;; amdgpu-corpus repo=ROCm/vllm kind=compiled arch=gfx1030 opt=O3
	.amdgcn_target "amdgcn-amd-amdhsa--gfx1030"
	.amdhsa_code_object_version 6
	.section	.text._ZN4vllm25paged_attention_v1_kernelIffLi32ELi8ELi128ELNS_18Fp8KVCacheDataTypeE0ELb1EEEvPT_PKS2_PKT0_S8_ifPKiSA_iPKfiiiSC_SC_iiiii,"axG",@progbits,_ZN4vllm25paged_attention_v1_kernelIffLi32ELi8ELi128ELNS_18Fp8KVCacheDataTypeE0ELb1EEEvPT_PKS2_PKT0_S8_ifPKiSA_iPKfiiiSC_SC_iiiii,comdat
	.protected	_ZN4vllm25paged_attention_v1_kernelIffLi32ELi8ELi128ELNS_18Fp8KVCacheDataTypeE0ELb1EEEvPT_PKS2_PKT0_S8_ifPKiSA_iPKfiiiSC_SC_iiiii ; -- Begin function _ZN4vllm25paged_attention_v1_kernelIffLi32ELi8ELi128ELNS_18Fp8KVCacheDataTypeE0ELb1EEEvPT_PKS2_PKT0_S8_ifPKiSA_iPKfiiiSC_SC_iiiii
	.globl	_ZN4vllm25paged_attention_v1_kernelIffLi32ELi8ELi128ELNS_18Fp8KVCacheDataTypeE0ELb1EEEvPT_PKS2_PKT0_S8_ifPKiSA_iPKfiiiSC_SC_iiiii
	.p2align	8
	.type	_ZN4vllm25paged_attention_v1_kernelIffLi32ELi8ELi128ELNS_18Fp8KVCacheDataTypeE0ELb1EEEvPT_PKS2_PKT0_S8_ifPKiSA_iPKfiiiSC_SC_iiiii,@function
_ZN4vllm25paged_attention_v1_kernelIffLi32ELi8ELi128ELNS_18Fp8KVCacheDataTypeE0ELb1EEEvPT_PKS2_PKT0_S8_ifPKiSA_iPKfiiiSC_SC_iiiii: ; @_ZN4vllm25paged_attention_v1_kernelIffLi32ELi8ELi128ELNS_18Fp8KVCacheDataTypeE0ELb1EEEvPT_PKS2_PKT0_S8_ifPKiSA_iPKfiiiSC_SC_iiiii
; %bb.0:
	s_clause 0x2
	s_load_dword s9, s[4:5], 0x80
	s_load_dwordx2 s[0:1], s[4:5], 0x30
	s_load_dwordx2 s[28:29], s[4:5], 0x20
	s_mov_b32 s10, s7
	s_ashr_i32 s11, s7, 31
	s_mov_b32 s33, 0
	s_lshl_b64 s[2:3], s[10:11], 2
	s_waitcnt lgkmcnt(0)
	s_add_u32 s0, s0, s2
	s_addc_u32 s1, s1, s3
	s_abs_i32 s2, s28
	s_abs_i32 s11, s9
	v_cvt_f32_u32_e32 v1, s2
	s_sub_i32 s7, 0, s2
	v_rcp_iflag_f32_e32 v1, v1
	v_mul_f32_e32 v1, 0x4f7ffffe, v1
	v_cvt_u32_f32_e32 v1, v1
	v_readfirstlane_b32 s3, v1
	s_mul_i32 s7, s7, s3
	s_mul_hi_u32 s7, s3, s7
	s_add_i32 s3, s3, s7
	s_xor_b32 s7, s9, s28
	s_mul_hi_u32 s3, s11, s3
	s_ashr_i32 s7, s7, 31
	s_mul_i32 s12, s3, s2
	s_sub_i32 s11, s11, s12
	s_add_i32 s12, s3, 1
	s_sub_i32 s13, s11, s2
	s_cmp_ge_u32 s11, s2
	s_cselect_b32 s3, s12, s3
	s_cselect_b32 s11, s13, s11
	s_add_i32 s12, s3, 1
	s_cmp_ge_u32 s11, s2
	s_cselect_b32 s2, s12, s3
	s_abs_i32 s22, s6
	s_xor_b32 s2, s2, s7
	s_sub_i32 s16, s2, s7
	s_load_dwordx2 s[2:3], s[4:5], 0x40
	s_abs_i32 s11, s16
	v_cvt_f32_u32_e32 v1, s11
	s_sub_i32 s12, 0, s11
	v_rcp_iflag_f32_e32 v1, v1
	v_mul_f32_e32 v1, 0x4f7ffffe, v1
	v_cvt_u32_f32_e32 v1, v1
	v_readfirstlane_b32 s7, v1
	s_mul_i32 s12, s12, s7
	s_mul_hi_u32 s12, s7, s12
	s_add_i32 s7, s7, s12
	s_waitcnt lgkmcnt(0)
	s_cmp_eq_u64 s[2:3], 0
	s_mul_hi_u32 s23, s22, s7
	s_cbranch_scc1 .LBB0_2
; %bb.1:
	s_ashr_i32 s7, s6, 31
	s_lshl_b64 s[12:13], s[6:7], 2
	s_add_u32 s2, s2, s12
	s_addc_u32 s3, s3, s13
	s_load_dword s33, s[2:3], 0x0
.LBB0_2:
	s_load_dword s30, s[0:1], 0x0
	s_load_dwordx4 s[12:15], s[4:5], 0x48
	v_and_b32_e32 v1, 3, v0
	v_cmp_gt_u32_e64 s0, 32, v0
	v_lshlrev_b32_e32 v3, 2, v0
	s_ashr_i32 s1, s6, 31
	s_ashr_i32 s2, s16, 31
	s_lshl_b32 s20, s6, 5
	s_and_saveexec_b32 s3, s0
	s_cbranch_execz .LBB0_4
; %bb.3:
	s_load_dwordx2 s[16:17], s[4:5], 0x8
	s_waitcnt lgkmcnt(0)
	s_mul_i32 s18, s12, s10
	v_and_b32_e32 v4, 0x3fc, v0
	s_ashr_i32 s19, s18, 31
	s_lshl_b64 s[18:19], s[18:19], 2
	v_lshl_add_u32 v4, v1, 5, v4
	s_add_u32 s7, s16, s18
	s_addc_u32 s12, s17, s19
	s_ashr_i32 s21, s20, 31
	s_lshl_b64 s[16:17], s[20:21], 2
	s_add_u32 s16, s7, s16
	s_addc_u32 s17, s12, s17
	global_load_dword v2, v3, s[16:17]
	s_waitcnt vmcnt(0)
	ds_write_b32 v4, v2
.LBB0_4:
	s_or_b32 exec_lo, exec_lo, s3
	s_load_dwordx4 s[16:19], s[4:5], 0x68
	s_mul_i32 s3, s23, s11
	s_xor_b32 s2, s1, s2
	s_sub_i32 s1, s22, s3
	s_add_i32 s3, s23, 1
	s_sub_i32 s7, s1, s11
	s_cmp_ge_u32 s1, s11
	s_waitcnt lgkmcnt(0)
	s_mov_b32 s15, -1
	s_cselect_b32 s3, s3, s23
	s_cselect_b32 s1, s7, s1
	s_add_i32 s7, s3, 1
	s_cmp_ge_u32 s1, s11
	s_load_dword s1, s[4:5], 0x78
	s_cselect_b32 s3, s7, s3
	s_add_i32 s11, s30, -1
	s_xor_b32 s3, s3, s2
	s_abs_i32 s7, s11
	s_sub_i32 s2, s3, s2
	s_waitcnt lgkmcnt(0)
	s_barrier
	s_abs_i32 s12, s19
	buffer_gl0_inv
	v_cvt_f32_u32_e32 v2, s12
	s_sub_i32 s3, 0, s12
                                        ; implicit-def: $sgpr31
	v_rcp_iflag_f32_e32 v2, v2
	v_mul_f32_e32 v2, 0x4f7ffffe, v2
	v_cvt_u32_f32_e32 v2, v2
	v_readfirstlane_b32 s21, v2
	s_mul_i32 s3, s3, s21
	s_mul_hi_u32 s3, s21, s3
	s_add_i32 s21, s21, s3
	s_cmp_lt_i32 s1, 0
	s_mul_hi_u32 s3, s7, s21
	s_cbranch_scc0 .LBB0_6
; %bb.5:
	s_mul_i32 s15, s16, s28
	s_add_i32 s15, s2, s15
	s_mul_i32 s15, s15, s1
	s_sub_i32 s31, 1, s15
	s_mov_b32 s15, 0
.LBB0_6:
	s_load_dwordx2 s[22:23], s[4:5], 0x28
	s_ashr_i32 s11, s11, 31
	s_andn2_b32 vcc_lo, exec_lo, s15
	s_ashr_i32 s19, s19, 31
	s_cbranch_vccnz .LBB0_8
; %bb.7:
	s_mul_i32 s15, s9, s16
	s_add_i32 s6, s15, s6
	s_mul_i32 s1, s6, s1
	s_add_i32 s31, s1, 1
.LBB0_8:
	s_load_dword s1, s[4:5], 0x38
	s_mul_i32 s6, s3, s12
	s_xor_b32 s15, s11, s19
	s_sub_i32 s28, s7, s6
	s_add_i32 s16, s3, 1
	s_clause 0x2
	s_load_dwordx2 s[6:7], s[4:5], 0x0
	s_load_dwordx2 s[26:27], s[4:5], 0x18
	s_load_dword s11, s[4:5], 0x88
	v_lshrrev_b32_e32 v15, 5, v0
	v_mov_b32_e32 v6, 0xff7fffff
	v_lshrrev_b32_e32 v4, 3, v0
	v_mbcnt_lo_u32_b32 v5, -1, 0
	s_mul_i32 s14, s2, s14
	v_lshlrev_b32_e32 v16, 3, v15
	s_waitcnt lgkmcnt(0)
	s_mul_i32 s24, s1, s10
	s_sub_i32 s1, s28, s12
	s_ashr_i32 s25, s24, 31
	s_cmp_ge_u32 s28, s12
	s_cselect_b32 s3, s16, s3
	s_cselect_b32 s1, s1, s28
	s_add_i32 s16, s3, 1
	s_cmp_ge_u32 s1, s12
	s_cselect_b32 s1, s16, s3
	s_add_i32 s3, s30, 7
	s_ashr_i32 s16, s3, 31
	s_lshr_b32 s16, s16, 29
	s_add_i32 s3, s3, s16
	s_ashr_i32 s16, s3, 3
	s_xor_b32 s3, s1, s15
	v_cmp_gt_i32_e64 s1, s16, v15
	s_sub_i32 s28, s3, s15
	s_and_saveexec_b32 s34, s1
	s_cbranch_execz .LBB0_20
; %bb.9:
	s_load_dwordx2 s[2:3], s[4:5], 0x10
	s_ashr_i32 s15, s14, 31
	s_sub_i32 s5, s28, s17
	s_lshl_b64 s[36:37], s[14:15], 2
	v_bfe_u32 v7, v0, 2, 3
	v_cmp_eq_u32_e32 vcc_lo, 0, v1
	v_lshlrev_b32_e32 v17, 2, v1
	v_lshlrev_b32_e32 v8, 5, v1
	v_and_b32_e32 v1, 0x7c, v4
	v_lshlrev_b32_e32 v13, 2, v7
	v_subrev_nc_u32_e32 v14, s30, v7
	v_lshlrev_b32_e32 v9, 3, v15
	v_mov_b32_e32 v10, 0xff7fffff
	v_xor_b32_e32 v11, 2, v5
	v_lshl_or_b32 v18, v15, 5, v13
	v_add_nc_u32_e32 v13, 1, v14
	v_xor_b32_e32 v12, 1, v5
	v_mov_b32_e32 v6, 0xff7fffff
	v_add_nc_u32_e32 v14, 0xa0, v18
	s_waitcnt lgkmcnt(0)
	s_add_u32 s4, s2, s36
	s_addc_u32 s3, s3, s37
	s_abs_i32 s15, s18
	s_lshl_b64 s[36:37], s[24:25], 2
	v_cvt_f32_u32_e32 v2, s15
	s_sub_i32 s35, 0, s15
	v_cmp_neq_f32_e64 s2, s33, 0
	v_rcp_iflag_f32_e32 v2, v2
	v_mul_f32_e32 v2, 0x4f7ffffe, v2
	v_cvt_u32_f32_e32 v19, v2
	v_lshlrev_b32_e32 v2, 4, v7
	v_mul_lo_u32 v18, s35, v19
	v_add_co_u32 v20, s4, s4, v2
	v_add_co_ci_u32_e64 v21, null, s3, 0, s4
	s_add_u32 s3, s22, s36
	s_addc_u32 s4, s23, s37
	v_add_co_u32 v1, s3, s3, v1
	v_mul_hi_u32 v22, v19, v18
	v_add_co_ci_u32_e64 v2, null, s4, 0, s3
	v_add_co_u32 v17, s3, v20, v17
	v_add_co_ci_u32_e64 v18, null, 0, v21, s3
	v_mov_b32_e32 v20, v15
	v_add_nc_u32_e32 v19, v19, v22
	s_mov_b32 s35, 0
	s_mov_b32 s36, s13
	s_branch .LBB0_12
.LBB0_10:                               ;   in Loop: Header=BB0_12 Depth=1
	s_or_b32 exec_lo, exec_lo, s37
.LBB0_11:                               ;   in Loop: Header=BB0_12 Depth=1
	s_or_b32 exec_lo, exec_lo, s4
	v_add_nc_u32_e32 v20, 4, v20
	v_add_co_u32 v1, s4, v1, 16
	v_add_co_ci_u32_e64 v2, null, 0, v2, s4
	v_cmp_le_i32_e64 s3, s16, v20
	v_add_nc_u32_e32 v9, 32, v9
	v_add_nc_u32_e32 v14, 0x80, v14
	s_or_b32 s35, s3, s35
	s_andn2_b32 exec_lo, exec_lo, s35
	s_cbranch_execz .LBB0_19
.LBB0_12:                               ; =>This Inner Loop Header: Depth=1
	v_mul_hi_u32 v21, v9, s21
	s_waitcnt lgkmcnt(0)
	v_mul_lo_u32 v22, v21, s12
	v_add_nc_u32_e32 v23, 1, v21
	v_sub_nc_u32_e32 v22, v9, v22
	v_subrev_nc_u32_e32 v24, s12, v22
	v_cmp_le_u32_e64 s3, s12, v22
	v_cndmask_b32_e64 v21, v21, v23, s3
	v_cndmask_b32_e64 v22, v22, v24, s3
	v_add_nc_u32_e32 v23, 1, v21
	v_cmp_le_u32_e64 s3, s12, v22
	v_cndmask_b32_e64 v21, v21, v23, s3
	v_xor_b32_e32 v21, s19, v21
	v_subrev_nc_u32_e32 v21, s19, v21
	v_add_nc_u32_e32 v22, s31, v21
	v_cmp_ge_i32_e64 s4, s5, v21
	v_sub_nc_u32_e32 v23, 0, v22
	v_max_i32_e32 v23, v22, v23
	v_ashrrev_i32_e32 v22, 31, v22
	v_mul_hi_u32 v24, v23, v19
	v_mul_lo_u32 v24, v24, s15
	v_sub_nc_u32_e32 v23, v23, v24
	v_subrev_nc_u32_e32 v24, s15, v23
	v_cmp_le_u32_e64 s3, s15, v23
	v_cndmask_b32_e64 v23, v23, v24, s3
	v_subrev_nc_u32_e32 v24, s15, v23
	v_cmp_le_u32_e64 s3, s15, v23
	v_cndmask_b32_e64 v23, v23, v24, s3
	v_xor_b32_e32 v23, v23, v22
	v_sub_nc_u32_e32 v22, v23, v22
	v_cmp_ne_u32_e64 s3, 0, v22
	s_and_b32 s3, s3, s4
	s_and_saveexec_b32 s4, s3
	s_xor_b32 s3, exec_lo, s4
	s_cbranch_execz .LBB0_16
; %bb.13:                               ;   in Loop: Header=BB0_12 Depth=1
	s_and_saveexec_b32 s4, vcc_lo
; %bb.14:                               ;   in Loop: Header=BB0_12 Depth=1
	ds_write_b32 v14, v10
; %bb.15:                               ;   in Loop: Header=BB0_12 Depth=1
	s_or_b32 exec_lo, exec_lo, s4
.LBB0_16:                               ;   in Loop: Header=BB0_12 Depth=1
	s_andn2_saveexec_b32 s4, s3
	s_cbranch_execz .LBB0_11
; %bb.17:                               ;   in Loop: Header=BB0_12 Depth=1
	global_load_dword v21, v[1:2], off
	s_waitcnt vmcnt(0)
	v_mad_i64_i32 v[21:22], null, v21, s36, 0
	v_lshlrev_b64 v[21:22], 2, v[21:22]
	v_add_co_u32 v21, s3, v17, v21
	v_add_co_ci_u32_e64 v22, null, v18, v22, s3
	v_cmp_gt_i32_e64 s3, 32, v11
	s_clause 0x7
	global_load_dword v29, v[21:22], off offset:128
	global_load_dword v30, v[21:22], off
	global_load_dword v31, v[21:22], off offset:256
	global_load_dword v32, v[21:22], off offset:384
	;; [unrolled: 1-line block ×6, first 2 shown]
	ds_read_b128 v[21:24], v8
	ds_read_b128 v[25:28], v8 offset:16
	s_waitcnt vmcnt(7) lgkmcnt(1)
	v_mul_f32_e32 v22, v22, v29
	s_waitcnt vmcnt(6)
	v_fmac_f32_e32 v22, v21, v30
	v_cndmask_b32_e64 v21, v5, v11, s3
	v_cmp_gt_i32_e64 s3, 32, v12
	s_waitcnt vmcnt(5)
	v_fmac_f32_e32 v22, v23, v31
	v_lshlrev_b32_e32 v21, 2, v21
	v_cndmask_b32_e64 v23, v5, v12, s3
	s_waitcnt vmcnt(4)
	v_fmac_f32_e32 v22, v24, v32
	v_lshlrev_b32_e32 v23, 2, v23
	s_waitcnt vmcnt(3) lgkmcnt(0)
	v_fmac_f32_e32 v22, v25, v33
	s_waitcnt vmcnt(2)
	v_fmac_f32_e32 v22, v26, v34
	s_waitcnt vmcnt(1)
	;; [unrolled: 2-line block ×3, first 2 shown]
	v_fmac_f32_e32 v22, v28, v36
	ds_bpermute_b32 v21, v21, v22
	s_waitcnt lgkmcnt(0)
	v_add_f32_e32 v21, v22, v21
	ds_bpermute_b32 v22, v23, v21
	s_and_saveexec_b32 s37, vcc_lo
	s_cbranch_execz .LBB0_10
; %bb.18:                               ;   in Loop: Header=BB0_12 Depth=1
	v_add_nc_u32_e32 v23, v13, v9
	s_waitcnt lgkmcnt(0)
	v_add_f32_e32 v21, v21, v22
	v_cvt_f32_i32_e32 v23, v23
	v_mul_f32_e32 v23, s33, v23
	v_cndmask_b32_e64 v22, 0, v23, s2
	v_max_f32_e32 v23, v6, v6
	v_fmac_f32_e32 v22, s29, v21
	v_add_nc_u32_e32 v21, v7, v9
	v_max_f32_e32 v23, v23, v22
	v_cmp_gt_i32_e64 s3, s30, v21
	v_cndmask_b32_e64 v21, 0, v22, s3
	v_cndmask_b32_e64 v6, v6, v23, s3
	ds_write_b32 v14, v21
	s_branch .LBB0_10
.LBB0_19:
	s_or_b32 exec_lo, exec_lo, s35
.LBB0_20:
	s_or_b32 exec_lo, exec_lo, s34
	v_xor_b32_e32 v1, 16, v5
	v_xor_b32_e32 v7, 8, v5
	v_max_f32_e32 v8, v6, v6
	v_and_b32_e32 v17, 31, v0
	v_cmp_gt_i32_e32 vcc_lo, 32, v1
	v_cndmask_b32_e32 v1, v5, v1, vcc_lo
	v_cmp_gt_i32_e32 vcc_lo, 32, v7
	v_lshlrev_b32_e32 v2, 2, v1
	ds_bpermute_b32 v1, v2, v6
	v_cndmask_b32_e32 v6, v5, v7, vcc_lo
	v_lshlrev_b32_e32 v6, 2, v6
	s_waitcnt lgkmcnt(0)
	v_max_f32_e32 v1, v1, v1
	v_max_f32_e32 v1, v8, v1
	v_xor_b32_e32 v8, 4, v5
	ds_bpermute_b32 v7, v6, v1
	v_cmp_gt_i32_e32 vcc_lo, 32, v8
	v_cndmask_b32_e32 v8, v5, v8, vcc_lo
	v_cmp_eq_u32_e32 vcc_lo, 0, v17
	v_lshlrev_b32_e32 v9, 2, v8
	s_waitcnt lgkmcnt(0)
	v_max_f32_e32 v7, v7, v7
	v_max_f32_e32 v1, v1, v7
	v_lshlrev_b32_e32 v7, 2, v15
	ds_bpermute_b32 v8, v9, v1
	s_and_saveexec_b32 s2, vcc_lo
	s_cbranch_execz .LBB0_22
; %bb.21:
	s_waitcnt lgkmcnt(0)
	v_max_f32_e32 v8, v8, v8
	v_max_f32_e32 v1, v1, v1
	;; [unrolled: 1-line block ×3, first 2 shown]
	ds_write_b32 v7, v1 offset:128
.LBB0_22:
	s_or_b32 exec_lo, exec_lo, s2
	v_cmp_gt_u32_e64 s2, 4, v17
	v_mov_b32_e32 v1, 0xff7fffff
	s_waitcnt lgkmcnt(0)
	v_lshlrev_b32_e32 v8, 2, v17
	s_barrier
	buffer_gl0_inv
	s_and_saveexec_b32 s3, s2
; %bb.23:
	ds_read_b32 v1, v8 offset:128
; %bb.24:
	s_or_b32 exec_lo, exec_lo, s3
	v_xor_b32_e32 v10, 2, v5
	v_xor_b32_e32 v12, 1, v5
	v_cmp_gt_i32_e64 s3, 32, v10
	v_cndmask_b32_e64 v10, v5, v10, s3
	v_cmp_gt_i32_e64 s3, 32, v12
	v_lshlrev_b32_e32 v10, 2, v10
	v_cndmask_b32_e64 v5, v5, v12, s3
	s_lshl_b32 s3, s16, 3
	s_min_i32 s5, s3, s30
	s_waitcnt lgkmcnt(0)
	ds_bpermute_b32 v11, v10, v1
	v_max_f32_e32 v1, v1, v1
	v_lshlrev_b32_e32 v18, 2, v5
	v_cmp_gt_i32_e64 s3, s5, v0
	s_waitcnt lgkmcnt(0)
	v_max_f32_e32 v11, v11, v11
	v_max_f32_e32 v1, v1, v11
	ds_bpermute_b32 v5, v18, v1
	s_waitcnt lgkmcnt(0)
	v_max_f32_e32 v5, v5, v5
	v_max_f32_e32 v1, v1, v5
	v_mov_b32_e32 v5, 0
	ds_bpermute_b32 v11, v5, v1
	v_lshl_add_u32 v1, v0, 2, 0xa0
	s_and_saveexec_b32 s15, s3
	s_cbranch_execz .LBB0_28
; %bb.25:
	v_lshl_add_u32 v12, v0, 2, 0xa0
	v_mov_b32_e32 v5, 0
	v_mov_b32_e32 v13, v0
	s_mov_b32 s29, 0
	.p2align	6
.LBB0_26:                               ; =>This Inner Loop Header: Depth=1
	ds_read_b32 v14, v12
	v_add_nc_u32_e32 v13, 0x80, v13
	v_cmp_le_i32_e64 s4, s5, v13
	s_or_b32 s29, s4, s29
	s_waitcnt lgkmcnt(0)
	v_sub_f32_e32 v14, v14, v11
	v_mul_f32_e32 v14, 0x3fb8aa3b, v14
	v_exp_f32_e32 v14, v14
	ds_write_b32 v12, v14
	v_add_f32_e32 v5, v5, v14
	v_add_nc_u32_e32 v12, 0x200, v12
	s_andn2_b32 exec_lo, exec_lo, s29
	s_cbranch_execnz .LBB0_26
; %bb.27:
	s_or_b32 exec_lo, exec_lo, s29
.LBB0_28:
	s_or_b32 exec_lo, exec_lo, s15
	ds_bpermute_b32 v2, v2, v5
	s_waitcnt lgkmcnt(0)
	v_add_f32_e32 v2, v5, v2
	ds_bpermute_b32 v5, v6, v2
	s_waitcnt lgkmcnt(0)
	v_add_f32_e32 v2, v2, v5
	;; [unrolled: 3-line block ×5, first 2 shown]
	s_and_saveexec_b32 s4, vcc_lo
; %bb.29:
	ds_write_b32 v7, v2 offset:144
; %bb.30:
	s_or_b32 exec_lo, exec_lo, s4
	s_waitcnt lgkmcnt(0)
	s_barrier
	buffer_gl0_inv
	s_and_saveexec_b32 s4, s2
; %bb.31:
	ds_read_b32 v2, v8 offset:144
; %bb.32:
	s_or_b32 exec_lo, exec_lo, s4
	s_waitcnt lgkmcnt(0)
	ds_bpermute_b32 v5, v10, v2
	s_waitcnt lgkmcnt(0)
	v_add_f32_e32 v2, v2, v5
	ds_bpermute_b32 v5, v18, v2
	s_waitcnt lgkmcnt(0)
	v_add_f32_e32 v2, v2, v5
	v_mov_b32_e32 v5, 0
	ds_bpermute_b32 v2, v5, v2
	s_and_saveexec_b32 s2, s3
	s_cbranch_execz .LBB0_35
; %bb.33:
	s_waitcnt lgkmcnt(0)
	v_add_f32_e32 v2, 0x358637bd, v2
	s_mov_b32 s3, 0
	v_div_scale_f32 v5, null, v2, v2, 1.0
	v_div_scale_f32 v8, vcc_lo, 1.0, v2, 1.0
	v_rcp_f32_e32 v6, v5
	v_fma_f32 v7, -v5, v6, 1.0
	v_fmac_f32_e32 v6, v7, v6
	v_mul_f32_e32 v7, v8, v6
	v_fma_f32 v9, -v5, v7, v8
	v_fmac_f32_e32 v7, v9, v6
	v_fma_f32 v5, -v5, v7, v8
	v_div_fmas_f32 v5, v5, v6, v7
	v_div_fixup_f32 v2, v5, v2, 1.0
	v_mov_b32_e32 v5, v0
.LBB0_34:                               ; =>This Inner Loop Header: Depth=1
	ds_read_b32 v6, v1
	v_add_nc_u32_e32 v5, 0x80, v5
	v_cmp_le_i32_e32 vcc_lo, s5, v5
	s_or_b32 s3, vcc_lo, s3
	s_waitcnt lgkmcnt(0)
	v_mul_f32_e32 v6, v2, v6
	ds_write_b32 v1, v6
	v_add_nc_u32_e32 v1, 0x200, v1
	s_andn2_b32 exec_lo, exec_lo, s3
	s_cbranch_execnz .LBB0_34
.LBB0_35:
	s_or_b32 exec_lo, exec_lo, s2
	v_mov_b32_e32 v21, 0
	v_and_b32_e32 v19, 1, v0
	v_mov_b32_e32 v20, 0
	s_waitcnt lgkmcnt(0)
	s_barrier
	buffer_gl0_inv
	s_and_saveexec_b32 s2, s1
	s_cbranch_execz .LBB0_45
; %bb.36:
	s_ashr_i32 s15, s14, 31
	s_sub_i32 s3, s28, s17
	s_lshl_b64 s[4:5], s[14:15], 2
	v_lshlrev_b32_e32 v2, 4, v0
	s_add_u32 s1, s26, s4
	s_addc_u32 s17, s27, s5
	s_abs_i32 s4, s18
	v_and_b32_e32 v22, 4, v3
	v_cvt_f32_u32_e32 v1, s4
	s_sub_i32 s5, 0, s4
	v_and_b32_e32 v3, 0x7c, v4
	v_lshlrev_b32_e32 v4, 4, v19
	v_and_b32_e32 v2, 0x1f0, v2
	v_rcp_iflag_f32_e32 v1, v1
	s_lshl_b64 s[14:15], s[24:25], 2
	v_mov_b32_e32 v20, 0
	v_lshl_or_b32 v4, v15, 5, v4
	v_add_co_u32 v23, s1, s1, v2
	v_add_co_ci_u32_e64 v24, null, s17, 0, s1
	v_mov_b32_e32 v21, 0
	v_add_nc_u32_e32 v25, 0xa0, v4
	v_mul_f32_e32 v1, 0x4f7ffffe, v1
	v_mov_b32_e32 v27, v15
	v_cvt_u32_f32_e32 v1, v1
	v_mul_lo_u32 v5, s5, v1
	s_add_i32 s5, s16, -1
	s_add_u32 s14, s22, s14
	s_addc_u32 s15, s23, s15
	v_add_co_u32 v13, s1, s14, v3
	v_add_co_ci_u32_e64 v14, null, s15, 0, s1
	v_mul_hi_u32 v5, v1, v5
	s_mov_b32 s14, s13
	s_mov_b32 s13, 0
	v_add_nc_u32_e32 v26, v1, v5
	s_branch .LBB0_39
.LBB0_37:                               ;   in Loop: Header=BB0_39 Depth=1
	s_or_b32 exec_lo, exec_lo, s1
	s_waitcnt vmcnt(1) lgkmcnt(0)
	v_mul_f32_e32 v5, v1, v5
	s_waitcnt vmcnt(0)
	v_mul_f32_e32 v1, v1, v9
	v_fmac_f32_e32 v5, v2, v6
	v_fmac_f32_e32 v1, v2, v10
	;; [unrolled: 1-line block ×6, first 2 shown]
	v_add_f32_e32 v21, v21, v5
	v_add_f32_e32 v20, v20, v1
.LBB0_38:                               ;   in Loop: Header=BB0_39 Depth=1
	s_or_b32 exec_lo, exec_lo, s15
	v_add_nc_u32_e32 v27, 4, v27
	v_add_co_u32 v13, s1, v13, 16
	v_add_co_ci_u32_e64 v14, null, 0, v14, s1
	v_cmp_le_i32_e32 vcc_lo, s16, v27
	v_add_nc_u32_e32 v16, 32, v16
	v_add_nc_u32_e32 v25, 0x80, v25
	s_or_b32 s13, vcc_lo, s13
	s_andn2_b32 exec_lo, exec_lo, s13
	s_cbranch_execz .LBB0_44
.LBB0_39:                               ; =>This Inner Loop Header: Depth=1
	v_mul_hi_u32 v1, v16, s21
	v_mul_lo_u32 v2, v1, s12
	v_add_nc_u32_e32 v3, 1, v1
	v_sub_nc_u32_e32 v2, v16, v2
	v_subrev_nc_u32_e32 v4, s12, v2
	v_cmp_le_u32_e32 vcc_lo, s12, v2
	v_cndmask_b32_e32 v1, v1, v3, vcc_lo
	v_cndmask_b32_e32 v2, v2, v4, vcc_lo
	v_add_nc_u32_e32 v3, 1, v1
	v_cmp_le_u32_e32 vcc_lo, s12, v2
	v_cndmask_b32_e32 v1, v1, v3, vcc_lo
	v_xor_b32_e32 v1, s19, v1
	v_subrev_nc_u32_e32 v1, s19, v1
	v_add_nc_u32_e32 v2, s31, v1
	v_cmp_lt_i32_e64 s1, s3, v1
	v_sub_nc_u32_e32 v3, 0, v2
	v_max_i32_e32 v3, v2, v3
	v_ashrrev_i32_e32 v2, 31, v2
	v_mul_hi_u32 v4, v3, v26
	v_mul_lo_u32 v4, v4, s4
	v_sub_nc_u32_e32 v3, v3, v4
	v_subrev_nc_u32_e32 v4, s4, v3
	v_cmp_le_u32_e32 vcc_lo, s4, v3
	v_cndmask_b32_e32 v3, v3, v4, vcc_lo
	v_subrev_nc_u32_e32 v4, s4, v3
	v_cmp_le_u32_e32 vcc_lo, s4, v3
	v_cndmask_b32_e32 v3, v3, v4, vcc_lo
	v_xor_b32_e32 v3, v3, v2
	v_sub_nc_u32_e32 v2, v3, v2
	v_cmp_eq_u32_e32 vcc_lo, 0, v2
	s_or_b32 s1, vcc_lo, s1
	s_and_saveexec_b32 s15, s1
	s_cbranch_execz .LBB0_38
; %bb.40:                               ;   in Loop: Header=BB0_39 Depth=1
	global_load_dword v1, v[13:14], off
	v_add_nc_u32_e32 v28, v22, v16
	v_add_nc_u32_e32 v31, 1, v28
	;; [unrolled: 1-line block ×4, first 2 shown]
	s_waitcnt vmcnt(0)
	v_mad_i64_i32 v[1:2], null, v1, s14, 0
	v_lshlrev_b64 v[1:2], 2, v[1:2]
	v_add_co_u32 v9, vcc_lo, v23, v1
	v_add_co_ci_u32_e64 v10, null, v24, v2, vcc_lo
	ds_read_b128 v[1:4], v25
	v_cmp_eq_u32_e32 vcc_lo, s5, v27
	global_load_dwordx4 v[5:8], v[9:10], off
	s_and_saveexec_b32 s17, vcc_lo
	s_cbranch_execz .LBB0_42
; %bb.41:                               ;   in Loop: Header=BB0_39 Depth=1
	v_cmp_gt_i32_e64 s1, s30, v28
	s_waitcnt vmcnt(0)
	v_cndmask_b32_e64 v5, 0, v5, s1
	v_cmp_gt_i32_e64 s1, s30, v31
	v_cndmask_b32_e64 v6, 0, v6, s1
	v_cmp_gt_i32_e64 s1, s30, v30
	;; [unrolled: 2-line block ×3, first 2 shown]
	v_cndmask_b32_e64 v8, 0, v8, s1
.LBB0_42:                               ;   in Loop: Header=BB0_39 Depth=1
	s_or_b32 exec_lo, exec_lo, s17
	global_load_dwordx4 v[9:12], v[9:10], off offset:512
	s_and_saveexec_b32 s1, vcc_lo
	s_cbranch_execz .LBB0_37
; %bb.43:                               ;   in Loop: Header=BB0_39 Depth=1
	v_cmp_gt_i32_e32 vcc_lo, s30, v28
	s_waitcnt vmcnt(0)
	v_cndmask_b32_e32 v9, 0, v9, vcc_lo
	v_cmp_gt_i32_e32 vcc_lo, s30, v31
	v_cndmask_b32_e32 v10, 0, v10, vcc_lo
	v_cmp_gt_i32_e32 vcc_lo, s30, v30
	;; [unrolled: 2-line block ×3, first 2 shown]
	v_cndmask_b32_e32 v12, 0, v12, vcc_lo
	s_branch .LBB0_37
.LBB0_44:
	s_or_b32 exec_lo, exec_lo, s13
.LBB0_45:
	s_or_b32 exec_lo, exec_lo, s2
	ds_bpermute_b32 v1, v18, v21
	ds_bpermute_b32 v2, v18, v20
	v_lshrrev_b32_e32 v3, 1, v17
	v_and_b32_e32 v5, 0x3c1, v0
	s_mov_b32 s1, exec_lo
	s_waitcnt lgkmcnt(0)
	s_barrier
	v_lshl_add_u32 v4, v3, 2, 0xa0
	buffer_gl0_inv
	v_add_f32_e32 v1, v21, v1
	v_add_f32_e32 v2, v20, v2
	v_cmpx_eq_u32_e32 64, v5
	s_cbranch_execz .LBB0_47
; %bb.46:
	v_lshl_add_u32 v5, v15, 7, v4
	v_add_nc_u32_e32 v6, 0xffffff00, v5
	v_add_nc_u32_e32 v5, 0xffffff40, v5
	ds_write_b32 v6, v1
	ds_write_b32 v5, v2
.LBB0_47:
	s_or_b32 exec_lo, exec_lo, s1
	v_and_b32_e32 v5, 0x3e0, v0
	v_lshlrev_b32_e32 v3, 2, v3
	s_mov_b32 s2, exec_lo
	v_cmp_eq_u32_e32 vcc_lo, 0, v19
	s_waitcnt lgkmcnt(0)
	v_lshlrev_b32_e32 v5, 2, v5
	s_barrier
	buffer_gl0_inv
	v_add3_u32 v3, 0xa0, v5, v3
	v_cmpx_gt_u32_e32 64, v0
	s_cbranch_execz .LBB0_53
; %bb.48:
	s_and_saveexec_b32 s1, vcc_lo
	s_cbranch_execz .LBB0_50
; %bb.49:
	ds_read_b32 v5, v3
	s_waitcnt lgkmcnt(0)
	v_add_f32_e32 v1, v1, v5
.LBB0_50:
	s_or_b32 exec_lo, exec_lo, s1
	s_and_saveexec_b32 s1, vcc_lo
	s_cbranch_execz .LBB0_52
; %bb.51:
	ds_read_b32 v5, v3 offset:64
	s_waitcnt lgkmcnt(0)
	v_add_f32_e32 v2, v2, v5
.LBB0_52:
	s_or_b32 exec_lo, exec_lo, s1
.LBB0_53:
	s_or_b32 exec_lo, exec_lo, s2
	v_and_b32_e32 v5, 0x3e1, v0
	s_mov_b32 s2, exec_lo
	s_barrier
	buffer_gl0_inv
	v_cmpx_eq_u32_e32 32, v5
; %bb.54:
	ds_write2_b32 v4, v1, v2 offset1:16
; %bb.55:
	s_or_b32 exec_lo, exec_lo, s2
	s_waitcnt lgkmcnt(0)
	s_barrier
	buffer_gl0_inv
	s_and_saveexec_b32 s1, s0
	s_cbranch_execz .LBB0_61
; %bb.56:
	s_and_saveexec_b32 s0, vcc_lo
	s_cbranch_execz .LBB0_58
; %bb.57:
	ds_read_b32 v4, v3
	s_waitcnt lgkmcnt(0)
	v_add_f32_e32 v1, v1, v4
.LBB0_58:
	s_or_b32 exec_lo, exec_lo, s0
	s_and_saveexec_b32 s0, vcc_lo
	s_cbranch_execz .LBB0_60
; %bb.59:
	ds_read_b32 v3, v3 offset:64
	s_waitcnt lgkmcnt(0)
	v_add_f32_e32 v2, v2, v3
.LBB0_60:
	s_or_b32 exec_lo, exec_lo, s0
.LBB0_61:
	s_or_b32 exec_lo, exec_lo, s1
	s_barrier
	buffer_gl0_inv
	s_mov_b32 s0, exec_lo
	v_cmpx_eq_u32_e32 0, v5
	s_cbranch_execz .LBB0_63
; %bb.62:
	s_mul_i32 s0, s10, s11
	s_mul_i32 s2, s11, s20
	;; [unrolled: 1-line block ×3, first 2 shown]
	v_lshlrev_b32_e32 v0, 1, v0
	s_lshl_b32 s0, s0, 5
	s_ashr_i32 s1, s0, 31
	s_lshl_b64 s[0:1], s[0:1], 2
	s_add_u32 s4, s6, s0
	s_addc_u32 s5, s7, s1
	s_ashr_i32 s3, s2, 31
	s_lshl_b64 s[0:1], s[2:3], 2
	s_add_u32 s2, s4, s0
	s_addc_u32 s3, s5, s1
	s_lshl_b32 s0, s8, 5
	s_ashr_i32 s1, s0, 31
	s_lshl_b64 s[0:1], s[0:1], 2
	s_add_u32 s0, s2, s0
	s_addc_u32 s1, s3, s1
	global_store_dword v0, v1, s[0:1]
	global_store_dword v0, v2, s[0:1] offset:64
.LBB0_63:
	s_endpgm
	.section	.rodata,"a",@progbits
	.p2align	6, 0x0
	.amdhsa_kernel _ZN4vllm25paged_attention_v1_kernelIffLi32ELi8ELi128ELNS_18Fp8KVCacheDataTypeE0ELb1EEEvPT_PKS2_PKT0_S8_ifPKiSA_iPKfiiiSC_SC_iiiii
		.amdhsa_group_segment_fixed_size 160
		.amdhsa_private_segment_fixed_size 0
		.amdhsa_kernarg_size 384
		.amdhsa_user_sgpr_count 6
		.amdhsa_user_sgpr_private_segment_buffer 1
		.amdhsa_user_sgpr_dispatch_ptr 0
		.amdhsa_user_sgpr_queue_ptr 0
		.amdhsa_user_sgpr_kernarg_segment_ptr 1
		.amdhsa_user_sgpr_dispatch_id 0
		.amdhsa_user_sgpr_flat_scratch_init 0
		.amdhsa_user_sgpr_private_segment_size 0
		.amdhsa_wavefront_size32 1
		.amdhsa_uses_dynamic_stack 0
		.amdhsa_system_sgpr_private_segment_wavefront_offset 0
		.amdhsa_system_sgpr_workgroup_id_x 1
		.amdhsa_system_sgpr_workgroup_id_y 1
		.amdhsa_system_sgpr_workgroup_id_z 1
		.amdhsa_system_sgpr_workgroup_info 0
		.amdhsa_system_vgpr_workitem_id 0
		.amdhsa_next_free_vgpr 37
		.amdhsa_next_free_sgpr 38
		.amdhsa_reserve_vcc 1
		.amdhsa_reserve_flat_scratch 0
		.amdhsa_float_round_mode_32 0
		.amdhsa_float_round_mode_16_64 0
		.amdhsa_float_denorm_mode_32 3
		.amdhsa_float_denorm_mode_16_64 3
		.amdhsa_dx10_clamp 1
		.amdhsa_ieee_mode 1
		.amdhsa_fp16_overflow 0
		.amdhsa_workgroup_processor_mode 1
		.amdhsa_memory_ordered 1
		.amdhsa_forward_progress 1
		.amdhsa_shared_vgpr_count 0
		.amdhsa_exception_fp_ieee_invalid_op 0
		.amdhsa_exception_fp_denorm_src 0
		.amdhsa_exception_fp_ieee_div_zero 0
		.amdhsa_exception_fp_ieee_overflow 0
		.amdhsa_exception_fp_ieee_underflow 0
		.amdhsa_exception_fp_ieee_inexact 0
		.amdhsa_exception_int_div_zero 0
	.end_amdhsa_kernel
	.section	.text._ZN4vllm25paged_attention_v1_kernelIffLi32ELi8ELi128ELNS_18Fp8KVCacheDataTypeE0ELb1EEEvPT_PKS2_PKT0_S8_ifPKiSA_iPKfiiiSC_SC_iiiii,"axG",@progbits,_ZN4vllm25paged_attention_v1_kernelIffLi32ELi8ELi128ELNS_18Fp8KVCacheDataTypeE0ELb1EEEvPT_PKS2_PKT0_S8_ifPKiSA_iPKfiiiSC_SC_iiiii,comdat
.Lfunc_end0:
	.size	_ZN4vllm25paged_attention_v1_kernelIffLi32ELi8ELi128ELNS_18Fp8KVCacheDataTypeE0ELb1EEEvPT_PKS2_PKT0_S8_ifPKiSA_iPKfiiiSC_SC_iiiii, .Lfunc_end0-_ZN4vllm25paged_attention_v1_kernelIffLi32ELi8ELi128ELNS_18Fp8KVCacheDataTypeE0ELb1EEEvPT_PKS2_PKT0_S8_ifPKiSA_iPKfiiiSC_SC_iiiii
                                        ; -- End function
	.set _ZN4vllm25paged_attention_v1_kernelIffLi32ELi8ELi128ELNS_18Fp8KVCacheDataTypeE0ELb1EEEvPT_PKS2_PKT0_S8_ifPKiSA_iPKfiiiSC_SC_iiiii.num_vgpr, 37
	.set _ZN4vllm25paged_attention_v1_kernelIffLi32ELi8ELi128ELNS_18Fp8KVCacheDataTypeE0ELb1EEEvPT_PKS2_PKT0_S8_ifPKiSA_iPKfiiiSC_SC_iiiii.num_agpr, 0
	.set _ZN4vllm25paged_attention_v1_kernelIffLi32ELi8ELi128ELNS_18Fp8KVCacheDataTypeE0ELb1EEEvPT_PKS2_PKT0_S8_ifPKiSA_iPKfiiiSC_SC_iiiii.numbered_sgpr, 38
	.set _ZN4vllm25paged_attention_v1_kernelIffLi32ELi8ELi128ELNS_18Fp8KVCacheDataTypeE0ELb1EEEvPT_PKS2_PKT0_S8_ifPKiSA_iPKfiiiSC_SC_iiiii.num_named_barrier, 0
	.set _ZN4vllm25paged_attention_v1_kernelIffLi32ELi8ELi128ELNS_18Fp8KVCacheDataTypeE0ELb1EEEvPT_PKS2_PKT0_S8_ifPKiSA_iPKfiiiSC_SC_iiiii.private_seg_size, 0
	.set _ZN4vllm25paged_attention_v1_kernelIffLi32ELi8ELi128ELNS_18Fp8KVCacheDataTypeE0ELb1EEEvPT_PKS2_PKT0_S8_ifPKiSA_iPKfiiiSC_SC_iiiii.uses_vcc, 1
	.set _ZN4vllm25paged_attention_v1_kernelIffLi32ELi8ELi128ELNS_18Fp8KVCacheDataTypeE0ELb1EEEvPT_PKS2_PKT0_S8_ifPKiSA_iPKfiiiSC_SC_iiiii.uses_flat_scratch, 0
	.set _ZN4vllm25paged_attention_v1_kernelIffLi32ELi8ELi128ELNS_18Fp8KVCacheDataTypeE0ELb1EEEvPT_PKS2_PKT0_S8_ifPKiSA_iPKfiiiSC_SC_iiiii.has_dyn_sized_stack, 0
	.set _ZN4vllm25paged_attention_v1_kernelIffLi32ELi8ELi128ELNS_18Fp8KVCacheDataTypeE0ELb1EEEvPT_PKS2_PKT0_S8_ifPKiSA_iPKfiiiSC_SC_iiiii.has_recursion, 0
	.set _ZN4vllm25paged_attention_v1_kernelIffLi32ELi8ELi128ELNS_18Fp8KVCacheDataTypeE0ELb1EEEvPT_PKS2_PKT0_S8_ifPKiSA_iPKfiiiSC_SC_iiiii.has_indirect_call, 0
	.section	.AMDGPU.csdata,"",@progbits
; Kernel info:
; codeLenInByte = 3648
; TotalNumSgprs: 40
; NumVgprs: 37
; ScratchSize: 0
; MemoryBound: 0
; FloatMode: 240
; IeeeMode: 1
; LDSByteSize: 160 bytes/workgroup (compile time only)
; SGPRBlocks: 0
; VGPRBlocks: 4
; NumSGPRsForWavesPerEU: 40
; NumVGPRsForWavesPerEU: 37
; Occupancy: 16
; WaveLimiterHint : 1
; COMPUTE_PGM_RSRC2:SCRATCH_EN: 0
; COMPUTE_PGM_RSRC2:USER_SGPR: 6
; COMPUTE_PGM_RSRC2:TRAP_HANDLER: 0
; COMPUTE_PGM_RSRC2:TGID_X_EN: 1
; COMPUTE_PGM_RSRC2:TGID_Y_EN: 1
; COMPUTE_PGM_RSRC2:TGID_Z_EN: 1
; COMPUTE_PGM_RSRC2:TIDIG_COMP_CNT: 0
	.section	.text._ZN4vllm25paged_attention_v1_kernelIffLi64ELi8ELi128ELNS_18Fp8KVCacheDataTypeE0ELb1EEEvPT_PKS2_PKT0_S8_ifPKiSA_iPKfiiiSC_SC_iiiii,"axG",@progbits,_ZN4vllm25paged_attention_v1_kernelIffLi64ELi8ELi128ELNS_18Fp8KVCacheDataTypeE0ELb1EEEvPT_PKS2_PKT0_S8_ifPKiSA_iPKfiiiSC_SC_iiiii,comdat
	.protected	_ZN4vllm25paged_attention_v1_kernelIffLi64ELi8ELi128ELNS_18Fp8KVCacheDataTypeE0ELb1EEEvPT_PKS2_PKT0_S8_ifPKiSA_iPKfiiiSC_SC_iiiii ; -- Begin function _ZN4vllm25paged_attention_v1_kernelIffLi64ELi8ELi128ELNS_18Fp8KVCacheDataTypeE0ELb1EEEvPT_PKS2_PKT0_S8_ifPKiSA_iPKfiiiSC_SC_iiiii
	.globl	_ZN4vllm25paged_attention_v1_kernelIffLi64ELi8ELi128ELNS_18Fp8KVCacheDataTypeE0ELb1EEEvPT_PKS2_PKT0_S8_ifPKiSA_iPKfiiiSC_SC_iiiii
	.p2align	8
	.type	_ZN4vllm25paged_attention_v1_kernelIffLi64ELi8ELi128ELNS_18Fp8KVCacheDataTypeE0ELb1EEEvPT_PKS2_PKT0_S8_ifPKiSA_iPKfiiiSC_SC_iiiii,@function
_ZN4vllm25paged_attention_v1_kernelIffLi64ELi8ELi128ELNS_18Fp8KVCacheDataTypeE0ELb1EEEvPT_PKS2_PKT0_S8_ifPKiSA_iPKfiiiSC_SC_iiiii: ; @_ZN4vllm25paged_attention_v1_kernelIffLi64ELi8ELi128ELNS_18Fp8KVCacheDataTypeE0ELb1EEEvPT_PKS2_PKT0_S8_ifPKiSA_iPKfiiiSC_SC_iiiii
; %bb.0:
	s_clause 0x2
	s_load_dword s9, s[4:5], 0x80
	s_load_dwordx2 s[0:1], s[4:5], 0x30
	s_load_dwordx2 s[28:29], s[4:5], 0x20
	s_mov_b32 s10, s7
	s_ashr_i32 s11, s7, 31
	s_mov_b32 s33, 0
	s_lshl_b64 s[2:3], s[10:11], 2
	s_waitcnt lgkmcnt(0)
	s_add_u32 s0, s0, s2
	s_addc_u32 s1, s1, s3
	s_abs_i32 s2, s28
	s_abs_i32 s11, s9
	v_cvt_f32_u32_e32 v1, s2
	s_sub_i32 s7, 0, s2
	v_rcp_iflag_f32_e32 v1, v1
	v_mul_f32_e32 v1, 0x4f7ffffe, v1
	v_cvt_u32_f32_e32 v1, v1
	v_readfirstlane_b32 s3, v1
	s_mul_i32 s7, s7, s3
	s_mul_hi_u32 s7, s3, s7
	s_add_i32 s3, s3, s7
	s_xor_b32 s7, s9, s28
	s_mul_hi_u32 s3, s11, s3
	s_ashr_i32 s7, s7, 31
	s_mul_i32 s12, s3, s2
	s_sub_i32 s11, s11, s12
	s_add_i32 s12, s3, 1
	s_sub_i32 s13, s11, s2
	s_cmp_ge_u32 s11, s2
	s_cselect_b32 s3, s12, s3
	s_cselect_b32 s11, s13, s11
	s_add_i32 s12, s3, 1
	s_cmp_ge_u32 s11, s2
	s_cselect_b32 s2, s12, s3
	s_abs_i32 s22, s6
	s_xor_b32 s2, s2, s7
	s_sub_i32 s16, s2, s7
	s_load_dwordx2 s[2:3], s[4:5], 0x40
	s_abs_i32 s11, s16
	v_cvt_f32_u32_e32 v1, s11
	s_sub_i32 s12, 0, s11
	v_rcp_iflag_f32_e32 v1, v1
	v_mul_f32_e32 v1, 0x4f7ffffe, v1
	v_cvt_u32_f32_e32 v1, v1
	v_readfirstlane_b32 s7, v1
	s_mul_i32 s12, s12, s7
	s_mul_hi_u32 s12, s7, s12
	s_add_i32 s7, s7, s12
	s_waitcnt lgkmcnt(0)
	s_cmp_eq_u64 s[2:3], 0
	s_mul_hi_u32 s23, s22, s7
	s_cbranch_scc1 .LBB1_2
; %bb.1:
	s_ashr_i32 s7, s6, 31
	s_lshl_b64 s[12:13], s[6:7], 2
	s_add_u32 s2, s2, s12
	s_addc_u32 s3, s3, s13
	s_load_dword s33, s[2:3], 0x0
.LBB1_2:
	s_load_dword s30, s[0:1], 0x0
	s_load_dwordx4 s[12:15], s[4:5], 0x48
	v_and_b32_e32 v1, 3, v0
	v_cmp_gt_u32_e64 s0, 64, v0
	v_lshlrev_b32_e32 v3, 2, v0
	s_ashr_i32 s1, s6, 31
	s_ashr_i32 s2, s16, 31
	s_lshl_b32 s20, s6, 6
	s_and_saveexec_b32 s3, s0
	s_cbranch_execz .LBB1_4
; %bb.3:
	s_load_dwordx2 s[16:17], s[4:5], 0x8
	s_waitcnt lgkmcnt(0)
	s_mul_i32 s18, s12, s10
	v_and_b32_e32 v4, 0x3fc, v0
	s_ashr_i32 s19, s18, 31
	s_lshl_b64 s[18:19], s[18:19], 2
	v_lshl_add_u32 v4, v1, 6, v4
	s_add_u32 s7, s16, s18
	s_addc_u32 s12, s17, s19
	s_ashr_i32 s21, s20, 31
	s_lshl_b64 s[16:17], s[20:21], 2
	s_add_u32 s16, s7, s16
	s_addc_u32 s17, s12, s17
	global_load_dword v2, v3, s[16:17]
	s_waitcnt vmcnt(0)
	ds_write_b32 v4, v2
.LBB1_4:
	s_or_b32 exec_lo, exec_lo, s3
	s_load_dwordx4 s[16:19], s[4:5], 0x68
	s_mul_i32 s3, s23, s11
	s_xor_b32 s2, s1, s2
	s_sub_i32 s1, s22, s3
	s_add_i32 s3, s23, 1
	s_sub_i32 s7, s1, s11
	s_cmp_ge_u32 s1, s11
	s_waitcnt lgkmcnt(0)
	s_mov_b32 s15, -1
	s_cselect_b32 s3, s3, s23
	s_cselect_b32 s1, s7, s1
	s_add_i32 s7, s3, 1
	s_cmp_ge_u32 s1, s11
	s_load_dword s1, s[4:5], 0x78
	s_cselect_b32 s3, s7, s3
	s_add_i32 s11, s30, -1
	s_xor_b32 s3, s3, s2
	s_abs_i32 s7, s11
	s_sub_i32 s2, s3, s2
	s_waitcnt lgkmcnt(0)
	s_barrier
	s_abs_i32 s12, s19
	buffer_gl0_inv
	v_cvt_f32_u32_e32 v2, s12
	s_sub_i32 s3, 0, s12
                                        ; implicit-def: $sgpr31
	v_rcp_iflag_f32_e32 v2, v2
	v_mul_f32_e32 v2, 0x4f7ffffe, v2
	v_cvt_u32_f32_e32 v2, v2
	v_readfirstlane_b32 s21, v2
	s_mul_i32 s3, s3, s21
	s_mul_hi_u32 s3, s21, s3
	s_add_i32 s21, s21, s3
	s_cmp_lt_i32 s1, 0
	s_mul_hi_u32 s3, s7, s21
	s_cbranch_scc0 .LBB1_6
; %bb.5:
	s_mul_i32 s15, s16, s28
	s_add_i32 s15, s2, s15
	s_mul_i32 s15, s15, s1
	s_sub_i32 s31, 1, s15
	s_mov_b32 s15, 0
.LBB1_6:
	s_load_dwordx2 s[22:23], s[4:5], 0x28
	s_ashr_i32 s11, s11, 31
	s_andn2_b32 vcc_lo, exec_lo, s15
	s_ashr_i32 s19, s19, 31
	s_cbranch_vccnz .LBB1_8
; %bb.7:
	s_mul_i32 s15, s9, s16
	s_add_i32 s6, s15, s6
	s_mul_i32 s1, s6, s1
	s_add_i32 s31, s1, 1
.LBB1_8:
	s_load_dword s1, s[4:5], 0x38
	s_mul_i32 s6, s3, s12
	s_xor_b32 s15, s11, s19
	s_sub_i32 s28, s7, s6
	s_add_i32 s16, s3, 1
	s_clause 0x2
	s_load_dwordx2 s[6:7], s[4:5], 0x0
	s_load_dwordx2 s[26:27], s[4:5], 0x18
	s_load_dword s11, s[4:5], 0x88
	v_lshrrev_b32_e32 v23, 5, v0
	v_mov_b32_e32 v6, 0xff7fffff
	v_lshrrev_b32_e32 v4, 3, v0
	v_mbcnt_lo_u32_b32 v5, -1, 0
	s_mul_i32 s14, s2, s14
	v_lshlrev_b32_e32 v24, 3, v23
	s_waitcnt lgkmcnt(0)
	s_mul_i32 s24, s1, s10
	s_sub_i32 s1, s28, s12
	s_ashr_i32 s25, s24, 31
	s_cmp_ge_u32 s28, s12
	s_cselect_b32 s3, s16, s3
	s_cselect_b32 s1, s1, s28
	s_add_i32 s16, s3, 1
	s_cmp_ge_u32 s1, s12
	s_cselect_b32 s1, s16, s3
	s_add_i32 s3, s30, 7
	s_ashr_i32 s16, s3, 31
	s_lshr_b32 s16, s16, 29
	s_add_i32 s3, s3, s16
	s_ashr_i32 s16, s3, 3
	s_xor_b32 s3, s1, s15
	v_cmp_gt_i32_e64 s1, s16, v23
	s_sub_i32 s28, s3, s15
	s_and_saveexec_b32 s34, s1
	s_cbranch_execz .LBB1_20
; %bb.9:
	s_load_dwordx2 s[2:3], s[4:5], 0x10
	s_ashr_i32 s15, s14, 31
	s_sub_i32 s5, s28, s17
	s_lshl_b64 s[36:37], s[14:15], 2
	v_bfe_u32 v7, v0, 2, 3
	v_cmp_eq_u32_e32 vcc_lo, 0, v1
	v_lshlrev_b32_e32 v15, 2, v1
	v_lshlrev_b32_e32 v8, 6, v1
	v_and_b32_e32 v1, 0x7c, v4
	v_lshlrev_b32_e32 v13, 2, v7
	v_subrev_nc_u32_e32 v14, s30, v7
	v_lshlrev_b32_e32 v9, 3, v23
	v_mov_b32_e32 v10, 0xff7fffff
	v_xor_b32_e32 v11, 2, v5
	v_lshl_or_b32 v16, v23, 5, v13
	v_add_nc_u32_e32 v13, 1, v14
	v_xor_b32_e32 v12, 1, v5
	v_mov_b32_e32 v6, 0xff7fffff
	v_add_nc_u32_e32 v14, 0x120, v16
	s_waitcnt lgkmcnt(0)
	s_add_u32 s4, s2, s36
	s_addc_u32 s3, s3, s37
	s_abs_i32 s15, s18
	s_lshl_b64 s[36:37], s[24:25], 2
	v_cvt_f32_u32_e32 v2, s15
	s_sub_i32 s35, 0, s15
	v_cmp_neq_f32_e64 s2, s33, 0
	v_rcp_iflag_f32_e32 v2, v2
	v_mul_f32_e32 v2, 0x4f7ffffe, v2
	v_cvt_u32_f32_e32 v17, v2
	v_lshlrev_b32_e32 v2, 4, v7
	v_mul_lo_u32 v16, s35, v17
	v_add_co_u32 v18, s4, s4, v2
	v_add_co_ci_u32_e64 v19, null, s3, 0, s4
	s_add_u32 s3, s22, s36
	s_addc_u32 s4, s23, s37
	v_add_co_u32 v1, s3, s3, v1
	v_mul_hi_u32 v20, v17, v16
	v_add_co_ci_u32_e64 v2, null, s4, 0, s3
	v_add_co_u32 v15, s3, v18, v15
	v_add_co_ci_u32_e64 v16, null, 0, v19, s3
	v_mov_b32_e32 v18, v23
	v_add_nc_u32_e32 v17, v17, v20
	s_mov_b32 s35, 0
	s_mov_b32 s36, s13
	s_branch .LBB1_12
.LBB1_10:                               ;   in Loop: Header=BB1_12 Depth=1
	s_or_b32 exec_lo, exec_lo, s37
.LBB1_11:                               ;   in Loop: Header=BB1_12 Depth=1
	s_or_b32 exec_lo, exec_lo, s4
	v_add_nc_u32_e32 v18, 4, v18
	v_add_co_u32 v1, s4, v1, 16
	v_add_co_ci_u32_e64 v2, null, 0, v2, s4
	v_cmp_le_i32_e64 s3, s16, v18
	v_add_nc_u32_e32 v9, 32, v9
	v_add_nc_u32_e32 v14, 0x80, v14
	s_or_b32 s35, s3, s35
	s_andn2_b32 exec_lo, exec_lo, s35
	s_cbranch_execz .LBB1_19
.LBB1_12:                               ; =>This Inner Loop Header: Depth=1
	v_mul_hi_u32 v19, v9, s21
	s_waitcnt lgkmcnt(0)
	v_mul_lo_u32 v20, v19, s12
	v_add_nc_u32_e32 v21, 1, v19
	v_sub_nc_u32_e32 v20, v9, v20
	v_subrev_nc_u32_e32 v22, s12, v20
	v_cmp_le_u32_e64 s3, s12, v20
	v_cndmask_b32_e64 v19, v19, v21, s3
	v_cndmask_b32_e64 v20, v20, v22, s3
	v_add_nc_u32_e32 v21, 1, v19
	v_cmp_le_u32_e64 s3, s12, v20
	v_cndmask_b32_e64 v19, v19, v21, s3
	v_xor_b32_e32 v19, s19, v19
	v_subrev_nc_u32_e32 v19, s19, v19
	v_add_nc_u32_e32 v20, s31, v19
	v_cmp_ge_i32_e64 s4, s5, v19
	v_sub_nc_u32_e32 v21, 0, v20
	v_max_i32_e32 v21, v20, v21
	v_ashrrev_i32_e32 v20, 31, v20
	v_mul_hi_u32 v22, v21, v17
	v_mul_lo_u32 v22, v22, s15
	v_sub_nc_u32_e32 v21, v21, v22
	v_subrev_nc_u32_e32 v22, s15, v21
	v_cmp_le_u32_e64 s3, s15, v21
	v_cndmask_b32_e64 v21, v21, v22, s3
	v_subrev_nc_u32_e32 v22, s15, v21
	v_cmp_le_u32_e64 s3, s15, v21
	v_cndmask_b32_e64 v21, v21, v22, s3
	v_xor_b32_e32 v21, v21, v20
	v_sub_nc_u32_e32 v20, v21, v20
	v_cmp_ne_u32_e64 s3, 0, v20
	s_and_b32 s3, s3, s4
	s_and_saveexec_b32 s4, s3
	s_xor_b32 s3, exec_lo, s4
	s_cbranch_execz .LBB1_16
; %bb.13:                               ;   in Loop: Header=BB1_12 Depth=1
	s_and_saveexec_b32 s4, vcc_lo
; %bb.14:                               ;   in Loop: Header=BB1_12 Depth=1
	ds_write_b32 v14, v10
; %bb.15:                               ;   in Loop: Header=BB1_12 Depth=1
	s_or_b32 exec_lo, exec_lo, s4
.LBB1_16:                               ;   in Loop: Header=BB1_12 Depth=1
	s_andn2_saveexec_b32 s4, s3
	s_cbranch_execz .LBB1_11
; %bb.17:                               ;   in Loop: Header=BB1_12 Depth=1
	global_load_dword v19, v[1:2], off
	s_waitcnt vmcnt(0)
	v_mad_i64_i32 v[19:20], null, v19, s36, 0
	v_lshlrev_b64 v[19:20], 2, v[19:20]
	v_add_co_u32 v19, s3, v15, v19
	v_add_co_ci_u32_e64 v20, null, v16, v20, s3
	v_cmp_gt_i32_e64 s3, 32, v11
	s_clause 0xf
	global_load_dword v29, v[19:20], off offset:128
	global_load_dword v30, v[19:20], off
	global_load_dword v31, v[19:20], off offset:256
	global_load_dword v32, v[19:20], off offset:384
	;; [unrolled: 1-line block ×14, first 2 shown]
	ds_read_b128 v[19:22], v8
	ds_read_b128 v[25:28], v8 offset:16
	s_waitcnt vmcnt(15) lgkmcnt(1)
	v_mul_f32_e32 v29, v20, v29
	s_waitcnt vmcnt(14)
	v_fmac_f32_e32 v29, v19, v30
	s_waitcnt vmcnt(13)
	v_fmac_f32_e32 v29, v21, v31
	s_waitcnt vmcnt(12)
	v_fmac_f32_e32 v29, v22, v32
	ds_read_b128 v[19:22], v8 offset:32
	s_waitcnt vmcnt(11) lgkmcnt(1)
	v_fmac_f32_e32 v29, v25, v33
	s_waitcnt vmcnt(10)
	v_fmac_f32_e32 v29, v26, v34
	s_waitcnt vmcnt(9)
	;; [unrolled: 2-line block ×3, first 2 shown]
	v_fmac_f32_e32 v29, v28, v36
	ds_read_b128 v[25:28], v8 offset:48
	s_waitcnt vmcnt(7) lgkmcnt(1)
	v_fmac_f32_e32 v29, v19, v37
	v_cndmask_b32_e64 v19, v5, v11, s3
	v_cmp_gt_i32_e64 s3, 32, v12
	s_waitcnt vmcnt(6)
	v_fmac_f32_e32 v29, v20, v38
	v_lshlrev_b32_e32 v19, 2, v19
	v_cndmask_b32_e64 v20, v5, v12, s3
	s_waitcnt vmcnt(5)
	v_fmac_f32_e32 v29, v21, v39
	v_lshlrev_b32_e32 v20, 2, v20
	s_waitcnt vmcnt(4)
	v_fmac_f32_e32 v29, v22, v40
	s_waitcnt vmcnt(3) lgkmcnt(0)
	v_fmac_f32_e32 v29, v25, v41
	s_waitcnt vmcnt(2)
	v_fmac_f32_e32 v29, v26, v42
	s_waitcnt vmcnt(1)
	;; [unrolled: 2-line block ×3, first 2 shown]
	v_fmac_f32_e32 v29, v28, v44
	ds_bpermute_b32 v19, v19, v29
	s_waitcnt lgkmcnt(0)
	v_add_f32_e32 v19, v29, v19
	ds_bpermute_b32 v20, v20, v19
	s_and_saveexec_b32 s37, vcc_lo
	s_cbranch_execz .LBB1_10
; %bb.18:                               ;   in Loop: Header=BB1_12 Depth=1
	v_add_nc_u32_e32 v21, v13, v9
	s_waitcnt lgkmcnt(0)
	v_add_f32_e32 v19, v19, v20
	v_cvt_f32_i32_e32 v21, v21
	v_mul_f32_e32 v21, s33, v21
	v_cndmask_b32_e64 v20, 0, v21, s2
	v_max_f32_e32 v21, v6, v6
	v_fmac_f32_e32 v20, s29, v19
	v_add_nc_u32_e32 v19, v7, v9
	v_max_f32_e32 v21, v21, v20
	v_cmp_gt_i32_e64 s3, s30, v19
	v_cndmask_b32_e64 v19, 0, v20, s3
	v_cndmask_b32_e64 v6, v6, v21, s3
	ds_write_b32 v14, v19
	s_branch .LBB1_10
.LBB1_19:
	s_or_b32 exec_lo, exec_lo, s35
.LBB1_20:
	s_or_b32 exec_lo, exec_lo, s34
	v_xor_b32_e32 v1, 16, v5
	v_xor_b32_e32 v7, 8, v5
	v_max_f32_e32 v8, v6, v6
	v_and_b32_e32 v25, 31, v0
	v_cmp_gt_i32_e32 vcc_lo, 32, v1
	v_cndmask_b32_e32 v1, v5, v1, vcc_lo
	v_cmp_gt_i32_e32 vcc_lo, 32, v7
	v_lshlrev_b32_e32 v2, 2, v1
	ds_bpermute_b32 v1, v2, v6
	v_cndmask_b32_e32 v6, v5, v7, vcc_lo
	v_lshlrev_b32_e32 v6, 2, v6
	s_waitcnt lgkmcnt(0)
	v_max_f32_e32 v1, v1, v1
	v_max_f32_e32 v1, v8, v1
	v_xor_b32_e32 v8, 4, v5
	ds_bpermute_b32 v7, v6, v1
	v_cmp_gt_i32_e32 vcc_lo, 32, v8
	v_cndmask_b32_e32 v8, v5, v8, vcc_lo
	v_cmp_eq_u32_e32 vcc_lo, 0, v25
	v_lshlrev_b32_e32 v9, 2, v8
	s_waitcnt lgkmcnt(0)
	v_max_f32_e32 v7, v7, v7
	v_max_f32_e32 v1, v1, v7
	v_lshlrev_b32_e32 v7, 2, v23
	ds_bpermute_b32 v8, v9, v1
	s_and_saveexec_b32 s2, vcc_lo
	s_cbranch_execz .LBB1_22
; %bb.21:
	s_waitcnt lgkmcnt(0)
	v_max_f32_e32 v8, v8, v8
	v_max_f32_e32 v1, v1, v1
	;; [unrolled: 1-line block ×3, first 2 shown]
	ds_write_b32 v7, v1 offset:256
.LBB1_22:
	s_or_b32 exec_lo, exec_lo, s2
	v_cmp_gt_u32_e64 s2, 4, v25
	v_mov_b32_e32 v1, 0xff7fffff
	s_waitcnt lgkmcnt(0)
	v_lshlrev_b32_e32 v8, 2, v25
	s_barrier
	buffer_gl0_inv
	s_and_saveexec_b32 s3, s2
; %bb.23:
	ds_read_b32 v1, v8 offset:256
; %bb.24:
	s_or_b32 exec_lo, exec_lo, s3
	v_xor_b32_e32 v10, 2, v5
	v_xor_b32_e32 v12, 1, v5
	v_cmp_gt_i32_e64 s3, 32, v10
	v_cndmask_b32_e64 v10, v5, v10, s3
	v_cmp_gt_i32_e64 s3, 32, v12
	v_lshlrev_b32_e32 v10, 2, v10
	v_cndmask_b32_e64 v5, v5, v12, s3
	s_lshl_b32 s3, s16, 3
	s_min_i32 s5, s3, s30
	s_waitcnt lgkmcnt(0)
	ds_bpermute_b32 v11, v10, v1
	v_max_f32_e32 v1, v1, v1
	v_lshlrev_b32_e32 v26, 2, v5
	v_cmp_gt_i32_e64 s3, s5, v0
	s_waitcnt lgkmcnt(0)
	v_max_f32_e32 v11, v11, v11
	v_max_f32_e32 v1, v1, v11
	ds_bpermute_b32 v5, v26, v1
	s_waitcnt lgkmcnt(0)
	v_max_f32_e32 v5, v5, v5
	v_max_f32_e32 v1, v1, v5
	v_mov_b32_e32 v5, 0
	ds_bpermute_b32 v11, v5, v1
	v_lshl_add_u32 v1, v0, 2, 0x120
	s_and_saveexec_b32 s15, s3
	s_cbranch_execz .LBB1_28
; %bb.25:
	v_lshl_add_u32 v12, v0, 2, 0x120
	v_mov_b32_e32 v5, 0
	v_mov_b32_e32 v13, v0
	s_mov_b32 s29, 0
	.p2align	6
.LBB1_26:                               ; =>This Inner Loop Header: Depth=1
	ds_read_b32 v14, v12
	v_add_nc_u32_e32 v13, 0x80, v13
	v_cmp_le_i32_e64 s4, s5, v13
	s_or_b32 s29, s4, s29
	s_waitcnt lgkmcnt(0)
	v_sub_f32_e32 v14, v14, v11
	v_mul_f32_e32 v14, 0x3fb8aa3b, v14
	v_exp_f32_e32 v14, v14
	ds_write_b32 v12, v14
	v_add_f32_e32 v5, v5, v14
	v_add_nc_u32_e32 v12, 0x200, v12
	s_andn2_b32 exec_lo, exec_lo, s29
	s_cbranch_execnz .LBB1_26
; %bb.27:
	s_or_b32 exec_lo, exec_lo, s29
.LBB1_28:
	s_or_b32 exec_lo, exec_lo, s15
	ds_bpermute_b32 v2, v2, v5
	s_waitcnt lgkmcnt(0)
	v_add_f32_e32 v2, v5, v2
	ds_bpermute_b32 v5, v6, v2
	s_waitcnt lgkmcnt(0)
	v_add_f32_e32 v2, v2, v5
	;; [unrolled: 3-line block ×5, first 2 shown]
	s_and_saveexec_b32 s4, vcc_lo
; %bb.29:
	ds_write_b32 v7, v2 offset:272
; %bb.30:
	s_or_b32 exec_lo, exec_lo, s4
	s_waitcnt lgkmcnt(0)
	s_barrier
	buffer_gl0_inv
	s_and_saveexec_b32 s4, s2
; %bb.31:
	ds_read_b32 v2, v8 offset:272
; %bb.32:
	s_or_b32 exec_lo, exec_lo, s4
	s_waitcnt lgkmcnt(0)
	ds_bpermute_b32 v5, v10, v2
	s_waitcnt lgkmcnt(0)
	v_add_f32_e32 v2, v2, v5
	ds_bpermute_b32 v5, v26, v2
	s_waitcnt lgkmcnt(0)
	v_add_f32_e32 v2, v2, v5
	v_mov_b32_e32 v5, 0
	ds_bpermute_b32 v2, v5, v2
	s_and_saveexec_b32 s2, s3
	s_cbranch_execz .LBB1_35
; %bb.33:
	s_waitcnt lgkmcnt(0)
	v_add_f32_e32 v2, 0x358637bd, v2
	s_mov_b32 s3, 0
	v_div_scale_f32 v5, null, v2, v2, 1.0
	v_div_scale_f32 v8, vcc_lo, 1.0, v2, 1.0
	v_rcp_f32_e32 v6, v5
	v_fma_f32 v7, -v5, v6, 1.0
	v_fmac_f32_e32 v6, v7, v6
	v_mul_f32_e32 v7, v8, v6
	v_fma_f32 v9, -v5, v7, v8
	v_fmac_f32_e32 v7, v9, v6
	v_fma_f32 v5, -v5, v7, v8
	v_div_fmas_f32 v5, v5, v6, v7
	v_div_fixup_f32 v2, v5, v2, 1.0
	v_mov_b32_e32 v5, v0
.LBB1_34:                               ; =>This Inner Loop Header: Depth=1
	ds_read_b32 v6, v1
	v_add_nc_u32_e32 v5, 0x80, v5
	v_cmp_le_i32_e32 vcc_lo, s5, v5
	s_or_b32 s3, vcc_lo, s3
	s_waitcnt lgkmcnt(0)
	v_mul_f32_e32 v6, v2, v6
	ds_write_b32 v1, v6
	v_add_nc_u32_e32 v1, 0x200, v1
	s_andn2_b32 exec_lo, exec_lo, s3
	s_cbranch_execnz .LBB1_34
.LBB1_35:
	s_or_b32 exec_lo, exec_lo, s2
	v_mov_b32_e32 v31, 0
	v_and_b32_e32 v27, 1, v0
	v_mov_b32_e32 v30, 0
	v_mov_b32_e32 v29, 0
	;; [unrolled: 1-line block ×3, first 2 shown]
	s_waitcnt lgkmcnt(0)
	s_barrier
	buffer_gl0_inv
	s_and_saveexec_b32 s2, s1
	s_cbranch_execz .LBB1_49
; %bb.36:
	s_ashr_i32 s15, s14, 31
	s_sub_i32 s3, s28, s17
	s_lshl_b64 s[4:5], s[14:15], 2
	v_lshlrev_b32_e32 v2, 4, v0
	s_add_u32 s1, s26, s4
	s_addc_u32 s17, s27, s5
	s_abs_i32 s4, s18
	v_and_b32_e32 v32, 4, v3
	v_cvt_f32_u32_e32 v1, s4
	s_sub_i32 s5, 0, s4
	v_and_b32_e32 v3, 0x7c, v4
	v_lshlrev_b32_e32 v4, 4, v27
	v_and_b32_e32 v2, 0x1f0, v2
	v_rcp_iflag_f32_e32 v1, v1
	s_lshl_b64 s[14:15], s[24:25], 2
	v_mov_b32_e32 v28, 0
	v_lshl_or_b32 v4, v23, 5, v4
	v_add_co_u32 v33, s1, s1, v2
	v_add_co_ci_u32_e64 v34, null, s17, 0, s1
	v_mov_b32_e32 v29, 0
	v_mov_b32_e32 v30, 0
	v_mul_f32_e32 v1, 0x4f7ffffe, v1
	v_mov_b32_e32 v31, 0
	v_add_nc_u32_e32 v35, 0x120, v4
	v_mov_b32_e32 v37, v23
	v_cvt_u32_f32_e32 v1, v1
	v_mul_lo_u32 v5, s5, v1
	s_add_i32 s5, s16, -1
	s_add_u32 s14, s22, s14
	s_addc_u32 s15, s23, s15
	v_add_co_u32 v21, s1, s14, v3
	v_add_co_ci_u32_e64 v22, null, s15, 0, s1
	v_mul_hi_u32 v5, v1, v5
	s_mov_b32 s14, s13
	s_mov_b32 s13, 0
	v_add_nc_u32_e32 v36, v1, v5
	s_branch .LBB1_39
.LBB1_37:                               ;   in Loop: Header=BB1_39 Depth=1
	s_or_b32 exec_lo, exec_lo, s1
	s_waitcnt vmcnt(1) lgkmcnt(0)
	v_mul_f32_e32 v13, v1, v13
	v_mul_f32_e32 v9, v1, v9
	;; [unrolled: 1-line block ×3, first 2 shown]
	s_waitcnt vmcnt(0)
	v_mul_f32_e32 v1, v1, v17
	v_fmac_f32_e32 v13, v2, v14
	v_fmac_f32_e32 v9, v2, v10
	;; [unrolled: 1-line block ×12, first 2 shown]
	v_add_f32_e32 v29, v29, v13
	v_add_f32_e32 v30, v30, v9
	;; [unrolled: 1-line block ×4, first 2 shown]
.LBB1_38:                               ;   in Loop: Header=BB1_39 Depth=1
	s_or_b32 exec_lo, exec_lo, s15
	v_add_nc_u32_e32 v37, 4, v37
	v_add_co_u32 v21, s1, v21, 16
	v_add_co_ci_u32_e64 v22, null, 0, v22, s1
	v_cmp_le_i32_e32 vcc_lo, s16, v37
	v_add_nc_u32_e32 v24, 32, v24
	v_add_nc_u32_e32 v35, 0x80, v35
	s_or_b32 s13, vcc_lo, s13
	s_andn2_b32 exec_lo, exec_lo, s13
	s_cbranch_execz .LBB1_48
.LBB1_39:                               ; =>This Inner Loop Header: Depth=1
	v_mul_hi_u32 v1, v24, s21
	v_mul_lo_u32 v2, v1, s12
	v_add_nc_u32_e32 v3, 1, v1
	v_sub_nc_u32_e32 v2, v24, v2
	v_subrev_nc_u32_e32 v4, s12, v2
	v_cmp_le_u32_e32 vcc_lo, s12, v2
	v_cndmask_b32_e32 v1, v1, v3, vcc_lo
	v_cndmask_b32_e32 v2, v2, v4, vcc_lo
	v_add_nc_u32_e32 v3, 1, v1
	v_cmp_le_u32_e32 vcc_lo, s12, v2
	v_cndmask_b32_e32 v1, v1, v3, vcc_lo
	v_xor_b32_e32 v1, s19, v1
	v_subrev_nc_u32_e32 v1, s19, v1
	v_add_nc_u32_e32 v2, s31, v1
	v_cmp_lt_i32_e64 s1, s3, v1
	v_sub_nc_u32_e32 v3, 0, v2
	v_max_i32_e32 v3, v2, v3
	v_ashrrev_i32_e32 v2, 31, v2
	v_mul_hi_u32 v4, v3, v36
	v_mul_lo_u32 v4, v4, s4
	v_sub_nc_u32_e32 v3, v3, v4
	v_subrev_nc_u32_e32 v4, s4, v3
	v_cmp_le_u32_e32 vcc_lo, s4, v3
	v_cndmask_b32_e32 v3, v3, v4, vcc_lo
	v_subrev_nc_u32_e32 v4, s4, v3
	v_cmp_le_u32_e32 vcc_lo, s4, v3
	v_cndmask_b32_e32 v3, v3, v4, vcc_lo
	v_xor_b32_e32 v3, v3, v2
	v_sub_nc_u32_e32 v2, v3, v2
	v_cmp_eq_u32_e32 vcc_lo, 0, v2
	s_or_b32 s1, vcc_lo, s1
	s_and_saveexec_b32 s15, s1
	s_cbranch_execz .LBB1_38
; %bb.40:                               ;   in Loop: Header=BB1_39 Depth=1
	global_load_dword v1, v[21:22], off
	v_add_nc_u32_e32 v38, v32, v24
	v_add_nc_u32_e32 v41, 1, v38
	;; [unrolled: 1-line block ×4, first 2 shown]
	s_waitcnt vmcnt(0)
	v_mad_i64_i32 v[1:2], null, v1, s14, 0
	v_lshlrev_b64 v[1:2], 2, v[1:2]
	v_add_co_u32 v17, vcc_lo, v33, v1
	v_add_co_ci_u32_e64 v18, null, v34, v2, vcc_lo
	ds_read_b128 v[1:4], v35
	v_cmp_eq_u32_e32 vcc_lo, s5, v37
	global_load_dwordx4 v[5:8], v[17:18], off
	s_and_saveexec_b32 s17, vcc_lo
	s_cbranch_execnz .LBB1_44
; %bb.41:                               ;   in Loop: Header=BB1_39 Depth=1
	s_or_b32 exec_lo, exec_lo, s17
	global_load_dwordx4 v[9:12], v[17:18], off offset:512
	s_and_saveexec_b32 s17, vcc_lo
	s_cbranch_execnz .LBB1_45
.LBB1_42:                               ;   in Loop: Header=BB1_39 Depth=1
	s_or_b32 exec_lo, exec_lo, s17
	global_load_dwordx4 v[13:16], v[17:18], off offset:1024
	s_and_saveexec_b32 s17, vcc_lo
	s_cbranch_execnz .LBB1_46
.LBB1_43:                               ;   in Loop: Header=BB1_39 Depth=1
	s_or_b32 exec_lo, exec_lo, s17
	global_load_dwordx4 v[17:20], v[17:18], off offset:1536
	s_and_saveexec_b32 s1, vcc_lo
	s_cbranch_execz .LBB1_37
	s_branch .LBB1_47
.LBB1_44:                               ;   in Loop: Header=BB1_39 Depth=1
	v_cmp_gt_i32_e64 s1, s30, v38
	s_waitcnt vmcnt(0)
	v_cndmask_b32_e64 v5, 0, v5, s1
	v_cmp_gt_i32_e64 s1, s30, v41
	v_cndmask_b32_e64 v6, 0, v6, s1
	v_cmp_gt_i32_e64 s1, s30, v40
	;; [unrolled: 2-line block ×3, first 2 shown]
	v_cndmask_b32_e64 v8, 0, v8, s1
	s_or_b32 exec_lo, exec_lo, s17
	global_load_dwordx4 v[9:12], v[17:18], off offset:512
	s_and_saveexec_b32 s17, vcc_lo
	s_cbranch_execz .LBB1_42
.LBB1_45:                               ;   in Loop: Header=BB1_39 Depth=1
	v_cmp_gt_i32_e64 s1, s30, v38
	s_waitcnt vmcnt(0)
	v_cndmask_b32_e64 v9, 0, v9, s1
	v_cmp_gt_i32_e64 s1, s30, v41
	v_cndmask_b32_e64 v10, 0, v10, s1
	v_cmp_gt_i32_e64 s1, s30, v40
	;; [unrolled: 2-line block ×3, first 2 shown]
	v_cndmask_b32_e64 v12, 0, v12, s1
	s_or_b32 exec_lo, exec_lo, s17
	global_load_dwordx4 v[13:16], v[17:18], off offset:1024
	s_and_saveexec_b32 s17, vcc_lo
	s_cbranch_execz .LBB1_43
.LBB1_46:                               ;   in Loop: Header=BB1_39 Depth=1
	v_cmp_gt_i32_e64 s1, s30, v38
	s_waitcnt vmcnt(0)
	v_cndmask_b32_e64 v13, 0, v13, s1
	v_cmp_gt_i32_e64 s1, s30, v41
	v_cndmask_b32_e64 v14, 0, v14, s1
	v_cmp_gt_i32_e64 s1, s30, v40
	;; [unrolled: 2-line block ×3, first 2 shown]
	v_cndmask_b32_e64 v16, 0, v16, s1
	s_or_b32 exec_lo, exec_lo, s17
	global_load_dwordx4 v[17:20], v[17:18], off offset:1536
	s_and_saveexec_b32 s1, vcc_lo
	s_cbranch_execz .LBB1_37
.LBB1_47:                               ;   in Loop: Header=BB1_39 Depth=1
	v_cmp_gt_i32_e32 vcc_lo, s30, v38
	s_waitcnt vmcnt(0)
	v_cndmask_b32_e32 v17, 0, v17, vcc_lo
	v_cmp_gt_i32_e32 vcc_lo, s30, v41
	v_cndmask_b32_e32 v18, 0, v18, vcc_lo
	v_cmp_gt_i32_e32 vcc_lo, s30, v40
	;; [unrolled: 2-line block ×3, first 2 shown]
	v_cndmask_b32_e32 v20, 0, v20, vcc_lo
	s_branch .LBB1_37
.LBB1_48:
	s_or_b32 exec_lo, exec_lo, s13
.LBB1_49:
	s_or_b32 exec_lo, exec_lo, s2
	ds_bpermute_b32 v1, v26, v31
	ds_bpermute_b32 v2, v26, v30
	;; [unrolled: 1-line block ×4, first 2 shown]
	v_lshrrev_b32_e32 v5, 1, v25
	v_lshlrev_b32_e32 v7, 8, v23
	v_and_b32_e32 v8, 0x3c1, v0
	s_mov_b32 s1, exec_lo
	s_waitcnt lgkmcnt(0)
	v_lshl_add_u32 v6, v5, 2, 0x120
	s_barrier
	buffer_gl0_inv
	v_add_f32_e32 v1, v31, v1
	v_add_f32_e32 v2, v30, v2
	;; [unrolled: 1-line block ×4, first 2 shown]
	v_cmpx_eq_u32_e32 64, v8
	s_cbranch_execz .LBB1_51
; %bb.50:
	v_add_nc_u32_e32 v8, v6, v7
	v_add_nc_u32_e32 v9, 0xfffffe00, v8
	;; [unrolled: 1-line block ×5, first 2 shown]
	ds_write_b32 v9, v1
	ds_write_b32 v10, v2
	;; [unrolled: 1-line block ×4, first 2 shown]
.LBB1_51:
	s_or_b32 exec_lo, exec_lo, s1
	v_lshlrev_b32_e32 v5, 2, v5
	v_cmp_eq_u32_e32 vcc_lo, 0, v27
	s_waitcnt lgkmcnt(0)
	s_barrier
	buffer_gl0_inv
	v_add3_u32 v5, 0x120, v7, v5
	s_and_saveexec_b32 s1, s0
	s_cbranch_execz .LBB1_58
; %bb.52:
	s_and_saveexec_b32 s0, vcc_lo
	s_cbranch_execnz .LBB1_70
; %bb.53:
	s_or_b32 exec_lo, exec_lo, s0
	s_and_saveexec_b32 s0, vcc_lo
	s_cbranch_execnz .LBB1_71
.LBB1_54:
	s_or_b32 exec_lo, exec_lo, s0
	s_and_saveexec_b32 s0, vcc_lo
	s_cbranch_execnz .LBB1_72
.LBB1_55:
	s_or_b32 exec_lo, exec_lo, s0
	s_and_saveexec_b32 s0, vcc_lo
	s_cbranch_execz .LBB1_57
.LBB1_56:
	ds_read_b32 v7, v5 offset:192
	s_waitcnt lgkmcnt(0)
	v_add_f32_e32 v4, v4, v7
.LBB1_57:
	s_or_b32 exec_lo, exec_lo, s0
.LBB1_58:
	s_or_b32 exec_lo, exec_lo, s1
	v_and_b32_e32 v7, 0x3e1, v0
	s_mov_b32 s1, exec_lo
	s_barrier
	buffer_gl0_inv
	v_cmpx_eq_u32_e32 32, v7
	s_cbranch_execz .LBB1_60
; %bb.59:
	ds_write2_b32 v6, v1, v2 offset1:16
	ds_write2_b32 v6, v3, v4 offset0:32 offset1:48
.LBB1_60:
	s_or_b32 exec_lo, exec_lo, s1
	s_mov_b32 s1, exec_lo
	s_waitcnt lgkmcnt(0)
	s_barrier
	buffer_gl0_inv
	v_cmpx_gt_u32_e32 32, v0
	s_cbranch_execz .LBB1_67
; %bb.61:
	s_and_saveexec_b32 s0, vcc_lo
	s_cbranch_execnz .LBB1_73
; %bb.62:
	s_or_b32 exec_lo, exec_lo, s0
	s_and_saveexec_b32 s0, vcc_lo
	s_cbranch_execnz .LBB1_74
.LBB1_63:
	s_or_b32 exec_lo, exec_lo, s0
	s_and_saveexec_b32 s0, vcc_lo
	s_cbranch_execnz .LBB1_75
.LBB1_64:
	s_or_b32 exec_lo, exec_lo, s0
	s_and_saveexec_b32 s0, vcc_lo
	s_cbranch_execz .LBB1_66
.LBB1_65:
	ds_read_b32 v5, v5 offset:192
	s_waitcnt lgkmcnt(0)
	v_add_f32_e32 v4, v4, v5
.LBB1_66:
	s_or_b32 exec_lo, exec_lo, s0
.LBB1_67:
	s_or_b32 exec_lo, exec_lo, s1
	s_barrier
	buffer_gl0_inv
	s_mov_b32 s0, exec_lo
	v_cmpx_eq_u32_e32 0, v7
	s_cbranch_execz .LBB1_69
; %bb.68:
	s_mul_i32 s0, s10, s11
	s_mul_i32 s2, s11, s20
	;; [unrolled: 1-line block ×3, first 2 shown]
	v_lshlrev_b32_e32 v0, 1, v0
	s_lshl_b32 s0, s0, 6
	s_ashr_i32 s1, s0, 31
	s_lshl_b64 s[0:1], s[0:1], 2
	s_add_u32 s4, s6, s0
	s_addc_u32 s5, s7, s1
	s_ashr_i32 s3, s2, 31
	s_lshl_b64 s[0:1], s[2:3], 2
	s_add_u32 s2, s4, s0
	s_addc_u32 s3, s5, s1
	s_lshl_b32 s0, s8, 6
	s_ashr_i32 s1, s0, 31
	s_lshl_b64 s[0:1], s[0:1], 2
	s_add_u32 s0, s2, s0
	s_addc_u32 s1, s3, s1
	global_store_dword v0, v1, s[0:1]
	global_store_dword v0, v2, s[0:1] offset:64
	global_store_dword v0, v3, s[0:1] offset:128
	;; [unrolled: 1-line block ×3, first 2 shown]
.LBB1_69:
	s_endpgm
.LBB1_70:
	ds_read_b32 v7, v5
	s_waitcnt lgkmcnt(0)
	v_add_f32_e32 v1, v1, v7
	s_or_b32 exec_lo, exec_lo, s0
	s_and_saveexec_b32 s0, vcc_lo
	s_cbranch_execz .LBB1_54
.LBB1_71:
	ds_read_b32 v7, v5 offset:64
	s_waitcnt lgkmcnt(0)
	v_add_f32_e32 v2, v2, v7
	s_or_b32 exec_lo, exec_lo, s0
	s_and_saveexec_b32 s0, vcc_lo
	s_cbranch_execz .LBB1_55
.LBB1_72:
	ds_read_b32 v7, v5 offset:128
	s_waitcnt lgkmcnt(0)
	v_add_f32_e32 v3, v3, v7
	s_or_b32 exec_lo, exec_lo, s0
	s_and_saveexec_b32 s0, vcc_lo
	s_cbranch_execnz .LBB1_56
	s_branch .LBB1_57
.LBB1_73:
	ds_read_b32 v6, v5
	s_waitcnt lgkmcnt(0)
	v_add_f32_e32 v1, v1, v6
	s_or_b32 exec_lo, exec_lo, s0
	s_and_saveexec_b32 s0, vcc_lo
	s_cbranch_execz .LBB1_63
.LBB1_74:
	ds_read_b32 v6, v5 offset:64
	s_waitcnt lgkmcnt(0)
	v_add_f32_e32 v2, v2, v6
	s_or_b32 exec_lo, exec_lo, s0
	s_and_saveexec_b32 s0, vcc_lo
	s_cbranch_execz .LBB1_64
.LBB1_75:
	ds_read_b32 v6, v5 offset:128
	s_waitcnt lgkmcnt(0)
	v_add_f32_e32 v3, v3, v6
	s_or_b32 exec_lo, exec_lo, s0
	s_and_saveexec_b32 s0, vcc_lo
	s_cbranch_execnz .LBB1_65
	s_branch .LBB1_66
	.section	.rodata,"a",@progbits
	.p2align	6, 0x0
	.amdhsa_kernel _ZN4vllm25paged_attention_v1_kernelIffLi64ELi8ELi128ELNS_18Fp8KVCacheDataTypeE0ELb1EEEvPT_PKS2_PKT0_S8_ifPKiSA_iPKfiiiSC_SC_iiiii
		.amdhsa_group_segment_fixed_size 288
		.amdhsa_private_segment_fixed_size 0
		.amdhsa_kernarg_size 384
		.amdhsa_user_sgpr_count 6
		.amdhsa_user_sgpr_private_segment_buffer 1
		.amdhsa_user_sgpr_dispatch_ptr 0
		.amdhsa_user_sgpr_queue_ptr 0
		.amdhsa_user_sgpr_kernarg_segment_ptr 1
		.amdhsa_user_sgpr_dispatch_id 0
		.amdhsa_user_sgpr_flat_scratch_init 0
		.amdhsa_user_sgpr_private_segment_size 0
		.amdhsa_wavefront_size32 1
		.amdhsa_uses_dynamic_stack 0
		.amdhsa_system_sgpr_private_segment_wavefront_offset 0
		.amdhsa_system_sgpr_workgroup_id_x 1
		.amdhsa_system_sgpr_workgroup_id_y 1
		.amdhsa_system_sgpr_workgroup_id_z 1
		.amdhsa_system_sgpr_workgroup_info 0
		.amdhsa_system_vgpr_workitem_id 0
		.amdhsa_next_free_vgpr 45
		.amdhsa_next_free_sgpr 38
		.amdhsa_reserve_vcc 1
		.amdhsa_reserve_flat_scratch 0
		.amdhsa_float_round_mode_32 0
		.amdhsa_float_round_mode_16_64 0
		.amdhsa_float_denorm_mode_32 3
		.amdhsa_float_denorm_mode_16_64 3
		.amdhsa_dx10_clamp 1
		.amdhsa_ieee_mode 1
		.amdhsa_fp16_overflow 0
		.amdhsa_workgroup_processor_mode 1
		.amdhsa_memory_ordered 1
		.amdhsa_forward_progress 1
		.amdhsa_shared_vgpr_count 0
		.amdhsa_exception_fp_ieee_invalid_op 0
		.amdhsa_exception_fp_denorm_src 0
		.amdhsa_exception_fp_ieee_div_zero 0
		.amdhsa_exception_fp_ieee_overflow 0
		.amdhsa_exception_fp_ieee_underflow 0
		.amdhsa_exception_fp_ieee_inexact 0
		.amdhsa_exception_int_div_zero 0
	.end_amdhsa_kernel
	.section	.text._ZN4vllm25paged_attention_v1_kernelIffLi64ELi8ELi128ELNS_18Fp8KVCacheDataTypeE0ELb1EEEvPT_PKS2_PKT0_S8_ifPKiSA_iPKfiiiSC_SC_iiiii,"axG",@progbits,_ZN4vllm25paged_attention_v1_kernelIffLi64ELi8ELi128ELNS_18Fp8KVCacheDataTypeE0ELb1EEEvPT_PKS2_PKT0_S8_ifPKiSA_iPKfiiiSC_SC_iiiii,comdat
.Lfunc_end1:
	.size	_ZN4vllm25paged_attention_v1_kernelIffLi64ELi8ELi128ELNS_18Fp8KVCacheDataTypeE0ELb1EEEvPT_PKS2_PKT0_S8_ifPKiSA_iPKfiiiSC_SC_iiiii, .Lfunc_end1-_ZN4vllm25paged_attention_v1_kernelIffLi64ELi8ELi128ELNS_18Fp8KVCacheDataTypeE0ELb1EEEvPT_PKS2_PKT0_S8_ifPKiSA_iPKfiiiSC_SC_iiiii
                                        ; -- End function
	.set _ZN4vllm25paged_attention_v1_kernelIffLi64ELi8ELi128ELNS_18Fp8KVCacheDataTypeE0ELb1EEEvPT_PKS2_PKT0_S8_ifPKiSA_iPKfiiiSC_SC_iiiii.num_vgpr, 45
	.set _ZN4vllm25paged_attention_v1_kernelIffLi64ELi8ELi128ELNS_18Fp8KVCacheDataTypeE0ELb1EEEvPT_PKS2_PKT0_S8_ifPKiSA_iPKfiiiSC_SC_iiiii.num_agpr, 0
	.set _ZN4vllm25paged_attention_v1_kernelIffLi64ELi8ELi128ELNS_18Fp8KVCacheDataTypeE0ELb1EEEvPT_PKS2_PKT0_S8_ifPKiSA_iPKfiiiSC_SC_iiiii.numbered_sgpr, 38
	.set _ZN4vllm25paged_attention_v1_kernelIffLi64ELi8ELi128ELNS_18Fp8KVCacheDataTypeE0ELb1EEEvPT_PKS2_PKT0_S8_ifPKiSA_iPKfiiiSC_SC_iiiii.num_named_barrier, 0
	.set _ZN4vllm25paged_attention_v1_kernelIffLi64ELi8ELi128ELNS_18Fp8KVCacheDataTypeE0ELb1EEEvPT_PKS2_PKT0_S8_ifPKiSA_iPKfiiiSC_SC_iiiii.private_seg_size, 0
	.set _ZN4vllm25paged_attention_v1_kernelIffLi64ELi8ELi128ELNS_18Fp8KVCacheDataTypeE0ELb1EEEvPT_PKS2_PKT0_S8_ifPKiSA_iPKfiiiSC_SC_iiiii.uses_vcc, 1
	.set _ZN4vllm25paged_attention_v1_kernelIffLi64ELi8ELi128ELNS_18Fp8KVCacheDataTypeE0ELb1EEEvPT_PKS2_PKT0_S8_ifPKiSA_iPKfiiiSC_SC_iiiii.uses_flat_scratch, 0
	.set _ZN4vllm25paged_attention_v1_kernelIffLi64ELi8ELi128ELNS_18Fp8KVCacheDataTypeE0ELb1EEEvPT_PKS2_PKT0_S8_ifPKiSA_iPKfiiiSC_SC_iiiii.has_dyn_sized_stack, 0
	.set _ZN4vllm25paged_attention_v1_kernelIffLi64ELi8ELi128ELNS_18Fp8KVCacheDataTypeE0ELb1EEEvPT_PKS2_PKT0_S8_ifPKiSA_iPKfiiiSC_SC_iiiii.has_recursion, 0
	.set _ZN4vllm25paged_attention_v1_kernelIffLi64ELi8ELi128ELNS_18Fp8KVCacheDataTypeE0ELb1EEEvPT_PKS2_PKT0_S8_ifPKiSA_iPKfiiiSC_SC_iiiii.has_indirect_call, 0
	.section	.AMDGPU.csdata,"",@progbits
; Kernel info:
; codeLenInByte = 4400
; TotalNumSgprs: 40
; NumVgprs: 45
; ScratchSize: 0
; MemoryBound: 0
; FloatMode: 240
; IeeeMode: 1
; LDSByteSize: 288 bytes/workgroup (compile time only)
; SGPRBlocks: 0
; VGPRBlocks: 5
; NumSGPRsForWavesPerEU: 40
; NumVGPRsForWavesPerEU: 45
; Occupancy: 16
; WaveLimiterHint : 1
; COMPUTE_PGM_RSRC2:SCRATCH_EN: 0
; COMPUTE_PGM_RSRC2:USER_SGPR: 6
; COMPUTE_PGM_RSRC2:TRAP_HANDLER: 0
; COMPUTE_PGM_RSRC2:TGID_X_EN: 1
; COMPUTE_PGM_RSRC2:TGID_Y_EN: 1
; COMPUTE_PGM_RSRC2:TGID_Z_EN: 1
; COMPUTE_PGM_RSRC2:TIDIG_COMP_CNT: 0
	.section	.text._ZN4vllm25paged_attention_v1_kernelIffLi80ELi8ELi128ELNS_18Fp8KVCacheDataTypeE0ELb1EEEvPT_PKS2_PKT0_S8_ifPKiSA_iPKfiiiSC_SC_iiiii,"axG",@progbits,_ZN4vllm25paged_attention_v1_kernelIffLi80ELi8ELi128ELNS_18Fp8KVCacheDataTypeE0ELb1EEEvPT_PKS2_PKT0_S8_ifPKiSA_iPKfiiiSC_SC_iiiii,comdat
	.protected	_ZN4vllm25paged_attention_v1_kernelIffLi80ELi8ELi128ELNS_18Fp8KVCacheDataTypeE0ELb1EEEvPT_PKS2_PKT0_S8_ifPKiSA_iPKfiiiSC_SC_iiiii ; -- Begin function _ZN4vllm25paged_attention_v1_kernelIffLi80ELi8ELi128ELNS_18Fp8KVCacheDataTypeE0ELb1EEEvPT_PKS2_PKT0_S8_ifPKiSA_iPKfiiiSC_SC_iiiii
	.globl	_ZN4vllm25paged_attention_v1_kernelIffLi80ELi8ELi128ELNS_18Fp8KVCacheDataTypeE0ELb1EEEvPT_PKS2_PKT0_S8_ifPKiSA_iPKfiiiSC_SC_iiiii
	.p2align	8
	.type	_ZN4vllm25paged_attention_v1_kernelIffLi80ELi8ELi128ELNS_18Fp8KVCacheDataTypeE0ELb1EEEvPT_PKS2_PKT0_S8_ifPKiSA_iPKfiiiSC_SC_iiiii,@function
_ZN4vllm25paged_attention_v1_kernelIffLi80ELi8ELi128ELNS_18Fp8KVCacheDataTypeE0ELb1EEEvPT_PKS2_PKT0_S8_ifPKiSA_iPKfiiiSC_SC_iiiii: ; @_ZN4vllm25paged_attention_v1_kernelIffLi80ELi8ELi128ELNS_18Fp8KVCacheDataTypeE0ELb1EEEvPT_PKS2_PKT0_S8_ifPKiSA_iPKfiiiSC_SC_iiiii
; %bb.0:
	s_clause 0x2
	s_load_dword s9, s[4:5], 0x80
	s_load_dwordx2 s[0:1], s[4:5], 0x30
	s_load_dwordx2 s[28:29], s[4:5], 0x20
	s_mov_b32 s10, s7
	s_ashr_i32 s11, s7, 31
	s_mov_b32 s33, 0
	s_lshl_b64 s[2:3], s[10:11], 2
	s_waitcnt lgkmcnt(0)
	s_add_u32 s0, s0, s2
	s_addc_u32 s1, s1, s3
	s_abs_i32 s2, s28
	s_abs_i32 s11, s9
	v_cvt_f32_u32_e32 v1, s2
	s_sub_i32 s7, 0, s2
	v_rcp_iflag_f32_e32 v1, v1
	v_mul_f32_e32 v1, 0x4f7ffffe, v1
	v_cvt_u32_f32_e32 v1, v1
	v_readfirstlane_b32 s3, v1
	s_mul_i32 s7, s7, s3
	s_mul_hi_u32 s7, s3, s7
	s_add_i32 s3, s3, s7
	s_xor_b32 s7, s9, s28
	s_mul_hi_u32 s3, s11, s3
	s_ashr_i32 s7, s7, 31
	s_mul_i32 s12, s3, s2
	s_sub_i32 s11, s11, s12
	s_add_i32 s12, s3, 1
	s_sub_i32 s13, s11, s2
	s_cmp_ge_u32 s11, s2
	s_cselect_b32 s3, s12, s3
	s_cselect_b32 s11, s13, s11
	s_add_i32 s12, s3, 1
	s_cmp_ge_u32 s11, s2
	s_cselect_b32 s2, s12, s3
	s_abs_i32 s22, s6
	s_xor_b32 s2, s2, s7
	s_sub_i32 s16, s2, s7
	s_load_dwordx2 s[2:3], s[4:5], 0x40
	s_abs_i32 s11, s16
	v_cvt_f32_u32_e32 v1, s11
	s_sub_i32 s12, 0, s11
	v_rcp_iflag_f32_e32 v1, v1
	v_mul_f32_e32 v1, 0x4f7ffffe, v1
	v_cvt_u32_f32_e32 v1, v1
	v_readfirstlane_b32 s7, v1
	s_mul_i32 s12, s12, s7
	s_mul_hi_u32 s12, s7, s12
	s_add_i32 s7, s7, s12
	s_waitcnt lgkmcnt(0)
	s_cmp_eq_u64 s[2:3], 0
	s_mul_hi_u32 s23, s22, s7
	s_cbranch_scc1 .LBB2_2
; %bb.1:
	s_ashr_i32 s7, s6, 31
	s_lshl_b64 s[12:13], s[6:7], 2
	s_add_u32 s2, s2, s12
	s_addc_u32 s3, s3, s13
	s_load_dword s33, s[2:3], 0x0
.LBB2_2:
	s_load_dword s30, s[0:1], 0x0
	s_load_dwordx4 s[12:15], s[4:5], 0x48
	v_and_b32_e32 v1, 3, v0
	v_lshlrev_b32_e32 v3, 2, v0
	s_ashr_i32 s0, s6, 31
	s_ashr_i32 s1, s16, 31
	s_mul_i32 s20, s6, 0x50
	s_mov_b32 s2, exec_lo
	v_cmpx_gt_u32_e32 0x50, v0
	s_cbranch_execz .LBB2_4
; %bb.3:
	s_load_dwordx2 s[16:17], s[4:5], 0x8
	s_waitcnt lgkmcnt(0)
	s_mul_i32 s18, s12, s10
	v_and_b32_e32 v4, 0x3fc, v0
	s_ashr_i32 s19, s18, 31
	s_lshl_b64 s[18:19], s[18:19], 2
	v_mad_u32_u24 v4, 0x50, v1, v4
	s_add_u32 s3, s16, s18
	s_addc_u32 s7, s17, s19
	s_ashr_i32 s21, s20, 31
	s_lshl_b64 s[16:17], s[20:21], 2
	s_add_u32 s16, s3, s16
	s_addc_u32 s17, s7, s17
	global_load_dword v2, v3, s[16:17]
	s_waitcnt vmcnt(0)
	ds_write_b32 v4, v2
.LBB2_4:
	s_or_b32 exec_lo, exec_lo, s2
	s_load_dwordx4 s[16:19], s[4:5], 0x68
	s_mul_i32 s2, s23, s11
	s_xor_b32 s1, s0, s1
	s_sub_i32 s0, s22, s2
	s_add_i32 s2, s23, 1
	s_sub_i32 s3, s0, s11
	s_cmp_ge_u32 s0, s11
	s_waitcnt lgkmcnt(0)
	s_cselect_b32 s2, s2, s23
	s_cselect_b32 s0, s3, s0
	s_add_i32 s3, s2, 1
	s_cmp_ge_u32 s0, s11
	s_load_dword s0, s[4:5], 0x78
	s_cselect_b32 s2, s3, s2
	s_add_i32 s7, s30, -1
	s_xor_b32 s2, s2, s1
	s_abs_i32 s3, s7
	s_sub_i32 s1, s2, s1
	s_mov_b32 s11, -1
	s_barrier
	s_abs_i32 s12, s19
	s_waitcnt lgkmcnt(0)
	buffer_gl0_inv
	v_cvt_f32_u32_e32 v2, s12
	s_sub_i32 s2, 0, s12
                                        ; implicit-def: $sgpr31
	v_rcp_iflag_f32_e32 v2, v2
	v_mul_f32_e32 v2, 0x4f7ffffe, v2
	v_cvt_u32_f32_e32 v2, v2
	v_readfirstlane_b32 s21, v2
	s_mul_i32 s2, s2, s21
	s_mul_hi_u32 s2, s21, s2
	s_add_i32 s21, s21, s2
	s_cmp_lt_i32 s0, 0
	s_mul_hi_u32 s2, s3, s21
	s_cbranch_scc0 .LBB2_6
; %bb.5:
	s_mul_i32 s11, s16, s28
	s_add_i32 s11, s1, s11
	s_mul_i32 s11, s11, s0
	s_sub_i32 s31, 1, s11
	s_mov_b32 s11, 0
.LBB2_6:
	s_load_dwordx2 s[22:23], s[4:5], 0x28
	s_ashr_i32 s7, s7, 31
	s_andn2_b32 vcc_lo, exec_lo, s11
	s_ashr_i32 s19, s19, 31
	s_cbranch_vccnz .LBB2_8
; %bb.7:
	s_mul_i32 s11, s9, s16
	s_add_i32 s6, s11, s6
	s_mul_i32 s0, s6, s0
	s_add_i32 s31, s0, 1
.LBB2_8:
	s_load_dword s0, s[4:5], 0x38
	s_mul_i32 s6, s2, s12
	s_xor_b32 s15, s7, s19
	s_sub_i32 s3, s3, s6
	s_add_i32 s16, s2, 1
	s_clause 0x2
	s_load_dwordx2 s[6:7], s[4:5], 0x0
	s_load_dwordx2 s[26:27], s[4:5], 0x18
	s_load_dword s11, s[4:5], 0x88
	v_lshrrev_b32_e32 v27, 5, v0
	v_mov_b32_e32 v6, 0xff7fffff
	v_lshrrev_b32_e32 v4, 3, v0
	v_mbcnt_lo_u32_b32 v5, -1, 0
	s_mul_i32 s14, s1, s14
	v_lshlrev_b32_e32 v28, 3, v27
	s_waitcnt lgkmcnt(0)
	s_mul_i32 s24, s0, s10
	s_sub_i32 s0, s3, s12
	s_ashr_i32 s25, s24, 31
	s_cmp_ge_u32 s3, s12
	s_cselect_b32 s2, s16, s2
	s_cselect_b32 s0, s0, s3
	s_add_i32 s3, s2, 1
	s_cmp_ge_u32 s0, s12
	s_cselect_b32 s0, s3, s2
	s_add_i32 s2, s30, 7
	s_ashr_i32 s3, s2, 31
	s_lshr_b32 s3, s3, 29
	s_add_i32 s2, s2, s3
	s_ashr_i32 s16, s2, 3
	s_xor_b32 s2, s0, s15
	v_cmp_gt_i32_e64 s0, s16, v27
	s_sub_i32 s28, s2, s15
	s_and_saveexec_b32 s34, s0
	s_cbranch_execz .LBB2_20
; %bb.9:
	s_load_dwordx2 s[2:3], s[4:5], 0x10
	s_ashr_i32 s15, s14, 31
	s_sub_i32 s4, s28, s17
	s_lshl_b64 s[36:37], s[14:15], 2
	v_bfe_u32 v7, v0, 2, 3
	v_cmp_eq_u32_e32 vcc_lo, 0, v1
	v_lshlrev_b32_e32 v15, 2, v1
	v_mul_u32_u24_e32 v8, 0x50, v1
	v_and_b32_e32 v1, 0x7c, v4
	v_lshlrev_b32_e32 v13, 2, v7
	v_subrev_nc_u32_e32 v14, s30, v7
	v_cmp_neq_f32_e64 s1, s33, 0
	v_lshlrev_b32_e32 v9, 3, v27
	v_mov_b32_e32 v10, 0xff7fffff
	v_lshl_or_b32 v16, v27, 5, v13
	v_add_nc_u32_e32 v13, 1, v14
	v_xor_b32_e32 v11, 2, v5
	v_xor_b32_e32 v12, 1, v5
	v_mov_b32_e32 v6, 0xff7fffff
	v_add_nc_u32_e32 v14, 0x160, v16
	s_waitcnt lgkmcnt(0)
	s_add_u32 s15, s2, s36
	s_addc_u32 s35, s3, s37
	s_abs_i32 s5, s18
	v_cvt_f32_u32_e32 v2, s5
	s_sub_i32 s2, 0, s5
	v_rcp_iflag_f32_e32 v2, v2
	v_mul_f32_e32 v2, 0x4f7ffffe, v2
	v_cvt_u32_f32_e32 v17, v2
	v_lshlrev_b32_e32 v2, 4, v7
	v_mul_lo_u32 v16, s2, v17
	s_lshl_b64 s[2:3], s[24:25], 2
	v_add_co_u32 v18, s15, s15, v2
	s_add_u32 s2, s22, s2
	v_add_co_ci_u32_e64 v19, null, s35, 0, s15
	s_addc_u32 s3, s23, s3
	v_mul_hi_u32 v20, v17, v16
	v_add_co_u32 v1, s2, s2, v1
	v_add_co_ci_u32_e64 v2, null, s3, 0, s2
	v_add_co_u32 v15, s2, v18, v15
	v_add_co_ci_u32_e64 v16, null, 0, v19, s2
	v_add_nc_u32_e32 v17, v17, v20
	v_mov_b32_e32 v18, v27
	s_mov_b32 s15, 0
	s_mov_b32 s35, s13
	s_branch .LBB2_12
.LBB2_10:                               ;   in Loop: Header=BB2_12 Depth=1
	s_or_b32 exec_lo, exec_lo, s36
.LBB2_11:                               ;   in Loop: Header=BB2_12 Depth=1
	s_or_b32 exec_lo, exec_lo, s3
	v_add_nc_u32_e32 v18, 4, v18
	v_add_co_u32 v1, s3, v1, 16
	v_add_co_ci_u32_e64 v2, null, 0, v2, s3
	v_cmp_le_i32_e64 s2, s16, v18
	v_add_nc_u32_e32 v9, 32, v9
	v_add_nc_u32_e32 v14, 0x80, v14
	s_or_b32 s15, s2, s15
	s_andn2_b32 exec_lo, exec_lo, s15
	s_cbranch_execz .LBB2_19
.LBB2_12:                               ; =>This Inner Loop Header: Depth=1
	v_mul_hi_u32 v19, v9, s21
	s_waitcnt lgkmcnt(0)
	v_mul_lo_u32 v20, v19, s12
	v_add_nc_u32_e32 v21, 1, v19
	v_sub_nc_u32_e32 v20, v9, v20
	v_subrev_nc_u32_e32 v22, s12, v20
	v_cmp_le_u32_e64 s2, s12, v20
	v_cndmask_b32_e64 v19, v19, v21, s2
	v_cndmask_b32_e64 v20, v20, v22, s2
	v_add_nc_u32_e32 v21, 1, v19
	v_cmp_le_u32_e64 s2, s12, v20
	v_cndmask_b32_e64 v19, v19, v21, s2
	v_xor_b32_e32 v19, s19, v19
	v_subrev_nc_u32_e32 v19, s19, v19
	v_add_nc_u32_e32 v20, s31, v19
	v_cmp_ge_i32_e64 s3, s4, v19
	v_sub_nc_u32_e32 v21, 0, v20
	v_max_i32_e32 v21, v20, v21
	v_ashrrev_i32_e32 v20, 31, v20
	v_mul_hi_u32 v22, v21, v17
	v_mul_lo_u32 v22, v22, s5
	v_sub_nc_u32_e32 v21, v21, v22
	v_subrev_nc_u32_e32 v22, s5, v21
	v_cmp_le_u32_e64 s2, s5, v21
	v_cndmask_b32_e64 v21, v21, v22, s2
	v_subrev_nc_u32_e32 v22, s5, v21
	v_cmp_le_u32_e64 s2, s5, v21
	v_cndmask_b32_e64 v21, v21, v22, s2
	v_xor_b32_e32 v21, v21, v20
	v_sub_nc_u32_e32 v20, v21, v20
	v_cmp_ne_u32_e64 s2, 0, v20
	s_and_b32 s2, s2, s3
	s_and_saveexec_b32 s3, s2
	s_xor_b32 s2, exec_lo, s3
	s_cbranch_execz .LBB2_16
; %bb.13:                               ;   in Loop: Header=BB2_12 Depth=1
	s_and_saveexec_b32 s3, vcc_lo
; %bb.14:                               ;   in Loop: Header=BB2_12 Depth=1
	ds_write_b32 v14, v10
; %bb.15:                               ;   in Loop: Header=BB2_12 Depth=1
	s_or_b32 exec_lo, exec_lo, s3
.LBB2_16:                               ;   in Loop: Header=BB2_12 Depth=1
	s_andn2_saveexec_b32 s3, s2
	s_cbranch_execz .LBB2_11
; %bb.17:                               ;   in Loop: Header=BB2_12 Depth=1
	global_load_dword v19, v[1:2], off
	s_waitcnt vmcnt(0)
	v_mad_i64_i32 v[19:20], null, v19, s35, 0
	v_lshlrev_b64 v[19:20], 2, v[19:20]
	v_add_co_u32 v19, s2, v15, v19
	v_add_co_ci_u32_e64 v20, null, v16, v20, s2
	s_clause 0xf
	global_load_dword v29, v[19:20], off offset:128
	global_load_dword v30, v[19:20], off
	global_load_dword v31, v[19:20], off offset:256
	global_load_dword v32, v[19:20], off offset:384
	;; [unrolled: 1-line block ×14, first 2 shown]
	v_add_co_u32 v19, s2, 0x800, v19
	v_add_co_ci_u32_e64 v20, null, 0, v20, s2
	v_cmp_gt_i32_e64 s2, 32, v11
	s_clause 0x3
	global_load_dword v45, v[19:20], off
	global_load_dword v46, v[19:20], off offset:128
	global_load_dword v47, v[19:20], off offset:256
	;; [unrolled: 1-line block ×3, first 2 shown]
	ds_read_b128 v[19:22], v8
	ds_read_b128 v[23:26], v8 offset:16
	s_waitcnt vmcnt(19) lgkmcnt(1)
	v_mul_f32_e32 v29, v20, v29
	s_waitcnt vmcnt(18)
	v_fmac_f32_e32 v29, v19, v30
	s_waitcnt vmcnt(17)
	v_fmac_f32_e32 v29, v21, v31
	s_waitcnt vmcnt(16)
	v_fmac_f32_e32 v29, v22, v32
	ds_read_b128 v[19:22], v8 offset:32
	s_waitcnt vmcnt(15) lgkmcnt(1)
	v_fmac_f32_e32 v29, v23, v33
	s_waitcnt vmcnt(14)
	v_fmac_f32_e32 v29, v24, v34
	s_waitcnt vmcnt(13)
	v_fmac_f32_e32 v29, v25, v35
	s_waitcnt vmcnt(12)
	v_fmac_f32_e32 v29, v26, v36
	ds_read_b128 v[23:26], v8 offset:48
	s_waitcnt vmcnt(11) lgkmcnt(1)
	v_fmac_f32_e32 v29, v19, v37
	;; [unrolled: 9-line block ×3, first 2 shown]
	s_waitcnt vmcnt(6)
	v_fmac_f32_e32 v29, v24, v42
	s_waitcnt vmcnt(5)
	v_fmac_f32_e32 v29, v25, v43
	;; [unrolled: 2-line block ×3, first 2 shown]
	s_waitcnt vmcnt(3) lgkmcnt(0)
	v_fmac_f32_e32 v29, v19, v45
	v_cndmask_b32_e64 v19, v5, v11, s2
	v_cmp_gt_i32_e64 s2, 32, v12
	s_waitcnt vmcnt(2)
	v_fmac_f32_e32 v29, v20, v46
	v_lshlrev_b32_e32 v19, 2, v19
	v_cndmask_b32_e64 v20, v5, v12, s2
	s_waitcnt vmcnt(1)
	v_fmac_f32_e32 v29, v21, v47
	v_lshlrev_b32_e32 v20, 2, v20
	s_waitcnt vmcnt(0)
	v_fmac_f32_e32 v29, v22, v48
	ds_bpermute_b32 v19, v19, v29
	s_waitcnt lgkmcnt(0)
	v_add_f32_e32 v19, v29, v19
	ds_bpermute_b32 v20, v20, v19
	s_and_saveexec_b32 s36, vcc_lo
	s_cbranch_execz .LBB2_10
; %bb.18:                               ;   in Loop: Header=BB2_12 Depth=1
	v_add_nc_u32_e32 v21, v13, v9
	s_waitcnt lgkmcnt(0)
	v_add_f32_e32 v19, v19, v20
	v_cvt_f32_i32_e32 v21, v21
	v_mul_f32_e32 v21, s33, v21
	v_cndmask_b32_e64 v20, 0, v21, s1
	v_max_f32_e32 v21, v6, v6
	v_fmac_f32_e32 v20, s29, v19
	v_add_nc_u32_e32 v19, v7, v9
	v_max_f32_e32 v21, v21, v20
	v_cmp_gt_i32_e64 s2, s30, v19
	v_cndmask_b32_e64 v19, 0, v20, s2
	v_cndmask_b32_e64 v6, v6, v21, s2
	ds_write_b32 v14, v19
	s_branch .LBB2_10
.LBB2_19:
	s_or_b32 exec_lo, exec_lo, s15
.LBB2_20:
	s_or_b32 exec_lo, exec_lo, s34
	v_xor_b32_e32 v1, 16, v5
	v_xor_b32_e32 v7, 8, v5
	v_max_f32_e32 v8, v6, v6
	v_and_b32_e32 v29, 31, v0
	v_cmp_gt_i32_e32 vcc_lo, 32, v1
	v_cndmask_b32_e32 v1, v5, v1, vcc_lo
	v_cmp_gt_i32_e32 vcc_lo, 32, v7
	v_lshlrev_b32_e32 v2, 2, v1
	ds_bpermute_b32 v1, v2, v6
	v_cndmask_b32_e32 v6, v5, v7, vcc_lo
	v_lshlrev_b32_e32 v6, 2, v6
	s_waitcnt lgkmcnt(0)
	v_max_f32_e32 v1, v1, v1
	v_max_f32_e32 v1, v8, v1
	v_xor_b32_e32 v8, 4, v5
	ds_bpermute_b32 v7, v6, v1
	v_cmp_gt_i32_e32 vcc_lo, 32, v8
	v_cndmask_b32_e32 v8, v5, v8, vcc_lo
	v_cmp_eq_u32_e32 vcc_lo, 0, v29
	v_lshlrev_b32_e32 v9, 2, v8
	s_waitcnt lgkmcnt(0)
	v_max_f32_e32 v7, v7, v7
	v_max_f32_e32 v1, v1, v7
	v_lshlrev_b32_e32 v7, 2, v27
	ds_bpermute_b32 v8, v9, v1
	s_and_saveexec_b32 s1, vcc_lo
	s_cbranch_execz .LBB2_22
; %bb.21:
	s_waitcnt lgkmcnt(0)
	v_max_f32_e32 v8, v8, v8
	v_max_f32_e32 v1, v1, v1
	;; [unrolled: 1-line block ×3, first 2 shown]
	ds_write_b32 v7, v1 offset:320
.LBB2_22:
	s_or_b32 exec_lo, exec_lo, s1
	v_cmp_gt_u32_e64 s1, 4, v29
	v_mov_b32_e32 v1, 0xff7fffff
	s_waitcnt lgkmcnt(0)
	v_lshlrev_b32_e32 v8, 2, v29
	s_barrier
	buffer_gl0_inv
	s_and_saveexec_b32 s2, s1
; %bb.23:
	ds_read_b32 v1, v8 offset:320
; %bb.24:
	s_or_b32 exec_lo, exec_lo, s2
	v_xor_b32_e32 v10, 2, v5
	v_xor_b32_e32 v12, 1, v5
	v_cmp_gt_i32_e64 s2, 32, v10
	v_cndmask_b32_e64 v10, v5, v10, s2
	v_cmp_gt_i32_e64 s2, 32, v12
	v_lshlrev_b32_e32 v10, 2, v10
	v_cndmask_b32_e64 v5, v5, v12, s2
	s_lshl_b32 s2, s16, 3
	s_min_i32 s4, s2, s30
	s_waitcnt lgkmcnt(0)
	ds_bpermute_b32 v11, v10, v1
	v_max_f32_e32 v1, v1, v1
	v_lshlrev_b32_e32 v30, 2, v5
	v_cmp_gt_i32_e64 s2, s4, v0
	s_waitcnt lgkmcnt(0)
	v_max_f32_e32 v11, v11, v11
	v_max_f32_e32 v1, v1, v11
	ds_bpermute_b32 v5, v30, v1
	s_waitcnt lgkmcnt(0)
	v_max_f32_e32 v5, v5, v5
	v_max_f32_e32 v1, v1, v5
	v_mov_b32_e32 v5, 0
	ds_bpermute_b32 v11, v5, v1
	v_lshl_add_u32 v1, v0, 2, 0x160
	s_and_saveexec_b32 s5, s2
	s_cbranch_execz .LBB2_28
; %bb.25:
	v_lshl_add_u32 v12, v0, 2, 0x160
	v_mov_b32_e32 v5, 0
	v_mov_b32_e32 v13, v0
	s_mov_b32 s15, 0
	.p2align	6
.LBB2_26:                               ; =>This Inner Loop Header: Depth=1
	ds_read_b32 v14, v12
	v_add_nc_u32_e32 v13, 0x80, v13
	v_cmp_le_i32_e64 s3, s4, v13
	s_or_b32 s15, s3, s15
	s_waitcnt lgkmcnt(0)
	v_sub_f32_e32 v14, v14, v11
	v_mul_f32_e32 v14, 0x3fb8aa3b, v14
	v_exp_f32_e32 v14, v14
	ds_write_b32 v12, v14
	v_add_f32_e32 v5, v5, v14
	v_add_nc_u32_e32 v12, 0x200, v12
	s_andn2_b32 exec_lo, exec_lo, s15
	s_cbranch_execnz .LBB2_26
; %bb.27:
	s_or_b32 exec_lo, exec_lo, s15
.LBB2_28:
	s_or_b32 exec_lo, exec_lo, s5
	ds_bpermute_b32 v2, v2, v5
	s_waitcnt lgkmcnt(0)
	v_add_f32_e32 v2, v5, v2
	ds_bpermute_b32 v5, v6, v2
	s_waitcnt lgkmcnt(0)
	v_add_f32_e32 v2, v2, v5
	;; [unrolled: 3-line block ×5, first 2 shown]
	s_and_saveexec_b32 s3, vcc_lo
; %bb.29:
	ds_write_b32 v7, v2 offset:336
; %bb.30:
	s_or_b32 exec_lo, exec_lo, s3
	s_waitcnt lgkmcnt(0)
	s_barrier
	buffer_gl0_inv
	s_and_saveexec_b32 s3, s1
; %bb.31:
	ds_read_b32 v2, v8 offset:336
; %bb.32:
	s_or_b32 exec_lo, exec_lo, s3
	s_waitcnt lgkmcnt(0)
	ds_bpermute_b32 v5, v10, v2
	s_waitcnt lgkmcnt(0)
	v_add_f32_e32 v2, v2, v5
	ds_bpermute_b32 v5, v30, v2
	s_waitcnt lgkmcnt(0)
	v_add_f32_e32 v2, v2, v5
	v_mov_b32_e32 v5, 0
	ds_bpermute_b32 v2, v5, v2
	s_and_saveexec_b32 s1, s2
	s_cbranch_execz .LBB2_35
; %bb.33:
	s_waitcnt lgkmcnt(0)
	v_add_f32_e32 v2, 0x358637bd, v2
	s_mov_b32 s2, 0
	v_div_scale_f32 v5, null, v2, v2, 1.0
	v_div_scale_f32 v8, vcc_lo, 1.0, v2, 1.0
	v_rcp_f32_e32 v6, v5
	v_fma_f32 v7, -v5, v6, 1.0
	v_fmac_f32_e32 v6, v7, v6
	v_mul_f32_e32 v7, v8, v6
	v_fma_f32 v9, -v5, v7, v8
	v_fmac_f32_e32 v7, v9, v6
	v_fma_f32 v5, -v5, v7, v8
	v_div_fmas_f32 v5, v5, v6, v7
	v_div_fixup_f32 v2, v5, v2, 1.0
	v_mov_b32_e32 v5, v0
.LBB2_34:                               ; =>This Inner Loop Header: Depth=1
	ds_read_b32 v6, v1
	v_add_nc_u32_e32 v5, 0x80, v5
	v_cmp_le_i32_e32 vcc_lo, s4, v5
	s_or_b32 s2, vcc_lo, s2
	s_waitcnt lgkmcnt(0)
	v_mul_f32_e32 v6, v2, v6
	ds_write_b32 v1, v6
	v_add_nc_u32_e32 v1, 0x200, v1
	s_andn2_b32 exec_lo, exec_lo, s2
	s_cbranch_execnz .LBB2_34
.LBB2_35:
	s_or_b32 exec_lo, exec_lo, s1
	v_mov_b32_e32 v36, 0
	v_and_b32_e32 v31, 1, v0
	v_mov_b32_e32 v35, 0
	v_mov_b32_e32 v34, 0
	;; [unrolled: 1-line block ×4, first 2 shown]
	s_waitcnt lgkmcnt(0)
	s_barrier
	buffer_gl0_inv
	s_and_saveexec_b32 s1, s0
	s_cbranch_execz .LBB2_51
; %bb.36:
	s_ashr_i32 s15, s14, 31
	s_sub_i32 s2, s28, s17
	s_lshl_b64 s[4:5], s[14:15], 2
	v_lshlrev_b32_e32 v2, 4, v0
	s_add_u32 s0, s26, s4
	s_addc_u32 s5, s27, s5
	s_abs_i32 s3, s18
	v_and_b32_e32 v37, 4, v3
	v_cvt_f32_u32_e32 v1, s3
	s_sub_i32 s4, 0, s3
	v_and_b32_e32 v3, 0x7c, v4
	v_lshlrev_b32_e32 v4, 4, v31
	v_and_b32_e32 v2, 0x1f0, v2
	v_rcp_iflag_f32_e32 v1, v1
	s_lshl_b64 s[14:15], s[24:25], 2
	v_mov_b32_e32 v32, 0
	v_lshl_or_b32 v4, v27, 5, v4
	v_add_co_u32 v38, s0, s0, v2
	v_add_co_ci_u32_e64 v39, null, s5, 0, s0
	v_mov_b32_e32 v33, 0
	v_mov_b32_e32 v34, 0
	v_mul_f32_e32 v1, 0x4f7ffffe, v1
	v_mov_b32_e32 v35, 0
	v_mov_b32_e32 v36, 0
	v_add_nc_u32_e32 v40, 0x160, v4
	v_mov_b32_e32 v42, v27
	v_cvt_u32_f32_e32 v1, v1
	s_mov_b32 s5, 0
	v_mul_lo_u32 v5, s4, v1
	s_add_i32 s4, s16, -1
	s_add_u32 s14, s22, s14
	s_addc_u32 s15, s23, s15
	v_add_co_u32 v25, s0, s14, v3
	v_add_co_ci_u32_e64 v26, null, s15, 0, s0
	v_mul_hi_u32 v5, v1, v5
	v_add_nc_u32_e32 v41, v1, v5
	s_branch .LBB2_39
.LBB2_37:                               ;   in Loop: Header=BB2_39 Depth=1
	s_or_b32 exec_lo, exec_lo, s0
	s_waitcnt vmcnt(1) lgkmcnt(0)
	v_mul_f32_e32 v17, v1, v17
	v_mul_f32_e32 v13, v1, v13
	;; [unrolled: 1-line block ×4, first 2 shown]
	s_waitcnt vmcnt(0)
	v_mul_f32_e32 v1, v1, v21
	v_fmac_f32_e32 v17, v2, v18
	v_fmac_f32_e32 v13, v2, v14
	;; [unrolled: 1-line block ×15, first 2 shown]
	v_add_f32_e32 v33, v33, v17
	v_add_f32_e32 v34, v34, v13
	;; [unrolled: 1-line block ×5, first 2 shown]
.LBB2_38:                               ;   in Loop: Header=BB2_39 Depth=1
	s_or_b32 exec_lo, exec_lo, s14
	v_add_nc_u32_e32 v42, 4, v42
	v_add_co_u32 v25, s0, v25, 16
	v_add_co_ci_u32_e64 v26, null, 0, v26, s0
	v_cmp_le_i32_e32 vcc_lo, s16, v42
	v_add_nc_u32_e32 v28, 32, v28
	v_add_nc_u32_e32 v40, 0x80, v40
	s_or_b32 s5, vcc_lo, s5
	s_andn2_b32 exec_lo, exec_lo, s5
	s_cbranch_execz .LBB2_50
.LBB2_39:                               ; =>This Inner Loop Header: Depth=1
	v_mul_hi_u32 v1, v28, s21
	v_mul_lo_u32 v2, v1, s12
	v_add_nc_u32_e32 v3, 1, v1
	v_sub_nc_u32_e32 v2, v28, v2
	v_subrev_nc_u32_e32 v4, s12, v2
	v_cmp_le_u32_e32 vcc_lo, s12, v2
	v_cndmask_b32_e32 v1, v1, v3, vcc_lo
	v_cndmask_b32_e32 v2, v2, v4, vcc_lo
	v_add_nc_u32_e32 v3, 1, v1
	v_cmp_le_u32_e32 vcc_lo, s12, v2
	v_cndmask_b32_e32 v1, v1, v3, vcc_lo
	v_xor_b32_e32 v1, s19, v1
	v_subrev_nc_u32_e32 v1, s19, v1
	v_add_nc_u32_e32 v2, s31, v1
	v_cmp_lt_i32_e64 s0, s2, v1
	v_sub_nc_u32_e32 v3, 0, v2
	v_max_i32_e32 v3, v2, v3
	v_ashrrev_i32_e32 v2, 31, v2
	v_mul_hi_u32 v4, v3, v41
	v_mul_lo_u32 v4, v4, s3
	v_sub_nc_u32_e32 v3, v3, v4
	v_subrev_nc_u32_e32 v4, s3, v3
	v_cmp_le_u32_e32 vcc_lo, s3, v3
	v_cndmask_b32_e32 v3, v3, v4, vcc_lo
	v_subrev_nc_u32_e32 v4, s3, v3
	v_cmp_le_u32_e32 vcc_lo, s3, v3
	v_cndmask_b32_e32 v3, v3, v4, vcc_lo
	v_xor_b32_e32 v3, v3, v2
	v_sub_nc_u32_e32 v2, v3, v2
	v_cmp_eq_u32_e32 vcc_lo, 0, v2
	s_or_b32 s0, vcc_lo, s0
	s_and_saveexec_b32 s14, s0
	s_cbranch_execz .LBB2_38
; %bb.40:                               ;   in Loop: Header=BB2_39 Depth=1
	global_load_dword v1, v[25:26], off
	v_add_nc_u32_e32 v43, v37, v28
	v_add_nc_u32_e32 v46, 1, v43
	;; [unrolled: 1-line block ×4, first 2 shown]
	s_waitcnt vmcnt(0)
	v_mad_i64_i32 v[1:2], null, v1, s13, 0
	v_lshlrev_b64 v[1:2], 2, v[1:2]
	v_add_co_u32 v21, vcc_lo, v38, v1
	v_add_co_ci_u32_e64 v22, null, v39, v2, vcc_lo
	ds_read_b128 v[1:4], v40
	v_cmp_eq_u32_e32 vcc_lo, s4, v42
	global_load_dwordx4 v[5:8], v[21:22], off
	s_and_saveexec_b32 s15, vcc_lo
	s_cbranch_execnz .LBB2_47
; %bb.41:                               ;   in Loop: Header=BB2_39 Depth=1
	s_or_b32 exec_lo, exec_lo, s15
	global_load_dwordx4 v[9:12], v[21:22], off offset:512
	s_and_saveexec_b32 s15, vcc_lo
	s_cbranch_execnz .LBB2_48
.LBB2_42:                               ;   in Loop: Header=BB2_39 Depth=1
	s_or_b32 exec_lo, exec_lo, s15
	global_load_dwordx4 v[13:16], v[21:22], off offset:1024
	s_and_saveexec_b32 s15, vcc_lo
	s_cbranch_execnz .LBB2_49
.LBB2_43:                               ;   in Loop: Header=BB2_39 Depth=1
	s_or_b32 exec_lo, exec_lo, s15
	global_load_dwordx4 v[17:20], v[21:22], off offset:1536
	s_and_saveexec_b32 s15, vcc_lo
	s_cbranch_execz .LBB2_45
.LBB2_44:                               ;   in Loop: Header=BB2_39 Depth=1
	v_cmp_gt_i32_e64 s0, s30, v43
	s_waitcnt vmcnt(0)
	v_cndmask_b32_e64 v17, 0, v17, s0
	v_cmp_gt_i32_e64 s0, s30, v46
	v_cndmask_b32_e64 v18, 0, v18, s0
	v_cmp_gt_i32_e64 s0, s30, v45
	;; [unrolled: 2-line block ×3, first 2 shown]
	v_cndmask_b32_e64 v20, 0, v20, s0
.LBB2_45:                               ;   in Loop: Header=BB2_39 Depth=1
	s_or_b32 exec_lo, exec_lo, s15
	v_add_co_u32 v21, s0, 0x800, v21
	v_add_co_ci_u32_e64 v22, null, 0, v22, s0
	global_load_dwordx4 v[21:24], v[21:22], off
	s_and_saveexec_b32 s0, vcc_lo
	s_cbranch_execz .LBB2_37
; %bb.46:                               ;   in Loop: Header=BB2_39 Depth=1
	v_cmp_gt_i32_e32 vcc_lo, s30, v43
	s_waitcnt vmcnt(0)
	v_cndmask_b32_e32 v21, 0, v21, vcc_lo
	v_cmp_gt_i32_e32 vcc_lo, s30, v46
	v_cndmask_b32_e32 v22, 0, v22, vcc_lo
	v_cmp_gt_i32_e32 vcc_lo, s30, v45
	;; [unrolled: 2-line block ×3, first 2 shown]
	v_cndmask_b32_e32 v24, 0, v24, vcc_lo
	s_branch .LBB2_37
.LBB2_47:                               ;   in Loop: Header=BB2_39 Depth=1
	v_cmp_gt_i32_e64 s0, s30, v43
	s_waitcnt vmcnt(0)
	v_cndmask_b32_e64 v5, 0, v5, s0
	v_cmp_gt_i32_e64 s0, s30, v46
	v_cndmask_b32_e64 v6, 0, v6, s0
	v_cmp_gt_i32_e64 s0, s30, v45
	;; [unrolled: 2-line block ×3, first 2 shown]
	v_cndmask_b32_e64 v8, 0, v8, s0
	s_or_b32 exec_lo, exec_lo, s15
	global_load_dwordx4 v[9:12], v[21:22], off offset:512
	s_and_saveexec_b32 s15, vcc_lo
	s_cbranch_execz .LBB2_42
.LBB2_48:                               ;   in Loop: Header=BB2_39 Depth=1
	v_cmp_gt_i32_e64 s0, s30, v43
	s_waitcnt vmcnt(0)
	v_cndmask_b32_e64 v9, 0, v9, s0
	v_cmp_gt_i32_e64 s0, s30, v46
	v_cndmask_b32_e64 v10, 0, v10, s0
	v_cmp_gt_i32_e64 s0, s30, v45
	;; [unrolled: 2-line block ×3, first 2 shown]
	v_cndmask_b32_e64 v12, 0, v12, s0
	s_or_b32 exec_lo, exec_lo, s15
	global_load_dwordx4 v[13:16], v[21:22], off offset:1024
	s_and_saveexec_b32 s15, vcc_lo
	s_cbranch_execz .LBB2_43
.LBB2_49:                               ;   in Loop: Header=BB2_39 Depth=1
	v_cmp_gt_i32_e64 s0, s30, v43
	s_waitcnt vmcnt(0)
	v_cndmask_b32_e64 v13, 0, v13, s0
	v_cmp_gt_i32_e64 s0, s30, v46
	v_cndmask_b32_e64 v14, 0, v14, s0
	v_cmp_gt_i32_e64 s0, s30, v45
	;; [unrolled: 2-line block ×3, first 2 shown]
	v_cndmask_b32_e64 v16, 0, v16, s0
	s_or_b32 exec_lo, exec_lo, s15
	global_load_dwordx4 v[17:20], v[21:22], off offset:1536
	s_and_saveexec_b32 s15, vcc_lo
	s_cbranch_execnz .LBB2_44
	s_branch .LBB2_45
.LBB2_50:
	s_or_b32 exec_lo, exec_lo, s5
.LBB2_51:
	s_or_b32 exec_lo, exec_lo, s1
	ds_bpermute_b32 v1, v30, v36
	ds_bpermute_b32 v2, v30, v35
	;; [unrolled: 1-line block ×5, first 2 shown]
	v_lshrrev_b32_e32 v6, 1, v29
	v_mul_u32_u24_e32 v8, 0x140, v27
	v_and_b32_e32 v9, 0x3c1, v0
	s_mov_b32 s0, exec_lo
	s_waitcnt lgkmcnt(0)
	v_lshl_add_u32 v7, v6, 2, 0x160
	s_barrier
	buffer_gl0_inv
	v_add_f32_e32 v1, v36, v1
	v_add_f32_e32 v2, v35, v2
	;; [unrolled: 1-line block ×5, first 2 shown]
	v_cmpx_eq_u32_e32 64, v9
	s_cbranch_execz .LBB2_53
; %bb.52:
	v_add_nc_u32_e32 v9, v7, v8
	v_add_nc_u32_e32 v10, 0xfffffd80, v9
	;; [unrolled: 1-line block ×6, first 2 shown]
	ds_write_b32 v10, v1
	ds_write_b32 v11, v2
	;; [unrolled: 1-line block ×5, first 2 shown]
.LBB2_53:
	s_or_b32 exec_lo, exec_lo, s0
	v_lshlrev_b32_e32 v6, 2, v6
	s_mov_b32 s1, exec_lo
	v_cmp_eq_u32_e32 vcc_lo, 0, v31
	s_waitcnt lgkmcnt(0)
	s_barrier
	v_add3_u32 v6, 0x160, v8, v6
	buffer_gl0_inv
	v_cmpx_gt_u32_e32 64, v0
	s_cbranch_execz .LBB2_61
; %bb.54:
	s_and_saveexec_b32 s0, vcc_lo
	s_cbranch_execnz .LBB2_74
; %bb.55:
	s_or_b32 exec_lo, exec_lo, s0
	s_and_saveexec_b32 s0, vcc_lo
	s_cbranch_execnz .LBB2_75
.LBB2_56:
	s_or_b32 exec_lo, exec_lo, s0
	s_and_saveexec_b32 s0, vcc_lo
	s_cbranch_execnz .LBB2_76
.LBB2_57:
	s_or_b32 exec_lo, exec_lo, s0
	s_and_saveexec_b32 s0, vcc_lo
	s_cbranch_execnz .LBB2_77
.LBB2_58:
	s_or_b32 exec_lo, exec_lo, s0
	s_and_saveexec_b32 s0, vcc_lo
	s_cbranch_execz .LBB2_60
.LBB2_59:
	ds_read_b32 v8, v6 offset:256
	s_waitcnt lgkmcnt(0)
	v_add_f32_e32 v5, v5, v8
.LBB2_60:
	s_or_b32 exec_lo, exec_lo, s0
.LBB2_61:
	s_or_b32 exec_lo, exec_lo, s1
	v_and_b32_e32 v8, 0x3e1, v0
	s_mov_b32 s1, exec_lo
	s_barrier
	buffer_gl0_inv
	v_cmpx_eq_u32_e32 32, v8
	s_cbranch_execz .LBB2_63
; %bb.62:
	ds_write2_b32 v7, v1, v2 offset1:16
	ds_write2_b32 v7, v3, v4 offset0:32 offset1:48
	ds_write_b32 v7, v5 offset:256
.LBB2_63:
	s_or_b32 exec_lo, exec_lo, s1
	s_mov_b32 s1, exec_lo
	s_waitcnt lgkmcnt(0)
	s_barrier
	buffer_gl0_inv
	v_cmpx_gt_u32_e32 32, v0
	s_cbranch_execz .LBB2_71
; %bb.64:
	s_and_saveexec_b32 s0, vcc_lo
	s_cbranch_execnz .LBB2_78
; %bb.65:
	s_or_b32 exec_lo, exec_lo, s0
	s_and_saveexec_b32 s0, vcc_lo
	s_cbranch_execnz .LBB2_79
.LBB2_66:
	s_or_b32 exec_lo, exec_lo, s0
	s_and_saveexec_b32 s0, vcc_lo
	s_cbranch_execnz .LBB2_80
.LBB2_67:
	s_or_b32 exec_lo, exec_lo, s0
	s_and_saveexec_b32 s0, vcc_lo
	s_cbranch_execnz .LBB2_81
.LBB2_68:
	s_or_b32 exec_lo, exec_lo, s0
	s_and_saveexec_b32 s0, vcc_lo
	s_cbranch_execz .LBB2_70
.LBB2_69:
	ds_read_b32 v6, v6 offset:256
	s_waitcnt lgkmcnt(0)
	v_add_f32_e32 v5, v5, v6
.LBB2_70:
	s_or_b32 exec_lo, exec_lo, s0
.LBB2_71:
	s_or_b32 exec_lo, exec_lo, s1
	s_barrier
	buffer_gl0_inv
	s_mov_b32 s0, exec_lo
	v_cmpx_eq_u32_e32 0, v8
	s_cbranch_execz .LBB2_73
; %bb.72:
	s_mul_i32 s0, s10, s11
	s_mul_i32 s2, s11, s20
	;; [unrolled: 1-line block ×3, first 2 shown]
	v_lshlrev_b32_e32 v0, 1, v0
	s_mulk_i32 s0, 0x50
	s_ashr_i32 s1, s0, 31
	s_lshl_b64 s[0:1], s[0:1], 2
	s_add_u32 s4, s6, s0
	s_addc_u32 s5, s7, s1
	s_ashr_i32 s3, s2, 31
	s_lshl_b64 s[0:1], s[2:3], 2
	s_mul_i32 s2, s8, 0x50
	s_add_u32 s4, s4, s0
	s_addc_u32 s5, s5, s1
	s_ashr_i32 s3, s2, 31
	s_lshl_b64 s[0:1], s[2:3], 2
	s_add_u32 s0, s4, s0
	s_addc_u32 s1, s5, s1
	global_store_dword v0, v1, s[0:1]
	global_store_dword v0, v2, s[0:1] offset:64
	global_store_dword v0, v3, s[0:1] offset:128
	;; [unrolled: 1-line block ×4, first 2 shown]
.LBB2_73:
	s_endpgm
.LBB2_74:
	ds_read_b32 v8, v6
	s_waitcnt lgkmcnt(0)
	v_add_f32_e32 v1, v1, v8
	s_or_b32 exec_lo, exec_lo, s0
	s_and_saveexec_b32 s0, vcc_lo
	s_cbranch_execz .LBB2_56
.LBB2_75:
	ds_read_b32 v8, v6 offset:64
	s_waitcnt lgkmcnt(0)
	v_add_f32_e32 v2, v2, v8
	s_or_b32 exec_lo, exec_lo, s0
	s_and_saveexec_b32 s0, vcc_lo
	s_cbranch_execz .LBB2_57
.LBB2_76:
	ds_read_b32 v8, v6 offset:128
	s_waitcnt lgkmcnt(0)
	v_add_f32_e32 v3, v3, v8
	s_or_b32 exec_lo, exec_lo, s0
	s_and_saveexec_b32 s0, vcc_lo
	s_cbranch_execz .LBB2_58
.LBB2_77:
	ds_read_b32 v8, v6 offset:192
	s_waitcnt lgkmcnt(0)
	v_add_f32_e32 v4, v4, v8
	s_or_b32 exec_lo, exec_lo, s0
	s_and_saveexec_b32 s0, vcc_lo
	s_cbranch_execnz .LBB2_59
	s_branch .LBB2_60
.LBB2_78:
	ds_read_b32 v7, v6
	s_waitcnt lgkmcnt(0)
	v_add_f32_e32 v1, v1, v7
	s_or_b32 exec_lo, exec_lo, s0
	s_and_saveexec_b32 s0, vcc_lo
	s_cbranch_execz .LBB2_66
.LBB2_79:
	ds_read_b32 v7, v6 offset:64
	s_waitcnt lgkmcnt(0)
	v_add_f32_e32 v2, v2, v7
	s_or_b32 exec_lo, exec_lo, s0
	s_and_saveexec_b32 s0, vcc_lo
	s_cbranch_execz .LBB2_67
.LBB2_80:
	ds_read_b32 v7, v6 offset:128
	s_waitcnt lgkmcnt(0)
	v_add_f32_e32 v3, v3, v7
	s_or_b32 exec_lo, exec_lo, s0
	s_and_saveexec_b32 s0, vcc_lo
	s_cbranch_execz .LBB2_68
.LBB2_81:
	ds_read_b32 v7, v6 offset:192
	s_waitcnt lgkmcnt(0)
	v_add_f32_e32 v4, v4, v7
	s_or_b32 exec_lo, exec_lo, s0
	s_and_saveexec_b32 s0, vcc_lo
	s_cbranch_execnz .LBB2_69
	s_branch .LBB2_70
	.section	.rodata,"a",@progbits
	.p2align	6, 0x0
	.amdhsa_kernel _ZN4vllm25paged_attention_v1_kernelIffLi80ELi8ELi128ELNS_18Fp8KVCacheDataTypeE0ELb1EEEvPT_PKS2_PKT0_S8_ifPKiSA_iPKfiiiSC_SC_iiiii
		.amdhsa_group_segment_fixed_size 352
		.amdhsa_private_segment_fixed_size 0
		.amdhsa_kernarg_size 384
		.amdhsa_user_sgpr_count 6
		.amdhsa_user_sgpr_private_segment_buffer 1
		.amdhsa_user_sgpr_dispatch_ptr 0
		.amdhsa_user_sgpr_queue_ptr 0
		.amdhsa_user_sgpr_kernarg_segment_ptr 1
		.amdhsa_user_sgpr_dispatch_id 0
		.amdhsa_user_sgpr_flat_scratch_init 0
		.amdhsa_user_sgpr_private_segment_size 0
		.amdhsa_wavefront_size32 1
		.amdhsa_uses_dynamic_stack 0
		.amdhsa_system_sgpr_private_segment_wavefront_offset 0
		.amdhsa_system_sgpr_workgroup_id_x 1
		.amdhsa_system_sgpr_workgroup_id_y 1
		.amdhsa_system_sgpr_workgroup_id_z 1
		.amdhsa_system_sgpr_workgroup_info 0
		.amdhsa_system_vgpr_workitem_id 0
		.amdhsa_next_free_vgpr 49
		.amdhsa_next_free_sgpr 38
		.amdhsa_reserve_vcc 1
		.amdhsa_reserve_flat_scratch 0
		.amdhsa_float_round_mode_32 0
		.amdhsa_float_round_mode_16_64 0
		.amdhsa_float_denorm_mode_32 3
		.amdhsa_float_denorm_mode_16_64 3
		.amdhsa_dx10_clamp 1
		.amdhsa_ieee_mode 1
		.amdhsa_fp16_overflow 0
		.amdhsa_workgroup_processor_mode 1
		.amdhsa_memory_ordered 1
		.amdhsa_forward_progress 1
		.amdhsa_shared_vgpr_count 0
		.amdhsa_exception_fp_ieee_invalid_op 0
		.amdhsa_exception_fp_denorm_src 0
		.amdhsa_exception_fp_ieee_div_zero 0
		.amdhsa_exception_fp_ieee_overflow 0
		.amdhsa_exception_fp_ieee_underflow 0
		.amdhsa_exception_fp_ieee_inexact 0
		.amdhsa_exception_int_div_zero 0
	.end_amdhsa_kernel
	.section	.text._ZN4vllm25paged_attention_v1_kernelIffLi80ELi8ELi128ELNS_18Fp8KVCacheDataTypeE0ELb1EEEvPT_PKS2_PKT0_S8_ifPKiSA_iPKfiiiSC_SC_iiiii,"axG",@progbits,_ZN4vllm25paged_attention_v1_kernelIffLi80ELi8ELi128ELNS_18Fp8KVCacheDataTypeE0ELb1EEEvPT_PKS2_PKT0_S8_ifPKiSA_iPKfiiiSC_SC_iiiii,comdat
.Lfunc_end2:
	.size	_ZN4vllm25paged_attention_v1_kernelIffLi80ELi8ELi128ELNS_18Fp8KVCacheDataTypeE0ELb1EEEvPT_PKS2_PKT0_S8_ifPKiSA_iPKfiiiSC_SC_iiiii, .Lfunc_end2-_ZN4vllm25paged_attention_v1_kernelIffLi80ELi8ELi128ELNS_18Fp8KVCacheDataTypeE0ELb1EEEvPT_PKS2_PKT0_S8_ifPKiSA_iPKfiiiSC_SC_iiiii
                                        ; -- End function
	.set _ZN4vllm25paged_attention_v1_kernelIffLi80ELi8ELi128ELNS_18Fp8KVCacheDataTypeE0ELb1EEEvPT_PKS2_PKT0_S8_ifPKiSA_iPKfiiiSC_SC_iiiii.num_vgpr, 49
	.set _ZN4vllm25paged_attention_v1_kernelIffLi80ELi8ELi128ELNS_18Fp8KVCacheDataTypeE0ELb1EEEvPT_PKS2_PKT0_S8_ifPKiSA_iPKfiiiSC_SC_iiiii.num_agpr, 0
	.set _ZN4vllm25paged_attention_v1_kernelIffLi80ELi8ELi128ELNS_18Fp8KVCacheDataTypeE0ELb1EEEvPT_PKS2_PKT0_S8_ifPKiSA_iPKfiiiSC_SC_iiiii.numbered_sgpr, 38
	.set _ZN4vllm25paged_attention_v1_kernelIffLi80ELi8ELi128ELNS_18Fp8KVCacheDataTypeE0ELb1EEEvPT_PKS2_PKT0_S8_ifPKiSA_iPKfiiiSC_SC_iiiii.num_named_barrier, 0
	.set _ZN4vllm25paged_attention_v1_kernelIffLi80ELi8ELi128ELNS_18Fp8KVCacheDataTypeE0ELb1EEEvPT_PKS2_PKT0_S8_ifPKiSA_iPKfiiiSC_SC_iiiii.private_seg_size, 0
	.set _ZN4vllm25paged_attention_v1_kernelIffLi80ELi8ELi128ELNS_18Fp8KVCacheDataTypeE0ELb1EEEvPT_PKS2_PKT0_S8_ifPKiSA_iPKfiiiSC_SC_iiiii.uses_vcc, 1
	.set _ZN4vllm25paged_attention_v1_kernelIffLi80ELi8ELi128ELNS_18Fp8KVCacheDataTypeE0ELb1EEEvPT_PKS2_PKT0_S8_ifPKiSA_iPKfiiiSC_SC_iiiii.uses_flat_scratch, 0
	.set _ZN4vllm25paged_attention_v1_kernelIffLi80ELi8ELi128ELNS_18Fp8KVCacheDataTypeE0ELb1EEEvPT_PKS2_PKT0_S8_ifPKiSA_iPKfiiiSC_SC_iiiii.has_dyn_sized_stack, 0
	.set _ZN4vllm25paged_attention_v1_kernelIffLi80ELi8ELi128ELNS_18Fp8KVCacheDataTypeE0ELb1EEEvPT_PKS2_PKT0_S8_ifPKiSA_iPKfiiiSC_SC_iiiii.has_recursion, 0
	.set _ZN4vllm25paged_attention_v1_kernelIffLi80ELi8ELi128ELNS_18Fp8KVCacheDataTypeE0ELb1EEEvPT_PKS2_PKT0_S8_ifPKiSA_iPKfiiiSC_SC_iiiii.has_indirect_call, 0
	.section	.AMDGPU.csdata,"",@progbits
; Kernel info:
; codeLenInByte = 4732
; TotalNumSgprs: 40
; NumVgprs: 49
; ScratchSize: 0
; MemoryBound: 0
; FloatMode: 240
; IeeeMode: 1
; LDSByteSize: 352 bytes/workgroup (compile time only)
; SGPRBlocks: 0
; VGPRBlocks: 6
; NumSGPRsForWavesPerEU: 40
; NumVGPRsForWavesPerEU: 49
; Occupancy: 16
; WaveLimiterHint : 1
; COMPUTE_PGM_RSRC2:SCRATCH_EN: 0
; COMPUTE_PGM_RSRC2:USER_SGPR: 6
; COMPUTE_PGM_RSRC2:TRAP_HANDLER: 0
; COMPUTE_PGM_RSRC2:TGID_X_EN: 1
; COMPUTE_PGM_RSRC2:TGID_Y_EN: 1
; COMPUTE_PGM_RSRC2:TGID_Z_EN: 1
; COMPUTE_PGM_RSRC2:TIDIG_COMP_CNT: 0
	.section	.text._ZN4vllm25paged_attention_v1_kernelIffLi96ELi8ELi128ELNS_18Fp8KVCacheDataTypeE0ELb1EEEvPT_PKS2_PKT0_S8_ifPKiSA_iPKfiiiSC_SC_iiiii,"axG",@progbits,_ZN4vllm25paged_attention_v1_kernelIffLi96ELi8ELi128ELNS_18Fp8KVCacheDataTypeE0ELb1EEEvPT_PKS2_PKT0_S8_ifPKiSA_iPKfiiiSC_SC_iiiii,comdat
	.protected	_ZN4vllm25paged_attention_v1_kernelIffLi96ELi8ELi128ELNS_18Fp8KVCacheDataTypeE0ELb1EEEvPT_PKS2_PKT0_S8_ifPKiSA_iPKfiiiSC_SC_iiiii ; -- Begin function _ZN4vllm25paged_attention_v1_kernelIffLi96ELi8ELi128ELNS_18Fp8KVCacheDataTypeE0ELb1EEEvPT_PKS2_PKT0_S8_ifPKiSA_iPKfiiiSC_SC_iiiii
	.globl	_ZN4vllm25paged_attention_v1_kernelIffLi96ELi8ELi128ELNS_18Fp8KVCacheDataTypeE0ELb1EEEvPT_PKS2_PKT0_S8_ifPKiSA_iPKfiiiSC_SC_iiiii
	.p2align	8
	.type	_ZN4vllm25paged_attention_v1_kernelIffLi96ELi8ELi128ELNS_18Fp8KVCacheDataTypeE0ELb1EEEvPT_PKS2_PKT0_S8_ifPKiSA_iPKfiiiSC_SC_iiiii,@function
_ZN4vllm25paged_attention_v1_kernelIffLi96ELi8ELi128ELNS_18Fp8KVCacheDataTypeE0ELb1EEEvPT_PKS2_PKT0_S8_ifPKiSA_iPKfiiiSC_SC_iiiii: ; @_ZN4vllm25paged_attention_v1_kernelIffLi96ELi8ELi128ELNS_18Fp8KVCacheDataTypeE0ELb1EEEvPT_PKS2_PKT0_S8_ifPKiSA_iPKfiiiSC_SC_iiiii
; %bb.0:
	s_clause 0x2
	s_load_dword s9, s[4:5], 0x80
	s_load_dwordx2 s[0:1], s[4:5], 0x30
	s_load_dwordx2 s[28:29], s[4:5], 0x20
	s_mov_b32 s10, s7
	s_ashr_i32 s11, s7, 31
	s_mov_b32 s33, 0
	s_lshl_b64 s[2:3], s[10:11], 2
	s_waitcnt lgkmcnt(0)
	s_add_u32 s0, s0, s2
	s_addc_u32 s1, s1, s3
	s_abs_i32 s2, s28
	s_abs_i32 s11, s9
	v_cvt_f32_u32_e32 v1, s2
	s_sub_i32 s7, 0, s2
	v_rcp_iflag_f32_e32 v1, v1
	v_mul_f32_e32 v1, 0x4f7ffffe, v1
	v_cvt_u32_f32_e32 v1, v1
	v_readfirstlane_b32 s3, v1
	s_mul_i32 s7, s7, s3
	s_mul_hi_u32 s7, s3, s7
	s_add_i32 s3, s3, s7
	s_xor_b32 s7, s9, s28
	s_mul_hi_u32 s3, s11, s3
	s_ashr_i32 s7, s7, 31
	s_mul_i32 s12, s3, s2
	s_sub_i32 s11, s11, s12
	s_add_i32 s12, s3, 1
	s_sub_i32 s13, s11, s2
	s_cmp_ge_u32 s11, s2
	s_cselect_b32 s3, s12, s3
	s_cselect_b32 s11, s13, s11
	s_add_i32 s12, s3, 1
	s_cmp_ge_u32 s11, s2
	s_cselect_b32 s2, s12, s3
	s_abs_i32 s22, s6
	s_xor_b32 s2, s2, s7
	s_sub_i32 s16, s2, s7
	s_load_dwordx2 s[2:3], s[4:5], 0x40
	s_abs_i32 s11, s16
	v_cvt_f32_u32_e32 v1, s11
	s_sub_i32 s12, 0, s11
	v_rcp_iflag_f32_e32 v1, v1
	v_mul_f32_e32 v1, 0x4f7ffffe, v1
	v_cvt_u32_f32_e32 v1, v1
	v_readfirstlane_b32 s7, v1
	s_mul_i32 s12, s12, s7
	s_mul_hi_u32 s12, s7, s12
	s_add_i32 s7, s7, s12
	s_waitcnt lgkmcnt(0)
	s_cmp_eq_u64 s[2:3], 0
	s_mul_hi_u32 s23, s22, s7
	s_cbranch_scc1 .LBB3_2
; %bb.1:
	s_ashr_i32 s7, s6, 31
	s_lshl_b64 s[12:13], s[6:7], 2
	s_add_u32 s2, s2, s12
	s_addc_u32 s3, s3, s13
	s_load_dword s33, s[2:3], 0x0
.LBB3_2:
	s_load_dword s30, s[0:1], 0x0
	s_load_dwordx4 s[12:15], s[4:5], 0x48
	v_and_b32_e32 v1, 3, v0
	v_lshlrev_b32_e32 v3, 2, v0
	s_ashr_i32 s0, s6, 31
	s_ashr_i32 s1, s16, 31
	s_mul_i32 s20, s6, 0x60
	s_mov_b32 s2, exec_lo
	v_cmpx_gt_u32_e32 0x60, v0
	s_cbranch_execz .LBB3_4
; %bb.3:
	s_load_dwordx2 s[16:17], s[4:5], 0x8
	s_waitcnt lgkmcnt(0)
	s_mul_i32 s18, s12, s10
	v_and_b32_e32 v4, 0x3fc, v0
	s_ashr_i32 s19, s18, 31
	s_lshl_b64 s[18:19], s[18:19], 2
	v_mad_u32_u24 v4, 0x60, v1, v4
	s_add_u32 s3, s16, s18
	s_addc_u32 s7, s17, s19
	s_ashr_i32 s21, s20, 31
	s_lshl_b64 s[16:17], s[20:21], 2
	s_add_u32 s16, s3, s16
	s_addc_u32 s17, s7, s17
	global_load_dword v2, v3, s[16:17]
	s_waitcnt vmcnt(0)
	ds_write_b32 v4, v2
.LBB3_4:
	s_or_b32 exec_lo, exec_lo, s2
	s_load_dwordx4 s[16:19], s[4:5], 0x68
	s_mul_i32 s2, s23, s11
	s_xor_b32 s1, s0, s1
	s_sub_i32 s0, s22, s2
	s_add_i32 s2, s23, 1
	s_sub_i32 s3, s0, s11
	s_cmp_ge_u32 s0, s11
	s_waitcnt lgkmcnt(0)
	s_cselect_b32 s2, s2, s23
	s_cselect_b32 s0, s3, s0
	s_add_i32 s3, s2, 1
	s_cmp_ge_u32 s0, s11
	s_load_dword s0, s[4:5], 0x78
	s_cselect_b32 s2, s3, s2
	s_add_i32 s7, s30, -1
	s_xor_b32 s2, s2, s1
	s_abs_i32 s3, s7
	s_sub_i32 s1, s2, s1
	s_mov_b32 s11, -1
	s_barrier
	s_abs_i32 s12, s19
	s_waitcnt lgkmcnt(0)
	buffer_gl0_inv
	v_cvt_f32_u32_e32 v2, s12
	s_sub_i32 s2, 0, s12
                                        ; implicit-def: $sgpr31
	v_rcp_iflag_f32_e32 v2, v2
	v_mul_f32_e32 v2, 0x4f7ffffe, v2
	v_cvt_u32_f32_e32 v2, v2
	v_readfirstlane_b32 s21, v2
	s_mul_i32 s2, s2, s21
	s_mul_hi_u32 s2, s21, s2
	s_add_i32 s21, s21, s2
	s_cmp_lt_i32 s0, 0
	s_mul_hi_u32 s2, s3, s21
	s_cbranch_scc0 .LBB3_6
; %bb.5:
	s_mul_i32 s11, s16, s28
	s_add_i32 s11, s1, s11
	s_mul_i32 s11, s11, s0
	s_sub_i32 s31, 1, s11
	s_mov_b32 s11, 0
.LBB3_6:
	s_load_dwordx2 s[22:23], s[4:5], 0x28
	s_ashr_i32 s7, s7, 31
	s_andn2_b32 vcc_lo, exec_lo, s11
	s_ashr_i32 s19, s19, 31
	s_cbranch_vccnz .LBB3_8
; %bb.7:
	s_mul_i32 s11, s9, s16
	s_add_i32 s6, s11, s6
	s_mul_i32 s0, s6, s0
	s_add_i32 s31, s0, 1
.LBB3_8:
	s_load_dword s0, s[4:5], 0x38
	s_mul_i32 s6, s2, s12
	s_xor_b32 s15, s7, s19
	s_sub_i32 s3, s3, s6
	s_add_i32 s16, s2, 1
	s_clause 0x2
	s_load_dwordx2 s[6:7], s[4:5], 0x0
	s_load_dwordx2 s[26:27], s[4:5], 0x18
	s_load_dword s11, s[4:5], 0x88
	v_lshrrev_b32_e32 v31, 5, v0
	v_mov_b32_e32 v6, 0xff7fffff
	v_lshrrev_b32_e32 v4, 3, v0
	v_mbcnt_lo_u32_b32 v5, -1, 0
	s_mul_i32 s14, s1, s14
	v_lshlrev_b32_e32 v32, 3, v31
	s_waitcnt lgkmcnt(0)
	s_mul_i32 s24, s0, s10
	s_sub_i32 s0, s3, s12
	s_ashr_i32 s25, s24, 31
	s_cmp_ge_u32 s3, s12
	s_cselect_b32 s2, s16, s2
	s_cselect_b32 s0, s0, s3
	s_add_i32 s3, s2, 1
	s_cmp_ge_u32 s0, s12
	s_cselect_b32 s0, s3, s2
	s_add_i32 s2, s30, 7
	s_ashr_i32 s3, s2, 31
	s_lshr_b32 s3, s3, 29
	s_add_i32 s2, s2, s3
	s_ashr_i32 s16, s2, 3
	s_xor_b32 s2, s0, s15
	v_cmp_gt_i32_e64 s0, s16, v31
	s_sub_i32 s28, s2, s15
	s_and_saveexec_b32 s34, s0
	s_cbranch_execz .LBB3_20
; %bb.9:
	s_load_dwordx2 s[2:3], s[4:5], 0x10
	s_ashr_i32 s15, s14, 31
	s_sub_i32 s4, s28, s17
	s_lshl_b64 s[36:37], s[14:15], 2
	v_bfe_u32 v7, v0, 2, 3
	v_cmp_eq_u32_e32 vcc_lo, 0, v1
	v_lshlrev_b32_e32 v15, 2, v1
	v_mul_u32_u24_e32 v8, 0x60, v1
	v_and_b32_e32 v1, 0x7c, v4
	v_lshlrev_b32_e32 v13, 2, v7
	v_subrev_nc_u32_e32 v14, s30, v7
	v_cmp_neq_f32_e64 s1, s33, 0
	v_lshlrev_b32_e32 v9, 3, v31
	v_mov_b32_e32 v10, 0xff7fffff
	v_lshl_or_b32 v16, v31, 5, v13
	v_add_nc_u32_e32 v13, 1, v14
	v_xor_b32_e32 v11, 2, v5
	v_xor_b32_e32 v12, 1, v5
	v_mov_b32_e32 v6, 0xff7fffff
	v_add_nc_u32_e32 v14, 0x1a0, v16
	s_waitcnt lgkmcnt(0)
	s_add_u32 s15, s2, s36
	s_addc_u32 s35, s3, s37
	s_abs_i32 s5, s18
	v_cvt_f32_u32_e32 v2, s5
	s_sub_i32 s2, 0, s5
	v_rcp_iflag_f32_e32 v2, v2
	v_mul_f32_e32 v2, 0x4f7ffffe, v2
	v_cvt_u32_f32_e32 v17, v2
	v_lshlrev_b32_e32 v2, 4, v7
	v_mul_lo_u32 v16, s2, v17
	s_lshl_b64 s[2:3], s[24:25], 2
	v_add_co_u32 v18, s15, s15, v2
	s_add_u32 s2, s22, s2
	v_add_co_ci_u32_e64 v19, null, s35, 0, s15
	s_addc_u32 s3, s23, s3
	v_mul_hi_u32 v20, v17, v16
	v_add_co_u32 v1, s2, s2, v1
	v_add_co_ci_u32_e64 v2, null, s3, 0, s2
	v_add_co_u32 v15, s2, v18, v15
	v_add_co_ci_u32_e64 v16, null, 0, v19, s2
	v_add_nc_u32_e32 v17, v17, v20
	v_mov_b32_e32 v18, v31
	s_mov_b32 s15, 0
	s_mov_b32 s35, s13
	s_branch .LBB3_12
.LBB3_10:                               ;   in Loop: Header=BB3_12 Depth=1
	s_or_b32 exec_lo, exec_lo, s36
.LBB3_11:                               ;   in Loop: Header=BB3_12 Depth=1
	s_or_b32 exec_lo, exec_lo, s3
	v_add_nc_u32_e32 v18, 4, v18
	v_add_co_u32 v1, s3, v1, 16
	v_add_co_ci_u32_e64 v2, null, 0, v2, s3
	v_cmp_le_i32_e64 s2, s16, v18
	v_add_nc_u32_e32 v9, 32, v9
	v_add_nc_u32_e32 v14, 0x80, v14
	s_or_b32 s15, s2, s15
	s_andn2_b32 exec_lo, exec_lo, s15
	s_cbranch_execz .LBB3_19
.LBB3_12:                               ; =>This Inner Loop Header: Depth=1
	v_mul_hi_u32 v19, v9, s21
	s_waitcnt lgkmcnt(0)
	v_mul_lo_u32 v20, v19, s12
	v_add_nc_u32_e32 v21, 1, v19
	v_sub_nc_u32_e32 v20, v9, v20
	v_subrev_nc_u32_e32 v22, s12, v20
	v_cmp_le_u32_e64 s2, s12, v20
	v_cndmask_b32_e64 v19, v19, v21, s2
	v_cndmask_b32_e64 v20, v20, v22, s2
	v_add_nc_u32_e32 v21, 1, v19
	v_cmp_le_u32_e64 s2, s12, v20
	v_cndmask_b32_e64 v19, v19, v21, s2
	v_xor_b32_e32 v19, s19, v19
	v_subrev_nc_u32_e32 v19, s19, v19
	v_add_nc_u32_e32 v20, s31, v19
	v_cmp_ge_i32_e64 s3, s4, v19
	v_sub_nc_u32_e32 v21, 0, v20
	v_max_i32_e32 v21, v20, v21
	v_ashrrev_i32_e32 v20, 31, v20
	v_mul_hi_u32 v22, v21, v17
	v_mul_lo_u32 v22, v22, s5
	v_sub_nc_u32_e32 v21, v21, v22
	v_subrev_nc_u32_e32 v22, s5, v21
	v_cmp_le_u32_e64 s2, s5, v21
	v_cndmask_b32_e64 v21, v21, v22, s2
	v_subrev_nc_u32_e32 v22, s5, v21
	v_cmp_le_u32_e64 s2, s5, v21
	v_cndmask_b32_e64 v21, v21, v22, s2
	v_xor_b32_e32 v21, v21, v20
	v_sub_nc_u32_e32 v20, v21, v20
	v_cmp_ne_u32_e64 s2, 0, v20
	s_and_b32 s2, s2, s3
	s_and_saveexec_b32 s3, s2
	s_xor_b32 s2, exec_lo, s3
	s_cbranch_execz .LBB3_16
; %bb.13:                               ;   in Loop: Header=BB3_12 Depth=1
	s_and_saveexec_b32 s3, vcc_lo
; %bb.14:                               ;   in Loop: Header=BB3_12 Depth=1
	ds_write_b32 v14, v10
; %bb.15:                               ;   in Loop: Header=BB3_12 Depth=1
	s_or_b32 exec_lo, exec_lo, s3
.LBB3_16:                               ;   in Loop: Header=BB3_12 Depth=1
	s_andn2_saveexec_b32 s3, s2
	s_cbranch_execz .LBB3_11
; %bb.17:                               ;   in Loop: Header=BB3_12 Depth=1
	global_load_dword v19, v[1:2], off
	s_waitcnt vmcnt(0)
	v_mad_i64_i32 v[19:20], null, v19, s35, 0
	v_lshlrev_b64 v[19:20], 2, v[19:20]
	v_add_co_u32 v19, s2, v15, v19
	v_add_co_ci_u32_e64 v20, null, v16, v20, s2
	s_clause 0xf
	global_load_dword v27, v[19:20], off offset:128
	global_load_dword v28, v[19:20], off
	global_load_dword v29, v[19:20], off offset:256
	global_load_dword v30, v[19:20], off offset:384
	;; [unrolled: 1-line block ×14, first 2 shown]
	v_add_co_u32 v19, s2, 0x800, v19
	v_add_co_ci_u32_e64 v20, null, 0, v20, s2
	v_cmp_gt_i32_e64 s2, 32, v11
	s_clause 0x7
	global_load_dword v45, v[19:20], off
	global_load_dword v46, v[19:20], off offset:128
	global_load_dword v47, v[19:20], off offset:256
	;; [unrolled: 1-line block ×7, first 2 shown]
	ds_read_b128 v[19:22], v8
	ds_read_b128 v[23:26], v8 offset:16
	s_waitcnt vmcnt(23) lgkmcnt(1)
	v_mul_f32_e32 v27, v20, v27
	s_waitcnt vmcnt(22)
	v_fmac_f32_e32 v27, v19, v28
	s_waitcnt vmcnt(21)
	v_fmac_f32_e32 v27, v21, v29
	s_waitcnt vmcnt(20)
	v_fmac_f32_e32 v27, v22, v30
	ds_read_b128 v[19:22], v8 offset:32
	s_waitcnt vmcnt(19) lgkmcnt(1)
	v_fmac_f32_e32 v27, v23, v33
	s_waitcnt vmcnt(18)
	v_fmac_f32_e32 v27, v24, v34
	s_waitcnt vmcnt(17)
	v_fmac_f32_e32 v27, v25, v35
	s_waitcnt vmcnt(16)
	v_fmac_f32_e32 v27, v26, v36
	ds_read_b128 v[23:26], v8 offset:48
	s_waitcnt vmcnt(15) lgkmcnt(1)
	v_fmac_f32_e32 v27, v19, v37
	;; [unrolled: 9-line block ×4, first 2 shown]
	v_cndmask_b32_e64 v19, v5, v11, s2
	v_cmp_gt_i32_e64 s2, 32, v12
	s_waitcnt vmcnt(6)
	v_fmac_f32_e32 v27, v20, v46
	v_lshlrev_b32_e32 v19, 2, v19
	v_cndmask_b32_e64 v20, v5, v12, s2
	s_waitcnt vmcnt(5)
	v_fmac_f32_e32 v27, v21, v47
	v_lshlrev_b32_e32 v20, 2, v20
	s_waitcnt vmcnt(4)
	v_fmac_f32_e32 v27, v22, v48
	s_waitcnt vmcnt(3) lgkmcnt(0)
	v_fmac_f32_e32 v27, v23, v49
	s_waitcnt vmcnt(2)
	v_fmac_f32_e32 v27, v24, v50
	s_waitcnt vmcnt(1)
	;; [unrolled: 2-line block ×3, first 2 shown]
	v_fmac_f32_e32 v27, v26, v52
	ds_bpermute_b32 v19, v19, v27
	s_waitcnt lgkmcnt(0)
	v_add_f32_e32 v19, v27, v19
	ds_bpermute_b32 v20, v20, v19
	s_and_saveexec_b32 s36, vcc_lo
	s_cbranch_execz .LBB3_10
; %bb.18:                               ;   in Loop: Header=BB3_12 Depth=1
	v_add_nc_u32_e32 v21, v13, v9
	s_waitcnt lgkmcnt(0)
	v_add_f32_e32 v19, v19, v20
	v_cvt_f32_i32_e32 v21, v21
	v_mul_f32_e32 v21, s33, v21
	v_cndmask_b32_e64 v20, 0, v21, s1
	v_max_f32_e32 v21, v6, v6
	v_fmac_f32_e32 v20, s29, v19
	v_add_nc_u32_e32 v19, v7, v9
	v_max_f32_e32 v21, v21, v20
	v_cmp_gt_i32_e64 s2, s30, v19
	v_cndmask_b32_e64 v19, 0, v20, s2
	v_cndmask_b32_e64 v6, v6, v21, s2
	ds_write_b32 v14, v19
	s_branch .LBB3_10
.LBB3_19:
	s_or_b32 exec_lo, exec_lo, s15
.LBB3_20:
	s_or_b32 exec_lo, exec_lo, s34
	v_xor_b32_e32 v1, 16, v5
	v_xor_b32_e32 v7, 8, v5
	v_max_f32_e32 v8, v6, v6
	v_and_b32_e32 v33, 31, v0
	v_cmp_gt_i32_e32 vcc_lo, 32, v1
	v_cndmask_b32_e32 v1, v5, v1, vcc_lo
	v_cmp_gt_i32_e32 vcc_lo, 32, v7
	v_lshlrev_b32_e32 v2, 2, v1
	ds_bpermute_b32 v1, v2, v6
	v_cndmask_b32_e32 v6, v5, v7, vcc_lo
	v_lshlrev_b32_e32 v6, 2, v6
	s_waitcnt lgkmcnt(0)
	v_max_f32_e32 v1, v1, v1
	v_max_f32_e32 v1, v8, v1
	v_xor_b32_e32 v8, 4, v5
	ds_bpermute_b32 v7, v6, v1
	v_cmp_gt_i32_e32 vcc_lo, 32, v8
	v_cndmask_b32_e32 v8, v5, v8, vcc_lo
	v_cmp_eq_u32_e32 vcc_lo, 0, v33
	v_lshlrev_b32_e32 v9, 2, v8
	s_waitcnt lgkmcnt(0)
	v_max_f32_e32 v7, v7, v7
	v_max_f32_e32 v1, v1, v7
	v_lshlrev_b32_e32 v7, 2, v31
	ds_bpermute_b32 v8, v9, v1
	s_and_saveexec_b32 s1, vcc_lo
	s_cbranch_execz .LBB3_22
; %bb.21:
	s_waitcnt lgkmcnt(0)
	v_max_f32_e32 v8, v8, v8
	v_max_f32_e32 v1, v1, v1
	;; [unrolled: 1-line block ×3, first 2 shown]
	ds_write_b32 v7, v1 offset:384
.LBB3_22:
	s_or_b32 exec_lo, exec_lo, s1
	v_cmp_gt_u32_e64 s1, 4, v33
	v_mov_b32_e32 v1, 0xff7fffff
	s_waitcnt lgkmcnt(0)
	v_lshlrev_b32_e32 v8, 2, v33
	s_barrier
	buffer_gl0_inv
	s_and_saveexec_b32 s2, s1
; %bb.23:
	ds_read_b32 v1, v8 offset:384
; %bb.24:
	s_or_b32 exec_lo, exec_lo, s2
	v_xor_b32_e32 v10, 2, v5
	v_xor_b32_e32 v12, 1, v5
	v_cmp_gt_i32_e64 s2, 32, v10
	v_cndmask_b32_e64 v10, v5, v10, s2
	v_cmp_gt_i32_e64 s2, 32, v12
	v_lshlrev_b32_e32 v10, 2, v10
	v_cndmask_b32_e64 v5, v5, v12, s2
	s_lshl_b32 s2, s16, 3
	s_min_i32 s4, s2, s30
	s_waitcnt lgkmcnt(0)
	ds_bpermute_b32 v11, v10, v1
	v_max_f32_e32 v1, v1, v1
	v_lshlrev_b32_e32 v34, 2, v5
	v_cmp_gt_i32_e64 s2, s4, v0
	s_waitcnt lgkmcnt(0)
	v_max_f32_e32 v11, v11, v11
	v_max_f32_e32 v1, v1, v11
	ds_bpermute_b32 v5, v34, v1
	s_waitcnt lgkmcnt(0)
	v_max_f32_e32 v5, v5, v5
	v_max_f32_e32 v1, v1, v5
	v_mov_b32_e32 v5, 0
	ds_bpermute_b32 v11, v5, v1
	v_lshl_add_u32 v1, v0, 2, 0x1a0
	s_and_saveexec_b32 s5, s2
	s_cbranch_execz .LBB3_28
; %bb.25:
	v_lshl_add_u32 v12, v0, 2, 0x1a0
	v_mov_b32_e32 v5, 0
	v_mov_b32_e32 v13, v0
	s_mov_b32 s15, 0
	.p2align	6
.LBB3_26:                               ; =>This Inner Loop Header: Depth=1
	ds_read_b32 v14, v12
	v_add_nc_u32_e32 v13, 0x80, v13
	v_cmp_le_i32_e64 s3, s4, v13
	s_or_b32 s15, s3, s15
	s_waitcnt lgkmcnt(0)
	v_sub_f32_e32 v14, v14, v11
	v_mul_f32_e32 v14, 0x3fb8aa3b, v14
	v_exp_f32_e32 v14, v14
	ds_write_b32 v12, v14
	v_add_f32_e32 v5, v5, v14
	v_add_nc_u32_e32 v12, 0x200, v12
	s_andn2_b32 exec_lo, exec_lo, s15
	s_cbranch_execnz .LBB3_26
; %bb.27:
	s_or_b32 exec_lo, exec_lo, s15
.LBB3_28:
	s_or_b32 exec_lo, exec_lo, s5
	ds_bpermute_b32 v2, v2, v5
	s_waitcnt lgkmcnt(0)
	v_add_f32_e32 v2, v5, v2
	ds_bpermute_b32 v5, v6, v2
	s_waitcnt lgkmcnt(0)
	v_add_f32_e32 v2, v2, v5
	;; [unrolled: 3-line block ×5, first 2 shown]
	s_and_saveexec_b32 s3, vcc_lo
; %bb.29:
	ds_write_b32 v7, v2 offset:400
; %bb.30:
	s_or_b32 exec_lo, exec_lo, s3
	s_waitcnt lgkmcnt(0)
	s_barrier
	buffer_gl0_inv
	s_and_saveexec_b32 s3, s1
; %bb.31:
	ds_read_b32 v2, v8 offset:400
; %bb.32:
	s_or_b32 exec_lo, exec_lo, s3
	s_waitcnt lgkmcnt(0)
	ds_bpermute_b32 v5, v10, v2
	s_waitcnt lgkmcnt(0)
	v_add_f32_e32 v2, v2, v5
	ds_bpermute_b32 v5, v34, v2
	s_waitcnt lgkmcnt(0)
	v_add_f32_e32 v2, v2, v5
	v_mov_b32_e32 v5, 0
	ds_bpermute_b32 v2, v5, v2
	s_and_saveexec_b32 s1, s2
	s_cbranch_execz .LBB3_35
; %bb.33:
	s_waitcnt lgkmcnt(0)
	v_add_f32_e32 v2, 0x358637bd, v2
	s_mov_b32 s2, 0
	v_div_scale_f32 v5, null, v2, v2, 1.0
	v_div_scale_f32 v8, vcc_lo, 1.0, v2, 1.0
	v_rcp_f32_e32 v6, v5
	v_fma_f32 v7, -v5, v6, 1.0
	v_fmac_f32_e32 v6, v7, v6
	v_mul_f32_e32 v7, v8, v6
	v_fma_f32 v9, -v5, v7, v8
	v_fmac_f32_e32 v7, v9, v6
	v_fma_f32 v5, -v5, v7, v8
	v_div_fmas_f32 v5, v5, v6, v7
	v_div_fixup_f32 v2, v5, v2, 1.0
	v_mov_b32_e32 v5, v0
.LBB3_34:                               ; =>This Inner Loop Header: Depth=1
	ds_read_b32 v6, v1
	v_add_nc_u32_e32 v5, 0x80, v5
	v_cmp_le_i32_e32 vcc_lo, s4, v5
	s_or_b32 s2, vcc_lo, s2
	s_waitcnt lgkmcnt(0)
	v_mul_f32_e32 v6, v2, v6
	ds_write_b32 v1, v6
	v_add_nc_u32_e32 v1, 0x200, v1
	s_andn2_b32 exec_lo, exec_lo, s2
	s_cbranch_execnz .LBB3_34
.LBB3_35:
	s_or_b32 exec_lo, exec_lo, s1
	v_mov_b32_e32 v41, 0
	v_and_b32_e32 v35, 1, v0
	v_mov_b32_e32 v40, 0
	v_mov_b32_e32 v39, 0
	;; [unrolled: 1-line block ×5, first 2 shown]
	s_waitcnt lgkmcnt(0)
	s_barrier
	buffer_gl0_inv
	s_and_saveexec_b32 s1, s0
	s_cbranch_execz .LBB3_53
; %bb.36:
	s_ashr_i32 s15, s14, 31
	s_sub_i32 s2, s28, s17
	s_lshl_b64 s[4:5], s[14:15], 2
	v_lshlrev_b32_e32 v2, 4, v0
	s_add_u32 s0, s26, s4
	s_addc_u32 s5, s27, s5
	s_abs_i32 s3, s18
	v_and_b32_e32 v42, 4, v3
	v_cvt_f32_u32_e32 v1, s3
	s_sub_i32 s4, 0, s3
	v_and_b32_e32 v3, 0x7c, v4
	v_lshlrev_b32_e32 v4, 4, v35
	v_and_b32_e32 v2, 0x1f0, v2
	v_rcp_iflag_f32_e32 v1, v1
	s_lshl_b64 s[14:15], s[24:25], 2
	v_mov_b32_e32 v36, 0
	v_lshl_or_b32 v4, v31, 5, v4
	v_add_co_u32 v43, s0, s0, v2
	v_add_co_ci_u32_e64 v44, null, s5, 0, s0
	v_mov_b32_e32 v37, 0
	v_mov_b32_e32 v38, 0
	v_mul_f32_e32 v1, 0x4f7ffffe, v1
	v_mov_b32_e32 v39, 0
	v_mov_b32_e32 v40, 0
	;; [unrolled: 1-line block ×3, first 2 shown]
	v_add_nc_u32_e32 v45, 0x1a0, v4
	v_cvt_u32_f32_e32 v1, v1
	v_mov_b32_e32 v47, v31
	s_mov_b32 s5, 0
	v_mul_lo_u32 v5, s4, v1
	s_add_i32 s4, s16, -1
	s_add_u32 s14, s22, s14
	s_addc_u32 s15, s23, s15
	v_add_co_u32 v29, s0, s14, v3
	v_add_co_ci_u32_e64 v30, null, s15, 0, s0
	v_mul_hi_u32 v5, v1, v5
	v_add_nc_u32_e32 v46, v1, v5
	s_branch .LBB3_39
.LBB3_37:                               ;   in Loop: Header=BB3_39 Depth=1
	s_or_b32 exec_lo, exec_lo, s0
	s_waitcnt vmcnt(1) lgkmcnt(0)
	v_mul_f32_e32 v21, v1, v21
	v_mul_f32_e32 v17, v1, v17
	;; [unrolled: 1-line block ×5, first 2 shown]
	s_waitcnt vmcnt(0)
	v_mul_f32_e32 v1, v1, v25
	v_fmac_f32_e32 v21, v2, v22
	v_fmac_f32_e32 v17, v2, v18
	;; [unrolled: 1-line block ×18, first 2 shown]
	v_add_f32_e32 v37, v37, v21
	v_add_f32_e32 v38, v38, v17
	;; [unrolled: 1-line block ×6, first 2 shown]
.LBB3_38:                               ;   in Loop: Header=BB3_39 Depth=1
	s_or_b32 exec_lo, exec_lo, s14
	v_add_nc_u32_e32 v47, 4, v47
	v_add_co_u32 v29, s0, v29, 16
	v_add_co_ci_u32_e64 v30, null, 0, v30, s0
	v_cmp_le_i32_e32 vcc_lo, s16, v47
	v_add_nc_u32_e32 v32, 32, v32
	v_add_nc_u32_e32 v45, 0x80, v45
	s_or_b32 s5, vcc_lo, s5
	s_andn2_b32 exec_lo, exec_lo, s5
	s_cbranch_execz .LBB3_52
.LBB3_39:                               ; =>This Inner Loop Header: Depth=1
	v_mul_hi_u32 v1, v32, s21
	v_mul_lo_u32 v2, v1, s12
	v_add_nc_u32_e32 v3, 1, v1
	v_sub_nc_u32_e32 v2, v32, v2
	v_subrev_nc_u32_e32 v4, s12, v2
	v_cmp_le_u32_e32 vcc_lo, s12, v2
	v_cndmask_b32_e32 v1, v1, v3, vcc_lo
	v_cndmask_b32_e32 v2, v2, v4, vcc_lo
	v_add_nc_u32_e32 v3, 1, v1
	v_cmp_le_u32_e32 vcc_lo, s12, v2
	v_cndmask_b32_e32 v1, v1, v3, vcc_lo
	v_xor_b32_e32 v1, s19, v1
	v_subrev_nc_u32_e32 v1, s19, v1
	v_add_nc_u32_e32 v2, s31, v1
	v_cmp_lt_i32_e64 s0, s2, v1
	v_sub_nc_u32_e32 v3, 0, v2
	v_max_i32_e32 v3, v2, v3
	v_ashrrev_i32_e32 v2, 31, v2
	v_mul_hi_u32 v4, v3, v46
	v_mul_lo_u32 v4, v4, s3
	v_sub_nc_u32_e32 v3, v3, v4
	v_subrev_nc_u32_e32 v4, s3, v3
	v_cmp_le_u32_e32 vcc_lo, s3, v3
	v_cndmask_b32_e32 v3, v3, v4, vcc_lo
	v_subrev_nc_u32_e32 v4, s3, v3
	v_cmp_le_u32_e32 vcc_lo, s3, v3
	v_cndmask_b32_e32 v3, v3, v4, vcc_lo
	v_xor_b32_e32 v3, v3, v2
	v_sub_nc_u32_e32 v2, v3, v2
	v_cmp_eq_u32_e32 vcc_lo, 0, v2
	s_or_b32 s0, vcc_lo, s0
	s_and_saveexec_b32 s14, s0
	s_cbranch_execz .LBB3_38
; %bb.40:                               ;   in Loop: Header=BB3_39 Depth=1
	global_load_dword v1, v[29:30], off
	v_add_nc_u32_e32 v48, v42, v32
	v_add_nc_u32_e32 v51, 1, v48
	;; [unrolled: 1-line block ×4, first 2 shown]
	s_waitcnt vmcnt(0)
	v_mad_i64_i32 v[1:2], null, v1, s13, 0
	v_lshlrev_b64 v[1:2], 2, v[1:2]
	v_add_co_u32 v21, vcc_lo, v43, v1
	v_add_co_ci_u32_e64 v22, null, v44, v2, vcc_lo
	ds_read_b128 v[1:4], v45
	v_cmp_eq_u32_e32 vcc_lo, s4, v47
	global_load_dwordx4 v[5:8], v[21:22], off
	s_and_saveexec_b32 s15, vcc_lo
	s_cbranch_execnz .LBB3_49
; %bb.41:                               ;   in Loop: Header=BB3_39 Depth=1
	s_or_b32 exec_lo, exec_lo, s15
	global_load_dwordx4 v[9:12], v[21:22], off offset:512
	s_and_saveexec_b32 s15, vcc_lo
	s_cbranch_execnz .LBB3_50
.LBB3_42:                               ;   in Loop: Header=BB3_39 Depth=1
	s_or_b32 exec_lo, exec_lo, s15
	global_load_dwordx4 v[13:16], v[21:22], off offset:1024
	s_and_saveexec_b32 s15, vcc_lo
	s_cbranch_execnz .LBB3_51
.LBB3_43:                               ;   in Loop: Header=BB3_39 Depth=1
	s_or_b32 exec_lo, exec_lo, s15
	global_load_dwordx4 v[17:20], v[21:22], off offset:1536
	s_and_saveexec_b32 s15, vcc_lo
	s_cbranch_execz .LBB3_45
.LBB3_44:                               ;   in Loop: Header=BB3_39 Depth=1
	v_cmp_gt_i32_e64 s0, s30, v48
	s_waitcnt vmcnt(0)
	v_cndmask_b32_e64 v17, 0, v17, s0
	v_cmp_gt_i32_e64 s0, s30, v51
	v_cndmask_b32_e64 v18, 0, v18, s0
	v_cmp_gt_i32_e64 s0, s30, v50
	;; [unrolled: 2-line block ×3, first 2 shown]
	v_cndmask_b32_e64 v20, 0, v20, s0
.LBB3_45:                               ;   in Loop: Header=BB3_39 Depth=1
	s_or_b32 exec_lo, exec_lo, s15
	v_add_co_u32 v25, s0, 0x800, v21
	v_add_co_ci_u32_e64 v26, null, 0, v22, s0
	global_load_dwordx4 v[21:24], v[25:26], off
	s_and_saveexec_b32 s15, vcc_lo
	s_cbranch_execz .LBB3_47
; %bb.46:                               ;   in Loop: Header=BB3_39 Depth=1
	v_cmp_gt_i32_e64 s0, s30, v48
	s_waitcnt vmcnt(0)
	v_cndmask_b32_e64 v21, 0, v21, s0
	v_cmp_gt_i32_e64 s0, s30, v51
	v_cndmask_b32_e64 v22, 0, v22, s0
	v_cmp_gt_i32_e64 s0, s30, v50
	;; [unrolled: 2-line block ×3, first 2 shown]
	v_cndmask_b32_e64 v24, 0, v24, s0
.LBB3_47:                               ;   in Loop: Header=BB3_39 Depth=1
	s_or_b32 exec_lo, exec_lo, s15
	global_load_dwordx4 v[25:28], v[25:26], off offset:512
	s_and_saveexec_b32 s0, vcc_lo
	s_cbranch_execz .LBB3_37
; %bb.48:                               ;   in Loop: Header=BB3_39 Depth=1
	v_cmp_gt_i32_e32 vcc_lo, s30, v48
	s_waitcnt vmcnt(0)
	v_cndmask_b32_e32 v25, 0, v25, vcc_lo
	v_cmp_gt_i32_e32 vcc_lo, s30, v51
	v_cndmask_b32_e32 v26, 0, v26, vcc_lo
	v_cmp_gt_i32_e32 vcc_lo, s30, v50
	;; [unrolled: 2-line block ×3, first 2 shown]
	v_cndmask_b32_e32 v28, 0, v28, vcc_lo
	s_branch .LBB3_37
.LBB3_49:                               ;   in Loop: Header=BB3_39 Depth=1
	v_cmp_gt_i32_e64 s0, s30, v48
	s_waitcnt vmcnt(0)
	v_cndmask_b32_e64 v5, 0, v5, s0
	v_cmp_gt_i32_e64 s0, s30, v51
	v_cndmask_b32_e64 v6, 0, v6, s0
	v_cmp_gt_i32_e64 s0, s30, v50
	;; [unrolled: 2-line block ×3, first 2 shown]
	v_cndmask_b32_e64 v8, 0, v8, s0
	s_or_b32 exec_lo, exec_lo, s15
	global_load_dwordx4 v[9:12], v[21:22], off offset:512
	s_and_saveexec_b32 s15, vcc_lo
	s_cbranch_execz .LBB3_42
.LBB3_50:                               ;   in Loop: Header=BB3_39 Depth=1
	v_cmp_gt_i32_e64 s0, s30, v48
	s_waitcnt vmcnt(0)
	v_cndmask_b32_e64 v9, 0, v9, s0
	v_cmp_gt_i32_e64 s0, s30, v51
	v_cndmask_b32_e64 v10, 0, v10, s0
	v_cmp_gt_i32_e64 s0, s30, v50
	;; [unrolled: 2-line block ×3, first 2 shown]
	v_cndmask_b32_e64 v12, 0, v12, s0
	s_or_b32 exec_lo, exec_lo, s15
	global_load_dwordx4 v[13:16], v[21:22], off offset:1024
	s_and_saveexec_b32 s15, vcc_lo
	s_cbranch_execz .LBB3_43
.LBB3_51:                               ;   in Loop: Header=BB3_39 Depth=1
	v_cmp_gt_i32_e64 s0, s30, v48
	s_waitcnt vmcnt(0)
	v_cndmask_b32_e64 v13, 0, v13, s0
	v_cmp_gt_i32_e64 s0, s30, v51
	v_cndmask_b32_e64 v14, 0, v14, s0
	v_cmp_gt_i32_e64 s0, s30, v50
	;; [unrolled: 2-line block ×3, first 2 shown]
	v_cndmask_b32_e64 v16, 0, v16, s0
	s_or_b32 exec_lo, exec_lo, s15
	global_load_dwordx4 v[17:20], v[21:22], off offset:1536
	s_and_saveexec_b32 s15, vcc_lo
	s_cbranch_execnz .LBB3_44
	s_branch .LBB3_45
.LBB3_52:
	s_or_b32 exec_lo, exec_lo, s5
.LBB3_53:
	s_or_b32 exec_lo, exec_lo, s1
	ds_bpermute_b32 v1, v34, v41
	ds_bpermute_b32 v2, v34, v40
	;; [unrolled: 1-line block ×6, first 2 shown]
	v_lshrrev_b32_e32 v7, 1, v33
	v_mul_u32_u24_e32 v9, 0x180, v31
	v_and_b32_e32 v10, 0x3c1, v0
	s_mov_b32 s0, exec_lo
	s_waitcnt lgkmcnt(0)
	v_lshl_add_u32 v8, v7, 2, 0x1a0
	s_barrier
	buffer_gl0_inv
	v_add_f32_e32 v1, v41, v1
	v_add_f32_e32 v2, v40, v2
	;; [unrolled: 1-line block ×6, first 2 shown]
	v_cmpx_eq_u32_e32 64, v10
	s_cbranch_execz .LBB3_55
; %bb.54:
	v_add_nc_u32_e32 v10, v8, v9
	v_add_nc_u32_e32 v11, 0xfffffd00, v10
	;; [unrolled: 1-line block ×7, first 2 shown]
	ds_write_b32 v11, v1
	ds_write_b32 v12, v2
	;; [unrolled: 1-line block ×6, first 2 shown]
.LBB3_55:
	s_or_b32 exec_lo, exec_lo, s0
	v_lshlrev_b32_e32 v7, 2, v7
	s_mov_b32 s1, exec_lo
	v_cmp_eq_u32_e32 vcc_lo, 0, v35
	s_waitcnt lgkmcnt(0)
	s_barrier
	v_add3_u32 v7, 0x1a0, v9, v7
	buffer_gl0_inv
	v_cmpx_gt_u32_e32 64, v0
	s_cbranch_execz .LBB3_64
; %bb.56:
	s_and_saveexec_b32 s0, vcc_lo
	s_cbranch_execnz .LBB3_78
; %bb.57:
	s_or_b32 exec_lo, exec_lo, s0
	s_and_saveexec_b32 s0, vcc_lo
	s_cbranch_execnz .LBB3_79
.LBB3_58:
	s_or_b32 exec_lo, exec_lo, s0
	s_and_saveexec_b32 s0, vcc_lo
	s_cbranch_execnz .LBB3_80
.LBB3_59:
	s_or_b32 exec_lo, exec_lo, s0
	s_and_saveexec_b32 s0, vcc_lo
	s_cbranch_execnz .LBB3_81
.LBB3_60:
	s_or_b32 exec_lo, exec_lo, s0
	s_and_saveexec_b32 s0, vcc_lo
	s_cbranch_execnz .LBB3_82
.LBB3_61:
	s_or_b32 exec_lo, exec_lo, s0
	s_and_saveexec_b32 s0, vcc_lo
	s_cbranch_execz .LBB3_63
.LBB3_62:
	ds_read_b32 v9, v7 offset:320
	s_waitcnt lgkmcnt(0)
	v_add_f32_e32 v6, v6, v9
.LBB3_63:
	s_or_b32 exec_lo, exec_lo, s0
.LBB3_64:
	s_or_b32 exec_lo, exec_lo, s1
	v_and_b32_e32 v9, 0x3e1, v0
	s_mov_b32 s1, exec_lo
	s_barrier
	buffer_gl0_inv
	v_cmpx_eq_u32_e32 32, v9
	s_cbranch_execz .LBB3_66
; %bb.65:
	ds_write2_b32 v8, v1, v2 offset1:16
	ds_write2_b32 v8, v3, v4 offset0:32 offset1:48
	ds_write2_b32 v8, v5, v6 offset0:64 offset1:80
.LBB3_66:
	s_or_b32 exec_lo, exec_lo, s1
	s_mov_b32 s1, exec_lo
	s_waitcnt lgkmcnt(0)
	s_barrier
	buffer_gl0_inv
	v_cmpx_gt_u32_e32 32, v0
	s_cbranch_execz .LBB3_75
; %bb.67:
	s_and_saveexec_b32 s0, vcc_lo
	s_cbranch_execnz .LBB3_83
; %bb.68:
	s_or_b32 exec_lo, exec_lo, s0
	s_and_saveexec_b32 s0, vcc_lo
	s_cbranch_execnz .LBB3_84
.LBB3_69:
	s_or_b32 exec_lo, exec_lo, s0
	s_and_saveexec_b32 s0, vcc_lo
	s_cbranch_execnz .LBB3_85
.LBB3_70:
	s_or_b32 exec_lo, exec_lo, s0
	s_and_saveexec_b32 s0, vcc_lo
	s_cbranch_execnz .LBB3_86
.LBB3_71:
	s_or_b32 exec_lo, exec_lo, s0
	s_and_saveexec_b32 s0, vcc_lo
	s_cbranch_execnz .LBB3_87
.LBB3_72:
	s_or_b32 exec_lo, exec_lo, s0
	s_and_saveexec_b32 s0, vcc_lo
	s_cbranch_execz .LBB3_74
.LBB3_73:
	ds_read_b32 v7, v7 offset:320
	s_waitcnt lgkmcnt(0)
	v_add_f32_e32 v6, v6, v7
.LBB3_74:
	s_or_b32 exec_lo, exec_lo, s0
.LBB3_75:
	s_or_b32 exec_lo, exec_lo, s1
	s_barrier
	buffer_gl0_inv
	s_mov_b32 s0, exec_lo
	v_cmpx_eq_u32_e32 0, v9
	s_cbranch_execz .LBB3_77
; %bb.76:
	s_mul_i32 s0, s10, s11
	s_mul_i32 s2, s11, s20
	;; [unrolled: 1-line block ×3, first 2 shown]
	v_lshlrev_b32_e32 v0, 1, v0
	s_mulk_i32 s0, 0x60
	s_ashr_i32 s1, s0, 31
	s_lshl_b64 s[0:1], s[0:1], 2
	s_add_u32 s4, s6, s0
	s_addc_u32 s5, s7, s1
	s_ashr_i32 s3, s2, 31
	s_lshl_b64 s[0:1], s[2:3], 2
	s_mul_i32 s2, s8, 0x60
	s_add_u32 s4, s4, s0
	s_addc_u32 s5, s5, s1
	s_ashr_i32 s3, s2, 31
	s_lshl_b64 s[0:1], s[2:3], 2
	s_add_u32 s0, s4, s0
	s_addc_u32 s1, s5, s1
	global_store_dword v0, v1, s[0:1]
	global_store_dword v0, v2, s[0:1] offset:64
	global_store_dword v0, v3, s[0:1] offset:128
	;; [unrolled: 1-line block ×5, first 2 shown]
.LBB3_77:
	s_endpgm
.LBB3_78:
	ds_read_b32 v9, v7
	s_waitcnt lgkmcnt(0)
	v_add_f32_e32 v1, v1, v9
	s_or_b32 exec_lo, exec_lo, s0
	s_and_saveexec_b32 s0, vcc_lo
	s_cbranch_execz .LBB3_58
.LBB3_79:
	ds_read_b32 v9, v7 offset:64
	s_waitcnt lgkmcnt(0)
	v_add_f32_e32 v2, v2, v9
	s_or_b32 exec_lo, exec_lo, s0
	s_and_saveexec_b32 s0, vcc_lo
	s_cbranch_execz .LBB3_59
.LBB3_80:
	ds_read_b32 v9, v7 offset:128
	s_waitcnt lgkmcnt(0)
	v_add_f32_e32 v3, v3, v9
	s_or_b32 exec_lo, exec_lo, s0
	s_and_saveexec_b32 s0, vcc_lo
	s_cbranch_execz .LBB3_60
.LBB3_81:
	ds_read_b32 v9, v7 offset:192
	s_waitcnt lgkmcnt(0)
	v_add_f32_e32 v4, v4, v9
	s_or_b32 exec_lo, exec_lo, s0
	s_and_saveexec_b32 s0, vcc_lo
	s_cbranch_execz .LBB3_61
.LBB3_82:
	ds_read_b32 v9, v7 offset:256
	s_waitcnt lgkmcnt(0)
	v_add_f32_e32 v5, v5, v9
	s_or_b32 exec_lo, exec_lo, s0
	s_and_saveexec_b32 s0, vcc_lo
	s_cbranch_execnz .LBB3_62
	s_branch .LBB3_63
.LBB3_83:
	ds_read_b32 v8, v7
	s_waitcnt lgkmcnt(0)
	v_add_f32_e32 v1, v1, v8
	s_or_b32 exec_lo, exec_lo, s0
	s_and_saveexec_b32 s0, vcc_lo
	s_cbranch_execz .LBB3_69
.LBB3_84:
	ds_read_b32 v8, v7 offset:64
	s_waitcnt lgkmcnt(0)
	v_add_f32_e32 v2, v2, v8
	s_or_b32 exec_lo, exec_lo, s0
	s_and_saveexec_b32 s0, vcc_lo
	s_cbranch_execz .LBB3_70
.LBB3_85:
	ds_read_b32 v8, v7 offset:128
	s_waitcnt lgkmcnt(0)
	v_add_f32_e32 v3, v3, v8
	s_or_b32 exec_lo, exec_lo, s0
	s_and_saveexec_b32 s0, vcc_lo
	s_cbranch_execz .LBB3_71
.LBB3_86:
	ds_read_b32 v8, v7 offset:192
	s_waitcnt lgkmcnt(0)
	v_add_f32_e32 v4, v4, v8
	s_or_b32 exec_lo, exec_lo, s0
	s_and_saveexec_b32 s0, vcc_lo
	s_cbranch_execz .LBB3_72
.LBB3_87:
	ds_read_b32 v8, v7 offset:256
	s_waitcnt lgkmcnt(0)
	v_add_f32_e32 v5, v5, v8
	s_or_b32 exec_lo, exec_lo, s0
	s_and_saveexec_b32 s0, vcc_lo
	s_cbranch_execnz .LBB3_73
	s_branch .LBB3_74
	.section	.rodata,"a",@progbits
	.p2align	6, 0x0
	.amdhsa_kernel _ZN4vllm25paged_attention_v1_kernelIffLi96ELi8ELi128ELNS_18Fp8KVCacheDataTypeE0ELb1EEEvPT_PKS2_PKT0_S8_ifPKiSA_iPKfiiiSC_SC_iiiii
		.amdhsa_group_segment_fixed_size 416
		.amdhsa_private_segment_fixed_size 0
		.amdhsa_kernarg_size 384
		.amdhsa_user_sgpr_count 6
		.amdhsa_user_sgpr_private_segment_buffer 1
		.amdhsa_user_sgpr_dispatch_ptr 0
		.amdhsa_user_sgpr_queue_ptr 0
		.amdhsa_user_sgpr_kernarg_segment_ptr 1
		.amdhsa_user_sgpr_dispatch_id 0
		.amdhsa_user_sgpr_flat_scratch_init 0
		.amdhsa_user_sgpr_private_segment_size 0
		.amdhsa_wavefront_size32 1
		.amdhsa_uses_dynamic_stack 0
		.amdhsa_system_sgpr_private_segment_wavefront_offset 0
		.amdhsa_system_sgpr_workgroup_id_x 1
		.amdhsa_system_sgpr_workgroup_id_y 1
		.amdhsa_system_sgpr_workgroup_id_z 1
		.amdhsa_system_sgpr_workgroup_info 0
		.amdhsa_system_vgpr_workitem_id 0
		.amdhsa_next_free_vgpr 53
		.amdhsa_next_free_sgpr 38
		.amdhsa_reserve_vcc 1
		.amdhsa_reserve_flat_scratch 0
		.amdhsa_float_round_mode_32 0
		.amdhsa_float_round_mode_16_64 0
		.amdhsa_float_denorm_mode_32 3
		.amdhsa_float_denorm_mode_16_64 3
		.amdhsa_dx10_clamp 1
		.amdhsa_ieee_mode 1
		.amdhsa_fp16_overflow 0
		.amdhsa_workgroup_processor_mode 1
		.amdhsa_memory_ordered 1
		.amdhsa_forward_progress 1
		.amdhsa_shared_vgpr_count 0
		.amdhsa_exception_fp_ieee_invalid_op 0
		.amdhsa_exception_fp_denorm_src 0
		.amdhsa_exception_fp_ieee_div_zero 0
		.amdhsa_exception_fp_ieee_overflow 0
		.amdhsa_exception_fp_ieee_underflow 0
		.amdhsa_exception_fp_ieee_inexact 0
		.amdhsa_exception_int_div_zero 0
	.end_amdhsa_kernel
	.section	.text._ZN4vllm25paged_attention_v1_kernelIffLi96ELi8ELi128ELNS_18Fp8KVCacheDataTypeE0ELb1EEEvPT_PKS2_PKT0_S8_ifPKiSA_iPKfiiiSC_SC_iiiii,"axG",@progbits,_ZN4vllm25paged_attention_v1_kernelIffLi96ELi8ELi128ELNS_18Fp8KVCacheDataTypeE0ELb1EEEvPT_PKS2_PKT0_S8_ifPKiSA_iPKfiiiSC_SC_iiiii,comdat
.Lfunc_end3:
	.size	_ZN4vllm25paged_attention_v1_kernelIffLi96ELi8ELi128ELNS_18Fp8KVCacheDataTypeE0ELb1EEEvPT_PKS2_PKT0_S8_ifPKiSA_iPKfiiiSC_SC_iiiii, .Lfunc_end3-_ZN4vllm25paged_attention_v1_kernelIffLi96ELi8ELi128ELNS_18Fp8KVCacheDataTypeE0ELb1EEEvPT_PKS2_PKT0_S8_ifPKiSA_iPKfiiiSC_SC_iiiii
                                        ; -- End function
	.set _ZN4vllm25paged_attention_v1_kernelIffLi96ELi8ELi128ELNS_18Fp8KVCacheDataTypeE0ELb1EEEvPT_PKS2_PKT0_S8_ifPKiSA_iPKfiiiSC_SC_iiiii.num_vgpr, 53
	.set _ZN4vllm25paged_attention_v1_kernelIffLi96ELi8ELi128ELNS_18Fp8KVCacheDataTypeE0ELb1EEEvPT_PKS2_PKT0_S8_ifPKiSA_iPKfiiiSC_SC_iiiii.num_agpr, 0
	.set _ZN4vllm25paged_attention_v1_kernelIffLi96ELi8ELi128ELNS_18Fp8KVCacheDataTypeE0ELb1EEEvPT_PKS2_PKT0_S8_ifPKiSA_iPKfiiiSC_SC_iiiii.numbered_sgpr, 38
	.set _ZN4vllm25paged_attention_v1_kernelIffLi96ELi8ELi128ELNS_18Fp8KVCacheDataTypeE0ELb1EEEvPT_PKS2_PKT0_S8_ifPKiSA_iPKfiiiSC_SC_iiiii.num_named_barrier, 0
	.set _ZN4vllm25paged_attention_v1_kernelIffLi96ELi8ELi128ELNS_18Fp8KVCacheDataTypeE0ELb1EEEvPT_PKS2_PKT0_S8_ifPKiSA_iPKfiiiSC_SC_iiiii.private_seg_size, 0
	.set _ZN4vllm25paged_attention_v1_kernelIffLi96ELi8ELi128ELNS_18Fp8KVCacheDataTypeE0ELb1EEEvPT_PKS2_PKT0_S8_ifPKiSA_iPKfiiiSC_SC_iiiii.uses_vcc, 1
	.set _ZN4vllm25paged_attention_v1_kernelIffLi96ELi8ELi128ELNS_18Fp8KVCacheDataTypeE0ELb1EEEvPT_PKS2_PKT0_S8_ifPKiSA_iPKfiiiSC_SC_iiiii.uses_flat_scratch, 0
	.set _ZN4vllm25paged_attention_v1_kernelIffLi96ELi8ELi128ELNS_18Fp8KVCacheDataTypeE0ELb1EEEvPT_PKS2_PKT0_S8_ifPKiSA_iPKfiiiSC_SC_iiiii.has_dyn_sized_stack, 0
	.set _ZN4vllm25paged_attention_v1_kernelIffLi96ELi8ELi128ELNS_18Fp8KVCacheDataTypeE0ELb1EEEvPT_PKS2_PKT0_S8_ifPKiSA_iPKfiiiSC_SC_iiiii.has_recursion, 0
	.set _ZN4vllm25paged_attention_v1_kernelIffLi96ELi8ELi128ELNS_18Fp8KVCacheDataTypeE0ELb1EEEvPT_PKS2_PKT0_S8_ifPKiSA_iPKfiiiSC_SC_iiiii.has_indirect_call, 0
	.section	.AMDGPU.csdata,"",@progbits
; Kernel info:
; codeLenInByte = 5028
; TotalNumSgprs: 40
; NumVgprs: 53
; ScratchSize: 0
; MemoryBound: 0
; FloatMode: 240
; IeeeMode: 1
; LDSByteSize: 416 bytes/workgroup (compile time only)
; SGPRBlocks: 0
; VGPRBlocks: 6
; NumSGPRsForWavesPerEU: 40
; NumVGPRsForWavesPerEU: 53
; Occupancy: 16
; WaveLimiterHint : 1
; COMPUTE_PGM_RSRC2:SCRATCH_EN: 0
; COMPUTE_PGM_RSRC2:USER_SGPR: 6
; COMPUTE_PGM_RSRC2:TRAP_HANDLER: 0
; COMPUTE_PGM_RSRC2:TGID_X_EN: 1
; COMPUTE_PGM_RSRC2:TGID_Y_EN: 1
; COMPUTE_PGM_RSRC2:TGID_Z_EN: 1
; COMPUTE_PGM_RSRC2:TIDIG_COMP_CNT: 0
	.section	.text._ZN4vllm25paged_attention_v1_kernelIffLi112ELi8ELi128ELNS_18Fp8KVCacheDataTypeE0ELb1EEEvPT_PKS2_PKT0_S8_ifPKiSA_iPKfiiiSC_SC_iiiii,"axG",@progbits,_ZN4vllm25paged_attention_v1_kernelIffLi112ELi8ELi128ELNS_18Fp8KVCacheDataTypeE0ELb1EEEvPT_PKS2_PKT0_S8_ifPKiSA_iPKfiiiSC_SC_iiiii,comdat
	.protected	_ZN4vllm25paged_attention_v1_kernelIffLi112ELi8ELi128ELNS_18Fp8KVCacheDataTypeE0ELb1EEEvPT_PKS2_PKT0_S8_ifPKiSA_iPKfiiiSC_SC_iiiii ; -- Begin function _ZN4vllm25paged_attention_v1_kernelIffLi112ELi8ELi128ELNS_18Fp8KVCacheDataTypeE0ELb1EEEvPT_PKS2_PKT0_S8_ifPKiSA_iPKfiiiSC_SC_iiiii
	.globl	_ZN4vllm25paged_attention_v1_kernelIffLi112ELi8ELi128ELNS_18Fp8KVCacheDataTypeE0ELb1EEEvPT_PKS2_PKT0_S8_ifPKiSA_iPKfiiiSC_SC_iiiii
	.p2align	8
	.type	_ZN4vllm25paged_attention_v1_kernelIffLi112ELi8ELi128ELNS_18Fp8KVCacheDataTypeE0ELb1EEEvPT_PKS2_PKT0_S8_ifPKiSA_iPKfiiiSC_SC_iiiii,@function
_ZN4vllm25paged_attention_v1_kernelIffLi112ELi8ELi128ELNS_18Fp8KVCacheDataTypeE0ELb1EEEvPT_PKS2_PKT0_S8_ifPKiSA_iPKfiiiSC_SC_iiiii: ; @_ZN4vllm25paged_attention_v1_kernelIffLi112ELi8ELi128ELNS_18Fp8KVCacheDataTypeE0ELb1EEEvPT_PKS2_PKT0_S8_ifPKiSA_iPKfiiiSC_SC_iiiii
; %bb.0:
	s_clause 0x2
	s_load_dword s9, s[4:5], 0x80
	s_load_dwordx2 s[0:1], s[4:5], 0x30
	s_load_dwordx2 s[28:29], s[4:5], 0x20
	s_mov_b32 s10, s7
	s_ashr_i32 s11, s7, 31
	s_mov_b32 s33, 0
	s_lshl_b64 s[2:3], s[10:11], 2
	s_waitcnt lgkmcnt(0)
	s_add_u32 s0, s0, s2
	s_addc_u32 s1, s1, s3
	s_abs_i32 s2, s28
	s_abs_i32 s11, s9
	v_cvt_f32_u32_e32 v1, s2
	s_sub_i32 s7, 0, s2
	v_rcp_iflag_f32_e32 v1, v1
	v_mul_f32_e32 v1, 0x4f7ffffe, v1
	v_cvt_u32_f32_e32 v1, v1
	v_readfirstlane_b32 s3, v1
	s_mul_i32 s7, s7, s3
	s_mul_hi_u32 s7, s3, s7
	s_add_i32 s3, s3, s7
	s_xor_b32 s7, s9, s28
	s_mul_hi_u32 s3, s11, s3
	s_ashr_i32 s7, s7, 31
	s_mul_i32 s12, s3, s2
	s_sub_i32 s11, s11, s12
	s_add_i32 s12, s3, 1
	s_sub_i32 s13, s11, s2
	s_cmp_ge_u32 s11, s2
	s_cselect_b32 s3, s12, s3
	s_cselect_b32 s11, s13, s11
	s_add_i32 s12, s3, 1
	s_cmp_ge_u32 s11, s2
	s_cselect_b32 s2, s12, s3
	s_abs_i32 s22, s6
	s_xor_b32 s2, s2, s7
	s_sub_i32 s16, s2, s7
	s_load_dwordx2 s[2:3], s[4:5], 0x40
	s_abs_i32 s11, s16
	v_cvt_f32_u32_e32 v1, s11
	s_sub_i32 s12, 0, s11
	v_rcp_iflag_f32_e32 v1, v1
	v_mul_f32_e32 v1, 0x4f7ffffe, v1
	v_cvt_u32_f32_e32 v1, v1
	v_readfirstlane_b32 s7, v1
	s_mul_i32 s12, s12, s7
	s_mul_hi_u32 s12, s7, s12
	s_add_i32 s7, s7, s12
	s_waitcnt lgkmcnt(0)
	s_cmp_eq_u64 s[2:3], 0
	s_mul_hi_u32 s23, s22, s7
	s_cbranch_scc1 .LBB4_2
; %bb.1:
	s_ashr_i32 s7, s6, 31
	s_lshl_b64 s[12:13], s[6:7], 2
	s_add_u32 s2, s2, s12
	s_addc_u32 s3, s3, s13
	s_load_dword s33, s[2:3], 0x0
.LBB4_2:
	s_load_dword s30, s[0:1], 0x0
	s_load_dwordx4 s[12:15], s[4:5], 0x48
	v_and_b32_e32 v1, 3, v0
	v_lshlrev_b32_e32 v3, 2, v0
	s_ashr_i32 s0, s6, 31
	s_ashr_i32 s1, s16, 31
	s_mul_i32 s20, s6, 0x70
	s_mov_b32 s2, exec_lo
	v_cmpx_gt_u32_e32 0x70, v0
	s_cbranch_execz .LBB4_4
; %bb.3:
	s_load_dwordx2 s[16:17], s[4:5], 0x8
	s_waitcnt lgkmcnt(0)
	s_mul_i32 s18, s12, s10
	v_and_b32_e32 v4, 0x3fc, v0
	s_ashr_i32 s19, s18, 31
	s_lshl_b64 s[18:19], s[18:19], 2
	v_mad_u32_u24 v4, 0x70, v1, v4
	s_add_u32 s3, s16, s18
	s_addc_u32 s7, s17, s19
	s_ashr_i32 s21, s20, 31
	s_lshl_b64 s[16:17], s[20:21], 2
	s_add_u32 s16, s3, s16
	s_addc_u32 s17, s7, s17
	global_load_dword v2, v3, s[16:17]
	s_waitcnt vmcnt(0)
	ds_write_b32 v4, v2
.LBB4_4:
	s_or_b32 exec_lo, exec_lo, s2
	s_load_dwordx4 s[16:19], s[4:5], 0x68
	s_mul_i32 s2, s23, s11
	s_xor_b32 s1, s0, s1
	s_sub_i32 s0, s22, s2
	s_add_i32 s2, s23, 1
	s_sub_i32 s3, s0, s11
	s_cmp_ge_u32 s0, s11
	s_waitcnt lgkmcnt(0)
	s_cselect_b32 s2, s2, s23
	s_cselect_b32 s0, s3, s0
	s_add_i32 s3, s2, 1
	s_cmp_ge_u32 s0, s11
	s_load_dword s0, s[4:5], 0x78
	s_cselect_b32 s2, s3, s2
	s_add_i32 s7, s30, -1
	s_xor_b32 s2, s2, s1
	s_abs_i32 s3, s7
	s_sub_i32 s1, s2, s1
	s_mov_b32 s11, -1
	s_barrier
	s_abs_i32 s12, s19
	s_waitcnt lgkmcnt(0)
	buffer_gl0_inv
	v_cvt_f32_u32_e32 v2, s12
	s_sub_i32 s2, 0, s12
                                        ; implicit-def: $sgpr31
	v_rcp_iflag_f32_e32 v2, v2
	v_mul_f32_e32 v2, 0x4f7ffffe, v2
	v_cvt_u32_f32_e32 v2, v2
	v_readfirstlane_b32 s21, v2
	s_mul_i32 s2, s2, s21
	s_mul_hi_u32 s2, s21, s2
	s_add_i32 s21, s21, s2
	s_cmp_lt_i32 s0, 0
	s_mul_hi_u32 s2, s3, s21
	s_cbranch_scc0 .LBB4_6
; %bb.5:
	s_mul_i32 s11, s16, s28
	s_add_i32 s11, s1, s11
	s_mul_i32 s11, s11, s0
	s_sub_i32 s31, 1, s11
	s_mov_b32 s11, 0
.LBB4_6:
	s_load_dwordx2 s[22:23], s[4:5], 0x28
	s_ashr_i32 s7, s7, 31
	s_andn2_b32 vcc_lo, exec_lo, s11
	s_ashr_i32 s19, s19, 31
	s_cbranch_vccnz .LBB4_8
; %bb.7:
	s_mul_i32 s11, s9, s16
	s_add_i32 s6, s11, s6
	s_mul_i32 s0, s6, s0
	s_add_i32 s31, s0, 1
.LBB4_8:
	s_load_dword s0, s[4:5], 0x38
	s_mul_i32 s6, s2, s12
	s_xor_b32 s15, s7, s19
	s_sub_i32 s3, s3, s6
	s_add_i32 s16, s2, 1
	s_clause 0x2
	s_load_dwordx2 s[6:7], s[4:5], 0x0
	s_load_dwordx2 s[26:27], s[4:5], 0x18
	s_load_dword s11, s[4:5], 0x88
	v_lshrrev_b32_e32 v35, 5, v0
	v_mov_b32_e32 v6, 0xff7fffff
	v_lshrrev_b32_e32 v4, 3, v0
	v_mbcnt_lo_u32_b32 v5, -1, 0
	s_mul_i32 s14, s1, s14
	v_lshlrev_b32_e32 v36, 3, v35
	s_waitcnt lgkmcnt(0)
	s_mul_i32 s24, s0, s10
	s_sub_i32 s0, s3, s12
	s_ashr_i32 s25, s24, 31
	s_cmp_ge_u32 s3, s12
	s_cselect_b32 s2, s16, s2
	s_cselect_b32 s0, s0, s3
	s_add_i32 s3, s2, 1
	s_cmp_ge_u32 s0, s12
	s_cselect_b32 s0, s3, s2
	s_add_i32 s2, s30, 7
	s_ashr_i32 s3, s2, 31
	s_lshr_b32 s3, s3, 29
	s_add_i32 s2, s2, s3
	s_ashr_i32 s16, s2, 3
	s_xor_b32 s2, s0, s15
	v_cmp_gt_i32_e64 s0, s16, v35
	s_sub_i32 s28, s2, s15
	s_and_saveexec_b32 s34, s0
	s_cbranch_execz .LBB4_20
; %bb.9:
	s_load_dwordx2 s[2:3], s[4:5], 0x10
	s_ashr_i32 s15, s14, 31
	s_sub_i32 s4, s28, s17
	s_lshl_b64 s[36:37], s[14:15], 2
	v_bfe_u32 v7, v0, 2, 3
	v_cmp_eq_u32_e32 vcc_lo, 0, v1
	v_lshlrev_b32_e32 v15, 2, v1
	v_mul_u32_u24_e32 v8, 0x70, v1
	v_and_b32_e32 v1, 0x7c, v4
	v_lshlrev_b32_e32 v13, 2, v7
	v_subrev_nc_u32_e32 v14, s30, v7
	v_cmp_neq_f32_e64 s1, s33, 0
	v_lshlrev_b32_e32 v9, 3, v35
	v_mov_b32_e32 v10, 0xff7fffff
	v_lshl_or_b32 v16, v35, 5, v13
	v_add_nc_u32_e32 v13, 1, v14
	v_xor_b32_e32 v11, 2, v5
	v_xor_b32_e32 v12, 1, v5
	v_mov_b32_e32 v6, 0xff7fffff
	v_add_nc_u32_e32 v14, 0x1e0, v16
	s_waitcnt lgkmcnt(0)
	s_add_u32 s15, s2, s36
	s_addc_u32 s35, s3, s37
	s_abs_i32 s5, s18
	v_cvt_f32_u32_e32 v2, s5
	s_sub_i32 s2, 0, s5
	v_rcp_iflag_f32_e32 v2, v2
	v_mul_f32_e32 v2, 0x4f7ffffe, v2
	v_cvt_u32_f32_e32 v17, v2
	v_lshlrev_b32_e32 v2, 4, v7
	v_mul_lo_u32 v16, s2, v17
	s_lshl_b64 s[2:3], s[24:25], 2
	v_add_co_u32 v18, s15, s15, v2
	s_add_u32 s2, s22, s2
	v_add_co_ci_u32_e64 v19, null, s35, 0, s15
	s_addc_u32 s3, s23, s3
	v_mul_hi_u32 v20, v17, v16
	v_add_co_u32 v1, s2, s2, v1
	v_add_co_ci_u32_e64 v2, null, s3, 0, s2
	v_add_co_u32 v15, s2, v18, v15
	v_add_co_ci_u32_e64 v16, null, 0, v19, s2
	v_add_nc_u32_e32 v17, v17, v20
	v_mov_b32_e32 v18, v35
	s_mov_b32 s15, 0
	s_mov_b32 s35, s13
	s_branch .LBB4_12
.LBB4_10:                               ;   in Loop: Header=BB4_12 Depth=1
	s_or_b32 exec_lo, exec_lo, s36
.LBB4_11:                               ;   in Loop: Header=BB4_12 Depth=1
	s_or_b32 exec_lo, exec_lo, s3
	v_add_nc_u32_e32 v18, 4, v18
	v_add_co_u32 v1, s3, v1, 16
	v_add_co_ci_u32_e64 v2, null, 0, v2, s3
	v_cmp_le_i32_e64 s2, s16, v18
	v_add_nc_u32_e32 v9, 32, v9
	v_add_nc_u32_e32 v14, 0x80, v14
	s_or_b32 s15, s2, s15
	s_andn2_b32 exec_lo, exec_lo, s15
	s_cbranch_execz .LBB4_19
.LBB4_12:                               ; =>This Inner Loop Header: Depth=1
	v_mul_hi_u32 v19, v9, s21
	s_waitcnt lgkmcnt(0)
	v_mul_lo_u32 v20, v19, s12
	v_add_nc_u32_e32 v21, 1, v19
	v_sub_nc_u32_e32 v20, v9, v20
	v_subrev_nc_u32_e32 v22, s12, v20
	v_cmp_le_u32_e64 s2, s12, v20
	v_cndmask_b32_e64 v19, v19, v21, s2
	v_cndmask_b32_e64 v20, v20, v22, s2
	v_add_nc_u32_e32 v21, 1, v19
	v_cmp_le_u32_e64 s2, s12, v20
	v_cndmask_b32_e64 v19, v19, v21, s2
	v_xor_b32_e32 v19, s19, v19
	v_subrev_nc_u32_e32 v19, s19, v19
	v_add_nc_u32_e32 v20, s31, v19
	v_cmp_ge_i32_e64 s3, s4, v19
	v_sub_nc_u32_e32 v21, 0, v20
	v_max_i32_e32 v21, v20, v21
	v_ashrrev_i32_e32 v20, 31, v20
	v_mul_hi_u32 v22, v21, v17
	v_mul_lo_u32 v22, v22, s5
	v_sub_nc_u32_e32 v21, v21, v22
	v_subrev_nc_u32_e32 v22, s5, v21
	v_cmp_le_u32_e64 s2, s5, v21
	v_cndmask_b32_e64 v21, v21, v22, s2
	v_subrev_nc_u32_e32 v22, s5, v21
	v_cmp_le_u32_e64 s2, s5, v21
	v_cndmask_b32_e64 v21, v21, v22, s2
	v_xor_b32_e32 v21, v21, v20
	v_sub_nc_u32_e32 v20, v21, v20
	v_cmp_ne_u32_e64 s2, 0, v20
	s_and_b32 s2, s2, s3
	s_and_saveexec_b32 s3, s2
	s_xor_b32 s2, exec_lo, s3
	s_cbranch_execz .LBB4_16
; %bb.13:                               ;   in Loop: Header=BB4_12 Depth=1
	s_and_saveexec_b32 s3, vcc_lo
; %bb.14:                               ;   in Loop: Header=BB4_12 Depth=1
	ds_write_b32 v14, v10
; %bb.15:                               ;   in Loop: Header=BB4_12 Depth=1
	s_or_b32 exec_lo, exec_lo, s3
.LBB4_16:                               ;   in Loop: Header=BB4_12 Depth=1
	s_andn2_saveexec_b32 s3, s2
	s_cbranch_execz .LBB4_11
; %bb.17:                               ;   in Loop: Header=BB4_12 Depth=1
	global_load_dword v19, v[1:2], off
	s_waitcnt vmcnt(0)
	v_mad_i64_i32 v[19:20], null, v19, s35, 0
	v_lshlrev_b64 v[19:20], 2, v[19:20]
	v_add_co_u32 v19, s2, v15, v19
	v_add_co_ci_u32_e64 v20, null, v16, v20, s2
	s_clause 0xf
	global_load_dword v27, v[19:20], off offset:128
	global_load_dword v28, v[19:20], off
	global_load_dword v29, v[19:20], off offset:256
	global_load_dword v30, v[19:20], off offset:384
	;; [unrolled: 1-line block ×14, first 2 shown]
	v_add_co_u32 v19, s2, 0x800, v19
	v_add_co_ci_u32_e64 v20, null, 0, v20, s2
	v_cmp_gt_i32_e64 s2, 32, v11
	s_clause 0xb
	global_load_dword v45, v[19:20], off
	global_load_dword v46, v[19:20], off offset:128
	global_load_dword v47, v[19:20], off offset:256
	global_load_dword v48, v[19:20], off offset:384
	global_load_dword v49, v[19:20], off offset:512
	global_load_dword v50, v[19:20], off offset:640
	global_load_dword v51, v[19:20], off offset:768
	global_load_dword v52, v[19:20], off offset:896
	global_load_dword v53, v[19:20], off offset:1024
	global_load_dword v54, v[19:20], off offset:1152
	global_load_dword v55, v[19:20], off offset:1280
	global_load_dword v56, v[19:20], off offset:1408
	ds_read_b128 v[19:22], v8
	ds_read_b128 v[23:26], v8 offset:16
	s_waitcnt vmcnt(27) lgkmcnt(1)
	v_mul_f32_e32 v27, v20, v27
	s_waitcnt vmcnt(26)
	v_fmac_f32_e32 v27, v19, v28
	s_waitcnt vmcnt(25)
	v_fmac_f32_e32 v27, v21, v29
	s_waitcnt vmcnt(24)
	v_fmac_f32_e32 v27, v22, v30
	ds_read_b128 v[19:22], v8 offset:32
	s_waitcnt vmcnt(23) lgkmcnt(1)
	v_fmac_f32_e32 v27, v23, v31
	s_waitcnt vmcnt(22)
	v_fmac_f32_e32 v27, v24, v32
	s_waitcnt vmcnt(21)
	v_fmac_f32_e32 v27, v25, v33
	s_waitcnt vmcnt(20)
	v_fmac_f32_e32 v27, v26, v34
	ds_read_b128 v[23:26], v8 offset:48
	s_waitcnt vmcnt(19) lgkmcnt(1)
	v_fmac_f32_e32 v27, v19, v37
	s_waitcnt vmcnt(18)
	v_fmac_f32_e32 v27, v20, v38
	s_waitcnt vmcnt(17)
	v_fmac_f32_e32 v27, v21, v39
	s_waitcnt vmcnt(16)
	v_fmac_f32_e32 v27, v22, v40
	ds_read_b128 v[19:22], v8 offset:64
	s_waitcnt vmcnt(15) lgkmcnt(1)
	v_fmac_f32_e32 v27, v23, v41
	s_waitcnt vmcnt(14)
	v_fmac_f32_e32 v27, v24, v42
	s_waitcnt vmcnt(13)
	v_fmac_f32_e32 v27, v25, v43
	s_waitcnt vmcnt(12)
	v_fmac_f32_e32 v27, v26, v44
	ds_read_b128 v[23:26], v8 offset:80
	s_waitcnt vmcnt(11) lgkmcnt(1)
	v_fmac_f32_e32 v27, v19, v45
	s_waitcnt vmcnt(10)
	v_fmac_f32_e32 v27, v20, v46
	s_waitcnt vmcnt(9)
	v_fmac_f32_e32 v27, v21, v47
	s_waitcnt vmcnt(8)
	v_fmac_f32_e32 v27, v22, v48
	ds_read_b128 v[19:22], v8 offset:96
	s_waitcnt vmcnt(7) lgkmcnt(1)
	v_fmac_f32_e32 v27, v23, v49
	s_waitcnt vmcnt(6)
	v_fmac_f32_e32 v27, v24, v50
	s_waitcnt vmcnt(5)
	v_fmac_f32_e32 v27, v25, v51
	s_waitcnt vmcnt(4)
	v_fmac_f32_e32 v27, v26, v52
	s_waitcnt vmcnt(3) lgkmcnt(0)
	v_fmac_f32_e32 v27, v19, v53
	v_cndmask_b32_e64 v19, v5, v11, s2
	v_cmp_gt_i32_e64 s2, 32, v12
	s_waitcnt vmcnt(2)
	v_fmac_f32_e32 v27, v20, v54
	v_lshlrev_b32_e32 v19, 2, v19
	v_cndmask_b32_e64 v20, v5, v12, s2
	s_waitcnt vmcnt(1)
	v_fmac_f32_e32 v27, v21, v55
	v_lshlrev_b32_e32 v20, 2, v20
	s_waitcnt vmcnt(0)
	v_fmac_f32_e32 v27, v22, v56
	ds_bpermute_b32 v19, v19, v27
	s_waitcnt lgkmcnt(0)
	v_add_f32_e32 v19, v27, v19
	ds_bpermute_b32 v20, v20, v19
	s_and_saveexec_b32 s36, vcc_lo
	s_cbranch_execz .LBB4_10
; %bb.18:                               ;   in Loop: Header=BB4_12 Depth=1
	v_add_nc_u32_e32 v21, v13, v9
	s_waitcnt lgkmcnt(0)
	v_add_f32_e32 v19, v19, v20
	v_cvt_f32_i32_e32 v21, v21
	v_mul_f32_e32 v21, s33, v21
	v_cndmask_b32_e64 v20, 0, v21, s1
	v_max_f32_e32 v21, v6, v6
	v_fmac_f32_e32 v20, s29, v19
	v_add_nc_u32_e32 v19, v7, v9
	v_max_f32_e32 v21, v21, v20
	v_cmp_gt_i32_e64 s2, s30, v19
	v_cndmask_b32_e64 v19, 0, v20, s2
	v_cndmask_b32_e64 v6, v6, v21, s2
	ds_write_b32 v14, v19
	s_branch .LBB4_10
.LBB4_19:
	s_or_b32 exec_lo, exec_lo, s15
.LBB4_20:
	s_or_b32 exec_lo, exec_lo, s34
	v_xor_b32_e32 v1, 16, v5
	v_xor_b32_e32 v7, 8, v5
	v_max_f32_e32 v8, v6, v6
	v_and_b32_e32 v37, 31, v0
	v_cmp_gt_i32_e32 vcc_lo, 32, v1
	v_cndmask_b32_e32 v1, v5, v1, vcc_lo
	v_cmp_gt_i32_e32 vcc_lo, 32, v7
	v_lshlrev_b32_e32 v2, 2, v1
	ds_bpermute_b32 v1, v2, v6
	v_cndmask_b32_e32 v6, v5, v7, vcc_lo
	v_lshlrev_b32_e32 v6, 2, v6
	s_waitcnt lgkmcnt(0)
	v_max_f32_e32 v1, v1, v1
	v_max_f32_e32 v1, v8, v1
	v_xor_b32_e32 v8, 4, v5
	ds_bpermute_b32 v7, v6, v1
	v_cmp_gt_i32_e32 vcc_lo, 32, v8
	v_cndmask_b32_e32 v8, v5, v8, vcc_lo
	v_cmp_eq_u32_e32 vcc_lo, 0, v37
	v_lshlrev_b32_e32 v9, 2, v8
	s_waitcnt lgkmcnt(0)
	v_max_f32_e32 v7, v7, v7
	v_max_f32_e32 v1, v1, v7
	v_lshlrev_b32_e32 v7, 2, v35
	ds_bpermute_b32 v8, v9, v1
	s_and_saveexec_b32 s1, vcc_lo
	s_cbranch_execz .LBB4_22
; %bb.21:
	s_waitcnt lgkmcnt(0)
	v_max_f32_e32 v8, v8, v8
	v_max_f32_e32 v1, v1, v1
	;; [unrolled: 1-line block ×3, first 2 shown]
	ds_write_b32 v7, v1 offset:448
.LBB4_22:
	s_or_b32 exec_lo, exec_lo, s1
	v_cmp_gt_u32_e64 s1, 4, v37
	v_mov_b32_e32 v1, 0xff7fffff
	s_waitcnt lgkmcnt(0)
	v_lshlrev_b32_e32 v8, 2, v37
	s_barrier
	buffer_gl0_inv
	s_and_saveexec_b32 s2, s1
; %bb.23:
	ds_read_b32 v1, v8 offset:448
; %bb.24:
	s_or_b32 exec_lo, exec_lo, s2
	v_xor_b32_e32 v10, 2, v5
	v_xor_b32_e32 v12, 1, v5
	v_cmp_gt_i32_e64 s2, 32, v10
	v_cndmask_b32_e64 v10, v5, v10, s2
	v_cmp_gt_i32_e64 s2, 32, v12
	v_lshlrev_b32_e32 v10, 2, v10
	v_cndmask_b32_e64 v5, v5, v12, s2
	s_lshl_b32 s2, s16, 3
	s_min_i32 s4, s2, s30
	s_waitcnt lgkmcnt(0)
	ds_bpermute_b32 v11, v10, v1
	v_max_f32_e32 v1, v1, v1
	v_lshlrev_b32_e32 v38, 2, v5
	v_cmp_gt_i32_e64 s2, s4, v0
	s_waitcnt lgkmcnt(0)
	v_max_f32_e32 v11, v11, v11
	v_max_f32_e32 v1, v1, v11
	ds_bpermute_b32 v5, v38, v1
	s_waitcnt lgkmcnt(0)
	v_max_f32_e32 v5, v5, v5
	v_max_f32_e32 v1, v1, v5
	v_mov_b32_e32 v5, 0
	ds_bpermute_b32 v11, v5, v1
	v_lshl_add_u32 v1, v0, 2, 0x1e0
	s_and_saveexec_b32 s5, s2
	s_cbranch_execz .LBB4_28
; %bb.25:
	v_lshl_add_u32 v12, v0, 2, 0x1e0
	v_mov_b32_e32 v5, 0
	v_mov_b32_e32 v13, v0
	s_mov_b32 s15, 0
	.p2align	6
.LBB4_26:                               ; =>This Inner Loop Header: Depth=1
	ds_read_b32 v14, v12
	v_add_nc_u32_e32 v13, 0x80, v13
	v_cmp_le_i32_e64 s3, s4, v13
	s_or_b32 s15, s3, s15
	s_waitcnt lgkmcnt(0)
	v_sub_f32_e32 v14, v14, v11
	v_mul_f32_e32 v14, 0x3fb8aa3b, v14
	v_exp_f32_e32 v14, v14
	ds_write_b32 v12, v14
	v_add_f32_e32 v5, v5, v14
	v_add_nc_u32_e32 v12, 0x200, v12
	s_andn2_b32 exec_lo, exec_lo, s15
	s_cbranch_execnz .LBB4_26
; %bb.27:
	s_or_b32 exec_lo, exec_lo, s15
.LBB4_28:
	s_or_b32 exec_lo, exec_lo, s5
	ds_bpermute_b32 v2, v2, v5
	s_waitcnt lgkmcnt(0)
	v_add_f32_e32 v2, v5, v2
	ds_bpermute_b32 v5, v6, v2
	s_waitcnt lgkmcnt(0)
	v_add_f32_e32 v2, v2, v5
	;; [unrolled: 3-line block ×5, first 2 shown]
	s_and_saveexec_b32 s3, vcc_lo
; %bb.29:
	ds_write_b32 v7, v2 offset:464
; %bb.30:
	s_or_b32 exec_lo, exec_lo, s3
	s_waitcnt lgkmcnt(0)
	s_barrier
	buffer_gl0_inv
	s_and_saveexec_b32 s3, s1
; %bb.31:
	ds_read_b32 v2, v8 offset:464
; %bb.32:
	s_or_b32 exec_lo, exec_lo, s3
	s_waitcnt lgkmcnt(0)
	ds_bpermute_b32 v5, v10, v2
	s_waitcnt lgkmcnt(0)
	v_add_f32_e32 v2, v2, v5
	ds_bpermute_b32 v5, v38, v2
	s_waitcnt lgkmcnt(0)
	v_add_f32_e32 v2, v2, v5
	v_mov_b32_e32 v5, 0
	ds_bpermute_b32 v2, v5, v2
	s_and_saveexec_b32 s1, s2
	s_cbranch_execz .LBB4_35
; %bb.33:
	s_waitcnt lgkmcnt(0)
	v_add_f32_e32 v2, 0x358637bd, v2
	s_mov_b32 s2, 0
	v_div_scale_f32 v5, null, v2, v2, 1.0
	v_div_scale_f32 v8, vcc_lo, 1.0, v2, 1.0
	v_rcp_f32_e32 v6, v5
	v_fma_f32 v7, -v5, v6, 1.0
	v_fmac_f32_e32 v6, v7, v6
	v_mul_f32_e32 v7, v8, v6
	v_fma_f32 v9, -v5, v7, v8
	v_fmac_f32_e32 v7, v9, v6
	v_fma_f32 v5, -v5, v7, v8
	v_div_fmas_f32 v5, v5, v6, v7
	v_div_fixup_f32 v2, v5, v2, 1.0
	v_mov_b32_e32 v5, v0
.LBB4_34:                               ; =>This Inner Loop Header: Depth=1
	ds_read_b32 v6, v1
	v_add_nc_u32_e32 v5, 0x80, v5
	v_cmp_le_i32_e32 vcc_lo, s4, v5
	s_or_b32 s2, vcc_lo, s2
	s_waitcnt lgkmcnt(0)
	v_mul_f32_e32 v6, v2, v6
	ds_write_b32 v1, v6
	v_add_nc_u32_e32 v1, 0x200, v1
	s_andn2_b32 exec_lo, exec_lo, s2
	s_cbranch_execnz .LBB4_34
.LBB4_35:
	s_or_b32 exec_lo, exec_lo, s1
	v_mov_b32_e32 v46, 0
	v_and_b32_e32 v39, 1, v0
	v_mov_b32_e32 v45, 0
	v_mov_b32_e32 v44, 0
	;; [unrolled: 1-line block ×6, first 2 shown]
	s_waitcnt lgkmcnt(0)
	s_barrier
	buffer_gl0_inv
	s_and_saveexec_b32 s1, s0
	s_cbranch_execz .LBB4_55
; %bb.36:
	s_ashr_i32 s15, s14, 31
	s_sub_i32 s2, s28, s17
	s_lshl_b64 s[4:5], s[14:15], 2
	v_lshlrev_b32_e32 v2, 4, v0
	s_add_u32 s0, s26, s4
	s_addc_u32 s5, s27, s5
	s_abs_i32 s3, s18
	v_and_b32_e32 v47, 4, v3
	v_cvt_f32_u32_e32 v1, s3
	s_sub_i32 s4, 0, s3
	v_and_b32_e32 v3, 0x7c, v4
	v_lshlrev_b32_e32 v4, 4, v39
	v_and_b32_e32 v2, 0x1f0, v2
	v_rcp_iflag_f32_e32 v1, v1
	s_lshl_b64 s[14:15], s[24:25], 2
	v_mov_b32_e32 v40, 0
	v_lshl_or_b32 v4, v35, 5, v4
	v_add_co_u32 v48, s0, s0, v2
	v_add_co_ci_u32_e64 v49, null, s5, 0, s0
	v_mov_b32_e32 v41, 0
	v_mov_b32_e32 v42, 0
	v_mul_f32_e32 v1, 0x4f7ffffe, v1
	v_mov_b32_e32 v43, 0
	v_mov_b32_e32 v44, 0
	;; [unrolled: 1-line block ×4, first 2 shown]
	v_cvt_u32_f32_e32 v1, v1
	v_add_nc_u32_e32 v50, 0x1e0, v4
	v_mov_b32_e32 v52, v35
	s_mov_b32 s5, 0
	v_mul_lo_u32 v5, s4, v1
	s_add_i32 s4, s16, -1
	s_add_u32 s14, s22, s14
	s_addc_u32 s15, s23, s15
	v_add_co_u32 v33, s0, s14, v3
	v_add_co_ci_u32_e64 v34, null, s15, 0, s0
	v_mul_hi_u32 v5, v1, v5
	v_add_nc_u32_e32 v51, v1, v5
	s_branch .LBB4_39
.LBB4_37:                               ;   in Loop: Header=BB4_39 Depth=1
	s_or_b32 exec_lo, exec_lo, s0
	s_waitcnt vmcnt(1) lgkmcnt(0)
	v_mul_f32_e32 v25, v1, v25
	v_mul_f32_e32 v21, v1, v21
	;; [unrolled: 1-line block ×6, first 2 shown]
	s_waitcnt vmcnt(0)
	v_mul_f32_e32 v1, v1, v29
	v_fmac_f32_e32 v25, v2, v26
	v_fmac_f32_e32 v21, v2, v22
	;; [unrolled: 1-line block ×21, first 2 shown]
	v_add_f32_e32 v41, v41, v25
	v_add_f32_e32 v42, v42, v21
	;; [unrolled: 1-line block ×7, first 2 shown]
.LBB4_38:                               ;   in Loop: Header=BB4_39 Depth=1
	s_or_b32 exec_lo, exec_lo, s14
	v_add_nc_u32_e32 v52, 4, v52
	v_add_co_u32 v33, s0, v33, 16
	v_add_co_ci_u32_e64 v34, null, 0, v34, s0
	v_cmp_le_i32_e32 vcc_lo, s16, v52
	v_add_nc_u32_e32 v36, 32, v36
	v_add_nc_u32_e32 v50, 0x80, v50
	s_or_b32 s5, vcc_lo, s5
	s_andn2_b32 exec_lo, exec_lo, s5
	s_cbranch_execz .LBB4_54
.LBB4_39:                               ; =>This Inner Loop Header: Depth=1
	v_mul_hi_u32 v1, v36, s21
	v_mul_lo_u32 v2, v1, s12
	v_add_nc_u32_e32 v3, 1, v1
	v_sub_nc_u32_e32 v2, v36, v2
	v_subrev_nc_u32_e32 v4, s12, v2
	v_cmp_le_u32_e32 vcc_lo, s12, v2
	v_cndmask_b32_e32 v1, v1, v3, vcc_lo
	v_cndmask_b32_e32 v2, v2, v4, vcc_lo
	v_add_nc_u32_e32 v3, 1, v1
	v_cmp_le_u32_e32 vcc_lo, s12, v2
	v_cndmask_b32_e32 v1, v1, v3, vcc_lo
	v_xor_b32_e32 v1, s19, v1
	v_subrev_nc_u32_e32 v1, s19, v1
	v_add_nc_u32_e32 v2, s31, v1
	v_cmp_lt_i32_e64 s0, s2, v1
	v_sub_nc_u32_e32 v3, 0, v2
	v_max_i32_e32 v3, v2, v3
	v_ashrrev_i32_e32 v2, 31, v2
	v_mul_hi_u32 v4, v3, v51
	v_mul_lo_u32 v4, v4, s3
	v_sub_nc_u32_e32 v3, v3, v4
	v_subrev_nc_u32_e32 v4, s3, v3
	v_cmp_le_u32_e32 vcc_lo, s3, v3
	v_cndmask_b32_e32 v3, v3, v4, vcc_lo
	v_subrev_nc_u32_e32 v4, s3, v3
	v_cmp_le_u32_e32 vcc_lo, s3, v3
	v_cndmask_b32_e32 v3, v3, v4, vcc_lo
	v_xor_b32_e32 v3, v3, v2
	v_sub_nc_u32_e32 v2, v3, v2
	v_cmp_eq_u32_e32 vcc_lo, 0, v2
	s_or_b32 s0, vcc_lo, s0
	s_and_saveexec_b32 s14, s0
	s_cbranch_execz .LBB4_38
; %bb.40:                               ;   in Loop: Header=BB4_39 Depth=1
	global_load_dword v1, v[33:34], off
	v_add_nc_u32_e32 v53, v47, v36
	v_add_nc_u32_e32 v56, 1, v53
	;; [unrolled: 1-line block ×4, first 2 shown]
	s_waitcnt vmcnt(0)
	v_mad_i64_i32 v[1:2], null, v1, s13, 0
	v_lshlrev_b64 v[1:2], 2, v[1:2]
	v_add_co_u32 v21, vcc_lo, v48, v1
	v_add_co_ci_u32_e64 v22, null, v49, v2, vcc_lo
	ds_read_b128 v[1:4], v50
	v_cmp_eq_u32_e32 vcc_lo, s4, v52
	global_load_dwordx4 v[5:8], v[21:22], off
	s_and_saveexec_b32 s15, vcc_lo
	s_cbranch_execnz .LBB4_48
; %bb.41:                               ;   in Loop: Header=BB4_39 Depth=1
	s_or_b32 exec_lo, exec_lo, s15
	global_load_dwordx4 v[9:12], v[21:22], off offset:512
	s_and_saveexec_b32 s15, vcc_lo
	s_cbranch_execnz .LBB4_49
.LBB4_42:                               ;   in Loop: Header=BB4_39 Depth=1
	s_or_b32 exec_lo, exec_lo, s15
	global_load_dwordx4 v[13:16], v[21:22], off offset:1024
	s_and_saveexec_b32 s15, vcc_lo
	s_cbranch_execnz .LBB4_50
.LBB4_43:                               ;   in Loop: Header=BB4_39 Depth=1
	s_or_b32 exec_lo, exec_lo, s15
	global_load_dwordx4 v[17:20], v[21:22], off offset:1536
	s_and_saveexec_b32 s15, vcc_lo
	s_cbranch_execz .LBB4_45
.LBB4_44:                               ;   in Loop: Header=BB4_39 Depth=1
	v_cmp_gt_i32_e64 s0, s30, v53
	s_waitcnt vmcnt(0)
	v_cndmask_b32_e64 v17, 0, v17, s0
	v_cmp_gt_i32_e64 s0, s30, v56
	v_cndmask_b32_e64 v18, 0, v18, s0
	v_cmp_gt_i32_e64 s0, s30, v55
	;; [unrolled: 2-line block ×3, first 2 shown]
	v_cndmask_b32_e64 v20, 0, v20, s0
.LBB4_45:                               ;   in Loop: Header=BB4_39 Depth=1
	s_or_b32 exec_lo, exec_lo, s15
	v_add_co_u32 v29, s0, 0x800, v21
	v_add_co_ci_u32_e64 v30, null, 0, v22, s0
	global_load_dwordx4 v[21:24], v[29:30], off
	s_and_saveexec_b32 s15, vcc_lo
	s_cbranch_execnz .LBB4_51
; %bb.46:                               ;   in Loop: Header=BB4_39 Depth=1
	s_or_b32 exec_lo, exec_lo, s15
	global_load_dwordx4 v[25:28], v[29:30], off offset:512
	s_and_saveexec_b32 s15, vcc_lo
	s_cbranch_execnz .LBB4_52
.LBB4_47:                               ;   in Loop: Header=BB4_39 Depth=1
	s_or_b32 exec_lo, exec_lo, s15
	global_load_dwordx4 v[29:32], v[29:30], off offset:1024
	s_and_saveexec_b32 s0, vcc_lo
	s_cbranch_execz .LBB4_37
	s_branch .LBB4_53
.LBB4_48:                               ;   in Loop: Header=BB4_39 Depth=1
	v_cmp_gt_i32_e64 s0, s30, v53
	s_waitcnt vmcnt(0)
	v_cndmask_b32_e64 v5, 0, v5, s0
	v_cmp_gt_i32_e64 s0, s30, v56
	v_cndmask_b32_e64 v6, 0, v6, s0
	v_cmp_gt_i32_e64 s0, s30, v55
	;; [unrolled: 2-line block ×3, first 2 shown]
	v_cndmask_b32_e64 v8, 0, v8, s0
	s_or_b32 exec_lo, exec_lo, s15
	global_load_dwordx4 v[9:12], v[21:22], off offset:512
	s_and_saveexec_b32 s15, vcc_lo
	s_cbranch_execz .LBB4_42
.LBB4_49:                               ;   in Loop: Header=BB4_39 Depth=1
	v_cmp_gt_i32_e64 s0, s30, v53
	s_waitcnt vmcnt(0)
	v_cndmask_b32_e64 v9, 0, v9, s0
	v_cmp_gt_i32_e64 s0, s30, v56
	v_cndmask_b32_e64 v10, 0, v10, s0
	v_cmp_gt_i32_e64 s0, s30, v55
	;; [unrolled: 2-line block ×3, first 2 shown]
	v_cndmask_b32_e64 v12, 0, v12, s0
	s_or_b32 exec_lo, exec_lo, s15
	global_load_dwordx4 v[13:16], v[21:22], off offset:1024
	s_and_saveexec_b32 s15, vcc_lo
	s_cbranch_execz .LBB4_43
.LBB4_50:                               ;   in Loop: Header=BB4_39 Depth=1
	v_cmp_gt_i32_e64 s0, s30, v53
	s_waitcnt vmcnt(0)
	v_cndmask_b32_e64 v13, 0, v13, s0
	v_cmp_gt_i32_e64 s0, s30, v56
	v_cndmask_b32_e64 v14, 0, v14, s0
	v_cmp_gt_i32_e64 s0, s30, v55
	;; [unrolled: 2-line block ×3, first 2 shown]
	v_cndmask_b32_e64 v16, 0, v16, s0
	s_or_b32 exec_lo, exec_lo, s15
	global_load_dwordx4 v[17:20], v[21:22], off offset:1536
	s_and_saveexec_b32 s15, vcc_lo
	s_cbranch_execnz .LBB4_44
	s_branch .LBB4_45
.LBB4_51:                               ;   in Loop: Header=BB4_39 Depth=1
	v_cmp_gt_i32_e64 s0, s30, v53
	s_waitcnt vmcnt(0)
	v_cndmask_b32_e64 v21, 0, v21, s0
	v_cmp_gt_i32_e64 s0, s30, v56
	v_cndmask_b32_e64 v22, 0, v22, s0
	v_cmp_gt_i32_e64 s0, s30, v55
	;; [unrolled: 2-line block ×3, first 2 shown]
	v_cndmask_b32_e64 v24, 0, v24, s0
	s_or_b32 exec_lo, exec_lo, s15
	global_load_dwordx4 v[25:28], v[29:30], off offset:512
	s_and_saveexec_b32 s15, vcc_lo
	s_cbranch_execz .LBB4_47
.LBB4_52:                               ;   in Loop: Header=BB4_39 Depth=1
	v_cmp_gt_i32_e64 s0, s30, v53
	s_waitcnt vmcnt(0)
	v_cndmask_b32_e64 v25, 0, v25, s0
	v_cmp_gt_i32_e64 s0, s30, v56
	v_cndmask_b32_e64 v26, 0, v26, s0
	v_cmp_gt_i32_e64 s0, s30, v55
	;; [unrolled: 2-line block ×3, first 2 shown]
	v_cndmask_b32_e64 v28, 0, v28, s0
	s_or_b32 exec_lo, exec_lo, s15
	global_load_dwordx4 v[29:32], v[29:30], off offset:1024
	s_and_saveexec_b32 s0, vcc_lo
	s_cbranch_execz .LBB4_37
.LBB4_53:                               ;   in Loop: Header=BB4_39 Depth=1
	v_cmp_gt_i32_e32 vcc_lo, s30, v53
	s_waitcnt vmcnt(0)
	v_cndmask_b32_e32 v29, 0, v29, vcc_lo
	v_cmp_gt_i32_e32 vcc_lo, s30, v56
	v_cndmask_b32_e32 v30, 0, v30, vcc_lo
	v_cmp_gt_i32_e32 vcc_lo, s30, v55
	;; [unrolled: 2-line block ×3, first 2 shown]
	v_cndmask_b32_e32 v32, 0, v32, vcc_lo
	s_branch .LBB4_37
.LBB4_54:
	s_or_b32 exec_lo, exec_lo, s5
.LBB4_55:
	s_or_b32 exec_lo, exec_lo, s1
	ds_bpermute_b32 v1, v38, v46
	ds_bpermute_b32 v2, v38, v45
	;; [unrolled: 1-line block ×7, first 2 shown]
	v_lshrrev_b32_e32 v8, 1, v37
	v_mul_u32_u24_e32 v10, 0x1c0, v35
	v_and_b32_e32 v11, 0x3c1, v0
	s_mov_b32 s0, exec_lo
	s_waitcnt lgkmcnt(0)
	v_lshl_add_u32 v9, v8, 2, 0x1e0
	s_barrier
	buffer_gl0_inv
	v_add_f32_e32 v1, v46, v1
	v_add_f32_e32 v2, v45, v2
	;; [unrolled: 1-line block ×7, first 2 shown]
	v_cmpx_eq_u32_e32 64, v11
	s_cbranch_execz .LBB4_57
; %bb.56:
	v_add_nc_u32_e32 v11, v9, v10
	v_add_nc_u32_e32 v12, 0xfffffc80, v11
	;; [unrolled: 1-line block ×8, first 2 shown]
	ds_write_b32 v12, v1
	ds_write_b32 v13, v2
	;; [unrolled: 1-line block ×7, first 2 shown]
.LBB4_57:
	s_or_b32 exec_lo, exec_lo, s0
	v_lshlrev_b32_e32 v8, 2, v8
	s_mov_b32 s1, exec_lo
	v_cmp_eq_u32_e32 vcc_lo, 0, v39
	s_waitcnt lgkmcnt(0)
	s_barrier
	v_add3_u32 v8, 0x1e0, v10, v8
	buffer_gl0_inv
	v_cmpx_gt_u32_e32 64, v0
	s_cbranch_execz .LBB4_67
; %bb.58:
	s_and_saveexec_b32 s0, vcc_lo
	s_cbranch_execnz .LBB4_82
; %bb.59:
	s_or_b32 exec_lo, exec_lo, s0
	s_and_saveexec_b32 s0, vcc_lo
	s_cbranch_execnz .LBB4_83
.LBB4_60:
	s_or_b32 exec_lo, exec_lo, s0
	s_and_saveexec_b32 s0, vcc_lo
	s_cbranch_execnz .LBB4_84
.LBB4_61:
	s_or_b32 exec_lo, exec_lo, s0
	s_and_saveexec_b32 s0, vcc_lo
	s_cbranch_execnz .LBB4_85
.LBB4_62:
	s_or_b32 exec_lo, exec_lo, s0
	s_and_saveexec_b32 s0, vcc_lo
	s_cbranch_execnz .LBB4_86
.LBB4_63:
	s_or_b32 exec_lo, exec_lo, s0
	s_and_saveexec_b32 s0, vcc_lo
	s_cbranch_execnz .LBB4_87
.LBB4_64:
	s_or_b32 exec_lo, exec_lo, s0
	s_and_saveexec_b32 s0, vcc_lo
	s_cbranch_execz .LBB4_66
.LBB4_65:
	ds_read_b32 v10, v8 offset:384
	s_waitcnt lgkmcnt(0)
	v_add_f32_e32 v7, v7, v10
.LBB4_66:
	s_or_b32 exec_lo, exec_lo, s0
.LBB4_67:
	s_or_b32 exec_lo, exec_lo, s1
	v_and_b32_e32 v10, 0x3e1, v0
	s_mov_b32 s1, exec_lo
	s_barrier
	buffer_gl0_inv
	v_cmpx_eq_u32_e32 32, v10
	s_cbranch_execz .LBB4_69
; %bb.68:
	ds_write2_b32 v9, v1, v2 offset1:16
	ds_write2_b32 v9, v3, v4 offset0:32 offset1:48
	ds_write2_b32 v9, v5, v6 offset0:64 offset1:80
	ds_write_b32 v9, v7 offset:384
.LBB4_69:
	s_or_b32 exec_lo, exec_lo, s1
	s_mov_b32 s1, exec_lo
	s_waitcnt lgkmcnt(0)
	s_barrier
	buffer_gl0_inv
	v_cmpx_gt_u32_e32 32, v0
	s_cbranch_execz .LBB4_79
; %bb.70:
	s_and_saveexec_b32 s0, vcc_lo
	s_cbranch_execnz .LBB4_88
; %bb.71:
	s_or_b32 exec_lo, exec_lo, s0
	s_and_saveexec_b32 s0, vcc_lo
	s_cbranch_execnz .LBB4_89
.LBB4_72:
	s_or_b32 exec_lo, exec_lo, s0
	s_and_saveexec_b32 s0, vcc_lo
	s_cbranch_execnz .LBB4_90
.LBB4_73:
	s_or_b32 exec_lo, exec_lo, s0
	s_and_saveexec_b32 s0, vcc_lo
	s_cbranch_execnz .LBB4_91
.LBB4_74:
	s_or_b32 exec_lo, exec_lo, s0
	s_and_saveexec_b32 s0, vcc_lo
	s_cbranch_execnz .LBB4_92
.LBB4_75:
	s_or_b32 exec_lo, exec_lo, s0
	s_and_saveexec_b32 s0, vcc_lo
	s_cbranch_execnz .LBB4_93
.LBB4_76:
	s_or_b32 exec_lo, exec_lo, s0
	s_and_saveexec_b32 s0, vcc_lo
	s_cbranch_execz .LBB4_78
.LBB4_77:
	ds_read_b32 v8, v8 offset:384
	s_waitcnt lgkmcnt(0)
	v_add_f32_e32 v7, v7, v8
.LBB4_78:
	s_or_b32 exec_lo, exec_lo, s0
.LBB4_79:
	s_or_b32 exec_lo, exec_lo, s1
	s_barrier
	buffer_gl0_inv
	s_mov_b32 s0, exec_lo
	v_cmpx_eq_u32_e32 0, v10
	s_cbranch_execz .LBB4_81
; %bb.80:
	s_mul_i32 s0, s10, s11
	s_mul_i32 s2, s11, s20
	;; [unrolled: 1-line block ×3, first 2 shown]
	v_lshlrev_b32_e32 v0, 1, v0
	s_mulk_i32 s0, 0x70
	s_ashr_i32 s1, s0, 31
	s_lshl_b64 s[0:1], s[0:1], 2
	s_add_u32 s4, s6, s0
	s_addc_u32 s5, s7, s1
	s_ashr_i32 s3, s2, 31
	s_lshl_b64 s[0:1], s[2:3], 2
	s_mul_i32 s2, s8, 0x70
	s_add_u32 s4, s4, s0
	s_addc_u32 s5, s5, s1
	s_ashr_i32 s3, s2, 31
	s_lshl_b64 s[0:1], s[2:3], 2
	s_add_u32 s0, s4, s0
	s_addc_u32 s1, s5, s1
	global_store_dword v0, v1, s[0:1]
	global_store_dword v0, v2, s[0:1] offset:64
	global_store_dword v0, v3, s[0:1] offset:128
	;; [unrolled: 1-line block ×6, first 2 shown]
.LBB4_81:
	s_endpgm
.LBB4_82:
	ds_read_b32 v10, v8
	s_waitcnt lgkmcnt(0)
	v_add_f32_e32 v1, v1, v10
	s_or_b32 exec_lo, exec_lo, s0
	s_and_saveexec_b32 s0, vcc_lo
	s_cbranch_execz .LBB4_60
.LBB4_83:
	ds_read_b32 v10, v8 offset:64
	s_waitcnt lgkmcnt(0)
	v_add_f32_e32 v2, v2, v10
	s_or_b32 exec_lo, exec_lo, s0
	s_and_saveexec_b32 s0, vcc_lo
	s_cbranch_execz .LBB4_61
.LBB4_84:
	ds_read_b32 v10, v8 offset:128
	s_waitcnt lgkmcnt(0)
	v_add_f32_e32 v3, v3, v10
	s_or_b32 exec_lo, exec_lo, s0
	s_and_saveexec_b32 s0, vcc_lo
	s_cbranch_execz .LBB4_62
.LBB4_85:
	ds_read_b32 v10, v8 offset:192
	s_waitcnt lgkmcnt(0)
	v_add_f32_e32 v4, v4, v10
	s_or_b32 exec_lo, exec_lo, s0
	s_and_saveexec_b32 s0, vcc_lo
	s_cbranch_execz .LBB4_63
.LBB4_86:
	ds_read_b32 v10, v8 offset:256
	s_waitcnt lgkmcnt(0)
	v_add_f32_e32 v5, v5, v10
	s_or_b32 exec_lo, exec_lo, s0
	s_and_saveexec_b32 s0, vcc_lo
	s_cbranch_execz .LBB4_64
.LBB4_87:
	ds_read_b32 v10, v8 offset:320
	s_waitcnt lgkmcnt(0)
	v_add_f32_e32 v6, v6, v10
	s_or_b32 exec_lo, exec_lo, s0
	s_and_saveexec_b32 s0, vcc_lo
	s_cbranch_execnz .LBB4_65
	s_branch .LBB4_66
.LBB4_88:
	ds_read_b32 v9, v8
	s_waitcnt lgkmcnt(0)
	v_add_f32_e32 v1, v1, v9
	s_or_b32 exec_lo, exec_lo, s0
	s_and_saveexec_b32 s0, vcc_lo
	s_cbranch_execz .LBB4_72
.LBB4_89:
	ds_read_b32 v9, v8 offset:64
	s_waitcnt lgkmcnt(0)
	v_add_f32_e32 v2, v2, v9
	s_or_b32 exec_lo, exec_lo, s0
	s_and_saveexec_b32 s0, vcc_lo
	s_cbranch_execz .LBB4_73
.LBB4_90:
	ds_read_b32 v9, v8 offset:128
	s_waitcnt lgkmcnt(0)
	v_add_f32_e32 v3, v3, v9
	s_or_b32 exec_lo, exec_lo, s0
	s_and_saveexec_b32 s0, vcc_lo
	s_cbranch_execz .LBB4_74
.LBB4_91:
	ds_read_b32 v9, v8 offset:192
	s_waitcnt lgkmcnt(0)
	v_add_f32_e32 v4, v4, v9
	s_or_b32 exec_lo, exec_lo, s0
	s_and_saveexec_b32 s0, vcc_lo
	s_cbranch_execz .LBB4_75
.LBB4_92:
	ds_read_b32 v9, v8 offset:256
	s_waitcnt lgkmcnt(0)
	v_add_f32_e32 v5, v5, v9
	s_or_b32 exec_lo, exec_lo, s0
	s_and_saveexec_b32 s0, vcc_lo
	s_cbranch_execz .LBB4_76
.LBB4_93:
	ds_read_b32 v9, v8 offset:320
	s_waitcnt lgkmcnt(0)
	v_add_f32_e32 v6, v6, v9
	s_or_b32 exec_lo, exec_lo, s0
	s_and_saveexec_b32 s0, vcc_lo
	s_cbranch_execnz .LBB4_77
	s_branch .LBB4_78
	.section	.rodata,"a",@progbits
	.p2align	6, 0x0
	.amdhsa_kernel _ZN4vllm25paged_attention_v1_kernelIffLi112ELi8ELi128ELNS_18Fp8KVCacheDataTypeE0ELb1EEEvPT_PKS2_PKT0_S8_ifPKiSA_iPKfiiiSC_SC_iiiii
		.amdhsa_group_segment_fixed_size 480
		.amdhsa_private_segment_fixed_size 0
		.amdhsa_kernarg_size 384
		.amdhsa_user_sgpr_count 6
		.amdhsa_user_sgpr_private_segment_buffer 1
		.amdhsa_user_sgpr_dispatch_ptr 0
		.amdhsa_user_sgpr_queue_ptr 0
		.amdhsa_user_sgpr_kernarg_segment_ptr 1
		.amdhsa_user_sgpr_dispatch_id 0
		.amdhsa_user_sgpr_flat_scratch_init 0
		.amdhsa_user_sgpr_private_segment_size 0
		.amdhsa_wavefront_size32 1
		.amdhsa_uses_dynamic_stack 0
		.amdhsa_system_sgpr_private_segment_wavefront_offset 0
		.amdhsa_system_sgpr_workgroup_id_x 1
		.amdhsa_system_sgpr_workgroup_id_y 1
		.amdhsa_system_sgpr_workgroup_id_z 1
		.amdhsa_system_sgpr_workgroup_info 0
		.amdhsa_system_vgpr_workitem_id 0
		.amdhsa_next_free_vgpr 57
		.amdhsa_next_free_sgpr 38
		.amdhsa_reserve_vcc 1
		.amdhsa_reserve_flat_scratch 0
		.amdhsa_float_round_mode_32 0
		.amdhsa_float_round_mode_16_64 0
		.amdhsa_float_denorm_mode_32 3
		.amdhsa_float_denorm_mode_16_64 3
		.amdhsa_dx10_clamp 1
		.amdhsa_ieee_mode 1
		.amdhsa_fp16_overflow 0
		.amdhsa_workgroup_processor_mode 1
		.amdhsa_memory_ordered 1
		.amdhsa_forward_progress 1
		.amdhsa_shared_vgpr_count 0
		.amdhsa_exception_fp_ieee_invalid_op 0
		.amdhsa_exception_fp_denorm_src 0
		.amdhsa_exception_fp_ieee_div_zero 0
		.amdhsa_exception_fp_ieee_overflow 0
		.amdhsa_exception_fp_ieee_underflow 0
		.amdhsa_exception_fp_ieee_inexact 0
		.amdhsa_exception_int_div_zero 0
	.end_amdhsa_kernel
	.section	.text._ZN4vllm25paged_attention_v1_kernelIffLi112ELi8ELi128ELNS_18Fp8KVCacheDataTypeE0ELb1EEEvPT_PKS2_PKT0_S8_ifPKiSA_iPKfiiiSC_SC_iiiii,"axG",@progbits,_ZN4vllm25paged_attention_v1_kernelIffLi112ELi8ELi128ELNS_18Fp8KVCacheDataTypeE0ELb1EEEvPT_PKS2_PKT0_S8_ifPKiSA_iPKfiiiSC_SC_iiiii,comdat
.Lfunc_end4:
	.size	_ZN4vllm25paged_attention_v1_kernelIffLi112ELi8ELi128ELNS_18Fp8KVCacheDataTypeE0ELb1EEEvPT_PKS2_PKT0_S8_ifPKiSA_iPKfiiiSC_SC_iiiii, .Lfunc_end4-_ZN4vllm25paged_attention_v1_kernelIffLi112ELi8ELi128ELNS_18Fp8KVCacheDataTypeE0ELb1EEEvPT_PKS2_PKT0_S8_ifPKiSA_iPKfiiiSC_SC_iiiii
                                        ; -- End function
	.set _ZN4vllm25paged_attention_v1_kernelIffLi112ELi8ELi128ELNS_18Fp8KVCacheDataTypeE0ELb1EEEvPT_PKS2_PKT0_S8_ifPKiSA_iPKfiiiSC_SC_iiiii.num_vgpr, 57
	.set _ZN4vllm25paged_attention_v1_kernelIffLi112ELi8ELi128ELNS_18Fp8KVCacheDataTypeE0ELb1EEEvPT_PKS2_PKT0_S8_ifPKiSA_iPKfiiiSC_SC_iiiii.num_agpr, 0
	.set _ZN4vllm25paged_attention_v1_kernelIffLi112ELi8ELi128ELNS_18Fp8KVCacheDataTypeE0ELb1EEEvPT_PKS2_PKT0_S8_ifPKiSA_iPKfiiiSC_SC_iiiii.numbered_sgpr, 38
	.set _ZN4vllm25paged_attention_v1_kernelIffLi112ELi8ELi128ELNS_18Fp8KVCacheDataTypeE0ELb1EEEvPT_PKS2_PKT0_S8_ifPKiSA_iPKfiiiSC_SC_iiiii.num_named_barrier, 0
	.set _ZN4vllm25paged_attention_v1_kernelIffLi112ELi8ELi128ELNS_18Fp8KVCacheDataTypeE0ELb1EEEvPT_PKS2_PKT0_S8_ifPKiSA_iPKfiiiSC_SC_iiiii.private_seg_size, 0
	.set _ZN4vllm25paged_attention_v1_kernelIffLi112ELi8ELi128ELNS_18Fp8KVCacheDataTypeE0ELb1EEEvPT_PKS2_PKT0_S8_ifPKiSA_iPKfiiiSC_SC_iiiii.uses_vcc, 1
	.set _ZN4vllm25paged_attention_v1_kernelIffLi112ELi8ELi128ELNS_18Fp8KVCacheDataTypeE0ELb1EEEvPT_PKS2_PKT0_S8_ifPKiSA_iPKfiiiSC_SC_iiiii.uses_flat_scratch, 0
	.set _ZN4vllm25paged_attention_v1_kernelIffLi112ELi8ELi128ELNS_18Fp8KVCacheDataTypeE0ELb1EEEvPT_PKS2_PKT0_S8_ifPKiSA_iPKfiiiSC_SC_iiiii.has_dyn_sized_stack, 0
	.set _ZN4vllm25paged_attention_v1_kernelIffLi112ELi8ELi128ELNS_18Fp8KVCacheDataTypeE0ELb1EEEvPT_PKS2_PKT0_S8_ifPKiSA_iPKfiiiSC_SC_iiiii.has_recursion, 0
	.set _ZN4vllm25paged_attention_v1_kernelIffLi112ELi8ELi128ELNS_18Fp8KVCacheDataTypeE0ELb1EEEvPT_PKS2_PKT0_S8_ifPKiSA_iPKfiiiSC_SC_iiiii.has_indirect_call, 0
	.section	.AMDGPU.csdata,"",@progbits
; Kernel info:
; codeLenInByte = 5440
; TotalNumSgprs: 40
; NumVgprs: 57
; ScratchSize: 0
; MemoryBound: 0
; FloatMode: 240
; IeeeMode: 1
; LDSByteSize: 480 bytes/workgroup (compile time only)
; SGPRBlocks: 0
; VGPRBlocks: 7
; NumSGPRsForWavesPerEU: 40
; NumVGPRsForWavesPerEU: 57
; Occupancy: 16
; WaveLimiterHint : 1
; COMPUTE_PGM_RSRC2:SCRATCH_EN: 0
; COMPUTE_PGM_RSRC2:USER_SGPR: 6
; COMPUTE_PGM_RSRC2:TRAP_HANDLER: 0
; COMPUTE_PGM_RSRC2:TGID_X_EN: 1
; COMPUTE_PGM_RSRC2:TGID_Y_EN: 1
; COMPUTE_PGM_RSRC2:TGID_Z_EN: 1
; COMPUTE_PGM_RSRC2:TIDIG_COMP_CNT: 0
	.section	.text._ZN4vllm25paged_attention_v1_kernelIffLi120ELi8ELi128ELNS_18Fp8KVCacheDataTypeE0ELb1EEEvPT_PKS2_PKT0_S8_ifPKiSA_iPKfiiiSC_SC_iiiii,"axG",@progbits,_ZN4vllm25paged_attention_v1_kernelIffLi120ELi8ELi128ELNS_18Fp8KVCacheDataTypeE0ELb1EEEvPT_PKS2_PKT0_S8_ifPKiSA_iPKfiiiSC_SC_iiiii,comdat
	.protected	_ZN4vllm25paged_attention_v1_kernelIffLi120ELi8ELi128ELNS_18Fp8KVCacheDataTypeE0ELb1EEEvPT_PKS2_PKT0_S8_ifPKiSA_iPKfiiiSC_SC_iiiii ; -- Begin function _ZN4vllm25paged_attention_v1_kernelIffLi120ELi8ELi128ELNS_18Fp8KVCacheDataTypeE0ELb1EEEvPT_PKS2_PKT0_S8_ifPKiSA_iPKfiiiSC_SC_iiiii
	.globl	_ZN4vllm25paged_attention_v1_kernelIffLi120ELi8ELi128ELNS_18Fp8KVCacheDataTypeE0ELb1EEEvPT_PKS2_PKT0_S8_ifPKiSA_iPKfiiiSC_SC_iiiii
	.p2align	8
	.type	_ZN4vllm25paged_attention_v1_kernelIffLi120ELi8ELi128ELNS_18Fp8KVCacheDataTypeE0ELb1EEEvPT_PKS2_PKT0_S8_ifPKiSA_iPKfiiiSC_SC_iiiii,@function
_ZN4vllm25paged_attention_v1_kernelIffLi120ELi8ELi128ELNS_18Fp8KVCacheDataTypeE0ELb1EEEvPT_PKS2_PKT0_S8_ifPKiSA_iPKfiiiSC_SC_iiiii: ; @_ZN4vllm25paged_attention_v1_kernelIffLi120ELi8ELi128ELNS_18Fp8KVCacheDataTypeE0ELb1EEEvPT_PKS2_PKT0_S8_ifPKiSA_iPKfiiiSC_SC_iiiii
; %bb.0:
	s_clause 0x2
	s_load_dword s9, s[4:5], 0x80
	s_load_dwordx2 s[0:1], s[4:5], 0x30
	s_load_dwordx2 s[28:29], s[4:5], 0x20
	s_mov_b32 s10, s7
	s_ashr_i32 s11, s7, 31
	s_mov_b32 s33, 0
	s_lshl_b64 s[2:3], s[10:11], 2
	s_waitcnt lgkmcnt(0)
	s_add_u32 s0, s0, s2
	s_addc_u32 s1, s1, s3
	s_abs_i32 s2, s28
	s_abs_i32 s11, s9
	v_cvt_f32_u32_e32 v1, s2
	s_sub_i32 s7, 0, s2
	v_rcp_iflag_f32_e32 v1, v1
	v_mul_f32_e32 v1, 0x4f7ffffe, v1
	v_cvt_u32_f32_e32 v1, v1
	v_readfirstlane_b32 s3, v1
	s_mul_i32 s7, s7, s3
	s_mul_hi_u32 s7, s3, s7
	s_add_i32 s3, s3, s7
	s_xor_b32 s7, s9, s28
	s_mul_hi_u32 s3, s11, s3
	s_ashr_i32 s7, s7, 31
	s_mul_i32 s12, s3, s2
	s_sub_i32 s11, s11, s12
	s_add_i32 s12, s3, 1
	s_sub_i32 s13, s11, s2
	s_cmp_ge_u32 s11, s2
	s_cselect_b32 s3, s12, s3
	s_cselect_b32 s11, s13, s11
	s_add_i32 s12, s3, 1
	s_cmp_ge_u32 s11, s2
	s_cselect_b32 s2, s12, s3
	s_abs_i32 s22, s6
	s_xor_b32 s2, s2, s7
	s_sub_i32 s16, s2, s7
	s_load_dwordx2 s[2:3], s[4:5], 0x40
	s_abs_i32 s11, s16
	v_cvt_f32_u32_e32 v1, s11
	s_sub_i32 s12, 0, s11
	v_rcp_iflag_f32_e32 v1, v1
	v_mul_f32_e32 v1, 0x4f7ffffe, v1
	v_cvt_u32_f32_e32 v1, v1
	v_readfirstlane_b32 s7, v1
	s_mul_i32 s12, s12, s7
	s_mul_hi_u32 s12, s7, s12
	s_add_i32 s7, s7, s12
	s_waitcnt lgkmcnt(0)
	s_cmp_eq_u64 s[2:3], 0
	s_mul_hi_u32 s23, s22, s7
	s_cbranch_scc1 .LBB5_2
; %bb.1:
	s_ashr_i32 s7, s6, 31
	s_lshl_b64 s[12:13], s[6:7], 2
	s_add_u32 s2, s2, s12
	s_addc_u32 s3, s3, s13
	s_load_dword s33, s[2:3], 0x0
.LBB5_2:
	s_load_dword s30, s[0:1], 0x0
	s_load_dwordx4 s[12:15], s[4:5], 0x48
	v_and_b32_e32 v1, 3, v0
	v_lshlrev_b32_e32 v3, 2, v0
	s_ashr_i32 s0, s6, 31
	s_ashr_i32 s1, s16, 31
	s_mul_i32 s20, s6, 0x78
	s_mov_b32 s2, exec_lo
	v_cmpx_gt_u32_e32 0x78, v0
	s_cbranch_execz .LBB5_4
; %bb.3:
	s_load_dwordx2 s[16:17], s[4:5], 0x8
	s_waitcnt lgkmcnt(0)
	s_mul_i32 s18, s12, s10
	v_and_b32_e32 v4, 0x3fc, v0
	s_ashr_i32 s19, s18, 31
	s_lshl_b64 s[18:19], s[18:19], 2
	v_mad_u32_u24 v4, 0x78, v1, v4
	s_add_u32 s3, s16, s18
	s_addc_u32 s7, s17, s19
	s_ashr_i32 s21, s20, 31
	s_lshl_b64 s[16:17], s[20:21], 2
	s_add_u32 s16, s3, s16
	s_addc_u32 s17, s7, s17
	global_load_dword v2, v3, s[16:17]
	s_waitcnt vmcnt(0)
	ds_write_b32 v4, v2
.LBB5_4:
	s_or_b32 exec_lo, exec_lo, s2
	s_load_dwordx4 s[16:19], s[4:5], 0x68
	s_mul_i32 s2, s23, s11
	s_xor_b32 s1, s0, s1
	s_sub_i32 s0, s22, s2
	s_add_i32 s2, s23, 1
	s_sub_i32 s3, s0, s11
	s_cmp_ge_u32 s0, s11
	s_waitcnt lgkmcnt(0)
	s_cselect_b32 s2, s2, s23
	s_cselect_b32 s0, s3, s0
	s_add_i32 s3, s2, 1
	s_cmp_ge_u32 s0, s11
	s_load_dword s0, s[4:5], 0x78
	s_cselect_b32 s2, s3, s2
	s_add_i32 s7, s30, -1
	s_xor_b32 s2, s2, s1
	s_abs_i32 s3, s7
	s_sub_i32 s1, s2, s1
	s_mov_b32 s11, -1
	s_barrier
	s_abs_i32 s12, s19
	s_waitcnt lgkmcnt(0)
	buffer_gl0_inv
	v_cvt_f32_u32_e32 v2, s12
	s_sub_i32 s2, 0, s12
                                        ; implicit-def: $sgpr31
	v_rcp_iflag_f32_e32 v2, v2
	v_mul_f32_e32 v2, 0x4f7ffffe, v2
	v_cvt_u32_f32_e32 v2, v2
	v_readfirstlane_b32 s21, v2
	s_mul_i32 s2, s2, s21
	s_mul_hi_u32 s2, s21, s2
	s_add_i32 s21, s21, s2
	s_cmp_lt_i32 s0, 0
	s_mul_hi_u32 s2, s3, s21
	s_cbranch_scc0 .LBB5_6
; %bb.5:
	s_mul_i32 s11, s16, s28
	s_add_i32 s11, s1, s11
	s_mul_i32 s11, s11, s0
	s_sub_i32 s31, 1, s11
	s_mov_b32 s11, 0
.LBB5_6:
	s_load_dwordx2 s[22:23], s[4:5], 0x28
	s_ashr_i32 s7, s7, 31
	s_andn2_b32 vcc_lo, exec_lo, s11
	s_ashr_i32 s19, s19, 31
	s_cbranch_vccnz .LBB5_8
; %bb.7:
	s_mul_i32 s11, s9, s16
	s_add_i32 s6, s11, s6
	s_mul_i32 s0, s6, s0
	s_add_i32 s31, s0, 1
.LBB5_8:
	s_load_dword s0, s[4:5], 0x38
	s_mul_i32 s6, s2, s12
	s_xor_b32 s15, s7, s19
	s_sub_i32 s3, s3, s6
	s_add_i32 s16, s2, 1
	s_clause 0x2
	s_load_dwordx2 s[6:7], s[4:5], 0x0
	s_load_dwordx2 s[26:27], s[4:5], 0x18
	s_load_dword s11, s[4:5], 0x88
	v_lshrrev_b32_e32 v39, 5, v0
	v_mov_b32_e32 v6, 0xff7fffff
	v_lshrrev_b32_e32 v4, 3, v0
	v_mbcnt_lo_u32_b32 v5, -1, 0
	s_mul_i32 s14, s1, s14
	v_lshlrev_b32_e32 v40, 3, v39
	s_mov_b32 s34, exec_lo
	s_waitcnt lgkmcnt(0)
	s_mul_i32 s24, s0, s10
	s_sub_i32 s0, s3, s12
	s_ashr_i32 s25, s24, 31
	s_cmp_ge_u32 s3, s12
	s_cselect_b32 s2, s16, s2
	s_cselect_b32 s0, s0, s3
	s_add_i32 s3, s2, 1
	s_cmp_ge_u32 s0, s12
	s_cselect_b32 s0, s3, s2
	s_add_i32 s2, s30, 7
	s_ashr_i32 s3, s2, 31
	s_lshr_b32 s3, s3, 29
	s_add_i32 s2, s2, s3
	s_ashr_i32 s16, s2, 3
	s_xor_b32 s2, s0, s15
	v_cmp_le_i32_e64 s0, s16, v39
	s_sub_i32 s28, s2, s15
	v_cmpx_gt_i32_e64 s16, v39
	s_cbranch_execz .LBB5_20
; %bb.9:
	s_load_dwordx2 s[2:3], s[4:5], 0x10
	s_ashr_i32 s15, s14, 31
	s_sub_i32 s4, s28, s17
	s_lshl_b64 s[36:37], s[14:15], 2
	v_bfe_u32 v7, v0, 2, 3
	v_cmp_eq_u32_e32 vcc_lo, 0, v1
	v_lshlrev_b32_e32 v15, 2, v1
	v_mul_u32_u24_e32 v8, 0x78, v1
	v_and_b32_e32 v1, 0x7c, v4
	v_lshlrev_b32_e32 v13, 2, v7
	v_subrev_nc_u32_e32 v14, s30, v7
	v_cmp_neq_f32_e64 s1, s33, 0
	v_lshlrev_b32_e32 v9, 3, v39
	v_mov_b32_e32 v10, 0xff7fffff
	v_lshl_or_b32 v16, v39, 5, v13
	v_add_nc_u32_e32 v13, 1, v14
	v_xor_b32_e32 v11, 2, v5
	v_xor_b32_e32 v12, 1, v5
	v_mov_b32_e32 v6, 0xff7fffff
	v_add_nc_u32_e32 v14, 0x200, v16
	s_waitcnt lgkmcnt(0)
	s_add_u32 s15, s2, s36
	s_addc_u32 s35, s3, s37
	s_abs_i32 s5, s18
	v_cvt_f32_u32_e32 v2, s5
	s_sub_i32 s2, 0, s5
	v_rcp_iflag_f32_e32 v2, v2
	v_mul_f32_e32 v2, 0x4f7ffffe, v2
	v_cvt_u32_f32_e32 v17, v2
	v_lshlrev_b32_e32 v2, 4, v7
	v_mul_lo_u32 v16, s2, v17
	s_lshl_b64 s[2:3], s[24:25], 2
	v_add_co_u32 v18, s15, s15, v2
	s_add_u32 s2, s22, s2
	v_add_co_ci_u32_e64 v19, null, s35, 0, s15
	s_addc_u32 s3, s23, s3
	v_mul_hi_u32 v20, v17, v16
	v_add_co_u32 v1, s2, s2, v1
	v_add_co_ci_u32_e64 v2, null, s3, 0, s2
	v_add_co_u32 v15, s2, v18, v15
	v_add_co_ci_u32_e64 v16, null, 0, v19, s2
	v_add_nc_u32_e32 v17, v17, v20
	v_mov_b32_e32 v18, v39
	s_mov_b32 s15, 0
	s_mov_b32 s35, s13
	s_branch .LBB5_12
.LBB5_10:                               ;   in Loop: Header=BB5_12 Depth=1
	s_or_b32 exec_lo, exec_lo, s36
.LBB5_11:                               ;   in Loop: Header=BB5_12 Depth=1
	s_or_b32 exec_lo, exec_lo, s3
	v_add_nc_u32_e32 v18, 4, v18
	v_add_co_u32 v1, s3, v1, 16
	v_add_co_ci_u32_e64 v2, null, 0, v2, s3
	v_cmp_le_i32_e64 s2, s16, v18
	v_add_nc_u32_e32 v9, 32, v9
	v_add_nc_u32_e32 v14, 0x80, v14
	s_or_b32 s15, s2, s15
	s_andn2_b32 exec_lo, exec_lo, s15
	s_cbranch_execz .LBB5_19
.LBB5_12:                               ; =>This Inner Loop Header: Depth=1
	v_mul_hi_u32 v19, v9, s21
	s_waitcnt lgkmcnt(0)
	v_mul_lo_u32 v20, v19, s12
	v_add_nc_u32_e32 v21, 1, v19
	v_sub_nc_u32_e32 v20, v9, v20
	v_subrev_nc_u32_e32 v22, s12, v20
	v_cmp_le_u32_e64 s2, s12, v20
	v_cndmask_b32_e64 v19, v19, v21, s2
	v_cndmask_b32_e64 v20, v20, v22, s2
	v_add_nc_u32_e32 v21, 1, v19
	v_cmp_le_u32_e64 s2, s12, v20
	v_cndmask_b32_e64 v19, v19, v21, s2
	v_xor_b32_e32 v19, s19, v19
	v_subrev_nc_u32_e32 v19, s19, v19
	v_add_nc_u32_e32 v20, s31, v19
	v_cmp_ge_i32_e64 s3, s4, v19
	v_sub_nc_u32_e32 v21, 0, v20
	v_max_i32_e32 v21, v20, v21
	v_ashrrev_i32_e32 v20, 31, v20
	v_mul_hi_u32 v22, v21, v17
	v_mul_lo_u32 v22, v22, s5
	v_sub_nc_u32_e32 v21, v21, v22
	v_subrev_nc_u32_e32 v22, s5, v21
	v_cmp_le_u32_e64 s2, s5, v21
	v_cndmask_b32_e64 v21, v21, v22, s2
	v_subrev_nc_u32_e32 v22, s5, v21
	v_cmp_le_u32_e64 s2, s5, v21
	v_cndmask_b32_e64 v21, v21, v22, s2
	v_xor_b32_e32 v21, v21, v20
	v_sub_nc_u32_e32 v20, v21, v20
	v_cmp_ne_u32_e64 s2, 0, v20
	s_and_b32 s2, s2, s3
	s_and_saveexec_b32 s3, s2
	s_xor_b32 s2, exec_lo, s3
	s_cbranch_execz .LBB5_16
; %bb.13:                               ;   in Loop: Header=BB5_12 Depth=1
	s_and_saveexec_b32 s3, vcc_lo
; %bb.14:                               ;   in Loop: Header=BB5_12 Depth=1
	ds_write_b32 v14, v10
; %bb.15:                               ;   in Loop: Header=BB5_12 Depth=1
	s_or_b32 exec_lo, exec_lo, s3
.LBB5_16:                               ;   in Loop: Header=BB5_12 Depth=1
	s_andn2_saveexec_b32 s3, s2
	s_cbranch_execz .LBB5_11
; %bb.17:                               ;   in Loop: Header=BB5_12 Depth=1
	global_load_dword v19, v[1:2], off
	s_waitcnt vmcnt(0)
	v_mad_i64_i32 v[19:20], null, v19, s35, 0
	v_lshlrev_b64 v[19:20], 2, v[19:20]
	v_add_co_u32 v19, s2, v15, v19
	v_add_co_ci_u32_e64 v20, null, v16, v20, s2
	s_clause 0xf
	global_load_dword v27, v[19:20], off offset:128
	global_load_dword v28, v[19:20], off
	global_load_dword v29, v[19:20], off offset:256
	global_load_dword v30, v[19:20], off offset:384
	;; [unrolled: 1-line block ×14, first 2 shown]
	v_add_co_u32 v19, s2, 0x800, v19
	v_add_co_ci_u32_e64 v20, null, 0, v20, s2
	v_cmp_gt_i32_e64 s2, 32, v11
	s_clause 0xd
	global_load_dword v45, v[19:20], off
	global_load_dword v46, v[19:20], off offset:128
	global_load_dword v47, v[19:20], off offset:256
	;; [unrolled: 1-line block ×13, first 2 shown]
	ds_read2_b64 v[19:22], v8 offset1:1
	ds_read2_b64 v[23:26], v8 offset0:2 offset1:3
	s_waitcnt vmcnt(29) lgkmcnt(1)
	v_mul_f32_e32 v27, v20, v27
	s_waitcnt vmcnt(28)
	v_fmac_f32_e32 v27, v19, v28
	s_waitcnt vmcnt(27)
	v_fmac_f32_e32 v27, v21, v29
	s_waitcnt vmcnt(26)
	v_fmac_f32_e32 v27, v22, v30
	ds_read2_b64 v[19:22], v8 offset0:4 offset1:5
	s_waitcnt vmcnt(25) lgkmcnt(1)
	v_fmac_f32_e32 v27, v23, v31
	s_waitcnt vmcnt(24)
	v_fmac_f32_e32 v27, v24, v32
	s_waitcnt vmcnt(23)
	v_fmac_f32_e32 v27, v25, v33
	s_waitcnt vmcnt(22)
	v_fmac_f32_e32 v27, v26, v34
	ds_read2_b64 v[23:26], v8 offset0:6 offset1:7
	s_waitcnt vmcnt(21) lgkmcnt(1)
	v_fmac_f32_e32 v27, v19, v35
	;; [unrolled: 9-line block ×5, first 2 shown]
	s_waitcnt vmcnt(8)
	v_fmac_f32_e32 v27, v24, v50
	ds_read_b64 v[23:24], v8 offset:112
	s_waitcnt vmcnt(7)
	v_fmac_f32_e32 v27, v25, v51
	s_waitcnt vmcnt(6)
	v_fmac_f32_e32 v27, v26, v52
	s_waitcnt vmcnt(5) lgkmcnt(1)
	v_fmac_f32_e32 v27, v19, v53
	v_cndmask_b32_e64 v19, v5, v11, s2
	v_cmp_gt_i32_e64 s2, 32, v12
	s_waitcnt vmcnt(4)
	v_fmac_f32_e32 v27, v20, v54
	v_lshlrev_b32_e32 v19, 2, v19
	v_cndmask_b32_e64 v20, v5, v12, s2
	s_waitcnt vmcnt(3)
	v_fmac_f32_e32 v27, v21, v55
	v_lshlrev_b32_e32 v20, 2, v20
	s_waitcnt vmcnt(2)
	v_fmac_f32_e32 v27, v22, v56
	s_waitcnt vmcnt(1) lgkmcnt(0)
	v_fmac_f32_e32 v27, v23, v57
	s_waitcnt vmcnt(0)
	v_fmac_f32_e32 v27, v24, v58
	ds_bpermute_b32 v19, v19, v27
	s_waitcnt lgkmcnt(0)
	v_add_f32_e32 v19, v27, v19
	ds_bpermute_b32 v20, v20, v19
	s_and_saveexec_b32 s36, vcc_lo
	s_cbranch_execz .LBB5_10
; %bb.18:                               ;   in Loop: Header=BB5_12 Depth=1
	v_add_nc_u32_e32 v21, v13, v9
	s_waitcnt lgkmcnt(0)
	v_add_f32_e32 v19, v19, v20
	v_cvt_f32_i32_e32 v21, v21
	v_mul_f32_e32 v21, s33, v21
	v_cndmask_b32_e64 v20, 0, v21, s1
	v_max_f32_e32 v21, v6, v6
	v_fmac_f32_e32 v20, s29, v19
	v_add_nc_u32_e32 v19, v7, v9
	v_max_f32_e32 v21, v21, v20
	v_cmp_gt_i32_e64 s2, s30, v19
	v_cndmask_b32_e64 v19, 0, v20, s2
	v_cndmask_b32_e64 v6, v6, v21, s2
	ds_write_b32 v14, v19
	s_branch .LBB5_10
.LBB5_19:
	s_or_b32 exec_lo, exec_lo, s15
.LBB5_20:
	s_or_b32 exec_lo, exec_lo, s34
	v_xor_b32_e32 v1, 16, v5
	v_xor_b32_e32 v2, 8, v5
	v_max_f32_e32 v8, v6, v6
	v_cmp_gt_i32_e32 vcc_lo, 32, v1
	v_cndmask_b32_e32 v1, v5, v1, vcc_lo
	v_cmp_gt_i32_e32 vcc_lo, 32, v2
	v_lshlrev_b32_e32 v7, 2, v1
	v_cndmask_b32_e32 v2, v5, v2, vcc_lo
	ds_bpermute_b32 v1, v7, v6
	v_lshlrev_b32_e32 v6, 2, v2
	s_waitcnt lgkmcnt(0)
	v_max_f32_e32 v1, v1, v1
	v_max_f32_e32 v1, v8, v1
	v_xor_b32_e32 v8, 4, v5
	ds_bpermute_b32 v2, v6, v1
	v_cmp_gt_i32_e32 vcc_lo, 32, v8
	v_cndmask_b32_e32 v8, v5, v8, vcc_lo
	v_lshlrev_b32_e32 v10, 2, v8
	v_lshlrev_b32_e32 v8, 2, v39
	s_waitcnt lgkmcnt(0)
	v_max_f32_e32 v2, v2, v2
	v_max_f32_e32 v2, v1, v2
	v_and_b32_e32 v1, 31, v0
	ds_bpermute_b32 v9, v10, v2
	v_cmp_eq_u32_e32 vcc_lo, 0, v1
	s_and_saveexec_b32 s1, vcc_lo
	s_cbranch_execz .LBB5_22
; %bb.21:
	s_waitcnt lgkmcnt(0)
	v_max_f32_e32 v9, v9, v9
	v_max_f32_e32 v2, v2, v2
	;; [unrolled: 1-line block ×3, first 2 shown]
	ds_write_b32 v8, v2 offset:480
.LBB5_22:
	s_or_b32 exec_lo, exec_lo, s1
	v_cmp_gt_u32_e64 s1, 4, v1
	v_mov_b32_e32 v2, 0xff7fffff
	s_waitcnt lgkmcnt(0)
	v_lshlrev_b32_e32 v9, 2, v1
	s_barrier
	buffer_gl0_inv
	s_and_saveexec_b32 s2, s1
; %bb.23:
	ds_read_b32 v2, v9 offset:480
; %bb.24:
	s_or_b32 exec_lo, exec_lo, s2
	v_xor_b32_e32 v11, 2, v5
	v_xor_b32_e32 v13, 1, v5
	v_cmp_gt_i32_e64 s2, 32, v11
	v_cndmask_b32_e64 v11, v5, v11, s2
	v_cmp_gt_i32_e64 s2, 32, v13
	v_lshlrev_b32_e32 v11, 2, v11
	v_cndmask_b32_e64 v5, v5, v13, s2
	s_lshl_b32 s2, s16, 3
	s_min_i32 s4, s2, s30
	s_waitcnt lgkmcnt(0)
	ds_bpermute_b32 v12, v11, v2
	v_max_f32_e32 v2, v2, v2
	v_lshlrev_b32_e32 v42, 2, v5
	v_cmp_gt_i32_e64 s2, s4, v0
	s_waitcnt lgkmcnt(0)
	v_max_f32_e32 v12, v12, v12
	v_max_f32_e32 v2, v2, v12
	ds_bpermute_b32 v5, v42, v2
	s_waitcnt lgkmcnt(0)
	v_max_f32_e32 v5, v5, v5
	v_max_f32_e32 v2, v2, v5
	v_mov_b32_e32 v5, 0
	ds_bpermute_b32 v12, v5, v2
	v_lshl_add_u32 v2, v0, 2, 0x200
	s_and_saveexec_b32 s5, s2
	s_cbranch_execz .LBB5_28
; %bb.25:
	v_lshl_add_u32 v13, v0, 2, 0x200
	v_mov_b32_e32 v5, 0
	v_mov_b32_e32 v14, v0
	s_mov_b32 s15, 0
	.p2align	6
.LBB5_26:                               ; =>This Inner Loop Header: Depth=1
	ds_read_b32 v15, v13
	v_add_nc_u32_e32 v14, 0x80, v14
	v_cmp_le_i32_e64 s3, s4, v14
	s_or_b32 s15, s3, s15
	s_waitcnt lgkmcnt(0)
	v_sub_f32_e32 v15, v15, v12
	v_mul_f32_e32 v15, 0x3fb8aa3b, v15
	v_exp_f32_e32 v15, v15
	ds_write_b32 v13, v15
	v_add_f32_e32 v5, v5, v15
	v_add_nc_u32_e32 v13, 0x200, v13
	s_andn2_b32 exec_lo, exec_lo, s15
	s_cbranch_execnz .LBB5_26
; %bb.27:
	s_or_b32 exec_lo, exec_lo, s15
.LBB5_28:
	s_or_b32 exec_lo, exec_lo, s5
	ds_bpermute_b32 v7, v7, v5
	s_waitcnt lgkmcnt(0)
	v_add_f32_e32 v5, v5, v7
	ds_bpermute_b32 v6, v6, v5
	s_waitcnt lgkmcnt(0)
	v_add_f32_e32 v5, v5, v6
	;; [unrolled: 3-line block ×5, first 2 shown]
	s_and_saveexec_b32 s3, vcc_lo
; %bb.29:
	ds_write_b32 v8, v5 offset:496
; %bb.30:
	s_or_b32 exec_lo, exec_lo, s3
	s_waitcnt lgkmcnt(0)
	s_barrier
	buffer_gl0_inv
	s_and_saveexec_b32 s3, s1
; %bb.31:
	ds_read_b32 v5, v9 offset:496
; %bb.32:
	s_or_b32 exec_lo, exec_lo, s3
	s_waitcnt lgkmcnt(0)
	ds_bpermute_b32 v6, v11, v5
	s_waitcnt lgkmcnt(0)
	v_add_f32_e32 v5, v5, v6
	ds_bpermute_b32 v6, v42, v5
	s_waitcnt lgkmcnt(0)
	v_add_f32_e32 v5, v5, v6
	v_mov_b32_e32 v6, 0
	ds_bpermute_b32 v5, v6, v5
	s_and_saveexec_b32 s1, s2
	s_cbranch_execz .LBB5_35
; %bb.33:
	s_waitcnt lgkmcnt(0)
	v_add_f32_e32 v5, 0x358637bd, v5
	s_mov_b32 s2, 0
	v_div_scale_f32 v6, null, v5, v5, 1.0
	v_div_scale_f32 v9, vcc_lo, 1.0, v5, 1.0
	v_rcp_f32_e32 v7, v6
	v_fma_f32 v8, -v6, v7, 1.0
	v_fmac_f32_e32 v7, v8, v7
	v_mul_f32_e32 v8, v9, v7
	v_fma_f32 v10, -v6, v8, v9
	v_fmac_f32_e32 v8, v10, v7
	v_fma_f32 v6, -v6, v8, v9
	v_div_fmas_f32 v6, v6, v7, v8
	v_div_fixup_f32 v5, v6, v5, 1.0
	v_mov_b32_e32 v6, v0
.LBB5_34:                               ; =>This Inner Loop Header: Depth=1
	ds_read_b32 v7, v2
	v_add_nc_u32_e32 v6, 0x80, v6
	v_cmp_le_i32_e32 vcc_lo, s4, v6
	s_or_b32 s2, vcc_lo, s2
	s_waitcnt lgkmcnt(0)
	v_mul_f32_e32 v7, v5, v7
	ds_write_b32 v2, v7
	v_add_nc_u32_e32 v2, 0x200, v2
	s_andn2_b32 exec_lo, exec_lo, s2
	s_cbranch_execnz .LBB5_34
.LBB5_35:
	s_or_b32 exec_lo, exec_lo, s1
	v_lshrrev_b32_e32 v41, 1, v1
	s_waitcnt lgkmcnt(0)
	s_barrier
	buffer_gl0_inv
	s_and_saveexec_b32 s1, s0
	s_xor_b32 s0, exec_lo, s1
; %bb.36:
	v_lshrrev_b32_e32 v41, 1, v1
                                        ; implicit-def: $vgpr40
                                        ; implicit-def: $vgpr3
                                        ; implicit-def: $vgpr4
; %bb.37:
	s_or_saveexec_b32 s2, s0
	v_mov_b32_e32 v50, 0
	v_and_b32_e32 v43, 1, v0
	v_mov_b32_e32 v51, 0
	v_mov_b32_e32 v49, 0
	;; [unrolled: 1-line block ×7, first 2 shown]
	s_xor_b32 exec_lo, exec_lo, s2
	s_cbranch_execz .LBB5_61
; %bb.38:
	s_ashr_i32 s15, s14, 31
	s_sub_i32 s3, s28, s17
	s_lshl_b64 s[0:1], s[14:15], 2
	v_and_b32_e32 v52, 4, v3
	s_add_u32 s4, s26, s0
	s_addc_u32 s5, s27, s1
	s_abs_i32 s14, s18
	v_or_b32_e32 v2, 0x70, v41
	v_cvt_f32_u32_e32 v1, s14
	s_sub_i32 s0, 0, s14
	v_and_b32_e32 v3, 0x7c, v4
	v_lshlrev_b32_e32 v4, 4, v43
	s_add_i32 s15, s16, -1
	v_rcp_iflag_f32_e32 v1, v1
	v_lshl_or_b32 v6, v41, 3, v52
	v_cmp_gt_u32_e32 vcc_lo, 0x78, v2
	v_lshl_or_b32 v4, v39, 5, v4
	v_lshl_or_b32 v2, v2, 3, v52
	v_mov_b32_e32 v44, 0
	v_mov_b32_e32 v45, 0
	;; [unrolled: 1-line block ×5, first 2 shown]
	v_mul_f32_e32 v1, 0x4f7ffffe, v1
	v_mov_b32_e32 v49, 0
	v_mov_b32_e32 v51, 0
	;; [unrolled: 1-line block ×3, first 2 shown]
	v_add_nc_u32_e32 v53, 0x200, v4
	v_cvt_u32_f32_e32 v1, v1
	v_lshlrev_b32_e32 v54, 2, v6
	v_lshlrev_b32_e32 v55, 2, v2
	v_mov_b32_e32 v57, v39
	s_mov_b32 s17, s13
	v_mul_lo_u32 v5, s0, v1
	s_lshl_b64 s[0:1], s[24:25], 2
	s_mov_b32 s13, 0
	s_add_u32 s0, s22, s0
	s_addc_u32 s1, s23, s1
	v_add_co_u32 v37, s0, s0, v3
	v_add_co_ci_u32_e64 v38, null, s1, 0, s0
	v_mul_hi_u32 v5, v1, v5
	v_add_nc_u32_e32 v56, v1, v5
	s_branch .LBB5_42
.LBB5_39:                               ;   in Loop: Header=BB5_42 Depth=1
	s_or_b32 exec_lo, exec_lo, s1
	s_waitcnt vmcnt(0) lgkmcnt(0)
	v_mul_f32_e32 v33, v5, v33
	v_fmac_f32_e32 v33, v6, v34
	v_fmac_f32_e32 v33, v7, v35
	;; [unrolled: 1-line block ×3, first 2 shown]
	v_add_f32_e32 v44, v44, v33
.LBB5_40:                               ;   in Loop: Header=BB5_42 Depth=1
	s_or_b32 exec_lo, exec_lo, s22
	s_waitcnt vmcnt(0) lgkmcnt(0)
	v_mul_f32_e32 v29, v5, v29
	v_mul_f32_e32 v25, v5, v25
	;; [unrolled: 1-line block ×7, first 2 shown]
	v_fmac_f32_e32 v29, v6, v30
	v_fmac_f32_e32 v25, v6, v26
	;; [unrolled: 1-line block ×21, first 2 shown]
	v_add_f32_e32 v45, v45, v29
	v_add_f32_e32 v46, v46, v25
	;; [unrolled: 1-line block ×7, first 2 shown]
.LBB5_41:                               ;   in Loop: Header=BB5_42 Depth=1
	s_or_b32 exec_lo, exec_lo, s18
	v_add_nc_u32_e32 v57, 4, v57
	v_add_co_u32 v37, s1, v37, 16
	v_add_co_ci_u32_e64 v38, null, 0, v38, s1
	v_cmp_le_i32_e64 s0, s16, v57
	v_add_nc_u32_e32 v40, 32, v40
	v_add_nc_u32_e32 v53, 0x80, v53
	s_or_b32 s13, s0, s13
	s_andn2_b32 exec_lo, exec_lo, s13
	s_cbranch_execz .LBB5_60
.LBB5_42:                               ; =>This Inner Loop Header: Depth=1
	v_mul_hi_u32 v1, v40, s21
	v_mul_lo_u32 v2, v1, s12
	v_add_nc_u32_e32 v3, 1, v1
	v_sub_nc_u32_e32 v2, v40, v2
	v_subrev_nc_u32_e32 v4, s12, v2
	v_cmp_le_u32_e64 s0, s12, v2
	v_cndmask_b32_e64 v1, v1, v3, s0
	v_cndmask_b32_e64 v2, v2, v4, s0
	v_add_nc_u32_e32 v3, 1, v1
	v_cmp_le_u32_e64 s0, s12, v2
	v_cndmask_b32_e64 v1, v1, v3, s0
	v_xor_b32_e32 v1, s19, v1
	v_subrev_nc_u32_e32 v1, s19, v1
	v_add_nc_u32_e32 v2, s31, v1
	v_cmp_lt_i32_e64 s1, s3, v1
	v_sub_nc_u32_e32 v3, 0, v2
	v_max_i32_e32 v3, v2, v3
	v_ashrrev_i32_e32 v2, 31, v2
	v_mul_hi_u32 v4, v3, v56
	v_mul_lo_u32 v4, v4, s14
	v_sub_nc_u32_e32 v3, v3, v4
	v_subrev_nc_u32_e32 v4, s14, v3
	v_cmp_le_u32_e64 s0, s14, v3
	v_cndmask_b32_e64 v3, v3, v4, s0
	v_subrev_nc_u32_e32 v4, s14, v3
	v_cmp_le_u32_e64 s0, s14, v3
	v_cndmask_b32_e64 v3, v3, v4, s0
	v_xor_b32_e32 v3, v3, v2
	v_sub_nc_u32_e32 v2, v3, v2
	v_cmp_eq_u32_e64 s0, 0, v2
	s_or_b32 s0, s0, s1
	s_and_saveexec_b32 s18, s0
	s_cbranch_execz .LBB5_41
; %bb.43:                               ;   in Loop: Header=BB5_42 Depth=1
	global_load_dword v1, v[37:38], off
	ds_read_b128 v[5:8], v53
	v_add_nc_u32_e32 v58, v52, v40
	s_waitcnt vmcnt(0)
	v_mad_i64_i32 v[1:2], null, v1, s17, 0
	v_lshlrev_b64 v[1:2], 2, v[1:2]
	v_add_co_u32 v33, s0, s4, v1
	v_add_co_ci_u32_e64 v34, null, s5, v2, s0
	v_add_co_u32 v21, s0, v33, v54
	v_add_co_ci_u32_e64 v22, null, 0, v34, s0
	v_cmp_eq_u32_e64 s0, s15, v57
	global_load_dwordx4 v[1:4], v[21:22], off
	s_and_saveexec_b32 s22, s0
	s_cbranch_execnz .LBB5_52
; %bb.44:                               ;   in Loop: Header=BB5_42 Depth=1
	s_or_b32 exec_lo, exec_lo, s22
	global_load_dwordx4 v[9:12], v[21:22], off offset:512
	s_and_saveexec_b32 s22, s0
	s_cbranch_execnz .LBB5_53
.LBB5_45:                               ;   in Loop: Header=BB5_42 Depth=1
	s_or_b32 exec_lo, exec_lo, s22
	global_load_dwordx4 v[13:16], v[21:22], off offset:1024
	s_and_saveexec_b32 s22, s0
	s_cbranch_execnz .LBB5_54
.LBB5_46:                               ;   in Loop: Header=BB5_42 Depth=1
	s_or_b32 exec_lo, exec_lo, s22
	global_load_dwordx4 v[17:20], v[21:22], off offset:1536
	s_and_saveexec_b32 s22, s0
	s_cbranch_execz .LBB5_48
.LBB5_47:                               ;   in Loop: Header=BB5_42 Depth=1
	v_add_nc_u32_e32 v23, 1, v58
	v_cmp_gt_i32_e64 s1, s30, v58
	v_add_nc_u32_e32 v24, 2, v58
	v_add_nc_u32_e32 v25, 3, v58
	s_waitcnt vmcnt(0)
	v_cndmask_b32_e64 v17, 0, v17, s1
	v_cmp_gt_i32_e64 s1, s30, v23
	v_cndmask_b32_e64 v18, 0, v18, s1
	v_cmp_gt_i32_e64 s1, s30, v24
	;; [unrolled: 2-line block ×3, first 2 shown]
	v_cndmask_b32_e64 v20, 0, v20, s1
.LBB5_48:                               ;   in Loop: Header=BB5_42 Depth=1
	s_or_b32 exec_lo, exec_lo, s22
	v_add_co_u32 v29, s1, 0x800, v21
	v_add_co_ci_u32_e64 v30, null, 0, v22, s1
	global_load_dwordx4 v[21:24], v[29:30], off
	s_and_saveexec_b32 s22, s0
	s_cbranch_execnz .LBB5_55
; %bb.49:                               ;   in Loop: Header=BB5_42 Depth=1
	s_or_b32 exec_lo, exec_lo, s22
	global_load_dwordx4 v[25:28], v[29:30], off offset:512
	s_and_saveexec_b32 s22, s0
	s_cbranch_execnz .LBB5_56
.LBB5_50:                               ;   in Loop: Header=BB5_42 Depth=1
	s_or_b32 exec_lo, exec_lo, s22
	global_load_dwordx4 v[29:32], v[29:30], off offset:1024
	s_and_saveexec_b32 s22, s0
	s_cbranch_execnz .LBB5_57
.LBB5_51:                               ;   in Loop: Header=BB5_42 Depth=1
	s_or_b32 exec_lo, exec_lo, s22
	s_and_saveexec_b32 s22, vcc_lo
	s_cbranch_execz .LBB5_40
	s_branch .LBB5_58
.LBB5_52:                               ;   in Loop: Header=BB5_42 Depth=1
	v_add_nc_u32_e32 v9, 1, v58
	v_cmp_gt_i32_e64 s1, s30, v58
	v_add_nc_u32_e32 v10, 2, v58
	v_add_nc_u32_e32 v11, 3, v58
	s_waitcnt vmcnt(0)
	v_cndmask_b32_e64 v1, 0, v1, s1
	v_cmp_gt_i32_e64 s1, s30, v9
	v_cndmask_b32_e64 v2, 0, v2, s1
	v_cmp_gt_i32_e64 s1, s30, v10
	;; [unrolled: 2-line block ×3, first 2 shown]
	v_cndmask_b32_e64 v4, 0, v4, s1
	s_or_b32 exec_lo, exec_lo, s22
	global_load_dwordx4 v[9:12], v[21:22], off offset:512
	s_and_saveexec_b32 s22, s0
	s_cbranch_execz .LBB5_45
.LBB5_53:                               ;   in Loop: Header=BB5_42 Depth=1
	v_add_nc_u32_e32 v13, 1, v58
	v_cmp_gt_i32_e64 s1, s30, v58
	v_add_nc_u32_e32 v14, 2, v58
	v_add_nc_u32_e32 v15, 3, v58
	s_waitcnt vmcnt(0)
	v_cndmask_b32_e64 v9, 0, v9, s1
	v_cmp_gt_i32_e64 s1, s30, v13
	v_cndmask_b32_e64 v10, 0, v10, s1
	v_cmp_gt_i32_e64 s1, s30, v14
	;; [unrolled: 2-line block ×3, first 2 shown]
	v_cndmask_b32_e64 v12, 0, v12, s1
	s_or_b32 exec_lo, exec_lo, s22
	global_load_dwordx4 v[13:16], v[21:22], off offset:1024
	s_and_saveexec_b32 s22, s0
	s_cbranch_execz .LBB5_46
.LBB5_54:                               ;   in Loop: Header=BB5_42 Depth=1
	v_add_nc_u32_e32 v17, 1, v58
	v_cmp_gt_i32_e64 s1, s30, v58
	v_add_nc_u32_e32 v18, 2, v58
	v_add_nc_u32_e32 v19, 3, v58
	s_waitcnt vmcnt(0)
	v_cndmask_b32_e64 v13, 0, v13, s1
	v_cmp_gt_i32_e64 s1, s30, v17
	v_cndmask_b32_e64 v14, 0, v14, s1
	v_cmp_gt_i32_e64 s1, s30, v18
	;; [unrolled: 2-line block ×3, first 2 shown]
	v_cndmask_b32_e64 v16, 0, v16, s1
	s_or_b32 exec_lo, exec_lo, s22
	global_load_dwordx4 v[17:20], v[21:22], off offset:1536
	s_and_saveexec_b32 s22, s0
	s_cbranch_execnz .LBB5_47
	s_branch .LBB5_48
.LBB5_55:                               ;   in Loop: Header=BB5_42 Depth=1
	v_add_nc_u32_e32 v25, 1, v58
	v_cmp_gt_i32_e64 s1, s30, v58
	v_add_nc_u32_e32 v26, 2, v58
	v_add_nc_u32_e32 v27, 3, v58
	s_waitcnt vmcnt(0)
	v_cndmask_b32_e64 v21, 0, v21, s1
	v_cmp_gt_i32_e64 s1, s30, v25
	v_cndmask_b32_e64 v22, 0, v22, s1
	v_cmp_gt_i32_e64 s1, s30, v26
	;; [unrolled: 2-line block ×3, first 2 shown]
	v_cndmask_b32_e64 v24, 0, v24, s1
	s_or_b32 exec_lo, exec_lo, s22
	global_load_dwordx4 v[25:28], v[29:30], off offset:512
	s_and_saveexec_b32 s22, s0
	s_cbranch_execz .LBB5_50
.LBB5_56:                               ;   in Loop: Header=BB5_42 Depth=1
	v_add_nc_u32_e32 v31, 1, v58
	v_cmp_gt_i32_e64 s1, s30, v58
	v_add_nc_u32_e32 v32, 2, v58
	v_add_nc_u32_e32 v35, 3, v58
	s_waitcnt vmcnt(0)
	v_cndmask_b32_e64 v25, 0, v25, s1
	v_cmp_gt_i32_e64 s1, s30, v31
	v_cndmask_b32_e64 v26, 0, v26, s1
	v_cmp_gt_i32_e64 s1, s30, v32
	;; [unrolled: 2-line block ×3, first 2 shown]
	v_cndmask_b32_e64 v28, 0, v28, s1
	s_or_b32 exec_lo, exec_lo, s22
	global_load_dwordx4 v[29:32], v[29:30], off offset:1024
	s_and_saveexec_b32 s22, s0
	s_cbranch_execz .LBB5_51
.LBB5_57:                               ;   in Loop: Header=BB5_42 Depth=1
	v_add_nc_u32_e32 v35, 1, v58
	v_cmp_gt_i32_e64 s1, s30, v58
	v_add_nc_u32_e32 v36, 2, v58
	v_add_nc_u32_e32 v59, 3, v58
	s_waitcnt vmcnt(0)
	v_cndmask_b32_e64 v29, 0, v29, s1
	v_cmp_gt_i32_e64 s1, s30, v35
	v_cndmask_b32_e64 v30, 0, v30, s1
	v_cmp_gt_i32_e64 s1, s30, v36
	;; [unrolled: 2-line block ×3, first 2 shown]
	v_cndmask_b32_e64 v32, 0, v32, s1
	s_or_b32 exec_lo, exec_lo, s22
	s_and_saveexec_b32 s22, vcc_lo
	s_cbranch_execz .LBB5_40
.LBB5_58:                               ;   in Loop: Header=BB5_42 Depth=1
	v_add_co_u32 v33, s1, v33, v55
	v_add_co_ci_u32_e64 v34, null, 0, v34, s1
	global_load_dwordx4 v[33:36], v[33:34], off
	s_and_saveexec_b32 s1, s0
	s_cbranch_execz .LBB5_39
; %bb.59:                               ;   in Loop: Header=BB5_42 Depth=1
	v_add_nc_u32_e32 v59, 1, v58
	v_cmp_gt_i32_e64 s0, s30, v58
	v_add_nc_u32_e32 v60, 2, v58
	v_add_nc_u32_e32 v58, 3, v58
	s_waitcnt vmcnt(0)
	v_cndmask_b32_e64 v33, 0, v33, s0
	v_cmp_gt_i32_e64 s0, s30, v59
	v_cndmask_b32_e64 v34, 0, v34, s0
	v_cmp_gt_i32_e64 s0, s30, v60
	;; [unrolled: 2-line block ×3, first 2 shown]
	v_cndmask_b32_e64 v36, 0, v36, s0
	s_branch .LBB5_39
.LBB5_60:
	s_or_b32 exec_lo, exec_lo, s13
.LBB5_61:
	s_or_b32 exec_lo, exec_lo, s2
	ds_bpermute_b32 v1, v42, v50
	ds_bpermute_b32 v3, v42, v51
	;; [unrolled: 1-line block ×8, first 2 shown]
	s_movk_i32 s0, 0x1e0
	v_and_b32_e32 v11, 0x3c0, v0
	v_mad_u32_u24 v9, v39, s0, 0x200
	s_mov_b32 s1, exec_lo
	v_cmp_eq_u32_e32 vcc_lo, 0, v43
	s_waitcnt lgkmcnt(0)
	s_barrier
	buffer_gl0_inv
	v_add_f32_e32 v2, v50, v1
	v_add_f32_e32 v3, v51, v3
	v_add_f32_e32 v4, v49, v4
	v_add_f32_e32 v5, v48, v5
	v_add_f32_e32 v6, v47, v6
	v_add_f32_e32 v7, v46, v7
	v_add_f32_e32 v8, v45, v8
	v_add_f32_e32 v1, v44, v10
	v_cmpx_eq_u32_e32 64, v11
	s_cbranch_execz .LBB5_66
; %bb.62:
	v_add_nc_u32_e32 v10, 0xfffffc40, v9
	s_and_saveexec_b32 s0, vcc_lo
	s_cbranch_execz .LBB5_64
; %bb.63:
	v_lshl_add_u32 v11, v41, 2, v10
	ds_write2_b32 v11, v2, v3 offset1:16
	ds_write2_b32 v11, v4, v5 offset0:32 offset1:48
	ds_write2_b32 v11, v6, v7 offset0:64 offset1:80
	ds_write_b32 v11, v8 offset:384
.LBB5_64:
	s_or_b32 exec_lo, exec_lo, s0
	v_or_b32_e32 v11, 0x70, v41
	v_cmp_gt_u32_e64 s0, 0x78, v11
	s_and_b32 s0, vcc_lo, s0
	s_and_b32 exec_lo, exec_lo, s0
; %bb.65:
	v_lshl_add_u32 v10, v11, 2, v10
	ds_write_b32 v10, v1
.LBB5_66:
	s_or_b32 exec_lo, exec_lo, s1
	s_mov_b32 s1, exec_lo
	s_waitcnt lgkmcnt(0)
	s_barrier
	buffer_gl0_inv
	v_cmpx_gt_u32_e32 64, v0
	s_cbranch_execz .LBB5_78
; %bb.67:
	s_and_saveexec_b32 s0, vcc_lo
	s_cbranch_execnz .LBB5_101
; %bb.68:
	s_or_b32 exec_lo, exec_lo, s0
	s_and_saveexec_b32 s0, vcc_lo
	s_cbranch_execnz .LBB5_102
.LBB5_69:
	s_or_b32 exec_lo, exec_lo, s0
	s_and_saveexec_b32 s0, vcc_lo
	s_cbranch_execnz .LBB5_103
.LBB5_70:
	s_or_b32 exec_lo, exec_lo, s0
	s_and_saveexec_b32 s0, vcc_lo
	s_cbranch_execnz .LBB5_104
.LBB5_71:
	s_or_b32 exec_lo, exec_lo, s0
	s_and_saveexec_b32 s0, vcc_lo
	s_cbranch_execnz .LBB5_105
.LBB5_72:
	s_or_b32 exec_lo, exec_lo, s0
	s_and_saveexec_b32 s0, vcc_lo
	s_cbranch_execnz .LBB5_106
.LBB5_73:
	s_or_b32 exec_lo, exec_lo, s0
	s_and_saveexec_b32 s0, vcc_lo
	s_cbranch_execz .LBB5_75
.LBB5_74:
	v_lshl_add_u32 v10, v41, 2, v9
	ds_read_b32 v10, v10 offset:384
	s_waitcnt lgkmcnt(0)
	v_add_f32_e32 v8, v8, v10
.LBB5_75:
	s_or_b32 exec_lo, exec_lo, s0
	v_or_b32_e32 v10, 0x70, v41
	v_cmp_gt_u32_e64 s0, 0x78, v10
	s_and_b32 s2, vcc_lo, s0
	s_and_saveexec_b32 s0, s2
	s_cbranch_execz .LBB5_77
; %bb.76:
	v_lshl_add_u32 v10, v41, 2, v9
	ds_read_b32 v10, v10 offset:448
	s_waitcnt lgkmcnt(0)
	v_add_f32_e32 v1, v1, v10
.LBB5_77:
	s_or_b32 exec_lo, exec_lo, s0
.LBB5_78:
	s_or_b32 exec_lo, exec_lo, s1
	v_and_b32_e32 v10, 0x3e0, v0
	s_mov_b32 s1, exec_lo
	s_barrier
	buffer_gl0_inv
	v_cmpx_eq_u32_e32 32, v10
	s_cbranch_execz .LBB5_83
; %bb.79:
	v_lshl_add_u32 v10, v41, 2, 0x200
	s_and_saveexec_b32 s0, vcc_lo
	s_cbranch_execz .LBB5_81
; %bb.80:
	ds_write2_b32 v10, v2, v3 offset1:16
	ds_write2_b32 v10, v4, v5 offset0:32 offset1:48
	ds_write2_b32 v10, v6, v7 offset0:64 offset1:80
	ds_write_b32 v10, v8 offset:384
.LBB5_81:
	s_or_b32 exec_lo, exec_lo, s0
	v_or_b32_e32 v11, 0x70, v41
	v_cmp_gt_u32_e64 s0, 0x78, v11
	s_and_b32 s0, vcc_lo, s0
	s_and_b32 exec_lo, exec_lo, s0
; %bb.82:
	ds_write_b32 v10, v1 offset:448
.LBB5_83:
	s_or_b32 exec_lo, exec_lo, s1
	v_cmp_gt_u32_e64 s0, 32, v0
	s_waitcnt lgkmcnt(0)
	s_barrier
	buffer_gl0_inv
	s_and_saveexec_b32 s2, s0
	s_cbranch_execz .LBB5_95
; %bb.84:
	v_lshl_add_u32 v9, v41, 2, v9
	s_and_saveexec_b32 s1, vcc_lo
	s_cbranch_execnz .LBB5_107
; %bb.85:
	s_or_b32 exec_lo, exec_lo, s1
	s_and_saveexec_b32 s1, vcc_lo
	s_cbranch_execnz .LBB5_108
.LBB5_86:
	s_or_b32 exec_lo, exec_lo, s1
	s_and_saveexec_b32 s1, vcc_lo
	s_cbranch_execnz .LBB5_109
.LBB5_87:
	s_or_b32 exec_lo, exec_lo, s1
	s_and_saveexec_b32 s1, vcc_lo
	s_cbranch_execnz .LBB5_110
.LBB5_88:
	s_or_b32 exec_lo, exec_lo, s1
	s_and_saveexec_b32 s1, vcc_lo
	s_cbranch_execnz .LBB5_111
.LBB5_89:
	s_or_b32 exec_lo, exec_lo, s1
	s_and_saveexec_b32 s1, vcc_lo
	s_cbranch_execnz .LBB5_112
.LBB5_90:
	s_or_b32 exec_lo, exec_lo, s1
	s_and_saveexec_b32 s1, vcc_lo
	s_cbranch_execz .LBB5_92
.LBB5_91:
	ds_read_b32 v10, v9 offset:384
	s_waitcnt lgkmcnt(0)
	v_add_f32_e32 v8, v8, v10
.LBB5_92:
	s_or_b32 exec_lo, exec_lo, s1
	v_or_b32_e32 v10, 0x70, v41
	v_cmp_gt_u32_e64 s1, 0x78, v10
	s_and_b32 s3, vcc_lo, s1
	s_and_saveexec_b32 s1, s3
	s_cbranch_execz .LBB5_94
; %bb.93:
	ds_read_b32 v9, v9 offset:448
	s_waitcnt lgkmcnt(0)
	v_add_f32_e32 v1, v1, v9
.LBB5_94:
	s_or_b32 exec_lo, exec_lo, s1
.LBB5_95:
	s_or_b32 exec_lo, exec_lo, s2
	s_barrier
	buffer_gl0_inv
	s_and_saveexec_b32 s1, s0
	s_cbranch_execz .LBB5_100
; %bb.96:
	s_mul_i32 s0, s10, s11
	s_mul_i32 s2, s11, s20
	s_mul_i32 s0, s0, s9
	v_lshrrev_b32_e32 v9, 1, v0
	s_mulk_i32 s0, 0x78
	s_ashr_i32 s1, s0, 31
	v_lshlrev_b32_e32 v0, 2, v9
	s_lshl_b64 s[0:1], s[0:1], 2
	s_add_u32 s4, s6, s0
	s_addc_u32 s1, s7, s1
	s_ashr_i32 s3, s2, 31
	s_mul_i32 s0, s8, 0x78
	s_lshl_b64 s[2:3], s[2:3], 2
	s_add_u32 s2, s4, s2
	s_addc_u32 s3, s1, s3
	s_ashr_i32 s1, s0, 31
	s_lshl_b64 s[0:1], s[0:1], 2
	s_add_u32 s2, s2, s0
	s_addc_u32 s3, s3, s1
	s_and_saveexec_b32 s0, vcc_lo
	s_cbranch_execz .LBB5_98
; %bb.97:
	global_store_dword v0, v2, s[2:3]
	global_store_dword v0, v3, s[2:3] offset:64
	global_store_dword v0, v4, s[2:3] offset:128
	;; [unrolled: 1-line block ×6, first 2 shown]
.LBB5_98:
	s_or_b32 exec_lo, exec_lo, s0
	v_or_b32_e32 v2, 0x70, v9
	v_cmp_gt_u32_e64 s0, 0x78, v2
	s_and_b32 s0, vcc_lo, s0
	s_and_b32 exec_lo, exec_lo, s0
	s_cbranch_execz .LBB5_100
; %bb.99:
	global_store_dword v0, v1, s[2:3] offset:448
.LBB5_100:
	s_endpgm
.LBB5_101:
	v_lshl_add_u32 v10, v41, 2, v9
	ds_read_b32 v10, v10
	s_waitcnt lgkmcnt(0)
	v_add_f32_e32 v2, v2, v10
	s_or_b32 exec_lo, exec_lo, s0
	s_and_saveexec_b32 s0, vcc_lo
	s_cbranch_execz .LBB5_69
.LBB5_102:
	v_lshl_add_u32 v10, v41, 2, v9
	ds_read_b32 v10, v10 offset:64
	s_waitcnt lgkmcnt(0)
	v_add_f32_e32 v3, v3, v10
	s_or_b32 exec_lo, exec_lo, s0
	s_and_saveexec_b32 s0, vcc_lo
	s_cbranch_execz .LBB5_70
.LBB5_103:
	v_lshl_add_u32 v10, v41, 2, v9
	ds_read_b32 v10, v10 offset:128
	s_waitcnt lgkmcnt(0)
	v_add_f32_e32 v4, v4, v10
	s_or_b32 exec_lo, exec_lo, s0
	s_and_saveexec_b32 s0, vcc_lo
	s_cbranch_execz .LBB5_71
.LBB5_104:
	v_lshl_add_u32 v10, v41, 2, v9
	ds_read_b32 v10, v10 offset:192
	s_waitcnt lgkmcnt(0)
	v_add_f32_e32 v5, v5, v10
	s_or_b32 exec_lo, exec_lo, s0
	s_and_saveexec_b32 s0, vcc_lo
	s_cbranch_execz .LBB5_72
.LBB5_105:
	v_lshl_add_u32 v10, v41, 2, v9
	ds_read_b32 v10, v10 offset:256
	s_waitcnt lgkmcnt(0)
	v_add_f32_e32 v6, v6, v10
	s_or_b32 exec_lo, exec_lo, s0
	s_and_saveexec_b32 s0, vcc_lo
	s_cbranch_execz .LBB5_73
.LBB5_106:
	v_lshl_add_u32 v10, v41, 2, v9
	ds_read_b32 v10, v10 offset:320
	s_waitcnt lgkmcnt(0)
	v_add_f32_e32 v7, v7, v10
	s_or_b32 exec_lo, exec_lo, s0
	s_and_saveexec_b32 s0, vcc_lo
	s_cbranch_execnz .LBB5_74
	s_branch .LBB5_75
.LBB5_107:
	ds_read_b32 v10, v9
	s_waitcnt lgkmcnt(0)
	v_add_f32_e32 v2, v2, v10
	s_or_b32 exec_lo, exec_lo, s1
	s_and_saveexec_b32 s1, vcc_lo
	s_cbranch_execz .LBB5_86
.LBB5_108:
	ds_read_b32 v10, v9 offset:64
	s_waitcnt lgkmcnt(0)
	v_add_f32_e32 v3, v3, v10
	s_or_b32 exec_lo, exec_lo, s1
	s_and_saveexec_b32 s1, vcc_lo
	s_cbranch_execz .LBB5_87
.LBB5_109:
	ds_read_b32 v10, v9 offset:128
	s_waitcnt lgkmcnt(0)
	v_add_f32_e32 v4, v4, v10
	s_or_b32 exec_lo, exec_lo, s1
	s_and_saveexec_b32 s1, vcc_lo
	s_cbranch_execz .LBB5_88
.LBB5_110:
	ds_read_b32 v10, v9 offset:192
	s_waitcnt lgkmcnt(0)
	v_add_f32_e32 v5, v5, v10
	s_or_b32 exec_lo, exec_lo, s1
	s_and_saveexec_b32 s1, vcc_lo
	s_cbranch_execz .LBB5_89
.LBB5_111:
	ds_read_b32 v10, v9 offset:256
	s_waitcnt lgkmcnt(0)
	v_add_f32_e32 v6, v6, v10
	s_or_b32 exec_lo, exec_lo, s1
	s_and_saveexec_b32 s1, vcc_lo
	s_cbranch_execz .LBB5_90
.LBB5_112:
	ds_read_b32 v10, v9 offset:320
	s_waitcnt lgkmcnt(0)
	v_add_f32_e32 v7, v7, v10
	s_or_b32 exec_lo, exec_lo, s1
	s_and_saveexec_b32 s1, vcc_lo
	s_cbranch_execnz .LBB5_91
	s_branch .LBB5_92
	.section	.rodata,"a",@progbits
	.p2align	6, 0x0
	.amdhsa_kernel _ZN4vllm25paged_attention_v1_kernelIffLi120ELi8ELi128ELNS_18Fp8KVCacheDataTypeE0ELb1EEEvPT_PKS2_PKT0_S8_ifPKiSA_iPKfiiiSC_SC_iiiii
		.amdhsa_group_segment_fixed_size 512
		.amdhsa_private_segment_fixed_size 0
		.amdhsa_kernarg_size 384
		.amdhsa_user_sgpr_count 6
		.amdhsa_user_sgpr_private_segment_buffer 1
		.amdhsa_user_sgpr_dispatch_ptr 0
		.amdhsa_user_sgpr_queue_ptr 0
		.amdhsa_user_sgpr_kernarg_segment_ptr 1
		.amdhsa_user_sgpr_dispatch_id 0
		.amdhsa_user_sgpr_flat_scratch_init 0
		.amdhsa_user_sgpr_private_segment_size 0
		.amdhsa_wavefront_size32 1
		.amdhsa_uses_dynamic_stack 0
		.amdhsa_system_sgpr_private_segment_wavefront_offset 0
		.amdhsa_system_sgpr_workgroup_id_x 1
		.amdhsa_system_sgpr_workgroup_id_y 1
		.amdhsa_system_sgpr_workgroup_id_z 1
		.amdhsa_system_sgpr_workgroup_info 0
		.amdhsa_system_vgpr_workitem_id 0
		.amdhsa_next_free_vgpr 61
		.amdhsa_next_free_sgpr 38
		.amdhsa_reserve_vcc 1
		.amdhsa_reserve_flat_scratch 0
		.amdhsa_float_round_mode_32 0
		.amdhsa_float_round_mode_16_64 0
		.amdhsa_float_denorm_mode_32 3
		.amdhsa_float_denorm_mode_16_64 3
		.amdhsa_dx10_clamp 1
		.amdhsa_ieee_mode 1
		.amdhsa_fp16_overflow 0
		.amdhsa_workgroup_processor_mode 1
		.amdhsa_memory_ordered 1
		.amdhsa_forward_progress 1
		.amdhsa_shared_vgpr_count 0
		.amdhsa_exception_fp_ieee_invalid_op 0
		.amdhsa_exception_fp_denorm_src 0
		.amdhsa_exception_fp_ieee_div_zero 0
		.amdhsa_exception_fp_ieee_overflow 0
		.amdhsa_exception_fp_ieee_underflow 0
		.amdhsa_exception_fp_ieee_inexact 0
		.amdhsa_exception_int_div_zero 0
	.end_amdhsa_kernel
	.section	.text._ZN4vllm25paged_attention_v1_kernelIffLi120ELi8ELi128ELNS_18Fp8KVCacheDataTypeE0ELb1EEEvPT_PKS2_PKT0_S8_ifPKiSA_iPKfiiiSC_SC_iiiii,"axG",@progbits,_ZN4vllm25paged_attention_v1_kernelIffLi120ELi8ELi128ELNS_18Fp8KVCacheDataTypeE0ELb1EEEvPT_PKS2_PKT0_S8_ifPKiSA_iPKfiiiSC_SC_iiiii,comdat
.Lfunc_end5:
	.size	_ZN4vllm25paged_attention_v1_kernelIffLi120ELi8ELi128ELNS_18Fp8KVCacheDataTypeE0ELb1EEEvPT_PKS2_PKT0_S8_ifPKiSA_iPKfiiiSC_SC_iiiii, .Lfunc_end5-_ZN4vllm25paged_attention_v1_kernelIffLi120ELi8ELi128ELNS_18Fp8KVCacheDataTypeE0ELb1EEEvPT_PKS2_PKT0_S8_ifPKiSA_iPKfiiiSC_SC_iiiii
                                        ; -- End function
	.set _ZN4vllm25paged_attention_v1_kernelIffLi120ELi8ELi128ELNS_18Fp8KVCacheDataTypeE0ELb1EEEvPT_PKS2_PKT0_S8_ifPKiSA_iPKfiiiSC_SC_iiiii.num_vgpr, 61
	.set _ZN4vllm25paged_attention_v1_kernelIffLi120ELi8ELi128ELNS_18Fp8KVCacheDataTypeE0ELb1EEEvPT_PKS2_PKT0_S8_ifPKiSA_iPKfiiiSC_SC_iiiii.num_agpr, 0
	.set _ZN4vllm25paged_attention_v1_kernelIffLi120ELi8ELi128ELNS_18Fp8KVCacheDataTypeE0ELb1EEEvPT_PKS2_PKT0_S8_ifPKiSA_iPKfiiiSC_SC_iiiii.numbered_sgpr, 38
	.set _ZN4vllm25paged_attention_v1_kernelIffLi120ELi8ELi128ELNS_18Fp8KVCacheDataTypeE0ELb1EEEvPT_PKS2_PKT0_S8_ifPKiSA_iPKfiiiSC_SC_iiiii.num_named_barrier, 0
	.set _ZN4vllm25paged_attention_v1_kernelIffLi120ELi8ELi128ELNS_18Fp8KVCacheDataTypeE0ELb1EEEvPT_PKS2_PKT0_S8_ifPKiSA_iPKfiiiSC_SC_iiiii.private_seg_size, 0
	.set _ZN4vllm25paged_attention_v1_kernelIffLi120ELi8ELi128ELNS_18Fp8KVCacheDataTypeE0ELb1EEEvPT_PKS2_PKT0_S8_ifPKiSA_iPKfiiiSC_SC_iiiii.uses_vcc, 1
	.set _ZN4vllm25paged_attention_v1_kernelIffLi120ELi8ELi128ELNS_18Fp8KVCacheDataTypeE0ELb1EEEvPT_PKS2_PKT0_S8_ifPKiSA_iPKfiiiSC_SC_iiiii.uses_flat_scratch, 0
	.set _ZN4vllm25paged_attention_v1_kernelIffLi120ELi8ELi128ELNS_18Fp8KVCacheDataTypeE0ELb1EEEvPT_PKS2_PKT0_S8_ifPKiSA_iPKfiiiSC_SC_iiiii.has_dyn_sized_stack, 0
	.set _ZN4vllm25paged_attention_v1_kernelIffLi120ELi8ELi128ELNS_18Fp8KVCacheDataTypeE0ELb1EEEvPT_PKS2_PKT0_S8_ifPKiSA_iPKfiiiSC_SC_iiiii.has_recursion, 0
	.set _ZN4vllm25paged_attention_v1_kernelIffLi120ELi8ELi128ELNS_18Fp8KVCacheDataTypeE0ELb1EEEvPT_PKS2_PKT0_S8_ifPKiSA_iPKfiiiSC_SC_iiiii.has_indirect_call, 0
	.section	.AMDGPU.csdata,"",@progbits
; Kernel info:
; codeLenInByte = 6080
; TotalNumSgprs: 40
; NumVgprs: 61
; ScratchSize: 0
; MemoryBound: 0
; FloatMode: 240
; IeeeMode: 1
; LDSByteSize: 512 bytes/workgroup (compile time only)
; SGPRBlocks: 0
; VGPRBlocks: 7
; NumSGPRsForWavesPerEU: 40
; NumVGPRsForWavesPerEU: 61
; Occupancy: 16
; WaveLimiterHint : 1
; COMPUTE_PGM_RSRC2:SCRATCH_EN: 0
; COMPUTE_PGM_RSRC2:USER_SGPR: 6
; COMPUTE_PGM_RSRC2:TRAP_HANDLER: 0
; COMPUTE_PGM_RSRC2:TGID_X_EN: 1
; COMPUTE_PGM_RSRC2:TGID_Y_EN: 1
; COMPUTE_PGM_RSRC2:TGID_Z_EN: 1
; COMPUTE_PGM_RSRC2:TIDIG_COMP_CNT: 0
	.section	.text._ZN4vllm25paged_attention_v1_kernelIffLi128ELi8ELi128ELNS_18Fp8KVCacheDataTypeE0ELb1EEEvPT_PKS2_PKT0_S8_ifPKiSA_iPKfiiiSC_SC_iiiii,"axG",@progbits,_ZN4vllm25paged_attention_v1_kernelIffLi128ELi8ELi128ELNS_18Fp8KVCacheDataTypeE0ELb1EEEvPT_PKS2_PKT0_S8_ifPKiSA_iPKfiiiSC_SC_iiiii,comdat
	.protected	_ZN4vllm25paged_attention_v1_kernelIffLi128ELi8ELi128ELNS_18Fp8KVCacheDataTypeE0ELb1EEEvPT_PKS2_PKT0_S8_ifPKiSA_iPKfiiiSC_SC_iiiii ; -- Begin function _ZN4vllm25paged_attention_v1_kernelIffLi128ELi8ELi128ELNS_18Fp8KVCacheDataTypeE0ELb1EEEvPT_PKS2_PKT0_S8_ifPKiSA_iPKfiiiSC_SC_iiiii
	.globl	_ZN4vllm25paged_attention_v1_kernelIffLi128ELi8ELi128ELNS_18Fp8KVCacheDataTypeE0ELb1EEEvPT_PKS2_PKT0_S8_ifPKiSA_iPKfiiiSC_SC_iiiii
	.p2align	8
	.type	_ZN4vllm25paged_attention_v1_kernelIffLi128ELi8ELi128ELNS_18Fp8KVCacheDataTypeE0ELb1EEEvPT_PKS2_PKT0_S8_ifPKiSA_iPKfiiiSC_SC_iiiii,@function
_ZN4vllm25paged_attention_v1_kernelIffLi128ELi8ELi128ELNS_18Fp8KVCacheDataTypeE0ELb1EEEvPT_PKS2_PKT0_S8_ifPKiSA_iPKfiiiSC_SC_iiiii: ; @_ZN4vllm25paged_attention_v1_kernelIffLi128ELi8ELi128ELNS_18Fp8KVCacheDataTypeE0ELb1EEEvPT_PKS2_PKT0_S8_ifPKiSA_iPKfiiiSC_SC_iiiii
; %bb.0:
	s_clause 0x2
	s_load_dword s9, s[4:5], 0x80
	s_load_dwordx2 s[0:1], s[4:5], 0x30
	s_load_dwordx2 s[28:29], s[4:5], 0x20
	s_mov_b32 s10, s7
	s_ashr_i32 s11, s7, 31
	s_mov_b32 s33, 0
	s_lshl_b64 s[2:3], s[10:11], 2
	s_waitcnt lgkmcnt(0)
	s_add_u32 s0, s0, s2
	s_addc_u32 s1, s1, s3
	s_abs_i32 s2, s28
	s_abs_i32 s11, s9
	v_cvt_f32_u32_e32 v1, s2
	s_sub_i32 s7, 0, s2
	v_rcp_iflag_f32_e32 v1, v1
	v_mul_f32_e32 v1, 0x4f7ffffe, v1
	v_cvt_u32_f32_e32 v1, v1
	v_readfirstlane_b32 s3, v1
	s_mul_i32 s7, s7, s3
	s_mul_hi_u32 s7, s3, s7
	s_add_i32 s3, s3, s7
	s_xor_b32 s7, s9, s28
	s_mul_hi_u32 s3, s11, s3
	s_ashr_i32 s7, s7, 31
	s_mul_i32 s12, s3, s2
	s_sub_i32 s11, s11, s12
	s_add_i32 s12, s3, 1
	s_sub_i32 s13, s11, s2
	s_cmp_ge_u32 s11, s2
	s_cselect_b32 s3, s12, s3
	s_cselect_b32 s11, s13, s11
	s_add_i32 s12, s3, 1
	s_cmp_ge_u32 s11, s2
	s_cselect_b32 s2, s12, s3
	s_abs_i32 s22, s6
	s_xor_b32 s2, s2, s7
	s_sub_i32 s16, s2, s7
	s_load_dwordx2 s[2:3], s[4:5], 0x40
	s_abs_i32 s11, s16
	v_cvt_f32_u32_e32 v1, s11
	s_sub_i32 s12, 0, s11
	v_rcp_iflag_f32_e32 v1, v1
	v_mul_f32_e32 v1, 0x4f7ffffe, v1
	v_cvt_u32_f32_e32 v1, v1
	v_readfirstlane_b32 s7, v1
	s_mul_i32 s12, s12, s7
	s_mul_hi_u32 s12, s7, s12
	s_add_i32 s7, s7, s12
	s_waitcnt lgkmcnt(0)
	s_cmp_eq_u64 s[2:3], 0
	s_mul_hi_u32 s23, s22, s7
	s_cbranch_scc1 .LBB6_2
; %bb.1:
	s_ashr_i32 s7, s6, 31
	s_lshl_b64 s[12:13], s[6:7], 2
	s_add_u32 s2, s2, s12
	s_addc_u32 s3, s3, s13
	s_load_dword s33, s[2:3], 0x0
.LBB6_2:
	s_load_dword s30, s[0:1], 0x0
	s_load_dwordx4 s[12:15], s[4:5], 0x48
	v_and_b32_e32 v1, 3, v0
	v_lshlrev_b32_e32 v3, 2, v0
	s_ashr_i32 s0, s6, 31
	s_ashr_i32 s1, s16, 31
	s_lshl_b32 s20, s6, 7
	s_mov_b32 s2, exec_lo
	v_cmpx_gt_u32_e32 0x80, v0
	s_cbranch_execz .LBB6_4
; %bb.3:
	s_load_dwordx2 s[16:17], s[4:5], 0x8
	s_waitcnt lgkmcnt(0)
	s_mul_i32 s18, s12, s10
	v_and_b32_e32 v4, 0x3fc, v0
	s_ashr_i32 s19, s18, 31
	s_lshl_b64 s[18:19], s[18:19], 2
	v_lshl_add_u32 v4, v1, 7, v4
	s_add_u32 s3, s16, s18
	s_addc_u32 s7, s17, s19
	s_ashr_i32 s21, s20, 31
	s_lshl_b64 s[16:17], s[20:21], 2
	s_add_u32 s16, s3, s16
	s_addc_u32 s17, s7, s17
	global_load_dword v2, v3, s[16:17]
	s_waitcnt vmcnt(0)
	ds_write_b32 v4, v2
.LBB6_4:
	s_or_b32 exec_lo, exec_lo, s2
	s_load_dwordx4 s[16:19], s[4:5], 0x68
	s_mul_i32 s2, s23, s11
	s_xor_b32 s1, s0, s1
	s_sub_i32 s0, s22, s2
	s_add_i32 s2, s23, 1
	s_sub_i32 s3, s0, s11
	s_cmp_ge_u32 s0, s11
	s_waitcnt lgkmcnt(0)
	s_cselect_b32 s2, s2, s23
	s_cselect_b32 s0, s3, s0
	s_add_i32 s3, s2, 1
	s_cmp_ge_u32 s0, s11
	s_load_dword s0, s[4:5], 0x78
	s_cselect_b32 s2, s3, s2
	s_add_i32 s7, s30, -1
	s_xor_b32 s2, s2, s1
	s_abs_i32 s3, s7
	s_sub_i32 s1, s2, s1
	s_mov_b32 s11, -1
	s_barrier
	s_abs_i32 s12, s19
	s_waitcnt lgkmcnt(0)
	buffer_gl0_inv
	v_cvt_f32_u32_e32 v2, s12
	s_sub_i32 s2, 0, s12
                                        ; implicit-def: $sgpr31
	v_rcp_iflag_f32_e32 v2, v2
	v_mul_f32_e32 v2, 0x4f7ffffe, v2
	v_cvt_u32_f32_e32 v2, v2
	v_readfirstlane_b32 s21, v2
	s_mul_i32 s2, s2, s21
	s_mul_hi_u32 s2, s21, s2
	s_add_i32 s21, s21, s2
	s_cmp_lt_i32 s0, 0
	s_mul_hi_u32 s2, s3, s21
	s_cbranch_scc0 .LBB6_6
; %bb.5:
	s_mul_i32 s11, s16, s28
	s_add_i32 s11, s1, s11
	s_mul_i32 s11, s11, s0
	s_sub_i32 s31, 1, s11
	s_mov_b32 s11, 0
.LBB6_6:
	s_load_dwordx2 s[22:23], s[4:5], 0x28
	s_ashr_i32 s7, s7, 31
	s_andn2_b32 vcc_lo, exec_lo, s11
	s_ashr_i32 s19, s19, 31
	s_cbranch_vccnz .LBB6_8
; %bb.7:
	s_mul_i32 s11, s9, s16
	s_add_i32 s6, s11, s6
	s_mul_i32 s0, s6, s0
	s_add_i32 s31, s0, 1
.LBB6_8:
	s_load_dword s0, s[4:5], 0x38
	s_mul_i32 s6, s2, s12
	s_xor_b32 s15, s7, s19
	s_sub_i32 s3, s3, s6
	s_add_i32 s16, s2, 1
	s_clause 0x2
	s_load_dwordx2 s[6:7], s[4:5], 0x0
	s_load_dwordx2 s[26:27], s[4:5], 0x18
	s_load_dword s11, s[4:5], 0x88
	v_lshrrev_b32_e32 v39, 5, v0
	v_mov_b32_e32 v6, 0xff7fffff
	v_lshrrev_b32_e32 v4, 3, v0
	v_mbcnt_lo_u32_b32 v5, -1, 0
	s_mul_i32 s14, s1, s14
	v_lshlrev_b32_e32 v40, 3, v39
	s_waitcnt lgkmcnt(0)
	s_mul_i32 s24, s0, s10
	s_sub_i32 s0, s3, s12
	s_ashr_i32 s25, s24, 31
	s_cmp_ge_u32 s3, s12
	s_cselect_b32 s2, s16, s2
	s_cselect_b32 s0, s0, s3
	s_add_i32 s3, s2, 1
	s_cmp_ge_u32 s0, s12
	s_cselect_b32 s0, s3, s2
	s_add_i32 s2, s30, 7
	s_ashr_i32 s3, s2, 31
	s_lshr_b32 s3, s3, 29
	s_add_i32 s2, s2, s3
	s_ashr_i32 s16, s2, 3
	s_xor_b32 s2, s0, s15
	v_cmp_gt_i32_e64 s0, s16, v39
	s_sub_i32 s28, s2, s15
	s_and_saveexec_b32 s34, s0
	s_cbranch_execz .LBB6_20
; %bb.9:
	s_load_dwordx2 s[2:3], s[4:5], 0x10
	s_ashr_i32 s15, s14, 31
	s_sub_i32 s4, s28, s17
	s_lshl_b64 s[36:37], s[14:15], 2
	v_bfe_u32 v7, v0, 2, 3
	v_cmp_eq_u32_e32 vcc_lo, 0, v1
	v_lshlrev_b32_e32 v15, 2, v1
	v_lshlrev_b32_e32 v8, 7, v1
	v_and_b32_e32 v1, 0x7c, v4
	v_lshlrev_b32_e32 v13, 2, v7
	v_subrev_nc_u32_e32 v14, s30, v7
	v_cmp_neq_f32_e64 s1, s33, 0
	v_lshlrev_b32_e32 v9, 3, v39
	v_mov_b32_e32 v10, 0xff7fffff
	v_lshl_or_b32 v16, v39, 5, v13
	v_add_nc_u32_e32 v13, 1, v14
	v_xor_b32_e32 v11, 2, v5
	v_xor_b32_e32 v12, 1, v5
	v_mov_b32_e32 v6, 0xff7fffff
	v_add_nc_u32_e32 v14, 0x220, v16
	s_waitcnt lgkmcnt(0)
	s_add_u32 s15, s2, s36
	s_addc_u32 s35, s3, s37
	s_abs_i32 s5, s18
	v_cvt_f32_u32_e32 v2, s5
	s_sub_i32 s2, 0, s5
	v_rcp_iflag_f32_e32 v2, v2
	v_mul_f32_e32 v2, 0x4f7ffffe, v2
	v_cvt_u32_f32_e32 v17, v2
	v_lshlrev_b32_e32 v2, 4, v7
	v_mul_lo_u32 v16, s2, v17
	s_lshl_b64 s[2:3], s[24:25], 2
	v_add_co_u32 v18, s15, s15, v2
	s_add_u32 s2, s22, s2
	v_add_co_ci_u32_e64 v19, null, s35, 0, s15
	s_addc_u32 s3, s23, s3
	v_mul_hi_u32 v20, v17, v16
	v_add_co_u32 v1, s2, s2, v1
	v_add_co_ci_u32_e64 v2, null, s3, 0, s2
	v_add_co_u32 v15, s2, v18, v15
	v_add_co_ci_u32_e64 v16, null, 0, v19, s2
	v_add_nc_u32_e32 v17, v17, v20
	v_mov_b32_e32 v18, v39
	s_mov_b32 s15, 0
	s_mov_b32 s35, s13
	s_branch .LBB6_12
.LBB6_10:                               ;   in Loop: Header=BB6_12 Depth=1
	s_or_b32 exec_lo, exec_lo, s36
.LBB6_11:                               ;   in Loop: Header=BB6_12 Depth=1
	s_or_b32 exec_lo, exec_lo, s3
	v_add_nc_u32_e32 v18, 4, v18
	v_add_co_u32 v1, s3, v1, 16
	v_add_co_ci_u32_e64 v2, null, 0, v2, s3
	v_cmp_le_i32_e64 s2, s16, v18
	v_add_nc_u32_e32 v9, 32, v9
	v_add_nc_u32_e32 v14, 0x80, v14
	s_or_b32 s15, s2, s15
	s_andn2_b32 exec_lo, exec_lo, s15
	s_cbranch_execz .LBB6_19
.LBB6_12:                               ; =>This Inner Loop Header: Depth=1
	v_mul_hi_u32 v19, v9, s21
	s_waitcnt lgkmcnt(0)
	v_mul_lo_u32 v20, v19, s12
	v_add_nc_u32_e32 v21, 1, v19
	v_sub_nc_u32_e32 v20, v9, v20
	v_subrev_nc_u32_e32 v22, s12, v20
	v_cmp_le_u32_e64 s2, s12, v20
	v_cndmask_b32_e64 v19, v19, v21, s2
	v_cndmask_b32_e64 v20, v20, v22, s2
	v_add_nc_u32_e32 v21, 1, v19
	v_cmp_le_u32_e64 s2, s12, v20
	v_cndmask_b32_e64 v19, v19, v21, s2
	v_xor_b32_e32 v19, s19, v19
	v_subrev_nc_u32_e32 v19, s19, v19
	v_add_nc_u32_e32 v20, s31, v19
	v_cmp_ge_i32_e64 s3, s4, v19
	v_sub_nc_u32_e32 v21, 0, v20
	v_max_i32_e32 v21, v20, v21
	v_ashrrev_i32_e32 v20, 31, v20
	v_mul_hi_u32 v22, v21, v17
	v_mul_lo_u32 v22, v22, s5
	v_sub_nc_u32_e32 v21, v21, v22
	v_subrev_nc_u32_e32 v22, s5, v21
	v_cmp_le_u32_e64 s2, s5, v21
	v_cndmask_b32_e64 v21, v21, v22, s2
	v_subrev_nc_u32_e32 v22, s5, v21
	v_cmp_le_u32_e64 s2, s5, v21
	v_cndmask_b32_e64 v21, v21, v22, s2
	v_xor_b32_e32 v21, v21, v20
	v_sub_nc_u32_e32 v20, v21, v20
	v_cmp_ne_u32_e64 s2, 0, v20
	s_and_b32 s2, s2, s3
	s_and_saveexec_b32 s3, s2
	s_xor_b32 s2, exec_lo, s3
	s_cbranch_execz .LBB6_16
; %bb.13:                               ;   in Loop: Header=BB6_12 Depth=1
	s_and_saveexec_b32 s3, vcc_lo
; %bb.14:                               ;   in Loop: Header=BB6_12 Depth=1
	ds_write_b32 v14, v10
; %bb.15:                               ;   in Loop: Header=BB6_12 Depth=1
	s_or_b32 exec_lo, exec_lo, s3
.LBB6_16:                               ;   in Loop: Header=BB6_12 Depth=1
	s_andn2_saveexec_b32 s3, s2
	s_cbranch_execz .LBB6_11
; %bb.17:                               ;   in Loop: Header=BB6_12 Depth=1
	global_load_dword v19, v[1:2], off
	s_waitcnt vmcnt(0)
	v_mad_i64_i32 v[19:20], null, v19, s35, 0
	v_lshlrev_b64 v[19:20], 2, v[19:20]
	v_add_co_u32 v19, s2, v15, v19
	v_add_co_ci_u32_e64 v20, null, v16, v20, s2
	s_clause 0xf
	global_load_dword v27, v[19:20], off offset:128
	global_load_dword v28, v[19:20], off
	global_load_dword v29, v[19:20], off offset:256
	global_load_dword v30, v[19:20], off offset:384
	;; [unrolled: 1-line block ×14, first 2 shown]
	v_add_co_u32 v19, s2, 0x800, v19
	v_add_co_ci_u32_e64 v20, null, 0, v20, s2
	v_cmp_gt_i32_e64 s2, 32, v11
	s_clause 0xf
	global_load_dword v45, v[19:20], off
	global_load_dword v46, v[19:20], off offset:128
	global_load_dword v47, v[19:20], off offset:256
	;; [unrolled: 1-line block ×15, first 2 shown]
	ds_read_b128 v[19:22], v8
	ds_read_b128 v[23:26], v8 offset:16
	s_waitcnt vmcnt(31) lgkmcnt(1)
	v_mul_f32_e32 v27, v20, v27
	s_waitcnt vmcnt(30)
	v_fmac_f32_e32 v27, v19, v28
	s_waitcnt vmcnt(29)
	v_fmac_f32_e32 v27, v21, v29
	s_waitcnt vmcnt(28)
	v_fmac_f32_e32 v27, v22, v30
	ds_read_b128 v[19:22], v8 offset:32
	s_waitcnt vmcnt(27) lgkmcnt(1)
	v_fmac_f32_e32 v27, v23, v31
	s_waitcnt vmcnt(26)
	v_fmac_f32_e32 v27, v24, v32
	s_waitcnt vmcnt(25)
	v_fmac_f32_e32 v27, v25, v33
	s_waitcnt vmcnt(24)
	v_fmac_f32_e32 v27, v26, v34
	ds_read_b128 v[23:26], v8 offset:48
	s_waitcnt vmcnt(23) lgkmcnt(1)
	v_fmac_f32_e32 v27, v19, v35
	;; [unrolled: 9-line block ×6, first 2 shown]
	v_cndmask_b32_e64 v19, v5, v11, s2
	v_cmp_gt_i32_e64 s2, 32, v12
	s_waitcnt vmcnt(6)
	v_fmac_f32_e32 v27, v20, v54
	v_lshlrev_b32_e32 v19, 2, v19
	v_cndmask_b32_e64 v20, v5, v12, s2
	s_waitcnt vmcnt(5)
	v_fmac_f32_e32 v27, v21, v55
	v_lshlrev_b32_e32 v20, 2, v20
	s_waitcnt vmcnt(4)
	v_fmac_f32_e32 v27, v22, v56
	s_waitcnt vmcnt(3) lgkmcnt(0)
	v_fmac_f32_e32 v27, v23, v57
	s_waitcnt vmcnt(2)
	v_fmac_f32_e32 v27, v24, v58
	s_waitcnt vmcnt(1)
	;; [unrolled: 2-line block ×3, first 2 shown]
	v_fmac_f32_e32 v27, v26, v60
	ds_bpermute_b32 v19, v19, v27
	s_waitcnt lgkmcnt(0)
	v_add_f32_e32 v19, v27, v19
	ds_bpermute_b32 v20, v20, v19
	s_and_saveexec_b32 s36, vcc_lo
	s_cbranch_execz .LBB6_10
; %bb.18:                               ;   in Loop: Header=BB6_12 Depth=1
	v_add_nc_u32_e32 v21, v13, v9
	s_waitcnt lgkmcnt(0)
	v_add_f32_e32 v19, v19, v20
	v_cvt_f32_i32_e32 v21, v21
	v_mul_f32_e32 v21, s33, v21
	v_cndmask_b32_e64 v20, 0, v21, s1
	v_max_f32_e32 v21, v6, v6
	v_fmac_f32_e32 v20, s29, v19
	v_add_nc_u32_e32 v19, v7, v9
	v_max_f32_e32 v21, v21, v20
	v_cmp_gt_i32_e64 s2, s30, v19
	v_cndmask_b32_e64 v19, 0, v20, s2
	v_cndmask_b32_e64 v6, v6, v21, s2
	ds_write_b32 v14, v19
	s_branch .LBB6_10
.LBB6_19:
	s_or_b32 exec_lo, exec_lo, s15
.LBB6_20:
	s_or_b32 exec_lo, exec_lo, s34
	v_xor_b32_e32 v1, 16, v5
	v_xor_b32_e32 v7, 8, v5
	v_max_f32_e32 v8, v6, v6
	v_and_b32_e32 v41, 31, v0
	v_cmp_gt_i32_e32 vcc_lo, 32, v1
	v_cndmask_b32_e32 v1, v5, v1, vcc_lo
	v_cmp_gt_i32_e32 vcc_lo, 32, v7
	v_lshlrev_b32_e32 v2, 2, v1
	ds_bpermute_b32 v1, v2, v6
	v_cndmask_b32_e32 v6, v5, v7, vcc_lo
	v_lshlrev_b32_e32 v6, 2, v6
	s_waitcnt lgkmcnt(0)
	v_max_f32_e32 v1, v1, v1
	v_max_f32_e32 v1, v8, v1
	v_xor_b32_e32 v8, 4, v5
	ds_bpermute_b32 v7, v6, v1
	v_cmp_gt_i32_e32 vcc_lo, 32, v8
	v_cndmask_b32_e32 v8, v5, v8, vcc_lo
	v_cmp_eq_u32_e32 vcc_lo, 0, v41
	v_lshlrev_b32_e32 v9, 2, v8
	s_waitcnt lgkmcnt(0)
	v_max_f32_e32 v7, v7, v7
	v_max_f32_e32 v1, v1, v7
	v_lshlrev_b32_e32 v7, 2, v39
	ds_bpermute_b32 v8, v9, v1
	s_and_saveexec_b32 s1, vcc_lo
	s_cbranch_execz .LBB6_22
; %bb.21:
	s_waitcnt lgkmcnt(0)
	v_max_f32_e32 v8, v8, v8
	v_max_f32_e32 v1, v1, v1
	;; [unrolled: 1-line block ×3, first 2 shown]
	ds_write_b32 v7, v1 offset:512
.LBB6_22:
	s_or_b32 exec_lo, exec_lo, s1
	v_cmp_gt_u32_e64 s1, 4, v41
	v_mov_b32_e32 v1, 0xff7fffff
	s_waitcnt lgkmcnt(0)
	v_lshlrev_b32_e32 v8, 2, v41
	s_barrier
	buffer_gl0_inv
	s_and_saveexec_b32 s2, s1
; %bb.23:
	ds_read_b32 v1, v8 offset:512
; %bb.24:
	s_or_b32 exec_lo, exec_lo, s2
	v_xor_b32_e32 v10, 2, v5
	v_xor_b32_e32 v12, 1, v5
	v_cmp_gt_i32_e64 s2, 32, v10
	v_cndmask_b32_e64 v10, v5, v10, s2
	v_cmp_gt_i32_e64 s2, 32, v12
	v_lshlrev_b32_e32 v10, 2, v10
	v_cndmask_b32_e64 v5, v5, v12, s2
	s_lshl_b32 s2, s16, 3
	s_min_i32 s4, s2, s30
	s_waitcnt lgkmcnt(0)
	ds_bpermute_b32 v11, v10, v1
	v_max_f32_e32 v1, v1, v1
	v_lshlrev_b32_e32 v42, 2, v5
	v_cmp_gt_i32_e64 s2, s4, v0
	s_waitcnt lgkmcnt(0)
	v_max_f32_e32 v11, v11, v11
	v_max_f32_e32 v1, v1, v11
	ds_bpermute_b32 v5, v42, v1
	s_waitcnt lgkmcnt(0)
	v_max_f32_e32 v5, v5, v5
	v_max_f32_e32 v1, v1, v5
	v_mov_b32_e32 v5, 0
	ds_bpermute_b32 v11, v5, v1
	v_lshl_add_u32 v1, v0, 2, 0x220
	s_and_saveexec_b32 s5, s2
	s_cbranch_execz .LBB6_28
; %bb.25:
	v_lshl_add_u32 v12, v0, 2, 0x220
	v_mov_b32_e32 v5, 0
	v_mov_b32_e32 v13, v0
	s_mov_b32 s15, 0
	.p2align	6
.LBB6_26:                               ; =>This Inner Loop Header: Depth=1
	ds_read_b32 v14, v12
	v_add_nc_u32_e32 v13, 0x80, v13
	v_cmp_le_i32_e64 s3, s4, v13
	s_or_b32 s15, s3, s15
	s_waitcnt lgkmcnt(0)
	v_sub_f32_e32 v14, v14, v11
	v_mul_f32_e32 v14, 0x3fb8aa3b, v14
	v_exp_f32_e32 v14, v14
	ds_write_b32 v12, v14
	v_add_f32_e32 v5, v5, v14
	v_add_nc_u32_e32 v12, 0x200, v12
	s_andn2_b32 exec_lo, exec_lo, s15
	s_cbranch_execnz .LBB6_26
; %bb.27:
	s_or_b32 exec_lo, exec_lo, s15
.LBB6_28:
	s_or_b32 exec_lo, exec_lo, s5
	ds_bpermute_b32 v2, v2, v5
	s_waitcnt lgkmcnt(0)
	v_add_f32_e32 v2, v5, v2
	ds_bpermute_b32 v5, v6, v2
	s_waitcnt lgkmcnt(0)
	v_add_f32_e32 v2, v2, v5
	;; [unrolled: 3-line block ×5, first 2 shown]
	s_and_saveexec_b32 s3, vcc_lo
; %bb.29:
	ds_write_b32 v7, v2 offset:528
; %bb.30:
	s_or_b32 exec_lo, exec_lo, s3
	s_waitcnt lgkmcnt(0)
	s_barrier
	buffer_gl0_inv
	s_and_saveexec_b32 s3, s1
; %bb.31:
	ds_read_b32 v2, v8 offset:528
; %bb.32:
	s_or_b32 exec_lo, exec_lo, s3
	s_waitcnt lgkmcnt(0)
	ds_bpermute_b32 v5, v10, v2
	s_waitcnt lgkmcnt(0)
	v_add_f32_e32 v2, v2, v5
	ds_bpermute_b32 v5, v42, v2
	s_waitcnt lgkmcnt(0)
	v_add_f32_e32 v2, v2, v5
	v_mov_b32_e32 v5, 0
	ds_bpermute_b32 v2, v5, v2
	s_and_saveexec_b32 s1, s2
	s_cbranch_execz .LBB6_35
; %bb.33:
	s_waitcnt lgkmcnt(0)
	v_add_f32_e32 v2, 0x358637bd, v2
	s_mov_b32 s2, 0
	v_div_scale_f32 v5, null, v2, v2, 1.0
	v_div_scale_f32 v8, vcc_lo, 1.0, v2, 1.0
	v_rcp_f32_e32 v6, v5
	v_fma_f32 v7, -v5, v6, 1.0
	v_fmac_f32_e32 v6, v7, v6
	v_mul_f32_e32 v7, v8, v6
	v_fma_f32 v9, -v5, v7, v8
	v_fmac_f32_e32 v7, v9, v6
	v_fma_f32 v5, -v5, v7, v8
	v_div_fmas_f32 v5, v5, v6, v7
	v_div_fixup_f32 v2, v5, v2, 1.0
	v_mov_b32_e32 v5, v0
.LBB6_34:                               ; =>This Inner Loop Header: Depth=1
	ds_read_b32 v6, v1
	v_add_nc_u32_e32 v5, 0x80, v5
	v_cmp_le_i32_e32 vcc_lo, s4, v5
	s_or_b32 s2, vcc_lo, s2
	s_waitcnt lgkmcnt(0)
	v_mul_f32_e32 v6, v2, v6
	ds_write_b32 v1, v6
	v_add_nc_u32_e32 v1, 0x200, v1
	s_andn2_b32 exec_lo, exec_lo, s2
	s_cbranch_execnz .LBB6_34
.LBB6_35:
	s_or_b32 exec_lo, exec_lo, s1
	v_mov_b32_e32 v51, 0
	v_and_b32_e32 v43, 1, v0
	v_mov_b32_e32 v50, 0
	v_mov_b32_e32 v49, 0
	;; [unrolled: 1-line block ×7, first 2 shown]
	s_waitcnt lgkmcnt(0)
	s_barrier
	buffer_gl0_inv
	s_and_saveexec_b32 s1, s0
	s_cbranch_execz .LBB6_57
; %bb.36:
	s_ashr_i32 s15, s14, 31
	s_sub_i32 s2, s28, s17
	s_lshl_b64 s[4:5], s[14:15], 2
	v_lshlrev_b32_e32 v2, 4, v0
	s_add_u32 s0, s26, s4
	s_addc_u32 s5, s27, s5
	s_abs_i32 s3, s18
	v_and_b32_e32 v52, 4, v3
	v_cvt_f32_u32_e32 v1, s3
	s_sub_i32 s4, 0, s3
	v_and_b32_e32 v3, 0x7c, v4
	v_lshlrev_b32_e32 v4, 4, v43
	v_and_b32_e32 v2, 0x1f0, v2
	v_rcp_iflag_f32_e32 v1, v1
	s_lshl_b64 s[14:15], s[24:25], 2
	v_mov_b32_e32 v44, 0
	v_lshl_or_b32 v4, v39, 5, v4
	v_add_co_u32 v53, s0, s0, v2
	v_add_co_ci_u32_e64 v54, null, s5, 0, s0
	v_mov_b32_e32 v45, 0
	v_mov_b32_e32 v46, 0
	v_mul_f32_e32 v1, 0x4f7ffffe, v1
	v_mov_b32_e32 v47, 0
	v_mov_b32_e32 v48, 0
	;; [unrolled: 1-line block ×4, first 2 shown]
	v_cvt_u32_f32_e32 v1, v1
	v_mov_b32_e32 v51, 0
	v_add_nc_u32_e32 v55, 0x220, v4
	v_mov_b32_e32 v57, v39
	s_mov_b32 s5, 0
	v_mul_lo_u32 v5, s4, v1
	s_add_i32 s4, s16, -1
	s_add_u32 s14, s22, s14
	s_addc_u32 s15, s23, s15
	v_add_co_u32 v37, s0, s14, v3
	v_add_co_ci_u32_e64 v38, null, s15, 0, s0
	v_mul_hi_u32 v5, v1, v5
	v_add_nc_u32_e32 v56, v1, v5
	s_branch .LBB6_39
.LBB6_37:                               ;   in Loop: Header=BB6_39 Depth=1
	s_or_b32 exec_lo, exec_lo, s0
	s_waitcnt vmcnt(1) lgkmcnt(0)
	v_mul_f32_e32 v29, v1, v29
	v_mul_f32_e32 v25, v1, v25
	;; [unrolled: 1-line block ×7, first 2 shown]
	s_waitcnt vmcnt(0)
	v_mul_f32_e32 v1, v1, v33
	v_fmac_f32_e32 v29, v2, v30
	v_fmac_f32_e32 v25, v2, v26
	;; [unrolled: 1-line block ×24, first 2 shown]
	v_add_f32_e32 v45, v45, v29
	v_add_f32_e32 v46, v46, v25
	;; [unrolled: 1-line block ×8, first 2 shown]
.LBB6_38:                               ;   in Loop: Header=BB6_39 Depth=1
	s_or_b32 exec_lo, exec_lo, s14
	v_add_nc_u32_e32 v57, 4, v57
	v_add_co_u32 v37, s0, v37, 16
	v_add_co_ci_u32_e64 v38, null, 0, v38, s0
	v_cmp_le_i32_e32 vcc_lo, s16, v57
	v_add_nc_u32_e32 v40, 32, v40
	v_add_nc_u32_e32 v55, 0x80, v55
	s_or_b32 s5, vcc_lo, s5
	s_andn2_b32 exec_lo, exec_lo, s5
	s_cbranch_execz .LBB6_56
.LBB6_39:                               ; =>This Inner Loop Header: Depth=1
	v_mul_hi_u32 v1, v40, s21
	v_mul_lo_u32 v2, v1, s12
	v_add_nc_u32_e32 v3, 1, v1
	v_sub_nc_u32_e32 v2, v40, v2
	v_subrev_nc_u32_e32 v4, s12, v2
	v_cmp_le_u32_e32 vcc_lo, s12, v2
	v_cndmask_b32_e32 v1, v1, v3, vcc_lo
	v_cndmask_b32_e32 v2, v2, v4, vcc_lo
	v_add_nc_u32_e32 v3, 1, v1
	v_cmp_le_u32_e32 vcc_lo, s12, v2
	v_cndmask_b32_e32 v1, v1, v3, vcc_lo
	v_xor_b32_e32 v1, s19, v1
	v_subrev_nc_u32_e32 v1, s19, v1
	v_add_nc_u32_e32 v2, s31, v1
	v_cmp_lt_i32_e64 s0, s2, v1
	v_sub_nc_u32_e32 v3, 0, v2
	v_max_i32_e32 v3, v2, v3
	v_ashrrev_i32_e32 v2, 31, v2
	v_mul_hi_u32 v4, v3, v56
	v_mul_lo_u32 v4, v4, s3
	v_sub_nc_u32_e32 v3, v3, v4
	v_subrev_nc_u32_e32 v4, s3, v3
	v_cmp_le_u32_e32 vcc_lo, s3, v3
	v_cndmask_b32_e32 v3, v3, v4, vcc_lo
	v_subrev_nc_u32_e32 v4, s3, v3
	v_cmp_le_u32_e32 vcc_lo, s3, v3
	v_cndmask_b32_e32 v3, v3, v4, vcc_lo
	v_xor_b32_e32 v3, v3, v2
	v_sub_nc_u32_e32 v2, v3, v2
	v_cmp_eq_u32_e32 vcc_lo, 0, v2
	s_or_b32 s0, vcc_lo, s0
	s_and_saveexec_b32 s14, s0
	s_cbranch_execz .LBB6_38
; %bb.40:                               ;   in Loop: Header=BB6_39 Depth=1
	global_load_dword v1, v[37:38], off
	v_add_nc_u32_e32 v58, v52, v40
	v_add_nc_u32_e32 v61, 1, v58
	;; [unrolled: 1-line block ×4, first 2 shown]
	s_waitcnt vmcnt(0)
	v_mad_i64_i32 v[1:2], null, v1, s13, 0
	v_lshlrev_b64 v[1:2], 2, v[1:2]
	v_add_co_u32 v21, vcc_lo, v53, v1
	v_add_co_ci_u32_e64 v22, null, v54, v2, vcc_lo
	ds_read_b128 v[1:4], v55
	v_cmp_eq_u32_e32 vcc_lo, s4, v57
	global_load_dwordx4 v[5:8], v[21:22], off
	s_and_saveexec_b32 s15, vcc_lo
	s_cbranch_execnz .LBB6_49
; %bb.41:                               ;   in Loop: Header=BB6_39 Depth=1
	s_or_b32 exec_lo, exec_lo, s15
	global_load_dwordx4 v[9:12], v[21:22], off offset:512
	s_and_saveexec_b32 s15, vcc_lo
	s_cbranch_execnz .LBB6_50
.LBB6_42:                               ;   in Loop: Header=BB6_39 Depth=1
	s_or_b32 exec_lo, exec_lo, s15
	global_load_dwordx4 v[13:16], v[21:22], off offset:1024
	s_and_saveexec_b32 s15, vcc_lo
	s_cbranch_execnz .LBB6_51
.LBB6_43:                               ;   in Loop: Header=BB6_39 Depth=1
	s_or_b32 exec_lo, exec_lo, s15
	global_load_dwordx4 v[17:20], v[21:22], off offset:1536
	s_and_saveexec_b32 s15, vcc_lo
	s_cbranch_execz .LBB6_45
.LBB6_44:                               ;   in Loop: Header=BB6_39 Depth=1
	v_cmp_gt_i32_e64 s0, s30, v58
	s_waitcnt vmcnt(0)
	v_cndmask_b32_e64 v17, 0, v17, s0
	v_cmp_gt_i32_e64 s0, s30, v61
	v_cndmask_b32_e64 v18, 0, v18, s0
	v_cmp_gt_i32_e64 s0, s30, v60
	;; [unrolled: 2-line block ×3, first 2 shown]
	v_cndmask_b32_e64 v20, 0, v20, s0
.LBB6_45:                               ;   in Loop: Header=BB6_39 Depth=1
	s_or_b32 exec_lo, exec_lo, s15
	v_add_co_u32 v33, s0, 0x800, v21
	v_add_co_ci_u32_e64 v34, null, 0, v22, s0
	global_load_dwordx4 v[21:24], v[33:34], off
	s_and_saveexec_b32 s15, vcc_lo
	s_cbranch_execnz .LBB6_52
; %bb.46:                               ;   in Loop: Header=BB6_39 Depth=1
	s_or_b32 exec_lo, exec_lo, s15
	global_load_dwordx4 v[25:28], v[33:34], off offset:512
	s_and_saveexec_b32 s15, vcc_lo
	s_cbranch_execnz .LBB6_53
.LBB6_47:                               ;   in Loop: Header=BB6_39 Depth=1
	s_or_b32 exec_lo, exec_lo, s15
	global_load_dwordx4 v[29:32], v[33:34], off offset:1024
	s_and_saveexec_b32 s15, vcc_lo
	s_cbranch_execnz .LBB6_54
.LBB6_48:                               ;   in Loop: Header=BB6_39 Depth=1
	s_or_b32 exec_lo, exec_lo, s15
	global_load_dwordx4 v[33:36], v[33:34], off offset:1536
	s_and_saveexec_b32 s0, vcc_lo
	s_cbranch_execz .LBB6_37
	s_branch .LBB6_55
.LBB6_49:                               ;   in Loop: Header=BB6_39 Depth=1
	v_cmp_gt_i32_e64 s0, s30, v58
	s_waitcnt vmcnt(0)
	v_cndmask_b32_e64 v5, 0, v5, s0
	v_cmp_gt_i32_e64 s0, s30, v61
	v_cndmask_b32_e64 v6, 0, v6, s0
	v_cmp_gt_i32_e64 s0, s30, v60
	;; [unrolled: 2-line block ×3, first 2 shown]
	v_cndmask_b32_e64 v8, 0, v8, s0
	s_or_b32 exec_lo, exec_lo, s15
	global_load_dwordx4 v[9:12], v[21:22], off offset:512
	s_and_saveexec_b32 s15, vcc_lo
	s_cbranch_execz .LBB6_42
.LBB6_50:                               ;   in Loop: Header=BB6_39 Depth=1
	v_cmp_gt_i32_e64 s0, s30, v58
	s_waitcnt vmcnt(0)
	v_cndmask_b32_e64 v9, 0, v9, s0
	v_cmp_gt_i32_e64 s0, s30, v61
	v_cndmask_b32_e64 v10, 0, v10, s0
	v_cmp_gt_i32_e64 s0, s30, v60
	;; [unrolled: 2-line block ×3, first 2 shown]
	v_cndmask_b32_e64 v12, 0, v12, s0
	s_or_b32 exec_lo, exec_lo, s15
	global_load_dwordx4 v[13:16], v[21:22], off offset:1024
	s_and_saveexec_b32 s15, vcc_lo
	s_cbranch_execz .LBB6_43
.LBB6_51:                               ;   in Loop: Header=BB6_39 Depth=1
	v_cmp_gt_i32_e64 s0, s30, v58
	s_waitcnt vmcnt(0)
	v_cndmask_b32_e64 v13, 0, v13, s0
	v_cmp_gt_i32_e64 s0, s30, v61
	v_cndmask_b32_e64 v14, 0, v14, s0
	v_cmp_gt_i32_e64 s0, s30, v60
	;; [unrolled: 2-line block ×3, first 2 shown]
	v_cndmask_b32_e64 v16, 0, v16, s0
	s_or_b32 exec_lo, exec_lo, s15
	global_load_dwordx4 v[17:20], v[21:22], off offset:1536
	s_and_saveexec_b32 s15, vcc_lo
	s_cbranch_execnz .LBB6_44
	s_branch .LBB6_45
.LBB6_52:                               ;   in Loop: Header=BB6_39 Depth=1
	v_cmp_gt_i32_e64 s0, s30, v58
	s_waitcnt vmcnt(0)
	v_cndmask_b32_e64 v21, 0, v21, s0
	v_cmp_gt_i32_e64 s0, s30, v61
	v_cndmask_b32_e64 v22, 0, v22, s0
	v_cmp_gt_i32_e64 s0, s30, v60
	;; [unrolled: 2-line block ×3, first 2 shown]
	v_cndmask_b32_e64 v24, 0, v24, s0
	s_or_b32 exec_lo, exec_lo, s15
	global_load_dwordx4 v[25:28], v[33:34], off offset:512
	s_and_saveexec_b32 s15, vcc_lo
	s_cbranch_execz .LBB6_47
.LBB6_53:                               ;   in Loop: Header=BB6_39 Depth=1
	v_cmp_gt_i32_e64 s0, s30, v58
	s_waitcnt vmcnt(0)
	v_cndmask_b32_e64 v25, 0, v25, s0
	v_cmp_gt_i32_e64 s0, s30, v61
	v_cndmask_b32_e64 v26, 0, v26, s0
	v_cmp_gt_i32_e64 s0, s30, v60
	v_cndmask_b32_e64 v27, 0, v27, s0
	v_cmp_gt_i32_e64 s0, s30, v59
	v_cndmask_b32_e64 v28, 0, v28, s0
	s_or_b32 exec_lo, exec_lo, s15
	global_load_dwordx4 v[29:32], v[33:34], off offset:1024
	s_and_saveexec_b32 s15, vcc_lo
	s_cbranch_execz .LBB6_48
.LBB6_54:                               ;   in Loop: Header=BB6_39 Depth=1
	v_cmp_gt_i32_e64 s0, s30, v58
	s_waitcnt vmcnt(0)
	v_cndmask_b32_e64 v29, 0, v29, s0
	v_cmp_gt_i32_e64 s0, s30, v61
	v_cndmask_b32_e64 v30, 0, v30, s0
	v_cmp_gt_i32_e64 s0, s30, v60
	;; [unrolled: 2-line block ×3, first 2 shown]
	v_cndmask_b32_e64 v32, 0, v32, s0
	s_or_b32 exec_lo, exec_lo, s15
	global_load_dwordx4 v[33:36], v[33:34], off offset:1536
	s_and_saveexec_b32 s0, vcc_lo
	s_cbranch_execz .LBB6_37
.LBB6_55:                               ;   in Loop: Header=BB6_39 Depth=1
	v_cmp_gt_i32_e32 vcc_lo, s30, v58
	s_waitcnt vmcnt(0)
	v_cndmask_b32_e32 v33, 0, v33, vcc_lo
	v_cmp_gt_i32_e32 vcc_lo, s30, v61
	v_cndmask_b32_e32 v34, 0, v34, vcc_lo
	v_cmp_gt_i32_e32 vcc_lo, s30, v60
	;; [unrolled: 2-line block ×3, first 2 shown]
	v_cndmask_b32_e32 v36, 0, v36, vcc_lo
	s_branch .LBB6_37
.LBB6_56:
	s_or_b32 exec_lo, exec_lo, s5
.LBB6_57:
	s_or_b32 exec_lo, exec_lo, s1
	ds_bpermute_b32 v1, v42, v51
	ds_bpermute_b32 v2, v42, v50
	;; [unrolled: 1-line block ×8, first 2 shown]
	v_lshrrev_b32_e32 v9, 1, v41
	v_lshlrev_b32_e32 v11, 9, v39
	v_and_b32_e32 v12, 0x3c1, v0
	s_mov_b32 s0, exec_lo
	s_waitcnt lgkmcnt(0)
	v_lshl_add_u32 v10, v9, 2, 0x220
	s_barrier
	buffer_gl0_inv
	v_add_f32_e32 v1, v51, v1
	v_add_f32_e32 v2, v50, v2
	;; [unrolled: 1-line block ×8, first 2 shown]
	v_cmpx_eq_u32_e32 64, v12
	s_cbranch_execz .LBB6_59
; %bb.58:
	v_add_nc_u32_e32 v12, v10, v11
	v_add_nc_u32_e32 v13, 0xfffffc00, v12
	;; [unrolled: 1-line block ×9, first 2 shown]
	ds_write_b32 v13, v1
	ds_write_b32 v14, v2
	;; [unrolled: 1-line block ×8, first 2 shown]
.LBB6_59:
	s_or_b32 exec_lo, exec_lo, s0
	v_lshlrev_b32_e32 v9, 2, v9
	s_mov_b32 s1, exec_lo
	v_cmp_eq_u32_e32 vcc_lo, 0, v43
	s_waitcnt lgkmcnt(0)
	s_barrier
	v_add3_u32 v9, 0x220, v11, v9
	buffer_gl0_inv
	v_cmpx_gt_u32_e32 64, v0
	s_cbranch_execz .LBB6_70
; %bb.60:
	s_and_saveexec_b32 s0, vcc_lo
	s_cbranch_execnz .LBB6_86
; %bb.61:
	s_or_b32 exec_lo, exec_lo, s0
	s_and_saveexec_b32 s0, vcc_lo
	s_cbranch_execnz .LBB6_87
.LBB6_62:
	s_or_b32 exec_lo, exec_lo, s0
	s_and_saveexec_b32 s0, vcc_lo
	s_cbranch_execnz .LBB6_88
.LBB6_63:
	s_or_b32 exec_lo, exec_lo, s0
	s_and_saveexec_b32 s0, vcc_lo
	s_cbranch_execnz .LBB6_89
.LBB6_64:
	s_or_b32 exec_lo, exec_lo, s0
	s_and_saveexec_b32 s0, vcc_lo
	s_cbranch_execnz .LBB6_90
.LBB6_65:
	s_or_b32 exec_lo, exec_lo, s0
	s_and_saveexec_b32 s0, vcc_lo
	s_cbranch_execnz .LBB6_91
.LBB6_66:
	s_or_b32 exec_lo, exec_lo, s0
	s_and_saveexec_b32 s0, vcc_lo
	s_cbranch_execnz .LBB6_92
.LBB6_67:
	s_or_b32 exec_lo, exec_lo, s0
	s_and_saveexec_b32 s0, vcc_lo
	s_cbranch_execz .LBB6_69
.LBB6_68:
	ds_read_b32 v11, v9 offset:448
	s_waitcnt lgkmcnt(0)
	v_add_f32_e32 v8, v8, v11
.LBB6_69:
	s_or_b32 exec_lo, exec_lo, s0
.LBB6_70:
	s_or_b32 exec_lo, exec_lo, s1
	v_and_b32_e32 v11, 0x3e1, v0
	s_mov_b32 s1, exec_lo
	s_barrier
	buffer_gl0_inv
	v_cmpx_eq_u32_e32 32, v11
	s_cbranch_execz .LBB6_72
; %bb.71:
	ds_write2_b32 v10, v1, v2 offset1:16
	ds_write2_b32 v10, v3, v4 offset0:32 offset1:48
	ds_write2_b32 v10, v5, v6 offset0:64 offset1:80
	;; [unrolled: 1-line block ×3, first 2 shown]
.LBB6_72:
	s_or_b32 exec_lo, exec_lo, s1
	s_mov_b32 s1, exec_lo
	s_waitcnt lgkmcnt(0)
	s_barrier
	buffer_gl0_inv
	v_cmpx_gt_u32_e32 32, v0
	s_cbranch_execz .LBB6_83
; %bb.73:
	s_and_saveexec_b32 s0, vcc_lo
	s_cbranch_execnz .LBB6_93
; %bb.74:
	s_or_b32 exec_lo, exec_lo, s0
	s_and_saveexec_b32 s0, vcc_lo
	s_cbranch_execnz .LBB6_94
.LBB6_75:
	s_or_b32 exec_lo, exec_lo, s0
	s_and_saveexec_b32 s0, vcc_lo
	s_cbranch_execnz .LBB6_95
.LBB6_76:
	s_or_b32 exec_lo, exec_lo, s0
	s_and_saveexec_b32 s0, vcc_lo
	s_cbranch_execnz .LBB6_96
.LBB6_77:
	s_or_b32 exec_lo, exec_lo, s0
	s_and_saveexec_b32 s0, vcc_lo
	s_cbranch_execnz .LBB6_97
.LBB6_78:
	s_or_b32 exec_lo, exec_lo, s0
	s_and_saveexec_b32 s0, vcc_lo
	s_cbranch_execnz .LBB6_98
.LBB6_79:
	s_or_b32 exec_lo, exec_lo, s0
	s_and_saveexec_b32 s0, vcc_lo
	s_cbranch_execnz .LBB6_99
.LBB6_80:
	s_or_b32 exec_lo, exec_lo, s0
	s_and_saveexec_b32 s0, vcc_lo
	s_cbranch_execz .LBB6_82
.LBB6_81:
	ds_read_b32 v9, v9 offset:448
	s_waitcnt lgkmcnt(0)
	v_add_f32_e32 v8, v8, v9
.LBB6_82:
	s_or_b32 exec_lo, exec_lo, s0
.LBB6_83:
	s_or_b32 exec_lo, exec_lo, s1
	s_barrier
	buffer_gl0_inv
	s_mov_b32 s0, exec_lo
	v_cmpx_eq_u32_e32 0, v11
	s_cbranch_execz .LBB6_85
; %bb.84:
	s_mul_i32 s0, s10, s11
	s_mul_i32 s2, s11, s20
	;; [unrolled: 1-line block ×3, first 2 shown]
	v_lshlrev_b32_e32 v0, 1, v0
	s_lshl_b32 s0, s0, 7
	s_ashr_i32 s1, s0, 31
	s_lshl_b64 s[0:1], s[0:1], 2
	s_add_u32 s4, s6, s0
	s_addc_u32 s5, s7, s1
	s_ashr_i32 s3, s2, 31
	s_lshl_b64 s[0:1], s[2:3], 2
	s_add_u32 s2, s4, s0
	s_addc_u32 s3, s5, s1
	s_lshl_b32 s0, s8, 7
	s_ashr_i32 s1, s0, 31
	s_lshl_b64 s[0:1], s[0:1], 2
	s_add_u32 s0, s2, s0
	s_addc_u32 s1, s3, s1
	global_store_dword v0, v1, s[0:1]
	global_store_dword v0, v2, s[0:1] offset:64
	global_store_dword v0, v3, s[0:1] offset:128
	;; [unrolled: 1-line block ×7, first 2 shown]
.LBB6_85:
	s_endpgm
.LBB6_86:
	ds_read_b32 v11, v9
	s_waitcnt lgkmcnt(0)
	v_add_f32_e32 v1, v1, v11
	s_or_b32 exec_lo, exec_lo, s0
	s_and_saveexec_b32 s0, vcc_lo
	s_cbranch_execz .LBB6_62
.LBB6_87:
	ds_read_b32 v11, v9 offset:64
	s_waitcnt lgkmcnt(0)
	v_add_f32_e32 v2, v2, v11
	s_or_b32 exec_lo, exec_lo, s0
	s_and_saveexec_b32 s0, vcc_lo
	s_cbranch_execz .LBB6_63
.LBB6_88:
	ds_read_b32 v11, v9 offset:128
	s_waitcnt lgkmcnt(0)
	v_add_f32_e32 v3, v3, v11
	s_or_b32 exec_lo, exec_lo, s0
	s_and_saveexec_b32 s0, vcc_lo
	s_cbranch_execz .LBB6_64
.LBB6_89:
	ds_read_b32 v11, v9 offset:192
	s_waitcnt lgkmcnt(0)
	v_add_f32_e32 v4, v4, v11
	s_or_b32 exec_lo, exec_lo, s0
	s_and_saveexec_b32 s0, vcc_lo
	s_cbranch_execz .LBB6_65
.LBB6_90:
	ds_read_b32 v11, v9 offset:256
	s_waitcnt lgkmcnt(0)
	v_add_f32_e32 v5, v5, v11
	s_or_b32 exec_lo, exec_lo, s0
	s_and_saveexec_b32 s0, vcc_lo
	s_cbranch_execz .LBB6_66
.LBB6_91:
	ds_read_b32 v11, v9 offset:320
	s_waitcnt lgkmcnt(0)
	v_add_f32_e32 v6, v6, v11
	s_or_b32 exec_lo, exec_lo, s0
	s_and_saveexec_b32 s0, vcc_lo
	s_cbranch_execz .LBB6_67
.LBB6_92:
	ds_read_b32 v11, v9 offset:384
	s_waitcnt lgkmcnt(0)
	v_add_f32_e32 v7, v7, v11
	s_or_b32 exec_lo, exec_lo, s0
	s_and_saveexec_b32 s0, vcc_lo
	s_cbranch_execnz .LBB6_68
	s_branch .LBB6_69
.LBB6_93:
	ds_read_b32 v10, v9
	s_waitcnt lgkmcnt(0)
	v_add_f32_e32 v1, v1, v10
	s_or_b32 exec_lo, exec_lo, s0
	s_and_saveexec_b32 s0, vcc_lo
	s_cbranch_execz .LBB6_75
.LBB6_94:
	ds_read_b32 v10, v9 offset:64
	s_waitcnt lgkmcnt(0)
	v_add_f32_e32 v2, v2, v10
	s_or_b32 exec_lo, exec_lo, s0
	s_and_saveexec_b32 s0, vcc_lo
	s_cbranch_execz .LBB6_76
.LBB6_95:
	ds_read_b32 v10, v9 offset:128
	s_waitcnt lgkmcnt(0)
	v_add_f32_e32 v3, v3, v10
	s_or_b32 exec_lo, exec_lo, s0
	s_and_saveexec_b32 s0, vcc_lo
	s_cbranch_execz .LBB6_77
.LBB6_96:
	ds_read_b32 v10, v9 offset:192
	s_waitcnt lgkmcnt(0)
	v_add_f32_e32 v4, v4, v10
	s_or_b32 exec_lo, exec_lo, s0
	s_and_saveexec_b32 s0, vcc_lo
	s_cbranch_execz .LBB6_78
.LBB6_97:
	ds_read_b32 v10, v9 offset:256
	s_waitcnt lgkmcnt(0)
	v_add_f32_e32 v5, v5, v10
	s_or_b32 exec_lo, exec_lo, s0
	s_and_saveexec_b32 s0, vcc_lo
	s_cbranch_execz .LBB6_79
.LBB6_98:
	ds_read_b32 v10, v9 offset:320
	s_waitcnt lgkmcnt(0)
	v_add_f32_e32 v6, v6, v10
	s_or_b32 exec_lo, exec_lo, s0
	s_and_saveexec_b32 s0, vcc_lo
	s_cbranch_execz .LBB6_80
.LBB6_99:
	ds_read_b32 v10, v9 offset:384
	s_waitcnt lgkmcnt(0)
	v_add_f32_e32 v7, v7, v10
	s_or_b32 exec_lo, exec_lo, s0
	s_and_saveexec_b32 s0, vcc_lo
	s_cbranch_execnz .LBB6_81
	s_branch .LBB6_82
	.section	.rodata,"a",@progbits
	.p2align	6, 0x0
	.amdhsa_kernel _ZN4vllm25paged_attention_v1_kernelIffLi128ELi8ELi128ELNS_18Fp8KVCacheDataTypeE0ELb1EEEvPT_PKS2_PKT0_S8_ifPKiSA_iPKfiiiSC_SC_iiiii
		.amdhsa_group_segment_fixed_size 544
		.amdhsa_private_segment_fixed_size 0
		.amdhsa_kernarg_size 384
		.amdhsa_user_sgpr_count 6
		.amdhsa_user_sgpr_private_segment_buffer 1
		.amdhsa_user_sgpr_dispatch_ptr 0
		.amdhsa_user_sgpr_queue_ptr 0
		.amdhsa_user_sgpr_kernarg_segment_ptr 1
		.amdhsa_user_sgpr_dispatch_id 0
		.amdhsa_user_sgpr_flat_scratch_init 0
		.amdhsa_user_sgpr_private_segment_size 0
		.amdhsa_wavefront_size32 1
		.amdhsa_uses_dynamic_stack 0
		.amdhsa_system_sgpr_private_segment_wavefront_offset 0
		.amdhsa_system_sgpr_workgroup_id_x 1
		.amdhsa_system_sgpr_workgroup_id_y 1
		.amdhsa_system_sgpr_workgroup_id_z 1
		.amdhsa_system_sgpr_workgroup_info 0
		.amdhsa_system_vgpr_workitem_id 0
		.amdhsa_next_free_vgpr 62
		.amdhsa_next_free_sgpr 38
		.amdhsa_reserve_vcc 1
		.amdhsa_reserve_flat_scratch 0
		.amdhsa_float_round_mode_32 0
		.amdhsa_float_round_mode_16_64 0
		.amdhsa_float_denorm_mode_32 3
		.amdhsa_float_denorm_mode_16_64 3
		.amdhsa_dx10_clamp 1
		.amdhsa_ieee_mode 1
		.amdhsa_fp16_overflow 0
		.amdhsa_workgroup_processor_mode 1
		.amdhsa_memory_ordered 1
		.amdhsa_forward_progress 1
		.amdhsa_shared_vgpr_count 0
		.amdhsa_exception_fp_ieee_invalid_op 0
		.amdhsa_exception_fp_denorm_src 0
		.amdhsa_exception_fp_ieee_div_zero 0
		.amdhsa_exception_fp_ieee_overflow 0
		.amdhsa_exception_fp_ieee_underflow 0
		.amdhsa_exception_fp_ieee_inexact 0
		.amdhsa_exception_int_div_zero 0
	.end_amdhsa_kernel
	.section	.text._ZN4vllm25paged_attention_v1_kernelIffLi128ELi8ELi128ELNS_18Fp8KVCacheDataTypeE0ELb1EEEvPT_PKS2_PKT0_S8_ifPKiSA_iPKfiiiSC_SC_iiiii,"axG",@progbits,_ZN4vllm25paged_attention_v1_kernelIffLi128ELi8ELi128ELNS_18Fp8KVCacheDataTypeE0ELb1EEEvPT_PKS2_PKT0_S8_ifPKiSA_iPKfiiiSC_SC_iiiii,comdat
.Lfunc_end6:
	.size	_ZN4vllm25paged_attention_v1_kernelIffLi128ELi8ELi128ELNS_18Fp8KVCacheDataTypeE0ELb1EEEvPT_PKS2_PKT0_S8_ifPKiSA_iPKfiiiSC_SC_iiiii, .Lfunc_end6-_ZN4vllm25paged_attention_v1_kernelIffLi128ELi8ELi128ELNS_18Fp8KVCacheDataTypeE0ELb1EEEvPT_PKS2_PKT0_S8_ifPKiSA_iPKfiiiSC_SC_iiiii
                                        ; -- End function
	.set _ZN4vllm25paged_attention_v1_kernelIffLi128ELi8ELi128ELNS_18Fp8KVCacheDataTypeE0ELb1EEEvPT_PKS2_PKT0_S8_ifPKiSA_iPKfiiiSC_SC_iiiii.num_vgpr, 62
	.set _ZN4vllm25paged_attention_v1_kernelIffLi128ELi8ELi128ELNS_18Fp8KVCacheDataTypeE0ELb1EEEvPT_PKS2_PKT0_S8_ifPKiSA_iPKfiiiSC_SC_iiiii.num_agpr, 0
	.set _ZN4vllm25paged_attention_v1_kernelIffLi128ELi8ELi128ELNS_18Fp8KVCacheDataTypeE0ELb1EEEvPT_PKS2_PKT0_S8_ifPKiSA_iPKfiiiSC_SC_iiiii.numbered_sgpr, 38
	.set _ZN4vllm25paged_attention_v1_kernelIffLi128ELi8ELi128ELNS_18Fp8KVCacheDataTypeE0ELb1EEEvPT_PKS2_PKT0_S8_ifPKiSA_iPKfiiiSC_SC_iiiii.num_named_barrier, 0
	.set _ZN4vllm25paged_attention_v1_kernelIffLi128ELi8ELi128ELNS_18Fp8KVCacheDataTypeE0ELb1EEEvPT_PKS2_PKT0_S8_ifPKiSA_iPKfiiiSC_SC_iiiii.private_seg_size, 0
	.set _ZN4vllm25paged_attention_v1_kernelIffLi128ELi8ELi128ELNS_18Fp8KVCacheDataTypeE0ELb1EEEvPT_PKS2_PKT0_S8_ifPKiSA_iPKfiiiSC_SC_iiiii.uses_vcc, 1
	.set _ZN4vllm25paged_attention_v1_kernelIffLi128ELi8ELi128ELNS_18Fp8KVCacheDataTypeE0ELb1EEEvPT_PKS2_PKT0_S8_ifPKiSA_iPKfiiiSC_SC_iiiii.uses_flat_scratch, 0
	.set _ZN4vllm25paged_attention_v1_kernelIffLi128ELi8ELi128ELNS_18Fp8KVCacheDataTypeE0ELb1EEEvPT_PKS2_PKT0_S8_ifPKiSA_iPKfiiiSC_SC_iiiii.has_dyn_sized_stack, 0
	.set _ZN4vllm25paged_attention_v1_kernelIffLi128ELi8ELi128ELNS_18Fp8KVCacheDataTypeE0ELb1EEEvPT_PKS2_PKT0_S8_ifPKiSA_iPKfiiiSC_SC_iiiii.has_recursion, 0
	.set _ZN4vllm25paged_attention_v1_kernelIffLi128ELi8ELi128ELNS_18Fp8KVCacheDataTypeE0ELb1EEEvPT_PKS2_PKT0_S8_ifPKiSA_iPKfiiiSC_SC_iiiii.has_indirect_call, 0
	.section	.AMDGPU.csdata,"",@progbits
; Kernel info:
; codeLenInByte = 5684
; TotalNumSgprs: 40
; NumVgprs: 62
; ScratchSize: 0
; MemoryBound: 0
; FloatMode: 240
; IeeeMode: 1
; LDSByteSize: 544 bytes/workgroup (compile time only)
; SGPRBlocks: 0
; VGPRBlocks: 7
; NumSGPRsForWavesPerEU: 40
; NumVGPRsForWavesPerEU: 62
; Occupancy: 16
; WaveLimiterHint : 1
; COMPUTE_PGM_RSRC2:SCRATCH_EN: 0
; COMPUTE_PGM_RSRC2:USER_SGPR: 6
; COMPUTE_PGM_RSRC2:TRAP_HANDLER: 0
; COMPUTE_PGM_RSRC2:TGID_X_EN: 1
; COMPUTE_PGM_RSRC2:TGID_Y_EN: 1
; COMPUTE_PGM_RSRC2:TGID_Z_EN: 1
; COMPUTE_PGM_RSRC2:TIDIG_COMP_CNT: 0
	.section	.text._ZN4vllm25paged_attention_v1_kernelIffLi192ELi8ELi128ELNS_18Fp8KVCacheDataTypeE0ELb1EEEvPT_PKS2_PKT0_S8_ifPKiSA_iPKfiiiSC_SC_iiiii,"axG",@progbits,_ZN4vllm25paged_attention_v1_kernelIffLi192ELi8ELi128ELNS_18Fp8KVCacheDataTypeE0ELb1EEEvPT_PKS2_PKT0_S8_ifPKiSA_iPKfiiiSC_SC_iiiii,comdat
	.protected	_ZN4vllm25paged_attention_v1_kernelIffLi192ELi8ELi128ELNS_18Fp8KVCacheDataTypeE0ELb1EEEvPT_PKS2_PKT0_S8_ifPKiSA_iPKfiiiSC_SC_iiiii ; -- Begin function _ZN4vllm25paged_attention_v1_kernelIffLi192ELi8ELi128ELNS_18Fp8KVCacheDataTypeE0ELb1EEEvPT_PKS2_PKT0_S8_ifPKiSA_iPKfiiiSC_SC_iiiii
	.globl	_ZN4vllm25paged_attention_v1_kernelIffLi192ELi8ELi128ELNS_18Fp8KVCacheDataTypeE0ELb1EEEvPT_PKS2_PKT0_S8_ifPKiSA_iPKfiiiSC_SC_iiiii
	.p2align	8
	.type	_ZN4vllm25paged_attention_v1_kernelIffLi192ELi8ELi128ELNS_18Fp8KVCacheDataTypeE0ELb1EEEvPT_PKS2_PKT0_S8_ifPKiSA_iPKfiiiSC_SC_iiiii,@function
_ZN4vllm25paged_attention_v1_kernelIffLi192ELi8ELi128ELNS_18Fp8KVCacheDataTypeE0ELb1EEEvPT_PKS2_PKT0_S8_ifPKiSA_iPKfiiiSC_SC_iiiii: ; @_ZN4vllm25paged_attention_v1_kernelIffLi192ELi8ELi128ELNS_18Fp8KVCacheDataTypeE0ELb1EEEvPT_PKS2_PKT0_S8_ifPKiSA_iPKfiiiSC_SC_iiiii
; %bb.0:
	s_clause 0x2
	s_load_dword s9, s[4:5], 0x80
	s_load_dwordx2 s[0:1], s[4:5], 0x30
	s_load_dwordx2 s[28:29], s[4:5], 0x20
	s_mov_b32 s10, s7
	s_ashr_i32 s11, s7, 31
	s_mov_b32 s33, 0
	s_lshl_b64 s[2:3], s[10:11], 2
	s_waitcnt lgkmcnt(0)
	s_add_u32 s0, s0, s2
	s_addc_u32 s1, s1, s3
	s_abs_i32 s2, s28
	s_abs_i32 s11, s9
	v_cvt_f32_u32_e32 v1, s2
	s_sub_i32 s7, 0, s2
	v_rcp_iflag_f32_e32 v1, v1
	v_mul_f32_e32 v1, 0x4f7ffffe, v1
	v_cvt_u32_f32_e32 v1, v1
	v_readfirstlane_b32 s3, v1
	s_mul_i32 s7, s7, s3
	s_mul_hi_u32 s7, s3, s7
	s_add_i32 s3, s3, s7
	s_xor_b32 s7, s9, s28
	s_mul_hi_u32 s3, s11, s3
	s_ashr_i32 s7, s7, 31
	s_mul_i32 s12, s3, s2
	s_sub_i32 s11, s11, s12
	s_add_i32 s12, s3, 1
	s_sub_i32 s13, s11, s2
	s_cmp_ge_u32 s11, s2
	s_cselect_b32 s3, s12, s3
	s_cselect_b32 s11, s13, s11
	s_add_i32 s12, s3, 1
	s_cmp_ge_u32 s11, s2
	s_cselect_b32 s2, s12, s3
	s_abs_i32 s23, s6
	s_xor_b32 s2, s2, s7
	s_sub_i32 s16, s2, s7
	s_load_dwordx2 s[2:3], s[4:5], 0x40
	s_abs_i32 s22, s16
	v_cvt_f32_u32_e32 v1, s22
	s_sub_i32 s11, 0, s22
	v_rcp_iflag_f32_e32 v1, v1
	v_mul_f32_e32 v1, 0x4f7ffffe, v1
	v_cvt_u32_f32_e32 v1, v1
	v_readfirstlane_b32 s7, v1
	s_mul_i32 s11, s11, s7
	s_mul_hi_u32 s11, s7, s11
	s_add_i32 s7, s7, s11
	s_waitcnt lgkmcnt(0)
	s_cmp_eq_u64 s[2:3], 0
	s_mul_hi_u32 s24, s23, s7
	s_cbranch_scc1 .LBB7_2
; %bb.1:
	s_ashr_i32 s7, s6, 31
	s_lshl_b64 s[12:13], s[6:7], 2
	s_add_u32 s2, s2, s12
	s_addc_u32 s3, s3, s13
	s_load_dword s33, s[2:3], 0x0
.LBB7_2:
	s_load_dword s30, s[0:1], 0x0
	s_clause 0x1
	s_load_dword s11, s[4:5], 0x88
	s_load_dwordx4 s[12:15], s[4:5], 0x48
	v_and_b32_e32 v1, 3, v0
	v_lshlrev_b32_e32 v3, 2, v0
	s_ashr_i32 s2, s6, 31
	s_ashr_i32 s3, s16, 31
	s_mul_i32 s20, s6, 0xc0
	s_mov_b32 s7, exec_lo
	v_cmpx_gt_u32_e32 0xc0, v0
	s_cbranch_execz .LBB7_5
; %bb.3:
	s_load_dwordx2 s[0:1], s[4:5], 0x8
	s_waitcnt lgkmcnt(0)
	s_mul_i32 s16, s12, s10
	v_and_b32_e32 v2, 0x3fc, v0
	s_ashr_i32 s17, s16, 31
	v_cmp_gt_u32_e32 vcc_lo, 64, v0
	s_lshl_b64 s[16:17], s[16:17], 2
	v_mad_u32_u24 v2, 0xc0, v1, v2
	s_add_u32 s12, s0, s16
	s_addc_u32 s15, s1, s17
	s_ashr_i32 s21, s20, 31
	s_lshl_b64 s[0:1], s[20:21], 2
	s_add_u32 s0, s12, s0
	s_addc_u32 s1, s15, s1
	global_load_dword v4, v3, s[0:1]
	s_waitcnt vmcnt(0)
	ds_write_b32 v2, v4
	s_and_b32 exec_lo, exec_lo, vcc_lo
	s_cbranch_execz .LBB7_5
; %bb.4:
	v_lshrrev_b32_e32 v4, 2, v0
	v_lshlrev_b32_e32 v5, 2, v1
	v_lshlrev_b32_e32 v4, 4, v4
	v_or3_b32 v4, v4, v5, 0x200
	global_load_dword v4, v4, s[0:1]
	s_waitcnt vmcnt(0)
	ds_write_b32 v2, v4 offset:128
.LBB7_5:
	s_or_b32 exec_lo, exec_lo, s7
	s_load_dwordx4 s[16:19], s[4:5], 0x68
	s_mul_i32 s0, s24, s22
	s_xor_b32 s1, s2, s3
	s_sub_i32 s0, s23, s0
	s_add_i32 s2, s24, 1
	s_sub_i32 s3, s0, s22
	s_cmp_ge_u32 s0, s22
	s_waitcnt lgkmcnt(0)
	s_mov_b32 s15, -1
	s_cselect_b32 s2, s2, s24
	s_cselect_b32 s0, s3, s0
	s_add_i32 s3, s2, 1
	s_cmp_ge_u32 s0, s22
	s_load_dword s0, s[4:5], 0x78
	s_cselect_b32 s2, s3, s2
	s_add_i32 s7, s30, -1
	s_xor_b32 s2, s2, s1
	s_abs_i32 s3, s7
	s_sub_i32 s1, s2, s1
	s_waitcnt lgkmcnt(0)
	s_barrier
	s_abs_i32 s12, s19
	buffer_gl0_inv
	v_cvt_f32_u32_e32 v2, s12
	s_sub_i32 s2, 0, s12
                                        ; implicit-def: $sgpr31
	v_rcp_iflag_f32_e32 v2, v2
	v_mul_f32_e32 v2, 0x4f7ffffe, v2
	v_cvt_u32_f32_e32 v2, v2
	v_readfirstlane_b32 s21, v2
	s_mul_i32 s2, s2, s21
	s_mul_hi_u32 s2, s21, s2
	s_add_i32 s21, s21, s2
	s_cmp_lt_i32 s0, 0
	s_mul_hi_u32 s2, s3, s21
	s_cbranch_scc0 .LBB7_7
; %bb.6:
	s_mul_i32 s15, s16, s28
	s_add_i32 s15, s1, s15
	s_mul_i32 s15, s15, s0
	s_sub_i32 s31, 1, s15
	s_mov_b32 s15, 0
.LBB7_7:
	s_load_dwordx2 s[22:23], s[4:5], 0x28
	s_ashr_i32 s7, s7, 31
	s_andn2_b32 vcc_lo, exec_lo, s15
	s_ashr_i32 s19, s19, 31
	s_cbranch_vccnz .LBB7_9
; %bb.8:
	s_mul_i32 s15, s9, s16
	s_add_i32 s6, s15, s6
	s_mul_i32 s0, s6, s0
	s_add_i32 s31, s0, 1
.LBB7_9:
	s_load_dword s0, s[4:5], 0x38
	s_mul_i32 s6, s2, s12
	s_xor_b32 s15, s7, s19
	s_sub_i32 s3, s3, s6
	s_add_i32 s16, s2, 1
	s_clause 0x1
	s_load_dwordx2 s[6:7], s[4:5], 0x0
	s_load_dwordx2 s[26:27], s[4:5], 0x18
	v_lshrrev_b32_e32 v55, 5, v0
	v_mov_b32_e32 v6, 0xff7fffff
	v_lshrrev_b32_e32 v4, 3, v0
	v_mbcnt_lo_u32_b32 v5, -1, 0
	s_mul_i32 s14, s1, s14
	v_lshlrev_b32_e32 v56, 3, v55
	s_waitcnt lgkmcnt(0)
	s_mul_i32 s24, s0, s10
	s_sub_i32 s0, s3, s12
	s_ashr_i32 s25, s24, 31
	s_cmp_ge_u32 s3, s12
	s_cselect_b32 s2, s16, s2
	s_cselect_b32 s0, s0, s3
	s_add_i32 s3, s2, 1
	s_cmp_ge_u32 s0, s12
	s_cselect_b32 s0, s3, s2
	s_add_i32 s2, s30, 7
	s_ashr_i32 s3, s2, 31
	s_lshr_b32 s3, s3, 29
	s_add_i32 s2, s2, s3
	s_ashr_i32 s16, s2, 3
	s_xor_b32 s2, s0, s15
	v_cmp_gt_i32_e64 s0, s16, v55
	s_sub_i32 s28, s2, s15
	s_and_saveexec_b32 s34, s0
	s_cbranch_execz .LBB7_21
; %bb.10:
	s_load_dwordx2 s[2:3], s[4:5], 0x10
	s_ashr_i32 s15, s14, 31
	s_sub_i32 s4, s28, s17
	s_lshl_b64 s[36:37], s[14:15], 2
	v_bfe_u32 v7, v0, 2, 3
	v_cmp_eq_u32_e32 vcc_lo, 0, v1
	v_lshlrev_b32_e32 v15, 2, v1
	v_mul_u32_u24_e32 v8, 0xc0, v1
	v_and_b32_e32 v1, 0x7c, v4
	v_lshlrev_b32_e32 v13, 2, v7
	v_subrev_nc_u32_e32 v14, s30, v7
	v_cmp_neq_f32_e64 s1, s33, 0
	v_lshlrev_b32_e32 v9, 3, v55
	v_mov_b32_e32 v10, 0xff7fffff
	v_lshl_or_b32 v16, v55, 5, v13
	v_add_nc_u32_e32 v13, 1, v14
	v_xor_b32_e32 v11, 2, v5
	v_xor_b32_e32 v12, 1, v5
	v_mov_b32_e32 v6, 0xff7fffff
	v_add_nc_u32_e32 v14, 0x320, v16
	s_waitcnt lgkmcnt(0)
	s_add_u32 s15, s2, s36
	s_addc_u32 s35, s3, s37
	s_abs_i32 s5, s18
	v_cvt_f32_u32_e32 v2, s5
	s_sub_i32 s2, 0, s5
	v_rcp_iflag_f32_e32 v2, v2
	v_mul_f32_e32 v2, 0x4f7ffffe, v2
	v_cvt_u32_f32_e32 v17, v2
	v_lshlrev_b32_e32 v2, 4, v7
	v_mul_lo_u32 v16, s2, v17
	s_lshl_b64 s[2:3], s[24:25], 2
	v_add_co_u32 v18, s15, s15, v2
	s_add_u32 s2, s22, s2
	v_add_co_ci_u32_e64 v19, null, s35, 0, s15
	s_addc_u32 s3, s23, s3
	v_mul_hi_u32 v20, v17, v16
	v_add_co_u32 v1, s2, s2, v1
	v_add_co_ci_u32_e64 v2, null, s3, 0, s2
	v_add_co_u32 v15, s2, v18, v15
	v_add_co_ci_u32_e64 v16, null, 0, v19, s2
	v_add_nc_u32_e32 v17, v17, v20
	v_mov_b32_e32 v18, v55
	s_mov_b32 s15, 0
	s_mov_b32 s35, s13
	s_branch .LBB7_13
.LBB7_11:                               ;   in Loop: Header=BB7_13 Depth=1
	s_or_b32 exec_lo, exec_lo, s36
.LBB7_12:                               ;   in Loop: Header=BB7_13 Depth=1
	s_or_b32 exec_lo, exec_lo, s3
	v_add_nc_u32_e32 v18, 4, v18
	v_add_co_u32 v1, s3, v1, 16
	v_add_co_ci_u32_e64 v2, null, 0, v2, s3
	v_cmp_le_i32_e64 s2, s16, v18
	v_add_nc_u32_e32 v9, 32, v9
	v_add_nc_u32_e32 v14, 0x80, v14
	s_or_b32 s15, s2, s15
	s_andn2_b32 exec_lo, exec_lo, s15
	s_cbranch_execz .LBB7_20
.LBB7_13:                               ; =>This Inner Loop Header: Depth=1
	v_mul_hi_u32 v19, v9, s21
	s_waitcnt lgkmcnt(0)
	v_mul_lo_u32 v20, v19, s12
	v_add_nc_u32_e32 v21, 1, v19
	v_sub_nc_u32_e32 v20, v9, v20
	v_subrev_nc_u32_e32 v22, s12, v20
	v_cmp_le_u32_e64 s2, s12, v20
	v_cndmask_b32_e64 v19, v19, v21, s2
	v_cndmask_b32_e64 v20, v20, v22, s2
	v_add_nc_u32_e32 v21, 1, v19
	v_cmp_le_u32_e64 s2, s12, v20
	v_cndmask_b32_e64 v19, v19, v21, s2
	v_xor_b32_e32 v19, s19, v19
	v_subrev_nc_u32_e32 v19, s19, v19
	v_add_nc_u32_e32 v20, s31, v19
	v_cmp_ge_i32_e64 s3, s4, v19
	v_sub_nc_u32_e32 v21, 0, v20
	v_max_i32_e32 v21, v20, v21
	v_ashrrev_i32_e32 v20, 31, v20
	v_mul_hi_u32 v22, v21, v17
	v_mul_lo_u32 v22, v22, s5
	v_sub_nc_u32_e32 v21, v21, v22
	v_subrev_nc_u32_e32 v22, s5, v21
	v_cmp_le_u32_e64 s2, s5, v21
	v_cndmask_b32_e64 v21, v21, v22, s2
	v_subrev_nc_u32_e32 v22, s5, v21
	v_cmp_le_u32_e64 s2, s5, v21
	v_cndmask_b32_e64 v21, v21, v22, s2
	v_xor_b32_e32 v21, v21, v20
	v_sub_nc_u32_e32 v20, v21, v20
	v_cmp_ne_u32_e64 s2, 0, v20
	s_and_b32 s2, s2, s3
	s_and_saveexec_b32 s3, s2
	s_xor_b32 s2, exec_lo, s3
	s_cbranch_execz .LBB7_17
; %bb.14:                               ;   in Loop: Header=BB7_13 Depth=1
	s_and_saveexec_b32 s3, vcc_lo
; %bb.15:                               ;   in Loop: Header=BB7_13 Depth=1
	ds_write_b32 v14, v10
; %bb.16:                               ;   in Loop: Header=BB7_13 Depth=1
	s_or_b32 exec_lo, exec_lo, s3
.LBB7_17:                               ;   in Loop: Header=BB7_13 Depth=1
	s_andn2_saveexec_b32 s3, s2
	s_cbranch_execz .LBB7_12
; %bb.18:                               ;   in Loop: Header=BB7_13 Depth=1
	global_load_dword v19, v[1:2], off
	s_waitcnt vmcnt(0)
	v_mad_i64_i32 v[19:20], null, v19, s35, 0
	v_lshlrev_b64 v[19:20], 2, v[19:20]
	v_add_co_u32 v19, s2, v15, v19
	v_add_co_ci_u32_e64 v20, null, v16, v20, s2
	s_clause 0xf
	global_load_dword v27, v[19:20], off offset:128
	global_load_dword v28, v[19:20], off offset:256
	;; [unrolled: 1-line block ×7, first 2 shown]
	global_load_dword v34, v[19:20], off
	global_load_dword v35, v[19:20], off offset:1024
	global_load_dword v36, v[19:20], off offset:1152
	;; [unrolled: 1-line block ×8, first 2 shown]
	v_add_co_u32 v21, s2, v19, 0x1000
	v_add_co_ci_u32_e64 v22, null, 0, v20, s2
	v_add_co_u32 v23, s2, 0x800, v19
	v_add_co_ci_u32_e64 v24, null, 0, v20, s2
	s_clause 0xf
	global_load_dword v43, v[21:22], off offset:-2048
	global_load_dword v44, v[23:24], off offset:128
	global_load_dword v45, v[23:24], off offset:256
	;; [unrolled: 1-line block ×15, first 2 shown]
	v_add_co_u32 v19, s2, 0x1000, v19
	v_add_co_ci_u32_e64 v20, null, 0, v20, s2
	s_clause 0xf
	global_load_dword v61, v[21:22], off
	global_load_dword v62, v[19:20], off offset:128
	global_load_dword v63, v[19:20], off offset:256
	;; [unrolled: 1-line block ×15, first 2 shown]
	ds_read_b128 v[19:22], v8
	ds_read_b128 v[23:26], v8 offset:16
	v_cmp_gt_i32_e64 s2, 32, v11
	s_waitcnt vmcnt(47) lgkmcnt(1)
	v_mul_f32_e32 v27, v20, v27
	s_waitcnt vmcnt(40)
	v_fmac_f32_e32 v27, v19, v34
	v_fmac_f32_e32 v27, v21, v28
	;; [unrolled: 1-line block ×3, first 2 shown]
	ds_read_b128 v[19:22], v8 offset:32
	s_waitcnt lgkmcnt(1)
	v_fmac_f32_e32 v27, v23, v30
	v_fmac_f32_e32 v27, v24, v31
	;; [unrolled: 1-line block ×4, first 2 shown]
	ds_read_b128 v[23:26], v8 offset:48
	s_waitcnt vmcnt(39) lgkmcnt(1)
	v_fmac_f32_e32 v27, v19, v35
	s_waitcnt vmcnt(38)
	v_fmac_f32_e32 v27, v20, v36
	s_waitcnt vmcnt(37)
	v_fmac_f32_e32 v27, v21, v37
	s_waitcnt vmcnt(36)
	v_fmac_f32_e32 v27, v22, v38
	ds_read_b128 v[19:22], v8 offset:64
	s_waitcnt vmcnt(35) lgkmcnt(1)
	v_fmac_f32_e32 v27, v23, v39
	s_waitcnt vmcnt(34)
	v_fmac_f32_e32 v27, v24, v40
	s_waitcnt vmcnt(33)
	v_fmac_f32_e32 v27, v25, v41
	s_waitcnt vmcnt(32)
	v_fmac_f32_e32 v27, v26, v42
	;; [unrolled: 9-line block ×8, first 2 shown]
	ds_read_b128 v[23:26], v8 offset:176
	s_waitcnt vmcnt(7) lgkmcnt(1)
	v_fmac_f32_e32 v27, v19, v69
	v_cndmask_b32_e64 v19, v5, v11, s2
	v_cmp_gt_i32_e64 s2, 32, v12
	s_waitcnt vmcnt(6)
	v_fmac_f32_e32 v27, v20, v70
	v_lshlrev_b32_e32 v19, 2, v19
	v_cndmask_b32_e64 v20, v5, v12, s2
	s_waitcnt vmcnt(5)
	v_fmac_f32_e32 v27, v21, v71
	v_lshlrev_b32_e32 v20, 2, v20
	s_waitcnt vmcnt(4)
	v_fmac_f32_e32 v27, v22, v72
	s_waitcnt vmcnt(3) lgkmcnt(0)
	v_fmac_f32_e32 v27, v23, v73
	s_waitcnt vmcnt(2)
	v_fmac_f32_e32 v27, v24, v74
	s_waitcnt vmcnt(1)
	;; [unrolled: 2-line block ×3, first 2 shown]
	v_fmac_f32_e32 v27, v26, v76
	ds_bpermute_b32 v19, v19, v27
	s_waitcnt lgkmcnt(0)
	v_add_f32_e32 v19, v27, v19
	ds_bpermute_b32 v20, v20, v19
	s_and_saveexec_b32 s36, vcc_lo
	s_cbranch_execz .LBB7_11
; %bb.19:                               ;   in Loop: Header=BB7_13 Depth=1
	v_add_nc_u32_e32 v21, v13, v9
	s_waitcnt lgkmcnt(0)
	v_add_f32_e32 v19, v19, v20
	v_cvt_f32_i32_e32 v21, v21
	v_mul_f32_e32 v21, s33, v21
	v_cndmask_b32_e64 v20, 0, v21, s1
	v_max_f32_e32 v21, v6, v6
	v_fmac_f32_e32 v20, s29, v19
	v_add_nc_u32_e32 v19, v7, v9
	v_max_f32_e32 v21, v21, v20
	v_cmp_gt_i32_e64 s2, s30, v19
	v_cndmask_b32_e64 v19, 0, v20, s2
	v_cndmask_b32_e64 v6, v6, v21, s2
	ds_write_b32 v14, v19
	s_branch .LBB7_11
.LBB7_20:
	s_or_b32 exec_lo, exec_lo, s15
.LBB7_21:
	s_or_b32 exec_lo, exec_lo, s34
	v_xor_b32_e32 v1, 16, v5
	v_xor_b32_e32 v7, 8, v5
	v_max_f32_e32 v8, v6, v6
	v_and_b32_e32 v57, 31, v0
	v_cmp_gt_i32_e32 vcc_lo, 32, v1
	v_cndmask_b32_e32 v1, v5, v1, vcc_lo
	v_cmp_gt_i32_e32 vcc_lo, 32, v7
	v_lshlrev_b32_e32 v2, 2, v1
	ds_bpermute_b32 v1, v2, v6
	v_cndmask_b32_e32 v6, v5, v7, vcc_lo
	v_lshlrev_b32_e32 v6, 2, v6
	s_waitcnt lgkmcnt(0)
	v_max_f32_e32 v1, v1, v1
	v_max_f32_e32 v1, v8, v1
	v_xor_b32_e32 v8, 4, v5
	ds_bpermute_b32 v7, v6, v1
	v_cmp_gt_i32_e32 vcc_lo, 32, v8
	v_cndmask_b32_e32 v8, v5, v8, vcc_lo
	v_cmp_eq_u32_e32 vcc_lo, 0, v57
	v_lshlrev_b32_e32 v9, 2, v8
	s_waitcnt lgkmcnt(0)
	v_max_f32_e32 v7, v7, v7
	v_max_f32_e32 v1, v1, v7
	v_lshlrev_b32_e32 v7, 2, v55
	ds_bpermute_b32 v8, v9, v1
	s_and_saveexec_b32 s1, vcc_lo
	s_cbranch_execz .LBB7_23
; %bb.22:
	s_waitcnt lgkmcnt(0)
	v_max_f32_e32 v8, v8, v8
	v_max_f32_e32 v1, v1, v1
	;; [unrolled: 1-line block ×3, first 2 shown]
	ds_write_b32 v7, v1 offset:768
.LBB7_23:
	s_or_b32 exec_lo, exec_lo, s1
	v_cmp_gt_u32_e64 s1, 4, v57
	v_mov_b32_e32 v1, 0xff7fffff
	s_waitcnt lgkmcnt(0)
	v_lshlrev_b32_e32 v8, 2, v57
	s_barrier
	buffer_gl0_inv
	s_and_saveexec_b32 s2, s1
; %bb.24:
	ds_read_b32 v1, v8 offset:768
; %bb.25:
	s_or_b32 exec_lo, exec_lo, s2
	v_xor_b32_e32 v10, 2, v5
	v_xor_b32_e32 v12, 1, v5
	v_cmp_gt_i32_e64 s2, 32, v10
	v_cndmask_b32_e64 v10, v5, v10, s2
	v_cmp_gt_i32_e64 s2, 32, v12
	v_lshlrev_b32_e32 v10, 2, v10
	v_cndmask_b32_e64 v5, v5, v12, s2
	s_lshl_b32 s2, s16, 3
	s_min_i32 s4, s2, s30
	s_waitcnt lgkmcnt(0)
	ds_bpermute_b32 v11, v10, v1
	v_max_f32_e32 v1, v1, v1
	v_lshlrev_b32_e32 v58, 2, v5
	v_cmp_gt_i32_e64 s2, s4, v0
	s_waitcnt lgkmcnt(0)
	v_max_f32_e32 v11, v11, v11
	v_max_f32_e32 v1, v1, v11
	ds_bpermute_b32 v5, v58, v1
	s_waitcnt lgkmcnt(0)
	v_max_f32_e32 v5, v5, v5
	v_max_f32_e32 v1, v1, v5
	v_mov_b32_e32 v5, 0
	ds_bpermute_b32 v11, v5, v1
	v_lshl_add_u32 v1, v0, 2, 0x320
	s_and_saveexec_b32 s5, s2
	s_cbranch_execz .LBB7_29
; %bb.26:
	v_lshl_add_u32 v12, v0, 2, 0x320
	v_mov_b32_e32 v5, 0
	v_mov_b32_e32 v13, v0
	s_mov_b32 s15, 0
	.p2align	6
.LBB7_27:                               ; =>This Inner Loop Header: Depth=1
	ds_read_b32 v14, v12
	v_add_nc_u32_e32 v13, 0x80, v13
	v_cmp_le_i32_e64 s3, s4, v13
	s_or_b32 s15, s3, s15
	s_waitcnt lgkmcnt(0)
	v_sub_f32_e32 v14, v14, v11
	v_mul_f32_e32 v14, 0x3fb8aa3b, v14
	v_exp_f32_e32 v14, v14
	ds_write_b32 v12, v14
	v_add_f32_e32 v5, v5, v14
	v_add_nc_u32_e32 v12, 0x200, v12
	s_andn2_b32 exec_lo, exec_lo, s15
	s_cbranch_execnz .LBB7_27
; %bb.28:
	s_or_b32 exec_lo, exec_lo, s15
.LBB7_29:
	s_or_b32 exec_lo, exec_lo, s5
	ds_bpermute_b32 v2, v2, v5
	s_waitcnt lgkmcnt(0)
	v_add_f32_e32 v2, v5, v2
	ds_bpermute_b32 v5, v6, v2
	s_waitcnt lgkmcnt(0)
	v_add_f32_e32 v2, v2, v5
	;; [unrolled: 3-line block ×5, first 2 shown]
	s_and_saveexec_b32 s3, vcc_lo
; %bb.30:
	ds_write_b32 v7, v2 offset:784
; %bb.31:
	s_or_b32 exec_lo, exec_lo, s3
	s_waitcnt lgkmcnt(0)
	s_barrier
	buffer_gl0_inv
	s_and_saveexec_b32 s3, s1
; %bb.32:
	ds_read_b32 v2, v8 offset:784
; %bb.33:
	s_or_b32 exec_lo, exec_lo, s3
	s_waitcnt lgkmcnt(0)
	ds_bpermute_b32 v5, v10, v2
	s_waitcnt lgkmcnt(0)
	v_add_f32_e32 v2, v2, v5
	ds_bpermute_b32 v5, v58, v2
	s_waitcnt lgkmcnt(0)
	v_add_f32_e32 v2, v2, v5
	v_mov_b32_e32 v5, 0
	ds_bpermute_b32 v2, v5, v2
	s_and_saveexec_b32 s1, s2
	s_cbranch_execz .LBB7_36
; %bb.34:
	s_waitcnt lgkmcnt(0)
	v_add_f32_e32 v2, 0x358637bd, v2
	s_mov_b32 s2, 0
	v_div_scale_f32 v5, null, v2, v2, 1.0
	v_div_scale_f32 v8, vcc_lo, 1.0, v2, 1.0
	v_rcp_f32_e32 v6, v5
	v_fma_f32 v7, -v5, v6, 1.0
	v_fmac_f32_e32 v6, v7, v6
	v_mul_f32_e32 v7, v8, v6
	v_fma_f32 v9, -v5, v7, v8
	v_fmac_f32_e32 v7, v9, v6
	v_fma_f32 v5, -v5, v7, v8
	v_div_fmas_f32 v5, v5, v6, v7
	v_div_fixup_f32 v2, v5, v2, 1.0
	v_mov_b32_e32 v5, v0
.LBB7_35:                               ; =>This Inner Loop Header: Depth=1
	ds_read_b32 v6, v1
	v_add_nc_u32_e32 v5, 0x80, v5
	v_cmp_le_i32_e32 vcc_lo, s4, v5
	s_or_b32 s2, vcc_lo, s2
	s_waitcnt lgkmcnt(0)
	v_mul_f32_e32 v6, v2, v6
	ds_write_b32 v1, v6
	v_add_nc_u32_e32 v1, 0x200, v1
	s_andn2_b32 exec_lo, exec_lo, s2
	s_cbranch_execnz .LBB7_35
.LBB7_36:
	s_or_b32 exec_lo, exec_lo, s1
	v_mov_b32_e32 v71, 0
	v_and_b32_e32 v59, 1, v0
	v_mov_b32_e32 v70, 0
	v_mov_b32_e32 v69, 0
	;; [unrolled: 1-line block ×11, first 2 shown]
	s_waitcnt lgkmcnt(0)
	s_barrier
	buffer_gl0_inv
	s_and_saveexec_b32 s3, s0
	s_cbranch_execz .LBB7_66
; %bb.37:
	s_ashr_i32 s15, s14, 31
	s_sub_i32 s4, s28, s17
	s_lshl_b64 s[0:1], s[14:15], 2
	v_lshlrev_b32_e32 v2, 4, v0
	s_add_u32 s2, s26, s0
	s_addc_u32 s15, s27, s1
	s_abs_i32 s5, s18
	v_and_b32_e32 v72, 4, v3
	v_cvt_f32_u32_e32 v1, s5
	s_sub_i32 s0, 0, s5
	v_and_b32_e32 v3, 0x7c, v4
	v_lshlrev_b32_e32 v4, 4, v59
	v_and_b32_e32 v2, 0x1f0, v2
	v_rcp_iflag_f32_e32 v1, v1
	s_add_i32 s14, s16, -1
	v_mov_b32_e32 v60, 0
	v_lshl_or_b32 v4, v55, 5, v4
	v_add_co_u32 v73, s2, s2, v2
	v_mov_b32_e32 v61, 0
	v_mov_b32_e32 v62, 0
	v_mov_b32_e32 v63, 0
	v_mov_b32_e32 v64, 0
	v_mul_f32_e32 v1, 0x4f7ffffe, v1
	v_mov_b32_e32 v65, 0
	v_mov_b32_e32 v66, 0
	v_mov_b32_e32 v67, 0
	v_mov_b32_e32 v68, 0
	v_cvt_u32_f32_e32 v1, v1
	v_mov_b32_e32 v69, 0
	v_mov_b32_e32 v70, 0
	;; [unrolled: 1-line block ×3, first 2 shown]
	v_add_co_ci_u32_e64 v74, null, s15, 0, s2
	v_mul_lo_u32 v5, s0, v1
	s_lshl_b64 s[0:1], s[24:25], 2
	v_add_nc_u32_e32 v75, 0x320, v4
	s_add_u32 s0, s22, s0
	s_addc_u32 s1, s23, s1
	v_add_co_u32 v53, s0, s0, v3
	v_add_co_ci_u32_e64 v54, null, s1, 0, s0
	v_mul_hi_u32 v5, v1, v5
	v_mov_b32_e32 v77, v55
	s_mov_b32 s15, s13
	s_mov_b32 s13, 0
	v_add_nc_u32_e32 v76, v1, v5
	s_branch .LBB7_40
.LBB7_38:                               ;   in Loop: Header=BB7_40 Depth=1
	s_or_b32 exec_lo, exec_lo, s18
	s_waitcnt vmcnt(1) lgkmcnt(0)
	v_mul_f32_e32 v49, v1, v49
	v_mul_f32_e32 v45, v1, v45
	v_mul_f32_e32 v37, v1, v37
	v_mul_f32_e32 v33, v1, v33
	v_mul_f32_e32 v29, v1, v29
	v_mul_f32_e32 v25, v1, v25
	v_mul_f32_e32 v21, v1, v21
	v_mul_f32_e32 v17, v1, v17
	v_mul_f32_e32 v13, v1, v13
	v_mul_f32_e32 v9, v1, v9
	v_mul_f32_e32 v5, v1, v5
	s_waitcnt vmcnt(0)
	v_mul_f32_e32 v1, v1, v41
	v_fmac_f32_e32 v49, v2, v50
	v_fmac_f32_e32 v45, v2, v46
	;; [unrolled: 1-line block ×36, first 2 shown]
	v_add_f32_e32 v61, v61, v49
	v_add_f32_e32 v62, v62, v45
	;; [unrolled: 1-line block ×12, first 2 shown]
.LBB7_39:                               ;   in Loop: Header=BB7_40 Depth=1
	s_or_b32 exec_lo, exec_lo, s17
	v_add_nc_u32_e32 v77, 4, v77
	v_add_co_u32 v53, s0, v53, 16
	v_add_co_ci_u32_e64 v54, null, 0, v54, s0
	v_cmp_le_i32_e32 vcc_lo, s16, v77
	v_add_nc_u32_e32 v56, 32, v56
	v_add_nc_u32_e32 v75, 0x80, v75
	s_or_b32 s13, vcc_lo, s13
	s_andn2_b32 exec_lo, exec_lo, s13
	s_cbranch_execz .LBB7_65
.LBB7_40:                               ; =>This Inner Loop Header: Depth=1
	v_mul_hi_u32 v1, v56, s21
	v_mul_lo_u32 v2, v1, s12
	v_add_nc_u32_e32 v3, 1, v1
	v_sub_nc_u32_e32 v2, v56, v2
	v_subrev_nc_u32_e32 v4, s12, v2
	v_cmp_le_u32_e32 vcc_lo, s12, v2
	v_cndmask_b32_e32 v1, v1, v3, vcc_lo
	v_cndmask_b32_e32 v2, v2, v4, vcc_lo
	v_add_nc_u32_e32 v3, 1, v1
	v_cmp_le_u32_e32 vcc_lo, s12, v2
	v_cndmask_b32_e32 v1, v1, v3, vcc_lo
	v_xor_b32_e32 v1, s19, v1
	v_subrev_nc_u32_e32 v1, s19, v1
	v_add_nc_u32_e32 v2, s31, v1
	v_cmp_lt_i32_e64 s0, s4, v1
	v_sub_nc_u32_e32 v3, 0, v2
	v_max_i32_e32 v3, v2, v3
	v_ashrrev_i32_e32 v2, 31, v2
	v_mul_hi_u32 v4, v3, v76
	v_mul_lo_u32 v4, v4, s5
	v_sub_nc_u32_e32 v3, v3, v4
	v_subrev_nc_u32_e32 v4, s5, v3
	v_cmp_le_u32_e32 vcc_lo, s5, v3
	v_cndmask_b32_e32 v3, v3, v4, vcc_lo
	v_subrev_nc_u32_e32 v4, s5, v3
	v_cmp_le_u32_e32 vcc_lo, s5, v3
	v_cndmask_b32_e32 v3, v3, v4, vcc_lo
	v_xor_b32_e32 v3, v3, v2
	v_sub_nc_u32_e32 v2, v3, v2
	v_cmp_eq_u32_e32 vcc_lo, 0, v2
	s_or_b32 s0, vcc_lo, s0
	s_and_saveexec_b32 s17, s0
	s_cbranch_execz .LBB7_39
; %bb.41:                               ;   in Loop: Header=BB7_40 Depth=1
	global_load_dword v1, v[53:54], off
	v_add_nc_u32_e32 v78, v72, v56
	v_add_nc_u32_e32 v81, 1, v78
	;; [unrolled: 1-line block ×4, first 2 shown]
	s_waitcnt vmcnt(0)
	v_mad_i64_i32 v[1:2], null, v1, s15, 0
	v_lshlrev_b64 v[1:2], 2, v[1:2]
	v_add_co_u32 v37, vcc_lo, v73, v1
	v_add_co_ci_u32_e64 v38, null, v74, v2, vcc_lo
	ds_read_b128 v[1:4], v75
	v_cmp_eq_u32_e32 vcc_lo, s14, v77
	global_load_dwordx4 v[5:8], v[37:38], off
	s_and_saveexec_b32 s1, vcc_lo
	s_cbranch_execnz .LBB7_55
; %bb.42:                               ;   in Loop: Header=BB7_40 Depth=1
	s_or_b32 exec_lo, exec_lo, s1
	global_load_dwordx4 v[9:12], v[37:38], off offset:512
	s_and_saveexec_b32 s1, vcc_lo
	s_cbranch_execnz .LBB7_56
.LBB7_43:                               ;   in Loop: Header=BB7_40 Depth=1
	s_or_b32 exec_lo, exec_lo, s1
	global_load_dwordx4 v[13:16], v[37:38], off offset:1024
	s_and_saveexec_b32 s1, vcc_lo
	s_cbranch_execnz .LBB7_57
.LBB7_44:                               ;   in Loop: Header=BB7_40 Depth=1
	s_or_b32 exec_lo, exec_lo, s1
	global_load_dwordx4 v[17:20], v[37:38], off offset:1536
	s_and_saveexec_b32 s1, vcc_lo
	s_cbranch_execz .LBB7_46
.LBB7_45:                               ;   in Loop: Header=BB7_40 Depth=1
	v_cmp_gt_i32_e64 s0, s30, v78
	s_waitcnt vmcnt(0)
	v_cndmask_b32_e64 v17, 0, v17, s0
	v_cmp_gt_i32_e64 s0, s30, v81
	v_cndmask_b32_e64 v18, 0, v18, s0
	v_cmp_gt_i32_e64 s0, s30, v80
	;; [unrolled: 2-line block ×3, first 2 shown]
	v_cndmask_b32_e64 v20, 0, v20, s0
.LBB7_46:                               ;   in Loop: Header=BB7_40 Depth=1
	s_or_b32 exec_lo, exec_lo, s1
	v_add_co_u32 v33, s0, 0x800, v37
	v_add_co_ci_u32_e64 v34, null, 0, v38, s0
	global_load_dwordx4 v[21:24], v[33:34], off
	s_and_saveexec_b32 s1, vcc_lo
	s_cbranch_execnz .LBB7_58
; %bb.47:                               ;   in Loop: Header=BB7_40 Depth=1
	s_or_b32 exec_lo, exec_lo, s1
	global_load_dwordx4 v[25:28], v[33:34], off offset:512
	s_and_saveexec_b32 s1, vcc_lo
	s_cbranch_execnz .LBB7_59
.LBB7_48:                               ;   in Loop: Header=BB7_40 Depth=1
	s_or_b32 exec_lo, exec_lo, s1
	global_load_dwordx4 v[29:32], v[33:34], off offset:1024
	s_and_saveexec_b32 s1, vcc_lo
	s_cbranch_execnz .LBB7_60
.LBB7_49:                               ;   in Loop: Header=BB7_40 Depth=1
	s_or_b32 exec_lo, exec_lo, s1
	global_load_dwordx4 v[33:36], v[33:34], off offset:1536
	s_and_saveexec_b32 s1, vcc_lo
	s_cbranch_execz .LBB7_51
.LBB7_50:                               ;   in Loop: Header=BB7_40 Depth=1
	v_cmp_gt_i32_e64 s0, s30, v78
	s_waitcnt vmcnt(0)
	v_cndmask_b32_e64 v33, 0, v33, s0
	v_cmp_gt_i32_e64 s0, s30, v81
	v_cndmask_b32_e64 v34, 0, v34, s0
	v_cmp_gt_i32_e64 s0, s30, v80
	;; [unrolled: 2-line block ×3, first 2 shown]
	v_cndmask_b32_e64 v36, 0, v36, s0
.LBB7_51:                               ;   in Loop: Header=BB7_40 Depth=1
	s_or_b32 exec_lo, exec_lo, s1
	v_add_co_u32 v41, s0, 0x1000, v37
	v_add_co_ci_u32_e64 v42, null, 0, v38, s0
	global_load_dwordx4 v[37:40], v[41:42], off
	s_and_saveexec_b32 s1, vcc_lo
	s_cbranch_execnz .LBB7_61
; %bb.52:                               ;   in Loop: Header=BB7_40 Depth=1
	s_or_b32 exec_lo, exec_lo, s1
	global_load_dwordx4 v[45:48], v[41:42], off offset:512
	s_and_saveexec_b32 s1, vcc_lo
	s_cbranch_execnz .LBB7_62
.LBB7_53:                               ;   in Loop: Header=BB7_40 Depth=1
	s_or_b32 exec_lo, exec_lo, s1
	global_load_dwordx4 v[49:52], v[41:42], off offset:1024
	s_and_saveexec_b32 s1, vcc_lo
	s_cbranch_execnz .LBB7_63
.LBB7_54:                               ;   in Loop: Header=BB7_40 Depth=1
	s_or_b32 exec_lo, exec_lo, s1
	global_load_dwordx4 v[41:44], v[41:42], off offset:1536
	s_and_saveexec_b32 s18, vcc_lo
	s_cbranch_execz .LBB7_38
	s_branch .LBB7_64
.LBB7_55:                               ;   in Loop: Header=BB7_40 Depth=1
	v_cmp_gt_i32_e64 s0, s30, v78
	s_waitcnt vmcnt(0)
	v_cndmask_b32_e64 v5, 0, v5, s0
	v_cmp_gt_i32_e64 s0, s30, v81
	v_cndmask_b32_e64 v6, 0, v6, s0
	v_cmp_gt_i32_e64 s0, s30, v80
	;; [unrolled: 2-line block ×3, first 2 shown]
	v_cndmask_b32_e64 v8, 0, v8, s0
	s_or_b32 exec_lo, exec_lo, s1
	global_load_dwordx4 v[9:12], v[37:38], off offset:512
	s_and_saveexec_b32 s1, vcc_lo
	s_cbranch_execz .LBB7_43
.LBB7_56:                               ;   in Loop: Header=BB7_40 Depth=1
	v_cmp_gt_i32_e64 s0, s30, v78
	s_waitcnt vmcnt(0)
	v_cndmask_b32_e64 v9, 0, v9, s0
	v_cmp_gt_i32_e64 s0, s30, v81
	v_cndmask_b32_e64 v10, 0, v10, s0
	v_cmp_gt_i32_e64 s0, s30, v80
	;; [unrolled: 2-line block ×3, first 2 shown]
	v_cndmask_b32_e64 v12, 0, v12, s0
	s_or_b32 exec_lo, exec_lo, s1
	global_load_dwordx4 v[13:16], v[37:38], off offset:1024
	s_and_saveexec_b32 s1, vcc_lo
	s_cbranch_execz .LBB7_44
.LBB7_57:                               ;   in Loop: Header=BB7_40 Depth=1
	v_cmp_gt_i32_e64 s0, s30, v78
	s_waitcnt vmcnt(0)
	v_cndmask_b32_e64 v13, 0, v13, s0
	v_cmp_gt_i32_e64 s0, s30, v81
	v_cndmask_b32_e64 v14, 0, v14, s0
	v_cmp_gt_i32_e64 s0, s30, v80
	;; [unrolled: 2-line block ×3, first 2 shown]
	v_cndmask_b32_e64 v16, 0, v16, s0
	s_or_b32 exec_lo, exec_lo, s1
	global_load_dwordx4 v[17:20], v[37:38], off offset:1536
	s_and_saveexec_b32 s1, vcc_lo
	s_cbranch_execnz .LBB7_45
	s_branch .LBB7_46
.LBB7_58:                               ;   in Loop: Header=BB7_40 Depth=1
	v_cmp_gt_i32_e64 s0, s30, v78
	s_waitcnt vmcnt(0)
	v_cndmask_b32_e64 v21, 0, v21, s0
	v_cmp_gt_i32_e64 s0, s30, v81
	v_cndmask_b32_e64 v22, 0, v22, s0
	v_cmp_gt_i32_e64 s0, s30, v80
	;; [unrolled: 2-line block ×3, first 2 shown]
	v_cndmask_b32_e64 v24, 0, v24, s0
	s_or_b32 exec_lo, exec_lo, s1
	global_load_dwordx4 v[25:28], v[33:34], off offset:512
	s_and_saveexec_b32 s1, vcc_lo
	s_cbranch_execz .LBB7_48
.LBB7_59:                               ;   in Loop: Header=BB7_40 Depth=1
	v_cmp_gt_i32_e64 s0, s30, v78
	s_waitcnt vmcnt(0)
	v_cndmask_b32_e64 v25, 0, v25, s0
	v_cmp_gt_i32_e64 s0, s30, v81
	v_cndmask_b32_e64 v26, 0, v26, s0
	v_cmp_gt_i32_e64 s0, s30, v80
	;; [unrolled: 2-line block ×3, first 2 shown]
	v_cndmask_b32_e64 v28, 0, v28, s0
	s_or_b32 exec_lo, exec_lo, s1
	global_load_dwordx4 v[29:32], v[33:34], off offset:1024
	s_and_saveexec_b32 s1, vcc_lo
	s_cbranch_execz .LBB7_49
.LBB7_60:                               ;   in Loop: Header=BB7_40 Depth=1
	v_cmp_gt_i32_e64 s0, s30, v78
	s_waitcnt vmcnt(0)
	v_cndmask_b32_e64 v29, 0, v29, s0
	v_cmp_gt_i32_e64 s0, s30, v81
	v_cndmask_b32_e64 v30, 0, v30, s0
	v_cmp_gt_i32_e64 s0, s30, v80
	;; [unrolled: 2-line block ×3, first 2 shown]
	v_cndmask_b32_e64 v32, 0, v32, s0
	s_or_b32 exec_lo, exec_lo, s1
	global_load_dwordx4 v[33:36], v[33:34], off offset:1536
	s_and_saveexec_b32 s1, vcc_lo
	s_cbranch_execnz .LBB7_50
	s_branch .LBB7_51
.LBB7_61:                               ;   in Loop: Header=BB7_40 Depth=1
	v_cmp_gt_i32_e64 s0, s30, v78
	s_waitcnt vmcnt(0)
	v_cndmask_b32_e64 v37, 0, v37, s0
	v_cmp_gt_i32_e64 s0, s30, v81
	v_cndmask_b32_e64 v38, 0, v38, s0
	v_cmp_gt_i32_e64 s0, s30, v80
	;; [unrolled: 2-line block ×3, first 2 shown]
	v_cndmask_b32_e64 v40, 0, v40, s0
	s_or_b32 exec_lo, exec_lo, s1
	global_load_dwordx4 v[45:48], v[41:42], off offset:512
	s_and_saveexec_b32 s1, vcc_lo
	s_cbranch_execz .LBB7_53
.LBB7_62:                               ;   in Loop: Header=BB7_40 Depth=1
	v_cmp_gt_i32_e64 s0, s30, v78
	s_waitcnt vmcnt(0)
	v_cndmask_b32_e64 v45, 0, v45, s0
	v_cmp_gt_i32_e64 s0, s30, v81
	v_cndmask_b32_e64 v46, 0, v46, s0
	v_cmp_gt_i32_e64 s0, s30, v80
	;; [unrolled: 2-line block ×3, first 2 shown]
	v_cndmask_b32_e64 v48, 0, v48, s0
	s_or_b32 exec_lo, exec_lo, s1
	global_load_dwordx4 v[49:52], v[41:42], off offset:1024
	s_and_saveexec_b32 s1, vcc_lo
	s_cbranch_execz .LBB7_54
.LBB7_63:                               ;   in Loop: Header=BB7_40 Depth=1
	v_cmp_gt_i32_e64 s0, s30, v78
	s_waitcnt vmcnt(0)
	v_cndmask_b32_e64 v49, 0, v49, s0
	v_cmp_gt_i32_e64 s0, s30, v81
	v_cndmask_b32_e64 v50, 0, v50, s0
	v_cmp_gt_i32_e64 s0, s30, v80
	;; [unrolled: 2-line block ×3, first 2 shown]
	v_cndmask_b32_e64 v52, 0, v52, s0
	s_or_b32 exec_lo, exec_lo, s1
	global_load_dwordx4 v[41:44], v[41:42], off offset:1536
	s_and_saveexec_b32 s18, vcc_lo
	s_cbranch_execz .LBB7_38
.LBB7_64:                               ;   in Loop: Header=BB7_40 Depth=1
	v_cmp_gt_i32_e32 vcc_lo, s30, v78
	v_cmp_gt_i32_e64 s0, s30, v81
	v_cmp_gt_i32_e64 s1, s30, v80
	;; [unrolled: 1-line block ×3, first 2 shown]
	s_waitcnt vmcnt(0)
	v_cndmask_b32_e32 v41, 0, v41, vcc_lo
	v_cndmask_b32_e64 v42, 0, v42, s0
	v_cndmask_b32_e64 v43, 0, v43, s1
	;; [unrolled: 1-line block ×3, first 2 shown]
	s_branch .LBB7_38
.LBB7_65:
	s_or_b32 exec_lo, exec_lo, s13
.LBB7_66:
	s_or_b32 exec_lo, exec_lo, s3
	ds_bpermute_b32 v1, v58, v71
	ds_bpermute_b32 v2, v58, v70
	;; [unrolled: 1-line block ×12, first 2 shown]
	v_lshrrev_b32_e32 v13, 1, v57
	v_and_b32_e32 v16, 0x3c1, v0
	v_mul_u32_u24_e32 v15, 0x300, v55
	s_mov_b32 s0, exec_lo
	s_waitcnt lgkmcnt(0)
	v_lshl_add_u32 v14, v13, 2, 0x320
	s_barrier
	buffer_gl0_inv
	v_add_f32_e32 v1, v71, v1
	v_add_f32_e32 v2, v70, v2
	;; [unrolled: 1-line block ×12, first 2 shown]
	v_cmpx_eq_u32_e32 64, v16
	s_cbranch_execz .LBB7_68
; %bb.67:
	v_add_nc_u32_e32 v16, v14, v15
	v_add_nc_u32_e32 v17, 0xfffffa00, v16
	;; [unrolled: 1-line block ×8, first 2 shown]
	ds_write_b32 v17, v1
	ds_write_b32 v18, v2
	;; [unrolled: 1-line block ×7, first 2 shown]
	v_add_nc_u32_e32 v17, 0xfffffbc0, v16
	v_add_nc_u32_e32 v18, 0xfffffc00, v16
	;; [unrolled: 1-line block ×5, first 2 shown]
	ds_write_b32 v17, v8
	ds_write_b32 v18, v9
	ds_write_b32 v19, v10
	ds_write_b32 v20, v11
	ds_write_b32 v16, v12
.LBB7_68:
	s_or_b32 exec_lo, exec_lo, s0
	v_lshlrev_b32_e32 v13, 2, v13
	s_mov_b32 s1, exec_lo
	v_cmp_eq_u32_e32 vcc_lo, 0, v59
	s_waitcnt lgkmcnt(0)
	s_barrier
	v_add3_u32 v13, 0x320, v15, v13
	buffer_gl0_inv
	v_cmpx_gt_u32_e32 64, v0
	s_cbranch_execz .LBB7_83
; %bb.69:
	s_and_saveexec_b32 s0, vcc_lo
	s_cbranch_execnz .LBB7_103
; %bb.70:
	s_or_b32 exec_lo, exec_lo, s0
	s_and_saveexec_b32 s0, vcc_lo
	s_cbranch_execnz .LBB7_104
.LBB7_71:
	s_or_b32 exec_lo, exec_lo, s0
	s_and_saveexec_b32 s0, vcc_lo
	s_cbranch_execnz .LBB7_105
.LBB7_72:
	s_or_b32 exec_lo, exec_lo, s0
	s_and_saveexec_b32 s0, vcc_lo
	s_cbranch_execnz .LBB7_106
.LBB7_73:
	s_or_b32 exec_lo, exec_lo, s0
	s_and_saveexec_b32 s0, vcc_lo
	s_cbranch_execnz .LBB7_107
.LBB7_74:
	s_or_b32 exec_lo, exec_lo, s0
	s_and_saveexec_b32 s0, vcc_lo
	s_cbranch_execnz .LBB7_108
.LBB7_75:
	s_or_b32 exec_lo, exec_lo, s0
	s_and_saveexec_b32 s0, vcc_lo
	s_cbranch_execnz .LBB7_109
.LBB7_76:
	s_or_b32 exec_lo, exec_lo, s0
	s_and_saveexec_b32 s0, vcc_lo
	s_cbranch_execnz .LBB7_110
.LBB7_77:
	s_or_b32 exec_lo, exec_lo, s0
	s_and_saveexec_b32 s0, vcc_lo
	s_cbranch_execnz .LBB7_111
.LBB7_78:
	s_or_b32 exec_lo, exec_lo, s0
	s_and_saveexec_b32 s0, vcc_lo
	s_cbranch_execnz .LBB7_112
.LBB7_79:
	s_or_b32 exec_lo, exec_lo, s0
	s_and_saveexec_b32 s0, vcc_lo
	s_cbranch_execnz .LBB7_113
.LBB7_80:
	s_or_b32 exec_lo, exec_lo, s0
	s_and_saveexec_b32 s0, vcc_lo
	s_cbranch_execz .LBB7_82
.LBB7_81:
	ds_read_b32 v15, v13 offset:704
	s_waitcnt lgkmcnt(0)
	v_add_f32_e32 v12, v12, v15
.LBB7_82:
	s_or_b32 exec_lo, exec_lo, s0
.LBB7_83:
	s_or_b32 exec_lo, exec_lo, s1
	v_and_b32_e32 v15, 0x3e1, v0
	s_mov_b32 s1, exec_lo
	s_barrier
	buffer_gl0_inv
	v_cmpx_eq_u32_e32 32, v15
	s_cbranch_execz .LBB7_85
; %bb.84:
	ds_write2_b32 v14, v1, v2 offset1:16
	ds_write2_b32 v14, v3, v4 offset0:32 offset1:48
	ds_write2_b32 v14, v5, v6 offset0:64 offset1:80
	;; [unrolled: 1-line block ×5, first 2 shown]
.LBB7_85:
	s_or_b32 exec_lo, exec_lo, s1
	s_mov_b32 s1, exec_lo
	s_waitcnt lgkmcnt(0)
	s_barrier
	buffer_gl0_inv
	v_cmpx_gt_u32_e32 32, v0
	s_cbranch_execz .LBB7_100
; %bb.86:
	s_and_saveexec_b32 s0, vcc_lo
	s_cbranch_execnz .LBB7_114
; %bb.87:
	s_or_b32 exec_lo, exec_lo, s0
	s_and_saveexec_b32 s0, vcc_lo
	s_cbranch_execnz .LBB7_115
.LBB7_88:
	s_or_b32 exec_lo, exec_lo, s0
	s_and_saveexec_b32 s0, vcc_lo
	s_cbranch_execnz .LBB7_116
.LBB7_89:
	s_or_b32 exec_lo, exec_lo, s0
	s_and_saveexec_b32 s0, vcc_lo
	s_cbranch_execnz .LBB7_117
.LBB7_90:
	s_or_b32 exec_lo, exec_lo, s0
	s_and_saveexec_b32 s0, vcc_lo
	s_cbranch_execnz .LBB7_118
.LBB7_91:
	s_or_b32 exec_lo, exec_lo, s0
	s_and_saveexec_b32 s0, vcc_lo
	s_cbranch_execnz .LBB7_119
.LBB7_92:
	s_or_b32 exec_lo, exec_lo, s0
	s_and_saveexec_b32 s0, vcc_lo
	s_cbranch_execnz .LBB7_120
.LBB7_93:
	s_or_b32 exec_lo, exec_lo, s0
	s_and_saveexec_b32 s0, vcc_lo
	s_cbranch_execnz .LBB7_121
.LBB7_94:
	s_or_b32 exec_lo, exec_lo, s0
	s_and_saveexec_b32 s0, vcc_lo
	s_cbranch_execnz .LBB7_122
.LBB7_95:
	s_or_b32 exec_lo, exec_lo, s0
	s_and_saveexec_b32 s0, vcc_lo
	s_cbranch_execnz .LBB7_123
.LBB7_96:
	s_or_b32 exec_lo, exec_lo, s0
	s_and_saveexec_b32 s0, vcc_lo
	s_cbranch_execnz .LBB7_124
.LBB7_97:
	s_or_b32 exec_lo, exec_lo, s0
	s_and_saveexec_b32 s0, vcc_lo
	s_cbranch_execz .LBB7_99
.LBB7_98:
	ds_read_b32 v13, v13 offset:704
	s_waitcnt lgkmcnt(0)
	v_add_f32_e32 v12, v12, v13
.LBB7_99:
	s_or_b32 exec_lo, exec_lo, s0
.LBB7_100:
	s_or_b32 exec_lo, exec_lo, s1
	s_barrier
	buffer_gl0_inv
	s_mov_b32 s0, exec_lo
	v_cmpx_eq_u32_e32 0, v15
	s_cbranch_execz .LBB7_102
; %bb.101:
	s_mul_i32 s0, s10, s11
	s_mul_i32 s2, s11, s20
	;; [unrolled: 1-line block ×3, first 2 shown]
	v_lshlrev_b32_e32 v0, 1, v0
	s_mulk_i32 s0, 0xc0
	s_ashr_i32 s1, s0, 31
	s_lshl_b64 s[0:1], s[0:1], 2
	s_add_u32 s4, s6, s0
	s_addc_u32 s5, s7, s1
	s_ashr_i32 s3, s2, 31
	s_lshl_b64 s[0:1], s[2:3], 2
	s_mul_i32 s2, s8, 0xc0
	s_add_u32 s4, s4, s0
	s_addc_u32 s5, s5, s1
	s_ashr_i32 s3, s2, 31
	s_lshl_b64 s[0:1], s[2:3], 2
	s_add_u32 s0, s4, s0
	s_addc_u32 s1, s5, s1
	global_store_dword v0, v1, s[0:1]
	global_store_dword v0, v2, s[0:1] offset:64
	global_store_dword v0, v3, s[0:1] offset:128
	;; [unrolled: 1-line block ×11, first 2 shown]
.LBB7_102:
	s_endpgm
.LBB7_103:
	ds_read_b32 v15, v13
	s_waitcnt lgkmcnt(0)
	v_add_f32_e32 v1, v1, v15
	s_or_b32 exec_lo, exec_lo, s0
	s_and_saveexec_b32 s0, vcc_lo
	s_cbranch_execz .LBB7_71
.LBB7_104:
	ds_read_b32 v15, v13 offset:64
	s_waitcnt lgkmcnt(0)
	v_add_f32_e32 v2, v2, v15
	s_or_b32 exec_lo, exec_lo, s0
	s_and_saveexec_b32 s0, vcc_lo
	s_cbranch_execz .LBB7_72
.LBB7_105:
	ds_read_b32 v15, v13 offset:128
	s_waitcnt lgkmcnt(0)
	v_add_f32_e32 v3, v3, v15
	s_or_b32 exec_lo, exec_lo, s0
	s_and_saveexec_b32 s0, vcc_lo
	s_cbranch_execz .LBB7_73
.LBB7_106:
	ds_read_b32 v15, v13 offset:192
	s_waitcnt lgkmcnt(0)
	v_add_f32_e32 v4, v4, v15
	s_or_b32 exec_lo, exec_lo, s0
	s_and_saveexec_b32 s0, vcc_lo
	s_cbranch_execz .LBB7_74
.LBB7_107:
	ds_read_b32 v15, v13 offset:256
	s_waitcnt lgkmcnt(0)
	v_add_f32_e32 v5, v5, v15
	s_or_b32 exec_lo, exec_lo, s0
	s_and_saveexec_b32 s0, vcc_lo
	s_cbranch_execz .LBB7_75
.LBB7_108:
	ds_read_b32 v15, v13 offset:320
	s_waitcnt lgkmcnt(0)
	v_add_f32_e32 v6, v6, v15
	s_or_b32 exec_lo, exec_lo, s0
	s_and_saveexec_b32 s0, vcc_lo
	s_cbranch_execz .LBB7_76
.LBB7_109:
	ds_read_b32 v15, v13 offset:384
	s_waitcnt lgkmcnt(0)
	v_add_f32_e32 v7, v7, v15
	s_or_b32 exec_lo, exec_lo, s0
	s_and_saveexec_b32 s0, vcc_lo
	s_cbranch_execz .LBB7_77
.LBB7_110:
	ds_read_b32 v15, v13 offset:448
	s_waitcnt lgkmcnt(0)
	v_add_f32_e32 v8, v8, v15
	s_or_b32 exec_lo, exec_lo, s0
	s_and_saveexec_b32 s0, vcc_lo
	s_cbranch_execz .LBB7_78
.LBB7_111:
	ds_read_b32 v15, v13 offset:512
	s_waitcnt lgkmcnt(0)
	v_add_f32_e32 v9, v9, v15
	s_or_b32 exec_lo, exec_lo, s0
	s_and_saveexec_b32 s0, vcc_lo
	s_cbranch_execz .LBB7_79
.LBB7_112:
	ds_read_b32 v15, v13 offset:576
	s_waitcnt lgkmcnt(0)
	v_add_f32_e32 v10, v10, v15
	s_or_b32 exec_lo, exec_lo, s0
	s_and_saveexec_b32 s0, vcc_lo
	s_cbranch_execz .LBB7_80
.LBB7_113:
	ds_read_b32 v15, v13 offset:640
	s_waitcnt lgkmcnt(0)
	v_add_f32_e32 v11, v11, v15
	s_or_b32 exec_lo, exec_lo, s0
	s_and_saveexec_b32 s0, vcc_lo
	s_cbranch_execnz .LBB7_81
	s_branch .LBB7_82
.LBB7_114:
	ds_read_b32 v14, v13
	s_waitcnt lgkmcnt(0)
	v_add_f32_e32 v1, v1, v14
	s_or_b32 exec_lo, exec_lo, s0
	s_and_saveexec_b32 s0, vcc_lo
	s_cbranch_execz .LBB7_88
.LBB7_115:
	ds_read_b32 v14, v13 offset:64
	s_waitcnt lgkmcnt(0)
	v_add_f32_e32 v2, v2, v14
	s_or_b32 exec_lo, exec_lo, s0
	s_and_saveexec_b32 s0, vcc_lo
	s_cbranch_execz .LBB7_89
.LBB7_116:
	ds_read_b32 v14, v13 offset:128
	s_waitcnt lgkmcnt(0)
	v_add_f32_e32 v3, v3, v14
	s_or_b32 exec_lo, exec_lo, s0
	s_and_saveexec_b32 s0, vcc_lo
	s_cbranch_execz .LBB7_90
.LBB7_117:
	ds_read_b32 v14, v13 offset:192
	s_waitcnt lgkmcnt(0)
	v_add_f32_e32 v4, v4, v14
	s_or_b32 exec_lo, exec_lo, s0
	s_and_saveexec_b32 s0, vcc_lo
	s_cbranch_execz .LBB7_91
.LBB7_118:
	ds_read_b32 v14, v13 offset:256
	s_waitcnt lgkmcnt(0)
	v_add_f32_e32 v5, v5, v14
	s_or_b32 exec_lo, exec_lo, s0
	s_and_saveexec_b32 s0, vcc_lo
	s_cbranch_execz .LBB7_92
.LBB7_119:
	ds_read_b32 v14, v13 offset:320
	s_waitcnt lgkmcnt(0)
	v_add_f32_e32 v6, v6, v14
	s_or_b32 exec_lo, exec_lo, s0
	s_and_saveexec_b32 s0, vcc_lo
	s_cbranch_execz .LBB7_93
.LBB7_120:
	ds_read_b32 v14, v13 offset:384
	s_waitcnt lgkmcnt(0)
	v_add_f32_e32 v7, v7, v14
	s_or_b32 exec_lo, exec_lo, s0
	s_and_saveexec_b32 s0, vcc_lo
	s_cbranch_execz .LBB7_94
.LBB7_121:
	ds_read_b32 v14, v13 offset:448
	s_waitcnt lgkmcnt(0)
	v_add_f32_e32 v8, v8, v14
	s_or_b32 exec_lo, exec_lo, s0
	s_and_saveexec_b32 s0, vcc_lo
	s_cbranch_execz .LBB7_95
.LBB7_122:
	ds_read_b32 v14, v13 offset:512
	s_waitcnt lgkmcnt(0)
	v_add_f32_e32 v9, v9, v14
	s_or_b32 exec_lo, exec_lo, s0
	s_and_saveexec_b32 s0, vcc_lo
	s_cbranch_execz .LBB7_96
.LBB7_123:
	ds_read_b32 v14, v13 offset:576
	s_waitcnt lgkmcnt(0)
	v_add_f32_e32 v10, v10, v14
	s_or_b32 exec_lo, exec_lo, s0
	s_and_saveexec_b32 s0, vcc_lo
	s_cbranch_execz .LBB7_97
.LBB7_124:
	ds_read_b32 v14, v13 offset:640
	s_waitcnt lgkmcnt(0)
	v_add_f32_e32 v11, v11, v14
	s_or_b32 exec_lo, exec_lo, s0
	s_and_saveexec_b32 s0, vcc_lo
	s_cbranch_execnz .LBB7_98
	s_branch .LBB7_99
	.section	.rodata,"a",@progbits
	.p2align	6, 0x0
	.amdhsa_kernel _ZN4vllm25paged_attention_v1_kernelIffLi192ELi8ELi128ELNS_18Fp8KVCacheDataTypeE0ELb1EEEvPT_PKS2_PKT0_S8_ifPKiSA_iPKfiiiSC_SC_iiiii
		.amdhsa_group_segment_fixed_size 800
		.amdhsa_private_segment_fixed_size 0
		.amdhsa_kernarg_size 384
		.amdhsa_user_sgpr_count 6
		.amdhsa_user_sgpr_private_segment_buffer 1
		.amdhsa_user_sgpr_dispatch_ptr 0
		.amdhsa_user_sgpr_queue_ptr 0
		.amdhsa_user_sgpr_kernarg_segment_ptr 1
		.amdhsa_user_sgpr_dispatch_id 0
		.amdhsa_user_sgpr_flat_scratch_init 0
		.amdhsa_user_sgpr_private_segment_size 0
		.amdhsa_wavefront_size32 1
		.amdhsa_uses_dynamic_stack 0
		.amdhsa_system_sgpr_private_segment_wavefront_offset 0
		.amdhsa_system_sgpr_workgroup_id_x 1
		.amdhsa_system_sgpr_workgroup_id_y 1
		.amdhsa_system_sgpr_workgroup_id_z 1
		.amdhsa_system_sgpr_workgroup_info 0
		.amdhsa_system_vgpr_workitem_id 0
		.amdhsa_next_free_vgpr 82
		.amdhsa_next_free_sgpr 38
		.amdhsa_reserve_vcc 1
		.amdhsa_reserve_flat_scratch 0
		.amdhsa_float_round_mode_32 0
		.amdhsa_float_round_mode_16_64 0
		.amdhsa_float_denorm_mode_32 3
		.amdhsa_float_denorm_mode_16_64 3
		.amdhsa_dx10_clamp 1
		.amdhsa_ieee_mode 1
		.amdhsa_fp16_overflow 0
		.amdhsa_workgroup_processor_mode 1
		.amdhsa_memory_ordered 1
		.amdhsa_forward_progress 1
		.amdhsa_shared_vgpr_count 0
		.amdhsa_exception_fp_ieee_invalid_op 0
		.amdhsa_exception_fp_denorm_src 0
		.amdhsa_exception_fp_ieee_div_zero 0
		.amdhsa_exception_fp_ieee_overflow 0
		.amdhsa_exception_fp_ieee_underflow 0
		.amdhsa_exception_fp_ieee_inexact 0
		.amdhsa_exception_int_div_zero 0
	.end_amdhsa_kernel
	.section	.text._ZN4vllm25paged_attention_v1_kernelIffLi192ELi8ELi128ELNS_18Fp8KVCacheDataTypeE0ELb1EEEvPT_PKS2_PKT0_S8_ifPKiSA_iPKfiiiSC_SC_iiiii,"axG",@progbits,_ZN4vllm25paged_attention_v1_kernelIffLi192ELi8ELi128ELNS_18Fp8KVCacheDataTypeE0ELb1EEEvPT_PKS2_PKT0_S8_ifPKiSA_iPKfiiiSC_SC_iiiii,comdat
.Lfunc_end7:
	.size	_ZN4vllm25paged_attention_v1_kernelIffLi192ELi8ELi128ELNS_18Fp8KVCacheDataTypeE0ELb1EEEvPT_PKS2_PKT0_S8_ifPKiSA_iPKfiiiSC_SC_iiiii, .Lfunc_end7-_ZN4vllm25paged_attention_v1_kernelIffLi192ELi8ELi128ELNS_18Fp8KVCacheDataTypeE0ELb1EEEvPT_PKS2_PKT0_S8_ifPKiSA_iPKfiiiSC_SC_iiiii
                                        ; -- End function
	.set _ZN4vllm25paged_attention_v1_kernelIffLi192ELi8ELi128ELNS_18Fp8KVCacheDataTypeE0ELb1EEEvPT_PKS2_PKT0_S8_ifPKiSA_iPKfiiiSC_SC_iiiii.num_vgpr, 82
	.set _ZN4vllm25paged_attention_v1_kernelIffLi192ELi8ELi128ELNS_18Fp8KVCacheDataTypeE0ELb1EEEvPT_PKS2_PKT0_S8_ifPKiSA_iPKfiiiSC_SC_iiiii.num_agpr, 0
	.set _ZN4vllm25paged_attention_v1_kernelIffLi192ELi8ELi128ELNS_18Fp8KVCacheDataTypeE0ELb1EEEvPT_PKS2_PKT0_S8_ifPKiSA_iPKfiiiSC_SC_iiiii.numbered_sgpr, 38
	.set _ZN4vllm25paged_attention_v1_kernelIffLi192ELi8ELi128ELNS_18Fp8KVCacheDataTypeE0ELb1EEEvPT_PKS2_PKT0_S8_ifPKiSA_iPKfiiiSC_SC_iiiii.num_named_barrier, 0
	.set _ZN4vllm25paged_attention_v1_kernelIffLi192ELi8ELi128ELNS_18Fp8KVCacheDataTypeE0ELb1EEEvPT_PKS2_PKT0_S8_ifPKiSA_iPKfiiiSC_SC_iiiii.private_seg_size, 0
	.set _ZN4vllm25paged_attention_v1_kernelIffLi192ELi8ELi128ELNS_18Fp8KVCacheDataTypeE0ELb1EEEvPT_PKS2_PKT0_S8_ifPKiSA_iPKfiiiSC_SC_iiiii.uses_vcc, 1
	.set _ZN4vllm25paged_attention_v1_kernelIffLi192ELi8ELi128ELNS_18Fp8KVCacheDataTypeE0ELb1EEEvPT_PKS2_PKT0_S8_ifPKiSA_iPKfiiiSC_SC_iiiii.uses_flat_scratch, 0
	.set _ZN4vllm25paged_attention_v1_kernelIffLi192ELi8ELi128ELNS_18Fp8KVCacheDataTypeE0ELb1EEEvPT_PKS2_PKT0_S8_ifPKiSA_iPKfiiiSC_SC_iiiii.has_dyn_sized_stack, 0
	.set _ZN4vllm25paged_attention_v1_kernelIffLi192ELi8ELi128ELNS_18Fp8KVCacheDataTypeE0ELb1EEEvPT_PKS2_PKT0_S8_ifPKiSA_iPKfiiiSC_SC_iiiii.has_recursion, 0
	.set _ZN4vllm25paged_attention_v1_kernelIffLi192ELi8ELi128ELNS_18Fp8KVCacheDataTypeE0ELb1EEEvPT_PKS2_PKT0_S8_ifPKiSA_iPKfiiiSC_SC_iiiii.has_indirect_call, 0
	.section	.AMDGPU.csdata,"",@progbits
; Kernel info:
; codeLenInByte = 7132
; TotalNumSgprs: 40
; NumVgprs: 82
; ScratchSize: 0
; MemoryBound: 0
; FloatMode: 240
; IeeeMode: 1
; LDSByteSize: 800 bytes/workgroup (compile time only)
; SGPRBlocks: 0
; VGPRBlocks: 10
; NumSGPRsForWavesPerEU: 40
; NumVGPRsForWavesPerEU: 82
; Occupancy: 10
; WaveLimiterHint : 1
; COMPUTE_PGM_RSRC2:SCRATCH_EN: 0
; COMPUTE_PGM_RSRC2:USER_SGPR: 6
; COMPUTE_PGM_RSRC2:TRAP_HANDLER: 0
; COMPUTE_PGM_RSRC2:TGID_X_EN: 1
; COMPUTE_PGM_RSRC2:TGID_Y_EN: 1
; COMPUTE_PGM_RSRC2:TGID_Z_EN: 1
; COMPUTE_PGM_RSRC2:TIDIG_COMP_CNT: 0
	.section	.text._ZN4vllm25paged_attention_v1_kernelIffLi256ELi8ELi128ELNS_18Fp8KVCacheDataTypeE0ELb1EEEvPT_PKS2_PKT0_S8_ifPKiSA_iPKfiiiSC_SC_iiiii,"axG",@progbits,_ZN4vllm25paged_attention_v1_kernelIffLi256ELi8ELi128ELNS_18Fp8KVCacheDataTypeE0ELb1EEEvPT_PKS2_PKT0_S8_ifPKiSA_iPKfiiiSC_SC_iiiii,comdat
	.protected	_ZN4vllm25paged_attention_v1_kernelIffLi256ELi8ELi128ELNS_18Fp8KVCacheDataTypeE0ELb1EEEvPT_PKS2_PKT0_S8_ifPKiSA_iPKfiiiSC_SC_iiiii ; -- Begin function _ZN4vllm25paged_attention_v1_kernelIffLi256ELi8ELi128ELNS_18Fp8KVCacheDataTypeE0ELb1EEEvPT_PKS2_PKT0_S8_ifPKiSA_iPKfiiiSC_SC_iiiii
	.globl	_ZN4vllm25paged_attention_v1_kernelIffLi256ELi8ELi128ELNS_18Fp8KVCacheDataTypeE0ELb1EEEvPT_PKS2_PKT0_S8_ifPKiSA_iPKfiiiSC_SC_iiiii
	.p2align	8
	.type	_ZN4vllm25paged_attention_v1_kernelIffLi256ELi8ELi128ELNS_18Fp8KVCacheDataTypeE0ELb1EEEvPT_PKS2_PKT0_S8_ifPKiSA_iPKfiiiSC_SC_iiiii,@function
_ZN4vllm25paged_attention_v1_kernelIffLi256ELi8ELi128ELNS_18Fp8KVCacheDataTypeE0ELb1EEEvPT_PKS2_PKT0_S8_ifPKiSA_iPKfiiiSC_SC_iiiii: ; @_ZN4vllm25paged_attention_v1_kernelIffLi256ELi8ELi128ELNS_18Fp8KVCacheDataTypeE0ELb1EEEvPT_PKS2_PKT0_S8_ifPKiSA_iPKfiiiSC_SC_iiiii
; %bb.0:
	s_clause 0x2
	s_load_dword s9, s[4:5], 0x80
	s_load_dwordx2 s[0:1], s[4:5], 0x30
	s_load_dwordx2 s[28:29], s[4:5], 0x20
	s_mov_b32 s10, s7
	s_ashr_i32 s11, s7, 31
	s_mov_b32 s33, 0
	s_lshl_b64 s[2:3], s[10:11], 2
	s_waitcnt lgkmcnt(0)
	s_add_u32 s0, s0, s2
	s_addc_u32 s1, s1, s3
	s_abs_i32 s2, s28
	s_abs_i32 s11, s9
	v_cvt_f32_u32_e32 v1, s2
	s_sub_i32 s7, 0, s2
	v_rcp_iflag_f32_e32 v1, v1
	v_mul_f32_e32 v1, 0x4f7ffffe, v1
	v_cvt_u32_f32_e32 v1, v1
	v_readfirstlane_b32 s3, v1
	s_mul_i32 s7, s7, s3
	s_mul_hi_u32 s7, s3, s7
	s_add_i32 s3, s3, s7
	s_xor_b32 s7, s9, s28
	s_mul_hi_u32 s3, s11, s3
	s_ashr_i32 s7, s7, 31
	s_mul_i32 s12, s3, s2
	s_sub_i32 s11, s11, s12
	s_add_i32 s12, s3, 1
	s_sub_i32 s13, s11, s2
	s_cmp_ge_u32 s11, s2
	s_cselect_b32 s3, s12, s3
	s_cselect_b32 s11, s13, s11
	s_add_i32 s12, s3, 1
	s_cmp_ge_u32 s11, s2
	s_cselect_b32 s2, s12, s3
	s_abs_i32 s23, s6
	s_xor_b32 s2, s2, s7
	s_sub_i32 s16, s2, s7
	s_load_dwordx2 s[2:3], s[4:5], 0x40
	s_abs_i32 s22, s16
	v_cvt_f32_u32_e32 v1, s22
	s_sub_i32 s11, 0, s22
	v_rcp_iflag_f32_e32 v1, v1
	v_mul_f32_e32 v1, 0x4f7ffffe, v1
	v_cvt_u32_f32_e32 v1, v1
	v_readfirstlane_b32 s7, v1
	s_mul_i32 s11, s11, s7
	s_mul_hi_u32 s11, s7, s11
	s_add_i32 s7, s7, s11
	s_waitcnt lgkmcnt(0)
	s_cmp_eq_u64 s[2:3], 0
	s_mul_hi_u32 s24, s23, s7
	s_cbranch_scc1 .LBB8_2
; %bb.1:
	s_ashr_i32 s7, s6, 31
	s_lshl_b64 s[12:13], s[6:7], 2
	s_add_u32 s2, s2, s12
	s_addc_u32 s3, s3, s13
	s_load_dword s33, s[2:3], 0x0
.LBB8_2:
	s_load_dword s30, s[0:1], 0x0
	s_clause 0x1
	s_load_dword s11, s[4:5], 0x88
	s_load_dwordx4 s[12:15], s[4:5], 0x48
	v_and_b32_e32 v1, 3, v0
	v_lshlrev_b32_e32 v3, 2, v0
	s_ashr_i32 s2, s6, 31
	s_ashr_i32 s3, s16, 31
	s_lshl_b32 s20, s6, 8
	s_mov_b32 s7, exec_lo
	v_cmpx_gt_u32_e32 0x100, v0
	s_cbranch_execz .LBB8_5
; %bb.3:
	s_load_dwordx2 s[0:1], s[4:5], 0x8
	s_waitcnt lgkmcnt(0)
	s_mul_i32 s16, s12, s10
	v_and_b32_e32 v2, 0x3fc, v0
	s_ashr_i32 s17, s16, 31
	v_cmp_gt_u32_e32 vcc_lo, 0x80, v0
	s_lshl_b64 s[16:17], s[16:17], 2
	v_lshl_add_u32 v2, v1, 8, v2
	s_add_u32 s12, s0, s16
	s_addc_u32 s15, s1, s17
	s_ashr_i32 s21, s20, 31
	s_lshl_b64 s[0:1], s[20:21], 2
	s_add_u32 s0, s12, s0
	s_addc_u32 s1, s15, s1
	global_load_dword v4, v3, s[0:1]
	s_waitcnt vmcnt(0)
	ds_write_b32 v2, v4
	s_and_b32 exec_lo, exec_lo, vcc_lo
	s_cbranch_execz .LBB8_5
; %bb.4:
	v_lshrrev_b32_e32 v4, 2, v0
	v_lshlrev_b32_e32 v5, 2, v1
	v_lshlrev_b32_e32 v4, 4, v4
	v_or3_b32 v4, v4, v5, 0x200
	global_load_dword v4, v4, s[0:1]
	s_waitcnt vmcnt(0)
	ds_write_b32 v2, v4 offset:128
.LBB8_5:
	s_or_b32 exec_lo, exec_lo, s7
	s_load_dwordx4 s[16:19], s[4:5], 0x68
	s_mul_i32 s0, s24, s22
	s_xor_b32 s1, s2, s3
	s_sub_i32 s0, s23, s0
	s_add_i32 s2, s24, 1
	s_sub_i32 s3, s0, s22
	s_cmp_ge_u32 s0, s22
	s_waitcnt lgkmcnt(0)
	s_mov_b32 s15, -1
	s_cselect_b32 s2, s2, s24
	s_cselect_b32 s0, s3, s0
	s_add_i32 s3, s2, 1
	s_cmp_ge_u32 s0, s22
	s_load_dword s0, s[4:5], 0x78
	s_cselect_b32 s2, s3, s2
	s_add_i32 s7, s30, -1
	s_xor_b32 s2, s2, s1
	s_abs_i32 s3, s7
	s_sub_i32 s1, s2, s1
	s_waitcnt lgkmcnt(0)
	s_barrier
	s_abs_i32 s12, s19
	buffer_gl0_inv
	v_cvt_f32_u32_e32 v2, s12
	s_sub_i32 s2, 0, s12
                                        ; implicit-def: $sgpr31
	v_rcp_iflag_f32_e32 v2, v2
	v_mul_f32_e32 v2, 0x4f7ffffe, v2
	v_cvt_u32_f32_e32 v2, v2
	v_readfirstlane_b32 s21, v2
	s_mul_i32 s2, s2, s21
	s_mul_hi_u32 s2, s21, s2
	s_add_i32 s21, s21, s2
	s_cmp_lt_i32 s0, 0
	s_mul_hi_u32 s2, s3, s21
	s_cbranch_scc0 .LBB8_7
; %bb.6:
	s_mul_i32 s15, s16, s28
	s_add_i32 s15, s1, s15
	s_mul_i32 s15, s15, s0
	s_sub_i32 s31, 1, s15
	s_mov_b32 s15, 0
.LBB8_7:
	s_load_dwordx2 s[22:23], s[4:5], 0x28
	s_ashr_i32 s7, s7, 31
	s_andn2_b32 vcc_lo, exec_lo, s15
	s_ashr_i32 s19, s19, 31
	s_cbranch_vccnz .LBB8_9
; %bb.8:
	s_mul_i32 s15, s9, s16
	s_add_i32 s6, s15, s6
	s_mul_i32 s0, s6, s0
	s_add_i32 s31, s0, 1
.LBB8_9:
	s_load_dword s0, s[4:5], 0x38
	s_mul_i32 s6, s2, s12
	s_xor_b32 s15, s7, s19
	s_sub_i32 s3, s3, s6
	s_add_i32 s16, s2, 1
	s_clause 0x1
	s_load_dwordx2 s[6:7], s[4:5], 0x0
	s_load_dwordx2 s[26:27], s[4:5], 0x18
	v_lshrrev_b32_e32 v71, 5, v0
	v_mov_b32_e32 v6, 0xff7fffff
	v_lshrrev_b32_e32 v4, 3, v0
	v_mbcnt_lo_u32_b32 v5, -1, 0
	s_mul_i32 s14, s1, s14
	v_lshlrev_b32_e32 v72, 3, v71
	s_waitcnt lgkmcnt(0)
	s_mul_i32 s24, s0, s10
	s_sub_i32 s0, s3, s12
	s_ashr_i32 s25, s24, 31
	s_cmp_ge_u32 s3, s12
	s_cselect_b32 s2, s16, s2
	s_cselect_b32 s0, s0, s3
	s_add_i32 s3, s2, 1
	s_cmp_ge_u32 s0, s12
	s_cselect_b32 s0, s3, s2
	s_add_i32 s2, s30, 7
	s_ashr_i32 s3, s2, 31
	s_lshr_b32 s3, s3, 29
	s_add_i32 s2, s2, s3
	s_ashr_i32 s16, s2, 3
	s_xor_b32 s2, s0, s15
	v_cmp_gt_i32_e64 s0, s16, v71
	s_sub_i32 s28, s2, s15
	s_and_saveexec_b32 s34, s0
	s_cbranch_execz .LBB8_21
; %bb.10:
	s_load_dwordx2 s[2:3], s[4:5], 0x10
	s_ashr_i32 s15, s14, 31
	s_sub_i32 s4, s28, s17
	s_lshl_b64 s[36:37], s[14:15], 2
	v_bfe_u32 v7, v0, 2, 3
	v_cmp_eq_u32_e32 vcc_lo, 0, v1
	v_lshlrev_b32_e32 v15, 2, v1
	v_lshlrev_b32_e32 v8, 8, v1
	v_and_b32_e32 v1, 0x7c, v4
	v_lshlrev_b32_e32 v13, 2, v7
	v_subrev_nc_u32_e32 v14, s30, v7
	v_cmp_neq_f32_e64 s1, s33, 0
	v_lshlrev_b32_e32 v9, 3, v71
	v_mov_b32_e32 v10, 0xff7fffff
	v_lshl_or_b32 v16, v71, 5, v13
	v_add_nc_u32_e32 v13, 1, v14
	v_xor_b32_e32 v11, 2, v5
	v_xor_b32_e32 v12, 1, v5
	v_mov_b32_e32 v6, 0xff7fffff
	v_add_nc_u32_e32 v14, 0x420, v16
	s_waitcnt lgkmcnt(0)
	s_add_u32 s15, s2, s36
	s_addc_u32 s35, s3, s37
	s_abs_i32 s5, s18
	v_cvt_f32_u32_e32 v2, s5
	s_sub_i32 s2, 0, s5
	v_rcp_iflag_f32_e32 v2, v2
	v_mul_f32_e32 v2, 0x4f7ffffe, v2
	v_cvt_u32_f32_e32 v17, v2
	v_lshlrev_b32_e32 v2, 4, v7
	v_mul_lo_u32 v16, s2, v17
	s_lshl_b64 s[2:3], s[24:25], 2
	v_add_co_u32 v18, s15, s15, v2
	s_add_u32 s2, s22, s2
	v_add_co_ci_u32_e64 v19, null, s35, 0, s15
	s_addc_u32 s3, s23, s3
	v_mul_hi_u32 v20, v17, v16
	v_add_co_u32 v1, s2, s2, v1
	v_add_co_ci_u32_e64 v2, null, s3, 0, s2
	v_add_co_u32 v15, s2, v18, v15
	v_add_co_ci_u32_e64 v16, null, 0, v19, s2
	v_add_nc_u32_e32 v17, v17, v20
	v_mov_b32_e32 v18, v71
	s_mov_b32 s15, 0
	s_mov_b32 s35, s13
	s_branch .LBB8_13
.LBB8_11:                               ;   in Loop: Header=BB8_13 Depth=1
	s_or_b32 exec_lo, exec_lo, s36
.LBB8_12:                               ;   in Loop: Header=BB8_13 Depth=1
	s_or_b32 exec_lo, exec_lo, s3
	v_add_nc_u32_e32 v18, 4, v18
	v_add_co_u32 v1, s3, v1, 16
	v_add_co_ci_u32_e64 v2, null, 0, v2, s3
	v_cmp_le_i32_e64 s2, s16, v18
	v_add_nc_u32_e32 v9, 32, v9
	v_add_nc_u32_e32 v14, 0x80, v14
	s_or_b32 s15, s2, s15
	s_andn2_b32 exec_lo, exec_lo, s15
	s_cbranch_execz .LBB8_20
.LBB8_13:                               ; =>This Inner Loop Header: Depth=1
	v_mul_hi_u32 v19, v9, s21
	s_waitcnt lgkmcnt(0)
	v_mul_lo_u32 v20, v19, s12
	v_add_nc_u32_e32 v21, 1, v19
	v_sub_nc_u32_e32 v20, v9, v20
	v_subrev_nc_u32_e32 v22, s12, v20
	v_cmp_le_u32_e64 s2, s12, v20
	v_cndmask_b32_e64 v19, v19, v21, s2
	v_cndmask_b32_e64 v20, v20, v22, s2
	v_add_nc_u32_e32 v21, 1, v19
	v_cmp_le_u32_e64 s2, s12, v20
	v_cndmask_b32_e64 v19, v19, v21, s2
	v_xor_b32_e32 v19, s19, v19
	v_subrev_nc_u32_e32 v19, s19, v19
	v_add_nc_u32_e32 v20, s31, v19
	v_cmp_ge_i32_e64 s3, s4, v19
	v_sub_nc_u32_e32 v21, 0, v20
	v_max_i32_e32 v21, v20, v21
	v_ashrrev_i32_e32 v20, 31, v20
	v_mul_hi_u32 v22, v21, v17
	v_mul_lo_u32 v22, v22, s5
	v_sub_nc_u32_e32 v21, v21, v22
	v_subrev_nc_u32_e32 v22, s5, v21
	v_cmp_le_u32_e64 s2, s5, v21
	v_cndmask_b32_e64 v21, v21, v22, s2
	v_subrev_nc_u32_e32 v22, s5, v21
	v_cmp_le_u32_e64 s2, s5, v21
	v_cndmask_b32_e64 v21, v21, v22, s2
	v_xor_b32_e32 v21, v21, v20
	v_sub_nc_u32_e32 v20, v21, v20
	v_cmp_ne_u32_e64 s2, 0, v20
	s_and_b32 s2, s2, s3
	s_and_saveexec_b32 s3, s2
	s_xor_b32 s2, exec_lo, s3
	s_cbranch_execz .LBB8_17
; %bb.14:                               ;   in Loop: Header=BB8_13 Depth=1
	s_and_saveexec_b32 s3, vcc_lo
; %bb.15:                               ;   in Loop: Header=BB8_13 Depth=1
	ds_write_b32 v14, v10
; %bb.16:                               ;   in Loop: Header=BB8_13 Depth=1
	s_or_b32 exec_lo, exec_lo, s3
.LBB8_17:                               ;   in Loop: Header=BB8_13 Depth=1
	s_andn2_saveexec_b32 s3, s2
	s_cbranch_execz .LBB8_12
; %bb.18:                               ;   in Loop: Header=BB8_13 Depth=1
	global_load_dword v19, v[1:2], off
	s_waitcnt vmcnt(0)
	v_mad_i64_i32 v[19:20], null, v19, s35, 0
	v_lshlrev_b64 v[19:20], 2, v[19:20]
	v_add_co_u32 v19, s2, v15, v19
	v_add_co_ci_u32_e64 v20, null, v16, v20, s2
	s_clause 0xf
	global_load_dword v27, v[19:20], off offset:128
	global_load_dword v28, v[19:20], off offset:256
	;; [unrolled: 1-line block ×7, first 2 shown]
	global_load_dword v34, v[19:20], off
	global_load_dword v35, v[19:20], off offset:1024
	global_load_dword v36, v[19:20], off offset:1152
	;; [unrolled: 1-line block ×8, first 2 shown]
	v_add_co_u32 v21, s2, v19, 0x1000
	v_add_co_ci_u32_e64 v22, null, 0, v20, s2
	v_add_co_u32 v23, s2, 0x800, v19
	v_add_co_ci_u32_e64 v24, null, 0, v20, s2
	s_clause 0xf
	global_load_dword v43, v[21:22], off offset:-2048
	global_load_dword v44, v[23:24], off offset:128
	global_load_dword v45, v[23:24], off offset:256
	;; [unrolled: 1-line block ×15, first 2 shown]
	v_add_co_u32 v23, s2, 0x1000, v19
	v_add_co_ci_u32_e64 v24, null, 0, v20, s2
	s_clause 0xe
	global_load_dword v59, v[21:22], off
	global_load_dword v60, v[23:24], off offset:128
	global_load_dword v61, v[23:24], off offset:256
	global_load_dword v62, v[23:24], off offset:384
	global_load_dword v63, v[23:24], off offset:512
	global_load_dword v64, v[23:24], off offset:640
	global_load_dword v65, v[23:24], off offset:768
	global_load_dword v66, v[23:24], off offset:896
	global_load_dword v67, v[23:24], off offset:1024
	global_load_dword v68, v[23:24], off offset:1152
	global_load_dword v69, v[23:24], off offset:1280
	global_load_dword v70, v[23:24], off offset:1408
	global_load_dword v73, v[23:24], off offset:1536
	global_load_dword v74, v[23:24], off offset:1664
	global_load_dword v75, v[23:24], off offset:1792
	v_add_co_u32 v25, s2, 0x1800, v19
	v_add_co_ci_u32_e64 v26, null, 0, v20, s2
	s_clause 0xc
	global_load_dword v76, v[23:24], off offset:1920
	global_load_dword v77, v[25:26], off
	global_load_dword v78, v[25:26], off offset:128
	global_load_dword v79, v[25:26], off offset:256
	global_load_dword v80, v[25:26], off offset:384
	global_load_dword v81, v[25:26], off offset:512
	global_load_dword v82, v[25:26], off offset:640
	global_load_dword v83, v[25:26], off offset:768
	global_load_dword v84, v[25:26], off offset:896
	global_load_dword v85, v[25:26], off offset:1024
	global_load_dword v86, v[25:26], off offset:1152
	global_load_dword v87, v[25:26], off offset:1280
	global_load_dword v88, v[25:26], off offset:1408
	ds_read_b128 v[19:22], v8
	s_clause 0x3
	global_load_dword v89, v[25:26], off offset:1536
	global_load_dword v90, v[25:26], off offset:1664
	global_load_dword v91, v[25:26], off offset:1792
	global_load_dword v92, v[25:26], off offset:1920
	ds_read_b128 v[23:26], v8 offset:16
	v_cmp_gt_i32_e64 s2, 32, v11
	s_waitcnt vmcnt(62) lgkmcnt(1)
	v_mul_f32_e32 v27, v20, v27
	s_waitcnt vmcnt(56)
	v_fmac_f32_e32 v27, v19, v34
	v_fmac_f32_e32 v27, v21, v28
	;; [unrolled: 1-line block ×3, first 2 shown]
	ds_read_b128 v[19:22], v8 offset:32
	s_waitcnt lgkmcnt(1)
	v_fmac_f32_e32 v27, v23, v30
	v_fmac_f32_e32 v27, v24, v31
	;; [unrolled: 1-line block ×4, first 2 shown]
	ds_read_b128 v[23:26], v8 offset:48
	s_waitcnt vmcnt(55) lgkmcnt(1)
	v_fmac_f32_e32 v27, v19, v35
	s_waitcnt vmcnt(54)
	v_fmac_f32_e32 v27, v20, v36
	s_waitcnt vmcnt(53)
	v_fmac_f32_e32 v27, v21, v37
	s_waitcnt vmcnt(52)
	v_fmac_f32_e32 v27, v22, v38
	ds_read_b128 v[19:22], v8 offset:64
	s_waitcnt vmcnt(51) lgkmcnt(1)
	v_fmac_f32_e32 v27, v23, v39
	s_waitcnt vmcnt(50)
	v_fmac_f32_e32 v27, v24, v40
	s_waitcnt vmcnt(49)
	v_fmac_f32_e32 v27, v25, v41
	s_waitcnt vmcnt(48)
	v_fmac_f32_e32 v27, v26, v42
	;; [unrolled: 9-line block ×12, first 2 shown]
	ds_read_b128 v[23:26], v8 offset:240
	s_waitcnt vmcnt(7) lgkmcnt(1)
	v_fmac_f32_e32 v27, v85, v19
	v_cndmask_b32_e64 v19, v5, v11, s2
	v_cmp_gt_i32_e64 s2, 32, v12
	s_waitcnt vmcnt(6)
	v_fmac_f32_e32 v27, v86, v20
	v_lshlrev_b32_e32 v19, 2, v19
	v_cndmask_b32_e64 v20, v5, v12, s2
	s_waitcnt vmcnt(5)
	v_fmac_f32_e32 v27, v87, v21
	v_lshlrev_b32_e32 v20, 2, v20
	s_waitcnt vmcnt(4)
	v_fmac_f32_e32 v27, v88, v22
	s_waitcnt vmcnt(3) lgkmcnt(0)
	v_fmac_f32_e32 v27, v89, v23
	s_waitcnt vmcnt(2)
	v_fmac_f32_e32 v27, v90, v24
	s_waitcnt vmcnt(1)
	;; [unrolled: 2-line block ×3, first 2 shown]
	v_fmac_f32_e32 v27, v92, v26
	ds_bpermute_b32 v19, v19, v27
	s_waitcnt lgkmcnt(0)
	v_add_f32_e32 v19, v27, v19
	ds_bpermute_b32 v20, v20, v19
	s_and_saveexec_b32 s36, vcc_lo
	s_cbranch_execz .LBB8_11
; %bb.19:                               ;   in Loop: Header=BB8_13 Depth=1
	v_add_nc_u32_e32 v21, v13, v9
	s_waitcnt lgkmcnt(0)
	v_add_f32_e32 v19, v19, v20
	v_cvt_f32_i32_e32 v21, v21
	v_mul_f32_e32 v21, s33, v21
	v_cndmask_b32_e64 v20, 0, v21, s1
	v_max_f32_e32 v21, v6, v6
	v_fmac_f32_e32 v20, s29, v19
	v_add_nc_u32_e32 v19, v7, v9
	v_max_f32_e32 v21, v21, v20
	v_cmp_gt_i32_e64 s2, s30, v19
	v_cndmask_b32_e64 v19, 0, v20, s2
	v_cndmask_b32_e64 v6, v6, v21, s2
	ds_write_b32 v14, v19
	s_branch .LBB8_11
.LBB8_20:
	s_or_b32 exec_lo, exec_lo, s15
.LBB8_21:
	s_or_b32 exec_lo, exec_lo, s34
	v_xor_b32_e32 v1, 16, v5
	v_xor_b32_e32 v7, 8, v5
	v_max_f32_e32 v8, v6, v6
	v_and_b32_e32 v73, 31, v0
	v_cmp_gt_i32_e32 vcc_lo, 32, v1
	v_cndmask_b32_e32 v1, v5, v1, vcc_lo
	v_cmp_gt_i32_e32 vcc_lo, 32, v7
	v_lshlrev_b32_e32 v2, 2, v1
	ds_bpermute_b32 v1, v2, v6
	v_cndmask_b32_e32 v6, v5, v7, vcc_lo
	v_lshlrev_b32_e32 v6, 2, v6
	s_waitcnt lgkmcnt(0)
	v_max_f32_e32 v1, v1, v1
	v_max_f32_e32 v1, v8, v1
	v_xor_b32_e32 v8, 4, v5
	ds_bpermute_b32 v7, v6, v1
	v_cmp_gt_i32_e32 vcc_lo, 32, v8
	v_cndmask_b32_e32 v8, v5, v8, vcc_lo
	v_cmp_eq_u32_e32 vcc_lo, 0, v73
	v_lshlrev_b32_e32 v9, 2, v8
	s_waitcnt lgkmcnt(0)
	v_max_f32_e32 v7, v7, v7
	v_max_f32_e32 v1, v1, v7
	v_lshlrev_b32_e32 v7, 2, v71
	ds_bpermute_b32 v8, v9, v1
	s_and_saveexec_b32 s1, vcc_lo
	s_cbranch_execz .LBB8_23
; %bb.22:
	s_waitcnt lgkmcnt(0)
	v_max_f32_e32 v8, v8, v8
	v_max_f32_e32 v1, v1, v1
	;; [unrolled: 1-line block ×3, first 2 shown]
	ds_write_b32 v7, v1 offset:1024
.LBB8_23:
	s_or_b32 exec_lo, exec_lo, s1
	v_cmp_gt_u32_e64 s1, 4, v73
	v_mov_b32_e32 v1, 0xff7fffff
	s_waitcnt lgkmcnt(0)
	v_lshlrev_b32_e32 v8, 2, v73
	s_barrier
	buffer_gl0_inv
	s_and_saveexec_b32 s2, s1
; %bb.24:
	ds_read_b32 v1, v8 offset:1024
; %bb.25:
	s_or_b32 exec_lo, exec_lo, s2
	v_xor_b32_e32 v10, 2, v5
	v_xor_b32_e32 v12, 1, v5
	v_cmp_gt_i32_e64 s2, 32, v10
	v_cndmask_b32_e64 v10, v5, v10, s2
	v_cmp_gt_i32_e64 s2, 32, v12
	v_lshlrev_b32_e32 v10, 2, v10
	v_cndmask_b32_e64 v5, v5, v12, s2
	s_lshl_b32 s2, s16, 3
	s_min_i32 s4, s2, s30
	s_waitcnt lgkmcnt(0)
	ds_bpermute_b32 v11, v10, v1
	v_max_f32_e32 v1, v1, v1
	v_lshlrev_b32_e32 v74, 2, v5
	v_cmp_gt_i32_e64 s2, s4, v0
	s_waitcnt lgkmcnt(0)
	v_max_f32_e32 v11, v11, v11
	v_max_f32_e32 v1, v1, v11
	ds_bpermute_b32 v5, v74, v1
	s_waitcnt lgkmcnt(0)
	v_max_f32_e32 v5, v5, v5
	v_max_f32_e32 v1, v1, v5
	v_mov_b32_e32 v5, 0
	ds_bpermute_b32 v11, v5, v1
	v_lshl_add_u32 v1, v0, 2, 0x420
	s_and_saveexec_b32 s5, s2
	s_cbranch_execz .LBB8_29
; %bb.26:
	v_lshl_add_u32 v12, v0, 2, 0x420
	v_mov_b32_e32 v5, 0
	v_mov_b32_e32 v13, v0
	s_mov_b32 s15, 0
	.p2align	6
.LBB8_27:                               ; =>This Inner Loop Header: Depth=1
	ds_read_b32 v14, v12
	v_add_nc_u32_e32 v13, 0x80, v13
	v_cmp_le_i32_e64 s3, s4, v13
	s_or_b32 s15, s3, s15
	s_waitcnt lgkmcnt(0)
	v_sub_f32_e32 v14, v14, v11
	v_mul_f32_e32 v14, 0x3fb8aa3b, v14
	v_exp_f32_e32 v14, v14
	ds_write_b32 v12, v14
	v_add_f32_e32 v5, v5, v14
	v_add_nc_u32_e32 v12, 0x200, v12
	s_andn2_b32 exec_lo, exec_lo, s15
	s_cbranch_execnz .LBB8_27
; %bb.28:
	s_or_b32 exec_lo, exec_lo, s15
.LBB8_29:
	s_or_b32 exec_lo, exec_lo, s5
	ds_bpermute_b32 v2, v2, v5
	s_waitcnt lgkmcnt(0)
	v_add_f32_e32 v2, v5, v2
	ds_bpermute_b32 v5, v6, v2
	s_waitcnt lgkmcnt(0)
	v_add_f32_e32 v2, v2, v5
	;; [unrolled: 3-line block ×5, first 2 shown]
	s_and_saveexec_b32 s3, vcc_lo
; %bb.30:
	ds_write_b32 v7, v2 offset:1040
; %bb.31:
	s_or_b32 exec_lo, exec_lo, s3
	s_waitcnt lgkmcnt(0)
	s_barrier
	buffer_gl0_inv
	s_and_saveexec_b32 s3, s1
; %bb.32:
	ds_read_b32 v2, v8 offset:1040
; %bb.33:
	s_or_b32 exec_lo, exec_lo, s3
	s_waitcnt lgkmcnt(0)
	ds_bpermute_b32 v5, v10, v2
	s_waitcnt lgkmcnt(0)
	v_add_f32_e32 v2, v2, v5
	ds_bpermute_b32 v5, v74, v2
	s_waitcnt lgkmcnt(0)
	v_add_f32_e32 v2, v2, v5
	v_mov_b32_e32 v5, 0
	ds_bpermute_b32 v2, v5, v2
	s_and_saveexec_b32 s1, s2
	s_cbranch_execz .LBB8_36
; %bb.34:
	s_waitcnt lgkmcnt(0)
	v_add_f32_e32 v2, 0x358637bd, v2
	s_mov_b32 s2, 0
	v_div_scale_f32 v5, null, v2, v2, 1.0
	v_div_scale_f32 v8, vcc_lo, 1.0, v2, 1.0
	v_rcp_f32_e32 v6, v5
	v_fma_f32 v7, -v5, v6, 1.0
	v_fmac_f32_e32 v6, v7, v6
	v_mul_f32_e32 v7, v8, v6
	v_fma_f32 v9, -v5, v7, v8
	v_fmac_f32_e32 v7, v9, v6
	v_fma_f32 v5, -v5, v7, v8
	v_div_fmas_f32 v5, v5, v6, v7
	v_div_fixup_f32 v2, v5, v2, 1.0
	v_mov_b32_e32 v5, v0
.LBB8_35:                               ; =>This Inner Loop Header: Depth=1
	ds_read_b32 v6, v1
	v_add_nc_u32_e32 v5, 0x80, v5
	v_cmp_le_i32_e32 vcc_lo, s4, v5
	s_or_b32 s2, vcc_lo, s2
	s_waitcnt lgkmcnt(0)
	v_mul_f32_e32 v6, v2, v6
	ds_write_b32 v1, v6
	v_add_nc_u32_e32 v1, 0x200, v1
	s_andn2_b32 exec_lo, exec_lo, s2
	s_cbranch_execnz .LBB8_35
.LBB8_36:
	s_or_b32 exec_lo, exec_lo, s1
	v_mov_b32_e32 v91, 0
	v_and_b32_e32 v75, 1, v0
	v_mov_b32_e32 v90, 0
	v_mov_b32_e32 v89, 0
	;; [unrolled: 1-line block ×15, first 2 shown]
	s_waitcnt lgkmcnt(0)
	s_barrier
	buffer_gl0_inv
	s_and_saveexec_b32 s4, s0
	s_cbranch_execz .LBB8_74
; %bb.37:
	s_ashr_i32 s15, s14, 31
	s_sub_i32 s5, s28, s17
	s_lshl_b64 s[0:1], s[14:15], 2
	v_lshlrev_b32_e32 v2, 4, v0
	s_add_u32 s2, s26, s0
	s_addc_u32 s3, s27, s1
	s_abs_i32 s14, s18
	v_and_b32_e32 v92, 4, v3
	v_cvt_f32_u32_e32 v1, s14
	s_sub_i32 s0, 0, s14
	v_and_b32_e32 v3, 0x7c, v4
	v_lshlrev_b32_e32 v4, 4, v75
	v_and_b32_e32 v2, 0x1f0, v2
	v_rcp_iflag_f32_e32 v1, v1
	s_add_i32 s15, s16, -1
	v_mov_b32_e32 v76, 0
	v_lshl_or_b32 v4, v71, 5, v4
	v_add_co_u32 v93, s2, s2, v2
	v_mov_b32_e32 v77, 0
	v_mov_b32_e32 v78, 0
	;; [unrolled: 1-line block ×4, first 2 shown]
	v_mul_f32_e32 v1, 0x4f7ffffe, v1
	v_mov_b32_e32 v81, 0
	v_mov_b32_e32 v82, 0
	;; [unrolled: 1-line block ×4, first 2 shown]
	v_cvt_u32_f32_e32 v1, v1
	v_mov_b32_e32 v85, 0
	v_mov_b32_e32 v86, 0
	;; [unrolled: 1-line block ×4, first 2 shown]
	v_mul_lo_u32 v5, s0, v1
	s_lshl_b64 s[0:1], s[24:25], 2
	v_mov_b32_e32 v89, 0
	s_add_u32 s0, s22, s0
	s_addc_u32 s1, s23, s1
	v_add_co_u32 v69, s0, s0, v3
	v_mov_b32_e32 v90, 0
	v_mul_hi_u32 v5, v1, v5
	v_mov_b32_e32 v91, 0
	v_add_co_ci_u32_e64 v94, null, s3, 0, s2
	v_add_nc_u32_e32 v95, 0x420, v4
	v_add_co_ci_u32_e64 v70, null, s1, 0, s0
	v_mov_b32_e32 v97, v71
	v_add_nc_u32_e32 v96, v1, v5
	s_mov_b32 s17, s13
	s_mov_b32 s13, 0
	s_branch .LBB8_40
.LBB8_38:                               ;   in Loop: Header=BB8_40 Depth=1
	s_or_b32 exec_lo, exec_lo, s0
	s_waitcnt vmcnt(1) lgkmcnt(0)
	v_mul_f32_e32 v65, v1, v65
	v_mul_f32_e32 v61, v1, v61
	;; [unrolled: 1-line block ×15, first 2 shown]
	s_waitcnt vmcnt(0)
	v_mul_f32_e32 v1, v1, v53
	v_fmac_f32_e32 v65, v2, v66
	v_fmac_f32_e32 v61, v2, v62
	;; [unrolled: 1-line block ×48, first 2 shown]
	v_add_f32_e32 v77, v77, v65
	v_add_f32_e32 v78, v78, v61
	;; [unrolled: 1-line block ×16, first 2 shown]
.LBB8_39:                               ;   in Loop: Header=BB8_40 Depth=1
	s_or_b32 exec_lo, exec_lo, s18
	v_add_nc_u32_e32 v97, 4, v97
	v_add_co_u32 v69, s0, v69, 16
	v_add_co_ci_u32_e64 v70, null, 0, v70, s0
	v_cmp_le_i32_e32 vcc_lo, s16, v97
	v_add_nc_u32_e32 v72, 32, v72
	v_add_nc_u32_e32 v95, 0x80, v95
	s_or_b32 s13, vcc_lo, s13
	s_andn2_b32 exec_lo, exec_lo, s13
	s_cbranch_execz .LBB8_73
.LBB8_40:                               ; =>This Inner Loop Header: Depth=1
	v_mul_hi_u32 v1, v72, s21
	v_mul_lo_u32 v2, v1, s12
	v_add_nc_u32_e32 v3, 1, v1
	v_sub_nc_u32_e32 v2, v72, v2
	v_subrev_nc_u32_e32 v4, s12, v2
	v_cmp_le_u32_e32 vcc_lo, s12, v2
	v_cndmask_b32_e32 v1, v1, v3, vcc_lo
	v_cndmask_b32_e32 v2, v2, v4, vcc_lo
	v_add_nc_u32_e32 v3, 1, v1
	v_cmp_le_u32_e32 vcc_lo, s12, v2
	v_cndmask_b32_e32 v1, v1, v3, vcc_lo
	v_xor_b32_e32 v1, s19, v1
	v_subrev_nc_u32_e32 v1, s19, v1
	v_add_nc_u32_e32 v2, s31, v1
	v_cmp_lt_i32_e64 s0, s5, v1
	v_sub_nc_u32_e32 v3, 0, v2
	v_max_i32_e32 v3, v2, v3
	v_ashrrev_i32_e32 v2, 31, v2
	v_mul_hi_u32 v4, v3, v96
	v_mul_lo_u32 v4, v4, s14
	v_sub_nc_u32_e32 v3, v3, v4
	v_subrev_nc_u32_e32 v4, s14, v3
	v_cmp_le_u32_e32 vcc_lo, s14, v3
	v_cndmask_b32_e32 v3, v3, v4, vcc_lo
	v_subrev_nc_u32_e32 v4, s14, v3
	v_cmp_le_u32_e32 vcc_lo, s14, v3
	v_cndmask_b32_e32 v3, v3, v4, vcc_lo
	v_xor_b32_e32 v3, v3, v2
	v_sub_nc_u32_e32 v2, v3, v2
	v_cmp_eq_u32_e32 vcc_lo, 0, v2
	s_or_b32 s0, vcc_lo, s0
	s_and_saveexec_b32 s18, s0
	s_cbranch_execz .LBB8_39
; %bb.41:                               ;   in Loop: Header=BB8_40 Depth=1
	global_load_dword v1, v[69:70], off
	v_add_nc_u32_e32 v98, v92, v72
	v_add_nc_u32_e32 v101, 1, v98
	;; [unrolled: 1-line block ×4, first 2 shown]
	s_waitcnt vmcnt(0)
	v_mad_i64_i32 v[1:2], null, v1, s17, 0
	v_lshlrev_b64 v[1:2], 2, v[1:2]
	v_add_co_u32 v53, vcc_lo, v93, v1
	v_add_co_ci_u32_e64 v54, null, v94, v2, vcc_lo
	ds_read_b128 v[1:4], v95
	v_cmp_eq_u32_e32 vcc_lo, s15, v97
	global_load_dwordx4 v[5:8], v[53:54], off
	s_and_saveexec_b32 s1, vcc_lo
	s_cbranch_execnz .LBB8_60
; %bb.42:                               ;   in Loop: Header=BB8_40 Depth=1
	s_or_b32 exec_lo, exec_lo, s1
	global_load_dwordx4 v[9:12], v[53:54], off offset:512
	s_and_saveexec_b32 s1, vcc_lo
	s_cbranch_execnz .LBB8_61
.LBB8_43:                               ;   in Loop: Header=BB8_40 Depth=1
	s_or_b32 exec_lo, exec_lo, s1
	global_load_dwordx4 v[13:16], v[53:54], off offset:1024
	s_and_saveexec_b32 s1, vcc_lo
	s_cbranch_execnz .LBB8_62
.LBB8_44:                               ;   in Loop: Header=BB8_40 Depth=1
	s_or_b32 exec_lo, exec_lo, s1
	global_load_dwordx4 v[17:20], v[53:54], off offset:1536
	s_and_saveexec_b32 s1, vcc_lo
	s_cbranch_execz .LBB8_46
.LBB8_45:                               ;   in Loop: Header=BB8_40 Depth=1
	v_cmp_gt_i32_e64 s0, s30, v98
	s_waitcnt vmcnt(0)
	v_cndmask_b32_e64 v17, 0, v17, s0
	v_cmp_gt_i32_e64 s0, s30, v101
	v_cndmask_b32_e64 v18, 0, v18, s0
	v_cmp_gt_i32_e64 s0, s30, v100
	;; [unrolled: 2-line block ×3, first 2 shown]
	v_cndmask_b32_e64 v20, 0, v20, s0
.LBB8_46:                               ;   in Loop: Header=BB8_40 Depth=1
	s_or_b32 exec_lo, exec_lo, s1
	v_add_co_u32 v33, s0, 0x800, v53
	v_add_co_ci_u32_e64 v34, null, 0, v54, s0
	global_load_dwordx4 v[21:24], v[33:34], off
	s_and_saveexec_b32 s1, vcc_lo
	s_cbranch_execnz .LBB8_63
; %bb.47:                               ;   in Loop: Header=BB8_40 Depth=1
	s_or_b32 exec_lo, exec_lo, s1
	global_load_dwordx4 v[25:28], v[33:34], off offset:512
	s_and_saveexec_b32 s1, vcc_lo
	s_cbranch_execnz .LBB8_64
.LBB8_48:                               ;   in Loop: Header=BB8_40 Depth=1
	s_or_b32 exec_lo, exec_lo, s1
	global_load_dwordx4 v[29:32], v[33:34], off offset:1024
	s_and_saveexec_b32 s1, vcc_lo
	s_cbranch_execnz .LBB8_65
.LBB8_49:                               ;   in Loop: Header=BB8_40 Depth=1
	s_or_b32 exec_lo, exec_lo, s1
	global_load_dwordx4 v[33:36], v[33:34], off offset:1536
	s_and_saveexec_b32 s1, vcc_lo
	s_cbranch_execz .LBB8_51
.LBB8_50:                               ;   in Loop: Header=BB8_40 Depth=1
	v_cmp_gt_i32_e64 s0, s30, v98
	s_waitcnt vmcnt(0)
	v_cndmask_b32_e64 v33, 0, v33, s0
	v_cmp_gt_i32_e64 s0, s30, v101
	v_cndmask_b32_e64 v34, 0, v34, s0
	v_cmp_gt_i32_e64 s0, s30, v100
	;; [unrolled: 2-line block ×3, first 2 shown]
	v_cndmask_b32_e64 v36, 0, v36, s0
.LBB8_51:                               ;   in Loop: Header=BB8_40 Depth=1
	s_or_b32 exec_lo, exec_lo, s1
	v_add_co_u32 v49, s0, 0x1000, v53
	v_add_co_ci_u32_e64 v50, null, 0, v54, s0
	global_load_dwordx4 v[37:40], v[49:50], off
	s_and_saveexec_b32 s1, vcc_lo
	s_cbranch_execnz .LBB8_66
; %bb.52:                               ;   in Loop: Header=BB8_40 Depth=1
	s_or_b32 exec_lo, exec_lo, s1
	global_load_dwordx4 v[41:44], v[49:50], off offset:512
	s_and_saveexec_b32 s1, vcc_lo
	s_cbranch_execnz .LBB8_67
.LBB8_53:                               ;   in Loop: Header=BB8_40 Depth=1
	s_or_b32 exec_lo, exec_lo, s1
	global_load_dwordx4 v[45:48], v[49:50], off offset:1024
	s_and_saveexec_b32 s1, vcc_lo
	s_cbranch_execnz .LBB8_68
.LBB8_54:                               ;   in Loop: Header=BB8_40 Depth=1
	s_or_b32 exec_lo, exec_lo, s1
	global_load_dwordx4 v[49:52], v[49:50], off offset:1536
	s_and_saveexec_b32 s1, vcc_lo
	s_cbranch_execz .LBB8_56
.LBB8_55:                               ;   in Loop: Header=BB8_40 Depth=1
	v_cmp_gt_i32_e64 s0, s30, v98
	s_waitcnt vmcnt(0)
	v_cndmask_b32_e64 v49, 0, v49, s0
	v_cmp_gt_i32_e64 s0, s30, v101
	v_cndmask_b32_e64 v50, 0, v50, s0
	v_cmp_gt_i32_e64 s0, s30, v100
	;; [unrolled: 2-line block ×3, first 2 shown]
	v_cndmask_b32_e64 v52, 0, v52, s0
.LBB8_56:                               ;   in Loop: Header=BB8_40 Depth=1
	s_or_b32 exec_lo, exec_lo, s1
	v_add_co_u32 v53, s0, 0x1800, v53
	v_add_co_ci_u32_e64 v54, null, 0, v54, s0
	global_load_dwordx4 v[57:60], v[53:54], off
	s_and_saveexec_b32 s1, vcc_lo
	s_cbranch_execnz .LBB8_69
; %bb.57:                               ;   in Loop: Header=BB8_40 Depth=1
	s_or_b32 exec_lo, exec_lo, s1
	global_load_dwordx4 v[61:64], v[53:54], off offset:512
	s_and_saveexec_b32 s1, vcc_lo
	s_cbranch_execnz .LBB8_70
.LBB8_58:                               ;   in Loop: Header=BB8_40 Depth=1
	s_or_b32 exec_lo, exec_lo, s1
	global_load_dwordx4 v[65:68], v[53:54], off offset:1024
	s_and_saveexec_b32 s22, vcc_lo
	s_cbranch_execnz .LBB8_71
.LBB8_59:                               ;   in Loop: Header=BB8_40 Depth=1
	s_or_b32 exec_lo, exec_lo, s22
	global_load_dwordx4 v[53:56], v[53:54], off offset:1536
	s_and_saveexec_b32 s0, vcc_lo
	s_cbranch_execz .LBB8_38
	s_branch .LBB8_72
.LBB8_60:                               ;   in Loop: Header=BB8_40 Depth=1
	v_cmp_gt_i32_e64 s0, s30, v98
	s_waitcnt vmcnt(0)
	v_cndmask_b32_e64 v5, 0, v5, s0
	v_cmp_gt_i32_e64 s0, s30, v101
	v_cndmask_b32_e64 v6, 0, v6, s0
	v_cmp_gt_i32_e64 s0, s30, v100
	;; [unrolled: 2-line block ×3, first 2 shown]
	v_cndmask_b32_e64 v8, 0, v8, s0
	s_or_b32 exec_lo, exec_lo, s1
	global_load_dwordx4 v[9:12], v[53:54], off offset:512
	s_and_saveexec_b32 s1, vcc_lo
	s_cbranch_execz .LBB8_43
.LBB8_61:                               ;   in Loop: Header=BB8_40 Depth=1
	v_cmp_gt_i32_e64 s0, s30, v98
	s_waitcnt vmcnt(0)
	v_cndmask_b32_e64 v9, 0, v9, s0
	v_cmp_gt_i32_e64 s0, s30, v101
	v_cndmask_b32_e64 v10, 0, v10, s0
	v_cmp_gt_i32_e64 s0, s30, v100
	;; [unrolled: 2-line block ×3, first 2 shown]
	v_cndmask_b32_e64 v12, 0, v12, s0
	s_or_b32 exec_lo, exec_lo, s1
	global_load_dwordx4 v[13:16], v[53:54], off offset:1024
	s_and_saveexec_b32 s1, vcc_lo
	s_cbranch_execz .LBB8_44
.LBB8_62:                               ;   in Loop: Header=BB8_40 Depth=1
	v_cmp_gt_i32_e64 s0, s30, v98
	s_waitcnt vmcnt(0)
	v_cndmask_b32_e64 v13, 0, v13, s0
	v_cmp_gt_i32_e64 s0, s30, v101
	v_cndmask_b32_e64 v14, 0, v14, s0
	v_cmp_gt_i32_e64 s0, s30, v100
	;; [unrolled: 2-line block ×3, first 2 shown]
	v_cndmask_b32_e64 v16, 0, v16, s0
	s_or_b32 exec_lo, exec_lo, s1
	global_load_dwordx4 v[17:20], v[53:54], off offset:1536
	s_and_saveexec_b32 s1, vcc_lo
	s_cbranch_execnz .LBB8_45
	s_branch .LBB8_46
.LBB8_63:                               ;   in Loop: Header=BB8_40 Depth=1
	v_cmp_gt_i32_e64 s0, s30, v98
	s_waitcnt vmcnt(0)
	v_cndmask_b32_e64 v21, 0, v21, s0
	v_cmp_gt_i32_e64 s0, s30, v101
	v_cndmask_b32_e64 v22, 0, v22, s0
	v_cmp_gt_i32_e64 s0, s30, v100
	;; [unrolled: 2-line block ×3, first 2 shown]
	v_cndmask_b32_e64 v24, 0, v24, s0
	s_or_b32 exec_lo, exec_lo, s1
	global_load_dwordx4 v[25:28], v[33:34], off offset:512
	s_and_saveexec_b32 s1, vcc_lo
	s_cbranch_execz .LBB8_48
.LBB8_64:                               ;   in Loop: Header=BB8_40 Depth=1
	v_cmp_gt_i32_e64 s0, s30, v98
	s_waitcnt vmcnt(0)
	v_cndmask_b32_e64 v25, 0, v25, s0
	v_cmp_gt_i32_e64 s0, s30, v101
	v_cndmask_b32_e64 v26, 0, v26, s0
	v_cmp_gt_i32_e64 s0, s30, v100
	v_cndmask_b32_e64 v27, 0, v27, s0
	v_cmp_gt_i32_e64 s0, s30, v99
	v_cndmask_b32_e64 v28, 0, v28, s0
	s_or_b32 exec_lo, exec_lo, s1
	global_load_dwordx4 v[29:32], v[33:34], off offset:1024
	s_and_saveexec_b32 s1, vcc_lo
	s_cbranch_execz .LBB8_49
.LBB8_65:                               ;   in Loop: Header=BB8_40 Depth=1
	v_cmp_gt_i32_e64 s0, s30, v98
	s_waitcnt vmcnt(0)
	v_cndmask_b32_e64 v29, 0, v29, s0
	v_cmp_gt_i32_e64 s0, s30, v101
	v_cndmask_b32_e64 v30, 0, v30, s0
	v_cmp_gt_i32_e64 s0, s30, v100
	;; [unrolled: 2-line block ×3, first 2 shown]
	v_cndmask_b32_e64 v32, 0, v32, s0
	s_or_b32 exec_lo, exec_lo, s1
	global_load_dwordx4 v[33:36], v[33:34], off offset:1536
	s_and_saveexec_b32 s1, vcc_lo
	s_cbranch_execnz .LBB8_50
	s_branch .LBB8_51
.LBB8_66:                               ;   in Loop: Header=BB8_40 Depth=1
	v_cmp_gt_i32_e64 s0, s30, v98
	s_waitcnt vmcnt(0)
	v_cndmask_b32_e64 v37, 0, v37, s0
	v_cmp_gt_i32_e64 s0, s30, v101
	v_cndmask_b32_e64 v38, 0, v38, s0
	v_cmp_gt_i32_e64 s0, s30, v100
	v_cndmask_b32_e64 v39, 0, v39, s0
	v_cmp_gt_i32_e64 s0, s30, v99
	v_cndmask_b32_e64 v40, 0, v40, s0
	s_or_b32 exec_lo, exec_lo, s1
	global_load_dwordx4 v[41:44], v[49:50], off offset:512
	s_and_saveexec_b32 s1, vcc_lo
	s_cbranch_execz .LBB8_53
.LBB8_67:                               ;   in Loop: Header=BB8_40 Depth=1
	v_cmp_gt_i32_e64 s0, s30, v98
	s_waitcnt vmcnt(0)
	v_cndmask_b32_e64 v41, 0, v41, s0
	v_cmp_gt_i32_e64 s0, s30, v101
	v_cndmask_b32_e64 v42, 0, v42, s0
	v_cmp_gt_i32_e64 s0, s30, v100
	;; [unrolled: 2-line block ×3, first 2 shown]
	v_cndmask_b32_e64 v44, 0, v44, s0
	s_or_b32 exec_lo, exec_lo, s1
	global_load_dwordx4 v[45:48], v[49:50], off offset:1024
	s_and_saveexec_b32 s1, vcc_lo
	s_cbranch_execz .LBB8_54
.LBB8_68:                               ;   in Loop: Header=BB8_40 Depth=1
	v_cmp_gt_i32_e64 s0, s30, v98
	s_waitcnt vmcnt(0)
	v_cndmask_b32_e64 v45, 0, v45, s0
	v_cmp_gt_i32_e64 s0, s30, v101
	v_cndmask_b32_e64 v46, 0, v46, s0
	v_cmp_gt_i32_e64 s0, s30, v100
	;; [unrolled: 2-line block ×3, first 2 shown]
	v_cndmask_b32_e64 v48, 0, v48, s0
	s_or_b32 exec_lo, exec_lo, s1
	global_load_dwordx4 v[49:52], v[49:50], off offset:1536
	s_and_saveexec_b32 s1, vcc_lo
	s_cbranch_execnz .LBB8_55
	s_branch .LBB8_56
.LBB8_69:                               ;   in Loop: Header=BB8_40 Depth=1
	v_cmp_gt_i32_e64 s0, s30, v98
	s_waitcnt vmcnt(0)
	v_cndmask_b32_e64 v57, 0, v57, s0
	v_cmp_gt_i32_e64 s0, s30, v101
	v_cndmask_b32_e64 v58, 0, v58, s0
	v_cmp_gt_i32_e64 s0, s30, v100
	;; [unrolled: 2-line block ×3, first 2 shown]
	v_cndmask_b32_e64 v60, 0, v60, s0
	s_or_b32 exec_lo, exec_lo, s1
	global_load_dwordx4 v[61:64], v[53:54], off offset:512
	s_and_saveexec_b32 s1, vcc_lo
	s_cbranch_execz .LBB8_58
.LBB8_70:                               ;   in Loop: Header=BB8_40 Depth=1
	v_cmp_gt_i32_e64 s0, s30, v98
	s_waitcnt vmcnt(0)
	v_cndmask_b32_e64 v61, 0, v61, s0
	v_cmp_gt_i32_e64 s0, s30, v101
	v_cndmask_b32_e64 v62, 0, v62, s0
	v_cmp_gt_i32_e64 s0, s30, v100
	;; [unrolled: 2-line block ×3, first 2 shown]
	v_cndmask_b32_e64 v64, 0, v64, s0
	s_or_b32 exec_lo, exec_lo, s1
	global_load_dwordx4 v[65:68], v[53:54], off offset:1024
	s_and_saveexec_b32 s22, vcc_lo
	s_cbranch_execz .LBB8_59
.LBB8_71:                               ;   in Loop: Header=BB8_40 Depth=1
	v_cmp_gt_i32_e64 s0, s30, v98
	v_cmp_gt_i32_e64 s1, s30, v101
	;; [unrolled: 1-line block ×4, first 2 shown]
	s_waitcnt vmcnt(0)
	v_cndmask_b32_e64 v65, 0, v65, s0
	v_cndmask_b32_e64 v66, 0, v66, s1
	;; [unrolled: 1-line block ×4, first 2 shown]
	s_or_b32 exec_lo, exec_lo, s22
	global_load_dwordx4 v[53:56], v[53:54], off offset:1536
	s_and_saveexec_b32 s0, vcc_lo
	s_cbranch_execz .LBB8_38
.LBB8_72:                               ;   in Loop: Header=BB8_40 Depth=1
	v_cmp_gt_i32_e32 vcc_lo, s30, v98
	s_waitcnt vmcnt(0)
	v_cndmask_b32_e32 v53, 0, v53, vcc_lo
	v_cmp_gt_i32_e32 vcc_lo, s30, v101
	v_cndmask_b32_e32 v54, 0, v54, vcc_lo
	v_cmp_gt_i32_e32 vcc_lo, s30, v100
	;; [unrolled: 2-line block ×3, first 2 shown]
	v_cndmask_b32_e32 v56, 0, v56, vcc_lo
	s_branch .LBB8_38
.LBB8_73:
	s_or_b32 exec_lo, exec_lo, s13
.LBB8_74:
	s_or_b32 exec_lo, exec_lo, s4
	ds_bpermute_b32 v1, v74, v91
	ds_bpermute_b32 v2, v74, v90
	;; [unrolled: 1-line block ×16, first 2 shown]
	v_lshrrev_b32_e32 v17, 1, v73
	v_and_b32_e32 v20, 0x3c1, v0
	v_lshlrev_b32_e32 v19, 10, v71
	s_mov_b32 s0, exec_lo
	s_waitcnt lgkmcnt(15)
	v_add_f32_e32 v1, v91, v1
	s_waitcnt lgkmcnt(14)
	v_add_f32_e32 v2, v90, v2
	;; [unrolled: 2-line block ×16, first 2 shown]
	v_lshl_add_u32 v18, v17, 2, 0x420
	s_barrier
	buffer_gl0_inv
	v_cmpx_eq_u32_e32 64, v20
	s_cbranch_execz .LBB8_76
; %bb.75:
	v_add_nc_u32_e32 v20, v18, v19
	v_add_nc_u32_e32 v21, 0xfffff800, v20
	;; [unrolled: 1-line block ×7, first 2 shown]
	ds_write_b32 v21, v1
	ds_write_b32 v22, v2
	;; [unrolled: 1-line block ×6, first 2 shown]
	v_add_nc_u32_e32 v21, 0xfffff980, v20
	v_add_nc_u32_e32 v22, 0xfffff9c0, v20
	;; [unrolled: 1-line block ×5, first 2 shown]
	ds_write_b32 v21, v7
	ds_write_b32 v22, v8
	;; [unrolled: 1-line block ×5, first 2 shown]
	v_add_nc_u32_e32 v21, 0xfffffac0, v20
	v_add_nc_u32_e32 v22, 0xfffffb00, v20
	;; [unrolled: 1-line block ×5, first 2 shown]
	ds_write_b32 v21, v12
	ds_write_b32 v22, v13
	;; [unrolled: 1-line block ×5, first 2 shown]
.LBB8_76:
	s_or_b32 exec_lo, exec_lo, s0
	v_lshlrev_b32_e32 v17, 2, v17
	s_mov_b32 s1, exec_lo
	v_cmp_eq_u32_e32 vcc_lo, 0, v75
	s_waitcnt lgkmcnt(0)
	s_barrier
	v_add3_u32 v17, 0x420, v19, v17
	buffer_gl0_inv
	v_cmpx_gt_u32_e32 64, v0
	s_cbranch_execz .LBB8_95
; %bb.77:
	s_and_saveexec_b32 s0, vcc_lo
	s_cbranch_execnz .LBB8_119
; %bb.78:
	s_or_b32 exec_lo, exec_lo, s0
	s_and_saveexec_b32 s0, vcc_lo
	s_cbranch_execnz .LBB8_120
.LBB8_79:
	s_or_b32 exec_lo, exec_lo, s0
	s_and_saveexec_b32 s0, vcc_lo
	s_cbranch_execnz .LBB8_121
.LBB8_80:
	s_or_b32 exec_lo, exec_lo, s0
	s_and_saveexec_b32 s0, vcc_lo
	s_cbranch_execnz .LBB8_122
.LBB8_81:
	s_or_b32 exec_lo, exec_lo, s0
	s_and_saveexec_b32 s0, vcc_lo
	s_cbranch_execnz .LBB8_123
.LBB8_82:
	s_or_b32 exec_lo, exec_lo, s0
	s_and_saveexec_b32 s0, vcc_lo
	s_cbranch_execnz .LBB8_124
.LBB8_83:
	s_or_b32 exec_lo, exec_lo, s0
	s_and_saveexec_b32 s0, vcc_lo
	s_cbranch_execnz .LBB8_125
.LBB8_84:
	s_or_b32 exec_lo, exec_lo, s0
	s_and_saveexec_b32 s0, vcc_lo
	s_cbranch_execnz .LBB8_126
.LBB8_85:
	s_or_b32 exec_lo, exec_lo, s0
	s_and_saveexec_b32 s0, vcc_lo
	s_cbranch_execnz .LBB8_127
.LBB8_86:
	s_or_b32 exec_lo, exec_lo, s0
	s_and_saveexec_b32 s0, vcc_lo
	s_cbranch_execnz .LBB8_128
.LBB8_87:
	s_or_b32 exec_lo, exec_lo, s0
	s_and_saveexec_b32 s0, vcc_lo
	s_cbranch_execnz .LBB8_129
.LBB8_88:
	s_or_b32 exec_lo, exec_lo, s0
	s_and_saveexec_b32 s0, vcc_lo
	s_cbranch_execnz .LBB8_130
.LBB8_89:
	s_or_b32 exec_lo, exec_lo, s0
	s_and_saveexec_b32 s0, vcc_lo
	s_cbranch_execnz .LBB8_131
.LBB8_90:
	s_or_b32 exec_lo, exec_lo, s0
	s_and_saveexec_b32 s0, vcc_lo
	s_cbranch_execnz .LBB8_132
.LBB8_91:
	s_or_b32 exec_lo, exec_lo, s0
	s_and_saveexec_b32 s0, vcc_lo
	s_cbranch_execnz .LBB8_133
.LBB8_92:
	s_or_b32 exec_lo, exec_lo, s0
	s_and_saveexec_b32 s0, vcc_lo
	s_cbranch_execz .LBB8_94
.LBB8_93:
	ds_read_b32 v19, v17 offset:960
	s_waitcnt lgkmcnt(0)
	v_add_f32_e32 v16, v16, v19
.LBB8_94:
	s_or_b32 exec_lo, exec_lo, s0
.LBB8_95:
	s_or_b32 exec_lo, exec_lo, s1
	v_and_b32_e32 v19, 0x3e1, v0
	s_mov_b32 s1, exec_lo
	s_barrier
	buffer_gl0_inv
	v_cmpx_eq_u32_e32 32, v19
	s_cbranch_execz .LBB8_97
; %bb.96:
	ds_write2_b32 v18, v1, v2 offset1:16
	ds_write2_b32 v18, v3, v4 offset0:32 offset1:48
	ds_write2_b32 v18, v5, v6 offset0:64 offset1:80
	;; [unrolled: 1-line block ×7, first 2 shown]
.LBB8_97:
	s_or_b32 exec_lo, exec_lo, s1
	s_mov_b32 s1, exec_lo
	s_waitcnt lgkmcnt(0)
	s_barrier
	buffer_gl0_inv
	v_cmpx_gt_u32_e32 32, v0
	s_cbranch_execz .LBB8_116
; %bb.98:
	s_and_saveexec_b32 s0, vcc_lo
	s_cbranch_execnz .LBB8_134
; %bb.99:
	s_or_b32 exec_lo, exec_lo, s0
	s_and_saveexec_b32 s0, vcc_lo
	s_cbranch_execnz .LBB8_135
.LBB8_100:
	s_or_b32 exec_lo, exec_lo, s0
	s_and_saveexec_b32 s0, vcc_lo
	s_cbranch_execnz .LBB8_136
.LBB8_101:
	s_or_b32 exec_lo, exec_lo, s0
	s_and_saveexec_b32 s0, vcc_lo
	s_cbranch_execnz .LBB8_137
.LBB8_102:
	s_or_b32 exec_lo, exec_lo, s0
	s_and_saveexec_b32 s0, vcc_lo
	s_cbranch_execnz .LBB8_138
.LBB8_103:
	s_or_b32 exec_lo, exec_lo, s0
	s_and_saveexec_b32 s0, vcc_lo
	s_cbranch_execnz .LBB8_139
.LBB8_104:
	s_or_b32 exec_lo, exec_lo, s0
	s_and_saveexec_b32 s0, vcc_lo
	s_cbranch_execnz .LBB8_140
.LBB8_105:
	s_or_b32 exec_lo, exec_lo, s0
	s_and_saveexec_b32 s0, vcc_lo
	s_cbranch_execnz .LBB8_141
.LBB8_106:
	s_or_b32 exec_lo, exec_lo, s0
	s_and_saveexec_b32 s0, vcc_lo
	s_cbranch_execnz .LBB8_142
.LBB8_107:
	s_or_b32 exec_lo, exec_lo, s0
	s_and_saveexec_b32 s0, vcc_lo
	s_cbranch_execnz .LBB8_143
.LBB8_108:
	s_or_b32 exec_lo, exec_lo, s0
	s_and_saveexec_b32 s0, vcc_lo
	s_cbranch_execnz .LBB8_144
.LBB8_109:
	s_or_b32 exec_lo, exec_lo, s0
	s_and_saveexec_b32 s0, vcc_lo
	s_cbranch_execnz .LBB8_145
.LBB8_110:
	s_or_b32 exec_lo, exec_lo, s0
	s_and_saveexec_b32 s0, vcc_lo
	s_cbranch_execnz .LBB8_146
.LBB8_111:
	s_or_b32 exec_lo, exec_lo, s0
	s_and_saveexec_b32 s0, vcc_lo
	s_cbranch_execnz .LBB8_147
.LBB8_112:
	s_or_b32 exec_lo, exec_lo, s0
	s_and_saveexec_b32 s0, vcc_lo
	s_cbranch_execnz .LBB8_148
.LBB8_113:
	s_or_b32 exec_lo, exec_lo, s0
	s_and_saveexec_b32 s0, vcc_lo
	s_cbranch_execz .LBB8_115
.LBB8_114:
	ds_read_b32 v17, v17 offset:960
	s_waitcnt lgkmcnt(0)
	v_add_f32_e32 v16, v16, v17
.LBB8_115:
	s_or_b32 exec_lo, exec_lo, s0
.LBB8_116:
	s_or_b32 exec_lo, exec_lo, s1
	s_barrier
	buffer_gl0_inv
	s_mov_b32 s0, exec_lo
	v_cmpx_eq_u32_e32 0, v19
	s_cbranch_execz .LBB8_118
; %bb.117:
	s_mul_i32 s0, s10, s11
	s_mul_i32 s2, s11, s20
	;; [unrolled: 1-line block ×3, first 2 shown]
	v_lshlrev_b32_e32 v0, 1, v0
	s_lshl_b32 s0, s0, 8
	s_ashr_i32 s1, s0, 31
	s_lshl_b64 s[0:1], s[0:1], 2
	s_add_u32 s4, s6, s0
	s_addc_u32 s5, s7, s1
	s_ashr_i32 s3, s2, 31
	s_lshl_b64 s[0:1], s[2:3], 2
	s_add_u32 s2, s4, s0
	s_addc_u32 s3, s5, s1
	s_lshl_b32 s0, s8, 8
	s_ashr_i32 s1, s0, 31
	s_lshl_b64 s[0:1], s[0:1], 2
	s_add_u32 s0, s2, s0
	s_addc_u32 s1, s3, s1
	global_store_dword v0, v1, s[0:1]
	global_store_dword v0, v2, s[0:1] offset:64
	global_store_dword v0, v3, s[0:1] offset:128
	;; [unrolled: 1-line block ×15, first 2 shown]
.LBB8_118:
	s_endpgm
.LBB8_119:
	ds_read_b32 v19, v17
	s_waitcnt lgkmcnt(0)
	v_add_f32_e32 v1, v1, v19
	s_or_b32 exec_lo, exec_lo, s0
	s_and_saveexec_b32 s0, vcc_lo
	s_cbranch_execz .LBB8_79
.LBB8_120:
	ds_read_b32 v19, v17 offset:64
	s_waitcnt lgkmcnt(0)
	v_add_f32_e32 v2, v2, v19
	s_or_b32 exec_lo, exec_lo, s0
	s_and_saveexec_b32 s0, vcc_lo
	s_cbranch_execz .LBB8_80
.LBB8_121:
	ds_read_b32 v19, v17 offset:128
	s_waitcnt lgkmcnt(0)
	v_add_f32_e32 v3, v3, v19
	s_or_b32 exec_lo, exec_lo, s0
	s_and_saveexec_b32 s0, vcc_lo
	s_cbranch_execz .LBB8_81
.LBB8_122:
	ds_read_b32 v19, v17 offset:192
	s_waitcnt lgkmcnt(0)
	v_add_f32_e32 v4, v4, v19
	s_or_b32 exec_lo, exec_lo, s0
	s_and_saveexec_b32 s0, vcc_lo
	s_cbranch_execz .LBB8_82
.LBB8_123:
	ds_read_b32 v19, v17 offset:256
	s_waitcnt lgkmcnt(0)
	v_add_f32_e32 v5, v5, v19
	s_or_b32 exec_lo, exec_lo, s0
	s_and_saveexec_b32 s0, vcc_lo
	s_cbranch_execz .LBB8_83
.LBB8_124:
	ds_read_b32 v19, v17 offset:320
	s_waitcnt lgkmcnt(0)
	v_add_f32_e32 v6, v6, v19
	s_or_b32 exec_lo, exec_lo, s0
	s_and_saveexec_b32 s0, vcc_lo
	s_cbranch_execz .LBB8_84
.LBB8_125:
	ds_read_b32 v19, v17 offset:384
	s_waitcnt lgkmcnt(0)
	v_add_f32_e32 v7, v7, v19
	s_or_b32 exec_lo, exec_lo, s0
	s_and_saveexec_b32 s0, vcc_lo
	s_cbranch_execz .LBB8_85
.LBB8_126:
	ds_read_b32 v19, v17 offset:448
	s_waitcnt lgkmcnt(0)
	v_add_f32_e32 v8, v8, v19
	s_or_b32 exec_lo, exec_lo, s0
	s_and_saveexec_b32 s0, vcc_lo
	s_cbranch_execz .LBB8_86
.LBB8_127:
	ds_read_b32 v19, v17 offset:512
	s_waitcnt lgkmcnt(0)
	v_add_f32_e32 v9, v9, v19
	s_or_b32 exec_lo, exec_lo, s0
	s_and_saveexec_b32 s0, vcc_lo
	s_cbranch_execz .LBB8_87
.LBB8_128:
	ds_read_b32 v19, v17 offset:576
	s_waitcnt lgkmcnt(0)
	v_add_f32_e32 v10, v10, v19
	s_or_b32 exec_lo, exec_lo, s0
	s_and_saveexec_b32 s0, vcc_lo
	s_cbranch_execz .LBB8_88
.LBB8_129:
	ds_read_b32 v19, v17 offset:640
	s_waitcnt lgkmcnt(0)
	v_add_f32_e32 v11, v11, v19
	s_or_b32 exec_lo, exec_lo, s0
	s_and_saveexec_b32 s0, vcc_lo
	s_cbranch_execz .LBB8_89
.LBB8_130:
	ds_read_b32 v19, v17 offset:704
	s_waitcnt lgkmcnt(0)
	v_add_f32_e32 v12, v12, v19
	s_or_b32 exec_lo, exec_lo, s0
	s_and_saveexec_b32 s0, vcc_lo
	s_cbranch_execz .LBB8_90
.LBB8_131:
	ds_read_b32 v19, v17 offset:768
	s_waitcnt lgkmcnt(0)
	v_add_f32_e32 v13, v13, v19
	s_or_b32 exec_lo, exec_lo, s0
	s_and_saveexec_b32 s0, vcc_lo
	s_cbranch_execz .LBB8_91
.LBB8_132:
	ds_read_b32 v19, v17 offset:832
	s_waitcnt lgkmcnt(0)
	v_add_f32_e32 v14, v14, v19
	s_or_b32 exec_lo, exec_lo, s0
	s_and_saveexec_b32 s0, vcc_lo
	s_cbranch_execz .LBB8_92
.LBB8_133:
	ds_read_b32 v19, v17 offset:896
	s_waitcnt lgkmcnt(0)
	v_add_f32_e32 v15, v15, v19
	s_or_b32 exec_lo, exec_lo, s0
	s_and_saveexec_b32 s0, vcc_lo
	s_cbranch_execnz .LBB8_93
	s_branch .LBB8_94
.LBB8_134:
	ds_read_b32 v18, v17
	s_waitcnt lgkmcnt(0)
	v_add_f32_e32 v1, v1, v18
	s_or_b32 exec_lo, exec_lo, s0
	s_and_saveexec_b32 s0, vcc_lo
	s_cbranch_execz .LBB8_100
.LBB8_135:
	ds_read_b32 v18, v17 offset:64
	s_waitcnt lgkmcnt(0)
	v_add_f32_e32 v2, v2, v18
	s_or_b32 exec_lo, exec_lo, s0
	s_and_saveexec_b32 s0, vcc_lo
	s_cbranch_execz .LBB8_101
.LBB8_136:
	ds_read_b32 v18, v17 offset:128
	s_waitcnt lgkmcnt(0)
	v_add_f32_e32 v3, v3, v18
	s_or_b32 exec_lo, exec_lo, s0
	s_and_saveexec_b32 s0, vcc_lo
	s_cbranch_execz .LBB8_102
.LBB8_137:
	ds_read_b32 v18, v17 offset:192
	s_waitcnt lgkmcnt(0)
	v_add_f32_e32 v4, v4, v18
	s_or_b32 exec_lo, exec_lo, s0
	s_and_saveexec_b32 s0, vcc_lo
	s_cbranch_execz .LBB8_103
.LBB8_138:
	ds_read_b32 v18, v17 offset:256
	s_waitcnt lgkmcnt(0)
	v_add_f32_e32 v5, v5, v18
	s_or_b32 exec_lo, exec_lo, s0
	s_and_saveexec_b32 s0, vcc_lo
	s_cbranch_execz .LBB8_104
.LBB8_139:
	ds_read_b32 v18, v17 offset:320
	s_waitcnt lgkmcnt(0)
	v_add_f32_e32 v6, v6, v18
	s_or_b32 exec_lo, exec_lo, s0
	s_and_saveexec_b32 s0, vcc_lo
	s_cbranch_execz .LBB8_105
.LBB8_140:
	ds_read_b32 v18, v17 offset:384
	s_waitcnt lgkmcnt(0)
	v_add_f32_e32 v7, v7, v18
	s_or_b32 exec_lo, exec_lo, s0
	s_and_saveexec_b32 s0, vcc_lo
	s_cbranch_execz .LBB8_106
.LBB8_141:
	ds_read_b32 v18, v17 offset:448
	s_waitcnt lgkmcnt(0)
	v_add_f32_e32 v8, v8, v18
	s_or_b32 exec_lo, exec_lo, s0
	s_and_saveexec_b32 s0, vcc_lo
	s_cbranch_execz .LBB8_107
.LBB8_142:
	ds_read_b32 v18, v17 offset:512
	s_waitcnt lgkmcnt(0)
	v_add_f32_e32 v9, v9, v18
	s_or_b32 exec_lo, exec_lo, s0
	s_and_saveexec_b32 s0, vcc_lo
	s_cbranch_execz .LBB8_108
.LBB8_143:
	ds_read_b32 v18, v17 offset:576
	s_waitcnt lgkmcnt(0)
	v_add_f32_e32 v10, v10, v18
	s_or_b32 exec_lo, exec_lo, s0
	s_and_saveexec_b32 s0, vcc_lo
	s_cbranch_execz .LBB8_109
.LBB8_144:
	ds_read_b32 v18, v17 offset:640
	s_waitcnt lgkmcnt(0)
	v_add_f32_e32 v11, v11, v18
	s_or_b32 exec_lo, exec_lo, s0
	s_and_saveexec_b32 s0, vcc_lo
	s_cbranch_execz .LBB8_110
.LBB8_145:
	ds_read_b32 v18, v17 offset:704
	s_waitcnt lgkmcnt(0)
	v_add_f32_e32 v12, v12, v18
	s_or_b32 exec_lo, exec_lo, s0
	s_and_saveexec_b32 s0, vcc_lo
	s_cbranch_execz .LBB8_111
.LBB8_146:
	ds_read_b32 v18, v17 offset:768
	s_waitcnt lgkmcnt(0)
	v_add_f32_e32 v13, v13, v18
	s_or_b32 exec_lo, exec_lo, s0
	s_and_saveexec_b32 s0, vcc_lo
	s_cbranch_execz .LBB8_112
.LBB8_147:
	ds_read_b32 v18, v17 offset:832
	s_waitcnt lgkmcnt(0)
	v_add_f32_e32 v14, v14, v18
	s_or_b32 exec_lo, exec_lo, s0
	s_and_saveexec_b32 s0, vcc_lo
	s_cbranch_execz .LBB8_113
.LBB8_148:
	ds_read_b32 v18, v17 offset:896
	s_waitcnt lgkmcnt(0)
	v_add_f32_e32 v15, v15, v18
	s_or_b32 exec_lo, exec_lo, s0
	s_and_saveexec_b32 s0, vcc_lo
	s_cbranch_execnz .LBB8_114
	s_branch .LBB8_115
	.section	.rodata,"a",@progbits
	.p2align	6, 0x0
	.amdhsa_kernel _ZN4vllm25paged_attention_v1_kernelIffLi256ELi8ELi128ELNS_18Fp8KVCacheDataTypeE0ELb1EEEvPT_PKS2_PKT0_S8_ifPKiSA_iPKfiiiSC_SC_iiiii
		.amdhsa_group_segment_fixed_size 1056
		.amdhsa_private_segment_fixed_size 0
		.amdhsa_kernarg_size 384
		.amdhsa_user_sgpr_count 6
		.amdhsa_user_sgpr_private_segment_buffer 1
		.amdhsa_user_sgpr_dispatch_ptr 0
		.amdhsa_user_sgpr_queue_ptr 0
		.amdhsa_user_sgpr_kernarg_segment_ptr 1
		.amdhsa_user_sgpr_dispatch_id 0
		.amdhsa_user_sgpr_flat_scratch_init 0
		.amdhsa_user_sgpr_private_segment_size 0
		.amdhsa_wavefront_size32 1
		.amdhsa_uses_dynamic_stack 0
		.amdhsa_system_sgpr_private_segment_wavefront_offset 0
		.amdhsa_system_sgpr_workgroup_id_x 1
		.amdhsa_system_sgpr_workgroup_id_y 1
		.amdhsa_system_sgpr_workgroup_id_z 1
		.amdhsa_system_sgpr_workgroup_info 0
		.amdhsa_system_vgpr_workitem_id 0
		.amdhsa_next_free_vgpr 102
		.amdhsa_next_free_sgpr 38
		.amdhsa_reserve_vcc 1
		.amdhsa_reserve_flat_scratch 0
		.amdhsa_float_round_mode_32 0
		.amdhsa_float_round_mode_16_64 0
		.amdhsa_float_denorm_mode_32 3
		.amdhsa_float_denorm_mode_16_64 3
		.amdhsa_dx10_clamp 1
		.amdhsa_ieee_mode 1
		.amdhsa_fp16_overflow 0
		.amdhsa_workgroup_processor_mode 1
		.amdhsa_memory_ordered 1
		.amdhsa_forward_progress 1
		.amdhsa_shared_vgpr_count 0
		.amdhsa_exception_fp_ieee_invalid_op 0
		.amdhsa_exception_fp_denorm_src 0
		.amdhsa_exception_fp_ieee_div_zero 0
		.amdhsa_exception_fp_ieee_overflow 0
		.amdhsa_exception_fp_ieee_underflow 0
		.amdhsa_exception_fp_ieee_inexact 0
		.amdhsa_exception_int_div_zero 0
	.end_amdhsa_kernel
	.section	.text._ZN4vllm25paged_attention_v1_kernelIffLi256ELi8ELi128ELNS_18Fp8KVCacheDataTypeE0ELb1EEEvPT_PKS2_PKT0_S8_ifPKiSA_iPKfiiiSC_SC_iiiii,"axG",@progbits,_ZN4vllm25paged_attention_v1_kernelIffLi256ELi8ELi128ELNS_18Fp8KVCacheDataTypeE0ELb1EEEvPT_PKS2_PKT0_S8_ifPKiSA_iPKfiiiSC_SC_iiiii,comdat
.Lfunc_end8:
	.size	_ZN4vllm25paged_attention_v1_kernelIffLi256ELi8ELi128ELNS_18Fp8KVCacheDataTypeE0ELb1EEEvPT_PKS2_PKT0_S8_ifPKiSA_iPKfiiiSC_SC_iiiii, .Lfunc_end8-_ZN4vllm25paged_attention_v1_kernelIffLi256ELi8ELi128ELNS_18Fp8KVCacheDataTypeE0ELb1EEEvPT_PKS2_PKT0_S8_ifPKiSA_iPKfiiiSC_SC_iiiii
                                        ; -- End function
	.set _ZN4vllm25paged_attention_v1_kernelIffLi256ELi8ELi128ELNS_18Fp8KVCacheDataTypeE0ELb1EEEvPT_PKS2_PKT0_S8_ifPKiSA_iPKfiiiSC_SC_iiiii.num_vgpr, 102
	.set _ZN4vllm25paged_attention_v1_kernelIffLi256ELi8ELi128ELNS_18Fp8KVCacheDataTypeE0ELb1EEEvPT_PKS2_PKT0_S8_ifPKiSA_iPKfiiiSC_SC_iiiii.num_agpr, 0
	.set _ZN4vllm25paged_attention_v1_kernelIffLi256ELi8ELi128ELNS_18Fp8KVCacheDataTypeE0ELb1EEEvPT_PKS2_PKT0_S8_ifPKiSA_iPKfiiiSC_SC_iiiii.numbered_sgpr, 38
	.set _ZN4vllm25paged_attention_v1_kernelIffLi256ELi8ELi128ELNS_18Fp8KVCacheDataTypeE0ELb1EEEvPT_PKS2_PKT0_S8_ifPKiSA_iPKfiiiSC_SC_iiiii.num_named_barrier, 0
	.set _ZN4vllm25paged_attention_v1_kernelIffLi256ELi8ELi128ELNS_18Fp8KVCacheDataTypeE0ELb1EEEvPT_PKS2_PKT0_S8_ifPKiSA_iPKfiiiSC_SC_iiiii.private_seg_size, 0
	.set _ZN4vllm25paged_attention_v1_kernelIffLi256ELi8ELi128ELNS_18Fp8KVCacheDataTypeE0ELb1EEEvPT_PKS2_PKT0_S8_ifPKiSA_iPKfiiiSC_SC_iiiii.uses_vcc, 1
	.set _ZN4vllm25paged_attention_v1_kernelIffLi256ELi8ELi128ELNS_18Fp8KVCacheDataTypeE0ELb1EEEvPT_PKS2_PKT0_S8_ifPKiSA_iPKfiiiSC_SC_iiiii.uses_flat_scratch, 0
	.set _ZN4vllm25paged_attention_v1_kernelIffLi256ELi8ELi128ELNS_18Fp8KVCacheDataTypeE0ELb1EEEvPT_PKS2_PKT0_S8_ifPKiSA_iPKfiiiSC_SC_iiiii.has_dyn_sized_stack, 0
	.set _ZN4vllm25paged_attention_v1_kernelIffLi256ELi8ELi128ELNS_18Fp8KVCacheDataTypeE0ELb1EEEvPT_PKS2_PKT0_S8_ifPKiSA_iPKfiiiSC_SC_iiiii.has_recursion, 0
	.set _ZN4vllm25paged_attention_v1_kernelIffLi256ELi8ELi128ELNS_18Fp8KVCacheDataTypeE0ELb1EEEvPT_PKS2_PKT0_S8_ifPKiSA_iPKfiiiSC_SC_iiiii.has_indirect_call, 0
	.section	.AMDGPU.csdata,"",@progbits
; Kernel info:
; codeLenInByte = 8508
; TotalNumSgprs: 40
; NumVgprs: 102
; ScratchSize: 0
; MemoryBound: 0
; FloatMode: 240
; IeeeMode: 1
; LDSByteSize: 1056 bytes/workgroup (compile time only)
; SGPRBlocks: 0
; VGPRBlocks: 12
; NumSGPRsForWavesPerEU: 40
; NumVGPRsForWavesPerEU: 102
; Occupancy: 9
; WaveLimiterHint : 1
; COMPUTE_PGM_RSRC2:SCRATCH_EN: 0
; COMPUTE_PGM_RSRC2:USER_SGPR: 6
; COMPUTE_PGM_RSRC2:TRAP_HANDLER: 0
; COMPUTE_PGM_RSRC2:TGID_X_EN: 1
; COMPUTE_PGM_RSRC2:TGID_Y_EN: 1
; COMPUTE_PGM_RSRC2:TGID_Z_EN: 1
; COMPUTE_PGM_RSRC2:TIDIG_COMP_CNT: 0
	.section	.text._ZN4vllm25paged_attention_v1_kernelIffLi32ELi8ELi128ELNS_18Fp8KVCacheDataTypeE0ELb0EEEvPT_PKS2_PKT0_S8_ifPKiSA_iPKfiiiSC_SC_iiiii,"axG",@progbits,_ZN4vllm25paged_attention_v1_kernelIffLi32ELi8ELi128ELNS_18Fp8KVCacheDataTypeE0ELb0EEEvPT_PKS2_PKT0_S8_ifPKiSA_iPKfiiiSC_SC_iiiii,comdat
	.protected	_ZN4vllm25paged_attention_v1_kernelIffLi32ELi8ELi128ELNS_18Fp8KVCacheDataTypeE0ELb0EEEvPT_PKS2_PKT0_S8_ifPKiSA_iPKfiiiSC_SC_iiiii ; -- Begin function _ZN4vllm25paged_attention_v1_kernelIffLi32ELi8ELi128ELNS_18Fp8KVCacheDataTypeE0ELb0EEEvPT_PKS2_PKT0_S8_ifPKiSA_iPKfiiiSC_SC_iiiii
	.globl	_ZN4vllm25paged_attention_v1_kernelIffLi32ELi8ELi128ELNS_18Fp8KVCacheDataTypeE0ELb0EEEvPT_PKS2_PKT0_S8_ifPKiSA_iPKfiiiSC_SC_iiiii
	.p2align	8
	.type	_ZN4vllm25paged_attention_v1_kernelIffLi32ELi8ELi128ELNS_18Fp8KVCacheDataTypeE0ELb0EEEvPT_PKS2_PKT0_S8_ifPKiSA_iPKfiiiSC_SC_iiiii,@function
_ZN4vllm25paged_attention_v1_kernelIffLi32ELi8ELi128ELNS_18Fp8KVCacheDataTypeE0ELb0EEEvPT_PKS2_PKT0_S8_ifPKiSA_iPKfiiiSC_SC_iiiii: ; @_ZN4vllm25paged_attention_v1_kernelIffLi32ELi8ELi128ELNS_18Fp8KVCacheDataTypeE0ELb0EEEvPT_PKS2_PKT0_S8_ifPKiSA_iPKfiiiSC_SC_iiiii
; %bb.0:
	s_clause 0x2
	s_load_dword s9, s[4:5], 0x80
	s_load_dwordx2 s[0:1], s[4:5], 0x30
	s_load_dwordx2 s[24:25], s[4:5], 0x20
	s_mov_b32 s10, s7
	s_ashr_i32 s11, s7, 31
	s_lshl_b64 s[2:3], s[10:11], 2
	s_waitcnt lgkmcnt(0)
	s_add_u32 s0, s0, s2
	s_addc_u32 s1, s1, s3
	s_abs_i32 s2, s24
	s_abs_i32 s11, s9
	v_cvt_f32_u32_e32 v1, s2
	s_sub_i32 s7, 0, s2
	v_rcp_iflag_f32_e32 v1, v1
	v_mul_f32_e32 v1, 0x4f7ffffe, v1
	v_cvt_u32_f32_e32 v1, v1
	v_readfirstlane_b32 s3, v1
	s_mul_i32 s7, s7, s3
	s_mul_hi_u32 s7, s3, s7
	s_add_i32 s3, s3, s7
	s_xor_b32 s7, s9, s24
	s_mul_hi_u32 s3, s11, s3
	s_ashr_i32 s7, s7, 31
	s_mul_i32 s12, s3, s2
	s_mov_b32 s24, 0
	s_sub_i32 s11, s11, s12
	s_add_i32 s12, s3, 1
	s_sub_i32 s13, s11, s2
	s_cmp_ge_u32 s11, s2
	s_cselect_b32 s3, s12, s3
	s_cselect_b32 s11, s13, s11
	s_add_i32 s12, s3, 1
	s_cmp_ge_u32 s11, s2
	s_cselect_b32 s2, s12, s3
	s_abs_i32 s17, s6
	s_xor_b32 s2, s2, s7
	s_sub_i32 s18, s2, s7
	s_load_dwordx2 s[2:3], s[4:5], 0x40
	s_abs_i32 s16, s18
	v_cvt_f32_u32_e32 v1, s16
	s_sub_i32 s11, 0, s16
	v_rcp_iflag_f32_e32 v1, v1
	v_mul_f32_e32 v1, 0x4f7ffffe, v1
	v_cvt_u32_f32_e32 v1, v1
	v_readfirstlane_b32 s7, v1
	s_mul_i32 s11, s11, s7
	s_mul_hi_u32 s11, s7, s11
	s_add_i32 s7, s7, s11
	s_waitcnt lgkmcnt(0)
	s_cmp_eq_u64 s[2:3], 0
	s_mul_hi_u32 s20, s17, s7
	s_cbranch_scc1 .LBB9_2
; %bb.1:
	s_ashr_i32 s7, s6, 31
	s_lshl_b64 s[12:13], s[6:7], 2
	s_add_u32 s2, s2, s12
	s_addc_u32 s3, s3, s13
	s_load_dword s24, s[2:3], 0x0
.LBB9_2:
	s_load_dword s11, s[0:1], 0x0
	s_load_dwordx4 s[12:15], s[4:5], 0x48
	v_and_b32_e32 v9, 3, v0
	v_cmp_gt_u32_e64 s0, 32, v0
	v_lshlrev_b32_e32 v11, 2, v0
	s_ashr_i32 s1, s6, 31
	s_ashr_i32 s2, s18, 31
	s_lshl_b32 s6, s6, 5
	s_and_saveexec_b32 s3, s0
	s_cbranch_execz .LBB9_4
; %bb.3:
	s_load_dwordx2 s[18:19], s[4:5], 0x8
	s_waitcnt lgkmcnt(0)
	s_mul_i32 s22, s12, s10
	v_and_b32_e32 v2, 0x3fc, v0
	s_ashr_i32 s23, s22, 31
	s_lshl_b64 s[22:23], s[22:23], 2
	v_lshl_add_u32 v2, v9, 5, v2
	s_add_u32 s12, s18, s22
	s_addc_u32 s15, s19, s23
	s_ashr_i32 s7, s6, 31
	s_lshl_b64 s[18:19], s[6:7], 2
	s_add_u32 s18, s12, s18
	s_addc_u32 s19, s15, s19
	global_load_dword v1, v11, s[18:19]
	s_waitcnt vmcnt(0)
	ds_write_b32 v2, v1
.LBB9_4:
	s_or_b32 exec_lo, exec_lo, s3
	s_waitcnt lgkmcnt(0)
	s_add_i32 s3, s11, 7
	s_clause 0x1
	s_load_dwordx2 s[18:19], s[4:5], 0x28
	s_load_dword s15, s[4:5], 0x38
	s_ashr_i32 s7, s3, 31
	s_xor_b32 s1, s1, s2
	s_lshr_b32 s7, s7, 29
	s_mul_i32 s2, s20, s16
	s_add_i32 s3, s3, s7
	s_sub_i32 s2, s17, s2
	s_ashr_i32 s12, s3, 3
	s_add_i32 s3, s20, 1
	s_sub_i32 s7, s2, s16
	s_cmp_ge_u32 s2, s16
	v_lshrrev_b32_e32 v15, 5, v0
	s_cselect_b32 s3, s3, s20
	s_cselect_b32 s2, s7, s2
	s_add_i32 s7, s3, 1
	s_cmp_ge_u32 s2, s16
	v_mbcnt_lo_u32_b32 v13, -1, 0
	s_cselect_b32 s2, s7, s3
	s_mov_b32 s3, exec_lo
	s_xor_b32 s2, s2, s1
	s_waitcnt lgkmcnt(0)
	s_mul_i32 s20, s15, s10
	s_sub_i32 s2, s2, s1
	v_cmp_gt_i32_e64 s1, s12, v15
	s_ashr_i32 s21, s20, 31
	s_barrier
	buffer_gl0_inv
                                        ; implicit-def: $vgpr14
                                        ; implicit-def: $vgpr17
	v_cmpx_le_i32_e64 s12, v15
	s_xor_b32 s3, exec_lo, s3
; %bb.5:
	v_mov_b32_e32 v14, 0
	v_mbcnt_lo_u32_b32 v13, -1, 0
	v_mov_b32_e32 v17, 32
                                        ; implicit-def: $vgpr9
; %bb.6:
	s_or_saveexec_b32 s26, s3
	s_clause 0x2
	s_load_dwordx2 s[16:17], s[4:5], 0x0
	s_load_dwordx2 s[22:23], s[4:5], 0x18
	s_load_dword s7, s[4:5], 0x88
	v_mov_b32_e32 v16, 0xff7fffff
	v_lshrrev_b32_e32 v12, 3, v0
	s_mul_i32 s14, s2, s14
	s_xor_b32 exec_lo, exec_lo, s26
	s_cbranch_execz .LBB9_12
; %bb.7:
	s_load_dwordx2 s[2:3], s[4:5], 0x10
	v_xor_b32_e32 v18, 2, v13
	v_bfe_u32 v10, v0, 2, 3
	v_xor_b32_e32 v19, 1, v13
	s_ashr_i32 s15, s14, 31
	v_lshlrev_b32_e32 v5, 5, v9
	v_cmp_gt_i32_e32 vcc_lo, 32, v18
	v_lshlrev_b32_e32 v20, 4, v10
	s_lshl_b64 s[4:5], s[14:15], 2
	ds_read_b128 v[1:4], v5
	ds_read_b128 v[5:8], v5 offset:16
	v_cndmask_b32_e32 v18, v13, v18, vcc_lo
	v_cmp_gt_i32_e32 vcc_lo, 32, v19
	v_lshlrev_b32_e32 v16, 2, v9
	v_lshlrev_b32_e32 v22, 2, v10
	v_mov_b32_e32 v14, 0
	v_mov_b32_e32 v17, 32
	v_cndmask_b32_e32 v21, v13, v19, vcc_lo
	v_lshlrev_b32_e32 v18, 2, v18
	v_mov_b32_e32 v24, v15
	s_waitcnt lgkmcnt(0)
	s_add_u32 s2, s2, s4
	s_addc_u32 s3, s3, s5
	v_add_co_u32 v19, s2, s2, v20
	v_add_co_ci_u32_e64 v20, null, s3, 0, s2
	s_lshl_b64 s[28:29], s[20:21], 2
	v_add_co_u32 v19, vcc_lo, v19, v16
	v_add_co_ci_u32_e64 v20, null, 0, v20, vcc_lo
	v_cmp_eq_u32_e32 vcc_lo, 0, v9
	v_lshl_or_b32 v9, v15, 5, v22
	v_lshl_or_b32 v22, v15, 3, v10
	v_and_b32_e32 v10, 0x7c, v12
	s_sub_i32 s5, 1, s11
	s_add_u32 s3, s18, s28
	v_add_nc_u32_e32 v23, 0xa0, v9
	s_addc_u32 s4, s19, s29
	v_add_co_u32 v9, s3, s3, v10
	v_lshlrev_b32_e32 v21, 2, v21
	v_cmp_neq_f32_e64 s2, s24, 0
	v_add_co_ci_u32_e64 v10, null, s4, 0, s3
	v_mov_b32_e32 v16, 0xff7fffff
	s_mov_b32 s27, s13
	s_mov_b32 s15, 0
	s_branch .LBB9_9
.LBB9_8:                                ;   in Loop: Header=BB9_9 Depth=1
	s_or_b32 exec_lo, exec_lo, s4
	v_add_nc_u32_e32 v24, 4, v24
	v_add_co_u32 v9, s4, v9, 16
	v_add_nc_u32_e32 v22, 32, v22
	v_add_nc_u32_e32 v23, 0x80, v23
	v_cmp_le_i32_e64 s3, s12, v24
	v_add_co_ci_u32_e64 v10, null, 0, v10, s4
	s_or_b32 s15, s3, s15
	s_andn2_b32 exec_lo, exec_lo, s15
	s_cbranch_execz .LBB9_11
.LBB9_9:                                ; =>This Inner Loop Header: Depth=1
	global_load_dword v25, v[9:10], off
	s_waitcnt vmcnt(0) lgkmcnt(0)
	v_mad_i64_i32 v[25:26], null, v25, s27, 0
	v_lshlrev_b64 v[25:26], 2, v[25:26]
	v_add_co_u32 v25, s3, v19, v25
	v_add_co_ci_u32_e64 v26, null, v20, v26, s3
	s_clause 0x7
	global_load_dword v27, v[25:26], off offset:128
	global_load_dword v28, v[25:26], off
	global_load_dword v29, v[25:26], off offset:256
	global_load_dword v30, v[25:26], off offset:384
	;; [unrolled: 1-line block ×6, first 2 shown]
	s_waitcnt vmcnt(7)
	v_mul_f32_e32 v26, v2, v27
	s_waitcnt vmcnt(6)
	v_fmac_f32_e32 v26, v1, v28
	s_waitcnt vmcnt(5)
	v_fmac_f32_e32 v26, v3, v29
	;; [unrolled: 2-line block ×7, first 2 shown]
	ds_bpermute_b32 v25, v18, v26
	s_waitcnt lgkmcnt(0)
	v_add_f32_e32 v25, v26, v25
	ds_bpermute_b32 v26, v21, v25
	s_and_saveexec_b32 s4, vcc_lo
	s_cbranch_execz .LBB9_8
; %bb.10:                               ;   in Loop: Header=BB9_9 Depth=1
	v_add_nc_u32_e32 v27, s5, v22
	s_waitcnt lgkmcnt(0)
	v_add_f32_e32 v25, v25, v26
	v_cmp_gt_i32_e64 s3, s11, v22
	v_cvt_f32_i32_e32 v27, v27
	v_mul_f32_e32 v27, s24, v27
	v_cndmask_b32_e64 v26, 0, v27, s2
	v_max_f32_e32 v27, v16, v16
	v_fmac_f32_e32 v26, s25, v25
	v_max_f32_e32 v25, v27, v26
	v_cndmask_b32_e64 v26, 0, v26, s3
	v_cndmask_b32_e64 v16, v16, v25, s3
	ds_write_b32 v23, v26
	s_branch .LBB9_8
.LBB9_11:
	s_or_b32 exec_lo, exec_lo, s15
.LBB9_12:
	s_or_b32 exec_lo, exec_lo, s26
	v_xor_b32_e32 v1, 16, v13
	v_xor_b32_e32 v3, 8, v13
	v_max_f32_e32 v4, v16, v16
	v_xor_b32_e32 v5, 4, v13
	v_cmp_lt_i32_e32 vcc_lo, v1, v17
	v_cndmask_b32_e32 v1, v13, v1, vcc_lo
	v_cmp_lt_i32_e32 vcc_lo, v3, v17
	v_lshlrev_b32_e32 v2, 2, v1
	v_cndmask_b32_e32 v3, v13, v3, vcc_lo
	v_cmp_lt_i32_e32 vcc_lo, v5, v17
	ds_bpermute_b32 v1, v2, v16
	v_lshlrev_b32_e32 v3, 2, v3
	v_cndmask_b32_e32 v5, v13, v5, vcc_lo
	v_and_b32_e32 v16, 31, v0
	v_lshlrev_b32_e32 v6, 2, v5
	v_cmp_eq_u32_e32 vcc_lo, 0, v16
	s_waitcnt lgkmcnt(0)
	v_max_f32_e32 v1, v1, v1
	v_max_f32_e32 v1, v4, v1
	ds_bpermute_b32 v4, v3, v1
	s_waitcnt lgkmcnt(0)
	v_max_f32_e32 v4, v4, v4
	v_max_f32_e32 v1, v1, v4
	v_lshlrev_b32_e32 v4, 2, v15
	ds_bpermute_b32 v5, v6, v1
	s_and_saveexec_b32 s2, vcc_lo
	s_cbranch_execz .LBB9_14
; %bb.13:
	s_waitcnt lgkmcnt(0)
	v_max_f32_e32 v5, v5, v5
	v_max_f32_e32 v1, v1, v1
	;; [unrolled: 1-line block ×3, first 2 shown]
	ds_write_b32 v4, v1 offset:128
.LBB9_14:
	s_or_b32 exec_lo, exec_lo, s2
	v_cmp_gt_u32_e64 s2, 4, v16
	v_mov_b32_e32 v1, 0xff7fffff
	s_waitcnt lgkmcnt(0)
	v_lshlrev_b32_e32 v5, 2, v16
	s_barrier
	buffer_gl0_inv
	s_and_saveexec_b32 s3, s2
; %bb.15:
	ds_read_b32 v1, v5 offset:128
; %bb.16:
	s_or_b32 exec_lo, exec_lo, s3
	v_xor_b32_e32 v7, 2, v13
	v_xor_b32_e32 v9, 1, v13
	v_cmp_lt_i32_e64 s3, v7, v17
	v_cndmask_b32_e64 v7, v13, v7, s3
	v_cmp_lt_i32_e64 s3, v9, v17
	v_lshlrev_b32_e32 v7, 2, v7
	v_cndmask_b32_e64 v9, v13, v9, s3
	s_lshl_b32 s3, s12, 3
	s_min_i32 s5, s3, s11
	s_waitcnt lgkmcnt(0)
	ds_bpermute_b32 v8, v7, v1
	v_max_f32_e32 v1, v1, v1
	v_lshlrev_b32_e32 v17, 2, v9
	v_cmp_gt_i32_e64 s3, s5, v0
	s_waitcnt lgkmcnt(0)
	v_max_f32_e32 v8, v8, v8
	v_max_f32_e32 v1, v1, v8
	ds_bpermute_b32 v8, v17, v1
	s_waitcnt lgkmcnt(0)
	v_max_f32_e32 v8, v8, v8
	v_max_f32_e32 v1, v1, v8
	v_lshlrev_b32_e32 v8, 2, v14
	ds_bpermute_b32 v9, v8, v1
	v_mov_b32_e32 v8, 0
	v_lshl_add_u32 v1, v0, 2, 0xa0
	s_and_saveexec_b32 s15, s3
	s_cbranch_execz .LBB9_20
; %bb.17:
	v_lshl_add_u32 v10, v0, 2, 0xa0
	v_mov_b32_e32 v8, 0
	v_mov_b32_e32 v14, v0
	s_mov_b32 s24, 0
	.p2align	6
.LBB9_18:                               ; =>This Inner Loop Header: Depth=1
	ds_read_b32 v18, v10
	v_add_nc_u32_e32 v14, 0x80, v14
	v_cmp_le_i32_e64 s4, s5, v14
	s_or_b32 s24, s4, s24
	s_waitcnt lgkmcnt(0)
	v_sub_f32_e32 v18, v18, v9
	v_mul_f32_e32 v18, 0x3fb8aa3b, v18
	v_exp_f32_e32 v18, v18
	ds_write_b32 v10, v18
	v_add_f32_e32 v8, v8, v18
	v_add_nc_u32_e32 v10, 0x200, v10
	s_andn2_b32 exec_lo, exec_lo, s24
	s_cbranch_execnz .LBB9_18
; %bb.19:
	s_or_b32 exec_lo, exec_lo, s24
.LBB9_20:
	s_or_b32 exec_lo, exec_lo, s15
	ds_bpermute_b32 v2, v2, v8
	s_waitcnt lgkmcnt(0)
	v_add_f32_e32 v2, v8, v2
	ds_bpermute_b32 v3, v3, v2
	s_waitcnt lgkmcnt(0)
	v_add_f32_e32 v2, v2, v3
	;; [unrolled: 3-line block ×5, first 2 shown]
	s_and_saveexec_b32 s4, vcc_lo
; %bb.21:
	ds_write_b32 v4, v2 offset:144
; %bb.22:
	s_or_b32 exec_lo, exec_lo, s4
	s_waitcnt lgkmcnt(0)
	s_barrier
	buffer_gl0_inv
	s_and_saveexec_b32 s4, s2
; %bb.23:
	ds_read_b32 v2, v5 offset:144
; %bb.24:
	s_or_b32 exec_lo, exec_lo, s4
	s_waitcnt lgkmcnt(0)
	ds_bpermute_b32 v3, v7, v2
	v_lshlrev_b32_e32 v4, 2, v13
	s_waitcnt lgkmcnt(0)
	v_add_f32_e32 v2, v2, v3
	ds_bpermute_b32 v3, v17, v2
	s_waitcnt lgkmcnt(0)
	v_add_f32_e32 v2, v2, v3
	v_and_b32_e32 v3, 0xffffff80, v4
	ds_bpermute_b32 v2, v3, v2
	s_and_saveexec_b32 s2, s3
	s_cbranch_execz .LBB9_27
; %bb.25:
	s_waitcnt lgkmcnt(0)
	v_add_f32_e32 v2, 0x358637bd, v2
	s_mov_b32 s3, 0
	v_div_scale_f32 v3, null, v2, v2, 1.0
	v_div_scale_f32 v6, vcc_lo, 1.0, v2, 1.0
	v_rcp_f32_e32 v4, v3
	v_fma_f32 v5, -v3, v4, 1.0
	v_fmac_f32_e32 v4, v5, v4
	v_mul_f32_e32 v5, v6, v4
	v_fma_f32 v7, -v3, v5, v6
	v_fmac_f32_e32 v5, v7, v4
	v_fma_f32 v3, -v3, v5, v6
	v_div_fmas_f32 v3, v3, v4, v5
	v_div_fixup_f32 v2, v3, v2, 1.0
	v_mov_b32_e32 v3, v0
.LBB9_26:                               ; =>This Inner Loop Header: Depth=1
	ds_read_b32 v4, v1
	v_add_nc_u32_e32 v3, 0x80, v3
	v_cmp_le_i32_e32 vcc_lo, s5, v3
	s_or_b32 s3, vcc_lo, s3
	s_waitcnt lgkmcnt(0)
	v_mul_f32_e32 v4, v2, v4
	ds_write_b32 v1, v4
	v_add_nc_u32_e32 v1, 0x200, v1
	s_andn2_b32 exec_lo, exec_lo, s3
	s_cbranch_execnz .LBB9_26
.LBB9_27:
	s_or_b32 exec_lo, exec_lo, s2
	v_mov_b32_e32 v20, 0
	v_and_b32_e32 v18, 1, v0
	v_mov_b32_e32 v19, 0
	s_waitcnt lgkmcnt(0)
	s_barrier
	buffer_gl0_inv
	s_and_saveexec_b32 s2, s1
	s_cbranch_execz .LBB9_35
; %bb.28:
	v_lshlrev_b32_e32 v2, 4, v0
	s_ashr_i32 s15, s14, 31
	v_and_b32_e32 v1, 4, v11
	s_lshl_b64 s[4:5], s[14:15], 2
	v_lshlrev_b32_e32 v4, 3, v15
	v_and_b32_e32 v2, 0x1f0, v2
	s_add_u32 s1, s22, s4
	v_lshlrev_b32_e32 v3, 4, v18
	s_addc_u32 s4, s23, s5
	v_or3_b32 v23, v4, v1, 3
	v_add_co_u32 v21, s1, s1, v2
	v_and_b32_e32 v1, 0x7c, v12
	v_add_co_ci_u32_e64 v22, null, s4, 0, s1
	s_lshl_b64 s[4:5], s[20:21], 2
	s_add_i32 s3, s12, -1
	v_lshl_or_b32 v3, v15, 5, v3
	s_add_u32 s1, s18, s4
	s_addc_u32 s4, s19, s5
	v_add_co_u32 v13, s1, s1, v1
	v_mov_b32_e32 v19, 0
	v_add_nc_u32_e32 v24, 0xa0, v3
	v_add_co_ci_u32_e64 v14, null, s4, 0, s1
	v_mov_b32_e32 v20, 0
	v_mov_b32_e32 v25, v15
	s_mov_b32 s5, s13
	s_mov_b32 s4, 0
	s_branch .LBB9_30
.LBB9_29:                               ;   in Loop: Header=BB9_30 Depth=1
	s_or_b32 exec_lo, exec_lo, s1
	s_waitcnt vmcnt(1) lgkmcnt(0)
	v_mul_f32_e32 v5, v1, v5
	s_waitcnt vmcnt(0)
	v_mul_f32_e32 v1, v1, v9
	v_add_nc_u32_e32 v25, 4, v25
	v_add_co_u32 v13, s1, v13, 16
	v_fmac_f32_e32 v5, v2, v6
	v_fmac_f32_e32 v1, v2, v10
	v_cmp_le_i32_e32 vcc_lo, s12, v25
	v_add_nc_u32_e32 v23, 32, v23
	v_add_nc_u32_e32 v24, 0x80, v24
	v_fmac_f32_e32 v5, v3, v7
	v_fmac_f32_e32 v1, v3, v11
	v_add_co_ci_u32_e64 v14, null, 0, v14, s1
	s_or_b32 s4, vcc_lo, s4
	v_fmac_f32_e32 v5, v4, v8
	v_fmac_f32_e32 v1, v4, v12
	v_add_f32_e32 v20, v20, v5
	v_add_f32_e32 v19, v19, v1
	s_andn2_b32 exec_lo, exec_lo, s4
	s_cbranch_execz .LBB9_34
.LBB9_30:                               ; =>This Inner Loop Header: Depth=1
	global_load_dword v1, v[13:14], off
	v_add_nc_u32_e32 v26, -3, v23
	v_add_nc_u32_e32 v28, -2, v23
	;; [unrolled: 1-line block ×3, first 2 shown]
	s_waitcnt vmcnt(0)
	v_mad_i64_i32 v[1:2], null, v1, s5, 0
	v_lshlrev_b64 v[1:2], 2, v[1:2]
	v_add_co_u32 v9, vcc_lo, v21, v1
	v_add_co_ci_u32_e64 v10, null, v22, v2, vcc_lo
	ds_read_b128 v[1:4], v24
	v_cmp_eq_u32_e32 vcc_lo, s3, v25
	global_load_dwordx4 v[5:8], v[9:10], off
	s_and_saveexec_b32 s13, vcc_lo
	s_cbranch_execz .LBB9_32
; %bb.31:                               ;   in Loop: Header=BB9_30 Depth=1
	v_cmp_gt_i32_e64 s1, s11, v26
	s_waitcnt vmcnt(0)
	v_cndmask_b32_e64 v5, 0, v5, s1
	v_cmp_gt_i32_e64 s1, s11, v28
	v_cndmask_b32_e64 v6, 0, v6, s1
	v_cmp_gt_i32_e64 s1, s11, v27
	;; [unrolled: 2-line block ×3, first 2 shown]
	v_cndmask_b32_e64 v8, 0, v8, s1
.LBB9_32:                               ;   in Loop: Header=BB9_30 Depth=1
	s_or_b32 exec_lo, exec_lo, s13
	global_load_dwordx4 v[9:12], v[9:10], off offset:512
	s_and_saveexec_b32 s1, vcc_lo
	s_cbranch_execz .LBB9_29
; %bb.33:                               ;   in Loop: Header=BB9_30 Depth=1
	v_cmp_gt_i32_e32 vcc_lo, s11, v26
	s_waitcnt vmcnt(0)
	v_cndmask_b32_e32 v9, 0, v9, vcc_lo
	v_cmp_gt_i32_e32 vcc_lo, s11, v28
	v_cndmask_b32_e32 v10, 0, v10, vcc_lo
	v_cmp_gt_i32_e32 vcc_lo, s11, v27
	;; [unrolled: 2-line block ×3, first 2 shown]
	v_cndmask_b32_e32 v12, 0, v12, vcc_lo
	s_branch .LBB9_29
.LBB9_34:
	s_or_b32 exec_lo, exec_lo, s4
.LBB9_35:
	s_or_b32 exec_lo, exec_lo, s2
	ds_bpermute_b32 v1, v17, v20
	ds_bpermute_b32 v2, v17, v19
	v_lshrrev_b32_e32 v3, 1, v16
	v_and_b32_e32 v5, 0x3c1, v0
	s_mov_b32 s1, exec_lo
	s_waitcnt lgkmcnt(0)
	s_barrier
	v_lshl_add_u32 v4, v3, 2, 0xa0
	buffer_gl0_inv
	v_add_f32_e32 v1, v20, v1
	v_add_f32_e32 v2, v19, v2
	v_cmpx_eq_u32_e32 64, v5
	s_cbranch_execz .LBB9_37
; %bb.36:
	v_lshl_add_u32 v5, v15, 7, v4
	v_add_nc_u32_e32 v6, 0xffffff00, v5
	v_add_nc_u32_e32 v5, 0xffffff40, v5
	ds_write_b32 v6, v1
	ds_write_b32 v5, v2
.LBB9_37:
	s_or_b32 exec_lo, exec_lo, s1
	v_and_b32_e32 v5, 0x3e0, v0
	v_lshlrev_b32_e32 v3, 2, v3
	s_mov_b32 s2, exec_lo
	v_cmp_eq_u32_e32 vcc_lo, 0, v18
	s_waitcnt lgkmcnt(0)
	v_lshlrev_b32_e32 v5, 2, v5
	s_barrier
	buffer_gl0_inv
	v_add3_u32 v3, 0xa0, v5, v3
	v_cmpx_gt_u32_e32 64, v0
	s_cbranch_execz .LBB9_43
; %bb.38:
	s_and_saveexec_b32 s1, vcc_lo
	s_cbranch_execz .LBB9_40
; %bb.39:
	ds_read_b32 v5, v3
	s_waitcnt lgkmcnt(0)
	v_add_f32_e32 v1, v1, v5
.LBB9_40:
	s_or_b32 exec_lo, exec_lo, s1
	s_and_saveexec_b32 s1, vcc_lo
	s_cbranch_execz .LBB9_42
; %bb.41:
	ds_read_b32 v5, v3 offset:64
	s_waitcnt lgkmcnt(0)
	v_add_f32_e32 v2, v2, v5
.LBB9_42:
	s_or_b32 exec_lo, exec_lo, s1
.LBB9_43:
	s_or_b32 exec_lo, exec_lo, s2
	v_and_b32_e32 v5, 0x3e1, v0
	s_mov_b32 s2, exec_lo
	s_barrier
	buffer_gl0_inv
	v_cmpx_eq_u32_e32 32, v5
; %bb.44:
	ds_write2_b32 v4, v1, v2 offset1:16
; %bb.45:
	s_or_b32 exec_lo, exec_lo, s2
	s_waitcnt lgkmcnt(0)
	s_barrier
	buffer_gl0_inv
	s_and_saveexec_b32 s1, s0
	s_cbranch_execz .LBB9_51
; %bb.46:
	s_and_saveexec_b32 s0, vcc_lo
	s_cbranch_execz .LBB9_48
; %bb.47:
	ds_read_b32 v4, v3
	s_waitcnt lgkmcnt(0)
	v_add_f32_e32 v1, v1, v4
.LBB9_48:
	s_or_b32 exec_lo, exec_lo, s0
	s_and_saveexec_b32 s0, vcc_lo
	s_cbranch_execz .LBB9_50
; %bb.49:
	ds_read_b32 v3, v3 offset:64
	s_waitcnt lgkmcnt(0)
	v_add_f32_e32 v2, v2, v3
.LBB9_50:
	s_or_b32 exec_lo, exec_lo, s0
.LBB9_51:
	s_or_b32 exec_lo, exec_lo, s1
	s_barrier
	buffer_gl0_inv
	s_mov_b32 s0, exec_lo
	v_cmpx_eq_u32_e32 0, v5
	s_cbranch_execz .LBB9_53
; %bb.52:
	s_mul_i32 s0, s10, s7
	s_mul_i32 s2, s7, s6
	;; [unrolled: 1-line block ×3, first 2 shown]
	v_lshlrev_b32_e32 v0, 1, v0
	s_lshl_b32 s0, s0, 5
	s_ashr_i32 s1, s0, 31
	s_lshl_b64 s[0:1], s[0:1], 2
	s_add_u32 s4, s16, s0
	s_addc_u32 s5, s17, s1
	s_ashr_i32 s3, s2, 31
	s_lshl_b64 s[0:1], s[2:3], 2
	s_add_u32 s2, s4, s0
	s_addc_u32 s3, s5, s1
	s_lshl_b32 s0, s8, 5
	s_ashr_i32 s1, s0, 31
	s_lshl_b64 s[0:1], s[0:1], 2
	s_add_u32 s0, s2, s0
	s_addc_u32 s1, s3, s1
	global_store_dword v0, v1, s[0:1]
	global_store_dword v0, v2, s[0:1] offset:64
.LBB9_53:
	s_endpgm
	.section	.rodata,"a",@progbits
	.p2align	6, 0x0
	.amdhsa_kernel _ZN4vllm25paged_attention_v1_kernelIffLi32ELi8ELi128ELNS_18Fp8KVCacheDataTypeE0ELb0EEEvPT_PKS2_PKT0_S8_ifPKiSA_iPKfiiiSC_SC_iiiii
		.amdhsa_group_segment_fixed_size 160
		.amdhsa_private_segment_fixed_size 0
		.amdhsa_kernarg_size 384
		.amdhsa_user_sgpr_count 6
		.amdhsa_user_sgpr_private_segment_buffer 1
		.amdhsa_user_sgpr_dispatch_ptr 0
		.amdhsa_user_sgpr_queue_ptr 0
		.amdhsa_user_sgpr_kernarg_segment_ptr 1
		.amdhsa_user_sgpr_dispatch_id 0
		.amdhsa_user_sgpr_flat_scratch_init 0
		.amdhsa_user_sgpr_private_segment_size 0
		.amdhsa_wavefront_size32 1
		.amdhsa_uses_dynamic_stack 0
		.amdhsa_system_sgpr_private_segment_wavefront_offset 0
		.amdhsa_system_sgpr_workgroup_id_x 1
		.amdhsa_system_sgpr_workgroup_id_y 1
		.amdhsa_system_sgpr_workgroup_id_z 1
		.amdhsa_system_sgpr_workgroup_info 0
		.amdhsa_system_vgpr_workitem_id 0
		.amdhsa_next_free_vgpr 34
		.amdhsa_next_free_sgpr 30
		.amdhsa_reserve_vcc 1
		.amdhsa_reserve_flat_scratch 0
		.amdhsa_float_round_mode_32 0
		.amdhsa_float_round_mode_16_64 0
		.amdhsa_float_denorm_mode_32 3
		.amdhsa_float_denorm_mode_16_64 3
		.amdhsa_dx10_clamp 1
		.amdhsa_ieee_mode 1
		.amdhsa_fp16_overflow 0
		.amdhsa_workgroup_processor_mode 1
		.amdhsa_memory_ordered 1
		.amdhsa_forward_progress 1
		.amdhsa_shared_vgpr_count 0
		.amdhsa_exception_fp_ieee_invalid_op 0
		.amdhsa_exception_fp_denorm_src 0
		.amdhsa_exception_fp_ieee_div_zero 0
		.amdhsa_exception_fp_ieee_overflow 0
		.amdhsa_exception_fp_ieee_underflow 0
		.amdhsa_exception_fp_ieee_inexact 0
		.amdhsa_exception_int_div_zero 0
	.end_amdhsa_kernel
	.section	.text._ZN4vllm25paged_attention_v1_kernelIffLi32ELi8ELi128ELNS_18Fp8KVCacheDataTypeE0ELb0EEEvPT_PKS2_PKT0_S8_ifPKiSA_iPKfiiiSC_SC_iiiii,"axG",@progbits,_ZN4vllm25paged_attention_v1_kernelIffLi32ELi8ELi128ELNS_18Fp8KVCacheDataTypeE0ELb0EEEvPT_PKS2_PKT0_S8_ifPKiSA_iPKfiiiSC_SC_iiiii,comdat
.Lfunc_end9:
	.size	_ZN4vllm25paged_attention_v1_kernelIffLi32ELi8ELi128ELNS_18Fp8KVCacheDataTypeE0ELb0EEEvPT_PKS2_PKT0_S8_ifPKiSA_iPKfiiiSC_SC_iiiii, .Lfunc_end9-_ZN4vllm25paged_attention_v1_kernelIffLi32ELi8ELi128ELNS_18Fp8KVCacheDataTypeE0ELb0EEEvPT_PKS2_PKT0_S8_ifPKiSA_iPKfiiiSC_SC_iiiii
                                        ; -- End function
	.set _ZN4vllm25paged_attention_v1_kernelIffLi32ELi8ELi128ELNS_18Fp8KVCacheDataTypeE0ELb0EEEvPT_PKS2_PKT0_S8_ifPKiSA_iPKfiiiSC_SC_iiiii.num_vgpr, 34
	.set _ZN4vllm25paged_attention_v1_kernelIffLi32ELi8ELi128ELNS_18Fp8KVCacheDataTypeE0ELb0EEEvPT_PKS2_PKT0_S8_ifPKiSA_iPKfiiiSC_SC_iiiii.num_agpr, 0
	.set _ZN4vllm25paged_attention_v1_kernelIffLi32ELi8ELi128ELNS_18Fp8KVCacheDataTypeE0ELb0EEEvPT_PKS2_PKT0_S8_ifPKiSA_iPKfiiiSC_SC_iiiii.numbered_sgpr, 30
	.set _ZN4vllm25paged_attention_v1_kernelIffLi32ELi8ELi128ELNS_18Fp8KVCacheDataTypeE0ELb0EEEvPT_PKS2_PKT0_S8_ifPKiSA_iPKfiiiSC_SC_iiiii.num_named_barrier, 0
	.set _ZN4vllm25paged_attention_v1_kernelIffLi32ELi8ELi128ELNS_18Fp8KVCacheDataTypeE0ELb0EEEvPT_PKS2_PKT0_S8_ifPKiSA_iPKfiiiSC_SC_iiiii.private_seg_size, 0
	.set _ZN4vllm25paged_attention_v1_kernelIffLi32ELi8ELi128ELNS_18Fp8KVCacheDataTypeE0ELb0EEEvPT_PKS2_PKT0_S8_ifPKiSA_iPKfiiiSC_SC_iiiii.uses_vcc, 1
	.set _ZN4vllm25paged_attention_v1_kernelIffLi32ELi8ELi128ELNS_18Fp8KVCacheDataTypeE0ELb0EEEvPT_PKS2_PKT0_S8_ifPKiSA_iPKfiiiSC_SC_iiiii.uses_flat_scratch, 0
	.set _ZN4vllm25paged_attention_v1_kernelIffLi32ELi8ELi128ELNS_18Fp8KVCacheDataTypeE0ELb0EEEvPT_PKS2_PKT0_S8_ifPKiSA_iPKfiiiSC_SC_iiiii.has_dyn_sized_stack, 0
	.set _ZN4vllm25paged_attention_v1_kernelIffLi32ELi8ELi128ELNS_18Fp8KVCacheDataTypeE0ELb0EEEvPT_PKS2_PKT0_S8_ifPKiSA_iPKfiiiSC_SC_iiiii.has_recursion, 0
	.set _ZN4vllm25paged_attention_v1_kernelIffLi32ELi8ELi128ELNS_18Fp8KVCacheDataTypeE0ELb0EEEvPT_PKS2_PKT0_S8_ifPKiSA_iPKfiiiSC_SC_iiiii.has_indirect_call, 0
	.section	.AMDGPU.csdata,"",@progbits
; Kernel info:
; codeLenInByte = 3008
; TotalNumSgprs: 32
; NumVgprs: 34
; ScratchSize: 0
; MemoryBound: 0
; FloatMode: 240
; IeeeMode: 1
; LDSByteSize: 160 bytes/workgroup (compile time only)
; SGPRBlocks: 0
; VGPRBlocks: 4
; NumSGPRsForWavesPerEU: 32
; NumVGPRsForWavesPerEU: 34
; Occupancy: 16
; WaveLimiterHint : 1
; COMPUTE_PGM_RSRC2:SCRATCH_EN: 0
; COMPUTE_PGM_RSRC2:USER_SGPR: 6
; COMPUTE_PGM_RSRC2:TRAP_HANDLER: 0
; COMPUTE_PGM_RSRC2:TGID_X_EN: 1
; COMPUTE_PGM_RSRC2:TGID_Y_EN: 1
; COMPUTE_PGM_RSRC2:TGID_Z_EN: 1
; COMPUTE_PGM_RSRC2:TIDIG_COMP_CNT: 0
	.section	.text._ZN4vllm25paged_attention_v1_kernelIffLi64ELi8ELi128ELNS_18Fp8KVCacheDataTypeE0ELb0EEEvPT_PKS2_PKT0_S8_ifPKiSA_iPKfiiiSC_SC_iiiii,"axG",@progbits,_ZN4vllm25paged_attention_v1_kernelIffLi64ELi8ELi128ELNS_18Fp8KVCacheDataTypeE0ELb0EEEvPT_PKS2_PKT0_S8_ifPKiSA_iPKfiiiSC_SC_iiiii,comdat
	.protected	_ZN4vllm25paged_attention_v1_kernelIffLi64ELi8ELi128ELNS_18Fp8KVCacheDataTypeE0ELb0EEEvPT_PKS2_PKT0_S8_ifPKiSA_iPKfiiiSC_SC_iiiii ; -- Begin function _ZN4vllm25paged_attention_v1_kernelIffLi64ELi8ELi128ELNS_18Fp8KVCacheDataTypeE0ELb0EEEvPT_PKS2_PKT0_S8_ifPKiSA_iPKfiiiSC_SC_iiiii
	.globl	_ZN4vllm25paged_attention_v1_kernelIffLi64ELi8ELi128ELNS_18Fp8KVCacheDataTypeE0ELb0EEEvPT_PKS2_PKT0_S8_ifPKiSA_iPKfiiiSC_SC_iiiii
	.p2align	8
	.type	_ZN4vllm25paged_attention_v1_kernelIffLi64ELi8ELi128ELNS_18Fp8KVCacheDataTypeE0ELb0EEEvPT_PKS2_PKT0_S8_ifPKiSA_iPKfiiiSC_SC_iiiii,@function
_ZN4vllm25paged_attention_v1_kernelIffLi64ELi8ELi128ELNS_18Fp8KVCacheDataTypeE0ELb0EEEvPT_PKS2_PKT0_S8_ifPKiSA_iPKfiiiSC_SC_iiiii: ; @_ZN4vllm25paged_attention_v1_kernelIffLi64ELi8ELi128ELNS_18Fp8KVCacheDataTypeE0ELb0EEEvPT_PKS2_PKT0_S8_ifPKiSA_iPKfiiiSC_SC_iiiii
; %bb.0:
	s_clause 0x2
	s_load_dword s9, s[4:5], 0x80
	s_load_dwordx2 s[0:1], s[4:5], 0x30
	s_load_dwordx2 s[24:25], s[4:5], 0x20
	s_mov_b32 s10, s7
	s_ashr_i32 s11, s7, 31
	s_lshl_b64 s[2:3], s[10:11], 2
	s_waitcnt lgkmcnt(0)
	s_add_u32 s0, s0, s2
	s_addc_u32 s1, s1, s3
	s_abs_i32 s2, s24
	s_abs_i32 s11, s9
	v_cvt_f32_u32_e32 v1, s2
	s_sub_i32 s7, 0, s2
	v_rcp_iflag_f32_e32 v1, v1
	v_mul_f32_e32 v1, 0x4f7ffffe, v1
	v_cvt_u32_f32_e32 v1, v1
	v_readfirstlane_b32 s3, v1
	s_mul_i32 s7, s7, s3
	s_mul_hi_u32 s7, s3, s7
	s_add_i32 s3, s3, s7
	s_xor_b32 s7, s9, s24
	s_mul_hi_u32 s3, s11, s3
	s_ashr_i32 s7, s7, 31
	s_mul_i32 s12, s3, s2
	s_mov_b32 s24, 0
	s_sub_i32 s11, s11, s12
	s_add_i32 s12, s3, 1
	s_sub_i32 s13, s11, s2
	s_cmp_ge_u32 s11, s2
	s_cselect_b32 s3, s12, s3
	s_cselect_b32 s11, s13, s11
	s_add_i32 s12, s3, 1
	s_cmp_ge_u32 s11, s2
	s_cselect_b32 s2, s12, s3
	s_abs_i32 s17, s6
	s_xor_b32 s2, s2, s7
	s_sub_i32 s18, s2, s7
	s_load_dwordx2 s[2:3], s[4:5], 0x40
	s_abs_i32 s16, s18
	v_cvt_f32_u32_e32 v1, s16
	s_sub_i32 s11, 0, s16
	v_rcp_iflag_f32_e32 v1, v1
	v_mul_f32_e32 v1, 0x4f7ffffe, v1
	v_cvt_u32_f32_e32 v1, v1
	v_readfirstlane_b32 s7, v1
	s_mul_i32 s11, s11, s7
	s_mul_hi_u32 s11, s7, s11
	s_add_i32 s7, s7, s11
	s_waitcnt lgkmcnt(0)
	s_cmp_eq_u64 s[2:3], 0
	s_mul_hi_u32 s20, s17, s7
	s_cbranch_scc1 .LBB10_2
; %bb.1:
	s_ashr_i32 s7, s6, 31
	s_lshl_b64 s[12:13], s[6:7], 2
	s_add_u32 s2, s2, s12
	s_addc_u32 s3, s3, s13
	s_load_dword s24, s[2:3], 0x0
.LBB10_2:
	s_load_dword s11, s[0:1], 0x0
	s_load_dwordx4 s[12:15], s[4:5], 0x48
	v_and_b32_e32 v17, 3, v0
	v_cmp_gt_u32_e64 s0, 64, v0
	v_lshlrev_b32_e32 v19, 2, v0
	s_ashr_i32 s1, s6, 31
	s_ashr_i32 s2, s18, 31
	s_lshl_b32 s6, s6, 6
	s_and_saveexec_b32 s3, s0
	s_cbranch_execz .LBB10_4
; %bb.3:
	s_load_dwordx2 s[18:19], s[4:5], 0x8
	s_waitcnt lgkmcnt(0)
	s_mul_i32 s22, s12, s10
	v_and_b32_e32 v2, 0x3fc, v0
	s_ashr_i32 s23, s22, 31
	s_lshl_b64 s[22:23], s[22:23], 2
	v_lshl_add_u32 v2, v17, 6, v2
	s_add_u32 s12, s18, s22
	s_addc_u32 s15, s19, s23
	s_ashr_i32 s7, s6, 31
	s_lshl_b64 s[18:19], s[6:7], 2
	s_add_u32 s18, s12, s18
	s_addc_u32 s19, s15, s19
	global_load_dword v1, v19, s[18:19]
	s_waitcnt vmcnt(0)
	ds_write_b32 v2, v1
.LBB10_4:
	s_or_b32 exec_lo, exec_lo, s3
	s_waitcnt lgkmcnt(0)
	s_add_i32 s3, s11, 7
	s_clause 0x1
	s_load_dwordx2 s[18:19], s[4:5], 0x28
	s_load_dword s15, s[4:5], 0x38
	s_ashr_i32 s7, s3, 31
	s_xor_b32 s1, s1, s2
	s_lshr_b32 s7, s7, 29
	s_mul_i32 s2, s20, s16
	s_add_i32 s3, s3, s7
	s_sub_i32 s2, s17, s2
	s_ashr_i32 s12, s3, 3
	s_add_i32 s3, s20, 1
	s_sub_i32 s7, s2, s16
	s_cmp_ge_u32 s2, s16
	v_lshrrev_b32_e32 v23, 5, v0
	s_cselect_b32 s3, s3, s20
	s_cselect_b32 s2, s7, s2
	s_add_i32 s7, s3, 1
	s_cmp_ge_u32 s2, s16
	v_mbcnt_lo_u32_b32 v21, -1, 0
	s_cselect_b32 s2, s7, s3
	s_mov_b32 s3, exec_lo
	s_xor_b32 s2, s2, s1
	s_waitcnt lgkmcnt(0)
	s_mul_i32 s20, s15, s10
	s_sub_i32 s2, s2, s1
	v_cmp_gt_i32_e64 s1, s12, v23
	s_ashr_i32 s21, s20, 31
	s_barrier
	buffer_gl0_inv
                                        ; implicit-def: $vgpr22
                                        ; implicit-def: $vgpr25
	v_cmpx_le_i32_e64 s12, v23
	s_xor_b32 s3, exec_lo, s3
; %bb.5:
	v_mov_b32_e32 v22, 0
	v_mbcnt_lo_u32_b32 v21, -1, 0
	v_mov_b32_e32 v25, 32
                                        ; implicit-def: $vgpr17
; %bb.6:
	s_or_saveexec_b32 s26, s3
	s_clause 0x2
	s_load_dwordx2 s[16:17], s[4:5], 0x0
	s_load_dwordx2 s[22:23], s[4:5], 0x18
	s_load_dword s7, s[4:5], 0x88
	v_mov_b32_e32 v24, 0xff7fffff
	v_lshrrev_b32_e32 v20, 3, v0
	s_mul_i32 s14, s2, s14
	s_xor_b32 exec_lo, exec_lo, s26
	s_cbranch_execz .LBB10_12
; %bb.7:
	s_load_dwordx2 s[2:3], s[4:5], 0x10
	v_bfe_u32 v18, v0, 2, 3
	v_xor_b32_e32 v25, 2, v21
	v_lshlrev_b32_e32 v13, 6, v17
	s_ashr_i32 s15, s14, 31
	v_xor_b32_e32 v26, 1, v21
	v_lshlrev_b32_e32 v27, 4, v18
	v_cmp_gt_i32_e32 vcc_lo, 32, v25
	s_lshl_b64 s[4:5], s[14:15], 2
	ds_read_b128 v[1:4], v13
	ds_read_b128 v[5:8], v13 offset:16
	ds_read_b128 v[9:12], v13 offset:32
	;; [unrolled: 1-line block ×3, first 2 shown]
	v_lshlrev_b32_e32 v24, 2, v17
	v_lshlrev_b32_e32 v30, 2, v18
	v_cndmask_b32_e32 v28, v21, v25, vcc_lo
	v_cmp_gt_i32_e32 vcc_lo, 32, v26
	v_mov_b32_e32 v22, 0
	v_mov_b32_e32 v32, v23
	s_mov_b32 s27, s13
	v_lshlrev_b32_e32 v28, 2, v28
	v_cndmask_b32_e32 v29, v21, v26, vcc_lo
	s_mov_b32 s15, 0
	s_waitcnt lgkmcnt(0)
	s_add_u32 s2, s2, s4
	s_addc_u32 s3, s3, s5
	v_add_co_u32 v25, s2, s2, v27
	v_add_co_ci_u32_e64 v27, null, s3, 0, s2
	s_lshl_b64 s[28:29], s[20:21], 2
	v_add_co_u32 v26, vcc_lo, v25, v24
	v_add_co_ci_u32_e64 v27, null, 0, v27, vcc_lo
	v_cmp_eq_u32_e32 vcc_lo, 0, v17
	v_lshl_or_b32 v17, v23, 5, v30
	v_lshl_or_b32 v30, v23, 3, v18
	v_and_b32_e32 v18, 0x7c, v20
	s_sub_i32 s5, 1, s11
	s_add_u32 s3, s18, s28
	v_add_nc_u32_e32 v31, 0x120, v17
	s_addc_u32 s4, s19, s29
	v_add_co_u32 v17, s3, s3, v18
	v_mov_b32_e32 v25, 32
	v_lshlrev_b32_e32 v29, 2, v29
	v_cmp_neq_f32_e64 s2, s24, 0
	v_add_co_ci_u32_e64 v18, null, s4, 0, s3
	v_mov_b32_e32 v24, 0xff7fffff
	s_branch .LBB10_9
.LBB10_8:                               ;   in Loop: Header=BB10_9 Depth=1
	s_or_b32 exec_lo, exec_lo, s4
	v_add_nc_u32_e32 v32, 4, v32
	v_add_co_u32 v17, s4, v17, 16
	v_add_nc_u32_e32 v30, 32, v30
	v_add_nc_u32_e32 v31, 0x80, v31
	v_cmp_le_i32_e64 s3, s12, v32
	v_add_co_ci_u32_e64 v18, null, 0, v18, s4
	s_or_b32 s15, s3, s15
	s_andn2_b32 exec_lo, exec_lo, s15
	s_cbranch_execz .LBB10_11
.LBB10_9:                               ; =>This Inner Loop Header: Depth=1
	global_load_dword v33, v[17:18], off
	s_waitcnt vmcnt(0) lgkmcnt(0)
	v_mad_i64_i32 v[33:34], null, v33, s27, 0
	v_lshlrev_b64 v[33:34], 2, v[33:34]
	v_add_co_u32 v33, s3, v26, v33
	v_add_co_ci_u32_e64 v34, null, v27, v34, s3
	s_clause 0xf
	global_load_dword v35, v[33:34], off offset:128
	global_load_dword v36, v[33:34], off
	global_load_dword v37, v[33:34], off offset:256
	global_load_dword v38, v[33:34], off offset:384
	;; [unrolled: 1-line block ×14, first 2 shown]
	s_waitcnt vmcnt(15)
	v_mul_f32_e32 v34, v2, v35
	s_waitcnt vmcnt(14)
	v_fmac_f32_e32 v34, v1, v36
	s_waitcnt vmcnt(13)
	v_fmac_f32_e32 v34, v3, v37
	s_waitcnt vmcnt(12)
	v_fmac_f32_e32 v34, v4, v38
	s_waitcnt vmcnt(11)
	v_fmac_f32_e32 v34, v5, v39
	s_waitcnt vmcnt(10)
	v_fmac_f32_e32 v34, v6, v40
	s_waitcnt vmcnt(9)
	v_fmac_f32_e32 v34, v7, v41
	s_waitcnt vmcnt(8)
	v_fmac_f32_e32 v34, v8, v42
	s_waitcnt vmcnt(7)
	v_fmac_f32_e32 v34, v9, v43
	s_waitcnt vmcnt(6)
	v_fmac_f32_e32 v34, v10, v44
	s_waitcnt vmcnt(5)
	v_fmac_f32_e32 v34, v11, v45
	s_waitcnt vmcnt(4)
	v_fmac_f32_e32 v34, v12, v46
	s_waitcnt vmcnt(3)
	v_fmac_f32_e32 v34, v13, v47
	s_waitcnt vmcnt(2)
	v_fmac_f32_e32 v34, v14, v48
	s_waitcnt vmcnt(1)
	v_fmac_f32_e32 v34, v15, v49
	s_waitcnt vmcnt(0)
	v_fmac_f32_e32 v34, v16, v33
	ds_bpermute_b32 v33, v28, v34
	s_waitcnt lgkmcnt(0)
	v_add_f32_e32 v33, v34, v33
	ds_bpermute_b32 v34, v29, v33
	s_and_saveexec_b32 s4, vcc_lo
	s_cbranch_execz .LBB10_8
; %bb.10:                               ;   in Loop: Header=BB10_9 Depth=1
	v_add_nc_u32_e32 v35, s5, v30
	s_waitcnt lgkmcnt(0)
	v_add_f32_e32 v33, v33, v34
	v_cmp_gt_i32_e64 s3, s11, v30
	v_cvt_f32_i32_e32 v35, v35
	v_mul_f32_e32 v35, s24, v35
	v_cndmask_b32_e64 v34, 0, v35, s2
	v_max_f32_e32 v35, v24, v24
	v_fmac_f32_e32 v34, s25, v33
	v_max_f32_e32 v33, v35, v34
	v_cndmask_b32_e64 v34, 0, v34, s3
	v_cndmask_b32_e64 v24, v24, v33, s3
	ds_write_b32 v31, v34
	s_branch .LBB10_8
.LBB10_11:
	s_or_b32 exec_lo, exec_lo, s15
.LBB10_12:
	s_or_b32 exec_lo, exec_lo, s26
	v_xor_b32_e32 v1, 16, v21
	v_xor_b32_e32 v3, 8, v21
	v_max_f32_e32 v4, v24, v24
	v_xor_b32_e32 v5, 4, v21
	v_cmp_lt_i32_e32 vcc_lo, v1, v25
	v_cndmask_b32_e32 v1, v21, v1, vcc_lo
	v_cmp_lt_i32_e32 vcc_lo, v3, v25
	v_lshlrev_b32_e32 v2, 2, v1
	v_cndmask_b32_e32 v3, v21, v3, vcc_lo
	v_cmp_lt_i32_e32 vcc_lo, v5, v25
	ds_bpermute_b32 v1, v2, v24
	v_lshlrev_b32_e32 v3, 2, v3
	v_cndmask_b32_e32 v5, v21, v5, vcc_lo
	v_and_b32_e32 v24, 31, v0
	v_lshlrev_b32_e32 v6, 2, v5
	v_cmp_eq_u32_e32 vcc_lo, 0, v24
	s_waitcnt lgkmcnt(0)
	v_max_f32_e32 v1, v1, v1
	v_max_f32_e32 v1, v4, v1
	ds_bpermute_b32 v4, v3, v1
	s_waitcnt lgkmcnt(0)
	v_max_f32_e32 v4, v4, v4
	v_max_f32_e32 v1, v1, v4
	v_lshlrev_b32_e32 v4, 2, v23
	ds_bpermute_b32 v5, v6, v1
	s_and_saveexec_b32 s2, vcc_lo
	s_cbranch_execz .LBB10_14
; %bb.13:
	s_waitcnt lgkmcnt(0)
	v_max_f32_e32 v5, v5, v5
	v_max_f32_e32 v1, v1, v1
	v_max_f32_e32 v1, v1, v5
	ds_write_b32 v4, v1 offset:256
.LBB10_14:
	s_or_b32 exec_lo, exec_lo, s2
	v_cmp_gt_u32_e64 s2, 4, v24
	v_mov_b32_e32 v1, 0xff7fffff
	s_waitcnt lgkmcnt(0)
	v_lshlrev_b32_e32 v5, 2, v24
	s_barrier
	buffer_gl0_inv
	s_and_saveexec_b32 s3, s2
; %bb.15:
	ds_read_b32 v1, v5 offset:256
; %bb.16:
	s_or_b32 exec_lo, exec_lo, s3
	v_xor_b32_e32 v7, 2, v21
	v_xor_b32_e32 v9, 1, v21
	v_cmp_lt_i32_e64 s3, v7, v25
	v_cndmask_b32_e64 v7, v21, v7, s3
	v_cmp_lt_i32_e64 s3, v9, v25
	v_lshlrev_b32_e32 v7, 2, v7
	v_cndmask_b32_e64 v9, v21, v9, s3
	s_lshl_b32 s3, s12, 3
	s_min_i32 s5, s3, s11
	s_waitcnt lgkmcnt(0)
	ds_bpermute_b32 v8, v7, v1
	v_max_f32_e32 v1, v1, v1
	v_lshlrev_b32_e32 v25, 2, v9
	v_cmp_gt_i32_e64 s3, s5, v0
	s_waitcnt lgkmcnt(0)
	v_max_f32_e32 v8, v8, v8
	v_max_f32_e32 v1, v1, v8
	ds_bpermute_b32 v8, v25, v1
	s_waitcnt lgkmcnt(0)
	v_max_f32_e32 v8, v8, v8
	v_max_f32_e32 v1, v1, v8
	v_lshlrev_b32_e32 v8, 2, v22
	ds_bpermute_b32 v9, v8, v1
	v_mov_b32_e32 v8, 0
	v_lshl_add_u32 v1, v0, 2, 0x120
	s_and_saveexec_b32 s15, s3
	s_cbranch_execz .LBB10_20
; %bb.17:
	v_lshl_add_u32 v10, v0, 2, 0x120
	v_mov_b32_e32 v8, 0
	v_mov_b32_e32 v11, v0
	s_mov_b32 s24, 0
	.p2align	6
.LBB10_18:                              ; =>This Inner Loop Header: Depth=1
	ds_read_b32 v12, v10
	v_add_nc_u32_e32 v11, 0x80, v11
	v_cmp_le_i32_e64 s4, s5, v11
	s_or_b32 s24, s4, s24
	s_waitcnt lgkmcnt(0)
	v_sub_f32_e32 v12, v12, v9
	v_mul_f32_e32 v12, 0x3fb8aa3b, v12
	v_exp_f32_e32 v12, v12
	ds_write_b32 v10, v12
	v_add_f32_e32 v8, v8, v12
	v_add_nc_u32_e32 v10, 0x200, v10
	s_andn2_b32 exec_lo, exec_lo, s24
	s_cbranch_execnz .LBB10_18
; %bb.19:
	s_or_b32 exec_lo, exec_lo, s24
.LBB10_20:
	s_or_b32 exec_lo, exec_lo, s15
	ds_bpermute_b32 v2, v2, v8
	s_waitcnt lgkmcnt(0)
	v_add_f32_e32 v2, v8, v2
	ds_bpermute_b32 v3, v3, v2
	s_waitcnt lgkmcnt(0)
	v_add_f32_e32 v2, v2, v3
	;; [unrolled: 3-line block ×5, first 2 shown]
	s_and_saveexec_b32 s4, vcc_lo
; %bb.21:
	ds_write_b32 v4, v2 offset:272
; %bb.22:
	s_or_b32 exec_lo, exec_lo, s4
	s_waitcnt lgkmcnt(0)
	s_barrier
	buffer_gl0_inv
	s_and_saveexec_b32 s4, s2
; %bb.23:
	ds_read_b32 v2, v5 offset:272
; %bb.24:
	s_or_b32 exec_lo, exec_lo, s4
	s_waitcnt lgkmcnt(0)
	ds_bpermute_b32 v3, v7, v2
	v_lshlrev_b32_e32 v4, 2, v21
	s_waitcnt lgkmcnt(0)
	v_add_f32_e32 v2, v2, v3
	ds_bpermute_b32 v3, v25, v2
	s_waitcnt lgkmcnt(0)
	v_add_f32_e32 v2, v2, v3
	v_and_b32_e32 v3, 0xffffff80, v4
	ds_bpermute_b32 v2, v3, v2
	s_and_saveexec_b32 s2, s3
	s_cbranch_execz .LBB10_27
; %bb.25:
	s_waitcnt lgkmcnt(0)
	v_add_f32_e32 v2, 0x358637bd, v2
	s_mov_b32 s3, 0
	v_div_scale_f32 v3, null, v2, v2, 1.0
	v_div_scale_f32 v6, vcc_lo, 1.0, v2, 1.0
	v_rcp_f32_e32 v4, v3
	v_fma_f32 v5, -v3, v4, 1.0
	v_fmac_f32_e32 v4, v5, v4
	v_mul_f32_e32 v5, v6, v4
	v_fma_f32 v7, -v3, v5, v6
	v_fmac_f32_e32 v5, v7, v4
	v_fma_f32 v3, -v3, v5, v6
	v_div_fmas_f32 v3, v3, v4, v5
	v_div_fixup_f32 v2, v3, v2, 1.0
	v_mov_b32_e32 v3, v0
.LBB10_26:                              ; =>This Inner Loop Header: Depth=1
	ds_read_b32 v4, v1
	v_add_nc_u32_e32 v3, 0x80, v3
	v_cmp_le_i32_e32 vcc_lo, s5, v3
	s_or_b32 s3, vcc_lo, s3
	s_waitcnt lgkmcnt(0)
	v_mul_f32_e32 v4, v2, v4
	ds_write_b32 v1, v4
	v_add_nc_u32_e32 v1, 0x200, v1
	s_andn2_b32 exec_lo, exec_lo, s3
	s_cbranch_execnz .LBB10_26
.LBB10_27:
	s_or_b32 exec_lo, exec_lo, s2
	v_mov_b32_e32 v28, 0
	v_and_b32_e32 v26, 1, v0
	v_mov_b32_e32 v30, 0
	v_mov_b32_e32 v29, 0
	;; [unrolled: 1-line block ×3, first 2 shown]
	s_waitcnt lgkmcnt(0)
	s_barrier
	buffer_gl0_inv
	s_and_saveexec_b32 s2, s1
	s_cbranch_execz .LBB10_39
; %bb.28:
	v_lshlrev_b32_e32 v2, 4, v0
	s_ashr_i32 s15, s14, 31
	v_and_b32_e32 v1, 4, v19
	s_lshl_b64 s[4:5], s[14:15], 2
	v_lshlrev_b32_e32 v4, 3, v23
	v_and_b32_e32 v2, 0x1f0, v2
	s_add_u32 s1, s22, s4
	v_lshlrev_b32_e32 v3, 4, v26
	s_addc_u32 s4, s23, s5
	v_or3_b32 v33, v4, v1, 3
	v_add_co_u32 v31, s1, s1, v2
	v_and_b32_e32 v1, 0x7c, v20
	v_add_co_ci_u32_e64 v32, null, s4, 0, s1
	s_lshl_b64 s[4:5], s[20:21], 2
	s_add_i32 s3, s12, -1
	v_lshl_or_b32 v3, v23, 5, v3
	s_add_u32 s1, s18, s4
	s_addc_u32 s4, s19, s5
	v_add_co_u32 v21, s1, s1, v1
	v_mov_b32_e32 v27, 0
	v_add_nc_u32_e32 v34, 0x120, v3
	v_add_co_ci_u32_e64 v22, null, s4, 0, s1
	v_mov_b32_e32 v29, 0
	v_mov_b32_e32 v30, 0
	;; [unrolled: 1-line block ×4, first 2 shown]
	s_mov_b32 s5, s13
	s_mov_b32 s4, 0
	s_branch .LBB10_30
.LBB10_29:                              ;   in Loop: Header=BB10_30 Depth=1
	s_or_b32 exec_lo, exec_lo, s1
	s_waitcnt vmcnt(1) lgkmcnt(0)
	v_mul_f32_e32 v13, v1, v13
	v_mul_f32_e32 v9, v1, v9
	v_mul_f32_e32 v5, v1, v5
	s_waitcnt vmcnt(0)
	v_mul_f32_e32 v1, v1, v17
	v_add_nc_u32_e32 v35, 4, v35
	v_fmac_f32_e32 v13, v2, v14
	v_fmac_f32_e32 v9, v2, v10
	;; [unrolled: 1-line block ×4, first 2 shown]
	v_cmp_le_i32_e32 vcc_lo, s12, v35
	v_fmac_f32_e32 v13, v3, v15
	v_fmac_f32_e32 v9, v3, v11
	;; [unrolled: 1-line block ×4, first 2 shown]
	v_add_co_u32 v21, s1, v21, 16
	v_fmac_f32_e32 v13, v4, v16
	v_fmac_f32_e32 v9, v4, v12
	;; [unrolled: 1-line block ×4, first 2 shown]
	v_add_nc_u32_e32 v33, 32, v33
	v_add_f32_e32 v29, v29, v13
	v_add_f32_e32 v30, v30, v9
	;; [unrolled: 1-line block ×4, first 2 shown]
	v_add_nc_u32_e32 v34, 0x80, v34
	v_add_co_ci_u32_e64 v22, null, 0, v22, s1
	s_or_b32 s4, vcc_lo, s4
	s_andn2_b32 exec_lo, exec_lo, s4
	s_cbranch_execz .LBB10_38
.LBB10_30:                              ; =>This Inner Loop Header: Depth=1
	global_load_dword v1, v[21:22], off
	v_add_nc_u32_e32 v36, -3, v33
	v_add_nc_u32_e32 v38, -2, v33
	;; [unrolled: 1-line block ×3, first 2 shown]
	s_waitcnt vmcnt(0)
	v_mad_i64_i32 v[1:2], null, v1, s5, 0
	v_lshlrev_b64 v[1:2], 2, v[1:2]
	v_add_co_u32 v17, vcc_lo, v31, v1
	v_add_co_ci_u32_e64 v18, null, v32, v2, vcc_lo
	ds_read_b128 v[1:4], v34
	v_cmp_eq_u32_e32 vcc_lo, s3, v35
	global_load_dwordx4 v[5:8], v[17:18], off
	s_and_saveexec_b32 s13, vcc_lo
	s_cbranch_execnz .LBB10_34
; %bb.31:                               ;   in Loop: Header=BB10_30 Depth=1
	s_or_b32 exec_lo, exec_lo, s13
	global_load_dwordx4 v[9:12], v[17:18], off offset:512
	s_and_saveexec_b32 s13, vcc_lo
	s_cbranch_execnz .LBB10_35
.LBB10_32:                              ;   in Loop: Header=BB10_30 Depth=1
	s_or_b32 exec_lo, exec_lo, s13
	global_load_dwordx4 v[13:16], v[17:18], off offset:1024
	s_and_saveexec_b32 s13, vcc_lo
	s_cbranch_execnz .LBB10_36
.LBB10_33:                              ;   in Loop: Header=BB10_30 Depth=1
	s_or_b32 exec_lo, exec_lo, s13
	global_load_dwordx4 v[17:20], v[17:18], off offset:1536
	s_and_saveexec_b32 s1, vcc_lo
	s_cbranch_execz .LBB10_29
	s_branch .LBB10_37
.LBB10_34:                              ;   in Loop: Header=BB10_30 Depth=1
	v_cmp_gt_i32_e64 s1, s11, v36
	s_waitcnt vmcnt(0)
	v_cndmask_b32_e64 v5, 0, v5, s1
	v_cmp_gt_i32_e64 s1, s11, v38
	v_cndmask_b32_e64 v6, 0, v6, s1
	v_cmp_gt_i32_e64 s1, s11, v37
	;; [unrolled: 2-line block ×3, first 2 shown]
	v_cndmask_b32_e64 v8, 0, v8, s1
	s_or_b32 exec_lo, exec_lo, s13
	global_load_dwordx4 v[9:12], v[17:18], off offset:512
	s_and_saveexec_b32 s13, vcc_lo
	s_cbranch_execz .LBB10_32
.LBB10_35:                              ;   in Loop: Header=BB10_30 Depth=1
	v_cmp_gt_i32_e64 s1, s11, v36
	s_waitcnt vmcnt(0)
	v_cndmask_b32_e64 v9, 0, v9, s1
	v_cmp_gt_i32_e64 s1, s11, v38
	v_cndmask_b32_e64 v10, 0, v10, s1
	v_cmp_gt_i32_e64 s1, s11, v37
	;; [unrolled: 2-line block ×3, first 2 shown]
	v_cndmask_b32_e64 v12, 0, v12, s1
	s_or_b32 exec_lo, exec_lo, s13
	global_load_dwordx4 v[13:16], v[17:18], off offset:1024
	s_and_saveexec_b32 s13, vcc_lo
	s_cbranch_execz .LBB10_33
.LBB10_36:                              ;   in Loop: Header=BB10_30 Depth=1
	v_cmp_gt_i32_e64 s1, s11, v36
	s_waitcnt vmcnt(0)
	v_cndmask_b32_e64 v13, 0, v13, s1
	v_cmp_gt_i32_e64 s1, s11, v38
	v_cndmask_b32_e64 v14, 0, v14, s1
	v_cmp_gt_i32_e64 s1, s11, v37
	;; [unrolled: 2-line block ×3, first 2 shown]
	v_cndmask_b32_e64 v16, 0, v16, s1
	s_or_b32 exec_lo, exec_lo, s13
	global_load_dwordx4 v[17:20], v[17:18], off offset:1536
	s_and_saveexec_b32 s1, vcc_lo
	s_cbranch_execz .LBB10_29
.LBB10_37:                              ;   in Loop: Header=BB10_30 Depth=1
	v_cmp_gt_i32_e32 vcc_lo, s11, v36
	s_waitcnt vmcnt(0)
	v_cndmask_b32_e32 v17, 0, v17, vcc_lo
	v_cmp_gt_i32_e32 vcc_lo, s11, v38
	v_cndmask_b32_e32 v18, 0, v18, vcc_lo
	v_cmp_gt_i32_e32 vcc_lo, s11, v37
	;; [unrolled: 2-line block ×3, first 2 shown]
	v_cndmask_b32_e32 v20, 0, v20, vcc_lo
	s_branch .LBB10_29
.LBB10_38:
	s_or_b32 exec_lo, exec_lo, s4
.LBB10_39:
	s_or_b32 exec_lo, exec_lo, s2
	ds_bpermute_b32 v1, v25, v28
	ds_bpermute_b32 v2, v25, v30
	;; [unrolled: 1-line block ×4, first 2 shown]
	v_lshrrev_b32_e32 v5, 1, v24
	v_lshlrev_b32_e32 v7, 8, v23
	v_and_b32_e32 v8, 0x3c1, v0
	s_mov_b32 s1, exec_lo
	s_waitcnt lgkmcnt(0)
	v_lshl_add_u32 v6, v5, 2, 0x120
	s_barrier
	buffer_gl0_inv
	v_add_f32_e32 v1, v28, v1
	v_add_f32_e32 v2, v30, v2
	v_add_f32_e32 v3, v29, v3
	v_add_f32_e32 v4, v27, v4
	v_cmpx_eq_u32_e32 64, v8
	s_cbranch_execz .LBB10_41
; %bb.40:
	v_add_nc_u32_e32 v8, v6, v7
	v_add_nc_u32_e32 v9, 0xfffffe00, v8
	;; [unrolled: 1-line block ×5, first 2 shown]
	ds_write_b32 v9, v1
	ds_write_b32 v10, v2
	;; [unrolled: 1-line block ×4, first 2 shown]
.LBB10_41:
	s_or_b32 exec_lo, exec_lo, s1
	v_lshlrev_b32_e32 v5, 2, v5
	v_cmp_eq_u32_e32 vcc_lo, 0, v26
	s_waitcnt lgkmcnt(0)
	s_barrier
	buffer_gl0_inv
	v_add3_u32 v5, 0x120, v7, v5
	s_and_saveexec_b32 s1, s0
	s_cbranch_execz .LBB10_48
; %bb.42:
	s_and_saveexec_b32 s0, vcc_lo
	s_cbranch_execnz .LBB10_60
; %bb.43:
	s_or_b32 exec_lo, exec_lo, s0
	s_and_saveexec_b32 s0, vcc_lo
	s_cbranch_execnz .LBB10_61
.LBB10_44:
	s_or_b32 exec_lo, exec_lo, s0
	s_and_saveexec_b32 s0, vcc_lo
	s_cbranch_execnz .LBB10_62
.LBB10_45:
	s_or_b32 exec_lo, exec_lo, s0
	s_and_saveexec_b32 s0, vcc_lo
	s_cbranch_execz .LBB10_47
.LBB10_46:
	ds_read_b32 v7, v5 offset:192
	s_waitcnt lgkmcnt(0)
	v_add_f32_e32 v4, v4, v7
.LBB10_47:
	s_or_b32 exec_lo, exec_lo, s0
.LBB10_48:
	s_or_b32 exec_lo, exec_lo, s1
	v_and_b32_e32 v7, 0x3e1, v0
	s_mov_b32 s1, exec_lo
	s_barrier
	buffer_gl0_inv
	v_cmpx_eq_u32_e32 32, v7
	s_cbranch_execz .LBB10_50
; %bb.49:
	ds_write2_b32 v6, v1, v2 offset1:16
	ds_write2_b32 v6, v3, v4 offset0:32 offset1:48
.LBB10_50:
	s_or_b32 exec_lo, exec_lo, s1
	s_mov_b32 s1, exec_lo
	s_waitcnt lgkmcnt(0)
	s_barrier
	buffer_gl0_inv
	v_cmpx_gt_u32_e32 32, v0
	s_cbranch_execz .LBB10_57
; %bb.51:
	s_and_saveexec_b32 s0, vcc_lo
	s_cbranch_execnz .LBB10_63
; %bb.52:
	s_or_b32 exec_lo, exec_lo, s0
	s_and_saveexec_b32 s0, vcc_lo
	s_cbranch_execnz .LBB10_64
.LBB10_53:
	s_or_b32 exec_lo, exec_lo, s0
	s_and_saveexec_b32 s0, vcc_lo
	s_cbranch_execnz .LBB10_65
.LBB10_54:
	s_or_b32 exec_lo, exec_lo, s0
	s_and_saveexec_b32 s0, vcc_lo
	s_cbranch_execz .LBB10_56
.LBB10_55:
	ds_read_b32 v5, v5 offset:192
	s_waitcnt lgkmcnt(0)
	v_add_f32_e32 v4, v4, v5
.LBB10_56:
	s_or_b32 exec_lo, exec_lo, s0
.LBB10_57:
	s_or_b32 exec_lo, exec_lo, s1
	s_barrier
	buffer_gl0_inv
	s_mov_b32 s0, exec_lo
	v_cmpx_eq_u32_e32 0, v7
	s_cbranch_execz .LBB10_59
; %bb.58:
	s_mul_i32 s0, s10, s7
	s_mul_i32 s2, s7, s6
	;; [unrolled: 1-line block ×3, first 2 shown]
	v_lshlrev_b32_e32 v0, 1, v0
	s_lshl_b32 s0, s0, 6
	s_ashr_i32 s1, s0, 31
	s_lshl_b64 s[0:1], s[0:1], 2
	s_add_u32 s4, s16, s0
	s_addc_u32 s5, s17, s1
	s_ashr_i32 s3, s2, 31
	s_lshl_b64 s[0:1], s[2:3], 2
	s_add_u32 s2, s4, s0
	s_addc_u32 s3, s5, s1
	s_lshl_b32 s0, s8, 6
	s_ashr_i32 s1, s0, 31
	s_lshl_b64 s[0:1], s[0:1], 2
	s_add_u32 s0, s2, s0
	s_addc_u32 s1, s3, s1
	global_store_dword v0, v1, s[0:1]
	global_store_dword v0, v2, s[0:1] offset:64
	global_store_dword v0, v3, s[0:1] offset:128
	;; [unrolled: 1-line block ×3, first 2 shown]
.LBB10_59:
	s_endpgm
.LBB10_60:
	ds_read_b32 v7, v5
	s_waitcnt lgkmcnt(0)
	v_add_f32_e32 v1, v1, v7
	s_or_b32 exec_lo, exec_lo, s0
	s_and_saveexec_b32 s0, vcc_lo
	s_cbranch_execz .LBB10_44
.LBB10_61:
	ds_read_b32 v7, v5 offset:64
	s_waitcnt lgkmcnt(0)
	v_add_f32_e32 v2, v2, v7
	s_or_b32 exec_lo, exec_lo, s0
	s_and_saveexec_b32 s0, vcc_lo
	s_cbranch_execz .LBB10_45
.LBB10_62:
	ds_read_b32 v7, v5 offset:128
	s_waitcnt lgkmcnt(0)
	v_add_f32_e32 v3, v3, v7
	s_or_b32 exec_lo, exec_lo, s0
	s_and_saveexec_b32 s0, vcc_lo
	s_cbranch_execnz .LBB10_46
	s_branch .LBB10_47
.LBB10_63:
	ds_read_b32 v6, v5
	s_waitcnt lgkmcnt(0)
	v_add_f32_e32 v1, v1, v6
	s_or_b32 exec_lo, exec_lo, s0
	s_and_saveexec_b32 s0, vcc_lo
	s_cbranch_execz .LBB10_53
.LBB10_64:
	ds_read_b32 v6, v5 offset:64
	s_waitcnt lgkmcnt(0)
	v_add_f32_e32 v2, v2, v6
	s_or_b32 exec_lo, exec_lo, s0
	s_and_saveexec_b32 s0, vcc_lo
	s_cbranch_execz .LBB10_54
.LBB10_65:
	ds_read_b32 v6, v5 offset:128
	s_waitcnt lgkmcnt(0)
	v_add_f32_e32 v3, v3, v6
	s_or_b32 exec_lo, exec_lo, s0
	s_and_saveexec_b32 s0, vcc_lo
	s_cbranch_execnz .LBB10_55
	s_branch .LBB10_56
	.section	.rodata,"a",@progbits
	.p2align	6, 0x0
	.amdhsa_kernel _ZN4vllm25paged_attention_v1_kernelIffLi64ELi8ELi128ELNS_18Fp8KVCacheDataTypeE0ELb0EEEvPT_PKS2_PKT0_S8_ifPKiSA_iPKfiiiSC_SC_iiiii
		.amdhsa_group_segment_fixed_size 288
		.amdhsa_private_segment_fixed_size 0
		.amdhsa_kernarg_size 384
		.amdhsa_user_sgpr_count 6
		.amdhsa_user_sgpr_private_segment_buffer 1
		.amdhsa_user_sgpr_dispatch_ptr 0
		.amdhsa_user_sgpr_queue_ptr 0
		.amdhsa_user_sgpr_kernarg_segment_ptr 1
		.amdhsa_user_sgpr_dispatch_id 0
		.amdhsa_user_sgpr_flat_scratch_init 0
		.amdhsa_user_sgpr_private_segment_size 0
		.amdhsa_wavefront_size32 1
		.amdhsa_uses_dynamic_stack 0
		.amdhsa_system_sgpr_private_segment_wavefront_offset 0
		.amdhsa_system_sgpr_workgroup_id_x 1
		.amdhsa_system_sgpr_workgroup_id_y 1
		.amdhsa_system_sgpr_workgroup_id_z 1
		.amdhsa_system_sgpr_workgroup_info 0
		.amdhsa_system_vgpr_workitem_id 0
		.amdhsa_next_free_vgpr 50
		.amdhsa_next_free_sgpr 30
		.amdhsa_reserve_vcc 1
		.amdhsa_reserve_flat_scratch 0
		.amdhsa_float_round_mode_32 0
		.amdhsa_float_round_mode_16_64 0
		.amdhsa_float_denorm_mode_32 3
		.amdhsa_float_denorm_mode_16_64 3
		.amdhsa_dx10_clamp 1
		.amdhsa_ieee_mode 1
		.amdhsa_fp16_overflow 0
		.amdhsa_workgroup_processor_mode 1
		.amdhsa_memory_ordered 1
		.amdhsa_forward_progress 1
		.amdhsa_shared_vgpr_count 0
		.amdhsa_exception_fp_ieee_invalid_op 0
		.amdhsa_exception_fp_denorm_src 0
		.amdhsa_exception_fp_ieee_div_zero 0
		.amdhsa_exception_fp_ieee_overflow 0
		.amdhsa_exception_fp_ieee_underflow 0
		.amdhsa_exception_fp_ieee_inexact 0
		.amdhsa_exception_int_div_zero 0
	.end_amdhsa_kernel
	.section	.text._ZN4vllm25paged_attention_v1_kernelIffLi64ELi8ELi128ELNS_18Fp8KVCacheDataTypeE0ELb0EEEvPT_PKS2_PKT0_S8_ifPKiSA_iPKfiiiSC_SC_iiiii,"axG",@progbits,_ZN4vllm25paged_attention_v1_kernelIffLi64ELi8ELi128ELNS_18Fp8KVCacheDataTypeE0ELb0EEEvPT_PKS2_PKT0_S8_ifPKiSA_iPKfiiiSC_SC_iiiii,comdat
.Lfunc_end10:
	.size	_ZN4vllm25paged_attention_v1_kernelIffLi64ELi8ELi128ELNS_18Fp8KVCacheDataTypeE0ELb0EEEvPT_PKS2_PKT0_S8_ifPKiSA_iPKfiiiSC_SC_iiiii, .Lfunc_end10-_ZN4vllm25paged_attention_v1_kernelIffLi64ELi8ELi128ELNS_18Fp8KVCacheDataTypeE0ELb0EEEvPT_PKS2_PKT0_S8_ifPKiSA_iPKfiiiSC_SC_iiiii
                                        ; -- End function
	.set _ZN4vllm25paged_attention_v1_kernelIffLi64ELi8ELi128ELNS_18Fp8KVCacheDataTypeE0ELb0EEEvPT_PKS2_PKT0_S8_ifPKiSA_iPKfiiiSC_SC_iiiii.num_vgpr, 50
	.set _ZN4vllm25paged_attention_v1_kernelIffLi64ELi8ELi128ELNS_18Fp8KVCacheDataTypeE0ELb0EEEvPT_PKS2_PKT0_S8_ifPKiSA_iPKfiiiSC_SC_iiiii.num_agpr, 0
	.set _ZN4vllm25paged_attention_v1_kernelIffLi64ELi8ELi128ELNS_18Fp8KVCacheDataTypeE0ELb0EEEvPT_PKS2_PKT0_S8_ifPKiSA_iPKfiiiSC_SC_iiiii.numbered_sgpr, 30
	.set _ZN4vllm25paged_attention_v1_kernelIffLi64ELi8ELi128ELNS_18Fp8KVCacheDataTypeE0ELb0EEEvPT_PKS2_PKT0_S8_ifPKiSA_iPKfiiiSC_SC_iiiii.num_named_barrier, 0
	.set _ZN4vllm25paged_attention_v1_kernelIffLi64ELi8ELi128ELNS_18Fp8KVCacheDataTypeE0ELb0EEEvPT_PKS2_PKT0_S8_ifPKiSA_iPKfiiiSC_SC_iiiii.private_seg_size, 0
	.set _ZN4vllm25paged_attention_v1_kernelIffLi64ELi8ELi128ELNS_18Fp8KVCacheDataTypeE0ELb0EEEvPT_PKS2_PKT0_S8_ifPKiSA_iPKfiiiSC_SC_iiiii.uses_vcc, 1
	.set _ZN4vllm25paged_attention_v1_kernelIffLi64ELi8ELi128ELNS_18Fp8KVCacheDataTypeE0ELb0EEEvPT_PKS2_PKT0_S8_ifPKiSA_iPKfiiiSC_SC_iiiii.uses_flat_scratch, 0
	.set _ZN4vllm25paged_attention_v1_kernelIffLi64ELi8ELi128ELNS_18Fp8KVCacheDataTypeE0ELb0EEEvPT_PKS2_PKT0_S8_ifPKiSA_iPKfiiiSC_SC_iiiii.has_dyn_sized_stack, 0
	.set _ZN4vllm25paged_attention_v1_kernelIffLi64ELi8ELi128ELNS_18Fp8KVCacheDataTypeE0ELb0EEEvPT_PKS2_PKT0_S8_ifPKiSA_iPKfiiiSC_SC_iiiii.has_recursion, 0
	.set _ZN4vllm25paged_attention_v1_kernelIffLi64ELi8ELi128ELNS_18Fp8KVCacheDataTypeE0ELb0EEEvPT_PKS2_PKT0_S8_ifPKiSA_iPKfiiiSC_SC_iiiii.has_indirect_call, 0
	.section	.AMDGPU.csdata,"",@progbits
; Kernel info:
; codeLenInByte = 3760
; TotalNumSgprs: 32
; NumVgprs: 50
; ScratchSize: 0
; MemoryBound: 0
; FloatMode: 240
; IeeeMode: 1
; LDSByteSize: 288 bytes/workgroup (compile time only)
; SGPRBlocks: 0
; VGPRBlocks: 6
; NumSGPRsForWavesPerEU: 32
; NumVGPRsForWavesPerEU: 50
; Occupancy: 16
; WaveLimiterHint : 1
; COMPUTE_PGM_RSRC2:SCRATCH_EN: 0
; COMPUTE_PGM_RSRC2:USER_SGPR: 6
; COMPUTE_PGM_RSRC2:TRAP_HANDLER: 0
; COMPUTE_PGM_RSRC2:TGID_X_EN: 1
; COMPUTE_PGM_RSRC2:TGID_Y_EN: 1
; COMPUTE_PGM_RSRC2:TGID_Z_EN: 1
; COMPUTE_PGM_RSRC2:TIDIG_COMP_CNT: 0
	.section	.text._ZN4vllm25paged_attention_v1_kernelIffLi80ELi8ELi128ELNS_18Fp8KVCacheDataTypeE0ELb0EEEvPT_PKS2_PKT0_S8_ifPKiSA_iPKfiiiSC_SC_iiiii,"axG",@progbits,_ZN4vllm25paged_attention_v1_kernelIffLi80ELi8ELi128ELNS_18Fp8KVCacheDataTypeE0ELb0EEEvPT_PKS2_PKT0_S8_ifPKiSA_iPKfiiiSC_SC_iiiii,comdat
	.protected	_ZN4vllm25paged_attention_v1_kernelIffLi80ELi8ELi128ELNS_18Fp8KVCacheDataTypeE0ELb0EEEvPT_PKS2_PKT0_S8_ifPKiSA_iPKfiiiSC_SC_iiiii ; -- Begin function _ZN4vllm25paged_attention_v1_kernelIffLi80ELi8ELi128ELNS_18Fp8KVCacheDataTypeE0ELb0EEEvPT_PKS2_PKT0_S8_ifPKiSA_iPKfiiiSC_SC_iiiii
	.globl	_ZN4vllm25paged_attention_v1_kernelIffLi80ELi8ELi128ELNS_18Fp8KVCacheDataTypeE0ELb0EEEvPT_PKS2_PKT0_S8_ifPKiSA_iPKfiiiSC_SC_iiiii
	.p2align	8
	.type	_ZN4vllm25paged_attention_v1_kernelIffLi80ELi8ELi128ELNS_18Fp8KVCacheDataTypeE0ELb0EEEvPT_PKS2_PKT0_S8_ifPKiSA_iPKfiiiSC_SC_iiiii,@function
_ZN4vllm25paged_attention_v1_kernelIffLi80ELi8ELi128ELNS_18Fp8KVCacheDataTypeE0ELb0EEEvPT_PKS2_PKT0_S8_ifPKiSA_iPKfiiiSC_SC_iiiii: ; @_ZN4vllm25paged_attention_v1_kernelIffLi80ELi8ELi128ELNS_18Fp8KVCacheDataTypeE0ELb0EEEvPT_PKS2_PKT0_S8_ifPKiSA_iPKfiiiSC_SC_iiiii
; %bb.0:
	s_clause 0x2
	s_load_dword s9, s[4:5], 0x80
	s_load_dwordx2 s[0:1], s[4:5], 0x30
	s_load_dwordx2 s[24:25], s[4:5], 0x20
	s_mov_b32 s10, s7
	s_ashr_i32 s11, s7, 31
	s_lshl_b64 s[2:3], s[10:11], 2
	s_waitcnt lgkmcnt(0)
	s_add_u32 s0, s0, s2
	s_addc_u32 s1, s1, s3
	s_abs_i32 s2, s24
	s_abs_i32 s11, s9
	v_cvt_f32_u32_e32 v1, s2
	s_sub_i32 s7, 0, s2
	v_rcp_iflag_f32_e32 v1, v1
	v_mul_f32_e32 v1, 0x4f7ffffe, v1
	v_cvt_u32_f32_e32 v1, v1
	v_readfirstlane_b32 s3, v1
	s_mul_i32 s7, s7, s3
	s_mul_hi_u32 s7, s3, s7
	s_add_i32 s3, s3, s7
	s_xor_b32 s7, s9, s24
	s_mul_hi_u32 s3, s11, s3
	s_ashr_i32 s7, s7, 31
	s_mul_i32 s12, s3, s2
	s_mov_b32 s24, 0
	s_sub_i32 s11, s11, s12
	s_add_i32 s12, s3, 1
	s_sub_i32 s13, s11, s2
	s_cmp_ge_u32 s11, s2
	s_cselect_b32 s3, s12, s3
	s_cselect_b32 s11, s13, s11
	s_add_i32 s12, s3, 1
	s_cmp_ge_u32 s11, s2
	s_cselect_b32 s2, s12, s3
	s_abs_i32 s17, s6
	s_xor_b32 s2, s2, s7
	s_sub_i32 s18, s2, s7
	s_load_dwordx2 s[2:3], s[4:5], 0x40
	s_abs_i32 s16, s18
	v_cvt_f32_u32_e32 v1, s16
	s_sub_i32 s11, 0, s16
	v_rcp_iflag_f32_e32 v1, v1
	v_mul_f32_e32 v1, 0x4f7ffffe, v1
	v_cvt_u32_f32_e32 v1, v1
	v_readfirstlane_b32 s7, v1
	s_mul_i32 s11, s11, s7
	s_mul_hi_u32 s11, s7, s11
	s_add_i32 s7, s7, s11
	s_waitcnt lgkmcnt(0)
	s_cmp_eq_u64 s[2:3], 0
	s_mul_hi_u32 s20, s17, s7
	s_cbranch_scc1 .LBB11_2
; %bb.1:
	s_ashr_i32 s7, s6, 31
	s_lshl_b64 s[12:13], s[6:7], 2
	s_add_u32 s2, s2, s12
	s_addc_u32 s3, s3, s13
	s_load_dword s24, s[2:3], 0x0
.LBB11_2:
	s_load_dword s11, s[0:1], 0x0
	s_load_dwordx4 s[12:15], s[4:5], 0x48
	v_and_b32_e32 v21, 3, v0
	v_lshlrev_b32_e32 v23, 2, v0
	s_ashr_i32 s0, s6, 31
	s_ashr_i32 s1, s18, 31
	s_mulk_i32 s6, 0x50
	s_mov_b32 s2, exec_lo
	v_cmpx_gt_u32_e32 0x50, v0
	s_cbranch_execz .LBB11_4
; %bb.3:
	s_load_dwordx2 s[18:19], s[4:5], 0x8
	s_waitcnt lgkmcnt(0)
	s_mul_i32 s22, s12, s10
	v_and_b32_e32 v2, 0x3fc, v0
	s_ashr_i32 s23, s22, 31
	s_lshl_b64 s[22:23], s[22:23], 2
	v_mad_u32_u24 v2, 0x50, v21, v2
	s_add_u32 s3, s18, s22
	s_addc_u32 s12, s19, s23
	s_ashr_i32 s7, s6, 31
	s_lshl_b64 s[18:19], s[6:7], 2
	s_add_u32 s18, s3, s18
	s_addc_u32 s19, s12, s19
	global_load_dword v1, v23, s[18:19]
	s_waitcnt vmcnt(0)
	ds_write_b32 v2, v1
.LBB11_4:
	s_or_b32 exec_lo, exec_lo, s2
	s_waitcnt lgkmcnt(0)
	s_add_i32 s2, s11, 7
	s_clause 0x1
	s_load_dwordx2 s[18:19], s[4:5], 0x28
	s_load_dword s7, s[4:5], 0x38
	s_ashr_i32 s3, s2, 31
	s_xor_b32 s0, s0, s1
	s_lshr_b32 s3, s3, 29
	s_mul_i32 s1, s20, s16
	s_add_i32 s2, s2, s3
	s_sub_i32 s1, s17, s1
	s_ashr_i32 s12, s2, 3
	s_add_i32 s2, s20, 1
	s_sub_i32 s3, s1, s16
	s_cmp_ge_u32 s1, s16
	v_lshrrev_b32_e32 v27, 5, v0
	s_cselect_b32 s2, s2, s20
	s_cselect_b32 s1, s3, s1
	s_add_i32 s3, s2, 1
	s_cmp_ge_u32 s1, s16
	v_mbcnt_lo_u32_b32 v25, -1, 0
	s_cselect_b32 s1, s3, s2
	s_mov_b32 s2, exec_lo
	s_xor_b32 s1, s1, s0
	s_waitcnt lgkmcnt(0)
	s_mul_i32 s20, s7, s10
	s_sub_i32 s1, s1, s0
	v_cmp_gt_i32_e64 s0, s12, v27
	s_ashr_i32 s21, s20, 31
	s_barrier
	buffer_gl0_inv
                                        ; implicit-def: $vgpr26
                                        ; implicit-def: $vgpr29
	v_cmpx_le_i32_e64 s12, v27
	s_xor_b32 s2, exec_lo, s2
; %bb.5:
	v_mov_b32_e32 v26, 0
	v_mbcnt_lo_u32_b32 v25, -1, 0
	v_mov_b32_e32 v29, 32
                                        ; implicit-def: $vgpr21
; %bb.6:
	s_or_saveexec_b32 s26, s2
	s_clause 0x2
	s_load_dwordx2 s[16:17], s[4:5], 0x0
	s_load_dwordx2 s[22:23], s[4:5], 0x18
	s_load_dword s7, s[4:5], 0x88
	v_mov_b32_e32 v28, 0xff7fffff
	v_lshrrev_b32_e32 v24, 3, v0
	s_mul_i32 s14, s1, s14
	s_xor_b32 exec_lo, exec_lo, s26
	s_cbranch_execz .LBB11_12
; %bb.7:
	s_load_dwordx2 s[2:3], s[4:5], 0x10
	v_bfe_u32 v22, v0, 2, 3
	v_xor_b32_e32 v19, 2, v25
	s_ashr_i32 s15, s14, 31
	v_xor_b32_e32 v20, 1, v25
	s_lshl_b64 s[4:5], s[14:15], 2
	v_lshlrev_b32_e32 v29, 4, v22
	v_cmp_gt_i32_e32 vcc_lo, 32, v19
	v_mul_u32_u24_e32 v18, 0x50, v21
	v_lshlrev_b32_e32 v17, 2, v21
	ds_read_b128 v[1:4], v18
	ds_read_b128 v[5:8], v18 offset:16
	ds_read_b128 v[9:12], v18 offset:32
	;; [unrolled: 1-line block ×3, first 2 shown]
	v_cndmask_b32_e32 v32, v25, v19, vcc_lo
	v_cmp_gt_i32_e32 vcc_lo, 32, v20
	v_lshlrev_b32_e32 v28, 2, v22
	v_lshl_or_b32 v34, v27, 3, v22
	v_and_b32_e32 v22, 0x7c, v24
	v_mov_b32_e32 v26, 0
	s_waitcnt lgkmcnt(0)
	s_add_u32 s1, s2, s4
	v_cndmask_b32_e32 v33, v25, v20, vcc_lo
	v_add_co_u32 v19, s1, s1, v29
	s_addc_u32 s2, s3, s5
	s_sub_i32 s4, 1, s11
	v_add_co_ci_u32_e64 v29, null, s2, 0, s1
	v_add_co_u32 v30, vcc_lo, v19, v17
	ds_read_b128 v[17:20], v18 offset:64
	v_add_co_ci_u32_e64 v31, null, 0, v29, vcc_lo
	v_cmp_eq_u32_e32 vcc_lo, 0, v21
	v_lshl_or_b32 v21, v27, 5, v28
	s_lshl_b64 s[2:3], s[20:21], 2
	v_mov_b32_e32 v29, 32
	s_add_u32 s2, s18, s2
	s_addc_u32 s3, s19, s3
	v_add_nc_u32_e32 v35, 0x160, v21
	v_add_co_u32 v21, s2, s2, v22
	v_lshlrev_b32_e32 v32, 2, v32
	v_lshlrev_b32_e32 v33, 2, v33
	v_cmp_neq_f32_e64 s1, s24, 0
	v_add_co_ci_u32_e64 v22, null, s3, 0, s2
	v_mov_b32_e32 v28, 0xff7fffff
	v_mov_b32_e32 v36, v27
	s_mov_b32 s15, s13
	s_mov_b32 s5, 0
	s_branch .LBB11_9
.LBB11_8:                               ;   in Loop: Header=BB11_9 Depth=1
	s_or_b32 exec_lo, exec_lo, s3
	v_add_nc_u32_e32 v36, 4, v36
	v_add_co_u32 v21, s3, v21, 16
	v_add_nc_u32_e32 v34, 32, v34
	v_add_nc_u32_e32 v35, 0x80, v35
	v_cmp_le_i32_e64 s2, s12, v36
	v_add_co_ci_u32_e64 v22, null, 0, v22, s3
	s_or_b32 s5, s2, s5
	s_andn2_b32 exec_lo, exec_lo, s5
	s_cbranch_execz .LBB11_11
.LBB11_9:                               ; =>This Inner Loop Header: Depth=1
	global_load_dword v37, v[21:22], off
	s_waitcnt vmcnt(0) lgkmcnt(0)
	v_mad_i64_i32 v[37:38], null, v37, s15, 0
	v_lshlrev_b64 v[37:38], 2, v[37:38]
	v_add_co_u32 v37, s2, v30, v37
	v_add_co_ci_u32_e64 v38, null, v31, v38, s2
	s_clause 0xf
	global_load_dword v39, v[37:38], off offset:128
	global_load_dword v40, v[37:38], off
	global_load_dword v41, v[37:38], off offset:256
	global_load_dword v42, v[37:38], off offset:384
	;; [unrolled: 1-line block ×14, first 2 shown]
	v_add_co_u32 v37, s2, 0x800, v37
	v_add_co_ci_u32_e64 v38, null, 0, v38, s2
	s_clause 0x3
	global_load_dword v55, v[37:38], off
	global_load_dword v56, v[37:38], off offset:128
	global_load_dword v57, v[37:38], off offset:256
	;; [unrolled: 1-line block ×3, first 2 shown]
	s_waitcnt vmcnt(19)
	v_mul_f32_e32 v38, v2, v39
	s_waitcnt vmcnt(18)
	v_fmac_f32_e32 v38, v1, v40
	s_waitcnt vmcnt(17)
	v_fmac_f32_e32 v38, v3, v41
	;; [unrolled: 2-line block ×15, first 2 shown]
	s_waitcnt vmcnt(3) lgkmcnt(0)
	v_fmac_f32_e32 v38, v17, v55
	s_waitcnt vmcnt(2)
	v_fmac_f32_e32 v38, v18, v56
	s_waitcnt vmcnt(1)
	;; [unrolled: 2-line block ×3, first 2 shown]
	v_fmac_f32_e32 v38, v20, v37
	ds_bpermute_b32 v37, v32, v38
	s_waitcnt lgkmcnt(0)
	v_add_f32_e32 v37, v38, v37
	ds_bpermute_b32 v38, v33, v37
	s_and_saveexec_b32 s3, vcc_lo
	s_cbranch_execz .LBB11_8
; %bb.10:                               ;   in Loop: Header=BB11_9 Depth=1
	v_add_nc_u32_e32 v39, s4, v34
	s_waitcnt lgkmcnt(0)
	v_add_f32_e32 v37, v37, v38
	v_cmp_gt_i32_e64 s2, s11, v34
	v_cvt_f32_i32_e32 v39, v39
	v_mul_f32_e32 v39, s24, v39
	v_cndmask_b32_e64 v38, 0, v39, s1
	v_max_f32_e32 v39, v28, v28
	v_fmac_f32_e32 v38, s25, v37
	v_max_f32_e32 v37, v39, v38
	v_cndmask_b32_e64 v38, 0, v38, s2
	v_cndmask_b32_e64 v28, v28, v37, s2
	ds_write_b32 v35, v38
	s_branch .LBB11_8
.LBB11_11:
	s_or_b32 exec_lo, exec_lo, s5
.LBB11_12:
	s_or_b32 exec_lo, exec_lo, s26
	v_xor_b32_e32 v1, 16, v25
	v_xor_b32_e32 v3, 8, v25
	v_max_f32_e32 v4, v28, v28
	v_xor_b32_e32 v5, 4, v25
	v_cmp_lt_i32_e32 vcc_lo, v1, v29
	v_cndmask_b32_e32 v1, v25, v1, vcc_lo
	v_cmp_lt_i32_e32 vcc_lo, v3, v29
	v_lshlrev_b32_e32 v2, 2, v1
	v_cndmask_b32_e32 v3, v25, v3, vcc_lo
	v_cmp_lt_i32_e32 vcc_lo, v5, v29
	ds_bpermute_b32 v1, v2, v28
	v_lshlrev_b32_e32 v3, 2, v3
	v_cndmask_b32_e32 v5, v25, v5, vcc_lo
	v_and_b32_e32 v28, 31, v0
	v_lshlrev_b32_e32 v6, 2, v5
	v_cmp_eq_u32_e32 vcc_lo, 0, v28
	s_waitcnt lgkmcnt(0)
	v_max_f32_e32 v1, v1, v1
	v_max_f32_e32 v1, v4, v1
	ds_bpermute_b32 v4, v3, v1
	s_waitcnt lgkmcnt(0)
	v_max_f32_e32 v4, v4, v4
	v_max_f32_e32 v1, v1, v4
	v_lshlrev_b32_e32 v4, 2, v27
	ds_bpermute_b32 v5, v6, v1
	s_and_saveexec_b32 s1, vcc_lo
	s_cbranch_execz .LBB11_14
; %bb.13:
	s_waitcnt lgkmcnt(0)
	v_max_f32_e32 v5, v5, v5
	v_max_f32_e32 v1, v1, v1
	;; [unrolled: 1-line block ×3, first 2 shown]
	ds_write_b32 v4, v1 offset:320
.LBB11_14:
	s_or_b32 exec_lo, exec_lo, s1
	v_cmp_gt_u32_e64 s1, 4, v28
	v_mov_b32_e32 v1, 0xff7fffff
	s_waitcnt lgkmcnt(0)
	v_lshlrev_b32_e32 v5, 2, v28
	s_barrier
	buffer_gl0_inv
	s_and_saveexec_b32 s2, s1
; %bb.15:
	ds_read_b32 v1, v5 offset:320
; %bb.16:
	s_or_b32 exec_lo, exec_lo, s2
	v_xor_b32_e32 v7, 2, v25
	v_xor_b32_e32 v9, 1, v25
	v_cmp_lt_i32_e64 s2, v7, v29
	v_cndmask_b32_e64 v7, v25, v7, s2
	v_cmp_lt_i32_e64 s2, v9, v29
	v_lshlrev_b32_e32 v7, 2, v7
	v_cndmask_b32_e64 v9, v25, v9, s2
	s_lshl_b32 s2, s12, 3
	s_min_i32 s4, s2, s11
	s_waitcnt lgkmcnt(0)
	ds_bpermute_b32 v8, v7, v1
	v_max_f32_e32 v1, v1, v1
	v_lshlrev_b32_e32 v29, 2, v9
	v_cmp_gt_i32_e64 s2, s4, v0
	s_waitcnt lgkmcnt(0)
	v_max_f32_e32 v8, v8, v8
	v_max_f32_e32 v1, v1, v8
	ds_bpermute_b32 v8, v29, v1
	s_waitcnt lgkmcnt(0)
	v_max_f32_e32 v8, v8, v8
	v_max_f32_e32 v1, v1, v8
	v_lshlrev_b32_e32 v8, 2, v26
	ds_bpermute_b32 v9, v8, v1
	v_mov_b32_e32 v8, 0
	v_lshl_add_u32 v1, v0, 2, 0x160
	s_and_saveexec_b32 s5, s2
	s_cbranch_execz .LBB11_20
; %bb.17:
	v_lshl_add_u32 v10, v0, 2, 0x160
	v_mov_b32_e32 v8, 0
	v_mov_b32_e32 v11, v0
	s_mov_b32 s15, 0
	.p2align	6
.LBB11_18:                              ; =>This Inner Loop Header: Depth=1
	ds_read_b32 v12, v10
	v_add_nc_u32_e32 v11, 0x80, v11
	v_cmp_le_i32_e64 s3, s4, v11
	s_or_b32 s15, s3, s15
	s_waitcnt lgkmcnt(0)
	v_sub_f32_e32 v12, v12, v9
	v_mul_f32_e32 v12, 0x3fb8aa3b, v12
	v_exp_f32_e32 v12, v12
	ds_write_b32 v10, v12
	v_add_f32_e32 v8, v8, v12
	v_add_nc_u32_e32 v10, 0x200, v10
	s_andn2_b32 exec_lo, exec_lo, s15
	s_cbranch_execnz .LBB11_18
; %bb.19:
	s_or_b32 exec_lo, exec_lo, s15
.LBB11_20:
	s_or_b32 exec_lo, exec_lo, s5
	ds_bpermute_b32 v2, v2, v8
	s_waitcnt lgkmcnt(0)
	v_add_f32_e32 v2, v8, v2
	ds_bpermute_b32 v3, v3, v2
	s_waitcnt lgkmcnt(0)
	v_add_f32_e32 v2, v2, v3
	;; [unrolled: 3-line block ×5, first 2 shown]
	s_and_saveexec_b32 s3, vcc_lo
; %bb.21:
	ds_write_b32 v4, v2 offset:336
; %bb.22:
	s_or_b32 exec_lo, exec_lo, s3
	s_waitcnt lgkmcnt(0)
	s_barrier
	buffer_gl0_inv
	s_and_saveexec_b32 s3, s1
; %bb.23:
	ds_read_b32 v2, v5 offset:336
; %bb.24:
	s_or_b32 exec_lo, exec_lo, s3
	s_waitcnt lgkmcnt(0)
	ds_bpermute_b32 v3, v7, v2
	v_lshlrev_b32_e32 v4, 2, v25
	s_waitcnt lgkmcnt(0)
	v_add_f32_e32 v2, v2, v3
	ds_bpermute_b32 v3, v29, v2
	s_waitcnt lgkmcnt(0)
	v_add_f32_e32 v2, v2, v3
	v_and_b32_e32 v3, 0xffffff80, v4
	ds_bpermute_b32 v2, v3, v2
	s_and_saveexec_b32 s1, s2
	s_cbranch_execz .LBB11_27
; %bb.25:
	s_waitcnt lgkmcnt(0)
	v_add_f32_e32 v2, 0x358637bd, v2
	s_mov_b32 s2, 0
	v_div_scale_f32 v3, null, v2, v2, 1.0
	v_div_scale_f32 v6, vcc_lo, 1.0, v2, 1.0
	v_rcp_f32_e32 v4, v3
	v_fma_f32 v5, -v3, v4, 1.0
	v_fmac_f32_e32 v4, v5, v4
	v_mul_f32_e32 v5, v6, v4
	v_fma_f32 v7, -v3, v5, v6
	v_fmac_f32_e32 v5, v7, v4
	v_fma_f32 v3, -v3, v5, v6
	v_div_fmas_f32 v3, v3, v4, v5
	v_div_fixup_f32 v2, v3, v2, 1.0
	v_mov_b32_e32 v3, v0
.LBB11_26:                              ; =>This Inner Loop Header: Depth=1
	ds_read_b32 v4, v1
	v_add_nc_u32_e32 v3, 0x80, v3
	v_cmp_le_i32_e32 vcc_lo, s4, v3
	s_or_b32 s2, vcc_lo, s2
	s_waitcnt lgkmcnt(0)
	v_mul_f32_e32 v4, v2, v4
	ds_write_b32 v1, v4
	v_add_nc_u32_e32 v1, 0x200, v1
	s_andn2_b32 exec_lo, exec_lo, s2
	s_cbranch_execnz .LBB11_26
.LBB11_27:
	s_or_b32 exec_lo, exec_lo, s1
	v_mov_b32_e32 v33, 0
	v_and_b32_e32 v30, 1, v0
	v_mov_b32_e32 v35, 0
	v_mov_b32_e32 v34, 0
	;; [unrolled: 1-line block ×4, first 2 shown]
	s_waitcnt lgkmcnt(0)
	s_barrier
	buffer_gl0_inv
	s_and_saveexec_b32 s1, s0
	s_cbranch_execz .LBB11_41
; %bb.28:
	v_lshlrev_b32_e32 v2, 4, v0
	s_ashr_i32 s15, s14, 31
	v_and_b32_e32 v1, 4, v23
	v_lshlrev_b32_e32 v4, 3, v27
	s_lshl_b64 s[2:3], s[14:15], 2
	v_and_b32_e32 v2, 0x1f0, v2
	v_lshlrev_b32_e32 v3, 4, v30
	s_add_u32 s0, s22, s2
	v_or3_b32 v38, v4, v1, 3
	v_and_b32_e32 v1, 0x7c, v24
	s_addc_u32 s3, s23, s3
	v_add_co_u32 v36, s0, s0, v2
	s_lshl_b64 s[4:5], s[20:21], 2
	s_add_i32 s2, s12, -1
	v_lshl_or_b32 v3, v27, 5, v3
	v_add_co_ci_u32_e64 v37, null, s3, 0, s0
	s_add_u32 s0, s18, s4
	s_addc_u32 s3, s19, s5
	v_add_co_u32 v25, s0, s0, v1
	v_mov_b32_e32 v31, 0
	v_add_nc_u32_e32 v39, 0x160, v3
	v_add_co_ci_u32_e64 v26, null, s3, 0, s0
	v_mov_b32_e32 v32, 0
	v_mov_b32_e32 v34, 0
	;; [unrolled: 1-line block ×5, first 2 shown]
	s_mov_b32 s4, s13
	s_mov_b32 s3, 0
	s_branch .LBB11_30
.LBB11_29:                              ;   in Loop: Header=BB11_30 Depth=1
	s_or_b32 exec_lo, exec_lo, s0
	s_waitcnt vmcnt(1) lgkmcnt(0)
	v_mul_f32_e32 v17, v1, v17
	v_mul_f32_e32 v13, v1, v13
	;; [unrolled: 1-line block ×4, first 2 shown]
	s_waitcnt vmcnt(0)
	v_mul_f32_e32 v1, v1, v21
	v_fmac_f32_e32 v17, v2, v18
	v_fmac_f32_e32 v13, v2, v14
	;; [unrolled: 1-line block ×10, first 2 shown]
	v_add_nc_u32_e32 v40, 4, v40
	v_fmac_f32_e32 v17, v4, v20
	v_fmac_f32_e32 v13, v4, v16
	;; [unrolled: 1-line block ×5, first 2 shown]
	v_cmp_le_i32_e32 vcc_lo, s12, v40
	v_add_co_u32 v25, s0, v25, 16
	v_add_f32_e32 v32, v32, v17
	v_add_f32_e32 v34, v34, v13
	;; [unrolled: 1-line block ×5, first 2 shown]
	v_add_nc_u32_e32 v38, 32, v38
	v_add_nc_u32_e32 v39, 0x80, v39
	v_add_co_ci_u32_e64 v26, null, 0, v26, s0
	s_or_b32 s3, vcc_lo, s3
	s_andn2_b32 exec_lo, exec_lo, s3
	s_cbranch_execz .LBB11_40
.LBB11_30:                              ; =>This Inner Loop Header: Depth=1
	global_load_dword v1, v[25:26], off
	v_add_nc_u32_e32 v41, -3, v38
	v_add_nc_u32_e32 v43, -2, v38
	;; [unrolled: 1-line block ×3, first 2 shown]
	s_waitcnt vmcnt(0)
	v_mad_i64_i32 v[1:2], null, v1, s4, 0
	v_lshlrev_b64 v[1:2], 2, v[1:2]
	v_add_co_u32 v21, vcc_lo, v36, v1
	v_add_co_ci_u32_e64 v22, null, v37, v2, vcc_lo
	ds_read_b128 v[1:4], v39
	v_cmp_eq_u32_e32 vcc_lo, s2, v40
	global_load_dwordx4 v[5:8], v[21:22], off
	s_and_saveexec_b32 s5, vcc_lo
	s_cbranch_execnz .LBB11_37
; %bb.31:                               ;   in Loop: Header=BB11_30 Depth=1
	s_or_b32 exec_lo, exec_lo, s5
	global_load_dwordx4 v[9:12], v[21:22], off offset:512
	s_and_saveexec_b32 s5, vcc_lo
	s_cbranch_execnz .LBB11_38
.LBB11_32:                              ;   in Loop: Header=BB11_30 Depth=1
	s_or_b32 exec_lo, exec_lo, s5
	global_load_dwordx4 v[13:16], v[21:22], off offset:1024
	s_and_saveexec_b32 s5, vcc_lo
	s_cbranch_execnz .LBB11_39
.LBB11_33:                              ;   in Loop: Header=BB11_30 Depth=1
	s_or_b32 exec_lo, exec_lo, s5
	global_load_dwordx4 v[17:20], v[21:22], off offset:1536
	s_and_saveexec_b32 s5, vcc_lo
	s_cbranch_execz .LBB11_35
.LBB11_34:                              ;   in Loop: Header=BB11_30 Depth=1
	v_cmp_gt_i32_e64 s0, s11, v41
	s_waitcnt vmcnt(0)
	v_cndmask_b32_e64 v17, 0, v17, s0
	v_cmp_gt_i32_e64 s0, s11, v43
	v_cndmask_b32_e64 v18, 0, v18, s0
	v_cmp_gt_i32_e64 s0, s11, v42
	;; [unrolled: 2-line block ×3, first 2 shown]
	v_cndmask_b32_e64 v20, 0, v20, s0
.LBB11_35:                              ;   in Loop: Header=BB11_30 Depth=1
	s_or_b32 exec_lo, exec_lo, s5
	v_add_co_u32 v21, s0, 0x800, v21
	v_add_co_ci_u32_e64 v22, null, 0, v22, s0
	global_load_dwordx4 v[21:24], v[21:22], off
	s_and_saveexec_b32 s0, vcc_lo
	s_cbranch_execz .LBB11_29
; %bb.36:                               ;   in Loop: Header=BB11_30 Depth=1
	v_cmp_gt_i32_e32 vcc_lo, s11, v41
	s_waitcnt vmcnt(0)
	v_cndmask_b32_e32 v21, 0, v21, vcc_lo
	v_cmp_gt_i32_e32 vcc_lo, s11, v43
	v_cndmask_b32_e32 v22, 0, v22, vcc_lo
	v_cmp_gt_i32_e32 vcc_lo, s11, v42
	;; [unrolled: 2-line block ×3, first 2 shown]
	v_cndmask_b32_e32 v24, 0, v24, vcc_lo
	s_branch .LBB11_29
.LBB11_37:                              ;   in Loop: Header=BB11_30 Depth=1
	v_cmp_gt_i32_e64 s0, s11, v41
	s_waitcnt vmcnt(0)
	v_cndmask_b32_e64 v5, 0, v5, s0
	v_cmp_gt_i32_e64 s0, s11, v43
	v_cndmask_b32_e64 v6, 0, v6, s0
	v_cmp_gt_i32_e64 s0, s11, v42
	v_cndmask_b32_e64 v7, 0, v7, s0
	v_cmp_gt_i32_e64 s0, s11, v38
	v_cndmask_b32_e64 v8, 0, v8, s0
	s_or_b32 exec_lo, exec_lo, s5
	global_load_dwordx4 v[9:12], v[21:22], off offset:512
	s_and_saveexec_b32 s5, vcc_lo
	s_cbranch_execz .LBB11_32
.LBB11_38:                              ;   in Loop: Header=BB11_30 Depth=1
	v_cmp_gt_i32_e64 s0, s11, v41
	s_waitcnt vmcnt(0)
	v_cndmask_b32_e64 v9, 0, v9, s0
	v_cmp_gt_i32_e64 s0, s11, v43
	v_cndmask_b32_e64 v10, 0, v10, s0
	v_cmp_gt_i32_e64 s0, s11, v42
	v_cndmask_b32_e64 v11, 0, v11, s0
	v_cmp_gt_i32_e64 s0, s11, v38
	v_cndmask_b32_e64 v12, 0, v12, s0
	s_or_b32 exec_lo, exec_lo, s5
	global_load_dwordx4 v[13:16], v[21:22], off offset:1024
	s_and_saveexec_b32 s5, vcc_lo
	s_cbranch_execz .LBB11_33
.LBB11_39:                              ;   in Loop: Header=BB11_30 Depth=1
	v_cmp_gt_i32_e64 s0, s11, v41
	s_waitcnt vmcnt(0)
	v_cndmask_b32_e64 v13, 0, v13, s0
	v_cmp_gt_i32_e64 s0, s11, v43
	v_cndmask_b32_e64 v14, 0, v14, s0
	v_cmp_gt_i32_e64 s0, s11, v42
	v_cndmask_b32_e64 v15, 0, v15, s0
	v_cmp_gt_i32_e64 s0, s11, v38
	v_cndmask_b32_e64 v16, 0, v16, s0
	s_or_b32 exec_lo, exec_lo, s5
	global_load_dwordx4 v[17:20], v[21:22], off offset:1536
	s_and_saveexec_b32 s5, vcc_lo
	s_cbranch_execnz .LBB11_34
	s_branch .LBB11_35
.LBB11_40:
	s_or_b32 exec_lo, exec_lo, s3
.LBB11_41:
	s_or_b32 exec_lo, exec_lo, s1
	ds_bpermute_b32 v1, v29, v33
	ds_bpermute_b32 v2, v29, v35
	;; [unrolled: 1-line block ×5, first 2 shown]
	v_lshrrev_b32_e32 v6, 1, v28
	v_mul_u32_u24_e32 v8, 0x140, v27
	v_and_b32_e32 v9, 0x3c1, v0
	s_mov_b32 s0, exec_lo
	s_waitcnt lgkmcnt(0)
	v_lshl_add_u32 v7, v6, 2, 0x160
	s_barrier
	buffer_gl0_inv
	v_add_f32_e32 v1, v33, v1
	v_add_f32_e32 v2, v35, v2
	;; [unrolled: 1-line block ×5, first 2 shown]
	v_cmpx_eq_u32_e32 64, v9
	s_cbranch_execz .LBB11_43
; %bb.42:
	v_add_nc_u32_e32 v9, v7, v8
	v_add_nc_u32_e32 v10, 0xfffffd80, v9
	;; [unrolled: 1-line block ×6, first 2 shown]
	ds_write_b32 v10, v1
	ds_write_b32 v11, v2
	;; [unrolled: 1-line block ×5, first 2 shown]
.LBB11_43:
	s_or_b32 exec_lo, exec_lo, s0
	v_lshlrev_b32_e32 v6, 2, v6
	s_mov_b32 s1, exec_lo
	v_cmp_eq_u32_e32 vcc_lo, 0, v30
	s_waitcnt lgkmcnt(0)
	s_barrier
	v_add3_u32 v6, 0x160, v8, v6
	buffer_gl0_inv
	v_cmpx_gt_u32_e32 64, v0
	s_cbranch_execz .LBB11_51
; %bb.44:
	s_and_saveexec_b32 s0, vcc_lo
	s_cbranch_execnz .LBB11_64
; %bb.45:
	s_or_b32 exec_lo, exec_lo, s0
	s_and_saveexec_b32 s0, vcc_lo
	s_cbranch_execnz .LBB11_65
.LBB11_46:
	s_or_b32 exec_lo, exec_lo, s0
	s_and_saveexec_b32 s0, vcc_lo
	s_cbranch_execnz .LBB11_66
.LBB11_47:
	s_or_b32 exec_lo, exec_lo, s0
	s_and_saveexec_b32 s0, vcc_lo
	s_cbranch_execnz .LBB11_67
.LBB11_48:
	s_or_b32 exec_lo, exec_lo, s0
	s_and_saveexec_b32 s0, vcc_lo
	s_cbranch_execz .LBB11_50
.LBB11_49:
	ds_read_b32 v8, v6 offset:256
	s_waitcnt lgkmcnt(0)
	v_add_f32_e32 v5, v5, v8
.LBB11_50:
	s_or_b32 exec_lo, exec_lo, s0
.LBB11_51:
	s_or_b32 exec_lo, exec_lo, s1
	v_and_b32_e32 v8, 0x3e1, v0
	s_mov_b32 s1, exec_lo
	s_barrier
	buffer_gl0_inv
	v_cmpx_eq_u32_e32 32, v8
	s_cbranch_execz .LBB11_53
; %bb.52:
	ds_write2_b32 v7, v1, v2 offset1:16
	ds_write2_b32 v7, v3, v4 offset0:32 offset1:48
	ds_write_b32 v7, v5 offset:256
.LBB11_53:
	s_or_b32 exec_lo, exec_lo, s1
	s_mov_b32 s1, exec_lo
	s_waitcnt lgkmcnt(0)
	s_barrier
	buffer_gl0_inv
	v_cmpx_gt_u32_e32 32, v0
	s_cbranch_execz .LBB11_61
; %bb.54:
	s_and_saveexec_b32 s0, vcc_lo
	s_cbranch_execnz .LBB11_68
; %bb.55:
	s_or_b32 exec_lo, exec_lo, s0
	s_and_saveexec_b32 s0, vcc_lo
	s_cbranch_execnz .LBB11_69
.LBB11_56:
	s_or_b32 exec_lo, exec_lo, s0
	s_and_saveexec_b32 s0, vcc_lo
	s_cbranch_execnz .LBB11_70
.LBB11_57:
	s_or_b32 exec_lo, exec_lo, s0
	s_and_saveexec_b32 s0, vcc_lo
	s_cbranch_execnz .LBB11_71
.LBB11_58:
	s_or_b32 exec_lo, exec_lo, s0
	s_and_saveexec_b32 s0, vcc_lo
	s_cbranch_execz .LBB11_60
.LBB11_59:
	ds_read_b32 v6, v6 offset:256
	s_waitcnt lgkmcnt(0)
	v_add_f32_e32 v5, v5, v6
.LBB11_60:
	s_or_b32 exec_lo, exec_lo, s0
.LBB11_61:
	s_or_b32 exec_lo, exec_lo, s1
	s_barrier
	buffer_gl0_inv
	s_mov_b32 s0, exec_lo
	v_cmpx_eq_u32_e32 0, v8
	s_cbranch_execz .LBB11_63
; %bb.62:
	s_mul_i32 s0, s10, s7
	s_mul_i32 s2, s7, s6
	;; [unrolled: 1-line block ×3, first 2 shown]
	v_lshlrev_b32_e32 v0, 1, v0
	s_mulk_i32 s0, 0x50
	s_ashr_i32 s1, s0, 31
	s_lshl_b64 s[0:1], s[0:1], 2
	s_add_u32 s4, s16, s0
	s_addc_u32 s5, s17, s1
	s_ashr_i32 s3, s2, 31
	s_lshl_b64 s[0:1], s[2:3], 2
	s_mul_i32 s2, s8, 0x50
	s_add_u32 s4, s4, s0
	s_addc_u32 s5, s5, s1
	s_ashr_i32 s3, s2, 31
	s_lshl_b64 s[0:1], s[2:3], 2
	s_add_u32 s0, s4, s0
	s_addc_u32 s1, s5, s1
	global_store_dword v0, v1, s[0:1]
	global_store_dword v0, v2, s[0:1] offset:64
	global_store_dword v0, v3, s[0:1] offset:128
	;; [unrolled: 1-line block ×4, first 2 shown]
.LBB11_63:
	s_endpgm
.LBB11_64:
	ds_read_b32 v8, v6
	s_waitcnt lgkmcnt(0)
	v_add_f32_e32 v1, v1, v8
	s_or_b32 exec_lo, exec_lo, s0
	s_and_saveexec_b32 s0, vcc_lo
	s_cbranch_execz .LBB11_46
.LBB11_65:
	ds_read_b32 v8, v6 offset:64
	s_waitcnt lgkmcnt(0)
	v_add_f32_e32 v2, v2, v8
	s_or_b32 exec_lo, exec_lo, s0
	s_and_saveexec_b32 s0, vcc_lo
	s_cbranch_execz .LBB11_47
.LBB11_66:
	ds_read_b32 v8, v6 offset:128
	s_waitcnt lgkmcnt(0)
	v_add_f32_e32 v3, v3, v8
	s_or_b32 exec_lo, exec_lo, s0
	s_and_saveexec_b32 s0, vcc_lo
	s_cbranch_execz .LBB11_48
.LBB11_67:
	ds_read_b32 v8, v6 offset:192
	s_waitcnt lgkmcnt(0)
	v_add_f32_e32 v4, v4, v8
	s_or_b32 exec_lo, exec_lo, s0
	s_and_saveexec_b32 s0, vcc_lo
	s_cbranch_execnz .LBB11_49
	s_branch .LBB11_50
.LBB11_68:
	ds_read_b32 v7, v6
	s_waitcnt lgkmcnt(0)
	v_add_f32_e32 v1, v1, v7
	s_or_b32 exec_lo, exec_lo, s0
	s_and_saveexec_b32 s0, vcc_lo
	s_cbranch_execz .LBB11_56
.LBB11_69:
	ds_read_b32 v7, v6 offset:64
	s_waitcnt lgkmcnt(0)
	v_add_f32_e32 v2, v2, v7
	s_or_b32 exec_lo, exec_lo, s0
	s_and_saveexec_b32 s0, vcc_lo
	s_cbranch_execz .LBB11_57
.LBB11_70:
	ds_read_b32 v7, v6 offset:128
	s_waitcnt lgkmcnt(0)
	v_add_f32_e32 v3, v3, v7
	s_or_b32 exec_lo, exec_lo, s0
	s_and_saveexec_b32 s0, vcc_lo
	s_cbranch_execz .LBB11_58
.LBB11_71:
	ds_read_b32 v7, v6 offset:192
	s_waitcnt lgkmcnt(0)
	v_add_f32_e32 v4, v4, v7
	s_or_b32 exec_lo, exec_lo, s0
	s_and_saveexec_b32 s0, vcc_lo
	s_cbranch_execnz .LBB11_59
	s_branch .LBB11_60
	.section	.rodata,"a",@progbits
	.p2align	6, 0x0
	.amdhsa_kernel _ZN4vllm25paged_attention_v1_kernelIffLi80ELi8ELi128ELNS_18Fp8KVCacheDataTypeE0ELb0EEEvPT_PKS2_PKT0_S8_ifPKiSA_iPKfiiiSC_SC_iiiii
		.amdhsa_group_segment_fixed_size 352
		.amdhsa_private_segment_fixed_size 0
		.amdhsa_kernarg_size 384
		.amdhsa_user_sgpr_count 6
		.amdhsa_user_sgpr_private_segment_buffer 1
		.amdhsa_user_sgpr_dispatch_ptr 0
		.amdhsa_user_sgpr_queue_ptr 0
		.amdhsa_user_sgpr_kernarg_segment_ptr 1
		.amdhsa_user_sgpr_dispatch_id 0
		.amdhsa_user_sgpr_flat_scratch_init 0
		.amdhsa_user_sgpr_private_segment_size 0
		.amdhsa_wavefront_size32 1
		.amdhsa_uses_dynamic_stack 0
		.amdhsa_system_sgpr_private_segment_wavefront_offset 0
		.amdhsa_system_sgpr_workgroup_id_x 1
		.amdhsa_system_sgpr_workgroup_id_y 1
		.amdhsa_system_sgpr_workgroup_id_z 1
		.amdhsa_system_sgpr_workgroup_info 0
		.amdhsa_system_vgpr_workitem_id 0
		.amdhsa_next_free_vgpr 58
		.amdhsa_next_free_sgpr 27
		.amdhsa_reserve_vcc 1
		.amdhsa_reserve_flat_scratch 0
		.amdhsa_float_round_mode_32 0
		.amdhsa_float_round_mode_16_64 0
		.amdhsa_float_denorm_mode_32 3
		.amdhsa_float_denorm_mode_16_64 3
		.amdhsa_dx10_clamp 1
		.amdhsa_ieee_mode 1
		.amdhsa_fp16_overflow 0
		.amdhsa_workgroup_processor_mode 1
		.amdhsa_memory_ordered 1
		.amdhsa_forward_progress 1
		.amdhsa_shared_vgpr_count 0
		.amdhsa_exception_fp_ieee_invalid_op 0
		.amdhsa_exception_fp_denorm_src 0
		.amdhsa_exception_fp_ieee_div_zero 0
		.amdhsa_exception_fp_ieee_overflow 0
		.amdhsa_exception_fp_ieee_underflow 0
		.amdhsa_exception_fp_ieee_inexact 0
		.amdhsa_exception_int_div_zero 0
	.end_amdhsa_kernel
	.section	.text._ZN4vllm25paged_attention_v1_kernelIffLi80ELi8ELi128ELNS_18Fp8KVCacheDataTypeE0ELb0EEEvPT_PKS2_PKT0_S8_ifPKiSA_iPKfiiiSC_SC_iiiii,"axG",@progbits,_ZN4vllm25paged_attention_v1_kernelIffLi80ELi8ELi128ELNS_18Fp8KVCacheDataTypeE0ELb0EEEvPT_PKS2_PKT0_S8_ifPKiSA_iPKfiiiSC_SC_iiiii,comdat
.Lfunc_end11:
	.size	_ZN4vllm25paged_attention_v1_kernelIffLi80ELi8ELi128ELNS_18Fp8KVCacheDataTypeE0ELb0EEEvPT_PKS2_PKT0_S8_ifPKiSA_iPKfiiiSC_SC_iiiii, .Lfunc_end11-_ZN4vllm25paged_attention_v1_kernelIffLi80ELi8ELi128ELNS_18Fp8KVCacheDataTypeE0ELb0EEEvPT_PKS2_PKT0_S8_ifPKiSA_iPKfiiiSC_SC_iiiii
                                        ; -- End function
	.set _ZN4vllm25paged_attention_v1_kernelIffLi80ELi8ELi128ELNS_18Fp8KVCacheDataTypeE0ELb0EEEvPT_PKS2_PKT0_S8_ifPKiSA_iPKfiiiSC_SC_iiiii.num_vgpr, 58
	.set _ZN4vllm25paged_attention_v1_kernelIffLi80ELi8ELi128ELNS_18Fp8KVCacheDataTypeE0ELb0EEEvPT_PKS2_PKT0_S8_ifPKiSA_iPKfiiiSC_SC_iiiii.num_agpr, 0
	.set _ZN4vllm25paged_attention_v1_kernelIffLi80ELi8ELi128ELNS_18Fp8KVCacheDataTypeE0ELb0EEEvPT_PKS2_PKT0_S8_ifPKiSA_iPKfiiiSC_SC_iiiii.numbered_sgpr, 27
	.set _ZN4vllm25paged_attention_v1_kernelIffLi80ELi8ELi128ELNS_18Fp8KVCacheDataTypeE0ELb0EEEvPT_PKS2_PKT0_S8_ifPKiSA_iPKfiiiSC_SC_iiiii.num_named_barrier, 0
	.set _ZN4vllm25paged_attention_v1_kernelIffLi80ELi8ELi128ELNS_18Fp8KVCacheDataTypeE0ELb0EEEvPT_PKS2_PKT0_S8_ifPKiSA_iPKfiiiSC_SC_iiiii.private_seg_size, 0
	.set _ZN4vllm25paged_attention_v1_kernelIffLi80ELi8ELi128ELNS_18Fp8KVCacheDataTypeE0ELb0EEEvPT_PKS2_PKT0_S8_ifPKiSA_iPKfiiiSC_SC_iiiii.uses_vcc, 1
	.set _ZN4vllm25paged_attention_v1_kernelIffLi80ELi8ELi128ELNS_18Fp8KVCacheDataTypeE0ELb0EEEvPT_PKS2_PKT0_S8_ifPKiSA_iPKfiiiSC_SC_iiiii.uses_flat_scratch, 0
	.set _ZN4vllm25paged_attention_v1_kernelIffLi80ELi8ELi128ELNS_18Fp8KVCacheDataTypeE0ELb0EEEvPT_PKS2_PKT0_S8_ifPKiSA_iPKfiiiSC_SC_iiiii.has_dyn_sized_stack, 0
	.set _ZN4vllm25paged_attention_v1_kernelIffLi80ELi8ELi128ELNS_18Fp8KVCacheDataTypeE0ELb0EEEvPT_PKS2_PKT0_S8_ifPKiSA_iPKfiiiSC_SC_iiiii.has_recursion, 0
	.set _ZN4vllm25paged_attention_v1_kernelIffLi80ELi8ELi128ELNS_18Fp8KVCacheDataTypeE0ELb0EEEvPT_PKS2_PKT0_S8_ifPKiSA_iPKfiiiSC_SC_iiiii.has_indirect_call, 0
	.section	.AMDGPU.csdata,"",@progbits
; Kernel info:
; codeLenInByte = 4096
; TotalNumSgprs: 29
; NumVgprs: 58
; ScratchSize: 0
; MemoryBound: 0
; FloatMode: 240
; IeeeMode: 1
; LDSByteSize: 352 bytes/workgroup (compile time only)
; SGPRBlocks: 0
; VGPRBlocks: 7
; NumSGPRsForWavesPerEU: 29
; NumVGPRsForWavesPerEU: 58
; Occupancy: 16
; WaveLimiterHint : 1
; COMPUTE_PGM_RSRC2:SCRATCH_EN: 0
; COMPUTE_PGM_RSRC2:USER_SGPR: 6
; COMPUTE_PGM_RSRC2:TRAP_HANDLER: 0
; COMPUTE_PGM_RSRC2:TGID_X_EN: 1
; COMPUTE_PGM_RSRC2:TGID_Y_EN: 1
; COMPUTE_PGM_RSRC2:TGID_Z_EN: 1
; COMPUTE_PGM_RSRC2:TIDIG_COMP_CNT: 0
	.section	.text._ZN4vllm25paged_attention_v1_kernelIffLi96ELi8ELi128ELNS_18Fp8KVCacheDataTypeE0ELb0EEEvPT_PKS2_PKT0_S8_ifPKiSA_iPKfiiiSC_SC_iiiii,"axG",@progbits,_ZN4vllm25paged_attention_v1_kernelIffLi96ELi8ELi128ELNS_18Fp8KVCacheDataTypeE0ELb0EEEvPT_PKS2_PKT0_S8_ifPKiSA_iPKfiiiSC_SC_iiiii,comdat
	.protected	_ZN4vllm25paged_attention_v1_kernelIffLi96ELi8ELi128ELNS_18Fp8KVCacheDataTypeE0ELb0EEEvPT_PKS2_PKT0_S8_ifPKiSA_iPKfiiiSC_SC_iiiii ; -- Begin function _ZN4vllm25paged_attention_v1_kernelIffLi96ELi8ELi128ELNS_18Fp8KVCacheDataTypeE0ELb0EEEvPT_PKS2_PKT0_S8_ifPKiSA_iPKfiiiSC_SC_iiiii
	.globl	_ZN4vllm25paged_attention_v1_kernelIffLi96ELi8ELi128ELNS_18Fp8KVCacheDataTypeE0ELb0EEEvPT_PKS2_PKT0_S8_ifPKiSA_iPKfiiiSC_SC_iiiii
	.p2align	8
	.type	_ZN4vllm25paged_attention_v1_kernelIffLi96ELi8ELi128ELNS_18Fp8KVCacheDataTypeE0ELb0EEEvPT_PKS2_PKT0_S8_ifPKiSA_iPKfiiiSC_SC_iiiii,@function
_ZN4vllm25paged_attention_v1_kernelIffLi96ELi8ELi128ELNS_18Fp8KVCacheDataTypeE0ELb0EEEvPT_PKS2_PKT0_S8_ifPKiSA_iPKfiiiSC_SC_iiiii: ; @_ZN4vllm25paged_attention_v1_kernelIffLi96ELi8ELi128ELNS_18Fp8KVCacheDataTypeE0ELb0EEEvPT_PKS2_PKT0_S8_ifPKiSA_iPKfiiiSC_SC_iiiii
; %bb.0:
	s_clause 0x2
	s_load_dword s9, s[4:5], 0x80
	s_load_dwordx2 s[0:1], s[4:5], 0x30
	s_load_dwordx2 s[24:25], s[4:5], 0x20
	s_mov_b32 s10, s7
	s_ashr_i32 s11, s7, 31
	s_lshl_b64 s[2:3], s[10:11], 2
	s_waitcnt lgkmcnt(0)
	s_add_u32 s0, s0, s2
	s_addc_u32 s1, s1, s3
	s_abs_i32 s2, s24
	s_abs_i32 s11, s9
	v_cvt_f32_u32_e32 v1, s2
	s_sub_i32 s7, 0, s2
	v_rcp_iflag_f32_e32 v1, v1
	v_mul_f32_e32 v1, 0x4f7ffffe, v1
	v_cvt_u32_f32_e32 v1, v1
	v_readfirstlane_b32 s3, v1
	s_mul_i32 s7, s7, s3
	s_mul_hi_u32 s7, s3, s7
	s_add_i32 s3, s3, s7
	s_xor_b32 s7, s9, s24
	s_mul_hi_u32 s3, s11, s3
	s_ashr_i32 s7, s7, 31
	s_mul_i32 s12, s3, s2
	s_mov_b32 s24, 0
	s_sub_i32 s11, s11, s12
	s_add_i32 s12, s3, 1
	s_sub_i32 s13, s11, s2
	s_cmp_ge_u32 s11, s2
	s_cselect_b32 s3, s12, s3
	s_cselect_b32 s11, s13, s11
	s_add_i32 s12, s3, 1
	s_cmp_ge_u32 s11, s2
	s_cselect_b32 s2, s12, s3
	s_abs_i32 s17, s6
	s_xor_b32 s2, s2, s7
	s_sub_i32 s18, s2, s7
	s_load_dwordx2 s[2:3], s[4:5], 0x40
	s_abs_i32 s16, s18
	v_cvt_f32_u32_e32 v1, s16
	s_sub_i32 s11, 0, s16
	v_rcp_iflag_f32_e32 v1, v1
	v_mul_f32_e32 v1, 0x4f7ffffe, v1
	v_cvt_u32_f32_e32 v1, v1
	v_readfirstlane_b32 s7, v1
	s_mul_i32 s11, s11, s7
	s_mul_hi_u32 s11, s7, s11
	s_add_i32 s7, s7, s11
	s_waitcnt lgkmcnt(0)
	s_cmp_eq_u64 s[2:3], 0
	s_mul_hi_u32 s20, s17, s7
	s_cbranch_scc1 .LBB12_2
; %bb.1:
	s_ashr_i32 s7, s6, 31
	s_lshl_b64 s[12:13], s[6:7], 2
	s_add_u32 s2, s2, s12
	s_addc_u32 s3, s3, s13
	s_load_dword s24, s[2:3], 0x0
.LBB12_2:
	s_load_dword s11, s[0:1], 0x0
	s_load_dwordx4 s[12:15], s[4:5], 0x48
	v_and_b32_e32 v25, 3, v0
	v_lshlrev_b32_e32 v27, 2, v0
	s_ashr_i32 s0, s6, 31
	s_ashr_i32 s1, s18, 31
	s_mulk_i32 s6, 0x60
	s_mov_b32 s2, exec_lo
	v_cmpx_gt_u32_e32 0x60, v0
	s_cbranch_execz .LBB12_4
; %bb.3:
	s_load_dwordx2 s[18:19], s[4:5], 0x8
	s_waitcnt lgkmcnt(0)
	s_mul_i32 s22, s12, s10
	v_and_b32_e32 v2, 0x3fc, v0
	s_ashr_i32 s23, s22, 31
	s_lshl_b64 s[22:23], s[22:23], 2
	v_mad_u32_u24 v2, 0x60, v25, v2
	s_add_u32 s3, s18, s22
	s_addc_u32 s12, s19, s23
	s_ashr_i32 s7, s6, 31
	s_lshl_b64 s[18:19], s[6:7], 2
	s_add_u32 s18, s3, s18
	s_addc_u32 s19, s12, s19
	global_load_dword v1, v27, s[18:19]
	s_waitcnt vmcnt(0)
	ds_write_b32 v2, v1
.LBB12_4:
	s_or_b32 exec_lo, exec_lo, s2
	s_waitcnt lgkmcnt(0)
	s_add_i32 s2, s11, 7
	s_clause 0x1
	s_load_dwordx2 s[18:19], s[4:5], 0x28
	s_load_dword s7, s[4:5], 0x38
	s_ashr_i32 s3, s2, 31
	s_xor_b32 s0, s0, s1
	s_lshr_b32 s3, s3, 29
	s_mul_i32 s1, s20, s16
	s_add_i32 s2, s2, s3
	s_sub_i32 s1, s17, s1
	s_ashr_i32 s12, s2, 3
	s_add_i32 s2, s20, 1
	s_sub_i32 s3, s1, s16
	s_cmp_ge_u32 s1, s16
	v_lshrrev_b32_e32 v31, 5, v0
	s_cselect_b32 s2, s2, s20
	s_cselect_b32 s1, s3, s1
	s_add_i32 s3, s2, 1
	s_cmp_ge_u32 s1, s16
	v_mbcnt_lo_u32_b32 v29, -1, 0
	s_cselect_b32 s1, s3, s2
	s_mov_b32 s2, exec_lo
	s_xor_b32 s1, s1, s0
	s_waitcnt lgkmcnt(0)
	s_mul_i32 s20, s7, s10
	s_sub_i32 s1, s1, s0
	v_cmp_gt_i32_e64 s0, s12, v31
	s_ashr_i32 s21, s20, 31
	s_barrier
	buffer_gl0_inv
                                        ; implicit-def: $vgpr30
                                        ; implicit-def: $vgpr33
	v_cmpx_le_i32_e64 s12, v31
	s_xor_b32 s2, exec_lo, s2
; %bb.5:
	v_mov_b32_e32 v30, 0
	v_mbcnt_lo_u32_b32 v29, -1, 0
	v_mov_b32_e32 v33, 32
                                        ; implicit-def: $vgpr25
; %bb.6:
	s_or_saveexec_b32 s26, s2
	s_clause 0x2
	s_load_dwordx2 s[16:17], s[4:5], 0x0
	s_load_dwordx2 s[22:23], s[4:5], 0x18
	s_load_dword s7, s[4:5], 0x88
	v_mov_b32_e32 v32, 0xff7fffff
	v_lshrrev_b32_e32 v28, 3, v0
	s_mul_i32 s14, s1, s14
	s_xor_b32 exec_lo, exec_lo, s26
	s_cbranch_execz .LBB12_12
; %bb.7:
	s_load_dwordx2 s[2:3], s[4:5], 0x10
	v_bfe_u32 v26, v0, 2, 3
	v_xor_b32_e32 v18, 2, v29
	s_ashr_i32 s15, s14, 31
	v_xor_b32_e32 v19, 1, v29
	s_lshl_b64 s[4:5], s[14:15], 2
	v_lshlrev_b32_e32 v20, 4, v26
	v_cmp_gt_i32_e32 vcc_lo, 32, v18
	v_lshlrev_b32_e32 v17, 2, v25
	v_mul_u32_u24_e32 v21, 0x60, v25
	ds_read_b128 v[1:4], v21
	ds_read_b128 v[5:8], v21 offset:16
	ds_read_b128 v[9:12], v21 offset:32
	;; [unrolled: 1-line block ×3, first 2 shown]
	v_cndmask_b32_e32 v36, v29, v18, vcc_lo
	v_cmp_gt_i32_e32 vcc_lo, 32, v19
	v_lshlrev_b32_e32 v32, 2, v26
	v_lshl_or_b32 v38, v31, 3, v26
	v_and_b32_e32 v26, 0x7c, v28
	s_waitcnt lgkmcnt(0)
	s_add_u32 s1, s2, s4
	s_addc_u32 s2, s3, s5
	v_add_co_u32 v18, s1, s1, v20
	v_add_co_ci_u32_e64 v20, null, s2, 0, s1
	v_cndmask_b32_e32 v37, v29, v19, vcc_lo
	v_add_co_u32 v34, vcc_lo, v18, v17
	v_add_co_ci_u32_e64 v35, null, 0, v20, vcc_lo
	ds_read_b128 v[17:20], v21 offset:64
	ds_read_b128 v[21:24], v21 offset:80
	v_cmp_eq_u32_e32 vcc_lo, 0, v25
	v_lshl_or_b32 v25, v31, 5, v32
	s_lshl_b64 s[2:3], s[20:21], 2
	s_sub_i32 s4, 1, s11
	s_add_u32 s2, s18, s2
	s_addc_u32 s3, s19, s3
	v_add_nc_u32_e32 v39, 0x1a0, v25
	v_add_co_u32 v25, s2, s2, v26
	v_mov_b32_e32 v30, 0
	v_mov_b32_e32 v33, 32
	v_lshlrev_b32_e32 v36, 2, v36
	v_lshlrev_b32_e32 v37, 2, v37
	v_cmp_neq_f32_e64 s1, s24, 0
	v_add_co_ci_u32_e64 v26, null, s3, 0, s2
	v_mov_b32_e32 v32, 0xff7fffff
	v_mov_b32_e32 v40, v31
	s_mov_b32 s15, s13
	s_mov_b32 s5, 0
	s_branch .LBB12_9
.LBB12_8:                               ;   in Loop: Header=BB12_9 Depth=1
	s_or_b32 exec_lo, exec_lo, s3
	v_add_nc_u32_e32 v40, 4, v40
	v_add_co_u32 v25, s3, v25, 16
	v_add_nc_u32_e32 v38, 32, v38
	v_add_nc_u32_e32 v39, 0x80, v39
	v_cmp_le_i32_e64 s2, s12, v40
	v_add_co_ci_u32_e64 v26, null, 0, v26, s3
	s_or_b32 s5, s2, s5
	s_andn2_b32 exec_lo, exec_lo, s5
	s_cbranch_execz .LBB12_11
.LBB12_9:                               ; =>This Inner Loop Header: Depth=1
	global_load_dword v41, v[25:26], off
	s_waitcnt vmcnt(0) lgkmcnt(0)
	v_mad_i64_i32 v[41:42], null, v41, s15, 0
	v_lshlrev_b64 v[41:42], 2, v[41:42]
	v_add_co_u32 v41, s2, v34, v41
	v_add_co_ci_u32_e64 v42, null, v35, v42, s2
	s_clause 0xf
	global_load_dword v43, v[41:42], off offset:128
	global_load_dword v44, v[41:42], off
	global_load_dword v45, v[41:42], off offset:256
	global_load_dword v46, v[41:42], off offset:384
	;; [unrolled: 1-line block ×14, first 2 shown]
	v_add_co_u32 v41, s2, 0x800, v41
	v_add_co_ci_u32_e64 v42, null, 0, v42, s2
	s_clause 0x7
	global_load_dword v59, v[41:42], off
	global_load_dword v60, v[41:42], off offset:128
	global_load_dword v61, v[41:42], off offset:256
	global_load_dword v62, v[41:42], off offset:384
	global_load_dword v63, v[41:42], off offset:512
	global_load_dword v64, v[41:42], off offset:640
	global_load_dword v65, v[41:42], off offset:768
	global_load_dword v41, v[41:42], off offset:896
	s_waitcnt vmcnt(23)
	v_mul_f32_e32 v42, v2, v43
	s_waitcnt vmcnt(22)
	v_fmac_f32_e32 v42, v1, v44
	s_waitcnt vmcnt(21)
	v_fmac_f32_e32 v42, v3, v45
	;; [unrolled: 2-line block ×15, first 2 shown]
	s_waitcnt vmcnt(7) lgkmcnt(1)
	v_fmac_f32_e32 v42, v17, v59
	s_waitcnt vmcnt(6)
	v_fmac_f32_e32 v42, v18, v60
	s_waitcnt vmcnt(5)
	;; [unrolled: 2-line block ×3, first 2 shown]
	v_fmac_f32_e32 v42, v20, v62
	s_waitcnt vmcnt(3) lgkmcnt(0)
	v_fmac_f32_e32 v42, v21, v63
	s_waitcnt vmcnt(2)
	v_fmac_f32_e32 v42, v22, v64
	s_waitcnt vmcnt(1)
	;; [unrolled: 2-line block ×3, first 2 shown]
	v_fmac_f32_e32 v42, v24, v41
	ds_bpermute_b32 v41, v36, v42
	s_waitcnt lgkmcnt(0)
	v_add_f32_e32 v41, v42, v41
	ds_bpermute_b32 v42, v37, v41
	s_and_saveexec_b32 s3, vcc_lo
	s_cbranch_execz .LBB12_8
; %bb.10:                               ;   in Loop: Header=BB12_9 Depth=1
	v_add_nc_u32_e32 v43, s4, v38
	s_waitcnt lgkmcnt(0)
	v_add_f32_e32 v41, v41, v42
	v_cmp_gt_i32_e64 s2, s11, v38
	v_cvt_f32_i32_e32 v43, v43
	v_mul_f32_e32 v43, s24, v43
	v_cndmask_b32_e64 v42, 0, v43, s1
	v_max_f32_e32 v43, v32, v32
	v_fmac_f32_e32 v42, s25, v41
	v_max_f32_e32 v41, v43, v42
	v_cndmask_b32_e64 v42, 0, v42, s2
	v_cndmask_b32_e64 v32, v32, v41, s2
	ds_write_b32 v39, v42
	s_branch .LBB12_8
.LBB12_11:
	s_or_b32 exec_lo, exec_lo, s5
.LBB12_12:
	s_or_b32 exec_lo, exec_lo, s26
	v_xor_b32_e32 v1, 16, v29
	v_xor_b32_e32 v3, 8, v29
	v_max_f32_e32 v4, v32, v32
	v_xor_b32_e32 v5, 4, v29
	v_cmp_lt_i32_e32 vcc_lo, v1, v33
	v_cndmask_b32_e32 v1, v29, v1, vcc_lo
	v_cmp_lt_i32_e32 vcc_lo, v3, v33
	v_lshlrev_b32_e32 v2, 2, v1
	v_cndmask_b32_e32 v3, v29, v3, vcc_lo
	v_cmp_lt_i32_e32 vcc_lo, v5, v33
	ds_bpermute_b32 v1, v2, v32
	v_lshlrev_b32_e32 v3, 2, v3
	v_cndmask_b32_e32 v5, v29, v5, vcc_lo
	v_and_b32_e32 v32, 31, v0
	v_lshlrev_b32_e32 v6, 2, v5
	v_cmp_eq_u32_e32 vcc_lo, 0, v32
	s_waitcnt lgkmcnt(0)
	v_max_f32_e32 v1, v1, v1
	v_max_f32_e32 v1, v4, v1
	ds_bpermute_b32 v4, v3, v1
	s_waitcnt lgkmcnt(0)
	v_max_f32_e32 v4, v4, v4
	v_max_f32_e32 v1, v1, v4
	v_lshlrev_b32_e32 v4, 2, v31
	ds_bpermute_b32 v5, v6, v1
	s_and_saveexec_b32 s1, vcc_lo
	s_cbranch_execz .LBB12_14
; %bb.13:
	s_waitcnt lgkmcnt(0)
	v_max_f32_e32 v5, v5, v5
	v_max_f32_e32 v1, v1, v1
	;; [unrolled: 1-line block ×3, first 2 shown]
	ds_write_b32 v4, v1 offset:384
.LBB12_14:
	s_or_b32 exec_lo, exec_lo, s1
	v_cmp_gt_u32_e64 s1, 4, v32
	v_mov_b32_e32 v1, 0xff7fffff
	s_waitcnt lgkmcnt(0)
	v_lshlrev_b32_e32 v5, 2, v32
	s_barrier
	buffer_gl0_inv
	s_and_saveexec_b32 s2, s1
; %bb.15:
	ds_read_b32 v1, v5 offset:384
; %bb.16:
	s_or_b32 exec_lo, exec_lo, s2
	v_xor_b32_e32 v7, 2, v29
	v_xor_b32_e32 v9, 1, v29
	v_cmp_lt_i32_e64 s2, v7, v33
	v_cndmask_b32_e64 v7, v29, v7, s2
	v_cmp_lt_i32_e64 s2, v9, v33
	v_lshlrev_b32_e32 v7, 2, v7
	v_cndmask_b32_e64 v9, v29, v9, s2
	s_lshl_b32 s2, s12, 3
	s_min_i32 s4, s2, s11
	s_waitcnt lgkmcnt(0)
	ds_bpermute_b32 v8, v7, v1
	v_max_f32_e32 v1, v1, v1
	v_lshlrev_b32_e32 v33, 2, v9
	v_cmp_gt_i32_e64 s2, s4, v0
	s_waitcnt lgkmcnt(0)
	v_max_f32_e32 v8, v8, v8
	v_max_f32_e32 v1, v1, v8
	ds_bpermute_b32 v8, v33, v1
	s_waitcnt lgkmcnt(0)
	v_max_f32_e32 v8, v8, v8
	v_max_f32_e32 v1, v1, v8
	v_lshlrev_b32_e32 v8, 2, v30
	ds_bpermute_b32 v9, v8, v1
	v_mov_b32_e32 v8, 0
	v_lshl_add_u32 v1, v0, 2, 0x1a0
	s_and_saveexec_b32 s5, s2
	s_cbranch_execz .LBB12_20
; %bb.17:
	v_lshl_add_u32 v10, v0, 2, 0x1a0
	v_mov_b32_e32 v8, 0
	v_mov_b32_e32 v11, v0
	s_mov_b32 s15, 0
	.p2align	6
.LBB12_18:                              ; =>This Inner Loop Header: Depth=1
	ds_read_b32 v12, v10
	v_add_nc_u32_e32 v11, 0x80, v11
	v_cmp_le_i32_e64 s3, s4, v11
	s_or_b32 s15, s3, s15
	s_waitcnt lgkmcnt(0)
	v_sub_f32_e32 v12, v12, v9
	v_mul_f32_e32 v12, 0x3fb8aa3b, v12
	v_exp_f32_e32 v12, v12
	ds_write_b32 v10, v12
	v_add_f32_e32 v8, v8, v12
	v_add_nc_u32_e32 v10, 0x200, v10
	s_andn2_b32 exec_lo, exec_lo, s15
	s_cbranch_execnz .LBB12_18
; %bb.19:
	s_or_b32 exec_lo, exec_lo, s15
.LBB12_20:
	s_or_b32 exec_lo, exec_lo, s5
	ds_bpermute_b32 v2, v2, v8
	s_waitcnt lgkmcnt(0)
	v_add_f32_e32 v2, v8, v2
	ds_bpermute_b32 v3, v3, v2
	s_waitcnt lgkmcnt(0)
	v_add_f32_e32 v2, v2, v3
	;; [unrolled: 3-line block ×5, first 2 shown]
	s_and_saveexec_b32 s3, vcc_lo
; %bb.21:
	ds_write_b32 v4, v2 offset:400
; %bb.22:
	s_or_b32 exec_lo, exec_lo, s3
	s_waitcnt lgkmcnt(0)
	s_barrier
	buffer_gl0_inv
	s_and_saveexec_b32 s3, s1
; %bb.23:
	ds_read_b32 v2, v5 offset:400
; %bb.24:
	s_or_b32 exec_lo, exec_lo, s3
	s_waitcnt lgkmcnt(0)
	ds_bpermute_b32 v3, v7, v2
	v_lshlrev_b32_e32 v4, 2, v29
	s_waitcnt lgkmcnt(0)
	v_add_f32_e32 v2, v2, v3
	ds_bpermute_b32 v3, v33, v2
	s_waitcnt lgkmcnt(0)
	v_add_f32_e32 v2, v2, v3
	v_and_b32_e32 v3, 0xffffff80, v4
	ds_bpermute_b32 v2, v3, v2
	s_and_saveexec_b32 s1, s2
	s_cbranch_execz .LBB12_27
; %bb.25:
	s_waitcnt lgkmcnt(0)
	v_add_f32_e32 v2, 0x358637bd, v2
	s_mov_b32 s2, 0
	v_div_scale_f32 v3, null, v2, v2, 1.0
	v_div_scale_f32 v6, vcc_lo, 1.0, v2, 1.0
	v_rcp_f32_e32 v4, v3
	v_fma_f32 v5, -v3, v4, 1.0
	v_fmac_f32_e32 v4, v5, v4
	v_mul_f32_e32 v5, v6, v4
	v_fma_f32 v7, -v3, v5, v6
	v_fmac_f32_e32 v5, v7, v4
	v_fma_f32 v3, -v3, v5, v6
	v_div_fmas_f32 v3, v3, v4, v5
	v_div_fixup_f32 v2, v3, v2, 1.0
	v_mov_b32_e32 v3, v0
.LBB12_26:                              ; =>This Inner Loop Header: Depth=1
	ds_read_b32 v4, v1
	v_add_nc_u32_e32 v3, 0x80, v3
	v_cmp_le_i32_e32 vcc_lo, s4, v3
	s_or_b32 s2, vcc_lo, s2
	s_waitcnt lgkmcnt(0)
	v_mul_f32_e32 v4, v2, v4
	ds_write_b32 v1, v4
	v_add_nc_u32_e32 v1, 0x200, v1
	s_andn2_b32 exec_lo, exec_lo, s2
	s_cbranch_execnz .LBB12_26
.LBB12_27:
	s_or_b32 exec_lo, exec_lo, s1
	v_mov_b32_e32 v38, 0
	v_and_b32_e32 v34, 1, v0
	v_mov_b32_e32 v40, 0
	v_mov_b32_e32 v39, 0
	;; [unrolled: 1-line block ×5, first 2 shown]
	s_waitcnt lgkmcnt(0)
	s_barrier
	buffer_gl0_inv
	s_and_saveexec_b32 s1, s0
	s_cbranch_execz .LBB12_43
; %bb.28:
	v_lshlrev_b32_e32 v2, 4, v0
	s_ashr_i32 s15, s14, 31
	v_and_b32_e32 v1, 4, v27
	v_lshlrev_b32_e32 v4, 3, v31
	s_lshl_b64 s[2:3], s[14:15], 2
	v_and_b32_e32 v2, 0x1f0, v2
	v_lshlrev_b32_e32 v3, 4, v34
	s_add_u32 s0, s22, s2
	v_or3_b32 v43, v4, v1, 3
	v_and_b32_e32 v1, 0x7c, v28
	s_addc_u32 s3, s23, s3
	v_add_co_u32 v41, s0, s0, v2
	s_lshl_b64 s[4:5], s[20:21], 2
	s_add_i32 s2, s12, -1
	v_lshl_or_b32 v3, v31, 5, v3
	v_add_co_ci_u32_e64 v42, null, s3, 0, s0
	s_add_u32 s0, s18, s4
	s_addc_u32 s3, s19, s5
	v_add_co_u32 v29, s0, s0, v1
	v_mov_b32_e32 v35, 0
	v_add_nc_u32_e32 v44, 0x1a0, v3
	v_add_co_ci_u32_e64 v30, null, s3, 0, s0
	v_mov_b32_e32 v36, 0
	v_mov_b32_e32 v37, 0
	;; [unrolled: 1-line block ×6, first 2 shown]
	s_mov_b32 s4, s13
	s_mov_b32 s3, 0
	s_branch .LBB12_30
.LBB12_29:                              ;   in Loop: Header=BB12_30 Depth=1
	s_or_b32 exec_lo, exec_lo, s0
	s_waitcnt vmcnt(1) lgkmcnt(0)
	v_mul_f32_e32 v21, v1, v21
	v_mul_f32_e32 v17, v1, v17
	v_mul_f32_e32 v13, v1, v13
	v_mul_f32_e32 v9, v1, v9
	v_mul_f32_e32 v5, v1, v5
	s_waitcnt vmcnt(0)
	v_mul_f32_e32 v1, v1, v25
	v_fmac_f32_e32 v21, v2, v22
	v_fmac_f32_e32 v17, v2, v18
	;; [unrolled: 1-line block ×12, first 2 shown]
	v_add_nc_u32_e32 v45, 4, v45
	v_fmac_f32_e32 v21, v4, v24
	v_fmac_f32_e32 v17, v4, v20
	;; [unrolled: 1-line block ×6, first 2 shown]
	v_cmp_le_i32_e32 vcc_lo, s12, v45
	v_add_co_u32 v29, s0, v29, 16
	v_add_f32_e32 v36, v36, v21
	v_add_f32_e32 v37, v37, v17
	;; [unrolled: 1-line block ×6, first 2 shown]
	v_add_nc_u32_e32 v43, 32, v43
	v_add_nc_u32_e32 v44, 0x80, v44
	v_add_co_ci_u32_e64 v30, null, 0, v30, s0
	s_or_b32 s3, vcc_lo, s3
	s_andn2_b32 exec_lo, exec_lo, s3
	s_cbranch_execz .LBB12_42
.LBB12_30:                              ; =>This Inner Loop Header: Depth=1
	global_load_dword v1, v[29:30], off
	v_add_nc_u32_e32 v46, -3, v43
	v_add_nc_u32_e32 v48, -2, v43
	;; [unrolled: 1-line block ×3, first 2 shown]
	s_waitcnt vmcnt(0)
	v_mad_i64_i32 v[1:2], null, v1, s4, 0
	v_lshlrev_b64 v[1:2], 2, v[1:2]
	v_add_co_u32 v21, vcc_lo, v41, v1
	v_add_co_ci_u32_e64 v22, null, v42, v2, vcc_lo
	ds_read_b128 v[1:4], v44
	v_cmp_eq_u32_e32 vcc_lo, s2, v45
	global_load_dwordx4 v[5:8], v[21:22], off
	s_and_saveexec_b32 s5, vcc_lo
	s_cbranch_execnz .LBB12_39
; %bb.31:                               ;   in Loop: Header=BB12_30 Depth=1
	s_or_b32 exec_lo, exec_lo, s5
	global_load_dwordx4 v[9:12], v[21:22], off offset:512
	s_and_saveexec_b32 s5, vcc_lo
	s_cbranch_execnz .LBB12_40
.LBB12_32:                              ;   in Loop: Header=BB12_30 Depth=1
	s_or_b32 exec_lo, exec_lo, s5
	global_load_dwordx4 v[13:16], v[21:22], off offset:1024
	s_and_saveexec_b32 s5, vcc_lo
	s_cbranch_execnz .LBB12_41
.LBB12_33:                              ;   in Loop: Header=BB12_30 Depth=1
	s_or_b32 exec_lo, exec_lo, s5
	global_load_dwordx4 v[17:20], v[21:22], off offset:1536
	s_and_saveexec_b32 s5, vcc_lo
	s_cbranch_execz .LBB12_35
.LBB12_34:                              ;   in Loop: Header=BB12_30 Depth=1
	v_cmp_gt_i32_e64 s0, s11, v46
	s_waitcnt vmcnt(0)
	v_cndmask_b32_e64 v17, 0, v17, s0
	v_cmp_gt_i32_e64 s0, s11, v48
	v_cndmask_b32_e64 v18, 0, v18, s0
	v_cmp_gt_i32_e64 s0, s11, v47
	;; [unrolled: 2-line block ×3, first 2 shown]
	v_cndmask_b32_e64 v20, 0, v20, s0
.LBB12_35:                              ;   in Loop: Header=BB12_30 Depth=1
	s_or_b32 exec_lo, exec_lo, s5
	v_add_co_u32 v25, s0, 0x800, v21
	v_add_co_ci_u32_e64 v26, null, 0, v22, s0
	global_load_dwordx4 v[21:24], v[25:26], off
	s_and_saveexec_b32 s5, vcc_lo
	s_cbranch_execz .LBB12_37
; %bb.36:                               ;   in Loop: Header=BB12_30 Depth=1
	v_cmp_gt_i32_e64 s0, s11, v46
	s_waitcnt vmcnt(0)
	v_cndmask_b32_e64 v21, 0, v21, s0
	v_cmp_gt_i32_e64 s0, s11, v48
	v_cndmask_b32_e64 v22, 0, v22, s0
	v_cmp_gt_i32_e64 s0, s11, v47
	;; [unrolled: 2-line block ×3, first 2 shown]
	v_cndmask_b32_e64 v24, 0, v24, s0
.LBB12_37:                              ;   in Loop: Header=BB12_30 Depth=1
	s_or_b32 exec_lo, exec_lo, s5
	global_load_dwordx4 v[25:28], v[25:26], off offset:512
	s_and_saveexec_b32 s0, vcc_lo
	s_cbranch_execz .LBB12_29
; %bb.38:                               ;   in Loop: Header=BB12_30 Depth=1
	v_cmp_gt_i32_e32 vcc_lo, s11, v46
	s_waitcnt vmcnt(0)
	v_cndmask_b32_e32 v25, 0, v25, vcc_lo
	v_cmp_gt_i32_e32 vcc_lo, s11, v48
	v_cndmask_b32_e32 v26, 0, v26, vcc_lo
	v_cmp_gt_i32_e32 vcc_lo, s11, v47
	;; [unrolled: 2-line block ×3, first 2 shown]
	v_cndmask_b32_e32 v28, 0, v28, vcc_lo
	s_branch .LBB12_29
.LBB12_39:                              ;   in Loop: Header=BB12_30 Depth=1
	v_cmp_gt_i32_e64 s0, s11, v46
	s_waitcnt vmcnt(0)
	v_cndmask_b32_e64 v5, 0, v5, s0
	v_cmp_gt_i32_e64 s0, s11, v48
	v_cndmask_b32_e64 v6, 0, v6, s0
	v_cmp_gt_i32_e64 s0, s11, v47
	;; [unrolled: 2-line block ×3, first 2 shown]
	v_cndmask_b32_e64 v8, 0, v8, s0
	s_or_b32 exec_lo, exec_lo, s5
	global_load_dwordx4 v[9:12], v[21:22], off offset:512
	s_and_saveexec_b32 s5, vcc_lo
	s_cbranch_execz .LBB12_32
.LBB12_40:                              ;   in Loop: Header=BB12_30 Depth=1
	v_cmp_gt_i32_e64 s0, s11, v46
	s_waitcnt vmcnt(0)
	v_cndmask_b32_e64 v9, 0, v9, s0
	v_cmp_gt_i32_e64 s0, s11, v48
	v_cndmask_b32_e64 v10, 0, v10, s0
	v_cmp_gt_i32_e64 s0, s11, v47
	;; [unrolled: 2-line block ×3, first 2 shown]
	v_cndmask_b32_e64 v12, 0, v12, s0
	s_or_b32 exec_lo, exec_lo, s5
	global_load_dwordx4 v[13:16], v[21:22], off offset:1024
	s_and_saveexec_b32 s5, vcc_lo
	s_cbranch_execz .LBB12_33
.LBB12_41:                              ;   in Loop: Header=BB12_30 Depth=1
	v_cmp_gt_i32_e64 s0, s11, v46
	s_waitcnt vmcnt(0)
	v_cndmask_b32_e64 v13, 0, v13, s0
	v_cmp_gt_i32_e64 s0, s11, v48
	v_cndmask_b32_e64 v14, 0, v14, s0
	v_cmp_gt_i32_e64 s0, s11, v47
	;; [unrolled: 2-line block ×3, first 2 shown]
	v_cndmask_b32_e64 v16, 0, v16, s0
	s_or_b32 exec_lo, exec_lo, s5
	global_load_dwordx4 v[17:20], v[21:22], off offset:1536
	s_and_saveexec_b32 s5, vcc_lo
	s_cbranch_execnz .LBB12_34
	s_branch .LBB12_35
.LBB12_42:
	s_or_b32 exec_lo, exec_lo, s3
.LBB12_43:
	s_or_b32 exec_lo, exec_lo, s1
	ds_bpermute_b32 v1, v33, v38
	ds_bpermute_b32 v2, v33, v40
	;; [unrolled: 1-line block ×6, first 2 shown]
	v_lshrrev_b32_e32 v7, 1, v32
	v_mul_u32_u24_e32 v9, 0x180, v31
	v_and_b32_e32 v10, 0x3c1, v0
	s_mov_b32 s0, exec_lo
	s_waitcnt lgkmcnt(0)
	v_lshl_add_u32 v8, v7, 2, 0x1a0
	s_barrier
	buffer_gl0_inv
	v_add_f32_e32 v1, v38, v1
	v_add_f32_e32 v2, v40, v2
	;; [unrolled: 1-line block ×6, first 2 shown]
	v_cmpx_eq_u32_e32 64, v10
	s_cbranch_execz .LBB12_45
; %bb.44:
	v_add_nc_u32_e32 v10, v8, v9
	v_add_nc_u32_e32 v11, 0xfffffd00, v10
	v_add_nc_u32_e32 v12, 0xfffffd40, v10
	v_add_nc_u32_e32 v13, 0xfffffd80, v10
	v_add_nc_u32_e32 v14, 0xfffffdc0, v10
	v_add_nc_u32_e32 v15, 0xfffffe00, v10
	v_add_nc_u32_e32 v10, 0xfffffe40, v10
	ds_write_b32 v11, v1
	ds_write_b32 v12, v2
	;; [unrolled: 1-line block ×6, first 2 shown]
.LBB12_45:
	s_or_b32 exec_lo, exec_lo, s0
	v_lshlrev_b32_e32 v7, 2, v7
	s_mov_b32 s1, exec_lo
	v_cmp_eq_u32_e32 vcc_lo, 0, v34
	s_waitcnt lgkmcnt(0)
	s_barrier
	v_add3_u32 v7, 0x1a0, v9, v7
	buffer_gl0_inv
	v_cmpx_gt_u32_e32 64, v0
	s_cbranch_execz .LBB12_54
; %bb.46:
	s_and_saveexec_b32 s0, vcc_lo
	s_cbranch_execnz .LBB12_68
; %bb.47:
	s_or_b32 exec_lo, exec_lo, s0
	s_and_saveexec_b32 s0, vcc_lo
	s_cbranch_execnz .LBB12_69
.LBB12_48:
	s_or_b32 exec_lo, exec_lo, s0
	s_and_saveexec_b32 s0, vcc_lo
	s_cbranch_execnz .LBB12_70
.LBB12_49:
	s_or_b32 exec_lo, exec_lo, s0
	s_and_saveexec_b32 s0, vcc_lo
	s_cbranch_execnz .LBB12_71
.LBB12_50:
	s_or_b32 exec_lo, exec_lo, s0
	s_and_saveexec_b32 s0, vcc_lo
	s_cbranch_execnz .LBB12_72
.LBB12_51:
	s_or_b32 exec_lo, exec_lo, s0
	s_and_saveexec_b32 s0, vcc_lo
	s_cbranch_execz .LBB12_53
.LBB12_52:
	ds_read_b32 v9, v7 offset:320
	s_waitcnt lgkmcnt(0)
	v_add_f32_e32 v6, v6, v9
.LBB12_53:
	s_or_b32 exec_lo, exec_lo, s0
.LBB12_54:
	s_or_b32 exec_lo, exec_lo, s1
	v_and_b32_e32 v9, 0x3e1, v0
	s_mov_b32 s1, exec_lo
	s_barrier
	buffer_gl0_inv
	v_cmpx_eq_u32_e32 32, v9
	s_cbranch_execz .LBB12_56
; %bb.55:
	ds_write2_b32 v8, v1, v2 offset1:16
	ds_write2_b32 v8, v3, v4 offset0:32 offset1:48
	ds_write2_b32 v8, v5, v6 offset0:64 offset1:80
.LBB12_56:
	s_or_b32 exec_lo, exec_lo, s1
	s_mov_b32 s1, exec_lo
	s_waitcnt lgkmcnt(0)
	s_barrier
	buffer_gl0_inv
	v_cmpx_gt_u32_e32 32, v0
	s_cbranch_execz .LBB12_65
; %bb.57:
	s_and_saveexec_b32 s0, vcc_lo
	s_cbranch_execnz .LBB12_73
; %bb.58:
	s_or_b32 exec_lo, exec_lo, s0
	s_and_saveexec_b32 s0, vcc_lo
	s_cbranch_execnz .LBB12_74
.LBB12_59:
	s_or_b32 exec_lo, exec_lo, s0
	s_and_saveexec_b32 s0, vcc_lo
	s_cbranch_execnz .LBB12_75
.LBB12_60:
	s_or_b32 exec_lo, exec_lo, s0
	s_and_saveexec_b32 s0, vcc_lo
	s_cbranch_execnz .LBB12_76
.LBB12_61:
	s_or_b32 exec_lo, exec_lo, s0
	s_and_saveexec_b32 s0, vcc_lo
	s_cbranch_execnz .LBB12_77
.LBB12_62:
	s_or_b32 exec_lo, exec_lo, s0
	s_and_saveexec_b32 s0, vcc_lo
	s_cbranch_execz .LBB12_64
.LBB12_63:
	ds_read_b32 v7, v7 offset:320
	s_waitcnt lgkmcnt(0)
	v_add_f32_e32 v6, v6, v7
.LBB12_64:
	s_or_b32 exec_lo, exec_lo, s0
.LBB12_65:
	s_or_b32 exec_lo, exec_lo, s1
	s_barrier
	buffer_gl0_inv
	s_mov_b32 s0, exec_lo
	v_cmpx_eq_u32_e32 0, v9
	s_cbranch_execz .LBB12_67
; %bb.66:
	s_mul_i32 s0, s10, s7
	s_mul_i32 s2, s7, s6
	;; [unrolled: 1-line block ×3, first 2 shown]
	v_lshlrev_b32_e32 v0, 1, v0
	s_mulk_i32 s0, 0x60
	s_ashr_i32 s1, s0, 31
	s_lshl_b64 s[0:1], s[0:1], 2
	s_add_u32 s4, s16, s0
	s_addc_u32 s5, s17, s1
	s_ashr_i32 s3, s2, 31
	s_lshl_b64 s[0:1], s[2:3], 2
	s_mul_i32 s2, s8, 0x60
	s_add_u32 s4, s4, s0
	s_addc_u32 s5, s5, s1
	s_ashr_i32 s3, s2, 31
	s_lshl_b64 s[0:1], s[2:3], 2
	s_add_u32 s0, s4, s0
	s_addc_u32 s1, s5, s1
	global_store_dword v0, v1, s[0:1]
	global_store_dword v0, v2, s[0:1] offset:64
	global_store_dword v0, v3, s[0:1] offset:128
	;; [unrolled: 1-line block ×5, first 2 shown]
.LBB12_67:
	s_endpgm
.LBB12_68:
	ds_read_b32 v9, v7
	s_waitcnt lgkmcnt(0)
	v_add_f32_e32 v1, v1, v9
	s_or_b32 exec_lo, exec_lo, s0
	s_and_saveexec_b32 s0, vcc_lo
	s_cbranch_execz .LBB12_48
.LBB12_69:
	ds_read_b32 v9, v7 offset:64
	s_waitcnt lgkmcnt(0)
	v_add_f32_e32 v2, v2, v9
	s_or_b32 exec_lo, exec_lo, s0
	s_and_saveexec_b32 s0, vcc_lo
	s_cbranch_execz .LBB12_49
.LBB12_70:
	ds_read_b32 v9, v7 offset:128
	s_waitcnt lgkmcnt(0)
	v_add_f32_e32 v3, v3, v9
	s_or_b32 exec_lo, exec_lo, s0
	s_and_saveexec_b32 s0, vcc_lo
	s_cbranch_execz .LBB12_50
.LBB12_71:
	ds_read_b32 v9, v7 offset:192
	s_waitcnt lgkmcnt(0)
	v_add_f32_e32 v4, v4, v9
	s_or_b32 exec_lo, exec_lo, s0
	s_and_saveexec_b32 s0, vcc_lo
	s_cbranch_execz .LBB12_51
.LBB12_72:
	ds_read_b32 v9, v7 offset:256
	s_waitcnt lgkmcnt(0)
	v_add_f32_e32 v5, v5, v9
	s_or_b32 exec_lo, exec_lo, s0
	s_and_saveexec_b32 s0, vcc_lo
	s_cbranch_execnz .LBB12_52
	s_branch .LBB12_53
.LBB12_73:
	ds_read_b32 v8, v7
	s_waitcnt lgkmcnt(0)
	v_add_f32_e32 v1, v1, v8
	s_or_b32 exec_lo, exec_lo, s0
	s_and_saveexec_b32 s0, vcc_lo
	s_cbranch_execz .LBB12_59
.LBB12_74:
	ds_read_b32 v8, v7 offset:64
	s_waitcnt lgkmcnt(0)
	v_add_f32_e32 v2, v2, v8
	s_or_b32 exec_lo, exec_lo, s0
	s_and_saveexec_b32 s0, vcc_lo
	s_cbranch_execz .LBB12_60
.LBB12_75:
	ds_read_b32 v8, v7 offset:128
	s_waitcnt lgkmcnt(0)
	v_add_f32_e32 v3, v3, v8
	s_or_b32 exec_lo, exec_lo, s0
	s_and_saveexec_b32 s0, vcc_lo
	s_cbranch_execz .LBB12_61
.LBB12_76:
	ds_read_b32 v8, v7 offset:192
	s_waitcnt lgkmcnt(0)
	v_add_f32_e32 v4, v4, v8
	s_or_b32 exec_lo, exec_lo, s0
	s_and_saveexec_b32 s0, vcc_lo
	s_cbranch_execz .LBB12_62
.LBB12_77:
	ds_read_b32 v8, v7 offset:256
	s_waitcnt lgkmcnt(0)
	v_add_f32_e32 v5, v5, v8
	s_or_b32 exec_lo, exec_lo, s0
	s_and_saveexec_b32 s0, vcc_lo
	s_cbranch_execnz .LBB12_63
	s_branch .LBB12_64
	.section	.rodata,"a",@progbits
	.p2align	6, 0x0
	.amdhsa_kernel _ZN4vllm25paged_attention_v1_kernelIffLi96ELi8ELi128ELNS_18Fp8KVCacheDataTypeE0ELb0EEEvPT_PKS2_PKT0_S8_ifPKiSA_iPKfiiiSC_SC_iiiii
		.amdhsa_group_segment_fixed_size 416
		.amdhsa_private_segment_fixed_size 0
		.amdhsa_kernarg_size 384
		.amdhsa_user_sgpr_count 6
		.amdhsa_user_sgpr_private_segment_buffer 1
		.amdhsa_user_sgpr_dispatch_ptr 0
		.amdhsa_user_sgpr_queue_ptr 0
		.amdhsa_user_sgpr_kernarg_segment_ptr 1
		.amdhsa_user_sgpr_dispatch_id 0
		.amdhsa_user_sgpr_flat_scratch_init 0
		.amdhsa_user_sgpr_private_segment_size 0
		.amdhsa_wavefront_size32 1
		.amdhsa_uses_dynamic_stack 0
		.amdhsa_system_sgpr_private_segment_wavefront_offset 0
		.amdhsa_system_sgpr_workgroup_id_x 1
		.amdhsa_system_sgpr_workgroup_id_y 1
		.amdhsa_system_sgpr_workgroup_id_z 1
		.amdhsa_system_sgpr_workgroup_info 0
		.amdhsa_system_vgpr_workitem_id 0
		.amdhsa_next_free_vgpr 66
		.amdhsa_next_free_sgpr 27
		.amdhsa_reserve_vcc 1
		.amdhsa_reserve_flat_scratch 0
		.amdhsa_float_round_mode_32 0
		.amdhsa_float_round_mode_16_64 0
		.amdhsa_float_denorm_mode_32 3
		.amdhsa_float_denorm_mode_16_64 3
		.amdhsa_dx10_clamp 1
		.amdhsa_ieee_mode 1
		.amdhsa_fp16_overflow 0
		.amdhsa_workgroup_processor_mode 1
		.amdhsa_memory_ordered 1
		.amdhsa_forward_progress 1
		.amdhsa_shared_vgpr_count 0
		.amdhsa_exception_fp_ieee_invalid_op 0
		.amdhsa_exception_fp_denorm_src 0
		.amdhsa_exception_fp_ieee_div_zero 0
		.amdhsa_exception_fp_ieee_overflow 0
		.amdhsa_exception_fp_ieee_underflow 0
		.amdhsa_exception_fp_ieee_inexact 0
		.amdhsa_exception_int_div_zero 0
	.end_amdhsa_kernel
	.section	.text._ZN4vllm25paged_attention_v1_kernelIffLi96ELi8ELi128ELNS_18Fp8KVCacheDataTypeE0ELb0EEEvPT_PKS2_PKT0_S8_ifPKiSA_iPKfiiiSC_SC_iiiii,"axG",@progbits,_ZN4vllm25paged_attention_v1_kernelIffLi96ELi8ELi128ELNS_18Fp8KVCacheDataTypeE0ELb0EEEvPT_PKS2_PKT0_S8_ifPKiSA_iPKfiiiSC_SC_iiiii,comdat
.Lfunc_end12:
	.size	_ZN4vllm25paged_attention_v1_kernelIffLi96ELi8ELi128ELNS_18Fp8KVCacheDataTypeE0ELb0EEEvPT_PKS2_PKT0_S8_ifPKiSA_iPKfiiiSC_SC_iiiii, .Lfunc_end12-_ZN4vllm25paged_attention_v1_kernelIffLi96ELi8ELi128ELNS_18Fp8KVCacheDataTypeE0ELb0EEEvPT_PKS2_PKT0_S8_ifPKiSA_iPKfiiiSC_SC_iiiii
                                        ; -- End function
	.set _ZN4vllm25paged_attention_v1_kernelIffLi96ELi8ELi128ELNS_18Fp8KVCacheDataTypeE0ELb0EEEvPT_PKS2_PKT0_S8_ifPKiSA_iPKfiiiSC_SC_iiiii.num_vgpr, 66
	.set _ZN4vllm25paged_attention_v1_kernelIffLi96ELi8ELi128ELNS_18Fp8KVCacheDataTypeE0ELb0EEEvPT_PKS2_PKT0_S8_ifPKiSA_iPKfiiiSC_SC_iiiii.num_agpr, 0
	.set _ZN4vllm25paged_attention_v1_kernelIffLi96ELi8ELi128ELNS_18Fp8KVCacheDataTypeE0ELb0EEEvPT_PKS2_PKT0_S8_ifPKiSA_iPKfiiiSC_SC_iiiii.numbered_sgpr, 27
	.set _ZN4vllm25paged_attention_v1_kernelIffLi96ELi8ELi128ELNS_18Fp8KVCacheDataTypeE0ELb0EEEvPT_PKS2_PKT0_S8_ifPKiSA_iPKfiiiSC_SC_iiiii.num_named_barrier, 0
	.set _ZN4vllm25paged_attention_v1_kernelIffLi96ELi8ELi128ELNS_18Fp8KVCacheDataTypeE0ELb0EEEvPT_PKS2_PKT0_S8_ifPKiSA_iPKfiiiSC_SC_iiiii.private_seg_size, 0
	.set _ZN4vllm25paged_attention_v1_kernelIffLi96ELi8ELi128ELNS_18Fp8KVCacheDataTypeE0ELb0EEEvPT_PKS2_PKT0_S8_ifPKiSA_iPKfiiiSC_SC_iiiii.uses_vcc, 1
	.set _ZN4vllm25paged_attention_v1_kernelIffLi96ELi8ELi128ELNS_18Fp8KVCacheDataTypeE0ELb0EEEvPT_PKS2_PKT0_S8_ifPKiSA_iPKfiiiSC_SC_iiiii.uses_flat_scratch, 0
	.set _ZN4vllm25paged_attention_v1_kernelIffLi96ELi8ELi128ELNS_18Fp8KVCacheDataTypeE0ELb0EEEvPT_PKS2_PKT0_S8_ifPKiSA_iPKfiiiSC_SC_iiiii.has_dyn_sized_stack, 0
	.set _ZN4vllm25paged_attention_v1_kernelIffLi96ELi8ELi128ELNS_18Fp8KVCacheDataTypeE0ELb0EEEvPT_PKS2_PKT0_S8_ifPKiSA_iPKfiiiSC_SC_iiiii.has_recursion, 0
	.set _ZN4vllm25paged_attention_v1_kernelIffLi96ELi8ELi128ELNS_18Fp8KVCacheDataTypeE0ELb0EEEvPT_PKS2_PKT0_S8_ifPKiSA_iPKfiiiSC_SC_iiiii.has_indirect_call, 0
	.section	.AMDGPU.csdata,"",@progbits
; Kernel info:
; codeLenInByte = 4392
; TotalNumSgprs: 29
; NumVgprs: 66
; ScratchSize: 0
; MemoryBound: 0
; FloatMode: 240
; IeeeMode: 1
; LDSByteSize: 416 bytes/workgroup (compile time only)
; SGPRBlocks: 0
; VGPRBlocks: 8
; NumSGPRsForWavesPerEU: 29
; NumVGPRsForWavesPerEU: 66
; Occupancy: 12
; WaveLimiterHint : 1
; COMPUTE_PGM_RSRC2:SCRATCH_EN: 0
; COMPUTE_PGM_RSRC2:USER_SGPR: 6
; COMPUTE_PGM_RSRC2:TRAP_HANDLER: 0
; COMPUTE_PGM_RSRC2:TGID_X_EN: 1
; COMPUTE_PGM_RSRC2:TGID_Y_EN: 1
; COMPUTE_PGM_RSRC2:TGID_Z_EN: 1
; COMPUTE_PGM_RSRC2:TIDIG_COMP_CNT: 0
	.section	.text._ZN4vllm25paged_attention_v1_kernelIffLi112ELi8ELi128ELNS_18Fp8KVCacheDataTypeE0ELb0EEEvPT_PKS2_PKT0_S8_ifPKiSA_iPKfiiiSC_SC_iiiii,"axG",@progbits,_ZN4vllm25paged_attention_v1_kernelIffLi112ELi8ELi128ELNS_18Fp8KVCacheDataTypeE0ELb0EEEvPT_PKS2_PKT0_S8_ifPKiSA_iPKfiiiSC_SC_iiiii,comdat
	.protected	_ZN4vllm25paged_attention_v1_kernelIffLi112ELi8ELi128ELNS_18Fp8KVCacheDataTypeE0ELb0EEEvPT_PKS2_PKT0_S8_ifPKiSA_iPKfiiiSC_SC_iiiii ; -- Begin function _ZN4vllm25paged_attention_v1_kernelIffLi112ELi8ELi128ELNS_18Fp8KVCacheDataTypeE0ELb0EEEvPT_PKS2_PKT0_S8_ifPKiSA_iPKfiiiSC_SC_iiiii
	.globl	_ZN4vllm25paged_attention_v1_kernelIffLi112ELi8ELi128ELNS_18Fp8KVCacheDataTypeE0ELb0EEEvPT_PKS2_PKT0_S8_ifPKiSA_iPKfiiiSC_SC_iiiii
	.p2align	8
	.type	_ZN4vllm25paged_attention_v1_kernelIffLi112ELi8ELi128ELNS_18Fp8KVCacheDataTypeE0ELb0EEEvPT_PKS2_PKT0_S8_ifPKiSA_iPKfiiiSC_SC_iiiii,@function
_ZN4vllm25paged_attention_v1_kernelIffLi112ELi8ELi128ELNS_18Fp8KVCacheDataTypeE0ELb0EEEvPT_PKS2_PKT0_S8_ifPKiSA_iPKfiiiSC_SC_iiiii: ; @_ZN4vllm25paged_attention_v1_kernelIffLi112ELi8ELi128ELNS_18Fp8KVCacheDataTypeE0ELb0EEEvPT_PKS2_PKT0_S8_ifPKiSA_iPKfiiiSC_SC_iiiii
; %bb.0:
	s_clause 0x2
	s_load_dword s9, s[4:5], 0x80
	s_load_dwordx2 s[0:1], s[4:5], 0x30
	s_load_dwordx2 s[24:25], s[4:5], 0x20
	s_mov_b32 s10, s7
	s_ashr_i32 s11, s7, 31
	s_lshl_b64 s[2:3], s[10:11], 2
	s_waitcnt lgkmcnt(0)
	s_add_u32 s0, s0, s2
	s_addc_u32 s1, s1, s3
	s_abs_i32 s2, s24
	s_abs_i32 s11, s9
	v_cvt_f32_u32_e32 v1, s2
	s_sub_i32 s7, 0, s2
	v_rcp_iflag_f32_e32 v1, v1
	v_mul_f32_e32 v1, 0x4f7ffffe, v1
	v_cvt_u32_f32_e32 v1, v1
	v_readfirstlane_b32 s3, v1
	s_mul_i32 s7, s7, s3
	s_mul_hi_u32 s7, s3, s7
	s_add_i32 s3, s3, s7
	s_xor_b32 s7, s9, s24
	s_mul_hi_u32 s3, s11, s3
	s_ashr_i32 s7, s7, 31
	s_mul_i32 s12, s3, s2
	s_mov_b32 s24, 0
	s_sub_i32 s11, s11, s12
	s_add_i32 s12, s3, 1
	s_sub_i32 s13, s11, s2
	s_cmp_ge_u32 s11, s2
	s_cselect_b32 s3, s12, s3
	s_cselect_b32 s11, s13, s11
	s_add_i32 s12, s3, 1
	s_cmp_ge_u32 s11, s2
	s_cselect_b32 s2, s12, s3
	s_abs_i32 s17, s6
	s_xor_b32 s2, s2, s7
	s_sub_i32 s18, s2, s7
	s_load_dwordx2 s[2:3], s[4:5], 0x40
	s_abs_i32 s16, s18
	v_cvt_f32_u32_e32 v1, s16
	s_sub_i32 s11, 0, s16
	v_rcp_iflag_f32_e32 v1, v1
	v_mul_f32_e32 v1, 0x4f7ffffe, v1
	v_cvt_u32_f32_e32 v1, v1
	v_readfirstlane_b32 s7, v1
	s_mul_i32 s11, s11, s7
	s_mul_hi_u32 s11, s7, s11
	s_add_i32 s7, s7, s11
	s_waitcnt lgkmcnt(0)
	s_cmp_eq_u64 s[2:3], 0
	s_mul_hi_u32 s20, s17, s7
	s_cbranch_scc1 .LBB13_2
; %bb.1:
	s_ashr_i32 s7, s6, 31
	s_lshl_b64 s[12:13], s[6:7], 2
	s_add_u32 s2, s2, s12
	s_addc_u32 s3, s3, s13
	s_load_dword s24, s[2:3], 0x0
.LBB13_2:
	s_load_dword s11, s[0:1], 0x0
	s_load_dwordx4 s[12:15], s[4:5], 0x48
	v_and_b32_e32 v29, 3, v0
	v_lshlrev_b32_e32 v31, 2, v0
	s_ashr_i32 s0, s6, 31
	s_ashr_i32 s1, s18, 31
	s_mulk_i32 s6, 0x70
	s_mov_b32 s2, exec_lo
	v_cmpx_gt_u32_e32 0x70, v0
	s_cbranch_execz .LBB13_4
; %bb.3:
	s_load_dwordx2 s[18:19], s[4:5], 0x8
	s_waitcnt lgkmcnt(0)
	s_mul_i32 s22, s12, s10
	v_and_b32_e32 v2, 0x3fc, v0
	s_ashr_i32 s23, s22, 31
	s_lshl_b64 s[22:23], s[22:23], 2
	v_mad_u32_u24 v2, 0x70, v29, v2
	s_add_u32 s3, s18, s22
	s_addc_u32 s12, s19, s23
	s_ashr_i32 s7, s6, 31
	s_lshl_b64 s[18:19], s[6:7], 2
	s_add_u32 s18, s3, s18
	s_addc_u32 s19, s12, s19
	global_load_dword v1, v31, s[18:19]
	s_waitcnt vmcnt(0)
	ds_write_b32 v2, v1
.LBB13_4:
	s_or_b32 exec_lo, exec_lo, s2
	s_waitcnt lgkmcnt(0)
	s_add_i32 s2, s11, 7
	s_clause 0x1
	s_load_dwordx2 s[18:19], s[4:5], 0x28
	s_load_dword s7, s[4:5], 0x38
	s_ashr_i32 s3, s2, 31
	s_xor_b32 s0, s0, s1
	s_lshr_b32 s3, s3, 29
	s_mul_i32 s1, s20, s16
	s_add_i32 s2, s2, s3
	s_sub_i32 s1, s17, s1
	s_ashr_i32 s12, s2, 3
	s_add_i32 s2, s20, 1
	s_sub_i32 s3, s1, s16
	s_cmp_ge_u32 s1, s16
	v_lshrrev_b32_e32 v35, 5, v0
	s_cselect_b32 s2, s2, s20
	s_cselect_b32 s1, s3, s1
	s_add_i32 s3, s2, 1
	s_cmp_ge_u32 s1, s16
	v_mbcnt_lo_u32_b32 v33, -1, 0
	s_cselect_b32 s1, s3, s2
	s_mov_b32 s2, exec_lo
	s_xor_b32 s1, s1, s0
	s_waitcnt lgkmcnt(0)
	s_mul_i32 s20, s7, s10
	s_sub_i32 s1, s1, s0
	v_cmp_gt_i32_e64 s0, s12, v35
	s_ashr_i32 s21, s20, 31
	s_barrier
	buffer_gl0_inv
                                        ; implicit-def: $vgpr34
                                        ; implicit-def: $vgpr37
	v_cmpx_le_i32_e64 s12, v35
	s_xor_b32 s2, exec_lo, s2
; %bb.5:
	v_mov_b32_e32 v34, 0
	v_mbcnt_lo_u32_b32 v33, -1, 0
	v_mov_b32_e32 v37, 32
                                        ; implicit-def: $vgpr29
; %bb.6:
	s_or_saveexec_b32 s26, s2
	s_clause 0x2
	s_load_dwordx2 s[16:17], s[4:5], 0x0
	s_load_dwordx2 s[22:23], s[4:5], 0x18
	s_load_dword s7, s[4:5], 0x88
	v_mov_b32_e32 v36, 0xff7fffff
	v_lshrrev_b32_e32 v32, 3, v0
	s_mul_i32 s14, s1, s14
	s_xor_b32 exec_lo, exec_lo, s26
	s_cbranch_execz .LBB13_12
; %bb.7:
	s_load_dwordx2 s[2:3], s[4:5], 0x10
	v_bfe_u32 v30, v0, 2, 3
	v_xor_b32_e32 v18, 2, v33
	s_ashr_i32 s15, s14, 31
	v_xor_b32_e32 v19, 1, v33
	s_lshl_b64 s[4:5], s[14:15], 2
	v_lshlrev_b32_e32 v20, 4, v30
	v_cmp_gt_i32_e32 vcc_lo, 32, v18
	v_lshlrev_b32_e32 v17, 2, v29
	v_mul_u32_u24_e32 v25, 0x70, v29
	ds_read_b128 v[1:4], v25
	ds_read_b128 v[5:8], v25 offset:16
	ds_read_b128 v[9:12], v25 offset:32
	;; [unrolled: 1-line block ×3, first 2 shown]
	v_cndmask_b32_e32 v40, v33, v18, vcc_lo
	v_cmp_gt_i32_e32 vcc_lo, 32, v19
	v_lshlrev_b32_e32 v36, 2, v30
	v_lshl_or_b32 v42, v35, 3, v30
	v_and_b32_e32 v30, 0x7c, v32
	s_waitcnt lgkmcnt(0)
	s_add_u32 s1, s2, s4
	s_addc_u32 s2, s3, s5
	v_add_co_u32 v18, s1, s1, v20
	v_add_co_ci_u32_e64 v20, null, s2, 0, s1
	v_cndmask_b32_e32 v41, v33, v19, vcc_lo
	v_add_co_u32 v38, vcc_lo, v18, v17
	v_add_co_ci_u32_e64 v39, null, 0, v20, vcc_lo
	ds_read_b128 v[17:20], v25 offset:64
	ds_read_b128 v[21:24], v25 offset:80
	;; [unrolled: 1-line block ×3, first 2 shown]
	v_cmp_eq_u32_e32 vcc_lo, 0, v29
	v_lshl_or_b32 v29, v35, 5, v36
	s_lshl_b64 s[2:3], s[20:21], 2
	s_sub_i32 s4, 1, s11
	s_add_u32 s2, s18, s2
	s_addc_u32 s3, s19, s3
	v_add_nc_u32_e32 v43, 0x1e0, v29
	v_add_co_u32 v29, s2, s2, v30
	v_mov_b32_e32 v34, 0
	v_mov_b32_e32 v37, 32
	v_lshlrev_b32_e32 v40, 2, v40
	v_lshlrev_b32_e32 v41, 2, v41
	v_cmp_neq_f32_e64 s1, s24, 0
	v_add_co_ci_u32_e64 v30, null, s3, 0, s2
	v_mov_b32_e32 v36, 0xff7fffff
	v_mov_b32_e32 v44, v35
	s_mov_b32 s15, s13
	s_mov_b32 s5, 0
	s_branch .LBB13_9
.LBB13_8:                               ;   in Loop: Header=BB13_9 Depth=1
	s_or_b32 exec_lo, exec_lo, s3
	v_add_nc_u32_e32 v44, 4, v44
	v_add_co_u32 v29, s3, v29, 16
	v_add_nc_u32_e32 v42, 32, v42
	v_add_nc_u32_e32 v43, 0x80, v43
	v_cmp_le_i32_e64 s2, s12, v44
	v_add_co_ci_u32_e64 v30, null, 0, v30, s3
	s_or_b32 s5, s2, s5
	s_andn2_b32 exec_lo, exec_lo, s5
	s_cbranch_execz .LBB13_11
.LBB13_9:                               ; =>This Inner Loop Header: Depth=1
	global_load_dword v45, v[29:30], off
	s_waitcnt vmcnt(0) lgkmcnt(0)
	v_mad_i64_i32 v[45:46], null, v45, s15, 0
	v_lshlrev_b64 v[45:46], 2, v[45:46]
	v_add_co_u32 v45, s2, v38, v45
	v_add_co_ci_u32_e64 v46, null, v39, v46, s2
	s_clause 0xe
	global_load_dword v49, v[45:46], off offset:128
	global_load_dword v50, v[45:46], off offset:256
	;; [unrolled: 1-line block ×7, first 2 shown]
	global_load_dword v56, v[45:46], off
	global_load_dword v57, v[45:46], off offset:1024
	global_load_dword v58, v[45:46], off offset:1152
	;; [unrolled: 1-line block ×7, first 2 shown]
	v_add_co_u32 v47, s2, 0x800, v45
	v_add_co_ci_u32_e64 v48, null, 0, v46, s2
	s_clause 0xc
	global_load_dword v45, v[45:46], off offset:1920
	global_load_dword v46, v[47:48], off
	global_load_dword v64, v[47:48], off offset:128
	global_load_dword v65, v[47:48], off offset:256
	;; [unrolled: 1-line block ×11, first 2 shown]
	s_waitcnt vmcnt(27)
	v_mul_f32_e32 v48, v2, v49
	s_waitcnt vmcnt(20)
	v_fmac_f32_e32 v48, v1, v56
	v_fmac_f32_e32 v48, v3, v50
	;; [unrolled: 1-line block ×7, first 2 shown]
	s_waitcnt vmcnt(19)
	v_fmac_f32_e32 v48, v9, v57
	s_waitcnt vmcnt(18)
	v_fmac_f32_e32 v48, v10, v58
	;; [unrolled: 2-line block ×8, first 2 shown]
	s_waitcnt vmcnt(11) lgkmcnt(2)
	v_fmac_f32_e32 v48, v17, v46
	s_waitcnt vmcnt(10)
	v_fmac_f32_e32 v48, v18, v64
	s_waitcnt vmcnt(9)
	v_fmac_f32_e32 v48, v19, v65
	s_waitcnt vmcnt(8)
	v_fmac_f32_e32 v48, v20, v66
	s_waitcnt vmcnt(7) lgkmcnt(1)
	v_fmac_f32_e32 v48, v21, v67
	s_waitcnt vmcnt(6)
	v_fmac_f32_e32 v48, v22, v68
	s_waitcnt vmcnt(5)
	v_fmac_f32_e32 v48, v23, v69
	s_waitcnt vmcnt(4)
	v_fmac_f32_e32 v48, v24, v70
	;; [unrolled: 8-line block ×3, first 2 shown]
	ds_bpermute_b32 v45, v40, v48
	s_waitcnt lgkmcnt(0)
	v_add_f32_e32 v45, v48, v45
	ds_bpermute_b32 v46, v41, v45
	s_and_saveexec_b32 s3, vcc_lo
	s_cbranch_execz .LBB13_8
; %bb.10:                               ;   in Loop: Header=BB13_9 Depth=1
	v_add_nc_u32_e32 v47, s4, v42
	s_waitcnt lgkmcnt(0)
	v_add_f32_e32 v45, v45, v46
	v_cmp_gt_i32_e64 s2, s11, v42
	v_cvt_f32_i32_e32 v47, v47
	v_mul_f32_e32 v47, s24, v47
	v_cndmask_b32_e64 v46, 0, v47, s1
	v_max_f32_e32 v47, v36, v36
	v_fmac_f32_e32 v46, s25, v45
	v_max_f32_e32 v45, v47, v46
	v_cndmask_b32_e64 v46, 0, v46, s2
	v_cndmask_b32_e64 v36, v36, v45, s2
	ds_write_b32 v43, v46
	s_branch .LBB13_8
.LBB13_11:
	s_or_b32 exec_lo, exec_lo, s5
.LBB13_12:
	s_or_b32 exec_lo, exec_lo, s26
	v_xor_b32_e32 v1, 16, v33
	v_xor_b32_e32 v3, 8, v33
	v_max_f32_e32 v4, v36, v36
	v_xor_b32_e32 v5, 4, v33
	v_cmp_lt_i32_e32 vcc_lo, v1, v37
	v_cndmask_b32_e32 v1, v33, v1, vcc_lo
	v_cmp_lt_i32_e32 vcc_lo, v3, v37
	v_lshlrev_b32_e32 v2, 2, v1
	v_cndmask_b32_e32 v3, v33, v3, vcc_lo
	v_cmp_lt_i32_e32 vcc_lo, v5, v37
	ds_bpermute_b32 v1, v2, v36
	v_lshlrev_b32_e32 v3, 2, v3
	v_cndmask_b32_e32 v5, v33, v5, vcc_lo
	v_and_b32_e32 v36, 31, v0
	v_lshlrev_b32_e32 v6, 2, v5
	v_cmp_eq_u32_e32 vcc_lo, 0, v36
	s_waitcnt lgkmcnt(0)
	v_max_f32_e32 v1, v1, v1
	v_max_f32_e32 v1, v4, v1
	ds_bpermute_b32 v4, v3, v1
	s_waitcnt lgkmcnt(0)
	v_max_f32_e32 v4, v4, v4
	v_max_f32_e32 v1, v1, v4
	v_lshlrev_b32_e32 v4, 2, v35
	ds_bpermute_b32 v5, v6, v1
	s_and_saveexec_b32 s1, vcc_lo
	s_cbranch_execz .LBB13_14
; %bb.13:
	s_waitcnt lgkmcnt(0)
	v_max_f32_e32 v5, v5, v5
	v_max_f32_e32 v1, v1, v1
	;; [unrolled: 1-line block ×3, first 2 shown]
	ds_write_b32 v4, v1 offset:448
.LBB13_14:
	s_or_b32 exec_lo, exec_lo, s1
	v_cmp_gt_u32_e64 s1, 4, v36
	v_mov_b32_e32 v1, 0xff7fffff
	s_waitcnt lgkmcnt(0)
	v_lshlrev_b32_e32 v5, 2, v36
	s_barrier
	buffer_gl0_inv
	s_and_saveexec_b32 s2, s1
; %bb.15:
	ds_read_b32 v1, v5 offset:448
; %bb.16:
	s_or_b32 exec_lo, exec_lo, s2
	v_xor_b32_e32 v7, 2, v33
	v_xor_b32_e32 v9, 1, v33
	v_cmp_lt_i32_e64 s2, v7, v37
	v_cndmask_b32_e64 v7, v33, v7, s2
	v_cmp_lt_i32_e64 s2, v9, v37
	v_lshlrev_b32_e32 v7, 2, v7
	v_cndmask_b32_e64 v9, v33, v9, s2
	s_lshl_b32 s2, s12, 3
	s_min_i32 s4, s2, s11
	s_waitcnt lgkmcnt(0)
	ds_bpermute_b32 v8, v7, v1
	v_max_f32_e32 v1, v1, v1
	v_lshlrev_b32_e32 v37, 2, v9
	v_cmp_gt_i32_e64 s2, s4, v0
	s_waitcnt lgkmcnt(0)
	v_max_f32_e32 v8, v8, v8
	v_max_f32_e32 v1, v1, v8
	ds_bpermute_b32 v8, v37, v1
	s_waitcnt lgkmcnt(0)
	v_max_f32_e32 v8, v8, v8
	v_max_f32_e32 v1, v1, v8
	v_lshlrev_b32_e32 v8, 2, v34
	ds_bpermute_b32 v9, v8, v1
	v_mov_b32_e32 v8, 0
	v_lshl_add_u32 v1, v0, 2, 0x1e0
	s_and_saveexec_b32 s5, s2
	s_cbranch_execz .LBB13_20
; %bb.17:
	v_lshl_add_u32 v10, v0, 2, 0x1e0
	v_mov_b32_e32 v8, 0
	v_mov_b32_e32 v11, v0
	s_mov_b32 s15, 0
	.p2align	6
.LBB13_18:                              ; =>This Inner Loop Header: Depth=1
	ds_read_b32 v12, v10
	v_add_nc_u32_e32 v11, 0x80, v11
	v_cmp_le_i32_e64 s3, s4, v11
	s_or_b32 s15, s3, s15
	s_waitcnt lgkmcnt(0)
	v_sub_f32_e32 v12, v12, v9
	v_mul_f32_e32 v12, 0x3fb8aa3b, v12
	v_exp_f32_e32 v12, v12
	ds_write_b32 v10, v12
	v_add_f32_e32 v8, v8, v12
	v_add_nc_u32_e32 v10, 0x200, v10
	s_andn2_b32 exec_lo, exec_lo, s15
	s_cbranch_execnz .LBB13_18
; %bb.19:
	s_or_b32 exec_lo, exec_lo, s15
.LBB13_20:
	s_or_b32 exec_lo, exec_lo, s5
	ds_bpermute_b32 v2, v2, v8
	s_waitcnt lgkmcnt(0)
	v_add_f32_e32 v2, v8, v2
	ds_bpermute_b32 v3, v3, v2
	s_waitcnt lgkmcnt(0)
	v_add_f32_e32 v2, v2, v3
	;; [unrolled: 3-line block ×5, first 2 shown]
	s_and_saveexec_b32 s3, vcc_lo
; %bb.21:
	ds_write_b32 v4, v2 offset:464
; %bb.22:
	s_or_b32 exec_lo, exec_lo, s3
	s_waitcnt lgkmcnt(0)
	s_barrier
	buffer_gl0_inv
	s_and_saveexec_b32 s3, s1
; %bb.23:
	ds_read_b32 v2, v5 offset:464
; %bb.24:
	s_or_b32 exec_lo, exec_lo, s3
	s_waitcnt lgkmcnt(0)
	ds_bpermute_b32 v3, v7, v2
	v_lshlrev_b32_e32 v4, 2, v33
	s_waitcnt lgkmcnt(0)
	v_add_f32_e32 v2, v2, v3
	ds_bpermute_b32 v3, v37, v2
	s_waitcnt lgkmcnt(0)
	v_add_f32_e32 v2, v2, v3
	v_and_b32_e32 v3, 0xffffff80, v4
	ds_bpermute_b32 v2, v3, v2
	s_and_saveexec_b32 s1, s2
	s_cbranch_execz .LBB13_27
; %bb.25:
	s_waitcnt lgkmcnt(0)
	v_add_f32_e32 v2, 0x358637bd, v2
	s_mov_b32 s2, 0
	v_div_scale_f32 v3, null, v2, v2, 1.0
	v_div_scale_f32 v6, vcc_lo, 1.0, v2, 1.0
	v_rcp_f32_e32 v4, v3
	v_fma_f32 v5, -v3, v4, 1.0
	v_fmac_f32_e32 v4, v5, v4
	v_mul_f32_e32 v5, v6, v4
	v_fma_f32 v7, -v3, v5, v6
	v_fmac_f32_e32 v5, v7, v4
	v_fma_f32 v3, -v3, v5, v6
	v_div_fmas_f32 v3, v3, v4, v5
	v_div_fixup_f32 v2, v3, v2, 1.0
	v_mov_b32_e32 v3, v0
.LBB13_26:                              ; =>This Inner Loop Header: Depth=1
	ds_read_b32 v4, v1
	v_add_nc_u32_e32 v3, 0x80, v3
	v_cmp_le_i32_e32 vcc_lo, s4, v3
	s_or_b32 s2, vcc_lo, s2
	s_waitcnt lgkmcnt(0)
	v_mul_f32_e32 v4, v2, v4
	ds_write_b32 v1, v4
	v_add_nc_u32_e32 v1, 0x200, v1
	s_andn2_b32 exec_lo, exec_lo, s2
	s_cbranch_execnz .LBB13_26
.LBB13_27:
	s_or_b32 exec_lo, exec_lo, s1
	v_mov_b32_e32 v43, 0
	v_and_b32_e32 v38, 1, v0
	v_mov_b32_e32 v45, 0
	v_mov_b32_e32 v44, 0
	;; [unrolled: 1-line block ×6, first 2 shown]
	s_waitcnt lgkmcnt(0)
	s_barrier
	buffer_gl0_inv
	s_and_saveexec_b32 s1, s0
	s_cbranch_execz .LBB13_45
; %bb.28:
	v_lshlrev_b32_e32 v2, 4, v0
	s_ashr_i32 s15, s14, 31
	v_and_b32_e32 v1, 4, v31
	v_lshlrev_b32_e32 v4, 3, v35
	s_lshl_b64 s[2:3], s[14:15], 2
	v_and_b32_e32 v2, 0x1f0, v2
	v_lshlrev_b32_e32 v3, 4, v38
	s_add_u32 s0, s22, s2
	v_or3_b32 v48, v4, v1, 3
	v_and_b32_e32 v1, 0x7c, v32
	s_addc_u32 s3, s23, s3
	v_add_co_u32 v46, s0, s0, v2
	s_lshl_b64 s[4:5], s[20:21], 2
	s_add_i32 s2, s12, -1
	v_lshl_or_b32 v3, v35, 5, v3
	v_add_co_ci_u32_e64 v47, null, s3, 0, s0
	s_add_u32 s0, s18, s4
	s_addc_u32 s3, s19, s5
	v_add_co_u32 v33, s0, s0, v1
	v_mov_b32_e32 v39, 0
	v_add_nc_u32_e32 v49, 0x1e0, v3
	v_add_co_ci_u32_e64 v34, null, s3, 0, s0
	v_mov_b32_e32 v40, 0
	v_mov_b32_e32 v41, 0
	;; [unrolled: 1-line block ×7, first 2 shown]
	s_mov_b32 s4, s13
	s_mov_b32 s3, 0
	s_branch .LBB13_30
.LBB13_29:                              ;   in Loop: Header=BB13_30 Depth=1
	s_or_b32 exec_lo, exec_lo, s0
	s_waitcnt vmcnt(1) lgkmcnt(0)
	v_mul_f32_e32 v25, v1, v25
	v_mul_f32_e32 v21, v1, v21
	;; [unrolled: 1-line block ×6, first 2 shown]
	s_waitcnt vmcnt(0)
	v_mul_f32_e32 v1, v1, v29
	v_fmac_f32_e32 v25, v2, v26
	v_fmac_f32_e32 v21, v2, v22
	;; [unrolled: 1-line block ×14, first 2 shown]
	v_add_nc_u32_e32 v50, 4, v50
	v_fmac_f32_e32 v25, v4, v28
	v_fmac_f32_e32 v21, v4, v24
	;; [unrolled: 1-line block ×7, first 2 shown]
	v_cmp_le_i32_e32 vcc_lo, s12, v50
	v_add_co_u32 v33, s0, v33, 16
	v_add_f32_e32 v40, v40, v25
	v_add_f32_e32 v41, v41, v21
	;; [unrolled: 1-line block ×7, first 2 shown]
	v_add_nc_u32_e32 v48, 32, v48
	v_add_nc_u32_e32 v49, 0x80, v49
	v_add_co_ci_u32_e64 v34, null, 0, v34, s0
	s_or_b32 s3, vcc_lo, s3
	s_andn2_b32 exec_lo, exec_lo, s3
	s_cbranch_execz .LBB13_44
.LBB13_30:                              ; =>This Inner Loop Header: Depth=1
	global_load_dword v1, v[33:34], off
	v_add_nc_u32_e32 v51, -3, v48
	v_add_nc_u32_e32 v53, -2, v48
	;; [unrolled: 1-line block ×3, first 2 shown]
	s_waitcnt vmcnt(0)
	v_mad_i64_i32 v[1:2], null, v1, s4, 0
	v_lshlrev_b64 v[1:2], 2, v[1:2]
	v_add_co_u32 v21, vcc_lo, v46, v1
	v_add_co_ci_u32_e64 v22, null, v47, v2, vcc_lo
	ds_read_b128 v[1:4], v49
	v_cmp_eq_u32_e32 vcc_lo, s2, v50
	global_load_dwordx4 v[5:8], v[21:22], off
	s_and_saveexec_b32 s5, vcc_lo
	s_cbranch_execnz .LBB13_38
; %bb.31:                               ;   in Loop: Header=BB13_30 Depth=1
	s_or_b32 exec_lo, exec_lo, s5
	global_load_dwordx4 v[9:12], v[21:22], off offset:512
	s_and_saveexec_b32 s5, vcc_lo
	s_cbranch_execnz .LBB13_39
.LBB13_32:                              ;   in Loop: Header=BB13_30 Depth=1
	s_or_b32 exec_lo, exec_lo, s5
	global_load_dwordx4 v[13:16], v[21:22], off offset:1024
	s_and_saveexec_b32 s5, vcc_lo
	s_cbranch_execnz .LBB13_40
.LBB13_33:                              ;   in Loop: Header=BB13_30 Depth=1
	s_or_b32 exec_lo, exec_lo, s5
	global_load_dwordx4 v[17:20], v[21:22], off offset:1536
	s_and_saveexec_b32 s5, vcc_lo
	s_cbranch_execz .LBB13_35
.LBB13_34:                              ;   in Loop: Header=BB13_30 Depth=1
	v_cmp_gt_i32_e64 s0, s11, v51
	s_waitcnt vmcnt(0)
	v_cndmask_b32_e64 v17, 0, v17, s0
	v_cmp_gt_i32_e64 s0, s11, v53
	v_cndmask_b32_e64 v18, 0, v18, s0
	v_cmp_gt_i32_e64 s0, s11, v52
	;; [unrolled: 2-line block ×3, first 2 shown]
	v_cndmask_b32_e64 v20, 0, v20, s0
.LBB13_35:                              ;   in Loop: Header=BB13_30 Depth=1
	s_or_b32 exec_lo, exec_lo, s5
	v_add_co_u32 v29, s0, 0x800, v21
	v_add_co_ci_u32_e64 v30, null, 0, v22, s0
	global_load_dwordx4 v[21:24], v[29:30], off
	s_and_saveexec_b32 s5, vcc_lo
	s_cbranch_execnz .LBB13_41
; %bb.36:                               ;   in Loop: Header=BB13_30 Depth=1
	s_or_b32 exec_lo, exec_lo, s5
	global_load_dwordx4 v[25:28], v[29:30], off offset:512
	s_and_saveexec_b32 s5, vcc_lo
	s_cbranch_execnz .LBB13_42
.LBB13_37:                              ;   in Loop: Header=BB13_30 Depth=1
	s_or_b32 exec_lo, exec_lo, s5
	global_load_dwordx4 v[29:32], v[29:30], off offset:1024
	s_and_saveexec_b32 s0, vcc_lo
	s_cbranch_execz .LBB13_29
	s_branch .LBB13_43
.LBB13_38:                              ;   in Loop: Header=BB13_30 Depth=1
	v_cmp_gt_i32_e64 s0, s11, v51
	s_waitcnt vmcnt(0)
	v_cndmask_b32_e64 v5, 0, v5, s0
	v_cmp_gt_i32_e64 s0, s11, v53
	v_cndmask_b32_e64 v6, 0, v6, s0
	v_cmp_gt_i32_e64 s0, s11, v52
	;; [unrolled: 2-line block ×3, first 2 shown]
	v_cndmask_b32_e64 v8, 0, v8, s0
	s_or_b32 exec_lo, exec_lo, s5
	global_load_dwordx4 v[9:12], v[21:22], off offset:512
	s_and_saveexec_b32 s5, vcc_lo
	s_cbranch_execz .LBB13_32
.LBB13_39:                              ;   in Loop: Header=BB13_30 Depth=1
	v_cmp_gt_i32_e64 s0, s11, v51
	s_waitcnt vmcnt(0)
	v_cndmask_b32_e64 v9, 0, v9, s0
	v_cmp_gt_i32_e64 s0, s11, v53
	v_cndmask_b32_e64 v10, 0, v10, s0
	v_cmp_gt_i32_e64 s0, s11, v52
	;; [unrolled: 2-line block ×3, first 2 shown]
	v_cndmask_b32_e64 v12, 0, v12, s0
	s_or_b32 exec_lo, exec_lo, s5
	global_load_dwordx4 v[13:16], v[21:22], off offset:1024
	s_and_saveexec_b32 s5, vcc_lo
	s_cbranch_execz .LBB13_33
.LBB13_40:                              ;   in Loop: Header=BB13_30 Depth=1
	v_cmp_gt_i32_e64 s0, s11, v51
	s_waitcnt vmcnt(0)
	v_cndmask_b32_e64 v13, 0, v13, s0
	v_cmp_gt_i32_e64 s0, s11, v53
	v_cndmask_b32_e64 v14, 0, v14, s0
	v_cmp_gt_i32_e64 s0, s11, v52
	;; [unrolled: 2-line block ×3, first 2 shown]
	v_cndmask_b32_e64 v16, 0, v16, s0
	s_or_b32 exec_lo, exec_lo, s5
	global_load_dwordx4 v[17:20], v[21:22], off offset:1536
	s_and_saveexec_b32 s5, vcc_lo
	s_cbranch_execnz .LBB13_34
	s_branch .LBB13_35
.LBB13_41:                              ;   in Loop: Header=BB13_30 Depth=1
	v_cmp_gt_i32_e64 s0, s11, v51
	s_waitcnt vmcnt(0)
	v_cndmask_b32_e64 v21, 0, v21, s0
	v_cmp_gt_i32_e64 s0, s11, v53
	v_cndmask_b32_e64 v22, 0, v22, s0
	v_cmp_gt_i32_e64 s0, s11, v52
	;; [unrolled: 2-line block ×3, first 2 shown]
	v_cndmask_b32_e64 v24, 0, v24, s0
	s_or_b32 exec_lo, exec_lo, s5
	global_load_dwordx4 v[25:28], v[29:30], off offset:512
	s_and_saveexec_b32 s5, vcc_lo
	s_cbranch_execz .LBB13_37
.LBB13_42:                              ;   in Loop: Header=BB13_30 Depth=1
	v_cmp_gt_i32_e64 s0, s11, v51
	s_waitcnt vmcnt(0)
	v_cndmask_b32_e64 v25, 0, v25, s0
	v_cmp_gt_i32_e64 s0, s11, v53
	v_cndmask_b32_e64 v26, 0, v26, s0
	v_cmp_gt_i32_e64 s0, s11, v52
	v_cndmask_b32_e64 v27, 0, v27, s0
	v_cmp_gt_i32_e64 s0, s11, v48
	v_cndmask_b32_e64 v28, 0, v28, s0
	s_or_b32 exec_lo, exec_lo, s5
	global_load_dwordx4 v[29:32], v[29:30], off offset:1024
	s_and_saveexec_b32 s0, vcc_lo
	s_cbranch_execz .LBB13_29
.LBB13_43:                              ;   in Loop: Header=BB13_30 Depth=1
	v_cmp_gt_i32_e32 vcc_lo, s11, v51
	s_waitcnt vmcnt(0)
	v_cndmask_b32_e32 v29, 0, v29, vcc_lo
	v_cmp_gt_i32_e32 vcc_lo, s11, v53
	v_cndmask_b32_e32 v30, 0, v30, vcc_lo
	v_cmp_gt_i32_e32 vcc_lo, s11, v52
	;; [unrolled: 2-line block ×3, first 2 shown]
	v_cndmask_b32_e32 v32, 0, v32, vcc_lo
	s_branch .LBB13_29
.LBB13_44:
	s_or_b32 exec_lo, exec_lo, s3
.LBB13_45:
	s_or_b32 exec_lo, exec_lo, s1
	ds_bpermute_b32 v1, v37, v43
	ds_bpermute_b32 v2, v37, v45
	;; [unrolled: 1-line block ×7, first 2 shown]
	v_lshrrev_b32_e32 v8, 1, v36
	v_mul_u32_u24_e32 v10, 0x1c0, v35
	v_and_b32_e32 v11, 0x3c1, v0
	s_mov_b32 s0, exec_lo
	s_waitcnt lgkmcnt(0)
	v_lshl_add_u32 v9, v8, 2, 0x1e0
	s_barrier
	buffer_gl0_inv
	v_add_f32_e32 v1, v43, v1
	v_add_f32_e32 v2, v45, v2
	;; [unrolled: 1-line block ×7, first 2 shown]
	v_cmpx_eq_u32_e32 64, v11
	s_cbranch_execz .LBB13_47
; %bb.46:
	v_add_nc_u32_e32 v11, v9, v10
	v_add_nc_u32_e32 v12, 0xfffffc80, v11
	;; [unrolled: 1-line block ×8, first 2 shown]
	ds_write_b32 v12, v1
	ds_write_b32 v13, v2
	;; [unrolled: 1-line block ×7, first 2 shown]
.LBB13_47:
	s_or_b32 exec_lo, exec_lo, s0
	v_lshlrev_b32_e32 v8, 2, v8
	s_mov_b32 s1, exec_lo
	v_cmp_eq_u32_e32 vcc_lo, 0, v38
	s_waitcnt lgkmcnt(0)
	s_barrier
	v_add3_u32 v8, 0x1e0, v10, v8
	buffer_gl0_inv
	v_cmpx_gt_u32_e32 64, v0
	s_cbranch_execz .LBB13_57
; %bb.48:
	s_and_saveexec_b32 s0, vcc_lo
	s_cbranch_execnz .LBB13_72
; %bb.49:
	s_or_b32 exec_lo, exec_lo, s0
	s_and_saveexec_b32 s0, vcc_lo
	s_cbranch_execnz .LBB13_73
.LBB13_50:
	s_or_b32 exec_lo, exec_lo, s0
	s_and_saveexec_b32 s0, vcc_lo
	s_cbranch_execnz .LBB13_74
.LBB13_51:
	s_or_b32 exec_lo, exec_lo, s0
	s_and_saveexec_b32 s0, vcc_lo
	s_cbranch_execnz .LBB13_75
.LBB13_52:
	s_or_b32 exec_lo, exec_lo, s0
	s_and_saveexec_b32 s0, vcc_lo
	s_cbranch_execnz .LBB13_76
.LBB13_53:
	s_or_b32 exec_lo, exec_lo, s0
	s_and_saveexec_b32 s0, vcc_lo
	s_cbranch_execnz .LBB13_77
.LBB13_54:
	s_or_b32 exec_lo, exec_lo, s0
	s_and_saveexec_b32 s0, vcc_lo
	s_cbranch_execz .LBB13_56
.LBB13_55:
	ds_read_b32 v10, v8 offset:384
	s_waitcnt lgkmcnt(0)
	v_add_f32_e32 v7, v7, v10
.LBB13_56:
	s_or_b32 exec_lo, exec_lo, s0
.LBB13_57:
	s_or_b32 exec_lo, exec_lo, s1
	v_and_b32_e32 v10, 0x3e1, v0
	s_mov_b32 s1, exec_lo
	s_barrier
	buffer_gl0_inv
	v_cmpx_eq_u32_e32 32, v10
	s_cbranch_execz .LBB13_59
; %bb.58:
	ds_write2_b32 v9, v1, v2 offset1:16
	ds_write2_b32 v9, v3, v4 offset0:32 offset1:48
	ds_write2_b32 v9, v5, v6 offset0:64 offset1:80
	ds_write_b32 v9, v7 offset:384
.LBB13_59:
	s_or_b32 exec_lo, exec_lo, s1
	s_mov_b32 s1, exec_lo
	s_waitcnt lgkmcnt(0)
	s_barrier
	buffer_gl0_inv
	v_cmpx_gt_u32_e32 32, v0
	s_cbranch_execz .LBB13_69
; %bb.60:
	s_and_saveexec_b32 s0, vcc_lo
	s_cbranch_execnz .LBB13_78
; %bb.61:
	s_or_b32 exec_lo, exec_lo, s0
	s_and_saveexec_b32 s0, vcc_lo
	s_cbranch_execnz .LBB13_79
.LBB13_62:
	s_or_b32 exec_lo, exec_lo, s0
	s_and_saveexec_b32 s0, vcc_lo
	s_cbranch_execnz .LBB13_80
.LBB13_63:
	s_or_b32 exec_lo, exec_lo, s0
	s_and_saveexec_b32 s0, vcc_lo
	s_cbranch_execnz .LBB13_81
.LBB13_64:
	s_or_b32 exec_lo, exec_lo, s0
	s_and_saveexec_b32 s0, vcc_lo
	s_cbranch_execnz .LBB13_82
.LBB13_65:
	s_or_b32 exec_lo, exec_lo, s0
	s_and_saveexec_b32 s0, vcc_lo
	s_cbranch_execnz .LBB13_83
.LBB13_66:
	s_or_b32 exec_lo, exec_lo, s0
	s_and_saveexec_b32 s0, vcc_lo
	s_cbranch_execz .LBB13_68
.LBB13_67:
	ds_read_b32 v8, v8 offset:384
	s_waitcnt lgkmcnt(0)
	v_add_f32_e32 v7, v7, v8
.LBB13_68:
	s_or_b32 exec_lo, exec_lo, s0
.LBB13_69:
	s_or_b32 exec_lo, exec_lo, s1
	s_barrier
	buffer_gl0_inv
	s_mov_b32 s0, exec_lo
	v_cmpx_eq_u32_e32 0, v10
	s_cbranch_execz .LBB13_71
; %bb.70:
	s_mul_i32 s0, s10, s7
	s_mul_i32 s2, s7, s6
	;; [unrolled: 1-line block ×3, first 2 shown]
	v_lshlrev_b32_e32 v0, 1, v0
	s_mulk_i32 s0, 0x70
	s_ashr_i32 s1, s0, 31
	s_lshl_b64 s[0:1], s[0:1], 2
	s_add_u32 s4, s16, s0
	s_addc_u32 s5, s17, s1
	s_ashr_i32 s3, s2, 31
	s_lshl_b64 s[0:1], s[2:3], 2
	s_mul_i32 s2, s8, 0x70
	s_add_u32 s4, s4, s0
	s_addc_u32 s5, s5, s1
	s_ashr_i32 s3, s2, 31
	s_lshl_b64 s[0:1], s[2:3], 2
	s_add_u32 s0, s4, s0
	s_addc_u32 s1, s5, s1
	global_store_dword v0, v1, s[0:1]
	global_store_dword v0, v2, s[0:1] offset:64
	global_store_dword v0, v3, s[0:1] offset:128
	;; [unrolled: 1-line block ×6, first 2 shown]
.LBB13_71:
	s_endpgm
.LBB13_72:
	ds_read_b32 v10, v8
	s_waitcnt lgkmcnt(0)
	v_add_f32_e32 v1, v1, v10
	s_or_b32 exec_lo, exec_lo, s0
	s_and_saveexec_b32 s0, vcc_lo
	s_cbranch_execz .LBB13_50
.LBB13_73:
	ds_read_b32 v10, v8 offset:64
	s_waitcnt lgkmcnt(0)
	v_add_f32_e32 v2, v2, v10
	s_or_b32 exec_lo, exec_lo, s0
	s_and_saveexec_b32 s0, vcc_lo
	s_cbranch_execz .LBB13_51
.LBB13_74:
	ds_read_b32 v10, v8 offset:128
	s_waitcnt lgkmcnt(0)
	v_add_f32_e32 v3, v3, v10
	s_or_b32 exec_lo, exec_lo, s0
	s_and_saveexec_b32 s0, vcc_lo
	s_cbranch_execz .LBB13_52
.LBB13_75:
	ds_read_b32 v10, v8 offset:192
	s_waitcnt lgkmcnt(0)
	v_add_f32_e32 v4, v4, v10
	s_or_b32 exec_lo, exec_lo, s0
	s_and_saveexec_b32 s0, vcc_lo
	s_cbranch_execz .LBB13_53
.LBB13_76:
	ds_read_b32 v10, v8 offset:256
	s_waitcnt lgkmcnt(0)
	v_add_f32_e32 v5, v5, v10
	s_or_b32 exec_lo, exec_lo, s0
	s_and_saveexec_b32 s0, vcc_lo
	s_cbranch_execz .LBB13_54
.LBB13_77:
	ds_read_b32 v10, v8 offset:320
	s_waitcnt lgkmcnt(0)
	v_add_f32_e32 v6, v6, v10
	s_or_b32 exec_lo, exec_lo, s0
	s_and_saveexec_b32 s0, vcc_lo
	s_cbranch_execnz .LBB13_55
	s_branch .LBB13_56
.LBB13_78:
	ds_read_b32 v9, v8
	s_waitcnt lgkmcnt(0)
	v_add_f32_e32 v1, v1, v9
	s_or_b32 exec_lo, exec_lo, s0
	s_and_saveexec_b32 s0, vcc_lo
	s_cbranch_execz .LBB13_62
.LBB13_79:
	ds_read_b32 v9, v8 offset:64
	s_waitcnt lgkmcnt(0)
	v_add_f32_e32 v2, v2, v9
	s_or_b32 exec_lo, exec_lo, s0
	s_and_saveexec_b32 s0, vcc_lo
	s_cbranch_execz .LBB13_63
.LBB13_80:
	ds_read_b32 v9, v8 offset:128
	s_waitcnt lgkmcnt(0)
	v_add_f32_e32 v3, v3, v9
	s_or_b32 exec_lo, exec_lo, s0
	s_and_saveexec_b32 s0, vcc_lo
	s_cbranch_execz .LBB13_64
.LBB13_81:
	ds_read_b32 v9, v8 offset:192
	s_waitcnt lgkmcnt(0)
	v_add_f32_e32 v4, v4, v9
	s_or_b32 exec_lo, exec_lo, s0
	s_and_saveexec_b32 s0, vcc_lo
	s_cbranch_execz .LBB13_65
.LBB13_82:
	ds_read_b32 v9, v8 offset:256
	s_waitcnt lgkmcnt(0)
	v_add_f32_e32 v5, v5, v9
	s_or_b32 exec_lo, exec_lo, s0
	s_and_saveexec_b32 s0, vcc_lo
	s_cbranch_execz .LBB13_66
.LBB13_83:
	ds_read_b32 v9, v8 offset:320
	s_waitcnt lgkmcnt(0)
	v_add_f32_e32 v6, v6, v9
	s_or_b32 exec_lo, exec_lo, s0
	s_and_saveexec_b32 s0, vcc_lo
	s_cbranch_execnz .LBB13_67
	s_branch .LBB13_68
	.section	.rodata,"a",@progbits
	.p2align	6, 0x0
	.amdhsa_kernel _ZN4vllm25paged_attention_v1_kernelIffLi112ELi8ELi128ELNS_18Fp8KVCacheDataTypeE0ELb0EEEvPT_PKS2_PKT0_S8_ifPKiSA_iPKfiiiSC_SC_iiiii
		.amdhsa_group_segment_fixed_size 480
		.amdhsa_private_segment_fixed_size 0
		.amdhsa_kernarg_size 384
		.amdhsa_user_sgpr_count 6
		.amdhsa_user_sgpr_private_segment_buffer 1
		.amdhsa_user_sgpr_dispatch_ptr 0
		.amdhsa_user_sgpr_queue_ptr 0
		.amdhsa_user_sgpr_kernarg_segment_ptr 1
		.amdhsa_user_sgpr_dispatch_id 0
		.amdhsa_user_sgpr_flat_scratch_init 0
		.amdhsa_user_sgpr_private_segment_size 0
		.amdhsa_wavefront_size32 1
		.amdhsa_uses_dynamic_stack 0
		.amdhsa_system_sgpr_private_segment_wavefront_offset 0
		.amdhsa_system_sgpr_workgroup_id_x 1
		.amdhsa_system_sgpr_workgroup_id_y 1
		.amdhsa_system_sgpr_workgroup_id_z 1
		.amdhsa_system_sgpr_workgroup_info 0
		.amdhsa_system_vgpr_workitem_id 0
		.amdhsa_next_free_vgpr 74
		.amdhsa_next_free_sgpr 27
		.amdhsa_reserve_vcc 1
		.amdhsa_reserve_flat_scratch 0
		.amdhsa_float_round_mode_32 0
		.amdhsa_float_round_mode_16_64 0
		.amdhsa_float_denorm_mode_32 3
		.amdhsa_float_denorm_mode_16_64 3
		.amdhsa_dx10_clamp 1
		.amdhsa_ieee_mode 1
		.amdhsa_fp16_overflow 0
		.amdhsa_workgroup_processor_mode 1
		.amdhsa_memory_ordered 1
		.amdhsa_forward_progress 1
		.amdhsa_shared_vgpr_count 0
		.amdhsa_exception_fp_ieee_invalid_op 0
		.amdhsa_exception_fp_denorm_src 0
		.amdhsa_exception_fp_ieee_div_zero 0
		.amdhsa_exception_fp_ieee_overflow 0
		.amdhsa_exception_fp_ieee_underflow 0
		.amdhsa_exception_fp_ieee_inexact 0
		.amdhsa_exception_int_div_zero 0
	.end_amdhsa_kernel
	.section	.text._ZN4vllm25paged_attention_v1_kernelIffLi112ELi8ELi128ELNS_18Fp8KVCacheDataTypeE0ELb0EEEvPT_PKS2_PKT0_S8_ifPKiSA_iPKfiiiSC_SC_iiiii,"axG",@progbits,_ZN4vllm25paged_attention_v1_kernelIffLi112ELi8ELi128ELNS_18Fp8KVCacheDataTypeE0ELb0EEEvPT_PKS2_PKT0_S8_ifPKiSA_iPKfiiiSC_SC_iiiii,comdat
.Lfunc_end13:
	.size	_ZN4vllm25paged_attention_v1_kernelIffLi112ELi8ELi128ELNS_18Fp8KVCacheDataTypeE0ELb0EEEvPT_PKS2_PKT0_S8_ifPKiSA_iPKfiiiSC_SC_iiiii, .Lfunc_end13-_ZN4vllm25paged_attention_v1_kernelIffLi112ELi8ELi128ELNS_18Fp8KVCacheDataTypeE0ELb0EEEvPT_PKS2_PKT0_S8_ifPKiSA_iPKfiiiSC_SC_iiiii
                                        ; -- End function
	.set _ZN4vllm25paged_attention_v1_kernelIffLi112ELi8ELi128ELNS_18Fp8KVCacheDataTypeE0ELb0EEEvPT_PKS2_PKT0_S8_ifPKiSA_iPKfiiiSC_SC_iiiii.num_vgpr, 74
	.set _ZN4vllm25paged_attention_v1_kernelIffLi112ELi8ELi128ELNS_18Fp8KVCacheDataTypeE0ELb0EEEvPT_PKS2_PKT0_S8_ifPKiSA_iPKfiiiSC_SC_iiiii.num_agpr, 0
	.set _ZN4vllm25paged_attention_v1_kernelIffLi112ELi8ELi128ELNS_18Fp8KVCacheDataTypeE0ELb0EEEvPT_PKS2_PKT0_S8_ifPKiSA_iPKfiiiSC_SC_iiiii.numbered_sgpr, 27
	.set _ZN4vllm25paged_attention_v1_kernelIffLi112ELi8ELi128ELNS_18Fp8KVCacheDataTypeE0ELb0EEEvPT_PKS2_PKT0_S8_ifPKiSA_iPKfiiiSC_SC_iiiii.num_named_barrier, 0
	.set _ZN4vllm25paged_attention_v1_kernelIffLi112ELi8ELi128ELNS_18Fp8KVCacheDataTypeE0ELb0EEEvPT_PKS2_PKT0_S8_ifPKiSA_iPKfiiiSC_SC_iiiii.private_seg_size, 0
	.set _ZN4vllm25paged_attention_v1_kernelIffLi112ELi8ELi128ELNS_18Fp8KVCacheDataTypeE0ELb0EEEvPT_PKS2_PKT0_S8_ifPKiSA_iPKfiiiSC_SC_iiiii.uses_vcc, 1
	.set _ZN4vllm25paged_attention_v1_kernelIffLi112ELi8ELi128ELNS_18Fp8KVCacheDataTypeE0ELb0EEEvPT_PKS2_PKT0_S8_ifPKiSA_iPKfiiiSC_SC_iiiii.uses_flat_scratch, 0
	.set _ZN4vllm25paged_attention_v1_kernelIffLi112ELi8ELi128ELNS_18Fp8KVCacheDataTypeE0ELb0EEEvPT_PKS2_PKT0_S8_ifPKiSA_iPKfiiiSC_SC_iiiii.has_dyn_sized_stack, 0
	.set _ZN4vllm25paged_attention_v1_kernelIffLi112ELi8ELi128ELNS_18Fp8KVCacheDataTypeE0ELb0EEEvPT_PKS2_PKT0_S8_ifPKiSA_iPKfiiiSC_SC_iiiii.has_recursion, 0
	.set _ZN4vllm25paged_attention_v1_kernelIffLi112ELi8ELi128ELNS_18Fp8KVCacheDataTypeE0ELb0EEEvPT_PKS2_PKT0_S8_ifPKiSA_iPKfiiiSC_SC_iiiii.has_indirect_call, 0
	.section	.AMDGPU.csdata,"",@progbits
; Kernel info:
; codeLenInByte = 4740
; TotalNumSgprs: 29
; NumVgprs: 74
; ScratchSize: 0
; MemoryBound: 0
; FloatMode: 240
; IeeeMode: 1
; LDSByteSize: 480 bytes/workgroup (compile time only)
; SGPRBlocks: 0
; VGPRBlocks: 9
; NumSGPRsForWavesPerEU: 29
; NumVGPRsForWavesPerEU: 74
; Occupancy: 12
; WaveLimiterHint : 1
; COMPUTE_PGM_RSRC2:SCRATCH_EN: 0
; COMPUTE_PGM_RSRC2:USER_SGPR: 6
; COMPUTE_PGM_RSRC2:TRAP_HANDLER: 0
; COMPUTE_PGM_RSRC2:TGID_X_EN: 1
; COMPUTE_PGM_RSRC2:TGID_Y_EN: 1
; COMPUTE_PGM_RSRC2:TGID_Z_EN: 1
; COMPUTE_PGM_RSRC2:TIDIG_COMP_CNT: 0
	.section	.text._ZN4vllm25paged_attention_v1_kernelIffLi120ELi8ELi128ELNS_18Fp8KVCacheDataTypeE0ELb0EEEvPT_PKS2_PKT0_S8_ifPKiSA_iPKfiiiSC_SC_iiiii,"axG",@progbits,_ZN4vllm25paged_attention_v1_kernelIffLi120ELi8ELi128ELNS_18Fp8KVCacheDataTypeE0ELb0EEEvPT_PKS2_PKT0_S8_ifPKiSA_iPKfiiiSC_SC_iiiii,comdat
	.protected	_ZN4vllm25paged_attention_v1_kernelIffLi120ELi8ELi128ELNS_18Fp8KVCacheDataTypeE0ELb0EEEvPT_PKS2_PKT0_S8_ifPKiSA_iPKfiiiSC_SC_iiiii ; -- Begin function _ZN4vllm25paged_attention_v1_kernelIffLi120ELi8ELi128ELNS_18Fp8KVCacheDataTypeE0ELb0EEEvPT_PKS2_PKT0_S8_ifPKiSA_iPKfiiiSC_SC_iiiii
	.globl	_ZN4vllm25paged_attention_v1_kernelIffLi120ELi8ELi128ELNS_18Fp8KVCacheDataTypeE0ELb0EEEvPT_PKS2_PKT0_S8_ifPKiSA_iPKfiiiSC_SC_iiiii
	.p2align	8
	.type	_ZN4vllm25paged_attention_v1_kernelIffLi120ELi8ELi128ELNS_18Fp8KVCacheDataTypeE0ELb0EEEvPT_PKS2_PKT0_S8_ifPKiSA_iPKfiiiSC_SC_iiiii,@function
_ZN4vllm25paged_attention_v1_kernelIffLi120ELi8ELi128ELNS_18Fp8KVCacheDataTypeE0ELb0EEEvPT_PKS2_PKT0_S8_ifPKiSA_iPKfiiiSC_SC_iiiii: ; @_ZN4vllm25paged_attention_v1_kernelIffLi120ELi8ELi128ELNS_18Fp8KVCacheDataTypeE0ELb0EEEvPT_PKS2_PKT0_S8_ifPKiSA_iPKfiiiSC_SC_iiiii
; %bb.0:
	s_clause 0x2
	s_load_dword s9, s[4:5], 0x80
	s_load_dwordx2 s[0:1], s[4:5], 0x30
	s_load_dwordx2 s[24:25], s[4:5], 0x20
	s_mov_b32 s10, s7
	s_ashr_i32 s11, s7, 31
	s_lshl_b64 s[2:3], s[10:11], 2
	s_waitcnt lgkmcnt(0)
	s_add_u32 s0, s0, s2
	s_addc_u32 s1, s1, s3
	s_abs_i32 s2, s24
	s_abs_i32 s11, s9
	v_cvt_f32_u32_e32 v1, s2
	s_sub_i32 s7, 0, s2
	v_rcp_iflag_f32_e32 v1, v1
	v_mul_f32_e32 v1, 0x4f7ffffe, v1
	v_cvt_u32_f32_e32 v1, v1
	v_readfirstlane_b32 s3, v1
	s_mul_i32 s7, s7, s3
	s_mul_hi_u32 s7, s3, s7
	s_add_i32 s3, s3, s7
	s_xor_b32 s7, s9, s24
	s_mul_hi_u32 s3, s11, s3
	s_ashr_i32 s7, s7, 31
	s_mul_i32 s12, s3, s2
	s_mov_b32 s24, 0
	s_sub_i32 s11, s11, s12
	s_add_i32 s12, s3, 1
	s_sub_i32 s13, s11, s2
	s_cmp_ge_u32 s11, s2
	s_cselect_b32 s3, s12, s3
	s_cselect_b32 s11, s13, s11
	s_add_i32 s12, s3, 1
	s_cmp_ge_u32 s11, s2
	s_cselect_b32 s2, s12, s3
	s_abs_i32 s17, s6
	s_xor_b32 s2, s2, s7
	s_sub_i32 s18, s2, s7
	s_load_dwordx2 s[2:3], s[4:5], 0x40
	s_abs_i32 s16, s18
	v_cvt_f32_u32_e32 v1, s16
	s_sub_i32 s11, 0, s16
	v_rcp_iflag_f32_e32 v1, v1
	v_mul_f32_e32 v1, 0x4f7ffffe, v1
	v_cvt_u32_f32_e32 v1, v1
	v_readfirstlane_b32 s7, v1
	s_mul_i32 s11, s11, s7
	s_mul_hi_u32 s11, s7, s11
	s_add_i32 s7, s7, s11
	s_waitcnt lgkmcnt(0)
	s_cmp_eq_u64 s[2:3], 0
	s_mul_hi_u32 s20, s17, s7
	s_cbranch_scc1 .LBB14_2
; %bb.1:
	s_ashr_i32 s7, s6, 31
	s_lshl_b64 s[12:13], s[6:7], 2
	s_add_u32 s2, s2, s12
	s_addc_u32 s3, s3, s13
	s_load_dword s24, s[2:3], 0x0
.LBB14_2:
	s_load_dword s11, s[0:1], 0x0
	s_load_dwordx4 s[12:15], s[4:5], 0x48
	v_and_b32_e32 v31, 3, v0
	v_lshlrev_b32_e32 v33, 2, v0
	s_ashr_i32 s0, s6, 31
	s_ashr_i32 s1, s18, 31
	s_mulk_i32 s6, 0x78
	s_mov_b32 s2, exec_lo
	v_cmpx_gt_u32_e32 0x78, v0
	s_cbranch_execz .LBB14_4
; %bb.3:
	s_load_dwordx2 s[18:19], s[4:5], 0x8
	s_waitcnt lgkmcnt(0)
	s_mul_i32 s22, s12, s10
	v_and_b32_e32 v2, 0x3fc, v0
	s_ashr_i32 s23, s22, 31
	s_lshl_b64 s[22:23], s[22:23], 2
	v_mad_u32_u24 v2, 0x78, v31, v2
	s_add_u32 s3, s18, s22
	s_addc_u32 s12, s19, s23
	s_ashr_i32 s7, s6, 31
	s_lshl_b64 s[18:19], s[6:7], 2
	s_add_u32 s18, s3, s18
	s_addc_u32 s19, s12, s19
	global_load_dword v1, v33, s[18:19]
	s_waitcnt vmcnt(0)
	ds_write_b32 v2, v1
.LBB14_4:
	s_or_b32 exec_lo, exec_lo, s2
	s_waitcnt lgkmcnt(0)
	s_add_i32 s2, s11, 7
	s_clause 0x1
	s_load_dwordx2 s[18:19], s[4:5], 0x28
	s_load_dword s7, s[4:5], 0x38
	s_ashr_i32 s3, s2, 31
	s_xor_b32 s0, s0, s1
	s_lshr_b32 s3, s3, 29
	s_mul_i32 s1, s20, s16
	s_add_i32 s2, s2, s3
	s_sub_i32 s1, s17, s1
	s_ashr_i32 s12, s2, 3
	s_add_i32 s2, s20, 1
	s_sub_i32 s3, s1, s16
	s_cmp_ge_u32 s1, s16
	v_lshrrev_b32_e32 v39, 5, v0
	s_cselect_b32 s2, s2, s20
	s_cselect_b32 s1, s3, s1
	s_add_i32 s3, s2, 1
	s_cmp_ge_u32 s1, s16
	v_mbcnt_lo_u32_b32 v35, -1, 0
	s_cselect_b32 s1, s3, s2
	s_waitcnt lgkmcnt(0)
	s_xor_b32 s1, s1, s0
	s_mul_i32 s20, s7, s10
	s_sub_i32 s1, s1, s0
	v_cmp_le_i32_e64 s0, s12, v39
	s_ashr_i32 s21, s20, 31
	s_barrier
	buffer_gl0_inv
                                        ; implicit-def: $vgpr36
                                        ; implicit-def: $vgpr37
	s_and_saveexec_b32 s2, s0
	s_xor_b32 s2, exec_lo, s2
; %bb.5:
	v_mov_b32_e32 v36, 0
	v_mbcnt_lo_u32_b32 v35, -1, 0
	v_mov_b32_e32 v37, 32
                                        ; implicit-def: $vgpr31
; %bb.6:
	s_or_saveexec_b32 s26, s2
	s_clause 0x2
	s_load_dwordx2 s[16:17], s[4:5], 0x0
	s_load_dwordx2 s[22:23], s[4:5], 0x18
	s_load_dword s7, s[4:5], 0x88
	v_mov_b32_e32 v38, 0xff7fffff
	v_lshrrev_b32_e32 v34, 3, v0
	s_mul_i32 s14, s1, s14
	s_xor_b32 exec_lo, exec_lo, s26
	s_cbranch_execz .LBB14_12
; %bb.7:
	s_load_dwordx2 s[2:3], s[4:5], 0x10
	v_bfe_u32 v32, v0, 2, 3
	s_ashr_i32 s15, s14, 31
	v_xor_b32_e32 v26, 2, v35
	s_lshl_b64 s[4:5], s[14:15], 2
	v_lshlrev_b32_e32 v25, 2, v31
	v_lshlrev_b32_e32 v28, 4, v32
	v_xor_b32_e32 v27, 1, v35
	v_cmp_gt_i32_e32 vcc_lo, 32, v26
	v_mul_u32_u24_e32 v29, 0x78, v31
	ds_read2_b64 v[1:4], v29 offset1:1
	ds_read2_b64 v[5:8], v29 offset0:2 offset1:3
	ds_read2_b64 v[9:12], v29 offset0:4 offset1:5
	ds_read2_b64 v[13:16], v29 offset0:6 offset1:7
	ds_read2_b64 v[17:20], v29 offset0:8 offset1:9
	ds_read2_b64 v[21:24], v29 offset0:10 offset1:11
	v_cndmask_b32_e32 v42, v35, v26, vcc_lo
	v_lshlrev_b32_e32 v38, 2, v32
	v_lshl_or_b32 v44, v39, 3, v32
	v_and_b32_e32 v32, 0x7c, v34
	v_mov_b32_e32 v36, 0
	s_waitcnt lgkmcnt(0)
	s_add_u32 s1, s2, s4
	s_addc_u32 s2, s3, s5
	v_add_co_u32 v28, s1, s1, v28
	v_add_co_ci_u32_e64 v30, null, s2, 0, s1
	s_lshl_b64 s[2:3], s[20:21], 2
	v_add_co_u32 v40, vcc_lo, v28, v25
	v_add_co_ci_u32_e64 v41, null, 0, v30, vcc_lo
	v_cmp_gt_i32_e32 vcc_lo, 32, v27
	s_sub_i32 s4, 1, s11
	s_add_u32 s2, s18, s2
	s_addc_u32 s3, s19, s3
	v_mov_b32_e32 v37, 32
	v_cndmask_b32_e32 v43, v35, v27, vcc_lo
	ds_read2_b64 v[25:28], v29 offset0:12 offset1:13
	ds_read_b64 v[29:30], v29 offset:112
	v_cmp_eq_u32_e32 vcc_lo, 0, v31
	v_lshl_or_b32 v31, v39, 5, v38
	v_lshlrev_b32_e32 v42, 2, v42
	v_lshlrev_b32_e32 v43, 2, v43
	v_cmp_neq_f32_e64 s1, s24, 0
	v_mov_b32_e32 v38, 0xff7fffff
	v_add_nc_u32_e32 v45, 0x200, v31
	v_add_co_u32 v31, s2, s2, v32
	v_add_co_ci_u32_e64 v32, null, s3, 0, s2
	v_mov_b32_e32 v46, v39
	s_mov_b32 s15, s13
	s_mov_b32 s5, 0
	s_branch .LBB14_9
.LBB14_8:                               ;   in Loop: Header=BB14_9 Depth=1
	s_or_b32 exec_lo, exec_lo, s3
	v_add_nc_u32_e32 v46, 4, v46
	v_add_co_u32 v31, s3, v31, 16
	v_add_nc_u32_e32 v44, 32, v44
	v_add_nc_u32_e32 v45, 0x80, v45
	v_cmp_le_i32_e64 s2, s12, v46
	v_add_co_ci_u32_e64 v32, null, 0, v32, s3
	s_or_b32 s5, s2, s5
	s_andn2_b32 exec_lo, exec_lo, s5
	s_cbranch_execz .LBB14_11
.LBB14_9:                               ; =>This Inner Loop Header: Depth=1
	global_load_dword v47, v[31:32], off
	s_waitcnt vmcnt(0) lgkmcnt(0)
	v_mad_i64_i32 v[47:48], null, v47, s15, 0
	v_lshlrev_b64 v[47:48], 2, v[47:48]
	v_add_co_u32 v47, s2, v40, v47
	v_add_co_ci_u32_e64 v48, null, v41, v48, s2
	s_clause 0xe
	global_load_dword v51, v[47:48], off offset:128
	global_load_dword v52, v[47:48], off offset:256
	global_load_dword v53, v[47:48], off offset:384
	global_load_dword v54, v[47:48], off offset:512
	global_load_dword v55, v[47:48], off offset:640
	global_load_dword v56, v[47:48], off offset:768
	global_load_dword v57, v[47:48], off offset:896
	global_load_dword v58, v[47:48], off
	global_load_dword v59, v[47:48], off offset:1024
	global_load_dword v60, v[47:48], off offset:1152
	;; [unrolled: 1-line block ×7, first 2 shown]
	v_add_co_u32 v49, s2, 0x800, v47
	v_add_co_ci_u32_e64 v50, null, 0, v48, s2
	s_clause 0xe
	global_load_dword v47, v[47:48], off offset:1920
	global_load_dword v48, v[49:50], off
	global_load_dword v66, v[49:50], off offset:128
	global_load_dword v67, v[49:50], off offset:256
	;; [unrolled: 1-line block ×13, first 2 shown]
	s_waitcnt vmcnt(29)
	v_mul_f32_e32 v50, v2, v51
	s_waitcnt vmcnt(22)
	v_fmac_f32_e32 v50, v1, v58
	v_fmac_f32_e32 v50, v3, v52
	;; [unrolled: 1-line block ×7, first 2 shown]
	s_waitcnt vmcnt(21)
	v_fmac_f32_e32 v50, v9, v59
	s_waitcnt vmcnt(20)
	v_fmac_f32_e32 v50, v10, v60
	;; [unrolled: 2-line block ×16, first 2 shown]
	s_waitcnt vmcnt(5) lgkmcnt(1)
	v_fmac_f32_e32 v50, v25, v73
	s_waitcnt vmcnt(4)
	v_fmac_f32_e32 v50, v26, v74
	s_waitcnt vmcnt(3)
	;; [unrolled: 2-line block ×3, first 2 shown]
	v_fmac_f32_e32 v50, v28, v76
	s_waitcnt vmcnt(1) lgkmcnt(0)
	v_fmac_f32_e32 v50, v29, v77
	s_waitcnt vmcnt(0)
	v_fmac_f32_e32 v50, v30, v49
	ds_bpermute_b32 v47, v42, v50
	s_waitcnt lgkmcnt(0)
	v_add_f32_e32 v47, v50, v47
	ds_bpermute_b32 v48, v43, v47
	s_and_saveexec_b32 s3, vcc_lo
	s_cbranch_execz .LBB14_8
; %bb.10:                               ;   in Loop: Header=BB14_9 Depth=1
	v_add_nc_u32_e32 v49, s4, v44
	s_waitcnt lgkmcnt(0)
	v_add_f32_e32 v47, v47, v48
	v_cmp_gt_i32_e64 s2, s11, v44
	v_cvt_f32_i32_e32 v49, v49
	v_mul_f32_e32 v49, s24, v49
	v_cndmask_b32_e64 v48, 0, v49, s1
	v_max_f32_e32 v49, v38, v38
	v_fmac_f32_e32 v48, s25, v47
	v_max_f32_e32 v47, v49, v48
	v_cndmask_b32_e64 v48, 0, v48, s2
	v_cndmask_b32_e64 v38, v38, v47, s2
	ds_write_b32 v45, v48
	s_branch .LBB14_8
.LBB14_11:
	s_or_b32 exec_lo, exec_lo, s5
.LBB14_12:
	s_or_b32 exec_lo, exec_lo, s26
	v_xor_b32_e32 v1, 16, v35
	v_xor_b32_e32 v2, 8, v35
	v_max_f32_e32 v5, v38, v38
	v_cmp_lt_i32_e32 vcc_lo, v1, v37
	v_cndmask_b32_e32 v1, v35, v1, vcc_lo
	v_cmp_lt_i32_e32 vcc_lo, v2, v37
	v_lshlrev_b32_e32 v3, 2, v1
	v_cndmask_b32_e32 v2, v35, v2, vcc_lo
	ds_bpermute_b32 v1, v3, v38
	v_lshlrev_b32_e32 v4, 2, v2
	s_waitcnt lgkmcnt(0)
	v_max_f32_e32 v1, v1, v1
	v_max_f32_e32 v1, v5, v1
	v_xor_b32_e32 v5, 4, v35
	ds_bpermute_b32 v2, v4, v1
	v_cmp_lt_i32_e32 vcc_lo, v5, v37
	v_cndmask_b32_e32 v5, v35, v5, vcc_lo
	v_lshlrev_b32_e32 v7, 2, v5
	v_lshlrev_b32_e32 v5, 2, v39
	s_waitcnt lgkmcnt(0)
	v_max_f32_e32 v2, v2, v2
	v_max_f32_e32 v2, v1, v2
	v_and_b32_e32 v1, 31, v0
	ds_bpermute_b32 v6, v7, v2
	v_cmp_eq_u32_e32 vcc_lo, 0, v1
	s_and_saveexec_b32 s1, vcc_lo
	s_cbranch_execz .LBB14_14
; %bb.13:
	s_waitcnt lgkmcnt(0)
	v_max_f32_e32 v6, v6, v6
	v_max_f32_e32 v2, v2, v2
	;; [unrolled: 1-line block ×3, first 2 shown]
	ds_write_b32 v5, v2 offset:480
.LBB14_14:
	s_or_b32 exec_lo, exec_lo, s1
	v_cmp_gt_u32_e64 s1, 4, v1
	v_mov_b32_e32 v2, 0xff7fffff
	s_waitcnt lgkmcnt(0)
	v_lshlrev_b32_e32 v6, 2, v1
	s_barrier
	buffer_gl0_inv
	s_and_saveexec_b32 s2, s1
; %bb.15:
	ds_read_b32 v2, v6 offset:480
; %bb.16:
	s_or_b32 exec_lo, exec_lo, s2
	v_xor_b32_e32 v8, 2, v35
	v_xor_b32_e32 v10, 1, v35
	v_cmp_lt_i32_e64 s2, v8, v37
	v_cndmask_b32_e64 v8, v35, v8, s2
	v_cmp_lt_i32_e64 s2, v10, v37
	v_lshlrev_b32_e32 v8, 2, v8
	v_cndmask_b32_e64 v10, v35, v10, s2
	s_lshl_b32 s2, s12, 3
	s_min_i32 s4, s2, s11
	s_waitcnt lgkmcnt(0)
	ds_bpermute_b32 v9, v8, v2
	v_max_f32_e32 v2, v2, v2
	v_lshlrev_b32_e32 v41, 2, v10
	v_cmp_gt_i32_e64 s2, s4, v0
	s_waitcnt lgkmcnt(0)
	v_max_f32_e32 v9, v9, v9
	v_max_f32_e32 v2, v2, v9
	ds_bpermute_b32 v9, v41, v2
	s_waitcnt lgkmcnt(0)
	v_max_f32_e32 v9, v9, v9
	v_max_f32_e32 v2, v2, v9
	v_lshlrev_b32_e32 v9, 2, v36
	ds_bpermute_b32 v10, v9, v2
	v_mov_b32_e32 v9, 0
	v_lshl_add_u32 v2, v0, 2, 0x200
	s_and_saveexec_b32 s5, s2
	s_cbranch_execz .LBB14_20
; %bb.17:
	v_lshl_add_u32 v11, v0, 2, 0x200
	v_mov_b32_e32 v9, 0
	v_mov_b32_e32 v12, v0
	s_mov_b32 s15, 0
	.p2align	6
.LBB14_18:                              ; =>This Inner Loop Header: Depth=1
	ds_read_b32 v13, v11
	v_add_nc_u32_e32 v12, 0x80, v12
	v_cmp_le_i32_e64 s3, s4, v12
	s_or_b32 s15, s3, s15
	s_waitcnt lgkmcnt(0)
	v_sub_f32_e32 v13, v13, v10
	v_mul_f32_e32 v13, 0x3fb8aa3b, v13
	v_exp_f32_e32 v13, v13
	ds_write_b32 v11, v13
	v_add_f32_e32 v9, v9, v13
	v_add_nc_u32_e32 v11, 0x200, v11
	s_andn2_b32 exec_lo, exec_lo, s15
	s_cbranch_execnz .LBB14_18
; %bb.19:
	s_or_b32 exec_lo, exec_lo, s15
.LBB14_20:
	s_or_b32 exec_lo, exec_lo, s5
	ds_bpermute_b32 v3, v3, v9
	s_waitcnt lgkmcnt(0)
	v_add_f32_e32 v3, v9, v3
	ds_bpermute_b32 v4, v4, v3
	s_waitcnt lgkmcnt(0)
	v_add_f32_e32 v3, v3, v4
	;; [unrolled: 3-line block ×5, first 2 shown]
	s_and_saveexec_b32 s3, vcc_lo
; %bb.21:
	ds_write_b32 v5, v3 offset:496
; %bb.22:
	s_or_b32 exec_lo, exec_lo, s3
	s_waitcnt lgkmcnt(0)
	s_barrier
	buffer_gl0_inv
	s_and_saveexec_b32 s3, s1
; %bb.23:
	ds_read_b32 v3, v6 offset:496
; %bb.24:
	s_or_b32 exec_lo, exec_lo, s3
	s_waitcnt lgkmcnt(0)
	ds_bpermute_b32 v4, v8, v3
	v_lshlrev_b32_e32 v5, 2, v35
	s_waitcnt lgkmcnt(0)
	v_add_f32_e32 v3, v3, v4
	ds_bpermute_b32 v4, v41, v3
	s_waitcnt lgkmcnt(0)
	v_add_f32_e32 v3, v3, v4
	v_and_b32_e32 v4, 0xffffff80, v5
	ds_bpermute_b32 v3, v4, v3
	s_and_saveexec_b32 s1, s2
	s_cbranch_execz .LBB14_27
; %bb.25:
	s_waitcnt lgkmcnt(0)
	v_add_f32_e32 v3, 0x358637bd, v3
	s_mov_b32 s2, 0
	v_div_scale_f32 v4, null, v3, v3, 1.0
	v_div_scale_f32 v7, vcc_lo, 1.0, v3, 1.0
	v_rcp_f32_e32 v5, v4
	v_fma_f32 v6, -v4, v5, 1.0
	v_fmac_f32_e32 v5, v6, v5
	v_mul_f32_e32 v6, v7, v5
	v_fma_f32 v8, -v4, v6, v7
	v_fmac_f32_e32 v6, v8, v5
	v_fma_f32 v4, -v4, v6, v7
	v_div_fmas_f32 v4, v4, v5, v6
	v_div_fixup_f32 v3, v4, v3, 1.0
	v_mov_b32_e32 v4, v0
.LBB14_26:                              ; =>This Inner Loop Header: Depth=1
	ds_read_b32 v5, v2
	v_add_nc_u32_e32 v4, 0x80, v4
	v_cmp_le_i32_e32 vcc_lo, s4, v4
	s_or_b32 s2, vcc_lo, s2
	s_waitcnt lgkmcnt(0)
	v_mul_f32_e32 v5, v3, v5
	ds_write_b32 v2, v5
	v_add_nc_u32_e32 v2, 0x200, v2
	s_andn2_b32 exec_lo, exec_lo, s2
	s_cbranch_execnz .LBB14_26
.LBB14_27:
	s_or_b32 exec_lo, exec_lo, s1
	v_lshrrev_b32_e32 v40, 1, v1
	s_waitcnt lgkmcnt(0)
	s_barrier
	buffer_gl0_inv
	s_and_saveexec_b32 s1, s0
	s_xor_b32 s0, exec_lo, s1
; %bb.28:
	v_lshrrev_b32_e32 v40, 1, v1
                                        ; implicit-def: $vgpr33
                                        ; implicit-def: $vgpr34
; %bb.29:
	s_or_saveexec_b32 s2, s0
	v_mov_b32_e32 v48, 0
	v_and_b32_e32 v42, 1, v0
	v_mov_b32_e32 v50, 0
	v_mov_b32_e32 v49, 0
	;; [unrolled: 1-line block ×7, first 2 shown]
	s_xor_b32 exec_lo, exec_lo, s2
	s_cbranch_execz .LBB14_51
; %bb.30:
	v_and_b32_e32 v1, 4, v33
	v_or_b32_e32 v2, 0x70, v40
	v_lshlrev_b32_e32 v5, 3, v39
	s_ashr_i32 s15, s14, 31
	v_lshlrev_b32_e32 v3, 4, v42
	s_lshl_b64 s[0:1], s[14:15], 2
	v_lshl_or_b32 v4, v40, 3, v1
	s_add_u32 s3, s22, s0
	v_cmp_gt_u32_e32 vcc_lo, 0x78, v2
	v_lshl_or_b32 v2, v2, 3, v1
	v_or3_b32 v51, v5, v1, 3
	v_and_b32_e32 v1, 0x7c, v34
	s_addc_u32 s4, s23, s1
	s_lshl_b64 s[0:1], s[20:21], 2
	s_add_i32 s5, s12, -1
	v_lshl_or_b32 v3, v39, 5, v3
	s_add_u32 s0, s18, s0
	s_addc_u32 s1, s19, s1
	v_add_co_u32 v37, s0, s0, v1
	v_mov_b32_e32 v43, 0
	v_add_nc_u32_e32 v52, 0x200, v3
	v_add_co_ci_u32_e64 v38, null, s1, 0, s0
	v_lshlrev_b32_e32 v53, 2, v4
	v_lshlrev_b32_e32 v54, 2, v2
	v_mov_b32_e32 v44, 0
	v_mov_b32_e32 v45, 0
	;; [unrolled: 1-line block ×8, first 2 shown]
	s_mov_b32 s14, s13
	s_mov_b32 s13, 0
	s_branch .LBB14_33
.LBB14_31:                              ;   in Loop: Header=BB14_33 Depth=1
	s_or_b32 exec_lo, exec_lo, s1
	s_waitcnt vmcnt(0) lgkmcnt(0)
	v_mul_f32_e32 v33, v5, v33
	v_fmac_f32_e32 v33, v6, v34
	v_fmac_f32_e32 v33, v7, v35
	;; [unrolled: 1-line block ×3, first 2 shown]
	v_add_f32_e32 v43, v43, v33
.LBB14_32:                              ;   in Loop: Header=BB14_33 Depth=1
	s_or_b32 exec_lo, exec_lo, s15
	s_waitcnt vmcnt(0) lgkmcnt(0)
	v_mul_f32_e32 v29, v5, v29
	v_mul_f32_e32 v25, v5, v25
	;; [unrolled: 1-line block ×7, first 2 shown]
	v_fmac_f32_e32 v29, v6, v30
	v_fmac_f32_e32 v25, v6, v26
	;; [unrolled: 1-line block ×14, first 2 shown]
	v_add_nc_u32_e32 v55, 4, v55
	v_fmac_f32_e32 v29, v8, v32
	v_fmac_f32_e32 v25, v8, v28
	;; [unrolled: 1-line block ×7, first 2 shown]
	v_cmp_le_i32_e64 s0, s12, v55
	v_add_co_u32 v37, s1, v37, 16
	v_add_f32_e32 v44, v44, v29
	v_add_f32_e32 v45, v45, v25
	;; [unrolled: 1-line block ×7, first 2 shown]
	v_add_nc_u32_e32 v51, 32, v51
	v_add_nc_u32_e32 v52, 0x80, v52
	v_add_co_ci_u32_e64 v38, null, 0, v38, s1
	s_or_b32 s13, s0, s13
	s_andn2_b32 exec_lo, exec_lo, s13
	s_cbranch_execz .LBB14_50
.LBB14_33:                              ; =>This Inner Loop Header: Depth=1
	global_load_dword v1, v[37:38], off
	ds_read_b128 v[5:8], v52
	v_add_nc_u32_e32 v56, -3, v51
	s_waitcnt vmcnt(0)
	v_mad_i64_i32 v[1:2], null, v1, s14, 0
	v_lshlrev_b64 v[1:2], 2, v[1:2]
	v_add_co_u32 v33, s0, s3, v1
	v_add_co_ci_u32_e64 v34, null, s4, v2, s0
	v_add_co_u32 v21, s0, v33, v53
	v_add_co_ci_u32_e64 v22, null, 0, v34, s0
	v_cmp_eq_u32_e64 s0, s5, v55
	global_load_dwordx4 v[1:4], v[21:22], off
	s_and_saveexec_b32 s15, s0
	s_cbranch_execnz .LBB14_42
; %bb.34:                               ;   in Loop: Header=BB14_33 Depth=1
	s_or_b32 exec_lo, exec_lo, s15
	global_load_dwordx4 v[9:12], v[21:22], off offset:512
	s_and_saveexec_b32 s15, s0
	s_cbranch_execnz .LBB14_43
.LBB14_35:                              ;   in Loop: Header=BB14_33 Depth=1
	s_or_b32 exec_lo, exec_lo, s15
	global_load_dwordx4 v[13:16], v[21:22], off offset:1024
	s_and_saveexec_b32 s15, s0
	s_cbranch_execnz .LBB14_44
.LBB14_36:                              ;   in Loop: Header=BB14_33 Depth=1
	s_or_b32 exec_lo, exec_lo, s15
	global_load_dwordx4 v[17:20], v[21:22], off offset:1536
	s_and_saveexec_b32 s15, s0
	s_cbranch_execz .LBB14_38
.LBB14_37:                              ;   in Loop: Header=BB14_33 Depth=1
	v_add_nc_u32_e32 v23, -2, v51
	v_cmp_gt_i32_e64 s1, s11, v56
	v_add_nc_u32_e32 v24, -1, v51
	s_waitcnt vmcnt(0)
	v_cndmask_b32_e64 v17, 0, v17, s1
	v_cmp_gt_i32_e64 s1, s11, v23
	v_cndmask_b32_e64 v18, 0, v18, s1
	v_cmp_gt_i32_e64 s1, s11, v24
	;; [unrolled: 2-line block ×3, first 2 shown]
	v_cndmask_b32_e64 v20, 0, v20, s1
.LBB14_38:                              ;   in Loop: Header=BB14_33 Depth=1
	s_or_b32 exec_lo, exec_lo, s15
	v_add_co_u32 v29, s1, 0x800, v21
	v_add_co_ci_u32_e64 v30, null, 0, v22, s1
	global_load_dwordx4 v[21:24], v[29:30], off
	s_and_saveexec_b32 s15, s0
	s_cbranch_execnz .LBB14_45
; %bb.39:                               ;   in Loop: Header=BB14_33 Depth=1
	s_or_b32 exec_lo, exec_lo, s15
	global_load_dwordx4 v[25:28], v[29:30], off offset:512
	s_and_saveexec_b32 s15, s0
	s_cbranch_execnz .LBB14_46
.LBB14_40:                              ;   in Loop: Header=BB14_33 Depth=1
	s_or_b32 exec_lo, exec_lo, s15
	global_load_dwordx4 v[29:32], v[29:30], off offset:1024
	s_and_saveexec_b32 s15, s0
	s_cbranch_execnz .LBB14_47
.LBB14_41:                              ;   in Loop: Header=BB14_33 Depth=1
	s_or_b32 exec_lo, exec_lo, s15
	s_and_saveexec_b32 s15, vcc_lo
	s_cbranch_execz .LBB14_32
	s_branch .LBB14_48
.LBB14_42:                              ;   in Loop: Header=BB14_33 Depth=1
	v_add_nc_u32_e32 v9, -2, v51
	v_cmp_gt_i32_e64 s1, s11, v56
	v_add_nc_u32_e32 v10, -1, v51
	s_waitcnt vmcnt(0)
	v_cndmask_b32_e64 v1, 0, v1, s1
	v_cmp_gt_i32_e64 s1, s11, v9
	v_cndmask_b32_e64 v2, 0, v2, s1
	v_cmp_gt_i32_e64 s1, s11, v10
	;; [unrolled: 2-line block ×3, first 2 shown]
	v_cndmask_b32_e64 v4, 0, v4, s1
	s_or_b32 exec_lo, exec_lo, s15
	global_load_dwordx4 v[9:12], v[21:22], off offset:512
	s_and_saveexec_b32 s15, s0
	s_cbranch_execz .LBB14_35
.LBB14_43:                              ;   in Loop: Header=BB14_33 Depth=1
	v_add_nc_u32_e32 v13, -2, v51
	v_cmp_gt_i32_e64 s1, s11, v56
	v_add_nc_u32_e32 v14, -1, v51
	s_waitcnt vmcnt(0)
	v_cndmask_b32_e64 v9, 0, v9, s1
	v_cmp_gt_i32_e64 s1, s11, v13
	v_cndmask_b32_e64 v10, 0, v10, s1
	v_cmp_gt_i32_e64 s1, s11, v14
	;; [unrolled: 2-line block ×3, first 2 shown]
	v_cndmask_b32_e64 v12, 0, v12, s1
	s_or_b32 exec_lo, exec_lo, s15
	global_load_dwordx4 v[13:16], v[21:22], off offset:1024
	s_and_saveexec_b32 s15, s0
	s_cbranch_execz .LBB14_36
.LBB14_44:                              ;   in Loop: Header=BB14_33 Depth=1
	v_add_nc_u32_e32 v17, -2, v51
	v_cmp_gt_i32_e64 s1, s11, v56
	v_add_nc_u32_e32 v18, -1, v51
	s_waitcnt vmcnt(0)
	v_cndmask_b32_e64 v13, 0, v13, s1
	v_cmp_gt_i32_e64 s1, s11, v17
	v_cndmask_b32_e64 v14, 0, v14, s1
	v_cmp_gt_i32_e64 s1, s11, v18
	v_cndmask_b32_e64 v15, 0, v15, s1
	v_cmp_gt_i32_e64 s1, s11, v51
	v_cndmask_b32_e64 v16, 0, v16, s1
	s_or_b32 exec_lo, exec_lo, s15
	global_load_dwordx4 v[17:20], v[21:22], off offset:1536
	s_and_saveexec_b32 s15, s0
	s_cbranch_execnz .LBB14_37
	s_branch .LBB14_38
.LBB14_45:                              ;   in Loop: Header=BB14_33 Depth=1
	v_add_nc_u32_e32 v25, -2, v51
	v_cmp_gt_i32_e64 s1, s11, v56
	v_add_nc_u32_e32 v26, -1, v51
	s_waitcnt vmcnt(0)
	v_cndmask_b32_e64 v21, 0, v21, s1
	v_cmp_gt_i32_e64 s1, s11, v25
	v_cndmask_b32_e64 v22, 0, v22, s1
	v_cmp_gt_i32_e64 s1, s11, v26
	v_cndmask_b32_e64 v23, 0, v23, s1
	v_cmp_gt_i32_e64 s1, s11, v51
	v_cndmask_b32_e64 v24, 0, v24, s1
	s_or_b32 exec_lo, exec_lo, s15
	global_load_dwordx4 v[25:28], v[29:30], off offset:512
	s_and_saveexec_b32 s15, s0
	s_cbranch_execz .LBB14_40
.LBB14_46:                              ;   in Loop: Header=BB14_33 Depth=1
	v_add_nc_u32_e32 v31, -2, v51
	v_cmp_gt_i32_e64 s1, s11, v56
	v_add_nc_u32_e32 v32, -1, v51
	s_waitcnt vmcnt(0)
	v_cndmask_b32_e64 v25, 0, v25, s1
	v_cmp_gt_i32_e64 s1, s11, v31
	v_cndmask_b32_e64 v26, 0, v26, s1
	v_cmp_gt_i32_e64 s1, s11, v32
	;; [unrolled: 2-line block ×3, first 2 shown]
	v_cndmask_b32_e64 v28, 0, v28, s1
	s_or_b32 exec_lo, exec_lo, s15
	global_load_dwordx4 v[29:32], v[29:30], off offset:1024
	s_and_saveexec_b32 s15, s0
	s_cbranch_execz .LBB14_41
.LBB14_47:                              ;   in Loop: Header=BB14_33 Depth=1
	v_add_nc_u32_e32 v35, -2, v51
	v_cmp_gt_i32_e64 s1, s11, v56
	v_add_nc_u32_e32 v36, -1, v51
	s_waitcnt vmcnt(0)
	v_cndmask_b32_e64 v29, 0, v29, s1
	v_cmp_gt_i32_e64 s1, s11, v35
	v_cndmask_b32_e64 v30, 0, v30, s1
	v_cmp_gt_i32_e64 s1, s11, v36
	;; [unrolled: 2-line block ×3, first 2 shown]
	v_cndmask_b32_e64 v32, 0, v32, s1
	s_or_b32 exec_lo, exec_lo, s15
	s_and_saveexec_b32 s15, vcc_lo
	s_cbranch_execz .LBB14_32
.LBB14_48:                              ;   in Loop: Header=BB14_33 Depth=1
	v_add_co_u32 v33, s1, v33, v54
	v_add_co_ci_u32_e64 v34, null, 0, v34, s1
	global_load_dwordx4 v[33:36], v[33:34], off
	s_and_saveexec_b32 s1, s0
	s_cbranch_execz .LBB14_31
; %bb.49:                               ;   in Loop: Header=BB14_33 Depth=1
	v_add_nc_u32_e32 v57, -2, v51
	v_cmp_gt_i32_e64 s0, s11, v56
	v_add_nc_u32_e32 v58, -1, v51
	s_waitcnt vmcnt(0)
	v_cndmask_b32_e64 v33, 0, v33, s0
	v_cmp_gt_i32_e64 s0, s11, v57
	v_cndmask_b32_e64 v34, 0, v34, s0
	v_cmp_gt_i32_e64 s0, s11, v58
	;; [unrolled: 2-line block ×3, first 2 shown]
	v_cndmask_b32_e64 v36, 0, v36, s0
	s_branch .LBB14_31
.LBB14_50:
	s_or_b32 exec_lo, exec_lo, s13
.LBB14_51:
	s_or_b32 exec_lo, exec_lo, s2
	ds_bpermute_b32 v1, v41, v48
	ds_bpermute_b32 v3, v41, v50
	;; [unrolled: 1-line block ×8, first 2 shown]
	s_movk_i32 s0, 0x1e0
	v_and_b32_e32 v11, 0x3c0, v0
	v_mad_u32_u24 v9, v39, s0, 0x200
	s_mov_b32 s1, exec_lo
	v_cmp_eq_u32_e32 vcc_lo, 0, v42
	s_waitcnt lgkmcnt(0)
	s_barrier
	buffer_gl0_inv
	v_add_f32_e32 v2, v48, v1
	v_add_f32_e32 v3, v50, v3
	;; [unrolled: 1-line block ×8, first 2 shown]
	v_cmpx_eq_u32_e32 64, v11
	s_cbranch_execz .LBB14_56
; %bb.52:
	v_add_nc_u32_e32 v10, 0xfffffc40, v9
	s_and_saveexec_b32 s0, vcc_lo
	s_cbranch_execz .LBB14_54
; %bb.53:
	v_lshl_add_u32 v11, v40, 2, v10
	ds_write2_b32 v11, v2, v3 offset1:16
	ds_write2_b32 v11, v4, v5 offset0:32 offset1:48
	ds_write2_b32 v11, v6, v7 offset0:64 offset1:80
	ds_write_b32 v11, v8 offset:384
.LBB14_54:
	s_or_b32 exec_lo, exec_lo, s0
	v_or_b32_e32 v11, 0x70, v40
	v_cmp_gt_u32_e64 s0, 0x78, v11
	s_and_b32 s0, vcc_lo, s0
	s_and_b32 exec_lo, exec_lo, s0
; %bb.55:
	v_lshl_add_u32 v10, v11, 2, v10
	ds_write_b32 v10, v1
.LBB14_56:
	s_or_b32 exec_lo, exec_lo, s1
	s_mov_b32 s1, exec_lo
	s_waitcnt lgkmcnt(0)
	s_barrier
	buffer_gl0_inv
	v_cmpx_gt_u32_e32 64, v0
	s_cbranch_execz .LBB14_68
; %bb.57:
	s_and_saveexec_b32 s0, vcc_lo
	s_cbranch_execnz .LBB14_91
; %bb.58:
	s_or_b32 exec_lo, exec_lo, s0
	s_and_saveexec_b32 s0, vcc_lo
	s_cbranch_execnz .LBB14_92
.LBB14_59:
	s_or_b32 exec_lo, exec_lo, s0
	s_and_saveexec_b32 s0, vcc_lo
	s_cbranch_execnz .LBB14_93
.LBB14_60:
	s_or_b32 exec_lo, exec_lo, s0
	s_and_saveexec_b32 s0, vcc_lo
	s_cbranch_execnz .LBB14_94
.LBB14_61:
	s_or_b32 exec_lo, exec_lo, s0
	s_and_saveexec_b32 s0, vcc_lo
	s_cbranch_execnz .LBB14_95
.LBB14_62:
	s_or_b32 exec_lo, exec_lo, s0
	s_and_saveexec_b32 s0, vcc_lo
	s_cbranch_execnz .LBB14_96
.LBB14_63:
	s_or_b32 exec_lo, exec_lo, s0
	s_and_saveexec_b32 s0, vcc_lo
	s_cbranch_execz .LBB14_65
.LBB14_64:
	v_lshl_add_u32 v10, v40, 2, v9
	ds_read_b32 v10, v10 offset:384
	s_waitcnt lgkmcnt(0)
	v_add_f32_e32 v8, v8, v10
.LBB14_65:
	s_or_b32 exec_lo, exec_lo, s0
	v_or_b32_e32 v10, 0x70, v40
	v_cmp_gt_u32_e64 s0, 0x78, v10
	s_and_b32 s2, vcc_lo, s0
	s_and_saveexec_b32 s0, s2
	s_cbranch_execz .LBB14_67
; %bb.66:
	v_lshl_add_u32 v10, v40, 2, v9
	ds_read_b32 v10, v10 offset:448
	s_waitcnt lgkmcnt(0)
	v_add_f32_e32 v1, v1, v10
.LBB14_67:
	s_or_b32 exec_lo, exec_lo, s0
.LBB14_68:
	s_or_b32 exec_lo, exec_lo, s1
	v_and_b32_e32 v10, 0x3e0, v0
	s_mov_b32 s1, exec_lo
	s_barrier
	buffer_gl0_inv
	v_cmpx_eq_u32_e32 32, v10
	s_cbranch_execz .LBB14_73
; %bb.69:
	v_lshl_add_u32 v10, v40, 2, 0x200
	s_and_saveexec_b32 s0, vcc_lo
	s_cbranch_execz .LBB14_71
; %bb.70:
	ds_write2_b32 v10, v2, v3 offset1:16
	ds_write2_b32 v10, v4, v5 offset0:32 offset1:48
	ds_write2_b32 v10, v6, v7 offset0:64 offset1:80
	ds_write_b32 v10, v8 offset:384
.LBB14_71:
	s_or_b32 exec_lo, exec_lo, s0
	v_or_b32_e32 v11, 0x70, v40
	v_cmp_gt_u32_e64 s0, 0x78, v11
	s_and_b32 s0, vcc_lo, s0
	s_and_b32 exec_lo, exec_lo, s0
; %bb.72:
	ds_write_b32 v10, v1 offset:448
.LBB14_73:
	s_or_b32 exec_lo, exec_lo, s1
	v_cmp_gt_u32_e64 s0, 32, v0
	s_waitcnt lgkmcnt(0)
	s_barrier
	buffer_gl0_inv
	s_and_saveexec_b32 s2, s0
	s_cbranch_execz .LBB14_85
; %bb.74:
	v_lshl_add_u32 v9, v40, 2, v9
	s_and_saveexec_b32 s1, vcc_lo
	s_cbranch_execnz .LBB14_97
; %bb.75:
	s_or_b32 exec_lo, exec_lo, s1
	s_and_saveexec_b32 s1, vcc_lo
	s_cbranch_execnz .LBB14_98
.LBB14_76:
	s_or_b32 exec_lo, exec_lo, s1
	s_and_saveexec_b32 s1, vcc_lo
	s_cbranch_execnz .LBB14_99
.LBB14_77:
	s_or_b32 exec_lo, exec_lo, s1
	s_and_saveexec_b32 s1, vcc_lo
	s_cbranch_execnz .LBB14_100
.LBB14_78:
	s_or_b32 exec_lo, exec_lo, s1
	s_and_saveexec_b32 s1, vcc_lo
	s_cbranch_execnz .LBB14_101
.LBB14_79:
	s_or_b32 exec_lo, exec_lo, s1
	s_and_saveexec_b32 s1, vcc_lo
	s_cbranch_execnz .LBB14_102
.LBB14_80:
	s_or_b32 exec_lo, exec_lo, s1
	s_and_saveexec_b32 s1, vcc_lo
	s_cbranch_execz .LBB14_82
.LBB14_81:
	ds_read_b32 v10, v9 offset:384
	s_waitcnt lgkmcnt(0)
	v_add_f32_e32 v8, v8, v10
.LBB14_82:
	s_or_b32 exec_lo, exec_lo, s1
	v_or_b32_e32 v10, 0x70, v40
	v_cmp_gt_u32_e64 s1, 0x78, v10
	s_and_b32 s3, vcc_lo, s1
	s_and_saveexec_b32 s1, s3
	s_cbranch_execz .LBB14_84
; %bb.83:
	ds_read_b32 v9, v9 offset:448
	s_waitcnt lgkmcnt(0)
	v_add_f32_e32 v1, v1, v9
.LBB14_84:
	s_or_b32 exec_lo, exec_lo, s1
.LBB14_85:
	s_or_b32 exec_lo, exec_lo, s2
	s_barrier
	buffer_gl0_inv
	s_and_saveexec_b32 s1, s0
	s_cbranch_execz .LBB14_90
; %bb.86:
	s_mul_i32 s0, s10, s7
	s_mul_i32 s2, s7, s6
	;; [unrolled: 1-line block ×3, first 2 shown]
	v_lshrrev_b32_e32 v9, 1, v0
	s_mulk_i32 s0, 0x78
	s_ashr_i32 s1, s0, 31
	v_lshlrev_b32_e32 v0, 2, v9
	s_lshl_b64 s[0:1], s[0:1], 2
	s_add_u32 s4, s16, s0
	s_addc_u32 s1, s17, s1
	s_ashr_i32 s3, s2, 31
	s_mul_i32 s0, s8, 0x78
	s_lshl_b64 s[2:3], s[2:3], 2
	s_add_u32 s2, s4, s2
	s_addc_u32 s3, s1, s3
	s_ashr_i32 s1, s0, 31
	s_lshl_b64 s[0:1], s[0:1], 2
	s_add_u32 s2, s2, s0
	s_addc_u32 s3, s3, s1
	s_and_saveexec_b32 s0, vcc_lo
	s_cbranch_execz .LBB14_88
; %bb.87:
	global_store_dword v0, v2, s[2:3]
	global_store_dword v0, v3, s[2:3] offset:64
	global_store_dword v0, v4, s[2:3] offset:128
	;; [unrolled: 1-line block ×6, first 2 shown]
.LBB14_88:
	s_or_b32 exec_lo, exec_lo, s0
	v_or_b32_e32 v2, 0x70, v9
	v_cmp_gt_u32_e64 s0, 0x78, v2
	s_and_b32 s0, vcc_lo, s0
	s_and_b32 exec_lo, exec_lo, s0
	s_cbranch_execz .LBB14_90
; %bb.89:
	global_store_dword v0, v1, s[2:3] offset:448
.LBB14_90:
	s_endpgm
.LBB14_91:
	v_lshl_add_u32 v10, v40, 2, v9
	ds_read_b32 v10, v10
	s_waitcnt lgkmcnt(0)
	v_add_f32_e32 v2, v2, v10
	s_or_b32 exec_lo, exec_lo, s0
	s_and_saveexec_b32 s0, vcc_lo
	s_cbranch_execz .LBB14_59
.LBB14_92:
	v_lshl_add_u32 v10, v40, 2, v9
	ds_read_b32 v10, v10 offset:64
	s_waitcnt lgkmcnt(0)
	v_add_f32_e32 v3, v3, v10
	s_or_b32 exec_lo, exec_lo, s0
	s_and_saveexec_b32 s0, vcc_lo
	s_cbranch_execz .LBB14_60
.LBB14_93:
	v_lshl_add_u32 v10, v40, 2, v9
	ds_read_b32 v10, v10 offset:128
	s_waitcnt lgkmcnt(0)
	v_add_f32_e32 v4, v4, v10
	s_or_b32 exec_lo, exec_lo, s0
	s_and_saveexec_b32 s0, vcc_lo
	s_cbranch_execz .LBB14_61
.LBB14_94:
	v_lshl_add_u32 v10, v40, 2, v9
	ds_read_b32 v10, v10 offset:192
	s_waitcnt lgkmcnt(0)
	v_add_f32_e32 v5, v5, v10
	s_or_b32 exec_lo, exec_lo, s0
	s_and_saveexec_b32 s0, vcc_lo
	s_cbranch_execz .LBB14_62
.LBB14_95:
	v_lshl_add_u32 v10, v40, 2, v9
	ds_read_b32 v10, v10 offset:256
	s_waitcnt lgkmcnt(0)
	v_add_f32_e32 v6, v6, v10
	s_or_b32 exec_lo, exec_lo, s0
	s_and_saveexec_b32 s0, vcc_lo
	s_cbranch_execz .LBB14_63
.LBB14_96:
	v_lshl_add_u32 v10, v40, 2, v9
	ds_read_b32 v10, v10 offset:320
	s_waitcnt lgkmcnt(0)
	v_add_f32_e32 v7, v7, v10
	s_or_b32 exec_lo, exec_lo, s0
	s_and_saveexec_b32 s0, vcc_lo
	s_cbranch_execnz .LBB14_64
	s_branch .LBB14_65
.LBB14_97:
	ds_read_b32 v10, v9
	s_waitcnt lgkmcnt(0)
	v_add_f32_e32 v2, v2, v10
	s_or_b32 exec_lo, exec_lo, s1
	s_and_saveexec_b32 s1, vcc_lo
	s_cbranch_execz .LBB14_76
.LBB14_98:
	ds_read_b32 v10, v9 offset:64
	s_waitcnt lgkmcnt(0)
	v_add_f32_e32 v3, v3, v10
	s_or_b32 exec_lo, exec_lo, s1
	s_and_saveexec_b32 s1, vcc_lo
	s_cbranch_execz .LBB14_77
.LBB14_99:
	ds_read_b32 v10, v9 offset:128
	s_waitcnt lgkmcnt(0)
	v_add_f32_e32 v4, v4, v10
	s_or_b32 exec_lo, exec_lo, s1
	s_and_saveexec_b32 s1, vcc_lo
	s_cbranch_execz .LBB14_78
.LBB14_100:
	ds_read_b32 v10, v9 offset:192
	s_waitcnt lgkmcnt(0)
	v_add_f32_e32 v5, v5, v10
	s_or_b32 exec_lo, exec_lo, s1
	s_and_saveexec_b32 s1, vcc_lo
	s_cbranch_execz .LBB14_79
.LBB14_101:
	ds_read_b32 v10, v9 offset:256
	s_waitcnt lgkmcnt(0)
	v_add_f32_e32 v6, v6, v10
	s_or_b32 exec_lo, exec_lo, s1
	s_and_saveexec_b32 s1, vcc_lo
	s_cbranch_execz .LBB14_80
.LBB14_102:
	ds_read_b32 v10, v9 offset:320
	s_waitcnt lgkmcnt(0)
	v_add_f32_e32 v7, v7, v10
	s_or_b32 exec_lo, exec_lo, s1
	s_and_saveexec_b32 s1, vcc_lo
	s_cbranch_execnz .LBB14_81
	s_branch .LBB14_82
	.section	.rodata,"a",@progbits
	.p2align	6, 0x0
	.amdhsa_kernel _ZN4vllm25paged_attention_v1_kernelIffLi120ELi8ELi128ELNS_18Fp8KVCacheDataTypeE0ELb0EEEvPT_PKS2_PKT0_S8_ifPKiSA_iPKfiiiSC_SC_iiiii
		.amdhsa_group_segment_fixed_size 512
		.amdhsa_private_segment_fixed_size 0
		.amdhsa_kernarg_size 384
		.amdhsa_user_sgpr_count 6
		.amdhsa_user_sgpr_private_segment_buffer 1
		.amdhsa_user_sgpr_dispatch_ptr 0
		.amdhsa_user_sgpr_queue_ptr 0
		.amdhsa_user_sgpr_kernarg_segment_ptr 1
		.amdhsa_user_sgpr_dispatch_id 0
		.amdhsa_user_sgpr_flat_scratch_init 0
		.amdhsa_user_sgpr_private_segment_size 0
		.amdhsa_wavefront_size32 1
		.amdhsa_uses_dynamic_stack 0
		.amdhsa_system_sgpr_private_segment_wavefront_offset 0
		.amdhsa_system_sgpr_workgroup_id_x 1
		.amdhsa_system_sgpr_workgroup_id_y 1
		.amdhsa_system_sgpr_workgroup_id_z 1
		.amdhsa_system_sgpr_workgroup_info 0
		.amdhsa_system_vgpr_workitem_id 0
		.amdhsa_next_free_vgpr 78
		.amdhsa_next_free_sgpr 27
		.amdhsa_reserve_vcc 1
		.amdhsa_reserve_flat_scratch 0
		.amdhsa_float_round_mode_32 0
		.amdhsa_float_round_mode_16_64 0
		.amdhsa_float_denorm_mode_32 3
		.amdhsa_float_denorm_mode_16_64 3
		.amdhsa_dx10_clamp 1
		.amdhsa_ieee_mode 1
		.amdhsa_fp16_overflow 0
		.amdhsa_workgroup_processor_mode 1
		.amdhsa_memory_ordered 1
		.amdhsa_forward_progress 1
		.amdhsa_shared_vgpr_count 0
		.amdhsa_exception_fp_ieee_invalid_op 0
		.amdhsa_exception_fp_denorm_src 0
		.amdhsa_exception_fp_ieee_div_zero 0
		.amdhsa_exception_fp_ieee_overflow 0
		.amdhsa_exception_fp_ieee_underflow 0
		.amdhsa_exception_fp_ieee_inexact 0
		.amdhsa_exception_int_div_zero 0
	.end_amdhsa_kernel
	.section	.text._ZN4vllm25paged_attention_v1_kernelIffLi120ELi8ELi128ELNS_18Fp8KVCacheDataTypeE0ELb0EEEvPT_PKS2_PKT0_S8_ifPKiSA_iPKfiiiSC_SC_iiiii,"axG",@progbits,_ZN4vllm25paged_attention_v1_kernelIffLi120ELi8ELi128ELNS_18Fp8KVCacheDataTypeE0ELb0EEEvPT_PKS2_PKT0_S8_ifPKiSA_iPKfiiiSC_SC_iiiii,comdat
.Lfunc_end14:
	.size	_ZN4vllm25paged_attention_v1_kernelIffLi120ELi8ELi128ELNS_18Fp8KVCacheDataTypeE0ELb0EEEvPT_PKS2_PKT0_S8_ifPKiSA_iPKfiiiSC_SC_iiiii, .Lfunc_end14-_ZN4vllm25paged_attention_v1_kernelIffLi120ELi8ELi128ELNS_18Fp8KVCacheDataTypeE0ELb0EEEvPT_PKS2_PKT0_S8_ifPKiSA_iPKfiiiSC_SC_iiiii
                                        ; -- End function
	.set _ZN4vllm25paged_attention_v1_kernelIffLi120ELi8ELi128ELNS_18Fp8KVCacheDataTypeE0ELb0EEEvPT_PKS2_PKT0_S8_ifPKiSA_iPKfiiiSC_SC_iiiii.num_vgpr, 78
	.set _ZN4vllm25paged_attention_v1_kernelIffLi120ELi8ELi128ELNS_18Fp8KVCacheDataTypeE0ELb0EEEvPT_PKS2_PKT0_S8_ifPKiSA_iPKfiiiSC_SC_iiiii.num_agpr, 0
	.set _ZN4vllm25paged_attention_v1_kernelIffLi120ELi8ELi128ELNS_18Fp8KVCacheDataTypeE0ELb0EEEvPT_PKS2_PKT0_S8_ifPKiSA_iPKfiiiSC_SC_iiiii.numbered_sgpr, 27
	.set _ZN4vllm25paged_attention_v1_kernelIffLi120ELi8ELi128ELNS_18Fp8KVCacheDataTypeE0ELb0EEEvPT_PKS2_PKT0_S8_ifPKiSA_iPKfiiiSC_SC_iiiii.num_named_barrier, 0
	.set _ZN4vllm25paged_attention_v1_kernelIffLi120ELi8ELi128ELNS_18Fp8KVCacheDataTypeE0ELb0EEEvPT_PKS2_PKT0_S8_ifPKiSA_iPKfiiiSC_SC_iiiii.private_seg_size, 0
	.set _ZN4vllm25paged_attention_v1_kernelIffLi120ELi8ELi128ELNS_18Fp8KVCacheDataTypeE0ELb0EEEvPT_PKS2_PKT0_S8_ifPKiSA_iPKfiiiSC_SC_iiiii.uses_vcc, 1
	.set _ZN4vllm25paged_attention_v1_kernelIffLi120ELi8ELi128ELNS_18Fp8KVCacheDataTypeE0ELb0EEEvPT_PKS2_PKT0_S8_ifPKiSA_iPKfiiiSC_SC_iiiii.uses_flat_scratch, 0
	.set _ZN4vllm25paged_attention_v1_kernelIffLi120ELi8ELi128ELNS_18Fp8KVCacheDataTypeE0ELb0EEEvPT_PKS2_PKT0_S8_ifPKiSA_iPKfiiiSC_SC_iiiii.has_dyn_sized_stack, 0
	.set _ZN4vllm25paged_attention_v1_kernelIffLi120ELi8ELi128ELNS_18Fp8KVCacheDataTypeE0ELb0EEEvPT_PKS2_PKT0_S8_ifPKiSA_iPKfiiiSC_SC_iiiii.has_recursion, 0
	.set _ZN4vllm25paged_attention_v1_kernelIffLi120ELi8ELi128ELNS_18Fp8KVCacheDataTypeE0ELb0EEEvPT_PKS2_PKT0_S8_ifPKiSA_iPKfiiiSC_SC_iiiii.has_indirect_call, 0
	.section	.AMDGPU.csdata,"",@progbits
; Kernel info:
; codeLenInByte = 5372
; TotalNumSgprs: 29
; NumVgprs: 78
; ScratchSize: 0
; MemoryBound: 0
; FloatMode: 240
; IeeeMode: 1
; LDSByteSize: 512 bytes/workgroup (compile time only)
; SGPRBlocks: 0
; VGPRBlocks: 9
; NumSGPRsForWavesPerEU: 29
; NumVGPRsForWavesPerEU: 78
; Occupancy: 12
; WaveLimiterHint : 1
; COMPUTE_PGM_RSRC2:SCRATCH_EN: 0
; COMPUTE_PGM_RSRC2:USER_SGPR: 6
; COMPUTE_PGM_RSRC2:TRAP_HANDLER: 0
; COMPUTE_PGM_RSRC2:TGID_X_EN: 1
; COMPUTE_PGM_RSRC2:TGID_Y_EN: 1
; COMPUTE_PGM_RSRC2:TGID_Z_EN: 1
; COMPUTE_PGM_RSRC2:TIDIG_COMP_CNT: 0
	.section	.text._ZN4vllm25paged_attention_v1_kernelIffLi128ELi8ELi128ELNS_18Fp8KVCacheDataTypeE0ELb0EEEvPT_PKS2_PKT0_S8_ifPKiSA_iPKfiiiSC_SC_iiiii,"axG",@progbits,_ZN4vllm25paged_attention_v1_kernelIffLi128ELi8ELi128ELNS_18Fp8KVCacheDataTypeE0ELb0EEEvPT_PKS2_PKT0_S8_ifPKiSA_iPKfiiiSC_SC_iiiii,comdat
	.protected	_ZN4vllm25paged_attention_v1_kernelIffLi128ELi8ELi128ELNS_18Fp8KVCacheDataTypeE0ELb0EEEvPT_PKS2_PKT0_S8_ifPKiSA_iPKfiiiSC_SC_iiiii ; -- Begin function _ZN4vllm25paged_attention_v1_kernelIffLi128ELi8ELi128ELNS_18Fp8KVCacheDataTypeE0ELb0EEEvPT_PKS2_PKT0_S8_ifPKiSA_iPKfiiiSC_SC_iiiii
	.globl	_ZN4vllm25paged_attention_v1_kernelIffLi128ELi8ELi128ELNS_18Fp8KVCacheDataTypeE0ELb0EEEvPT_PKS2_PKT0_S8_ifPKiSA_iPKfiiiSC_SC_iiiii
	.p2align	8
	.type	_ZN4vllm25paged_attention_v1_kernelIffLi128ELi8ELi128ELNS_18Fp8KVCacheDataTypeE0ELb0EEEvPT_PKS2_PKT0_S8_ifPKiSA_iPKfiiiSC_SC_iiiii,@function
_ZN4vllm25paged_attention_v1_kernelIffLi128ELi8ELi128ELNS_18Fp8KVCacheDataTypeE0ELb0EEEvPT_PKS2_PKT0_S8_ifPKiSA_iPKfiiiSC_SC_iiiii: ; @_ZN4vllm25paged_attention_v1_kernelIffLi128ELi8ELi128ELNS_18Fp8KVCacheDataTypeE0ELb0EEEvPT_PKS2_PKT0_S8_ifPKiSA_iPKfiiiSC_SC_iiiii
; %bb.0:
	s_clause 0x2
	s_load_dword s9, s[4:5], 0x80
	s_load_dwordx2 s[0:1], s[4:5], 0x30
	s_load_dwordx2 s[24:25], s[4:5], 0x20
	s_mov_b32 s10, s7
	s_ashr_i32 s11, s7, 31
	s_lshl_b64 s[2:3], s[10:11], 2
	s_waitcnt lgkmcnt(0)
	s_add_u32 s0, s0, s2
	s_addc_u32 s1, s1, s3
	s_abs_i32 s2, s24
	s_abs_i32 s11, s9
	v_cvt_f32_u32_e32 v1, s2
	s_sub_i32 s7, 0, s2
	v_rcp_iflag_f32_e32 v1, v1
	v_mul_f32_e32 v1, 0x4f7ffffe, v1
	v_cvt_u32_f32_e32 v1, v1
	v_readfirstlane_b32 s3, v1
	s_mul_i32 s7, s7, s3
	s_mul_hi_u32 s7, s3, s7
	s_add_i32 s3, s3, s7
	s_xor_b32 s7, s9, s24
	s_mul_hi_u32 s3, s11, s3
	s_ashr_i32 s7, s7, 31
	s_mul_i32 s12, s3, s2
	s_mov_b32 s24, 0
	s_sub_i32 s11, s11, s12
	s_add_i32 s12, s3, 1
	s_sub_i32 s13, s11, s2
	s_cmp_ge_u32 s11, s2
	s_cselect_b32 s3, s12, s3
	s_cselect_b32 s11, s13, s11
	s_add_i32 s12, s3, 1
	s_cmp_ge_u32 s11, s2
	s_cselect_b32 s2, s12, s3
	s_abs_i32 s17, s6
	s_xor_b32 s2, s2, s7
	s_sub_i32 s18, s2, s7
	s_load_dwordx2 s[2:3], s[4:5], 0x40
	s_abs_i32 s16, s18
	v_cvt_f32_u32_e32 v1, s16
	s_sub_i32 s11, 0, s16
	v_rcp_iflag_f32_e32 v1, v1
	v_mul_f32_e32 v1, 0x4f7ffffe, v1
	v_cvt_u32_f32_e32 v1, v1
	v_readfirstlane_b32 s7, v1
	s_mul_i32 s11, s11, s7
	s_mul_hi_u32 s11, s7, s11
	s_add_i32 s7, s7, s11
	s_waitcnt lgkmcnt(0)
	s_cmp_eq_u64 s[2:3], 0
	s_mul_hi_u32 s20, s17, s7
	s_cbranch_scc1 .LBB15_2
; %bb.1:
	s_ashr_i32 s7, s6, 31
	s_lshl_b64 s[12:13], s[6:7], 2
	s_add_u32 s2, s2, s12
	s_addc_u32 s3, s3, s13
	s_load_dword s24, s[2:3], 0x0
.LBB15_2:
	s_load_dword s11, s[0:1], 0x0
	s_load_dwordx4 s[12:15], s[4:5], 0x48
	v_and_b32_e32 v33, 3, v0
	v_lshlrev_b32_e32 v35, 2, v0
	s_ashr_i32 s0, s6, 31
	s_ashr_i32 s1, s18, 31
	s_lshl_b32 s6, s6, 7
	s_mov_b32 s2, exec_lo
	v_cmpx_gt_u32_e32 0x80, v0
	s_cbranch_execz .LBB15_4
; %bb.3:
	s_load_dwordx2 s[18:19], s[4:5], 0x8
	s_waitcnt lgkmcnt(0)
	s_mul_i32 s22, s12, s10
	v_and_b32_e32 v2, 0x3fc, v0
	s_ashr_i32 s23, s22, 31
	s_lshl_b64 s[22:23], s[22:23], 2
	v_lshl_add_u32 v2, v33, 7, v2
	s_add_u32 s3, s18, s22
	s_addc_u32 s12, s19, s23
	s_ashr_i32 s7, s6, 31
	s_lshl_b64 s[18:19], s[6:7], 2
	s_add_u32 s18, s3, s18
	s_addc_u32 s19, s12, s19
	global_load_dword v1, v35, s[18:19]
	s_waitcnt vmcnt(0)
	ds_write_b32 v2, v1
.LBB15_4:
	s_or_b32 exec_lo, exec_lo, s2
	s_waitcnt lgkmcnt(0)
	s_add_i32 s2, s11, 7
	s_clause 0x1
	s_load_dwordx2 s[18:19], s[4:5], 0x28
	s_load_dword s7, s[4:5], 0x38
	s_ashr_i32 s3, s2, 31
	s_xor_b32 s0, s0, s1
	s_lshr_b32 s3, s3, 29
	s_mul_i32 s1, s20, s16
	s_add_i32 s2, s2, s3
	s_sub_i32 s1, s17, s1
	s_ashr_i32 s12, s2, 3
	s_add_i32 s2, s20, 1
	s_sub_i32 s3, s1, s16
	s_cmp_ge_u32 s1, s16
	v_lshrrev_b32_e32 v39, 5, v0
	s_cselect_b32 s2, s2, s20
	s_cselect_b32 s1, s3, s1
	s_add_i32 s3, s2, 1
	s_cmp_ge_u32 s1, s16
	v_mbcnt_lo_u32_b32 v37, -1, 0
	s_cselect_b32 s1, s3, s2
	s_mov_b32 s2, exec_lo
	s_xor_b32 s1, s1, s0
	s_waitcnt lgkmcnt(0)
	s_mul_i32 s20, s7, s10
	s_sub_i32 s1, s1, s0
	v_cmp_gt_i32_e64 s0, s12, v39
	s_ashr_i32 s21, s20, 31
	s_barrier
	buffer_gl0_inv
                                        ; implicit-def: $vgpr38
                                        ; implicit-def: $vgpr41
	v_cmpx_le_i32_e64 s12, v39
	s_xor_b32 s2, exec_lo, s2
; %bb.5:
	v_mov_b32_e32 v38, 0
	v_mbcnt_lo_u32_b32 v37, -1, 0
	v_mov_b32_e32 v41, 32
                                        ; implicit-def: $vgpr33
; %bb.6:
	s_or_saveexec_b32 s26, s2
	s_clause 0x2
	s_load_dwordx2 s[16:17], s[4:5], 0x0
	s_load_dwordx2 s[22:23], s[4:5], 0x18
	s_load_dword s7, s[4:5], 0x88
	v_mov_b32_e32 v40, 0xff7fffff
	v_lshrrev_b32_e32 v36, 3, v0
	s_mul_i32 s14, s1, s14
	s_xor_b32 exec_lo, exec_lo, s26
	s_cbranch_execz .LBB15_12
; %bb.7:
	s_load_dwordx2 s[2:3], s[4:5], 0x10
	v_bfe_u32 v34, v0, 2, 3
	s_ashr_i32 s15, s14, 31
	v_xor_b32_e32 v26, 2, v37
	s_lshl_b64 s[4:5], s[14:15], 2
	v_lshlrev_b32_e32 v25, 2, v33
	v_lshlrev_b32_e32 v28, 4, v34
	v_xor_b32_e32 v27, 1, v37
	v_cmp_gt_i32_e32 vcc_lo, 32, v26
	v_lshlrev_b32_e32 v29, 7, v33
	ds_read_b128 v[1:4], v29
	ds_read_b128 v[5:8], v29 offset:16
	ds_read_b128 v[9:12], v29 offset:32
	;; [unrolled: 1-line block ×5, first 2 shown]
	v_cndmask_b32_e32 v44, v37, v26, vcc_lo
	v_lshlrev_b32_e32 v40, 2, v34
	v_lshl_or_b32 v46, v39, 3, v34
	v_and_b32_e32 v34, 0x7c, v36
	v_mov_b32_e32 v38, 0
	s_waitcnt lgkmcnt(0)
	s_add_u32 s1, s2, s4
	s_addc_u32 s2, s3, s5
	v_add_co_u32 v28, s1, s1, v28
	v_add_co_ci_u32_e64 v30, null, s2, 0, s1
	s_lshl_b64 s[2:3], s[20:21], 2
	v_add_co_u32 v42, vcc_lo, v28, v25
	v_add_co_ci_u32_e64 v43, null, 0, v30, vcc_lo
	v_cmp_gt_i32_e32 vcc_lo, 32, v27
	s_sub_i32 s4, 1, s11
	s_add_u32 s2, s18, s2
	s_addc_u32 s3, s19, s3
	v_mov_b32_e32 v41, 32
	v_cndmask_b32_e32 v45, v37, v27, vcc_lo
	ds_read_b128 v[25:28], v29 offset:96
	ds_read_b128 v[29:32], v29 offset:112
	v_cmp_eq_u32_e32 vcc_lo, 0, v33
	v_lshl_or_b32 v33, v39, 5, v40
	v_lshlrev_b32_e32 v44, 2, v44
	v_lshlrev_b32_e32 v45, 2, v45
	v_cmp_neq_f32_e64 s1, s24, 0
	v_mov_b32_e32 v40, 0xff7fffff
	v_add_nc_u32_e32 v47, 0x220, v33
	v_add_co_u32 v33, s2, s2, v34
	v_add_co_ci_u32_e64 v34, null, s3, 0, s2
	v_mov_b32_e32 v48, v39
	s_mov_b32 s15, s13
	s_mov_b32 s5, 0
	s_branch .LBB15_9
.LBB15_8:                               ;   in Loop: Header=BB15_9 Depth=1
	s_or_b32 exec_lo, exec_lo, s3
	v_add_nc_u32_e32 v48, 4, v48
	v_add_co_u32 v33, s3, v33, 16
	v_add_nc_u32_e32 v46, 32, v46
	v_add_nc_u32_e32 v47, 0x80, v47
	v_cmp_le_i32_e64 s2, s12, v48
	v_add_co_ci_u32_e64 v34, null, 0, v34, s3
	s_or_b32 s5, s2, s5
	s_andn2_b32 exec_lo, exec_lo, s5
	s_cbranch_execz .LBB15_11
.LBB15_9:                               ; =>This Inner Loop Header: Depth=1
	global_load_dword v49, v[33:34], off
	s_waitcnt vmcnt(0) lgkmcnt(0)
	v_mad_i64_i32 v[49:50], null, v49, s15, 0
	v_lshlrev_b64 v[49:50], 2, v[49:50]
	v_add_co_u32 v49, s2, v42, v49
	v_add_co_ci_u32_e64 v50, null, v43, v50, s2
	s_clause 0xf
	global_load_dword v51, v[49:50], off offset:128
	global_load_dword v52, v[49:50], off offset:256
	;; [unrolled: 1-line block ×7, first 2 shown]
	global_load_dword v58, v[49:50], off
	global_load_dword v59, v[49:50], off offset:1024
	global_load_dword v60, v[49:50], off offset:1152
	;; [unrolled: 1-line block ×8, first 2 shown]
	v_add_co_u32 v49, s2, 0x800, v49
	v_add_co_ci_u32_e64 v50, null, 0, v50, s2
	s_clause 0xf
	global_load_dword v67, v[49:50], off
	global_load_dword v68, v[49:50], off offset:128
	global_load_dword v69, v[49:50], off offset:256
	;; [unrolled: 1-line block ×15, first 2 shown]
	s_waitcnt vmcnt(31)
	v_mul_f32_e32 v50, v2, v51
	s_waitcnt vmcnt(24)
	v_fmac_f32_e32 v50, v1, v58
	v_fmac_f32_e32 v50, v3, v52
	;; [unrolled: 1-line block ×7, first 2 shown]
	s_waitcnt vmcnt(23)
	v_fmac_f32_e32 v50, v9, v59
	s_waitcnt vmcnt(22)
	v_fmac_f32_e32 v50, v10, v60
	;; [unrolled: 2-line block ×16, first 2 shown]
	s_waitcnt vmcnt(7) lgkmcnt(1)
	v_fmac_f32_e32 v50, v25, v75
	s_waitcnt vmcnt(6)
	v_fmac_f32_e32 v50, v26, v76
	s_waitcnt vmcnt(5)
	;; [unrolled: 2-line block ×3, first 2 shown]
	v_fmac_f32_e32 v50, v28, v78
	s_waitcnt vmcnt(3) lgkmcnt(0)
	v_fmac_f32_e32 v50, v29, v79
	s_waitcnt vmcnt(2)
	v_fmac_f32_e32 v50, v30, v80
	s_waitcnt vmcnt(1)
	;; [unrolled: 2-line block ×3, first 2 shown]
	v_fmac_f32_e32 v50, v32, v49
	ds_bpermute_b32 v49, v44, v50
	s_waitcnt lgkmcnt(0)
	v_add_f32_e32 v49, v50, v49
	ds_bpermute_b32 v50, v45, v49
	s_and_saveexec_b32 s3, vcc_lo
	s_cbranch_execz .LBB15_8
; %bb.10:                               ;   in Loop: Header=BB15_9 Depth=1
	v_add_nc_u32_e32 v51, s4, v46
	s_waitcnt lgkmcnt(0)
	v_add_f32_e32 v49, v49, v50
	v_cmp_gt_i32_e64 s2, s11, v46
	v_cvt_f32_i32_e32 v51, v51
	v_mul_f32_e32 v51, s24, v51
	v_cndmask_b32_e64 v50, 0, v51, s1
	v_max_f32_e32 v51, v40, v40
	v_fmac_f32_e32 v50, s25, v49
	v_max_f32_e32 v49, v51, v50
	v_cndmask_b32_e64 v50, 0, v50, s2
	v_cndmask_b32_e64 v40, v40, v49, s2
	ds_write_b32 v47, v50
	s_branch .LBB15_8
.LBB15_11:
	s_or_b32 exec_lo, exec_lo, s5
.LBB15_12:
	s_or_b32 exec_lo, exec_lo, s26
	v_xor_b32_e32 v1, 16, v37
	v_xor_b32_e32 v3, 8, v37
	v_max_f32_e32 v4, v40, v40
	v_xor_b32_e32 v5, 4, v37
	v_cmp_lt_i32_e32 vcc_lo, v1, v41
	v_cndmask_b32_e32 v1, v37, v1, vcc_lo
	v_cmp_lt_i32_e32 vcc_lo, v3, v41
	v_lshlrev_b32_e32 v2, 2, v1
	v_cndmask_b32_e32 v3, v37, v3, vcc_lo
	v_cmp_lt_i32_e32 vcc_lo, v5, v41
	ds_bpermute_b32 v1, v2, v40
	v_lshlrev_b32_e32 v3, 2, v3
	v_cndmask_b32_e32 v5, v37, v5, vcc_lo
	v_and_b32_e32 v40, 31, v0
	v_lshlrev_b32_e32 v6, 2, v5
	v_cmp_eq_u32_e32 vcc_lo, 0, v40
	s_waitcnt lgkmcnt(0)
	v_max_f32_e32 v1, v1, v1
	v_max_f32_e32 v1, v4, v1
	ds_bpermute_b32 v4, v3, v1
	s_waitcnt lgkmcnt(0)
	v_max_f32_e32 v4, v4, v4
	v_max_f32_e32 v1, v1, v4
	v_lshlrev_b32_e32 v4, 2, v39
	ds_bpermute_b32 v5, v6, v1
	s_and_saveexec_b32 s1, vcc_lo
	s_cbranch_execz .LBB15_14
; %bb.13:
	s_waitcnt lgkmcnt(0)
	v_max_f32_e32 v5, v5, v5
	v_max_f32_e32 v1, v1, v1
	;; [unrolled: 1-line block ×3, first 2 shown]
	ds_write_b32 v4, v1 offset:512
.LBB15_14:
	s_or_b32 exec_lo, exec_lo, s1
	v_cmp_gt_u32_e64 s1, 4, v40
	v_mov_b32_e32 v1, 0xff7fffff
	s_waitcnt lgkmcnt(0)
	v_lshlrev_b32_e32 v5, 2, v40
	s_barrier
	buffer_gl0_inv
	s_and_saveexec_b32 s2, s1
; %bb.15:
	ds_read_b32 v1, v5 offset:512
; %bb.16:
	s_or_b32 exec_lo, exec_lo, s2
	v_xor_b32_e32 v7, 2, v37
	v_xor_b32_e32 v9, 1, v37
	v_cmp_lt_i32_e64 s2, v7, v41
	v_cndmask_b32_e64 v7, v37, v7, s2
	v_cmp_lt_i32_e64 s2, v9, v41
	v_lshlrev_b32_e32 v7, 2, v7
	v_cndmask_b32_e64 v9, v37, v9, s2
	s_lshl_b32 s2, s12, 3
	s_min_i32 s4, s2, s11
	s_waitcnt lgkmcnt(0)
	ds_bpermute_b32 v8, v7, v1
	v_max_f32_e32 v1, v1, v1
	v_lshlrev_b32_e32 v41, 2, v9
	v_cmp_gt_i32_e64 s2, s4, v0
	s_waitcnt lgkmcnt(0)
	v_max_f32_e32 v8, v8, v8
	v_max_f32_e32 v1, v1, v8
	ds_bpermute_b32 v8, v41, v1
	s_waitcnt lgkmcnt(0)
	v_max_f32_e32 v8, v8, v8
	v_max_f32_e32 v1, v1, v8
	v_lshlrev_b32_e32 v8, 2, v38
	ds_bpermute_b32 v9, v8, v1
	v_mov_b32_e32 v8, 0
	v_lshl_add_u32 v1, v0, 2, 0x220
	s_and_saveexec_b32 s5, s2
	s_cbranch_execz .LBB15_20
; %bb.17:
	v_lshl_add_u32 v10, v0, 2, 0x220
	v_mov_b32_e32 v8, 0
	v_mov_b32_e32 v11, v0
	s_mov_b32 s15, 0
	.p2align	6
.LBB15_18:                              ; =>This Inner Loop Header: Depth=1
	ds_read_b32 v12, v10
	v_add_nc_u32_e32 v11, 0x80, v11
	v_cmp_le_i32_e64 s3, s4, v11
	s_or_b32 s15, s3, s15
	s_waitcnt lgkmcnt(0)
	v_sub_f32_e32 v12, v12, v9
	v_mul_f32_e32 v12, 0x3fb8aa3b, v12
	v_exp_f32_e32 v12, v12
	ds_write_b32 v10, v12
	v_add_f32_e32 v8, v8, v12
	v_add_nc_u32_e32 v10, 0x200, v10
	s_andn2_b32 exec_lo, exec_lo, s15
	s_cbranch_execnz .LBB15_18
; %bb.19:
	s_or_b32 exec_lo, exec_lo, s15
.LBB15_20:
	s_or_b32 exec_lo, exec_lo, s5
	ds_bpermute_b32 v2, v2, v8
	s_waitcnt lgkmcnt(0)
	v_add_f32_e32 v2, v8, v2
	ds_bpermute_b32 v3, v3, v2
	s_waitcnt lgkmcnt(0)
	v_add_f32_e32 v2, v2, v3
	;; [unrolled: 3-line block ×5, first 2 shown]
	s_and_saveexec_b32 s3, vcc_lo
; %bb.21:
	ds_write_b32 v4, v2 offset:528
; %bb.22:
	s_or_b32 exec_lo, exec_lo, s3
	s_waitcnt lgkmcnt(0)
	s_barrier
	buffer_gl0_inv
	s_and_saveexec_b32 s3, s1
; %bb.23:
	ds_read_b32 v2, v5 offset:528
; %bb.24:
	s_or_b32 exec_lo, exec_lo, s3
	s_waitcnt lgkmcnt(0)
	ds_bpermute_b32 v3, v7, v2
	v_lshlrev_b32_e32 v4, 2, v37
	s_waitcnt lgkmcnt(0)
	v_add_f32_e32 v2, v2, v3
	ds_bpermute_b32 v3, v41, v2
	s_waitcnt lgkmcnt(0)
	v_add_f32_e32 v2, v2, v3
	v_and_b32_e32 v3, 0xffffff80, v4
	ds_bpermute_b32 v2, v3, v2
	s_and_saveexec_b32 s1, s2
	s_cbranch_execz .LBB15_27
; %bb.25:
	s_waitcnt lgkmcnt(0)
	v_add_f32_e32 v2, 0x358637bd, v2
	s_mov_b32 s2, 0
	v_div_scale_f32 v3, null, v2, v2, 1.0
	v_div_scale_f32 v6, vcc_lo, 1.0, v2, 1.0
	v_rcp_f32_e32 v4, v3
	v_fma_f32 v5, -v3, v4, 1.0
	v_fmac_f32_e32 v4, v5, v4
	v_mul_f32_e32 v5, v6, v4
	v_fma_f32 v7, -v3, v5, v6
	v_fmac_f32_e32 v5, v7, v4
	v_fma_f32 v3, -v3, v5, v6
	v_div_fmas_f32 v3, v3, v4, v5
	v_div_fixup_f32 v2, v3, v2, 1.0
	v_mov_b32_e32 v3, v0
.LBB15_26:                              ; =>This Inner Loop Header: Depth=1
	ds_read_b32 v4, v1
	v_add_nc_u32_e32 v3, 0x80, v3
	v_cmp_le_i32_e32 vcc_lo, s4, v3
	s_or_b32 s2, vcc_lo, s2
	s_waitcnt lgkmcnt(0)
	v_mul_f32_e32 v4, v2, v4
	ds_write_b32 v1, v4
	v_add_nc_u32_e32 v1, 0x200, v1
	s_andn2_b32 exec_lo, exec_lo, s2
	s_cbranch_execnz .LBB15_26
.LBB15_27:
	s_or_b32 exec_lo, exec_lo, s1
	v_mov_b32_e32 v48, 0
	v_and_b32_e32 v42, 1, v0
	v_mov_b32_e32 v50, 0
	v_mov_b32_e32 v49, 0
	;; [unrolled: 1-line block ×7, first 2 shown]
	s_waitcnt lgkmcnt(0)
	s_barrier
	buffer_gl0_inv
	s_and_saveexec_b32 s1, s0
	s_cbranch_execz .LBB15_47
; %bb.28:
	v_lshlrev_b32_e32 v2, 4, v0
	s_ashr_i32 s15, s14, 31
	v_and_b32_e32 v1, 4, v35
	v_lshlrev_b32_e32 v4, 3, v39
	s_lshl_b64 s[2:3], s[14:15], 2
	v_and_b32_e32 v2, 0x1f0, v2
	v_lshlrev_b32_e32 v3, 4, v42
	s_add_u32 s0, s22, s2
	v_or3_b32 v53, v4, v1, 3
	v_and_b32_e32 v1, 0x7c, v36
	s_addc_u32 s3, s23, s3
	v_add_co_u32 v51, s0, s0, v2
	s_lshl_b64 s[4:5], s[20:21], 2
	s_add_i32 s2, s12, -1
	v_lshl_or_b32 v3, v39, 5, v3
	v_add_co_ci_u32_e64 v52, null, s3, 0, s0
	s_add_u32 s0, s18, s4
	s_addc_u32 s3, s19, s5
	v_add_co_u32 v37, s0, s0, v1
	v_mov_b32_e32 v43, 0
	v_add_nc_u32_e32 v54, 0x220, v3
	v_add_co_ci_u32_e64 v38, null, s3, 0, s0
	v_mov_b32_e32 v44, 0
	v_mov_b32_e32 v45, 0
	;; [unrolled: 1-line block ×8, first 2 shown]
	s_mov_b32 s4, s13
	s_mov_b32 s3, 0
	s_branch .LBB15_30
.LBB15_29:                              ;   in Loop: Header=BB15_30 Depth=1
	s_or_b32 exec_lo, exec_lo, s0
	s_waitcnt vmcnt(1) lgkmcnt(0)
	v_mul_f32_e32 v29, v1, v29
	v_mul_f32_e32 v25, v1, v25
	v_mul_f32_e32 v21, v1, v21
	v_mul_f32_e32 v17, v1, v17
	v_mul_f32_e32 v13, v1, v13
	v_mul_f32_e32 v9, v1, v9
	v_mul_f32_e32 v5, v1, v5
	s_waitcnt vmcnt(0)
	v_mul_f32_e32 v1, v1, v33
	v_fmac_f32_e32 v29, v2, v30
	v_fmac_f32_e32 v25, v2, v26
	v_fmac_f32_e32 v21, v2, v22
	v_fmac_f32_e32 v17, v2, v18
	v_fmac_f32_e32 v13, v2, v14
	v_fmac_f32_e32 v9, v2, v10
	v_fmac_f32_e32 v5, v2, v6
	v_fmac_f32_e32 v1, v2, v34
	v_fmac_f32_e32 v29, v3, v31
	v_fmac_f32_e32 v25, v3, v27
	v_fmac_f32_e32 v21, v3, v23
	v_fmac_f32_e32 v17, v3, v19
	v_fmac_f32_e32 v13, v3, v15
	v_fmac_f32_e32 v9, v3, v11
	v_fmac_f32_e32 v5, v3, v7
	v_fmac_f32_e32 v1, v3, v35
	v_add_nc_u32_e32 v55, 4, v55
	v_fmac_f32_e32 v29, v4, v32
	v_fmac_f32_e32 v25, v4, v28
	;; [unrolled: 1-line block ×8, first 2 shown]
	v_cmp_le_i32_e32 vcc_lo, s12, v55
	v_add_co_u32 v37, s0, v37, 16
	v_add_f32_e32 v44, v44, v29
	v_add_f32_e32 v45, v45, v25
	;; [unrolled: 1-line block ×8, first 2 shown]
	v_add_nc_u32_e32 v53, 32, v53
	v_add_nc_u32_e32 v54, 0x80, v54
	v_add_co_ci_u32_e64 v38, null, 0, v38, s0
	s_or_b32 s3, vcc_lo, s3
	s_andn2_b32 exec_lo, exec_lo, s3
	s_cbranch_execz .LBB15_46
.LBB15_30:                              ; =>This Inner Loop Header: Depth=1
	global_load_dword v1, v[37:38], off
	v_add_nc_u32_e32 v56, -3, v53
	v_add_nc_u32_e32 v58, -2, v53
	;; [unrolled: 1-line block ×3, first 2 shown]
	s_waitcnt vmcnt(0)
	v_mad_i64_i32 v[1:2], null, v1, s4, 0
	v_lshlrev_b64 v[1:2], 2, v[1:2]
	v_add_co_u32 v21, vcc_lo, v51, v1
	v_add_co_ci_u32_e64 v22, null, v52, v2, vcc_lo
	ds_read_b128 v[1:4], v54
	v_cmp_eq_u32_e32 vcc_lo, s2, v55
	global_load_dwordx4 v[5:8], v[21:22], off
	s_and_saveexec_b32 s5, vcc_lo
	s_cbranch_execnz .LBB15_39
; %bb.31:                               ;   in Loop: Header=BB15_30 Depth=1
	s_or_b32 exec_lo, exec_lo, s5
	global_load_dwordx4 v[9:12], v[21:22], off offset:512
	s_and_saveexec_b32 s5, vcc_lo
	s_cbranch_execnz .LBB15_40
.LBB15_32:                              ;   in Loop: Header=BB15_30 Depth=1
	s_or_b32 exec_lo, exec_lo, s5
	global_load_dwordx4 v[13:16], v[21:22], off offset:1024
	s_and_saveexec_b32 s5, vcc_lo
	s_cbranch_execnz .LBB15_41
.LBB15_33:                              ;   in Loop: Header=BB15_30 Depth=1
	s_or_b32 exec_lo, exec_lo, s5
	global_load_dwordx4 v[17:20], v[21:22], off offset:1536
	s_and_saveexec_b32 s5, vcc_lo
	s_cbranch_execz .LBB15_35
.LBB15_34:                              ;   in Loop: Header=BB15_30 Depth=1
	v_cmp_gt_i32_e64 s0, s11, v56
	s_waitcnt vmcnt(0)
	v_cndmask_b32_e64 v17, 0, v17, s0
	v_cmp_gt_i32_e64 s0, s11, v58
	v_cndmask_b32_e64 v18, 0, v18, s0
	v_cmp_gt_i32_e64 s0, s11, v57
	;; [unrolled: 2-line block ×3, first 2 shown]
	v_cndmask_b32_e64 v20, 0, v20, s0
.LBB15_35:                              ;   in Loop: Header=BB15_30 Depth=1
	s_or_b32 exec_lo, exec_lo, s5
	v_add_co_u32 v33, s0, 0x800, v21
	v_add_co_ci_u32_e64 v34, null, 0, v22, s0
	global_load_dwordx4 v[21:24], v[33:34], off
	s_and_saveexec_b32 s5, vcc_lo
	s_cbranch_execnz .LBB15_42
; %bb.36:                               ;   in Loop: Header=BB15_30 Depth=1
	s_or_b32 exec_lo, exec_lo, s5
	global_load_dwordx4 v[25:28], v[33:34], off offset:512
	s_and_saveexec_b32 s5, vcc_lo
	s_cbranch_execnz .LBB15_43
.LBB15_37:                              ;   in Loop: Header=BB15_30 Depth=1
	s_or_b32 exec_lo, exec_lo, s5
	global_load_dwordx4 v[29:32], v[33:34], off offset:1024
	s_and_saveexec_b32 s5, vcc_lo
	s_cbranch_execnz .LBB15_44
.LBB15_38:                              ;   in Loop: Header=BB15_30 Depth=1
	s_or_b32 exec_lo, exec_lo, s5
	global_load_dwordx4 v[33:36], v[33:34], off offset:1536
	s_and_saveexec_b32 s0, vcc_lo
	s_cbranch_execz .LBB15_29
	s_branch .LBB15_45
.LBB15_39:                              ;   in Loop: Header=BB15_30 Depth=1
	v_cmp_gt_i32_e64 s0, s11, v56
	s_waitcnt vmcnt(0)
	v_cndmask_b32_e64 v5, 0, v5, s0
	v_cmp_gt_i32_e64 s0, s11, v58
	v_cndmask_b32_e64 v6, 0, v6, s0
	v_cmp_gt_i32_e64 s0, s11, v57
	;; [unrolled: 2-line block ×3, first 2 shown]
	v_cndmask_b32_e64 v8, 0, v8, s0
	s_or_b32 exec_lo, exec_lo, s5
	global_load_dwordx4 v[9:12], v[21:22], off offset:512
	s_and_saveexec_b32 s5, vcc_lo
	s_cbranch_execz .LBB15_32
.LBB15_40:                              ;   in Loop: Header=BB15_30 Depth=1
	v_cmp_gt_i32_e64 s0, s11, v56
	s_waitcnt vmcnt(0)
	v_cndmask_b32_e64 v9, 0, v9, s0
	v_cmp_gt_i32_e64 s0, s11, v58
	v_cndmask_b32_e64 v10, 0, v10, s0
	v_cmp_gt_i32_e64 s0, s11, v57
	;; [unrolled: 2-line block ×3, first 2 shown]
	v_cndmask_b32_e64 v12, 0, v12, s0
	s_or_b32 exec_lo, exec_lo, s5
	global_load_dwordx4 v[13:16], v[21:22], off offset:1024
	s_and_saveexec_b32 s5, vcc_lo
	s_cbranch_execz .LBB15_33
.LBB15_41:                              ;   in Loop: Header=BB15_30 Depth=1
	v_cmp_gt_i32_e64 s0, s11, v56
	s_waitcnt vmcnt(0)
	v_cndmask_b32_e64 v13, 0, v13, s0
	v_cmp_gt_i32_e64 s0, s11, v58
	v_cndmask_b32_e64 v14, 0, v14, s0
	v_cmp_gt_i32_e64 s0, s11, v57
	;; [unrolled: 2-line block ×3, first 2 shown]
	v_cndmask_b32_e64 v16, 0, v16, s0
	s_or_b32 exec_lo, exec_lo, s5
	global_load_dwordx4 v[17:20], v[21:22], off offset:1536
	s_and_saveexec_b32 s5, vcc_lo
	s_cbranch_execnz .LBB15_34
	s_branch .LBB15_35
.LBB15_42:                              ;   in Loop: Header=BB15_30 Depth=1
	v_cmp_gt_i32_e64 s0, s11, v56
	s_waitcnt vmcnt(0)
	v_cndmask_b32_e64 v21, 0, v21, s0
	v_cmp_gt_i32_e64 s0, s11, v58
	v_cndmask_b32_e64 v22, 0, v22, s0
	v_cmp_gt_i32_e64 s0, s11, v57
	;; [unrolled: 2-line block ×3, first 2 shown]
	v_cndmask_b32_e64 v24, 0, v24, s0
	s_or_b32 exec_lo, exec_lo, s5
	global_load_dwordx4 v[25:28], v[33:34], off offset:512
	s_and_saveexec_b32 s5, vcc_lo
	s_cbranch_execz .LBB15_37
.LBB15_43:                              ;   in Loop: Header=BB15_30 Depth=1
	v_cmp_gt_i32_e64 s0, s11, v56
	s_waitcnt vmcnt(0)
	v_cndmask_b32_e64 v25, 0, v25, s0
	v_cmp_gt_i32_e64 s0, s11, v58
	v_cndmask_b32_e64 v26, 0, v26, s0
	v_cmp_gt_i32_e64 s0, s11, v57
	;; [unrolled: 2-line block ×3, first 2 shown]
	v_cndmask_b32_e64 v28, 0, v28, s0
	s_or_b32 exec_lo, exec_lo, s5
	global_load_dwordx4 v[29:32], v[33:34], off offset:1024
	s_and_saveexec_b32 s5, vcc_lo
	s_cbranch_execz .LBB15_38
.LBB15_44:                              ;   in Loop: Header=BB15_30 Depth=1
	v_cmp_gt_i32_e64 s0, s11, v56
	s_waitcnt vmcnt(0)
	v_cndmask_b32_e64 v29, 0, v29, s0
	v_cmp_gt_i32_e64 s0, s11, v58
	v_cndmask_b32_e64 v30, 0, v30, s0
	v_cmp_gt_i32_e64 s0, s11, v57
	;; [unrolled: 2-line block ×3, first 2 shown]
	v_cndmask_b32_e64 v32, 0, v32, s0
	s_or_b32 exec_lo, exec_lo, s5
	global_load_dwordx4 v[33:36], v[33:34], off offset:1536
	s_and_saveexec_b32 s0, vcc_lo
	s_cbranch_execz .LBB15_29
.LBB15_45:                              ;   in Loop: Header=BB15_30 Depth=1
	v_cmp_gt_i32_e32 vcc_lo, s11, v56
	s_waitcnt vmcnt(0)
	v_cndmask_b32_e32 v33, 0, v33, vcc_lo
	v_cmp_gt_i32_e32 vcc_lo, s11, v58
	v_cndmask_b32_e32 v34, 0, v34, vcc_lo
	v_cmp_gt_i32_e32 vcc_lo, s11, v57
	;; [unrolled: 2-line block ×3, first 2 shown]
	v_cndmask_b32_e32 v36, 0, v36, vcc_lo
	s_branch .LBB15_29
.LBB15_46:
	s_or_b32 exec_lo, exec_lo, s3
.LBB15_47:
	s_or_b32 exec_lo, exec_lo, s1
	ds_bpermute_b32 v1, v41, v48
	ds_bpermute_b32 v2, v41, v50
	;; [unrolled: 1-line block ×8, first 2 shown]
	v_lshrrev_b32_e32 v9, 1, v40
	v_lshlrev_b32_e32 v11, 9, v39
	v_and_b32_e32 v12, 0x3c1, v0
	s_mov_b32 s0, exec_lo
	s_waitcnt lgkmcnt(0)
	v_lshl_add_u32 v10, v9, 2, 0x220
	s_barrier
	buffer_gl0_inv
	v_add_f32_e32 v1, v48, v1
	v_add_f32_e32 v2, v50, v2
	;; [unrolled: 1-line block ×8, first 2 shown]
	v_cmpx_eq_u32_e32 64, v12
	s_cbranch_execz .LBB15_49
; %bb.48:
	v_add_nc_u32_e32 v12, v10, v11
	v_add_nc_u32_e32 v13, 0xfffffc00, v12
	;; [unrolled: 1-line block ×9, first 2 shown]
	ds_write_b32 v13, v1
	ds_write_b32 v14, v2
	;; [unrolled: 1-line block ×8, first 2 shown]
.LBB15_49:
	s_or_b32 exec_lo, exec_lo, s0
	v_lshlrev_b32_e32 v9, 2, v9
	s_mov_b32 s1, exec_lo
	v_cmp_eq_u32_e32 vcc_lo, 0, v42
	s_waitcnt lgkmcnt(0)
	s_barrier
	v_add3_u32 v9, 0x220, v11, v9
	buffer_gl0_inv
	v_cmpx_gt_u32_e32 64, v0
	s_cbranch_execz .LBB15_60
; %bb.50:
	s_and_saveexec_b32 s0, vcc_lo
	s_cbranch_execnz .LBB15_76
; %bb.51:
	s_or_b32 exec_lo, exec_lo, s0
	s_and_saveexec_b32 s0, vcc_lo
	s_cbranch_execnz .LBB15_77
.LBB15_52:
	s_or_b32 exec_lo, exec_lo, s0
	s_and_saveexec_b32 s0, vcc_lo
	s_cbranch_execnz .LBB15_78
.LBB15_53:
	s_or_b32 exec_lo, exec_lo, s0
	s_and_saveexec_b32 s0, vcc_lo
	s_cbranch_execnz .LBB15_79
.LBB15_54:
	s_or_b32 exec_lo, exec_lo, s0
	s_and_saveexec_b32 s0, vcc_lo
	s_cbranch_execnz .LBB15_80
.LBB15_55:
	s_or_b32 exec_lo, exec_lo, s0
	s_and_saveexec_b32 s0, vcc_lo
	s_cbranch_execnz .LBB15_81
.LBB15_56:
	s_or_b32 exec_lo, exec_lo, s0
	s_and_saveexec_b32 s0, vcc_lo
	s_cbranch_execnz .LBB15_82
.LBB15_57:
	s_or_b32 exec_lo, exec_lo, s0
	s_and_saveexec_b32 s0, vcc_lo
	s_cbranch_execz .LBB15_59
.LBB15_58:
	ds_read_b32 v11, v9 offset:448
	s_waitcnt lgkmcnt(0)
	v_add_f32_e32 v8, v8, v11
.LBB15_59:
	s_or_b32 exec_lo, exec_lo, s0
.LBB15_60:
	s_or_b32 exec_lo, exec_lo, s1
	v_and_b32_e32 v11, 0x3e1, v0
	s_mov_b32 s1, exec_lo
	s_barrier
	buffer_gl0_inv
	v_cmpx_eq_u32_e32 32, v11
	s_cbranch_execz .LBB15_62
; %bb.61:
	ds_write2_b32 v10, v1, v2 offset1:16
	ds_write2_b32 v10, v3, v4 offset0:32 offset1:48
	ds_write2_b32 v10, v5, v6 offset0:64 offset1:80
	;; [unrolled: 1-line block ×3, first 2 shown]
.LBB15_62:
	s_or_b32 exec_lo, exec_lo, s1
	s_mov_b32 s1, exec_lo
	s_waitcnt lgkmcnt(0)
	s_barrier
	buffer_gl0_inv
	v_cmpx_gt_u32_e32 32, v0
	s_cbranch_execz .LBB15_73
; %bb.63:
	s_and_saveexec_b32 s0, vcc_lo
	s_cbranch_execnz .LBB15_83
; %bb.64:
	s_or_b32 exec_lo, exec_lo, s0
	s_and_saveexec_b32 s0, vcc_lo
	s_cbranch_execnz .LBB15_84
.LBB15_65:
	s_or_b32 exec_lo, exec_lo, s0
	s_and_saveexec_b32 s0, vcc_lo
	s_cbranch_execnz .LBB15_85
.LBB15_66:
	s_or_b32 exec_lo, exec_lo, s0
	s_and_saveexec_b32 s0, vcc_lo
	s_cbranch_execnz .LBB15_86
.LBB15_67:
	s_or_b32 exec_lo, exec_lo, s0
	s_and_saveexec_b32 s0, vcc_lo
	s_cbranch_execnz .LBB15_87
.LBB15_68:
	s_or_b32 exec_lo, exec_lo, s0
	s_and_saveexec_b32 s0, vcc_lo
	s_cbranch_execnz .LBB15_88
.LBB15_69:
	s_or_b32 exec_lo, exec_lo, s0
	s_and_saveexec_b32 s0, vcc_lo
	s_cbranch_execnz .LBB15_89
.LBB15_70:
	s_or_b32 exec_lo, exec_lo, s0
	s_and_saveexec_b32 s0, vcc_lo
	s_cbranch_execz .LBB15_72
.LBB15_71:
	ds_read_b32 v9, v9 offset:448
	s_waitcnt lgkmcnt(0)
	v_add_f32_e32 v8, v8, v9
.LBB15_72:
	s_or_b32 exec_lo, exec_lo, s0
.LBB15_73:
	s_or_b32 exec_lo, exec_lo, s1
	s_barrier
	buffer_gl0_inv
	s_mov_b32 s0, exec_lo
	v_cmpx_eq_u32_e32 0, v11
	s_cbranch_execz .LBB15_75
; %bb.74:
	s_mul_i32 s0, s10, s7
	s_mul_i32 s2, s7, s6
	;; [unrolled: 1-line block ×3, first 2 shown]
	v_lshlrev_b32_e32 v0, 1, v0
	s_lshl_b32 s0, s0, 7
	s_ashr_i32 s1, s0, 31
	s_lshl_b64 s[0:1], s[0:1], 2
	s_add_u32 s4, s16, s0
	s_addc_u32 s5, s17, s1
	s_ashr_i32 s3, s2, 31
	s_lshl_b64 s[0:1], s[2:3], 2
	s_add_u32 s2, s4, s0
	s_addc_u32 s3, s5, s1
	s_lshl_b32 s0, s8, 7
	s_ashr_i32 s1, s0, 31
	s_lshl_b64 s[0:1], s[0:1], 2
	s_add_u32 s0, s2, s0
	s_addc_u32 s1, s3, s1
	global_store_dword v0, v1, s[0:1]
	global_store_dword v0, v2, s[0:1] offset:64
	global_store_dword v0, v3, s[0:1] offset:128
	;; [unrolled: 1-line block ×7, first 2 shown]
.LBB15_75:
	s_endpgm
.LBB15_76:
	ds_read_b32 v11, v9
	s_waitcnt lgkmcnt(0)
	v_add_f32_e32 v1, v1, v11
	s_or_b32 exec_lo, exec_lo, s0
	s_and_saveexec_b32 s0, vcc_lo
	s_cbranch_execz .LBB15_52
.LBB15_77:
	ds_read_b32 v11, v9 offset:64
	s_waitcnt lgkmcnt(0)
	v_add_f32_e32 v2, v2, v11
	s_or_b32 exec_lo, exec_lo, s0
	s_and_saveexec_b32 s0, vcc_lo
	s_cbranch_execz .LBB15_53
.LBB15_78:
	ds_read_b32 v11, v9 offset:128
	s_waitcnt lgkmcnt(0)
	v_add_f32_e32 v3, v3, v11
	s_or_b32 exec_lo, exec_lo, s0
	s_and_saveexec_b32 s0, vcc_lo
	s_cbranch_execz .LBB15_54
.LBB15_79:
	ds_read_b32 v11, v9 offset:192
	s_waitcnt lgkmcnt(0)
	v_add_f32_e32 v4, v4, v11
	s_or_b32 exec_lo, exec_lo, s0
	s_and_saveexec_b32 s0, vcc_lo
	s_cbranch_execz .LBB15_55
.LBB15_80:
	ds_read_b32 v11, v9 offset:256
	s_waitcnt lgkmcnt(0)
	v_add_f32_e32 v5, v5, v11
	s_or_b32 exec_lo, exec_lo, s0
	s_and_saveexec_b32 s0, vcc_lo
	s_cbranch_execz .LBB15_56
.LBB15_81:
	ds_read_b32 v11, v9 offset:320
	s_waitcnt lgkmcnt(0)
	v_add_f32_e32 v6, v6, v11
	s_or_b32 exec_lo, exec_lo, s0
	s_and_saveexec_b32 s0, vcc_lo
	s_cbranch_execz .LBB15_57
.LBB15_82:
	ds_read_b32 v11, v9 offset:384
	s_waitcnt lgkmcnt(0)
	v_add_f32_e32 v7, v7, v11
	s_or_b32 exec_lo, exec_lo, s0
	s_and_saveexec_b32 s0, vcc_lo
	s_cbranch_execnz .LBB15_58
	s_branch .LBB15_59
.LBB15_83:
	ds_read_b32 v10, v9
	s_waitcnt lgkmcnt(0)
	v_add_f32_e32 v1, v1, v10
	s_or_b32 exec_lo, exec_lo, s0
	s_and_saveexec_b32 s0, vcc_lo
	s_cbranch_execz .LBB15_65
.LBB15_84:
	ds_read_b32 v10, v9 offset:64
	s_waitcnt lgkmcnt(0)
	v_add_f32_e32 v2, v2, v10
	s_or_b32 exec_lo, exec_lo, s0
	s_and_saveexec_b32 s0, vcc_lo
	s_cbranch_execz .LBB15_66
.LBB15_85:
	ds_read_b32 v10, v9 offset:128
	s_waitcnt lgkmcnt(0)
	v_add_f32_e32 v3, v3, v10
	s_or_b32 exec_lo, exec_lo, s0
	s_and_saveexec_b32 s0, vcc_lo
	s_cbranch_execz .LBB15_67
.LBB15_86:
	ds_read_b32 v10, v9 offset:192
	s_waitcnt lgkmcnt(0)
	v_add_f32_e32 v4, v4, v10
	s_or_b32 exec_lo, exec_lo, s0
	s_and_saveexec_b32 s0, vcc_lo
	s_cbranch_execz .LBB15_68
.LBB15_87:
	ds_read_b32 v10, v9 offset:256
	s_waitcnt lgkmcnt(0)
	v_add_f32_e32 v5, v5, v10
	s_or_b32 exec_lo, exec_lo, s0
	s_and_saveexec_b32 s0, vcc_lo
	s_cbranch_execz .LBB15_69
.LBB15_88:
	ds_read_b32 v10, v9 offset:320
	s_waitcnt lgkmcnt(0)
	v_add_f32_e32 v6, v6, v10
	s_or_b32 exec_lo, exec_lo, s0
	s_and_saveexec_b32 s0, vcc_lo
	s_cbranch_execz .LBB15_70
.LBB15_89:
	ds_read_b32 v10, v9 offset:384
	s_waitcnt lgkmcnt(0)
	v_add_f32_e32 v7, v7, v10
	s_or_b32 exec_lo, exec_lo, s0
	s_and_saveexec_b32 s0, vcc_lo
	s_cbranch_execnz .LBB15_71
	s_branch .LBB15_72
	.section	.rodata,"a",@progbits
	.p2align	6, 0x0
	.amdhsa_kernel _ZN4vllm25paged_attention_v1_kernelIffLi128ELi8ELi128ELNS_18Fp8KVCacheDataTypeE0ELb0EEEvPT_PKS2_PKT0_S8_ifPKiSA_iPKfiiiSC_SC_iiiii
		.amdhsa_group_segment_fixed_size 544
		.amdhsa_private_segment_fixed_size 0
		.amdhsa_kernarg_size 384
		.amdhsa_user_sgpr_count 6
		.amdhsa_user_sgpr_private_segment_buffer 1
		.amdhsa_user_sgpr_dispatch_ptr 0
		.amdhsa_user_sgpr_queue_ptr 0
		.amdhsa_user_sgpr_kernarg_segment_ptr 1
		.amdhsa_user_sgpr_dispatch_id 0
		.amdhsa_user_sgpr_flat_scratch_init 0
		.amdhsa_user_sgpr_private_segment_size 0
		.amdhsa_wavefront_size32 1
		.amdhsa_uses_dynamic_stack 0
		.amdhsa_system_sgpr_private_segment_wavefront_offset 0
		.amdhsa_system_sgpr_workgroup_id_x 1
		.amdhsa_system_sgpr_workgroup_id_y 1
		.amdhsa_system_sgpr_workgroup_id_z 1
		.amdhsa_system_sgpr_workgroup_info 0
		.amdhsa_system_vgpr_workitem_id 0
		.amdhsa_next_free_vgpr 82
		.amdhsa_next_free_sgpr 27
		.amdhsa_reserve_vcc 1
		.amdhsa_reserve_flat_scratch 0
		.amdhsa_float_round_mode_32 0
		.amdhsa_float_round_mode_16_64 0
		.amdhsa_float_denorm_mode_32 3
		.amdhsa_float_denorm_mode_16_64 3
		.amdhsa_dx10_clamp 1
		.amdhsa_ieee_mode 1
		.amdhsa_fp16_overflow 0
		.amdhsa_workgroup_processor_mode 1
		.amdhsa_memory_ordered 1
		.amdhsa_forward_progress 1
		.amdhsa_shared_vgpr_count 0
		.amdhsa_exception_fp_ieee_invalid_op 0
		.amdhsa_exception_fp_denorm_src 0
		.amdhsa_exception_fp_ieee_div_zero 0
		.amdhsa_exception_fp_ieee_overflow 0
		.amdhsa_exception_fp_ieee_underflow 0
		.amdhsa_exception_fp_ieee_inexact 0
		.amdhsa_exception_int_div_zero 0
	.end_amdhsa_kernel
	.section	.text._ZN4vllm25paged_attention_v1_kernelIffLi128ELi8ELi128ELNS_18Fp8KVCacheDataTypeE0ELb0EEEvPT_PKS2_PKT0_S8_ifPKiSA_iPKfiiiSC_SC_iiiii,"axG",@progbits,_ZN4vllm25paged_attention_v1_kernelIffLi128ELi8ELi128ELNS_18Fp8KVCacheDataTypeE0ELb0EEEvPT_PKS2_PKT0_S8_ifPKiSA_iPKfiiiSC_SC_iiiii,comdat
.Lfunc_end15:
	.size	_ZN4vllm25paged_attention_v1_kernelIffLi128ELi8ELi128ELNS_18Fp8KVCacheDataTypeE0ELb0EEEvPT_PKS2_PKT0_S8_ifPKiSA_iPKfiiiSC_SC_iiiii, .Lfunc_end15-_ZN4vllm25paged_attention_v1_kernelIffLi128ELi8ELi128ELNS_18Fp8KVCacheDataTypeE0ELb0EEEvPT_PKS2_PKT0_S8_ifPKiSA_iPKfiiiSC_SC_iiiii
                                        ; -- End function
	.set _ZN4vllm25paged_attention_v1_kernelIffLi128ELi8ELi128ELNS_18Fp8KVCacheDataTypeE0ELb0EEEvPT_PKS2_PKT0_S8_ifPKiSA_iPKfiiiSC_SC_iiiii.num_vgpr, 82
	.set _ZN4vllm25paged_attention_v1_kernelIffLi128ELi8ELi128ELNS_18Fp8KVCacheDataTypeE0ELb0EEEvPT_PKS2_PKT0_S8_ifPKiSA_iPKfiiiSC_SC_iiiii.num_agpr, 0
	.set _ZN4vllm25paged_attention_v1_kernelIffLi128ELi8ELi128ELNS_18Fp8KVCacheDataTypeE0ELb0EEEvPT_PKS2_PKT0_S8_ifPKiSA_iPKfiiiSC_SC_iiiii.numbered_sgpr, 27
	.set _ZN4vllm25paged_attention_v1_kernelIffLi128ELi8ELi128ELNS_18Fp8KVCacheDataTypeE0ELb0EEEvPT_PKS2_PKT0_S8_ifPKiSA_iPKfiiiSC_SC_iiiii.num_named_barrier, 0
	.set _ZN4vllm25paged_attention_v1_kernelIffLi128ELi8ELi128ELNS_18Fp8KVCacheDataTypeE0ELb0EEEvPT_PKS2_PKT0_S8_ifPKiSA_iPKfiiiSC_SC_iiiii.private_seg_size, 0
	.set _ZN4vllm25paged_attention_v1_kernelIffLi128ELi8ELi128ELNS_18Fp8KVCacheDataTypeE0ELb0EEEvPT_PKS2_PKT0_S8_ifPKiSA_iPKfiiiSC_SC_iiiii.uses_vcc, 1
	.set _ZN4vllm25paged_attention_v1_kernelIffLi128ELi8ELi128ELNS_18Fp8KVCacheDataTypeE0ELb0EEEvPT_PKS2_PKT0_S8_ifPKiSA_iPKfiiiSC_SC_iiiii.uses_flat_scratch, 0
	.set _ZN4vllm25paged_attention_v1_kernelIffLi128ELi8ELi128ELNS_18Fp8KVCacheDataTypeE0ELb0EEEvPT_PKS2_PKT0_S8_ifPKiSA_iPKfiiiSC_SC_iiiii.has_dyn_sized_stack, 0
	.set _ZN4vllm25paged_attention_v1_kernelIffLi128ELi8ELi128ELNS_18Fp8KVCacheDataTypeE0ELb0EEEvPT_PKS2_PKT0_S8_ifPKiSA_iPKfiiiSC_SC_iiiii.has_recursion, 0
	.set _ZN4vllm25paged_attention_v1_kernelIffLi128ELi8ELi128ELNS_18Fp8KVCacheDataTypeE0ELb0EEEvPT_PKS2_PKT0_S8_ifPKiSA_iPKfiiiSC_SC_iiiii.has_indirect_call, 0
	.section	.AMDGPU.csdata,"",@progbits
; Kernel info:
; codeLenInByte = 5048
; TotalNumSgprs: 29
; NumVgprs: 82
; ScratchSize: 0
; MemoryBound: 0
; FloatMode: 240
; IeeeMode: 1
; LDSByteSize: 544 bytes/workgroup (compile time only)
; SGPRBlocks: 0
; VGPRBlocks: 10
; NumSGPRsForWavesPerEU: 29
; NumVGPRsForWavesPerEU: 82
; Occupancy: 10
; WaveLimiterHint : 1
; COMPUTE_PGM_RSRC2:SCRATCH_EN: 0
; COMPUTE_PGM_RSRC2:USER_SGPR: 6
; COMPUTE_PGM_RSRC2:TRAP_HANDLER: 0
; COMPUTE_PGM_RSRC2:TGID_X_EN: 1
; COMPUTE_PGM_RSRC2:TGID_Y_EN: 1
; COMPUTE_PGM_RSRC2:TGID_Z_EN: 1
; COMPUTE_PGM_RSRC2:TIDIG_COMP_CNT: 0
	.section	.text._ZN4vllm25paged_attention_v1_kernelIffLi192ELi8ELi128ELNS_18Fp8KVCacheDataTypeE0ELb0EEEvPT_PKS2_PKT0_S8_ifPKiSA_iPKfiiiSC_SC_iiiii,"axG",@progbits,_ZN4vllm25paged_attention_v1_kernelIffLi192ELi8ELi128ELNS_18Fp8KVCacheDataTypeE0ELb0EEEvPT_PKS2_PKT0_S8_ifPKiSA_iPKfiiiSC_SC_iiiii,comdat
	.protected	_ZN4vllm25paged_attention_v1_kernelIffLi192ELi8ELi128ELNS_18Fp8KVCacheDataTypeE0ELb0EEEvPT_PKS2_PKT0_S8_ifPKiSA_iPKfiiiSC_SC_iiiii ; -- Begin function _ZN4vllm25paged_attention_v1_kernelIffLi192ELi8ELi128ELNS_18Fp8KVCacheDataTypeE0ELb0EEEvPT_PKS2_PKT0_S8_ifPKiSA_iPKfiiiSC_SC_iiiii
	.globl	_ZN4vllm25paged_attention_v1_kernelIffLi192ELi8ELi128ELNS_18Fp8KVCacheDataTypeE0ELb0EEEvPT_PKS2_PKT0_S8_ifPKiSA_iPKfiiiSC_SC_iiiii
	.p2align	8
	.type	_ZN4vllm25paged_attention_v1_kernelIffLi192ELi8ELi128ELNS_18Fp8KVCacheDataTypeE0ELb0EEEvPT_PKS2_PKT0_S8_ifPKiSA_iPKfiiiSC_SC_iiiii,@function
_ZN4vllm25paged_attention_v1_kernelIffLi192ELi8ELi128ELNS_18Fp8KVCacheDataTypeE0ELb0EEEvPT_PKS2_PKT0_S8_ifPKiSA_iPKfiiiSC_SC_iiiii: ; @_ZN4vllm25paged_attention_v1_kernelIffLi192ELi8ELi128ELNS_18Fp8KVCacheDataTypeE0ELb0EEEvPT_PKS2_PKT0_S8_ifPKiSA_iPKfiiiSC_SC_iiiii
; %bb.0:
	s_clause 0x2
	s_load_dword s9, s[4:5], 0x80
	s_load_dwordx2 s[0:1], s[4:5], 0x30
	s_load_dwordx2 s[24:25], s[4:5], 0x20
	s_mov_b32 s10, s7
	s_ashr_i32 s11, s7, 31
	s_mov_b32 s26, 0
	s_lshl_b64 s[2:3], s[10:11], 2
	s_waitcnt lgkmcnt(0)
	s_add_u32 s0, s0, s2
	s_addc_u32 s1, s1, s3
	s_abs_i32 s2, s24
	s_abs_i32 s11, s9
	v_cvt_f32_u32_e32 v1, s2
	s_sub_i32 s7, 0, s2
	v_rcp_iflag_f32_e32 v1, v1
	v_mul_f32_e32 v1, 0x4f7ffffe, v1
	v_cvt_u32_f32_e32 v1, v1
	v_readfirstlane_b32 s3, v1
	s_mul_i32 s7, s7, s3
	s_mul_hi_u32 s7, s3, s7
	s_add_i32 s3, s3, s7
	s_xor_b32 s7, s9, s24
	s_mul_hi_u32 s3, s11, s3
	s_ashr_i32 s7, s7, 31
	s_mul_i32 s12, s3, s2
	s_sub_i32 s11, s11, s12
	s_add_i32 s12, s3, 1
	s_sub_i32 s13, s11, s2
	s_cmp_ge_u32 s11, s2
	s_cselect_b32 s3, s12, s3
	s_cselect_b32 s11, s13, s11
	s_add_i32 s12, s3, 1
	s_cmp_ge_u32 s11, s2
	s_cselect_b32 s2, s12, s3
	s_abs_i32 s17, s6
	s_xor_b32 s2, s2, s7
	s_sub_i32 s18, s2, s7
	s_load_dwordx2 s[2:3], s[4:5], 0x40
	s_abs_i32 s16, s18
	v_cvt_f32_u32_e32 v1, s16
	s_sub_i32 s11, 0, s16
	v_rcp_iflag_f32_e32 v1, v1
	v_mul_f32_e32 v1, 0x4f7ffffe, v1
	v_cvt_u32_f32_e32 v1, v1
	v_readfirstlane_b32 s7, v1
	s_mul_i32 s11, s11, s7
	s_mul_hi_u32 s11, s7, s11
	s_add_i32 s7, s7, s11
	s_waitcnt lgkmcnt(0)
	s_cmp_eq_u64 s[2:3], 0
	s_mul_hi_u32 s20, s17, s7
	s_cbranch_scc1 .LBB16_2
; %bb.1:
	s_ashr_i32 s7, s6, 31
	s_lshl_b64 s[12:13], s[6:7], 2
	s_add_u32 s2, s2, s12
	s_addc_u32 s3, s3, s13
	s_load_dword s26, s[2:3], 0x0
.LBB16_2:
	s_load_dword s24, s[0:1], 0x0
	s_clause 0x1
	s_load_dword s11, s[4:5], 0x88
	s_load_dwordx4 s[12:15], s[4:5], 0x48
	v_and_b32_e32 v41, 3, v0
	v_lshlrev_b32_e32 v51, 2, v0
	s_ashr_i32 s2, s6, 31
	s_ashr_i32 s3, s18, 31
	s_mulk_i32 s6, 0xc0
	s_waitcnt lgkmcnt(0)
	s_mov_b32 s15, exec_lo
	v_cmpx_gt_u32_e32 0xc0, v0
	s_cbranch_execz .LBB16_5
; %bb.3:
	s_load_dwordx2 s[0:1], s[4:5], 0x8
	s_mul_i32 s18, s12, s10
	v_and_b32_e32 v1, 0x3fc, v0
	s_ashr_i32 s19, s18, 31
	v_cmp_gt_u32_e32 vcc_lo, 64, v0
	s_lshl_b64 s[18:19], s[18:19], 2
	v_mad_u32_u24 v1, 0xc0, v41, v1
	s_waitcnt lgkmcnt(0)
	s_add_u32 s12, s0, s18
	s_addc_u32 s18, s1, s19
	s_ashr_i32 s7, s6, 31
	s_lshl_b64 s[0:1], s[6:7], 2
	s_add_u32 s0, s12, s0
	s_addc_u32 s1, s18, s1
	global_load_dword v2, v51, s[0:1]
	s_waitcnt vmcnt(0)
	ds_write_b32 v1, v2
	s_and_b32 exec_lo, exec_lo, vcc_lo
	s_cbranch_execz .LBB16_5
; %bb.4:
	v_lshrrev_b32_e32 v2, 2, v0
	v_lshlrev_b32_e32 v3, 2, v41
	v_lshlrev_b32_e32 v2, 4, v2
	v_or3_b32 v2, v2, v3, 0x200
	global_load_dword v2, v2, s[0:1]
	s_waitcnt vmcnt(0)
	ds_write_b32 v1, v2 offset:128
.LBB16_5:
	s_or_b32 exec_lo, exec_lo, s15
	s_add_i32 s0, s24, 7
	s_clause 0x1
	s_load_dwordx2 s[18:19], s[4:5], 0x28
	s_load_dword s12, s[4:5], 0x38
	s_ashr_i32 s1, s0, 31
	s_xor_b32 s2, s2, s3
	s_lshr_b32 s1, s1, 29
	v_lshrrev_b32_e32 v55, 5, v0
	s_add_i32 s0, s0, s1
	s_mul_i32 s1, s20, s16
	s_ashr_i32 s7, s0, 3
	s_sub_i32 s0, s17, s1
	s_add_i32 s1, s20, 1
	s_sub_i32 s3, s0, s16
	s_cmp_ge_u32 s0, s16
	v_mbcnt_lo_u32_b32 v53, -1, 0
	s_cselect_b32 s1, s1, s20
	s_cselect_b32 s0, s3, s0
	s_add_i32 s3, s1, 1
	s_cmp_ge_u32 s0, s16
	s_waitcnt lgkmcnt(0)
	s_cselect_b32 s0, s3, s1
	s_barrier
	s_xor_b32 s0, s0, s2
	s_mul_i32 s20, s12, s10
	s_sub_i32 s1, s0, s2
	v_cmp_gt_i32_e64 s0, s7, v55
	s_ashr_i32 s21, s20, 31
	s_mov_b32 s2, exec_lo
	buffer_gl0_inv
                                        ; implicit-def: $vgpr54
                                        ; implicit-def: $vgpr57
	v_cmpx_le_i32_e64 s7, v55
	s_xor_b32 s2, exec_lo, s2
; %bb.6:
	v_mov_b32_e32 v54, 0
	v_mbcnt_lo_u32_b32 v53, -1, 0
	v_mov_b32_e32 v57, 32
                                        ; implicit-def: $vgpr41
; %bb.7:
	s_or_saveexec_b32 s12, s2
	s_clause 0x1
	s_load_dwordx2 s[16:17], s[4:5], 0x0
	s_load_dwordx2 s[22:23], s[4:5], 0x18
	v_mov_b32_e32 v61, 0xff7fffff
	v_lshrrev_b32_e32 v52, 3, v0
	s_mul_i32 s14, s1, s14
	s_xor_b32 exec_lo, exec_lo, s12
	s_cbranch_execz .LBB16_13
; %bb.8:
	s_load_dwordx2 s[2:3], s[4:5], 0x10
	v_bfe_u32 v49, v0, 2, 3
	s_ashr_i32 s15, s14, 31
	v_lshlrev_b32_e32 v33, 2, v41
	s_lshl_b64 s[4:5], s[14:15], 2
	v_xor_b32_e32 v34, 2, v53
	v_lshlrev_b32_e32 v25, 4, v49
	v_xor_b32_e32 v35, 1, v53
	v_mul_u32_u24_e32 v45, 0xc0, v41
	ds_read_b128 v[1:4], v45
	ds_read_b128 v[5:8], v45 offset:16
	ds_read_b128 v[9:12], v45 offset:32
	;; [unrolled: 1-line block ×5, first 2 shown]
	v_lshlrev_b32_e32 v50, 2, v49
	v_lshl_or_b32 v62, v55, 3, v49
	v_and_b32_e32 v49, 0x7c, v52
	v_mov_b32_e32 v54, 0
	v_mov_b32_e32 v57, 32
	v_lshl_or_b32 v50, v55, 5, v50
	s_waitcnt lgkmcnt(0)
	s_add_u32 s1, s2, s4
	s_addc_u32 s2, s3, s5
	v_add_co_u32 v36, s1, s1, v25
	v_add_co_ci_u32_e64 v37, null, s2, 0, s1
	ds_read_b128 v[25:28], v45 offset:96
	ds_read_b128 v[29:32], v45 offset:112
	v_add_co_u32 v56, vcc_lo, v36, v33
	v_add_co_ci_u32_e64 v58, null, 0, v37, vcc_lo
	v_cmp_gt_i32_e32 vcc_lo, 32, v34
	s_lshl_b64 s[2:3], s[20:21], 2
	s_sub_i32 s4, 1, s24
	s_add_u32 s2, s18, s2
	s_addc_u32 s3, s19, s3
	v_cndmask_b32_e32 v42, v53, v34, vcc_lo
	v_cmp_gt_i32_e32 vcc_lo, 32, v35
	v_add_co_u32 v49, s2, s2, v49
	v_cmp_neq_f32_e64 s1, s26, 0
	v_lshlrev_b32_e32 v59, 2, v42
	v_cndmask_b32_e32 v43, v53, v35, vcc_lo
	ds_read_b128 v[33:36], v45 offset:128
	ds_read_b128 v[37:40], v45 offset:144
	v_cmp_eq_u32_e32 vcc_lo, 0, v41
	v_add_nc_u32_e32 v63, 0x320, v50
	v_add_co_ci_u32_e64 v50, null, s3, 0, s2
	v_lshlrev_b32_e32 v60, 2, v43
	ds_read_b128 v[41:44], v45 offset:160
	ds_read_b128 v[45:48], v45 offset:176
	v_mov_b32_e32 v61, 0xff7fffff
	v_mov_b32_e32 v64, v55
	s_mov_b32 s15, s13
	s_mov_b32 s5, 0
	s_branch .LBB16_10
.LBB16_9:                               ;   in Loop: Header=BB16_10 Depth=1
	s_or_b32 exec_lo, exec_lo, s3
	v_add_nc_u32_e32 v64, 4, v64
	v_add_co_u32 v49, s3, v49, 16
	v_add_nc_u32_e32 v62, 32, v62
	v_add_nc_u32_e32 v63, 0x80, v63
	v_cmp_le_i32_e64 s2, s7, v64
	v_add_co_ci_u32_e64 v50, null, 0, v50, s3
	s_or_b32 s5, s2, s5
	s_andn2_b32 exec_lo, exec_lo, s5
	s_cbranch_execz .LBB16_12
.LBB16_10:                              ; =>This Inner Loop Header: Depth=1
	global_load_dword v65, v[49:50], off
	s_waitcnt vmcnt(0) lgkmcnt(0)
	v_mad_i64_i32 v[65:66], null, v65, s15, 0
	v_lshlrev_b64 v[65:66], 2, v[65:66]
	v_add_co_u32 v65, s2, v56, v65
	v_add_co_ci_u32_e64 v66, null, v58, v66, s2
	s_clause 0xf
	global_load_dword v71, v[65:66], off offset:128
	global_load_dword v72, v[65:66], off offset:256
	;; [unrolled: 1-line block ×7, first 2 shown]
	global_load_dword v78, v[65:66], off
	global_load_dword v79, v[65:66], off offset:1024
	global_load_dword v80, v[65:66], off offset:1152
	;; [unrolled: 1-line block ×8, first 2 shown]
	v_add_co_u32 v67, s2, v65, 0x1000
	v_add_co_ci_u32_e64 v68, null, 0, v66, s2
	v_add_co_u32 v69, s2, 0x800, v65
	v_add_co_ci_u32_e64 v70, null, 0, v66, s2
	s_clause 0xf
	global_load_dword v87, v[67:68], off offset:-2048
	global_load_dword v88, v[69:70], off offset:128
	global_load_dword v89, v[69:70], off offset:256
	global_load_dword v90, v[69:70], off offset:384
	global_load_dword v91, v[69:70], off offset:512
	global_load_dword v92, v[69:70], off offset:640
	global_load_dword v93, v[69:70], off offset:768
	global_load_dword v94, v[69:70], off offset:896
	global_load_dword v95, v[69:70], off offset:1024
	global_load_dword v96, v[69:70], off offset:1152
	global_load_dword v97, v[69:70], off offset:1280
	global_load_dword v98, v[69:70], off offset:1408
	global_load_dword v99, v[69:70], off offset:1536
	global_load_dword v100, v[69:70], off offset:1664
	global_load_dword v101, v[69:70], off offset:1792
	global_load_dword v69, v[69:70], off offset:1920
	v_add_co_u32 v65, s2, 0x1000, v65
	v_add_co_ci_u32_e64 v66, null, 0, v66, s2
	s_clause 0xf
	global_load_dword v67, v[67:68], off
	global_load_dword v68, v[65:66], off offset:128
	global_load_dword v70, v[65:66], off offset:256
	;; [unrolled: 1-line block ×15, first 2 shown]
	s_waitcnt vmcnt(47)
	v_mul_f32_e32 v66, v2, v71
	s_waitcnt vmcnt(40)
	v_fmac_f32_e32 v66, v1, v78
	v_fmac_f32_e32 v66, v3, v72
	;; [unrolled: 1-line block ×7, first 2 shown]
	s_waitcnt vmcnt(39)
	v_fmac_f32_e32 v66, v9, v79
	s_waitcnt vmcnt(38)
	v_fmac_f32_e32 v66, v10, v80
	;; [unrolled: 2-line block ×16, first 2 shown]
	s_waitcnt vmcnt(23) lgkmcnt(5)
	v_fmac_f32_e32 v66, v25, v95
	s_waitcnt vmcnt(22)
	v_fmac_f32_e32 v66, v26, v96
	s_waitcnt vmcnt(21)
	v_fmac_f32_e32 v66, v27, v97
	s_waitcnt vmcnt(20)
	v_fmac_f32_e32 v66, v28, v98
	s_waitcnt vmcnt(19) lgkmcnt(4)
	v_fmac_f32_e32 v66, v29, v99
	s_waitcnt vmcnt(18)
	v_fmac_f32_e32 v66, v30, v100
	s_waitcnt vmcnt(17)
	v_fmac_f32_e32 v66, v31, v101
	s_waitcnt vmcnt(16)
	v_fmac_f32_e32 v66, v32, v69
	;; [unrolled: 8-line block ×6, first 2 shown]
	ds_bpermute_b32 v65, v59, v66
	s_waitcnt lgkmcnt(0)
	v_add_f32_e32 v65, v66, v65
	ds_bpermute_b32 v66, v60, v65
	s_and_saveexec_b32 s3, vcc_lo
	s_cbranch_execz .LBB16_9
; %bb.11:                               ;   in Loop: Header=BB16_10 Depth=1
	v_add_nc_u32_e32 v67, s4, v62
	s_waitcnt lgkmcnt(0)
	v_add_f32_e32 v65, v65, v66
	v_cmp_gt_i32_e64 s2, s24, v62
	v_cvt_f32_i32_e32 v67, v67
	v_mul_f32_e32 v67, s26, v67
	v_cndmask_b32_e64 v66, 0, v67, s1
	v_max_f32_e32 v67, v61, v61
	v_fmac_f32_e32 v66, s25, v65
	v_max_f32_e32 v65, v67, v66
	v_cndmask_b32_e64 v66, 0, v66, s2
	v_cndmask_b32_e64 v61, v61, v65, s2
	ds_write_b32 v63, v66
	s_branch .LBB16_9
.LBB16_12:
	s_or_b32 exec_lo, exec_lo, s5
.LBB16_13:
	s_or_b32 exec_lo, exec_lo, s12
	v_xor_b32_e32 v1, 16, v53
	v_xor_b32_e32 v3, 8, v53
	v_max_f32_e32 v4, v61, v61
	v_xor_b32_e32 v5, 4, v53
	v_and_b32_e32 v56, 31, v0
	v_cmp_lt_i32_e32 vcc_lo, v1, v57
	v_cndmask_b32_e32 v1, v53, v1, vcc_lo
	v_cmp_lt_i32_e32 vcc_lo, v3, v57
	v_lshlrev_b32_e32 v2, 2, v1
	v_cndmask_b32_e32 v3, v53, v3, vcc_lo
	v_cmp_lt_i32_e32 vcc_lo, v5, v57
	ds_bpermute_b32 v1, v2, v61
	v_lshlrev_b32_e32 v3, 2, v3
	v_cndmask_b32_e32 v5, v53, v5, vcc_lo
	v_cmp_eq_u32_e32 vcc_lo, 0, v56
	v_lshlrev_b32_e32 v6, 2, v5
	s_waitcnt lgkmcnt(0)
	v_max_f32_e32 v1, v1, v1
	v_max_f32_e32 v1, v4, v1
	ds_bpermute_b32 v4, v3, v1
	s_waitcnt lgkmcnt(0)
	v_max_f32_e32 v4, v4, v4
	v_max_f32_e32 v1, v1, v4
	v_lshlrev_b32_e32 v4, 2, v55
	ds_bpermute_b32 v5, v6, v1
	s_and_saveexec_b32 s1, vcc_lo
	s_cbranch_execz .LBB16_15
; %bb.14:
	s_waitcnt lgkmcnt(0)
	v_max_f32_e32 v5, v5, v5
	v_max_f32_e32 v1, v1, v1
	;; [unrolled: 1-line block ×3, first 2 shown]
	ds_write_b32 v4, v1 offset:768
.LBB16_15:
	s_or_b32 exec_lo, exec_lo, s1
	v_cmp_gt_u32_e64 s1, 4, v56
	v_mov_b32_e32 v1, 0xff7fffff
	s_waitcnt lgkmcnt(0)
	v_lshlrev_b32_e32 v5, 2, v56
	s_barrier
	buffer_gl0_inv
	s_and_saveexec_b32 s2, s1
; %bb.16:
	ds_read_b32 v1, v5 offset:768
; %bb.17:
	s_or_b32 exec_lo, exec_lo, s2
	v_xor_b32_e32 v7, 2, v53
	v_xor_b32_e32 v9, 1, v53
	v_cmp_lt_i32_e64 s2, v7, v57
	v_cndmask_b32_e64 v7, v53, v7, s2
	v_cmp_lt_i32_e64 s2, v9, v57
	v_lshlrev_b32_e32 v7, 2, v7
	v_cndmask_b32_e64 v9, v53, v9, s2
	s_lshl_b32 s2, s7, 3
	s_min_i32 s4, s2, s24
	s_waitcnt lgkmcnt(0)
	ds_bpermute_b32 v8, v7, v1
	v_max_f32_e32 v1, v1, v1
	v_lshlrev_b32_e32 v57, 2, v9
	v_cmp_gt_i32_e64 s2, s4, v0
	s_waitcnt lgkmcnt(0)
	v_max_f32_e32 v8, v8, v8
	v_max_f32_e32 v1, v1, v8
	ds_bpermute_b32 v8, v57, v1
	s_waitcnt lgkmcnt(0)
	v_max_f32_e32 v8, v8, v8
	v_max_f32_e32 v1, v1, v8
	v_lshlrev_b32_e32 v8, 2, v54
	ds_bpermute_b32 v9, v8, v1
	v_mov_b32_e32 v8, 0
	v_lshl_add_u32 v1, v0, 2, 0x320
	s_and_saveexec_b32 s5, s2
	s_cbranch_execz .LBB16_21
; %bb.18:
	v_lshl_add_u32 v10, v0, 2, 0x320
	v_mov_b32_e32 v8, 0
	v_mov_b32_e32 v11, v0
	s_mov_b32 s12, 0
	.p2align	6
.LBB16_19:                              ; =>This Inner Loop Header: Depth=1
	ds_read_b32 v12, v10
	v_add_nc_u32_e32 v11, 0x80, v11
	v_cmp_le_i32_e64 s3, s4, v11
	s_or_b32 s12, s3, s12
	s_waitcnt lgkmcnt(0)
	v_sub_f32_e32 v12, v12, v9
	v_mul_f32_e32 v12, 0x3fb8aa3b, v12
	v_exp_f32_e32 v12, v12
	ds_write_b32 v10, v12
	v_add_f32_e32 v8, v8, v12
	v_add_nc_u32_e32 v10, 0x200, v10
	s_andn2_b32 exec_lo, exec_lo, s12
	s_cbranch_execnz .LBB16_19
; %bb.20:
	s_or_b32 exec_lo, exec_lo, s12
.LBB16_21:
	s_or_b32 exec_lo, exec_lo, s5
	ds_bpermute_b32 v2, v2, v8
	s_waitcnt lgkmcnt(0)
	v_add_f32_e32 v2, v8, v2
	ds_bpermute_b32 v3, v3, v2
	s_waitcnt lgkmcnt(0)
	v_add_f32_e32 v2, v2, v3
	;; [unrolled: 3-line block ×5, first 2 shown]
	s_and_saveexec_b32 s3, vcc_lo
; %bb.22:
	ds_write_b32 v4, v2 offset:784
; %bb.23:
	s_or_b32 exec_lo, exec_lo, s3
	s_waitcnt lgkmcnt(0)
	s_barrier
	buffer_gl0_inv
	s_and_saveexec_b32 s3, s1
; %bb.24:
	ds_read_b32 v2, v5 offset:784
; %bb.25:
	s_or_b32 exec_lo, exec_lo, s3
	s_waitcnt lgkmcnt(0)
	ds_bpermute_b32 v3, v7, v2
	v_lshlrev_b32_e32 v4, 2, v53
	s_waitcnt lgkmcnt(0)
	v_add_f32_e32 v2, v2, v3
	ds_bpermute_b32 v3, v57, v2
	s_waitcnt lgkmcnt(0)
	v_add_f32_e32 v2, v2, v3
	v_and_b32_e32 v3, 0xffffff80, v4
	ds_bpermute_b32 v2, v3, v2
	s_and_saveexec_b32 s1, s2
	s_cbranch_execz .LBB16_28
; %bb.26:
	s_waitcnt lgkmcnt(0)
	v_add_f32_e32 v2, 0x358637bd, v2
	s_mov_b32 s2, 0
	v_div_scale_f32 v3, null, v2, v2, 1.0
	v_div_scale_f32 v6, vcc_lo, 1.0, v2, 1.0
	v_rcp_f32_e32 v4, v3
	v_fma_f32 v5, -v3, v4, 1.0
	v_fmac_f32_e32 v4, v5, v4
	v_mul_f32_e32 v5, v6, v4
	v_fma_f32 v7, -v3, v5, v6
	v_fmac_f32_e32 v5, v7, v4
	v_fma_f32 v3, -v3, v5, v6
	v_div_fmas_f32 v3, v3, v4, v5
	v_div_fixup_f32 v2, v3, v2, 1.0
	v_mov_b32_e32 v3, v0
.LBB16_27:                              ; =>This Inner Loop Header: Depth=1
	ds_read_b32 v4, v1
	v_add_nc_u32_e32 v3, 0x80, v3
	v_cmp_le_i32_e32 vcc_lo, s4, v3
	s_or_b32 s2, vcc_lo, s2
	s_waitcnt lgkmcnt(0)
	v_mul_f32_e32 v4, v2, v4
	ds_write_b32 v1, v4
	v_add_nc_u32_e32 v1, 0x200, v1
	s_andn2_b32 exec_lo, exec_lo, s2
	s_cbranch_execnz .LBB16_27
.LBB16_28:
	s_or_b32 exec_lo, exec_lo, s1
	v_mov_b32_e32 v68, 0
	v_and_b32_e32 v58, 1, v0
	v_mov_b32_e32 v70, 0
	v_mov_b32_e32 v69, 0
	;; [unrolled: 1-line block ×11, first 2 shown]
	s_waitcnt lgkmcnt(0)
	s_barrier
	buffer_gl0_inv
	s_and_saveexec_b32 s1, s0
	s_cbranch_execz .LBB16_56
; %bb.29:
	v_lshlrev_b32_e32 v2, 4, v0
	s_ashr_i32 s15, s14, 31
	v_and_b32_e32 v1, 4, v51
	v_lshlrev_b32_e32 v4, 3, v55
	s_lshl_b64 s[2:3], s[14:15], 2
	v_and_b32_e32 v2, 0x1f0, v2
	v_lshlrev_b32_e32 v3, 4, v58
	s_add_u32 s0, s22, s2
	v_or3_b32 v73, v4, v1, 3
	v_and_b32_e32 v1, 0x7c, v52
	s_addc_u32 s3, s23, s3
	v_add_co_u32 v71, s0, s0, v2
	s_lshl_b64 s[4:5], s[20:21], 2
	s_add_i32 s2, s7, -1
	v_lshl_or_b32 v3, v55, 5, v3
	v_add_co_ci_u32_e64 v72, null, s3, 0, s0
	s_add_u32 s0, s18, s4
	s_addc_u32 s3, s19, s5
	v_add_co_u32 v53, s0, s0, v1
	v_mov_b32_e32 v59, 0
	v_add_nc_u32_e32 v74, 0x320, v3
	v_add_co_ci_u32_e64 v54, null, s3, 0, s0
	v_mov_b32_e32 v60, 0
	v_mov_b32_e32 v61, 0
	;; [unrolled: 1-line block ×12, first 2 shown]
	s_mov_b32 s4, s13
	s_mov_b32 s3, 0
	s_branch .LBB16_31
.LBB16_30:                              ;   in Loop: Header=BB16_31 Depth=1
	s_or_b32 exec_lo, exec_lo, s0
	s_waitcnt vmcnt(1) lgkmcnt(0)
	v_mul_f32_e32 v49, v1, v49
	v_mul_f32_e32 v45, v1, v45
	;; [unrolled: 1-line block ×11, first 2 shown]
	s_waitcnt vmcnt(0)
	v_mul_f32_e32 v1, v1, v41
	v_fmac_f32_e32 v49, v2, v50
	v_fmac_f32_e32 v45, v2, v46
	;; [unrolled: 1-line block ×24, first 2 shown]
	v_add_nc_u32_e32 v75, 4, v75
	v_fmac_f32_e32 v49, v4, v52
	v_fmac_f32_e32 v45, v4, v48
	;; [unrolled: 1-line block ×12, first 2 shown]
	v_cmp_le_i32_e32 vcc_lo, s7, v75
	v_add_co_u32 v53, s0, v53, 16
	v_add_f32_e32 v60, v60, v49
	v_add_f32_e32 v61, v61, v45
	;; [unrolled: 1-line block ×12, first 2 shown]
	v_add_nc_u32_e32 v73, 32, v73
	v_add_nc_u32_e32 v74, 0x80, v74
	v_add_co_ci_u32_e64 v54, null, 0, v54, s0
	s_or_b32 s3, vcc_lo, s3
	s_andn2_b32 exec_lo, exec_lo, s3
	s_cbranch_execz .LBB16_55
.LBB16_31:                              ; =>This Inner Loop Header: Depth=1
	global_load_dword v1, v[53:54], off
	v_add_nc_u32_e32 v76, -3, v73
	v_add_nc_u32_e32 v78, -2, v73
	;; [unrolled: 1-line block ×3, first 2 shown]
	s_waitcnt vmcnt(0)
	v_mad_i64_i32 v[1:2], null, v1, s4, 0
	v_lshlrev_b64 v[1:2], 2, v[1:2]
	v_add_co_u32 v37, vcc_lo, v71, v1
	v_add_co_ci_u32_e64 v38, null, v72, v2, vcc_lo
	ds_read_b128 v[1:4], v74
	v_cmp_eq_u32_e32 vcc_lo, s2, v75
	global_load_dwordx4 v[5:8], v[37:38], off
	s_and_saveexec_b32 s5, vcc_lo
	s_cbranch_execnz .LBB16_45
; %bb.32:                               ;   in Loop: Header=BB16_31 Depth=1
	s_or_b32 exec_lo, exec_lo, s5
	global_load_dwordx4 v[9:12], v[37:38], off offset:512
	s_and_saveexec_b32 s5, vcc_lo
	s_cbranch_execnz .LBB16_46
.LBB16_33:                              ;   in Loop: Header=BB16_31 Depth=1
	s_or_b32 exec_lo, exec_lo, s5
	global_load_dwordx4 v[13:16], v[37:38], off offset:1024
	s_and_saveexec_b32 s5, vcc_lo
	s_cbranch_execnz .LBB16_47
.LBB16_34:                              ;   in Loop: Header=BB16_31 Depth=1
	s_or_b32 exec_lo, exec_lo, s5
	global_load_dwordx4 v[17:20], v[37:38], off offset:1536
	s_and_saveexec_b32 s5, vcc_lo
	s_cbranch_execz .LBB16_36
.LBB16_35:                              ;   in Loop: Header=BB16_31 Depth=1
	v_cmp_gt_i32_e64 s0, s24, v76
	s_waitcnt vmcnt(0)
	v_cndmask_b32_e64 v17, 0, v17, s0
	v_cmp_gt_i32_e64 s0, s24, v78
	v_cndmask_b32_e64 v18, 0, v18, s0
	v_cmp_gt_i32_e64 s0, s24, v77
	;; [unrolled: 2-line block ×3, first 2 shown]
	v_cndmask_b32_e64 v20, 0, v20, s0
.LBB16_36:                              ;   in Loop: Header=BB16_31 Depth=1
	s_or_b32 exec_lo, exec_lo, s5
	v_add_co_u32 v33, s0, 0x800, v37
	v_add_co_ci_u32_e64 v34, null, 0, v38, s0
	global_load_dwordx4 v[21:24], v[33:34], off
	s_and_saveexec_b32 s5, vcc_lo
	s_cbranch_execnz .LBB16_48
; %bb.37:                               ;   in Loop: Header=BB16_31 Depth=1
	s_or_b32 exec_lo, exec_lo, s5
	global_load_dwordx4 v[25:28], v[33:34], off offset:512
	s_and_saveexec_b32 s5, vcc_lo
	s_cbranch_execnz .LBB16_49
.LBB16_38:                              ;   in Loop: Header=BB16_31 Depth=1
	s_or_b32 exec_lo, exec_lo, s5
	global_load_dwordx4 v[29:32], v[33:34], off offset:1024
	s_and_saveexec_b32 s5, vcc_lo
	s_cbranch_execnz .LBB16_50
.LBB16_39:                              ;   in Loop: Header=BB16_31 Depth=1
	s_or_b32 exec_lo, exec_lo, s5
	global_load_dwordx4 v[33:36], v[33:34], off offset:1536
	s_and_saveexec_b32 s5, vcc_lo
	s_cbranch_execz .LBB16_41
.LBB16_40:                              ;   in Loop: Header=BB16_31 Depth=1
	v_cmp_gt_i32_e64 s0, s24, v76
	s_waitcnt vmcnt(0)
	v_cndmask_b32_e64 v33, 0, v33, s0
	v_cmp_gt_i32_e64 s0, s24, v78
	v_cndmask_b32_e64 v34, 0, v34, s0
	v_cmp_gt_i32_e64 s0, s24, v77
	;; [unrolled: 2-line block ×3, first 2 shown]
	v_cndmask_b32_e64 v36, 0, v36, s0
.LBB16_41:                              ;   in Loop: Header=BB16_31 Depth=1
	s_or_b32 exec_lo, exec_lo, s5
	v_add_co_u32 v41, s0, 0x1000, v37
	v_add_co_ci_u32_e64 v42, null, 0, v38, s0
	global_load_dwordx4 v[37:40], v[41:42], off
	s_and_saveexec_b32 s5, vcc_lo
	s_cbranch_execnz .LBB16_51
; %bb.42:                               ;   in Loop: Header=BB16_31 Depth=1
	s_or_b32 exec_lo, exec_lo, s5
	global_load_dwordx4 v[45:48], v[41:42], off offset:512
	s_and_saveexec_b32 s5, vcc_lo
	s_cbranch_execnz .LBB16_52
.LBB16_43:                              ;   in Loop: Header=BB16_31 Depth=1
	s_or_b32 exec_lo, exec_lo, s5
	global_load_dwordx4 v[49:52], v[41:42], off offset:1024
	s_and_saveexec_b32 s5, vcc_lo
	s_cbranch_execnz .LBB16_53
.LBB16_44:                              ;   in Loop: Header=BB16_31 Depth=1
	s_or_b32 exec_lo, exec_lo, s5
	global_load_dwordx4 v[41:44], v[41:42], off offset:1536
	s_and_saveexec_b32 s0, vcc_lo
	s_cbranch_execz .LBB16_30
	s_branch .LBB16_54
.LBB16_45:                              ;   in Loop: Header=BB16_31 Depth=1
	v_cmp_gt_i32_e64 s0, s24, v76
	s_waitcnt vmcnt(0)
	v_cndmask_b32_e64 v5, 0, v5, s0
	v_cmp_gt_i32_e64 s0, s24, v78
	v_cndmask_b32_e64 v6, 0, v6, s0
	v_cmp_gt_i32_e64 s0, s24, v77
	;; [unrolled: 2-line block ×3, first 2 shown]
	v_cndmask_b32_e64 v8, 0, v8, s0
	s_or_b32 exec_lo, exec_lo, s5
	global_load_dwordx4 v[9:12], v[37:38], off offset:512
	s_and_saveexec_b32 s5, vcc_lo
	s_cbranch_execz .LBB16_33
.LBB16_46:                              ;   in Loop: Header=BB16_31 Depth=1
	v_cmp_gt_i32_e64 s0, s24, v76
	s_waitcnt vmcnt(0)
	v_cndmask_b32_e64 v9, 0, v9, s0
	v_cmp_gt_i32_e64 s0, s24, v78
	v_cndmask_b32_e64 v10, 0, v10, s0
	v_cmp_gt_i32_e64 s0, s24, v77
	;; [unrolled: 2-line block ×3, first 2 shown]
	v_cndmask_b32_e64 v12, 0, v12, s0
	s_or_b32 exec_lo, exec_lo, s5
	global_load_dwordx4 v[13:16], v[37:38], off offset:1024
	s_and_saveexec_b32 s5, vcc_lo
	s_cbranch_execz .LBB16_34
.LBB16_47:                              ;   in Loop: Header=BB16_31 Depth=1
	v_cmp_gt_i32_e64 s0, s24, v76
	s_waitcnt vmcnt(0)
	v_cndmask_b32_e64 v13, 0, v13, s0
	v_cmp_gt_i32_e64 s0, s24, v78
	v_cndmask_b32_e64 v14, 0, v14, s0
	v_cmp_gt_i32_e64 s0, s24, v77
	;; [unrolled: 2-line block ×3, first 2 shown]
	v_cndmask_b32_e64 v16, 0, v16, s0
	s_or_b32 exec_lo, exec_lo, s5
	global_load_dwordx4 v[17:20], v[37:38], off offset:1536
	s_and_saveexec_b32 s5, vcc_lo
	s_cbranch_execnz .LBB16_35
	s_branch .LBB16_36
.LBB16_48:                              ;   in Loop: Header=BB16_31 Depth=1
	v_cmp_gt_i32_e64 s0, s24, v76
	s_waitcnt vmcnt(0)
	v_cndmask_b32_e64 v21, 0, v21, s0
	v_cmp_gt_i32_e64 s0, s24, v78
	v_cndmask_b32_e64 v22, 0, v22, s0
	v_cmp_gt_i32_e64 s0, s24, v77
	;; [unrolled: 2-line block ×3, first 2 shown]
	v_cndmask_b32_e64 v24, 0, v24, s0
	s_or_b32 exec_lo, exec_lo, s5
	global_load_dwordx4 v[25:28], v[33:34], off offset:512
	s_and_saveexec_b32 s5, vcc_lo
	s_cbranch_execz .LBB16_38
.LBB16_49:                              ;   in Loop: Header=BB16_31 Depth=1
	v_cmp_gt_i32_e64 s0, s24, v76
	s_waitcnt vmcnt(0)
	v_cndmask_b32_e64 v25, 0, v25, s0
	v_cmp_gt_i32_e64 s0, s24, v78
	v_cndmask_b32_e64 v26, 0, v26, s0
	v_cmp_gt_i32_e64 s0, s24, v77
	;; [unrolled: 2-line block ×3, first 2 shown]
	v_cndmask_b32_e64 v28, 0, v28, s0
	s_or_b32 exec_lo, exec_lo, s5
	global_load_dwordx4 v[29:32], v[33:34], off offset:1024
	s_and_saveexec_b32 s5, vcc_lo
	s_cbranch_execz .LBB16_39
.LBB16_50:                              ;   in Loop: Header=BB16_31 Depth=1
	v_cmp_gt_i32_e64 s0, s24, v76
	s_waitcnt vmcnt(0)
	v_cndmask_b32_e64 v29, 0, v29, s0
	v_cmp_gt_i32_e64 s0, s24, v78
	v_cndmask_b32_e64 v30, 0, v30, s0
	v_cmp_gt_i32_e64 s0, s24, v77
	v_cndmask_b32_e64 v31, 0, v31, s0
	v_cmp_gt_i32_e64 s0, s24, v73
	v_cndmask_b32_e64 v32, 0, v32, s0
	s_or_b32 exec_lo, exec_lo, s5
	global_load_dwordx4 v[33:36], v[33:34], off offset:1536
	s_and_saveexec_b32 s5, vcc_lo
	s_cbranch_execnz .LBB16_40
	s_branch .LBB16_41
.LBB16_51:                              ;   in Loop: Header=BB16_31 Depth=1
	v_cmp_gt_i32_e64 s0, s24, v76
	s_waitcnt vmcnt(0)
	v_cndmask_b32_e64 v37, 0, v37, s0
	v_cmp_gt_i32_e64 s0, s24, v78
	v_cndmask_b32_e64 v38, 0, v38, s0
	v_cmp_gt_i32_e64 s0, s24, v77
	;; [unrolled: 2-line block ×3, first 2 shown]
	v_cndmask_b32_e64 v40, 0, v40, s0
	s_or_b32 exec_lo, exec_lo, s5
	global_load_dwordx4 v[45:48], v[41:42], off offset:512
	s_and_saveexec_b32 s5, vcc_lo
	s_cbranch_execz .LBB16_43
.LBB16_52:                              ;   in Loop: Header=BB16_31 Depth=1
	v_cmp_gt_i32_e64 s0, s24, v76
	s_waitcnt vmcnt(0)
	v_cndmask_b32_e64 v45, 0, v45, s0
	v_cmp_gt_i32_e64 s0, s24, v78
	v_cndmask_b32_e64 v46, 0, v46, s0
	v_cmp_gt_i32_e64 s0, s24, v77
	;; [unrolled: 2-line block ×3, first 2 shown]
	v_cndmask_b32_e64 v48, 0, v48, s0
	s_or_b32 exec_lo, exec_lo, s5
	global_load_dwordx4 v[49:52], v[41:42], off offset:1024
	s_and_saveexec_b32 s5, vcc_lo
	s_cbranch_execz .LBB16_44
.LBB16_53:                              ;   in Loop: Header=BB16_31 Depth=1
	v_cmp_gt_i32_e64 s0, s24, v76
	s_waitcnt vmcnt(0)
	v_cndmask_b32_e64 v49, 0, v49, s0
	v_cmp_gt_i32_e64 s0, s24, v78
	v_cndmask_b32_e64 v50, 0, v50, s0
	v_cmp_gt_i32_e64 s0, s24, v77
	;; [unrolled: 2-line block ×3, first 2 shown]
	v_cndmask_b32_e64 v52, 0, v52, s0
	s_or_b32 exec_lo, exec_lo, s5
	global_load_dwordx4 v[41:44], v[41:42], off offset:1536
	s_and_saveexec_b32 s0, vcc_lo
	s_cbranch_execz .LBB16_30
.LBB16_54:                              ;   in Loop: Header=BB16_31 Depth=1
	v_cmp_gt_i32_e32 vcc_lo, s24, v76
	s_waitcnt vmcnt(0)
	v_cndmask_b32_e32 v41, 0, v41, vcc_lo
	v_cmp_gt_i32_e32 vcc_lo, s24, v78
	v_cndmask_b32_e32 v42, 0, v42, vcc_lo
	v_cmp_gt_i32_e32 vcc_lo, s24, v77
	;; [unrolled: 2-line block ×3, first 2 shown]
	v_cndmask_b32_e32 v44, 0, v44, vcc_lo
	s_branch .LBB16_30
.LBB16_55:
	s_or_b32 exec_lo, exec_lo, s3
.LBB16_56:
	s_or_b32 exec_lo, exec_lo, s1
	ds_bpermute_b32 v1, v57, v68
	ds_bpermute_b32 v2, v57, v70
	;; [unrolled: 1-line block ×12, first 2 shown]
	v_lshrrev_b32_e32 v13, 1, v56
	v_and_b32_e32 v16, 0x3c1, v0
	v_mul_u32_u24_e32 v15, 0x300, v55
	s_mov_b32 s0, exec_lo
	s_waitcnt lgkmcnt(0)
	v_lshl_add_u32 v14, v13, 2, 0x320
	s_barrier
	buffer_gl0_inv
	v_add_f32_e32 v1, v68, v1
	v_add_f32_e32 v2, v70, v2
	;; [unrolled: 1-line block ×12, first 2 shown]
	v_cmpx_eq_u32_e32 64, v16
	s_cbranch_execz .LBB16_58
; %bb.57:
	v_add_nc_u32_e32 v16, v14, v15
	v_add_nc_u32_e32 v17, 0xfffffa00, v16
	;; [unrolled: 1-line block ×8, first 2 shown]
	ds_write_b32 v17, v1
	ds_write_b32 v18, v2
	ds_write_b32 v19, v3
	ds_write_b32 v20, v4
	ds_write_b32 v21, v5
	ds_write_b32 v22, v6
	ds_write_b32 v23, v7
	v_add_nc_u32_e32 v17, 0xfffffbc0, v16
	v_add_nc_u32_e32 v18, 0xfffffc00, v16
	;; [unrolled: 1-line block ×5, first 2 shown]
	ds_write_b32 v17, v8
	ds_write_b32 v18, v9
	;; [unrolled: 1-line block ×5, first 2 shown]
.LBB16_58:
	s_or_b32 exec_lo, exec_lo, s0
	v_lshlrev_b32_e32 v13, 2, v13
	s_mov_b32 s1, exec_lo
	v_cmp_eq_u32_e32 vcc_lo, 0, v58
	s_waitcnt lgkmcnt(0)
	s_barrier
	v_add3_u32 v13, 0x320, v15, v13
	buffer_gl0_inv
	v_cmpx_gt_u32_e32 64, v0
	s_cbranch_execz .LBB16_73
; %bb.59:
	s_and_saveexec_b32 s0, vcc_lo
	s_cbranch_execnz .LBB16_93
; %bb.60:
	s_or_b32 exec_lo, exec_lo, s0
	s_and_saveexec_b32 s0, vcc_lo
	s_cbranch_execnz .LBB16_94
.LBB16_61:
	s_or_b32 exec_lo, exec_lo, s0
	s_and_saveexec_b32 s0, vcc_lo
	s_cbranch_execnz .LBB16_95
.LBB16_62:
	s_or_b32 exec_lo, exec_lo, s0
	s_and_saveexec_b32 s0, vcc_lo
	s_cbranch_execnz .LBB16_96
.LBB16_63:
	s_or_b32 exec_lo, exec_lo, s0
	s_and_saveexec_b32 s0, vcc_lo
	s_cbranch_execnz .LBB16_97
.LBB16_64:
	s_or_b32 exec_lo, exec_lo, s0
	s_and_saveexec_b32 s0, vcc_lo
	s_cbranch_execnz .LBB16_98
.LBB16_65:
	s_or_b32 exec_lo, exec_lo, s0
	s_and_saveexec_b32 s0, vcc_lo
	s_cbranch_execnz .LBB16_99
.LBB16_66:
	s_or_b32 exec_lo, exec_lo, s0
	s_and_saveexec_b32 s0, vcc_lo
	s_cbranch_execnz .LBB16_100
.LBB16_67:
	s_or_b32 exec_lo, exec_lo, s0
	s_and_saveexec_b32 s0, vcc_lo
	s_cbranch_execnz .LBB16_101
.LBB16_68:
	s_or_b32 exec_lo, exec_lo, s0
	s_and_saveexec_b32 s0, vcc_lo
	s_cbranch_execnz .LBB16_102
.LBB16_69:
	s_or_b32 exec_lo, exec_lo, s0
	s_and_saveexec_b32 s0, vcc_lo
	s_cbranch_execnz .LBB16_103
.LBB16_70:
	s_or_b32 exec_lo, exec_lo, s0
	s_and_saveexec_b32 s0, vcc_lo
	s_cbranch_execz .LBB16_72
.LBB16_71:
	ds_read_b32 v15, v13 offset:704
	s_waitcnt lgkmcnt(0)
	v_add_f32_e32 v12, v12, v15
.LBB16_72:
	s_or_b32 exec_lo, exec_lo, s0
.LBB16_73:
	s_or_b32 exec_lo, exec_lo, s1
	v_and_b32_e32 v15, 0x3e1, v0
	s_mov_b32 s1, exec_lo
	s_barrier
	buffer_gl0_inv
	v_cmpx_eq_u32_e32 32, v15
	s_cbranch_execz .LBB16_75
; %bb.74:
	ds_write2_b32 v14, v1, v2 offset1:16
	ds_write2_b32 v14, v3, v4 offset0:32 offset1:48
	ds_write2_b32 v14, v5, v6 offset0:64 offset1:80
	ds_write2_b32 v14, v7, v8 offset0:96 offset1:112
	ds_write2_b32 v14, v9, v10 offset0:128 offset1:144
	ds_write2_b32 v14, v11, v12 offset0:160 offset1:176
.LBB16_75:
	s_or_b32 exec_lo, exec_lo, s1
	s_mov_b32 s1, exec_lo
	s_waitcnt lgkmcnt(0)
	s_barrier
	buffer_gl0_inv
	v_cmpx_gt_u32_e32 32, v0
	s_cbranch_execz .LBB16_90
; %bb.76:
	s_and_saveexec_b32 s0, vcc_lo
	s_cbranch_execnz .LBB16_104
; %bb.77:
	s_or_b32 exec_lo, exec_lo, s0
	s_and_saveexec_b32 s0, vcc_lo
	s_cbranch_execnz .LBB16_105
.LBB16_78:
	s_or_b32 exec_lo, exec_lo, s0
	s_and_saveexec_b32 s0, vcc_lo
	s_cbranch_execnz .LBB16_106
.LBB16_79:
	s_or_b32 exec_lo, exec_lo, s0
	s_and_saveexec_b32 s0, vcc_lo
	s_cbranch_execnz .LBB16_107
.LBB16_80:
	s_or_b32 exec_lo, exec_lo, s0
	s_and_saveexec_b32 s0, vcc_lo
	s_cbranch_execnz .LBB16_108
.LBB16_81:
	s_or_b32 exec_lo, exec_lo, s0
	s_and_saveexec_b32 s0, vcc_lo
	s_cbranch_execnz .LBB16_109
.LBB16_82:
	s_or_b32 exec_lo, exec_lo, s0
	s_and_saveexec_b32 s0, vcc_lo
	s_cbranch_execnz .LBB16_110
.LBB16_83:
	s_or_b32 exec_lo, exec_lo, s0
	s_and_saveexec_b32 s0, vcc_lo
	s_cbranch_execnz .LBB16_111
.LBB16_84:
	s_or_b32 exec_lo, exec_lo, s0
	s_and_saveexec_b32 s0, vcc_lo
	s_cbranch_execnz .LBB16_112
.LBB16_85:
	s_or_b32 exec_lo, exec_lo, s0
	s_and_saveexec_b32 s0, vcc_lo
	s_cbranch_execnz .LBB16_113
.LBB16_86:
	s_or_b32 exec_lo, exec_lo, s0
	s_and_saveexec_b32 s0, vcc_lo
	s_cbranch_execnz .LBB16_114
.LBB16_87:
	s_or_b32 exec_lo, exec_lo, s0
	s_and_saveexec_b32 s0, vcc_lo
	s_cbranch_execz .LBB16_89
.LBB16_88:
	ds_read_b32 v13, v13 offset:704
	s_waitcnt lgkmcnt(0)
	v_add_f32_e32 v12, v12, v13
.LBB16_89:
	s_or_b32 exec_lo, exec_lo, s0
.LBB16_90:
	s_or_b32 exec_lo, exec_lo, s1
	s_barrier
	buffer_gl0_inv
	s_mov_b32 s0, exec_lo
	v_cmpx_eq_u32_e32 0, v15
	s_cbranch_execz .LBB16_92
; %bb.91:
	s_mul_i32 s0, s10, s11
	s_mul_i32 s2, s11, s6
	;; [unrolled: 1-line block ×3, first 2 shown]
	v_lshlrev_b32_e32 v0, 1, v0
	s_mulk_i32 s0, 0xc0
	s_ashr_i32 s1, s0, 31
	s_lshl_b64 s[0:1], s[0:1], 2
	s_add_u32 s4, s16, s0
	s_addc_u32 s5, s17, s1
	s_ashr_i32 s3, s2, 31
	s_lshl_b64 s[0:1], s[2:3], 2
	s_mul_i32 s2, s8, 0xc0
	s_add_u32 s4, s4, s0
	s_addc_u32 s5, s5, s1
	s_ashr_i32 s3, s2, 31
	s_lshl_b64 s[0:1], s[2:3], 2
	s_add_u32 s0, s4, s0
	s_addc_u32 s1, s5, s1
	global_store_dword v0, v1, s[0:1]
	global_store_dword v0, v2, s[0:1] offset:64
	global_store_dword v0, v3, s[0:1] offset:128
	;; [unrolled: 1-line block ×11, first 2 shown]
.LBB16_92:
	s_endpgm
.LBB16_93:
	ds_read_b32 v15, v13
	s_waitcnt lgkmcnt(0)
	v_add_f32_e32 v1, v1, v15
	s_or_b32 exec_lo, exec_lo, s0
	s_and_saveexec_b32 s0, vcc_lo
	s_cbranch_execz .LBB16_61
.LBB16_94:
	ds_read_b32 v15, v13 offset:64
	s_waitcnt lgkmcnt(0)
	v_add_f32_e32 v2, v2, v15
	s_or_b32 exec_lo, exec_lo, s0
	s_and_saveexec_b32 s0, vcc_lo
	s_cbranch_execz .LBB16_62
.LBB16_95:
	ds_read_b32 v15, v13 offset:128
	s_waitcnt lgkmcnt(0)
	v_add_f32_e32 v3, v3, v15
	s_or_b32 exec_lo, exec_lo, s0
	s_and_saveexec_b32 s0, vcc_lo
	s_cbranch_execz .LBB16_63
.LBB16_96:
	ds_read_b32 v15, v13 offset:192
	s_waitcnt lgkmcnt(0)
	v_add_f32_e32 v4, v4, v15
	s_or_b32 exec_lo, exec_lo, s0
	s_and_saveexec_b32 s0, vcc_lo
	s_cbranch_execz .LBB16_64
.LBB16_97:
	ds_read_b32 v15, v13 offset:256
	s_waitcnt lgkmcnt(0)
	v_add_f32_e32 v5, v5, v15
	s_or_b32 exec_lo, exec_lo, s0
	s_and_saveexec_b32 s0, vcc_lo
	s_cbranch_execz .LBB16_65
.LBB16_98:
	ds_read_b32 v15, v13 offset:320
	s_waitcnt lgkmcnt(0)
	v_add_f32_e32 v6, v6, v15
	s_or_b32 exec_lo, exec_lo, s0
	s_and_saveexec_b32 s0, vcc_lo
	s_cbranch_execz .LBB16_66
.LBB16_99:
	ds_read_b32 v15, v13 offset:384
	s_waitcnt lgkmcnt(0)
	v_add_f32_e32 v7, v7, v15
	s_or_b32 exec_lo, exec_lo, s0
	s_and_saveexec_b32 s0, vcc_lo
	s_cbranch_execz .LBB16_67
.LBB16_100:
	ds_read_b32 v15, v13 offset:448
	s_waitcnt lgkmcnt(0)
	v_add_f32_e32 v8, v8, v15
	s_or_b32 exec_lo, exec_lo, s0
	s_and_saveexec_b32 s0, vcc_lo
	s_cbranch_execz .LBB16_68
.LBB16_101:
	ds_read_b32 v15, v13 offset:512
	s_waitcnt lgkmcnt(0)
	v_add_f32_e32 v9, v9, v15
	s_or_b32 exec_lo, exec_lo, s0
	s_and_saveexec_b32 s0, vcc_lo
	s_cbranch_execz .LBB16_69
.LBB16_102:
	ds_read_b32 v15, v13 offset:576
	s_waitcnt lgkmcnt(0)
	v_add_f32_e32 v10, v10, v15
	s_or_b32 exec_lo, exec_lo, s0
	s_and_saveexec_b32 s0, vcc_lo
	s_cbranch_execz .LBB16_70
.LBB16_103:
	ds_read_b32 v15, v13 offset:640
	s_waitcnt lgkmcnt(0)
	v_add_f32_e32 v11, v11, v15
	s_or_b32 exec_lo, exec_lo, s0
	s_and_saveexec_b32 s0, vcc_lo
	s_cbranch_execnz .LBB16_71
	s_branch .LBB16_72
.LBB16_104:
	ds_read_b32 v14, v13
	s_waitcnt lgkmcnt(0)
	v_add_f32_e32 v1, v1, v14
	s_or_b32 exec_lo, exec_lo, s0
	s_and_saveexec_b32 s0, vcc_lo
	s_cbranch_execz .LBB16_78
.LBB16_105:
	ds_read_b32 v14, v13 offset:64
	s_waitcnt lgkmcnt(0)
	v_add_f32_e32 v2, v2, v14
	s_or_b32 exec_lo, exec_lo, s0
	s_and_saveexec_b32 s0, vcc_lo
	s_cbranch_execz .LBB16_79
.LBB16_106:
	ds_read_b32 v14, v13 offset:128
	s_waitcnt lgkmcnt(0)
	v_add_f32_e32 v3, v3, v14
	s_or_b32 exec_lo, exec_lo, s0
	s_and_saveexec_b32 s0, vcc_lo
	s_cbranch_execz .LBB16_80
.LBB16_107:
	ds_read_b32 v14, v13 offset:192
	s_waitcnt lgkmcnt(0)
	v_add_f32_e32 v4, v4, v14
	s_or_b32 exec_lo, exec_lo, s0
	s_and_saveexec_b32 s0, vcc_lo
	s_cbranch_execz .LBB16_81
.LBB16_108:
	ds_read_b32 v14, v13 offset:256
	s_waitcnt lgkmcnt(0)
	v_add_f32_e32 v5, v5, v14
	s_or_b32 exec_lo, exec_lo, s0
	s_and_saveexec_b32 s0, vcc_lo
	s_cbranch_execz .LBB16_82
.LBB16_109:
	ds_read_b32 v14, v13 offset:320
	s_waitcnt lgkmcnt(0)
	v_add_f32_e32 v6, v6, v14
	s_or_b32 exec_lo, exec_lo, s0
	s_and_saveexec_b32 s0, vcc_lo
	s_cbranch_execz .LBB16_83
.LBB16_110:
	ds_read_b32 v14, v13 offset:384
	s_waitcnt lgkmcnt(0)
	v_add_f32_e32 v7, v7, v14
	s_or_b32 exec_lo, exec_lo, s0
	s_and_saveexec_b32 s0, vcc_lo
	s_cbranch_execz .LBB16_84
.LBB16_111:
	ds_read_b32 v14, v13 offset:448
	s_waitcnt lgkmcnt(0)
	v_add_f32_e32 v8, v8, v14
	s_or_b32 exec_lo, exec_lo, s0
	s_and_saveexec_b32 s0, vcc_lo
	s_cbranch_execz .LBB16_85
.LBB16_112:
	ds_read_b32 v14, v13 offset:512
	s_waitcnt lgkmcnt(0)
	v_add_f32_e32 v9, v9, v14
	s_or_b32 exec_lo, exec_lo, s0
	s_and_saveexec_b32 s0, vcc_lo
	s_cbranch_execz .LBB16_86
.LBB16_113:
	ds_read_b32 v14, v13 offset:576
	s_waitcnt lgkmcnt(0)
	v_add_f32_e32 v10, v10, v14
	s_or_b32 exec_lo, exec_lo, s0
	s_and_saveexec_b32 s0, vcc_lo
	s_cbranch_execz .LBB16_87
.LBB16_114:
	ds_read_b32 v14, v13 offset:640
	s_waitcnt lgkmcnt(0)
	v_add_f32_e32 v11, v11, v14
	s_or_b32 exec_lo, exec_lo, s0
	s_and_saveexec_b32 s0, vcc_lo
	s_cbranch_execnz .LBB16_88
	s_branch .LBB16_89
	.section	.rodata,"a",@progbits
	.p2align	6, 0x0
	.amdhsa_kernel _ZN4vllm25paged_attention_v1_kernelIffLi192ELi8ELi128ELNS_18Fp8KVCacheDataTypeE0ELb0EEEvPT_PKS2_PKT0_S8_ifPKiSA_iPKfiiiSC_SC_iiiii
		.amdhsa_group_segment_fixed_size 800
		.amdhsa_private_segment_fixed_size 0
		.amdhsa_kernarg_size 384
		.amdhsa_user_sgpr_count 6
		.amdhsa_user_sgpr_private_segment_buffer 1
		.amdhsa_user_sgpr_dispatch_ptr 0
		.amdhsa_user_sgpr_queue_ptr 0
		.amdhsa_user_sgpr_kernarg_segment_ptr 1
		.amdhsa_user_sgpr_dispatch_id 0
		.amdhsa_user_sgpr_flat_scratch_init 0
		.amdhsa_user_sgpr_private_segment_size 0
		.amdhsa_wavefront_size32 1
		.amdhsa_uses_dynamic_stack 0
		.amdhsa_system_sgpr_private_segment_wavefront_offset 0
		.amdhsa_system_sgpr_workgroup_id_x 1
		.amdhsa_system_sgpr_workgroup_id_y 1
		.amdhsa_system_sgpr_workgroup_id_z 1
		.amdhsa_system_sgpr_workgroup_info 0
		.amdhsa_system_vgpr_workitem_id 0
		.amdhsa_next_free_vgpr 114
		.amdhsa_next_free_sgpr 27
		.amdhsa_reserve_vcc 1
		.amdhsa_reserve_flat_scratch 0
		.amdhsa_float_round_mode_32 0
		.amdhsa_float_round_mode_16_64 0
		.amdhsa_float_denorm_mode_32 3
		.amdhsa_float_denorm_mode_16_64 3
		.amdhsa_dx10_clamp 1
		.amdhsa_ieee_mode 1
		.amdhsa_fp16_overflow 0
		.amdhsa_workgroup_processor_mode 1
		.amdhsa_memory_ordered 1
		.amdhsa_forward_progress 1
		.amdhsa_shared_vgpr_count 0
		.amdhsa_exception_fp_ieee_invalid_op 0
		.amdhsa_exception_fp_denorm_src 0
		.amdhsa_exception_fp_ieee_div_zero 0
		.amdhsa_exception_fp_ieee_overflow 0
		.amdhsa_exception_fp_ieee_underflow 0
		.amdhsa_exception_fp_ieee_inexact 0
		.amdhsa_exception_int_div_zero 0
	.end_amdhsa_kernel
	.section	.text._ZN4vllm25paged_attention_v1_kernelIffLi192ELi8ELi128ELNS_18Fp8KVCacheDataTypeE0ELb0EEEvPT_PKS2_PKT0_S8_ifPKiSA_iPKfiiiSC_SC_iiiii,"axG",@progbits,_ZN4vllm25paged_attention_v1_kernelIffLi192ELi8ELi128ELNS_18Fp8KVCacheDataTypeE0ELb0EEEvPT_PKS2_PKT0_S8_ifPKiSA_iPKfiiiSC_SC_iiiii,comdat
.Lfunc_end16:
	.size	_ZN4vllm25paged_attention_v1_kernelIffLi192ELi8ELi128ELNS_18Fp8KVCacheDataTypeE0ELb0EEEvPT_PKS2_PKT0_S8_ifPKiSA_iPKfiiiSC_SC_iiiii, .Lfunc_end16-_ZN4vllm25paged_attention_v1_kernelIffLi192ELi8ELi128ELNS_18Fp8KVCacheDataTypeE0ELb0EEEvPT_PKS2_PKT0_S8_ifPKiSA_iPKfiiiSC_SC_iiiii
                                        ; -- End function
	.set _ZN4vllm25paged_attention_v1_kernelIffLi192ELi8ELi128ELNS_18Fp8KVCacheDataTypeE0ELb0EEEvPT_PKS2_PKT0_S8_ifPKiSA_iPKfiiiSC_SC_iiiii.num_vgpr, 114
	.set _ZN4vllm25paged_attention_v1_kernelIffLi192ELi8ELi128ELNS_18Fp8KVCacheDataTypeE0ELb0EEEvPT_PKS2_PKT0_S8_ifPKiSA_iPKfiiiSC_SC_iiiii.num_agpr, 0
	.set _ZN4vllm25paged_attention_v1_kernelIffLi192ELi8ELi128ELNS_18Fp8KVCacheDataTypeE0ELb0EEEvPT_PKS2_PKT0_S8_ifPKiSA_iPKfiiiSC_SC_iiiii.numbered_sgpr, 27
	.set _ZN4vllm25paged_attention_v1_kernelIffLi192ELi8ELi128ELNS_18Fp8KVCacheDataTypeE0ELb0EEEvPT_PKS2_PKT0_S8_ifPKiSA_iPKfiiiSC_SC_iiiii.num_named_barrier, 0
	.set _ZN4vllm25paged_attention_v1_kernelIffLi192ELi8ELi128ELNS_18Fp8KVCacheDataTypeE0ELb0EEEvPT_PKS2_PKT0_S8_ifPKiSA_iPKfiiiSC_SC_iiiii.private_seg_size, 0
	.set _ZN4vllm25paged_attention_v1_kernelIffLi192ELi8ELi128ELNS_18Fp8KVCacheDataTypeE0ELb0EEEvPT_PKS2_PKT0_S8_ifPKiSA_iPKfiiiSC_SC_iiiii.uses_vcc, 1
	.set _ZN4vllm25paged_attention_v1_kernelIffLi192ELi8ELi128ELNS_18Fp8KVCacheDataTypeE0ELb0EEEvPT_PKS2_PKT0_S8_ifPKiSA_iPKfiiiSC_SC_iiiii.uses_flat_scratch, 0
	.set _ZN4vllm25paged_attention_v1_kernelIffLi192ELi8ELi128ELNS_18Fp8KVCacheDataTypeE0ELb0EEEvPT_PKS2_PKT0_S8_ifPKiSA_iPKfiiiSC_SC_iiiii.has_dyn_sized_stack, 0
	.set _ZN4vllm25paged_attention_v1_kernelIffLi192ELi8ELi128ELNS_18Fp8KVCacheDataTypeE0ELb0EEEvPT_PKS2_PKT0_S8_ifPKiSA_iPKfiiiSC_SC_iiiii.has_recursion, 0
	.set _ZN4vllm25paged_attention_v1_kernelIffLi192ELi8ELi128ELNS_18Fp8KVCacheDataTypeE0ELb0EEEvPT_PKS2_PKT0_S8_ifPKiSA_iPKfiiiSC_SC_iiiii.has_indirect_call, 0
	.section	.AMDGPU.csdata,"",@progbits
; Kernel info:
; codeLenInByte = 6468
; TotalNumSgprs: 29
; NumVgprs: 114
; ScratchSize: 0
; MemoryBound: 0
; FloatMode: 240
; IeeeMode: 1
; LDSByteSize: 800 bytes/workgroup (compile time only)
; SGPRBlocks: 0
; VGPRBlocks: 14
; NumSGPRsForWavesPerEU: 29
; NumVGPRsForWavesPerEU: 114
; Occupancy: 8
; WaveLimiterHint : 1
; COMPUTE_PGM_RSRC2:SCRATCH_EN: 0
; COMPUTE_PGM_RSRC2:USER_SGPR: 6
; COMPUTE_PGM_RSRC2:TRAP_HANDLER: 0
; COMPUTE_PGM_RSRC2:TGID_X_EN: 1
; COMPUTE_PGM_RSRC2:TGID_Y_EN: 1
; COMPUTE_PGM_RSRC2:TGID_Z_EN: 1
; COMPUTE_PGM_RSRC2:TIDIG_COMP_CNT: 0
	.section	.text._ZN4vllm25paged_attention_v1_kernelIffLi256ELi8ELi128ELNS_18Fp8KVCacheDataTypeE0ELb0EEEvPT_PKS2_PKT0_S8_ifPKiSA_iPKfiiiSC_SC_iiiii,"axG",@progbits,_ZN4vllm25paged_attention_v1_kernelIffLi256ELi8ELi128ELNS_18Fp8KVCacheDataTypeE0ELb0EEEvPT_PKS2_PKT0_S8_ifPKiSA_iPKfiiiSC_SC_iiiii,comdat
	.protected	_ZN4vllm25paged_attention_v1_kernelIffLi256ELi8ELi128ELNS_18Fp8KVCacheDataTypeE0ELb0EEEvPT_PKS2_PKT0_S8_ifPKiSA_iPKfiiiSC_SC_iiiii ; -- Begin function _ZN4vllm25paged_attention_v1_kernelIffLi256ELi8ELi128ELNS_18Fp8KVCacheDataTypeE0ELb0EEEvPT_PKS2_PKT0_S8_ifPKiSA_iPKfiiiSC_SC_iiiii
	.globl	_ZN4vllm25paged_attention_v1_kernelIffLi256ELi8ELi128ELNS_18Fp8KVCacheDataTypeE0ELb0EEEvPT_PKS2_PKT0_S8_ifPKiSA_iPKfiiiSC_SC_iiiii
	.p2align	8
	.type	_ZN4vllm25paged_attention_v1_kernelIffLi256ELi8ELi128ELNS_18Fp8KVCacheDataTypeE0ELb0EEEvPT_PKS2_PKT0_S8_ifPKiSA_iPKfiiiSC_SC_iiiii,@function
_ZN4vllm25paged_attention_v1_kernelIffLi256ELi8ELi128ELNS_18Fp8KVCacheDataTypeE0ELb0EEEvPT_PKS2_PKT0_S8_ifPKiSA_iPKfiiiSC_SC_iiiii: ; @_ZN4vllm25paged_attention_v1_kernelIffLi256ELi8ELi128ELNS_18Fp8KVCacheDataTypeE0ELb0EEEvPT_PKS2_PKT0_S8_ifPKiSA_iPKfiiiSC_SC_iiiii
; %bb.0:
	s_mov_b64 s[30:31], s[2:3]
	s_mov_b64 s[28:29], s[0:1]
	s_mov_b32 s10, s7
	s_add_u32 s28, s28, s9
	s_clause 0x2
	s_load_dword s9, s[4:5], 0x80
	s_load_dwordx2 s[0:1], s[4:5], 0x30
	s_load_dwordx2 s[24:25], s[4:5], 0x20
	s_addc_u32 s29, s29, 0
	s_ashr_i32 s11, s7, 31
	v_mov_b32_e32 v71, v0
	s_lshl_b64 s[2:3], s[10:11], 2
	s_mov_b32 s26, 0
	s_waitcnt lgkmcnt(0)
	s_add_u32 s0, s0, s2
	s_addc_u32 s1, s1, s3
	s_abs_i32 s2, s24
	s_abs_i32 s11, s9
	v_cvt_f32_u32_e32 v0, s2
	s_sub_i32 s7, 0, s2
	v_rcp_iflag_f32_e32 v0, v0
	v_mul_f32_e32 v0, 0x4f7ffffe, v0
	v_cvt_u32_f32_e32 v0, v0
	v_readfirstlane_b32 s3, v0
	s_mul_i32 s7, s7, s3
	s_mul_hi_u32 s7, s3, s7
	s_add_i32 s3, s3, s7
	s_xor_b32 s7, s9, s24
	s_mul_hi_u32 s3, s11, s3
	s_ashr_i32 s7, s7, 31
	s_mul_i32 s12, s3, s2
	s_sub_i32 s11, s11, s12
	s_add_i32 s12, s3, 1
	s_sub_i32 s13, s11, s2
	s_cmp_ge_u32 s11, s2
	s_cselect_b32 s3, s12, s3
	s_cselect_b32 s11, s13, s11
	s_add_i32 s12, s3, 1
	s_cmp_ge_u32 s11, s2
	s_cselect_b32 s2, s12, s3
	s_abs_i32 s17, s6
	s_xor_b32 s2, s2, s7
	s_sub_i32 s18, s2, s7
	s_load_dwordx2 s[2:3], s[4:5], 0x40
	s_abs_i32 s16, s18
	v_cvt_f32_u32_e32 v0, s16
	s_sub_i32 s11, 0, s16
	v_rcp_iflag_f32_e32 v0, v0
	v_mul_f32_e32 v0, 0x4f7ffffe, v0
	v_cvt_u32_f32_e32 v0, v0
	v_readfirstlane_b32 s7, v0
	s_mul_i32 s11, s11, s7
	s_mul_hi_u32 s11, s7, s11
	s_add_i32 s7, s7, s11
	s_waitcnt lgkmcnt(0)
	s_cmp_eq_u64 s[2:3], 0
	s_mul_hi_u32 s20, s17, s7
	s_cbranch_scc1 .LBB17_2
; %bb.1:
	s_ashr_i32 s7, s6, 31
	s_lshl_b64 s[12:13], s[6:7], 2
	s_add_u32 s2, s2, s12
	s_addc_u32 s3, s3, s13
	s_load_dword s26, s[2:3], 0x0
.LBB17_2:
	s_load_dword s24, s[0:1], 0x0
	s_clause 0x1
	s_load_dword s11, s[4:5], 0x88
	s_load_dwordx4 s[12:15], s[4:5], 0x48
	v_and_b32_e32 v41, 3, v71
	v_lshlrev_b32_e32 v12, 2, v71
	s_ashr_i32 s2, s6, 31
	s_ashr_i32 s3, s18, 31
	s_lshl_b32 s6, s6, 8
	s_waitcnt lgkmcnt(0)
	s_mov_b32 s15, exec_lo
	v_cmpx_gt_u32_e32 0x100, v71
	s_cbranch_execz .LBB17_5
; %bb.3:
	s_load_dwordx2 s[0:1], s[4:5], 0x8
	s_mul_i32 s18, s12, s10
	v_and_b32_e32 v1, 0x3fc, v71
	s_ashr_i32 s19, s18, 31
	v_cmp_gt_u32_e32 vcc_lo, 0x80, v71
	s_lshl_b64 s[18:19], s[18:19], 2
	v_lshl_add_u32 v1, v41, 8, v1
	s_waitcnt lgkmcnt(0)
	s_add_u32 s12, s0, s18
	s_addc_u32 s18, s1, s19
	s_ashr_i32 s7, s6, 31
	s_lshl_b64 s[0:1], s[6:7], 2
	s_add_u32 s0, s12, s0
	s_addc_u32 s1, s18, s1
	global_load_dword v0, v12, s[0:1]
	s_waitcnt vmcnt(0)
	ds_write_b32 v1, v0
	s_and_b32 exec_lo, exec_lo, vcc_lo
	s_cbranch_execz .LBB17_5
; %bb.4:
	v_lshrrev_b32_e32 v0, 2, v71
	v_lshlrev_b32_e32 v2, 2, v41
	v_lshlrev_b32_e32 v0, 4, v0
	v_or3_b32 v0, v0, v2, 0x200
	global_load_dword v0, v0, s[0:1]
	s_waitcnt vmcnt(0)
	ds_write_b32 v1, v0 offset:128
.LBB17_5:
	s_or_b32 exec_lo, exec_lo, s15
	s_add_i32 s0, s24, 7
	s_clause 0x1
	s_load_dwordx2 s[18:19], s[4:5], 0x28
	s_load_dword s12, s[4:5], 0x38
	s_ashr_i32 s1, s0, 31
	s_xor_b32 s2, s2, s3
	s_lshr_b32 s1, s1, 29
	v_lshrrev_b32_e32 v99, 5, v71
	s_add_i32 s0, s0, s1
	s_mul_i32 s1, s20, s16
	s_ashr_i32 s7, s0, 3
	s_sub_i32 s0, s17, s1
	s_add_i32 s1, s20, 1
	s_sub_i32 s3, s0, s16
	s_cmp_ge_u32 s0, s16
	v_mbcnt_lo_u32_b32 v38, -1, 0
	s_cselect_b32 s1, s1, s20
	s_cselect_b32 s0, s3, s0
	s_add_i32 s3, s1, 1
	s_cmp_ge_u32 s0, s16
	s_waitcnt lgkmcnt(0)
	s_cselect_b32 s0, s3, s1
	s_barrier
	s_xor_b32 s0, s0, s2
	s_mul_i32 s20, s12, s10
	s_sub_i32 s1, s0, s2
	v_cmp_gt_i32_e64 s0, s7, v99
	s_ashr_i32 s21, s20, 31
	s_mov_b32 s2, exec_lo
	buffer_gl0_inv
                                        ; implicit-def: $vgpr9
                                        ; implicit-def: $vgpr10
	v_cmpx_le_i32_e64 s7, v99
	s_xor_b32 s2, exec_lo, s2
; %bb.6:
	v_mov_b32_e32 v9, 0
	v_mbcnt_lo_u32_b32 v38, -1, 0
	v_mov_b32_e32 v10, 32
                                        ; implicit-def: $vgpr41
; %bb.7:
	s_or_saveexec_b32 s12, s2
	s_clause 0x1
	s_load_dwordx2 s[16:17], s[4:5], 0x0
	s_load_dwordx2 s[22:23], s[4:5], 0x18
	v_mov_b32_e32 v0, 0xff7fffff
	v_lshrrev_b32_e32 v67, 3, v71
	s_mul_i32 s14, s1, s14
	s_xor_b32 exec_lo, exec_lo, s12
	s_cbranch_execz .LBB17_13
; %bb.8:
	s_load_dwordx2 s[2:3], s[4:5], 0x10
	v_bfe_u32 v65, v71, 2, 3
	s_ashr_i32 s15, s14, 31
	v_lshlrev_b32_e32 v33, 2, v41
	s_lshl_b64 s[4:5], s[14:15], 2
	v_lshlrev_b32_e32 v61, 8, v41
	v_lshlrev_b32_e32 v25, 4, v65
	v_xor_b32_e32 v34, 2, v38
	buffer_store_dword v12, off, s[28:31], 0 offset:52 ; 4-byte Folded Spill
	buffer_store_dword v71, off, s[28:31], 0 offset:44 ; 4-byte Folded Spill
	v_xor_b32_e32 v35, 1, v38
	ds_read_b128 v[85:88], v61
	ds_read_b128 v[5:8], v61 offset:16
	ds_read_b128 v[9:12], v61 offset:32
	;; [unrolled: 1-line block ×5, first 2 shown]
	v_lshlrev_b32_e32 v66, 2, v65
	v_lshl_or_b32 v78, v99, 3, v65
	v_and_b32_e32 v65, 0x7c, v67
	v_mov_b32_e32 v80, v99
	s_mov_b32 s15, s13
	v_lshl_or_b32 v66, v99, 5, v66
	s_waitcnt lgkmcnt(0)
	s_add_u32 s1, s2, s4
	s_addc_u32 s2, s3, s5
	v_add_co_u32 v36, s1, s1, v25
	v_add_co_ci_u32_e64 v37, null, s2, 0, s1
	ds_read_b128 v[25:28], v61 offset:96
	ds_read_b128 v[29:32], v61 offset:112
	v_add_co_u32 v0, vcc_lo, v36, v33
	buffer_store_dword v38, off, s[28:31], 0 offset:60 ; 4-byte Folded Spill
	s_lshl_b64 s[2:3], s[20:21], 2
	s_sub_i32 s4, 1, s24
	buffer_store_dword v0, off, s[28:31], 0 offset:28 ; 4-byte Folded Spill
	v_add_co_ci_u32_e64 v0, null, 0, v37, vcc_lo
	v_cmp_gt_i32_e32 vcc_lo, 32, v34
	s_add_u32 s2, s18, s2
	s_addc_u32 s3, s19, s3
	buffer_store_dword v0, off, s[28:31], 0 offset:32 ; 4-byte Folded Spill
	v_add_co_u32 v65, s2, s2, v65
	v_cndmask_b32_e32 v42, v38, v34, vcc_lo
	v_cmp_gt_i32_e32 vcc_lo, 32, v35
	v_cmp_neq_f32_e64 s1, s26, 0
	v_add_nc_u32_e32 v79, 0x420, v66
	v_add_co_ci_u32_e64 v66, null, s3, 0, s2
	v_cndmask_b32_e32 v43, v38, v35, vcc_lo
	v_lshlrev_b32_e32 v0, 2, v42
	ds_read_b128 v[33:36], v61 offset:128
	ds_read_b128 v[37:40], v61 offset:144
	v_cmp_eq_u32_e32 vcc_lo, 0, v41
	s_mov_b32 s5, 0
	buffer_store_dword v0, off, s[28:31], 0 offset:36 ; 4-byte Folded Spill
	v_lshlrev_b32_e32 v0, 2, v43
	buffer_store_dword v0, off, s[28:31], 0 offset:40 ; 4-byte Folded Spill
	ds_read_b128 v[41:44], v61 offset:160
	ds_read_b128 v[45:48], v61 offset:176
	;; [unrolled: 1-line block ×6, first 2 shown]
	v_mov_b32_e32 v0, 0xff7fffff
	buffer_store_dword v67, off, s[28:31], 0 offset:56 ; 4-byte Folded Spill
	buffer_store_dword v0, off, s[28:31], 0 offset:24 ; 4-byte Folded Spill
	;; [unrolled: 1-line block ×3, first 2 shown]
	s_branch .LBB17_10
.LBB17_9:                               ;   in Loop: Header=BB17_10 Depth=1
	s_or_b32 exec_lo, exec_lo, s3
	v_add_nc_u32_e32 v80, 4, v80
	v_add_co_u32 v65, s3, v65, 16
	v_add_nc_u32_e32 v78, 32, v78
	v_add_nc_u32_e32 v79, 0x80, v79
	v_cmp_le_i32_e64 s2, s7, v80
	v_add_co_ci_u32_e64 v66, null, 0, v66, s3
	s_or_b32 s5, s2, s5
	s_andn2_b32 exec_lo, exec_lo, s5
	s_cbranch_execz .LBB17_12
.LBB17_10:                              ; =>This Inner Loop Header: Depth=1
	global_load_dword v67, v[65:66], off
	buffer_load_dword v0, off, s[28:31], 0 offset:28 ; 4-byte Folded Reload
	s_waitcnt vmcnt(1) lgkmcnt(0)
	v_mad_i64_i32 v[81:82], null, v67, s15, 0
	v_lshlrev_b64 v[81:82], 2, v[81:82]
	s_waitcnt vmcnt(0)
	v_add_co_u32 v70, s2, v0, v81
	buffer_load_dword v0, off, s[28:31], 0 offset:32 ; 4-byte Folded Reload
	s_waitcnt vmcnt(0)
	v_add_co_ci_u32_e64 v71, null, v0, v82, s2
	v_add_co_u32 v113, s2, 0x800, v70
	s_clause 0xa
	global_load_dword v94, v[70:71], off
	global_load_dword v96, v[70:71], off offset:128
	global_load_dword v95, v[70:71], off offset:256
	;; [unrolled: 1-line block ×10, first 2 shown]
	v_add_co_ci_u32_e64 v114, null, 0, v71, s2
	v_add_co_u32 v115, s2, v70, 0x1000
	v_add_co_ci_u32_e64 v116, null, 0, v71, s2
	v_add_co_u32 v68, s2, 0x1000, v70
	v_add_co_ci_u32_e64 v69, null, 0, v71, s2
	s_waitcnt vmcnt(0)
	buffer_store_dword v0, off, s[28:31], 0 offset:20 ; 4-byte Folded Spill
	global_load_dword v0, v[70:71], off offset:1408
	s_waitcnt vmcnt(0)
	buffer_store_dword v0, off, s[28:31], 0 offset:16 ; 4-byte Folded Spill
	global_load_dword v0, v[70:71], off offset:1536
	;; [unrolled: 3-line block ×5, first 2 shown]
	s_waitcnt vmcnt(0)
	buffer_store_dword v0, off, s[28:31], 0 ; 4-byte Folded Spill
	s_clause 0x1f
	global_load_dword v112, v[115:116], off offset:-2048
	global_load_dword v111, v[113:114], off offset:128
	global_load_dword v110, v[113:114], off offset:256
	;; [unrolled: 1-line block ×15, first 2 shown]
	global_load_dword v67, v[115:116], off
	global_load_dword v127, v[68:69], off offset:128
	global_load_dword v126, v[68:69], off offset:256
	global_load_dword v125, v[68:69], off offset:384
	global_load_dword v124, v[68:69], off offset:512
	global_load_dword v123, v[68:69], off offset:640
	global_load_dword v122, v[68:69], off offset:768
	global_load_dword v121, v[68:69], off offset:896
	global_load_dword v120, v[68:69], off offset:1024
	global_load_dword v119, v[68:69], off offset:1152
	global_load_dword v118, v[68:69], off offset:1280
	global_load_dword v117, v[68:69], off offset:1408
	global_load_dword v116, v[68:69], off offset:1536
	global_load_dword v115, v[68:69], off offset:1664
	global_load_dword v114, v[68:69], off offset:1792
	global_load_dword v113, v[68:69], off offset:1920
	v_add_co_u32 v68, s2, 0x1800, v70
	v_add_co_ci_u32_e64 v69, null, 0, v71, s2
	s_clause 0xf
	global_load_dword v70, v[68:69], off
	global_load_dword v71, v[68:69], off offset:128
	global_load_dword v73, v[68:69], off offset:256
	;; [unrolled: 1-line block ×15, first 2 shown]
	v_mul_f32_e32 v69, v86, v96
	v_fmac_f32_e32 v69, v85, v94
	v_fmac_f32_e32 v69, v87, v95
	;; [unrolled: 1-line block ×8, first 2 shown]
	buffer_load_dword v81, off, s[28:31], 0 offset:20 ; 4-byte Folded Reload
	v_fmac_f32_e32 v69, v10, v82
	s_waitcnt vmcnt(0)
	v_fmac_f32_e32 v69, v11, v81
	buffer_load_dword v81, off, s[28:31], 0 offset:16 ; 4-byte Folded Reload
	s_waitcnt vmcnt(0)
	v_fmac_f32_e32 v69, v12, v81
	buffer_load_dword v81, off, s[28:31], 0 offset:12 ; 4-byte Folded Reload
	;; [unrolled: 3-line block ×4, first 2 shown]
	s_waitcnt vmcnt(0)
	v_fmac_f32_e32 v69, v15, v81
	buffer_load_dword v81, off, s[28:31], 0 ; 4-byte Folded Reload
	s_waitcnt vmcnt(0)
	v_fmac_f32_e32 v69, v16, v81
	v_fmac_f32_e32 v69, v17, v112
	;; [unrolled: 1-line block ×9, first 2 shown]
	s_waitcnt lgkmcnt(9)
	v_fmac_f32_e32 v69, v25, v104
	v_fmac_f32_e32 v69, v26, v103
	v_fmac_f32_e32 v69, v27, v102
	v_fmac_f32_e32 v69, v28, v101
	s_waitcnt lgkmcnt(8)
	v_fmac_f32_e32 v69, v29, v100
	v_fmac_f32_e32 v69, v30, v99
	v_fmac_f32_e32 v69, v31, v98
	v_fmac_f32_e32 v69, v32, v97
	s_waitcnt lgkmcnt(7)
	v_fmac_f32_e32 v69, v33, v67
	v_fmac_f32_e32 v69, v34, v127
	v_fmac_f32_e32 v69, v35, v126
	v_fmac_f32_e32 v69, v36, v125
	s_waitcnt lgkmcnt(6)
	v_fmac_f32_e32 v69, v37, v124
	v_fmac_f32_e32 v69, v38, v123
	v_fmac_f32_e32 v69, v39, v122
	v_fmac_f32_e32 v69, v40, v121
	s_waitcnt lgkmcnt(5)
	v_fmac_f32_e32 v69, v41, v120
	v_fmac_f32_e32 v69, v42, v119
	v_fmac_f32_e32 v69, v43, v118
	v_fmac_f32_e32 v69, v44, v117
	s_waitcnt lgkmcnt(4)
	v_fmac_f32_e32 v69, v45, v116
	v_fmac_f32_e32 v69, v46, v115
	v_fmac_f32_e32 v69, v47, v114
	v_fmac_f32_e32 v69, v48, v113
	s_waitcnt lgkmcnt(3)
	v_fmac_f32_e32 v69, v49, v70
	v_fmac_f32_e32 v69, v50, v71
	v_fmac_f32_e32 v69, v51, v73
	v_fmac_f32_e32 v69, v52, v0
	buffer_load_dword v0, off, s[28:31], 0 offset:36 ; 4-byte Folded Reload
	s_waitcnt lgkmcnt(2)
	v_fmac_f32_e32 v69, v53, v72
	v_fmac_f32_e32 v69, v54, v74
	v_fmac_f32_e32 v69, v55, v75
	v_fmac_f32_e32 v69, v56, v76
	s_waitcnt lgkmcnt(1)
	v_fmac_f32_e32 v69, v57, v77
	v_fmac_f32_e32 v69, v58, v1
	v_fmac_f32_e32 v69, v59, v2
	v_fmac_f32_e32 v69, v60, v3
	;; [unrolled: 5-line block ×3, first 2 shown]
	s_waitcnt vmcnt(0)
	ds_bpermute_b32 v0, v0, v69
	s_waitcnt lgkmcnt(0)
	v_add_f32_e32 v67, v69, v0
	buffer_load_dword v0, off, s[28:31], 0 offset:40 ; 4-byte Folded Reload
	s_waitcnt vmcnt(0)
	ds_bpermute_b32 v81, v0, v67
	s_and_saveexec_b32 s3, vcc_lo
	s_cbranch_execz .LBB17_9
; %bb.11:                               ;   in Loop: Header=BB17_10 Depth=1
	buffer_load_dword v3, off, s[28:31], 0 offset:24 ; 4-byte Folded Reload
	v_add_nc_u32_e32 v0, s4, v78
	s_waitcnt lgkmcnt(0)
	v_add_f32_e32 v1, v67, v81
	v_cmp_gt_i32_e64 s2, s24, v78
	v_cvt_f32_i32_e32 v0, v0
	v_mul_f32_e32 v0, s26, v0
	v_cndmask_b32_e64 v0, 0, v0, s1
	v_fmac_f32_e32 v0, s25, v1
	s_waitcnt vmcnt(0)
	v_max_f32_e32 v2, v3, v3
	v_max_f32_e32 v1, v2, v0
	v_cndmask_b32_e64 v0, 0, v0, s2
	v_cndmask_b32_e64 v3, v3, v1, s2
	ds_write_b32 v79, v0
	buffer_store_dword v3, off, s[28:31], 0 offset:24 ; 4-byte Folded Spill
	s_branch .LBB17_9
.LBB17_12:
	s_or_b32 exec_lo, exec_lo, s5
	s_clause 0x5
	buffer_load_dword v71, off, s[28:31], 0 offset:44
	buffer_load_dword v99, off, s[28:31], 0 offset:48
	;; [unrolled: 1-line block ×6, first 2 shown]
	v_mov_b32_e32 v9, 0
	v_mov_b32_e32 v10, 32
.LBB17_13:
	s_or_b32 exec_lo, exec_lo, s12
	s_waitcnt vmcnt(1)
	v_xor_b32_e32 v1, 16, v38
	v_xor_b32_e32 v3, 8, v38
	s_waitcnt vmcnt(0)
	v_max_f32_e32 v4, v0, v0
	v_xor_b32_e32 v5, 4, v38
	v_and_b32_e32 v72, 31, v71
	v_cmp_lt_i32_e32 vcc_lo, v1, v10
	v_cndmask_b32_e32 v1, v38, v1, vcc_lo
	v_cmp_lt_i32_e32 vcc_lo, v3, v10
	v_lshlrev_b32_e32 v2, 2, v1
	v_cndmask_b32_e32 v3, v38, v3, vcc_lo
	v_cmp_lt_i32_e32 vcc_lo, v5, v10
	ds_bpermute_b32 v1, v2, v0
	v_lshlrev_b32_e32 v3, 2, v3
	v_cndmask_b32_e32 v5, v38, v5, vcc_lo
	v_cmp_eq_u32_e32 vcc_lo, 0, v72
	v_lshlrev_b32_e32 v6, 2, v5
	s_waitcnt lgkmcnt(0)
	v_max_f32_e32 v1, v1, v1
	v_max_f32_e32 v1, v4, v1
	ds_bpermute_b32 v4, v3, v1
	s_waitcnt lgkmcnt(0)
	v_max_f32_e32 v4, v4, v4
	v_max_f32_e32 v1, v1, v4
	v_lshlrev_b32_e32 v4, 2, v99
	ds_bpermute_b32 v5, v6, v1
	s_and_saveexec_b32 s1, vcc_lo
	s_cbranch_execz .LBB17_15
; %bb.14:
	s_waitcnt lgkmcnt(0)
	v_max_f32_e32 v0, v5, v5
	v_max_f32_e32 v1, v1, v1
	;; [unrolled: 1-line block ×3, first 2 shown]
	ds_write_b32 v4, v0 offset:1024
.LBB17_15:
	s_or_b32 exec_lo, exec_lo, s1
	v_cmp_gt_u32_e64 s1, 4, v72
	v_mov_b32_e32 v1, 0xff7fffff
	s_waitcnt lgkmcnt(0)
	v_lshlrev_b32_e32 v5, 2, v72
	s_waitcnt_vscnt null, 0x0
	s_barrier
	buffer_gl0_inv
	s_and_saveexec_b32 s2, s1
; %bb.16:
	ds_read_b32 v1, v5 offset:1024
; %bb.17:
	s_or_b32 exec_lo, exec_lo, s2
	v_xor_b32_e32 v0, 2, v38
	v_xor_b32_e32 v8, 1, v38
	v_cmp_lt_i32_e64 s2, v0, v10
	v_cndmask_b32_e64 v0, v38, v0, s2
	v_cmp_lt_i32_e64 s2, v8, v10
	v_lshlrev_b32_e32 v7, 2, v0
	v_cndmask_b32_e64 v8, v38, v8, s2
	s_lshl_b32 s2, s7, 3
	s_min_i32 s4, s2, s24
	s_waitcnt lgkmcnt(0)
	ds_bpermute_b32 v0, v7, v1
	v_max_f32_e32 v1, v1, v1
	v_lshlrev_b32_e32 v73, 2, v8
	v_cmp_gt_i32_e64 s2, s4, v71
	v_mov_b32_e32 v8, 0
	s_waitcnt lgkmcnt(0)
	v_max_f32_e32 v0, v0, v0
	v_max_f32_e32 v0, v1, v0
	ds_bpermute_b32 v1, v73, v0
	s_waitcnt lgkmcnt(0)
	v_max_f32_e32 v1, v1, v1
	v_max_f32_e32 v0, v0, v1
	v_lshlrev_b32_e32 v1, 2, v9
	ds_bpermute_b32 v9, v1, v0
	v_lshl_add_u32 v1, v71, 2, 0x420
	s_and_saveexec_b32 s5, s2
	s_cbranch_execz .LBB17_21
; %bb.18:
	v_lshl_add_u32 v10, v71, 2, 0x420
	v_mov_b32_e32 v8, 0
	v_mov_b32_e32 v11, v71
	s_mov_b32 s12, 0
	.p2align	6
.LBB17_19:                              ; =>This Inner Loop Header: Depth=1
	ds_read_b32 v0, v10
	v_add_nc_u32_e32 v11, 0x80, v11
	v_cmp_le_i32_e64 s3, s4, v11
	s_or_b32 s12, s3, s12
	s_waitcnt lgkmcnt(0)
	v_sub_f32_e32 v0, v0, v9
	v_mul_f32_e32 v0, 0x3fb8aa3b, v0
	v_exp_f32_e32 v0, v0
	ds_write_b32 v10, v0
	v_add_f32_e32 v8, v8, v0
	v_add_nc_u32_e32 v10, 0x200, v10
	s_andn2_b32 exec_lo, exec_lo, s12
	s_cbranch_execnz .LBB17_19
; %bb.20:
	s_or_b32 exec_lo, exec_lo, s12
.LBB17_21:
	s_or_b32 exec_lo, exec_lo, s5
	ds_bpermute_b32 v0, v2, v8
	s_waitcnt lgkmcnt(0)
	v_add_f32_e32 v0, v8, v0
	ds_bpermute_b32 v2, v3, v0
	s_waitcnt lgkmcnt(0)
	v_add_f32_e32 v0, v0, v2
	;; [unrolled: 3-line block ×5, first 2 shown]
	s_and_saveexec_b32 s3, vcc_lo
; %bb.22:
	ds_write_b32 v4, v2 offset:1040
; %bb.23:
	s_or_b32 exec_lo, exec_lo, s3
	s_waitcnt lgkmcnt(0)
	s_barrier
	buffer_gl0_inv
	s_and_saveexec_b32 s3, s1
; %bb.24:
	ds_read_b32 v2, v5 offset:1040
; %bb.25:
	s_or_b32 exec_lo, exec_lo, s3
	s_waitcnt lgkmcnt(0)
	ds_bpermute_b32 v0, v7, v2
	v_lshlrev_b32_e32 v3, 2, v38
	s_waitcnt lgkmcnt(0)
	v_add_f32_e32 v0, v2, v0
	ds_bpermute_b32 v2, v73, v0
	s_waitcnt lgkmcnt(0)
	v_add_f32_e32 v0, v0, v2
	v_and_b32_e32 v2, 0xffffff80, v3
	ds_bpermute_b32 v2, v2, v0
	s_and_saveexec_b32 s1, s2
	s_cbranch_execz .LBB17_28
; %bb.26:
	s_waitcnt lgkmcnt(0)
	v_add_f32_e32 v0, 0x358637bd, v2
	s_mov_b32 s2, 0
	v_div_scale_f32 v2, null, v0, v0, 1.0
	v_div_scale_f32 v5, vcc_lo, 1.0, v0, 1.0
	v_rcp_f32_e32 v3, v2
	v_fma_f32 v4, -v2, v3, 1.0
	v_fmac_f32_e32 v3, v4, v3
	v_mul_f32_e32 v4, v5, v3
	v_fma_f32 v6, -v2, v4, v5
	v_fmac_f32_e32 v4, v6, v3
	v_fma_f32 v2, -v2, v4, v5
	v_div_fmas_f32 v2, v2, v3, v4
	v_mov_b32_e32 v3, v71
	v_div_fixup_f32 v2, v2, v0, 1.0
.LBB17_27:                              ; =>This Inner Loop Header: Depth=1
	ds_read_b32 v0, v1
	v_add_nc_u32_e32 v3, 0x80, v3
	v_cmp_le_i32_e32 vcc_lo, s4, v3
	s_or_b32 s2, vcc_lo, s2
	s_waitcnt lgkmcnt(0)
	v_mul_f32_e32 v0, v2, v0
	ds_write_b32 v1, v0
	v_add_nc_u32_e32 v1, 0x200, v1
	s_andn2_b32 exec_lo, exec_lo, s2
	s_cbranch_execnz .LBB17_27
.LBB17_28:
	s_or_b32 exec_lo, exec_lo, s1
	v_mov_b32_e32 v88, 0
	v_and_b32_e32 v74, 1, v71
	v_mov_b32_e32 v90, 0
	v_mov_b32_e32 v89, 0
	;; [unrolled: 1-line block ×15, first 2 shown]
	s_waitcnt lgkmcnt(0)
	s_barrier
	buffer_gl0_inv
	s_and_saveexec_b32 s1, s0
	s_cbranch_execz .LBB17_64
; %bb.29:
	v_lshlrev_b32_e32 v1, 4, v71
	s_ashr_i32 s15, s14, 31
	v_and_b32_e32 v0, 4, v12
	v_lshlrev_b32_e32 v3, 3, v99
	s_lshl_b64 s[2:3], s[14:15], 2
	v_and_b32_e32 v1, 0x1f0, v1
	v_lshlrev_b32_e32 v2, 4, v74
	s_add_u32 s0, s22, s2
	v_or3_b32 v93, v3, v0, 3
	v_and_b32_e32 v0, 0x7c, v67
	s_addc_u32 s3, s23, s3
	v_add_co_u32 v91, s0, s0, v1
	s_lshl_b64 s[4:5], s[20:21], 2
	s_add_i32 s2, s7, -1
	v_lshl_or_b32 v2, v99, 5, v2
	v_add_co_ci_u32_e64 v92, null, s3, 0, s0
	s_add_u32 s0, s18, s4
	s_addc_u32 s3, s19, s5
	v_add_co_u32 v69, s0, s0, v0
	v_mov_b32_e32 v75, 0
	v_add_nc_u32_e32 v94, 0x420, v2
	v_add_co_ci_u32_e64 v70, null, s3, 0, s0
	v_mov_b32_e32 v76, 0
	v_mov_b32_e32 v77, 0
	;; [unrolled: 1-line block ×16, first 2 shown]
	s_mov_b32 s4, s13
	s_mov_b32 s3, 0
	s_branch .LBB17_31
.LBB17_30:                              ;   in Loop: Header=BB17_31 Depth=1
	s_or_b32 exec_lo, exec_lo, s0
	s_waitcnt vmcnt(1) lgkmcnt(0)
	v_mul_f32_e32 v0, v1, v65
	v_mul_f32_e32 v61, v1, v61
	;; [unrolled: 1-line block ×5, first 2 shown]
	v_fmac_f32_e32 v0, v2, v66
	v_mul_f32_e32 v41, v1, v41
	v_mul_f32_e32 v33, v1, v33
	;; [unrolled: 1-line block ×4, first 2 shown]
	v_fmac_f32_e32 v0, v3, v67
	v_mul_f32_e32 v21, v1, v21
	v_mul_f32_e32 v13, v1, v13
	;; [unrolled: 1-line block ×4, first 2 shown]
	v_fmac_f32_e32 v0, v4, v68
	v_fmac_f32_e32 v61, v2, v62
	;; [unrolled: 1-line block ×5, first 2 shown]
	v_add_f32_e32 v76, v76, v0
	v_mul_f32_e32 v0, v1, v37
	v_fmac_f32_e32 v41, v2, v42
	v_fmac_f32_e32 v33, v2, v34
	;; [unrolled: 1-line block ×19, first 2 shown]
	v_add_f32_e32 v82, v82, v0
	v_mul_f32_e32 v0, v1, v17
	s_waitcnt vmcnt(0)
	v_mul_f32_e32 v1, v1, v53
	v_fmac_f32_e32 v21, v3, v23
	v_fmac_f32_e32 v13, v3, v15
	;; [unrolled: 1-line block ×6, first 2 shown]
	v_add_nc_u32_e32 v95, 4, v95
	v_fmac_f32_e32 v61, v4, v64
	v_fmac_f32_e32 v0, v3, v19
	;; [unrolled: 1-line block ×16, first 2 shown]
	v_cmp_le_i32_e32 vcc_lo, s7, v95
	v_add_co_u32 v69, s0, v69, 16
	v_add_f32_e32 v77, v77, v61
	v_add_f32_e32 v78, v78, v57
	;; [unrolled: 1-line block ×14, first 2 shown]
	v_add_nc_u32_e32 v93, 32, v93
	v_add_nc_u32_e32 v94, 0x80, v94
	v_add_co_ci_u32_e64 v70, null, 0, v70, s0
	s_or_b32 s3, vcc_lo, s3
	s_andn2_b32 exec_lo, exec_lo, s3
	s_cbranch_execz .LBB17_63
.LBB17_31:                              ; =>This Inner Loop Header: Depth=1
	global_load_dword v0, v[69:70], off
	v_add_nc_u32_e32 v96, -3, v93
	v_add_nc_u32_e32 v98, -2, v93
	;; [unrolled: 1-line block ×3, first 2 shown]
	s_waitcnt vmcnt(0)
	v_mad_i64_i32 v[0:1], null, v0, s4, 0
	v_lshlrev_b64 v[0:1], 2, v[0:1]
	v_add_co_u32 v53, vcc_lo, v91, v0
	v_add_co_ci_u32_e64 v54, null, v92, v1, vcc_lo
	ds_read_b128 v[1:4], v94
	v_cmp_eq_u32_e32 vcc_lo, s2, v95
	global_load_dwordx4 v[5:8], v[53:54], off
	s_and_saveexec_b32 s5, vcc_lo
	s_cbranch_execnz .LBB17_50
; %bb.32:                               ;   in Loop: Header=BB17_31 Depth=1
	s_or_b32 exec_lo, exec_lo, s5
	global_load_dwordx4 v[9:12], v[53:54], off offset:512
	s_and_saveexec_b32 s5, vcc_lo
	s_cbranch_execnz .LBB17_51
.LBB17_33:                              ;   in Loop: Header=BB17_31 Depth=1
	s_or_b32 exec_lo, exec_lo, s5
	global_load_dwordx4 v[13:16], v[53:54], off offset:1024
	s_and_saveexec_b32 s5, vcc_lo
	s_cbranch_execnz .LBB17_52
.LBB17_34:                              ;   in Loop: Header=BB17_31 Depth=1
	s_or_b32 exec_lo, exec_lo, s5
	global_load_dwordx4 v[17:20], v[53:54], off offset:1536
	s_and_saveexec_b32 s5, vcc_lo
	s_cbranch_execz .LBB17_36
.LBB17_35:                              ;   in Loop: Header=BB17_31 Depth=1
	v_cmp_gt_i32_e64 s0, s24, v96
	s_waitcnt vmcnt(0)
	v_cndmask_b32_e64 v17, 0, v17, s0
	v_cmp_gt_i32_e64 s0, s24, v98
	v_cndmask_b32_e64 v18, 0, v18, s0
	v_cmp_gt_i32_e64 s0, s24, v97
	;; [unrolled: 2-line block ×3, first 2 shown]
	v_cndmask_b32_e64 v20, 0, v20, s0
.LBB17_36:                              ;   in Loop: Header=BB17_31 Depth=1
	s_or_b32 exec_lo, exec_lo, s5
	v_add_co_u32 v33, s0, 0x800, v53
	v_add_co_ci_u32_e64 v34, null, 0, v54, s0
	global_load_dwordx4 v[21:24], v[33:34], off
	s_and_saveexec_b32 s5, vcc_lo
	s_cbranch_execnz .LBB17_53
; %bb.37:                               ;   in Loop: Header=BB17_31 Depth=1
	s_or_b32 exec_lo, exec_lo, s5
	global_load_dwordx4 v[25:28], v[33:34], off offset:512
	s_and_saveexec_b32 s5, vcc_lo
	s_cbranch_execnz .LBB17_54
.LBB17_38:                              ;   in Loop: Header=BB17_31 Depth=1
	s_or_b32 exec_lo, exec_lo, s5
	global_load_dwordx4 v[29:32], v[33:34], off offset:1024
	s_and_saveexec_b32 s5, vcc_lo
	s_cbranch_execnz .LBB17_55
.LBB17_39:                              ;   in Loop: Header=BB17_31 Depth=1
	s_or_b32 exec_lo, exec_lo, s5
	global_load_dwordx4 v[33:36], v[33:34], off offset:1536
	s_and_saveexec_b32 s5, vcc_lo
	s_cbranch_execz .LBB17_41
.LBB17_40:                              ;   in Loop: Header=BB17_31 Depth=1
	v_cmp_gt_i32_e64 s0, s24, v96
	s_waitcnt vmcnt(0)
	v_cndmask_b32_e64 v33, 0, v33, s0
	v_cmp_gt_i32_e64 s0, s24, v98
	v_cndmask_b32_e64 v34, 0, v34, s0
	v_cmp_gt_i32_e64 s0, s24, v97
	;; [unrolled: 2-line block ×3, first 2 shown]
	v_cndmask_b32_e64 v36, 0, v36, s0
.LBB17_41:                              ;   in Loop: Header=BB17_31 Depth=1
	s_or_b32 exec_lo, exec_lo, s5
	v_add_co_u32 v49, s0, 0x1000, v53
	v_add_co_ci_u32_e64 v50, null, 0, v54, s0
	global_load_dwordx4 v[37:40], v[49:50], off
	s_and_saveexec_b32 s5, vcc_lo
	s_cbranch_execnz .LBB17_56
; %bb.42:                               ;   in Loop: Header=BB17_31 Depth=1
	s_or_b32 exec_lo, exec_lo, s5
	global_load_dwordx4 v[41:44], v[49:50], off offset:512
	s_and_saveexec_b32 s5, vcc_lo
	s_cbranch_execnz .LBB17_57
.LBB17_43:                              ;   in Loop: Header=BB17_31 Depth=1
	s_or_b32 exec_lo, exec_lo, s5
	global_load_dwordx4 v[45:48], v[49:50], off offset:1024
	s_and_saveexec_b32 s5, vcc_lo
	s_cbranch_execnz .LBB17_58
.LBB17_44:                              ;   in Loop: Header=BB17_31 Depth=1
	s_or_b32 exec_lo, exec_lo, s5
	global_load_dwordx4 v[49:52], v[49:50], off offset:1536
	s_and_saveexec_b32 s5, vcc_lo
	s_cbranch_execz .LBB17_46
.LBB17_45:                              ;   in Loop: Header=BB17_31 Depth=1
	v_cmp_gt_i32_e64 s0, s24, v96
	s_waitcnt vmcnt(0)
	v_cndmask_b32_e64 v49, 0, v49, s0
	v_cmp_gt_i32_e64 s0, s24, v98
	v_cndmask_b32_e64 v50, 0, v50, s0
	v_cmp_gt_i32_e64 s0, s24, v97
	;; [unrolled: 2-line block ×3, first 2 shown]
	v_cndmask_b32_e64 v52, 0, v52, s0
.LBB17_46:                              ;   in Loop: Header=BB17_31 Depth=1
	s_or_b32 exec_lo, exec_lo, s5
	v_add_co_u32 v53, s0, 0x1800, v53
	v_add_co_ci_u32_e64 v54, null, 0, v54, s0
	global_load_dwordx4 v[57:60], v[53:54], off
	s_and_saveexec_b32 s5, vcc_lo
	s_cbranch_execnz .LBB17_59
; %bb.47:                               ;   in Loop: Header=BB17_31 Depth=1
	s_or_b32 exec_lo, exec_lo, s5
	global_load_dwordx4 v[61:64], v[53:54], off offset:512
	s_and_saveexec_b32 s5, vcc_lo
	s_cbranch_execnz .LBB17_60
.LBB17_48:                              ;   in Loop: Header=BB17_31 Depth=1
	s_or_b32 exec_lo, exec_lo, s5
	global_load_dwordx4 v[65:68], v[53:54], off offset:1024
	s_and_saveexec_b32 s5, vcc_lo
	s_cbranch_execnz .LBB17_61
.LBB17_49:                              ;   in Loop: Header=BB17_31 Depth=1
	s_or_b32 exec_lo, exec_lo, s5
	global_load_dwordx4 v[53:56], v[53:54], off offset:1536
	s_and_saveexec_b32 s0, vcc_lo
	s_cbranch_execz .LBB17_30
	s_branch .LBB17_62
.LBB17_50:                              ;   in Loop: Header=BB17_31 Depth=1
	v_cmp_gt_i32_e64 s0, s24, v96
	s_waitcnt vmcnt(0)
	v_cndmask_b32_e64 v5, 0, v5, s0
	v_cmp_gt_i32_e64 s0, s24, v98
	v_cndmask_b32_e64 v6, 0, v6, s0
	v_cmp_gt_i32_e64 s0, s24, v97
	;; [unrolled: 2-line block ×3, first 2 shown]
	v_cndmask_b32_e64 v8, 0, v8, s0
	s_or_b32 exec_lo, exec_lo, s5
	global_load_dwordx4 v[9:12], v[53:54], off offset:512
	s_and_saveexec_b32 s5, vcc_lo
	s_cbranch_execz .LBB17_33
.LBB17_51:                              ;   in Loop: Header=BB17_31 Depth=1
	v_cmp_gt_i32_e64 s0, s24, v96
	s_waitcnt vmcnt(0)
	v_cndmask_b32_e64 v9, 0, v9, s0
	v_cmp_gt_i32_e64 s0, s24, v98
	v_cndmask_b32_e64 v10, 0, v10, s0
	v_cmp_gt_i32_e64 s0, s24, v97
	;; [unrolled: 2-line block ×3, first 2 shown]
	v_cndmask_b32_e64 v12, 0, v12, s0
	s_or_b32 exec_lo, exec_lo, s5
	global_load_dwordx4 v[13:16], v[53:54], off offset:1024
	s_and_saveexec_b32 s5, vcc_lo
	s_cbranch_execz .LBB17_34
.LBB17_52:                              ;   in Loop: Header=BB17_31 Depth=1
	v_cmp_gt_i32_e64 s0, s24, v96
	s_waitcnt vmcnt(0)
	v_cndmask_b32_e64 v13, 0, v13, s0
	v_cmp_gt_i32_e64 s0, s24, v98
	v_cndmask_b32_e64 v14, 0, v14, s0
	v_cmp_gt_i32_e64 s0, s24, v97
	;; [unrolled: 2-line block ×3, first 2 shown]
	v_cndmask_b32_e64 v16, 0, v16, s0
	s_or_b32 exec_lo, exec_lo, s5
	global_load_dwordx4 v[17:20], v[53:54], off offset:1536
	s_and_saveexec_b32 s5, vcc_lo
	s_cbranch_execnz .LBB17_35
	s_branch .LBB17_36
.LBB17_53:                              ;   in Loop: Header=BB17_31 Depth=1
	v_cmp_gt_i32_e64 s0, s24, v96
	s_waitcnt vmcnt(0)
	v_cndmask_b32_e64 v21, 0, v21, s0
	v_cmp_gt_i32_e64 s0, s24, v98
	v_cndmask_b32_e64 v22, 0, v22, s0
	v_cmp_gt_i32_e64 s0, s24, v97
	;; [unrolled: 2-line block ×3, first 2 shown]
	v_cndmask_b32_e64 v24, 0, v24, s0
	s_or_b32 exec_lo, exec_lo, s5
	global_load_dwordx4 v[25:28], v[33:34], off offset:512
	s_and_saveexec_b32 s5, vcc_lo
	s_cbranch_execz .LBB17_38
.LBB17_54:                              ;   in Loop: Header=BB17_31 Depth=1
	v_cmp_gt_i32_e64 s0, s24, v96
	s_waitcnt vmcnt(0)
	v_cndmask_b32_e64 v25, 0, v25, s0
	v_cmp_gt_i32_e64 s0, s24, v98
	v_cndmask_b32_e64 v26, 0, v26, s0
	v_cmp_gt_i32_e64 s0, s24, v97
	;; [unrolled: 2-line block ×3, first 2 shown]
	v_cndmask_b32_e64 v28, 0, v28, s0
	s_or_b32 exec_lo, exec_lo, s5
	global_load_dwordx4 v[29:32], v[33:34], off offset:1024
	s_and_saveexec_b32 s5, vcc_lo
	s_cbranch_execz .LBB17_39
.LBB17_55:                              ;   in Loop: Header=BB17_31 Depth=1
	v_cmp_gt_i32_e64 s0, s24, v96
	s_waitcnt vmcnt(0)
	v_cndmask_b32_e64 v29, 0, v29, s0
	v_cmp_gt_i32_e64 s0, s24, v98
	v_cndmask_b32_e64 v30, 0, v30, s0
	v_cmp_gt_i32_e64 s0, s24, v97
	;; [unrolled: 2-line block ×3, first 2 shown]
	v_cndmask_b32_e64 v32, 0, v32, s0
	s_or_b32 exec_lo, exec_lo, s5
	global_load_dwordx4 v[33:36], v[33:34], off offset:1536
	s_and_saveexec_b32 s5, vcc_lo
	s_cbranch_execnz .LBB17_40
	s_branch .LBB17_41
.LBB17_56:                              ;   in Loop: Header=BB17_31 Depth=1
	v_cmp_gt_i32_e64 s0, s24, v96
	s_waitcnt vmcnt(0)
	v_cndmask_b32_e64 v37, 0, v37, s0
	v_cmp_gt_i32_e64 s0, s24, v98
	v_cndmask_b32_e64 v38, 0, v38, s0
	v_cmp_gt_i32_e64 s0, s24, v97
	v_cndmask_b32_e64 v39, 0, v39, s0
	v_cmp_gt_i32_e64 s0, s24, v93
	v_cndmask_b32_e64 v40, 0, v40, s0
	s_or_b32 exec_lo, exec_lo, s5
	global_load_dwordx4 v[41:44], v[49:50], off offset:512
	s_and_saveexec_b32 s5, vcc_lo
	s_cbranch_execz .LBB17_43
.LBB17_57:                              ;   in Loop: Header=BB17_31 Depth=1
	v_cmp_gt_i32_e64 s0, s24, v96
	s_waitcnt vmcnt(0)
	v_cndmask_b32_e64 v41, 0, v41, s0
	v_cmp_gt_i32_e64 s0, s24, v98
	v_cndmask_b32_e64 v42, 0, v42, s0
	v_cmp_gt_i32_e64 s0, s24, v97
	v_cndmask_b32_e64 v43, 0, v43, s0
	v_cmp_gt_i32_e64 s0, s24, v93
	v_cndmask_b32_e64 v44, 0, v44, s0
	s_or_b32 exec_lo, exec_lo, s5
	global_load_dwordx4 v[45:48], v[49:50], off offset:1024
	s_and_saveexec_b32 s5, vcc_lo
	s_cbranch_execz .LBB17_44
.LBB17_58:                              ;   in Loop: Header=BB17_31 Depth=1
	v_cmp_gt_i32_e64 s0, s24, v96
	s_waitcnt vmcnt(0)
	v_cndmask_b32_e64 v45, 0, v45, s0
	v_cmp_gt_i32_e64 s0, s24, v98
	v_cndmask_b32_e64 v46, 0, v46, s0
	v_cmp_gt_i32_e64 s0, s24, v97
	;; [unrolled: 2-line block ×3, first 2 shown]
	v_cndmask_b32_e64 v48, 0, v48, s0
	s_or_b32 exec_lo, exec_lo, s5
	global_load_dwordx4 v[49:52], v[49:50], off offset:1536
	s_and_saveexec_b32 s5, vcc_lo
	s_cbranch_execnz .LBB17_45
	s_branch .LBB17_46
.LBB17_59:                              ;   in Loop: Header=BB17_31 Depth=1
	v_cmp_gt_i32_e64 s0, s24, v96
	s_waitcnt vmcnt(0)
	v_cndmask_b32_e64 v57, 0, v57, s0
	v_cmp_gt_i32_e64 s0, s24, v98
	v_cndmask_b32_e64 v58, 0, v58, s0
	v_cmp_gt_i32_e64 s0, s24, v97
	;; [unrolled: 2-line block ×3, first 2 shown]
	v_cndmask_b32_e64 v60, 0, v60, s0
	s_or_b32 exec_lo, exec_lo, s5
	global_load_dwordx4 v[61:64], v[53:54], off offset:512
	s_and_saveexec_b32 s5, vcc_lo
	s_cbranch_execz .LBB17_48
.LBB17_60:                              ;   in Loop: Header=BB17_31 Depth=1
	v_cmp_gt_i32_e64 s0, s24, v96
	s_waitcnt vmcnt(0)
	v_cndmask_b32_e64 v61, 0, v61, s0
	v_cmp_gt_i32_e64 s0, s24, v98
	v_cndmask_b32_e64 v62, 0, v62, s0
	v_cmp_gt_i32_e64 s0, s24, v97
	;; [unrolled: 2-line block ×3, first 2 shown]
	v_cndmask_b32_e64 v64, 0, v64, s0
	s_or_b32 exec_lo, exec_lo, s5
	global_load_dwordx4 v[65:68], v[53:54], off offset:1024
	s_and_saveexec_b32 s5, vcc_lo
	s_cbranch_execz .LBB17_49
.LBB17_61:                              ;   in Loop: Header=BB17_31 Depth=1
	v_cmp_gt_i32_e64 s0, s24, v96
	s_waitcnt vmcnt(0)
	v_cndmask_b32_e64 v65, 0, v65, s0
	v_cmp_gt_i32_e64 s0, s24, v98
	v_cndmask_b32_e64 v66, 0, v66, s0
	v_cmp_gt_i32_e64 s0, s24, v97
	;; [unrolled: 2-line block ×3, first 2 shown]
	v_cndmask_b32_e64 v68, 0, v68, s0
	s_or_b32 exec_lo, exec_lo, s5
	global_load_dwordx4 v[53:56], v[53:54], off offset:1536
	s_and_saveexec_b32 s0, vcc_lo
	s_cbranch_execz .LBB17_30
.LBB17_62:                              ;   in Loop: Header=BB17_31 Depth=1
	v_cmp_gt_i32_e32 vcc_lo, s24, v96
	s_waitcnt vmcnt(0)
	v_cndmask_b32_e32 v53, 0, v53, vcc_lo
	v_cmp_gt_i32_e32 vcc_lo, s24, v98
	v_cndmask_b32_e32 v54, 0, v54, vcc_lo
	v_cmp_gt_i32_e32 vcc_lo, s24, v97
	;; [unrolled: 2-line block ×3, first 2 shown]
	v_cndmask_b32_e32 v56, 0, v56, vcc_lo
	s_branch .LBB17_30
.LBB17_63:
	s_or_b32 exec_lo, exec_lo, s3
.LBB17_64:
	s_or_b32 exec_lo, exec_lo, s1
	ds_bpermute_b32 v0, v73, v88
	ds_bpermute_b32 v2, v73, v90
	;; [unrolled: 1-line block ×16, first 2 shown]
	v_lshrrev_b32_e32 v17, 1, v72
	v_lshlrev_b32_e32 v19, 10, v99
	s_mov_b32 s0, exec_lo
	s_waitcnt lgkmcnt(0)
	v_add_f32_e32 v1, v88, v0
	v_add_f32_e32 v2, v90, v2
	;; [unrolled: 1-line block ×14, first 2 shown]
	v_and_b32_e32 v0, 0x3c1, v71
	v_add_f32_e32 v15, v76, v15
	v_add_f32_e32 v16, v75, v16
	v_lshl_add_u32 v18, v17, 2, 0x420
	s_barrier
	buffer_gl0_inv
	v_cmpx_eq_u32_e32 64, v0
	s_cbranch_execz .LBB17_66
; %bb.65:
	v_add_nc_u32_e32 v0, v18, v19
	v_add_nc_u32_e32 v20, 0xfffff800, v0
	;; [unrolled: 1-line block ×7, first 2 shown]
	ds_write_b32 v20, v1
	ds_write_b32 v21, v2
	;; [unrolled: 1-line block ×6, first 2 shown]
	v_add_nc_u32_e32 v20, 0xfffff980, v0
	v_add_nc_u32_e32 v21, 0xfffff9c0, v0
	;; [unrolled: 1-line block ×5, first 2 shown]
	ds_write_b32 v20, v7
	ds_write_b32 v21, v8
	ds_write_b32 v22, v9
	ds_write_b32 v23, v10
	ds_write_b32 v24, v11
	v_add_nc_u32_e32 v20, 0xfffffac0, v0
	v_add_nc_u32_e32 v21, 0xfffffb00, v0
	;; [unrolled: 1-line block ×5, first 2 shown]
	ds_write_b32 v20, v12
	ds_write_b32 v21, v13
	;; [unrolled: 1-line block ×5, first 2 shown]
.LBB17_66:
	s_or_b32 exec_lo, exec_lo, s0
	v_lshlrev_b32_e32 v0, 2, v17
	s_mov_b32 s1, exec_lo
	v_cmp_eq_u32_e32 vcc_lo, 0, v74
	s_waitcnt lgkmcnt(0)
	s_barrier
	v_add3_u32 v17, 0x420, v19, v0
	buffer_gl0_inv
	v_cmpx_gt_u32_e32 64, v71
	s_cbranch_execz .LBB17_85
; %bb.67:
	s_and_saveexec_b32 s0, vcc_lo
	s_cbranch_execnz .LBB17_109
; %bb.68:
	s_or_b32 exec_lo, exec_lo, s0
	s_and_saveexec_b32 s0, vcc_lo
	s_cbranch_execnz .LBB17_110
.LBB17_69:
	s_or_b32 exec_lo, exec_lo, s0
	s_and_saveexec_b32 s0, vcc_lo
	s_cbranch_execnz .LBB17_111
.LBB17_70:
	s_or_b32 exec_lo, exec_lo, s0
	s_and_saveexec_b32 s0, vcc_lo
	s_cbranch_execnz .LBB17_112
.LBB17_71:
	s_or_b32 exec_lo, exec_lo, s0
	s_and_saveexec_b32 s0, vcc_lo
	s_cbranch_execnz .LBB17_113
.LBB17_72:
	s_or_b32 exec_lo, exec_lo, s0
	s_and_saveexec_b32 s0, vcc_lo
	s_cbranch_execnz .LBB17_114
.LBB17_73:
	s_or_b32 exec_lo, exec_lo, s0
	s_and_saveexec_b32 s0, vcc_lo
	s_cbranch_execnz .LBB17_115
.LBB17_74:
	s_or_b32 exec_lo, exec_lo, s0
	s_and_saveexec_b32 s0, vcc_lo
	s_cbranch_execnz .LBB17_116
.LBB17_75:
	s_or_b32 exec_lo, exec_lo, s0
	s_and_saveexec_b32 s0, vcc_lo
	s_cbranch_execnz .LBB17_117
.LBB17_76:
	s_or_b32 exec_lo, exec_lo, s0
	s_and_saveexec_b32 s0, vcc_lo
	s_cbranch_execnz .LBB17_118
.LBB17_77:
	s_or_b32 exec_lo, exec_lo, s0
	s_and_saveexec_b32 s0, vcc_lo
	s_cbranch_execnz .LBB17_119
.LBB17_78:
	s_or_b32 exec_lo, exec_lo, s0
	s_and_saveexec_b32 s0, vcc_lo
	s_cbranch_execnz .LBB17_120
.LBB17_79:
	s_or_b32 exec_lo, exec_lo, s0
	s_and_saveexec_b32 s0, vcc_lo
	s_cbranch_execnz .LBB17_121
.LBB17_80:
	s_or_b32 exec_lo, exec_lo, s0
	s_and_saveexec_b32 s0, vcc_lo
	s_cbranch_execnz .LBB17_122
.LBB17_81:
	s_or_b32 exec_lo, exec_lo, s0
	s_and_saveexec_b32 s0, vcc_lo
	s_cbranch_execnz .LBB17_123
.LBB17_82:
	s_or_b32 exec_lo, exec_lo, s0
	s_and_saveexec_b32 s0, vcc_lo
	s_cbranch_execz .LBB17_84
.LBB17_83:
	ds_read_b32 v0, v17 offset:960
	s_waitcnt lgkmcnt(0)
	v_add_f32_e32 v16, v16, v0
.LBB17_84:
	s_or_b32 exec_lo, exec_lo, s0
.LBB17_85:
	s_or_b32 exec_lo, exec_lo, s1
	v_and_b32_e32 v19, 0x3e1, v71
	s_mov_b32 s1, exec_lo
	s_barrier
	buffer_gl0_inv
	v_cmpx_eq_u32_e32 32, v19
	s_cbranch_execz .LBB17_87
; %bb.86:
	ds_write2_b32 v18, v1, v2 offset1:16
	ds_write2_b32 v18, v3, v4 offset0:32 offset1:48
	ds_write2_b32 v18, v5, v6 offset0:64 offset1:80
	;; [unrolled: 1-line block ×7, first 2 shown]
.LBB17_87:
	s_or_b32 exec_lo, exec_lo, s1
	s_mov_b32 s1, exec_lo
	s_waitcnt lgkmcnt(0)
	s_barrier
	buffer_gl0_inv
	v_cmpx_gt_u32_e32 32, v71
	s_cbranch_execz .LBB17_106
; %bb.88:
	s_and_saveexec_b32 s0, vcc_lo
	s_cbranch_execnz .LBB17_124
; %bb.89:
	s_or_b32 exec_lo, exec_lo, s0
	s_and_saveexec_b32 s0, vcc_lo
	s_cbranch_execnz .LBB17_125
.LBB17_90:
	s_or_b32 exec_lo, exec_lo, s0
	s_and_saveexec_b32 s0, vcc_lo
	s_cbranch_execnz .LBB17_126
.LBB17_91:
	s_or_b32 exec_lo, exec_lo, s0
	s_and_saveexec_b32 s0, vcc_lo
	s_cbranch_execnz .LBB17_127
.LBB17_92:
	s_or_b32 exec_lo, exec_lo, s0
	s_and_saveexec_b32 s0, vcc_lo
	s_cbranch_execnz .LBB17_128
.LBB17_93:
	s_or_b32 exec_lo, exec_lo, s0
	s_and_saveexec_b32 s0, vcc_lo
	s_cbranch_execnz .LBB17_129
.LBB17_94:
	s_or_b32 exec_lo, exec_lo, s0
	s_and_saveexec_b32 s0, vcc_lo
	s_cbranch_execnz .LBB17_130
.LBB17_95:
	s_or_b32 exec_lo, exec_lo, s0
	s_and_saveexec_b32 s0, vcc_lo
	s_cbranch_execnz .LBB17_131
.LBB17_96:
	s_or_b32 exec_lo, exec_lo, s0
	s_and_saveexec_b32 s0, vcc_lo
	s_cbranch_execnz .LBB17_132
.LBB17_97:
	s_or_b32 exec_lo, exec_lo, s0
	s_and_saveexec_b32 s0, vcc_lo
	s_cbranch_execnz .LBB17_133
.LBB17_98:
	s_or_b32 exec_lo, exec_lo, s0
	s_and_saveexec_b32 s0, vcc_lo
	s_cbranch_execnz .LBB17_134
.LBB17_99:
	s_or_b32 exec_lo, exec_lo, s0
	s_and_saveexec_b32 s0, vcc_lo
	s_cbranch_execnz .LBB17_135
.LBB17_100:
	s_or_b32 exec_lo, exec_lo, s0
	s_and_saveexec_b32 s0, vcc_lo
	s_cbranch_execnz .LBB17_136
.LBB17_101:
	s_or_b32 exec_lo, exec_lo, s0
	s_and_saveexec_b32 s0, vcc_lo
	s_cbranch_execnz .LBB17_137
.LBB17_102:
	s_or_b32 exec_lo, exec_lo, s0
	s_and_saveexec_b32 s0, vcc_lo
	s_cbranch_execnz .LBB17_138
.LBB17_103:
	s_or_b32 exec_lo, exec_lo, s0
	s_and_saveexec_b32 s0, vcc_lo
	s_cbranch_execz .LBB17_105
.LBB17_104:
	ds_read_b32 v0, v17 offset:960
	s_waitcnt lgkmcnt(0)
	v_add_f32_e32 v16, v16, v0
.LBB17_105:
	s_or_b32 exec_lo, exec_lo, s0
.LBB17_106:
	s_or_b32 exec_lo, exec_lo, s1
	s_barrier
	buffer_gl0_inv
	s_mov_b32 s0, exec_lo
	v_cmpx_eq_u32_e32 0, v19
	s_cbranch_execz .LBB17_108
; %bb.107:
	s_mul_i32 s0, s10, s11
	s_mul_i32 s2, s11, s6
	;; [unrolled: 1-line block ×3, first 2 shown]
	v_lshlrev_b32_e32 v0, 1, v71
	s_lshl_b32 s0, s0, 8
	s_ashr_i32 s1, s0, 31
	s_lshl_b64 s[0:1], s[0:1], 2
	s_add_u32 s4, s16, s0
	s_addc_u32 s5, s17, s1
	s_ashr_i32 s3, s2, 31
	s_lshl_b64 s[0:1], s[2:3], 2
	s_add_u32 s2, s4, s0
	s_addc_u32 s3, s5, s1
	s_lshl_b32 s0, s8, 8
	s_ashr_i32 s1, s0, 31
	s_lshl_b64 s[0:1], s[0:1], 2
	s_add_u32 s0, s2, s0
	s_addc_u32 s1, s3, s1
	global_store_dword v0, v1, s[0:1]
	global_store_dword v0, v2, s[0:1] offset:64
	global_store_dword v0, v3, s[0:1] offset:128
	;; [unrolled: 1-line block ×15, first 2 shown]
.LBB17_108:
	s_endpgm
.LBB17_109:
	ds_read_b32 v0, v17
	s_waitcnt lgkmcnt(0)
	v_add_f32_e32 v1, v1, v0
	s_or_b32 exec_lo, exec_lo, s0
	s_and_saveexec_b32 s0, vcc_lo
	s_cbranch_execz .LBB17_69
.LBB17_110:
	ds_read_b32 v0, v17 offset:64
	s_waitcnt lgkmcnt(0)
	v_add_f32_e32 v2, v2, v0
	s_or_b32 exec_lo, exec_lo, s0
	s_and_saveexec_b32 s0, vcc_lo
	s_cbranch_execz .LBB17_70
.LBB17_111:
	ds_read_b32 v0, v17 offset:128
	s_waitcnt lgkmcnt(0)
	v_add_f32_e32 v3, v3, v0
	s_or_b32 exec_lo, exec_lo, s0
	s_and_saveexec_b32 s0, vcc_lo
	s_cbranch_execz .LBB17_71
.LBB17_112:
	ds_read_b32 v0, v17 offset:192
	s_waitcnt lgkmcnt(0)
	v_add_f32_e32 v4, v4, v0
	s_or_b32 exec_lo, exec_lo, s0
	s_and_saveexec_b32 s0, vcc_lo
	s_cbranch_execz .LBB17_72
.LBB17_113:
	ds_read_b32 v0, v17 offset:256
	s_waitcnt lgkmcnt(0)
	v_add_f32_e32 v5, v5, v0
	s_or_b32 exec_lo, exec_lo, s0
	s_and_saveexec_b32 s0, vcc_lo
	s_cbranch_execz .LBB17_73
.LBB17_114:
	ds_read_b32 v0, v17 offset:320
	s_waitcnt lgkmcnt(0)
	v_add_f32_e32 v6, v6, v0
	s_or_b32 exec_lo, exec_lo, s0
	s_and_saveexec_b32 s0, vcc_lo
	s_cbranch_execz .LBB17_74
.LBB17_115:
	ds_read_b32 v0, v17 offset:384
	s_waitcnt lgkmcnt(0)
	v_add_f32_e32 v7, v7, v0
	s_or_b32 exec_lo, exec_lo, s0
	s_and_saveexec_b32 s0, vcc_lo
	s_cbranch_execz .LBB17_75
.LBB17_116:
	ds_read_b32 v0, v17 offset:448
	s_waitcnt lgkmcnt(0)
	v_add_f32_e32 v8, v8, v0
	s_or_b32 exec_lo, exec_lo, s0
	s_and_saveexec_b32 s0, vcc_lo
	s_cbranch_execz .LBB17_76
.LBB17_117:
	ds_read_b32 v0, v17 offset:512
	s_waitcnt lgkmcnt(0)
	v_add_f32_e32 v9, v9, v0
	s_or_b32 exec_lo, exec_lo, s0
	s_and_saveexec_b32 s0, vcc_lo
	s_cbranch_execz .LBB17_77
.LBB17_118:
	ds_read_b32 v0, v17 offset:576
	s_waitcnt lgkmcnt(0)
	v_add_f32_e32 v10, v10, v0
	s_or_b32 exec_lo, exec_lo, s0
	s_and_saveexec_b32 s0, vcc_lo
	s_cbranch_execz .LBB17_78
.LBB17_119:
	ds_read_b32 v0, v17 offset:640
	s_waitcnt lgkmcnt(0)
	v_add_f32_e32 v11, v11, v0
	s_or_b32 exec_lo, exec_lo, s0
	s_and_saveexec_b32 s0, vcc_lo
	s_cbranch_execz .LBB17_79
.LBB17_120:
	ds_read_b32 v0, v17 offset:704
	s_waitcnt lgkmcnt(0)
	v_add_f32_e32 v12, v12, v0
	s_or_b32 exec_lo, exec_lo, s0
	s_and_saveexec_b32 s0, vcc_lo
	s_cbranch_execz .LBB17_80
.LBB17_121:
	ds_read_b32 v0, v17 offset:768
	s_waitcnt lgkmcnt(0)
	v_add_f32_e32 v13, v13, v0
	s_or_b32 exec_lo, exec_lo, s0
	s_and_saveexec_b32 s0, vcc_lo
	s_cbranch_execz .LBB17_81
.LBB17_122:
	ds_read_b32 v0, v17 offset:832
	s_waitcnt lgkmcnt(0)
	v_add_f32_e32 v14, v14, v0
	s_or_b32 exec_lo, exec_lo, s0
	s_and_saveexec_b32 s0, vcc_lo
	s_cbranch_execz .LBB17_82
.LBB17_123:
	ds_read_b32 v0, v17 offset:896
	s_waitcnt lgkmcnt(0)
	v_add_f32_e32 v15, v15, v0
	s_or_b32 exec_lo, exec_lo, s0
	s_and_saveexec_b32 s0, vcc_lo
	s_cbranch_execnz .LBB17_83
	s_branch .LBB17_84
.LBB17_124:
	ds_read_b32 v0, v17
	s_waitcnt lgkmcnt(0)
	v_add_f32_e32 v1, v1, v0
	s_or_b32 exec_lo, exec_lo, s0
	s_and_saveexec_b32 s0, vcc_lo
	s_cbranch_execz .LBB17_90
.LBB17_125:
	ds_read_b32 v0, v17 offset:64
	s_waitcnt lgkmcnt(0)
	v_add_f32_e32 v2, v2, v0
	s_or_b32 exec_lo, exec_lo, s0
	s_and_saveexec_b32 s0, vcc_lo
	s_cbranch_execz .LBB17_91
.LBB17_126:
	ds_read_b32 v0, v17 offset:128
	s_waitcnt lgkmcnt(0)
	v_add_f32_e32 v3, v3, v0
	s_or_b32 exec_lo, exec_lo, s0
	s_and_saveexec_b32 s0, vcc_lo
	s_cbranch_execz .LBB17_92
.LBB17_127:
	ds_read_b32 v0, v17 offset:192
	s_waitcnt lgkmcnt(0)
	v_add_f32_e32 v4, v4, v0
	s_or_b32 exec_lo, exec_lo, s0
	s_and_saveexec_b32 s0, vcc_lo
	s_cbranch_execz .LBB17_93
.LBB17_128:
	ds_read_b32 v0, v17 offset:256
	s_waitcnt lgkmcnt(0)
	v_add_f32_e32 v5, v5, v0
	s_or_b32 exec_lo, exec_lo, s0
	s_and_saveexec_b32 s0, vcc_lo
	s_cbranch_execz .LBB17_94
.LBB17_129:
	ds_read_b32 v0, v17 offset:320
	s_waitcnt lgkmcnt(0)
	v_add_f32_e32 v6, v6, v0
	s_or_b32 exec_lo, exec_lo, s0
	s_and_saveexec_b32 s0, vcc_lo
	s_cbranch_execz .LBB17_95
.LBB17_130:
	ds_read_b32 v0, v17 offset:384
	s_waitcnt lgkmcnt(0)
	v_add_f32_e32 v7, v7, v0
	s_or_b32 exec_lo, exec_lo, s0
	s_and_saveexec_b32 s0, vcc_lo
	s_cbranch_execz .LBB17_96
.LBB17_131:
	ds_read_b32 v0, v17 offset:448
	s_waitcnt lgkmcnt(0)
	v_add_f32_e32 v8, v8, v0
	s_or_b32 exec_lo, exec_lo, s0
	s_and_saveexec_b32 s0, vcc_lo
	s_cbranch_execz .LBB17_97
.LBB17_132:
	ds_read_b32 v0, v17 offset:512
	s_waitcnt lgkmcnt(0)
	v_add_f32_e32 v9, v9, v0
	s_or_b32 exec_lo, exec_lo, s0
	s_and_saveexec_b32 s0, vcc_lo
	s_cbranch_execz .LBB17_98
.LBB17_133:
	ds_read_b32 v0, v17 offset:576
	s_waitcnt lgkmcnt(0)
	v_add_f32_e32 v10, v10, v0
	s_or_b32 exec_lo, exec_lo, s0
	s_and_saveexec_b32 s0, vcc_lo
	s_cbranch_execz .LBB17_99
.LBB17_134:
	ds_read_b32 v0, v17 offset:640
	s_waitcnt lgkmcnt(0)
	v_add_f32_e32 v11, v11, v0
	s_or_b32 exec_lo, exec_lo, s0
	s_and_saveexec_b32 s0, vcc_lo
	s_cbranch_execz .LBB17_100
.LBB17_135:
	ds_read_b32 v0, v17 offset:704
	s_waitcnt lgkmcnt(0)
	v_add_f32_e32 v12, v12, v0
	s_or_b32 exec_lo, exec_lo, s0
	s_and_saveexec_b32 s0, vcc_lo
	s_cbranch_execz .LBB17_101
.LBB17_136:
	ds_read_b32 v0, v17 offset:768
	s_waitcnt lgkmcnt(0)
	v_add_f32_e32 v13, v13, v0
	s_or_b32 exec_lo, exec_lo, s0
	s_and_saveexec_b32 s0, vcc_lo
	s_cbranch_execz .LBB17_102
.LBB17_137:
	ds_read_b32 v0, v17 offset:832
	s_waitcnt lgkmcnt(0)
	v_add_f32_e32 v14, v14, v0
	s_or_b32 exec_lo, exec_lo, s0
	s_and_saveexec_b32 s0, vcc_lo
	s_cbranch_execz .LBB17_103
.LBB17_138:
	ds_read_b32 v0, v17 offset:896
	s_waitcnt lgkmcnt(0)
	v_add_f32_e32 v15, v15, v0
	s_or_b32 exec_lo, exec_lo, s0
	s_and_saveexec_b32 s0, vcc_lo
	s_cbranch_execnz .LBB17_104
	s_branch .LBB17_105
	.section	.rodata,"a",@progbits
	.p2align	6, 0x0
	.amdhsa_kernel _ZN4vllm25paged_attention_v1_kernelIffLi256ELi8ELi128ELNS_18Fp8KVCacheDataTypeE0ELb0EEEvPT_PKS2_PKT0_S8_ifPKiSA_iPKfiiiSC_SC_iiiii
		.amdhsa_group_segment_fixed_size 1056
		.amdhsa_private_segment_fixed_size 68
		.amdhsa_kernarg_size 384
		.amdhsa_user_sgpr_count 6
		.amdhsa_user_sgpr_private_segment_buffer 1
		.amdhsa_user_sgpr_dispatch_ptr 0
		.amdhsa_user_sgpr_queue_ptr 0
		.amdhsa_user_sgpr_kernarg_segment_ptr 1
		.amdhsa_user_sgpr_dispatch_id 0
		.amdhsa_user_sgpr_flat_scratch_init 0
		.amdhsa_user_sgpr_private_segment_size 0
		.amdhsa_wavefront_size32 1
		.amdhsa_uses_dynamic_stack 0
		.amdhsa_system_sgpr_private_segment_wavefront_offset 1
		.amdhsa_system_sgpr_workgroup_id_x 1
		.amdhsa_system_sgpr_workgroup_id_y 1
		.amdhsa_system_sgpr_workgroup_id_z 1
		.amdhsa_system_sgpr_workgroup_info 0
		.amdhsa_system_vgpr_workitem_id 0
		.amdhsa_next_free_vgpr 128
		.amdhsa_next_free_sgpr 32
		.amdhsa_reserve_vcc 1
		.amdhsa_reserve_flat_scratch 0
		.amdhsa_float_round_mode_32 0
		.amdhsa_float_round_mode_16_64 0
		.amdhsa_float_denorm_mode_32 3
		.amdhsa_float_denorm_mode_16_64 3
		.amdhsa_dx10_clamp 1
		.amdhsa_ieee_mode 1
		.amdhsa_fp16_overflow 0
		.amdhsa_workgroup_processor_mode 1
		.amdhsa_memory_ordered 1
		.amdhsa_forward_progress 1
		.amdhsa_shared_vgpr_count 0
		.amdhsa_exception_fp_ieee_invalid_op 0
		.amdhsa_exception_fp_denorm_src 0
		.amdhsa_exception_fp_ieee_div_zero 0
		.amdhsa_exception_fp_ieee_overflow 0
		.amdhsa_exception_fp_ieee_underflow 0
		.amdhsa_exception_fp_ieee_inexact 0
		.amdhsa_exception_int_div_zero 0
	.end_amdhsa_kernel
	.section	.text._ZN4vllm25paged_attention_v1_kernelIffLi256ELi8ELi128ELNS_18Fp8KVCacheDataTypeE0ELb0EEEvPT_PKS2_PKT0_S8_ifPKiSA_iPKfiiiSC_SC_iiiii,"axG",@progbits,_ZN4vllm25paged_attention_v1_kernelIffLi256ELi8ELi128ELNS_18Fp8KVCacheDataTypeE0ELb0EEEvPT_PKS2_PKT0_S8_ifPKiSA_iPKfiiiSC_SC_iiiii,comdat
.Lfunc_end17:
	.size	_ZN4vllm25paged_attention_v1_kernelIffLi256ELi8ELi128ELNS_18Fp8KVCacheDataTypeE0ELb0EEEvPT_PKS2_PKT0_S8_ifPKiSA_iPKfiiiSC_SC_iiiii, .Lfunc_end17-_ZN4vllm25paged_attention_v1_kernelIffLi256ELi8ELi128ELNS_18Fp8KVCacheDataTypeE0ELb0EEEvPT_PKS2_PKT0_S8_ifPKiSA_iPKfiiiSC_SC_iiiii
                                        ; -- End function
	.set _ZN4vllm25paged_attention_v1_kernelIffLi256ELi8ELi128ELNS_18Fp8KVCacheDataTypeE0ELb0EEEvPT_PKS2_PKT0_S8_ifPKiSA_iPKfiiiSC_SC_iiiii.num_vgpr, 128
	.set _ZN4vllm25paged_attention_v1_kernelIffLi256ELi8ELi128ELNS_18Fp8KVCacheDataTypeE0ELb0EEEvPT_PKS2_PKT0_S8_ifPKiSA_iPKfiiiSC_SC_iiiii.num_agpr, 0
	.set _ZN4vllm25paged_attention_v1_kernelIffLi256ELi8ELi128ELNS_18Fp8KVCacheDataTypeE0ELb0EEEvPT_PKS2_PKT0_S8_ifPKiSA_iPKfiiiSC_SC_iiiii.numbered_sgpr, 32
	.set _ZN4vllm25paged_attention_v1_kernelIffLi256ELi8ELi128ELNS_18Fp8KVCacheDataTypeE0ELb0EEEvPT_PKS2_PKT0_S8_ifPKiSA_iPKfiiiSC_SC_iiiii.num_named_barrier, 0
	.set _ZN4vllm25paged_attention_v1_kernelIffLi256ELi8ELi128ELNS_18Fp8KVCacheDataTypeE0ELb0EEEvPT_PKS2_PKT0_S8_ifPKiSA_iPKfiiiSC_SC_iiiii.private_seg_size, 68
	.set _ZN4vllm25paged_attention_v1_kernelIffLi256ELi8ELi128ELNS_18Fp8KVCacheDataTypeE0ELb0EEEvPT_PKS2_PKT0_S8_ifPKiSA_iPKfiiiSC_SC_iiiii.uses_vcc, 1
	.set _ZN4vllm25paged_attention_v1_kernelIffLi256ELi8ELi128ELNS_18Fp8KVCacheDataTypeE0ELb0EEEvPT_PKS2_PKT0_S8_ifPKiSA_iPKfiiiSC_SC_iiiii.uses_flat_scratch, 0
	.set _ZN4vllm25paged_attention_v1_kernelIffLi256ELi8ELi128ELNS_18Fp8KVCacheDataTypeE0ELb0EEEvPT_PKS2_PKT0_S8_ifPKiSA_iPKfiiiSC_SC_iiiii.has_dyn_sized_stack, 0
	.set _ZN4vllm25paged_attention_v1_kernelIffLi256ELi8ELi128ELNS_18Fp8KVCacheDataTypeE0ELb0EEEvPT_PKS2_PKT0_S8_ifPKiSA_iPKfiiiSC_SC_iiiii.has_recursion, 0
	.set _ZN4vllm25paged_attention_v1_kernelIffLi256ELi8ELi128ELNS_18Fp8KVCacheDataTypeE0ELb0EEEvPT_PKS2_PKT0_S8_ifPKiSA_iPKfiiiSC_SC_iiiii.has_indirect_call, 0
	.section	.AMDGPU.csdata,"",@progbits
; Kernel info:
; codeLenInByte = 8000
; TotalNumSgprs: 34
; NumVgprs: 128
; ScratchSize: 68
; MemoryBound: 0
; FloatMode: 240
; IeeeMode: 1
; LDSByteSize: 1056 bytes/workgroup (compile time only)
; SGPRBlocks: 0
; VGPRBlocks: 15
; NumSGPRsForWavesPerEU: 34
; NumVGPRsForWavesPerEU: 128
; Occupancy: 8
; WaveLimiterHint : 1
; COMPUTE_PGM_RSRC2:SCRATCH_EN: 1
; COMPUTE_PGM_RSRC2:USER_SGPR: 6
; COMPUTE_PGM_RSRC2:TRAP_HANDLER: 0
; COMPUTE_PGM_RSRC2:TGID_X_EN: 1
; COMPUTE_PGM_RSRC2:TGID_Y_EN: 1
; COMPUTE_PGM_RSRC2:TGID_Z_EN: 1
; COMPUTE_PGM_RSRC2:TIDIG_COMP_CNT: 0
	.section	.text._ZN4vllm25paged_attention_v1_kernelIffLi32ELi16ELi128ELNS_18Fp8KVCacheDataTypeE0ELb1EEEvPT_PKS2_PKT0_S8_ifPKiSA_iPKfiiiSC_SC_iiiii,"axG",@progbits,_ZN4vllm25paged_attention_v1_kernelIffLi32ELi16ELi128ELNS_18Fp8KVCacheDataTypeE0ELb1EEEvPT_PKS2_PKT0_S8_ifPKiSA_iPKfiiiSC_SC_iiiii,comdat
	.protected	_ZN4vllm25paged_attention_v1_kernelIffLi32ELi16ELi128ELNS_18Fp8KVCacheDataTypeE0ELb1EEEvPT_PKS2_PKT0_S8_ifPKiSA_iPKfiiiSC_SC_iiiii ; -- Begin function _ZN4vllm25paged_attention_v1_kernelIffLi32ELi16ELi128ELNS_18Fp8KVCacheDataTypeE0ELb1EEEvPT_PKS2_PKT0_S8_ifPKiSA_iPKfiiiSC_SC_iiiii
	.globl	_ZN4vllm25paged_attention_v1_kernelIffLi32ELi16ELi128ELNS_18Fp8KVCacheDataTypeE0ELb1EEEvPT_PKS2_PKT0_S8_ifPKiSA_iPKfiiiSC_SC_iiiii
	.p2align	8
	.type	_ZN4vllm25paged_attention_v1_kernelIffLi32ELi16ELi128ELNS_18Fp8KVCacheDataTypeE0ELb1EEEvPT_PKS2_PKT0_S8_ifPKiSA_iPKfiiiSC_SC_iiiii,@function
_ZN4vllm25paged_attention_v1_kernelIffLi32ELi16ELi128ELNS_18Fp8KVCacheDataTypeE0ELb1EEEvPT_PKS2_PKT0_S8_ifPKiSA_iPKfiiiSC_SC_iiiii: ; @_ZN4vllm25paged_attention_v1_kernelIffLi32ELi16ELi128ELNS_18Fp8KVCacheDataTypeE0ELb1EEEvPT_PKS2_PKT0_S8_ifPKiSA_iPKfiiiSC_SC_iiiii
; %bb.0:
	s_clause 0x2
	s_load_dword s9, s[4:5], 0x80
	s_load_dwordx2 s[0:1], s[4:5], 0x30
	s_load_dwordx2 s[28:29], s[4:5], 0x20
	s_mov_b32 s10, s7
	s_ashr_i32 s11, s7, 31
	s_mov_b32 s33, 0
	s_lshl_b64 s[2:3], s[10:11], 2
	s_waitcnt lgkmcnt(0)
	s_add_u32 s0, s0, s2
	s_addc_u32 s1, s1, s3
	s_abs_i32 s2, s28
	s_abs_i32 s11, s9
	v_cvt_f32_u32_e32 v1, s2
	s_sub_i32 s7, 0, s2
	v_rcp_iflag_f32_e32 v1, v1
	v_mul_f32_e32 v1, 0x4f7ffffe, v1
	v_cvt_u32_f32_e32 v1, v1
	v_readfirstlane_b32 s3, v1
	s_mul_i32 s7, s7, s3
	s_mul_hi_u32 s7, s3, s7
	s_add_i32 s3, s3, s7
	s_xor_b32 s7, s9, s28
	s_mul_hi_u32 s3, s11, s3
	s_ashr_i32 s7, s7, 31
	s_mul_i32 s12, s3, s2
	s_sub_i32 s11, s11, s12
	s_add_i32 s12, s3, 1
	s_sub_i32 s13, s11, s2
	s_cmp_ge_u32 s11, s2
	s_cselect_b32 s3, s12, s3
	s_cselect_b32 s11, s13, s11
	s_add_i32 s12, s3, 1
	s_cmp_ge_u32 s11, s2
	s_cselect_b32 s2, s12, s3
	s_abs_i32 s22, s6
	s_xor_b32 s2, s2, s7
	s_sub_i32 s16, s2, s7
	s_load_dwordx2 s[2:3], s[4:5], 0x40
	s_abs_i32 s11, s16
	v_cvt_f32_u32_e32 v1, s11
	s_sub_i32 s12, 0, s11
	v_rcp_iflag_f32_e32 v1, v1
	v_mul_f32_e32 v1, 0x4f7ffffe, v1
	v_cvt_u32_f32_e32 v1, v1
	v_readfirstlane_b32 s7, v1
	s_mul_i32 s12, s12, s7
	s_mul_hi_u32 s12, s7, s12
	s_add_i32 s7, s7, s12
	s_waitcnt lgkmcnt(0)
	s_cmp_eq_u64 s[2:3], 0
	s_mul_hi_u32 s23, s22, s7
	s_cbranch_scc1 .LBB18_2
; %bb.1:
	s_ashr_i32 s7, s6, 31
	s_lshl_b64 s[12:13], s[6:7], 2
	s_add_u32 s2, s2, s12
	s_addc_u32 s3, s3, s13
	s_load_dword s33, s[2:3], 0x0
.LBB18_2:
	s_load_dword s30, s[0:1], 0x0
	s_load_dwordx4 s[12:15], s[4:5], 0x48
	v_and_b32_e32 v1, 1, v0
	v_lshlrev_b32_e32 v2, 3, v0
	v_lshlrev_b32_e32 v3, 2, v0
	s_ashr_i32 s0, s6, 31
	s_ashr_i32 s1, s16, 31
	s_lshl_b32 s20, s6, 5
	s_mov_b32 s2, exec_lo
	v_cmpx_gt_u32_e32 16, v0
	s_cbranch_execz .LBB18_4
; %bb.3:
	s_load_dwordx2 s[16:17], s[4:5], 0x8
	s_waitcnt lgkmcnt(0)
	s_mul_i32 s18, s12, s10
	v_and_b32_e32 v6, 0xff8, v3
	s_ashr_i32 s19, s18, 31
	s_lshl_b64 s[18:19], s[18:19], 2
	v_lshl_add_u32 v6, v1, 6, v6
	s_add_u32 s3, s16, s18
	s_addc_u32 s7, s17, s19
	s_ashr_i32 s21, s20, 31
	s_lshl_b64 s[16:17], s[20:21], 2
	s_add_u32 s16, s3, s16
	s_addc_u32 s17, s7, s17
	global_load_dwordx2 v[4:5], v2, s[16:17]
	s_waitcnt vmcnt(0)
	ds_write_b64 v6, v[4:5]
.LBB18_4:
	s_or_b32 exec_lo, exec_lo, s2
	s_load_dwordx4 s[16:19], s[4:5], 0x68
	s_mul_i32 s2, s23, s11
	s_xor_b32 s1, s0, s1
	s_sub_i32 s0, s22, s2
	s_add_i32 s2, s23, 1
	s_sub_i32 s3, s0, s11
	s_cmp_ge_u32 s0, s11
	s_waitcnt lgkmcnt(0)
	s_cselect_b32 s2, s2, s23
	s_cselect_b32 s0, s3, s0
	s_add_i32 s3, s2, 1
	s_cmp_ge_u32 s0, s11
	s_load_dword s0, s[4:5], 0x78
	s_cselect_b32 s2, s3, s2
	s_add_i32 s7, s30, -1
	s_xor_b32 s2, s2, s1
	s_abs_i32 s3, s7
	s_sub_i32 s1, s2, s1
	s_mov_b32 s11, -1
	s_barrier
	s_abs_i32 s12, s19
	s_waitcnt lgkmcnt(0)
	buffer_gl0_inv
	v_cvt_f32_u32_e32 v4, s12
	s_sub_i32 s2, 0, s12
                                        ; implicit-def: $sgpr31
	v_rcp_iflag_f32_e32 v4, v4
	v_mul_f32_e32 v4, 0x4f7ffffe, v4
	v_cvt_u32_f32_e32 v4, v4
	v_readfirstlane_b32 s21, v4
	s_mul_i32 s2, s2, s21
	s_mul_hi_u32 s2, s21, s2
	s_add_i32 s21, s21, s2
	s_cmp_lt_i32 s0, 0
	s_mul_hi_u32 s2, s3, s21
	s_cbranch_scc0 .LBB18_6
; %bb.5:
	s_mul_i32 s11, s16, s28
	s_add_i32 s11, s1, s11
	s_mul_i32 s11, s11, s0
	s_sub_i32 s31, 1, s11
	s_mov_b32 s11, 0
.LBB18_6:
	s_load_dwordx2 s[22:23], s[4:5], 0x28
	s_ashr_i32 s7, s7, 31
	s_andn2_b32 vcc_lo, exec_lo, s11
	s_ashr_i32 s19, s19, 31
	s_cbranch_vccnz .LBB18_8
; %bb.7:
	s_mul_i32 s11, s9, s16
	s_add_i32 s6, s11, s6
	s_mul_i32 s0, s6, s0
	s_add_i32 s31, s0, 1
.LBB18_8:
	s_load_dword s0, s[4:5], 0x38
	s_mul_i32 s6, s2, s12
	s_xor_b32 s15, s7, s19
	s_sub_i32 s3, s3, s6
	s_add_i32 s16, s2, 1
	s_clause 0x2
	s_load_dwordx2 s[6:7], s[4:5], 0x0
	s_load_dwordx2 s[26:27], s[4:5], 0x18
	s_load_dword s11, s[4:5], 0x88
	v_lshrrev_b32_e32 v23, 5, v0
	v_mov_b32_e32 v6, 0xff7fffff
	v_lshrrev_b32_e32 v4, 3, v0
	v_mbcnt_lo_u32_b32 v5, -1, 0
	s_mul_i32 s14, s1, s14
	v_lshlrev_b32_e32 v24, 4, v23
	s_waitcnt lgkmcnt(0)
	s_mul_i32 s24, s0, s10
	s_sub_i32 s0, s3, s12
	s_ashr_i32 s25, s24, 31
	s_cmp_ge_u32 s3, s12
	s_cselect_b32 s2, s16, s2
	s_cselect_b32 s0, s0, s3
	s_add_i32 s3, s2, 1
	s_cmp_ge_u32 s0, s12
	s_cselect_b32 s0, s3, s2
	s_add_i32 s2, s30, 15
	s_ashr_i32 s3, s2, 31
	s_lshr_b32 s3, s3, 28
	s_add_i32 s2, s2, s3
	s_ashr_i32 s16, s2, 4
	s_xor_b32 s2, s0, s15
	v_cmp_gt_i32_e64 s0, s16, v23
	s_sub_i32 s28, s2, s15
	s_and_saveexec_b32 s34, s0
	s_cbranch_execz .LBB18_20
; %bb.9:
	s_load_dwordx2 s[2:3], s[4:5], 0x10
	s_ashr_i32 s15, s14, 31
	s_sub_i32 s4, s28, s17
	s_lshl_b64 s[36:37], s[14:15], 2
	v_bfe_u32 v7, v0, 1, 4
	v_and_b32_e32 v14, 8, v2
	v_cmp_eq_u32_e32 vcc_lo, 0, v1
	v_lshlrev_b32_e32 v8, 6, v1
	v_and_b32_e32 v1, 0x7c, v4
	v_lshlrev_b32_e32 v2, 2, v7
	v_subrev_nc_u32_e32 v13, s30, v7
	v_lshlrev_b32_e32 v15, 4, v7
	v_cmp_neq_f32_e64 s1, s33, 0
	v_lshlrev_b32_e32 v9, 4, v23
	v_lshl_or_b32 v2, v23, 6, v2
	v_mov_b32_e32 v10, 0xff7fffff
	v_xor_b32_e32 v11, 1, v5
	s_waitcnt lgkmcnt(0)
	s_add_u32 s15, s2, s36
	s_addc_u32 s35, s3, s37
	s_abs_i32 s5, s18
	v_add_co_u32 v15, s15, s15, v15
	v_cvt_f32_u32_e32 v6, s5
	s_sub_i32 s2, 0, s5
	v_add_co_ci_u32_e64 v17, null, s35, 0, s15
	s_mov_b32 s15, 0
	v_rcp_iflag_f32_e32 v6, v6
	s_mov_b32 s35, s13
	v_mul_f32_e32 v12, 0x4f7ffffe, v6
	v_mov_b32_e32 v6, 0xff7fffff
	v_cvt_u32_f32_e32 v16, v12
	v_add_nc_u32_e32 v12, 1, v13
	v_add_nc_u32_e32 v13, 0xa0, v2
	v_mul_lo_u32 v2, s2, v16
	s_lshl_b64 s[2:3], s[24:25], 2
	s_add_u32 s2, s22, s2
	s_addc_u32 s3, s23, s3
	v_add_co_u32 v1, s2, s2, v1
	v_mul_hi_u32 v18, v16, v2
	v_add_co_ci_u32_e64 v2, null, s3, 0, s2
	v_add_co_u32 v14, s2, v15, v14
	v_add_co_ci_u32_e64 v15, null, 0, v17, s2
	v_mov_b32_e32 v17, v23
	v_add_nc_u32_e32 v16, v16, v18
	s_branch .LBB18_12
.LBB18_10:                              ;   in Loop: Header=BB18_12 Depth=1
	s_or_b32 exec_lo, exec_lo, s36
.LBB18_11:                              ;   in Loop: Header=BB18_12 Depth=1
	s_or_b32 exec_lo, exec_lo, s3
	v_add_nc_u32_e32 v17, 4, v17
	v_add_co_u32 v1, s3, v1, 16
	v_add_co_ci_u32_e64 v2, null, 0, v2, s3
	v_cmp_le_i32_e64 s2, s16, v17
	v_add_nc_u32_e32 v9, 64, v9
	v_add_nc_u32_e32 v13, 0x100, v13
	s_or_b32 s15, s2, s15
	s_andn2_b32 exec_lo, exec_lo, s15
	s_cbranch_execz .LBB18_19
.LBB18_12:                              ; =>This Inner Loop Header: Depth=1
	v_mul_hi_u32 v18, v9, s21
	s_waitcnt lgkmcnt(0)
	v_mul_lo_u32 v19, v18, s12
	v_add_nc_u32_e32 v20, 1, v18
	v_sub_nc_u32_e32 v19, v9, v19
	v_subrev_nc_u32_e32 v21, s12, v19
	v_cmp_le_u32_e64 s2, s12, v19
	v_cndmask_b32_e64 v18, v18, v20, s2
	v_cndmask_b32_e64 v19, v19, v21, s2
	v_add_nc_u32_e32 v20, 1, v18
	v_cmp_le_u32_e64 s2, s12, v19
	v_cndmask_b32_e64 v18, v18, v20, s2
	v_xor_b32_e32 v18, s19, v18
	v_subrev_nc_u32_e32 v18, s19, v18
	v_add_nc_u32_e32 v19, s31, v18
	v_cmp_ge_i32_e64 s3, s4, v18
	v_sub_nc_u32_e32 v20, 0, v19
	v_max_i32_e32 v20, v19, v20
	v_ashrrev_i32_e32 v19, 31, v19
	v_mul_hi_u32 v21, v20, v16
	v_mul_lo_u32 v21, v21, s5
	v_sub_nc_u32_e32 v20, v20, v21
	v_subrev_nc_u32_e32 v21, s5, v20
	v_cmp_le_u32_e64 s2, s5, v20
	v_cndmask_b32_e64 v20, v20, v21, s2
	v_subrev_nc_u32_e32 v21, s5, v20
	v_cmp_le_u32_e64 s2, s5, v20
	v_cndmask_b32_e64 v20, v20, v21, s2
	v_xor_b32_e32 v20, v20, v19
	v_sub_nc_u32_e32 v19, v20, v19
	v_cmp_ne_u32_e64 s2, 0, v19
	s_and_b32 s2, s2, s3
	s_and_saveexec_b32 s3, s2
	s_xor_b32 s2, exec_lo, s3
	s_cbranch_execz .LBB18_16
; %bb.13:                               ;   in Loop: Header=BB18_12 Depth=1
	s_and_saveexec_b32 s3, vcc_lo
; %bb.14:                               ;   in Loop: Header=BB18_12 Depth=1
	ds_write_b32 v13, v10
; %bb.15:                               ;   in Loop: Header=BB18_12 Depth=1
	s_or_b32 exec_lo, exec_lo, s3
.LBB18_16:                              ;   in Loop: Header=BB18_12 Depth=1
	s_andn2_saveexec_b32 s3, s2
	s_cbranch_execz .LBB18_11
; %bb.17:                               ;   in Loop: Header=BB18_12 Depth=1
	global_load_dword v18, v[1:2], off
	s_waitcnt vmcnt(0)
	v_mad_i64_i32 v[18:19], null, v18, s35, 0
	v_lshlrev_b64 v[18:19], 2, v[18:19]
	v_add_co_u32 v18, s2, v14, v18
	v_add_co_ci_u32_e64 v19, null, v15, v19, s2
	v_cmp_gt_i32_e64 s2, 32, v11
	s_clause 0x7
	global_load_dwordx2 v[33:34], v[18:19], off offset:256
	global_load_dwordx2 v[35:36], v[18:19], off
	global_load_dwordx2 v[37:38], v[18:19], off offset:512
	global_load_dwordx2 v[39:40], v[18:19], off offset:768
	;; [unrolled: 1-line block ×6, first 2 shown]
	ds_read_b128 v[18:21], v8
	ds_read_b128 v[25:28], v8 offset:16
	ds_read_b128 v[29:32], v8 offset:32
	s_waitcnt vmcnt(7) lgkmcnt(2)
	v_mul_f32_e32 v22, v20, v33
	v_mul_f32_e32 v33, v21, v34
	s_waitcnt vmcnt(6)
	v_fmac_f32_e32 v22, v18, v35
	v_fmac_f32_e32 v33, v19, v36
	ds_read_b128 v[18:21], v8 offset:48
	s_waitcnt vmcnt(5) lgkmcnt(2)
	v_fmac_f32_e32 v22, v25, v37
	v_fmac_f32_e32 v33, v26, v38
	s_waitcnt vmcnt(4)
	v_fmac_f32_e32 v22, v27, v39
	v_fmac_f32_e32 v33, v28, v40
	s_waitcnt vmcnt(3) lgkmcnt(1)
	v_fmac_f32_e32 v22, v29, v41
	v_fmac_f32_e32 v33, v30, v42
	s_waitcnt vmcnt(2)
	v_fmac_f32_e32 v22, v31, v43
	v_fmac_f32_e32 v33, v32, v44
	s_waitcnt vmcnt(1) lgkmcnt(0)
	v_fmac_f32_e32 v22, v18, v45
	v_fmac_f32_e32 v33, v19, v46
	v_cndmask_b32_e64 v18, v5, v11, s2
	s_waitcnt vmcnt(0)
	v_fmac_f32_e32 v22, v20, v47
	v_fmac_f32_e32 v33, v21, v48
	v_lshlrev_b32_e32 v19, 2, v18
	v_add_f32_e32 v18, v22, v33
	ds_bpermute_b32 v19, v19, v18
	s_and_saveexec_b32 s36, vcc_lo
	s_cbranch_execz .LBB18_10
; %bb.18:                               ;   in Loop: Header=BB18_12 Depth=1
	v_add_nc_u32_e32 v20, v12, v9
	s_waitcnt lgkmcnt(0)
	v_add_f32_e32 v18, v18, v19
	v_cvt_f32_i32_e32 v20, v20
	v_mul_f32_e32 v20, s33, v20
	v_cndmask_b32_e64 v19, 0, v20, s1
	v_max_f32_e32 v20, v6, v6
	v_fmac_f32_e32 v19, s29, v18
	v_add_nc_u32_e32 v18, v7, v9
	v_max_f32_e32 v20, v20, v19
	v_cmp_gt_i32_e64 s2, s30, v18
	v_cndmask_b32_e64 v18, 0, v19, s2
	v_cndmask_b32_e64 v6, v6, v20, s2
	ds_write_b32 v13, v18
	s_branch .LBB18_10
.LBB18_19:
	s_or_b32 exec_lo, exec_lo, s15
.LBB18_20:
	s_or_b32 exec_lo, exec_lo, s34
	v_xor_b32_e32 v1, 16, v5
	v_xor_b32_e32 v7, 8, v5
	v_max_f32_e32 v8, v6, v6
	v_and_b32_e32 v25, 31, v0
	v_cmp_gt_i32_e32 vcc_lo, 32, v1
	v_cndmask_b32_e32 v1, v5, v1, vcc_lo
	v_cmp_gt_i32_e32 vcc_lo, 32, v7
	v_lshlrev_b32_e32 v1, 2, v1
	ds_bpermute_b32 v2, v1, v6
	v_cndmask_b32_e32 v6, v5, v7, vcc_lo
	v_lshlrev_b32_e32 v6, 2, v6
	s_waitcnt lgkmcnt(0)
	v_max_f32_e32 v2, v2, v2
	v_max_f32_e32 v2, v8, v2
	v_xor_b32_e32 v8, 4, v5
	ds_bpermute_b32 v7, v6, v2
	v_cmp_gt_i32_e32 vcc_lo, 32, v8
	v_cndmask_b32_e32 v8, v5, v8, vcc_lo
	s_waitcnt lgkmcnt(0)
	v_max_f32_e32 v9, v7, v7
	v_lshlrev_b32_e32 v7, 2, v8
	v_max_f32_e32 v2, v2, v9
	v_xor_b32_e32 v9, 2, v5
	ds_bpermute_b32 v8, v7, v2
	v_cmp_gt_i32_e32 vcc_lo, 32, v9
	v_cndmask_b32_e32 v9, v5, v9, vcc_lo
	v_cmp_eq_u32_e32 vcc_lo, 0, v25
	v_lshlrev_b32_e32 v26, 2, v9
	s_waitcnt lgkmcnt(0)
	v_max_f32_e32 v8, v8, v8
	v_max_f32_e32 v2, v2, v8
	v_lshlrev_b32_e32 v8, 2, v23
	ds_bpermute_b32 v9, v26, v2
	s_and_saveexec_b32 s1, vcc_lo
	s_cbranch_execz .LBB18_22
; %bb.21:
	s_waitcnt lgkmcnt(0)
	v_max_f32_e32 v9, v9, v9
	v_max_f32_e32 v2, v2, v2
	;; [unrolled: 1-line block ×3, first 2 shown]
	ds_write_b32 v8, v2 offset:128
.LBB18_22:
	s_or_b32 exec_lo, exec_lo, s1
	v_cmp_gt_u32_e64 s1, 4, v25
	v_mov_b32_e32 v2, 0xff7fffff
	s_waitcnt lgkmcnt(0)
	v_lshlrev_b32_e32 v9, 2, v25
	s_barrier
	buffer_gl0_inv
	s_and_saveexec_b32 s2, s1
; %bb.23:
	ds_read_b32 v2, v9 offset:128
; %bb.24:
	s_or_b32 exec_lo, exec_lo, s2
	s_waitcnt lgkmcnt(0)
	ds_bpermute_b32 v10, v26, v2
	v_xor_b32_e32 v11, 1, v5
	v_max_f32_e32 v2, v2, v2
	v_cmp_gt_i32_e64 s2, 32, v11
	v_cndmask_b32_e64 v5, v5, v11, s2
	s_lshl_b32 s2, s16, 4
	s_min_i32 s4, s2, s30
	v_lshlrev_b32_e32 v27, 2, v5
	v_cmp_gt_i32_e64 s2, s4, v0
	s_waitcnt lgkmcnt(0)
	v_max_f32_e32 v10, v10, v10
	v_max_f32_e32 v2, v2, v10
	ds_bpermute_b32 v5, v27, v2
	s_waitcnt lgkmcnt(0)
	v_max_f32_e32 v5, v5, v5
	v_max_f32_e32 v2, v2, v5
	v_mov_b32_e32 v5, 0
	ds_bpermute_b32 v10, v5, v2
	v_lshl_add_u32 v2, v0, 2, 0xa0
	s_and_saveexec_b32 s5, s2
	s_cbranch_execz .LBB18_28
; %bb.25:
	v_lshl_add_u32 v11, v0, 2, 0xa0
	v_mov_b32_e32 v5, 0
	v_mov_b32_e32 v12, v0
	s_mov_b32 s15, 0
	.p2align	6
.LBB18_26:                              ; =>This Inner Loop Header: Depth=1
	ds_read_b32 v13, v11
	v_add_nc_u32_e32 v12, 0x80, v12
	v_cmp_le_i32_e64 s3, s4, v12
	s_or_b32 s15, s3, s15
	s_waitcnt lgkmcnt(0)
	v_sub_f32_e32 v13, v13, v10
	v_mul_f32_e32 v13, 0x3fb8aa3b, v13
	v_exp_f32_e32 v13, v13
	ds_write_b32 v11, v13
	v_add_f32_e32 v5, v5, v13
	v_add_nc_u32_e32 v11, 0x200, v11
	s_andn2_b32 exec_lo, exec_lo, s15
	s_cbranch_execnz .LBB18_26
; %bb.27:
	s_or_b32 exec_lo, exec_lo, s15
.LBB18_28:
	s_or_b32 exec_lo, exec_lo, s5
	ds_bpermute_b32 v1, v1, v5
	s_waitcnt lgkmcnt(0)
	v_add_f32_e32 v1, v5, v1
	ds_bpermute_b32 v5, v6, v1
	s_waitcnt lgkmcnt(0)
	v_add_f32_e32 v1, v1, v5
	ds_bpermute_b32 v5, v7, v1
	s_waitcnt lgkmcnt(0)
	v_add_f32_e32 v1, v1, v5
	ds_bpermute_b32 v5, v26, v1
	s_waitcnt lgkmcnt(0)
	v_add_f32_e32 v1, v1, v5
	ds_bpermute_b32 v5, v27, v1
	s_waitcnt lgkmcnt(0)
	v_add_f32_e32 v1, v1, v5
	s_and_saveexec_b32 s3, vcc_lo
; %bb.29:
	ds_write_b32 v8, v1 offset:144
; %bb.30:
	s_or_b32 exec_lo, exec_lo, s3
	s_waitcnt lgkmcnt(0)
	s_barrier
	buffer_gl0_inv
	s_and_saveexec_b32 s3, s1
; %bb.31:
	ds_read_b32 v1, v9 offset:144
; %bb.32:
	s_or_b32 exec_lo, exec_lo, s3
	s_waitcnt lgkmcnt(0)
	ds_bpermute_b32 v5, v26, v1
	s_waitcnt lgkmcnt(0)
	v_add_f32_e32 v1, v1, v5
	ds_bpermute_b32 v5, v27, v1
	s_waitcnt lgkmcnt(0)
	v_add_f32_e32 v1, v1, v5
	v_mov_b32_e32 v5, 0
	ds_bpermute_b32 v1, v5, v1
	s_and_saveexec_b32 s1, s2
	s_cbranch_execz .LBB18_35
; %bb.33:
	s_waitcnt lgkmcnt(0)
	v_add_f32_e32 v1, 0x358637bd, v1
	s_mov_b32 s2, 0
	v_div_scale_f32 v5, null, v1, v1, 1.0
	v_div_scale_f32 v8, vcc_lo, 1.0, v1, 1.0
	v_rcp_f32_e32 v6, v5
	v_fma_f32 v7, -v5, v6, 1.0
	v_fmac_f32_e32 v6, v7, v6
	v_mul_f32_e32 v7, v8, v6
	v_fma_f32 v9, -v5, v7, v8
	v_fmac_f32_e32 v7, v9, v6
	v_fma_f32 v5, -v5, v7, v8
	v_div_fmas_f32 v5, v5, v6, v7
	v_div_fixup_f32 v1, v5, v1, 1.0
	v_mov_b32_e32 v5, v0
.LBB18_34:                              ; =>This Inner Loop Header: Depth=1
	ds_read_b32 v6, v2
	v_add_nc_u32_e32 v5, 0x80, v5
	v_cmp_le_i32_e32 vcc_lo, s4, v5
	s_or_b32 s2, vcc_lo, s2
	s_waitcnt lgkmcnt(0)
	v_mul_f32_e32 v6, v1, v6
	ds_write_b32 v2, v6
	v_add_nc_u32_e32 v2, 0x200, v2
	s_andn2_b32 exec_lo, exec_lo, s2
	s_cbranch_execnz .LBB18_34
.LBB18_35:
	s_or_b32 exec_lo, exec_lo, s1
	v_mov_b32_e32 v32, 0
	v_and_b32_e32 v28, 3, v0
	v_mov_b32_e32 v31, 0
	v_mov_b32_e32 v30, 0
	;; [unrolled: 1-line block ×3, first 2 shown]
	s_waitcnt lgkmcnt(0)
	s_barrier
	buffer_gl0_inv
	s_and_saveexec_b32 s1, s0
	s_cbranch_execz .LBB18_49
; %bb.36:
	s_ashr_i32 s15, s14, 31
	s_sub_i32 s2, s28, s17
	s_lshl_b64 s[4:5], s[14:15], 2
	v_lshlrev_b32_e32 v2, 4, v0
	s_add_u32 s0, s26, s4
	s_addc_u32 s5, s27, s5
	s_abs_i32 s3, s18
	v_and_b32_e32 v33, 12, v3
	v_cvt_f32_u32_e32 v1, s3
	s_sub_i32 s4, 0, s3
	v_and_b32_e32 v3, 0x7c, v4
	v_lshlrev_b32_e32 v4, 4, v28
	v_and_b32_e32 v2, 0x1f0, v2
	v_rcp_iflag_f32_e32 v1, v1
	s_lshl_b64 s[14:15], s[24:25], 2
	v_mov_b32_e32 v29, 0
	v_lshl_or_b32 v4, v23, 6, v4
	v_add_co_u32 v34, s0, s0, v2
	v_add_co_ci_u32_e64 v35, null, s5, 0, s0
	v_mov_b32_e32 v30, 0
	v_mov_b32_e32 v31, 0
	v_mul_f32_e32 v1, 0x4f7ffffe, v1
	v_mov_b32_e32 v32, 0
	v_add_nc_u32_e32 v36, 0xa0, v4
	v_mov_b32_e32 v38, v23
	s_mov_b32 s5, 0
	v_cvt_u32_f32_e32 v1, v1
	v_mul_lo_u32 v5, s4, v1
	s_add_i32 s4, s16, -1
	s_add_u32 s14, s22, s14
	s_addc_u32 s15, s23, s15
	v_add_co_u32 v21, s0, s14, v3
	v_add_co_ci_u32_e64 v22, null, s15, 0, s0
	v_mul_hi_u32 v5, v1, v5
	v_add_nc_u32_e32 v37, v1, v5
	s_branch .LBB18_39
.LBB18_37:                              ;   in Loop: Header=BB18_39 Depth=1
	s_or_b32 exec_lo, exec_lo, s0
	s_waitcnt vmcnt(1) lgkmcnt(0)
	v_mul_f32_e32 v13, v1, v13
	v_mul_f32_e32 v9, v1, v9
	;; [unrolled: 1-line block ×3, first 2 shown]
	s_waitcnt vmcnt(0)
	v_mul_f32_e32 v1, v1, v17
	v_fmac_f32_e32 v13, v2, v14
	v_fmac_f32_e32 v9, v2, v10
	;; [unrolled: 1-line block ×12, first 2 shown]
	v_add_f32_e32 v30, v30, v13
	v_add_f32_e32 v31, v31, v9
	;; [unrolled: 1-line block ×4, first 2 shown]
.LBB18_38:                              ;   in Loop: Header=BB18_39 Depth=1
	s_or_b32 exec_lo, exec_lo, s14
	v_add_nc_u32_e32 v38, 4, v38
	v_add_co_u32 v21, s0, v21, 16
	v_add_co_ci_u32_e64 v22, null, 0, v22, s0
	v_cmp_le_i32_e32 vcc_lo, s16, v38
	v_add_nc_u32_e32 v24, 64, v24
	v_add_nc_u32_e32 v36, 0x100, v36
	s_or_b32 s5, vcc_lo, s5
	s_andn2_b32 exec_lo, exec_lo, s5
	s_cbranch_execz .LBB18_48
.LBB18_39:                              ; =>This Inner Loop Header: Depth=1
	v_mul_hi_u32 v1, v24, s21
	v_mul_lo_u32 v2, v1, s12
	v_add_nc_u32_e32 v3, 1, v1
	v_sub_nc_u32_e32 v2, v24, v2
	v_subrev_nc_u32_e32 v4, s12, v2
	v_cmp_le_u32_e32 vcc_lo, s12, v2
	v_cndmask_b32_e32 v1, v1, v3, vcc_lo
	v_cndmask_b32_e32 v2, v2, v4, vcc_lo
	v_add_nc_u32_e32 v3, 1, v1
	v_cmp_le_u32_e32 vcc_lo, s12, v2
	v_cndmask_b32_e32 v1, v1, v3, vcc_lo
	v_xor_b32_e32 v1, s19, v1
	v_subrev_nc_u32_e32 v1, s19, v1
	v_add_nc_u32_e32 v2, s31, v1
	v_cmp_lt_i32_e64 s0, s2, v1
	v_sub_nc_u32_e32 v3, 0, v2
	v_max_i32_e32 v3, v2, v3
	v_ashrrev_i32_e32 v2, 31, v2
	v_mul_hi_u32 v4, v3, v37
	v_mul_lo_u32 v4, v4, s3
	v_sub_nc_u32_e32 v3, v3, v4
	v_subrev_nc_u32_e32 v4, s3, v3
	v_cmp_le_u32_e32 vcc_lo, s3, v3
	v_cndmask_b32_e32 v3, v3, v4, vcc_lo
	v_subrev_nc_u32_e32 v4, s3, v3
	v_cmp_le_u32_e32 vcc_lo, s3, v3
	v_cndmask_b32_e32 v3, v3, v4, vcc_lo
	v_xor_b32_e32 v3, v3, v2
	v_sub_nc_u32_e32 v2, v3, v2
	v_cmp_eq_u32_e32 vcc_lo, 0, v2
	s_or_b32 s0, vcc_lo, s0
	s_and_saveexec_b32 s14, s0
	s_cbranch_execz .LBB18_38
; %bb.40:                               ;   in Loop: Header=BB18_39 Depth=1
	global_load_dword v1, v[21:22], off
	v_add_nc_u32_e32 v39, v33, v24
	v_add_nc_u32_e32 v42, 1, v39
	;; [unrolled: 1-line block ×4, first 2 shown]
	s_waitcnt vmcnt(0)
	v_mad_i64_i32 v[1:2], null, v1, s13, 0
	v_lshlrev_b64 v[1:2], 2, v[1:2]
	v_add_co_u32 v17, vcc_lo, v34, v1
	v_add_co_ci_u32_e64 v18, null, v35, v2, vcc_lo
	ds_read_b128 v[1:4], v36
	v_cmp_eq_u32_e32 vcc_lo, s4, v38
	global_load_dwordx4 v[5:8], v[17:18], off
	s_and_saveexec_b32 s15, vcc_lo
	s_cbranch_execnz .LBB18_44
; %bb.41:                               ;   in Loop: Header=BB18_39 Depth=1
	s_or_b32 exec_lo, exec_lo, s15
	global_load_dwordx4 v[9:12], v[17:18], off offset:512
	s_and_saveexec_b32 s15, vcc_lo
	s_cbranch_execnz .LBB18_45
.LBB18_42:                              ;   in Loop: Header=BB18_39 Depth=1
	s_or_b32 exec_lo, exec_lo, s15
	global_load_dwordx4 v[13:16], v[17:18], off offset:1024
	s_and_saveexec_b32 s15, vcc_lo
	s_cbranch_execnz .LBB18_46
.LBB18_43:                              ;   in Loop: Header=BB18_39 Depth=1
	s_or_b32 exec_lo, exec_lo, s15
	global_load_dwordx4 v[17:20], v[17:18], off offset:1536
	s_and_saveexec_b32 s0, vcc_lo
	s_cbranch_execz .LBB18_37
	s_branch .LBB18_47
.LBB18_44:                              ;   in Loop: Header=BB18_39 Depth=1
	v_cmp_gt_i32_e64 s0, s30, v39
	s_waitcnt vmcnt(0)
	v_cndmask_b32_e64 v5, 0, v5, s0
	v_cmp_gt_i32_e64 s0, s30, v42
	v_cndmask_b32_e64 v6, 0, v6, s0
	v_cmp_gt_i32_e64 s0, s30, v41
	;; [unrolled: 2-line block ×3, first 2 shown]
	v_cndmask_b32_e64 v8, 0, v8, s0
	s_or_b32 exec_lo, exec_lo, s15
	global_load_dwordx4 v[9:12], v[17:18], off offset:512
	s_and_saveexec_b32 s15, vcc_lo
	s_cbranch_execz .LBB18_42
.LBB18_45:                              ;   in Loop: Header=BB18_39 Depth=1
	v_cmp_gt_i32_e64 s0, s30, v39
	s_waitcnt vmcnt(0)
	v_cndmask_b32_e64 v9, 0, v9, s0
	v_cmp_gt_i32_e64 s0, s30, v42
	v_cndmask_b32_e64 v10, 0, v10, s0
	v_cmp_gt_i32_e64 s0, s30, v41
	;; [unrolled: 2-line block ×3, first 2 shown]
	v_cndmask_b32_e64 v12, 0, v12, s0
	s_or_b32 exec_lo, exec_lo, s15
	global_load_dwordx4 v[13:16], v[17:18], off offset:1024
	s_and_saveexec_b32 s15, vcc_lo
	s_cbranch_execz .LBB18_43
.LBB18_46:                              ;   in Loop: Header=BB18_39 Depth=1
	v_cmp_gt_i32_e64 s0, s30, v39
	s_waitcnt vmcnt(0)
	v_cndmask_b32_e64 v13, 0, v13, s0
	v_cmp_gt_i32_e64 s0, s30, v42
	v_cndmask_b32_e64 v14, 0, v14, s0
	v_cmp_gt_i32_e64 s0, s30, v41
	;; [unrolled: 2-line block ×3, first 2 shown]
	v_cndmask_b32_e64 v16, 0, v16, s0
	s_or_b32 exec_lo, exec_lo, s15
	global_load_dwordx4 v[17:20], v[17:18], off offset:1536
	s_and_saveexec_b32 s0, vcc_lo
	s_cbranch_execz .LBB18_37
.LBB18_47:                              ;   in Loop: Header=BB18_39 Depth=1
	v_cmp_gt_i32_e32 vcc_lo, s30, v39
	s_waitcnt vmcnt(0)
	v_cndmask_b32_e32 v17, 0, v17, vcc_lo
	v_cmp_gt_i32_e32 vcc_lo, s30, v42
	v_cndmask_b32_e32 v18, 0, v18, vcc_lo
	v_cmp_gt_i32_e32 vcc_lo, s30, v41
	;; [unrolled: 2-line block ×3, first 2 shown]
	v_cndmask_b32_e32 v20, 0, v20, vcc_lo
	s_branch .LBB18_37
.LBB18_48:
	s_or_b32 exec_lo, exec_lo, s5
.LBB18_49:
	s_or_b32 exec_lo, exec_lo, s1
	ds_bpermute_b32 v1, v26, v32
	ds_bpermute_b32 v2, v26, v31
	;; [unrolled: 1-line block ×4, first 2 shown]
	v_and_b32_e32 v6, 28, v25
	v_lshrrev_b32_e32 v5, 2, v25
	v_and_b32_e32 v11, 0x3c3, v0
	s_mov_b32 s0, exec_lo
	s_waitcnt lgkmcnt(0)
	v_add_nc_u32_e32 v6, 0xa0, v6
	s_barrier
	buffer_gl0_inv
	v_add_f32_e32 v1, v32, v1
	v_add_f32_e32 v2, v31, v2
	;; [unrolled: 1-line block ×4, first 2 shown]
	ds_bpermute_b32 v7, v27, v1
	ds_bpermute_b32 v8, v27, v2
	;; [unrolled: 1-line block ×4, first 2 shown]
	s_waitcnt lgkmcnt(3)
	v_add_f32_e32 v1, v1, v7
	s_waitcnt lgkmcnt(2)
	v_add_f32_e32 v2, v2, v8
	;; [unrolled: 2-line block ×4, first 2 shown]
	v_cmpx_eq_u32_e32 64, v11
	s_cbranch_execz .LBB18_51
; %bb.50:
	v_lshl_add_u32 v7, v23, 7, v6
	v_add_nc_u32_e32 v8, 0xffffff00, v7
	v_add_nc_u32_e32 v9, 0xffffff20, v7
	;; [unrolled: 1-line block ×4, first 2 shown]
	ds_write_b32 v8, v1
	ds_write_b32 v9, v2
	;; [unrolled: 1-line block ×4, first 2 shown]
.LBB18_51:
	s_or_b32 exec_lo, exec_lo, s0
	v_and_b32_e32 v7, 0x3e0, v0
	v_lshlrev_b32_e32 v5, 2, v5
	s_mov_b32 s1, exec_lo
	v_cmp_eq_u32_e32 vcc_lo, 0, v28
	s_waitcnt lgkmcnt(0)
	v_lshlrev_b32_e32 v7, 2, v7
	s_barrier
	buffer_gl0_inv
	v_add3_u32 v5, 0xa0, v7, v5
	v_cmpx_gt_u32_e32 64, v0
	s_cbranch_execz .LBB18_58
; %bb.52:
	s_and_saveexec_b32 s0, vcc_lo
	s_cbranch_execnz .LBB18_70
; %bb.53:
	s_or_b32 exec_lo, exec_lo, s0
	s_and_saveexec_b32 s0, vcc_lo
	s_cbranch_execnz .LBB18_71
.LBB18_54:
	s_or_b32 exec_lo, exec_lo, s0
	s_and_saveexec_b32 s0, vcc_lo
	s_cbranch_execnz .LBB18_72
.LBB18_55:
	s_or_b32 exec_lo, exec_lo, s0
	s_and_saveexec_b32 s0, vcc_lo
	s_cbranch_execz .LBB18_57
.LBB18_56:
	ds_read_b32 v7, v5 offset:96
	s_waitcnt lgkmcnt(0)
	v_add_f32_e32 v4, v4, v7
.LBB18_57:
	s_or_b32 exec_lo, exec_lo, s0
.LBB18_58:
	s_or_b32 exec_lo, exec_lo, s1
	v_and_b32_e32 v7, 0x3e3, v0
	s_mov_b32 s1, exec_lo
	s_barrier
	buffer_gl0_inv
	v_cmpx_eq_u32_e32 32, v7
	s_cbranch_execz .LBB18_60
; %bb.59:
	ds_write2_b32 v6, v1, v2 offset1:8
	ds_write2_b32 v6, v3, v4 offset0:16 offset1:24
.LBB18_60:
	s_or_b32 exec_lo, exec_lo, s1
	s_mov_b32 s1, exec_lo
	s_waitcnt lgkmcnt(0)
	s_barrier
	buffer_gl0_inv
	v_cmpx_gt_u32_e32 32, v0
	s_cbranch_execz .LBB18_67
; %bb.61:
	s_and_saveexec_b32 s0, vcc_lo
	s_cbranch_execnz .LBB18_73
; %bb.62:
	s_or_b32 exec_lo, exec_lo, s0
	s_and_saveexec_b32 s0, vcc_lo
	s_cbranch_execnz .LBB18_74
.LBB18_63:
	s_or_b32 exec_lo, exec_lo, s0
	s_and_saveexec_b32 s0, vcc_lo
	s_cbranch_execnz .LBB18_75
.LBB18_64:
	s_or_b32 exec_lo, exec_lo, s0
	s_and_saveexec_b32 s0, vcc_lo
	s_cbranch_execz .LBB18_66
.LBB18_65:
	ds_read_b32 v5, v5 offset:96
	s_waitcnt lgkmcnt(0)
	v_add_f32_e32 v4, v4, v5
.LBB18_66:
	s_or_b32 exec_lo, exec_lo, s0
.LBB18_67:
	s_or_b32 exec_lo, exec_lo, s1
	s_barrier
	buffer_gl0_inv
	s_mov_b32 s0, exec_lo
	v_cmpx_eq_u32_e32 0, v7
	s_cbranch_execz .LBB18_69
; %bb.68:
	s_mul_i32 s0, s10, s11
	s_mul_i32 s2, s11, s20
	;; [unrolled: 1-line block ×3, first 2 shown]
	s_lshl_b32 s0, s0, 5
	s_ashr_i32 s1, s0, 31
	s_lshl_b64 s[0:1], s[0:1], 2
	s_add_u32 s4, s6, s0
	s_addc_u32 s5, s7, s1
	s_ashr_i32 s3, s2, 31
	s_lshl_b64 s[0:1], s[2:3], 2
	s_add_u32 s2, s4, s0
	s_addc_u32 s3, s5, s1
	s_lshl_b32 s0, s8, 5
	s_ashr_i32 s1, s0, 31
	s_lshl_b64 s[0:1], s[0:1], 2
	s_add_u32 s0, s2, s0
	s_addc_u32 s1, s3, s1
	global_store_dword v0, v1, s[0:1]
	global_store_dword v0, v2, s[0:1] offset:32
	global_store_dword v0, v3, s[0:1] offset:64
	;; [unrolled: 1-line block ×3, first 2 shown]
.LBB18_69:
	s_endpgm
.LBB18_70:
	ds_read_b32 v7, v5
	s_waitcnt lgkmcnt(0)
	v_add_f32_e32 v1, v1, v7
	s_or_b32 exec_lo, exec_lo, s0
	s_and_saveexec_b32 s0, vcc_lo
	s_cbranch_execz .LBB18_54
.LBB18_71:
	ds_read_b32 v7, v5 offset:32
	s_waitcnt lgkmcnt(0)
	v_add_f32_e32 v2, v2, v7
	s_or_b32 exec_lo, exec_lo, s0
	s_and_saveexec_b32 s0, vcc_lo
	s_cbranch_execz .LBB18_55
.LBB18_72:
	ds_read_b32 v7, v5 offset:64
	s_waitcnt lgkmcnt(0)
	v_add_f32_e32 v3, v3, v7
	s_or_b32 exec_lo, exec_lo, s0
	s_and_saveexec_b32 s0, vcc_lo
	s_cbranch_execnz .LBB18_56
	s_branch .LBB18_57
.LBB18_73:
	ds_read_b32 v6, v5
	s_waitcnt lgkmcnt(0)
	v_add_f32_e32 v1, v1, v6
	s_or_b32 exec_lo, exec_lo, s0
	s_and_saveexec_b32 s0, vcc_lo
	s_cbranch_execz .LBB18_63
.LBB18_74:
	ds_read_b32 v6, v5 offset:32
	s_waitcnt lgkmcnt(0)
	v_add_f32_e32 v2, v2, v6
	s_or_b32 exec_lo, exec_lo, s0
	s_and_saveexec_b32 s0, vcc_lo
	s_cbranch_execz .LBB18_64
.LBB18_75:
	ds_read_b32 v6, v5 offset:64
	s_waitcnt lgkmcnt(0)
	v_add_f32_e32 v3, v3, v6
	s_or_b32 exec_lo, exec_lo, s0
	s_and_saveexec_b32 s0, vcc_lo
	s_cbranch_execnz .LBB18_65
	s_branch .LBB18_66
	.section	.rodata,"a",@progbits
	.p2align	6, 0x0
	.amdhsa_kernel _ZN4vllm25paged_attention_v1_kernelIffLi32ELi16ELi128ELNS_18Fp8KVCacheDataTypeE0ELb1EEEvPT_PKS2_PKT0_S8_ifPKiSA_iPKfiiiSC_SC_iiiii
		.amdhsa_group_segment_fixed_size 160
		.amdhsa_private_segment_fixed_size 0
		.amdhsa_kernarg_size 384
		.amdhsa_user_sgpr_count 6
		.amdhsa_user_sgpr_private_segment_buffer 1
		.amdhsa_user_sgpr_dispatch_ptr 0
		.amdhsa_user_sgpr_queue_ptr 0
		.amdhsa_user_sgpr_kernarg_segment_ptr 1
		.amdhsa_user_sgpr_dispatch_id 0
		.amdhsa_user_sgpr_flat_scratch_init 0
		.amdhsa_user_sgpr_private_segment_size 0
		.amdhsa_wavefront_size32 1
		.amdhsa_uses_dynamic_stack 0
		.amdhsa_system_sgpr_private_segment_wavefront_offset 0
		.amdhsa_system_sgpr_workgroup_id_x 1
		.amdhsa_system_sgpr_workgroup_id_y 1
		.amdhsa_system_sgpr_workgroup_id_z 1
		.amdhsa_system_sgpr_workgroup_info 0
		.amdhsa_system_vgpr_workitem_id 0
		.amdhsa_next_free_vgpr 49
		.amdhsa_next_free_sgpr 38
		.amdhsa_reserve_vcc 1
		.amdhsa_reserve_flat_scratch 0
		.amdhsa_float_round_mode_32 0
		.amdhsa_float_round_mode_16_64 0
		.amdhsa_float_denorm_mode_32 3
		.amdhsa_float_denorm_mode_16_64 3
		.amdhsa_dx10_clamp 1
		.amdhsa_ieee_mode 1
		.amdhsa_fp16_overflow 0
		.amdhsa_workgroup_processor_mode 1
		.amdhsa_memory_ordered 1
		.amdhsa_forward_progress 1
		.amdhsa_shared_vgpr_count 0
		.amdhsa_exception_fp_ieee_invalid_op 0
		.amdhsa_exception_fp_denorm_src 0
		.amdhsa_exception_fp_ieee_div_zero 0
		.amdhsa_exception_fp_ieee_overflow 0
		.amdhsa_exception_fp_ieee_underflow 0
		.amdhsa_exception_fp_ieee_inexact 0
		.amdhsa_exception_int_div_zero 0
	.end_amdhsa_kernel
	.section	.text._ZN4vllm25paged_attention_v1_kernelIffLi32ELi16ELi128ELNS_18Fp8KVCacheDataTypeE0ELb1EEEvPT_PKS2_PKT0_S8_ifPKiSA_iPKfiiiSC_SC_iiiii,"axG",@progbits,_ZN4vllm25paged_attention_v1_kernelIffLi32ELi16ELi128ELNS_18Fp8KVCacheDataTypeE0ELb1EEEvPT_PKS2_PKT0_S8_ifPKiSA_iPKfiiiSC_SC_iiiii,comdat
.Lfunc_end18:
	.size	_ZN4vllm25paged_attention_v1_kernelIffLi32ELi16ELi128ELNS_18Fp8KVCacheDataTypeE0ELb1EEEvPT_PKS2_PKT0_S8_ifPKiSA_iPKfiiiSC_SC_iiiii, .Lfunc_end18-_ZN4vllm25paged_attention_v1_kernelIffLi32ELi16ELi128ELNS_18Fp8KVCacheDataTypeE0ELb1EEEvPT_PKS2_PKT0_S8_ifPKiSA_iPKfiiiSC_SC_iiiii
                                        ; -- End function
	.set _ZN4vllm25paged_attention_v1_kernelIffLi32ELi16ELi128ELNS_18Fp8KVCacheDataTypeE0ELb1EEEvPT_PKS2_PKT0_S8_ifPKiSA_iPKfiiiSC_SC_iiiii.num_vgpr, 49
	.set _ZN4vllm25paged_attention_v1_kernelIffLi32ELi16ELi128ELNS_18Fp8KVCacheDataTypeE0ELb1EEEvPT_PKS2_PKT0_S8_ifPKiSA_iPKfiiiSC_SC_iiiii.num_agpr, 0
	.set _ZN4vllm25paged_attention_v1_kernelIffLi32ELi16ELi128ELNS_18Fp8KVCacheDataTypeE0ELb1EEEvPT_PKS2_PKT0_S8_ifPKiSA_iPKfiiiSC_SC_iiiii.numbered_sgpr, 38
	.set _ZN4vllm25paged_attention_v1_kernelIffLi32ELi16ELi128ELNS_18Fp8KVCacheDataTypeE0ELb1EEEvPT_PKS2_PKT0_S8_ifPKiSA_iPKfiiiSC_SC_iiiii.num_named_barrier, 0
	.set _ZN4vllm25paged_attention_v1_kernelIffLi32ELi16ELi128ELNS_18Fp8KVCacheDataTypeE0ELb1EEEvPT_PKS2_PKT0_S8_ifPKiSA_iPKfiiiSC_SC_iiiii.private_seg_size, 0
	.set _ZN4vllm25paged_attention_v1_kernelIffLi32ELi16ELi128ELNS_18Fp8KVCacheDataTypeE0ELb1EEEvPT_PKS2_PKT0_S8_ifPKiSA_iPKfiiiSC_SC_iiiii.uses_vcc, 1
	.set _ZN4vllm25paged_attention_v1_kernelIffLi32ELi16ELi128ELNS_18Fp8KVCacheDataTypeE0ELb1EEEvPT_PKS2_PKT0_S8_ifPKiSA_iPKfiiiSC_SC_iiiii.uses_flat_scratch, 0
	.set _ZN4vllm25paged_attention_v1_kernelIffLi32ELi16ELi128ELNS_18Fp8KVCacheDataTypeE0ELb1EEEvPT_PKS2_PKT0_S8_ifPKiSA_iPKfiiiSC_SC_iiiii.has_dyn_sized_stack, 0
	.set _ZN4vllm25paged_attention_v1_kernelIffLi32ELi16ELi128ELNS_18Fp8KVCacheDataTypeE0ELb1EEEvPT_PKS2_PKT0_S8_ifPKiSA_iPKfiiiSC_SC_iiiii.has_recursion, 0
	.set _ZN4vllm25paged_attention_v1_kernelIffLi32ELi16ELi128ELNS_18Fp8KVCacheDataTypeE0ELb1EEEvPT_PKS2_PKT0_S8_ifPKiSA_iPKfiiiSC_SC_iiiii.has_indirect_call, 0
	.section	.AMDGPU.csdata,"",@progbits
; Kernel info:
; codeLenInByte = 4344
; TotalNumSgprs: 40
; NumVgprs: 49
; ScratchSize: 0
; MemoryBound: 0
; FloatMode: 240
; IeeeMode: 1
; LDSByteSize: 160 bytes/workgroup (compile time only)
; SGPRBlocks: 0
; VGPRBlocks: 6
; NumSGPRsForWavesPerEU: 40
; NumVGPRsForWavesPerEU: 49
; Occupancy: 16
; WaveLimiterHint : 1
; COMPUTE_PGM_RSRC2:SCRATCH_EN: 0
; COMPUTE_PGM_RSRC2:USER_SGPR: 6
; COMPUTE_PGM_RSRC2:TRAP_HANDLER: 0
; COMPUTE_PGM_RSRC2:TGID_X_EN: 1
; COMPUTE_PGM_RSRC2:TGID_Y_EN: 1
; COMPUTE_PGM_RSRC2:TGID_Z_EN: 1
; COMPUTE_PGM_RSRC2:TIDIG_COMP_CNT: 0
	.section	.text._ZN4vllm25paged_attention_v1_kernelIffLi64ELi16ELi128ELNS_18Fp8KVCacheDataTypeE0ELb1EEEvPT_PKS2_PKT0_S8_ifPKiSA_iPKfiiiSC_SC_iiiii,"axG",@progbits,_ZN4vllm25paged_attention_v1_kernelIffLi64ELi16ELi128ELNS_18Fp8KVCacheDataTypeE0ELb1EEEvPT_PKS2_PKT0_S8_ifPKiSA_iPKfiiiSC_SC_iiiii,comdat
	.protected	_ZN4vllm25paged_attention_v1_kernelIffLi64ELi16ELi128ELNS_18Fp8KVCacheDataTypeE0ELb1EEEvPT_PKS2_PKT0_S8_ifPKiSA_iPKfiiiSC_SC_iiiii ; -- Begin function _ZN4vllm25paged_attention_v1_kernelIffLi64ELi16ELi128ELNS_18Fp8KVCacheDataTypeE0ELb1EEEvPT_PKS2_PKT0_S8_ifPKiSA_iPKfiiiSC_SC_iiiii
	.globl	_ZN4vllm25paged_attention_v1_kernelIffLi64ELi16ELi128ELNS_18Fp8KVCacheDataTypeE0ELb1EEEvPT_PKS2_PKT0_S8_ifPKiSA_iPKfiiiSC_SC_iiiii
	.p2align	8
	.type	_ZN4vllm25paged_attention_v1_kernelIffLi64ELi16ELi128ELNS_18Fp8KVCacheDataTypeE0ELb1EEEvPT_PKS2_PKT0_S8_ifPKiSA_iPKfiiiSC_SC_iiiii,@function
_ZN4vllm25paged_attention_v1_kernelIffLi64ELi16ELi128ELNS_18Fp8KVCacheDataTypeE0ELb1EEEvPT_PKS2_PKT0_S8_ifPKiSA_iPKfiiiSC_SC_iiiii: ; @_ZN4vllm25paged_attention_v1_kernelIffLi64ELi16ELi128ELNS_18Fp8KVCacheDataTypeE0ELb1EEEvPT_PKS2_PKT0_S8_ifPKiSA_iPKfiiiSC_SC_iiiii
; %bb.0:
	s_clause 0x2
	s_load_dword s9, s[4:5], 0x80
	s_load_dwordx2 s[0:1], s[4:5], 0x30
	s_load_dwordx2 s[28:29], s[4:5], 0x20
	s_mov_b32 s10, s7
	s_ashr_i32 s11, s7, 31
	s_mov_b32 s33, 0
	s_lshl_b64 s[2:3], s[10:11], 2
	s_waitcnt lgkmcnt(0)
	s_add_u32 s0, s0, s2
	s_addc_u32 s1, s1, s3
	s_abs_i32 s2, s28
	s_abs_i32 s11, s9
	v_cvt_f32_u32_e32 v1, s2
	s_sub_i32 s7, 0, s2
	v_rcp_iflag_f32_e32 v1, v1
	v_mul_f32_e32 v1, 0x4f7ffffe, v1
	v_cvt_u32_f32_e32 v1, v1
	v_readfirstlane_b32 s3, v1
	s_mul_i32 s7, s7, s3
	s_mul_hi_u32 s7, s3, s7
	s_add_i32 s3, s3, s7
	s_xor_b32 s7, s9, s28
	s_mul_hi_u32 s3, s11, s3
	s_ashr_i32 s7, s7, 31
	s_mul_i32 s12, s3, s2
	s_sub_i32 s11, s11, s12
	s_add_i32 s12, s3, 1
	s_sub_i32 s13, s11, s2
	s_cmp_ge_u32 s11, s2
	s_cselect_b32 s3, s12, s3
	s_cselect_b32 s11, s13, s11
	s_add_i32 s12, s3, 1
	s_cmp_ge_u32 s11, s2
	s_cselect_b32 s2, s12, s3
	s_abs_i32 s22, s6
	s_xor_b32 s2, s2, s7
	s_sub_i32 s16, s2, s7
	s_load_dwordx2 s[2:3], s[4:5], 0x40
	s_abs_i32 s11, s16
	v_cvt_f32_u32_e32 v1, s11
	s_sub_i32 s12, 0, s11
	v_rcp_iflag_f32_e32 v1, v1
	v_mul_f32_e32 v1, 0x4f7ffffe, v1
	v_cvt_u32_f32_e32 v1, v1
	v_readfirstlane_b32 s7, v1
	s_mul_i32 s12, s12, s7
	s_mul_hi_u32 s12, s7, s12
	s_add_i32 s7, s7, s12
	s_waitcnt lgkmcnt(0)
	s_cmp_eq_u64 s[2:3], 0
	s_mul_hi_u32 s23, s22, s7
	s_cbranch_scc1 .LBB19_2
; %bb.1:
	s_ashr_i32 s7, s6, 31
	s_lshl_b64 s[12:13], s[6:7], 2
	s_add_u32 s2, s2, s12
	s_addc_u32 s3, s3, s13
	s_load_dword s33, s[2:3], 0x0
.LBB19_2:
	s_load_dword s30, s[0:1], 0x0
	s_load_dwordx4 s[12:15], s[4:5], 0x48
	v_and_b32_e32 v1, 1, v0
	v_cmp_gt_u32_e64 s0, 32, v0
	v_lshlrev_b32_e32 v2, 3, v0
	v_lshlrev_b32_e32 v3, 2, v0
	s_ashr_i32 s1, s6, 31
	s_ashr_i32 s2, s16, 31
	s_lshl_b32 s20, s6, 6
	s_and_saveexec_b32 s3, s0
	s_cbranch_execz .LBB19_4
; %bb.3:
	s_load_dwordx2 s[16:17], s[4:5], 0x8
	s_waitcnt lgkmcnt(0)
	s_mul_i32 s18, s12, s10
	v_and_b32_e32 v6, 0xff8, v3
	s_ashr_i32 s19, s18, 31
	s_lshl_b64 s[18:19], s[18:19], 2
	v_lshl_add_u32 v6, v1, 7, v6
	s_add_u32 s7, s16, s18
	s_addc_u32 s12, s17, s19
	s_ashr_i32 s21, s20, 31
	s_lshl_b64 s[16:17], s[20:21], 2
	s_add_u32 s16, s7, s16
	s_addc_u32 s17, s12, s17
	global_load_dwordx2 v[4:5], v2, s[16:17]
	s_waitcnt vmcnt(0)
	ds_write_b64 v6, v[4:5]
.LBB19_4:
	s_or_b32 exec_lo, exec_lo, s3
	s_load_dwordx4 s[16:19], s[4:5], 0x68
	s_mul_i32 s3, s23, s11
	s_xor_b32 s2, s1, s2
	s_sub_i32 s1, s22, s3
	s_add_i32 s3, s23, 1
	s_sub_i32 s7, s1, s11
	s_cmp_ge_u32 s1, s11
	s_waitcnt lgkmcnt(0)
	s_mov_b32 s15, -1
	s_cselect_b32 s3, s3, s23
	s_cselect_b32 s1, s7, s1
	s_add_i32 s7, s3, 1
	s_cmp_ge_u32 s1, s11
	s_load_dword s1, s[4:5], 0x78
	s_cselect_b32 s3, s7, s3
	s_add_i32 s11, s30, -1
	s_xor_b32 s3, s3, s2
	s_abs_i32 s7, s11
	s_sub_i32 s2, s3, s2
	s_waitcnt lgkmcnt(0)
	s_barrier
	s_abs_i32 s12, s19
	buffer_gl0_inv
	v_cvt_f32_u32_e32 v4, s12
	s_sub_i32 s3, 0, s12
                                        ; implicit-def: $sgpr31
	v_rcp_iflag_f32_e32 v4, v4
	v_mul_f32_e32 v4, 0x4f7ffffe, v4
	v_cvt_u32_f32_e32 v4, v4
	v_readfirstlane_b32 s21, v4
	s_mul_i32 s3, s3, s21
	s_mul_hi_u32 s3, s21, s3
	s_add_i32 s21, s21, s3
	s_cmp_lt_i32 s1, 0
	s_mul_hi_u32 s3, s7, s21
	s_cbranch_scc0 .LBB19_6
; %bb.5:
	s_mul_i32 s15, s16, s28
	s_add_i32 s15, s2, s15
	s_mul_i32 s15, s15, s1
	s_sub_i32 s31, 1, s15
	s_mov_b32 s15, 0
.LBB19_6:
	s_load_dwordx2 s[22:23], s[4:5], 0x28
	s_ashr_i32 s11, s11, 31
	s_andn2_b32 vcc_lo, exec_lo, s15
	s_ashr_i32 s19, s19, 31
	s_cbranch_vccnz .LBB19_8
; %bb.7:
	s_mul_i32 s15, s9, s16
	s_add_i32 s6, s15, s6
	s_mul_i32 s1, s6, s1
	s_add_i32 s31, s1, 1
.LBB19_8:
	s_load_dword s1, s[4:5], 0x38
	s_mul_i32 s6, s3, s12
	s_xor_b32 s15, s11, s19
	s_sub_i32 s28, s7, s6
	s_add_i32 s16, s3, 1
	s_clause 0x2
	s_load_dwordx2 s[6:7], s[4:5], 0x0
	s_load_dwordx2 s[26:27], s[4:5], 0x18
	s_load_dword s11, s[4:5], 0x88
	v_lshrrev_b32_e32 v39, 5, v0
	v_mov_b32_e32 v6, 0xff7fffff
	v_lshrrev_b32_e32 v4, 3, v0
	v_mbcnt_lo_u32_b32 v5, -1, 0
	s_mul_i32 s14, s2, s14
	v_lshlrev_b32_e32 v40, 4, v39
	s_waitcnt lgkmcnt(0)
	s_mul_i32 s24, s1, s10
	s_sub_i32 s1, s28, s12
	s_ashr_i32 s25, s24, 31
	s_cmp_ge_u32 s28, s12
	s_cselect_b32 s3, s16, s3
	s_cselect_b32 s1, s1, s28
	s_add_i32 s16, s3, 1
	s_cmp_ge_u32 s1, s12
	s_cselect_b32 s1, s16, s3
	s_add_i32 s3, s30, 15
	s_ashr_i32 s16, s3, 31
	s_lshr_b32 s16, s16, 28
	s_add_i32 s3, s3, s16
	s_ashr_i32 s16, s3, 4
	s_xor_b32 s3, s1, s15
	v_cmp_gt_i32_e64 s1, s16, v39
	s_sub_i32 s28, s3, s15
	s_and_saveexec_b32 s34, s1
	s_cbranch_execz .LBB19_20
; %bb.9:
	s_load_dwordx2 s[2:3], s[4:5], 0x10
	s_ashr_i32 s15, s14, 31
	s_sub_i32 s5, s28, s17
	s_lshl_b64 s[36:37], s[14:15], 2
	v_bfe_u32 v7, v0, 1, 4
	v_and_b32_e32 v14, 8, v2
	v_cmp_eq_u32_e32 vcc_lo, 0, v1
	v_lshlrev_b32_e32 v8, 7, v1
	v_and_b32_e32 v1, 0x7c, v4
	v_lshlrev_b32_e32 v2, 2, v7
	v_subrev_nc_u32_e32 v13, s30, v7
	v_lshlrev_b32_e32 v15, 4, v7
	v_lshlrev_b32_e32 v9, 4, v39
	v_mov_b32_e32 v10, 0xff7fffff
	v_lshl_or_b32 v2, v39, 6, v2
	v_xor_b32_e32 v11, 1, v5
	s_waitcnt lgkmcnt(0)
	s_add_u32 s4, s2, s36
	s_addc_u32 s3, s3, s37
	s_abs_i32 s15, s18
	s_lshl_b64 s[36:37], s[24:25], 2
	v_cvt_f32_u32_e32 v6, s15
	s_sub_i32 s35, 0, s15
	v_add_co_u32 v15, s4, s4, v15
	v_add_co_ci_u32_e64 v17, null, s3, 0, s4
	v_rcp_iflag_f32_e32 v6, v6
	s_add_u32 s3, s22, s36
	s_addc_u32 s4, s23, s37
	v_add_co_u32 v1, s3, s3, v1
	v_cmp_neq_f32_e64 s2, s33, 0
	s_mov_b32 s36, s13
	v_mul_f32_e32 v12, 0x4f7ffffe, v6
	v_mov_b32_e32 v6, 0xff7fffff
	v_cvt_u32_f32_e32 v16, v12
	v_add_nc_u32_e32 v12, 1, v13
	v_add_nc_u32_e32 v13, 0x120, v2
	v_mul_lo_u32 v2, s35, v16
	s_mov_b32 s35, 0
	v_mul_hi_u32 v18, v16, v2
	v_add_co_ci_u32_e64 v2, null, s4, 0, s3
	v_add_co_u32 v14, s3, v15, v14
	v_add_co_ci_u32_e64 v15, null, 0, v17, s3
	v_mov_b32_e32 v17, v39
	v_add_nc_u32_e32 v16, v16, v18
	s_branch .LBB19_12
.LBB19_10:                              ;   in Loop: Header=BB19_12 Depth=1
	s_or_b32 exec_lo, exec_lo, s37
.LBB19_11:                              ;   in Loop: Header=BB19_12 Depth=1
	s_or_b32 exec_lo, exec_lo, s4
	v_add_nc_u32_e32 v17, 4, v17
	v_add_co_u32 v1, s4, v1, 16
	v_add_co_ci_u32_e64 v2, null, 0, v2, s4
	v_cmp_le_i32_e64 s3, s16, v17
	v_add_nc_u32_e32 v9, 64, v9
	v_add_nc_u32_e32 v13, 0x100, v13
	s_or_b32 s35, s3, s35
	s_andn2_b32 exec_lo, exec_lo, s35
	s_cbranch_execz .LBB19_19
.LBB19_12:                              ; =>This Inner Loop Header: Depth=1
	v_mul_hi_u32 v18, v9, s21
	s_waitcnt lgkmcnt(0)
	v_mul_lo_u32 v19, v18, s12
	v_add_nc_u32_e32 v20, 1, v18
	v_sub_nc_u32_e32 v19, v9, v19
	v_subrev_nc_u32_e32 v21, s12, v19
	v_cmp_le_u32_e64 s3, s12, v19
	v_cndmask_b32_e64 v18, v18, v20, s3
	v_cndmask_b32_e64 v19, v19, v21, s3
	v_add_nc_u32_e32 v20, 1, v18
	v_cmp_le_u32_e64 s3, s12, v19
	v_cndmask_b32_e64 v18, v18, v20, s3
	v_xor_b32_e32 v18, s19, v18
	v_subrev_nc_u32_e32 v18, s19, v18
	v_add_nc_u32_e32 v19, s31, v18
	v_cmp_ge_i32_e64 s4, s5, v18
	v_sub_nc_u32_e32 v20, 0, v19
	v_max_i32_e32 v20, v19, v20
	v_ashrrev_i32_e32 v19, 31, v19
	v_mul_hi_u32 v21, v20, v16
	v_mul_lo_u32 v21, v21, s15
	v_sub_nc_u32_e32 v20, v20, v21
	v_subrev_nc_u32_e32 v21, s15, v20
	v_cmp_le_u32_e64 s3, s15, v20
	v_cndmask_b32_e64 v20, v20, v21, s3
	v_subrev_nc_u32_e32 v21, s15, v20
	v_cmp_le_u32_e64 s3, s15, v20
	v_cndmask_b32_e64 v20, v20, v21, s3
	v_xor_b32_e32 v20, v20, v19
	v_sub_nc_u32_e32 v19, v20, v19
	v_cmp_ne_u32_e64 s3, 0, v19
	s_and_b32 s3, s3, s4
	s_and_saveexec_b32 s4, s3
	s_xor_b32 s3, exec_lo, s4
	s_cbranch_execz .LBB19_16
; %bb.13:                               ;   in Loop: Header=BB19_12 Depth=1
	s_and_saveexec_b32 s4, vcc_lo
; %bb.14:                               ;   in Loop: Header=BB19_12 Depth=1
	ds_write_b32 v13, v10
; %bb.15:                               ;   in Loop: Header=BB19_12 Depth=1
	s_or_b32 exec_lo, exec_lo, s4
.LBB19_16:                              ;   in Loop: Header=BB19_12 Depth=1
	s_andn2_saveexec_b32 s4, s3
	s_cbranch_execz .LBB19_11
; %bb.17:                               ;   in Loop: Header=BB19_12 Depth=1
	global_load_dword v18, v[1:2], off
	s_waitcnt vmcnt(0)
	v_mad_i64_i32 v[18:19], null, v18, s36, 0
	v_lshlrev_b64 v[18:19], 2, v[18:19]
	v_add_co_u32 v18, s3, v14, v18
	v_add_co_ci_u32_e64 v19, null, v15, v19, s3
	s_clause 0x7
	global_load_dwordx2 v[30:31], v[18:19], off offset:256
	global_load_dwordx2 v[32:33], v[18:19], off
	global_load_dwordx2 v[34:35], v[18:19], off offset:512
	global_load_dwordx2 v[36:37], v[18:19], off offset:768
	;; [unrolled: 1-line block ×6, first 2 shown]
	v_add_co_u32 v18, s3, 0x800, v18
	v_add_co_ci_u32_e64 v19, null, 0, v19, s3
	v_cmp_gt_i32_e64 s3, 32, v11
	s_clause 0x7
	global_load_dwordx2 v[49:50], v[18:19], off
	global_load_dwordx2 v[51:52], v[18:19], off offset:256
	global_load_dwordx2 v[53:54], v[18:19], off offset:512
	;; [unrolled: 1-line block ×7, first 2 shown]
	ds_read_b128 v[18:21], v8
	ds_read_b128 v[22:25], v8 offset:16
	ds_read_b128 v[26:29], v8 offset:32
	s_waitcnt vmcnt(15) lgkmcnt(2)
	v_mul_f32_e32 v30, v20, v30
	v_mul_f32_e32 v31, v21, v31
	s_waitcnt vmcnt(14)
	v_fmac_f32_e32 v30, v18, v32
	v_fmac_f32_e32 v31, v19, v33
	ds_read_b128 v[18:21], v8 offset:48
	s_waitcnt vmcnt(13) lgkmcnt(2)
	v_fmac_f32_e32 v30, v22, v34
	v_fmac_f32_e32 v31, v23, v35
	s_waitcnt vmcnt(12)
	v_fmac_f32_e32 v30, v24, v36
	v_fmac_f32_e32 v31, v25, v37
	ds_read_b128 v[22:25], v8 offset:64
	s_waitcnt vmcnt(11) lgkmcnt(2)
	v_fmac_f32_e32 v30, v26, v41
	v_fmac_f32_e32 v31, v27, v42
	;; [unrolled: 7-line block ×5, first 2 shown]
	s_waitcnt vmcnt(4)
	v_fmac_f32_e32 v30, v28, v55
	v_fmac_f32_e32 v31, v29, v56
	s_waitcnt vmcnt(3) lgkmcnt(1)
	v_fmac_f32_e32 v30, v18, v57
	v_fmac_f32_e32 v31, v19, v58
	v_cndmask_b32_e64 v18, v5, v11, s3
	s_waitcnt vmcnt(2)
	v_fmac_f32_e32 v30, v20, v59
	v_fmac_f32_e32 v31, v21, v60
	v_lshlrev_b32_e32 v19, 2, v18
	s_waitcnt vmcnt(1) lgkmcnt(0)
	v_fmac_f32_e32 v30, v22, v61
	v_fmac_f32_e32 v31, v23, v62
	s_waitcnt vmcnt(0)
	v_fmac_f32_e32 v30, v24, v63
	v_fmac_f32_e32 v31, v25, v64
	v_add_f32_e32 v18, v30, v31
	ds_bpermute_b32 v19, v19, v18
	s_and_saveexec_b32 s37, vcc_lo
	s_cbranch_execz .LBB19_10
; %bb.18:                               ;   in Loop: Header=BB19_12 Depth=1
	v_add_nc_u32_e32 v20, v12, v9
	s_waitcnt lgkmcnt(0)
	v_add_f32_e32 v18, v18, v19
	v_cvt_f32_i32_e32 v20, v20
	v_mul_f32_e32 v20, s33, v20
	v_cndmask_b32_e64 v19, 0, v20, s2
	v_max_f32_e32 v20, v6, v6
	v_fmac_f32_e32 v19, s29, v18
	v_add_nc_u32_e32 v18, v7, v9
	v_max_f32_e32 v20, v20, v19
	v_cmp_gt_i32_e64 s3, s30, v18
	v_cndmask_b32_e64 v18, 0, v19, s3
	v_cndmask_b32_e64 v6, v6, v20, s3
	ds_write_b32 v13, v18
	s_branch .LBB19_10
.LBB19_19:
	s_or_b32 exec_lo, exec_lo, s35
.LBB19_20:
	s_or_b32 exec_lo, exec_lo, s34
	v_xor_b32_e32 v1, 16, v5
	v_xor_b32_e32 v7, 8, v5
	v_max_f32_e32 v8, v6, v6
	v_and_b32_e32 v41, 31, v0
	v_cmp_gt_i32_e32 vcc_lo, 32, v1
	v_cndmask_b32_e32 v1, v5, v1, vcc_lo
	v_cmp_gt_i32_e32 vcc_lo, 32, v7
	v_lshlrev_b32_e32 v1, 2, v1
	ds_bpermute_b32 v2, v1, v6
	v_cndmask_b32_e32 v6, v5, v7, vcc_lo
	v_lshlrev_b32_e32 v6, 2, v6
	s_waitcnt lgkmcnt(0)
	v_max_f32_e32 v2, v2, v2
	v_max_f32_e32 v2, v8, v2
	v_xor_b32_e32 v8, 4, v5
	ds_bpermute_b32 v7, v6, v2
	v_cmp_gt_i32_e32 vcc_lo, 32, v8
	v_cndmask_b32_e32 v8, v5, v8, vcc_lo
	s_waitcnt lgkmcnt(0)
	v_max_f32_e32 v9, v7, v7
	v_lshlrev_b32_e32 v7, 2, v8
	v_max_f32_e32 v2, v2, v9
	v_xor_b32_e32 v9, 2, v5
	ds_bpermute_b32 v8, v7, v2
	v_cmp_gt_i32_e32 vcc_lo, 32, v9
	v_cndmask_b32_e32 v9, v5, v9, vcc_lo
	v_cmp_eq_u32_e32 vcc_lo, 0, v41
	v_lshlrev_b32_e32 v42, 2, v9
	s_waitcnt lgkmcnt(0)
	v_max_f32_e32 v8, v8, v8
	v_max_f32_e32 v2, v2, v8
	v_lshlrev_b32_e32 v8, 2, v39
	ds_bpermute_b32 v9, v42, v2
	s_and_saveexec_b32 s2, vcc_lo
	s_cbranch_execz .LBB19_22
; %bb.21:
	s_waitcnt lgkmcnt(0)
	v_max_f32_e32 v9, v9, v9
	v_max_f32_e32 v2, v2, v2
	;; [unrolled: 1-line block ×3, first 2 shown]
	ds_write_b32 v8, v2 offset:256
.LBB19_22:
	s_or_b32 exec_lo, exec_lo, s2
	v_cmp_gt_u32_e64 s2, 4, v41
	v_mov_b32_e32 v2, 0xff7fffff
	s_waitcnt lgkmcnt(0)
	v_lshlrev_b32_e32 v9, 2, v41
	s_barrier
	buffer_gl0_inv
	s_and_saveexec_b32 s3, s2
; %bb.23:
	ds_read_b32 v2, v9 offset:256
; %bb.24:
	s_or_b32 exec_lo, exec_lo, s3
	s_waitcnt lgkmcnt(0)
	ds_bpermute_b32 v10, v42, v2
	v_xor_b32_e32 v11, 1, v5
	v_max_f32_e32 v2, v2, v2
	v_cmp_gt_i32_e64 s3, 32, v11
	v_cndmask_b32_e64 v5, v5, v11, s3
	s_lshl_b32 s3, s16, 4
	s_min_i32 s5, s3, s30
	v_lshlrev_b32_e32 v43, 2, v5
	v_cmp_gt_i32_e64 s3, s5, v0
	s_waitcnt lgkmcnt(0)
	v_max_f32_e32 v10, v10, v10
	v_max_f32_e32 v2, v2, v10
	ds_bpermute_b32 v5, v43, v2
	s_waitcnt lgkmcnt(0)
	v_max_f32_e32 v5, v5, v5
	v_max_f32_e32 v2, v2, v5
	v_mov_b32_e32 v5, 0
	ds_bpermute_b32 v10, v5, v2
	v_lshl_add_u32 v2, v0, 2, 0x120
	s_and_saveexec_b32 s15, s3
	s_cbranch_execz .LBB19_28
; %bb.25:
	v_lshl_add_u32 v11, v0, 2, 0x120
	v_mov_b32_e32 v5, 0
	v_mov_b32_e32 v12, v0
	s_mov_b32 s29, 0
	.p2align	6
.LBB19_26:                              ; =>This Inner Loop Header: Depth=1
	ds_read_b32 v13, v11
	v_add_nc_u32_e32 v12, 0x80, v12
	v_cmp_le_i32_e64 s4, s5, v12
	s_or_b32 s29, s4, s29
	s_waitcnt lgkmcnt(0)
	v_sub_f32_e32 v13, v13, v10
	v_mul_f32_e32 v13, 0x3fb8aa3b, v13
	v_exp_f32_e32 v13, v13
	ds_write_b32 v11, v13
	v_add_f32_e32 v5, v5, v13
	v_add_nc_u32_e32 v11, 0x200, v11
	s_andn2_b32 exec_lo, exec_lo, s29
	s_cbranch_execnz .LBB19_26
; %bb.27:
	s_or_b32 exec_lo, exec_lo, s29
.LBB19_28:
	s_or_b32 exec_lo, exec_lo, s15
	ds_bpermute_b32 v1, v1, v5
	s_waitcnt lgkmcnt(0)
	v_add_f32_e32 v1, v5, v1
	ds_bpermute_b32 v5, v6, v1
	s_waitcnt lgkmcnt(0)
	v_add_f32_e32 v1, v1, v5
	;; [unrolled: 3-line block ×5, first 2 shown]
	s_and_saveexec_b32 s4, vcc_lo
; %bb.29:
	ds_write_b32 v8, v1 offset:272
; %bb.30:
	s_or_b32 exec_lo, exec_lo, s4
	s_waitcnt lgkmcnt(0)
	s_barrier
	buffer_gl0_inv
	s_and_saveexec_b32 s4, s2
; %bb.31:
	ds_read_b32 v1, v9 offset:272
; %bb.32:
	s_or_b32 exec_lo, exec_lo, s4
	s_waitcnt lgkmcnt(0)
	ds_bpermute_b32 v5, v42, v1
	s_waitcnt lgkmcnt(0)
	v_add_f32_e32 v1, v1, v5
	ds_bpermute_b32 v5, v43, v1
	s_waitcnt lgkmcnt(0)
	v_add_f32_e32 v1, v1, v5
	v_mov_b32_e32 v5, 0
	ds_bpermute_b32 v1, v5, v1
	s_and_saveexec_b32 s2, s3
	s_cbranch_execz .LBB19_35
; %bb.33:
	s_waitcnt lgkmcnt(0)
	v_add_f32_e32 v1, 0x358637bd, v1
	s_mov_b32 s3, 0
	v_div_scale_f32 v5, null, v1, v1, 1.0
	v_div_scale_f32 v8, vcc_lo, 1.0, v1, 1.0
	v_rcp_f32_e32 v6, v5
	v_fma_f32 v7, -v5, v6, 1.0
	v_fmac_f32_e32 v6, v7, v6
	v_mul_f32_e32 v7, v8, v6
	v_fma_f32 v9, -v5, v7, v8
	v_fmac_f32_e32 v7, v9, v6
	v_fma_f32 v5, -v5, v7, v8
	v_div_fmas_f32 v5, v5, v6, v7
	v_div_fixup_f32 v1, v5, v1, 1.0
	v_mov_b32_e32 v5, v0
.LBB19_34:                              ; =>This Inner Loop Header: Depth=1
	ds_read_b32 v6, v2
	v_add_nc_u32_e32 v5, 0x80, v5
	v_cmp_le_i32_e32 vcc_lo, s5, v5
	s_or_b32 s3, vcc_lo, s3
	s_waitcnt lgkmcnt(0)
	v_mul_f32_e32 v6, v1, v6
	ds_write_b32 v2, v6
	v_add_nc_u32_e32 v2, 0x200, v2
	s_andn2_b32 exec_lo, exec_lo, s3
	s_cbranch_execnz .LBB19_34
.LBB19_35:
	s_or_b32 exec_lo, exec_lo, s2
	v_mov_b32_e32 v52, 0
	v_and_b32_e32 v44, 3, v0
	v_mov_b32_e32 v51, 0
	v_mov_b32_e32 v50, 0
	;; [unrolled: 1-line block ×7, first 2 shown]
	s_waitcnt lgkmcnt(0)
	s_barrier
	buffer_gl0_inv
	s_and_saveexec_b32 s2, s1
	s_cbranch_execz .LBB19_57
; %bb.36:
	s_ashr_i32 s15, s14, 31
	s_sub_i32 s3, s28, s17
	s_lshl_b64 s[4:5], s[14:15], 2
	v_lshlrev_b32_e32 v2, 4, v0
	s_add_u32 s1, s26, s4
	s_addc_u32 s17, s27, s5
	s_abs_i32 s4, s18
	v_and_b32_e32 v53, 12, v3
	v_cvt_f32_u32_e32 v1, s4
	s_sub_i32 s5, 0, s4
	v_and_b32_e32 v3, 0x7c, v4
	v_lshlrev_b32_e32 v4, 4, v44
	v_and_b32_e32 v2, 0x1f0, v2
	v_rcp_iflag_f32_e32 v1, v1
	s_lshl_b64 s[14:15], s[24:25], 2
	v_mov_b32_e32 v45, 0
	v_lshl_or_b32 v4, v39, 6, v4
	v_add_co_u32 v54, s1, s1, v2
	v_add_co_ci_u32_e64 v55, null, s17, 0, s1
	v_mov_b32_e32 v46, 0
	v_mov_b32_e32 v47, 0
	v_mul_f32_e32 v1, 0x4f7ffffe, v1
	v_mov_b32_e32 v48, 0
	v_mov_b32_e32 v49, 0
	;; [unrolled: 1-line block ×4, first 2 shown]
	v_cvt_u32_f32_e32 v1, v1
	v_mov_b32_e32 v52, 0
	v_add_nc_u32_e32 v56, 0x120, v4
	v_mov_b32_e32 v58, v39
	v_mul_lo_u32 v5, s5, v1
	s_add_i32 s5, s16, -1
	s_add_u32 s14, s22, s14
	s_addc_u32 s15, s23, s15
	v_add_co_u32 v37, s1, s14, v3
	v_add_co_ci_u32_e64 v38, null, s15, 0, s1
	v_mul_hi_u32 v5, v1, v5
	s_mov_b32 s14, s13
	s_mov_b32 s13, 0
	v_add_nc_u32_e32 v57, v1, v5
	s_branch .LBB19_39
.LBB19_37:                              ;   in Loop: Header=BB19_39 Depth=1
	s_or_b32 exec_lo, exec_lo, s1
	s_waitcnt vmcnt(1) lgkmcnt(0)
	v_mul_f32_e32 v29, v1, v29
	v_mul_f32_e32 v25, v1, v25
	;; [unrolled: 1-line block ×7, first 2 shown]
	s_waitcnt vmcnt(0)
	v_mul_f32_e32 v1, v1, v33
	v_fmac_f32_e32 v29, v2, v30
	v_fmac_f32_e32 v25, v2, v26
	v_fmac_f32_e32 v21, v2, v22
	v_fmac_f32_e32 v17, v2, v18
	v_fmac_f32_e32 v13, v2, v14
	v_fmac_f32_e32 v9, v2, v10
	v_fmac_f32_e32 v5, v2, v6
	v_fmac_f32_e32 v1, v2, v34
	v_fmac_f32_e32 v29, v3, v31
	v_fmac_f32_e32 v25, v3, v27
	v_fmac_f32_e32 v21, v3, v23
	v_fmac_f32_e32 v17, v3, v19
	v_fmac_f32_e32 v13, v3, v15
	v_fmac_f32_e32 v9, v3, v11
	v_fmac_f32_e32 v5, v3, v7
	v_fmac_f32_e32 v1, v3, v35
	v_fmac_f32_e32 v29, v4, v32
	v_fmac_f32_e32 v25, v4, v28
	v_fmac_f32_e32 v21, v4, v24
	v_fmac_f32_e32 v17, v4, v20
	v_fmac_f32_e32 v13, v4, v16
	v_fmac_f32_e32 v9, v4, v12
	v_fmac_f32_e32 v5, v4, v8
	v_fmac_f32_e32 v1, v4, v36
	v_add_f32_e32 v46, v46, v29
	v_add_f32_e32 v47, v47, v25
	;; [unrolled: 1-line block ×8, first 2 shown]
.LBB19_38:                              ;   in Loop: Header=BB19_39 Depth=1
	s_or_b32 exec_lo, exec_lo, s15
	v_add_nc_u32_e32 v58, 4, v58
	v_add_co_u32 v37, s1, v37, 16
	v_add_co_ci_u32_e64 v38, null, 0, v38, s1
	v_cmp_le_i32_e32 vcc_lo, s16, v58
	v_add_nc_u32_e32 v40, 64, v40
	v_add_nc_u32_e32 v56, 0x100, v56
	s_or_b32 s13, vcc_lo, s13
	s_andn2_b32 exec_lo, exec_lo, s13
	s_cbranch_execz .LBB19_56
.LBB19_39:                              ; =>This Inner Loop Header: Depth=1
	v_mul_hi_u32 v1, v40, s21
	v_mul_lo_u32 v2, v1, s12
	v_add_nc_u32_e32 v3, 1, v1
	v_sub_nc_u32_e32 v2, v40, v2
	v_subrev_nc_u32_e32 v4, s12, v2
	v_cmp_le_u32_e32 vcc_lo, s12, v2
	v_cndmask_b32_e32 v1, v1, v3, vcc_lo
	v_cndmask_b32_e32 v2, v2, v4, vcc_lo
	v_add_nc_u32_e32 v3, 1, v1
	v_cmp_le_u32_e32 vcc_lo, s12, v2
	v_cndmask_b32_e32 v1, v1, v3, vcc_lo
	v_xor_b32_e32 v1, s19, v1
	v_subrev_nc_u32_e32 v1, s19, v1
	v_add_nc_u32_e32 v2, s31, v1
	v_cmp_lt_i32_e64 s1, s3, v1
	v_sub_nc_u32_e32 v3, 0, v2
	v_max_i32_e32 v3, v2, v3
	v_ashrrev_i32_e32 v2, 31, v2
	v_mul_hi_u32 v4, v3, v57
	v_mul_lo_u32 v4, v4, s4
	v_sub_nc_u32_e32 v3, v3, v4
	v_subrev_nc_u32_e32 v4, s4, v3
	v_cmp_le_u32_e32 vcc_lo, s4, v3
	v_cndmask_b32_e32 v3, v3, v4, vcc_lo
	v_subrev_nc_u32_e32 v4, s4, v3
	v_cmp_le_u32_e32 vcc_lo, s4, v3
	v_cndmask_b32_e32 v3, v3, v4, vcc_lo
	v_xor_b32_e32 v3, v3, v2
	v_sub_nc_u32_e32 v2, v3, v2
	v_cmp_eq_u32_e32 vcc_lo, 0, v2
	s_or_b32 s1, vcc_lo, s1
	s_and_saveexec_b32 s15, s1
	s_cbranch_execz .LBB19_38
; %bb.40:                               ;   in Loop: Header=BB19_39 Depth=1
	global_load_dword v1, v[37:38], off
	v_add_nc_u32_e32 v59, v53, v40
	v_add_nc_u32_e32 v62, 1, v59
	;; [unrolled: 1-line block ×4, first 2 shown]
	s_waitcnt vmcnt(0)
	v_mad_i64_i32 v[1:2], null, v1, s14, 0
	v_lshlrev_b64 v[1:2], 2, v[1:2]
	v_add_co_u32 v21, vcc_lo, v54, v1
	v_add_co_ci_u32_e64 v22, null, v55, v2, vcc_lo
	ds_read_b128 v[1:4], v56
	v_cmp_eq_u32_e32 vcc_lo, s5, v58
	global_load_dwordx4 v[5:8], v[21:22], off
	s_and_saveexec_b32 s17, vcc_lo
	s_cbranch_execnz .LBB19_49
; %bb.41:                               ;   in Loop: Header=BB19_39 Depth=1
	s_or_b32 exec_lo, exec_lo, s17
	global_load_dwordx4 v[9:12], v[21:22], off offset:512
	s_and_saveexec_b32 s17, vcc_lo
	s_cbranch_execnz .LBB19_50
.LBB19_42:                              ;   in Loop: Header=BB19_39 Depth=1
	s_or_b32 exec_lo, exec_lo, s17
	global_load_dwordx4 v[13:16], v[21:22], off offset:1024
	s_and_saveexec_b32 s17, vcc_lo
	s_cbranch_execnz .LBB19_51
.LBB19_43:                              ;   in Loop: Header=BB19_39 Depth=1
	s_or_b32 exec_lo, exec_lo, s17
	global_load_dwordx4 v[17:20], v[21:22], off offset:1536
	s_and_saveexec_b32 s17, vcc_lo
	s_cbranch_execz .LBB19_45
.LBB19_44:                              ;   in Loop: Header=BB19_39 Depth=1
	v_cmp_gt_i32_e64 s1, s30, v59
	s_waitcnt vmcnt(0)
	v_cndmask_b32_e64 v17, 0, v17, s1
	v_cmp_gt_i32_e64 s1, s30, v62
	v_cndmask_b32_e64 v18, 0, v18, s1
	v_cmp_gt_i32_e64 s1, s30, v61
	;; [unrolled: 2-line block ×3, first 2 shown]
	v_cndmask_b32_e64 v20, 0, v20, s1
.LBB19_45:                              ;   in Loop: Header=BB19_39 Depth=1
	s_or_b32 exec_lo, exec_lo, s17
	v_add_co_u32 v33, s1, 0x800, v21
	v_add_co_ci_u32_e64 v34, null, 0, v22, s1
	global_load_dwordx4 v[21:24], v[33:34], off
	s_and_saveexec_b32 s17, vcc_lo
	s_cbranch_execnz .LBB19_52
; %bb.46:                               ;   in Loop: Header=BB19_39 Depth=1
	s_or_b32 exec_lo, exec_lo, s17
	global_load_dwordx4 v[25:28], v[33:34], off offset:512
	s_and_saveexec_b32 s17, vcc_lo
	s_cbranch_execnz .LBB19_53
.LBB19_47:                              ;   in Loop: Header=BB19_39 Depth=1
	s_or_b32 exec_lo, exec_lo, s17
	global_load_dwordx4 v[29:32], v[33:34], off offset:1024
	s_and_saveexec_b32 s17, vcc_lo
	s_cbranch_execnz .LBB19_54
.LBB19_48:                              ;   in Loop: Header=BB19_39 Depth=1
	s_or_b32 exec_lo, exec_lo, s17
	global_load_dwordx4 v[33:36], v[33:34], off offset:1536
	s_and_saveexec_b32 s1, vcc_lo
	s_cbranch_execz .LBB19_37
	s_branch .LBB19_55
.LBB19_49:                              ;   in Loop: Header=BB19_39 Depth=1
	v_cmp_gt_i32_e64 s1, s30, v59
	s_waitcnt vmcnt(0)
	v_cndmask_b32_e64 v5, 0, v5, s1
	v_cmp_gt_i32_e64 s1, s30, v62
	v_cndmask_b32_e64 v6, 0, v6, s1
	v_cmp_gt_i32_e64 s1, s30, v61
	;; [unrolled: 2-line block ×3, first 2 shown]
	v_cndmask_b32_e64 v8, 0, v8, s1
	s_or_b32 exec_lo, exec_lo, s17
	global_load_dwordx4 v[9:12], v[21:22], off offset:512
	s_and_saveexec_b32 s17, vcc_lo
	s_cbranch_execz .LBB19_42
.LBB19_50:                              ;   in Loop: Header=BB19_39 Depth=1
	v_cmp_gt_i32_e64 s1, s30, v59
	s_waitcnt vmcnt(0)
	v_cndmask_b32_e64 v9, 0, v9, s1
	v_cmp_gt_i32_e64 s1, s30, v62
	v_cndmask_b32_e64 v10, 0, v10, s1
	v_cmp_gt_i32_e64 s1, s30, v61
	;; [unrolled: 2-line block ×3, first 2 shown]
	v_cndmask_b32_e64 v12, 0, v12, s1
	s_or_b32 exec_lo, exec_lo, s17
	global_load_dwordx4 v[13:16], v[21:22], off offset:1024
	s_and_saveexec_b32 s17, vcc_lo
	s_cbranch_execz .LBB19_43
.LBB19_51:                              ;   in Loop: Header=BB19_39 Depth=1
	v_cmp_gt_i32_e64 s1, s30, v59
	s_waitcnt vmcnt(0)
	v_cndmask_b32_e64 v13, 0, v13, s1
	v_cmp_gt_i32_e64 s1, s30, v62
	v_cndmask_b32_e64 v14, 0, v14, s1
	v_cmp_gt_i32_e64 s1, s30, v61
	;; [unrolled: 2-line block ×3, first 2 shown]
	v_cndmask_b32_e64 v16, 0, v16, s1
	s_or_b32 exec_lo, exec_lo, s17
	global_load_dwordx4 v[17:20], v[21:22], off offset:1536
	s_and_saveexec_b32 s17, vcc_lo
	s_cbranch_execnz .LBB19_44
	s_branch .LBB19_45
.LBB19_52:                              ;   in Loop: Header=BB19_39 Depth=1
	v_cmp_gt_i32_e64 s1, s30, v59
	s_waitcnt vmcnt(0)
	v_cndmask_b32_e64 v21, 0, v21, s1
	v_cmp_gt_i32_e64 s1, s30, v62
	v_cndmask_b32_e64 v22, 0, v22, s1
	v_cmp_gt_i32_e64 s1, s30, v61
	v_cndmask_b32_e64 v23, 0, v23, s1
	v_cmp_gt_i32_e64 s1, s30, v60
	v_cndmask_b32_e64 v24, 0, v24, s1
	s_or_b32 exec_lo, exec_lo, s17
	global_load_dwordx4 v[25:28], v[33:34], off offset:512
	s_and_saveexec_b32 s17, vcc_lo
	s_cbranch_execz .LBB19_47
.LBB19_53:                              ;   in Loop: Header=BB19_39 Depth=1
	v_cmp_gt_i32_e64 s1, s30, v59
	s_waitcnt vmcnt(0)
	v_cndmask_b32_e64 v25, 0, v25, s1
	v_cmp_gt_i32_e64 s1, s30, v62
	v_cndmask_b32_e64 v26, 0, v26, s1
	v_cmp_gt_i32_e64 s1, s30, v61
	;; [unrolled: 2-line block ×3, first 2 shown]
	v_cndmask_b32_e64 v28, 0, v28, s1
	s_or_b32 exec_lo, exec_lo, s17
	global_load_dwordx4 v[29:32], v[33:34], off offset:1024
	s_and_saveexec_b32 s17, vcc_lo
	s_cbranch_execz .LBB19_48
.LBB19_54:                              ;   in Loop: Header=BB19_39 Depth=1
	v_cmp_gt_i32_e64 s1, s30, v59
	s_waitcnt vmcnt(0)
	v_cndmask_b32_e64 v29, 0, v29, s1
	v_cmp_gt_i32_e64 s1, s30, v62
	v_cndmask_b32_e64 v30, 0, v30, s1
	v_cmp_gt_i32_e64 s1, s30, v61
	;; [unrolled: 2-line block ×3, first 2 shown]
	v_cndmask_b32_e64 v32, 0, v32, s1
	s_or_b32 exec_lo, exec_lo, s17
	global_load_dwordx4 v[33:36], v[33:34], off offset:1536
	s_and_saveexec_b32 s1, vcc_lo
	s_cbranch_execz .LBB19_37
.LBB19_55:                              ;   in Loop: Header=BB19_39 Depth=1
	v_cmp_gt_i32_e32 vcc_lo, s30, v59
	s_waitcnt vmcnt(0)
	v_cndmask_b32_e32 v33, 0, v33, vcc_lo
	v_cmp_gt_i32_e32 vcc_lo, s30, v62
	v_cndmask_b32_e32 v34, 0, v34, vcc_lo
	v_cmp_gt_i32_e32 vcc_lo, s30, v61
	;; [unrolled: 2-line block ×3, first 2 shown]
	v_cndmask_b32_e32 v36, 0, v36, vcc_lo
	s_branch .LBB19_37
.LBB19_56:
	s_or_b32 exec_lo, exec_lo, s13
.LBB19_57:
	s_or_b32 exec_lo, exec_lo, s2
	ds_bpermute_b32 v1, v42, v52
	ds_bpermute_b32 v2, v42, v51
	;; [unrolled: 1-line block ×8, first 2 shown]
	v_and_b32_e32 v10, 28, v41
	v_lshrrev_b32_e32 v9, 2, v41
	v_lshlrev_b32_e32 v11, 8, v39
	v_and_b32_e32 v20, 0x3c3, v0
	s_mov_b32 s1, exec_lo
	v_add_nc_u32_e32 v10, 0x120, v10
	s_waitcnt lgkmcnt(0)
	s_barrier
	buffer_gl0_inv
	v_add_f32_e32 v1, v52, v1
	v_add_f32_e32 v2, v51, v2
	;; [unrolled: 1-line block ×8, first 2 shown]
	ds_bpermute_b32 v12, v43, v1
	ds_bpermute_b32 v13, v43, v2
	;; [unrolled: 1-line block ×8, first 2 shown]
	s_waitcnt lgkmcnt(7)
	v_add_f32_e32 v1, v1, v12
	s_waitcnt lgkmcnt(6)
	v_add_f32_e32 v2, v2, v13
	;; [unrolled: 2-line block ×8, first 2 shown]
	v_cmpx_eq_u32_e32 64, v20
	s_cbranch_execz .LBB19_59
; %bb.58:
	v_add_nc_u32_e32 v12, v10, v11
	v_add_nc_u32_e32 v13, 0xfffffe00, v12
	;; [unrolled: 1-line block ×9, first 2 shown]
	ds_write_b32 v13, v1
	ds_write_b32 v14, v2
	;; [unrolled: 1-line block ×8, first 2 shown]
.LBB19_59:
	s_or_b32 exec_lo, exec_lo, s1
	v_lshlrev_b32_e32 v9, 2, v9
	s_mov_b32 s2, exec_lo
	v_cmp_eq_u32_e32 vcc_lo, 0, v44
	s_waitcnt lgkmcnt(0)
	s_barrier
	v_add3_u32 v9, 0x120, v11, v9
	buffer_gl0_inv
	v_cmpx_gt_u32_e32 64, v0
	s_cbranch_execz .LBB19_70
; %bb.60:
	s_and_saveexec_b32 s1, vcc_lo
	s_cbranch_execnz .LBB19_86
; %bb.61:
	s_or_b32 exec_lo, exec_lo, s1
	s_and_saveexec_b32 s1, vcc_lo
	s_cbranch_execnz .LBB19_87
.LBB19_62:
	s_or_b32 exec_lo, exec_lo, s1
	s_and_saveexec_b32 s1, vcc_lo
	s_cbranch_execnz .LBB19_88
.LBB19_63:
	s_or_b32 exec_lo, exec_lo, s1
	s_and_saveexec_b32 s1, vcc_lo
	s_cbranch_execnz .LBB19_89
.LBB19_64:
	s_or_b32 exec_lo, exec_lo, s1
	s_and_saveexec_b32 s1, vcc_lo
	s_cbranch_execnz .LBB19_90
.LBB19_65:
	s_or_b32 exec_lo, exec_lo, s1
	s_and_saveexec_b32 s1, vcc_lo
	s_cbranch_execnz .LBB19_91
.LBB19_66:
	s_or_b32 exec_lo, exec_lo, s1
	s_and_saveexec_b32 s1, vcc_lo
	s_cbranch_execnz .LBB19_92
.LBB19_67:
	s_or_b32 exec_lo, exec_lo, s1
	s_and_saveexec_b32 s1, vcc_lo
	s_cbranch_execz .LBB19_69
.LBB19_68:
	ds_read_b32 v11, v9 offset:224
	s_waitcnt lgkmcnt(0)
	v_add_f32_e32 v8, v8, v11
.LBB19_69:
	s_or_b32 exec_lo, exec_lo, s1
.LBB19_70:
	s_or_b32 exec_lo, exec_lo, s2
	v_and_b32_e32 v11, 0x3e3, v0
	s_mov_b32 s2, exec_lo
	s_barrier
	buffer_gl0_inv
	v_cmpx_eq_u32_e32 32, v11
	s_cbranch_execz .LBB19_72
; %bb.71:
	ds_write2_b32 v10, v1, v2 offset1:8
	ds_write2_b32 v10, v3, v4 offset0:16 offset1:24
	ds_write2_b32 v10, v5, v6 offset0:32 offset1:40
	;; [unrolled: 1-line block ×3, first 2 shown]
.LBB19_72:
	s_or_b32 exec_lo, exec_lo, s2
	s_waitcnt lgkmcnt(0)
	s_barrier
	buffer_gl0_inv
	s_and_saveexec_b32 s1, s0
	s_cbranch_execz .LBB19_83
; %bb.73:
	s_and_saveexec_b32 s0, vcc_lo
	s_cbranch_execnz .LBB19_93
; %bb.74:
	s_or_b32 exec_lo, exec_lo, s0
	s_and_saveexec_b32 s0, vcc_lo
	s_cbranch_execnz .LBB19_94
.LBB19_75:
	s_or_b32 exec_lo, exec_lo, s0
	s_and_saveexec_b32 s0, vcc_lo
	s_cbranch_execnz .LBB19_95
.LBB19_76:
	s_or_b32 exec_lo, exec_lo, s0
	s_and_saveexec_b32 s0, vcc_lo
	s_cbranch_execnz .LBB19_96
.LBB19_77:
	s_or_b32 exec_lo, exec_lo, s0
	s_and_saveexec_b32 s0, vcc_lo
	s_cbranch_execnz .LBB19_97
.LBB19_78:
	s_or_b32 exec_lo, exec_lo, s0
	s_and_saveexec_b32 s0, vcc_lo
	s_cbranch_execnz .LBB19_98
.LBB19_79:
	s_or_b32 exec_lo, exec_lo, s0
	s_and_saveexec_b32 s0, vcc_lo
	s_cbranch_execnz .LBB19_99
.LBB19_80:
	s_or_b32 exec_lo, exec_lo, s0
	s_and_saveexec_b32 s0, vcc_lo
	s_cbranch_execz .LBB19_82
.LBB19_81:
	ds_read_b32 v9, v9 offset:224
	s_waitcnt lgkmcnt(0)
	v_add_f32_e32 v8, v8, v9
.LBB19_82:
	s_or_b32 exec_lo, exec_lo, s0
.LBB19_83:
	s_or_b32 exec_lo, exec_lo, s1
	s_barrier
	buffer_gl0_inv
	s_mov_b32 s0, exec_lo
	v_cmpx_eq_u32_e32 0, v11
	s_cbranch_execz .LBB19_85
; %bb.84:
	s_mul_i32 s0, s10, s11
	s_mul_i32 s2, s11, s20
	;; [unrolled: 1-line block ×3, first 2 shown]
	s_lshl_b32 s0, s0, 6
	s_ashr_i32 s1, s0, 31
	s_lshl_b64 s[0:1], s[0:1], 2
	s_add_u32 s4, s6, s0
	s_addc_u32 s5, s7, s1
	s_ashr_i32 s3, s2, 31
	s_lshl_b64 s[0:1], s[2:3], 2
	s_add_u32 s2, s4, s0
	s_addc_u32 s3, s5, s1
	s_lshl_b32 s0, s8, 6
	s_ashr_i32 s1, s0, 31
	s_lshl_b64 s[0:1], s[0:1], 2
	s_add_u32 s0, s2, s0
	s_addc_u32 s1, s3, s1
	global_store_dword v0, v1, s[0:1]
	global_store_dword v0, v2, s[0:1] offset:32
	global_store_dword v0, v3, s[0:1] offset:64
	;; [unrolled: 1-line block ×7, first 2 shown]
.LBB19_85:
	s_endpgm
.LBB19_86:
	ds_read_b32 v11, v9
	s_waitcnt lgkmcnt(0)
	v_add_f32_e32 v1, v1, v11
	s_or_b32 exec_lo, exec_lo, s1
	s_and_saveexec_b32 s1, vcc_lo
	s_cbranch_execz .LBB19_62
.LBB19_87:
	ds_read_b32 v11, v9 offset:32
	s_waitcnt lgkmcnt(0)
	v_add_f32_e32 v2, v2, v11
	s_or_b32 exec_lo, exec_lo, s1
	s_and_saveexec_b32 s1, vcc_lo
	s_cbranch_execz .LBB19_63
.LBB19_88:
	ds_read_b32 v11, v9 offset:64
	s_waitcnt lgkmcnt(0)
	v_add_f32_e32 v3, v3, v11
	s_or_b32 exec_lo, exec_lo, s1
	s_and_saveexec_b32 s1, vcc_lo
	s_cbranch_execz .LBB19_64
.LBB19_89:
	ds_read_b32 v11, v9 offset:96
	s_waitcnt lgkmcnt(0)
	v_add_f32_e32 v4, v4, v11
	s_or_b32 exec_lo, exec_lo, s1
	s_and_saveexec_b32 s1, vcc_lo
	s_cbranch_execz .LBB19_65
.LBB19_90:
	ds_read_b32 v11, v9 offset:128
	s_waitcnt lgkmcnt(0)
	v_add_f32_e32 v5, v5, v11
	s_or_b32 exec_lo, exec_lo, s1
	s_and_saveexec_b32 s1, vcc_lo
	s_cbranch_execz .LBB19_66
.LBB19_91:
	ds_read_b32 v11, v9 offset:160
	s_waitcnt lgkmcnt(0)
	v_add_f32_e32 v6, v6, v11
	s_or_b32 exec_lo, exec_lo, s1
	s_and_saveexec_b32 s1, vcc_lo
	s_cbranch_execz .LBB19_67
.LBB19_92:
	ds_read_b32 v11, v9 offset:192
	s_waitcnt lgkmcnt(0)
	v_add_f32_e32 v7, v7, v11
	s_or_b32 exec_lo, exec_lo, s1
	s_and_saveexec_b32 s1, vcc_lo
	s_cbranch_execnz .LBB19_68
	s_branch .LBB19_69
.LBB19_93:
	ds_read_b32 v10, v9
	s_waitcnt lgkmcnt(0)
	v_add_f32_e32 v1, v1, v10
	s_or_b32 exec_lo, exec_lo, s0
	s_and_saveexec_b32 s0, vcc_lo
	s_cbranch_execz .LBB19_75
.LBB19_94:
	ds_read_b32 v10, v9 offset:32
	s_waitcnt lgkmcnt(0)
	v_add_f32_e32 v2, v2, v10
	s_or_b32 exec_lo, exec_lo, s0
	s_and_saveexec_b32 s0, vcc_lo
	s_cbranch_execz .LBB19_76
.LBB19_95:
	ds_read_b32 v10, v9 offset:64
	s_waitcnt lgkmcnt(0)
	v_add_f32_e32 v3, v3, v10
	s_or_b32 exec_lo, exec_lo, s0
	s_and_saveexec_b32 s0, vcc_lo
	s_cbranch_execz .LBB19_77
.LBB19_96:
	ds_read_b32 v10, v9 offset:96
	s_waitcnt lgkmcnt(0)
	v_add_f32_e32 v4, v4, v10
	s_or_b32 exec_lo, exec_lo, s0
	s_and_saveexec_b32 s0, vcc_lo
	s_cbranch_execz .LBB19_78
.LBB19_97:
	ds_read_b32 v10, v9 offset:128
	s_waitcnt lgkmcnt(0)
	v_add_f32_e32 v5, v5, v10
	s_or_b32 exec_lo, exec_lo, s0
	s_and_saveexec_b32 s0, vcc_lo
	s_cbranch_execz .LBB19_79
.LBB19_98:
	ds_read_b32 v10, v9 offset:160
	s_waitcnt lgkmcnt(0)
	v_add_f32_e32 v6, v6, v10
	s_or_b32 exec_lo, exec_lo, s0
	s_and_saveexec_b32 s0, vcc_lo
	s_cbranch_execz .LBB19_80
.LBB19_99:
	ds_read_b32 v10, v9 offset:192
	s_waitcnt lgkmcnt(0)
	v_add_f32_e32 v7, v7, v10
	s_or_b32 exec_lo, exec_lo, s0
	s_and_saveexec_b32 s0, vcc_lo
	s_cbranch_execnz .LBB19_81
	s_branch .LBB19_82
	.section	.rodata,"a",@progbits
	.p2align	6, 0x0
	.amdhsa_kernel _ZN4vllm25paged_attention_v1_kernelIffLi64ELi16ELi128ELNS_18Fp8KVCacheDataTypeE0ELb1EEEvPT_PKS2_PKT0_S8_ifPKiSA_iPKfiiiSC_SC_iiiii
		.amdhsa_group_segment_fixed_size 288
		.amdhsa_private_segment_fixed_size 0
		.amdhsa_kernarg_size 384
		.amdhsa_user_sgpr_count 6
		.amdhsa_user_sgpr_private_segment_buffer 1
		.amdhsa_user_sgpr_dispatch_ptr 0
		.amdhsa_user_sgpr_queue_ptr 0
		.amdhsa_user_sgpr_kernarg_segment_ptr 1
		.amdhsa_user_sgpr_dispatch_id 0
		.amdhsa_user_sgpr_flat_scratch_init 0
		.amdhsa_user_sgpr_private_segment_size 0
		.amdhsa_wavefront_size32 1
		.amdhsa_uses_dynamic_stack 0
		.amdhsa_system_sgpr_private_segment_wavefront_offset 0
		.amdhsa_system_sgpr_workgroup_id_x 1
		.amdhsa_system_sgpr_workgroup_id_y 1
		.amdhsa_system_sgpr_workgroup_id_z 1
		.amdhsa_system_sgpr_workgroup_info 0
		.amdhsa_system_vgpr_workitem_id 0
		.amdhsa_next_free_vgpr 65
		.amdhsa_next_free_sgpr 38
		.amdhsa_reserve_vcc 1
		.amdhsa_reserve_flat_scratch 0
		.amdhsa_float_round_mode_32 0
		.amdhsa_float_round_mode_16_64 0
		.amdhsa_float_denorm_mode_32 3
		.amdhsa_float_denorm_mode_16_64 3
		.amdhsa_dx10_clamp 1
		.amdhsa_ieee_mode 1
		.amdhsa_fp16_overflow 0
		.amdhsa_workgroup_processor_mode 1
		.amdhsa_memory_ordered 1
		.amdhsa_forward_progress 1
		.amdhsa_shared_vgpr_count 0
		.amdhsa_exception_fp_ieee_invalid_op 0
		.amdhsa_exception_fp_denorm_src 0
		.amdhsa_exception_fp_ieee_div_zero 0
		.amdhsa_exception_fp_ieee_overflow 0
		.amdhsa_exception_fp_ieee_underflow 0
		.amdhsa_exception_fp_ieee_inexact 0
		.amdhsa_exception_int_div_zero 0
	.end_amdhsa_kernel
	.section	.text._ZN4vllm25paged_attention_v1_kernelIffLi64ELi16ELi128ELNS_18Fp8KVCacheDataTypeE0ELb1EEEvPT_PKS2_PKT0_S8_ifPKiSA_iPKfiiiSC_SC_iiiii,"axG",@progbits,_ZN4vllm25paged_attention_v1_kernelIffLi64ELi16ELi128ELNS_18Fp8KVCacheDataTypeE0ELb1EEEvPT_PKS2_PKT0_S8_ifPKiSA_iPKfiiiSC_SC_iiiii,comdat
.Lfunc_end19:
	.size	_ZN4vllm25paged_attention_v1_kernelIffLi64ELi16ELi128ELNS_18Fp8KVCacheDataTypeE0ELb1EEEvPT_PKS2_PKT0_S8_ifPKiSA_iPKfiiiSC_SC_iiiii, .Lfunc_end19-_ZN4vllm25paged_attention_v1_kernelIffLi64ELi16ELi128ELNS_18Fp8KVCacheDataTypeE0ELb1EEEvPT_PKS2_PKT0_S8_ifPKiSA_iPKfiiiSC_SC_iiiii
                                        ; -- End function
	.set _ZN4vllm25paged_attention_v1_kernelIffLi64ELi16ELi128ELNS_18Fp8KVCacheDataTypeE0ELb1EEEvPT_PKS2_PKT0_S8_ifPKiSA_iPKfiiiSC_SC_iiiii.num_vgpr, 65
	.set _ZN4vllm25paged_attention_v1_kernelIffLi64ELi16ELi128ELNS_18Fp8KVCacheDataTypeE0ELb1EEEvPT_PKS2_PKT0_S8_ifPKiSA_iPKfiiiSC_SC_iiiii.num_agpr, 0
	.set _ZN4vllm25paged_attention_v1_kernelIffLi64ELi16ELi128ELNS_18Fp8KVCacheDataTypeE0ELb1EEEvPT_PKS2_PKT0_S8_ifPKiSA_iPKfiiiSC_SC_iiiii.numbered_sgpr, 38
	.set _ZN4vllm25paged_attention_v1_kernelIffLi64ELi16ELi128ELNS_18Fp8KVCacheDataTypeE0ELb1EEEvPT_PKS2_PKT0_S8_ifPKiSA_iPKfiiiSC_SC_iiiii.num_named_barrier, 0
	.set _ZN4vllm25paged_attention_v1_kernelIffLi64ELi16ELi128ELNS_18Fp8KVCacheDataTypeE0ELb1EEEvPT_PKS2_PKT0_S8_ifPKiSA_iPKfiiiSC_SC_iiiii.private_seg_size, 0
	.set _ZN4vllm25paged_attention_v1_kernelIffLi64ELi16ELi128ELNS_18Fp8KVCacheDataTypeE0ELb1EEEvPT_PKS2_PKT0_S8_ifPKiSA_iPKfiiiSC_SC_iiiii.uses_vcc, 1
	.set _ZN4vllm25paged_attention_v1_kernelIffLi64ELi16ELi128ELNS_18Fp8KVCacheDataTypeE0ELb1EEEvPT_PKS2_PKT0_S8_ifPKiSA_iPKfiiiSC_SC_iiiii.uses_flat_scratch, 0
	.set _ZN4vllm25paged_attention_v1_kernelIffLi64ELi16ELi128ELNS_18Fp8KVCacheDataTypeE0ELb1EEEvPT_PKS2_PKT0_S8_ifPKiSA_iPKfiiiSC_SC_iiiii.has_dyn_sized_stack, 0
	.set _ZN4vllm25paged_attention_v1_kernelIffLi64ELi16ELi128ELNS_18Fp8KVCacheDataTypeE0ELb1EEEvPT_PKS2_PKT0_S8_ifPKiSA_iPKfiiiSC_SC_iiiii.has_recursion, 0
	.set _ZN4vllm25paged_attention_v1_kernelIffLi64ELi16ELi128ELNS_18Fp8KVCacheDataTypeE0ELb1EEEvPT_PKS2_PKT0_S8_ifPKiSA_iPKfiiiSC_SC_iiiii.has_indirect_call, 0
	.section	.AMDGPU.csdata,"",@progbits
; Kernel info:
; codeLenInByte = 5616
; TotalNumSgprs: 40
; NumVgprs: 65
; ScratchSize: 0
; MemoryBound: 0
; FloatMode: 240
; IeeeMode: 1
; LDSByteSize: 288 bytes/workgroup (compile time only)
; SGPRBlocks: 0
; VGPRBlocks: 8
; NumSGPRsForWavesPerEU: 40
; NumVGPRsForWavesPerEU: 65
; Occupancy: 12
; WaveLimiterHint : 1
; COMPUTE_PGM_RSRC2:SCRATCH_EN: 0
; COMPUTE_PGM_RSRC2:USER_SGPR: 6
; COMPUTE_PGM_RSRC2:TRAP_HANDLER: 0
; COMPUTE_PGM_RSRC2:TGID_X_EN: 1
; COMPUTE_PGM_RSRC2:TGID_Y_EN: 1
; COMPUTE_PGM_RSRC2:TGID_Z_EN: 1
; COMPUTE_PGM_RSRC2:TIDIG_COMP_CNT: 0
	.section	.text._ZN4vllm25paged_attention_v1_kernelIffLi80ELi16ELi128ELNS_18Fp8KVCacheDataTypeE0ELb1EEEvPT_PKS2_PKT0_S8_ifPKiSA_iPKfiiiSC_SC_iiiii,"axG",@progbits,_ZN4vllm25paged_attention_v1_kernelIffLi80ELi16ELi128ELNS_18Fp8KVCacheDataTypeE0ELb1EEEvPT_PKS2_PKT0_S8_ifPKiSA_iPKfiiiSC_SC_iiiii,comdat
	.protected	_ZN4vllm25paged_attention_v1_kernelIffLi80ELi16ELi128ELNS_18Fp8KVCacheDataTypeE0ELb1EEEvPT_PKS2_PKT0_S8_ifPKiSA_iPKfiiiSC_SC_iiiii ; -- Begin function _ZN4vllm25paged_attention_v1_kernelIffLi80ELi16ELi128ELNS_18Fp8KVCacheDataTypeE0ELb1EEEvPT_PKS2_PKT0_S8_ifPKiSA_iPKfiiiSC_SC_iiiii
	.globl	_ZN4vllm25paged_attention_v1_kernelIffLi80ELi16ELi128ELNS_18Fp8KVCacheDataTypeE0ELb1EEEvPT_PKS2_PKT0_S8_ifPKiSA_iPKfiiiSC_SC_iiiii
	.p2align	8
	.type	_ZN4vllm25paged_attention_v1_kernelIffLi80ELi16ELi128ELNS_18Fp8KVCacheDataTypeE0ELb1EEEvPT_PKS2_PKT0_S8_ifPKiSA_iPKfiiiSC_SC_iiiii,@function
_ZN4vllm25paged_attention_v1_kernelIffLi80ELi16ELi128ELNS_18Fp8KVCacheDataTypeE0ELb1EEEvPT_PKS2_PKT0_S8_ifPKiSA_iPKfiiiSC_SC_iiiii: ; @_ZN4vllm25paged_attention_v1_kernelIffLi80ELi16ELi128ELNS_18Fp8KVCacheDataTypeE0ELb1EEEvPT_PKS2_PKT0_S8_ifPKiSA_iPKfiiiSC_SC_iiiii
; %bb.0:
	s_clause 0x2
	s_load_dword s9, s[4:5], 0x80
	s_load_dwordx2 s[0:1], s[4:5], 0x30
	s_load_dwordx2 s[28:29], s[4:5], 0x20
	s_mov_b32 s10, s7
	s_ashr_i32 s11, s7, 31
	s_mov_b32 s33, 0
	s_lshl_b64 s[2:3], s[10:11], 2
	s_waitcnt lgkmcnt(0)
	s_add_u32 s0, s0, s2
	s_addc_u32 s1, s1, s3
	s_abs_i32 s2, s28
	s_abs_i32 s11, s9
	v_cvt_f32_u32_e32 v1, s2
	s_sub_i32 s7, 0, s2
	v_rcp_iflag_f32_e32 v1, v1
	v_mul_f32_e32 v1, 0x4f7ffffe, v1
	v_cvt_u32_f32_e32 v1, v1
	v_readfirstlane_b32 s3, v1
	s_mul_i32 s7, s7, s3
	s_mul_hi_u32 s7, s3, s7
	s_add_i32 s3, s3, s7
	s_xor_b32 s7, s9, s28
	s_mul_hi_u32 s3, s11, s3
	s_ashr_i32 s7, s7, 31
	s_mul_i32 s12, s3, s2
	s_sub_i32 s11, s11, s12
	s_add_i32 s12, s3, 1
	s_sub_i32 s13, s11, s2
	s_cmp_ge_u32 s11, s2
	s_cselect_b32 s3, s12, s3
	s_cselect_b32 s11, s13, s11
	s_add_i32 s12, s3, 1
	s_cmp_ge_u32 s11, s2
	s_cselect_b32 s2, s12, s3
	s_abs_i32 s22, s6
	s_xor_b32 s2, s2, s7
	s_sub_i32 s16, s2, s7
	s_load_dwordx2 s[2:3], s[4:5], 0x40
	s_abs_i32 s11, s16
	v_cvt_f32_u32_e32 v1, s11
	s_sub_i32 s12, 0, s11
	v_rcp_iflag_f32_e32 v1, v1
	v_mul_f32_e32 v1, 0x4f7ffffe, v1
	v_cvt_u32_f32_e32 v1, v1
	v_readfirstlane_b32 s7, v1
	s_mul_i32 s12, s12, s7
	s_mul_hi_u32 s12, s7, s12
	s_add_i32 s7, s7, s12
	s_waitcnt lgkmcnt(0)
	s_cmp_eq_u64 s[2:3], 0
	s_mul_hi_u32 s23, s22, s7
	s_cbranch_scc1 .LBB20_2
; %bb.1:
	s_ashr_i32 s7, s6, 31
	s_lshl_b64 s[12:13], s[6:7], 2
	s_add_u32 s2, s2, s12
	s_addc_u32 s3, s3, s13
	s_load_dword s33, s[2:3], 0x0
.LBB20_2:
	s_load_dword s30, s[0:1], 0x0
	s_load_dwordx4 s[12:15], s[4:5], 0x48
	v_and_b32_e32 v1, 1, v0
	v_lshlrev_b32_e32 v2, 3, v0
	v_lshlrev_b32_e32 v3, 2, v0
	s_ashr_i32 s0, s6, 31
	s_ashr_i32 s1, s16, 31
	s_mul_i32 s20, s6, 0x50
	s_mov_b32 s2, exec_lo
	v_cmpx_gt_u32_e32 40, v0
	s_cbranch_execz .LBB20_4
; %bb.3:
	s_load_dwordx2 s[16:17], s[4:5], 0x8
	s_waitcnt lgkmcnt(0)
	s_mul_i32 s18, s12, s10
	v_and_b32_e32 v6, 0xff8, v3
	s_ashr_i32 s19, s18, 31
	s_lshl_b64 s[18:19], s[18:19], 2
	v_mad_u32_u24 v6, 0xa0, v1, v6
	s_add_u32 s3, s16, s18
	s_addc_u32 s7, s17, s19
	s_ashr_i32 s21, s20, 31
	s_lshl_b64 s[16:17], s[20:21], 2
	s_add_u32 s16, s3, s16
	s_addc_u32 s17, s7, s17
	global_load_dwordx2 v[4:5], v2, s[16:17]
	s_waitcnt vmcnt(0)
	ds_write_b64 v6, v[4:5]
.LBB20_4:
	s_or_b32 exec_lo, exec_lo, s2
	s_load_dwordx4 s[16:19], s[4:5], 0x68
	s_mul_i32 s2, s23, s11
	s_xor_b32 s1, s0, s1
	s_sub_i32 s0, s22, s2
	s_add_i32 s2, s23, 1
	s_sub_i32 s3, s0, s11
	s_cmp_ge_u32 s0, s11
	s_waitcnt lgkmcnt(0)
	s_cselect_b32 s2, s2, s23
	s_cselect_b32 s0, s3, s0
	s_add_i32 s3, s2, 1
	s_cmp_ge_u32 s0, s11
	s_load_dword s0, s[4:5], 0x78
	s_cselect_b32 s2, s3, s2
	s_add_i32 s7, s30, -1
	s_xor_b32 s2, s2, s1
	s_abs_i32 s3, s7
	s_sub_i32 s1, s2, s1
	s_mov_b32 s11, -1
	s_barrier
	s_abs_i32 s12, s19
	s_waitcnt lgkmcnt(0)
	buffer_gl0_inv
	v_cvt_f32_u32_e32 v4, s12
	s_sub_i32 s2, 0, s12
                                        ; implicit-def: $sgpr31
	v_rcp_iflag_f32_e32 v4, v4
	v_mul_f32_e32 v4, 0x4f7ffffe, v4
	v_cvt_u32_f32_e32 v4, v4
	v_readfirstlane_b32 s21, v4
	s_mul_i32 s2, s2, s21
	s_mul_hi_u32 s2, s21, s2
	s_add_i32 s21, s21, s2
	s_cmp_lt_i32 s0, 0
	s_mul_hi_u32 s2, s3, s21
	s_cbranch_scc0 .LBB20_6
; %bb.5:
	s_mul_i32 s11, s16, s28
	s_add_i32 s11, s1, s11
	s_mul_i32 s11, s11, s0
	s_sub_i32 s31, 1, s11
	s_mov_b32 s11, 0
.LBB20_6:
	s_load_dwordx2 s[22:23], s[4:5], 0x28
	s_ashr_i32 s7, s7, 31
	s_andn2_b32 vcc_lo, exec_lo, s11
	s_ashr_i32 s19, s19, 31
	s_cbranch_vccnz .LBB20_8
; %bb.7:
	s_mul_i32 s11, s9, s16
	s_add_i32 s6, s11, s6
	s_mul_i32 s0, s6, s0
	s_add_i32 s31, s0, 1
.LBB20_8:
	s_load_dword s0, s[4:5], 0x38
	s_mul_i32 s6, s2, s12
	s_xor_b32 s15, s7, s19
	s_sub_i32 s3, s3, s6
	s_add_i32 s16, s2, 1
	s_clause 0x2
	s_load_dwordx2 s[6:7], s[4:5], 0x0
	s_load_dwordx2 s[26:27], s[4:5], 0x18
	s_load_dword s11, s[4:5], 0x88
	v_lshrrev_b32_e32 v47, 5, v0
	v_mov_b32_e32 v6, 0xff7fffff
	v_lshrrev_b32_e32 v4, 3, v0
	v_mbcnt_lo_u32_b32 v5, -1, 0
	s_mul_i32 s14, s1, s14
	v_lshlrev_b32_e32 v48, 4, v47
	s_waitcnt lgkmcnt(0)
	s_mul_i32 s24, s0, s10
	s_sub_i32 s0, s3, s12
	s_ashr_i32 s25, s24, 31
	s_cmp_ge_u32 s3, s12
	s_cselect_b32 s2, s16, s2
	s_cselect_b32 s0, s0, s3
	s_add_i32 s3, s2, 1
	s_cmp_ge_u32 s0, s12
	s_cselect_b32 s0, s3, s2
	s_add_i32 s2, s30, 15
	s_ashr_i32 s3, s2, 31
	s_lshr_b32 s3, s3, 28
	s_add_i32 s2, s2, s3
	s_ashr_i32 s16, s2, 4
	s_xor_b32 s2, s0, s15
	v_cmp_gt_i32_e64 s0, s16, v47
	s_sub_i32 s28, s2, s15
	s_and_saveexec_b32 s34, s0
	s_cbranch_execz .LBB20_20
; %bb.9:
	s_load_dwordx2 s[2:3], s[4:5], 0x10
	s_ashr_i32 s15, s14, 31
	s_sub_i32 s4, s28, s17
	s_lshl_b64 s[36:37], s[14:15], 2
	v_bfe_u32 v7, v0, 1, 4
	v_and_b32_e32 v14, 8, v2
	v_cmp_eq_u32_e32 vcc_lo, 0, v1
	v_mul_u32_u24_e32 v8, 0xa0, v1
	v_and_b32_e32 v1, 0x7c, v4
	v_lshlrev_b32_e32 v2, 2, v7
	v_subrev_nc_u32_e32 v13, s30, v7
	v_lshlrev_b32_e32 v15, 4, v7
	v_cmp_neq_f32_e64 s1, s33, 0
	v_lshlrev_b32_e32 v9, 4, v47
	v_lshl_or_b32 v2, v47, 6, v2
	v_mov_b32_e32 v10, 0xff7fffff
	v_xor_b32_e32 v11, 1, v5
	s_waitcnt lgkmcnt(0)
	s_add_u32 s15, s2, s36
	s_addc_u32 s35, s3, s37
	s_abs_i32 s5, s18
	v_add_co_u32 v15, s15, s15, v15
	v_cvt_f32_u32_e32 v6, s5
	s_sub_i32 s2, 0, s5
	v_add_co_ci_u32_e64 v17, null, s35, 0, s15
	s_mov_b32 s15, 0
	v_rcp_iflag_f32_e32 v6, v6
	s_mov_b32 s35, s13
	v_mul_f32_e32 v12, 0x4f7ffffe, v6
	v_mov_b32_e32 v6, 0xff7fffff
	v_cvt_u32_f32_e32 v16, v12
	v_add_nc_u32_e32 v12, 1, v13
	v_add_nc_u32_e32 v13, 0x160, v2
	v_mul_lo_u32 v2, s2, v16
	s_lshl_b64 s[2:3], s[24:25], 2
	s_add_u32 s2, s22, s2
	s_addc_u32 s3, s23, s3
	v_add_co_u32 v1, s2, s2, v1
	v_mul_hi_u32 v18, v16, v2
	v_add_co_ci_u32_e64 v2, null, s3, 0, s2
	v_add_co_u32 v14, s2, v15, v14
	v_add_co_ci_u32_e64 v15, null, 0, v17, s2
	v_mov_b32_e32 v17, v47
	v_add_nc_u32_e32 v16, v16, v18
	s_branch .LBB20_12
.LBB20_10:                              ;   in Loop: Header=BB20_12 Depth=1
	s_or_b32 exec_lo, exec_lo, s36
.LBB20_11:                              ;   in Loop: Header=BB20_12 Depth=1
	s_or_b32 exec_lo, exec_lo, s3
	v_add_nc_u32_e32 v17, 4, v17
	v_add_co_u32 v1, s3, v1, 16
	v_add_co_ci_u32_e64 v2, null, 0, v2, s3
	v_cmp_le_i32_e64 s2, s16, v17
	v_add_nc_u32_e32 v9, 64, v9
	v_add_nc_u32_e32 v13, 0x100, v13
	s_or_b32 s15, s2, s15
	s_andn2_b32 exec_lo, exec_lo, s15
	s_cbranch_execz .LBB20_19
.LBB20_12:                              ; =>This Inner Loop Header: Depth=1
	v_mul_hi_u32 v18, v9, s21
	s_waitcnt lgkmcnt(0)
	v_mul_lo_u32 v19, v18, s12
	v_add_nc_u32_e32 v20, 1, v18
	v_sub_nc_u32_e32 v19, v9, v19
	v_subrev_nc_u32_e32 v21, s12, v19
	v_cmp_le_u32_e64 s2, s12, v19
	v_cndmask_b32_e64 v18, v18, v20, s2
	v_cndmask_b32_e64 v19, v19, v21, s2
	v_add_nc_u32_e32 v20, 1, v18
	v_cmp_le_u32_e64 s2, s12, v19
	v_cndmask_b32_e64 v18, v18, v20, s2
	v_xor_b32_e32 v18, s19, v18
	v_subrev_nc_u32_e32 v18, s19, v18
	v_add_nc_u32_e32 v19, s31, v18
	v_cmp_ge_i32_e64 s3, s4, v18
	v_sub_nc_u32_e32 v20, 0, v19
	v_max_i32_e32 v20, v19, v20
	v_ashrrev_i32_e32 v19, 31, v19
	v_mul_hi_u32 v21, v20, v16
	v_mul_lo_u32 v21, v21, s5
	v_sub_nc_u32_e32 v20, v20, v21
	v_subrev_nc_u32_e32 v21, s5, v20
	v_cmp_le_u32_e64 s2, s5, v20
	v_cndmask_b32_e64 v20, v20, v21, s2
	v_subrev_nc_u32_e32 v21, s5, v20
	v_cmp_le_u32_e64 s2, s5, v20
	v_cndmask_b32_e64 v20, v20, v21, s2
	v_xor_b32_e32 v20, v20, v19
	v_sub_nc_u32_e32 v19, v20, v19
	v_cmp_ne_u32_e64 s2, 0, v19
	s_and_b32 s2, s2, s3
	s_and_saveexec_b32 s3, s2
	s_xor_b32 s2, exec_lo, s3
	s_cbranch_execz .LBB20_16
; %bb.13:                               ;   in Loop: Header=BB20_12 Depth=1
	s_and_saveexec_b32 s3, vcc_lo
; %bb.14:                               ;   in Loop: Header=BB20_12 Depth=1
	ds_write_b32 v13, v10
; %bb.15:                               ;   in Loop: Header=BB20_12 Depth=1
	s_or_b32 exec_lo, exec_lo, s3
.LBB20_16:                              ;   in Loop: Header=BB20_12 Depth=1
	s_andn2_saveexec_b32 s3, s2
	s_cbranch_execz .LBB20_11
; %bb.17:                               ;   in Loop: Header=BB20_12 Depth=1
	global_load_dword v18, v[1:2], off
	s_waitcnt vmcnt(0)
	v_mad_i64_i32 v[18:19], null, v18, s35, 0
	v_lshlrev_b64 v[18:19], 2, v[18:19]
	v_add_co_u32 v18, s2, v14, v18
	v_add_co_ci_u32_e64 v19, null, v15, v19, s2
	s_clause 0x7
	global_load_dwordx2 v[30:31], v[18:19], off offset:256
	global_load_dwordx2 v[32:33], v[18:19], off offset:512
	;; [unrolled: 1-line block ×3, first 2 shown]
	global_load_dwordx2 v[36:37], v[18:19], off
	global_load_dwordx2 v[38:39], v[18:19], off offset:1024
	global_load_dwordx2 v[40:41], v[18:19], off offset:1280
	;; [unrolled: 1-line block ×4, first 2 shown]
	v_add_co_u32 v20, s2, v18, 0x1000
	v_add_co_ci_u32_e64 v21, null, 0, v19, s2
	v_add_co_u32 v22, s2, 0x800, v18
	v_add_co_ci_u32_e64 v23, null, 0, v19, s2
	s_clause 0x7
	global_load_dwordx2 v[49:50], v[20:21], off offset:-2048
	global_load_dwordx2 v[51:52], v[22:23], off offset:256
	global_load_dwordx2 v[53:54], v[22:23], off offset:512
	;; [unrolled: 1-line block ×7, first 2 shown]
	v_add_co_u32 v18, s2, 0x1000, v18
	v_add_co_ci_u32_e64 v19, null, 0, v19, s2
	s_clause 0x3
	global_load_dwordx2 v[65:66], v[20:21], off
	global_load_dwordx2 v[67:68], v[18:19], off offset:256
	global_load_dwordx2 v[69:70], v[18:19], off offset:512
	;; [unrolled: 1-line block ×3, first 2 shown]
	ds_read_b128 v[18:21], v8
	ds_read_b128 v[22:25], v8 offset:16
	ds_read_b128 v[26:29], v8 offset:32
	v_cmp_gt_i32_e64 s2, 32, v11
	s_waitcnt vmcnt(19) lgkmcnt(2)
	v_mul_f32_e32 v30, v20, v30
	v_mul_f32_e32 v31, v21, v31
	s_waitcnt vmcnt(16)
	v_fmac_f32_e32 v30, v18, v36
	v_fmac_f32_e32 v31, v19, v37
	ds_read_b128 v[18:21], v8 offset:48
	s_waitcnt lgkmcnt(2)
	v_fmac_f32_e32 v30, v22, v32
	v_fmac_f32_e32 v31, v23, v33
	;; [unrolled: 1-line block ×4, first 2 shown]
	ds_read_b128 v[22:25], v8 offset:64
	s_waitcnt vmcnt(15) lgkmcnt(2)
	v_fmac_f32_e32 v30, v26, v38
	v_fmac_f32_e32 v31, v27, v39
	s_waitcnt vmcnt(14)
	v_fmac_f32_e32 v30, v28, v40
	v_fmac_f32_e32 v31, v29, v41
	ds_read_b128 v[26:29], v8 offset:80
	s_waitcnt vmcnt(13) lgkmcnt(2)
	v_fmac_f32_e32 v30, v18, v42
	v_fmac_f32_e32 v31, v19, v43
	s_waitcnt vmcnt(12)
	v_fmac_f32_e32 v30, v20, v44
	v_fmac_f32_e32 v31, v21, v45
	;; [unrolled: 7-line block ×6, first 2 shown]
	s_waitcnt vmcnt(3) lgkmcnt(1)
	v_fmac_f32_e32 v30, v26, v65
	v_fmac_f32_e32 v31, v27, v66
	s_waitcnt vmcnt(2)
	v_fmac_f32_e32 v30, v28, v67
	v_fmac_f32_e32 v31, v29, v68
	s_waitcnt vmcnt(1) lgkmcnt(0)
	v_fmac_f32_e32 v30, v18, v69
	v_fmac_f32_e32 v31, v19, v70
	v_cndmask_b32_e64 v18, v5, v11, s2
	s_waitcnt vmcnt(0)
	v_fmac_f32_e32 v30, v20, v71
	v_fmac_f32_e32 v31, v21, v72
	v_lshlrev_b32_e32 v19, 2, v18
	v_add_f32_e32 v18, v30, v31
	ds_bpermute_b32 v19, v19, v18
	s_and_saveexec_b32 s36, vcc_lo
	s_cbranch_execz .LBB20_10
; %bb.18:                               ;   in Loop: Header=BB20_12 Depth=1
	v_add_nc_u32_e32 v20, v12, v9
	s_waitcnt lgkmcnt(0)
	v_add_f32_e32 v18, v18, v19
	v_cvt_f32_i32_e32 v20, v20
	v_mul_f32_e32 v20, s33, v20
	v_cndmask_b32_e64 v19, 0, v20, s1
	v_max_f32_e32 v20, v6, v6
	v_fmac_f32_e32 v19, s29, v18
	v_add_nc_u32_e32 v18, v7, v9
	v_max_f32_e32 v20, v20, v19
	v_cmp_gt_i32_e64 s2, s30, v18
	v_cndmask_b32_e64 v18, 0, v19, s2
	v_cndmask_b32_e64 v6, v6, v20, s2
	ds_write_b32 v13, v18
	s_branch .LBB20_10
.LBB20_19:
	s_or_b32 exec_lo, exec_lo, s15
.LBB20_20:
	s_or_b32 exec_lo, exec_lo, s34
	v_xor_b32_e32 v1, 16, v5
	v_xor_b32_e32 v7, 8, v5
	v_max_f32_e32 v8, v6, v6
	v_and_b32_e32 v49, 31, v0
	v_cmp_gt_i32_e32 vcc_lo, 32, v1
	v_cndmask_b32_e32 v1, v5, v1, vcc_lo
	v_cmp_gt_i32_e32 vcc_lo, 32, v7
	v_lshlrev_b32_e32 v1, 2, v1
	ds_bpermute_b32 v2, v1, v6
	v_cndmask_b32_e32 v6, v5, v7, vcc_lo
	v_lshlrev_b32_e32 v6, 2, v6
	s_waitcnt lgkmcnt(0)
	v_max_f32_e32 v2, v2, v2
	v_max_f32_e32 v2, v8, v2
	v_xor_b32_e32 v8, 4, v5
	ds_bpermute_b32 v7, v6, v2
	v_cmp_gt_i32_e32 vcc_lo, 32, v8
	v_cndmask_b32_e32 v8, v5, v8, vcc_lo
	s_waitcnt lgkmcnt(0)
	v_max_f32_e32 v9, v7, v7
	v_lshlrev_b32_e32 v7, 2, v8
	v_max_f32_e32 v2, v2, v9
	v_xor_b32_e32 v9, 2, v5
	ds_bpermute_b32 v8, v7, v2
	v_cmp_gt_i32_e32 vcc_lo, 32, v9
	v_cndmask_b32_e32 v9, v5, v9, vcc_lo
	v_cmp_eq_u32_e32 vcc_lo, 0, v49
	v_lshlrev_b32_e32 v50, 2, v9
	s_waitcnt lgkmcnt(0)
	v_max_f32_e32 v8, v8, v8
	v_max_f32_e32 v2, v2, v8
	v_lshlrev_b32_e32 v8, 2, v47
	ds_bpermute_b32 v9, v50, v2
	s_and_saveexec_b32 s1, vcc_lo
	s_cbranch_execz .LBB20_22
; %bb.21:
	s_waitcnt lgkmcnt(0)
	v_max_f32_e32 v9, v9, v9
	v_max_f32_e32 v2, v2, v2
	;; [unrolled: 1-line block ×3, first 2 shown]
	ds_write_b32 v8, v2 offset:320
.LBB20_22:
	s_or_b32 exec_lo, exec_lo, s1
	v_cmp_gt_u32_e64 s1, 4, v49
	v_mov_b32_e32 v2, 0xff7fffff
	s_waitcnt lgkmcnt(0)
	v_lshlrev_b32_e32 v9, 2, v49
	s_barrier
	buffer_gl0_inv
	s_and_saveexec_b32 s2, s1
; %bb.23:
	ds_read_b32 v2, v9 offset:320
; %bb.24:
	s_or_b32 exec_lo, exec_lo, s2
	s_waitcnt lgkmcnt(0)
	ds_bpermute_b32 v10, v50, v2
	v_xor_b32_e32 v11, 1, v5
	v_max_f32_e32 v2, v2, v2
	v_cmp_gt_i32_e64 s2, 32, v11
	v_cndmask_b32_e64 v5, v5, v11, s2
	s_lshl_b32 s2, s16, 4
	s_min_i32 s4, s2, s30
	v_lshlrev_b32_e32 v51, 2, v5
	v_cmp_gt_i32_e64 s2, s4, v0
	s_waitcnt lgkmcnt(0)
	v_max_f32_e32 v10, v10, v10
	v_max_f32_e32 v2, v2, v10
	ds_bpermute_b32 v5, v51, v2
	s_waitcnt lgkmcnt(0)
	v_max_f32_e32 v5, v5, v5
	v_max_f32_e32 v2, v2, v5
	v_mov_b32_e32 v5, 0
	ds_bpermute_b32 v10, v5, v2
	v_lshl_add_u32 v2, v0, 2, 0x160
	s_and_saveexec_b32 s5, s2
	s_cbranch_execz .LBB20_28
; %bb.25:
	v_lshl_add_u32 v11, v0, 2, 0x160
	v_mov_b32_e32 v5, 0
	v_mov_b32_e32 v12, v0
	s_mov_b32 s15, 0
	.p2align	6
.LBB20_26:                              ; =>This Inner Loop Header: Depth=1
	ds_read_b32 v13, v11
	v_add_nc_u32_e32 v12, 0x80, v12
	v_cmp_le_i32_e64 s3, s4, v12
	s_or_b32 s15, s3, s15
	s_waitcnt lgkmcnt(0)
	v_sub_f32_e32 v13, v13, v10
	v_mul_f32_e32 v13, 0x3fb8aa3b, v13
	v_exp_f32_e32 v13, v13
	ds_write_b32 v11, v13
	v_add_f32_e32 v5, v5, v13
	v_add_nc_u32_e32 v11, 0x200, v11
	s_andn2_b32 exec_lo, exec_lo, s15
	s_cbranch_execnz .LBB20_26
; %bb.27:
	s_or_b32 exec_lo, exec_lo, s15
.LBB20_28:
	s_or_b32 exec_lo, exec_lo, s5
	ds_bpermute_b32 v1, v1, v5
	s_waitcnt lgkmcnt(0)
	v_add_f32_e32 v1, v5, v1
	ds_bpermute_b32 v5, v6, v1
	s_waitcnt lgkmcnt(0)
	v_add_f32_e32 v1, v1, v5
	;; [unrolled: 3-line block ×5, first 2 shown]
	s_and_saveexec_b32 s3, vcc_lo
; %bb.29:
	ds_write_b32 v8, v1 offset:336
; %bb.30:
	s_or_b32 exec_lo, exec_lo, s3
	s_waitcnt lgkmcnt(0)
	s_barrier
	buffer_gl0_inv
	s_and_saveexec_b32 s3, s1
; %bb.31:
	ds_read_b32 v1, v9 offset:336
; %bb.32:
	s_or_b32 exec_lo, exec_lo, s3
	s_waitcnt lgkmcnt(0)
	ds_bpermute_b32 v5, v50, v1
	s_waitcnt lgkmcnt(0)
	v_add_f32_e32 v1, v1, v5
	ds_bpermute_b32 v5, v51, v1
	s_waitcnt lgkmcnt(0)
	v_add_f32_e32 v1, v1, v5
	v_mov_b32_e32 v5, 0
	ds_bpermute_b32 v1, v5, v1
	s_and_saveexec_b32 s1, s2
	s_cbranch_execz .LBB20_35
; %bb.33:
	s_waitcnt lgkmcnt(0)
	v_add_f32_e32 v1, 0x358637bd, v1
	s_mov_b32 s2, 0
	v_div_scale_f32 v5, null, v1, v1, 1.0
	v_div_scale_f32 v8, vcc_lo, 1.0, v1, 1.0
	v_rcp_f32_e32 v6, v5
	v_fma_f32 v7, -v5, v6, 1.0
	v_fmac_f32_e32 v6, v7, v6
	v_mul_f32_e32 v7, v8, v6
	v_fma_f32 v9, -v5, v7, v8
	v_fmac_f32_e32 v7, v9, v6
	v_fma_f32 v5, -v5, v7, v8
	v_div_fmas_f32 v5, v5, v6, v7
	v_div_fixup_f32 v1, v5, v1, 1.0
	v_mov_b32_e32 v5, v0
.LBB20_34:                              ; =>This Inner Loop Header: Depth=1
	ds_read_b32 v6, v2
	v_add_nc_u32_e32 v5, 0x80, v5
	v_cmp_le_i32_e32 vcc_lo, s4, v5
	s_or_b32 s2, vcc_lo, s2
	s_waitcnt lgkmcnt(0)
	v_mul_f32_e32 v6, v1, v6
	ds_write_b32 v2, v6
	v_add_nc_u32_e32 v2, 0x200, v2
	s_andn2_b32 exec_lo, exec_lo, s2
	s_cbranch_execnz .LBB20_34
.LBB20_35:
	s_or_b32 exec_lo, exec_lo, s1
	v_mov_b32_e32 v62, 0
	v_and_b32_e32 v52, 3, v0
	v_mov_b32_e32 v61, 0
	v_mov_b32_e32 v60, 0
	;; [unrolled: 1-line block ×9, first 2 shown]
	s_waitcnt lgkmcnt(0)
	s_barrier
	buffer_gl0_inv
	s_and_saveexec_b32 s1, s0
	s_cbranch_execz .LBB20_61
; %bb.36:
	s_ashr_i32 s15, s14, 31
	s_sub_i32 s2, s28, s17
	s_lshl_b64 s[4:5], s[14:15], 2
	v_lshlrev_b32_e32 v2, 4, v0
	s_add_u32 s0, s26, s4
	s_addc_u32 s5, s27, s5
	s_abs_i32 s3, s18
	v_and_b32_e32 v63, 12, v3
	v_cvt_f32_u32_e32 v1, s3
	s_sub_i32 s4, 0, s3
	v_and_b32_e32 v3, 0x7c, v4
	v_lshlrev_b32_e32 v4, 4, v52
	v_and_b32_e32 v2, 0x1f0, v2
	v_rcp_iflag_f32_e32 v1, v1
	s_lshl_b64 s[14:15], s[24:25], 2
	v_mov_b32_e32 v53, 0
	v_lshl_or_b32 v4, v47, 6, v4
	v_add_co_u32 v64, s0, s0, v2
	v_add_co_ci_u32_e64 v65, null, s5, 0, s0
	v_mov_b32_e32 v54, 0
	v_mov_b32_e32 v55, 0
	v_mul_f32_e32 v1, 0x4f7ffffe, v1
	v_mov_b32_e32 v56, 0
	v_mov_b32_e32 v57, 0
	;; [unrolled: 1-line block ×4, first 2 shown]
	v_cvt_u32_f32_e32 v1, v1
	v_mov_b32_e32 v60, 0
	v_mov_b32_e32 v61, 0
	;; [unrolled: 1-line block ×3, first 2 shown]
	v_add_nc_u32_e32 v66, 0x160, v4
	v_mul_lo_u32 v5, s4, v1
	s_add_i32 s4, s16, -1
	s_add_u32 s14, s22, s14
	s_addc_u32 s15, s23, s15
	v_add_co_u32 v45, s0, s14, v3
	v_add_co_ci_u32_e64 v46, null, s15, 0, s0
	v_mul_hi_u32 v5, v1, v5
	v_mov_b32_e32 v68, v47
	s_mov_b32 s5, 0
	v_add_nc_u32_e32 v67, v1, v5
	s_branch .LBB20_39
.LBB20_37:                              ;   in Loop: Header=BB20_39 Depth=1
	s_or_b32 exec_lo, exec_lo, s0
	s_waitcnt vmcnt(1) lgkmcnt(0)
	v_mul_f32_e32 v41, v1, v41
	v_mul_f32_e32 v33, v1, v33
	v_mul_f32_e32 v29, v1, v29
	v_mul_f32_e32 v25, v1, v25
	v_mul_f32_e32 v21, v1, v21
	v_mul_f32_e32 v17, v1, v17
	v_mul_f32_e32 v13, v1, v13
	v_mul_f32_e32 v9, v1, v9
	v_mul_f32_e32 v5, v1, v5
	s_waitcnt vmcnt(0)
	v_mul_f32_e32 v1, v1, v37
	v_fmac_f32_e32 v41, v2, v42
	v_fmac_f32_e32 v33, v2, v34
	;; [unrolled: 1-line block ×30, first 2 shown]
	v_add_f32_e32 v54, v54, v41
	v_add_f32_e32 v55, v55, v33
	;; [unrolled: 1-line block ×10, first 2 shown]
.LBB20_38:                              ;   in Loop: Header=BB20_39 Depth=1
	s_or_b32 exec_lo, exec_lo, s14
	v_add_nc_u32_e32 v68, 4, v68
	v_add_co_u32 v45, s0, v45, 16
	v_add_co_ci_u32_e64 v46, null, 0, v46, s0
	v_cmp_le_i32_e32 vcc_lo, s16, v68
	v_add_nc_u32_e32 v48, 64, v48
	v_add_nc_u32_e32 v66, 0x100, v66
	s_or_b32 s5, vcc_lo, s5
	s_andn2_b32 exec_lo, exec_lo, s5
	s_cbranch_execz .LBB20_60
.LBB20_39:                              ; =>This Inner Loop Header: Depth=1
	v_mul_hi_u32 v1, v48, s21
	v_mul_lo_u32 v2, v1, s12
	v_add_nc_u32_e32 v3, 1, v1
	v_sub_nc_u32_e32 v2, v48, v2
	v_subrev_nc_u32_e32 v4, s12, v2
	v_cmp_le_u32_e32 vcc_lo, s12, v2
	v_cndmask_b32_e32 v1, v1, v3, vcc_lo
	v_cndmask_b32_e32 v2, v2, v4, vcc_lo
	v_add_nc_u32_e32 v3, 1, v1
	v_cmp_le_u32_e32 vcc_lo, s12, v2
	v_cndmask_b32_e32 v1, v1, v3, vcc_lo
	v_xor_b32_e32 v1, s19, v1
	v_subrev_nc_u32_e32 v1, s19, v1
	v_add_nc_u32_e32 v2, s31, v1
	v_cmp_lt_i32_e64 s0, s2, v1
	v_sub_nc_u32_e32 v3, 0, v2
	v_max_i32_e32 v3, v2, v3
	v_ashrrev_i32_e32 v2, 31, v2
	v_mul_hi_u32 v4, v3, v67
	v_mul_lo_u32 v4, v4, s3
	v_sub_nc_u32_e32 v3, v3, v4
	v_subrev_nc_u32_e32 v4, s3, v3
	v_cmp_le_u32_e32 vcc_lo, s3, v3
	v_cndmask_b32_e32 v3, v3, v4, vcc_lo
	v_subrev_nc_u32_e32 v4, s3, v3
	v_cmp_le_u32_e32 vcc_lo, s3, v3
	v_cndmask_b32_e32 v3, v3, v4, vcc_lo
	v_xor_b32_e32 v3, v3, v2
	v_sub_nc_u32_e32 v2, v3, v2
	v_cmp_eq_u32_e32 vcc_lo, 0, v2
	s_or_b32 s0, vcc_lo, s0
	s_and_saveexec_b32 s14, s0
	s_cbranch_execz .LBB20_38
; %bb.40:                               ;   in Loop: Header=BB20_39 Depth=1
	global_load_dword v1, v[45:46], off
	v_add_nc_u32_e32 v69, v63, v48
	v_add_nc_u32_e32 v72, 1, v69
	;; [unrolled: 1-line block ×4, first 2 shown]
	s_waitcnt vmcnt(0)
	v_mad_i64_i32 v[1:2], null, v1, s13, 0
	v_lshlrev_b64 v[1:2], 2, v[1:2]
	v_add_co_u32 v37, vcc_lo, v64, v1
	v_add_co_ci_u32_e64 v38, null, v65, v2, vcc_lo
	ds_read_b128 v[1:4], v66
	v_cmp_eq_u32_e32 vcc_lo, s4, v68
	global_load_dwordx4 v[5:8], v[37:38], off
	s_and_saveexec_b32 s15, vcc_lo
	s_cbranch_execnz .LBB20_54
; %bb.41:                               ;   in Loop: Header=BB20_39 Depth=1
	s_or_b32 exec_lo, exec_lo, s15
	global_load_dwordx4 v[9:12], v[37:38], off offset:512
	s_and_saveexec_b32 s15, vcc_lo
	s_cbranch_execnz .LBB20_55
.LBB20_42:                              ;   in Loop: Header=BB20_39 Depth=1
	s_or_b32 exec_lo, exec_lo, s15
	global_load_dwordx4 v[13:16], v[37:38], off offset:1024
	s_and_saveexec_b32 s15, vcc_lo
	s_cbranch_execnz .LBB20_56
.LBB20_43:                              ;   in Loop: Header=BB20_39 Depth=1
	s_or_b32 exec_lo, exec_lo, s15
	global_load_dwordx4 v[17:20], v[37:38], off offset:1536
	s_and_saveexec_b32 s15, vcc_lo
	s_cbranch_execz .LBB20_45
.LBB20_44:                              ;   in Loop: Header=BB20_39 Depth=1
	v_cmp_gt_i32_e64 s0, s30, v69
	s_waitcnt vmcnt(0)
	v_cndmask_b32_e64 v17, 0, v17, s0
	v_cmp_gt_i32_e64 s0, s30, v72
	v_cndmask_b32_e64 v18, 0, v18, s0
	v_cmp_gt_i32_e64 s0, s30, v71
	;; [unrolled: 2-line block ×3, first 2 shown]
	v_cndmask_b32_e64 v20, 0, v20, s0
.LBB20_45:                              ;   in Loop: Header=BB20_39 Depth=1
	s_or_b32 exec_lo, exec_lo, s15
	v_add_co_u32 v33, s0, 0x800, v37
	v_add_co_ci_u32_e64 v34, null, 0, v38, s0
	global_load_dwordx4 v[21:24], v[33:34], off
	s_and_saveexec_b32 s15, vcc_lo
	s_cbranch_execnz .LBB20_57
; %bb.46:                               ;   in Loop: Header=BB20_39 Depth=1
	s_or_b32 exec_lo, exec_lo, s15
	global_load_dwordx4 v[25:28], v[33:34], off offset:512
	s_and_saveexec_b32 s15, vcc_lo
	s_cbranch_execnz .LBB20_58
.LBB20_47:                              ;   in Loop: Header=BB20_39 Depth=1
	s_or_b32 exec_lo, exec_lo, s15
	global_load_dwordx4 v[29:32], v[33:34], off offset:1024
	s_and_saveexec_b32 s15, vcc_lo
	s_cbranch_execnz .LBB20_59
.LBB20_48:                              ;   in Loop: Header=BB20_39 Depth=1
	s_or_b32 exec_lo, exec_lo, s15
	global_load_dwordx4 v[33:36], v[33:34], off offset:1536
	s_and_saveexec_b32 s15, vcc_lo
	s_cbranch_execz .LBB20_50
.LBB20_49:                              ;   in Loop: Header=BB20_39 Depth=1
	v_cmp_gt_i32_e64 s0, s30, v69
	s_waitcnt vmcnt(0)
	v_cndmask_b32_e64 v33, 0, v33, s0
	v_cmp_gt_i32_e64 s0, s30, v72
	v_cndmask_b32_e64 v34, 0, v34, s0
	v_cmp_gt_i32_e64 s0, s30, v71
	;; [unrolled: 2-line block ×3, first 2 shown]
	v_cndmask_b32_e64 v36, 0, v36, s0
.LBB20_50:                              ;   in Loop: Header=BB20_39 Depth=1
	s_or_b32 exec_lo, exec_lo, s15
	v_add_co_u32 v37, s0, 0x1000, v37
	v_add_co_ci_u32_e64 v38, null, 0, v38, s0
	global_load_dwordx4 v[41:44], v[37:38], off
	s_and_saveexec_b32 s15, vcc_lo
	s_cbranch_execz .LBB20_52
; %bb.51:                               ;   in Loop: Header=BB20_39 Depth=1
	v_cmp_gt_i32_e64 s0, s30, v69
	s_waitcnt vmcnt(0)
	v_cndmask_b32_e64 v41, 0, v41, s0
	v_cmp_gt_i32_e64 s0, s30, v72
	v_cndmask_b32_e64 v42, 0, v42, s0
	v_cmp_gt_i32_e64 s0, s30, v71
	;; [unrolled: 2-line block ×3, first 2 shown]
	v_cndmask_b32_e64 v44, 0, v44, s0
.LBB20_52:                              ;   in Loop: Header=BB20_39 Depth=1
	s_or_b32 exec_lo, exec_lo, s15
	global_load_dwordx4 v[37:40], v[37:38], off offset:512
	s_and_saveexec_b32 s0, vcc_lo
	s_cbranch_execz .LBB20_37
; %bb.53:                               ;   in Loop: Header=BB20_39 Depth=1
	v_cmp_gt_i32_e32 vcc_lo, s30, v69
	s_waitcnt vmcnt(0)
	v_cndmask_b32_e32 v37, 0, v37, vcc_lo
	v_cmp_gt_i32_e32 vcc_lo, s30, v72
	v_cndmask_b32_e32 v38, 0, v38, vcc_lo
	v_cmp_gt_i32_e32 vcc_lo, s30, v71
	v_cndmask_b32_e32 v39, 0, v39, vcc_lo
	v_cmp_gt_i32_e32 vcc_lo, s30, v70
	v_cndmask_b32_e32 v40, 0, v40, vcc_lo
	s_branch .LBB20_37
.LBB20_54:                              ;   in Loop: Header=BB20_39 Depth=1
	v_cmp_gt_i32_e64 s0, s30, v69
	s_waitcnt vmcnt(0)
	v_cndmask_b32_e64 v5, 0, v5, s0
	v_cmp_gt_i32_e64 s0, s30, v72
	v_cndmask_b32_e64 v6, 0, v6, s0
	v_cmp_gt_i32_e64 s0, s30, v71
	;; [unrolled: 2-line block ×3, first 2 shown]
	v_cndmask_b32_e64 v8, 0, v8, s0
	s_or_b32 exec_lo, exec_lo, s15
	global_load_dwordx4 v[9:12], v[37:38], off offset:512
	s_and_saveexec_b32 s15, vcc_lo
	s_cbranch_execz .LBB20_42
.LBB20_55:                              ;   in Loop: Header=BB20_39 Depth=1
	v_cmp_gt_i32_e64 s0, s30, v69
	s_waitcnt vmcnt(0)
	v_cndmask_b32_e64 v9, 0, v9, s0
	v_cmp_gt_i32_e64 s0, s30, v72
	v_cndmask_b32_e64 v10, 0, v10, s0
	v_cmp_gt_i32_e64 s0, s30, v71
	;; [unrolled: 2-line block ×3, first 2 shown]
	v_cndmask_b32_e64 v12, 0, v12, s0
	s_or_b32 exec_lo, exec_lo, s15
	global_load_dwordx4 v[13:16], v[37:38], off offset:1024
	s_and_saveexec_b32 s15, vcc_lo
	s_cbranch_execz .LBB20_43
.LBB20_56:                              ;   in Loop: Header=BB20_39 Depth=1
	v_cmp_gt_i32_e64 s0, s30, v69
	s_waitcnt vmcnt(0)
	v_cndmask_b32_e64 v13, 0, v13, s0
	v_cmp_gt_i32_e64 s0, s30, v72
	v_cndmask_b32_e64 v14, 0, v14, s0
	v_cmp_gt_i32_e64 s0, s30, v71
	v_cndmask_b32_e64 v15, 0, v15, s0
	v_cmp_gt_i32_e64 s0, s30, v70
	v_cndmask_b32_e64 v16, 0, v16, s0
	s_or_b32 exec_lo, exec_lo, s15
	global_load_dwordx4 v[17:20], v[37:38], off offset:1536
	s_and_saveexec_b32 s15, vcc_lo
	s_cbranch_execnz .LBB20_44
	s_branch .LBB20_45
.LBB20_57:                              ;   in Loop: Header=BB20_39 Depth=1
	v_cmp_gt_i32_e64 s0, s30, v69
	s_waitcnt vmcnt(0)
	v_cndmask_b32_e64 v21, 0, v21, s0
	v_cmp_gt_i32_e64 s0, s30, v72
	v_cndmask_b32_e64 v22, 0, v22, s0
	v_cmp_gt_i32_e64 s0, s30, v71
	v_cndmask_b32_e64 v23, 0, v23, s0
	v_cmp_gt_i32_e64 s0, s30, v70
	v_cndmask_b32_e64 v24, 0, v24, s0
	s_or_b32 exec_lo, exec_lo, s15
	global_load_dwordx4 v[25:28], v[33:34], off offset:512
	s_and_saveexec_b32 s15, vcc_lo
	s_cbranch_execz .LBB20_47
.LBB20_58:                              ;   in Loop: Header=BB20_39 Depth=1
	v_cmp_gt_i32_e64 s0, s30, v69
	s_waitcnt vmcnt(0)
	v_cndmask_b32_e64 v25, 0, v25, s0
	v_cmp_gt_i32_e64 s0, s30, v72
	v_cndmask_b32_e64 v26, 0, v26, s0
	v_cmp_gt_i32_e64 s0, s30, v71
	;; [unrolled: 2-line block ×3, first 2 shown]
	v_cndmask_b32_e64 v28, 0, v28, s0
	s_or_b32 exec_lo, exec_lo, s15
	global_load_dwordx4 v[29:32], v[33:34], off offset:1024
	s_and_saveexec_b32 s15, vcc_lo
	s_cbranch_execz .LBB20_48
.LBB20_59:                              ;   in Loop: Header=BB20_39 Depth=1
	v_cmp_gt_i32_e64 s0, s30, v69
	s_waitcnt vmcnt(0)
	v_cndmask_b32_e64 v29, 0, v29, s0
	v_cmp_gt_i32_e64 s0, s30, v72
	v_cndmask_b32_e64 v30, 0, v30, s0
	v_cmp_gt_i32_e64 s0, s30, v71
	;; [unrolled: 2-line block ×3, first 2 shown]
	v_cndmask_b32_e64 v32, 0, v32, s0
	s_or_b32 exec_lo, exec_lo, s15
	global_load_dwordx4 v[33:36], v[33:34], off offset:1536
	s_and_saveexec_b32 s15, vcc_lo
	s_cbranch_execnz .LBB20_49
	s_branch .LBB20_50
.LBB20_60:
	s_or_b32 exec_lo, exec_lo, s5
.LBB20_61:
	s_or_b32 exec_lo, exec_lo, s1
	ds_bpermute_b32 v1, v50, v62
	ds_bpermute_b32 v2, v50, v61
	;; [unrolled: 1-line block ×10, first 2 shown]
	v_and_b32_e32 v12, 28, v49
	v_lshrrev_b32_e32 v11, 2, v49
	v_mul_u32_u24_e32 v13, 0x140, v47
	v_and_b32_e32 v24, 0x3c3, v0
	s_mov_b32 s0, exec_lo
	v_add_nc_u32_e32 v12, 0x160, v12
	s_waitcnt lgkmcnt(0)
	s_barrier
	buffer_gl0_inv
	v_add_f32_e32 v1, v62, v1
	v_add_f32_e32 v2, v61, v2
	;; [unrolled: 1-line block ×10, first 2 shown]
	ds_bpermute_b32 v14, v51, v1
	ds_bpermute_b32 v15, v51, v2
	;; [unrolled: 1-line block ×10, first 2 shown]
	s_waitcnt lgkmcnt(9)
	v_add_f32_e32 v1, v1, v14
	s_waitcnt lgkmcnt(8)
	v_add_f32_e32 v2, v2, v15
	;; [unrolled: 2-line block ×10, first 2 shown]
	v_cmpx_eq_u32_e32 64, v24
	s_cbranch_execz .LBB20_63
; %bb.62:
	v_add_nc_u32_e32 v14, v12, v13
	v_add_nc_u32_e32 v15, 0xfffffd80, v14
	;; [unrolled: 1-line block ×6, first 2 shown]
	ds_write_b32 v15, v1
	ds_write_b32 v16, v2
	ds_write_b32 v17, v3
	ds_write_b32 v18, v4
	ds_write_b32 v19, v5
	v_add_nc_u32_e32 v15, 0xfffffe20, v14
	v_add_nc_u32_e32 v16, 0xfffffe40, v14
	;; [unrolled: 1-line block ×5, first 2 shown]
	ds_write_b32 v15, v6
	ds_write_b32 v16, v7
	;; [unrolled: 1-line block ×5, first 2 shown]
.LBB20_63:
	s_or_b32 exec_lo, exec_lo, s0
	v_lshlrev_b32_e32 v11, 2, v11
	s_mov_b32 s1, exec_lo
	v_cmp_eq_u32_e32 vcc_lo, 0, v52
	s_waitcnt lgkmcnt(0)
	s_barrier
	v_add3_u32 v11, 0x160, v13, v11
	buffer_gl0_inv
	v_cmpx_gt_u32_e32 64, v0
	s_cbranch_execz .LBB20_76
; %bb.64:
	s_and_saveexec_b32 s0, vcc_lo
	s_cbranch_execnz .LBB20_94
; %bb.65:
	s_or_b32 exec_lo, exec_lo, s0
	s_and_saveexec_b32 s0, vcc_lo
	s_cbranch_execnz .LBB20_95
.LBB20_66:
	s_or_b32 exec_lo, exec_lo, s0
	s_and_saveexec_b32 s0, vcc_lo
	s_cbranch_execnz .LBB20_96
.LBB20_67:
	s_or_b32 exec_lo, exec_lo, s0
	s_and_saveexec_b32 s0, vcc_lo
	s_cbranch_execnz .LBB20_97
.LBB20_68:
	s_or_b32 exec_lo, exec_lo, s0
	s_and_saveexec_b32 s0, vcc_lo
	s_cbranch_execnz .LBB20_98
.LBB20_69:
	s_or_b32 exec_lo, exec_lo, s0
	s_and_saveexec_b32 s0, vcc_lo
	s_cbranch_execnz .LBB20_99
.LBB20_70:
	s_or_b32 exec_lo, exec_lo, s0
	s_and_saveexec_b32 s0, vcc_lo
	s_cbranch_execnz .LBB20_100
.LBB20_71:
	s_or_b32 exec_lo, exec_lo, s0
	s_and_saveexec_b32 s0, vcc_lo
	s_cbranch_execnz .LBB20_101
.LBB20_72:
	s_or_b32 exec_lo, exec_lo, s0
	s_and_saveexec_b32 s0, vcc_lo
	s_cbranch_execnz .LBB20_102
.LBB20_73:
	s_or_b32 exec_lo, exec_lo, s0
	s_and_saveexec_b32 s0, vcc_lo
	s_cbranch_execz .LBB20_75
.LBB20_74:
	ds_read_b32 v13, v11 offset:288
	s_waitcnt lgkmcnt(0)
	v_add_f32_e32 v10, v10, v13
.LBB20_75:
	s_or_b32 exec_lo, exec_lo, s0
.LBB20_76:
	s_or_b32 exec_lo, exec_lo, s1
	v_and_b32_e32 v13, 0x3e3, v0
	s_mov_b32 s1, exec_lo
	s_barrier
	buffer_gl0_inv
	v_cmpx_eq_u32_e32 32, v13
	s_cbranch_execz .LBB20_78
; %bb.77:
	ds_write2_b32 v12, v1, v2 offset1:8
	ds_write2_b32 v12, v3, v4 offset0:16 offset1:24
	ds_write2_b32 v12, v5, v6 offset0:32 offset1:40
	;; [unrolled: 1-line block ×4, first 2 shown]
.LBB20_78:
	s_or_b32 exec_lo, exec_lo, s1
	s_mov_b32 s1, exec_lo
	s_waitcnt lgkmcnt(0)
	s_barrier
	buffer_gl0_inv
	v_cmpx_gt_u32_e32 32, v0
	s_cbranch_execz .LBB20_91
; %bb.79:
	s_and_saveexec_b32 s0, vcc_lo
	s_cbranch_execnz .LBB20_103
; %bb.80:
	s_or_b32 exec_lo, exec_lo, s0
	s_and_saveexec_b32 s0, vcc_lo
	s_cbranch_execnz .LBB20_104
.LBB20_81:
	s_or_b32 exec_lo, exec_lo, s0
	s_and_saveexec_b32 s0, vcc_lo
	s_cbranch_execnz .LBB20_105
.LBB20_82:
	s_or_b32 exec_lo, exec_lo, s0
	s_and_saveexec_b32 s0, vcc_lo
	s_cbranch_execnz .LBB20_106
.LBB20_83:
	s_or_b32 exec_lo, exec_lo, s0
	s_and_saveexec_b32 s0, vcc_lo
	s_cbranch_execnz .LBB20_107
.LBB20_84:
	s_or_b32 exec_lo, exec_lo, s0
	s_and_saveexec_b32 s0, vcc_lo
	s_cbranch_execnz .LBB20_108
.LBB20_85:
	s_or_b32 exec_lo, exec_lo, s0
	s_and_saveexec_b32 s0, vcc_lo
	s_cbranch_execnz .LBB20_109
.LBB20_86:
	s_or_b32 exec_lo, exec_lo, s0
	s_and_saveexec_b32 s0, vcc_lo
	s_cbranch_execnz .LBB20_110
.LBB20_87:
	s_or_b32 exec_lo, exec_lo, s0
	s_and_saveexec_b32 s0, vcc_lo
	s_cbranch_execnz .LBB20_111
.LBB20_88:
	s_or_b32 exec_lo, exec_lo, s0
	s_and_saveexec_b32 s0, vcc_lo
	s_cbranch_execz .LBB20_90
.LBB20_89:
	ds_read_b32 v11, v11 offset:288
	s_waitcnt lgkmcnt(0)
	v_add_f32_e32 v10, v10, v11
.LBB20_90:
	s_or_b32 exec_lo, exec_lo, s0
.LBB20_91:
	s_or_b32 exec_lo, exec_lo, s1
	s_barrier
	buffer_gl0_inv
	s_mov_b32 s0, exec_lo
	v_cmpx_eq_u32_e32 0, v13
	s_cbranch_execz .LBB20_93
; %bb.92:
	s_mul_i32 s0, s10, s11
	s_mul_i32 s2, s11, s20
	;; [unrolled: 1-line block ×3, first 2 shown]
	s_mulk_i32 s0, 0x50
	s_ashr_i32 s1, s0, 31
	s_lshl_b64 s[0:1], s[0:1], 2
	s_add_u32 s4, s6, s0
	s_addc_u32 s5, s7, s1
	s_ashr_i32 s3, s2, 31
	s_lshl_b64 s[0:1], s[2:3], 2
	s_mul_i32 s2, s8, 0x50
	s_add_u32 s4, s4, s0
	s_addc_u32 s5, s5, s1
	s_ashr_i32 s3, s2, 31
	s_lshl_b64 s[0:1], s[2:3], 2
	s_add_u32 s0, s4, s0
	s_addc_u32 s1, s5, s1
	global_store_dword v0, v1, s[0:1]
	global_store_dword v0, v2, s[0:1] offset:32
	global_store_dword v0, v3, s[0:1] offset:64
	;; [unrolled: 1-line block ×9, first 2 shown]
.LBB20_93:
	s_endpgm
.LBB20_94:
	ds_read_b32 v13, v11
	s_waitcnt lgkmcnt(0)
	v_add_f32_e32 v1, v1, v13
	s_or_b32 exec_lo, exec_lo, s0
	s_and_saveexec_b32 s0, vcc_lo
	s_cbranch_execz .LBB20_66
.LBB20_95:
	ds_read_b32 v13, v11 offset:32
	s_waitcnt lgkmcnt(0)
	v_add_f32_e32 v2, v2, v13
	s_or_b32 exec_lo, exec_lo, s0
	s_and_saveexec_b32 s0, vcc_lo
	s_cbranch_execz .LBB20_67
.LBB20_96:
	ds_read_b32 v13, v11 offset:64
	s_waitcnt lgkmcnt(0)
	v_add_f32_e32 v3, v3, v13
	s_or_b32 exec_lo, exec_lo, s0
	s_and_saveexec_b32 s0, vcc_lo
	s_cbranch_execz .LBB20_68
.LBB20_97:
	ds_read_b32 v13, v11 offset:96
	s_waitcnt lgkmcnt(0)
	v_add_f32_e32 v4, v4, v13
	s_or_b32 exec_lo, exec_lo, s0
	s_and_saveexec_b32 s0, vcc_lo
	s_cbranch_execz .LBB20_69
.LBB20_98:
	ds_read_b32 v13, v11 offset:128
	s_waitcnt lgkmcnt(0)
	v_add_f32_e32 v5, v5, v13
	s_or_b32 exec_lo, exec_lo, s0
	s_and_saveexec_b32 s0, vcc_lo
	s_cbranch_execz .LBB20_70
.LBB20_99:
	ds_read_b32 v13, v11 offset:160
	s_waitcnt lgkmcnt(0)
	v_add_f32_e32 v6, v6, v13
	s_or_b32 exec_lo, exec_lo, s0
	s_and_saveexec_b32 s0, vcc_lo
	s_cbranch_execz .LBB20_71
.LBB20_100:
	ds_read_b32 v13, v11 offset:192
	s_waitcnt lgkmcnt(0)
	v_add_f32_e32 v7, v7, v13
	s_or_b32 exec_lo, exec_lo, s0
	s_and_saveexec_b32 s0, vcc_lo
	s_cbranch_execz .LBB20_72
.LBB20_101:
	ds_read_b32 v13, v11 offset:224
	s_waitcnt lgkmcnt(0)
	v_add_f32_e32 v8, v8, v13
	s_or_b32 exec_lo, exec_lo, s0
	s_and_saveexec_b32 s0, vcc_lo
	s_cbranch_execz .LBB20_73
.LBB20_102:
	ds_read_b32 v13, v11 offset:256
	s_waitcnt lgkmcnt(0)
	v_add_f32_e32 v9, v9, v13
	s_or_b32 exec_lo, exec_lo, s0
	s_and_saveexec_b32 s0, vcc_lo
	s_cbranch_execnz .LBB20_74
	s_branch .LBB20_75
.LBB20_103:
	ds_read_b32 v12, v11
	s_waitcnt lgkmcnt(0)
	v_add_f32_e32 v1, v1, v12
	s_or_b32 exec_lo, exec_lo, s0
	s_and_saveexec_b32 s0, vcc_lo
	s_cbranch_execz .LBB20_81
.LBB20_104:
	ds_read_b32 v12, v11 offset:32
	s_waitcnt lgkmcnt(0)
	v_add_f32_e32 v2, v2, v12
	s_or_b32 exec_lo, exec_lo, s0
	s_and_saveexec_b32 s0, vcc_lo
	s_cbranch_execz .LBB20_82
.LBB20_105:
	ds_read_b32 v12, v11 offset:64
	s_waitcnt lgkmcnt(0)
	v_add_f32_e32 v3, v3, v12
	s_or_b32 exec_lo, exec_lo, s0
	s_and_saveexec_b32 s0, vcc_lo
	s_cbranch_execz .LBB20_83
.LBB20_106:
	ds_read_b32 v12, v11 offset:96
	s_waitcnt lgkmcnt(0)
	v_add_f32_e32 v4, v4, v12
	s_or_b32 exec_lo, exec_lo, s0
	s_and_saveexec_b32 s0, vcc_lo
	s_cbranch_execz .LBB20_84
.LBB20_107:
	ds_read_b32 v12, v11 offset:128
	s_waitcnt lgkmcnt(0)
	v_add_f32_e32 v5, v5, v12
	s_or_b32 exec_lo, exec_lo, s0
	s_and_saveexec_b32 s0, vcc_lo
	s_cbranch_execz .LBB20_85
.LBB20_108:
	ds_read_b32 v12, v11 offset:160
	s_waitcnt lgkmcnt(0)
	v_add_f32_e32 v6, v6, v12
	s_or_b32 exec_lo, exec_lo, s0
	s_and_saveexec_b32 s0, vcc_lo
	s_cbranch_execz .LBB20_86
.LBB20_109:
	ds_read_b32 v12, v11 offset:192
	s_waitcnt lgkmcnt(0)
	v_add_f32_e32 v7, v7, v12
	s_or_b32 exec_lo, exec_lo, s0
	s_and_saveexec_b32 s0, vcc_lo
	s_cbranch_execz .LBB20_87
.LBB20_110:
	ds_read_b32 v12, v11 offset:224
	s_waitcnt lgkmcnt(0)
	v_add_f32_e32 v8, v8, v12
	s_or_b32 exec_lo, exec_lo, s0
	s_and_saveexec_b32 s0, vcc_lo
	s_cbranch_execz .LBB20_88
.LBB20_111:
	ds_read_b32 v12, v11 offset:256
	s_waitcnt lgkmcnt(0)
	v_add_f32_e32 v9, v9, v12
	s_or_b32 exec_lo, exec_lo, s0
	s_and_saveexec_b32 s0, vcc_lo
	s_cbranch_execnz .LBB20_89
	s_branch .LBB20_90
	.section	.rodata,"a",@progbits
	.p2align	6, 0x0
	.amdhsa_kernel _ZN4vllm25paged_attention_v1_kernelIffLi80ELi16ELi128ELNS_18Fp8KVCacheDataTypeE0ELb1EEEvPT_PKS2_PKT0_S8_ifPKiSA_iPKfiiiSC_SC_iiiii
		.amdhsa_group_segment_fixed_size 352
		.amdhsa_private_segment_fixed_size 0
		.amdhsa_kernarg_size 384
		.amdhsa_user_sgpr_count 6
		.amdhsa_user_sgpr_private_segment_buffer 1
		.amdhsa_user_sgpr_dispatch_ptr 0
		.amdhsa_user_sgpr_queue_ptr 0
		.amdhsa_user_sgpr_kernarg_segment_ptr 1
		.amdhsa_user_sgpr_dispatch_id 0
		.amdhsa_user_sgpr_flat_scratch_init 0
		.amdhsa_user_sgpr_private_segment_size 0
		.amdhsa_wavefront_size32 1
		.amdhsa_uses_dynamic_stack 0
		.amdhsa_system_sgpr_private_segment_wavefront_offset 0
		.amdhsa_system_sgpr_workgroup_id_x 1
		.amdhsa_system_sgpr_workgroup_id_y 1
		.amdhsa_system_sgpr_workgroup_id_z 1
		.amdhsa_system_sgpr_workgroup_info 0
		.amdhsa_system_vgpr_workitem_id 0
		.amdhsa_next_free_vgpr 73
		.amdhsa_next_free_sgpr 38
		.amdhsa_reserve_vcc 1
		.amdhsa_reserve_flat_scratch 0
		.amdhsa_float_round_mode_32 0
		.amdhsa_float_round_mode_16_64 0
		.amdhsa_float_denorm_mode_32 3
		.amdhsa_float_denorm_mode_16_64 3
		.amdhsa_dx10_clamp 1
		.amdhsa_ieee_mode 1
		.amdhsa_fp16_overflow 0
		.amdhsa_workgroup_processor_mode 1
		.amdhsa_memory_ordered 1
		.amdhsa_forward_progress 1
		.amdhsa_shared_vgpr_count 0
		.amdhsa_exception_fp_ieee_invalid_op 0
		.amdhsa_exception_fp_denorm_src 0
		.amdhsa_exception_fp_ieee_div_zero 0
		.amdhsa_exception_fp_ieee_overflow 0
		.amdhsa_exception_fp_ieee_underflow 0
		.amdhsa_exception_fp_ieee_inexact 0
		.amdhsa_exception_int_div_zero 0
	.end_amdhsa_kernel
	.section	.text._ZN4vllm25paged_attention_v1_kernelIffLi80ELi16ELi128ELNS_18Fp8KVCacheDataTypeE0ELb1EEEvPT_PKS2_PKT0_S8_ifPKiSA_iPKfiiiSC_SC_iiiii,"axG",@progbits,_ZN4vllm25paged_attention_v1_kernelIffLi80ELi16ELi128ELNS_18Fp8KVCacheDataTypeE0ELb1EEEvPT_PKS2_PKT0_S8_ifPKiSA_iPKfiiiSC_SC_iiiii,comdat
.Lfunc_end20:
	.size	_ZN4vllm25paged_attention_v1_kernelIffLi80ELi16ELi128ELNS_18Fp8KVCacheDataTypeE0ELb1EEEvPT_PKS2_PKT0_S8_ifPKiSA_iPKfiiiSC_SC_iiiii, .Lfunc_end20-_ZN4vllm25paged_attention_v1_kernelIffLi80ELi16ELi128ELNS_18Fp8KVCacheDataTypeE0ELb1EEEvPT_PKS2_PKT0_S8_ifPKiSA_iPKfiiiSC_SC_iiiii
                                        ; -- End function
	.set _ZN4vllm25paged_attention_v1_kernelIffLi80ELi16ELi128ELNS_18Fp8KVCacheDataTypeE0ELb1EEEvPT_PKS2_PKT0_S8_ifPKiSA_iPKfiiiSC_SC_iiiii.num_vgpr, 73
	.set _ZN4vllm25paged_attention_v1_kernelIffLi80ELi16ELi128ELNS_18Fp8KVCacheDataTypeE0ELb1EEEvPT_PKS2_PKT0_S8_ifPKiSA_iPKfiiiSC_SC_iiiii.num_agpr, 0
	.set _ZN4vllm25paged_attention_v1_kernelIffLi80ELi16ELi128ELNS_18Fp8KVCacheDataTypeE0ELb1EEEvPT_PKS2_PKT0_S8_ifPKiSA_iPKfiiiSC_SC_iiiii.numbered_sgpr, 38
	.set _ZN4vllm25paged_attention_v1_kernelIffLi80ELi16ELi128ELNS_18Fp8KVCacheDataTypeE0ELb1EEEvPT_PKS2_PKT0_S8_ifPKiSA_iPKfiiiSC_SC_iiiii.num_named_barrier, 0
	.set _ZN4vllm25paged_attention_v1_kernelIffLi80ELi16ELi128ELNS_18Fp8KVCacheDataTypeE0ELb1EEEvPT_PKS2_PKT0_S8_ifPKiSA_iPKfiiiSC_SC_iiiii.private_seg_size, 0
	.set _ZN4vllm25paged_attention_v1_kernelIffLi80ELi16ELi128ELNS_18Fp8KVCacheDataTypeE0ELb1EEEvPT_PKS2_PKT0_S8_ifPKiSA_iPKfiiiSC_SC_iiiii.uses_vcc, 1
	.set _ZN4vllm25paged_attention_v1_kernelIffLi80ELi16ELi128ELNS_18Fp8KVCacheDataTypeE0ELb1EEEvPT_PKS2_PKT0_S8_ifPKiSA_iPKfiiiSC_SC_iiiii.uses_flat_scratch, 0
	.set _ZN4vllm25paged_attention_v1_kernelIffLi80ELi16ELi128ELNS_18Fp8KVCacheDataTypeE0ELb1EEEvPT_PKS2_PKT0_S8_ifPKiSA_iPKfiiiSC_SC_iiiii.has_dyn_sized_stack, 0
	.set _ZN4vllm25paged_attention_v1_kernelIffLi80ELi16ELi128ELNS_18Fp8KVCacheDataTypeE0ELb1EEEvPT_PKS2_PKT0_S8_ifPKiSA_iPKfiiiSC_SC_iiiii.has_recursion, 0
	.set _ZN4vllm25paged_attention_v1_kernelIffLi80ELi16ELi128ELNS_18Fp8KVCacheDataTypeE0ELb1EEEvPT_PKS2_PKT0_S8_ifPKiSA_iPKfiiiSC_SC_iiiii.has_indirect_call, 0
	.section	.AMDGPU.csdata,"",@progbits
; Kernel info:
; codeLenInByte = 6276
; TotalNumSgprs: 40
; NumVgprs: 73
; ScratchSize: 0
; MemoryBound: 0
; FloatMode: 240
; IeeeMode: 1
; LDSByteSize: 352 bytes/workgroup (compile time only)
; SGPRBlocks: 0
; VGPRBlocks: 9
; NumSGPRsForWavesPerEU: 40
; NumVGPRsForWavesPerEU: 73
; Occupancy: 12
; WaveLimiterHint : 1
; COMPUTE_PGM_RSRC2:SCRATCH_EN: 0
; COMPUTE_PGM_RSRC2:USER_SGPR: 6
; COMPUTE_PGM_RSRC2:TRAP_HANDLER: 0
; COMPUTE_PGM_RSRC2:TGID_X_EN: 1
; COMPUTE_PGM_RSRC2:TGID_Y_EN: 1
; COMPUTE_PGM_RSRC2:TGID_Z_EN: 1
; COMPUTE_PGM_RSRC2:TIDIG_COMP_CNT: 0
	.section	.text._ZN4vllm25paged_attention_v1_kernelIffLi96ELi16ELi128ELNS_18Fp8KVCacheDataTypeE0ELb1EEEvPT_PKS2_PKT0_S8_ifPKiSA_iPKfiiiSC_SC_iiiii,"axG",@progbits,_ZN4vllm25paged_attention_v1_kernelIffLi96ELi16ELi128ELNS_18Fp8KVCacheDataTypeE0ELb1EEEvPT_PKS2_PKT0_S8_ifPKiSA_iPKfiiiSC_SC_iiiii,comdat
	.protected	_ZN4vllm25paged_attention_v1_kernelIffLi96ELi16ELi128ELNS_18Fp8KVCacheDataTypeE0ELb1EEEvPT_PKS2_PKT0_S8_ifPKiSA_iPKfiiiSC_SC_iiiii ; -- Begin function _ZN4vllm25paged_attention_v1_kernelIffLi96ELi16ELi128ELNS_18Fp8KVCacheDataTypeE0ELb1EEEvPT_PKS2_PKT0_S8_ifPKiSA_iPKfiiiSC_SC_iiiii
	.globl	_ZN4vllm25paged_attention_v1_kernelIffLi96ELi16ELi128ELNS_18Fp8KVCacheDataTypeE0ELb1EEEvPT_PKS2_PKT0_S8_ifPKiSA_iPKfiiiSC_SC_iiiii
	.p2align	8
	.type	_ZN4vllm25paged_attention_v1_kernelIffLi96ELi16ELi128ELNS_18Fp8KVCacheDataTypeE0ELb1EEEvPT_PKS2_PKT0_S8_ifPKiSA_iPKfiiiSC_SC_iiiii,@function
_ZN4vllm25paged_attention_v1_kernelIffLi96ELi16ELi128ELNS_18Fp8KVCacheDataTypeE0ELb1EEEvPT_PKS2_PKT0_S8_ifPKiSA_iPKfiiiSC_SC_iiiii: ; @_ZN4vllm25paged_attention_v1_kernelIffLi96ELi16ELi128ELNS_18Fp8KVCacheDataTypeE0ELb1EEEvPT_PKS2_PKT0_S8_ifPKiSA_iPKfiiiSC_SC_iiiii
; %bb.0:
	s_clause 0x2
	s_load_dword s9, s[4:5], 0x80
	s_load_dwordx2 s[0:1], s[4:5], 0x30
	s_load_dwordx2 s[28:29], s[4:5], 0x20
	s_mov_b32 s10, s7
	s_ashr_i32 s11, s7, 31
	s_mov_b32 s33, 0
	s_lshl_b64 s[2:3], s[10:11], 2
	s_waitcnt lgkmcnt(0)
	s_add_u32 s0, s0, s2
	s_addc_u32 s1, s1, s3
	s_abs_i32 s2, s28
	s_abs_i32 s11, s9
	v_cvt_f32_u32_e32 v1, s2
	s_sub_i32 s7, 0, s2
	v_rcp_iflag_f32_e32 v1, v1
	v_mul_f32_e32 v1, 0x4f7ffffe, v1
	v_cvt_u32_f32_e32 v1, v1
	v_readfirstlane_b32 s3, v1
	s_mul_i32 s7, s7, s3
	s_mul_hi_u32 s7, s3, s7
	s_add_i32 s3, s3, s7
	s_xor_b32 s7, s9, s28
	s_mul_hi_u32 s3, s11, s3
	s_ashr_i32 s7, s7, 31
	s_mul_i32 s12, s3, s2
	s_sub_i32 s11, s11, s12
	s_add_i32 s12, s3, 1
	s_sub_i32 s13, s11, s2
	s_cmp_ge_u32 s11, s2
	s_cselect_b32 s3, s12, s3
	s_cselect_b32 s11, s13, s11
	s_add_i32 s12, s3, 1
	s_cmp_ge_u32 s11, s2
	s_cselect_b32 s2, s12, s3
	s_abs_i32 s22, s6
	s_xor_b32 s2, s2, s7
	s_sub_i32 s16, s2, s7
	s_load_dwordx2 s[2:3], s[4:5], 0x40
	s_abs_i32 s11, s16
	v_cvt_f32_u32_e32 v1, s11
	s_sub_i32 s12, 0, s11
	v_rcp_iflag_f32_e32 v1, v1
	v_mul_f32_e32 v1, 0x4f7ffffe, v1
	v_cvt_u32_f32_e32 v1, v1
	v_readfirstlane_b32 s7, v1
	s_mul_i32 s12, s12, s7
	s_mul_hi_u32 s12, s7, s12
	s_add_i32 s7, s7, s12
	s_waitcnt lgkmcnt(0)
	s_cmp_eq_u64 s[2:3], 0
	s_mul_hi_u32 s23, s22, s7
	s_cbranch_scc1 .LBB21_2
; %bb.1:
	s_ashr_i32 s7, s6, 31
	s_lshl_b64 s[12:13], s[6:7], 2
	s_add_u32 s2, s2, s12
	s_addc_u32 s3, s3, s13
	s_load_dword s33, s[2:3], 0x0
.LBB21_2:
	s_load_dword s30, s[0:1], 0x0
	s_load_dwordx4 s[12:15], s[4:5], 0x48
	v_and_b32_e32 v1, 1, v0
	v_lshlrev_b32_e32 v2, 3, v0
	v_lshlrev_b32_e32 v3, 2, v0
	s_ashr_i32 s0, s6, 31
	s_ashr_i32 s1, s16, 31
	s_mul_i32 s20, s6, 0x60
	s_mov_b32 s2, exec_lo
	v_cmpx_gt_u32_e32 48, v0
	s_cbranch_execz .LBB21_4
; %bb.3:
	s_load_dwordx2 s[16:17], s[4:5], 0x8
	s_waitcnt lgkmcnt(0)
	s_mul_i32 s18, s12, s10
	v_and_b32_e32 v6, 0xff8, v3
	s_ashr_i32 s19, s18, 31
	s_lshl_b64 s[18:19], s[18:19], 2
	v_mad_u32_u24 v6, 0xc0, v1, v6
	s_add_u32 s3, s16, s18
	s_addc_u32 s7, s17, s19
	s_ashr_i32 s21, s20, 31
	s_lshl_b64 s[16:17], s[20:21], 2
	s_add_u32 s16, s3, s16
	s_addc_u32 s17, s7, s17
	global_load_dwordx2 v[4:5], v2, s[16:17]
	s_waitcnt vmcnt(0)
	ds_write_b64 v6, v[4:5]
.LBB21_4:
	s_or_b32 exec_lo, exec_lo, s2
	s_load_dwordx4 s[16:19], s[4:5], 0x68
	s_mul_i32 s2, s23, s11
	s_xor_b32 s1, s0, s1
	s_sub_i32 s0, s22, s2
	s_add_i32 s2, s23, 1
	s_sub_i32 s3, s0, s11
	s_cmp_ge_u32 s0, s11
	s_waitcnt lgkmcnt(0)
	s_cselect_b32 s2, s2, s23
	s_cselect_b32 s0, s3, s0
	s_add_i32 s3, s2, 1
	s_cmp_ge_u32 s0, s11
	s_load_dword s0, s[4:5], 0x78
	s_cselect_b32 s2, s3, s2
	s_add_i32 s7, s30, -1
	s_xor_b32 s2, s2, s1
	s_abs_i32 s3, s7
	s_sub_i32 s1, s2, s1
	s_mov_b32 s11, -1
	s_barrier
	s_abs_i32 s12, s19
	s_waitcnt lgkmcnt(0)
	buffer_gl0_inv
	v_cvt_f32_u32_e32 v4, s12
	s_sub_i32 s2, 0, s12
                                        ; implicit-def: $sgpr31
	v_rcp_iflag_f32_e32 v4, v4
	v_mul_f32_e32 v4, 0x4f7ffffe, v4
	v_cvt_u32_f32_e32 v4, v4
	v_readfirstlane_b32 s21, v4
	s_mul_i32 s2, s2, s21
	s_mul_hi_u32 s2, s21, s2
	s_add_i32 s21, s21, s2
	s_cmp_lt_i32 s0, 0
	s_mul_hi_u32 s2, s3, s21
	s_cbranch_scc0 .LBB21_6
; %bb.5:
	s_mul_i32 s11, s16, s28
	s_add_i32 s11, s1, s11
	s_mul_i32 s11, s11, s0
	s_sub_i32 s31, 1, s11
	s_mov_b32 s11, 0
.LBB21_6:
	s_load_dwordx2 s[22:23], s[4:5], 0x28
	s_ashr_i32 s7, s7, 31
	s_andn2_b32 vcc_lo, exec_lo, s11
	s_ashr_i32 s19, s19, 31
	s_cbranch_vccnz .LBB21_8
; %bb.7:
	s_mul_i32 s11, s9, s16
	s_add_i32 s6, s11, s6
	s_mul_i32 s0, s6, s0
	s_add_i32 s31, s0, 1
.LBB21_8:
	s_load_dword s0, s[4:5], 0x38
	s_mul_i32 s6, s2, s12
	s_xor_b32 s15, s7, s19
	s_sub_i32 s3, s3, s6
	s_add_i32 s16, s2, 1
	s_clause 0x2
	s_load_dwordx2 s[6:7], s[4:5], 0x0
	s_load_dwordx2 s[26:27], s[4:5], 0x18
	s_load_dword s11, s[4:5], 0x88
	v_lshrrev_b32_e32 v55, 5, v0
	v_mov_b32_e32 v6, 0xff7fffff
	v_lshrrev_b32_e32 v4, 3, v0
	v_mbcnt_lo_u32_b32 v5, -1, 0
	s_mul_i32 s14, s1, s14
	v_lshlrev_b32_e32 v56, 4, v55
	s_waitcnt lgkmcnt(0)
	s_mul_i32 s24, s0, s10
	s_sub_i32 s0, s3, s12
	s_ashr_i32 s25, s24, 31
	s_cmp_ge_u32 s3, s12
	s_cselect_b32 s2, s16, s2
	s_cselect_b32 s0, s0, s3
	s_add_i32 s3, s2, 1
	s_cmp_ge_u32 s0, s12
	s_cselect_b32 s0, s3, s2
	s_add_i32 s2, s30, 15
	s_ashr_i32 s3, s2, 31
	s_lshr_b32 s3, s3, 28
	s_add_i32 s2, s2, s3
	s_ashr_i32 s16, s2, 4
	s_xor_b32 s2, s0, s15
	v_cmp_gt_i32_e64 s0, s16, v55
	s_sub_i32 s28, s2, s15
	s_and_saveexec_b32 s34, s0
	s_cbranch_execz .LBB21_20
; %bb.9:
	s_load_dwordx2 s[2:3], s[4:5], 0x10
	s_ashr_i32 s15, s14, 31
	s_sub_i32 s4, s28, s17
	s_lshl_b64 s[36:37], s[14:15], 2
	v_bfe_u32 v7, v0, 1, 4
	v_and_b32_e32 v14, 8, v2
	v_cmp_eq_u32_e32 vcc_lo, 0, v1
	v_mul_u32_u24_e32 v8, 0xc0, v1
	v_and_b32_e32 v1, 0x7c, v4
	v_lshlrev_b32_e32 v2, 2, v7
	v_subrev_nc_u32_e32 v13, s30, v7
	v_lshlrev_b32_e32 v15, 4, v7
	v_cmp_neq_f32_e64 s1, s33, 0
	v_lshlrev_b32_e32 v9, 4, v55
	v_lshl_or_b32 v2, v55, 6, v2
	v_mov_b32_e32 v10, 0xff7fffff
	v_xor_b32_e32 v11, 1, v5
	s_waitcnt lgkmcnt(0)
	s_add_u32 s15, s2, s36
	s_addc_u32 s35, s3, s37
	s_abs_i32 s5, s18
	v_add_co_u32 v15, s15, s15, v15
	v_cvt_f32_u32_e32 v6, s5
	s_sub_i32 s2, 0, s5
	v_add_co_ci_u32_e64 v17, null, s35, 0, s15
	s_mov_b32 s15, 0
	v_rcp_iflag_f32_e32 v6, v6
	s_mov_b32 s35, s13
	v_mul_f32_e32 v12, 0x4f7ffffe, v6
	v_mov_b32_e32 v6, 0xff7fffff
	v_cvt_u32_f32_e32 v16, v12
	v_add_nc_u32_e32 v12, 1, v13
	v_add_nc_u32_e32 v13, 0x1a0, v2
	v_mul_lo_u32 v2, s2, v16
	s_lshl_b64 s[2:3], s[24:25], 2
	s_add_u32 s2, s22, s2
	s_addc_u32 s3, s23, s3
	v_add_co_u32 v1, s2, s2, v1
	v_mul_hi_u32 v18, v16, v2
	v_add_co_ci_u32_e64 v2, null, s3, 0, s2
	v_add_co_u32 v14, s2, v15, v14
	v_add_co_ci_u32_e64 v15, null, 0, v17, s2
	v_mov_b32_e32 v17, v55
	v_add_nc_u32_e32 v16, v16, v18
	s_branch .LBB21_12
.LBB21_10:                              ;   in Loop: Header=BB21_12 Depth=1
	s_or_b32 exec_lo, exec_lo, s36
.LBB21_11:                              ;   in Loop: Header=BB21_12 Depth=1
	s_or_b32 exec_lo, exec_lo, s3
	v_add_nc_u32_e32 v17, 4, v17
	v_add_co_u32 v1, s3, v1, 16
	v_add_co_ci_u32_e64 v2, null, 0, v2, s3
	v_cmp_le_i32_e64 s2, s16, v17
	v_add_nc_u32_e32 v9, 64, v9
	v_add_nc_u32_e32 v13, 0x100, v13
	s_or_b32 s15, s2, s15
	s_andn2_b32 exec_lo, exec_lo, s15
	s_cbranch_execz .LBB21_19
.LBB21_12:                              ; =>This Inner Loop Header: Depth=1
	v_mul_hi_u32 v18, v9, s21
	s_waitcnt lgkmcnt(0)
	v_mul_lo_u32 v19, v18, s12
	v_add_nc_u32_e32 v20, 1, v18
	v_sub_nc_u32_e32 v19, v9, v19
	v_subrev_nc_u32_e32 v21, s12, v19
	v_cmp_le_u32_e64 s2, s12, v19
	v_cndmask_b32_e64 v18, v18, v20, s2
	v_cndmask_b32_e64 v19, v19, v21, s2
	v_add_nc_u32_e32 v20, 1, v18
	v_cmp_le_u32_e64 s2, s12, v19
	v_cndmask_b32_e64 v18, v18, v20, s2
	v_xor_b32_e32 v18, s19, v18
	v_subrev_nc_u32_e32 v18, s19, v18
	v_add_nc_u32_e32 v19, s31, v18
	v_cmp_ge_i32_e64 s3, s4, v18
	v_sub_nc_u32_e32 v20, 0, v19
	v_max_i32_e32 v20, v19, v20
	v_ashrrev_i32_e32 v19, 31, v19
	v_mul_hi_u32 v21, v20, v16
	v_mul_lo_u32 v21, v21, s5
	v_sub_nc_u32_e32 v20, v20, v21
	v_subrev_nc_u32_e32 v21, s5, v20
	v_cmp_le_u32_e64 s2, s5, v20
	v_cndmask_b32_e64 v20, v20, v21, s2
	v_subrev_nc_u32_e32 v21, s5, v20
	v_cmp_le_u32_e64 s2, s5, v20
	v_cndmask_b32_e64 v20, v20, v21, s2
	v_xor_b32_e32 v20, v20, v19
	v_sub_nc_u32_e32 v19, v20, v19
	v_cmp_ne_u32_e64 s2, 0, v19
	s_and_b32 s2, s2, s3
	s_and_saveexec_b32 s3, s2
	s_xor_b32 s2, exec_lo, s3
	s_cbranch_execz .LBB21_16
; %bb.13:                               ;   in Loop: Header=BB21_12 Depth=1
	s_and_saveexec_b32 s3, vcc_lo
; %bb.14:                               ;   in Loop: Header=BB21_12 Depth=1
	ds_write_b32 v13, v10
; %bb.15:                               ;   in Loop: Header=BB21_12 Depth=1
	s_or_b32 exec_lo, exec_lo, s3
.LBB21_16:                              ;   in Loop: Header=BB21_12 Depth=1
	s_andn2_saveexec_b32 s3, s2
	s_cbranch_execz .LBB21_11
; %bb.17:                               ;   in Loop: Header=BB21_12 Depth=1
	global_load_dword v18, v[1:2], off
	s_waitcnt vmcnt(0)
	v_mad_i64_i32 v[18:19], null, v18, s35, 0
	v_lshlrev_b64 v[18:19], 2, v[18:19]
	v_add_co_u32 v18, s2, v14, v18
	v_add_co_ci_u32_e64 v19, null, v15, v19, s2
	s_clause 0x7
	global_load_dwordx2 v[30:31], v[18:19], off offset:256
	global_load_dwordx2 v[32:33], v[18:19], off offset:512
	;; [unrolled: 1-line block ×3, first 2 shown]
	global_load_dwordx2 v[36:37], v[18:19], off
	global_load_dwordx2 v[38:39], v[18:19], off offset:1024
	global_load_dwordx2 v[40:41], v[18:19], off offset:1280
	;; [unrolled: 1-line block ×4, first 2 shown]
	v_add_co_u32 v20, s2, v18, 0x1000
	v_add_co_ci_u32_e64 v21, null, 0, v19, s2
	v_add_co_u32 v22, s2, 0x800, v18
	v_add_co_ci_u32_e64 v23, null, 0, v19, s2
	s_clause 0x7
	global_load_dwordx2 v[46:47], v[20:21], off offset:-2048
	global_load_dwordx2 v[48:49], v[22:23], off offset:256
	global_load_dwordx2 v[50:51], v[22:23], off offset:512
	;; [unrolled: 1-line block ×7, first 2 shown]
	v_add_co_u32 v18, s2, 0x1000, v18
	v_add_co_ci_u32_e64 v19, null, 0, v19, s2
	s_clause 0x7
	global_load_dwordx2 v[65:66], v[20:21], off
	global_load_dwordx2 v[67:68], v[18:19], off offset:256
	global_load_dwordx2 v[69:70], v[18:19], off offset:512
	;; [unrolled: 1-line block ×7, first 2 shown]
	ds_read_b128 v[18:21], v8
	ds_read_b128 v[22:25], v8 offset:16
	ds_read_b128 v[26:29], v8 offset:32
	v_cmp_gt_i32_e64 s2, 32, v11
	s_waitcnt vmcnt(23) lgkmcnt(2)
	v_mul_f32_e32 v30, v20, v30
	v_mul_f32_e32 v31, v21, v31
	s_waitcnt vmcnt(20)
	v_fmac_f32_e32 v30, v18, v36
	v_fmac_f32_e32 v31, v19, v37
	ds_read_b128 v[18:21], v8 offset:48
	s_waitcnt lgkmcnt(2)
	v_fmac_f32_e32 v30, v22, v32
	v_fmac_f32_e32 v31, v23, v33
	;; [unrolled: 1-line block ×4, first 2 shown]
	ds_read_b128 v[22:25], v8 offset:64
	s_waitcnt vmcnt(19) lgkmcnt(2)
	v_fmac_f32_e32 v30, v26, v38
	v_fmac_f32_e32 v31, v27, v39
	s_waitcnt vmcnt(18)
	v_fmac_f32_e32 v30, v28, v40
	v_fmac_f32_e32 v31, v29, v41
	ds_read_b128 v[26:29], v8 offset:80
	s_waitcnt vmcnt(17) lgkmcnt(2)
	v_fmac_f32_e32 v30, v18, v42
	v_fmac_f32_e32 v31, v19, v43
	s_waitcnt vmcnt(16)
	v_fmac_f32_e32 v30, v20, v44
	v_fmac_f32_e32 v31, v21, v45
	;; [unrolled: 7-line block ×7, first 2 shown]
	ds_read_b128 v[26:29], v8 offset:176
	s_waitcnt vmcnt(5) lgkmcnt(2)
	v_fmac_f32_e32 v30, v18, v69
	v_fmac_f32_e32 v31, v19, v70
	v_cndmask_b32_e64 v18, v5, v11, s2
	s_waitcnt vmcnt(4)
	v_fmac_f32_e32 v30, v20, v71
	v_fmac_f32_e32 v31, v21, v72
	v_lshlrev_b32_e32 v19, 2, v18
	s_waitcnt vmcnt(3) lgkmcnt(1)
	v_fmac_f32_e32 v30, v22, v73
	v_fmac_f32_e32 v31, v23, v74
	s_waitcnt vmcnt(2)
	v_fmac_f32_e32 v30, v24, v75
	v_fmac_f32_e32 v31, v25, v76
	s_waitcnt vmcnt(1) lgkmcnt(0)
	v_fmac_f32_e32 v30, v26, v77
	v_fmac_f32_e32 v31, v27, v78
	s_waitcnt vmcnt(0)
	v_fmac_f32_e32 v30, v28, v79
	v_fmac_f32_e32 v31, v29, v80
	v_add_f32_e32 v18, v30, v31
	ds_bpermute_b32 v19, v19, v18
	s_and_saveexec_b32 s36, vcc_lo
	s_cbranch_execz .LBB21_10
; %bb.18:                               ;   in Loop: Header=BB21_12 Depth=1
	v_add_nc_u32_e32 v20, v12, v9
	s_waitcnt lgkmcnt(0)
	v_add_f32_e32 v18, v18, v19
	v_cvt_f32_i32_e32 v20, v20
	v_mul_f32_e32 v20, s33, v20
	v_cndmask_b32_e64 v19, 0, v20, s1
	v_max_f32_e32 v20, v6, v6
	v_fmac_f32_e32 v19, s29, v18
	v_add_nc_u32_e32 v18, v7, v9
	v_max_f32_e32 v20, v20, v19
	v_cmp_gt_i32_e64 s2, s30, v18
	v_cndmask_b32_e64 v18, 0, v19, s2
	v_cndmask_b32_e64 v6, v6, v20, s2
	ds_write_b32 v13, v18
	s_branch .LBB21_10
.LBB21_19:
	s_or_b32 exec_lo, exec_lo, s15
.LBB21_20:
	s_or_b32 exec_lo, exec_lo, s34
	v_xor_b32_e32 v1, 16, v5
	v_xor_b32_e32 v7, 8, v5
	v_max_f32_e32 v8, v6, v6
	v_and_b32_e32 v57, 31, v0
	v_cmp_gt_i32_e32 vcc_lo, 32, v1
	v_cndmask_b32_e32 v1, v5, v1, vcc_lo
	v_cmp_gt_i32_e32 vcc_lo, 32, v7
	v_lshlrev_b32_e32 v1, 2, v1
	ds_bpermute_b32 v2, v1, v6
	v_cndmask_b32_e32 v6, v5, v7, vcc_lo
	v_lshlrev_b32_e32 v6, 2, v6
	s_waitcnt lgkmcnt(0)
	v_max_f32_e32 v2, v2, v2
	v_max_f32_e32 v2, v8, v2
	v_xor_b32_e32 v8, 4, v5
	ds_bpermute_b32 v7, v6, v2
	v_cmp_gt_i32_e32 vcc_lo, 32, v8
	v_cndmask_b32_e32 v8, v5, v8, vcc_lo
	s_waitcnt lgkmcnt(0)
	v_max_f32_e32 v9, v7, v7
	v_lshlrev_b32_e32 v7, 2, v8
	v_max_f32_e32 v2, v2, v9
	v_xor_b32_e32 v9, 2, v5
	ds_bpermute_b32 v8, v7, v2
	v_cmp_gt_i32_e32 vcc_lo, 32, v9
	v_cndmask_b32_e32 v9, v5, v9, vcc_lo
	v_cmp_eq_u32_e32 vcc_lo, 0, v57
	v_lshlrev_b32_e32 v58, 2, v9
	s_waitcnt lgkmcnt(0)
	v_max_f32_e32 v8, v8, v8
	v_max_f32_e32 v2, v2, v8
	v_lshlrev_b32_e32 v8, 2, v55
	ds_bpermute_b32 v9, v58, v2
	s_and_saveexec_b32 s1, vcc_lo
	s_cbranch_execz .LBB21_22
; %bb.21:
	s_waitcnt lgkmcnt(0)
	v_max_f32_e32 v9, v9, v9
	v_max_f32_e32 v2, v2, v2
	;; [unrolled: 1-line block ×3, first 2 shown]
	ds_write_b32 v8, v2 offset:384
.LBB21_22:
	s_or_b32 exec_lo, exec_lo, s1
	v_cmp_gt_u32_e64 s1, 4, v57
	v_mov_b32_e32 v2, 0xff7fffff
	s_waitcnt lgkmcnt(0)
	v_lshlrev_b32_e32 v9, 2, v57
	s_barrier
	buffer_gl0_inv
	s_and_saveexec_b32 s2, s1
; %bb.23:
	ds_read_b32 v2, v9 offset:384
; %bb.24:
	s_or_b32 exec_lo, exec_lo, s2
	s_waitcnt lgkmcnt(0)
	ds_bpermute_b32 v10, v58, v2
	v_xor_b32_e32 v11, 1, v5
	v_max_f32_e32 v2, v2, v2
	v_cmp_gt_i32_e64 s2, 32, v11
	v_cndmask_b32_e64 v5, v5, v11, s2
	s_lshl_b32 s2, s16, 4
	s_min_i32 s4, s2, s30
	v_lshlrev_b32_e32 v59, 2, v5
	v_cmp_gt_i32_e64 s2, s4, v0
	s_waitcnt lgkmcnt(0)
	v_max_f32_e32 v10, v10, v10
	v_max_f32_e32 v2, v2, v10
	ds_bpermute_b32 v5, v59, v2
	s_waitcnt lgkmcnt(0)
	v_max_f32_e32 v5, v5, v5
	v_max_f32_e32 v2, v2, v5
	v_mov_b32_e32 v5, 0
	ds_bpermute_b32 v10, v5, v2
	v_lshl_add_u32 v2, v0, 2, 0x1a0
	s_and_saveexec_b32 s5, s2
	s_cbranch_execz .LBB21_28
; %bb.25:
	v_lshl_add_u32 v11, v0, 2, 0x1a0
	v_mov_b32_e32 v5, 0
	v_mov_b32_e32 v12, v0
	s_mov_b32 s15, 0
	.p2align	6
.LBB21_26:                              ; =>This Inner Loop Header: Depth=1
	ds_read_b32 v13, v11
	v_add_nc_u32_e32 v12, 0x80, v12
	v_cmp_le_i32_e64 s3, s4, v12
	s_or_b32 s15, s3, s15
	s_waitcnt lgkmcnt(0)
	v_sub_f32_e32 v13, v13, v10
	v_mul_f32_e32 v13, 0x3fb8aa3b, v13
	v_exp_f32_e32 v13, v13
	ds_write_b32 v11, v13
	v_add_f32_e32 v5, v5, v13
	v_add_nc_u32_e32 v11, 0x200, v11
	s_andn2_b32 exec_lo, exec_lo, s15
	s_cbranch_execnz .LBB21_26
; %bb.27:
	s_or_b32 exec_lo, exec_lo, s15
.LBB21_28:
	s_or_b32 exec_lo, exec_lo, s5
	ds_bpermute_b32 v1, v1, v5
	s_waitcnt lgkmcnt(0)
	v_add_f32_e32 v1, v5, v1
	ds_bpermute_b32 v5, v6, v1
	s_waitcnt lgkmcnt(0)
	v_add_f32_e32 v1, v1, v5
	;; [unrolled: 3-line block ×5, first 2 shown]
	s_and_saveexec_b32 s3, vcc_lo
; %bb.29:
	ds_write_b32 v8, v1 offset:400
; %bb.30:
	s_or_b32 exec_lo, exec_lo, s3
	s_waitcnt lgkmcnt(0)
	s_barrier
	buffer_gl0_inv
	s_and_saveexec_b32 s3, s1
; %bb.31:
	ds_read_b32 v1, v9 offset:400
; %bb.32:
	s_or_b32 exec_lo, exec_lo, s3
	s_waitcnt lgkmcnt(0)
	ds_bpermute_b32 v5, v58, v1
	s_waitcnt lgkmcnt(0)
	v_add_f32_e32 v1, v1, v5
	ds_bpermute_b32 v5, v59, v1
	s_waitcnt lgkmcnt(0)
	v_add_f32_e32 v1, v1, v5
	v_mov_b32_e32 v5, 0
	ds_bpermute_b32 v1, v5, v1
	s_and_saveexec_b32 s1, s2
	s_cbranch_execz .LBB21_35
; %bb.33:
	s_waitcnt lgkmcnt(0)
	v_add_f32_e32 v1, 0x358637bd, v1
	s_mov_b32 s2, 0
	v_div_scale_f32 v5, null, v1, v1, 1.0
	v_div_scale_f32 v8, vcc_lo, 1.0, v1, 1.0
	v_rcp_f32_e32 v6, v5
	v_fma_f32 v7, -v5, v6, 1.0
	v_fmac_f32_e32 v6, v7, v6
	v_mul_f32_e32 v7, v8, v6
	v_fma_f32 v9, -v5, v7, v8
	v_fmac_f32_e32 v7, v9, v6
	v_fma_f32 v5, -v5, v7, v8
	v_div_fmas_f32 v5, v5, v6, v7
	v_div_fixup_f32 v1, v5, v1, 1.0
	v_mov_b32_e32 v5, v0
.LBB21_34:                              ; =>This Inner Loop Header: Depth=1
	ds_read_b32 v6, v2
	v_add_nc_u32_e32 v5, 0x80, v5
	v_cmp_le_i32_e32 vcc_lo, s4, v5
	s_or_b32 s2, vcc_lo, s2
	s_waitcnt lgkmcnt(0)
	v_mul_f32_e32 v6, v1, v6
	ds_write_b32 v2, v6
	v_add_nc_u32_e32 v2, 0x200, v2
	s_andn2_b32 exec_lo, exec_lo, s2
	s_cbranch_execnz .LBB21_34
.LBB21_35:
	s_or_b32 exec_lo, exec_lo, s1
	v_mov_b32_e32 v72, 0
	v_and_b32_e32 v60, 3, v0
	v_mov_b32_e32 v71, 0
	v_mov_b32_e32 v70, 0
	v_mov_b32_e32 v69, 0
	v_mov_b32_e32 v68, 0
	v_mov_b32_e32 v67, 0
	v_mov_b32_e32 v66, 0
	v_mov_b32_e32 v65, 0
	v_mov_b32_e32 v64, 0
	v_mov_b32_e32 v63, 0
	v_mov_b32_e32 v62, 0
	v_mov_b32_e32 v61, 0
	s_waitcnt lgkmcnt(0)
	s_barrier
	buffer_gl0_inv
	s_and_saveexec_b32 s4, s0
	s_cbranch_execz .LBB21_65
; %bb.36:
	s_ashr_i32 s15, s14, 31
	s_sub_i32 s5, s28, s17
	s_lshl_b64 s[0:1], s[14:15], 2
	v_lshlrev_b32_e32 v2, 4, v0
	s_add_u32 s2, s26, s0
	s_addc_u32 s3, s27, s1
	s_abs_i32 s14, s18
	v_and_b32_e32 v73, 12, v3
	v_cvt_f32_u32_e32 v1, s14
	s_sub_i32 s0, 0, s14
	v_and_b32_e32 v3, 0x7c, v4
	v_lshlrev_b32_e32 v4, 4, v60
	v_and_b32_e32 v2, 0x1f0, v2
	v_rcp_iflag_f32_e32 v1, v1
	s_add_i32 s15, s16, -1
	v_mov_b32_e32 v61, 0
	v_lshl_or_b32 v4, v55, 6, v4
	v_add_co_u32 v74, s2, s2, v2
	v_mov_b32_e32 v62, 0
	v_mov_b32_e32 v63, 0
	;; [unrolled: 1-line block ×4, first 2 shown]
	v_mul_f32_e32 v1, 0x4f7ffffe, v1
	v_mov_b32_e32 v66, 0
	v_mov_b32_e32 v67, 0
	;; [unrolled: 1-line block ×4, first 2 shown]
	v_cvt_u32_f32_e32 v1, v1
	v_mov_b32_e32 v70, 0
	v_mov_b32_e32 v71, 0
	;; [unrolled: 1-line block ×3, first 2 shown]
	v_add_co_ci_u32_e64 v75, null, s3, 0, s2
	v_mul_lo_u32 v5, s0, v1
	s_lshl_b64 s[0:1], s[24:25], 2
	v_add_nc_u32_e32 v76, 0x1a0, v4
	s_add_u32 s0, s22, s0
	s_addc_u32 s1, s23, s1
	v_add_co_u32 v53, s0, s0, v3
	v_add_co_ci_u32_e64 v54, null, s1, 0, s0
	v_mul_hi_u32 v5, v1, v5
	v_mov_b32_e32 v78, v55
	s_mov_b32 s17, s13
	s_mov_b32 s13, 0
	v_add_nc_u32_e32 v77, v1, v5
	s_branch .LBB21_39
.LBB21_37:                              ;   in Loop: Header=BB21_39 Depth=1
	s_or_b32 exec_lo, exec_lo, s0
	s_waitcnt vmcnt(1) lgkmcnt(0)
	v_mul_f32_e32 v49, v1, v49
	v_mul_f32_e32 v45, v1, v45
	;; [unrolled: 1-line block ×11, first 2 shown]
	s_waitcnt vmcnt(0)
	v_mul_f32_e32 v1, v1, v41
	v_fmac_f32_e32 v49, v2, v50
	v_fmac_f32_e32 v45, v2, v46
	;; [unrolled: 1-line block ×36, first 2 shown]
	v_add_f32_e32 v62, v62, v49
	v_add_f32_e32 v63, v63, v45
	;; [unrolled: 1-line block ×12, first 2 shown]
.LBB21_38:                              ;   in Loop: Header=BB21_39 Depth=1
	s_or_b32 exec_lo, exec_lo, s18
	v_add_nc_u32_e32 v78, 4, v78
	v_add_co_u32 v53, s0, v53, 16
	v_add_co_ci_u32_e64 v54, null, 0, v54, s0
	v_cmp_le_i32_e32 vcc_lo, s16, v78
	v_add_nc_u32_e32 v56, 64, v56
	v_add_nc_u32_e32 v76, 0x100, v76
	s_or_b32 s13, vcc_lo, s13
	s_andn2_b32 exec_lo, exec_lo, s13
	s_cbranch_execz .LBB21_64
.LBB21_39:                              ; =>This Inner Loop Header: Depth=1
	v_mul_hi_u32 v1, v56, s21
	v_mul_lo_u32 v2, v1, s12
	v_add_nc_u32_e32 v3, 1, v1
	v_sub_nc_u32_e32 v2, v56, v2
	v_subrev_nc_u32_e32 v4, s12, v2
	v_cmp_le_u32_e32 vcc_lo, s12, v2
	v_cndmask_b32_e32 v1, v1, v3, vcc_lo
	v_cndmask_b32_e32 v2, v2, v4, vcc_lo
	v_add_nc_u32_e32 v3, 1, v1
	v_cmp_le_u32_e32 vcc_lo, s12, v2
	v_cndmask_b32_e32 v1, v1, v3, vcc_lo
	v_xor_b32_e32 v1, s19, v1
	v_subrev_nc_u32_e32 v1, s19, v1
	v_add_nc_u32_e32 v2, s31, v1
	v_cmp_lt_i32_e64 s0, s5, v1
	v_sub_nc_u32_e32 v3, 0, v2
	v_max_i32_e32 v3, v2, v3
	v_ashrrev_i32_e32 v2, 31, v2
	v_mul_hi_u32 v4, v3, v77
	v_mul_lo_u32 v4, v4, s14
	v_sub_nc_u32_e32 v3, v3, v4
	v_subrev_nc_u32_e32 v4, s14, v3
	v_cmp_le_u32_e32 vcc_lo, s14, v3
	v_cndmask_b32_e32 v3, v3, v4, vcc_lo
	v_subrev_nc_u32_e32 v4, s14, v3
	v_cmp_le_u32_e32 vcc_lo, s14, v3
	v_cndmask_b32_e32 v3, v3, v4, vcc_lo
	v_xor_b32_e32 v3, v3, v2
	v_sub_nc_u32_e32 v2, v3, v2
	v_cmp_eq_u32_e32 vcc_lo, 0, v2
	s_or_b32 s0, vcc_lo, s0
	s_and_saveexec_b32 s18, s0
	s_cbranch_execz .LBB21_38
; %bb.40:                               ;   in Loop: Header=BB21_39 Depth=1
	global_load_dword v1, v[53:54], off
	v_add_nc_u32_e32 v79, v73, v56
	v_add_nc_u32_e32 v82, 1, v79
	;; [unrolled: 1-line block ×4, first 2 shown]
	s_waitcnt vmcnt(0)
	v_mad_i64_i32 v[1:2], null, v1, s17, 0
	v_lshlrev_b64 v[1:2], 2, v[1:2]
	v_add_co_u32 v37, vcc_lo, v74, v1
	v_add_co_ci_u32_e64 v38, null, v75, v2, vcc_lo
	ds_read_b128 v[1:4], v76
	v_cmp_eq_u32_e32 vcc_lo, s15, v78
	global_load_dwordx4 v[5:8], v[37:38], off
	s_and_saveexec_b32 s1, vcc_lo
	s_cbranch_execnz .LBB21_54
; %bb.41:                               ;   in Loop: Header=BB21_39 Depth=1
	s_or_b32 exec_lo, exec_lo, s1
	global_load_dwordx4 v[9:12], v[37:38], off offset:512
	s_and_saveexec_b32 s1, vcc_lo
	s_cbranch_execnz .LBB21_55
.LBB21_42:                              ;   in Loop: Header=BB21_39 Depth=1
	s_or_b32 exec_lo, exec_lo, s1
	global_load_dwordx4 v[13:16], v[37:38], off offset:1024
	s_and_saveexec_b32 s1, vcc_lo
	s_cbranch_execnz .LBB21_56
.LBB21_43:                              ;   in Loop: Header=BB21_39 Depth=1
	s_or_b32 exec_lo, exec_lo, s1
	global_load_dwordx4 v[17:20], v[37:38], off offset:1536
	s_and_saveexec_b32 s1, vcc_lo
	s_cbranch_execz .LBB21_45
.LBB21_44:                              ;   in Loop: Header=BB21_39 Depth=1
	v_cmp_gt_i32_e64 s0, s30, v79
	s_waitcnt vmcnt(0)
	v_cndmask_b32_e64 v17, 0, v17, s0
	v_cmp_gt_i32_e64 s0, s30, v82
	v_cndmask_b32_e64 v18, 0, v18, s0
	v_cmp_gt_i32_e64 s0, s30, v81
	;; [unrolled: 2-line block ×3, first 2 shown]
	v_cndmask_b32_e64 v20, 0, v20, s0
.LBB21_45:                              ;   in Loop: Header=BB21_39 Depth=1
	s_or_b32 exec_lo, exec_lo, s1
	v_add_co_u32 v33, s0, 0x800, v37
	v_add_co_ci_u32_e64 v34, null, 0, v38, s0
	global_load_dwordx4 v[21:24], v[33:34], off
	s_and_saveexec_b32 s1, vcc_lo
	s_cbranch_execnz .LBB21_57
; %bb.46:                               ;   in Loop: Header=BB21_39 Depth=1
	s_or_b32 exec_lo, exec_lo, s1
	global_load_dwordx4 v[25:28], v[33:34], off offset:512
	s_and_saveexec_b32 s1, vcc_lo
	s_cbranch_execnz .LBB21_58
.LBB21_47:                              ;   in Loop: Header=BB21_39 Depth=1
	s_or_b32 exec_lo, exec_lo, s1
	global_load_dwordx4 v[29:32], v[33:34], off offset:1024
	s_and_saveexec_b32 s1, vcc_lo
	s_cbranch_execnz .LBB21_59
.LBB21_48:                              ;   in Loop: Header=BB21_39 Depth=1
	s_or_b32 exec_lo, exec_lo, s1
	global_load_dwordx4 v[33:36], v[33:34], off offset:1536
	s_and_saveexec_b32 s1, vcc_lo
	s_cbranch_execz .LBB21_50
.LBB21_49:                              ;   in Loop: Header=BB21_39 Depth=1
	v_cmp_gt_i32_e64 s0, s30, v79
	s_waitcnt vmcnt(0)
	v_cndmask_b32_e64 v33, 0, v33, s0
	v_cmp_gt_i32_e64 s0, s30, v82
	v_cndmask_b32_e64 v34, 0, v34, s0
	v_cmp_gt_i32_e64 s0, s30, v81
	;; [unrolled: 2-line block ×3, first 2 shown]
	v_cndmask_b32_e64 v36, 0, v36, s0
.LBB21_50:                              ;   in Loop: Header=BB21_39 Depth=1
	s_or_b32 exec_lo, exec_lo, s1
	v_add_co_u32 v41, s0, 0x1000, v37
	v_add_co_ci_u32_e64 v42, null, 0, v38, s0
	global_load_dwordx4 v[37:40], v[41:42], off
	s_and_saveexec_b32 s1, vcc_lo
	s_cbranch_execnz .LBB21_60
; %bb.51:                               ;   in Loop: Header=BB21_39 Depth=1
	s_or_b32 exec_lo, exec_lo, s1
	global_load_dwordx4 v[45:48], v[41:42], off offset:512
	s_and_saveexec_b32 s1, vcc_lo
	s_cbranch_execnz .LBB21_61
.LBB21_52:                              ;   in Loop: Header=BB21_39 Depth=1
	s_or_b32 exec_lo, exec_lo, s1
	global_load_dwordx4 v[49:52], v[41:42], off offset:1024
	s_and_saveexec_b32 s22, vcc_lo
	s_cbranch_execnz .LBB21_62
.LBB21_53:                              ;   in Loop: Header=BB21_39 Depth=1
	s_or_b32 exec_lo, exec_lo, s22
	global_load_dwordx4 v[41:44], v[41:42], off offset:1536
	s_and_saveexec_b32 s0, vcc_lo
	s_cbranch_execz .LBB21_37
	s_branch .LBB21_63
.LBB21_54:                              ;   in Loop: Header=BB21_39 Depth=1
	v_cmp_gt_i32_e64 s0, s30, v79
	s_waitcnt vmcnt(0)
	v_cndmask_b32_e64 v5, 0, v5, s0
	v_cmp_gt_i32_e64 s0, s30, v82
	v_cndmask_b32_e64 v6, 0, v6, s0
	v_cmp_gt_i32_e64 s0, s30, v81
	;; [unrolled: 2-line block ×3, first 2 shown]
	v_cndmask_b32_e64 v8, 0, v8, s0
	s_or_b32 exec_lo, exec_lo, s1
	global_load_dwordx4 v[9:12], v[37:38], off offset:512
	s_and_saveexec_b32 s1, vcc_lo
	s_cbranch_execz .LBB21_42
.LBB21_55:                              ;   in Loop: Header=BB21_39 Depth=1
	v_cmp_gt_i32_e64 s0, s30, v79
	s_waitcnt vmcnt(0)
	v_cndmask_b32_e64 v9, 0, v9, s0
	v_cmp_gt_i32_e64 s0, s30, v82
	v_cndmask_b32_e64 v10, 0, v10, s0
	v_cmp_gt_i32_e64 s0, s30, v81
	v_cndmask_b32_e64 v11, 0, v11, s0
	v_cmp_gt_i32_e64 s0, s30, v80
	v_cndmask_b32_e64 v12, 0, v12, s0
	s_or_b32 exec_lo, exec_lo, s1
	global_load_dwordx4 v[13:16], v[37:38], off offset:1024
	s_and_saveexec_b32 s1, vcc_lo
	s_cbranch_execz .LBB21_43
.LBB21_56:                              ;   in Loop: Header=BB21_39 Depth=1
	v_cmp_gt_i32_e64 s0, s30, v79
	s_waitcnt vmcnt(0)
	v_cndmask_b32_e64 v13, 0, v13, s0
	v_cmp_gt_i32_e64 s0, s30, v82
	v_cndmask_b32_e64 v14, 0, v14, s0
	v_cmp_gt_i32_e64 s0, s30, v81
	;; [unrolled: 2-line block ×3, first 2 shown]
	v_cndmask_b32_e64 v16, 0, v16, s0
	s_or_b32 exec_lo, exec_lo, s1
	global_load_dwordx4 v[17:20], v[37:38], off offset:1536
	s_and_saveexec_b32 s1, vcc_lo
	s_cbranch_execnz .LBB21_44
	s_branch .LBB21_45
.LBB21_57:                              ;   in Loop: Header=BB21_39 Depth=1
	v_cmp_gt_i32_e64 s0, s30, v79
	s_waitcnt vmcnt(0)
	v_cndmask_b32_e64 v21, 0, v21, s0
	v_cmp_gt_i32_e64 s0, s30, v82
	v_cndmask_b32_e64 v22, 0, v22, s0
	v_cmp_gt_i32_e64 s0, s30, v81
	;; [unrolled: 2-line block ×3, first 2 shown]
	v_cndmask_b32_e64 v24, 0, v24, s0
	s_or_b32 exec_lo, exec_lo, s1
	global_load_dwordx4 v[25:28], v[33:34], off offset:512
	s_and_saveexec_b32 s1, vcc_lo
	s_cbranch_execz .LBB21_47
.LBB21_58:                              ;   in Loop: Header=BB21_39 Depth=1
	v_cmp_gt_i32_e64 s0, s30, v79
	s_waitcnt vmcnt(0)
	v_cndmask_b32_e64 v25, 0, v25, s0
	v_cmp_gt_i32_e64 s0, s30, v82
	v_cndmask_b32_e64 v26, 0, v26, s0
	v_cmp_gt_i32_e64 s0, s30, v81
	;; [unrolled: 2-line block ×3, first 2 shown]
	v_cndmask_b32_e64 v28, 0, v28, s0
	s_or_b32 exec_lo, exec_lo, s1
	global_load_dwordx4 v[29:32], v[33:34], off offset:1024
	s_and_saveexec_b32 s1, vcc_lo
	s_cbranch_execz .LBB21_48
.LBB21_59:                              ;   in Loop: Header=BB21_39 Depth=1
	v_cmp_gt_i32_e64 s0, s30, v79
	s_waitcnt vmcnt(0)
	v_cndmask_b32_e64 v29, 0, v29, s0
	v_cmp_gt_i32_e64 s0, s30, v82
	v_cndmask_b32_e64 v30, 0, v30, s0
	v_cmp_gt_i32_e64 s0, s30, v81
	;; [unrolled: 2-line block ×3, first 2 shown]
	v_cndmask_b32_e64 v32, 0, v32, s0
	s_or_b32 exec_lo, exec_lo, s1
	global_load_dwordx4 v[33:36], v[33:34], off offset:1536
	s_and_saveexec_b32 s1, vcc_lo
	s_cbranch_execnz .LBB21_49
	s_branch .LBB21_50
.LBB21_60:                              ;   in Loop: Header=BB21_39 Depth=1
	v_cmp_gt_i32_e64 s0, s30, v79
	s_waitcnt vmcnt(0)
	v_cndmask_b32_e64 v37, 0, v37, s0
	v_cmp_gt_i32_e64 s0, s30, v82
	v_cndmask_b32_e64 v38, 0, v38, s0
	v_cmp_gt_i32_e64 s0, s30, v81
	;; [unrolled: 2-line block ×3, first 2 shown]
	v_cndmask_b32_e64 v40, 0, v40, s0
	s_or_b32 exec_lo, exec_lo, s1
	global_load_dwordx4 v[45:48], v[41:42], off offset:512
	s_and_saveexec_b32 s1, vcc_lo
	s_cbranch_execz .LBB21_52
.LBB21_61:                              ;   in Loop: Header=BB21_39 Depth=1
	v_cmp_gt_i32_e64 s0, s30, v79
	s_waitcnt vmcnt(0)
	v_cndmask_b32_e64 v45, 0, v45, s0
	v_cmp_gt_i32_e64 s0, s30, v82
	v_cndmask_b32_e64 v46, 0, v46, s0
	v_cmp_gt_i32_e64 s0, s30, v81
	;; [unrolled: 2-line block ×3, first 2 shown]
	v_cndmask_b32_e64 v48, 0, v48, s0
	s_or_b32 exec_lo, exec_lo, s1
	global_load_dwordx4 v[49:52], v[41:42], off offset:1024
	s_and_saveexec_b32 s22, vcc_lo
	s_cbranch_execz .LBB21_53
.LBB21_62:                              ;   in Loop: Header=BB21_39 Depth=1
	v_cmp_gt_i32_e64 s0, s30, v79
	v_cmp_gt_i32_e64 s1, s30, v82
	;; [unrolled: 1-line block ×4, first 2 shown]
	s_waitcnt vmcnt(0)
	v_cndmask_b32_e64 v49, 0, v49, s0
	v_cndmask_b32_e64 v50, 0, v50, s1
	;; [unrolled: 1-line block ×4, first 2 shown]
	s_or_b32 exec_lo, exec_lo, s22
	global_load_dwordx4 v[41:44], v[41:42], off offset:1536
	s_and_saveexec_b32 s0, vcc_lo
	s_cbranch_execz .LBB21_37
.LBB21_63:                              ;   in Loop: Header=BB21_39 Depth=1
	v_cmp_gt_i32_e32 vcc_lo, s30, v79
	s_waitcnt vmcnt(0)
	v_cndmask_b32_e32 v41, 0, v41, vcc_lo
	v_cmp_gt_i32_e32 vcc_lo, s30, v82
	v_cndmask_b32_e32 v42, 0, v42, vcc_lo
	v_cmp_gt_i32_e32 vcc_lo, s30, v81
	;; [unrolled: 2-line block ×3, first 2 shown]
	v_cndmask_b32_e32 v44, 0, v44, vcc_lo
	s_branch .LBB21_37
.LBB21_64:
	s_or_b32 exec_lo, exec_lo, s13
.LBB21_65:
	s_or_b32 exec_lo, exec_lo, s4
	ds_bpermute_b32 v2, v58, v71
	ds_bpermute_b32 v1, v58, v72
	;; [unrolled: 1-line block ×12, first 2 shown]
	s_mov_b32 s0, exec_lo
	s_waitcnt lgkmcnt(0)
	s_barrier
	buffer_gl0_inv
	v_add_f32_e32 v2, v71, v2
	v_add_f32_e32 v1, v72, v1
	;; [unrolled: 1-line block ×12, first 2 shown]
	ds_bpermute_b32 v14, v59, v2
	ds_bpermute_b32 v13, v59, v1
	;; [unrolled: 1-line block ×12, first 2 shown]
	s_waitcnt lgkmcnt(11)
	v_add_f32_e32 v2, v2, v14
	v_and_b32_e32 v14, 28, v57
	s_waitcnt lgkmcnt(10)
	v_add_f32_e32 v1, v1, v13
	s_waitcnt lgkmcnt(9)
	v_add_f32_e32 v3, v3, v15
	;; [unrolled: 2-line block ×10, first 2 shown]
	v_and_b32_e32 v16, 0x3c3, v0
	s_waitcnt lgkmcnt(0)
	v_add_f32_e32 v12, v12, v24
	v_lshrrev_b32_e32 v13, 2, v57
	v_add_nc_u32_e32 v14, 0x1a0, v14
	v_mul_u32_u24_e32 v15, 0x180, v55
	v_cmpx_eq_u32_e32 64, v16
	s_cbranch_execz .LBB21_67
; %bb.66:
	v_add_nc_u32_e32 v16, v14, v15
	v_add_nc_u32_e32 v17, 0xfffffd00, v16
	;; [unrolled: 1-line block ×8, first 2 shown]
	ds_write_b32 v17, v1
	ds_write_b32 v18, v2
	;; [unrolled: 1-line block ×7, first 2 shown]
	v_add_nc_u32_e32 v17, 0xfffffde0, v16
	v_add_nc_u32_e32 v18, 0xfffffe00, v16
	;; [unrolled: 1-line block ×5, first 2 shown]
	ds_write_b32 v17, v8
	ds_write_b32 v18, v9
	;; [unrolled: 1-line block ×5, first 2 shown]
.LBB21_67:
	s_or_b32 exec_lo, exec_lo, s0
	v_lshlrev_b32_e32 v13, 2, v13
	s_mov_b32 s1, exec_lo
	v_cmp_eq_u32_e32 vcc_lo, 0, v60
	s_waitcnt lgkmcnt(0)
	s_barrier
	v_add3_u32 v13, 0x1a0, v15, v13
	buffer_gl0_inv
	v_cmpx_gt_u32_e32 64, v0
	s_cbranch_execz .LBB21_82
; %bb.68:
	s_and_saveexec_b32 s0, vcc_lo
	s_cbranch_execnz .LBB21_102
; %bb.69:
	s_or_b32 exec_lo, exec_lo, s0
	s_and_saveexec_b32 s0, vcc_lo
	s_cbranch_execnz .LBB21_103
.LBB21_70:
	s_or_b32 exec_lo, exec_lo, s0
	s_and_saveexec_b32 s0, vcc_lo
	s_cbranch_execnz .LBB21_104
.LBB21_71:
	s_or_b32 exec_lo, exec_lo, s0
	s_and_saveexec_b32 s0, vcc_lo
	s_cbranch_execnz .LBB21_105
.LBB21_72:
	s_or_b32 exec_lo, exec_lo, s0
	s_and_saveexec_b32 s0, vcc_lo
	s_cbranch_execnz .LBB21_106
.LBB21_73:
	s_or_b32 exec_lo, exec_lo, s0
	s_and_saveexec_b32 s0, vcc_lo
	s_cbranch_execnz .LBB21_107
.LBB21_74:
	s_or_b32 exec_lo, exec_lo, s0
	s_and_saveexec_b32 s0, vcc_lo
	s_cbranch_execnz .LBB21_108
.LBB21_75:
	s_or_b32 exec_lo, exec_lo, s0
	s_and_saveexec_b32 s0, vcc_lo
	s_cbranch_execnz .LBB21_109
.LBB21_76:
	s_or_b32 exec_lo, exec_lo, s0
	s_and_saveexec_b32 s0, vcc_lo
	s_cbranch_execnz .LBB21_110
.LBB21_77:
	s_or_b32 exec_lo, exec_lo, s0
	s_and_saveexec_b32 s0, vcc_lo
	s_cbranch_execnz .LBB21_111
.LBB21_78:
	s_or_b32 exec_lo, exec_lo, s0
	s_and_saveexec_b32 s0, vcc_lo
	s_cbranch_execnz .LBB21_112
.LBB21_79:
	s_or_b32 exec_lo, exec_lo, s0
	s_and_saveexec_b32 s0, vcc_lo
	s_cbranch_execz .LBB21_81
.LBB21_80:
	ds_read_b32 v15, v13 offset:352
	s_waitcnt lgkmcnt(0)
	v_add_f32_e32 v12, v12, v15
.LBB21_81:
	s_or_b32 exec_lo, exec_lo, s0
.LBB21_82:
	s_or_b32 exec_lo, exec_lo, s1
	v_and_b32_e32 v15, 0x3e3, v0
	s_mov_b32 s1, exec_lo
	s_barrier
	buffer_gl0_inv
	v_cmpx_eq_u32_e32 32, v15
	s_cbranch_execz .LBB21_84
; %bb.83:
	ds_write2_b32 v14, v1, v2 offset1:8
	ds_write2_b32 v14, v3, v4 offset0:16 offset1:24
	ds_write2_b32 v14, v5, v6 offset0:32 offset1:40
	;; [unrolled: 1-line block ×5, first 2 shown]
.LBB21_84:
	s_or_b32 exec_lo, exec_lo, s1
	s_mov_b32 s1, exec_lo
	s_waitcnt lgkmcnt(0)
	s_barrier
	buffer_gl0_inv
	v_cmpx_gt_u32_e32 32, v0
	s_cbranch_execz .LBB21_99
; %bb.85:
	s_and_saveexec_b32 s0, vcc_lo
	s_cbranch_execnz .LBB21_113
; %bb.86:
	s_or_b32 exec_lo, exec_lo, s0
	s_and_saveexec_b32 s0, vcc_lo
	s_cbranch_execnz .LBB21_114
.LBB21_87:
	s_or_b32 exec_lo, exec_lo, s0
	s_and_saveexec_b32 s0, vcc_lo
	s_cbranch_execnz .LBB21_115
.LBB21_88:
	s_or_b32 exec_lo, exec_lo, s0
	s_and_saveexec_b32 s0, vcc_lo
	s_cbranch_execnz .LBB21_116
.LBB21_89:
	s_or_b32 exec_lo, exec_lo, s0
	s_and_saveexec_b32 s0, vcc_lo
	s_cbranch_execnz .LBB21_117
.LBB21_90:
	s_or_b32 exec_lo, exec_lo, s0
	s_and_saveexec_b32 s0, vcc_lo
	s_cbranch_execnz .LBB21_118
.LBB21_91:
	s_or_b32 exec_lo, exec_lo, s0
	s_and_saveexec_b32 s0, vcc_lo
	s_cbranch_execnz .LBB21_119
.LBB21_92:
	s_or_b32 exec_lo, exec_lo, s0
	s_and_saveexec_b32 s0, vcc_lo
	s_cbranch_execnz .LBB21_120
.LBB21_93:
	s_or_b32 exec_lo, exec_lo, s0
	s_and_saveexec_b32 s0, vcc_lo
	s_cbranch_execnz .LBB21_121
.LBB21_94:
	s_or_b32 exec_lo, exec_lo, s0
	s_and_saveexec_b32 s0, vcc_lo
	s_cbranch_execnz .LBB21_122
.LBB21_95:
	s_or_b32 exec_lo, exec_lo, s0
	s_and_saveexec_b32 s0, vcc_lo
	s_cbranch_execnz .LBB21_123
.LBB21_96:
	s_or_b32 exec_lo, exec_lo, s0
	s_and_saveexec_b32 s0, vcc_lo
	s_cbranch_execz .LBB21_98
.LBB21_97:
	ds_read_b32 v13, v13 offset:352
	s_waitcnt lgkmcnt(0)
	v_add_f32_e32 v12, v12, v13
.LBB21_98:
	s_or_b32 exec_lo, exec_lo, s0
.LBB21_99:
	s_or_b32 exec_lo, exec_lo, s1
	s_barrier
	buffer_gl0_inv
	s_mov_b32 s0, exec_lo
	v_cmpx_eq_u32_e32 0, v15
	s_cbranch_execz .LBB21_101
; %bb.100:
	s_mul_i32 s0, s10, s11
	s_mul_i32 s2, s11, s20
	;; [unrolled: 1-line block ×3, first 2 shown]
	s_mulk_i32 s0, 0x60
	s_ashr_i32 s1, s0, 31
	s_lshl_b64 s[0:1], s[0:1], 2
	s_add_u32 s4, s6, s0
	s_addc_u32 s5, s7, s1
	s_ashr_i32 s3, s2, 31
	s_lshl_b64 s[0:1], s[2:3], 2
	s_mul_i32 s2, s8, 0x60
	s_add_u32 s4, s4, s0
	s_addc_u32 s5, s5, s1
	s_ashr_i32 s3, s2, 31
	s_lshl_b64 s[0:1], s[2:3], 2
	s_add_u32 s0, s4, s0
	s_addc_u32 s1, s5, s1
	global_store_dword v0, v1, s[0:1]
	global_store_dword v0, v2, s[0:1] offset:32
	global_store_dword v0, v3, s[0:1] offset:64
	;; [unrolled: 1-line block ×11, first 2 shown]
.LBB21_101:
	s_endpgm
.LBB21_102:
	ds_read_b32 v15, v13
	s_waitcnt lgkmcnt(0)
	v_add_f32_e32 v1, v1, v15
	s_or_b32 exec_lo, exec_lo, s0
	s_and_saveexec_b32 s0, vcc_lo
	s_cbranch_execz .LBB21_70
.LBB21_103:
	ds_read_b32 v15, v13 offset:32
	s_waitcnt lgkmcnt(0)
	v_add_f32_e32 v2, v2, v15
	s_or_b32 exec_lo, exec_lo, s0
	s_and_saveexec_b32 s0, vcc_lo
	s_cbranch_execz .LBB21_71
.LBB21_104:
	ds_read_b32 v15, v13 offset:64
	s_waitcnt lgkmcnt(0)
	v_add_f32_e32 v3, v3, v15
	s_or_b32 exec_lo, exec_lo, s0
	s_and_saveexec_b32 s0, vcc_lo
	s_cbranch_execz .LBB21_72
.LBB21_105:
	ds_read_b32 v15, v13 offset:96
	s_waitcnt lgkmcnt(0)
	v_add_f32_e32 v4, v4, v15
	s_or_b32 exec_lo, exec_lo, s0
	s_and_saveexec_b32 s0, vcc_lo
	s_cbranch_execz .LBB21_73
.LBB21_106:
	ds_read_b32 v15, v13 offset:128
	s_waitcnt lgkmcnt(0)
	v_add_f32_e32 v5, v5, v15
	s_or_b32 exec_lo, exec_lo, s0
	s_and_saveexec_b32 s0, vcc_lo
	s_cbranch_execz .LBB21_74
.LBB21_107:
	ds_read_b32 v15, v13 offset:160
	s_waitcnt lgkmcnt(0)
	v_add_f32_e32 v6, v6, v15
	s_or_b32 exec_lo, exec_lo, s0
	s_and_saveexec_b32 s0, vcc_lo
	s_cbranch_execz .LBB21_75
.LBB21_108:
	ds_read_b32 v15, v13 offset:192
	s_waitcnt lgkmcnt(0)
	v_add_f32_e32 v7, v7, v15
	s_or_b32 exec_lo, exec_lo, s0
	s_and_saveexec_b32 s0, vcc_lo
	s_cbranch_execz .LBB21_76
.LBB21_109:
	ds_read_b32 v15, v13 offset:224
	s_waitcnt lgkmcnt(0)
	v_add_f32_e32 v8, v8, v15
	s_or_b32 exec_lo, exec_lo, s0
	s_and_saveexec_b32 s0, vcc_lo
	s_cbranch_execz .LBB21_77
.LBB21_110:
	ds_read_b32 v15, v13 offset:256
	s_waitcnt lgkmcnt(0)
	v_add_f32_e32 v9, v9, v15
	s_or_b32 exec_lo, exec_lo, s0
	s_and_saveexec_b32 s0, vcc_lo
	s_cbranch_execz .LBB21_78
.LBB21_111:
	ds_read_b32 v15, v13 offset:288
	s_waitcnt lgkmcnt(0)
	v_add_f32_e32 v10, v10, v15
	s_or_b32 exec_lo, exec_lo, s0
	s_and_saveexec_b32 s0, vcc_lo
	s_cbranch_execz .LBB21_79
.LBB21_112:
	ds_read_b32 v15, v13 offset:320
	s_waitcnt lgkmcnt(0)
	v_add_f32_e32 v11, v11, v15
	s_or_b32 exec_lo, exec_lo, s0
	s_and_saveexec_b32 s0, vcc_lo
	s_cbranch_execnz .LBB21_80
	s_branch .LBB21_81
.LBB21_113:
	ds_read_b32 v14, v13
	s_waitcnt lgkmcnt(0)
	v_add_f32_e32 v1, v1, v14
	s_or_b32 exec_lo, exec_lo, s0
	s_and_saveexec_b32 s0, vcc_lo
	s_cbranch_execz .LBB21_87
.LBB21_114:
	ds_read_b32 v14, v13 offset:32
	s_waitcnt lgkmcnt(0)
	v_add_f32_e32 v2, v2, v14
	s_or_b32 exec_lo, exec_lo, s0
	s_and_saveexec_b32 s0, vcc_lo
	s_cbranch_execz .LBB21_88
.LBB21_115:
	ds_read_b32 v14, v13 offset:64
	s_waitcnt lgkmcnt(0)
	v_add_f32_e32 v3, v3, v14
	s_or_b32 exec_lo, exec_lo, s0
	s_and_saveexec_b32 s0, vcc_lo
	s_cbranch_execz .LBB21_89
.LBB21_116:
	ds_read_b32 v14, v13 offset:96
	s_waitcnt lgkmcnt(0)
	v_add_f32_e32 v4, v4, v14
	s_or_b32 exec_lo, exec_lo, s0
	s_and_saveexec_b32 s0, vcc_lo
	s_cbranch_execz .LBB21_90
.LBB21_117:
	ds_read_b32 v14, v13 offset:128
	s_waitcnt lgkmcnt(0)
	v_add_f32_e32 v5, v5, v14
	s_or_b32 exec_lo, exec_lo, s0
	s_and_saveexec_b32 s0, vcc_lo
	s_cbranch_execz .LBB21_91
.LBB21_118:
	ds_read_b32 v14, v13 offset:160
	s_waitcnt lgkmcnt(0)
	v_add_f32_e32 v6, v6, v14
	s_or_b32 exec_lo, exec_lo, s0
	s_and_saveexec_b32 s0, vcc_lo
	s_cbranch_execz .LBB21_92
.LBB21_119:
	ds_read_b32 v14, v13 offset:192
	s_waitcnt lgkmcnt(0)
	v_add_f32_e32 v7, v7, v14
	s_or_b32 exec_lo, exec_lo, s0
	s_and_saveexec_b32 s0, vcc_lo
	s_cbranch_execz .LBB21_93
.LBB21_120:
	ds_read_b32 v14, v13 offset:224
	s_waitcnt lgkmcnt(0)
	v_add_f32_e32 v8, v8, v14
	s_or_b32 exec_lo, exec_lo, s0
	s_and_saveexec_b32 s0, vcc_lo
	s_cbranch_execz .LBB21_94
.LBB21_121:
	ds_read_b32 v14, v13 offset:256
	s_waitcnt lgkmcnt(0)
	v_add_f32_e32 v9, v9, v14
	s_or_b32 exec_lo, exec_lo, s0
	s_and_saveexec_b32 s0, vcc_lo
	s_cbranch_execz .LBB21_95
.LBB21_122:
	ds_read_b32 v14, v13 offset:288
	s_waitcnt lgkmcnt(0)
	v_add_f32_e32 v10, v10, v14
	s_or_b32 exec_lo, exec_lo, s0
	s_and_saveexec_b32 s0, vcc_lo
	s_cbranch_execz .LBB21_96
.LBB21_123:
	ds_read_b32 v14, v13 offset:320
	s_waitcnt lgkmcnt(0)
	v_add_f32_e32 v11, v11, v14
	s_or_b32 exec_lo, exec_lo, s0
	s_and_saveexec_b32 s0, vcc_lo
	s_cbranch_execnz .LBB21_97
	s_branch .LBB21_98
	.section	.rodata,"a",@progbits
	.p2align	6, 0x0
	.amdhsa_kernel _ZN4vllm25paged_attention_v1_kernelIffLi96ELi16ELi128ELNS_18Fp8KVCacheDataTypeE0ELb1EEEvPT_PKS2_PKT0_S8_ifPKiSA_iPKfiiiSC_SC_iiiii
		.amdhsa_group_segment_fixed_size 416
		.amdhsa_private_segment_fixed_size 0
		.amdhsa_kernarg_size 384
		.amdhsa_user_sgpr_count 6
		.amdhsa_user_sgpr_private_segment_buffer 1
		.amdhsa_user_sgpr_dispatch_ptr 0
		.amdhsa_user_sgpr_queue_ptr 0
		.amdhsa_user_sgpr_kernarg_segment_ptr 1
		.amdhsa_user_sgpr_dispatch_id 0
		.amdhsa_user_sgpr_flat_scratch_init 0
		.amdhsa_user_sgpr_private_segment_size 0
		.amdhsa_wavefront_size32 1
		.amdhsa_uses_dynamic_stack 0
		.amdhsa_system_sgpr_private_segment_wavefront_offset 0
		.amdhsa_system_sgpr_workgroup_id_x 1
		.amdhsa_system_sgpr_workgroup_id_y 1
		.amdhsa_system_sgpr_workgroup_id_z 1
		.amdhsa_system_sgpr_workgroup_info 0
		.amdhsa_system_vgpr_workitem_id 0
		.amdhsa_next_free_vgpr 83
		.amdhsa_next_free_sgpr 38
		.amdhsa_reserve_vcc 1
		.amdhsa_reserve_flat_scratch 0
		.amdhsa_float_round_mode_32 0
		.amdhsa_float_round_mode_16_64 0
		.amdhsa_float_denorm_mode_32 3
		.amdhsa_float_denorm_mode_16_64 3
		.amdhsa_dx10_clamp 1
		.amdhsa_ieee_mode 1
		.amdhsa_fp16_overflow 0
		.amdhsa_workgroup_processor_mode 1
		.amdhsa_memory_ordered 1
		.amdhsa_forward_progress 1
		.amdhsa_shared_vgpr_count 0
		.amdhsa_exception_fp_ieee_invalid_op 0
		.amdhsa_exception_fp_denorm_src 0
		.amdhsa_exception_fp_ieee_div_zero 0
		.amdhsa_exception_fp_ieee_overflow 0
		.amdhsa_exception_fp_ieee_underflow 0
		.amdhsa_exception_fp_ieee_inexact 0
		.amdhsa_exception_int_div_zero 0
	.end_amdhsa_kernel
	.section	.text._ZN4vllm25paged_attention_v1_kernelIffLi96ELi16ELi128ELNS_18Fp8KVCacheDataTypeE0ELb1EEEvPT_PKS2_PKT0_S8_ifPKiSA_iPKfiiiSC_SC_iiiii,"axG",@progbits,_ZN4vllm25paged_attention_v1_kernelIffLi96ELi16ELi128ELNS_18Fp8KVCacheDataTypeE0ELb1EEEvPT_PKS2_PKT0_S8_ifPKiSA_iPKfiiiSC_SC_iiiii,comdat
.Lfunc_end21:
	.size	_ZN4vllm25paged_attention_v1_kernelIffLi96ELi16ELi128ELNS_18Fp8KVCacheDataTypeE0ELb1EEEvPT_PKS2_PKT0_S8_ifPKiSA_iPKfiiiSC_SC_iiiii, .Lfunc_end21-_ZN4vllm25paged_attention_v1_kernelIffLi96ELi16ELi128ELNS_18Fp8KVCacheDataTypeE0ELb1EEEvPT_PKS2_PKT0_S8_ifPKiSA_iPKfiiiSC_SC_iiiii
                                        ; -- End function
	.set _ZN4vllm25paged_attention_v1_kernelIffLi96ELi16ELi128ELNS_18Fp8KVCacheDataTypeE0ELb1EEEvPT_PKS2_PKT0_S8_ifPKiSA_iPKfiiiSC_SC_iiiii.num_vgpr, 83
	.set _ZN4vllm25paged_attention_v1_kernelIffLi96ELi16ELi128ELNS_18Fp8KVCacheDataTypeE0ELb1EEEvPT_PKS2_PKT0_S8_ifPKiSA_iPKfiiiSC_SC_iiiii.num_agpr, 0
	.set _ZN4vllm25paged_attention_v1_kernelIffLi96ELi16ELi128ELNS_18Fp8KVCacheDataTypeE0ELb1EEEvPT_PKS2_PKT0_S8_ifPKiSA_iPKfiiiSC_SC_iiiii.numbered_sgpr, 38
	.set _ZN4vllm25paged_attention_v1_kernelIffLi96ELi16ELi128ELNS_18Fp8KVCacheDataTypeE0ELb1EEEvPT_PKS2_PKT0_S8_ifPKiSA_iPKfiiiSC_SC_iiiii.num_named_barrier, 0
	.set _ZN4vllm25paged_attention_v1_kernelIffLi96ELi16ELi128ELNS_18Fp8KVCacheDataTypeE0ELb1EEEvPT_PKS2_PKT0_S8_ifPKiSA_iPKfiiiSC_SC_iiiii.private_seg_size, 0
	.set _ZN4vllm25paged_attention_v1_kernelIffLi96ELi16ELi128ELNS_18Fp8KVCacheDataTypeE0ELb1EEEvPT_PKS2_PKT0_S8_ifPKiSA_iPKfiiiSC_SC_iiiii.uses_vcc, 1
	.set _ZN4vllm25paged_attention_v1_kernelIffLi96ELi16ELi128ELNS_18Fp8KVCacheDataTypeE0ELb1EEEvPT_PKS2_PKT0_S8_ifPKiSA_iPKfiiiSC_SC_iiiii.uses_flat_scratch, 0
	.set _ZN4vllm25paged_attention_v1_kernelIffLi96ELi16ELi128ELNS_18Fp8KVCacheDataTypeE0ELb1EEEvPT_PKS2_PKT0_S8_ifPKiSA_iPKfiiiSC_SC_iiiii.has_dyn_sized_stack, 0
	.set _ZN4vllm25paged_attention_v1_kernelIffLi96ELi16ELi128ELNS_18Fp8KVCacheDataTypeE0ELb1EEEvPT_PKS2_PKT0_S8_ifPKiSA_iPKfiiiSC_SC_iiiii.has_recursion, 0
	.set _ZN4vllm25paged_attention_v1_kernelIffLi96ELi16ELi128ELNS_18Fp8KVCacheDataTypeE0ELb1EEEvPT_PKS2_PKT0_S8_ifPKiSA_iPKfiiiSC_SC_iiiii.has_indirect_call, 0
	.section	.AMDGPU.csdata,"",@progbits
; Kernel info:
; codeLenInByte = 6976
; TotalNumSgprs: 40
; NumVgprs: 83
; ScratchSize: 0
; MemoryBound: 0
; FloatMode: 240
; IeeeMode: 1
; LDSByteSize: 416 bytes/workgroup (compile time only)
; SGPRBlocks: 0
; VGPRBlocks: 10
; NumSGPRsForWavesPerEU: 40
; NumVGPRsForWavesPerEU: 83
; Occupancy: 10
; WaveLimiterHint : 1
; COMPUTE_PGM_RSRC2:SCRATCH_EN: 0
; COMPUTE_PGM_RSRC2:USER_SGPR: 6
; COMPUTE_PGM_RSRC2:TRAP_HANDLER: 0
; COMPUTE_PGM_RSRC2:TGID_X_EN: 1
; COMPUTE_PGM_RSRC2:TGID_Y_EN: 1
; COMPUTE_PGM_RSRC2:TGID_Z_EN: 1
; COMPUTE_PGM_RSRC2:TIDIG_COMP_CNT: 0
	.section	.text._ZN4vllm25paged_attention_v1_kernelIffLi112ELi16ELi128ELNS_18Fp8KVCacheDataTypeE0ELb1EEEvPT_PKS2_PKT0_S8_ifPKiSA_iPKfiiiSC_SC_iiiii,"axG",@progbits,_ZN4vllm25paged_attention_v1_kernelIffLi112ELi16ELi128ELNS_18Fp8KVCacheDataTypeE0ELb1EEEvPT_PKS2_PKT0_S8_ifPKiSA_iPKfiiiSC_SC_iiiii,comdat
	.protected	_ZN4vllm25paged_attention_v1_kernelIffLi112ELi16ELi128ELNS_18Fp8KVCacheDataTypeE0ELb1EEEvPT_PKS2_PKT0_S8_ifPKiSA_iPKfiiiSC_SC_iiiii ; -- Begin function _ZN4vllm25paged_attention_v1_kernelIffLi112ELi16ELi128ELNS_18Fp8KVCacheDataTypeE0ELb1EEEvPT_PKS2_PKT0_S8_ifPKiSA_iPKfiiiSC_SC_iiiii
	.globl	_ZN4vllm25paged_attention_v1_kernelIffLi112ELi16ELi128ELNS_18Fp8KVCacheDataTypeE0ELb1EEEvPT_PKS2_PKT0_S8_ifPKiSA_iPKfiiiSC_SC_iiiii
	.p2align	8
	.type	_ZN4vllm25paged_attention_v1_kernelIffLi112ELi16ELi128ELNS_18Fp8KVCacheDataTypeE0ELb1EEEvPT_PKS2_PKT0_S8_ifPKiSA_iPKfiiiSC_SC_iiiii,@function
_ZN4vllm25paged_attention_v1_kernelIffLi112ELi16ELi128ELNS_18Fp8KVCacheDataTypeE0ELb1EEEvPT_PKS2_PKT0_S8_ifPKiSA_iPKfiiiSC_SC_iiiii: ; @_ZN4vllm25paged_attention_v1_kernelIffLi112ELi16ELi128ELNS_18Fp8KVCacheDataTypeE0ELb1EEEvPT_PKS2_PKT0_S8_ifPKiSA_iPKfiiiSC_SC_iiiii
; %bb.0:
	s_clause 0x2
	s_load_dword s9, s[4:5], 0x80
	s_load_dwordx2 s[0:1], s[4:5], 0x30
	s_load_dwordx2 s[28:29], s[4:5], 0x20
	s_mov_b32 s10, s7
	s_ashr_i32 s11, s7, 31
	s_mov_b32 s33, 0
	s_lshl_b64 s[2:3], s[10:11], 2
	s_waitcnt lgkmcnt(0)
	s_add_u32 s0, s0, s2
	s_addc_u32 s1, s1, s3
	s_abs_i32 s2, s28
	s_abs_i32 s11, s9
	v_cvt_f32_u32_e32 v1, s2
	s_sub_i32 s7, 0, s2
	v_rcp_iflag_f32_e32 v1, v1
	v_mul_f32_e32 v1, 0x4f7ffffe, v1
	v_cvt_u32_f32_e32 v1, v1
	v_readfirstlane_b32 s3, v1
	s_mul_i32 s7, s7, s3
	s_mul_hi_u32 s7, s3, s7
	s_add_i32 s3, s3, s7
	s_xor_b32 s7, s9, s28
	s_mul_hi_u32 s3, s11, s3
	s_ashr_i32 s7, s7, 31
	s_mul_i32 s12, s3, s2
	s_sub_i32 s11, s11, s12
	s_add_i32 s12, s3, 1
	s_sub_i32 s13, s11, s2
	s_cmp_ge_u32 s11, s2
	s_cselect_b32 s3, s12, s3
	s_cselect_b32 s11, s13, s11
	s_add_i32 s12, s3, 1
	s_cmp_ge_u32 s11, s2
	s_cselect_b32 s2, s12, s3
	s_abs_i32 s22, s6
	s_xor_b32 s2, s2, s7
	s_sub_i32 s16, s2, s7
	s_load_dwordx2 s[2:3], s[4:5], 0x40
	s_abs_i32 s11, s16
	v_cvt_f32_u32_e32 v1, s11
	s_sub_i32 s12, 0, s11
	v_rcp_iflag_f32_e32 v1, v1
	v_mul_f32_e32 v1, 0x4f7ffffe, v1
	v_cvt_u32_f32_e32 v1, v1
	v_readfirstlane_b32 s7, v1
	s_mul_i32 s12, s12, s7
	s_mul_hi_u32 s12, s7, s12
	s_add_i32 s7, s7, s12
	s_waitcnt lgkmcnt(0)
	s_cmp_eq_u64 s[2:3], 0
	s_mul_hi_u32 s23, s22, s7
	s_cbranch_scc1 .LBB22_2
; %bb.1:
	s_ashr_i32 s7, s6, 31
	s_lshl_b64 s[12:13], s[6:7], 2
	s_add_u32 s2, s2, s12
	s_addc_u32 s3, s3, s13
	s_load_dword s33, s[2:3], 0x0
.LBB22_2:
	s_load_dword s30, s[0:1], 0x0
	s_load_dwordx4 s[12:15], s[4:5], 0x48
	v_and_b32_e32 v1, 1, v0
	v_lshlrev_b32_e32 v2, 3, v0
	v_lshlrev_b32_e32 v3, 2, v0
	s_ashr_i32 s0, s6, 31
	s_ashr_i32 s1, s16, 31
	s_mul_i32 s20, s6, 0x70
	s_mov_b32 s2, exec_lo
	v_cmpx_gt_u32_e32 56, v0
	s_cbranch_execz .LBB22_4
; %bb.3:
	s_load_dwordx2 s[16:17], s[4:5], 0x8
	s_waitcnt lgkmcnt(0)
	s_mul_i32 s18, s12, s10
	v_and_b32_e32 v6, 0xff8, v3
	s_ashr_i32 s19, s18, 31
	s_lshl_b64 s[18:19], s[18:19], 2
	v_mad_u32_u24 v6, 0xe0, v1, v6
	s_add_u32 s3, s16, s18
	s_addc_u32 s7, s17, s19
	s_ashr_i32 s21, s20, 31
	s_lshl_b64 s[16:17], s[20:21], 2
	s_add_u32 s16, s3, s16
	s_addc_u32 s17, s7, s17
	global_load_dwordx2 v[4:5], v2, s[16:17]
	s_waitcnt vmcnt(0)
	ds_write_b64 v6, v[4:5]
.LBB22_4:
	s_or_b32 exec_lo, exec_lo, s2
	s_load_dwordx4 s[16:19], s[4:5], 0x68
	s_mul_i32 s2, s23, s11
	s_xor_b32 s1, s0, s1
	s_sub_i32 s0, s22, s2
	s_add_i32 s2, s23, 1
	s_sub_i32 s3, s0, s11
	s_cmp_ge_u32 s0, s11
	s_waitcnt lgkmcnt(0)
	s_cselect_b32 s2, s2, s23
	s_cselect_b32 s0, s3, s0
	s_add_i32 s3, s2, 1
	s_cmp_ge_u32 s0, s11
	s_load_dword s0, s[4:5], 0x78
	s_cselect_b32 s2, s3, s2
	s_add_i32 s7, s30, -1
	s_xor_b32 s2, s2, s1
	s_abs_i32 s3, s7
	s_sub_i32 s1, s2, s1
	s_mov_b32 s11, -1
	s_barrier
	s_abs_i32 s12, s19
	s_waitcnt lgkmcnt(0)
	buffer_gl0_inv
	v_cvt_f32_u32_e32 v4, s12
	s_sub_i32 s2, 0, s12
                                        ; implicit-def: $sgpr31
	v_rcp_iflag_f32_e32 v4, v4
	v_mul_f32_e32 v4, 0x4f7ffffe, v4
	v_cvt_u32_f32_e32 v4, v4
	v_readfirstlane_b32 s21, v4
	s_mul_i32 s2, s2, s21
	s_mul_hi_u32 s2, s21, s2
	s_add_i32 s21, s21, s2
	s_cmp_lt_i32 s0, 0
	s_mul_hi_u32 s2, s3, s21
	s_cbranch_scc0 .LBB22_6
; %bb.5:
	s_mul_i32 s11, s16, s28
	s_add_i32 s11, s1, s11
	s_mul_i32 s11, s11, s0
	s_sub_i32 s31, 1, s11
	s_mov_b32 s11, 0
.LBB22_6:
	s_load_dwordx2 s[22:23], s[4:5], 0x28
	s_ashr_i32 s7, s7, 31
	s_andn2_b32 vcc_lo, exec_lo, s11
	s_ashr_i32 s19, s19, 31
	s_cbranch_vccnz .LBB22_8
; %bb.7:
	s_mul_i32 s11, s9, s16
	s_add_i32 s6, s11, s6
	s_mul_i32 s0, s6, s0
	s_add_i32 s31, s0, 1
.LBB22_8:
	s_load_dword s0, s[4:5], 0x38
	s_mul_i32 s6, s2, s12
	s_xor_b32 s15, s7, s19
	s_sub_i32 s3, s3, s6
	s_add_i32 s16, s2, 1
	s_clause 0x2
	s_load_dwordx2 s[6:7], s[4:5], 0x0
	s_load_dwordx2 s[26:27], s[4:5], 0x18
	s_load_dword s11, s[4:5], 0x88
	v_lshrrev_b32_e32 v63, 5, v0
	v_mov_b32_e32 v6, 0xff7fffff
	v_lshrrev_b32_e32 v4, 3, v0
	v_mbcnt_lo_u32_b32 v5, -1, 0
	s_mul_i32 s14, s1, s14
	v_lshlrev_b32_e32 v64, 4, v63
	s_waitcnt lgkmcnt(0)
	s_mul_i32 s24, s0, s10
	s_sub_i32 s0, s3, s12
	s_ashr_i32 s25, s24, 31
	s_cmp_ge_u32 s3, s12
	s_cselect_b32 s2, s16, s2
	s_cselect_b32 s0, s0, s3
	s_add_i32 s3, s2, 1
	s_cmp_ge_u32 s0, s12
	s_cselect_b32 s0, s3, s2
	s_add_i32 s2, s30, 15
	s_ashr_i32 s3, s2, 31
	s_lshr_b32 s3, s3, 28
	s_add_i32 s2, s2, s3
	s_ashr_i32 s16, s2, 4
	s_xor_b32 s2, s0, s15
	v_cmp_gt_i32_e64 s0, s16, v63
	s_sub_i32 s28, s2, s15
	s_and_saveexec_b32 s34, s0
	s_cbranch_execz .LBB22_20
; %bb.9:
	s_load_dwordx2 s[2:3], s[4:5], 0x10
	s_ashr_i32 s15, s14, 31
	s_sub_i32 s4, s28, s17
	s_lshl_b64 s[36:37], s[14:15], 2
	v_bfe_u32 v7, v0, 1, 4
	v_and_b32_e32 v14, 8, v2
	v_cmp_eq_u32_e32 vcc_lo, 0, v1
	v_mul_u32_u24_e32 v8, 0xe0, v1
	v_and_b32_e32 v1, 0x7c, v4
	v_lshlrev_b32_e32 v2, 2, v7
	v_subrev_nc_u32_e32 v13, s30, v7
	v_lshlrev_b32_e32 v15, 4, v7
	v_cmp_neq_f32_e64 s1, s33, 0
	v_lshlrev_b32_e32 v9, 4, v63
	v_lshl_or_b32 v2, v63, 6, v2
	v_mov_b32_e32 v10, 0xff7fffff
	v_xor_b32_e32 v11, 1, v5
	s_waitcnt lgkmcnt(0)
	s_add_u32 s15, s2, s36
	s_addc_u32 s35, s3, s37
	s_abs_i32 s5, s18
	v_add_co_u32 v15, s15, s15, v15
	v_cvt_f32_u32_e32 v6, s5
	s_sub_i32 s2, 0, s5
	v_add_co_ci_u32_e64 v17, null, s35, 0, s15
	s_mov_b32 s15, 0
	v_rcp_iflag_f32_e32 v6, v6
	s_mov_b32 s35, s13
	v_mul_f32_e32 v12, 0x4f7ffffe, v6
	v_mov_b32_e32 v6, 0xff7fffff
	v_cvt_u32_f32_e32 v16, v12
	v_add_nc_u32_e32 v12, 1, v13
	v_add_nc_u32_e32 v13, 0x1e0, v2
	v_mul_lo_u32 v2, s2, v16
	s_lshl_b64 s[2:3], s[24:25], 2
	s_add_u32 s2, s22, s2
	s_addc_u32 s3, s23, s3
	v_add_co_u32 v1, s2, s2, v1
	v_mul_hi_u32 v18, v16, v2
	v_add_co_ci_u32_e64 v2, null, s3, 0, s2
	v_add_co_u32 v14, s2, v15, v14
	v_add_co_ci_u32_e64 v15, null, 0, v17, s2
	v_mov_b32_e32 v17, v63
	v_add_nc_u32_e32 v16, v16, v18
	s_branch .LBB22_12
.LBB22_10:                              ;   in Loop: Header=BB22_12 Depth=1
	s_or_b32 exec_lo, exec_lo, s36
.LBB22_11:                              ;   in Loop: Header=BB22_12 Depth=1
	s_or_b32 exec_lo, exec_lo, s3
	v_add_nc_u32_e32 v17, 4, v17
	v_add_co_u32 v1, s3, v1, 16
	v_add_co_ci_u32_e64 v2, null, 0, v2, s3
	v_cmp_le_i32_e64 s2, s16, v17
	v_add_nc_u32_e32 v9, 64, v9
	v_add_nc_u32_e32 v13, 0x100, v13
	s_or_b32 s15, s2, s15
	s_andn2_b32 exec_lo, exec_lo, s15
	s_cbranch_execz .LBB22_19
.LBB22_12:                              ; =>This Inner Loop Header: Depth=1
	v_mul_hi_u32 v18, v9, s21
	s_waitcnt lgkmcnt(0)
	v_mul_lo_u32 v19, v18, s12
	v_add_nc_u32_e32 v20, 1, v18
	v_sub_nc_u32_e32 v19, v9, v19
	v_subrev_nc_u32_e32 v21, s12, v19
	v_cmp_le_u32_e64 s2, s12, v19
	v_cndmask_b32_e64 v18, v18, v20, s2
	v_cndmask_b32_e64 v19, v19, v21, s2
	v_add_nc_u32_e32 v20, 1, v18
	v_cmp_le_u32_e64 s2, s12, v19
	v_cndmask_b32_e64 v18, v18, v20, s2
	v_xor_b32_e32 v18, s19, v18
	v_subrev_nc_u32_e32 v18, s19, v18
	v_add_nc_u32_e32 v19, s31, v18
	v_cmp_ge_i32_e64 s3, s4, v18
	v_sub_nc_u32_e32 v20, 0, v19
	v_max_i32_e32 v20, v19, v20
	v_ashrrev_i32_e32 v19, 31, v19
	v_mul_hi_u32 v21, v20, v16
	v_mul_lo_u32 v21, v21, s5
	v_sub_nc_u32_e32 v20, v20, v21
	v_subrev_nc_u32_e32 v21, s5, v20
	v_cmp_le_u32_e64 s2, s5, v20
	v_cndmask_b32_e64 v20, v20, v21, s2
	v_subrev_nc_u32_e32 v21, s5, v20
	v_cmp_le_u32_e64 s2, s5, v20
	v_cndmask_b32_e64 v20, v20, v21, s2
	v_xor_b32_e32 v20, v20, v19
	v_sub_nc_u32_e32 v19, v20, v19
	v_cmp_ne_u32_e64 s2, 0, v19
	s_and_b32 s2, s2, s3
	s_and_saveexec_b32 s3, s2
	s_xor_b32 s2, exec_lo, s3
	s_cbranch_execz .LBB22_16
; %bb.13:                               ;   in Loop: Header=BB22_12 Depth=1
	s_and_saveexec_b32 s3, vcc_lo
; %bb.14:                               ;   in Loop: Header=BB22_12 Depth=1
	ds_write_b32 v13, v10
; %bb.15:                               ;   in Loop: Header=BB22_12 Depth=1
	s_or_b32 exec_lo, exec_lo, s3
.LBB22_16:                              ;   in Loop: Header=BB22_12 Depth=1
	s_andn2_saveexec_b32 s3, s2
	s_cbranch_execz .LBB22_11
; %bb.17:                               ;   in Loop: Header=BB22_12 Depth=1
	global_load_dword v18, v[1:2], off
	s_waitcnt vmcnt(0)
	v_mad_i64_i32 v[18:19], null, v18, s35, 0
	v_lshlrev_b64 v[18:19], 2, v[18:19]
	v_add_co_u32 v18, s2, v14, v18
	v_add_co_ci_u32_e64 v19, null, v15, v19, s2
	s_clause 0x7
	global_load_dwordx2 v[30:31], v[18:19], off offset:256
	global_load_dwordx2 v[32:33], v[18:19], off offset:512
	;; [unrolled: 1-line block ×3, first 2 shown]
	global_load_dwordx2 v[36:37], v[18:19], off
	global_load_dwordx2 v[38:39], v[18:19], off offset:1024
	global_load_dwordx2 v[40:41], v[18:19], off offset:1280
	;; [unrolled: 1-line block ×4, first 2 shown]
	v_add_co_u32 v20, s2, v18, 0x1000
	v_add_co_ci_u32_e64 v21, null, 0, v19, s2
	v_add_co_u32 v22, s2, 0x800, v18
	v_add_co_ci_u32_e64 v23, null, 0, v19, s2
	s_clause 0x7
	global_load_dwordx2 v[46:47], v[20:21], off offset:-2048
	global_load_dwordx2 v[48:49], v[22:23], off offset:256
	global_load_dwordx2 v[50:51], v[22:23], off offset:512
	;; [unrolled: 1-line block ×7, first 2 shown]
	v_add_co_u32 v22, s2, 0x1000, v18
	v_add_co_ci_u32_e64 v23, null, 0, v19, s2
	s_clause 0x6
	global_load_dwordx2 v[65:66], v[20:21], off
	global_load_dwordx2 v[67:68], v[22:23], off offset:256
	global_load_dwordx2 v[69:70], v[22:23], off offset:512
	;; [unrolled: 1-line block ×6, first 2 shown]
	v_add_co_u32 v18, s2, 0x1800, v18
	v_add_co_ci_u32_e64 v19, null, 0, v19, s2
	s_clause 0x4
	global_load_dwordx2 v[79:80], v[22:23], off offset:1792
	global_load_dwordx2 v[81:82], v[18:19], off
	global_load_dwordx2 v[83:84], v[18:19], off offset:256
	global_load_dwordx2 v[85:86], v[18:19], off offset:512
	;; [unrolled: 1-line block ×3, first 2 shown]
	ds_read_b128 v[18:21], v8
	ds_read_b128 v[22:25], v8 offset:16
	ds_read_b128 v[26:29], v8 offset:32
	v_cmp_gt_i32_e64 s2, 32, v11
	s_waitcnt vmcnt(27) lgkmcnt(2)
	v_mul_f32_e32 v30, v20, v30
	v_mul_f32_e32 v31, v21, v31
	s_waitcnt vmcnt(24)
	v_fmac_f32_e32 v30, v18, v36
	v_fmac_f32_e32 v31, v19, v37
	ds_read_b128 v[18:21], v8 offset:48
	s_waitcnt lgkmcnt(2)
	v_fmac_f32_e32 v30, v22, v32
	v_fmac_f32_e32 v31, v23, v33
	;; [unrolled: 1-line block ×4, first 2 shown]
	ds_read_b128 v[22:25], v8 offset:64
	s_waitcnt vmcnt(23) lgkmcnt(2)
	v_fmac_f32_e32 v30, v26, v38
	v_fmac_f32_e32 v31, v27, v39
	s_waitcnt vmcnt(22)
	v_fmac_f32_e32 v30, v28, v40
	v_fmac_f32_e32 v31, v29, v41
	ds_read_b128 v[26:29], v8 offset:80
	s_waitcnt vmcnt(21) lgkmcnt(2)
	v_fmac_f32_e32 v30, v18, v42
	v_fmac_f32_e32 v31, v19, v43
	s_waitcnt vmcnt(20)
	v_fmac_f32_e32 v30, v20, v44
	v_fmac_f32_e32 v31, v21, v45
	;; [unrolled: 7-line block ×10, first 2 shown]
	s_waitcnt vmcnt(3) lgkmcnt(1)
	v_fmac_f32_e32 v30, v18, v81
	v_fmac_f32_e32 v31, v19, v82
	v_cndmask_b32_e64 v18, v5, v11, s2
	s_waitcnt vmcnt(2)
	v_fmac_f32_e32 v30, v83, v20
	v_fmac_f32_e32 v31, v84, v21
	v_lshlrev_b32_e32 v19, 2, v18
	s_waitcnt vmcnt(1) lgkmcnt(0)
	v_fmac_f32_e32 v30, v85, v22
	v_fmac_f32_e32 v31, v86, v23
	s_waitcnt vmcnt(0)
	v_fmac_f32_e32 v30, v87, v24
	v_fmac_f32_e32 v31, v88, v25
	v_add_f32_e32 v18, v30, v31
	ds_bpermute_b32 v19, v19, v18
	s_and_saveexec_b32 s36, vcc_lo
	s_cbranch_execz .LBB22_10
; %bb.18:                               ;   in Loop: Header=BB22_12 Depth=1
	v_add_nc_u32_e32 v20, v12, v9
	s_waitcnt lgkmcnt(0)
	v_add_f32_e32 v18, v18, v19
	v_cvt_f32_i32_e32 v20, v20
	v_mul_f32_e32 v20, s33, v20
	v_cndmask_b32_e64 v19, 0, v20, s1
	v_max_f32_e32 v20, v6, v6
	v_fmac_f32_e32 v19, s29, v18
	v_add_nc_u32_e32 v18, v7, v9
	v_max_f32_e32 v20, v20, v19
	v_cmp_gt_i32_e64 s2, s30, v18
	v_cndmask_b32_e64 v18, 0, v19, s2
	v_cndmask_b32_e64 v6, v6, v20, s2
	ds_write_b32 v13, v18
	s_branch .LBB22_10
.LBB22_19:
	s_or_b32 exec_lo, exec_lo, s15
.LBB22_20:
	s_or_b32 exec_lo, exec_lo, s34
	v_xor_b32_e32 v1, 16, v5
	v_xor_b32_e32 v7, 8, v5
	v_max_f32_e32 v8, v6, v6
	v_and_b32_e32 v65, 31, v0
	v_cmp_gt_i32_e32 vcc_lo, 32, v1
	v_cndmask_b32_e32 v1, v5, v1, vcc_lo
	v_cmp_gt_i32_e32 vcc_lo, 32, v7
	v_lshlrev_b32_e32 v1, 2, v1
	ds_bpermute_b32 v2, v1, v6
	v_cndmask_b32_e32 v6, v5, v7, vcc_lo
	v_lshlrev_b32_e32 v6, 2, v6
	s_waitcnt lgkmcnt(0)
	v_max_f32_e32 v2, v2, v2
	v_max_f32_e32 v2, v8, v2
	v_xor_b32_e32 v8, 4, v5
	ds_bpermute_b32 v7, v6, v2
	v_cmp_gt_i32_e32 vcc_lo, 32, v8
	v_cndmask_b32_e32 v8, v5, v8, vcc_lo
	s_waitcnt lgkmcnt(0)
	v_max_f32_e32 v9, v7, v7
	v_lshlrev_b32_e32 v7, 2, v8
	v_max_f32_e32 v2, v2, v9
	v_xor_b32_e32 v9, 2, v5
	ds_bpermute_b32 v8, v7, v2
	v_cmp_gt_i32_e32 vcc_lo, 32, v9
	v_cndmask_b32_e32 v9, v5, v9, vcc_lo
	v_cmp_eq_u32_e32 vcc_lo, 0, v65
	v_lshlrev_b32_e32 v66, 2, v9
	s_waitcnt lgkmcnt(0)
	v_max_f32_e32 v8, v8, v8
	v_max_f32_e32 v2, v2, v8
	v_lshlrev_b32_e32 v8, 2, v63
	ds_bpermute_b32 v9, v66, v2
	s_and_saveexec_b32 s1, vcc_lo
	s_cbranch_execz .LBB22_22
; %bb.21:
	s_waitcnt lgkmcnt(0)
	v_max_f32_e32 v9, v9, v9
	v_max_f32_e32 v2, v2, v2
	;; [unrolled: 1-line block ×3, first 2 shown]
	ds_write_b32 v8, v2 offset:448
.LBB22_22:
	s_or_b32 exec_lo, exec_lo, s1
	v_cmp_gt_u32_e64 s1, 4, v65
	v_mov_b32_e32 v2, 0xff7fffff
	s_waitcnt lgkmcnt(0)
	v_lshlrev_b32_e32 v9, 2, v65
	s_barrier
	buffer_gl0_inv
	s_and_saveexec_b32 s2, s1
; %bb.23:
	ds_read_b32 v2, v9 offset:448
; %bb.24:
	s_or_b32 exec_lo, exec_lo, s2
	s_waitcnt lgkmcnt(0)
	ds_bpermute_b32 v10, v66, v2
	v_xor_b32_e32 v11, 1, v5
	v_max_f32_e32 v2, v2, v2
	v_cmp_gt_i32_e64 s2, 32, v11
	v_cndmask_b32_e64 v5, v5, v11, s2
	s_lshl_b32 s2, s16, 4
	s_min_i32 s4, s2, s30
	v_lshlrev_b32_e32 v67, 2, v5
	v_cmp_gt_i32_e64 s2, s4, v0
	s_waitcnt lgkmcnt(0)
	v_max_f32_e32 v10, v10, v10
	v_max_f32_e32 v2, v2, v10
	ds_bpermute_b32 v5, v67, v2
	s_waitcnt lgkmcnt(0)
	v_max_f32_e32 v5, v5, v5
	v_max_f32_e32 v2, v2, v5
	v_mov_b32_e32 v5, 0
	ds_bpermute_b32 v10, v5, v2
	v_lshl_add_u32 v2, v0, 2, 0x1e0
	s_and_saveexec_b32 s5, s2
	s_cbranch_execz .LBB22_28
; %bb.25:
	v_lshl_add_u32 v11, v0, 2, 0x1e0
	v_mov_b32_e32 v5, 0
	v_mov_b32_e32 v12, v0
	s_mov_b32 s15, 0
	.p2align	6
.LBB22_26:                              ; =>This Inner Loop Header: Depth=1
	ds_read_b32 v13, v11
	v_add_nc_u32_e32 v12, 0x80, v12
	v_cmp_le_i32_e64 s3, s4, v12
	s_or_b32 s15, s3, s15
	s_waitcnt lgkmcnt(0)
	v_sub_f32_e32 v13, v13, v10
	v_mul_f32_e32 v13, 0x3fb8aa3b, v13
	v_exp_f32_e32 v13, v13
	ds_write_b32 v11, v13
	v_add_f32_e32 v5, v5, v13
	v_add_nc_u32_e32 v11, 0x200, v11
	s_andn2_b32 exec_lo, exec_lo, s15
	s_cbranch_execnz .LBB22_26
; %bb.27:
	s_or_b32 exec_lo, exec_lo, s15
.LBB22_28:
	s_or_b32 exec_lo, exec_lo, s5
	ds_bpermute_b32 v1, v1, v5
	s_waitcnt lgkmcnt(0)
	v_add_f32_e32 v1, v5, v1
	ds_bpermute_b32 v5, v6, v1
	s_waitcnt lgkmcnt(0)
	v_add_f32_e32 v1, v1, v5
	;; [unrolled: 3-line block ×5, first 2 shown]
	s_and_saveexec_b32 s3, vcc_lo
; %bb.29:
	ds_write_b32 v8, v1 offset:464
; %bb.30:
	s_or_b32 exec_lo, exec_lo, s3
	s_waitcnt lgkmcnt(0)
	s_barrier
	buffer_gl0_inv
	s_and_saveexec_b32 s3, s1
; %bb.31:
	ds_read_b32 v1, v9 offset:464
; %bb.32:
	s_or_b32 exec_lo, exec_lo, s3
	s_waitcnt lgkmcnt(0)
	ds_bpermute_b32 v5, v66, v1
	s_waitcnt lgkmcnt(0)
	v_add_f32_e32 v1, v1, v5
	ds_bpermute_b32 v5, v67, v1
	s_waitcnt lgkmcnt(0)
	v_add_f32_e32 v1, v1, v5
	v_mov_b32_e32 v5, 0
	ds_bpermute_b32 v1, v5, v1
	s_and_saveexec_b32 s1, s2
	s_cbranch_execz .LBB22_35
; %bb.33:
	s_waitcnt lgkmcnt(0)
	v_add_f32_e32 v1, 0x358637bd, v1
	s_mov_b32 s2, 0
	v_div_scale_f32 v5, null, v1, v1, 1.0
	v_div_scale_f32 v8, vcc_lo, 1.0, v1, 1.0
	v_rcp_f32_e32 v6, v5
	v_fma_f32 v7, -v5, v6, 1.0
	v_fmac_f32_e32 v6, v7, v6
	v_mul_f32_e32 v7, v8, v6
	v_fma_f32 v9, -v5, v7, v8
	v_fmac_f32_e32 v7, v9, v6
	v_fma_f32 v5, -v5, v7, v8
	v_div_fmas_f32 v5, v5, v6, v7
	v_div_fixup_f32 v1, v5, v1, 1.0
	v_mov_b32_e32 v5, v0
.LBB22_34:                              ; =>This Inner Loop Header: Depth=1
	ds_read_b32 v6, v2
	v_add_nc_u32_e32 v5, 0x80, v5
	v_cmp_le_i32_e32 vcc_lo, s4, v5
	s_or_b32 s2, vcc_lo, s2
	s_waitcnt lgkmcnt(0)
	v_mul_f32_e32 v6, v1, v6
	ds_write_b32 v2, v6
	v_add_nc_u32_e32 v2, 0x200, v2
	s_andn2_b32 exec_lo, exec_lo, s2
	s_cbranch_execnz .LBB22_34
.LBB22_35:
	s_or_b32 exec_lo, exec_lo, s1
	v_mov_b32_e32 v82, 0
	v_and_b32_e32 v68, 3, v0
	v_mov_b32_e32 v81, 0
	v_mov_b32_e32 v80, 0
	;; [unrolled: 1-line block ×13, first 2 shown]
	s_waitcnt lgkmcnt(0)
	s_barrier
	buffer_gl0_inv
	s_and_saveexec_b32 s4, s0
	s_cbranch_execz .LBB22_69
; %bb.36:
	s_ashr_i32 s15, s14, 31
	s_sub_i32 s5, s28, s17
	s_lshl_b64 s[0:1], s[14:15], 2
	v_lshlrev_b32_e32 v2, 4, v0
	s_add_u32 s2, s26, s0
	s_addc_u32 s3, s27, s1
	s_abs_i32 s14, s18
	v_and_b32_e32 v83, 12, v3
	v_cvt_f32_u32_e32 v1, s14
	s_sub_i32 s0, 0, s14
	v_and_b32_e32 v3, 0x7c, v4
	v_lshlrev_b32_e32 v4, 4, v68
	v_and_b32_e32 v2, 0x1f0, v2
	v_rcp_iflag_f32_e32 v1, v1
	s_add_i32 s15, s16, -1
	v_mov_b32_e32 v69, 0
	v_lshl_or_b32 v4, v63, 6, v4
	v_add_co_u32 v84, s2, s2, v2
	v_mov_b32_e32 v70, 0
	v_mov_b32_e32 v71, 0
	v_mov_b32_e32 v72, 0
	v_mov_b32_e32 v73, 0
	v_mul_f32_e32 v1, 0x4f7ffffe, v1
	v_mov_b32_e32 v74, 0
	v_mov_b32_e32 v75, 0
	;; [unrolled: 1-line block ×4, first 2 shown]
	v_cvt_u32_f32_e32 v1, v1
	v_mov_b32_e32 v78, 0
	v_mov_b32_e32 v79, 0
	;; [unrolled: 1-line block ×4, first 2 shown]
	v_mul_lo_u32 v5, s0, v1
	s_lshl_b64 s[0:1], s[24:25], 2
	v_mov_b32_e32 v82, 0
	s_add_u32 s0, s22, s0
	s_addc_u32 s1, s23, s1
	v_add_co_u32 v61, s0, s0, v3
	v_add_co_ci_u32_e64 v85, null, s3, 0, s2
	v_mul_hi_u32 v5, v1, v5
	v_add_nc_u32_e32 v86, 0x1e0, v4
	v_add_co_ci_u32_e64 v62, null, s1, 0, s0
	v_mov_b32_e32 v88, v63
	s_mov_b32 s17, s13
	s_mov_b32 s13, 0
	v_add_nc_u32_e32 v87, v1, v5
	s_branch .LBB22_39
.LBB22_37:                              ;   in Loop: Header=BB22_39 Depth=1
	s_or_b32 exec_lo, exec_lo, s0
	s_waitcnt vmcnt(1) lgkmcnt(0)
	v_mul_f32_e32 v57, v1, v57
	v_mul_f32_e32 v53, v1, v53
	;; [unrolled: 1-line block ×13, first 2 shown]
	s_waitcnt vmcnt(0)
	v_mul_f32_e32 v1, v1, v45
	v_fmac_f32_e32 v57, v2, v58
	v_fmac_f32_e32 v53, v2, v54
	;; [unrolled: 1-line block ×42, first 2 shown]
	v_add_f32_e32 v70, v70, v57
	v_add_f32_e32 v71, v71, v53
	;; [unrolled: 1-line block ×14, first 2 shown]
.LBB22_38:                              ;   in Loop: Header=BB22_39 Depth=1
	s_or_b32 exec_lo, exec_lo, s18
	v_add_nc_u32_e32 v88, 4, v88
	v_add_co_u32 v61, s0, v61, 16
	v_add_co_ci_u32_e64 v62, null, 0, v62, s0
	v_cmp_le_i32_e32 vcc_lo, s16, v88
	v_add_nc_u32_e32 v64, 64, v64
	v_add_nc_u32_e32 v86, 0x100, v86
	s_or_b32 s13, vcc_lo, s13
	s_andn2_b32 exec_lo, exec_lo, s13
	s_cbranch_execz .LBB22_68
.LBB22_39:                              ; =>This Inner Loop Header: Depth=1
	v_mul_hi_u32 v1, v64, s21
	v_mul_lo_u32 v2, v1, s12
	v_add_nc_u32_e32 v3, 1, v1
	v_sub_nc_u32_e32 v2, v64, v2
	v_subrev_nc_u32_e32 v4, s12, v2
	v_cmp_le_u32_e32 vcc_lo, s12, v2
	v_cndmask_b32_e32 v1, v1, v3, vcc_lo
	v_cndmask_b32_e32 v2, v2, v4, vcc_lo
	v_add_nc_u32_e32 v3, 1, v1
	v_cmp_le_u32_e32 vcc_lo, s12, v2
	v_cndmask_b32_e32 v1, v1, v3, vcc_lo
	v_xor_b32_e32 v1, s19, v1
	v_subrev_nc_u32_e32 v1, s19, v1
	v_add_nc_u32_e32 v2, s31, v1
	v_cmp_lt_i32_e64 s0, s5, v1
	v_sub_nc_u32_e32 v3, 0, v2
	v_max_i32_e32 v3, v2, v3
	v_ashrrev_i32_e32 v2, 31, v2
	v_mul_hi_u32 v4, v3, v87
	v_mul_lo_u32 v4, v4, s14
	v_sub_nc_u32_e32 v3, v3, v4
	v_subrev_nc_u32_e32 v4, s14, v3
	v_cmp_le_u32_e32 vcc_lo, s14, v3
	v_cndmask_b32_e32 v3, v3, v4, vcc_lo
	v_subrev_nc_u32_e32 v4, s14, v3
	v_cmp_le_u32_e32 vcc_lo, s14, v3
	v_cndmask_b32_e32 v3, v3, v4, vcc_lo
	v_xor_b32_e32 v3, v3, v2
	v_sub_nc_u32_e32 v2, v3, v2
	v_cmp_eq_u32_e32 vcc_lo, 0, v2
	s_or_b32 s0, vcc_lo, s0
	s_and_saveexec_b32 s18, s0
	s_cbranch_execz .LBB22_38
; %bb.40:                               ;   in Loop: Header=BB22_39 Depth=1
	global_load_dword v1, v[61:62], off
	v_add_nc_u32_e32 v89, v83, v64
	v_add_nc_u32_e32 v92, 1, v89
	;; [unrolled: 1-line block ×4, first 2 shown]
	s_waitcnt vmcnt(0)
	v_mad_i64_i32 v[1:2], null, v1, s17, 0
	v_lshlrev_b64 v[1:2], 2, v[1:2]
	v_add_co_u32 v45, vcc_lo, v84, v1
	v_add_co_ci_u32_e64 v46, null, v85, v2, vcc_lo
	ds_read_b128 v[1:4], v86
	v_cmp_eq_u32_e32 vcc_lo, s15, v88
	global_load_dwordx4 v[5:8], v[45:46], off
	s_and_saveexec_b32 s1, vcc_lo
	s_cbranch_execnz .LBB22_59
; %bb.41:                               ;   in Loop: Header=BB22_39 Depth=1
	s_or_b32 exec_lo, exec_lo, s1
	global_load_dwordx4 v[9:12], v[45:46], off offset:512
	s_and_saveexec_b32 s1, vcc_lo
	s_cbranch_execnz .LBB22_60
.LBB22_42:                              ;   in Loop: Header=BB22_39 Depth=1
	s_or_b32 exec_lo, exec_lo, s1
	global_load_dwordx4 v[13:16], v[45:46], off offset:1024
	s_and_saveexec_b32 s1, vcc_lo
	s_cbranch_execnz .LBB22_61
.LBB22_43:                              ;   in Loop: Header=BB22_39 Depth=1
	s_or_b32 exec_lo, exec_lo, s1
	global_load_dwordx4 v[17:20], v[45:46], off offset:1536
	s_and_saveexec_b32 s1, vcc_lo
	s_cbranch_execz .LBB22_45
.LBB22_44:                              ;   in Loop: Header=BB22_39 Depth=1
	v_cmp_gt_i32_e64 s0, s30, v89
	s_waitcnt vmcnt(0)
	v_cndmask_b32_e64 v17, 0, v17, s0
	v_cmp_gt_i32_e64 s0, s30, v92
	v_cndmask_b32_e64 v18, 0, v18, s0
	v_cmp_gt_i32_e64 s0, s30, v91
	;; [unrolled: 2-line block ×3, first 2 shown]
	v_cndmask_b32_e64 v20, 0, v20, s0
.LBB22_45:                              ;   in Loop: Header=BB22_39 Depth=1
	s_or_b32 exec_lo, exec_lo, s1
	v_add_co_u32 v33, s0, 0x800, v45
	v_add_co_ci_u32_e64 v34, null, 0, v46, s0
	global_load_dwordx4 v[21:24], v[33:34], off
	s_and_saveexec_b32 s1, vcc_lo
	s_cbranch_execnz .LBB22_62
; %bb.46:                               ;   in Loop: Header=BB22_39 Depth=1
	s_or_b32 exec_lo, exec_lo, s1
	global_load_dwordx4 v[25:28], v[33:34], off offset:512
	s_and_saveexec_b32 s1, vcc_lo
	s_cbranch_execnz .LBB22_63
.LBB22_47:                              ;   in Loop: Header=BB22_39 Depth=1
	s_or_b32 exec_lo, exec_lo, s1
	global_load_dwordx4 v[29:32], v[33:34], off offset:1024
	s_and_saveexec_b32 s1, vcc_lo
	s_cbranch_execnz .LBB22_64
.LBB22_48:                              ;   in Loop: Header=BB22_39 Depth=1
	s_or_b32 exec_lo, exec_lo, s1
	global_load_dwordx4 v[33:36], v[33:34], off offset:1536
	s_and_saveexec_b32 s1, vcc_lo
	s_cbranch_execz .LBB22_50
.LBB22_49:                              ;   in Loop: Header=BB22_39 Depth=1
	v_cmp_gt_i32_e64 s0, s30, v89
	s_waitcnt vmcnt(0)
	v_cndmask_b32_e64 v33, 0, v33, s0
	v_cmp_gt_i32_e64 s0, s30, v92
	v_cndmask_b32_e64 v34, 0, v34, s0
	v_cmp_gt_i32_e64 s0, s30, v91
	;; [unrolled: 2-line block ×3, first 2 shown]
	v_cndmask_b32_e64 v36, 0, v36, s0
.LBB22_50:                              ;   in Loop: Header=BB22_39 Depth=1
	s_or_b32 exec_lo, exec_lo, s1
	v_add_co_u32 v47, s0, 0x1000, v45
	v_add_co_ci_u32_e64 v48, null, 0, v46, s0
	global_load_dwordx4 v[37:40], v[47:48], off
	s_and_saveexec_b32 s1, vcc_lo
	s_cbranch_execnz .LBB22_65
; %bb.51:                               ;   in Loop: Header=BB22_39 Depth=1
	s_or_b32 exec_lo, exec_lo, s1
	global_load_dwordx4 v[41:44], v[47:48], off offset:512
	s_and_saveexec_b32 s22, vcc_lo
	s_cbranch_execnz .LBB22_66
.LBB22_52:                              ;   in Loop: Header=BB22_39 Depth=1
	s_or_b32 exec_lo, exec_lo, s22
	global_load_dwordx4 v[49:52], v[47:48], off offset:1024
	s_and_saveexec_b32 s1, vcc_lo
	s_cbranch_execnz .LBB22_67
.LBB22_53:                              ;   in Loop: Header=BB22_39 Depth=1
	s_or_b32 exec_lo, exec_lo, s1
	global_load_dwordx4 v[53:56], v[47:48], off offset:1536
	s_and_saveexec_b32 s1, vcc_lo
	s_cbranch_execz .LBB22_55
.LBB22_54:                              ;   in Loop: Header=BB22_39 Depth=1
	v_cmp_gt_i32_e64 s0, s30, v89
	s_waitcnt vmcnt(0)
	v_cndmask_b32_e64 v53, 0, v53, s0
	v_cmp_gt_i32_e64 s0, s30, v92
	v_cndmask_b32_e64 v54, 0, v54, s0
	v_cmp_gt_i32_e64 s0, s30, v91
	;; [unrolled: 2-line block ×3, first 2 shown]
	v_cndmask_b32_e64 v56, 0, v56, s0
.LBB22_55:                              ;   in Loop: Header=BB22_39 Depth=1
	s_or_b32 exec_lo, exec_lo, s1
	v_add_co_u32 v45, s0, 0x1800, v45
	v_add_co_ci_u32_e64 v46, null, 0, v46, s0
	global_load_dwordx4 v[57:60], v[45:46], off
	s_and_saveexec_b32 s1, vcc_lo
	s_cbranch_execz .LBB22_57
; %bb.56:                               ;   in Loop: Header=BB22_39 Depth=1
	v_cmp_gt_i32_e64 s0, s30, v89
	s_waitcnt vmcnt(0)
	v_cndmask_b32_e64 v57, 0, v57, s0
	v_cmp_gt_i32_e64 s0, s30, v92
	v_cndmask_b32_e64 v58, 0, v58, s0
	v_cmp_gt_i32_e64 s0, s30, v91
	v_cndmask_b32_e64 v59, 0, v59, s0
	v_cmp_gt_i32_e64 s0, s30, v90
	v_cndmask_b32_e64 v60, 0, v60, s0
.LBB22_57:                              ;   in Loop: Header=BB22_39 Depth=1
	s_or_b32 exec_lo, exec_lo, s1
	global_load_dwordx4 v[45:48], v[45:46], off offset:512
	s_and_saveexec_b32 s0, vcc_lo
	s_cbranch_execz .LBB22_37
; %bb.58:                               ;   in Loop: Header=BB22_39 Depth=1
	v_cmp_gt_i32_e32 vcc_lo, s30, v89
	s_waitcnt vmcnt(0)
	v_cndmask_b32_e32 v45, 0, v45, vcc_lo
	v_cmp_gt_i32_e32 vcc_lo, s30, v92
	v_cndmask_b32_e32 v46, 0, v46, vcc_lo
	v_cmp_gt_i32_e32 vcc_lo, s30, v91
	;; [unrolled: 2-line block ×3, first 2 shown]
	v_cndmask_b32_e32 v48, 0, v48, vcc_lo
	s_branch .LBB22_37
.LBB22_59:                              ;   in Loop: Header=BB22_39 Depth=1
	v_cmp_gt_i32_e64 s0, s30, v89
	s_waitcnt vmcnt(0)
	v_cndmask_b32_e64 v5, 0, v5, s0
	v_cmp_gt_i32_e64 s0, s30, v92
	v_cndmask_b32_e64 v6, 0, v6, s0
	v_cmp_gt_i32_e64 s0, s30, v91
	;; [unrolled: 2-line block ×3, first 2 shown]
	v_cndmask_b32_e64 v8, 0, v8, s0
	s_or_b32 exec_lo, exec_lo, s1
	global_load_dwordx4 v[9:12], v[45:46], off offset:512
	s_and_saveexec_b32 s1, vcc_lo
	s_cbranch_execz .LBB22_42
.LBB22_60:                              ;   in Loop: Header=BB22_39 Depth=1
	v_cmp_gt_i32_e64 s0, s30, v89
	s_waitcnt vmcnt(0)
	v_cndmask_b32_e64 v9, 0, v9, s0
	v_cmp_gt_i32_e64 s0, s30, v92
	v_cndmask_b32_e64 v10, 0, v10, s0
	v_cmp_gt_i32_e64 s0, s30, v91
	v_cndmask_b32_e64 v11, 0, v11, s0
	v_cmp_gt_i32_e64 s0, s30, v90
	v_cndmask_b32_e64 v12, 0, v12, s0
	s_or_b32 exec_lo, exec_lo, s1
	global_load_dwordx4 v[13:16], v[45:46], off offset:1024
	s_and_saveexec_b32 s1, vcc_lo
	s_cbranch_execz .LBB22_43
.LBB22_61:                              ;   in Loop: Header=BB22_39 Depth=1
	v_cmp_gt_i32_e64 s0, s30, v89
	s_waitcnt vmcnt(0)
	v_cndmask_b32_e64 v13, 0, v13, s0
	v_cmp_gt_i32_e64 s0, s30, v92
	v_cndmask_b32_e64 v14, 0, v14, s0
	v_cmp_gt_i32_e64 s0, s30, v91
	;; [unrolled: 2-line block ×3, first 2 shown]
	v_cndmask_b32_e64 v16, 0, v16, s0
	s_or_b32 exec_lo, exec_lo, s1
	global_load_dwordx4 v[17:20], v[45:46], off offset:1536
	s_and_saveexec_b32 s1, vcc_lo
	s_cbranch_execnz .LBB22_44
	s_branch .LBB22_45
.LBB22_62:                              ;   in Loop: Header=BB22_39 Depth=1
	v_cmp_gt_i32_e64 s0, s30, v89
	s_waitcnt vmcnt(0)
	v_cndmask_b32_e64 v21, 0, v21, s0
	v_cmp_gt_i32_e64 s0, s30, v92
	v_cndmask_b32_e64 v22, 0, v22, s0
	v_cmp_gt_i32_e64 s0, s30, v91
	;; [unrolled: 2-line block ×3, first 2 shown]
	v_cndmask_b32_e64 v24, 0, v24, s0
	s_or_b32 exec_lo, exec_lo, s1
	global_load_dwordx4 v[25:28], v[33:34], off offset:512
	s_and_saveexec_b32 s1, vcc_lo
	s_cbranch_execz .LBB22_47
.LBB22_63:                              ;   in Loop: Header=BB22_39 Depth=1
	v_cmp_gt_i32_e64 s0, s30, v89
	s_waitcnt vmcnt(0)
	v_cndmask_b32_e64 v25, 0, v25, s0
	v_cmp_gt_i32_e64 s0, s30, v92
	v_cndmask_b32_e64 v26, 0, v26, s0
	v_cmp_gt_i32_e64 s0, s30, v91
	;; [unrolled: 2-line block ×3, first 2 shown]
	v_cndmask_b32_e64 v28, 0, v28, s0
	s_or_b32 exec_lo, exec_lo, s1
	global_load_dwordx4 v[29:32], v[33:34], off offset:1024
	s_and_saveexec_b32 s1, vcc_lo
	s_cbranch_execz .LBB22_48
.LBB22_64:                              ;   in Loop: Header=BB22_39 Depth=1
	v_cmp_gt_i32_e64 s0, s30, v89
	s_waitcnt vmcnt(0)
	v_cndmask_b32_e64 v29, 0, v29, s0
	v_cmp_gt_i32_e64 s0, s30, v92
	v_cndmask_b32_e64 v30, 0, v30, s0
	v_cmp_gt_i32_e64 s0, s30, v91
	;; [unrolled: 2-line block ×3, first 2 shown]
	v_cndmask_b32_e64 v32, 0, v32, s0
	s_or_b32 exec_lo, exec_lo, s1
	global_load_dwordx4 v[33:36], v[33:34], off offset:1536
	s_and_saveexec_b32 s1, vcc_lo
	s_cbranch_execnz .LBB22_49
	s_branch .LBB22_50
.LBB22_65:                              ;   in Loop: Header=BB22_39 Depth=1
	v_cmp_gt_i32_e64 s0, s30, v89
	s_waitcnt vmcnt(0)
	v_cndmask_b32_e64 v37, 0, v37, s0
	v_cmp_gt_i32_e64 s0, s30, v92
	v_cndmask_b32_e64 v38, 0, v38, s0
	v_cmp_gt_i32_e64 s0, s30, v91
	;; [unrolled: 2-line block ×3, first 2 shown]
	v_cndmask_b32_e64 v40, 0, v40, s0
	s_or_b32 exec_lo, exec_lo, s1
	global_load_dwordx4 v[41:44], v[47:48], off offset:512
	s_and_saveexec_b32 s22, vcc_lo
	s_cbranch_execz .LBB22_52
.LBB22_66:                              ;   in Loop: Header=BB22_39 Depth=1
	v_cmp_gt_i32_e64 s0, s30, v89
	v_cmp_gt_i32_e64 s1, s30, v92
	;; [unrolled: 1-line block ×4, first 2 shown]
	s_waitcnt vmcnt(0)
	v_cndmask_b32_e64 v41, 0, v41, s0
	v_cndmask_b32_e64 v42, 0, v42, s1
	;; [unrolled: 1-line block ×4, first 2 shown]
	s_or_b32 exec_lo, exec_lo, s22
	global_load_dwordx4 v[49:52], v[47:48], off offset:1024
	s_and_saveexec_b32 s1, vcc_lo
	s_cbranch_execz .LBB22_53
.LBB22_67:                              ;   in Loop: Header=BB22_39 Depth=1
	v_cmp_gt_i32_e64 s0, s30, v89
	s_waitcnt vmcnt(0)
	v_cndmask_b32_e64 v49, 0, v49, s0
	v_cmp_gt_i32_e64 s0, s30, v92
	v_cndmask_b32_e64 v50, 0, v50, s0
	v_cmp_gt_i32_e64 s0, s30, v91
	v_cndmask_b32_e64 v51, 0, v51, s0
	v_cmp_gt_i32_e64 s0, s30, v90
	v_cndmask_b32_e64 v52, 0, v52, s0
	s_or_b32 exec_lo, exec_lo, s1
	global_load_dwordx4 v[53:56], v[47:48], off offset:1536
	s_and_saveexec_b32 s1, vcc_lo
	s_cbranch_execnz .LBB22_54
	s_branch .LBB22_55
.LBB22_68:
	s_or_b32 exec_lo, exec_lo, s13
.LBB22_69:
	s_or_b32 exec_lo, exec_lo, s4
	ds_bpermute_b32 v2, v66, v81
	ds_bpermute_b32 v1, v66, v82
	;; [unrolled: 1-line block ×14, first 2 shown]
	s_mov_b32 s0, exec_lo
	s_waitcnt lgkmcnt(0)
	s_barrier
	buffer_gl0_inv
	v_add_f32_e32 v2, v81, v2
	v_add_f32_e32 v1, v82, v1
	v_add_f32_e32 v3, v80, v3
	v_add_f32_e32 v4, v79, v4
	v_add_f32_e32 v5, v78, v5
	v_add_f32_e32 v6, v77, v6
	v_add_f32_e32 v7, v76, v7
	ds_bpermute_b32 v16, v67, v2
	v_add_f32_e32 v8, v75, v8
	v_add_f32_e32 v9, v74, v9
	;; [unrolled: 1-line block ×7, first 2 shown]
	ds_bpermute_b32 v15, v67, v1
	ds_bpermute_b32 v17, v67, v3
	;; [unrolled: 1-line block ×13, first 2 shown]
	s_waitcnt lgkmcnt(13)
	v_add_f32_e32 v2, v2, v16
	v_and_b32_e32 v16, 28, v65
	v_add_nc_u32_e32 v16, 0x1e0, v16
	s_waitcnt lgkmcnt(12)
	v_add_f32_e32 v1, v1, v15
	s_waitcnt lgkmcnt(11)
	v_add_f32_e32 v3, v3, v17
	;; [unrolled: 2-line block ×12, first 2 shown]
	v_and_b32_e32 v18, 0x3c3, v0
	s_waitcnt lgkmcnt(0)
	v_add_f32_e32 v14, v14, v28
	v_lshrrev_b32_e32 v15, 2, v65
	v_mul_u32_u24_e32 v17, 0x1c0, v63
	v_cmpx_eq_u32_e32 64, v18
	s_cbranch_execz .LBB22_71
; %bb.70:
	v_add_nc_u32_e32 v18, v16, v17
	v_add_nc_u32_e32 v19, 0xfffffc80, v18
	v_add_nc_u32_e32 v20, 0xfffffca0, v18
	v_add_nc_u32_e32 v21, 0xfffffcc0, v18
	v_add_nc_u32_e32 v22, 0xfffffce0, v18
	v_add_nc_u32_e32 v23, 0xfffffd00, v18
	v_add_nc_u32_e32 v24, 0xfffffd20, v18
	ds_write_b32 v19, v1
	ds_write_b32 v20, v2
	;; [unrolled: 1-line block ×4, first 2 shown]
	v_add_nc_u32_e32 v19, 0xfffffd40, v18
	v_add_nc_u32_e32 v20, 0xfffffd60, v18
	;; [unrolled: 1-line block ×3, first 2 shown]
	ds_write_b32 v23, v5
	ds_write_b32 v24, v6
	;; [unrolled: 1-line block ×5, first 2 shown]
	v_add_nc_u32_e32 v19, 0xfffffda0, v18
	v_add_nc_u32_e32 v20, 0xfffffdc0, v18
	;; [unrolled: 1-line block ×5, first 2 shown]
	ds_write_b32 v19, v10
	ds_write_b32 v20, v11
	;; [unrolled: 1-line block ×5, first 2 shown]
.LBB22_71:
	s_or_b32 exec_lo, exec_lo, s0
	v_lshlrev_b32_e32 v15, 2, v15
	s_mov_b32 s1, exec_lo
	v_cmp_eq_u32_e32 vcc_lo, 0, v68
	s_waitcnt lgkmcnt(0)
	s_barrier
	v_add3_u32 v15, 0x1e0, v17, v15
	buffer_gl0_inv
	v_cmpx_gt_u32_e32 64, v0
	s_cbranch_execz .LBB22_88
; %bb.72:
	s_and_saveexec_b32 s0, vcc_lo
	s_cbranch_execnz .LBB22_110
; %bb.73:
	s_or_b32 exec_lo, exec_lo, s0
	s_and_saveexec_b32 s0, vcc_lo
	s_cbranch_execnz .LBB22_111
.LBB22_74:
	s_or_b32 exec_lo, exec_lo, s0
	s_and_saveexec_b32 s0, vcc_lo
	s_cbranch_execnz .LBB22_112
.LBB22_75:
	s_or_b32 exec_lo, exec_lo, s0
	s_and_saveexec_b32 s0, vcc_lo
	s_cbranch_execnz .LBB22_113
.LBB22_76:
	s_or_b32 exec_lo, exec_lo, s0
	s_and_saveexec_b32 s0, vcc_lo
	s_cbranch_execnz .LBB22_114
.LBB22_77:
	s_or_b32 exec_lo, exec_lo, s0
	s_and_saveexec_b32 s0, vcc_lo
	s_cbranch_execnz .LBB22_115
.LBB22_78:
	s_or_b32 exec_lo, exec_lo, s0
	s_and_saveexec_b32 s0, vcc_lo
	s_cbranch_execnz .LBB22_116
.LBB22_79:
	s_or_b32 exec_lo, exec_lo, s0
	s_and_saveexec_b32 s0, vcc_lo
	s_cbranch_execnz .LBB22_117
.LBB22_80:
	s_or_b32 exec_lo, exec_lo, s0
	s_and_saveexec_b32 s0, vcc_lo
	s_cbranch_execnz .LBB22_118
.LBB22_81:
	s_or_b32 exec_lo, exec_lo, s0
	s_and_saveexec_b32 s0, vcc_lo
	s_cbranch_execnz .LBB22_119
.LBB22_82:
	s_or_b32 exec_lo, exec_lo, s0
	s_and_saveexec_b32 s0, vcc_lo
	s_cbranch_execnz .LBB22_120
.LBB22_83:
	s_or_b32 exec_lo, exec_lo, s0
	s_and_saveexec_b32 s0, vcc_lo
	s_cbranch_execnz .LBB22_121
.LBB22_84:
	s_or_b32 exec_lo, exec_lo, s0
	s_and_saveexec_b32 s0, vcc_lo
	s_cbranch_execnz .LBB22_122
.LBB22_85:
	s_or_b32 exec_lo, exec_lo, s0
	s_and_saveexec_b32 s0, vcc_lo
	s_cbranch_execz .LBB22_87
.LBB22_86:
	ds_read_b32 v17, v15 offset:416
	s_waitcnt lgkmcnt(0)
	v_add_f32_e32 v14, v14, v17
.LBB22_87:
	s_or_b32 exec_lo, exec_lo, s0
.LBB22_88:
	s_or_b32 exec_lo, exec_lo, s1
	v_and_b32_e32 v17, 0x3e3, v0
	s_mov_b32 s1, exec_lo
	s_barrier
	buffer_gl0_inv
	v_cmpx_eq_u32_e32 32, v17
	s_cbranch_execz .LBB22_90
; %bb.89:
	ds_write2_b32 v16, v1, v2 offset1:8
	ds_write2_b32 v16, v3, v4 offset0:16 offset1:24
	ds_write2_b32 v16, v5, v6 offset0:32 offset1:40
	ds_write2_b32 v16, v7, v8 offset0:48 offset1:56
	ds_write2_b32 v16, v9, v10 offset0:64 offset1:72
	ds_write2_b32 v16, v11, v12 offset0:80 offset1:88
	ds_write2_b32 v16, v13, v14 offset0:96 offset1:104
.LBB22_90:
	s_or_b32 exec_lo, exec_lo, s1
	s_mov_b32 s1, exec_lo
	s_waitcnt lgkmcnt(0)
	s_barrier
	buffer_gl0_inv
	v_cmpx_gt_u32_e32 32, v0
	s_cbranch_execz .LBB22_107
; %bb.91:
	s_and_saveexec_b32 s0, vcc_lo
	s_cbranch_execnz .LBB22_123
; %bb.92:
	s_or_b32 exec_lo, exec_lo, s0
	s_and_saveexec_b32 s0, vcc_lo
	s_cbranch_execnz .LBB22_124
.LBB22_93:
	s_or_b32 exec_lo, exec_lo, s0
	s_and_saveexec_b32 s0, vcc_lo
	s_cbranch_execnz .LBB22_125
.LBB22_94:
	s_or_b32 exec_lo, exec_lo, s0
	s_and_saveexec_b32 s0, vcc_lo
	s_cbranch_execnz .LBB22_126
.LBB22_95:
	s_or_b32 exec_lo, exec_lo, s0
	s_and_saveexec_b32 s0, vcc_lo
	s_cbranch_execnz .LBB22_127
.LBB22_96:
	s_or_b32 exec_lo, exec_lo, s0
	s_and_saveexec_b32 s0, vcc_lo
	s_cbranch_execnz .LBB22_128
.LBB22_97:
	s_or_b32 exec_lo, exec_lo, s0
	s_and_saveexec_b32 s0, vcc_lo
	s_cbranch_execnz .LBB22_129
.LBB22_98:
	s_or_b32 exec_lo, exec_lo, s0
	s_and_saveexec_b32 s0, vcc_lo
	s_cbranch_execnz .LBB22_130
.LBB22_99:
	s_or_b32 exec_lo, exec_lo, s0
	s_and_saveexec_b32 s0, vcc_lo
	s_cbranch_execnz .LBB22_131
.LBB22_100:
	s_or_b32 exec_lo, exec_lo, s0
	s_and_saveexec_b32 s0, vcc_lo
	s_cbranch_execnz .LBB22_132
.LBB22_101:
	s_or_b32 exec_lo, exec_lo, s0
	s_and_saveexec_b32 s0, vcc_lo
	s_cbranch_execnz .LBB22_133
.LBB22_102:
	s_or_b32 exec_lo, exec_lo, s0
	s_and_saveexec_b32 s0, vcc_lo
	s_cbranch_execnz .LBB22_134
.LBB22_103:
	s_or_b32 exec_lo, exec_lo, s0
	s_and_saveexec_b32 s0, vcc_lo
	s_cbranch_execnz .LBB22_135
.LBB22_104:
	s_or_b32 exec_lo, exec_lo, s0
	s_and_saveexec_b32 s0, vcc_lo
	s_cbranch_execz .LBB22_106
.LBB22_105:
	ds_read_b32 v15, v15 offset:416
	s_waitcnt lgkmcnt(0)
	v_add_f32_e32 v14, v14, v15
.LBB22_106:
	s_or_b32 exec_lo, exec_lo, s0
.LBB22_107:
	s_or_b32 exec_lo, exec_lo, s1
	s_barrier
	buffer_gl0_inv
	s_mov_b32 s0, exec_lo
	v_cmpx_eq_u32_e32 0, v17
	s_cbranch_execz .LBB22_109
; %bb.108:
	s_mul_i32 s0, s10, s11
	s_mul_i32 s2, s11, s20
	;; [unrolled: 1-line block ×3, first 2 shown]
	s_mulk_i32 s0, 0x70
	s_ashr_i32 s1, s0, 31
	s_lshl_b64 s[0:1], s[0:1], 2
	s_add_u32 s4, s6, s0
	s_addc_u32 s5, s7, s1
	s_ashr_i32 s3, s2, 31
	s_lshl_b64 s[0:1], s[2:3], 2
	s_mul_i32 s2, s8, 0x70
	s_add_u32 s4, s4, s0
	s_addc_u32 s5, s5, s1
	s_ashr_i32 s3, s2, 31
	s_lshl_b64 s[0:1], s[2:3], 2
	s_add_u32 s0, s4, s0
	s_addc_u32 s1, s5, s1
	global_store_dword v0, v1, s[0:1]
	global_store_dword v0, v2, s[0:1] offset:32
	global_store_dword v0, v3, s[0:1] offset:64
	;; [unrolled: 1-line block ×13, first 2 shown]
.LBB22_109:
	s_endpgm
.LBB22_110:
	ds_read_b32 v17, v15
	s_waitcnt lgkmcnt(0)
	v_add_f32_e32 v1, v1, v17
	s_or_b32 exec_lo, exec_lo, s0
	s_and_saveexec_b32 s0, vcc_lo
	s_cbranch_execz .LBB22_74
.LBB22_111:
	ds_read_b32 v17, v15 offset:32
	s_waitcnt lgkmcnt(0)
	v_add_f32_e32 v2, v2, v17
	s_or_b32 exec_lo, exec_lo, s0
	s_and_saveexec_b32 s0, vcc_lo
	s_cbranch_execz .LBB22_75
.LBB22_112:
	ds_read_b32 v17, v15 offset:64
	s_waitcnt lgkmcnt(0)
	v_add_f32_e32 v3, v3, v17
	s_or_b32 exec_lo, exec_lo, s0
	s_and_saveexec_b32 s0, vcc_lo
	s_cbranch_execz .LBB22_76
.LBB22_113:
	ds_read_b32 v17, v15 offset:96
	s_waitcnt lgkmcnt(0)
	v_add_f32_e32 v4, v4, v17
	s_or_b32 exec_lo, exec_lo, s0
	s_and_saveexec_b32 s0, vcc_lo
	s_cbranch_execz .LBB22_77
.LBB22_114:
	ds_read_b32 v17, v15 offset:128
	s_waitcnt lgkmcnt(0)
	v_add_f32_e32 v5, v5, v17
	s_or_b32 exec_lo, exec_lo, s0
	s_and_saveexec_b32 s0, vcc_lo
	s_cbranch_execz .LBB22_78
.LBB22_115:
	ds_read_b32 v17, v15 offset:160
	s_waitcnt lgkmcnt(0)
	v_add_f32_e32 v6, v6, v17
	s_or_b32 exec_lo, exec_lo, s0
	s_and_saveexec_b32 s0, vcc_lo
	s_cbranch_execz .LBB22_79
.LBB22_116:
	ds_read_b32 v17, v15 offset:192
	s_waitcnt lgkmcnt(0)
	v_add_f32_e32 v7, v7, v17
	s_or_b32 exec_lo, exec_lo, s0
	s_and_saveexec_b32 s0, vcc_lo
	s_cbranch_execz .LBB22_80
.LBB22_117:
	ds_read_b32 v17, v15 offset:224
	s_waitcnt lgkmcnt(0)
	v_add_f32_e32 v8, v8, v17
	s_or_b32 exec_lo, exec_lo, s0
	s_and_saveexec_b32 s0, vcc_lo
	s_cbranch_execz .LBB22_81
.LBB22_118:
	ds_read_b32 v17, v15 offset:256
	s_waitcnt lgkmcnt(0)
	v_add_f32_e32 v9, v9, v17
	s_or_b32 exec_lo, exec_lo, s0
	s_and_saveexec_b32 s0, vcc_lo
	s_cbranch_execz .LBB22_82
.LBB22_119:
	ds_read_b32 v17, v15 offset:288
	s_waitcnt lgkmcnt(0)
	v_add_f32_e32 v10, v10, v17
	s_or_b32 exec_lo, exec_lo, s0
	s_and_saveexec_b32 s0, vcc_lo
	s_cbranch_execz .LBB22_83
.LBB22_120:
	ds_read_b32 v17, v15 offset:320
	s_waitcnt lgkmcnt(0)
	v_add_f32_e32 v11, v11, v17
	s_or_b32 exec_lo, exec_lo, s0
	s_and_saveexec_b32 s0, vcc_lo
	s_cbranch_execz .LBB22_84
.LBB22_121:
	ds_read_b32 v17, v15 offset:352
	s_waitcnt lgkmcnt(0)
	v_add_f32_e32 v12, v12, v17
	s_or_b32 exec_lo, exec_lo, s0
	s_and_saveexec_b32 s0, vcc_lo
	s_cbranch_execz .LBB22_85
.LBB22_122:
	ds_read_b32 v17, v15 offset:384
	s_waitcnt lgkmcnt(0)
	v_add_f32_e32 v13, v13, v17
	s_or_b32 exec_lo, exec_lo, s0
	s_and_saveexec_b32 s0, vcc_lo
	s_cbranch_execnz .LBB22_86
	s_branch .LBB22_87
.LBB22_123:
	ds_read_b32 v16, v15
	s_waitcnt lgkmcnt(0)
	v_add_f32_e32 v1, v1, v16
	s_or_b32 exec_lo, exec_lo, s0
	s_and_saveexec_b32 s0, vcc_lo
	s_cbranch_execz .LBB22_93
.LBB22_124:
	ds_read_b32 v16, v15 offset:32
	s_waitcnt lgkmcnt(0)
	v_add_f32_e32 v2, v2, v16
	s_or_b32 exec_lo, exec_lo, s0
	s_and_saveexec_b32 s0, vcc_lo
	s_cbranch_execz .LBB22_94
.LBB22_125:
	ds_read_b32 v16, v15 offset:64
	s_waitcnt lgkmcnt(0)
	v_add_f32_e32 v3, v3, v16
	s_or_b32 exec_lo, exec_lo, s0
	s_and_saveexec_b32 s0, vcc_lo
	s_cbranch_execz .LBB22_95
.LBB22_126:
	ds_read_b32 v16, v15 offset:96
	s_waitcnt lgkmcnt(0)
	v_add_f32_e32 v4, v4, v16
	s_or_b32 exec_lo, exec_lo, s0
	s_and_saveexec_b32 s0, vcc_lo
	s_cbranch_execz .LBB22_96
.LBB22_127:
	ds_read_b32 v16, v15 offset:128
	s_waitcnt lgkmcnt(0)
	v_add_f32_e32 v5, v5, v16
	s_or_b32 exec_lo, exec_lo, s0
	s_and_saveexec_b32 s0, vcc_lo
	s_cbranch_execz .LBB22_97
.LBB22_128:
	ds_read_b32 v16, v15 offset:160
	s_waitcnt lgkmcnt(0)
	v_add_f32_e32 v6, v6, v16
	s_or_b32 exec_lo, exec_lo, s0
	s_and_saveexec_b32 s0, vcc_lo
	s_cbranch_execz .LBB22_98
.LBB22_129:
	ds_read_b32 v16, v15 offset:192
	s_waitcnt lgkmcnt(0)
	v_add_f32_e32 v7, v7, v16
	s_or_b32 exec_lo, exec_lo, s0
	s_and_saveexec_b32 s0, vcc_lo
	s_cbranch_execz .LBB22_99
.LBB22_130:
	ds_read_b32 v16, v15 offset:224
	s_waitcnt lgkmcnt(0)
	v_add_f32_e32 v8, v8, v16
	s_or_b32 exec_lo, exec_lo, s0
	s_and_saveexec_b32 s0, vcc_lo
	s_cbranch_execz .LBB22_100
.LBB22_131:
	ds_read_b32 v16, v15 offset:256
	s_waitcnt lgkmcnt(0)
	v_add_f32_e32 v9, v9, v16
	s_or_b32 exec_lo, exec_lo, s0
	s_and_saveexec_b32 s0, vcc_lo
	s_cbranch_execz .LBB22_101
.LBB22_132:
	ds_read_b32 v16, v15 offset:288
	s_waitcnt lgkmcnt(0)
	v_add_f32_e32 v10, v10, v16
	s_or_b32 exec_lo, exec_lo, s0
	s_and_saveexec_b32 s0, vcc_lo
	s_cbranch_execz .LBB22_102
.LBB22_133:
	ds_read_b32 v16, v15 offset:320
	s_waitcnt lgkmcnt(0)
	v_add_f32_e32 v11, v11, v16
	s_or_b32 exec_lo, exec_lo, s0
	s_and_saveexec_b32 s0, vcc_lo
	s_cbranch_execz .LBB22_103
.LBB22_134:
	ds_read_b32 v16, v15 offset:352
	s_waitcnt lgkmcnt(0)
	v_add_f32_e32 v12, v12, v16
	s_or_b32 exec_lo, exec_lo, s0
	s_and_saveexec_b32 s0, vcc_lo
	s_cbranch_execz .LBB22_104
.LBB22_135:
	ds_read_b32 v16, v15 offset:384
	s_waitcnt lgkmcnt(0)
	v_add_f32_e32 v13, v13, v16
	s_or_b32 exec_lo, exec_lo, s0
	s_and_saveexec_b32 s0, vcc_lo
	s_cbranch_execnz .LBB22_105
	s_branch .LBB22_106
	.section	.rodata,"a",@progbits
	.p2align	6, 0x0
	.amdhsa_kernel _ZN4vllm25paged_attention_v1_kernelIffLi112ELi16ELi128ELNS_18Fp8KVCacheDataTypeE0ELb1EEEvPT_PKS2_PKT0_S8_ifPKiSA_iPKfiiiSC_SC_iiiii
		.amdhsa_group_segment_fixed_size 480
		.amdhsa_private_segment_fixed_size 0
		.amdhsa_kernarg_size 384
		.amdhsa_user_sgpr_count 6
		.amdhsa_user_sgpr_private_segment_buffer 1
		.amdhsa_user_sgpr_dispatch_ptr 0
		.amdhsa_user_sgpr_queue_ptr 0
		.amdhsa_user_sgpr_kernarg_segment_ptr 1
		.amdhsa_user_sgpr_dispatch_id 0
		.amdhsa_user_sgpr_flat_scratch_init 0
		.amdhsa_user_sgpr_private_segment_size 0
		.amdhsa_wavefront_size32 1
		.amdhsa_uses_dynamic_stack 0
		.amdhsa_system_sgpr_private_segment_wavefront_offset 0
		.amdhsa_system_sgpr_workgroup_id_x 1
		.amdhsa_system_sgpr_workgroup_id_y 1
		.amdhsa_system_sgpr_workgroup_id_z 1
		.amdhsa_system_sgpr_workgroup_info 0
		.amdhsa_system_vgpr_workitem_id 0
		.amdhsa_next_free_vgpr 93
		.amdhsa_next_free_sgpr 38
		.amdhsa_reserve_vcc 1
		.amdhsa_reserve_flat_scratch 0
		.amdhsa_float_round_mode_32 0
		.amdhsa_float_round_mode_16_64 0
		.amdhsa_float_denorm_mode_32 3
		.amdhsa_float_denorm_mode_16_64 3
		.amdhsa_dx10_clamp 1
		.amdhsa_ieee_mode 1
		.amdhsa_fp16_overflow 0
		.amdhsa_workgroup_processor_mode 1
		.amdhsa_memory_ordered 1
		.amdhsa_forward_progress 1
		.amdhsa_shared_vgpr_count 0
		.amdhsa_exception_fp_ieee_invalid_op 0
		.amdhsa_exception_fp_denorm_src 0
		.amdhsa_exception_fp_ieee_div_zero 0
		.amdhsa_exception_fp_ieee_overflow 0
		.amdhsa_exception_fp_ieee_underflow 0
		.amdhsa_exception_fp_ieee_inexact 0
		.amdhsa_exception_int_div_zero 0
	.end_amdhsa_kernel
	.section	.text._ZN4vllm25paged_attention_v1_kernelIffLi112ELi16ELi128ELNS_18Fp8KVCacheDataTypeE0ELb1EEEvPT_PKS2_PKT0_S8_ifPKiSA_iPKfiiiSC_SC_iiiii,"axG",@progbits,_ZN4vllm25paged_attention_v1_kernelIffLi112ELi16ELi128ELNS_18Fp8KVCacheDataTypeE0ELb1EEEvPT_PKS2_PKT0_S8_ifPKiSA_iPKfiiiSC_SC_iiiii,comdat
.Lfunc_end22:
	.size	_ZN4vllm25paged_attention_v1_kernelIffLi112ELi16ELi128ELNS_18Fp8KVCacheDataTypeE0ELb1EEEvPT_PKS2_PKT0_S8_ifPKiSA_iPKfiiiSC_SC_iiiii, .Lfunc_end22-_ZN4vllm25paged_attention_v1_kernelIffLi112ELi16ELi128ELNS_18Fp8KVCacheDataTypeE0ELb1EEEvPT_PKS2_PKT0_S8_ifPKiSA_iPKfiiiSC_SC_iiiii
                                        ; -- End function
	.set _ZN4vllm25paged_attention_v1_kernelIffLi112ELi16ELi128ELNS_18Fp8KVCacheDataTypeE0ELb1EEEvPT_PKS2_PKT0_S8_ifPKiSA_iPKfiiiSC_SC_iiiii.num_vgpr, 93
	.set _ZN4vllm25paged_attention_v1_kernelIffLi112ELi16ELi128ELNS_18Fp8KVCacheDataTypeE0ELb1EEEvPT_PKS2_PKT0_S8_ifPKiSA_iPKfiiiSC_SC_iiiii.num_agpr, 0
	.set _ZN4vllm25paged_attention_v1_kernelIffLi112ELi16ELi128ELNS_18Fp8KVCacheDataTypeE0ELb1EEEvPT_PKS2_PKT0_S8_ifPKiSA_iPKfiiiSC_SC_iiiii.numbered_sgpr, 38
	.set _ZN4vllm25paged_attention_v1_kernelIffLi112ELi16ELi128ELNS_18Fp8KVCacheDataTypeE0ELb1EEEvPT_PKS2_PKT0_S8_ifPKiSA_iPKfiiiSC_SC_iiiii.num_named_barrier, 0
	.set _ZN4vllm25paged_attention_v1_kernelIffLi112ELi16ELi128ELNS_18Fp8KVCacheDataTypeE0ELb1EEEvPT_PKS2_PKT0_S8_ifPKiSA_iPKfiiiSC_SC_iiiii.private_seg_size, 0
	.set _ZN4vllm25paged_attention_v1_kernelIffLi112ELi16ELi128ELNS_18Fp8KVCacheDataTypeE0ELb1EEEvPT_PKS2_PKT0_S8_ifPKiSA_iPKfiiiSC_SC_iiiii.uses_vcc, 1
	.set _ZN4vllm25paged_attention_v1_kernelIffLi112ELi16ELi128ELNS_18Fp8KVCacheDataTypeE0ELb1EEEvPT_PKS2_PKT0_S8_ifPKiSA_iPKfiiiSC_SC_iiiii.uses_flat_scratch, 0
	.set _ZN4vllm25paged_attention_v1_kernelIffLi112ELi16ELi128ELNS_18Fp8KVCacheDataTypeE0ELb1EEEvPT_PKS2_PKT0_S8_ifPKiSA_iPKfiiiSC_SC_iiiii.has_dyn_sized_stack, 0
	.set _ZN4vllm25paged_attention_v1_kernelIffLi112ELi16ELi128ELNS_18Fp8KVCacheDataTypeE0ELb1EEEvPT_PKS2_PKT0_S8_ifPKiSA_iPKfiiiSC_SC_iiiii.has_recursion, 0
	.set _ZN4vllm25paged_attention_v1_kernelIffLi112ELi16ELi128ELNS_18Fp8KVCacheDataTypeE0ELb1EEEvPT_PKS2_PKT0_S8_ifPKiSA_iPKfiiiSC_SC_iiiii.has_indirect_call, 0
	.section	.AMDGPU.csdata,"",@progbits
; Kernel info:
; codeLenInByte = 7628
; TotalNumSgprs: 40
; NumVgprs: 93
; ScratchSize: 0
; MemoryBound: 0
; FloatMode: 240
; IeeeMode: 1
; LDSByteSize: 480 bytes/workgroup (compile time only)
; SGPRBlocks: 0
; VGPRBlocks: 11
; NumSGPRsForWavesPerEU: 40
; NumVGPRsForWavesPerEU: 93
; Occupancy: 10
; WaveLimiterHint : 1
; COMPUTE_PGM_RSRC2:SCRATCH_EN: 0
; COMPUTE_PGM_RSRC2:USER_SGPR: 6
; COMPUTE_PGM_RSRC2:TRAP_HANDLER: 0
; COMPUTE_PGM_RSRC2:TGID_X_EN: 1
; COMPUTE_PGM_RSRC2:TGID_Y_EN: 1
; COMPUTE_PGM_RSRC2:TGID_Z_EN: 1
; COMPUTE_PGM_RSRC2:TIDIG_COMP_CNT: 0
	.section	.text._ZN4vllm25paged_attention_v1_kernelIffLi120ELi16ELi128ELNS_18Fp8KVCacheDataTypeE0ELb1EEEvPT_PKS2_PKT0_S8_ifPKiSA_iPKfiiiSC_SC_iiiii,"axG",@progbits,_ZN4vllm25paged_attention_v1_kernelIffLi120ELi16ELi128ELNS_18Fp8KVCacheDataTypeE0ELb1EEEvPT_PKS2_PKT0_S8_ifPKiSA_iPKfiiiSC_SC_iiiii,comdat
	.protected	_ZN4vllm25paged_attention_v1_kernelIffLi120ELi16ELi128ELNS_18Fp8KVCacheDataTypeE0ELb1EEEvPT_PKS2_PKT0_S8_ifPKiSA_iPKfiiiSC_SC_iiiii ; -- Begin function _ZN4vllm25paged_attention_v1_kernelIffLi120ELi16ELi128ELNS_18Fp8KVCacheDataTypeE0ELb1EEEvPT_PKS2_PKT0_S8_ifPKiSA_iPKfiiiSC_SC_iiiii
	.globl	_ZN4vllm25paged_attention_v1_kernelIffLi120ELi16ELi128ELNS_18Fp8KVCacheDataTypeE0ELb1EEEvPT_PKS2_PKT0_S8_ifPKiSA_iPKfiiiSC_SC_iiiii
	.p2align	8
	.type	_ZN4vllm25paged_attention_v1_kernelIffLi120ELi16ELi128ELNS_18Fp8KVCacheDataTypeE0ELb1EEEvPT_PKS2_PKT0_S8_ifPKiSA_iPKfiiiSC_SC_iiiii,@function
_ZN4vllm25paged_attention_v1_kernelIffLi120ELi16ELi128ELNS_18Fp8KVCacheDataTypeE0ELb1EEEvPT_PKS2_PKT0_S8_ifPKiSA_iPKfiiiSC_SC_iiiii: ; @_ZN4vllm25paged_attention_v1_kernelIffLi120ELi16ELi128ELNS_18Fp8KVCacheDataTypeE0ELb1EEEvPT_PKS2_PKT0_S8_ifPKiSA_iPKfiiiSC_SC_iiiii
; %bb.0:
	s_clause 0x2
	s_load_dword s9, s[4:5], 0x80
	s_load_dwordx2 s[0:1], s[4:5], 0x30
	s_load_dwordx2 s[28:29], s[4:5], 0x20
	s_mov_b32 s10, s7
	s_ashr_i32 s11, s7, 31
	s_mov_b32 s33, 0
	s_lshl_b64 s[2:3], s[10:11], 2
	s_waitcnt lgkmcnt(0)
	s_add_u32 s0, s0, s2
	s_addc_u32 s1, s1, s3
	s_abs_i32 s2, s28
	s_abs_i32 s11, s9
	v_cvt_f32_u32_e32 v1, s2
	s_sub_i32 s7, 0, s2
	v_rcp_iflag_f32_e32 v1, v1
	v_mul_f32_e32 v1, 0x4f7ffffe, v1
	v_cvt_u32_f32_e32 v1, v1
	v_readfirstlane_b32 s3, v1
	s_mul_i32 s7, s7, s3
	s_mul_hi_u32 s7, s3, s7
	s_add_i32 s3, s3, s7
	s_xor_b32 s7, s9, s28
	s_mul_hi_u32 s3, s11, s3
	s_ashr_i32 s7, s7, 31
	s_mul_i32 s12, s3, s2
	s_sub_i32 s11, s11, s12
	s_add_i32 s12, s3, 1
	s_sub_i32 s13, s11, s2
	s_cmp_ge_u32 s11, s2
	s_cselect_b32 s3, s12, s3
	s_cselect_b32 s11, s13, s11
	s_add_i32 s12, s3, 1
	s_cmp_ge_u32 s11, s2
	s_cselect_b32 s2, s12, s3
	s_abs_i32 s22, s6
	s_xor_b32 s2, s2, s7
	s_sub_i32 s16, s2, s7
	s_load_dwordx2 s[2:3], s[4:5], 0x40
	s_abs_i32 s11, s16
	v_cvt_f32_u32_e32 v1, s11
	s_sub_i32 s12, 0, s11
	v_rcp_iflag_f32_e32 v1, v1
	v_mul_f32_e32 v1, 0x4f7ffffe, v1
	v_cvt_u32_f32_e32 v1, v1
	v_readfirstlane_b32 s7, v1
	s_mul_i32 s12, s12, s7
	s_mul_hi_u32 s12, s7, s12
	s_add_i32 s7, s7, s12
	s_waitcnt lgkmcnt(0)
	s_cmp_eq_u64 s[2:3], 0
	s_mul_hi_u32 s23, s22, s7
	s_cbranch_scc1 .LBB23_2
; %bb.1:
	s_ashr_i32 s7, s6, 31
	s_lshl_b64 s[12:13], s[6:7], 2
	s_add_u32 s2, s2, s12
	s_addc_u32 s3, s3, s13
	s_load_dword s33, s[2:3], 0x0
.LBB23_2:
	s_load_dword s30, s[0:1], 0x0
	s_load_dwordx4 s[12:15], s[4:5], 0x48
	v_and_b32_e32 v1, 1, v0
	v_lshlrev_b32_e32 v2, 3, v0
	v_lshlrev_b32_e32 v3, 2, v0
	s_ashr_i32 s0, s6, 31
	s_ashr_i32 s1, s16, 31
	s_mul_i32 s20, s6, 0x78
	s_mov_b32 s2, exec_lo
	v_cmpx_gt_u32_e32 60, v0
	s_cbranch_execz .LBB23_4
; %bb.3:
	s_load_dwordx2 s[16:17], s[4:5], 0x8
	s_waitcnt lgkmcnt(0)
	s_mul_i32 s18, s12, s10
	v_and_b32_e32 v6, 0xff8, v3
	s_ashr_i32 s19, s18, 31
	s_lshl_b64 s[18:19], s[18:19], 2
	v_mad_u32_u24 v6, 0xf0, v1, v6
	s_add_u32 s3, s16, s18
	s_addc_u32 s7, s17, s19
	s_ashr_i32 s21, s20, 31
	s_lshl_b64 s[16:17], s[20:21], 2
	s_add_u32 s16, s3, s16
	s_addc_u32 s17, s7, s17
	global_load_dwordx2 v[4:5], v2, s[16:17]
	s_waitcnt vmcnt(0)
	ds_write_b64 v6, v[4:5]
.LBB23_4:
	s_or_b32 exec_lo, exec_lo, s2
	s_load_dwordx4 s[16:19], s[4:5], 0x68
	s_mul_i32 s2, s23, s11
	s_xor_b32 s1, s0, s1
	s_sub_i32 s0, s22, s2
	s_add_i32 s2, s23, 1
	s_sub_i32 s3, s0, s11
	s_cmp_ge_u32 s0, s11
	s_waitcnt lgkmcnt(0)
	s_cselect_b32 s2, s2, s23
	s_cselect_b32 s0, s3, s0
	s_add_i32 s3, s2, 1
	s_cmp_ge_u32 s0, s11
	s_load_dword s0, s[4:5], 0x78
	s_cselect_b32 s2, s3, s2
	s_add_i32 s7, s30, -1
	s_xor_b32 s2, s2, s1
	s_abs_i32 s3, s7
	s_sub_i32 s1, s2, s1
	s_mov_b32 s11, -1
	s_barrier
	s_abs_i32 s12, s19
	s_waitcnt lgkmcnt(0)
	buffer_gl0_inv
	v_cvt_f32_u32_e32 v4, s12
	s_sub_i32 s2, 0, s12
                                        ; implicit-def: $sgpr31
	v_rcp_iflag_f32_e32 v4, v4
	v_mul_f32_e32 v4, 0x4f7ffffe, v4
	v_cvt_u32_f32_e32 v4, v4
	v_readfirstlane_b32 s21, v4
	s_mul_i32 s2, s2, s21
	s_mul_hi_u32 s2, s21, s2
	s_add_i32 s21, s21, s2
	s_cmp_lt_i32 s0, 0
	s_mul_hi_u32 s2, s3, s21
	s_cbranch_scc0 .LBB23_6
; %bb.5:
	s_mul_i32 s11, s16, s28
	s_add_i32 s11, s1, s11
	s_mul_i32 s11, s11, s0
	s_sub_i32 s31, 1, s11
	s_mov_b32 s11, 0
.LBB23_6:
	s_load_dwordx2 s[22:23], s[4:5], 0x28
	s_ashr_i32 s7, s7, 31
	s_andn2_b32 vcc_lo, exec_lo, s11
	s_ashr_i32 s19, s19, 31
	s_cbranch_vccnz .LBB23_8
; %bb.7:
	s_mul_i32 s11, s9, s16
	s_add_i32 s6, s11, s6
	s_mul_i32 s0, s6, s0
	s_add_i32 s31, s0, 1
.LBB23_8:
	s_load_dword s0, s[4:5], 0x38
	s_mul_i32 s6, s2, s12
	s_xor_b32 s15, s7, s19
	s_sub_i32 s3, s3, s6
	s_add_i32 s16, s2, 1
	s_clause 0x2
	s_load_dwordx2 s[6:7], s[4:5], 0x0
	s_load_dwordx2 s[26:27], s[4:5], 0x18
	s_load_dword s11, s[4:5], 0x88
	v_lshrrev_b32_e32 v67, 5, v0
	v_mov_b32_e32 v6, 0xff7fffff
	v_lshrrev_b32_e32 v4, 3, v0
	v_mbcnt_lo_u32_b32 v5, -1, 0
	s_mul_i32 s14, s1, s14
	v_lshlrev_b32_e32 v68, 4, v67
	s_waitcnt lgkmcnt(0)
	s_mul_i32 s24, s0, s10
	s_sub_i32 s0, s3, s12
	s_ashr_i32 s25, s24, 31
	s_cmp_ge_u32 s3, s12
	s_cselect_b32 s2, s16, s2
	s_cselect_b32 s0, s0, s3
	s_add_i32 s3, s2, 1
	s_cmp_ge_u32 s0, s12
	s_cselect_b32 s0, s3, s2
	s_add_i32 s2, s30, 15
	s_ashr_i32 s3, s2, 31
	s_lshr_b32 s3, s3, 28
	s_add_i32 s2, s2, s3
	s_ashr_i32 s16, s2, 4
	s_xor_b32 s2, s0, s15
	v_cmp_gt_i32_e64 s0, s16, v67
	s_sub_i32 s28, s2, s15
	s_and_saveexec_b32 s34, s0
	s_cbranch_execz .LBB23_20
; %bb.9:
	s_load_dwordx2 s[2:3], s[4:5], 0x10
	s_ashr_i32 s15, s14, 31
	s_sub_i32 s4, s28, s17
	s_lshl_b64 s[36:37], s[14:15], 2
	v_bfe_u32 v7, v0, 1, 4
	v_and_b32_e32 v14, 8, v2
	v_cmp_eq_u32_e32 vcc_lo, 0, v1
	v_mul_u32_u24_e32 v8, 0xf0, v1
	v_and_b32_e32 v1, 0x7c, v4
	v_lshlrev_b32_e32 v2, 2, v7
	v_subrev_nc_u32_e32 v13, s30, v7
	v_lshlrev_b32_e32 v15, 4, v7
	v_cmp_neq_f32_e64 s1, s33, 0
	v_lshlrev_b32_e32 v9, 4, v67
	v_lshl_or_b32 v2, v67, 6, v2
	v_mov_b32_e32 v10, 0xff7fffff
	v_xor_b32_e32 v11, 1, v5
	s_waitcnt lgkmcnt(0)
	s_add_u32 s15, s2, s36
	s_addc_u32 s35, s3, s37
	s_abs_i32 s5, s18
	v_add_co_u32 v15, s15, s15, v15
	v_cvt_f32_u32_e32 v6, s5
	s_sub_i32 s2, 0, s5
	v_add_co_ci_u32_e64 v17, null, s35, 0, s15
	s_mov_b32 s15, 0
	v_rcp_iflag_f32_e32 v6, v6
	s_mov_b32 s35, s13
	v_mul_f32_e32 v12, 0x4f7ffffe, v6
	v_mov_b32_e32 v6, 0xff7fffff
	v_cvt_u32_f32_e32 v16, v12
	v_add_nc_u32_e32 v12, 1, v13
	v_add_nc_u32_e32 v13, 0x200, v2
	v_mul_lo_u32 v2, s2, v16
	s_lshl_b64 s[2:3], s[24:25], 2
	s_add_u32 s2, s22, s2
	s_addc_u32 s3, s23, s3
	v_add_co_u32 v1, s2, s2, v1
	v_mul_hi_u32 v18, v16, v2
	v_add_co_ci_u32_e64 v2, null, s3, 0, s2
	v_add_co_u32 v14, s2, v15, v14
	v_add_co_ci_u32_e64 v15, null, 0, v17, s2
	v_mov_b32_e32 v17, v67
	v_add_nc_u32_e32 v16, v16, v18
	s_branch .LBB23_12
.LBB23_10:                              ;   in Loop: Header=BB23_12 Depth=1
	s_or_b32 exec_lo, exec_lo, s36
.LBB23_11:                              ;   in Loop: Header=BB23_12 Depth=1
	s_or_b32 exec_lo, exec_lo, s3
	v_add_nc_u32_e32 v17, 4, v17
	v_add_co_u32 v1, s3, v1, 16
	v_add_co_ci_u32_e64 v2, null, 0, v2, s3
	v_cmp_le_i32_e64 s2, s16, v17
	v_add_nc_u32_e32 v9, 64, v9
	v_add_nc_u32_e32 v13, 0x100, v13
	s_or_b32 s15, s2, s15
	s_andn2_b32 exec_lo, exec_lo, s15
	s_cbranch_execz .LBB23_19
.LBB23_12:                              ; =>This Inner Loop Header: Depth=1
	v_mul_hi_u32 v18, v9, s21
	s_waitcnt lgkmcnt(0)
	v_mul_lo_u32 v19, v18, s12
	v_add_nc_u32_e32 v20, 1, v18
	v_sub_nc_u32_e32 v19, v9, v19
	v_subrev_nc_u32_e32 v21, s12, v19
	v_cmp_le_u32_e64 s2, s12, v19
	v_cndmask_b32_e64 v18, v18, v20, s2
	v_cndmask_b32_e64 v19, v19, v21, s2
	v_add_nc_u32_e32 v20, 1, v18
	v_cmp_le_u32_e64 s2, s12, v19
	v_cndmask_b32_e64 v18, v18, v20, s2
	v_xor_b32_e32 v18, s19, v18
	v_subrev_nc_u32_e32 v18, s19, v18
	v_add_nc_u32_e32 v19, s31, v18
	v_cmp_ge_i32_e64 s3, s4, v18
	v_sub_nc_u32_e32 v20, 0, v19
	v_max_i32_e32 v20, v19, v20
	v_ashrrev_i32_e32 v19, 31, v19
	v_mul_hi_u32 v21, v20, v16
	v_mul_lo_u32 v21, v21, s5
	v_sub_nc_u32_e32 v20, v20, v21
	v_subrev_nc_u32_e32 v21, s5, v20
	v_cmp_le_u32_e64 s2, s5, v20
	v_cndmask_b32_e64 v20, v20, v21, s2
	v_subrev_nc_u32_e32 v21, s5, v20
	v_cmp_le_u32_e64 s2, s5, v20
	v_cndmask_b32_e64 v20, v20, v21, s2
	v_xor_b32_e32 v20, v20, v19
	v_sub_nc_u32_e32 v19, v20, v19
	v_cmp_ne_u32_e64 s2, 0, v19
	s_and_b32 s2, s2, s3
	s_and_saveexec_b32 s3, s2
	s_xor_b32 s2, exec_lo, s3
	s_cbranch_execz .LBB23_16
; %bb.13:                               ;   in Loop: Header=BB23_12 Depth=1
	s_and_saveexec_b32 s3, vcc_lo
; %bb.14:                               ;   in Loop: Header=BB23_12 Depth=1
	ds_write_b32 v13, v10
; %bb.15:                               ;   in Loop: Header=BB23_12 Depth=1
	s_or_b32 exec_lo, exec_lo, s3
.LBB23_16:                              ;   in Loop: Header=BB23_12 Depth=1
	s_andn2_saveexec_b32 s3, s2
	s_cbranch_execz .LBB23_11
; %bb.17:                               ;   in Loop: Header=BB23_12 Depth=1
	global_load_dword v18, v[1:2], off
	s_waitcnt vmcnt(0)
	v_mad_i64_i32 v[18:19], null, v18, s35, 0
	v_lshlrev_b64 v[18:19], 2, v[18:19]
	v_add_co_u32 v18, s2, v14, v18
	v_add_co_ci_u32_e64 v19, null, v15, v19, s2
	s_clause 0x7
	global_load_dwordx2 v[30:31], v[18:19], off offset:256
	global_load_dwordx2 v[32:33], v[18:19], off offset:512
	global_load_dwordx2 v[34:35], v[18:19], off offset:768
	global_load_dwordx2 v[36:37], v[18:19], off
	global_load_dwordx2 v[38:39], v[18:19], off offset:1024
	global_load_dwordx2 v[40:41], v[18:19], off offset:1280
	global_load_dwordx2 v[42:43], v[18:19], off offset:1536
	global_load_dwordx2 v[44:45], v[18:19], off offset:1792
	v_add_co_u32 v20, s2, v18, 0x1000
	v_add_co_ci_u32_e64 v21, null, 0, v19, s2
	v_add_co_u32 v22, s2, 0x800, v18
	v_add_co_ci_u32_e64 v23, null, 0, v19, s2
	s_clause 0x7
	global_load_dwordx2 v[46:47], v[20:21], off offset:-2048
	global_load_dwordx2 v[48:49], v[22:23], off offset:256
	global_load_dwordx2 v[50:51], v[22:23], off offset:512
	;; [unrolled: 1-line block ×7, first 2 shown]
	v_add_co_u32 v22, s2, 0x1000, v18
	v_add_co_ci_u32_e64 v23, null, 0, v19, s2
	s_clause 0x6
	global_load_dwordx2 v[62:63], v[20:21], off
	global_load_dwordx2 v[64:65], v[22:23], off offset:256
	global_load_dwordx2 v[69:70], v[22:23], off offset:512
	;; [unrolled: 1-line block ×6, first 2 shown]
	v_add_co_u32 v18, s2, 0x1800, v18
	v_add_co_ci_u32_e64 v19, null, 0, v19, s2
	s_clause 0x6
	global_load_dwordx2 v[79:80], v[22:23], off offset:1792
	global_load_dwordx2 v[81:82], v[18:19], off
	global_load_dwordx2 v[83:84], v[18:19], off offset:256
	global_load_dwordx2 v[85:86], v[18:19], off offset:512
	;; [unrolled: 1-line block ×5, first 2 shown]
	ds_read_b128 v[18:21], v8
	ds_read_b128 v[22:25], v8 offset:16
	ds_read_b128 v[26:29], v8 offset:32
	v_cmp_gt_i32_e64 s2, 32, v11
	s_waitcnt vmcnt(29) lgkmcnt(2)
	v_mul_f32_e32 v30, v20, v30
	v_mul_f32_e32 v31, v21, v31
	s_waitcnt vmcnt(26)
	v_fmac_f32_e32 v30, v18, v36
	v_fmac_f32_e32 v31, v19, v37
	ds_read_b128 v[18:21], v8 offset:48
	s_waitcnt lgkmcnt(2)
	v_fmac_f32_e32 v30, v22, v32
	v_fmac_f32_e32 v31, v23, v33
	;; [unrolled: 1-line block ×4, first 2 shown]
	ds_read_b128 v[22:25], v8 offset:64
	s_waitcnt vmcnt(25) lgkmcnt(2)
	v_fmac_f32_e32 v30, v26, v38
	v_fmac_f32_e32 v31, v27, v39
	s_waitcnt vmcnt(24)
	v_fmac_f32_e32 v30, v28, v40
	v_fmac_f32_e32 v31, v29, v41
	ds_read_b128 v[26:29], v8 offset:80
	s_waitcnt vmcnt(23) lgkmcnt(2)
	v_fmac_f32_e32 v30, v18, v42
	v_fmac_f32_e32 v31, v19, v43
	s_waitcnt vmcnt(22)
	v_fmac_f32_e32 v30, v20, v44
	v_fmac_f32_e32 v31, v21, v45
	;; [unrolled: 7-line block ×10, first 2 shown]
	ds_read_b128 v[26:29], v8 offset:224
	s_waitcnt vmcnt(5) lgkmcnt(2)
	v_fmac_f32_e32 v30, v18, v81
	v_fmac_f32_e32 v31, v19, v82
	v_cndmask_b32_e64 v18, v5, v11, s2
	s_waitcnt vmcnt(4)
	v_fmac_f32_e32 v30, v83, v20
	v_fmac_f32_e32 v31, v84, v21
	v_lshlrev_b32_e32 v19, 2, v18
	s_waitcnt vmcnt(3) lgkmcnt(1)
	v_fmac_f32_e32 v30, v85, v22
	v_fmac_f32_e32 v31, v86, v23
	s_waitcnt vmcnt(2)
	v_fmac_f32_e32 v30, v87, v24
	v_fmac_f32_e32 v31, v88, v25
	s_waitcnt vmcnt(1) lgkmcnt(0)
	v_fmac_f32_e32 v30, v89, v26
	v_fmac_f32_e32 v31, v90, v27
	s_waitcnt vmcnt(0)
	v_fmac_f32_e32 v30, v91, v28
	v_fmac_f32_e32 v31, v92, v29
	v_add_f32_e32 v18, v30, v31
	ds_bpermute_b32 v19, v19, v18
	s_and_saveexec_b32 s36, vcc_lo
	s_cbranch_execz .LBB23_10
; %bb.18:                               ;   in Loop: Header=BB23_12 Depth=1
	v_add_nc_u32_e32 v20, v12, v9
	s_waitcnt lgkmcnt(0)
	v_add_f32_e32 v18, v18, v19
	v_cvt_f32_i32_e32 v20, v20
	v_mul_f32_e32 v20, s33, v20
	v_cndmask_b32_e64 v19, 0, v20, s1
	v_max_f32_e32 v20, v6, v6
	v_fmac_f32_e32 v19, s29, v18
	v_add_nc_u32_e32 v18, v7, v9
	v_max_f32_e32 v20, v20, v19
	v_cmp_gt_i32_e64 s2, s30, v18
	v_cndmask_b32_e64 v18, 0, v19, s2
	v_cndmask_b32_e64 v6, v6, v20, s2
	ds_write_b32 v13, v18
	s_branch .LBB23_10
.LBB23_19:
	s_or_b32 exec_lo, exec_lo, s15
.LBB23_20:
	s_or_b32 exec_lo, exec_lo, s34
	v_xor_b32_e32 v1, 16, v5
	v_xor_b32_e32 v7, 8, v5
	v_max_f32_e32 v8, v6, v6
	v_and_b32_e32 v69, 31, v0
	v_cmp_gt_i32_e32 vcc_lo, 32, v1
	v_cndmask_b32_e32 v1, v5, v1, vcc_lo
	v_cmp_gt_i32_e32 vcc_lo, 32, v7
	v_lshlrev_b32_e32 v1, 2, v1
	ds_bpermute_b32 v2, v1, v6
	v_cndmask_b32_e32 v6, v5, v7, vcc_lo
	v_lshlrev_b32_e32 v6, 2, v6
	s_waitcnt lgkmcnt(0)
	v_max_f32_e32 v2, v2, v2
	v_max_f32_e32 v2, v8, v2
	v_xor_b32_e32 v8, 4, v5
	ds_bpermute_b32 v7, v6, v2
	v_cmp_gt_i32_e32 vcc_lo, 32, v8
	v_cndmask_b32_e32 v8, v5, v8, vcc_lo
	s_waitcnt lgkmcnt(0)
	v_max_f32_e32 v9, v7, v7
	v_lshlrev_b32_e32 v7, 2, v8
	v_max_f32_e32 v2, v2, v9
	v_xor_b32_e32 v9, 2, v5
	ds_bpermute_b32 v8, v7, v2
	v_cmp_gt_i32_e32 vcc_lo, 32, v9
	v_cndmask_b32_e32 v9, v5, v9, vcc_lo
	v_cmp_eq_u32_e32 vcc_lo, 0, v69
	v_lshlrev_b32_e32 v70, 2, v9
	s_waitcnt lgkmcnt(0)
	v_max_f32_e32 v8, v8, v8
	v_max_f32_e32 v2, v2, v8
	v_lshlrev_b32_e32 v8, 2, v67
	ds_bpermute_b32 v9, v70, v2
	s_and_saveexec_b32 s1, vcc_lo
	s_cbranch_execz .LBB23_22
; %bb.21:
	s_waitcnt lgkmcnt(0)
	v_max_f32_e32 v9, v9, v9
	v_max_f32_e32 v2, v2, v2
	;; [unrolled: 1-line block ×3, first 2 shown]
	ds_write_b32 v8, v2 offset:480
.LBB23_22:
	s_or_b32 exec_lo, exec_lo, s1
	v_cmp_gt_u32_e64 s1, 4, v69
	v_mov_b32_e32 v2, 0xff7fffff
	s_waitcnt lgkmcnt(0)
	v_lshlrev_b32_e32 v9, 2, v69
	s_barrier
	buffer_gl0_inv
	s_and_saveexec_b32 s2, s1
; %bb.23:
	ds_read_b32 v2, v9 offset:480
; %bb.24:
	s_or_b32 exec_lo, exec_lo, s2
	s_waitcnt lgkmcnt(0)
	ds_bpermute_b32 v10, v70, v2
	v_xor_b32_e32 v11, 1, v5
	v_max_f32_e32 v2, v2, v2
	v_cmp_gt_i32_e64 s2, 32, v11
	v_cndmask_b32_e64 v5, v5, v11, s2
	s_lshl_b32 s2, s16, 4
	s_min_i32 s4, s2, s30
	v_lshlrev_b32_e32 v71, 2, v5
	v_cmp_gt_i32_e64 s2, s4, v0
	s_waitcnt lgkmcnt(0)
	v_max_f32_e32 v10, v10, v10
	v_max_f32_e32 v2, v2, v10
	ds_bpermute_b32 v5, v71, v2
	s_waitcnt lgkmcnt(0)
	v_max_f32_e32 v5, v5, v5
	v_max_f32_e32 v2, v2, v5
	v_mov_b32_e32 v5, 0
	ds_bpermute_b32 v10, v5, v2
	v_lshl_add_u32 v2, v0, 2, 0x200
	s_and_saveexec_b32 s5, s2
	s_cbranch_execz .LBB23_28
; %bb.25:
	v_lshl_add_u32 v11, v0, 2, 0x200
	v_mov_b32_e32 v5, 0
	v_mov_b32_e32 v12, v0
	s_mov_b32 s15, 0
	.p2align	6
.LBB23_26:                              ; =>This Inner Loop Header: Depth=1
	ds_read_b32 v13, v11
	v_add_nc_u32_e32 v12, 0x80, v12
	v_cmp_le_i32_e64 s3, s4, v12
	s_or_b32 s15, s3, s15
	s_waitcnt lgkmcnt(0)
	v_sub_f32_e32 v13, v13, v10
	v_mul_f32_e32 v13, 0x3fb8aa3b, v13
	v_exp_f32_e32 v13, v13
	ds_write_b32 v11, v13
	v_add_f32_e32 v5, v5, v13
	v_add_nc_u32_e32 v11, 0x200, v11
	s_andn2_b32 exec_lo, exec_lo, s15
	s_cbranch_execnz .LBB23_26
; %bb.27:
	s_or_b32 exec_lo, exec_lo, s15
.LBB23_28:
	s_or_b32 exec_lo, exec_lo, s5
	ds_bpermute_b32 v1, v1, v5
	s_waitcnt lgkmcnt(0)
	v_add_f32_e32 v1, v5, v1
	ds_bpermute_b32 v5, v6, v1
	s_waitcnt lgkmcnt(0)
	v_add_f32_e32 v1, v1, v5
	;; [unrolled: 3-line block ×5, first 2 shown]
	s_and_saveexec_b32 s3, vcc_lo
; %bb.29:
	ds_write_b32 v8, v1 offset:496
; %bb.30:
	s_or_b32 exec_lo, exec_lo, s3
	s_waitcnt lgkmcnt(0)
	s_barrier
	buffer_gl0_inv
	s_and_saveexec_b32 s3, s1
; %bb.31:
	ds_read_b32 v1, v9 offset:496
; %bb.32:
	s_or_b32 exec_lo, exec_lo, s3
	s_waitcnt lgkmcnt(0)
	ds_bpermute_b32 v5, v70, v1
	s_waitcnt lgkmcnt(0)
	v_add_f32_e32 v1, v1, v5
	ds_bpermute_b32 v5, v71, v1
	s_waitcnt lgkmcnt(0)
	v_add_f32_e32 v1, v1, v5
	v_mov_b32_e32 v5, 0
	ds_bpermute_b32 v1, v5, v1
	s_and_saveexec_b32 s1, s2
	s_cbranch_execz .LBB23_35
; %bb.33:
	s_waitcnt lgkmcnt(0)
	v_add_f32_e32 v1, 0x358637bd, v1
	s_mov_b32 s2, 0
	v_div_scale_f32 v5, null, v1, v1, 1.0
	v_div_scale_f32 v8, vcc_lo, 1.0, v1, 1.0
	v_rcp_f32_e32 v6, v5
	v_fma_f32 v7, -v5, v6, 1.0
	v_fmac_f32_e32 v6, v7, v6
	v_mul_f32_e32 v7, v8, v6
	v_fma_f32 v9, -v5, v7, v8
	v_fmac_f32_e32 v7, v9, v6
	v_fma_f32 v5, -v5, v7, v8
	v_div_fmas_f32 v5, v5, v6, v7
	v_div_fixup_f32 v1, v5, v1, 1.0
	v_mov_b32_e32 v5, v0
.LBB23_34:                              ; =>This Inner Loop Header: Depth=1
	ds_read_b32 v6, v2
	v_add_nc_u32_e32 v5, 0x80, v5
	v_cmp_le_i32_e32 vcc_lo, s4, v5
	s_or_b32 s2, vcc_lo, s2
	s_waitcnt lgkmcnt(0)
	v_mul_f32_e32 v6, v1, v6
	ds_write_b32 v2, v6
	v_add_nc_u32_e32 v2, 0x200, v2
	s_andn2_b32 exec_lo, exec_lo, s2
	s_cbranch_execnz .LBB23_34
.LBB23_35:
	s_or_b32 exec_lo, exec_lo, s1
	v_mov_b32_e32 v87, 0
	v_and_b32_e32 v72, 3, v0
	v_mov_b32_e32 v86, 0
	v_mov_b32_e32 v85, 0
	;; [unrolled: 1-line block ×14, first 2 shown]
	s_waitcnt lgkmcnt(0)
	s_barrier
	buffer_gl0_inv
	s_and_saveexec_b32 s3, s0
	s_cbranch_execz .LBB23_71
; %bb.36:
	s_ashr_i32 s15, s14, 31
	s_sub_i32 s4, s28, s17
	s_lshl_b64 s[0:1], s[14:15], 2
	v_lshlrev_b32_e32 v2, 4, v0
	s_add_u32 s2, s26, s0
	s_addc_u32 s15, s27, s1
	s_abs_i32 s5, s18
	v_and_b32_e32 v88, 12, v3
	v_cvt_f32_u32_e32 v1, s5
	s_sub_i32 s0, 0, s5
	v_and_b32_e32 v3, 0x7c, v4
	v_lshlrev_b32_e32 v4, 4, v72
	v_and_b32_e32 v2, 0x1f0, v2
	v_rcp_iflag_f32_e32 v1, v1
	s_add_i32 s14, s16, -1
	v_mov_b32_e32 v73, 0
	v_lshl_or_b32 v4, v67, 6, v4
	v_add_co_u32 v89, s2, s2, v2
	v_mov_b32_e32 v74, 0
	v_mov_b32_e32 v75, 0
	;; [unrolled: 1-line block ×4, first 2 shown]
	v_mul_f32_e32 v1, 0x4f7ffffe, v1
	v_mov_b32_e32 v78, 0
	v_mov_b32_e32 v79, 0
	;; [unrolled: 1-line block ×4, first 2 shown]
	v_cvt_u32_f32_e32 v1, v1
	v_mov_b32_e32 v82, 0
	v_mov_b32_e32 v83, 0
	;; [unrolled: 1-line block ×4, first 2 shown]
	v_mul_lo_u32 v5, s0, v1
	s_lshl_b64 s[0:1], s[24:25], 2
	v_mov_b32_e32 v86, 0
	s_add_u32 s0, s22, s0
	s_addc_u32 s1, s23, s1
	v_add_co_u32 v65, s0, s0, v3
	v_mov_b32_e32 v87, 0
	v_mul_hi_u32 v5, v1, v5
	v_add_co_ci_u32_e64 v90, null, s15, 0, s2
	v_add_nc_u32_e32 v91, 0x200, v4
	v_add_co_ci_u32_e64 v66, null, s1, 0, s0
	v_mov_b32_e32 v93, v67
	s_mov_b32 s15, s13
	v_add_nc_u32_e32 v92, v1, v5
	s_mov_b32 s13, 0
	s_branch .LBB23_39
.LBB23_37:                              ;   in Loop: Header=BB23_39 Depth=1
	s_or_b32 exec_lo, exec_lo, s18
	s_waitcnt vmcnt(1) lgkmcnt(0)
	v_mul_f32_e32 v61, v1, v61
	v_mul_f32_e32 v57, v1, v57
	;; [unrolled: 1-line block ×14, first 2 shown]
	s_waitcnt vmcnt(0)
	v_mul_f32_e32 v1, v1, v49
	v_fmac_f32_e32 v61, v2, v62
	v_fmac_f32_e32 v57, v2, v58
	v_fmac_f32_e32 v53, v2, v54
	v_fmac_f32_e32 v45, v2, v46
	v_fmac_f32_e32 v41, v2, v42
	v_fmac_f32_e32 v37, v2, v38
	v_fmac_f32_e32 v33, v2, v34
	v_fmac_f32_e32 v29, v2, v30
	v_fmac_f32_e32 v25, v2, v26
	v_fmac_f32_e32 v21, v2, v22
	v_fmac_f32_e32 v17, v2, v18
	v_fmac_f32_e32 v13, v2, v14
	v_fmac_f32_e32 v9, v2, v10
	v_fmac_f32_e32 v5, v2, v6
	v_fmac_f32_e32 v1, v2, v50
	v_fmac_f32_e32 v61, v3, v63
	v_fmac_f32_e32 v57, v3, v59
	v_fmac_f32_e32 v53, v3, v55
	v_fmac_f32_e32 v45, v3, v47
	v_fmac_f32_e32 v41, v3, v43
	v_fmac_f32_e32 v37, v3, v39
	v_fmac_f32_e32 v33, v3, v35
	v_fmac_f32_e32 v29, v3, v31
	v_fmac_f32_e32 v25, v3, v27
	v_fmac_f32_e32 v21, v3, v23
	v_fmac_f32_e32 v17, v3, v19
	v_fmac_f32_e32 v13, v3, v15
	v_fmac_f32_e32 v9, v3, v11
	v_fmac_f32_e32 v5, v3, v7
	v_fmac_f32_e32 v1, v3, v51
	v_fmac_f32_e32 v61, v4, v64
	v_fmac_f32_e32 v57, v4, v60
	v_fmac_f32_e32 v53, v4, v56
	v_fmac_f32_e32 v45, v4, v48
	v_fmac_f32_e32 v41, v4, v44
	v_fmac_f32_e32 v37, v4, v40
	v_fmac_f32_e32 v33, v4, v36
	v_fmac_f32_e32 v29, v4, v32
	v_fmac_f32_e32 v25, v4, v28
	v_fmac_f32_e32 v21, v4, v24
	v_fmac_f32_e32 v17, v4, v20
	v_fmac_f32_e32 v13, v4, v16
	v_fmac_f32_e32 v9, v4, v12
	v_fmac_f32_e32 v5, v4, v8
	v_fmac_f32_e32 v1, v4, v52
	v_add_f32_e32 v74, v74, v61
	v_add_f32_e32 v75, v75, v57
	;; [unrolled: 1-line block ×15, first 2 shown]
.LBB23_38:                              ;   in Loop: Header=BB23_39 Depth=1
	s_or_b32 exec_lo, exec_lo, s17
	v_add_nc_u32_e32 v93, 4, v93
	v_add_co_u32 v65, s0, v65, 16
	v_add_co_ci_u32_e64 v66, null, 0, v66, s0
	v_cmp_le_i32_e32 vcc_lo, s16, v93
	v_add_nc_u32_e32 v68, 64, v68
	v_add_nc_u32_e32 v91, 0x100, v91
	s_or_b32 s13, vcc_lo, s13
	s_andn2_b32 exec_lo, exec_lo, s13
	s_cbranch_execz .LBB23_70
.LBB23_39:                              ; =>This Inner Loop Header: Depth=1
	v_mul_hi_u32 v1, v68, s21
	v_mul_lo_u32 v2, v1, s12
	v_add_nc_u32_e32 v3, 1, v1
	v_sub_nc_u32_e32 v2, v68, v2
	v_subrev_nc_u32_e32 v4, s12, v2
	v_cmp_le_u32_e32 vcc_lo, s12, v2
	v_cndmask_b32_e32 v1, v1, v3, vcc_lo
	v_cndmask_b32_e32 v2, v2, v4, vcc_lo
	v_add_nc_u32_e32 v3, 1, v1
	v_cmp_le_u32_e32 vcc_lo, s12, v2
	v_cndmask_b32_e32 v1, v1, v3, vcc_lo
	v_xor_b32_e32 v1, s19, v1
	v_subrev_nc_u32_e32 v1, s19, v1
	v_add_nc_u32_e32 v2, s31, v1
	v_cmp_lt_i32_e64 s0, s4, v1
	v_sub_nc_u32_e32 v3, 0, v2
	v_max_i32_e32 v3, v2, v3
	v_ashrrev_i32_e32 v2, 31, v2
	v_mul_hi_u32 v4, v3, v92
	v_mul_lo_u32 v4, v4, s5
	v_sub_nc_u32_e32 v3, v3, v4
	v_subrev_nc_u32_e32 v4, s5, v3
	v_cmp_le_u32_e32 vcc_lo, s5, v3
	v_cndmask_b32_e32 v3, v3, v4, vcc_lo
	v_subrev_nc_u32_e32 v4, s5, v3
	v_cmp_le_u32_e32 vcc_lo, s5, v3
	v_cndmask_b32_e32 v3, v3, v4, vcc_lo
	v_xor_b32_e32 v3, v3, v2
	v_sub_nc_u32_e32 v2, v3, v2
	v_cmp_eq_u32_e32 vcc_lo, 0, v2
	s_or_b32 s0, vcc_lo, s0
	s_and_saveexec_b32 s17, s0
	s_cbranch_execz .LBB23_38
; %bb.40:                               ;   in Loop: Header=BB23_39 Depth=1
	global_load_dword v1, v[65:66], off
	v_add_nc_u32_e32 v94, v88, v68
	v_add_nc_u32_e32 v97, 1, v94
	;; [unrolled: 1-line block ×4, first 2 shown]
	s_waitcnt vmcnt(0)
	v_mad_i64_i32 v[1:2], null, v1, s15, 0
	v_lshlrev_b64 v[1:2], 2, v[1:2]
	v_add_co_u32 v49, vcc_lo, v89, v1
	v_add_co_ci_u32_e64 v50, null, v90, v2, vcc_lo
	ds_read_b128 v[1:4], v91
	v_cmp_eq_u32_e32 vcc_lo, s14, v93
	global_load_dwordx4 v[5:8], v[49:50], off
	s_and_saveexec_b32 s1, vcc_lo
	s_cbranch_execnz .LBB23_58
; %bb.41:                               ;   in Loop: Header=BB23_39 Depth=1
	s_or_b32 exec_lo, exec_lo, s1
	global_load_dwordx4 v[9:12], v[49:50], off offset:512
	s_and_saveexec_b32 s1, vcc_lo
	s_cbranch_execnz .LBB23_59
.LBB23_42:                              ;   in Loop: Header=BB23_39 Depth=1
	s_or_b32 exec_lo, exec_lo, s1
	global_load_dwordx4 v[13:16], v[49:50], off offset:1024
	s_and_saveexec_b32 s1, vcc_lo
	s_cbranch_execnz .LBB23_60
.LBB23_43:                              ;   in Loop: Header=BB23_39 Depth=1
	s_or_b32 exec_lo, exec_lo, s1
	global_load_dwordx4 v[17:20], v[49:50], off offset:1536
	s_and_saveexec_b32 s1, vcc_lo
	s_cbranch_execz .LBB23_45
.LBB23_44:                              ;   in Loop: Header=BB23_39 Depth=1
	v_cmp_gt_i32_e64 s0, s30, v94
	s_waitcnt vmcnt(0)
	v_cndmask_b32_e64 v17, 0, v17, s0
	v_cmp_gt_i32_e64 s0, s30, v97
	v_cndmask_b32_e64 v18, 0, v18, s0
	v_cmp_gt_i32_e64 s0, s30, v96
	;; [unrolled: 2-line block ×3, first 2 shown]
	v_cndmask_b32_e64 v20, 0, v20, s0
.LBB23_45:                              ;   in Loop: Header=BB23_39 Depth=1
	s_or_b32 exec_lo, exec_lo, s1
	v_add_co_u32 v33, s0, 0x800, v49
	v_add_co_ci_u32_e64 v34, null, 0, v50, s0
	global_load_dwordx4 v[21:24], v[33:34], off
	s_and_saveexec_b32 s1, vcc_lo
	s_cbranch_execnz .LBB23_61
; %bb.46:                               ;   in Loop: Header=BB23_39 Depth=1
	s_or_b32 exec_lo, exec_lo, s1
	global_load_dwordx4 v[25:28], v[33:34], off offset:512
	s_and_saveexec_b32 s1, vcc_lo
	s_cbranch_execnz .LBB23_62
.LBB23_47:                              ;   in Loop: Header=BB23_39 Depth=1
	s_or_b32 exec_lo, exec_lo, s1
	global_load_dwordx4 v[29:32], v[33:34], off offset:1024
	s_and_saveexec_b32 s1, vcc_lo
	s_cbranch_execnz .LBB23_63
.LBB23_48:                              ;   in Loop: Header=BB23_39 Depth=1
	s_or_b32 exec_lo, exec_lo, s1
	global_load_dwordx4 v[33:36], v[33:34], off offset:1536
	s_and_saveexec_b32 s1, vcc_lo
	s_cbranch_execz .LBB23_50
.LBB23_49:                              ;   in Loop: Header=BB23_39 Depth=1
	v_cmp_gt_i32_e64 s0, s30, v94
	s_waitcnt vmcnt(0)
	v_cndmask_b32_e64 v33, 0, v33, s0
	v_cmp_gt_i32_e64 s0, s30, v97
	v_cndmask_b32_e64 v34, 0, v34, s0
	v_cmp_gt_i32_e64 s0, s30, v96
	v_cndmask_b32_e64 v35, 0, v35, s0
	v_cmp_gt_i32_e64 s0, s30, v95
	v_cndmask_b32_e64 v36, 0, v36, s0
.LBB23_50:                              ;   in Loop: Header=BB23_39 Depth=1
	s_or_b32 exec_lo, exec_lo, s1
	v_add_co_u32 v51, s0, 0x1000, v49
	v_add_co_ci_u32_e64 v52, null, 0, v50, s0
	global_load_dwordx4 v[37:40], v[51:52], off
	s_and_saveexec_b32 s1, vcc_lo
	s_cbranch_execnz .LBB23_64
; %bb.51:                               ;   in Loop: Header=BB23_39 Depth=1
	s_or_b32 exec_lo, exec_lo, s1
	global_load_dwordx4 v[41:44], v[51:52], off offset:512
	s_and_saveexec_b32 s1, vcc_lo
	s_cbranch_execnz .LBB23_65
.LBB23_52:                              ;   in Loop: Header=BB23_39 Depth=1
	s_or_b32 exec_lo, exec_lo, s1
	global_load_dwordx4 v[45:48], v[51:52], off offset:1024
	s_and_saveexec_b32 s1, vcc_lo
	s_cbranch_execnz .LBB23_66
.LBB23_53:                              ;   in Loop: Header=BB23_39 Depth=1
	s_or_b32 exec_lo, exec_lo, s1
	global_load_dwordx4 v[53:56], v[51:52], off offset:1536
	s_and_saveexec_b32 s1, vcc_lo
	s_cbranch_execz .LBB23_55
.LBB23_54:                              ;   in Loop: Header=BB23_39 Depth=1
	v_cmp_gt_i32_e64 s0, s30, v94
	s_waitcnt vmcnt(0)
	v_cndmask_b32_e64 v53, 0, v53, s0
	v_cmp_gt_i32_e64 s0, s30, v97
	v_cndmask_b32_e64 v54, 0, v54, s0
	v_cmp_gt_i32_e64 s0, s30, v96
	;; [unrolled: 2-line block ×3, first 2 shown]
	v_cndmask_b32_e64 v56, 0, v56, s0
.LBB23_55:                              ;   in Loop: Header=BB23_39 Depth=1
	s_or_b32 exec_lo, exec_lo, s1
	v_add_co_u32 v49, s0, 0x1800, v49
	v_add_co_ci_u32_e64 v50, null, 0, v50, s0
	global_load_dwordx4 v[57:60], v[49:50], off
	s_and_saveexec_b32 s1, vcc_lo
	s_cbranch_execnz .LBB23_67
; %bb.56:                               ;   in Loop: Header=BB23_39 Depth=1
	s_or_b32 exec_lo, exec_lo, s1
	global_load_dwordx4 v[61:64], v[49:50], off offset:512
	s_and_saveexec_b32 s1, vcc_lo
	s_cbranch_execnz .LBB23_68
.LBB23_57:                              ;   in Loop: Header=BB23_39 Depth=1
	s_or_b32 exec_lo, exec_lo, s1
	global_load_dwordx4 v[49:52], v[49:50], off offset:1024
	s_and_saveexec_b32 s18, vcc_lo
	s_cbranch_execz .LBB23_37
	s_branch .LBB23_69
.LBB23_58:                              ;   in Loop: Header=BB23_39 Depth=1
	v_cmp_gt_i32_e64 s0, s30, v94
	s_waitcnt vmcnt(0)
	v_cndmask_b32_e64 v5, 0, v5, s0
	v_cmp_gt_i32_e64 s0, s30, v97
	v_cndmask_b32_e64 v6, 0, v6, s0
	v_cmp_gt_i32_e64 s0, s30, v96
	;; [unrolled: 2-line block ×3, first 2 shown]
	v_cndmask_b32_e64 v8, 0, v8, s0
	s_or_b32 exec_lo, exec_lo, s1
	global_load_dwordx4 v[9:12], v[49:50], off offset:512
	s_and_saveexec_b32 s1, vcc_lo
	s_cbranch_execz .LBB23_42
.LBB23_59:                              ;   in Loop: Header=BB23_39 Depth=1
	v_cmp_gt_i32_e64 s0, s30, v94
	s_waitcnt vmcnt(0)
	v_cndmask_b32_e64 v9, 0, v9, s0
	v_cmp_gt_i32_e64 s0, s30, v97
	v_cndmask_b32_e64 v10, 0, v10, s0
	v_cmp_gt_i32_e64 s0, s30, v96
	;; [unrolled: 2-line block ×3, first 2 shown]
	v_cndmask_b32_e64 v12, 0, v12, s0
	s_or_b32 exec_lo, exec_lo, s1
	global_load_dwordx4 v[13:16], v[49:50], off offset:1024
	s_and_saveexec_b32 s1, vcc_lo
	s_cbranch_execz .LBB23_43
.LBB23_60:                              ;   in Loop: Header=BB23_39 Depth=1
	v_cmp_gt_i32_e64 s0, s30, v94
	s_waitcnt vmcnt(0)
	v_cndmask_b32_e64 v13, 0, v13, s0
	v_cmp_gt_i32_e64 s0, s30, v97
	v_cndmask_b32_e64 v14, 0, v14, s0
	v_cmp_gt_i32_e64 s0, s30, v96
	;; [unrolled: 2-line block ×3, first 2 shown]
	v_cndmask_b32_e64 v16, 0, v16, s0
	s_or_b32 exec_lo, exec_lo, s1
	global_load_dwordx4 v[17:20], v[49:50], off offset:1536
	s_and_saveexec_b32 s1, vcc_lo
	s_cbranch_execnz .LBB23_44
	s_branch .LBB23_45
.LBB23_61:                              ;   in Loop: Header=BB23_39 Depth=1
	v_cmp_gt_i32_e64 s0, s30, v94
	s_waitcnt vmcnt(0)
	v_cndmask_b32_e64 v21, 0, v21, s0
	v_cmp_gt_i32_e64 s0, s30, v97
	v_cndmask_b32_e64 v22, 0, v22, s0
	v_cmp_gt_i32_e64 s0, s30, v96
	;; [unrolled: 2-line block ×3, first 2 shown]
	v_cndmask_b32_e64 v24, 0, v24, s0
	s_or_b32 exec_lo, exec_lo, s1
	global_load_dwordx4 v[25:28], v[33:34], off offset:512
	s_and_saveexec_b32 s1, vcc_lo
	s_cbranch_execz .LBB23_47
.LBB23_62:                              ;   in Loop: Header=BB23_39 Depth=1
	v_cmp_gt_i32_e64 s0, s30, v94
	s_waitcnt vmcnt(0)
	v_cndmask_b32_e64 v25, 0, v25, s0
	v_cmp_gt_i32_e64 s0, s30, v97
	v_cndmask_b32_e64 v26, 0, v26, s0
	v_cmp_gt_i32_e64 s0, s30, v96
	v_cndmask_b32_e64 v27, 0, v27, s0
	v_cmp_gt_i32_e64 s0, s30, v95
	v_cndmask_b32_e64 v28, 0, v28, s0
	s_or_b32 exec_lo, exec_lo, s1
	global_load_dwordx4 v[29:32], v[33:34], off offset:1024
	s_and_saveexec_b32 s1, vcc_lo
	s_cbranch_execz .LBB23_48
.LBB23_63:                              ;   in Loop: Header=BB23_39 Depth=1
	v_cmp_gt_i32_e64 s0, s30, v94
	s_waitcnt vmcnt(0)
	v_cndmask_b32_e64 v29, 0, v29, s0
	v_cmp_gt_i32_e64 s0, s30, v97
	v_cndmask_b32_e64 v30, 0, v30, s0
	v_cmp_gt_i32_e64 s0, s30, v96
	;; [unrolled: 2-line block ×3, first 2 shown]
	v_cndmask_b32_e64 v32, 0, v32, s0
	s_or_b32 exec_lo, exec_lo, s1
	global_load_dwordx4 v[33:36], v[33:34], off offset:1536
	s_and_saveexec_b32 s1, vcc_lo
	s_cbranch_execnz .LBB23_49
	s_branch .LBB23_50
.LBB23_64:                              ;   in Loop: Header=BB23_39 Depth=1
	v_cmp_gt_i32_e64 s0, s30, v94
	s_waitcnt vmcnt(0)
	v_cndmask_b32_e64 v37, 0, v37, s0
	v_cmp_gt_i32_e64 s0, s30, v97
	v_cndmask_b32_e64 v38, 0, v38, s0
	v_cmp_gt_i32_e64 s0, s30, v96
	;; [unrolled: 2-line block ×3, first 2 shown]
	v_cndmask_b32_e64 v40, 0, v40, s0
	s_or_b32 exec_lo, exec_lo, s1
	global_load_dwordx4 v[41:44], v[51:52], off offset:512
	s_and_saveexec_b32 s1, vcc_lo
	s_cbranch_execz .LBB23_52
.LBB23_65:                              ;   in Loop: Header=BB23_39 Depth=1
	v_cmp_gt_i32_e64 s0, s30, v94
	s_waitcnt vmcnt(0)
	v_cndmask_b32_e64 v41, 0, v41, s0
	v_cmp_gt_i32_e64 s0, s30, v97
	v_cndmask_b32_e64 v42, 0, v42, s0
	v_cmp_gt_i32_e64 s0, s30, v96
	;; [unrolled: 2-line block ×3, first 2 shown]
	v_cndmask_b32_e64 v44, 0, v44, s0
	s_or_b32 exec_lo, exec_lo, s1
	global_load_dwordx4 v[45:48], v[51:52], off offset:1024
	s_and_saveexec_b32 s1, vcc_lo
	s_cbranch_execz .LBB23_53
.LBB23_66:                              ;   in Loop: Header=BB23_39 Depth=1
	v_cmp_gt_i32_e64 s0, s30, v94
	s_waitcnt vmcnt(0)
	v_cndmask_b32_e64 v45, 0, v45, s0
	v_cmp_gt_i32_e64 s0, s30, v97
	v_cndmask_b32_e64 v46, 0, v46, s0
	v_cmp_gt_i32_e64 s0, s30, v96
	;; [unrolled: 2-line block ×3, first 2 shown]
	v_cndmask_b32_e64 v48, 0, v48, s0
	s_or_b32 exec_lo, exec_lo, s1
	global_load_dwordx4 v[53:56], v[51:52], off offset:1536
	s_and_saveexec_b32 s1, vcc_lo
	s_cbranch_execnz .LBB23_54
	s_branch .LBB23_55
.LBB23_67:                              ;   in Loop: Header=BB23_39 Depth=1
	v_cmp_gt_i32_e64 s0, s30, v94
	s_waitcnt vmcnt(0)
	v_cndmask_b32_e64 v57, 0, v57, s0
	v_cmp_gt_i32_e64 s0, s30, v97
	v_cndmask_b32_e64 v58, 0, v58, s0
	v_cmp_gt_i32_e64 s0, s30, v96
	;; [unrolled: 2-line block ×3, first 2 shown]
	v_cndmask_b32_e64 v60, 0, v60, s0
	s_or_b32 exec_lo, exec_lo, s1
	global_load_dwordx4 v[61:64], v[49:50], off offset:512
	s_and_saveexec_b32 s1, vcc_lo
	s_cbranch_execz .LBB23_57
.LBB23_68:                              ;   in Loop: Header=BB23_39 Depth=1
	v_cmp_gt_i32_e64 s0, s30, v94
	s_waitcnt vmcnt(0)
	v_cndmask_b32_e64 v61, 0, v61, s0
	v_cmp_gt_i32_e64 s0, s30, v97
	v_cndmask_b32_e64 v62, 0, v62, s0
	v_cmp_gt_i32_e64 s0, s30, v96
	;; [unrolled: 2-line block ×3, first 2 shown]
	v_cndmask_b32_e64 v64, 0, v64, s0
	s_or_b32 exec_lo, exec_lo, s1
	global_load_dwordx4 v[49:52], v[49:50], off offset:1024
	s_and_saveexec_b32 s18, vcc_lo
	s_cbranch_execz .LBB23_37
.LBB23_69:                              ;   in Loop: Header=BB23_39 Depth=1
	v_cmp_gt_i32_e32 vcc_lo, s30, v94
	v_cmp_gt_i32_e64 s0, s30, v97
	v_cmp_gt_i32_e64 s1, s30, v96
	;; [unrolled: 1-line block ×3, first 2 shown]
	s_waitcnt vmcnt(0)
	v_cndmask_b32_e32 v49, 0, v49, vcc_lo
	v_cndmask_b32_e64 v50, 0, v50, s0
	v_cndmask_b32_e64 v51, 0, v51, s1
	;; [unrolled: 1-line block ×3, first 2 shown]
	s_branch .LBB23_37
.LBB23_70:
	s_or_b32 exec_lo, exec_lo, s13
.LBB23_71:
	s_or_b32 exec_lo, exec_lo, s3
	ds_bpermute_b32 v2, v70, v86
	ds_bpermute_b32 v1, v70, v87
	;; [unrolled: 1-line block ×15, first 2 shown]
	s_mov_b32 s0, exec_lo
	s_waitcnt lgkmcnt(0)
	s_barrier
	buffer_gl0_inv
	v_add_f32_e32 v2, v86, v2
	v_add_f32_e32 v1, v87, v1
	;; [unrolled: 1-line block ×7, first 2 shown]
	ds_bpermute_b32 v17, v71, v2
	v_add_f32_e32 v8, v80, v8
	v_add_f32_e32 v9, v79, v9
	;; [unrolled: 1-line block ×8, first 2 shown]
	ds_bpermute_b32 v16, v71, v1
	ds_bpermute_b32 v18, v71, v3
	;; [unrolled: 1-line block ×14, first 2 shown]
	s_waitcnt lgkmcnt(14)
	v_add_f32_e32 v2, v2, v17
	v_and_b32_e32 v17, 28, v69
	s_waitcnt lgkmcnt(13)
	v_add_f32_e32 v1, v1, v16
	s_waitcnt lgkmcnt(12)
	v_add_f32_e32 v3, v3, v18
	;; [unrolled: 2-line block ×13, first 2 shown]
	v_and_b32_e32 v19, 0x3c3, v0
	s_waitcnt lgkmcnt(0)
	v_add_f32_e32 v15, v15, v30
	v_lshrrev_b32_e32 v16, 2, v69
	v_add_nc_u32_e32 v17, 0x200, v17
	v_mul_u32_u24_e32 v18, 0x1e0, v67
	v_cmpx_eq_u32_e32 64, v19
	s_cbranch_execz .LBB23_73
; %bb.72:
	v_add_nc_u32_e32 v19, v17, v18
	v_add_nc_u32_e32 v20, 0xfffffc40, v19
	;; [unrolled: 1-line block ×6, first 2 shown]
	ds_write_b32 v20, v1
	ds_write_b32 v21, v2
	;; [unrolled: 1-line block ×5, first 2 shown]
	v_add_nc_u32_e32 v20, 0xfffffce0, v19
	v_add_nc_u32_e32 v21, 0xfffffd00, v19
	;; [unrolled: 1-line block ×5, first 2 shown]
	ds_write_b32 v20, v6
	ds_write_b32 v21, v7
	;; [unrolled: 1-line block ×5, first 2 shown]
	v_add_nc_u32_e32 v20, 0xfffffd80, v19
	v_add_nc_u32_e32 v21, 0xfffffda0, v19
	;; [unrolled: 1-line block ×5, first 2 shown]
	ds_write_b32 v20, v11
	ds_write_b32 v21, v12
	;; [unrolled: 1-line block ×5, first 2 shown]
.LBB23_73:
	s_or_b32 exec_lo, exec_lo, s0
	v_lshlrev_b32_e32 v16, 2, v16
	s_mov_b32 s1, exec_lo
	v_cmp_eq_u32_e32 vcc_lo, 0, v72
	s_waitcnt lgkmcnt(0)
	s_barrier
	v_add3_u32 v16, 0x200, v18, v16
	buffer_gl0_inv
	v_cmpx_gt_u32_e32 64, v0
	s_cbranch_execz .LBB23_91
; %bb.74:
	s_and_saveexec_b32 s0, vcc_lo
	s_cbranch_execnz .LBB23_114
; %bb.75:
	s_or_b32 exec_lo, exec_lo, s0
	s_and_saveexec_b32 s0, vcc_lo
	s_cbranch_execnz .LBB23_115
.LBB23_76:
	s_or_b32 exec_lo, exec_lo, s0
	s_and_saveexec_b32 s0, vcc_lo
	s_cbranch_execnz .LBB23_116
.LBB23_77:
	s_or_b32 exec_lo, exec_lo, s0
	s_and_saveexec_b32 s0, vcc_lo
	s_cbranch_execnz .LBB23_117
.LBB23_78:
	s_or_b32 exec_lo, exec_lo, s0
	s_and_saveexec_b32 s0, vcc_lo
	s_cbranch_execnz .LBB23_118
.LBB23_79:
	s_or_b32 exec_lo, exec_lo, s0
	s_and_saveexec_b32 s0, vcc_lo
	s_cbranch_execnz .LBB23_119
.LBB23_80:
	s_or_b32 exec_lo, exec_lo, s0
	s_and_saveexec_b32 s0, vcc_lo
	s_cbranch_execnz .LBB23_120
.LBB23_81:
	s_or_b32 exec_lo, exec_lo, s0
	s_and_saveexec_b32 s0, vcc_lo
	s_cbranch_execnz .LBB23_121
.LBB23_82:
	s_or_b32 exec_lo, exec_lo, s0
	s_and_saveexec_b32 s0, vcc_lo
	s_cbranch_execnz .LBB23_122
.LBB23_83:
	s_or_b32 exec_lo, exec_lo, s0
	s_and_saveexec_b32 s0, vcc_lo
	s_cbranch_execnz .LBB23_123
.LBB23_84:
	s_or_b32 exec_lo, exec_lo, s0
	s_and_saveexec_b32 s0, vcc_lo
	s_cbranch_execnz .LBB23_124
.LBB23_85:
	s_or_b32 exec_lo, exec_lo, s0
	s_and_saveexec_b32 s0, vcc_lo
	s_cbranch_execnz .LBB23_125
.LBB23_86:
	s_or_b32 exec_lo, exec_lo, s0
	s_and_saveexec_b32 s0, vcc_lo
	s_cbranch_execnz .LBB23_126
.LBB23_87:
	s_or_b32 exec_lo, exec_lo, s0
	s_and_saveexec_b32 s0, vcc_lo
	s_cbranch_execnz .LBB23_127
.LBB23_88:
	s_or_b32 exec_lo, exec_lo, s0
	s_and_saveexec_b32 s0, vcc_lo
	s_cbranch_execz .LBB23_90
.LBB23_89:
	ds_read_b32 v18, v16 offset:448
	s_waitcnt lgkmcnt(0)
	v_add_f32_e32 v15, v15, v18
.LBB23_90:
	s_or_b32 exec_lo, exec_lo, s0
.LBB23_91:
	s_or_b32 exec_lo, exec_lo, s1
	v_and_b32_e32 v18, 0x3e3, v0
	s_mov_b32 s1, exec_lo
	s_barrier
	buffer_gl0_inv
	v_cmpx_eq_u32_e32 32, v18
	s_cbranch_execz .LBB23_93
; %bb.92:
	ds_write2_b32 v17, v1, v2 offset1:8
	ds_write2_b32 v17, v3, v4 offset0:16 offset1:24
	ds_write2_b32 v17, v5, v6 offset0:32 offset1:40
	ds_write2_b32 v17, v7, v8 offset0:48 offset1:56
	ds_write2_b32 v17, v9, v10 offset0:64 offset1:72
	ds_write2_b32 v17, v11, v12 offset0:80 offset1:88
	ds_write2_b32 v17, v13, v14 offset0:96 offset1:104
	ds_write_b32 v17, v15 offset:448
.LBB23_93:
	s_or_b32 exec_lo, exec_lo, s1
	s_mov_b32 s1, exec_lo
	s_waitcnt lgkmcnt(0)
	s_barrier
	buffer_gl0_inv
	v_cmpx_gt_u32_e32 32, v0
	s_cbranch_execz .LBB23_111
; %bb.94:
	s_and_saveexec_b32 s0, vcc_lo
	s_cbranch_execnz .LBB23_128
; %bb.95:
	s_or_b32 exec_lo, exec_lo, s0
	s_and_saveexec_b32 s0, vcc_lo
	s_cbranch_execnz .LBB23_129
.LBB23_96:
	s_or_b32 exec_lo, exec_lo, s0
	s_and_saveexec_b32 s0, vcc_lo
	s_cbranch_execnz .LBB23_130
.LBB23_97:
	s_or_b32 exec_lo, exec_lo, s0
	s_and_saveexec_b32 s0, vcc_lo
	s_cbranch_execnz .LBB23_131
.LBB23_98:
	s_or_b32 exec_lo, exec_lo, s0
	s_and_saveexec_b32 s0, vcc_lo
	s_cbranch_execnz .LBB23_132
.LBB23_99:
	s_or_b32 exec_lo, exec_lo, s0
	s_and_saveexec_b32 s0, vcc_lo
	s_cbranch_execnz .LBB23_133
.LBB23_100:
	s_or_b32 exec_lo, exec_lo, s0
	s_and_saveexec_b32 s0, vcc_lo
	s_cbranch_execnz .LBB23_134
.LBB23_101:
	s_or_b32 exec_lo, exec_lo, s0
	s_and_saveexec_b32 s0, vcc_lo
	s_cbranch_execnz .LBB23_135
.LBB23_102:
	s_or_b32 exec_lo, exec_lo, s0
	s_and_saveexec_b32 s0, vcc_lo
	s_cbranch_execnz .LBB23_136
.LBB23_103:
	s_or_b32 exec_lo, exec_lo, s0
	s_and_saveexec_b32 s0, vcc_lo
	s_cbranch_execnz .LBB23_137
.LBB23_104:
	s_or_b32 exec_lo, exec_lo, s0
	s_and_saveexec_b32 s0, vcc_lo
	s_cbranch_execnz .LBB23_138
.LBB23_105:
	s_or_b32 exec_lo, exec_lo, s0
	s_and_saveexec_b32 s0, vcc_lo
	s_cbranch_execnz .LBB23_139
.LBB23_106:
	s_or_b32 exec_lo, exec_lo, s0
	s_and_saveexec_b32 s0, vcc_lo
	s_cbranch_execnz .LBB23_140
.LBB23_107:
	s_or_b32 exec_lo, exec_lo, s0
	s_and_saveexec_b32 s0, vcc_lo
	s_cbranch_execnz .LBB23_141
.LBB23_108:
	s_or_b32 exec_lo, exec_lo, s0
	s_and_saveexec_b32 s0, vcc_lo
	s_cbranch_execz .LBB23_110
.LBB23_109:
	ds_read_b32 v16, v16 offset:448
	s_waitcnt lgkmcnt(0)
	v_add_f32_e32 v15, v15, v16
.LBB23_110:
	s_or_b32 exec_lo, exec_lo, s0
.LBB23_111:
	s_or_b32 exec_lo, exec_lo, s1
	s_barrier
	buffer_gl0_inv
	s_mov_b32 s0, exec_lo
	v_cmpx_eq_u32_e32 0, v18
	s_cbranch_execz .LBB23_113
; %bb.112:
	s_mul_i32 s0, s10, s11
	s_mul_i32 s2, s11, s20
	;; [unrolled: 1-line block ×3, first 2 shown]
	s_mulk_i32 s0, 0x78
	s_ashr_i32 s1, s0, 31
	s_lshl_b64 s[0:1], s[0:1], 2
	s_add_u32 s4, s6, s0
	s_addc_u32 s5, s7, s1
	s_ashr_i32 s3, s2, 31
	s_lshl_b64 s[0:1], s[2:3], 2
	s_mul_i32 s2, s8, 0x78
	s_add_u32 s4, s4, s0
	s_addc_u32 s5, s5, s1
	s_ashr_i32 s3, s2, 31
	s_lshl_b64 s[0:1], s[2:3], 2
	s_add_u32 s0, s4, s0
	s_addc_u32 s1, s5, s1
	global_store_dword v0, v1, s[0:1]
	global_store_dword v0, v2, s[0:1] offset:32
	global_store_dword v0, v3, s[0:1] offset:64
	;; [unrolled: 1-line block ×14, first 2 shown]
.LBB23_113:
	s_endpgm
.LBB23_114:
	ds_read_b32 v18, v16
	s_waitcnt lgkmcnt(0)
	v_add_f32_e32 v1, v1, v18
	s_or_b32 exec_lo, exec_lo, s0
	s_and_saveexec_b32 s0, vcc_lo
	s_cbranch_execz .LBB23_76
.LBB23_115:
	ds_read_b32 v18, v16 offset:32
	s_waitcnt lgkmcnt(0)
	v_add_f32_e32 v2, v2, v18
	s_or_b32 exec_lo, exec_lo, s0
	s_and_saveexec_b32 s0, vcc_lo
	s_cbranch_execz .LBB23_77
.LBB23_116:
	ds_read_b32 v18, v16 offset:64
	s_waitcnt lgkmcnt(0)
	v_add_f32_e32 v3, v3, v18
	s_or_b32 exec_lo, exec_lo, s0
	s_and_saveexec_b32 s0, vcc_lo
	s_cbranch_execz .LBB23_78
.LBB23_117:
	ds_read_b32 v18, v16 offset:96
	s_waitcnt lgkmcnt(0)
	v_add_f32_e32 v4, v4, v18
	s_or_b32 exec_lo, exec_lo, s0
	s_and_saveexec_b32 s0, vcc_lo
	s_cbranch_execz .LBB23_79
.LBB23_118:
	ds_read_b32 v18, v16 offset:128
	s_waitcnt lgkmcnt(0)
	v_add_f32_e32 v5, v5, v18
	s_or_b32 exec_lo, exec_lo, s0
	s_and_saveexec_b32 s0, vcc_lo
	s_cbranch_execz .LBB23_80
.LBB23_119:
	ds_read_b32 v18, v16 offset:160
	s_waitcnt lgkmcnt(0)
	v_add_f32_e32 v6, v6, v18
	s_or_b32 exec_lo, exec_lo, s0
	s_and_saveexec_b32 s0, vcc_lo
	s_cbranch_execz .LBB23_81
.LBB23_120:
	ds_read_b32 v18, v16 offset:192
	s_waitcnt lgkmcnt(0)
	v_add_f32_e32 v7, v7, v18
	s_or_b32 exec_lo, exec_lo, s0
	s_and_saveexec_b32 s0, vcc_lo
	s_cbranch_execz .LBB23_82
.LBB23_121:
	ds_read_b32 v18, v16 offset:224
	s_waitcnt lgkmcnt(0)
	v_add_f32_e32 v8, v8, v18
	s_or_b32 exec_lo, exec_lo, s0
	s_and_saveexec_b32 s0, vcc_lo
	s_cbranch_execz .LBB23_83
.LBB23_122:
	ds_read_b32 v18, v16 offset:256
	s_waitcnt lgkmcnt(0)
	v_add_f32_e32 v9, v9, v18
	s_or_b32 exec_lo, exec_lo, s0
	s_and_saveexec_b32 s0, vcc_lo
	s_cbranch_execz .LBB23_84
.LBB23_123:
	ds_read_b32 v18, v16 offset:288
	s_waitcnt lgkmcnt(0)
	v_add_f32_e32 v10, v10, v18
	s_or_b32 exec_lo, exec_lo, s0
	s_and_saveexec_b32 s0, vcc_lo
	s_cbranch_execz .LBB23_85
.LBB23_124:
	ds_read_b32 v18, v16 offset:320
	s_waitcnt lgkmcnt(0)
	v_add_f32_e32 v11, v11, v18
	s_or_b32 exec_lo, exec_lo, s0
	s_and_saveexec_b32 s0, vcc_lo
	s_cbranch_execz .LBB23_86
.LBB23_125:
	ds_read_b32 v18, v16 offset:352
	s_waitcnt lgkmcnt(0)
	v_add_f32_e32 v12, v12, v18
	s_or_b32 exec_lo, exec_lo, s0
	s_and_saveexec_b32 s0, vcc_lo
	s_cbranch_execz .LBB23_87
.LBB23_126:
	ds_read_b32 v18, v16 offset:384
	s_waitcnt lgkmcnt(0)
	v_add_f32_e32 v13, v13, v18
	s_or_b32 exec_lo, exec_lo, s0
	s_and_saveexec_b32 s0, vcc_lo
	s_cbranch_execz .LBB23_88
.LBB23_127:
	ds_read_b32 v18, v16 offset:416
	s_waitcnt lgkmcnt(0)
	v_add_f32_e32 v14, v14, v18
	s_or_b32 exec_lo, exec_lo, s0
	s_and_saveexec_b32 s0, vcc_lo
	s_cbranch_execnz .LBB23_89
	s_branch .LBB23_90
.LBB23_128:
	ds_read_b32 v17, v16
	s_waitcnt lgkmcnt(0)
	v_add_f32_e32 v1, v1, v17
	s_or_b32 exec_lo, exec_lo, s0
	s_and_saveexec_b32 s0, vcc_lo
	s_cbranch_execz .LBB23_96
.LBB23_129:
	ds_read_b32 v17, v16 offset:32
	s_waitcnt lgkmcnt(0)
	v_add_f32_e32 v2, v2, v17
	s_or_b32 exec_lo, exec_lo, s0
	s_and_saveexec_b32 s0, vcc_lo
	s_cbranch_execz .LBB23_97
.LBB23_130:
	ds_read_b32 v17, v16 offset:64
	s_waitcnt lgkmcnt(0)
	v_add_f32_e32 v3, v3, v17
	s_or_b32 exec_lo, exec_lo, s0
	s_and_saveexec_b32 s0, vcc_lo
	s_cbranch_execz .LBB23_98
.LBB23_131:
	ds_read_b32 v17, v16 offset:96
	s_waitcnt lgkmcnt(0)
	v_add_f32_e32 v4, v4, v17
	s_or_b32 exec_lo, exec_lo, s0
	s_and_saveexec_b32 s0, vcc_lo
	s_cbranch_execz .LBB23_99
.LBB23_132:
	ds_read_b32 v17, v16 offset:128
	s_waitcnt lgkmcnt(0)
	v_add_f32_e32 v5, v5, v17
	s_or_b32 exec_lo, exec_lo, s0
	s_and_saveexec_b32 s0, vcc_lo
	s_cbranch_execz .LBB23_100
.LBB23_133:
	ds_read_b32 v17, v16 offset:160
	s_waitcnt lgkmcnt(0)
	v_add_f32_e32 v6, v6, v17
	s_or_b32 exec_lo, exec_lo, s0
	s_and_saveexec_b32 s0, vcc_lo
	s_cbranch_execz .LBB23_101
.LBB23_134:
	ds_read_b32 v17, v16 offset:192
	s_waitcnt lgkmcnt(0)
	v_add_f32_e32 v7, v7, v17
	s_or_b32 exec_lo, exec_lo, s0
	s_and_saveexec_b32 s0, vcc_lo
	s_cbranch_execz .LBB23_102
.LBB23_135:
	ds_read_b32 v17, v16 offset:224
	s_waitcnt lgkmcnt(0)
	v_add_f32_e32 v8, v8, v17
	s_or_b32 exec_lo, exec_lo, s0
	s_and_saveexec_b32 s0, vcc_lo
	s_cbranch_execz .LBB23_103
.LBB23_136:
	ds_read_b32 v17, v16 offset:256
	s_waitcnt lgkmcnt(0)
	v_add_f32_e32 v9, v9, v17
	s_or_b32 exec_lo, exec_lo, s0
	s_and_saveexec_b32 s0, vcc_lo
	s_cbranch_execz .LBB23_104
.LBB23_137:
	ds_read_b32 v17, v16 offset:288
	s_waitcnt lgkmcnt(0)
	v_add_f32_e32 v10, v10, v17
	s_or_b32 exec_lo, exec_lo, s0
	s_and_saveexec_b32 s0, vcc_lo
	s_cbranch_execz .LBB23_105
.LBB23_138:
	ds_read_b32 v17, v16 offset:320
	s_waitcnt lgkmcnt(0)
	v_add_f32_e32 v11, v11, v17
	s_or_b32 exec_lo, exec_lo, s0
	s_and_saveexec_b32 s0, vcc_lo
	s_cbranch_execz .LBB23_106
.LBB23_139:
	ds_read_b32 v17, v16 offset:352
	s_waitcnt lgkmcnt(0)
	v_add_f32_e32 v12, v12, v17
	s_or_b32 exec_lo, exec_lo, s0
	s_and_saveexec_b32 s0, vcc_lo
	s_cbranch_execz .LBB23_107
.LBB23_140:
	ds_read_b32 v17, v16 offset:384
	s_waitcnt lgkmcnt(0)
	v_add_f32_e32 v13, v13, v17
	s_or_b32 exec_lo, exec_lo, s0
	s_and_saveexec_b32 s0, vcc_lo
	s_cbranch_execz .LBB23_108
.LBB23_141:
	ds_read_b32 v17, v16 offset:416
	s_waitcnt lgkmcnt(0)
	v_add_f32_e32 v14, v14, v17
	s_or_b32 exec_lo, exec_lo, s0
	s_and_saveexec_b32 s0, vcc_lo
	s_cbranch_execnz .LBB23_109
	s_branch .LBB23_110
	.section	.rodata,"a",@progbits
	.p2align	6, 0x0
	.amdhsa_kernel _ZN4vllm25paged_attention_v1_kernelIffLi120ELi16ELi128ELNS_18Fp8KVCacheDataTypeE0ELb1EEEvPT_PKS2_PKT0_S8_ifPKiSA_iPKfiiiSC_SC_iiiii
		.amdhsa_group_segment_fixed_size 512
		.amdhsa_private_segment_fixed_size 0
		.amdhsa_kernarg_size 384
		.amdhsa_user_sgpr_count 6
		.amdhsa_user_sgpr_private_segment_buffer 1
		.amdhsa_user_sgpr_dispatch_ptr 0
		.amdhsa_user_sgpr_queue_ptr 0
		.amdhsa_user_sgpr_kernarg_segment_ptr 1
		.amdhsa_user_sgpr_dispatch_id 0
		.amdhsa_user_sgpr_flat_scratch_init 0
		.amdhsa_user_sgpr_private_segment_size 0
		.amdhsa_wavefront_size32 1
		.amdhsa_uses_dynamic_stack 0
		.amdhsa_system_sgpr_private_segment_wavefront_offset 0
		.amdhsa_system_sgpr_workgroup_id_x 1
		.amdhsa_system_sgpr_workgroup_id_y 1
		.amdhsa_system_sgpr_workgroup_id_z 1
		.amdhsa_system_sgpr_workgroup_info 0
		.amdhsa_system_vgpr_workitem_id 0
		.amdhsa_next_free_vgpr 98
		.amdhsa_next_free_sgpr 38
		.amdhsa_reserve_vcc 1
		.amdhsa_reserve_flat_scratch 0
		.amdhsa_float_round_mode_32 0
		.amdhsa_float_round_mode_16_64 0
		.amdhsa_float_denorm_mode_32 3
		.amdhsa_float_denorm_mode_16_64 3
		.amdhsa_dx10_clamp 1
		.amdhsa_ieee_mode 1
		.amdhsa_fp16_overflow 0
		.amdhsa_workgroup_processor_mode 1
		.amdhsa_memory_ordered 1
		.amdhsa_forward_progress 1
		.amdhsa_shared_vgpr_count 0
		.amdhsa_exception_fp_ieee_invalid_op 0
		.amdhsa_exception_fp_denorm_src 0
		.amdhsa_exception_fp_ieee_div_zero 0
		.amdhsa_exception_fp_ieee_overflow 0
		.amdhsa_exception_fp_ieee_underflow 0
		.amdhsa_exception_fp_ieee_inexact 0
		.amdhsa_exception_int_div_zero 0
	.end_amdhsa_kernel
	.section	.text._ZN4vllm25paged_attention_v1_kernelIffLi120ELi16ELi128ELNS_18Fp8KVCacheDataTypeE0ELb1EEEvPT_PKS2_PKT0_S8_ifPKiSA_iPKfiiiSC_SC_iiiii,"axG",@progbits,_ZN4vllm25paged_attention_v1_kernelIffLi120ELi16ELi128ELNS_18Fp8KVCacheDataTypeE0ELb1EEEvPT_PKS2_PKT0_S8_ifPKiSA_iPKfiiiSC_SC_iiiii,comdat
.Lfunc_end23:
	.size	_ZN4vllm25paged_attention_v1_kernelIffLi120ELi16ELi128ELNS_18Fp8KVCacheDataTypeE0ELb1EEEvPT_PKS2_PKT0_S8_ifPKiSA_iPKfiiiSC_SC_iiiii, .Lfunc_end23-_ZN4vllm25paged_attention_v1_kernelIffLi120ELi16ELi128ELNS_18Fp8KVCacheDataTypeE0ELb1EEEvPT_PKS2_PKT0_S8_ifPKiSA_iPKfiiiSC_SC_iiiii
                                        ; -- End function
	.set _ZN4vllm25paged_attention_v1_kernelIffLi120ELi16ELi128ELNS_18Fp8KVCacheDataTypeE0ELb1EEEvPT_PKS2_PKT0_S8_ifPKiSA_iPKfiiiSC_SC_iiiii.num_vgpr, 98
	.set _ZN4vllm25paged_attention_v1_kernelIffLi120ELi16ELi128ELNS_18Fp8KVCacheDataTypeE0ELb1EEEvPT_PKS2_PKT0_S8_ifPKiSA_iPKfiiiSC_SC_iiiii.num_agpr, 0
	.set _ZN4vllm25paged_attention_v1_kernelIffLi120ELi16ELi128ELNS_18Fp8KVCacheDataTypeE0ELb1EEEvPT_PKS2_PKT0_S8_ifPKiSA_iPKfiiiSC_SC_iiiii.numbered_sgpr, 38
	.set _ZN4vllm25paged_attention_v1_kernelIffLi120ELi16ELi128ELNS_18Fp8KVCacheDataTypeE0ELb1EEEvPT_PKS2_PKT0_S8_ifPKiSA_iPKfiiiSC_SC_iiiii.num_named_barrier, 0
	.set _ZN4vllm25paged_attention_v1_kernelIffLi120ELi16ELi128ELNS_18Fp8KVCacheDataTypeE0ELb1EEEvPT_PKS2_PKT0_S8_ifPKiSA_iPKfiiiSC_SC_iiiii.private_seg_size, 0
	.set _ZN4vllm25paged_attention_v1_kernelIffLi120ELi16ELi128ELNS_18Fp8KVCacheDataTypeE0ELb1EEEvPT_PKS2_PKT0_S8_ifPKiSA_iPKfiiiSC_SC_iiiii.uses_vcc, 1
	.set _ZN4vllm25paged_attention_v1_kernelIffLi120ELi16ELi128ELNS_18Fp8KVCacheDataTypeE0ELb1EEEvPT_PKS2_PKT0_S8_ifPKiSA_iPKfiiiSC_SC_iiiii.uses_flat_scratch, 0
	.set _ZN4vllm25paged_attention_v1_kernelIffLi120ELi16ELi128ELNS_18Fp8KVCacheDataTypeE0ELb1EEEvPT_PKS2_PKT0_S8_ifPKiSA_iPKfiiiSC_SC_iiiii.has_dyn_sized_stack, 0
	.set _ZN4vllm25paged_attention_v1_kernelIffLi120ELi16ELi128ELNS_18Fp8KVCacheDataTypeE0ELb1EEEvPT_PKS2_PKT0_S8_ifPKiSA_iPKfiiiSC_SC_iiiii.has_recursion, 0
	.set _ZN4vllm25paged_attention_v1_kernelIffLi120ELi16ELi128ELNS_18Fp8KVCacheDataTypeE0ELb1EEEvPT_PKS2_PKT0_S8_ifPKiSA_iPKfiiiSC_SC_iiiii.has_indirect_call, 0
	.section	.AMDGPU.csdata,"",@progbits
; Kernel info:
; codeLenInByte = 8016
; TotalNumSgprs: 40
; NumVgprs: 98
; ScratchSize: 0
; MemoryBound: 0
; FloatMode: 240
; IeeeMode: 1
; LDSByteSize: 512 bytes/workgroup (compile time only)
; SGPRBlocks: 0
; VGPRBlocks: 12
; NumSGPRsForWavesPerEU: 40
; NumVGPRsForWavesPerEU: 98
; Occupancy: 9
; WaveLimiterHint : 1
; COMPUTE_PGM_RSRC2:SCRATCH_EN: 0
; COMPUTE_PGM_RSRC2:USER_SGPR: 6
; COMPUTE_PGM_RSRC2:TRAP_HANDLER: 0
; COMPUTE_PGM_RSRC2:TGID_X_EN: 1
; COMPUTE_PGM_RSRC2:TGID_Y_EN: 1
; COMPUTE_PGM_RSRC2:TGID_Z_EN: 1
; COMPUTE_PGM_RSRC2:TIDIG_COMP_CNT: 0
	.section	.text._ZN4vllm25paged_attention_v1_kernelIffLi128ELi16ELi128ELNS_18Fp8KVCacheDataTypeE0ELb1EEEvPT_PKS2_PKT0_S8_ifPKiSA_iPKfiiiSC_SC_iiiii,"axG",@progbits,_ZN4vllm25paged_attention_v1_kernelIffLi128ELi16ELi128ELNS_18Fp8KVCacheDataTypeE0ELb1EEEvPT_PKS2_PKT0_S8_ifPKiSA_iPKfiiiSC_SC_iiiii,comdat
	.protected	_ZN4vllm25paged_attention_v1_kernelIffLi128ELi16ELi128ELNS_18Fp8KVCacheDataTypeE0ELb1EEEvPT_PKS2_PKT0_S8_ifPKiSA_iPKfiiiSC_SC_iiiii ; -- Begin function _ZN4vllm25paged_attention_v1_kernelIffLi128ELi16ELi128ELNS_18Fp8KVCacheDataTypeE0ELb1EEEvPT_PKS2_PKT0_S8_ifPKiSA_iPKfiiiSC_SC_iiiii
	.globl	_ZN4vllm25paged_attention_v1_kernelIffLi128ELi16ELi128ELNS_18Fp8KVCacheDataTypeE0ELb1EEEvPT_PKS2_PKT0_S8_ifPKiSA_iPKfiiiSC_SC_iiiii
	.p2align	8
	.type	_ZN4vllm25paged_attention_v1_kernelIffLi128ELi16ELi128ELNS_18Fp8KVCacheDataTypeE0ELb1EEEvPT_PKS2_PKT0_S8_ifPKiSA_iPKfiiiSC_SC_iiiii,@function
_ZN4vllm25paged_attention_v1_kernelIffLi128ELi16ELi128ELNS_18Fp8KVCacheDataTypeE0ELb1EEEvPT_PKS2_PKT0_S8_ifPKiSA_iPKfiiiSC_SC_iiiii: ; @_ZN4vllm25paged_attention_v1_kernelIffLi128ELi16ELi128ELNS_18Fp8KVCacheDataTypeE0ELb1EEEvPT_PKS2_PKT0_S8_ifPKiSA_iPKfiiiSC_SC_iiiii
; %bb.0:
	s_clause 0x2
	s_load_dword s9, s[4:5], 0x80
	s_load_dwordx2 s[0:1], s[4:5], 0x30
	s_load_dwordx2 s[28:29], s[4:5], 0x20
	s_mov_b32 s10, s7
	s_ashr_i32 s11, s7, 31
	s_mov_b32 s33, 0
	s_lshl_b64 s[2:3], s[10:11], 2
	s_waitcnt lgkmcnt(0)
	s_add_u32 s0, s0, s2
	s_addc_u32 s1, s1, s3
	s_abs_i32 s2, s28
	s_abs_i32 s11, s9
	v_cvt_f32_u32_e32 v1, s2
	s_sub_i32 s7, 0, s2
	v_rcp_iflag_f32_e32 v1, v1
	v_mul_f32_e32 v1, 0x4f7ffffe, v1
	v_cvt_u32_f32_e32 v1, v1
	v_readfirstlane_b32 s3, v1
	s_mul_i32 s7, s7, s3
	s_mul_hi_u32 s7, s3, s7
	s_add_i32 s3, s3, s7
	s_xor_b32 s7, s9, s28
	s_mul_hi_u32 s3, s11, s3
	s_ashr_i32 s7, s7, 31
	s_mul_i32 s12, s3, s2
	s_sub_i32 s11, s11, s12
	s_add_i32 s12, s3, 1
	s_sub_i32 s13, s11, s2
	s_cmp_ge_u32 s11, s2
	s_cselect_b32 s3, s12, s3
	s_cselect_b32 s11, s13, s11
	s_add_i32 s12, s3, 1
	s_cmp_ge_u32 s11, s2
	s_cselect_b32 s2, s12, s3
	s_abs_i32 s22, s6
	s_xor_b32 s2, s2, s7
	s_sub_i32 s16, s2, s7
	s_load_dwordx2 s[2:3], s[4:5], 0x40
	s_abs_i32 s11, s16
	v_cvt_f32_u32_e32 v1, s11
	s_sub_i32 s12, 0, s11
	v_rcp_iflag_f32_e32 v1, v1
	v_mul_f32_e32 v1, 0x4f7ffffe, v1
	v_cvt_u32_f32_e32 v1, v1
	v_readfirstlane_b32 s7, v1
	s_mul_i32 s12, s12, s7
	s_mul_hi_u32 s12, s7, s12
	s_add_i32 s7, s7, s12
	s_waitcnt lgkmcnt(0)
	s_cmp_eq_u64 s[2:3], 0
	s_mul_hi_u32 s23, s22, s7
	s_cbranch_scc1 .LBB24_2
; %bb.1:
	s_ashr_i32 s7, s6, 31
	s_lshl_b64 s[12:13], s[6:7], 2
	s_add_u32 s2, s2, s12
	s_addc_u32 s3, s3, s13
	s_load_dword s33, s[2:3], 0x0
.LBB24_2:
	s_load_dword s30, s[0:1], 0x0
	s_load_dwordx4 s[12:15], s[4:5], 0x48
	v_and_b32_e32 v1, 1, v0
	v_cmp_gt_u32_e64 s0, 64, v0
	v_lshlrev_b32_e32 v2, 3, v0
	v_lshlrev_b32_e32 v3, 2, v0
	s_ashr_i32 s1, s6, 31
	s_ashr_i32 s2, s16, 31
	s_lshl_b32 s20, s6, 7
	s_and_saveexec_b32 s3, s0
	s_cbranch_execz .LBB24_4
; %bb.3:
	s_load_dwordx2 s[16:17], s[4:5], 0x8
	s_waitcnt lgkmcnt(0)
	s_mul_i32 s18, s12, s10
	v_and_b32_e32 v6, 0xff8, v3
	s_ashr_i32 s19, s18, 31
	s_lshl_b64 s[18:19], s[18:19], 2
	v_lshl_add_u32 v6, v1, 8, v6
	s_add_u32 s7, s16, s18
	s_addc_u32 s12, s17, s19
	s_ashr_i32 s21, s20, 31
	s_lshl_b64 s[16:17], s[20:21], 2
	s_add_u32 s16, s7, s16
	s_addc_u32 s17, s12, s17
	global_load_dwordx2 v[4:5], v2, s[16:17]
	s_waitcnt vmcnt(0)
	ds_write_b64 v6, v[4:5]
.LBB24_4:
	s_or_b32 exec_lo, exec_lo, s3
	s_load_dwordx4 s[16:19], s[4:5], 0x68
	s_mul_i32 s3, s23, s11
	s_xor_b32 s2, s1, s2
	s_sub_i32 s1, s22, s3
	s_add_i32 s3, s23, 1
	s_sub_i32 s7, s1, s11
	s_cmp_ge_u32 s1, s11
	s_waitcnt lgkmcnt(0)
	s_mov_b32 s15, -1
	s_cselect_b32 s3, s3, s23
	s_cselect_b32 s1, s7, s1
	s_add_i32 s7, s3, 1
	s_cmp_ge_u32 s1, s11
	s_load_dword s1, s[4:5], 0x78
	s_cselect_b32 s3, s7, s3
	s_add_i32 s11, s30, -1
	s_xor_b32 s3, s3, s2
	s_abs_i32 s7, s11
	s_sub_i32 s2, s3, s2
	s_waitcnt lgkmcnt(0)
	s_barrier
	s_abs_i32 s12, s19
	buffer_gl0_inv
	v_cvt_f32_u32_e32 v4, s12
	s_sub_i32 s3, 0, s12
                                        ; implicit-def: $sgpr31
	v_rcp_iflag_f32_e32 v4, v4
	v_mul_f32_e32 v4, 0x4f7ffffe, v4
	v_cvt_u32_f32_e32 v4, v4
	v_readfirstlane_b32 s21, v4
	s_mul_i32 s3, s3, s21
	s_mul_hi_u32 s3, s21, s3
	s_add_i32 s21, s21, s3
	s_cmp_lt_i32 s1, 0
	s_mul_hi_u32 s3, s7, s21
	s_cbranch_scc0 .LBB24_6
; %bb.5:
	s_mul_i32 s15, s16, s28
	s_add_i32 s15, s2, s15
	s_mul_i32 s15, s15, s1
	s_sub_i32 s31, 1, s15
	s_mov_b32 s15, 0
.LBB24_6:
	s_load_dwordx2 s[22:23], s[4:5], 0x28
	s_ashr_i32 s11, s11, 31
	s_andn2_b32 vcc_lo, exec_lo, s15
	s_ashr_i32 s19, s19, 31
	s_cbranch_vccnz .LBB24_8
; %bb.7:
	s_mul_i32 s15, s9, s16
	s_add_i32 s6, s15, s6
	s_mul_i32 s1, s6, s1
	s_add_i32 s31, s1, 1
.LBB24_8:
	s_load_dword s1, s[4:5], 0x38
	s_mul_i32 s6, s3, s12
	s_xor_b32 s15, s11, s19
	s_sub_i32 s28, s7, s6
	s_add_i32 s16, s3, 1
	s_clause 0x2
	s_load_dwordx2 s[6:7], s[4:5], 0x0
	s_load_dwordx2 s[26:27], s[4:5], 0x18
	s_load_dword s11, s[4:5], 0x88
	v_lshrrev_b32_e32 v71, 5, v0
	v_mov_b32_e32 v6, 0xff7fffff
	v_lshrrev_b32_e32 v4, 3, v0
	v_mbcnt_lo_u32_b32 v5, -1, 0
	s_mul_i32 s14, s2, s14
	v_lshlrev_b32_e32 v72, 4, v71
	s_waitcnt lgkmcnt(0)
	s_mul_i32 s24, s1, s10
	s_sub_i32 s1, s28, s12
	s_ashr_i32 s25, s24, 31
	s_cmp_ge_u32 s28, s12
	s_cselect_b32 s3, s16, s3
	s_cselect_b32 s1, s1, s28
	s_add_i32 s16, s3, 1
	s_cmp_ge_u32 s1, s12
	s_cselect_b32 s1, s16, s3
	s_add_i32 s3, s30, 15
	s_ashr_i32 s16, s3, 31
	s_lshr_b32 s16, s16, 28
	s_add_i32 s3, s3, s16
	s_ashr_i32 s16, s3, 4
	s_xor_b32 s3, s1, s15
	v_cmp_gt_i32_e64 s1, s16, v71
	s_sub_i32 s28, s3, s15
	s_and_saveexec_b32 s34, s1
	s_cbranch_execz .LBB24_20
; %bb.9:
	s_load_dwordx2 s[2:3], s[4:5], 0x10
	s_ashr_i32 s15, s14, 31
	s_sub_i32 s5, s28, s17
	s_lshl_b64 s[36:37], s[14:15], 2
	v_bfe_u32 v7, v0, 1, 4
	v_and_b32_e32 v14, 8, v2
	v_cmp_eq_u32_e32 vcc_lo, 0, v1
	v_lshlrev_b32_e32 v8, 8, v1
	v_and_b32_e32 v1, 0x7c, v4
	v_lshlrev_b32_e32 v2, 2, v7
	v_subrev_nc_u32_e32 v13, s30, v7
	v_lshlrev_b32_e32 v15, 4, v7
	v_lshlrev_b32_e32 v9, 4, v71
	v_mov_b32_e32 v10, 0xff7fffff
	v_lshl_or_b32 v2, v71, 6, v2
	v_xor_b32_e32 v11, 1, v5
	s_waitcnt lgkmcnt(0)
	s_add_u32 s4, s2, s36
	s_addc_u32 s3, s3, s37
	s_abs_i32 s15, s18
	s_lshl_b64 s[36:37], s[24:25], 2
	v_cvt_f32_u32_e32 v6, s15
	s_sub_i32 s35, 0, s15
	v_add_co_u32 v15, s4, s4, v15
	v_add_co_ci_u32_e64 v17, null, s3, 0, s4
	v_rcp_iflag_f32_e32 v6, v6
	s_add_u32 s3, s22, s36
	s_addc_u32 s4, s23, s37
	v_add_co_u32 v1, s3, s3, v1
	v_cmp_neq_f32_e64 s2, s33, 0
	s_mov_b32 s36, s13
	v_mul_f32_e32 v12, 0x4f7ffffe, v6
	v_mov_b32_e32 v6, 0xff7fffff
	v_cvt_u32_f32_e32 v16, v12
	v_add_nc_u32_e32 v12, 1, v13
	v_add_nc_u32_e32 v13, 0x220, v2
	v_mul_lo_u32 v2, s35, v16
	s_mov_b32 s35, 0
	v_mul_hi_u32 v18, v16, v2
	v_add_co_ci_u32_e64 v2, null, s4, 0, s3
	v_add_co_u32 v14, s3, v15, v14
	v_add_co_ci_u32_e64 v15, null, 0, v17, s3
	v_mov_b32_e32 v17, v71
	v_add_nc_u32_e32 v16, v16, v18
	s_branch .LBB24_12
.LBB24_10:                              ;   in Loop: Header=BB24_12 Depth=1
	s_or_b32 exec_lo, exec_lo, s37
.LBB24_11:                              ;   in Loop: Header=BB24_12 Depth=1
	s_or_b32 exec_lo, exec_lo, s4
	v_add_nc_u32_e32 v17, 4, v17
	v_add_co_u32 v1, s4, v1, 16
	v_add_co_ci_u32_e64 v2, null, 0, v2, s4
	v_cmp_le_i32_e64 s3, s16, v17
	v_add_nc_u32_e32 v9, 64, v9
	v_add_nc_u32_e32 v13, 0x100, v13
	s_or_b32 s35, s3, s35
	s_andn2_b32 exec_lo, exec_lo, s35
	s_cbranch_execz .LBB24_19
.LBB24_12:                              ; =>This Inner Loop Header: Depth=1
	v_mul_hi_u32 v18, v9, s21
	s_waitcnt lgkmcnt(0)
	v_mul_lo_u32 v19, v18, s12
	v_add_nc_u32_e32 v20, 1, v18
	v_sub_nc_u32_e32 v19, v9, v19
	v_subrev_nc_u32_e32 v21, s12, v19
	v_cmp_le_u32_e64 s3, s12, v19
	v_cndmask_b32_e64 v18, v18, v20, s3
	v_cndmask_b32_e64 v19, v19, v21, s3
	v_add_nc_u32_e32 v20, 1, v18
	v_cmp_le_u32_e64 s3, s12, v19
	v_cndmask_b32_e64 v18, v18, v20, s3
	v_xor_b32_e32 v18, s19, v18
	v_subrev_nc_u32_e32 v18, s19, v18
	v_add_nc_u32_e32 v19, s31, v18
	v_cmp_ge_i32_e64 s4, s5, v18
	v_sub_nc_u32_e32 v20, 0, v19
	v_max_i32_e32 v20, v19, v20
	v_ashrrev_i32_e32 v19, 31, v19
	v_mul_hi_u32 v21, v20, v16
	v_mul_lo_u32 v21, v21, s15
	v_sub_nc_u32_e32 v20, v20, v21
	v_subrev_nc_u32_e32 v21, s15, v20
	v_cmp_le_u32_e64 s3, s15, v20
	v_cndmask_b32_e64 v20, v20, v21, s3
	v_subrev_nc_u32_e32 v21, s15, v20
	v_cmp_le_u32_e64 s3, s15, v20
	v_cndmask_b32_e64 v20, v20, v21, s3
	v_xor_b32_e32 v20, v20, v19
	v_sub_nc_u32_e32 v19, v20, v19
	v_cmp_ne_u32_e64 s3, 0, v19
	s_and_b32 s3, s3, s4
	s_and_saveexec_b32 s4, s3
	s_xor_b32 s3, exec_lo, s4
	s_cbranch_execz .LBB24_16
; %bb.13:                               ;   in Loop: Header=BB24_12 Depth=1
	s_and_saveexec_b32 s4, vcc_lo
; %bb.14:                               ;   in Loop: Header=BB24_12 Depth=1
	ds_write_b32 v13, v10
; %bb.15:                               ;   in Loop: Header=BB24_12 Depth=1
	s_or_b32 exec_lo, exec_lo, s4
.LBB24_16:                              ;   in Loop: Header=BB24_12 Depth=1
	s_andn2_saveexec_b32 s4, s3
	s_cbranch_execz .LBB24_11
; %bb.17:                               ;   in Loop: Header=BB24_12 Depth=1
	global_load_dword v18, v[1:2], off
	s_waitcnt vmcnt(0)
	v_mad_i64_i32 v[18:19], null, v18, s36, 0
	v_lshlrev_b64 v[18:19], 2, v[18:19]
	v_add_co_u32 v18, s3, v14, v18
	v_add_co_ci_u32_e64 v19, null, v15, v19, s3
	s_clause 0x7
	global_load_dwordx2 v[30:31], v[18:19], off offset:256
	global_load_dwordx2 v[32:33], v[18:19], off offset:512
	;; [unrolled: 1-line block ×3, first 2 shown]
	global_load_dwordx2 v[36:37], v[18:19], off
	global_load_dwordx2 v[38:39], v[18:19], off offset:1024
	global_load_dwordx2 v[40:41], v[18:19], off offset:1280
	;; [unrolled: 1-line block ×4, first 2 shown]
	v_add_co_u32 v20, s3, v18, 0x1000
	v_add_co_ci_u32_e64 v21, null, 0, v19, s3
	v_add_co_u32 v22, s3, 0x800, v18
	v_add_co_ci_u32_e64 v23, null, 0, v19, s3
	s_clause 0x7
	global_load_dwordx2 v[46:47], v[20:21], off offset:-2048
	global_load_dwordx2 v[48:49], v[22:23], off offset:256
	global_load_dwordx2 v[50:51], v[22:23], off offset:512
	;; [unrolled: 1-line block ×7, first 2 shown]
	v_add_co_u32 v22, s3, 0x1000, v18
	v_add_co_ci_u32_e64 v23, null, 0, v19, s3
	s_clause 0x6
	global_load_dwordx2 v[62:63], v[20:21], off
	global_load_dwordx2 v[64:65], v[22:23], off offset:256
	global_load_dwordx2 v[66:67], v[22:23], off offset:512
	;; [unrolled: 1-line block ×6, first 2 shown]
	v_add_co_u32 v18, s3, 0x1800, v18
	v_add_co_ci_u32_e64 v19, null, 0, v19, s3
	s_clause 0x8
	global_load_dwordx2 v[79:80], v[22:23], off offset:1792
	global_load_dwordx2 v[81:82], v[18:19], off
	global_load_dwordx2 v[83:84], v[18:19], off offset:256
	global_load_dwordx2 v[85:86], v[18:19], off offset:512
	;; [unrolled: 1-line block ×7, first 2 shown]
	ds_read_b128 v[18:21], v8
	ds_read_b128 v[22:25], v8 offset:16
	ds_read_b128 v[26:29], v8 offset:32
	v_cmp_gt_i32_e64 s3, 32, v11
	s_waitcnt vmcnt(31) lgkmcnt(2)
	v_mul_f32_e32 v30, v20, v30
	v_mul_f32_e32 v31, v21, v31
	s_waitcnt vmcnt(28)
	v_fmac_f32_e32 v30, v18, v36
	v_fmac_f32_e32 v31, v19, v37
	ds_read_b128 v[18:21], v8 offset:48
	s_waitcnt lgkmcnt(2)
	v_fmac_f32_e32 v30, v22, v32
	v_fmac_f32_e32 v31, v23, v33
	v_fmac_f32_e32 v30, v24, v34
	v_fmac_f32_e32 v31, v25, v35
	ds_read_b128 v[22:25], v8 offset:64
	s_waitcnt vmcnt(27) lgkmcnt(2)
	v_fmac_f32_e32 v30, v26, v38
	v_fmac_f32_e32 v31, v27, v39
	s_waitcnt vmcnt(26)
	v_fmac_f32_e32 v30, v28, v40
	v_fmac_f32_e32 v31, v29, v41
	ds_read_b128 v[26:29], v8 offset:80
	s_waitcnt vmcnt(25) lgkmcnt(2)
	v_fmac_f32_e32 v30, v18, v42
	v_fmac_f32_e32 v31, v19, v43
	s_waitcnt vmcnt(24)
	v_fmac_f32_e32 v30, v20, v44
	v_fmac_f32_e32 v31, v21, v45
	;; [unrolled: 7-line block ×12, first 2 shown]
	s_waitcnt vmcnt(3) lgkmcnt(1)
	v_fmac_f32_e32 v30, v89, v26
	v_fmac_f32_e32 v31, v90, v27
	s_waitcnt vmcnt(2)
	v_fmac_f32_e32 v30, v91, v28
	v_fmac_f32_e32 v31, v92, v29
	s_waitcnt vmcnt(1) lgkmcnt(0)
	v_fmac_f32_e32 v30, v93, v18
	v_fmac_f32_e32 v31, v94, v19
	v_cndmask_b32_e64 v18, v5, v11, s3
	s_waitcnt vmcnt(0)
	v_fmac_f32_e32 v30, v95, v20
	v_fmac_f32_e32 v31, v96, v21
	v_lshlrev_b32_e32 v19, 2, v18
	v_add_f32_e32 v18, v30, v31
	ds_bpermute_b32 v19, v19, v18
	s_and_saveexec_b32 s37, vcc_lo
	s_cbranch_execz .LBB24_10
; %bb.18:                               ;   in Loop: Header=BB24_12 Depth=1
	v_add_nc_u32_e32 v20, v12, v9
	s_waitcnt lgkmcnt(0)
	v_add_f32_e32 v18, v18, v19
	v_cvt_f32_i32_e32 v20, v20
	v_mul_f32_e32 v20, s33, v20
	v_cndmask_b32_e64 v19, 0, v20, s2
	v_max_f32_e32 v20, v6, v6
	v_fmac_f32_e32 v19, s29, v18
	v_add_nc_u32_e32 v18, v7, v9
	v_max_f32_e32 v20, v20, v19
	v_cmp_gt_i32_e64 s3, s30, v18
	v_cndmask_b32_e64 v18, 0, v19, s3
	v_cndmask_b32_e64 v6, v6, v20, s3
	ds_write_b32 v13, v18
	s_branch .LBB24_10
.LBB24_19:
	s_or_b32 exec_lo, exec_lo, s35
.LBB24_20:
	s_or_b32 exec_lo, exec_lo, s34
	v_xor_b32_e32 v1, 16, v5
	v_xor_b32_e32 v7, 8, v5
	v_max_f32_e32 v8, v6, v6
	v_and_b32_e32 v73, 31, v0
	v_cmp_gt_i32_e32 vcc_lo, 32, v1
	v_cndmask_b32_e32 v1, v5, v1, vcc_lo
	v_cmp_gt_i32_e32 vcc_lo, 32, v7
	v_lshlrev_b32_e32 v1, 2, v1
	ds_bpermute_b32 v2, v1, v6
	v_cndmask_b32_e32 v6, v5, v7, vcc_lo
	v_lshlrev_b32_e32 v6, 2, v6
	s_waitcnt lgkmcnt(0)
	v_max_f32_e32 v2, v2, v2
	v_max_f32_e32 v2, v8, v2
	v_xor_b32_e32 v8, 4, v5
	ds_bpermute_b32 v7, v6, v2
	v_cmp_gt_i32_e32 vcc_lo, 32, v8
	v_cndmask_b32_e32 v8, v5, v8, vcc_lo
	s_waitcnt lgkmcnt(0)
	v_max_f32_e32 v9, v7, v7
	v_lshlrev_b32_e32 v7, 2, v8
	v_max_f32_e32 v2, v2, v9
	v_xor_b32_e32 v9, 2, v5
	ds_bpermute_b32 v8, v7, v2
	v_cmp_gt_i32_e32 vcc_lo, 32, v9
	v_cndmask_b32_e32 v9, v5, v9, vcc_lo
	v_cmp_eq_u32_e32 vcc_lo, 0, v73
	v_lshlrev_b32_e32 v74, 2, v9
	s_waitcnt lgkmcnt(0)
	v_max_f32_e32 v8, v8, v8
	v_max_f32_e32 v2, v2, v8
	v_lshlrev_b32_e32 v8, 2, v71
	ds_bpermute_b32 v9, v74, v2
	s_and_saveexec_b32 s2, vcc_lo
	s_cbranch_execz .LBB24_22
; %bb.21:
	s_waitcnt lgkmcnt(0)
	v_max_f32_e32 v9, v9, v9
	v_max_f32_e32 v2, v2, v2
	;; [unrolled: 1-line block ×3, first 2 shown]
	ds_write_b32 v8, v2 offset:512
.LBB24_22:
	s_or_b32 exec_lo, exec_lo, s2
	v_cmp_gt_u32_e64 s2, 4, v73
	v_mov_b32_e32 v2, 0xff7fffff
	s_waitcnt lgkmcnt(0)
	v_lshlrev_b32_e32 v9, 2, v73
	s_barrier
	buffer_gl0_inv
	s_and_saveexec_b32 s3, s2
; %bb.23:
	ds_read_b32 v2, v9 offset:512
; %bb.24:
	s_or_b32 exec_lo, exec_lo, s3
	s_waitcnt lgkmcnt(0)
	ds_bpermute_b32 v10, v74, v2
	v_xor_b32_e32 v11, 1, v5
	v_max_f32_e32 v2, v2, v2
	v_cmp_gt_i32_e64 s3, 32, v11
	v_cndmask_b32_e64 v5, v5, v11, s3
	s_lshl_b32 s3, s16, 4
	s_min_i32 s5, s3, s30
	v_lshlrev_b32_e32 v75, 2, v5
	v_cmp_gt_i32_e64 s3, s5, v0
	s_waitcnt lgkmcnt(0)
	v_max_f32_e32 v10, v10, v10
	v_max_f32_e32 v2, v2, v10
	ds_bpermute_b32 v5, v75, v2
	s_waitcnt lgkmcnt(0)
	v_max_f32_e32 v5, v5, v5
	v_max_f32_e32 v2, v2, v5
	v_mov_b32_e32 v5, 0
	ds_bpermute_b32 v10, v5, v2
	v_lshl_add_u32 v2, v0, 2, 0x220
	s_and_saveexec_b32 s15, s3
	s_cbranch_execz .LBB24_28
; %bb.25:
	v_lshl_add_u32 v11, v0, 2, 0x220
	v_mov_b32_e32 v5, 0
	v_mov_b32_e32 v12, v0
	s_mov_b32 s29, 0
	.p2align	6
.LBB24_26:                              ; =>This Inner Loop Header: Depth=1
	ds_read_b32 v13, v11
	v_add_nc_u32_e32 v12, 0x80, v12
	v_cmp_le_i32_e64 s4, s5, v12
	s_or_b32 s29, s4, s29
	s_waitcnt lgkmcnt(0)
	v_sub_f32_e32 v13, v13, v10
	v_mul_f32_e32 v13, 0x3fb8aa3b, v13
	v_exp_f32_e32 v13, v13
	ds_write_b32 v11, v13
	v_add_f32_e32 v5, v5, v13
	v_add_nc_u32_e32 v11, 0x200, v11
	s_andn2_b32 exec_lo, exec_lo, s29
	s_cbranch_execnz .LBB24_26
; %bb.27:
	s_or_b32 exec_lo, exec_lo, s29
.LBB24_28:
	s_or_b32 exec_lo, exec_lo, s15
	ds_bpermute_b32 v1, v1, v5
	s_waitcnt lgkmcnt(0)
	v_add_f32_e32 v1, v5, v1
	ds_bpermute_b32 v5, v6, v1
	s_waitcnt lgkmcnt(0)
	v_add_f32_e32 v1, v1, v5
	;; [unrolled: 3-line block ×5, first 2 shown]
	s_and_saveexec_b32 s4, vcc_lo
; %bb.29:
	ds_write_b32 v8, v1 offset:528
; %bb.30:
	s_or_b32 exec_lo, exec_lo, s4
	s_waitcnt lgkmcnt(0)
	s_barrier
	buffer_gl0_inv
	s_and_saveexec_b32 s4, s2
; %bb.31:
	ds_read_b32 v1, v9 offset:528
; %bb.32:
	s_or_b32 exec_lo, exec_lo, s4
	s_waitcnt lgkmcnt(0)
	ds_bpermute_b32 v5, v74, v1
	s_waitcnt lgkmcnt(0)
	v_add_f32_e32 v1, v1, v5
	ds_bpermute_b32 v5, v75, v1
	s_waitcnt lgkmcnt(0)
	v_add_f32_e32 v1, v1, v5
	v_mov_b32_e32 v5, 0
	ds_bpermute_b32 v1, v5, v1
	s_and_saveexec_b32 s2, s3
	s_cbranch_execz .LBB24_35
; %bb.33:
	s_waitcnt lgkmcnt(0)
	v_add_f32_e32 v1, 0x358637bd, v1
	s_mov_b32 s3, 0
	v_div_scale_f32 v5, null, v1, v1, 1.0
	v_div_scale_f32 v8, vcc_lo, 1.0, v1, 1.0
	v_rcp_f32_e32 v6, v5
	v_fma_f32 v7, -v5, v6, 1.0
	v_fmac_f32_e32 v6, v7, v6
	v_mul_f32_e32 v7, v8, v6
	v_fma_f32 v9, -v5, v7, v8
	v_fmac_f32_e32 v7, v9, v6
	v_fma_f32 v5, -v5, v7, v8
	v_div_fmas_f32 v5, v5, v6, v7
	v_div_fixup_f32 v1, v5, v1, 1.0
	v_mov_b32_e32 v5, v0
.LBB24_34:                              ; =>This Inner Loop Header: Depth=1
	ds_read_b32 v6, v2
	v_add_nc_u32_e32 v5, 0x80, v5
	v_cmp_le_i32_e32 vcc_lo, s5, v5
	s_or_b32 s3, vcc_lo, s3
	s_waitcnt lgkmcnt(0)
	v_mul_f32_e32 v6, v1, v6
	ds_write_b32 v2, v6
	v_add_nc_u32_e32 v2, 0x200, v2
	s_andn2_b32 exec_lo, exec_lo, s3
	s_cbranch_execnz .LBB24_34
.LBB24_35:
	s_or_b32 exec_lo, exec_lo, s2
	v_mov_b32_e32 v92, 0
	v_and_b32_e32 v76, 3, v0
	v_mov_b32_e32 v91, 0
	v_mov_b32_e32 v90, 0
	;; [unrolled: 1-line block ×15, first 2 shown]
	s_waitcnt lgkmcnt(0)
	s_barrier
	buffer_gl0_inv
	s_and_saveexec_b32 s5, s1
	s_cbranch_execz .LBB24_73
; %bb.36:
	s_ashr_i32 s15, s14, 31
	v_lshlrev_b32_e32 v2, 4, v0
	s_lshl_b64 s[2:3], s[14:15], 2
	s_sub_i32 s14, s28, s17
	s_add_u32 s1, s26, s2
	s_addc_u32 s4, s27, s3
	s_abs_i32 s15, s18
	v_and_b32_e32 v93, 12, v3
	v_cvt_f32_u32_e32 v1, s15
	s_sub_i32 s2, 0, s15
	v_and_b32_e32 v3, 0x7c, v4
	v_lshlrev_b32_e32 v4, 4, v76
	v_and_b32_e32 v2, 0x1f0, v2
	v_rcp_iflag_f32_e32 v1, v1
	s_add_i32 s17, s16, -1
	v_mov_b32_e32 v77, 0
	v_lshl_or_b32 v4, v71, 6, v4
	v_add_co_u32 v94, s1, s1, v2
	v_add_co_ci_u32_e64 v95, null, s4, 0, s1
	v_mov_b32_e32 v78, 0
	v_mov_b32_e32 v79, 0
	v_mul_f32_e32 v1, 0x4f7ffffe, v1
	v_mov_b32_e32 v80, 0
	v_mov_b32_e32 v81, 0
	;; [unrolled: 1-line block ×4, first 2 shown]
	v_cvt_u32_f32_e32 v1, v1
	v_mov_b32_e32 v84, 0
	v_mov_b32_e32 v85, 0
	;; [unrolled: 1-line block ×4, first 2 shown]
	v_mul_lo_u32 v5, s2, v1
	s_lshl_b64 s[2:3], s[24:25], 2
	v_mov_b32_e32 v88, 0
	s_add_u32 s2, s22, s2
	s_addc_u32 s3, s23, s3
	v_add_co_u32 v69, s1, s2, v3
	v_mov_b32_e32 v89, 0
	v_mul_hi_u32 v5, v1, v5
	v_mov_b32_e32 v90, 0
	v_mov_b32_e32 v91, 0
	;; [unrolled: 1-line block ×3, first 2 shown]
	v_add_nc_u32_e32 v96, 0x220, v4
	v_add_co_ci_u32_e64 v70, null, s3, 0, s1
	v_mov_b32_e32 v98, v71
	v_add_nc_u32_e32 v97, v1, v5
	s_mov_b32 s18, s13
	s_mov_b32 s13, 0
	s_branch .LBB24_39
.LBB24_37:                              ;   in Loop: Header=BB24_39 Depth=1
	s_or_b32 exec_lo, exec_lo, s1
	s_waitcnt vmcnt(1) lgkmcnt(0)
	v_mul_f32_e32 v65, v1, v65
	v_mul_f32_e32 v61, v1, v61
	;; [unrolled: 1-line block ×15, first 2 shown]
	s_waitcnt vmcnt(0)
	v_mul_f32_e32 v1, v1, v53
	v_fmac_f32_e32 v65, v2, v66
	v_fmac_f32_e32 v61, v2, v62
	;; [unrolled: 1-line block ×48, first 2 shown]
	v_add_f32_e32 v78, v78, v65
	v_add_f32_e32 v79, v79, v61
	;; [unrolled: 1-line block ×16, first 2 shown]
.LBB24_38:                              ;   in Loop: Header=BB24_39 Depth=1
	s_or_b32 exec_lo, exec_lo, s22
	v_add_nc_u32_e32 v98, 4, v98
	v_add_co_u32 v69, s1, v69, 16
	v_add_co_ci_u32_e64 v70, null, 0, v70, s1
	v_cmp_le_i32_e32 vcc_lo, s16, v98
	v_add_nc_u32_e32 v72, 64, v72
	v_add_nc_u32_e32 v96, 0x100, v96
	s_or_b32 s13, vcc_lo, s13
	s_andn2_b32 exec_lo, exec_lo, s13
	s_cbranch_execz .LBB24_72
.LBB24_39:                              ; =>This Inner Loop Header: Depth=1
	v_mul_hi_u32 v1, v72, s21
	v_mul_lo_u32 v2, v1, s12
	v_add_nc_u32_e32 v3, 1, v1
	v_sub_nc_u32_e32 v2, v72, v2
	v_subrev_nc_u32_e32 v4, s12, v2
	v_cmp_le_u32_e32 vcc_lo, s12, v2
	v_cndmask_b32_e32 v1, v1, v3, vcc_lo
	v_cndmask_b32_e32 v2, v2, v4, vcc_lo
	v_add_nc_u32_e32 v3, 1, v1
	v_cmp_le_u32_e32 vcc_lo, s12, v2
	v_cndmask_b32_e32 v1, v1, v3, vcc_lo
	v_xor_b32_e32 v1, s19, v1
	v_subrev_nc_u32_e32 v1, s19, v1
	v_add_nc_u32_e32 v2, s31, v1
	v_cmp_lt_i32_e64 s1, s14, v1
	v_sub_nc_u32_e32 v3, 0, v2
	v_max_i32_e32 v3, v2, v3
	v_ashrrev_i32_e32 v2, 31, v2
	v_mul_hi_u32 v4, v3, v97
	v_mul_lo_u32 v4, v4, s15
	v_sub_nc_u32_e32 v3, v3, v4
	v_subrev_nc_u32_e32 v4, s15, v3
	v_cmp_le_u32_e32 vcc_lo, s15, v3
	v_cndmask_b32_e32 v3, v3, v4, vcc_lo
	v_subrev_nc_u32_e32 v4, s15, v3
	v_cmp_le_u32_e32 vcc_lo, s15, v3
	v_cndmask_b32_e32 v3, v3, v4, vcc_lo
	v_xor_b32_e32 v3, v3, v2
	v_sub_nc_u32_e32 v2, v3, v2
	v_cmp_eq_u32_e32 vcc_lo, 0, v2
	s_or_b32 s1, vcc_lo, s1
	s_and_saveexec_b32 s22, s1
	s_cbranch_execz .LBB24_38
; %bb.40:                               ;   in Loop: Header=BB24_39 Depth=1
	global_load_dword v1, v[69:70], off
	v_add_nc_u32_e32 v99, v93, v72
	v_add_nc_u32_e32 v102, 1, v99
	;; [unrolled: 1-line block ×4, first 2 shown]
	s_waitcnt vmcnt(0)
	v_mad_i64_i32 v[1:2], null, v1, s18, 0
	v_lshlrev_b64 v[1:2], 2, v[1:2]
	v_add_co_u32 v53, vcc_lo, v94, v1
	v_add_co_ci_u32_e64 v54, null, v95, v2, vcc_lo
	ds_read_b128 v[1:4], v96
	v_cmp_eq_u32_e32 vcc_lo, s17, v98
	global_load_dwordx4 v[5:8], v[53:54], off
	s_and_saveexec_b32 s2, vcc_lo
	s_cbranch_execnz .LBB24_59
; %bb.41:                               ;   in Loop: Header=BB24_39 Depth=1
	s_or_b32 exec_lo, exec_lo, s2
	global_load_dwordx4 v[9:12], v[53:54], off offset:512
	s_and_saveexec_b32 s2, vcc_lo
	s_cbranch_execnz .LBB24_60
.LBB24_42:                              ;   in Loop: Header=BB24_39 Depth=1
	s_or_b32 exec_lo, exec_lo, s2
	global_load_dwordx4 v[13:16], v[53:54], off offset:1024
	s_and_saveexec_b32 s2, vcc_lo
	s_cbranch_execnz .LBB24_61
.LBB24_43:                              ;   in Loop: Header=BB24_39 Depth=1
	s_or_b32 exec_lo, exec_lo, s2
	global_load_dwordx4 v[17:20], v[53:54], off offset:1536
	s_and_saveexec_b32 s2, vcc_lo
	s_cbranch_execz .LBB24_45
.LBB24_44:                              ;   in Loop: Header=BB24_39 Depth=1
	v_cmp_gt_i32_e64 s1, s30, v99
	s_waitcnt vmcnt(0)
	v_cndmask_b32_e64 v17, 0, v17, s1
	v_cmp_gt_i32_e64 s1, s30, v102
	v_cndmask_b32_e64 v18, 0, v18, s1
	v_cmp_gt_i32_e64 s1, s30, v101
	;; [unrolled: 2-line block ×3, first 2 shown]
	v_cndmask_b32_e64 v20, 0, v20, s1
.LBB24_45:                              ;   in Loop: Header=BB24_39 Depth=1
	s_or_b32 exec_lo, exec_lo, s2
	v_add_co_u32 v33, s1, 0x800, v53
	v_add_co_ci_u32_e64 v34, null, 0, v54, s1
	global_load_dwordx4 v[21:24], v[33:34], off
	s_and_saveexec_b32 s2, vcc_lo
	s_cbranch_execnz .LBB24_62
; %bb.46:                               ;   in Loop: Header=BB24_39 Depth=1
	s_or_b32 exec_lo, exec_lo, s2
	global_load_dwordx4 v[25:28], v[33:34], off offset:512
	s_and_saveexec_b32 s2, vcc_lo
	s_cbranch_execnz .LBB24_63
.LBB24_47:                              ;   in Loop: Header=BB24_39 Depth=1
	s_or_b32 exec_lo, exec_lo, s2
	global_load_dwordx4 v[29:32], v[33:34], off offset:1024
	s_and_saveexec_b32 s2, vcc_lo
	s_cbranch_execnz .LBB24_64
.LBB24_48:                              ;   in Loop: Header=BB24_39 Depth=1
	s_or_b32 exec_lo, exec_lo, s2
	global_load_dwordx4 v[33:36], v[33:34], off offset:1536
	s_and_saveexec_b32 s2, vcc_lo
	s_cbranch_execz .LBB24_50
.LBB24_49:                              ;   in Loop: Header=BB24_39 Depth=1
	v_cmp_gt_i32_e64 s1, s30, v99
	s_waitcnt vmcnt(0)
	v_cndmask_b32_e64 v33, 0, v33, s1
	v_cmp_gt_i32_e64 s1, s30, v102
	v_cndmask_b32_e64 v34, 0, v34, s1
	v_cmp_gt_i32_e64 s1, s30, v101
	;; [unrolled: 2-line block ×3, first 2 shown]
	v_cndmask_b32_e64 v36, 0, v36, s1
.LBB24_50:                              ;   in Loop: Header=BB24_39 Depth=1
	s_or_b32 exec_lo, exec_lo, s2
	v_add_co_u32 v49, s1, 0x1000, v53
	v_add_co_ci_u32_e64 v50, null, 0, v54, s1
	global_load_dwordx4 v[37:40], v[49:50], off
	s_and_saveexec_b32 s2, vcc_lo
	s_cbranch_execnz .LBB24_65
; %bb.51:                               ;   in Loop: Header=BB24_39 Depth=1
	s_or_b32 exec_lo, exec_lo, s2
	global_load_dwordx4 v[41:44], v[49:50], off offset:512
	s_and_saveexec_b32 s2, vcc_lo
	s_cbranch_execnz .LBB24_66
.LBB24_52:                              ;   in Loop: Header=BB24_39 Depth=1
	s_or_b32 exec_lo, exec_lo, s2
	global_load_dwordx4 v[45:48], v[49:50], off offset:1024
	s_and_saveexec_b32 s2, vcc_lo
	s_cbranch_execnz .LBB24_67
.LBB24_53:                              ;   in Loop: Header=BB24_39 Depth=1
	s_or_b32 exec_lo, exec_lo, s2
	global_load_dwordx4 v[49:52], v[49:50], off offset:1536
	s_and_saveexec_b32 s2, vcc_lo
	s_cbranch_execz .LBB24_55
.LBB24_54:                              ;   in Loop: Header=BB24_39 Depth=1
	v_cmp_gt_i32_e64 s1, s30, v99
	s_waitcnt vmcnt(0)
	v_cndmask_b32_e64 v49, 0, v49, s1
	v_cmp_gt_i32_e64 s1, s30, v102
	v_cndmask_b32_e64 v50, 0, v50, s1
	v_cmp_gt_i32_e64 s1, s30, v101
	;; [unrolled: 2-line block ×3, first 2 shown]
	v_cndmask_b32_e64 v52, 0, v52, s1
.LBB24_55:                              ;   in Loop: Header=BB24_39 Depth=1
	s_or_b32 exec_lo, exec_lo, s2
	v_add_co_u32 v53, s1, 0x1800, v53
	v_add_co_ci_u32_e64 v54, null, 0, v54, s1
	global_load_dwordx4 v[57:60], v[53:54], off
	s_and_saveexec_b32 s2, vcc_lo
	s_cbranch_execnz .LBB24_68
; %bb.56:                               ;   in Loop: Header=BB24_39 Depth=1
	s_or_b32 exec_lo, exec_lo, s2
	global_load_dwordx4 v[61:64], v[53:54], off offset:512
	s_and_saveexec_b32 s23, vcc_lo
	s_cbranch_execnz .LBB24_69
.LBB24_57:                              ;   in Loop: Header=BB24_39 Depth=1
	s_or_b32 exec_lo, exec_lo, s23
	global_load_dwordx4 v[65:68], v[53:54], off offset:1024
	s_and_saveexec_b32 s2, vcc_lo
	s_cbranch_execnz .LBB24_70
.LBB24_58:                              ;   in Loop: Header=BB24_39 Depth=1
	s_or_b32 exec_lo, exec_lo, s2
	global_load_dwordx4 v[53:56], v[53:54], off offset:1536
	s_and_saveexec_b32 s1, vcc_lo
	s_cbranch_execz .LBB24_37
	s_branch .LBB24_71
.LBB24_59:                              ;   in Loop: Header=BB24_39 Depth=1
	v_cmp_gt_i32_e64 s1, s30, v99
	s_waitcnt vmcnt(0)
	v_cndmask_b32_e64 v5, 0, v5, s1
	v_cmp_gt_i32_e64 s1, s30, v102
	v_cndmask_b32_e64 v6, 0, v6, s1
	v_cmp_gt_i32_e64 s1, s30, v101
	;; [unrolled: 2-line block ×3, first 2 shown]
	v_cndmask_b32_e64 v8, 0, v8, s1
	s_or_b32 exec_lo, exec_lo, s2
	global_load_dwordx4 v[9:12], v[53:54], off offset:512
	s_and_saveexec_b32 s2, vcc_lo
	s_cbranch_execz .LBB24_42
.LBB24_60:                              ;   in Loop: Header=BB24_39 Depth=1
	v_cmp_gt_i32_e64 s1, s30, v99
	s_waitcnt vmcnt(0)
	v_cndmask_b32_e64 v9, 0, v9, s1
	v_cmp_gt_i32_e64 s1, s30, v102
	v_cndmask_b32_e64 v10, 0, v10, s1
	v_cmp_gt_i32_e64 s1, s30, v101
	;; [unrolled: 2-line block ×3, first 2 shown]
	v_cndmask_b32_e64 v12, 0, v12, s1
	s_or_b32 exec_lo, exec_lo, s2
	global_load_dwordx4 v[13:16], v[53:54], off offset:1024
	s_and_saveexec_b32 s2, vcc_lo
	s_cbranch_execz .LBB24_43
.LBB24_61:                              ;   in Loop: Header=BB24_39 Depth=1
	v_cmp_gt_i32_e64 s1, s30, v99
	s_waitcnt vmcnt(0)
	v_cndmask_b32_e64 v13, 0, v13, s1
	v_cmp_gt_i32_e64 s1, s30, v102
	v_cndmask_b32_e64 v14, 0, v14, s1
	v_cmp_gt_i32_e64 s1, s30, v101
	v_cndmask_b32_e64 v15, 0, v15, s1
	v_cmp_gt_i32_e64 s1, s30, v100
	v_cndmask_b32_e64 v16, 0, v16, s1
	s_or_b32 exec_lo, exec_lo, s2
	global_load_dwordx4 v[17:20], v[53:54], off offset:1536
	s_and_saveexec_b32 s2, vcc_lo
	s_cbranch_execnz .LBB24_44
	s_branch .LBB24_45
.LBB24_62:                              ;   in Loop: Header=BB24_39 Depth=1
	v_cmp_gt_i32_e64 s1, s30, v99
	s_waitcnt vmcnt(0)
	v_cndmask_b32_e64 v21, 0, v21, s1
	v_cmp_gt_i32_e64 s1, s30, v102
	v_cndmask_b32_e64 v22, 0, v22, s1
	v_cmp_gt_i32_e64 s1, s30, v101
	;; [unrolled: 2-line block ×3, first 2 shown]
	v_cndmask_b32_e64 v24, 0, v24, s1
	s_or_b32 exec_lo, exec_lo, s2
	global_load_dwordx4 v[25:28], v[33:34], off offset:512
	s_and_saveexec_b32 s2, vcc_lo
	s_cbranch_execz .LBB24_47
.LBB24_63:                              ;   in Loop: Header=BB24_39 Depth=1
	v_cmp_gt_i32_e64 s1, s30, v99
	s_waitcnt vmcnt(0)
	v_cndmask_b32_e64 v25, 0, v25, s1
	v_cmp_gt_i32_e64 s1, s30, v102
	v_cndmask_b32_e64 v26, 0, v26, s1
	v_cmp_gt_i32_e64 s1, s30, v101
	;; [unrolled: 2-line block ×3, first 2 shown]
	v_cndmask_b32_e64 v28, 0, v28, s1
	s_or_b32 exec_lo, exec_lo, s2
	global_load_dwordx4 v[29:32], v[33:34], off offset:1024
	s_and_saveexec_b32 s2, vcc_lo
	s_cbranch_execz .LBB24_48
.LBB24_64:                              ;   in Loop: Header=BB24_39 Depth=1
	v_cmp_gt_i32_e64 s1, s30, v99
	s_waitcnt vmcnt(0)
	v_cndmask_b32_e64 v29, 0, v29, s1
	v_cmp_gt_i32_e64 s1, s30, v102
	v_cndmask_b32_e64 v30, 0, v30, s1
	v_cmp_gt_i32_e64 s1, s30, v101
	;; [unrolled: 2-line block ×3, first 2 shown]
	v_cndmask_b32_e64 v32, 0, v32, s1
	s_or_b32 exec_lo, exec_lo, s2
	global_load_dwordx4 v[33:36], v[33:34], off offset:1536
	s_and_saveexec_b32 s2, vcc_lo
	s_cbranch_execnz .LBB24_49
	s_branch .LBB24_50
.LBB24_65:                              ;   in Loop: Header=BB24_39 Depth=1
	v_cmp_gt_i32_e64 s1, s30, v99
	s_waitcnt vmcnt(0)
	v_cndmask_b32_e64 v37, 0, v37, s1
	v_cmp_gt_i32_e64 s1, s30, v102
	v_cndmask_b32_e64 v38, 0, v38, s1
	v_cmp_gt_i32_e64 s1, s30, v101
	;; [unrolled: 2-line block ×3, first 2 shown]
	v_cndmask_b32_e64 v40, 0, v40, s1
	s_or_b32 exec_lo, exec_lo, s2
	global_load_dwordx4 v[41:44], v[49:50], off offset:512
	s_and_saveexec_b32 s2, vcc_lo
	s_cbranch_execz .LBB24_52
.LBB24_66:                              ;   in Loop: Header=BB24_39 Depth=1
	v_cmp_gt_i32_e64 s1, s30, v99
	s_waitcnt vmcnt(0)
	v_cndmask_b32_e64 v41, 0, v41, s1
	v_cmp_gt_i32_e64 s1, s30, v102
	v_cndmask_b32_e64 v42, 0, v42, s1
	v_cmp_gt_i32_e64 s1, s30, v101
	;; [unrolled: 2-line block ×3, first 2 shown]
	v_cndmask_b32_e64 v44, 0, v44, s1
	s_or_b32 exec_lo, exec_lo, s2
	global_load_dwordx4 v[45:48], v[49:50], off offset:1024
	s_and_saveexec_b32 s2, vcc_lo
	s_cbranch_execz .LBB24_53
.LBB24_67:                              ;   in Loop: Header=BB24_39 Depth=1
	v_cmp_gt_i32_e64 s1, s30, v99
	s_waitcnt vmcnt(0)
	v_cndmask_b32_e64 v45, 0, v45, s1
	v_cmp_gt_i32_e64 s1, s30, v102
	v_cndmask_b32_e64 v46, 0, v46, s1
	v_cmp_gt_i32_e64 s1, s30, v101
	;; [unrolled: 2-line block ×3, first 2 shown]
	v_cndmask_b32_e64 v48, 0, v48, s1
	s_or_b32 exec_lo, exec_lo, s2
	global_load_dwordx4 v[49:52], v[49:50], off offset:1536
	s_and_saveexec_b32 s2, vcc_lo
	s_cbranch_execnz .LBB24_54
	s_branch .LBB24_55
.LBB24_68:                              ;   in Loop: Header=BB24_39 Depth=1
	v_cmp_gt_i32_e64 s1, s30, v99
	s_waitcnt vmcnt(0)
	v_cndmask_b32_e64 v57, 0, v57, s1
	v_cmp_gt_i32_e64 s1, s30, v102
	v_cndmask_b32_e64 v58, 0, v58, s1
	v_cmp_gt_i32_e64 s1, s30, v101
	;; [unrolled: 2-line block ×3, first 2 shown]
	v_cndmask_b32_e64 v60, 0, v60, s1
	s_or_b32 exec_lo, exec_lo, s2
	global_load_dwordx4 v[61:64], v[53:54], off offset:512
	s_and_saveexec_b32 s23, vcc_lo
	s_cbranch_execz .LBB24_57
.LBB24_69:                              ;   in Loop: Header=BB24_39 Depth=1
	v_cmp_gt_i32_e64 s1, s30, v99
	v_cmp_gt_i32_e64 s2, s30, v102
	;; [unrolled: 1-line block ×4, first 2 shown]
	s_waitcnt vmcnt(0)
	v_cndmask_b32_e64 v61, 0, v61, s1
	v_cndmask_b32_e64 v62, 0, v62, s2
	;; [unrolled: 1-line block ×4, first 2 shown]
	s_or_b32 exec_lo, exec_lo, s23
	global_load_dwordx4 v[65:68], v[53:54], off offset:1024
	s_and_saveexec_b32 s2, vcc_lo
	s_cbranch_execz .LBB24_58
.LBB24_70:                              ;   in Loop: Header=BB24_39 Depth=1
	v_cmp_gt_i32_e64 s1, s30, v99
	s_waitcnt vmcnt(0)
	v_cndmask_b32_e64 v65, 0, v65, s1
	v_cmp_gt_i32_e64 s1, s30, v102
	v_cndmask_b32_e64 v66, 0, v66, s1
	v_cmp_gt_i32_e64 s1, s30, v101
	;; [unrolled: 2-line block ×3, first 2 shown]
	v_cndmask_b32_e64 v68, 0, v68, s1
	s_or_b32 exec_lo, exec_lo, s2
	global_load_dwordx4 v[53:56], v[53:54], off offset:1536
	s_and_saveexec_b32 s1, vcc_lo
	s_cbranch_execz .LBB24_37
.LBB24_71:                              ;   in Loop: Header=BB24_39 Depth=1
	v_cmp_gt_i32_e32 vcc_lo, s30, v99
	s_waitcnt vmcnt(0)
	v_cndmask_b32_e32 v53, 0, v53, vcc_lo
	v_cmp_gt_i32_e32 vcc_lo, s30, v102
	v_cndmask_b32_e32 v54, 0, v54, vcc_lo
	v_cmp_gt_i32_e32 vcc_lo, s30, v101
	;; [unrolled: 2-line block ×3, first 2 shown]
	v_cndmask_b32_e32 v56, 0, v56, vcc_lo
	s_branch .LBB24_37
.LBB24_72:
	s_or_b32 exec_lo, exec_lo, s13
.LBB24_73:
	s_or_b32 exec_lo, exec_lo, s5
	ds_bpermute_b32 v2, v74, v91
	ds_bpermute_b32 v1, v74, v92
	ds_bpermute_b32 v3, v74, v90
	ds_bpermute_b32 v4, v74, v89
	ds_bpermute_b32 v5, v74, v88
	ds_bpermute_b32 v6, v74, v87
	ds_bpermute_b32 v7, v74, v86
	ds_bpermute_b32 v8, v74, v85
	ds_bpermute_b32 v9, v74, v84
	ds_bpermute_b32 v10, v74, v83
	ds_bpermute_b32 v11, v74, v82
	ds_bpermute_b32 v12, v74, v81
	ds_bpermute_b32 v13, v74, v80
	ds_bpermute_b32 v14, v74, v79
	ds_bpermute_b32 v15, v74, v78
	ds_bpermute_b32 v16, v74, v77
	s_mov_b32 s1, exec_lo
	s_waitcnt lgkmcnt(0)
	s_barrier
	buffer_gl0_inv
	v_add_f32_e32 v2, v91, v2
	v_add_f32_e32 v1, v92, v1
	v_add_f32_e32 v3, v90, v3
	v_add_f32_e32 v4, v89, v4
	v_add_f32_e32 v5, v88, v5
	v_add_f32_e32 v6, v87, v6
	ds_bpermute_b32 v18, v75, v2
	v_add_f32_e32 v7, v86, v7
	v_add_f32_e32 v8, v85, v8
	v_add_f32_e32 v9, v84, v9
	v_add_f32_e32 v10, v83, v10
	v_add_f32_e32 v11, v82, v11
	v_add_f32_e32 v12, v81, v12
	v_add_f32_e32 v13, v80, v13
	v_add_f32_e32 v14, v79, v14
	v_add_f32_e32 v15, v78, v15
	v_add_f32_e32 v16, v77, v16
	ds_bpermute_b32 v17, v75, v1
	ds_bpermute_b32 v19, v75, v3
	;; [unrolled: 1-line block ×15, first 2 shown]
	s_waitcnt lgkmcnt(15)
	v_add_f32_e32 v2, v2, v18
	v_and_b32_e32 v18, 28, v73
	s_waitcnt lgkmcnt(14)
	v_add_f32_e32 v1, v1, v17
	s_waitcnt lgkmcnt(13)
	v_add_f32_e32 v3, v3, v19
	;; [unrolled: 2-line block ×14, first 2 shown]
	v_and_b32_e32 v20, 0x3c3, v0
	s_waitcnt lgkmcnt(0)
	v_add_f32_e32 v16, v16, v32
	v_lshrrev_b32_e32 v17, 2, v73
	v_add_nc_u32_e32 v18, 0x220, v18
	v_lshlrev_b32_e32 v19, 9, v71
	v_cmpx_eq_u32_e32 64, v20
	s_cbranch_execz .LBB24_75
; %bb.74:
	v_add_nc_u32_e32 v20, v18, v19
	v_add_nc_u32_e32 v21, 0xfffffc00, v20
	;; [unrolled: 1-line block ×7, first 2 shown]
	ds_write_b32 v21, v1
	ds_write_b32 v22, v2
	;; [unrolled: 1-line block ×6, first 2 shown]
	v_add_nc_u32_e32 v21, 0xfffffcc0, v20
	v_add_nc_u32_e32 v22, 0xfffffce0, v20
	;; [unrolled: 1-line block ×5, first 2 shown]
	ds_write_b32 v21, v7
	ds_write_b32 v22, v8
	;; [unrolled: 1-line block ×5, first 2 shown]
	v_add_nc_u32_e32 v21, 0xfffffd60, v20
	v_add_nc_u32_e32 v22, 0xfffffd80, v20
	;; [unrolled: 1-line block ×5, first 2 shown]
	ds_write_b32 v21, v12
	ds_write_b32 v22, v13
	;; [unrolled: 1-line block ×5, first 2 shown]
.LBB24_75:
	s_or_b32 exec_lo, exec_lo, s1
	v_lshlrev_b32_e32 v17, 2, v17
	v_cmp_eq_u32_e32 vcc_lo, 0, v76
	s_waitcnt lgkmcnt(0)
	s_barrier
	buffer_gl0_inv
	v_add3_u32 v17, 0x220, v19, v17
	s_and_saveexec_b32 s1, s0
	s_cbranch_execz .LBB24_94
; %bb.76:
	s_and_saveexec_b32 s0, vcc_lo
	s_cbranch_execnz .LBB24_118
; %bb.77:
	s_or_b32 exec_lo, exec_lo, s0
	s_and_saveexec_b32 s0, vcc_lo
	s_cbranch_execnz .LBB24_119
.LBB24_78:
	s_or_b32 exec_lo, exec_lo, s0
	s_and_saveexec_b32 s0, vcc_lo
	s_cbranch_execnz .LBB24_120
.LBB24_79:
	s_or_b32 exec_lo, exec_lo, s0
	s_and_saveexec_b32 s0, vcc_lo
	s_cbranch_execnz .LBB24_121
.LBB24_80:
	s_or_b32 exec_lo, exec_lo, s0
	s_and_saveexec_b32 s0, vcc_lo
	s_cbranch_execnz .LBB24_122
.LBB24_81:
	s_or_b32 exec_lo, exec_lo, s0
	s_and_saveexec_b32 s0, vcc_lo
	s_cbranch_execnz .LBB24_123
.LBB24_82:
	s_or_b32 exec_lo, exec_lo, s0
	s_and_saveexec_b32 s0, vcc_lo
	s_cbranch_execnz .LBB24_124
.LBB24_83:
	s_or_b32 exec_lo, exec_lo, s0
	s_and_saveexec_b32 s0, vcc_lo
	s_cbranch_execnz .LBB24_125
.LBB24_84:
	s_or_b32 exec_lo, exec_lo, s0
	s_and_saveexec_b32 s0, vcc_lo
	s_cbranch_execnz .LBB24_126
.LBB24_85:
	s_or_b32 exec_lo, exec_lo, s0
	s_and_saveexec_b32 s0, vcc_lo
	s_cbranch_execnz .LBB24_127
.LBB24_86:
	s_or_b32 exec_lo, exec_lo, s0
	s_and_saveexec_b32 s0, vcc_lo
	s_cbranch_execnz .LBB24_128
.LBB24_87:
	s_or_b32 exec_lo, exec_lo, s0
	s_and_saveexec_b32 s0, vcc_lo
	s_cbranch_execnz .LBB24_129
.LBB24_88:
	s_or_b32 exec_lo, exec_lo, s0
	s_and_saveexec_b32 s0, vcc_lo
	s_cbranch_execnz .LBB24_130
.LBB24_89:
	s_or_b32 exec_lo, exec_lo, s0
	s_and_saveexec_b32 s0, vcc_lo
	s_cbranch_execnz .LBB24_131
.LBB24_90:
	s_or_b32 exec_lo, exec_lo, s0
	s_and_saveexec_b32 s0, vcc_lo
	s_cbranch_execnz .LBB24_132
.LBB24_91:
	s_or_b32 exec_lo, exec_lo, s0
	s_and_saveexec_b32 s0, vcc_lo
	s_cbranch_execz .LBB24_93
.LBB24_92:
	ds_read_b32 v19, v17 offset:480
	s_waitcnt lgkmcnt(0)
	v_add_f32_e32 v16, v16, v19
.LBB24_93:
	s_or_b32 exec_lo, exec_lo, s0
.LBB24_94:
	s_or_b32 exec_lo, exec_lo, s1
	v_and_b32_e32 v19, 0x3e3, v0
	s_mov_b32 s1, exec_lo
	s_barrier
	buffer_gl0_inv
	v_cmpx_eq_u32_e32 32, v19
	s_cbranch_execz .LBB24_96
; %bb.95:
	ds_write2_b32 v18, v1, v2 offset1:8
	ds_write2_b32 v18, v3, v4 offset0:16 offset1:24
	ds_write2_b32 v18, v5, v6 offset0:32 offset1:40
	;; [unrolled: 1-line block ×7, first 2 shown]
.LBB24_96:
	s_or_b32 exec_lo, exec_lo, s1
	s_mov_b32 s1, exec_lo
	s_waitcnt lgkmcnt(0)
	s_barrier
	buffer_gl0_inv
	v_cmpx_gt_u32_e32 32, v0
	s_cbranch_execz .LBB24_115
; %bb.97:
	s_and_saveexec_b32 s0, vcc_lo
	s_cbranch_execnz .LBB24_133
; %bb.98:
	s_or_b32 exec_lo, exec_lo, s0
	s_and_saveexec_b32 s0, vcc_lo
	s_cbranch_execnz .LBB24_134
.LBB24_99:
	s_or_b32 exec_lo, exec_lo, s0
	s_and_saveexec_b32 s0, vcc_lo
	s_cbranch_execnz .LBB24_135
.LBB24_100:
	s_or_b32 exec_lo, exec_lo, s0
	s_and_saveexec_b32 s0, vcc_lo
	s_cbranch_execnz .LBB24_136
.LBB24_101:
	s_or_b32 exec_lo, exec_lo, s0
	s_and_saveexec_b32 s0, vcc_lo
	s_cbranch_execnz .LBB24_137
.LBB24_102:
	s_or_b32 exec_lo, exec_lo, s0
	s_and_saveexec_b32 s0, vcc_lo
	s_cbranch_execnz .LBB24_138
.LBB24_103:
	s_or_b32 exec_lo, exec_lo, s0
	s_and_saveexec_b32 s0, vcc_lo
	s_cbranch_execnz .LBB24_139
.LBB24_104:
	s_or_b32 exec_lo, exec_lo, s0
	s_and_saveexec_b32 s0, vcc_lo
	s_cbranch_execnz .LBB24_140
.LBB24_105:
	s_or_b32 exec_lo, exec_lo, s0
	s_and_saveexec_b32 s0, vcc_lo
	s_cbranch_execnz .LBB24_141
.LBB24_106:
	s_or_b32 exec_lo, exec_lo, s0
	s_and_saveexec_b32 s0, vcc_lo
	s_cbranch_execnz .LBB24_142
.LBB24_107:
	s_or_b32 exec_lo, exec_lo, s0
	s_and_saveexec_b32 s0, vcc_lo
	s_cbranch_execnz .LBB24_143
.LBB24_108:
	s_or_b32 exec_lo, exec_lo, s0
	s_and_saveexec_b32 s0, vcc_lo
	s_cbranch_execnz .LBB24_144
.LBB24_109:
	s_or_b32 exec_lo, exec_lo, s0
	s_and_saveexec_b32 s0, vcc_lo
	s_cbranch_execnz .LBB24_145
.LBB24_110:
	s_or_b32 exec_lo, exec_lo, s0
	s_and_saveexec_b32 s0, vcc_lo
	s_cbranch_execnz .LBB24_146
.LBB24_111:
	s_or_b32 exec_lo, exec_lo, s0
	s_and_saveexec_b32 s0, vcc_lo
	s_cbranch_execnz .LBB24_147
.LBB24_112:
	s_or_b32 exec_lo, exec_lo, s0
	s_and_saveexec_b32 s0, vcc_lo
	s_cbranch_execz .LBB24_114
.LBB24_113:
	ds_read_b32 v17, v17 offset:480
	s_waitcnt lgkmcnt(0)
	v_add_f32_e32 v16, v16, v17
.LBB24_114:
	s_or_b32 exec_lo, exec_lo, s0
.LBB24_115:
	s_or_b32 exec_lo, exec_lo, s1
	s_barrier
	buffer_gl0_inv
	s_mov_b32 s0, exec_lo
	v_cmpx_eq_u32_e32 0, v19
	s_cbranch_execz .LBB24_117
; %bb.116:
	s_mul_i32 s0, s10, s11
	s_mul_i32 s2, s11, s20
	;; [unrolled: 1-line block ×3, first 2 shown]
	s_lshl_b32 s0, s0, 7
	s_ashr_i32 s1, s0, 31
	s_lshl_b64 s[0:1], s[0:1], 2
	s_add_u32 s4, s6, s0
	s_addc_u32 s5, s7, s1
	s_ashr_i32 s3, s2, 31
	s_lshl_b64 s[0:1], s[2:3], 2
	s_add_u32 s2, s4, s0
	s_addc_u32 s3, s5, s1
	s_lshl_b32 s0, s8, 7
	s_ashr_i32 s1, s0, 31
	s_lshl_b64 s[0:1], s[0:1], 2
	s_add_u32 s0, s2, s0
	s_addc_u32 s1, s3, s1
	global_store_dword v0, v1, s[0:1]
	global_store_dword v0, v2, s[0:1] offset:32
	global_store_dword v0, v3, s[0:1] offset:64
	;; [unrolled: 1-line block ×15, first 2 shown]
.LBB24_117:
	s_endpgm
.LBB24_118:
	ds_read_b32 v19, v17
	s_waitcnt lgkmcnt(0)
	v_add_f32_e32 v1, v1, v19
	s_or_b32 exec_lo, exec_lo, s0
	s_and_saveexec_b32 s0, vcc_lo
	s_cbranch_execz .LBB24_78
.LBB24_119:
	ds_read_b32 v19, v17 offset:32
	s_waitcnt lgkmcnt(0)
	v_add_f32_e32 v2, v2, v19
	s_or_b32 exec_lo, exec_lo, s0
	s_and_saveexec_b32 s0, vcc_lo
	s_cbranch_execz .LBB24_79
.LBB24_120:
	ds_read_b32 v19, v17 offset:64
	s_waitcnt lgkmcnt(0)
	v_add_f32_e32 v3, v3, v19
	s_or_b32 exec_lo, exec_lo, s0
	s_and_saveexec_b32 s0, vcc_lo
	s_cbranch_execz .LBB24_80
.LBB24_121:
	ds_read_b32 v19, v17 offset:96
	s_waitcnt lgkmcnt(0)
	v_add_f32_e32 v4, v4, v19
	s_or_b32 exec_lo, exec_lo, s0
	s_and_saveexec_b32 s0, vcc_lo
	s_cbranch_execz .LBB24_81
.LBB24_122:
	ds_read_b32 v19, v17 offset:128
	s_waitcnt lgkmcnt(0)
	v_add_f32_e32 v5, v5, v19
	s_or_b32 exec_lo, exec_lo, s0
	s_and_saveexec_b32 s0, vcc_lo
	s_cbranch_execz .LBB24_82
.LBB24_123:
	ds_read_b32 v19, v17 offset:160
	s_waitcnt lgkmcnt(0)
	v_add_f32_e32 v6, v6, v19
	s_or_b32 exec_lo, exec_lo, s0
	s_and_saveexec_b32 s0, vcc_lo
	s_cbranch_execz .LBB24_83
.LBB24_124:
	ds_read_b32 v19, v17 offset:192
	s_waitcnt lgkmcnt(0)
	v_add_f32_e32 v7, v7, v19
	s_or_b32 exec_lo, exec_lo, s0
	s_and_saveexec_b32 s0, vcc_lo
	s_cbranch_execz .LBB24_84
.LBB24_125:
	ds_read_b32 v19, v17 offset:224
	s_waitcnt lgkmcnt(0)
	v_add_f32_e32 v8, v8, v19
	s_or_b32 exec_lo, exec_lo, s0
	s_and_saveexec_b32 s0, vcc_lo
	s_cbranch_execz .LBB24_85
.LBB24_126:
	ds_read_b32 v19, v17 offset:256
	s_waitcnt lgkmcnt(0)
	v_add_f32_e32 v9, v9, v19
	s_or_b32 exec_lo, exec_lo, s0
	s_and_saveexec_b32 s0, vcc_lo
	s_cbranch_execz .LBB24_86
.LBB24_127:
	ds_read_b32 v19, v17 offset:288
	s_waitcnt lgkmcnt(0)
	v_add_f32_e32 v10, v10, v19
	s_or_b32 exec_lo, exec_lo, s0
	s_and_saveexec_b32 s0, vcc_lo
	s_cbranch_execz .LBB24_87
.LBB24_128:
	ds_read_b32 v19, v17 offset:320
	s_waitcnt lgkmcnt(0)
	v_add_f32_e32 v11, v11, v19
	s_or_b32 exec_lo, exec_lo, s0
	s_and_saveexec_b32 s0, vcc_lo
	s_cbranch_execz .LBB24_88
.LBB24_129:
	ds_read_b32 v19, v17 offset:352
	s_waitcnt lgkmcnt(0)
	v_add_f32_e32 v12, v12, v19
	s_or_b32 exec_lo, exec_lo, s0
	s_and_saveexec_b32 s0, vcc_lo
	s_cbranch_execz .LBB24_89
.LBB24_130:
	ds_read_b32 v19, v17 offset:384
	s_waitcnt lgkmcnt(0)
	v_add_f32_e32 v13, v13, v19
	s_or_b32 exec_lo, exec_lo, s0
	s_and_saveexec_b32 s0, vcc_lo
	s_cbranch_execz .LBB24_90
.LBB24_131:
	ds_read_b32 v19, v17 offset:416
	s_waitcnt lgkmcnt(0)
	v_add_f32_e32 v14, v14, v19
	s_or_b32 exec_lo, exec_lo, s0
	s_and_saveexec_b32 s0, vcc_lo
	s_cbranch_execz .LBB24_91
.LBB24_132:
	ds_read_b32 v19, v17 offset:448
	s_waitcnt lgkmcnt(0)
	v_add_f32_e32 v15, v15, v19
	s_or_b32 exec_lo, exec_lo, s0
	s_and_saveexec_b32 s0, vcc_lo
	s_cbranch_execnz .LBB24_92
	s_branch .LBB24_93
.LBB24_133:
	ds_read_b32 v18, v17
	s_waitcnt lgkmcnt(0)
	v_add_f32_e32 v1, v1, v18
	s_or_b32 exec_lo, exec_lo, s0
	s_and_saveexec_b32 s0, vcc_lo
	s_cbranch_execz .LBB24_99
.LBB24_134:
	ds_read_b32 v18, v17 offset:32
	s_waitcnt lgkmcnt(0)
	v_add_f32_e32 v2, v2, v18
	s_or_b32 exec_lo, exec_lo, s0
	s_and_saveexec_b32 s0, vcc_lo
	s_cbranch_execz .LBB24_100
.LBB24_135:
	ds_read_b32 v18, v17 offset:64
	s_waitcnt lgkmcnt(0)
	v_add_f32_e32 v3, v3, v18
	s_or_b32 exec_lo, exec_lo, s0
	s_and_saveexec_b32 s0, vcc_lo
	s_cbranch_execz .LBB24_101
.LBB24_136:
	ds_read_b32 v18, v17 offset:96
	s_waitcnt lgkmcnt(0)
	v_add_f32_e32 v4, v4, v18
	s_or_b32 exec_lo, exec_lo, s0
	s_and_saveexec_b32 s0, vcc_lo
	s_cbranch_execz .LBB24_102
.LBB24_137:
	ds_read_b32 v18, v17 offset:128
	s_waitcnt lgkmcnt(0)
	v_add_f32_e32 v5, v5, v18
	s_or_b32 exec_lo, exec_lo, s0
	s_and_saveexec_b32 s0, vcc_lo
	s_cbranch_execz .LBB24_103
.LBB24_138:
	ds_read_b32 v18, v17 offset:160
	s_waitcnt lgkmcnt(0)
	v_add_f32_e32 v6, v6, v18
	s_or_b32 exec_lo, exec_lo, s0
	s_and_saveexec_b32 s0, vcc_lo
	s_cbranch_execz .LBB24_104
.LBB24_139:
	ds_read_b32 v18, v17 offset:192
	s_waitcnt lgkmcnt(0)
	v_add_f32_e32 v7, v7, v18
	s_or_b32 exec_lo, exec_lo, s0
	s_and_saveexec_b32 s0, vcc_lo
	s_cbranch_execz .LBB24_105
.LBB24_140:
	ds_read_b32 v18, v17 offset:224
	s_waitcnt lgkmcnt(0)
	v_add_f32_e32 v8, v8, v18
	s_or_b32 exec_lo, exec_lo, s0
	s_and_saveexec_b32 s0, vcc_lo
	s_cbranch_execz .LBB24_106
.LBB24_141:
	ds_read_b32 v18, v17 offset:256
	s_waitcnt lgkmcnt(0)
	v_add_f32_e32 v9, v9, v18
	s_or_b32 exec_lo, exec_lo, s0
	s_and_saveexec_b32 s0, vcc_lo
	s_cbranch_execz .LBB24_107
.LBB24_142:
	ds_read_b32 v18, v17 offset:288
	s_waitcnt lgkmcnt(0)
	v_add_f32_e32 v10, v10, v18
	s_or_b32 exec_lo, exec_lo, s0
	s_and_saveexec_b32 s0, vcc_lo
	s_cbranch_execz .LBB24_108
.LBB24_143:
	ds_read_b32 v18, v17 offset:320
	s_waitcnt lgkmcnt(0)
	v_add_f32_e32 v11, v11, v18
	s_or_b32 exec_lo, exec_lo, s0
	s_and_saveexec_b32 s0, vcc_lo
	s_cbranch_execz .LBB24_109
.LBB24_144:
	ds_read_b32 v18, v17 offset:352
	s_waitcnt lgkmcnt(0)
	v_add_f32_e32 v12, v12, v18
	s_or_b32 exec_lo, exec_lo, s0
	s_and_saveexec_b32 s0, vcc_lo
	s_cbranch_execz .LBB24_110
.LBB24_145:
	ds_read_b32 v18, v17 offset:384
	s_waitcnt lgkmcnt(0)
	v_add_f32_e32 v13, v13, v18
	s_or_b32 exec_lo, exec_lo, s0
	s_and_saveexec_b32 s0, vcc_lo
	s_cbranch_execz .LBB24_111
.LBB24_146:
	ds_read_b32 v18, v17 offset:416
	s_waitcnt lgkmcnt(0)
	v_add_f32_e32 v14, v14, v18
	s_or_b32 exec_lo, exec_lo, s0
	s_and_saveexec_b32 s0, vcc_lo
	s_cbranch_execz .LBB24_112
.LBB24_147:
	ds_read_b32 v18, v17 offset:448
	s_waitcnt lgkmcnt(0)
	v_add_f32_e32 v15, v15, v18
	s_or_b32 exec_lo, exec_lo, s0
	s_and_saveexec_b32 s0, vcc_lo
	s_cbranch_execnz .LBB24_113
	s_branch .LBB24_114
	.section	.rodata,"a",@progbits
	.p2align	6, 0x0
	.amdhsa_kernel _ZN4vllm25paged_attention_v1_kernelIffLi128ELi16ELi128ELNS_18Fp8KVCacheDataTypeE0ELb1EEEvPT_PKS2_PKT0_S8_ifPKiSA_iPKfiiiSC_SC_iiiii
		.amdhsa_group_segment_fixed_size 544
		.amdhsa_private_segment_fixed_size 0
		.amdhsa_kernarg_size 384
		.amdhsa_user_sgpr_count 6
		.amdhsa_user_sgpr_private_segment_buffer 1
		.amdhsa_user_sgpr_dispatch_ptr 0
		.amdhsa_user_sgpr_queue_ptr 0
		.amdhsa_user_sgpr_kernarg_segment_ptr 1
		.amdhsa_user_sgpr_dispatch_id 0
		.amdhsa_user_sgpr_flat_scratch_init 0
		.amdhsa_user_sgpr_private_segment_size 0
		.amdhsa_wavefront_size32 1
		.amdhsa_uses_dynamic_stack 0
		.amdhsa_system_sgpr_private_segment_wavefront_offset 0
		.amdhsa_system_sgpr_workgroup_id_x 1
		.amdhsa_system_sgpr_workgroup_id_y 1
		.amdhsa_system_sgpr_workgroup_id_z 1
		.amdhsa_system_sgpr_workgroup_info 0
		.amdhsa_system_vgpr_workitem_id 0
		.amdhsa_next_free_vgpr 103
		.amdhsa_next_free_sgpr 38
		.amdhsa_reserve_vcc 1
		.amdhsa_reserve_flat_scratch 0
		.amdhsa_float_round_mode_32 0
		.amdhsa_float_round_mode_16_64 0
		.amdhsa_float_denorm_mode_32 3
		.amdhsa_float_denorm_mode_16_64 3
		.amdhsa_dx10_clamp 1
		.amdhsa_ieee_mode 1
		.amdhsa_fp16_overflow 0
		.amdhsa_workgroup_processor_mode 1
		.amdhsa_memory_ordered 1
		.amdhsa_forward_progress 1
		.amdhsa_shared_vgpr_count 0
		.amdhsa_exception_fp_ieee_invalid_op 0
		.amdhsa_exception_fp_denorm_src 0
		.amdhsa_exception_fp_ieee_div_zero 0
		.amdhsa_exception_fp_ieee_overflow 0
		.amdhsa_exception_fp_ieee_underflow 0
		.amdhsa_exception_fp_ieee_inexact 0
		.amdhsa_exception_int_div_zero 0
	.end_amdhsa_kernel
	.section	.text._ZN4vllm25paged_attention_v1_kernelIffLi128ELi16ELi128ELNS_18Fp8KVCacheDataTypeE0ELb1EEEvPT_PKS2_PKT0_S8_ifPKiSA_iPKfiiiSC_SC_iiiii,"axG",@progbits,_ZN4vllm25paged_attention_v1_kernelIffLi128ELi16ELi128ELNS_18Fp8KVCacheDataTypeE0ELb1EEEvPT_PKS2_PKT0_S8_ifPKiSA_iPKfiiiSC_SC_iiiii,comdat
.Lfunc_end24:
	.size	_ZN4vllm25paged_attention_v1_kernelIffLi128ELi16ELi128ELNS_18Fp8KVCacheDataTypeE0ELb1EEEvPT_PKS2_PKT0_S8_ifPKiSA_iPKfiiiSC_SC_iiiii, .Lfunc_end24-_ZN4vllm25paged_attention_v1_kernelIffLi128ELi16ELi128ELNS_18Fp8KVCacheDataTypeE0ELb1EEEvPT_PKS2_PKT0_S8_ifPKiSA_iPKfiiiSC_SC_iiiii
                                        ; -- End function
	.set _ZN4vllm25paged_attention_v1_kernelIffLi128ELi16ELi128ELNS_18Fp8KVCacheDataTypeE0ELb1EEEvPT_PKS2_PKT0_S8_ifPKiSA_iPKfiiiSC_SC_iiiii.num_vgpr, 103
	.set _ZN4vllm25paged_attention_v1_kernelIffLi128ELi16ELi128ELNS_18Fp8KVCacheDataTypeE0ELb1EEEvPT_PKS2_PKT0_S8_ifPKiSA_iPKfiiiSC_SC_iiiii.num_agpr, 0
	.set _ZN4vllm25paged_attention_v1_kernelIffLi128ELi16ELi128ELNS_18Fp8KVCacheDataTypeE0ELb1EEEvPT_PKS2_PKT0_S8_ifPKiSA_iPKfiiiSC_SC_iiiii.numbered_sgpr, 38
	.set _ZN4vllm25paged_attention_v1_kernelIffLi128ELi16ELi128ELNS_18Fp8KVCacheDataTypeE0ELb1EEEvPT_PKS2_PKT0_S8_ifPKiSA_iPKfiiiSC_SC_iiiii.num_named_barrier, 0
	.set _ZN4vllm25paged_attention_v1_kernelIffLi128ELi16ELi128ELNS_18Fp8KVCacheDataTypeE0ELb1EEEvPT_PKS2_PKT0_S8_ifPKiSA_iPKfiiiSC_SC_iiiii.private_seg_size, 0
	.set _ZN4vllm25paged_attention_v1_kernelIffLi128ELi16ELi128ELNS_18Fp8KVCacheDataTypeE0ELb1EEEvPT_PKS2_PKT0_S8_ifPKiSA_iPKfiiiSC_SC_iiiii.uses_vcc, 1
	.set _ZN4vllm25paged_attention_v1_kernelIffLi128ELi16ELi128ELNS_18Fp8KVCacheDataTypeE0ELb1EEEvPT_PKS2_PKT0_S8_ifPKiSA_iPKfiiiSC_SC_iiiii.uses_flat_scratch, 0
	.set _ZN4vllm25paged_attention_v1_kernelIffLi128ELi16ELi128ELNS_18Fp8KVCacheDataTypeE0ELb1EEEvPT_PKS2_PKT0_S8_ifPKiSA_iPKfiiiSC_SC_iiiii.has_dyn_sized_stack, 0
	.set _ZN4vllm25paged_attention_v1_kernelIffLi128ELi16ELi128ELNS_18Fp8KVCacheDataTypeE0ELb1EEEvPT_PKS2_PKT0_S8_ifPKiSA_iPKfiiiSC_SC_iiiii.has_recursion, 0
	.set _ZN4vllm25paged_attention_v1_kernelIffLi128ELi16ELi128ELNS_18Fp8KVCacheDataTypeE0ELb1EEEvPT_PKS2_PKT0_S8_ifPKiSA_iPKfiiiSC_SC_iiiii.has_indirect_call, 0
	.section	.AMDGPU.csdata,"",@progbits
; Kernel info:
; codeLenInByte = 8248
; TotalNumSgprs: 40
; NumVgprs: 103
; ScratchSize: 0
; MemoryBound: 0
; FloatMode: 240
; IeeeMode: 1
; LDSByteSize: 544 bytes/workgroup (compile time only)
; SGPRBlocks: 0
; VGPRBlocks: 12
; NumSGPRsForWavesPerEU: 40
; NumVGPRsForWavesPerEU: 103
; Occupancy: 9
; WaveLimiterHint : 1
; COMPUTE_PGM_RSRC2:SCRATCH_EN: 0
; COMPUTE_PGM_RSRC2:USER_SGPR: 6
; COMPUTE_PGM_RSRC2:TRAP_HANDLER: 0
; COMPUTE_PGM_RSRC2:TGID_X_EN: 1
; COMPUTE_PGM_RSRC2:TGID_Y_EN: 1
; COMPUTE_PGM_RSRC2:TGID_Z_EN: 1
; COMPUTE_PGM_RSRC2:TIDIG_COMP_CNT: 0
	.section	.text._ZN4vllm25paged_attention_v1_kernelIffLi192ELi16ELi128ELNS_18Fp8KVCacheDataTypeE0ELb1EEEvPT_PKS2_PKT0_S8_ifPKiSA_iPKfiiiSC_SC_iiiii,"axG",@progbits,_ZN4vllm25paged_attention_v1_kernelIffLi192ELi16ELi128ELNS_18Fp8KVCacheDataTypeE0ELb1EEEvPT_PKS2_PKT0_S8_ifPKiSA_iPKfiiiSC_SC_iiiii,comdat
	.protected	_ZN4vllm25paged_attention_v1_kernelIffLi192ELi16ELi128ELNS_18Fp8KVCacheDataTypeE0ELb1EEEvPT_PKS2_PKT0_S8_ifPKiSA_iPKfiiiSC_SC_iiiii ; -- Begin function _ZN4vllm25paged_attention_v1_kernelIffLi192ELi16ELi128ELNS_18Fp8KVCacheDataTypeE0ELb1EEEvPT_PKS2_PKT0_S8_ifPKiSA_iPKfiiiSC_SC_iiiii
	.globl	_ZN4vllm25paged_attention_v1_kernelIffLi192ELi16ELi128ELNS_18Fp8KVCacheDataTypeE0ELb1EEEvPT_PKS2_PKT0_S8_ifPKiSA_iPKfiiiSC_SC_iiiii
	.p2align	8
	.type	_ZN4vllm25paged_attention_v1_kernelIffLi192ELi16ELi128ELNS_18Fp8KVCacheDataTypeE0ELb1EEEvPT_PKS2_PKT0_S8_ifPKiSA_iPKfiiiSC_SC_iiiii,@function
_ZN4vllm25paged_attention_v1_kernelIffLi192ELi16ELi128ELNS_18Fp8KVCacheDataTypeE0ELb1EEEvPT_PKS2_PKT0_S8_ifPKiSA_iPKfiiiSC_SC_iiiii: ; @_ZN4vllm25paged_attention_v1_kernelIffLi192ELi16ELi128ELNS_18Fp8KVCacheDataTypeE0ELb1EEEvPT_PKS2_PKT0_S8_ifPKiSA_iPKfiiiSC_SC_iiiii
; %bb.0:
	s_mov_b64 s[42:43], s[2:3]
	s_mov_b64 s[40:41], s[0:1]
	s_mov_b32 s10, s7
	s_add_u32 s40, s40, s9
	s_clause 0x2
	s_load_dword s9, s[4:5], 0x80
	s_load_dwordx2 s[0:1], s[4:5], 0x30
	s_load_dwordx2 s[28:29], s[4:5], 0x20
	s_addc_u32 s41, s41, 0
	s_ashr_i32 s11, s7, 31
	v_mov_b32_e32 v77, v0
	s_lshl_b64 s[2:3], s[10:11], 2
	s_mov_b32 s33, 0
	s_waitcnt lgkmcnt(0)
	s_add_u32 s0, s0, s2
	s_addc_u32 s1, s1, s3
	s_abs_i32 s2, s28
	s_abs_i32 s11, s9
	v_cvt_f32_u32_e32 v0, s2
	s_sub_i32 s7, 0, s2
	v_rcp_iflag_f32_e32 v0, v0
	v_mul_f32_e32 v0, 0x4f7ffffe, v0
	v_cvt_u32_f32_e32 v0, v0
	v_readfirstlane_b32 s3, v0
	s_mul_i32 s7, s7, s3
	s_mul_hi_u32 s7, s3, s7
	s_add_i32 s3, s3, s7
	s_xor_b32 s7, s9, s28
	s_mul_hi_u32 s3, s11, s3
	s_ashr_i32 s7, s7, 31
	s_mul_i32 s12, s3, s2
	s_sub_i32 s11, s11, s12
	s_add_i32 s12, s3, 1
	s_sub_i32 s13, s11, s2
	s_cmp_ge_u32 s11, s2
	s_cselect_b32 s3, s12, s3
	s_cselect_b32 s11, s13, s11
	s_add_i32 s12, s3, 1
	s_cmp_ge_u32 s11, s2
	s_cselect_b32 s2, s12, s3
	s_abs_i32 s22, s6
	s_xor_b32 s2, s2, s7
	s_sub_i32 s16, s2, s7
	s_load_dwordx2 s[2:3], s[4:5], 0x40
	s_abs_i32 s11, s16
	v_cvt_f32_u32_e32 v0, s11
	s_sub_i32 s12, 0, s11
	v_rcp_iflag_f32_e32 v0, v0
	v_mul_f32_e32 v0, 0x4f7ffffe, v0
	v_cvt_u32_f32_e32 v0, v0
	v_readfirstlane_b32 s7, v0
	s_mul_i32 s12, s12, s7
	s_mul_hi_u32 s12, s7, s12
	s_add_i32 s7, s7, s12
	s_waitcnt lgkmcnt(0)
	s_cmp_eq_u64 s[2:3], 0
	s_mul_hi_u32 s23, s22, s7
	s_cbranch_scc1 .LBB25_2
; %bb.1:
	s_ashr_i32 s7, s6, 31
	s_lshl_b64 s[12:13], s[6:7], 2
	s_add_u32 s2, s2, s12
	s_addc_u32 s3, s3, s13
	s_load_dword s33, s[2:3], 0x0
.LBB25_2:
	s_load_dword s30, s[0:1], 0x0
	s_load_dwordx4 s[12:15], s[4:5], 0x48
	v_and_b32_e32 v1, 1, v77
	v_lshlrev_b32_e32 v2, 3, v77
	v_lshlrev_b32_e32 v7, 2, v77
	s_ashr_i32 s0, s6, 31
	s_ashr_i32 s1, s16, 31
	s_mul_i32 s20, s6, 0xc0
	s_mov_b32 s2, exec_lo
	v_cmpx_gt_u32_e32 0x60, v77
	s_cbranch_execz .LBB25_4
; %bb.3:
	s_load_dwordx2 s[16:17], s[4:5], 0x8
	s_waitcnt lgkmcnt(0)
	s_mul_i32 s18, s12, s10
	v_and_b32_e32 v0, 0xff8, v7
	s_ashr_i32 s19, s18, 31
	s_lshl_b64 s[18:19], s[18:19], 2
	v_mad_u32_u24 v0, 0x180, v1, v0
	s_add_u32 s3, s16, s18
	s_addc_u32 s7, s17, s19
	s_ashr_i32 s21, s20, 31
	s_lshl_b64 s[16:17], s[20:21], 2
	s_add_u32 s16, s3, s16
	s_addc_u32 s17, s7, s17
	global_load_dwordx2 v[3:4], v2, s[16:17]
	s_waitcnt vmcnt(0)
	ds_write_b64 v0, v[3:4]
.LBB25_4:
	s_or_b32 exec_lo, exec_lo, s2
	s_load_dwordx4 s[16:19], s[4:5], 0x68
	s_mul_i32 s2, s23, s11
	s_xor_b32 s1, s0, s1
	s_sub_i32 s0, s22, s2
	s_add_i32 s2, s23, 1
	s_sub_i32 s3, s0, s11
	s_cmp_ge_u32 s0, s11
	s_waitcnt lgkmcnt(0)
	s_cselect_b32 s2, s2, s23
	s_cselect_b32 s0, s3, s0
	s_add_i32 s3, s2, 1
	s_cmp_ge_u32 s0, s11
	s_load_dword s0, s[4:5], 0x78
	s_cselect_b32 s2, s3, s2
	s_add_i32 s7, s30, -1
	s_xor_b32 s2, s2, s1
	s_abs_i32 s3, s7
	s_sub_i32 s1, s2, s1
	s_mov_b32 s11, -1
	s_barrier
	s_abs_i32 s12, s19
	s_waitcnt lgkmcnt(0)
	buffer_gl0_inv
	v_cvt_f32_u32_e32 v0, s12
	s_sub_i32 s2, 0, s12
                                        ; implicit-def: $sgpr31
	v_rcp_iflag_f32_e32 v0, v0
	v_mul_f32_e32 v0, 0x4f7ffffe, v0
	v_cvt_u32_f32_e32 v0, v0
	v_readfirstlane_b32 s21, v0
	s_mul_i32 s2, s2, s21
	s_mul_hi_u32 s2, s21, s2
	s_add_i32 s21, s21, s2
	s_cmp_lt_i32 s0, 0
	s_mul_hi_u32 s2, s3, s21
	s_cbranch_scc0 .LBB25_6
; %bb.5:
	s_mul_i32 s11, s16, s28
	s_add_i32 s11, s1, s11
	s_mul_i32 s11, s11, s0
	s_sub_i32 s31, 1, s11
	s_mov_b32 s11, 0
.LBB25_6:
	s_load_dwordx2 s[22:23], s[4:5], 0x28
	s_ashr_i32 s7, s7, 31
	s_andn2_b32 vcc_lo, exec_lo, s11
	s_ashr_i32 s19, s19, 31
	s_cbranch_vccnz .LBB25_8
; %bb.7:
	s_mul_i32 s11, s9, s16
	s_add_i32 s6, s11, s6
	s_mul_i32 s0, s6, s0
	s_add_i32 s31, s0, 1
.LBB25_8:
	s_load_dword s0, s[4:5], 0x38
	s_mul_i32 s6, s2, s12
	s_xor_b32 s15, s7, s19
	s_sub_i32 s3, s3, s6
	s_add_i32 s16, s2, 1
	s_clause 0x2
	s_load_dwordx2 s[6:7], s[4:5], 0x0
	s_load_dwordx2 s[26:27], s[4:5], 0x18
	s_load_dword s11, s[4:5], 0x88
	v_lshrrev_b32_e32 v111, 5, v77
	v_mov_b32_e32 v9, 0xff7fffff
	v_lshrrev_b32_e32 v8, 3, v77
	v_mbcnt_lo_u32_b32 v0, -1, 0
	s_mul_i32 s14, s1, s14
	v_lshlrev_b32_e32 v104, 4, v111
	s_waitcnt lgkmcnt(0)
	s_mul_i32 s24, s0, s10
	s_sub_i32 s0, s3, s12
	s_ashr_i32 s25, s24, 31
	s_cmp_ge_u32 s3, s12
	s_cselect_b32 s2, s16, s2
	s_cselect_b32 s0, s0, s3
	s_add_i32 s3, s2, 1
	s_cmp_ge_u32 s0, s12
	s_cselect_b32 s0, s3, s2
	s_add_i32 s2, s30, 15
	s_ashr_i32 s3, s2, 31
	s_lshr_b32 s3, s3, 28
	s_add_i32 s2, s2, s3
	s_ashr_i32 s16, s2, 4
	s_xor_b32 s2, s0, s15
	v_cmp_gt_i32_e64 s0, s16, v111
	s_sub_i32 s28, s2, s15
	s_and_saveexec_b32 s34, s0
	s_cbranch_execz .LBB25_20
; %bb.9:
	s_load_dwordx2 s[2:3], s[4:5], 0x10
	s_ashr_i32 s15, s14, 31
	s_sub_i32 s4, s28, s17
	s_lshl_b64 s[36:37], s[14:15], 2
	v_bfe_u32 v10, v77, 1, 4
	v_and_b32_e32 v4, 8, v2
	v_cmp_eq_u32_e32 vcc_lo, 0, v1
	v_mul_u32_u24_e32 v11, 0x180, v1
	v_and_b32_e32 v1, 0x7c, v8
	v_lshlrev_b32_e32 v2, 2, v10
	v_subrev_nc_u32_e32 v5, s30, v10
	v_lshlrev_b32_e32 v6, 4, v10
	v_cmp_neq_f32_e64 s1, s33, 0
	v_lshlrev_b32_e32 v12, 4, v111
	v_lshl_or_b32 v2, v111, 6, v2
	v_add_nc_u32_e32 v15, 1, v5
	v_mov_b32_e32 v13, 0xff7fffff
	v_xor_b32_e32 v14, 1, v0
	v_mov_b32_e32 v9, 0xff7fffff
	v_add_nc_u32_e32 v16, 0x320, v2
	s_waitcnt lgkmcnt(0)
	s_add_u32 s15, s2, s36
	s_addc_u32 s35, s3, s37
	s_abs_i32 s5, s18
	v_add_co_u32 v5, s15, s15, v6
	v_cvt_f32_u32_e32 v3, s5
	s_sub_i32 s2, 0, s5
	v_add_co_ci_u32_e64 v6, null, s35, 0, s15
	v_mov_b32_e32 v20, v111
	v_rcp_iflag_f32_e32 v3, v3
	s_mov_b32 s15, 0
	s_mov_b32 s35, s13
	v_mul_f32_e32 v3, 0x4f7ffffe, v3
	v_cvt_u32_f32_e32 v3, v3
	v_mul_lo_u32 v2, s2, v3
	s_lshl_b64 s[2:3], s[24:25], 2
	s_add_u32 s2, s22, s2
	s_addc_u32 s3, s23, s3
	v_add_co_u32 v1, s2, s2, v1
	v_mul_hi_u32 v19, v3, v2
	v_add_co_ci_u32_e64 v2, null, s3, 0, s2
	v_add_co_u32 v17, s2, v5, v4
	v_add_co_ci_u32_e64 v18, null, 0, v6, s2
	v_add_nc_u32_e32 v19, v3, v19
	s_branch .LBB25_12
.LBB25_10:                              ;   in Loop: Header=BB25_12 Depth=1
	s_or_b32 exec_lo, exec_lo, s36
.LBB25_11:                              ;   in Loop: Header=BB25_12 Depth=1
	s_or_b32 exec_lo, exec_lo, s3
	v_add_nc_u32_e32 v20, 4, v20
	v_add_co_u32 v1, s3, v1, 16
	v_add_co_ci_u32_e64 v2, null, 0, v2, s3
	v_cmp_le_i32_e64 s2, s16, v20
	v_add_nc_u32_e32 v12, 64, v12
	v_add_nc_u32_e32 v16, 0x100, v16
	s_or_b32 s15, s2, s15
	s_andn2_b32 exec_lo, exec_lo, s15
	s_cbranch_execz .LBB25_19
.LBB25_12:                              ; =>This Inner Loop Header: Depth=1
	v_mul_hi_u32 v3, v12, s21
	s_waitcnt lgkmcnt(0)
	v_mul_lo_u32 v4, v3, s12
	v_add_nc_u32_e32 v5, 1, v3
	v_sub_nc_u32_e32 v4, v12, v4
	v_subrev_nc_u32_e32 v6, s12, v4
	v_cmp_le_u32_e64 s2, s12, v4
	v_cndmask_b32_e64 v3, v3, v5, s2
	v_cndmask_b32_e64 v4, v4, v6, s2
	v_add_nc_u32_e32 v5, 1, v3
	v_cmp_le_u32_e64 s2, s12, v4
	v_cndmask_b32_e64 v3, v3, v5, s2
	v_xor_b32_e32 v3, s19, v3
	v_subrev_nc_u32_e32 v3, s19, v3
	v_add_nc_u32_e32 v4, s31, v3
	v_cmp_ge_i32_e64 s3, s4, v3
	v_sub_nc_u32_e32 v5, 0, v4
	v_max_i32_e32 v5, v4, v5
	v_ashrrev_i32_e32 v4, 31, v4
	v_mul_hi_u32 v6, v5, v19
	v_mul_lo_u32 v6, v6, s5
	v_sub_nc_u32_e32 v5, v5, v6
	v_subrev_nc_u32_e32 v6, s5, v5
	v_cmp_le_u32_e64 s2, s5, v5
	v_cndmask_b32_e64 v5, v5, v6, s2
	v_subrev_nc_u32_e32 v6, s5, v5
	v_cmp_le_u32_e64 s2, s5, v5
	v_cndmask_b32_e64 v5, v5, v6, s2
	v_xor_b32_e32 v5, v5, v4
	v_sub_nc_u32_e32 v4, v5, v4
	v_cmp_ne_u32_e64 s2, 0, v4
	s_and_b32 s2, s2, s3
	s_and_saveexec_b32 s3, s2
	s_xor_b32 s2, exec_lo, s3
	s_cbranch_execz .LBB25_16
; %bb.13:                               ;   in Loop: Header=BB25_12 Depth=1
	s_and_saveexec_b32 s3, vcc_lo
; %bb.14:                               ;   in Loop: Header=BB25_12 Depth=1
	ds_write_b32 v16, v13
; %bb.15:                               ;   in Loop: Header=BB25_12 Depth=1
	s_or_b32 exec_lo, exec_lo, s3
.LBB25_16:                              ;   in Loop: Header=BB25_12 Depth=1
	s_andn2_saveexec_b32 s3, s2
	s_cbranch_execz .LBB25_11
; %bb.17:                               ;   in Loop: Header=BB25_12 Depth=1
	global_load_dword v3, v[1:2], off
	s_waitcnt vmcnt(0)
	v_mad_i64_i32 v[3:4], null, v3, s35, 0
	v_lshlrev_b64 v[3:4], 2, v[3:4]
	v_add_co_u32 v5, s2, v17, v3
	v_add_co_ci_u32_e64 v6, null, v18, v4, s2
	s_clause 0x7
	global_load_dwordx2 v[3:4], v[5:6], off offset:256
	global_load_dwordx2 v[31:32], v[5:6], off
	global_load_dwordx2 v[33:34], v[5:6], off offset:512
	global_load_dwordx2 v[35:36], v[5:6], off offset:768
	;; [unrolled: 1-line block ×6, first 2 shown]
	v_add_co_u32 v21, s2, v5, 0x1000
	v_add_co_ci_u32_e64 v22, null, 0, v6, s2
	v_add_co_u32 v23, s2, 0x800, v5
	v_add_co_ci_u32_e64 v24, null, 0, v6, s2
	s_clause 0x7
	global_load_dwordx2 v[45:46], v[21:22], off offset:-2048
	global_load_dwordx2 v[47:48], v[23:24], off offset:256
	global_load_dwordx2 v[49:50], v[23:24], off offset:512
	global_load_dwordx2 v[51:52], v[23:24], off offset:768
	global_load_dwordx2 v[53:54], v[23:24], off offset:1024
	global_load_dwordx2 v[55:56], v[23:24], off offset:1280
	global_load_dwordx2 v[57:58], v[23:24], off offset:1536
	global_load_dwordx2 v[59:60], v[23:24], off offset:1792
	ds_read_b128 v[23:26], v11
	v_add_co_u32 v61, s2, 0x1000, v5
	v_add_co_ci_u32_e64 v62, null, 0, v6, s2
	s_clause 0x1
	global_load_dwordx2 v[63:64], v[21:22], off
	global_load_dwordx2 v[65:66], v[61:62], off offset:256
	ds_read_b128 v[27:30], v11 offset:16
	s_clause 0x3
	global_load_dwordx2 v[67:68], v[61:62], off offset:512
	global_load_dwordx2 v[69:70], v[61:62], off offset:768
	;; [unrolled: 1-line block ×4, first 2 shown]
	s_waitcnt vmcnt(21) lgkmcnt(1)
	v_mul_f32_e32 v21, v25, v3
	v_mul_f32_e32 v22, v26, v4
	v_add_co_u32 v3, s2, v5, 0x2000
	v_add_co_ci_u32_e64 v4, null, 0, v6, s2
	s_waitcnt vmcnt(20)
	v_fmac_f32_e32 v21, v23, v31
	v_fmac_f32_e32 v22, v24, v32
	ds_read_b128 v[23:26], v11 offset:32
	s_waitcnt vmcnt(19) lgkmcnt(1)
	v_fmac_f32_e32 v21, v27, v33
	v_fmac_f32_e32 v22, v28, v34
	s_waitcnt vmcnt(18)
	v_fmac_f32_e32 v21, v29, v35
	v_fmac_f32_e32 v22, v30, v36
	global_load_dwordx2 v[35:36], v[61:62], off offset:1536
	ds_read_b128 v[27:30], v11 offset:48
	s_waitcnt vmcnt(18) lgkmcnt(1)
	v_fmac_f32_e32 v21, v23, v37
	v_fmac_f32_e32 v22, v24, v38
	global_load_dwordx2 v[37:38], v[61:62], off offset:1792
	s_waitcnt vmcnt(18)
	v_fmac_f32_e32 v21, v25, v39
	v_add_co_u32 v39, s2, 0x1800, v5
	v_fmac_f32_e32 v22, v26, v40
	v_add_co_ci_u32_e64 v40, null, 0, v6, s2
	s_clause 0x1
	global_load_dwordx2 v[61:62], v[3:4], off offset:-2048
	global_load_dwordx2 v[75:76], v[39:40], off offset:256
	s_waitcnt vmcnt(19) lgkmcnt(0)
	v_fmac_f32_e32 v21, v27, v41
	v_fmac_f32_e32 v22, v28, v42
	s_waitcnt vmcnt(18)
	v_fmac_f32_e32 v21, v29, v43
	v_fmac_f32_e32 v22, v30, v44
	ds_read_b128 v[23:26], v11 offset:64
	ds_read_b128 v[27:30], v11 offset:80
	s_clause 0x2
	global_load_dwordx2 v[3:4], v[3:4], off
	global_load_dwordx2 v[41:42], v[39:40], off offset:512
	global_load_dwordx2 v[43:44], v[39:40], off offset:768
	ds_read_b128 v[31:34], v11 offset:128
	s_waitcnt vmcnt(20) lgkmcnt(2)
	v_fmac_f32_e32 v21, v23, v45
	v_fmac_f32_e32 v22, v24, v46
	global_load_dwordx2 v[45:46], v[39:40], off offset:1024
	s_waitcnt vmcnt(20)
	v_fmac_f32_e32 v21, v25, v47
	v_fmac_f32_e32 v22, v26, v48
	ds_read_b128 v[23:26], v11 offset:96
	s_waitcnt vmcnt(19) lgkmcnt(2)
	v_fmac_f32_e32 v21, v27, v49
	v_fmac_f32_e32 v22, v28, v50
	s_waitcnt vmcnt(18)
	v_fmac_f32_e32 v21, v29, v51
	v_fmac_f32_e32 v22, v30, v52
	ds_read_b128 v[27:30], v11 offset:112
	s_clause 0x2
	global_load_dwordx2 v[47:48], v[39:40], off offset:1280
	global_load_dwordx2 v[49:50], v[39:40], off offset:1536
	;; [unrolled: 1-line block ×3, first 2 shown]
	v_add_co_u32 v51, s2, 0x2000, v5
	v_add_co_ci_u32_e64 v52, null, 0, v6, s2
	v_add_co_u32 v5, s2, 0x2800, v5
	v_add_co_ci_u32_e64 v6, null, 0, v6, s2
	s_waitcnt vmcnt(20) lgkmcnt(1)
	v_fmac_f32_e32 v21, v23, v53
	v_fmac_f32_e32 v22, v24, v54
	global_load_dwordx2 v[53:54], v[51:52], off offset:256
	v_cmp_gt_i32_e64 s2, 32, v14
	s_waitcnt vmcnt(20)
	v_fmac_f32_e32 v21, v25, v55
	v_fmac_f32_e32 v22, v26, v56
	ds_read_b128 v[23:26], v11 offset:144
	s_waitcnt vmcnt(19) lgkmcnt(1)
	v_fmac_f32_e32 v21, v27, v57
	v_fmac_f32_e32 v22, v28, v58
	s_waitcnt vmcnt(18)
	v_fmac_f32_e32 v21, v29, v59
	v_fmac_f32_e32 v22, v30, v60
	ds_read_b128 v[27:30], v11 offset:160
	s_clause 0x1
	global_load_dwordx2 v[55:56], v[51:52], off offset:512
	global_load_dwordx2 v[57:58], v[51:52], off offset:768
	s_waitcnt vmcnt(19)
	v_fmac_f32_e32 v21, v31, v63
	v_fmac_f32_e32 v22, v32, v64
	s_clause 0x1
	global_load_dwordx2 v[59:60], v[51:52], off offset:1024
	global_load_dwordx2 v[63:64], v[51:52], off offset:1280
	s_waitcnt vmcnt(20)
	v_fmac_f32_e32 v21, v33, v65
	v_fmac_f32_e32 v22, v34, v66
	s_clause 0x1
	global_load_dwordx2 v[65:66], v[51:52], off offset:1536
	global_load_dwordx2 v[51:52], v[51:52], off offset:1792
	s_waitcnt vmcnt(21) lgkmcnt(1)
	v_fmac_f32_e32 v21, v23, v67
	v_fmac_f32_e32 v22, v24, v68
	s_waitcnt vmcnt(20)
	v_fmac_f32_e32 v21, v25, v69
	v_fmac_f32_e32 v22, v26, v70
	ds_read_b128 v[23:26], v11 offset:176
	s_waitcnt vmcnt(19) lgkmcnt(1)
	v_fmac_f32_e32 v21, v27, v71
	v_fmac_f32_e32 v22, v28, v72
	s_waitcnt vmcnt(18)
	v_fmac_f32_e32 v21, v29, v73
	v_fmac_f32_e32 v22, v30, v74
	ds_read_b128 v[27:30], v11 offset:192
	s_clause 0x1
	global_load_dwordx2 v[67:68], v[5:6], off
	global_load_dwordx2 v[69:70], v[5:6], off offset:256
	s_waitcnt vmcnt(19) lgkmcnt(1)
	v_fmac_f32_e32 v21, v23, v35
	v_fmac_f32_e32 v22, v24, v36
	global_load_dwordx2 v[35:36], v[5:6], off offset:512
	s_waitcnt vmcnt(19)
	v_fmac_f32_e32 v21, v25, v37
	v_fmac_f32_e32 v22, v26, v38
	global_load_dwordx2 v[37:38], v[5:6], off offset:768
	ds_read_b128 v[23:26], v11 offset:208
	s_waitcnt vmcnt(19) lgkmcnt(1)
	v_fmac_f32_e32 v21, v27, v61
	v_fmac_f32_e32 v22, v28, v62
	global_load_dwordx2 v[61:62], v[5:6], off offset:1024
	s_waitcnt vmcnt(19)
	v_fmac_f32_e32 v21, v75, v29
	v_fmac_f32_e32 v22, v76, v30
	s_clause 0x2
	global_load_dwordx2 v[71:72], v[5:6], off offset:1280
	global_load_dwordx2 v[73:74], v[5:6], off offset:1536
	;; [unrolled: 1-line block ×3, first 2 shown]
	ds_read_b128 v[27:30], v11 offset:224
	ds_read_b128 v[31:34], v11 offset:256
	s_waitcnt vmcnt(20) lgkmcnt(2)
	v_fmac_f32_e32 v21, v41, v23
	v_fmac_f32_e32 v22, v42, v24
	s_waitcnt vmcnt(19)
	v_fmac_f32_e32 v21, v43, v25
	v_fmac_f32_e32 v22, v44, v26
	ds_read_b128 v[23:26], v11 offset:240
	s_waitcnt vmcnt(18) lgkmcnt(2)
	v_fmac_f32_e32 v21, v45, v27
	v_fmac_f32_e32 v22, v46, v28
	s_waitcnt vmcnt(17)
	v_fmac_f32_e32 v21, v47, v29
	v_fmac_f32_e32 v22, v48, v30
	;; [unrolled: 7-line block ×3, first 2 shown]
	ds_read_b128 v[23:26], v11 offset:288
	v_fmac_f32_e32 v21, v3, v31
	v_fmac_f32_e32 v22, v4, v32
	ds_read_b128 v[3:6], v11 offset:304
	s_waitcnt vmcnt(14)
	v_fmac_f32_e32 v21, v53, v33
	v_fmac_f32_e32 v22, v54, v34
	s_waitcnt vmcnt(13) lgkmcnt(2)
	v_fmac_f32_e32 v21, v55, v27
	v_fmac_f32_e32 v22, v56, v28
	s_waitcnt vmcnt(12)
	v_fmac_f32_e32 v21, v57, v29
	v_fmac_f32_e32 v22, v58, v30
	ds_read_b128 v[27:30], v11 offset:320
	s_waitcnt vmcnt(11) lgkmcnt(2)
	v_fmac_f32_e32 v21, v59, v23
	v_fmac_f32_e32 v22, v60, v24
	s_waitcnt vmcnt(10)
	v_fmac_f32_e32 v21, v63, v25
	v_fmac_f32_e32 v22, v64, v26
	ds_read_b128 v[23:26], v11 offset:336
	;; [unrolled: 7-line block ×4, first 2 shown]
	s_waitcnt vmcnt(5) lgkmcnt(2)
	v_fmac_f32_e32 v21, v35, v23
	v_fmac_f32_e32 v22, v36, v24
	s_waitcnt vmcnt(4)
	v_fmac_f32_e32 v21, v37, v25
	v_fmac_f32_e32 v22, v38, v26
	s_waitcnt vmcnt(3) lgkmcnt(1)
	v_fmac_f32_e32 v21, v61, v3
	v_fmac_f32_e32 v22, v62, v4
	v_cndmask_b32_e64 v3, v0, v14, s2
	s_waitcnt vmcnt(2)
	v_fmac_f32_e32 v21, v71, v5
	v_fmac_f32_e32 v22, v72, v6
	v_lshlrev_b32_e32 v4, 2, v3
	s_waitcnt vmcnt(1) lgkmcnt(0)
	v_fmac_f32_e32 v21, v73, v27
	v_fmac_f32_e32 v22, v74, v28
	s_waitcnt vmcnt(0)
	v_fmac_f32_e32 v21, v75, v29
	v_fmac_f32_e32 v22, v76, v30
	v_add_f32_e32 v3, v21, v22
	ds_bpermute_b32 v4, v4, v3
	s_and_saveexec_b32 s36, vcc_lo
	s_cbranch_execz .LBB25_10
; %bb.18:                               ;   in Loop: Header=BB25_12 Depth=1
	v_add_nc_u32_e32 v5, v15, v12
	s_waitcnt lgkmcnt(0)
	v_add_f32_e32 v3, v3, v4
	v_cvt_f32_i32_e32 v5, v5
	v_mul_f32_e32 v5, s33, v5
	v_cndmask_b32_e64 v4, 0, v5, s1
	v_max_f32_e32 v5, v9, v9
	v_fmac_f32_e32 v4, s29, v3
	v_add_nc_u32_e32 v3, v10, v12
	v_max_f32_e32 v5, v5, v4
	v_cmp_gt_i32_e64 s2, s30, v3
	v_cndmask_b32_e64 v3, 0, v4, s2
	v_cndmask_b32_e64 v9, v9, v5, s2
	ds_write_b32 v16, v3
	s_branch .LBB25_10
.LBB25_19:
	s_or_b32 exec_lo, exec_lo, s15
.LBB25_20:
	s_or_b32 exec_lo, exec_lo, s34
	v_xor_b32_e32 v1, 16, v0
	v_xor_b32_e32 v3, 8, v0
	s_waitcnt lgkmcnt(0)
	v_max_f32_e32 v4, v9, v9
	v_and_b32_e32 v43, 31, v77
	v_cmp_gt_i32_e32 vcc_lo, 32, v1
	v_cndmask_b32_e32 v1, v0, v1, vcc_lo
	v_cmp_gt_i32_e32 vcc_lo, 32, v3
	v_lshlrev_b32_e32 v1, 2, v1
	v_cndmask_b32_e32 v3, v0, v3, vcc_lo
	ds_bpermute_b32 v2, v1, v9
	s_waitcnt lgkmcnt(0)
	v_max_f32_e32 v5, v2, v2
	v_lshlrev_b32_e32 v2, 2, v3
	v_max_f32_e32 v4, v4, v5
	v_xor_b32_e32 v5, 4, v0
	ds_bpermute_b32 v3, v2, v4
	v_cmp_gt_i32_e32 vcc_lo, 32, v5
	v_cndmask_b32_e32 v5, v0, v5, vcc_lo
	s_waitcnt lgkmcnt(0)
	v_max_f32_e32 v6, v3, v3
	v_lshlrev_b32_e32 v3, 2, v5
	v_max_f32_e32 v4, v4, v6
	v_xor_b32_e32 v6, 2, v0
	ds_bpermute_b32 v5, v3, v4
	v_cmp_gt_i32_e32 vcc_lo, 32, v6
	v_cndmask_b32_e32 v6, v0, v6, vcc_lo
	v_cmp_eq_u32_e32 vcc_lo, 0, v43
	v_lshlrev_b32_e32 v106, 2, v6
	s_waitcnt lgkmcnt(0)
	v_max_f32_e32 v5, v5, v5
	v_max_f32_e32 v5, v4, v5
	v_lshlrev_b32_e32 v4, 2, v111
	ds_bpermute_b32 v6, v106, v5
	s_and_saveexec_b32 s1, vcc_lo
	s_cbranch_execz .LBB25_22
; %bb.21:
	s_waitcnt lgkmcnt(0)
	v_max_f32_e32 v6, v6, v6
	v_max_f32_e32 v5, v5, v5
	;; [unrolled: 1-line block ×3, first 2 shown]
	ds_write_b32 v4, v5 offset:768
.LBB25_22:
	s_or_b32 exec_lo, exec_lo, s1
	v_cmp_gt_u32_e64 s1, 4, v43
	s_waitcnt lgkmcnt(0)
	v_mov_b32_e32 v6, 0xff7fffff
	v_lshlrev_b32_e32 v5, 2, v43
	s_barrier
	buffer_gl0_inv
	s_and_saveexec_b32 s2, s1
; %bb.23:
	ds_read_b32 v6, v5 offset:768
; %bb.24:
	s_or_b32 exec_lo, exec_lo, s2
	s_waitcnt lgkmcnt(0)
	ds_bpermute_b32 v9, v106, v6
	v_xor_b32_e32 v10, 1, v0
	v_max_f32_e32 v6, v6, v6
	v_cmp_gt_i32_e64 s2, 32, v10
	v_cndmask_b32_e64 v0, v0, v10, s2
	s_lshl_b32 s2, s16, 4
	s_min_i32 s4, s2, s30
	v_lshlrev_b32_e32 v107, 2, v0
	v_cmp_gt_i32_e64 s2, s4, v77
	s_waitcnt lgkmcnt(0)
	v_max_f32_e32 v9, v9, v9
	v_max_f32_e32 v0, v6, v9
	ds_bpermute_b32 v6, v107, v0
	s_waitcnt lgkmcnt(0)
	v_max_f32_e32 v6, v6, v6
	v_max_f32_e32 v0, v0, v6
	v_mov_b32_e32 v6, 0
	ds_bpermute_b32 v9, v6, v0
	v_lshl_add_u32 v0, v77, 2, 0x320
	s_and_saveexec_b32 s5, s2
	s_cbranch_execz .LBB25_28
; %bb.25:
	v_lshl_add_u32 v10, v77, 2, 0x320
	v_mov_b32_e32 v6, 0
	v_mov_b32_e32 v11, v77
	s_mov_b32 s15, 0
	.p2align	6
.LBB25_26:                              ; =>This Inner Loop Header: Depth=1
	ds_read_b32 v12, v10
	v_add_nc_u32_e32 v11, 0x80, v11
	v_cmp_le_i32_e64 s3, s4, v11
	s_or_b32 s15, s3, s15
	s_waitcnt lgkmcnt(0)
	v_sub_f32_e32 v12, v12, v9
	v_mul_f32_e32 v12, 0x3fb8aa3b, v12
	v_exp_f32_e32 v12, v12
	ds_write_b32 v10, v12
	v_add_f32_e32 v6, v6, v12
	v_add_nc_u32_e32 v10, 0x200, v10
	s_andn2_b32 exec_lo, exec_lo, s15
	s_cbranch_execnz .LBB25_26
; %bb.27:
	s_or_b32 exec_lo, exec_lo, s15
.LBB25_28:
	s_or_b32 exec_lo, exec_lo, s5
	ds_bpermute_b32 v1, v1, v6
	s_waitcnt lgkmcnt(0)
	v_add_f32_e32 v1, v6, v1
	ds_bpermute_b32 v2, v2, v1
	s_waitcnt lgkmcnt(0)
	v_add_f32_e32 v1, v1, v2
	;; [unrolled: 3-line block ×5, first 2 shown]
	s_and_saveexec_b32 s3, vcc_lo
; %bb.29:
	ds_write_b32 v4, v1 offset:784
; %bb.30:
	s_or_b32 exec_lo, exec_lo, s3
	s_waitcnt lgkmcnt(0)
	s_barrier
	buffer_gl0_inv
	s_and_saveexec_b32 s3, s1
; %bb.31:
	ds_read_b32 v1, v5 offset:784
; %bb.32:
	s_or_b32 exec_lo, exec_lo, s3
	s_waitcnt lgkmcnt(0)
	ds_bpermute_b32 v2, v106, v1
	s_waitcnt lgkmcnt(0)
	v_add_f32_e32 v1, v1, v2
	ds_bpermute_b32 v2, v107, v1
	s_waitcnt lgkmcnt(0)
	v_add_f32_e32 v1, v1, v2
	v_mov_b32_e32 v2, 0
	ds_bpermute_b32 v1, v2, v1
	s_and_saveexec_b32 s1, s2
	s_cbranch_execz .LBB25_35
; %bb.33:
	s_waitcnt lgkmcnt(0)
	v_add_f32_e32 v1, 0x358637bd, v1
	s_mov_b32 s2, 0
	v_div_scale_f32 v2, null, v1, v1, 1.0
	v_div_scale_f32 v5, vcc_lo, 1.0, v1, 1.0
	v_rcp_f32_e32 v3, v2
	v_fma_f32 v4, -v2, v3, 1.0
	v_fmac_f32_e32 v3, v4, v3
	v_mul_f32_e32 v4, v5, v3
	v_fma_f32 v6, -v2, v4, v5
	v_fmac_f32_e32 v4, v6, v3
	v_fma_f32 v2, -v2, v4, v5
	v_div_fmas_f32 v2, v2, v3, v4
	v_div_fixup_f32 v1, v2, v1, 1.0
	v_mov_b32_e32 v2, v77
.LBB25_34:                              ; =>This Inner Loop Header: Depth=1
	ds_read_b32 v3, v0
	v_add_nc_u32_e32 v2, 0x80, v2
	v_cmp_le_i32_e32 vcc_lo, s4, v2
	s_or_b32 s2, vcc_lo, s2
	s_waitcnt lgkmcnt(0)
	v_mul_f32_e32 v3, v1, v3
	ds_write_b32 v0, v3
	v_add_nc_u32_e32 v0, 0x200, v0
	s_andn2_b32 exec_lo, exec_lo, s2
	s_cbranch_execnz .LBB25_34
.LBB25_35:
	s_or_b32 exec_lo, exec_lo, s1
	v_mov_b32_e32 v19, 0
	v_and_b32_e32 v44, 3, v77
	v_mov_b32_e32 v20, 0
	v_mov_b32_e32 v18, 0
	;; [unrolled: 1-line block ×23, first 2 shown]
	s_waitcnt lgkmcnt(0)
	s_barrier
	buffer_gl0_inv
	s_and_saveexec_b32 s1, s0
	s_cbranch_execz .LBB25_89
; %bb.36:
	s_ashr_i32 s15, s14, 31
	s_sub_i32 s2, s28, s17
	s_lshl_b64 s[4:5], s[14:15], 2
	v_and_b32_e32 v1, 12, v7
	s_add_u32 s0, s26, s4
	s_addc_u32 s5, s27, s5
	s_abs_i32 s3, s18
	buffer_store_dword v43, off, s[40:43], 0 offset:52 ; 4-byte Folded Spill
	v_cvt_f32_u32_e32 v0, s3
	s_sub_i32 s4, 0, s3
	buffer_store_dword v1, off, s[40:43], 0 offset:32 ; 4-byte Folded Spill
	buffer_store_dword v77, off, s[40:43], 0 offset:44 ; 4-byte Folded Spill
	v_lshlrev_b32_e32 v1, 4, v77
	v_lshlrev_b32_e32 v3, 4, v44
	v_rcp_iflag_f32_e32 v0, v0
	v_and_b32_e32 v2, 0x7c, v8
	s_lshl_b64 s[14:15], s[24:25], 2
	v_and_b32_e32 v1, 0x1f0, v1
	v_lshl_or_b32 v3, v111, 6, v3
	v_mov_b32_e32 v116, 0
	v_mov_b32_e32 v117, 0
	;; [unrolled: 1-line block ×3, first 2 shown]
	v_add_co_u32 v1, s0, s0, v1
	v_mul_f32_e32 v0, 0x4f7ffffe, v0
	v_mov_b32_e32 v119, 0
	v_mov_b32_e32 v120, 0
	buffer_store_dword v1, off, s[40:43], 0 offset:36 ; 4-byte Folded Spill
	v_add_co_ci_u32_e64 v1, null, s5, 0, s0
	v_cvt_u32_f32_e32 v0, v0
	v_mov_b32_e32 v121, 0
	v_mov_b32_e32 v122, 0
	;; [unrolled: 1-line block ×4, first 2 shown]
	v_mul_lo_u32 v4, s4, v0
	s_add_i32 s4, s16, -1
	s_add_u32 s14, s22, s14
	s_addc_u32 s15, s23, s15
	v_add_co_u32 v101, s0, s14, v2
	v_mov_b32_e32 v125, 0
	v_mov_b32_e32 v126, 0
	v_mul_hi_u32 v4, v0, v4
	v_mov_b32_e32 v127, 0
	v_mov_b32_e32 v108, 0
	;; [unrolled: 1-line block ×5, first 2 shown]
	v_add_nc_u32_e32 v110, 0x320, v3
	v_add_co_ci_u32_e64 v102, null, s15, 0, s0
	v_add_nc_u32_e32 v0, v0, v4
	v_mov_b32_e32 v24, 0
	v_mov_b32_e32 v26, 0
	;; [unrolled: 1-line block ×4, first 2 shown]
	buffer_store_dword v0, off, s[40:43], 0 ; 4-byte Folded Spill
	v_mov_b32_e32 v0, 0
	v_mov_b32_e32 v18, 0
	;; [unrolled: 1-line block ×4, first 2 shown]
	s_mov_b32 s5, 0
	buffer_store_dword v44, off, s[40:43], 0 offset:56 ; 4-byte Folded Spill
	buffer_store_dword v1, off, s[40:43], 0 offset:40 ; 4-byte Folded Spill
	;; [unrolled: 1-line block ×3, first 2 shown]
	s_branch .LBB25_39
.LBB25_37:                              ;   in Loop: Header=BB25_39 Depth=1
	s_or_b32 exec_lo, exec_lo, s0
	s_waitcnt vmcnt(18) lgkmcnt(0)
	v_mul_f32_e32 v25, v1, v25
	v_mul_f32_e32 v21, v1, v21
	v_mul_f32_e32 v17, v1, v17
	s_waitcnt vmcnt(1)
	v_mul_f32_e32 v97, v1, v97
	v_mul_f32_e32 v93, v1, v93
	v_fmac_f32_e32 v25, v2, v26
	buffer_load_dword v26, off, s[40:43], 0 offset:4 ; 4-byte Folded Reload
	v_fmac_f32_e32 v21, v2, v22
	v_fmac_f32_e32 v17, v2, v18
	v_mul_f32_e32 v89, v1, v89
	v_fmac_f32_e32 v25, v3, v27
	buffer_load_dword v27, off, s[40:43], 0 offset:8 ; 4-byte Folded Reload
	v_fmac_f32_e32 v21, v3, v23
	v_fmac_f32_e32 v17, v3, v19
	;; [unrolled: 5-line block ×3, first 2 shown]
	v_mov_b32_e32 v24, v0
	buffer_load_dword v0, off, s[40:43], 0 offset:16 ; 4-byte Folded Reload
	v_mul_f32_e32 v81, v1, v81
	v_mul_f32_e32 v77, v1, v77
	;; [unrolled: 1-line block ×16, first 2 shown]
	s_waitcnt vmcnt(4)
	v_mul_f32_e32 v1, v1, v69
	v_fmac_f32_e32 v97, v2, v98
	v_fmac_f32_e32 v93, v2, v94
	;; [unrolled: 1-line block ×63, first 2 shown]
	v_add_f32_e32 v117, v117, v97
	v_add_f32_e32 v118, v118, v93
	v_add_f32_e32 v119, v119, v89
	v_add_f32_e32 v120, v120, v85
	v_add_f32_e32 v121, v121, v81
	v_add_f32_e32 v122, v122, v77
	v_add_f32_e32 v123, v123, v73
	v_add_f32_e32 v124, v124, v65
	v_add_f32_e32 v125, v125, v61
	v_add_f32_e32 v126, v126, v57
	v_add_f32_e32 v127, v127, v53
	v_add_f32_e32 v108, v108, v49
	v_add_f32_e32 v103, v103, v45
	v_add_f32_e32 v105, v105, v41
	v_add_f32_e32 v109, v109, v37
	v_add_f32_e32 v24, v24, v33
	v_add_f32_e32 v116, v116, v1
	s_clause 0x1
	buffer_load_dword v18, off, s[40:43], 0 offset:20
	buffer_load_dword v20, off, s[40:43], 0 offset:28
	s_waitcnt vmcnt(5)
	v_add_f32_e32 v26, v26, v29
	s_waitcnt vmcnt(4)
	v_add_f32_e32 v27, v27, v25
	buffer_load_dword v25, off, s[40:43], 0 offset:12 ; 4-byte Folded Reload
	s_waitcnt vmcnt(4)
	v_add_f32_e32 v19, v19, v5
	s_waitcnt vmcnt(3)
	v_add_f32_e32 v0, v0, v17
	;; [unrolled: 2-line block ×5, first 2 shown]
.LBB25_38:                              ;   in Loop: Header=BB25_39 Depth=1
	s_or_b32 exec_lo, exec_lo, s14
	v_add_nc_u32_e32 v111, 4, v111
	v_add_co_u32 v101, s0, v101, 16
	v_add_co_ci_u32_e64 v102, null, 0, v102, s0
	v_cmp_le_i32_e32 vcc_lo, s16, v111
	v_add_nc_u32_e32 v104, 64, v104
	v_add_nc_u32_e32 v110, 0x100, v110
	s_or_b32 s5, vcc_lo, s5
	s_andn2_b32 exec_lo, exec_lo, s5
	s_cbranch_execz .LBB25_88
.LBB25_39:                              ; =>This Inner Loop Header: Depth=1
	v_mul_hi_u32 v1, v104, s21
	v_mul_lo_u32 v2, v1, s12
	v_add_nc_u32_e32 v3, 1, v1
	v_sub_nc_u32_e32 v2, v104, v2
	v_subrev_nc_u32_e32 v4, s12, v2
	v_cmp_le_u32_e32 vcc_lo, s12, v2
	v_cndmask_b32_e32 v2, v2, v4, vcc_lo
	buffer_load_dword v4, off, s[40:43], 0  ; 4-byte Folded Reload
	v_cndmask_b32_e32 v1, v1, v3, vcc_lo
	v_cmp_le_u32_e32 vcc_lo, s12, v2
	v_add_nc_u32_e32 v3, 1, v1
	v_cndmask_b32_e32 v1, v1, v3, vcc_lo
	v_xor_b32_e32 v1, s19, v1
	v_subrev_nc_u32_e32 v1, s19, v1
	v_add_nc_u32_e32 v2, s31, v1
	v_cmp_lt_i32_e64 s0, s2, v1
	v_sub_nc_u32_e32 v3, 0, v2
	v_max_i32_e32 v3, v2, v3
	v_ashrrev_i32_e32 v2, 31, v2
	s_waitcnt vmcnt(0)
	v_mul_hi_u32 v4, v3, v4
	v_mul_lo_u32 v4, v4, s3
	v_sub_nc_u32_e32 v3, v3, v4
	v_subrev_nc_u32_e32 v4, s3, v3
	v_cmp_le_u32_e32 vcc_lo, s3, v3
	v_cndmask_b32_e32 v3, v3, v4, vcc_lo
	v_subrev_nc_u32_e32 v4, s3, v3
	v_cmp_le_u32_e32 vcc_lo, s3, v3
	v_cndmask_b32_e32 v3, v3, v4, vcc_lo
	v_xor_b32_e32 v3, v3, v2
	v_sub_nc_u32_e32 v2, v3, v2
	v_cmp_eq_u32_e32 vcc_lo, 0, v2
	s_or_b32 s0, vcc_lo, s0
	s_and_saveexec_b32 s14, s0
	s_cbranch_execz .LBB25_38
; %bb.40:                               ;   in Loop: Header=BB25_39 Depth=1
	buffer_store_dword v20, off, s[40:43], 0 offset:28 ; 4-byte Folded Spill
	buffer_store_dword v19, off, s[40:43], 0 offset:24 ; 4-byte Folded Spill
	;; [unrolled: 1-line block ×7, first 2 shown]
	global_load_dword v1, v[101:102], off
	s_clause 0x1
	buffer_load_dword v3, off, s[40:43], 0 offset:36
	buffer_load_dword v9, off, s[40:43], 0 offset:32
	v_mov_b32_e32 v0, v24
	s_waitcnt vmcnt(2)
	v_mad_i64_i32 v[1:2], null, v1, s13, 0
	s_waitcnt vmcnt(0)
	v_add_nc_u32_e32 v113, v9, v104
	v_add_nc_u32_e32 v115, 1, v113
	v_lshlrev_b64 v[1:2], 2, v[1:2]
	v_add_nc_u32_e32 v114, 2, v113
	v_add_nc_u32_e32 v112, 3, v113
	v_add_co_u32 v69, vcc_lo, v3, v1
	buffer_load_dword v1, off, s[40:43], 0 offset:40 ; 4-byte Folded Reload
	s_waitcnt vmcnt(0)
	v_add_co_ci_u32_e64 v70, null, v1, v2, vcc_lo
	ds_read_b128 v[1:4], v110
	v_cmp_eq_u32_e32 vcc_lo, s4, v111
	global_load_dwordx4 v[5:8], v[69:70], off
	s_and_saveexec_b32 s15, vcc_lo
	s_cbranch_execnz .LBB25_69
; %bb.41:                               ;   in Loop: Header=BB25_39 Depth=1
	s_or_b32 exec_lo, exec_lo, s15
	global_load_dwordx4 v[9:12], v[69:70], off offset:512
	s_and_saveexec_b32 s15, vcc_lo
	s_cbranch_execnz .LBB25_70
.LBB25_42:                              ;   in Loop: Header=BB25_39 Depth=1
	s_or_b32 exec_lo, exec_lo, s15
	global_load_dwordx4 v[13:16], v[69:70], off offset:1024
	s_and_saveexec_b32 s15, vcc_lo
	s_cbranch_execnz .LBB25_71
.LBB25_43:                              ;   in Loop: Header=BB25_39 Depth=1
	s_or_b32 exec_lo, exec_lo, s15
	global_load_dwordx4 v[17:20], v[69:70], off offset:1536
	s_and_saveexec_b32 s15, vcc_lo
	s_cbranch_execz .LBB25_45
.LBB25_44:                              ;   in Loop: Header=BB25_39 Depth=1
	v_cmp_gt_i32_e64 s0, s30, v113
	s_waitcnt vmcnt(0)
	v_cndmask_b32_e64 v17, 0, v17, s0
	v_cmp_gt_i32_e64 s0, s30, v115
	v_cndmask_b32_e64 v18, 0, v18, s0
	v_cmp_gt_i32_e64 s0, s30, v114
	;; [unrolled: 2-line block ×3, first 2 shown]
	v_cndmask_b32_e64 v20, 0, v20, s0
.LBB25_45:                              ;   in Loop: Header=BB25_39 Depth=1
	s_or_b32 exec_lo, exec_lo, s15
	v_add_co_u32 v33, s0, 0x800, v69
	v_add_co_ci_u32_e64 v34, null, 0, v70, s0
	global_load_dwordx4 v[21:24], v[33:34], off
	s_and_saveexec_b32 s15, vcc_lo
	s_cbranch_execnz .LBB25_72
; %bb.46:                               ;   in Loop: Header=BB25_39 Depth=1
	s_or_b32 exec_lo, exec_lo, s15
	global_load_dwordx4 v[25:28], v[33:34], off offset:512
	s_and_saveexec_b32 s15, vcc_lo
	s_cbranch_execnz .LBB25_73
.LBB25_47:                              ;   in Loop: Header=BB25_39 Depth=1
	s_or_b32 exec_lo, exec_lo, s15
	global_load_dwordx4 v[29:32], v[33:34], off offset:1024
	s_and_saveexec_b32 s15, vcc_lo
	s_cbranch_execnz .LBB25_74
.LBB25_48:                              ;   in Loop: Header=BB25_39 Depth=1
	s_or_b32 exec_lo, exec_lo, s15
	global_load_dwordx4 v[33:36], v[33:34], off offset:1536
	s_and_saveexec_b32 s15, vcc_lo
	s_cbranch_execz .LBB25_50
.LBB25_49:                              ;   in Loop: Header=BB25_39 Depth=1
	v_cmp_gt_i32_e64 s0, s30, v113
	s_waitcnt vmcnt(0)
	v_cndmask_b32_e64 v33, 0, v33, s0
	v_cmp_gt_i32_e64 s0, s30, v115
	v_cndmask_b32_e64 v34, 0, v34, s0
	v_cmp_gt_i32_e64 s0, s30, v114
	;; [unrolled: 2-line block ×3, first 2 shown]
	v_cndmask_b32_e64 v36, 0, v36, s0
.LBB25_50:                              ;   in Loop: Header=BB25_39 Depth=1
	s_or_b32 exec_lo, exec_lo, s15
	v_add_co_u32 v49, s0, 0x1000, v69
	v_add_co_ci_u32_e64 v50, null, 0, v70, s0
	global_load_dwordx4 v[37:40], v[49:50], off
	s_and_saveexec_b32 s15, vcc_lo
	s_cbranch_execnz .LBB25_75
; %bb.51:                               ;   in Loop: Header=BB25_39 Depth=1
	s_or_b32 exec_lo, exec_lo, s15
	global_load_dwordx4 v[41:44], v[49:50], off offset:512
	s_and_saveexec_b32 s15, vcc_lo
	s_cbranch_execnz .LBB25_76
.LBB25_52:                              ;   in Loop: Header=BB25_39 Depth=1
	s_or_b32 exec_lo, exec_lo, s15
	global_load_dwordx4 v[45:48], v[49:50], off offset:1024
	s_and_saveexec_b32 s15, vcc_lo
	s_cbranch_execnz .LBB25_77
.LBB25_53:                              ;   in Loop: Header=BB25_39 Depth=1
	s_or_b32 exec_lo, exec_lo, s15
	global_load_dwordx4 v[49:52], v[49:50], off offset:1536
	s_and_saveexec_b32 s15, vcc_lo
	s_cbranch_execz .LBB25_55
.LBB25_54:                              ;   in Loop: Header=BB25_39 Depth=1
	v_cmp_gt_i32_e64 s0, s30, v113
	s_waitcnt vmcnt(0)
	v_cndmask_b32_e64 v49, 0, v49, s0
	v_cmp_gt_i32_e64 s0, s30, v115
	v_cndmask_b32_e64 v50, 0, v50, s0
	v_cmp_gt_i32_e64 s0, s30, v114
	;; [unrolled: 2-line block ×3, first 2 shown]
	v_cndmask_b32_e64 v52, 0, v52, s0
.LBB25_55:                              ;   in Loop: Header=BB25_39 Depth=1
	s_or_b32 exec_lo, exec_lo, s15
	v_add_co_u32 v65, s0, 0x1800, v69
	v_add_co_ci_u32_e64 v66, null, 0, v70, s0
	global_load_dwordx4 v[53:56], v[65:66], off
	s_and_saveexec_b32 s15, vcc_lo
	s_cbranch_execnz .LBB25_78
; %bb.56:                               ;   in Loop: Header=BB25_39 Depth=1
	s_or_b32 exec_lo, exec_lo, s15
	global_load_dwordx4 v[57:60], v[65:66], off offset:512
	s_and_saveexec_b32 s15, vcc_lo
	s_cbranch_execnz .LBB25_79
.LBB25_57:                              ;   in Loop: Header=BB25_39 Depth=1
	s_or_b32 exec_lo, exec_lo, s15
	global_load_dwordx4 v[61:64], v[65:66], off offset:1024
	s_and_saveexec_b32 s15, vcc_lo
	s_cbranch_execnz .LBB25_80
.LBB25_58:                              ;   in Loop: Header=BB25_39 Depth=1
	s_or_b32 exec_lo, exec_lo, s15
	global_load_dwordx4 v[65:68], v[65:66], off offset:1536
	s_and_saveexec_b32 s15, vcc_lo
	s_cbranch_execz .LBB25_60
.LBB25_59:                              ;   in Loop: Header=BB25_39 Depth=1
	v_cmp_gt_i32_e64 s0, s30, v113
	s_waitcnt vmcnt(0)
	v_cndmask_b32_e64 v65, 0, v65, s0
	v_cmp_gt_i32_e64 s0, s30, v115
	v_cndmask_b32_e64 v66, 0, v66, s0
	v_cmp_gt_i32_e64 s0, s30, v114
	;; [unrolled: 2-line block ×3, first 2 shown]
	v_cndmask_b32_e64 v68, 0, v68, s0
.LBB25_60:                              ;   in Loop: Header=BB25_39 Depth=1
	s_or_b32 exec_lo, exec_lo, s15
	v_add_co_u32 v71, s0, 0x2000, v69
	v_add_co_ci_u32_e64 v72, null, 0, v70, s0
	global_load_dwordx4 v[73:76], v[71:72], off
	s_and_saveexec_b32 s15, vcc_lo
	s_cbranch_execnz .LBB25_81
; %bb.61:                               ;   in Loop: Header=BB25_39 Depth=1
	s_or_b32 exec_lo, exec_lo, s15
	global_load_dwordx4 v[77:80], v[71:72], off offset:512
	s_and_saveexec_b32 s15, vcc_lo
	s_cbranch_execnz .LBB25_82
.LBB25_62:                              ;   in Loop: Header=BB25_39 Depth=1
	s_or_b32 exec_lo, exec_lo, s15
	global_load_dwordx4 v[81:84], v[71:72], off offset:1024
	s_and_saveexec_b32 s15, vcc_lo
	s_cbranch_execnz .LBB25_83
.LBB25_63:                              ;   in Loop: Header=BB25_39 Depth=1
	s_or_b32 exec_lo, exec_lo, s15
	global_load_dwordx4 v[85:88], v[71:72], off offset:1536
	s_and_saveexec_b32 s15, vcc_lo
	s_cbranch_execz .LBB25_65
.LBB25_64:                              ;   in Loop: Header=BB25_39 Depth=1
	v_cmp_gt_i32_e64 s0, s30, v113
	s_waitcnt vmcnt(0)
	v_cndmask_b32_e64 v85, 0, v85, s0
	v_cmp_gt_i32_e64 s0, s30, v115
	v_cndmask_b32_e64 v86, 0, v86, s0
	v_cmp_gt_i32_e64 s0, s30, v114
	;; [unrolled: 2-line block ×3, first 2 shown]
	v_cndmask_b32_e64 v88, 0, v88, s0
.LBB25_65:                              ;   in Loop: Header=BB25_39 Depth=1
	s_or_b32 exec_lo, exec_lo, s15
	v_add_co_u32 v69, s0, 0x2800, v69
	v_add_co_ci_u32_e64 v70, null, 0, v70, s0
	global_load_dwordx4 v[89:92], v[69:70], off
	s_and_saveexec_b32 s15, vcc_lo
	s_cbranch_execnz .LBB25_84
; %bb.66:                               ;   in Loop: Header=BB25_39 Depth=1
	s_or_b32 exec_lo, exec_lo, s15
	global_load_dwordx4 v[93:96], v[69:70], off offset:512
	s_and_saveexec_b32 s15, vcc_lo
	s_cbranch_execnz .LBB25_85
.LBB25_67:                              ;   in Loop: Header=BB25_39 Depth=1
	s_or_b32 exec_lo, exec_lo, s15
	global_load_dwordx4 v[97:100], v[69:70], off offset:1024
	s_and_saveexec_b32 s15, vcc_lo
	s_cbranch_execnz .LBB25_86
.LBB25_68:                              ;   in Loop: Header=BB25_39 Depth=1
	s_or_b32 exec_lo, exec_lo, s15
	global_load_dwordx4 v[69:72], v[69:70], off offset:1536
	s_and_saveexec_b32 s0, vcc_lo
	s_cbranch_execz .LBB25_37
	s_branch .LBB25_87
.LBB25_69:                              ;   in Loop: Header=BB25_39 Depth=1
	v_cmp_gt_i32_e64 s0, s30, v113
	s_waitcnt vmcnt(0)
	v_cndmask_b32_e64 v5, 0, v5, s0
	v_cmp_gt_i32_e64 s0, s30, v115
	v_cndmask_b32_e64 v6, 0, v6, s0
	v_cmp_gt_i32_e64 s0, s30, v114
	;; [unrolled: 2-line block ×3, first 2 shown]
	v_cndmask_b32_e64 v8, 0, v8, s0
	s_or_b32 exec_lo, exec_lo, s15
	global_load_dwordx4 v[9:12], v[69:70], off offset:512
	s_and_saveexec_b32 s15, vcc_lo
	s_cbranch_execz .LBB25_42
.LBB25_70:                              ;   in Loop: Header=BB25_39 Depth=1
	v_cmp_gt_i32_e64 s0, s30, v113
	s_waitcnt vmcnt(0)
	v_cndmask_b32_e64 v9, 0, v9, s0
	v_cmp_gt_i32_e64 s0, s30, v115
	v_cndmask_b32_e64 v10, 0, v10, s0
	v_cmp_gt_i32_e64 s0, s30, v114
	;; [unrolled: 2-line block ×3, first 2 shown]
	v_cndmask_b32_e64 v12, 0, v12, s0
	s_or_b32 exec_lo, exec_lo, s15
	global_load_dwordx4 v[13:16], v[69:70], off offset:1024
	s_and_saveexec_b32 s15, vcc_lo
	s_cbranch_execz .LBB25_43
.LBB25_71:                              ;   in Loop: Header=BB25_39 Depth=1
	v_cmp_gt_i32_e64 s0, s30, v113
	s_waitcnt vmcnt(0)
	v_cndmask_b32_e64 v13, 0, v13, s0
	v_cmp_gt_i32_e64 s0, s30, v115
	v_cndmask_b32_e64 v14, 0, v14, s0
	v_cmp_gt_i32_e64 s0, s30, v114
	v_cndmask_b32_e64 v15, 0, v15, s0
	v_cmp_gt_i32_e64 s0, s30, v112
	v_cndmask_b32_e64 v16, 0, v16, s0
	s_or_b32 exec_lo, exec_lo, s15
	global_load_dwordx4 v[17:20], v[69:70], off offset:1536
	s_and_saveexec_b32 s15, vcc_lo
	s_cbranch_execnz .LBB25_44
	s_branch .LBB25_45
.LBB25_72:                              ;   in Loop: Header=BB25_39 Depth=1
	v_cmp_gt_i32_e64 s0, s30, v113
	s_waitcnt vmcnt(0)
	v_cndmask_b32_e64 v21, 0, v21, s0
	v_cmp_gt_i32_e64 s0, s30, v115
	v_cndmask_b32_e64 v22, 0, v22, s0
	v_cmp_gt_i32_e64 s0, s30, v114
	;; [unrolled: 2-line block ×3, first 2 shown]
	v_cndmask_b32_e64 v24, 0, v24, s0
	s_or_b32 exec_lo, exec_lo, s15
	global_load_dwordx4 v[25:28], v[33:34], off offset:512
	s_and_saveexec_b32 s15, vcc_lo
	s_cbranch_execz .LBB25_47
.LBB25_73:                              ;   in Loop: Header=BB25_39 Depth=1
	v_cmp_gt_i32_e64 s0, s30, v113
	s_waitcnt vmcnt(0)
	v_cndmask_b32_e64 v25, 0, v25, s0
	v_cmp_gt_i32_e64 s0, s30, v115
	v_cndmask_b32_e64 v26, 0, v26, s0
	v_cmp_gt_i32_e64 s0, s30, v114
	;; [unrolled: 2-line block ×3, first 2 shown]
	v_cndmask_b32_e64 v28, 0, v28, s0
	s_or_b32 exec_lo, exec_lo, s15
	global_load_dwordx4 v[29:32], v[33:34], off offset:1024
	s_and_saveexec_b32 s15, vcc_lo
	s_cbranch_execz .LBB25_48
.LBB25_74:                              ;   in Loop: Header=BB25_39 Depth=1
	v_cmp_gt_i32_e64 s0, s30, v113
	s_waitcnt vmcnt(0)
	v_cndmask_b32_e64 v29, 0, v29, s0
	v_cmp_gt_i32_e64 s0, s30, v115
	v_cndmask_b32_e64 v30, 0, v30, s0
	v_cmp_gt_i32_e64 s0, s30, v114
	;; [unrolled: 2-line block ×3, first 2 shown]
	v_cndmask_b32_e64 v32, 0, v32, s0
	s_or_b32 exec_lo, exec_lo, s15
	global_load_dwordx4 v[33:36], v[33:34], off offset:1536
	s_and_saveexec_b32 s15, vcc_lo
	s_cbranch_execnz .LBB25_49
	s_branch .LBB25_50
.LBB25_75:                              ;   in Loop: Header=BB25_39 Depth=1
	v_cmp_gt_i32_e64 s0, s30, v113
	s_waitcnt vmcnt(0)
	v_cndmask_b32_e64 v37, 0, v37, s0
	v_cmp_gt_i32_e64 s0, s30, v115
	v_cndmask_b32_e64 v38, 0, v38, s0
	v_cmp_gt_i32_e64 s0, s30, v114
	v_cndmask_b32_e64 v39, 0, v39, s0
	v_cmp_gt_i32_e64 s0, s30, v112
	v_cndmask_b32_e64 v40, 0, v40, s0
	s_or_b32 exec_lo, exec_lo, s15
	global_load_dwordx4 v[41:44], v[49:50], off offset:512
	s_and_saveexec_b32 s15, vcc_lo
	s_cbranch_execz .LBB25_52
.LBB25_76:                              ;   in Loop: Header=BB25_39 Depth=1
	v_cmp_gt_i32_e64 s0, s30, v113
	s_waitcnt vmcnt(0)
	v_cndmask_b32_e64 v41, 0, v41, s0
	v_cmp_gt_i32_e64 s0, s30, v115
	v_cndmask_b32_e64 v42, 0, v42, s0
	v_cmp_gt_i32_e64 s0, s30, v114
	;; [unrolled: 2-line block ×3, first 2 shown]
	v_cndmask_b32_e64 v44, 0, v44, s0
	s_or_b32 exec_lo, exec_lo, s15
	global_load_dwordx4 v[45:48], v[49:50], off offset:1024
	s_and_saveexec_b32 s15, vcc_lo
	s_cbranch_execz .LBB25_53
.LBB25_77:                              ;   in Loop: Header=BB25_39 Depth=1
	v_cmp_gt_i32_e64 s0, s30, v113
	s_waitcnt vmcnt(0)
	v_cndmask_b32_e64 v45, 0, v45, s0
	v_cmp_gt_i32_e64 s0, s30, v115
	v_cndmask_b32_e64 v46, 0, v46, s0
	v_cmp_gt_i32_e64 s0, s30, v114
	;; [unrolled: 2-line block ×3, first 2 shown]
	v_cndmask_b32_e64 v48, 0, v48, s0
	s_or_b32 exec_lo, exec_lo, s15
	global_load_dwordx4 v[49:52], v[49:50], off offset:1536
	s_and_saveexec_b32 s15, vcc_lo
	s_cbranch_execnz .LBB25_54
	s_branch .LBB25_55
.LBB25_78:                              ;   in Loop: Header=BB25_39 Depth=1
	v_cmp_gt_i32_e64 s0, s30, v113
	s_waitcnt vmcnt(0)
	v_cndmask_b32_e64 v53, 0, v53, s0
	v_cmp_gt_i32_e64 s0, s30, v115
	v_cndmask_b32_e64 v54, 0, v54, s0
	v_cmp_gt_i32_e64 s0, s30, v114
	;; [unrolled: 2-line block ×3, first 2 shown]
	v_cndmask_b32_e64 v56, 0, v56, s0
	s_or_b32 exec_lo, exec_lo, s15
	global_load_dwordx4 v[57:60], v[65:66], off offset:512
	s_and_saveexec_b32 s15, vcc_lo
	s_cbranch_execz .LBB25_57
.LBB25_79:                              ;   in Loop: Header=BB25_39 Depth=1
	v_cmp_gt_i32_e64 s0, s30, v113
	s_waitcnt vmcnt(0)
	v_cndmask_b32_e64 v57, 0, v57, s0
	v_cmp_gt_i32_e64 s0, s30, v115
	v_cndmask_b32_e64 v58, 0, v58, s0
	v_cmp_gt_i32_e64 s0, s30, v114
	v_cndmask_b32_e64 v59, 0, v59, s0
	v_cmp_gt_i32_e64 s0, s30, v112
	v_cndmask_b32_e64 v60, 0, v60, s0
	s_or_b32 exec_lo, exec_lo, s15
	global_load_dwordx4 v[61:64], v[65:66], off offset:1024
	s_and_saveexec_b32 s15, vcc_lo
	s_cbranch_execz .LBB25_58
.LBB25_80:                              ;   in Loop: Header=BB25_39 Depth=1
	v_cmp_gt_i32_e64 s0, s30, v113
	s_waitcnt vmcnt(0)
	v_cndmask_b32_e64 v61, 0, v61, s0
	v_cmp_gt_i32_e64 s0, s30, v115
	v_cndmask_b32_e64 v62, 0, v62, s0
	v_cmp_gt_i32_e64 s0, s30, v114
	;; [unrolled: 2-line block ×3, first 2 shown]
	v_cndmask_b32_e64 v64, 0, v64, s0
	s_or_b32 exec_lo, exec_lo, s15
	global_load_dwordx4 v[65:68], v[65:66], off offset:1536
	s_and_saveexec_b32 s15, vcc_lo
	s_cbranch_execnz .LBB25_59
	s_branch .LBB25_60
.LBB25_81:                              ;   in Loop: Header=BB25_39 Depth=1
	v_cmp_gt_i32_e64 s0, s30, v113
	s_waitcnt vmcnt(0)
	v_cndmask_b32_e64 v73, 0, v73, s0
	v_cmp_gt_i32_e64 s0, s30, v115
	v_cndmask_b32_e64 v74, 0, v74, s0
	v_cmp_gt_i32_e64 s0, s30, v114
	;; [unrolled: 2-line block ×3, first 2 shown]
	v_cndmask_b32_e64 v76, 0, v76, s0
	s_or_b32 exec_lo, exec_lo, s15
	global_load_dwordx4 v[77:80], v[71:72], off offset:512
	s_and_saveexec_b32 s15, vcc_lo
	s_cbranch_execz .LBB25_62
.LBB25_82:                              ;   in Loop: Header=BB25_39 Depth=1
	v_cmp_gt_i32_e64 s0, s30, v113
	s_waitcnt vmcnt(0)
	v_cndmask_b32_e64 v77, 0, v77, s0
	v_cmp_gt_i32_e64 s0, s30, v115
	v_cndmask_b32_e64 v78, 0, v78, s0
	v_cmp_gt_i32_e64 s0, s30, v114
	;; [unrolled: 2-line block ×3, first 2 shown]
	v_cndmask_b32_e64 v80, 0, v80, s0
	s_or_b32 exec_lo, exec_lo, s15
	global_load_dwordx4 v[81:84], v[71:72], off offset:1024
	s_and_saveexec_b32 s15, vcc_lo
	s_cbranch_execz .LBB25_63
.LBB25_83:                              ;   in Loop: Header=BB25_39 Depth=1
	v_cmp_gt_i32_e64 s0, s30, v113
	s_waitcnt vmcnt(0)
	v_cndmask_b32_e64 v81, 0, v81, s0
	v_cmp_gt_i32_e64 s0, s30, v115
	v_cndmask_b32_e64 v82, 0, v82, s0
	v_cmp_gt_i32_e64 s0, s30, v114
	;; [unrolled: 2-line block ×3, first 2 shown]
	v_cndmask_b32_e64 v84, 0, v84, s0
	s_or_b32 exec_lo, exec_lo, s15
	global_load_dwordx4 v[85:88], v[71:72], off offset:1536
	s_and_saveexec_b32 s15, vcc_lo
	s_cbranch_execnz .LBB25_64
	s_branch .LBB25_65
.LBB25_84:                              ;   in Loop: Header=BB25_39 Depth=1
	v_cmp_gt_i32_e64 s0, s30, v113
	s_waitcnt vmcnt(0)
	v_cndmask_b32_e64 v89, 0, v89, s0
	v_cmp_gt_i32_e64 s0, s30, v115
	v_cndmask_b32_e64 v90, 0, v90, s0
	v_cmp_gt_i32_e64 s0, s30, v114
	;; [unrolled: 2-line block ×3, first 2 shown]
	v_cndmask_b32_e64 v92, 0, v92, s0
	s_or_b32 exec_lo, exec_lo, s15
	global_load_dwordx4 v[93:96], v[69:70], off offset:512
	s_and_saveexec_b32 s15, vcc_lo
	s_cbranch_execz .LBB25_67
.LBB25_85:                              ;   in Loop: Header=BB25_39 Depth=1
	v_cmp_gt_i32_e64 s0, s30, v113
	s_waitcnt vmcnt(0)
	v_cndmask_b32_e64 v93, 0, v93, s0
	v_cmp_gt_i32_e64 s0, s30, v115
	v_cndmask_b32_e64 v94, 0, v94, s0
	v_cmp_gt_i32_e64 s0, s30, v114
	;; [unrolled: 2-line block ×3, first 2 shown]
	v_cndmask_b32_e64 v96, 0, v96, s0
	s_or_b32 exec_lo, exec_lo, s15
	global_load_dwordx4 v[97:100], v[69:70], off offset:1024
	s_and_saveexec_b32 s15, vcc_lo
	s_cbranch_execz .LBB25_68
.LBB25_86:                              ;   in Loop: Header=BB25_39 Depth=1
	v_cmp_gt_i32_e64 s0, s30, v113
	s_waitcnt vmcnt(0)
	v_cndmask_b32_e64 v97, 0, v97, s0
	v_cmp_gt_i32_e64 s0, s30, v115
	v_cndmask_b32_e64 v98, 0, v98, s0
	v_cmp_gt_i32_e64 s0, s30, v114
	;; [unrolled: 2-line block ×3, first 2 shown]
	v_cndmask_b32_e64 v100, 0, v100, s0
	s_or_b32 exec_lo, exec_lo, s15
	global_load_dwordx4 v[69:72], v[69:70], off offset:1536
	s_and_saveexec_b32 s0, vcc_lo
	s_cbranch_execz .LBB25_37
.LBB25_87:                              ;   in Loop: Header=BB25_39 Depth=1
	v_cmp_gt_i32_e32 vcc_lo, s30, v113
	s_waitcnt vmcnt(0)
	v_cndmask_b32_e32 v69, 0, v69, vcc_lo
	v_cmp_gt_i32_e32 vcc_lo, s30, v115
	v_cndmask_b32_e32 v70, 0, v70, vcc_lo
	v_cmp_gt_i32_e32 vcc_lo, s30, v114
	;; [unrolled: 2-line block ×3, first 2 shown]
	v_cndmask_b32_e32 v72, 0, v72, vcc_lo
	s_branch .LBB25_37
.LBB25_88:
	s_or_b32 exec_lo, exec_lo, s5
	s_clause 0x3
	buffer_load_dword v77, off, s[40:43], 0 offset:44
	buffer_load_dword v111, off, s[40:43], 0 offset:48
	;; [unrolled: 1-line block ×4, first 2 shown]
.LBB25_89:
	s_or_b32 exec_lo, exec_lo, s1
	ds_bpermute_b32 v1, v106, v19
	ds_bpermute_b32 v2, v106, v20
	;; [unrolled: 1-line block ×19, first 2 shown]
	s_mov_b32 s0, exec_lo
	s_waitcnt lgkmcnt(18)
	v_add_f32_e32 v1, v19, v1
	s_waitcnt lgkmcnt(17)
	v_add_f32_e32 v2, v20, v2
	;; [unrolled: 2-line block ×4, first 2 shown]
	ds_bpermute_b32 v18, v106, v122
	ds_bpermute_b32 v0, v107, v1
	;; [unrolled: 1-line block ×5, first 2 shown]
	s_waitcnt lgkmcnt(19)
	v_add_f32_e32 v5, v25, v5
	s_waitcnt lgkmcnt(18)
	v_add_f32_e32 v6, v27, v6
	;; [unrolled: 2-line block ×5, first 2 shown]
	ds_bpermute_b32 v24, v107, v5
	ds_bpermute_b32 v25, v107, v6
	s_waitcnt lgkmcnt(16)
	v_add_f32_e32 v10, v105, v10
	s_waitcnt lgkmcnt(15)
	v_add_f32_e32 v11, v103, v11
	ds_bpermute_b32 v26, v107, v7
	s_waitcnt lgkmcnt(15)
	v_add_f32_e32 v12, v108, v12
	s_waitcnt lgkmcnt(14)
	v_add_f32_e32 v13, v127, v13
	;; [unrolled: 2-line block ×10, first 2 shown]
	ds_bpermute_b32 v4, v106, v119
	ds_bpermute_b32 v19, v106, v118
	;; [unrolled: 1-line block ×4, first 2 shown]
	v_add_f32_e32 v18, v122, v18
	v_add_f32_e32 v22, v121, v22
	;; [unrolled: 1-line block ×3, first 2 shown]
	ds_bpermute_b32 v27, v107, v8
	ds_bpermute_b32 v28, v107, v9
	ds_bpermute_b32 v29, v107, v10
	ds_bpermute_b32 v30, v107, v11
	ds_bpermute_b32 v31, v107, v12
	ds_bpermute_b32 v32, v107, v13
	ds_bpermute_b32 v33, v107, v14
	ds_bpermute_b32 v34, v107, v15
	ds_bpermute_b32 v35, v107, v16
	ds_bpermute_b32 v36, v107, v17
	ds_bpermute_b32 v37, v107, v18
	ds_bpermute_b32 v39, v107, v22
	s_waitcnt vmcnt(0) lgkmcnt(0)
	s_waitcnt_vscnt null, 0x0
	v_add_f32_e32 v38, v119, v4
	v_add_f32_e32 v40, v118, v19
	;; [unrolled: 1-line block ×4, first 2 shown]
	ds_bpermute_b32 v19, v107, v23
	ds_bpermute_b32 v20, v107, v38
	;; [unrolled: 1-line block ×3, first 2 shown]
	v_add_f32_e32 v4, v5, v24
	ds_bpermute_b32 v24, v107, v41
	v_add_f32_e32 v5, v6, v25
	ds_bpermute_b32 v25, v107, v42
	v_add_f32_e32 v6, v7, v26
	v_and_b32_e32 v26, 28, v43
	v_add_f32_e32 v7, v8, v27
	v_add_f32_e32 v8, v9, v28
	;; [unrolled: 1-line block ×12, first 2 shown]
	s_waitcnt lgkmcnt(4)
	v_add_f32_e32 v19, v23, v19
	s_waitcnt lgkmcnt(3)
	v_add_f32_e32 v20, v38, v20
	;; [unrolled: 2-line block ×4, first 2 shown]
	v_and_b32_e32 v27, 0x3c3, v77
	s_waitcnt lgkmcnt(0)
	v_add_f32_e32 v23, v42, v25
	v_lshrrev_b32_e32 v24, 2, v43
	v_add_nc_u32_e32 v25, 0x320, v26
	v_mul_u32_u24_e32 v26, 0x300, v111
	s_barrier
	buffer_gl0_inv
	v_cmpx_eq_u32_e32 64, v27
	s_cbranch_execz .LBB25_91
; %bb.90:
	v_add_nc_u32_e32 v27, v25, v26
	v_add_nc_u32_e32 v28, 0xfffffa00, v27
	;; [unrolled: 1-line block ×7, first 2 shown]
	ds_write_b32 v28, v0
	ds_write_b32 v29, v1
	;; [unrolled: 1-line block ×4, first 2 shown]
	v_add_nc_u32_e32 v28, 0xfffffac0, v27
	v_add_nc_u32_e32 v29, 0xfffffae0, v27
	v_add_nc_u32_e32 v30, 0xfffffb00, v27
	ds_write_b32 v32, v4
	ds_write_b32 v33, v5
	ds_write_b32 v28, v6
	ds_write_b32 v29, v7
	ds_write_b32 v30, v8
	v_add_nc_u32_e32 v28, 0xfffffb20, v27
	v_add_nc_u32_e32 v29, 0xfffffb40, v27
	v_add_nc_u32_e32 v30, 0xfffffb60, v27
	v_add_nc_u32_e32 v31, 0xfffffb80, v27
	v_add_nc_u32_e32 v32, 0xfffffba0, v27
	ds_write_b32 v28, v9
	ds_write_b32 v29, v10
	ds_write_b32 v30, v11
	ds_write_b32 v31, v12
	ds_write_b32 v32, v13
	v_add_nc_u32_e32 v28, 0xfffffbc0, v27
	v_add_nc_u32_e32 v29, 0xfffffbe0, v27
	;; [unrolled: 10-line block ×3, first 2 shown]
	v_add_nc_u32_e32 v30, 0xfffffca0, v27
	v_add_nc_u32_e32 v31, 0xfffffcc0, v27
	;; [unrolled: 1-line block ×3, first 2 shown]
	ds_write_b32 v28, v19
	ds_write_b32 v29, v20
	ds_write_b32 v30, v21
	ds_write_b32 v31, v22
	ds_write_b32 v27, v23
.LBB25_91:
	s_or_b32 exec_lo, exec_lo, s0
	v_lshlrev_b32_e32 v24, 2, v24
	s_mov_b32 s1, exec_lo
	v_cmp_eq_u32_e32 vcc_lo, 0, v44
	s_waitcnt lgkmcnt(0)
	s_barrier
	v_add3_u32 v24, 0x320, v26, v24
	buffer_gl0_inv
	v_cmpx_gt_u32_e32 64, v77
	s_cbranch_execz .LBB25_118
; %bb.92:
	s_and_saveexec_b32 s0, vcc_lo
	s_cbranch_execnz .LBB25_150
; %bb.93:
	s_or_b32 exec_lo, exec_lo, s0
	s_and_saveexec_b32 s0, vcc_lo
	s_cbranch_execnz .LBB25_151
.LBB25_94:
	s_or_b32 exec_lo, exec_lo, s0
	s_and_saveexec_b32 s0, vcc_lo
	s_cbranch_execnz .LBB25_152
.LBB25_95:
	s_or_b32 exec_lo, exec_lo, s0
	s_and_saveexec_b32 s0, vcc_lo
	s_cbranch_execnz .LBB25_153
.LBB25_96:
	s_or_b32 exec_lo, exec_lo, s0
	s_and_saveexec_b32 s0, vcc_lo
	s_cbranch_execnz .LBB25_154
.LBB25_97:
	s_or_b32 exec_lo, exec_lo, s0
	s_and_saveexec_b32 s0, vcc_lo
	s_cbranch_execnz .LBB25_155
.LBB25_98:
	s_or_b32 exec_lo, exec_lo, s0
	s_and_saveexec_b32 s0, vcc_lo
	s_cbranch_execnz .LBB25_156
.LBB25_99:
	s_or_b32 exec_lo, exec_lo, s0
	s_and_saveexec_b32 s0, vcc_lo
	s_cbranch_execnz .LBB25_157
.LBB25_100:
	s_or_b32 exec_lo, exec_lo, s0
	s_and_saveexec_b32 s0, vcc_lo
	s_cbranch_execnz .LBB25_158
.LBB25_101:
	s_or_b32 exec_lo, exec_lo, s0
	s_and_saveexec_b32 s0, vcc_lo
	s_cbranch_execnz .LBB25_159
.LBB25_102:
	s_or_b32 exec_lo, exec_lo, s0
	s_and_saveexec_b32 s0, vcc_lo
	s_cbranch_execnz .LBB25_160
.LBB25_103:
	s_or_b32 exec_lo, exec_lo, s0
	s_and_saveexec_b32 s0, vcc_lo
	s_cbranch_execnz .LBB25_161
.LBB25_104:
	s_or_b32 exec_lo, exec_lo, s0
	s_and_saveexec_b32 s0, vcc_lo
	s_cbranch_execnz .LBB25_162
.LBB25_105:
	s_or_b32 exec_lo, exec_lo, s0
	s_and_saveexec_b32 s0, vcc_lo
	s_cbranch_execnz .LBB25_163
.LBB25_106:
	s_or_b32 exec_lo, exec_lo, s0
	s_and_saveexec_b32 s0, vcc_lo
	s_cbranch_execnz .LBB25_164
.LBB25_107:
	s_or_b32 exec_lo, exec_lo, s0
	s_and_saveexec_b32 s0, vcc_lo
	s_cbranch_execnz .LBB25_165
.LBB25_108:
	s_or_b32 exec_lo, exec_lo, s0
	s_and_saveexec_b32 s0, vcc_lo
	s_cbranch_execnz .LBB25_166
.LBB25_109:
	s_or_b32 exec_lo, exec_lo, s0
	s_and_saveexec_b32 s0, vcc_lo
	s_cbranch_execnz .LBB25_167
.LBB25_110:
	s_or_b32 exec_lo, exec_lo, s0
	s_and_saveexec_b32 s0, vcc_lo
	s_cbranch_execnz .LBB25_168
.LBB25_111:
	s_or_b32 exec_lo, exec_lo, s0
	s_and_saveexec_b32 s0, vcc_lo
	s_cbranch_execnz .LBB25_169
.LBB25_112:
	s_or_b32 exec_lo, exec_lo, s0
	s_and_saveexec_b32 s0, vcc_lo
	s_cbranch_execnz .LBB25_170
.LBB25_113:
	s_or_b32 exec_lo, exec_lo, s0
	s_and_saveexec_b32 s0, vcc_lo
	s_cbranch_execnz .LBB25_171
.LBB25_114:
	s_or_b32 exec_lo, exec_lo, s0
	s_and_saveexec_b32 s0, vcc_lo
	s_cbranch_execnz .LBB25_172
.LBB25_115:
	s_or_b32 exec_lo, exec_lo, s0
	s_and_saveexec_b32 s0, vcc_lo
	s_cbranch_execz .LBB25_117
.LBB25_116:
	ds_read_b32 v26, v24 offset:736
	s_waitcnt lgkmcnt(0)
	v_add_f32_e32 v23, v23, v26
.LBB25_117:
	s_or_b32 exec_lo, exec_lo, s0
.LBB25_118:
	s_or_b32 exec_lo, exec_lo, s1
	v_and_b32_e32 v26, 0x3e3, v77
	s_mov_b32 s1, exec_lo
	s_barrier
	buffer_gl0_inv
	v_cmpx_eq_u32_e32 32, v26
	s_cbranch_execz .LBB25_120
; %bb.119:
	ds_write2_b32 v25, v0, v1 offset1:8
	ds_write2_b32 v25, v2, v3 offset0:16 offset1:24
	ds_write2_b32 v25, v4, v5 offset0:32 offset1:40
	;; [unrolled: 1-line block ×11, first 2 shown]
.LBB25_120:
	s_or_b32 exec_lo, exec_lo, s1
	s_mov_b32 s1, exec_lo
	s_waitcnt lgkmcnt(0)
	s_barrier
	buffer_gl0_inv
	v_cmpx_gt_u32_e32 32, v77
	s_cbranch_execz .LBB25_147
; %bb.121:
	s_and_saveexec_b32 s0, vcc_lo
	s_cbranch_execnz .LBB25_173
; %bb.122:
	s_or_b32 exec_lo, exec_lo, s0
	s_and_saveexec_b32 s0, vcc_lo
	s_cbranch_execnz .LBB25_174
.LBB25_123:
	s_or_b32 exec_lo, exec_lo, s0
	s_and_saveexec_b32 s0, vcc_lo
	s_cbranch_execnz .LBB25_175
.LBB25_124:
	s_or_b32 exec_lo, exec_lo, s0
	s_and_saveexec_b32 s0, vcc_lo
	s_cbranch_execnz .LBB25_176
.LBB25_125:
	s_or_b32 exec_lo, exec_lo, s0
	s_and_saveexec_b32 s0, vcc_lo
	s_cbranch_execnz .LBB25_177
.LBB25_126:
	s_or_b32 exec_lo, exec_lo, s0
	s_and_saveexec_b32 s0, vcc_lo
	s_cbranch_execnz .LBB25_178
.LBB25_127:
	s_or_b32 exec_lo, exec_lo, s0
	s_and_saveexec_b32 s0, vcc_lo
	s_cbranch_execnz .LBB25_179
.LBB25_128:
	s_or_b32 exec_lo, exec_lo, s0
	s_and_saveexec_b32 s0, vcc_lo
	s_cbranch_execnz .LBB25_180
.LBB25_129:
	s_or_b32 exec_lo, exec_lo, s0
	s_and_saveexec_b32 s0, vcc_lo
	s_cbranch_execnz .LBB25_181
.LBB25_130:
	s_or_b32 exec_lo, exec_lo, s0
	s_and_saveexec_b32 s0, vcc_lo
	s_cbranch_execnz .LBB25_182
.LBB25_131:
	s_or_b32 exec_lo, exec_lo, s0
	s_and_saveexec_b32 s0, vcc_lo
	s_cbranch_execnz .LBB25_183
.LBB25_132:
	s_or_b32 exec_lo, exec_lo, s0
	s_and_saveexec_b32 s0, vcc_lo
	s_cbranch_execnz .LBB25_184
.LBB25_133:
	s_or_b32 exec_lo, exec_lo, s0
	s_and_saveexec_b32 s0, vcc_lo
	s_cbranch_execnz .LBB25_185
.LBB25_134:
	s_or_b32 exec_lo, exec_lo, s0
	s_and_saveexec_b32 s0, vcc_lo
	s_cbranch_execnz .LBB25_186
.LBB25_135:
	s_or_b32 exec_lo, exec_lo, s0
	s_and_saveexec_b32 s0, vcc_lo
	s_cbranch_execnz .LBB25_187
.LBB25_136:
	s_or_b32 exec_lo, exec_lo, s0
	s_and_saveexec_b32 s0, vcc_lo
	s_cbranch_execnz .LBB25_188
.LBB25_137:
	s_or_b32 exec_lo, exec_lo, s0
	s_and_saveexec_b32 s0, vcc_lo
	s_cbranch_execnz .LBB25_189
.LBB25_138:
	s_or_b32 exec_lo, exec_lo, s0
	s_and_saveexec_b32 s0, vcc_lo
	s_cbranch_execnz .LBB25_190
.LBB25_139:
	s_or_b32 exec_lo, exec_lo, s0
	s_and_saveexec_b32 s0, vcc_lo
	s_cbranch_execnz .LBB25_191
.LBB25_140:
	s_or_b32 exec_lo, exec_lo, s0
	s_and_saveexec_b32 s0, vcc_lo
	s_cbranch_execnz .LBB25_192
.LBB25_141:
	s_or_b32 exec_lo, exec_lo, s0
	s_and_saveexec_b32 s0, vcc_lo
	s_cbranch_execnz .LBB25_193
.LBB25_142:
	s_or_b32 exec_lo, exec_lo, s0
	s_and_saveexec_b32 s0, vcc_lo
	s_cbranch_execnz .LBB25_194
.LBB25_143:
	s_or_b32 exec_lo, exec_lo, s0
	s_and_saveexec_b32 s0, vcc_lo
	s_cbranch_execnz .LBB25_195
.LBB25_144:
	s_or_b32 exec_lo, exec_lo, s0
	s_and_saveexec_b32 s0, vcc_lo
	s_cbranch_execz .LBB25_146
.LBB25_145:
	ds_read_b32 v24, v24 offset:736
	s_waitcnt lgkmcnt(0)
	v_add_f32_e32 v23, v23, v24
.LBB25_146:
	s_or_b32 exec_lo, exec_lo, s0
.LBB25_147:
	s_or_b32 exec_lo, exec_lo, s1
	s_barrier
	buffer_gl0_inv
	s_mov_b32 s0, exec_lo
	v_cmpx_eq_u32_e32 0, v26
	s_cbranch_execz .LBB25_149
; %bb.148:
	s_mul_i32 s0, s10, s11
	s_mul_i32 s2, s11, s20
	;; [unrolled: 1-line block ×3, first 2 shown]
	s_mulk_i32 s0, 0xc0
	s_ashr_i32 s1, s0, 31
	s_lshl_b64 s[0:1], s[0:1], 2
	s_add_u32 s4, s6, s0
	s_addc_u32 s5, s7, s1
	s_ashr_i32 s3, s2, 31
	s_lshl_b64 s[0:1], s[2:3], 2
	s_mul_i32 s2, s8, 0xc0
	s_add_u32 s4, s4, s0
	s_addc_u32 s5, s5, s1
	s_ashr_i32 s3, s2, 31
	s_lshl_b64 s[0:1], s[2:3], 2
	s_add_u32 s0, s4, s0
	s_addc_u32 s1, s5, s1
	global_store_dword v77, v0, s[0:1]
	global_store_dword v77, v1, s[0:1] offset:32
	global_store_dword v77, v2, s[0:1] offset:64
	;; [unrolled: 1-line block ×23, first 2 shown]
.LBB25_149:
	s_endpgm
.LBB25_150:
	ds_read_b32 v26, v24
	s_waitcnt lgkmcnt(0)
	v_add_f32_e32 v0, v0, v26
	s_or_b32 exec_lo, exec_lo, s0
	s_and_saveexec_b32 s0, vcc_lo
	s_cbranch_execz .LBB25_94
.LBB25_151:
	ds_read_b32 v26, v24 offset:32
	s_waitcnt lgkmcnt(0)
	v_add_f32_e32 v1, v1, v26
	s_or_b32 exec_lo, exec_lo, s0
	s_and_saveexec_b32 s0, vcc_lo
	s_cbranch_execz .LBB25_95
.LBB25_152:
	ds_read_b32 v26, v24 offset:64
	s_waitcnt lgkmcnt(0)
	v_add_f32_e32 v2, v2, v26
	s_or_b32 exec_lo, exec_lo, s0
	s_and_saveexec_b32 s0, vcc_lo
	s_cbranch_execz .LBB25_96
.LBB25_153:
	ds_read_b32 v26, v24 offset:96
	s_waitcnt lgkmcnt(0)
	v_add_f32_e32 v3, v3, v26
	s_or_b32 exec_lo, exec_lo, s0
	s_and_saveexec_b32 s0, vcc_lo
	s_cbranch_execz .LBB25_97
.LBB25_154:
	ds_read_b32 v26, v24 offset:128
	s_waitcnt lgkmcnt(0)
	v_add_f32_e32 v4, v4, v26
	s_or_b32 exec_lo, exec_lo, s0
	s_and_saveexec_b32 s0, vcc_lo
	s_cbranch_execz .LBB25_98
.LBB25_155:
	ds_read_b32 v26, v24 offset:160
	s_waitcnt lgkmcnt(0)
	v_add_f32_e32 v5, v5, v26
	s_or_b32 exec_lo, exec_lo, s0
	s_and_saveexec_b32 s0, vcc_lo
	s_cbranch_execz .LBB25_99
.LBB25_156:
	ds_read_b32 v26, v24 offset:192
	s_waitcnt lgkmcnt(0)
	v_add_f32_e32 v6, v6, v26
	s_or_b32 exec_lo, exec_lo, s0
	s_and_saveexec_b32 s0, vcc_lo
	s_cbranch_execz .LBB25_100
.LBB25_157:
	ds_read_b32 v26, v24 offset:224
	s_waitcnt lgkmcnt(0)
	v_add_f32_e32 v7, v7, v26
	s_or_b32 exec_lo, exec_lo, s0
	s_and_saveexec_b32 s0, vcc_lo
	s_cbranch_execz .LBB25_101
.LBB25_158:
	ds_read_b32 v26, v24 offset:256
	s_waitcnt lgkmcnt(0)
	v_add_f32_e32 v8, v8, v26
	s_or_b32 exec_lo, exec_lo, s0
	s_and_saveexec_b32 s0, vcc_lo
	s_cbranch_execz .LBB25_102
.LBB25_159:
	ds_read_b32 v26, v24 offset:288
	s_waitcnt lgkmcnt(0)
	v_add_f32_e32 v9, v9, v26
	s_or_b32 exec_lo, exec_lo, s0
	s_and_saveexec_b32 s0, vcc_lo
	s_cbranch_execz .LBB25_103
.LBB25_160:
	ds_read_b32 v26, v24 offset:320
	s_waitcnt lgkmcnt(0)
	v_add_f32_e32 v10, v10, v26
	s_or_b32 exec_lo, exec_lo, s0
	s_and_saveexec_b32 s0, vcc_lo
	s_cbranch_execz .LBB25_104
.LBB25_161:
	ds_read_b32 v26, v24 offset:352
	s_waitcnt lgkmcnt(0)
	v_add_f32_e32 v11, v11, v26
	s_or_b32 exec_lo, exec_lo, s0
	s_and_saveexec_b32 s0, vcc_lo
	s_cbranch_execz .LBB25_105
.LBB25_162:
	ds_read_b32 v26, v24 offset:384
	s_waitcnt lgkmcnt(0)
	v_add_f32_e32 v12, v12, v26
	s_or_b32 exec_lo, exec_lo, s0
	s_and_saveexec_b32 s0, vcc_lo
	s_cbranch_execz .LBB25_106
.LBB25_163:
	ds_read_b32 v26, v24 offset:416
	s_waitcnt lgkmcnt(0)
	v_add_f32_e32 v13, v13, v26
	s_or_b32 exec_lo, exec_lo, s0
	s_and_saveexec_b32 s0, vcc_lo
	s_cbranch_execz .LBB25_107
.LBB25_164:
	ds_read_b32 v26, v24 offset:448
	s_waitcnt lgkmcnt(0)
	v_add_f32_e32 v14, v14, v26
	s_or_b32 exec_lo, exec_lo, s0
	s_and_saveexec_b32 s0, vcc_lo
	s_cbranch_execz .LBB25_108
.LBB25_165:
	ds_read_b32 v26, v24 offset:480
	s_waitcnt lgkmcnt(0)
	v_add_f32_e32 v15, v15, v26
	s_or_b32 exec_lo, exec_lo, s0
	s_and_saveexec_b32 s0, vcc_lo
	s_cbranch_execz .LBB25_109
.LBB25_166:
	ds_read_b32 v26, v24 offset:512
	s_waitcnt lgkmcnt(0)
	v_add_f32_e32 v16, v16, v26
	s_or_b32 exec_lo, exec_lo, s0
	s_and_saveexec_b32 s0, vcc_lo
	s_cbranch_execz .LBB25_110
.LBB25_167:
	ds_read_b32 v26, v24 offset:544
	s_waitcnt lgkmcnt(0)
	v_add_f32_e32 v17, v17, v26
	s_or_b32 exec_lo, exec_lo, s0
	s_and_saveexec_b32 s0, vcc_lo
	s_cbranch_execz .LBB25_111
.LBB25_168:
	ds_read_b32 v26, v24 offset:576
	s_waitcnt lgkmcnt(0)
	v_add_f32_e32 v18, v18, v26
	s_or_b32 exec_lo, exec_lo, s0
	s_and_saveexec_b32 s0, vcc_lo
	s_cbranch_execz .LBB25_112
.LBB25_169:
	ds_read_b32 v26, v24 offset:608
	s_waitcnt lgkmcnt(0)
	v_add_f32_e32 v19, v19, v26
	s_or_b32 exec_lo, exec_lo, s0
	s_and_saveexec_b32 s0, vcc_lo
	s_cbranch_execz .LBB25_113
.LBB25_170:
	ds_read_b32 v26, v24 offset:640
	s_waitcnt lgkmcnt(0)
	v_add_f32_e32 v20, v20, v26
	s_or_b32 exec_lo, exec_lo, s0
	s_and_saveexec_b32 s0, vcc_lo
	s_cbranch_execz .LBB25_114
.LBB25_171:
	ds_read_b32 v26, v24 offset:672
	s_waitcnt lgkmcnt(0)
	v_add_f32_e32 v21, v21, v26
	s_or_b32 exec_lo, exec_lo, s0
	s_and_saveexec_b32 s0, vcc_lo
	s_cbranch_execz .LBB25_115
.LBB25_172:
	ds_read_b32 v26, v24 offset:704
	s_waitcnt lgkmcnt(0)
	v_add_f32_e32 v22, v22, v26
	s_or_b32 exec_lo, exec_lo, s0
	s_and_saveexec_b32 s0, vcc_lo
	s_cbranch_execnz .LBB25_116
	s_branch .LBB25_117
.LBB25_173:
	ds_read_b32 v25, v24
	s_waitcnt lgkmcnt(0)
	v_add_f32_e32 v0, v0, v25
	s_or_b32 exec_lo, exec_lo, s0
	s_and_saveexec_b32 s0, vcc_lo
	s_cbranch_execz .LBB25_123
.LBB25_174:
	ds_read_b32 v25, v24 offset:32
	s_waitcnt lgkmcnt(0)
	v_add_f32_e32 v1, v1, v25
	s_or_b32 exec_lo, exec_lo, s0
	s_and_saveexec_b32 s0, vcc_lo
	s_cbranch_execz .LBB25_124
.LBB25_175:
	ds_read_b32 v25, v24 offset:64
	s_waitcnt lgkmcnt(0)
	v_add_f32_e32 v2, v2, v25
	s_or_b32 exec_lo, exec_lo, s0
	s_and_saveexec_b32 s0, vcc_lo
	s_cbranch_execz .LBB25_125
.LBB25_176:
	ds_read_b32 v25, v24 offset:96
	s_waitcnt lgkmcnt(0)
	v_add_f32_e32 v3, v3, v25
	s_or_b32 exec_lo, exec_lo, s0
	s_and_saveexec_b32 s0, vcc_lo
	s_cbranch_execz .LBB25_126
.LBB25_177:
	ds_read_b32 v25, v24 offset:128
	s_waitcnt lgkmcnt(0)
	v_add_f32_e32 v4, v4, v25
	s_or_b32 exec_lo, exec_lo, s0
	s_and_saveexec_b32 s0, vcc_lo
	s_cbranch_execz .LBB25_127
.LBB25_178:
	ds_read_b32 v25, v24 offset:160
	s_waitcnt lgkmcnt(0)
	v_add_f32_e32 v5, v5, v25
	s_or_b32 exec_lo, exec_lo, s0
	s_and_saveexec_b32 s0, vcc_lo
	s_cbranch_execz .LBB25_128
.LBB25_179:
	ds_read_b32 v25, v24 offset:192
	s_waitcnt lgkmcnt(0)
	v_add_f32_e32 v6, v6, v25
	s_or_b32 exec_lo, exec_lo, s0
	s_and_saveexec_b32 s0, vcc_lo
	s_cbranch_execz .LBB25_129
.LBB25_180:
	ds_read_b32 v25, v24 offset:224
	s_waitcnt lgkmcnt(0)
	v_add_f32_e32 v7, v7, v25
	s_or_b32 exec_lo, exec_lo, s0
	s_and_saveexec_b32 s0, vcc_lo
	s_cbranch_execz .LBB25_130
.LBB25_181:
	ds_read_b32 v25, v24 offset:256
	s_waitcnt lgkmcnt(0)
	v_add_f32_e32 v8, v8, v25
	s_or_b32 exec_lo, exec_lo, s0
	s_and_saveexec_b32 s0, vcc_lo
	s_cbranch_execz .LBB25_131
.LBB25_182:
	ds_read_b32 v25, v24 offset:288
	s_waitcnt lgkmcnt(0)
	v_add_f32_e32 v9, v9, v25
	s_or_b32 exec_lo, exec_lo, s0
	s_and_saveexec_b32 s0, vcc_lo
	s_cbranch_execz .LBB25_132
.LBB25_183:
	ds_read_b32 v25, v24 offset:320
	s_waitcnt lgkmcnt(0)
	v_add_f32_e32 v10, v10, v25
	s_or_b32 exec_lo, exec_lo, s0
	s_and_saveexec_b32 s0, vcc_lo
	s_cbranch_execz .LBB25_133
.LBB25_184:
	ds_read_b32 v25, v24 offset:352
	s_waitcnt lgkmcnt(0)
	v_add_f32_e32 v11, v11, v25
	s_or_b32 exec_lo, exec_lo, s0
	s_and_saveexec_b32 s0, vcc_lo
	s_cbranch_execz .LBB25_134
.LBB25_185:
	ds_read_b32 v25, v24 offset:384
	s_waitcnt lgkmcnt(0)
	v_add_f32_e32 v12, v12, v25
	s_or_b32 exec_lo, exec_lo, s0
	s_and_saveexec_b32 s0, vcc_lo
	s_cbranch_execz .LBB25_135
.LBB25_186:
	ds_read_b32 v25, v24 offset:416
	s_waitcnt lgkmcnt(0)
	v_add_f32_e32 v13, v13, v25
	s_or_b32 exec_lo, exec_lo, s0
	s_and_saveexec_b32 s0, vcc_lo
	s_cbranch_execz .LBB25_136
.LBB25_187:
	ds_read_b32 v25, v24 offset:448
	s_waitcnt lgkmcnt(0)
	v_add_f32_e32 v14, v14, v25
	s_or_b32 exec_lo, exec_lo, s0
	s_and_saveexec_b32 s0, vcc_lo
	s_cbranch_execz .LBB25_137
.LBB25_188:
	ds_read_b32 v25, v24 offset:480
	s_waitcnt lgkmcnt(0)
	v_add_f32_e32 v15, v15, v25
	s_or_b32 exec_lo, exec_lo, s0
	s_and_saveexec_b32 s0, vcc_lo
	s_cbranch_execz .LBB25_138
.LBB25_189:
	ds_read_b32 v25, v24 offset:512
	s_waitcnt lgkmcnt(0)
	v_add_f32_e32 v16, v16, v25
	s_or_b32 exec_lo, exec_lo, s0
	s_and_saveexec_b32 s0, vcc_lo
	s_cbranch_execz .LBB25_139
.LBB25_190:
	ds_read_b32 v25, v24 offset:544
	s_waitcnt lgkmcnt(0)
	v_add_f32_e32 v17, v17, v25
	s_or_b32 exec_lo, exec_lo, s0
	s_and_saveexec_b32 s0, vcc_lo
	s_cbranch_execz .LBB25_140
.LBB25_191:
	ds_read_b32 v25, v24 offset:576
	s_waitcnt lgkmcnt(0)
	v_add_f32_e32 v18, v18, v25
	s_or_b32 exec_lo, exec_lo, s0
	s_and_saveexec_b32 s0, vcc_lo
	s_cbranch_execz .LBB25_141
.LBB25_192:
	ds_read_b32 v25, v24 offset:608
	s_waitcnt lgkmcnt(0)
	v_add_f32_e32 v19, v19, v25
	s_or_b32 exec_lo, exec_lo, s0
	s_and_saveexec_b32 s0, vcc_lo
	s_cbranch_execz .LBB25_142
.LBB25_193:
	ds_read_b32 v25, v24 offset:640
	s_waitcnt lgkmcnt(0)
	v_add_f32_e32 v20, v20, v25
	s_or_b32 exec_lo, exec_lo, s0
	s_and_saveexec_b32 s0, vcc_lo
	s_cbranch_execz .LBB25_143
.LBB25_194:
	ds_read_b32 v25, v24 offset:672
	s_waitcnt lgkmcnt(0)
	v_add_f32_e32 v21, v21, v25
	s_or_b32 exec_lo, exec_lo, s0
	s_and_saveexec_b32 s0, vcc_lo
	s_cbranch_execz .LBB25_144
.LBB25_195:
	ds_read_b32 v25, v24 offset:704
	s_waitcnt lgkmcnt(0)
	v_add_f32_e32 v22, v22, v25
	s_or_b32 exec_lo, exec_lo, s0
	s_and_saveexec_b32 s0, vcc_lo
	s_cbranch_execnz .LBB25_145
	s_branch .LBB25_146
	.section	.rodata,"a",@progbits
	.p2align	6, 0x0
	.amdhsa_kernel _ZN4vllm25paged_attention_v1_kernelIffLi192ELi16ELi128ELNS_18Fp8KVCacheDataTypeE0ELb1EEEvPT_PKS2_PKT0_S8_ifPKiSA_iPKfiiiSC_SC_iiiii
		.amdhsa_group_segment_fixed_size 800
		.amdhsa_private_segment_fixed_size 64
		.amdhsa_kernarg_size 384
		.amdhsa_user_sgpr_count 6
		.amdhsa_user_sgpr_private_segment_buffer 1
		.amdhsa_user_sgpr_dispatch_ptr 0
		.amdhsa_user_sgpr_queue_ptr 0
		.amdhsa_user_sgpr_kernarg_segment_ptr 1
		.amdhsa_user_sgpr_dispatch_id 0
		.amdhsa_user_sgpr_flat_scratch_init 0
		.amdhsa_user_sgpr_private_segment_size 0
		.amdhsa_wavefront_size32 1
		.amdhsa_uses_dynamic_stack 0
		.amdhsa_system_sgpr_private_segment_wavefront_offset 1
		.amdhsa_system_sgpr_workgroup_id_x 1
		.amdhsa_system_sgpr_workgroup_id_y 1
		.amdhsa_system_sgpr_workgroup_id_z 1
		.amdhsa_system_sgpr_workgroup_info 0
		.amdhsa_system_vgpr_workitem_id 0
		.amdhsa_next_free_vgpr 128
		.amdhsa_next_free_sgpr 44
		.amdhsa_reserve_vcc 1
		.amdhsa_reserve_flat_scratch 0
		.amdhsa_float_round_mode_32 0
		.amdhsa_float_round_mode_16_64 0
		.amdhsa_float_denorm_mode_32 3
		.amdhsa_float_denorm_mode_16_64 3
		.amdhsa_dx10_clamp 1
		.amdhsa_ieee_mode 1
		.amdhsa_fp16_overflow 0
		.amdhsa_workgroup_processor_mode 1
		.amdhsa_memory_ordered 1
		.amdhsa_forward_progress 1
		.amdhsa_shared_vgpr_count 0
		.amdhsa_exception_fp_ieee_invalid_op 0
		.amdhsa_exception_fp_denorm_src 0
		.amdhsa_exception_fp_ieee_div_zero 0
		.amdhsa_exception_fp_ieee_overflow 0
		.amdhsa_exception_fp_ieee_underflow 0
		.amdhsa_exception_fp_ieee_inexact 0
		.amdhsa_exception_int_div_zero 0
	.end_amdhsa_kernel
	.section	.text._ZN4vllm25paged_attention_v1_kernelIffLi192ELi16ELi128ELNS_18Fp8KVCacheDataTypeE0ELb1EEEvPT_PKS2_PKT0_S8_ifPKiSA_iPKfiiiSC_SC_iiiii,"axG",@progbits,_ZN4vllm25paged_attention_v1_kernelIffLi192ELi16ELi128ELNS_18Fp8KVCacheDataTypeE0ELb1EEEvPT_PKS2_PKT0_S8_ifPKiSA_iPKfiiiSC_SC_iiiii,comdat
.Lfunc_end25:
	.size	_ZN4vllm25paged_attention_v1_kernelIffLi192ELi16ELi128ELNS_18Fp8KVCacheDataTypeE0ELb1EEEvPT_PKS2_PKT0_S8_ifPKiSA_iPKfiiiSC_SC_iiiii, .Lfunc_end25-_ZN4vllm25paged_attention_v1_kernelIffLi192ELi16ELi128ELNS_18Fp8KVCacheDataTypeE0ELb1EEEvPT_PKS2_PKT0_S8_ifPKiSA_iPKfiiiSC_SC_iiiii
                                        ; -- End function
	.set _ZN4vllm25paged_attention_v1_kernelIffLi192ELi16ELi128ELNS_18Fp8KVCacheDataTypeE0ELb1EEEvPT_PKS2_PKT0_S8_ifPKiSA_iPKfiiiSC_SC_iiiii.num_vgpr, 128
	.set _ZN4vllm25paged_attention_v1_kernelIffLi192ELi16ELi128ELNS_18Fp8KVCacheDataTypeE0ELb1EEEvPT_PKS2_PKT0_S8_ifPKiSA_iPKfiiiSC_SC_iiiii.num_agpr, 0
	.set _ZN4vllm25paged_attention_v1_kernelIffLi192ELi16ELi128ELNS_18Fp8KVCacheDataTypeE0ELb1EEEvPT_PKS2_PKT0_S8_ifPKiSA_iPKfiiiSC_SC_iiiii.numbered_sgpr, 44
	.set _ZN4vllm25paged_attention_v1_kernelIffLi192ELi16ELi128ELNS_18Fp8KVCacheDataTypeE0ELb1EEEvPT_PKS2_PKT0_S8_ifPKiSA_iPKfiiiSC_SC_iiiii.num_named_barrier, 0
	.set _ZN4vllm25paged_attention_v1_kernelIffLi192ELi16ELi128ELNS_18Fp8KVCacheDataTypeE0ELb1EEEvPT_PKS2_PKT0_S8_ifPKiSA_iPKfiiiSC_SC_iiiii.private_seg_size, 64
	.set _ZN4vllm25paged_attention_v1_kernelIffLi192ELi16ELi128ELNS_18Fp8KVCacheDataTypeE0ELb1EEEvPT_PKS2_PKT0_S8_ifPKiSA_iPKfiiiSC_SC_iiiii.uses_vcc, 1
	.set _ZN4vllm25paged_attention_v1_kernelIffLi192ELi16ELi128ELNS_18Fp8KVCacheDataTypeE0ELb1EEEvPT_PKS2_PKT0_S8_ifPKiSA_iPKfiiiSC_SC_iiiii.uses_flat_scratch, 0
	.set _ZN4vllm25paged_attention_v1_kernelIffLi192ELi16ELi128ELNS_18Fp8KVCacheDataTypeE0ELb1EEEvPT_PKS2_PKT0_S8_ifPKiSA_iPKfiiiSC_SC_iiiii.has_dyn_sized_stack, 0
	.set _ZN4vllm25paged_attention_v1_kernelIffLi192ELi16ELi128ELNS_18Fp8KVCacheDataTypeE0ELb1EEEvPT_PKS2_PKT0_S8_ifPKiSA_iPKfiiiSC_SC_iiiii.has_recursion, 0
	.set _ZN4vllm25paged_attention_v1_kernelIffLi192ELi16ELi128ELNS_18Fp8KVCacheDataTypeE0ELb1EEEvPT_PKS2_PKT0_S8_ifPKiSA_iPKfiiiSC_SC_iiiii.has_indirect_call, 0
	.section	.AMDGPU.csdata,"",@progbits
; Kernel info:
; codeLenInByte = 11264
; TotalNumSgprs: 46
; NumVgprs: 128
; ScratchSize: 64
; MemoryBound: 0
; FloatMode: 240
; IeeeMode: 1
; LDSByteSize: 800 bytes/workgroup (compile time only)
; SGPRBlocks: 0
; VGPRBlocks: 15
; NumSGPRsForWavesPerEU: 46
; NumVGPRsForWavesPerEU: 128
; Occupancy: 8
; WaveLimiterHint : 1
; COMPUTE_PGM_RSRC2:SCRATCH_EN: 1
; COMPUTE_PGM_RSRC2:USER_SGPR: 6
; COMPUTE_PGM_RSRC2:TRAP_HANDLER: 0
; COMPUTE_PGM_RSRC2:TGID_X_EN: 1
; COMPUTE_PGM_RSRC2:TGID_Y_EN: 1
; COMPUTE_PGM_RSRC2:TGID_Z_EN: 1
; COMPUTE_PGM_RSRC2:TIDIG_COMP_CNT: 0
	.section	.text._ZN4vllm25paged_attention_v1_kernelIffLi256ELi16ELi128ELNS_18Fp8KVCacheDataTypeE0ELb1EEEvPT_PKS2_PKT0_S8_ifPKiSA_iPKfiiiSC_SC_iiiii,"axG",@progbits,_ZN4vllm25paged_attention_v1_kernelIffLi256ELi16ELi128ELNS_18Fp8KVCacheDataTypeE0ELb1EEEvPT_PKS2_PKT0_S8_ifPKiSA_iPKfiiiSC_SC_iiiii,comdat
	.protected	_ZN4vllm25paged_attention_v1_kernelIffLi256ELi16ELi128ELNS_18Fp8KVCacheDataTypeE0ELb1EEEvPT_PKS2_PKT0_S8_ifPKiSA_iPKfiiiSC_SC_iiiii ; -- Begin function _ZN4vllm25paged_attention_v1_kernelIffLi256ELi16ELi128ELNS_18Fp8KVCacheDataTypeE0ELb1EEEvPT_PKS2_PKT0_S8_ifPKiSA_iPKfiiiSC_SC_iiiii
	.globl	_ZN4vllm25paged_attention_v1_kernelIffLi256ELi16ELi128ELNS_18Fp8KVCacheDataTypeE0ELb1EEEvPT_PKS2_PKT0_S8_ifPKiSA_iPKfiiiSC_SC_iiiii
	.p2align	8
	.type	_ZN4vllm25paged_attention_v1_kernelIffLi256ELi16ELi128ELNS_18Fp8KVCacheDataTypeE0ELb1EEEvPT_PKS2_PKT0_S8_ifPKiSA_iPKfiiiSC_SC_iiiii,@function
_ZN4vllm25paged_attention_v1_kernelIffLi256ELi16ELi128ELNS_18Fp8KVCacheDataTypeE0ELb1EEEvPT_PKS2_PKT0_S8_ifPKiSA_iPKfiiiSC_SC_iiiii: ; @_ZN4vllm25paged_attention_v1_kernelIffLi256ELi16ELi128ELNS_18Fp8KVCacheDataTypeE0ELb1EEEvPT_PKS2_PKT0_S8_ifPKiSA_iPKfiiiSC_SC_iiiii
; %bb.0:
	s_mov_b64 s[42:43], s[2:3]
	s_mov_b64 s[40:41], s[0:1]
	s_mov_b32 s10, s7
	s_add_u32 s40, s40, s9
	s_clause 0x2
	s_load_dword s9, s[4:5], 0x80
	s_load_dwordx2 s[0:1], s[4:5], 0x30
	s_load_dwordx2 s[28:29], s[4:5], 0x20
	s_addc_u32 s41, s41, 0
	s_ashr_i32 s11, s7, 31
	v_mov_b32_e32 v81, v0
	s_lshl_b64 s[2:3], s[10:11], 2
	s_mov_b32 s33, 0
	s_waitcnt lgkmcnt(0)
	s_add_u32 s0, s0, s2
	s_addc_u32 s1, s1, s3
	s_abs_i32 s2, s28
	s_abs_i32 s11, s9
	v_cvt_f32_u32_e32 v0, s2
	s_sub_i32 s7, 0, s2
	v_rcp_iflag_f32_e32 v0, v0
	v_mul_f32_e32 v0, 0x4f7ffffe, v0
	v_cvt_u32_f32_e32 v0, v0
	v_readfirstlane_b32 s3, v0
	s_mul_i32 s7, s7, s3
	s_mul_hi_u32 s7, s3, s7
	s_add_i32 s3, s3, s7
	s_xor_b32 s7, s9, s28
	s_mul_hi_u32 s3, s11, s3
	s_ashr_i32 s7, s7, 31
	s_mul_i32 s12, s3, s2
	s_sub_i32 s11, s11, s12
	s_add_i32 s12, s3, 1
	s_sub_i32 s13, s11, s2
	s_cmp_ge_u32 s11, s2
	s_cselect_b32 s3, s12, s3
	s_cselect_b32 s11, s13, s11
	s_add_i32 s12, s3, 1
	s_cmp_ge_u32 s11, s2
	s_cselect_b32 s2, s12, s3
	s_abs_i32 s22, s6
	s_xor_b32 s2, s2, s7
	s_sub_i32 s16, s2, s7
	s_load_dwordx2 s[2:3], s[4:5], 0x40
	s_abs_i32 s11, s16
	v_cvt_f32_u32_e32 v0, s11
	s_sub_i32 s12, 0, s11
	v_rcp_iflag_f32_e32 v0, v0
	v_mul_f32_e32 v0, 0x4f7ffffe, v0
	v_cvt_u32_f32_e32 v0, v0
	v_readfirstlane_b32 s7, v0
	s_mul_i32 s12, s12, s7
	s_mul_hi_u32 s12, s7, s12
	s_add_i32 s7, s7, s12
	s_waitcnt lgkmcnt(0)
	s_cmp_eq_u64 s[2:3], 0
	s_mul_hi_u32 s23, s22, s7
	s_cbranch_scc1 .LBB26_2
; %bb.1:
	s_ashr_i32 s7, s6, 31
	s_lshl_b64 s[12:13], s[6:7], 2
	s_add_u32 s2, s2, s12
	s_addc_u32 s3, s3, s13
	s_load_dword s33, s[2:3], 0x0
.LBB26_2:
	s_load_dword s30, s[0:1], 0x0
	s_load_dwordx4 s[12:15], s[4:5], 0x48
	v_and_b32_e32 v1, 1, v81
	v_lshlrev_b32_e32 v2, 3, v81
	v_lshlrev_b32_e32 v0, 2, v81
	s_ashr_i32 s0, s6, 31
	s_ashr_i32 s1, s16, 31
	s_lshl_b32 s20, s6, 8
	s_mov_b32 s2, exec_lo
	v_cmpx_gt_u32_e32 0x80, v81
	s_cbranch_execz .LBB26_4
; %bb.3:
	s_load_dwordx2 s[16:17], s[4:5], 0x8
	s_waitcnt lgkmcnt(0)
	s_mul_i32 s18, s12, s10
	v_and_b32_e32 v5, 0xff8, v0
	s_ashr_i32 s19, s18, 31
	s_lshl_b64 s[18:19], s[18:19], 2
	v_lshl_add_u32 v5, v1, 9, v5
	s_add_u32 s3, s16, s18
	s_addc_u32 s7, s17, s19
	s_ashr_i32 s21, s20, 31
	s_lshl_b64 s[16:17], s[20:21], 2
	s_add_u32 s16, s3, s16
	s_addc_u32 s17, s7, s17
	global_load_dwordx2 v[3:4], v2, s[16:17]
	s_waitcnt vmcnt(0)
	ds_write_b64 v5, v[3:4]
.LBB26_4:
	s_or_b32 exec_lo, exec_lo, s2
	s_load_dwordx4 s[16:19], s[4:5], 0x68
	s_mul_i32 s2, s23, s11
	s_xor_b32 s1, s0, s1
	s_sub_i32 s0, s22, s2
	s_add_i32 s2, s23, 1
	s_sub_i32 s3, s0, s11
	s_cmp_ge_u32 s0, s11
	s_waitcnt lgkmcnt(0)
	s_cselect_b32 s2, s2, s23
	s_cselect_b32 s0, s3, s0
	s_add_i32 s3, s2, 1
	s_cmp_ge_u32 s0, s11
	s_load_dword s0, s[4:5], 0x78
	s_cselect_b32 s2, s3, s2
	s_add_i32 s7, s30, -1
	s_xor_b32 s2, s2, s1
	s_abs_i32 s3, s7
	s_sub_i32 s1, s2, s1
	s_mov_b32 s11, -1
	s_barrier
	s_abs_i32 s12, s19
	s_waitcnt lgkmcnt(0)
	buffer_gl0_inv
	v_cvt_f32_u32_e32 v3, s12
	s_sub_i32 s2, 0, s12
                                        ; implicit-def: $sgpr31
	v_rcp_iflag_f32_e32 v3, v3
	v_mul_f32_e32 v3, 0x4f7ffffe, v3
	v_cvt_u32_f32_e32 v3, v3
	v_readfirstlane_b32 s21, v3
	s_mul_i32 s2, s2, s21
	s_mul_hi_u32 s2, s21, s2
	s_add_i32 s21, s21, s2
	s_cmp_lt_i32 s0, 0
	s_mul_hi_u32 s2, s3, s21
	s_cbranch_scc0 .LBB26_6
; %bb.5:
	s_mul_i32 s11, s16, s28
	s_add_i32 s11, s1, s11
	s_mul_i32 s11, s11, s0
	s_sub_i32 s31, 1, s11
	s_mov_b32 s11, 0
.LBB26_6:
	s_load_dwordx2 s[22:23], s[4:5], 0x28
	s_ashr_i32 s7, s7, 31
	s_andn2_b32 vcc_lo, exec_lo, s11
	s_ashr_i32 s19, s19, 31
	s_cbranch_vccnz .LBB26_8
; %bb.7:
	s_mul_i32 s11, s9, s16
	s_add_i32 s6, s11, s6
	s_mul_i32 s0, s6, s0
	s_add_i32 s31, s0, 1
.LBB26_8:
	s_load_dword s0, s[4:5], 0x38
	s_mul_i32 s6, s2, s12
	s_xor_b32 s15, s7, s19
	s_sub_i32 s3, s3, s6
	s_add_i32 s16, s2, 1
	s_clause 0x2
	s_load_dwordx2 s[6:7], s[4:5], 0x0
	s_load_dwordx2 s[26:27], s[4:5], 0x18
	s_load_dword s11, s[4:5], 0x88
	v_lshrrev_b32_e32 v127, 5, v81
	v_mov_b32_e32 v29, 0xff7fffff
	v_lshrrev_b32_e32 v27, 3, v81
	v_mbcnt_lo_u32_b32 v28, -1, 0
	s_mul_i32 s14, s1, s14
	v_lshlrev_b32_e32 v82, 4, v127
	s_waitcnt lgkmcnt(0)
	s_mul_i32 s24, s0, s10
	s_sub_i32 s0, s3, s12
	s_ashr_i32 s25, s24, 31
	s_cmp_ge_u32 s3, s12
	s_cselect_b32 s2, s16, s2
	s_cselect_b32 s0, s0, s3
	s_add_i32 s3, s2, 1
	s_cmp_ge_u32 s0, s12
	s_cselect_b32 s0, s3, s2
	s_add_i32 s2, s30, 15
	s_ashr_i32 s3, s2, 31
	s_lshr_b32 s3, s3, 28
	s_add_i32 s2, s2, s3
	s_ashr_i32 s16, s2, 4
	s_xor_b32 s2, s0, s15
	v_cmp_gt_i32_e64 s0, s16, v127
	s_sub_i32 s28, s2, s15
	s_and_saveexec_b32 s34, s0
	s_cbranch_execz .LBB26_20
; %bb.9:
	s_load_dwordx2 s[2:3], s[4:5], 0x10
	s_ashr_i32 s15, s14, 31
	s_sub_i32 s4, s28, s17
	s_lshl_b64 s[36:37], s[14:15], 2
	v_bfe_u32 v30, v81, 1, 4
	v_and_b32_e32 v4, 8, v2
	v_cmp_eq_u32_e32 vcc_lo, 0, v1
	v_lshlrev_b32_e32 v31, 9, v1
	v_and_b32_e32 v1, 0x7c, v27
	v_lshlrev_b32_e32 v2, 2, v30
	v_subrev_nc_u32_e32 v5, s30, v30
	v_lshlrev_b32_e32 v6, 4, v30
	v_cmp_neq_f32_e64 s1, s33, 0
	v_lshlrev_b32_e32 v32, 4, v127
	v_lshl_or_b32 v2, v127, 6, v2
	v_add_nc_u32_e32 v35, 1, v5
	v_mov_b32_e32 v33, 0xff7fffff
	v_xor_b32_e32 v34, 1, v28
	v_mov_b32_e32 v29, 0xff7fffff
	v_add_nc_u32_e32 v36, 0x420, v2
	s_waitcnt lgkmcnt(0)
	s_add_u32 s15, s2, s36
	s_addc_u32 s35, s3, s37
	s_abs_i32 s5, s18
	v_add_co_u32 v5, s15, s15, v6
	v_cvt_f32_u32_e32 v3, s5
	s_sub_i32 s2, 0, s5
	v_add_co_ci_u32_e64 v6, null, s35, 0, s15
	v_mov_b32_e32 v40, v127
	v_rcp_iflag_f32_e32 v3, v3
	s_mov_b32 s15, 0
	s_mov_b32 s35, s13
	v_mul_f32_e32 v3, 0x4f7ffffe, v3
	v_cvt_u32_f32_e32 v3, v3
	v_mul_lo_u32 v2, s2, v3
	s_lshl_b64 s[2:3], s[24:25], 2
	s_add_u32 s2, s22, s2
	s_addc_u32 s3, s23, s3
	v_add_co_u32 v1, s2, s2, v1
	v_mul_hi_u32 v7, v3, v2
	v_add_co_ci_u32_e64 v2, null, s3, 0, s2
	v_add_co_u32 v37, s2, v5, v4
	v_add_co_ci_u32_e64 v38, null, 0, v6, s2
	v_add_nc_u32_e32 v39, v3, v7
	s_branch .LBB26_12
.LBB26_10:                              ;   in Loop: Header=BB26_12 Depth=1
	s_or_b32 exec_lo, exec_lo, s36
.LBB26_11:                              ;   in Loop: Header=BB26_12 Depth=1
	s_or_b32 exec_lo, exec_lo, s3
	v_add_nc_u32_e32 v40, 4, v40
	v_add_co_u32 v1, s3, v1, 16
	v_add_co_ci_u32_e64 v2, null, 0, v2, s3
	v_cmp_le_i32_e64 s2, s16, v40
	v_add_nc_u32_e32 v32, 64, v32
	v_add_nc_u32_e32 v36, 0x100, v36
	s_or_b32 s15, s2, s15
	s_andn2_b32 exec_lo, exec_lo, s15
	s_cbranch_execz .LBB26_19
.LBB26_12:                              ; =>This Inner Loop Header: Depth=1
	v_mul_hi_u32 v3, v32, s21
	s_waitcnt lgkmcnt(0)
	v_mul_lo_u32 v4, v3, s12
	v_add_nc_u32_e32 v5, 1, v3
	v_sub_nc_u32_e32 v4, v32, v4
	v_subrev_nc_u32_e32 v6, s12, v4
	v_cmp_le_u32_e64 s2, s12, v4
	v_cndmask_b32_e64 v3, v3, v5, s2
	v_cndmask_b32_e64 v4, v4, v6, s2
	v_add_nc_u32_e32 v5, 1, v3
	v_cmp_le_u32_e64 s2, s12, v4
	v_cndmask_b32_e64 v3, v3, v5, s2
	v_xor_b32_e32 v3, s19, v3
	v_subrev_nc_u32_e32 v3, s19, v3
	v_add_nc_u32_e32 v4, s31, v3
	v_cmp_ge_i32_e64 s3, s4, v3
	v_sub_nc_u32_e32 v5, 0, v4
	v_max_i32_e32 v5, v4, v5
	v_ashrrev_i32_e32 v4, 31, v4
	v_mul_hi_u32 v6, v5, v39
	v_mul_lo_u32 v6, v6, s5
	v_sub_nc_u32_e32 v5, v5, v6
	v_subrev_nc_u32_e32 v6, s5, v5
	v_cmp_le_u32_e64 s2, s5, v5
	v_cndmask_b32_e64 v5, v5, v6, s2
	v_subrev_nc_u32_e32 v6, s5, v5
	v_cmp_le_u32_e64 s2, s5, v5
	v_cndmask_b32_e64 v5, v5, v6, s2
	v_xor_b32_e32 v5, v5, v4
	v_sub_nc_u32_e32 v4, v5, v4
	v_cmp_ne_u32_e64 s2, 0, v4
	s_and_b32 s2, s2, s3
	s_and_saveexec_b32 s3, s2
	s_xor_b32 s2, exec_lo, s3
	s_cbranch_execz .LBB26_16
; %bb.13:                               ;   in Loop: Header=BB26_12 Depth=1
	s_and_saveexec_b32 s3, vcc_lo
; %bb.14:                               ;   in Loop: Header=BB26_12 Depth=1
	ds_write_b32 v36, v33
; %bb.15:                               ;   in Loop: Header=BB26_12 Depth=1
	s_or_b32 exec_lo, exec_lo, s3
.LBB26_16:                              ;   in Loop: Header=BB26_12 Depth=1
	s_andn2_saveexec_b32 s3, s2
	s_cbranch_execz .LBB26_11
; %bb.17:                               ;   in Loop: Header=BB26_12 Depth=1
	global_load_dword v3, v[1:2], off
	s_waitcnt vmcnt(0)
	v_mad_i64_i32 v[3:4], null, v3, s35, 0
	v_lshlrev_b64 v[3:4], 2, v[3:4]
	v_add_co_u32 v5, s2, v37, v3
	v_add_co_ci_u32_e64 v6, null, v38, v4, s2
	s_clause 0x6
	global_load_dwordx2 v[3:4], v[5:6], off offset:256
	global_load_dwordx2 v[19:20], v[5:6], off
	global_load_dwordx2 v[21:22], v[5:6], off offset:512
	global_load_dwordx2 v[23:24], v[5:6], off offset:768
	;; [unrolled: 1-line block ×5, first 2 shown]
	v_add_co_u32 v15, s2, v5, 0x1000
	v_add_co_ci_u32_e64 v16, null, 0, v6, s2
	s_clause 0x1
	global_load_dwordx2 v[47:48], v[5:6], off offset:1792
	global_load_dwordx2 v[49:50], v[15:16], off offset:-2048
	v_add_co_u32 v11, s2, 0x800, v5
	v_add_co_ci_u32_e64 v12, null, 0, v6, s2
	s_clause 0x4
	global_load_dwordx2 v[51:52], v[11:12], off offset:256
	global_load_dwordx2 v[53:54], v[11:12], off offset:512
	;; [unrolled: 1-line block ×5, first 2 shown]
	ds_read_b128 v[7:10], v31
	s_clause 0x2
	global_load_dwordx2 v[61:62], v[11:12], off offset:1536
	global_load_dwordx2 v[63:64], v[11:12], off offset:1792
	global_load_dwordx2 v[65:66], v[15:16], off
	v_add_co_u32 v67, s2, 0x1000, v5
	ds_read_b128 v[11:14], v31 offset:16
	v_add_co_ci_u32_e64 v68, null, 0, v6, s2
	s_clause 0x1
	global_load_dwordx2 v[69:70], v[67:68], off offset:256
	global_load_dwordx2 v[71:72], v[67:68], off offset:1536
	s_waitcnt vmcnt(18) lgkmcnt(1)
	v_mul_f32_e32 v41, v9, v3
	v_mul_f32_e32 v42, v10, v4
	s_waitcnt vmcnt(17)
	v_fmac_f32_e32 v41, v7, v19
	v_fmac_f32_e32 v42, v8, v20
	global_load_dwordx2 v[19:20], v[67:68], off offset:512
	ds_read_b128 v[15:18], v31 offset:32
	ds_read_b128 v[7:10], v31 offset:48
	s_waitcnt vmcnt(17) lgkmcnt(2)
	v_fmac_f32_e32 v41, v11, v21
	v_fmac_f32_e32 v42, v12, v22
	global_load_dwordx2 v[21:22], v[67:68], off offset:768
	s_waitcnt vmcnt(17)
	v_fmac_f32_e32 v41, v13, v23
	v_fmac_f32_e32 v42, v14, v24
	global_load_dwordx2 v[23:24], v[67:68], off offset:1024
	ds_read_b128 v[11:14], v31 offset:64
	s_waitcnt vmcnt(17) lgkmcnt(2)
	v_fmac_f32_e32 v41, v15, v25
	v_fmac_f32_e32 v42, v16, v26
	global_load_dwordx2 v[25:26], v[67:68], off offset:1280
	s_waitcnt vmcnt(17)
	v_fmac_f32_e32 v41, v17, v43
	v_fmac_f32_e32 v42, v18, v44
	ds_read_b128 v[15:18], v31 offset:80
	v_add_co_u32 v43, s2, v5, 0x2000
	s_waitcnt vmcnt(16) lgkmcnt(2)
	v_fmac_f32_e32 v41, v7, v45
	v_fmac_f32_e32 v42, v8, v46
	v_add_co_ci_u32_e64 v44, null, 0, v6, s2
	v_add_co_u32 v7, s2, 0x3800, v5
	global_load_dwordx2 v[45:46], v[67:68], off offset:1792
	s_waitcnt vmcnt(16)
	v_fmac_f32_e32 v41, v9, v47
	v_add_co_ci_u32_e64 v8, null, 0, v6, s2
	v_fmac_f32_e32 v42, v10, v48
	s_clause 0x1
	global_load_dwordx2 v[47:48], v[43:44], off offset:-2048
	global_load_dwordx2 v[3:4], v[7:8], off offset:1792
	s_waitcnt vmcnt(17) lgkmcnt(1)
	v_fmac_f32_e32 v41, v11, v49
	v_add_co_u32 v49, s2, 0x1800, v5
	v_fmac_f32_e32 v42, v12, v50
	v_add_co_ci_u32_e64 v50, null, 0, v6, s2
	ds_read_b128 v[9:12], v31 offset:96
	s_waitcnt vmcnt(16)
	v_fmac_f32_e32 v41, v13, v51
	v_fmac_f32_e32 v42, v14, v52
	global_load_dwordx2 v[51:52], v[49:50], off offset:256
	s_waitcnt vmcnt(16) lgkmcnt(1)
	v_fmac_f32_e32 v41, v15, v53
	v_fmac_f32_e32 v42, v16, v54
	global_load_dwordx2 v[53:54], v[49:50], off offset:512
	ds_read_b128 v[13:16], v31 offset:112
	s_waitcnt vmcnt(16)
	v_fmac_f32_e32 v41, v17, v55
	v_fmac_f32_e32 v42, v18, v56
	global_load_dwordx2 v[55:56], v[49:50], off offset:768
	s_waitcnt vmcnt(16) lgkmcnt(1)
	v_fmac_f32_e32 v41, v9, v57
	v_fmac_f32_e32 v42, v10, v58
	s_waitcnt vmcnt(15)
	v_fmac_f32_e32 v41, v11, v59
	v_fmac_f32_e32 v42, v12, v60
	ds_read_b128 v[9:12], v31 offset:128
	s_clause 0x1
	global_load_dwordx2 v[57:58], v[49:50], off offset:1024
	global_load_dwordx2 v[59:60], v[49:50], off offset:1280
	s_waitcnt vmcnt(16) lgkmcnt(1)
	v_fmac_f32_e32 v41, v13, v61
	v_fmac_f32_e32 v42, v14, v62
	global_load_dwordx2 v[61:62], v[49:50], off offset:1536
	s_waitcnt vmcnt(16)
	v_fmac_f32_e32 v41, v15, v63
	v_add_co_u32 v63, s2, 0x2000, v5
	v_fmac_f32_e32 v42, v16, v64
	v_add_co_ci_u32_e64 v64, null, 0, v6, s2
	ds_read_b128 v[13:16], v31 offset:144
	global_load_dwordx2 v[67:68], v[63:64], off offset:256
	s_waitcnt vmcnt(16) lgkmcnt(1)
	v_fmac_f32_e32 v41, v9, v65
	v_fmac_f32_e32 v42, v10, v66
	s_clause 0x1
	global_load_dwordx2 v[65:66], v[43:44], off
	global_load_dwordx2 v[49:50], v[49:50], off offset:1792
	s_waitcnt vmcnt(17)
	v_fmac_f32_e32 v41, v11, v69
	v_fmac_f32_e32 v42, v12, v70
	ds_read_b128 v[9:12], v31 offset:160
	s_waitcnt vmcnt(15) lgkmcnt(1)
	v_fmac_f32_e32 v41, v13, v19
	v_fmac_f32_e32 v42, v14, v20
	ds_read_b128 v[17:20], v31 offset:176
	s_clause 0x3
	global_load_dwordx2 v[69:70], v[63:64], off offset:512
	global_load_dwordx2 v[73:74], v[63:64], off offset:768
	;; [unrolled: 1-line block ×4, first 2 shown]
	s_waitcnt vmcnt(18)
	v_fmac_f32_e32 v41, v15, v21
	v_fmac_f32_e32 v42, v16, v22
	s_waitcnt vmcnt(17) lgkmcnt(1)
	v_fmac_f32_e32 v41, v9, v23
	v_fmac_f32_e32 v42, v10, v24
	v_add_co_u32 v9, s2, v5, 0x3000
	v_add_co_ci_u32_e64 v10, null, 0, v6, s2
	s_waitcnt vmcnt(16)
	v_fmac_f32_e32 v41, v11, v25
	v_fmac_f32_e32 v42, v12, v26
	ds_read_b128 v[11:14], v31 offset:192
	s_waitcnt lgkmcnt(1)
	v_fmac_f32_e32 v41, v17, v71
	v_fmac_f32_e32 v42, v18, v72
	global_load_dwordx2 v[71:72], v[63:64], off offset:1536
	ds_read_b128 v[15:18], v31 offset:208
	s_clause 0x2
	global_load_dwordx2 v[63:64], v[63:64], off offset:1792
	global_load_dwordx2 v[79:80], v[9:10], off offset:-2048
	global_load_dwordx2 v[9:10], v[9:10], off
	ds_read_b128 v[21:24], v31 offset:256
	s_waitcnt vmcnt(19)
	v_fmac_f32_e32 v41, v19, v45
	v_fmac_f32_e32 v42, v20, v46
	ds_read_b128 v[43:46], v31 offset:272
	s_waitcnt vmcnt(18) lgkmcnt(3)
	v_fmac_f32_e32 v41, v11, v47
	v_add_co_u32 v47, s2, 0x2800, v5
	v_fmac_f32_e32 v42, v12, v48
	v_add_co_ci_u32_e64 v48, null, 0, v6, s2
	s_waitcnt vmcnt(16)
	v_fmac_f32_e32 v41, v51, v13
	v_fmac_f32_e32 v42, v52, v14
	s_clause 0x1
	global_load_dwordx2 v[51:52], v[47:48], off offset:256
	global_load_dwordx2 v[25:26], v[47:48], off offset:768
	ds_read_b128 v[11:14], v31 offset:224
	s_waitcnt vmcnt(17) lgkmcnt(3)
	v_fmac_f32_e32 v41, v53, v15
	v_fmac_f32_e32 v42, v54, v16
	s_clause 0x1
	global_load_dwordx2 v[53:54], v[47:48], off offset:512
	global_load_dwordx2 v[15:16], v[47:48], off offset:1024
	s_waitcnt vmcnt(18)
	v_fmac_f32_e32 v41, v55, v17
	v_fmac_f32_e32 v42, v56, v18
	ds_read_b128 v[17:20], v31 offset:240
	v_add_co_u32 v55, s2, 0x3000, v5
	v_add_co_ci_u32_e64 v56, null, 0, v6, s2
	v_cmp_gt_i32_e64 s2, 32, v34
	global_load_dwordx2 v[5:6], v[55:56], off offset:256
	s_waitcnt vmcnt(18) lgkmcnt(1)
	v_fmac_f32_e32 v41, v57, v11
	v_fmac_f32_e32 v42, v58, v12
	global_load_dwordx2 v[11:12], v[47:48], off offset:1536
	s_waitcnt vmcnt(18)
	v_fmac_f32_e32 v41, v59, v13
	v_fmac_f32_e32 v42, v60, v14
	global_load_dwordx2 v[13:14], v[47:48], off offset:1280
	s_waitcnt vmcnt(18) lgkmcnt(0)
	v_fmac_f32_e32 v41, v61, v17
	v_fmac_f32_e32 v42, v62, v18
	global_load_dwordx2 v[17:18], v[47:48], off offset:1792
	s_waitcnt vmcnt(16)
	v_fmac_f32_e32 v41, v49, v19
	v_fmac_f32_e32 v42, v50, v20
	ds_read_b128 v[47:50], v31 offset:288
	v_fmac_f32_e32 v41, v65, v21
	v_fmac_f32_e32 v42, v66, v22
	;; [unrolled: 1-line block ×4, first 2 shown]
	s_clause 0x4
	global_load_dwordx2 v[21:22], v[55:56], off offset:512
	global_load_dwordx2 v[23:24], v[55:56], off offset:768
	;; [unrolled: 1-line block ×5, first 2 shown]
	s_waitcnt vmcnt(20)
	v_fmac_f32_e32 v41, v69, v43
	v_fmac_f32_e32 v42, v70, v44
	s_waitcnt vmcnt(19)
	v_fmac_f32_e32 v41, v73, v45
	v_fmac_f32_e32 v42, v74, v46
	ds_read_b128 v[43:46], v31 offset:304
	s_waitcnt vmcnt(18) lgkmcnt(1)
	v_fmac_f32_e32 v41, v75, v47
	v_fmac_f32_e32 v42, v76, v48
	s_waitcnt vmcnt(17)
	v_fmac_f32_e32 v41, v77, v49
	v_fmac_f32_e32 v42, v78, v50
	ds_read_b128 v[47:50], v31 offset:320
	s_clause 0x3
	global_load_dwordx2 v[55:56], v[55:56], off offset:1792
	global_load_dwordx2 v[61:62], v[7:8], off
	global_load_dwordx2 v[65:66], v[7:8], off offset:256
	global_load_dwordx2 v[67:68], v[7:8], off offset:768
	s_waitcnt vmcnt(20) lgkmcnt(1)
	v_fmac_f32_e32 v41, v71, v43
	v_fmac_f32_e32 v42, v72, v44
	s_waitcnt vmcnt(19)
	v_fmac_f32_e32 v41, v63, v45
	v_fmac_f32_e32 v42, v64, v46
	global_load_dwordx2 v[63:64], v[7:8], off offset:512
	ds_read_b128 v[43:46], v31 offset:336
	s_clause 0x2
	global_load_dwordx2 v[69:70], v[7:8], off offset:1024
	global_load_dwordx2 v[71:72], v[7:8], off offset:1280
	;; [unrolled: 1-line block ×3, first 2 shown]
	s_waitcnt vmcnt(22) lgkmcnt(1)
	v_fmac_f32_e32 v41, v79, v47
	v_fmac_f32_e32 v42, v80, v48
	s_waitcnt vmcnt(20)
	v_fmac_f32_e32 v41, v51, v49
	v_fmac_f32_e32 v42, v52, v50
	ds_read_b128 v[47:50], v31 offset:352
	s_waitcnt vmcnt(18) lgkmcnt(1)
	v_fmac_f32_e32 v41, v53, v43
	v_fmac_f32_e32 v42, v54, v44
	ds_read_b128 v[51:54], v31 offset:384
	v_fmac_f32_e32 v41, v25, v45
	v_fmac_f32_e32 v42, v26, v46
	ds_read_b128 v[43:46], v31 offset:368
	s_waitcnt vmcnt(17) lgkmcnt(2)
	v_fmac_f32_e32 v41, v15, v47
	v_fmac_f32_e32 v42, v16, v48
	s_waitcnt vmcnt(14)
	v_fmac_f32_e32 v41, v13, v49
	v_fmac_f32_e32 v42, v14, v50
	ds_read_b128 v[13:16], v31 offset:400
	s_waitcnt lgkmcnt(1)
	v_fmac_f32_e32 v41, v11, v43
	v_fmac_f32_e32 v42, v12, v44
	s_waitcnt vmcnt(13)
	v_fmac_f32_e32 v41, v17, v45
	v_fmac_f32_e32 v42, v18, v46
	ds_read_b128 v[43:46], v31 offset:416
	v_fmac_f32_e32 v41, v9, v51
	v_fmac_f32_e32 v42, v10, v52
	ds_read_b128 v[9:12], v31 offset:448
	v_fmac_f32_e32 v41, v5, v53
	v_fmac_f32_e32 v42, v6, v54
	ds_read_b128 v[5:8], v31 offset:432
	s_waitcnt vmcnt(12) lgkmcnt(3)
	v_fmac_f32_e32 v41, v21, v13
	v_fmac_f32_e32 v42, v22, v14
	s_waitcnt vmcnt(11)
	v_fmac_f32_e32 v41, v23, v15
	v_fmac_f32_e32 v42, v24, v16
	ds_read_b128 v[13:16], v31 offset:464
	s_waitcnt vmcnt(10) lgkmcnt(3)
	v_fmac_f32_e32 v41, v19, v43
	v_fmac_f32_e32 v42, v20, v44
	s_waitcnt vmcnt(9)
	v_fmac_f32_e32 v41, v57, v45
	v_fmac_f32_e32 v42, v58, v46
	s_waitcnt vmcnt(8) lgkmcnt(1)
	v_fmac_f32_e32 v41, v59, v5
	v_fmac_f32_e32 v42, v60, v6
	s_waitcnt vmcnt(7)
	v_fmac_f32_e32 v41, v55, v7
	v_fmac_f32_e32 v42, v56, v8
	ds_read_b128 v[5:8], v31 offset:480
	s_waitcnt vmcnt(6)
	v_fmac_f32_e32 v41, v61, v9
	v_fmac_f32_e32 v42, v62, v10
	s_waitcnt vmcnt(5)
	v_fmac_f32_e32 v41, v65, v11
	v_fmac_f32_e32 v42, v66, v12
	ds_read_b128 v[9:12], v31 offset:496
	s_waitcnt vmcnt(3) lgkmcnt(2)
	v_fmac_f32_e32 v41, v63, v13
	v_fmac_f32_e32 v42, v64, v14
	;; [unrolled: 1-line block ×4, first 2 shown]
	s_waitcnt vmcnt(2) lgkmcnt(1)
	v_fmac_f32_e32 v41, v69, v5
	v_fmac_f32_e32 v42, v70, v6
	v_cndmask_b32_e64 v5, v28, v34, s2
	s_waitcnt vmcnt(1)
	v_fmac_f32_e32 v41, v71, v7
	v_fmac_f32_e32 v42, v72, v8
	s_waitcnt vmcnt(0) lgkmcnt(0)
	v_fmac_f32_e32 v41, v73, v9
	v_fmac_f32_e32 v42, v74, v10
	;; [unrolled: 1-line block ×4, first 2 shown]
	v_lshlrev_b32_e32 v4, 2, v5
	v_add_f32_e32 v3, v41, v42
	ds_bpermute_b32 v4, v4, v3
	s_and_saveexec_b32 s36, vcc_lo
	s_cbranch_execz .LBB26_10
; %bb.18:                               ;   in Loop: Header=BB26_12 Depth=1
	v_add_nc_u32_e32 v5, v35, v32
	s_waitcnt lgkmcnt(0)
	v_add_f32_e32 v3, v3, v4
	v_cvt_f32_i32_e32 v5, v5
	v_mul_f32_e32 v5, s33, v5
	v_cndmask_b32_e64 v4, 0, v5, s1
	v_max_f32_e32 v5, v29, v29
	v_fmac_f32_e32 v4, s29, v3
	v_add_nc_u32_e32 v3, v30, v32
	v_max_f32_e32 v5, v5, v4
	v_cmp_gt_i32_e64 s2, s30, v3
	v_cndmask_b32_e64 v3, 0, v4, s2
	v_cndmask_b32_e64 v29, v29, v5, s2
	ds_write_b32 v36, v3
	s_branch .LBB26_10
.LBB26_19:
	s_or_b32 exec_lo, exec_lo, s15
.LBB26_20:
	s_or_b32 exec_lo, exec_lo, s34
	v_xor_b32_e32 v1, 16, v28
	v_xor_b32_e32 v3, 8, v28
	s_waitcnt lgkmcnt(0)
	v_max_f32_e32 v4, v29, v29
	v_xor_b32_e32 v5, 4, v28
	v_and_b32_e32 v55, 31, v81
	v_cmp_gt_i32_e32 vcc_lo, 32, v1
	v_cndmask_b32_e32 v1, v28, v1, vcc_lo
	v_cmp_gt_i32_e32 vcc_lo, 32, v3
	v_lshlrev_b32_e32 v1, 2, v1
	v_cndmask_b32_e32 v3, v28, v3, vcc_lo
	v_cmp_gt_i32_e32 vcc_lo, 32, v5
	ds_bpermute_b32 v2, v1, v29
	v_lshlrev_b32_e32 v3, 2, v3
	v_cndmask_b32_e32 v5, v28, v5, vcc_lo
	s_waitcnt lgkmcnt(0)
	v_max_f32_e32 v2, v2, v2
	v_max_f32_e32 v2, v4, v2
	ds_bpermute_b32 v4, v3, v2
	s_waitcnt lgkmcnt(0)
	v_max_f32_e32 v6, v4, v4
	v_lshlrev_b32_e32 v4, 2, v5
	v_max_f32_e32 v2, v2, v6
	v_xor_b32_e32 v6, 2, v28
	ds_bpermute_b32 v5, v4, v2
	v_cmp_gt_i32_e32 vcc_lo, 32, v6
	v_cndmask_b32_e32 v6, v28, v6, vcc_lo
	v_cmp_eq_u32_e32 vcc_lo, 0, v55
	v_lshlrev_b32_e32 v38, 2, v6
	s_waitcnt lgkmcnt(0)
	v_max_f32_e32 v5, v5, v5
	v_max_f32_e32 v2, v2, v5
	v_lshlrev_b32_e32 v5, 2, v127
	ds_bpermute_b32 v6, v38, v2
	s_and_saveexec_b32 s1, vcc_lo
	s_cbranch_execz .LBB26_22
; %bb.21:
	s_waitcnt lgkmcnt(0)
	v_max_f32_e32 v6, v6, v6
	v_max_f32_e32 v2, v2, v2
	;; [unrolled: 1-line block ×3, first 2 shown]
	ds_write_b32 v5, v2 offset:1024
.LBB26_22:
	s_or_b32 exec_lo, exec_lo, s1
	v_cmp_gt_u32_e64 s1, 4, v55
	v_mov_b32_e32 v2, 0xff7fffff
	s_waitcnt lgkmcnt(0)
	v_lshlrev_b32_e32 v6, 2, v55
	s_barrier
	buffer_gl0_inv
	s_and_saveexec_b32 s2, s1
; %bb.23:
	ds_read_b32 v2, v6 offset:1024
; %bb.24:
	s_or_b32 exec_lo, exec_lo, s2
	s_waitcnt lgkmcnt(0)
	ds_bpermute_b32 v7, v38, v2
	v_xor_b32_e32 v8, 1, v28
	v_max_f32_e32 v2, v2, v2
	v_cmp_gt_i32_e64 s2, 32, v8
	v_cndmask_b32_e64 v8, v28, v8, s2
	s_lshl_b32 s2, s16, 4
	s_min_i32 s4, s2, s30
	v_lshlrev_b32_e32 v54, 2, v8
	v_cmp_gt_i32_e64 s2, s4, v81
	s_waitcnt lgkmcnt(0)
	v_max_f32_e32 v7, v7, v7
	v_max_f32_e32 v2, v2, v7
	ds_bpermute_b32 v7, v54, v2
	s_waitcnt lgkmcnt(0)
	v_max_f32_e32 v7, v7, v7
	v_max_f32_e32 v2, v2, v7
	v_mov_b32_e32 v7, 0
	ds_bpermute_b32 v8, v7, v2
	v_lshl_add_u32 v2, v81, 2, 0x420
	s_and_saveexec_b32 s5, s2
	s_cbranch_execz .LBB26_28
; %bb.25:
	v_lshl_add_u32 v9, v81, 2, 0x420
	v_mov_b32_e32 v7, 0
	v_mov_b32_e32 v10, v81
	s_mov_b32 s15, 0
	.p2align	6
.LBB26_26:                              ; =>This Inner Loop Header: Depth=1
	ds_read_b32 v11, v9
	v_add_nc_u32_e32 v10, 0x80, v10
	v_cmp_le_i32_e64 s3, s4, v10
	s_or_b32 s15, s3, s15
	s_waitcnt lgkmcnt(0)
	v_sub_f32_e32 v11, v11, v8
	v_mul_f32_e32 v11, 0x3fb8aa3b, v11
	v_exp_f32_e32 v11, v11
	ds_write_b32 v9, v11
	v_add_f32_e32 v7, v7, v11
	v_add_nc_u32_e32 v9, 0x200, v9
	s_andn2_b32 exec_lo, exec_lo, s15
	s_cbranch_execnz .LBB26_26
; %bb.27:
	s_or_b32 exec_lo, exec_lo, s15
.LBB26_28:
	s_or_b32 exec_lo, exec_lo, s5
	ds_bpermute_b32 v1, v1, v7
	s_waitcnt lgkmcnt(0)
	v_add_f32_e32 v1, v7, v1
	ds_bpermute_b32 v3, v3, v1
	s_waitcnt lgkmcnt(0)
	v_add_f32_e32 v1, v1, v3
	;; [unrolled: 3-line block ×5, first 2 shown]
	s_and_saveexec_b32 s3, vcc_lo
; %bb.29:
	ds_write_b32 v5, v1 offset:1040
; %bb.30:
	s_or_b32 exec_lo, exec_lo, s3
	s_waitcnt lgkmcnt(0)
	s_barrier
	buffer_gl0_inv
	s_and_saveexec_b32 s3, s1
; %bb.31:
	ds_read_b32 v1, v6 offset:1040
; %bb.32:
	s_or_b32 exec_lo, exec_lo, s3
	s_waitcnt lgkmcnt(0)
	ds_bpermute_b32 v3, v38, v1
	s_waitcnt lgkmcnt(0)
	v_add_f32_e32 v1, v1, v3
	ds_bpermute_b32 v3, v54, v1
	s_waitcnt lgkmcnt(0)
	v_add_f32_e32 v1, v1, v3
	v_mov_b32_e32 v3, 0
	ds_bpermute_b32 v1, v3, v1
	s_and_saveexec_b32 s1, s2
	s_cbranch_execz .LBB26_35
; %bb.33:
	s_waitcnt lgkmcnt(0)
	v_add_f32_e32 v1, 0x358637bd, v1
	s_mov_b32 s2, 0
	v_div_scale_f32 v3, null, v1, v1, 1.0
	v_div_scale_f32 v6, vcc_lo, 1.0, v1, 1.0
	v_rcp_f32_e32 v4, v3
	v_fma_f32 v5, -v3, v4, 1.0
	v_fmac_f32_e32 v4, v5, v4
	v_mul_f32_e32 v5, v6, v4
	v_fma_f32 v7, -v3, v5, v6
	v_fmac_f32_e32 v5, v7, v4
	v_fma_f32 v3, -v3, v5, v6
	v_div_fmas_f32 v3, v3, v4, v5
	v_div_fixup_f32 v1, v3, v1, 1.0
	v_mov_b32_e32 v3, v81
.LBB26_34:                              ; =>This Inner Loop Header: Depth=1
	ds_read_b32 v4, v2
	v_add_nc_u32_e32 v3, 0x80, v3
	v_cmp_le_i32_e32 vcc_lo, s4, v3
	s_or_b32 s2, vcc_lo, s2
	s_waitcnt lgkmcnt(0)
	v_mul_f32_e32 v4, v1, v4
	ds_write_b32 v2, v4
	v_add_nc_u32_e32 v2, 0x200, v2
	s_andn2_b32 exec_lo, exec_lo, s2
	s_cbranch_execnz .LBB26_34
.LBB26_35:
	s_or_b32 exec_lo, exec_lo, s1
	v_mov_b32_e32 v18, 0
	v_and_b32_e32 v56, 3, v81
	v_mov_b32_e32 v26, 0
	v_mov_b32_e32 v17, 0
	;; [unrolled: 1-line block ×31, first 2 shown]
	s_waitcnt lgkmcnt(0)
	s_barrier
	buffer_gl0_inv
	s_and_saveexec_b32 s1, s0
	s_cbranch_execz .LBB26_105
; %bb.36:
	s_ashr_i32 s15, s14, 31
	v_and_b32_e32 v1, 12, v0
	s_lshl_b64 s[4:5], s[14:15], 2
	s_sub_i32 s2, s28, s17
	s_add_u32 s3, s26, s4
	s_addc_u32 s4, s27, s5
	s_abs_i32 s5, s18
	buffer_store_dword v54, off, s[40:43], 0 offset:212 ; 4-byte Folded Spill
	buffer_store_dword v38, off, s[40:43], 0 offset:208 ; 4-byte Folded Spill
	;; [unrolled: 1-line block ×5, first 2 shown]
	v_cvt_f32_u32_e32 v1, s5
	v_and_b32_e32 v2, 0x7c, v0
	s_sub_i32 s0, 0, s5
	v_or_b32_e32 v0, 0xf80, v0
	v_lshlrev_b32_e32 v4, 4, v56
	v_rcp_iflag_f32_e32 v1, v1
	v_lshlrev_b32_e32 v2, 2, v2
	v_and_b32_e32 v3, 0x7c, v27
	s_lshl_b64 s[24:25], s[24:25], 2
	s_add_i32 s14, s16, -1
	v_lshl_or_b32 v4, v127, 6, v4
	buffer_store_dword v2, off, s[40:43], 0 offset:188 ; 4-byte Folded Spill
	v_lshlrev_b32_e32 v0, 2, v0
	v_mov_b32_e32 v52, 0
	v_mov_b32_e32 v51, 0
	v_mul_f32_e32 v1, 0x4f7ffffe, v1
	v_mov_b32_e32 v50, 0
	v_mov_b32_e32 v58, 0
	;; [unrolled: 1-line block ×4, first 2 shown]
	v_cvt_u32_f32_e32 v1, v1
	v_mov_b32_e32 v46, 0
	v_mov_b32_e32 v43, 0
	;; [unrolled: 1-line block ×4, first 2 shown]
	v_mul_lo_u32 v5, s0, v1
	s_add_u32 s0, s22, s24
	s_addc_u32 s15, s23, s25
	v_add_co_u32 v125, s0, s0, v3
	v_mov_b32_e32 v39, 0
	v_mov_b32_e32 v44, 0
	;; [unrolled: 1-line block ×3, first 2 shown]
	v_mul_hi_u32 v2, v1, v5
	v_mov_b32_e32 v30, 0
	v_mov_b32_e32 v28, 0
	;; [unrolled: 1-line block ×5, first 2 shown]
	buffer_store_dword v0, off, s[40:43], 0 offset:192 ; 4-byte Folded Spill
	v_add_nc_u32_e32 v0, 0x420, v4
	v_add_co_ci_u32_e64 v126, null, s15, 0, s0
	v_add_nc_u32_e32 v1, v1, v2
	v_mov_b32_e32 v35, 0
	v_mov_b32_e32 v57, 0
	;; [unrolled: 1-line block ×14, first 2 shown]
	s_mov_b32 s15, s13
	s_mov_b32 s13, 0
	buffer_store_dword v56, off, s[40:43], 0 offset:216 ; 4-byte Folded Spill
	buffer_store_dword v1, off, s[40:43], 0 offset:52 ; 4-byte Folded Spill
	;; [unrolled: 1-line block ×3, first 2 shown]
	s_branch .LBB26_39
.LBB26_37:                              ;   in Loop: Header=BB26_39 Depth=1
	s_or_b32 exec_lo, exec_lo, s0
	s_waitcnt lgkmcnt(0)
	v_mul_f32_e32 v77, v1, v77
	v_mul_f32_e32 v16, v1, v81
	;; [unrolled: 1-line block ×5, first 2 shown]
	v_fmac_f32_e32 v77, v2, v78
	v_mul_f32_e32 v33, v1, v33
	v_fmac_f32_e32 v17, v2, v18
	v_fmac_f32_e32 v41, v2, v42
	;; [unrolled: 1-line block ×9, first 2 shown]
	s_clause 0x3
	buffer_load_dword v78, off, s[40:43], 0 offset:36
	buffer_load_dword v79, off, s[40:43], 0 offset:40
	;; [unrolled: 1-line block ×4, first 2 shown]
	v_fmac_f32_e32 v33, v3, v35
	v_fmac_f32_e32 v41, v4, v44
	;; [unrolled: 1-line block ×3, first 2 shown]
	v_mul_f32_e32 v14, v1, v93
	v_fmac_f32_e32 v16, v2, v82
	v_fmac_f32_e32 v33, v4, v36
	v_mul_f32_e32 v29, v1, v29
	v_mul_f32_e32 v25, v1, v25
	v_fmac_f32_e32 v14, v2, v94
	v_mul_f32_e32 v21, v1, v21
	v_fmac_f32_e32 v16, v3, v83
	v_fmac_f32_e32 v29, v2, v30
	;; [unrolled: 1-line block ×10, first 2 shown]
	v_mul_f32_e32 v13, v1, v97
	v_fmac_f32_e32 v29, v4, v32
	v_fmac_f32_e32 v25, v4, v28
	v_mul_f32_e32 v15, v1, v85
	v_fmac_f32_e32 v21, v4, v24
	v_mul_f32_e32 v57, v1, v57
	v_fmac_f32_e32 v13, v2, v98
	v_fmac_f32_e32 v17, v4, v20
	;; [unrolled: 1-line block ×3, first 2 shown]
	v_mul_f32_e32 v49, v1, v49
	v_fmac_f32_e32 v57, v2, v58
	v_fmac_f32_e32 v13, v3, v99
	v_mul_f32_e32 v45, v1, v45
	v_fmac_f32_e32 v15, v3, v87
	v_fmac_f32_e32 v49, v2, v50
	;; [unrolled: 1-line block ×8, first 2 shown]
	v_mul_f32_e32 v9, v1, v9
	v_fmac_f32_e32 v45, v3, v47
	v_mul_f32_e32 v5, v1, v5
	v_fmac_f32_e32 v49, v4, v52
	v_mul_f32_e32 v73, v1, v73
	v_fmac_f32_e32 v9, v2, v10
	v_fmac_f32_e32 v45, v4, v48
	v_fmac_f32_e32 v5, v2, v6
	v_mul_f32_e32 v6, v1, v121
	v_mul_f32_e32 v10, v1, v109
	v_fmac_f32_e32 v9, v3, v11
	v_mul_f32_e32 v11, v1, v105
	v_fmac_f32_e32 v5, v3, v7
	v_mul_f32_e32 v7, v1, v117
	v_mul_f32_e32 v69, v1, v69
	v_fmac_f32_e32 v9, v4, v12
	v_mul_f32_e32 v12, v1, v101
	v_fmac_f32_e32 v5, v4, v8
	v_mul_f32_e32 v8, v1, v113
	v_mul_f32_e32 v65, v1, v65
	;; [unrolled: 1-line block ×4, first 2 shown]
	v_fmac_f32_e32 v6, v2, v122
	v_fmac_f32_e32 v7, v2, v118
	;; [unrolled: 1-line block ×33, first 2 shown]
	s_waitcnt vmcnt(3)
	v_mul_f32_e32 v18, v1, v78
	s_waitcnt vmcnt(2)
	v_fmac_f32_e32 v18, v2, v79
	s_waitcnt vmcnt(1)
	v_fmac_f32_e32 v18, v3, v80
	;; [unrolled: 2-line block ×3, first 2 shown]
	s_clause 0x3
	buffer_load_dword v78, off, s[40:43], 0 offset:20
	buffer_load_dword v79, off, s[40:43], 0 offset:24
	;; [unrolled: 1-line block ×4, first 2 shown]
	s_waitcnt vmcnt(3)
	v_mul_f32_e32 v19, v1, v78
	s_waitcnt vmcnt(2)
	v_fmac_f32_e32 v19, v2, v79
	s_waitcnt vmcnt(1)
	v_fmac_f32_e32 v19, v3, v80
	;; [unrolled: 2-line block ×3, first 2 shown]
	s_clause 0x1a
	buffer_load_dword v78, off, s[40:43], 0 offset:4
	buffer_load_dword v79, off, s[40:43], 0 offset:8
	;; [unrolled: 1-line block ×27, first 2 shown]
	s_waitcnt vmcnt(26)
	v_mul_f32_e32 v20, v1, v78
	v_mul_f32_e32 v1, v1, v89
	s_waitcnt vmcnt(22)
	v_add_f32_e32 v42, v42, v12
	s_waitcnt vmcnt(21)
	v_add_f32_e32 v40, v40, v13
	;; [unrolled: 2-line block ×3, first 2 shown]
	buffer_load_dword v14, off, s[40:43], 0 offset:152 ; 4-byte Folded Reload
	s_waitcnt vmcnt(19)
	v_add_f32_e32 v36, v36, v16
	buffer_load_dword v16, off, s[40:43], 0 offset:160 ; 4-byte Folded Reload
	v_add_f32_e32 v44, v44, v15
	s_clause 0x1
	buffer_load_dword v13, off, s[40:43], 0 offset:148
	buffer_load_dword v15, off, s[40:43], 0 offset:156
	v_fmac_f32_e32 v20, v2, v79
	s_waitcnt vmcnt(16)
	v_add_f32_e32 v35, v35, v57
	buffer_load_dword v57, off, s[40:43], 0 offset:132 ; 4-byte Folded Reload
	v_fmac_f32_e32 v1, v2, v90
	v_add_f32_e32 v30, v30, v77
	v_fmac_f32_e32 v20, v3, v80
	s_waitcnt vmcnt(12)
	v_add_f32_e32 v51, v51, v9
	s_waitcnt vmcnt(11)
	v_add_f32_e32 v50, v50, v5
	v_fmac_f32_e32 v1, v3, v91
	s_waitcnt vmcnt(10)
	v_add_f32_e32 v58, v58, v6
	v_fmac_f32_e32 v20, v4, v81
	s_waitcnt vmcnt(9)
	v_add_f32_e32 v48, v48, v7
	s_waitcnt vmcnt(8)
	v_add_f32_e32 v47, v47, v8
	v_fmac_f32_e32 v1, v4, v92
	s_waitcnt vmcnt(7)
	v_add_f32_e32 v46, v46, v10
	s_waitcnt vmcnt(6)
	v_add_f32_e32 v43, v43, v11
	v_add_f32_e32 v28, v28, v73
	;; [unrolled: 1-line block ×7, first 2 shown]
	s_waitcnt vmcnt(5)
	v_add_f32_e32 v52, v52, v1
	v_add_f32_e32 v26, v26, v19
	s_waitcnt vmcnt(4)
	v_add_f32_e32 v14, v14, v33
	s_waitcnt vmcnt(3)
	v_add_f32_e32 v16, v16, v25
	buffer_load_dword v25, off, s[40:43], 0 offset:164 ; 4-byte Folded Reload
	v_add_f32_e32 v23, v23, v45
	s_waitcnt vmcnt(3)
	v_add_f32_e32 v13, v13, v37
	s_waitcnt vmcnt(2)
	;; [unrolled: 2-line block ×4, first 2 shown]
	v_add_f32_e32 v25, v25, v21
	buffer_load_dword v21, off, s[40:43], 0 offset:168 ; 4-byte Folded Reload
	s_waitcnt vmcnt(0)
	v_add_f32_e32 v21, v21, v17
	buffer_load_dword v17, off, s[40:43], 0 offset:172 ; 4-byte Folded Reload
	s_waitcnt vmcnt(0)
	;; [unrolled: 3-line block ×3, first 2 shown]
	v_add_f32_e32 v18, v18, v20
.LBB26_38:                              ;   in Loop: Header=BB26_39 Depth=1
	s_or_b32 exec_lo, exec_lo, s17
	buffer_load_dword v82, off, s[40:43], 0 ; 4-byte Folded Reload
	v_add_nc_u32_e32 v127, 4, v127
	v_add_co_u32 v125, s0, v125, 16
	v_add_co_ci_u32_e64 v126, null, 0, v126, s0
	v_cmp_le_i32_e32 vcc_lo, s16, v127
	v_add_nc_u32_e32 v0, 0x100, v0
	s_or_b32 s13, vcc_lo, s13
	s_waitcnt vmcnt(0)
	v_add_nc_u32_e32 v82, 64, v82
	s_andn2_b32 exec_lo, exec_lo, s13
	s_cbranch_execz .LBB26_104
.LBB26_39:                              ; =>This Inner Loop Header: Depth=1
	v_mul_hi_u32 v1, v82, s21
	buffer_store_dword v82, off, s[40:43], 0 ; 4-byte Folded Spill
	v_mul_lo_u32 v2, v1, s12
	v_add_nc_u32_e32 v3, 1, v1
	v_sub_nc_u32_e32 v2, v82, v2
	v_subrev_nc_u32_e32 v4, s12, v2
	v_cmp_le_u32_e32 vcc_lo, s12, v2
	v_cndmask_b32_e32 v2, v2, v4, vcc_lo
	buffer_load_dword v4, off, s[40:43], 0 offset:52 ; 4-byte Folded Reload
	v_cndmask_b32_e32 v1, v1, v3, vcc_lo
	v_cmp_le_u32_e32 vcc_lo, s12, v2
	v_add_nc_u32_e32 v3, 1, v1
	v_cndmask_b32_e32 v1, v1, v3, vcc_lo
	v_xor_b32_e32 v1, s19, v1
	v_subrev_nc_u32_e32 v1, s19, v1
	v_add_nc_u32_e32 v2, s31, v1
	v_cmp_lt_i32_e64 s0, s2, v1
	v_sub_nc_u32_e32 v3, 0, v2
	v_max_i32_e32 v3, v2, v3
	v_ashrrev_i32_e32 v2, 31, v2
	s_waitcnt vmcnt(0)
	v_mul_hi_u32 v4, v3, v4
	v_mul_lo_u32 v4, v4, s5
	v_sub_nc_u32_e32 v3, v3, v4
	v_subrev_nc_u32_e32 v4, s5, v3
	v_cmp_le_u32_e32 vcc_lo, s5, v3
	v_cndmask_b32_e32 v3, v3, v4, vcc_lo
	v_subrev_nc_u32_e32 v4, s5, v3
	v_cmp_le_u32_e32 vcc_lo, s5, v3
	v_cndmask_b32_e32 v3, v3, v4, vcc_lo
	v_xor_b32_e32 v3, v3, v2
	v_sub_nc_u32_e32 v2, v3, v2
	v_cmp_eq_u32_e32 vcc_lo, 0, v2
	s_or_b32 s0, vcc_lo, s0
	s_and_saveexec_b32 s17, s0
	s_cbranch_execz .LBB26_38
; %bb.40:                               ;   in Loop: Header=BB26_39 Depth=1
	buffer_store_dword v26, off, s[40:43], 0 offset:180 ; 4-byte Folded Spill
	buffer_store_dword v18, off, s[40:43], 0 offset:176 ; 4-byte Folded Spill
	buffer_store_dword v17, off, s[40:43], 0 offset:172 ; 4-byte Folded Spill
	buffer_store_dword v21, off, s[40:43], 0 offset:168 ; 4-byte Folded Spill
	buffer_store_dword v25, off, s[40:43], 0 offset:164 ; 4-byte Folded Spill
	buffer_store_dword v16, off, s[40:43], 0 offset:160 ; 4-byte Folded Spill
	buffer_store_dword v15, off, s[40:43], 0 offset:156 ; 4-byte Folded Spill
	buffer_store_dword v14, off, s[40:43], 0 offset:152 ; 4-byte Folded Spill
	buffer_store_dword v13, off, s[40:43], 0 offset:148 ; 4-byte Folded Spill
	buffer_store_dword v24, off, s[40:43], 0 offset:144 ; 4-byte Folded Spill
	buffer_store_dword v23, off, s[40:43], 0 offset:140 ; 4-byte Folded Spill
	buffer_store_dword v22, off, s[40:43], 0 offset:136 ; 4-byte Folded Spill
	buffer_store_dword v57, off, s[40:43], 0 offset:132 ; 4-byte Folded Spill
	buffer_store_dword v35, off, s[40:43], 0 offset:128 ; 4-byte Folded Spill
	buffer_store_dword v34, off, s[40:43], 0 offset:124 ; 4-byte Folded Spill
	buffer_store_dword v32, off, s[40:43], 0 offset:120 ; 4-byte Folded Spill
	buffer_store_dword v31, off, s[40:43], 0 offset:116 ; 4-byte Folded Spill
	buffer_store_dword v28, off, s[40:43], 0 offset:112 ; 4-byte Folded Spill
	buffer_store_dword v30, off, s[40:43], 0 offset:108 ; 4-byte Folded Spill
	buffer_store_dword v36, off, s[40:43], 0 offset:104 ; 4-byte Folded Spill
	buffer_store_dword v44, off, s[40:43], 0 offset:100 ; 4-byte Folded Spill
	buffer_store_dword v39, off, s[40:43], 0 offset:96 ; 4-byte Folded Spill
	buffer_store_dword v40, off, s[40:43], 0 offset:92 ; 4-byte Folded Spill
	buffer_store_dword v42, off, s[40:43], 0 offset:88 ; 4-byte Folded Spill
	buffer_store_dword v43, off, s[40:43], 0 offset:84 ; 4-byte Folded Spill
	buffer_store_dword v46, off, s[40:43], 0 offset:80 ; 4-byte Folded Spill
	buffer_store_dword v47, off, s[40:43], 0 offset:76 ; 4-byte Folded Spill
	buffer_store_dword v48, off, s[40:43], 0 offset:72 ; 4-byte Folded Spill
	buffer_store_dword v58, off, s[40:43], 0 offset:68 ; 4-byte Folded Spill
	buffer_store_dword v50, off, s[40:43], 0 offset:64 ; 4-byte Folded Spill
	buffer_store_dword v51, off, s[40:43], 0 offset:60 ; 4-byte Folded Spill
	buffer_store_dword v52, off, s[40:43], 0 offset:56 ; 4-byte Folded Spill
	global_load_dword v1, v[125:126], off
	s_waitcnt vmcnt(0)
	v_mad_i64_i32 v[1:2], null, v1, s15, 0
	v_lshlrev_b64 v[1:2], 2, v[1:2]
	v_add_co_u32 v89, vcc_lo, s3, v1
	buffer_load_dword v1, off, s[40:43], 0 offset:188 ; 4-byte Folded Reload
	v_add_co_ci_u32_e64 v90, null, s4, v2, vcc_lo
	s_waitcnt vmcnt(0)
	v_add_co_u32 v5, vcc_lo, v89, v1
	v_add_co_ci_u32_e64 v6, null, 0, v90, vcc_lo
	v_cmp_eq_u32_e32 vcc_lo, s14, v127
	global_load_dwordx4 v[1:4], v[5:6], off
	s_waitcnt vmcnt(0)
	buffer_store_dword v1, off, s[40:43], 0 offset:4 ; 4-byte Folded Spill
	buffer_store_dword v2, off, s[40:43], 0 offset:8 ; 4-byte Folded Spill
	;; [unrolled: 1-line block ×4, first 2 shown]
	ds_read_b128 v[1:4], v0
	s_clause 0x1
	buffer_load_dword v7, off, s[40:43], 0
	buffer_load_dword v8, off, s[40:43], 0 offset:184
	s_waitcnt vmcnt(0)
	v_add_nc_u32_e32 v14, v8, v7
	v_add_nc_u32_e32 v16, 1, v14
	;; [unrolled: 1-line block ×4, first 2 shown]
	s_and_saveexec_b32 s18, vcc_lo
	s_cbranch_execz .LBB26_42
; %bb.41:                               ;   in Loop: Header=BB26_39 Depth=1
	s_clause 0x3
	buffer_load_dword v7, off, s[40:43], 0 offset:4
	buffer_load_dword v8, off, s[40:43], 0 offset:8
	;; [unrolled: 1-line block ×4, first 2 shown]
	v_cmp_gt_i32_e64 s0, s30, v14
	s_waitcnt vmcnt(3)
	v_cndmask_b32_e64 v7, 0, v7, s0
	v_cmp_gt_i32_e64 s0, s30, v16
	s_waitcnt vmcnt(2)
	v_cndmask_b32_e64 v8, 0, v8, s0
	;; [unrolled: 3-line block ×4, first 2 shown]
	buffer_store_dword v7, off, s[40:43], 0 offset:4 ; 4-byte Folded Spill
	buffer_store_dword v8, off, s[40:43], 0 offset:8 ; 4-byte Folded Spill
	;; [unrolled: 1-line block ×4, first 2 shown]
.LBB26_42:                              ;   in Loop: Header=BB26_39 Depth=1
	s_or_b32 exec_lo, exec_lo, s18
	global_load_dwordx4 v[7:10], v[5:6], off offset:512
	s_waitcnt vmcnt(0)
	buffer_store_dword v7, off, s[40:43], 0 offset:20 ; 4-byte Folded Spill
	buffer_store_dword v8, off, s[40:43], 0 offset:24 ; 4-byte Folded Spill
	;; [unrolled: 1-line block ×4, first 2 shown]
	s_and_saveexec_b32 s18, vcc_lo
	s_cbranch_execz .LBB26_44
; %bb.43:                               ;   in Loop: Header=BB26_39 Depth=1
	s_clause 0x3
	buffer_load_dword v7, off, s[40:43], 0 offset:20
	buffer_load_dword v8, off, s[40:43], 0 offset:24
	;; [unrolled: 1-line block ×4, first 2 shown]
	v_cmp_gt_i32_e64 s0, s30, v14
	s_waitcnt vmcnt(3)
	v_cndmask_b32_e64 v7, 0, v7, s0
	v_cmp_gt_i32_e64 s0, s30, v16
	s_waitcnt vmcnt(2)
	v_cndmask_b32_e64 v8, 0, v8, s0
	v_cmp_gt_i32_e64 s0, s30, v15
	s_waitcnt vmcnt(1)
	v_cndmask_b32_e64 v9, 0, v9, s0
	v_cmp_gt_i32_e64 s0, s30, v13
	s_waitcnt vmcnt(0)
	v_cndmask_b32_e64 v10, 0, v10, s0
	buffer_store_dword v7, off, s[40:43], 0 offset:20 ; 4-byte Folded Spill
	buffer_store_dword v8, off, s[40:43], 0 offset:24 ; 4-byte Folded Spill
	;; [unrolled: 1-line block ×4, first 2 shown]
.LBB26_44:                              ;   in Loop: Header=BB26_39 Depth=1
	s_or_b32 exec_lo, exec_lo, s18
	global_load_dwordx4 v[7:10], v[5:6], off offset:1024
	s_waitcnt vmcnt(0)
	buffer_store_dword v7, off, s[40:43], 0 offset:36 ; 4-byte Folded Spill
	buffer_store_dword v8, off, s[40:43], 0 offset:40 ; 4-byte Folded Spill
	;; [unrolled: 1-line block ×4, first 2 shown]
	s_and_saveexec_b32 s18, vcc_lo
	s_cbranch_execz .LBB26_46
; %bb.45:                               ;   in Loop: Header=BB26_39 Depth=1
	s_clause 0x3
	buffer_load_dword v7, off, s[40:43], 0 offset:36
	buffer_load_dword v8, off, s[40:43], 0 offset:40
	;; [unrolled: 1-line block ×4, first 2 shown]
	v_cmp_gt_i32_e64 s0, s30, v14
	s_waitcnt vmcnt(3)
	v_cndmask_b32_e64 v7, 0, v7, s0
	v_cmp_gt_i32_e64 s0, s30, v16
	s_waitcnt vmcnt(2)
	v_cndmask_b32_e64 v8, 0, v8, s0
	;; [unrolled: 3-line block ×4, first 2 shown]
	buffer_store_dword v7, off, s[40:43], 0 offset:36 ; 4-byte Folded Spill
	buffer_store_dword v8, off, s[40:43], 0 offset:40 ; 4-byte Folded Spill
	;; [unrolled: 1-line block ×4, first 2 shown]
.LBB26_46:                              ;   in Loop: Header=BB26_39 Depth=1
	s_or_b32 exec_lo, exec_lo, s18
	global_load_dwordx4 v[17:20], v[5:6], off offset:1536
	s_and_saveexec_b32 s18, vcc_lo
	s_cbranch_execz .LBB26_48
; %bb.47:                               ;   in Loop: Header=BB26_39 Depth=1
	v_cmp_gt_i32_e64 s0, s30, v14
	s_waitcnt vmcnt(0)
	v_cndmask_b32_e64 v17, 0, v17, s0
	v_cmp_gt_i32_e64 s0, s30, v16
	v_cndmask_b32_e64 v18, 0, v18, s0
	v_cmp_gt_i32_e64 s0, s30, v15
	;; [unrolled: 2-line block ×3, first 2 shown]
	v_cndmask_b32_e64 v20, 0, v20, s0
.LBB26_48:                              ;   in Loop: Header=BB26_39 Depth=1
	s_or_b32 exec_lo, exec_lo, s18
	v_add_co_u32 v7, s0, 0x800, v5
	v_add_co_ci_u32_e64 v8, null, 0, v6, s0
	global_load_dwordx4 v[21:24], v[7:8], off
	s_and_saveexec_b32 s18, vcc_lo
	s_cbranch_execnz .LBB26_84
; %bb.49:                               ;   in Loop: Header=BB26_39 Depth=1
	s_or_b32 exec_lo, exec_lo, s18
	global_load_dwordx4 v[25:28], v[7:8], off offset:512
	s_and_saveexec_b32 s18, vcc_lo
	s_cbranch_execnz .LBB26_85
.LBB26_50:                              ;   in Loop: Header=BB26_39 Depth=1
	s_or_b32 exec_lo, exec_lo, s18
	global_load_dwordx4 v[29:32], v[7:8], off offset:1024
	s_and_saveexec_b32 s18, vcc_lo
	s_cbranch_execnz .LBB26_86
.LBB26_51:                              ;   in Loop: Header=BB26_39 Depth=1
	s_or_b32 exec_lo, exec_lo, s18
	global_load_dwordx4 v[33:36], v[7:8], off offset:1536
	s_and_saveexec_b32 s18, vcc_lo
	s_cbranch_execz .LBB26_53
.LBB26_52:                              ;   in Loop: Header=BB26_39 Depth=1
	v_cmp_gt_i32_e64 s0, s30, v14
	s_waitcnt vmcnt(0)
	v_cndmask_b32_e64 v33, 0, v33, s0
	v_cmp_gt_i32_e64 s0, s30, v16
	v_cndmask_b32_e64 v34, 0, v34, s0
	v_cmp_gt_i32_e64 s0, s30, v15
	;; [unrolled: 2-line block ×3, first 2 shown]
	v_cndmask_b32_e64 v36, 0, v36, s0
.LBB26_53:                              ;   in Loop: Header=BB26_39 Depth=1
	s_or_b32 exec_lo, exec_lo, s18
	v_add_co_u32 v7, s0, 0x1000, v5
	v_add_co_ci_u32_e64 v8, null, 0, v6, s0
	global_load_dwordx4 v[37:40], v[7:8], off
	s_and_saveexec_b32 s18, vcc_lo
	s_cbranch_execnz .LBB26_87
; %bb.54:                               ;   in Loop: Header=BB26_39 Depth=1
	s_or_b32 exec_lo, exec_lo, s18
	global_load_dwordx4 v[41:44], v[7:8], off offset:512
	s_and_saveexec_b32 s18, vcc_lo
	s_cbranch_execnz .LBB26_88
.LBB26_55:                              ;   in Loop: Header=BB26_39 Depth=1
	s_or_b32 exec_lo, exec_lo, s18
	global_load_dwordx4 v[45:48], v[7:8], off offset:1024
	s_and_saveexec_b32 s18, vcc_lo
	s_cbranch_execnz .LBB26_89
.LBB26_56:                              ;   in Loop: Header=BB26_39 Depth=1
	s_or_b32 exec_lo, exec_lo, s18
	global_load_dwordx4 v[49:52], v[7:8], off offset:1536
	s_and_saveexec_b32 s18, vcc_lo
	s_cbranch_execz .LBB26_58
.LBB26_57:                              ;   in Loop: Header=BB26_39 Depth=1
	v_cmp_gt_i32_e64 s0, s30, v14
	s_waitcnt vmcnt(0)
	v_cndmask_b32_e64 v49, 0, v49, s0
	v_cmp_gt_i32_e64 s0, s30, v16
	v_cndmask_b32_e64 v50, 0, v50, s0
	v_cmp_gt_i32_e64 s0, s30, v15
	;; [unrolled: 2-line block ×3, first 2 shown]
	v_cndmask_b32_e64 v52, 0, v52, s0
.LBB26_58:                              ;   in Loop: Header=BB26_39 Depth=1
	s_or_b32 exec_lo, exec_lo, s18
	v_add_co_u32 v7, s0, 0x1800, v5
	v_add_co_ci_u32_e64 v8, null, 0, v6, s0
	global_load_dwordx4 v[53:56], v[7:8], off
	s_and_saveexec_b32 s18, vcc_lo
	s_cbranch_execnz .LBB26_90
; %bb.59:                               ;   in Loop: Header=BB26_39 Depth=1
	s_or_b32 exec_lo, exec_lo, s18
	global_load_dwordx4 v[57:60], v[7:8], off offset:512
	s_and_saveexec_b32 s18, vcc_lo
	s_cbranch_execnz .LBB26_91
.LBB26_60:                              ;   in Loop: Header=BB26_39 Depth=1
	s_or_b32 exec_lo, exec_lo, s18
	global_load_dwordx4 v[61:64], v[7:8], off offset:1024
	s_and_saveexec_b32 s18, vcc_lo
	s_cbranch_execnz .LBB26_92
.LBB26_61:                              ;   in Loop: Header=BB26_39 Depth=1
	s_or_b32 exec_lo, exec_lo, s18
	global_load_dwordx4 v[65:68], v[7:8], off offset:1536
	s_and_saveexec_b32 s18, vcc_lo
	s_cbranch_execz .LBB26_63
.LBB26_62:                              ;   in Loop: Header=BB26_39 Depth=1
	v_cmp_gt_i32_e64 s0, s30, v14
	s_waitcnt vmcnt(0)
	v_cndmask_b32_e64 v65, 0, v65, s0
	v_cmp_gt_i32_e64 s0, s30, v16
	v_cndmask_b32_e64 v66, 0, v66, s0
	v_cmp_gt_i32_e64 s0, s30, v15
	;; [unrolled: 2-line block ×3, first 2 shown]
	v_cndmask_b32_e64 v68, 0, v68, s0
.LBB26_63:                              ;   in Loop: Header=BB26_39 Depth=1
	s_or_b32 exec_lo, exec_lo, s18
	v_add_co_u32 v7, s0, 0x2000, v5
	v_add_co_ci_u32_e64 v8, null, 0, v6, s0
	global_load_dwordx4 v[69:72], v[7:8], off
	s_and_saveexec_b32 s18, vcc_lo
	s_cbranch_execnz .LBB26_93
; %bb.64:                               ;   in Loop: Header=BB26_39 Depth=1
	s_or_b32 exec_lo, exec_lo, s18
	global_load_dwordx4 v[73:76], v[7:8], off offset:512
	s_and_saveexec_b32 s18, vcc_lo
	s_cbranch_execnz .LBB26_94
.LBB26_65:                              ;   in Loop: Header=BB26_39 Depth=1
	s_or_b32 exec_lo, exec_lo, s18
	global_load_dwordx4 v[77:80], v[7:8], off offset:1024
	s_and_saveexec_b32 s18, vcc_lo
	s_cbranch_execnz .LBB26_95
.LBB26_66:                              ;   in Loop: Header=BB26_39 Depth=1
	s_or_b32 exec_lo, exec_lo, s18
	global_load_dwordx4 v[81:84], v[7:8], off offset:1536
	s_and_saveexec_b32 s18, vcc_lo
	s_cbranch_execz .LBB26_68
.LBB26_67:                              ;   in Loop: Header=BB26_39 Depth=1
	v_cmp_gt_i32_e64 s0, s30, v14
	s_waitcnt vmcnt(0)
	v_cndmask_b32_e64 v81, 0, v81, s0
	v_cmp_gt_i32_e64 s0, s30, v16
	v_cndmask_b32_e64 v82, 0, v82, s0
	v_cmp_gt_i32_e64 s0, s30, v15
	;; [unrolled: 2-line block ×3, first 2 shown]
	v_cndmask_b32_e64 v84, 0, v84, s0
.LBB26_68:                              ;   in Loop: Header=BB26_39 Depth=1
	s_or_b32 exec_lo, exec_lo, s18
	v_add_co_u32 v7, s0, 0x2800, v5
	v_add_co_ci_u32_e64 v8, null, 0, v6, s0
	global_load_dwordx4 v[85:88], v[7:8], off
	s_and_saveexec_b32 s18, vcc_lo
	s_cbranch_execnz .LBB26_96
; %bb.69:                               ;   in Loop: Header=BB26_39 Depth=1
	s_or_b32 exec_lo, exec_lo, s18
	global_load_dwordx4 v[93:96], v[7:8], off offset:512
	s_and_saveexec_b32 s18, vcc_lo
	s_cbranch_execnz .LBB26_97
.LBB26_70:                              ;   in Loop: Header=BB26_39 Depth=1
	s_or_b32 exec_lo, exec_lo, s18
	global_load_dwordx4 v[97:100], v[7:8], off offset:1024
	s_and_saveexec_b32 s18, vcc_lo
	s_cbranch_execnz .LBB26_98
.LBB26_71:                              ;   in Loop: Header=BB26_39 Depth=1
	s_or_b32 exec_lo, exec_lo, s18
	global_load_dwordx4 v[101:104], v[7:8], off offset:1536
	s_and_saveexec_b32 s18, vcc_lo
	s_cbranch_execz .LBB26_73
.LBB26_72:                              ;   in Loop: Header=BB26_39 Depth=1
	v_cmp_gt_i32_e64 s0, s30, v14
	s_waitcnt vmcnt(0)
	v_cndmask_b32_e64 v101, 0, v101, s0
	v_cmp_gt_i32_e64 s0, s30, v16
	v_cndmask_b32_e64 v102, 0, v102, s0
	v_cmp_gt_i32_e64 s0, s30, v15
	v_cndmask_b32_e64 v103, 0, v103, s0
	v_cmp_gt_i32_e64 s0, s30, v13
	v_cndmask_b32_e64 v104, 0, v104, s0
.LBB26_73:                              ;   in Loop: Header=BB26_39 Depth=1
	s_or_b32 exec_lo, exec_lo, s18
	v_add_co_u32 v7, s0, 0x3000, v5
	v_add_co_ci_u32_e64 v8, null, 0, v6, s0
	global_load_dwordx4 v[105:108], v[7:8], off
	s_and_saveexec_b32 s18, vcc_lo
	s_cbranch_execnz .LBB26_99
; %bb.74:                               ;   in Loop: Header=BB26_39 Depth=1
	s_or_b32 exec_lo, exec_lo, s18
	global_load_dwordx4 v[109:112], v[7:8], off offset:512
	s_and_saveexec_b32 s18, vcc_lo
	s_cbranch_execnz .LBB26_100
.LBB26_75:                              ;   in Loop: Header=BB26_39 Depth=1
	s_or_b32 exec_lo, exec_lo, s18
	global_load_dwordx4 v[113:116], v[7:8], off offset:1024
	s_and_saveexec_b32 s18, vcc_lo
	s_cbranch_execnz .LBB26_101
.LBB26_76:                              ;   in Loop: Header=BB26_39 Depth=1
	s_or_b32 exec_lo, exec_lo, s18
	global_load_dwordx4 v[117:120], v[7:8], off offset:1536
	s_and_saveexec_b32 s18, vcc_lo
	s_cbranch_execz .LBB26_78
.LBB26_77:                              ;   in Loop: Header=BB26_39 Depth=1
	v_cmp_gt_i32_e64 s0, s30, v14
	s_waitcnt vmcnt(0)
	v_cndmask_b32_e64 v117, 0, v117, s0
	v_cmp_gt_i32_e64 s0, s30, v16
	v_cndmask_b32_e64 v118, 0, v118, s0
	v_cmp_gt_i32_e64 s0, s30, v15
	;; [unrolled: 2-line block ×3, first 2 shown]
	v_cndmask_b32_e64 v120, 0, v120, s0
.LBB26_78:                              ;   in Loop: Header=BB26_39 Depth=1
	s_or_b32 exec_lo, exec_lo, s18
	v_add_co_u32 v9, s0, 0x3800, v5
	v_add_co_ci_u32_e64 v10, null, 0, v6, s0
	global_load_dwordx4 v[121:124], v[9:10], off
	s_and_saveexec_b32 s18, vcc_lo
	s_cbranch_execnz .LBB26_102
; %bb.79:                               ;   in Loop: Header=BB26_39 Depth=1
	s_or_b32 exec_lo, exec_lo, s18
	global_load_dwordx4 v[5:8], v[9:10], off offset:512
	s_and_saveexec_b32 s18, vcc_lo
	s_cbranch_execnz .LBB26_103
.LBB26_80:                              ;   in Loop: Header=BB26_39 Depth=1
	s_or_b32 exec_lo, exec_lo, s18
	global_load_dwordx4 v[9:12], v[9:10], off offset:1024
	s_and_saveexec_b32 s18, vcc_lo
	s_cbranch_execz .LBB26_82
.LBB26_81:                              ;   in Loop: Header=BB26_39 Depth=1
	v_cmp_gt_i32_e64 s0, s30, v14
	s_waitcnt vmcnt(0)
	v_cndmask_b32_e64 v9, 0, v9, s0
	v_cmp_gt_i32_e64 s0, s30, v16
	v_cndmask_b32_e64 v10, 0, v10, s0
	v_cmp_gt_i32_e64 s0, s30, v15
	v_cndmask_b32_e64 v11, 0, v11, s0
	v_cmp_gt_i32_e64 s0, s30, v13
	v_cndmask_b32_e64 v12, 0, v12, s0
.LBB26_82:                              ;   in Loop: Header=BB26_39 Depth=1
	s_or_b32 exec_lo, exec_lo, s18
	buffer_load_dword v91, off, s[40:43], 0 offset:192 ; 4-byte Folded Reload
	s_waitcnt vmcnt(0)
	v_add_co_u32 v89, s0, v89, v91
	v_add_co_ci_u32_e64 v90, null, 0, v90, s0
	global_load_dwordx4 v[89:92], v[89:90], off
	s_and_saveexec_b32 s0, vcc_lo
	s_cbranch_execz .LBB26_37
; %bb.83:                               ;   in Loop: Header=BB26_39 Depth=1
	v_cmp_gt_i32_e32 vcc_lo, s30, v14
	s_waitcnt vmcnt(0)
	v_cndmask_b32_e32 v89, 0, v89, vcc_lo
	v_cmp_gt_i32_e32 vcc_lo, s30, v16
	v_cndmask_b32_e32 v90, 0, v90, vcc_lo
	v_cmp_gt_i32_e32 vcc_lo, s30, v15
	;; [unrolled: 2-line block ×3, first 2 shown]
	v_cndmask_b32_e32 v92, 0, v92, vcc_lo
	s_branch .LBB26_37
.LBB26_84:                              ;   in Loop: Header=BB26_39 Depth=1
	v_cmp_gt_i32_e64 s0, s30, v14
	s_waitcnt vmcnt(0)
	v_cndmask_b32_e64 v21, 0, v21, s0
	v_cmp_gt_i32_e64 s0, s30, v16
	v_cndmask_b32_e64 v22, 0, v22, s0
	v_cmp_gt_i32_e64 s0, s30, v15
	;; [unrolled: 2-line block ×3, first 2 shown]
	v_cndmask_b32_e64 v24, 0, v24, s0
	s_or_b32 exec_lo, exec_lo, s18
	global_load_dwordx4 v[25:28], v[7:8], off offset:512
	s_and_saveexec_b32 s18, vcc_lo
	s_cbranch_execz .LBB26_50
.LBB26_85:                              ;   in Loop: Header=BB26_39 Depth=1
	v_cmp_gt_i32_e64 s0, s30, v14
	s_waitcnt vmcnt(0)
	v_cndmask_b32_e64 v25, 0, v25, s0
	v_cmp_gt_i32_e64 s0, s30, v16
	v_cndmask_b32_e64 v26, 0, v26, s0
	v_cmp_gt_i32_e64 s0, s30, v15
	;; [unrolled: 2-line block ×3, first 2 shown]
	v_cndmask_b32_e64 v28, 0, v28, s0
	s_or_b32 exec_lo, exec_lo, s18
	global_load_dwordx4 v[29:32], v[7:8], off offset:1024
	s_and_saveexec_b32 s18, vcc_lo
	s_cbranch_execz .LBB26_51
.LBB26_86:                              ;   in Loop: Header=BB26_39 Depth=1
	v_cmp_gt_i32_e64 s0, s30, v14
	s_waitcnt vmcnt(0)
	v_cndmask_b32_e64 v29, 0, v29, s0
	v_cmp_gt_i32_e64 s0, s30, v16
	v_cndmask_b32_e64 v30, 0, v30, s0
	v_cmp_gt_i32_e64 s0, s30, v15
	;; [unrolled: 2-line block ×3, first 2 shown]
	v_cndmask_b32_e64 v32, 0, v32, s0
	s_or_b32 exec_lo, exec_lo, s18
	global_load_dwordx4 v[33:36], v[7:8], off offset:1536
	s_and_saveexec_b32 s18, vcc_lo
	s_cbranch_execnz .LBB26_52
	s_branch .LBB26_53
.LBB26_87:                              ;   in Loop: Header=BB26_39 Depth=1
	v_cmp_gt_i32_e64 s0, s30, v14
	s_waitcnt vmcnt(0)
	v_cndmask_b32_e64 v37, 0, v37, s0
	v_cmp_gt_i32_e64 s0, s30, v16
	v_cndmask_b32_e64 v38, 0, v38, s0
	v_cmp_gt_i32_e64 s0, s30, v15
	;; [unrolled: 2-line block ×3, first 2 shown]
	v_cndmask_b32_e64 v40, 0, v40, s0
	s_or_b32 exec_lo, exec_lo, s18
	global_load_dwordx4 v[41:44], v[7:8], off offset:512
	s_and_saveexec_b32 s18, vcc_lo
	s_cbranch_execz .LBB26_55
.LBB26_88:                              ;   in Loop: Header=BB26_39 Depth=1
	v_cmp_gt_i32_e64 s0, s30, v14
	s_waitcnt vmcnt(0)
	v_cndmask_b32_e64 v41, 0, v41, s0
	v_cmp_gt_i32_e64 s0, s30, v16
	v_cndmask_b32_e64 v42, 0, v42, s0
	v_cmp_gt_i32_e64 s0, s30, v15
	;; [unrolled: 2-line block ×3, first 2 shown]
	v_cndmask_b32_e64 v44, 0, v44, s0
	s_or_b32 exec_lo, exec_lo, s18
	global_load_dwordx4 v[45:48], v[7:8], off offset:1024
	s_and_saveexec_b32 s18, vcc_lo
	s_cbranch_execz .LBB26_56
.LBB26_89:                              ;   in Loop: Header=BB26_39 Depth=1
	v_cmp_gt_i32_e64 s0, s30, v14
	s_waitcnt vmcnt(0)
	v_cndmask_b32_e64 v45, 0, v45, s0
	v_cmp_gt_i32_e64 s0, s30, v16
	v_cndmask_b32_e64 v46, 0, v46, s0
	v_cmp_gt_i32_e64 s0, s30, v15
	;; [unrolled: 2-line block ×3, first 2 shown]
	v_cndmask_b32_e64 v48, 0, v48, s0
	s_or_b32 exec_lo, exec_lo, s18
	global_load_dwordx4 v[49:52], v[7:8], off offset:1536
	s_and_saveexec_b32 s18, vcc_lo
	s_cbranch_execnz .LBB26_57
	s_branch .LBB26_58
.LBB26_90:                              ;   in Loop: Header=BB26_39 Depth=1
	v_cmp_gt_i32_e64 s0, s30, v14
	s_waitcnt vmcnt(0)
	v_cndmask_b32_e64 v53, 0, v53, s0
	v_cmp_gt_i32_e64 s0, s30, v16
	v_cndmask_b32_e64 v54, 0, v54, s0
	v_cmp_gt_i32_e64 s0, s30, v15
	;; [unrolled: 2-line block ×3, first 2 shown]
	v_cndmask_b32_e64 v56, 0, v56, s0
	s_or_b32 exec_lo, exec_lo, s18
	global_load_dwordx4 v[57:60], v[7:8], off offset:512
	s_and_saveexec_b32 s18, vcc_lo
	s_cbranch_execz .LBB26_60
.LBB26_91:                              ;   in Loop: Header=BB26_39 Depth=1
	v_cmp_gt_i32_e64 s0, s30, v14
	s_waitcnt vmcnt(0)
	v_cndmask_b32_e64 v57, 0, v57, s0
	v_cmp_gt_i32_e64 s0, s30, v16
	v_cndmask_b32_e64 v58, 0, v58, s0
	v_cmp_gt_i32_e64 s0, s30, v15
	;; [unrolled: 2-line block ×3, first 2 shown]
	v_cndmask_b32_e64 v60, 0, v60, s0
	s_or_b32 exec_lo, exec_lo, s18
	global_load_dwordx4 v[61:64], v[7:8], off offset:1024
	s_and_saveexec_b32 s18, vcc_lo
	s_cbranch_execz .LBB26_61
.LBB26_92:                              ;   in Loop: Header=BB26_39 Depth=1
	v_cmp_gt_i32_e64 s0, s30, v14
	s_waitcnt vmcnt(0)
	v_cndmask_b32_e64 v61, 0, v61, s0
	v_cmp_gt_i32_e64 s0, s30, v16
	v_cndmask_b32_e64 v62, 0, v62, s0
	v_cmp_gt_i32_e64 s0, s30, v15
	;; [unrolled: 2-line block ×3, first 2 shown]
	v_cndmask_b32_e64 v64, 0, v64, s0
	s_or_b32 exec_lo, exec_lo, s18
	global_load_dwordx4 v[65:68], v[7:8], off offset:1536
	s_and_saveexec_b32 s18, vcc_lo
	s_cbranch_execnz .LBB26_62
	s_branch .LBB26_63
.LBB26_93:                              ;   in Loop: Header=BB26_39 Depth=1
	v_cmp_gt_i32_e64 s0, s30, v14
	s_waitcnt vmcnt(0)
	v_cndmask_b32_e64 v69, 0, v69, s0
	v_cmp_gt_i32_e64 s0, s30, v16
	v_cndmask_b32_e64 v70, 0, v70, s0
	v_cmp_gt_i32_e64 s0, s30, v15
	v_cndmask_b32_e64 v71, 0, v71, s0
	v_cmp_gt_i32_e64 s0, s30, v13
	v_cndmask_b32_e64 v72, 0, v72, s0
	s_or_b32 exec_lo, exec_lo, s18
	global_load_dwordx4 v[73:76], v[7:8], off offset:512
	s_and_saveexec_b32 s18, vcc_lo
	s_cbranch_execz .LBB26_65
.LBB26_94:                              ;   in Loop: Header=BB26_39 Depth=1
	v_cmp_gt_i32_e64 s0, s30, v14
	s_waitcnt vmcnt(0)
	v_cndmask_b32_e64 v73, 0, v73, s0
	v_cmp_gt_i32_e64 s0, s30, v16
	v_cndmask_b32_e64 v74, 0, v74, s0
	v_cmp_gt_i32_e64 s0, s30, v15
	;; [unrolled: 2-line block ×3, first 2 shown]
	v_cndmask_b32_e64 v76, 0, v76, s0
	s_or_b32 exec_lo, exec_lo, s18
	global_load_dwordx4 v[77:80], v[7:8], off offset:1024
	s_and_saveexec_b32 s18, vcc_lo
	s_cbranch_execz .LBB26_66
.LBB26_95:                              ;   in Loop: Header=BB26_39 Depth=1
	v_cmp_gt_i32_e64 s0, s30, v14
	s_waitcnt vmcnt(0)
	v_cndmask_b32_e64 v77, 0, v77, s0
	v_cmp_gt_i32_e64 s0, s30, v16
	v_cndmask_b32_e64 v78, 0, v78, s0
	v_cmp_gt_i32_e64 s0, s30, v15
	;; [unrolled: 2-line block ×3, first 2 shown]
	v_cndmask_b32_e64 v80, 0, v80, s0
	s_or_b32 exec_lo, exec_lo, s18
	global_load_dwordx4 v[81:84], v[7:8], off offset:1536
	s_and_saveexec_b32 s18, vcc_lo
	s_cbranch_execnz .LBB26_67
	s_branch .LBB26_68
.LBB26_96:                              ;   in Loop: Header=BB26_39 Depth=1
	v_cmp_gt_i32_e64 s0, s30, v14
	s_waitcnt vmcnt(0)
	v_cndmask_b32_e64 v85, 0, v85, s0
	v_cmp_gt_i32_e64 s0, s30, v16
	v_cndmask_b32_e64 v86, 0, v86, s0
	v_cmp_gt_i32_e64 s0, s30, v15
	;; [unrolled: 2-line block ×3, first 2 shown]
	v_cndmask_b32_e64 v88, 0, v88, s0
	s_or_b32 exec_lo, exec_lo, s18
	global_load_dwordx4 v[93:96], v[7:8], off offset:512
	s_and_saveexec_b32 s18, vcc_lo
	s_cbranch_execz .LBB26_70
.LBB26_97:                              ;   in Loop: Header=BB26_39 Depth=1
	v_cmp_gt_i32_e64 s0, s30, v14
	s_waitcnt vmcnt(0)
	v_cndmask_b32_e64 v93, 0, v93, s0
	v_cmp_gt_i32_e64 s0, s30, v16
	v_cndmask_b32_e64 v94, 0, v94, s0
	v_cmp_gt_i32_e64 s0, s30, v15
	;; [unrolled: 2-line block ×3, first 2 shown]
	v_cndmask_b32_e64 v96, 0, v96, s0
	s_or_b32 exec_lo, exec_lo, s18
	global_load_dwordx4 v[97:100], v[7:8], off offset:1024
	s_and_saveexec_b32 s18, vcc_lo
	s_cbranch_execz .LBB26_71
.LBB26_98:                              ;   in Loop: Header=BB26_39 Depth=1
	v_cmp_gt_i32_e64 s0, s30, v14
	s_waitcnt vmcnt(0)
	v_cndmask_b32_e64 v97, 0, v97, s0
	v_cmp_gt_i32_e64 s0, s30, v16
	v_cndmask_b32_e64 v98, 0, v98, s0
	v_cmp_gt_i32_e64 s0, s30, v15
	;; [unrolled: 2-line block ×3, first 2 shown]
	v_cndmask_b32_e64 v100, 0, v100, s0
	s_or_b32 exec_lo, exec_lo, s18
	global_load_dwordx4 v[101:104], v[7:8], off offset:1536
	s_and_saveexec_b32 s18, vcc_lo
	s_cbranch_execnz .LBB26_72
	s_branch .LBB26_73
.LBB26_99:                              ;   in Loop: Header=BB26_39 Depth=1
	v_cmp_gt_i32_e64 s0, s30, v14
	s_waitcnt vmcnt(0)
	v_cndmask_b32_e64 v105, 0, v105, s0
	v_cmp_gt_i32_e64 s0, s30, v16
	v_cndmask_b32_e64 v106, 0, v106, s0
	v_cmp_gt_i32_e64 s0, s30, v15
	;; [unrolled: 2-line block ×3, first 2 shown]
	v_cndmask_b32_e64 v108, 0, v108, s0
	s_or_b32 exec_lo, exec_lo, s18
	global_load_dwordx4 v[109:112], v[7:8], off offset:512
	s_and_saveexec_b32 s18, vcc_lo
	s_cbranch_execz .LBB26_75
.LBB26_100:                             ;   in Loop: Header=BB26_39 Depth=1
	v_cmp_gt_i32_e64 s0, s30, v14
	s_waitcnt vmcnt(0)
	v_cndmask_b32_e64 v109, 0, v109, s0
	v_cmp_gt_i32_e64 s0, s30, v16
	v_cndmask_b32_e64 v110, 0, v110, s0
	v_cmp_gt_i32_e64 s0, s30, v15
	;; [unrolled: 2-line block ×3, first 2 shown]
	v_cndmask_b32_e64 v112, 0, v112, s0
	s_or_b32 exec_lo, exec_lo, s18
	global_load_dwordx4 v[113:116], v[7:8], off offset:1024
	s_and_saveexec_b32 s18, vcc_lo
	s_cbranch_execz .LBB26_76
.LBB26_101:                             ;   in Loop: Header=BB26_39 Depth=1
	v_cmp_gt_i32_e64 s0, s30, v14
	s_waitcnt vmcnt(0)
	v_cndmask_b32_e64 v113, 0, v113, s0
	v_cmp_gt_i32_e64 s0, s30, v16
	v_cndmask_b32_e64 v114, 0, v114, s0
	v_cmp_gt_i32_e64 s0, s30, v15
	v_cndmask_b32_e64 v115, 0, v115, s0
	v_cmp_gt_i32_e64 s0, s30, v13
	v_cndmask_b32_e64 v116, 0, v116, s0
	s_or_b32 exec_lo, exec_lo, s18
	global_load_dwordx4 v[117:120], v[7:8], off offset:1536
	s_and_saveexec_b32 s18, vcc_lo
	s_cbranch_execnz .LBB26_77
	s_branch .LBB26_78
.LBB26_102:                             ;   in Loop: Header=BB26_39 Depth=1
	v_cmp_gt_i32_e64 s0, s30, v14
	s_waitcnt vmcnt(0)
	v_cndmask_b32_e64 v121, 0, v121, s0
	v_cmp_gt_i32_e64 s0, s30, v16
	v_cndmask_b32_e64 v122, 0, v122, s0
	v_cmp_gt_i32_e64 s0, s30, v15
	;; [unrolled: 2-line block ×3, first 2 shown]
	v_cndmask_b32_e64 v124, 0, v124, s0
	s_or_b32 exec_lo, exec_lo, s18
	global_load_dwordx4 v[5:8], v[9:10], off offset:512
	s_and_saveexec_b32 s18, vcc_lo
	s_cbranch_execz .LBB26_80
.LBB26_103:                             ;   in Loop: Header=BB26_39 Depth=1
	v_cmp_gt_i32_e64 s0, s30, v14
	s_waitcnt vmcnt(0)
	v_cndmask_b32_e64 v5, 0, v5, s0
	v_cmp_gt_i32_e64 s0, s30, v16
	v_cndmask_b32_e64 v6, 0, v6, s0
	v_cmp_gt_i32_e64 s0, s30, v15
	;; [unrolled: 2-line block ×3, first 2 shown]
	v_cndmask_b32_e64 v8, 0, v8, s0
	s_or_b32 exec_lo, exec_lo, s18
	global_load_dwordx4 v[9:12], v[9:10], off offset:1024
	s_and_saveexec_b32 s18, vcc_lo
	s_cbranch_execnz .LBB26_81
	s_branch .LBB26_82
.LBB26_104:
	s_or_b32 exec_lo, exec_lo, s13
	s_clause 0x5
	buffer_load_dword v81, off, s[40:43], 0 offset:196
	buffer_load_dword v127, off, s[40:43], 0 offset:200
	;; [unrolled: 1-line block ×6, first 2 shown]
.LBB26_105:
	s_or_b32 exec_lo, exec_lo, s1
	s_waitcnt vmcnt(2)
	ds_bpermute_b32 v0, v38, v18
	ds_bpermute_b32 v1, v38, v26
	;; [unrolled: 1-line block ×16, first 2 shown]
	s_mov_b32 s0, exec_lo
	s_waitcnt vmcnt(0) lgkmcnt(0)
	s_waitcnt_vscnt null, 0x0
	s_barrier
	buffer_gl0_inv
	v_add_f32_e32 v0, v18, v0
	v_add_f32_e32 v1, v26, v1
	;; [unrolled: 1-line block ×6, first 2 shown]
	ds_bpermute_b32 v13, v54, v0
	ds_bpermute_b32 v14, v54, v1
	;; [unrolled: 1-line block ×4, first 2 shown]
	v_add_f32_e32 v4, v25, v4
	v_add_f32_e32 v5, v16, v5
	;; [unrolled: 1-line block ×4, first 2 shown]
	ds_bpermute_b32 v20, v54, v7
	ds_bpermute_b32 v17, v54, v4
	;; [unrolled: 1-line block ×8, first 2 shown]
	v_add_f32_e32 v9, v24, v9
	v_add_f32_e32 v11, v22, v11
	;; [unrolled: 1-line block ×4, first 2 shown]
	s_waitcnt lgkmcnt(11)
	v_add_f32_e32 v0, v0, v13
	s_waitcnt lgkmcnt(10)
	v_add_f32_e32 v1, v1, v14
	;; [unrolled: 2-line block ×4, first 2 shown]
	ds_bpermute_b32 v13, v38, v31
	ds_bpermute_b32 v14, v38, v28
	;; [unrolled: 1-line block ×4, first 2 shown]
	s_waitcnt lgkmcnt(11)
	v_add_f32_e32 v7, v7, v20
	s_waitcnt lgkmcnt(10)
	v_add_f32_e32 v4, v4, v17
	s_waitcnt lgkmcnt(9)
	v_add_f32_e32 v5, v5, v18
	s_waitcnt lgkmcnt(8)
	v_add_f32_e32 v8, v8, v21
	s_waitcnt lgkmcnt(7)
	v_add_f32_e32 v10, v10, v23
	s_waitcnt lgkmcnt(6)
	v_add_f32_e32 v17, v35, v25
	s_waitcnt lgkmcnt(5)
	v_add_f32_e32 v18, v34, v26
	v_add_f32_e32 v20, v32, v27
	ds_bpermute_b32 v21, v38, v44
	ds_bpermute_b32 v23, v38, v39
	;; [unrolled: 1-line block ×6, first 2 shown]
	s_waitcnt lgkmcnt(10)
	v_add_f32_e32 v3, v3, v16
	ds_bpermute_b32 v16, v54, v12
	s_waitcnt lgkmcnt(10)
	v_add_f32_e32 v27, v31, v13
	ds_bpermute_b32 v13, v38, v42
	;; [unrolled: 3-line block ×4, first 2 shown]
	ds_bpermute_b32 v31, v38, v47
	s_waitcnt lgkmcnt(11)
	v_add_f32_e32 v19, v36, v19
	ds_bpermute_b32 v36, v38, v50
	ds_bpermute_b32 v38, v38, v52
	;; [unrolled: 1-line block ×3, first 2 shown]
	v_add_f32_e32 v37, v51, v37
	s_waitcnt lgkmcnt(13)
	v_add_f32_e32 v21, v44, v21
	s_waitcnt lgkmcnt(12)
	;; [unrolled: 2-line block ×6, first 2 shown]
	v_add_f32_e32 v11, v11, v24
	ds_bpermute_b32 v22, v54, v17
	ds_bpermute_b32 v24, v54, v18
	ds_bpermute_b32 v25, v54, v20
	s_waitcnt lgkmcnt(9)
	v_add_f32_e32 v41, v42, v13
	ds_bpermute_b32 v32, v54, v28
	s_waitcnt lgkmcnt(9)
	v_add_f32_e32 v43, v43, v14
	ds_bpermute_b32 v34, v54, v29
	s_waitcnt lgkmcnt(9)
	v_add_f32_e32 v45, v46, v15
	s_waitcnt lgkmcnt(8)
	v_add_f32_e32 v31, v47, v31
	ds_bpermute_b32 v39, v54, v19
	s_waitcnt lgkmcnt(8)
	v_add_f32_e32 v36, v50, v36
	ds_bpermute_b32 v50, v54, v33
	;; [unrolled: 3-line block ×3, first 2 shown]
	ds_bpermute_b32 v42, v54, v23
	ds_bpermute_b32 v44, v54, v26
	;; [unrolled: 1-line block ×10, first 2 shown]
	v_add_f32_e32 v12, v12, v16
	s_waitcnt lgkmcnt(18)
	v_add_f32_e32 v16, v27, v30
	s_waitcnt lgkmcnt(17)
	v_add_f32_e32 v13, v17, v22
	s_waitcnt lgkmcnt(16)
	v_add_f32_e32 v14, v18, v24
	s_waitcnt lgkmcnt(15)
	v_add_f32_e32 v15, v20, v25
	s_waitcnt lgkmcnt(14)
	v_add_f32_e32 v17, v28, v32
	s_waitcnt lgkmcnt(13)
	v_add_f32_e32 v18, v29, v34
	s_waitcnt lgkmcnt(11)
	v_add_f32_e32 v27, v33, v50
	v_and_b32_e32 v33, 28, v55
	v_add_f32_e32 v19, v19, v39
	s_waitcnt lgkmcnt(10)
	v_add_f32_e32 v20, v21, v40
	s_waitcnt lgkmcnt(9)
	;; [unrolled: 2-line block ×10, first 2 shown]
	v_add_f32_e32 v30, v37, v53
	v_and_b32_e32 v35, 0x3c3, v81
	s_waitcnt lgkmcnt(0)
	v_add_f32_e32 v31, v38, v54
	v_lshrrev_b32_e32 v32, 2, v55
	v_add_nc_u32_e32 v33, 0x420, v33
	v_lshlrev_b32_e32 v34, 10, v127
	v_cmpx_eq_u32_e32 64, v35
	s_cbranch_execz .LBB26_107
; %bb.106:
	v_add_nc_u32_e32 v35, v33, v34
	v_add_nc_u32_e32 v36, 0xfffff800, v35
	;; [unrolled: 1-line block ×8, first 2 shown]
	ds_write_b32 v36, v0
	ds_write_b32 v37, v1
	;; [unrolled: 1-line block ×7, first 2 shown]
	v_add_nc_u32_e32 v36, 0xfffff8e0, v35
	v_add_nc_u32_e32 v37, 0xfffff900, v35
	v_add_nc_u32_e32 v38, 0xfffff920, v35
	v_add_nc_u32_e32 v39, 0xfffff940, v35
	v_add_nc_u32_e32 v40, 0xfffff960, v35
	ds_write_b32 v36, v7
	ds_write_b32 v37, v8
	ds_write_b32 v38, v9
	ds_write_b32 v39, v10
	ds_write_b32 v40, v11
	v_add_nc_u32_e32 v36, 0xfffff980, v35
	v_add_nc_u32_e32 v37, 0xfffff9a0, v35
	v_add_nc_u32_e32 v38, 0xfffff9c0, v35
	v_add_nc_u32_e32 v39, 0xfffff9e0, v35
	v_add_nc_u32_e32 v40, 0xfffffa00, v35
	ds_write_b32 v36, v12
	ds_write_b32 v37, v13
	ds_write_b32 v38, v14
	ds_write_b32 v39, v15
	ds_write_b32 v40, v16
	;; [unrolled: 10-line block ×5, first 2 shown]
.LBB26_107:
	s_or_b32 exec_lo, exec_lo, s0
	v_lshlrev_b32_e32 v32, 2, v32
	s_mov_b32 s1, exec_lo
	v_cmp_eq_u32_e32 vcc_lo, 0, v56
	s_waitcnt lgkmcnt(0)
	s_barrier
	v_add3_u32 v32, 0x420, v34, v32
	buffer_gl0_inv
	v_cmpx_gt_u32_e32 64, v81
	s_cbranch_execz .LBB26_142
; %bb.108:
	s_and_saveexec_b32 s0, vcc_lo
	s_cbranch_execnz .LBB26_182
; %bb.109:
	s_or_b32 exec_lo, exec_lo, s0
	s_and_saveexec_b32 s0, vcc_lo
	s_cbranch_execnz .LBB26_183
.LBB26_110:
	s_or_b32 exec_lo, exec_lo, s0
	s_and_saveexec_b32 s0, vcc_lo
	s_cbranch_execnz .LBB26_184
.LBB26_111:
	s_or_b32 exec_lo, exec_lo, s0
	s_and_saveexec_b32 s0, vcc_lo
	s_cbranch_execnz .LBB26_185
.LBB26_112:
	s_or_b32 exec_lo, exec_lo, s0
	s_and_saveexec_b32 s0, vcc_lo
	s_cbranch_execnz .LBB26_186
.LBB26_113:
	s_or_b32 exec_lo, exec_lo, s0
	s_and_saveexec_b32 s0, vcc_lo
	s_cbranch_execnz .LBB26_187
.LBB26_114:
	s_or_b32 exec_lo, exec_lo, s0
	s_and_saveexec_b32 s0, vcc_lo
	s_cbranch_execnz .LBB26_188
.LBB26_115:
	s_or_b32 exec_lo, exec_lo, s0
	s_and_saveexec_b32 s0, vcc_lo
	s_cbranch_execnz .LBB26_189
.LBB26_116:
	s_or_b32 exec_lo, exec_lo, s0
	s_and_saveexec_b32 s0, vcc_lo
	s_cbranch_execnz .LBB26_190
.LBB26_117:
	s_or_b32 exec_lo, exec_lo, s0
	s_and_saveexec_b32 s0, vcc_lo
	s_cbranch_execnz .LBB26_191
.LBB26_118:
	s_or_b32 exec_lo, exec_lo, s0
	s_and_saveexec_b32 s0, vcc_lo
	s_cbranch_execnz .LBB26_192
.LBB26_119:
	s_or_b32 exec_lo, exec_lo, s0
	s_and_saveexec_b32 s0, vcc_lo
	s_cbranch_execnz .LBB26_193
.LBB26_120:
	s_or_b32 exec_lo, exec_lo, s0
	s_and_saveexec_b32 s0, vcc_lo
	s_cbranch_execnz .LBB26_194
.LBB26_121:
	s_or_b32 exec_lo, exec_lo, s0
	s_and_saveexec_b32 s0, vcc_lo
	s_cbranch_execnz .LBB26_195
.LBB26_122:
	s_or_b32 exec_lo, exec_lo, s0
	s_and_saveexec_b32 s0, vcc_lo
	s_cbranch_execnz .LBB26_196
.LBB26_123:
	s_or_b32 exec_lo, exec_lo, s0
	s_and_saveexec_b32 s0, vcc_lo
	s_cbranch_execnz .LBB26_197
.LBB26_124:
	s_or_b32 exec_lo, exec_lo, s0
	s_and_saveexec_b32 s0, vcc_lo
	s_cbranch_execnz .LBB26_198
.LBB26_125:
	s_or_b32 exec_lo, exec_lo, s0
	s_and_saveexec_b32 s0, vcc_lo
	s_cbranch_execnz .LBB26_199
.LBB26_126:
	s_or_b32 exec_lo, exec_lo, s0
	s_and_saveexec_b32 s0, vcc_lo
	s_cbranch_execnz .LBB26_200
.LBB26_127:
	s_or_b32 exec_lo, exec_lo, s0
	s_and_saveexec_b32 s0, vcc_lo
	s_cbranch_execnz .LBB26_201
.LBB26_128:
	s_or_b32 exec_lo, exec_lo, s0
	s_and_saveexec_b32 s0, vcc_lo
	s_cbranch_execnz .LBB26_202
.LBB26_129:
	s_or_b32 exec_lo, exec_lo, s0
	s_and_saveexec_b32 s0, vcc_lo
	s_cbranch_execnz .LBB26_203
.LBB26_130:
	s_or_b32 exec_lo, exec_lo, s0
	s_and_saveexec_b32 s0, vcc_lo
	s_cbranch_execnz .LBB26_204
.LBB26_131:
	s_or_b32 exec_lo, exec_lo, s0
	s_and_saveexec_b32 s0, vcc_lo
	s_cbranch_execnz .LBB26_205
.LBB26_132:
	s_or_b32 exec_lo, exec_lo, s0
	s_and_saveexec_b32 s0, vcc_lo
	s_cbranch_execnz .LBB26_206
.LBB26_133:
	s_or_b32 exec_lo, exec_lo, s0
	s_and_saveexec_b32 s0, vcc_lo
	s_cbranch_execnz .LBB26_207
.LBB26_134:
	s_or_b32 exec_lo, exec_lo, s0
	s_and_saveexec_b32 s0, vcc_lo
	s_cbranch_execnz .LBB26_208
.LBB26_135:
	s_or_b32 exec_lo, exec_lo, s0
	s_and_saveexec_b32 s0, vcc_lo
	s_cbranch_execnz .LBB26_209
.LBB26_136:
	s_or_b32 exec_lo, exec_lo, s0
	s_and_saveexec_b32 s0, vcc_lo
	s_cbranch_execnz .LBB26_210
.LBB26_137:
	s_or_b32 exec_lo, exec_lo, s0
	s_and_saveexec_b32 s0, vcc_lo
	s_cbranch_execnz .LBB26_211
.LBB26_138:
	s_or_b32 exec_lo, exec_lo, s0
	s_and_saveexec_b32 s0, vcc_lo
	s_cbranch_execnz .LBB26_212
.LBB26_139:
	s_or_b32 exec_lo, exec_lo, s0
	s_and_saveexec_b32 s0, vcc_lo
	s_cbranch_execz .LBB26_141
.LBB26_140:
	ds_read_b32 v34, v32 offset:992
	s_waitcnt lgkmcnt(0)
	v_add_f32_e32 v31, v31, v34
.LBB26_141:
	s_or_b32 exec_lo, exec_lo, s0
.LBB26_142:
	s_or_b32 exec_lo, exec_lo, s1
	v_and_b32_e32 v34, 0x3e3, v81
	s_mov_b32 s1, exec_lo
	s_barrier
	buffer_gl0_inv
	v_cmpx_eq_u32_e32 32, v34
	s_cbranch_execz .LBB26_144
; %bb.143:
	ds_write2_b32 v33, v0, v1 offset1:8
	ds_write2_b32 v33, v2, v3 offset0:16 offset1:24
	ds_write2_b32 v33, v4, v5 offset0:32 offset1:40
	;; [unrolled: 1-line block ×15, first 2 shown]
.LBB26_144:
	s_or_b32 exec_lo, exec_lo, s1
	s_mov_b32 s1, exec_lo
	s_waitcnt lgkmcnt(0)
	s_barrier
	buffer_gl0_inv
	v_cmpx_gt_u32_e32 32, v81
	s_cbranch_execz .LBB26_179
; %bb.145:
	s_and_saveexec_b32 s0, vcc_lo
	s_cbranch_execnz .LBB26_213
; %bb.146:
	s_or_b32 exec_lo, exec_lo, s0
	s_and_saveexec_b32 s0, vcc_lo
	s_cbranch_execnz .LBB26_214
.LBB26_147:
	s_or_b32 exec_lo, exec_lo, s0
	s_and_saveexec_b32 s0, vcc_lo
	s_cbranch_execnz .LBB26_215
.LBB26_148:
	s_or_b32 exec_lo, exec_lo, s0
	s_and_saveexec_b32 s0, vcc_lo
	s_cbranch_execnz .LBB26_216
.LBB26_149:
	s_or_b32 exec_lo, exec_lo, s0
	s_and_saveexec_b32 s0, vcc_lo
	s_cbranch_execnz .LBB26_217
.LBB26_150:
	s_or_b32 exec_lo, exec_lo, s0
	s_and_saveexec_b32 s0, vcc_lo
	s_cbranch_execnz .LBB26_218
.LBB26_151:
	s_or_b32 exec_lo, exec_lo, s0
	s_and_saveexec_b32 s0, vcc_lo
	s_cbranch_execnz .LBB26_219
.LBB26_152:
	s_or_b32 exec_lo, exec_lo, s0
	s_and_saveexec_b32 s0, vcc_lo
	s_cbranch_execnz .LBB26_220
.LBB26_153:
	s_or_b32 exec_lo, exec_lo, s0
	s_and_saveexec_b32 s0, vcc_lo
	s_cbranch_execnz .LBB26_221
.LBB26_154:
	s_or_b32 exec_lo, exec_lo, s0
	s_and_saveexec_b32 s0, vcc_lo
	s_cbranch_execnz .LBB26_222
.LBB26_155:
	s_or_b32 exec_lo, exec_lo, s0
	s_and_saveexec_b32 s0, vcc_lo
	s_cbranch_execnz .LBB26_223
.LBB26_156:
	s_or_b32 exec_lo, exec_lo, s0
	s_and_saveexec_b32 s0, vcc_lo
	s_cbranch_execnz .LBB26_224
.LBB26_157:
	s_or_b32 exec_lo, exec_lo, s0
	s_and_saveexec_b32 s0, vcc_lo
	s_cbranch_execnz .LBB26_225
.LBB26_158:
	s_or_b32 exec_lo, exec_lo, s0
	s_and_saveexec_b32 s0, vcc_lo
	s_cbranch_execnz .LBB26_226
.LBB26_159:
	s_or_b32 exec_lo, exec_lo, s0
	s_and_saveexec_b32 s0, vcc_lo
	s_cbranch_execnz .LBB26_227
.LBB26_160:
	s_or_b32 exec_lo, exec_lo, s0
	s_and_saveexec_b32 s0, vcc_lo
	s_cbranch_execnz .LBB26_228
.LBB26_161:
	s_or_b32 exec_lo, exec_lo, s0
	s_and_saveexec_b32 s0, vcc_lo
	s_cbranch_execnz .LBB26_229
.LBB26_162:
	s_or_b32 exec_lo, exec_lo, s0
	s_and_saveexec_b32 s0, vcc_lo
	s_cbranch_execnz .LBB26_230
.LBB26_163:
	s_or_b32 exec_lo, exec_lo, s0
	s_and_saveexec_b32 s0, vcc_lo
	s_cbranch_execnz .LBB26_231
.LBB26_164:
	s_or_b32 exec_lo, exec_lo, s0
	s_and_saveexec_b32 s0, vcc_lo
	s_cbranch_execnz .LBB26_232
.LBB26_165:
	s_or_b32 exec_lo, exec_lo, s0
	s_and_saveexec_b32 s0, vcc_lo
	s_cbranch_execnz .LBB26_233
.LBB26_166:
	s_or_b32 exec_lo, exec_lo, s0
	s_and_saveexec_b32 s0, vcc_lo
	s_cbranch_execnz .LBB26_234
.LBB26_167:
	s_or_b32 exec_lo, exec_lo, s0
	s_and_saveexec_b32 s0, vcc_lo
	s_cbranch_execnz .LBB26_235
.LBB26_168:
	s_or_b32 exec_lo, exec_lo, s0
	s_and_saveexec_b32 s0, vcc_lo
	s_cbranch_execnz .LBB26_236
.LBB26_169:
	s_or_b32 exec_lo, exec_lo, s0
	s_and_saveexec_b32 s0, vcc_lo
	s_cbranch_execnz .LBB26_237
.LBB26_170:
	s_or_b32 exec_lo, exec_lo, s0
	s_and_saveexec_b32 s0, vcc_lo
	s_cbranch_execnz .LBB26_238
.LBB26_171:
	s_or_b32 exec_lo, exec_lo, s0
	s_and_saveexec_b32 s0, vcc_lo
	s_cbranch_execnz .LBB26_239
.LBB26_172:
	s_or_b32 exec_lo, exec_lo, s0
	s_and_saveexec_b32 s0, vcc_lo
	s_cbranch_execnz .LBB26_240
.LBB26_173:
	s_or_b32 exec_lo, exec_lo, s0
	s_and_saveexec_b32 s0, vcc_lo
	s_cbranch_execnz .LBB26_241
.LBB26_174:
	s_or_b32 exec_lo, exec_lo, s0
	s_and_saveexec_b32 s0, vcc_lo
	s_cbranch_execnz .LBB26_242
.LBB26_175:
	s_or_b32 exec_lo, exec_lo, s0
	s_and_saveexec_b32 s0, vcc_lo
	s_cbranch_execnz .LBB26_243
.LBB26_176:
	s_or_b32 exec_lo, exec_lo, s0
	s_and_saveexec_b32 s0, vcc_lo
	s_cbranch_execz .LBB26_178
.LBB26_177:
	ds_read_b32 v32, v32 offset:992
	s_waitcnt lgkmcnt(0)
	v_add_f32_e32 v31, v31, v32
.LBB26_178:
	s_or_b32 exec_lo, exec_lo, s0
.LBB26_179:
	s_or_b32 exec_lo, exec_lo, s1
	s_barrier
	buffer_gl0_inv
	s_mov_b32 s0, exec_lo
	v_cmpx_eq_u32_e32 0, v34
	s_cbranch_execz .LBB26_181
; %bb.180:
	s_mul_i32 s0, s10, s11
	s_mul_i32 s2, s11, s20
	;; [unrolled: 1-line block ×3, first 2 shown]
	s_lshl_b32 s0, s0, 8
	s_ashr_i32 s1, s0, 31
	s_lshl_b64 s[0:1], s[0:1], 2
	s_add_u32 s4, s6, s0
	s_addc_u32 s5, s7, s1
	s_ashr_i32 s3, s2, 31
	s_lshl_b64 s[0:1], s[2:3], 2
	s_add_u32 s2, s4, s0
	s_addc_u32 s3, s5, s1
	s_lshl_b32 s0, s8, 8
	s_ashr_i32 s1, s0, 31
	s_lshl_b64 s[0:1], s[0:1], 2
	s_add_u32 s0, s2, s0
	s_addc_u32 s1, s3, s1
	global_store_dword v81, v0, s[0:1]
	global_store_dword v81, v1, s[0:1] offset:32
	global_store_dword v81, v2, s[0:1] offset:64
	;; [unrolled: 1-line block ×31, first 2 shown]
.LBB26_181:
	s_endpgm
.LBB26_182:
	ds_read_b32 v34, v32
	s_waitcnt lgkmcnt(0)
	v_add_f32_e32 v0, v0, v34
	s_or_b32 exec_lo, exec_lo, s0
	s_and_saveexec_b32 s0, vcc_lo
	s_cbranch_execz .LBB26_110
.LBB26_183:
	ds_read_b32 v34, v32 offset:32
	s_waitcnt lgkmcnt(0)
	v_add_f32_e32 v1, v1, v34
	s_or_b32 exec_lo, exec_lo, s0
	s_and_saveexec_b32 s0, vcc_lo
	s_cbranch_execz .LBB26_111
.LBB26_184:
	ds_read_b32 v34, v32 offset:64
	s_waitcnt lgkmcnt(0)
	v_add_f32_e32 v2, v2, v34
	s_or_b32 exec_lo, exec_lo, s0
	s_and_saveexec_b32 s0, vcc_lo
	s_cbranch_execz .LBB26_112
.LBB26_185:
	ds_read_b32 v34, v32 offset:96
	s_waitcnt lgkmcnt(0)
	v_add_f32_e32 v3, v3, v34
	s_or_b32 exec_lo, exec_lo, s0
	s_and_saveexec_b32 s0, vcc_lo
	s_cbranch_execz .LBB26_113
.LBB26_186:
	ds_read_b32 v34, v32 offset:128
	s_waitcnt lgkmcnt(0)
	v_add_f32_e32 v4, v4, v34
	s_or_b32 exec_lo, exec_lo, s0
	s_and_saveexec_b32 s0, vcc_lo
	s_cbranch_execz .LBB26_114
.LBB26_187:
	ds_read_b32 v34, v32 offset:160
	s_waitcnt lgkmcnt(0)
	v_add_f32_e32 v5, v5, v34
	s_or_b32 exec_lo, exec_lo, s0
	s_and_saveexec_b32 s0, vcc_lo
	s_cbranch_execz .LBB26_115
.LBB26_188:
	ds_read_b32 v34, v32 offset:192
	s_waitcnt lgkmcnt(0)
	v_add_f32_e32 v6, v6, v34
	s_or_b32 exec_lo, exec_lo, s0
	s_and_saveexec_b32 s0, vcc_lo
	s_cbranch_execz .LBB26_116
.LBB26_189:
	ds_read_b32 v34, v32 offset:224
	s_waitcnt lgkmcnt(0)
	v_add_f32_e32 v7, v7, v34
	s_or_b32 exec_lo, exec_lo, s0
	s_and_saveexec_b32 s0, vcc_lo
	s_cbranch_execz .LBB26_117
.LBB26_190:
	ds_read_b32 v34, v32 offset:256
	s_waitcnt lgkmcnt(0)
	v_add_f32_e32 v8, v8, v34
	s_or_b32 exec_lo, exec_lo, s0
	s_and_saveexec_b32 s0, vcc_lo
	s_cbranch_execz .LBB26_118
.LBB26_191:
	ds_read_b32 v34, v32 offset:288
	s_waitcnt lgkmcnt(0)
	v_add_f32_e32 v9, v9, v34
	s_or_b32 exec_lo, exec_lo, s0
	s_and_saveexec_b32 s0, vcc_lo
	s_cbranch_execz .LBB26_119
.LBB26_192:
	ds_read_b32 v34, v32 offset:320
	s_waitcnt lgkmcnt(0)
	v_add_f32_e32 v10, v10, v34
	s_or_b32 exec_lo, exec_lo, s0
	s_and_saveexec_b32 s0, vcc_lo
	s_cbranch_execz .LBB26_120
.LBB26_193:
	ds_read_b32 v34, v32 offset:352
	s_waitcnt lgkmcnt(0)
	v_add_f32_e32 v11, v11, v34
	s_or_b32 exec_lo, exec_lo, s0
	s_and_saveexec_b32 s0, vcc_lo
	s_cbranch_execz .LBB26_121
.LBB26_194:
	ds_read_b32 v34, v32 offset:384
	s_waitcnt lgkmcnt(0)
	v_add_f32_e32 v12, v12, v34
	s_or_b32 exec_lo, exec_lo, s0
	s_and_saveexec_b32 s0, vcc_lo
	s_cbranch_execz .LBB26_122
.LBB26_195:
	ds_read_b32 v34, v32 offset:416
	s_waitcnt lgkmcnt(0)
	v_add_f32_e32 v13, v13, v34
	s_or_b32 exec_lo, exec_lo, s0
	s_and_saveexec_b32 s0, vcc_lo
	s_cbranch_execz .LBB26_123
.LBB26_196:
	ds_read_b32 v34, v32 offset:448
	s_waitcnt lgkmcnt(0)
	v_add_f32_e32 v14, v14, v34
	s_or_b32 exec_lo, exec_lo, s0
	s_and_saveexec_b32 s0, vcc_lo
	s_cbranch_execz .LBB26_124
.LBB26_197:
	ds_read_b32 v34, v32 offset:480
	s_waitcnt lgkmcnt(0)
	v_add_f32_e32 v15, v15, v34
	s_or_b32 exec_lo, exec_lo, s0
	s_and_saveexec_b32 s0, vcc_lo
	s_cbranch_execz .LBB26_125
.LBB26_198:
	ds_read_b32 v34, v32 offset:512
	s_waitcnt lgkmcnt(0)
	v_add_f32_e32 v16, v16, v34
	s_or_b32 exec_lo, exec_lo, s0
	s_and_saveexec_b32 s0, vcc_lo
	s_cbranch_execz .LBB26_126
.LBB26_199:
	ds_read_b32 v34, v32 offset:544
	s_waitcnt lgkmcnt(0)
	v_add_f32_e32 v17, v17, v34
	s_or_b32 exec_lo, exec_lo, s0
	s_and_saveexec_b32 s0, vcc_lo
	s_cbranch_execz .LBB26_127
.LBB26_200:
	ds_read_b32 v34, v32 offset:576
	s_waitcnt lgkmcnt(0)
	v_add_f32_e32 v18, v18, v34
	s_or_b32 exec_lo, exec_lo, s0
	s_and_saveexec_b32 s0, vcc_lo
	s_cbranch_execz .LBB26_128
.LBB26_201:
	ds_read_b32 v34, v32 offset:608
	s_waitcnt lgkmcnt(0)
	v_add_f32_e32 v19, v19, v34
	s_or_b32 exec_lo, exec_lo, s0
	s_and_saveexec_b32 s0, vcc_lo
	s_cbranch_execz .LBB26_129
.LBB26_202:
	ds_read_b32 v34, v32 offset:640
	s_waitcnt lgkmcnt(0)
	v_add_f32_e32 v20, v20, v34
	s_or_b32 exec_lo, exec_lo, s0
	s_and_saveexec_b32 s0, vcc_lo
	s_cbranch_execz .LBB26_130
.LBB26_203:
	ds_read_b32 v34, v32 offset:672
	s_waitcnt lgkmcnt(0)
	v_add_f32_e32 v21, v21, v34
	s_or_b32 exec_lo, exec_lo, s0
	s_and_saveexec_b32 s0, vcc_lo
	s_cbranch_execz .LBB26_131
.LBB26_204:
	ds_read_b32 v34, v32 offset:704
	s_waitcnt lgkmcnt(0)
	v_add_f32_e32 v22, v22, v34
	s_or_b32 exec_lo, exec_lo, s0
	s_and_saveexec_b32 s0, vcc_lo
	s_cbranch_execz .LBB26_132
.LBB26_205:
	ds_read_b32 v34, v32 offset:736
	s_waitcnt lgkmcnt(0)
	v_add_f32_e32 v23, v23, v34
	s_or_b32 exec_lo, exec_lo, s0
	s_and_saveexec_b32 s0, vcc_lo
	s_cbranch_execz .LBB26_133
.LBB26_206:
	ds_read_b32 v34, v32 offset:768
	s_waitcnt lgkmcnt(0)
	v_add_f32_e32 v24, v24, v34
	s_or_b32 exec_lo, exec_lo, s0
	s_and_saveexec_b32 s0, vcc_lo
	s_cbranch_execz .LBB26_134
.LBB26_207:
	ds_read_b32 v34, v32 offset:800
	s_waitcnt lgkmcnt(0)
	v_add_f32_e32 v25, v25, v34
	s_or_b32 exec_lo, exec_lo, s0
	s_and_saveexec_b32 s0, vcc_lo
	s_cbranch_execz .LBB26_135
.LBB26_208:
	ds_read_b32 v34, v32 offset:832
	s_waitcnt lgkmcnt(0)
	v_add_f32_e32 v26, v26, v34
	s_or_b32 exec_lo, exec_lo, s0
	s_and_saveexec_b32 s0, vcc_lo
	s_cbranch_execz .LBB26_136
.LBB26_209:
	ds_read_b32 v34, v32 offset:864
	s_waitcnt lgkmcnt(0)
	v_add_f32_e32 v27, v27, v34
	s_or_b32 exec_lo, exec_lo, s0
	s_and_saveexec_b32 s0, vcc_lo
	s_cbranch_execz .LBB26_137
.LBB26_210:
	ds_read_b32 v34, v32 offset:896
	s_waitcnt lgkmcnt(0)
	v_add_f32_e32 v28, v28, v34
	s_or_b32 exec_lo, exec_lo, s0
	s_and_saveexec_b32 s0, vcc_lo
	s_cbranch_execz .LBB26_138
.LBB26_211:
	ds_read_b32 v34, v32 offset:928
	s_waitcnt lgkmcnt(0)
	v_add_f32_e32 v29, v29, v34
	s_or_b32 exec_lo, exec_lo, s0
	s_and_saveexec_b32 s0, vcc_lo
	s_cbranch_execz .LBB26_139
.LBB26_212:
	ds_read_b32 v34, v32 offset:960
	s_waitcnt lgkmcnt(0)
	v_add_f32_e32 v30, v30, v34
	s_or_b32 exec_lo, exec_lo, s0
	s_and_saveexec_b32 s0, vcc_lo
	s_cbranch_execnz .LBB26_140
	s_branch .LBB26_141
.LBB26_213:
	ds_read_b32 v33, v32
	s_waitcnt lgkmcnt(0)
	v_add_f32_e32 v0, v0, v33
	s_or_b32 exec_lo, exec_lo, s0
	s_and_saveexec_b32 s0, vcc_lo
	s_cbranch_execz .LBB26_147
.LBB26_214:
	ds_read_b32 v33, v32 offset:32
	s_waitcnt lgkmcnt(0)
	v_add_f32_e32 v1, v1, v33
	s_or_b32 exec_lo, exec_lo, s0
	s_and_saveexec_b32 s0, vcc_lo
	s_cbranch_execz .LBB26_148
.LBB26_215:
	ds_read_b32 v33, v32 offset:64
	s_waitcnt lgkmcnt(0)
	v_add_f32_e32 v2, v2, v33
	s_or_b32 exec_lo, exec_lo, s0
	s_and_saveexec_b32 s0, vcc_lo
	s_cbranch_execz .LBB26_149
.LBB26_216:
	ds_read_b32 v33, v32 offset:96
	s_waitcnt lgkmcnt(0)
	v_add_f32_e32 v3, v3, v33
	s_or_b32 exec_lo, exec_lo, s0
	s_and_saveexec_b32 s0, vcc_lo
	s_cbranch_execz .LBB26_150
.LBB26_217:
	ds_read_b32 v33, v32 offset:128
	s_waitcnt lgkmcnt(0)
	v_add_f32_e32 v4, v4, v33
	s_or_b32 exec_lo, exec_lo, s0
	s_and_saveexec_b32 s0, vcc_lo
	s_cbranch_execz .LBB26_151
.LBB26_218:
	ds_read_b32 v33, v32 offset:160
	s_waitcnt lgkmcnt(0)
	v_add_f32_e32 v5, v5, v33
	s_or_b32 exec_lo, exec_lo, s0
	s_and_saveexec_b32 s0, vcc_lo
	s_cbranch_execz .LBB26_152
.LBB26_219:
	ds_read_b32 v33, v32 offset:192
	s_waitcnt lgkmcnt(0)
	v_add_f32_e32 v6, v6, v33
	s_or_b32 exec_lo, exec_lo, s0
	s_and_saveexec_b32 s0, vcc_lo
	s_cbranch_execz .LBB26_153
.LBB26_220:
	ds_read_b32 v33, v32 offset:224
	s_waitcnt lgkmcnt(0)
	v_add_f32_e32 v7, v7, v33
	s_or_b32 exec_lo, exec_lo, s0
	s_and_saveexec_b32 s0, vcc_lo
	s_cbranch_execz .LBB26_154
.LBB26_221:
	ds_read_b32 v33, v32 offset:256
	s_waitcnt lgkmcnt(0)
	v_add_f32_e32 v8, v8, v33
	s_or_b32 exec_lo, exec_lo, s0
	s_and_saveexec_b32 s0, vcc_lo
	s_cbranch_execz .LBB26_155
.LBB26_222:
	ds_read_b32 v33, v32 offset:288
	s_waitcnt lgkmcnt(0)
	v_add_f32_e32 v9, v9, v33
	s_or_b32 exec_lo, exec_lo, s0
	s_and_saveexec_b32 s0, vcc_lo
	s_cbranch_execz .LBB26_156
.LBB26_223:
	ds_read_b32 v33, v32 offset:320
	s_waitcnt lgkmcnt(0)
	v_add_f32_e32 v10, v10, v33
	s_or_b32 exec_lo, exec_lo, s0
	s_and_saveexec_b32 s0, vcc_lo
	s_cbranch_execz .LBB26_157
.LBB26_224:
	ds_read_b32 v33, v32 offset:352
	s_waitcnt lgkmcnt(0)
	v_add_f32_e32 v11, v11, v33
	s_or_b32 exec_lo, exec_lo, s0
	s_and_saveexec_b32 s0, vcc_lo
	s_cbranch_execz .LBB26_158
.LBB26_225:
	ds_read_b32 v33, v32 offset:384
	s_waitcnt lgkmcnt(0)
	v_add_f32_e32 v12, v12, v33
	s_or_b32 exec_lo, exec_lo, s0
	s_and_saveexec_b32 s0, vcc_lo
	s_cbranch_execz .LBB26_159
.LBB26_226:
	ds_read_b32 v33, v32 offset:416
	s_waitcnt lgkmcnt(0)
	v_add_f32_e32 v13, v13, v33
	s_or_b32 exec_lo, exec_lo, s0
	s_and_saveexec_b32 s0, vcc_lo
	s_cbranch_execz .LBB26_160
.LBB26_227:
	ds_read_b32 v33, v32 offset:448
	s_waitcnt lgkmcnt(0)
	v_add_f32_e32 v14, v14, v33
	s_or_b32 exec_lo, exec_lo, s0
	s_and_saveexec_b32 s0, vcc_lo
	s_cbranch_execz .LBB26_161
.LBB26_228:
	ds_read_b32 v33, v32 offset:480
	s_waitcnt lgkmcnt(0)
	v_add_f32_e32 v15, v15, v33
	s_or_b32 exec_lo, exec_lo, s0
	s_and_saveexec_b32 s0, vcc_lo
	s_cbranch_execz .LBB26_162
.LBB26_229:
	ds_read_b32 v33, v32 offset:512
	s_waitcnt lgkmcnt(0)
	v_add_f32_e32 v16, v16, v33
	s_or_b32 exec_lo, exec_lo, s0
	s_and_saveexec_b32 s0, vcc_lo
	s_cbranch_execz .LBB26_163
.LBB26_230:
	ds_read_b32 v33, v32 offset:544
	s_waitcnt lgkmcnt(0)
	v_add_f32_e32 v17, v17, v33
	s_or_b32 exec_lo, exec_lo, s0
	s_and_saveexec_b32 s0, vcc_lo
	s_cbranch_execz .LBB26_164
.LBB26_231:
	ds_read_b32 v33, v32 offset:576
	s_waitcnt lgkmcnt(0)
	v_add_f32_e32 v18, v18, v33
	s_or_b32 exec_lo, exec_lo, s0
	s_and_saveexec_b32 s0, vcc_lo
	s_cbranch_execz .LBB26_165
.LBB26_232:
	ds_read_b32 v33, v32 offset:608
	s_waitcnt lgkmcnt(0)
	v_add_f32_e32 v19, v19, v33
	s_or_b32 exec_lo, exec_lo, s0
	s_and_saveexec_b32 s0, vcc_lo
	s_cbranch_execz .LBB26_166
.LBB26_233:
	ds_read_b32 v33, v32 offset:640
	s_waitcnt lgkmcnt(0)
	v_add_f32_e32 v20, v20, v33
	s_or_b32 exec_lo, exec_lo, s0
	s_and_saveexec_b32 s0, vcc_lo
	s_cbranch_execz .LBB26_167
.LBB26_234:
	ds_read_b32 v33, v32 offset:672
	s_waitcnt lgkmcnt(0)
	v_add_f32_e32 v21, v21, v33
	s_or_b32 exec_lo, exec_lo, s0
	s_and_saveexec_b32 s0, vcc_lo
	s_cbranch_execz .LBB26_168
.LBB26_235:
	ds_read_b32 v33, v32 offset:704
	s_waitcnt lgkmcnt(0)
	v_add_f32_e32 v22, v22, v33
	s_or_b32 exec_lo, exec_lo, s0
	s_and_saveexec_b32 s0, vcc_lo
	s_cbranch_execz .LBB26_169
.LBB26_236:
	ds_read_b32 v33, v32 offset:736
	s_waitcnt lgkmcnt(0)
	v_add_f32_e32 v23, v23, v33
	s_or_b32 exec_lo, exec_lo, s0
	s_and_saveexec_b32 s0, vcc_lo
	s_cbranch_execz .LBB26_170
.LBB26_237:
	ds_read_b32 v33, v32 offset:768
	s_waitcnt lgkmcnt(0)
	v_add_f32_e32 v24, v24, v33
	s_or_b32 exec_lo, exec_lo, s0
	s_and_saveexec_b32 s0, vcc_lo
	s_cbranch_execz .LBB26_171
.LBB26_238:
	ds_read_b32 v33, v32 offset:800
	s_waitcnt lgkmcnt(0)
	v_add_f32_e32 v25, v25, v33
	s_or_b32 exec_lo, exec_lo, s0
	s_and_saveexec_b32 s0, vcc_lo
	s_cbranch_execz .LBB26_172
.LBB26_239:
	ds_read_b32 v33, v32 offset:832
	s_waitcnt lgkmcnt(0)
	v_add_f32_e32 v26, v26, v33
	s_or_b32 exec_lo, exec_lo, s0
	s_and_saveexec_b32 s0, vcc_lo
	s_cbranch_execz .LBB26_173
.LBB26_240:
	ds_read_b32 v33, v32 offset:864
	s_waitcnt lgkmcnt(0)
	v_add_f32_e32 v27, v27, v33
	s_or_b32 exec_lo, exec_lo, s0
	s_and_saveexec_b32 s0, vcc_lo
	s_cbranch_execz .LBB26_174
.LBB26_241:
	ds_read_b32 v33, v32 offset:896
	s_waitcnt lgkmcnt(0)
	v_add_f32_e32 v28, v28, v33
	s_or_b32 exec_lo, exec_lo, s0
	s_and_saveexec_b32 s0, vcc_lo
	s_cbranch_execz .LBB26_175
.LBB26_242:
	ds_read_b32 v33, v32 offset:928
	s_waitcnt lgkmcnt(0)
	v_add_f32_e32 v29, v29, v33
	s_or_b32 exec_lo, exec_lo, s0
	s_and_saveexec_b32 s0, vcc_lo
	s_cbranch_execz .LBB26_176
.LBB26_243:
	ds_read_b32 v33, v32 offset:960
	s_waitcnt lgkmcnt(0)
	v_add_f32_e32 v30, v30, v33
	s_or_b32 exec_lo, exec_lo, s0
	s_and_saveexec_b32 s0, vcc_lo
	s_cbranch_execnz .LBB26_177
	s_branch .LBB26_178
	.section	.rodata,"a",@progbits
	.p2align	6, 0x0
	.amdhsa_kernel _ZN4vllm25paged_attention_v1_kernelIffLi256ELi16ELi128ELNS_18Fp8KVCacheDataTypeE0ELb1EEEvPT_PKS2_PKT0_S8_ifPKiSA_iPKfiiiSC_SC_iiiii
		.amdhsa_group_segment_fixed_size 1056
		.amdhsa_private_segment_fixed_size 224
		.amdhsa_kernarg_size 384
		.amdhsa_user_sgpr_count 6
		.amdhsa_user_sgpr_private_segment_buffer 1
		.amdhsa_user_sgpr_dispatch_ptr 0
		.amdhsa_user_sgpr_queue_ptr 0
		.amdhsa_user_sgpr_kernarg_segment_ptr 1
		.amdhsa_user_sgpr_dispatch_id 0
		.amdhsa_user_sgpr_flat_scratch_init 0
		.amdhsa_user_sgpr_private_segment_size 0
		.amdhsa_wavefront_size32 1
		.amdhsa_uses_dynamic_stack 0
		.amdhsa_system_sgpr_private_segment_wavefront_offset 1
		.amdhsa_system_sgpr_workgroup_id_x 1
		.amdhsa_system_sgpr_workgroup_id_y 1
		.amdhsa_system_sgpr_workgroup_id_z 1
		.amdhsa_system_sgpr_workgroup_info 0
		.amdhsa_system_vgpr_workitem_id 0
		.amdhsa_next_free_vgpr 128
		.amdhsa_next_free_sgpr 44
		.amdhsa_reserve_vcc 1
		.amdhsa_reserve_flat_scratch 0
		.amdhsa_float_round_mode_32 0
		.amdhsa_float_round_mode_16_64 0
		.amdhsa_float_denorm_mode_32 3
		.amdhsa_float_denorm_mode_16_64 3
		.amdhsa_dx10_clamp 1
		.amdhsa_ieee_mode 1
		.amdhsa_fp16_overflow 0
		.amdhsa_workgroup_processor_mode 1
		.amdhsa_memory_ordered 1
		.amdhsa_forward_progress 1
		.amdhsa_shared_vgpr_count 0
		.amdhsa_exception_fp_ieee_invalid_op 0
		.amdhsa_exception_fp_denorm_src 0
		.amdhsa_exception_fp_ieee_div_zero 0
		.amdhsa_exception_fp_ieee_overflow 0
		.amdhsa_exception_fp_ieee_underflow 0
		.amdhsa_exception_fp_ieee_inexact 0
		.amdhsa_exception_int_div_zero 0
	.end_amdhsa_kernel
	.section	.text._ZN4vllm25paged_attention_v1_kernelIffLi256ELi16ELi128ELNS_18Fp8KVCacheDataTypeE0ELb1EEEvPT_PKS2_PKT0_S8_ifPKiSA_iPKfiiiSC_SC_iiiii,"axG",@progbits,_ZN4vllm25paged_attention_v1_kernelIffLi256ELi16ELi128ELNS_18Fp8KVCacheDataTypeE0ELb1EEEvPT_PKS2_PKT0_S8_ifPKiSA_iPKfiiiSC_SC_iiiii,comdat
.Lfunc_end26:
	.size	_ZN4vllm25paged_attention_v1_kernelIffLi256ELi16ELi128ELNS_18Fp8KVCacheDataTypeE0ELb1EEEvPT_PKS2_PKT0_S8_ifPKiSA_iPKfiiiSC_SC_iiiii, .Lfunc_end26-_ZN4vllm25paged_attention_v1_kernelIffLi256ELi16ELi128ELNS_18Fp8KVCacheDataTypeE0ELb1EEEvPT_PKS2_PKT0_S8_ifPKiSA_iPKfiiiSC_SC_iiiii
                                        ; -- End function
	.set _ZN4vllm25paged_attention_v1_kernelIffLi256ELi16ELi128ELNS_18Fp8KVCacheDataTypeE0ELb1EEEvPT_PKS2_PKT0_S8_ifPKiSA_iPKfiiiSC_SC_iiiii.num_vgpr, 128
	.set _ZN4vllm25paged_attention_v1_kernelIffLi256ELi16ELi128ELNS_18Fp8KVCacheDataTypeE0ELb1EEEvPT_PKS2_PKT0_S8_ifPKiSA_iPKfiiiSC_SC_iiiii.num_agpr, 0
	.set _ZN4vllm25paged_attention_v1_kernelIffLi256ELi16ELi128ELNS_18Fp8KVCacheDataTypeE0ELb1EEEvPT_PKS2_PKT0_S8_ifPKiSA_iPKfiiiSC_SC_iiiii.numbered_sgpr, 44
	.set _ZN4vllm25paged_attention_v1_kernelIffLi256ELi16ELi128ELNS_18Fp8KVCacheDataTypeE0ELb1EEEvPT_PKS2_PKT0_S8_ifPKiSA_iPKfiiiSC_SC_iiiii.num_named_barrier, 0
	.set _ZN4vllm25paged_attention_v1_kernelIffLi256ELi16ELi128ELNS_18Fp8KVCacheDataTypeE0ELb1EEEvPT_PKS2_PKT0_S8_ifPKiSA_iPKfiiiSC_SC_iiiii.private_seg_size, 224
	.set _ZN4vllm25paged_attention_v1_kernelIffLi256ELi16ELi128ELNS_18Fp8KVCacheDataTypeE0ELb1EEEvPT_PKS2_PKT0_S8_ifPKiSA_iPKfiiiSC_SC_iiiii.uses_vcc, 1
	.set _ZN4vllm25paged_attention_v1_kernelIffLi256ELi16ELi128ELNS_18Fp8KVCacheDataTypeE0ELb1EEEvPT_PKS2_PKT0_S8_ifPKiSA_iPKfiiiSC_SC_iiiii.uses_flat_scratch, 0
	.set _ZN4vllm25paged_attention_v1_kernelIffLi256ELi16ELi128ELNS_18Fp8KVCacheDataTypeE0ELb1EEEvPT_PKS2_PKT0_S8_ifPKiSA_iPKfiiiSC_SC_iiiii.has_dyn_sized_stack, 0
	.set _ZN4vllm25paged_attention_v1_kernelIffLi256ELi16ELi128ELNS_18Fp8KVCacheDataTypeE0ELb1EEEvPT_PKS2_PKT0_S8_ifPKiSA_iPKfiiiSC_SC_iiiii.has_recursion, 0
	.set _ZN4vllm25paged_attention_v1_kernelIffLi256ELi16ELi128ELNS_18Fp8KVCacheDataTypeE0ELb1EEEvPT_PKS2_PKT0_S8_ifPKiSA_iPKfiiiSC_SC_iiiii.has_indirect_call, 0
	.section	.AMDGPU.csdata,"",@progbits
; Kernel info:
; codeLenInByte = 14888
; TotalNumSgprs: 46
; NumVgprs: 128
; ScratchSize: 224
; MemoryBound: 0
; FloatMode: 240
; IeeeMode: 1
; LDSByteSize: 1056 bytes/workgroup (compile time only)
; SGPRBlocks: 0
; VGPRBlocks: 15
; NumSGPRsForWavesPerEU: 46
; NumVGPRsForWavesPerEU: 128
; Occupancy: 8
; WaveLimiterHint : 1
; COMPUTE_PGM_RSRC2:SCRATCH_EN: 1
; COMPUTE_PGM_RSRC2:USER_SGPR: 6
; COMPUTE_PGM_RSRC2:TRAP_HANDLER: 0
; COMPUTE_PGM_RSRC2:TGID_X_EN: 1
; COMPUTE_PGM_RSRC2:TGID_Y_EN: 1
; COMPUTE_PGM_RSRC2:TGID_Z_EN: 1
; COMPUTE_PGM_RSRC2:TIDIG_COMP_CNT: 0
	.section	.text._ZN4vllm25paged_attention_v1_kernelIffLi32ELi16ELi128ELNS_18Fp8KVCacheDataTypeE0ELb0EEEvPT_PKS2_PKT0_S8_ifPKiSA_iPKfiiiSC_SC_iiiii,"axG",@progbits,_ZN4vllm25paged_attention_v1_kernelIffLi32ELi16ELi128ELNS_18Fp8KVCacheDataTypeE0ELb0EEEvPT_PKS2_PKT0_S8_ifPKiSA_iPKfiiiSC_SC_iiiii,comdat
	.protected	_ZN4vllm25paged_attention_v1_kernelIffLi32ELi16ELi128ELNS_18Fp8KVCacheDataTypeE0ELb0EEEvPT_PKS2_PKT0_S8_ifPKiSA_iPKfiiiSC_SC_iiiii ; -- Begin function _ZN4vllm25paged_attention_v1_kernelIffLi32ELi16ELi128ELNS_18Fp8KVCacheDataTypeE0ELb0EEEvPT_PKS2_PKT0_S8_ifPKiSA_iPKfiiiSC_SC_iiiii
	.globl	_ZN4vllm25paged_attention_v1_kernelIffLi32ELi16ELi128ELNS_18Fp8KVCacheDataTypeE0ELb0EEEvPT_PKS2_PKT0_S8_ifPKiSA_iPKfiiiSC_SC_iiiii
	.p2align	8
	.type	_ZN4vllm25paged_attention_v1_kernelIffLi32ELi16ELi128ELNS_18Fp8KVCacheDataTypeE0ELb0EEEvPT_PKS2_PKT0_S8_ifPKiSA_iPKfiiiSC_SC_iiiii,@function
_ZN4vllm25paged_attention_v1_kernelIffLi32ELi16ELi128ELNS_18Fp8KVCacheDataTypeE0ELb0EEEvPT_PKS2_PKT0_S8_ifPKiSA_iPKfiiiSC_SC_iiiii: ; @_ZN4vllm25paged_attention_v1_kernelIffLi32ELi16ELi128ELNS_18Fp8KVCacheDataTypeE0ELb0EEEvPT_PKS2_PKT0_S8_ifPKiSA_iPKfiiiSC_SC_iiiii
; %bb.0:
	s_clause 0x2
	s_load_dword s9, s[4:5], 0x80
	s_load_dwordx2 s[0:1], s[4:5], 0x30
	s_load_dwordx2 s[24:25], s[4:5], 0x20
	s_mov_b32 s10, s7
	s_ashr_i32 s11, s7, 31
	s_lshl_b64 s[2:3], s[10:11], 2
	s_waitcnt lgkmcnt(0)
	s_add_u32 s0, s0, s2
	s_addc_u32 s1, s1, s3
	s_abs_i32 s2, s24
	s_abs_i32 s11, s9
	v_cvt_f32_u32_e32 v1, s2
	s_sub_i32 s7, 0, s2
	v_rcp_iflag_f32_e32 v1, v1
	v_mul_f32_e32 v1, 0x4f7ffffe, v1
	v_cvt_u32_f32_e32 v1, v1
	v_readfirstlane_b32 s3, v1
	s_mul_i32 s7, s7, s3
	s_mul_hi_u32 s7, s3, s7
	s_add_i32 s3, s3, s7
	s_xor_b32 s7, s9, s24
	s_mul_hi_u32 s3, s11, s3
	s_ashr_i32 s7, s7, 31
	s_mul_i32 s12, s3, s2
	s_mov_b32 s24, 0
	s_sub_i32 s11, s11, s12
	s_add_i32 s12, s3, 1
	s_sub_i32 s13, s11, s2
	s_cmp_ge_u32 s11, s2
	s_cselect_b32 s3, s12, s3
	s_cselect_b32 s11, s13, s11
	s_add_i32 s12, s3, 1
	s_cmp_ge_u32 s11, s2
	s_cselect_b32 s2, s12, s3
	s_abs_i32 s17, s6
	s_xor_b32 s2, s2, s7
	s_sub_i32 s18, s2, s7
	s_load_dwordx2 s[2:3], s[4:5], 0x40
	s_abs_i32 s16, s18
	v_cvt_f32_u32_e32 v1, s16
	s_sub_i32 s11, 0, s16
	v_rcp_iflag_f32_e32 v1, v1
	v_mul_f32_e32 v1, 0x4f7ffffe, v1
	v_cvt_u32_f32_e32 v1, v1
	v_readfirstlane_b32 s7, v1
	s_mul_i32 s11, s11, s7
	s_mul_hi_u32 s11, s7, s11
	s_add_i32 s7, s7, s11
	s_waitcnt lgkmcnt(0)
	s_cmp_eq_u64 s[2:3], 0
	s_mul_hi_u32 s20, s17, s7
	s_cbranch_scc1 .LBB27_2
; %bb.1:
	s_ashr_i32 s7, s6, 31
	s_lshl_b64 s[12:13], s[6:7], 2
	s_add_u32 s2, s2, s12
	s_addc_u32 s3, s3, s13
	s_load_dword s24, s[2:3], 0x0
.LBB27_2:
	s_load_dword s11, s[0:1], 0x0
	s_load_dwordx4 s[12:15], s[4:5], 0x48
	v_and_b32_e32 v1, 1, v0
	v_lshlrev_b32_e32 v2, 3, v0
	v_lshlrev_b32_e32 v19, 2, v0
	s_ashr_i32 s0, s6, 31
	s_ashr_i32 s1, s18, 31
	s_lshl_b32 s6, s6, 5
	s_mov_b32 s2, exec_lo
	v_cmpx_gt_u32_e32 16, v0
	s_cbranch_execz .LBB27_4
; %bb.3:
	s_load_dwordx2 s[18:19], s[4:5], 0x8
	s_waitcnt lgkmcnt(0)
	s_mul_i32 s22, s12, s10
	v_and_b32_e32 v5, 0xff8, v19
	s_ashr_i32 s23, s22, 31
	s_lshl_b64 s[22:23], s[22:23], 2
	v_lshl_add_u32 v5, v1, 6, v5
	s_add_u32 s3, s18, s22
	s_addc_u32 s12, s19, s23
	s_ashr_i32 s7, s6, 31
	s_lshl_b64 s[18:19], s[6:7], 2
	s_add_u32 s18, s3, s18
	s_addc_u32 s19, s12, s19
	global_load_dwordx2 v[3:4], v2, s[18:19]
	s_waitcnt vmcnt(0)
	ds_write_b64 v5, v[3:4]
.LBB27_4:
	s_or_b32 exec_lo, exec_lo, s2
	s_waitcnt lgkmcnt(0)
	s_add_i32 s2, s11, 15
	s_clause 0x1
	s_load_dwordx2 s[18:19], s[4:5], 0x28
	s_load_dword s7, s[4:5], 0x38
	s_ashr_i32 s3, s2, 31
	s_xor_b32 s0, s0, s1
	s_lshr_b32 s3, s3, 28
	s_mul_i32 s1, s20, s16
	s_add_i32 s2, s2, s3
	s_sub_i32 s1, s17, s1
	s_ashr_i32 s12, s2, 4
	s_add_i32 s2, s20, 1
	s_sub_i32 s3, s1, s16
	s_cmp_ge_u32 s1, s16
	v_lshrrev_b32_e32 v23, 5, v0
	s_cselect_b32 s2, s2, s20
	s_cselect_b32 s1, s3, s1
	s_add_i32 s3, s2, 1
	s_cmp_ge_u32 s1, s16
	v_mbcnt_lo_u32_b32 v21, -1, 0
	s_cselect_b32 s1, s3, s2
	s_mov_b32 s2, exec_lo
	s_xor_b32 s1, s1, s0
	s_waitcnt lgkmcnt(0)
	s_mul_i32 s20, s7, s10
	s_sub_i32 s1, s1, s0
	v_cmp_gt_i32_e64 s0, s12, v23
	s_ashr_i32 s21, s20, 31
	s_barrier
	buffer_gl0_inv
                                        ; implicit-def: $vgpr22
                                        ; implicit-def: $vgpr26
	v_cmpx_le_i32_e64 s12, v23
	s_xor_b32 s2, exec_lo, s2
; %bb.5:
	v_mov_b32_e32 v22, 0
	v_mbcnt_lo_u32_b32 v21, -1, 0
	v_mov_b32_e32 v26, 32
                                        ; implicit-def: $vgpr2
                                        ; implicit-def: $vgpr1
; %bb.6:
	s_or_saveexec_b32 s26, s2
	s_clause 0x2
	s_load_dwordx2 s[16:17], s[4:5], 0x0
	s_load_dwordx2 s[22:23], s[4:5], 0x18
	s_load_dword s7, s[4:5], 0x88
	v_mov_b32_e32 v24, 0xff7fffff
	v_lshrrev_b32_e32 v20, 3, v0
	s_mul_i32 s14, s1, s14
	s_xor_b32 exec_lo, exec_lo, s26
	s_cbranch_execz .LBB27_12
; %bb.7:
	s_load_dwordx2 s[2:3], s[4:5], 0x10
	v_xor_b32_e32 v24, 1, v21
	v_bfe_u32 v17, v0, 1, 4
	v_lshlrev_b32_e32 v13, 6, v1
	s_ashr_i32 s15, s14, 31
	v_and_b32_e32 v18, 8, v2
	v_cmp_gt_i32_e64 s1, 32, v24
	v_cmp_eq_u32_e32 vcc_lo, 0, v1
	v_lshlrev_b32_e32 v25, 4, v17
	ds_read_b128 v[1:4], v13
	ds_read_b128 v[5:8], v13 offset:16
	ds_read_b128 v[9:12], v13 offset:32
	;; [unrolled: 1-line block ×3, first 2 shown]
	s_lshl_b64 s[4:5], s[14:15], 2
	v_cndmask_b32_e64 v24, v21, v24, s1
	v_lshlrev_b32_e32 v29, 2, v17
	v_mov_b32_e32 v22, 0
	v_mov_b32_e32 v26, 32
	;; [unrolled: 1-line block ×3, first 2 shown]
	s_mov_b32 s15, s13
	s_waitcnt lgkmcnt(0)
	s_add_u32 s1, s2, s4
	s_addc_u32 s2, s3, s5
	v_add_co_u32 v27, s1, s1, v25
	v_add_co_ci_u32_e64 v28, null, s2, 0, s1
	s_lshl_b64 s[2:3], s[20:21], 2
	v_add_co_u32 v27, s1, v27, v18
	v_lshl_or_b32 v18, v23, 6, v29
	v_lshl_or_b32 v29, v23, 4, v17
	v_and_b32_e32 v17, 0x7c, v20
	s_sub_i32 s4, 1, s11
	s_add_u32 s2, s18, s2
	s_addc_u32 s3, s19, s3
	v_lshlrev_b32_e32 v25, 2, v24
	v_add_co_u32 v17, s2, s2, v17
	v_add_co_ci_u32_e64 v28, null, 0, v28, s1
	v_cmp_neq_f32_e64 s1, s24, 0
	v_add_nc_u32_e32 v30, 0xa0, v18
	v_add_co_ci_u32_e64 v18, null, s3, 0, s2
	v_mov_b32_e32 v24, 0xff7fffff
	s_mov_b32 s5, 0
	s_branch .LBB27_9
.LBB27_8:                               ;   in Loop: Header=BB27_9 Depth=1
	s_or_b32 exec_lo, exec_lo, s3
	v_add_nc_u32_e32 v31, 4, v31
	v_add_co_u32 v17, s3, v17, 16
	v_add_nc_u32_e32 v29, 64, v29
	v_add_nc_u32_e32 v30, 0x100, v30
	v_cmp_le_i32_e64 s2, s12, v31
	v_add_co_ci_u32_e64 v18, null, 0, v18, s3
	s_or_b32 s5, s2, s5
	s_andn2_b32 exec_lo, exec_lo, s5
	s_cbranch_execz .LBB27_11
.LBB27_9:                               ; =>This Inner Loop Header: Depth=1
	global_load_dword v32, v[17:18], off
	s_waitcnt vmcnt(0) lgkmcnt(0)
	v_mad_i64_i32 v[32:33], null, v32, s15, 0
	v_lshlrev_b64 v[32:33], 2, v[32:33]
	v_add_co_u32 v32, s2, v27, v32
	v_add_co_ci_u32_e64 v33, null, v28, v33, s2
	s_clause 0x7
	global_load_dwordx2 v[34:35], v[32:33], off offset:256
	global_load_dwordx2 v[36:37], v[32:33], off
	global_load_dwordx2 v[38:39], v[32:33], off offset:512
	global_load_dwordx2 v[40:41], v[32:33], off offset:768
	;; [unrolled: 1-line block ×6, first 2 shown]
	s_waitcnt vmcnt(7)
	v_mul_f32_e32 v34, v3, v34
	v_mul_f32_e32 v35, v4, v35
	s_waitcnt vmcnt(6)
	v_fmac_f32_e32 v34, v1, v36
	v_fmac_f32_e32 v35, v2, v37
	s_waitcnt vmcnt(5)
	v_fmac_f32_e32 v34, v5, v38
	v_fmac_f32_e32 v35, v6, v39
	;; [unrolled: 3-line block ×7, first 2 shown]
	v_add_f32_e32 v32, v34, v35
	ds_bpermute_b32 v33, v25, v32
	s_and_saveexec_b32 s3, vcc_lo
	s_cbranch_execz .LBB27_8
; %bb.10:                               ;   in Loop: Header=BB27_9 Depth=1
	v_add_nc_u32_e32 v34, s4, v29
	s_waitcnt lgkmcnt(0)
	v_add_f32_e32 v32, v32, v33
	v_cmp_gt_i32_e64 s2, s11, v29
	v_cvt_f32_i32_e32 v34, v34
	v_mul_f32_e32 v34, s24, v34
	v_cndmask_b32_e64 v33, 0, v34, s1
	v_max_f32_e32 v34, v24, v24
	v_fmac_f32_e32 v33, s25, v32
	v_max_f32_e32 v32, v34, v33
	v_cndmask_b32_e64 v33, 0, v33, s2
	v_cndmask_b32_e64 v24, v24, v32, s2
	ds_write_b32 v30, v33
	s_branch .LBB27_8
.LBB27_11:
	s_or_b32 exec_lo, exec_lo, s5
.LBB27_12:
	s_or_b32 exec_lo, exec_lo, s26
	v_xor_b32_e32 v1, 16, v21
	v_xor_b32_e32 v3, 8, v21
	v_max_f32_e32 v4, v24, v24
	v_xor_b32_e32 v5, 4, v21
	v_cmp_lt_i32_e32 vcc_lo, v1, v26
	v_cndmask_b32_e32 v1, v21, v1, vcc_lo
	v_cmp_lt_i32_e32 vcc_lo, v3, v26
	v_lshlrev_b32_e32 v1, 2, v1
	v_cndmask_b32_e32 v3, v21, v3, vcc_lo
	v_cmp_lt_i32_e32 vcc_lo, v5, v26
	ds_bpermute_b32 v2, v1, v24
	v_lshlrev_b32_e32 v3, 2, v3
	v_cndmask_b32_e32 v5, v21, v5, vcc_lo
	v_and_b32_e32 v24, 31, v0
	s_waitcnt lgkmcnt(0)
	v_max_f32_e32 v2, v2, v2
	v_max_f32_e32 v2, v4, v2
	ds_bpermute_b32 v4, v3, v2
	s_waitcnt lgkmcnt(0)
	v_max_f32_e32 v6, v4, v4
	v_lshlrev_b32_e32 v4, 2, v5
	v_max_f32_e32 v2, v2, v6
	v_xor_b32_e32 v6, 2, v21
	ds_bpermute_b32 v5, v4, v2
	v_cmp_lt_i32_e32 vcc_lo, v6, v26
	v_cndmask_b32_e32 v6, v21, v6, vcc_lo
	v_cmp_eq_u32_e32 vcc_lo, 0, v24
	v_lshlrev_b32_e32 v25, 2, v6
	s_waitcnt lgkmcnt(0)
	v_max_f32_e32 v5, v5, v5
	v_max_f32_e32 v2, v2, v5
	v_lshlrev_b32_e32 v5, 2, v23
	ds_bpermute_b32 v6, v25, v2
	s_and_saveexec_b32 s1, vcc_lo
	s_cbranch_execz .LBB27_14
; %bb.13:
	s_waitcnt lgkmcnt(0)
	v_max_f32_e32 v6, v6, v6
	v_max_f32_e32 v2, v2, v2
	;; [unrolled: 1-line block ×3, first 2 shown]
	ds_write_b32 v5, v2 offset:128
.LBB27_14:
	s_or_b32 exec_lo, exec_lo, s1
	v_cmp_gt_u32_e64 s1, 4, v24
	v_mov_b32_e32 v2, 0xff7fffff
	s_waitcnt lgkmcnt(0)
	v_lshlrev_b32_e32 v6, 2, v24
	s_barrier
	buffer_gl0_inv
	s_and_saveexec_b32 s2, s1
; %bb.15:
	ds_read_b32 v2, v6 offset:128
; %bb.16:
	s_or_b32 exec_lo, exec_lo, s2
	s_waitcnt lgkmcnt(0)
	ds_bpermute_b32 v7, v25, v2
	v_xor_b32_e32 v8, 1, v21
	v_max_f32_e32 v2, v2, v2
	v_cmp_lt_i32_e64 s2, v8, v26
	v_cndmask_b32_e64 v8, v21, v8, s2
	s_lshl_b32 s2, s12, 4
	s_min_i32 s4, s2, s11
	v_lshlrev_b32_e32 v26, 2, v8
	v_cmp_gt_i32_e64 s2, s4, v0
	s_waitcnt lgkmcnt(0)
	v_max_f32_e32 v7, v7, v7
	v_max_f32_e32 v2, v2, v7
	ds_bpermute_b32 v7, v26, v2
	s_waitcnt lgkmcnt(0)
	v_max_f32_e32 v7, v7, v7
	v_max_f32_e32 v2, v2, v7
	v_lshlrev_b32_e32 v7, 2, v22
	ds_bpermute_b32 v8, v7, v2
	v_mov_b32_e32 v7, 0
	v_lshl_add_u32 v2, v0, 2, 0xa0
	s_and_saveexec_b32 s5, s2
	s_cbranch_execz .LBB27_20
; %bb.17:
	v_lshl_add_u32 v9, v0, 2, 0xa0
	v_mov_b32_e32 v7, 0
	v_mov_b32_e32 v10, v0
	s_mov_b32 s15, 0
	.p2align	6
.LBB27_18:                              ; =>This Inner Loop Header: Depth=1
	ds_read_b32 v11, v9
	v_add_nc_u32_e32 v10, 0x80, v10
	v_cmp_le_i32_e64 s3, s4, v10
	s_or_b32 s15, s3, s15
	s_waitcnt lgkmcnt(0)
	v_sub_f32_e32 v11, v11, v8
	v_mul_f32_e32 v11, 0x3fb8aa3b, v11
	v_exp_f32_e32 v11, v11
	ds_write_b32 v9, v11
	v_add_f32_e32 v7, v7, v11
	v_add_nc_u32_e32 v9, 0x200, v9
	s_andn2_b32 exec_lo, exec_lo, s15
	s_cbranch_execnz .LBB27_18
; %bb.19:
	s_or_b32 exec_lo, exec_lo, s15
.LBB27_20:
	s_or_b32 exec_lo, exec_lo, s5
	ds_bpermute_b32 v1, v1, v7
	s_waitcnt lgkmcnt(0)
	v_add_f32_e32 v1, v7, v1
	ds_bpermute_b32 v3, v3, v1
	s_waitcnt lgkmcnt(0)
	v_add_f32_e32 v1, v1, v3
	;; [unrolled: 3-line block ×5, first 2 shown]
	s_and_saveexec_b32 s3, vcc_lo
; %bb.21:
	ds_write_b32 v5, v1 offset:144
; %bb.22:
	s_or_b32 exec_lo, exec_lo, s3
	s_waitcnt lgkmcnt(0)
	s_barrier
	buffer_gl0_inv
	s_and_saveexec_b32 s3, s1
; %bb.23:
	ds_read_b32 v1, v6 offset:144
; %bb.24:
	s_or_b32 exec_lo, exec_lo, s3
	s_waitcnt lgkmcnt(0)
	ds_bpermute_b32 v3, v25, v1
	v_lshlrev_b32_e32 v4, 2, v21
	s_waitcnt lgkmcnt(0)
	v_add_f32_e32 v1, v1, v3
	ds_bpermute_b32 v3, v26, v1
	s_waitcnt lgkmcnt(0)
	v_add_f32_e32 v1, v1, v3
	v_and_b32_e32 v3, 0xffffff80, v4
	ds_bpermute_b32 v1, v3, v1
	s_and_saveexec_b32 s1, s2
	s_cbranch_execz .LBB27_27
; %bb.25:
	s_waitcnt lgkmcnt(0)
	v_add_f32_e32 v1, 0x358637bd, v1
	s_mov_b32 s2, 0
	v_div_scale_f32 v3, null, v1, v1, 1.0
	v_div_scale_f32 v6, vcc_lo, 1.0, v1, 1.0
	v_rcp_f32_e32 v4, v3
	v_fma_f32 v5, -v3, v4, 1.0
	v_fmac_f32_e32 v4, v5, v4
	v_mul_f32_e32 v5, v6, v4
	v_fma_f32 v7, -v3, v5, v6
	v_fmac_f32_e32 v5, v7, v4
	v_fma_f32 v3, -v3, v5, v6
	v_div_fmas_f32 v3, v3, v4, v5
	v_div_fixup_f32 v1, v3, v1, 1.0
	v_mov_b32_e32 v3, v0
.LBB27_26:                              ; =>This Inner Loop Header: Depth=1
	ds_read_b32 v4, v2
	v_add_nc_u32_e32 v3, 0x80, v3
	v_cmp_le_i32_e32 vcc_lo, s4, v3
	s_or_b32 s2, vcc_lo, s2
	s_waitcnt lgkmcnt(0)
	v_mul_f32_e32 v4, v1, v4
	ds_write_b32 v2, v4
	v_add_nc_u32_e32 v2, 0x200, v2
	s_andn2_b32 exec_lo, exec_lo, s2
	s_cbranch_execnz .LBB27_26
.LBB27_27:
	s_or_b32 exec_lo, exec_lo, s1
	v_mov_b32_e32 v29, 0
	v_and_b32_e32 v27, 3, v0
	v_mov_b32_e32 v31, 0
	v_mov_b32_e32 v30, 0
	;; [unrolled: 1-line block ×3, first 2 shown]
	s_waitcnt lgkmcnt(0)
	s_barrier
	buffer_gl0_inv
	s_and_saveexec_b32 s1, s0
	s_cbranch_execz .LBB27_39
; %bb.28:
	v_lshlrev_b32_e32 v2, 4, v0
	s_ashr_i32 s15, s14, 31
	v_and_b32_e32 v1, 12, v19
	v_lshlrev_b32_e32 v4, 4, v23
	s_lshl_b64 s[2:3], s[14:15], 2
	v_and_b32_e32 v2, 0x1f0, v2
	v_lshlrev_b32_e32 v3, 4, v27
	s_add_u32 s0, s22, s2
	v_or3_b32 v34, v4, v1, 3
	v_and_b32_e32 v1, 0x7c, v20
	s_addc_u32 s3, s23, s3
	v_add_co_u32 v32, s0, s0, v2
	s_lshl_b64 s[4:5], s[20:21], 2
	s_add_i32 s2, s12, -1
	v_lshl_or_b32 v3, v23, 6, v3
	v_add_co_ci_u32_e64 v33, null, s3, 0, s0
	s_add_u32 s0, s18, s4
	s_addc_u32 s3, s19, s5
	v_add_co_u32 v21, s0, s0, v1
	v_mov_b32_e32 v28, 0
	v_add_nc_u32_e32 v35, 0xa0, v3
	v_add_co_ci_u32_e64 v22, null, s3, 0, s0
	v_mov_b32_e32 v30, 0
	v_mov_b32_e32 v31, 0
	;; [unrolled: 1-line block ×4, first 2 shown]
	s_mov_b32 s4, s13
	s_mov_b32 s3, 0
	s_branch .LBB27_30
.LBB27_29:                              ;   in Loop: Header=BB27_30 Depth=1
	s_or_b32 exec_lo, exec_lo, s0
	s_waitcnt vmcnt(1) lgkmcnt(0)
	v_mul_f32_e32 v13, v1, v13
	v_mul_f32_e32 v9, v1, v9
	;; [unrolled: 1-line block ×3, first 2 shown]
	s_waitcnt vmcnt(0)
	v_mul_f32_e32 v1, v1, v17
	v_add_nc_u32_e32 v36, 4, v36
	v_fmac_f32_e32 v13, v2, v14
	v_fmac_f32_e32 v9, v2, v10
	;; [unrolled: 1-line block ×4, first 2 shown]
	v_cmp_le_i32_e32 vcc_lo, s12, v36
	v_fmac_f32_e32 v13, v3, v15
	v_fmac_f32_e32 v9, v3, v11
	;; [unrolled: 1-line block ×4, first 2 shown]
	v_add_co_u32 v21, s0, v21, 16
	v_fmac_f32_e32 v13, v4, v16
	v_fmac_f32_e32 v9, v4, v12
	;; [unrolled: 1-line block ×4, first 2 shown]
	v_add_nc_u32_e32 v34, 64, v34
	v_add_f32_e32 v30, v30, v13
	v_add_f32_e32 v31, v31, v9
	;; [unrolled: 1-line block ×4, first 2 shown]
	v_add_nc_u32_e32 v35, 0x100, v35
	v_add_co_ci_u32_e64 v22, null, 0, v22, s0
	s_or_b32 s3, vcc_lo, s3
	s_andn2_b32 exec_lo, exec_lo, s3
	s_cbranch_execz .LBB27_38
.LBB27_30:                              ; =>This Inner Loop Header: Depth=1
	global_load_dword v1, v[21:22], off
	v_add_nc_u32_e32 v37, -3, v34
	v_add_nc_u32_e32 v39, -2, v34
	;; [unrolled: 1-line block ×3, first 2 shown]
	s_waitcnt vmcnt(0)
	v_mad_i64_i32 v[1:2], null, v1, s4, 0
	v_lshlrev_b64 v[1:2], 2, v[1:2]
	v_add_co_u32 v17, vcc_lo, v32, v1
	v_add_co_ci_u32_e64 v18, null, v33, v2, vcc_lo
	ds_read_b128 v[1:4], v35
	v_cmp_eq_u32_e32 vcc_lo, s2, v36
	global_load_dwordx4 v[5:8], v[17:18], off
	s_and_saveexec_b32 s5, vcc_lo
	s_cbranch_execnz .LBB27_34
; %bb.31:                               ;   in Loop: Header=BB27_30 Depth=1
	s_or_b32 exec_lo, exec_lo, s5
	global_load_dwordx4 v[9:12], v[17:18], off offset:512
	s_and_saveexec_b32 s5, vcc_lo
	s_cbranch_execnz .LBB27_35
.LBB27_32:                              ;   in Loop: Header=BB27_30 Depth=1
	s_or_b32 exec_lo, exec_lo, s5
	global_load_dwordx4 v[13:16], v[17:18], off offset:1024
	s_and_saveexec_b32 s5, vcc_lo
	s_cbranch_execnz .LBB27_36
.LBB27_33:                              ;   in Loop: Header=BB27_30 Depth=1
	s_or_b32 exec_lo, exec_lo, s5
	global_load_dwordx4 v[17:20], v[17:18], off offset:1536
	s_and_saveexec_b32 s0, vcc_lo
	s_cbranch_execz .LBB27_29
	s_branch .LBB27_37
.LBB27_34:                              ;   in Loop: Header=BB27_30 Depth=1
	v_cmp_gt_i32_e64 s0, s11, v37
	s_waitcnt vmcnt(0)
	v_cndmask_b32_e64 v5, 0, v5, s0
	v_cmp_gt_i32_e64 s0, s11, v39
	v_cndmask_b32_e64 v6, 0, v6, s0
	v_cmp_gt_i32_e64 s0, s11, v38
	;; [unrolled: 2-line block ×3, first 2 shown]
	v_cndmask_b32_e64 v8, 0, v8, s0
	s_or_b32 exec_lo, exec_lo, s5
	global_load_dwordx4 v[9:12], v[17:18], off offset:512
	s_and_saveexec_b32 s5, vcc_lo
	s_cbranch_execz .LBB27_32
.LBB27_35:                              ;   in Loop: Header=BB27_30 Depth=1
	v_cmp_gt_i32_e64 s0, s11, v37
	s_waitcnt vmcnt(0)
	v_cndmask_b32_e64 v9, 0, v9, s0
	v_cmp_gt_i32_e64 s0, s11, v39
	v_cndmask_b32_e64 v10, 0, v10, s0
	v_cmp_gt_i32_e64 s0, s11, v38
	;; [unrolled: 2-line block ×3, first 2 shown]
	v_cndmask_b32_e64 v12, 0, v12, s0
	s_or_b32 exec_lo, exec_lo, s5
	global_load_dwordx4 v[13:16], v[17:18], off offset:1024
	s_and_saveexec_b32 s5, vcc_lo
	s_cbranch_execz .LBB27_33
.LBB27_36:                              ;   in Loop: Header=BB27_30 Depth=1
	v_cmp_gt_i32_e64 s0, s11, v37
	s_waitcnt vmcnt(0)
	v_cndmask_b32_e64 v13, 0, v13, s0
	v_cmp_gt_i32_e64 s0, s11, v39
	v_cndmask_b32_e64 v14, 0, v14, s0
	v_cmp_gt_i32_e64 s0, s11, v38
	;; [unrolled: 2-line block ×3, first 2 shown]
	v_cndmask_b32_e64 v16, 0, v16, s0
	s_or_b32 exec_lo, exec_lo, s5
	global_load_dwordx4 v[17:20], v[17:18], off offset:1536
	s_and_saveexec_b32 s0, vcc_lo
	s_cbranch_execz .LBB27_29
.LBB27_37:                              ;   in Loop: Header=BB27_30 Depth=1
	v_cmp_gt_i32_e32 vcc_lo, s11, v37
	s_waitcnt vmcnt(0)
	v_cndmask_b32_e32 v17, 0, v17, vcc_lo
	v_cmp_gt_i32_e32 vcc_lo, s11, v39
	v_cndmask_b32_e32 v18, 0, v18, vcc_lo
	v_cmp_gt_i32_e32 vcc_lo, s11, v38
	;; [unrolled: 2-line block ×3, first 2 shown]
	v_cndmask_b32_e32 v20, 0, v20, vcc_lo
	s_branch .LBB27_29
.LBB27_38:
	s_or_b32 exec_lo, exec_lo, s3
.LBB27_39:
	s_or_b32 exec_lo, exec_lo, s1
	ds_bpermute_b32 v1, v25, v29
	ds_bpermute_b32 v2, v25, v31
	;; [unrolled: 1-line block ×4, first 2 shown]
	v_and_b32_e32 v6, 28, v24
	v_lshrrev_b32_e32 v5, 2, v24
	v_and_b32_e32 v11, 0x3c3, v0
	s_mov_b32 s0, exec_lo
	s_waitcnt lgkmcnt(0)
	v_add_nc_u32_e32 v6, 0xa0, v6
	s_barrier
	buffer_gl0_inv
	v_add_f32_e32 v1, v29, v1
	v_add_f32_e32 v2, v31, v2
	;; [unrolled: 1-line block ×4, first 2 shown]
	ds_bpermute_b32 v7, v26, v1
	ds_bpermute_b32 v8, v26, v2
	ds_bpermute_b32 v9, v26, v3
	ds_bpermute_b32 v10, v26, v4
	s_waitcnt lgkmcnt(3)
	v_add_f32_e32 v1, v1, v7
	s_waitcnt lgkmcnt(2)
	v_add_f32_e32 v2, v2, v8
	;; [unrolled: 2-line block ×4, first 2 shown]
	v_cmpx_eq_u32_e32 64, v11
	s_cbranch_execz .LBB27_41
; %bb.40:
	v_lshl_add_u32 v7, v23, 7, v6
	v_add_nc_u32_e32 v8, 0xffffff00, v7
	v_add_nc_u32_e32 v9, 0xffffff20, v7
	;; [unrolled: 1-line block ×4, first 2 shown]
	ds_write_b32 v8, v1
	ds_write_b32 v9, v2
	;; [unrolled: 1-line block ×4, first 2 shown]
.LBB27_41:
	s_or_b32 exec_lo, exec_lo, s0
	v_and_b32_e32 v7, 0x3e0, v0
	v_lshlrev_b32_e32 v5, 2, v5
	s_mov_b32 s1, exec_lo
	v_cmp_eq_u32_e32 vcc_lo, 0, v27
	s_waitcnt lgkmcnt(0)
	v_lshlrev_b32_e32 v7, 2, v7
	s_barrier
	buffer_gl0_inv
	v_add3_u32 v5, 0xa0, v7, v5
	v_cmpx_gt_u32_e32 64, v0
	s_cbranch_execz .LBB27_48
; %bb.42:
	s_and_saveexec_b32 s0, vcc_lo
	s_cbranch_execnz .LBB27_60
; %bb.43:
	s_or_b32 exec_lo, exec_lo, s0
	s_and_saveexec_b32 s0, vcc_lo
	s_cbranch_execnz .LBB27_61
.LBB27_44:
	s_or_b32 exec_lo, exec_lo, s0
	s_and_saveexec_b32 s0, vcc_lo
	s_cbranch_execnz .LBB27_62
.LBB27_45:
	s_or_b32 exec_lo, exec_lo, s0
	s_and_saveexec_b32 s0, vcc_lo
	s_cbranch_execz .LBB27_47
.LBB27_46:
	ds_read_b32 v7, v5 offset:96
	s_waitcnt lgkmcnt(0)
	v_add_f32_e32 v4, v4, v7
.LBB27_47:
	s_or_b32 exec_lo, exec_lo, s0
.LBB27_48:
	s_or_b32 exec_lo, exec_lo, s1
	v_and_b32_e32 v7, 0x3e3, v0
	s_mov_b32 s1, exec_lo
	s_barrier
	buffer_gl0_inv
	v_cmpx_eq_u32_e32 32, v7
	s_cbranch_execz .LBB27_50
; %bb.49:
	ds_write2_b32 v6, v1, v2 offset1:8
	ds_write2_b32 v6, v3, v4 offset0:16 offset1:24
.LBB27_50:
	s_or_b32 exec_lo, exec_lo, s1
	s_mov_b32 s1, exec_lo
	s_waitcnt lgkmcnt(0)
	s_barrier
	buffer_gl0_inv
	v_cmpx_gt_u32_e32 32, v0
	s_cbranch_execz .LBB27_57
; %bb.51:
	s_and_saveexec_b32 s0, vcc_lo
	s_cbranch_execnz .LBB27_63
; %bb.52:
	s_or_b32 exec_lo, exec_lo, s0
	s_and_saveexec_b32 s0, vcc_lo
	s_cbranch_execnz .LBB27_64
.LBB27_53:
	s_or_b32 exec_lo, exec_lo, s0
	s_and_saveexec_b32 s0, vcc_lo
	s_cbranch_execnz .LBB27_65
.LBB27_54:
	s_or_b32 exec_lo, exec_lo, s0
	s_and_saveexec_b32 s0, vcc_lo
	s_cbranch_execz .LBB27_56
.LBB27_55:
	ds_read_b32 v5, v5 offset:96
	s_waitcnt lgkmcnt(0)
	v_add_f32_e32 v4, v4, v5
.LBB27_56:
	s_or_b32 exec_lo, exec_lo, s0
.LBB27_57:
	s_or_b32 exec_lo, exec_lo, s1
	s_barrier
	buffer_gl0_inv
	s_mov_b32 s0, exec_lo
	v_cmpx_eq_u32_e32 0, v7
	s_cbranch_execz .LBB27_59
; %bb.58:
	s_mul_i32 s0, s10, s7
	s_mul_i32 s2, s7, s6
	;; [unrolled: 1-line block ×3, first 2 shown]
	s_lshl_b32 s0, s0, 5
	s_ashr_i32 s1, s0, 31
	s_lshl_b64 s[0:1], s[0:1], 2
	s_add_u32 s4, s16, s0
	s_addc_u32 s5, s17, s1
	s_ashr_i32 s3, s2, 31
	s_lshl_b64 s[0:1], s[2:3], 2
	s_add_u32 s2, s4, s0
	s_addc_u32 s3, s5, s1
	s_lshl_b32 s0, s8, 5
	s_ashr_i32 s1, s0, 31
	s_lshl_b64 s[0:1], s[0:1], 2
	s_add_u32 s0, s2, s0
	s_addc_u32 s1, s3, s1
	global_store_dword v0, v1, s[0:1]
	global_store_dword v0, v2, s[0:1] offset:32
	global_store_dword v0, v3, s[0:1] offset:64
	global_store_dword v0, v4, s[0:1] offset:96
.LBB27_59:
	s_endpgm
.LBB27_60:
	ds_read_b32 v7, v5
	s_waitcnt lgkmcnt(0)
	v_add_f32_e32 v1, v1, v7
	s_or_b32 exec_lo, exec_lo, s0
	s_and_saveexec_b32 s0, vcc_lo
	s_cbranch_execz .LBB27_44
.LBB27_61:
	ds_read_b32 v7, v5 offset:32
	s_waitcnt lgkmcnt(0)
	v_add_f32_e32 v2, v2, v7
	s_or_b32 exec_lo, exec_lo, s0
	s_and_saveexec_b32 s0, vcc_lo
	s_cbranch_execz .LBB27_45
.LBB27_62:
	ds_read_b32 v7, v5 offset:64
	s_waitcnt lgkmcnt(0)
	v_add_f32_e32 v3, v3, v7
	s_or_b32 exec_lo, exec_lo, s0
	s_and_saveexec_b32 s0, vcc_lo
	s_cbranch_execnz .LBB27_46
	s_branch .LBB27_47
.LBB27_63:
	ds_read_b32 v6, v5
	s_waitcnt lgkmcnt(0)
	v_add_f32_e32 v1, v1, v6
	s_or_b32 exec_lo, exec_lo, s0
	s_and_saveexec_b32 s0, vcc_lo
	s_cbranch_execz .LBB27_53
.LBB27_64:
	ds_read_b32 v6, v5 offset:32
	s_waitcnt lgkmcnt(0)
	v_add_f32_e32 v2, v2, v6
	s_or_b32 exec_lo, exec_lo, s0
	s_and_saveexec_b32 s0, vcc_lo
	s_cbranch_execz .LBB27_54
.LBB27_65:
	ds_read_b32 v6, v5 offset:64
	s_waitcnt lgkmcnt(0)
	v_add_f32_e32 v3, v3, v6
	s_or_b32 exec_lo, exec_lo, s0
	s_and_saveexec_b32 s0, vcc_lo
	s_cbranch_execnz .LBB27_55
	s_branch .LBB27_56
	.section	.rodata,"a",@progbits
	.p2align	6, 0x0
	.amdhsa_kernel _ZN4vllm25paged_attention_v1_kernelIffLi32ELi16ELi128ELNS_18Fp8KVCacheDataTypeE0ELb0EEEvPT_PKS2_PKT0_S8_ifPKiSA_iPKfiiiSC_SC_iiiii
		.amdhsa_group_segment_fixed_size 160
		.amdhsa_private_segment_fixed_size 0
		.amdhsa_kernarg_size 384
		.amdhsa_user_sgpr_count 6
		.amdhsa_user_sgpr_private_segment_buffer 1
		.amdhsa_user_sgpr_dispatch_ptr 0
		.amdhsa_user_sgpr_queue_ptr 0
		.amdhsa_user_sgpr_kernarg_segment_ptr 1
		.amdhsa_user_sgpr_dispatch_id 0
		.amdhsa_user_sgpr_flat_scratch_init 0
		.amdhsa_user_sgpr_private_segment_size 0
		.amdhsa_wavefront_size32 1
		.amdhsa_uses_dynamic_stack 0
		.amdhsa_system_sgpr_private_segment_wavefront_offset 0
		.amdhsa_system_sgpr_workgroup_id_x 1
		.amdhsa_system_sgpr_workgroup_id_y 1
		.amdhsa_system_sgpr_workgroup_id_z 1
		.amdhsa_system_sgpr_workgroup_info 0
		.amdhsa_system_vgpr_workitem_id 0
		.amdhsa_next_free_vgpr 48
		.amdhsa_next_free_sgpr 27
		.amdhsa_reserve_vcc 1
		.amdhsa_reserve_flat_scratch 0
		.amdhsa_float_round_mode_32 0
		.amdhsa_float_round_mode_16_64 0
		.amdhsa_float_denorm_mode_32 3
		.amdhsa_float_denorm_mode_16_64 3
		.amdhsa_dx10_clamp 1
		.amdhsa_ieee_mode 1
		.amdhsa_fp16_overflow 0
		.amdhsa_workgroup_processor_mode 1
		.amdhsa_memory_ordered 1
		.amdhsa_forward_progress 1
		.amdhsa_shared_vgpr_count 0
		.amdhsa_exception_fp_ieee_invalid_op 0
		.amdhsa_exception_fp_denorm_src 0
		.amdhsa_exception_fp_ieee_div_zero 0
		.amdhsa_exception_fp_ieee_overflow 0
		.amdhsa_exception_fp_ieee_underflow 0
		.amdhsa_exception_fp_ieee_inexact 0
		.amdhsa_exception_int_div_zero 0
	.end_amdhsa_kernel
	.section	.text._ZN4vllm25paged_attention_v1_kernelIffLi32ELi16ELi128ELNS_18Fp8KVCacheDataTypeE0ELb0EEEvPT_PKS2_PKT0_S8_ifPKiSA_iPKfiiiSC_SC_iiiii,"axG",@progbits,_ZN4vllm25paged_attention_v1_kernelIffLi32ELi16ELi128ELNS_18Fp8KVCacheDataTypeE0ELb0EEEvPT_PKS2_PKT0_S8_ifPKiSA_iPKfiiiSC_SC_iiiii,comdat
.Lfunc_end27:
	.size	_ZN4vllm25paged_attention_v1_kernelIffLi32ELi16ELi128ELNS_18Fp8KVCacheDataTypeE0ELb0EEEvPT_PKS2_PKT0_S8_ifPKiSA_iPKfiiiSC_SC_iiiii, .Lfunc_end27-_ZN4vllm25paged_attention_v1_kernelIffLi32ELi16ELi128ELNS_18Fp8KVCacheDataTypeE0ELb0EEEvPT_PKS2_PKT0_S8_ifPKiSA_iPKfiiiSC_SC_iiiii
                                        ; -- End function
	.set _ZN4vllm25paged_attention_v1_kernelIffLi32ELi16ELi128ELNS_18Fp8KVCacheDataTypeE0ELb0EEEvPT_PKS2_PKT0_S8_ifPKiSA_iPKfiiiSC_SC_iiiii.num_vgpr, 48
	.set _ZN4vllm25paged_attention_v1_kernelIffLi32ELi16ELi128ELNS_18Fp8KVCacheDataTypeE0ELb0EEEvPT_PKS2_PKT0_S8_ifPKiSA_iPKfiiiSC_SC_iiiii.num_agpr, 0
	.set _ZN4vllm25paged_attention_v1_kernelIffLi32ELi16ELi128ELNS_18Fp8KVCacheDataTypeE0ELb0EEEvPT_PKS2_PKT0_S8_ifPKiSA_iPKfiiiSC_SC_iiiii.numbered_sgpr, 27
	.set _ZN4vllm25paged_attention_v1_kernelIffLi32ELi16ELi128ELNS_18Fp8KVCacheDataTypeE0ELb0EEEvPT_PKS2_PKT0_S8_ifPKiSA_iPKfiiiSC_SC_iiiii.num_named_barrier, 0
	.set _ZN4vllm25paged_attention_v1_kernelIffLi32ELi16ELi128ELNS_18Fp8KVCacheDataTypeE0ELb0EEEvPT_PKS2_PKT0_S8_ifPKiSA_iPKfiiiSC_SC_iiiii.private_seg_size, 0
	.set _ZN4vllm25paged_attention_v1_kernelIffLi32ELi16ELi128ELNS_18Fp8KVCacheDataTypeE0ELb0EEEvPT_PKS2_PKT0_S8_ifPKiSA_iPKfiiiSC_SC_iiiii.uses_vcc, 1
	.set _ZN4vllm25paged_attention_v1_kernelIffLi32ELi16ELi128ELNS_18Fp8KVCacheDataTypeE0ELb0EEEvPT_PKS2_PKT0_S8_ifPKiSA_iPKfiiiSC_SC_iiiii.uses_flat_scratch, 0
	.set _ZN4vllm25paged_attention_v1_kernelIffLi32ELi16ELi128ELNS_18Fp8KVCacheDataTypeE0ELb0EEEvPT_PKS2_PKT0_S8_ifPKiSA_iPKfiiiSC_SC_iiiii.has_dyn_sized_stack, 0
	.set _ZN4vllm25paged_attention_v1_kernelIffLi32ELi16ELi128ELNS_18Fp8KVCacheDataTypeE0ELb0EEEvPT_PKS2_PKT0_S8_ifPKiSA_iPKfiiiSC_SC_iiiii.has_recursion, 0
	.set _ZN4vllm25paged_attention_v1_kernelIffLi32ELi16ELi128ELNS_18Fp8KVCacheDataTypeE0ELb0EEEvPT_PKS2_PKT0_S8_ifPKiSA_iPKfiiiSC_SC_iiiii.has_indirect_call, 0
	.section	.AMDGPU.csdata,"",@progbits
; Kernel info:
; codeLenInByte = 3708
; TotalNumSgprs: 29
; NumVgprs: 48
; ScratchSize: 0
; MemoryBound: 0
; FloatMode: 240
; IeeeMode: 1
; LDSByteSize: 160 bytes/workgroup (compile time only)
; SGPRBlocks: 0
; VGPRBlocks: 5
; NumSGPRsForWavesPerEU: 29
; NumVGPRsForWavesPerEU: 48
; Occupancy: 16
; WaveLimiterHint : 1
; COMPUTE_PGM_RSRC2:SCRATCH_EN: 0
; COMPUTE_PGM_RSRC2:USER_SGPR: 6
; COMPUTE_PGM_RSRC2:TRAP_HANDLER: 0
; COMPUTE_PGM_RSRC2:TGID_X_EN: 1
; COMPUTE_PGM_RSRC2:TGID_Y_EN: 1
; COMPUTE_PGM_RSRC2:TGID_Z_EN: 1
; COMPUTE_PGM_RSRC2:TIDIG_COMP_CNT: 0
	.section	.text._ZN4vllm25paged_attention_v1_kernelIffLi64ELi16ELi128ELNS_18Fp8KVCacheDataTypeE0ELb0EEEvPT_PKS2_PKT0_S8_ifPKiSA_iPKfiiiSC_SC_iiiii,"axG",@progbits,_ZN4vllm25paged_attention_v1_kernelIffLi64ELi16ELi128ELNS_18Fp8KVCacheDataTypeE0ELb0EEEvPT_PKS2_PKT0_S8_ifPKiSA_iPKfiiiSC_SC_iiiii,comdat
	.protected	_ZN4vllm25paged_attention_v1_kernelIffLi64ELi16ELi128ELNS_18Fp8KVCacheDataTypeE0ELb0EEEvPT_PKS2_PKT0_S8_ifPKiSA_iPKfiiiSC_SC_iiiii ; -- Begin function _ZN4vllm25paged_attention_v1_kernelIffLi64ELi16ELi128ELNS_18Fp8KVCacheDataTypeE0ELb0EEEvPT_PKS2_PKT0_S8_ifPKiSA_iPKfiiiSC_SC_iiiii
	.globl	_ZN4vllm25paged_attention_v1_kernelIffLi64ELi16ELi128ELNS_18Fp8KVCacheDataTypeE0ELb0EEEvPT_PKS2_PKT0_S8_ifPKiSA_iPKfiiiSC_SC_iiiii
	.p2align	8
	.type	_ZN4vllm25paged_attention_v1_kernelIffLi64ELi16ELi128ELNS_18Fp8KVCacheDataTypeE0ELb0EEEvPT_PKS2_PKT0_S8_ifPKiSA_iPKfiiiSC_SC_iiiii,@function
_ZN4vllm25paged_attention_v1_kernelIffLi64ELi16ELi128ELNS_18Fp8KVCacheDataTypeE0ELb0EEEvPT_PKS2_PKT0_S8_ifPKiSA_iPKfiiiSC_SC_iiiii: ; @_ZN4vllm25paged_attention_v1_kernelIffLi64ELi16ELi128ELNS_18Fp8KVCacheDataTypeE0ELb0EEEvPT_PKS2_PKT0_S8_ifPKiSA_iPKfiiiSC_SC_iiiii
; %bb.0:
	s_clause 0x2
	s_load_dword s9, s[4:5], 0x80
	s_load_dwordx2 s[0:1], s[4:5], 0x30
	s_load_dwordx2 s[24:25], s[4:5], 0x20
	s_mov_b32 s10, s7
	s_ashr_i32 s11, s7, 31
	s_lshl_b64 s[2:3], s[10:11], 2
	s_waitcnt lgkmcnt(0)
	s_add_u32 s0, s0, s2
	s_addc_u32 s1, s1, s3
	s_abs_i32 s2, s24
	s_abs_i32 s11, s9
	v_cvt_f32_u32_e32 v1, s2
	s_sub_i32 s7, 0, s2
	v_rcp_iflag_f32_e32 v1, v1
	v_mul_f32_e32 v1, 0x4f7ffffe, v1
	v_cvt_u32_f32_e32 v1, v1
	v_readfirstlane_b32 s3, v1
	s_mul_i32 s7, s7, s3
	s_mul_hi_u32 s7, s3, s7
	s_add_i32 s3, s3, s7
	s_xor_b32 s7, s9, s24
	s_mul_hi_u32 s3, s11, s3
	s_ashr_i32 s7, s7, 31
	s_mul_i32 s12, s3, s2
	s_mov_b32 s24, 0
	s_sub_i32 s11, s11, s12
	s_add_i32 s12, s3, 1
	s_sub_i32 s13, s11, s2
	s_cmp_ge_u32 s11, s2
	s_cselect_b32 s3, s12, s3
	s_cselect_b32 s11, s13, s11
	s_add_i32 s12, s3, 1
	s_cmp_ge_u32 s11, s2
	s_cselect_b32 s2, s12, s3
	s_abs_i32 s17, s6
	s_xor_b32 s2, s2, s7
	s_sub_i32 s18, s2, s7
	s_load_dwordx2 s[2:3], s[4:5], 0x40
	s_abs_i32 s16, s18
	v_cvt_f32_u32_e32 v1, s16
	s_sub_i32 s11, 0, s16
	v_rcp_iflag_f32_e32 v1, v1
	v_mul_f32_e32 v1, 0x4f7ffffe, v1
	v_cvt_u32_f32_e32 v1, v1
	v_readfirstlane_b32 s7, v1
	s_mul_i32 s11, s11, s7
	s_mul_hi_u32 s11, s7, s11
	s_add_i32 s7, s7, s11
	s_waitcnt lgkmcnt(0)
	s_cmp_eq_u64 s[2:3], 0
	s_mul_hi_u32 s20, s17, s7
	s_cbranch_scc1 .LBB28_2
; %bb.1:
	s_ashr_i32 s7, s6, 31
	s_lshl_b64 s[12:13], s[6:7], 2
	s_add_u32 s2, s2, s12
	s_addc_u32 s3, s3, s13
	s_load_dword s24, s[2:3], 0x0
.LBB28_2:
	s_load_dword s11, s[0:1], 0x0
	s_load_dwordx4 s[12:15], s[4:5], 0x48
	v_and_b32_e32 v33, 1, v0
	v_cmp_gt_u32_e64 s0, 32, v0
	v_lshlrev_b32_e32 v1, 3, v0
	v_lshlrev_b32_e32 v35, 2, v0
	s_ashr_i32 s1, s6, 31
	s_ashr_i32 s2, s18, 31
	s_lshl_b32 s6, s6, 6
	s_and_saveexec_b32 s3, s0
	s_cbranch_execz .LBB28_4
; %bb.3:
	s_load_dwordx2 s[18:19], s[4:5], 0x8
	s_waitcnt lgkmcnt(0)
	s_mul_i32 s22, s12, s10
	v_and_b32_e32 v4, 0xff8, v35
	s_ashr_i32 s23, s22, 31
	s_lshl_b64 s[22:23], s[22:23], 2
	v_lshl_add_u32 v4, v33, 7, v4
	s_add_u32 s12, s18, s22
	s_addc_u32 s15, s19, s23
	s_ashr_i32 s7, s6, 31
	s_lshl_b64 s[18:19], s[6:7], 2
	s_add_u32 s18, s12, s18
	s_addc_u32 s19, s15, s19
	global_load_dwordx2 v[2:3], v1, s[18:19]
	s_waitcnt vmcnt(0)
	ds_write_b64 v4, v[2:3]
.LBB28_4:
	s_or_b32 exec_lo, exec_lo, s3
	s_waitcnt lgkmcnt(0)
	s_add_i32 s3, s11, 15
	s_clause 0x1
	s_load_dwordx2 s[18:19], s[4:5], 0x28
	s_load_dword s15, s[4:5], 0x38
	s_ashr_i32 s7, s3, 31
	s_xor_b32 s1, s1, s2
	s_lshr_b32 s7, s7, 28
	s_mul_i32 s2, s20, s16
	s_add_i32 s3, s3, s7
	s_sub_i32 s2, s17, s2
	s_ashr_i32 s12, s3, 4
	s_add_i32 s3, s20, 1
	s_sub_i32 s7, s2, s16
	s_cmp_ge_u32 s2, s16
	v_lshrrev_b32_e32 v39, 5, v0
	s_cselect_b32 s3, s3, s20
	s_cselect_b32 s2, s7, s2
	s_add_i32 s7, s3, 1
	s_cmp_ge_u32 s2, s16
	v_mbcnt_lo_u32_b32 v37, -1, 0
	s_cselect_b32 s2, s7, s3
	s_mov_b32 s3, exec_lo
	s_xor_b32 s2, s2, s1
	s_waitcnt lgkmcnt(0)
	s_mul_i32 s20, s15, s10
	s_sub_i32 s2, s2, s1
	v_cmp_gt_i32_e64 s1, s12, v39
	s_ashr_i32 s21, s20, 31
	s_barrier
	buffer_gl0_inv
                                        ; implicit-def: $vgpr38
                                        ; implicit-def: $vgpr42
	v_cmpx_le_i32_e64 s12, v39
	s_xor_b32 s3, exec_lo, s3
; %bb.5:
	v_mov_b32_e32 v38, 0
	v_mbcnt_lo_u32_b32 v37, -1, 0
	v_mov_b32_e32 v42, 32
                                        ; implicit-def: $vgpr1
                                        ; implicit-def: $vgpr33
; %bb.6:
	s_or_saveexec_b32 s26, s3
	s_clause 0x2
	s_load_dwordx2 s[16:17], s[4:5], 0x0
	s_load_dwordx2 s[22:23], s[4:5], 0x18
	s_load_dword s7, s[4:5], 0x88
	v_mov_b32_e32 v40, 0xff7fffff
	v_lshrrev_b32_e32 v36, 3, v0
	s_mul_i32 s14, s2, s14
	s_xor_b32 exec_lo, exec_lo, s26
	s_cbranch_execz .LBB28_12
; %bb.7:
	s_load_dwordx2 s[2:3], s[4:5], 0x10
	v_bfe_u32 v34, v0, 1, 4
	s_ashr_i32 s15, s14, 31
	v_xor_b32_e32 v26, 1, v37
	s_lshl_b64 s[4:5], s[14:15], 2
	v_lshlrev_b32_e32 v29, 7, v33
	v_lshlrev_b32_e32 v27, 4, v34
	v_and_b32_e32 v25, 8, v1
	v_cmp_gt_i32_e32 vcc_lo, 32, v26
	ds_read_b128 v[1:4], v29
	ds_read_b128 v[5:8], v29 offset:16
	ds_read_b128 v[9:12], v29 offset:32
	;; [unrolled: 1-line block ×5, first 2 shown]
	v_lshlrev_b32_e32 v40, 2, v34
	v_lshl_or_b32 v45, v39, 4, v34
	v_cndmask_b32_e32 v44, v37, v26, vcc_lo
	v_and_b32_e32 v34, 0x7c, v36
	v_mov_b32_e32 v38, 0
	v_mov_b32_e32 v42, 32
	;; [unrolled: 1-line block ×3, first 2 shown]
	v_lshlrev_b32_e32 v44, 2, v44
	s_mov_b32 s27, s13
	s_waitcnt lgkmcnt(0)
	s_add_u32 s2, s2, s4
	s_addc_u32 s3, s3, s5
	v_add_co_u32 v27, s2, s2, v27
	v_add_co_ci_u32_e64 v28, null, s3, 0, s2
	s_lshl_b64 s[28:29], s[20:21], 2
	v_add_co_u32 v41, vcc_lo, v27, v25
	v_add_co_ci_u32_e64 v43, null, 0, v28, vcc_lo
	ds_read_b128 v[25:28], v29 offset:96
	ds_read_b128 v[29:32], v29 offset:112
	v_cmp_eq_u32_e32 vcc_lo, 0, v33
	v_lshl_or_b32 v33, v39, 6, v40
	s_sub_i32 s5, 1, s11
	s_add_u32 s3, s18, s28
	s_addc_u32 s4, s19, s29
	v_cmp_neq_f32_e64 s2, s24, 0
	v_add_nc_u32_e32 v46, 0x120, v33
	v_add_co_u32 v33, s3, s3, v34
	v_add_co_ci_u32_e64 v34, null, s4, 0, s3
	v_mov_b32_e32 v40, 0xff7fffff
	s_mov_b32 s15, 0
	s_branch .LBB28_9
.LBB28_8:                               ;   in Loop: Header=BB28_9 Depth=1
	s_or_b32 exec_lo, exec_lo, s4
	v_add_nc_u32_e32 v47, 4, v47
	v_add_co_u32 v33, s4, v33, 16
	v_add_nc_u32_e32 v45, 64, v45
	v_add_nc_u32_e32 v46, 0x100, v46
	v_cmp_le_i32_e64 s3, s12, v47
	v_add_co_ci_u32_e64 v34, null, 0, v34, s4
	s_or_b32 s15, s3, s15
	s_andn2_b32 exec_lo, exec_lo, s15
	s_cbranch_execz .LBB28_11
.LBB28_9:                               ; =>This Inner Loop Header: Depth=1
	global_load_dword v48, v[33:34], off
	s_waitcnt vmcnt(0) lgkmcnt(0)
	v_mad_i64_i32 v[48:49], null, v48, s27, 0
	v_lshlrev_b64 v[48:49], 2, v[48:49]
	v_add_co_u32 v48, s3, v41, v48
	v_add_co_ci_u32_e64 v49, null, v43, v49, s3
	s_clause 0x6
	global_load_dwordx2 v[50:51], v[48:49], off offset:256
	global_load_dwordx2 v[52:53], v[48:49], off offset:512
	;; [unrolled: 1-line block ×3, first 2 shown]
	global_load_dwordx2 v[56:57], v[48:49], off
	global_load_dwordx2 v[58:59], v[48:49], off offset:1024
	global_load_dwordx2 v[60:61], v[48:49], off offset:1280
	;; [unrolled: 1-line block ×3, first 2 shown]
	v_add_co_u32 v64, s3, 0x800, v48
	v_add_co_ci_u32_e64 v65, null, 0, v49, s3
	s_clause 0x8
	global_load_dwordx2 v[48:49], v[48:49], off offset:1792
	global_load_dwordx2 v[66:67], v[64:65], off
	global_load_dwordx2 v[68:69], v[64:65], off offset:256
	global_load_dwordx2 v[70:71], v[64:65], off offset:512
	;; [unrolled: 1-line block ×7, first 2 shown]
	s_waitcnt vmcnt(15)
	v_mul_f32_e32 v50, v3, v50
	v_mul_f32_e32 v51, v4, v51
	s_waitcnt vmcnt(12)
	v_fmac_f32_e32 v50, v1, v56
	v_fmac_f32_e32 v51, v2, v57
	;; [unrolled: 1-line block ×6, first 2 shown]
	s_waitcnt vmcnt(11)
	v_fmac_f32_e32 v50, v9, v58
	v_fmac_f32_e32 v51, v10, v59
	s_waitcnt vmcnt(10)
	v_fmac_f32_e32 v50, v11, v60
	v_fmac_f32_e32 v51, v12, v61
	s_waitcnt vmcnt(9)
	v_fmac_f32_e32 v50, v13, v62
	v_fmac_f32_e32 v51, v14, v63
	s_waitcnt vmcnt(8)
	v_fmac_f32_e32 v50, v15, v48
	v_fmac_f32_e32 v51, v16, v49
	s_waitcnt vmcnt(7)
	v_fmac_f32_e32 v50, v17, v66
	v_fmac_f32_e32 v51, v18, v67
	s_waitcnt vmcnt(6)
	v_fmac_f32_e32 v50, v19, v68
	v_fmac_f32_e32 v51, v20, v69
	s_waitcnt vmcnt(5)
	v_fmac_f32_e32 v50, v21, v70
	v_fmac_f32_e32 v51, v22, v71
	s_waitcnt vmcnt(4)
	v_fmac_f32_e32 v50, v23, v72
	v_fmac_f32_e32 v51, v24, v73
	s_waitcnt vmcnt(3) lgkmcnt(1)
	v_fmac_f32_e32 v50, v25, v74
	v_fmac_f32_e32 v51, v26, v75
	s_waitcnt vmcnt(2)
	v_fmac_f32_e32 v50, v27, v76
	v_fmac_f32_e32 v51, v28, v77
	s_waitcnt vmcnt(1) lgkmcnt(0)
	v_fmac_f32_e32 v50, v29, v78
	v_fmac_f32_e32 v51, v30, v79
	s_waitcnt vmcnt(0)
	v_fmac_f32_e32 v50, v31, v64
	v_fmac_f32_e32 v51, v32, v65
	v_add_f32_e32 v48, v50, v51
	ds_bpermute_b32 v49, v44, v48
	s_and_saveexec_b32 s4, vcc_lo
	s_cbranch_execz .LBB28_8
; %bb.10:                               ;   in Loop: Header=BB28_9 Depth=1
	v_add_nc_u32_e32 v50, s5, v45
	s_waitcnt lgkmcnt(0)
	v_add_f32_e32 v48, v48, v49
	v_cmp_gt_i32_e64 s3, s11, v45
	v_cvt_f32_i32_e32 v50, v50
	v_mul_f32_e32 v50, s24, v50
	v_cndmask_b32_e64 v49, 0, v50, s2
	v_max_f32_e32 v50, v40, v40
	v_fmac_f32_e32 v49, s25, v48
	v_max_f32_e32 v48, v50, v49
	v_cndmask_b32_e64 v49, 0, v49, s3
	v_cndmask_b32_e64 v40, v40, v48, s3
	ds_write_b32 v46, v49
	s_branch .LBB28_8
.LBB28_11:
	s_or_b32 exec_lo, exec_lo, s15
.LBB28_12:
	s_or_b32 exec_lo, exec_lo, s26
	v_xor_b32_e32 v1, 16, v37
	v_xor_b32_e32 v3, 8, v37
	v_max_f32_e32 v4, v40, v40
	v_xor_b32_e32 v5, 4, v37
	v_cmp_lt_i32_e32 vcc_lo, v1, v42
	v_cndmask_b32_e32 v1, v37, v1, vcc_lo
	v_cmp_lt_i32_e32 vcc_lo, v3, v42
	v_lshlrev_b32_e32 v1, 2, v1
	v_cndmask_b32_e32 v3, v37, v3, vcc_lo
	v_cmp_lt_i32_e32 vcc_lo, v5, v42
	ds_bpermute_b32 v2, v1, v40
	v_lshlrev_b32_e32 v3, 2, v3
	v_cndmask_b32_e32 v5, v37, v5, vcc_lo
	v_and_b32_e32 v40, 31, v0
	s_waitcnt lgkmcnt(0)
	v_max_f32_e32 v2, v2, v2
	v_max_f32_e32 v2, v4, v2
	ds_bpermute_b32 v4, v3, v2
	s_waitcnt lgkmcnt(0)
	v_max_f32_e32 v6, v4, v4
	v_lshlrev_b32_e32 v4, 2, v5
	v_max_f32_e32 v2, v2, v6
	v_xor_b32_e32 v6, 2, v37
	ds_bpermute_b32 v5, v4, v2
	v_cmp_lt_i32_e32 vcc_lo, v6, v42
	v_cndmask_b32_e32 v6, v37, v6, vcc_lo
	v_cmp_eq_u32_e32 vcc_lo, 0, v40
	v_lshlrev_b32_e32 v41, 2, v6
	s_waitcnt lgkmcnt(0)
	v_max_f32_e32 v5, v5, v5
	v_max_f32_e32 v2, v2, v5
	v_lshlrev_b32_e32 v5, 2, v39
	ds_bpermute_b32 v6, v41, v2
	s_and_saveexec_b32 s2, vcc_lo
	s_cbranch_execz .LBB28_14
; %bb.13:
	s_waitcnt lgkmcnt(0)
	v_max_f32_e32 v6, v6, v6
	v_max_f32_e32 v2, v2, v2
	;; [unrolled: 1-line block ×3, first 2 shown]
	ds_write_b32 v5, v2 offset:256
.LBB28_14:
	s_or_b32 exec_lo, exec_lo, s2
	v_cmp_gt_u32_e64 s2, 4, v40
	v_mov_b32_e32 v2, 0xff7fffff
	s_waitcnt lgkmcnt(0)
	v_lshlrev_b32_e32 v6, 2, v40
	s_barrier
	buffer_gl0_inv
	s_and_saveexec_b32 s3, s2
; %bb.15:
	ds_read_b32 v2, v6 offset:256
; %bb.16:
	s_or_b32 exec_lo, exec_lo, s3
	s_waitcnt lgkmcnt(0)
	ds_bpermute_b32 v7, v41, v2
	v_xor_b32_e32 v8, 1, v37
	v_max_f32_e32 v2, v2, v2
	v_cmp_lt_i32_e64 s3, v8, v42
	v_cndmask_b32_e64 v8, v37, v8, s3
	s_lshl_b32 s3, s12, 4
	s_min_i32 s5, s3, s11
	v_lshlrev_b32_e32 v42, 2, v8
	v_cmp_gt_i32_e64 s3, s5, v0
	s_waitcnt lgkmcnt(0)
	v_max_f32_e32 v7, v7, v7
	v_max_f32_e32 v2, v2, v7
	ds_bpermute_b32 v7, v42, v2
	s_waitcnt lgkmcnt(0)
	v_max_f32_e32 v7, v7, v7
	v_max_f32_e32 v2, v2, v7
	v_lshlrev_b32_e32 v7, 2, v38
	ds_bpermute_b32 v8, v7, v2
	v_mov_b32_e32 v7, 0
	v_lshl_add_u32 v2, v0, 2, 0x120
	s_and_saveexec_b32 s15, s3
	s_cbranch_execz .LBB28_20
; %bb.17:
	v_lshl_add_u32 v9, v0, 2, 0x120
	v_mov_b32_e32 v7, 0
	v_mov_b32_e32 v10, v0
	s_mov_b32 s24, 0
	.p2align	6
.LBB28_18:                              ; =>This Inner Loop Header: Depth=1
	ds_read_b32 v11, v9
	v_add_nc_u32_e32 v10, 0x80, v10
	v_cmp_le_i32_e64 s4, s5, v10
	s_or_b32 s24, s4, s24
	s_waitcnt lgkmcnt(0)
	v_sub_f32_e32 v11, v11, v8
	v_mul_f32_e32 v11, 0x3fb8aa3b, v11
	v_exp_f32_e32 v11, v11
	ds_write_b32 v9, v11
	v_add_f32_e32 v7, v7, v11
	v_add_nc_u32_e32 v9, 0x200, v9
	s_andn2_b32 exec_lo, exec_lo, s24
	s_cbranch_execnz .LBB28_18
; %bb.19:
	s_or_b32 exec_lo, exec_lo, s24
.LBB28_20:
	s_or_b32 exec_lo, exec_lo, s15
	ds_bpermute_b32 v1, v1, v7
	s_waitcnt lgkmcnt(0)
	v_add_f32_e32 v1, v7, v1
	ds_bpermute_b32 v3, v3, v1
	s_waitcnt lgkmcnt(0)
	v_add_f32_e32 v1, v1, v3
	;; [unrolled: 3-line block ×5, first 2 shown]
	s_and_saveexec_b32 s4, vcc_lo
; %bb.21:
	ds_write_b32 v5, v1 offset:272
; %bb.22:
	s_or_b32 exec_lo, exec_lo, s4
	s_waitcnt lgkmcnt(0)
	s_barrier
	buffer_gl0_inv
	s_and_saveexec_b32 s4, s2
; %bb.23:
	ds_read_b32 v1, v6 offset:272
; %bb.24:
	s_or_b32 exec_lo, exec_lo, s4
	s_waitcnt lgkmcnt(0)
	ds_bpermute_b32 v3, v41, v1
	v_lshlrev_b32_e32 v4, 2, v37
	s_waitcnt lgkmcnt(0)
	v_add_f32_e32 v1, v1, v3
	ds_bpermute_b32 v3, v42, v1
	s_waitcnt lgkmcnt(0)
	v_add_f32_e32 v1, v1, v3
	v_and_b32_e32 v3, 0xffffff80, v4
	ds_bpermute_b32 v1, v3, v1
	s_and_saveexec_b32 s2, s3
	s_cbranch_execz .LBB28_27
; %bb.25:
	s_waitcnt lgkmcnt(0)
	v_add_f32_e32 v1, 0x358637bd, v1
	s_mov_b32 s3, 0
	v_div_scale_f32 v3, null, v1, v1, 1.0
	v_div_scale_f32 v6, vcc_lo, 1.0, v1, 1.0
	v_rcp_f32_e32 v4, v3
	v_fma_f32 v5, -v3, v4, 1.0
	v_fmac_f32_e32 v4, v5, v4
	v_mul_f32_e32 v5, v6, v4
	v_fma_f32 v7, -v3, v5, v6
	v_fmac_f32_e32 v5, v7, v4
	v_fma_f32 v3, -v3, v5, v6
	v_div_fmas_f32 v3, v3, v4, v5
	v_div_fixup_f32 v1, v3, v1, 1.0
	v_mov_b32_e32 v3, v0
.LBB28_26:                              ; =>This Inner Loop Header: Depth=1
	ds_read_b32 v4, v2
	v_add_nc_u32_e32 v3, 0x80, v3
	v_cmp_le_i32_e32 vcc_lo, s5, v3
	s_or_b32 s3, vcc_lo, s3
	s_waitcnt lgkmcnt(0)
	v_mul_f32_e32 v4, v1, v4
	ds_write_b32 v2, v4
	v_add_nc_u32_e32 v2, 0x200, v2
	s_andn2_b32 exec_lo, exec_lo, s3
	s_cbranch_execnz .LBB28_26
.LBB28_27:
	s_or_b32 exec_lo, exec_lo, s2
	v_mov_b32_e32 v49, 0
	v_and_b32_e32 v43, 3, v0
	v_mov_b32_e32 v51, 0
	v_mov_b32_e32 v50, 0
	;; [unrolled: 1-line block ×7, first 2 shown]
	s_waitcnt lgkmcnt(0)
	s_barrier
	buffer_gl0_inv
	s_and_saveexec_b32 s2, s1
	s_cbranch_execz .LBB28_47
; %bb.28:
	v_lshlrev_b32_e32 v2, 4, v0
	s_ashr_i32 s15, s14, 31
	v_and_b32_e32 v1, 12, v35
	s_lshl_b64 s[4:5], s[14:15], 2
	v_lshlrev_b32_e32 v4, 4, v39
	v_and_b32_e32 v2, 0x1f0, v2
	s_add_u32 s1, s22, s4
	v_lshlrev_b32_e32 v3, 4, v43
	s_addc_u32 s4, s23, s5
	v_or3_b32 v54, v4, v1, 3
	v_add_co_u32 v52, s1, s1, v2
	v_and_b32_e32 v1, 0x7c, v36
	v_add_co_ci_u32_e64 v53, null, s4, 0, s1
	s_lshl_b64 s[4:5], s[20:21], 2
	s_add_i32 s3, s12, -1
	v_lshl_or_b32 v3, v39, 6, v3
	s_add_u32 s1, s18, s4
	s_addc_u32 s4, s19, s5
	v_add_co_u32 v37, s1, s1, v1
	v_mov_b32_e32 v44, 0
	v_add_nc_u32_e32 v55, 0x120, v3
	v_add_co_ci_u32_e64 v38, null, s4, 0, s1
	v_mov_b32_e32 v45, 0
	v_mov_b32_e32 v46, 0
	;; [unrolled: 1-line block ×8, first 2 shown]
	s_mov_b32 s5, s13
	s_mov_b32 s4, 0
	s_branch .LBB28_30
.LBB28_29:                              ;   in Loop: Header=BB28_30 Depth=1
	s_or_b32 exec_lo, exec_lo, s1
	s_waitcnt vmcnt(1) lgkmcnt(0)
	v_mul_f32_e32 v29, v1, v29
	v_mul_f32_e32 v25, v1, v25
	;; [unrolled: 1-line block ×7, first 2 shown]
	s_waitcnt vmcnt(0)
	v_mul_f32_e32 v1, v1, v33
	v_fmac_f32_e32 v29, v2, v30
	v_fmac_f32_e32 v25, v2, v26
	;; [unrolled: 1-line block ×16, first 2 shown]
	v_add_nc_u32_e32 v56, 4, v56
	v_fmac_f32_e32 v29, v4, v32
	v_fmac_f32_e32 v25, v4, v28
	v_fmac_f32_e32 v21, v4, v24
	v_fmac_f32_e32 v17, v4, v20
	v_fmac_f32_e32 v13, v4, v16
	v_fmac_f32_e32 v9, v4, v12
	v_fmac_f32_e32 v5, v4, v8
	v_fmac_f32_e32 v1, v4, v36
	v_cmp_le_i32_e32 vcc_lo, s12, v56
	v_add_co_u32 v37, s1, v37, 16
	v_add_f32_e32 v45, v45, v29
	v_add_f32_e32 v46, v46, v25
	;; [unrolled: 1-line block ×8, first 2 shown]
	v_add_nc_u32_e32 v54, 64, v54
	v_add_nc_u32_e32 v55, 0x100, v55
	v_add_co_ci_u32_e64 v38, null, 0, v38, s1
	s_or_b32 s4, vcc_lo, s4
	s_andn2_b32 exec_lo, exec_lo, s4
	s_cbranch_execz .LBB28_46
.LBB28_30:                              ; =>This Inner Loop Header: Depth=1
	global_load_dword v1, v[37:38], off
	v_add_nc_u32_e32 v57, -3, v54
	v_add_nc_u32_e32 v59, -2, v54
	;; [unrolled: 1-line block ×3, first 2 shown]
	s_waitcnt vmcnt(0)
	v_mad_i64_i32 v[1:2], null, v1, s5, 0
	v_lshlrev_b64 v[1:2], 2, v[1:2]
	v_add_co_u32 v21, vcc_lo, v52, v1
	v_add_co_ci_u32_e64 v22, null, v53, v2, vcc_lo
	ds_read_b128 v[1:4], v55
	v_cmp_eq_u32_e32 vcc_lo, s3, v56
	global_load_dwordx4 v[5:8], v[21:22], off
	s_and_saveexec_b32 s13, vcc_lo
	s_cbranch_execnz .LBB28_39
; %bb.31:                               ;   in Loop: Header=BB28_30 Depth=1
	s_or_b32 exec_lo, exec_lo, s13
	global_load_dwordx4 v[9:12], v[21:22], off offset:512
	s_and_saveexec_b32 s13, vcc_lo
	s_cbranch_execnz .LBB28_40
.LBB28_32:                              ;   in Loop: Header=BB28_30 Depth=1
	s_or_b32 exec_lo, exec_lo, s13
	global_load_dwordx4 v[13:16], v[21:22], off offset:1024
	s_and_saveexec_b32 s13, vcc_lo
	s_cbranch_execnz .LBB28_41
.LBB28_33:                              ;   in Loop: Header=BB28_30 Depth=1
	s_or_b32 exec_lo, exec_lo, s13
	global_load_dwordx4 v[17:20], v[21:22], off offset:1536
	s_and_saveexec_b32 s13, vcc_lo
	s_cbranch_execz .LBB28_35
.LBB28_34:                              ;   in Loop: Header=BB28_30 Depth=1
	v_cmp_gt_i32_e64 s1, s11, v57
	s_waitcnt vmcnt(0)
	v_cndmask_b32_e64 v17, 0, v17, s1
	v_cmp_gt_i32_e64 s1, s11, v59
	v_cndmask_b32_e64 v18, 0, v18, s1
	v_cmp_gt_i32_e64 s1, s11, v58
	;; [unrolled: 2-line block ×3, first 2 shown]
	v_cndmask_b32_e64 v20, 0, v20, s1
.LBB28_35:                              ;   in Loop: Header=BB28_30 Depth=1
	s_or_b32 exec_lo, exec_lo, s13
	v_add_co_u32 v33, s1, 0x800, v21
	v_add_co_ci_u32_e64 v34, null, 0, v22, s1
	global_load_dwordx4 v[21:24], v[33:34], off
	s_and_saveexec_b32 s13, vcc_lo
	s_cbranch_execnz .LBB28_42
; %bb.36:                               ;   in Loop: Header=BB28_30 Depth=1
	s_or_b32 exec_lo, exec_lo, s13
	global_load_dwordx4 v[25:28], v[33:34], off offset:512
	s_and_saveexec_b32 s13, vcc_lo
	s_cbranch_execnz .LBB28_43
.LBB28_37:                              ;   in Loop: Header=BB28_30 Depth=1
	s_or_b32 exec_lo, exec_lo, s13
	global_load_dwordx4 v[29:32], v[33:34], off offset:1024
	s_and_saveexec_b32 s13, vcc_lo
	s_cbranch_execnz .LBB28_44
.LBB28_38:                              ;   in Loop: Header=BB28_30 Depth=1
	s_or_b32 exec_lo, exec_lo, s13
	global_load_dwordx4 v[33:36], v[33:34], off offset:1536
	s_and_saveexec_b32 s1, vcc_lo
	s_cbranch_execz .LBB28_29
	s_branch .LBB28_45
.LBB28_39:                              ;   in Loop: Header=BB28_30 Depth=1
	v_cmp_gt_i32_e64 s1, s11, v57
	s_waitcnt vmcnt(0)
	v_cndmask_b32_e64 v5, 0, v5, s1
	v_cmp_gt_i32_e64 s1, s11, v59
	v_cndmask_b32_e64 v6, 0, v6, s1
	v_cmp_gt_i32_e64 s1, s11, v58
	v_cndmask_b32_e64 v7, 0, v7, s1
	v_cmp_gt_i32_e64 s1, s11, v54
	v_cndmask_b32_e64 v8, 0, v8, s1
	s_or_b32 exec_lo, exec_lo, s13
	global_load_dwordx4 v[9:12], v[21:22], off offset:512
	s_and_saveexec_b32 s13, vcc_lo
	s_cbranch_execz .LBB28_32
.LBB28_40:                              ;   in Loop: Header=BB28_30 Depth=1
	v_cmp_gt_i32_e64 s1, s11, v57
	s_waitcnt vmcnt(0)
	v_cndmask_b32_e64 v9, 0, v9, s1
	v_cmp_gt_i32_e64 s1, s11, v59
	v_cndmask_b32_e64 v10, 0, v10, s1
	v_cmp_gt_i32_e64 s1, s11, v58
	v_cndmask_b32_e64 v11, 0, v11, s1
	v_cmp_gt_i32_e64 s1, s11, v54
	v_cndmask_b32_e64 v12, 0, v12, s1
	s_or_b32 exec_lo, exec_lo, s13
	global_load_dwordx4 v[13:16], v[21:22], off offset:1024
	s_and_saveexec_b32 s13, vcc_lo
	s_cbranch_execz .LBB28_33
.LBB28_41:                              ;   in Loop: Header=BB28_30 Depth=1
	v_cmp_gt_i32_e64 s1, s11, v57
	s_waitcnt vmcnt(0)
	v_cndmask_b32_e64 v13, 0, v13, s1
	v_cmp_gt_i32_e64 s1, s11, v59
	v_cndmask_b32_e64 v14, 0, v14, s1
	v_cmp_gt_i32_e64 s1, s11, v58
	v_cndmask_b32_e64 v15, 0, v15, s1
	v_cmp_gt_i32_e64 s1, s11, v54
	v_cndmask_b32_e64 v16, 0, v16, s1
	s_or_b32 exec_lo, exec_lo, s13
	global_load_dwordx4 v[17:20], v[21:22], off offset:1536
	s_and_saveexec_b32 s13, vcc_lo
	s_cbranch_execnz .LBB28_34
	s_branch .LBB28_35
.LBB28_42:                              ;   in Loop: Header=BB28_30 Depth=1
	v_cmp_gt_i32_e64 s1, s11, v57
	s_waitcnt vmcnt(0)
	v_cndmask_b32_e64 v21, 0, v21, s1
	v_cmp_gt_i32_e64 s1, s11, v59
	v_cndmask_b32_e64 v22, 0, v22, s1
	v_cmp_gt_i32_e64 s1, s11, v58
	;; [unrolled: 2-line block ×3, first 2 shown]
	v_cndmask_b32_e64 v24, 0, v24, s1
	s_or_b32 exec_lo, exec_lo, s13
	global_load_dwordx4 v[25:28], v[33:34], off offset:512
	s_and_saveexec_b32 s13, vcc_lo
	s_cbranch_execz .LBB28_37
.LBB28_43:                              ;   in Loop: Header=BB28_30 Depth=1
	v_cmp_gt_i32_e64 s1, s11, v57
	s_waitcnt vmcnt(0)
	v_cndmask_b32_e64 v25, 0, v25, s1
	v_cmp_gt_i32_e64 s1, s11, v59
	v_cndmask_b32_e64 v26, 0, v26, s1
	v_cmp_gt_i32_e64 s1, s11, v58
	;; [unrolled: 2-line block ×3, first 2 shown]
	v_cndmask_b32_e64 v28, 0, v28, s1
	s_or_b32 exec_lo, exec_lo, s13
	global_load_dwordx4 v[29:32], v[33:34], off offset:1024
	s_and_saveexec_b32 s13, vcc_lo
	s_cbranch_execz .LBB28_38
.LBB28_44:                              ;   in Loop: Header=BB28_30 Depth=1
	v_cmp_gt_i32_e64 s1, s11, v57
	s_waitcnt vmcnt(0)
	v_cndmask_b32_e64 v29, 0, v29, s1
	v_cmp_gt_i32_e64 s1, s11, v59
	v_cndmask_b32_e64 v30, 0, v30, s1
	v_cmp_gt_i32_e64 s1, s11, v58
	;; [unrolled: 2-line block ×3, first 2 shown]
	v_cndmask_b32_e64 v32, 0, v32, s1
	s_or_b32 exec_lo, exec_lo, s13
	global_load_dwordx4 v[33:36], v[33:34], off offset:1536
	s_and_saveexec_b32 s1, vcc_lo
	s_cbranch_execz .LBB28_29
.LBB28_45:                              ;   in Loop: Header=BB28_30 Depth=1
	v_cmp_gt_i32_e32 vcc_lo, s11, v57
	s_waitcnt vmcnt(0)
	v_cndmask_b32_e32 v33, 0, v33, vcc_lo
	v_cmp_gt_i32_e32 vcc_lo, s11, v59
	v_cndmask_b32_e32 v34, 0, v34, vcc_lo
	v_cmp_gt_i32_e32 vcc_lo, s11, v58
	;; [unrolled: 2-line block ×3, first 2 shown]
	v_cndmask_b32_e32 v36, 0, v36, vcc_lo
	s_branch .LBB28_29
.LBB28_46:
	s_or_b32 exec_lo, exec_lo, s4
.LBB28_47:
	s_or_b32 exec_lo, exec_lo, s2
	ds_bpermute_b32 v1, v41, v49
	ds_bpermute_b32 v2, v41, v51
	;; [unrolled: 1-line block ×8, first 2 shown]
	v_and_b32_e32 v10, 28, v40
	v_lshrrev_b32_e32 v9, 2, v40
	v_lshlrev_b32_e32 v11, 8, v39
	v_and_b32_e32 v20, 0x3c3, v0
	s_mov_b32 s1, exec_lo
	v_add_nc_u32_e32 v10, 0x120, v10
	s_waitcnt lgkmcnt(0)
	s_barrier
	buffer_gl0_inv
	v_add_f32_e32 v1, v49, v1
	v_add_f32_e32 v2, v51, v2
	;; [unrolled: 1-line block ×8, first 2 shown]
	ds_bpermute_b32 v12, v42, v1
	ds_bpermute_b32 v13, v42, v2
	;; [unrolled: 1-line block ×8, first 2 shown]
	s_waitcnt lgkmcnt(7)
	v_add_f32_e32 v1, v1, v12
	s_waitcnt lgkmcnt(6)
	v_add_f32_e32 v2, v2, v13
	;; [unrolled: 2-line block ×8, first 2 shown]
	v_cmpx_eq_u32_e32 64, v20
	s_cbranch_execz .LBB28_49
; %bb.48:
	v_add_nc_u32_e32 v12, v10, v11
	v_add_nc_u32_e32 v13, 0xfffffe00, v12
	;; [unrolled: 1-line block ×9, first 2 shown]
	ds_write_b32 v13, v1
	ds_write_b32 v14, v2
	;; [unrolled: 1-line block ×8, first 2 shown]
.LBB28_49:
	s_or_b32 exec_lo, exec_lo, s1
	v_lshlrev_b32_e32 v9, 2, v9
	s_mov_b32 s2, exec_lo
	v_cmp_eq_u32_e32 vcc_lo, 0, v43
	s_waitcnt lgkmcnt(0)
	s_barrier
	v_add3_u32 v9, 0x120, v11, v9
	buffer_gl0_inv
	v_cmpx_gt_u32_e32 64, v0
	s_cbranch_execz .LBB28_60
; %bb.50:
	s_and_saveexec_b32 s1, vcc_lo
	s_cbranch_execnz .LBB28_76
; %bb.51:
	s_or_b32 exec_lo, exec_lo, s1
	s_and_saveexec_b32 s1, vcc_lo
	s_cbranch_execnz .LBB28_77
.LBB28_52:
	s_or_b32 exec_lo, exec_lo, s1
	s_and_saveexec_b32 s1, vcc_lo
	s_cbranch_execnz .LBB28_78
.LBB28_53:
	s_or_b32 exec_lo, exec_lo, s1
	s_and_saveexec_b32 s1, vcc_lo
	s_cbranch_execnz .LBB28_79
.LBB28_54:
	s_or_b32 exec_lo, exec_lo, s1
	s_and_saveexec_b32 s1, vcc_lo
	s_cbranch_execnz .LBB28_80
.LBB28_55:
	s_or_b32 exec_lo, exec_lo, s1
	s_and_saveexec_b32 s1, vcc_lo
	s_cbranch_execnz .LBB28_81
.LBB28_56:
	s_or_b32 exec_lo, exec_lo, s1
	s_and_saveexec_b32 s1, vcc_lo
	s_cbranch_execnz .LBB28_82
.LBB28_57:
	s_or_b32 exec_lo, exec_lo, s1
	s_and_saveexec_b32 s1, vcc_lo
	s_cbranch_execz .LBB28_59
.LBB28_58:
	ds_read_b32 v11, v9 offset:224
	s_waitcnt lgkmcnt(0)
	v_add_f32_e32 v8, v8, v11
.LBB28_59:
	s_or_b32 exec_lo, exec_lo, s1
.LBB28_60:
	s_or_b32 exec_lo, exec_lo, s2
	v_and_b32_e32 v11, 0x3e3, v0
	s_mov_b32 s2, exec_lo
	s_barrier
	buffer_gl0_inv
	v_cmpx_eq_u32_e32 32, v11
	s_cbranch_execz .LBB28_62
; %bb.61:
	ds_write2_b32 v10, v1, v2 offset1:8
	ds_write2_b32 v10, v3, v4 offset0:16 offset1:24
	ds_write2_b32 v10, v5, v6 offset0:32 offset1:40
	ds_write2_b32 v10, v7, v8 offset0:48 offset1:56
.LBB28_62:
	s_or_b32 exec_lo, exec_lo, s2
	s_waitcnt lgkmcnt(0)
	s_barrier
	buffer_gl0_inv
	s_and_saveexec_b32 s1, s0
	s_cbranch_execz .LBB28_73
; %bb.63:
	s_and_saveexec_b32 s0, vcc_lo
	s_cbranch_execnz .LBB28_83
; %bb.64:
	s_or_b32 exec_lo, exec_lo, s0
	s_and_saveexec_b32 s0, vcc_lo
	s_cbranch_execnz .LBB28_84
.LBB28_65:
	s_or_b32 exec_lo, exec_lo, s0
	s_and_saveexec_b32 s0, vcc_lo
	s_cbranch_execnz .LBB28_85
.LBB28_66:
	s_or_b32 exec_lo, exec_lo, s0
	s_and_saveexec_b32 s0, vcc_lo
	s_cbranch_execnz .LBB28_86
.LBB28_67:
	s_or_b32 exec_lo, exec_lo, s0
	s_and_saveexec_b32 s0, vcc_lo
	s_cbranch_execnz .LBB28_87
.LBB28_68:
	s_or_b32 exec_lo, exec_lo, s0
	s_and_saveexec_b32 s0, vcc_lo
	s_cbranch_execnz .LBB28_88
.LBB28_69:
	s_or_b32 exec_lo, exec_lo, s0
	s_and_saveexec_b32 s0, vcc_lo
	s_cbranch_execnz .LBB28_89
.LBB28_70:
	s_or_b32 exec_lo, exec_lo, s0
	s_and_saveexec_b32 s0, vcc_lo
	s_cbranch_execz .LBB28_72
.LBB28_71:
	ds_read_b32 v9, v9 offset:224
	s_waitcnt lgkmcnt(0)
	v_add_f32_e32 v8, v8, v9
.LBB28_72:
	s_or_b32 exec_lo, exec_lo, s0
.LBB28_73:
	s_or_b32 exec_lo, exec_lo, s1
	s_barrier
	buffer_gl0_inv
	s_mov_b32 s0, exec_lo
	v_cmpx_eq_u32_e32 0, v11
	s_cbranch_execz .LBB28_75
; %bb.74:
	s_mul_i32 s0, s10, s7
	s_mul_i32 s2, s7, s6
	;; [unrolled: 1-line block ×3, first 2 shown]
	s_lshl_b32 s0, s0, 6
	s_ashr_i32 s1, s0, 31
	s_lshl_b64 s[0:1], s[0:1], 2
	s_add_u32 s4, s16, s0
	s_addc_u32 s5, s17, s1
	s_ashr_i32 s3, s2, 31
	s_lshl_b64 s[0:1], s[2:3], 2
	s_add_u32 s2, s4, s0
	s_addc_u32 s3, s5, s1
	s_lshl_b32 s0, s8, 6
	s_ashr_i32 s1, s0, 31
	s_lshl_b64 s[0:1], s[0:1], 2
	s_add_u32 s0, s2, s0
	s_addc_u32 s1, s3, s1
	global_store_dword v0, v1, s[0:1]
	global_store_dword v0, v2, s[0:1] offset:32
	global_store_dword v0, v3, s[0:1] offset:64
	;; [unrolled: 1-line block ×7, first 2 shown]
.LBB28_75:
	s_endpgm
.LBB28_76:
	ds_read_b32 v11, v9
	s_waitcnt lgkmcnt(0)
	v_add_f32_e32 v1, v1, v11
	s_or_b32 exec_lo, exec_lo, s1
	s_and_saveexec_b32 s1, vcc_lo
	s_cbranch_execz .LBB28_52
.LBB28_77:
	ds_read_b32 v11, v9 offset:32
	s_waitcnt lgkmcnt(0)
	v_add_f32_e32 v2, v2, v11
	s_or_b32 exec_lo, exec_lo, s1
	s_and_saveexec_b32 s1, vcc_lo
	s_cbranch_execz .LBB28_53
.LBB28_78:
	ds_read_b32 v11, v9 offset:64
	s_waitcnt lgkmcnt(0)
	v_add_f32_e32 v3, v3, v11
	s_or_b32 exec_lo, exec_lo, s1
	s_and_saveexec_b32 s1, vcc_lo
	s_cbranch_execz .LBB28_54
.LBB28_79:
	ds_read_b32 v11, v9 offset:96
	s_waitcnt lgkmcnt(0)
	v_add_f32_e32 v4, v4, v11
	s_or_b32 exec_lo, exec_lo, s1
	s_and_saveexec_b32 s1, vcc_lo
	s_cbranch_execz .LBB28_55
.LBB28_80:
	ds_read_b32 v11, v9 offset:128
	s_waitcnt lgkmcnt(0)
	v_add_f32_e32 v5, v5, v11
	s_or_b32 exec_lo, exec_lo, s1
	s_and_saveexec_b32 s1, vcc_lo
	s_cbranch_execz .LBB28_56
.LBB28_81:
	ds_read_b32 v11, v9 offset:160
	s_waitcnt lgkmcnt(0)
	v_add_f32_e32 v6, v6, v11
	s_or_b32 exec_lo, exec_lo, s1
	s_and_saveexec_b32 s1, vcc_lo
	s_cbranch_execz .LBB28_57
.LBB28_82:
	ds_read_b32 v11, v9 offset:192
	s_waitcnt lgkmcnt(0)
	v_add_f32_e32 v7, v7, v11
	s_or_b32 exec_lo, exec_lo, s1
	s_and_saveexec_b32 s1, vcc_lo
	s_cbranch_execnz .LBB28_58
	s_branch .LBB28_59
.LBB28_83:
	ds_read_b32 v10, v9
	s_waitcnt lgkmcnt(0)
	v_add_f32_e32 v1, v1, v10
	s_or_b32 exec_lo, exec_lo, s0
	s_and_saveexec_b32 s0, vcc_lo
	s_cbranch_execz .LBB28_65
.LBB28_84:
	ds_read_b32 v10, v9 offset:32
	s_waitcnt lgkmcnt(0)
	v_add_f32_e32 v2, v2, v10
	s_or_b32 exec_lo, exec_lo, s0
	s_and_saveexec_b32 s0, vcc_lo
	s_cbranch_execz .LBB28_66
.LBB28_85:
	ds_read_b32 v10, v9 offset:64
	s_waitcnt lgkmcnt(0)
	v_add_f32_e32 v3, v3, v10
	s_or_b32 exec_lo, exec_lo, s0
	s_and_saveexec_b32 s0, vcc_lo
	s_cbranch_execz .LBB28_67
.LBB28_86:
	ds_read_b32 v10, v9 offset:96
	s_waitcnt lgkmcnt(0)
	v_add_f32_e32 v4, v4, v10
	s_or_b32 exec_lo, exec_lo, s0
	s_and_saveexec_b32 s0, vcc_lo
	s_cbranch_execz .LBB28_68
.LBB28_87:
	ds_read_b32 v10, v9 offset:128
	s_waitcnt lgkmcnt(0)
	v_add_f32_e32 v5, v5, v10
	s_or_b32 exec_lo, exec_lo, s0
	s_and_saveexec_b32 s0, vcc_lo
	s_cbranch_execz .LBB28_69
.LBB28_88:
	ds_read_b32 v10, v9 offset:160
	s_waitcnt lgkmcnt(0)
	v_add_f32_e32 v6, v6, v10
	s_or_b32 exec_lo, exec_lo, s0
	s_and_saveexec_b32 s0, vcc_lo
	s_cbranch_execz .LBB28_70
.LBB28_89:
	ds_read_b32 v10, v9 offset:192
	s_waitcnt lgkmcnt(0)
	v_add_f32_e32 v7, v7, v10
	s_or_b32 exec_lo, exec_lo, s0
	s_and_saveexec_b32 s0, vcc_lo
	s_cbranch_execnz .LBB28_71
	s_branch .LBB28_72
	.section	.rodata,"a",@progbits
	.p2align	6, 0x0
	.amdhsa_kernel _ZN4vllm25paged_attention_v1_kernelIffLi64ELi16ELi128ELNS_18Fp8KVCacheDataTypeE0ELb0EEEvPT_PKS2_PKT0_S8_ifPKiSA_iPKfiiiSC_SC_iiiii
		.amdhsa_group_segment_fixed_size 288
		.amdhsa_private_segment_fixed_size 0
		.amdhsa_kernarg_size 384
		.amdhsa_user_sgpr_count 6
		.amdhsa_user_sgpr_private_segment_buffer 1
		.amdhsa_user_sgpr_dispatch_ptr 0
		.amdhsa_user_sgpr_queue_ptr 0
		.amdhsa_user_sgpr_kernarg_segment_ptr 1
		.amdhsa_user_sgpr_dispatch_id 0
		.amdhsa_user_sgpr_flat_scratch_init 0
		.amdhsa_user_sgpr_private_segment_size 0
		.amdhsa_wavefront_size32 1
		.amdhsa_uses_dynamic_stack 0
		.amdhsa_system_sgpr_private_segment_wavefront_offset 0
		.amdhsa_system_sgpr_workgroup_id_x 1
		.amdhsa_system_sgpr_workgroup_id_y 1
		.amdhsa_system_sgpr_workgroup_id_z 1
		.amdhsa_system_sgpr_workgroup_info 0
		.amdhsa_system_vgpr_workitem_id 0
		.amdhsa_next_free_vgpr 80
		.amdhsa_next_free_sgpr 30
		.amdhsa_reserve_vcc 1
		.amdhsa_reserve_flat_scratch 0
		.amdhsa_float_round_mode_32 0
		.amdhsa_float_round_mode_16_64 0
		.amdhsa_float_denorm_mode_32 3
		.amdhsa_float_denorm_mode_16_64 3
		.amdhsa_dx10_clamp 1
		.amdhsa_ieee_mode 1
		.amdhsa_fp16_overflow 0
		.amdhsa_workgroup_processor_mode 1
		.amdhsa_memory_ordered 1
		.amdhsa_forward_progress 1
		.amdhsa_shared_vgpr_count 0
		.amdhsa_exception_fp_ieee_invalid_op 0
		.amdhsa_exception_fp_denorm_src 0
		.amdhsa_exception_fp_ieee_div_zero 0
		.amdhsa_exception_fp_ieee_overflow 0
		.amdhsa_exception_fp_ieee_underflow 0
		.amdhsa_exception_fp_ieee_inexact 0
		.amdhsa_exception_int_div_zero 0
	.end_amdhsa_kernel
	.section	.text._ZN4vllm25paged_attention_v1_kernelIffLi64ELi16ELi128ELNS_18Fp8KVCacheDataTypeE0ELb0EEEvPT_PKS2_PKT0_S8_ifPKiSA_iPKfiiiSC_SC_iiiii,"axG",@progbits,_ZN4vllm25paged_attention_v1_kernelIffLi64ELi16ELi128ELNS_18Fp8KVCacheDataTypeE0ELb0EEEvPT_PKS2_PKT0_S8_ifPKiSA_iPKfiiiSC_SC_iiiii,comdat
.Lfunc_end28:
	.size	_ZN4vllm25paged_attention_v1_kernelIffLi64ELi16ELi128ELNS_18Fp8KVCacheDataTypeE0ELb0EEEvPT_PKS2_PKT0_S8_ifPKiSA_iPKfiiiSC_SC_iiiii, .Lfunc_end28-_ZN4vllm25paged_attention_v1_kernelIffLi64ELi16ELi128ELNS_18Fp8KVCacheDataTypeE0ELb0EEEvPT_PKS2_PKT0_S8_ifPKiSA_iPKfiiiSC_SC_iiiii
                                        ; -- End function
	.set _ZN4vllm25paged_attention_v1_kernelIffLi64ELi16ELi128ELNS_18Fp8KVCacheDataTypeE0ELb0EEEvPT_PKS2_PKT0_S8_ifPKiSA_iPKfiiiSC_SC_iiiii.num_vgpr, 80
	.set _ZN4vllm25paged_attention_v1_kernelIffLi64ELi16ELi128ELNS_18Fp8KVCacheDataTypeE0ELb0EEEvPT_PKS2_PKT0_S8_ifPKiSA_iPKfiiiSC_SC_iiiii.num_agpr, 0
	.set _ZN4vllm25paged_attention_v1_kernelIffLi64ELi16ELi128ELNS_18Fp8KVCacheDataTypeE0ELb0EEEvPT_PKS2_PKT0_S8_ifPKiSA_iPKfiiiSC_SC_iiiii.numbered_sgpr, 30
	.set _ZN4vllm25paged_attention_v1_kernelIffLi64ELi16ELi128ELNS_18Fp8KVCacheDataTypeE0ELb0EEEvPT_PKS2_PKT0_S8_ifPKiSA_iPKfiiiSC_SC_iiiii.num_named_barrier, 0
	.set _ZN4vllm25paged_attention_v1_kernelIffLi64ELi16ELi128ELNS_18Fp8KVCacheDataTypeE0ELb0EEEvPT_PKS2_PKT0_S8_ifPKiSA_iPKfiiiSC_SC_iiiii.private_seg_size, 0
	.set _ZN4vllm25paged_attention_v1_kernelIffLi64ELi16ELi128ELNS_18Fp8KVCacheDataTypeE0ELb0EEEvPT_PKS2_PKT0_S8_ifPKiSA_iPKfiiiSC_SC_iiiii.uses_vcc, 1
	.set _ZN4vllm25paged_attention_v1_kernelIffLi64ELi16ELi128ELNS_18Fp8KVCacheDataTypeE0ELb0EEEvPT_PKS2_PKT0_S8_ifPKiSA_iPKfiiiSC_SC_iiiii.uses_flat_scratch, 0
	.set _ZN4vllm25paged_attention_v1_kernelIffLi64ELi16ELi128ELNS_18Fp8KVCacheDataTypeE0ELb0EEEvPT_PKS2_PKT0_S8_ifPKiSA_iPKfiiiSC_SC_iiiii.has_dyn_sized_stack, 0
	.set _ZN4vllm25paged_attention_v1_kernelIffLi64ELi16ELi128ELNS_18Fp8KVCacheDataTypeE0ELb0EEEvPT_PKS2_PKT0_S8_ifPKiSA_iPKfiiiSC_SC_iiiii.has_recursion, 0
	.set _ZN4vllm25paged_attention_v1_kernelIffLi64ELi16ELi128ELNS_18Fp8KVCacheDataTypeE0ELb0EEEvPT_PKS2_PKT0_S8_ifPKiSA_iPKfiiiSC_SC_iiiii.has_indirect_call, 0
	.section	.AMDGPU.csdata,"",@progbits
; Kernel info:
; codeLenInByte = 4976
; TotalNumSgprs: 32
; NumVgprs: 80
; ScratchSize: 0
; MemoryBound: 0
; FloatMode: 240
; IeeeMode: 1
; LDSByteSize: 288 bytes/workgroup (compile time only)
; SGPRBlocks: 0
; VGPRBlocks: 9
; NumSGPRsForWavesPerEU: 32
; NumVGPRsForWavesPerEU: 80
; Occupancy: 12
; WaveLimiterHint : 1
; COMPUTE_PGM_RSRC2:SCRATCH_EN: 0
; COMPUTE_PGM_RSRC2:USER_SGPR: 6
; COMPUTE_PGM_RSRC2:TRAP_HANDLER: 0
; COMPUTE_PGM_RSRC2:TGID_X_EN: 1
; COMPUTE_PGM_RSRC2:TGID_Y_EN: 1
; COMPUTE_PGM_RSRC2:TGID_Z_EN: 1
; COMPUTE_PGM_RSRC2:TIDIG_COMP_CNT: 0
	.section	.text._ZN4vllm25paged_attention_v1_kernelIffLi80ELi16ELi128ELNS_18Fp8KVCacheDataTypeE0ELb0EEEvPT_PKS2_PKT0_S8_ifPKiSA_iPKfiiiSC_SC_iiiii,"axG",@progbits,_ZN4vllm25paged_attention_v1_kernelIffLi80ELi16ELi128ELNS_18Fp8KVCacheDataTypeE0ELb0EEEvPT_PKS2_PKT0_S8_ifPKiSA_iPKfiiiSC_SC_iiiii,comdat
	.protected	_ZN4vllm25paged_attention_v1_kernelIffLi80ELi16ELi128ELNS_18Fp8KVCacheDataTypeE0ELb0EEEvPT_PKS2_PKT0_S8_ifPKiSA_iPKfiiiSC_SC_iiiii ; -- Begin function _ZN4vllm25paged_attention_v1_kernelIffLi80ELi16ELi128ELNS_18Fp8KVCacheDataTypeE0ELb0EEEvPT_PKS2_PKT0_S8_ifPKiSA_iPKfiiiSC_SC_iiiii
	.globl	_ZN4vllm25paged_attention_v1_kernelIffLi80ELi16ELi128ELNS_18Fp8KVCacheDataTypeE0ELb0EEEvPT_PKS2_PKT0_S8_ifPKiSA_iPKfiiiSC_SC_iiiii
	.p2align	8
	.type	_ZN4vllm25paged_attention_v1_kernelIffLi80ELi16ELi128ELNS_18Fp8KVCacheDataTypeE0ELb0EEEvPT_PKS2_PKT0_S8_ifPKiSA_iPKfiiiSC_SC_iiiii,@function
_ZN4vllm25paged_attention_v1_kernelIffLi80ELi16ELi128ELNS_18Fp8KVCacheDataTypeE0ELb0EEEvPT_PKS2_PKT0_S8_ifPKiSA_iPKfiiiSC_SC_iiiii: ; @_ZN4vllm25paged_attention_v1_kernelIffLi80ELi16ELi128ELNS_18Fp8KVCacheDataTypeE0ELb0EEEvPT_PKS2_PKT0_S8_ifPKiSA_iPKfiiiSC_SC_iiiii
; %bb.0:
	s_clause 0x2
	s_load_dword s9, s[4:5], 0x80
	s_load_dwordx2 s[0:1], s[4:5], 0x30
	s_load_dwordx2 s[24:25], s[4:5], 0x20
	s_mov_b32 s10, s7
	s_ashr_i32 s11, s7, 31
	s_lshl_b64 s[2:3], s[10:11], 2
	s_waitcnt lgkmcnt(0)
	s_add_u32 s0, s0, s2
	s_addc_u32 s1, s1, s3
	s_abs_i32 s2, s24
	s_abs_i32 s11, s9
	v_cvt_f32_u32_e32 v1, s2
	s_sub_i32 s7, 0, s2
	v_rcp_iflag_f32_e32 v1, v1
	v_mul_f32_e32 v1, 0x4f7ffffe, v1
	v_cvt_u32_f32_e32 v1, v1
	v_readfirstlane_b32 s3, v1
	s_mul_i32 s7, s7, s3
	s_mul_hi_u32 s7, s3, s7
	s_add_i32 s3, s3, s7
	s_xor_b32 s7, s9, s24
	s_mul_hi_u32 s3, s11, s3
	s_ashr_i32 s7, s7, 31
	s_mul_i32 s12, s3, s2
	s_mov_b32 s24, 0
	s_sub_i32 s11, s11, s12
	s_add_i32 s12, s3, 1
	s_sub_i32 s13, s11, s2
	s_cmp_ge_u32 s11, s2
	s_cselect_b32 s3, s12, s3
	s_cselect_b32 s11, s13, s11
	s_add_i32 s12, s3, 1
	s_cmp_ge_u32 s11, s2
	s_cselect_b32 s2, s12, s3
	s_abs_i32 s17, s6
	s_xor_b32 s2, s2, s7
	s_sub_i32 s18, s2, s7
	s_load_dwordx2 s[2:3], s[4:5], 0x40
	s_abs_i32 s16, s18
	v_cvt_f32_u32_e32 v1, s16
	s_sub_i32 s11, 0, s16
	v_rcp_iflag_f32_e32 v1, v1
	v_mul_f32_e32 v1, 0x4f7ffffe, v1
	v_cvt_u32_f32_e32 v1, v1
	v_readfirstlane_b32 s7, v1
	s_mul_i32 s11, s11, s7
	s_mul_hi_u32 s11, s7, s11
	s_add_i32 s7, s7, s11
	s_waitcnt lgkmcnt(0)
	s_cmp_eq_u64 s[2:3], 0
	s_mul_hi_u32 s20, s17, s7
	s_cbranch_scc1 .LBB29_2
; %bb.1:
	s_ashr_i32 s7, s6, 31
	s_lshl_b64 s[12:13], s[6:7], 2
	s_add_u32 s2, s2, s12
	s_addc_u32 s3, s3, s13
	s_load_dword s24, s[2:3], 0x0
.LBB29_2:
	s_load_dword s11, s[0:1], 0x0
	s_load_dwordx4 s[12:15], s[4:5], 0x48
	v_and_b32_e32 v41, 1, v0
	v_lshlrev_b32_e32 v1, 3, v0
	v_lshlrev_b32_e32 v43, 2, v0
	s_ashr_i32 s0, s6, 31
	s_ashr_i32 s1, s18, 31
	s_mulk_i32 s6, 0x50
	s_mov_b32 s2, exec_lo
	v_cmpx_gt_u32_e32 40, v0
	s_cbranch_execz .LBB29_4
; %bb.3:
	s_load_dwordx2 s[18:19], s[4:5], 0x8
	s_waitcnt lgkmcnt(0)
	s_mul_i32 s22, s12, s10
	v_and_b32_e32 v4, 0xff8, v43
	s_ashr_i32 s23, s22, 31
	s_lshl_b64 s[22:23], s[22:23], 2
	v_mad_u32_u24 v4, 0xa0, v41, v4
	s_add_u32 s3, s18, s22
	s_addc_u32 s12, s19, s23
	s_ashr_i32 s7, s6, 31
	s_lshl_b64 s[18:19], s[6:7], 2
	s_add_u32 s18, s3, s18
	s_addc_u32 s19, s12, s19
	global_load_dwordx2 v[2:3], v1, s[18:19]
	s_waitcnt vmcnt(0)
	ds_write_b64 v4, v[2:3]
.LBB29_4:
	s_or_b32 exec_lo, exec_lo, s2
	s_waitcnt lgkmcnt(0)
	s_add_i32 s2, s11, 15
	s_clause 0x1
	s_load_dwordx2 s[18:19], s[4:5], 0x28
	s_load_dword s7, s[4:5], 0x38
	s_ashr_i32 s3, s2, 31
	s_xor_b32 s0, s0, s1
	s_lshr_b32 s3, s3, 28
	s_mul_i32 s1, s20, s16
	s_add_i32 s2, s2, s3
	s_sub_i32 s1, s17, s1
	s_ashr_i32 s12, s2, 4
	s_add_i32 s2, s20, 1
	s_sub_i32 s3, s1, s16
	s_cmp_ge_u32 s1, s16
	v_lshrrev_b32_e32 v47, 5, v0
	s_cselect_b32 s2, s2, s20
	s_cselect_b32 s1, s3, s1
	s_add_i32 s3, s2, 1
	s_cmp_ge_u32 s1, s16
	v_mbcnt_lo_u32_b32 v45, -1, 0
	s_cselect_b32 s1, s3, s2
	s_mov_b32 s2, exec_lo
	s_xor_b32 s1, s1, s0
	s_waitcnt lgkmcnt(0)
	s_mul_i32 s20, s7, s10
	s_sub_i32 s1, s1, s0
	v_cmp_gt_i32_e64 s0, s12, v47
	s_ashr_i32 s21, s20, 31
	s_barrier
	buffer_gl0_inv
                                        ; implicit-def: $vgpr46
                                        ; implicit-def: $vgpr50
	v_cmpx_le_i32_e64 s12, v47
	s_xor_b32 s2, exec_lo, s2
; %bb.5:
	v_mov_b32_e32 v46, 0
	v_mbcnt_lo_u32_b32 v45, -1, 0
	v_mov_b32_e32 v50, 32
                                        ; implicit-def: $vgpr1
                                        ; implicit-def: $vgpr41
; %bb.6:
	s_or_saveexec_b32 s26, s2
	s_clause 0x2
	s_load_dwordx2 s[16:17], s[4:5], 0x0
	s_load_dwordx2 s[22:23], s[4:5], 0x18
	s_load_dword s7, s[4:5], 0x88
	v_mov_b32_e32 v48, 0xff7fffff
	v_lshrrev_b32_e32 v44, 3, v0
	s_mul_i32 s14, s1, s14
	s_xor_b32 exec_lo, exec_lo, s26
	s_cbranch_execz .LBB29_12
; %bb.7:
	s_load_dwordx2 s[2:3], s[4:5], 0x10
	v_bfe_u32 v42, v0, 1, 4
	s_ashr_i32 s15, s14, 31
	v_xor_b32_e32 v26, 1, v45
	s_lshl_b64 s[4:5], s[14:15], 2
	v_and_b32_e32 v25, 8, v1
	v_lshlrev_b32_e32 v27, 4, v42
	v_mul_u32_u24_e32 v37, 0xa0, v41
	v_cmp_gt_i32_e32 vcc_lo, 32, v26
	ds_read_b128 v[1:4], v37
	ds_read_b128 v[5:8], v37 offset:16
	ds_read_b128 v[9:12], v37 offset:32
	ds_read_b128 v[13:16], v37 offset:48
	ds_read_b128 v[17:20], v37 offset:64
	ds_read_b128 v[21:24], v37 offset:80
	v_cndmask_b32_e32 v52, v45, v26, vcc_lo
	v_lshlrev_b32_e32 v48, 2, v42
	v_lshl_or_b32 v53, v47, 4, v42
	v_and_b32_e32 v42, 0x7c, v44
	v_mov_b32_e32 v46, 0
	v_mov_b32_e32 v50, 32
	v_lshlrev_b32_e32 v52, 2, v52
	s_waitcnt lgkmcnt(0)
	s_add_u32 s1, s2, s4
	s_addc_u32 s2, s3, s5
	v_add_co_u32 v27, s1, s1, v27
	v_add_co_ci_u32_e64 v28, null, s2, 0, s1
	s_lshl_b64 s[2:3], s[20:21], 2
	v_add_co_u32 v49, vcc_lo, v27, v25
	v_add_co_ci_u32_e64 v51, null, 0, v28, vcc_lo
	ds_read_b128 v[25:28], v37 offset:96
	ds_read_b128 v[29:32], v37 offset:112
	;; [unrolled: 1-line block ×4, first 2 shown]
	v_cmp_eq_u32_e32 vcc_lo, 0, v41
	v_lshl_or_b32 v41, v47, 6, v48
	s_sub_i32 s4, 1, s11
	s_add_u32 s2, s18, s2
	s_addc_u32 s3, s19, s3
	v_cmp_neq_f32_e64 s1, s24, 0
	v_add_nc_u32_e32 v54, 0x160, v41
	v_add_co_u32 v41, s2, s2, v42
	v_add_co_ci_u32_e64 v42, null, s3, 0, s2
	v_mov_b32_e32 v48, 0xff7fffff
	v_mov_b32_e32 v55, v47
	s_mov_b32 s15, s13
	s_mov_b32 s5, 0
	s_branch .LBB29_9
.LBB29_8:                               ;   in Loop: Header=BB29_9 Depth=1
	s_or_b32 exec_lo, exec_lo, s3
	v_add_nc_u32_e32 v55, 4, v55
	v_add_co_u32 v41, s3, v41, 16
	v_add_nc_u32_e32 v53, 64, v53
	v_add_nc_u32_e32 v54, 0x100, v54
	v_cmp_le_i32_e64 s2, s12, v55
	v_add_co_ci_u32_e64 v42, null, 0, v42, s3
	s_or_b32 s5, s2, s5
	s_andn2_b32 exec_lo, exec_lo, s5
	s_cbranch_execz .LBB29_11
.LBB29_9:                               ; =>This Inner Loop Header: Depth=1
	global_load_dword v56, v[41:42], off
	s_waitcnt vmcnt(0) lgkmcnt(0)
	v_mad_i64_i32 v[56:57], null, v56, s15, 0
	v_lshlrev_b64 v[56:57], 2, v[56:57]
	v_add_co_u32 v56, s2, v49, v56
	v_add_co_ci_u32_e64 v57, null, v51, v57, s2
	s_clause 0x6
	global_load_dwordx2 v[58:59], v[56:57], off offset:256
	global_load_dwordx2 v[60:61], v[56:57], off offset:512
	;; [unrolled: 1-line block ×3, first 2 shown]
	global_load_dwordx2 v[64:65], v[56:57], off
	global_load_dwordx2 v[66:67], v[56:57], off offset:1024
	global_load_dwordx2 v[68:69], v[56:57], off offset:1280
	;; [unrolled: 1-line block ×3, first 2 shown]
	v_add_co_u32 v72, s2, v56, 0x1000
	global_load_dwordx2 v[74:75], v[56:57], off offset:1792
	v_add_co_ci_u32_e64 v73, null, 0, v57, s2
	v_add_co_u32 v76, s2, 0x800, v56
	v_add_co_ci_u32_e64 v77, null, 0, v57, s2
	s_clause 0x2
	global_load_dwordx2 v[78:79], v[72:73], off offset:-2048
	global_load_dwordx2 v[80:81], v[76:77], off offset:256
	global_load_dwordx2 v[82:83], v[76:77], off offset:512
	v_add_co_u32 v56, s2, 0x1000, v56
	v_add_co_ci_u32_e64 v57, null, 0, v57, s2
	s_waitcnt vmcnt(10)
	v_mul_f32_e32 v84, v3, v58
	v_mul_f32_e32 v85, v4, v59
	global_load_dwordx2 v[58:59], v[76:77], off offset:768
	s_waitcnt vmcnt(8)
	v_fmac_f32_e32 v84, v1, v64
	v_fmac_f32_e32 v85, v2, v65
	global_load_dwordx2 v[64:65], v[76:77], off offset:1024
	v_fmac_f32_e32 v84, v5, v60
	v_fmac_f32_e32 v85, v6, v61
	global_load_dwordx2 v[60:61], v[76:77], off offset:1280
	v_fmac_f32_e32 v84, v7, v62
	v_fmac_f32_e32 v85, v8, v63
	s_clause 0x2
	global_load_dwordx2 v[62:63], v[76:77], off offset:1536
	global_load_dwordx2 v[76:77], v[76:77], off offset:1792
	global_load_dwordx2 v[72:73], v[72:73], off
	s_waitcnt vmcnt(12)
	v_fmac_f32_e32 v84, v9, v66
	v_fmac_f32_e32 v85, v10, v67
	global_load_dwordx2 v[66:67], v[56:57], off offset:256
	s_waitcnt vmcnt(12)
	v_fmac_f32_e32 v84, v11, v68
	v_fmac_f32_e32 v85, v12, v69
	s_clause 0x1
	global_load_dwordx2 v[68:69], v[56:57], off offset:512
	global_load_dwordx2 v[56:57], v[56:57], off offset:768
	s_waitcnt vmcnt(13)
	v_fmac_f32_e32 v84, v13, v70
	v_fmac_f32_e32 v85, v14, v71
	s_waitcnt vmcnt(12)
	v_fmac_f32_e32 v84, v15, v74
	v_fmac_f32_e32 v85, v16, v75
	;; [unrolled: 3-line block ×6, first 2 shown]
	s_waitcnt vmcnt(7) lgkmcnt(3)
	v_fmac_f32_e32 v84, v25, v64
	v_fmac_f32_e32 v85, v26, v65
	s_waitcnt vmcnt(6)
	v_fmac_f32_e32 v84, v27, v60
	v_fmac_f32_e32 v85, v28, v61
	s_waitcnt vmcnt(5) lgkmcnt(2)
	v_fmac_f32_e32 v84, v29, v62
	v_fmac_f32_e32 v85, v30, v63
	s_waitcnt vmcnt(4)
	v_fmac_f32_e32 v84, v31, v76
	v_fmac_f32_e32 v85, v32, v77
	;; [unrolled: 6-line block ×4, first 2 shown]
	v_add_f32_e32 v56, v84, v85
	ds_bpermute_b32 v57, v52, v56
	s_and_saveexec_b32 s3, vcc_lo
	s_cbranch_execz .LBB29_8
; %bb.10:                               ;   in Loop: Header=BB29_9 Depth=1
	v_add_nc_u32_e32 v58, s4, v53
	s_waitcnt lgkmcnt(0)
	v_add_f32_e32 v56, v56, v57
	v_cmp_gt_i32_e64 s2, s11, v53
	v_cvt_f32_i32_e32 v58, v58
	v_mul_f32_e32 v58, s24, v58
	v_cndmask_b32_e64 v57, 0, v58, s1
	v_max_f32_e32 v58, v48, v48
	v_fmac_f32_e32 v57, s25, v56
	v_max_f32_e32 v56, v58, v57
	v_cndmask_b32_e64 v57, 0, v57, s2
	v_cndmask_b32_e64 v48, v48, v56, s2
	ds_write_b32 v54, v57
	s_branch .LBB29_8
.LBB29_11:
	s_or_b32 exec_lo, exec_lo, s5
.LBB29_12:
	s_or_b32 exec_lo, exec_lo, s26
	v_xor_b32_e32 v1, 16, v45
	v_xor_b32_e32 v3, 8, v45
	v_max_f32_e32 v4, v48, v48
	v_xor_b32_e32 v5, 4, v45
	v_cmp_lt_i32_e32 vcc_lo, v1, v50
	v_cndmask_b32_e32 v1, v45, v1, vcc_lo
	v_cmp_lt_i32_e32 vcc_lo, v3, v50
	v_lshlrev_b32_e32 v1, 2, v1
	v_cndmask_b32_e32 v3, v45, v3, vcc_lo
	v_cmp_lt_i32_e32 vcc_lo, v5, v50
	ds_bpermute_b32 v2, v1, v48
	v_lshlrev_b32_e32 v3, 2, v3
	v_cndmask_b32_e32 v5, v45, v5, vcc_lo
	v_and_b32_e32 v48, 31, v0
	s_waitcnt lgkmcnt(0)
	v_max_f32_e32 v2, v2, v2
	v_max_f32_e32 v2, v4, v2
	ds_bpermute_b32 v4, v3, v2
	s_waitcnt lgkmcnt(0)
	v_max_f32_e32 v6, v4, v4
	v_lshlrev_b32_e32 v4, 2, v5
	v_max_f32_e32 v2, v2, v6
	v_xor_b32_e32 v6, 2, v45
	ds_bpermute_b32 v5, v4, v2
	v_cmp_lt_i32_e32 vcc_lo, v6, v50
	v_cndmask_b32_e32 v6, v45, v6, vcc_lo
	v_cmp_eq_u32_e32 vcc_lo, 0, v48
	v_lshlrev_b32_e32 v49, 2, v6
	s_waitcnt lgkmcnt(0)
	v_max_f32_e32 v5, v5, v5
	v_max_f32_e32 v2, v2, v5
	v_lshlrev_b32_e32 v5, 2, v47
	ds_bpermute_b32 v6, v49, v2
	s_and_saveexec_b32 s1, vcc_lo
	s_cbranch_execz .LBB29_14
; %bb.13:
	s_waitcnt lgkmcnt(0)
	v_max_f32_e32 v6, v6, v6
	v_max_f32_e32 v2, v2, v2
	v_max_f32_e32 v2, v2, v6
	ds_write_b32 v5, v2 offset:320
.LBB29_14:
	s_or_b32 exec_lo, exec_lo, s1
	v_cmp_gt_u32_e64 s1, 4, v48
	v_mov_b32_e32 v2, 0xff7fffff
	s_waitcnt lgkmcnt(0)
	v_lshlrev_b32_e32 v6, 2, v48
	s_barrier
	buffer_gl0_inv
	s_and_saveexec_b32 s2, s1
; %bb.15:
	ds_read_b32 v2, v6 offset:320
; %bb.16:
	s_or_b32 exec_lo, exec_lo, s2
	s_waitcnt lgkmcnt(0)
	ds_bpermute_b32 v7, v49, v2
	v_xor_b32_e32 v8, 1, v45
	v_max_f32_e32 v2, v2, v2
	v_cmp_lt_i32_e64 s2, v8, v50
	v_cndmask_b32_e64 v8, v45, v8, s2
	s_lshl_b32 s2, s12, 4
	s_min_i32 s4, s2, s11
	v_lshlrev_b32_e32 v50, 2, v8
	v_cmp_gt_i32_e64 s2, s4, v0
	s_waitcnt lgkmcnt(0)
	v_max_f32_e32 v7, v7, v7
	v_max_f32_e32 v2, v2, v7
	ds_bpermute_b32 v7, v50, v2
	s_waitcnt lgkmcnt(0)
	v_max_f32_e32 v7, v7, v7
	v_max_f32_e32 v2, v2, v7
	v_lshlrev_b32_e32 v7, 2, v46
	ds_bpermute_b32 v8, v7, v2
	v_mov_b32_e32 v7, 0
	v_lshl_add_u32 v2, v0, 2, 0x160
	s_and_saveexec_b32 s5, s2
	s_cbranch_execz .LBB29_20
; %bb.17:
	v_lshl_add_u32 v9, v0, 2, 0x160
	v_mov_b32_e32 v7, 0
	v_mov_b32_e32 v10, v0
	s_mov_b32 s15, 0
	.p2align	6
.LBB29_18:                              ; =>This Inner Loop Header: Depth=1
	ds_read_b32 v11, v9
	v_add_nc_u32_e32 v10, 0x80, v10
	v_cmp_le_i32_e64 s3, s4, v10
	s_or_b32 s15, s3, s15
	s_waitcnt lgkmcnt(0)
	v_sub_f32_e32 v11, v11, v8
	v_mul_f32_e32 v11, 0x3fb8aa3b, v11
	v_exp_f32_e32 v11, v11
	ds_write_b32 v9, v11
	v_add_f32_e32 v7, v7, v11
	v_add_nc_u32_e32 v9, 0x200, v9
	s_andn2_b32 exec_lo, exec_lo, s15
	s_cbranch_execnz .LBB29_18
; %bb.19:
	s_or_b32 exec_lo, exec_lo, s15
.LBB29_20:
	s_or_b32 exec_lo, exec_lo, s5
	ds_bpermute_b32 v1, v1, v7
	s_waitcnt lgkmcnt(0)
	v_add_f32_e32 v1, v7, v1
	ds_bpermute_b32 v3, v3, v1
	s_waitcnt lgkmcnt(0)
	v_add_f32_e32 v1, v1, v3
	;; [unrolled: 3-line block ×5, first 2 shown]
	s_and_saveexec_b32 s3, vcc_lo
; %bb.21:
	ds_write_b32 v5, v1 offset:336
; %bb.22:
	s_or_b32 exec_lo, exec_lo, s3
	s_waitcnt lgkmcnt(0)
	s_barrier
	buffer_gl0_inv
	s_and_saveexec_b32 s3, s1
; %bb.23:
	ds_read_b32 v1, v6 offset:336
; %bb.24:
	s_or_b32 exec_lo, exec_lo, s3
	s_waitcnt lgkmcnt(0)
	ds_bpermute_b32 v3, v49, v1
	v_lshlrev_b32_e32 v4, 2, v45
	s_waitcnt lgkmcnt(0)
	v_add_f32_e32 v1, v1, v3
	ds_bpermute_b32 v3, v50, v1
	s_waitcnt lgkmcnt(0)
	v_add_f32_e32 v1, v1, v3
	v_and_b32_e32 v3, 0xffffff80, v4
	ds_bpermute_b32 v1, v3, v1
	s_and_saveexec_b32 s1, s2
	s_cbranch_execz .LBB29_27
; %bb.25:
	s_waitcnt lgkmcnt(0)
	v_add_f32_e32 v1, 0x358637bd, v1
	s_mov_b32 s2, 0
	v_div_scale_f32 v3, null, v1, v1, 1.0
	v_div_scale_f32 v6, vcc_lo, 1.0, v1, 1.0
	v_rcp_f32_e32 v4, v3
	v_fma_f32 v5, -v3, v4, 1.0
	v_fmac_f32_e32 v4, v5, v4
	v_mul_f32_e32 v5, v6, v4
	v_fma_f32 v7, -v3, v5, v6
	v_fmac_f32_e32 v5, v7, v4
	v_fma_f32 v3, -v3, v5, v6
	v_div_fmas_f32 v3, v3, v4, v5
	v_div_fixup_f32 v1, v3, v1, 1.0
	v_mov_b32_e32 v3, v0
.LBB29_26:                              ; =>This Inner Loop Header: Depth=1
	ds_read_b32 v4, v2
	v_add_nc_u32_e32 v3, 0x80, v3
	v_cmp_le_i32_e32 vcc_lo, s4, v3
	s_or_b32 s2, vcc_lo, s2
	s_waitcnt lgkmcnt(0)
	v_mul_f32_e32 v4, v1, v4
	ds_write_b32 v2, v4
	v_add_nc_u32_e32 v2, 0x200, v2
	s_andn2_b32 exec_lo, exec_lo, s2
	s_cbranch_execnz .LBB29_26
.LBB29_27:
	s_or_b32 exec_lo, exec_lo, s1
	v_mov_b32_e32 v59, 0
	v_and_b32_e32 v51, 3, v0
	v_mov_b32_e32 v61, 0
	v_mov_b32_e32 v60, 0
	;; [unrolled: 1-line block ×9, first 2 shown]
	s_waitcnt lgkmcnt(0)
	s_barrier
	buffer_gl0_inv
	s_and_saveexec_b32 s1, s0
	s_cbranch_execz .LBB29_51
; %bb.28:
	v_lshlrev_b32_e32 v2, 4, v0
	s_ashr_i32 s15, s14, 31
	v_and_b32_e32 v1, 12, v43
	v_lshlrev_b32_e32 v4, 4, v47
	s_lshl_b64 s[2:3], s[14:15], 2
	v_and_b32_e32 v2, 0x1f0, v2
	v_lshlrev_b32_e32 v3, 4, v51
	s_add_u32 s0, s22, s2
	v_or3_b32 v64, v4, v1, 3
	v_and_b32_e32 v1, 0x7c, v44
	s_addc_u32 s3, s23, s3
	v_add_co_u32 v62, s0, s0, v2
	s_lshl_b64 s[4:5], s[20:21], 2
	s_add_i32 s2, s12, -1
	v_lshl_or_b32 v3, v47, 6, v3
	v_add_co_ci_u32_e64 v63, null, s3, 0, s0
	s_add_u32 s0, s18, s4
	s_addc_u32 s3, s19, s5
	v_add_co_u32 v45, s0, s0, v1
	v_mov_b32_e32 v52, 0
	v_add_nc_u32_e32 v65, 0x160, v3
	v_add_co_ci_u32_e64 v46, null, s3, 0, s0
	v_mov_b32_e32 v53, 0
	v_mov_b32_e32 v54, 0
	;; [unrolled: 1-line block ×10, first 2 shown]
	s_mov_b32 s4, s13
	s_mov_b32 s3, 0
	s_branch .LBB29_30
.LBB29_29:                              ;   in Loop: Header=BB29_30 Depth=1
	s_or_b32 exec_lo, exec_lo, s0
	s_waitcnt vmcnt(1) lgkmcnt(0)
	v_mul_f32_e32 v41, v1, v41
	v_mul_f32_e32 v33, v1, v33
	;; [unrolled: 1-line block ×9, first 2 shown]
	s_waitcnt vmcnt(0)
	v_mul_f32_e32 v1, v1, v37
	v_fmac_f32_e32 v41, v2, v42
	v_fmac_f32_e32 v33, v2, v34
	;; [unrolled: 1-line block ×20, first 2 shown]
	v_add_nc_u32_e32 v66, 4, v66
	v_fmac_f32_e32 v41, v4, v44
	v_fmac_f32_e32 v33, v4, v36
	;; [unrolled: 1-line block ×10, first 2 shown]
	v_cmp_le_i32_e32 vcc_lo, s12, v66
	v_add_co_u32 v45, s0, v45, 16
	v_add_f32_e32 v53, v53, v41
	v_add_f32_e32 v54, v54, v33
	;; [unrolled: 1-line block ×10, first 2 shown]
	v_add_nc_u32_e32 v64, 64, v64
	v_add_nc_u32_e32 v65, 0x100, v65
	v_add_co_ci_u32_e64 v46, null, 0, v46, s0
	s_or_b32 s3, vcc_lo, s3
	s_andn2_b32 exec_lo, exec_lo, s3
	s_cbranch_execz .LBB29_50
.LBB29_30:                              ; =>This Inner Loop Header: Depth=1
	global_load_dword v1, v[45:46], off
	v_add_nc_u32_e32 v67, -3, v64
	v_add_nc_u32_e32 v69, -2, v64
	;; [unrolled: 1-line block ×3, first 2 shown]
	s_waitcnt vmcnt(0)
	v_mad_i64_i32 v[1:2], null, v1, s4, 0
	v_lshlrev_b64 v[1:2], 2, v[1:2]
	v_add_co_u32 v37, vcc_lo, v62, v1
	v_add_co_ci_u32_e64 v38, null, v63, v2, vcc_lo
	ds_read_b128 v[1:4], v65
	v_cmp_eq_u32_e32 vcc_lo, s2, v66
	global_load_dwordx4 v[5:8], v[37:38], off
	s_and_saveexec_b32 s5, vcc_lo
	s_cbranch_execnz .LBB29_44
; %bb.31:                               ;   in Loop: Header=BB29_30 Depth=1
	s_or_b32 exec_lo, exec_lo, s5
	global_load_dwordx4 v[9:12], v[37:38], off offset:512
	s_and_saveexec_b32 s5, vcc_lo
	s_cbranch_execnz .LBB29_45
.LBB29_32:                              ;   in Loop: Header=BB29_30 Depth=1
	s_or_b32 exec_lo, exec_lo, s5
	global_load_dwordx4 v[13:16], v[37:38], off offset:1024
	s_and_saveexec_b32 s5, vcc_lo
	s_cbranch_execnz .LBB29_46
.LBB29_33:                              ;   in Loop: Header=BB29_30 Depth=1
	s_or_b32 exec_lo, exec_lo, s5
	global_load_dwordx4 v[17:20], v[37:38], off offset:1536
	s_and_saveexec_b32 s5, vcc_lo
	s_cbranch_execz .LBB29_35
.LBB29_34:                              ;   in Loop: Header=BB29_30 Depth=1
	v_cmp_gt_i32_e64 s0, s11, v67
	s_waitcnt vmcnt(0)
	v_cndmask_b32_e64 v17, 0, v17, s0
	v_cmp_gt_i32_e64 s0, s11, v69
	v_cndmask_b32_e64 v18, 0, v18, s0
	v_cmp_gt_i32_e64 s0, s11, v68
	;; [unrolled: 2-line block ×3, first 2 shown]
	v_cndmask_b32_e64 v20, 0, v20, s0
.LBB29_35:                              ;   in Loop: Header=BB29_30 Depth=1
	s_or_b32 exec_lo, exec_lo, s5
	v_add_co_u32 v33, s0, 0x800, v37
	v_add_co_ci_u32_e64 v34, null, 0, v38, s0
	global_load_dwordx4 v[21:24], v[33:34], off
	s_and_saveexec_b32 s5, vcc_lo
	s_cbranch_execnz .LBB29_47
; %bb.36:                               ;   in Loop: Header=BB29_30 Depth=1
	s_or_b32 exec_lo, exec_lo, s5
	global_load_dwordx4 v[25:28], v[33:34], off offset:512
	s_and_saveexec_b32 s5, vcc_lo
	s_cbranch_execnz .LBB29_48
.LBB29_37:                              ;   in Loop: Header=BB29_30 Depth=1
	s_or_b32 exec_lo, exec_lo, s5
	global_load_dwordx4 v[29:32], v[33:34], off offset:1024
	s_and_saveexec_b32 s5, vcc_lo
	s_cbranch_execnz .LBB29_49
.LBB29_38:                              ;   in Loop: Header=BB29_30 Depth=1
	s_or_b32 exec_lo, exec_lo, s5
	global_load_dwordx4 v[33:36], v[33:34], off offset:1536
	s_and_saveexec_b32 s5, vcc_lo
	s_cbranch_execz .LBB29_40
.LBB29_39:                              ;   in Loop: Header=BB29_30 Depth=1
	v_cmp_gt_i32_e64 s0, s11, v67
	s_waitcnt vmcnt(0)
	v_cndmask_b32_e64 v33, 0, v33, s0
	v_cmp_gt_i32_e64 s0, s11, v69
	v_cndmask_b32_e64 v34, 0, v34, s0
	v_cmp_gt_i32_e64 s0, s11, v68
	v_cndmask_b32_e64 v35, 0, v35, s0
	v_cmp_gt_i32_e64 s0, s11, v64
	v_cndmask_b32_e64 v36, 0, v36, s0
.LBB29_40:                              ;   in Loop: Header=BB29_30 Depth=1
	s_or_b32 exec_lo, exec_lo, s5
	v_add_co_u32 v37, s0, 0x1000, v37
	v_add_co_ci_u32_e64 v38, null, 0, v38, s0
	global_load_dwordx4 v[41:44], v[37:38], off
	s_and_saveexec_b32 s5, vcc_lo
	s_cbranch_execz .LBB29_42
; %bb.41:                               ;   in Loop: Header=BB29_30 Depth=1
	v_cmp_gt_i32_e64 s0, s11, v67
	s_waitcnt vmcnt(0)
	v_cndmask_b32_e64 v41, 0, v41, s0
	v_cmp_gt_i32_e64 s0, s11, v69
	v_cndmask_b32_e64 v42, 0, v42, s0
	v_cmp_gt_i32_e64 s0, s11, v68
	;; [unrolled: 2-line block ×3, first 2 shown]
	v_cndmask_b32_e64 v44, 0, v44, s0
.LBB29_42:                              ;   in Loop: Header=BB29_30 Depth=1
	s_or_b32 exec_lo, exec_lo, s5
	global_load_dwordx4 v[37:40], v[37:38], off offset:512
	s_and_saveexec_b32 s0, vcc_lo
	s_cbranch_execz .LBB29_29
; %bb.43:                               ;   in Loop: Header=BB29_30 Depth=1
	v_cmp_gt_i32_e32 vcc_lo, s11, v67
	s_waitcnt vmcnt(0)
	v_cndmask_b32_e32 v37, 0, v37, vcc_lo
	v_cmp_gt_i32_e32 vcc_lo, s11, v69
	v_cndmask_b32_e32 v38, 0, v38, vcc_lo
	v_cmp_gt_i32_e32 vcc_lo, s11, v68
	;; [unrolled: 2-line block ×3, first 2 shown]
	v_cndmask_b32_e32 v40, 0, v40, vcc_lo
	s_branch .LBB29_29
.LBB29_44:                              ;   in Loop: Header=BB29_30 Depth=1
	v_cmp_gt_i32_e64 s0, s11, v67
	s_waitcnt vmcnt(0)
	v_cndmask_b32_e64 v5, 0, v5, s0
	v_cmp_gt_i32_e64 s0, s11, v69
	v_cndmask_b32_e64 v6, 0, v6, s0
	v_cmp_gt_i32_e64 s0, s11, v68
	v_cndmask_b32_e64 v7, 0, v7, s0
	v_cmp_gt_i32_e64 s0, s11, v64
	v_cndmask_b32_e64 v8, 0, v8, s0
	s_or_b32 exec_lo, exec_lo, s5
	global_load_dwordx4 v[9:12], v[37:38], off offset:512
	s_and_saveexec_b32 s5, vcc_lo
	s_cbranch_execz .LBB29_32
.LBB29_45:                              ;   in Loop: Header=BB29_30 Depth=1
	v_cmp_gt_i32_e64 s0, s11, v67
	s_waitcnt vmcnt(0)
	v_cndmask_b32_e64 v9, 0, v9, s0
	v_cmp_gt_i32_e64 s0, s11, v69
	v_cndmask_b32_e64 v10, 0, v10, s0
	v_cmp_gt_i32_e64 s0, s11, v68
	;; [unrolled: 2-line block ×3, first 2 shown]
	v_cndmask_b32_e64 v12, 0, v12, s0
	s_or_b32 exec_lo, exec_lo, s5
	global_load_dwordx4 v[13:16], v[37:38], off offset:1024
	s_and_saveexec_b32 s5, vcc_lo
	s_cbranch_execz .LBB29_33
.LBB29_46:                              ;   in Loop: Header=BB29_30 Depth=1
	v_cmp_gt_i32_e64 s0, s11, v67
	s_waitcnt vmcnt(0)
	v_cndmask_b32_e64 v13, 0, v13, s0
	v_cmp_gt_i32_e64 s0, s11, v69
	v_cndmask_b32_e64 v14, 0, v14, s0
	v_cmp_gt_i32_e64 s0, s11, v68
	;; [unrolled: 2-line block ×3, first 2 shown]
	v_cndmask_b32_e64 v16, 0, v16, s0
	s_or_b32 exec_lo, exec_lo, s5
	global_load_dwordx4 v[17:20], v[37:38], off offset:1536
	s_and_saveexec_b32 s5, vcc_lo
	s_cbranch_execnz .LBB29_34
	s_branch .LBB29_35
.LBB29_47:                              ;   in Loop: Header=BB29_30 Depth=1
	v_cmp_gt_i32_e64 s0, s11, v67
	s_waitcnt vmcnt(0)
	v_cndmask_b32_e64 v21, 0, v21, s0
	v_cmp_gt_i32_e64 s0, s11, v69
	v_cndmask_b32_e64 v22, 0, v22, s0
	v_cmp_gt_i32_e64 s0, s11, v68
	;; [unrolled: 2-line block ×3, first 2 shown]
	v_cndmask_b32_e64 v24, 0, v24, s0
	s_or_b32 exec_lo, exec_lo, s5
	global_load_dwordx4 v[25:28], v[33:34], off offset:512
	s_and_saveexec_b32 s5, vcc_lo
	s_cbranch_execz .LBB29_37
.LBB29_48:                              ;   in Loop: Header=BB29_30 Depth=1
	v_cmp_gt_i32_e64 s0, s11, v67
	s_waitcnt vmcnt(0)
	v_cndmask_b32_e64 v25, 0, v25, s0
	v_cmp_gt_i32_e64 s0, s11, v69
	v_cndmask_b32_e64 v26, 0, v26, s0
	v_cmp_gt_i32_e64 s0, s11, v68
	v_cndmask_b32_e64 v27, 0, v27, s0
	v_cmp_gt_i32_e64 s0, s11, v64
	v_cndmask_b32_e64 v28, 0, v28, s0
	s_or_b32 exec_lo, exec_lo, s5
	global_load_dwordx4 v[29:32], v[33:34], off offset:1024
	s_and_saveexec_b32 s5, vcc_lo
	s_cbranch_execz .LBB29_38
.LBB29_49:                              ;   in Loop: Header=BB29_30 Depth=1
	v_cmp_gt_i32_e64 s0, s11, v67
	s_waitcnt vmcnt(0)
	v_cndmask_b32_e64 v29, 0, v29, s0
	v_cmp_gt_i32_e64 s0, s11, v69
	v_cndmask_b32_e64 v30, 0, v30, s0
	v_cmp_gt_i32_e64 s0, s11, v68
	;; [unrolled: 2-line block ×3, first 2 shown]
	v_cndmask_b32_e64 v32, 0, v32, s0
	s_or_b32 exec_lo, exec_lo, s5
	global_load_dwordx4 v[33:36], v[33:34], off offset:1536
	s_and_saveexec_b32 s5, vcc_lo
	s_cbranch_execnz .LBB29_39
	s_branch .LBB29_40
.LBB29_50:
	s_or_b32 exec_lo, exec_lo, s3
.LBB29_51:
	s_or_b32 exec_lo, exec_lo, s1
	ds_bpermute_b32 v1, v49, v59
	ds_bpermute_b32 v2, v49, v61
	;; [unrolled: 1-line block ×10, first 2 shown]
	v_and_b32_e32 v12, 28, v48
	v_lshrrev_b32_e32 v11, 2, v48
	v_mul_u32_u24_e32 v13, 0x140, v47
	v_and_b32_e32 v24, 0x3c3, v0
	s_mov_b32 s0, exec_lo
	v_add_nc_u32_e32 v12, 0x160, v12
	s_waitcnt lgkmcnt(0)
	s_barrier
	buffer_gl0_inv
	v_add_f32_e32 v1, v59, v1
	v_add_f32_e32 v2, v61, v2
	;; [unrolled: 1-line block ×10, first 2 shown]
	ds_bpermute_b32 v14, v50, v1
	ds_bpermute_b32 v15, v50, v2
	;; [unrolled: 1-line block ×10, first 2 shown]
	s_waitcnt lgkmcnt(9)
	v_add_f32_e32 v1, v1, v14
	s_waitcnt lgkmcnt(8)
	v_add_f32_e32 v2, v2, v15
	;; [unrolled: 2-line block ×10, first 2 shown]
	v_cmpx_eq_u32_e32 64, v24
	s_cbranch_execz .LBB29_53
; %bb.52:
	v_add_nc_u32_e32 v14, v12, v13
	v_add_nc_u32_e32 v15, 0xfffffd80, v14
	;; [unrolled: 1-line block ×6, first 2 shown]
	ds_write_b32 v15, v1
	ds_write_b32 v16, v2
	;; [unrolled: 1-line block ×5, first 2 shown]
	v_add_nc_u32_e32 v15, 0xfffffe20, v14
	v_add_nc_u32_e32 v16, 0xfffffe40, v14
	;; [unrolled: 1-line block ×5, first 2 shown]
	ds_write_b32 v15, v6
	ds_write_b32 v16, v7
	;; [unrolled: 1-line block ×5, first 2 shown]
.LBB29_53:
	s_or_b32 exec_lo, exec_lo, s0
	v_lshlrev_b32_e32 v11, 2, v11
	s_mov_b32 s1, exec_lo
	v_cmp_eq_u32_e32 vcc_lo, 0, v51
	s_waitcnt lgkmcnt(0)
	s_barrier
	v_add3_u32 v11, 0x160, v13, v11
	buffer_gl0_inv
	v_cmpx_gt_u32_e32 64, v0
	s_cbranch_execz .LBB29_66
; %bb.54:
	s_and_saveexec_b32 s0, vcc_lo
	s_cbranch_execnz .LBB29_84
; %bb.55:
	s_or_b32 exec_lo, exec_lo, s0
	s_and_saveexec_b32 s0, vcc_lo
	s_cbranch_execnz .LBB29_85
.LBB29_56:
	s_or_b32 exec_lo, exec_lo, s0
	s_and_saveexec_b32 s0, vcc_lo
	s_cbranch_execnz .LBB29_86
.LBB29_57:
	s_or_b32 exec_lo, exec_lo, s0
	s_and_saveexec_b32 s0, vcc_lo
	s_cbranch_execnz .LBB29_87
.LBB29_58:
	s_or_b32 exec_lo, exec_lo, s0
	s_and_saveexec_b32 s0, vcc_lo
	s_cbranch_execnz .LBB29_88
.LBB29_59:
	s_or_b32 exec_lo, exec_lo, s0
	s_and_saveexec_b32 s0, vcc_lo
	s_cbranch_execnz .LBB29_89
.LBB29_60:
	s_or_b32 exec_lo, exec_lo, s0
	s_and_saveexec_b32 s0, vcc_lo
	s_cbranch_execnz .LBB29_90
.LBB29_61:
	s_or_b32 exec_lo, exec_lo, s0
	s_and_saveexec_b32 s0, vcc_lo
	s_cbranch_execnz .LBB29_91
.LBB29_62:
	s_or_b32 exec_lo, exec_lo, s0
	s_and_saveexec_b32 s0, vcc_lo
	s_cbranch_execnz .LBB29_92
.LBB29_63:
	s_or_b32 exec_lo, exec_lo, s0
	s_and_saveexec_b32 s0, vcc_lo
	s_cbranch_execz .LBB29_65
.LBB29_64:
	ds_read_b32 v13, v11 offset:288
	s_waitcnt lgkmcnt(0)
	v_add_f32_e32 v10, v10, v13
.LBB29_65:
	s_or_b32 exec_lo, exec_lo, s0
.LBB29_66:
	s_or_b32 exec_lo, exec_lo, s1
	v_and_b32_e32 v13, 0x3e3, v0
	s_mov_b32 s1, exec_lo
	s_barrier
	buffer_gl0_inv
	v_cmpx_eq_u32_e32 32, v13
	s_cbranch_execz .LBB29_68
; %bb.67:
	ds_write2_b32 v12, v1, v2 offset1:8
	ds_write2_b32 v12, v3, v4 offset0:16 offset1:24
	ds_write2_b32 v12, v5, v6 offset0:32 offset1:40
	;; [unrolled: 1-line block ×4, first 2 shown]
.LBB29_68:
	s_or_b32 exec_lo, exec_lo, s1
	s_mov_b32 s1, exec_lo
	s_waitcnt lgkmcnt(0)
	s_barrier
	buffer_gl0_inv
	v_cmpx_gt_u32_e32 32, v0
	s_cbranch_execz .LBB29_81
; %bb.69:
	s_and_saveexec_b32 s0, vcc_lo
	s_cbranch_execnz .LBB29_93
; %bb.70:
	s_or_b32 exec_lo, exec_lo, s0
	s_and_saveexec_b32 s0, vcc_lo
	s_cbranch_execnz .LBB29_94
.LBB29_71:
	s_or_b32 exec_lo, exec_lo, s0
	s_and_saveexec_b32 s0, vcc_lo
	s_cbranch_execnz .LBB29_95
.LBB29_72:
	s_or_b32 exec_lo, exec_lo, s0
	s_and_saveexec_b32 s0, vcc_lo
	s_cbranch_execnz .LBB29_96
.LBB29_73:
	s_or_b32 exec_lo, exec_lo, s0
	s_and_saveexec_b32 s0, vcc_lo
	s_cbranch_execnz .LBB29_97
.LBB29_74:
	s_or_b32 exec_lo, exec_lo, s0
	s_and_saveexec_b32 s0, vcc_lo
	s_cbranch_execnz .LBB29_98
.LBB29_75:
	s_or_b32 exec_lo, exec_lo, s0
	s_and_saveexec_b32 s0, vcc_lo
	s_cbranch_execnz .LBB29_99
.LBB29_76:
	s_or_b32 exec_lo, exec_lo, s0
	s_and_saveexec_b32 s0, vcc_lo
	s_cbranch_execnz .LBB29_100
.LBB29_77:
	s_or_b32 exec_lo, exec_lo, s0
	s_and_saveexec_b32 s0, vcc_lo
	s_cbranch_execnz .LBB29_101
.LBB29_78:
	s_or_b32 exec_lo, exec_lo, s0
	s_and_saveexec_b32 s0, vcc_lo
	s_cbranch_execz .LBB29_80
.LBB29_79:
	ds_read_b32 v11, v11 offset:288
	s_waitcnt lgkmcnt(0)
	v_add_f32_e32 v10, v10, v11
.LBB29_80:
	s_or_b32 exec_lo, exec_lo, s0
.LBB29_81:
	s_or_b32 exec_lo, exec_lo, s1
	s_barrier
	buffer_gl0_inv
	s_mov_b32 s0, exec_lo
	v_cmpx_eq_u32_e32 0, v13
	s_cbranch_execz .LBB29_83
; %bb.82:
	s_mul_i32 s0, s10, s7
	s_mul_i32 s2, s7, s6
	;; [unrolled: 1-line block ×3, first 2 shown]
	s_mulk_i32 s0, 0x50
	s_ashr_i32 s1, s0, 31
	s_lshl_b64 s[0:1], s[0:1], 2
	s_add_u32 s4, s16, s0
	s_addc_u32 s5, s17, s1
	s_ashr_i32 s3, s2, 31
	s_lshl_b64 s[0:1], s[2:3], 2
	s_mul_i32 s2, s8, 0x50
	s_add_u32 s4, s4, s0
	s_addc_u32 s5, s5, s1
	s_ashr_i32 s3, s2, 31
	s_lshl_b64 s[0:1], s[2:3], 2
	s_add_u32 s0, s4, s0
	s_addc_u32 s1, s5, s1
	global_store_dword v0, v1, s[0:1]
	global_store_dword v0, v2, s[0:1] offset:32
	global_store_dword v0, v3, s[0:1] offset:64
	;; [unrolled: 1-line block ×9, first 2 shown]
.LBB29_83:
	s_endpgm
.LBB29_84:
	ds_read_b32 v13, v11
	s_waitcnt lgkmcnt(0)
	v_add_f32_e32 v1, v1, v13
	s_or_b32 exec_lo, exec_lo, s0
	s_and_saveexec_b32 s0, vcc_lo
	s_cbranch_execz .LBB29_56
.LBB29_85:
	ds_read_b32 v13, v11 offset:32
	s_waitcnt lgkmcnt(0)
	v_add_f32_e32 v2, v2, v13
	s_or_b32 exec_lo, exec_lo, s0
	s_and_saveexec_b32 s0, vcc_lo
	s_cbranch_execz .LBB29_57
.LBB29_86:
	ds_read_b32 v13, v11 offset:64
	s_waitcnt lgkmcnt(0)
	v_add_f32_e32 v3, v3, v13
	s_or_b32 exec_lo, exec_lo, s0
	s_and_saveexec_b32 s0, vcc_lo
	s_cbranch_execz .LBB29_58
.LBB29_87:
	ds_read_b32 v13, v11 offset:96
	s_waitcnt lgkmcnt(0)
	v_add_f32_e32 v4, v4, v13
	s_or_b32 exec_lo, exec_lo, s0
	s_and_saveexec_b32 s0, vcc_lo
	s_cbranch_execz .LBB29_59
.LBB29_88:
	ds_read_b32 v13, v11 offset:128
	s_waitcnt lgkmcnt(0)
	v_add_f32_e32 v5, v5, v13
	s_or_b32 exec_lo, exec_lo, s0
	s_and_saveexec_b32 s0, vcc_lo
	s_cbranch_execz .LBB29_60
.LBB29_89:
	ds_read_b32 v13, v11 offset:160
	s_waitcnt lgkmcnt(0)
	v_add_f32_e32 v6, v6, v13
	s_or_b32 exec_lo, exec_lo, s0
	s_and_saveexec_b32 s0, vcc_lo
	s_cbranch_execz .LBB29_61
.LBB29_90:
	ds_read_b32 v13, v11 offset:192
	s_waitcnt lgkmcnt(0)
	v_add_f32_e32 v7, v7, v13
	s_or_b32 exec_lo, exec_lo, s0
	s_and_saveexec_b32 s0, vcc_lo
	s_cbranch_execz .LBB29_62
.LBB29_91:
	ds_read_b32 v13, v11 offset:224
	s_waitcnt lgkmcnt(0)
	v_add_f32_e32 v8, v8, v13
	s_or_b32 exec_lo, exec_lo, s0
	s_and_saveexec_b32 s0, vcc_lo
	s_cbranch_execz .LBB29_63
.LBB29_92:
	ds_read_b32 v13, v11 offset:256
	s_waitcnt lgkmcnt(0)
	v_add_f32_e32 v9, v9, v13
	s_or_b32 exec_lo, exec_lo, s0
	s_and_saveexec_b32 s0, vcc_lo
	s_cbranch_execnz .LBB29_64
	s_branch .LBB29_65
.LBB29_93:
	ds_read_b32 v12, v11
	s_waitcnt lgkmcnt(0)
	v_add_f32_e32 v1, v1, v12
	s_or_b32 exec_lo, exec_lo, s0
	s_and_saveexec_b32 s0, vcc_lo
	s_cbranch_execz .LBB29_71
.LBB29_94:
	ds_read_b32 v12, v11 offset:32
	s_waitcnt lgkmcnt(0)
	v_add_f32_e32 v2, v2, v12
	s_or_b32 exec_lo, exec_lo, s0
	s_and_saveexec_b32 s0, vcc_lo
	s_cbranch_execz .LBB29_72
.LBB29_95:
	ds_read_b32 v12, v11 offset:64
	s_waitcnt lgkmcnt(0)
	v_add_f32_e32 v3, v3, v12
	s_or_b32 exec_lo, exec_lo, s0
	s_and_saveexec_b32 s0, vcc_lo
	s_cbranch_execz .LBB29_73
.LBB29_96:
	ds_read_b32 v12, v11 offset:96
	s_waitcnt lgkmcnt(0)
	v_add_f32_e32 v4, v4, v12
	s_or_b32 exec_lo, exec_lo, s0
	s_and_saveexec_b32 s0, vcc_lo
	s_cbranch_execz .LBB29_74
.LBB29_97:
	ds_read_b32 v12, v11 offset:128
	s_waitcnt lgkmcnt(0)
	v_add_f32_e32 v5, v5, v12
	s_or_b32 exec_lo, exec_lo, s0
	s_and_saveexec_b32 s0, vcc_lo
	s_cbranch_execz .LBB29_75
.LBB29_98:
	ds_read_b32 v12, v11 offset:160
	s_waitcnt lgkmcnt(0)
	v_add_f32_e32 v6, v6, v12
	s_or_b32 exec_lo, exec_lo, s0
	s_and_saveexec_b32 s0, vcc_lo
	s_cbranch_execz .LBB29_76
.LBB29_99:
	ds_read_b32 v12, v11 offset:192
	s_waitcnt lgkmcnt(0)
	v_add_f32_e32 v7, v7, v12
	s_or_b32 exec_lo, exec_lo, s0
	s_and_saveexec_b32 s0, vcc_lo
	s_cbranch_execz .LBB29_77
.LBB29_100:
	ds_read_b32 v12, v11 offset:224
	s_waitcnt lgkmcnt(0)
	v_add_f32_e32 v8, v8, v12
	s_or_b32 exec_lo, exec_lo, s0
	s_and_saveexec_b32 s0, vcc_lo
	s_cbranch_execz .LBB29_78
.LBB29_101:
	ds_read_b32 v12, v11 offset:256
	s_waitcnt lgkmcnt(0)
	v_add_f32_e32 v9, v9, v12
	s_or_b32 exec_lo, exec_lo, s0
	s_and_saveexec_b32 s0, vcc_lo
	s_cbranch_execnz .LBB29_79
	s_branch .LBB29_80
	.section	.rodata,"a",@progbits
	.p2align	6, 0x0
	.amdhsa_kernel _ZN4vllm25paged_attention_v1_kernelIffLi80ELi16ELi128ELNS_18Fp8KVCacheDataTypeE0ELb0EEEvPT_PKS2_PKT0_S8_ifPKiSA_iPKfiiiSC_SC_iiiii
		.amdhsa_group_segment_fixed_size 352
		.amdhsa_private_segment_fixed_size 0
		.amdhsa_kernarg_size 384
		.amdhsa_user_sgpr_count 6
		.amdhsa_user_sgpr_private_segment_buffer 1
		.amdhsa_user_sgpr_dispatch_ptr 0
		.amdhsa_user_sgpr_queue_ptr 0
		.amdhsa_user_sgpr_kernarg_segment_ptr 1
		.amdhsa_user_sgpr_dispatch_id 0
		.amdhsa_user_sgpr_flat_scratch_init 0
		.amdhsa_user_sgpr_private_segment_size 0
		.amdhsa_wavefront_size32 1
		.amdhsa_uses_dynamic_stack 0
		.amdhsa_system_sgpr_private_segment_wavefront_offset 0
		.amdhsa_system_sgpr_workgroup_id_x 1
		.amdhsa_system_sgpr_workgroup_id_y 1
		.amdhsa_system_sgpr_workgroup_id_z 1
		.amdhsa_system_sgpr_workgroup_info 0
		.amdhsa_system_vgpr_workitem_id 0
		.amdhsa_next_free_vgpr 86
		.amdhsa_next_free_sgpr 27
		.amdhsa_reserve_vcc 1
		.amdhsa_reserve_flat_scratch 0
		.amdhsa_float_round_mode_32 0
		.amdhsa_float_round_mode_16_64 0
		.amdhsa_float_denorm_mode_32 3
		.amdhsa_float_denorm_mode_16_64 3
		.amdhsa_dx10_clamp 1
		.amdhsa_ieee_mode 1
		.amdhsa_fp16_overflow 0
		.amdhsa_workgroup_processor_mode 1
		.amdhsa_memory_ordered 1
		.amdhsa_forward_progress 1
		.amdhsa_shared_vgpr_count 0
		.amdhsa_exception_fp_ieee_invalid_op 0
		.amdhsa_exception_fp_denorm_src 0
		.amdhsa_exception_fp_ieee_div_zero 0
		.amdhsa_exception_fp_ieee_overflow 0
		.amdhsa_exception_fp_ieee_underflow 0
		.amdhsa_exception_fp_ieee_inexact 0
		.amdhsa_exception_int_div_zero 0
	.end_amdhsa_kernel
	.section	.text._ZN4vllm25paged_attention_v1_kernelIffLi80ELi16ELi128ELNS_18Fp8KVCacheDataTypeE0ELb0EEEvPT_PKS2_PKT0_S8_ifPKiSA_iPKfiiiSC_SC_iiiii,"axG",@progbits,_ZN4vllm25paged_attention_v1_kernelIffLi80ELi16ELi128ELNS_18Fp8KVCacheDataTypeE0ELb0EEEvPT_PKS2_PKT0_S8_ifPKiSA_iPKfiiiSC_SC_iiiii,comdat
.Lfunc_end29:
	.size	_ZN4vllm25paged_attention_v1_kernelIffLi80ELi16ELi128ELNS_18Fp8KVCacheDataTypeE0ELb0EEEvPT_PKS2_PKT0_S8_ifPKiSA_iPKfiiiSC_SC_iiiii, .Lfunc_end29-_ZN4vllm25paged_attention_v1_kernelIffLi80ELi16ELi128ELNS_18Fp8KVCacheDataTypeE0ELb0EEEvPT_PKS2_PKT0_S8_ifPKiSA_iPKfiiiSC_SC_iiiii
                                        ; -- End function
	.set _ZN4vllm25paged_attention_v1_kernelIffLi80ELi16ELi128ELNS_18Fp8KVCacheDataTypeE0ELb0EEEvPT_PKS2_PKT0_S8_ifPKiSA_iPKfiiiSC_SC_iiiii.num_vgpr, 86
	.set _ZN4vllm25paged_attention_v1_kernelIffLi80ELi16ELi128ELNS_18Fp8KVCacheDataTypeE0ELb0EEEvPT_PKS2_PKT0_S8_ifPKiSA_iPKfiiiSC_SC_iiiii.num_agpr, 0
	.set _ZN4vllm25paged_attention_v1_kernelIffLi80ELi16ELi128ELNS_18Fp8KVCacheDataTypeE0ELb0EEEvPT_PKS2_PKT0_S8_ifPKiSA_iPKfiiiSC_SC_iiiii.numbered_sgpr, 27
	.set _ZN4vllm25paged_attention_v1_kernelIffLi80ELi16ELi128ELNS_18Fp8KVCacheDataTypeE0ELb0EEEvPT_PKS2_PKT0_S8_ifPKiSA_iPKfiiiSC_SC_iiiii.num_named_barrier, 0
	.set _ZN4vllm25paged_attention_v1_kernelIffLi80ELi16ELi128ELNS_18Fp8KVCacheDataTypeE0ELb0EEEvPT_PKS2_PKT0_S8_ifPKiSA_iPKfiiiSC_SC_iiiii.private_seg_size, 0
	.set _ZN4vllm25paged_attention_v1_kernelIffLi80ELi16ELi128ELNS_18Fp8KVCacheDataTypeE0ELb0EEEvPT_PKS2_PKT0_S8_ifPKiSA_iPKfiiiSC_SC_iiiii.uses_vcc, 1
	.set _ZN4vllm25paged_attention_v1_kernelIffLi80ELi16ELi128ELNS_18Fp8KVCacheDataTypeE0ELb0EEEvPT_PKS2_PKT0_S8_ifPKiSA_iPKfiiiSC_SC_iiiii.uses_flat_scratch, 0
	.set _ZN4vllm25paged_attention_v1_kernelIffLi80ELi16ELi128ELNS_18Fp8KVCacheDataTypeE0ELb0EEEvPT_PKS2_PKT0_S8_ifPKiSA_iPKfiiiSC_SC_iiiii.has_dyn_sized_stack, 0
	.set _ZN4vllm25paged_attention_v1_kernelIffLi80ELi16ELi128ELNS_18Fp8KVCacheDataTypeE0ELb0EEEvPT_PKS2_PKT0_S8_ifPKiSA_iPKfiiiSC_SC_iiiii.has_recursion, 0
	.set _ZN4vllm25paged_attention_v1_kernelIffLi80ELi16ELi128ELNS_18Fp8KVCacheDataTypeE0ELb0EEEvPT_PKS2_PKT0_S8_ifPKiSA_iPKfiiiSC_SC_iiiii.has_indirect_call, 0
	.section	.AMDGPU.csdata,"",@progbits
; Kernel info:
; codeLenInByte = 5640
; TotalNumSgprs: 29
; NumVgprs: 86
; ScratchSize: 0
; MemoryBound: 0
; FloatMode: 240
; IeeeMode: 1
; LDSByteSize: 352 bytes/workgroup (compile time only)
; SGPRBlocks: 0
; VGPRBlocks: 10
; NumSGPRsForWavesPerEU: 29
; NumVGPRsForWavesPerEU: 86
; Occupancy: 10
; WaveLimiterHint : 1
; COMPUTE_PGM_RSRC2:SCRATCH_EN: 0
; COMPUTE_PGM_RSRC2:USER_SGPR: 6
; COMPUTE_PGM_RSRC2:TRAP_HANDLER: 0
; COMPUTE_PGM_RSRC2:TGID_X_EN: 1
; COMPUTE_PGM_RSRC2:TGID_Y_EN: 1
; COMPUTE_PGM_RSRC2:TGID_Z_EN: 1
; COMPUTE_PGM_RSRC2:TIDIG_COMP_CNT: 0
	.section	.text._ZN4vllm25paged_attention_v1_kernelIffLi96ELi16ELi128ELNS_18Fp8KVCacheDataTypeE0ELb0EEEvPT_PKS2_PKT0_S8_ifPKiSA_iPKfiiiSC_SC_iiiii,"axG",@progbits,_ZN4vllm25paged_attention_v1_kernelIffLi96ELi16ELi128ELNS_18Fp8KVCacheDataTypeE0ELb0EEEvPT_PKS2_PKT0_S8_ifPKiSA_iPKfiiiSC_SC_iiiii,comdat
	.protected	_ZN4vllm25paged_attention_v1_kernelIffLi96ELi16ELi128ELNS_18Fp8KVCacheDataTypeE0ELb0EEEvPT_PKS2_PKT0_S8_ifPKiSA_iPKfiiiSC_SC_iiiii ; -- Begin function _ZN4vllm25paged_attention_v1_kernelIffLi96ELi16ELi128ELNS_18Fp8KVCacheDataTypeE0ELb0EEEvPT_PKS2_PKT0_S8_ifPKiSA_iPKfiiiSC_SC_iiiii
	.globl	_ZN4vllm25paged_attention_v1_kernelIffLi96ELi16ELi128ELNS_18Fp8KVCacheDataTypeE0ELb0EEEvPT_PKS2_PKT0_S8_ifPKiSA_iPKfiiiSC_SC_iiiii
	.p2align	8
	.type	_ZN4vllm25paged_attention_v1_kernelIffLi96ELi16ELi128ELNS_18Fp8KVCacheDataTypeE0ELb0EEEvPT_PKS2_PKT0_S8_ifPKiSA_iPKfiiiSC_SC_iiiii,@function
_ZN4vllm25paged_attention_v1_kernelIffLi96ELi16ELi128ELNS_18Fp8KVCacheDataTypeE0ELb0EEEvPT_PKS2_PKT0_S8_ifPKiSA_iPKfiiiSC_SC_iiiii: ; @_ZN4vllm25paged_attention_v1_kernelIffLi96ELi16ELi128ELNS_18Fp8KVCacheDataTypeE0ELb0EEEvPT_PKS2_PKT0_S8_ifPKiSA_iPKfiiiSC_SC_iiiii
; %bb.0:
	s_clause 0x2
	s_load_dword s9, s[4:5], 0x80
	s_load_dwordx2 s[0:1], s[4:5], 0x30
	s_load_dwordx2 s[24:25], s[4:5], 0x20
	s_mov_b32 s10, s7
	s_ashr_i32 s11, s7, 31
	s_lshl_b64 s[2:3], s[10:11], 2
	s_waitcnt lgkmcnt(0)
	s_add_u32 s0, s0, s2
	s_addc_u32 s1, s1, s3
	s_abs_i32 s2, s24
	s_abs_i32 s11, s9
	v_cvt_f32_u32_e32 v1, s2
	s_sub_i32 s7, 0, s2
	v_rcp_iflag_f32_e32 v1, v1
	v_mul_f32_e32 v1, 0x4f7ffffe, v1
	v_cvt_u32_f32_e32 v1, v1
	v_readfirstlane_b32 s3, v1
	s_mul_i32 s7, s7, s3
	s_mul_hi_u32 s7, s3, s7
	s_add_i32 s3, s3, s7
	s_xor_b32 s7, s9, s24
	s_mul_hi_u32 s3, s11, s3
	s_ashr_i32 s7, s7, 31
	s_mul_i32 s12, s3, s2
	s_mov_b32 s24, 0
	s_sub_i32 s11, s11, s12
	s_add_i32 s12, s3, 1
	s_sub_i32 s13, s11, s2
	s_cmp_ge_u32 s11, s2
	s_cselect_b32 s3, s12, s3
	s_cselect_b32 s11, s13, s11
	s_add_i32 s12, s3, 1
	s_cmp_ge_u32 s11, s2
	s_cselect_b32 s2, s12, s3
	s_abs_i32 s17, s6
	s_xor_b32 s2, s2, s7
	s_sub_i32 s18, s2, s7
	s_load_dwordx2 s[2:3], s[4:5], 0x40
	s_abs_i32 s16, s18
	v_cvt_f32_u32_e32 v1, s16
	s_sub_i32 s11, 0, s16
	v_rcp_iflag_f32_e32 v1, v1
	v_mul_f32_e32 v1, 0x4f7ffffe, v1
	v_cvt_u32_f32_e32 v1, v1
	v_readfirstlane_b32 s7, v1
	s_mul_i32 s11, s11, s7
	s_mul_hi_u32 s11, s7, s11
	s_add_i32 s7, s7, s11
	s_waitcnt lgkmcnt(0)
	s_cmp_eq_u64 s[2:3], 0
	s_mul_hi_u32 s20, s17, s7
	s_cbranch_scc1 .LBB30_2
; %bb.1:
	s_ashr_i32 s7, s6, 31
	s_lshl_b64 s[12:13], s[6:7], 2
	s_add_u32 s2, s2, s12
	s_addc_u32 s3, s3, s13
	s_load_dword s24, s[2:3], 0x0
.LBB30_2:
	s_load_dword s11, s[0:1], 0x0
	s_load_dwordx4 s[12:15], s[4:5], 0x48
	v_and_b32_e32 v41, 1, v0
	v_lshlrev_b32_e32 v1, 3, v0
	v_lshlrev_b32_e32 v51, 2, v0
	s_ashr_i32 s0, s6, 31
	s_ashr_i32 s1, s18, 31
	s_mulk_i32 s6, 0x60
	s_mov_b32 s2, exec_lo
	v_cmpx_gt_u32_e32 48, v0
	s_cbranch_execz .LBB30_4
; %bb.3:
	s_load_dwordx2 s[18:19], s[4:5], 0x8
	s_waitcnt lgkmcnt(0)
	s_mul_i32 s22, s12, s10
	v_and_b32_e32 v4, 0xff8, v51
	s_ashr_i32 s23, s22, 31
	s_lshl_b64 s[22:23], s[22:23], 2
	v_mad_u32_u24 v4, 0xc0, v41, v4
	s_add_u32 s3, s18, s22
	s_addc_u32 s12, s19, s23
	s_ashr_i32 s7, s6, 31
	s_lshl_b64 s[18:19], s[6:7], 2
	s_add_u32 s18, s3, s18
	s_addc_u32 s19, s12, s19
	global_load_dwordx2 v[2:3], v1, s[18:19]
	s_waitcnt vmcnt(0)
	ds_write_b64 v4, v[2:3]
.LBB30_4:
	s_or_b32 exec_lo, exec_lo, s2
	s_waitcnt lgkmcnt(0)
	s_add_i32 s2, s11, 15
	s_clause 0x1
	s_load_dwordx2 s[18:19], s[4:5], 0x28
	s_load_dword s7, s[4:5], 0x38
	s_ashr_i32 s3, s2, 31
	s_xor_b32 s0, s0, s1
	s_lshr_b32 s3, s3, 28
	s_mul_i32 s1, s20, s16
	s_add_i32 s2, s2, s3
	s_sub_i32 s1, s17, s1
	s_ashr_i32 s12, s2, 4
	s_add_i32 s2, s20, 1
	s_sub_i32 s3, s1, s16
	s_cmp_ge_u32 s1, s16
	v_lshrrev_b32_e32 v55, 5, v0
	s_cselect_b32 s2, s2, s20
	s_cselect_b32 s1, s3, s1
	s_add_i32 s3, s2, 1
	s_cmp_ge_u32 s1, s16
	v_mbcnt_lo_u32_b32 v53, -1, 0
	s_cselect_b32 s1, s3, s2
	s_mov_b32 s2, exec_lo
	s_xor_b32 s1, s1, s0
	s_waitcnt lgkmcnt(0)
	s_mul_i32 s20, s7, s10
	s_sub_i32 s1, s1, s0
	v_cmp_gt_i32_e64 s0, s12, v55
	s_ashr_i32 s21, s20, 31
	s_barrier
	buffer_gl0_inv
                                        ; implicit-def: $vgpr54
                                        ; implicit-def: $vgpr58
	v_cmpx_le_i32_e64 s12, v55
	s_xor_b32 s2, exec_lo, s2
; %bb.5:
	v_mov_b32_e32 v54, 0
	v_mbcnt_lo_u32_b32 v53, -1, 0
	v_mov_b32_e32 v58, 32
                                        ; implicit-def: $vgpr1
                                        ; implicit-def: $vgpr41
; %bb.6:
	s_or_saveexec_b32 s26, s2
	s_clause 0x2
	s_load_dwordx2 s[16:17], s[4:5], 0x0
	s_load_dwordx2 s[22:23], s[4:5], 0x18
	s_load_dword s7, s[4:5], 0x88
	v_mov_b32_e32 v60, 0xff7fffff
	v_lshrrev_b32_e32 v52, 3, v0
	s_mul_i32 s14, s1, s14
	s_xor_b32 exec_lo, exec_lo, s26
	s_cbranch_execz .LBB30_12
; %bb.7:
	s_load_dwordx2 s[2:3], s[4:5], 0x10
	v_bfe_u32 v49, v0, 1, 4
	s_ashr_i32 s15, s14, 31
	v_xor_b32_e32 v26, 1, v53
	s_lshl_b64 s[4:5], s[14:15], 2
	v_and_b32_e32 v25, 8, v1
	v_lshlrev_b32_e32 v27, 4, v49
	v_mul_u32_u24_e32 v45, 0xc0, v41
	v_cmp_gt_i32_e32 vcc_lo, 32, v26
	ds_read_b128 v[1:4], v45
	ds_read_b128 v[5:8], v45 offset:16
	ds_read_b128 v[9:12], v45 offset:32
	;; [unrolled: 1-line block ×5, first 2 shown]
	v_cndmask_b32_e32 v42, v53, v26, vcc_lo
	v_lshlrev_b32_e32 v50, 2, v49
	v_lshl_or_b32 v61, v55, 4, v49
	v_and_b32_e32 v49, 0x7c, v52
	v_mov_b32_e32 v54, 0
	v_lshlrev_b32_e32 v59, 2, v42
	v_lshl_or_b32 v50, v55, 6, v50
	s_waitcnt lgkmcnt(0)
	s_add_u32 s1, s2, s4
	s_addc_u32 s2, s3, s5
	v_add_co_u32 v27, s1, s1, v27
	v_add_co_ci_u32_e64 v28, null, s2, 0, s1
	s_lshl_b64 s[2:3], s[20:21], 2
	v_add_co_u32 v56, vcc_lo, v27, v25
	v_add_co_ci_u32_e64 v57, null, 0, v28, vcc_lo
	ds_read_b128 v[25:28], v45 offset:96
	ds_read_b128 v[29:32], v45 offset:112
	;; [unrolled: 1-line block ×4, first 2 shown]
	v_cmp_eq_u32_e32 vcc_lo, 0, v41
	ds_read_b128 v[41:44], v45 offset:160
	ds_read_b128 v[45:48], v45 offset:176
	s_sub_i32 s4, 1, s11
	s_add_u32 s2, s18, s2
	s_addc_u32 s3, s19, s3
	v_add_co_u32 v49, s2, s2, v49
	v_mov_b32_e32 v58, 32
	v_cmp_neq_f32_e64 s1, s24, 0
	v_add_nc_u32_e32 v62, 0x1a0, v50
	v_add_co_ci_u32_e64 v50, null, s3, 0, s2
	v_mov_b32_e32 v60, 0xff7fffff
	v_mov_b32_e32 v63, v55
	s_mov_b32 s15, s13
	s_mov_b32 s5, 0
	s_branch .LBB30_9
.LBB30_8:                               ;   in Loop: Header=BB30_9 Depth=1
	s_or_b32 exec_lo, exec_lo, s3
	v_add_nc_u32_e32 v63, 4, v63
	v_add_co_u32 v49, s3, v49, 16
	v_add_nc_u32_e32 v61, 64, v61
	v_add_nc_u32_e32 v62, 0x100, v62
	v_cmp_le_i32_e64 s2, s12, v63
	v_add_co_ci_u32_e64 v50, null, 0, v50, s3
	s_or_b32 s5, s2, s5
	s_andn2_b32 exec_lo, exec_lo, s5
	s_cbranch_execz .LBB30_11
.LBB30_9:                               ; =>This Inner Loop Header: Depth=1
	global_load_dword v64, v[49:50], off
	s_waitcnt vmcnt(0) lgkmcnt(0)
	v_mad_i64_i32 v[64:65], null, v64, s15, 0
	v_lshlrev_b64 v[64:65], 2, v[64:65]
	v_add_co_u32 v64, s2, v56, v64
	v_add_co_ci_u32_e64 v65, null, v57, v65, s2
	s_clause 0x7
	global_load_dwordx2 v[66:67], v[64:65], off offset:256
	global_load_dwordx2 v[68:69], v[64:65], off offset:512
	;; [unrolled: 1-line block ×3, first 2 shown]
	global_load_dwordx2 v[72:73], v[64:65], off
	global_load_dwordx2 v[74:75], v[64:65], off offset:1024
	global_load_dwordx2 v[76:77], v[64:65], off offset:1280
	;; [unrolled: 1-line block ×4, first 2 shown]
	v_add_co_u32 v80, s2, v64, 0x1000
	v_add_co_ci_u32_e64 v81, null, 0, v65, s2
	v_add_co_u32 v84, s2, 0x800, v64
	v_add_co_ci_u32_e64 v85, null, 0, v65, s2
	s_clause 0x7
	global_load_dwordx2 v[86:87], v[80:81], off offset:-2048
	global_load_dwordx2 v[88:89], v[84:85], off offset:256
	global_load_dwordx2 v[90:91], v[84:85], off offset:512
	;; [unrolled: 1-line block ×7, first 2 shown]
	v_add_co_u32 v64, s2, 0x1000, v64
	v_add_co_ci_u32_e64 v65, null, 0, v65, s2
	global_load_dwordx2 v[80:81], v[80:81], off
	s_waitcnt vmcnt(16)
	v_mul_f32_e32 v100, v3, v66
	v_mul_f32_e32 v101, v4, v67
	global_load_dwordx2 v[66:67], v[64:65], off offset:256
	s_waitcnt vmcnt(14)
	v_fmac_f32_e32 v100, v1, v72
	v_fmac_f32_e32 v101, v2, v73
	global_load_dwordx2 v[72:73], v[64:65], off offset:512
	v_fmac_f32_e32 v100, v5, v68
	v_fmac_f32_e32 v101, v6, v69
	global_load_dwordx2 v[68:69], v[64:65], off offset:768
	;; [unrolled: 3-line block ×3, first 2 shown]
	s_waitcnt vmcnt(16)
	v_fmac_f32_e32 v100, v9, v74
	v_fmac_f32_e32 v101, v10, v75
	global_load_dwordx2 v[74:75], v[64:65], off offset:1280
	s_waitcnt vmcnt(16)
	v_fmac_f32_e32 v100, v11, v76
	v_fmac_f32_e32 v101, v12, v77
	s_clause 0x1
	global_load_dwordx2 v[76:77], v[64:65], off offset:1536
	global_load_dwordx2 v[64:65], v[64:65], off offset:1792
	s_waitcnt vmcnt(17)
	v_fmac_f32_e32 v100, v13, v78
	v_fmac_f32_e32 v101, v14, v79
	s_waitcnt vmcnt(16)
	v_fmac_f32_e32 v100, v15, v82
	v_fmac_f32_e32 v101, v16, v83
	;; [unrolled: 3-line block ×6, first 2 shown]
	s_waitcnt vmcnt(11) lgkmcnt(5)
	v_fmac_f32_e32 v100, v25, v94
	v_fmac_f32_e32 v101, v26, v95
	s_waitcnt vmcnt(10)
	v_fmac_f32_e32 v100, v27, v96
	v_fmac_f32_e32 v101, v28, v97
	s_waitcnt vmcnt(9) lgkmcnt(4)
	v_fmac_f32_e32 v100, v29, v98
	v_fmac_f32_e32 v101, v30, v99
	s_waitcnt vmcnt(8)
	v_fmac_f32_e32 v100, v31, v84
	v_fmac_f32_e32 v101, v32, v85
	s_waitcnt vmcnt(7) lgkmcnt(3)
	v_fmac_f32_e32 v100, v33, v80
	v_fmac_f32_e32 v101, v34, v81
	s_waitcnt vmcnt(6)
	v_fmac_f32_e32 v100, v35, v66
	v_fmac_f32_e32 v101, v36, v67
	s_waitcnt vmcnt(5) lgkmcnt(2)
	v_fmac_f32_e32 v100, v37, v72
	v_fmac_f32_e32 v101, v38, v73
	s_waitcnt vmcnt(4)
	v_fmac_f32_e32 v100, v39, v68
	v_fmac_f32_e32 v101, v40, v69
	s_waitcnt vmcnt(3) lgkmcnt(1)
	v_fmac_f32_e32 v100, v41, v70
	v_fmac_f32_e32 v101, v42, v71
	s_waitcnt vmcnt(2)
	v_fmac_f32_e32 v100, v43, v74
	v_fmac_f32_e32 v101, v44, v75
	s_waitcnt vmcnt(1) lgkmcnt(0)
	v_fmac_f32_e32 v100, v45, v76
	v_fmac_f32_e32 v101, v46, v77
	s_waitcnt vmcnt(0)
	v_fmac_f32_e32 v100, v47, v64
	v_fmac_f32_e32 v101, v48, v65
	v_add_f32_e32 v64, v100, v101
	ds_bpermute_b32 v65, v59, v64
	s_and_saveexec_b32 s3, vcc_lo
	s_cbranch_execz .LBB30_8
; %bb.10:                               ;   in Loop: Header=BB30_9 Depth=1
	v_add_nc_u32_e32 v66, s4, v61
	s_waitcnt lgkmcnt(0)
	v_add_f32_e32 v64, v64, v65
	v_cmp_gt_i32_e64 s2, s11, v61
	v_cvt_f32_i32_e32 v66, v66
	v_mul_f32_e32 v66, s24, v66
	v_cndmask_b32_e64 v65, 0, v66, s1
	v_max_f32_e32 v66, v60, v60
	v_fmac_f32_e32 v65, s25, v64
	v_max_f32_e32 v64, v66, v65
	v_cndmask_b32_e64 v65, 0, v65, s2
	v_cndmask_b32_e64 v60, v60, v64, s2
	ds_write_b32 v62, v65
	s_branch .LBB30_8
.LBB30_11:
	s_or_b32 exec_lo, exec_lo, s5
.LBB30_12:
	s_or_b32 exec_lo, exec_lo, s26
	v_xor_b32_e32 v1, 16, v53
	v_xor_b32_e32 v3, 8, v53
	v_max_f32_e32 v4, v60, v60
	v_xor_b32_e32 v5, 4, v53
	v_and_b32_e32 v56, 31, v0
	v_cmp_lt_i32_e32 vcc_lo, v1, v58
	v_cndmask_b32_e32 v1, v53, v1, vcc_lo
	v_cmp_lt_i32_e32 vcc_lo, v3, v58
	v_lshlrev_b32_e32 v1, 2, v1
	v_cndmask_b32_e32 v3, v53, v3, vcc_lo
	v_cmp_lt_i32_e32 vcc_lo, v5, v58
	ds_bpermute_b32 v2, v1, v60
	v_lshlrev_b32_e32 v3, 2, v3
	v_cndmask_b32_e32 v5, v53, v5, vcc_lo
	s_waitcnt lgkmcnt(0)
	v_max_f32_e32 v2, v2, v2
	v_max_f32_e32 v2, v4, v2
	ds_bpermute_b32 v4, v3, v2
	s_waitcnt lgkmcnt(0)
	v_max_f32_e32 v6, v4, v4
	v_lshlrev_b32_e32 v4, 2, v5
	v_max_f32_e32 v2, v2, v6
	v_xor_b32_e32 v6, 2, v53
	ds_bpermute_b32 v5, v4, v2
	v_cmp_lt_i32_e32 vcc_lo, v6, v58
	v_cndmask_b32_e32 v6, v53, v6, vcc_lo
	v_cmp_eq_u32_e32 vcc_lo, 0, v56
	v_lshlrev_b32_e32 v57, 2, v6
	s_waitcnt lgkmcnt(0)
	v_max_f32_e32 v5, v5, v5
	v_max_f32_e32 v2, v2, v5
	v_lshlrev_b32_e32 v5, 2, v55
	ds_bpermute_b32 v6, v57, v2
	s_and_saveexec_b32 s1, vcc_lo
	s_cbranch_execz .LBB30_14
; %bb.13:
	s_waitcnt lgkmcnt(0)
	v_max_f32_e32 v6, v6, v6
	v_max_f32_e32 v2, v2, v2
	;; [unrolled: 1-line block ×3, first 2 shown]
	ds_write_b32 v5, v2 offset:384
.LBB30_14:
	s_or_b32 exec_lo, exec_lo, s1
	v_cmp_gt_u32_e64 s1, 4, v56
	v_mov_b32_e32 v2, 0xff7fffff
	s_waitcnt lgkmcnt(0)
	v_lshlrev_b32_e32 v6, 2, v56
	s_barrier
	buffer_gl0_inv
	s_and_saveexec_b32 s2, s1
; %bb.15:
	ds_read_b32 v2, v6 offset:384
; %bb.16:
	s_or_b32 exec_lo, exec_lo, s2
	s_waitcnt lgkmcnt(0)
	ds_bpermute_b32 v7, v57, v2
	v_xor_b32_e32 v8, 1, v53
	v_max_f32_e32 v2, v2, v2
	v_cmp_lt_i32_e64 s2, v8, v58
	v_cndmask_b32_e64 v8, v53, v8, s2
	s_lshl_b32 s2, s12, 4
	s_min_i32 s4, s2, s11
	v_lshlrev_b32_e32 v58, 2, v8
	v_cmp_gt_i32_e64 s2, s4, v0
	s_waitcnt lgkmcnt(0)
	v_max_f32_e32 v7, v7, v7
	v_max_f32_e32 v2, v2, v7
	ds_bpermute_b32 v7, v58, v2
	s_waitcnt lgkmcnt(0)
	v_max_f32_e32 v7, v7, v7
	v_max_f32_e32 v2, v2, v7
	v_lshlrev_b32_e32 v7, 2, v54
	ds_bpermute_b32 v8, v7, v2
	v_mov_b32_e32 v7, 0
	v_lshl_add_u32 v2, v0, 2, 0x1a0
	s_and_saveexec_b32 s5, s2
	s_cbranch_execz .LBB30_20
; %bb.17:
	v_lshl_add_u32 v9, v0, 2, 0x1a0
	v_mov_b32_e32 v7, 0
	v_mov_b32_e32 v10, v0
	s_mov_b32 s15, 0
	.p2align	6
.LBB30_18:                              ; =>This Inner Loop Header: Depth=1
	ds_read_b32 v11, v9
	v_add_nc_u32_e32 v10, 0x80, v10
	v_cmp_le_i32_e64 s3, s4, v10
	s_or_b32 s15, s3, s15
	s_waitcnt lgkmcnt(0)
	v_sub_f32_e32 v11, v11, v8
	v_mul_f32_e32 v11, 0x3fb8aa3b, v11
	v_exp_f32_e32 v11, v11
	ds_write_b32 v9, v11
	v_add_f32_e32 v7, v7, v11
	v_add_nc_u32_e32 v9, 0x200, v9
	s_andn2_b32 exec_lo, exec_lo, s15
	s_cbranch_execnz .LBB30_18
; %bb.19:
	s_or_b32 exec_lo, exec_lo, s15
.LBB30_20:
	s_or_b32 exec_lo, exec_lo, s5
	ds_bpermute_b32 v1, v1, v7
	s_waitcnt lgkmcnt(0)
	v_add_f32_e32 v1, v7, v1
	ds_bpermute_b32 v3, v3, v1
	s_waitcnt lgkmcnt(0)
	v_add_f32_e32 v1, v1, v3
	;; [unrolled: 3-line block ×5, first 2 shown]
	s_and_saveexec_b32 s3, vcc_lo
; %bb.21:
	ds_write_b32 v5, v1 offset:400
; %bb.22:
	s_or_b32 exec_lo, exec_lo, s3
	s_waitcnt lgkmcnt(0)
	s_barrier
	buffer_gl0_inv
	s_and_saveexec_b32 s3, s1
; %bb.23:
	ds_read_b32 v1, v6 offset:400
; %bb.24:
	s_or_b32 exec_lo, exec_lo, s3
	s_waitcnt lgkmcnt(0)
	ds_bpermute_b32 v3, v57, v1
	v_lshlrev_b32_e32 v4, 2, v53
	s_waitcnt lgkmcnt(0)
	v_add_f32_e32 v1, v1, v3
	ds_bpermute_b32 v3, v58, v1
	s_waitcnt lgkmcnt(0)
	v_add_f32_e32 v1, v1, v3
	v_and_b32_e32 v3, 0xffffff80, v4
	ds_bpermute_b32 v1, v3, v1
	s_and_saveexec_b32 s1, s2
	s_cbranch_execz .LBB30_27
; %bb.25:
	s_waitcnt lgkmcnt(0)
	v_add_f32_e32 v1, 0x358637bd, v1
	s_mov_b32 s2, 0
	v_div_scale_f32 v3, null, v1, v1, 1.0
	v_div_scale_f32 v6, vcc_lo, 1.0, v1, 1.0
	v_rcp_f32_e32 v4, v3
	v_fma_f32 v5, -v3, v4, 1.0
	v_fmac_f32_e32 v4, v5, v4
	v_mul_f32_e32 v5, v6, v4
	v_fma_f32 v7, -v3, v5, v6
	v_fmac_f32_e32 v5, v7, v4
	v_fma_f32 v3, -v3, v5, v6
	v_div_fmas_f32 v3, v3, v4, v5
	v_div_fixup_f32 v1, v3, v1, 1.0
	v_mov_b32_e32 v3, v0
.LBB30_26:                              ; =>This Inner Loop Header: Depth=1
	ds_read_b32 v4, v2
	v_add_nc_u32_e32 v3, 0x80, v3
	v_cmp_le_i32_e32 vcc_lo, s4, v3
	s_or_b32 s2, vcc_lo, s2
	s_waitcnt lgkmcnt(0)
	v_mul_f32_e32 v4, v1, v4
	ds_write_b32 v2, v4
	v_add_nc_u32_e32 v2, 0x200, v2
	s_andn2_b32 exec_lo, exec_lo, s2
	s_cbranch_execnz .LBB30_26
.LBB30_27:
	s_or_b32 exec_lo, exec_lo, s1
	v_mov_b32_e32 v69, 0
	v_and_b32_e32 v59, 3, v0
	v_mov_b32_e32 v71, 0
	v_mov_b32_e32 v70, 0
	;; [unrolled: 1-line block ×11, first 2 shown]
	s_waitcnt lgkmcnt(0)
	s_barrier
	buffer_gl0_inv
	s_and_saveexec_b32 s1, s0
	s_cbranch_execz .LBB30_55
; %bb.28:
	v_lshlrev_b32_e32 v2, 4, v0
	s_ashr_i32 s15, s14, 31
	v_and_b32_e32 v1, 12, v51
	v_lshlrev_b32_e32 v4, 4, v55
	s_lshl_b64 s[2:3], s[14:15], 2
	v_and_b32_e32 v2, 0x1f0, v2
	v_lshlrev_b32_e32 v3, 4, v59
	s_add_u32 s0, s22, s2
	v_or3_b32 v74, v4, v1, 3
	v_and_b32_e32 v1, 0x7c, v52
	s_addc_u32 s3, s23, s3
	v_add_co_u32 v72, s0, s0, v2
	s_lshl_b64 s[4:5], s[20:21], 2
	s_add_i32 s2, s12, -1
	v_lshl_or_b32 v3, v55, 6, v3
	v_add_co_ci_u32_e64 v73, null, s3, 0, s0
	s_add_u32 s0, s18, s4
	s_addc_u32 s3, s19, s5
	v_add_co_u32 v53, s0, s0, v1
	v_mov_b32_e32 v60, 0
	v_add_nc_u32_e32 v75, 0x1a0, v3
	v_add_co_ci_u32_e64 v54, null, s3, 0, s0
	v_mov_b32_e32 v61, 0
	v_mov_b32_e32 v62, 0
	;; [unrolled: 1-line block ×12, first 2 shown]
	s_mov_b32 s4, s13
	s_mov_b32 s3, 0
	s_branch .LBB30_30
.LBB30_29:                              ;   in Loop: Header=BB30_30 Depth=1
	s_or_b32 exec_lo, exec_lo, s0
	s_waitcnt vmcnt(1) lgkmcnt(0)
	v_mul_f32_e32 v49, v1, v49
	v_mul_f32_e32 v45, v1, v45
	;; [unrolled: 1-line block ×11, first 2 shown]
	s_waitcnt vmcnt(0)
	v_mul_f32_e32 v1, v1, v41
	v_fmac_f32_e32 v49, v2, v50
	v_fmac_f32_e32 v45, v2, v46
	;; [unrolled: 1-line block ×24, first 2 shown]
	v_add_nc_u32_e32 v76, 4, v76
	v_fmac_f32_e32 v49, v4, v52
	v_fmac_f32_e32 v45, v4, v48
	;; [unrolled: 1-line block ×12, first 2 shown]
	v_cmp_le_i32_e32 vcc_lo, s12, v76
	v_add_co_u32 v53, s0, v53, 16
	v_add_f32_e32 v61, v61, v49
	v_add_f32_e32 v62, v62, v45
	v_add_f32_e32 v63, v63, v37
	v_add_f32_e32 v64, v64, v33
	v_add_f32_e32 v65, v65, v29
	v_add_f32_e32 v66, v66, v25
	v_add_f32_e32 v67, v67, v21
	v_add_f32_e32 v68, v68, v17
	v_add_f32_e32 v70, v70, v13
	v_add_f32_e32 v71, v71, v9
	v_add_f32_e32 v69, v69, v5
	v_add_f32_e32 v60, v60, v1
	v_add_nc_u32_e32 v74, 64, v74
	v_add_nc_u32_e32 v75, 0x100, v75
	v_add_co_ci_u32_e64 v54, null, 0, v54, s0
	s_or_b32 s3, vcc_lo, s3
	s_andn2_b32 exec_lo, exec_lo, s3
	s_cbranch_execz .LBB30_54
.LBB30_30:                              ; =>This Inner Loop Header: Depth=1
	global_load_dword v1, v[53:54], off
	v_add_nc_u32_e32 v77, -3, v74
	v_add_nc_u32_e32 v79, -2, v74
	;; [unrolled: 1-line block ×3, first 2 shown]
	s_waitcnt vmcnt(0)
	v_mad_i64_i32 v[1:2], null, v1, s4, 0
	v_lshlrev_b64 v[1:2], 2, v[1:2]
	v_add_co_u32 v37, vcc_lo, v72, v1
	v_add_co_ci_u32_e64 v38, null, v73, v2, vcc_lo
	ds_read_b128 v[1:4], v75
	v_cmp_eq_u32_e32 vcc_lo, s2, v76
	global_load_dwordx4 v[5:8], v[37:38], off
	s_and_saveexec_b32 s5, vcc_lo
	s_cbranch_execnz .LBB30_44
; %bb.31:                               ;   in Loop: Header=BB30_30 Depth=1
	s_or_b32 exec_lo, exec_lo, s5
	global_load_dwordx4 v[9:12], v[37:38], off offset:512
	s_and_saveexec_b32 s5, vcc_lo
	s_cbranch_execnz .LBB30_45
.LBB30_32:                              ;   in Loop: Header=BB30_30 Depth=1
	s_or_b32 exec_lo, exec_lo, s5
	global_load_dwordx4 v[13:16], v[37:38], off offset:1024
	s_and_saveexec_b32 s5, vcc_lo
	s_cbranch_execnz .LBB30_46
.LBB30_33:                              ;   in Loop: Header=BB30_30 Depth=1
	s_or_b32 exec_lo, exec_lo, s5
	global_load_dwordx4 v[17:20], v[37:38], off offset:1536
	s_and_saveexec_b32 s5, vcc_lo
	s_cbranch_execz .LBB30_35
.LBB30_34:                              ;   in Loop: Header=BB30_30 Depth=1
	v_cmp_gt_i32_e64 s0, s11, v77
	s_waitcnt vmcnt(0)
	v_cndmask_b32_e64 v17, 0, v17, s0
	v_cmp_gt_i32_e64 s0, s11, v79
	v_cndmask_b32_e64 v18, 0, v18, s0
	v_cmp_gt_i32_e64 s0, s11, v78
	;; [unrolled: 2-line block ×3, first 2 shown]
	v_cndmask_b32_e64 v20, 0, v20, s0
.LBB30_35:                              ;   in Loop: Header=BB30_30 Depth=1
	s_or_b32 exec_lo, exec_lo, s5
	v_add_co_u32 v33, s0, 0x800, v37
	v_add_co_ci_u32_e64 v34, null, 0, v38, s0
	global_load_dwordx4 v[21:24], v[33:34], off
	s_and_saveexec_b32 s5, vcc_lo
	s_cbranch_execnz .LBB30_47
; %bb.36:                               ;   in Loop: Header=BB30_30 Depth=1
	s_or_b32 exec_lo, exec_lo, s5
	global_load_dwordx4 v[25:28], v[33:34], off offset:512
	s_and_saveexec_b32 s5, vcc_lo
	s_cbranch_execnz .LBB30_48
.LBB30_37:                              ;   in Loop: Header=BB30_30 Depth=1
	s_or_b32 exec_lo, exec_lo, s5
	global_load_dwordx4 v[29:32], v[33:34], off offset:1024
	s_and_saveexec_b32 s5, vcc_lo
	s_cbranch_execnz .LBB30_49
.LBB30_38:                              ;   in Loop: Header=BB30_30 Depth=1
	s_or_b32 exec_lo, exec_lo, s5
	global_load_dwordx4 v[33:36], v[33:34], off offset:1536
	s_and_saveexec_b32 s5, vcc_lo
	s_cbranch_execz .LBB30_40
.LBB30_39:                              ;   in Loop: Header=BB30_30 Depth=1
	v_cmp_gt_i32_e64 s0, s11, v77
	s_waitcnt vmcnt(0)
	v_cndmask_b32_e64 v33, 0, v33, s0
	v_cmp_gt_i32_e64 s0, s11, v79
	v_cndmask_b32_e64 v34, 0, v34, s0
	v_cmp_gt_i32_e64 s0, s11, v78
	;; [unrolled: 2-line block ×3, first 2 shown]
	v_cndmask_b32_e64 v36, 0, v36, s0
.LBB30_40:                              ;   in Loop: Header=BB30_30 Depth=1
	s_or_b32 exec_lo, exec_lo, s5
	v_add_co_u32 v41, s0, 0x1000, v37
	v_add_co_ci_u32_e64 v42, null, 0, v38, s0
	global_load_dwordx4 v[37:40], v[41:42], off
	s_and_saveexec_b32 s5, vcc_lo
	s_cbranch_execnz .LBB30_50
; %bb.41:                               ;   in Loop: Header=BB30_30 Depth=1
	s_or_b32 exec_lo, exec_lo, s5
	global_load_dwordx4 v[45:48], v[41:42], off offset:512
	s_and_saveexec_b32 s5, vcc_lo
	s_cbranch_execnz .LBB30_51
.LBB30_42:                              ;   in Loop: Header=BB30_30 Depth=1
	s_or_b32 exec_lo, exec_lo, s5
	global_load_dwordx4 v[49:52], v[41:42], off offset:1024
	s_and_saveexec_b32 s5, vcc_lo
	s_cbranch_execnz .LBB30_52
.LBB30_43:                              ;   in Loop: Header=BB30_30 Depth=1
	s_or_b32 exec_lo, exec_lo, s5
	global_load_dwordx4 v[41:44], v[41:42], off offset:1536
	s_and_saveexec_b32 s0, vcc_lo
	s_cbranch_execz .LBB30_29
	s_branch .LBB30_53
.LBB30_44:                              ;   in Loop: Header=BB30_30 Depth=1
	v_cmp_gt_i32_e64 s0, s11, v77
	s_waitcnt vmcnt(0)
	v_cndmask_b32_e64 v5, 0, v5, s0
	v_cmp_gt_i32_e64 s0, s11, v79
	v_cndmask_b32_e64 v6, 0, v6, s0
	v_cmp_gt_i32_e64 s0, s11, v78
	;; [unrolled: 2-line block ×3, first 2 shown]
	v_cndmask_b32_e64 v8, 0, v8, s0
	s_or_b32 exec_lo, exec_lo, s5
	global_load_dwordx4 v[9:12], v[37:38], off offset:512
	s_and_saveexec_b32 s5, vcc_lo
	s_cbranch_execz .LBB30_32
.LBB30_45:                              ;   in Loop: Header=BB30_30 Depth=1
	v_cmp_gt_i32_e64 s0, s11, v77
	s_waitcnt vmcnt(0)
	v_cndmask_b32_e64 v9, 0, v9, s0
	v_cmp_gt_i32_e64 s0, s11, v79
	v_cndmask_b32_e64 v10, 0, v10, s0
	v_cmp_gt_i32_e64 s0, s11, v78
	;; [unrolled: 2-line block ×3, first 2 shown]
	v_cndmask_b32_e64 v12, 0, v12, s0
	s_or_b32 exec_lo, exec_lo, s5
	global_load_dwordx4 v[13:16], v[37:38], off offset:1024
	s_and_saveexec_b32 s5, vcc_lo
	s_cbranch_execz .LBB30_33
.LBB30_46:                              ;   in Loop: Header=BB30_30 Depth=1
	v_cmp_gt_i32_e64 s0, s11, v77
	s_waitcnt vmcnt(0)
	v_cndmask_b32_e64 v13, 0, v13, s0
	v_cmp_gt_i32_e64 s0, s11, v79
	v_cndmask_b32_e64 v14, 0, v14, s0
	v_cmp_gt_i32_e64 s0, s11, v78
	;; [unrolled: 2-line block ×3, first 2 shown]
	v_cndmask_b32_e64 v16, 0, v16, s0
	s_or_b32 exec_lo, exec_lo, s5
	global_load_dwordx4 v[17:20], v[37:38], off offset:1536
	s_and_saveexec_b32 s5, vcc_lo
	s_cbranch_execnz .LBB30_34
	s_branch .LBB30_35
.LBB30_47:                              ;   in Loop: Header=BB30_30 Depth=1
	v_cmp_gt_i32_e64 s0, s11, v77
	s_waitcnt vmcnt(0)
	v_cndmask_b32_e64 v21, 0, v21, s0
	v_cmp_gt_i32_e64 s0, s11, v79
	v_cndmask_b32_e64 v22, 0, v22, s0
	v_cmp_gt_i32_e64 s0, s11, v78
	;; [unrolled: 2-line block ×3, first 2 shown]
	v_cndmask_b32_e64 v24, 0, v24, s0
	s_or_b32 exec_lo, exec_lo, s5
	global_load_dwordx4 v[25:28], v[33:34], off offset:512
	s_and_saveexec_b32 s5, vcc_lo
	s_cbranch_execz .LBB30_37
.LBB30_48:                              ;   in Loop: Header=BB30_30 Depth=1
	v_cmp_gt_i32_e64 s0, s11, v77
	s_waitcnt vmcnt(0)
	v_cndmask_b32_e64 v25, 0, v25, s0
	v_cmp_gt_i32_e64 s0, s11, v79
	v_cndmask_b32_e64 v26, 0, v26, s0
	v_cmp_gt_i32_e64 s0, s11, v78
	;; [unrolled: 2-line block ×3, first 2 shown]
	v_cndmask_b32_e64 v28, 0, v28, s0
	s_or_b32 exec_lo, exec_lo, s5
	global_load_dwordx4 v[29:32], v[33:34], off offset:1024
	s_and_saveexec_b32 s5, vcc_lo
	s_cbranch_execz .LBB30_38
.LBB30_49:                              ;   in Loop: Header=BB30_30 Depth=1
	v_cmp_gt_i32_e64 s0, s11, v77
	s_waitcnt vmcnt(0)
	v_cndmask_b32_e64 v29, 0, v29, s0
	v_cmp_gt_i32_e64 s0, s11, v79
	v_cndmask_b32_e64 v30, 0, v30, s0
	v_cmp_gt_i32_e64 s0, s11, v78
	;; [unrolled: 2-line block ×3, first 2 shown]
	v_cndmask_b32_e64 v32, 0, v32, s0
	s_or_b32 exec_lo, exec_lo, s5
	global_load_dwordx4 v[33:36], v[33:34], off offset:1536
	s_and_saveexec_b32 s5, vcc_lo
	s_cbranch_execnz .LBB30_39
	s_branch .LBB30_40
.LBB30_50:                              ;   in Loop: Header=BB30_30 Depth=1
	v_cmp_gt_i32_e64 s0, s11, v77
	s_waitcnt vmcnt(0)
	v_cndmask_b32_e64 v37, 0, v37, s0
	v_cmp_gt_i32_e64 s0, s11, v79
	v_cndmask_b32_e64 v38, 0, v38, s0
	v_cmp_gt_i32_e64 s0, s11, v78
	v_cndmask_b32_e64 v39, 0, v39, s0
	v_cmp_gt_i32_e64 s0, s11, v74
	v_cndmask_b32_e64 v40, 0, v40, s0
	s_or_b32 exec_lo, exec_lo, s5
	global_load_dwordx4 v[45:48], v[41:42], off offset:512
	s_and_saveexec_b32 s5, vcc_lo
	s_cbranch_execz .LBB30_42
.LBB30_51:                              ;   in Loop: Header=BB30_30 Depth=1
	v_cmp_gt_i32_e64 s0, s11, v77
	s_waitcnt vmcnt(0)
	v_cndmask_b32_e64 v45, 0, v45, s0
	v_cmp_gt_i32_e64 s0, s11, v79
	v_cndmask_b32_e64 v46, 0, v46, s0
	v_cmp_gt_i32_e64 s0, s11, v78
	;; [unrolled: 2-line block ×3, first 2 shown]
	v_cndmask_b32_e64 v48, 0, v48, s0
	s_or_b32 exec_lo, exec_lo, s5
	global_load_dwordx4 v[49:52], v[41:42], off offset:1024
	s_and_saveexec_b32 s5, vcc_lo
	s_cbranch_execz .LBB30_43
.LBB30_52:                              ;   in Loop: Header=BB30_30 Depth=1
	v_cmp_gt_i32_e64 s0, s11, v77
	s_waitcnt vmcnt(0)
	v_cndmask_b32_e64 v49, 0, v49, s0
	v_cmp_gt_i32_e64 s0, s11, v79
	v_cndmask_b32_e64 v50, 0, v50, s0
	v_cmp_gt_i32_e64 s0, s11, v78
	;; [unrolled: 2-line block ×3, first 2 shown]
	v_cndmask_b32_e64 v52, 0, v52, s0
	s_or_b32 exec_lo, exec_lo, s5
	global_load_dwordx4 v[41:44], v[41:42], off offset:1536
	s_and_saveexec_b32 s0, vcc_lo
	s_cbranch_execz .LBB30_29
.LBB30_53:                              ;   in Loop: Header=BB30_30 Depth=1
	v_cmp_gt_i32_e32 vcc_lo, s11, v77
	s_waitcnt vmcnt(0)
	v_cndmask_b32_e32 v41, 0, v41, vcc_lo
	v_cmp_gt_i32_e32 vcc_lo, s11, v79
	v_cndmask_b32_e32 v42, 0, v42, vcc_lo
	v_cmp_gt_i32_e32 vcc_lo, s11, v78
	;; [unrolled: 2-line block ×3, first 2 shown]
	v_cndmask_b32_e32 v44, 0, v44, vcc_lo
	s_branch .LBB30_29
.LBB30_54:
	s_or_b32 exec_lo, exec_lo, s3
.LBB30_55:
	s_or_b32 exec_lo, exec_lo, s1
	ds_bpermute_b32 v2, v57, v71
	ds_bpermute_b32 v1, v57, v69
	;; [unrolled: 1-line block ×12, first 2 shown]
	s_mov_b32 s0, exec_lo
	s_waitcnt lgkmcnt(0)
	s_barrier
	buffer_gl0_inv
	v_add_f32_e32 v2, v71, v2
	v_add_f32_e32 v1, v69, v1
	;; [unrolled: 1-line block ×12, first 2 shown]
	ds_bpermute_b32 v14, v58, v2
	ds_bpermute_b32 v13, v58, v1
	;; [unrolled: 1-line block ×12, first 2 shown]
	s_waitcnt lgkmcnt(11)
	v_add_f32_e32 v2, v2, v14
	v_and_b32_e32 v14, 28, v56
	s_waitcnt lgkmcnt(10)
	v_add_f32_e32 v1, v1, v13
	s_waitcnt lgkmcnt(9)
	v_add_f32_e32 v3, v3, v15
	;; [unrolled: 2-line block ×10, first 2 shown]
	v_and_b32_e32 v16, 0x3c3, v0
	s_waitcnt lgkmcnt(0)
	v_add_f32_e32 v12, v12, v24
	v_lshrrev_b32_e32 v13, 2, v56
	v_add_nc_u32_e32 v14, 0x1a0, v14
	v_mul_u32_u24_e32 v15, 0x180, v55
	v_cmpx_eq_u32_e32 64, v16
	s_cbranch_execz .LBB30_57
; %bb.56:
	v_add_nc_u32_e32 v16, v14, v15
	v_add_nc_u32_e32 v17, 0xfffffd00, v16
	;; [unrolled: 1-line block ×8, first 2 shown]
	ds_write_b32 v17, v1
	ds_write_b32 v18, v2
	;; [unrolled: 1-line block ×7, first 2 shown]
	v_add_nc_u32_e32 v17, 0xfffffde0, v16
	v_add_nc_u32_e32 v18, 0xfffffe00, v16
	;; [unrolled: 1-line block ×5, first 2 shown]
	ds_write_b32 v17, v8
	ds_write_b32 v18, v9
	ds_write_b32 v19, v10
	ds_write_b32 v20, v11
	ds_write_b32 v16, v12
.LBB30_57:
	s_or_b32 exec_lo, exec_lo, s0
	v_lshlrev_b32_e32 v13, 2, v13
	s_mov_b32 s1, exec_lo
	v_cmp_eq_u32_e32 vcc_lo, 0, v59
	s_waitcnt lgkmcnt(0)
	s_barrier
	v_add3_u32 v13, 0x1a0, v15, v13
	buffer_gl0_inv
	v_cmpx_gt_u32_e32 64, v0
	s_cbranch_execz .LBB30_72
; %bb.58:
	s_and_saveexec_b32 s0, vcc_lo
	s_cbranch_execnz .LBB30_92
; %bb.59:
	s_or_b32 exec_lo, exec_lo, s0
	s_and_saveexec_b32 s0, vcc_lo
	s_cbranch_execnz .LBB30_93
.LBB30_60:
	s_or_b32 exec_lo, exec_lo, s0
	s_and_saveexec_b32 s0, vcc_lo
	s_cbranch_execnz .LBB30_94
.LBB30_61:
	s_or_b32 exec_lo, exec_lo, s0
	s_and_saveexec_b32 s0, vcc_lo
	s_cbranch_execnz .LBB30_95
.LBB30_62:
	s_or_b32 exec_lo, exec_lo, s0
	s_and_saveexec_b32 s0, vcc_lo
	s_cbranch_execnz .LBB30_96
.LBB30_63:
	s_or_b32 exec_lo, exec_lo, s0
	s_and_saveexec_b32 s0, vcc_lo
	s_cbranch_execnz .LBB30_97
.LBB30_64:
	s_or_b32 exec_lo, exec_lo, s0
	s_and_saveexec_b32 s0, vcc_lo
	s_cbranch_execnz .LBB30_98
.LBB30_65:
	s_or_b32 exec_lo, exec_lo, s0
	s_and_saveexec_b32 s0, vcc_lo
	s_cbranch_execnz .LBB30_99
.LBB30_66:
	s_or_b32 exec_lo, exec_lo, s0
	s_and_saveexec_b32 s0, vcc_lo
	s_cbranch_execnz .LBB30_100
.LBB30_67:
	s_or_b32 exec_lo, exec_lo, s0
	s_and_saveexec_b32 s0, vcc_lo
	s_cbranch_execnz .LBB30_101
.LBB30_68:
	s_or_b32 exec_lo, exec_lo, s0
	s_and_saveexec_b32 s0, vcc_lo
	s_cbranch_execnz .LBB30_102
.LBB30_69:
	s_or_b32 exec_lo, exec_lo, s0
	s_and_saveexec_b32 s0, vcc_lo
	s_cbranch_execz .LBB30_71
.LBB30_70:
	ds_read_b32 v15, v13 offset:352
	s_waitcnt lgkmcnt(0)
	v_add_f32_e32 v12, v12, v15
.LBB30_71:
	s_or_b32 exec_lo, exec_lo, s0
.LBB30_72:
	s_or_b32 exec_lo, exec_lo, s1
	v_and_b32_e32 v15, 0x3e3, v0
	s_mov_b32 s1, exec_lo
	s_barrier
	buffer_gl0_inv
	v_cmpx_eq_u32_e32 32, v15
	s_cbranch_execz .LBB30_74
; %bb.73:
	ds_write2_b32 v14, v1, v2 offset1:8
	ds_write2_b32 v14, v3, v4 offset0:16 offset1:24
	ds_write2_b32 v14, v5, v6 offset0:32 offset1:40
	;; [unrolled: 1-line block ×5, first 2 shown]
.LBB30_74:
	s_or_b32 exec_lo, exec_lo, s1
	s_mov_b32 s1, exec_lo
	s_waitcnt lgkmcnt(0)
	s_barrier
	buffer_gl0_inv
	v_cmpx_gt_u32_e32 32, v0
	s_cbranch_execz .LBB30_89
; %bb.75:
	s_and_saveexec_b32 s0, vcc_lo
	s_cbranch_execnz .LBB30_103
; %bb.76:
	s_or_b32 exec_lo, exec_lo, s0
	s_and_saveexec_b32 s0, vcc_lo
	s_cbranch_execnz .LBB30_104
.LBB30_77:
	s_or_b32 exec_lo, exec_lo, s0
	s_and_saveexec_b32 s0, vcc_lo
	s_cbranch_execnz .LBB30_105
.LBB30_78:
	s_or_b32 exec_lo, exec_lo, s0
	s_and_saveexec_b32 s0, vcc_lo
	s_cbranch_execnz .LBB30_106
.LBB30_79:
	s_or_b32 exec_lo, exec_lo, s0
	s_and_saveexec_b32 s0, vcc_lo
	s_cbranch_execnz .LBB30_107
.LBB30_80:
	s_or_b32 exec_lo, exec_lo, s0
	s_and_saveexec_b32 s0, vcc_lo
	s_cbranch_execnz .LBB30_108
.LBB30_81:
	s_or_b32 exec_lo, exec_lo, s0
	s_and_saveexec_b32 s0, vcc_lo
	s_cbranch_execnz .LBB30_109
.LBB30_82:
	s_or_b32 exec_lo, exec_lo, s0
	s_and_saveexec_b32 s0, vcc_lo
	s_cbranch_execnz .LBB30_110
.LBB30_83:
	s_or_b32 exec_lo, exec_lo, s0
	s_and_saveexec_b32 s0, vcc_lo
	s_cbranch_execnz .LBB30_111
.LBB30_84:
	s_or_b32 exec_lo, exec_lo, s0
	s_and_saveexec_b32 s0, vcc_lo
	s_cbranch_execnz .LBB30_112
.LBB30_85:
	s_or_b32 exec_lo, exec_lo, s0
	s_and_saveexec_b32 s0, vcc_lo
	s_cbranch_execnz .LBB30_113
.LBB30_86:
	s_or_b32 exec_lo, exec_lo, s0
	s_and_saveexec_b32 s0, vcc_lo
	s_cbranch_execz .LBB30_88
.LBB30_87:
	ds_read_b32 v13, v13 offset:352
	s_waitcnt lgkmcnt(0)
	v_add_f32_e32 v12, v12, v13
.LBB30_88:
	s_or_b32 exec_lo, exec_lo, s0
.LBB30_89:
	s_or_b32 exec_lo, exec_lo, s1
	s_barrier
	buffer_gl0_inv
	s_mov_b32 s0, exec_lo
	v_cmpx_eq_u32_e32 0, v15
	s_cbranch_execz .LBB30_91
; %bb.90:
	s_mul_i32 s0, s10, s7
	s_mul_i32 s2, s7, s6
	;; [unrolled: 1-line block ×3, first 2 shown]
	s_mulk_i32 s0, 0x60
	s_ashr_i32 s1, s0, 31
	s_lshl_b64 s[0:1], s[0:1], 2
	s_add_u32 s4, s16, s0
	s_addc_u32 s5, s17, s1
	s_ashr_i32 s3, s2, 31
	s_lshl_b64 s[0:1], s[2:3], 2
	s_mul_i32 s2, s8, 0x60
	s_add_u32 s4, s4, s0
	s_addc_u32 s5, s5, s1
	s_ashr_i32 s3, s2, 31
	s_lshl_b64 s[0:1], s[2:3], 2
	s_add_u32 s0, s4, s0
	s_addc_u32 s1, s5, s1
	global_store_dword v0, v1, s[0:1]
	global_store_dword v0, v2, s[0:1] offset:32
	global_store_dword v0, v3, s[0:1] offset:64
	;; [unrolled: 1-line block ×11, first 2 shown]
.LBB30_91:
	s_endpgm
.LBB30_92:
	ds_read_b32 v15, v13
	s_waitcnt lgkmcnt(0)
	v_add_f32_e32 v1, v1, v15
	s_or_b32 exec_lo, exec_lo, s0
	s_and_saveexec_b32 s0, vcc_lo
	s_cbranch_execz .LBB30_60
.LBB30_93:
	ds_read_b32 v15, v13 offset:32
	s_waitcnt lgkmcnt(0)
	v_add_f32_e32 v2, v2, v15
	s_or_b32 exec_lo, exec_lo, s0
	s_and_saveexec_b32 s0, vcc_lo
	s_cbranch_execz .LBB30_61
.LBB30_94:
	ds_read_b32 v15, v13 offset:64
	s_waitcnt lgkmcnt(0)
	v_add_f32_e32 v3, v3, v15
	s_or_b32 exec_lo, exec_lo, s0
	s_and_saveexec_b32 s0, vcc_lo
	s_cbranch_execz .LBB30_62
.LBB30_95:
	ds_read_b32 v15, v13 offset:96
	s_waitcnt lgkmcnt(0)
	v_add_f32_e32 v4, v4, v15
	s_or_b32 exec_lo, exec_lo, s0
	s_and_saveexec_b32 s0, vcc_lo
	s_cbranch_execz .LBB30_63
.LBB30_96:
	ds_read_b32 v15, v13 offset:128
	s_waitcnt lgkmcnt(0)
	v_add_f32_e32 v5, v5, v15
	s_or_b32 exec_lo, exec_lo, s0
	s_and_saveexec_b32 s0, vcc_lo
	s_cbranch_execz .LBB30_64
.LBB30_97:
	ds_read_b32 v15, v13 offset:160
	s_waitcnt lgkmcnt(0)
	v_add_f32_e32 v6, v6, v15
	s_or_b32 exec_lo, exec_lo, s0
	s_and_saveexec_b32 s0, vcc_lo
	s_cbranch_execz .LBB30_65
.LBB30_98:
	ds_read_b32 v15, v13 offset:192
	s_waitcnt lgkmcnt(0)
	v_add_f32_e32 v7, v7, v15
	s_or_b32 exec_lo, exec_lo, s0
	s_and_saveexec_b32 s0, vcc_lo
	s_cbranch_execz .LBB30_66
.LBB30_99:
	ds_read_b32 v15, v13 offset:224
	s_waitcnt lgkmcnt(0)
	v_add_f32_e32 v8, v8, v15
	s_or_b32 exec_lo, exec_lo, s0
	s_and_saveexec_b32 s0, vcc_lo
	s_cbranch_execz .LBB30_67
.LBB30_100:
	ds_read_b32 v15, v13 offset:256
	s_waitcnt lgkmcnt(0)
	v_add_f32_e32 v9, v9, v15
	s_or_b32 exec_lo, exec_lo, s0
	s_and_saveexec_b32 s0, vcc_lo
	s_cbranch_execz .LBB30_68
.LBB30_101:
	ds_read_b32 v15, v13 offset:288
	s_waitcnt lgkmcnt(0)
	v_add_f32_e32 v10, v10, v15
	s_or_b32 exec_lo, exec_lo, s0
	s_and_saveexec_b32 s0, vcc_lo
	s_cbranch_execz .LBB30_69
.LBB30_102:
	ds_read_b32 v15, v13 offset:320
	s_waitcnt lgkmcnt(0)
	v_add_f32_e32 v11, v11, v15
	s_or_b32 exec_lo, exec_lo, s0
	s_and_saveexec_b32 s0, vcc_lo
	s_cbranch_execnz .LBB30_70
	s_branch .LBB30_71
.LBB30_103:
	ds_read_b32 v14, v13
	s_waitcnt lgkmcnt(0)
	v_add_f32_e32 v1, v1, v14
	s_or_b32 exec_lo, exec_lo, s0
	s_and_saveexec_b32 s0, vcc_lo
	s_cbranch_execz .LBB30_77
.LBB30_104:
	ds_read_b32 v14, v13 offset:32
	s_waitcnt lgkmcnt(0)
	v_add_f32_e32 v2, v2, v14
	s_or_b32 exec_lo, exec_lo, s0
	s_and_saveexec_b32 s0, vcc_lo
	s_cbranch_execz .LBB30_78
.LBB30_105:
	ds_read_b32 v14, v13 offset:64
	s_waitcnt lgkmcnt(0)
	v_add_f32_e32 v3, v3, v14
	s_or_b32 exec_lo, exec_lo, s0
	s_and_saveexec_b32 s0, vcc_lo
	s_cbranch_execz .LBB30_79
.LBB30_106:
	ds_read_b32 v14, v13 offset:96
	s_waitcnt lgkmcnt(0)
	v_add_f32_e32 v4, v4, v14
	s_or_b32 exec_lo, exec_lo, s0
	s_and_saveexec_b32 s0, vcc_lo
	s_cbranch_execz .LBB30_80
.LBB30_107:
	ds_read_b32 v14, v13 offset:128
	s_waitcnt lgkmcnt(0)
	v_add_f32_e32 v5, v5, v14
	s_or_b32 exec_lo, exec_lo, s0
	s_and_saveexec_b32 s0, vcc_lo
	s_cbranch_execz .LBB30_81
.LBB30_108:
	ds_read_b32 v14, v13 offset:160
	s_waitcnt lgkmcnt(0)
	v_add_f32_e32 v6, v6, v14
	s_or_b32 exec_lo, exec_lo, s0
	s_and_saveexec_b32 s0, vcc_lo
	s_cbranch_execz .LBB30_82
.LBB30_109:
	ds_read_b32 v14, v13 offset:192
	s_waitcnt lgkmcnt(0)
	v_add_f32_e32 v7, v7, v14
	s_or_b32 exec_lo, exec_lo, s0
	s_and_saveexec_b32 s0, vcc_lo
	s_cbranch_execz .LBB30_83
.LBB30_110:
	ds_read_b32 v14, v13 offset:224
	s_waitcnt lgkmcnt(0)
	v_add_f32_e32 v8, v8, v14
	s_or_b32 exec_lo, exec_lo, s0
	s_and_saveexec_b32 s0, vcc_lo
	s_cbranch_execz .LBB30_84
.LBB30_111:
	ds_read_b32 v14, v13 offset:256
	s_waitcnt lgkmcnt(0)
	v_add_f32_e32 v9, v9, v14
	s_or_b32 exec_lo, exec_lo, s0
	s_and_saveexec_b32 s0, vcc_lo
	s_cbranch_execz .LBB30_85
.LBB30_112:
	ds_read_b32 v14, v13 offset:288
	s_waitcnt lgkmcnt(0)
	v_add_f32_e32 v10, v10, v14
	s_or_b32 exec_lo, exec_lo, s0
	s_and_saveexec_b32 s0, vcc_lo
	s_cbranch_execz .LBB30_86
.LBB30_113:
	ds_read_b32 v14, v13 offset:320
	s_waitcnt lgkmcnt(0)
	v_add_f32_e32 v11, v11, v14
	s_or_b32 exec_lo, exec_lo, s0
	s_and_saveexec_b32 s0, vcc_lo
	s_cbranch_execnz .LBB30_87
	s_branch .LBB30_88
	.section	.rodata,"a",@progbits
	.p2align	6, 0x0
	.amdhsa_kernel _ZN4vllm25paged_attention_v1_kernelIffLi96ELi16ELi128ELNS_18Fp8KVCacheDataTypeE0ELb0EEEvPT_PKS2_PKT0_S8_ifPKiSA_iPKfiiiSC_SC_iiiii
		.amdhsa_group_segment_fixed_size 416
		.amdhsa_private_segment_fixed_size 0
		.amdhsa_kernarg_size 384
		.amdhsa_user_sgpr_count 6
		.amdhsa_user_sgpr_private_segment_buffer 1
		.amdhsa_user_sgpr_dispatch_ptr 0
		.amdhsa_user_sgpr_queue_ptr 0
		.amdhsa_user_sgpr_kernarg_segment_ptr 1
		.amdhsa_user_sgpr_dispatch_id 0
		.amdhsa_user_sgpr_flat_scratch_init 0
		.amdhsa_user_sgpr_private_segment_size 0
		.amdhsa_wavefront_size32 1
		.amdhsa_uses_dynamic_stack 0
		.amdhsa_system_sgpr_private_segment_wavefront_offset 0
		.amdhsa_system_sgpr_workgroup_id_x 1
		.amdhsa_system_sgpr_workgroup_id_y 1
		.amdhsa_system_sgpr_workgroup_id_z 1
		.amdhsa_system_sgpr_workgroup_info 0
		.amdhsa_system_vgpr_workitem_id 0
		.amdhsa_next_free_vgpr 102
		.amdhsa_next_free_sgpr 27
		.amdhsa_reserve_vcc 1
		.amdhsa_reserve_flat_scratch 0
		.amdhsa_float_round_mode_32 0
		.amdhsa_float_round_mode_16_64 0
		.amdhsa_float_denorm_mode_32 3
		.amdhsa_float_denorm_mode_16_64 3
		.amdhsa_dx10_clamp 1
		.amdhsa_ieee_mode 1
		.amdhsa_fp16_overflow 0
		.amdhsa_workgroup_processor_mode 1
		.amdhsa_memory_ordered 1
		.amdhsa_forward_progress 1
		.amdhsa_shared_vgpr_count 0
		.amdhsa_exception_fp_ieee_invalid_op 0
		.amdhsa_exception_fp_denorm_src 0
		.amdhsa_exception_fp_ieee_div_zero 0
		.amdhsa_exception_fp_ieee_overflow 0
		.amdhsa_exception_fp_ieee_underflow 0
		.amdhsa_exception_fp_ieee_inexact 0
		.amdhsa_exception_int_div_zero 0
	.end_amdhsa_kernel
	.section	.text._ZN4vllm25paged_attention_v1_kernelIffLi96ELi16ELi128ELNS_18Fp8KVCacheDataTypeE0ELb0EEEvPT_PKS2_PKT0_S8_ifPKiSA_iPKfiiiSC_SC_iiiii,"axG",@progbits,_ZN4vllm25paged_attention_v1_kernelIffLi96ELi16ELi128ELNS_18Fp8KVCacheDataTypeE0ELb0EEEvPT_PKS2_PKT0_S8_ifPKiSA_iPKfiiiSC_SC_iiiii,comdat
.Lfunc_end30:
	.size	_ZN4vllm25paged_attention_v1_kernelIffLi96ELi16ELi128ELNS_18Fp8KVCacheDataTypeE0ELb0EEEvPT_PKS2_PKT0_S8_ifPKiSA_iPKfiiiSC_SC_iiiii, .Lfunc_end30-_ZN4vllm25paged_attention_v1_kernelIffLi96ELi16ELi128ELNS_18Fp8KVCacheDataTypeE0ELb0EEEvPT_PKS2_PKT0_S8_ifPKiSA_iPKfiiiSC_SC_iiiii
                                        ; -- End function
	.set _ZN4vllm25paged_attention_v1_kernelIffLi96ELi16ELi128ELNS_18Fp8KVCacheDataTypeE0ELb0EEEvPT_PKS2_PKT0_S8_ifPKiSA_iPKfiiiSC_SC_iiiii.num_vgpr, 102
	.set _ZN4vllm25paged_attention_v1_kernelIffLi96ELi16ELi128ELNS_18Fp8KVCacheDataTypeE0ELb0EEEvPT_PKS2_PKT0_S8_ifPKiSA_iPKfiiiSC_SC_iiiii.num_agpr, 0
	.set _ZN4vllm25paged_attention_v1_kernelIffLi96ELi16ELi128ELNS_18Fp8KVCacheDataTypeE0ELb0EEEvPT_PKS2_PKT0_S8_ifPKiSA_iPKfiiiSC_SC_iiiii.numbered_sgpr, 27
	.set _ZN4vllm25paged_attention_v1_kernelIffLi96ELi16ELi128ELNS_18Fp8KVCacheDataTypeE0ELb0EEEvPT_PKS2_PKT0_S8_ifPKiSA_iPKfiiiSC_SC_iiiii.num_named_barrier, 0
	.set _ZN4vllm25paged_attention_v1_kernelIffLi96ELi16ELi128ELNS_18Fp8KVCacheDataTypeE0ELb0EEEvPT_PKS2_PKT0_S8_ifPKiSA_iPKfiiiSC_SC_iiiii.private_seg_size, 0
	.set _ZN4vllm25paged_attention_v1_kernelIffLi96ELi16ELi128ELNS_18Fp8KVCacheDataTypeE0ELb0EEEvPT_PKS2_PKT0_S8_ifPKiSA_iPKfiiiSC_SC_iiiii.uses_vcc, 1
	.set _ZN4vllm25paged_attention_v1_kernelIffLi96ELi16ELi128ELNS_18Fp8KVCacheDataTypeE0ELb0EEEvPT_PKS2_PKT0_S8_ifPKiSA_iPKfiiiSC_SC_iiiii.uses_flat_scratch, 0
	.set _ZN4vllm25paged_attention_v1_kernelIffLi96ELi16ELi128ELNS_18Fp8KVCacheDataTypeE0ELb0EEEvPT_PKS2_PKT0_S8_ifPKiSA_iPKfiiiSC_SC_iiiii.has_dyn_sized_stack, 0
	.set _ZN4vllm25paged_attention_v1_kernelIffLi96ELi16ELi128ELNS_18Fp8KVCacheDataTypeE0ELb0EEEvPT_PKS2_PKT0_S8_ifPKiSA_iPKfiiiSC_SC_iiiii.has_recursion, 0
	.set _ZN4vllm25paged_attention_v1_kernelIffLi96ELi16ELi128ELNS_18Fp8KVCacheDataTypeE0ELb0EEEvPT_PKS2_PKT0_S8_ifPKiSA_iPKfiiiSC_SC_iiiii.has_indirect_call, 0
	.section	.AMDGPU.csdata,"",@progbits
; Kernel info:
; codeLenInByte = 6336
; TotalNumSgprs: 29
; NumVgprs: 102
; ScratchSize: 0
; MemoryBound: 0
; FloatMode: 240
; IeeeMode: 1
; LDSByteSize: 416 bytes/workgroup (compile time only)
; SGPRBlocks: 0
; VGPRBlocks: 12
; NumSGPRsForWavesPerEU: 29
; NumVGPRsForWavesPerEU: 102
; Occupancy: 9
; WaveLimiterHint : 1
; COMPUTE_PGM_RSRC2:SCRATCH_EN: 0
; COMPUTE_PGM_RSRC2:USER_SGPR: 6
; COMPUTE_PGM_RSRC2:TRAP_HANDLER: 0
; COMPUTE_PGM_RSRC2:TGID_X_EN: 1
; COMPUTE_PGM_RSRC2:TGID_Y_EN: 1
; COMPUTE_PGM_RSRC2:TGID_Z_EN: 1
; COMPUTE_PGM_RSRC2:TIDIG_COMP_CNT: 0
	.section	.text._ZN4vllm25paged_attention_v1_kernelIffLi112ELi16ELi128ELNS_18Fp8KVCacheDataTypeE0ELb0EEEvPT_PKS2_PKT0_S8_ifPKiSA_iPKfiiiSC_SC_iiiii,"axG",@progbits,_ZN4vllm25paged_attention_v1_kernelIffLi112ELi16ELi128ELNS_18Fp8KVCacheDataTypeE0ELb0EEEvPT_PKS2_PKT0_S8_ifPKiSA_iPKfiiiSC_SC_iiiii,comdat
	.protected	_ZN4vllm25paged_attention_v1_kernelIffLi112ELi16ELi128ELNS_18Fp8KVCacheDataTypeE0ELb0EEEvPT_PKS2_PKT0_S8_ifPKiSA_iPKfiiiSC_SC_iiiii ; -- Begin function _ZN4vllm25paged_attention_v1_kernelIffLi112ELi16ELi128ELNS_18Fp8KVCacheDataTypeE0ELb0EEEvPT_PKS2_PKT0_S8_ifPKiSA_iPKfiiiSC_SC_iiiii
	.globl	_ZN4vllm25paged_attention_v1_kernelIffLi112ELi16ELi128ELNS_18Fp8KVCacheDataTypeE0ELb0EEEvPT_PKS2_PKT0_S8_ifPKiSA_iPKfiiiSC_SC_iiiii
	.p2align	8
	.type	_ZN4vllm25paged_attention_v1_kernelIffLi112ELi16ELi128ELNS_18Fp8KVCacheDataTypeE0ELb0EEEvPT_PKS2_PKT0_S8_ifPKiSA_iPKfiiiSC_SC_iiiii,@function
_ZN4vllm25paged_attention_v1_kernelIffLi112ELi16ELi128ELNS_18Fp8KVCacheDataTypeE0ELb0EEEvPT_PKS2_PKT0_S8_ifPKiSA_iPKfiiiSC_SC_iiiii: ; @_ZN4vllm25paged_attention_v1_kernelIffLi112ELi16ELi128ELNS_18Fp8KVCacheDataTypeE0ELb0EEEvPT_PKS2_PKT0_S8_ifPKiSA_iPKfiiiSC_SC_iiiii
; %bb.0:
	s_clause 0x2
	s_load_dword s9, s[4:5], 0x80
	s_load_dwordx2 s[0:1], s[4:5], 0x30
	s_load_dwordx2 s[24:25], s[4:5], 0x20
	s_mov_b32 s10, s7
	s_ashr_i32 s11, s7, 31
	s_lshl_b64 s[2:3], s[10:11], 2
	s_waitcnt lgkmcnt(0)
	s_add_u32 s0, s0, s2
	s_addc_u32 s1, s1, s3
	s_abs_i32 s2, s24
	s_abs_i32 s11, s9
	v_cvt_f32_u32_e32 v1, s2
	s_sub_i32 s7, 0, s2
	v_rcp_iflag_f32_e32 v1, v1
	v_mul_f32_e32 v1, 0x4f7ffffe, v1
	v_cvt_u32_f32_e32 v1, v1
	v_readfirstlane_b32 s3, v1
	s_mul_i32 s7, s7, s3
	s_mul_hi_u32 s7, s3, s7
	s_add_i32 s3, s3, s7
	s_xor_b32 s7, s9, s24
	s_mul_hi_u32 s3, s11, s3
	s_ashr_i32 s7, s7, 31
	s_mul_i32 s12, s3, s2
	s_mov_b32 s24, 0
	s_sub_i32 s11, s11, s12
	s_add_i32 s12, s3, 1
	s_sub_i32 s13, s11, s2
	s_cmp_ge_u32 s11, s2
	s_cselect_b32 s3, s12, s3
	s_cselect_b32 s11, s13, s11
	s_add_i32 s12, s3, 1
	s_cmp_ge_u32 s11, s2
	s_cselect_b32 s2, s12, s3
	s_abs_i32 s17, s6
	s_xor_b32 s2, s2, s7
	s_sub_i32 s18, s2, s7
	s_load_dwordx2 s[2:3], s[4:5], 0x40
	s_abs_i32 s16, s18
	v_cvt_f32_u32_e32 v1, s16
	s_sub_i32 s11, 0, s16
	v_rcp_iflag_f32_e32 v1, v1
	v_mul_f32_e32 v1, 0x4f7ffffe, v1
	v_cvt_u32_f32_e32 v1, v1
	v_readfirstlane_b32 s7, v1
	s_mul_i32 s11, s11, s7
	s_mul_hi_u32 s11, s7, s11
	s_add_i32 s7, s7, s11
	s_waitcnt lgkmcnt(0)
	s_cmp_eq_u64 s[2:3], 0
	s_mul_hi_u32 s20, s17, s7
	s_cbranch_scc1 .LBB31_2
; %bb.1:
	s_ashr_i32 s7, s6, 31
	s_lshl_b64 s[12:13], s[6:7], 2
	s_add_u32 s2, s2, s12
	s_addc_u32 s3, s3, s13
	s_load_dword s24, s[2:3], 0x0
.LBB31_2:
	s_load_dword s11, s[0:1], 0x0
	s_load_dwordx4 s[12:15], s[4:5], 0x48
	v_and_b32_e32 v41, 1, v0
	v_lshlrev_b32_e32 v1, 3, v0
	v_lshlrev_b32_e32 v59, 2, v0
	s_ashr_i32 s0, s6, 31
	s_ashr_i32 s1, s18, 31
	s_mulk_i32 s6, 0x70
	s_mov_b32 s2, exec_lo
	v_cmpx_gt_u32_e32 56, v0
	s_cbranch_execz .LBB31_4
; %bb.3:
	s_load_dwordx2 s[18:19], s[4:5], 0x8
	s_waitcnt lgkmcnt(0)
	s_mul_i32 s22, s12, s10
	v_and_b32_e32 v4, 0xff8, v59
	s_ashr_i32 s23, s22, 31
	s_lshl_b64 s[22:23], s[22:23], 2
	v_mad_u32_u24 v4, 0xe0, v41, v4
	s_add_u32 s3, s18, s22
	s_addc_u32 s12, s19, s23
	s_ashr_i32 s7, s6, 31
	s_lshl_b64 s[18:19], s[6:7], 2
	s_add_u32 s18, s3, s18
	s_addc_u32 s19, s12, s19
	global_load_dwordx2 v[2:3], v1, s[18:19]
	s_waitcnt vmcnt(0)
	ds_write_b64 v4, v[2:3]
.LBB31_4:
	s_or_b32 exec_lo, exec_lo, s2
	s_waitcnt lgkmcnt(0)
	s_add_i32 s2, s11, 15
	s_clause 0x1
	s_load_dwordx2 s[18:19], s[4:5], 0x28
	s_load_dword s7, s[4:5], 0x38
	s_ashr_i32 s3, s2, 31
	s_xor_b32 s0, s0, s1
	s_lshr_b32 s3, s3, 28
	s_mul_i32 s1, s20, s16
	s_add_i32 s2, s2, s3
	s_sub_i32 s1, s17, s1
	s_ashr_i32 s12, s2, 4
	s_add_i32 s2, s20, 1
	s_sub_i32 s3, s1, s16
	s_cmp_ge_u32 s1, s16
	v_lshrrev_b32_e32 v63, 5, v0
	s_cselect_b32 s2, s2, s20
	s_cselect_b32 s1, s3, s1
	s_add_i32 s3, s2, 1
	s_cmp_ge_u32 s1, s16
	v_mbcnt_lo_u32_b32 v61, -1, 0
	s_cselect_b32 s1, s3, s2
	s_mov_b32 s2, exec_lo
	s_xor_b32 s1, s1, s0
	s_waitcnt lgkmcnt(0)
	s_mul_i32 s20, s7, s10
	s_sub_i32 s1, s1, s0
	v_cmp_gt_i32_e64 s0, s12, v63
	s_ashr_i32 s21, s20, 31
	s_barrier
	buffer_gl0_inv
                                        ; implicit-def: $vgpr62
                                        ; implicit-def: $vgpr66
	v_cmpx_le_i32_e64 s12, v63
	s_xor_b32 s2, exec_lo, s2
; %bb.5:
	v_mov_b32_e32 v62, 0
	v_mbcnt_lo_u32_b32 v61, -1, 0
	v_mov_b32_e32 v66, 32
                                        ; implicit-def: $vgpr1
                                        ; implicit-def: $vgpr41
; %bb.6:
	s_or_saveexec_b32 s26, s2
	s_clause 0x2
	s_load_dwordx2 s[16:17], s[4:5], 0x0
	s_load_dwordx2 s[22:23], s[4:5], 0x18
	s_load_dword s7, s[4:5], 0x88
	v_mov_b32_e32 v68, 0xff7fffff
	v_lshrrev_b32_e32 v60, 3, v0
	s_mul_i32 s14, s1, s14
	s_xor_b32 exec_lo, exec_lo, s26
	s_cbranch_execz .LBB31_12
; %bb.7:
	s_load_dwordx2 s[2:3], s[4:5], 0x10
	v_bfe_u32 v57, v0, 1, 4
	v_xor_b32_e32 v26, 1, v61
	s_ashr_i32 s15, s14, 31
	v_and_b32_e32 v25, 8, v1
	s_lshl_b64 s[4:5], s[14:15], 2
	v_lshlrev_b32_e32 v27, 4, v57
	v_cmp_gt_i32_e32 vcc_lo, 32, v26
	v_mul_u32_u24_e32 v53, 0xe0, v41
	ds_read_b128 v[1:4], v53
	ds_read_b128 v[5:8], v53 offset:16
	ds_read_b128 v[9:12], v53 offset:32
	;; [unrolled: 1-line block ×5, first 2 shown]
	v_cndmask_b32_e32 v42, v61, v26, vcc_lo
	v_lshlrev_b32_e32 v58, 2, v57
	v_lshl_or_b32 v69, v63, 4, v57
	v_and_b32_e32 v57, 0x7c, v60
	v_mov_b32_e32 v62, 0
	v_lshlrev_b32_e32 v67, 2, v42
	s_waitcnt lgkmcnt(0)
	s_add_u32 s1, s2, s4
	s_addc_u32 s2, s3, s5
	v_add_co_u32 v27, s1, s1, v27
	v_add_co_ci_u32_e64 v28, null, s2, 0, s1
	s_lshl_b64 s[2:3], s[20:21], 2
	v_add_co_u32 v64, vcc_lo, v27, v25
	v_add_co_ci_u32_e64 v65, null, 0, v28, vcc_lo
	ds_read_b128 v[25:28], v53 offset:96
	ds_read_b128 v[29:32], v53 offset:112
	;; [unrolled: 1-line block ×4, first 2 shown]
	v_cmp_eq_u32_e32 vcc_lo, 0, v41
	ds_read_b128 v[41:44], v53 offset:160
	ds_read_b128 v[45:48], v53 offset:176
	ds_read_b128 v[49:52], v53 offset:192
	ds_read_b128 v[53:56], v53 offset:208
	v_lshl_or_b32 v58, v63, 6, v58
	s_sub_i32 s4, 1, s11
	s_add_u32 s2, s18, s2
	s_addc_u32 s3, s19, s3
	v_add_co_u32 v57, s2, s2, v57
	v_mov_b32_e32 v66, 32
	v_cmp_neq_f32_e64 s1, s24, 0
	v_add_nc_u32_e32 v70, 0x1e0, v58
	v_add_co_ci_u32_e64 v58, null, s3, 0, s2
	v_mov_b32_e32 v68, 0xff7fffff
	v_mov_b32_e32 v71, v63
	s_mov_b32 s15, s13
	s_mov_b32 s5, 0
	s_branch .LBB31_9
.LBB31_8:                               ;   in Loop: Header=BB31_9 Depth=1
	s_or_b32 exec_lo, exec_lo, s3
	v_add_nc_u32_e32 v71, 4, v71
	v_add_co_u32 v57, s3, v57, 16
	v_add_nc_u32_e32 v69, 64, v69
	v_add_nc_u32_e32 v70, 0x100, v70
	v_cmp_le_i32_e64 s2, s12, v71
	v_add_co_ci_u32_e64 v58, null, 0, v58, s3
	s_or_b32 s5, s2, s5
	s_andn2_b32 exec_lo, exec_lo, s5
	s_cbranch_execz .LBB31_11
.LBB31_9:                               ; =>This Inner Loop Header: Depth=1
	global_load_dword v72, v[57:58], off
	s_waitcnt vmcnt(0) lgkmcnt(0)
	v_mad_i64_i32 v[72:73], null, v72, s15, 0
	v_lshlrev_b64 v[72:73], 2, v[72:73]
	v_add_co_u32 v72, s2, v64, v72
	v_add_co_ci_u32_e64 v73, null, v65, v73, s2
	s_clause 0x7
	global_load_dwordx2 v[74:75], v[72:73], off offset:256
	global_load_dwordx2 v[76:77], v[72:73], off offset:512
	;; [unrolled: 1-line block ×3, first 2 shown]
	global_load_dwordx2 v[80:81], v[72:73], off
	global_load_dwordx2 v[82:83], v[72:73], off offset:1024
	global_load_dwordx2 v[84:85], v[72:73], off offset:1280
	;; [unrolled: 1-line block ×4, first 2 shown]
	v_add_co_u32 v88, s2, v72, 0x1000
	v_add_co_ci_u32_e64 v89, null, 0, v73, s2
	v_add_co_u32 v92, s2, 0x800, v72
	v_add_co_ci_u32_e64 v93, null, 0, v73, s2
	s_clause 0x3
	global_load_dwordx2 v[94:95], v[88:89], off offset:-2048
	global_load_dwordx2 v[96:97], v[92:93], off offset:256
	global_load_dwordx2 v[98:99], v[92:93], off offset:512
	;; [unrolled: 1-line block ×3, first 2 shown]
	s_waitcnt vmcnt(11)
	v_mul_f32_e32 v102, v3, v74
	v_mul_f32_e32 v103, v4, v75
	global_load_dwordx2 v[74:75], v[92:93], off offset:1024
	s_waitcnt vmcnt(9)
	v_fmac_f32_e32 v102, v1, v80
	v_fmac_f32_e32 v103, v2, v81
	;; [unrolled: 1-line block ×4, first 2 shown]
	global_load_dwordx2 v[76:77], v[92:93], off offset:1280
	v_fmac_f32_e32 v102, v7, v78
	v_fmac_f32_e32 v103, v8, v79
	s_clause 0x1
	global_load_dwordx2 v[78:79], v[92:93], off offset:1536
	global_load_dwordx2 v[80:81], v[92:93], off offset:1792
	s_waitcnt vmcnt(11)
	v_fmac_f32_e32 v102, v9, v82
	v_add_co_u32 v82, s2, 0x1000, v72
	v_fmac_f32_e32 v103, v10, v83
	v_add_co_ci_u32_e64 v83, null, 0, v73, s2
	s_waitcnt vmcnt(10)
	v_fmac_f32_e32 v102, v11, v84
	v_add_co_u32 v72, s2, 0x1800, v72
	v_fmac_f32_e32 v103, v12, v85
	s_clause 0x1
	global_load_dwordx2 v[84:85], v[88:89], off
	global_load_dwordx2 v[88:89], v[82:83], off offset:256
	s_waitcnt vmcnt(11)
	v_fmac_f32_e32 v102, v13, v86
	v_add_co_ci_u32_e64 v73, null, 0, v73, s2
	v_fmac_f32_e32 v103, v14, v87
	s_waitcnt vmcnt(10)
	v_fmac_f32_e32 v102, v15, v90
	v_fmac_f32_e32 v103, v16, v91
	s_clause 0x2
	global_load_dwordx2 v[86:87], v[82:83], off offset:512
	global_load_dwordx2 v[90:91], v[72:73], off offset:768
	;; [unrolled: 1-line block ×3, first 2 shown]
	s_waitcnt vmcnt(12)
	v_fmac_f32_e32 v102, v17, v94
	v_fmac_f32_e32 v103, v18, v95
	global_load_dwordx2 v[94:95], v[82:83], off offset:1024
	s_waitcnt vmcnt(12)
	v_fmac_f32_e32 v102, v19, v96
	v_fmac_f32_e32 v103, v20, v97
	global_load_dwordx2 v[96:97], v[82:83], off offset:1280
	s_waitcnt vmcnt(12)
	v_fmac_f32_e32 v102, v21, v98
	v_fmac_f32_e32 v103, v22, v99
	s_clause 0x1
	global_load_dwordx2 v[98:99], v[82:83], off offset:1536
	global_load_dwordx2 v[82:83], v[82:83], off offset:1792
	s_waitcnt vmcnt(13)
	v_fmac_f32_e32 v102, v23, v100
	v_fmac_f32_e32 v103, v24, v101
	s_waitcnt vmcnt(12) lgkmcnt(7)
	v_fmac_f32_e32 v102, v25, v74
	v_fmac_f32_e32 v103, v26, v75
	global_load_dwordx2 v[74:75], v[72:73], off
	s_waitcnt vmcnt(12)
	v_fmac_f32_e32 v102, v27, v76
	v_fmac_f32_e32 v103, v28, v77
	s_clause 0x1
	global_load_dwordx2 v[76:77], v[72:73], off offset:256
	global_load_dwordx2 v[72:73], v[72:73], off offset:512
	s_waitcnt vmcnt(13) lgkmcnt(6)
	v_fmac_f32_e32 v102, v29, v78
	v_fmac_f32_e32 v103, v30, v79
	s_waitcnt vmcnt(12)
	v_fmac_f32_e32 v102, v31, v80
	v_fmac_f32_e32 v103, v32, v81
	s_waitcnt vmcnt(11) lgkmcnt(5)
	v_fmac_f32_e32 v102, v33, v84
	v_fmac_f32_e32 v103, v34, v85
	s_waitcnt vmcnt(10)
	v_fmac_f32_e32 v102, v35, v88
	v_fmac_f32_e32 v103, v36, v89
	;; [unrolled: 6-line block ×6, first 2 shown]
	s_waitcnt vmcnt(0) lgkmcnt(0)
	v_fmac_f32_e32 v102, v53, v72
	v_fmac_f32_e32 v103, v54, v73
	;; [unrolled: 1-line block ×4, first 2 shown]
	v_add_f32_e32 v72, v102, v103
	ds_bpermute_b32 v73, v67, v72
	s_and_saveexec_b32 s3, vcc_lo
	s_cbranch_execz .LBB31_8
; %bb.10:                               ;   in Loop: Header=BB31_9 Depth=1
	v_add_nc_u32_e32 v74, s4, v69
	s_waitcnt lgkmcnt(0)
	v_add_f32_e32 v72, v72, v73
	v_cmp_gt_i32_e64 s2, s11, v69
	v_cvt_f32_i32_e32 v74, v74
	v_mul_f32_e32 v74, s24, v74
	v_cndmask_b32_e64 v73, 0, v74, s1
	v_max_f32_e32 v74, v68, v68
	v_fmac_f32_e32 v73, s25, v72
	v_max_f32_e32 v72, v74, v73
	v_cndmask_b32_e64 v73, 0, v73, s2
	v_cndmask_b32_e64 v68, v68, v72, s2
	ds_write_b32 v70, v73
	s_branch .LBB31_8
.LBB31_11:
	s_or_b32 exec_lo, exec_lo, s5
.LBB31_12:
	s_or_b32 exec_lo, exec_lo, s26
	v_xor_b32_e32 v1, 16, v61
	v_xor_b32_e32 v3, 8, v61
	v_max_f32_e32 v4, v68, v68
	v_xor_b32_e32 v5, 4, v61
	v_and_b32_e32 v64, 31, v0
	v_cmp_lt_i32_e32 vcc_lo, v1, v66
	v_cndmask_b32_e32 v1, v61, v1, vcc_lo
	v_cmp_lt_i32_e32 vcc_lo, v3, v66
	v_lshlrev_b32_e32 v1, 2, v1
	v_cndmask_b32_e32 v3, v61, v3, vcc_lo
	v_cmp_lt_i32_e32 vcc_lo, v5, v66
	ds_bpermute_b32 v2, v1, v68
	v_lshlrev_b32_e32 v3, 2, v3
	v_cndmask_b32_e32 v5, v61, v5, vcc_lo
	s_waitcnt lgkmcnt(0)
	v_max_f32_e32 v2, v2, v2
	v_max_f32_e32 v2, v4, v2
	ds_bpermute_b32 v4, v3, v2
	s_waitcnt lgkmcnt(0)
	v_max_f32_e32 v6, v4, v4
	v_lshlrev_b32_e32 v4, 2, v5
	v_max_f32_e32 v2, v2, v6
	v_xor_b32_e32 v6, 2, v61
	ds_bpermute_b32 v5, v4, v2
	v_cmp_lt_i32_e32 vcc_lo, v6, v66
	v_cndmask_b32_e32 v6, v61, v6, vcc_lo
	v_cmp_eq_u32_e32 vcc_lo, 0, v64
	v_lshlrev_b32_e32 v65, 2, v6
	s_waitcnt lgkmcnt(0)
	v_max_f32_e32 v5, v5, v5
	v_max_f32_e32 v2, v2, v5
	v_lshlrev_b32_e32 v5, 2, v63
	ds_bpermute_b32 v6, v65, v2
	s_and_saveexec_b32 s1, vcc_lo
	s_cbranch_execz .LBB31_14
; %bb.13:
	s_waitcnt lgkmcnt(0)
	v_max_f32_e32 v6, v6, v6
	v_max_f32_e32 v2, v2, v2
	;; [unrolled: 1-line block ×3, first 2 shown]
	ds_write_b32 v5, v2 offset:448
.LBB31_14:
	s_or_b32 exec_lo, exec_lo, s1
	v_cmp_gt_u32_e64 s1, 4, v64
	v_mov_b32_e32 v2, 0xff7fffff
	s_waitcnt lgkmcnt(0)
	v_lshlrev_b32_e32 v6, 2, v64
	s_barrier
	buffer_gl0_inv
	s_and_saveexec_b32 s2, s1
; %bb.15:
	ds_read_b32 v2, v6 offset:448
; %bb.16:
	s_or_b32 exec_lo, exec_lo, s2
	s_waitcnt lgkmcnt(0)
	ds_bpermute_b32 v7, v65, v2
	v_xor_b32_e32 v8, 1, v61
	v_max_f32_e32 v2, v2, v2
	v_cmp_lt_i32_e64 s2, v8, v66
	v_cndmask_b32_e64 v8, v61, v8, s2
	s_lshl_b32 s2, s12, 4
	s_min_i32 s4, s2, s11
	v_lshlrev_b32_e32 v66, 2, v8
	v_cmp_gt_i32_e64 s2, s4, v0
	s_waitcnt lgkmcnt(0)
	v_max_f32_e32 v7, v7, v7
	v_max_f32_e32 v2, v2, v7
	ds_bpermute_b32 v7, v66, v2
	s_waitcnt lgkmcnt(0)
	v_max_f32_e32 v7, v7, v7
	v_max_f32_e32 v2, v2, v7
	v_lshlrev_b32_e32 v7, 2, v62
	ds_bpermute_b32 v8, v7, v2
	v_mov_b32_e32 v7, 0
	v_lshl_add_u32 v2, v0, 2, 0x1e0
	s_and_saveexec_b32 s5, s2
	s_cbranch_execz .LBB31_20
; %bb.17:
	v_lshl_add_u32 v9, v0, 2, 0x1e0
	v_mov_b32_e32 v7, 0
	v_mov_b32_e32 v10, v0
	s_mov_b32 s15, 0
	.p2align	6
.LBB31_18:                              ; =>This Inner Loop Header: Depth=1
	ds_read_b32 v11, v9
	v_add_nc_u32_e32 v10, 0x80, v10
	v_cmp_le_i32_e64 s3, s4, v10
	s_or_b32 s15, s3, s15
	s_waitcnt lgkmcnt(0)
	v_sub_f32_e32 v11, v11, v8
	v_mul_f32_e32 v11, 0x3fb8aa3b, v11
	v_exp_f32_e32 v11, v11
	ds_write_b32 v9, v11
	v_add_f32_e32 v7, v7, v11
	v_add_nc_u32_e32 v9, 0x200, v9
	s_andn2_b32 exec_lo, exec_lo, s15
	s_cbranch_execnz .LBB31_18
; %bb.19:
	s_or_b32 exec_lo, exec_lo, s15
.LBB31_20:
	s_or_b32 exec_lo, exec_lo, s5
	ds_bpermute_b32 v1, v1, v7
	s_waitcnt lgkmcnt(0)
	v_add_f32_e32 v1, v7, v1
	ds_bpermute_b32 v3, v3, v1
	s_waitcnt lgkmcnt(0)
	v_add_f32_e32 v1, v1, v3
	;; [unrolled: 3-line block ×5, first 2 shown]
	s_and_saveexec_b32 s3, vcc_lo
; %bb.21:
	ds_write_b32 v5, v1 offset:464
; %bb.22:
	s_or_b32 exec_lo, exec_lo, s3
	s_waitcnt lgkmcnt(0)
	s_barrier
	buffer_gl0_inv
	s_and_saveexec_b32 s3, s1
; %bb.23:
	ds_read_b32 v1, v6 offset:464
; %bb.24:
	s_or_b32 exec_lo, exec_lo, s3
	s_waitcnt lgkmcnt(0)
	ds_bpermute_b32 v3, v65, v1
	v_lshlrev_b32_e32 v4, 2, v61
	s_waitcnt lgkmcnt(0)
	v_add_f32_e32 v1, v1, v3
	ds_bpermute_b32 v3, v66, v1
	s_waitcnt lgkmcnt(0)
	v_add_f32_e32 v1, v1, v3
	v_and_b32_e32 v3, 0xffffff80, v4
	ds_bpermute_b32 v1, v3, v1
	s_and_saveexec_b32 s1, s2
	s_cbranch_execz .LBB31_27
; %bb.25:
	s_waitcnt lgkmcnt(0)
	v_add_f32_e32 v1, 0x358637bd, v1
	s_mov_b32 s2, 0
	v_div_scale_f32 v3, null, v1, v1, 1.0
	v_div_scale_f32 v6, vcc_lo, 1.0, v1, 1.0
	v_rcp_f32_e32 v4, v3
	v_fma_f32 v5, -v3, v4, 1.0
	v_fmac_f32_e32 v4, v5, v4
	v_mul_f32_e32 v5, v6, v4
	v_fma_f32 v7, -v3, v5, v6
	v_fmac_f32_e32 v5, v7, v4
	v_fma_f32 v3, -v3, v5, v6
	v_div_fmas_f32 v3, v3, v4, v5
	v_div_fixup_f32 v1, v3, v1, 1.0
	v_mov_b32_e32 v3, v0
.LBB31_26:                              ; =>This Inner Loop Header: Depth=1
	ds_read_b32 v4, v2
	v_add_nc_u32_e32 v3, 0x80, v3
	v_cmp_le_i32_e32 vcc_lo, s4, v3
	s_or_b32 s2, vcc_lo, s2
	s_waitcnt lgkmcnt(0)
	v_mul_f32_e32 v4, v1, v4
	ds_write_b32 v2, v4
	v_add_nc_u32_e32 v2, 0x200, v2
	s_andn2_b32 exec_lo, exec_lo, s2
	s_cbranch_execnz .LBB31_26
.LBB31_27:
	s_or_b32 exec_lo, exec_lo, s1
	v_mov_b32_e32 v79, 0
	v_and_b32_e32 v67, 3, v0
	v_mov_b32_e32 v81, 0
	v_mov_b32_e32 v80, 0
	v_mov_b32_e32 v78, 0
	v_mov_b32_e32 v77, 0
	v_mov_b32_e32 v76, 0
	v_mov_b32_e32 v75, 0
	v_mov_b32_e32 v74, 0
	v_mov_b32_e32 v73, 0
	v_mov_b32_e32 v72, 0
	v_mov_b32_e32 v71, 0
	v_mov_b32_e32 v70, 0
	v_mov_b32_e32 v69, 0
	v_mov_b32_e32 v68, 0
	s_waitcnt lgkmcnt(0)
	s_barrier
	buffer_gl0_inv
	s_and_saveexec_b32 s1, s0
	s_cbranch_execz .LBB31_59
; %bb.28:
	v_lshlrev_b32_e32 v2, 4, v0
	s_ashr_i32 s15, s14, 31
	v_and_b32_e32 v1, 12, v59
	v_lshlrev_b32_e32 v4, 4, v63
	s_lshl_b64 s[2:3], s[14:15], 2
	v_and_b32_e32 v2, 0x1f0, v2
	v_lshlrev_b32_e32 v3, 4, v67
	s_add_u32 s0, s22, s2
	v_or3_b32 v84, v4, v1, 3
	v_and_b32_e32 v1, 0x7c, v60
	s_addc_u32 s3, s23, s3
	v_add_co_u32 v82, s0, s0, v2
	s_lshl_b64 s[4:5], s[20:21], 2
	s_add_i32 s2, s12, -1
	v_lshl_or_b32 v3, v63, 6, v3
	v_add_co_ci_u32_e64 v83, null, s3, 0, s0
	s_add_u32 s0, s18, s4
	s_addc_u32 s3, s19, s5
	v_add_co_u32 v61, s0, s0, v1
	v_mov_b32_e32 v68, 0
	v_add_nc_u32_e32 v85, 0x1e0, v3
	v_add_co_ci_u32_e64 v62, null, s3, 0, s0
	v_mov_b32_e32 v69, 0
	v_mov_b32_e32 v70, 0
	;; [unrolled: 1-line block ×14, first 2 shown]
	s_mov_b32 s4, s13
	s_mov_b32 s3, 0
	s_branch .LBB31_30
.LBB31_29:                              ;   in Loop: Header=BB31_30 Depth=1
	s_or_b32 exec_lo, exec_lo, s0
	s_waitcnt vmcnt(1) lgkmcnt(0)
	v_mul_f32_e32 v57, v1, v57
	v_mul_f32_e32 v53, v1, v53
	;; [unrolled: 1-line block ×13, first 2 shown]
	s_waitcnt vmcnt(0)
	v_mul_f32_e32 v1, v1, v45
	v_fmac_f32_e32 v57, v2, v58
	v_fmac_f32_e32 v53, v2, v54
	;; [unrolled: 1-line block ×28, first 2 shown]
	v_add_nc_u32_e32 v86, 4, v86
	v_fmac_f32_e32 v57, v4, v60
	v_fmac_f32_e32 v53, v4, v56
	;; [unrolled: 1-line block ×14, first 2 shown]
	v_cmp_le_i32_e32 vcc_lo, s12, v86
	v_add_co_u32 v61, s0, v61, 16
	v_add_f32_e32 v69, v69, v57
	v_add_f32_e32 v70, v70, v53
	;; [unrolled: 1-line block ×14, first 2 shown]
	v_add_nc_u32_e32 v84, 64, v84
	v_add_nc_u32_e32 v85, 0x100, v85
	v_add_co_ci_u32_e64 v62, null, 0, v62, s0
	s_or_b32 s3, vcc_lo, s3
	s_andn2_b32 exec_lo, exec_lo, s3
	s_cbranch_execz .LBB31_58
.LBB31_30:                              ; =>This Inner Loop Header: Depth=1
	global_load_dword v1, v[61:62], off
	v_add_nc_u32_e32 v87, -3, v84
	v_add_nc_u32_e32 v89, -2, v84
	;; [unrolled: 1-line block ×3, first 2 shown]
	s_waitcnt vmcnt(0)
	v_mad_i64_i32 v[1:2], null, v1, s4, 0
	v_lshlrev_b64 v[1:2], 2, v[1:2]
	v_add_co_u32 v45, vcc_lo, v82, v1
	v_add_co_ci_u32_e64 v46, null, v83, v2, vcc_lo
	ds_read_b128 v[1:4], v85
	v_cmp_eq_u32_e32 vcc_lo, s2, v86
	global_load_dwordx4 v[5:8], v[45:46], off
	s_and_saveexec_b32 s5, vcc_lo
	s_cbranch_execnz .LBB31_49
; %bb.31:                               ;   in Loop: Header=BB31_30 Depth=1
	s_or_b32 exec_lo, exec_lo, s5
	global_load_dwordx4 v[9:12], v[45:46], off offset:512
	s_and_saveexec_b32 s5, vcc_lo
	s_cbranch_execnz .LBB31_50
.LBB31_32:                              ;   in Loop: Header=BB31_30 Depth=1
	s_or_b32 exec_lo, exec_lo, s5
	global_load_dwordx4 v[13:16], v[45:46], off offset:1024
	s_and_saveexec_b32 s5, vcc_lo
	s_cbranch_execnz .LBB31_51
.LBB31_33:                              ;   in Loop: Header=BB31_30 Depth=1
	s_or_b32 exec_lo, exec_lo, s5
	global_load_dwordx4 v[17:20], v[45:46], off offset:1536
	s_and_saveexec_b32 s5, vcc_lo
	s_cbranch_execz .LBB31_35
.LBB31_34:                              ;   in Loop: Header=BB31_30 Depth=1
	v_cmp_gt_i32_e64 s0, s11, v87
	s_waitcnt vmcnt(0)
	v_cndmask_b32_e64 v17, 0, v17, s0
	v_cmp_gt_i32_e64 s0, s11, v89
	v_cndmask_b32_e64 v18, 0, v18, s0
	v_cmp_gt_i32_e64 s0, s11, v88
	;; [unrolled: 2-line block ×3, first 2 shown]
	v_cndmask_b32_e64 v20, 0, v20, s0
.LBB31_35:                              ;   in Loop: Header=BB31_30 Depth=1
	s_or_b32 exec_lo, exec_lo, s5
	v_add_co_u32 v33, s0, 0x800, v45
	v_add_co_ci_u32_e64 v34, null, 0, v46, s0
	global_load_dwordx4 v[21:24], v[33:34], off
	s_and_saveexec_b32 s5, vcc_lo
	s_cbranch_execnz .LBB31_52
; %bb.36:                               ;   in Loop: Header=BB31_30 Depth=1
	s_or_b32 exec_lo, exec_lo, s5
	global_load_dwordx4 v[25:28], v[33:34], off offset:512
	s_and_saveexec_b32 s5, vcc_lo
	s_cbranch_execnz .LBB31_53
.LBB31_37:                              ;   in Loop: Header=BB31_30 Depth=1
	s_or_b32 exec_lo, exec_lo, s5
	global_load_dwordx4 v[29:32], v[33:34], off offset:1024
	s_and_saveexec_b32 s5, vcc_lo
	s_cbranch_execnz .LBB31_54
.LBB31_38:                              ;   in Loop: Header=BB31_30 Depth=1
	s_or_b32 exec_lo, exec_lo, s5
	global_load_dwordx4 v[33:36], v[33:34], off offset:1536
	s_and_saveexec_b32 s5, vcc_lo
	s_cbranch_execz .LBB31_40
.LBB31_39:                              ;   in Loop: Header=BB31_30 Depth=1
	v_cmp_gt_i32_e64 s0, s11, v87
	s_waitcnt vmcnt(0)
	v_cndmask_b32_e64 v33, 0, v33, s0
	v_cmp_gt_i32_e64 s0, s11, v89
	v_cndmask_b32_e64 v34, 0, v34, s0
	v_cmp_gt_i32_e64 s0, s11, v88
	;; [unrolled: 2-line block ×3, first 2 shown]
	v_cndmask_b32_e64 v36, 0, v36, s0
.LBB31_40:                              ;   in Loop: Header=BB31_30 Depth=1
	s_or_b32 exec_lo, exec_lo, s5
	v_add_co_u32 v47, s0, 0x1000, v45
	v_add_co_ci_u32_e64 v48, null, 0, v46, s0
	global_load_dwordx4 v[37:40], v[47:48], off
	s_and_saveexec_b32 s5, vcc_lo
	s_cbranch_execnz .LBB31_55
; %bb.41:                               ;   in Loop: Header=BB31_30 Depth=1
	s_or_b32 exec_lo, exec_lo, s5
	global_load_dwordx4 v[41:44], v[47:48], off offset:512
	s_and_saveexec_b32 s5, vcc_lo
	s_cbranch_execnz .LBB31_56
.LBB31_42:                              ;   in Loop: Header=BB31_30 Depth=1
	s_or_b32 exec_lo, exec_lo, s5
	global_load_dwordx4 v[49:52], v[47:48], off offset:1024
	s_and_saveexec_b32 s5, vcc_lo
	s_cbranch_execnz .LBB31_57
.LBB31_43:                              ;   in Loop: Header=BB31_30 Depth=1
	s_or_b32 exec_lo, exec_lo, s5
	global_load_dwordx4 v[53:56], v[47:48], off offset:1536
	s_and_saveexec_b32 s5, vcc_lo
	s_cbranch_execz .LBB31_45
.LBB31_44:                              ;   in Loop: Header=BB31_30 Depth=1
	v_cmp_gt_i32_e64 s0, s11, v87
	s_waitcnt vmcnt(0)
	v_cndmask_b32_e64 v53, 0, v53, s0
	v_cmp_gt_i32_e64 s0, s11, v89
	v_cndmask_b32_e64 v54, 0, v54, s0
	v_cmp_gt_i32_e64 s0, s11, v88
	v_cndmask_b32_e64 v55, 0, v55, s0
	v_cmp_gt_i32_e64 s0, s11, v84
	v_cndmask_b32_e64 v56, 0, v56, s0
.LBB31_45:                              ;   in Loop: Header=BB31_30 Depth=1
	s_or_b32 exec_lo, exec_lo, s5
	v_add_co_u32 v45, s0, 0x1800, v45
	v_add_co_ci_u32_e64 v46, null, 0, v46, s0
	global_load_dwordx4 v[57:60], v[45:46], off
	s_and_saveexec_b32 s5, vcc_lo
	s_cbranch_execz .LBB31_47
; %bb.46:                               ;   in Loop: Header=BB31_30 Depth=1
	v_cmp_gt_i32_e64 s0, s11, v87
	s_waitcnt vmcnt(0)
	v_cndmask_b32_e64 v57, 0, v57, s0
	v_cmp_gt_i32_e64 s0, s11, v89
	v_cndmask_b32_e64 v58, 0, v58, s0
	v_cmp_gt_i32_e64 s0, s11, v88
	;; [unrolled: 2-line block ×3, first 2 shown]
	v_cndmask_b32_e64 v60, 0, v60, s0
.LBB31_47:                              ;   in Loop: Header=BB31_30 Depth=1
	s_or_b32 exec_lo, exec_lo, s5
	global_load_dwordx4 v[45:48], v[45:46], off offset:512
	s_and_saveexec_b32 s0, vcc_lo
	s_cbranch_execz .LBB31_29
; %bb.48:                               ;   in Loop: Header=BB31_30 Depth=1
	v_cmp_gt_i32_e32 vcc_lo, s11, v87
	s_waitcnt vmcnt(0)
	v_cndmask_b32_e32 v45, 0, v45, vcc_lo
	v_cmp_gt_i32_e32 vcc_lo, s11, v89
	v_cndmask_b32_e32 v46, 0, v46, vcc_lo
	v_cmp_gt_i32_e32 vcc_lo, s11, v88
	;; [unrolled: 2-line block ×3, first 2 shown]
	v_cndmask_b32_e32 v48, 0, v48, vcc_lo
	s_branch .LBB31_29
.LBB31_49:                              ;   in Loop: Header=BB31_30 Depth=1
	v_cmp_gt_i32_e64 s0, s11, v87
	s_waitcnt vmcnt(0)
	v_cndmask_b32_e64 v5, 0, v5, s0
	v_cmp_gt_i32_e64 s0, s11, v89
	v_cndmask_b32_e64 v6, 0, v6, s0
	v_cmp_gt_i32_e64 s0, s11, v88
	;; [unrolled: 2-line block ×3, first 2 shown]
	v_cndmask_b32_e64 v8, 0, v8, s0
	s_or_b32 exec_lo, exec_lo, s5
	global_load_dwordx4 v[9:12], v[45:46], off offset:512
	s_and_saveexec_b32 s5, vcc_lo
	s_cbranch_execz .LBB31_32
.LBB31_50:                              ;   in Loop: Header=BB31_30 Depth=1
	v_cmp_gt_i32_e64 s0, s11, v87
	s_waitcnt vmcnt(0)
	v_cndmask_b32_e64 v9, 0, v9, s0
	v_cmp_gt_i32_e64 s0, s11, v89
	v_cndmask_b32_e64 v10, 0, v10, s0
	v_cmp_gt_i32_e64 s0, s11, v88
	;; [unrolled: 2-line block ×3, first 2 shown]
	v_cndmask_b32_e64 v12, 0, v12, s0
	s_or_b32 exec_lo, exec_lo, s5
	global_load_dwordx4 v[13:16], v[45:46], off offset:1024
	s_and_saveexec_b32 s5, vcc_lo
	s_cbranch_execz .LBB31_33
.LBB31_51:                              ;   in Loop: Header=BB31_30 Depth=1
	v_cmp_gt_i32_e64 s0, s11, v87
	s_waitcnt vmcnt(0)
	v_cndmask_b32_e64 v13, 0, v13, s0
	v_cmp_gt_i32_e64 s0, s11, v89
	v_cndmask_b32_e64 v14, 0, v14, s0
	v_cmp_gt_i32_e64 s0, s11, v88
	;; [unrolled: 2-line block ×3, first 2 shown]
	v_cndmask_b32_e64 v16, 0, v16, s0
	s_or_b32 exec_lo, exec_lo, s5
	global_load_dwordx4 v[17:20], v[45:46], off offset:1536
	s_and_saveexec_b32 s5, vcc_lo
	s_cbranch_execnz .LBB31_34
	s_branch .LBB31_35
.LBB31_52:                              ;   in Loop: Header=BB31_30 Depth=1
	v_cmp_gt_i32_e64 s0, s11, v87
	s_waitcnt vmcnt(0)
	v_cndmask_b32_e64 v21, 0, v21, s0
	v_cmp_gt_i32_e64 s0, s11, v89
	v_cndmask_b32_e64 v22, 0, v22, s0
	v_cmp_gt_i32_e64 s0, s11, v88
	;; [unrolled: 2-line block ×3, first 2 shown]
	v_cndmask_b32_e64 v24, 0, v24, s0
	s_or_b32 exec_lo, exec_lo, s5
	global_load_dwordx4 v[25:28], v[33:34], off offset:512
	s_and_saveexec_b32 s5, vcc_lo
	s_cbranch_execz .LBB31_37
.LBB31_53:                              ;   in Loop: Header=BB31_30 Depth=1
	v_cmp_gt_i32_e64 s0, s11, v87
	s_waitcnt vmcnt(0)
	v_cndmask_b32_e64 v25, 0, v25, s0
	v_cmp_gt_i32_e64 s0, s11, v89
	v_cndmask_b32_e64 v26, 0, v26, s0
	v_cmp_gt_i32_e64 s0, s11, v88
	;; [unrolled: 2-line block ×3, first 2 shown]
	v_cndmask_b32_e64 v28, 0, v28, s0
	s_or_b32 exec_lo, exec_lo, s5
	global_load_dwordx4 v[29:32], v[33:34], off offset:1024
	s_and_saveexec_b32 s5, vcc_lo
	s_cbranch_execz .LBB31_38
.LBB31_54:                              ;   in Loop: Header=BB31_30 Depth=1
	v_cmp_gt_i32_e64 s0, s11, v87
	s_waitcnt vmcnt(0)
	v_cndmask_b32_e64 v29, 0, v29, s0
	v_cmp_gt_i32_e64 s0, s11, v89
	v_cndmask_b32_e64 v30, 0, v30, s0
	v_cmp_gt_i32_e64 s0, s11, v88
	;; [unrolled: 2-line block ×3, first 2 shown]
	v_cndmask_b32_e64 v32, 0, v32, s0
	s_or_b32 exec_lo, exec_lo, s5
	global_load_dwordx4 v[33:36], v[33:34], off offset:1536
	s_and_saveexec_b32 s5, vcc_lo
	s_cbranch_execnz .LBB31_39
	s_branch .LBB31_40
.LBB31_55:                              ;   in Loop: Header=BB31_30 Depth=1
	v_cmp_gt_i32_e64 s0, s11, v87
	s_waitcnt vmcnt(0)
	v_cndmask_b32_e64 v37, 0, v37, s0
	v_cmp_gt_i32_e64 s0, s11, v89
	v_cndmask_b32_e64 v38, 0, v38, s0
	v_cmp_gt_i32_e64 s0, s11, v88
	;; [unrolled: 2-line block ×3, first 2 shown]
	v_cndmask_b32_e64 v40, 0, v40, s0
	s_or_b32 exec_lo, exec_lo, s5
	global_load_dwordx4 v[41:44], v[47:48], off offset:512
	s_and_saveexec_b32 s5, vcc_lo
	s_cbranch_execz .LBB31_42
.LBB31_56:                              ;   in Loop: Header=BB31_30 Depth=1
	v_cmp_gt_i32_e64 s0, s11, v87
	s_waitcnt vmcnt(0)
	v_cndmask_b32_e64 v41, 0, v41, s0
	v_cmp_gt_i32_e64 s0, s11, v89
	v_cndmask_b32_e64 v42, 0, v42, s0
	v_cmp_gt_i32_e64 s0, s11, v88
	;; [unrolled: 2-line block ×3, first 2 shown]
	v_cndmask_b32_e64 v44, 0, v44, s0
	s_or_b32 exec_lo, exec_lo, s5
	global_load_dwordx4 v[49:52], v[47:48], off offset:1024
	s_and_saveexec_b32 s5, vcc_lo
	s_cbranch_execz .LBB31_43
.LBB31_57:                              ;   in Loop: Header=BB31_30 Depth=1
	v_cmp_gt_i32_e64 s0, s11, v87
	s_waitcnt vmcnt(0)
	v_cndmask_b32_e64 v49, 0, v49, s0
	v_cmp_gt_i32_e64 s0, s11, v89
	v_cndmask_b32_e64 v50, 0, v50, s0
	v_cmp_gt_i32_e64 s0, s11, v88
	;; [unrolled: 2-line block ×3, first 2 shown]
	v_cndmask_b32_e64 v52, 0, v52, s0
	s_or_b32 exec_lo, exec_lo, s5
	global_load_dwordx4 v[53:56], v[47:48], off offset:1536
	s_and_saveexec_b32 s5, vcc_lo
	s_cbranch_execnz .LBB31_44
	s_branch .LBB31_45
.LBB31_58:
	s_or_b32 exec_lo, exec_lo, s3
.LBB31_59:
	s_or_b32 exec_lo, exec_lo, s1
	ds_bpermute_b32 v2, v65, v81
	ds_bpermute_b32 v1, v65, v79
	;; [unrolled: 1-line block ×14, first 2 shown]
	s_mov_b32 s0, exec_lo
	s_waitcnt lgkmcnt(0)
	s_barrier
	buffer_gl0_inv
	v_add_f32_e32 v2, v81, v2
	v_add_f32_e32 v1, v79, v1
	v_add_f32_e32 v3, v80, v3
	v_add_f32_e32 v4, v78, v4
	v_add_f32_e32 v5, v77, v5
	v_add_f32_e32 v6, v76, v6
	v_add_f32_e32 v7, v75, v7
	ds_bpermute_b32 v16, v66, v2
	v_add_f32_e32 v8, v74, v8
	v_add_f32_e32 v9, v73, v9
	;; [unrolled: 1-line block ×7, first 2 shown]
	ds_bpermute_b32 v15, v66, v1
	ds_bpermute_b32 v17, v66, v3
	;; [unrolled: 1-line block ×13, first 2 shown]
	s_waitcnt lgkmcnt(13)
	v_add_f32_e32 v2, v2, v16
	v_and_b32_e32 v16, 28, v64
	v_add_nc_u32_e32 v16, 0x1e0, v16
	s_waitcnt lgkmcnt(12)
	v_add_f32_e32 v1, v1, v15
	s_waitcnt lgkmcnt(11)
	v_add_f32_e32 v3, v3, v17
	;; [unrolled: 2-line block ×12, first 2 shown]
	v_and_b32_e32 v18, 0x3c3, v0
	s_waitcnt lgkmcnt(0)
	v_add_f32_e32 v14, v14, v28
	v_lshrrev_b32_e32 v15, 2, v64
	v_mul_u32_u24_e32 v17, 0x1c0, v63
	v_cmpx_eq_u32_e32 64, v18
	s_cbranch_execz .LBB31_61
; %bb.60:
	v_add_nc_u32_e32 v18, v16, v17
	v_add_nc_u32_e32 v19, 0xfffffc80, v18
	;; [unrolled: 1-line block ×7, first 2 shown]
	ds_write_b32 v19, v1
	ds_write_b32 v20, v2
	;; [unrolled: 1-line block ×4, first 2 shown]
	v_add_nc_u32_e32 v19, 0xfffffd40, v18
	v_add_nc_u32_e32 v20, 0xfffffd60, v18
	;; [unrolled: 1-line block ×3, first 2 shown]
	ds_write_b32 v23, v5
	ds_write_b32 v24, v6
	;; [unrolled: 1-line block ×5, first 2 shown]
	v_add_nc_u32_e32 v19, 0xfffffda0, v18
	v_add_nc_u32_e32 v20, 0xfffffdc0, v18
	v_add_nc_u32_e32 v21, 0xfffffde0, v18
	v_add_nc_u32_e32 v22, 0xfffffe00, v18
	v_add_nc_u32_e32 v18, 0xfffffe20, v18
	ds_write_b32 v19, v10
	ds_write_b32 v20, v11
	;; [unrolled: 1-line block ×5, first 2 shown]
.LBB31_61:
	s_or_b32 exec_lo, exec_lo, s0
	v_lshlrev_b32_e32 v15, 2, v15
	s_mov_b32 s1, exec_lo
	v_cmp_eq_u32_e32 vcc_lo, 0, v67
	s_waitcnt lgkmcnt(0)
	s_barrier
	v_add3_u32 v15, 0x1e0, v17, v15
	buffer_gl0_inv
	v_cmpx_gt_u32_e32 64, v0
	s_cbranch_execz .LBB31_78
; %bb.62:
	s_and_saveexec_b32 s0, vcc_lo
	s_cbranch_execnz .LBB31_100
; %bb.63:
	s_or_b32 exec_lo, exec_lo, s0
	s_and_saveexec_b32 s0, vcc_lo
	s_cbranch_execnz .LBB31_101
.LBB31_64:
	s_or_b32 exec_lo, exec_lo, s0
	s_and_saveexec_b32 s0, vcc_lo
	s_cbranch_execnz .LBB31_102
.LBB31_65:
	s_or_b32 exec_lo, exec_lo, s0
	s_and_saveexec_b32 s0, vcc_lo
	s_cbranch_execnz .LBB31_103
.LBB31_66:
	s_or_b32 exec_lo, exec_lo, s0
	s_and_saveexec_b32 s0, vcc_lo
	s_cbranch_execnz .LBB31_104
.LBB31_67:
	s_or_b32 exec_lo, exec_lo, s0
	s_and_saveexec_b32 s0, vcc_lo
	s_cbranch_execnz .LBB31_105
.LBB31_68:
	s_or_b32 exec_lo, exec_lo, s0
	s_and_saveexec_b32 s0, vcc_lo
	s_cbranch_execnz .LBB31_106
.LBB31_69:
	s_or_b32 exec_lo, exec_lo, s0
	s_and_saveexec_b32 s0, vcc_lo
	s_cbranch_execnz .LBB31_107
.LBB31_70:
	s_or_b32 exec_lo, exec_lo, s0
	s_and_saveexec_b32 s0, vcc_lo
	s_cbranch_execnz .LBB31_108
.LBB31_71:
	s_or_b32 exec_lo, exec_lo, s0
	s_and_saveexec_b32 s0, vcc_lo
	s_cbranch_execnz .LBB31_109
.LBB31_72:
	s_or_b32 exec_lo, exec_lo, s0
	s_and_saveexec_b32 s0, vcc_lo
	s_cbranch_execnz .LBB31_110
.LBB31_73:
	s_or_b32 exec_lo, exec_lo, s0
	s_and_saveexec_b32 s0, vcc_lo
	s_cbranch_execnz .LBB31_111
.LBB31_74:
	s_or_b32 exec_lo, exec_lo, s0
	s_and_saveexec_b32 s0, vcc_lo
	s_cbranch_execnz .LBB31_112
.LBB31_75:
	s_or_b32 exec_lo, exec_lo, s0
	s_and_saveexec_b32 s0, vcc_lo
	s_cbranch_execz .LBB31_77
.LBB31_76:
	ds_read_b32 v17, v15 offset:416
	s_waitcnt lgkmcnt(0)
	v_add_f32_e32 v14, v14, v17
.LBB31_77:
	s_or_b32 exec_lo, exec_lo, s0
.LBB31_78:
	s_or_b32 exec_lo, exec_lo, s1
	v_and_b32_e32 v17, 0x3e3, v0
	s_mov_b32 s1, exec_lo
	s_barrier
	buffer_gl0_inv
	v_cmpx_eq_u32_e32 32, v17
	s_cbranch_execz .LBB31_80
; %bb.79:
	ds_write2_b32 v16, v1, v2 offset1:8
	ds_write2_b32 v16, v3, v4 offset0:16 offset1:24
	ds_write2_b32 v16, v5, v6 offset0:32 offset1:40
	;; [unrolled: 1-line block ×6, first 2 shown]
.LBB31_80:
	s_or_b32 exec_lo, exec_lo, s1
	s_mov_b32 s1, exec_lo
	s_waitcnt lgkmcnt(0)
	s_barrier
	buffer_gl0_inv
	v_cmpx_gt_u32_e32 32, v0
	s_cbranch_execz .LBB31_97
; %bb.81:
	s_and_saveexec_b32 s0, vcc_lo
	s_cbranch_execnz .LBB31_113
; %bb.82:
	s_or_b32 exec_lo, exec_lo, s0
	s_and_saveexec_b32 s0, vcc_lo
	s_cbranch_execnz .LBB31_114
.LBB31_83:
	s_or_b32 exec_lo, exec_lo, s0
	s_and_saveexec_b32 s0, vcc_lo
	s_cbranch_execnz .LBB31_115
.LBB31_84:
	s_or_b32 exec_lo, exec_lo, s0
	s_and_saveexec_b32 s0, vcc_lo
	s_cbranch_execnz .LBB31_116
.LBB31_85:
	s_or_b32 exec_lo, exec_lo, s0
	s_and_saveexec_b32 s0, vcc_lo
	s_cbranch_execnz .LBB31_117
.LBB31_86:
	s_or_b32 exec_lo, exec_lo, s0
	s_and_saveexec_b32 s0, vcc_lo
	s_cbranch_execnz .LBB31_118
.LBB31_87:
	s_or_b32 exec_lo, exec_lo, s0
	s_and_saveexec_b32 s0, vcc_lo
	s_cbranch_execnz .LBB31_119
.LBB31_88:
	s_or_b32 exec_lo, exec_lo, s0
	s_and_saveexec_b32 s0, vcc_lo
	s_cbranch_execnz .LBB31_120
.LBB31_89:
	s_or_b32 exec_lo, exec_lo, s0
	s_and_saveexec_b32 s0, vcc_lo
	s_cbranch_execnz .LBB31_121
.LBB31_90:
	s_or_b32 exec_lo, exec_lo, s0
	s_and_saveexec_b32 s0, vcc_lo
	s_cbranch_execnz .LBB31_122
.LBB31_91:
	s_or_b32 exec_lo, exec_lo, s0
	s_and_saveexec_b32 s0, vcc_lo
	s_cbranch_execnz .LBB31_123
.LBB31_92:
	s_or_b32 exec_lo, exec_lo, s0
	s_and_saveexec_b32 s0, vcc_lo
	s_cbranch_execnz .LBB31_124
.LBB31_93:
	s_or_b32 exec_lo, exec_lo, s0
	s_and_saveexec_b32 s0, vcc_lo
	s_cbranch_execnz .LBB31_125
.LBB31_94:
	s_or_b32 exec_lo, exec_lo, s0
	s_and_saveexec_b32 s0, vcc_lo
	s_cbranch_execz .LBB31_96
.LBB31_95:
	ds_read_b32 v15, v15 offset:416
	s_waitcnt lgkmcnt(0)
	v_add_f32_e32 v14, v14, v15
.LBB31_96:
	s_or_b32 exec_lo, exec_lo, s0
.LBB31_97:
	s_or_b32 exec_lo, exec_lo, s1
	s_barrier
	buffer_gl0_inv
	s_mov_b32 s0, exec_lo
	v_cmpx_eq_u32_e32 0, v17
	s_cbranch_execz .LBB31_99
; %bb.98:
	s_mul_i32 s0, s10, s7
	s_mul_i32 s2, s7, s6
	;; [unrolled: 1-line block ×3, first 2 shown]
	s_mulk_i32 s0, 0x70
	s_ashr_i32 s1, s0, 31
	s_lshl_b64 s[0:1], s[0:1], 2
	s_add_u32 s4, s16, s0
	s_addc_u32 s5, s17, s1
	s_ashr_i32 s3, s2, 31
	s_lshl_b64 s[0:1], s[2:3], 2
	s_mul_i32 s2, s8, 0x70
	s_add_u32 s4, s4, s0
	s_addc_u32 s5, s5, s1
	s_ashr_i32 s3, s2, 31
	s_lshl_b64 s[0:1], s[2:3], 2
	s_add_u32 s0, s4, s0
	s_addc_u32 s1, s5, s1
	global_store_dword v0, v1, s[0:1]
	global_store_dword v0, v2, s[0:1] offset:32
	global_store_dword v0, v3, s[0:1] offset:64
	;; [unrolled: 1-line block ×13, first 2 shown]
.LBB31_99:
	s_endpgm
.LBB31_100:
	ds_read_b32 v17, v15
	s_waitcnt lgkmcnt(0)
	v_add_f32_e32 v1, v1, v17
	s_or_b32 exec_lo, exec_lo, s0
	s_and_saveexec_b32 s0, vcc_lo
	s_cbranch_execz .LBB31_64
.LBB31_101:
	ds_read_b32 v17, v15 offset:32
	s_waitcnt lgkmcnt(0)
	v_add_f32_e32 v2, v2, v17
	s_or_b32 exec_lo, exec_lo, s0
	s_and_saveexec_b32 s0, vcc_lo
	s_cbranch_execz .LBB31_65
.LBB31_102:
	ds_read_b32 v17, v15 offset:64
	s_waitcnt lgkmcnt(0)
	v_add_f32_e32 v3, v3, v17
	s_or_b32 exec_lo, exec_lo, s0
	s_and_saveexec_b32 s0, vcc_lo
	s_cbranch_execz .LBB31_66
.LBB31_103:
	ds_read_b32 v17, v15 offset:96
	s_waitcnt lgkmcnt(0)
	v_add_f32_e32 v4, v4, v17
	s_or_b32 exec_lo, exec_lo, s0
	s_and_saveexec_b32 s0, vcc_lo
	s_cbranch_execz .LBB31_67
.LBB31_104:
	ds_read_b32 v17, v15 offset:128
	s_waitcnt lgkmcnt(0)
	v_add_f32_e32 v5, v5, v17
	s_or_b32 exec_lo, exec_lo, s0
	s_and_saveexec_b32 s0, vcc_lo
	s_cbranch_execz .LBB31_68
.LBB31_105:
	ds_read_b32 v17, v15 offset:160
	s_waitcnt lgkmcnt(0)
	v_add_f32_e32 v6, v6, v17
	s_or_b32 exec_lo, exec_lo, s0
	s_and_saveexec_b32 s0, vcc_lo
	s_cbranch_execz .LBB31_69
.LBB31_106:
	ds_read_b32 v17, v15 offset:192
	s_waitcnt lgkmcnt(0)
	v_add_f32_e32 v7, v7, v17
	s_or_b32 exec_lo, exec_lo, s0
	s_and_saveexec_b32 s0, vcc_lo
	s_cbranch_execz .LBB31_70
.LBB31_107:
	ds_read_b32 v17, v15 offset:224
	s_waitcnt lgkmcnt(0)
	v_add_f32_e32 v8, v8, v17
	s_or_b32 exec_lo, exec_lo, s0
	s_and_saveexec_b32 s0, vcc_lo
	s_cbranch_execz .LBB31_71
.LBB31_108:
	ds_read_b32 v17, v15 offset:256
	s_waitcnt lgkmcnt(0)
	v_add_f32_e32 v9, v9, v17
	s_or_b32 exec_lo, exec_lo, s0
	s_and_saveexec_b32 s0, vcc_lo
	s_cbranch_execz .LBB31_72
.LBB31_109:
	ds_read_b32 v17, v15 offset:288
	s_waitcnt lgkmcnt(0)
	v_add_f32_e32 v10, v10, v17
	s_or_b32 exec_lo, exec_lo, s0
	s_and_saveexec_b32 s0, vcc_lo
	s_cbranch_execz .LBB31_73
.LBB31_110:
	ds_read_b32 v17, v15 offset:320
	s_waitcnt lgkmcnt(0)
	v_add_f32_e32 v11, v11, v17
	s_or_b32 exec_lo, exec_lo, s0
	s_and_saveexec_b32 s0, vcc_lo
	s_cbranch_execz .LBB31_74
.LBB31_111:
	ds_read_b32 v17, v15 offset:352
	s_waitcnt lgkmcnt(0)
	v_add_f32_e32 v12, v12, v17
	s_or_b32 exec_lo, exec_lo, s0
	s_and_saveexec_b32 s0, vcc_lo
	s_cbranch_execz .LBB31_75
.LBB31_112:
	ds_read_b32 v17, v15 offset:384
	s_waitcnt lgkmcnt(0)
	v_add_f32_e32 v13, v13, v17
	s_or_b32 exec_lo, exec_lo, s0
	s_and_saveexec_b32 s0, vcc_lo
	s_cbranch_execnz .LBB31_76
	s_branch .LBB31_77
.LBB31_113:
	ds_read_b32 v16, v15
	s_waitcnt lgkmcnt(0)
	v_add_f32_e32 v1, v1, v16
	s_or_b32 exec_lo, exec_lo, s0
	s_and_saveexec_b32 s0, vcc_lo
	s_cbranch_execz .LBB31_83
.LBB31_114:
	ds_read_b32 v16, v15 offset:32
	s_waitcnt lgkmcnt(0)
	v_add_f32_e32 v2, v2, v16
	s_or_b32 exec_lo, exec_lo, s0
	s_and_saveexec_b32 s0, vcc_lo
	s_cbranch_execz .LBB31_84
.LBB31_115:
	ds_read_b32 v16, v15 offset:64
	s_waitcnt lgkmcnt(0)
	v_add_f32_e32 v3, v3, v16
	s_or_b32 exec_lo, exec_lo, s0
	s_and_saveexec_b32 s0, vcc_lo
	s_cbranch_execz .LBB31_85
.LBB31_116:
	ds_read_b32 v16, v15 offset:96
	s_waitcnt lgkmcnt(0)
	v_add_f32_e32 v4, v4, v16
	s_or_b32 exec_lo, exec_lo, s0
	s_and_saveexec_b32 s0, vcc_lo
	s_cbranch_execz .LBB31_86
.LBB31_117:
	ds_read_b32 v16, v15 offset:128
	s_waitcnt lgkmcnt(0)
	v_add_f32_e32 v5, v5, v16
	s_or_b32 exec_lo, exec_lo, s0
	s_and_saveexec_b32 s0, vcc_lo
	s_cbranch_execz .LBB31_87
.LBB31_118:
	ds_read_b32 v16, v15 offset:160
	s_waitcnt lgkmcnt(0)
	v_add_f32_e32 v6, v6, v16
	s_or_b32 exec_lo, exec_lo, s0
	s_and_saveexec_b32 s0, vcc_lo
	s_cbranch_execz .LBB31_88
.LBB31_119:
	ds_read_b32 v16, v15 offset:192
	s_waitcnt lgkmcnt(0)
	v_add_f32_e32 v7, v7, v16
	s_or_b32 exec_lo, exec_lo, s0
	s_and_saveexec_b32 s0, vcc_lo
	s_cbranch_execz .LBB31_89
.LBB31_120:
	ds_read_b32 v16, v15 offset:224
	s_waitcnt lgkmcnt(0)
	v_add_f32_e32 v8, v8, v16
	s_or_b32 exec_lo, exec_lo, s0
	s_and_saveexec_b32 s0, vcc_lo
	s_cbranch_execz .LBB31_90
.LBB31_121:
	ds_read_b32 v16, v15 offset:256
	s_waitcnt lgkmcnt(0)
	v_add_f32_e32 v9, v9, v16
	s_or_b32 exec_lo, exec_lo, s0
	s_and_saveexec_b32 s0, vcc_lo
	s_cbranch_execz .LBB31_91
.LBB31_122:
	ds_read_b32 v16, v15 offset:288
	s_waitcnt lgkmcnt(0)
	v_add_f32_e32 v10, v10, v16
	s_or_b32 exec_lo, exec_lo, s0
	s_and_saveexec_b32 s0, vcc_lo
	s_cbranch_execz .LBB31_92
.LBB31_123:
	ds_read_b32 v16, v15 offset:320
	s_waitcnt lgkmcnt(0)
	v_add_f32_e32 v11, v11, v16
	s_or_b32 exec_lo, exec_lo, s0
	s_and_saveexec_b32 s0, vcc_lo
	s_cbranch_execz .LBB31_93
.LBB31_124:
	ds_read_b32 v16, v15 offset:352
	s_waitcnt lgkmcnt(0)
	v_add_f32_e32 v12, v12, v16
	s_or_b32 exec_lo, exec_lo, s0
	s_and_saveexec_b32 s0, vcc_lo
	s_cbranch_execz .LBB31_94
.LBB31_125:
	ds_read_b32 v16, v15 offset:384
	s_waitcnt lgkmcnt(0)
	v_add_f32_e32 v13, v13, v16
	s_or_b32 exec_lo, exec_lo, s0
	s_and_saveexec_b32 s0, vcc_lo
	s_cbranch_execnz .LBB31_95
	s_branch .LBB31_96
	.section	.rodata,"a",@progbits
	.p2align	6, 0x0
	.amdhsa_kernel _ZN4vllm25paged_attention_v1_kernelIffLi112ELi16ELi128ELNS_18Fp8KVCacheDataTypeE0ELb0EEEvPT_PKS2_PKT0_S8_ifPKiSA_iPKfiiiSC_SC_iiiii
		.amdhsa_group_segment_fixed_size 480
		.amdhsa_private_segment_fixed_size 0
		.amdhsa_kernarg_size 384
		.amdhsa_user_sgpr_count 6
		.amdhsa_user_sgpr_private_segment_buffer 1
		.amdhsa_user_sgpr_dispatch_ptr 0
		.amdhsa_user_sgpr_queue_ptr 0
		.amdhsa_user_sgpr_kernarg_segment_ptr 1
		.amdhsa_user_sgpr_dispatch_id 0
		.amdhsa_user_sgpr_flat_scratch_init 0
		.amdhsa_user_sgpr_private_segment_size 0
		.amdhsa_wavefront_size32 1
		.amdhsa_uses_dynamic_stack 0
		.amdhsa_system_sgpr_private_segment_wavefront_offset 0
		.amdhsa_system_sgpr_workgroup_id_x 1
		.amdhsa_system_sgpr_workgroup_id_y 1
		.amdhsa_system_sgpr_workgroup_id_z 1
		.amdhsa_system_sgpr_workgroup_info 0
		.amdhsa_system_vgpr_workitem_id 0
		.amdhsa_next_free_vgpr 104
		.amdhsa_next_free_sgpr 27
		.amdhsa_reserve_vcc 1
		.amdhsa_reserve_flat_scratch 0
		.amdhsa_float_round_mode_32 0
		.amdhsa_float_round_mode_16_64 0
		.amdhsa_float_denorm_mode_32 3
		.amdhsa_float_denorm_mode_16_64 3
		.amdhsa_dx10_clamp 1
		.amdhsa_ieee_mode 1
		.amdhsa_fp16_overflow 0
		.amdhsa_workgroup_processor_mode 1
		.amdhsa_memory_ordered 1
		.amdhsa_forward_progress 1
		.amdhsa_shared_vgpr_count 0
		.amdhsa_exception_fp_ieee_invalid_op 0
		.amdhsa_exception_fp_denorm_src 0
		.amdhsa_exception_fp_ieee_div_zero 0
		.amdhsa_exception_fp_ieee_overflow 0
		.amdhsa_exception_fp_ieee_underflow 0
		.amdhsa_exception_fp_ieee_inexact 0
		.amdhsa_exception_int_div_zero 0
	.end_amdhsa_kernel
	.section	.text._ZN4vllm25paged_attention_v1_kernelIffLi112ELi16ELi128ELNS_18Fp8KVCacheDataTypeE0ELb0EEEvPT_PKS2_PKT0_S8_ifPKiSA_iPKfiiiSC_SC_iiiii,"axG",@progbits,_ZN4vllm25paged_attention_v1_kernelIffLi112ELi16ELi128ELNS_18Fp8KVCacheDataTypeE0ELb0EEEvPT_PKS2_PKT0_S8_ifPKiSA_iPKfiiiSC_SC_iiiii,comdat
.Lfunc_end31:
	.size	_ZN4vllm25paged_attention_v1_kernelIffLi112ELi16ELi128ELNS_18Fp8KVCacheDataTypeE0ELb0EEEvPT_PKS2_PKT0_S8_ifPKiSA_iPKfiiiSC_SC_iiiii, .Lfunc_end31-_ZN4vllm25paged_attention_v1_kernelIffLi112ELi16ELi128ELNS_18Fp8KVCacheDataTypeE0ELb0EEEvPT_PKS2_PKT0_S8_ifPKiSA_iPKfiiiSC_SC_iiiii
                                        ; -- End function
	.set _ZN4vllm25paged_attention_v1_kernelIffLi112ELi16ELi128ELNS_18Fp8KVCacheDataTypeE0ELb0EEEvPT_PKS2_PKT0_S8_ifPKiSA_iPKfiiiSC_SC_iiiii.num_vgpr, 104
	.set _ZN4vllm25paged_attention_v1_kernelIffLi112ELi16ELi128ELNS_18Fp8KVCacheDataTypeE0ELb0EEEvPT_PKS2_PKT0_S8_ifPKiSA_iPKfiiiSC_SC_iiiii.num_agpr, 0
	.set _ZN4vllm25paged_attention_v1_kernelIffLi112ELi16ELi128ELNS_18Fp8KVCacheDataTypeE0ELb0EEEvPT_PKS2_PKT0_S8_ifPKiSA_iPKfiiiSC_SC_iiiii.numbered_sgpr, 27
	.set _ZN4vllm25paged_attention_v1_kernelIffLi112ELi16ELi128ELNS_18Fp8KVCacheDataTypeE0ELb0EEEvPT_PKS2_PKT0_S8_ifPKiSA_iPKfiiiSC_SC_iiiii.num_named_barrier, 0
	.set _ZN4vllm25paged_attention_v1_kernelIffLi112ELi16ELi128ELNS_18Fp8KVCacheDataTypeE0ELb0EEEvPT_PKS2_PKT0_S8_ifPKiSA_iPKfiiiSC_SC_iiiii.private_seg_size, 0
	.set _ZN4vllm25paged_attention_v1_kernelIffLi112ELi16ELi128ELNS_18Fp8KVCacheDataTypeE0ELb0EEEvPT_PKS2_PKT0_S8_ifPKiSA_iPKfiiiSC_SC_iiiii.uses_vcc, 1
	.set _ZN4vllm25paged_attention_v1_kernelIffLi112ELi16ELi128ELNS_18Fp8KVCacheDataTypeE0ELb0EEEvPT_PKS2_PKT0_S8_ifPKiSA_iPKfiiiSC_SC_iiiii.uses_flat_scratch, 0
	.set _ZN4vllm25paged_attention_v1_kernelIffLi112ELi16ELi128ELNS_18Fp8KVCacheDataTypeE0ELb0EEEvPT_PKS2_PKT0_S8_ifPKiSA_iPKfiiiSC_SC_iiiii.has_dyn_sized_stack, 0
	.set _ZN4vllm25paged_attention_v1_kernelIffLi112ELi16ELi128ELNS_18Fp8KVCacheDataTypeE0ELb0EEEvPT_PKS2_PKT0_S8_ifPKiSA_iPKfiiiSC_SC_iiiii.has_recursion, 0
	.set _ZN4vllm25paged_attention_v1_kernelIffLi112ELi16ELi128ELNS_18Fp8KVCacheDataTypeE0ELb0EEEvPT_PKS2_PKT0_S8_ifPKiSA_iPKfiiiSC_SC_iiiii.has_indirect_call, 0
	.section	.AMDGPU.csdata,"",@progbits
; Kernel info:
; codeLenInByte = 6988
; TotalNumSgprs: 29
; NumVgprs: 104
; ScratchSize: 0
; MemoryBound: 0
; FloatMode: 240
; IeeeMode: 1
; LDSByteSize: 480 bytes/workgroup (compile time only)
; SGPRBlocks: 0
; VGPRBlocks: 12
; NumSGPRsForWavesPerEU: 29
; NumVGPRsForWavesPerEU: 104
; Occupancy: 9
; WaveLimiterHint : 1
; COMPUTE_PGM_RSRC2:SCRATCH_EN: 0
; COMPUTE_PGM_RSRC2:USER_SGPR: 6
; COMPUTE_PGM_RSRC2:TRAP_HANDLER: 0
; COMPUTE_PGM_RSRC2:TGID_X_EN: 1
; COMPUTE_PGM_RSRC2:TGID_Y_EN: 1
; COMPUTE_PGM_RSRC2:TGID_Z_EN: 1
; COMPUTE_PGM_RSRC2:TIDIG_COMP_CNT: 0
	.section	.text._ZN4vllm25paged_attention_v1_kernelIffLi120ELi16ELi128ELNS_18Fp8KVCacheDataTypeE0ELb0EEEvPT_PKS2_PKT0_S8_ifPKiSA_iPKfiiiSC_SC_iiiii,"axG",@progbits,_ZN4vllm25paged_attention_v1_kernelIffLi120ELi16ELi128ELNS_18Fp8KVCacheDataTypeE0ELb0EEEvPT_PKS2_PKT0_S8_ifPKiSA_iPKfiiiSC_SC_iiiii,comdat
	.protected	_ZN4vllm25paged_attention_v1_kernelIffLi120ELi16ELi128ELNS_18Fp8KVCacheDataTypeE0ELb0EEEvPT_PKS2_PKT0_S8_ifPKiSA_iPKfiiiSC_SC_iiiii ; -- Begin function _ZN4vllm25paged_attention_v1_kernelIffLi120ELi16ELi128ELNS_18Fp8KVCacheDataTypeE0ELb0EEEvPT_PKS2_PKT0_S8_ifPKiSA_iPKfiiiSC_SC_iiiii
	.globl	_ZN4vllm25paged_attention_v1_kernelIffLi120ELi16ELi128ELNS_18Fp8KVCacheDataTypeE0ELb0EEEvPT_PKS2_PKT0_S8_ifPKiSA_iPKfiiiSC_SC_iiiii
	.p2align	8
	.type	_ZN4vllm25paged_attention_v1_kernelIffLi120ELi16ELi128ELNS_18Fp8KVCacheDataTypeE0ELb0EEEvPT_PKS2_PKT0_S8_ifPKiSA_iPKfiiiSC_SC_iiiii,@function
_ZN4vllm25paged_attention_v1_kernelIffLi120ELi16ELi128ELNS_18Fp8KVCacheDataTypeE0ELb0EEEvPT_PKS2_PKT0_S8_ifPKiSA_iPKfiiiSC_SC_iiiii: ; @_ZN4vllm25paged_attention_v1_kernelIffLi120ELi16ELi128ELNS_18Fp8KVCacheDataTypeE0ELb0EEEvPT_PKS2_PKT0_S8_ifPKiSA_iPKfiiiSC_SC_iiiii
; %bb.0:
	s_clause 0x2
	s_load_dword s9, s[4:5], 0x80
	s_load_dwordx2 s[0:1], s[4:5], 0x30
	s_load_dwordx2 s[24:25], s[4:5], 0x20
	s_mov_b32 s10, s7
	s_ashr_i32 s11, s7, 31
	s_lshl_b64 s[2:3], s[10:11], 2
	s_waitcnt lgkmcnt(0)
	s_add_u32 s0, s0, s2
	s_addc_u32 s1, s1, s3
	s_abs_i32 s2, s24
	s_abs_i32 s11, s9
	v_cvt_f32_u32_e32 v1, s2
	s_sub_i32 s7, 0, s2
	v_rcp_iflag_f32_e32 v1, v1
	v_mul_f32_e32 v1, 0x4f7ffffe, v1
	v_cvt_u32_f32_e32 v1, v1
	v_readfirstlane_b32 s3, v1
	s_mul_i32 s7, s7, s3
	s_mul_hi_u32 s7, s3, s7
	s_add_i32 s3, s3, s7
	s_xor_b32 s7, s9, s24
	s_mul_hi_u32 s3, s11, s3
	s_ashr_i32 s7, s7, 31
	s_mul_i32 s12, s3, s2
	s_mov_b32 s24, 0
	s_sub_i32 s11, s11, s12
	s_add_i32 s12, s3, 1
	s_sub_i32 s13, s11, s2
	s_cmp_ge_u32 s11, s2
	s_cselect_b32 s3, s12, s3
	s_cselect_b32 s11, s13, s11
	s_add_i32 s12, s3, 1
	s_cmp_ge_u32 s11, s2
	s_cselect_b32 s2, s12, s3
	s_abs_i32 s17, s6
	s_xor_b32 s2, s2, s7
	s_sub_i32 s18, s2, s7
	s_load_dwordx2 s[2:3], s[4:5], 0x40
	s_abs_i32 s16, s18
	v_cvt_f32_u32_e32 v1, s16
	s_sub_i32 s11, 0, s16
	v_rcp_iflag_f32_e32 v1, v1
	v_mul_f32_e32 v1, 0x4f7ffffe, v1
	v_cvt_u32_f32_e32 v1, v1
	v_readfirstlane_b32 s7, v1
	s_mul_i32 s11, s11, s7
	s_mul_hi_u32 s11, s7, s11
	s_add_i32 s7, s7, s11
	s_waitcnt lgkmcnt(0)
	s_cmp_eq_u64 s[2:3], 0
	s_mul_hi_u32 s20, s17, s7
	s_cbranch_scc1 .LBB32_2
; %bb.1:
	s_ashr_i32 s7, s6, 31
	s_lshl_b64 s[12:13], s[6:7], 2
	s_add_u32 s2, s2, s12
	s_addc_u32 s3, s3, s13
	s_load_dword s24, s[2:3], 0x0
.LBB32_2:
	s_load_dword s11, s[0:1], 0x0
	s_load_dwordx4 s[12:15], s[4:5], 0x48
	v_and_b32_e32 v41, 1, v0
	v_lshlrev_b32_e32 v1, 3, v0
	v_lshlrev_b32_e32 v63, 2, v0
	s_ashr_i32 s0, s6, 31
	s_ashr_i32 s1, s18, 31
	s_mulk_i32 s6, 0x78
	s_mov_b32 s2, exec_lo
	v_cmpx_gt_u32_e32 60, v0
	s_cbranch_execz .LBB32_4
; %bb.3:
	s_load_dwordx2 s[18:19], s[4:5], 0x8
	s_waitcnt lgkmcnt(0)
	s_mul_i32 s22, s12, s10
	v_and_b32_e32 v4, 0xff8, v63
	s_ashr_i32 s23, s22, 31
	s_lshl_b64 s[22:23], s[22:23], 2
	v_mad_u32_u24 v4, 0xf0, v41, v4
	s_add_u32 s3, s18, s22
	s_addc_u32 s12, s19, s23
	s_ashr_i32 s7, s6, 31
	s_lshl_b64 s[18:19], s[6:7], 2
	s_add_u32 s18, s3, s18
	s_addc_u32 s19, s12, s19
	global_load_dwordx2 v[2:3], v1, s[18:19]
	s_waitcnt vmcnt(0)
	ds_write_b64 v4, v[2:3]
.LBB32_4:
	s_or_b32 exec_lo, exec_lo, s2
	s_waitcnt lgkmcnt(0)
	s_add_i32 s2, s11, 15
	s_clause 0x1
	s_load_dwordx2 s[18:19], s[4:5], 0x28
	s_load_dword s7, s[4:5], 0x38
	s_ashr_i32 s3, s2, 31
	s_xor_b32 s0, s0, s1
	s_lshr_b32 s3, s3, 28
	s_mul_i32 s1, s20, s16
	s_add_i32 s2, s2, s3
	s_sub_i32 s1, s17, s1
	s_ashr_i32 s12, s2, 4
	s_add_i32 s2, s20, 1
	s_sub_i32 s3, s1, s16
	s_cmp_ge_u32 s1, s16
	v_lshrrev_b32_e32 v67, 5, v0
	s_cselect_b32 s2, s2, s20
	s_cselect_b32 s1, s3, s1
	s_add_i32 s3, s2, 1
	s_cmp_ge_u32 s1, s16
	v_mbcnt_lo_u32_b32 v65, -1, 0
	s_cselect_b32 s1, s3, s2
	s_mov_b32 s2, exec_lo
	s_xor_b32 s1, s1, s0
	s_waitcnt lgkmcnt(0)
	s_mul_i32 s20, s7, s10
	s_sub_i32 s1, s1, s0
	v_cmp_gt_i32_e64 s0, s12, v67
	s_ashr_i32 s21, s20, 31
	s_barrier
	buffer_gl0_inv
                                        ; implicit-def: $vgpr66
                                        ; implicit-def: $vgpr70
	v_cmpx_le_i32_e64 s12, v67
	s_xor_b32 s2, exec_lo, s2
; %bb.5:
	v_mov_b32_e32 v66, 0
	v_mbcnt_lo_u32_b32 v65, -1, 0
	v_mov_b32_e32 v70, 32
                                        ; implicit-def: $vgpr1
                                        ; implicit-def: $vgpr41
; %bb.6:
	s_or_saveexec_b32 s26, s2
	s_clause 0x2
	s_load_dwordx2 s[16:17], s[4:5], 0x0
	s_load_dwordx2 s[22:23], s[4:5], 0x18
	s_load_dword s7, s[4:5], 0x88
	v_mov_b32_e32 v72, 0xff7fffff
	v_lshrrev_b32_e32 v64, 3, v0
	s_mul_i32 s14, s1, s14
	s_xor_b32 exec_lo, exec_lo, s26
	s_cbranch_execz .LBB32_12
; %bb.7:
	s_load_dwordx2 s[2:3], s[4:5], 0x10
	v_bfe_u32 v61, v0, 1, 4
	v_xor_b32_e32 v26, 1, v65
	s_ashr_i32 s15, s14, 31
	v_and_b32_e32 v25, 8, v1
	s_lshl_b64 s[4:5], s[14:15], 2
	v_lshlrev_b32_e32 v27, 4, v61
	v_cmp_gt_i32_e32 vcc_lo, 32, v26
	v_mul_u32_u24_e32 v57, 0xf0, v41
	ds_read_b128 v[1:4], v57
	ds_read_b128 v[5:8], v57 offset:16
	ds_read_b128 v[9:12], v57 offset:32
	;; [unrolled: 1-line block ×5, first 2 shown]
	v_cndmask_b32_e32 v42, v65, v26, vcc_lo
	v_lshlrev_b32_e32 v62, 2, v61
	v_lshl_or_b32 v73, v67, 4, v61
	v_and_b32_e32 v61, 0x7c, v64
	v_mov_b32_e32 v66, 0
	v_lshlrev_b32_e32 v71, 2, v42
	s_waitcnt lgkmcnt(0)
	s_add_u32 s1, s2, s4
	s_addc_u32 s2, s3, s5
	v_add_co_u32 v27, s1, s1, v27
	v_add_co_ci_u32_e64 v28, null, s2, 0, s1
	s_lshl_b64 s[2:3], s[20:21], 2
	v_add_co_u32 v68, vcc_lo, v27, v25
	v_add_co_ci_u32_e64 v69, null, 0, v28, vcc_lo
	ds_read_b128 v[25:28], v57 offset:96
	ds_read_b128 v[29:32], v57 offset:112
	;; [unrolled: 1-line block ×4, first 2 shown]
	v_cmp_eq_u32_e32 vcc_lo, 0, v41
	ds_read_b128 v[41:44], v57 offset:160
	ds_read_b128 v[45:48], v57 offset:176
	ds_read_b128 v[49:52], v57 offset:192
	ds_read_b128 v[53:56], v57 offset:208
	ds_read_b128 v[57:60], v57 offset:224
	v_lshl_or_b32 v62, v67, 6, v62
	s_sub_i32 s4, 1, s11
	s_add_u32 s2, s18, s2
	s_addc_u32 s3, s19, s3
	v_add_co_u32 v61, s2, s2, v61
	v_mov_b32_e32 v70, 32
	v_cmp_neq_f32_e64 s1, s24, 0
	v_add_nc_u32_e32 v74, 0x200, v62
	v_add_co_ci_u32_e64 v62, null, s3, 0, s2
	v_mov_b32_e32 v72, 0xff7fffff
	v_mov_b32_e32 v75, v67
	s_mov_b32 s15, s13
	s_mov_b32 s5, 0
	s_branch .LBB32_9
.LBB32_8:                               ;   in Loop: Header=BB32_9 Depth=1
	s_or_b32 exec_lo, exec_lo, s3
	v_add_nc_u32_e32 v75, 4, v75
	v_add_co_u32 v61, s3, v61, 16
	v_add_nc_u32_e32 v73, 64, v73
	v_add_nc_u32_e32 v74, 0x100, v74
	v_cmp_le_i32_e64 s2, s12, v75
	v_add_co_ci_u32_e64 v62, null, 0, v62, s3
	s_or_b32 s5, s2, s5
	s_andn2_b32 exec_lo, exec_lo, s5
	s_cbranch_execz .LBB32_11
.LBB32_9:                               ; =>This Inner Loop Header: Depth=1
	global_load_dword v76, v[61:62], off
	s_waitcnt vmcnt(0) lgkmcnt(0)
	v_mad_i64_i32 v[76:77], null, v76, s15, 0
	v_lshlrev_b64 v[76:77], 2, v[76:77]
	v_add_co_u32 v76, s2, v68, v76
	v_add_co_ci_u32_e64 v77, null, v69, v77, s2
	s_clause 0x7
	global_load_dwordx2 v[78:79], v[76:77], off offset:256
	global_load_dwordx2 v[80:81], v[76:77], off offset:512
	;; [unrolled: 1-line block ×3, first 2 shown]
	global_load_dwordx2 v[84:85], v[76:77], off
	global_load_dwordx2 v[86:87], v[76:77], off offset:1024
	global_load_dwordx2 v[88:89], v[76:77], off offset:1280
	;; [unrolled: 1-line block ×4, first 2 shown]
	v_add_co_u32 v94, s2, v76, 0x1000
	v_add_co_ci_u32_e64 v95, null, 0, v77, s2
	v_add_co_u32 v96, s2, 0x800, v76
	v_add_co_ci_u32_e64 v97, null, 0, v77, s2
	v_add_co_u32 v98, s2, 0x1000, v76
	v_add_co_ci_u32_e64 v99, null, 0, v77, s2
	v_add_co_u32 v76, s2, 0x1800, v76
	v_add_co_ci_u32_e64 v77, null, 0, v77, s2
	s_waitcnt vmcnt(7)
	v_mul_f32_e32 v100, v3, v78
	v_mul_f32_e32 v101, v4, v79
	global_load_dwordx2 v[78:79], v[94:95], off offset:-2048
	s_waitcnt vmcnt(5)
	v_fmac_f32_e32 v100, v1, v84
	v_fmac_f32_e32 v101, v2, v85
	global_load_dwordx2 v[84:85], v[96:97], off offset:256
	v_fmac_f32_e32 v100, v5, v80
	v_fmac_f32_e32 v101, v6, v81
	global_load_dwordx2 v[80:81], v[96:97], off offset:512
	;; [unrolled: 3-line block ×3, first 2 shown]
	s_waitcnt vmcnt(7)
	v_fmac_f32_e32 v100, v9, v86
	v_fmac_f32_e32 v101, v10, v87
	global_load_dwordx2 v[86:87], v[96:97], off offset:1024
	s_waitcnt vmcnt(7)
	v_fmac_f32_e32 v100, v11, v88
	v_fmac_f32_e32 v101, v12, v89
	global_load_dwordx2 v[88:89], v[96:97], off offset:1280
	s_waitcnt vmcnt(7)
	v_fmac_f32_e32 v100, v13, v90
	v_fmac_f32_e32 v101, v14, v91
	s_clause 0x2
	global_load_dwordx2 v[90:91], v[96:97], off offset:1536
	global_load_dwordx2 v[96:97], v[96:97], off offset:1792
	global_load_dwordx2 v[94:95], v[94:95], off
	s_waitcnt vmcnt(9)
	v_fmac_f32_e32 v100, v15, v92
	v_fmac_f32_e32 v101, v16, v93
	global_load_dwordx2 v[92:93], v[98:99], off offset:256
	s_waitcnt vmcnt(9)
	v_fmac_f32_e32 v100, v17, v78
	v_fmac_f32_e32 v101, v18, v79
	global_load_dwordx2 v[78:79], v[98:99], off offset:512
	;; [unrolled: 4-line block ×5, first 2 shown]
	s_waitcnt vmcnt(9) lgkmcnt(8)
	v_fmac_f32_e32 v100, v25, v86
	v_fmac_f32_e32 v101, v26, v87
	s_clause 0x1
	global_load_dwordx2 v[86:87], v[98:99], off offset:1536
	global_load_dwordx2 v[98:99], v[98:99], off offset:1792
	s_waitcnt vmcnt(10)
	v_fmac_f32_e32 v100, v27, v88
	v_fmac_f32_e32 v101, v28, v89
	global_load_dwordx2 v[88:89], v[76:77], off
	s_waitcnt vmcnt(10) lgkmcnt(7)
	v_fmac_f32_e32 v100, v29, v90
	v_fmac_f32_e32 v101, v30, v91
	global_load_dwordx2 v[90:91], v[76:77], off offset:256
	s_waitcnt vmcnt(10)
	v_fmac_f32_e32 v100, v31, v96
	v_fmac_f32_e32 v101, v32, v97
	global_load_dwordx2 v[96:97], v[76:77], off offset:512
	s_waitcnt vmcnt(10) lgkmcnt(6)
	v_fmac_f32_e32 v100, v33, v94
	v_fmac_f32_e32 v101, v34, v95
	global_load_dwordx2 v[94:95], v[76:77], off offset:768
	s_waitcnt vmcnt(10)
	v_fmac_f32_e32 v100, v35, v92
	v_fmac_f32_e32 v101, v36, v93
	s_clause 0x1
	global_load_dwordx2 v[92:93], v[76:77], off offset:1024
	global_load_dwordx2 v[76:77], v[76:77], off offset:1280
	s_waitcnt vmcnt(11) lgkmcnt(5)
	v_fmac_f32_e32 v100, v37, v78
	v_fmac_f32_e32 v101, v38, v79
	s_waitcnt vmcnt(10)
	v_fmac_f32_e32 v100, v39, v84
	v_fmac_f32_e32 v101, v40, v85
	s_waitcnt vmcnt(9) lgkmcnt(4)
	v_fmac_f32_e32 v100, v41, v80
	v_fmac_f32_e32 v101, v42, v81
	s_waitcnt vmcnt(8)
	v_fmac_f32_e32 v100, v43, v82
	v_fmac_f32_e32 v101, v44, v83
	;; [unrolled: 6-line block ×6, first 2 shown]
	v_add_f32_e32 v76, v100, v101
	ds_bpermute_b32 v77, v71, v76
	s_and_saveexec_b32 s3, vcc_lo
	s_cbranch_execz .LBB32_8
; %bb.10:                               ;   in Loop: Header=BB32_9 Depth=1
	v_add_nc_u32_e32 v78, s4, v73
	s_waitcnt lgkmcnt(0)
	v_add_f32_e32 v76, v76, v77
	v_cmp_gt_i32_e64 s2, s11, v73
	v_cvt_f32_i32_e32 v78, v78
	v_mul_f32_e32 v78, s24, v78
	v_cndmask_b32_e64 v77, 0, v78, s1
	v_max_f32_e32 v78, v72, v72
	v_fmac_f32_e32 v77, s25, v76
	v_max_f32_e32 v76, v78, v77
	v_cndmask_b32_e64 v77, 0, v77, s2
	v_cndmask_b32_e64 v72, v72, v76, s2
	ds_write_b32 v74, v77
	s_branch .LBB32_8
.LBB32_11:
	s_or_b32 exec_lo, exec_lo, s5
.LBB32_12:
	s_or_b32 exec_lo, exec_lo, s26
	v_xor_b32_e32 v1, 16, v65
	v_xor_b32_e32 v3, 8, v65
	v_max_f32_e32 v4, v72, v72
	v_xor_b32_e32 v5, 4, v65
	v_and_b32_e32 v68, 31, v0
	v_cmp_lt_i32_e32 vcc_lo, v1, v70
	v_cndmask_b32_e32 v1, v65, v1, vcc_lo
	v_cmp_lt_i32_e32 vcc_lo, v3, v70
	v_lshlrev_b32_e32 v1, 2, v1
	v_cndmask_b32_e32 v3, v65, v3, vcc_lo
	v_cmp_lt_i32_e32 vcc_lo, v5, v70
	ds_bpermute_b32 v2, v1, v72
	v_lshlrev_b32_e32 v3, 2, v3
	v_cndmask_b32_e32 v5, v65, v5, vcc_lo
	s_waitcnt lgkmcnt(0)
	v_max_f32_e32 v2, v2, v2
	v_max_f32_e32 v2, v4, v2
	ds_bpermute_b32 v4, v3, v2
	s_waitcnt lgkmcnt(0)
	v_max_f32_e32 v6, v4, v4
	v_lshlrev_b32_e32 v4, 2, v5
	v_max_f32_e32 v2, v2, v6
	v_xor_b32_e32 v6, 2, v65
	ds_bpermute_b32 v5, v4, v2
	v_cmp_lt_i32_e32 vcc_lo, v6, v70
	v_cndmask_b32_e32 v6, v65, v6, vcc_lo
	v_cmp_eq_u32_e32 vcc_lo, 0, v68
	v_lshlrev_b32_e32 v69, 2, v6
	s_waitcnt lgkmcnt(0)
	v_max_f32_e32 v5, v5, v5
	v_max_f32_e32 v2, v2, v5
	v_lshlrev_b32_e32 v5, 2, v67
	ds_bpermute_b32 v6, v69, v2
	s_and_saveexec_b32 s1, vcc_lo
	s_cbranch_execz .LBB32_14
; %bb.13:
	s_waitcnt lgkmcnt(0)
	v_max_f32_e32 v6, v6, v6
	v_max_f32_e32 v2, v2, v2
	;; [unrolled: 1-line block ×3, first 2 shown]
	ds_write_b32 v5, v2 offset:480
.LBB32_14:
	s_or_b32 exec_lo, exec_lo, s1
	v_cmp_gt_u32_e64 s1, 4, v68
	v_mov_b32_e32 v2, 0xff7fffff
	s_waitcnt lgkmcnt(0)
	v_lshlrev_b32_e32 v6, 2, v68
	s_barrier
	buffer_gl0_inv
	s_and_saveexec_b32 s2, s1
; %bb.15:
	ds_read_b32 v2, v6 offset:480
; %bb.16:
	s_or_b32 exec_lo, exec_lo, s2
	s_waitcnt lgkmcnt(0)
	ds_bpermute_b32 v7, v69, v2
	v_xor_b32_e32 v8, 1, v65
	v_max_f32_e32 v2, v2, v2
	v_cmp_lt_i32_e64 s2, v8, v70
	v_cndmask_b32_e64 v8, v65, v8, s2
	s_lshl_b32 s2, s12, 4
	s_min_i32 s4, s2, s11
	v_lshlrev_b32_e32 v70, 2, v8
	v_cmp_gt_i32_e64 s2, s4, v0
	s_waitcnt lgkmcnt(0)
	v_max_f32_e32 v7, v7, v7
	v_max_f32_e32 v2, v2, v7
	ds_bpermute_b32 v7, v70, v2
	s_waitcnt lgkmcnt(0)
	v_max_f32_e32 v7, v7, v7
	v_max_f32_e32 v2, v2, v7
	v_lshlrev_b32_e32 v7, 2, v66
	ds_bpermute_b32 v8, v7, v2
	v_mov_b32_e32 v7, 0
	v_lshl_add_u32 v2, v0, 2, 0x200
	s_and_saveexec_b32 s5, s2
	s_cbranch_execz .LBB32_20
; %bb.17:
	v_lshl_add_u32 v9, v0, 2, 0x200
	v_mov_b32_e32 v7, 0
	v_mov_b32_e32 v10, v0
	s_mov_b32 s15, 0
	.p2align	6
.LBB32_18:                              ; =>This Inner Loop Header: Depth=1
	ds_read_b32 v11, v9
	v_add_nc_u32_e32 v10, 0x80, v10
	v_cmp_le_i32_e64 s3, s4, v10
	s_or_b32 s15, s3, s15
	s_waitcnt lgkmcnt(0)
	v_sub_f32_e32 v11, v11, v8
	v_mul_f32_e32 v11, 0x3fb8aa3b, v11
	v_exp_f32_e32 v11, v11
	ds_write_b32 v9, v11
	v_add_f32_e32 v7, v7, v11
	v_add_nc_u32_e32 v9, 0x200, v9
	s_andn2_b32 exec_lo, exec_lo, s15
	s_cbranch_execnz .LBB32_18
; %bb.19:
	s_or_b32 exec_lo, exec_lo, s15
.LBB32_20:
	s_or_b32 exec_lo, exec_lo, s5
	ds_bpermute_b32 v1, v1, v7
	s_waitcnt lgkmcnt(0)
	v_add_f32_e32 v1, v7, v1
	ds_bpermute_b32 v3, v3, v1
	s_waitcnt lgkmcnt(0)
	v_add_f32_e32 v1, v1, v3
	;; [unrolled: 3-line block ×5, first 2 shown]
	s_and_saveexec_b32 s3, vcc_lo
; %bb.21:
	ds_write_b32 v5, v1 offset:496
; %bb.22:
	s_or_b32 exec_lo, exec_lo, s3
	s_waitcnt lgkmcnt(0)
	s_barrier
	buffer_gl0_inv
	s_and_saveexec_b32 s3, s1
; %bb.23:
	ds_read_b32 v1, v6 offset:496
; %bb.24:
	s_or_b32 exec_lo, exec_lo, s3
	s_waitcnt lgkmcnt(0)
	ds_bpermute_b32 v3, v69, v1
	v_lshlrev_b32_e32 v4, 2, v65
	s_waitcnt lgkmcnt(0)
	v_add_f32_e32 v1, v1, v3
	ds_bpermute_b32 v3, v70, v1
	s_waitcnt lgkmcnt(0)
	v_add_f32_e32 v1, v1, v3
	v_and_b32_e32 v3, 0xffffff80, v4
	ds_bpermute_b32 v1, v3, v1
	s_and_saveexec_b32 s1, s2
	s_cbranch_execz .LBB32_27
; %bb.25:
	s_waitcnt lgkmcnt(0)
	v_add_f32_e32 v1, 0x358637bd, v1
	s_mov_b32 s2, 0
	v_div_scale_f32 v3, null, v1, v1, 1.0
	v_div_scale_f32 v6, vcc_lo, 1.0, v1, 1.0
	v_rcp_f32_e32 v4, v3
	v_fma_f32 v5, -v3, v4, 1.0
	v_fmac_f32_e32 v4, v5, v4
	v_mul_f32_e32 v5, v6, v4
	v_fma_f32 v7, -v3, v5, v6
	v_fmac_f32_e32 v5, v7, v4
	v_fma_f32 v3, -v3, v5, v6
	v_div_fmas_f32 v3, v3, v4, v5
	v_div_fixup_f32 v1, v3, v1, 1.0
	v_mov_b32_e32 v3, v0
.LBB32_26:                              ; =>This Inner Loop Header: Depth=1
	ds_read_b32 v4, v2
	v_add_nc_u32_e32 v3, 0x80, v3
	v_cmp_le_i32_e32 vcc_lo, s4, v3
	s_or_b32 s2, vcc_lo, s2
	s_waitcnt lgkmcnt(0)
	v_mul_f32_e32 v4, v1, v4
	ds_write_b32 v2, v4
	v_add_nc_u32_e32 v2, 0x200, v2
	s_andn2_b32 exec_lo, exec_lo, s2
	s_cbranch_execnz .LBB32_26
.LBB32_27:
	s_or_b32 exec_lo, exec_lo, s1
	v_mov_b32_e32 v84, 0
	v_and_b32_e32 v71, 3, v0
	v_mov_b32_e32 v86, 0
	v_mov_b32_e32 v85, 0
	;; [unrolled: 1-line block ×14, first 2 shown]
	s_waitcnt lgkmcnt(0)
	s_barrier
	buffer_gl0_inv
	s_and_saveexec_b32 s1, s0
	s_cbranch_execz .LBB32_61
; %bb.28:
	v_lshlrev_b32_e32 v2, 4, v0
	s_ashr_i32 s15, s14, 31
	v_and_b32_e32 v1, 12, v63
	v_lshlrev_b32_e32 v4, 4, v67
	s_lshl_b64 s[2:3], s[14:15], 2
	v_and_b32_e32 v2, 0x1f0, v2
	v_lshlrev_b32_e32 v3, 4, v71
	s_add_u32 s0, s22, s2
	v_or3_b32 v89, v4, v1, 3
	v_and_b32_e32 v1, 0x7c, v64
	s_addc_u32 s3, s23, s3
	v_add_co_u32 v87, s0, s0, v2
	s_lshl_b64 s[4:5], s[20:21], 2
	s_add_i32 s2, s12, -1
	v_lshl_or_b32 v3, v67, 6, v3
	v_add_co_ci_u32_e64 v88, null, s3, 0, s0
	s_add_u32 s0, s18, s4
	s_addc_u32 s3, s19, s5
	v_add_co_u32 v65, s0, s0, v1
	v_mov_b32_e32 v72, 0
	v_add_nc_u32_e32 v90, 0x200, v3
	v_add_co_ci_u32_e64 v66, null, s3, 0, s0
	v_mov_b32_e32 v73, 0
	v_mov_b32_e32 v74, 0
	;; [unrolled: 1-line block ×15, first 2 shown]
	s_mov_b32 s4, s13
	s_mov_b32 s3, 0
	s_branch .LBB32_30
.LBB32_29:                              ;   in Loop: Header=BB32_30 Depth=1
	s_or_b32 exec_lo, exec_lo, s0
	s_waitcnt vmcnt(1) lgkmcnt(0)
	v_mul_f32_e32 v61, v1, v61
	v_mul_f32_e32 v57, v1, v57
	;; [unrolled: 1-line block ×14, first 2 shown]
	s_waitcnt vmcnt(0)
	v_mul_f32_e32 v1, v1, v49
	v_fmac_f32_e32 v61, v2, v62
	v_fmac_f32_e32 v57, v2, v58
	;; [unrolled: 1-line block ×30, first 2 shown]
	v_add_nc_u32_e32 v91, 4, v91
	v_fmac_f32_e32 v61, v4, v64
	v_fmac_f32_e32 v57, v4, v60
	;; [unrolled: 1-line block ×15, first 2 shown]
	v_cmp_le_i32_e32 vcc_lo, s12, v91
	v_add_co_u32 v65, s0, v65, 16
	v_add_f32_e32 v73, v73, v61
	v_add_f32_e32 v74, v74, v57
	;; [unrolled: 1-line block ×15, first 2 shown]
	v_add_nc_u32_e32 v89, 64, v89
	v_add_nc_u32_e32 v90, 0x100, v90
	v_add_co_ci_u32_e64 v66, null, 0, v66, s0
	s_or_b32 s3, vcc_lo, s3
	s_andn2_b32 exec_lo, exec_lo, s3
	s_cbranch_execz .LBB32_60
.LBB32_30:                              ; =>This Inner Loop Header: Depth=1
	global_load_dword v1, v[65:66], off
	v_add_nc_u32_e32 v92, -3, v89
	v_add_nc_u32_e32 v94, -2, v89
	;; [unrolled: 1-line block ×3, first 2 shown]
	s_waitcnt vmcnt(0)
	v_mad_i64_i32 v[1:2], null, v1, s4, 0
	v_lshlrev_b64 v[1:2], 2, v[1:2]
	v_add_co_u32 v49, vcc_lo, v87, v1
	v_add_co_ci_u32_e64 v50, null, v88, v2, vcc_lo
	ds_read_b128 v[1:4], v90
	v_cmp_eq_u32_e32 vcc_lo, s2, v91
	global_load_dwordx4 v[5:8], v[49:50], off
	s_and_saveexec_b32 s5, vcc_lo
	s_cbranch_execnz .LBB32_48
; %bb.31:                               ;   in Loop: Header=BB32_30 Depth=1
	s_or_b32 exec_lo, exec_lo, s5
	global_load_dwordx4 v[9:12], v[49:50], off offset:512
	s_and_saveexec_b32 s5, vcc_lo
	s_cbranch_execnz .LBB32_49
.LBB32_32:                              ;   in Loop: Header=BB32_30 Depth=1
	s_or_b32 exec_lo, exec_lo, s5
	global_load_dwordx4 v[13:16], v[49:50], off offset:1024
	s_and_saveexec_b32 s5, vcc_lo
	s_cbranch_execnz .LBB32_50
.LBB32_33:                              ;   in Loop: Header=BB32_30 Depth=1
	s_or_b32 exec_lo, exec_lo, s5
	global_load_dwordx4 v[17:20], v[49:50], off offset:1536
	s_and_saveexec_b32 s5, vcc_lo
	s_cbranch_execz .LBB32_35
.LBB32_34:                              ;   in Loop: Header=BB32_30 Depth=1
	v_cmp_gt_i32_e64 s0, s11, v92
	s_waitcnt vmcnt(0)
	v_cndmask_b32_e64 v17, 0, v17, s0
	v_cmp_gt_i32_e64 s0, s11, v94
	v_cndmask_b32_e64 v18, 0, v18, s0
	v_cmp_gt_i32_e64 s0, s11, v93
	v_cndmask_b32_e64 v19, 0, v19, s0
	v_cmp_gt_i32_e64 s0, s11, v89
	v_cndmask_b32_e64 v20, 0, v20, s0
.LBB32_35:                              ;   in Loop: Header=BB32_30 Depth=1
	s_or_b32 exec_lo, exec_lo, s5
	v_add_co_u32 v33, s0, 0x800, v49
	v_add_co_ci_u32_e64 v34, null, 0, v50, s0
	global_load_dwordx4 v[21:24], v[33:34], off
	s_and_saveexec_b32 s5, vcc_lo
	s_cbranch_execnz .LBB32_51
; %bb.36:                               ;   in Loop: Header=BB32_30 Depth=1
	s_or_b32 exec_lo, exec_lo, s5
	global_load_dwordx4 v[25:28], v[33:34], off offset:512
	s_and_saveexec_b32 s5, vcc_lo
	s_cbranch_execnz .LBB32_52
.LBB32_37:                              ;   in Loop: Header=BB32_30 Depth=1
	s_or_b32 exec_lo, exec_lo, s5
	global_load_dwordx4 v[29:32], v[33:34], off offset:1024
	s_and_saveexec_b32 s5, vcc_lo
	s_cbranch_execnz .LBB32_53
.LBB32_38:                              ;   in Loop: Header=BB32_30 Depth=1
	s_or_b32 exec_lo, exec_lo, s5
	global_load_dwordx4 v[33:36], v[33:34], off offset:1536
	s_and_saveexec_b32 s5, vcc_lo
	s_cbranch_execz .LBB32_40
.LBB32_39:                              ;   in Loop: Header=BB32_30 Depth=1
	v_cmp_gt_i32_e64 s0, s11, v92
	s_waitcnt vmcnt(0)
	v_cndmask_b32_e64 v33, 0, v33, s0
	v_cmp_gt_i32_e64 s0, s11, v94
	v_cndmask_b32_e64 v34, 0, v34, s0
	v_cmp_gt_i32_e64 s0, s11, v93
	;; [unrolled: 2-line block ×3, first 2 shown]
	v_cndmask_b32_e64 v36, 0, v36, s0
.LBB32_40:                              ;   in Loop: Header=BB32_30 Depth=1
	s_or_b32 exec_lo, exec_lo, s5
	v_add_co_u32 v51, s0, 0x1000, v49
	v_add_co_ci_u32_e64 v52, null, 0, v50, s0
	global_load_dwordx4 v[37:40], v[51:52], off
	s_and_saveexec_b32 s5, vcc_lo
	s_cbranch_execnz .LBB32_54
; %bb.41:                               ;   in Loop: Header=BB32_30 Depth=1
	s_or_b32 exec_lo, exec_lo, s5
	global_load_dwordx4 v[41:44], v[51:52], off offset:512
	s_and_saveexec_b32 s5, vcc_lo
	s_cbranch_execnz .LBB32_55
.LBB32_42:                              ;   in Loop: Header=BB32_30 Depth=1
	s_or_b32 exec_lo, exec_lo, s5
	global_load_dwordx4 v[45:48], v[51:52], off offset:1024
	s_and_saveexec_b32 s5, vcc_lo
	s_cbranch_execnz .LBB32_56
.LBB32_43:                              ;   in Loop: Header=BB32_30 Depth=1
	s_or_b32 exec_lo, exec_lo, s5
	global_load_dwordx4 v[53:56], v[51:52], off offset:1536
	s_and_saveexec_b32 s5, vcc_lo
	s_cbranch_execz .LBB32_45
.LBB32_44:                              ;   in Loop: Header=BB32_30 Depth=1
	v_cmp_gt_i32_e64 s0, s11, v92
	s_waitcnt vmcnt(0)
	v_cndmask_b32_e64 v53, 0, v53, s0
	v_cmp_gt_i32_e64 s0, s11, v94
	v_cndmask_b32_e64 v54, 0, v54, s0
	v_cmp_gt_i32_e64 s0, s11, v93
	;; [unrolled: 2-line block ×3, first 2 shown]
	v_cndmask_b32_e64 v56, 0, v56, s0
.LBB32_45:                              ;   in Loop: Header=BB32_30 Depth=1
	s_or_b32 exec_lo, exec_lo, s5
	v_add_co_u32 v49, s0, 0x1800, v49
	v_add_co_ci_u32_e64 v50, null, 0, v50, s0
	global_load_dwordx4 v[57:60], v[49:50], off
	s_and_saveexec_b32 s5, vcc_lo
	s_cbranch_execnz .LBB32_57
; %bb.46:                               ;   in Loop: Header=BB32_30 Depth=1
	s_or_b32 exec_lo, exec_lo, s5
	global_load_dwordx4 v[61:64], v[49:50], off offset:512
	s_and_saveexec_b32 s5, vcc_lo
	s_cbranch_execnz .LBB32_58
.LBB32_47:                              ;   in Loop: Header=BB32_30 Depth=1
	s_or_b32 exec_lo, exec_lo, s5
	global_load_dwordx4 v[49:52], v[49:50], off offset:1024
	s_and_saveexec_b32 s0, vcc_lo
	s_cbranch_execz .LBB32_29
	s_branch .LBB32_59
.LBB32_48:                              ;   in Loop: Header=BB32_30 Depth=1
	v_cmp_gt_i32_e64 s0, s11, v92
	s_waitcnt vmcnt(0)
	v_cndmask_b32_e64 v5, 0, v5, s0
	v_cmp_gt_i32_e64 s0, s11, v94
	v_cndmask_b32_e64 v6, 0, v6, s0
	v_cmp_gt_i32_e64 s0, s11, v93
	v_cndmask_b32_e64 v7, 0, v7, s0
	v_cmp_gt_i32_e64 s0, s11, v89
	v_cndmask_b32_e64 v8, 0, v8, s0
	s_or_b32 exec_lo, exec_lo, s5
	global_load_dwordx4 v[9:12], v[49:50], off offset:512
	s_and_saveexec_b32 s5, vcc_lo
	s_cbranch_execz .LBB32_32
.LBB32_49:                              ;   in Loop: Header=BB32_30 Depth=1
	v_cmp_gt_i32_e64 s0, s11, v92
	s_waitcnt vmcnt(0)
	v_cndmask_b32_e64 v9, 0, v9, s0
	v_cmp_gt_i32_e64 s0, s11, v94
	v_cndmask_b32_e64 v10, 0, v10, s0
	v_cmp_gt_i32_e64 s0, s11, v93
	;; [unrolled: 2-line block ×3, first 2 shown]
	v_cndmask_b32_e64 v12, 0, v12, s0
	s_or_b32 exec_lo, exec_lo, s5
	global_load_dwordx4 v[13:16], v[49:50], off offset:1024
	s_and_saveexec_b32 s5, vcc_lo
	s_cbranch_execz .LBB32_33
.LBB32_50:                              ;   in Loop: Header=BB32_30 Depth=1
	v_cmp_gt_i32_e64 s0, s11, v92
	s_waitcnt vmcnt(0)
	v_cndmask_b32_e64 v13, 0, v13, s0
	v_cmp_gt_i32_e64 s0, s11, v94
	v_cndmask_b32_e64 v14, 0, v14, s0
	v_cmp_gt_i32_e64 s0, s11, v93
	;; [unrolled: 2-line block ×3, first 2 shown]
	v_cndmask_b32_e64 v16, 0, v16, s0
	s_or_b32 exec_lo, exec_lo, s5
	global_load_dwordx4 v[17:20], v[49:50], off offset:1536
	s_and_saveexec_b32 s5, vcc_lo
	s_cbranch_execnz .LBB32_34
	s_branch .LBB32_35
.LBB32_51:                              ;   in Loop: Header=BB32_30 Depth=1
	v_cmp_gt_i32_e64 s0, s11, v92
	s_waitcnt vmcnt(0)
	v_cndmask_b32_e64 v21, 0, v21, s0
	v_cmp_gt_i32_e64 s0, s11, v94
	v_cndmask_b32_e64 v22, 0, v22, s0
	v_cmp_gt_i32_e64 s0, s11, v93
	;; [unrolled: 2-line block ×3, first 2 shown]
	v_cndmask_b32_e64 v24, 0, v24, s0
	s_or_b32 exec_lo, exec_lo, s5
	global_load_dwordx4 v[25:28], v[33:34], off offset:512
	s_and_saveexec_b32 s5, vcc_lo
	s_cbranch_execz .LBB32_37
.LBB32_52:                              ;   in Loop: Header=BB32_30 Depth=1
	v_cmp_gt_i32_e64 s0, s11, v92
	s_waitcnt vmcnt(0)
	v_cndmask_b32_e64 v25, 0, v25, s0
	v_cmp_gt_i32_e64 s0, s11, v94
	v_cndmask_b32_e64 v26, 0, v26, s0
	v_cmp_gt_i32_e64 s0, s11, v93
	;; [unrolled: 2-line block ×3, first 2 shown]
	v_cndmask_b32_e64 v28, 0, v28, s0
	s_or_b32 exec_lo, exec_lo, s5
	global_load_dwordx4 v[29:32], v[33:34], off offset:1024
	s_and_saveexec_b32 s5, vcc_lo
	s_cbranch_execz .LBB32_38
.LBB32_53:                              ;   in Loop: Header=BB32_30 Depth=1
	v_cmp_gt_i32_e64 s0, s11, v92
	s_waitcnt vmcnt(0)
	v_cndmask_b32_e64 v29, 0, v29, s0
	v_cmp_gt_i32_e64 s0, s11, v94
	v_cndmask_b32_e64 v30, 0, v30, s0
	v_cmp_gt_i32_e64 s0, s11, v93
	;; [unrolled: 2-line block ×3, first 2 shown]
	v_cndmask_b32_e64 v32, 0, v32, s0
	s_or_b32 exec_lo, exec_lo, s5
	global_load_dwordx4 v[33:36], v[33:34], off offset:1536
	s_and_saveexec_b32 s5, vcc_lo
	s_cbranch_execnz .LBB32_39
	s_branch .LBB32_40
.LBB32_54:                              ;   in Loop: Header=BB32_30 Depth=1
	v_cmp_gt_i32_e64 s0, s11, v92
	s_waitcnt vmcnt(0)
	v_cndmask_b32_e64 v37, 0, v37, s0
	v_cmp_gt_i32_e64 s0, s11, v94
	v_cndmask_b32_e64 v38, 0, v38, s0
	v_cmp_gt_i32_e64 s0, s11, v93
	;; [unrolled: 2-line block ×3, first 2 shown]
	v_cndmask_b32_e64 v40, 0, v40, s0
	s_or_b32 exec_lo, exec_lo, s5
	global_load_dwordx4 v[41:44], v[51:52], off offset:512
	s_and_saveexec_b32 s5, vcc_lo
	s_cbranch_execz .LBB32_42
.LBB32_55:                              ;   in Loop: Header=BB32_30 Depth=1
	v_cmp_gt_i32_e64 s0, s11, v92
	s_waitcnt vmcnt(0)
	v_cndmask_b32_e64 v41, 0, v41, s0
	v_cmp_gt_i32_e64 s0, s11, v94
	v_cndmask_b32_e64 v42, 0, v42, s0
	v_cmp_gt_i32_e64 s0, s11, v93
	v_cndmask_b32_e64 v43, 0, v43, s0
	v_cmp_gt_i32_e64 s0, s11, v89
	v_cndmask_b32_e64 v44, 0, v44, s0
	s_or_b32 exec_lo, exec_lo, s5
	global_load_dwordx4 v[45:48], v[51:52], off offset:1024
	s_and_saveexec_b32 s5, vcc_lo
	s_cbranch_execz .LBB32_43
.LBB32_56:                              ;   in Loop: Header=BB32_30 Depth=1
	v_cmp_gt_i32_e64 s0, s11, v92
	s_waitcnt vmcnt(0)
	v_cndmask_b32_e64 v45, 0, v45, s0
	v_cmp_gt_i32_e64 s0, s11, v94
	v_cndmask_b32_e64 v46, 0, v46, s0
	v_cmp_gt_i32_e64 s0, s11, v93
	;; [unrolled: 2-line block ×3, first 2 shown]
	v_cndmask_b32_e64 v48, 0, v48, s0
	s_or_b32 exec_lo, exec_lo, s5
	global_load_dwordx4 v[53:56], v[51:52], off offset:1536
	s_and_saveexec_b32 s5, vcc_lo
	s_cbranch_execnz .LBB32_44
	s_branch .LBB32_45
.LBB32_57:                              ;   in Loop: Header=BB32_30 Depth=1
	v_cmp_gt_i32_e64 s0, s11, v92
	s_waitcnt vmcnt(0)
	v_cndmask_b32_e64 v57, 0, v57, s0
	v_cmp_gt_i32_e64 s0, s11, v94
	v_cndmask_b32_e64 v58, 0, v58, s0
	v_cmp_gt_i32_e64 s0, s11, v93
	;; [unrolled: 2-line block ×3, first 2 shown]
	v_cndmask_b32_e64 v60, 0, v60, s0
	s_or_b32 exec_lo, exec_lo, s5
	global_load_dwordx4 v[61:64], v[49:50], off offset:512
	s_and_saveexec_b32 s5, vcc_lo
	s_cbranch_execz .LBB32_47
.LBB32_58:                              ;   in Loop: Header=BB32_30 Depth=1
	v_cmp_gt_i32_e64 s0, s11, v92
	s_waitcnt vmcnt(0)
	v_cndmask_b32_e64 v61, 0, v61, s0
	v_cmp_gt_i32_e64 s0, s11, v94
	v_cndmask_b32_e64 v62, 0, v62, s0
	v_cmp_gt_i32_e64 s0, s11, v93
	;; [unrolled: 2-line block ×3, first 2 shown]
	v_cndmask_b32_e64 v64, 0, v64, s0
	s_or_b32 exec_lo, exec_lo, s5
	global_load_dwordx4 v[49:52], v[49:50], off offset:1024
	s_and_saveexec_b32 s0, vcc_lo
	s_cbranch_execz .LBB32_29
.LBB32_59:                              ;   in Loop: Header=BB32_30 Depth=1
	v_cmp_gt_i32_e32 vcc_lo, s11, v92
	s_waitcnt vmcnt(0)
	v_cndmask_b32_e32 v49, 0, v49, vcc_lo
	v_cmp_gt_i32_e32 vcc_lo, s11, v94
	v_cndmask_b32_e32 v50, 0, v50, vcc_lo
	v_cmp_gt_i32_e32 vcc_lo, s11, v93
	;; [unrolled: 2-line block ×3, first 2 shown]
	v_cndmask_b32_e32 v52, 0, v52, vcc_lo
	s_branch .LBB32_29
.LBB32_60:
	s_or_b32 exec_lo, exec_lo, s3
.LBB32_61:
	s_or_b32 exec_lo, exec_lo, s1
	ds_bpermute_b32 v2, v69, v86
	ds_bpermute_b32 v1, v69, v84
	;; [unrolled: 1-line block ×15, first 2 shown]
	s_mov_b32 s0, exec_lo
	s_waitcnt lgkmcnt(0)
	s_barrier
	buffer_gl0_inv
	v_add_f32_e32 v2, v86, v2
	v_add_f32_e32 v1, v84, v1
	;; [unrolled: 1-line block ×7, first 2 shown]
	ds_bpermute_b32 v17, v70, v2
	v_add_f32_e32 v8, v79, v8
	v_add_f32_e32 v9, v78, v9
	;; [unrolled: 1-line block ×8, first 2 shown]
	ds_bpermute_b32 v16, v70, v1
	ds_bpermute_b32 v18, v70, v3
	;; [unrolled: 1-line block ×14, first 2 shown]
	s_waitcnt lgkmcnt(14)
	v_add_f32_e32 v2, v2, v17
	v_and_b32_e32 v17, 28, v68
	s_waitcnt lgkmcnt(13)
	v_add_f32_e32 v1, v1, v16
	s_waitcnt lgkmcnt(12)
	v_add_f32_e32 v3, v3, v18
	;; [unrolled: 2-line block ×13, first 2 shown]
	v_and_b32_e32 v19, 0x3c3, v0
	s_waitcnt lgkmcnt(0)
	v_add_f32_e32 v15, v15, v30
	v_lshrrev_b32_e32 v16, 2, v68
	v_add_nc_u32_e32 v17, 0x200, v17
	v_mul_u32_u24_e32 v18, 0x1e0, v67
	v_cmpx_eq_u32_e32 64, v19
	s_cbranch_execz .LBB32_63
; %bb.62:
	v_add_nc_u32_e32 v19, v17, v18
	v_add_nc_u32_e32 v20, 0xfffffc40, v19
	;; [unrolled: 1-line block ×6, first 2 shown]
	ds_write_b32 v20, v1
	ds_write_b32 v21, v2
	ds_write_b32 v22, v3
	ds_write_b32 v23, v4
	ds_write_b32 v24, v5
	v_add_nc_u32_e32 v20, 0xfffffce0, v19
	v_add_nc_u32_e32 v21, 0xfffffd00, v19
	;; [unrolled: 1-line block ×5, first 2 shown]
	ds_write_b32 v20, v6
	ds_write_b32 v21, v7
	;; [unrolled: 1-line block ×5, first 2 shown]
	v_add_nc_u32_e32 v20, 0xfffffd80, v19
	v_add_nc_u32_e32 v21, 0xfffffda0, v19
	;; [unrolled: 1-line block ×5, first 2 shown]
	ds_write_b32 v20, v11
	ds_write_b32 v21, v12
	;; [unrolled: 1-line block ×5, first 2 shown]
.LBB32_63:
	s_or_b32 exec_lo, exec_lo, s0
	v_lshlrev_b32_e32 v16, 2, v16
	s_mov_b32 s1, exec_lo
	v_cmp_eq_u32_e32 vcc_lo, 0, v71
	s_waitcnt lgkmcnt(0)
	s_barrier
	v_add3_u32 v16, 0x200, v18, v16
	buffer_gl0_inv
	v_cmpx_gt_u32_e32 64, v0
	s_cbranch_execz .LBB32_81
; %bb.64:
	s_and_saveexec_b32 s0, vcc_lo
	s_cbranch_execnz .LBB32_104
; %bb.65:
	s_or_b32 exec_lo, exec_lo, s0
	s_and_saveexec_b32 s0, vcc_lo
	s_cbranch_execnz .LBB32_105
.LBB32_66:
	s_or_b32 exec_lo, exec_lo, s0
	s_and_saveexec_b32 s0, vcc_lo
	s_cbranch_execnz .LBB32_106
.LBB32_67:
	s_or_b32 exec_lo, exec_lo, s0
	s_and_saveexec_b32 s0, vcc_lo
	s_cbranch_execnz .LBB32_107
.LBB32_68:
	s_or_b32 exec_lo, exec_lo, s0
	s_and_saveexec_b32 s0, vcc_lo
	s_cbranch_execnz .LBB32_108
.LBB32_69:
	s_or_b32 exec_lo, exec_lo, s0
	s_and_saveexec_b32 s0, vcc_lo
	s_cbranch_execnz .LBB32_109
.LBB32_70:
	s_or_b32 exec_lo, exec_lo, s0
	s_and_saveexec_b32 s0, vcc_lo
	s_cbranch_execnz .LBB32_110
.LBB32_71:
	s_or_b32 exec_lo, exec_lo, s0
	s_and_saveexec_b32 s0, vcc_lo
	s_cbranch_execnz .LBB32_111
.LBB32_72:
	s_or_b32 exec_lo, exec_lo, s0
	s_and_saveexec_b32 s0, vcc_lo
	s_cbranch_execnz .LBB32_112
.LBB32_73:
	s_or_b32 exec_lo, exec_lo, s0
	s_and_saveexec_b32 s0, vcc_lo
	s_cbranch_execnz .LBB32_113
.LBB32_74:
	s_or_b32 exec_lo, exec_lo, s0
	s_and_saveexec_b32 s0, vcc_lo
	s_cbranch_execnz .LBB32_114
.LBB32_75:
	s_or_b32 exec_lo, exec_lo, s0
	s_and_saveexec_b32 s0, vcc_lo
	s_cbranch_execnz .LBB32_115
.LBB32_76:
	s_or_b32 exec_lo, exec_lo, s0
	s_and_saveexec_b32 s0, vcc_lo
	s_cbranch_execnz .LBB32_116
.LBB32_77:
	s_or_b32 exec_lo, exec_lo, s0
	s_and_saveexec_b32 s0, vcc_lo
	s_cbranch_execnz .LBB32_117
.LBB32_78:
	s_or_b32 exec_lo, exec_lo, s0
	s_and_saveexec_b32 s0, vcc_lo
	s_cbranch_execz .LBB32_80
.LBB32_79:
	ds_read_b32 v18, v16 offset:448
	s_waitcnt lgkmcnt(0)
	v_add_f32_e32 v15, v15, v18
.LBB32_80:
	s_or_b32 exec_lo, exec_lo, s0
.LBB32_81:
	s_or_b32 exec_lo, exec_lo, s1
	v_and_b32_e32 v18, 0x3e3, v0
	s_mov_b32 s1, exec_lo
	s_barrier
	buffer_gl0_inv
	v_cmpx_eq_u32_e32 32, v18
	s_cbranch_execz .LBB32_83
; %bb.82:
	ds_write2_b32 v17, v1, v2 offset1:8
	ds_write2_b32 v17, v3, v4 offset0:16 offset1:24
	ds_write2_b32 v17, v5, v6 offset0:32 offset1:40
	;; [unrolled: 1-line block ×6, first 2 shown]
	ds_write_b32 v17, v15 offset:448
.LBB32_83:
	s_or_b32 exec_lo, exec_lo, s1
	s_mov_b32 s1, exec_lo
	s_waitcnt lgkmcnt(0)
	s_barrier
	buffer_gl0_inv
	v_cmpx_gt_u32_e32 32, v0
	s_cbranch_execz .LBB32_101
; %bb.84:
	s_and_saveexec_b32 s0, vcc_lo
	s_cbranch_execnz .LBB32_118
; %bb.85:
	s_or_b32 exec_lo, exec_lo, s0
	s_and_saveexec_b32 s0, vcc_lo
	s_cbranch_execnz .LBB32_119
.LBB32_86:
	s_or_b32 exec_lo, exec_lo, s0
	s_and_saveexec_b32 s0, vcc_lo
	s_cbranch_execnz .LBB32_120
.LBB32_87:
	s_or_b32 exec_lo, exec_lo, s0
	s_and_saveexec_b32 s0, vcc_lo
	s_cbranch_execnz .LBB32_121
.LBB32_88:
	s_or_b32 exec_lo, exec_lo, s0
	s_and_saveexec_b32 s0, vcc_lo
	s_cbranch_execnz .LBB32_122
.LBB32_89:
	s_or_b32 exec_lo, exec_lo, s0
	s_and_saveexec_b32 s0, vcc_lo
	s_cbranch_execnz .LBB32_123
.LBB32_90:
	s_or_b32 exec_lo, exec_lo, s0
	s_and_saveexec_b32 s0, vcc_lo
	s_cbranch_execnz .LBB32_124
.LBB32_91:
	s_or_b32 exec_lo, exec_lo, s0
	s_and_saveexec_b32 s0, vcc_lo
	s_cbranch_execnz .LBB32_125
.LBB32_92:
	s_or_b32 exec_lo, exec_lo, s0
	s_and_saveexec_b32 s0, vcc_lo
	s_cbranch_execnz .LBB32_126
.LBB32_93:
	s_or_b32 exec_lo, exec_lo, s0
	s_and_saveexec_b32 s0, vcc_lo
	s_cbranch_execnz .LBB32_127
.LBB32_94:
	s_or_b32 exec_lo, exec_lo, s0
	s_and_saveexec_b32 s0, vcc_lo
	s_cbranch_execnz .LBB32_128
.LBB32_95:
	s_or_b32 exec_lo, exec_lo, s0
	s_and_saveexec_b32 s0, vcc_lo
	s_cbranch_execnz .LBB32_129
.LBB32_96:
	s_or_b32 exec_lo, exec_lo, s0
	s_and_saveexec_b32 s0, vcc_lo
	s_cbranch_execnz .LBB32_130
.LBB32_97:
	s_or_b32 exec_lo, exec_lo, s0
	s_and_saveexec_b32 s0, vcc_lo
	s_cbranch_execnz .LBB32_131
.LBB32_98:
	s_or_b32 exec_lo, exec_lo, s0
	s_and_saveexec_b32 s0, vcc_lo
	s_cbranch_execz .LBB32_100
.LBB32_99:
	ds_read_b32 v16, v16 offset:448
	s_waitcnt lgkmcnt(0)
	v_add_f32_e32 v15, v15, v16
.LBB32_100:
	s_or_b32 exec_lo, exec_lo, s0
.LBB32_101:
	s_or_b32 exec_lo, exec_lo, s1
	s_barrier
	buffer_gl0_inv
	s_mov_b32 s0, exec_lo
	v_cmpx_eq_u32_e32 0, v18
	s_cbranch_execz .LBB32_103
; %bb.102:
	s_mul_i32 s0, s10, s7
	s_mul_i32 s2, s7, s6
	;; [unrolled: 1-line block ×3, first 2 shown]
	s_mulk_i32 s0, 0x78
	s_ashr_i32 s1, s0, 31
	s_lshl_b64 s[0:1], s[0:1], 2
	s_add_u32 s4, s16, s0
	s_addc_u32 s5, s17, s1
	s_ashr_i32 s3, s2, 31
	s_lshl_b64 s[0:1], s[2:3], 2
	s_mul_i32 s2, s8, 0x78
	s_add_u32 s4, s4, s0
	s_addc_u32 s5, s5, s1
	s_ashr_i32 s3, s2, 31
	s_lshl_b64 s[0:1], s[2:3], 2
	s_add_u32 s0, s4, s0
	s_addc_u32 s1, s5, s1
	global_store_dword v0, v1, s[0:1]
	global_store_dword v0, v2, s[0:1] offset:32
	global_store_dword v0, v3, s[0:1] offset:64
	;; [unrolled: 1-line block ×14, first 2 shown]
.LBB32_103:
	s_endpgm
.LBB32_104:
	ds_read_b32 v18, v16
	s_waitcnt lgkmcnt(0)
	v_add_f32_e32 v1, v1, v18
	s_or_b32 exec_lo, exec_lo, s0
	s_and_saveexec_b32 s0, vcc_lo
	s_cbranch_execz .LBB32_66
.LBB32_105:
	ds_read_b32 v18, v16 offset:32
	s_waitcnt lgkmcnt(0)
	v_add_f32_e32 v2, v2, v18
	s_or_b32 exec_lo, exec_lo, s0
	s_and_saveexec_b32 s0, vcc_lo
	s_cbranch_execz .LBB32_67
.LBB32_106:
	ds_read_b32 v18, v16 offset:64
	s_waitcnt lgkmcnt(0)
	v_add_f32_e32 v3, v3, v18
	s_or_b32 exec_lo, exec_lo, s0
	s_and_saveexec_b32 s0, vcc_lo
	s_cbranch_execz .LBB32_68
.LBB32_107:
	ds_read_b32 v18, v16 offset:96
	s_waitcnt lgkmcnt(0)
	v_add_f32_e32 v4, v4, v18
	s_or_b32 exec_lo, exec_lo, s0
	s_and_saveexec_b32 s0, vcc_lo
	s_cbranch_execz .LBB32_69
.LBB32_108:
	ds_read_b32 v18, v16 offset:128
	s_waitcnt lgkmcnt(0)
	v_add_f32_e32 v5, v5, v18
	s_or_b32 exec_lo, exec_lo, s0
	s_and_saveexec_b32 s0, vcc_lo
	s_cbranch_execz .LBB32_70
.LBB32_109:
	ds_read_b32 v18, v16 offset:160
	s_waitcnt lgkmcnt(0)
	v_add_f32_e32 v6, v6, v18
	s_or_b32 exec_lo, exec_lo, s0
	s_and_saveexec_b32 s0, vcc_lo
	s_cbranch_execz .LBB32_71
.LBB32_110:
	ds_read_b32 v18, v16 offset:192
	s_waitcnt lgkmcnt(0)
	v_add_f32_e32 v7, v7, v18
	s_or_b32 exec_lo, exec_lo, s0
	s_and_saveexec_b32 s0, vcc_lo
	s_cbranch_execz .LBB32_72
.LBB32_111:
	ds_read_b32 v18, v16 offset:224
	s_waitcnt lgkmcnt(0)
	v_add_f32_e32 v8, v8, v18
	s_or_b32 exec_lo, exec_lo, s0
	s_and_saveexec_b32 s0, vcc_lo
	s_cbranch_execz .LBB32_73
.LBB32_112:
	ds_read_b32 v18, v16 offset:256
	s_waitcnt lgkmcnt(0)
	v_add_f32_e32 v9, v9, v18
	s_or_b32 exec_lo, exec_lo, s0
	s_and_saveexec_b32 s0, vcc_lo
	s_cbranch_execz .LBB32_74
.LBB32_113:
	ds_read_b32 v18, v16 offset:288
	s_waitcnt lgkmcnt(0)
	v_add_f32_e32 v10, v10, v18
	s_or_b32 exec_lo, exec_lo, s0
	s_and_saveexec_b32 s0, vcc_lo
	s_cbranch_execz .LBB32_75
.LBB32_114:
	ds_read_b32 v18, v16 offset:320
	s_waitcnt lgkmcnt(0)
	v_add_f32_e32 v11, v11, v18
	s_or_b32 exec_lo, exec_lo, s0
	s_and_saveexec_b32 s0, vcc_lo
	s_cbranch_execz .LBB32_76
.LBB32_115:
	ds_read_b32 v18, v16 offset:352
	s_waitcnt lgkmcnt(0)
	v_add_f32_e32 v12, v12, v18
	s_or_b32 exec_lo, exec_lo, s0
	s_and_saveexec_b32 s0, vcc_lo
	s_cbranch_execz .LBB32_77
.LBB32_116:
	ds_read_b32 v18, v16 offset:384
	s_waitcnt lgkmcnt(0)
	v_add_f32_e32 v13, v13, v18
	s_or_b32 exec_lo, exec_lo, s0
	s_and_saveexec_b32 s0, vcc_lo
	s_cbranch_execz .LBB32_78
.LBB32_117:
	ds_read_b32 v18, v16 offset:416
	s_waitcnt lgkmcnt(0)
	v_add_f32_e32 v14, v14, v18
	s_or_b32 exec_lo, exec_lo, s0
	s_and_saveexec_b32 s0, vcc_lo
	s_cbranch_execnz .LBB32_79
	s_branch .LBB32_80
.LBB32_118:
	ds_read_b32 v17, v16
	s_waitcnt lgkmcnt(0)
	v_add_f32_e32 v1, v1, v17
	s_or_b32 exec_lo, exec_lo, s0
	s_and_saveexec_b32 s0, vcc_lo
	s_cbranch_execz .LBB32_86
.LBB32_119:
	ds_read_b32 v17, v16 offset:32
	s_waitcnt lgkmcnt(0)
	v_add_f32_e32 v2, v2, v17
	s_or_b32 exec_lo, exec_lo, s0
	s_and_saveexec_b32 s0, vcc_lo
	s_cbranch_execz .LBB32_87
.LBB32_120:
	ds_read_b32 v17, v16 offset:64
	s_waitcnt lgkmcnt(0)
	v_add_f32_e32 v3, v3, v17
	s_or_b32 exec_lo, exec_lo, s0
	s_and_saveexec_b32 s0, vcc_lo
	s_cbranch_execz .LBB32_88
.LBB32_121:
	ds_read_b32 v17, v16 offset:96
	s_waitcnt lgkmcnt(0)
	v_add_f32_e32 v4, v4, v17
	s_or_b32 exec_lo, exec_lo, s0
	s_and_saveexec_b32 s0, vcc_lo
	s_cbranch_execz .LBB32_89
.LBB32_122:
	ds_read_b32 v17, v16 offset:128
	s_waitcnt lgkmcnt(0)
	v_add_f32_e32 v5, v5, v17
	s_or_b32 exec_lo, exec_lo, s0
	s_and_saveexec_b32 s0, vcc_lo
	s_cbranch_execz .LBB32_90
.LBB32_123:
	ds_read_b32 v17, v16 offset:160
	s_waitcnt lgkmcnt(0)
	v_add_f32_e32 v6, v6, v17
	s_or_b32 exec_lo, exec_lo, s0
	s_and_saveexec_b32 s0, vcc_lo
	s_cbranch_execz .LBB32_91
.LBB32_124:
	ds_read_b32 v17, v16 offset:192
	s_waitcnt lgkmcnt(0)
	v_add_f32_e32 v7, v7, v17
	s_or_b32 exec_lo, exec_lo, s0
	s_and_saveexec_b32 s0, vcc_lo
	s_cbranch_execz .LBB32_92
.LBB32_125:
	ds_read_b32 v17, v16 offset:224
	s_waitcnt lgkmcnt(0)
	v_add_f32_e32 v8, v8, v17
	s_or_b32 exec_lo, exec_lo, s0
	s_and_saveexec_b32 s0, vcc_lo
	s_cbranch_execz .LBB32_93
.LBB32_126:
	ds_read_b32 v17, v16 offset:256
	s_waitcnt lgkmcnt(0)
	v_add_f32_e32 v9, v9, v17
	s_or_b32 exec_lo, exec_lo, s0
	s_and_saveexec_b32 s0, vcc_lo
	s_cbranch_execz .LBB32_94
.LBB32_127:
	ds_read_b32 v17, v16 offset:288
	s_waitcnt lgkmcnt(0)
	v_add_f32_e32 v10, v10, v17
	s_or_b32 exec_lo, exec_lo, s0
	s_and_saveexec_b32 s0, vcc_lo
	s_cbranch_execz .LBB32_95
.LBB32_128:
	ds_read_b32 v17, v16 offset:320
	s_waitcnt lgkmcnt(0)
	v_add_f32_e32 v11, v11, v17
	s_or_b32 exec_lo, exec_lo, s0
	s_and_saveexec_b32 s0, vcc_lo
	s_cbranch_execz .LBB32_96
.LBB32_129:
	ds_read_b32 v17, v16 offset:352
	s_waitcnt lgkmcnt(0)
	v_add_f32_e32 v12, v12, v17
	s_or_b32 exec_lo, exec_lo, s0
	s_and_saveexec_b32 s0, vcc_lo
	s_cbranch_execz .LBB32_97
.LBB32_130:
	ds_read_b32 v17, v16 offset:384
	s_waitcnt lgkmcnt(0)
	v_add_f32_e32 v13, v13, v17
	s_or_b32 exec_lo, exec_lo, s0
	s_and_saveexec_b32 s0, vcc_lo
	s_cbranch_execz .LBB32_98
.LBB32_131:
	ds_read_b32 v17, v16 offset:416
	s_waitcnt lgkmcnt(0)
	v_add_f32_e32 v14, v14, v17
	s_or_b32 exec_lo, exec_lo, s0
	s_and_saveexec_b32 s0, vcc_lo
	s_cbranch_execnz .LBB32_99
	s_branch .LBB32_100
	.section	.rodata,"a",@progbits
	.p2align	6, 0x0
	.amdhsa_kernel _ZN4vllm25paged_attention_v1_kernelIffLi120ELi16ELi128ELNS_18Fp8KVCacheDataTypeE0ELb0EEEvPT_PKS2_PKT0_S8_ifPKiSA_iPKfiiiSC_SC_iiiii
		.amdhsa_group_segment_fixed_size 512
		.amdhsa_private_segment_fixed_size 0
		.amdhsa_kernarg_size 384
		.amdhsa_user_sgpr_count 6
		.amdhsa_user_sgpr_private_segment_buffer 1
		.amdhsa_user_sgpr_dispatch_ptr 0
		.amdhsa_user_sgpr_queue_ptr 0
		.amdhsa_user_sgpr_kernarg_segment_ptr 1
		.amdhsa_user_sgpr_dispatch_id 0
		.amdhsa_user_sgpr_flat_scratch_init 0
		.amdhsa_user_sgpr_private_segment_size 0
		.amdhsa_wavefront_size32 1
		.amdhsa_uses_dynamic_stack 0
		.amdhsa_system_sgpr_private_segment_wavefront_offset 0
		.amdhsa_system_sgpr_workgroup_id_x 1
		.amdhsa_system_sgpr_workgroup_id_y 1
		.amdhsa_system_sgpr_workgroup_id_z 1
		.amdhsa_system_sgpr_workgroup_info 0
		.amdhsa_system_vgpr_workitem_id 0
		.amdhsa_next_free_vgpr 102
		.amdhsa_next_free_sgpr 27
		.amdhsa_reserve_vcc 1
		.amdhsa_reserve_flat_scratch 0
		.amdhsa_float_round_mode_32 0
		.amdhsa_float_round_mode_16_64 0
		.amdhsa_float_denorm_mode_32 3
		.amdhsa_float_denorm_mode_16_64 3
		.amdhsa_dx10_clamp 1
		.amdhsa_ieee_mode 1
		.amdhsa_fp16_overflow 0
		.amdhsa_workgroup_processor_mode 1
		.amdhsa_memory_ordered 1
		.amdhsa_forward_progress 1
		.amdhsa_shared_vgpr_count 0
		.amdhsa_exception_fp_ieee_invalid_op 0
		.amdhsa_exception_fp_denorm_src 0
		.amdhsa_exception_fp_ieee_div_zero 0
		.amdhsa_exception_fp_ieee_overflow 0
		.amdhsa_exception_fp_ieee_underflow 0
		.amdhsa_exception_fp_ieee_inexact 0
		.amdhsa_exception_int_div_zero 0
	.end_amdhsa_kernel
	.section	.text._ZN4vllm25paged_attention_v1_kernelIffLi120ELi16ELi128ELNS_18Fp8KVCacheDataTypeE0ELb0EEEvPT_PKS2_PKT0_S8_ifPKiSA_iPKfiiiSC_SC_iiiii,"axG",@progbits,_ZN4vllm25paged_attention_v1_kernelIffLi120ELi16ELi128ELNS_18Fp8KVCacheDataTypeE0ELb0EEEvPT_PKS2_PKT0_S8_ifPKiSA_iPKfiiiSC_SC_iiiii,comdat
.Lfunc_end32:
	.size	_ZN4vllm25paged_attention_v1_kernelIffLi120ELi16ELi128ELNS_18Fp8KVCacheDataTypeE0ELb0EEEvPT_PKS2_PKT0_S8_ifPKiSA_iPKfiiiSC_SC_iiiii, .Lfunc_end32-_ZN4vllm25paged_attention_v1_kernelIffLi120ELi16ELi128ELNS_18Fp8KVCacheDataTypeE0ELb0EEEvPT_PKS2_PKT0_S8_ifPKiSA_iPKfiiiSC_SC_iiiii
                                        ; -- End function
	.set _ZN4vllm25paged_attention_v1_kernelIffLi120ELi16ELi128ELNS_18Fp8KVCacheDataTypeE0ELb0EEEvPT_PKS2_PKT0_S8_ifPKiSA_iPKfiiiSC_SC_iiiii.num_vgpr, 102
	.set _ZN4vllm25paged_attention_v1_kernelIffLi120ELi16ELi128ELNS_18Fp8KVCacheDataTypeE0ELb0EEEvPT_PKS2_PKT0_S8_ifPKiSA_iPKfiiiSC_SC_iiiii.num_agpr, 0
	.set _ZN4vllm25paged_attention_v1_kernelIffLi120ELi16ELi128ELNS_18Fp8KVCacheDataTypeE0ELb0EEEvPT_PKS2_PKT0_S8_ifPKiSA_iPKfiiiSC_SC_iiiii.numbered_sgpr, 27
	.set _ZN4vllm25paged_attention_v1_kernelIffLi120ELi16ELi128ELNS_18Fp8KVCacheDataTypeE0ELb0EEEvPT_PKS2_PKT0_S8_ifPKiSA_iPKfiiiSC_SC_iiiii.num_named_barrier, 0
	.set _ZN4vllm25paged_attention_v1_kernelIffLi120ELi16ELi128ELNS_18Fp8KVCacheDataTypeE0ELb0EEEvPT_PKS2_PKT0_S8_ifPKiSA_iPKfiiiSC_SC_iiiii.private_seg_size, 0
	.set _ZN4vllm25paged_attention_v1_kernelIffLi120ELi16ELi128ELNS_18Fp8KVCacheDataTypeE0ELb0EEEvPT_PKS2_PKT0_S8_ifPKiSA_iPKfiiiSC_SC_iiiii.uses_vcc, 1
	.set _ZN4vllm25paged_attention_v1_kernelIffLi120ELi16ELi128ELNS_18Fp8KVCacheDataTypeE0ELb0EEEvPT_PKS2_PKT0_S8_ifPKiSA_iPKfiiiSC_SC_iiiii.uses_flat_scratch, 0
	.set _ZN4vllm25paged_attention_v1_kernelIffLi120ELi16ELi128ELNS_18Fp8KVCacheDataTypeE0ELb0EEEvPT_PKS2_PKT0_S8_ifPKiSA_iPKfiiiSC_SC_iiiii.has_dyn_sized_stack, 0
	.set _ZN4vllm25paged_attention_v1_kernelIffLi120ELi16ELi128ELNS_18Fp8KVCacheDataTypeE0ELb0EEEvPT_PKS2_PKT0_S8_ifPKiSA_iPKfiiiSC_SC_iiiii.has_recursion, 0
	.set _ZN4vllm25paged_attention_v1_kernelIffLi120ELi16ELi128ELNS_18Fp8KVCacheDataTypeE0ELb0EEEvPT_PKS2_PKT0_S8_ifPKiSA_iPKfiiiSC_SC_iiiii.has_indirect_call, 0
	.section	.AMDGPU.csdata,"",@progbits
; Kernel info:
; codeLenInByte = 7288
; TotalNumSgprs: 29
; NumVgprs: 102
; ScratchSize: 0
; MemoryBound: 0
; FloatMode: 240
; IeeeMode: 1
; LDSByteSize: 512 bytes/workgroup (compile time only)
; SGPRBlocks: 0
; VGPRBlocks: 12
; NumSGPRsForWavesPerEU: 29
; NumVGPRsForWavesPerEU: 102
; Occupancy: 9
; WaveLimiterHint : 1
; COMPUTE_PGM_RSRC2:SCRATCH_EN: 0
; COMPUTE_PGM_RSRC2:USER_SGPR: 6
; COMPUTE_PGM_RSRC2:TRAP_HANDLER: 0
; COMPUTE_PGM_RSRC2:TGID_X_EN: 1
; COMPUTE_PGM_RSRC2:TGID_Y_EN: 1
; COMPUTE_PGM_RSRC2:TGID_Z_EN: 1
; COMPUTE_PGM_RSRC2:TIDIG_COMP_CNT: 0
	.section	.text._ZN4vllm25paged_attention_v1_kernelIffLi128ELi16ELi128ELNS_18Fp8KVCacheDataTypeE0ELb0EEEvPT_PKS2_PKT0_S8_ifPKiSA_iPKfiiiSC_SC_iiiii,"axG",@progbits,_ZN4vllm25paged_attention_v1_kernelIffLi128ELi16ELi128ELNS_18Fp8KVCacheDataTypeE0ELb0EEEvPT_PKS2_PKT0_S8_ifPKiSA_iPKfiiiSC_SC_iiiii,comdat
	.protected	_ZN4vllm25paged_attention_v1_kernelIffLi128ELi16ELi128ELNS_18Fp8KVCacheDataTypeE0ELb0EEEvPT_PKS2_PKT0_S8_ifPKiSA_iPKfiiiSC_SC_iiiii ; -- Begin function _ZN4vllm25paged_attention_v1_kernelIffLi128ELi16ELi128ELNS_18Fp8KVCacheDataTypeE0ELb0EEEvPT_PKS2_PKT0_S8_ifPKiSA_iPKfiiiSC_SC_iiiii
	.globl	_ZN4vllm25paged_attention_v1_kernelIffLi128ELi16ELi128ELNS_18Fp8KVCacheDataTypeE0ELb0EEEvPT_PKS2_PKT0_S8_ifPKiSA_iPKfiiiSC_SC_iiiii
	.p2align	8
	.type	_ZN4vllm25paged_attention_v1_kernelIffLi128ELi16ELi128ELNS_18Fp8KVCacheDataTypeE0ELb0EEEvPT_PKS2_PKT0_S8_ifPKiSA_iPKfiiiSC_SC_iiiii,@function
_ZN4vllm25paged_attention_v1_kernelIffLi128ELi16ELi128ELNS_18Fp8KVCacheDataTypeE0ELb0EEEvPT_PKS2_PKT0_S8_ifPKiSA_iPKfiiiSC_SC_iiiii: ; @_ZN4vllm25paged_attention_v1_kernelIffLi128ELi16ELi128ELNS_18Fp8KVCacheDataTypeE0ELb0EEEvPT_PKS2_PKT0_S8_ifPKiSA_iPKfiiiSC_SC_iiiii
; %bb.0:
	s_clause 0x2
	s_load_dword s9, s[4:5], 0x80
	s_load_dwordx2 s[0:1], s[4:5], 0x30
	s_load_dwordx2 s[24:25], s[4:5], 0x20
	s_mov_b32 s10, s7
	s_ashr_i32 s11, s7, 31
	s_lshl_b64 s[2:3], s[10:11], 2
	s_waitcnt lgkmcnt(0)
	s_add_u32 s0, s0, s2
	s_addc_u32 s1, s1, s3
	s_abs_i32 s2, s24
	s_abs_i32 s11, s9
	v_cvt_f32_u32_e32 v1, s2
	s_sub_i32 s7, 0, s2
	v_rcp_iflag_f32_e32 v1, v1
	v_mul_f32_e32 v1, 0x4f7ffffe, v1
	v_cvt_u32_f32_e32 v1, v1
	v_readfirstlane_b32 s3, v1
	s_mul_i32 s7, s7, s3
	s_mul_hi_u32 s7, s3, s7
	s_add_i32 s3, s3, s7
	s_xor_b32 s7, s9, s24
	s_mul_hi_u32 s3, s11, s3
	s_ashr_i32 s7, s7, 31
	s_mul_i32 s12, s3, s2
	s_mov_b32 s24, 0
	s_sub_i32 s11, s11, s12
	s_add_i32 s12, s3, 1
	s_sub_i32 s13, s11, s2
	s_cmp_ge_u32 s11, s2
	s_cselect_b32 s3, s12, s3
	s_cselect_b32 s11, s13, s11
	s_add_i32 s12, s3, 1
	s_cmp_ge_u32 s11, s2
	s_cselect_b32 s2, s12, s3
	s_abs_i32 s17, s6
	s_xor_b32 s2, s2, s7
	s_sub_i32 s18, s2, s7
	s_load_dwordx2 s[2:3], s[4:5], 0x40
	s_abs_i32 s16, s18
	v_cvt_f32_u32_e32 v1, s16
	s_sub_i32 s11, 0, s16
	v_rcp_iflag_f32_e32 v1, v1
	v_mul_f32_e32 v1, 0x4f7ffffe, v1
	v_cvt_u32_f32_e32 v1, v1
	v_readfirstlane_b32 s7, v1
	s_mul_i32 s11, s11, s7
	s_mul_hi_u32 s11, s7, s11
	s_add_i32 s7, s7, s11
	s_waitcnt lgkmcnt(0)
	s_cmp_eq_u64 s[2:3], 0
	s_mul_hi_u32 s20, s17, s7
	s_cbranch_scc1 .LBB33_2
; %bb.1:
	s_ashr_i32 s7, s6, 31
	s_lshl_b64 s[12:13], s[6:7], 2
	s_add_u32 s2, s2, s12
	s_addc_u32 s3, s3, s13
	s_load_dword s24, s[2:3], 0x0
.LBB33_2:
	s_load_dword s11, s[0:1], 0x0
	s_load_dwordx4 s[12:15], s[4:5], 0x48
	v_and_b32_e32 v41, 1, v0
	v_cmp_gt_u32_e64 s0, 64, v0
	v_lshlrev_b32_e32 v1, 3, v0
	v_lshlrev_b32_e32 v67, 2, v0
	s_ashr_i32 s1, s6, 31
	s_ashr_i32 s2, s18, 31
	s_lshl_b32 s6, s6, 7
	s_and_saveexec_b32 s3, s0
	s_cbranch_execz .LBB33_4
; %bb.3:
	s_load_dwordx2 s[18:19], s[4:5], 0x8
	s_waitcnt lgkmcnt(0)
	s_mul_i32 s22, s12, s10
	v_and_b32_e32 v4, 0xff8, v67
	s_ashr_i32 s23, s22, 31
	s_lshl_b64 s[22:23], s[22:23], 2
	v_lshl_add_u32 v4, v41, 8, v4
	s_add_u32 s12, s18, s22
	s_addc_u32 s15, s19, s23
	s_ashr_i32 s7, s6, 31
	s_lshl_b64 s[18:19], s[6:7], 2
	s_add_u32 s18, s12, s18
	s_addc_u32 s19, s15, s19
	global_load_dwordx2 v[2:3], v1, s[18:19]
	s_waitcnt vmcnt(0)
	ds_write_b64 v4, v[2:3]
.LBB33_4:
	s_or_b32 exec_lo, exec_lo, s3
	s_waitcnt lgkmcnt(0)
	s_add_i32 s3, s11, 15
	s_clause 0x1
	s_load_dwordx2 s[18:19], s[4:5], 0x28
	s_load_dword s15, s[4:5], 0x38
	s_ashr_i32 s7, s3, 31
	s_xor_b32 s1, s1, s2
	s_lshr_b32 s7, s7, 28
	s_mul_i32 s2, s20, s16
	s_add_i32 s3, s3, s7
	s_sub_i32 s2, s17, s2
	s_ashr_i32 s12, s3, 4
	s_add_i32 s3, s20, 1
	s_sub_i32 s7, s2, s16
	s_cmp_ge_u32 s2, s16
	v_lshrrev_b32_e32 v71, 5, v0
	s_cselect_b32 s3, s3, s20
	s_cselect_b32 s2, s7, s2
	s_add_i32 s7, s3, 1
	s_cmp_ge_u32 s2, s16
	v_mbcnt_lo_u32_b32 v69, -1, 0
	s_cselect_b32 s2, s7, s3
	s_mov_b32 s3, exec_lo
	s_xor_b32 s2, s2, s1
	s_waitcnt lgkmcnt(0)
	s_mul_i32 s20, s15, s10
	s_sub_i32 s2, s2, s1
	v_cmp_gt_i32_e64 s1, s12, v71
	s_ashr_i32 s21, s20, 31
	s_barrier
	buffer_gl0_inv
                                        ; implicit-def: $vgpr70
                                        ; implicit-def: $vgpr74
	v_cmpx_le_i32_e64 s12, v71
	s_xor_b32 s3, exec_lo, s3
; %bb.5:
	v_mov_b32_e32 v70, 0
	v_mbcnt_lo_u32_b32 v69, -1, 0
	v_mov_b32_e32 v74, 32
                                        ; implicit-def: $vgpr1
                                        ; implicit-def: $vgpr41
; %bb.6:
	s_or_saveexec_b32 s26, s3
	s_clause 0x2
	s_load_dwordx2 s[16:17], s[4:5], 0x0
	s_load_dwordx2 s[22:23], s[4:5], 0x18
	s_load_dword s7, s[4:5], 0x88
	v_mov_b32_e32 v76, 0xff7fffff
	v_lshrrev_b32_e32 v68, 3, v0
	s_mul_i32 s14, s2, s14
	s_xor_b32 exec_lo, exec_lo, s26
	s_cbranch_execz .LBB33_12
; %bb.7:
	s_load_dwordx2 s[2:3], s[4:5], 0x10
	v_bfe_u32 v65, v0, 1, 4
	v_xor_b32_e32 v26, 1, v69
	s_ashr_i32 s15, s14, 31
	v_and_b32_e32 v25, 8, v1
	s_lshl_b64 s[4:5], s[14:15], 2
	v_lshlrev_b32_e32 v27, 4, v65
	v_cmp_gt_i32_e32 vcc_lo, 32, v26
	v_lshlrev_b32_e32 v61, 8, v41
	ds_read_b128 v[1:4], v61
	ds_read_b128 v[5:8], v61 offset:16
	ds_read_b128 v[9:12], v61 offset:32
	ds_read_b128 v[13:16], v61 offset:48
	ds_read_b128 v[17:20], v61 offset:64
	ds_read_b128 v[21:24], v61 offset:80
	v_cndmask_b32_e32 v42, v69, v26, vcc_lo
	v_lshlrev_b32_e32 v66, 2, v65
	v_lshl_or_b32 v77, v71, 4, v65
	v_and_b32_e32 v65, 0x7c, v68
	v_mov_b32_e32 v70, 0
	v_lshlrev_b32_e32 v75, 2, v42
	s_waitcnt lgkmcnt(0)
	s_add_u32 s2, s2, s4
	s_addc_u32 s3, s3, s5
	v_add_co_u32 v27, s2, s2, v27
	v_add_co_ci_u32_e64 v28, null, s3, 0, s2
	s_lshl_b64 s[28:29], s[20:21], 2
	v_add_co_u32 v72, vcc_lo, v27, v25
	v_add_co_ci_u32_e64 v73, null, 0, v28, vcc_lo
	ds_read_b128 v[25:28], v61 offset:96
	ds_read_b128 v[29:32], v61 offset:112
	;; [unrolled: 1-line block ×4, first 2 shown]
	v_cmp_eq_u32_e32 vcc_lo, 0, v41
	ds_read_b128 v[41:44], v61 offset:160
	ds_read_b128 v[45:48], v61 offset:176
	;; [unrolled: 1-line block ×6, first 2 shown]
	v_lshl_or_b32 v66, v71, 6, v66
	s_sub_i32 s5, 1, s11
	s_add_u32 s3, s18, s28
	s_addc_u32 s4, s19, s29
	v_add_co_u32 v65, s3, s3, v65
	v_mov_b32_e32 v74, 32
	v_cmp_neq_f32_e64 s2, s24, 0
	v_add_nc_u32_e32 v78, 0x220, v66
	v_add_co_ci_u32_e64 v66, null, s4, 0, s3
	v_mov_b32_e32 v76, 0xff7fffff
	v_mov_b32_e32 v79, v71
	s_mov_b32 s27, s13
	s_mov_b32 s15, 0
	s_branch .LBB33_9
.LBB33_8:                               ;   in Loop: Header=BB33_9 Depth=1
	s_or_b32 exec_lo, exec_lo, s4
	v_add_nc_u32_e32 v79, 4, v79
	v_add_co_u32 v65, s4, v65, 16
	v_add_nc_u32_e32 v77, 64, v77
	v_add_nc_u32_e32 v78, 0x100, v78
	v_cmp_le_i32_e64 s3, s12, v79
	v_add_co_ci_u32_e64 v66, null, 0, v66, s4
	s_or_b32 s15, s3, s15
	s_andn2_b32 exec_lo, exec_lo, s15
	s_cbranch_execz .LBB33_11
.LBB33_9:                               ; =>This Inner Loop Header: Depth=1
	global_load_dword v80, v[65:66], off
	s_waitcnt vmcnt(0) lgkmcnt(0)
	v_mad_i64_i32 v[80:81], null, v80, s27, 0
	v_lshlrev_b64 v[80:81], 2, v[80:81]
	v_add_co_u32 v80, s3, v72, v80
	v_add_co_ci_u32_e64 v81, null, v73, v81, s3
	s_clause 0x7
	global_load_dwordx2 v[82:83], v[80:81], off offset:256
	global_load_dwordx2 v[84:85], v[80:81], off offset:512
	;; [unrolled: 1-line block ×3, first 2 shown]
	global_load_dwordx2 v[88:89], v[80:81], off
	global_load_dwordx2 v[90:91], v[80:81], off offset:1024
	global_load_dwordx2 v[92:93], v[80:81], off offset:1280
	;; [unrolled: 1-line block ×4, first 2 shown]
	v_add_co_u32 v96, s3, v80, 0x1000
	v_add_co_ci_u32_e64 v97, null, 0, v81, s3
	v_add_co_u32 v100, s3, 0x800, v80
	v_add_co_ci_u32_e64 v101, null, 0, v81, s3
	s_clause 0x7
	global_load_dwordx2 v[102:103], v[96:97], off offset:-2048
	global_load_dwordx2 v[104:105], v[100:101], off offset:256
	global_load_dwordx2 v[106:107], v[100:101], off offset:512
	;; [unrolled: 1-line block ×7, first 2 shown]
	v_add_co_u32 v114, s3, 0x1000, v80
	v_add_co_ci_u32_e64 v115, null, 0, v81, s3
	v_add_co_u32 v80, s3, 0x1800, v80
	v_add_co_ci_u32_e64 v81, null, 0, v81, s3
	s_waitcnt vmcnt(15)
	v_mul_f32_e32 v118, v3, v82
	v_mul_f32_e32 v119, v4, v83
	global_load_dwordx2 v[82:83], v[96:97], off
	s_waitcnt vmcnt(13)
	v_fmac_f32_e32 v118, v1, v88
	v_fmac_f32_e32 v119, v2, v89
	global_load_dwordx2 v[88:89], v[114:115], off offset:256
	v_fmac_f32_e32 v118, v5, v84
	v_fmac_f32_e32 v119, v6, v85
	global_load_dwordx2 v[84:85], v[114:115], off offset:512
	;; [unrolled: 3-line block ×3, first 2 shown]
	s_waitcnt vmcnt(15)
	v_fmac_f32_e32 v118, v9, v90
	v_fmac_f32_e32 v119, v10, v91
	global_load_dwordx2 v[90:91], v[114:115], off offset:1024
	s_waitcnt vmcnt(15)
	v_fmac_f32_e32 v118, v11, v92
	v_fmac_f32_e32 v119, v12, v93
	global_load_dwordx2 v[92:93], v[114:115], off offset:1280
	;; [unrolled: 4-line block ×3, first 2 shown]
	s_waitcnt vmcnt(15)
	v_fmac_f32_e32 v118, v15, v98
	v_fmac_f32_e32 v119, v16, v99
	s_clause 0x1
	global_load_dwordx2 v[96:97], v[114:115], off offset:1792
	global_load_dwordx2 v[98:99], v[80:81], off offset:1792
	s_waitcnt vmcnt(16)
	v_fmac_f32_e32 v118, v17, v102
	v_fmac_f32_e32 v119, v18, v103
	global_load_dwordx2 v[102:103], v[80:81], off
	s_waitcnt vmcnt(16)
	v_fmac_f32_e32 v118, v19, v104
	v_fmac_f32_e32 v119, v20, v105
	global_load_dwordx2 v[104:105], v[80:81], off offset:256
	s_waitcnt vmcnt(16)
	v_fmac_f32_e32 v118, v21, v106
	v_fmac_f32_e32 v119, v22, v107
	global_load_dwordx2 v[106:107], v[80:81], off offset:512
	;; [unrolled: 4-line block ×3, first 2 shown]
	s_waitcnt vmcnt(16) lgkmcnt(9)
	v_fmac_f32_e32 v118, v25, v110
	v_fmac_f32_e32 v119, v26, v111
	global_load_dwordx2 v[110:111], v[80:81], off offset:1024
	s_waitcnt vmcnt(16)
	v_fmac_f32_e32 v118, v27, v112
	v_fmac_f32_e32 v119, v28, v113
	s_clause 0x1
	global_load_dwordx2 v[112:113], v[80:81], off offset:1280
	global_load_dwordx2 v[80:81], v[80:81], off offset:1536
	s_waitcnt vmcnt(17) lgkmcnt(8)
	v_fmac_f32_e32 v118, v29, v116
	v_fmac_f32_e32 v119, v30, v117
	s_waitcnt vmcnt(16)
	v_fmac_f32_e32 v118, v31, v100
	v_fmac_f32_e32 v119, v32, v101
	s_waitcnt vmcnt(15) lgkmcnt(7)
	v_fmac_f32_e32 v118, v33, v82
	v_fmac_f32_e32 v119, v34, v83
	s_waitcnt vmcnt(14)
	v_fmac_f32_e32 v118, v35, v88
	v_fmac_f32_e32 v119, v36, v89
	;; [unrolled: 6-line block ×8, first 2 shown]
	s_waitcnt vmcnt(0) lgkmcnt(0)
	v_fmac_f32_e32 v118, v61, v80
	v_fmac_f32_e32 v119, v62, v81
	;; [unrolled: 1-line block ×4, first 2 shown]
	v_add_f32_e32 v80, v118, v119
	ds_bpermute_b32 v81, v75, v80
	s_and_saveexec_b32 s4, vcc_lo
	s_cbranch_execz .LBB33_8
; %bb.10:                               ;   in Loop: Header=BB33_9 Depth=1
	v_add_nc_u32_e32 v82, s5, v77
	s_waitcnt lgkmcnt(0)
	v_add_f32_e32 v80, v80, v81
	v_cmp_gt_i32_e64 s3, s11, v77
	v_cvt_f32_i32_e32 v82, v82
	v_mul_f32_e32 v82, s24, v82
	v_cndmask_b32_e64 v81, 0, v82, s2
	v_max_f32_e32 v82, v76, v76
	v_fmac_f32_e32 v81, s25, v80
	v_max_f32_e32 v80, v82, v81
	v_cndmask_b32_e64 v81, 0, v81, s3
	v_cndmask_b32_e64 v76, v76, v80, s3
	ds_write_b32 v78, v81
	s_branch .LBB33_8
.LBB33_11:
	s_or_b32 exec_lo, exec_lo, s15
.LBB33_12:
	s_or_b32 exec_lo, exec_lo, s26
	v_xor_b32_e32 v1, 16, v69
	v_xor_b32_e32 v3, 8, v69
	v_max_f32_e32 v4, v76, v76
	v_xor_b32_e32 v5, 4, v69
	v_and_b32_e32 v72, 31, v0
	v_cmp_lt_i32_e32 vcc_lo, v1, v74
	v_cndmask_b32_e32 v1, v69, v1, vcc_lo
	v_cmp_lt_i32_e32 vcc_lo, v3, v74
	v_lshlrev_b32_e32 v1, 2, v1
	v_cndmask_b32_e32 v3, v69, v3, vcc_lo
	v_cmp_lt_i32_e32 vcc_lo, v5, v74
	ds_bpermute_b32 v2, v1, v76
	v_lshlrev_b32_e32 v3, 2, v3
	v_cndmask_b32_e32 v5, v69, v5, vcc_lo
	s_waitcnt lgkmcnt(0)
	v_max_f32_e32 v2, v2, v2
	v_max_f32_e32 v2, v4, v2
	ds_bpermute_b32 v4, v3, v2
	s_waitcnt lgkmcnt(0)
	v_max_f32_e32 v6, v4, v4
	v_lshlrev_b32_e32 v4, 2, v5
	v_max_f32_e32 v2, v2, v6
	v_xor_b32_e32 v6, 2, v69
	ds_bpermute_b32 v5, v4, v2
	v_cmp_lt_i32_e32 vcc_lo, v6, v74
	v_cndmask_b32_e32 v6, v69, v6, vcc_lo
	v_cmp_eq_u32_e32 vcc_lo, 0, v72
	v_lshlrev_b32_e32 v73, 2, v6
	s_waitcnt lgkmcnt(0)
	v_max_f32_e32 v5, v5, v5
	v_max_f32_e32 v2, v2, v5
	v_lshlrev_b32_e32 v5, 2, v71
	ds_bpermute_b32 v6, v73, v2
	s_and_saveexec_b32 s2, vcc_lo
	s_cbranch_execz .LBB33_14
; %bb.13:
	s_waitcnt lgkmcnt(0)
	v_max_f32_e32 v6, v6, v6
	v_max_f32_e32 v2, v2, v2
	;; [unrolled: 1-line block ×3, first 2 shown]
	ds_write_b32 v5, v2 offset:512
.LBB33_14:
	s_or_b32 exec_lo, exec_lo, s2
	v_cmp_gt_u32_e64 s2, 4, v72
	v_mov_b32_e32 v2, 0xff7fffff
	s_waitcnt lgkmcnt(0)
	v_lshlrev_b32_e32 v6, 2, v72
	s_barrier
	buffer_gl0_inv
	s_and_saveexec_b32 s3, s2
; %bb.15:
	ds_read_b32 v2, v6 offset:512
; %bb.16:
	s_or_b32 exec_lo, exec_lo, s3
	s_waitcnt lgkmcnt(0)
	ds_bpermute_b32 v7, v73, v2
	v_xor_b32_e32 v8, 1, v69
	v_max_f32_e32 v2, v2, v2
	v_cmp_lt_i32_e64 s3, v8, v74
	v_cndmask_b32_e64 v8, v69, v8, s3
	s_lshl_b32 s3, s12, 4
	s_min_i32 s5, s3, s11
	v_lshlrev_b32_e32 v74, 2, v8
	v_cmp_gt_i32_e64 s3, s5, v0
	s_waitcnt lgkmcnt(0)
	v_max_f32_e32 v7, v7, v7
	v_max_f32_e32 v2, v2, v7
	ds_bpermute_b32 v7, v74, v2
	s_waitcnt lgkmcnt(0)
	v_max_f32_e32 v7, v7, v7
	v_max_f32_e32 v2, v2, v7
	v_lshlrev_b32_e32 v7, 2, v70
	ds_bpermute_b32 v8, v7, v2
	v_mov_b32_e32 v7, 0
	v_lshl_add_u32 v2, v0, 2, 0x220
	s_and_saveexec_b32 s15, s3
	s_cbranch_execz .LBB33_20
; %bb.17:
	v_lshl_add_u32 v9, v0, 2, 0x220
	v_mov_b32_e32 v7, 0
	v_mov_b32_e32 v10, v0
	s_mov_b32 s24, 0
	.p2align	6
.LBB33_18:                              ; =>This Inner Loop Header: Depth=1
	ds_read_b32 v11, v9
	v_add_nc_u32_e32 v10, 0x80, v10
	v_cmp_le_i32_e64 s4, s5, v10
	s_or_b32 s24, s4, s24
	s_waitcnt lgkmcnt(0)
	v_sub_f32_e32 v11, v11, v8
	v_mul_f32_e32 v11, 0x3fb8aa3b, v11
	v_exp_f32_e32 v11, v11
	ds_write_b32 v9, v11
	v_add_f32_e32 v7, v7, v11
	v_add_nc_u32_e32 v9, 0x200, v9
	s_andn2_b32 exec_lo, exec_lo, s24
	s_cbranch_execnz .LBB33_18
; %bb.19:
	s_or_b32 exec_lo, exec_lo, s24
.LBB33_20:
	s_or_b32 exec_lo, exec_lo, s15
	ds_bpermute_b32 v1, v1, v7
	s_waitcnt lgkmcnt(0)
	v_add_f32_e32 v1, v7, v1
	ds_bpermute_b32 v3, v3, v1
	s_waitcnt lgkmcnt(0)
	v_add_f32_e32 v1, v1, v3
	;; [unrolled: 3-line block ×5, first 2 shown]
	s_and_saveexec_b32 s4, vcc_lo
; %bb.21:
	ds_write_b32 v5, v1 offset:528
; %bb.22:
	s_or_b32 exec_lo, exec_lo, s4
	s_waitcnt lgkmcnt(0)
	s_barrier
	buffer_gl0_inv
	s_and_saveexec_b32 s4, s2
; %bb.23:
	ds_read_b32 v1, v6 offset:528
; %bb.24:
	s_or_b32 exec_lo, exec_lo, s4
	s_waitcnt lgkmcnt(0)
	ds_bpermute_b32 v3, v73, v1
	v_lshlrev_b32_e32 v4, 2, v69
	s_waitcnt lgkmcnt(0)
	v_add_f32_e32 v1, v1, v3
	ds_bpermute_b32 v3, v74, v1
	s_waitcnt lgkmcnt(0)
	v_add_f32_e32 v1, v1, v3
	v_and_b32_e32 v3, 0xffffff80, v4
	ds_bpermute_b32 v1, v3, v1
	s_and_saveexec_b32 s2, s3
	s_cbranch_execz .LBB33_27
; %bb.25:
	s_waitcnt lgkmcnt(0)
	v_add_f32_e32 v1, 0x358637bd, v1
	s_mov_b32 s3, 0
	v_div_scale_f32 v3, null, v1, v1, 1.0
	v_div_scale_f32 v6, vcc_lo, 1.0, v1, 1.0
	v_rcp_f32_e32 v4, v3
	v_fma_f32 v5, -v3, v4, 1.0
	v_fmac_f32_e32 v4, v5, v4
	v_mul_f32_e32 v5, v6, v4
	v_fma_f32 v7, -v3, v5, v6
	v_fmac_f32_e32 v5, v7, v4
	v_fma_f32 v3, -v3, v5, v6
	v_div_fmas_f32 v3, v3, v4, v5
	v_div_fixup_f32 v1, v3, v1, 1.0
	v_mov_b32_e32 v3, v0
.LBB33_26:                              ; =>This Inner Loop Header: Depth=1
	ds_read_b32 v4, v2
	v_add_nc_u32_e32 v3, 0x80, v3
	v_cmp_le_i32_e32 vcc_lo, s5, v3
	s_or_b32 s3, vcc_lo, s3
	s_waitcnt lgkmcnt(0)
	v_mul_f32_e32 v4, v1, v4
	ds_write_b32 v2, v4
	v_add_nc_u32_e32 v2, 0x200, v2
	s_andn2_b32 exec_lo, exec_lo, s3
	s_cbranch_execnz .LBB33_26
.LBB33_27:
	s_or_b32 exec_lo, exec_lo, s2
	v_mov_b32_e32 v89, 0
	v_and_b32_e32 v75, 3, v0
	v_mov_b32_e32 v91, 0
	v_mov_b32_e32 v90, 0
	;; [unrolled: 1-line block ×15, first 2 shown]
	s_waitcnt lgkmcnt(0)
	s_barrier
	buffer_gl0_inv
	s_and_saveexec_b32 s2, s1
	s_cbranch_execz .LBB33_63
; %bb.28:
	v_lshlrev_b32_e32 v2, 4, v0
	s_ashr_i32 s15, s14, 31
	v_and_b32_e32 v1, 12, v67
	s_lshl_b64 s[4:5], s[14:15], 2
	v_lshlrev_b32_e32 v4, 4, v71
	v_and_b32_e32 v2, 0x1f0, v2
	s_add_u32 s1, s22, s4
	v_lshlrev_b32_e32 v3, 4, v75
	s_addc_u32 s4, s23, s5
	v_or3_b32 v94, v4, v1, 3
	v_add_co_u32 v92, s1, s1, v2
	v_and_b32_e32 v1, 0x7c, v68
	v_add_co_ci_u32_e64 v93, null, s4, 0, s1
	s_lshl_b64 s[4:5], s[20:21], 2
	s_add_i32 s3, s12, -1
	v_lshl_or_b32 v3, v71, 6, v3
	s_add_u32 s1, s18, s4
	s_addc_u32 s4, s19, s5
	v_add_co_u32 v69, s1, s1, v1
	v_mov_b32_e32 v76, 0
	v_add_nc_u32_e32 v95, 0x220, v3
	v_add_co_ci_u32_e64 v70, null, s4, 0, s1
	v_mov_b32_e32 v77, 0
	v_mov_b32_e32 v78, 0
	;; [unrolled: 1-line block ×16, first 2 shown]
	s_mov_b32 s5, s13
	s_mov_b32 s4, 0
	s_branch .LBB33_30
.LBB33_29:                              ;   in Loop: Header=BB33_30 Depth=1
	s_or_b32 exec_lo, exec_lo, s1
	s_waitcnt vmcnt(1) lgkmcnt(0)
	v_mul_f32_e32 v65, v1, v65
	v_mul_f32_e32 v61, v1, v61
	;; [unrolled: 1-line block ×15, first 2 shown]
	s_waitcnt vmcnt(0)
	v_mul_f32_e32 v1, v1, v53
	v_fmac_f32_e32 v65, v2, v66
	v_fmac_f32_e32 v61, v2, v62
	;; [unrolled: 1-line block ×32, first 2 shown]
	v_add_nc_u32_e32 v96, 4, v96
	v_fmac_f32_e32 v65, v4, v68
	v_fmac_f32_e32 v61, v4, v64
	;; [unrolled: 1-line block ×16, first 2 shown]
	v_cmp_le_i32_e32 vcc_lo, s12, v96
	v_add_co_u32 v69, s1, v69, 16
	v_add_f32_e32 v77, v77, v65
	v_add_f32_e32 v78, v78, v61
	;; [unrolled: 1-line block ×16, first 2 shown]
	v_add_nc_u32_e32 v94, 64, v94
	v_add_nc_u32_e32 v95, 0x100, v95
	v_add_co_ci_u32_e64 v70, null, 0, v70, s1
	s_or_b32 s4, vcc_lo, s4
	s_andn2_b32 exec_lo, exec_lo, s4
	s_cbranch_execz .LBB33_62
.LBB33_30:                              ; =>This Inner Loop Header: Depth=1
	global_load_dword v1, v[69:70], off
	v_add_nc_u32_e32 v97, -3, v94
	v_add_nc_u32_e32 v99, -2, v94
	;; [unrolled: 1-line block ×3, first 2 shown]
	s_waitcnt vmcnt(0)
	v_mad_i64_i32 v[1:2], null, v1, s5, 0
	v_lshlrev_b64 v[1:2], 2, v[1:2]
	v_add_co_u32 v53, vcc_lo, v92, v1
	v_add_co_ci_u32_e64 v54, null, v93, v2, vcc_lo
	ds_read_b128 v[1:4], v95
	v_cmp_eq_u32_e32 vcc_lo, s3, v96
	global_load_dwordx4 v[5:8], v[53:54], off
	s_and_saveexec_b32 s13, vcc_lo
	s_cbranch_execnz .LBB33_49
; %bb.31:                               ;   in Loop: Header=BB33_30 Depth=1
	s_or_b32 exec_lo, exec_lo, s13
	global_load_dwordx4 v[9:12], v[53:54], off offset:512
	s_and_saveexec_b32 s13, vcc_lo
	s_cbranch_execnz .LBB33_50
.LBB33_32:                              ;   in Loop: Header=BB33_30 Depth=1
	s_or_b32 exec_lo, exec_lo, s13
	global_load_dwordx4 v[13:16], v[53:54], off offset:1024
	s_and_saveexec_b32 s13, vcc_lo
	s_cbranch_execnz .LBB33_51
.LBB33_33:                              ;   in Loop: Header=BB33_30 Depth=1
	s_or_b32 exec_lo, exec_lo, s13
	global_load_dwordx4 v[17:20], v[53:54], off offset:1536
	s_and_saveexec_b32 s13, vcc_lo
	s_cbranch_execz .LBB33_35
.LBB33_34:                              ;   in Loop: Header=BB33_30 Depth=1
	v_cmp_gt_i32_e64 s1, s11, v97
	s_waitcnt vmcnt(0)
	v_cndmask_b32_e64 v17, 0, v17, s1
	v_cmp_gt_i32_e64 s1, s11, v99
	v_cndmask_b32_e64 v18, 0, v18, s1
	v_cmp_gt_i32_e64 s1, s11, v98
	;; [unrolled: 2-line block ×3, first 2 shown]
	v_cndmask_b32_e64 v20, 0, v20, s1
.LBB33_35:                              ;   in Loop: Header=BB33_30 Depth=1
	s_or_b32 exec_lo, exec_lo, s13
	v_add_co_u32 v33, s1, 0x800, v53
	v_add_co_ci_u32_e64 v34, null, 0, v54, s1
	global_load_dwordx4 v[21:24], v[33:34], off
	s_and_saveexec_b32 s13, vcc_lo
	s_cbranch_execnz .LBB33_52
; %bb.36:                               ;   in Loop: Header=BB33_30 Depth=1
	s_or_b32 exec_lo, exec_lo, s13
	global_load_dwordx4 v[25:28], v[33:34], off offset:512
	s_and_saveexec_b32 s13, vcc_lo
	s_cbranch_execnz .LBB33_53
.LBB33_37:                              ;   in Loop: Header=BB33_30 Depth=1
	s_or_b32 exec_lo, exec_lo, s13
	global_load_dwordx4 v[29:32], v[33:34], off offset:1024
	s_and_saveexec_b32 s13, vcc_lo
	s_cbranch_execnz .LBB33_54
.LBB33_38:                              ;   in Loop: Header=BB33_30 Depth=1
	s_or_b32 exec_lo, exec_lo, s13
	global_load_dwordx4 v[33:36], v[33:34], off offset:1536
	s_and_saveexec_b32 s13, vcc_lo
	s_cbranch_execz .LBB33_40
.LBB33_39:                              ;   in Loop: Header=BB33_30 Depth=1
	v_cmp_gt_i32_e64 s1, s11, v97
	s_waitcnt vmcnt(0)
	v_cndmask_b32_e64 v33, 0, v33, s1
	v_cmp_gt_i32_e64 s1, s11, v99
	v_cndmask_b32_e64 v34, 0, v34, s1
	v_cmp_gt_i32_e64 s1, s11, v98
	;; [unrolled: 2-line block ×3, first 2 shown]
	v_cndmask_b32_e64 v36, 0, v36, s1
.LBB33_40:                              ;   in Loop: Header=BB33_30 Depth=1
	s_or_b32 exec_lo, exec_lo, s13
	v_add_co_u32 v49, s1, 0x1000, v53
	v_add_co_ci_u32_e64 v50, null, 0, v54, s1
	global_load_dwordx4 v[37:40], v[49:50], off
	s_and_saveexec_b32 s13, vcc_lo
	s_cbranch_execnz .LBB33_55
; %bb.41:                               ;   in Loop: Header=BB33_30 Depth=1
	s_or_b32 exec_lo, exec_lo, s13
	global_load_dwordx4 v[41:44], v[49:50], off offset:512
	s_and_saveexec_b32 s13, vcc_lo
	s_cbranch_execnz .LBB33_56
.LBB33_42:                              ;   in Loop: Header=BB33_30 Depth=1
	s_or_b32 exec_lo, exec_lo, s13
	global_load_dwordx4 v[45:48], v[49:50], off offset:1024
	s_and_saveexec_b32 s13, vcc_lo
	s_cbranch_execnz .LBB33_57
.LBB33_43:                              ;   in Loop: Header=BB33_30 Depth=1
	s_or_b32 exec_lo, exec_lo, s13
	global_load_dwordx4 v[49:52], v[49:50], off offset:1536
	s_and_saveexec_b32 s13, vcc_lo
	s_cbranch_execz .LBB33_45
.LBB33_44:                              ;   in Loop: Header=BB33_30 Depth=1
	v_cmp_gt_i32_e64 s1, s11, v97
	s_waitcnt vmcnt(0)
	v_cndmask_b32_e64 v49, 0, v49, s1
	v_cmp_gt_i32_e64 s1, s11, v99
	v_cndmask_b32_e64 v50, 0, v50, s1
	v_cmp_gt_i32_e64 s1, s11, v98
	;; [unrolled: 2-line block ×3, first 2 shown]
	v_cndmask_b32_e64 v52, 0, v52, s1
.LBB33_45:                              ;   in Loop: Header=BB33_30 Depth=1
	s_or_b32 exec_lo, exec_lo, s13
	v_add_co_u32 v53, s1, 0x1800, v53
	v_add_co_ci_u32_e64 v54, null, 0, v54, s1
	global_load_dwordx4 v[57:60], v[53:54], off
	s_and_saveexec_b32 s13, vcc_lo
	s_cbranch_execnz .LBB33_58
; %bb.46:                               ;   in Loop: Header=BB33_30 Depth=1
	s_or_b32 exec_lo, exec_lo, s13
	global_load_dwordx4 v[61:64], v[53:54], off offset:512
	s_and_saveexec_b32 s13, vcc_lo
	s_cbranch_execnz .LBB33_59
.LBB33_47:                              ;   in Loop: Header=BB33_30 Depth=1
	s_or_b32 exec_lo, exec_lo, s13
	global_load_dwordx4 v[65:68], v[53:54], off offset:1024
	s_and_saveexec_b32 s13, vcc_lo
	s_cbranch_execnz .LBB33_60
.LBB33_48:                              ;   in Loop: Header=BB33_30 Depth=1
	s_or_b32 exec_lo, exec_lo, s13
	global_load_dwordx4 v[53:56], v[53:54], off offset:1536
	s_and_saveexec_b32 s1, vcc_lo
	s_cbranch_execz .LBB33_29
	s_branch .LBB33_61
.LBB33_49:                              ;   in Loop: Header=BB33_30 Depth=1
	v_cmp_gt_i32_e64 s1, s11, v97
	s_waitcnt vmcnt(0)
	v_cndmask_b32_e64 v5, 0, v5, s1
	v_cmp_gt_i32_e64 s1, s11, v99
	v_cndmask_b32_e64 v6, 0, v6, s1
	v_cmp_gt_i32_e64 s1, s11, v98
	;; [unrolled: 2-line block ×3, first 2 shown]
	v_cndmask_b32_e64 v8, 0, v8, s1
	s_or_b32 exec_lo, exec_lo, s13
	global_load_dwordx4 v[9:12], v[53:54], off offset:512
	s_and_saveexec_b32 s13, vcc_lo
	s_cbranch_execz .LBB33_32
.LBB33_50:                              ;   in Loop: Header=BB33_30 Depth=1
	v_cmp_gt_i32_e64 s1, s11, v97
	s_waitcnt vmcnt(0)
	v_cndmask_b32_e64 v9, 0, v9, s1
	v_cmp_gt_i32_e64 s1, s11, v99
	v_cndmask_b32_e64 v10, 0, v10, s1
	v_cmp_gt_i32_e64 s1, s11, v98
	;; [unrolled: 2-line block ×3, first 2 shown]
	v_cndmask_b32_e64 v12, 0, v12, s1
	s_or_b32 exec_lo, exec_lo, s13
	global_load_dwordx4 v[13:16], v[53:54], off offset:1024
	s_and_saveexec_b32 s13, vcc_lo
	s_cbranch_execz .LBB33_33
.LBB33_51:                              ;   in Loop: Header=BB33_30 Depth=1
	v_cmp_gt_i32_e64 s1, s11, v97
	s_waitcnt vmcnt(0)
	v_cndmask_b32_e64 v13, 0, v13, s1
	v_cmp_gt_i32_e64 s1, s11, v99
	v_cndmask_b32_e64 v14, 0, v14, s1
	v_cmp_gt_i32_e64 s1, s11, v98
	v_cndmask_b32_e64 v15, 0, v15, s1
	v_cmp_gt_i32_e64 s1, s11, v94
	v_cndmask_b32_e64 v16, 0, v16, s1
	s_or_b32 exec_lo, exec_lo, s13
	global_load_dwordx4 v[17:20], v[53:54], off offset:1536
	s_and_saveexec_b32 s13, vcc_lo
	s_cbranch_execnz .LBB33_34
	s_branch .LBB33_35
.LBB33_52:                              ;   in Loop: Header=BB33_30 Depth=1
	v_cmp_gt_i32_e64 s1, s11, v97
	s_waitcnt vmcnt(0)
	v_cndmask_b32_e64 v21, 0, v21, s1
	v_cmp_gt_i32_e64 s1, s11, v99
	v_cndmask_b32_e64 v22, 0, v22, s1
	v_cmp_gt_i32_e64 s1, s11, v98
	;; [unrolled: 2-line block ×3, first 2 shown]
	v_cndmask_b32_e64 v24, 0, v24, s1
	s_or_b32 exec_lo, exec_lo, s13
	global_load_dwordx4 v[25:28], v[33:34], off offset:512
	s_and_saveexec_b32 s13, vcc_lo
	s_cbranch_execz .LBB33_37
.LBB33_53:                              ;   in Loop: Header=BB33_30 Depth=1
	v_cmp_gt_i32_e64 s1, s11, v97
	s_waitcnt vmcnt(0)
	v_cndmask_b32_e64 v25, 0, v25, s1
	v_cmp_gt_i32_e64 s1, s11, v99
	v_cndmask_b32_e64 v26, 0, v26, s1
	v_cmp_gt_i32_e64 s1, s11, v98
	;; [unrolled: 2-line block ×3, first 2 shown]
	v_cndmask_b32_e64 v28, 0, v28, s1
	s_or_b32 exec_lo, exec_lo, s13
	global_load_dwordx4 v[29:32], v[33:34], off offset:1024
	s_and_saveexec_b32 s13, vcc_lo
	s_cbranch_execz .LBB33_38
.LBB33_54:                              ;   in Loop: Header=BB33_30 Depth=1
	v_cmp_gt_i32_e64 s1, s11, v97
	s_waitcnt vmcnt(0)
	v_cndmask_b32_e64 v29, 0, v29, s1
	v_cmp_gt_i32_e64 s1, s11, v99
	v_cndmask_b32_e64 v30, 0, v30, s1
	v_cmp_gt_i32_e64 s1, s11, v98
	;; [unrolled: 2-line block ×3, first 2 shown]
	v_cndmask_b32_e64 v32, 0, v32, s1
	s_or_b32 exec_lo, exec_lo, s13
	global_load_dwordx4 v[33:36], v[33:34], off offset:1536
	s_and_saveexec_b32 s13, vcc_lo
	s_cbranch_execnz .LBB33_39
	s_branch .LBB33_40
.LBB33_55:                              ;   in Loop: Header=BB33_30 Depth=1
	v_cmp_gt_i32_e64 s1, s11, v97
	s_waitcnt vmcnt(0)
	v_cndmask_b32_e64 v37, 0, v37, s1
	v_cmp_gt_i32_e64 s1, s11, v99
	v_cndmask_b32_e64 v38, 0, v38, s1
	v_cmp_gt_i32_e64 s1, s11, v98
	;; [unrolled: 2-line block ×3, first 2 shown]
	v_cndmask_b32_e64 v40, 0, v40, s1
	s_or_b32 exec_lo, exec_lo, s13
	global_load_dwordx4 v[41:44], v[49:50], off offset:512
	s_and_saveexec_b32 s13, vcc_lo
	s_cbranch_execz .LBB33_42
.LBB33_56:                              ;   in Loop: Header=BB33_30 Depth=1
	v_cmp_gt_i32_e64 s1, s11, v97
	s_waitcnt vmcnt(0)
	v_cndmask_b32_e64 v41, 0, v41, s1
	v_cmp_gt_i32_e64 s1, s11, v99
	v_cndmask_b32_e64 v42, 0, v42, s1
	v_cmp_gt_i32_e64 s1, s11, v98
	;; [unrolled: 2-line block ×3, first 2 shown]
	v_cndmask_b32_e64 v44, 0, v44, s1
	s_or_b32 exec_lo, exec_lo, s13
	global_load_dwordx4 v[45:48], v[49:50], off offset:1024
	s_and_saveexec_b32 s13, vcc_lo
	s_cbranch_execz .LBB33_43
.LBB33_57:                              ;   in Loop: Header=BB33_30 Depth=1
	v_cmp_gt_i32_e64 s1, s11, v97
	s_waitcnt vmcnt(0)
	v_cndmask_b32_e64 v45, 0, v45, s1
	v_cmp_gt_i32_e64 s1, s11, v99
	v_cndmask_b32_e64 v46, 0, v46, s1
	v_cmp_gt_i32_e64 s1, s11, v98
	;; [unrolled: 2-line block ×3, first 2 shown]
	v_cndmask_b32_e64 v48, 0, v48, s1
	s_or_b32 exec_lo, exec_lo, s13
	global_load_dwordx4 v[49:52], v[49:50], off offset:1536
	s_and_saveexec_b32 s13, vcc_lo
	s_cbranch_execnz .LBB33_44
	s_branch .LBB33_45
.LBB33_58:                              ;   in Loop: Header=BB33_30 Depth=1
	v_cmp_gt_i32_e64 s1, s11, v97
	s_waitcnt vmcnt(0)
	v_cndmask_b32_e64 v57, 0, v57, s1
	v_cmp_gt_i32_e64 s1, s11, v99
	v_cndmask_b32_e64 v58, 0, v58, s1
	v_cmp_gt_i32_e64 s1, s11, v98
	;; [unrolled: 2-line block ×3, first 2 shown]
	v_cndmask_b32_e64 v60, 0, v60, s1
	s_or_b32 exec_lo, exec_lo, s13
	global_load_dwordx4 v[61:64], v[53:54], off offset:512
	s_and_saveexec_b32 s13, vcc_lo
	s_cbranch_execz .LBB33_47
.LBB33_59:                              ;   in Loop: Header=BB33_30 Depth=1
	v_cmp_gt_i32_e64 s1, s11, v97
	s_waitcnt vmcnt(0)
	v_cndmask_b32_e64 v61, 0, v61, s1
	v_cmp_gt_i32_e64 s1, s11, v99
	v_cndmask_b32_e64 v62, 0, v62, s1
	v_cmp_gt_i32_e64 s1, s11, v98
	;; [unrolled: 2-line block ×3, first 2 shown]
	v_cndmask_b32_e64 v64, 0, v64, s1
	s_or_b32 exec_lo, exec_lo, s13
	global_load_dwordx4 v[65:68], v[53:54], off offset:1024
	s_and_saveexec_b32 s13, vcc_lo
	s_cbranch_execz .LBB33_48
.LBB33_60:                              ;   in Loop: Header=BB33_30 Depth=1
	v_cmp_gt_i32_e64 s1, s11, v97
	s_waitcnt vmcnt(0)
	v_cndmask_b32_e64 v65, 0, v65, s1
	v_cmp_gt_i32_e64 s1, s11, v99
	v_cndmask_b32_e64 v66, 0, v66, s1
	v_cmp_gt_i32_e64 s1, s11, v98
	;; [unrolled: 2-line block ×3, first 2 shown]
	v_cndmask_b32_e64 v68, 0, v68, s1
	s_or_b32 exec_lo, exec_lo, s13
	global_load_dwordx4 v[53:56], v[53:54], off offset:1536
	s_and_saveexec_b32 s1, vcc_lo
	s_cbranch_execz .LBB33_29
.LBB33_61:                              ;   in Loop: Header=BB33_30 Depth=1
	v_cmp_gt_i32_e32 vcc_lo, s11, v97
	s_waitcnt vmcnt(0)
	v_cndmask_b32_e32 v53, 0, v53, vcc_lo
	v_cmp_gt_i32_e32 vcc_lo, s11, v99
	v_cndmask_b32_e32 v54, 0, v54, vcc_lo
	v_cmp_gt_i32_e32 vcc_lo, s11, v98
	;; [unrolled: 2-line block ×3, first 2 shown]
	v_cndmask_b32_e32 v56, 0, v56, vcc_lo
	s_branch .LBB33_29
.LBB33_62:
	s_or_b32 exec_lo, exec_lo, s4
.LBB33_63:
	s_or_b32 exec_lo, exec_lo, s2
	ds_bpermute_b32 v2, v73, v91
	ds_bpermute_b32 v1, v73, v89
	;; [unrolled: 1-line block ×16, first 2 shown]
	s_mov_b32 s1, exec_lo
	s_waitcnt lgkmcnt(0)
	s_barrier
	buffer_gl0_inv
	v_add_f32_e32 v2, v91, v2
	v_add_f32_e32 v1, v89, v1
	;; [unrolled: 1-line block ×6, first 2 shown]
	ds_bpermute_b32 v18, v74, v2
	v_add_f32_e32 v7, v85, v7
	v_add_f32_e32 v8, v84, v8
	;; [unrolled: 1-line block ×10, first 2 shown]
	ds_bpermute_b32 v17, v74, v1
	ds_bpermute_b32 v19, v74, v3
	;; [unrolled: 1-line block ×15, first 2 shown]
	s_waitcnt lgkmcnt(15)
	v_add_f32_e32 v2, v2, v18
	v_and_b32_e32 v18, 28, v72
	s_waitcnt lgkmcnt(14)
	v_add_f32_e32 v1, v1, v17
	s_waitcnt lgkmcnt(13)
	v_add_f32_e32 v3, v3, v19
	;; [unrolled: 2-line block ×14, first 2 shown]
	v_and_b32_e32 v20, 0x3c3, v0
	s_waitcnt lgkmcnt(0)
	v_add_f32_e32 v16, v16, v32
	v_lshrrev_b32_e32 v17, 2, v72
	v_add_nc_u32_e32 v18, 0x220, v18
	v_lshlrev_b32_e32 v19, 9, v71
	v_cmpx_eq_u32_e32 64, v20
	s_cbranch_execz .LBB33_65
; %bb.64:
	v_add_nc_u32_e32 v20, v18, v19
	v_add_nc_u32_e32 v21, 0xfffffc00, v20
	;; [unrolled: 1-line block ×7, first 2 shown]
	ds_write_b32 v21, v1
	ds_write_b32 v22, v2
	;; [unrolled: 1-line block ×6, first 2 shown]
	v_add_nc_u32_e32 v21, 0xfffffcc0, v20
	v_add_nc_u32_e32 v22, 0xfffffce0, v20
	;; [unrolled: 1-line block ×5, first 2 shown]
	ds_write_b32 v21, v7
	ds_write_b32 v22, v8
	;; [unrolled: 1-line block ×5, first 2 shown]
	v_add_nc_u32_e32 v21, 0xfffffd60, v20
	v_add_nc_u32_e32 v22, 0xfffffd80, v20
	;; [unrolled: 1-line block ×5, first 2 shown]
	ds_write_b32 v21, v12
	ds_write_b32 v22, v13
	;; [unrolled: 1-line block ×5, first 2 shown]
.LBB33_65:
	s_or_b32 exec_lo, exec_lo, s1
	v_lshlrev_b32_e32 v17, 2, v17
	v_cmp_eq_u32_e32 vcc_lo, 0, v75
	s_waitcnt lgkmcnt(0)
	s_barrier
	buffer_gl0_inv
	v_add3_u32 v17, 0x220, v19, v17
	s_and_saveexec_b32 s1, s0
	s_cbranch_execz .LBB33_84
; %bb.66:
	s_and_saveexec_b32 s0, vcc_lo
	s_cbranch_execnz .LBB33_108
; %bb.67:
	s_or_b32 exec_lo, exec_lo, s0
	s_and_saveexec_b32 s0, vcc_lo
	s_cbranch_execnz .LBB33_109
.LBB33_68:
	s_or_b32 exec_lo, exec_lo, s0
	s_and_saveexec_b32 s0, vcc_lo
	s_cbranch_execnz .LBB33_110
.LBB33_69:
	s_or_b32 exec_lo, exec_lo, s0
	s_and_saveexec_b32 s0, vcc_lo
	s_cbranch_execnz .LBB33_111
.LBB33_70:
	s_or_b32 exec_lo, exec_lo, s0
	s_and_saveexec_b32 s0, vcc_lo
	s_cbranch_execnz .LBB33_112
.LBB33_71:
	s_or_b32 exec_lo, exec_lo, s0
	s_and_saveexec_b32 s0, vcc_lo
	s_cbranch_execnz .LBB33_113
.LBB33_72:
	s_or_b32 exec_lo, exec_lo, s0
	s_and_saveexec_b32 s0, vcc_lo
	s_cbranch_execnz .LBB33_114
.LBB33_73:
	s_or_b32 exec_lo, exec_lo, s0
	s_and_saveexec_b32 s0, vcc_lo
	s_cbranch_execnz .LBB33_115
.LBB33_74:
	s_or_b32 exec_lo, exec_lo, s0
	s_and_saveexec_b32 s0, vcc_lo
	s_cbranch_execnz .LBB33_116
.LBB33_75:
	s_or_b32 exec_lo, exec_lo, s0
	s_and_saveexec_b32 s0, vcc_lo
	s_cbranch_execnz .LBB33_117
.LBB33_76:
	s_or_b32 exec_lo, exec_lo, s0
	s_and_saveexec_b32 s0, vcc_lo
	s_cbranch_execnz .LBB33_118
.LBB33_77:
	s_or_b32 exec_lo, exec_lo, s0
	s_and_saveexec_b32 s0, vcc_lo
	s_cbranch_execnz .LBB33_119
.LBB33_78:
	s_or_b32 exec_lo, exec_lo, s0
	s_and_saveexec_b32 s0, vcc_lo
	s_cbranch_execnz .LBB33_120
.LBB33_79:
	s_or_b32 exec_lo, exec_lo, s0
	s_and_saveexec_b32 s0, vcc_lo
	s_cbranch_execnz .LBB33_121
.LBB33_80:
	s_or_b32 exec_lo, exec_lo, s0
	s_and_saveexec_b32 s0, vcc_lo
	s_cbranch_execnz .LBB33_122
.LBB33_81:
	s_or_b32 exec_lo, exec_lo, s0
	s_and_saveexec_b32 s0, vcc_lo
	s_cbranch_execz .LBB33_83
.LBB33_82:
	ds_read_b32 v19, v17 offset:480
	s_waitcnt lgkmcnt(0)
	v_add_f32_e32 v16, v16, v19
.LBB33_83:
	s_or_b32 exec_lo, exec_lo, s0
.LBB33_84:
	s_or_b32 exec_lo, exec_lo, s1
	v_and_b32_e32 v19, 0x3e3, v0
	s_mov_b32 s1, exec_lo
	s_barrier
	buffer_gl0_inv
	v_cmpx_eq_u32_e32 32, v19
	s_cbranch_execz .LBB33_86
; %bb.85:
	ds_write2_b32 v18, v1, v2 offset1:8
	ds_write2_b32 v18, v3, v4 offset0:16 offset1:24
	ds_write2_b32 v18, v5, v6 offset0:32 offset1:40
	;; [unrolled: 1-line block ×7, first 2 shown]
.LBB33_86:
	s_or_b32 exec_lo, exec_lo, s1
	s_mov_b32 s1, exec_lo
	s_waitcnt lgkmcnt(0)
	s_barrier
	buffer_gl0_inv
	v_cmpx_gt_u32_e32 32, v0
	s_cbranch_execz .LBB33_105
; %bb.87:
	s_and_saveexec_b32 s0, vcc_lo
	s_cbranch_execnz .LBB33_123
; %bb.88:
	s_or_b32 exec_lo, exec_lo, s0
	s_and_saveexec_b32 s0, vcc_lo
	s_cbranch_execnz .LBB33_124
.LBB33_89:
	s_or_b32 exec_lo, exec_lo, s0
	s_and_saveexec_b32 s0, vcc_lo
	s_cbranch_execnz .LBB33_125
.LBB33_90:
	s_or_b32 exec_lo, exec_lo, s0
	s_and_saveexec_b32 s0, vcc_lo
	s_cbranch_execnz .LBB33_126
.LBB33_91:
	s_or_b32 exec_lo, exec_lo, s0
	s_and_saveexec_b32 s0, vcc_lo
	s_cbranch_execnz .LBB33_127
.LBB33_92:
	s_or_b32 exec_lo, exec_lo, s0
	s_and_saveexec_b32 s0, vcc_lo
	s_cbranch_execnz .LBB33_128
.LBB33_93:
	s_or_b32 exec_lo, exec_lo, s0
	s_and_saveexec_b32 s0, vcc_lo
	s_cbranch_execnz .LBB33_129
.LBB33_94:
	s_or_b32 exec_lo, exec_lo, s0
	s_and_saveexec_b32 s0, vcc_lo
	s_cbranch_execnz .LBB33_130
.LBB33_95:
	s_or_b32 exec_lo, exec_lo, s0
	s_and_saveexec_b32 s0, vcc_lo
	s_cbranch_execnz .LBB33_131
.LBB33_96:
	s_or_b32 exec_lo, exec_lo, s0
	s_and_saveexec_b32 s0, vcc_lo
	s_cbranch_execnz .LBB33_132
.LBB33_97:
	s_or_b32 exec_lo, exec_lo, s0
	s_and_saveexec_b32 s0, vcc_lo
	s_cbranch_execnz .LBB33_133
.LBB33_98:
	s_or_b32 exec_lo, exec_lo, s0
	s_and_saveexec_b32 s0, vcc_lo
	s_cbranch_execnz .LBB33_134
.LBB33_99:
	s_or_b32 exec_lo, exec_lo, s0
	s_and_saveexec_b32 s0, vcc_lo
	s_cbranch_execnz .LBB33_135
.LBB33_100:
	s_or_b32 exec_lo, exec_lo, s0
	s_and_saveexec_b32 s0, vcc_lo
	s_cbranch_execnz .LBB33_136
.LBB33_101:
	s_or_b32 exec_lo, exec_lo, s0
	s_and_saveexec_b32 s0, vcc_lo
	s_cbranch_execnz .LBB33_137
.LBB33_102:
	s_or_b32 exec_lo, exec_lo, s0
	s_and_saveexec_b32 s0, vcc_lo
	s_cbranch_execz .LBB33_104
.LBB33_103:
	ds_read_b32 v17, v17 offset:480
	s_waitcnt lgkmcnt(0)
	v_add_f32_e32 v16, v16, v17
.LBB33_104:
	s_or_b32 exec_lo, exec_lo, s0
.LBB33_105:
	s_or_b32 exec_lo, exec_lo, s1
	s_barrier
	buffer_gl0_inv
	s_mov_b32 s0, exec_lo
	v_cmpx_eq_u32_e32 0, v19
	s_cbranch_execz .LBB33_107
; %bb.106:
	s_mul_i32 s0, s10, s7
	s_mul_i32 s2, s7, s6
	;; [unrolled: 1-line block ×3, first 2 shown]
	s_lshl_b32 s0, s0, 7
	s_ashr_i32 s1, s0, 31
	s_lshl_b64 s[0:1], s[0:1], 2
	s_add_u32 s4, s16, s0
	s_addc_u32 s5, s17, s1
	s_ashr_i32 s3, s2, 31
	s_lshl_b64 s[0:1], s[2:3], 2
	s_add_u32 s2, s4, s0
	s_addc_u32 s3, s5, s1
	s_lshl_b32 s0, s8, 7
	s_ashr_i32 s1, s0, 31
	s_lshl_b64 s[0:1], s[0:1], 2
	s_add_u32 s0, s2, s0
	s_addc_u32 s1, s3, s1
	global_store_dword v0, v1, s[0:1]
	global_store_dword v0, v2, s[0:1] offset:32
	global_store_dword v0, v3, s[0:1] offset:64
	;; [unrolled: 1-line block ×15, first 2 shown]
.LBB33_107:
	s_endpgm
.LBB33_108:
	ds_read_b32 v19, v17
	s_waitcnt lgkmcnt(0)
	v_add_f32_e32 v1, v1, v19
	s_or_b32 exec_lo, exec_lo, s0
	s_and_saveexec_b32 s0, vcc_lo
	s_cbranch_execz .LBB33_68
.LBB33_109:
	ds_read_b32 v19, v17 offset:32
	s_waitcnt lgkmcnt(0)
	v_add_f32_e32 v2, v2, v19
	s_or_b32 exec_lo, exec_lo, s0
	s_and_saveexec_b32 s0, vcc_lo
	s_cbranch_execz .LBB33_69
.LBB33_110:
	ds_read_b32 v19, v17 offset:64
	s_waitcnt lgkmcnt(0)
	v_add_f32_e32 v3, v3, v19
	s_or_b32 exec_lo, exec_lo, s0
	s_and_saveexec_b32 s0, vcc_lo
	s_cbranch_execz .LBB33_70
.LBB33_111:
	ds_read_b32 v19, v17 offset:96
	s_waitcnt lgkmcnt(0)
	v_add_f32_e32 v4, v4, v19
	s_or_b32 exec_lo, exec_lo, s0
	s_and_saveexec_b32 s0, vcc_lo
	s_cbranch_execz .LBB33_71
.LBB33_112:
	ds_read_b32 v19, v17 offset:128
	s_waitcnt lgkmcnt(0)
	v_add_f32_e32 v5, v5, v19
	s_or_b32 exec_lo, exec_lo, s0
	s_and_saveexec_b32 s0, vcc_lo
	s_cbranch_execz .LBB33_72
.LBB33_113:
	ds_read_b32 v19, v17 offset:160
	s_waitcnt lgkmcnt(0)
	v_add_f32_e32 v6, v6, v19
	s_or_b32 exec_lo, exec_lo, s0
	s_and_saveexec_b32 s0, vcc_lo
	s_cbranch_execz .LBB33_73
.LBB33_114:
	ds_read_b32 v19, v17 offset:192
	s_waitcnt lgkmcnt(0)
	v_add_f32_e32 v7, v7, v19
	s_or_b32 exec_lo, exec_lo, s0
	s_and_saveexec_b32 s0, vcc_lo
	s_cbranch_execz .LBB33_74
.LBB33_115:
	ds_read_b32 v19, v17 offset:224
	s_waitcnt lgkmcnt(0)
	v_add_f32_e32 v8, v8, v19
	s_or_b32 exec_lo, exec_lo, s0
	s_and_saveexec_b32 s0, vcc_lo
	s_cbranch_execz .LBB33_75
.LBB33_116:
	ds_read_b32 v19, v17 offset:256
	s_waitcnt lgkmcnt(0)
	v_add_f32_e32 v9, v9, v19
	s_or_b32 exec_lo, exec_lo, s0
	s_and_saveexec_b32 s0, vcc_lo
	s_cbranch_execz .LBB33_76
.LBB33_117:
	ds_read_b32 v19, v17 offset:288
	s_waitcnt lgkmcnt(0)
	v_add_f32_e32 v10, v10, v19
	s_or_b32 exec_lo, exec_lo, s0
	s_and_saveexec_b32 s0, vcc_lo
	s_cbranch_execz .LBB33_77
.LBB33_118:
	ds_read_b32 v19, v17 offset:320
	s_waitcnt lgkmcnt(0)
	v_add_f32_e32 v11, v11, v19
	s_or_b32 exec_lo, exec_lo, s0
	s_and_saveexec_b32 s0, vcc_lo
	s_cbranch_execz .LBB33_78
.LBB33_119:
	ds_read_b32 v19, v17 offset:352
	s_waitcnt lgkmcnt(0)
	v_add_f32_e32 v12, v12, v19
	s_or_b32 exec_lo, exec_lo, s0
	s_and_saveexec_b32 s0, vcc_lo
	s_cbranch_execz .LBB33_79
.LBB33_120:
	ds_read_b32 v19, v17 offset:384
	s_waitcnt lgkmcnt(0)
	v_add_f32_e32 v13, v13, v19
	s_or_b32 exec_lo, exec_lo, s0
	s_and_saveexec_b32 s0, vcc_lo
	s_cbranch_execz .LBB33_80
.LBB33_121:
	ds_read_b32 v19, v17 offset:416
	s_waitcnt lgkmcnt(0)
	v_add_f32_e32 v14, v14, v19
	s_or_b32 exec_lo, exec_lo, s0
	s_and_saveexec_b32 s0, vcc_lo
	s_cbranch_execz .LBB33_81
.LBB33_122:
	ds_read_b32 v19, v17 offset:448
	s_waitcnt lgkmcnt(0)
	v_add_f32_e32 v15, v15, v19
	s_or_b32 exec_lo, exec_lo, s0
	s_and_saveexec_b32 s0, vcc_lo
	s_cbranch_execnz .LBB33_82
	s_branch .LBB33_83
.LBB33_123:
	ds_read_b32 v18, v17
	s_waitcnt lgkmcnt(0)
	v_add_f32_e32 v1, v1, v18
	s_or_b32 exec_lo, exec_lo, s0
	s_and_saveexec_b32 s0, vcc_lo
	s_cbranch_execz .LBB33_89
.LBB33_124:
	ds_read_b32 v18, v17 offset:32
	s_waitcnt lgkmcnt(0)
	v_add_f32_e32 v2, v2, v18
	s_or_b32 exec_lo, exec_lo, s0
	s_and_saveexec_b32 s0, vcc_lo
	s_cbranch_execz .LBB33_90
.LBB33_125:
	ds_read_b32 v18, v17 offset:64
	s_waitcnt lgkmcnt(0)
	v_add_f32_e32 v3, v3, v18
	s_or_b32 exec_lo, exec_lo, s0
	s_and_saveexec_b32 s0, vcc_lo
	s_cbranch_execz .LBB33_91
.LBB33_126:
	ds_read_b32 v18, v17 offset:96
	s_waitcnt lgkmcnt(0)
	v_add_f32_e32 v4, v4, v18
	s_or_b32 exec_lo, exec_lo, s0
	s_and_saveexec_b32 s0, vcc_lo
	s_cbranch_execz .LBB33_92
.LBB33_127:
	ds_read_b32 v18, v17 offset:128
	s_waitcnt lgkmcnt(0)
	v_add_f32_e32 v5, v5, v18
	s_or_b32 exec_lo, exec_lo, s0
	s_and_saveexec_b32 s0, vcc_lo
	s_cbranch_execz .LBB33_93
.LBB33_128:
	ds_read_b32 v18, v17 offset:160
	s_waitcnt lgkmcnt(0)
	v_add_f32_e32 v6, v6, v18
	s_or_b32 exec_lo, exec_lo, s0
	s_and_saveexec_b32 s0, vcc_lo
	s_cbranch_execz .LBB33_94
.LBB33_129:
	ds_read_b32 v18, v17 offset:192
	s_waitcnt lgkmcnt(0)
	v_add_f32_e32 v7, v7, v18
	s_or_b32 exec_lo, exec_lo, s0
	s_and_saveexec_b32 s0, vcc_lo
	s_cbranch_execz .LBB33_95
.LBB33_130:
	ds_read_b32 v18, v17 offset:224
	s_waitcnt lgkmcnt(0)
	v_add_f32_e32 v8, v8, v18
	s_or_b32 exec_lo, exec_lo, s0
	s_and_saveexec_b32 s0, vcc_lo
	s_cbranch_execz .LBB33_96
.LBB33_131:
	ds_read_b32 v18, v17 offset:256
	s_waitcnt lgkmcnt(0)
	v_add_f32_e32 v9, v9, v18
	s_or_b32 exec_lo, exec_lo, s0
	s_and_saveexec_b32 s0, vcc_lo
	s_cbranch_execz .LBB33_97
.LBB33_132:
	ds_read_b32 v18, v17 offset:288
	s_waitcnt lgkmcnt(0)
	v_add_f32_e32 v10, v10, v18
	s_or_b32 exec_lo, exec_lo, s0
	s_and_saveexec_b32 s0, vcc_lo
	s_cbranch_execz .LBB33_98
.LBB33_133:
	ds_read_b32 v18, v17 offset:320
	s_waitcnt lgkmcnt(0)
	v_add_f32_e32 v11, v11, v18
	s_or_b32 exec_lo, exec_lo, s0
	s_and_saveexec_b32 s0, vcc_lo
	s_cbranch_execz .LBB33_99
.LBB33_134:
	ds_read_b32 v18, v17 offset:352
	s_waitcnt lgkmcnt(0)
	v_add_f32_e32 v12, v12, v18
	s_or_b32 exec_lo, exec_lo, s0
	s_and_saveexec_b32 s0, vcc_lo
	s_cbranch_execz .LBB33_100
.LBB33_135:
	ds_read_b32 v18, v17 offset:384
	s_waitcnt lgkmcnt(0)
	v_add_f32_e32 v13, v13, v18
	s_or_b32 exec_lo, exec_lo, s0
	s_and_saveexec_b32 s0, vcc_lo
	s_cbranch_execz .LBB33_101
.LBB33_136:
	ds_read_b32 v18, v17 offset:416
	s_waitcnt lgkmcnt(0)
	v_add_f32_e32 v14, v14, v18
	s_or_b32 exec_lo, exec_lo, s0
	s_and_saveexec_b32 s0, vcc_lo
	s_cbranch_execz .LBB33_102
.LBB33_137:
	ds_read_b32 v18, v17 offset:448
	s_waitcnt lgkmcnt(0)
	v_add_f32_e32 v15, v15, v18
	s_or_b32 exec_lo, exec_lo, s0
	s_and_saveexec_b32 s0, vcc_lo
	s_cbranch_execnz .LBB33_103
	s_branch .LBB33_104
	.section	.rodata,"a",@progbits
	.p2align	6, 0x0
	.amdhsa_kernel _ZN4vllm25paged_attention_v1_kernelIffLi128ELi16ELi128ELNS_18Fp8KVCacheDataTypeE0ELb0EEEvPT_PKS2_PKT0_S8_ifPKiSA_iPKfiiiSC_SC_iiiii
		.amdhsa_group_segment_fixed_size 544
		.amdhsa_private_segment_fixed_size 0
		.amdhsa_kernarg_size 384
		.amdhsa_user_sgpr_count 6
		.amdhsa_user_sgpr_private_segment_buffer 1
		.amdhsa_user_sgpr_dispatch_ptr 0
		.amdhsa_user_sgpr_queue_ptr 0
		.amdhsa_user_sgpr_kernarg_segment_ptr 1
		.amdhsa_user_sgpr_dispatch_id 0
		.amdhsa_user_sgpr_flat_scratch_init 0
		.amdhsa_user_sgpr_private_segment_size 0
		.amdhsa_wavefront_size32 1
		.amdhsa_uses_dynamic_stack 0
		.amdhsa_system_sgpr_private_segment_wavefront_offset 0
		.amdhsa_system_sgpr_workgroup_id_x 1
		.amdhsa_system_sgpr_workgroup_id_y 1
		.amdhsa_system_sgpr_workgroup_id_z 1
		.amdhsa_system_sgpr_workgroup_info 0
		.amdhsa_system_vgpr_workitem_id 0
		.amdhsa_next_free_vgpr 120
		.amdhsa_next_free_sgpr 30
		.amdhsa_reserve_vcc 1
		.amdhsa_reserve_flat_scratch 0
		.amdhsa_float_round_mode_32 0
		.amdhsa_float_round_mode_16_64 0
		.amdhsa_float_denorm_mode_32 3
		.amdhsa_float_denorm_mode_16_64 3
		.amdhsa_dx10_clamp 1
		.amdhsa_ieee_mode 1
		.amdhsa_fp16_overflow 0
		.amdhsa_workgroup_processor_mode 1
		.amdhsa_memory_ordered 1
		.amdhsa_forward_progress 1
		.amdhsa_shared_vgpr_count 0
		.amdhsa_exception_fp_ieee_invalid_op 0
		.amdhsa_exception_fp_denorm_src 0
		.amdhsa_exception_fp_ieee_div_zero 0
		.amdhsa_exception_fp_ieee_overflow 0
		.amdhsa_exception_fp_ieee_underflow 0
		.amdhsa_exception_fp_ieee_inexact 0
		.amdhsa_exception_int_div_zero 0
	.end_amdhsa_kernel
	.section	.text._ZN4vllm25paged_attention_v1_kernelIffLi128ELi16ELi128ELNS_18Fp8KVCacheDataTypeE0ELb0EEEvPT_PKS2_PKT0_S8_ifPKiSA_iPKfiiiSC_SC_iiiii,"axG",@progbits,_ZN4vllm25paged_attention_v1_kernelIffLi128ELi16ELi128ELNS_18Fp8KVCacheDataTypeE0ELb0EEEvPT_PKS2_PKT0_S8_ifPKiSA_iPKfiiiSC_SC_iiiii,comdat
.Lfunc_end33:
	.size	_ZN4vllm25paged_attention_v1_kernelIffLi128ELi16ELi128ELNS_18Fp8KVCacheDataTypeE0ELb0EEEvPT_PKS2_PKT0_S8_ifPKiSA_iPKfiiiSC_SC_iiiii, .Lfunc_end33-_ZN4vllm25paged_attention_v1_kernelIffLi128ELi16ELi128ELNS_18Fp8KVCacheDataTypeE0ELb0EEEvPT_PKS2_PKT0_S8_ifPKiSA_iPKfiiiSC_SC_iiiii
                                        ; -- End function
	.set _ZN4vllm25paged_attention_v1_kernelIffLi128ELi16ELi128ELNS_18Fp8KVCacheDataTypeE0ELb0EEEvPT_PKS2_PKT0_S8_ifPKiSA_iPKfiiiSC_SC_iiiii.num_vgpr, 120
	.set _ZN4vllm25paged_attention_v1_kernelIffLi128ELi16ELi128ELNS_18Fp8KVCacheDataTypeE0ELb0EEEvPT_PKS2_PKT0_S8_ifPKiSA_iPKfiiiSC_SC_iiiii.num_agpr, 0
	.set _ZN4vllm25paged_attention_v1_kernelIffLi128ELi16ELi128ELNS_18Fp8KVCacheDataTypeE0ELb0EEEvPT_PKS2_PKT0_S8_ifPKiSA_iPKfiiiSC_SC_iiiii.numbered_sgpr, 30
	.set _ZN4vllm25paged_attention_v1_kernelIffLi128ELi16ELi128ELNS_18Fp8KVCacheDataTypeE0ELb0EEEvPT_PKS2_PKT0_S8_ifPKiSA_iPKfiiiSC_SC_iiiii.num_named_barrier, 0
	.set _ZN4vllm25paged_attention_v1_kernelIffLi128ELi16ELi128ELNS_18Fp8KVCacheDataTypeE0ELb0EEEvPT_PKS2_PKT0_S8_ifPKiSA_iPKfiiiSC_SC_iiiii.private_seg_size, 0
	.set _ZN4vllm25paged_attention_v1_kernelIffLi128ELi16ELi128ELNS_18Fp8KVCacheDataTypeE0ELb0EEEvPT_PKS2_PKT0_S8_ifPKiSA_iPKfiiiSC_SC_iiiii.uses_vcc, 1
	.set _ZN4vllm25paged_attention_v1_kernelIffLi128ELi16ELi128ELNS_18Fp8KVCacheDataTypeE0ELb0EEEvPT_PKS2_PKT0_S8_ifPKiSA_iPKfiiiSC_SC_iiiii.uses_flat_scratch, 0
	.set _ZN4vllm25paged_attention_v1_kernelIffLi128ELi16ELi128ELNS_18Fp8KVCacheDataTypeE0ELb0EEEvPT_PKS2_PKT0_S8_ifPKiSA_iPKfiiiSC_SC_iiiii.has_dyn_sized_stack, 0
	.set _ZN4vllm25paged_attention_v1_kernelIffLi128ELi16ELi128ELNS_18Fp8KVCacheDataTypeE0ELb0EEEvPT_PKS2_PKT0_S8_ifPKiSA_iPKfiiiSC_SC_iiiii.has_recursion, 0
	.set _ZN4vllm25paged_attention_v1_kernelIffLi128ELi16ELi128ELNS_18Fp8KVCacheDataTypeE0ELb0EEEvPT_PKS2_PKT0_S8_ifPKiSA_iPKfiiiSC_SC_iiiii.has_indirect_call, 0
	.section	.AMDGPU.csdata,"",@progbits
; Kernel info:
; codeLenInByte = 7608
; TotalNumSgprs: 32
; NumVgprs: 120
; ScratchSize: 0
; MemoryBound: 0
; FloatMode: 240
; IeeeMode: 1
; LDSByteSize: 544 bytes/workgroup (compile time only)
; SGPRBlocks: 0
; VGPRBlocks: 14
; NumSGPRsForWavesPerEU: 32
; NumVGPRsForWavesPerEU: 120
; Occupancy: 8
; WaveLimiterHint : 1
; COMPUTE_PGM_RSRC2:SCRATCH_EN: 0
; COMPUTE_PGM_RSRC2:USER_SGPR: 6
; COMPUTE_PGM_RSRC2:TRAP_HANDLER: 0
; COMPUTE_PGM_RSRC2:TGID_X_EN: 1
; COMPUTE_PGM_RSRC2:TGID_Y_EN: 1
; COMPUTE_PGM_RSRC2:TGID_Z_EN: 1
; COMPUTE_PGM_RSRC2:TIDIG_COMP_CNT: 0
	.section	.text._ZN4vllm25paged_attention_v1_kernelIffLi192ELi16ELi128ELNS_18Fp8KVCacheDataTypeE0ELb0EEEvPT_PKS2_PKT0_S8_ifPKiSA_iPKfiiiSC_SC_iiiii,"axG",@progbits,_ZN4vllm25paged_attention_v1_kernelIffLi192ELi16ELi128ELNS_18Fp8KVCacheDataTypeE0ELb0EEEvPT_PKS2_PKT0_S8_ifPKiSA_iPKfiiiSC_SC_iiiii,comdat
	.protected	_ZN4vllm25paged_attention_v1_kernelIffLi192ELi16ELi128ELNS_18Fp8KVCacheDataTypeE0ELb0EEEvPT_PKS2_PKT0_S8_ifPKiSA_iPKfiiiSC_SC_iiiii ; -- Begin function _ZN4vllm25paged_attention_v1_kernelIffLi192ELi16ELi128ELNS_18Fp8KVCacheDataTypeE0ELb0EEEvPT_PKS2_PKT0_S8_ifPKiSA_iPKfiiiSC_SC_iiiii
	.globl	_ZN4vllm25paged_attention_v1_kernelIffLi192ELi16ELi128ELNS_18Fp8KVCacheDataTypeE0ELb0EEEvPT_PKS2_PKT0_S8_ifPKiSA_iPKfiiiSC_SC_iiiii
	.p2align	8
	.type	_ZN4vllm25paged_attention_v1_kernelIffLi192ELi16ELi128ELNS_18Fp8KVCacheDataTypeE0ELb0EEEvPT_PKS2_PKT0_S8_ifPKiSA_iPKfiiiSC_SC_iiiii,@function
_ZN4vllm25paged_attention_v1_kernelIffLi192ELi16ELi128ELNS_18Fp8KVCacheDataTypeE0ELb0EEEvPT_PKS2_PKT0_S8_ifPKiSA_iPKfiiiSC_SC_iiiii: ; @_ZN4vllm25paged_attention_v1_kernelIffLi192ELi16ELi128ELNS_18Fp8KVCacheDataTypeE0ELb0EEEvPT_PKS2_PKT0_S8_ifPKiSA_iPKfiiiSC_SC_iiiii
; %bb.0:
	s_mov_b64 s[30:31], s[2:3]
	s_mov_b64 s[28:29], s[0:1]
	s_mov_b32 s10, s7
	s_add_u32 s28, s28, s9
	s_clause 0x2
	s_load_dword s9, s[4:5], 0x80
	s_load_dwordx2 s[0:1], s[4:5], 0x30
	s_load_dwordx2 s[24:25], s[4:5], 0x20
	s_addc_u32 s29, s29, 0
	s_ashr_i32 s11, s7, 31
	v_mov_b32_e32 v42, v0
	s_lshl_b64 s[2:3], s[10:11], 2
	s_waitcnt lgkmcnt(0)
	s_add_u32 s0, s0, s2
	s_addc_u32 s1, s1, s3
	s_abs_i32 s2, s24
	s_abs_i32 s11, s9
	v_cvt_f32_u32_e32 v0, s2
	s_sub_i32 s7, 0, s2
	v_rcp_iflag_f32_e32 v0, v0
	v_mul_f32_e32 v0, 0x4f7ffffe, v0
	v_cvt_u32_f32_e32 v0, v0
	v_readfirstlane_b32 s3, v0
	s_mul_i32 s7, s7, s3
	s_mul_hi_u32 s7, s3, s7
	s_add_i32 s3, s3, s7
	s_xor_b32 s7, s9, s24
	s_mul_hi_u32 s3, s11, s3
	s_ashr_i32 s7, s7, 31
	s_mul_i32 s12, s3, s2
	s_mov_b32 s24, 0
	s_sub_i32 s11, s11, s12
	s_add_i32 s12, s3, 1
	s_sub_i32 s13, s11, s2
	s_cmp_ge_u32 s11, s2
	s_cselect_b32 s3, s12, s3
	s_cselect_b32 s11, s13, s11
	s_add_i32 s12, s3, 1
	s_cmp_ge_u32 s11, s2
	s_cselect_b32 s2, s12, s3
	s_abs_i32 s17, s6
	s_xor_b32 s2, s2, s7
	s_sub_i32 s18, s2, s7
	s_load_dwordx2 s[2:3], s[4:5], 0x40
	s_abs_i32 s16, s18
	v_cvt_f32_u32_e32 v0, s16
	s_sub_i32 s11, 0, s16
	v_rcp_iflag_f32_e32 v0, v0
	v_mul_f32_e32 v0, 0x4f7ffffe, v0
	v_cvt_u32_f32_e32 v0, v0
	v_readfirstlane_b32 s7, v0
	s_mul_i32 s11, s11, s7
	s_mul_hi_u32 s11, s7, s11
	s_add_i32 s7, s7, s11
	s_waitcnt lgkmcnt(0)
	s_cmp_eq_u64 s[2:3], 0
	s_mul_hi_u32 s20, s17, s7
	s_cbranch_scc1 .LBB34_2
; %bb.1:
	s_ashr_i32 s7, s6, 31
	s_lshl_b64 s[12:13], s[6:7], 2
	s_add_u32 s2, s2, s12
	s_addc_u32 s3, s3, s13
	s_load_dword s24, s[2:3], 0x0
.LBB34_2:
	s_load_dword s11, s[0:1], 0x0
	s_load_dwordx4 s[12:15], s[4:5], 0x48
	v_and_b32_e32 v41, 1, v42
	v_lshlrev_b32_e32 v1, 3, v42
	v_lshlrev_b32_e32 v11, 2, v42
	s_ashr_i32 s0, s6, 31
	s_ashr_i32 s1, s18, 31
	s_mulk_i32 s6, 0xc0
	s_mov_b32 s2, exec_lo
	v_cmpx_gt_u32_e32 0x60, v42
	s_cbranch_execz .LBB34_4
; %bb.3:
	s_load_dwordx2 s[18:19], s[4:5], 0x8
	s_waitcnt lgkmcnt(0)
	s_mul_i32 s22, s12, s10
	v_and_b32_e32 v0, 0xff8, v11
	s_ashr_i32 s23, s22, 31
	s_lshl_b64 s[22:23], s[22:23], 2
	v_mad_u32_u24 v0, 0x180, v41, v0
	s_add_u32 s3, s18, s22
	s_addc_u32 s12, s19, s23
	s_ashr_i32 s7, s6, 31
	s_lshl_b64 s[18:19], s[6:7], 2
	s_add_u32 s18, s3, s18
	s_addc_u32 s19, s12, s19
	global_load_dwordx2 v[2:3], v1, s[18:19]
	s_waitcnt vmcnt(0)
	ds_write_b64 v0, v[2:3]
.LBB34_4:
	s_or_b32 exec_lo, exec_lo, s2
	s_waitcnt lgkmcnt(0)
	s_add_i32 s2, s11, 15
	s_clause 0x1
	s_load_dwordx2 s[18:19], s[4:5], 0x28
	s_load_dword s7, s[4:5], 0x38
	s_ashr_i32 s3, s2, 31
	s_xor_b32 s0, s0, s1
	s_lshr_b32 s3, s3, 28
	s_mul_i32 s1, s20, s16
	s_add_i32 s2, s2, s3
	s_sub_i32 s1, s17, s1
	s_ashr_i32 s12, s2, 4
	s_add_i32 s2, s20, 1
	s_sub_i32 s3, s1, s16
	s_cmp_ge_u32 s1, s16
	v_lshrrev_b32_e32 v111, 5, v42
	s_cselect_b32 s2, s2, s20
	s_cselect_b32 s1, s3, s1
	s_add_i32 s3, s2, 1
	s_cmp_ge_u32 s1, s16
	v_mbcnt_lo_u32_b32 v102, -1, 0
	s_cselect_b32 s1, s3, s2
	s_mov_b32 s2, exec_lo
	s_xor_b32 s1, s1, s0
	s_waitcnt lgkmcnt(0)
	s_mul_i32 s20, s7, s10
	s_sub_i32 s1, s1, s0
	v_cmp_gt_i32_e64 s0, s12, v111
	s_ashr_i32 s21, s20, 31
	s_barrier
	buffer_gl0_inv
                                        ; implicit-def: $vgpr0
                                        ; implicit-def: $vgpr101
	v_cmpx_le_i32_e64 s12, v111
	s_xor_b32 s2, exec_lo, s2
; %bb.5:
	v_mov_b32_e32 v0, 0
	v_mbcnt_lo_u32_b32 v102, -1, 0
	v_mov_b32_e32 v101, 32
                                        ; implicit-def: $vgpr1
                                        ; implicit-def: $vgpr41
; %bb.6:
	s_or_saveexec_b32 s26, s2
	s_clause 0x2
	s_load_dwordx2 s[16:17], s[4:5], 0x0
	s_load_dwordx2 s[22:23], s[4:5], 0x18
	s_load_dword s7, s[4:5], 0x88
	v_mov_b32_e32 v108, 0xff7fffff
	v_lshrrev_b32_e32 v99, 3, v42
	s_mul_i32 s14, s1, s14
	buffer_store_dword v42, off, s[28:31], 0 offset:24 ; 4-byte Folded Spill
	buffer_store_dword v111, off, s[28:31], 0 offset:28 ; 4-byte Folded Spill
	s_xor_b32 exec_lo, exec_lo, s26
	s_cbranch_execz .LBB34_12
; %bb.7:
	s_load_dwordx2 s[2:3], s[4:5], 0x10
	v_bfe_u32 v97, v42, 1, 4
	v_xor_b32_e32 v26, 1, v102
	s_ashr_i32 s15, s14, 31
	v_and_b32_e32 v25, 8, v1
	s_lshl_b64 s[4:5], s[14:15], 2
	v_lshlrev_b32_e32 v27, 4, v97
	v_cmp_gt_i32_e32 vcc_lo, 32, v26
	v_mul_u32_u24_e32 v93, 0x180, v41
	buffer_store_dword v11, off, s[28:31], 0 ; 4-byte Folded Spill
	ds_read_b128 v[1:4], v93
	ds_read_b128 v[5:8], v93 offset:16
	ds_read_b128 v[9:12], v93 offset:32
	;; [unrolled: 1-line block ×5, first 2 shown]
	v_cndmask_b32_e32 v42, v102, v26, vcc_lo
	v_lshlrev_b32_e32 v98, 2, v97
	v_lshl_or_b32 v109, v111, 4, v97
	v_and_b32_e32 v97, 0x7c, v99
	v_mov_b32_e32 v0, 0
	v_lshlrev_b32_e32 v107, 2, v42
	s_waitcnt lgkmcnt(0)
	s_add_u32 s1, s2, s4
	s_addc_u32 s2, s3, s5
	v_add_co_u32 v27, s1, s1, v27
	v_add_co_ci_u32_e64 v28, null, s2, 0, s1
	s_lshl_b64 s[2:3], s[20:21], 2
	v_add_co_u32 v105, vcc_lo, v27, v25
	v_add_co_ci_u32_e64 v106, null, 0, v28, vcc_lo
	ds_read_b128 v[25:28], v93 offset:96
	ds_read_b128 v[29:32], v93 offset:112
	;; [unrolled: 1-line block ×4, first 2 shown]
	v_cmp_eq_u32_e32 vcc_lo, 0, v41
	ds_read_b128 v[41:44], v93 offset:160
	ds_read_b128 v[45:48], v93 offset:176
	;; [unrolled: 1-line block ×14, first 2 shown]
	v_lshl_or_b32 v98, v111, 6, v98
	s_sub_i32 s4, 1, s11
	s_add_u32 s2, s18, s2
	s_addc_u32 s3, s19, s3
	v_add_co_u32 v97, s2, s2, v97
	v_mov_b32_e32 v101, 32
	v_cmp_neq_f32_e64 s1, s24, 0
	v_add_nc_u32_e32 v110, 0x320, v98
	v_add_co_ci_u32_e64 v98, null, s3, 0, s2
	v_mov_b32_e32 v108, 0xff7fffff
	s_mov_b32 s15, s13
	s_mov_b32 s5, 0
	buffer_store_dword v99, off, s[28:31], 0 offset:4 ; 4-byte Folded Spill
	s_branch .LBB34_9
.LBB34_8:                               ;   in Loop: Header=BB34_9 Depth=1
	s_or_b32 exec_lo, exec_lo, s3
	v_add_nc_u32_e32 v111, 4, v111
	v_add_co_u32 v97, s3, v97, 16
	v_add_nc_u32_e32 v109, 64, v109
	v_add_nc_u32_e32 v110, 0x100, v110
	v_cmp_le_i32_e64 s2, s12, v111
	v_add_co_ci_u32_e64 v98, null, 0, v98, s3
	s_or_b32 s5, s2, s5
	s_andn2_b32 exec_lo, exec_lo, s5
	s_cbranch_execz .LBB34_11
.LBB34_9:                               ; =>This Inner Loop Header: Depth=1
	global_load_dword v99, v[97:98], off
	s_waitcnt vmcnt(0) lgkmcnt(0)
	v_mad_i64_i32 v[99:100], null, v99, s15, 0
	v_lshlrev_b64 v[99:100], 2, v[99:100]
	v_add_co_u32 v99, s2, v105, v99
	v_add_co_ci_u32_e64 v100, null, v106, v100, s2
	s_clause 0x3
	global_load_dwordx2 v[112:113], v[99:100], off offset:256
	global_load_dwordx2 v[114:115], v[99:100], off offset:512
	;; [unrolled: 1-line block ×3, first 2 shown]
	global_load_dwordx2 v[118:119], v[99:100], off
	s_waitcnt vmcnt(3)
	v_mul_f32_e32 v112, v3, v112
	v_mul_f32_e32 v113, v4, v113
	s_waitcnt vmcnt(0)
	v_fmac_f32_e32 v112, v1, v118
	v_fmac_f32_e32 v113, v2, v119
	;; [unrolled: 1-line block ×6, first 2 shown]
	s_clause 0x3
	global_load_dwordx2 v[114:115], v[99:100], off offset:1024
	global_load_dwordx2 v[116:117], v[99:100], off offset:1280
	;; [unrolled: 1-line block ×4, first 2 shown]
	s_waitcnt vmcnt(3)
	v_fmac_f32_e32 v112, v9, v114
	v_fmac_f32_e32 v113, v10, v115
	v_add_co_u32 v114, s2, v99, 0x1000
	v_add_co_ci_u32_e64 v115, null, 0, v100, s2
	s_waitcnt vmcnt(2)
	v_fmac_f32_e32 v112, v11, v116
	v_fmac_f32_e32 v113, v12, v117
	v_add_co_u32 v116, s2, v99, 0x2000
	v_add_co_ci_u32_e64 v117, null, 0, v100, s2
	s_waitcnt vmcnt(1)
	v_fmac_f32_e32 v112, v13, v118
	v_fmac_f32_e32 v113, v14, v119
	s_waitcnt vmcnt(0)
	v_fmac_f32_e32 v112, v15, v120
	v_fmac_f32_e32 v113, v16, v121
	s_clause 0x3
	global_load_dwordx2 v[118:119], v[114:115], off offset:-2048
	global_load_dwordx2 v[114:115], v[114:115], off
	global_load_dwordx2 v[120:121], v[116:117], off offset:-2048
	global_load_dwordx2 v[116:117], v[116:117], off
	s_waitcnt vmcnt(3)
	v_fmac_f32_e32 v112, v17, v118
	v_add_co_u32 v118, s2, 0x800, v99
	v_fmac_f32_e32 v113, v18, v119
	v_add_co_ci_u32_e64 v119, null, 0, v100, s2
	s_clause 0x3
	global_load_dwordx2 v[122:123], v[118:119], off offset:256
	global_load_dwordx2 v[124:125], v[118:119], off offset:512
	;; [unrolled: 1-line block ×4, first 2 shown]
	s_waitcnt vmcnt(3)
	v_fmac_f32_e32 v112, v19, v122
	v_fmac_f32_e32 v113, v20, v123
	s_waitcnt vmcnt(2)
	v_fmac_f32_e32 v112, v21, v124
	v_fmac_f32_e32 v113, v22, v125
	v_add_co_u32 v124, s2, 0x1000, v99
	v_add_co_ci_u32_e64 v125, null, 0, v100, s2
	s_waitcnt vmcnt(1)
	v_fmac_f32_e32 v112, v23, v126
	v_fmac_f32_e32 v113, v24, v127
	s_waitcnt vmcnt(0) lgkmcnt(17)
	v_fmac_f32_e32 v112, v25, v103
	v_fmac_f32_e32 v113, v26, v104
	s_clause 0x3
	global_load_dwordx2 v[103:104], v[118:119], off offset:1280
	global_load_dwordx2 v[122:123], v[118:119], off offset:1536
	;; [unrolled: 1-line block ×4, first 2 shown]
	s_waitcnt vmcnt(3)
	v_fmac_f32_e32 v112, v27, v103
	v_fmac_f32_e32 v113, v28, v104
	s_waitcnt vmcnt(2) lgkmcnt(16)
	v_fmac_f32_e32 v112, v29, v122
	v_fmac_f32_e32 v113, v30, v123
	s_waitcnt vmcnt(1)
	v_fmac_f32_e32 v112, v31, v118
	v_fmac_f32_e32 v113, v32, v119
	s_waitcnt lgkmcnt(15)
	v_fmac_f32_e32 v112, v33, v114
	v_fmac_f32_e32 v113, v34, v115
	s_clause 0x3
	global_load_dwordx2 v[103:104], v[124:125], off offset:512
	global_load_dwordx2 v[114:115], v[124:125], off offset:768
	;; [unrolled: 1-line block ×4, first 2 shown]
	s_waitcnt vmcnt(4)
	v_fmac_f32_e32 v112, v35, v126
	v_fmac_f32_e32 v113, v36, v127
	s_waitcnt vmcnt(3) lgkmcnt(14)
	v_fmac_f32_e32 v112, v37, v103
	v_fmac_f32_e32 v113, v38, v104
	s_waitcnt vmcnt(2)
	v_fmac_f32_e32 v112, v39, v114
	v_fmac_f32_e32 v113, v40, v115
	s_clause 0x1
	global_load_dwordx2 v[103:104], v[124:125], off offset:1536
	global_load_dwordx2 v[114:115], v[124:125], off offset:1792
	s_waitcnt vmcnt(3) lgkmcnt(13)
	v_fmac_f32_e32 v112, v41, v118
	v_add_co_u32 v118, s2, 0x1800, v99
	v_fmac_f32_e32 v113, v42, v119
	v_add_co_ci_u32_e64 v119, null, 0, v100, s2
	s_waitcnt vmcnt(2)
	v_fmac_f32_e32 v112, v43, v122
	v_fmac_f32_e32 v113, v44, v123
	s_clause 0x1
	global_load_dwordx2 v[122:123], v[118:119], off offset:256
	global_load_dwordx2 v[124:125], v[118:119], off offset:512
	s_waitcnt vmcnt(3) lgkmcnt(12)
	v_fmac_f32_e32 v112, v45, v103
	v_fmac_f32_e32 v113, v46, v104
	s_waitcnt vmcnt(2)
	v_fmac_f32_e32 v112, v47, v114
	v_fmac_f32_e32 v113, v48, v115
	s_waitcnt lgkmcnt(11)
	v_fmac_f32_e32 v112, v49, v120
	v_fmac_f32_e32 v113, v50, v121
	s_waitcnt vmcnt(1)
	v_fmac_f32_e32 v112, v51, v122
	v_fmac_f32_e32 v113, v52, v123
	s_clause 0x3
	global_load_dwordx2 v[103:104], v[118:119], off offset:768
	global_load_dwordx2 v[114:115], v[118:119], off offset:1024
	;; [unrolled: 1-line block ×4, first 2 shown]
	s_waitcnt vmcnt(4) lgkmcnt(10)
	v_fmac_f32_e32 v112, v53, v124
	v_fmac_f32_e32 v113, v54, v125
	s_waitcnt vmcnt(3)
	v_fmac_f32_e32 v112, v55, v103
	v_fmac_f32_e32 v113, v56, v104
	global_load_dwordx2 v[103:104], v[118:119], off offset:1792
	s_waitcnt vmcnt(3) lgkmcnt(9)
	v_fmac_f32_e32 v112, v57, v114
	v_fmac_f32_e32 v113, v58, v115
	v_add_co_u32 v114, s2, 0x2000, v99
	v_add_co_ci_u32_e64 v115, null, 0, v100, s2
	s_waitcnt vmcnt(2)
	v_fmac_f32_e32 v112, v59, v120
	v_fmac_f32_e32 v113, v60, v121
	v_add_co_u32 v99, s2, 0x2800, v99
	v_add_co_ci_u32_e64 v100, null, 0, v100, s2
	s_waitcnt vmcnt(1) lgkmcnt(8)
	v_fmac_f32_e32 v112, v61, v122
	v_fmac_f32_e32 v113, v62, v123
	s_clause 0x2
	global_load_dwordx2 v[118:119], v[114:115], off offset:256
	global_load_dwordx2 v[120:121], v[114:115], off offset:512
	;; [unrolled: 1-line block ×3, first 2 shown]
	s_waitcnt vmcnt(3)
	v_fmac_f32_e32 v112, v63, v103
	v_fmac_f32_e32 v113, v64, v104
	s_waitcnt lgkmcnt(7)
	v_fmac_f32_e32 v112, v65, v116
	v_fmac_f32_e32 v113, v66, v117
	s_waitcnt vmcnt(2)
	v_fmac_f32_e32 v112, v67, v118
	v_fmac_f32_e32 v113, v68, v119
	s_clause 0x3
	global_load_dwordx2 v[103:104], v[114:115], off offset:1024
	global_load_dwordx2 v[116:117], v[114:115], off offset:1280
	;; [unrolled: 1-line block ×4, first 2 shown]
	s_waitcnt vmcnt(5) lgkmcnt(6)
	v_fmac_f32_e32 v112, v69, v120
	v_fmac_f32_e32 v113, v70, v121
	s_waitcnt vmcnt(4)
	v_fmac_f32_e32 v112, v71, v122
	v_fmac_f32_e32 v113, v72, v123
	s_waitcnt vmcnt(3) lgkmcnt(5)
	v_fmac_f32_e32 v112, v73, v103
	v_fmac_f32_e32 v113, v74, v104
	s_waitcnt vmcnt(2)
	v_fmac_f32_e32 v112, v75, v116
	v_fmac_f32_e32 v113, v76, v117
	;; [unrolled: 6-line block ×3, first 2 shown]
	s_clause 0x3
	global_load_dwordx2 v[103:104], v[99:100], off
	global_load_dwordx2 v[114:115], v[99:100], off offset:256
	global_load_dwordx2 v[116:117], v[99:100], off offset:512
	;; [unrolled: 1-line block ×3, first 2 shown]
	s_waitcnt vmcnt(3) lgkmcnt(3)
	v_fmac_f32_e32 v112, v81, v103
	v_fmac_f32_e32 v113, v82, v104
	s_waitcnt vmcnt(2)
	v_fmac_f32_e32 v112, v83, v114
	v_fmac_f32_e32 v113, v84, v115
	s_waitcnt vmcnt(1) lgkmcnt(2)
	v_fmac_f32_e32 v112, v85, v116
	v_fmac_f32_e32 v113, v86, v117
	s_clause 0x3
	global_load_dwordx2 v[103:104], v[99:100], off offset:1024
	global_load_dwordx2 v[114:115], v[99:100], off offset:1280
	;; [unrolled: 1-line block ×4, first 2 shown]
	s_waitcnt vmcnt(4)
	v_fmac_f32_e32 v112, v87, v118
	v_fmac_f32_e32 v113, v88, v119
	s_waitcnt vmcnt(3) lgkmcnt(1)
	v_fmac_f32_e32 v112, v89, v103
	v_fmac_f32_e32 v113, v90, v104
	s_waitcnt vmcnt(2)
	v_fmac_f32_e32 v112, v91, v114
	v_fmac_f32_e32 v113, v92, v115
	s_waitcnt vmcnt(1) lgkmcnt(0)
	v_fmac_f32_e32 v112, v93, v116
	v_fmac_f32_e32 v113, v94, v117
	s_waitcnt vmcnt(0)
	v_fmac_f32_e32 v112, v95, v99
	v_fmac_f32_e32 v113, v96, v100
	v_add_f32_e32 v99, v112, v113
	ds_bpermute_b32 v100, v107, v99
	s_and_saveexec_b32 s3, vcc_lo
	s_cbranch_execz .LBB34_8
; %bb.10:                               ;   in Loop: Header=BB34_9 Depth=1
	v_add_nc_u32_e32 v103, s4, v109
	s_waitcnt lgkmcnt(0)
	v_add_f32_e32 v99, v99, v100
	v_cmp_gt_i32_e64 s2, s11, v109
	v_cvt_f32_i32_e32 v103, v103
	v_mul_f32_e32 v103, s24, v103
	v_cndmask_b32_e64 v100, 0, v103, s1
	v_max_f32_e32 v103, v108, v108
	v_fmac_f32_e32 v100, s25, v99
	v_max_f32_e32 v99, v103, v100
	v_cndmask_b32_e64 v100, 0, v100, s2
	v_cndmask_b32_e64 v108, v108, v99, s2
	ds_write_b32 v110, v100
	s_branch .LBB34_8
.LBB34_11:
	s_or_b32 exec_lo, exec_lo, s5
	s_clause 0x3
	buffer_load_dword v42, off, s[28:31], 0 offset:24
	buffer_load_dword v111, off, s[28:31], 0 offset:28
	buffer_load_dword v11, off, s[28:31], 0
	buffer_load_dword v99, off, s[28:31], 0 offset:4
.LBB34_12:
	s_or_b32 exec_lo, exec_lo, s26
	v_xor_b32_e32 v1, 16, v102
	v_xor_b32_e32 v3, 8, v102
	v_max_f32_e32 v4, v108, v108
	v_xor_b32_e32 v5, 4, v102
	s_waitcnt vmcnt(3)
	v_and_b32_e32 v43, 31, v42
	v_cmp_lt_i32_e32 vcc_lo, v1, v101
	v_cndmask_b32_e32 v1, v102, v1, vcc_lo
	v_cmp_lt_i32_e32 vcc_lo, v3, v101
	v_lshlrev_b32_e32 v1, 2, v1
	v_cndmask_b32_e32 v3, v102, v3, vcc_lo
	v_cmp_lt_i32_e32 vcc_lo, v5, v101
	ds_bpermute_b32 v2, v1, v108
	v_lshlrev_b32_e32 v3, 2, v3
	v_cndmask_b32_e32 v5, v102, v5, vcc_lo
	s_waitcnt lgkmcnt(0)
	v_max_f32_e32 v2, v2, v2
	v_max_f32_e32 v2, v4, v2
	ds_bpermute_b32 v4, v3, v2
	s_waitcnt lgkmcnt(0)
	v_max_f32_e32 v6, v4, v4
	v_lshlrev_b32_e32 v4, 2, v5
	v_max_f32_e32 v2, v2, v6
	v_xor_b32_e32 v6, 2, v102
	ds_bpermute_b32 v5, v4, v2
	v_cmp_lt_i32_e32 vcc_lo, v6, v101
	v_cndmask_b32_e32 v6, v102, v6, vcc_lo
	v_cmp_eq_u32_e32 vcc_lo, 0, v43
	v_lshlrev_b32_e32 v31, 2, v6
	s_waitcnt lgkmcnt(0)
	v_max_f32_e32 v5, v5, v5
	v_max_f32_e32 v2, v2, v5
	s_waitcnt vmcnt(2)
	v_lshlrev_b32_e32 v5, 2, v111
	ds_bpermute_b32 v6, v31, v2
	s_and_saveexec_b32 s1, vcc_lo
	s_cbranch_execz .LBB34_14
; %bb.13:
	s_waitcnt lgkmcnt(0)
	v_max_f32_e32 v6, v6, v6
	v_max_f32_e32 v2, v2, v2
	;; [unrolled: 1-line block ×3, first 2 shown]
	ds_write_b32 v5, v2 offset:768
.LBB34_14:
	s_or_b32 exec_lo, exec_lo, s1
	v_cmp_gt_u32_e64 s1, 4, v43
	v_mov_b32_e32 v2, 0xff7fffff
	s_waitcnt lgkmcnt(0)
	v_lshlrev_b32_e32 v6, 2, v43
	s_waitcnt vmcnt(0)
	s_waitcnt_vscnt null, 0x0
	s_barrier
	buffer_gl0_inv
	s_and_saveexec_b32 s2, s1
; %bb.15:
	ds_read_b32 v2, v6 offset:768
; %bb.16:
	s_or_b32 exec_lo, exec_lo, s2
	s_waitcnt lgkmcnt(0)
	ds_bpermute_b32 v7, v31, v2
	v_xor_b32_e32 v8, 1, v102
	v_max_f32_e32 v2, v2, v2
	v_lshlrev_b32_e32 v0, 2, v0
	v_cmp_lt_i32_e64 s2, v8, v101
	v_cndmask_b32_e64 v8, v102, v8, s2
	s_lshl_b32 s2, s12, 4
	s_min_i32 s4, s2, s11
	v_lshlrev_b32_e32 v44, 2, v8
	v_cmp_gt_i32_e64 s2, s4, v42
	s_waitcnt lgkmcnt(0)
	v_max_f32_e32 v7, v7, v7
	v_max_f32_e32 v2, v2, v7
	ds_bpermute_b32 v7, v44, v2
	s_waitcnt lgkmcnt(0)
	v_max_f32_e32 v7, v7, v7
	v_max_f32_e32 v2, v2, v7
	v_mov_b32_e32 v7, 0
	ds_bpermute_b32 v8, v0, v2
	v_lshl_add_u32 v2, v42, 2, 0x320
	s_and_saveexec_b32 s5, s2
	s_cbranch_execz .LBB34_20
; %bb.17:
	v_lshl_add_u32 v9, v42, 2, 0x320
	v_mov_b32_e32 v7, 0
	v_mov_b32_e32 v10, v42
	s_mov_b32 s15, 0
	.p2align	6
.LBB34_18:                              ; =>This Inner Loop Header: Depth=1
	ds_read_b32 v0, v9
	v_add_nc_u32_e32 v10, 0x80, v10
	v_cmp_le_i32_e64 s3, s4, v10
	s_or_b32 s15, s3, s15
	s_waitcnt lgkmcnt(0)
	v_sub_f32_e32 v0, v0, v8
	v_mul_f32_e32 v0, 0x3fb8aa3b, v0
	v_exp_f32_e32 v0, v0
	ds_write_b32 v9, v0
	v_add_f32_e32 v7, v7, v0
	v_add_nc_u32_e32 v9, 0x200, v9
	s_andn2_b32 exec_lo, exec_lo, s15
	s_cbranch_execnz .LBB34_18
; %bb.19:
	s_or_b32 exec_lo, exec_lo, s15
.LBB34_20:
	s_or_b32 exec_lo, exec_lo, s5
	ds_bpermute_b32 v0, v1, v7
	s_waitcnt lgkmcnt(0)
	v_add_f32_e32 v0, v7, v0
	ds_bpermute_b32 v1, v3, v0
	s_waitcnt lgkmcnt(0)
	v_add_f32_e32 v0, v0, v1
	;; [unrolled: 3-line block ×5, first 2 shown]
	s_and_saveexec_b32 s3, vcc_lo
; %bb.21:
	ds_write_b32 v5, v1 offset:784
; %bb.22:
	s_or_b32 exec_lo, exec_lo, s3
	s_waitcnt lgkmcnt(0)
	s_barrier
	buffer_gl0_inv
	s_and_saveexec_b32 s3, s1
; %bb.23:
	ds_read_b32 v1, v6 offset:784
; %bb.24:
	s_or_b32 exec_lo, exec_lo, s3
	s_waitcnt lgkmcnt(0)
	ds_bpermute_b32 v0, v31, v1
	v_lshlrev_b32_e32 v3, 2, v102
	s_waitcnt lgkmcnt(0)
	v_add_f32_e32 v0, v1, v0
	ds_bpermute_b32 v1, v44, v0
	s_waitcnt lgkmcnt(0)
	v_add_f32_e32 v0, v0, v1
	v_and_b32_e32 v1, 0xffffff80, v3
	ds_bpermute_b32 v1, v1, v0
	s_and_saveexec_b32 s1, s2
	s_cbranch_execz .LBB34_27
; %bb.25:
	s_waitcnt lgkmcnt(0)
	v_add_f32_e32 v0, 0x358637bd, v1
	s_mov_b32 s2, 0
	v_div_scale_f32 v1, null, v0, v0, 1.0
	v_div_scale_f32 v5, vcc_lo, 1.0, v0, 1.0
	v_rcp_f32_e32 v3, v1
	v_fma_f32 v4, -v1, v3, 1.0
	v_fmac_f32_e32 v3, v4, v3
	v_mul_f32_e32 v4, v5, v3
	v_fma_f32 v6, -v1, v4, v5
	v_fmac_f32_e32 v4, v6, v3
	v_fma_f32 v1, -v1, v4, v5
	v_div_fmas_f32 v1, v1, v3, v4
	v_mov_b32_e32 v3, v42
	v_div_fixup_f32 v1, v1, v0, 1.0
.LBB34_26:                              ; =>This Inner Loop Header: Depth=1
	ds_read_b32 v0, v2
	v_add_nc_u32_e32 v3, 0x80, v3
	v_cmp_le_i32_e32 vcc_lo, s4, v3
	s_or_b32 s2, vcc_lo, s2
	s_waitcnt lgkmcnt(0)
	v_mul_f32_e32 v0, v1, v0
	ds_write_b32 v2, v0
	v_add_nc_u32_e32 v2, 0x200, v2
	s_andn2_b32 exec_lo, exec_lo, s2
	s_cbranch_execnz .LBB34_26
.LBB34_27:
	s_or_b32 exec_lo, exec_lo, s1
	v_mov_b32_e32 v5, 0
	v_and_b32_e32 v45, 3, v42
	v_mov_b32_e32 v113, 0
	v_mov_b32_e32 v112, 0
	;; [unrolled: 1-line block ×23, first 2 shown]
	s_waitcnt lgkmcnt(0)
	s_barrier
	buffer_gl0_inv
	s_and_saveexec_b32 s1, s0
	s_cbranch_execz .LBB34_79
; %bb.28:
	v_lshlrev_b32_e32 v1, 4, v42
	s_ashr_i32 s15, s14, 31
	buffer_store_dword v44, off, s[28:31], 0 offset:40 ; 4-byte Folded Spill
	buffer_store_dword v31, off, s[28:31], 0 offset:36 ; 4-byte Folded Spill
	;; [unrolled: 1-line block ×3, first 2 shown]
	s_lshl_b64 s[2:3], s[14:15], 2
	v_lshlrev_b32_e32 v2, 4, v45
	v_and_b32_e32 v1, 0x1f0, v1
	s_add_u32 s0, s22, s2
	s_addc_u32 s3, s23, s3
	s_lshl_b64 s[4:5], s[20:21], 2
	s_add_i32 s2, s12, -1
	v_add_co_u32 v1, s0, s0, v1
	v_and_b32_e32 v0, 12, v11
	v_lshlrev_b32_e32 v3, 4, v111
	v_lshl_or_b32 v2, v111, 6, v2
	buffer_store_dword v1, off, s[28:31], 0 offset:16 ; 4-byte Folded Spill
	v_add_co_ci_u32_e64 v1, null, s3, 0, s0
	s_add_u32 s0, s18, s4
	s_addc_u32 s3, s19, s5
	v_mov_b32_e32 v41, 0
	buffer_store_dword v1, off, s[28:31], 0 offset:20 ; 4-byte Folded Spill
	v_and_b32_e32 v1, 0x7c, v99
	v_or3_b32 v0, v3, v0, 3
	v_mov_b32_e32 v108, v111
	v_add_nc_u32_e32 v105, 0x320, v2
	v_mov_b32_e32 v114, 0
	v_add_co_u32 v101, s0, s0, v1
	v_mov_b32_e32 v1, 0
	v_add_co_ci_u32_e64 v102, null, s3, 0, s0
	v_mov_b32_e32 v115, 0
	v_mov_b32_e32 v116, 0
	buffer_store_dword v1, off, s[28:31], 0 ; 4-byte Folded Spill
	v_mov_b32_e32 v1, 0
	v_mov_b32_e32 v117, 0
	v_mov_b32_e32 v118, 0
	v_mov_b32_e32 v119, 0
	v_mov_b32_e32 v120, 0
	v_mov_b32_e32 v121, 0
	v_mov_b32_e32 v122, 0
	v_mov_b32_e32 v123, 0
	v_mov_b32_e32 v124, 0
	v_mov_b32_e32 v125, 0
	v_mov_b32_e32 v126, 0
	v_mov_b32_e32 v127, 0
	v_mov_b32_e32 v107, 0
	v_mov_b32_e32 v103, 0
	v_mov_b32_e32 v104, 0
	v_mov_b32_e32 v106, 0
	v_mov_b32_e32 v112, 0
	v_mov_b32_e32 v113, 0
	v_mov_b32_e32 v5, 0
	s_mov_b32 s4, s13
	s_mov_b32 s3, 0
	buffer_store_dword v45, off, s[28:31], 0 offset:44 ; 4-byte Folded Spill
	buffer_store_dword v1, off, s[28:31], 0 offset:4 ; 4-byte Folded Spill
	s_branch .LBB34_30
.LBB34_29:                              ;   in Loop: Header=BB34_30 Depth=1
	s_or_b32 exec_lo, exec_lo, s0
	s_waitcnt vmcnt(14) lgkmcnt(0)
	v_mul_f32_e32 v41, v1, v41
	s_waitcnt vmcnt(1)
	v_mul_f32_e32 v97, v1, v97
	v_mul_f32_e32 v93, v1, v93
	v_mul_f32_e32 v5, v1, v5
	v_mul_f32_e32 v89, v1, v89
	v_fmac_f32_e32 v41, v2, v42
	v_fmac_f32_e32 v97, v2, v98
	buffer_load_dword v98, off, s[28:31], 0 ; 4-byte Folded Reload
	v_fmac_f32_e32 v93, v2, v94
	buffer_load_dword v94, off, s[28:31], 0 offset:4 ; 4-byte Folded Reload
	v_fmac_f32_e32 v41, v3, v43
	v_fmac_f32_e32 v5, v2, v6
	buffer_load_dword v6, off, s[28:31], 0 offset:12 ; 4-byte Folded Reload
	v_mul_f32_e32 v85, v1, v85
	v_mul_f32_e32 v81, v1, v81
	v_fmac_f32_e32 v41, v4, v44
	v_mul_f32_e32 v77, v1, v77
	v_mul_f32_e32 v73, v1, v73
	v_mul_f32_e32 v65, v1, v65
	v_mul_f32_e32 v61, v1, v61
	v_add_f32_e32 v125, v125, v41
	buffer_load_dword v41, off, s[28:31], 0 offset:8 ; 4-byte Folded Reload
	v_mul_f32_e32 v57, v1, v57
	v_mul_f32_e32 v53, v1, v53
	v_mul_f32_e32 v49, v1, v49
	v_mul_f32_e32 v45, v1, v45
	v_mul_f32_e32 v37, v1, v37
	v_mul_f32_e32 v33, v1, v33
	v_mul_f32_e32 v29, v1, v29
	v_mul_f32_e32 v25, v1, v25
	v_mul_f32_e32 v21, v1, v21
	v_mul_f32_e32 v17, v1, v17
	v_mul_f32_e32 v13, v1, v13
	v_mul_f32_e32 v9, v1, v9
	s_waitcnt vmcnt(4)
	v_mul_f32_e32 v1, v1, v69
	v_fmac_f32_e32 v89, v2, v90
	v_fmac_f32_e32 v85, v2, v86
	;; [unrolled: 1-line block ×43, first 2 shown]
	v_add_nc_u32_e32 v108, 4, v108
	v_fmac_f32_e32 v97, v4, v100
	v_fmac_f32_e32 v93, v4, v96
	;; [unrolled: 1-line block ×23, first 2 shown]
	v_add_co_u32 v101, vcc_lo, v101, 16
	v_add_co_ci_u32_e64 v102, null, 0, v102, vcc_lo
	v_cmp_le_i32_e32 vcc_lo, s12, v108
	v_add_f32_e32 v114, v114, v89
	v_add_f32_e32 v115, v115, v85
	;; [unrolled: 1-line block ×19, first 2 shown]
	v_add_nc_u32_e32 v0, 64, v0
	v_add_nc_u32_e32 v105, 0x100, v105
	s_or_b32 s3, vcc_lo, s3
	s_waitcnt vmcnt(3)
	v_add_f32_e32 v98, v98, v97
	s_waitcnt vmcnt(2)
	v_add_f32_e32 v94, v94, v93
	;; [unrolled: 2-line block ×3, first 2 shown]
	buffer_store_dword v98, off, s[28:31], 0 ; 4-byte Folded Spill
	buffer_store_dword v94, off, s[28:31], 0 offset:4 ; 4-byte Folded Spill
	s_waitcnt vmcnt(0)
	v_add_f32_e32 v41, v41, v1
	s_andn2_b32 exec_lo, exec_lo, s3
	s_cbranch_execz .LBB34_78
.LBB34_30:                              ; =>This Inner Loop Header: Depth=1
	buffer_store_dword v5, off, s[28:31], 0 offset:12 ; 4-byte Folded Spill
	buffer_store_dword v41, off, s[28:31], 0 offset:8 ; 4-byte Folded Spill
	global_load_dword v1, v[101:102], off
	buffer_load_dword v3, off, s[28:31], 0 offset:16 ; 4-byte Folded Reload
	v_add_nc_u32_e32 v109, -3, v0
	v_add_nc_u32_e32 v111, -2, v0
	;; [unrolled: 1-line block ×3, first 2 shown]
	s_waitcnt vmcnt(1)
	v_mad_i64_i32 v[1:2], null, v1, s4, 0
	v_lshlrev_b64 v[1:2], 2, v[1:2]
	s_waitcnt vmcnt(0)
	v_add_co_u32 v69, vcc_lo, v3, v1
	buffer_load_dword v1, off, s[28:31], 0 offset:20 ; 4-byte Folded Reload
	s_waitcnt vmcnt(0)
	v_add_co_ci_u32_e64 v70, null, v1, v2, vcc_lo
	ds_read_b128 v[1:4], v105
	v_cmp_eq_u32_e32 vcc_lo, s2, v108
	global_load_dwordx4 v[5:8], v[69:70], off
	s_and_saveexec_b32 s5, vcc_lo
	s_cbranch_execnz .LBB34_59
; %bb.31:                               ;   in Loop: Header=BB34_30 Depth=1
	s_or_b32 exec_lo, exec_lo, s5
	global_load_dwordx4 v[9:12], v[69:70], off offset:512
	s_and_saveexec_b32 s5, vcc_lo
	s_cbranch_execnz .LBB34_60
.LBB34_32:                              ;   in Loop: Header=BB34_30 Depth=1
	s_or_b32 exec_lo, exec_lo, s5
	global_load_dwordx4 v[13:16], v[69:70], off offset:1024
	s_and_saveexec_b32 s5, vcc_lo
	s_cbranch_execnz .LBB34_61
.LBB34_33:                              ;   in Loop: Header=BB34_30 Depth=1
	s_or_b32 exec_lo, exec_lo, s5
	global_load_dwordx4 v[17:20], v[69:70], off offset:1536
	s_and_saveexec_b32 s5, vcc_lo
	s_cbranch_execz .LBB34_35
.LBB34_34:                              ;   in Loop: Header=BB34_30 Depth=1
	v_cmp_gt_i32_e64 s0, s11, v109
	s_waitcnt vmcnt(0)
	v_cndmask_b32_e64 v17, 0, v17, s0
	v_cmp_gt_i32_e64 s0, s11, v111
	v_cndmask_b32_e64 v18, 0, v18, s0
	v_cmp_gt_i32_e64 s0, s11, v110
	;; [unrolled: 2-line block ×3, first 2 shown]
	v_cndmask_b32_e64 v20, 0, v20, s0
.LBB34_35:                              ;   in Loop: Header=BB34_30 Depth=1
	s_or_b32 exec_lo, exec_lo, s5
	v_add_co_u32 v33, s0, 0x800, v69
	v_add_co_ci_u32_e64 v34, null, 0, v70, s0
	global_load_dwordx4 v[21:24], v[33:34], off
	s_and_saveexec_b32 s5, vcc_lo
	s_cbranch_execnz .LBB34_62
; %bb.36:                               ;   in Loop: Header=BB34_30 Depth=1
	s_or_b32 exec_lo, exec_lo, s5
	global_load_dwordx4 v[25:28], v[33:34], off offset:512
	s_and_saveexec_b32 s5, vcc_lo
	s_cbranch_execnz .LBB34_63
.LBB34_37:                              ;   in Loop: Header=BB34_30 Depth=1
	s_or_b32 exec_lo, exec_lo, s5
	global_load_dwordx4 v[29:32], v[33:34], off offset:1024
	s_and_saveexec_b32 s5, vcc_lo
	s_cbranch_execnz .LBB34_64
.LBB34_38:                              ;   in Loop: Header=BB34_30 Depth=1
	s_or_b32 exec_lo, exec_lo, s5
	global_load_dwordx4 v[33:36], v[33:34], off offset:1536
	s_and_saveexec_b32 s5, vcc_lo
	s_cbranch_execz .LBB34_40
.LBB34_39:                              ;   in Loop: Header=BB34_30 Depth=1
	v_cmp_gt_i32_e64 s0, s11, v109
	s_waitcnt vmcnt(0)
	v_cndmask_b32_e64 v33, 0, v33, s0
	v_cmp_gt_i32_e64 s0, s11, v111
	v_cndmask_b32_e64 v34, 0, v34, s0
	v_cmp_gt_i32_e64 s0, s11, v110
	;; [unrolled: 2-line block ×3, first 2 shown]
	v_cndmask_b32_e64 v36, 0, v36, s0
.LBB34_40:                              ;   in Loop: Header=BB34_30 Depth=1
	s_or_b32 exec_lo, exec_lo, s5
	v_add_co_u32 v49, s0, 0x1000, v69
	v_add_co_ci_u32_e64 v50, null, 0, v70, s0
	global_load_dwordx4 v[37:40], v[49:50], off
	s_and_saveexec_b32 s5, vcc_lo
	s_cbranch_execnz .LBB34_65
; %bb.41:                               ;   in Loop: Header=BB34_30 Depth=1
	s_or_b32 exec_lo, exec_lo, s5
	global_load_dwordx4 v[41:44], v[49:50], off offset:512
	s_and_saveexec_b32 s5, vcc_lo
	s_cbranch_execnz .LBB34_66
.LBB34_42:                              ;   in Loop: Header=BB34_30 Depth=1
	s_or_b32 exec_lo, exec_lo, s5
	global_load_dwordx4 v[45:48], v[49:50], off offset:1024
	s_and_saveexec_b32 s5, vcc_lo
	s_cbranch_execnz .LBB34_67
.LBB34_43:                              ;   in Loop: Header=BB34_30 Depth=1
	s_or_b32 exec_lo, exec_lo, s5
	global_load_dwordx4 v[49:52], v[49:50], off offset:1536
	s_and_saveexec_b32 s5, vcc_lo
	s_cbranch_execz .LBB34_45
.LBB34_44:                              ;   in Loop: Header=BB34_30 Depth=1
	v_cmp_gt_i32_e64 s0, s11, v109
	s_waitcnt vmcnt(0)
	v_cndmask_b32_e64 v49, 0, v49, s0
	v_cmp_gt_i32_e64 s0, s11, v111
	v_cndmask_b32_e64 v50, 0, v50, s0
	v_cmp_gt_i32_e64 s0, s11, v110
	;; [unrolled: 2-line block ×3, first 2 shown]
	v_cndmask_b32_e64 v52, 0, v52, s0
.LBB34_45:                              ;   in Loop: Header=BB34_30 Depth=1
	s_or_b32 exec_lo, exec_lo, s5
	v_add_co_u32 v65, s0, 0x1800, v69
	v_add_co_ci_u32_e64 v66, null, 0, v70, s0
	global_load_dwordx4 v[53:56], v[65:66], off
	s_and_saveexec_b32 s5, vcc_lo
	s_cbranch_execnz .LBB34_68
; %bb.46:                               ;   in Loop: Header=BB34_30 Depth=1
	s_or_b32 exec_lo, exec_lo, s5
	global_load_dwordx4 v[57:60], v[65:66], off offset:512
	s_and_saveexec_b32 s5, vcc_lo
	s_cbranch_execnz .LBB34_69
.LBB34_47:                              ;   in Loop: Header=BB34_30 Depth=1
	s_or_b32 exec_lo, exec_lo, s5
	global_load_dwordx4 v[61:64], v[65:66], off offset:1024
	s_and_saveexec_b32 s5, vcc_lo
	s_cbranch_execnz .LBB34_70
.LBB34_48:                              ;   in Loop: Header=BB34_30 Depth=1
	s_or_b32 exec_lo, exec_lo, s5
	global_load_dwordx4 v[65:68], v[65:66], off offset:1536
	s_and_saveexec_b32 s5, vcc_lo
	s_cbranch_execz .LBB34_50
.LBB34_49:                              ;   in Loop: Header=BB34_30 Depth=1
	v_cmp_gt_i32_e64 s0, s11, v109
	s_waitcnt vmcnt(0)
	v_cndmask_b32_e64 v65, 0, v65, s0
	v_cmp_gt_i32_e64 s0, s11, v111
	v_cndmask_b32_e64 v66, 0, v66, s0
	v_cmp_gt_i32_e64 s0, s11, v110
	;; [unrolled: 2-line block ×3, first 2 shown]
	v_cndmask_b32_e64 v68, 0, v68, s0
.LBB34_50:                              ;   in Loop: Header=BB34_30 Depth=1
	s_or_b32 exec_lo, exec_lo, s5
	v_add_co_u32 v71, s0, 0x2000, v69
	v_add_co_ci_u32_e64 v72, null, 0, v70, s0
	global_load_dwordx4 v[73:76], v[71:72], off
	s_and_saveexec_b32 s5, vcc_lo
	s_cbranch_execnz .LBB34_71
; %bb.51:                               ;   in Loop: Header=BB34_30 Depth=1
	s_or_b32 exec_lo, exec_lo, s5
	global_load_dwordx4 v[77:80], v[71:72], off offset:512
	s_and_saveexec_b32 s5, vcc_lo
	s_cbranch_execnz .LBB34_72
.LBB34_52:                              ;   in Loop: Header=BB34_30 Depth=1
	s_or_b32 exec_lo, exec_lo, s5
	global_load_dwordx4 v[81:84], v[71:72], off offset:1024
	s_and_saveexec_b32 s5, vcc_lo
	s_cbranch_execnz .LBB34_73
.LBB34_53:                              ;   in Loop: Header=BB34_30 Depth=1
	s_or_b32 exec_lo, exec_lo, s5
	global_load_dwordx4 v[85:88], v[71:72], off offset:1536
	s_and_saveexec_b32 s5, vcc_lo
	s_cbranch_execz .LBB34_55
.LBB34_54:                              ;   in Loop: Header=BB34_30 Depth=1
	v_cmp_gt_i32_e64 s0, s11, v109
	s_waitcnt vmcnt(0)
	v_cndmask_b32_e64 v85, 0, v85, s0
	v_cmp_gt_i32_e64 s0, s11, v111
	v_cndmask_b32_e64 v86, 0, v86, s0
	v_cmp_gt_i32_e64 s0, s11, v110
	;; [unrolled: 2-line block ×3, first 2 shown]
	v_cndmask_b32_e64 v88, 0, v88, s0
.LBB34_55:                              ;   in Loop: Header=BB34_30 Depth=1
	s_or_b32 exec_lo, exec_lo, s5
	v_add_co_u32 v69, s0, 0x2800, v69
	v_add_co_ci_u32_e64 v70, null, 0, v70, s0
	global_load_dwordx4 v[89:92], v[69:70], off
	s_and_saveexec_b32 s5, vcc_lo
	s_cbranch_execnz .LBB34_74
; %bb.56:                               ;   in Loop: Header=BB34_30 Depth=1
	s_or_b32 exec_lo, exec_lo, s5
	global_load_dwordx4 v[93:96], v[69:70], off offset:512
	s_and_saveexec_b32 s5, vcc_lo
	s_cbranch_execnz .LBB34_75
.LBB34_57:                              ;   in Loop: Header=BB34_30 Depth=1
	s_or_b32 exec_lo, exec_lo, s5
	global_load_dwordx4 v[97:100], v[69:70], off offset:1024
	s_and_saveexec_b32 s5, vcc_lo
	s_cbranch_execnz .LBB34_76
.LBB34_58:                              ;   in Loop: Header=BB34_30 Depth=1
	s_or_b32 exec_lo, exec_lo, s5
	global_load_dwordx4 v[69:72], v[69:70], off offset:1536
	s_and_saveexec_b32 s0, vcc_lo
	s_cbranch_execz .LBB34_29
	s_branch .LBB34_77
.LBB34_59:                              ;   in Loop: Header=BB34_30 Depth=1
	v_cmp_gt_i32_e64 s0, s11, v109
	s_waitcnt vmcnt(0)
	v_cndmask_b32_e64 v5, 0, v5, s0
	v_cmp_gt_i32_e64 s0, s11, v111
	v_cndmask_b32_e64 v6, 0, v6, s0
	v_cmp_gt_i32_e64 s0, s11, v110
	;; [unrolled: 2-line block ×3, first 2 shown]
	v_cndmask_b32_e64 v8, 0, v8, s0
	s_or_b32 exec_lo, exec_lo, s5
	global_load_dwordx4 v[9:12], v[69:70], off offset:512
	s_and_saveexec_b32 s5, vcc_lo
	s_cbranch_execz .LBB34_32
.LBB34_60:                              ;   in Loop: Header=BB34_30 Depth=1
	v_cmp_gt_i32_e64 s0, s11, v109
	s_waitcnt vmcnt(0)
	v_cndmask_b32_e64 v9, 0, v9, s0
	v_cmp_gt_i32_e64 s0, s11, v111
	v_cndmask_b32_e64 v10, 0, v10, s0
	v_cmp_gt_i32_e64 s0, s11, v110
	;; [unrolled: 2-line block ×3, first 2 shown]
	v_cndmask_b32_e64 v12, 0, v12, s0
	s_or_b32 exec_lo, exec_lo, s5
	global_load_dwordx4 v[13:16], v[69:70], off offset:1024
	s_and_saveexec_b32 s5, vcc_lo
	s_cbranch_execz .LBB34_33
.LBB34_61:                              ;   in Loop: Header=BB34_30 Depth=1
	v_cmp_gt_i32_e64 s0, s11, v109
	s_waitcnt vmcnt(0)
	v_cndmask_b32_e64 v13, 0, v13, s0
	v_cmp_gt_i32_e64 s0, s11, v111
	v_cndmask_b32_e64 v14, 0, v14, s0
	v_cmp_gt_i32_e64 s0, s11, v110
	;; [unrolled: 2-line block ×3, first 2 shown]
	v_cndmask_b32_e64 v16, 0, v16, s0
	s_or_b32 exec_lo, exec_lo, s5
	global_load_dwordx4 v[17:20], v[69:70], off offset:1536
	s_and_saveexec_b32 s5, vcc_lo
	s_cbranch_execnz .LBB34_34
	s_branch .LBB34_35
.LBB34_62:                              ;   in Loop: Header=BB34_30 Depth=1
	v_cmp_gt_i32_e64 s0, s11, v109
	s_waitcnt vmcnt(0)
	v_cndmask_b32_e64 v21, 0, v21, s0
	v_cmp_gt_i32_e64 s0, s11, v111
	v_cndmask_b32_e64 v22, 0, v22, s0
	v_cmp_gt_i32_e64 s0, s11, v110
	;; [unrolled: 2-line block ×3, first 2 shown]
	v_cndmask_b32_e64 v24, 0, v24, s0
	s_or_b32 exec_lo, exec_lo, s5
	global_load_dwordx4 v[25:28], v[33:34], off offset:512
	s_and_saveexec_b32 s5, vcc_lo
	s_cbranch_execz .LBB34_37
.LBB34_63:                              ;   in Loop: Header=BB34_30 Depth=1
	v_cmp_gt_i32_e64 s0, s11, v109
	s_waitcnt vmcnt(0)
	v_cndmask_b32_e64 v25, 0, v25, s0
	v_cmp_gt_i32_e64 s0, s11, v111
	v_cndmask_b32_e64 v26, 0, v26, s0
	v_cmp_gt_i32_e64 s0, s11, v110
	;; [unrolled: 2-line block ×3, first 2 shown]
	v_cndmask_b32_e64 v28, 0, v28, s0
	s_or_b32 exec_lo, exec_lo, s5
	global_load_dwordx4 v[29:32], v[33:34], off offset:1024
	s_and_saveexec_b32 s5, vcc_lo
	s_cbranch_execz .LBB34_38
.LBB34_64:                              ;   in Loop: Header=BB34_30 Depth=1
	v_cmp_gt_i32_e64 s0, s11, v109
	s_waitcnt vmcnt(0)
	v_cndmask_b32_e64 v29, 0, v29, s0
	v_cmp_gt_i32_e64 s0, s11, v111
	v_cndmask_b32_e64 v30, 0, v30, s0
	v_cmp_gt_i32_e64 s0, s11, v110
	;; [unrolled: 2-line block ×3, first 2 shown]
	v_cndmask_b32_e64 v32, 0, v32, s0
	s_or_b32 exec_lo, exec_lo, s5
	global_load_dwordx4 v[33:36], v[33:34], off offset:1536
	s_and_saveexec_b32 s5, vcc_lo
	s_cbranch_execnz .LBB34_39
	s_branch .LBB34_40
.LBB34_65:                              ;   in Loop: Header=BB34_30 Depth=1
	v_cmp_gt_i32_e64 s0, s11, v109
	s_waitcnt vmcnt(0)
	v_cndmask_b32_e64 v37, 0, v37, s0
	v_cmp_gt_i32_e64 s0, s11, v111
	v_cndmask_b32_e64 v38, 0, v38, s0
	v_cmp_gt_i32_e64 s0, s11, v110
	;; [unrolled: 2-line block ×3, first 2 shown]
	v_cndmask_b32_e64 v40, 0, v40, s0
	s_or_b32 exec_lo, exec_lo, s5
	global_load_dwordx4 v[41:44], v[49:50], off offset:512
	s_and_saveexec_b32 s5, vcc_lo
	s_cbranch_execz .LBB34_42
.LBB34_66:                              ;   in Loop: Header=BB34_30 Depth=1
	v_cmp_gt_i32_e64 s0, s11, v109
	s_waitcnt vmcnt(0)
	v_cndmask_b32_e64 v41, 0, v41, s0
	v_cmp_gt_i32_e64 s0, s11, v111
	v_cndmask_b32_e64 v42, 0, v42, s0
	v_cmp_gt_i32_e64 s0, s11, v110
	;; [unrolled: 2-line block ×3, first 2 shown]
	v_cndmask_b32_e64 v44, 0, v44, s0
	s_or_b32 exec_lo, exec_lo, s5
	global_load_dwordx4 v[45:48], v[49:50], off offset:1024
	s_and_saveexec_b32 s5, vcc_lo
	s_cbranch_execz .LBB34_43
.LBB34_67:                              ;   in Loop: Header=BB34_30 Depth=1
	v_cmp_gt_i32_e64 s0, s11, v109
	s_waitcnt vmcnt(0)
	v_cndmask_b32_e64 v45, 0, v45, s0
	v_cmp_gt_i32_e64 s0, s11, v111
	v_cndmask_b32_e64 v46, 0, v46, s0
	v_cmp_gt_i32_e64 s0, s11, v110
	;; [unrolled: 2-line block ×3, first 2 shown]
	v_cndmask_b32_e64 v48, 0, v48, s0
	s_or_b32 exec_lo, exec_lo, s5
	global_load_dwordx4 v[49:52], v[49:50], off offset:1536
	s_and_saveexec_b32 s5, vcc_lo
	s_cbranch_execnz .LBB34_44
	s_branch .LBB34_45
.LBB34_68:                              ;   in Loop: Header=BB34_30 Depth=1
	v_cmp_gt_i32_e64 s0, s11, v109
	s_waitcnt vmcnt(0)
	v_cndmask_b32_e64 v53, 0, v53, s0
	v_cmp_gt_i32_e64 s0, s11, v111
	v_cndmask_b32_e64 v54, 0, v54, s0
	v_cmp_gt_i32_e64 s0, s11, v110
	;; [unrolled: 2-line block ×3, first 2 shown]
	v_cndmask_b32_e64 v56, 0, v56, s0
	s_or_b32 exec_lo, exec_lo, s5
	global_load_dwordx4 v[57:60], v[65:66], off offset:512
	s_and_saveexec_b32 s5, vcc_lo
	s_cbranch_execz .LBB34_47
.LBB34_69:                              ;   in Loop: Header=BB34_30 Depth=1
	v_cmp_gt_i32_e64 s0, s11, v109
	s_waitcnt vmcnt(0)
	v_cndmask_b32_e64 v57, 0, v57, s0
	v_cmp_gt_i32_e64 s0, s11, v111
	v_cndmask_b32_e64 v58, 0, v58, s0
	v_cmp_gt_i32_e64 s0, s11, v110
	v_cndmask_b32_e64 v59, 0, v59, s0
	v_cmp_gt_i32_e64 s0, s11, v0
	v_cndmask_b32_e64 v60, 0, v60, s0
	s_or_b32 exec_lo, exec_lo, s5
	global_load_dwordx4 v[61:64], v[65:66], off offset:1024
	s_and_saveexec_b32 s5, vcc_lo
	s_cbranch_execz .LBB34_48
.LBB34_70:                              ;   in Loop: Header=BB34_30 Depth=1
	v_cmp_gt_i32_e64 s0, s11, v109
	s_waitcnt vmcnt(0)
	v_cndmask_b32_e64 v61, 0, v61, s0
	v_cmp_gt_i32_e64 s0, s11, v111
	v_cndmask_b32_e64 v62, 0, v62, s0
	v_cmp_gt_i32_e64 s0, s11, v110
	v_cndmask_b32_e64 v63, 0, v63, s0
	v_cmp_gt_i32_e64 s0, s11, v0
	v_cndmask_b32_e64 v64, 0, v64, s0
	s_or_b32 exec_lo, exec_lo, s5
	global_load_dwordx4 v[65:68], v[65:66], off offset:1536
	s_and_saveexec_b32 s5, vcc_lo
	s_cbranch_execnz .LBB34_49
	s_branch .LBB34_50
.LBB34_71:                              ;   in Loop: Header=BB34_30 Depth=1
	v_cmp_gt_i32_e64 s0, s11, v109
	s_waitcnt vmcnt(0)
	v_cndmask_b32_e64 v73, 0, v73, s0
	v_cmp_gt_i32_e64 s0, s11, v111
	v_cndmask_b32_e64 v74, 0, v74, s0
	v_cmp_gt_i32_e64 s0, s11, v110
	;; [unrolled: 2-line block ×3, first 2 shown]
	v_cndmask_b32_e64 v76, 0, v76, s0
	s_or_b32 exec_lo, exec_lo, s5
	global_load_dwordx4 v[77:80], v[71:72], off offset:512
	s_and_saveexec_b32 s5, vcc_lo
	s_cbranch_execz .LBB34_52
.LBB34_72:                              ;   in Loop: Header=BB34_30 Depth=1
	v_cmp_gt_i32_e64 s0, s11, v109
	s_waitcnt vmcnt(0)
	v_cndmask_b32_e64 v77, 0, v77, s0
	v_cmp_gt_i32_e64 s0, s11, v111
	v_cndmask_b32_e64 v78, 0, v78, s0
	v_cmp_gt_i32_e64 s0, s11, v110
	;; [unrolled: 2-line block ×3, first 2 shown]
	v_cndmask_b32_e64 v80, 0, v80, s0
	s_or_b32 exec_lo, exec_lo, s5
	global_load_dwordx4 v[81:84], v[71:72], off offset:1024
	s_and_saveexec_b32 s5, vcc_lo
	s_cbranch_execz .LBB34_53
.LBB34_73:                              ;   in Loop: Header=BB34_30 Depth=1
	v_cmp_gt_i32_e64 s0, s11, v109
	s_waitcnt vmcnt(0)
	v_cndmask_b32_e64 v81, 0, v81, s0
	v_cmp_gt_i32_e64 s0, s11, v111
	v_cndmask_b32_e64 v82, 0, v82, s0
	v_cmp_gt_i32_e64 s0, s11, v110
	;; [unrolled: 2-line block ×3, first 2 shown]
	v_cndmask_b32_e64 v84, 0, v84, s0
	s_or_b32 exec_lo, exec_lo, s5
	global_load_dwordx4 v[85:88], v[71:72], off offset:1536
	s_and_saveexec_b32 s5, vcc_lo
	s_cbranch_execnz .LBB34_54
	s_branch .LBB34_55
.LBB34_74:                              ;   in Loop: Header=BB34_30 Depth=1
	v_cmp_gt_i32_e64 s0, s11, v109
	s_waitcnt vmcnt(0)
	v_cndmask_b32_e64 v89, 0, v89, s0
	v_cmp_gt_i32_e64 s0, s11, v111
	v_cndmask_b32_e64 v90, 0, v90, s0
	v_cmp_gt_i32_e64 s0, s11, v110
	;; [unrolled: 2-line block ×3, first 2 shown]
	v_cndmask_b32_e64 v92, 0, v92, s0
	s_or_b32 exec_lo, exec_lo, s5
	global_load_dwordx4 v[93:96], v[69:70], off offset:512
	s_and_saveexec_b32 s5, vcc_lo
	s_cbranch_execz .LBB34_57
.LBB34_75:                              ;   in Loop: Header=BB34_30 Depth=1
	v_cmp_gt_i32_e64 s0, s11, v109
	s_waitcnt vmcnt(0)
	v_cndmask_b32_e64 v93, 0, v93, s0
	v_cmp_gt_i32_e64 s0, s11, v111
	v_cndmask_b32_e64 v94, 0, v94, s0
	v_cmp_gt_i32_e64 s0, s11, v110
	v_cndmask_b32_e64 v95, 0, v95, s0
	v_cmp_gt_i32_e64 s0, s11, v0
	v_cndmask_b32_e64 v96, 0, v96, s0
	s_or_b32 exec_lo, exec_lo, s5
	global_load_dwordx4 v[97:100], v[69:70], off offset:1024
	s_and_saveexec_b32 s5, vcc_lo
	s_cbranch_execz .LBB34_58
.LBB34_76:                              ;   in Loop: Header=BB34_30 Depth=1
	v_cmp_gt_i32_e64 s0, s11, v109
	s_waitcnt vmcnt(0)
	v_cndmask_b32_e64 v97, 0, v97, s0
	v_cmp_gt_i32_e64 s0, s11, v111
	v_cndmask_b32_e64 v98, 0, v98, s0
	v_cmp_gt_i32_e64 s0, s11, v110
	;; [unrolled: 2-line block ×3, first 2 shown]
	v_cndmask_b32_e64 v100, 0, v100, s0
	s_or_b32 exec_lo, exec_lo, s5
	global_load_dwordx4 v[69:72], v[69:70], off offset:1536
	s_and_saveexec_b32 s0, vcc_lo
	s_cbranch_execz .LBB34_29
.LBB34_77:                              ;   in Loop: Header=BB34_30 Depth=1
	v_cmp_gt_i32_e32 vcc_lo, s11, v109
	s_waitcnt vmcnt(0)
	v_cndmask_b32_e32 v69, 0, v69, vcc_lo
	v_cmp_gt_i32_e32 vcc_lo, s11, v111
	v_cndmask_b32_e32 v70, 0, v70, vcc_lo
	v_cmp_gt_i32_e32 vcc_lo, s11, v110
	;; [unrolled: 2-line block ×3, first 2 shown]
	v_cndmask_b32_e32 v72, 0, v72, vcc_lo
	s_branch .LBB34_29
.LBB34_78:
	s_or_b32 exec_lo, exec_lo, s3
	s_clause 0x7
	buffer_load_dword v42, off, s[28:31], 0 offset:24
	buffer_load_dword v111, off, s[28:31], 0 offset:28
	;; [unrolled: 1-line block ×6, first 2 shown]
	buffer_load_dword v40, off, s[28:31], 0
	buffer_load_dword v39, off, s[28:31], 0 offset:4
.LBB34_79:
	s_or_b32 exec_lo, exec_lo, s1
	s_waitcnt vmcnt(4)
	ds_bpermute_b32 v0, v31, v5
	ds_bpermute_b32 v1, v31, v113
	ds_bpermute_b32 v2, v31, v112
	ds_bpermute_b32 v3, v31, v106
	v_mov_b32_e32 v17, v5
	ds_bpermute_b32 v4, v31, v104
	ds_bpermute_b32 v5, v31, v103
	;; [unrolled: 1-line block ×15, first 2 shown]
	s_waitcnt lgkmcnt(18)
	v_add_f32_e32 v0, v17, v0
	s_waitcnt lgkmcnt(17)
	v_add_f32_e32 v1, v113, v1
	;; [unrolled: 2-line block ×4, first 2 shown]
	ds_bpermute_b32 v17, v31, v117
	s_waitcnt vmcnt(3)
	ds_bpermute_b32 v18, v44, v0
	ds_bpermute_b32 v19, v44, v1
	;; [unrolled: 1-line block ×4, first 2 shown]
	s_waitcnt lgkmcnt(19)
	v_add_f32_e32 v4, v104, v4
	s_waitcnt lgkmcnt(18)
	v_add_f32_e32 v5, v103, v5
	;; [unrolled: 2-line block ×5, first 2 shown]
	ds_bpermute_b32 v24, v44, v4
	ds_bpermute_b32 v25, v44, v5
	s_waitcnt lgkmcnt(16)
	v_add_f32_e32 v9, v125, v9
	s_waitcnt lgkmcnt(15)
	v_add_f32_e32 v10, v124, v10
	ds_bpermute_b32 v26, v44, v6
	s_waitcnt lgkmcnt(15)
	v_add_f32_e32 v11, v123, v11
	s_waitcnt lgkmcnt(14)
	v_add_f32_e32 v12, v122, v12
	;; [unrolled: 2-line block ×10, first 2 shown]
	ds_bpermute_b32 v18, v31, v114
	s_waitcnt vmcnt(0)
	ds_bpermute_b32 v19, v31, v39
	ds_bpermute_b32 v20, v31, v40
	;; [unrolled: 1-line block ×3, first 2 shown]
	v_add_f32_e32 v17, v117, v17
	v_add_f32_e32 v22, v116, v22
	;; [unrolled: 1-line block ×3, first 2 shown]
	ds_bpermute_b32 v27, v44, v7
	ds_bpermute_b32 v28, v44, v8
	;; [unrolled: 1-line block ×11, first 2 shown]
	s_waitcnt lgkmcnt(17)
	v_add_f32_e32 v4, v4, v24
	s_waitcnt lgkmcnt(16)
	v_add_f32_e32 v5, v5, v25
	;; [unrolled: 2-line block ×6, first 2 shown]
	ds_bpermute_b32 v18, v44, v22
	ds_bpermute_b32 v19, v44, v23
	;; [unrolled: 1-line block ×6, first 2 shown]
	v_add_f32_e32 v6, v6, v26
	v_and_b32_e32 v26, 28, v43
	s_waitcnt lgkmcnt(16)
	v_add_f32_e32 v7, v7, v27
	s_waitcnt lgkmcnt(15)
	v_add_f32_e32 v8, v8, v28
	;; [unrolled: 2-line block ×11, first 2 shown]
	v_and_b32_e32 v27, 0x3c3, v42
	s_waitcnt lgkmcnt(5)
	v_add_f32_e32 v18, v22, v18
	s_waitcnt lgkmcnt(4)
	v_add_f32_e32 v19, v23, v19
	s_waitcnt lgkmcnt(3)
	v_add_f32_e32 v20, v38, v20
	s_waitcnt lgkmcnt(2)
	v_add_f32_e32 v21, v39, v21
	s_waitcnt lgkmcnt(1)
	v_add_f32_e32 v22, v40, v24
	s_waitcnt lgkmcnt(0)
	v_add_f32_e32 v23, v41, v25
	v_lshrrev_b32_e32 v24, 2, v43
	v_add_nc_u32_e32 v25, 0x320, v26
	v_mul_u32_u24_e32 v26, 0x300, v111
	s_mov_b32 s0, exec_lo
	s_waitcnt_vscnt null, 0x0
	s_barrier
	buffer_gl0_inv
	v_cmpx_eq_u32_e32 64, v27
	s_cbranch_execz .LBB34_81
; %bb.80:
	v_add_nc_u32_e32 v27, v25, v26
	v_add_nc_u32_e32 v28, 0xfffffa00, v27
	;; [unrolled: 1-line block ×7, first 2 shown]
	ds_write_b32 v28, v0
	ds_write_b32 v29, v1
	;; [unrolled: 1-line block ×4, first 2 shown]
	v_add_nc_u32_e32 v28, 0xfffffac0, v27
	v_add_nc_u32_e32 v29, 0xfffffae0, v27
	v_add_nc_u32_e32 v30, 0xfffffb00, v27
	ds_write_b32 v32, v4
	ds_write_b32 v33, v5
	ds_write_b32 v28, v6
	ds_write_b32 v29, v7
	ds_write_b32 v30, v8
	v_add_nc_u32_e32 v28, 0xfffffb20, v27
	v_add_nc_u32_e32 v29, 0xfffffb40, v27
	v_add_nc_u32_e32 v30, 0xfffffb60, v27
	v_add_nc_u32_e32 v31, 0xfffffb80, v27
	v_add_nc_u32_e32 v32, 0xfffffba0, v27
	ds_write_b32 v28, v9
	ds_write_b32 v29, v10
	ds_write_b32 v30, v11
	ds_write_b32 v31, v12
	ds_write_b32 v32, v13
	v_add_nc_u32_e32 v28, 0xfffffbc0, v27
	v_add_nc_u32_e32 v29, 0xfffffbe0, v27
	;; [unrolled: 10-line block ×3, first 2 shown]
	v_add_nc_u32_e32 v30, 0xfffffca0, v27
	v_add_nc_u32_e32 v31, 0xfffffcc0, v27
	;; [unrolled: 1-line block ×3, first 2 shown]
	ds_write_b32 v28, v19
	ds_write_b32 v29, v20
	;; [unrolled: 1-line block ×5, first 2 shown]
.LBB34_81:
	s_or_b32 exec_lo, exec_lo, s0
	v_lshlrev_b32_e32 v24, 2, v24
	s_mov_b32 s1, exec_lo
	v_cmp_eq_u32_e32 vcc_lo, 0, v45
	s_waitcnt lgkmcnt(0)
	s_barrier
	v_add3_u32 v24, 0x320, v26, v24
	buffer_gl0_inv
	v_cmpx_gt_u32_e32 64, v42
	s_cbranch_execz .LBB34_108
; %bb.82:
	s_and_saveexec_b32 s0, vcc_lo
	s_cbranch_execnz .LBB34_140
; %bb.83:
	s_or_b32 exec_lo, exec_lo, s0
	s_and_saveexec_b32 s0, vcc_lo
	s_cbranch_execnz .LBB34_141
.LBB34_84:
	s_or_b32 exec_lo, exec_lo, s0
	s_and_saveexec_b32 s0, vcc_lo
	s_cbranch_execnz .LBB34_142
.LBB34_85:
	s_or_b32 exec_lo, exec_lo, s0
	s_and_saveexec_b32 s0, vcc_lo
	s_cbranch_execnz .LBB34_143
.LBB34_86:
	s_or_b32 exec_lo, exec_lo, s0
	s_and_saveexec_b32 s0, vcc_lo
	s_cbranch_execnz .LBB34_144
.LBB34_87:
	s_or_b32 exec_lo, exec_lo, s0
	s_and_saveexec_b32 s0, vcc_lo
	s_cbranch_execnz .LBB34_145
.LBB34_88:
	s_or_b32 exec_lo, exec_lo, s0
	s_and_saveexec_b32 s0, vcc_lo
	s_cbranch_execnz .LBB34_146
.LBB34_89:
	s_or_b32 exec_lo, exec_lo, s0
	s_and_saveexec_b32 s0, vcc_lo
	s_cbranch_execnz .LBB34_147
.LBB34_90:
	s_or_b32 exec_lo, exec_lo, s0
	s_and_saveexec_b32 s0, vcc_lo
	s_cbranch_execnz .LBB34_148
.LBB34_91:
	s_or_b32 exec_lo, exec_lo, s0
	s_and_saveexec_b32 s0, vcc_lo
	s_cbranch_execnz .LBB34_149
.LBB34_92:
	s_or_b32 exec_lo, exec_lo, s0
	s_and_saveexec_b32 s0, vcc_lo
	s_cbranch_execnz .LBB34_150
.LBB34_93:
	s_or_b32 exec_lo, exec_lo, s0
	s_and_saveexec_b32 s0, vcc_lo
	s_cbranch_execnz .LBB34_151
.LBB34_94:
	s_or_b32 exec_lo, exec_lo, s0
	s_and_saveexec_b32 s0, vcc_lo
	s_cbranch_execnz .LBB34_152
.LBB34_95:
	s_or_b32 exec_lo, exec_lo, s0
	s_and_saveexec_b32 s0, vcc_lo
	s_cbranch_execnz .LBB34_153
.LBB34_96:
	s_or_b32 exec_lo, exec_lo, s0
	s_and_saveexec_b32 s0, vcc_lo
	s_cbranch_execnz .LBB34_154
.LBB34_97:
	s_or_b32 exec_lo, exec_lo, s0
	s_and_saveexec_b32 s0, vcc_lo
	s_cbranch_execnz .LBB34_155
.LBB34_98:
	s_or_b32 exec_lo, exec_lo, s0
	s_and_saveexec_b32 s0, vcc_lo
	s_cbranch_execnz .LBB34_156
.LBB34_99:
	s_or_b32 exec_lo, exec_lo, s0
	s_and_saveexec_b32 s0, vcc_lo
	s_cbranch_execnz .LBB34_157
.LBB34_100:
	s_or_b32 exec_lo, exec_lo, s0
	s_and_saveexec_b32 s0, vcc_lo
	s_cbranch_execnz .LBB34_158
.LBB34_101:
	s_or_b32 exec_lo, exec_lo, s0
	s_and_saveexec_b32 s0, vcc_lo
	s_cbranch_execnz .LBB34_159
.LBB34_102:
	s_or_b32 exec_lo, exec_lo, s0
	s_and_saveexec_b32 s0, vcc_lo
	s_cbranch_execnz .LBB34_160
.LBB34_103:
	s_or_b32 exec_lo, exec_lo, s0
	s_and_saveexec_b32 s0, vcc_lo
	s_cbranch_execnz .LBB34_161
.LBB34_104:
	s_or_b32 exec_lo, exec_lo, s0
	s_and_saveexec_b32 s0, vcc_lo
	s_cbranch_execnz .LBB34_162
.LBB34_105:
	s_or_b32 exec_lo, exec_lo, s0
	s_and_saveexec_b32 s0, vcc_lo
	s_cbranch_execz .LBB34_107
.LBB34_106:
	ds_read_b32 v26, v24 offset:736
	s_waitcnt lgkmcnt(0)
	v_add_f32_e32 v23, v23, v26
.LBB34_107:
	s_or_b32 exec_lo, exec_lo, s0
.LBB34_108:
	s_or_b32 exec_lo, exec_lo, s1
	v_and_b32_e32 v26, 0x3e3, v42
	s_mov_b32 s1, exec_lo
	s_barrier
	buffer_gl0_inv
	v_cmpx_eq_u32_e32 32, v26
	s_cbranch_execz .LBB34_110
; %bb.109:
	ds_write2_b32 v25, v0, v1 offset1:8
	ds_write2_b32 v25, v2, v3 offset0:16 offset1:24
	ds_write2_b32 v25, v4, v5 offset0:32 offset1:40
	;; [unrolled: 1-line block ×11, first 2 shown]
.LBB34_110:
	s_or_b32 exec_lo, exec_lo, s1
	s_mov_b32 s1, exec_lo
	s_waitcnt lgkmcnt(0)
	s_barrier
	buffer_gl0_inv
	v_cmpx_gt_u32_e32 32, v42
	s_cbranch_execz .LBB34_137
; %bb.111:
	s_and_saveexec_b32 s0, vcc_lo
	s_cbranch_execnz .LBB34_163
; %bb.112:
	s_or_b32 exec_lo, exec_lo, s0
	s_and_saveexec_b32 s0, vcc_lo
	s_cbranch_execnz .LBB34_164
.LBB34_113:
	s_or_b32 exec_lo, exec_lo, s0
	s_and_saveexec_b32 s0, vcc_lo
	s_cbranch_execnz .LBB34_165
.LBB34_114:
	s_or_b32 exec_lo, exec_lo, s0
	s_and_saveexec_b32 s0, vcc_lo
	s_cbranch_execnz .LBB34_166
.LBB34_115:
	s_or_b32 exec_lo, exec_lo, s0
	s_and_saveexec_b32 s0, vcc_lo
	s_cbranch_execnz .LBB34_167
.LBB34_116:
	s_or_b32 exec_lo, exec_lo, s0
	s_and_saveexec_b32 s0, vcc_lo
	s_cbranch_execnz .LBB34_168
.LBB34_117:
	s_or_b32 exec_lo, exec_lo, s0
	s_and_saveexec_b32 s0, vcc_lo
	s_cbranch_execnz .LBB34_169
.LBB34_118:
	s_or_b32 exec_lo, exec_lo, s0
	s_and_saveexec_b32 s0, vcc_lo
	s_cbranch_execnz .LBB34_170
.LBB34_119:
	s_or_b32 exec_lo, exec_lo, s0
	s_and_saveexec_b32 s0, vcc_lo
	s_cbranch_execnz .LBB34_171
.LBB34_120:
	s_or_b32 exec_lo, exec_lo, s0
	s_and_saveexec_b32 s0, vcc_lo
	s_cbranch_execnz .LBB34_172
.LBB34_121:
	s_or_b32 exec_lo, exec_lo, s0
	s_and_saveexec_b32 s0, vcc_lo
	s_cbranch_execnz .LBB34_173
.LBB34_122:
	s_or_b32 exec_lo, exec_lo, s0
	s_and_saveexec_b32 s0, vcc_lo
	s_cbranch_execnz .LBB34_174
.LBB34_123:
	s_or_b32 exec_lo, exec_lo, s0
	s_and_saveexec_b32 s0, vcc_lo
	s_cbranch_execnz .LBB34_175
.LBB34_124:
	s_or_b32 exec_lo, exec_lo, s0
	s_and_saveexec_b32 s0, vcc_lo
	s_cbranch_execnz .LBB34_176
.LBB34_125:
	s_or_b32 exec_lo, exec_lo, s0
	s_and_saveexec_b32 s0, vcc_lo
	s_cbranch_execnz .LBB34_177
.LBB34_126:
	s_or_b32 exec_lo, exec_lo, s0
	s_and_saveexec_b32 s0, vcc_lo
	s_cbranch_execnz .LBB34_178
.LBB34_127:
	s_or_b32 exec_lo, exec_lo, s0
	s_and_saveexec_b32 s0, vcc_lo
	s_cbranch_execnz .LBB34_179
.LBB34_128:
	s_or_b32 exec_lo, exec_lo, s0
	s_and_saveexec_b32 s0, vcc_lo
	s_cbranch_execnz .LBB34_180
.LBB34_129:
	s_or_b32 exec_lo, exec_lo, s0
	s_and_saveexec_b32 s0, vcc_lo
	s_cbranch_execnz .LBB34_181
.LBB34_130:
	s_or_b32 exec_lo, exec_lo, s0
	s_and_saveexec_b32 s0, vcc_lo
	s_cbranch_execnz .LBB34_182
.LBB34_131:
	s_or_b32 exec_lo, exec_lo, s0
	s_and_saveexec_b32 s0, vcc_lo
	s_cbranch_execnz .LBB34_183
.LBB34_132:
	s_or_b32 exec_lo, exec_lo, s0
	s_and_saveexec_b32 s0, vcc_lo
	s_cbranch_execnz .LBB34_184
.LBB34_133:
	s_or_b32 exec_lo, exec_lo, s0
	s_and_saveexec_b32 s0, vcc_lo
	s_cbranch_execnz .LBB34_185
.LBB34_134:
	s_or_b32 exec_lo, exec_lo, s0
	s_and_saveexec_b32 s0, vcc_lo
	s_cbranch_execz .LBB34_136
.LBB34_135:
	ds_read_b32 v24, v24 offset:736
	s_waitcnt lgkmcnt(0)
	v_add_f32_e32 v23, v23, v24
.LBB34_136:
	s_or_b32 exec_lo, exec_lo, s0
.LBB34_137:
	s_or_b32 exec_lo, exec_lo, s1
	s_barrier
	buffer_gl0_inv
	s_mov_b32 s0, exec_lo
	v_cmpx_eq_u32_e32 0, v26
	s_cbranch_execz .LBB34_139
; %bb.138:
	s_mul_i32 s0, s10, s7
	s_mul_i32 s2, s7, s6
	;; [unrolled: 1-line block ×3, first 2 shown]
	s_mulk_i32 s0, 0xc0
	s_ashr_i32 s1, s0, 31
	s_lshl_b64 s[0:1], s[0:1], 2
	s_add_u32 s4, s16, s0
	s_addc_u32 s5, s17, s1
	s_ashr_i32 s3, s2, 31
	s_lshl_b64 s[0:1], s[2:3], 2
	s_mul_i32 s2, s8, 0xc0
	s_add_u32 s4, s4, s0
	s_addc_u32 s5, s5, s1
	s_ashr_i32 s3, s2, 31
	s_lshl_b64 s[0:1], s[2:3], 2
	s_add_u32 s0, s4, s0
	s_addc_u32 s1, s5, s1
	global_store_dword v42, v0, s[0:1]
	global_store_dword v42, v1, s[0:1] offset:32
	global_store_dword v42, v2, s[0:1] offset:64
	;; [unrolled: 1-line block ×23, first 2 shown]
.LBB34_139:
	s_endpgm
.LBB34_140:
	ds_read_b32 v26, v24
	s_waitcnt lgkmcnt(0)
	v_add_f32_e32 v0, v0, v26
	s_or_b32 exec_lo, exec_lo, s0
	s_and_saveexec_b32 s0, vcc_lo
	s_cbranch_execz .LBB34_84
.LBB34_141:
	ds_read_b32 v26, v24 offset:32
	s_waitcnt lgkmcnt(0)
	v_add_f32_e32 v1, v1, v26
	s_or_b32 exec_lo, exec_lo, s0
	s_and_saveexec_b32 s0, vcc_lo
	s_cbranch_execz .LBB34_85
.LBB34_142:
	ds_read_b32 v26, v24 offset:64
	s_waitcnt lgkmcnt(0)
	v_add_f32_e32 v2, v2, v26
	s_or_b32 exec_lo, exec_lo, s0
	s_and_saveexec_b32 s0, vcc_lo
	s_cbranch_execz .LBB34_86
.LBB34_143:
	ds_read_b32 v26, v24 offset:96
	s_waitcnt lgkmcnt(0)
	v_add_f32_e32 v3, v3, v26
	s_or_b32 exec_lo, exec_lo, s0
	s_and_saveexec_b32 s0, vcc_lo
	s_cbranch_execz .LBB34_87
.LBB34_144:
	ds_read_b32 v26, v24 offset:128
	s_waitcnt lgkmcnt(0)
	v_add_f32_e32 v4, v4, v26
	s_or_b32 exec_lo, exec_lo, s0
	s_and_saveexec_b32 s0, vcc_lo
	s_cbranch_execz .LBB34_88
.LBB34_145:
	ds_read_b32 v26, v24 offset:160
	s_waitcnt lgkmcnt(0)
	v_add_f32_e32 v5, v5, v26
	s_or_b32 exec_lo, exec_lo, s0
	s_and_saveexec_b32 s0, vcc_lo
	s_cbranch_execz .LBB34_89
.LBB34_146:
	ds_read_b32 v26, v24 offset:192
	s_waitcnt lgkmcnt(0)
	v_add_f32_e32 v6, v6, v26
	s_or_b32 exec_lo, exec_lo, s0
	s_and_saveexec_b32 s0, vcc_lo
	s_cbranch_execz .LBB34_90
.LBB34_147:
	ds_read_b32 v26, v24 offset:224
	s_waitcnt lgkmcnt(0)
	v_add_f32_e32 v7, v7, v26
	s_or_b32 exec_lo, exec_lo, s0
	s_and_saveexec_b32 s0, vcc_lo
	s_cbranch_execz .LBB34_91
.LBB34_148:
	ds_read_b32 v26, v24 offset:256
	s_waitcnt lgkmcnt(0)
	v_add_f32_e32 v8, v8, v26
	s_or_b32 exec_lo, exec_lo, s0
	s_and_saveexec_b32 s0, vcc_lo
	s_cbranch_execz .LBB34_92
.LBB34_149:
	ds_read_b32 v26, v24 offset:288
	s_waitcnt lgkmcnt(0)
	v_add_f32_e32 v9, v9, v26
	s_or_b32 exec_lo, exec_lo, s0
	s_and_saveexec_b32 s0, vcc_lo
	s_cbranch_execz .LBB34_93
.LBB34_150:
	ds_read_b32 v26, v24 offset:320
	s_waitcnt lgkmcnt(0)
	v_add_f32_e32 v10, v10, v26
	s_or_b32 exec_lo, exec_lo, s0
	s_and_saveexec_b32 s0, vcc_lo
	s_cbranch_execz .LBB34_94
.LBB34_151:
	ds_read_b32 v26, v24 offset:352
	s_waitcnt lgkmcnt(0)
	v_add_f32_e32 v11, v11, v26
	s_or_b32 exec_lo, exec_lo, s0
	s_and_saveexec_b32 s0, vcc_lo
	s_cbranch_execz .LBB34_95
.LBB34_152:
	ds_read_b32 v26, v24 offset:384
	s_waitcnt lgkmcnt(0)
	v_add_f32_e32 v12, v12, v26
	s_or_b32 exec_lo, exec_lo, s0
	s_and_saveexec_b32 s0, vcc_lo
	s_cbranch_execz .LBB34_96
.LBB34_153:
	ds_read_b32 v26, v24 offset:416
	s_waitcnt lgkmcnt(0)
	v_add_f32_e32 v13, v13, v26
	s_or_b32 exec_lo, exec_lo, s0
	s_and_saveexec_b32 s0, vcc_lo
	s_cbranch_execz .LBB34_97
.LBB34_154:
	ds_read_b32 v26, v24 offset:448
	s_waitcnt lgkmcnt(0)
	v_add_f32_e32 v14, v14, v26
	s_or_b32 exec_lo, exec_lo, s0
	s_and_saveexec_b32 s0, vcc_lo
	s_cbranch_execz .LBB34_98
.LBB34_155:
	ds_read_b32 v26, v24 offset:480
	s_waitcnt lgkmcnt(0)
	v_add_f32_e32 v15, v15, v26
	s_or_b32 exec_lo, exec_lo, s0
	s_and_saveexec_b32 s0, vcc_lo
	s_cbranch_execz .LBB34_99
.LBB34_156:
	ds_read_b32 v26, v24 offset:512
	s_waitcnt lgkmcnt(0)
	v_add_f32_e32 v16, v16, v26
	s_or_b32 exec_lo, exec_lo, s0
	s_and_saveexec_b32 s0, vcc_lo
	s_cbranch_execz .LBB34_100
.LBB34_157:
	ds_read_b32 v26, v24 offset:544
	s_waitcnt lgkmcnt(0)
	v_add_f32_e32 v17, v17, v26
	s_or_b32 exec_lo, exec_lo, s0
	s_and_saveexec_b32 s0, vcc_lo
	s_cbranch_execz .LBB34_101
.LBB34_158:
	ds_read_b32 v26, v24 offset:576
	s_waitcnt lgkmcnt(0)
	v_add_f32_e32 v18, v18, v26
	s_or_b32 exec_lo, exec_lo, s0
	s_and_saveexec_b32 s0, vcc_lo
	s_cbranch_execz .LBB34_102
.LBB34_159:
	ds_read_b32 v26, v24 offset:608
	s_waitcnt lgkmcnt(0)
	v_add_f32_e32 v19, v19, v26
	s_or_b32 exec_lo, exec_lo, s0
	s_and_saveexec_b32 s0, vcc_lo
	s_cbranch_execz .LBB34_103
.LBB34_160:
	ds_read_b32 v26, v24 offset:640
	s_waitcnt lgkmcnt(0)
	v_add_f32_e32 v20, v20, v26
	s_or_b32 exec_lo, exec_lo, s0
	s_and_saveexec_b32 s0, vcc_lo
	s_cbranch_execz .LBB34_104
.LBB34_161:
	ds_read_b32 v26, v24 offset:672
	s_waitcnt lgkmcnt(0)
	v_add_f32_e32 v21, v21, v26
	s_or_b32 exec_lo, exec_lo, s0
	s_and_saveexec_b32 s0, vcc_lo
	s_cbranch_execz .LBB34_105
.LBB34_162:
	ds_read_b32 v26, v24 offset:704
	s_waitcnt lgkmcnt(0)
	v_add_f32_e32 v22, v22, v26
	s_or_b32 exec_lo, exec_lo, s0
	s_and_saveexec_b32 s0, vcc_lo
	s_cbranch_execnz .LBB34_106
	s_branch .LBB34_107
.LBB34_163:
	ds_read_b32 v25, v24
	s_waitcnt lgkmcnt(0)
	v_add_f32_e32 v0, v0, v25
	s_or_b32 exec_lo, exec_lo, s0
	s_and_saveexec_b32 s0, vcc_lo
	s_cbranch_execz .LBB34_113
.LBB34_164:
	ds_read_b32 v25, v24 offset:32
	s_waitcnt lgkmcnt(0)
	v_add_f32_e32 v1, v1, v25
	s_or_b32 exec_lo, exec_lo, s0
	s_and_saveexec_b32 s0, vcc_lo
	s_cbranch_execz .LBB34_114
.LBB34_165:
	ds_read_b32 v25, v24 offset:64
	s_waitcnt lgkmcnt(0)
	v_add_f32_e32 v2, v2, v25
	s_or_b32 exec_lo, exec_lo, s0
	s_and_saveexec_b32 s0, vcc_lo
	s_cbranch_execz .LBB34_115
.LBB34_166:
	ds_read_b32 v25, v24 offset:96
	s_waitcnt lgkmcnt(0)
	v_add_f32_e32 v3, v3, v25
	s_or_b32 exec_lo, exec_lo, s0
	s_and_saveexec_b32 s0, vcc_lo
	s_cbranch_execz .LBB34_116
.LBB34_167:
	ds_read_b32 v25, v24 offset:128
	s_waitcnt lgkmcnt(0)
	v_add_f32_e32 v4, v4, v25
	s_or_b32 exec_lo, exec_lo, s0
	s_and_saveexec_b32 s0, vcc_lo
	s_cbranch_execz .LBB34_117
.LBB34_168:
	ds_read_b32 v25, v24 offset:160
	s_waitcnt lgkmcnt(0)
	v_add_f32_e32 v5, v5, v25
	s_or_b32 exec_lo, exec_lo, s0
	s_and_saveexec_b32 s0, vcc_lo
	s_cbranch_execz .LBB34_118
.LBB34_169:
	ds_read_b32 v25, v24 offset:192
	s_waitcnt lgkmcnt(0)
	v_add_f32_e32 v6, v6, v25
	s_or_b32 exec_lo, exec_lo, s0
	s_and_saveexec_b32 s0, vcc_lo
	s_cbranch_execz .LBB34_119
.LBB34_170:
	ds_read_b32 v25, v24 offset:224
	s_waitcnt lgkmcnt(0)
	v_add_f32_e32 v7, v7, v25
	s_or_b32 exec_lo, exec_lo, s0
	s_and_saveexec_b32 s0, vcc_lo
	s_cbranch_execz .LBB34_120
.LBB34_171:
	ds_read_b32 v25, v24 offset:256
	s_waitcnt lgkmcnt(0)
	v_add_f32_e32 v8, v8, v25
	s_or_b32 exec_lo, exec_lo, s0
	s_and_saveexec_b32 s0, vcc_lo
	s_cbranch_execz .LBB34_121
.LBB34_172:
	ds_read_b32 v25, v24 offset:288
	s_waitcnt lgkmcnt(0)
	v_add_f32_e32 v9, v9, v25
	s_or_b32 exec_lo, exec_lo, s0
	s_and_saveexec_b32 s0, vcc_lo
	s_cbranch_execz .LBB34_122
.LBB34_173:
	ds_read_b32 v25, v24 offset:320
	s_waitcnt lgkmcnt(0)
	v_add_f32_e32 v10, v10, v25
	s_or_b32 exec_lo, exec_lo, s0
	s_and_saveexec_b32 s0, vcc_lo
	s_cbranch_execz .LBB34_123
.LBB34_174:
	ds_read_b32 v25, v24 offset:352
	s_waitcnt lgkmcnt(0)
	v_add_f32_e32 v11, v11, v25
	s_or_b32 exec_lo, exec_lo, s0
	s_and_saveexec_b32 s0, vcc_lo
	s_cbranch_execz .LBB34_124
.LBB34_175:
	ds_read_b32 v25, v24 offset:384
	s_waitcnt lgkmcnt(0)
	v_add_f32_e32 v12, v12, v25
	s_or_b32 exec_lo, exec_lo, s0
	s_and_saveexec_b32 s0, vcc_lo
	s_cbranch_execz .LBB34_125
.LBB34_176:
	ds_read_b32 v25, v24 offset:416
	s_waitcnt lgkmcnt(0)
	v_add_f32_e32 v13, v13, v25
	s_or_b32 exec_lo, exec_lo, s0
	s_and_saveexec_b32 s0, vcc_lo
	s_cbranch_execz .LBB34_126
.LBB34_177:
	ds_read_b32 v25, v24 offset:448
	s_waitcnt lgkmcnt(0)
	v_add_f32_e32 v14, v14, v25
	s_or_b32 exec_lo, exec_lo, s0
	s_and_saveexec_b32 s0, vcc_lo
	s_cbranch_execz .LBB34_127
.LBB34_178:
	ds_read_b32 v25, v24 offset:480
	s_waitcnt lgkmcnt(0)
	v_add_f32_e32 v15, v15, v25
	s_or_b32 exec_lo, exec_lo, s0
	s_and_saveexec_b32 s0, vcc_lo
	s_cbranch_execz .LBB34_128
.LBB34_179:
	ds_read_b32 v25, v24 offset:512
	s_waitcnt lgkmcnt(0)
	v_add_f32_e32 v16, v16, v25
	s_or_b32 exec_lo, exec_lo, s0
	s_and_saveexec_b32 s0, vcc_lo
	s_cbranch_execz .LBB34_129
.LBB34_180:
	ds_read_b32 v25, v24 offset:544
	s_waitcnt lgkmcnt(0)
	v_add_f32_e32 v17, v17, v25
	s_or_b32 exec_lo, exec_lo, s0
	s_and_saveexec_b32 s0, vcc_lo
	s_cbranch_execz .LBB34_130
.LBB34_181:
	ds_read_b32 v25, v24 offset:576
	s_waitcnt lgkmcnt(0)
	v_add_f32_e32 v18, v18, v25
	s_or_b32 exec_lo, exec_lo, s0
	s_and_saveexec_b32 s0, vcc_lo
	s_cbranch_execz .LBB34_131
.LBB34_182:
	ds_read_b32 v25, v24 offset:608
	s_waitcnt lgkmcnt(0)
	v_add_f32_e32 v19, v19, v25
	s_or_b32 exec_lo, exec_lo, s0
	s_and_saveexec_b32 s0, vcc_lo
	s_cbranch_execz .LBB34_132
.LBB34_183:
	ds_read_b32 v25, v24 offset:640
	s_waitcnt lgkmcnt(0)
	v_add_f32_e32 v20, v20, v25
	s_or_b32 exec_lo, exec_lo, s0
	s_and_saveexec_b32 s0, vcc_lo
	s_cbranch_execz .LBB34_133
.LBB34_184:
	ds_read_b32 v25, v24 offset:672
	s_waitcnt lgkmcnt(0)
	v_add_f32_e32 v21, v21, v25
	s_or_b32 exec_lo, exec_lo, s0
	s_and_saveexec_b32 s0, vcc_lo
	s_cbranch_execz .LBB34_134
.LBB34_185:
	ds_read_b32 v25, v24 offset:704
	s_waitcnt lgkmcnt(0)
	v_add_f32_e32 v22, v22, v25
	s_or_b32 exec_lo, exec_lo, s0
	s_and_saveexec_b32 s0, vcc_lo
	s_cbranch_execnz .LBB34_135
	s_branch .LBB34_136
	.section	.rodata,"a",@progbits
	.p2align	6, 0x0
	.amdhsa_kernel _ZN4vllm25paged_attention_v1_kernelIffLi192ELi16ELi128ELNS_18Fp8KVCacheDataTypeE0ELb0EEEvPT_PKS2_PKT0_S8_ifPKiSA_iPKfiiiSC_SC_iiiii
		.amdhsa_group_segment_fixed_size 800
		.amdhsa_private_segment_fixed_size 52
		.amdhsa_kernarg_size 384
		.amdhsa_user_sgpr_count 6
		.amdhsa_user_sgpr_private_segment_buffer 1
		.amdhsa_user_sgpr_dispatch_ptr 0
		.amdhsa_user_sgpr_queue_ptr 0
		.amdhsa_user_sgpr_kernarg_segment_ptr 1
		.amdhsa_user_sgpr_dispatch_id 0
		.amdhsa_user_sgpr_flat_scratch_init 0
		.amdhsa_user_sgpr_private_segment_size 0
		.amdhsa_wavefront_size32 1
		.amdhsa_uses_dynamic_stack 0
		.amdhsa_system_sgpr_private_segment_wavefront_offset 1
		.amdhsa_system_sgpr_workgroup_id_x 1
		.amdhsa_system_sgpr_workgroup_id_y 1
		.amdhsa_system_sgpr_workgroup_id_z 1
		.amdhsa_system_sgpr_workgroup_info 0
		.amdhsa_system_vgpr_workitem_id 0
		.amdhsa_next_free_vgpr 128
		.amdhsa_next_free_sgpr 32
		.amdhsa_reserve_vcc 1
		.amdhsa_reserve_flat_scratch 0
		.amdhsa_float_round_mode_32 0
		.amdhsa_float_round_mode_16_64 0
		.amdhsa_float_denorm_mode_32 3
		.amdhsa_float_denorm_mode_16_64 3
		.amdhsa_dx10_clamp 1
		.amdhsa_ieee_mode 1
		.amdhsa_fp16_overflow 0
		.amdhsa_workgroup_processor_mode 1
		.amdhsa_memory_ordered 1
		.amdhsa_forward_progress 1
		.amdhsa_shared_vgpr_count 0
		.amdhsa_exception_fp_ieee_invalid_op 0
		.amdhsa_exception_fp_denorm_src 0
		.amdhsa_exception_fp_ieee_div_zero 0
		.amdhsa_exception_fp_ieee_overflow 0
		.amdhsa_exception_fp_ieee_underflow 0
		.amdhsa_exception_fp_ieee_inexact 0
		.amdhsa_exception_int_div_zero 0
	.end_amdhsa_kernel
	.section	.text._ZN4vllm25paged_attention_v1_kernelIffLi192ELi16ELi128ELNS_18Fp8KVCacheDataTypeE0ELb0EEEvPT_PKS2_PKT0_S8_ifPKiSA_iPKfiiiSC_SC_iiiii,"axG",@progbits,_ZN4vllm25paged_attention_v1_kernelIffLi192ELi16ELi128ELNS_18Fp8KVCacheDataTypeE0ELb0EEEvPT_PKS2_PKT0_S8_ifPKiSA_iPKfiiiSC_SC_iiiii,comdat
.Lfunc_end34:
	.size	_ZN4vllm25paged_attention_v1_kernelIffLi192ELi16ELi128ELNS_18Fp8KVCacheDataTypeE0ELb0EEEvPT_PKS2_PKT0_S8_ifPKiSA_iPKfiiiSC_SC_iiiii, .Lfunc_end34-_ZN4vllm25paged_attention_v1_kernelIffLi192ELi16ELi128ELNS_18Fp8KVCacheDataTypeE0ELb0EEEvPT_PKS2_PKT0_S8_ifPKiSA_iPKfiiiSC_SC_iiiii
                                        ; -- End function
	.set _ZN4vllm25paged_attention_v1_kernelIffLi192ELi16ELi128ELNS_18Fp8KVCacheDataTypeE0ELb0EEEvPT_PKS2_PKT0_S8_ifPKiSA_iPKfiiiSC_SC_iiiii.num_vgpr, 128
	.set _ZN4vllm25paged_attention_v1_kernelIffLi192ELi16ELi128ELNS_18Fp8KVCacheDataTypeE0ELb0EEEvPT_PKS2_PKT0_S8_ifPKiSA_iPKfiiiSC_SC_iiiii.num_agpr, 0
	.set _ZN4vllm25paged_attention_v1_kernelIffLi192ELi16ELi128ELNS_18Fp8KVCacheDataTypeE0ELb0EEEvPT_PKS2_PKT0_S8_ifPKiSA_iPKfiiiSC_SC_iiiii.numbered_sgpr, 32
	.set _ZN4vllm25paged_attention_v1_kernelIffLi192ELi16ELi128ELNS_18Fp8KVCacheDataTypeE0ELb0EEEvPT_PKS2_PKT0_S8_ifPKiSA_iPKfiiiSC_SC_iiiii.num_named_barrier, 0
	.set _ZN4vllm25paged_attention_v1_kernelIffLi192ELi16ELi128ELNS_18Fp8KVCacheDataTypeE0ELb0EEEvPT_PKS2_PKT0_S8_ifPKiSA_iPKfiiiSC_SC_iiiii.private_seg_size, 52
	.set _ZN4vllm25paged_attention_v1_kernelIffLi192ELi16ELi128ELNS_18Fp8KVCacheDataTypeE0ELb0EEEvPT_PKS2_PKT0_S8_ifPKiSA_iPKfiiiSC_SC_iiiii.uses_vcc, 1
	.set _ZN4vllm25paged_attention_v1_kernelIffLi192ELi16ELi128ELNS_18Fp8KVCacheDataTypeE0ELb0EEEvPT_PKS2_PKT0_S8_ifPKiSA_iPKfiiiSC_SC_iiiii.uses_flat_scratch, 0
	.set _ZN4vllm25paged_attention_v1_kernelIffLi192ELi16ELi128ELNS_18Fp8KVCacheDataTypeE0ELb0EEEvPT_PKS2_PKT0_S8_ifPKiSA_iPKfiiiSC_SC_iiiii.has_dyn_sized_stack, 0
	.set _ZN4vllm25paged_attention_v1_kernelIffLi192ELi16ELi128ELNS_18Fp8KVCacheDataTypeE0ELb0EEEvPT_PKS2_PKT0_S8_ifPKiSA_iPKfiiiSC_SC_iiiii.has_recursion, 0
	.set _ZN4vllm25paged_attention_v1_kernelIffLi192ELi16ELi128ELNS_18Fp8KVCacheDataTypeE0ELb0EEEvPT_PKS2_PKT0_S8_ifPKiSA_iPKfiiiSC_SC_iiiii.has_indirect_call, 0
	.section	.AMDGPU.csdata,"",@progbits
; Kernel info:
; codeLenInByte = 10716
; TotalNumSgprs: 34
; NumVgprs: 128
; ScratchSize: 52
; MemoryBound: 0
; FloatMode: 240
; IeeeMode: 1
; LDSByteSize: 800 bytes/workgroup (compile time only)
; SGPRBlocks: 0
; VGPRBlocks: 15
; NumSGPRsForWavesPerEU: 34
; NumVGPRsForWavesPerEU: 128
; Occupancy: 8
; WaveLimiterHint : 1
; COMPUTE_PGM_RSRC2:SCRATCH_EN: 1
; COMPUTE_PGM_RSRC2:USER_SGPR: 6
; COMPUTE_PGM_RSRC2:TRAP_HANDLER: 0
; COMPUTE_PGM_RSRC2:TGID_X_EN: 1
; COMPUTE_PGM_RSRC2:TGID_Y_EN: 1
; COMPUTE_PGM_RSRC2:TGID_Z_EN: 1
; COMPUTE_PGM_RSRC2:TIDIG_COMP_CNT: 0
	.section	.text._ZN4vllm25paged_attention_v1_kernelIffLi256ELi16ELi128ELNS_18Fp8KVCacheDataTypeE0ELb0EEEvPT_PKS2_PKT0_S8_ifPKiSA_iPKfiiiSC_SC_iiiii,"axG",@progbits,_ZN4vllm25paged_attention_v1_kernelIffLi256ELi16ELi128ELNS_18Fp8KVCacheDataTypeE0ELb0EEEvPT_PKS2_PKT0_S8_ifPKiSA_iPKfiiiSC_SC_iiiii,comdat
	.protected	_ZN4vllm25paged_attention_v1_kernelIffLi256ELi16ELi128ELNS_18Fp8KVCacheDataTypeE0ELb0EEEvPT_PKS2_PKT0_S8_ifPKiSA_iPKfiiiSC_SC_iiiii ; -- Begin function _ZN4vllm25paged_attention_v1_kernelIffLi256ELi16ELi128ELNS_18Fp8KVCacheDataTypeE0ELb0EEEvPT_PKS2_PKT0_S8_ifPKiSA_iPKfiiiSC_SC_iiiii
	.globl	_ZN4vllm25paged_attention_v1_kernelIffLi256ELi16ELi128ELNS_18Fp8KVCacheDataTypeE0ELb0EEEvPT_PKS2_PKT0_S8_ifPKiSA_iPKfiiiSC_SC_iiiii
	.p2align	8
	.type	_ZN4vllm25paged_attention_v1_kernelIffLi256ELi16ELi128ELNS_18Fp8KVCacheDataTypeE0ELb0EEEvPT_PKS2_PKT0_S8_ifPKiSA_iPKfiiiSC_SC_iiiii,@function
_ZN4vllm25paged_attention_v1_kernelIffLi256ELi16ELi128ELNS_18Fp8KVCacheDataTypeE0ELb0EEEvPT_PKS2_PKT0_S8_ifPKiSA_iPKfiiiSC_SC_iiiii: ; @_ZN4vllm25paged_attention_v1_kernelIffLi256ELi16ELi128ELNS_18Fp8KVCacheDataTypeE0ELb0EEEvPT_PKS2_PKT0_S8_ifPKiSA_iPKfiiiSC_SC_iiiii
; %bb.0:
	s_mov_b64 s[38:39], s[2:3]
	s_mov_b64 s[36:37], s[0:1]
	s_mov_b32 s10, s7
	s_add_u32 s36, s36, s9
	s_clause 0x2
	s_load_dword s9, s[4:5], 0x80
	s_load_dwordx2 s[0:1], s[4:5], 0x30
	s_load_dwordx2 s[2:3], s[4:5], 0x20
	s_addc_u32 s37, s37, 0
	s_ashr_i32 s11, s7, 31
	v_mov_b32_e32 v55, v0
	s_lshl_b64 s[12:13], s[10:11], 2
	s_mov_b32 s24, 0
	s_waitcnt lgkmcnt(0)
	s_add_u32 s0, s0, s12
	s_addc_u32 s1, s1, s13
	s_abs_i32 s7, s2
	s_abs_i32 s13, s9
	v_cvt_f32_u32_e32 v0, s7
	s_sub_i32 s12, 0, s7
	s_xor_b32 s2, s9, s2
	s_ashr_i32 s2, s2, 31
	v_rcp_iflag_f32_e32 v0, v0
	v_mul_f32_e32 v0, 0x4f7ffffe, v0
	v_cvt_u32_f32_e32 v0, v0
	v_readfirstlane_b32 s11, v0
	s_mul_i32 s12, s12, s11
	s_mul_hi_u32 s12, s11, s12
	s_add_i32 s11, s11, s12
	s_mul_hi_u32 s11, s13, s11
	s_mul_i32 s12, s11, s7
	s_sub_i32 s12, s13, s12
	s_add_i32 s13, s11, 1
	s_sub_i32 s14, s12, s7
	s_cmp_ge_u32 s12, s7
	s_cselect_b32 s11, s13, s11
	s_cselect_b32 s12, s14, s12
	s_add_i32 s13, s11, 1
	s_cmp_ge_u32 s12, s7
	s_cselect_b32 s7, s13, s11
	s_load_dwordx2 s[12:13], s[4:5], 0x40
	s_xor_b32 s7, s7, s2
	s_abs_i32 s16, s6
	s_sub_i32 s18, s7, s2
	s_abs_i32 s2, s18
	v_cvt_f32_u32_e32 v0, s2
	s_sub_i32 s11, 0, s2
	v_rcp_iflag_f32_e32 v0, v0
	v_mul_f32_e32 v0, 0x4f7ffffe, v0
	v_cvt_u32_f32_e32 v0, v0
	v_readfirstlane_b32 s7, v0
	s_mul_i32 s11, s11, s7
	s_mul_hi_u32 s11, s7, s11
	s_add_i32 s7, s7, s11
	s_waitcnt lgkmcnt(0)
	s_cmp_eq_u64 s[12:13], 0
	s_mul_hi_u32 s17, s16, s7
	s_cbranch_scc1 .LBB35_2
; %bb.1:
	s_ashr_i32 s7, s6, 31
	s_lshl_b64 s[14:15], s[6:7], 2
	s_add_u32 s12, s12, s14
	s_addc_u32 s13, s13, s15
	s_load_dword s24, s[12:13], 0x0
.LBB35_2:
	s_load_dword s11, s[0:1], 0x0
	s_load_dwordx4 s[12:15], s[4:5], 0x48
	v_and_b32_e32 v0, 1, v55
	v_lshlrev_b32_e32 v1, 3, v55
	v_lshlrev_b32_e32 v11, 2, v55
	s_ashr_i32 s0, s6, 31
	s_ashr_i32 s1, s18, 31
	s_lshl_b32 s6, s6, 8
	s_waitcnt lgkmcnt(0)
	s_mov_b32 s15, exec_lo
	v_cmpx_gt_u32_e32 0x80, v55
	s_cbranch_execz .LBB35_4
; %bb.3:
	s_load_dwordx2 s[18:19], s[4:5], 0x8
	s_mul_i32 s20, s12, s10
	v_and_b32_e32 v4, 0xff8, v11
	s_ashr_i32 s21, s20, 31
	s_lshl_b64 s[20:21], s[20:21], 2
	v_lshl_add_u32 v4, v0, 9, v4
	s_waitcnt lgkmcnt(0)
	s_add_u32 s12, s18, s20
	s_addc_u32 s20, s19, s21
	s_ashr_i32 s7, s6, 31
	s_lshl_b64 s[18:19], s[6:7], 2
	s_add_u32 s18, s12, s18
	s_addc_u32 s19, s20, s19
	global_load_dwordx2 v[2:3], v1, s[18:19]
	s_waitcnt vmcnt(0)
	ds_write_b64 v4, v[2:3]
.LBB35_4:
	s_or_b32 exec_lo, exec_lo, s15
	s_add_i32 s7, s11, 15
	s_clause 0x1
	s_load_dwordx2 s[18:19], s[4:5], 0x28
	s_load_dword s15, s[4:5], 0x38
	s_ashr_i32 s12, s7, 31
	s_xor_b32 s0, s0, s1
	s_lshr_b32 s12, s12, 28
	s_mul_i32 s1, s17, s2
	s_add_i32 s7, s7, s12
	s_sub_i32 s1, s16, s1
	s_ashr_i32 s12, s7, 4
	s_add_i32 s7, s17, 1
	s_sub_i32 s16, s1, s2
	s_cmp_ge_u32 s1, s2
	v_lshrrev_b32_e32 v125, 5, v55
	s_cselect_b32 s7, s7, s17
	s_cselect_b32 s1, s16, s1
	s_add_i32 s16, s7, 1
	s_cmp_ge_u32 s1, s2
	v_mbcnt_lo_u32_b32 v13, -1, 0
	s_cselect_b32 s1, s16, s7
	s_mov_b32 s2, exec_lo
	s_xor_b32 s1, s1, s0
	s_waitcnt lgkmcnt(0)
	s_mul_i32 s20, s15, s10
	s_sub_i32 s1, s1, s0
	v_cmp_gt_i32_e64 s0, s12, v125
	s_ashr_i32 s21, s20, 31
	s_barrier
	buffer_gl0_inv
                                        ; implicit-def: $vgpr8
                                        ; implicit-def: $vgpr9
	v_cmpx_le_i32_e64 s12, v125
	s_xor_b32 s2, exec_lo, s2
; %bb.5:
	v_mov_b32_e32 v8, 0
	v_mbcnt_lo_u32_b32 v13, -1, 0
	v_mov_b32_e32 v9, 32
                                        ; implicit-def: $vgpr1
                                        ; implicit-def: $vgpr0
; %bb.6:
	s_or_saveexec_b32 s25, s2
	s_clause 0x2
	s_load_dwordx2 s[16:17], s[4:5], 0x0
	s_load_dwordx2 s[22:23], s[4:5], 0x18
	s_load_dword s7, s[4:5], 0x88
	v_mov_b32_e32 v30, 0xff7fffff
	v_lshrrev_b32_e32 v12, 3, v55
	s_mul_i32 s14, s1, s14
	buffer_store_dword v55, off, s[36:39], 0 offset:276 ; 4-byte Folded Spill
	s_xor_b32 exec_lo, exec_lo, s25
	s_cbranch_execz .LBB35_12
; %bb.7:
	s_load_dwordx2 s[26:27], s[4:5], 0x10
	v_bfe_u32 v5, v55, 1, 4
	s_ashr_i32 s15, s14, 31
	v_and_b32_e32 v1, 8, v1
	s_lshl_b64 s[28:29], s[14:15], 2
	buffer_store_dword v11, off, s[36:39], 0 offset:164 ; 4-byte Folded Spill
	v_lshlrev_b32_e32 v2, 4, v5
	v_lshlrev_b32_e32 v6, 2, v5
	v_lshl_or_b32 v127, v125, 4, v5
	v_and_b32_e32 v5, 0x7c, v12
	v_mov_b32_e32 v32, v12
	v_mov_b32_e32 v30, 0xff7fffff
	s_mov_b32 s4, s13
	s_mov_b32 s5, 0
	s_waitcnt lgkmcnt(0)
	s_add_u32 s1, s26, s28
	s_addc_u32 s2, s27, s29
	v_add_co_u32 v2, s1, s1, v2
	v_add_co_ci_u32_e64 v3, null, s2, 0, s1
	s_lshl_b64 s[26:27], s[20:21], 2
	v_add_co_u32 v1, vcc_lo, v2, v1
	v_xor_b32_e32 v2, 1, v13
	s_sub_i32 s15, 1, s11
	s_add_u32 s2, s18, s26
	buffer_store_dword v1, off, s[36:39], 0 ; 4-byte Folded Spill
	v_add_co_ci_u32_e64 v1, null, 0, v3, vcc_lo
	v_cmp_gt_i32_e32 vcc_lo, 32, v2
	s_addc_u32 s26, s19, s27
	v_cmp_neq_f32_e64 s1, s24, 0
	buffer_store_dword v1, off, s[36:39], 0 offset:16 ; 4-byte Folded Spill
	v_lshlrev_b32_e32 v1, 9, v0
	v_cndmask_b32_e32 v2, v13, v2, vcc_lo
	v_cmp_eq_u32_e32 vcc_lo, 0, v0
	v_lshl_or_b32 v0, v125, 6, v6
	ds_read_b128 v[7:10], v1
	v_lshlrev_b32_e32 v2, 2, v2
	s_waitcnt lgkmcnt(0)
	buffer_store_dword v7, off, s[36:39], 0 offset:32 ; 4-byte Folded Spill
	buffer_store_dword v8, off, s[36:39], 0 offset:36 ; 4-byte Folded Spill
	;; [unrolled: 1-line block ×4, first 2 shown]
	ds_read_b128 v[7:10], v1 offset:16
	v_add_nc_u32_e32 v0, 0x420, v0
	s_waitcnt lgkmcnt(0)
	buffer_store_dword v7, off, s[36:39], 0 offset:48 ; 4-byte Folded Spill
	buffer_store_dword v8, off, s[36:39], 0 offset:52 ; 4-byte Folded Spill
	buffer_store_dword v9, off, s[36:39], 0 offset:56 ; 4-byte Folded Spill
	buffer_store_dword v10, off, s[36:39], 0 offset:60 ; 4-byte Folded Spill
	ds_read_b128 v[7:10], v1 offset:32
	s_waitcnt lgkmcnt(0)
	buffer_store_dword v7, off, s[36:39], 0 offset:64 ; 4-byte Folded Spill
	buffer_store_dword v8, off, s[36:39], 0 offset:68 ; 4-byte Folded Spill
	buffer_store_dword v9, off, s[36:39], 0 offset:72 ; 4-byte Folded Spill
	buffer_store_dword v10, off, s[36:39], 0 offset:76 ; 4-byte Folded Spill
	ds_read_b128 v[7:10], v1 offset:48
	s_waitcnt lgkmcnt(0)
	buffer_store_dword v7, off, s[36:39], 0 offset:80 ; 4-byte Folded Spill
	buffer_store_dword v8, off, s[36:39], 0 offset:84 ; 4-byte Folded Spill
	buffer_store_dword v9, off, s[36:39], 0 offset:88 ; 4-byte Folded Spill
	buffer_store_dword v10, off, s[36:39], 0 offset:92 ; 4-byte Folded Spill
	ds_read_b128 v[7:10], v1 offset:64
	s_waitcnt lgkmcnt(0)
	buffer_store_dword v7, off, s[36:39], 0 offset:96 ; 4-byte Folded Spill
	buffer_store_dword v8, off, s[36:39], 0 offset:100 ; 4-byte Folded Spill
	buffer_store_dword v9, off, s[36:39], 0 offset:104 ; 4-byte Folded Spill
	buffer_store_dword v10, off, s[36:39], 0 offset:108 ; 4-byte Folded Spill
	ds_read_b128 v[7:10], v1 offset:80
	s_waitcnt lgkmcnt(0)
	buffer_store_dword v7, off, s[36:39], 0 offset:112 ; 4-byte Folded Spill
	buffer_store_dword v8, off, s[36:39], 0 offset:116 ; 4-byte Folded Spill
	buffer_store_dword v9, off, s[36:39], 0 offset:120 ; 4-byte Folded Spill
	buffer_store_dword v10, off, s[36:39], 0 offset:124 ; 4-byte Folded Spill
	ds_read_b128 v[7:10], v1 offset:96
	s_waitcnt lgkmcnt(0)
	buffer_store_dword v7, off, s[36:39], 0 offset:128 ; 4-byte Folded Spill
	buffer_store_dword v8, off, s[36:39], 0 offset:132 ; 4-byte Folded Spill
	buffer_store_dword v9, off, s[36:39], 0 offset:136 ; 4-byte Folded Spill
	buffer_store_dword v10, off, s[36:39], 0 offset:140 ; 4-byte Folded Spill
	ds_read_b128 v[7:10], v1 offset:112
	s_waitcnt lgkmcnt(0)
	buffer_store_dword v7, off, s[36:39], 0 offset:144 ; 4-byte Folded Spill
	buffer_store_dword v8, off, s[36:39], 0 offset:148 ; 4-byte Folded Spill
	buffer_store_dword v9, off, s[36:39], 0 offset:152 ; 4-byte Folded Spill
	buffer_store_dword v10, off, s[36:39], 0 offset:156 ; 4-byte Folded Spill
	ds_read_b128 v[33:36], v1 offset:128
	ds_read_b128 v[37:40], v1 offset:144
	ds_read_b128 v[41:44], v1 offset:160
	;; [unrolled: 1-line block ×4, first 2 shown]
	buffer_store_dword v13, off, s[36:39], 0 offset:168 ; 4-byte Folded Spill
	buffer_store_dword v2, off, s[36:39], 0 offset:160 ; 4-byte Folded Spill
	ds_read_b128 v[53:56], v1 offset:208
	ds_read_b128 v[57:60], v1 offset:224
	;; [unrolled: 1-line block ×19, first 2 shown]
	v_mov_b32_e32 v13, v125
	v_add_co_u32 v125, s2, s2, v5
	v_add_co_ci_u32_e64 v126, null, s26, 0, s2
	v_mov_b32_e32 v31, v13
	s_branch .LBB35_9
.LBB35_8:                               ;   in Loop: Header=BB35_9 Depth=1
	s_or_b32 exec_lo, exec_lo, s26
	v_add_nc_u32_e32 v13, 4, v13
	v_add_co_u32 v125, s2, v125, 16
	v_add_co_ci_u32_e64 v126, null, 0, v126, s2
	v_cmp_le_i32_e64 s2, s12, v13
	v_add_nc_u32_e32 v127, 64, v127
	v_add_nc_u32_e32 v0, 0x100, v0
	s_or_b32 s5, s2, s5
	s_andn2_b32 exec_lo, exec_lo, s5
	s_cbranch_execz .LBB35_11
.LBB35_9:                               ; =>This Inner Loop Header: Depth=1
	global_load_dword v5, v[125:126], off
	buffer_load_dword v7, off, s[36:39], 0  ; 4-byte Folded Reload
	s_waitcnt vmcnt(1) lgkmcnt(0)
	v_mad_i64_i32 v[5:6], null, v5, s4, 0
	v_lshlrev_b64 v[5:6], 2, v[5:6]
	s_waitcnt vmcnt(0)
	v_add_co_u32 v9, s2, v7, v5
	buffer_load_dword v5, off, s[36:39], 0 offset:16 ; 4-byte Folded Reload
	s_waitcnt vmcnt(0)
	v_add_co_ci_u32_e64 v10, null, v5, v6, s2
	s_clause 0x3
	global_load_dwordx2 v[5:6], v[9:10], off offset:256
	global_load_dwordx2 v[7:8], v[9:10], off offset:512
	;; [unrolled: 1-line block ×3, first 2 shown]
	global_load_dwordx2 v[16:17], v[9:10], off
	s_clause 0x3
	buffer_load_dword v18, off, s[36:39], 0 offset:32
	buffer_load_dword v19, off, s[36:39], 0 offset:36
	buffer_load_dword v20, off, s[36:39], 0 offset:40
	buffer_load_dword v21, off, s[36:39], 0 offset:44
	s_waitcnt vmcnt(1)
	v_mul_f32_e32 v14, v20, v5
	s_waitcnt vmcnt(0)
	v_mul_f32_e32 v15, v21, v6
	v_fmac_f32_e32 v14, v18, v16
	v_fmac_f32_e32 v15, v19, v17
	s_clause 0x3
	buffer_load_dword v16, off, s[36:39], 0 offset:48
	buffer_load_dword v17, off, s[36:39], 0 offset:52
	;; [unrolled: 1-line block ×4, first 2 shown]
	s_waitcnt vmcnt(3)
	v_fmac_f32_e32 v14, v16, v7
	s_waitcnt vmcnt(2)
	v_fmac_f32_e32 v15, v17, v8
	;; [unrolled: 2-line block ×4, first 2 shown]
	s_clause 0x3
	global_load_dwordx2 v[5:6], v[9:10], off offset:1024
	global_load_dwordx2 v[7:8], v[9:10], off offset:1280
	;; [unrolled: 1-line block ×4, first 2 shown]
	s_clause 0x3
	buffer_load_dword v18, off, s[36:39], 0 offset:64
	buffer_load_dword v19, off, s[36:39], 0 offset:68
	;; [unrolled: 1-line block ×4, first 2 shown]
	s_waitcnt vmcnt(3)
	v_fmac_f32_e32 v14, v18, v5
	s_waitcnt vmcnt(2)
	v_fmac_f32_e32 v15, v19, v6
	;; [unrolled: 2-line block ×4, first 2 shown]
	s_clause 0x3
	buffer_load_dword v5, off, s[36:39], 0 offset:80
	buffer_load_dword v6, off, s[36:39], 0 offset:84
	;; [unrolled: 1-line block ×4, first 2 shown]
	s_waitcnt vmcnt(3)
	v_fmac_f32_e32 v14, v5, v11
	s_waitcnt vmcnt(2)
	v_fmac_f32_e32 v15, v6, v12
	v_add_co_u32 v5, s2, v9, 0x1000
	v_add_co_ci_u32_e64 v6, null, 0, v10, s2
	s_waitcnt vmcnt(1)
	v_fmac_f32_e32 v14, v7, v16
	v_add_co_u32 v7, s2, 0x3800, v9
	s_waitcnt vmcnt(0)
	v_fmac_f32_e32 v15, v8, v17
	v_add_co_ci_u32_e64 v8, null, 0, v10, s2
	s_clause 0x2
	global_load_dwordx2 v[11:12], v[5:6], off offset:-2048
	global_load_dwordx2 v[16:17], v[5:6], off
	global_load_dwordx2 v[5:6], v[7:8], off offset:1792
	s_clause 0x3
	buffer_load_dword v24, off, s[36:39], 0 offset:96
	buffer_load_dword v25, off, s[36:39], 0 offset:100
	;; [unrolled: 1-line block ×4, first 2 shown]
	s_waitcnt vmcnt(3)
	v_fmac_f32_e32 v14, v24, v11
	v_add_co_u32 v11, s2, 0x800, v9
	s_waitcnt vmcnt(2)
	v_fmac_f32_e32 v15, v25, v12
	v_add_co_ci_u32_e64 v12, null, 0, v10, s2
	s_clause 0x3
	global_load_dwordx2 v[18:19], v[11:12], off offset:256
	global_load_dwordx2 v[20:21], v[11:12], off offset:512
	;; [unrolled: 1-line block ×4, first 2 shown]
	s_waitcnt vmcnt(3)
	v_fmac_f32_e32 v14, v26, v18
	v_fmac_f32_e32 v15, v27, v19
	s_clause 0x3
	buffer_load_dword v26, off, s[36:39], 0 offset:112
	buffer_load_dword v27, off, s[36:39], 0 offset:116
	;; [unrolled: 1-line block ×4, first 2 shown]
	s_waitcnt vmcnt(3)
	v_fmac_f32_e32 v14, v26, v20
	s_waitcnt vmcnt(2)
	v_fmac_f32_e32 v15, v27, v21
	;; [unrolled: 2-line block ×4, first 2 shown]
	s_clause 0x3
	buffer_load_dword v26, off, s[36:39], 0 offset:128
	buffer_load_dword v27, off, s[36:39], 0 offset:132
	;; [unrolled: 1-line block ×4, first 2 shown]
	s_clause 0x2
	global_load_dwordx2 v[18:19], v[11:12], off offset:1280
	global_load_dwordx2 v[20:21], v[11:12], off offset:1536
	;; [unrolled: 1-line block ×3, first 2 shown]
	v_add_co_u32 v22, s2, 0x1000, v9
	v_add_co_ci_u32_e64 v23, null, 0, v10, s2
	s_waitcnt vmcnt(6)
	v_fmac_f32_e32 v14, v26, v24
	s_waitcnt vmcnt(5)
	v_fmac_f32_e32 v15, v27, v25
	global_load_dwordx2 v[24:25], v[22:23], off offset:256
	s_waitcnt vmcnt(3)
	v_fmac_f32_e32 v14, v28, v18
	v_fmac_f32_e32 v15, v29, v19
	s_clause 0x3
	buffer_load_dword v26, off, s[36:39], 0 offset:144
	buffer_load_dword v27, off, s[36:39], 0 offset:148
	;; [unrolled: 1-line block ×4, first 2 shown]
	s_waitcnt vmcnt(3)
	v_fmac_f32_e32 v14, v26, v20
	s_waitcnt vmcnt(2)
	v_fmac_f32_e32 v15, v27, v21
	;; [unrolled: 2-line block ×4, first 2 shown]
	s_waitcnt lgkmcnt(23)
	v_fmac_f32_e32 v14, v33, v16
	v_fmac_f32_e32 v15, v34, v17
	s_clause 0x3
	global_load_dwordx2 v[11:12], v[22:23], off offset:512
	global_load_dwordx2 v[16:17], v[22:23], off offset:768
	;; [unrolled: 1-line block ×4, first 2 shown]
	v_fmac_f32_e32 v14, v35, v24
	v_fmac_f32_e32 v15, v36, v25
	s_waitcnt vmcnt(3) lgkmcnt(22)
	v_fmac_f32_e32 v14, v37, v11
	v_fmac_f32_e32 v15, v38, v12
	s_waitcnt vmcnt(2)
	v_fmac_f32_e32 v14, v39, v16
	v_fmac_f32_e32 v15, v40, v17
	s_clause 0x1
	global_load_dwordx2 v[11:12], v[22:23], off offset:1536
	global_load_dwordx2 v[16:17], v[22:23], off offset:1792
	s_waitcnt vmcnt(3) lgkmcnt(21)
	v_fmac_f32_e32 v14, v41, v18
	v_fmac_f32_e32 v15, v42, v19
	v_add_co_u32 v18, s2, 0x1800, v9
	v_add_co_ci_u32_e64 v19, null, 0, v10, s2
	s_waitcnt vmcnt(2)
	v_fmac_f32_e32 v14, v43, v20
	v_fmac_f32_e32 v15, v44, v21
	s_clause 0x1
	global_load_dwordx2 v[20:21], v[18:19], off offset:256
	global_load_dwordx2 v[22:23], v[18:19], off offset:512
	s_waitcnt vmcnt(3) lgkmcnt(20)
	v_fmac_f32_e32 v14, v45, v11
	v_fmac_f32_e32 v15, v46, v12
	v_add_co_u32 v11, s2, v9, 0x2000
	v_add_co_ci_u32_e64 v12, null, 0, v10, s2
	s_waitcnt vmcnt(2)
	v_fmac_f32_e32 v14, v47, v16
	v_add_co_u32 v16, s2, v9, 0x3000
	v_fmac_f32_e32 v15, v48, v17
	v_add_co_ci_u32_e64 v17, null, 0, v10, s2
	s_clause 0x3
	global_load_dwordx2 v[24:25], v[11:12], off offset:-2048
	global_load_dwordx2 v[26:27], v[11:12], off
	global_load_dwordx2 v[28:29], v[16:17], off offset:-2048
	global_load_dwordx2 v[11:12], v[16:17], off
	s_waitcnt vmcnt(3) lgkmcnt(19)
	v_fmac_f32_e32 v14, v49, v24
	v_fmac_f32_e32 v15, v50, v25
	;; [unrolled: 1-line block ×4, first 2 shown]
	s_waitcnt lgkmcnt(18)
	v_fmac_f32_e32 v14, v53, v22
	v_fmac_f32_e32 v15, v54, v23
	s_clause 0x3
	global_load_dwordx2 v[16:17], v[18:19], off offset:768
	global_load_dwordx2 v[20:21], v[18:19], off offset:1024
	;; [unrolled: 1-line block ×4, first 2 shown]
	s_waitcnt vmcnt(3)
	v_fmac_f32_e32 v14, v55, v16
	v_fmac_f32_e32 v15, v56, v17
	global_load_dwordx2 v[16:17], v[18:19], off offset:1792
	v_add_co_u32 v18, s2, 0x2000, v9
	s_waitcnt vmcnt(3) lgkmcnt(17)
	v_fmac_f32_e32 v14, v57, v20
	v_fmac_f32_e32 v15, v58, v21
	v_add_co_ci_u32_e64 v19, null, 0, v10, s2
	s_waitcnt vmcnt(2)
	v_fmac_f32_e32 v14, v59, v22
	v_fmac_f32_e32 v15, v60, v23
	s_waitcnt vmcnt(1) lgkmcnt(16)
	v_fmac_f32_e32 v14, v61, v24
	v_fmac_f32_e32 v15, v62, v25
	s_clause 0x2
	global_load_dwordx2 v[20:21], v[18:19], off offset:256
	global_load_dwordx2 v[22:23], v[18:19], off offset:512
	;; [unrolled: 1-line block ×3, first 2 shown]
	s_waitcnt vmcnt(3)
	v_fmac_f32_e32 v14, v63, v16
	v_fmac_f32_e32 v15, v64, v17
	s_waitcnt lgkmcnt(15)
	v_fmac_f32_e32 v14, v65, v26
	v_fmac_f32_e32 v15, v66, v27
	s_waitcnt vmcnt(2)
	v_fmac_f32_e32 v14, v67, v20
	v_fmac_f32_e32 v15, v68, v21
	s_waitcnt vmcnt(1) lgkmcnt(14)
	v_fmac_f32_e32 v14, v69, v22
	v_fmac_f32_e32 v15, v70, v23
	s_clause 0x3
	global_load_dwordx2 v[16:17], v[18:19], off offset:1024
	global_load_dwordx2 v[20:21], v[18:19], off offset:1280
	;; [unrolled: 1-line block ×4, first 2 shown]
	s_waitcnt vmcnt(4)
	v_fmac_f32_e32 v14, v71, v24
	v_fmac_f32_e32 v15, v72, v25
	s_waitcnt vmcnt(3) lgkmcnt(13)
	v_fmac_f32_e32 v14, v73, v16
	v_fmac_f32_e32 v15, v74, v17
	v_add_co_u32 v16, s2, 0x2800, v9
	v_add_co_ci_u32_e64 v17, null, 0, v10, s2
	s_waitcnt vmcnt(2)
	v_fmac_f32_e32 v14, v75, v20
	v_fmac_f32_e32 v15, v76, v21
	v_add_co_u32 v9, s2, 0x3000, v9
	v_add_co_ci_u32_e64 v10, null, 0, v10, s2
	s_waitcnt vmcnt(1) lgkmcnt(12)
	v_fmac_f32_e32 v14, v77, v22
	v_fmac_f32_e32 v15, v78, v23
	s_waitcnt vmcnt(0)
	v_fmac_f32_e32 v14, v79, v18
	v_fmac_f32_e32 v15, v80, v19
	s_clause 0x3
	global_load_dwordx2 v[18:19], v[16:17], off offset:256
	global_load_dwordx2 v[20:21], v[16:17], off offset:512
	;; [unrolled: 1-line block ×4, first 2 shown]
	s_waitcnt lgkmcnt(11)
	v_fmac_f32_e32 v14, v81, v28
	v_fmac_f32_e32 v15, v82, v29
	s_waitcnt vmcnt(3)
	v_fmac_f32_e32 v14, v83, v18
	v_fmac_f32_e32 v15, v84, v19
	s_waitcnt vmcnt(2) lgkmcnt(10)
	v_fmac_f32_e32 v14, v85, v20
	v_fmac_f32_e32 v15, v86, v21
	s_waitcnt vmcnt(1)
	v_fmac_f32_e32 v14, v87, v22
	v_fmac_f32_e32 v15, v88, v23
	s_clause 0x3
	global_load_dwordx2 v[18:19], v[16:17], off offset:1280
	global_load_dwordx2 v[20:21], v[16:17], off offset:1536
	;; [unrolled: 1-line block ×4, first 2 shown]
	s_waitcnt vmcnt(4) lgkmcnt(9)
	v_fmac_f32_e32 v14, v89, v24
	v_fmac_f32_e32 v15, v90, v25
	s_waitcnt vmcnt(3)
	v_fmac_f32_e32 v14, v91, v18
	v_fmac_f32_e32 v15, v92, v19
	s_waitcnt vmcnt(2) lgkmcnt(8)
	v_fmac_f32_e32 v14, v93, v20
	v_fmac_f32_e32 v15, v94, v21
	s_waitcnt vmcnt(1)
	v_fmac_f32_e32 v14, v95, v16
	v_fmac_f32_e32 v15, v96, v17
	s_waitcnt lgkmcnt(7)
	v_fmac_f32_e32 v14, v97, v11
	v_fmac_f32_e32 v15, v98, v12
	s_clause 0x3
	global_load_dwordx2 v[11:12], v[9:10], off offset:512
	global_load_dwordx2 v[16:17], v[9:10], off offset:768
	;; [unrolled: 1-line block ×4, first 2 shown]
	s_waitcnt vmcnt(4)
	v_fmac_f32_e32 v14, v99, v22
	v_fmac_f32_e32 v15, v100, v23
	s_waitcnt vmcnt(3) lgkmcnt(6)
	v_fmac_f32_e32 v14, v101, v11
	v_fmac_f32_e32 v15, v102, v12
	s_waitcnt vmcnt(2)
	v_fmac_f32_e32 v14, v103, v16
	v_fmac_f32_e32 v15, v104, v17
	s_waitcnt vmcnt(1) lgkmcnt(5)
	v_fmac_f32_e32 v14, v105, v18
	v_fmac_f32_e32 v15, v106, v19
	s_clause 0x3
	global_load_dwordx2 v[11:12], v[9:10], off offset:1536
	global_load_dwordx2 v[9:10], v[9:10], off offset:1792
	global_load_dwordx2 v[16:17], v[7:8], off
	global_load_dwordx2 v[18:19], v[7:8], off offset:256
	s_waitcnt vmcnt(4)
	v_fmac_f32_e32 v14, v107, v20
	v_fmac_f32_e32 v15, v108, v21
	s_waitcnt vmcnt(3) lgkmcnt(4)
	v_fmac_f32_e32 v14, v109, v11
	v_fmac_f32_e32 v15, v110, v12
	s_waitcnt vmcnt(2)
	v_fmac_f32_e32 v14, v111, v9
	v_fmac_f32_e32 v15, v112, v10
	s_waitcnt vmcnt(1) lgkmcnt(3)
	v_fmac_f32_e32 v14, v113, v16
	v_fmac_f32_e32 v15, v114, v17
	s_waitcnt vmcnt(0)
	v_fmac_f32_e32 v14, v115, v18
	v_fmac_f32_e32 v15, v116, v19
	s_clause 0x4
	global_load_dwordx2 v[9:10], v[7:8], off offset:512
	global_load_dwordx2 v[11:12], v[7:8], off offset:768
	;; [unrolled: 1-line block ×5, first 2 shown]
	s_waitcnt vmcnt(4) lgkmcnt(2)
	v_fmac_f32_e32 v15, v118, v10
	v_fmac_f32_e32 v14, v117, v9
	s_waitcnt vmcnt(3)
	v_fmac_f32_e32 v15, v120, v12
	v_fmac_f32_e32 v14, v119, v11
	s_waitcnt vmcnt(2) lgkmcnt(1)
	v_fmac_f32_e32 v15, v122, v17
	v_fmac_f32_e32 v14, v121, v16
	s_waitcnt vmcnt(1)
	v_fmac_f32_e32 v15, v124, v19
	v_fmac_f32_e32 v14, v123, v18
	s_waitcnt vmcnt(0) lgkmcnt(0)
	v_fmac_f32_e32 v15, v2, v8
	v_fmac_f32_e32 v14, v1, v7
	;; [unrolled: 1-line block ×3, first 2 shown]
	buffer_load_dword v6, off, s[36:39], 0 offset:160 ; 4-byte Folded Reload
	v_fmac_f32_e32 v14, v3, v5
	v_add_f32_e32 v5, v14, v15
	s_waitcnt vmcnt(0)
	ds_bpermute_b32 v6, v6, v5
	s_and_saveexec_b32 s26, vcc_lo
	s_cbranch_execz .LBB35_8
; %bb.10:                               ;   in Loop: Header=BB35_9 Depth=1
	v_add_nc_u32_e32 v7, s15, v127
	s_waitcnt lgkmcnt(0)
	v_add_f32_e32 v5, v5, v6
	v_cmp_gt_i32_e64 s2, s11, v127
	v_cvt_f32_i32_e32 v7, v7
	v_mul_f32_e32 v7, s24, v7
	v_cndmask_b32_e64 v6, 0, v7, s1
	v_max_f32_e32 v7, v30, v30
	v_fmac_f32_e32 v6, s3, v5
	v_max_f32_e32 v5, v7, v6
	v_cndmask_b32_e64 v6, 0, v6, s2
	v_cndmask_b32_e64 v30, v30, v5, s2
	ds_write_b32 v0, v6
	s_branch .LBB35_8
.LBB35_11:
	s_or_b32 exec_lo, exec_lo, s5
	s_clause 0x2
	buffer_load_dword v55, off, s[36:39], 0 offset:276
	buffer_load_dword v11, off, s[36:39], 0 offset:164
	;; [unrolled: 1-line block ×3, first 2 shown]
	v_mov_b32_e32 v125, v31
	v_mov_b32_e32 v12, v32
	;; [unrolled: 1-line block ×4, first 2 shown]
.LBB35_12:
	s_or_b32 exec_lo, exec_lo, s25
	s_waitcnt vmcnt(0)
	v_xor_b32_e32 v0, 16, v13
	v_xor_b32_e32 v2, 8, v13
	v_max_f32_e32 v3, v30, v30
	v_xor_b32_e32 v4, 4, v13
	v_and_b32_e32 v56, 31, v55
	v_cmp_lt_i32_e32 vcc_lo, v0, v9
	v_cndmask_b32_e32 v0, v13, v0, vcc_lo
	v_cmp_lt_i32_e32 vcc_lo, v2, v9
	v_lshlrev_b32_e32 v0, 2, v0
	v_cndmask_b32_e32 v2, v13, v2, vcc_lo
	v_cmp_lt_i32_e32 vcc_lo, v4, v9
	ds_bpermute_b32 v1, v0, v30
	v_lshlrev_b32_e32 v2, 2, v2
	v_cndmask_b32_e32 v4, v13, v4, vcc_lo
	s_waitcnt lgkmcnt(0)
	v_max_f32_e32 v1, v1, v1
	v_max_f32_e32 v1, v3, v1
	ds_bpermute_b32 v3, v2, v1
	s_waitcnt lgkmcnt(0)
	v_max_f32_e32 v5, v3, v3
	v_lshlrev_b32_e32 v3, 2, v4
	v_max_f32_e32 v1, v1, v5
	v_xor_b32_e32 v5, 2, v13
	ds_bpermute_b32 v4, v3, v1
	v_cmp_lt_i32_e32 vcc_lo, v5, v9
	v_cndmask_b32_e32 v5, v13, v5, vcc_lo
	v_cmp_eq_u32_e32 vcc_lo, 0, v56
	v_lshlrev_b32_e32 v38, 2, v5
	s_waitcnt lgkmcnt(0)
	v_max_f32_e32 v4, v4, v4
	v_max_f32_e32 v1, v1, v4
	v_lshlrev_b32_e32 v4, 2, v125
	ds_bpermute_b32 v5, v38, v1
	s_and_saveexec_b32 s1, vcc_lo
	s_cbranch_execz .LBB35_14
; %bb.13:
	s_waitcnt lgkmcnt(0)
	v_max_f32_e32 v5, v5, v5
	v_max_f32_e32 v1, v1, v1
	;; [unrolled: 1-line block ×3, first 2 shown]
	ds_write_b32 v4, v1 offset:1024
.LBB35_14:
	s_or_b32 exec_lo, exec_lo, s1
	v_cmp_gt_u32_e64 s1, 4, v56
	v_mov_b32_e32 v1, 0xff7fffff
	s_waitcnt lgkmcnt(0)
	v_lshlrev_b32_e32 v5, 2, v56
	s_waitcnt_vscnt null, 0x0
	s_barrier
	buffer_gl0_inv
	s_and_saveexec_b32 s2, s1
; %bb.15:
	ds_read_b32 v1, v5 offset:1024
; %bb.16:
	s_or_b32 exec_lo, exec_lo, s2
	s_waitcnt lgkmcnt(0)
	ds_bpermute_b32 v6, v38, v1
	v_xor_b32_e32 v7, 1, v13
	v_max_f32_e32 v1, v1, v1
	v_cmp_lt_i32_e64 s2, v7, v9
	v_cndmask_b32_e64 v7, v13, v7, s2
	s_lshl_b32 s2, s12, 4
	s_min_i32 s4, s2, s11
	v_lshlrev_b32_e32 v54, 2, v7
	v_cmp_gt_i32_e64 s2, s4, v55
	s_waitcnt lgkmcnt(0)
	v_max_f32_e32 v6, v6, v6
	v_max_f32_e32 v1, v1, v6
	ds_bpermute_b32 v6, v54, v1
	s_waitcnt lgkmcnt(0)
	v_max_f32_e32 v6, v6, v6
	v_max_f32_e32 v1, v1, v6
	v_lshlrev_b32_e32 v6, 2, v8
	ds_bpermute_b32 v7, v6, v1
	v_mov_b32_e32 v6, 0
	v_lshl_add_u32 v1, v55, 2, 0x420
	s_and_saveexec_b32 s5, s2
	s_cbranch_execz .LBB35_20
; %bb.17:
	v_lshl_add_u32 v8, v55, 2, 0x420
	v_mov_b32_e32 v6, 0
	v_mov_b32_e32 v9, v55
	s_mov_b32 s15, 0
	.p2align	6
.LBB35_18:                              ; =>This Inner Loop Header: Depth=1
	ds_read_b32 v10, v8
	v_add_nc_u32_e32 v9, 0x80, v9
	v_cmp_le_i32_e64 s3, s4, v9
	s_or_b32 s15, s3, s15
	s_waitcnt lgkmcnt(0)
	v_sub_f32_e32 v10, v10, v7
	v_mul_f32_e32 v10, 0x3fb8aa3b, v10
	v_exp_f32_e32 v10, v10
	ds_write_b32 v8, v10
	v_add_f32_e32 v6, v6, v10
	v_add_nc_u32_e32 v8, 0x200, v8
	s_andn2_b32 exec_lo, exec_lo, s15
	s_cbranch_execnz .LBB35_18
; %bb.19:
	s_or_b32 exec_lo, exec_lo, s15
.LBB35_20:
	s_or_b32 exec_lo, exec_lo, s5
	ds_bpermute_b32 v0, v0, v6
	s_waitcnt lgkmcnt(0)
	v_add_f32_e32 v0, v6, v0
	ds_bpermute_b32 v2, v2, v0
	s_waitcnt lgkmcnt(0)
	v_add_f32_e32 v0, v0, v2
	ds_bpermute_b32 v2, v3, v0
	s_waitcnt lgkmcnt(0)
	v_add_f32_e32 v0, v0, v2
	ds_bpermute_b32 v2, v38, v0
	s_waitcnt lgkmcnt(0)
	v_add_f32_e32 v0, v0, v2
	ds_bpermute_b32 v2, v54, v0
	s_waitcnt lgkmcnt(0)
	v_add_f32_e32 v0, v0, v2
	s_and_saveexec_b32 s3, vcc_lo
; %bb.21:
	ds_write_b32 v4, v0 offset:1040
; %bb.22:
	s_or_b32 exec_lo, exec_lo, s3
	s_waitcnt lgkmcnt(0)
	s_barrier
	buffer_gl0_inv
	s_and_saveexec_b32 s3, s1
; %bb.23:
	ds_read_b32 v0, v5 offset:1040
; %bb.24:
	s_or_b32 exec_lo, exec_lo, s3
	s_waitcnt lgkmcnt(0)
	ds_bpermute_b32 v2, v38, v0
	v_lshlrev_b32_e32 v3, 2, v13
	s_waitcnt lgkmcnt(0)
	v_add_f32_e32 v0, v0, v2
	ds_bpermute_b32 v2, v54, v0
	s_waitcnt lgkmcnt(0)
	v_add_f32_e32 v0, v0, v2
	v_and_b32_e32 v2, 0xffffff80, v3
	ds_bpermute_b32 v0, v2, v0
	s_and_saveexec_b32 s1, s2
	s_cbranch_execz .LBB35_27
; %bb.25:
	s_waitcnt lgkmcnt(0)
	v_add_f32_e32 v0, 0x358637bd, v0
	s_mov_b32 s2, 0
	v_div_scale_f32 v2, null, v0, v0, 1.0
	v_div_scale_f32 v5, vcc_lo, 1.0, v0, 1.0
	v_rcp_f32_e32 v3, v2
	v_fma_f32 v4, -v2, v3, 1.0
	v_fmac_f32_e32 v3, v4, v3
	v_mul_f32_e32 v4, v5, v3
	v_fma_f32 v6, -v2, v4, v5
	v_fmac_f32_e32 v4, v6, v3
	v_fma_f32 v2, -v2, v4, v5
	v_div_fmas_f32 v2, v2, v3, v4
	v_div_fixup_f32 v0, v2, v0, 1.0
	v_mov_b32_e32 v2, v55
.LBB35_26:                              ; =>This Inner Loop Header: Depth=1
	ds_read_b32 v3, v1
	v_add_nc_u32_e32 v2, 0x80, v2
	v_cmp_le_i32_e32 vcc_lo, s4, v2
	s_or_b32 s2, vcc_lo, s2
	s_waitcnt lgkmcnt(0)
	v_mul_f32_e32 v3, v0, v3
	ds_write_b32 v1, v3
	v_add_nc_u32_e32 v1, 0x200, v1
	s_andn2_b32 exec_lo, exec_lo, s2
	s_cbranch_execnz .LBB35_26
.LBB35_27:
	s_or_b32 exec_lo, exec_lo, s1
	v_mov_b32_e32 v19, 0
	v_and_b32_e32 v57, 3, v55
	v_mov_b32_e32 v24, 0
	v_mov_b32_e32 v23, 0
	;; [unrolled: 1-line block ×31, first 2 shown]
	s_waitcnt lgkmcnt(0)
	s_barrier
	buffer_gl0_inv
	s_and_saveexec_b32 s1, s0
	s_cbranch_execz .LBB35_95
; %bb.28:
	v_and_b32_e32 v0, 12, v11
	v_lshlrev_b32_e32 v1, 4, v57
	v_lshlrev_b32_e32 v3, 4, v125
	s_ashr_i32 s15, s14, 31
	v_and_b32_e32 v2, 0x7c, v11
	s_lshl_b64 s[2:3], s[14:15], 2
	v_mov_b32_e32 v4, 0
	s_add_u32 s2, s22, s2
	v_lshl_or_b32 v1, v125, 6, v1
	v_or3_b32 v127, v3, v0, 3
	v_and_b32_e32 v0, 0x7c, v12
	s_addc_u32 s3, s23, s3
	s_lshl_b64 s[14:15], s[20:21], 2
	s_add_i32 s4, s12, -1
	s_add_u32 s0, s18, s14
	buffer_store_dword v54, off, s[36:39], 0 offset:292 ; 4-byte Folded Spill
	buffer_store_dword v38, off, s[36:39], 0 offset:288 ; 4-byte Folded Spill
	;; [unrolled: 1-line block ×4, first 2 shown]
	v_or_b32_e32 v4, 0xf80, v11
	v_add_nc_u32_e32 v3, 0x420, v1
	v_mov_b32_e32 v1, v125
	v_add_co_u32 v125, s0, s0, v0
	v_lshlrev_b32_e32 v0, 2, v2
	s_addc_u32 s5, s19, s15
	v_mov_b32_e32 v6, 0
	v_add_co_ci_u32_e64 v126, null, s5, 0, s0
	buffer_store_dword v0, off, s[36:39], 0 offset:268 ; 4-byte Folded Spill
	v_lshlrev_b32_e32 v0, 2, v4
	v_mov_b32_e32 v5, 0
	s_mov_b32 s5, 0
	buffer_store_dword v57, off, s[36:39], 0 offset:296 ; 4-byte Folded Spill
	buffer_store_dword v0, off, s[36:39], 0 offset:272 ; 4-byte Folded Spill
	v_mov_b32_e32 v0, 0
	buffer_store_dword v0, off, s[36:39], 0 offset:64 ; 4-byte Folded Spill
	v_mov_b32_e32 v0, 0
	;; [unrolled: 2-line block ×29, first 2 shown]
	buffer_store_dword v0, off, s[36:39], 0 offset:240 ; 4-byte Folded Spill
	buffer_store_dword v1, off, s[36:39], 0 offset:280 ; 4-byte Folded Spill
	s_branch .LBB35_30
.LBB35_29:                              ;   in Loop: Header=BB35_30 Depth=1
	s_or_b32 exec_lo, exec_lo, s0
	s_waitcnt lgkmcnt(0)
	v_mul_f32_e32 v0, v1, v9
	buffer_load_dword v9, off, s[36:39], 0 offset:64 ; 4-byte Folded Reload
	v_add_co_u32 v125, vcc_lo, v125, 16
	v_add_co_ci_u32_e64 v126, null, 0, v126, vcc_lo
	v_fmac_f32_e32 v0, v2, v10
	v_add_nc_u32_e32 v127, 64, v127
	v_fmac_f32_e32 v0, v3, v11
	v_fmac_f32_e32 v0, v4, v12
	s_waitcnt vmcnt(0)
	v_add_f32_e32 v9, v9, v0
	v_mul_f32_e32 v0, v1, v5
	buffer_load_dword v5, off, s[36:39], 0 offset:80 ; 4-byte Folded Reload
	buffer_store_dword v9, off, s[36:39], 0 offset:64 ; 4-byte Folded Spill
	v_fmac_f32_e32 v0, v2, v6
	buffer_load_dword v6, off, s[36:39], 0 offset:252 ; 4-byte Folded Reload
	v_fmac_f32_e32 v0, v3, v7
	buffer_load_dword v7, off, s[36:39], 0 offset:232 ; 4-byte Folded Reload
	v_fmac_f32_e32 v0, v4, v8
	s_waitcnt vmcnt(2)
	v_add_f32_e32 v5, v5, v0
	v_mul_f32_e32 v0, v1, v121
	buffer_store_dword v5, off, s[36:39], 0 offset:80 ; 4-byte Folded Spill
	buffer_load_dword v5, off, s[36:39], 0 offset:96 ; 4-byte Folded Reload
	v_fmac_f32_e32 v0, v2, v122
	v_fmac_f32_e32 v0, v3, v123
	v_fmac_f32_e32 v0, v4, v124
	s_waitcnt vmcnt(0)
	v_add_f32_e32 v5, v5, v0
	v_mul_f32_e32 v0, v1, v117
	buffer_store_dword v5, off, s[36:39], 0 offset:96 ; 4-byte Folded Spill
	buffer_load_dword v5, off, s[36:39], 0 offset:112 ; 4-byte Folded Reload
	v_fmac_f32_e32 v0, v2, v118
	v_fmac_f32_e32 v0, v3, v119
	;; [unrolled: 8-line block ×23, first 2 shown]
	v_fmac_f32_e32 v0, v4, v32
	v_add_f32_e32 v6, v6, v0
	v_mul_f32_e32 v0, v1, v25
	v_fmac_f32_e32 v0, v2, v26
	v_fmac_f32_e32 v0, v3, v27
	;; [unrolled: 1-line block ×3, first 2 shown]
	s_waitcnt vmcnt(0)
	v_add_f32_e32 v5, v5, v0
	v_mul_f32_e32 v0, v1, v21
	v_fmac_f32_e32 v0, v2, v22
	v_fmac_f32_e32 v0, v3, v23
	;; [unrolled: 1-line block ×3, first 2 shown]
	v_add_f32_e32 v7, v7, v0
	v_mul_f32_e32 v0, v1, v17
	buffer_store_dword v7, off, s[36:39], 0 offset:232 ; 4-byte Folded Spill
	buffer_load_dword v7, off, s[36:39], 0 offset:236 ; 4-byte Folded Reload
	v_fmac_f32_e32 v0, v2, v18
	v_fmac_f32_e32 v0, v3, v19
	;; [unrolled: 1-line block ×3, first 2 shown]
	s_waitcnt vmcnt(0)
	v_add_f32_e32 v7, v7, v0
	buffer_store_dword v7, off, s[36:39], 0 offset:236 ; 4-byte Folded Spill
	s_clause 0x3
	buffer_load_dword v7, off, s[36:39], 0 offset:32
	buffer_load_dword v8, off, s[36:39], 0 offset:36
	;; [unrolled: 1-line block ×4, first 2 shown]
	s_waitcnt vmcnt(3)
	v_mul_f32_e32 v0, v1, v7
	buffer_load_dword v7, off, s[36:39], 0 offset:244 ; 4-byte Folded Reload
	s_waitcnt vmcnt(3)
	v_fmac_f32_e32 v0, v2, v8
	s_waitcnt vmcnt(2)
	v_fmac_f32_e32 v0, v3, v9
	;; [unrolled: 2-line block ×3, first 2 shown]
	s_waitcnt vmcnt(0)
	v_add_f32_e32 v7, v7, v0
	buffer_store_dword v7, off, s[36:39], 0 offset:244 ; 4-byte Folded Spill
	s_clause 0x3
	buffer_load_dword v7, off, s[36:39], 0 offset:16
	buffer_load_dword v8, off, s[36:39], 0 offset:20
	;; [unrolled: 1-line block ×4, first 2 shown]
	s_waitcnt vmcnt(3)
	v_mul_f32_e32 v0, v1, v7
	buffer_load_dword v7, off, s[36:39], 0 offset:248 ; 4-byte Folded Reload
	s_waitcnt vmcnt(3)
	v_fmac_f32_e32 v0, v2, v8
	s_waitcnt vmcnt(2)
	v_fmac_f32_e32 v0, v3, v9
	;; [unrolled: 2-line block ×3, first 2 shown]
	s_waitcnt vmcnt(0)
	v_add_f32_e32 v7, v7, v0
	buffer_store_dword v7, off, s[36:39], 0 offset:248 ; 4-byte Folded Spill
	s_clause 0x3
	buffer_load_dword v7, off, s[36:39], 0
	buffer_load_dword v8, off, s[36:39], 0 offset:4
	buffer_load_dword v9, off, s[36:39], 0 offset:8
	;; [unrolled: 1-line block ×3, first 2 shown]
	s_waitcnt vmcnt(3)
	v_mul_f32_e32 v0, v1, v7
	buffer_load_dword v7, off, s[36:39], 0 offset:240 ; 4-byte Folded Reload
	s_waitcnt vmcnt(3)
	v_fmac_f32_e32 v0, v2, v8
	s_waitcnt vmcnt(2)
	v_fmac_f32_e32 v0, v3, v9
	;; [unrolled: 2-line block ×3, first 2 shown]
	s_waitcnt vmcnt(0)
	v_add_f32_e32 v7, v7, v0
	v_mul_f32_e32 v0, v1, v93
	buffer_load_dword v1, off, s[36:39], 0 offset:48 ; 4-byte Folded Reload
	buffer_store_dword v7, off, s[36:39], 0 offset:240 ; 4-byte Folded Spill
	v_fmac_f32_e32 v0, v2, v94
	v_fmac_f32_e32 v0, v3, v95
	buffer_load_dword v3, off, s[36:39], 0 offset:260 ; 4-byte Folded Reload
	v_fmac_f32_e32 v0, v4, v96
	s_waitcnt vmcnt(1)
	v_add_f32_e32 v1, v1, v0
	buffer_store_dword v1, off, s[36:39], 0 offset:48 ; 4-byte Folded Spill
	buffer_load_dword v1, off, s[36:39], 0 offset:264 ; 4-byte Folded Reload
	s_waitcnt vmcnt(1)
	v_add_nc_u32_e32 v3, 0x100, v3
	s_waitcnt vmcnt(0)
	v_add_nc_u32_e32 v1, 4, v1
	v_cmp_le_i32_e32 vcc_lo, s12, v1
	s_or_b32 s5, vcc_lo, s5
	s_andn2_b32 exec_lo, exec_lo, s5
	s_cbranch_execz .LBB35_94
.LBB35_30:                              ; =>This Inner Loop Header: Depth=1
	buffer_store_dword v5, off, s[36:39], 0 offset:256 ; 4-byte Folded Spill
	buffer_store_dword v6, off, s[36:39], 0 offset:252 ; 4-byte Folded Spill
	global_load_dword v0, v[125:126], off
	v_mov_b32_e32 v7, v1
	v_add_nc_u32_e32 v14, -2, v127
	v_add_nc_u32_e32 v13, -1, v127
	s_waitcnt vmcnt(0)
	v_mad_i64_i32 v[0:1], null, v0, s13, 0
	v_lshlrev_b64 v[0:1], 2, v[0:1]
	v_add_co_u32 v15, vcc_lo, s2, v0
	buffer_load_dword v0, off, s[36:39], 0 offset:268 ; 4-byte Folded Reload
	v_add_co_ci_u32_e64 v16, null, s3, v1, vcc_lo
	s_waitcnt vmcnt(0)
	v_add_co_u32 v5, vcc_lo, v15, v0
	v_add_co_ci_u32_e64 v6, null, 0, v16, vcc_lo
	v_add_nc_u32_e32 v0, -3, v127
	v_cmp_eq_u32_e32 vcc_lo, s4, v7
	global_load_dwordx4 v[8:11], v[5:6], off
	s_waitcnt vmcnt(0)
	buffer_store_dword v8, off, s[36:39], 0 ; 4-byte Folded Spill
	buffer_store_dword v9, off, s[36:39], 0 offset:4 ; 4-byte Folded Spill
	buffer_store_dword v10, off, s[36:39], 0 offset:8 ; 4-byte Folded Spill
	;; [unrolled: 1-line block ×4, first 2 shown]
	ds_read_b128 v[1:4], v3
	buffer_store_dword v7, off, s[36:39], 0 offset:264 ; 4-byte Folded Spill
	s_and_saveexec_b32 s14, vcc_lo
	s_cbranch_execz .LBB35_32
; %bb.31:                               ;   in Loop: Header=BB35_30 Depth=1
	s_clause 0x3
	buffer_load_dword v7, off, s[36:39], 0
	buffer_load_dword v8, off, s[36:39], 0 offset:4
	buffer_load_dword v9, off, s[36:39], 0 offset:8
	buffer_load_dword v10, off, s[36:39], 0 offset:12
	v_cmp_gt_i32_e64 s0, s11, v0
	s_waitcnt vmcnt(3)
	v_cndmask_b32_e64 v7, 0, v7, s0
	v_cmp_gt_i32_e64 s0, s11, v14
	s_waitcnt vmcnt(2)
	v_cndmask_b32_e64 v8, 0, v8, s0
	;; [unrolled: 3-line block ×4, first 2 shown]
	buffer_store_dword v7, off, s[36:39], 0 ; 4-byte Folded Spill
	buffer_store_dword v8, off, s[36:39], 0 offset:4 ; 4-byte Folded Spill
	buffer_store_dword v9, off, s[36:39], 0 offset:8 ; 4-byte Folded Spill
	;; [unrolled: 1-line block ×3, first 2 shown]
.LBB35_32:                              ;   in Loop: Header=BB35_30 Depth=1
	s_or_b32 exec_lo, exec_lo, s14
	global_load_dwordx4 v[7:10], v[5:6], off offset:512
	s_waitcnt vmcnt(0)
	buffer_store_dword v7, off, s[36:39], 0 offset:16 ; 4-byte Folded Spill
	buffer_store_dword v8, off, s[36:39], 0 offset:20 ; 4-byte Folded Spill
	;; [unrolled: 1-line block ×4, first 2 shown]
	s_and_saveexec_b32 s14, vcc_lo
	s_cbranch_execz .LBB35_34
; %bb.33:                               ;   in Loop: Header=BB35_30 Depth=1
	s_clause 0x3
	buffer_load_dword v7, off, s[36:39], 0 offset:16
	buffer_load_dword v8, off, s[36:39], 0 offset:20
	;; [unrolled: 1-line block ×4, first 2 shown]
	v_cmp_gt_i32_e64 s0, s11, v0
	s_waitcnt vmcnt(3)
	v_cndmask_b32_e64 v7, 0, v7, s0
	v_cmp_gt_i32_e64 s0, s11, v14
	s_waitcnt vmcnt(2)
	v_cndmask_b32_e64 v8, 0, v8, s0
	;; [unrolled: 3-line block ×4, first 2 shown]
	buffer_store_dword v7, off, s[36:39], 0 offset:16 ; 4-byte Folded Spill
	buffer_store_dword v8, off, s[36:39], 0 offset:20 ; 4-byte Folded Spill
	;; [unrolled: 1-line block ×4, first 2 shown]
.LBB35_34:                              ;   in Loop: Header=BB35_30 Depth=1
	s_or_b32 exec_lo, exec_lo, s14
	global_load_dwordx4 v[7:10], v[5:6], off offset:1024
	s_waitcnt vmcnt(0)
	buffer_store_dword v7, off, s[36:39], 0 offset:32 ; 4-byte Folded Spill
	buffer_store_dword v8, off, s[36:39], 0 offset:36 ; 4-byte Folded Spill
	;; [unrolled: 1-line block ×4, first 2 shown]
	s_and_saveexec_b32 s14, vcc_lo
	s_cbranch_execz .LBB35_36
; %bb.35:                               ;   in Loop: Header=BB35_30 Depth=1
	s_clause 0x3
	buffer_load_dword v7, off, s[36:39], 0 offset:32
	buffer_load_dword v8, off, s[36:39], 0 offset:36
	;; [unrolled: 1-line block ×4, first 2 shown]
	v_cmp_gt_i32_e64 s0, s11, v0
	s_waitcnt vmcnt(3)
	v_cndmask_b32_e64 v7, 0, v7, s0
	v_cmp_gt_i32_e64 s0, s11, v14
	s_waitcnt vmcnt(2)
	v_cndmask_b32_e64 v8, 0, v8, s0
	;; [unrolled: 3-line block ×4, first 2 shown]
	buffer_store_dword v7, off, s[36:39], 0 offset:32 ; 4-byte Folded Spill
	buffer_store_dword v8, off, s[36:39], 0 offset:36 ; 4-byte Folded Spill
	;; [unrolled: 1-line block ×4, first 2 shown]
.LBB35_36:                              ;   in Loop: Header=BB35_30 Depth=1
	s_or_b32 exec_lo, exec_lo, s14
	global_load_dwordx4 v[17:20], v[5:6], off offset:1536
	s_and_saveexec_b32 s14, vcc_lo
	s_cbranch_execz .LBB35_38
; %bb.37:                               ;   in Loop: Header=BB35_30 Depth=1
	v_cmp_gt_i32_e64 s0, s11, v0
	s_waitcnt vmcnt(0)
	v_cndmask_b32_e64 v17, 0, v17, s0
	v_cmp_gt_i32_e64 s0, s11, v14
	v_cndmask_b32_e64 v18, 0, v18, s0
	v_cmp_gt_i32_e64 s0, s11, v13
	;; [unrolled: 2-line block ×3, first 2 shown]
	v_cndmask_b32_e64 v20, 0, v20, s0
.LBB35_38:                              ;   in Loop: Header=BB35_30 Depth=1
	s_or_b32 exec_lo, exec_lo, s14
	v_add_co_u32 v7, s0, 0x800, v5
	v_add_co_ci_u32_e64 v8, null, 0, v6, s0
	global_load_dwordx4 v[21:24], v[7:8], off
	s_and_saveexec_b32 s14, vcc_lo
	s_cbranch_execnz .LBB35_74
; %bb.39:                               ;   in Loop: Header=BB35_30 Depth=1
	s_or_b32 exec_lo, exec_lo, s14
	global_load_dwordx4 v[25:28], v[7:8], off offset:512
	s_and_saveexec_b32 s14, vcc_lo
	s_cbranch_execnz .LBB35_75
.LBB35_40:                              ;   in Loop: Header=BB35_30 Depth=1
	s_or_b32 exec_lo, exec_lo, s14
	global_load_dwordx4 v[29:32], v[7:8], off offset:1024
	s_and_saveexec_b32 s14, vcc_lo
	s_cbranch_execnz .LBB35_76
.LBB35_41:                              ;   in Loop: Header=BB35_30 Depth=1
	s_or_b32 exec_lo, exec_lo, s14
	global_load_dwordx4 v[33:36], v[7:8], off offset:1536
	s_and_saveexec_b32 s14, vcc_lo
	s_cbranch_execz .LBB35_43
.LBB35_42:                              ;   in Loop: Header=BB35_30 Depth=1
	v_cmp_gt_i32_e64 s0, s11, v0
	s_waitcnt vmcnt(0)
	v_cndmask_b32_e64 v33, 0, v33, s0
	v_cmp_gt_i32_e64 s0, s11, v14
	v_cndmask_b32_e64 v34, 0, v34, s0
	v_cmp_gt_i32_e64 s0, s11, v13
	;; [unrolled: 2-line block ×3, first 2 shown]
	v_cndmask_b32_e64 v36, 0, v36, s0
.LBB35_43:                              ;   in Loop: Header=BB35_30 Depth=1
	s_or_b32 exec_lo, exec_lo, s14
	v_add_co_u32 v7, s0, 0x1000, v5
	v_add_co_ci_u32_e64 v8, null, 0, v6, s0
	global_load_dwordx4 v[37:40], v[7:8], off
	s_and_saveexec_b32 s14, vcc_lo
	s_cbranch_execnz .LBB35_77
; %bb.44:                               ;   in Loop: Header=BB35_30 Depth=1
	s_or_b32 exec_lo, exec_lo, s14
	global_load_dwordx4 v[41:44], v[7:8], off offset:512
	s_and_saveexec_b32 s14, vcc_lo
	s_cbranch_execnz .LBB35_78
.LBB35_45:                              ;   in Loop: Header=BB35_30 Depth=1
	s_or_b32 exec_lo, exec_lo, s14
	global_load_dwordx4 v[45:48], v[7:8], off offset:1024
	s_and_saveexec_b32 s14, vcc_lo
	s_cbranch_execnz .LBB35_79
.LBB35_46:                              ;   in Loop: Header=BB35_30 Depth=1
	s_or_b32 exec_lo, exec_lo, s14
	global_load_dwordx4 v[49:52], v[7:8], off offset:1536
	s_and_saveexec_b32 s14, vcc_lo
	s_cbranch_execz .LBB35_48
.LBB35_47:                              ;   in Loop: Header=BB35_30 Depth=1
	v_cmp_gt_i32_e64 s0, s11, v0
	s_waitcnt vmcnt(0)
	v_cndmask_b32_e64 v49, 0, v49, s0
	v_cmp_gt_i32_e64 s0, s11, v14
	v_cndmask_b32_e64 v50, 0, v50, s0
	v_cmp_gt_i32_e64 s0, s11, v13
	;; [unrolled: 2-line block ×3, first 2 shown]
	v_cndmask_b32_e64 v52, 0, v52, s0
.LBB35_48:                              ;   in Loop: Header=BB35_30 Depth=1
	s_or_b32 exec_lo, exec_lo, s14
	v_add_co_u32 v7, s0, 0x1800, v5
	v_add_co_ci_u32_e64 v8, null, 0, v6, s0
	global_load_dwordx4 v[53:56], v[7:8], off
	s_and_saveexec_b32 s14, vcc_lo
	s_cbranch_execnz .LBB35_80
; %bb.49:                               ;   in Loop: Header=BB35_30 Depth=1
	s_or_b32 exec_lo, exec_lo, s14
	global_load_dwordx4 v[57:60], v[7:8], off offset:512
	s_and_saveexec_b32 s14, vcc_lo
	s_cbranch_execnz .LBB35_81
.LBB35_50:                              ;   in Loop: Header=BB35_30 Depth=1
	s_or_b32 exec_lo, exec_lo, s14
	global_load_dwordx4 v[61:64], v[7:8], off offset:1024
	s_and_saveexec_b32 s14, vcc_lo
	s_cbranch_execnz .LBB35_82
.LBB35_51:                              ;   in Loop: Header=BB35_30 Depth=1
	s_or_b32 exec_lo, exec_lo, s14
	global_load_dwordx4 v[65:68], v[7:8], off offset:1536
	s_and_saveexec_b32 s14, vcc_lo
	s_cbranch_execz .LBB35_53
.LBB35_52:                              ;   in Loop: Header=BB35_30 Depth=1
	v_cmp_gt_i32_e64 s0, s11, v0
	s_waitcnt vmcnt(0)
	v_cndmask_b32_e64 v65, 0, v65, s0
	v_cmp_gt_i32_e64 s0, s11, v14
	v_cndmask_b32_e64 v66, 0, v66, s0
	v_cmp_gt_i32_e64 s0, s11, v13
	;; [unrolled: 2-line block ×3, first 2 shown]
	v_cndmask_b32_e64 v68, 0, v68, s0
.LBB35_53:                              ;   in Loop: Header=BB35_30 Depth=1
	s_or_b32 exec_lo, exec_lo, s14
	v_add_co_u32 v7, s0, 0x2000, v5
	v_add_co_ci_u32_e64 v8, null, 0, v6, s0
	global_load_dwordx4 v[69:72], v[7:8], off
	s_and_saveexec_b32 s14, vcc_lo
	s_cbranch_execnz .LBB35_83
; %bb.54:                               ;   in Loop: Header=BB35_30 Depth=1
	s_or_b32 exec_lo, exec_lo, s14
	global_load_dwordx4 v[73:76], v[7:8], off offset:512
	s_and_saveexec_b32 s14, vcc_lo
	s_cbranch_execnz .LBB35_84
.LBB35_55:                              ;   in Loop: Header=BB35_30 Depth=1
	s_or_b32 exec_lo, exec_lo, s14
	global_load_dwordx4 v[77:80], v[7:8], off offset:1024
	s_and_saveexec_b32 s14, vcc_lo
	s_cbranch_execnz .LBB35_85
.LBB35_56:                              ;   in Loop: Header=BB35_30 Depth=1
	s_or_b32 exec_lo, exec_lo, s14
	global_load_dwordx4 v[81:84], v[7:8], off offset:1536
	s_and_saveexec_b32 s14, vcc_lo
	s_cbranch_execz .LBB35_58
.LBB35_57:                              ;   in Loop: Header=BB35_30 Depth=1
	v_cmp_gt_i32_e64 s0, s11, v0
	s_waitcnt vmcnt(0)
	v_cndmask_b32_e64 v81, 0, v81, s0
	v_cmp_gt_i32_e64 s0, s11, v14
	v_cndmask_b32_e64 v82, 0, v82, s0
	v_cmp_gt_i32_e64 s0, s11, v13
	;; [unrolled: 2-line block ×3, first 2 shown]
	v_cndmask_b32_e64 v84, 0, v84, s0
.LBB35_58:                              ;   in Loop: Header=BB35_30 Depth=1
	s_or_b32 exec_lo, exec_lo, s14
	v_add_co_u32 v7, s0, 0x2800, v5
	v_add_co_ci_u32_e64 v8, null, 0, v6, s0
	global_load_dwordx4 v[85:88], v[7:8], off
	s_and_saveexec_b32 s14, vcc_lo
	s_cbranch_execnz .LBB35_86
; %bb.59:                               ;   in Loop: Header=BB35_30 Depth=1
	s_or_b32 exec_lo, exec_lo, s14
	global_load_dwordx4 v[89:92], v[7:8], off offset:512
	s_and_saveexec_b32 s14, vcc_lo
	s_cbranch_execnz .LBB35_87
.LBB35_60:                              ;   in Loop: Header=BB35_30 Depth=1
	s_or_b32 exec_lo, exec_lo, s14
	global_load_dwordx4 v[97:100], v[7:8], off offset:1024
	s_and_saveexec_b32 s14, vcc_lo
	s_cbranch_execnz .LBB35_88
.LBB35_61:                              ;   in Loop: Header=BB35_30 Depth=1
	s_or_b32 exec_lo, exec_lo, s14
	global_load_dwordx4 v[101:104], v[7:8], off offset:1536
	s_and_saveexec_b32 s14, vcc_lo
	s_cbranch_execz .LBB35_63
.LBB35_62:                              ;   in Loop: Header=BB35_30 Depth=1
	v_cmp_gt_i32_e64 s0, s11, v0
	s_waitcnt vmcnt(0)
	v_cndmask_b32_e64 v101, 0, v101, s0
	v_cmp_gt_i32_e64 s0, s11, v14
	v_cndmask_b32_e64 v102, 0, v102, s0
	v_cmp_gt_i32_e64 s0, s11, v13
	v_cndmask_b32_e64 v103, 0, v103, s0
	v_cmp_gt_i32_e64 s0, s11, v127
	v_cndmask_b32_e64 v104, 0, v104, s0
.LBB35_63:                              ;   in Loop: Header=BB35_30 Depth=1
	s_or_b32 exec_lo, exec_lo, s14
	v_add_co_u32 v7, s0, 0x3000, v5
	v_add_co_ci_u32_e64 v8, null, 0, v6, s0
	global_load_dwordx4 v[105:108], v[7:8], off
	s_and_saveexec_b32 s14, vcc_lo
	s_cbranch_execnz .LBB35_89
; %bb.64:                               ;   in Loop: Header=BB35_30 Depth=1
	s_or_b32 exec_lo, exec_lo, s14
	global_load_dwordx4 v[109:112], v[7:8], off offset:512
	s_and_saveexec_b32 s14, vcc_lo
	s_cbranch_execnz .LBB35_90
.LBB35_65:                              ;   in Loop: Header=BB35_30 Depth=1
	s_or_b32 exec_lo, exec_lo, s14
	global_load_dwordx4 v[113:116], v[7:8], off offset:1024
	s_and_saveexec_b32 s14, vcc_lo
	s_cbranch_execnz .LBB35_91
.LBB35_66:                              ;   in Loop: Header=BB35_30 Depth=1
	s_or_b32 exec_lo, exec_lo, s14
	global_load_dwordx4 v[117:120], v[7:8], off offset:1536
	s_and_saveexec_b32 s14, vcc_lo
	s_cbranch_execz .LBB35_68
.LBB35_67:                              ;   in Loop: Header=BB35_30 Depth=1
	v_cmp_gt_i32_e64 s0, s11, v0
	s_waitcnt vmcnt(0)
	v_cndmask_b32_e64 v117, 0, v117, s0
	v_cmp_gt_i32_e64 s0, s11, v14
	v_cndmask_b32_e64 v118, 0, v118, s0
	v_cmp_gt_i32_e64 s0, s11, v13
	;; [unrolled: 2-line block ×3, first 2 shown]
	v_cndmask_b32_e64 v120, 0, v120, s0
.LBB35_68:                              ;   in Loop: Header=BB35_30 Depth=1
	s_or_b32 exec_lo, exec_lo, s14
	v_add_co_u32 v9, s0, 0x3800, v5
	v_add_co_ci_u32_e64 v10, null, 0, v6, s0
	global_load_dwordx4 v[121:124], v[9:10], off
	s_and_saveexec_b32 s14, vcc_lo
	s_cbranch_execnz .LBB35_92
; %bb.69:                               ;   in Loop: Header=BB35_30 Depth=1
	s_or_b32 exec_lo, exec_lo, s14
	global_load_dwordx4 v[5:8], v[9:10], off offset:512
	s_and_saveexec_b32 s14, vcc_lo
	s_cbranch_execnz .LBB35_93
.LBB35_70:                              ;   in Loop: Header=BB35_30 Depth=1
	s_or_b32 exec_lo, exec_lo, s14
	global_load_dwordx4 v[9:12], v[9:10], off offset:1024
	s_and_saveexec_b32 s14, vcc_lo
	s_cbranch_execz .LBB35_72
.LBB35_71:                              ;   in Loop: Header=BB35_30 Depth=1
	v_cmp_gt_i32_e64 s0, s11, v0
	s_waitcnt vmcnt(0)
	v_cndmask_b32_e64 v9, 0, v9, s0
	v_cmp_gt_i32_e64 s0, s11, v14
	v_cndmask_b32_e64 v10, 0, v10, s0
	v_cmp_gt_i32_e64 s0, s11, v13
	;; [unrolled: 2-line block ×3, first 2 shown]
	v_cndmask_b32_e64 v12, 0, v12, s0
.LBB35_72:                              ;   in Loop: Header=BB35_30 Depth=1
	s_or_b32 exec_lo, exec_lo, s14
	buffer_load_dword v93, off, s[36:39], 0 offset:272 ; 4-byte Folded Reload
	s_waitcnt vmcnt(0)
	v_add_co_u32 v15, s0, v15, v93
	v_add_co_ci_u32_e64 v16, null, 0, v16, s0
	global_load_dwordx4 v[93:96], v[15:16], off
	s_and_saveexec_b32 s0, vcc_lo
	s_cbranch_execz .LBB35_29
; %bb.73:                               ;   in Loop: Header=BB35_30 Depth=1
	v_cmp_gt_i32_e32 vcc_lo, s11, v0
	s_waitcnt vmcnt(0)
	v_cndmask_b32_e32 v93, 0, v93, vcc_lo
	v_cmp_gt_i32_e32 vcc_lo, s11, v14
	v_cndmask_b32_e32 v94, 0, v94, vcc_lo
	v_cmp_gt_i32_e32 vcc_lo, s11, v13
	;; [unrolled: 2-line block ×3, first 2 shown]
	v_cndmask_b32_e32 v96, 0, v96, vcc_lo
	s_branch .LBB35_29
.LBB35_74:                              ;   in Loop: Header=BB35_30 Depth=1
	v_cmp_gt_i32_e64 s0, s11, v0
	s_waitcnt vmcnt(0)
	v_cndmask_b32_e64 v21, 0, v21, s0
	v_cmp_gt_i32_e64 s0, s11, v14
	v_cndmask_b32_e64 v22, 0, v22, s0
	v_cmp_gt_i32_e64 s0, s11, v13
	;; [unrolled: 2-line block ×3, first 2 shown]
	v_cndmask_b32_e64 v24, 0, v24, s0
	s_or_b32 exec_lo, exec_lo, s14
	global_load_dwordx4 v[25:28], v[7:8], off offset:512
	s_and_saveexec_b32 s14, vcc_lo
	s_cbranch_execz .LBB35_40
.LBB35_75:                              ;   in Loop: Header=BB35_30 Depth=1
	v_cmp_gt_i32_e64 s0, s11, v0
	s_waitcnt vmcnt(0)
	v_cndmask_b32_e64 v25, 0, v25, s0
	v_cmp_gt_i32_e64 s0, s11, v14
	v_cndmask_b32_e64 v26, 0, v26, s0
	v_cmp_gt_i32_e64 s0, s11, v13
	;; [unrolled: 2-line block ×3, first 2 shown]
	v_cndmask_b32_e64 v28, 0, v28, s0
	s_or_b32 exec_lo, exec_lo, s14
	global_load_dwordx4 v[29:32], v[7:8], off offset:1024
	s_and_saveexec_b32 s14, vcc_lo
	s_cbranch_execz .LBB35_41
.LBB35_76:                              ;   in Loop: Header=BB35_30 Depth=1
	v_cmp_gt_i32_e64 s0, s11, v0
	s_waitcnt vmcnt(0)
	v_cndmask_b32_e64 v29, 0, v29, s0
	v_cmp_gt_i32_e64 s0, s11, v14
	v_cndmask_b32_e64 v30, 0, v30, s0
	v_cmp_gt_i32_e64 s0, s11, v13
	;; [unrolled: 2-line block ×3, first 2 shown]
	v_cndmask_b32_e64 v32, 0, v32, s0
	s_or_b32 exec_lo, exec_lo, s14
	global_load_dwordx4 v[33:36], v[7:8], off offset:1536
	s_and_saveexec_b32 s14, vcc_lo
	s_cbranch_execnz .LBB35_42
	s_branch .LBB35_43
.LBB35_77:                              ;   in Loop: Header=BB35_30 Depth=1
	v_cmp_gt_i32_e64 s0, s11, v0
	s_waitcnt vmcnt(0)
	v_cndmask_b32_e64 v37, 0, v37, s0
	v_cmp_gt_i32_e64 s0, s11, v14
	v_cndmask_b32_e64 v38, 0, v38, s0
	v_cmp_gt_i32_e64 s0, s11, v13
	;; [unrolled: 2-line block ×3, first 2 shown]
	v_cndmask_b32_e64 v40, 0, v40, s0
	s_or_b32 exec_lo, exec_lo, s14
	global_load_dwordx4 v[41:44], v[7:8], off offset:512
	s_and_saveexec_b32 s14, vcc_lo
	s_cbranch_execz .LBB35_45
.LBB35_78:                              ;   in Loop: Header=BB35_30 Depth=1
	v_cmp_gt_i32_e64 s0, s11, v0
	s_waitcnt vmcnt(0)
	v_cndmask_b32_e64 v41, 0, v41, s0
	v_cmp_gt_i32_e64 s0, s11, v14
	v_cndmask_b32_e64 v42, 0, v42, s0
	v_cmp_gt_i32_e64 s0, s11, v13
	;; [unrolled: 2-line block ×3, first 2 shown]
	v_cndmask_b32_e64 v44, 0, v44, s0
	s_or_b32 exec_lo, exec_lo, s14
	global_load_dwordx4 v[45:48], v[7:8], off offset:1024
	s_and_saveexec_b32 s14, vcc_lo
	s_cbranch_execz .LBB35_46
.LBB35_79:                              ;   in Loop: Header=BB35_30 Depth=1
	v_cmp_gt_i32_e64 s0, s11, v0
	s_waitcnt vmcnt(0)
	v_cndmask_b32_e64 v45, 0, v45, s0
	v_cmp_gt_i32_e64 s0, s11, v14
	v_cndmask_b32_e64 v46, 0, v46, s0
	v_cmp_gt_i32_e64 s0, s11, v13
	;; [unrolled: 2-line block ×3, first 2 shown]
	v_cndmask_b32_e64 v48, 0, v48, s0
	s_or_b32 exec_lo, exec_lo, s14
	global_load_dwordx4 v[49:52], v[7:8], off offset:1536
	s_and_saveexec_b32 s14, vcc_lo
	s_cbranch_execnz .LBB35_47
	s_branch .LBB35_48
.LBB35_80:                              ;   in Loop: Header=BB35_30 Depth=1
	v_cmp_gt_i32_e64 s0, s11, v0
	s_waitcnt vmcnt(0)
	v_cndmask_b32_e64 v53, 0, v53, s0
	v_cmp_gt_i32_e64 s0, s11, v14
	v_cndmask_b32_e64 v54, 0, v54, s0
	v_cmp_gt_i32_e64 s0, s11, v13
	;; [unrolled: 2-line block ×3, first 2 shown]
	v_cndmask_b32_e64 v56, 0, v56, s0
	s_or_b32 exec_lo, exec_lo, s14
	global_load_dwordx4 v[57:60], v[7:8], off offset:512
	s_and_saveexec_b32 s14, vcc_lo
	s_cbranch_execz .LBB35_50
.LBB35_81:                              ;   in Loop: Header=BB35_30 Depth=1
	v_cmp_gt_i32_e64 s0, s11, v0
	s_waitcnt vmcnt(0)
	v_cndmask_b32_e64 v57, 0, v57, s0
	v_cmp_gt_i32_e64 s0, s11, v14
	v_cndmask_b32_e64 v58, 0, v58, s0
	v_cmp_gt_i32_e64 s0, s11, v13
	;; [unrolled: 2-line block ×3, first 2 shown]
	v_cndmask_b32_e64 v60, 0, v60, s0
	s_or_b32 exec_lo, exec_lo, s14
	global_load_dwordx4 v[61:64], v[7:8], off offset:1024
	s_and_saveexec_b32 s14, vcc_lo
	s_cbranch_execz .LBB35_51
.LBB35_82:                              ;   in Loop: Header=BB35_30 Depth=1
	v_cmp_gt_i32_e64 s0, s11, v0
	s_waitcnt vmcnt(0)
	v_cndmask_b32_e64 v61, 0, v61, s0
	v_cmp_gt_i32_e64 s0, s11, v14
	v_cndmask_b32_e64 v62, 0, v62, s0
	v_cmp_gt_i32_e64 s0, s11, v13
	v_cndmask_b32_e64 v63, 0, v63, s0
	v_cmp_gt_i32_e64 s0, s11, v127
	v_cndmask_b32_e64 v64, 0, v64, s0
	s_or_b32 exec_lo, exec_lo, s14
	global_load_dwordx4 v[65:68], v[7:8], off offset:1536
	s_and_saveexec_b32 s14, vcc_lo
	s_cbranch_execnz .LBB35_52
	s_branch .LBB35_53
.LBB35_83:                              ;   in Loop: Header=BB35_30 Depth=1
	v_cmp_gt_i32_e64 s0, s11, v0
	s_waitcnt vmcnt(0)
	v_cndmask_b32_e64 v69, 0, v69, s0
	v_cmp_gt_i32_e64 s0, s11, v14
	v_cndmask_b32_e64 v70, 0, v70, s0
	v_cmp_gt_i32_e64 s0, s11, v13
	;; [unrolled: 2-line block ×3, first 2 shown]
	v_cndmask_b32_e64 v72, 0, v72, s0
	s_or_b32 exec_lo, exec_lo, s14
	global_load_dwordx4 v[73:76], v[7:8], off offset:512
	s_and_saveexec_b32 s14, vcc_lo
	s_cbranch_execz .LBB35_55
.LBB35_84:                              ;   in Loop: Header=BB35_30 Depth=1
	v_cmp_gt_i32_e64 s0, s11, v0
	s_waitcnt vmcnt(0)
	v_cndmask_b32_e64 v73, 0, v73, s0
	v_cmp_gt_i32_e64 s0, s11, v14
	v_cndmask_b32_e64 v74, 0, v74, s0
	v_cmp_gt_i32_e64 s0, s11, v13
	;; [unrolled: 2-line block ×3, first 2 shown]
	v_cndmask_b32_e64 v76, 0, v76, s0
	s_or_b32 exec_lo, exec_lo, s14
	global_load_dwordx4 v[77:80], v[7:8], off offset:1024
	s_and_saveexec_b32 s14, vcc_lo
	s_cbranch_execz .LBB35_56
.LBB35_85:                              ;   in Loop: Header=BB35_30 Depth=1
	v_cmp_gt_i32_e64 s0, s11, v0
	s_waitcnt vmcnt(0)
	v_cndmask_b32_e64 v77, 0, v77, s0
	v_cmp_gt_i32_e64 s0, s11, v14
	v_cndmask_b32_e64 v78, 0, v78, s0
	v_cmp_gt_i32_e64 s0, s11, v13
	;; [unrolled: 2-line block ×3, first 2 shown]
	v_cndmask_b32_e64 v80, 0, v80, s0
	s_or_b32 exec_lo, exec_lo, s14
	global_load_dwordx4 v[81:84], v[7:8], off offset:1536
	s_and_saveexec_b32 s14, vcc_lo
	s_cbranch_execnz .LBB35_57
	s_branch .LBB35_58
.LBB35_86:                              ;   in Loop: Header=BB35_30 Depth=1
	v_cmp_gt_i32_e64 s0, s11, v0
	s_waitcnt vmcnt(0)
	v_cndmask_b32_e64 v85, 0, v85, s0
	v_cmp_gt_i32_e64 s0, s11, v14
	v_cndmask_b32_e64 v86, 0, v86, s0
	v_cmp_gt_i32_e64 s0, s11, v13
	;; [unrolled: 2-line block ×3, first 2 shown]
	v_cndmask_b32_e64 v88, 0, v88, s0
	s_or_b32 exec_lo, exec_lo, s14
	global_load_dwordx4 v[89:92], v[7:8], off offset:512
	s_and_saveexec_b32 s14, vcc_lo
	s_cbranch_execz .LBB35_60
.LBB35_87:                              ;   in Loop: Header=BB35_30 Depth=1
	v_cmp_gt_i32_e64 s0, s11, v0
	s_waitcnt vmcnt(0)
	v_cndmask_b32_e64 v89, 0, v89, s0
	v_cmp_gt_i32_e64 s0, s11, v14
	v_cndmask_b32_e64 v90, 0, v90, s0
	v_cmp_gt_i32_e64 s0, s11, v13
	v_cndmask_b32_e64 v91, 0, v91, s0
	v_cmp_gt_i32_e64 s0, s11, v127
	v_cndmask_b32_e64 v92, 0, v92, s0
	s_or_b32 exec_lo, exec_lo, s14
	global_load_dwordx4 v[97:100], v[7:8], off offset:1024
	s_and_saveexec_b32 s14, vcc_lo
	s_cbranch_execz .LBB35_61
.LBB35_88:                              ;   in Loop: Header=BB35_30 Depth=1
	v_cmp_gt_i32_e64 s0, s11, v0
	s_waitcnt vmcnt(0)
	v_cndmask_b32_e64 v97, 0, v97, s0
	v_cmp_gt_i32_e64 s0, s11, v14
	v_cndmask_b32_e64 v98, 0, v98, s0
	v_cmp_gt_i32_e64 s0, s11, v13
	;; [unrolled: 2-line block ×3, first 2 shown]
	v_cndmask_b32_e64 v100, 0, v100, s0
	s_or_b32 exec_lo, exec_lo, s14
	global_load_dwordx4 v[101:104], v[7:8], off offset:1536
	s_and_saveexec_b32 s14, vcc_lo
	s_cbranch_execnz .LBB35_62
	s_branch .LBB35_63
.LBB35_89:                              ;   in Loop: Header=BB35_30 Depth=1
	v_cmp_gt_i32_e64 s0, s11, v0
	s_waitcnt vmcnt(0)
	v_cndmask_b32_e64 v105, 0, v105, s0
	v_cmp_gt_i32_e64 s0, s11, v14
	v_cndmask_b32_e64 v106, 0, v106, s0
	v_cmp_gt_i32_e64 s0, s11, v13
	v_cndmask_b32_e64 v107, 0, v107, s0
	v_cmp_gt_i32_e64 s0, s11, v127
	v_cndmask_b32_e64 v108, 0, v108, s0
	s_or_b32 exec_lo, exec_lo, s14
	global_load_dwordx4 v[109:112], v[7:8], off offset:512
	s_and_saveexec_b32 s14, vcc_lo
	s_cbranch_execz .LBB35_65
.LBB35_90:                              ;   in Loop: Header=BB35_30 Depth=1
	v_cmp_gt_i32_e64 s0, s11, v0
	s_waitcnt vmcnt(0)
	v_cndmask_b32_e64 v109, 0, v109, s0
	v_cmp_gt_i32_e64 s0, s11, v14
	v_cndmask_b32_e64 v110, 0, v110, s0
	v_cmp_gt_i32_e64 s0, s11, v13
	;; [unrolled: 2-line block ×3, first 2 shown]
	v_cndmask_b32_e64 v112, 0, v112, s0
	s_or_b32 exec_lo, exec_lo, s14
	global_load_dwordx4 v[113:116], v[7:8], off offset:1024
	s_and_saveexec_b32 s14, vcc_lo
	s_cbranch_execz .LBB35_66
.LBB35_91:                              ;   in Loop: Header=BB35_30 Depth=1
	v_cmp_gt_i32_e64 s0, s11, v0
	s_waitcnt vmcnt(0)
	v_cndmask_b32_e64 v113, 0, v113, s0
	v_cmp_gt_i32_e64 s0, s11, v14
	v_cndmask_b32_e64 v114, 0, v114, s0
	v_cmp_gt_i32_e64 s0, s11, v13
	;; [unrolled: 2-line block ×3, first 2 shown]
	v_cndmask_b32_e64 v116, 0, v116, s0
	s_or_b32 exec_lo, exec_lo, s14
	global_load_dwordx4 v[117:120], v[7:8], off offset:1536
	s_and_saveexec_b32 s14, vcc_lo
	s_cbranch_execnz .LBB35_67
	s_branch .LBB35_68
.LBB35_92:                              ;   in Loop: Header=BB35_30 Depth=1
	v_cmp_gt_i32_e64 s0, s11, v0
	s_waitcnt vmcnt(0)
	v_cndmask_b32_e64 v121, 0, v121, s0
	v_cmp_gt_i32_e64 s0, s11, v14
	v_cndmask_b32_e64 v122, 0, v122, s0
	v_cmp_gt_i32_e64 s0, s11, v13
	;; [unrolled: 2-line block ×3, first 2 shown]
	v_cndmask_b32_e64 v124, 0, v124, s0
	s_or_b32 exec_lo, exec_lo, s14
	global_load_dwordx4 v[5:8], v[9:10], off offset:512
	s_and_saveexec_b32 s14, vcc_lo
	s_cbranch_execz .LBB35_70
.LBB35_93:                              ;   in Loop: Header=BB35_30 Depth=1
	v_cmp_gt_i32_e64 s0, s11, v0
	s_waitcnt vmcnt(0)
	v_cndmask_b32_e64 v5, 0, v5, s0
	v_cmp_gt_i32_e64 s0, s11, v14
	v_cndmask_b32_e64 v6, 0, v6, s0
	v_cmp_gt_i32_e64 s0, s11, v13
	;; [unrolled: 2-line block ×3, first 2 shown]
	v_cndmask_b32_e64 v8, 0, v8, s0
	s_or_b32 exec_lo, exec_lo, s14
	global_load_dwordx4 v[9:12], v[9:10], off offset:1024
	s_and_saveexec_b32 s14, vcc_lo
	s_cbranch_execnz .LBB35_71
	s_branch .LBB35_72
.LBB35_94:
	s_or_b32 exec_lo, exec_lo, s5
	s_clause 0x23
	buffer_load_dword v55, off, s[36:39], 0 offset:276
	buffer_load_dword v125, off, s[36:39], 0 offset:280
	;; [unrolled: 1-line block ×36, first 2 shown]
.LBB35_95:
	s_or_b32 exec_lo, exec_lo, s1
	s_waitcnt vmcnt(2)
	ds_bpermute_b32 v0, v38, v19
	s_waitcnt vmcnt(0)
	ds_bpermute_b32 v1, v38, v24
	ds_bpermute_b32 v2, v38, v23
	v_mov_b32_e32 v15, v6
	ds_bpermute_b32 v6, v38, v6
	ds_bpermute_b32 v8, v38, v13
	;; [unrolled: 1-line block ×5, first 2 shown]
	v_mov_b32_e32 v16, v5
	ds_bpermute_b32 v5, v38, v5
	ds_bpermute_b32 v10, v38, v22
	;; [unrolled: 1-line block ×9, first 2 shown]
	s_mov_b32 s0, exec_lo
	s_waitcnt lgkmcnt(16)
	v_add_f32_e32 v0, v19, v0
	s_waitcnt lgkmcnt(15)
	v_add_f32_e32 v1, v24, v1
	;; [unrolled: 2-line block ×3, first 2 shown]
	s_waitcnt lgkmcnt(0)
	s_waitcnt_vscnt null, 0x0
	v_add_f32_e32 v6, v15, v6
	v_add_f32_e32 v8, v13, v8
	;; [unrolled: 1-line block ×3, first 2 shown]
	ds_bpermute_b32 v13, v54, v0
	ds_bpermute_b32 v14, v54, v1
	;; [unrolled: 1-line block ×4, first 2 shown]
	v_add_f32_e32 v11, v21, v11
	ds_bpermute_b32 v21, v54, v8
	v_add_f32_e32 v4, v17, v4
	v_add_f32_e32 v5, v16, v5
	;; [unrolled: 1-line block ×5, first 2 shown]
	ds_bpermute_b32 v17, v54, v4
	ds_bpermute_b32 v18, v54, v5
	;; [unrolled: 1-line block ×7, first 2 shown]
	v_add_f32_e32 v12, v34, v12
	v_add_f32_e32 v35, v49, v35
	s_waitcnt lgkmcnt(11)
	v_add_f32_e32 v0, v0, v13
	s_waitcnt lgkmcnt(10)
	;; [unrolled: 2-line block ×4, first 2 shown]
	v_add_f32_e32 v6, v6, v19
	ds_bpermute_b32 v13, v38, v30
	ds_bpermute_b32 v14, v38, v28
	;; [unrolled: 1-line block ×3, first 2 shown]
	s_waitcnt lgkmcnt(10)
	v_add_f32_e32 v8, v8, v21
	ds_bpermute_b32 v19, v38, v36
	ds_bpermute_b32 v21, v38, v37
	s_barrier
	s_waitcnt lgkmcnt(11)
	v_add_f32_e32 v4, v4, v17
	v_add_f32_e32 v17, v33, v25
	ds_bpermute_b32 v33, v38, v48
	s_waitcnt lgkmcnt(11)
	v_add_f32_e32 v5, v5, v18
	s_waitcnt lgkmcnt(10)
	v_add_f32_e32 v7, v7, v20
	;; [unrolled: 2-line block ×3, first 2 shown]
	v_add_f32_e32 v18, v32, v26
	v_add_f32_e32 v20, v31, v27
	ds_bpermute_b32 v23, v38, v39
	ds_bpermute_b32 v26, v38, v40
	;; [unrolled: 1-line block ×3, first 2 shown]
	s_waitcnt lgkmcnt(11)
	v_add_f32_e32 v3, v3, v16
	ds_bpermute_b32 v16, v54, v12
	s_waitcnt lgkmcnt(9)
	v_add_f32_e32 v27, v30, v13
	ds_bpermute_b32 v13, v38, v41
	;; [unrolled: 3-line block ×6, first 2 shown]
	ds_bpermute_b32 v38, v38, v52
	s_waitcnt lgkmcnt(10)
	v_add_f32_e32 v33, v48, v33
	ds_bpermute_b32 v30, v54, v27
	v_add_f32_e32 v9, v9, v22
	v_add_f32_e32 v11, v11, v24
	s_waitcnt lgkmcnt(10)
	v_add_f32_e32 v23, v39, v23
	s_waitcnt lgkmcnt(9)
	;; [unrolled: 2-line block ×3, first 2 shown]
	v_add_f32_e32 v31, v47, v31
	ds_bpermute_b32 v22, v54, v17
	ds_bpermute_b32 v24, v54, v18
	;; [unrolled: 1-line block ×3, first 2 shown]
	s_waitcnt lgkmcnt(9)
	v_add_f32_e32 v41, v41, v13
	ds_bpermute_b32 v32, v54, v28
	s_waitcnt lgkmcnt(9)
	v_add_f32_e32 v43, v43, v14
	ds_bpermute_b32 v34, v54, v29
	;; [unrolled: 3-line block ×4, first 2 shown]
	s_waitcnt lgkmcnt(9)
	v_add_f32_e32 v37, v51, v37
	s_waitcnt lgkmcnt(8)
	v_add_f32_e32 v38, v52, v38
	ds_bpermute_b32 v40, v54, v21
	ds_bpermute_b32 v42, v54, v23
	;; [unrolled: 1-line block ×11, first 2 shown]
	v_add_f32_e32 v12, v12, v16
	s_waitcnt lgkmcnt(18)
	v_add_f32_e32 v16, v27, v30
	s_waitcnt lgkmcnt(17)
	v_add_f32_e32 v13, v17, v22
	s_waitcnt lgkmcnt(16)
	v_add_f32_e32 v14, v18, v24
	s_waitcnt lgkmcnt(15)
	v_add_f32_e32 v15, v20, v25
	s_waitcnt lgkmcnt(14)
	v_add_f32_e32 v17, v28, v32
	s_waitcnt lgkmcnt(11)
	v_add_f32_e32 v27, v33, v50
	v_and_b32_e32 v33, 28, v56
	v_add_f32_e32 v18, v29, v34
	v_add_f32_e32 v19, v19, v39
	s_waitcnt lgkmcnt(10)
	v_add_f32_e32 v20, v21, v40
	s_waitcnt lgkmcnt(9)
	;; [unrolled: 2-line block ×10, first 2 shown]
	v_add_f32_e32 v30, v37, v53
	v_and_b32_e32 v35, 0x3c3, v55
	s_waitcnt lgkmcnt(0)
	v_add_f32_e32 v31, v38, v54
	v_lshrrev_b32_e32 v32, 2, v56
	v_add_nc_u32_e32 v33, 0x420, v33
	v_lshlrev_b32_e32 v34, 10, v125
	buffer_gl0_inv
	v_cmpx_eq_u32_e32 64, v35
	s_cbranch_execz .LBB35_97
; %bb.96:
	v_add_nc_u32_e32 v35, v33, v34
	v_add_nc_u32_e32 v36, 0xfffff800, v35
	;; [unrolled: 1-line block ×8, first 2 shown]
	ds_write_b32 v36, v0
	ds_write_b32 v37, v1
	;; [unrolled: 1-line block ×7, first 2 shown]
	v_add_nc_u32_e32 v36, 0xfffff8e0, v35
	v_add_nc_u32_e32 v37, 0xfffff900, v35
	v_add_nc_u32_e32 v38, 0xfffff920, v35
	v_add_nc_u32_e32 v39, 0xfffff940, v35
	v_add_nc_u32_e32 v40, 0xfffff960, v35
	ds_write_b32 v36, v7
	ds_write_b32 v37, v8
	ds_write_b32 v38, v9
	ds_write_b32 v39, v10
	ds_write_b32 v40, v11
	v_add_nc_u32_e32 v36, 0xfffff980, v35
	v_add_nc_u32_e32 v37, 0xfffff9a0, v35
	v_add_nc_u32_e32 v38, 0xfffff9c0, v35
	v_add_nc_u32_e32 v39, 0xfffff9e0, v35
	v_add_nc_u32_e32 v40, 0xfffffa00, v35
	ds_write_b32 v36, v12
	ds_write_b32 v37, v13
	ds_write_b32 v38, v14
	ds_write_b32 v39, v15
	ds_write_b32 v40, v16
	v_add_nc_u32_e32 v36, 0xfffffa20, v35
	v_add_nc_u32_e32 v37, 0xfffffa40, v35
	v_add_nc_u32_e32 v38, 0xfffffa60, v35
	v_add_nc_u32_e32 v39, 0xfffffa80, v35
	v_add_nc_u32_e32 v40, 0xfffffaa0, v35
	ds_write_b32 v36, v17
	ds_write_b32 v37, v18
	ds_write_b32 v38, v19
	ds_write_b32 v39, v20
	ds_write_b32 v40, v21
	v_add_nc_u32_e32 v36, 0xfffffac0, v35
	v_add_nc_u32_e32 v37, 0xfffffae0, v35
	v_add_nc_u32_e32 v38, 0xfffffb00, v35
	v_add_nc_u32_e32 v39, 0xfffffb20, v35
	v_add_nc_u32_e32 v40, 0xfffffb40, v35
	ds_write_b32 v36, v22
	ds_write_b32 v37, v23
	ds_write_b32 v38, v24
	ds_write_b32 v39, v25
	ds_write_b32 v40, v26
	v_add_nc_u32_e32 v36, 0xfffffb60, v35
	v_add_nc_u32_e32 v37, 0xfffffb80, v35
	v_add_nc_u32_e32 v38, 0xfffffba0, v35
	v_add_nc_u32_e32 v39, 0xfffffbc0, v35
	v_add_nc_u32_e32 v35, 0xfffffbe0, v35
	ds_write_b32 v36, v27
	ds_write_b32 v37, v28
	ds_write_b32 v38, v29
	ds_write_b32 v39, v30
	ds_write_b32 v35, v31
.LBB35_97:
	s_or_b32 exec_lo, exec_lo, s0
	v_lshlrev_b32_e32 v32, 2, v32
	s_mov_b32 s1, exec_lo
	v_cmp_eq_u32_e32 vcc_lo, 0, v57
	s_waitcnt lgkmcnt(0)
	s_barrier
	v_add3_u32 v32, 0x420, v34, v32
	buffer_gl0_inv
	v_cmpx_gt_u32_e32 64, v55
	s_cbranch_execz .LBB35_132
; %bb.98:
	s_and_saveexec_b32 s0, vcc_lo
	s_cbranch_execnz .LBB35_172
; %bb.99:
	s_or_b32 exec_lo, exec_lo, s0
	s_and_saveexec_b32 s0, vcc_lo
	s_cbranch_execnz .LBB35_173
.LBB35_100:
	s_or_b32 exec_lo, exec_lo, s0
	s_and_saveexec_b32 s0, vcc_lo
	s_cbranch_execnz .LBB35_174
.LBB35_101:
	s_or_b32 exec_lo, exec_lo, s0
	s_and_saveexec_b32 s0, vcc_lo
	s_cbranch_execnz .LBB35_175
.LBB35_102:
	s_or_b32 exec_lo, exec_lo, s0
	s_and_saveexec_b32 s0, vcc_lo
	s_cbranch_execnz .LBB35_176
.LBB35_103:
	s_or_b32 exec_lo, exec_lo, s0
	s_and_saveexec_b32 s0, vcc_lo
	s_cbranch_execnz .LBB35_177
.LBB35_104:
	s_or_b32 exec_lo, exec_lo, s0
	s_and_saveexec_b32 s0, vcc_lo
	s_cbranch_execnz .LBB35_178
.LBB35_105:
	s_or_b32 exec_lo, exec_lo, s0
	s_and_saveexec_b32 s0, vcc_lo
	s_cbranch_execnz .LBB35_179
.LBB35_106:
	s_or_b32 exec_lo, exec_lo, s0
	s_and_saveexec_b32 s0, vcc_lo
	s_cbranch_execnz .LBB35_180
.LBB35_107:
	s_or_b32 exec_lo, exec_lo, s0
	s_and_saveexec_b32 s0, vcc_lo
	s_cbranch_execnz .LBB35_181
.LBB35_108:
	s_or_b32 exec_lo, exec_lo, s0
	s_and_saveexec_b32 s0, vcc_lo
	s_cbranch_execnz .LBB35_182
.LBB35_109:
	s_or_b32 exec_lo, exec_lo, s0
	s_and_saveexec_b32 s0, vcc_lo
	s_cbranch_execnz .LBB35_183
.LBB35_110:
	s_or_b32 exec_lo, exec_lo, s0
	s_and_saveexec_b32 s0, vcc_lo
	s_cbranch_execnz .LBB35_184
.LBB35_111:
	s_or_b32 exec_lo, exec_lo, s0
	s_and_saveexec_b32 s0, vcc_lo
	s_cbranch_execnz .LBB35_185
.LBB35_112:
	s_or_b32 exec_lo, exec_lo, s0
	s_and_saveexec_b32 s0, vcc_lo
	s_cbranch_execnz .LBB35_186
.LBB35_113:
	s_or_b32 exec_lo, exec_lo, s0
	s_and_saveexec_b32 s0, vcc_lo
	s_cbranch_execnz .LBB35_187
.LBB35_114:
	s_or_b32 exec_lo, exec_lo, s0
	s_and_saveexec_b32 s0, vcc_lo
	s_cbranch_execnz .LBB35_188
.LBB35_115:
	s_or_b32 exec_lo, exec_lo, s0
	s_and_saveexec_b32 s0, vcc_lo
	s_cbranch_execnz .LBB35_189
.LBB35_116:
	s_or_b32 exec_lo, exec_lo, s0
	s_and_saveexec_b32 s0, vcc_lo
	s_cbranch_execnz .LBB35_190
.LBB35_117:
	s_or_b32 exec_lo, exec_lo, s0
	s_and_saveexec_b32 s0, vcc_lo
	s_cbranch_execnz .LBB35_191
.LBB35_118:
	s_or_b32 exec_lo, exec_lo, s0
	s_and_saveexec_b32 s0, vcc_lo
	s_cbranch_execnz .LBB35_192
.LBB35_119:
	s_or_b32 exec_lo, exec_lo, s0
	s_and_saveexec_b32 s0, vcc_lo
	s_cbranch_execnz .LBB35_193
.LBB35_120:
	s_or_b32 exec_lo, exec_lo, s0
	s_and_saveexec_b32 s0, vcc_lo
	s_cbranch_execnz .LBB35_194
.LBB35_121:
	s_or_b32 exec_lo, exec_lo, s0
	s_and_saveexec_b32 s0, vcc_lo
	s_cbranch_execnz .LBB35_195
.LBB35_122:
	s_or_b32 exec_lo, exec_lo, s0
	s_and_saveexec_b32 s0, vcc_lo
	s_cbranch_execnz .LBB35_196
.LBB35_123:
	s_or_b32 exec_lo, exec_lo, s0
	s_and_saveexec_b32 s0, vcc_lo
	s_cbranch_execnz .LBB35_197
.LBB35_124:
	s_or_b32 exec_lo, exec_lo, s0
	s_and_saveexec_b32 s0, vcc_lo
	s_cbranch_execnz .LBB35_198
.LBB35_125:
	s_or_b32 exec_lo, exec_lo, s0
	s_and_saveexec_b32 s0, vcc_lo
	s_cbranch_execnz .LBB35_199
.LBB35_126:
	s_or_b32 exec_lo, exec_lo, s0
	s_and_saveexec_b32 s0, vcc_lo
	s_cbranch_execnz .LBB35_200
.LBB35_127:
	s_or_b32 exec_lo, exec_lo, s0
	s_and_saveexec_b32 s0, vcc_lo
	s_cbranch_execnz .LBB35_201
.LBB35_128:
	s_or_b32 exec_lo, exec_lo, s0
	s_and_saveexec_b32 s0, vcc_lo
	s_cbranch_execnz .LBB35_202
.LBB35_129:
	s_or_b32 exec_lo, exec_lo, s0
	s_and_saveexec_b32 s0, vcc_lo
	s_cbranch_execz .LBB35_131
.LBB35_130:
	ds_read_b32 v34, v32 offset:992
	s_waitcnt lgkmcnt(0)
	v_add_f32_e32 v31, v31, v34
.LBB35_131:
	s_or_b32 exec_lo, exec_lo, s0
.LBB35_132:
	s_or_b32 exec_lo, exec_lo, s1
	v_and_b32_e32 v34, 0x3e3, v55
	s_mov_b32 s1, exec_lo
	s_barrier
	buffer_gl0_inv
	v_cmpx_eq_u32_e32 32, v34
	s_cbranch_execz .LBB35_134
; %bb.133:
	ds_write2_b32 v33, v0, v1 offset1:8
	ds_write2_b32 v33, v2, v3 offset0:16 offset1:24
	ds_write2_b32 v33, v4, v5 offset0:32 offset1:40
	;; [unrolled: 1-line block ×15, first 2 shown]
.LBB35_134:
	s_or_b32 exec_lo, exec_lo, s1
	s_mov_b32 s1, exec_lo
	s_waitcnt lgkmcnt(0)
	s_barrier
	buffer_gl0_inv
	v_cmpx_gt_u32_e32 32, v55
	s_cbranch_execz .LBB35_169
; %bb.135:
	s_and_saveexec_b32 s0, vcc_lo
	s_cbranch_execnz .LBB35_203
; %bb.136:
	s_or_b32 exec_lo, exec_lo, s0
	s_and_saveexec_b32 s0, vcc_lo
	s_cbranch_execnz .LBB35_204
.LBB35_137:
	s_or_b32 exec_lo, exec_lo, s0
	s_and_saveexec_b32 s0, vcc_lo
	s_cbranch_execnz .LBB35_205
.LBB35_138:
	s_or_b32 exec_lo, exec_lo, s0
	s_and_saveexec_b32 s0, vcc_lo
	s_cbranch_execnz .LBB35_206
.LBB35_139:
	s_or_b32 exec_lo, exec_lo, s0
	s_and_saveexec_b32 s0, vcc_lo
	s_cbranch_execnz .LBB35_207
.LBB35_140:
	s_or_b32 exec_lo, exec_lo, s0
	s_and_saveexec_b32 s0, vcc_lo
	s_cbranch_execnz .LBB35_208
.LBB35_141:
	s_or_b32 exec_lo, exec_lo, s0
	s_and_saveexec_b32 s0, vcc_lo
	s_cbranch_execnz .LBB35_209
.LBB35_142:
	s_or_b32 exec_lo, exec_lo, s0
	s_and_saveexec_b32 s0, vcc_lo
	s_cbranch_execnz .LBB35_210
.LBB35_143:
	s_or_b32 exec_lo, exec_lo, s0
	s_and_saveexec_b32 s0, vcc_lo
	s_cbranch_execnz .LBB35_211
.LBB35_144:
	s_or_b32 exec_lo, exec_lo, s0
	s_and_saveexec_b32 s0, vcc_lo
	s_cbranch_execnz .LBB35_212
.LBB35_145:
	s_or_b32 exec_lo, exec_lo, s0
	s_and_saveexec_b32 s0, vcc_lo
	s_cbranch_execnz .LBB35_213
.LBB35_146:
	s_or_b32 exec_lo, exec_lo, s0
	s_and_saveexec_b32 s0, vcc_lo
	s_cbranch_execnz .LBB35_214
.LBB35_147:
	s_or_b32 exec_lo, exec_lo, s0
	s_and_saveexec_b32 s0, vcc_lo
	s_cbranch_execnz .LBB35_215
.LBB35_148:
	s_or_b32 exec_lo, exec_lo, s0
	s_and_saveexec_b32 s0, vcc_lo
	s_cbranch_execnz .LBB35_216
.LBB35_149:
	s_or_b32 exec_lo, exec_lo, s0
	s_and_saveexec_b32 s0, vcc_lo
	s_cbranch_execnz .LBB35_217
.LBB35_150:
	s_or_b32 exec_lo, exec_lo, s0
	s_and_saveexec_b32 s0, vcc_lo
	s_cbranch_execnz .LBB35_218
.LBB35_151:
	s_or_b32 exec_lo, exec_lo, s0
	s_and_saveexec_b32 s0, vcc_lo
	s_cbranch_execnz .LBB35_219
.LBB35_152:
	s_or_b32 exec_lo, exec_lo, s0
	s_and_saveexec_b32 s0, vcc_lo
	s_cbranch_execnz .LBB35_220
.LBB35_153:
	s_or_b32 exec_lo, exec_lo, s0
	s_and_saveexec_b32 s0, vcc_lo
	s_cbranch_execnz .LBB35_221
.LBB35_154:
	s_or_b32 exec_lo, exec_lo, s0
	s_and_saveexec_b32 s0, vcc_lo
	s_cbranch_execnz .LBB35_222
.LBB35_155:
	s_or_b32 exec_lo, exec_lo, s0
	s_and_saveexec_b32 s0, vcc_lo
	s_cbranch_execnz .LBB35_223
.LBB35_156:
	s_or_b32 exec_lo, exec_lo, s0
	s_and_saveexec_b32 s0, vcc_lo
	s_cbranch_execnz .LBB35_224
.LBB35_157:
	s_or_b32 exec_lo, exec_lo, s0
	s_and_saveexec_b32 s0, vcc_lo
	s_cbranch_execnz .LBB35_225
.LBB35_158:
	s_or_b32 exec_lo, exec_lo, s0
	s_and_saveexec_b32 s0, vcc_lo
	s_cbranch_execnz .LBB35_226
.LBB35_159:
	s_or_b32 exec_lo, exec_lo, s0
	s_and_saveexec_b32 s0, vcc_lo
	s_cbranch_execnz .LBB35_227
.LBB35_160:
	s_or_b32 exec_lo, exec_lo, s0
	s_and_saveexec_b32 s0, vcc_lo
	s_cbranch_execnz .LBB35_228
.LBB35_161:
	s_or_b32 exec_lo, exec_lo, s0
	s_and_saveexec_b32 s0, vcc_lo
	s_cbranch_execnz .LBB35_229
.LBB35_162:
	s_or_b32 exec_lo, exec_lo, s0
	s_and_saveexec_b32 s0, vcc_lo
	s_cbranch_execnz .LBB35_230
.LBB35_163:
	s_or_b32 exec_lo, exec_lo, s0
	s_and_saveexec_b32 s0, vcc_lo
	s_cbranch_execnz .LBB35_231
.LBB35_164:
	s_or_b32 exec_lo, exec_lo, s0
	s_and_saveexec_b32 s0, vcc_lo
	s_cbranch_execnz .LBB35_232
.LBB35_165:
	s_or_b32 exec_lo, exec_lo, s0
	s_and_saveexec_b32 s0, vcc_lo
	s_cbranch_execnz .LBB35_233
.LBB35_166:
	s_or_b32 exec_lo, exec_lo, s0
	s_and_saveexec_b32 s0, vcc_lo
	s_cbranch_execz .LBB35_168
.LBB35_167:
	ds_read_b32 v32, v32 offset:992
	s_waitcnt lgkmcnt(0)
	v_add_f32_e32 v31, v31, v32
.LBB35_168:
	s_or_b32 exec_lo, exec_lo, s0
.LBB35_169:
	s_or_b32 exec_lo, exec_lo, s1
	s_barrier
	buffer_gl0_inv
	s_mov_b32 s0, exec_lo
	v_cmpx_eq_u32_e32 0, v34
	s_cbranch_execz .LBB35_171
; %bb.170:
	s_mul_i32 s0, s10, s7
	s_mul_i32 s2, s7, s6
	;; [unrolled: 1-line block ×3, first 2 shown]
	s_lshl_b32 s0, s0, 8
	s_ashr_i32 s1, s0, 31
	s_lshl_b64 s[0:1], s[0:1], 2
	s_add_u32 s4, s16, s0
	s_addc_u32 s5, s17, s1
	s_ashr_i32 s3, s2, 31
	s_lshl_b64 s[0:1], s[2:3], 2
	s_add_u32 s2, s4, s0
	s_addc_u32 s3, s5, s1
	s_lshl_b32 s0, s8, 8
	s_ashr_i32 s1, s0, 31
	s_lshl_b64 s[0:1], s[0:1], 2
	s_add_u32 s0, s2, s0
	s_addc_u32 s1, s3, s1
	global_store_dword v55, v0, s[0:1]
	global_store_dword v55, v1, s[0:1] offset:32
	global_store_dword v55, v2, s[0:1] offset:64
	;; [unrolled: 1-line block ×31, first 2 shown]
.LBB35_171:
	s_endpgm
.LBB35_172:
	ds_read_b32 v34, v32
	s_waitcnt lgkmcnt(0)
	v_add_f32_e32 v0, v0, v34
	s_or_b32 exec_lo, exec_lo, s0
	s_and_saveexec_b32 s0, vcc_lo
	s_cbranch_execz .LBB35_100
.LBB35_173:
	ds_read_b32 v34, v32 offset:32
	s_waitcnt lgkmcnt(0)
	v_add_f32_e32 v1, v1, v34
	s_or_b32 exec_lo, exec_lo, s0
	s_and_saveexec_b32 s0, vcc_lo
	s_cbranch_execz .LBB35_101
.LBB35_174:
	ds_read_b32 v34, v32 offset:64
	s_waitcnt lgkmcnt(0)
	v_add_f32_e32 v2, v2, v34
	s_or_b32 exec_lo, exec_lo, s0
	s_and_saveexec_b32 s0, vcc_lo
	s_cbranch_execz .LBB35_102
.LBB35_175:
	ds_read_b32 v34, v32 offset:96
	s_waitcnt lgkmcnt(0)
	v_add_f32_e32 v3, v3, v34
	s_or_b32 exec_lo, exec_lo, s0
	s_and_saveexec_b32 s0, vcc_lo
	s_cbranch_execz .LBB35_103
.LBB35_176:
	ds_read_b32 v34, v32 offset:128
	s_waitcnt lgkmcnt(0)
	v_add_f32_e32 v4, v4, v34
	s_or_b32 exec_lo, exec_lo, s0
	s_and_saveexec_b32 s0, vcc_lo
	s_cbranch_execz .LBB35_104
.LBB35_177:
	ds_read_b32 v34, v32 offset:160
	s_waitcnt lgkmcnt(0)
	v_add_f32_e32 v5, v5, v34
	s_or_b32 exec_lo, exec_lo, s0
	s_and_saveexec_b32 s0, vcc_lo
	s_cbranch_execz .LBB35_105
.LBB35_178:
	ds_read_b32 v34, v32 offset:192
	s_waitcnt lgkmcnt(0)
	v_add_f32_e32 v6, v6, v34
	s_or_b32 exec_lo, exec_lo, s0
	s_and_saveexec_b32 s0, vcc_lo
	s_cbranch_execz .LBB35_106
.LBB35_179:
	ds_read_b32 v34, v32 offset:224
	s_waitcnt lgkmcnt(0)
	v_add_f32_e32 v7, v7, v34
	s_or_b32 exec_lo, exec_lo, s0
	s_and_saveexec_b32 s0, vcc_lo
	s_cbranch_execz .LBB35_107
.LBB35_180:
	ds_read_b32 v34, v32 offset:256
	s_waitcnt lgkmcnt(0)
	v_add_f32_e32 v8, v8, v34
	s_or_b32 exec_lo, exec_lo, s0
	s_and_saveexec_b32 s0, vcc_lo
	s_cbranch_execz .LBB35_108
.LBB35_181:
	ds_read_b32 v34, v32 offset:288
	s_waitcnt lgkmcnt(0)
	v_add_f32_e32 v9, v9, v34
	s_or_b32 exec_lo, exec_lo, s0
	s_and_saveexec_b32 s0, vcc_lo
	s_cbranch_execz .LBB35_109
.LBB35_182:
	ds_read_b32 v34, v32 offset:320
	s_waitcnt lgkmcnt(0)
	v_add_f32_e32 v10, v10, v34
	s_or_b32 exec_lo, exec_lo, s0
	s_and_saveexec_b32 s0, vcc_lo
	s_cbranch_execz .LBB35_110
.LBB35_183:
	ds_read_b32 v34, v32 offset:352
	s_waitcnt lgkmcnt(0)
	v_add_f32_e32 v11, v11, v34
	s_or_b32 exec_lo, exec_lo, s0
	s_and_saveexec_b32 s0, vcc_lo
	s_cbranch_execz .LBB35_111
.LBB35_184:
	ds_read_b32 v34, v32 offset:384
	s_waitcnt lgkmcnt(0)
	v_add_f32_e32 v12, v12, v34
	s_or_b32 exec_lo, exec_lo, s0
	s_and_saveexec_b32 s0, vcc_lo
	s_cbranch_execz .LBB35_112
.LBB35_185:
	ds_read_b32 v34, v32 offset:416
	s_waitcnt lgkmcnt(0)
	v_add_f32_e32 v13, v13, v34
	s_or_b32 exec_lo, exec_lo, s0
	s_and_saveexec_b32 s0, vcc_lo
	s_cbranch_execz .LBB35_113
.LBB35_186:
	ds_read_b32 v34, v32 offset:448
	s_waitcnt lgkmcnt(0)
	v_add_f32_e32 v14, v14, v34
	s_or_b32 exec_lo, exec_lo, s0
	s_and_saveexec_b32 s0, vcc_lo
	s_cbranch_execz .LBB35_114
.LBB35_187:
	ds_read_b32 v34, v32 offset:480
	s_waitcnt lgkmcnt(0)
	v_add_f32_e32 v15, v15, v34
	s_or_b32 exec_lo, exec_lo, s0
	s_and_saveexec_b32 s0, vcc_lo
	s_cbranch_execz .LBB35_115
.LBB35_188:
	ds_read_b32 v34, v32 offset:512
	s_waitcnt lgkmcnt(0)
	v_add_f32_e32 v16, v16, v34
	s_or_b32 exec_lo, exec_lo, s0
	s_and_saveexec_b32 s0, vcc_lo
	s_cbranch_execz .LBB35_116
.LBB35_189:
	ds_read_b32 v34, v32 offset:544
	s_waitcnt lgkmcnt(0)
	v_add_f32_e32 v17, v17, v34
	s_or_b32 exec_lo, exec_lo, s0
	s_and_saveexec_b32 s0, vcc_lo
	s_cbranch_execz .LBB35_117
.LBB35_190:
	ds_read_b32 v34, v32 offset:576
	s_waitcnt lgkmcnt(0)
	v_add_f32_e32 v18, v18, v34
	s_or_b32 exec_lo, exec_lo, s0
	s_and_saveexec_b32 s0, vcc_lo
	s_cbranch_execz .LBB35_118
.LBB35_191:
	ds_read_b32 v34, v32 offset:608
	s_waitcnt lgkmcnt(0)
	v_add_f32_e32 v19, v19, v34
	s_or_b32 exec_lo, exec_lo, s0
	s_and_saveexec_b32 s0, vcc_lo
	s_cbranch_execz .LBB35_119
.LBB35_192:
	ds_read_b32 v34, v32 offset:640
	s_waitcnt lgkmcnt(0)
	v_add_f32_e32 v20, v20, v34
	s_or_b32 exec_lo, exec_lo, s0
	s_and_saveexec_b32 s0, vcc_lo
	s_cbranch_execz .LBB35_120
.LBB35_193:
	ds_read_b32 v34, v32 offset:672
	s_waitcnt lgkmcnt(0)
	v_add_f32_e32 v21, v21, v34
	s_or_b32 exec_lo, exec_lo, s0
	s_and_saveexec_b32 s0, vcc_lo
	s_cbranch_execz .LBB35_121
.LBB35_194:
	ds_read_b32 v34, v32 offset:704
	s_waitcnt lgkmcnt(0)
	v_add_f32_e32 v22, v22, v34
	s_or_b32 exec_lo, exec_lo, s0
	s_and_saveexec_b32 s0, vcc_lo
	s_cbranch_execz .LBB35_122
.LBB35_195:
	ds_read_b32 v34, v32 offset:736
	s_waitcnt lgkmcnt(0)
	v_add_f32_e32 v23, v23, v34
	s_or_b32 exec_lo, exec_lo, s0
	s_and_saveexec_b32 s0, vcc_lo
	s_cbranch_execz .LBB35_123
.LBB35_196:
	ds_read_b32 v34, v32 offset:768
	s_waitcnt lgkmcnt(0)
	v_add_f32_e32 v24, v24, v34
	s_or_b32 exec_lo, exec_lo, s0
	s_and_saveexec_b32 s0, vcc_lo
	s_cbranch_execz .LBB35_124
.LBB35_197:
	ds_read_b32 v34, v32 offset:800
	s_waitcnt lgkmcnt(0)
	v_add_f32_e32 v25, v25, v34
	s_or_b32 exec_lo, exec_lo, s0
	s_and_saveexec_b32 s0, vcc_lo
	s_cbranch_execz .LBB35_125
.LBB35_198:
	ds_read_b32 v34, v32 offset:832
	s_waitcnt lgkmcnt(0)
	v_add_f32_e32 v26, v26, v34
	s_or_b32 exec_lo, exec_lo, s0
	s_and_saveexec_b32 s0, vcc_lo
	s_cbranch_execz .LBB35_126
.LBB35_199:
	ds_read_b32 v34, v32 offset:864
	s_waitcnt lgkmcnt(0)
	v_add_f32_e32 v27, v27, v34
	s_or_b32 exec_lo, exec_lo, s0
	s_and_saveexec_b32 s0, vcc_lo
	s_cbranch_execz .LBB35_127
.LBB35_200:
	ds_read_b32 v34, v32 offset:896
	s_waitcnt lgkmcnt(0)
	v_add_f32_e32 v28, v28, v34
	s_or_b32 exec_lo, exec_lo, s0
	s_and_saveexec_b32 s0, vcc_lo
	s_cbranch_execz .LBB35_128
.LBB35_201:
	ds_read_b32 v34, v32 offset:928
	s_waitcnt lgkmcnt(0)
	v_add_f32_e32 v29, v29, v34
	s_or_b32 exec_lo, exec_lo, s0
	s_and_saveexec_b32 s0, vcc_lo
	s_cbranch_execz .LBB35_129
.LBB35_202:
	ds_read_b32 v34, v32 offset:960
	s_waitcnt lgkmcnt(0)
	v_add_f32_e32 v30, v30, v34
	s_or_b32 exec_lo, exec_lo, s0
	s_and_saveexec_b32 s0, vcc_lo
	s_cbranch_execnz .LBB35_130
	s_branch .LBB35_131
.LBB35_203:
	ds_read_b32 v33, v32
	s_waitcnt lgkmcnt(0)
	v_add_f32_e32 v0, v0, v33
	s_or_b32 exec_lo, exec_lo, s0
	s_and_saveexec_b32 s0, vcc_lo
	s_cbranch_execz .LBB35_137
.LBB35_204:
	ds_read_b32 v33, v32 offset:32
	s_waitcnt lgkmcnt(0)
	v_add_f32_e32 v1, v1, v33
	s_or_b32 exec_lo, exec_lo, s0
	s_and_saveexec_b32 s0, vcc_lo
	s_cbranch_execz .LBB35_138
.LBB35_205:
	ds_read_b32 v33, v32 offset:64
	s_waitcnt lgkmcnt(0)
	v_add_f32_e32 v2, v2, v33
	s_or_b32 exec_lo, exec_lo, s0
	s_and_saveexec_b32 s0, vcc_lo
	s_cbranch_execz .LBB35_139
.LBB35_206:
	ds_read_b32 v33, v32 offset:96
	s_waitcnt lgkmcnt(0)
	v_add_f32_e32 v3, v3, v33
	s_or_b32 exec_lo, exec_lo, s0
	s_and_saveexec_b32 s0, vcc_lo
	s_cbranch_execz .LBB35_140
.LBB35_207:
	ds_read_b32 v33, v32 offset:128
	s_waitcnt lgkmcnt(0)
	v_add_f32_e32 v4, v4, v33
	s_or_b32 exec_lo, exec_lo, s0
	s_and_saveexec_b32 s0, vcc_lo
	s_cbranch_execz .LBB35_141
.LBB35_208:
	ds_read_b32 v33, v32 offset:160
	s_waitcnt lgkmcnt(0)
	v_add_f32_e32 v5, v5, v33
	s_or_b32 exec_lo, exec_lo, s0
	s_and_saveexec_b32 s0, vcc_lo
	s_cbranch_execz .LBB35_142
.LBB35_209:
	ds_read_b32 v33, v32 offset:192
	s_waitcnt lgkmcnt(0)
	v_add_f32_e32 v6, v6, v33
	s_or_b32 exec_lo, exec_lo, s0
	s_and_saveexec_b32 s0, vcc_lo
	s_cbranch_execz .LBB35_143
.LBB35_210:
	ds_read_b32 v33, v32 offset:224
	s_waitcnt lgkmcnt(0)
	v_add_f32_e32 v7, v7, v33
	s_or_b32 exec_lo, exec_lo, s0
	s_and_saveexec_b32 s0, vcc_lo
	s_cbranch_execz .LBB35_144
.LBB35_211:
	ds_read_b32 v33, v32 offset:256
	s_waitcnt lgkmcnt(0)
	v_add_f32_e32 v8, v8, v33
	s_or_b32 exec_lo, exec_lo, s0
	s_and_saveexec_b32 s0, vcc_lo
	s_cbranch_execz .LBB35_145
.LBB35_212:
	ds_read_b32 v33, v32 offset:288
	s_waitcnt lgkmcnt(0)
	v_add_f32_e32 v9, v9, v33
	s_or_b32 exec_lo, exec_lo, s0
	s_and_saveexec_b32 s0, vcc_lo
	s_cbranch_execz .LBB35_146
.LBB35_213:
	ds_read_b32 v33, v32 offset:320
	s_waitcnt lgkmcnt(0)
	v_add_f32_e32 v10, v10, v33
	s_or_b32 exec_lo, exec_lo, s0
	s_and_saveexec_b32 s0, vcc_lo
	s_cbranch_execz .LBB35_147
.LBB35_214:
	ds_read_b32 v33, v32 offset:352
	s_waitcnt lgkmcnt(0)
	v_add_f32_e32 v11, v11, v33
	s_or_b32 exec_lo, exec_lo, s0
	s_and_saveexec_b32 s0, vcc_lo
	s_cbranch_execz .LBB35_148
.LBB35_215:
	ds_read_b32 v33, v32 offset:384
	s_waitcnt lgkmcnt(0)
	v_add_f32_e32 v12, v12, v33
	s_or_b32 exec_lo, exec_lo, s0
	s_and_saveexec_b32 s0, vcc_lo
	s_cbranch_execz .LBB35_149
.LBB35_216:
	ds_read_b32 v33, v32 offset:416
	s_waitcnt lgkmcnt(0)
	v_add_f32_e32 v13, v13, v33
	s_or_b32 exec_lo, exec_lo, s0
	s_and_saveexec_b32 s0, vcc_lo
	s_cbranch_execz .LBB35_150
.LBB35_217:
	ds_read_b32 v33, v32 offset:448
	s_waitcnt lgkmcnt(0)
	v_add_f32_e32 v14, v14, v33
	s_or_b32 exec_lo, exec_lo, s0
	s_and_saveexec_b32 s0, vcc_lo
	s_cbranch_execz .LBB35_151
.LBB35_218:
	ds_read_b32 v33, v32 offset:480
	s_waitcnt lgkmcnt(0)
	v_add_f32_e32 v15, v15, v33
	s_or_b32 exec_lo, exec_lo, s0
	s_and_saveexec_b32 s0, vcc_lo
	s_cbranch_execz .LBB35_152
.LBB35_219:
	ds_read_b32 v33, v32 offset:512
	s_waitcnt lgkmcnt(0)
	v_add_f32_e32 v16, v16, v33
	s_or_b32 exec_lo, exec_lo, s0
	s_and_saveexec_b32 s0, vcc_lo
	s_cbranch_execz .LBB35_153
.LBB35_220:
	ds_read_b32 v33, v32 offset:544
	s_waitcnt lgkmcnt(0)
	v_add_f32_e32 v17, v17, v33
	s_or_b32 exec_lo, exec_lo, s0
	s_and_saveexec_b32 s0, vcc_lo
	s_cbranch_execz .LBB35_154
.LBB35_221:
	ds_read_b32 v33, v32 offset:576
	s_waitcnt lgkmcnt(0)
	v_add_f32_e32 v18, v18, v33
	s_or_b32 exec_lo, exec_lo, s0
	s_and_saveexec_b32 s0, vcc_lo
	s_cbranch_execz .LBB35_155
.LBB35_222:
	ds_read_b32 v33, v32 offset:608
	s_waitcnt lgkmcnt(0)
	v_add_f32_e32 v19, v19, v33
	s_or_b32 exec_lo, exec_lo, s0
	s_and_saveexec_b32 s0, vcc_lo
	s_cbranch_execz .LBB35_156
.LBB35_223:
	ds_read_b32 v33, v32 offset:640
	s_waitcnt lgkmcnt(0)
	v_add_f32_e32 v20, v20, v33
	s_or_b32 exec_lo, exec_lo, s0
	s_and_saveexec_b32 s0, vcc_lo
	s_cbranch_execz .LBB35_157
.LBB35_224:
	ds_read_b32 v33, v32 offset:672
	s_waitcnt lgkmcnt(0)
	v_add_f32_e32 v21, v21, v33
	s_or_b32 exec_lo, exec_lo, s0
	s_and_saveexec_b32 s0, vcc_lo
	s_cbranch_execz .LBB35_158
.LBB35_225:
	ds_read_b32 v33, v32 offset:704
	s_waitcnt lgkmcnt(0)
	v_add_f32_e32 v22, v22, v33
	s_or_b32 exec_lo, exec_lo, s0
	s_and_saveexec_b32 s0, vcc_lo
	s_cbranch_execz .LBB35_159
.LBB35_226:
	ds_read_b32 v33, v32 offset:736
	s_waitcnt lgkmcnt(0)
	v_add_f32_e32 v23, v23, v33
	s_or_b32 exec_lo, exec_lo, s0
	s_and_saveexec_b32 s0, vcc_lo
	s_cbranch_execz .LBB35_160
.LBB35_227:
	ds_read_b32 v33, v32 offset:768
	s_waitcnt lgkmcnt(0)
	v_add_f32_e32 v24, v24, v33
	s_or_b32 exec_lo, exec_lo, s0
	s_and_saveexec_b32 s0, vcc_lo
	s_cbranch_execz .LBB35_161
.LBB35_228:
	ds_read_b32 v33, v32 offset:800
	s_waitcnt lgkmcnt(0)
	v_add_f32_e32 v25, v25, v33
	s_or_b32 exec_lo, exec_lo, s0
	s_and_saveexec_b32 s0, vcc_lo
	s_cbranch_execz .LBB35_162
.LBB35_229:
	ds_read_b32 v33, v32 offset:832
	s_waitcnt lgkmcnt(0)
	v_add_f32_e32 v26, v26, v33
	s_or_b32 exec_lo, exec_lo, s0
	s_and_saveexec_b32 s0, vcc_lo
	s_cbranch_execz .LBB35_163
.LBB35_230:
	ds_read_b32 v33, v32 offset:864
	s_waitcnt lgkmcnt(0)
	v_add_f32_e32 v27, v27, v33
	s_or_b32 exec_lo, exec_lo, s0
	s_and_saveexec_b32 s0, vcc_lo
	s_cbranch_execz .LBB35_164
.LBB35_231:
	ds_read_b32 v33, v32 offset:896
	s_waitcnt lgkmcnt(0)
	v_add_f32_e32 v28, v28, v33
	s_or_b32 exec_lo, exec_lo, s0
	s_and_saveexec_b32 s0, vcc_lo
	s_cbranch_execz .LBB35_165
.LBB35_232:
	ds_read_b32 v33, v32 offset:928
	s_waitcnt lgkmcnt(0)
	v_add_f32_e32 v29, v29, v33
	s_or_b32 exec_lo, exec_lo, s0
	s_and_saveexec_b32 s0, vcc_lo
	s_cbranch_execz .LBB35_166
.LBB35_233:
	ds_read_b32 v33, v32 offset:960
	s_waitcnt lgkmcnt(0)
	v_add_f32_e32 v30, v30, v33
	s_or_b32 exec_lo, exec_lo, s0
	s_and_saveexec_b32 s0, vcc_lo
	s_cbranch_execnz .LBB35_167
	s_branch .LBB35_168
	.section	.rodata,"a",@progbits
	.p2align	6, 0x0
	.amdhsa_kernel _ZN4vllm25paged_attention_v1_kernelIffLi256ELi16ELi128ELNS_18Fp8KVCacheDataTypeE0ELb0EEEvPT_PKS2_PKT0_S8_ifPKiSA_iPKfiiiSC_SC_iiiii
		.amdhsa_group_segment_fixed_size 1056
		.amdhsa_private_segment_fixed_size 304
		.amdhsa_kernarg_size 384
		.amdhsa_user_sgpr_count 6
		.amdhsa_user_sgpr_private_segment_buffer 1
		.amdhsa_user_sgpr_dispatch_ptr 0
		.amdhsa_user_sgpr_queue_ptr 0
		.amdhsa_user_sgpr_kernarg_segment_ptr 1
		.amdhsa_user_sgpr_dispatch_id 0
		.amdhsa_user_sgpr_flat_scratch_init 0
		.amdhsa_user_sgpr_private_segment_size 0
		.amdhsa_wavefront_size32 1
		.amdhsa_uses_dynamic_stack 0
		.amdhsa_system_sgpr_private_segment_wavefront_offset 1
		.amdhsa_system_sgpr_workgroup_id_x 1
		.amdhsa_system_sgpr_workgroup_id_y 1
		.amdhsa_system_sgpr_workgroup_id_z 1
		.amdhsa_system_sgpr_workgroup_info 0
		.amdhsa_system_vgpr_workitem_id 0
		.amdhsa_next_free_vgpr 128
		.amdhsa_next_free_sgpr 40
		.amdhsa_reserve_vcc 1
		.amdhsa_reserve_flat_scratch 0
		.amdhsa_float_round_mode_32 0
		.amdhsa_float_round_mode_16_64 0
		.amdhsa_float_denorm_mode_32 3
		.amdhsa_float_denorm_mode_16_64 3
		.amdhsa_dx10_clamp 1
		.amdhsa_ieee_mode 1
		.amdhsa_fp16_overflow 0
		.amdhsa_workgroup_processor_mode 1
		.amdhsa_memory_ordered 1
		.amdhsa_forward_progress 1
		.amdhsa_shared_vgpr_count 0
		.amdhsa_exception_fp_ieee_invalid_op 0
		.amdhsa_exception_fp_denorm_src 0
		.amdhsa_exception_fp_ieee_div_zero 0
		.amdhsa_exception_fp_ieee_overflow 0
		.amdhsa_exception_fp_ieee_underflow 0
		.amdhsa_exception_fp_ieee_inexact 0
		.amdhsa_exception_int_div_zero 0
	.end_amdhsa_kernel
	.section	.text._ZN4vllm25paged_attention_v1_kernelIffLi256ELi16ELi128ELNS_18Fp8KVCacheDataTypeE0ELb0EEEvPT_PKS2_PKT0_S8_ifPKiSA_iPKfiiiSC_SC_iiiii,"axG",@progbits,_ZN4vllm25paged_attention_v1_kernelIffLi256ELi16ELi128ELNS_18Fp8KVCacheDataTypeE0ELb0EEEvPT_PKS2_PKT0_S8_ifPKiSA_iPKfiiiSC_SC_iiiii,comdat
.Lfunc_end35:
	.size	_ZN4vllm25paged_attention_v1_kernelIffLi256ELi16ELi128ELNS_18Fp8KVCacheDataTypeE0ELb0EEEvPT_PKS2_PKT0_S8_ifPKiSA_iPKfiiiSC_SC_iiiii, .Lfunc_end35-_ZN4vllm25paged_attention_v1_kernelIffLi256ELi16ELi128ELNS_18Fp8KVCacheDataTypeE0ELb0EEEvPT_PKS2_PKT0_S8_ifPKiSA_iPKfiiiSC_SC_iiiii
                                        ; -- End function
	.set _ZN4vllm25paged_attention_v1_kernelIffLi256ELi16ELi128ELNS_18Fp8KVCacheDataTypeE0ELb0EEEvPT_PKS2_PKT0_S8_ifPKiSA_iPKfiiiSC_SC_iiiii.num_vgpr, 128
	.set _ZN4vllm25paged_attention_v1_kernelIffLi256ELi16ELi128ELNS_18Fp8KVCacheDataTypeE0ELb0EEEvPT_PKS2_PKT0_S8_ifPKiSA_iPKfiiiSC_SC_iiiii.num_agpr, 0
	.set _ZN4vllm25paged_attention_v1_kernelIffLi256ELi16ELi128ELNS_18Fp8KVCacheDataTypeE0ELb0EEEvPT_PKS2_PKT0_S8_ifPKiSA_iPKfiiiSC_SC_iiiii.numbered_sgpr, 40
	.set _ZN4vllm25paged_attention_v1_kernelIffLi256ELi16ELi128ELNS_18Fp8KVCacheDataTypeE0ELb0EEEvPT_PKS2_PKT0_S8_ifPKiSA_iPKfiiiSC_SC_iiiii.num_named_barrier, 0
	.set _ZN4vllm25paged_attention_v1_kernelIffLi256ELi16ELi128ELNS_18Fp8KVCacheDataTypeE0ELb0EEEvPT_PKS2_PKT0_S8_ifPKiSA_iPKfiiiSC_SC_iiiii.private_seg_size, 304
	.set _ZN4vllm25paged_attention_v1_kernelIffLi256ELi16ELi128ELNS_18Fp8KVCacheDataTypeE0ELb0EEEvPT_PKS2_PKT0_S8_ifPKiSA_iPKfiiiSC_SC_iiiii.uses_vcc, 1
	.set _ZN4vllm25paged_attention_v1_kernelIffLi256ELi16ELi128ELNS_18Fp8KVCacheDataTypeE0ELb0EEEvPT_PKS2_PKT0_S8_ifPKiSA_iPKfiiiSC_SC_iiiii.uses_flat_scratch, 0
	.set _ZN4vllm25paged_attention_v1_kernelIffLi256ELi16ELi128ELNS_18Fp8KVCacheDataTypeE0ELb0EEEvPT_PKS2_PKT0_S8_ifPKiSA_iPKfiiiSC_SC_iiiii.has_dyn_sized_stack, 0
	.set _ZN4vllm25paged_attention_v1_kernelIffLi256ELi16ELi128ELNS_18Fp8KVCacheDataTypeE0ELb0EEEvPT_PKS2_PKT0_S8_ifPKiSA_iPKfiiiSC_SC_iiiii.has_recursion, 0
	.set _ZN4vllm25paged_attention_v1_kernelIffLi256ELi16ELi128ELNS_18Fp8KVCacheDataTypeE0ELb0EEEvPT_PKS2_PKT0_S8_ifPKiSA_iPKfiiiSC_SC_iiiii.has_indirect_call, 0
	.section	.AMDGPU.csdata,"",@progbits
; Kernel info:
; codeLenInByte = 15508
; TotalNumSgprs: 42
; NumVgprs: 128
; ScratchSize: 304
; MemoryBound: 0
; FloatMode: 240
; IeeeMode: 1
; LDSByteSize: 1056 bytes/workgroup (compile time only)
; SGPRBlocks: 0
; VGPRBlocks: 15
; NumSGPRsForWavesPerEU: 42
; NumVGPRsForWavesPerEU: 128
; Occupancy: 8
; WaveLimiterHint : 1
; COMPUTE_PGM_RSRC2:SCRATCH_EN: 1
; COMPUTE_PGM_RSRC2:USER_SGPR: 6
; COMPUTE_PGM_RSRC2:TRAP_HANDLER: 0
; COMPUTE_PGM_RSRC2:TGID_X_EN: 1
; COMPUTE_PGM_RSRC2:TGID_Y_EN: 1
; COMPUTE_PGM_RSRC2:TGID_Z_EN: 1
; COMPUTE_PGM_RSRC2:TIDIG_COMP_CNT: 0
	.section	.text._ZN4vllm25paged_attention_v1_kernelIffLi32ELi32ELi128ELNS_18Fp8KVCacheDataTypeE0ELb1EEEvPT_PKS2_PKT0_S8_ifPKiSA_iPKfiiiSC_SC_iiiii,"axG",@progbits,_ZN4vllm25paged_attention_v1_kernelIffLi32ELi32ELi128ELNS_18Fp8KVCacheDataTypeE0ELb1EEEvPT_PKS2_PKT0_S8_ifPKiSA_iPKfiiiSC_SC_iiiii,comdat
	.protected	_ZN4vllm25paged_attention_v1_kernelIffLi32ELi32ELi128ELNS_18Fp8KVCacheDataTypeE0ELb1EEEvPT_PKS2_PKT0_S8_ifPKiSA_iPKfiiiSC_SC_iiiii ; -- Begin function _ZN4vllm25paged_attention_v1_kernelIffLi32ELi32ELi128ELNS_18Fp8KVCacheDataTypeE0ELb1EEEvPT_PKS2_PKT0_S8_ifPKiSA_iPKfiiiSC_SC_iiiii
	.globl	_ZN4vllm25paged_attention_v1_kernelIffLi32ELi32ELi128ELNS_18Fp8KVCacheDataTypeE0ELb1EEEvPT_PKS2_PKT0_S8_ifPKiSA_iPKfiiiSC_SC_iiiii
	.p2align	8
	.type	_ZN4vllm25paged_attention_v1_kernelIffLi32ELi32ELi128ELNS_18Fp8KVCacheDataTypeE0ELb1EEEvPT_PKS2_PKT0_S8_ifPKiSA_iPKfiiiSC_SC_iiiii,@function
_ZN4vllm25paged_attention_v1_kernelIffLi32ELi32ELi128ELNS_18Fp8KVCacheDataTypeE0ELb1EEEvPT_PKS2_PKT0_S8_ifPKiSA_iPKfiiiSC_SC_iiiii: ; @_ZN4vllm25paged_attention_v1_kernelIffLi32ELi32ELi128ELNS_18Fp8KVCacheDataTypeE0ELb1EEEvPT_PKS2_PKT0_S8_ifPKiSA_iPKfiiiSC_SC_iiiii
; %bb.0:
	s_clause 0x2
	s_load_dword s9, s[4:5], 0x80
	s_load_dwordx2 s[0:1], s[4:5], 0x30
	s_load_dwordx2 s[2:3], s[4:5], 0x20
	s_mov_b32 s10, s7
	s_ashr_i32 s11, s7, 31
	s_mov_b32 s31, 0
	s_lshl_b64 s[12:13], s[10:11], 2
	s_waitcnt lgkmcnt(0)
	s_add_u32 s0, s0, s12
	s_addc_u32 s1, s1, s13
	s_abs_i32 s7, s2
	s_abs_i32 s13, s9
	v_cvt_f32_u32_e32 v1, s7
	s_sub_i32 s12, 0, s7
	v_rcp_iflag_f32_e32 v1, v1
	v_mul_f32_e32 v1, 0x4f7ffffe, v1
	v_cvt_u32_f32_e32 v1, v1
	v_readfirstlane_b32 s11, v1
	s_mul_i32 s12, s12, s11
	s_mul_hi_u32 s12, s11, s12
	s_add_i32 s11, s11, s12
	s_xor_b32 s12, s9, s2
	s_mul_hi_u32 s11, s13, s11
	s_ashr_i32 s12, s12, 31
	s_mul_i32 s14, s11, s7
	s_sub_i32 s13, s13, s14
	s_add_i32 s14, s11, 1
	s_sub_i32 s15, s13, s7
	s_cmp_ge_u32 s13, s7
	s_cselect_b32 s11, s14, s11
	s_cselect_b32 s13, s15, s13
	s_add_i32 s14, s11, 1
	s_cmp_ge_u32 s13, s7
	s_cselect_b32 s7, s14, s11
	s_abs_i32 s22, s6
	s_xor_b32 s7, s7, s12
	s_sub_i32 s16, s7, s12
	s_load_dwordx2 s[12:13], s[4:5], 0x40
	s_abs_i32 s11, s16
	v_cvt_f32_u32_e32 v1, s11
	s_sub_i32 s14, 0, s11
	v_rcp_iflag_f32_e32 v1, v1
	v_mul_f32_e32 v1, 0x4f7ffffe, v1
	v_cvt_u32_f32_e32 v1, v1
	v_readfirstlane_b32 s7, v1
	s_mul_i32 s14, s14, s7
	s_mul_hi_u32 s14, s7, s14
	s_add_i32 s7, s7, s14
	s_waitcnt lgkmcnt(0)
	s_cmp_eq_u64 s[12:13], 0
	s_mul_hi_u32 s23, s22, s7
	s_cbranch_scc1 .LBB36_2
; %bb.1:
	s_ashr_i32 s7, s6, 31
	s_lshl_b64 s[14:15], s[6:7], 2
	s_add_u32 s12, s12, s14
	s_addc_u32 s13, s13, s15
	s_load_dword s31, s[12:13], 0x0
.LBB36_2:
	s_load_dword s28, s[0:1], 0x0
	s_load_dwordx4 s[12:15], s[4:5], 0x48
	v_lshlrev_b32_e32 v35, 4, v0
	s_ashr_i32 s0, s6, 31
	s_ashr_i32 s1, s16, 31
	s_lshl_b32 s20, s6, 5
	s_mov_b32 s7, exec_lo
	v_cmpx_gt_u32_e32 8, v0
	s_cbranch_execz .LBB36_4
; %bb.3:
	s_load_dwordx2 s[16:17], s[4:5], 0x8
	s_waitcnt lgkmcnt(0)
	s_mul_i32 s18, s12, s10
	s_ashr_i32 s19, s18, 31
	s_lshl_b64 s[18:19], s[18:19], 2
	s_add_u32 s12, s16, s18
	s_addc_u32 s15, s17, s19
	s_ashr_i32 s21, s20, 31
	s_lshl_b64 s[16:17], s[20:21], 2
	s_add_u32 s16, s12, s16
	s_addc_u32 s17, s15, s17
	global_load_dwordx4 v[1:4], v35, s[16:17]
	s_waitcnt vmcnt(0)
	ds_write_b128 v35, v[1:4]
.LBB36_4:
	s_or_b32 exec_lo, exec_lo, s7
	s_load_dwordx4 s[16:19], s[4:5], 0x68
	s_mul_i32 s7, s23, s11
	s_xor_b32 s1, s0, s1
	s_sub_i32 s0, s22, s7
	s_add_i32 s7, s23, 1
	s_waitcnt lgkmcnt(0)
	s_sub_i32 s12, s0, s11
	s_cmp_ge_u32 s0, s11
	s_mov_b32 s24, -1
	s_cselect_b32 s7, s7, s23
	s_cselect_b32 s0, s12, s0
	s_add_i32 s12, s7, 1
	s_cmp_ge_u32 s0, s11
	s_load_dword s0, s[4:5], 0x78
	s_cselect_b32 s7, s12, s7
	s_add_i32 s11, s28, -1
	s_xor_b32 s7, s7, s1
	s_waitcnt lgkmcnt(0)
	s_sub_i32 s1, s7, s1
	s_barrier
	buffer_gl0_inv
	s_abs_i32 s12, s19
                                        ; implicit-def: $sgpr29
	v_cvt_f32_u32_e32 v1, s12
	s_sub_i32 s7, 0, s12
	v_rcp_iflag_f32_e32 v1, v1
	v_mul_f32_e32 v1, 0x4f7ffffe, v1
	v_cvt_u32_f32_e32 v1, v1
	v_readfirstlane_b32 s21, v1
	s_mul_i32 s7, s7, s21
	s_mul_hi_u32 s15, s21, s7
	s_abs_i32 s7, s11
	s_add_i32 s21, s21, s15
	s_cmp_lt_i32 s0, 0
	s_mul_hi_u32 s15, s7, s21
	s_cbranch_scc0 .LBB36_6
; %bb.5:
	s_mul_i32 s2, s16, s2
	s_mov_b32 s24, 0
	s_add_i32 s2, s1, s2
	s_mul_i32 s2, s2, s0
	s_sub_i32 s29, 1, s2
.LBB36_6:
	s_load_dwordx2 s[22:23], s[4:5], 0x28
	s_ashr_i32 s2, s11, 31
	s_andn2_b32 vcc_lo, exec_lo, s24
	s_ashr_i32 s19, s19, 31
	s_cbranch_vccnz .LBB36_8
; %bb.7:
	s_mul_i32 s11, s9, s16
	s_add_i32 s6, s11, s6
	s_mul_i32 s0, s6, s0
	s_add_i32 s29, s0, 1
.LBB36_8:
	s_load_dword s0, s[4:5], 0x38
	s_mul_i32 s6, s15, s12
	s_xor_b32 s2, s2, s19
	s_sub_i32 s30, s7, s6
	s_add_i32 s16, s15, 1
	s_clause 0x2
	s_load_dwordx2 s[6:7], s[4:5], 0x0
	s_load_dwordx2 s[26:27], s[4:5], 0x18
	s_load_dword s11, s[4:5], 0x88
	v_lshrrev_b32_e32 v39, 5, v0
	v_and_b32_e32 v40, 31, v0
	v_mov_b32_e32 v38, 0xff7fffff
	v_lshrrev_b32_e32 v36, 3, v0
	s_mul_i32 s14, s1, s14
	v_lshlrev_b32_e32 v41, 5, v39
	v_lshlrev_b32_e32 v37, 2, v40
	s_waitcnt lgkmcnt(0)
	s_mul_i32 s24, s0, s10
	s_sub_i32 s0, s30, s12
	s_ashr_i32 s25, s24, 31
	s_cmp_ge_u32 s30, s12
	s_cselect_b32 s15, s16, s15
	s_cselect_b32 s0, s0, s30
	s_add_i32 s16, s15, 1
	s_cmp_ge_u32 s0, s12
	s_cselect_b32 s0, s16, s15
	s_add_i32 s15, s28, 31
	s_ashr_i32 s16, s15, 31
	s_lshr_b32 s16, s16, 27
	s_add_i32 s15, s15, s16
	s_ashr_i32 s16, s15, 5
	s_xor_b32 s15, s0, s2
	v_cmp_gt_i32_e64 s0, s16, v39
	s_sub_i32 s30, s15, s2
	s_and_saveexec_b32 s33, s0
	s_cbranch_execz .LBB36_16
; %bb.9:
	s_load_dwordx2 s[34:35], s[4:5], 0x10
	s_ashr_i32 s15, s14, 31
	s_sub_i32 s4, s30, s17
	s_lshl_b64 s[36:37], s[14:15], 2
	v_mov_b32_e32 v29, 0
	v_lshlrev_b32_e32 v33, 4, v40
	v_and_b32_e32 v34, 0x7c, v36
	v_subrev_nc_u32_e32 v44, s28, v40
	v_lshl_or_b32 v45, v39, 7, v37
	v_cmp_neq_f32_e64 vcc_lo, s31, 0
	v_lshlrev_b32_e32 v42, 5, v39
	v_mov_b32_e32 v43, 0xff7fffff
	v_mov_b32_e32 v38, 0xff7fffff
	v_add_nc_u32_e32 v44, 1, v44
	v_add_nc_u32_e32 v45, 0xa0, v45
	s_waitcnt lgkmcnt(0)
	s_add_u32 s1, s34, s36
	s_addc_u32 s2, s35, s37
	s_abs_i32 s5, s18
	s_lshl_b64 s[34:35], s[24:25], 2
	v_cvt_f32_u32_e32 v1, s5
	s_sub_i32 s15, 0, s5
	v_rcp_iflag_f32_e32 v1, v1
	v_mul_f32_e32 v1, 0x4f7ffffe, v1
	v_cvt_u32_f32_e32 v48, v1
	ds_read_b128 v[1:4], v29
	ds_read_b128 v[5:8], v29 offset:16
	ds_read_b128 v[9:12], v29 offset:32
	;; [unrolled: 1-line block ×7, first 2 shown]
	v_mul_lo_u32 v46, s15, v48
	s_mov_b32 s15, 0
	v_mul_hi_u32 v49, v48, v46
	v_add_co_u32 v46, s1, s1, v33
	v_add_co_ci_u32_e64 v47, null, s2, 0, s1
	s_add_u32 s1, s22, s34
	s_addc_u32 s2, s23, s35
	v_add_co_u32 v33, s1, s1, v34
	v_add_co_ci_u32_e64 v34, null, s2, 0, s1
	v_add_nc_u32_e32 v48, v48, v49
	v_mov_b32_e32 v49, v39
	s_mov_b32 s34, s13
	s_branch .LBB36_11
.LBB36_10:                              ;   in Loop: Header=BB36_11 Depth=1
	s_or_b32 exec_lo, exec_lo, s2
	v_add_nc_u32_e32 v49, 4, v49
	v_add_co_u32 v33, s2, v33, 16
	v_add_co_ci_u32_e64 v34, null, 0, v34, s2
	v_cmp_le_i32_e64 s1, s16, v49
	v_add_nc_u32_e32 v42, 0x80, v42
	v_add_nc_u32_e32 v45, 0x200, v45
	s_or_b32 s15, s1, s15
	s_andn2_b32 exec_lo, exec_lo, s15
	s_cbranch_execz .LBB36_15
.LBB36_11:                              ; =>This Inner Loop Header: Depth=1
	v_mul_hi_u32 v50, v42, s21
	v_mul_lo_u32 v51, v50, s12
	v_add_nc_u32_e32 v52, 1, v50
	v_sub_nc_u32_e32 v51, v42, v51
	v_subrev_nc_u32_e32 v53, s12, v51
	v_cmp_le_u32_e64 s1, s12, v51
	v_cndmask_b32_e64 v50, v50, v52, s1
	v_cndmask_b32_e64 v51, v51, v53, s1
	v_add_nc_u32_e32 v52, 1, v50
	v_cmp_le_u32_e64 s1, s12, v51
	v_cndmask_b32_e64 v50, v50, v52, s1
	v_xor_b32_e32 v50, s19, v50
	v_subrev_nc_u32_e32 v50, s19, v50
	v_add_nc_u32_e32 v51, s29, v50
	v_cmp_ge_i32_e64 s2, s4, v50
	v_sub_nc_u32_e32 v52, 0, v51
	v_max_i32_e32 v52, v51, v52
	v_ashrrev_i32_e32 v51, 31, v51
	v_mul_hi_u32 v53, v52, v48
	v_mul_lo_u32 v53, v53, s5
	v_sub_nc_u32_e32 v52, v52, v53
	v_subrev_nc_u32_e32 v53, s5, v52
	v_cmp_le_u32_e64 s1, s5, v52
	v_cndmask_b32_e64 v52, v52, v53, s1
	v_subrev_nc_u32_e32 v53, s5, v52
	v_cmp_le_u32_e64 s1, s5, v52
	v_cndmask_b32_e64 v52, v52, v53, s1
	v_xor_b32_e32 v52, v52, v51
	v_sub_nc_u32_e32 v51, v52, v51
	v_cmp_ne_u32_e64 s1, 0, v51
	s_and_b32 s1, s1, s2
	s_and_saveexec_b32 s2, s1
	s_xor_b32 s1, exec_lo, s2
; %bb.12:                               ;   in Loop: Header=BB36_11 Depth=1
	ds_write_b32 v45, v43
; %bb.13:                               ;   in Loop: Header=BB36_11 Depth=1
	s_andn2_saveexec_b32 s2, s1
	s_cbranch_execz .LBB36_10
; %bb.14:                               ;   in Loop: Header=BB36_11 Depth=1
	global_load_dword v50, v[33:34], off
	s_waitcnt vmcnt(0)
	v_mad_i64_i32 v[50:51], null, v50, s34, 0
	v_lshlrev_b64 v[50:51], 2, v[50:51]
	v_add_co_u32 v62, s1, v46, v50
	v_add_co_ci_u32_e64 v63, null, v47, v51, s1
	s_clause 0x2
	global_load_dwordx4 v[50:53], v[62:63], off offset:512
	global_load_dwordx4 v[54:57], v[62:63], off
	global_load_dwordx4 v[58:61], v[62:63], off offset:1024
	v_add_co_u32 v64, s1, 0x800, v62
	v_add_co_ci_u32_e64 v65, null, 0, v63, s1
	s_waitcnt vmcnt(2) lgkmcnt(6)
	v_mul_f32_e32 v66, v5, v50
	v_mul_f32_e32 v67, v6, v51
	v_mul_f32_e32 v68, v7, v52
	v_mul_f32_e32 v69, v8, v53
	global_load_dwordx4 v[50:53], v[62:63], off offset:1536
	s_waitcnt vmcnt(2)
	v_fmac_f32_e32 v66, v1, v54
	v_fmac_f32_e32 v67, v2, v55
	;; [unrolled: 1-line block ×4, first 2 shown]
	global_load_dwordx4 v[54:57], v[64:65], off
	s_waitcnt vmcnt(2) lgkmcnt(5)
	v_fmac_f32_e32 v66, v9, v58
	v_fmac_f32_e32 v67, v10, v59
	v_fmac_f32_e32 v68, v11, v60
	v_fmac_f32_e32 v69, v12, v61
	global_load_dwordx4 v[58:61], v[64:65], off offset:512
	s_waitcnt vmcnt(2) lgkmcnt(4)
	v_fmac_f32_e32 v66, v13, v50
	v_fmac_f32_e32 v67, v14, v51
	v_fmac_f32_e32 v68, v15, v52
	v_fmac_f32_e32 v69, v16, v53
	global_load_dwordx4 v[50:53], v[64:65], off offset:1024
	;; [unrolled: 6-line block ×3, first 2 shown]
	s_waitcnt vmcnt(2) lgkmcnt(2)
	v_fmac_f32_e32 v66, v21, v58
	v_fmac_f32_e32 v67, v22, v59
	;; [unrolled: 1-line block ×4, first 2 shown]
	s_waitcnt vmcnt(1) lgkmcnt(1)
	v_fmac_f32_e32 v66, v25, v50
	v_fmac_f32_e32 v67, v26, v51
	v_add_nc_u32_e32 v50, v44, v42
	v_fmac_f32_e32 v68, v27, v52
	v_fmac_f32_e32 v69, v28, v53
	s_waitcnt vmcnt(0) lgkmcnt(0)
	v_fmac_f32_e32 v66, v29, v54
	v_fmac_f32_e32 v67, v30, v55
	v_cvt_f32_i32_e32 v50, v50
	v_fmac_f32_e32 v68, v31, v56
	v_fmac_f32_e32 v69, v32, v57
	v_max_f32_e32 v52, v38, v38
	v_add_f32_e32 v51, v66, v67
	v_mul_f32_e32 v50, s31, v50
	v_add_f32_e32 v51, v68, v51
	v_cndmask_b32_e32 v50, 0, v50, vcc_lo
	v_add_f32_e32 v51, v69, v51
	v_fmac_f32_e32 v50, s3, v51
	v_add_nc_u32_e32 v51, v40, v42
	v_max_f32_e32 v52, v52, v50
	v_cmp_gt_i32_e64 s1, s28, v51
	v_cndmask_b32_e64 v50, 0, v50, s1
	v_cndmask_b32_e64 v38, v38, v52, s1
	ds_write_b32 v45, v50
	s_branch .LBB36_10
.LBB36_15:
	s_or_b32 exec_lo, exec_lo, s15
.LBB36_16:
	s_or_b32 exec_lo, exec_lo, s33
	s_waitcnt lgkmcnt(7)
	v_mbcnt_lo_u32_b32 v2, -1, 0
	s_waitcnt lgkmcnt(6)
	v_max_f32_e32 v5, v38, v38
	v_xor_b32_e32 v1, 16, v2
	v_xor_b32_e32 v4, 8, v2
	v_cmp_gt_i32_e32 vcc_lo, 32, v1
	v_cndmask_b32_e32 v1, v2, v1, vcc_lo
	v_cmp_gt_i32_e32 vcc_lo, 32, v4
	v_lshlrev_b32_e32 v1, 2, v1
	v_cndmask_b32_e32 v4, v2, v4, vcc_lo
	ds_bpermute_b32 v3, v1, v38
	s_waitcnt lgkmcnt(0)
	v_max_f32_e32 v6, v3, v3
	v_lshlrev_b32_e32 v3, 2, v4
	v_max_f32_e32 v4, v5, v6
	v_xor_b32_e32 v6, 4, v2
	ds_bpermute_b32 v5, v3, v4
	v_cmp_gt_i32_e32 vcc_lo, 32, v6
	v_cndmask_b32_e32 v6, v2, v6, vcc_lo
	v_lshlrev_b32_e32 v44, 2, v6
	v_xor_b32_e32 v6, 2, v2
	v_cmp_gt_i32_e32 vcc_lo, 32, v6
	s_waitcnt lgkmcnt(0)
	v_max_f32_e32 v5, v5, v5
	v_cndmask_b32_e32 v6, v2, v6, vcc_lo
	v_max_f32_e32 v4, v4, v5
	v_lshlrev_b32_e32 v43, 2, v6
	v_xor_b32_e32 v6, 1, v2
	ds_bpermute_b32 v5, v44, v4
	v_cmp_gt_i32_e32 vcc_lo, 32, v6
	v_cndmask_b32_e32 v6, v2, v6, vcc_lo
	v_cmp_eq_u32_e32 vcc_lo, 0, v40
	v_lshlrev_b32_e32 v42, 2, v6
	s_waitcnt lgkmcnt(0)
	v_max_f32_e32 v5, v5, v5
	v_max_f32_e32 v4, v4, v5
	ds_bpermute_b32 v5, v43, v4
	s_waitcnt lgkmcnt(0)
	v_max_f32_e32 v5, v5, v5
	v_max_f32_e32 v2, v4, v5
	v_lshlrev_b32_e32 v4, 2, v39
	ds_bpermute_b32 v5, v42, v2
	s_and_saveexec_b32 s1, vcc_lo
	s_cbranch_execz .LBB36_18
; %bb.17:
	s_waitcnt lgkmcnt(0)
	v_max_f32_e32 v5, v5, v5
	v_max_f32_e32 v2, v2, v2
	;; [unrolled: 1-line block ×3, first 2 shown]
	ds_write_b32 v4, v2 offset:128
.LBB36_18:
	s_or_b32 exec_lo, exec_lo, s1
	v_cmp_gt_u32_e64 s1, 4, v40
	v_mov_b32_e32 v2, 0xff7fffff
	s_waitcnt lgkmcnt(0)
	s_barrier
	buffer_gl0_inv
	s_and_saveexec_b32 s2, s1
; %bb.19:
	ds_read_b32 v2, v37 offset:128
; %bb.20:
	s_or_b32 exec_lo, exec_lo, s2
	s_waitcnt lgkmcnt(0)
	ds_bpermute_b32 v5, v43, v2
	v_max_f32_e32 v2, v2, v2
	s_lshl_b32 s2, s16, 5
	s_min_i32 s4, s2, s28
	v_cmp_gt_i32_e64 s2, s4, v0
	s_waitcnt lgkmcnt(0)
	v_max_f32_e32 v5, v5, v5
	v_max_f32_e32 v2, v2, v5
	ds_bpermute_b32 v5, v42, v2
	s_waitcnt lgkmcnt(0)
	v_max_f32_e32 v5, v5, v5
	v_max_f32_e32 v2, v2, v5
	v_mov_b32_e32 v5, 0
	ds_bpermute_b32 v6, v5, v2
	v_lshl_add_u32 v2, v0, 2, 0xa0
	s_and_saveexec_b32 s5, s2
	s_cbranch_execz .LBB36_24
; %bb.21:
	v_lshl_add_u32 v7, v0, 2, 0xa0
	v_mov_b32_e32 v5, 0
	v_mov_b32_e32 v8, v0
	s_mov_b32 s15, 0
	.p2align	6
.LBB36_22:                              ; =>This Inner Loop Header: Depth=1
	ds_read_b32 v9, v7
	v_add_nc_u32_e32 v8, 0x80, v8
	v_cmp_le_i32_e64 s3, s4, v8
	s_or_b32 s15, s3, s15
	s_waitcnt lgkmcnt(0)
	v_sub_f32_e32 v9, v9, v6
	v_mul_f32_e32 v9, 0x3fb8aa3b, v9
	v_exp_f32_e32 v9, v9
	ds_write_b32 v7, v9
	v_add_f32_e32 v5, v5, v9
	v_add_nc_u32_e32 v7, 0x200, v7
	s_andn2_b32 exec_lo, exec_lo, s15
	s_cbranch_execnz .LBB36_22
; %bb.23:
	s_or_b32 exec_lo, exec_lo, s15
.LBB36_24:
	s_or_b32 exec_lo, exec_lo, s5
	ds_bpermute_b32 v1, v1, v5
	s_waitcnt lgkmcnt(0)
	v_add_f32_e32 v1, v5, v1
	ds_bpermute_b32 v3, v3, v1
	s_waitcnt lgkmcnt(0)
	v_add_f32_e32 v1, v1, v3
	;; [unrolled: 3-line block ×5, first 2 shown]
	s_and_saveexec_b32 s3, vcc_lo
; %bb.25:
	ds_write_b32 v4, v1 offset:144
; %bb.26:
	s_or_b32 exec_lo, exec_lo, s3
	s_waitcnt lgkmcnt(0)
	s_barrier
	buffer_gl0_inv
	s_and_saveexec_b32 s3, s1
; %bb.27:
	ds_read_b32 v1, v37 offset:144
; %bb.28:
	s_or_b32 exec_lo, exec_lo, s3
	s_waitcnt lgkmcnt(0)
	ds_bpermute_b32 v3, v43, v1
	s_waitcnt lgkmcnt(0)
	v_add_f32_e32 v1, v1, v3
	ds_bpermute_b32 v3, v42, v1
	s_waitcnt lgkmcnt(0)
	v_add_f32_e32 v1, v1, v3
	v_mov_b32_e32 v3, 0
	ds_bpermute_b32 v1, v3, v1
	s_and_saveexec_b32 s1, s2
	s_cbranch_execz .LBB36_31
; %bb.29:
	s_waitcnt lgkmcnt(0)
	v_add_f32_e32 v1, 0x358637bd, v1
	s_mov_b32 s2, 0
	v_div_scale_f32 v3, null, v1, v1, 1.0
	v_div_scale_f32 v6, vcc_lo, 1.0, v1, 1.0
	v_rcp_f32_e32 v4, v3
	v_fma_f32 v5, -v3, v4, 1.0
	v_fmac_f32_e32 v4, v5, v4
	v_mul_f32_e32 v5, v6, v4
	v_fma_f32 v7, -v3, v5, v6
	v_fmac_f32_e32 v5, v7, v4
	v_fma_f32 v3, -v3, v5, v6
	v_div_fmas_f32 v3, v3, v4, v5
	v_div_fixup_f32 v1, v3, v1, 1.0
	v_mov_b32_e32 v3, v0
.LBB36_30:                              ; =>This Inner Loop Header: Depth=1
	ds_read_b32 v4, v2
	v_add_nc_u32_e32 v3, 0x80, v3
	v_cmp_le_i32_e32 vcc_lo, s4, v3
	s_or_b32 s2, vcc_lo, s2
	s_waitcnt lgkmcnt(0)
	v_mul_f32_e32 v4, v1, v4
	ds_write_b32 v2, v4
	v_add_nc_u32_e32 v2, 0x200, v2
	s_andn2_b32 exec_lo, exec_lo, s2
	s_cbranch_execnz .LBB36_30
.LBB36_31:
	s_or_b32 exec_lo, exec_lo, s1
	v_mov_b32_e32 v52, 0
	v_and_b32_e32 v45, 7, v0
	v_mov_b32_e32 v53, 0
	v_mov_b32_e32 v51, 0
	v_mov_b32_e32 v50, 0
	v_mov_b32_e32 v49, 0
	v_mov_b32_e32 v48, 0
	v_mov_b32_e32 v47, 0
	v_mov_b32_e32 v46, 0
	s_waitcnt lgkmcnt(0)
	s_barrier
	buffer_gl0_inv
	s_and_saveexec_b32 s1, s0
	s_cbranch_execz .LBB36_53
; %bb.32:
	s_ashr_i32 s15, s14, 31
	s_sub_i32 s2, s30, s17
	s_lshl_b64 s[4:5], s[14:15], 2
	v_lshlrev_b32_e32 v2, 2, v0
	s_add_u32 s0, s26, s4
	s_addc_u32 s5, s27, s5
	s_abs_i32 s3, s18
	v_and_b32_e32 v3, 0x1f0, v35
	v_cvt_f32_u32_e32 v1, s3
	s_sub_i32 s4, 0, s3
	v_and_b32_e32 v54, 28, v2
	v_lshlrev_b32_e32 v5, 4, v45
	v_and_b32_e32 v4, 0x7c, v36
	v_rcp_iflag_f32_e32 v1, v1
	s_lshl_b64 s[14:15], s[24:25], 2
	v_add_co_u32 v55, s0, s0, v3
	v_lshl_or_b32 v5, v39, 7, v5
	v_add_co_ci_u32_e64 v56, null, s5, 0, s0
	v_mov_b32_e32 v46, 0
	v_mov_b32_e32 v47, 0
	;; [unrolled: 1-line block ×3, first 2 shown]
	v_mul_f32_e32 v1, 0x4f7ffffe, v1
	v_mov_b32_e32 v49, 0
	v_mov_b32_e32 v50, 0
	;; [unrolled: 1-line block ×4, first 2 shown]
	v_cvt_u32_f32_e32 v1, v1
	v_mov_b32_e32 v52, 0
	v_add_nc_u32_e32 v57, 0xa0, v5
	v_mov_b32_e32 v59, v39
	v_mul_lo_u32 v2, s4, v1
	s_add_i32 s4, s16, -1
	s_add_u32 s0, s22, s14
	s_addc_u32 s5, s23, s15
	v_add_co_u32 v37, s0, s0, v4
	v_add_co_ci_u32_e64 v38, null, s5, 0, s0
	v_mul_hi_u32 v2, v1, v2
	s_mov_b32 s5, 0
	v_add_nc_u32_e32 v58, v1, v2
	s_branch .LBB36_35
.LBB36_33:                              ;   in Loop: Header=BB36_35 Depth=1
	s_or_b32 exec_lo, exec_lo, s0
	s_waitcnt vmcnt(1) lgkmcnt(0)
	v_mul_f32_e32 v29, v1, v29
	v_mul_f32_e32 v25, v1, v25
	;; [unrolled: 1-line block ×7, first 2 shown]
	s_waitcnt vmcnt(0)
	v_mul_f32_e32 v1, v1, v33
	v_fmac_f32_e32 v29, v2, v30
	v_fmac_f32_e32 v25, v2, v26
	;; [unrolled: 1-line block ×24, first 2 shown]
	v_add_f32_e32 v47, v47, v29
	v_add_f32_e32 v48, v48, v25
	;; [unrolled: 1-line block ×8, first 2 shown]
.LBB36_34:                              ;   in Loop: Header=BB36_35 Depth=1
	s_or_b32 exec_lo, exec_lo, s14
	v_add_nc_u32_e32 v59, 4, v59
	v_add_co_u32 v37, s0, v37, 16
	v_add_co_ci_u32_e64 v38, null, 0, v38, s0
	v_cmp_le_i32_e32 vcc_lo, s16, v59
	v_add_nc_u32_e32 v41, 0x80, v41
	v_add_nc_u32_e32 v57, 0x200, v57
	s_or_b32 s5, vcc_lo, s5
	s_andn2_b32 exec_lo, exec_lo, s5
	s_cbranch_execz .LBB36_52
.LBB36_35:                              ; =>This Inner Loop Header: Depth=1
	v_mul_hi_u32 v1, v41, s21
	v_mul_lo_u32 v2, v1, s12
	v_add_nc_u32_e32 v3, 1, v1
	v_sub_nc_u32_e32 v2, v41, v2
	v_subrev_nc_u32_e32 v4, s12, v2
	v_cmp_le_u32_e32 vcc_lo, s12, v2
	v_cndmask_b32_e32 v1, v1, v3, vcc_lo
	v_cndmask_b32_e32 v2, v2, v4, vcc_lo
	v_add_nc_u32_e32 v3, 1, v1
	v_cmp_le_u32_e32 vcc_lo, s12, v2
	v_cndmask_b32_e32 v1, v1, v3, vcc_lo
	v_xor_b32_e32 v1, s19, v1
	v_subrev_nc_u32_e32 v1, s19, v1
	v_add_nc_u32_e32 v2, s29, v1
	v_cmp_lt_i32_e64 s0, s2, v1
	v_sub_nc_u32_e32 v3, 0, v2
	v_max_i32_e32 v3, v2, v3
	v_ashrrev_i32_e32 v2, 31, v2
	v_mul_hi_u32 v4, v3, v58
	v_mul_lo_u32 v4, v4, s3
	v_sub_nc_u32_e32 v3, v3, v4
	v_subrev_nc_u32_e32 v4, s3, v3
	v_cmp_le_u32_e32 vcc_lo, s3, v3
	v_cndmask_b32_e32 v3, v3, v4, vcc_lo
	v_subrev_nc_u32_e32 v4, s3, v3
	v_cmp_le_u32_e32 vcc_lo, s3, v3
	v_cndmask_b32_e32 v3, v3, v4, vcc_lo
	v_xor_b32_e32 v3, v3, v2
	v_sub_nc_u32_e32 v2, v3, v2
	v_cmp_eq_u32_e32 vcc_lo, 0, v2
	s_or_b32 s0, vcc_lo, s0
	s_and_saveexec_b32 s14, s0
	s_cbranch_execz .LBB36_34
; %bb.36:                               ;   in Loop: Header=BB36_35 Depth=1
	global_load_dword v1, v[37:38], off
	v_add_nc_u32_e32 v60, v54, v41
	v_add_nc_u32_e32 v63, 1, v60
	;; [unrolled: 1-line block ×4, first 2 shown]
	s_waitcnt vmcnt(0)
	v_mad_i64_i32 v[1:2], null, v1, s13, 0
	v_lshlrev_b64 v[1:2], 2, v[1:2]
	v_add_co_u32 v21, vcc_lo, v55, v1
	v_add_co_ci_u32_e64 v22, null, v56, v2, vcc_lo
	ds_read_b128 v[1:4], v57
	v_cmp_eq_u32_e32 vcc_lo, s4, v59
	global_load_dwordx4 v[5:8], v[21:22], off
	s_and_saveexec_b32 s15, vcc_lo
	s_cbranch_execnz .LBB36_45
; %bb.37:                               ;   in Loop: Header=BB36_35 Depth=1
	s_or_b32 exec_lo, exec_lo, s15
	global_load_dwordx4 v[9:12], v[21:22], off offset:512
	s_and_saveexec_b32 s15, vcc_lo
	s_cbranch_execnz .LBB36_46
.LBB36_38:                              ;   in Loop: Header=BB36_35 Depth=1
	s_or_b32 exec_lo, exec_lo, s15
	global_load_dwordx4 v[13:16], v[21:22], off offset:1024
	s_and_saveexec_b32 s15, vcc_lo
	s_cbranch_execnz .LBB36_47
.LBB36_39:                              ;   in Loop: Header=BB36_35 Depth=1
	s_or_b32 exec_lo, exec_lo, s15
	global_load_dwordx4 v[17:20], v[21:22], off offset:1536
	s_and_saveexec_b32 s15, vcc_lo
	s_cbranch_execz .LBB36_41
.LBB36_40:                              ;   in Loop: Header=BB36_35 Depth=1
	v_cmp_gt_i32_e64 s0, s28, v60
	s_waitcnt vmcnt(0)
	v_cndmask_b32_e64 v17, 0, v17, s0
	v_cmp_gt_i32_e64 s0, s28, v63
	v_cndmask_b32_e64 v18, 0, v18, s0
	v_cmp_gt_i32_e64 s0, s28, v62
	;; [unrolled: 2-line block ×3, first 2 shown]
	v_cndmask_b32_e64 v20, 0, v20, s0
.LBB36_41:                              ;   in Loop: Header=BB36_35 Depth=1
	s_or_b32 exec_lo, exec_lo, s15
	v_add_co_u32 v33, s0, 0x800, v21
	v_add_co_ci_u32_e64 v34, null, 0, v22, s0
	global_load_dwordx4 v[21:24], v[33:34], off
	s_and_saveexec_b32 s15, vcc_lo
	s_cbranch_execnz .LBB36_48
; %bb.42:                               ;   in Loop: Header=BB36_35 Depth=1
	s_or_b32 exec_lo, exec_lo, s15
	global_load_dwordx4 v[25:28], v[33:34], off offset:512
	s_and_saveexec_b32 s15, vcc_lo
	s_cbranch_execnz .LBB36_49
.LBB36_43:                              ;   in Loop: Header=BB36_35 Depth=1
	s_or_b32 exec_lo, exec_lo, s15
	global_load_dwordx4 v[29:32], v[33:34], off offset:1024
	s_and_saveexec_b32 s15, vcc_lo
	s_cbranch_execnz .LBB36_50
.LBB36_44:                              ;   in Loop: Header=BB36_35 Depth=1
	s_or_b32 exec_lo, exec_lo, s15
	global_load_dwordx4 v[33:36], v[33:34], off offset:1536
	s_and_saveexec_b32 s0, vcc_lo
	s_cbranch_execz .LBB36_33
	s_branch .LBB36_51
.LBB36_45:                              ;   in Loop: Header=BB36_35 Depth=1
	v_cmp_gt_i32_e64 s0, s28, v60
	s_waitcnt vmcnt(0)
	v_cndmask_b32_e64 v5, 0, v5, s0
	v_cmp_gt_i32_e64 s0, s28, v63
	v_cndmask_b32_e64 v6, 0, v6, s0
	v_cmp_gt_i32_e64 s0, s28, v62
	;; [unrolled: 2-line block ×3, first 2 shown]
	v_cndmask_b32_e64 v8, 0, v8, s0
	s_or_b32 exec_lo, exec_lo, s15
	global_load_dwordx4 v[9:12], v[21:22], off offset:512
	s_and_saveexec_b32 s15, vcc_lo
	s_cbranch_execz .LBB36_38
.LBB36_46:                              ;   in Loop: Header=BB36_35 Depth=1
	v_cmp_gt_i32_e64 s0, s28, v60
	s_waitcnt vmcnt(0)
	v_cndmask_b32_e64 v9, 0, v9, s0
	v_cmp_gt_i32_e64 s0, s28, v63
	v_cndmask_b32_e64 v10, 0, v10, s0
	v_cmp_gt_i32_e64 s0, s28, v62
	;; [unrolled: 2-line block ×3, first 2 shown]
	v_cndmask_b32_e64 v12, 0, v12, s0
	s_or_b32 exec_lo, exec_lo, s15
	global_load_dwordx4 v[13:16], v[21:22], off offset:1024
	s_and_saveexec_b32 s15, vcc_lo
	s_cbranch_execz .LBB36_39
.LBB36_47:                              ;   in Loop: Header=BB36_35 Depth=1
	v_cmp_gt_i32_e64 s0, s28, v60
	s_waitcnt vmcnt(0)
	v_cndmask_b32_e64 v13, 0, v13, s0
	v_cmp_gt_i32_e64 s0, s28, v63
	v_cndmask_b32_e64 v14, 0, v14, s0
	v_cmp_gt_i32_e64 s0, s28, v62
	;; [unrolled: 2-line block ×3, first 2 shown]
	v_cndmask_b32_e64 v16, 0, v16, s0
	s_or_b32 exec_lo, exec_lo, s15
	global_load_dwordx4 v[17:20], v[21:22], off offset:1536
	s_and_saveexec_b32 s15, vcc_lo
	s_cbranch_execnz .LBB36_40
	s_branch .LBB36_41
.LBB36_48:                              ;   in Loop: Header=BB36_35 Depth=1
	v_cmp_gt_i32_e64 s0, s28, v60
	s_waitcnt vmcnt(0)
	v_cndmask_b32_e64 v21, 0, v21, s0
	v_cmp_gt_i32_e64 s0, s28, v63
	v_cndmask_b32_e64 v22, 0, v22, s0
	v_cmp_gt_i32_e64 s0, s28, v62
	;; [unrolled: 2-line block ×3, first 2 shown]
	v_cndmask_b32_e64 v24, 0, v24, s0
	s_or_b32 exec_lo, exec_lo, s15
	global_load_dwordx4 v[25:28], v[33:34], off offset:512
	s_and_saveexec_b32 s15, vcc_lo
	s_cbranch_execz .LBB36_43
.LBB36_49:                              ;   in Loop: Header=BB36_35 Depth=1
	v_cmp_gt_i32_e64 s0, s28, v60
	s_waitcnt vmcnt(0)
	v_cndmask_b32_e64 v25, 0, v25, s0
	v_cmp_gt_i32_e64 s0, s28, v63
	v_cndmask_b32_e64 v26, 0, v26, s0
	v_cmp_gt_i32_e64 s0, s28, v62
	v_cndmask_b32_e64 v27, 0, v27, s0
	v_cmp_gt_i32_e64 s0, s28, v61
	v_cndmask_b32_e64 v28, 0, v28, s0
	s_or_b32 exec_lo, exec_lo, s15
	global_load_dwordx4 v[29:32], v[33:34], off offset:1024
	s_and_saveexec_b32 s15, vcc_lo
	s_cbranch_execz .LBB36_44
.LBB36_50:                              ;   in Loop: Header=BB36_35 Depth=1
	v_cmp_gt_i32_e64 s0, s28, v60
	s_waitcnt vmcnt(0)
	v_cndmask_b32_e64 v29, 0, v29, s0
	v_cmp_gt_i32_e64 s0, s28, v63
	v_cndmask_b32_e64 v30, 0, v30, s0
	v_cmp_gt_i32_e64 s0, s28, v62
	;; [unrolled: 2-line block ×3, first 2 shown]
	v_cndmask_b32_e64 v32, 0, v32, s0
	s_or_b32 exec_lo, exec_lo, s15
	global_load_dwordx4 v[33:36], v[33:34], off offset:1536
	s_and_saveexec_b32 s0, vcc_lo
	s_cbranch_execz .LBB36_33
.LBB36_51:                              ;   in Loop: Header=BB36_35 Depth=1
	v_cmp_gt_i32_e32 vcc_lo, s28, v60
	s_waitcnt vmcnt(0)
	v_cndmask_b32_e32 v33, 0, v33, vcc_lo
	v_cmp_gt_i32_e32 vcc_lo, s28, v63
	v_cndmask_b32_e32 v34, 0, v34, vcc_lo
	v_cmp_gt_i32_e32 vcc_lo, s28, v62
	;; [unrolled: 2-line block ×3, first 2 shown]
	v_cndmask_b32_e32 v36, 0, v36, vcc_lo
	s_branch .LBB36_33
.LBB36_52:
	s_or_b32 exec_lo, exec_lo, s5
.LBB36_53:
	s_or_b32 exec_lo, exec_lo, s1
	ds_bpermute_b32 v1, v44, v52
	ds_bpermute_b32 v2, v44, v53
	;; [unrolled: 1-line block ×8, first 2 shown]
	v_and_b32_e32 v19, 0x3c7, v0
	s_mov_b32 s0, exec_lo
	s_waitcnt lgkmcnt(0)
	s_barrier
	buffer_gl0_inv
	v_add_f32_e32 v1, v52, v1
	v_add_f32_e32 v2, v53, v2
	;; [unrolled: 1-line block ×8, first 2 shown]
	ds_bpermute_b32 v9, v43, v1
	ds_bpermute_b32 v10, v43, v2
	;; [unrolled: 1-line block ×8, first 2 shown]
	s_waitcnt lgkmcnt(7)
	v_add_f32_e32 v1, v1, v9
	s_waitcnt lgkmcnt(6)
	v_add_f32_e32 v2, v2, v10
	;; [unrolled: 2-line block ×8, first 2 shown]
	ds_bpermute_b32 v11, v42, v1
	ds_bpermute_b32 v12, v42, v2
	;; [unrolled: 1-line block ×8, first 2 shown]
	v_lshrrev_b32_e32 v9, 3, v40
	v_lshl_add_u32 v10, v9, 2, 0xa0
	s_waitcnt lgkmcnt(7)
	v_add_f32_e32 v1, v1, v11
	s_waitcnt lgkmcnt(6)
	v_add_f32_e32 v2, v2, v12
	;; [unrolled: 2-line block ×8, first 2 shown]
	v_cmpx_eq_u32_e32 64, v19
	s_cbranch_execz .LBB36_55
; %bb.54:
	v_lshl_add_u32 v11, v39, 7, v10
	v_add_nc_u32_e32 v12, 0xffffff00, v11
	v_add_nc_u32_e32 v15, 0xffffff30, v11
	;; [unrolled: 1-line block ×8, first 2 shown]
	ds_write_b32 v12, v1
	ds_write_b32 v13, v2
	;; [unrolled: 1-line block ×8, first 2 shown]
.LBB36_55:
	s_or_b32 exec_lo, exec_lo, s0
	v_and_b32_e32 v11, 0x3e0, v0
	v_lshlrev_b32_e32 v9, 2, v9
	s_mov_b32 s1, exec_lo
	v_cmp_eq_u32_e32 vcc_lo, 0, v45
	s_waitcnt lgkmcnt(0)
	v_lshlrev_b32_e32 v11, 2, v11
	s_barrier
	buffer_gl0_inv
	v_add3_u32 v9, 0xa0, v11, v9
	v_cmpx_gt_u32_e32 64, v0
	s_cbranch_execz .LBB36_66
; %bb.56:
	s_and_saveexec_b32 s0, vcc_lo
	s_cbranch_execnz .LBB36_82
; %bb.57:
	s_or_b32 exec_lo, exec_lo, s0
	s_and_saveexec_b32 s0, vcc_lo
	s_cbranch_execnz .LBB36_83
.LBB36_58:
	s_or_b32 exec_lo, exec_lo, s0
	s_and_saveexec_b32 s0, vcc_lo
	s_cbranch_execnz .LBB36_84
.LBB36_59:
	s_or_b32 exec_lo, exec_lo, s0
	s_and_saveexec_b32 s0, vcc_lo
	s_cbranch_execnz .LBB36_85
.LBB36_60:
	s_or_b32 exec_lo, exec_lo, s0
	s_and_saveexec_b32 s0, vcc_lo
	s_cbranch_execnz .LBB36_86
.LBB36_61:
	s_or_b32 exec_lo, exec_lo, s0
	s_and_saveexec_b32 s0, vcc_lo
	s_cbranch_execnz .LBB36_87
.LBB36_62:
	s_or_b32 exec_lo, exec_lo, s0
	s_and_saveexec_b32 s0, vcc_lo
	s_cbranch_execnz .LBB36_88
.LBB36_63:
	s_or_b32 exec_lo, exec_lo, s0
	s_and_saveexec_b32 s0, vcc_lo
	s_cbranch_execz .LBB36_65
.LBB36_64:
	ds_read_b32 v11, v9 offset:112
	s_waitcnt lgkmcnt(0)
	v_add_f32_e32 v8, v8, v11
.LBB36_65:
	s_or_b32 exec_lo, exec_lo, s0
.LBB36_66:
	s_or_b32 exec_lo, exec_lo, s1
	v_and_b32_e32 v11, 0x3e7, v0
	s_mov_b32 s1, exec_lo
	s_barrier
	buffer_gl0_inv
	v_cmpx_eq_u32_e32 32, v11
	s_cbranch_execz .LBB36_68
; %bb.67:
	ds_write2_b32 v10, v1, v2 offset1:4
	ds_write2_b32 v10, v3, v4 offset0:8 offset1:12
	ds_write2_b32 v10, v5, v6 offset0:16 offset1:20
	;; [unrolled: 1-line block ×3, first 2 shown]
.LBB36_68:
	s_or_b32 exec_lo, exec_lo, s1
	s_mov_b32 s1, exec_lo
	s_waitcnt lgkmcnt(0)
	s_barrier
	buffer_gl0_inv
	v_cmpx_gt_u32_e32 32, v0
	s_cbranch_execz .LBB36_79
; %bb.69:
	s_and_saveexec_b32 s0, vcc_lo
	s_cbranch_execnz .LBB36_89
; %bb.70:
	s_or_b32 exec_lo, exec_lo, s0
	s_and_saveexec_b32 s0, vcc_lo
	s_cbranch_execnz .LBB36_90
.LBB36_71:
	s_or_b32 exec_lo, exec_lo, s0
	s_and_saveexec_b32 s0, vcc_lo
	s_cbranch_execnz .LBB36_91
.LBB36_72:
	s_or_b32 exec_lo, exec_lo, s0
	s_and_saveexec_b32 s0, vcc_lo
	s_cbranch_execnz .LBB36_92
.LBB36_73:
	s_or_b32 exec_lo, exec_lo, s0
	s_and_saveexec_b32 s0, vcc_lo
	s_cbranch_execnz .LBB36_93
.LBB36_74:
	s_or_b32 exec_lo, exec_lo, s0
	s_and_saveexec_b32 s0, vcc_lo
	s_cbranch_execnz .LBB36_94
.LBB36_75:
	s_or_b32 exec_lo, exec_lo, s0
	s_and_saveexec_b32 s0, vcc_lo
	s_cbranch_execnz .LBB36_95
.LBB36_76:
	s_or_b32 exec_lo, exec_lo, s0
	s_and_saveexec_b32 s0, vcc_lo
	s_cbranch_execz .LBB36_78
.LBB36_77:
	ds_read_b32 v9, v9 offset:112
	s_waitcnt lgkmcnt(0)
	v_add_f32_e32 v8, v8, v9
.LBB36_78:
	s_or_b32 exec_lo, exec_lo, s0
.LBB36_79:
	s_or_b32 exec_lo, exec_lo, s1
	s_barrier
	buffer_gl0_inv
	s_mov_b32 s0, exec_lo
	v_cmpx_eq_u32_e32 0, v11
	s_cbranch_execz .LBB36_81
; %bb.80:
	s_mul_i32 s0, s10, s11
	s_mul_i32 s2, s11, s20
	;; [unrolled: 1-line block ×3, first 2 shown]
	v_lshrrev_b32_e32 v0, 1, v0
	s_lshl_b32 s0, s0, 5
	s_ashr_i32 s1, s0, 31
	s_lshl_b64 s[0:1], s[0:1], 2
	s_add_u32 s4, s6, s0
	s_addc_u32 s5, s7, s1
	s_ashr_i32 s3, s2, 31
	s_lshl_b64 s[0:1], s[2:3], 2
	s_add_u32 s2, s4, s0
	s_addc_u32 s3, s5, s1
	s_lshl_b32 s0, s8, 5
	s_ashr_i32 s1, s0, 31
	s_lshl_b64 s[0:1], s[0:1], 2
	s_add_u32 s0, s2, s0
	s_addc_u32 s1, s3, s1
	global_store_dword v0, v1, s[0:1]
	global_store_dword v0, v2, s[0:1] offset:16
	global_store_dword v0, v3, s[0:1] offset:32
	;; [unrolled: 1-line block ×7, first 2 shown]
.LBB36_81:
	s_endpgm
.LBB36_82:
	ds_read_b32 v11, v9
	s_waitcnt lgkmcnt(0)
	v_add_f32_e32 v1, v1, v11
	s_or_b32 exec_lo, exec_lo, s0
	s_and_saveexec_b32 s0, vcc_lo
	s_cbranch_execz .LBB36_58
.LBB36_83:
	ds_read_b32 v11, v9 offset:16
	s_waitcnt lgkmcnt(0)
	v_add_f32_e32 v2, v2, v11
	s_or_b32 exec_lo, exec_lo, s0
	s_and_saveexec_b32 s0, vcc_lo
	s_cbranch_execz .LBB36_59
.LBB36_84:
	ds_read_b32 v11, v9 offset:32
	s_waitcnt lgkmcnt(0)
	v_add_f32_e32 v3, v3, v11
	s_or_b32 exec_lo, exec_lo, s0
	s_and_saveexec_b32 s0, vcc_lo
	s_cbranch_execz .LBB36_60
.LBB36_85:
	ds_read_b32 v11, v9 offset:48
	s_waitcnt lgkmcnt(0)
	v_add_f32_e32 v4, v4, v11
	s_or_b32 exec_lo, exec_lo, s0
	s_and_saveexec_b32 s0, vcc_lo
	s_cbranch_execz .LBB36_61
.LBB36_86:
	ds_read_b32 v11, v9 offset:64
	s_waitcnt lgkmcnt(0)
	v_add_f32_e32 v5, v5, v11
	s_or_b32 exec_lo, exec_lo, s0
	s_and_saveexec_b32 s0, vcc_lo
	s_cbranch_execz .LBB36_62
.LBB36_87:
	ds_read_b32 v11, v9 offset:80
	s_waitcnt lgkmcnt(0)
	v_add_f32_e32 v6, v6, v11
	s_or_b32 exec_lo, exec_lo, s0
	s_and_saveexec_b32 s0, vcc_lo
	s_cbranch_execz .LBB36_63
.LBB36_88:
	ds_read_b32 v11, v9 offset:96
	s_waitcnt lgkmcnt(0)
	v_add_f32_e32 v7, v7, v11
	s_or_b32 exec_lo, exec_lo, s0
	s_and_saveexec_b32 s0, vcc_lo
	s_cbranch_execnz .LBB36_64
	s_branch .LBB36_65
.LBB36_89:
	ds_read_b32 v10, v9
	s_waitcnt lgkmcnt(0)
	v_add_f32_e32 v1, v1, v10
	s_or_b32 exec_lo, exec_lo, s0
	s_and_saveexec_b32 s0, vcc_lo
	s_cbranch_execz .LBB36_71
.LBB36_90:
	ds_read_b32 v10, v9 offset:16
	s_waitcnt lgkmcnt(0)
	v_add_f32_e32 v2, v2, v10
	s_or_b32 exec_lo, exec_lo, s0
	s_and_saveexec_b32 s0, vcc_lo
	s_cbranch_execz .LBB36_72
.LBB36_91:
	ds_read_b32 v10, v9 offset:32
	s_waitcnt lgkmcnt(0)
	v_add_f32_e32 v3, v3, v10
	s_or_b32 exec_lo, exec_lo, s0
	s_and_saveexec_b32 s0, vcc_lo
	s_cbranch_execz .LBB36_73
.LBB36_92:
	ds_read_b32 v10, v9 offset:48
	s_waitcnt lgkmcnt(0)
	v_add_f32_e32 v4, v4, v10
	s_or_b32 exec_lo, exec_lo, s0
	s_and_saveexec_b32 s0, vcc_lo
	s_cbranch_execz .LBB36_74
.LBB36_93:
	ds_read_b32 v10, v9 offset:64
	s_waitcnt lgkmcnt(0)
	v_add_f32_e32 v5, v5, v10
	s_or_b32 exec_lo, exec_lo, s0
	s_and_saveexec_b32 s0, vcc_lo
	s_cbranch_execz .LBB36_75
.LBB36_94:
	ds_read_b32 v10, v9 offset:80
	s_waitcnt lgkmcnt(0)
	v_add_f32_e32 v6, v6, v10
	s_or_b32 exec_lo, exec_lo, s0
	s_and_saveexec_b32 s0, vcc_lo
	s_cbranch_execz .LBB36_76
.LBB36_95:
	ds_read_b32 v10, v9 offset:96
	s_waitcnt lgkmcnt(0)
	v_add_f32_e32 v7, v7, v10
	s_or_b32 exec_lo, exec_lo, s0
	s_and_saveexec_b32 s0, vcc_lo
	s_cbranch_execnz .LBB36_77
	s_branch .LBB36_78
	.section	.rodata,"a",@progbits
	.p2align	6, 0x0
	.amdhsa_kernel _ZN4vllm25paged_attention_v1_kernelIffLi32ELi32ELi128ELNS_18Fp8KVCacheDataTypeE0ELb1EEEvPT_PKS2_PKT0_S8_ifPKiSA_iPKfiiiSC_SC_iiiii
		.amdhsa_group_segment_fixed_size 160
		.amdhsa_private_segment_fixed_size 0
		.amdhsa_kernarg_size 384
		.amdhsa_user_sgpr_count 6
		.amdhsa_user_sgpr_private_segment_buffer 1
		.amdhsa_user_sgpr_dispatch_ptr 0
		.amdhsa_user_sgpr_queue_ptr 0
		.amdhsa_user_sgpr_kernarg_segment_ptr 1
		.amdhsa_user_sgpr_dispatch_id 0
		.amdhsa_user_sgpr_flat_scratch_init 0
		.amdhsa_user_sgpr_private_segment_size 0
		.amdhsa_wavefront_size32 1
		.amdhsa_uses_dynamic_stack 0
		.amdhsa_system_sgpr_private_segment_wavefront_offset 0
		.amdhsa_system_sgpr_workgroup_id_x 1
		.amdhsa_system_sgpr_workgroup_id_y 1
		.amdhsa_system_sgpr_workgroup_id_z 1
		.amdhsa_system_sgpr_workgroup_info 0
		.amdhsa_system_vgpr_workitem_id 0
		.amdhsa_next_free_vgpr 70
		.amdhsa_next_free_sgpr 38
		.amdhsa_reserve_vcc 1
		.amdhsa_reserve_flat_scratch 0
		.amdhsa_float_round_mode_32 0
		.amdhsa_float_round_mode_16_64 0
		.amdhsa_float_denorm_mode_32 3
		.amdhsa_float_denorm_mode_16_64 3
		.amdhsa_dx10_clamp 1
		.amdhsa_ieee_mode 1
		.amdhsa_fp16_overflow 0
		.amdhsa_workgroup_processor_mode 1
		.amdhsa_memory_ordered 1
		.amdhsa_forward_progress 1
		.amdhsa_shared_vgpr_count 0
		.amdhsa_exception_fp_ieee_invalid_op 0
		.amdhsa_exception_fp_denorm_src 0
		.amdhsa_exception_fp_ieee_div_zero 0
		.amdhsa_exception_fp_ieee_overflow 0
		.amdhsa_exception_fp_ieee_underflow 0
		.amdhsa_exception_fp_ieee_inexact 0
		.amdhsa_exception_int_div_zero 0
	.end_amdhsa_kernel
	.section	.text._ZN4vllm25paged_attention_v1_kernelIffLi32ELi32ELi128ELNS_18Fp8KVCacheDataTypeE0ELb1EEEvPT_PKS2_PKT0_S8_ifPKiSA_iPKfiiiSC_SC_iiiii,"axG",@progbits,_ZN4vllm25paged_attention_v1_kernelIffLi32ELi32ELi128ELNS_18Fp8KVCacheDataTypeE0ELb1EEEvPT_PKS2_PKT0_S8_ifPKiSA_iPKfiiiSC_SC_iiiii,comdat
.Lfunc_end36:
	.size	_ZN4vllm25paged_attention_v1_kernelIffLi32ELi32ELi128ELNS_18Fp8KVCacheDataTypeE0ELb1EEEvPT_PKS2_PKT0_S8_ifPKiSA_iPKfiiiSC_SC_iiiii, .Lfunc_end36-_ZN4vllm25paged_attention_v1_kernelIffLi32ELi32ELi128ELNS_18Fp8KVCacheDataTypeE0ELb1EEEvPT_PKS2_PKT0_S8_ifPKiSA_iPKfiiiSC_SC_iiiii
                                        ; -- End function
	.set _ZN4vllm25paged_attention_v1_kernelIffLi32ELi32ELi128ELNS_18Fp8KVCacheDataTypeE0ELb1EEEvPT_PKS2_PKT0_S8_ifPKiSA_iPKfiiiSC_SC_iiiii.num_vgpr, 70
	.set _ZN4vllm25paged_attention_v1_kernelIffLi32ELi32ELi128ELNS_18Fp8KVCacheDataTypeE0ELb1EEEvPT_PKS2_PKT0_S8_ifPKiSA_iPKfiiiSC_SC_iiiii.num_agpr, 0
	.set _ZN4vllm25paged_attention_v1_kernelIffLi32ELi32ELi128ELNS_18Fp8KVCacheDataTypeE0ELb1EEEvPT_PKS2_PKT0_S8_ifPKiSA_iPKfiiiSC_SC_iiiii.numbered_sgpr, 38
	.set _ZN4vllm25paged_attention_v1_kernelIffLi32ELi32ELi128ELNS_18Fp8KVCacheDataTypeE0ELb1EEEvPT_PKS2_PKT0_S8_ifPKiSA_iPKfiiiSC_SC_iiiii.num_named_barrier, 0
	.set _ZN4vllm25paged_attention_v1_kernelIffLi32ELi32ELi128ELNS_18Fp8KVCacheDataTypeE0ELb1EEEvPT_PKS2_PKT0_S8_ifPKiSA_iPKfiiiSC_SC_iiiii.private_seg_size, 0
	.set _ZN4vllm25paged_attention_v1_kernelIffLi32ELi32ELi128ELNS_18Fp8KVCacheDataTypeE0ELb1EEEvPT_PKS2_PKT0_S8_ifPKiSA_iPKfiiiSC_SC_iiiii.uses_vcc, 1
	.set _ZN4vllm25paged_attention_v1_kernelIffLi32ELi32ELi128ELNS_18Fp8KVCacheDataTypeE0ELb1EEEvPT_PKS2_PKT0_S8_ifPKiSA_iPKfiiiSC_SC_iiiii.uses_flat_scratch, 0
	.set _ZN4vllm25paged_attention_v1_kernelIffLi32ELi32ELi128ELNS_18Fp8KVCacheDataTypeE0ELb1EEEvPT_PKS2_PKT0_S8_ifPKiSA_iPKfiiiSC_SC_iiiii.has_dyn_sized_stack, 0
	.set _ZN4vllm25paged_attention_v1_kernelIffLi32ELi32ELi128ELNS_18Fp8KVCacheDataTypeE0ELb1EEEvPT_PKS2_PKT0_S8_ifPKiSA_iPKfiiiSC_SC_iiiii.has_recursion, 0
	.set _ZN4vllm25paged_attention_v1_kernelIffLi32ELi32ELi128ELNS_18Fp8KVCacheDataTypeE0ELb1EEEvPT_PKS2_PKT0_S8_ifPKiSA_iPKfiiiSC_SC_iiiii.has_indirect_call, 0
	.section	.AMDGPU.csdata,"",@progbits
; Kernel info:
; codeLenInByte = 5572
; TotalNumSgprs: 40
; NumVgprs: 70
; ScratchSize: 0
; MemoryBound: 0
; FloatMode: 240
; IeeeMode: 1
; LDSByteSize: 160 bytes/workgroup (compile time only)
; SGPRBlocks: 0
; VGPRBlocks: 8
; NumSGPRsForWavesPerEU: 40
; NumVGPRsForWavesPerEU: 70
; Occupancy: 12
; WaveLimiterHint : 1
; COMPUTE_PGM_RSRC2:SCRATCH_EN: 0
; COMPUTE_PGM_RSRC2:USER_SGPR: 6
; COMPUTE_PGM_RSRC2:TRAP_HANDLER: 0
; COMPUTE_PGM_RSRC2:TGID_X_EN: 1
; COMPUTE_PGM_RSRC2:TGID_Y_EN: 1
; COMPUTE_PGM_RSRC2:TGID_Z_EN: 1
; COMPUTE_PGM_RSRC2:TIDIG_COMP_CNT: 0
	.section	.text._ZN4vllm25paged_attention_v1_kernelIffLi64ELi32ELi128ELNS_18Fp8KVCacheDataTypeE0ELb1EEEvPT_PKS2_PKT0_S8_ifPKiSA_iPKfiiiSC_SC_iiiii,"axG",@progbits,_ZN4vllm25paged_attention_v1_kernelIffLi64ELi32ELi128ELNS_18Fp8KVCacheDataTypeE0ELb1EEEvPT_PKS2_PKT0_S8_ifPKiSA_iPKfiiiSC_SC_iiiii,comdat
	.protected	_ZN4vllm25paged_attention_v1_kernelIffLi64ELi32ELi128ELNS_18Fp8KVCacheDataTypeE0ELb1EEEvPT_PKS2_PKT0_S8_ifPKiSA_iPKfiiiSC_SC_iiiii ; -- Begin function _ZN4vllm25paged_attention_v1_kernelIffLi64ELi32ELi128ELNS_18Fp8KVCacheDataTypeE0ELb1EEEvPT_PKS2_PKT0_S8_ifPKiSA_iPKfiiiSC_SC_iiiii
	.globl	_ZN4vllm25paged_attention_v1_kernelIffLi64ELi32ELi128ELNS_18Fp8KVCacheDataTypeE0ELb1EEEvPT_PKS2_PKT0_S8_ifPKiSA_iPKfiiiSC_SC_iiiii
	.p2align	8
	.type	_ZN4vllm25paged_attention_v1_kernelIffLi64ELi32ELi128ELNS_18Fp8KVCacheDataTypeE0ELb1EEEvPT_PKS2_PKT0_S8_ifPKiSA_iPKfiiiSC_SC_iiiii,@function
_ZN4vllm25paged_attention_v1_kernelIffLi64ELi32ELi128ELNS_18Fp8KVCacheDataTypeE0ELb1EEEvPT_PKS2_PKT0_S8_ifPKiSA_iPKfiiiSC_SC_iiiii: ; @_ZN4vllm25paged_attention_v1_kernelIffLi64ELi32ELi128ELNS_18Fp8KVCacheDataTypeE0ELb1EEEvPT_PKS2_PKT0_S8_ifPKiSA_iPKfiiiSC_SC_iiiii
; %bb.0:
	s_clause 0x2
	s_load_dword s9, s[4:5], 0x80
	s_load_dwordx2 s[0:1], s[4:5], 0x30
	s_load_dwordx2 s[2:3], s[4:5], 0x20
	s_mov_b32 s10, s7
	s_ashr_i32 s11, s7, 31
	s_mov_b32 s31, 0
	s_lshl_b64 s[12:13], s[10:11], 2
	s_waitcnt lgkmcnt(0)
	s_add_u32 s0, s0, s12
	s_addc_u32 s1, s1, s13
	s_abs_i32 s7, s2
	s_abs_i32 s13, s9
	v_cvt_f32_u32_e32 v1, s7
	s_sub_i32 s12, 0, s7
	v_rcp_iflag_f32_e32 v1, v1
	v_mul_f32_e32 v1, 0x4f7ffffe, v1
	v_cvt_u32_f32_e32 v1, v1
	v_readfirstlane_b32 s11, v1
	s_mul_i32 s12, s12, s11
	s_mul_hi_u32 s12, s11, s12
	s_add_i32 s11, s11, s12
	s_xor_b32 s12, s9, s2
	s_mul_hi_u32 s11, s13, s11
	s_ashr_i32 s12, s12, 31
	s_mul_i32 s14, s11, s7
	s_sub_i32 s13, s13, s14
	s_add_i32 s14, s11, 1
	s_sub_i32 s15, s13, s7
	s_cmp_ge_u32 s13, s7
	s_cselect_b32 s11, s14, s11
	s_cselect_b32 s13, s15, s13
	s_add_i32 s14, s11, 1
	s_cmp_ge_u32 s13, s7
	s_cselect_b32 s7, s14, s11
	s_abs_i32 s22, s6
	s_xor_b32 s7, s7, s12
	s_sub_i32 s16, s7, s12
	s_load_dwordx2 s[12:13], s[4:5], 0x40
	s_abs_i32 s11, s16
	v_cvt_f32_u32_e32 v1, s11
	s_sub_i32 s14, 0, s11
	v_rcp_iflag_f32_e32 v1, v1
	v_mul_f32_e32 v1, 0x4f7ffffe, v1
	v_cvt_u32_f32_e32 v1, v1
	v_readfirstlane_b32 s7, v1
	s_mul_i32 s14, s14, s7
	s_mul_hi_u32 s14, s7, s14
	s_add_i32 s7, s7, s14
	s_waitcnt lgkmcnt(0)
	s_cmp_eq_u64 s[12:13], 0
	s_mul_hi_u32 s23, s22, s7
	s_cbranch_scc1 .LBB37_2
; %bb.1:
	s_ashr_i32 s7, s6, 31
	s_lshl_b64 s[14:15], s[6:7], 2
	s_add_u32 s12, s12, s14
	s_addc_u32 s13, s13, s15
	s_load_dword s31, s[12:13], 0x0
.LBB37_2:
	s_load_dword s28, s[0:1], 0x0
	s_load_dwordx4 s[12:15], s[4:5], 0x48
	v_lshlrev_b32_e32 v67, 4, v0
	s_ashr_i32 s0, s6, 31
	s_ashr_i32 s1, s16, 31
	s_lshl_b32 s20, s6, 6
	s_mov_b32 s7, exec_lo
	v_cmpx_gt_u32_e32 16, v0
	s_cbranch_execz .LBB37_4
; %bb.3:
	s_load_dwordx2 s[16:17], s[4:5], 0x8
	s_waitcnt lgkmcnt(0)
	s_mul_i32 s18, s12, s10
	s_ashr_i32 s19, s18, 31
	s_lshl_b64 s[18:19], s[18:19], 2
	s_add_u32 s12, s16, s18
	s_addc_u32 s15, s17, s19
	s_ashr_i32 s21, s20, 31
	s_lshl_b64 s[16:17], s[20:21], 2
	s_add_u32 s16, s12, s16
	s_addc_u32 s17, s15, s17
	global_load_dwordx4 v[1:4], v67, s[16:17]
	s_waitcnt vmcnt(0)
	ds_write_b128 v67, v[1:4]
.LBB37_4:
	s_or_b32 exec_lo, exec_lo, s7
	s_load_dwordx4 s[16:19], s[4:5], 0x68
	s_mul_i32 s7, s23, s11
	s_xor_b32 s1, s0, s1
	s_sub_i32 s0, s22, s7
	s_add_i32 s7, s23, 1
	s_waitcnt lgkmcnt(0)
	s_sub_i32 s12, s0, s11
	s_cmp_ge_u32 s0, s11
	s_mov_b32 s24, -1
	s_cselect_b32 s7, s7, s23
	s_cselect_b32 s0, s12, s0
	s_add_i32 s12, s7, 1
	s_cmp_ge_u32 s0, s11
	s_load_dword s0, s[4:5], 0x78
	s_cselect_b32 s7, s12, s7
	s_add_i32 s11, s28, -1
	s_xor_b32 s7, s7, s1
	s_waitcnt lgkmcnt(0)
	s_sub_i32 s1, s7, s1
	s_barrier
	buffer_gl0_inv
	s_abs_i32 s12, s19
                                        ; implicit-def: $sgpr29
	v_cvt_f32_u32_e32 v1, s12
	s_sub_i32 s7, 0, s12
	v_rcp_iflag_f32_e32 v1, v1
	v_mul_f32_e32 v1, 0x4f7ffffe, v1
	v_cvt_u32_f32_e32 v1, v1
	v_readfirstlane_b32 s21, v1
	s_mul_i32 s7, s7, s21
	s_mul_hi_u32 s15, s21, s7
	s_abs_i32 s7, s11
	s_add_i32 s21, s21, s15
	s_cmp_lt_i32 s0, 0
	s_mul_hi_u32 s15, s7, s21
	s_cbranch_scc0 .LBB37_6
; %bb.5:
	s_mul_i32 s2, s16, s2
	s_mov_b32 s24, 0
	s_add_i32 s2, s1, s2
	s_mul_i32 s2, s2, s0
	s_sub_i32 s29, 1, s2
.LBB37_6:
	s_load_dwordx2 s[22:23], s[4:5], 0x28
	s_ashr_i32 s2, s11, 31
	s_andn2_b32 vcc_lo, exec_lo, s24
	s_ashr_i32 s19, s19, 31
	s_cbranch_vccnz .LBB37_8
; %bb.7:
	s_mul_i32 s11, s9, s16
	s_add_i32 s6, s11, s6
	s_mul_i32 s0, s6, s0
	s_add_i32 s29, s0, 1
.LBB37_8:
	s_load_dword s0, s[4:5], 0x38
	s_mul_i32 s6, s15, s12
	s_xor_b32 s2, s2, s19
	s_sub_i32 s30, s7, s6
	s_add_i32 s16, s15, 1
	s_clause 0x2
	s_load_dwordx2 s[6:7], s[4:5], 0x0
	s_load_dwordx2 s[26:27], s[4:5], 0x18
	s_load_dword s11, s[4:5], 0x88
	v_lshrrev_b32_e32 v71, 5, v0
	v_and_b32_e32 v72, 31, v0
	v_mov_b32_e32 v70, 0xff7fffff
	v_lshrrev_b32_e32 v68, 3, v0
	s_mul_i32 s14, s1, s14
	v_lshlrev_b32_e32 v73, 5, v71
	v_lshlrev_b32_e32 v69, 2, v72
	s_waitcnt lgkmcnt(0)
	s_mul_i32 s24, s0, s10
	s_sub_i32 s0, s30, s12
	s_ashr_i32 s25, s24, 31
	s_cmp_ge_u32 s30, s12
	s_cselect_b32 s15, s16, s15
	s_cselect_b32 s0, s0, s30
	s_add_i32 s16, s15, 1
	s_cmp_ge_u32 s0, s12
	s_cselect_b32 s0, s16, s15
	s_add_i32 s15, s28, 31
	s_ashr_i32 s16, s15, 31
	s_lshr_b32 s16, s16, 27
	s_add_i32 s15, s15, s16
	s_ashr_i32 s16, s15, 5
	s_xor_b32 s15, s0, s2
	v_cmp_gt_i32_e64 s0, s16, v71
	s_sub_i32 s30, s15, s2
	s_and_saveexec_b32 s33, s0
	s_cbranch_execz .LBB37_16
; %bb.9:
	s_load_dwordx2 s[34:35], s[4:5], 0x10
	s_ashr_i32 s15, s14, 31
	s_sub_i32 s4, s30, s17
	s_lshl_b64 s[36:37], s[14:15], 2
	v_mov_b32_e32 v61, 0
	v_lshlrev_b32_e32 v65, 4, v72
	v_and_b32_e32 v66, 0x7c, v68
	v_subrev_nc_u32_e32 v77, s28, v72
	v_lshl_or_b32 v78, v71, 7, v69
	v_cmp_neq_f32_e64 vcc_lo, s31, 0
	v_lshlrev_b32_e32 v74, 5, v71
	v_mov_b32_e32 v75, 0xff7fffff
	v_mov_b32_e32 v70, 0xff7fffff
	;; [unrolled: 1-line block ×3, first 2 shown]
	v_add_nc_u32_e32 v77, 1, v77
	v_add_nc_u32_e32 v78, 0x120, v78
	s_waitcnt lgkmcnt(0)
	s_add_u32 s1, s34, s36
	s_addc_u32 s2, s35, s37
	s_abs_i32 s5, s18
	s_lshl_b64 s[34:35], s[24:25], 2
	v_cvt_f32_u32_e32 v1, s5
	s_sub_i32 s15, 0, s5
	v_rcp_iflag_f32_e32 v17, v1
	ds_read_b128 v[1:4], v61
	ds_read_b128 v[5:8], v61 offset:16
	ds_read_b128 v[9:12], v61 offset:32
	;; [unrolled: 1-line block ×3, first 2 shown]
	v_mul_f32_e32 v33, 0x4f7ffffe, v17
	ds_read_b128 v[17:20], v61 offset:64
	ds_read_b128 v[21:24], v61 offset:80
	;; [unrolled: 1-line block ×4, first 2 shown]
	v_cvt_u32_f32_e32 v81, v33
	ds_read_b128 v[33:36], v61 offset:128
	ds_read_b128 v[37:40], v61 offset:144
	;; [unrolled: 1-line block ×8, first 2 shown]
	v_mul_lo_u32 v79, s15, v81
	s_mov_b32 s15, 0
	v_mul_hi_u32 v82, v81, v79
	v_add_co_u32 v79, s1, s1, v65
	v_add_co_ci_u32_e64 v80, null, s2, 0, s1
	s_add_u32 s1, s22, s34
	s_addc_u32 s2, s23, s35
	v_add_co_u32 v65, s1, s1, v66
	v_add_co_ci_u32_e64 v66, null, s2, 0, s1
	v_add_nc_u32_e32 v81, v81, v82
	s_mov_b32 s34, s13
	s_branch .LBB37_11
.LBB37_10:                              ;   in Loop: Header=BB37_11 Depth=1
	s_or_b32 exec_lo, exec_lo, s2
	v_add_nc_u32_e32 v76, 4, v76
	v_add_co_u32 v65, s2, v65, 16
	v_add_co_ci_u32_e64 v66, null, 0, v66, s2
	v_cmp_le_i32_e64 s1, s16, v76
	v_add_nc_u32_e32 v74, 0x80, v74
	v_add_nc_u32_e32 v78, 0x200, v78
	s_or_b32 s15, s1, s15
	s_andn2_b32 exec_lo, exec_lo, s15
	s_cbranch_execz .LBB37_15
.LBB37_11:                              ; =>This Inner Loop Header: Depth=1
	v_mul_hi_u32 v82, v74, s21
	v_mul_lo_u32 v83, v82, s12
	v_add_nc_u32_e32 v84, 1, v82
	v_sub_nc_u32_e32 v83, v74, v83
	v_subrev_nc_u32_e32 v85, s12, v83
	v_cmp_le_u32_e64 s1, s12, v83
	v_cndmask_b32_e64 v82, v82, v84, s1
	v_cndmask_b32_e64 v83, v83, v85, s1
	v_add_nc_u32_e32 v84, 1, v82
	v_cmp_le_u32_e64 s1, s12, v83
	v_cndmask_b32_e64 v82, v82, v84, s1
	v_xor_b32_e32 v82, s19, v82
	v_subrev_nc_u32_e32 v82, s19, v82
	v_add_nc_u32_e32 v83, s29, v82
	v_cmp_ge_i32_e64 s2, s4, v82
	v_sub_nc_u32_e32 v84, 0, v83
	v_max_i32_e32 v84, v83, v84
	v_ashrrev_i32_e32 v83, 31, v83
	v_mul_hi_u32 v85, v84, v81
	v_mul_lo_u32 v85, v85, s5
	v_sub_nc_u32_e32 v84, v84, v85
	v_subrev_nc_u32_e32 v85, s5, v84
	v_cmp_le_u32_e64 s1, s5, v84
	v_cndmask_b32_e64 v84, v84, v85, s1
	v_subrev_nc_u32_e32 v85, s5, v84
	v_cmp_le_u32_e64 s1, s5, v84
	v_cndmask_b32_e64 v84, v84, v85, s1
	v_xor_b32_e32 v84, v84, v83
	v_sub_nc_u32_e32 v83, v84, v83
	v_cmp_ne_u32_e64 s1, 0, v83
	s_and_b32 s1, s1, s2
	s_and_saveexec_b32 s2, s1
	s_xor_b32 s1, exec_lo, s2
; %bb.12:                               ;   in Loop: Header=BB37_11 Depth=1
	ds_write_b32 v78, v75
; %bb.13:                               ;   in Loop: Header=BB37_11 Depth=1
	s_andn2_saveexec_b32 s2, s1
	s_cbranch_execz .LBB37_10
; %bb.14:                               ;   in Loop: Header=BB37_11 Depth=1
	global_load_dword v82, v[65:66], off
	s_waitcnt vmcnt(0)
	v_mad_i64_i32 v[82:83], null, v82, s34, 0
	v_lshlrev_b64 v[82:83], 2, v[82:83]
	v_add_co_u32 v110, s1, v79, v82
	v_add_co_ci_u32_e64 v111, null, v80, v83, s1
	s_clause 0x3
	global_load_dwordx4 v[82:85], v[110:111], off offset:512
	global_load_dwordx4 v[86:89], v[110:111], off
	global_load_dwordx4 v[90:93], v[110:111], off offset:1024
	global_load_dwordx4 v[94:97], v[110:111], off offset:1536
	v_add_co_u32 v106, s1, v110, 0x1000
	v_add_co_ci_u32_e64 v107, null, 0, v111, s1
	v_add_co_u32 v108, s1, 0x800, v110
	v_add_co_ci_u32_e64 v109, null, 0, v111, s1
	global_load_dwordx4 v[98:101], v[106:107], off offset:-2048
	v_add_co_u32 v112, s1, 0x1000, v110
	global_load_dwordx4 v[102:105], v[108:109], off offset:512
	v_add_co_ci_u32_e64 v113, null, 0, v111, s1
	v_add_co_u32 v110, s1, 0x1800, v110
	v_add_co_ci_u32_e64 v111, null, 0, v111, s1
	s_waitcnt vmcnt(5) lgkmcnt(14)
	v_mul_f32_e32 v114, v5, v82
	v_mul_f32_e32 v115, v6, v83
	;; [unrolled: 1-line block ×4, first 2 shown]
	global_load_dwordx4 v[82:85], v[108:109], off offset:1024
	s_waitcnt vmcnt(5)
	v_fmac_f32_e32 v114, v1, v86
	v_fmac_f32_e32 v115, v2, v87
	;; [unrolled: 1-line block ×4, first 2 shown]
	s_clause 0x1
	global_load_dwordx4 v[86:89], v[108:109], off offset:1536
	global_load_dwordx4 v[106:109], v[106:107], off
	s_waitcnt vmcnt(6) lgkmcnt(13)
	v_fmac_f32_e32 v114, v9, v90
	v_fmac_f32_e32 v115, v10, v91
	v_fmac_f32_e32 v116, v11, v92
	v_fmac_f32_e32 v117, v12, v93
	global_load_dwordx4 v[90:93], v[112:113], off offset:512
	s_waitcnt vmcnt(6) lgkmcnt(12)
	v_fmac_f32_e32 v114, v13, v94
	v_fmac_f32_e32 v115, v14, v95
	v_fmac_f32_e32 v116, v15, v96
	v_fmac_f32_e32 v117, v16, v97
	global_load_dwordx4 v[94:97], v[112:113], off offset:1024
	;; [unrolled: 6-line block ×3, first 2 shown]
	s_waitcnt vmcnt(6) lgkmcnt(10)
	v_fmac_f32_e32 v114, v21, v102
	v_fmac_f32_e32 v115, v22, v103
	;; [unrolled: 1-line block ×4, first 2 shown]
	global_load_dwordx4 v[102:105], v[110:111], off
	s_waitcnt vmcnt(6) lgkmcnt(9)
	v_fmac_f32_e32 v114, v25, v82
	v_fmac_f32_e32 v115, v26, v83
	v_fmac_f32_e32 v116, v27, v84
	v_fmac_f32_e32 v117, v28, v85
	global_load_dwordx4 v[82:85], v[110:111], off offset:512
	s_waitcnt vmcnt(6) lgkmcnt(8)
	v_fmac_f32_e32 v114, v29, v86
	v_fmac_f32_e32 v115, v30, v87
	v_fmac_f32_e32 v116, v31, v88
	v_fmac_f32_e32 v117, v32, v89
	global_load_dwordx4 v[86:89], v[110:111], off offset:1024
	;; [unrolled: 6-line block ×3, first 2 shown]
	s_waitcnt vmcnt(6) lgkmcnt(6)
	v_fmac_f32_e32 v114, v37, v90
	v_fmac_f32_e32 v115, v38, v91
	v_fmac_f32_e32 v116, v39, v92
	v_fmac_f32_e32 v117, v40, v93
	s_waitcnt vmcnt(5) lgkmcnt(5)
	v_fmac_f32_e32 v114, v41, v94
	v_fmac_f32_e32 v115, v42, v95
	v_fmac_f32_e32 v116, v43, v96
	v_fmac_f32_e32 v117, v44, v97
	;; [unrolled: 5-line block ×4, first 2 shown]
	s_waitcnt vmcnt(2) lgkmcnt(2)
	v_fmac_f32_e32 v114, v53, v82
	v_fmac_f32_e32 v115, v54, v83
	;; [unrolled: 1-line block ×3, first 2 shown]
	v_add_nc_u32_e32 v82, v77, v74
	v_fmac_f32_e32 v117, v56, v85
	s_waitcnt vmcnt(1) lgkmcnt(1)
	v_fmac_f32_e32 v114, v57, v86
	v_fmac_f32_e32 v115, v58, v87
	;; [unrolled: 1-line block ×3, first 2 shown]
	v_cvt_f32_i32_e32 v82, v82
	v_fmac_f32_e32 v117, v60, v89
	s_waitcnt vmcnt(0) lgkmcnt(0)
	v_fmac_f32_e32 v114, v61, v106
	v_fmac_f32_e32 v115, v62, v107
	;; [unrolled: 1-line block ×3, first 2 shown]
	v_mul_f32_e32 v82, s31, v82
	v_fmac_f32_e32 v117, v64, v109
	v_max_f32_e32 v84, v70, v70
	v_add_f32_e32 v83, v114, v115
	v_cndmask_b32_e32 v82, 0, v82, vcc_lo
	v_add_f32_e32 v83, v116, v83
	v_add_f32_e32 v83, v117, v83
	v_fmac_f32_e32 v82, s3, v83
	v_add_nc_u32_e32 v83, v72, v74
	v_max_f32_e32 v84, v84, v82
	v_cmp_gt_i32_e64 s1, s28, v83
	v_cndmask_b32_e64 v82, 0, v82, s1
	v_cndmask_b32_e64 v70, v70, v84, s1
	ds_write_b32 v78, v82
	s_branch .LBB37_10
.LBB37_15:
	s_or_b32 exec_lo, exec_lo, s15
.LBB37_16:
	s_or_b32 exec_lo, exec_lo, s33
	s_waitcnt lgkmcnt(15)
	v_mbcnt_lo_u32_b32 v2, -1, 0
	s_waitcnt lgkmcnt(14)
	v_max_f32_e32 v5, v70, v70
	v_xor_b32_e32 v1, 16, v2
	v_xor_b32_e32 v4, 8, v2
	v_cmp_gt_i32_e32 vcc_lo, 32, v1
	v_cndmask_b32_e32 v1, v2, v1, vcc_lo
	v_cmp_gt_i32_e32 vcc_lo, 32, v4
	v_lshlrev_b32_e32 v1, 2, v1
	v_cndmask_b32_e32 v4, v2, v4, vcc_lo
	ds_bpermute_b32 v3, v1, v70
	s_waitcnt lgkmcnt(0)
	v_max_f32_e32 v6, v3, v3
	v_lshlrev_b32_e32 v3, 2, v4
	v_max_f32_e32 v4, v5, v6
	v_xor_b32_e32 v6, 4, v2
	ds_bpermute_b32 v5, v3, v4
	v_cmp_gt_i32_e32 vcc_lo, 32, v6
	v_cndmask_b32_e32 v6, v2, v6, vcc_lo
	v_lshlrev_b32_e32 v76, 2, v6
	v_xor_b32_e32 v6, 2, v2
	v_cmp_gt_i32_e32 vcc_lo, 32, v6
	s_waitcnt lgkmcnt(0)
	v_max_f32_e32 v5, v5, v5
	v_cndmask_b32_e32 v6, v2, v6, vcc_lo
	v_max_f32_e32 v4, v4, v5
	v_lshlrev_b32_e32 v75, 2, v6
	v_xor_b32_e32 v6, 1, v2
	ds_bpermute_b32 v5, v76, v4
	v_cmp_gt_i32_e32 vcc_lo, 32, v6
	v_cndmask_b32_e32 v6, v2, v6, vcc_lo
	v_cmp_eq_u32_e32 vcc_lo, 0, v72
	v_lshlrev_b32_e32 v74, 2, v6
	s_waitcnt lgkmcnt(0)
	v_max_f32_e32 v5, v5, v5
	v_max_f32_e32 v4, v4, v5
	ds_bpermute_b32 v5, v75, v4
	s_waitcnt lgkmcnt(0)
	v_max_f32_e32 v5, v5, v5
	v_max_f32_e32 v2, v4, v5
	v_lshlrev_b32_e32 v4, 2, v71
	ds_bpermute_b32 v5, v74, v2
	s_and_saveexec_b32 s1, vcc_lo
	s_cbranch_execz .LBB37_18
; %bb.17:
	s_waitcnt lgkmcnt(0)
	v_max_f32_e32 v5, v5, v5
	v_max_f32_e32 v2, v2, v2
	;; [unrolled: 1-line block ×3, first 2 shown]
	ds_write_b32 v4, v2 offset:256
.LBB37_18:
	s_or_b32 exec_lo, exec_lo, s1
	v_cmp_gt_u32_e64 s1, 4, v72
	v_mov_b32_e32 v2, 0xff7fffff
	s_waitcnt lgkmcnt(0)
	s_barrier
	buffer_gl0_inv
	s_and_saveexec_b32 s2, s1
; %bb.19:
	ds_read_b32 v2, v69 offset:256
; %bb.20:
	s_or_b32 exec_lo, exec_lo, s2
	s_waitcnt lgkmcnt(0)
	ds_bpermute_b32 v5, v75, v2
	v_max_f32_e32 v2, v2, v2
	s_lshl_b32 s2, s16, 5
	s_min_i32 s4, s2, s28
	v_cmp_gt_i32_e64 s2, s4, v0
	s_waitcnt lgkmcnt(0)
	v_max_f32_e32 v5, v5, v5
	v_max_f32_e32 v2, v2, v5
	ds_bpermute_b32 v5, v74, v2
	s_waitcnt lgkmcnt(0)
	v_max_f32_e32 v5, v5, v5
	v_max_f32_e32 v2, v2, v5
	v_mov_b32_e32 v5, 0
	ds_bpermute_b32 v6, v5, v2
	v_lshl_add_u32 v2, v0, 2, 0x120
	s_and_saveexec_b32 s5, s2
	s_cbranch_execz .LBB37_24
; %bb.21:
	v_lshl_add_u32 v7, v0, 2, 0x120
	v_mov_b32_e32 v5, 0
	v_mov_b32_e32 v8, v0
	s_mov_b32 s15, 0
	.p2align	6
.LBB37_22:                              ; =>This Inner Loop Header: Depth=1
	ds_read_b32 v9, v7
	v_add_nc_u32_e32 v8, 0x80, v8
	v_cmp_le_i32_e64 s3, s4, v8
	s_or_b32 s15, s3, s15
	s_waitcnt lgkmcnt(0)
	v_sub_f32_e32 v9, v9, v6
	v_mul_f32_e32 v9, 0x3fb8aa3b, v9
	v_exp_f32_e32 v9, v9
	ds_write_b32 v7, v9
	v_add_f32_e32 v5, v5, v9
	v_add_nc_u32_e32 v7, 0x200, v7
	s_andn2_b32 exec_lo, exec_lo, s15
	s_cbranch_execnz .LBB37_22
; %bb.23:
	s_or_b32 exec_lo, exec_lo, s15
.LBB37_24:
	s_or_b32 exec_lo, exec_lo, s5
	ds_bpermute_b32 v1, v1, v5
	s_waitcnt lgkmcnt(0)
	v_add_f32_e32 v1, v5, v1
	ds_bpermute_b32 v3, v3, v1
	s_waitcnt lgkmcnt(0)
	v_add_f32_e32 v1, v1, v3
	;; [unrolled: 3-line block ×5, first 2 shown]
	s_and_saveexec_b32 s3, vcc_lo
; %bb.25:
	ds_write_b32 v4, v1 offset:272
; %bb.26:
	s_or_b32 exec_lo, exec_lo, s3
	s_waitcnt lgkmcnt(0)
	s_barrier
	buffer_gl0_inv
	s_and_saveexec_b32 s3, s1
; %bb.27:
	ds_read_b32 v1, v69 offset:272
; %bb.28:
	s_or_b32 exec_lo, exec_lo, s3
	s_waitcnt lgkmcnt(0)
	ds_bpermute_b32 v3, v75, v1
	s_waitcnt lgkmcnt(0)
	v_add_f32_e32 v1, v1, v3
	ds_bpermute_b32 v3, v74, v1
	s_waitcnt lgkmcnt(0)
	v_add_f32_e32 v1, v1, v3
	v_mov_b32_e32 v3, 0
	ds_bpermute_b32 v1, v3, v1
	s_and_saveexec_b32 s1, s2
	s_cbranch_execz .LBB37_31
; %bb.29:
	s_waitcnt lgkmcnt(0)
	v_add_f32_e32 v1, 0x358637bd, v1
	s_mov_b32 s2, 0
	v_div_scale_f32 v3, null, v1, v1, 1.0
	v_div_scale_f32 v6, vcc_lo, 1.0, v1, 1.0
	v_rcp_f32_e32 v4, v3
	v_fma_f32 v5, -v3, v4, 1.0
	v_fmac_f32_e32 v4, v5, v4
	v_mul_f32_e32 v5, v6, v4
	v_fma_f32 v7, -v3, v5, v6
	v_fmac_f32_e32 v5, v7, v4
	v_fma_f32 v3, -v3, v5, v6
	v_div_fmas_f32 v3, v3, v4, v5
	v_div_fixup_f32 v1, v3, v1, 1.0
	v_mov_b32_e32 v3, v0
.LBB37_30:                              ; =>This Inner Loop Header: Depth=1
	ds_read_b32 v4, v2
	v_add_nc_u32_e32 v3, 0x80, v3
	v_cmp_le_i32_e32 vcc_lo, s4, v3
	s_or_b32 s2, vcc_lo, s2
	s_waitcnt lgkmcnt(0)
	v_mul_f32_e32 v4, v1, v4
	ds_write_b32 v2, v4
	v_add_nc_u32_e32 v2, 0x200, v2
	s_andn2_b32 exec_lo, exec_lo, s2
	s_cbranch_execnz .LBB37_30
.LBB37_31:
	s_or_b32 exec_lo, exec_lo, s1
	v_mov_b32_e32 v92, 0
	v_and_b32_e32 v77, 7, v0
	v_mov_b32_e32 v93, 0
	v_mov_b32_e32 v91, 0
	;; [unrolled: 1-line block ×15, first 2 shown]
	s_waitcnt lgkmcnt(0)
	s_barrier
	buffer_gl0_inv
	s_and_saveexec_b32 s4, s0
	s_cbranch_execz .LBB37_69
; %bb.32:
	s_ashr_i32 s15, s14, 31
	s_sub_i32 s5, s30, s17
	s_lshl_b64 s[0:1], s[14:15], 2
	v_lshlrev_b32_e32 v1, 2, v0
	s_add_u32 s2, s26, s0
	s_addc_u32 s3, s27, s1
	s_abs_i32 s14, s18
	v_lshlrev_b32_e32 v5, 4, v77
	v_cvt_f32_u32_e32 v2, s14
	s_sub_i32 s0, 0, s14
	v_and_b32_e32 v94, 28, v1
	v_and_b32_e32 v3, 0x1f0, v67
	v_and_b32_e32 v4, 0x7c, v68
	v_rcp_iflag_f32_e32 v2, v2
	s_add_i32 s15, s16, -1
	v_lshl_or_b32 v5, v71, 7, v5
	v_add_co_u32 v95, s2, s2, v3
	v_mov_b32_e32 v78, 0
	v_mov_b32_e32 v79, 0
	;; [unrolled: 1-line block ×5, first 2 shown]
	v_mul_f32_e32 v2, 0x4f7ffffe, v2
	v_mov_b32_e32 v83, 0
	v_mov_b32_e32 v84, 0
	;; [unrolled: 1-line block ×4, first 2 shown]
	v_cvt_u32_f32_e32 v2, v2
	v_mov_b32_e32 v87, 0
	v_mov_b32_e32 v88, 0
	;; [unrolled: 1-line block ×4, first 2 shown]
	v_mul_lo_u32 v1, s0, v2
	s_lshl_b64 s[0:1], s[24:25], 2
	v_mov_b32_e32 v91, 0
	s_add_u32 s0, s22, s0
	s_addc_u32 s1, s23, s1
	v_add_co_u32 v69, s0, s0, v4
	v_mov_b32_e32 v93, 0
	v_mul_hi_u32 v1, v2, v1
	v_mov_b32_e32 v92, 0
	v_add_co_ci_u32_e64 v96, null, s3, 0, s2
	v_add_nc_u32_e32 v97, 0x120, v5
	v_add_co_ci_u32_e64 v70, null, s1, 0, s0
	v_mov_b32_e32 v99, v71
	v_add_nc_u32_e32 v98, v2, v1
	s_mov_b32 s17, s13
	s_mov_b32 s13, 0
	s_branch .LBB37_35
.LBB37_33:                              ;   in Loop: Header=BB37_35 Depth=1
	s_or_b32 exec_lo, exec_lo, s0
	s_waitcnt vmcnt(1) lgkmcnt(0)
	v_mul_f32_e32 v65, v1, v65
	v_mul_f32_e32 v61, v1, v61
	v_mul_f32_e32 v57, v1, v57
	v_mul_f32_e32 v49, v1, v49
	v_mul_f32_e32 v45, v1, v45
	v_mul_f32_e32 v41, v1, v41
	v_mul_f32_e32 v37, v1, v37
	v_mul_f32_e32 v33, v1, v33
	v_mul_f32_e32 v29, v1, v29
	v_mul_f32_e32 v25, v1, v25
	v_mul_f32_e32 v21, v1, v21
	v_mul_f32_e32 v17, v1, v17
	v_mul_f32_e32 v13, v1, v13
	v_mul_f32_e32 v9, v1, v9
	v_mul_f32_e32 v5, v1, v5
	s_waitcnt vmcnt(0)
	v_mul_f32_e32 v1, v1, v53
	v_fmac_f32_e32 v65, v2, v66
	v_fmac_f32_e32 v61, v2, v62
	;; [unrolled: 1-line block ×48, first 2 shown]
	v_add_f32_e32 v79, v79, v65
	v_add_f32_e32 v80, v80, v61
	;; [unrolled: 1-line block ×16, first 2 shown]
.LBB37_34:                              ;   in Loop: Header=BB37_35 Depth=1
	s_or_b32 exec_lo, exec_lo, s18
	v_add_nc_u32_e32 v99, 4, v99
	v_add_co_u32 v69, s0, v69, 16
	v_add_co_ci_u32_e64 v70, null, 0, v70, s0
	v_cmp_le_i32_e32 vcc_lo, s16, v99
	v_add_nc_u32_e32 v73, 0x80, v73
	v_add_nc_u32_e32 v97, 0x200, v97
	s_or_b32 s13, vcc_lo, s13
	s_andn2_b32 exec_lo, exec_lo, s13
	s_cbranch_execz .LBB37_68
.LBB37_35:                              ; =>This Inner Loop Header: Depth=1
	v_mul_hi_u32 v1, v73, s21
	v_mul_lo_u32 v2, v1, s12
	v_add_nc_u32_e32 v3, 1, v1
	v_sub_nc_u32_e32 v2, v73, v2
	v_subrev_nc_u32_e32 v4, s12, v2
	v_cmp_le_u32_e32 vcc_lo, s12, v2
	v_cndmask_b32_e32 v1, v1, v3, vcc_lo
	v_cndmask_b32_e32 v2, v2, v4, vcc_lo
	v_add_nc_u32_e32 v3, 1, v1
	v_cmp_le_u32_e32 vcc_lo, s12, v2
	v_cndmask_b32_e32 v1, v1, v3, vcc_lo
	v_xor_b32_e32 v1, s19, v1
	v_subrev_nc_u32_e32 v1, s19, v1
	v_add_nc_u32_e32 v2, s29, v1
	v_cmp_lt_i32_e64 s0, s5, v1
	v_sub_nc_u32_e32 v3, 0, v2
	v_max_i32_e32 v3, v2, v3
	v_ashrrev_i32_e32 v2, 31, v2
	v_mul_hi_u32 v4, v3, v98
	v_mul_lo_u32 v4, v4, s14
	v_sub_nc_u32_e32 v3, v3, v4
	v_subrev_nc_u32_e32 v4, s14, v3
	v_cmp_le_u32_e32 vcc_lo, s14, v3
	v_cndmask_b32_e32 v3, v3, v4, vcc_lo
	v_subrev_nc_u32_e32 v4, s14, v3
	v_cmp_le_u32_e32 vcc_lo, s14, v3
	v_cndmask_b32_e32 v3, v3, v4, vcc_lo
	v_xor_b32_e32 v3, v3, v2
	v_sub_nc_u32_e32 v2, v3, v2
	v_cmp_eq_u32_e32 vcc_lo, 0, v2
	s_or_b32 s0, vcc_lo, s0
	s_and_saveexec_b32 s18, s0
	s_cbranch_execz .LBB37_34
; %bb.36:                               ;   in Loop: Header=BB37_35 Depth=1
	global_load_dword v1, v[69:70], off
	v_add_nc_u32_e32 v100, v94, v73
	v_add_nc_u32_e32 v103, 1, v100
	;; [unrolled: 1-line block ×4, first 2 shown]
	s_waitcnt vmcnt(0)
	v_mad_i64_i32 v[1:2], null, v1, s17, 0
	v_lshlrev_b64 v[1:2], 2, v[1:2]
	v_add_co_u32 v53, vcc_lo, v95, v1
	v_add_co_ci_u32_e64 v54, null, v96, v2, vcc_lo
	ds_read_b128 v[1:4], v97
	v_cmp_eq_u32_e32 vcc_lo, s15, v99
	global_load_dwordx4 v[5:8], v[53:54], off
	s_and_saveexec_b32 s1, vcc_lo
	s_cbranch_execnz .LBB37_55
; %bb.37:                               ;   in Loop: Header=BB37_35 Depth=1
	s_or_b32 exec_lo, exec_lo, s1
	global_load_dwordx4 v[9:12], v[53:54], off offset:512
	s_and_saveexec_b32 s1, vcc_lo
	s_cbranch_execnz .LBB37_56
.LBB37_38:                              ;   in Loop: Header=BB37_35 Depth=1
	s_or_b32 exec_lo, exec_lo, s1
	global_load_dwordx4 v[13:16], v[53:54], off offset:1024
	s_and_saveexec_b32 s1, vcc_lo
	s_cbranch_execnz .LBB37_57
.LBB37_39:                              ;   in Loop: Header=BB37_35 Depth=1
	s_or_b32 exec_lo, exec_lo, s1
	global_load_dwordx4 v[17:20], v[53:54], off offset:1536
	s_and_saveexec_b32 s1, vcc_lo
	s_cbranch_execz .LBB37_41
.LBB37_40:                              ;   in Loop: Header=BB37_35 Depth=1
	v_cmp_gt_i32_e64 s0, s28, v100
	s_waitcnt vmcnt(0)
	v_cndmask_b32_e64 v17, 0, v17, s0
	v_cmp_gt_i32_e64 s0, s28, v103
	v_cndmask_b32_e64 v18, 0, v18, s0
	v_cmp_gt_i32_e64 s0, s28, v102
	;; [unrolled: 2-line block ×3, first 2 shown]
	v_cndmask_b32_e64 v20, 0, v20, s0
.LBB37_41:                              ;   in Loop: Header=BB37_35 Depth=1
	s_or_b32 exec_lo, exec_lo, s1
	v_add_co_u32 v33, s0, 0x800, v53
	v_add_co_ci_u32_e64 v34, null, 0, v54, s0
	global_load_dwordx4 v[21:24], v[33:34], off
	s_and_saveexec_b32 s1, vcc_lo
	s_cbranch_execnz .LBB37_58
; %bb.42:                               ;   in Loop: Header=BB37_35 Depth=1
	s_or_b32 exec_lo, exec_lo, s1
	global_load_dwordx4 v[25:28], v[33:34], off offset:512
	s_and_saveexec_b32 s1, vcc_lo
	s_cbranch_execnz .LBB37_59
.LBB37_43:                              ;   in Loop: Header=BB37_35 Depth=1
	s_or_b32 exec_lo, exec_lo, s1
	global_load_dwordx4 v[29:32], v[33:34], off offset:1024
	s_and_saveexec_b32 s1, vcc_lo
	s_cbranch_execnz .LBB37_60
.LBB37_44:                              ;   in Loop: Header=BB37_35 Depth=1
	s_or_b32 exec_lo, exec_lo, s1
	global_load_dwordx4 v[33:36], v[33:34], off offset:1536
	s_and_saveexec_b32 s1, vcc_lo
	s_cbranch_execz .LBB37_46
.LBB37_45:                              ;   in Loop: Header=BB37_35 Depth=1
	v_cmp_gt_i32_e64 s0, s28, v100
	s_waitcnt vmcnt(0)
	v_cndmask_b32_e64 v33, 0, v33, s0
	v_cmp_gt_i32_e64 s0, s28, v103
	v_cndmask_b32_e64 v34, 0, v34, s0
	v_cmp_gt_i32_e64 s0, s28, v102
	v_cndmask_b32_e64 v35, 0, v35, s0
	v_cmp_gt_i32_e64 s0, s28, v101
	v_cndmask_b32_e64 v36, 0, v36, s0
.LBB37_46:                              ;   in Loop: Header=BB37_35 Depth=1
	s_or_b32 exec_lo, exec_lo, s1
	v_add_co_u32 v49, s0, 0x1000, v53
	v_add_co_ci_u32_e64 v50, null, 0, v54, s0
	global_load_dwordx4 v[37:40], v[49:50], off
	s_and_saveexec_b32 s1, vcc_lo
	s_cbranch_execnz .LBB37_61
; %bb.47:                               ;   in Loop: Header=BB37_35 Depth=1
	s_or_b32 exec_lo, exec_lo, s1
	global_load_dwordx4 v[41:44], v[49:50], off offset:512
	s_and_saveexec_b32 s1, vcc_lo
	s_cbranch_execnz .LBB37_62
.LBB37_48:                              ;   in Loop: Header=BB37_35 Depth=1
	s_or_b32 exec_lo, exec_lo, s1
	global_load_dwordx4 v[45:48], v[49:50], off offset:1024
	s_and_saveexec_b32 s1, vcc_lo
	s_cbranch_execnz .LBB37_63
.LBB37_49:                              ;   in Loop: Header=BB37_35 Depth=1
	s_or_b32 exec_lo, exec_lo, s1
	global_load_dwordx4 v[49:52], v[49:50], off offset:1536
	s_and_saveexec_b32 s1, vcc_lo
	s_cbranch_execz .LBB37_51
.LBB37_50:                              ;   in Loop: Header=BB37_35 Depth=1
	v_cmp_gt_i32_e64 s0, s28, v100
	s_waitcnt vmcnt(0)
	v_cndmask_b32_e64 v49, 0, v49, s0
	v_cmp_gt_i32_e64 s0, s28, v103
	v_cndmask_b32_e64 v50, 0, v50, s0
	v_cmp_gt_i32_e64 s0, s28, v102
	;; [unrolled: 2-line block ×3, first 2 shown]
	v_cndmask_b32_e64 v52, 0, v52, s0
.LBB37_51:                              ;   in Loop: Header=BB37_35 Depth=1
	s_or_b32 exec_lo, exec_lo, s1
	v_add_co_u32 v53, s0, 0x1800, v53
	v_add_co_ci_u32_e64 v54, null, 0, v54, s0
	global_load_dwordx4 v[57:60], v[53:54], off
	s_and_saveexec_b32 s1, vcc_lo
	s_cbranch_execnz .LBB37_64
; %bb.52:                               ;   in Loop: Header=BB37_35 Depth=1
	s_or_b32 exec_lo, exec_lo, s1
	global_load_dwordx4 v[61:64], v[53:54], off offset:512
	s_and_saveexec_b32 s22, vcc_lo
	s_cbranch_execnz .LBB37_65
.LBB37_53:                              ;   in Loop: Header=BB37_35 Depth=1
	s_or_b32 exec_lo, exec_lo, s22
	global_load_dwordx4 v[65:68], v[53:54], off offset:1024
	s_and_saveexec_b32 s1, vcc_lo
	s_cbranch_execnz .LBB37_66
.LBB37_54:                              ;   in Loop: Header=BB37_35 Depth=1
	s_or_b32 exec_lo, exec_lo, s1
	global_load_dwordx4 v[53:56], v[53:54], off offset:1536
	s_and_saveexec_b32 s0, vcc_lo
	s_cbranch_execz .LBB37_33
	s_branch .LBB37_67
.LBB37_55:                              ;   in Loop: Header=BB37_35 Depth=1
	v_cmp_gt_i32_e64 s0, s28, v100
	s_waitcnt vmcnt(0)
	v_cndmask_b32_e64 v5, 0, v5, s0
	v_cmp_gt_i32_e64 s0, s28, v103
	v_cndmask_b32_e64 v6, 0, v6, s0
	v_cmp_gt_i32_e64 s0, s28, v102
	;; [unrolled: 2-line block ×3, first 2 shown]
	v_cndmask_b32_e64 v8, 0, v8, s0
	s_or_b32 exec_lo, exec_lo, s1
	global_load_dwordx4 v[9:12], v[53:54], off offset:512
	s_and_saveexec_b32 s1, vcc_lo
	s_cbranch_execz .LBB37_38
.LBB37_56:                              ;   in Loop: Header=BB37_35 Depth=1
	v_cmp_gt_i32_e64 s0, s28, v100
	s_waitcnt vmcnt(0)
	v_cndmask_b32_e64 v9, 0, v9, s0
	v_cmp_gt_i32_e64 s0, s28, v103
	v_cndmask_b32_e64 v10, 0, v10, s0
	v_cmp_gt_i32_e64 s0, s28, v102
	;; [unrolled: 2-line block ×3, first 2 shown]
	v_cndmask_b32_e64 v12, 0, v12, s0
	s_or_b32 exec_lo, exec_lo, s1
	global_load_dwordx4 v[13:16], v[53:54], off offset:1024
	s_and_saveexec_b32 s1, vcc_lo
	s_cbranch_execz .LBB37_39
.LBB37_57:                              ;   in Loop: Header=BB37_35 Depth=1
	v_cmp_gt_i32_e64 s0, s28, v100
	s_waitcnt vmcnt(0)
	v_cndmask_b32_e64 v13, 0, v13, s0
	v_cmp_gt_i32_e64 s0, s28, v103
	v_cndmask_b32_e64 v14, 0, v14, s0
	v_cmp_gt_i32_e64 s0, s28, v102
	;; [unrolled: 2-line block ×3, first 2 shown]
	v_cndmask_b32_e64 v16, 0, v16, s0
	s_or_b32 exec_lo, exec_lo, s1
	global_load_dwordx4 v[17:20], v[53:54], off offset:1536
	s_and_saveexec_b32 s1, vcc_lo
	s_cbranch_execnz .LBB37_40
	s_branch .LBB37_41
.LBB37_58:                              ;   in Loop: Header=BB37_35 Depth=1
	v_cmp_gt_i32_e64 s0, s28, v100
	s_waitcnt vmcnt(0)
	v_cndmask_b32_e64 v21, 0, v21, s0
	v_cmp_gt_i32_e64 s0, s28, v103
	v_cndmask_b32_e64 v22, 0, v22, s0
	v_cmp_gt_i32_e64 s0, s28, v102
	;; [unrolled: 2-line block ×3, first 2 shown]
	v_cndmask_b32_e64 v24, 0, v24, s0
	s_or_b32 exec_lo, exec_lo, s1
	global_load_dwordx4 v[25:28], v[33:34], off offset:512
	s_and_saveexec_b32 s1, vcc_lo
	s_cbranch_execz .LBB37_43
.LBB37_59:                              ;   in Loop: Header=BB37_35 Depth=1
	v_cmp_gt_i32_e64 s0, s28, v100
	s_waitcnt vmcnt(0)
	v_cndmask_b32_e64 v25, 0, v25, s0
	v_cmp_gt_i32_e64 s0, s28, v103
	v_cndmask_b32_e64 v26, 0, v26, s0
	v_cmp_gt_i32_e64 s0, s28, v102
	;; [unrolled: 2-line block ×3, first 2 shown]
	v_cndmask_b32_e64 v28, 0, v28, s0
	s_or_b32 exec_lo, exec_lo, s1
	global_load_dwordx4 v[29:32], v[33:34], off offset:1024
	s_and_saveexec_b32 s1, vcc_lo
	s_cbranch_execz .LBB37_44
.LBB37_60:                              ;   in Loop: Header=BB37_35 Depth=1
	v_cmp_gt_i32_e64 s0, s28, v100
	s_waitcnt vmcnt(0)
	v_cndmask_b32_e64 v29, 0, v29, s0
	v_cmp_gt_i32_e64 s0, s28, v103
	v_cndmask_b32_e64 v30, 0, v30, s0
	v_cmp_gt_i32_e64 s0, s28, v102
	;; [unrolled: 2-line block ×3, first 2 shown]
	v_cndmask_b32_e64 v32, 0, v32, s0
	s_or_b32 exec_lo, exec_lo, s1
	global_load_dwordx4 v[33:36], v[33:34], off offset:1536
	s_and_saveexec_b32 s1, vcc_lo
	s_cbranch_execnz .LBB37_45
	s_branch .LBB37_46
.LBB37_61:                              ;   in Loop: Header=BB37_35 Depth=1
	v_cmp_gt_i32_e64 s0, s28, v100
	s_waitcnt vmcnt(0)
	v_cndmask_b32_e64 v37, 0, v37, s0
	v_cmp_gt_i32_e64 s0, s28, v103
	v_cndmask_b32_e64 v38, 0, v38, s0
	v_cmp_gt_i32_e64 s0, s28, v102
	;; [unrolled: 2-line block ×3, first 2 shown]
	v_cndmask_b32_e64 v40, 0, v40, s0
	s_or_b32 exec_lo, exec_lo, s1
	global_load_dwordx4 v[41:44], v[49:50], off offset:512
	s_and_saveexec_b32 s1, vcc_lo
	s_cbranch_execz .LBB37_48
.LBB37_62:                              ;   in Loop: Header=BB37_35 Depth=1
	v_cmp_gt_i32_e64 s0, s28, v100
	s_waitcnt vmcnt(0)
	v_cndmask_b32_e64 v41, 0, v41, s0
	v_cmp_gt_i32_e64 s0, s28, v103
	v_cndmask_b32_e64 v42, 0, v42, s0
	v_cmp_gt_i32_e64 s0, s28, v102
	;; [unrolled: 2-line block ×3, first 2 shown]
	v_cndmask_b32_e64 v44, 0, v44, s0
	s_or_b32 exec_lo, exec_lo, s1
	global_load_dwordx4 v[45:48], v[49:50], off offset:1024
	s_and_saveexec_b32 s1, vcc_lo
	s_cbranch_execz .LBB37_49
.LBB37_63:                              ;   in Loop: Header=BB37_35 Depth=1
	v_cmp_gt_i32_e64 s0, s28, v100
	s_waitcnt vmcnt(0)
	v_cndmask_b32_e64 v45, 0, v45, s0
	v_cmp_gt_i32_e64 s0, s28, v103
	v_cndmask_b32_e64 v46, 0, v46, s0
	v_cmp_gt_i32_e64 s0, s28, v102
	;; [unrolled: 2-line block ×3, first 2 shown]
	v_cndmask_b32_e64 v48, 0, v48, s0
	s_or_b32 exec_lo, exec_lo, s1
	global_load_dwordx4 v[49:52], v[49:50], off offset:1536
	s_and_saveexec_b32 s1, vcc_lo
	s_cbranch_execnz .LBB37_50
	s_branch .LBB37_51
.LBB37_64:                              ;   in Loop: Header=BB37_35 Depth=1
	v_cmp_gt_i32_e64 s0, s28, v100
	s_waitcnt vmcnt(0)
	v_cndmask_b32_e64 v57, 0, v57, s0
	v_cmp_gt_i32_e64 s0, s28, v103
	v_cndmask_b32_e64 v58, 0, v58, s0
	v_cmp_gt_i32_e64 s0, s28, v102
	;; [unrolled: 2-line block ×3, first 2 shown]
	v_cndmask_b32_e64 v60, 0, v60, s0
	s_or_b32 exec_lo, exec_lo, s1
	global_load_dwordx4 v[61:64], v[53:54], off offset:512
	s_and_saveexec_b32 s22, vcc_lo
	s_cbranch_execz .LBB37_53
.LBB37_65:                              ;   in Loop: Header=BB37_35 Depth=1
	v_cmp_gt_i32_e64 s0, s28, v100
	v_cmp_gt_i32_e64 s1, s28, v103
	;; [unrolled: 1-line block ×4, first 2 shown]
	s_waitcnt vmcnt(0)
	v_cndmask_b32_e64 v61, 0, v61, s0
	v_cndmask_b32_e64 v62, 0, v62, s1
	;; [unrolled: 1-line block ×4, first 2 shown]
	s_or_b32 exec_lo, exec_lo, s22
	global_load_dwordx4 v[65:68], v[53:54], off offset:1024
	s_and_saveexec_b32 s1, vcc_lo
	s_cbranch_execz .LBB37_54
.LBB37_66:                              ;   in Loop: Header=BB37_35 Depth=1
	v_cmp_gt_i32_e64 s0, s28, v100
	s_waitcnt vmcnt(0)
	v_cndmask_b32_e64 v65, 0, v65, s0
	v_cmp_gt_i32_e64 s0, s28, v103
	v_cndmask_b32_e64 v66, 0, v66, s0
	v_cmp_gt_i32_e64 s0, s28, v102
	;; [unrolled: 2-line block ×3, first 2 shown]
	v_cndmask_b32_e64 v68, 0, v68, s0
	s_or_b32 exec_lo, exec_lo, s1
	global_load_dwordx4 v[53:56], v[53:54], off offset:1536
	s_and_saveexec_b32 s0, vcc_lo
	s_cbranch_execz .LBB37_33
.LBB37_67:                              ;   in Loop: Header=BB37_35 Depth=1
	v_cmp_gt_i32_e32 vcc_lo, s28, v100
	s_waitcnt vmcnt(0)
	v_cndmask_b32_e32 v53, 0, v53, vcc_lo
	v_cmp_gt_i32_e32 vcc_lo, s28, v103
	v_cndmask_b32_e32 v54, 0, v54, vcc_lo
	v_cmp_gt_i32_e32 vcc_lo, s28, v102
	;; [unrolled: 2-line block ×3, first 2 shown]
	v_cndmask_b32_e32 v56, 0, v56, vcc_lo
	s_branch .LBB37_33
.LBB37_68:
	s_or_b32 exec_lo, exec_lo, s13
.LBB37_69:
	s_or_b32 exec_lo, exec_lo, s4
	ds_bpermute_b32 v1, v76, v92
	ds_bpermute_b32 v5, v76, v89
	;; [unrolled: 1-line block ×16, first 2 shown]
	s_mov_b32 s0, exec_lo
	s_waitcnt lgkmcnt(0)
	s_barrier
	buffer_gl0_inv
	v_add_f32_e32 v1, v92, v1
	v_add_f32_e32 v5, v89, v5
	;; [unrolled: 1-line block ×5, first 2 shown]
	ds_bpermute_b32 v17, v75, v1
	ds_bpermute_b32 v21, v75, v5
	;; [unrolled: 1-line block ×3, first 2 shown]
	v_add_f32_e32 v3, v91, v3
	v_add_f32_e32 v4, v90, v4
	;; [unrolled: 1-line block ×10, first 2 shown]
	ds_bpermute_b32 v26, v75, v10
	v_add_f32_e32 v16, v78, v16
	ds_bpermute_b32 v18, v75, v2
	ds_bpermute_b32 v19, v75, v3
	;; [unrolled: 1-line block ×8, first 2 shown]
	s_waitcnt lgkmcnt(11)
	v_add_f32_e32 v1, v1, v17
	ds_bpermute_b32 v17, v75, v13
	s_waitcnt lgkmcnt(11)
	v_add_f32_e32 v5, v5, v21
	ds_bpermute_b32 v21, v75, v14
	;; [unrolled: 3-line block ×3, first 2 shown]
	ds_bpermute_b32 v29, v75, v16
	ds_bpermute_b32 v30, v74, v6
	s_waitcnt lgkmcnt(13)
	v_add_f32_e32 v10, v10, v26
	s_waitcnt lgkmcnt(12)
	v_add_f32_e32 v2, v2, v18
	;; [unrolled: 2-line block ×9, first 2 shown]
	ds_bpermute_b32 v18, v74, v1
	s_waitcnt lgkmcnt(5)
	v_add_f32_e32 v13, v13, v17
	ds_bpermute_b32 v17, v74, v10
	s_waitcnt lgkmcnt(5)
	v_add_f32_e32 v14, v14, v21
	;; [unrolled: 3-line block ×3, first 2 shown]
	s_waitcnt lgkmcnt(4)
	v_add_f32_e32 v16, v16, v29
	ds_bpermute_b32 v20, v74, v3
	ds_bpermute_b32 v23, v74, v4
	;; [unrolled: 1-line block ×12, first 2 shown]
	s_waitcnt lgkmcnt(15)
	v_add_f32_e32 v6, v6, v30
	s_waitcnt lgkmcnt(14)
	v_add_f32_e32 v1, v1, v18
	;; [unrolled: 2-line block ×3, first 2 shown]
	v_lshrrev_b32_e32 v17, 3, v72
	s_waitcnt lgkmcnt(12)
	v_add_f32_e32 v2, v2, v19
	v_lshlrev_b32_e32 v19, 8, v71
	s_waitcnt lgkmcnt(11)
	v_add_f32_e32 v3, v3, v20
	s_waitcnt lgkmcnt(10)
	v_add_f32_e32 v4, v4, v23
	;; [unrolled: 2-line block ×10, first 2 shown]
	v_and_b32_e32 v20, 0x3c7, v0
	s_waitcnt lgkmcnt(1)
	v_add_f32_e32 v15, v15, v29
	s_waitcnt lgkmcnt(0)
	v_add_f32_e32 v16, v16, v32
	v_lshl_add_u32 v18, v17, 2, 0x120
	v_cmpx_eq_u32_e32 64, v20
	s_cbranch_execz .LBB37_71
; %bb.70:
	v_add_nc_u32_e32 v20, v18, v19
	v_add_nc_u32_e32 v21, 0xfffffe00, v20
	;; [unrolled: 1-line block ×7, first 2 shown]
	ds_write_b32 v21, v1
	ds_write_b32 v22, v2
	;; [unrolled: 1-line block ×6, first 2 shown]
	v_add_nc_u32_e32 v21, 0xfffffe60, v20
	v_add_nc_u32_e32 v22, 0xfffffe70, v20
	;; [unrolled: 1-line block ×5, first 2 shown]
	ds_write_b32 v21, v7
	ds_write_b32 v22, v8
	;; [unrolled: 1-line block ×5, first 2 shown]
	v_add_nc_u32_e32 v21, 0xfffffeb0, v20
	v_add_nc_u32_e32 v22, 0xfffffec0, v20
	;; [unrolled: 1-line block ×5, first 2 shown]
	ds_write_b32 v21, v12
	ds_write_b32 v22, v13
	;; [unrolled: 1-line block ×5, first 2 shown]
.LBB37_71:
	s_or_b32 exec_lo, exec_lo, s0
	v_lshlrev_b32_e32 v17, 2, v17
	s_mov_b32 s1, exec_lo
	v_cmp_eq_u32_e32 vcc_lo, 0, v77
	s_waitcnt lgkmcnt(0)
	s_barrier
	v_add3_u32 v17, 0x120, v19, v17
	buffer_gl0_inv
	v_cmpx_gt_u32_e32 64, v0
	s_cbranch_execz .LBB37_90
; %bb.72:
	s_and_saveexec_b32 s0, vcc_lo
	s_cbranch_execnz .LBB37_114
; %bb.73:
	s_or_b32 exec_lo, exec_lo, s0
	s_and_saveexec_b32 s0, vcc_lo
	s_cbranch_execnz .LBB37_115
.LBB37_74:
	s_or_b32 exec_lo, exec_lo, s0
	s_and_saveexec_b32 s0, vcc_lo
	s_cbranch_execnz .LBB37_116
.LBB37_75:
	s_or_b32 exec_lo, exec_lo, s0
	s_and_saveexec_b32 s0, vcc_lo
	s_cbranch_execnz .LBB37_117
.LBB37_76:
	s_or_b32 exec_lo, exec_lo, s0
	s_and_saveexec_b32 s0, vcc_lo
	s_cbranch_execnz .LBB37_118
.LBB37_77:
	s_or_b32 exec_lo, exec_lo, s0
	s_and_saveexec_b32 s0, vcc_lo
	s_cbranch_execnz .LBB37_119
.LBB37_78:
	s_or_b32 exec_lo, exec_lo, s0
	s_and_saveexec_b32 s0, vcc_lo
	s_cbranch_execnz .LBB37_120
.LBB37_79:
	s_or_b32 exec_lo, exec_lo, s0
	s_and_saveexec_b32 s0, vcc_lo
	s_cbranch_execnz .LBB37_121
.LBB37_80:
	s_or_b32 exec_lo, exec_lo, s0
	s_and_saveexec_b32 s0, vcc_lo
	s_cbranch_execnz .LBB37_122
.LBB37_81:
	s_or_b32 exec_lo, exec_lo, s0
	s_and_saveexec_b32 s0, vcc_lo
	s_cbranch_execnz .LBB37_123
.LBB37_82:
	s_or_b32 exec_lo, exec_lo, s0
	s_and_saveexec_b32 s0, vcc_lo
	s_cbranch_execnz .LBB37_124
.LBB37_83:
	s_or_b32 exec_lo, exec_lo, s0
	s_and_saveexec_b32 s0, vcc_lo
	s_cbranch_execnz .LBB37_125
.LBB37_84:
	s_or_b32 exec_lo, exec_lo, s0
	s_and_saveexec_b32 s0, vcc_lo
	s_cbranch_execnz .LBB37_126
.LBB37_85:
	s_or_b32 exec_lo, exec_lo, s0
	s_and_saveexec_b32 s0, vcc_lo
	s_cbranch_execnz .LBB37_127
.LBB37_86:
	s_or_b32 exec_lo, exec_lo, s0
	s_and_saveexec_b32 s0, vcc_lo
	s_cbranch_execnz .LBB37_128
.LBB37_87:
	s_or_b32 exec_lo, exec_lo, s0
	s_and_saveexec_b32 s0, vcc_lo
	s_cbranch_execz .LBB37_89
.LBB37_88:
	ds_read_b32 v19, v17 offset:240
	s_waitcnt lgkmcnt(0)
	v_add_f32_e32 v16, v16, v19
.LBB37_89:
	s_or_b32 exec_lo, exec_lo, s0
.LBB37_90:
	s_or_b32 exec_lo, exec_lo, s1
	v_and_b32_e32 v19, 0x3e7, v0
	s_mov_b32 s1, exec_lo
	s_barrier
	buffer_gl0_inv
	v_cmpx_eq_u32_e32 32, v19
	s_cbranch_execz .LBB37_92
; %bb.91:
	ds_write2_b32 v18, v1, v2 offset1:4
	ds_write2_b32 v18, v3, v4 offset0:8 offset1:12
	ds_write2_b32 v18, v5, v6 offset0:16 offset1:20
	ds_write2_b32 v18, v7, v8 offset0:24 offset1:28
	ds_write2_b32 v18, v9, v10 offset0:32 offset1:36
	ds_write2_b32 v18, v11, v12 offset0:40 offset1:44
	ds_write2_b32 v18, v13, v14 offset0:48 offset1:52
	ds_write2_b32 v18, v15, v16 offset0:56 offset1:60
.LBB37_92:
	s_or_b32 exec_lo, exec_lo, s1
	s_mov_b32 s1, exec_lo
	s_waitcnt lgkmcnt(0)
	s_barrier
	buffer_gl0_inv
	v_cmpx_gt_u32_e32 32, v0
	s_cbranch_execz .LBB37_111
; %bb.93:
	s_and_saveexec_b32 s0, vcc_lo
	s_cbranch_execnz .LBB37_129
; %bb.94:
	s_or_b32 exec_lo, exec_lo, s0
	s_and_saveexec_b32 s0, vcc_lo
	s_cbranch_execnz .LBB37_130
.LBB37_95:
	s_or_b32 exec_lo, exec_lo, s0
	s_and_saveexec_b32 s0, vcc_lo
	s_cbranch_execnz .LBB37_131
.LBB37_96:
	s_or_b32 exec_lo, exec_lo, s0
	s_and_saveexec_b32 s0, vcc_lo
	s_cbranch_execnz .LBB37_132
.LBB37_97:
	s_or_b32 exec_lo, exec_lo, s0
	s_and_saveexec_b32 s0, vcc_lo
	s_cbranch_execnz .LBB37_133
.LBB37_98:
	s_or_b32 exec_lo, exec_lo, s0
	s_and_saveexec_b32 s0, vcc_lo
	s_cbranch_execnz .LBB37_134
.LBB37_99:
	s_or_b32 exec_lo, exec_lo, s0
	s_and_saveexec_b32 s0, vcc_lo
	s_cbranch_execnz .LBB37_135
.LBB37_100:
	s_or_b32 exec_lo, exec_lo, s0
	s_and_saveexec_b32 s0, vcc_lo
	s_cbranch_execnz .LBB37_136
.LBB37_101:
	s_or_b32 exec_lo, exec_lo, s0
	s_and_saveexec_b32 s0, vcc_lo
	s_cbranch_execnz .LBB37_137
.LBB37_102:
	s_or_b32 exec_lo, exec_lo, s0
	s_and_saveexec_b32 s0, vcc_lo
	s_cbranch_execnz .LBB37_138
.LBB37_103:
	s_or_b32 exec_lo, exec_lo, s0
	s_and_saveexec_b32 s0, vcc_lo
	s_cbranch_execnz .LBB37_139
.LBB37_104:
	s_or_b32 exec_lo, exec_lo, s0
	s_and_saveexec_b32 s0, vcc_lo
	s_cbranch_execnz .LBB37_140
.LBB37_105:
	s_or_b32 exec_lo, exec_lo, s0
	s_and_saveexec_b32 s0, vcc_lo
	s_cbranch_execnz .LBB37_141
.LBB37_106:
	s_or_b32 exec_lo, exec_lo, s0
	s_and_saveexec_b32 s0, vcc_lo
	s_cbranch_execnz .LBB37_142
.LBB37_107:
	s_or_b32 exec_lo, exec_lo, s0
	s_and_saveexec_b32 s0, vcc_lo
	s_cbranch_execnz .LBB37_143
.LBB37_108:
	s_or_b32 exec_lo, exec_lo, s0
	s_and_saveexec_b32 s0, vcc_lo
	s_cbranch_execz .LBB37_110
.LBB37_109:
	ds_read_b32 v17, v17 offset:240
	s_waitcnt lgkmcnt(0)
	v_add_f32_e32 v16, v16, v17
.LBB37_110:
	s_or_b32 exec_lo, exec_lo, s0
.LBB37_111:
	s_or_b32 exec_lo, exec_lo, s1
	s_barrier
	buffer_gl0_inv
	s_mov_b32 s0, exec_lo
	v_cmpx_eq_u32_e32 0, v19
	s_cbranch_execz .LBB37_113
; %bb.112:
	s_mul_i32 s0, s10, s11
	s_mul_i32 s2, s11, s20
	;; [unrolled: 1-line block ×3, first 2 shown]
	v_lshrrev_b32_e32 v0, 1, v0
	s_lshl_b32 s0, s0, 6
	s_ashr_i32 s1, s0, 31
	s_lshl_b64 s[0:1], s[0:1], 2
	s_add_u32 s4, s6, s0
	s_addc_u32 s5, s7, s1
	s_ashr_i32 s3, s2, 31
	s_lshl_b64 s[0:1], s[2:3], 2
	s_add_u32 s2, s4, s0
	s_addc_u32 s3, s5, s1
	s_lshl_b32 s0, s8, 6
	s_ashr_i32 s1, s0, 31
	s_lshl_b64 s[0:1], s[0:1], 2
	s_add_u32 s0, s2, s0
	s_addc_u32 s1, s3, s1
	global_store_dword v0, v1, s[0:1]
	global_store_dword v0, v2, s[0:1] offset:16
	global_store_dword v0, v3, s[0:1] offset:32
	;; [unrolled: 1-line block ×15, first 2 shown]
.LBB37_113:
	s_endpgm
.LBB37_114:
	ds_read_b32 v19, v17
	s_waitcnt lgkmcnt(0)
	v_add_f32_e32 v1, v1, v19
	s_or_b32 exec_lo, exec_lo, s0
	s_and_saveexec_b32 s0, vcc_lo
	s_cbranch_execz .LBB37_74
.LBB37_115:
	ds_read_b32 v19, v17 offset:16
	s_waitcnt lgkmcnt(0)
	v_add_f32_e32 v2, v2, v19
	s_or_b32 exec_lo, exec_lo, s0
	s_and_saveexec_b32 s0, vcc_lo
	s_cbranch_execz .LBB37_75
.LBB37_116:
	ds_read_b32 v19, v17 offset:32
	s_waitcnt lgkmcnt(0)
	v_add_f32_e32 v3, v3, v19
	s_or_b32 exec_lo, exec_lo, s0
	s_and_saveexec_b32 s0, vcc_lo
	s_cbranch_execz .LBB37_76
.LBB37_117:
	ds_read_b32 v19, v17 offset:48
	s_waitcnt lgkmcnt(0)
	v_add_f32_e32 v4, v4, v19
	s_or_b32 exec_lo, exec_lo, s0
	s_and_saveexec_b32 s0, vcc_lo
	s_cbranch_execz .LBB37_77
.LBB37_118:
	ds_read_b32 v19, v17 offset:64
	s_waitcnt lgkmcnt(0)
	v_add_f32_e32 v5, v5, v19
	s_or_b32 exec_lo, exec_lo, s0
	s_and_saveexec_b32 s0, vcc_lo
	s_cbranch_execz .LBB37_78
.LBB37_119:
	ds_read_b32 v19, v17 offset:80
	s_waitcnt lgkmcnt(0)
	v_add_f32_e32 v6, v6, v19
	s_or_b32 exec_lo, exec_lo, s0
	s_and_saveexec_b32 s0, vcc_lo
	s_cbranch_execz .LBB37_79
.LBB37_120:
	ds_read_b32 v19, v17 offset:96
	s_waitcnt lgkmcnt(0)
	v_add_f32_e32 v7, v7, v19
	s_or_b32 exec_lo, exec_lo, s0
	s_and_saveexec_b32 s0, vcc_lo
	s_cbranch_execz .LBB37_80
.LBB37_121:
	ds_read_b32 v19, v17 offset:112
	s_waitcnt lgkmcnt(0)
	v_add_f32_e32 v8, v8, v19
	s_or_b32 exec_lo, exec_lo, s0
	s_and_saveexec_b32 s0, vcc_lo
	s_cbranch_execz .LBB37_81
.LBB37_122:
	ds_read_b32 v19, v17 offset:128
	s_waitcnt lgkmcnt(0)
	v_add_f32_e32 v9, v9, v19
	s_or_b32 exec_lo, exec_lo, s0
	s_and_saveexec_b32 s0, vcc_lo
	s_cbranch_execz .LBB37_82
.LBB37_123:
	ds_read_b32 v19, v17 offset:144
	s_waitcnt lgkmcnt(0)
	v_add_f32_e32 v10, v10, v19
	s_or_b32 exec_lo, exec_lo, s0
	s_and_saveexec_b32 s0, vcc_lo
	s_cbranch_execz .LBB37_83
.LBB37_124:
	ds_read_b32 v19, v17 offset:160
	s_waitcnt lgkmcnt(0)
	v_add_f32_e32 v11, v11, v19
	s_or_b32 exec_lo, exec_lo, s0
	s_and_saveexec_b32 s0, vcc_lo
	s_cbranch_execz .LBB37_84
.LBB37_125:
	ds_read_b32 v19, v17 offset:176
	s_waitcnt lgkmcnt(0)
	v_add_f32_e32 v12, v12, v19
	s_or_b32 exec_lo, exec_lo, s0
	s_and_saveexec_b32 s0, vcc_lo
	s_cbranch_execz .LBB37_85
.LBB37_126:
	ds_read_b32 v19, v17 offset:192
	s_waitcnt lgkmcnt(0)
	v_add_f32_e32 v13, v13, v19
	s_or_b32 exec_lo, exec_lo, s0
	s_and_saveexec_b32 s0, vcc_lo
	s_cbranch_execz .LBB37_86
.LBB37_127:
	ds_read_b32 v19, v17 offset:208
	s_waitcnt lgkmcnt(0)
	v_add_f32_e32 v14, v14, v19
	s_or_b32 exec_lo, exec_lo, s0
	s_and_saveexec_b32 s0, vcc_lo
	s_cbranch_execz .LBB37_87
.LBB37_128:
	ds_read_b32 v19, v17 offset:224
	s_waitcnt lgkmcnt(0)
	v_add_f32_e32 v15, v15, v19
	s_or_b32 exec_lo, exec_lo, s0
	s_and_saveexec_b32 s0, vcc_lo
	s_cbranch_execnz .LBB37_88
	s_branch .LBB37_89
.LBB37_129:
	ds_read_b32 v18, v17
	s_waitcnt lgkmcnt(0)
	v_add_f32_e32 v1, v1, v18
	s_or_b32 exec_lo, exec_lo, s0
	s_and_saveexec_b32 s0, vcc_lo
	s_cbranch_execz .LBB37_95
.LBB37_130:
	ds_read_b32 v18, v17 offset:16
	s_waitcnt lgkmcnt(0)
	v_add_f32_e32 v2, v2, v18
	s_or_b32 exec_lo, exec_lo, s0
	s_and_saveexec_b32 s0, vcc_lo
	s_cbranch_execz .LBB37_96
.LBB37_131:
	ds_read_b32 v18, v17 offset:32
	s_waitcnt lgkmcnt(0)
	v_add_f32_e32 v3, v3, v18
	s_or_b32 exec_lo, exec_lo, s0
	s_and_saveexec_b32 s0, vcc_lo
	s_cbranch_execz .LBB37_97
.LBB37_132:
	ds_read_b32 v18, v17 offset:48
	s_waitcnt lgkmcnt(0)
	v_add_f32_e32 v4, v4, v18
	s_or_b32 exec_lo, exec_lo, s0
	s_and_saveexec_b32 s0, vcc_lo
	s_cbranch_execz .LBB37_98
.LBB37_133:
	ds_read_b32 v18, v17 offset:64
	s_waitcnt lgkmcnt(0)
	v_add_f32_e32 v5, v5, v18
	s_or_b32 exec_lo, exec_lo, s0
	s_and_saveexec_b32 s0, vcc_lo
	s_cbranch_execz .LBB37_99
.LBB37_134:
	ds_read_b32 v18, v17 offset:80
	s_waitcnt lgkmcnt(0)
	v_add_f32_e32 v6, v6, v18
	s_or_b32 exec_lo, exec_lo, s0
	s_and_saveexec_b32 s0, vcc_lo
	s_cbranch_execz .LBB37_100
.LBB37_135:
	ds_read_b32 v18, v17 offset:96
	s_waitcnt lgkmcnt(0)
	v_add_f32_e32 v7, v7, v18
	s_or_b32 exec_lo, exec_lo, s0
	s_and_saveexec_b32 s0, vcc_lo
	s_cbranch_execz .LBB37_101
.LBB37_136:
	ds_read_b32 v18, v17 offset:112
	s_waitcnt lgkmcnt(0)
	v_add_f32_e32 v8, v8, v18
	s_or_b32 exec_lo, exec_lo, s0
	s_and_saveexec_b32 s0, vcc_lo
	s_cbranch_execz .LBB37_102
.LBB37_137:
	ds_read_b32 v18, v17 offset:128
	s_waitcnt lgkmcnt(0)
	v_add_f32_e32 v9, v9, v18
	s_or_b32 exec_lo, exec_lo, s0
	s_and_saveexec_b32 s0, vcc_lo
	s_cbranch_execz .LBB37_103
.LBB37_138:
	ds_read_b32 v18, v17 offset:144
	s_waitcnt lgkmcnt(0)
	v_add_f32_e32 v10, v10, v18
	s_or_b32 exec_lo, exec_lo, s0
	s_and_saveexec_b32 s0, vcc_lo
	s_cbranch_execz .LBB37_104
.LBB37_139:
	ds_read_b32 v18, v17 offset:160
	s_waitcnt lgkmcnt(0)
	v_add_f32_e32 v11, v11, v18
	s_or_b32 exec_lo, exec_lo, s0
	s_and_saveexec_b32 s0, vcc_lo
	s_cbranch_execz .LBB37_105
.LBB37_140:
	ds_read_b32 v18, v17 offset:176
	s_waitcnt lgkmcnt(0)
	v_add_f32_e32 v12, v12, v18
	s_or_b32 exec_lo, exec_lo, s0
	s_and_saveexec_b32 s0, vcc_lo
	s_cbranch_execz .LBB37_106
.LBB37_141:
	ds_read_b32 v18, v17 offset:192
	s_waitcnt lgkmcnt(0)
	v_add_f32_e32 v13, v13, v18
	s_or_b32 exec_lo, exec_lo, s0
	s_and_saveexec_b32 s0, vcc_lo
	s_cbranch_execz .LBB37_107
.LBB37_142:
	ds_read_b32 v18, v17 offset:208
	s_waitcnt lgkmcnt(0)
	v_add_f32_e32 v14, v14, v18
	s_or_b32 exec_lo, exec_lo, s0
	s_and_saveexec_b32 s0, vcc_lo
	s_cbranch_execz .LBB37_108
.LBB37_143:
	ds_read_b32 v18, v17 offset:224
	s_waitcnt lgkmcnt(0)
	v_add_f32_e32 v15, v15, v18
	s_or_b32 exec_lo, exec_lo, s0
	s_and_saveexec_b32 s0, vcc_lo
	s_cbranch_execnz .LBB37_109
	s_branch .LBB37_110
	.section	.rodata,"a",@progbits
	.p2align	6, 0x0
	.amdhsa_kernel _ZN4vllm25paged_attention_v1_kernelIffLi64ELi32ELi128ELNS_18Fp8KVCacheDataTypeE0ELb1EEEvPT_PKS2_PKT0_S8_ifPKiSA_iPKfiiiSC_SC_iiiii
		.amdhsa_group_segment_fixed_size 288
		.amdhsa_private_segment_fixed_size 0
		.amdhsa_kernarg_size 384
		.amdhsa_user_sgpr_count 6
		.amdhsa_user_sgpr_private_segment_buffer 1
		.amdhsa_user_sgpr_dispatch_ptr 0
		.amdhsa_user_sgpr_queue_ptr 0
		.amdhsa_user_sgpr_kernarg_segment_ptr 1
		.amdhsa_user_sgpr_dispatch_id 0
		.amdhsa_user_sgpr_flat_scratch_init 0
		.amdhsa_user_sgpr_private_segment_size 0
		.amdhsa_wavefront_size32 1
		.amdhsa_uses_dynamic_stack 0
		.amdhsa_system_sgpr_private_segment_wavefront_offset 0
		.amdhsa_system_sgpr_workgroup_id_x 1
		.amdhsa_system_sgpr_workgroup_id_y 1
		.amdhsa_system_sgpr_workgroup_id_z 1
		.amdhsa_system_sgpr_workgroup_info 0
		.amdhsa_system_vgpr_workitem_id 0
		.amdhsa_next_free_vgpr 118
		.amdhsa_next_free_sgpr 38
		.amdhsa_reserve_vcc 1
		.amdhsa_reserve_flat_scratch 0
		.amdhsa_float_round_mode_32 0
		.amdhsa_float_round_mode_16_64 0
		.amdhsa_float_denorm_mode_32 3
		.amdhsa_float_denorm_mode_16_64 3
		.amdhsa_dx10_clamp 1
		.amdhsa_ieee_mode 1
		.amdhsa_fp16_overflow 0
		.amdhsa_workgroup_processor_mode 1
		.amdhsa_memory_ordered 1
		.amdhsa_forward_progress 1
		.amdhsa_shared_vgpr_count 0
		.amdhsa_exception_fp_ieee_invalid_op 0
		.amdhsa_exception_fp_denorm_src 0
		.amdhsa_exception_fp_ieee_div_zero 0
		.amdhsa_exception_fp_ieee_overflow 0
		.amdhsa_exception_fp_ieee_underflow 0
		.amdhsa_exception_fp_ieee_inexact 0
		.amdhsa_exception_int_div_zero 0
	.end_amdhsa_kernel
	.section	.text._ZN4vllm25paged_attention_v1_kernelIffLi64ELi32ELi128ELNS_18Fp8KVCacheDataTypeE0ELb1EEEvPT_PKS2_PKT0_S8_ifPKiSA_iPKfiiiSC_SC_iiiii,"axG",@progbits,_ZN4vllm25paged_attention_v1_kernelIffLi64ELi32ELi128ELNS_18Fp8KVCacheDataTypeE0ELb1EEEvPT_PKS2_PKT0_S8_ifPKiSA_iPKfiiiSC_SC_iiiii,comdat
.Lfunc_end37:
	.size	_ZN4vllm25paged_attention_v1_kernelIffLi64ELi32ELi128ELNS_18Fp8KVCacheDataTypeE0ELb1EEEvPT_PKS2_PKT0_S8_ifPKiSA_iPKfiiiSC_SC_iiiii, .Lfunc_end37-_ZN4vllm25paged_attention_v1_kernelIffLi64ELi32ELi128ELNS_18Fp8KVCacheDataTypeE0ELb1EEEvPT_PKS2_PKT0_S8_ifPKiSA_iPKfiiiSC_SC_iiiii
                                        ; -- End function
	.set _ZN4vllm25paged_attention_v1_kernelIffLi64ELi32ELi128ELNS_18Fp8KVCacheDataTypeE0ELb1EEEvPT_PKS2_PKT0_S8_ifPKiSA_iPKfiiiSC_SC_iiiii.num_vgpr, 118
	.set _ZN4vllm25paged_attention_v1_kernelIffLi64ELi32ELi128ELNS_18Fp8KVCacheDataTypeE0ELb1EEEvPT_PKS2_PKT0_S8_ifPKiSA_iPKfiiiSC_SC_iiiii.num_agpr, 0
	.set _ZN4vllm25paged_attention_v1_kernelIffLi64ELi32ELi128ELNS_18Fp8KVCacheDataTypeE0ELb1EEEvPT_PKS2_PKT0_S8_ifPKiSA_iPKfiiiSC_SC_iiiii.numbered_sgpr, 38
	.set _ZN4vllm25paged_attention_v1_kernelIffLi64ELi32ELi128ELNS_18Fp8KVCacheDataTypeE0ELb1EEEvPT_PKS2_PKT0_S8_ifPKiSA_iPKfiiiSC_SC_iiiii.num_named_barrier, 0
	.set _ZN4vllm25paged_attention_v1_kernelIffLi64ELi32ELi128ELNS_18Fp8KVCacheDataTypeE0ELb1EEEvPT_PKS2_PKT0_S8_ifPKiSA_iPKfiiiSC_SC_iiiii.private_seg_size, 0
	.set _ZN4vllm25paged_attention_v1_kernelIffLi64ELi32ELi128ELNS_18Fp8KVCacheDataTypeE0ELb1EEEvPT_PKS2_PKT0_S8_ifPKiSA_iPKfiiiSC_SC_iiiii.uses_vcc, 1
	.set _ZN4vllm25paged_attention_v1_kernelIffLi64ELi32ELi128ELNS_18Fp8KVCacheDataTypeE0ELb1EEEvPT_PKS2_PKT0_S8_ifPKiSA_iPKfiiiSC_SC_iiiii.uses_flat_scratch, 0
	.set _ZN4vllm25paged_attention_v1_kernelIffLi64ELi32ELi128ELNS_18Fp8KVCacheDataTypeE0ELb1EEEvPT_PKS2_PKT0_S8_ifPKiSA_iPKfiiiSC_SC_iiiii.has_dyn_sized_stack, 0
	.set _ZN4vllm25paged_attention_v1_kernelIffLi64ELi32ELi128ELNS_18Fp8KVCacheDataTypeE0ELb1EEEvPT_PKS2_PKT0_S8_ifPKiSA_iPKfiiiSC_SC_iiiii.has_recursion, 0
	.set _ZN4vllm25paged_attention_v1_kernelIffLi64ELi32ELi128ELNS_18Fp8KVCacheDataTypeE0ELb1EEEvPT_PKS2_PKT0_S8_ifPKiSA_iPKfiiiSC_SC_iiiii.has_indirect_call, 0
	.section	.AMDGPU.csdata,"",@progbits
; Kernel info:
; codeLenInByte = 8196
; TotalNumSgprs: 40
; NumVgprs: 118
; ScratchSize: 0
; MemoryBound: 0
; FloatMode: 240
; IeeeMode: 1
; LDSByteSize: 288 bytes/workgroup (compile time only)
; SGPRBlocks: 0
; VGPRBlocks: 14
; NumSGPRsForWavesPerEU: 40
; NumVGPRsForWavesPerEU: 118
; Occupancy: 8
; WaveLimiterHint : 1
; COMPUTE_PGM_RSRC2:SCRATCH_EN: 0
; COMPUTE_PGM_RSRC2:USER_SGPR: 6
; COMPUTE_PGM_RSRC2:TRAP_HANDLER: 0
; COMPUTE_PGM_RSRC2:TGID_X_EN: 1
; COMPUTE_PGM_RSRC2:TGID_Y_EN: 1
; COMPUTE_PGM_RSRC2:TGID_Z_EN: 1
; COMPUTE_PGM_RSRC2:TIDIG_COMP_CNT: 0
	.section	.text._ZN4vllm25paged_attention_v1_kernelIffLi80ELi32ELi128ELNS_18Fp8KVCacheDataTypeE0ELb1EEEvPT_PKS2_PKT0_S8_ifPKiSA_iPKfiiiSC_SC_iiiii,"axG",@progbits,_ZN4vllm25paged_attention_v1_kernelIffLi80ELi32ELi128ELNS_18Fp8KVCacheDataTypeE0ELb1EEEvPT_PKS2_PKT0_S8_ifPKiSA_iPKfiiiSC_SC_iiiii,comdat
	.protected	_ZN4vllm25paged_attention_v1_kernelIffLi80ELi32ELi128ELNS_18Fp8KVCacheDataTypeE0ELb1EEEvPT_PKS2_PKT0_S8_ifPKiSA_iPKfiiiSC_SC_iiiii ; -- Begin function _ZN4vllm25paged_attention_v1_kernelIffLi80ELi32ELi128ELNS_18Fp8KVCacheDataTypeE0ELb1EEEvPT_PKS2_PKT0_S8_ifPKiSA_iPKfiiiSC_SC_iiiii
	.globl	_ZN4vllm25paged_attention_v1_kernelIffLi80ELi32ELi128ELNS_18Fp8KVCacheDataTypeE0ELb1EEEvPT_PKS2_PKT0_S8_ifPKiSA_iPKfiiiSC_SC_iiiii
	.p2align	8
	.type	_ZN4vllm25paged_attention_v1_kernelIffLi80ELi32ELi128ELNS_18Fp8KVCacheDataTypeE0ELb1EEEvPT_PKS2_PKT0_S8_ifPKiSA_iPKfiiiSC_SC_iiiii,@function
_ZN4vllm25paged_attention_v1_kernelIffLi80ELi32ELi128ELNS_18Fp8KVCacheDataTypeE0ELb1EEEvPT_PKS2_PKT0_S8_ifPKiSA_iPKfiiiSC_SC_iiiii: ; @_ZN4vllm25paged_attention_v1_kernelIffLi80ELi32ELi128ELNS_18Fp8KVCacheDataTypeE0ELb1EEEvPT_PKS2_PKT0_S8_ifPKiSA_iPKfiiiSC_SC_iiiii
; %bb.0:
	s_clause 0x2
	s_load_dword s9, s[4:5], 0x80
	s_load_dwordx2 s[0:1], s[4:5], 0x30
	s_load_dwordx2 s[2:3], s[4:5], 0x20
	s_mov_b32 s10, s7
	s_ashr_i32 s11, s7, 31
	s_mov_b32 s31, 0
	s_lshl_b64 s[12:13], s[10:11], 2
	s_waitcnt lgkmcnt(0)
	s_add_u32 s0, s0, s12
	s_addc_u32 s1, s1, s13
	s_abs_i32 s7, s2
	s_abs_i32 s13, s9
	v_cvt_f32_u32_e32 v1, s7
	s_sub_i32 s12, 0, s7
	v_rcp_iflag_f32_e32 v1, v1
	v_mul_f32_e32 v1, 0x4f7ffffe, v1
	v_cvt_u32_f32_e32 v1, v1
	v_readfirstlane_b32 s11, v1
	s_mul_i32 s12, s12, s11
	s_mul_hi_u32 s12, s11, s12
	s_add_i32 s11, s11, s12
	s_xor_b32 s12, s9, s2
	s_mul_hi_u32 s11, s13, s11
	s_ashr_i32 s12, s12, 31
	s_mul_i32 s14, s11, s7
	s_sub_i32 s13, s13, s14
	s_add_i32 s14, s11, 1
	s_sub_i32 s15, s13, s7
	s_cmp_ge_u32 s13, s7
	s_cselect_b32 s11, s14, s11
	s_cselect_b32 s13, s15, s13
	s_add_i32 s14, s11, 1
	s_cmp_ge_u32 s13, s7
	s_cselect_b32 s7, s14, s11
	s_abs_i32 s22, s6
	s_xor_b32 s7, s7, s12
	s_sub_i32 s16, s7, s12
	s_load_dwordx2 s[12:13], s[4:5], 0x40
	s_abs_i32 s11, s16
	v_cvt_f32_u32_e32 v1, s11
	s_sub_i32 s14, 0, s11
	v_rcp_iflag_f32_e32 v1, v1
	v_mul_f32_e32 v1, 0x4f7ffffe, v1
	v_cvt_u32_f32_e32 v1, v1
	v_readfirstlane_b32 s7, v1
	s_mul_i32 s14, s14, s7
	s_mul_hi_u32 s14, s7, s14
	s_add_i32 s7, s7, s14
	s_waitcnt lgkmcnt(0)
	s_cmp_eq_u64 s[12:13], 0
	s_mul_hi_u32 s23, s22, s7
	s_cbranch_scc1 .LBB38_2
; %bb.1:
	s_ashr_i32 s7, s6, 31
	s_lshl_b64 s[14:15], s[6:7], 2
	s_add_u32 s12, s12, s14
	s_addc_u32 s13, s13, s15
	s_load_dword s31, s[12:13], 0x0
.LBB38_2:
	s_load_dword s28, s[0:1], 0x0
	s_load_dwordx4 s[12:15], s[4:5], 0x48
	v_lshlrev_b32_e32 v85, 4, v0
	s_ashr_i32 s0, s6, 31
	s_ashr_i32 s1, s16, 31
	s_mul_i32 s20, s6, 0x50
	s_mov_b32 s7, exec_lo
	v_cmpx_gt_u32_e32 20, v0
	s_cbranch_execz .LBB38_4
; %bb.3:
	s_load_dwordx2 s[16:17], s[4:5], 0x8
	s_waitcnt lgkmcnt(0)
	s_mul_i32 s18, s12, s10
	s_ashr_i32 s19, s18, 31
	s_lshl_b64 s[18:19], s[18:19], 2
	s_add_u32 s12, s16, s18
	s_addc_u32 s15, s17, s19
	s_ashr_i32 s21, s20, 31
	s_lshl_b64 s[16:17], s[20:21], 2
	s_add_u32 s16, s12, s16
	s_addc_u32 s17, s15, s17
	global_load_dwordx4 v[1:4], v85, s[16:17]
	s_waitcnt vmcnt(0)
	ds_write_b128 v85, v[1:4]
.LBB38_4:
	s_or_b32 exec_lo, exec_lo, s7
	s_load_dwordx4 s[16:19], s[4:5], 0x68
	s_mul_i32 s7, s23, s11
	s_xor_b32 s1, s0, s1
	s_sub_i32 s0, s22, s7
	s_add_i32 s7, s23, 1
	s_waitcnt lgkmcnt(0)
	s_sub_i32 s12, s0, s11
	s_cmp_ge_u32 s0, s11
	s_mov_b32 s24, -1
	s_cselect_b32 s7, s7, s23
	s_cselect_b32 s0, s12, s0
	s_add_i32 s12, s7, 1
	s_cmp_ge_u32 s0, s11
	s_load_dword s0, s[4:5], 0x78
	s_cselect_b32 s7, s12, s7
	s_add_i32 s11, s28, -1
	s_xor_b32 s7, s7, s1
	s_waitcnt lgkmcnt(0)
	s_sub_i32 s1, s7, s1
	s_barrier
	buffer_gl0_inv
	s_abs_i32 s12, s19
                                        ; implicit-def: $sgpr29
	v_cvt_f32_u32_e32 v1, s12
	s_sub_i32 s7, 0, s12
	v_rcp_iflag_f32_e32 v1, v1
	v_mul_f32_e32 v1, 0x4f7ffffe, v1
	v_cvt_u32_f32_e32 v1, v1
	v_readfirstlane_b32 s21, v1
	s_mul_i32 s7, s7, s21
	s_mul_hi_u32 s15, s21, s7
	s_abs_i32 s7, s11
	s_add_i32 s21, s21, s15
	s_cmp_lt_i32 s0, 0
	s_mul_hi_u32 s15, s7, s21
	s_cbranch_scc0 .LBB38_6
; %bb.5:
	s_mul_i32 s2, s16, s2
	s_mov_b32 s24, 0
	s_add_i32 s2, s1, s2
	s_mul_i32 s2, s2, s0
	s_sub_i32 s29, 1, s2
.LBB38_6:
	s_load_dwordx2 s[22:23], s[4:5], 0x28
	s_ashr_i32 s2, s11, 31
	s_andn2_b32 vcc_lo, exec_lo, s24
	s_ashr_i32 s19, s19, 31
	s_cbranch_vccnz .LBB38_8
; %bb.7:
	s_mul_i32 s11, s9, s16
	s_add_i32 s6, s11, s6
	s_mul_i32 s0, s6, s0
	s_add_i32 s29, s0, 1
.LBB38_8:
	s_load_dword s0, s[4:5], 0x38
	s_mul_i32 s6, s15, s12
	s_xor_b32 s2, s2, s19
	s_sub_i32 s30, s7, s6
	s_add_i32 s16, s15, 1
	s_clause 0x2
	s_load_dwordx2 s[6:7], s[4:5], 0x0
	s_load_dwordx2 s[26:27], s[4:5], 0x18
	s_load_dword s11, s[4:5], 0x88
	v_lshrrev_b32_e32 v87, 5, v0
	v_and_b32_e32 v88, 31, v0
	v_mov_b32_e32 v90, 0xff7fffff
	v_lshrrev_b32_e32 v86, 3, v0
	s_mul_i32 s14, s1, s14
	v_lshlrev_b32_e32 v89, 5, v87
	v_lshlrev_b32_e32 v93, 2, v88
	s_waitcnt lgkmcnt(0)
	s_mul_i32 s24, s0, s10
	s_sub_i32 s0, s30, s12
	s_ashr_i32 s25, s24, 31
	s_cmp_ge_u32 s30, s12
	s_cselect_b32 s15, s16, s15
	s_cselect_b32 s0, s0, s30
	s_add_i32 s16, s15, 1
	s_cmp_ge_u32 s0, s12
	s_cselect_b32 s0, s16, s15
	s_add_i32 s15, s28, 31
	s_ashr_i32 s16, s15, 31
	s_lshr_b32 s16, s16, 27
	s_add_i32 s15, s15, s16
	s_ashr_i32 s16, s15, 5
	s_xor_b32 s15, s0, s2
	v_cmp_gt_i32_e64 s0, s16, v87
	s_sub_i32 s30, s15, s2
	s_and_saveexec_b32 s33, s0
	s_cbranch_execz .LBB38_16
; %bb.9:
	s_load_dwordx2 s[34:35], s[4:5], 0x10
	s_ashr_i32 s15, s14, 31
	s_sub_i32 s4, s30, s17
	s_lshl_b64 s[36:37], s[14:15], 2
	v_mov_b32_e32 v77, 0
	v_subrev_nc_u32_e32 v83, s28, v88
	v_lshlrev_b32_e32 v81, 4, v88
	v_and_b32_e32 v82, 0x7c, v86
	v_lshl_or_b32 v84, v87, 7, v93
	v_cmp_neq_f32_e64 vcc_lo, s31, 0
	v_add_nc_u32_e32 v95, 1, v83
	v_lshlrev_b32_e32 v91, 5, v87
	v_mov_b32_e32 v92, 0xff7fffff
	v_mov_b32_e32 v90, 0xff7fffff
	;; [unrolled: 1-line block ×3, first 2 shown]
	v_add_nc_u32_e32 v96, 0x160, v84
	s_waitcnt lgkmcnt(0)
	s_add_u32 s1, s34, s36
	s_addc_u32 s2, s35, s37
	s_abs_i32 s5, s18
	s_lshl_b64 s[34:35], s[24:25], 2
	v_cvt_f32_u32_e32 v1, s5
	s_sub_i32 s15, 0, s5
	v_rcp_iflag_f32_e32 v33, v1
	ds_read_b128 v[1:4], v77
	ds_read_b128 v[5:8], v77 offset:16
	ds_read_b128 v[9:12], v77 offset:32
	;; [unrolled: 1-line block ×7, first 2 shown]
	v_mul_f32_e32 v49, 0x4f7ffffe, v33
	ds_read_b128 v[33:36], v77 offset:128
	ds_read_b128 v[37:40], v77 offset:144
	ds_read_b128 v[41:44], v77 offset:160
	ds_read_b128 v[45:48], v77 offset:176
	v_cvt_u32_f32_e32 v99, v49
	ds_read_b128 v[49:52], v77 offset:192
	ds_read_b128 v[53:56], v77 offset:208
	;; [unrolled: 1-line block ×8, first 2 shown]
	v_mul_lo_u32 v97, s15, v99
	s_mov_b32 s15, 0
	v_mul_hi_u32 v83, v99, v97
	v_add_co_u32 v97, s1, s1, v81
	v_add_co_ci_u32_e64 v98, null, s2, 0, s1
	s_add_u32 s1, s22, s34
	s_addc_u32 s2, s23, s35
	v_add_co_u32 v81, s1, s1, v82
	v_add_co_ci_u32_e64 v82, null, s2, 0, s1
	v_add_nc_u32_e32 v99, v99, v83
	s_mov_b32 s34, s13
	s_branch .LBB38_11
.LBB38_10:                              ;   in Loop: Header=BB38_11 Depth=1
	s_or_b32 exec_lo, exec_lo, s2
	v_add_nc_u32_e32 v94, 4, v94
	v_add_co_u32 v81, s2, v81, 16
	v_add_co_ci_u32_e64 v82, null, 0, v82, s2
	v_cmp_le_i32_e64 s1, s16, v94
	v_add_nc_u32_e32 v91, 0x80, v91
	v_add_nc_u32_e32 v96, 0x200, v96
	s_or_b32 s15, s1, s15
	s_andn2_b32 exec_lo, exec_lo, s15
	s_cbranch_execz .LBB38_15
.LBB38_11:                              ; =>This Inner Loop Header: Depth=1
	v_mul_hi_u32 v83, v91, s21
	v_mul_lo_u32 v84, v83, s12
	v_add_nc_u32_e32 v100, 1, v83
	v_sub_nc_u32_e32 v84, v91, v84
	v_subrev_nc_u32_e32 v101, s12, v84
	v_cmp_le_u32_e64 s1, s12, v84
	v_cndmask_b32_e64 v83, v83, v100, s1
	v_cndmask_b32_e64 v84, v84, v101, s1
	v_add_nc_u32_e32 v100, 1, v83
	v_cmp_le_u32_e64 s1, s12, v84
	v_cndmask_b32_e64 v83, v83, v100, s1
	v_xor_b32_e32 v83, s19, v83
	v_subrev_nc_u32_e32 v83, s19, v83
	v_add_nc_u32_e32 v84, s29, v83
	v_cmp_ge_i32_e64 s2, s4, v83
	v_sub_nc_u32_e32 v100, 0, v84
	v_max_i32_e32 v100, v84, v100
	v_ashrrev_i32_e32 v84, 31, v84
	v_mul_hi_u32 v101, v100, v99
	v_mul_lo_u32 v101, v101, s5
	v_sub_nc_u32_e32 v100, v100, v101
	v_subrev_nc_u32_e32 v101, s5, v100
	v_cmp_le_u32_e64 s1, s5, v100
	v_cndmask_b32_e64 v100, v100, v101, s1
	v_subrev_nc_u32_e32 v101, s5, v100
	v_cmp_le_u32_e64 s1, s5, v100
	v_cndmask_b32_e64 v100, v100, v101, s1
	v_xor_b32_e32 v100, v100, v84
	v_sub_nc_u32_e32 v84, v100, v84
	v_cmp_ne_u32_e64 s1, 0, v84
	s_and_b32 s1, s1, s2
	s_and_saveexec_b32 s2, s1
	s_xor_b32 s1, exec_lo, s2
; %bb.12:                               ;   in Loop: Header=BB38_11 Depth=1
	ds_write_b32 v96, v92
; %bb.13:                               ;   in Loop: Header=BB38_11 Depth=1
	s_andn2_saveexec_b32 s2, s1
	s_cbranch_execz .LBB38_10
; %bb.14:                               ;   in Loop: Header=BB38_11 Depth=1
	global_load_dword v83, v[81:82], off
	s_waitcnt vmcnt(0)
	v_mad_i64_i32 v[83:84], null, v83, s34, 0
	v_lshlrev_b64 v[83:84], 2, v[83:84]
	v_add_co_u32 v83, s1, v97, v83
	v_add_co_ci_u32_e64 v84, null, v98, v84, s1
	v_add_co_u32 v108, s1, v83, 0x1000
	global_load_dwordx4 v[102:105], v[83:84], off offset:512
	v_add_co_ci_u32_e64 v109, null, 0, v84, s1
	v_add_co_u32 v110, s1, 0x800, v83
	v_add_co_ci_u32_e64 v111, null, 0, v84, s1
	s_waitcnt vmcnt(0) lgkmcnt(18)
	v_mul_f32_e32 v101, v7, v104
	v_mul_f32_e32 v100, v8, v105
	global_load_dwordx4 v[104:107], v[83:84], off
	v_mul_f32_e32 v102, v5, v102
	v_mul_f32_e32 v103, v6, v103
	s_waitcnt vmcnt(0)
	v_fmac_f32_e32 v102, v1, v104
	v_fmac_f32_e32 v103, v2, v105
	;; [unrolled: 1-line block ×4, first 2 shown]
	global_load_dwordx4 v[104:107], v[83:84], off offset:1024
	s_waitcnt vmcnt(0) lgkmcnt(17)
	v_fmac_f32_e32 v102, v9, v104
	v_fmac_f32_e32 v103, v10, v105
	;; [unrolled: 1-line block ×4, first 2 shown]
	global_load_dwordx4 v[104:107], v[83:84], off offset:1536
	s_waitcnt vmcnt(0) lgkmcnt(16)
	v_fmac_f32_e32 v102, v13, v104
	v_fmac_f32_e32 v103, v14, v105
	;; [unrolled: 1-line block ×4, first 2 shown]
	global_load_dwordx4 v[104:107], v[108:109], off offset:-2048
	s_waitcnt vmcnt(0) lgkmcnt(15)
	v_fmac_f32_e32 v102, v17, v104
	v_fmac_f32_e32 v103, v18, v105
	v_fmac_f32_e32 v101, v19, v106
	v_fmac_f32_e32 v100, v20, v107
	global_load_dwordx4 v[104:107], v[110:111], off offset:512
	s_waitcnt vmcnt(0) lgkmcnt(14)
	v_fmac_f32_e32 v102, v21, v104
	v_fmac_f32_e32 v103, v22, v105
	v_fmac_f32_e32 v101, v23, v106
	v_fmac_f32_e32 v100, v24, v107
	global_load_dwordx4 v[104:107], v[110:111], off offset:1024
	;; [unrolled: 6-line block ×3, first 2 shown]
	s_waitcnt vmcnt(0) lgkmcnt(12)
	v_fmac_f32_e32 v102, v29, v104
	v_fmac_f32_e32 v103, v30, v105
	;; [unrolled: 1-line block ×4, first 2 shown]
	global_load_dwordx4 v[104:107], v[108:109], off
	v_add_co_u32 v108, s1, 0x1000, v83
	v_add_co_ci_u32_e64 v109, null, 0, v84, s1
	s_waitcnt vmcnt(0) lgkmcnt(11)
	v_fmac_f32_e32 v102, v33, v104
	v_fmac_f32_e32 v103, v34, v105
	v_fmac_f32_e32 v101, v35, v106
	v_fmac_f32_e32 v100, v36, v107
	global_load_dwordx4 v[104:107], v[108:109], off offset:512
	s_waitcnt vmcnt(0) lgkmcnt(10)
	v_fmac_f32_e32 v102, v37, v104
	v_fmac_f32_e32 v103, v38, v105
	v_fmac_f32_e32 v101, v39, v106
	v_fmac_f32_e32 v100, v40, v107
	global_load_dwordx4 v[104:107], v[108:109], off offset:1024
	;; [unrolled: 6-line block ×3, first 2 shown]
	v_add_co_u32 v108, s1, v83, 0x2000
	v_add_co_ci_u32_e64 v109, null, 0, v84, s1
	v_add_co_u32 v110, s1, 0x1800, v83
	v_add_co_ci_u32_e64 v111, null, 0, v84, s1
	;; [unrolled: 2-line block ×3, first 2 shown]
	s_waitcnt vmcnt(0) lgkmcnt(8)
	v_fmac_f32_e32 v102, v45, v104
	v_fmac_f32_e32 v103, v46, v105
	;; [unrolled: 1-line block ×4, first 2 shown]
	global_load_dwordx4 v[104:107], v[108:109], off offset:-2048
	s_waitcnt vmcnt(0) lgkmcnt(7)
	v_fmac_f32_e32 v102, v49, v104
	v_fmac_f32_e32 v103, v50, v105
	v_fmac_f32_e32 v101, v51, v106
	v_fmac_f32_e32 v100, v52, v107
	global_load_dwordx4 v[104:107], v[110:111], off offset:512
	s_waitcnt vmcnt(0) lgkmcnt(6)
	v_fmac_f32_e32 v102, v53, v104
	v_fmac_f32_e32 v103, v54, v105
	v_fmac_f32_e32 v101, v55, v106
	v_fmac_f32_e32 v100, v56, v107
	global_load_dwordx4 v[104:107], v[110:111], off offset:1024
	;; [unrolled: 6-line block ×3, first 2 shown]
	s_waitcnt vmcnt(0) lgkmcnt(4)
	v_fmac_f32_e32 v102, v61, v104
	v_fmac_f32_e32 v103, v62, v105
	v_fmac_f32_e32 v101, v63, v106
	v_fmac_f32_e32 v100, v64, v107
	global_load_dwordx4 v[104:107], v[108:109], off
	s_waitcnt vmcnt(0) lgkmcnt(3)
	v_fmac_f32_e32 v102, v65, v104
	v_fmac_f32_e32 v103, v66, v105
	;; [unrolled: 1-line block ×4, first 2 shown]
	global_load_dwordx4 v[104:107], v[83:84], off offset:512
	s_waitcnt vmcnt(0) lgkmcnt(2)
	v_fmac_f32_e32 v102, v69, v104
	v_fmac_f32_e32 v103, v70, v105
	;; [unrolled: 1-line block ×4, first 2 shown]
	s_clause 0x1
	global_load_dwordx4 v[104:107], v[83:84], off offset:1024
	global_load_dwordx4 v[108:111], v[83:84], off offset:1536
	v_add_nc_u32_e32 v83, v95, v91
	v_cvt_f32_i32_e32 v83, v83
	v_mul_f32_e32 v83, s31, v83
	v_cndmask_b32_e32 v83, 0, v83, vcc_lo
	s_waitcnt vmcnt(1) lgkmcnt(1)
	v_fmac_f32_e32 v102, v73, v104
	v_fmac_f32_e32 v103, v74, v105
	v_fmac_f32_e32 v101, v75, v106
	v_fmac_f32_e32 v100, v76, v107
	s_waitcnt vmcnt(0) lgkmcnt(0)
	v_fmac_f32_e32 v102, v77, v108
	v_fmac_f32_e32 v103, v78, v109
	;; [unrolled: 1-line block ×4, first 2 shown]
	v_add_f32_e32 v84, v102, v103
	v_add_f32_e32 v84, v101, v84
	v_add_nc_u32_e32 v101, v88, v91
	v_add_f32_e32 v84, v100, v84
	v_max_f32_e32 v100, v90, v90
	v_cmp_gt_i32_e64 s1, s28, v101
	v_fmac_f32_e32 v83, s3, v84
	v_max_f32_e32 v84, v100, v83
	v_cndmask_b32_e64 v83, 0, v83, s1
	v_cndmask_b32_e64 v90, v90, v84, s1
	ds_write_b32 v96, v83
	s_branch .LBB38_10
.LBB38_15:
	s_or_b32 exec_lo, exec_lo, s15
.LBB38_16:
	s_or_b32 exec_lo, exec_lo, s33
	s_waitcnt lgkmcnt(19)
	v_mbcnt_lo_u32_b32 v2, -1, 0
	s_waitcnt lgkmcnt(18)
	v_max_f32_e32 v5, v90, v90
	v_xor_b32_e32 v1, 16, v2
	v_xor_b32_e32 v4, 8, v2
	v_cmp_gt_i32_e32 vcc_lo, 32, v1
	v_cndmask_b32_e32 v1, v2, v1, vcc_lo
	v_cmp_gt_i32_e32 vcc_lo, 32, v4
	v_lshlrev_b32_e32 v1, 2, v1
	v_cndmask_b32_e32 v4, v2, v4, vcc_lo
	ds_bpermute_b32 v3, v1, v90
	s_waitcnt lgkmcnt(0)
	v_max_f32_e32 v6, v3, v3
	v_lshlrev_b32_e32 v3, 2, v4
	v_max_f32_e32 v4, v5, v6
	v_xor_b32_e32 v6, 4, v2
	ds_bpermute_b32 v5, v3, v4
	v_cmp_gt_i32_e32 vcc_lo, 32, v6
	v_cndmask_b32_e32 v6, v2, v6, vcc_lo
	v_lshlrev_b32_e32 v92, 2, v6
	v_xor_b32_e32 v6, 2, v2
	v_cmp_gt_i32_e32 vcc_lo, 32, v6
	s_waitcnt lgkmcnt(0)
	v_max_f32_e32 v5, v5, v5
	v_cndmask_b32_e32 v6, v2, v6, vcc_lo
	v_max_f32_e32 v4, v4, v5
	v_lshlrev_b32_e32 v91, 2, v6
	v_xor_b32_e32 v6, 1, v2
	ds_bpermute_b32 v5, v92, v4
	v_cmp_gt_i32_e32 vcc_lo, 32, v6
	v_cndmask_b32_e32 v6, v2, v6, vcc_lo
	v_cmp_eq_u32_e32 vcc_lo, 0, v88
	v_lshlrev_b32_e32 v90, 2, v6
	s_waitcnt lgkmcnt(0)
	v_max_f32_e32 v5, v5, v5
	v_max_f32_e32 v4, v4, v5
	ds_bpermute_b32 v5, v91, v4
	s_waitcnt lgkmcnt(0)
	v_max_f32_e32 v5, v5, v5
	v_max_f32_e32 v2, v4, v5
	v_lshlrev_b32_e32 v4, 2, v87
	ds_bpermute_b32 v5, v90, v2
	s_and_saveexec_b32 s1, vcc_lo
	s_cbranch_execz .LBB38_18
; %bb.17:
	s_waitcnt lgkmcnt(0)
	v_max_f32_e32 v5, v5, v5
	v_max_f32_e32 v2, v2, v2
	;; [unrolled: 1-line block ×3, first 2 shown]
	ds_write_b32 v4, v2 offset:320
.LBB38_18:
	s_or_b32 exec_lo, exec_lo, s1
	v_cmp_gt_u32_e64 s1, 4, v88
	v_mov_b32_e32 v2, 0xff7fffff
	s_waitcnt lgkmcnt(0)
	s_barrier
	buffer_gl0_inv
	s_and_saveexec_b32 s2, s1
; %bb.19:
	ds_read_b32 v2, v93 offset:320
; %bb.20:
	s_or_b32 exec_lo, exec_lo, s2
	s_waitcnt lgkmcnt(0)
	ds_bpermute_b32 v5, v91, v2
	v_max_f32_e32 v2, v2, v2
	s_lshl_b32 s2, s16, 5
	s_min_i32 s4, s2, s28
	v_cmp_gt_i32_e64 s2, s4, v0
	s_waitcnt lgkmcnt(0)
	v_max_f32_e32 v5, v5, v5
	v_max_f32_e32 v2, v2, v5
	ds_bpermute_b32 v5, v90, v2
	s_waitcnt lgkmcnt(0)
	v_max_f32_e32 v5, v5, v5
	v_max_f32_e32 v2, v2, v5
	v_mov_b32_e32 v5, 0
	ds_bpermute_b32 v6, v5, v2
	v_lshl_add_u32 v2, v0, 2, 0x160
	s_and_saveexec_b32 s5, s2
	s_cbranch_execz .LBB38_24
; %bb.21:
	v_lshl_add_u32 v7, v0, 2, 0x160
	v_mov_b32_e32 v5, 0
	v_mov_b32_e32 v8, v0
	s_mov_b32 s15, 0
	.p2align	6
.LBB38_22:                              ; =>This Inner Loop Header: Depth=1
	ds_read_b32 v9, v7
	v_add_nc_u32_e32 v8, 0x80, v8
	v_cmp_le_i32_e64 s3, s4, v8
	s_or_b32 s15, s3, s15
	s_waitcnt lgkmcnt(0)
	v_sub_f32_e32 v9, v9, v6
	v_mul_f32_e32 v9, 0x3fb8aa3b, v9
	v_exp_f32_e32 v9, v9
	ds_write_b32 v7, v9
	v_add_f32_e32 v5, v5, v9
	v_add_nc_u32_e32 v7, 0x200, v7
	s_andn2_b32 exec_lo, exec_lo, s15
	s_cbranch_execnz .LBB38_22
; %bb.23:
	s_or_b32 exec_lo, exec_lo, s15
.LBB38_24:
	s_or_b32 exec_lo, exec_lo, s5
	ds_bpermute_b32 v1, v1, v5
	s_waitcnt lgkmcnt(0)
	v_add_f32_e32 v1, v5, v1
	ds_bpermute_b32 v3, v3, v1
	s_waitcnt lgkmcnt(0)
	v_add_f32_e32 v1, v1, v3
	;; [unrolled: 3-line block ×5, first 2 shown]
	s_and_saveexec_b32 s3, vcc_lo
; %bb.25:
	ds_write_b32 v4, v1 offset:336
; %bb.26:
	s_or_b32 exec_lo, exec_lo, s3
	s_waitcnt lgkmcnt(0)
	s_barrier
	buffer_gl0_inv
	s_and_saveexec_b32 s3, s1
; %bb.27:
	ds_read_b32 v1, v93 offset:336
; %bb.28:
	s_or_b32 exec_lo, exec_lo, s3
	s_waitcnt lgkmcnt(0)
	ds_bpermute_b32 v3, v91, v1
	s_waitcnt lgkmcnt(0)
	v_add_f32_e32 v1, v1, v3
	ds_bpermute_b32 v3, v90, v1
	s_waitcnt lgkmcnt(0)
	v_add_f32_e32 v1, v1, v3
	v_mov_b32_e32 v3, 0
	ds_bpermute_b32 v1, v3, v1
	s_and_saveexec_b32 s1, s2
	s_cbranch_execz .LBB38_31
; %bb.29:
	s_waitcnt lgkmcnt(0)
	v_add_f32_e32 v1, 0x358637bd, v1
	s_mov_b32 s2, 0
	v_div_scale_f32 v3, null, v1, v1, 1.0
	v_div_scale_f32 v6, vcc_lo, 1.0, v1, 1.0
	v_rcp_f32_e32 v4, v3
	v_fma_f32 v5, -v3, v4, 1.0
	v_fmac_f32_e32 v4, v5, v4
	v_mul_f32_e32 v5, v6, v4
	v_fma_f32 v7, -v3, v5, v6
	v_fmac_f32_e32 v5, v7, v4
	v_fma_f32 v3, -v3, v5, v6
	v_div_fmas_f32 v3, v3, v4, v5
	v_div_fixup_f32 v1, v3, v1, 1.0
	v_mov_b32_e32 v3, v0
.LBB38_30:                              ; =>This Inner Loop Header: Depth=1
	ds_read_b32 v4, v2
	v_add_nc_u32_e32 v3, 0x80, v3
	v_cmp_le_i32_e32 vcc_lo, s4, v3
	s_or_b32 s2, vcc_lo, s2
	s_waitcnt lgkmcnt(0)
	v_mul_f32_e32 v4, v1, v4
	ds_write_b32 v2, v4
	v_add_nc_u32_e32 v2, 0x200, v2
	s_andn2_b32 exec_lo, exec_lo, s2
	s_cbranch_execnz .LBB38_30
.LBB38_31:
	s_or_b32 exec_lo, exec_lo, s1
	v_mov_b32_e32 v112, 0
	v_and_b32_e32 v93, 7, v0
	v_mov_b32_e32 v113, 0
	v_mov_b32_e32 v111, 0
	;; [unrolled: 1-line block ×19, first 2 shown]
	s_waitcnt lgkmcnt(0)
	s_barrier
	buffer_gl0_inv
	s_and_saveexec_b32 s1, s0
	s_cbranch_execz .LBB38_77
; %bb.32:
	s_ashr_i32 s15, s14, 31
	s_sub_i32 s2, s30, s17
	s_lshl_b64 s[4:5], s[14:15], 2
	v_lshlrev_b32_e32 v1, 2, v0
	s_add_u32 s0, s26, s4
	s_addc_u32 s5, s27, s5
	s_abs_i32 s3, s18
	v_and_b32_e32 v3, 0x1f0, v85
	v_cvt_f32_u32_e32 v2, s3
	s_sub_i32 s4, 0, s3
	v_and_b32_e32 v114, 28, v1
	v_lshlrev_b32_e32 v5, 4, v93
	v_and_b32_e32 v4, 0x7c, v86
	v_rcp_iflag_f32_e32 v2, v2
	s_lshl_b64 s[14:15], s[24:25], 2
	v_add_co_u32 v115, s0, s0, v3
	v_lshl_or_b32 v5, v87, 7, v5
	v_add_co_ci_u32_e64 v116, null, s5, 0, s0
	v_mov_b32_e32 v94, 0
	v_mov_b32_e32 v95, 0
	;; [unrolled: 1-line block ×3, first 2 shown]
	v_mul_f32_e32 v2, 0x4f7ffffe, v2
	v_mov_b32_e32 v97, 0
	v_mov_b32_e32 v98, 0
	;; [unrolled: 1-line block ×4, first 2 shown]
	v_cvt_u32_f32_e32 v2, v2
	v_mov_b32_e32 v101, 0
	v_mov_b32_e32 v102, 0
	;; [unrolled: 1-line block ×4, first 2 shown]
	v_mul_lo_u32 v1, s4, v2
	s_add_i32 s4, s16, -1
	s_add_u32 s0, s22, s14
	s_addc_u32 s5, s23, s15
	v_add_co_u32 v85, s0, s0, v4
	v_mov_b32_e32 v105, 0
	v_mov_b32_e32 v106, 0
	v_mul_hi_u32 v1, v2, v1
	v_mov_b32_e32 v107, 0
	v_mov_b32_e32 v108, 0
	;; [unrolled: 1-line block ×3, first 2 shown]
	v_add_nc_u32_e32 v117, 0x160, v5
	v_add_co_ci_u32_e64 v86, null, s5, 0, s0
	v_mov_b32_e32 v110, 0
	v_add_nc_u32_e32 v118, v2, v1
	v_mov_b32_e32 v111, 0
	v_mov_b32_e32 v113, 0
	;; [unrolled: 1-line block ×4, first 2 shown]
	s_mov_b32 s5, 0
	s_branch .LBB38_35
.LBB38_33:                              ;   in Loop: Header=BB38_35 Depth=1
	s_or_b32 exec_lo, exec_lo, s0
	s_waitcnt vmcnt(1) lgkmcnt(0)
	v_mul_f32_e32 v81, v1, v81
	v_mul_f32_e32 v77, v1, v77
	;; [unrolled: 1-line block ×19, first 2 shown]
	s_waitcnt vmcnt(0)
	v_mul_f32_e32 v1, v1, v65
	v_fmac_f32_e32 v81, v2, v82
	v_fmac_f32_e32 v77, v2, v78
	v_fmac_f32_e32 v73, v2, v74
	v_fmac_f32_e32 v69, v2, v70
	v_fmac_f32_e32 v61, v2, v62
	v_fmac_f32_e32 v57, v2, v58
	v_fmac_f32_e32 v53, v2, v54
	v_fmac_f32_e32 v49, v2, v50
	v_fmac_f32_e32 v45, v2, v46
	v_fmac_f32_e32 v41, v2, v42
	v_fmac_f32_e32 v37, v2, v38
	v_fmac_f32_e32 v33, v2, v34
	v_fmac_f32_e32 v29, v2, v30
	v_fmac_f32_e32 v25, v2, v26
	v_fmac_f32_e32 v21, v2, v22
	v_fmac_f32_e32 v17, v2, v18
	v_fmac_f32_e32 v13, v2, v14
	v_fmac_f32_e32 v9, v2, v10
	v_fmac_f32_e32 v5, v2, v6
	v_fmac_f32_e32 v1, v2, v66
	v_fmac_f32_e32 v81, v3, v83
	v_fmac_f32_e32 v77, v3, v79
	v_fmac_f32_e32 v73, v3, v75
	v_fmac_f32_e32 v69, v3, v71
	v_fmac_f32_e32 v61, v3, v63
	v_fmac_f32_e32 v57, v3, v59
	v_fmac_f32_e32 v53, v3, v55
	v_fmac_f32_e32 v49, v3, v51
	v_fmac_f32_e32 v45, v3, v47
	v_fmac_f32_e32 v41, v3, v43
	v_fmac_f32_e32 v37, v3, v39
	v_fmac_f32_e32 v33, v3, v35
	v_fmac_f32_e32 v29, v3, v31
	v_fmac_f32_e32 v25, v3, v27
	v_fmac_f32_e32 v21, v3, v23
	v_fmac_f32_e32 v17, v3, v19
	v_fmac_f32_e32 v13, v3, v15
	v_fmac_f32_e32 v9, v3, v11
	v_fmac_f32_e32 v5, v3, v7
	v_fmac_f32_e32 v1, v3, v67
	v_fmac_f32_e32 v81, v4, v84
	v_fmac_f32_e32 v77, v4, v80
	v_fmac_f32_e32 v73, v4, v76
	v_fmac_f32_e32 v69, v4, v72
	v_fmac_f32_e32 v61, v4, v64
	v_fmac_f32_e32 v57, v4, v60
	v_fmac_f32_e32 v53, v4, v56
	v_fmac_f32_e32 v49, v4, v52
	v_fmac_f32_e32 v45, v4, v48
	v_fmac_f32_e32 v41, v4, v44
	v_fmac_f32_e32 v37, v4, v40
	v_fmac_f32_e32 v33, v4, v36
	v_fmac_f32_e32 v29, v4, v32
	v_fmac_f32_e32 v25, v4, v28
	v_fmac_f32_e32 v21, v4, v24
	v_fmac_f32_e32 v17, v4, v20
	v_fmac_f32_e32 v13, v4, v16
	v_fmac_f32_e32 v9, v4, v12
	v_fmac_f32_e32 v5, v4, v8
	v_fmac_f32_e32 v1, v4, v68
	v_add_f32_e32 v95, v95, v81
	v_add_f32_e32 v96, v96, v77
	;; [unrolled: 1-line block ×20, first 2 shown]
.LBB38_34:                              ;   in Loop: Header=BB38_35 Depth=1
	s_or_b32 exec_lo, exec_lo, s14
	v_add_nc_u32_e32 v119, 4, v119
	v_add_co_u32 v85, s0, v85, 16
	v_add_co_ci_u32_e64 v86, null, 0, v86, s0
	v_cmp_le_i32_e32 vcc_lo, s16, v119
	v_add_nc_u32_e32 v89, 0x80, v89
	v_add_nc_u32_e32 v117, 0x200, v117
	s_or_b32 s5, vcc_lo, s5
	s_andn2_b32 exec_lo, exec_lo, s5
	s_cbranch_execz .LBB38_76
.LBB38_35:                              ; =>This Inner Loop Header: Depth=1
	v_mul_hi_u32 v1, v89, s21
	v_mul_lo_u32 v2, v1, s12
	v_add_nc_u32_e32 v3, 1, v1
	v_sub_nc_u32_e32 v2, v89, v2
	v_subrev_nc_u32_e32 v4, s12, v2
	v_cmp_le_u32_e32 vcc_lo, s12, v2
	v_cndmask_b32_e32 v1, v1, v3, vcc_lo
	v_cndmask_b32_e32 v2, v2, v4, vcc_lo
	v_add_nc_u32_e32 v3, 1, v1
	v_cmp_le_u32_e32 vcc_lo, s12, v2
	v_cndmask_b32_e32 v1, v1, v3, vcc_lo
	v_xor_b32_e32 v1, s19, v1
	v_subrev_nc_u32_e32 v1, s19, v1
	v_add_nc_u32_e32 v2, s29, v1
	v_cmp_lt_i32_e64 s0, s2, v1
	v_sub_nc_u32_e32 v3, 0, v2
	v_max_i32_e32 v3, v2, v3
	v_ashrrev_i32_e32 v2, 31, v2
	v_mul_hi_u32 v4, v3, v118
	v_mul_lo_u32 v4, v4, s3
	v_sub_nc_u32_e32 v3, v3, v4
	v_subrev_nc_u32_e32 v4, s3, v3
	v_cmp_le_u32_e32 vcc_lo, s3, v3
	v_cndmask_b32_e32 v3, v3, v4, vcc_lo
	v_subrev_nc_u32_e32 v4, s3, v3
	v_cmp_le_u32_e32 vcc_lo, s3, v3
	v_cndmask_b32_e32 v3, v3, v4, vcc_lo
	v_xor_b32_e32 v3, v3, v2
	v_sub_nc_u32_e32 v2, v3, v2
	v_cmp_eq_u32_e32 vcc_lo, 0, v2
	s_or_b32 s0, vcc_lo, s0
	s_and_saveexec_b32 s14, s0
	s_cbranch_execz .LBB38_34
; %bb.36:                               ;   in Loop: Header=BB38_35 Depth=1
	global_load_dword v1, v[85:86], off
	v_add_nc_u32_e32 v120, v114, v89
	v_add_nc_u32_e32 v123, 1, v120
	;; [unrolled: 1-line block ×4, first 2 shown]
	s_waitcnt vmcnt(0)
	v_mad_i64_i32 v[1:2], null, v1, s13, 0
	v_lshlrev_b64 v[1:2], 2, v[1:2]
	v_add_co_u32 v65, vcc_lo, v115, v1
	v_add_co_ci_u32_e64 v66, null, v116, v2, vcc_lo
	ds_read_b128 v[1:4], v117
	v_cmp_eq_u32_e32 vcc_lo, s4, v119
	global_load_dwordx4 v[5:8], v[65:66], off
	s_and_saveexec_b32 s15, vcc_lo
	s_cbranch_execnz .LBB38_60
; %bb.37:                               ;   in Loop: Header=BB38_35 Depth=1
	s_or_b32 exec_lo, exec_lo, s15
	global_load_dwordx4 v[9:12], v[65:66], off offset:512
	s_and_saveexec_b32 s15, vcc_lo
	s_cbranch_execnz .LBB38_61
.LBB38_38:                              ;   in Loop: Header=BB38_35 Depth=1
	s_or_b32 exec_lo, exec_lo, s15
	global_load_dwordx4 v[13:16], v[65:66], off offset:1024
	s_and_saveexec_b32 s15, vcc_lo
	s_cbranch_execnz .LBB38_62
.LBB38_39:                              ;   in Loop: Header=BB38_35 Depth=1
	s_or_b32 exec_lo, exec_lo, s15
	global_load_dwordx4 v[17:20], v[65:66], off offset:1536
	s_and_saveexec_b32 s15, vcc_lo
	s_cbranch_execz .LBB38_41
.LBB38_40:                              ;   in Loop: Header=BB38_35 Depth=1
	v_cmp_gt_i32_e64 s0, s28, v120
	s_waitcnt vmcnt(0)
	v_cndmask_b32_e64 v17, 0, v17, s0
	v_cmp_gt_i32_e64 s0, s28, v123
	v_cndmask_b32_e64 v18, 0, v18, s0
	v_cmp_gt_i32_e64 s0, s28, v122
	;; [unrolled: 2-line block ×3, first 2 shown]
	v_cndmask_b32_e64 v20, 0, v20, s0
.LBB38_41:                              ;   in Loop: Header=BB38_35 Depth=1
	s_or_b32 exec_lo, exec_lo, s15
	v_add_co_u32 v33, s0, 0x800, v65
	v_add_co_ci_u32_e64 v34, null, 0, v66, s0
	global_load_dwordx4 v[21:24], v[33:34], off
	s_and_saveexec_b32 s15, vcc_lo
	s_cbranch_execnz .LBB38_63
; %bb.42:                               ;   in Loop: Header=BB38_35 Depth=1
	s_or_b32 exec_lo, exec_lo, s15
	global_load_dwordx4 v[25:28], v[33:34], off offset:512
	s_and_saveexec_b32 s15, vcc_lo
	s_cbranch_execnz .LBB38_64
.LBB38_43:                              ;   in Loop: Header=BB38_35 Depth=1
	s_or_b32 exec_lo, exec_lo, s15
	global_load_dwordx4 v[29:32], v[33:34], off offset:1024
	s_and_saveexec_b32 s15, vcc_lo
	s_cbranch_execnz .LBB38_65
.LBB38_44:                              ;   in Loop: Header=BB38_35 Depth=1
	s_or_b32 exec_lo, exec_lo, s15
	global_load_dwordx4 v[33:36], v[33:34], off offset:1536
	s_and_saveexec_b32 s15, vcc_lo
	s_cbranch_execz .LBB38_46
.LBB38_45:                              ;   in Loop: Header=BB38_35 Depth=1
	v_cmp_gt_i32_e64 s0, s28, v120
	s_waitcnt vmcnt(0)
	v_cndmask_b32_e64 v33, 0, v33, s0
	v_cmp_gt_i32_e64 s0, s28, v123
	v_cndmask_b32_e64 v34, 0, v34, s0
	v_cmp_gt_i32_e64 s0, s28, v122
	;; [unrolled: 2-line block ×3, first 2 shown]
	v_cndmask_b32_e64 v36, 0, v36, s0
.LBB38_46:                              ;   in Loop: Header=BB38_35 Depth=1
	s_or_b32 exec_lo, exec_lo, s15
	v_add_co_u32 v49, s0, 0x1000, v65
	v_add_co_ci_u32_e64 v50, null, 0, v66, s0
	global_load_dwordx4 v[37:40], v[49:50], off
	s_and_saveexec_b32 s15, vcc_lo
	s_cbranch_execnz .LBB38_66
; %bb.47:                               ;   in Loop: Header=BB38_35 Depth=1
	s_or_b32 exec_lo, exec_lo, s15
	global_load_dwordx4 v[41:44], v[49:50], off offset:512
	s_and_saveexec_b32 s15, vcc_lo
	s_cbranch_execnz .LBB38_67
.LBB38_48:                              ;   in Loop: Header=BB38_35 Depth=1
	s_or_b32 exec_lo, exec_lo, s15
	global_load_dwordx4 v[45:48], v[49:50], off offset:1024
	s_and_saveexec_b32 s15, vcc_lo
	s_cbranch_execnz .LBB38_68
.LBB38_49:                              ;   in Loop: Header=BB38_35 Depth=1
	s_or_b32 exec_lo, exec_lo, s15
	global_load_dwordx4 v[49:52], v[49:50], off offset:1536
	s_and_saveexec_b32 s15, vcc_lo
	s_cbranch_execz .LBB38_51
.LBB38_50:                              ;   in Loop: Header=BB38_35 Depth=1
	v_cmp_gt_i32_e64 s0, s28, v120
	s_waitcnt vmcnt(0)
	v_cndmask_b32_e64 v49, 0, v49, s0
	v_cmp_gt_i32_e64 s0, s28, v123
	v_cndmask_b32_e64 v50, 0, v50, s0
	v_cmp_gt_i32_e64 s0, s28, v122
	;; [unrolled: 2-line block ×3, first 2 shown]
	v_cndmask_b32_e64 v52, 0, v52, s0
.LBB38_51:                              ;   in Loop: Header=BB38_35 Depth=1
	s_or_b32 exec_lo, exec_lo, s15
	v_add_co_u32 v67, s0, 0x1800, v65
	v_add_co_ci_u32_e64 v68, null, 0, v66, s0
	global_load_dwordx4 v[53:56], v[67:68], off
	s_and_saveexec_b32 s15, vcc_lo
	s_cbranch_execnz .LBB38_69
; %bb.52:                               ;   in Loop: Header=BB38_35 Depth=1
	s_or_b32 exec_lo, exec_lo, s15
	global_load_dwordx4 v[57:60], v[67:68], off offset:512
	s_and_saveexec_b32 s15, vcc_lo
	s_cbranch_execnz .LBB38_70
.LBB38_53:                              ;   in Loop: Header=BB38_35 Depth=1
	s_or_b32 exec_lo, exec_lo, s15
	global_load_dwordx4 v[61:64], v[67:68], off offset:1024
	s_and_saveexec_b32 s15, vcc_lo
	s_cbranch_execnz .LBB38_71
.LBB38_54:                              ;   in Loop: Header=BB38_35 Depth=1
	s_or_b32 exec_lo, exec_lo, s15
	global_load_dwordx4 v[69:72], v[67:68], off offset:1536
	s_and_saveexec_b32 s15, vcc_lo
	s_cbranch_execz .LBB38_56
.LBB38_55:                              ;   in Loop: Header=BB38_35 Depth=1
	v_cmp_gt_i32_e64 s0, s28, v120
	s_waitcnt vmcnt(0)
	v_cndmask_b32_e64 v69, 0, v69, s0
	v_cmp_gt_i32_e64 s0, s28, v123
	v_cndmask_b32_e64 v70, 0, v70, s0
	v_cmp_gt_i32_e64 s0, s28, v122
	;; [unrolled: 2-line block ×3, first 2 shown]
	v_cndmask_b32_e64 v72, 0, v72, s0
.LBB38_56:                              ;   in Loop: Header=BB38_35 Depth=1
	s_or_b32 exec_lo, exec_lo, s15
	v_add_co_u32 v65, s0, 0x2000, v65
	v_add_co_ci_u32_e64 v66, null, 0, v66, s0
	global_load_dwordx4 v[73:76], v[65:66], off
	s_and_saveexec_b32 s15, vcc_lo
	s_cbranch_execnz .LBB38_72
; %bb.57:                               ;   in Loop: Header=BB38_35 Depth=1
	s_or_b32 exec_lo, exec_lo, s15
	global_load_dwordx4 v[77:80], v[65:66], off offset:512
	s_and_saveexec_b32 s15, vcc_lo
	s_cbranch_execnz .LBB38_73
.LBB38_58:                              ;   in Loop: Header=BB38_35 Depth=1
	s_or_b32 exec_lo, exec_lo, s15
	global_load_dwordx4 v[81:84], v[65:66], off offset:1024
	s_and_saveexec_b32 s15, vcc_lo
	s_cbranch_execnz .LBB38_74
.LBB38_59:                              ;   in Loop: Header=BB38_35 Depth=1
	s_or_b32 exec_lo, exec_lo, s15
	global_load_dwordx4 v[65:68], v[65:66], off offset:1536
	s_and_saveexec_b32 s0, vcc_lo
	s_cbranch_execz .LBB38_33
	s_branch .LBB38_75
.LBB38_60:                              ;   in Loop: Header=BB38_35 Depth=1
	v_cmp_gt_i32_e64 s0, s28, v120
	s_waitcnt vmcnt(0)
	v_cndmask_b32_e64 v5, 0, v5, s0
	v_cmp_gt_i32_e64 s0, s28, v123
	v_cndmask_b32_e64 v6, 0, v6, s0
	v_cmp_gt_i32_e64 s0, s28, v122
	;; [unrolled: 2-line block ×3, first 2 shown]
	v_cndmask_b32_e64 v8, 0, v8, s0
	s_or_b32 exec_lo, exec_lo, s15
	global_load_dwordx4 v[9:12], v[65:66], off offset:512
	s_and_saveexec_b32 s15, vcc_lo
	s_cbranch_execz .LBB38_38
.LBB38_61:                              ;   in Loop: Header=BB38_35 Depth=1
	v_cmp_gt_i32_e64 s0, s28, v120
	s_waitcnt vmcnt(0)
	v_cndmask_b32_e64 v9, 0, v9, s0
	v_cmp_gt_i32_e64 s0, s28, v123
	v_cndmask_b32_e64 v10, 0, v10, s0
	v_cmp_gt_i32_e64 s0, s28, v122
	;; [unrolled: 2-line block ×3, first 2 shown]
	v_cndmask_b32_e64 v12, 0, v12, s0
	s_or_b32 exec_lo, exec_lo, s15
	global_load_dwordx4 v[13:16], v[65:66], off offset:1024
	s_and_saveexec_b32 s15, vcc_lo
	s_cbranch_execz .LBB38_39
.LBB38_62:                              ;   in Loop: Header=BB38_35 Depth=1
	v_cmp_gt_i32_e64 s0, s28, v120
	s_waitcnt vmcnt(0)
	v_cndmask_b32_e64 v13, 0, v13, s0
	v_cmp_gt_i32_e64 s0, s28, v123
	v_cndmask_b32_e64 v14, 0, v14, s0
	v_cmp_gt_i32_e64 s0, s28, v122
	;; [unrolled: 2-line block ×3, first 2 shown]
	v_cndmask_b32_e64 v16, 0, v16, s0
	s_or_b32 exec_lo, exec_lo, s15
	global_load_dwordx4 v[17:20], v[65:66], off offset:1536
	s_and_saveexec_b32 s15, vcc_lo
	s_cbranch_execnz .LBB38_40
	s_branch .LBB38_41
.LBB38_63:                              ;   in Loop: Header=BB38_35 Depth=1
	v_cmp_gt_i32_e64 s0, s28, v120
	s_waitcnt vmcnt(0)
	v_cndmask_b32_e64 v21, 0, v21, s0
	v_cmp_gt_i32_e64 s0, s28, v123
	v_cndmask_b32_e64 v22, 0, v22, s0
	v_cmp_gt_i32_e64 s0, s28, v122
	;; [unrolled: 2-line block ×3, first 2 shown]
	v_cndmask_b32_e64 v24, 0, v24, s0
	s_or_b32 exec_lo, exec_lo, s15
	global_load_dwordx4 v[25:28], v[33:34], off offset:512
	s_and_saveexec_b32 s15, vcc_lo
	s_cbranch_execz .LBB38_43
.LBB38_64:                              ;   in Loop: Header=BB38_35 Depth=1
	v_cmp_gt_i32_e64 s0, s28, v120
	s_waitcnt vmcnt(0)
	v_cndmask_b32_e64 v25, 0, v25, s0
	v_cmp_gt_i32_e64 s0, s28, v123
	v_cndmask_b32_e64 v26, 0, v26, s0
	v_cmp_gt_i32_e64 s0, s28, v122
	;; [unrolled: 2-line block ×3, first 2 shown]
	v_cndmask_b32_e64 v28, 0, v28, s0
	s_or_b32 exec_lo, exec_lo, s15
	global_load_dwordx4 v[29:32], v[33:34], off offset:1024
	s_and_saveexec_b32 s15, vcc_lo
	s_cbranch_execz .LBB38_44
.LBB38_65:                              ;   in Loop: Header=BB38_35 Depth=1
	v_cmp_gt_i32_e64 s0, s28, v120
	s_waitcnt vmcnt(0)
	v_cndmask_b32_e64 v29, 0, v29, s0
	v_cmp_gt_i32_e64 s0, s28, v123
	v_cndmask_b32_e64 v30, 0, v30, s0
	v_cmp_gt_i32_e64 s0, s28, v122
	;; [unrolled: 2-line block ×3, first 2 shown]
	v_cndmask_b32_e64 v32, 0, v32, s0
	s_or_b32 exec_lo, exec_lo, s15
	global_load_dwordx4 v[33:36], v[33:34], off offset:1536
	s_and_saveexec_b32 s15, vcc_lo
	s_cbranch_execnz .LBB38_45
	s_branch .LBB38_46
.LBB38_66:                              ;   in Loop: Header=BB38_35 Depth=1
	v_cmp_gt_i32_e64 s0, s28, v120
	s_waitcnt vmcnt(0)
	v_cndmask_b32_e64 v37, 0, v37, s0
	v_cmp_gt_i32_e64 s0, s28, v123
	v_cndmask_b32_e64 v38, 0, v38, s0
	v_cmp_gt_i32_e64 s0, s28, v122
	;; [unrolled: 2-line block ×3, first 2 shown]
	v_cndmask_b32_e64 v40, 0, v40, s0
	s_or_b32 exec_lo, exec_lo, s15
	global_load_dwordx4 v[41:44], v[49:50], off offset:512
	s_and_saveexec_b32 s15, vcc_lo
	s_cbranch_execz .LBB38_48
.LBB38_67:                              ;   in Loop: Header=BB38_35 Depth=1
	v_cmp_gt_i32_e64 s0, s28, v120
	s_waitcnt vmcnt(0)
	v_cndmask_b32_e64 v41, 0, v41, s0
	v_cmp_gt_i32_e64 s0, s28, v123
	v_cndmask_b32_e64 v42, 0, v42, s0
	v_cmp_gt_i32_e64 s0, s28, v122
	;; [unrolled: 2-line block ×3, first 2 shown]
	v_cndmask_b32_e64 v44, 0, v44, s0
	s_or_b32 exec_lo, exec_lo, s15
	global_load_dwordx4 v[45:48], v[49:50], off offset:1024
	s_and_saveexec_b32 s15, vcc_lo
	s_cbranch_execz .LBB38_49
.LBB38_68:                              ;   in Loop: Header=BB38_35 Depth=1
	v_cmp_gt_i32_e64 s0, s28, v120
	s_waitcnt vmcnt(0)
	v_cndmask_b32_e64 v45, 0, v45, s0
	v_cmp_gt_i32_e64 s0, s28, v123
	v_cndmask_b32_e64 v46, 0, v46, s0
	v_cmp_gt_i32_e64 s0, s28, v122
	;; [unrolled: 2-line block ×3, first 2 shown]
	v_cndmask_b32_e64 v48, 0, v48, s0
	s_or_b32 exec_lo, exec_lo, s15
	global_load_dwordx4 v[49:52], v[49:50], off offset:1536
	s_and_saveexec_b32 s15, vcc_lo
	s_cbranch_execnz .LBB38_50
	s_branch .LBB38_51
.LBB38_69:                              ;   in Loop: Header=BB38_35 Depth=1
	v_cmp_gt_i32_e64 s0, s28, v120
	s_waitcnt vmcnt(0)
	v_cndmask_b32_e64 v53, 0, v53, s0
	v_cmp_gt_i32_e64 s0, s28, v123
	v_cndmask_b32_e64 v54, 0, v54, s0
	v_cmp_gt_i32_e64 s0, s28, v122
	;; [unrolled: 2-line block ×3, first 2 shown]
	v_cndmask_b32_e64 v56, 0, v56, s0
	s_or_b32 exec_lo, exec_lo, s15
	global_load_dwordx4 v[57:60], v[67:68], off offset:512
	s_and_saveexec_b32 s15, vcc_lo
	s_cbranch_execz .LBB38_53
.LBB38_70:                              ;   in Loop: Header=BB38_35 Depth=1
	v_cmp_gt_i32_e64 s0, s28, v120
	s_waitcnt vmcnt(0)
	v_cndmask_b32_e64 v57, 0, v57, s0
	v_cmp_gt_i32_e64 s0, s28, v123
	v_cndmask_b32_e64 v58, 0, v58, s0
	v_cmp_gt_i32_e64 s0, s28, v122
	;; [unrolled: 2-line block ×3, first 2 shown]
	v_cndmask_b32_e64 v60, 0, v60, s0
	s_or_b32 exec_lo, exec_lo, s15
	global_load_dwordx4 v[61:64], v[67:68], off offset:1024
	s_and_saveexec_b32 s15, vcc_lo
	s_cbranch_execz .LBB38_54
.LBB38_71:                              ;   in Loop: Header=BB38_35 Depth=1
	v_cmp_gt_i32_e64 s0, s28, v120
	s_waitcnt vmcnt(0)
	v_cndmask_b32_e64 v61, 0, v61, s0
	v_cmp_gt_i32_e64 s0, s28, v123
	v_cndmask_b32_e64 v62, 0, v62, s0
	v_cmp_gt_i32_e64 s0, s28, v122
	;; [unrolled: 2-line block ×3, first 2 shown]
	v_cndmask_b32_e64 v64, 0, v64, s0
	s_or_b32 exec_lo, exec_lo, s15
	global_load_dwordx4 v[69:72], v[67:68], off offset:1536
	s_and_saveexec_b32 s15, vcc_lo
	s_cbranch_execnz .LBB38_55
	s_branch .LBB38_56
.LBB38_72:                              ;   in Loop: Header=BB38_35 Depth=1
	v_cmp_gt_i32_e64 s0, s28, v120
	s_waitcnt vmcnt(0)
	v_cndmask_b32_e64 v73, 0, v73, s0
	v_cmp_gt_i32_e64 s0, s28, v123
	v_cndmask_b32_e64 v74, 0, v74, s0
	v_cmp_gt_i32_e64 s0, s28, v122
	;; [unrolled: 2-line block ×3, first 2 shown]
	v_cndmask_b32_e64 v76, 0, v76, s0
	s_or_b32 exec_lo, exec_lo, s15
	global_load_dwordx4 v[77:80], v[65:66], off offset:512
	s_and_saveexec_b32 s15, vcc_lo
	s_cbranch_execz .LBB38_58
.LBB38_73:                              ;   in Loop: Header=BB38_35 Depth=1
	v_cmp_gt_i32_e64 s0, s28, v120
	s_waitcnt vmcnt(0)
	v_cndmask_b32_e64 v77, 0, v77, s0
	v_cmp_gt_i32_e64 s0, s28, v123
	v_cndmask_b32_e64 v78, 0, v78, s0
	v_cmp_gt_i32_e64 s0, s28, v122
	v_cndmask_b32_e64 v79, 0, v79, s0
	v_cmp_gt_i32_e64 s0, s28, v121
	v_cndmask_b32_e64 v80, 0, v80, s0
	s_or_b32 exec_lo, exec_lo, s15
	global_load_dwordx4 v[81:84], v[65:66], off offset:1024
	s_and_saveexec_b32 s15, vcc_lo
	s_cbranch_execz .LBB38_59
.LBB38_74:                              ;   in Loop: Header=BB38_35 Depth=1
	v_cmp_gt_i32_e64 s0, s28, v120
	s_waitcnt vmcnt(0)
	v_cndmask_b32_e64 v81, 0, v81, s0
	v_cmp_gt_i32_e64 s0, s28, v123
	v_cndmask_b32_e64 v82, 0, v82, s0
	v_cmp_gt_i32_e64 s0, s28, v122
	;; [unrolled: 2-line block ×3, first 2 shown]
	v_cndmask_b32_e64 v84, 0, v84, s0
	s_or_b32 exec_lo, exec_lo, s15
	global_load_dwordx4 v[65:68], v[65:66], off offset:1536
	s_and_saveexec_b32 s0, vcc_lo
	s_cbranch_execz .LBB38_33
.LBB38_75:                              ;   in Loop: Header=BB38_35 Depth=1
	v_cmp_gt_i32_e32 vcc_lo, s28, v120
	s_waitcnt vmcnt(0)
	v_cndmask_b32_e32 v65, 0, v65, vcc_lo
	v_cmp_gt_i32_e32 vcc_lo, s28, v123
	v_cndmask_b32_e32 v66, 0, v66, vcc_lo
	v_cmp_gt_i32_e32 vcc_lo, s28, v122
	;; [unrolled: 2-line block ×3, first 2 shown]
	v_cndmask_b32_e32 v68, 0, v68, vcc_lo
	s_branch .LBB38_33
.LBB38_76:
	s_or_b32 exec_lo, exec_lo, s5
.LBB38_77:
	s_or_b32 exec_lo, exec_lo, s1
	ds_bpermute_b32 v7, v92, v107
	ds_bpermute_b32 v8, v92, v106
	;; [unrolled: 1-line block ×19, first 2 shown]
	s_mov_b32 s0, exec_lo
	s_waitcnt lgkmcnt(18)
	v_add_f32_e32 v7, v107, v7
	s_waitcnt lgkmcnt(17)
	v_add_f32_e32 v8, v106, v8
	;; [unrolled: 2-line block ×5, first 2 shown]
	ds_bpermute_b32 v18, v91, v7
	ds_bpermute_b32 v27, v91, v8
	;; [unrolled: 1-line block ×4, first 2 shown]
	s_waitcnt lgkmcnt(17)
	v_add_f32_e32 v21, v100, v21
	s_waitcnt lgkmcnt(16)
	v_add_f32_e32 v1, v112, v1
	;; [unrolled: 2-line block ×6, first 2 shown]
	ds_bpermute_b32 v14, v91, v3
	s_waitcnt lgkmcnt(12)
	v_add_f32_e32 v11, v103, v11
	s_waitcnt lgkmcnt(11)
	v_add_f32_e32 v19, v102, v19
	;; [unrolled: 2-line block ×6, first 2 shown]
	ds_bpermute_b32 v33, v91, v21
	s_waitcnt lgkmcnt(7)
	v_add_f32_e32 v25, v96, v25
	s_waitcnt lgkmcnt(6)
	v_add_f32_e32 v26, v95, v26
	;; [unrolled: 2-line block ×3, first 2 shown]
	ds_bpermute_b32 v18, v92, v94
	ds_bpermute_b32 v12, v91, v1
	;; [unrolled: 1-line block ×6, first 2 shown]
	s_waitcnt lgkmcnt(10)
	v_add_f32_e32 v8, v8, v27
	ds_bpermute_b32 v27, v91, v11
	ds_bpermute_b32 v31, v91, v19
	;; [unrolled: 1-line block ×6, first 2 shown]
	s_waitcnt lgkmcnt(15)
	v_add_f32_e32 v9, v9, v28
	ds_bpermute_b32 v28, v91, v25
	s_waitcnt lgkmcnt(15)
	v_add_f32_e32 v10, v10, v29
	ds_bpermute_b32 v29, v91, v26
	s_waitcnt lgkmcnt(15)
	v_add_f32_e32 v3, v3, v14
	s_waitcnt lgkmcnt(14)
	v_add_f32_e32 v21, v21, v33
	ds_bpermute_b32 v30, v90, v7
	s_waitcnt lgkmcnt(14)
	v_add_f32_e32 v18, v94, v18
	s_waitcnt lgkmcnt(13)
	v_add_f32_e32 v1, v1, v12
	;; [unrolled: 2-line block ×5, first 2 shown]
	ds_bpermute_b32 v37, v91, v18
	s_waitcnt lgkmcnt(10)
	v_add_f32_e32 v6, v6, v17
	ds_bpermute_b32 v14, v90, v3
	s_waitcnt lgkmcnt(10)
	v_add_f32_e32 v11, v11, v27
	s_waitcnt lgkmcnt(9)
	v_add_f32_e32 v19, v19, v31
	;; [unrolled: 2-line block ×6, first 2 shown]
	ds_bpermute_b32 v34, v90, v21
	s_waitcnt lgkmcnt(5)
	v_add_f32_e32 v25, v25, v28
	s_waitcnt lgkmcnt(4)
	v_add_f32_e32 v26, v26, v29
	ds_bpermute_b32 v12, v90, v1
	ds_bpermute_b32 v13, v90, v2
	;; [unrolled: 1-line block ×8, first 2 shown]
	s_waitcnt lgkmcnt(10)
	v_add_f32_e32 v29, v18, v37
	ds_bpermute_b32 v39, v90, v11
	ds_bpermute_b32 v32, v90, v19
	;; [unrolled: 1-line block ×9, first 2 shown]
	s_waitcnt lgkmcnt(18)
	v_add_f32_e32 v3, v3, v14
	s_waitcnt lgkmcnt(17)
	v_add_f32_e32 v14, v21, v34
	v_lshrrev_b32_e32 v21, 3, v88
	s_waitcnt lgkmcnt(16)
	v_add_f32_e32 v1, v1, v12
	s_waitcnt lgkmcnt(15)
	v_add_f32_e32 v2, v2, v13
	;; [unrolled: 2-line block ×5, first 2 shown]
	v_add_f32_e32 v7, v7, v30
	s_waitcnt lgkmcnt(11)
	v_add_f32_e32 v8, v8, v27
	s_waitcnt lgkmcnt(10)
	;; [unrolled: 2-line block ×10, first 2 shown]
	v_add_f32_e32 v18, v25, v18
	v_and_b32_e32 v24, 0x3c7, v0
	s_waitcnt lgkmcnt(1)
	v_add_f32_e32 v19, v26, v37
	s_waitcnt lgkmcnt(0)
	v_add_f32_e32 v20, v29, v40
	v_lshl_add_u32 v22, v21, 2, 0x160
	v_mul_u32_u24_e32 v23, 0x140, v87
	s_barrier
	buffer_gl0_inv
	v_cmpx_eq_u32_e32 64, v24
	s_cbranch_execz .LBB38_79
; %bb.78:
	v_add_nc_u32_e32 v24, v22, v23
	v_add_nc_u32_e32 v25, 0xfffffd80, v24
	;; [unrolled: 1-line block ×6, first 2 shown]
	ds_write_b32 v25, v1
	ds_write_b32 v26, v2
	ds_write_b32 v27, v3
	ds_write_b32 v28, v4
	ds_write_b32 v29, v5
	v_add_nc_u32_e32 v25, 0xfffffdd0, v24
	v_add_nc_u32_e32 v26, 0xfffffde0, v24
	v_add_nc_u32_e32 v27, 0xfffffdf0, v24
	v_add_nc_u32_e32 v28, 0xfffffe00, v24
	v_add_nc_u32_e32 v29, 0xfffffe10, v24
	ds_write_b32 v25, v6
	ds_write_b32 v26, v7
	ds_write_b32 v27, v8
	ds_write_b32 v28, v9
	ds_write_b32 v29, v10
	v_add_nc_u32_e32 v25, 0xfffffe20, v24
	v_add_nc_u32_e32 v26, 0xfffffe30, v24
	v_add_nc_u32_e32 v27, 0xfffffe40, v24
	v_add_nc_u32_e32 v28, 0xfffffe50, v24
	v_add_nc_u32_e32 v29, 0xfffffe60, v24
	;; [unrolled: 10-line block ×3, first 2 shown]
	ds_write_b32 v25, v16
	ds_write_b32 v26, v17
	;; [unrolled: 1-line block ×5, first 2 shown]
.LBB38_79:
	s_or_b32 exec_lo, exec_lo, s0
	v_lshlrev_b32_e32 v21, 2, v21
	s_mov_b32 s1, exec_lo
	v_cmp_eq_u32_e32 vcc_lo, 0, v93
	s_waitcnt lgkmcnt(0)
	s_barrier
	v_add3_u32 v21, 0x160, v23, v21
	buffer_gl0_inv
	v_cmpx_gt_u32_e32 64, v0
	s_cbranch_execz .LBB38_102
; %bb.80:
	s_and_saveexec_b32 s0, vcc_lo
	s_cbranch_execnz .LBB38_130
; %bb.81:
	s_or_b32 exec_lo, exec_lo, s0
	s_and_saveexec_b32 s0, vcc_lo
	s_cbranch_execnz .LBB38_131
.LBB38_82:
	s_or_b32 exec_lo, exec_lo, s0
	s_and_saveexec_b32 s0, vcc_lo
	s_cbranch_execnz .LBB38_132
.LBB38_83:
	s_or_b32 exec_lo, exec_lo, s0
	s_and_saveexec_b32 s0, vcc_lo
	s_cbranch_execnz .LBB38_133
.LBB38_84:
	s_or_b32 exec_lo, exec_lo, s0
	s_and_saveexec_b32 s0, vcc_lo
	s_cbranch_execnz .LBB38_134
.LBB38_85:
	s_or_b32 exec_lo, exec_lo, s0
	s_and_saveexec_b32 s0, vcc_lo
	s_cbranch_execnz .LBB38_135
.LBB38_86:
	s_or_b32 exec_lo, exec_lo, s0
	s_and_saveexec_b32 s0, vcc_lo
	s_cbranch_execnz .LBB38_136
.LBB38_87:
	s_or_b32 exec_lo, exec_lo, s0
	s_and_saveexec_b32 s0, vcc_lo
	s_cbranch_execnz .LBB38_137
.LBB38_88:
	s_or_b32 exec_lo, exec_lo, s0
	s_and_saveexec_b32 s0, vcc_lo
	s_cbranch_execnz .LBB38_138
.LBB38_89:
	s_or_b32 exec_lo, exec_lo, s0
	s_and_saveexec_b32 s0, vcc_lo
	s_cbranch_execnz .LBB38_139
.LBB38_90:
	s_or_b32 exec_lo, exec_lo, s0
	s_and_saveexec_b32 s0, vcc_lo
	s_cbranch_execnz .LBB38_140
.LBB38_91:
	s_or_b32 exec_lo, exec_lo, s0
	s_and_saveexec_b32 s0, vcc_lo
	s_cbranch_execnz .LBB38_141
.LBB38_92:
	s_or_b32 exec_lo, exec_lo, s0
	s_and_saveexec_b32 s0, vcc_lo
	s_cbranch_execnz .LBB38_142
.LBB38_93:
	s_or_b32 exec_lo, exec_lo, s0
	s_and_saveexec_b32 s0, vcc_lo
	s_cbranch_execnz .LBB38_143
.LBB38_94:
	s_or_b32 exec_lo, exec_lo, s0
	s_and_saveexec_b32 s0, vcc_lo
	s_cbranch_execnz .LBB38_144
.LBB38_95:
	s_or_b32 exec_lo, exec_lo, s0
	s_and_saveexec_b32 s0, vcc_lo
	s_cbranch_execnz .LBB38_145
.LBB38_96:
	s_or_b32 exec_lo, exec_lo, s0
	s_and_saveexec_b32 s0, vcc_lo
	s_cbranch_execnz .LBB38_146
.LBB38_97:
	s_or_b32 exec_lo, exec_lo, s0
	s_and_saveexec_b32 s0, vcc_lo
	s_cbranch_execnz .LBB38_147
.LBB38_98:
	s_or_b32 exec_lo, exec_lo, s0
	s_and_saveexec_b32 s0, vcc_lo
	s_cbranch_execnz .LBB38_148
.LBB38_99:
	s_or_b32 exec_lo, exec_lo, s0
	s_and_saveexec_b32 s0, vcc_lo
	s_cbranch_execz .LBB38_101
.LBB38_100:
	ds_read_b32 v23, v21 offset:304
	s_waitcnt lgkmcnt(0)
	v_add_f32_e32 v20, v20, v23
.LBB38_101:
	s_or_b32 exec_lo, exec_lo, s0
.LBB38_102:
	s_or_b32 exec_lo, exec_lo, s1
	v_and_b32_e32 v23, 0x3e7, v0
	s_mov_b32 s1, exec_lo
	s_barrier
	buffer_gl0_inv
	v_cmpx_eq_u32_e32 32, v23
	s_cbranch_execz .LBB38_104
; %bb.103:
	ds_write2_b32 v22, v1, v2 offset1:4
	ds_write2_b32 v22, v3, v4 offset0:8 offset1:12
	ds_write2_b32 v22, v5, v6 offset0:16 offset1:20
	ds_write2_b32 v22, v7, v8 offset0:24 offset1:28
	ds_write2_b32 v22, v9, v10 offset0:32 offset1:36
	ds_write2_b32 v22, v11, v12 offset0:40 offset1:44
	ds_write2_b32 v22, v13, v14 offset0:48 offset1:52
	ds_write2_b32 v22, v15, v16 offset0:56 offset1:60
	ds_write2_b32 v22, v17, v18 offset0:64 offset1:68
	ds_write2_b32 v22, v19, v20 offset0:72 offset1:76
.LBB38_104:
	s_or_b32 exec_lo, exec_lo, s1
	s_mov_b32 s1, exec_lo
	s_waitcnt lgkmcnt(0)
	s_barrier
	buffer_gl0_inv
	v_cmpx_gt_u32_e32 32, v0
	s_cbranch_execz .LBB38_127
; %bb.105:
	s_and_saveexec_b32 s0, vcc_lo
	s_cbranch_execnz .LBB38_149
; %bb.106:
	s_or_b32 exec_lo, exec_lo, s0
	s_and_saveexec_b32 s0, vcc_lo
	s_cbranch_execnz .LBB38_150
.LBB38_107:
	s_or_b32 exec_lo, exec_lo, s0
	s_and_saveexec_b32 s0, vcc_lo
	s_cbranch_execnz .LBB38_151
.LBB38_108:
	s_or_b32 exec_lo, exec_lo, s0
	s_and_saveexec_b32 s0, vcc_lo
	s_cbranch_execnz .LBB38_152
.LBB38_109:
	s_or_b32 exec_lo, exec_lo, s0
	s_and_saveexec_b32 s0, vcc_lo
	s_cbranch_execnz .LBB38_153
.LBB38_110:
	s_or_b32 exec_lo, exec_lo, s0
	s_and_saveexec_b32 s0, vcc_lo
	s_cbranch_execnz .LBB38_154
.LBB38_111:
	s_or_b32 exec_lo, exec_lo, s0
	s_and_saveexec_b32 s0, vcc_lo
	s_cbranch_execnz .LBB38_155
.LBB38_112:
	s_or_b32 exec_lo, exec_lo, s0
	s_and_saveexec_b32 s0, vcc_lo
	s_cbranch_execnz .LBB38_156
.LBB38_113:
	s_or_b32 exec_lo, exec_lo, s0
	s_and_saveexec_b32 s0, vcc_lo
	s_cbranch_execnz .LBB38_157
.LBB38_114:
	s_or_b32 exec_lo, exec_lo, s0
	s_and_saveexec_b32 s0, vcc_lo
	s_cbranch_execnz .LBB38_158
.LBB38_115:
	s_or_b32 exec_lo, exec_lo, s0
	s_and_saveexec_b32 s0, vcc_lo
	s_cbranch_execnz .LBB38_159
.LBB38_116:
	s_or_b32 exec_lo, exec_lo, s0
	s_and_saveexec_b32 s0, vcc_lo
	s_cbranch_execnz .LBB38_160
.LBB38_117:
	s_or_b32 exec_lo, exec_lo, s0
	s_and_saveexec_b32 s0, vcc_lo
	s_cbranch_execnz .LBB38_161
.LBB38_118:
	s_or_b32 exec_lo, exec_lo, s0
	s_and_saveexec_b32 s0, vcc_lo
	s_cbranch_execnz .LBB38_162
.LBB38_119:
	s_or_b32 exec_lo, exec_lo, s0
	s_and_saveexec_b32 s0, vcc_lo
	s_cbranch_execnz .LBB38_163
.LBB38_120:
	s_or_b32 exec_lo, exec_lo, s0
	s_and_saveexec_b32 s0, vcc_lo
	s_cbranch_execnz .LBB38_164
.LBB38_121:
	s_or_b32 exec_lo, exec_lo, s0
	s_and_saveexec_b32 s0, vcc_lo
	s_cbranch_execnz .LBB38_165
.LBB38_122:
	s_or_b32 exec_lo, exec_lo, s0
	s_and_saveexec_b32 s0, vcc_lo
	s_cbranch_execnz .LBB38_166
.LBB38_123:
	s_or_b32 exec_lo, exec_lo, s0
	s_and_saveexec_b32 s0, vcc_lo
	s_cbranch_execnz .LBB38_167
.LBB38_124:
	s_or_b32 exec_lo, exec_lo, s0
	s_and_saveexec_b32 s0, vcc_lo
	s_cbranch_execz .LBB38_126
.LBB38_125:
	ds_read_b32 v21, v21 offset:304
	s_waitcnt lgkmcnt(0)
	v_add_f32_e32 v20, v20, v21
.LBB38_126:
	s_or_b32 exec_lo, exec_lo, s0
.LBB38_127:
	s_or_b32 exec_lo, exec_lo, s1
	s_barrier
	buffer_gl0_inv
	s_mov_b32 s0, exec_lo
	v_cmpx_eq_u32_e32 0, v23
	s_cbranch_execz .LBB38_129
; %bb.128:
	s_mul_i32 s0, s10, s11
	s_mul_i32 s2, s11, s20
	;; [unrolled: 1-line block ×3, first 2 shown]
	v_lshrrev_b32_e32 v0, 1, v0
	s_mulk_i32 s0, 0x50
	s_ashr_i32 s1, s0, 31
	s_lshl_b64 s[0:1], s[0:1], 2
	s_add_u32 s4, s6, s0
	s_addc_u32 s5, s7, s1
	s_ashr_i32 s3, s2, 31
	s_lshl_b64 s[0:1], s[2:3], 2
	s_mul_i32 s2, s8, 0x50
	s_add_u32 s4, s4, s0
	s_addc_u32 s5, s5, s1
	s_ashr_i32 s3, s2, 31
	s_lshl_b64 s[0:1], s[2:3], 2
	s_add_u32 s0, s4, s0
	s_addc_u32 s1, s5, s1
	global_store_dword v0, v1, s[0:1]
	global_store_dword v0, v2, s[0:1] offset:16
	global_store_dword v0, v3, s[0:1] offset:32
	;; [unrolled: 1-line block ×19, first 2 shown]
.LBB38_129:
	s_endpgm
.LBB38_130:
	ds_read_b32 v23, v21
	s_waitcnt lgkmcnt(0)
	v_add_f32_e32 v1, v1, v23
	s_or_b32 exec_lo, exec_lo, s0
	s_and_saveexec_b32 s0, vcc_lo
	s_cbranch_execz .LBB38_82
.LBB38_131:
	ds_read_b32 v23, v21 offset:16
	s_waitcnt lgkmcnt(0)
	v_add_f32_e32 v2, v2, v23
	s_or_b32 exec_lo, exec_lo, s0
	s_and_saveexec_b32 s0, vcc_lo
	s_cbranch_execz .LBB38_83
.LBB38_132:
	ds_read_b32 v23, v21 offset:32
	s_waitcnt lgkmcnt(0)
	v_add_f32_e32 v3, v3, v23
	s_or_b32 exec_lo, exec_lo, s0
	s_and_saveexec_b32 s0, vcc_lo
	s_cbranch_execz .LBB38_84
.LBB38_133:
	ds_read_b32 v23, v21 offset:48
	s_waitcnt lgkmcnt(0)
	v_add_f32_e32 v4, v4, v23
	s_or_b32 exec_lo, exec_lo, s0
	s_and_saveexec_b32 s0, vcc_lo
	s_cbranch_execz .LBB38_85
.LBB38_134:
	ds_read_b32 v23, v21 offset:64
	s_waitcnt lgkmcnt(0)
	v_add_f32_e32 v5, v5, v23
	s_or_b32 exec_lo, exec_lo, s0
	s_and_saveexec_b32 s0, vcc_lo
	s_cbranch_execz .LBB38_86
.LBB38_135:
	ds_read_b32 v23, v21 offset:80
	s_waitcnt lgkmcnt(0)
	v_add_f32_e32 v6, v6, v23
	s_or_b32 exec_lo, exec_lo, s0
	s_and_saveexec_b32 s0, vcc_lo
	s_cbranch_execz .LBB38_87
.LBB38_136:
	ds_read_b32 v23, v21 offset:96
	s_waitcnt lgkmcnt(0)
	v_add_f32_e32 v7, v7, v23
	s_or_b32 exec_lo, exec_lo, s0
	s_and_saveexec_b32 s0, vcc_lo
	s_cbranch_execz .LBB38_88
.LBB38_137:
	ds_read_b32 v23, v21 offset:112
	s_waitcnt lgkmcnt(0)
	v_add_f32_e32 v8, v8, v23
	s_or_b32 exec_lo, exec_lo, s0
	s_and_saveexec_b32 s0, vcc_lo
	s_cbranch_execz .LBB38_89
.LBB38_138:
	ds_read_b32 v23, v21 offset:128
	s_waitcnt lgkmcnt(0)
	v_add_f32_e32 v9, v9, v23
	s_or_b32 exec_lo, exec_lo, s0
	s_and_saveexec_b32 s0, vcc_lo
	s_cbranch_execz .LBB38_90
.LBB38_139:
	ds_read_b32 v23, v21 offset:144
	s_waitcnt lgkmcnt(0)
	v_add_f32_e32 v10, v10, v23
	s_or_b32 exec_lo, exec_lo, s0
	s_and_saveexec_b32 s0, vcc_lo
	s_cbranch_execz .LBB38_91
.LBB38_140:
	ds_read_b32 v23, v21 offset:160
	s_waitcnt lgkmcnt(0)
	v_add_f32_e32 v11, v11, v23
	s_or_b32 exec_lo, exec_lo, s0
	s_and_saveexec_b32 s0, vcc_lo
	s_cbranch_execz .LBB38_92
.LBB38_141:
	ds_read_b32 v23, v21 offset:176
	s_waitcnt lgkmcnt(0)
	v_add_f32_e32 v12, v12, v23
	s_or_b32 exec_lo, exec_lo, s0
	s_and_saveexec_b32 s0, vcc_lo
	s_cbranch_execz .LBB38_93
.LBB38_142:
	ds_read_b32 v23, v21 offset:192
	s_waitcnt lgkmcnt(0)
	v_add_f32_e32 v13, v13, v23
	s_or_b32 exec_lo, exec_lo, s0
	s_and_saveexec_b32 s0, vcc_lo
	s_cbranch_execz .LBB38_94
.LBB38_143:
	ds_read_b32 v23, v21 offset:208
	s_waitcnt lgkmcnt(0)
	v_add_f32_e32 v14, v14, v23
	s_or_b32 exec_lo, exec_lo, s0
	s_and_saveexec_b32 s0, vcc_lo
	s_cbranch_execz .LBB38_95
.LBB38_144:
	ds_read_b32 v23, v21 offset:224
	s_waitcnt lgkmcnt(0)
	v_add_f32_e32 v15, v15, v23
	s_or_b32 exec_lo, exec_lo, s0
	s_and_saveexec_b32 s0, vcc_lo
	s_cbranch_execz .LBB38_96
.LBB38_145:
	ds_read_b32 v23, v21 offset:240
	s_waitcnt lgkmcnt(0)
	v_add_f32_e32 v16, v16, v23
	s_or_b32 exec_lo, exec_lo, s0
	s_and_saveexec_b32 s0, vcc_lo
	s_cbranch_execz .LBB38_97
.LBB38_146:
	ds_read_b32 v23, v21 offset:256
	s_waitcnt lgkmcnt(0)
	v_add_f32_e32 v17, v17, v23
	s_or_b32 exec_lo, exec_lo, s0
	s_and_saveexec_b32 s0, vcc_lo
	s_cbranch_execz .LBB38_98
.LBB38_147:
	ds_read_b32 v23, v21 offset:272
	s_waitcnt lgkmcnt(0)
	v_add_f32_e32 v18, v18, v23
	s_or_b32 exec_lo, exec_lo, s0
	s_and_saveexec_b32 s0, vcc_lo
	s_cbranch_execz .LBB38_99
.LBB38_148:
	ds_read_b32 v23, v21 offset:288
	s_waitcnt lgkmcnt(0)
	v_add_f32_e32 v19, v19, v23
	s_or_b32 exec_lo, exec_lo, s0
	s_and_saveexec_b32 s0, vcc_lo
	s_cbranch_execnz .LBB38_100
	s_branch .LBB38_101
.LBB38_149:
	ds_read_b32 v22, v21
	s_waitcnt lgkmcnt(0)
	v_add_f32_e32 v1, v1, v22
	s_or_b32 exec_lo, exec_lo, s0
	s_and_saveexec_b32 s0, vcc_lo
	s_cbranch_execz .LBB38_107
.LBB38_150:
	ds_read_b32 v22, v21 offset:16
	s_waitcnt lgkmcnt(0)
	v_add_f32_e32 v2, v2, v22
	s_or_b32 exec_lo, exec_lo, s0
	s_and_saveexec_b32 s0, vcc_lo
	s_cbranch_execz .LBB38_108
.LBB38_151:
	ds_read_b32 v22, v21 offset:32
	s_waitcnt lgkmcnt(0)
	v_add_f32_e32 v3, v3, v22
	s_or_b32 exec_lo, exec_lo, s0
	s_and_saveexec_b32 s0, vcc_lo
	s_cbranch_execz .LBB38_109
.LBB38_152:
	ds_read_b32 v22, v21 offset:48
	s_waitcnt lgkmcnt(0)
	v_add_f32_e32 v4, v4, v22
	s_or_b32 exec_lo, exec_lo, s0
	s_and_saveexec_b32 s0, vcc_lo
	s_cbranch_execz .LBB38_110
.LBB38_153:
	ds_read_b32 v22, v21 offset:64
	s_waitcnt lgkmcnt(0)
	v_add_f32_e32 v5, v5, v22
	s_or_b32 exec_lo, exec_lo, s0
	s_and_saveexec_b32 s0, vcc_lo
	s_cbranch_execz .LBB38_111
.LBB38_154:
	ds_read_b32 v22, v21 offset:80
	s_waitcnt lgkmcnt(0)
	v_add_f32_e32 v6, v6, v22
	s_or_b32 exec_lo, exec_lo, s0
	s_and_saveexec_b32 s0, vcc_lo
	s_cbranch_execz .LBB38_112
.LBB38_155:
	ds_read_b32 v22, v21 offset:96
	s_waitcnt lgkmcnt(0)
	v_add_f32_e32 v7, v7, v22
	s_or_b32 exec_lo, exec_lo, s0
	s_and_saveexec_b32 s0, vcc_lo
	s_cbranch_execz .LBB38_113
.LBB38_156:
	ds_read_b32 v22, v21 offset:112
	s_waitcnt lgkmcnt(0)
	v_add_f32_e32 v8, v8, v22
	s_or_b32 exec_lo, exec_lo, s0
	s_and_saveexec_b32 s0, vcc_lo
	s_cbranch_execz .LBB38_114
.LBB38_157:
	ds_read_b32 v22, v21 offset:128
	s_waitcnt lgkmcnt(0)
	v_add_f32_e32 v9, v9, v22
	s_or_b32 exec_lo, exec_lo, s0
	s_and_saveexec_b32 s0, vcc_lo
	s_cbranch_execz .LBB38_115
.LBB38_158:
	ds_read_b32 v22, v21 offset:144
	s_waitcnt lgkmcnt(0)
	v_add_f32_e32 v10, v10, v22
	s_or_b32 exec_lo, exec_lo, s0
	s_and_saveexec_b32 s0, vcc_lo
	s_cbranch_execz .LBB38_116
.LBB38_159:
	ds_read_b32 v22, v21 offset:160
	s_waitcnt lgkmcnt(0)
	v_add_f32_e32 v11, v11, v22
	s_or_b32 exec_lo, exec_lo, s0
	s_and_saveexec_b32 s0, vcc_lo
	s_cbranch_execz .LBB38_117
.LBB38_160:
	ds_read_b32 v22, v21 offset:176
	s_waitcnt lgkmcnt(0)
	v_add_f32_e32 v12, v12, v22
	s_or_b32 exec_lo, exec_lo, s0
	s_and_saveexec_b32 s0, vcc_lo
	s_cbranch_execz .LBB38_118
.LBB38_161:
	ds_read_b32 v22, v21 offset:192
	s_waitcnt lgkmcnt(0)
	v_add_f32_e32 v13, v13, v22
	s_or_b32 exec_lo, exec_lo, s0
	s_and_saveexec_b32 s0, vcc_lo
	s_cbranch_execz .LBB38_119
.LBB38_162:
	ds_read_b32 v22, v21 offset:208
	s_waitcnt lgkmcnt(0)
	v_add_f32_e32 v14, v14, v22
	s_or_b32 exec_lo, exec_lo, s0
	s_and_saveexec_b32 s0, vcc_lo
	s_cbranch_execz .LBB38_120
.LBB38_163:
	ds_read_b32 v22, v21 offset:224
	s_waitcnt lgkmcnt(0)
	v_add_f32_e32 v15, v15, v22
	s_or_b32 exec_lo, exec_lo, s0
	s_and_saveexec_b32 s0, vcc_lo
	s_cbranch_execz .LBB38_121
.LBB38_164:
	ds_read_b32 v22, v21 offset:240
	s_waitcnt lgkmcnt(0)
	v_add_f32_e32 v16, v16, v22
	s_or_b32 exec_lo, exec_lo, s0
	s_and_saveexec_b32 s0, vcc_lo
	s_cbranch_execz .LBB38_122
.LBB38_165:
	ds_read_b32 v22, v21 offset:256
	s_waitcnt lgkmcnt(0)
	v_add_f32_e32 v17, v17, v22
	s_or_b32 exec_lo, exec_lo, s0
	s_and_saveexec_b32 s0, vcc_lo
	s_cbranch_execz .LBB38_123
.LBB38_166:
	ds_read_b32 v22, v21 offset:272
	s_waitcnt lgkmcnt(0)
	v_add_f32_e32 v18, v18, v22
	s_or_b32 exec_lo, exec_lo, s0
	s_and_saveexec_b32 s0, vcc_lo
	s_cbranch_execz .LBB38_124
.LBB38_167:
	ds_read_b32 v22, v21 offset:288
	s_waitcnt lgkmcnt(0)
	v_add_f32_e32 v19, v19, v22
	s_or_b32 exec_lo, exec_lo, s0
	s_and_saveexec_b32 s0, vcc_lo
	s_cbranch_execnz .LBB38_125
	s_branch .LBB38_126
	.section	.rodata,"a",@progbits
	.p2align	6, 0x0
	.amdhsa_kernel _ZN4vllm25paged_attention_v1_kernelIffLi80ELi32ELi128ELNS_18Fp8KVCacheDataTypeE0ELb1EEEvPT_PKS2_PKT0_S8_ifPKiSA_iPKfiiiSC_SC_iiiii
		.amdhsa_group_segment_fixed_size 352
		.amdhsa_private_segment_fixed_size 0
		.amdhsa_kernarg_size 384
		.amdhsa_user_sgpr_count 6
		.amdhsa_user_sgpr_private_segment_buffer 1
		.amdhsa_user_sgpr_dispatch_ptr 0
		.amdhsa_user_sgpr_queue_ptr 0
		.amdhsa_user_sgpr_kernarg_segment_ptr 1
		.amdhsa_user_sgpr_dispatch_id 0
		.amdhsa_user_sgpr_flat_scratch_init 0
		.amdhsa_user_sgpr_private_segment_size 0
		.amdhsa_wavefront_size32 1
		.amdhsa_uses_dynamic_stack 0
		.amdhsa_system_sgpr_private_segment_wavefront_offset 0
		.amdhsa_system_sgpr_workgroup_id_x 1
		.amdhsa_system_sgpr_workgroup_id_y 1
		.amdhsa_system_sgpr_workgroup_id_z 1
		.amdhsa_system_sgpr_workgroup_info 0
		.amdhsa_system_vgpr_workitem_id 0
		.amdhsa_next_free_vgpr 124
		.amdhsa_next_free_sgpr 38
		.amdhsa_reserve_vcc 1
		.amdhsa_reserve_flat_scratch 0
		.amdhsa_float_round_mode_32 0
		.amdhsa_float_round_mode_16_64 0
		.amdhsa_float_denorm_mode_32 3
		.amdhsa_float_denorm_mode_16_64 3
		.amdhsa_dx10_clamp 1
		.amdhsa_ieee_mode 1
		.amdhsa_fp16_overflow 0
		.amdhsa_workgroup_processor_mode 1
		.amdhsa_memory_ordered 1
		.amdhsa_forward_progress 1
		.amdhsa_shared_vgpr_count 0
		.amdhsa_exception_fp_ieee_invalid_op 0
		.amdhsa_exception_fp_denorm_src 0
		.amdhsa_exception_fp_ieee_div_zero 0
		.amdhsa_exception_fp_ieee_overflow 0
		.amdhsa_exception_fp_ieee_underflow 0
		.amdhsa_exception_fp_ieee_inexact 0
		.amdhsa_exception_int_div_zero 0
	.end_amdhsa_kernel
	.section	.text._ZN4vllm25paged_attention_v1_kernelIffLi80ELi32ELi128ELNS_18Fp8KVCacheDataTypeE0ELb1EEEvPT_PKS2_PKT0_S8_ifPKiSA_iPKfiiiSC_SC_iiiii,"axG",@progbits,_ZN4vllm25paged_attention_v1_kernelIffLi80ELi32ELi128ELNS_18Fp8KVCacheDataTypeE0ELb1EEEvPT_PKS2_PKT0_S8_ifPKiSA_iPKfiiiSC_SC_iiiii,comdat
.Lfunc_end38:
	.size	_ZN4vllm25paged_attention_v1_kernelIffLi80ELi32ELi128ELNS_18Fp8KVCacheDataTypeE0ELb1EEEvPT_PKS2_PKT0_S8_ifPKiSA_iPKfiiiSC_SC_iiiii, .Lfunc_end38-_ZN4vllm25paged_attention_v1_kernelIffLi80ELi32ELi128ELNS_18Fp8KVCacheDataTypeE0ELb1EEEvPT_PKS2_PKT0_S8_ifPKiSA_iPKfiiiSC_SC_iiiii
                                        ; -- End function
	.set _ZN4vllm25paged_attention_v1_kernelIffLi80ELi32ELi128ELNS_18Fp8KVCacheDataTypeE0ELb1EEEvPT_PKS2_PKT0_S8_ifPKiSA_iPKfiiiSC_SC_iiiii.num_vgpr, 124
	.set _ZN4vllm25paged_attention_v1_kernelIffLi80ELi32ELi128ELNS_18Fp8KVCacheDataTypeE0ELb1EEEvPT_PKS2_PKT0_S8_ifPKiSA_iPKfiiiSC_SC_iiiii.num_agpr, 0
	.set _ZN4vllm25paged_attention_v1_kernelIffLi80ELi32ELi128ELNS_18Fp8KVCacheDataTypeE0ELb1EEEvPT_PKS2_PKT0_S8_ifPKiSA_iPKfiiiSC_SC_iiiii.numbered_sgpr, 38
	.set _ZN4vllm25paged_attention_v1_kernelIffLi80ELi32ELi128ELNS_18Fp8KVCacheDataTypeE0ELb1EEEvPT_PKS2_PKT0_S8_ifPKiSA_iPKfiiiSC_SC_iiiii.num_named_barrier, 0
	.set _ZN4vllm25paged_attention_v1_kernelIffLi80ELi32ELi128ELNS_18Fp8KVCacheDataTypeE0ELb1EEEvPT_PKS2_PKT0_S8_ifPKiSA_iPKfiiiSC_SC_iiiii.private_seg_size, 0
	.set _ZN4vllm25paged_attention_v1_kernelIffLi80ELi32ELi128ELNS_18Fp8KVCacheDataTypeE0ELb1EEEvPT_PKS2_PKT0_S8_ifPKiSA_iPKfiiiSC_SC_iiiii.uses_vcc, 1
	.set _ZN4vllm25paged_attention_v1_kernelIffLi80ELi32ELi128ELNS_18Fp8KVCacheDataTypeE0ELb1EEEvPT_PKS2_PKT0_S8_ifPKiSA_iPKfiiiSC_SC_iiiii.uses_flat_scratch, 0
	.set _ZN4vllm25paged_attention_v1_kernelIffLi80ELi32ELi128ELNS_18Fp8KVCacheDataTypeE0ELb1EEEvPT_PKS2_PKT0_S8_ifPKiSA_iPKfiiiSC_SC_iiiii.has_dyn_sized_stack, 0
	.set _ZN4vllm25paged_attention_v1_kernelIffLi80ELi32ELi128ELNS_18Fp8KVCacheDataTypeE0ELb1EEEvPT_PKS2_PKT0_S8_ifPKiSA_iPKfiiiSC_SC_iiiii.has_recursion, 0
	.set _ZN4vllm25paged_attention_v1_kernelIffLi80ELi32ELi128ELNS_18Fp8KVCacheDataTypeE0ELb1EEEvPT_PKS2_PKT0_S8_ifPKiSA_iPKfiiiSC_SC_iiiii.has_indirect_call, 0
	.section	.AMDGPU.csdata,"",@progbits
; Kernel info:
; codeLenInByte = 9620
; TotalNumSgprs: 40
; NumVgprs: 124
; ScratchSize: 0
; MemoryBound: 0
; FloatMode: 240
; IeeeMode: 1
; LDSByteSize: 352 bytes/workgroup (compile time only)
; SGPRBlocks: 0
; VGPRBlocks: 15
; NumSGPRsForWavesPerEU: 40
; NumVGPRsForWavesPerEU: 124
; Occupancy: 8
; WaveLimiterHint : 1
; COMPUTE_PGM_RSRC2:SCRATCH_EN: 0
; COMPUTE_PGM_RSRC2:USER_SGPR: 6
; COMPUTE_PGM_RSRC2:TRAP_HANDLER: 0
; COMPUTE_PGM_RSRC2:TGID_X_EN: 1
; COMPUTE_PGM_RSRC2:TGID_Y_EN: 1
; COMPUTE_PGM_RSRC2:TGID_Z_EN: 1
; COMPUTE_PGM_RSRC2:TIDIG_COMP_CNT: 0
	.section	.text._ZN4vllm25paged_attention_v1_kernelIffLi96ELi32ELi128ELNS_18Fp8KVCacheDataTypeE0ELb1EEEvPT_PKS2_PKT0_S8_ifPKiSA_iPKfiiiSC_SC_iiiii,"axG",@progbits,_ZN4vllm25paged_attention_v1_kernelIffLi96ELi32ELi128ELNS_18Fp8KVCacheDataTypeE0ELb1EEEvPT_PKS2_PKT0_S8_ifPKiSA_iPKfiiiSC_SC_iiiii,comdat
	.protected	_ZN4vllm25paged_attention_v1_kernelIffLi96ELi32ELi128ELNS_18Fp8KVCacheDataTypeE0ELb1EEEvPT_PKS2_PKT0_S8_ifPKiSA_iPKfiiiSC_SC_iiiii ; -- Begin function _ZN4vllm25paged_attention_v1_kernelIffLi96ELi32ELi128ELNS_18Fp8KVCacheDataTypeE0ELb1EEEvPT_PKS2_PKT0_S8_ifPKiSA_iPKfiiiSC_SC_iiiii
	.globl	_ZN4vllm25paged_attention_v1_kernelIffLi96ELi32ELi128ELNS_18Fp8KVCacheDataTypeE0ELb1EEEvPT_PKS2_PKT0_S8_ifPKiSA_iPKfiiiSC_SC_iiiii
	.p2align	8
	.type	_ZN4vllm25paged_attention_v1_kernelIffLi96ELi32ELi128ELNS_18Fp8KVCacheDataTypeE0ELb1EEEvPT_PKS2_PKT0_S8_ifPKiSA_iPKfiiiSC_SC_iiiii,@function
_ZN4vllm25paged_attention_v1_kernelIffLi96ELi32ELi128ELNS_18Fp8KVCacheDataTypeE0ELb1EEEvPT_PKS2_PKT0_S8_ifPKiSA_iPKfiiiSC_SC_iiiii: ; @_ZN4vllm25paged_attention_v1_kernelIffLi96ELi32ELi128ELNS_18Fp8KVCacheDataTypeE0ELb1EEEvPT_PKS2_PKT0_S8_ifPKiSA_iPKfiiiSC_SC_iiiii
; %bb.0:
	s_mov_b64 s[42:43], s[2:3]
	s_mov_b64 s[40:41], s[0:1]
	s_mov_b32 s10, s7
	s_add_u32 s40, s40, s9
	s_clause 0x2
	s_load_dword s9, s[4:5], 0x80
	s_load_dwordx2 s[0:1], s[4:5], 0x30
	s_load_dwordx2 s[2:3], s[4:5], 0x20
	s_addc_u32 s41, s41, 0
	s_ashr_i32 s11, s7, 31
	v_mov_b32_e32 v47, v0
	s_lshl_b64 s[12:13], s[10:11], 2
	s_mov_b32 s31, 0
	s_waitcnt lgkmcnt(0)
	s_add_u32 s0, s0, s12
	s_addc_u32 s1, s1, s13
	s_abs_i32 s7, s2
	s_abs_i32 s13, s9
	v_cvt_f32_u32_e32 v0, s7
	s_sub_i32 s12, 0, s7
	v_rcp_iflag_f32_e32 v0, v0
	v_mul_f32_e32 v0, 0x4f7ffffe, v0
	v_cvt_u32_f32_e32 v0, v0
	v_readfirstlane_b32 s11, v0
	s_mul_i32 s12, s12, s11
	s_mul_hi_u32 s12, s11, s12
	s_add_i32 s11, s11, s12
	s_xor_b32 s12, s9, s2
	s_mul_hi_u32 s11, s13, s11
	s_ashr_i32 s12, s12, 31
	s_mul_i32 s14, s11, s7
	s_sub_i32 s13, s13, s14
	s_add_i32 s14, s11, 1
	s_sub_i32 s15, s13, s7
	s_cmp_ge_u32 s13, s7
	s_cselect_b32 s11, s14, s11
	s_cselect_b32 s13, s15, s13
	s_add_i32 s14, s11, 1
	s_cmp_ge_u32 s13, s7
	s_cselect_b32 s7, s14, s11
	s_abs_i32 s22, s6
	s_xor_b32 s7, s7, s12
	s_sub_i32 s16, s7, s12
	s_load_dwordx2 s[12:13], s[4:5], 0x40
	s_abs_i32 s11, s16
	v_cvt_f32_u32_e32 v0, s11
	s_sub_i32 s14, 0, s11
	v_rcp_iflag_f32_e32 v0, v0
	v_mul_f32_e32 v0, 0x4f7ffffe, v0
	v_cvt_u32_f32_e32 v0, v0
	v_readfirstlane_b32 s7, v0
	s_mul_i32 s14, s14, s7
	s_mul_hi_u32 s14, s7, s14
	s_add_i32 s7, s7, s14
	s_waitcnt lgkmcnt(0)
	s_cmp_eq_u64 s[12:13], 0
	s_mul_hi_u32 s23, s22, s7
	s_cbranch_scc1 .LBB39_2
; %bb.1:
	s_ashr_i32 s7, s6, 31
	s_lshl_b64 s[14:15], s[6:7], 2
	s_add_u32 s12, s12, s14
	s_addc_u32 s13, s13, s15
	s_load_dword s31, s[12:13], 0x0
.LBB39_2:
	s_load_dword s28, s[0:1], 0x0
	s_load_dwordx4 s[12:15], s[4:5], 0x48
	v_lshlrev_b32_e32 v101, 4, v47
	s_ashr_i32 s0, s6, 31
	s_ashr_i32 s1, s16, 31
	s_mul_i32 s20, s6, 0x60
	s_mov_b32 s7, exec_lo
	v_cmpx_gt_u32_e32 24, v47
	s_cbranch_execz .LBB39_4
; %bb.3:
	s_load_dwordx2 s[16:17], s[4:5], 0x8
	s_waitcnt lgkmcnt(0)
	s_mul_i32 s18, s12, s10
	s_ashr_i32 s19, s18, 31
	s_lshl_b64 s[18:19], s[18:19], 2
	s_add_u32 s12, s16, s18
	s_addc_u32 s15, s17, s19
	s_ashr_i32 s21, s20, 31
	s_lshl_b64 s[16:17], s[20:21], 2
	s_add_u32 s16, s12, s16
	s_addc_u32 s17, s15, s17
	global_load_dwordx4 v[0:3], v101, s[16:17]
	s_waitcnt vmcnt(0)
	ds_write_b128 v101, v[0:3]
.LBB39_4:
	s_or_b32 exec_lo, exec_lo, s7
	s_load_dwordx4 s[16:19], s[4:5], 0x68
	s_mul_i32 s7, s23, s11
	s_xor_b32 s1, s0, s1
	s_sub_i32 s0, s22, s7
	s_add_i32 s7, s23, 1
	s_waitcnt lgkmcnt(0)
	s_sub_i32 s12, s0, s11
	s_cmp_ge_u32 s0, s11
	s_mov_b32 s24, -1
	s_cselect_b32 s7, s7, s23
	s_cselect_b32 s0, s12, s0
	s_add_i32 s12, s7, 1
	s_cmp_ge_u32 s0, s11
	s_load_dword s0, s[4:5], 0x78
	s_cselect_b32 s7, s12, s7
	s_add_i32 s11, s28, -1
	s_xor_b32 s7, s7, s1
	s_waitcnt lgkmcnt(0)
	s_sub_i32 s1, s7, s1
	s_barrier
	buffer_gl0_inv
	s_abs_i32 s12, s19
                                        ; implicit-def: $sgpr29
	v_cvt_f32_u32_e32 v0, s12
	s_sub_i32 s7, 0, s12
	v_rcp_iflag_f32_e32 v0, v0
	v_mul_f32_e32 v0, 0x4f7ffffe, v0
	v_cvt_u32_f32_e32 v0, v0
	v_readfirstlane_b32 s21, v0
	s_mul_i32 s7, s7, s21
	s_mul_hi_u32 s15, s21, s7
	s_abs_i32 s7, s11
	s_add_i32 s21, s21, s15
	s_cmp_lt_i32 s0, 0
	s_mul_hi_u32 s15, s7, s21
	s_cbranch_scc0 .LBB39_6
; %bb.5:
	s_mul_i32 s2, s16, s2
	s_mov_b32 s24, 0
	s_add_i32 s2, s1, s2
	s_mul_i32 s2, s2, s0
	s_sub_i32 s29, 1, s2
.LBB39_6:
	s_load_dwordx2 s[22:23], s[4:5], 0x28
	s_ashr_i32 s2, s11, 31
	s_andn2_b32 vcc_lo, exec_lo, s24
	s_ashr_i32 s19, s19, 31
	s_cbranch_vccnz .LBB39_8
; %bb.7:
	s_mul_i32 s11, s9, s16
	s_add_i32 s6, s11, s6
	s_mul_i32 s0, s6, s0
	s_add_i32 s29, s0, 1
.LBB39_8:
	s_load_dword s0, s[4:5], 0x38
	s_mul_i32 s6, s15, s12
	s_xor_b32 s2, s2, s19
	s_sub_i32 s30, s7, s6
	s_add_i32 s16, s15, 1
	s_clause 0x2
	s_load_dwordx2 s[6:7], s[4:5], 0x0
	s_load_dwordx2 s[26:27], s[4:5], 0x18
	s_load_dword s11, s[4:5], 0x88
	v_lshrrev_b32_e32 v114, 5, v47
	v_and_b32_e32 v127, 31, v47
	v_mov_b32_e32 v103, 0xff7fffff
	v_lshrrev_b32_e32 v102, 3, v47
	s_mul_i32 s14, s1, s14
	v_lshlrev_b32_e32 v105, 5, v114
	v_lshlrev_b32_e32 v0, 2, v127
	s_waitcnt lgkmcnt(0)
	s_mul_i32 s24, s0, s10
	s_sub_i32 s0, s30, s12
	s_ashr_i32 s25, s24, 31
	s_cmp_ge_u32 s30, s12
	s_cselect_b32 s15, s16, s15
	s_cselect_b32 s0, s0, s30
	s_add_i32 s16, s15, 1
	s_cmp_ge_u32 s0, s12
	s_cselect_b32 s0, s16, s15
	s_add_i32 s15, s28, 31
	s_ashr_i32 s16, s15, 31
	s_lshr_b32 s16, s16, 27
	s_add_i32 s15, s15, s16
	s_ashr_i32 s16, s15, 5
	s_xor_b32 s15, s0, s2
	v_cmp_gt_i32_e64 s0, s16, v114
	s_sub_i32 s30, s15, s2
	s_and_saveexec_b32 s33, s0
	s_cbranch_execz .LBB39_16
; %bb.9:
	s_load_dwordx2 s[34:35], s[4:5], 0x10
	s_ashr_i32 s15, s14, 31
	s_sub_i32 s4, s30, s17
	s_lshl_b64 s[36:37], s[14:15], 2
	v_mov_b32_e32 v93, 0
	v_mov_b32_e32 v125, v47
	ds_read_b128 v[1:4], v93
	ds_read_b128 v[5:8], v93 offset:16
	v_subrev_nc_u32_e32 v99, s28, v127
	v_lshlrev_b32_e32 v97, 4, v127
	v_and_b32_e32 v98, 0x7c, v102
	v_lshl_or_b32 v100, v114, 7, v0
	v_cmp_neq_f32_e64 vcc_lo, s31, 0
	v_add_nc_u32_e32 v108, 1, v99
	v_lshlrev_b32_e32 v104, 5, v114
	v_mov_b32_e32 v106, 0xff7fffff
	v_mov_b32_e32 v103, 0xff7fffff
	;; [unrolled: 1-line block ×3, first 2 shown]
	s_waitcnt lgkmcnt(0)
	s_add_u32 s1, s34, s36
	s_addc_u32 s2, s35, s37
	s_abs_i32 s5, s18
	s_lshl_b64 s[34:35], s[24:25], 2
	v_cvt_f32_u32_e32 v9, s5
	s_sub_i32 s15, 0, s5
	v_mov_b32_e32 v107, v114
	v_add_nc_u32_e32 v109, 0x1a0, v100
	v_rcp_iflag_f32_e32 v49, v9
	ds_read_b128 v[9:12], v93 offset:32
	ds_read_b128 v[13:16], v93 offset:48
	ds_read_b128 v[17:20], v93 offset:64
	ds_read_b128 v[21:24], v93 offset:80
	ds_read_b128 v[25:28], v93 offset:96
	ds_read_b128 v[29:32], v93 offset:112
	ds_read_b128 v[33:36], v93 offset:128
	ds_read_b128 v[37:40], v93 offset:144
	ds_read_b128 v[41:44], v93 offset:160
	ds_read_b128 v[45:48], v93 offset:176
	v_mul_f32_e32 v65, 0x4f7ffffe, v49
	ds_read_b128 v[49:52], v93 offset:192
	ds_read_b128 v[53:56], v93 offset:208
	;; [unrolled: 1-line block ×4, first 2 shown]
	v_cvt_u32_f32_e32 v112, v65
	ds_read_b128 v[65:68], v93 offset:256
	ds_read_b128 v[69:72], v93 offset:272
	ds_read_b128 v[73:76], v93 offset:288
	ds_read_b128 v[77:80], v93 offset:304
	ds_read_b128 v[81:84], v93 offset:320
	ds_read_b128 v[85:88], v93 offset:336
	ds_read_b128 v[89:92], v93 offset:352
	ds_read_b128 v[93:96], v93 offset:368
	v_mul_lo_u32 v110, s15, v112
	s_mov_b32 s15, 0
	v_mul_hi_u32 v99, v112, v110
	v_add_co_u32 v110, s1, s1, v97
	v_add_co_ci_u32_e64 v111, null, s2, 0, s1
	s_add_u32 s1, s22, s34
	s_addc_u32 s2, s23, s35
	v_add_co_u32 v97, s1, s1, v98
	v_add_co_ci_u32_e64 v98, null, s2, 0, s1
	v_add_nc_u32_e32 v112, v112, v99
	s_mov_b32 s34, s13
	s_branch .LBB39_11
.LBB39_10:                              ;   in Loop: Header=BB39_11 Depth=1
	s_or_b32 exec_lo, exec_lo, s2
	v_add_nc_u32_e32 v107, 4, v107
	v_add_co_u32 v97, s2, v97, 16
	v_add_co_ci_u32_e64 v98, null, 0, v98, s2
	v_cmp_le_i32_e64 s1, s16, v107
	v_add_nc_u32_e32 v104, 0x80, v104
	v_add_nc_u32_e32 v109, 0x200, v109
	s_or_b32 s15, s1, s15
	s_andn2_b32 exec_lo, exec_lo, s15
	s_cbranch_execz .LBB39_15
.LBB39_11:                              ; =>This Inner Loop Header: Depth=1
	v_mul_hi_u32 v99, v104, s21
	v_mul_lo_u32 v100, v99, s12
	v_add_nc_u32_e32 v113, 1, v99
	v_sub_nc_u32_e32 v100, v104, v100
	v_subrev_nc_u32_e32 v114, s12, v100
	v_cmp_le_u32_e64 s1, s12, v100
	v_cndmask_b32_e64 v99, v99, v113, s1
	v_cndmask_b32_e64 v100, v100, v114, s1
	v_add_nc_u32_e32 v113, 1, v99
	v_cmp_le_u32_e64 s1, s12, v100
	v_cndmask_b32_e64 v99, v99, v113, s1
	v_xor_b32_e32 v99, s19, v99
	v_subrev_nc_u32_e32 v99, s19, v99
	v_add_nc_u32_e32 v100, s29, v99
	v_cmp_ge_i32_e64 s2, s4, v99
	v_sub_nc_u32_e32 v113, 0, v100
	v_max_i32_e32 v113, v100, v113
	v_ashrrev_i32_e32 v100, 31, v100
	v_mul_hi_u32 v114, v113, v112
	v_mul_lo_u32 v114, v114, s5
	v_sub_nc_u32_e32 v113, v113, v114
	v_subrev_nc_u32_e32 v114, s5, v113
	v_cmp_le_u32_e64 s1, s5, v113
	v_cndmask_b32_e64 v113, v113, v114, s1
	v_subrev_nc_u32_e32 v114, s5, v113
	v_cmp_le_u32_e64 s1, s5, v113
	v_cndmask_b32_e64 v113, v113, v114, s1
	v_xor_b32_e32 v113, v113, v100
	v_sub_nc_u32_e32 v100, v113, v100
	v_cmp_ne_u32_e64 s1, 0, v100
	s_and_b32 s1, s1, s2
	s_and_saveexec_b32 s2, s1
	s_xor_b32 s1, exec_lo, s2
; %bb.12:                               ;   in Loop: Header=BB39_11 Depth=1
	ds_write_b32 v109, v106
; %bb.13:                               ;   in Loop: Header=BB39_11 Depth=1
	s_andn2_saveexec_b32 s2, s1
	s_cbranch_execz .LBB39_10
; %bb.14:                               ;   in Loop: Header=BB39_11 Depth=1
	global_load_dword v99, v[97:98], off
	s_waitcnt vmcnt(0)
	v_mad_i64_i32 v[99:100], null, v99, s34, 0
	v_lshlrev_b64 v[99:100], 2, v[99:100]
	v_add_co_u32 v99, s1, v110, v99
	v_add_co_ci_u32_e64 v100, null, v111, v100, s1
	v_add_co_u32 v121, s1, v99, 0x1000
	global_load_dwordx4 v[114:117], v[99:100], off offset:512
	v_add_co_ci_u32_e64 v122, null, 0, v100, s1
	v_add_co_u32 v123, s1, 0x800, v99
	v_add_co_ci_u32_e64 v124, null, 0, v100, s1
	s_waitcnt vmcnt(0)
	v_mul_f32_e32 v113, v8, v117
	global_load_dwordx4 v[117:120], v[99:100], off
	v_mul_f32_e32 v114, v5, v114
	v_mul_f32_e32 v115, v6, v115
	;; [unrolled: 1-line block ×3, first 2 shown]
	s_waitcnt vmcnt(0)
	v_fmac_f32_e32 v114, v1, v117
	v_fmac_f32_e32 v115, v2, v118
	;; [unrolled: 1-line block ×4, first 2 shown]
	global_load_dwordx4 v[117:120], v[99:100], off offset:1024
	s_waitcnt vmcnt(0) lgkmcnt(21)
	v_fmac_f32_e32 v114, v9, v117
	v_fmac_f32_e32 v115, v10, v118
	;; [unrolled: 1-line block ×4, first 2 shown]
	global_load_dwordx4 v[117:120], v[99:100], off offset:1536
	s_waitcnt vmcnt(0) lgkmcnt(20)
	v_fmac_f32_e32 v114, v13, v117
	v_fmac_f32_e32 v115, v14, v118
	;; [unrolled: 1-line block ×4, first 2 shown]
	global_load_dwordx4 v[117:120], v[121:122], off offset:-2048
	s_waitcnt vmcnt(0) lgkmcnt(19)
	v_fmac_f32_e32 v114, v17, v117
	v_fmac_f32_e32 v115, v18, v118
	v_fmac_f32_e32 v116, v19, v119
	v_fmac_f32_e32 v113, v20, v120
	global_load_dwordx4 v[117:120], v[123:124], off offset:512
	s_waitcnt vmcnt(0) lgkmcnt(18)
	v_fmac_f32_e32 v114, v21, v117
	v_fmac_f32_e32 v115, v22, v118
	v_fmac_f32_e32 v116, v23, v119
	v_fmac_f32_e32 v113, v24, v120
	global_load_dwordx4 v[117:120], v[123:124], off offset:1024
	;; [unrolled: 6-line block ×3, first 2 shown]
	s_waitcnt vmcnt(0) lgkmcnt(16)
	v_fmac_f32_e32 v114, v29, v117
	v_fmac_f32_e32 v115, v30, v118
	;; [unrolled: 1-line block ×4, first 2 shown]
	global_load_dwordx4 v[117:120], v[121:122], off
	v_add_co_u32 v121, s1, 0x1000, v99
	v_add_co_ci_u32_e64 v122, null, 0, v100, s1
	s_waitcnt vmcnt(0) lgkmcnt(15)
	v_fmac_f32_e32 v114, v33, v117
	v_fmac_f32_e32 v115, v34, v118
	v_fmac_f32_e32 v116, v35, v119
	v_fmac_f32_e32 v113, v36, v120
	global_load_dwordx4 v[117:120], v[121:122], off offset:512
	s_waitcnt vmcnt(0) lgkmcnt(14)
	v_fmac_f32_e32 v114, v37, v117
	v_fmac_f32_e32 v115, v38, v118
	v_fmac_f32_e32 v116, v39, v119
	v_fmac_f32_e32 v113, v40, v120
	global_load_dwordx4 v[117:120], v[121:122], off offset:1024
	s_waitcnt vmcnt(0) lgkmcnt(13)
	v_fmac_f32_e32 v114, v41, v117
	v_fmac_f32_e32 v115, v42, v118
	v_fmac_f32_e32 v116, v43, v119
	v_fmac_f32_e32 v113, v44, v120
	global_load_dwordx4 v[117:120], v[121:122], off offset:1536
	v_add_co_u32 v121, s1, v99, 0x2000
	v_add_co_ci_u32_e64 v122, null, 0, v100, s1
	v_add_co_u32 v123, s1, 0x1800, v99
	v_add_co_ci_u32_e64 v124, null, 0, v100, s1
	s_waitcnt vmcnt(0) lgkmcnt(12)
	v_fmac_f32_e32 v114, v45, v117
	v_fmac_f32_e32 v115, v46, v118
	;; [unrolled: 1-line block ×4, first 2 shown]
	global_load_dwordx4 v[117:120], v[121:122], off offset:-2048
	s_waitcnt vmcnt(0) lgkmcnt(11)
	v_fmac_f32_e32 v114, v49, v117
	v_fmac_f32_e32 v115, v50, v118
	v_fmac_f32_e32 v116, v51, v119
	v_fmac_f32_e32 v113, v52, v120
	global_load_dwordx4 v[117:120], v[123:124], off offset:512
	s_waitcnt vmcnt(0) lgkmcnt(10)
	v_fmac_f32_e32 v114, v53, v117
	v_fmac_f32_e32 v115, v54, v118
	v_fmac_f32_e32 v116, v55, v119
	v_fmac_f32_e32 v113, v56, v120
	global_load_dwordx4 v[117:120], v[123:124], off offset:1024
	;; [unrolled: 6-line block ×3, first 2 shown]
	s_waitcnt vmcnt(0) lgkmcnt(8)
	v_fmac_f32_e32 v114, v61, v117
	v_fmac_f32_e32 v115, v62, v118
	;; [unrolled: 1-line block ×4, first 2 shown]
	global_load_dwordx4 v[117:120], v[121:122], off
	v_add_co_u32 v121, s1, 0x2000, v99
	v_add_co_ci_u32_e64 v122, null, 0, v100, s1
	v_add_co_u32 v99, s1, 0x2800, v99
	v_add_co_ci_u32_e64 v100, null, 0, v100, s1
	s_waitcnt vmcnt(0) lgkmcnt(7)
	v_fmac_f32_e32 v114, v65, v117
	v_fmac_f32_e32 v115, v66, v118
	v_fmac_f32_e32 v116, v67, v119
	v_fmac_f32_e32 v113, v68, v120
	global_load_dwordx4 v[117:120], v[121:122], off offset:512
	s_waitcnt vmcnt(0) lgkmcnt(6)
	v_fmac_f32_e32 v114, v69, v117
	v_fmac_f32_e32 v115, v70, v118
	v_fmac_f32_e32 v116, v71, v119
	v_fmac_f32_e32 v113, v72, v120
	global_load_dwordx4 v[117:120], v[121:122], off offset:1024
	;; [unrolled: 6-line block ×3, first 2 shown]
	s_waitcnt vmcnt(0) lgkmcnt(4)
	v_fmac_f32_e32 v114, v77, v117
	v_fmac_f32_e32 v115, v78, v118
	;; [unrolled: 1-line block ×4, first 2 shown]
	global_load_dwordx4 v[117:120], v[99:100], off
	s_waitcnt vmcnt(0) lgkmcnt(3)
	v_fmac_f32_e32 v114, v81, v117
	v_fmac_f32_e32 v115, v82, v118
	v_fmac_f32_e32 v116, v83, v119
	v_fmac_f32_e32 v113, v84, v120
	global_load_dwordx4 v[117:120], v[99:100], off offset:512
	s_waitcnt vmcnt(0) lgkmcnt(2)
	v_fmac_f32_e32 v114, v85, v117
	v_fmac_f32_e32 v115, v86, v118
	v_fmac_f32_e32 v116, v87, v119
	v_fmac_f32_e32 v113, v88, v120
	global_load_dwordx4 v[117:120], v[99:100], off offset:1024
	;; [unrolled: 6-line block ×3, first 2 shown]
	v_add_nc_u32_e32 v100, v127, v104
	v_cmp_gt_i32_e64 s1, s28, v100
	v_add_nc_u32_e32 v100, v108, v104
	v_cvt_f32_i32_e32 v100, v100
	v_mul_f32_e32 v100, s31, v100
	v_cndmask_b32_e32 v100, 0, v100, vcc_lo
	s_waitcnt vmcnt(0) lgkmcnt(0)
	v_fmac_f32_e32 v114, v93, v117
	v_fmac_f32_e32 v115, v94, v118
	;; [unrolled: 1-line block ×4, first 2 shown]
	v_add_f32_e32 v99, v114, v115
	v_add_f32_e32 v99, v116, v99
	;; [unrolled: 1-line block ×3, first 2 shown]
	v_fmac_f32_e32 v100, s3, v99
	v_max_f32_e32 v99, v103, v103
	v_max_f32_e32 v99, v99, v100
	v_cndmask_b32_e64 v103, v103, v99, s1
	v_cndmask_b32_e64 v99, 0, v100, s1
	ds_write_b32 v109, v99
	s_branch .LBB39_10
.LBB39_15:
	s_or_b32 exec_lo, exec_lo, s15
	s_waitcnt lgkmcnt(12)
	v_mov_b32_e32 v47, v125
	v_mov_b32_e32 v114, v126
.LBB39_16:
	s_or_b32 exec_lo, exec_lo, s33
	v_mbcnt_lo_u32_b32 v2, -1, 0
	v_max_f32_e32 v5, v103, v103
	v_xor_b32_e32 v1, 16, v2
	v_xor_b32_e32 v4, 8, v2
	v_cmp_gt_i32_e32 vcc_lo, 32, v1
	v_cndmask_b32_e32 v1, v2, v1, vcc_lo
	v_cmp_gt_i32_e32 vcc_lo, 32, v4
	v_lshlrev_b32_e32 v1, 2, v1
	v_cndmask_b32_e32 v4, v2, v4, vcc_lo
	ds_bpermute_b32 v3, v1, v103
	s_waitcnt lgkmcnt(0)
	v_max_f32_e32 v6, v3, v3
	v_lshlrev_b32_e32 v3, 2, v4
	v_max_f32_e32 v4, v5, v6
	v_xor_b32_e32 v6, 4, v2
	ds_bpermute_b32 v5, v3, v4
	v_cmp_gt_i32_e32 vcc_lo, 32, v6
	v_cndmask_b32_e32 v6, v2, v6, vcc_lo
	v_lshlrev_b32_e32 v108, 2, v6
	v_xor_b32_e32 v6, 2, v2
	v_cmp_gt_i32_e32 vcc_lo, 32, v6
	s_waitcnt lgkmcnt(0)
	v_max_f32_e32 v5, v5, v5
	v_cndmask_b32_e32 v6, v2, v6, vcc_lo
	v_max_f32_e32 v4, v4, v5
	v_lshlrev_b32_e32 v107, 2, v6
	v_xor_b32_e32 v6, 1, v2
	ds_bpermute_b32 v5, v108, v4
	v_cmp_gt_i32_e32 vcc_lo, 32, v6
	v_cndmask_b32_e32 v6, v2, v6, vcc_lo
	v_cmp_eq_u32_e32 vcc_lo, 0, v127
	v_lshlrev_b32_e32 v106, 2, v6
	s_waitcnt lgkmcnt(0)
	v_max_f32_e32 v5, v5, v5
	v_max_f32_e32 v4, v4, v5
	ds_bpermute_b32 v5, v107, v4
	s_waitcnt lgkmcnt(0)
	v_max_f32_e32 v5, v5, v5
	v_max_f32_e32 v2, v4, v5
	v_lshlrev_b32_e32 v4, 2, v114
	ds_bpermute_b32 v5, v106, v2
	s_and_saveexec_b32 s1, vcc_lo
	s_cbranch_execz .LBB39_18
; %bb.17:
	s_waitcnt lgkmcnt(0)
	v_max_f32_e32 v5, v5, v5
	v_max_f32_e32 v2, v2, v2
	;; [unrolled: 1-line block ×3, first 2 shown]
	ds_write_b32 v4, v2 offset:384
.LBB39_18:
	s_or_b32 exec_lo, exec_lo, s1
	v_cmp_gt_u32_e64 s1, 4, v127
	v_mov_b32_e32 v2, 0xff7fffff
	s_waitcnt lgkmcnt(0)
	s_barrier
	buffer_gl0_inv
	s_and_saveexec_b32 s2, s1
; %bb.19:
	ds_read_b32 v2, v0 offset:384
; %bb.20:
	s_or_b32 exec_lo, exec_lo, s2
	s_waitcnt lgkmcnt(0)
	ds_bpermute_b32 v5, v107, v2
	v_max_f32_e32 v2, v2, v2
	s_lshl_b32 s2, s16, 5
	s_min_i32 s4, s2, s28
	v_cmp_gt_i32_e64 s2, s4, v47
	s_waitcnt lgkmcnt(0)
	v_max_f32_e32 v5, v5, v5
	v_max_f32_e32 v2, v2, v5
	ds_bpermute_b32 v5, v106, v2
	s_waitcnt lgkmcnt(0)
	v_max_f32_e32 v5, v5, v5
	v_max_f32_e32 v2, v2, v5
	v_mov_b32_e32 v5, 0
	ds_bpermute_b32 v6, v5, v2
	v_lshl_add_u32 v2, v47, 2, 0x1a0
	s_and_saveexec_b32 s5, s2
	s_cbranch_execz .LBB39_24
; %bb.21:
	v_lshl_add_u32 v7, v47, 2, 0x1a0
	v_mov_b32_e32 v5, 0
	v_mov_b32_e32 v8, v47
	s_mov_b32 s15, 0
	.p2align	6
.LBB39_22:                              ; =>This Inner Loop Header: Depth=1
	ds_read_b32 v9, v7
	v_add_nc_u32_e32 v8, 0x80, v8
	v_cmp_le_i32_e64 s3, s4, v8
	s_or_b32 s15, s3, s15
	s_waitcnt lgkmcnt(0)
	v_sub_f32_e32 v9, v9, v6
	v_mul_f32_e32 v9, 0x3fb8aa3b, v9
	v_exp_f32_e32 v9, v9
	ds_write_b32 v7, v9
	v_add_f32_e32 v5, v5, v9
	v_add_nc_u32_e32 v7, 0x200, v7
	s_andn2_b32 exec_lo, exec_lo, s15
	s_cbranch_execnz .LBB39_22
; %bb.23:
	s_or_b32 exec_lo, exec_lo, s15
.LBB39_24:
	s_or_b32 exec_lo, exec_lo, s5
	ds_bpermute_b32 v1, v1, v5
	s_waitcnt lgkmcnt(0)
	v_add_f32_e32 v1, v5, v1
	ds_bpermute_b32 v3, v3, v1
	s_waitcnt lgkmcnt(0)
	v_add_f32_e32 v1, v1, v3
	;; [unrolled: 3-line block ×5, first 2 shown]
	s_and_saveexec_b32 s3, vcc_lo
; %bb.25:
	ds_write_b32 v4, v1 offset:400
; %bb.26:
	s_or_b32 exec_lo, exec_lo, s3
	s_waitcnt lgkmcnt(0)
	s_barrier
	buffer_gl0_inv
	s_and_saveexec_b32 s3, s1
; %bb.27:
	ds_read_b32 v1, v0 offset:400
; %bb.28:
	s_or_b32 exec_lo, exec_lo, s3
	s_waitcnt lgkmcnt(0)
	ds_bpermute_b32 v0, v107, v1
	s_waitcnt lgkmcnt(0)
	v_add_f32_e32 v0, v1, v0
	ds_bpermute_b32 v1, v106, v0
	s_waitcnt lgkmcnt(0)
	v_add_f32_e32 v0, v0, v1
	v_mov_b32_e32 v1, 0
	ds_bpermute_b32 v0, v1, v0
	s_and_saveexec_b32 s1, s2
	s_cbranch_execz .LBB39_31
; %bb.29:
	s_waitcnt lgkmcnt(0)
	v_add_f32_e32 v0, 0x358637bd, v0
	s_mov_b32 s2, 0
	v_div_scale_f32 v1, null, v0, v0, 1.0
	v_div_scale_f32 v5, vcc_lo, 1.0, v0, 1.0
	v_rcp_f32_e32 v3, v1
	v_fma_f32 v4, -v1, v3, 1.0
	v_fmac_f32_e32 v3, v4, v3
	v_mul_f32_e32 v4, v5, v3
	v_fma_f32 v6, -v1, v4, v5
	v_fmac_f32_e32 v4, v6, v3
	v_fma_f32 v1, -v1, v4, v5
	v_div_fmas_f32 v1, v1, v3, v4
	v_div_fixup_f32 v0, v1, v0, 1.0
	v_mov_b32_e32 v1, v47
.LBB39_30:                              ; =>This Inner Loop Header: Depth=1
	ds_read_b32 v3, v2
	v_add_nc_u32_e32 v1, 0x80, v1
	v_cmp_le_i32_e32 vcc_lo, s4, v1
	s_or_b32 s2, vcc_lo, s2
	s_waitcnt lgkmcnt(0)
	v_mul_f32_e32 v3, v0, v3
	ds_write_b32 v2, v3
	v_add_nc_u32_e32 v2, 0x200, v2
	s_andn2_b32 exec_lo, exec_lo, s2
	s_cbranch_execnz .LBB39_30
.LBB39_31:
	s_or_b32 exec_lo, exec_lo, s1
	buffer_store_dword v127, off, s[40:43], 0 offset:48 ; 4-byte Folded Spill
	s_waitcnt lgkmcnt(0)
	v_mov_b32_e32 v0, 0
	v_and_b32_e32 v48, 7, v47
	v_mov_b32_e32 v20, 0
	v_mov_b32_e32 v19, 0
	;; [unrolled: 1-line block ×23, first 2 shown]
	s_waitcnt_vscnt null, 0x0
	s_barrier
	buffer_gl0_inv
	s_and_saveexec_b32 s1, s0
	s_cbranch_execz .LBB39_85
; %bb.32:
	s_ashr_i32 s15, s14, 31
	s_sub_i32 s2, s30, s17
	s_lshl_b64 s[4:5], s[14:15], 2
	v_lshlrev_b32_e32 v0, 2, v47
	s_add_u32 s0, s26, s4
	s_addc_u32 s5, s27, s5
	s_abs_i32 s3, s18
	v_and_b32_e32 v2, 0x1f0, v101
	v_cvt_f32_u32_e32 v1, s3
	v_and_b32_e32 v0, 28, v0
	s_sub_i32 s4, 0, s3
	v_lshlrev_b32_e32 v4, 4, v48
	v_add_co_u32 v2, s0, s0, v2
	v_rcp_iflag_f32_e32 v1, v1
	buffer_store_dword v0, off, s[40:43], 0 offset:36 ; 4-byte Folded Spill
	v_and_b32_e32 v3, 0x7c, v102
	s_lshl_b64 s[14:15], s[24:25], 2
	v_lshl_or_b32 v4, v114, 7, v4
	buffer_store_dword v2, off, s[40:43], 0 offset:40 ; 4-byte Folded Spill
	v_add_co_ci_u32_e64 v2, null, s5, 0, s0
	v_mov_b32_e32 v113, 0
	v_mov_b32_e32 v119, 0
	v_mul_f32_e32 v1, 0x4f7ffffe, v1
	v_mov_b32_e32 v120, 0
	v_mov_b32_e32 v121, 0
	;; [unrolled: 1-line block ×4, first 2 shown]
	v_cvt_u32_f32_e32 v1, v1
	v_mov_b32_e32 v124, 0
	v_mov_b32_e32 v125, 0
	;; [unrolled: 1-line block ×4, first 2 shown]
	v_mul_lo_u32 v0, s4, v1
	s_add_i32 s4, s16, -1
	s_add_u32 s0, s22, s14
	s_addc_u32 s5, s23, s15
	v_add_co_u32 v101, s0, s0, v3
	v_mov_b32_e32 v109, 0
	v_mov_b32_e32 v103, 0
	v_mul_hi_u32 v0, v1, v0
	v_mov_b32_e32 v104, 0
	v_mov_b32_e32 v23, 0
	;; [unrolled: 1-line block ×4, first 2 shown]
	v_add_nc_u32_e32 v112, 0x1a0, v4
	v_add_co_ci_u32_e64 v102, null, s5, 0, s0
	v_add_nc_u32_e32 v0, v1, v0
	v_mov_b32_e32 v24, 0
	v_mov_b32_e32 v26, 0
	v_mov_b32_e32 v27, 0
	v_mov_b32_e32 v25, 0
	buffer_store_dword v0, off, s[40:43], 0 ; 4-byte Folded Spill
	v_mov_b32_e32 v18, 0
	v_mov_b32_e32 v19, 0
	;; [unrolled: 1-line block ×4, first 2 shown]
	s_mov_b32 s5, 0
	buffer_store_dword v47, off, s[40:43], 0 offset:52 ; 4-byte Folded Spill
	buffer_store_dword v48, off, s[40:43], 0 offset:60 ; 4-byte Folded Spill
	;; [unrolled: 1-line block ×4, first 2 shown]
	s_branch .LBB39_35
.LBB39_33:                              ;   in Loop: Header=BB39_35 Depth=1
	s_or_b32 exec_lo, exec_lo, s0
	s_waitcnt vmcnt(19) lgkmcnt(0)
	v_mul_f32_e32 v21, v1, v21
	s_waitcnt vmcnt(18)
	v_mul_f32_e32 v25, v1, v25
	v_mul_f32_e32 v17, v1, v17
	s_waitcnt vmcnt(1)
	v_mul_f32_e32 v97, v1, v97
	v_mul_f32_e32 v93, v1, v93
	v_fmac_f32_e32 v21, v2, v22
	v_fmac_f32_e32 v25, v2, v26
	;; [unrolled: 1-line block ×3, first 2 shown]
	v_mul_f32_e32 v89, v1, v89
	v_mul_f32_e32 v85, v1, v85
	v_fmac_f32_e32 v21, v3, v23
	v_fmac_f32_e32 v25, v3, v27
	;; [unrolled: 1-line block ×3, first 2 shown]
	v_mov_b32_e32 v23, v0
	v_mul_f32_e32 v81, v1, v81
	v_fmac_f32_e32 v21, v4, v24
	s_clause 0x4
	buffer_load_dword v24, off, s[40:43], 0 offset:4
	buffer_load_dword v26, off, s[40:43], 0 offset:8
	;; [unrolled: 1-line block ×5, first 2 shown]
	v_fmac_f32_e32 v25, v4, v28
	v_fmac_f32_e32 v17, v4, v20
	v_mul_f32_e32 v77, v1, v77
	v_mul_f32_e32 v73, v1, v73
	v_mul_f32_e32 v65, v1, v65
	v_mul_f32_e32 v61, v1, v61
	v_mul_f32_e32 v57, v1, v57
	v_mul_f32_e32 v53, v1, v53
	v_mul_f32_e32 v49, v1, v49
	v_mul_f32_e32 v45, v1, v45
	v_mul_f32_e32 v41, v1, v41
	v_mul_f32_e32 v37, v1, v37
	v_mul_f32_e32 v33, v1, v33
	v_mul_f32_e32 v29, v1, v29
	v_mul_f32_e32 v13, v1, v13
	v_mul_f32_e32 v9, v1, v9
	v_mul_f32_e32 v5, v1, v5
	s_waitcnt vmcnt(5)
	v_mul_f32_e32 v1, v1, v69
	v_fmac_f32_e32 v97, v2, v98
	v_fmac_f32_e32 v93, v2, v94
	;; [unrolled: 1-line block ×63, first 2 shown]
	v_add_f32_e32 v119, v119, v97
	v_add_f32_e32 v120, v120, v93
	;; [unrolled: 1-line block ×16, first 2 shown]
	s_clause 0x1
	buffer_load_dword v19, off, s[40:43], 0 offset:24
	buffer_load_dword v20, off, s[40:43], 0 offset:32
	s_waitcnt vmcnt(6)
	v_add_f32_e32 v24, v24, v33
	s_waitcnt vmcnt(5)
	v_add_f32_e32 v26, v26, v29
	;; [unrolled: 2-line block ×3, first 2 shown]
	buffer_load_dword v25, off, s[40:43], 0 offset:16 ; 4-byte Folded Reload
	s_waitcnt vmcnt(4)
	v_add_f32_e32 v18, v18, v17
	s_waitcnt vmcnt(3)
	v_add_f32_e32 v0, v0, v5
	;; [unrolled: 2-line block ×5, first 2 shown]
.LBB39_34:                              ;   in Loop: Header=BB39_35 Depth=1
	s_or_b32 exec_lo, exec_lo, s14
	v_add_nc_u32_e32 v114, 4, v114
	v_add_co_u32 v101, s0, v101, 16
	v_add_co_ci_u32_e64 v102, null, 0, v102, s0
	v_cmp_le_i32_e32 vcc_lo, s16, v114
	v_add_nc_u32_e32 v105, 0x80, v105
	v_add_nc_u32_e32 v112, 0x200, v112
	s_or_b32 s5, vcc_lo, s5
	s_andn2_b32 exec_lo, exec_lo, s5
	s_cbranch_execz .LBB39_84
.LBB39_35:                              ; =>This Inner Loop Header: Depth=1
	v_mul_hi_u32 v1, v105, s21
	v_mul_lo_u32 v2, v1, s12
	v_add_nc_u32_e32 v3, 1, v1
	v_sub_nc_u32_e32 v2, v105, v2
	v_subrev_nc_u32_e32 v4, s12, v2
	v_cmp_le_u32_e32 vcc_lo, s12, v2
	v_cndmask_b32_e32 v2, v2, v4, vcc_lo
	buffer_load_dword v4, off, s[40:43], 0  ; 4-byte Folded Reload
	v_cndmask_b32_e32 v1, v1, v3, vcc_lo
	v_cmp_le_u32_e32 vcc_lo, s12, v2
	v_add_nc_u32_e32 v3, 1, v1
	v_cndmask_b32_e32 v1, v1, v3, vcc_lo
	v_xor_b32_e32 v1, s19, v1
	v_subrev_nc_u32_e32 v1, s19, v1
	v_add_nc_u32_e32 v2, s29, v1
	v_cmp_lt_i32_e64 s0, s2, v1
	v_sub_nc_u32_e32 v3, 0, v2
	v_max_i32_e32 v3, v2, v3
	v_ashrrev_i32_e32 v2, 31, v2
	s_waitcnt vmcnt(0)
	v_mul_hi_u32 v4, v3, v4
	v_mul_lo_u32 v4, v4, s3
	v_sub_nc_u32_e32 v3, v3, v4
	v_subrev_nc_u32_e32 v4, s3, v3
	v_cmp_le_u32_e32 vcc_lo, s3, v3
	v_cndmask_b32_e32 v3, v3, v4, vcc_lo
	v_subrev_nc_u32_e32 v4, s3, v3
	v_cmp_le_u32_e32 vcc_lo, s3, v3
	v_cndmask_b32_e32 v3, v3, v4, vcc_lo
	v_xor_b32_e32 v3, v3, v2
	v_sub_nc_u32_e32 v2, v3, v2
	v_cmp_eq_u32_e32 vcc_lo, 0, v2
	s_or_b32 s0, vcc_lo, s0
	s_and_saveexec_b32 s14, s0
	s_cbranch_execz .LBB39_34
; %bb.36:                               ;   in Loop: Header=BB39_35 Depth=1
	buffer_store_dword v20, off, s[40:43], 0 offset:32 ; 4-byte Folded Spill
	buffer_store_dword v0, off, s[40:43], 0 offset:28 ; 4-byte Folded Spill
	;; [unrolled: 1-line block ×8, first 2 shown]
	global_load_dword v1, v[101:102], off
	s_clause 0x1
	buffer_load_dword v3, off, s[40:43], 0 offset:40
	buffer_load_dword v9, off, s[40:43], 0 offset:36
	v_mov_b32_e32 v0, v23
	s_waitcnt vmcnt(2)
	v_mad_i64_i32 v[1:2], null, v1, s13, 0
	s_waitcnt vmcnt(0)
	v_add_nc_u32_e32 v116, v9, v105
	v_add_nc_u32_e32 v118, 1, v116
	v_lshlrev_b64 v[1:2], 2, v[1:2]
	v_add_nc_u32_e32 v117, 2, v116
	v_add_nc_u32_e32 v115, 3, v116
	v_add_co_u32 v69, vcc_lo, v3, v1
	buffer_load_dword v1, off, s[40:43], 0 offset:44 ; 4-byte Folded Reload
	s_waitcnt vmcnt(0)
	v_add_co_ci_u32_e64 v70, null, v1, v2, vcc_lo
	ds_read_b128 v[1:4], v112
	v_cmp_eq_u32_e32 vcc_lo, s4, v114
	global_load_dwordx4 v[5:8], v[69:70], off
	s_and_saveexec_b32 s15, vcc_lo
	s_cbranch_execnz .LBB39_65
; %bb.37:                               ;   in Loop: Header=BB39_35 Depth=1
	s_or_b32 exec_lo, exec_lo, s15
	global_load_dwordx4 v[9:12], v[69:70], off offset:512
	s_and_saveexec_b32 s15, vcc_lo
	s_cbranch_execnz .LBB39_66
.LBB39_38:                              ;   in Loop: Header=BB39_35 Depth=1
	s_or_b32 exec_lo, exec_lo, s15
	global_load_dwordx4 v[13:16], v[69:70], off offset:1024
	s_and_saveexec_b32 s15, vcc_lo
	s_cbranch_execnz .LBB39_67
.LBB39_39:                              ;   in Loop: Header=BB39_35 Depth=1
	s_or_b32 exec_lo, exec_lo, s15
	global_load_dwordx4 v[17:20], v[69:70], off offset:1536
	s_and_saveexec_b32 s15, vcc_lo
	s_cbranch_execz .LBB39_41
.LBB39_40:                              ;   in Loop: Header=BB39_35 Depth=1
	v_cmp_gt_i32_e64 s0, s28, v116
	s_waitcnt vmcnt(0)
	v_cndmask_b32_e64 v17, 0, v17, s0
	v_cmp_gt_i32_e64 s0, s28, v118
	v_cndmask_b32_e64 v18, 0, v18, s0
	v_cmp_gt_i32_e64 s0, s28, v117
	;; [unrolled: 2-line block ×3, first 2 shown]
	v_cndmask_b32_e64 v20, 0, v20, s0
.LBB39_41:                              ;   in Loop: Header=BB39_35 Depth=1
	s_or_b32 exec_lo, exec_lo, s15
	v_add_co_u32 v33, s0, 0x800, v69
	v_add_co_ci_u32_e64 v34, null, 0, v70, s0
	global_load_dwordx4 v[21:24], v[33:34], off
	s_and_saveexec_b32 s15, vcc_lo
	s_cbranch_execnz .LBB39_68
; %bb.42:                               ;   in Loop: Header=BB39_35 Depth=1
	s_or_b32 exec_lo, exec_lo, s15
	global_load_dwordx4 v[25:28], v[33:34], off offset:512
	s_and_saveexec_b32 s15, vcc_lo
	s_cbranch_execnz .LBB39_69
.LBB39_43:                              ;   in Loop: Header=BB39_35 Depth=1
	s_or_b32 exec_lo, exec_lo, s15
	global_load_dwordx4 v[29:32], v[33:34], off offset:1024
	s_and_saveexec_b32 s15, vcc_lo
	s_cbranch_execnz .LBB39_70
.LBB39_44:                              ;   in Loop: Header=BB39_35 Depth=1
	s_or_b32 exec_lo, exec_lo, s15
	global_load_dwordx4 v[33:36], v[33:34], off offset:1536
	s_and_saveexec_b32 s15, vcc_lo
	s_cbranch_execz .LBB39_46
.LBB39_45:                              ;   in Loop: Header=BB39_35 Depth=1
	v_cmp_gt_i32_e64 s0, s28, v116
	s_waitcnt vmcnt(0)
	v_cndmask_b32_e64 v33, 0, v33, s0
	v_cmp_gt_i32_e64 s0, s28, v118
	v_cndmask_b32_e64 v34, 0, v34, s0
	v_cmp_gt_i32_e64 s0, s28, v117
	;; [unrolled: 2-line block ×3, first 2 shown]
	v_cndmask_b32_e64 v36, 0, v36, s0
.LBB39_46:                              ;   in Loop: Header=BB39_35 Depth=1
	s_or_b32 exec_lo, exec_lo, s15
	v_add_co_u32 v49, s0, 0x1000, v69
	v_add_co_ci_u32_e64 v50, null, 0, v70, s0
	global_load_dwordx4 v[37:40], v[49:50], off
	s_and_saveexec_b32 s15, vcc_lo
	s_cbranch_execnz .LBB39_71
; %bb.47:                               ;   in Loop: Header=BB39_35 Depth=1
	s_or_b32 exec_lo, exec_lo, s15
	global_load_dwordx4 v[41:44], v[49:50], off offset:512
	s_and_saveexec_b32 s15, vcc_lo
	s_cbranch_execnz .LBB39_72
.LBB39_48:                              ;   in Loop: Header=BB39_35 Depth=1
	s_or_b32 exec_lo, exec_lo, s15
	global_load_dwordx4 v[45:48], v[49:50], off offset:1024
	s_and_saveexec_b32 s15, vcc_lo
	s_cbranch_execnz .LBB39_73
.LBB39_49:                              ;   in Loop: Header=BB39_35 Depth=1
	s_or_b32 exec_lo, exec_lo, s15
	global_load_dwordx4 v[49:52], v[49:50], off offset:1536
	s_and_saveexec_b32 s15, vcc_lo
	s_cbranch_execz .LBB39_51
.LBB39_50:                              ;   in Loop: Header=BB39_35 Depth=1
	v_cmp_gt_i32_e64 s0, s28, v116
	s_waitcnt vmcnt(0)
	v_cndmask_b32_e64 v49, 0, v49, s0
	v_cmp_gt_i32_e64 s0, s28, v118
	v_cndmask_b32_e64 v50, 0, v50, s0
	v_cmp_gt_i32_e64 s0, s28, v117
	;; [unrolled: 2-line block ×3, first 2 shown]
	v_cndmask_b32_e64 v52, 0, v52, s0
.LBB39_51:                              ;   in Loop: Header=BB39_35 Depth=1
	s_or_b32 exec_lo, exec_lo, s15
	v_add_co_u32 v65, s0, 0x1800, v69
	v_add_co_ci_u32_e64 v66, null, 0, v70, s0
	global_load_dwordx4 v[53:56], v[65:66], off
	s_and_saveexec_b32 s15, vcc_lo
	s_cbranch_execnz .LBB39_74
; %bb.52:                               ;   in Loop: Header=BB39_35 Depth=1
	s_or_b32 exec_lo, exec_lo, s15
	global_load_dwordx4 v[57:60], v[65:66], off offset:512
	s_and_saveexec_b32 s15, vcc_lo
	s_cbranch_execnz .LBB39_75
.LBB39_53:                              ;   in Loop: Header=BB39_35 Depth=1
	s_or_b32 exec_lo, exec_lo, s15
	global_load_dwordx4 v[61:64], v[65:66], off offset:1024
	s_and_saveexec_b32 s15, vcc_lo
	s_cbranch_execnz .LBB39_76
.LBB39_54:                              ;   in Loop: Header=BB39_35 Depth=1
	s_or_b32 exec_lo, exec_lo, s15
	global_load_dwordx4 v[65:68], v[65:66], off offset:1536
	s_and_saveexec_b32 s15, vcc_lo
	s_cbranch_execz .LBB39_56
.LBB39_55:                              ;   in Loop: Header=BB39_35 Depth=1
	v_cmp_gt_i32_e64 s0, s28, v116
	s_waitcnt vmcnt(0)
	v_cndmask_b32_e64 v65, 0, v65, s0
	v_cmp_gt_i32_e64 s0, s28, v118
	v_cndmask_b32_e64 v66, 0, v66, s0
	v_cmp_gt_i32_e64 s0, s28, v117
	;; [unrolled: 2-line block ×3, first 2 shown]
	v_cndmask_b32_e64 v68, 0, v68, s0
.LBB39_56:                              ;   in Loop: Header=BB39_35 Depth=1
	s_or_b32 exec_lo, exec_lo, s15
	v_add_co_u32 v71, s0, 0x2000, v69
	v_add_co_ci_u32_e64 v72, null, 0, v70, s0
	global_load_dwordx4 v[73:76], v[71:72], off
	s_and_saveexec_b32 s15, vcc_lo
	s_cbranch_execnz .LBB39_77
; %bb.57:                               ;   in Loop: Header=BB39_35 Depth=1
	s_or_b32 exec_lo, exec_lo, s15
	global_load_dwordx4 v[77:80], v[71:72], off offset:512
	s_and_saveexec_b32 s15, vcc_lo
	s_cbranch_execnz .LBB39_78
.LBB39_58:                              ;   in Loop: Header=BB39_35 Depth=1
	s_or_b32 exec_lo, exec_lo, s15
	global_load_dwordx4 v[81:84], v[71:72], off offset:1024
	s_and_saveexec_b32 s15, vcc_lo
	s_cbranch_execnz .LBB39_79
.LBB39_59:                              ;   in Loop: Header=BB39_35 Depth=1
	s_or_b32 exec_lo, exec_lo, s15
	global_load_dwordx4 v[85:88], v[71:72], off offset:1536
	s_and_saveexec_b32 s15, vcc_lo
	s_cbranch_execz .LBB39_61
.LBB39_60:                              ;   in Loop: Header=BB39_35 Depth=1
	v_cmp_gt_i32_e64 s0, s28, v116
	s_waitcnt vmcnt(0)
	v_cndmask_b32_e64 v85, 0, v85, s0
	v_cmp_gt_i32_e64 s0, s28, v118
	v_cndmask_b32_e64 v86, 0, v86, s0
	v_cmp_gt_i32_e64 s0, s28, v117
	v_cndmask_b32_e64 v87, 0, v87, s0
	v_cmp_gt_i32_e64 s0, s28, v115
	v_cndmask_b32_e64 v88, 0, v88, s0
.LBB39_61:                              ;   in Loop: Header=BB39_35 Depth=1
	s_or_b32 exec_lo, exec_lo, s15
	v_add_co_u32 v69, s0, 0x2800, v69
	v_add_co_ci_u32_e64 v70, null, 0, v70, s0
	global_load_dwordx4 v[89:92], v[69:70], off
	s_and_saveexec_b32 s15, vcc_lo
	s_cbranch_execnz .LBB39_80
; %bb.62:                               ;   in Loop: Header=BB39_35 Depth=1
	s_or_b32 exec_lo, exec_lo, s15
	global_load_dwordx4 v[93:96], v[69:70], off offset:512
	s_and_saveexec_b32 s15, vcc_lo
	s_cbranch_execnz .LBB39_81
.LBB39_63:                              ;   in Loop: Header=BB39_35 Depth=1
	s_or_b32 exec_lo, exec_lo, s15
	global_load_dwordx4 v[97:100], v[69:70], off offset:1024
	s_and_saveexec_b32 s15, vcc_lo
	s_cbranch_execnz .LBB39_82
.LBB39_64:                              ;   in Loop: Header=BB39_35 Depth=1
	s_or_b32 exec_lo, exec_lo, s15
	global_load_dwordx4 v[69:72], v[69:70], off offset:1536
	s_and_saveexec_b32 s0, vcc_lo
	s_cbranch_execz .LBB39_33
	s_branch .LBB39_83
.LBB39_65:                              ;   in Loop: Header=BB39_35 Depth=1
	v_cmp_gt_i32_e64 s0, s28, v116
	s_waitcnt vmcnt(0)
	v_cndmask_b32_e64 v5, 0, v5, s0
	v_cmp_gt_i32_e64 s0, s28, v118
	v_cndmask_b32_e64 v6, 0, v6, s0
	v_cmp_gt_i32_e64 s0, s28, v117
	;; [unrolled: 2-line block ×3, first 2 shown]
	v_cndmask_b32_e64 v8, 0, v8, s0
	s_or_b32 exec_lo, exec_lo, s15
	global_load_dwordx4 v[9:12], v[69:70], off offset:512
	s_and_saveexec_b32 s15, vcc_lo
	s_cbranch_execz .LBB39_38
.LBB39_66:                              ;   in Loop: Header=BB39_35 Depth=1
	v_cmp_gt_i32_e64 s0, s28, v116
	s_waitcnt vmcnt(0)
	v_cndmask_b32_e64 v9, 0, v9, s0
	v_cmp_gt_i32_e64 s0, s28, v118
	v_cndmask_b32_e64 v10, 0, v10, s0
	v_cmp_gt_i32_e64 s0, s28, v117
	;; [unrolled: 2-line block ×3, first 2 shown]
	v_cndmask_b32_e64 v12, 0, v12, s0
	s_or_b32 exec_lo, exec_lo, s15
	global_load_dwordx4 v[13:16], v[69:70], off offset:1024
	s_and_saveexec_b32 s15, vcc_lo
	s_cbranch_execz .LBB39_39
.LBB39_67:                              ;   in Loop: Header=BB39_35 Depth=1
	v_cmp_gt_i32_e64 s0, s28, v116
	s_waitcnt vmcnt(0)
	v_cndmask_b32_e64 v13, 0, v13, s0
	v_cmp_gt_i32_e64 s0, s28, v118
	v_cndmask_b32_e64 v14, 0, v14, s0
	v_cmp_gt_i32_e64 s0, s28, v117
	;; [unrolled: 2-line block ×3, first 2 shown]
	v_cndmask_b32_e64 v16, 0, v16, s0
	s_or_b32 exec_lo, exec_lo, s15
	global_load_dwordx4 v[17:20], v[69:70], off offset:1536
	s_and_saveexec_b32 s15, vcc_lo
	s_cbranch_execnz .LBB39_40
	s_branch .LBB39_41
.LBB39_68:                              ;   in Loop: Header=BB39_35 Depth=1
	v_cmp_gt_i32_e64 s0, s28, v116
	s_waitcnt vmcnt(0)
	v_cndmask_b32_e64 v21, 0, v21, s0
	v_cmp_gt_i32_e64 s0, s28, v118
	v_cndmask_b32_e64 v22, 0, v22, s0
	v_cmp_gt_i32_e64 s0, s28, v117
	;; [unrolled: 2-line block ×3, first 2 shown]
	v_cndmask_b32_e64 v24, 0, v24, s0
	s_or_b32 exec_lo, exec_lo, s15
	global_load_dwordx4 v[25:28], v[33:34], off offset:512
	s_and_saveexec_b32 s15, vcc_lo
	s_cbranch_execz .LBB39_43
.LBB39_69:                              ;   in Loop: Header=BB39_35 Depth=1
	v_cmp_gt_i32_e64 s0, s28, v116
	s_waitcnt vmcnt(0)
	v_cndmask_b32_e64 v25, 0, v25, s0
	v_cmp_gt_i32_e64 s0, s28, v118
	v_cndmask_b32_e64 v26, 0, v26, s0
	v_cmp_gt_i32_e64 s0, s28, v117
	;; [unrolled: 2-line block ×3, first 2 shown]
	v_cndmask_b32_e64 v28, 0, v28, s0
	s_or_b32 exec_lo, exec_lo, s15
	global_load_dwordx4 v[29:32], v[33:34], off offset:1024
	s_and_saveexec_b32 s15, vcc_lo
	s_cbranch_execz .LBB39_44
.LBB39_70:                              ;   in Loop: Header=BB39_35 Depth=1
	v_cmp_gt_i32_e64 s0, s28, v116
	s_waitcnt vmcnt(0)
	v_cndmask_b32_e64 v29, 0, v29, s0
	v_cmp_gt_i32_e64 s0, s28, v118
	v_cndmask_b32_e64 v30, 0, v30, s0
	v_cmp_gt_i32_e64 s0, s28, v117
	v_cndmask_b32_e64 v31, 0, v31, s0
	v_cmp_gt_i32_e64 s0, s28, v115
	v_cndmask_b32_e64 v32, 0, v32, s0
	s_or_b32 exec_lo, exec_lo, s15
	global_load_dwordx4 v[33:36], v[33:34], off offset:1536
	s_and_saveexec_b32 s15, vcc_lo
	s_cbranch_execnz .LBB39_45
	s_branch .LBB39_46
.LBB39_71:                              ;   in Loop: Header=BB39_35 Depth=1
	v_cmp_gt_i32_e64 s0, s28, v116
	s_waitcnt vmcnt(0)
	v_cndmask_b32_e64 v37, 0, v37, s0
	v_cmp_gt_i32_e64 s0, s28, v118
	v_cndmask_b32_e64 v38, 0, v38, s0
	v_cmp_gt_i32_e64 s0, s28, v117
	;; [unrolled: 2-line block ×3, first 2 shown]
	v_cndmask_b32_e64 v40, 0, v40, s0
	s_or_b32 exec_lo, exec_lo, s15
	global_load_dwordx4 v[41:44], v[49:50], off offset:512
	s_and_saveexec_b32 s15, vcc_lo
	s_cbranch_execz .LBB39_48
.LBB39_72:                              ;   in Loop: Header=BB39_35 Depth=1
	v_cmp_gt_i32_e64 s0, s28, v116
	s_waitcnt vmcnt(0)
	v_cndmask_b32_e64 v41, 0, v41, s0
	v_cmp_gt_i32_e64 s0, s28, v118
	v_cndmask_b32_e64 v42, 0, v42, s0
	v_cmp_gt_i32_e64 s0, s28, v117
	;; [unrolled: 2-line block ×3, first 2 shown]
	v_cndmask_b32_e64 v44, 0, v44, s0
	s_or_b32 exec_lo, exec_lo, s15
	global_load_dwordx4 v[45:48], v[49:50], off offset:1024
	s_and_saveexec_b32 s15, vcc_lo
	s_cbranch_execz .LBB39_49
.LBB39_73:                              ;   in Loop: Header=BB39_35 Depth=1
	v_cmp_gt_i32_e64 s0, s28, v116
	s_waitcnt vmcnt(0)
	v_cndmask_b32_e64 v45, 0, v45, s0
	v_cmp_gt_i32_e64 s0, s28, v118
	v_cndmask_b32_e64 v46, 0, v46, s0
	v_cmp_gt_i32_e64 s0, s28, v117
	;; [unrolled: 2-line block ×3, first 2 shown]
	v_cndmask_b32_e64 v48, 0, v48, s0
	s_or_b32 exec_lo, exec_lo, s15
	global_load_dwordx4 v[49:52], v[49:50], off offset:1536
	s_and_saveexec_b32 s15, vcc_lo
	s_cbranch_execnz .LBB39_50
	s_branch .LBB39_51
.LBB39_74:                              ;   in Loop: Header=BB39_35 Depth=1
	v_cmp_gt_i32_e64 s0, s28, v116
	s_waitcnt vmcnt(0)
	v_cndmask_b32_e64 v53, 0, v53, s0
	v_cmp_gt_i32_e64 s0, s28, v118
	v_cndmask_b32_e64 v54, 0, v54, s0
	v_cmp_gt_i32_e64 s0, s28, v117
	v_cndmask_b32_e64 v55, 0, v55, s0
	v_cmp_gt_i32_e64 s0, s28, v115
	v_cndmask_b32_e64 v56, 0, v56, s0
	s_or_b32 exec_lo, exec_lo, s15
	global_load_dwordx4 v[57:60], v[65:66], off offset:512
	s_and_saveexec_b32 s15, vcc_lo
	s_cbranch_execz .LBB39_53
.LBB39_75:                              ;   in Loop: Header=BB39_35 Depth=1
	v_cmp_gt_i32_e64 s0, s28, v116
	s_waitcnt vmcnt(0)
	v_cndmask_b32_e64 v57, 0, v57, s0
	v_cmp_gt_i32_e64 s0, s28, v118
	v_cndmask_b32_e64 v58, 0, v58, s0
	v_cmp_gt_i32_e64 s0, s28, v117
	;; [unrolled: 2-line block ×3, first 2 shown]
	v_cndmask_b32_e64 v60, 0, v60, s0
	s_or_b32 exec_lo, exec_lo, s15
	global_load_dwordx4 v[61:64], v[65:66], off offset:1024
	s_and_saveexec_b32 s15, vcc_lo
	s_cbranch_execz .LBB39_54
.LBB39_76:                              ;   in Loop: Header=BB39_35 Depth=1
	v_cmp_gt_i32_e64 s0, s28, v116
	s_waitcnt vmcnt(0)
	v_cndmask_b32_e64 v61, 0, v61, s0
	v_cmp_gt_i32_e64 s0, s28, v118
	v_cndmask_b32_e64 v62, 0, v62, s0
	v_cmp_gt_i32_e64 s0, s28, v117
	;; [unrolled: 2-line block ×3, first 2 shown]
	v_cndmask_b32_e64 v64, 0, v64, s0
	s_or_b32 exec_lo, exec_lo, s15
	global_load_dwordx4 v[65:68], v[65:66], off offset:1536
	s_and_saveexec_b32 s15, vcc_lo
	s_cbranch_execnz .LBB39_55
	s_branch .LBB39_56
.LBB39_77:                              ;   in Loop: Header=BB39_35 Depth=1
	v_cmp_gt_i32_e64 s0, s28, v116
	s_waitcnt vmcnt(0)
	v_cndmask_b32_e64 v73, 0, v73, s0
	v_cmp_gt_i32_e64 s0, s28, v118
	v_cndmask_b32_e64 v74, 0, v74, s0
	v_cmp_gt_i32_e64 s0, s28, v117
	;; [unrolled: 2-line block ×3, first 2 shown]
	v_cndmask_b32_e64 v76, 0, v76, s0
	s_or_b32 exec_lo, exec_lo, s15
	global_load_dwordx4 v[77:80], v[71:72], off offset:512
	s_and_saveexec_b32 s15, vcc_lo
	s_cbranch_execz .LBB39_58
.LBB39_78:                              ;   in Loop: Header=BB39_35 Depth=1
	v_cmp_gt_i32_e64 s0, s28, v116
	s_waitcnt vmcnt(0)
	v_cndmask_b32_e64 v77, 0, v77, s0
	v_cmp_gt_i32_e64 s0, s28, v118
	v_cndmask_b32_e64 v78, 0, v78, s0
	v_cmp_gt_i32_e64 s0, s28, v117
	;; [unrolled: 2-line block ×3, first 2 shown]
	v_cndmask_b32_e64 v80, 0, v80, s0
	s_or_b32 exec_lo, exec_lo, s15
	global_load_dwordx4 v[81:84], v[71:72], off offset:1024
	s_and_saveexec_b32 s15, vcc_lo
	s_cbranch_execz .LBB39_59
.LBB39_79:                              ;   in Loop: Header=BB39_35 Depth=1
	v_cmp_gt_i32_e64 s0, s28, v116
	s_waitcnt vmcnt(0)
	v_cndmask_b32_e64 v81, 0, v81, s0
	v_cmp_gt_i32_e64 s0, s28, v118
	v_cndmask_b32_e64 v82, 0, v82, s0
	v_cmp_gt_i32_e64 s0, s28, v117
	;; [unrolled: 2-line block ×3, first 2 shown]
	v_cndmask_b32_e64 v84, 0, v84, s0
	s_or_b32 exec_lo, exec_lo, s15
	global_load_dwordx4 v[85:88], v[71:72], off offset:1536
	s_and_saveexec_b32 s15, vcc_lo
	s_cbranch_execnz .LBB39_60
	s_branch .LBB39_61
.LBB39_80:                              ;   in Loop: Header=BB39_35 Depth=1
	v_cmp_gt_i32_e64 s0, s28, v116
	s_waitcnt vmcnt(0)
	v_cndmask_b32_e64 v89, 0, v89, s0
	v_cmp_gt_i32_e64 s0, s28, v118
	v_cndmask_b32_e64 v90, 0, v90, s0
	v_cmp_gt_i32_e64 s0, s28, v117
	;; [unrolled: 2-line block ×3, first 2 shown]
	v_cndmask_b32_e64 v92, 0, v92, s0
	s_or_b32 exec_lo, exec_lo, s15
	global_load_dwordx4 v[93:96], v[69:70], off offset:512
	s_and_saveexec_b32 s15, vcc_lo
	s_cbranch_execz .LBB39_63
.LBB39_81:                              ;   in Loop: Header=BB39_35 Depth=1
	v_cmp_gt_i32_e64 s0, s28, v116
	s_waitcnt vmcnt(0)
	v_cndmask_b32_e64 v93, 0, v93, s0
	v_cmp_gt_i32_e64 s0, s28, v118
	v_cndmask_b32_e64 v94, 0, v94, s0
	v_cmp_gt_i32_e64 s0, s28, v117
	;; [unrolled: 2-line block ×3, first 2 shown]
	v_cndmask_b32_e64 v96, 0, v96, s0
	s_or_b32 exec_lo, exec_lo, s15
	global_load_dwordx4 v[97:100], v[69:70], off offset:1024
	s_and_saveexec_b32 s15, vcc_lo
	s_cbranch_execz .LBB39_64
.LBB39_82:                              ;   in Loop: Header=BB39_35 Depth=1
	v_cmp_gt_i32_e64 s0, s28, v116
	s_waitcnt vmcnt(0)
	v_cndmask_b32_e64 v97, 0, v97, s0
	v_cmp_gt_i32_e64 s0, s28, v118
	v_cndmask_b32_e64 v98, 0, v98, s0
	v_cmp_gt_i32_e64 s0, s28, v117
	;; [unrolled: 2-line block ×3, first 2 shown]
	v_cndmask_b32_e64 v100, 0, v100, s0
	s_or_b32 exec_lo, exec_lo, s15
	global_load_dwordx4 v[69:72], v[69:70], off offset:1536
	s_and_saveexec_b32 s0, vcc_lo
	s_cbranch_execz .LBB39_33
.LBB39_83:                              ;   in Loop: Header=BB39_35 Depth=1
	v_cmp_gt_i32_e32 vcc_lo, s28, v116
	s_waitcnt vmcnt(0)
	v_cndmask_b32_e32 v69, 0, v69, vcc_lo
	v_cmp_gt_i32_e32 vcc_lo, s28, v118
	v_cndmask_b32_e32 v70, 0, v70, vcc_lo
	v_cmp_gt_i32_e32 vcc_lo, s28, v117
	;; [unrolled: 2-line block ×3, first 2 shown]
	v_cndmask_b32_e32 v72, 0, v72, vcc_lo
	s_branch .LBB39_33
.LBB39_84:
	s_or_b32 exec_lo, exec_lo, s5
	s_clause 0x2
	buffer_load_dword v47, off, s[40:43], 0 offset:52
	buffer_load_dword v114, off, s[40:43], 0 offset:56
	;; [unrolled: 1-line block ×3, first 2 shown]
.LBB39_85:
	s_or_b32 exec_lo, exec_lo, s1
	ds_bpermute_b32 v1, v108, v0
	ds_bpermute_b32 v2, v108, v20
	;; [unrolled: 1-line block ×20, first 2 shown]
	s_waitcnt lgkmcnt(19)
	v_add_f32_e32 v0, v0, v1
	s_waitcnt lgkmcnt(18)
	v_add_f32_e32 v1, v20, v2
	;; [unrolled: 2-line block ×5, first 2 shown]
	ds_bpermute_b32 v18, v107, v0
	ds_bpermute_b32 v19, v107, v1
	s_waitcnt lgkmcnt(16)
	v_add_f32_e32 v13, v103, v13
	s_waitcnt lgkmcnt(15)
	v_add_f32_e32 v31, v121, v31
	ds_bpermute_b32 v37, v107, v22
	ds_bpermute_b32 v20, v107, v2
	;; [unrolled: 1-line block ×3, first 2 shown]
	s_waitcnt lgkmcnt(17)
	v_add_f32_e32 v11, v23, v11
	ds_bpermute_b32 v39, v107, v31
	ds_bpermute_b32 v4, v108, v124
	s_waitcnt lgkmcnt(18)
	v_add_f32_e32 v5, v25, v5
	s_waitcnt lgkmcnt(17)
	v_add_f32_e32 v12, v104, v12
	ds_bpermute_b32 v29, v107, v11
	s_waitcnt lgkmcnt(17)
	v_add_f32_e32 v14, v109, v14
	s_waitcnt lgkmcnt(16)
	v_add_f32_e32 v6, v27, v6
	ds_bpermute_b32 v23, v107, v5
	ds_bpermute_b32 v32, v107, v12
	s_waitcnt lgkmcnt(17)
	v_add_f32_e32 v7, v26, v7
	s_waitcnt lgkmcnt(16)
	v_add_f32_e32 v8, v24, v8
	;; [unrolled: 2-line block ×5, first 2 shown]
	v_add_f32_e32 v10, v110, v10
	ds_bpermute_b32 v24, v107, v6
	s_waitcnt lgkmcnt(8)
	v_add_f32_e32 v22, v22, v37
	ds_bpermute_b32 v18, v106, v0
	ds_bpermute_b32 v19, v106, v1
	s_waitcnt lgkmcnt(9)
	v_add_f32_e32 v2, v2, v20
	s_waitcnt lgkmcnt(7)
	v_add_f32_e32 v31, v31, v39
	ds_bpermute_b32 v39, v106, v22
	v_add_f32_e32 v3, v3, v21
	v_add_f32_e32 v15, v127, v15
	ds_bpermute_b32 v20, v106, v2
	s_waitcnt lgkmcnt(7)
	v_add_f32_e32 v11, v11, v29
	ds_bpermute_b32 v29, v107, v14
	ds_bpermute_b32 v21, v106, v3
	v_add_f32_e32 v16, v126, v16
	v_add_f32_e32 v17, v125, v17
	;; [unrolled: 1-line block ×4, first 2 shown]
	ds_bpermute_b32 v25, v107, v7
	ds_bpermute_b32 v26, v107, v8
	;; [unrolled: 1-line block ×4, first 2 shown]
	s_waitcnt lgkmcnt(12)
	v_add_f32_e32 v5, v5, v23
	s_waitcnt lgkmcnt(9)
	v_add_f32_e32 v0, v0, v18
	ds_bpermute_b32 v18, v108, v120
	s_waitcnt lgkmcnt(9)
	v_add_f32_e32 v1, v1, v19
	ds_bpermute_b32 v19, v107, v13
	v_add_f32_e32 v12, v12, v32
	ds_bpermute_b32 v32, v107, v15
	ds_bpermute_b32 v34, v107, v16
	s_waitcnt lgkmcnt(10)
	v_add_f32_e32 v2, v2, v20
	ds_bpermute_b32 v20, v108, v119
	ds_bpermute_b32 v35, v107, v17
	s_waitcnt lgkmcnt(10)
	v_add_f32_e32 v3, v3, v21
	ds_bpermute_b32 v21, v108, v113
	ds_bpermute_b32 v36, v107, v4
	;; [unrolled: 1-line block ×3, first 2 shown]
	v_add_f32_e32 v14, v14, v29
	ds_bpermute_b32 v23, v106, v5
	v_add_f32_e32 v6, v6, v24
	s_waitcnt lgkmcnt(13)
	v_add_f32_e32 v7, v7, v25
	s_waitcnt lgkmcnt(12)
	;; [unrolled: 2-line block ×5, first 2 shown]
	v_add_f32_e32 v18, v120, v18
	ds_bpermute_b32 v24, v106, v6
	s_waitcnt lgkmcnt(9)
	v_add_f32_e32 v13, v13, v19
	ds_bpermute_b32 v25, v106, v7
	s_waitcnt lgkmcnt(9)
	;; [unrolled: 3-line block ×3, first 2 shown]
	v_add_f32_e32 v16, v16, v34
	s_waitcnt lgkmcnt(8)
	v_add_f32_e32 v20, v119, v20
	s_waitcnt lgkmcnt(7)
	v_add_f32_e32 v17, v17, v35
	ds_bpermute_b32 v26, v106, v8
	s_waitcnt lgkmcnt(7)
	v_add_f32_e32 v21, v113, v21
	s_waitcnt lgkmcnt(6)
	v_add_f32_e32 v36, v4, v36
	ds_bpermute_b32 v29, v107, v20
	s_waitcnt lgkmcnt(6)
	v_add_f32_e32 v30, v30, v38
	ds_bpermute_b32 v27, v106, v9
	ds_bpermute_b32 v40, v107, v21
	;; [unrolled: 1-line block ×11, first 2 shown]
	s_waitcnt lgkmcnt(13)
	v_add_f32_e32 v44, v18, v19
	v_add_f32_e32 v18, v22, v39
	buffer_load_dword v22, off, s[40:43], 0 offset:48 ; 4-byte Folded Reload
	ds_bpermute_b32 v43, v106, v30
	ds_bpermute_b32 v45, v106, v31
	v_add_f32_e32 v4, v5, v23
	v_add_f32_e32 v5, v6, v24
	s_waitcnt lgkmcnt(13)
	v_add_f32_e32 v29, v20, v29
	v_add_f32_e32 v6, v7, v25
	;; [unrolled: 1-line block ×3, first 2 shown]
	s_waitcnt lgkmcnt(11)
	v_add_f32_e32 v40, v21, v40
	ds_bpermute_b32 v21, v106, v44
	ds_bpermute_b32 v23, v106, v29
	v_add_f32_e32 v8, v9, v27
	s_waitcnt lgkmcnt(12)
	v_add_f32_e32 v9, v10, v28
	ds_bpermute_b32 v46, v106, v40
	s_waitcnt lgkmcnt(12)
	v_add_f32_e32 v10, v11, v33
	s_waitcnt lgkmcnt(11)
	v_add_f32_e32 v11, v12, v32
	;; [unrolled: 2-line block ×10, first 2 shown]
	s_waitcnt vmcnt(3)
	v_and_b32_e32 v27, 0x3c7, v47
	s_waitcnt vmcnt(2)
	v_mul_u32_u24_e32 v26, 0x180, v114
	s_mov_b32 s0, exec_lo
	s_waitcnt vmcnt(0) lgkmcnt(0)
	s_waitcnt_vscnt null, 0x0
	s_barrier
	v_add_f32_e32 v21, v44, v21
	buffer_gl0_inv
	v_lshrrev_b32_e32 v24, 3, v22
	v_add_f32_e32 v22, v29, v23
	v_add_f32_e32 v23, v40, v46
	v_lshl_add_u32 v25, v24, 2, 0x1a0
	v_cmpx_eq_u32_e32 64, v27
	s_cbranch_execz .LBB39_87
; %bb.86:
	v_add_nc_u32_e32 v27, v25, v26
	v_add_nc_u32_e32 v28, 0xfffffd00, v27
	;; [unrolled: 1-line block ×7, first 2 shown]
	ds_write_b32 v28, v0
	ds_write_b32 v29, v1
	;; [unrolled: 1-line block ×4, first 2 shown]
	v_add_nc_u32_e32 v28, 0xfffffd60, v27
	v_add_nc_u32_e32 v29, 0xfffffd70, v27
	v_add_nc_u32_e32 v30, 0xfffffd80, v27
	ds_write_b32 v32, v4
	ds_write_b32 v33, v5
	ds_write_b32 v28, v6
	ds_write_b32 v29, v7
	ds_write_b32 v30, v8
	v_add_nc_u32_e32 v28, 0xfffffd90, v27
	v_add_nc_u32_e32 v29, 0xfffffda0, v27
	v_add_nc_u32_e32 v30, 0xfffffdb0, v27
	v_add_nc_u32_e32 v31, 0xfffffdc0, v27
	v_add_nc_u32_e32 v32, 0xfffffdd0, v27
	ds_write_b32 v28, v9
	ds_write_b32 v29, v10
	ds_write_b32 v30, v11
	ds_write_b32 v31, v12
	ds_write_b32 v32, v13
	v_add_nc_u32_e32 v28, 0xfffffde0, v27
	v_add_nc_u32_e32 v29, 0xfffffdf0, v27
	;; [unrolled: 10-line block ×3, first 2 shown]
	v_add_nc_u32_e32 v30, 0xfffffe50, v27
	v_add_nc_u32_e32 v31, 0xfffffe60, v27
	;; [unrolled: 1-line block ×3, first 2 shown]
	ds_write_b32 v28, v19
	ds_write_b32 v29, v20
	;; [unrolled: 1-line block ×5, first 2 shown]
.LBB39_87:
	s_or_b32 exec_lo, exec_lo, s0
	v_lshlrev_b32_e32 v24, 2, v24
	s_mov_b32 s1, exec_lo
	v_cmp_eq_u32_e32 vcc_lo, 0, v48
	s_waitcnt lgkmcnt(0)
	s_barrier
	v_add3_u32 v24, 0x1a0, v26, v24
	buffer_gl0_inv
	v_cmpx_gt_u32_e32 64, v47
	s_cbranch_execz .LBB39_114
; %bb.88:
	s_and_saveexec_b32 s0, vcc_lo
	s_cbranch_execnz .LBB39_146
; %bb.89:
	s_or_b32 exec_lo, exec_lo, s0
	s_and_saveexec_b32 s0, vcc_lo
	s_cbranch_execnz .LBB39_147
.LBB39_90:
	s_or_b32 exec_lo, exec_lo, s0
	s_and_saveexec_b32 s0, vcc_lo
	s_cbranch_execnz .LBB39_148
.LBB39_91:
	s_or_b32 exec_lo, exec_lo, s0
	s_and_saveexec_b32 s0, vcc_lo
	s_cbranch_execnz .LBB39_149
.LBB39_92:
	s_or_b32 exec_lo, exec_lo, s0
	s_and_saveexec_b32 s0, vcc_lo
	s_cbranch_execnz .LBB39_150
.LBB39_93:
	s_or_b32 exec_lo, exec_lo, s0
	s_and_saveexec_b32 s0, vcc_lo
	s_cbranch_execnz .LBB39_151
.LBB39_94:
	s_or_b32 exec_lo, exec_lo, s0
	s_and_saveexec_b32 s0, vcc_lo
	s_cbranch_execnz .LBB39_152
.LBB39_95:
	s_or_b32 exec_lo, exec_lo, s0
	s_and_saveexec_b32 s0, vcc_lo
	s_cbranch_execnz .LBB39_153
.LBB39_96:
	s_or_b32 exec_lo, exec_lo, s0
	s_and_saveexec_b32 s0, vcc_lo
	s_cbranch_execnz .LBB39_154
.LBB39_97:
	s_or_b32 exec_lo, exec_lo, s0
	s_and_saveexec_b32 s0, vcc_lo
	s_cbranch_execnz .LBB39_155
.LBB39_98:
	s_or_b32 exec_lo, exec_lo, s0
	s_and_saveexec_b32 s0, vcc_lo
	s_cbranch_execnz .LBB39_156
.LBB39_99:
	s_or_b32 exec_lo, exec_lo, s0
	s_and_saveexec_b32 s0, vcc_lo
	s_cbranch_execnz .LBB39_157
.LBB39_100:
	s_or_b32 exec_lo, exec_lo, s0
	s_and_saveexec_b32 s0, vcc_lo
	s_cbranch_execnz .LBB39_158
.LBB39_101:
	s_or_b32 exec_lo, exec_lo, s0
	s_and_saveexec_b32 s0, vcc_lo
	s_cbranch_execnz .LBB39_159
.LBB39_102:
	s_or_b32 exec_lo, exec_lo, s0
	s_and_saveexec_b32 s0, vcc_lo
	s_cbranch_execnz .LBB39_160
.LBB39_103:
	s_or_b32 exec_lo, exec_lo, s0
	s_and_saveexec_b32 s0, vcc_lo
	s_cbranch_execnz .LBB39_161
.LBB39_104:
	s_or_b32 exec_lo, exec_lo, s0
	s_and_saveexec_b32 s0, vcc_lo
	s_cbranch_execnz .LBB39_162
.LBB39_105:
	s_or_b32 exec_lo, exec_lo, s0
	s_and_saveexec_b32 s0, vcc_lo
	s_cbranch_execnz .LBB39_163
.LBB39_106:
	s_or_b32 exec_lo, exec_lo, s0
	s_and_saveexec_b32 s0, vcc_lo
	s_cbranch_execnz .LBB39_164
.LBB39_107:
	s_or_b32 exec_lo, exec_lo, s0
	s_and_saveexec_b32 s0, vcc_lo
	s_cbranch_execnz .LBB39_165
.LBB39_108:
	s_or_b32 exec_lo, exec_lo, s0
	s_and_saveexec_b32 s0, vcc_lo
	s_cbranch_execnz .LBB39_166
.LBB39_109:
	s_or_b32 exec_lo, exec_lo, s0
	s_and_saveexec_b32 s0, vcc_lo
	s_cbranch_execnz .LBB39_167
.LBB39_110:
	s_or_b32 exec_lo, exec_lo, s0
	s_and_saveexec_b32 s0, vcc_lo
	s_cbranch_execnz .LBB39_168
.LBB39_111:
	s_or_b32 exec_lo, exec_lo, s0
	s_and_saveexec_b32 s0, vcc_lo
	s_cbranch_execz .LBB39_113
.LBB39_112:
	ds_read_b32 v26, v24 offset:368
	s_waitcnt lgkmcnt(0)
	v_add_f32_e32 v23, v23, v26
.LBB39_113:
	s_or_b32 exec_lo, exec_lo, s0
.LBB39_114:
	s_or_b32 exec_lo, exec_lo, s1
	v_and_b32_e32 v26, 0x3e7, v47
	s_mov_b32 s1, exec_lo
	s_barrier
	buffer_gl0_inv
	v_cmpx_eq_u32_e32 32, v26
	s_cbranch_execz .LBB39_116
; %bb.115:
	ds_write2_b32 v25, v0, v1 offset1:4
	ds_write2_b32 v25, v2, v3 offset0:8 offset1:12
	ds_write2_b32 v25, v4, v5 offset0:16 offset1:20
	;; [unrolled: 1-line block ×11, first 2 shown]
.LBB39_116:
	s_or_b32 exec_lo, exec_lo, s1
	s_mov_b32 s1, exec_lo
	s_waitcnt lgkmcnt(0)
	s_barrier
	buffer_gl0_inv
	v_cmpx_gt_u32_e32 32, v47
	s_cbranch_execz .LBB39_143
; %bb.117:
	s_and_saveexec_b32 s0, vcc_lo
	s_cbranch_execnz .LBB39_169
; %bb.118:
	s_or_b32 exec_lo, exec_lo, s0
	s_and_saveexec_b32 s0, vcc_lo
	s_cbranch_execnz .LBB39_170
.LBB39_119:
	s_or_b32 exec_lo, exec_lo, s0
	s_and_saveexec_b32 s0, vcc_lo
	s_cbranch_execnz .LBB39_171
.LBB39_120:
	s_or_b32 exec_lo, exec_lo, s0
	s_and_saveexec_b32 s0, vcc_lo
	s_cbranch_execnz .LBB39_172
.LBB39_121:
	s_or_b32 exec_lo, exec_lo, s0
	s_and_saveexec_b32 s0, vcc_lo
	s_cbranch_execnz .LBB39_173
.LBB39_122:
	s_or_b32 exec_lo, exec_lo, s0
	s_and_saveexec_b32 s0, vcc_lo
	s_cbranch_execnz .LBB39_174
.LBB39_123:
	s_or_b32 exec_lo, exec_lo, s0
	s_and_saveexec_b32 s0, vcc_lo
	s_cbranch_execnz .LBB39_175
.LBB39_124:
	s_or_b32 exec_lo, exec_lo, s0
	s_and_saveexec_b32 s0, vcc_lo
	s_cbranch_execnz .LBB39_176
.LBB39_125:
	s_or_b32 exec_lo, exec_lo, s0
	s_and_saveexec_b32 s0, vcc_lo
	s_cbranch_execnz .LBB39_177
.LBB39_126:
	s_or_b32 exec_lo, exec_lo, s0
	s_and_saveexec_b32 s0, vcc_lo
	s_cbranch_execnz .LBB39_178
.LBB39_127:
	s_or_b32 exec_lo, exec_lo, s0
	s_and_saveexec_b32 s0, vcc_lo
	s_cbranch_execnz .LBB39_179
.LBB39_128:
	s_or_b32 exec_lo, exec_lo, s0
	s_and_saveexec_b32 s0, vcc_lo
	s_cbranch_execnz .LBB39_180
.LBB39_129:
	s_or_b32 exec_lo, exec_lo, s0
	s_and_saveexec_b32 s0, vcc_lo
	s_cbranch_execnz .LBB39_181
.LBB39_130:
	s_or_b32 exec_lo, exec_lo, s0
	s_and_saveexec_b32 s0, vcc_lo
	s_cbranch_execnz .LBB39_182
.LBB39_131:
	s_or_b32 exec_lo, exec_lo, s0
	s_and_saveexec_b32 s0, vcc_lo
	s_cbranch_execnz .LBB39_183
.LBB39_132:
	s_or_b32 exec_lo, exec_lo, s0
	s_and_saveexec_b32 s0, vcc_lo
	s_cbranch_execnz .LBB39_184
.LBB39_133:
	s_or_b32 exec_lo, exec_lo, s0
	s_and_saveexec_b32 s0, vcc_lo
	s_cbranch_execnz .LBB39_185
.LBB39_134:
	s_or_b32 exec_lo, exec_lo, s0
	s_and_saveexec_b32 s0, vcc_lo
	s_cbranch_execnz .LBB39_186
.LBB39_135:
	s_or_b32 exec_lo, exec_lo, s0
	s_and_saveexec_b32 s0, vcc_lo
	s_cbranch_execnz .LBB39_187
.LBB39_136:
	s_or_b32 exec_lo, exec_lo, s0
	s_and_saveexec_b32 s0, vcc_lo
	s_cbranch_execnz .LBB39_188
.LBB39_137:
	s_or_b32 exec_lo, exec_lo, s0
	s_and_saveexec_b32 s0, vcc_lo
	s_cbranch_execnz .LBB39_189
.LBB39_138:
	s_or_b32 exec_lo, exec_lo, s0
	s_and_saveexec_b32 s0, vcc_lo
	s_cbranch_execnz .LBB39_190
.LBB39_139:
	s_or_b32 exec_lo, exec_lo, s0
	s_and_saveexec_b32 s0, vcc_lo
	s_cbranch_execnz .LBB39_191
.LBB39_140:
	s_or_b32 exec_lo, exec_lo, s0
	s_and_saveexec_b32 s0, vcc_lo
	s_cbranch_execz .LBB39_142
.LBB39_141:
	ds_read_b32 v24, v24 offset:368
	s_waitcnt lgkmcnt(0)
	v_add_f32_e32 v23, v23, v24
.LBB39_142:
	s_or_b32 exec_lo, exec_lo, s0
.LBB39_143:
	s_or_b32 exec_lo, exec_lo, s1
	s_barrier
	buffer_gl0_inv
	s_mov_b32 s0, exec_lo
	v_cmpx_eq_u32_e32 0, v26
	s_cbranch_execz .LBB39_145
; %bb.144:
	s_mul_i32 s0, s10, s11
	s_mul_i32 s2, s11, s20
	;; [unrolled: 1-line block ×3, first 2 shown]
	v_lshrrev_b32_e32 v24, 1, v47
	s_mulk_i32 s0, 0x60
	s_ashr_i32 s1, s0, 31
	s_lshl_b64 s[0:1], s[0:1], 2
	s_add_u32 s4, s6, s0
	s_addc_u32 s5, s7, s1
	s_ashr_i32 s3, s2, 31
	s_lshl_b64 s[0:1], s[2:3], 2
	s_mul_i32 s2, s8, 0x60
	s_add_u32 s4, s4, s0
	s_addc_u32 s5, s5, s1
	s_ashr_i32 s3, s2, 31
	s_lshl_b64 s[0:1], s[2:3], 2
	s_add_u32 s0, s4, s0
	s_addc_u32 s1, s5, s1
	global_store_dword v24, v0, s[0:1]
	global_store_dword v24, v1, s[0:1] offset:16
	global_store_dword v24, v2, s[0:1] offset:32
	;; [unrolled: 1-line block ×23, first 2 shown]
.LBB39_145:
	s_endpgm
.LBB39_146:
	ds_read_b32 v26, v24
	s_waitcnt lgkmcnt(0)
	v_add_f32_e32 v0, v0, v26
	s_or_b32 exec_lo, exec_lo, s0
	s_and_saveexec_b32 s0, vcc_lo
	s_cbranch_execz .LBB39_90
.LBB39_147:
	ds_read_b32 v26, v24 offset:16
	s_waitcnt lgkmcnt(0)
	v_add_f32_e32 v1, v1, v26
	s_or_b32 exec_lo, exec_lo, s0
	s_and_saveexec_b32 s0, vcc_lo
	s_cbranch_execz .LBB39_91
.LBB39_148:
	ds_read_b32 v26, v24 offset:32
	s_waitcnt lgkmcnt(0)
	v_add_f32_e32 v2, v2, v26
	s_or_b32 exec_lo, exec_lo, s0
	s_and_saveexec_b32 s0, vcc_lo
	s_cbranch_execz .LBB39_92
.LBB39_149:
	ds_read_b32 v26, v24 offset:48
	s_waitcnt lgkmcnt(0)
	v_add_f32_e32 v3, v3, v26
	s_or_b32 exec_lo, exec_lo, s0
	s_and_saveexec_b32 s0, vcc_lo
	s_cbranch_execz .LBB39_93
.LBB39_150:
	ds_read_b32 v26, v24 offset:64
	s_waitcnt lgkmcnt(0)
	v_add_f32_e32 v4, v4, v26
	s_or_b32 exec_lo, exec_lo, s0
	s_and_saveexec_b32 s0, vcc_lo
	s_cbranch_execz .LBB39_94
.LBB39_151:
	ds_read_b32 v26, v24 offset:80
	s_waitcnt lgkmcnt(0)
	v_add_f32_e32 v5, v5, v26
	s_or_b32 exec_lo, exec_lo, s0
	s_and_saveexec_b32 s0, vcc_lo
	s_cbranch_execz .LBB39_95
.LBB39_152:
	ds_read_b32 v26, v24 offset:96
	s_waitcnt lgkmcnt(0)
	v_add_f32_e32 v6, v6, v26
	s_or_b32 exec_lo, exec_lo, s0
	s_and_saveexec_b32 s0, vcc_lo
	s_cbranch_execz .LBB39_96
.LBB39_153:
	ds_read_b32 v26, v24 offset:112
	s_waitcnt lgkmcnt(0)
	v_add_f32_e32 v7, v7, v26
	s_or_b32 exec_lo, exec_lo, s0
	s_and_saveexec_b32 s0, vcc_lo
	s_cbranch_execz .LBB39_97
.LBB39_154:
	ds_read_b32 v26, v24 offset:128
	s_waitcnt lgkmcnt(0)
	v_add_f32_e32 v8, v8, v26
	s_or_b32 exec_lo, exec_lo, s0
	s_and_saveexec_b32 s0, vcc_lo
	s_cbranch_execz .LBB39_98
.LBB39_155:
	ds_read_b32 v26, v24 offset:144
	s_waitcnt lgkmcnt(0)
	v_add_f32_e32 v9, v9, v26
	s_or_b32 exec_lo, exec_lo, s0
	s_and_saveexec_b32 s0, vcc_lo
	s_cbranch_execz .LBB39_99
.LBB39_156:
	ds_read_b32 v26, v24 offset:160
	s_waitcnt lgkmcnt(0)
	v_add_f32_e32 v10, v10, v26
	s_or_b32 exec_lo, exec_lo, s0
	s_and_saveexec_b32 s0, vcc_lo
	s_cbranch_execz .LBB39_100
.LBB39_157:
	ds_read_b32 v26, v24 offset:176
	s_waitcnt lgkmcnt(0)
	v_add_f32_e32 v11, v11, v26
	s_or_b32 exec_lo, exec_lo, s0
	s_and_saveexec_b32 s0, vcc_lo
	s_cbranch_execz .LBB39_101
.LBB39_158:
	ds_read_b32 v26, v24 offset:192
	s_waitcnt lgkmcnt(0)
	v_add_f32_e32 v12, v12, v26
	s_or_b32 exec_lo, exec_lo, s0
	s_and_saveexec_b32 s0, vcc_lo
	s_cbranch_execz .LBB39_102
.LBB39_159:
	ds_read_b32 v26, v24 offset:208
	s_waitcnt lgkmcnt(0)
	v_add_f32_e32 v13, v13, v26
	s_or_b32 exec_lo, exec_lo, s0
	s_and_saveexec_b32 s0, vcc_lo
	s_cbranch_execz .LBB39_103
.LBB39_160:
	ds_read_b32 v26, v24 offset:224
	s_waitcnt lgkmcnt(0)
	v_add_f32_e32 v14, v14, v26
	s_or_b32 exec_lo, exec_lo, s0
	s_and_saveexec_b32 s0, vcc_lo
	s_cbranch_execz .LBB39_104
.LBB39_161:
	ds_read_b32 v26, v24 offset:240
	s_waitcnt lgkmcnt(0)
	v_add_f32_e32 v15, v15, v26
	s_or_b32 exec_lo, exec_lo, s0
	s_and_saveexec_b32 s0, vcc_lo
	s_cbranch_execz .LBB39_105
.LBB39_162:
	ds_read_b32 v26, v24 offset:256
	s_waitcnt lgkmcnt(0)
	v_add_f32_e32 v16, v16, v26
	s_or_b32 exec_lo, exec_lo, s0
	s_and_saveexec_b32 s0, vcc_lo
	s_cbranch_execz .LBB39_106
.LBB39_163:
	ds_read_b32 v26, v24 offset:272
	s_waitcnt lgkmcnt(0)
	v_add_f32_e32 v17, v17, v26
	s_or_b32 exec_lo, exec_lo, s0
	s_and_saveexec_b32 s0, vcc_lo
	s_cbranch_execz .LBB39_107
.LBB39_164:
	ds_read_b32 v26, v24 offset:288
	s_waitcnt lgkmcnt(0)
	v_add_f32_e32 v18, v18, v26
	s_or_b32 exec_lo, exec_lo, s0
	s_and_saveexec_b32 s0, vcc_lo
	s_cbranch_execz .LBB39_108
.LBB39_165:
	ds_read_b32 v26, v24 offset:304
	s_waitcnt lgkmcnt(0)
	v_add_f32_e32 v19, v19, v26
	s_or_b32 exec_lo, exec_lo, s0
	s_and_saveexec_b32 s0, vcc_lo
	s_cbranch_execz .LBB39_109
.LBB39_166:
	ds_read_b32 v26, v24 offset:320
	s_waitcnt lgkmcnt(0)
	v_add_f32_e32 v20, v20, v26
	s_or_b32 exec_lo, exec_lo, s0
	s_and_saveexec_b32 s0, vcc_lo
	s_cbranch_execz .LBB39_110
.LBB39_167:
	ds_read_b32 v26, v24 offset:336
	s_waitcnt lgkmcnt(0)
	v_add_f32_e32 v21, v21, v26
	s_or_b32 exec_lo, exec_lo, s0
	s_and_saveexec_b32 s0, vcc_lo
	s_cbranch_execz .LBB39_111
.LBB39_168:
	ds_read_b32 v26, v24 offset:352
	s_waitcnt lgkmcnt(0)
	v_add_f32_e32 v22, v22, v26
	s_or_b32 exec_lo, exec_lo, s0
	s_and_saveexec_b32 s0, vcc_lo
	s_cbranch_execnz .LBB39_112
	s_branch .LBB39_113
.LBB39_169:
	ds_read_b32 v25, v24
	s_waitcnt lgkmcnt(0)
	v_add_f32_e32 v0, v0, v25
	s_or_b32 exec_lo, exec_lo, s0
	s_and_saveexec_b32 s0, vcc_lo
	s_cbranch_execz .LBB39_119
.LBB39_170:
	ds_read_b32 v25, v24 offset:16
	s_waitcnt lgkmcnt(0)
	v_add_f32_e32 v1, v1, v25
	s_or_b32 exec_lo, exec_lo, s0
	s_and_saveexec_b32 s0, vcc_lo
	s_cbranch_execz .LBB39_120
.LBB39_171:
	ds_read_b32 v25, v24 offset:32
	s_waitcnt lgkmcnt(0)
	v_add_f32_e32 v2, v2, v25
	s_or_b32 exec_lo, exec_lo, s0
	s_and_saveexec_b32 s0, vcc_lo
	s_cbranch_execz .LBB39_121
.LBB39_172:
	ds_read_b32 v25, v24 offset:48
	s_waitcnt lgkmcnt(0)
	v_add_f32_e32 v3, v3, v25
	s_or_b32 exec_lo, exec_lo, s0
	s_and_saveexec_b32 s0, vcc_lo
	s_cbranch_execz .LBB39_122
.LBB39_173:
	ds_read_b32 v25, v24 offset:64
	s_waitcnt lgkmcnt(0)
	v_add_f32_e32 v4, v4, v25
	s_or_b32 exec_lo, exec_lo, s0
	s_and_saveexec_b32 s0, vcc_lo
	s_cbranch_execz .LBB39_123
.LBB39_174:
	ds_read_b32 v25, v24 offset:80
	s_waitcnt lgkmcnt(0)
	v_add_f32_e32 v5, v5, v25
	s_or_b32 exec_lo, exec_lo, s0
	s_and_saveexec_b32 s0, vcc_lo
	s_cbranch_execz .LBB39_124
.LBB39_175:
	ds_read_b32 v25, v24 offset:96
	s_waitcnt lgkmcnt(0)
	v_add_f32_e32 v6, v6, v25
	s_or_b32 exec_lo, exec_lo, s0
	s_and_saveexec_b32 s0, vcc_lo
	s_cbranch_execz .LBB39_125
.LBB39_176:
	ds_read_b32 v25, v24 offset:112
	s_waitcnt lgkmcnt(0)
	v_add_f32_e32 v7, v7, v25
	s_or_b32 exec_lo, exec_lo, s0
	s_and_saveexec_b32 s0, vcc_lo
	s_cbranch_execz .LBB39_126
.LBB39_177:
	ds_read_b32 v25, v24 offset:128
	s_waitcnt lgkmcnt(0)
	v_add_f32_e32 v8, v8, v25
	s_or_b32 exec_lo, exec_lo, s0
	s_and_saveexec_b32 s0, vcc_lo
	s_cbranch_execz .LBB39_127
.LBB39_178:
	ds_read_b32 v25, v24 offset:144
	s_waitcnt lgkmcnt(0)
	v_add_f32_e32 v9, v9, v25
	s_or_b32 exec_lo, exec_lo, s0
	s_and_saveexec_b32 s0, vcc_lo
	s_cbranch_execz .LBB39_128
.LBB39_179:
	ds_read_b32 v25, v24 offset:160
	s_waitcnt lgkmcnt(0)
	v_add_f32_e32 v10, v10, v25
	s_or_b32 exec_lo, exec_lo, s0
	s_and_saveexec_b32 s0, vcc_lo
	s_cbranch_execz .LBB39_129
.LBB39_180:
	ds_read_b32 v25, v24 offset:176
	s_waitcnt lgkmcnt(0)
	v_add_f32_e32 v11, v11, v25
	s_or_b32 exec_lo, exec_lo, s0
	s_and_saveexec_b32 s0, vcc_lo
	s_cbranch_execz .LBB39_130
.LBB39_181:
	ds_read_b32 v25, v24 offset:192
	s_waitcnt lgkmcnt(0)
	v_add_f32_e32 v12, v12, v25
	s_or_b32 exec_lo, exec_lo, s0
	s_and_saveexec_b32 s0, vcc_lo
	s_cbranch_execz .LBB39_131
.LBB39_182:
	ds_read_b32 v25, v24 offset:208
	s_waitcnt lgkmcnt(0)
	v_add_f32_e32 v13, v13, v25
	s_or_b32 exec_lo, exec_lo, s0
	s_and_saveexec_b32 s0, vcc_lo
	s_cbranch_execz .LBB39_132
.LBB39_183:
	ds_read_b32 v25, v24 offset:224
	s_waitcnt lgkmcnt(0)
	v_add_f32_e32 v14, v14, v25
	s_or_b32 exec_lo, exec_lo, s0
	s_and_saveexec_b32 s0, vcc_lo
	s_cbranch_execz .LBB39_133
.LBB39_184:
	ds_read_b32 v25, v24 offset:240
	s_waitcnt lgkmcnt(0)
	v_add_f32_e32 v15, v15, v25
	s_or_b32 exec_lo, exec_lo, s0
	s_and_saveexec_b32 s0, vcc_lo
	s_cbranch_execz .LBB39_134
.LBB39_185:
	ds_read_b32 v25, v24 offset:256
	s_waitcnt lgkmcnt(0)
	v_add_f32_e32 v16, v16, v25
	s_or_b32 exec_lo, exec_lo, s0
	s_and_saveexec_b32 s0, vcc_lo
	s_cbranch_execz .LBB39_135
.LBB39_186:
	ds_read_b32 v25, v24 offset:272
	s_waitcnt lgkmcnt(0)
	v_add_f32_e32 v17, v17, v25
	s_or_b32 exec_lo, exec_lo, s0
	s_and_saveexec_b32 s0, vcc_lo
	s_cbranch_execz .LBB39_136
.LBB39_187:
	ds_read_b32 v25, v24 offset:288
	s_waitcnt lgkmcnt(0)
	v_add_f32_e32 v18, v18, v25
	s_or_b32 exec_lo, exec_lo, s0
	s_and_saveexec_b32 s0, vcc_lo
	s_cbranch_execz .LBB39_137
.LBB39_188:
	ds_read_b32 v25, v24 offset:304
	s_waitcnt lgkmcnt(0)
	v_add_f32_e32 v19, v19, v25
	s_or_b32 exec_lo, exec_lo, s0
	s_and_saveexec_b32 s0, vcc_lo
	s_cbranch_execz .LBB39_138
.LBB39_189:
	ds_read_b32 v25, v24 offset:320
	s_waitcnt lgkmcnt(0)
	v_add_f32_e32 v20, v20, v25
	s_or_b32 exec_lo, exec_lo, s0
	s_and_saveexec_b32 s0, vcc_lo
	s_cbranch_execz .LBB39_139
.LBB39_190:
	ds_read_b32 v25, v24 offset:336
	s_waitcnt lgkmcnt(0)
	v_add_f32_e32 v21, v21, v25
	s_or_b32 exec_lo, exec_lo, s0
	s_and_saveexec_b32 s0, vcc_lo
	s_cbranch_execz .LBB39_140
.LBB39_191:
	ds_read_b32 v25, v24 offset:352
	s_waitcnt lgkmcnt(0)
	v_add_f32_e32 v22, v22, v25
	s_or_b32 exec_lo, exec_lo, s0
	s_and_saveexec_b32 s0, vcc_lo
	s_cbranch_execnz .LBB39_141
	s_branch .LBB39_142
	.section	.rodata,"a",@progbits
	.p2align	6, 0x0
	.amdhsa_kernel _ZN4vllm25paged_attention_v1_kernelIffLi96ELi32ELi128ELNS_18Fp8KVCacheDataTypeE0ELb1EEEvPT_PKS2_PKT0_S8_ifPKiSA_iPKfiiiSC_SC_iiiii
		.amdhsa_group_segment_fixed_size 416
		.amdhsa_private_segment_fixed_size 68
		.amdhsa_kernarg_size 384
		.amdhsa_user_sgpr_count 6
		.amdhsa_user_sgpr_private_segment_buffer 1
		.amdhsa_user_sgpr_dispatch_ptr 0
		.amdhsa_user_sgpr_queue_ptr 0
		.amdhsa_user_sgpr_kernarg_segment_ptr 1
		.amdhsa_user_sgpr_dispatch_id 0
		.amdhsa_user_sgpr_flat_scratch_init 0
		.amdhsa_user_sgpr_private_segment_size 0
		.amdhsa_wavefront_size32 1
		.amdhsa_uses_dynamic_stack 0
		.amdhsa_system_sgpr_private_segment_wavefront_offset 1
		.amdhsa_system_sgpr_workgroup_id_x 1
		.amdhsa_system_sgpr_workgroup_id_y 1
		.amdhsa_system_sgpr_workgroup_id_z 1
		.amdhsa_system_sgpr_workgroup_info 0
		.amdhsa_system_vgpr_workitem_id 0
		.amdhsa_next_free_vgpr 128
		.amdhsa_next_free_sgpr 44
		.amdhsa_reserve_vcc 1
		.amdhsa_reserve_flat_scratch 0
		.amdhsa_float_round_mode_32 0
		.amdhsa_float_round_mode_16_64 0
		.amdhsa_float_denorm_mode_32 3
		.amdhsa_float_denorm_mode_16_64 3
		.amdhsa_dx10_clamp 1
		.amdhsa_ieee_mode 1
		.amdhsa_fp16_overflow 0
		.amdhsa_workgroup_processor_mode 1
		.amdhsa_memory_ordered 1
		.amdhsa_forward_progress 1
		.amdhsa_shared_vgpr_count 0
		.amdhsa_exception_fp_ieee_invalid_op 0
		.amdhsa_exception_fp_denorm_src 0
		.amdhsa_exception_fp_ieee_div_zero 0
		.amdhsa_exception_fp_ieee_overflow 0
		.amdhsa_exception_fp_ieee_underflow 0
		.amdhsa_exception_fp_ieee_inexact 0
		.amdhsa_exception_int_div_zero 0
	.end_amdhsa_kernel
	.section	.text._ZN4vllm25paged_attention_v1_kernelIffLi96ELi32ELi128ELNS_18Fp8KVCacheDataTypeE0ELb1EEEvPT_PKS2_PKT0_S8_ifPKiSA_iPKfiiiSC_SC_iiiii,"axG",@progbits,_ZN4vllm25paged_attention_v1_kernelIffLi96ELi32ELi128ELNS_18Fp8KVCacheDataTypeE0ELb1EEEvPT_PKS2_PKT0_S8_ifPKiSA_iPKfiiiSC_SC_iiiii,comdat
.Lfunc_end39:
	.size	_ZN4vllm25paged_attention_v1_kernelIffLi96ELi32ELi128ELNS_18Fp8KVCacheDataTypeE0ELb1EEEvPT_PKS2_PKT0_S8_ifPKiSA_iPKfiiiSC_SC_iiiii, .Lfunc_end39-_ZN4vllm25paged_attention_v1_kernelIffLi96ELi32ELi128ELNS_18Fp8KVCacheDataTypeE0ELb1EEEvPT_PKS2_PKT0_S8_ifPKiSA_iPKfiiiSC_SC_iiiii
                                        ; -- End function
	.set _ZN4vllm25paged_attention_v1_kernelIffLi96ELi32ELi128ELNS_18Fp8KVCacheDataTypeE0ELb1EEEvPT_PKS2_PKT0_S8_ifPKiSA_iPKfiiiSC_SC_iiiii.num_vgpr, 128
	.set _ZN4vllm25paged_attention_v1_kernelIffLi96ELi32ELi128ELNS_18Fp8KVCacheDataTypeE0ELb1EEEvPT_PKS2_PKT0_S8_ifPKiSA_iPKfiiiSC_SC_iiiii.num_agpr, 0
	.set _ZN4vllm25paged_attention_v1_kernelIffLi96ELi32ELi128ELNS_18Fp8KVCacheDataTypeE0ELb1EEEvPT_PKS2_PKT0_S8_ifPKiSA_iPKfiiiSC_SC_iiiii.numbered_sgpr, 44
	.set _ZN4vllm25paged_attention_v1_kernelIffLi96ELi32ELi128ELNS_18Fp8KVCacheDataTypeE0ELb1EEEvPT_PKS2_PKT0_S8_ifPKiSA_iPKfiiiSC_SC_iiiii.num_named_barrier, 0
	.set _ZN4vllm25paged_attention_v1_kernelIffLi96ELi32ELi128ELNS_18Fp8KVCacheDataTypeE0ELb1EEEvPT_PKS2_PKT0_S8_ifPKiSA_iPKfiiiSC_SC_iiiii.private_seg_size, 68
	.set _ZN4vllm25paged_attention_v1_kernelIffLi96ELi32ELi128ELNS_18Fp8KVCacheDataTypeE0ELb1EEEvPT_PKS2_PKT0_S8_ifPKiSA_iPKfiiiSC_SC_iiiii.uses_vcc, 1
	.set _ZN4vllm25paged_attention_v1_kernelIffLi96ELi32ELi128ELNS_18Fp8KVCacheDataTypeE0ELb1EEEvPT_PKS2_PKT0_S8_ifPKiSA_iPKfiiiSC_SC_iiiii.uses_flat_scratch, 0
	.set _ZN4vllm25paged_attention_v1_kernelIffLi96ELi32ELi128ELNS_18Fp8KVCacheDataTypeE0ELb1EEEvPT_PKS2_PKT0_S8_ifPKiSA_iPKfiiiSC_SC_iiiii.has_dyn_sized_stack, 0
	.set _ZN4vllm25paged_attention_v1_kernelIffLi96ELi32ELi128ELNS_18Fp8KVCacheDataTypeE0ELb1EEEvPT_PKS2_PKT0_S8_ifPKiSA_iPKfiiiSC_SC_iiiii.has_recursion, 0
	.set _ZN4vllm25paged_attention_v1_kernelIffLi96ELi32ELi128ELNS_18Fp8KVCacheDataTypeE0ELb1EEEvPT_PKS2_PKT0_S8_ifPKiSA_iPKfiiiSC_SC_iiiii.has_indirect_call, 0
	.section	.AMDGPU.csdata,"",@progbits
; Kernel info:
; codeLenInByte = 11260
; TotalNumSgprs: 46
; NumVgprs: 128
; ScratchSize: 68
; MemoryBound: 0
; FloatMode: 240
; IeeeMode: 1
; LDSByteSize: 416 bytes/workgroup (compile time only)
; SGPRBlocks: 0
; VGPRBlocks: 15
; NumSGPRsForWavesPerEU: 46
; NumVGPRsForWavesPerEU: 128
; Occupancy: 8
; WaveLimiterHint : 1
; COMPUTE_PGM_RSRC2:SCRATCH_EN: 1
; COMPUTE_PGM_RSRC2:USER_SGPR: 6
; COMPUTE_PGM_RSRC2:TRAP_HANDLER: 0
; COMPUTE_PGM_RSRC2:TGID_X_EN: 1
; COMPUTE_PGM_RSRC2:TGID_Y_EN: 1
; COMPUTE_PGM_RSRC2:TGID_Z_EN: 1
; COMPUTE_PGM_RSRC2:TIDIG_COMP_CNT: 0
	.section	.text._ZN4vllm25paged_attention_v1_kernelIffLi112ELi32ELi128ELNS_18Fp8KVCacheDataTypeE0ELb1EEEvPT_PKS2_PKT0_S8_ifPKiSA_iPKfiiiSC_SC_iiiii,"axG",@progbits,_ZN4vllm25paged_attention_v1_kernelIffLi112ELi32ELi128ELNS_18Fp8KVCacheDataTypeE0ELb1EEEvPT_PKS2_PKT0_S8_ifPKiSA_iPKfiiiSC_SC_iiiii,comdat
	.protected	_ZN4vllm25paged_attention_v1_kernelIffLi112ELi32ELi128ELNS_18Fp8KVCacheDataTypeE0ELb1EEEvPT_PKS2_PKT0_S8_ifPKiSA_iPKfiiiSC_SC_iiiii ; -- Begin function _ZN4vllm25paged_attention_v1_kernelIffLi112ELi32ELi128ELNS_18Fp8KVCacheDataTypeE0ELb1EEEvPT_PKS2_PKT0_S8_ifPKiSA_iPKfiiiSC_SC_iiiii
	.globl	_ZN4vllm25paged_attention_v1_kernelIffLi112ELi32ELi128ELNS_18Fp8KVCacheDataTypeE0ELb1EEEvPT_PKS2_PKT0_S8_ifPKiSA_iPKfiiiSC_SC_iiiii
	.p2align	8
	.type	_ZN4vllm25paged_attention_v1_kernelIffLi112ELi32ELi128ELNS_18Fp8KVCacheDataTypeE0ELb1EEEvPT_PKS2_PKT0_S8_ifPKiSA_iPKfiiiSC_SC_iiiii,@function
_ZN4vllm25paged_attention_v1_kernelIffLi112ELi32ELi128ELNS_18Fp8KVCacheDataTypeE0ELb1EEEvPT_PKS2_PKT0_S8_ifPKiSA_iPKfiiiSC_SC_iiiii: ; @_ZN4vllm25paged_attention_v1_kernelIffLi112ELi32ELi128ELNS_18Fp8KVCacheDataTypeE0ELb1EEEvPT_PKS2_PKT0_S8_ifPKiSA_iPKfiiiSC_SC_iiiii
; %bb.0:
	s_mov_b64 s[42:43], s[2:3]
	s_mov_b64 s[40:41], s[0:1]
	s_mov_b32 s10, s7
	s_add_u32 s40, s40, s9
	s_clause 0x2
	s_load_dword s9, s[4:5], 0x80
	s_load_dwordx2 s[0:1], s[4:5], 0x30
	s_load_dwordx2 s[2:3], s[4:5], 0x20
	s_addc_u32 s41, s41, 0
	s_ashr_i32 s11, s7, 31
	v_mov_b32_e32 v51, v0
	s_lshl_b64 s[12:13], s[10:11], 2
	s_mov_b32 s31, 0
	s_waitcnt lgkmcnt(0)
	s_add_u32 s0, s0, s12
	s_addc_u32 s1, s1, s13
	s_abs_i32 s7, s2
	s_abs_i32 s13, s9
	v_cvt_f32_u32_e32 v0, s7
	s_sub_i32 s12, 0, s7
	v_rcp_iflag_f32_e32 v0, v0
	v_mul_f32_e32 v0, 0x4f7ffffe, v0
	v_cvt_u32_f32_e32 v0, v0
	v_readfirstlane_b32 s11, v0
	s_mul_i32 s12, s12, s11
	s_mul_hi_u32 s12, s11, s12
	s_add_i32 s11, s11, s12
	s_xor_b32 s12, s9, s2
	s_mul_hi_u32 s11, s13, s11
	s_ashr_i32 s12, s12, 31
	s_mul_i32 s14, s11, s7
	s_sub_i32 s13, s13, s14
	s_add_i32 s14, s11, 1
	s_sub_i32 s15, s13, s7
	s_cmp_ge_u32 s13, s7
	s_cselect_b32 s11, s14, s11
	s_cselect_b32 s13, s15, s13
	s_add_i32 s14, s11, 1
	s_cmp_ge_u32 s13, s7
	s_cselect_b32 s7, s14, s11
	s_abs_i32 s22, s6
	s_xor_b32 s7, s7, s12
	s_sub_i32 s16, s7, s12
	s_load_dwordx2 s[12:13], s[4:5], 0x40
	s_abs_i32 s11, s16
	v_cvt_f32_u32_e32 v0, s11
	s_sub_i32 s14, 0, s11
	v_rcp_iflag_f32_e32 v0, v0
	v_mul_f32_e32 v0, 0x4f7ffffe, v0
	v_cvt_u32_f32_e32 v0, v0
	v_readfirstlane_b32 s7, v0
	s_mul_i32 s14, s14, s7
	s_mul_hi_u32 s14, s7, s14
	s_add_i32 s7, s7, s14
	s_waitcnt lgkmcnt(0)
	s_cmp_eq_u64 s[12:13], 0
	s_mul_hi_u32 s23, s22, s7
	s_cbranch_scc1 .LBB40_2
; %bb.1:
	s_ashr_i32 s7, s6, 31
	s_lshl_b64 s[14:15], s[6:7], 2
	s_add_u32 s12, s12, s14
	s_addc_u32 s13, s13, s15
	s_load_dword s31, s[12:13], 0x0
.LBB40_2:
	s_load_dword s28, s[0:1], 0x0
	s_load_dwordx4 s[12:15], s[4:5], 0x48
	v_lshlrev_b32_e32 v9, 4, v51
	s_ashr_i32 s0, s6, 31
	s_ashr_i32 s1, s16, 31
	s_mul_i32 s20, s6, 0x70
	s_mov_b32 s7, exec_lo
	v_cmpx_gt_u32_e32 28, v51
	s_cbranch_execz .LBB40_4
; %bb.3:
	s_load_dwordx2 s[16:17], s[4:5], 0x8
	s_waitcnt lgkmcnt(0)
	s_mul_i32 s18, s12, s10
	s_ashr_i32 s19, s18, 31
	s_lshl_b64 s[18:19], s[18:19], 2
	s_add_u32 s12, s16, s18
	s_addc_u32 s15, s17, s19
	s_ashr_i32 s21, s20, 31
	s_lshl_b64 s[16:17], s[20:21], 2
	s_add_u32 s16, s12, s16
	s_addc_u32 s17, s15, s17
	global_load_dwordx4 v[0:3], v9, s[16:17]
	s_waitcnt vmcnt(0)
	ds_write_b128 v9, v[0:3]
.LBB40_4:
	s_or_b32 exec_lo, exec_lo, s7
	s_load_dwordx4 s[16:19], s[4:5], 0x68
	s_mul_i32 s7, s23, s11
	s_xor_b32 s1, s0, s1
	s_sub_i32 s0, s22, s7
	s_add_i32 s7, s23, 1
	s_waitcnt lgkmcnt(0)
	s_sub_i32 s12, s0, s11
	s_cmp_ge_u32 s0, s11
	s_mov_b32 s24, -1
	s_cselect_b32 s7, s7, s23
	s_cselect_b32 s0, s12, s0
	s_add_i32 s12, s7, 1
	s_cmp_ge_u32 s0, s11
	s_load_dword s0, s[4:5], 0x78
	s_cselect_b32 s7, s12, s7
	s_add_i32 s11, s28, -1
	s_xor_b32 s7, s7, s1
	s_waitcnt lgkmcnt(0)
	s_sub_i32 s1, s7, s1
	s_barrier
	buffer_gl0_inv
	s_abs_i32 s12, s19
                                        ; implicit-def: $sgpr29
	v_cvt_f32_u32_e32 v0, s12
	s_sub_i32 s7, 0, s12
	v_rcp_iflag_f32_e32 v0, v0
	v_mul_f32_e32 v0, 0x4f7ffffe, v0
	v_cvt_u32_f32_e32 v0, v0
	v_readfirstlane_b32 s21, v0
	s_mul_i32 s7, s7, s21
	s_mul_hi_u32 s15, s21, s7
	s_abs_i32 s7, s11
	s_add_i32 s21, s21, s15
	s_cmp_lt_i32 s0, 0
	s_mul_hi_u32 s15, s7, s21
	s_cbranch_scc0 .LBB40_6
; %bb.5:
	s_mul_i32 s2, s16, s2
	s_mov_b32 s24, 0
	s_add_i32 s2, s1, s2
	s_mul_i32 s2, s2, s0
	s_sub_i32 s29, 1, s2
.LBB40_6:
	s_load_dwordx2 s[22:23], s[4:5], 0x28
	s_ashr_i32 s2, s11, 31
	s_andn2_b32 vcc_lo, exec_lo, s24
	s_ashr_i32 s19, s19, 31
	s_cbranch_vccnz .LBB40_8
; %bb.7:
	s_mul_i32 s11, s9, s16
	s_add_i32 s6, s11, s6
	s_mul_i32 s0, s6, s0
	s_add_i32 s29, s0, 1
.LBB40_8:
	s_load_dword s0, s[4:5], 0x38
	s_mul_i32 s6, s15, s12
	s_xor_b32 s2, s2, s19
	s_sub_i32 s30, s7, s6
	s_add_i32 s16, s15, 1
	s_clause 0x2
	s_load_dwordx2 s[6:7], s[4:5], 0x0
	s_load_dwordx2 s[26:27], s[4:5], 0x18
	s_load_dword s11, s[4:5], 0x88
	v_lshrrev_b32_e32 v126, 5, v51
	v_and_b32_e32 v0, 31, v51
	v_mov_b32_e32 v123, 0xff7fffff
	v_lshrrev_b32_e32 v113, 3, v51
	s_mul_i32 s14, s1, s14
	v_lshlrev_b32_e32 v121, 5, v126
	v_lshlrev_b32_e32 v115, 2, v0
	buffer_store_dword v0, off, s[40:43], 0 offset:140 ; 4-byte Folded Spill
	s_waitcnt lgkmcnt(0)
	s_mul_i32 s24, s0, s10
	s_sub_i32 s0, s30, s12
	s_ashr_i32 s25, s24, 31
	s_cmp_ge_u32 s30, s12
	s_cselect_b32 s15, s16, s15
	s_cselect_b32 s0, s0, s30
	s_add_i32 s16, s15, 1
	s_cmp_ge_u32 s0, s12
	s_cselect_b32 s0, s16, s15
	s_add_i32 s15, s28, 31
	s_ashr_i32 s16, s15, 31
	s_lshr_b32 s16, s16, 27
	s_add_i32 s15, s15, s16
	s_ashr_i32 s16, s15, 5
	s_xor_b32 s15, s0, s2
	v_cmp_gt_i32_e64 s0, s16, v126
	s_sub_i32 s30, s15, s2
	s_mov_b32 s33, exec_lo
	s_and_b32 s1, s33, s0
	buffer_store_dword v51, off, s[40:43], 0 offset:156 ; 4-byte Folded Spill
	buffer_store_dword v126, off, s[40:43], 0 offset:160 ; 4-byte Folded Spill
	s_mov_b32 exec_lo, s1
	s_cbranch_execz .LBB40_16
; %bb.9:
	buffer_load_dword v2, off, s[40:43], 0 offset:140 ; 4-byte Folded Reload
	s_load_dwordx2 s[34:35], s[4:5], 0x10
	v_mov_b32_e32 v1, 0
	s_ashr_i32 s15, s14, 31
	s_sub_i32 s4, s30, s17
	s_lshl_b64 s[36:37], s[14:15], 2
	buffer_store_dword v9, off, s[40:43], 0 offset:36 ; 4-byte Folded Spill
	ds_read_b128 v[3:6], v1
	v_cmp_neq_f32_e64 vcc_lo, s31, 0
	v_lshlrev_b32_e32 v124, 5, v126
	v_mov_b32_e32 v127, v126
	v_mov_b32_e32 v123, 0xff7fffff
	s_mov_b32 s5, s13
	s_mov_b32 s15, 0
	s_waitcnt lgkmcnt(0)
	s_add_u32 s1, s34, s36
	s_addc_u32 s2, s35, s37
	s_abs_i32 s34, s18
	s_lshl_b64 s[36:37], s[24:25], 2
	s_waitcnt vmcnt(0)
	v_lshlrev_b32_e32 v0, 4, v2
	v_add_co_u32 v0, s1, s1, v0
	v_add_co_ci_u32_e64 v120, null, s2, 0, s1
	s_sub_i32 s1, 0, s34
	buffer_store_dword v0, off, s[40:43], 0 ; 4-byte Folded Spill
	buffer_store_dword v3, off, s[40:43], 0 offset:4 ; 4-byte Folded Spill
	buffer_store_dword v4, off, s[40:43], 0 offset:8 ; 4-byte Folded Spill
	;; [unrolled: 1-line block ×4, first 2 shown]
	ds_read_b128 v[3:6], v1 offset:16
	v_cvt_f32_u32_e32 v0, s34
	s_waitcnt lgkmcnt(0)
	buffer_store_dword v3, off, s[40:43], 0 offset:20 ; 4-byte Folded Spill
	buffer_store_dword v4, off, s[40:43], 0 offset:24 ; 4-byte Folded Spill
	;; [unrolled: 1-line block ×4, first 2 shown]
	v_rcp_iflag_f32_e32 v0, v0
	ds_read_b128 v[9:12], v1 offset:32
	ds_read_b128 v[13:16], v1 offset:48
	;; [unrolled: 1-line block ×26, first 2 shown]
	buffer_store_dword v113, off, s[40:43], 0 offset:40 ; 4-byte Folded Spill
	buffer_store_dword v115, off, s[40:43], 0 offset:44 ; 4-byte Folded Spill
	v_mul_f32_e32 v0, 0x4f7ffffe, v0
	v_cvt_u32_f32_e32 v0, v0
	v_mul_lo_u32 v1, s1, v0
	s_add_u32 s1, s22, s36
	s_addc_u32 s2, s23, s37
	v_mul_hi_u32 v1, v0, v1
	v_add_nc_u32_e32 v122, v0, v1
	v_and_b32_e32 v0, 0x7c, v113
	v_add_co_u32 v113, s1, s1, v0
	v_subrev_nc_u32_e32 v0, s28, v2
	v_add_co_ci_u32_e64 v114, null, s2, 0, s1
	v_add_nc_u32_e32 v125, 1, v0
	v_lshl_or_b32 v0, v126, 7, v115
	v_add_nc_u32_e32 v126, 0x1e0, v0
	s_branch .LBB40_11
.LBB40_10:                              ;   in Loop: Header=BB40_11 Depth=1
	s_or_b32 exec_lo, exec_lo, s2
	v_add_nc_u32_e32 v127, 4, v127
	v_add_co_u32 v113, s1, v113, 16
	v_add_co_ci_u32_e64 v114, null, 0, v114, s1
	v_cmp_le_i32_e64 s1, s16, v127
	v_add_nc_u32_e32 v124, 0x80, v124
	v_add_nc_u32_e32 v126, 0x200, v126
	s_or_b32 s15, s1, s15
	s_andn2_b32 exec_lo, exec_lo, s15
	s_cbranch_execz .LBB40_15
.LBB40_11:                              ; =>This Inner Loop Header: Depth=1
	v_mul_hi_u32 v0, v124, s21
	v_mul_lo_u32 v1, v0, s12
	v_add_nc_u32_e32 v2, 1, v0
	v_sub_nc_u32_e32 v1, v124, v1
	v_subrev_nc_u32_e32 v3, s12, v1
	v_cmp_le_u32_e64 s1, s12, v1
	v_cndmask_b32_e64 v0, v0, v2, s1
	v_cndmask_b32_e64 v1, v1, v3, s1
	v_add_nc_u32_e32 v2, 1, v0
	v_cmp_le_u32_e64 s1, s12, v1
	v_cndmask_b32_e64 v0, v0, v2, s1
	v_xor_b32_e32 v0, s19, v0
	v_subrev_nc_u32_e32 v0, s19, v0
	v_add_nc_u32_e32 v1, s29, v0
	v_cmp_ge_i32_e64 s2, s4, v0
	v_sub_nc_u32_e32 v2, 0, v1
	v_max_i32_e32 v2, v1, v2
	v_ashrrev_i32_e32 v1, 31, v1
	v_mul_hi_u32 v3, v2, v122
	v_mul_lo_u32 v3, v3, s34
	v_sub_nc_u32_e32 v2, v2, v3
	v_subrev_nc_u32_e32 v3, s34, v2
	v_cmp_le_u32_e64 s1, s34, v2
	v_cndmask_b32_e64 v2, v2, v3, s1
	v_subrev_nc_u32_e32 v3, s34, v2
	v_cmp_le_u32_e64 s1, s34, v2
	v_cndmask_b32_e64 v2, v2, v3, s1
	v_xor_b32_e32 v2, v2, v1
	v_sub_nc_u32_e32 v1, v2, v1
	v_cmp_ne_u32_e64 s1, 0, v1
	s_and_b32 s1, s1, s2
	s_and_saveexec_b32 s2, s1
	s_xor_b32 s1, exec_lo, s2
; %bb.12:                               ;   in Loop: Header=BB40_11 Depth=1
	v_mov_b32_e32 v0, 0xff7fffff
	ds_write_b32 v126, v0
; %bb.13:                               ;   in Loop: Header=BB40_11 Depth=1
	s_andn2_saveexec_b32 s2, s1
	s_cbranch_execz .LBB40_10
; %bb.14:                               ;   in Loop: Header=BB40_11 Depth=1
	global_load_dword v0, v[113:114], off
	buffer_load_dword v2, off, s[40:43], 0  ; 4-byte Folded Reload
	s_waitcnt vmcnt(1)
	v_mad_i64_i32 v[0:1], null, v0, s5, 0
	v_lshlrev_b64 v[0:1], 2, v[0:1]
	s_waitcnt vmcnt(0)
	v_add_co_u32 v115, s1, v2, v0
	v_add_co_ci_u32_e64 v116, null, v120, v1, s1
	global_load_dwordx4 v[1:4], v[115:116], off offset:512
	s_clause 0x3
	buffer_load_dword v5, off, s[40:43], 0 offset:20
	buffer_load_dword v6, off, s[40:43], 0 offset:24
	;; [unrolled: 1-line block ×4, first 2 shown]
	s_waitcnt vmcnt(3)
	v_mul_f32_e32 v117, v5, v1
	s_waitcnt vmcnt(2)
	v_mul_f32_e32 v0, v6, v2
	;; [unrolled: 2-line block ×4, first 2 shown]
	global_load_dwordx4 v[1:4], v[115:116], off
	s_clause 0x3
	buffer_load_dword v5, off, s[40:43], 0 offset:4
	buffer_load_dword v6, off, s[40:43], 0 offset:8
	buffer_load_dword v7, off, s[40:43], 0 offset:12
	buffer_load_dword v8, off, s[40:43], 0 offset:16
	s_waitcnt vmcnt(3)
	v_fmac_f32_e32 v117, v5, v1
	s_waitcnt vmcnt(2)
	v_fmac_f32_e32 v0, v6, v2
	;; [unrolled: 2-line block ×4, first 2 shown]
	global_load_dwordx4 v[1:4], v[115:116], off offset:1024
	v_add_co_u32 v5, s1, v115, 0x1000
	v_add_co_ci_u32_e64 v6, null, 0, v116, s1
	v_add_co_u32 v7, s1, 0x800, v115
	v_add_co_ci_u32_e64 v8, null, 0, v116, s1
	s_waitcnt vmcnt(0) lgkmcnt(25)
	v_fmac_f32_e32 v117, v9, v1
	v_fmac_f32_e32 v0, v10, v2
	;; [unrolled: 1-line block ×4, first 2 shown]
	global_load_dwordx4 v[1:4], v[115:116], off offset:1536
	s_waitcnt vmcnt(0) lgkmcnt(24)
	v_fmac_f32_e32 v117, v13, v1
	v_fmac_f32_e32 v0, v14, v2
	;; [unrolled: 1-line block ×4, first 2 shown]
	global_load_dwordx4 v[1:4], v[5:6], off offset:-2048
	s_waitcnt vmcnt(0) lgkmcnt(23)
	v_fmac_f32_e32 v117, v17, v1
	v_fmac_f32_e32 v0, v18, v2
	v_fmac_f32_e32 v119, v19, v3
	v_fmac_f32_e32 v118, v20, v4
	global_load_dwordx4 v[1:4], v[7:8], off offset:512
	s_waitcnt vmcnt(0) lgkmcnt(22)
	v_fmac_f32_e32 v117, v21, v1
	v_fmac_f32_e32 v0, v22, v2
	v_fmac_f32_e32 v119, v23, v3
	v_fmac_f32_e32 v118, v24, v4
	global_load_dwordx4 v[1:4], v[7:8], off offset:1024
	;; [unrolled: 6-line block ×3, first 2 shown]
	s_waitcnt vmcnt(0) lgkmcnt(20)
	v_fmac_f32_e32 v117, v29, v1
	v_fmac_f32_e32 v0, v30, v2
	;; [unrolled: 1-line block ×4, first 2 shown]
	global_load_dwordx4 v[1:4], v[5:6], off
	v_add_co_u32 v5, s1, 0x1000, v115
	v_add_co_ci_u32_e64 v6, null, 0, v116, s1
	s_waitcnt vmcnt(0) lgkmcnt(19)
	v_fmac_f32_e32 v117, v33, v1
	v_fmac_f32_e32 v0, v34, v2
	v_fmac_f32_e32 v119, v35, v3
	v_fmac_f32_e32 v118, v36, v4
	global_load_dwordx4 v[1:4], v[5:6], off offset:512
	s_waitcnt vmcnt(0) lgkmcnt(18)
	v_fmac_f32_e32 v117, v37, v1
	v_fmac_f32_e32 v0, v38, v2
	v_fmac_f32_e32 v119, v39, v3
	v_fmac_f32_e32 v118, v40, v4
	global_load_dwordx4 v[1:4], v[5:6], off offset:1024
	;; [unrolled: 6-line block ×3, first 2 shown]
	v_add_co_u32 v5, s1, v115, 0x2000
	v_add_co_ci_u32_e64 v6, null, 0, v116, s1
	v_add_co_u32 v7, s1, 0x1800, v115
	v_add_co_ci_u32_e64 v8, null, 0, v116, s1
	s_waitcnt vmcnt(0) lgkmcnt(16)
	v_fmac_f32_e32 v117, v45, v1
	v_fmac_f32_e32 v0, v46, v2
	;; [unrolled: 1-line block ×4, first 2 shown]
	global_load_dwordx4 v[1:4], v[5:6], off offset:-2048
	s_waitcnt vmcnt(0) lgkmcnt(15)
	v_fmac_f32_e32 v117, v49, v1
	v_fmac_f32_e32 v0, v50, v2
	v_fmac_f32_e32 v119, v51, v3
	v_fmac_f32_e32 v118, v52, v4
	global_load_dwordx4 v[1:4], v[7:8], off offset:512
	s_waitcnt vmcnt(0) lgkmcnt(14)
	v_fmac_f32_e32 v117, v53, v1
	v_fmac_f32_e32 v0, v54, v2
	v_fmac_f32_e32 v119, v55, v3
	v_fmac_f32_e32 v118, v56, v4
	global_load_dwordx4 v[1:4], v[7:8], off offset:1024
	;; [unrolled: 6-line block ×3, first 2 shown]
	s_waitcnt vmcnt(0) lgkmcnt(12)
	v_fmac_f32_e32 v117, v61, v1
	v_fmac_f32_e32 v0, v62, v2
	;; [unrolled: 1-line block ×4, first 2 shown]
	global_load_dwordx4 v[1:4], v[5:6], off
	v_add_co_u32 v5, s1, 0x2000, v115
	v_add_co_ci_u32_e64 v6, null, 0, v116, s1
	s_waitcnt vmcnt(0) lgkmcnt(11)
	v_fmac_f32_e32 v117, v65, v1
	v_fmac_f32_e32 v0, v66, v2
	v_fmac_f32_e32 v119, v67, v3
	v_fmac_f32_e32 v118, v68, v4
	global_load_dwordx4 v[1:4], v[5:6], off offset:512
	s_waitcnt vmcnt(0) lgkmcnt(10)
	v_fmac_f32_e32 v117, v69, v1
	v_fmac_f32_e32 v0, v70, v2
	v_fmac_f32_e32 v119, v71, v3
	v_fmac_f32_e32 v118, v72, v4
	global_load_dwordx4 v[1:4], v[5:6], off offset:1024
	;; [unrolled: 6-line block ×3, first 2 shown]
	v_add_co_u32 v5, s1, v115, 0x3000
	v_add_co_ci_u32_e64 v6, null, 0, v116, s1
	v_add_co_u32 v7, s1, 0x2800, v115
	v_add_co_ci_u32_e64 v8, null, 0, v116, s1
	s_waitcnt vmcnt(0) lgkmcnt(8)
	v_fmac_f32_e32 v117, v77, v1
	v_fmac_f32_e32 v0, v78, v2
	;; [unrolled: 1-line block ×4, first 2 shown]
	global_load_dwordx4 v[1:4], v[5:6], off offset:-2048
	s_waitcnt vmcnt(0) lgkmcnt(7)
	v_fmac_f32_e32 v117, v81, v1
	v_fmac_f32_e32 v0, v82, v2
	v_fmac_f32_e32 v119, v83, v3
	v_fmac_f32_e32 v118, v84, v4
	global_load_dwordx4 v[1:4], v[7:8], off offset:512
	s_waitcnt vmcnt(0) lgkmcnt(6)
	v_fmac_f32_e32 v117, v85, v1
	v_fmac_f32_e32 v0, v86, v2
	v_fmac_f32_e32 v119, v87, v3
	v_fmac_f32_e32 v118, v88, v4
	global_load_dwordx4 v[1:4], v[7:8], off offset:1024
	;; [unrolled: 6-line block ×3, first 2 shown]
	s_waitcnt vmcnt(0) lgkmcnt(4)
	v_fmac_f32_e32 v117, v93, v1
	v_fmac_f32_e32 v0, v94, v2
	;; [unrolled: 1-line block ×4, first 2 shown]
	global_load_dwordx4 v[1:4], v[5:6], off
	v_add_co_u32 v5, s1, 0x3000, v115
	v_add_co_ci_u32_e64 v6, null, 0, v116, s1
	s_waitcnt vmcnt(0) lgkmcnt(3)
	v_fmac_f32_e32 v117, v97, v1
	v_fmac_f32_e32 v0, v98, v2
	v_fmac_f32_e32 v119, v99, v3
	v_fmac_f32_e32 v118, v100, v4
	global_load_dwordx4 v[1:4], v[5:6], off offset:512
	s_waitcnt vmcnt(0) lgkmcnt(2)
	v_fmac_f32_e32 v117, v101, v1
	v_fmac_f32_e32 v0, v102, v2
	v_fmac_f32_e32 v119, v103, v3
	v_fmac_f32_e32 v118, v104, v4
	global_load_dwordx4 v[1:4], v[5:6], off offset:1024
	;; [unrolled: 6-line block ×3, first 2 shown]
	s_waitcnt vmcnt(0) lgkmcnt(0)
	v_fmac_f32_e32 v117, v109, v1
	buffer_load_dword v1, off, s[40:43], 0 offset:140 ; 4-byte Folded Reload
	v_fmac_f32_e32 v0, v110, v2
	v_fmac_f32_e32 v119, v111, v3
	;; [unrolled: 1-line block ×3, first 2 shown]
	v_add_f32_e32 v0, v117, v0
	v_add_f32_e32 v0, v119, v0
	;; [unrolled: 1-line block ×3, first 2 shown]
	s_waitcnt vmcnt(0)
	v_add_nc_u32_e32 v1, v1, v124
	v_cmp_gt_i32_e64 s1, s28, v1
	v_add_nc_u32_e32 v1, v125, v124
	v_cvt_f32_i32_e32 v1, v1
	v_mul_f32_e32 v1, s31, v1
	v_cndmask_b32_e32 v1, 0, v1, vcc_lo
	v_fmac_f32_e32 v1, s3, v0
	v_max_f32_e32 v0, v123, v123
	v_max_f32_e32 v0, v0, v1
	v_cndmask_b32_e64 v123, v123, v0, s1
	v_cndmask_b32_e64 v0, 0, v1, s1
	ds_write_b32 v126, v0
	s_branch .LBB40_10
.LBB40_15:
	s_or_b32 exec_lo, exec_lo, s15
	s_waitcnt lgkmcnt(15)
	s_clause 0x4
	buffer_load_dword v51, off, s[40:43], 0 offset:156
	buffer_load_dword v126, off, s[40:43], 0 offset:160
	;; [unrolled: 1-line block ×5, first 2 shown]
.LBB40_16:
	s_or_b32 exec_lo, exec_lo, s33
	v_mbcnt_lo_u32_b32 v1, -1, 0
	v_max_f32_e32 v4, v123, v123
	v_xor_b32_e32 v0, 16, v1
	v_xor_b32_e32 v3, 8, v1
	v_cmp_gt_i32_e32 vcc_lo, 32, v0
	v_cndmask_b32_e32 v0, v1, v0, vcc_lo
	v_cmp_gt_i32_e32 vcc_lo, 32, v3
	v_lshlrev_b32_e32 v0, 2, v0
	v_cndmask_b32_e32 v3, v1, v3, vcc_lo
	ds_bpermute_b32 v2, v0, v123
	s_waitcnt lgkmcnt(0)
	v_max_f32_e32 v5, v2, v2
	v_lshlrev_b32_e32 v2, 2, v3
	v_max_f32_e32 v3, v4, v5
	v_xor_b32_e32 v5, 4, v1
	ds_bpermute_b32 v4, v2, v3
	v_cmp_gt_i32_e32 vcc_lo, 32, v5
	v_cndmask_b32_e32 v5, v1, v5, vcc_lo
	v_lshlrev_b32_e32 v124, 2, v5
	v_xor_b32_e32 v5, 2, v1
	v_cmp_gt_i32_e32 vcc_lo, 32, v5
	s_waitcnt lgkmcnt(0)
	v_max_f32_e32 v4, v4, v4
	v_cndmask_b32_e32 v5, v1, v5, vcc_lo
	v_max_f32_e32 v3, v3, v4
	v_lshlrev_b32_e32 v123, 2, v5
	v_xor_b32_e32 v5, 1, v1
	ds_bpermute_b32 v4, v124, v3
	v_cmp_gt_i32_e32 vcc_lo, 32, v5
	v_cndmask_b32_e32 v5, v1, v5, vcc_lo
	v_lshlrev_b32_e32 v122, 2, v5
	s_waitcnt lgkmcnt(0)
	v_max_f32_e32 v4, v4, v4
	v_max_f32_e32 v3, v3, v4
	ds_bpermute_b32 v4, v123, v3
	s_waitcnt lgkmcnt(0)
	v_max_f32_e32 v4, v4, v4
	v_max_f32_e32 v1, v3, v4
	buffer_load_dword v3, off, s[40:43], 0 offset:140 ; 4-byte Folded Reload
	ds_bpermute_b32 v4, v122, v1
	s_waitcnt vmcnt(0)
	v_cmp_eq_u32_e32 vcc_lo, 0, v3
	v_lshlrev_b32_e32 v3, 2, v126
	s_and_saveexec_b32 s1, vcc_lo
	s_cbranch_execz .LBB40_18
; %bb.17:
	s_waitcnt lgkmcnt(0)
	v_max_f32_e32 v4, v4, v4
	v_max_f32_e32 v1, v1, v1
	;; [unrolled: 1-line block ×3, first 2 shown]
	ds_write_b32 v3, v1 offset:448
.LBB40_18:
	s_or_b32 exec_lo, exec_lo, s1
	buffer_load_dword v1, off, s[40:43], 0 offset:140 ; 4-byte Folded Reload
	s_waitcnt vmcnt(0) lgkmcnt(0)
	s_waitcnt_vscnt null, 0x0
	s_barrier
	buffer_gl0_inv
	v_cmp_gt_u32_e64 s1, 4, v1
	v_mov_b32_e32 v1, 0xff7fffff
	s_and_saveexec_b32 s2, s1
; %bb.19:
	ds_read_b32 v1, v115 offset:448
; %bb.20:
	s_or_b32 exec_lo, exec_lo, s2
	s_waitcnt lgkmcnt(0)
	ds_bpermute_b32 v4, v123, v1
	v_max_f32_e32 v1, v1, v1
	s_lshl_b32 s2, s16, 5
	s_min_i32 s4, s2, s28
	v_cmp_gt_i32_e64 s2, s4, v51
	s_waitcnt lgkmcnt(0)
	v_max_f32_e32 v4, v4, v4
	v_max_f32_e32 v1, v1, v4
	ds_bpermute_b32 v4, v122, v1
	s_waitcnt lgkmcnt(0)
	v_max_f32_e32 v4, v4, v4
	v_max_f32_e32 v1, v1, v4
	v_mov_b32_e32 v4, 0
	ds_bpermute_b32 v5, v4, v1
	v_lshl_add_u32 v1, v51, 2, 0x1e0
	s_and_saveexec_b32 s5, s2
	s_cbranch_execz .LBB40_24
; %bb.21:
	v_lshl_add_u32 v6, v51, 2, 0x1e0
	v_mov_b32_e32 v4, 0
	v_mov_b32_e32 v7, v51
	s_mov_b32 s15, 0
	.p2align	6
.LBB40_22:                              ; =>This Inner Loop Header: Depth=1
	ds_read_b32 v8, v6
	v_add_nc_u32_e32 v7, 0x80, v7
	v_cmp_le_i32_e64 s3, s4, v7
	s_or_b32 s15, s3, s15
	s_waitcnt lgkmcnt(0)
	v_sub_f32_e32 v8, v8, v5
	v_mul_f32_e32 v8, 0x3fb8aa3b, v8
	v_exp_f32_e32 v8, v8
	ds_write_b32 v6, v8
	v_add_f32_e32 v4, v4, v8
	v_add_nc_u32_e32 v6, 0x200, v6
	s_andn2_b32 exec_lo, exec_lo, s15
	s_cbranch_execnz .LBB40_22
; %bb.23:
	s_or_b32 exec_lo, exec_lo, s15
.LBB40_24:
	s_or_b32 exec_lo, exec_lo, s5
	ds_bpermute_b32 v0, v0, v4
	s_waitcnt lgkmcnt(0)
	v_add_f32_e32 v0, v4, v0
	ds_bpermute_b32 v2, v2, v0
	s_waitcnt lgkmcnt(0)
	v_add_f32_e32 v0, v0, v2
	;; [unrolled: 3-line block ×5, first 2 shown]
	s_and_saveexec_b32 s3, vcc_lo
; %bb.25:
	ds_write_b32 v3, v0 offset:464
; %bb.26:
	s_or_b32 exec_lo, exec_lo, s3
	s_waitcnt lgkmcnt(0)
	s_barrier
	buffer_gl0_inv
	s_and_saveexec_b32 s3, s1
; %bb.27:
	ds_read_b32 v0, v115 offset:464
; %bb.28:
	s_or_b32 exec_lo, exec_lo, s3
	s_waitcnt lgkmcnt(0)
	ds_bpermute_b32 v2, v123, v0
	s_waitcnt lgkmcnt(0)
	v_add_f32_e32 v0, v0, v2
	ds_bpermute_b32 v2, v122, v0
	s_waitcnt lgkmcnt(0)
	v_add_f32_e32 v0, v0, v2
	v_mov_b32_e32 v2, 0
	ds_bpermute_b32 v0, v2, v0
	s_and_saveexec_b32 s1, s2
	s_cbranch_execz .LBB40_31
; %bb.29:
	s_waitcnt lgkmcnt(0)
	v_add_f32_e32 v0, 0x358637bd, v0
	s_mov_b32 s2, 0
	v_div_scale_f32 v2, null, v0, v0, 1.0
	v_div_scale_f32 v5, vcc_lo, 1.0, v0, 1.0
	v_rcp_f32_e32 v3, v2
	v_fma_f32 v4, -v2, v3, 1.0
	v_fmac_f32_e32 v3, v4, v3
	v_mul_f32_e32 v4, v5, v3
	v_fma_f32 v6, -v2, v4, v5
	v_fmac_f32_e32 v4, v6, v3
	v_fma_f32 v2, -v2, v4, v5
	v_div_fmas_f32 v2, v2, v3, v4
	v_div_fixup_f32 v0, v2, v0, 1.0
	v_mov_b32_e32 v2, v51
.LBB40_30:                              ; =>This Inner Loop Header: Depth=1
	ds_read_b32 v3, v1
	v_add_nc_u32_e32 v2, 0x80, v2
	v_cmp_le_i32_e32 vcc_lo, s4, v2
	s_or_b32 s2, vcc_lo, s2
	s_waitcnt lgkmcnt(0)
	v_mul_f32_e32 v3, v0, v3
	ds_write_b32 v1, v3
	v_add_nc_u32_e32 v1, 0x200, v1
	s_andn2_b32 exec_lo, exec_lo, s2
	s_cbranch_execnz .LBB40_30
.LBB40_31:
	s_or_b32 exec_lo, exec_lo, s1
	v_mov_b32_e32 v13, 0
	v_and_b32_e32 v52, 7, v51
	v_mov_b32_e32 v17, 0
	v_mov_b32_e32 v16, 0
	;; [unrolled: 1-line block ×27, first 2 shown]
	s_waitcnt lgkmcnt(0)
	s_barrier
	buffer_gl0_inv
	s_and_saveexec_b32 s1, s0
	s_cbranch_execz .LBB40_93
; %bb.32:
	v_mov_b32_e32 v5, 0
	s_ashr_i32 s15, s14, 31
	s_sub_i32 s2, s30, s17
	s_lshl_b64 s[4:5], s[14:15], 2
	v_lshlrev_b32_e32 v0, 2, v51
	buffer_store_dword v5, off, s[40:43], 0 ; 4-byte Folded Spill
	v_mov_b32_e32 v5, 0
	s_add_u32 s0, s26, s4
	s_addc_u32 s5, s27, s5
	s_abs_i32 s3, s18
	v_and_b32_e32 v0, 28, v0
	buffer_store_dword v5, off, s[40:43], 0 offset:4 ; 4-byte Folded Spill
	v_mov_b32_e32 v5, 0
	v_cvt_f32_u32_e32 v1, s3
	s_sub_i32 s4, 0, s3
	buffer_store_dword v0, off, s[40:43], 0 offset:144 ; 4-byte Folded Spill
	v_and_b32_e32 v2, 0x1f0, v9
	buffer_store_dword v5, off, s[40:43], 0 offset:20 ; 4-byte Folded Spill
	v_mov_b32_e32 v5, 0
	v_rcp_iflag_f32_e32 v1, v1
	v_lshlrev_b32_e32 v4, 4, v52
	v_add_co_u32 v2, s0, s0, v2
	buffer_store_dword v5, off, s[40:43], 0 offset:36 ; 4-byte Folded Spill
	v_mov_b32_e32 v5, 0
	v_and_b32_e32 v3, 0x7c, v113
	s_lshl_b64 s[14:15], s[24:25], 2
	v_lshl_or_b32 v4, v126, 7, v4
	buffer_store_dword v2, off, s[40:43], 0 offset:148 ; 4-byte Folded Spill
	buffer_store_dword v5, off, s[40:43], 0 offset:40 ; 4-byte Folded Spill
	v_mov_b32_e32 v5, 0
	v_mul_f32_e32 v1, 0x4f7ffffe, v1
	v_add_co_ci_u32_e64 v2, null, s5, 0, s0
	v_mov_b32_e32 v44, 0
	buffer_store_dword v5, off, s[40:43], 0 offset:44 ; 4-byte Folded Spill
	v_mov_b32_e32 v5, 0
	v_cvt_u32_f32_e32 v1, v1
	v_add_nc_u32_e32 v120, 0x1e0, v4
	v_mov_b32_e32 v8, 0
	v_mov_b32_e32 v7, 0
	buffer_store_dword v5, off, s[40:43], 0 offset:48 ; 4-byte Folded Spill
	v_mov_b32_e32 v5, 0
	v_mul_lo_u32 v0, s4, v1
	s_add_i32 s4, s16, -1
	s_add_u32 s0, s22, s14
	s_addc_u32 s5, s23, s15
	buffer_store_dword v5, off, s[40:43], 0 offset:52 ; 4-byte Folded Spill
	v_mov_b32_e32 v5, 0
	v_add_co_u32 v117, s0, s0, v3
	v_mul_hi_u32 v0, v1, v0
	v_add_co_ci_u32_e64 v118, null, s5, 0, s0
	buffer_store_dword v5, off, s[40:43], 0 offset:56 ; 4-byte Folded Spill
	v_mov_b32_e32 v5, 0
	v_mov_b32_e32 v11, 0
	;; [unrolled: 1-line block ×4, first 2 shown]
	v_add_nc_u32_e32 v0, v1, v0
	buffer_store_dword v5, off, s[40:43], 0 offset:60 ; 4-byte Folded Spill
	v_mov_b32_e32 v5, 0
	v_mov_b32_e32 v15, 0
	;; [unrolled: 1-line block ×3, first 2 shown]
	buffer_store_dword v0, off, s[40:43], 0 offset:96 ; 4-byte Folded Spill
	v_mov_b32_e32 v0, 0
	buffer_store_dword v5, off, s[40:43], 0 offset:64 ; 4-byte Folded Spill
	v_mov_b32_e32 v5, 0
	v_mov_b32_e32 v17, 0
	;; [unrolled: 1-line block ×3, first 2 shown]
	buffer_store_dword v0, off, s[40:43], 0 offset:84 ; 4-byte Folded Spill
	v_mov_b32_e32 v0, 0
	buffer_store_dword v5, off, s[40:43], 0 offset:68 ; 4-byte Folded Spill
	v_mov_b32_e32 v5, 0
	s_mov_b32 s5, 0
	buffer_store_dword v52, off, s[40:43], 0 offset:164 ; 4-byte Folded Spill
	buffer_store_dword v0, off, s[40:43], 0 offset:88 ; 4-byte Folded Spill
	v_mov_b32_e32 v0, 0
	buffer_store_dword v5, off, s[40:43], 0 offset:72 ; 4-byte Folded Spill
	v_mov_b32_e32 v5, 0
	buffer_store_dword v2, off, s[40:43], 0 offset:152 ; 4-byte Folded Spill
	buffer_store_dword v0, off, s[40:43], 0 offset:92 ; 4-byte Folded Spill
	;; [unrolled: 1-line block ×3, first 2 shown]
	v_mov_b32_e32 v5, 0
	buffer_store_dword v5, off, s[40:43], 0 offset:80 ; 4-byte Folded Spill
	s_branch .LBB40_35
.LBB40_33:                              ;   in Loop: Header=BB40_35 Depth=1
	s_or_b32 exec_lo, exec_lo, s0
	s_waitcnt vmcnt(27) lgkmcnt(0)
	v_mul_f32_e32 v5, v1, v5
	s_waitcnt vmcnt(1)
	v_mul_f32_e32 v0, v1, v113
	v_mul_f32_e32 v41, v1, v41
	;; [unrolled: 1-line block ×4, first 2 shown]
	v_fmac_f32_e32 v5, v2, v6
	buffer_load_dword v6, off, s[40:43], 0  ; 4-byte Folded Reload
	v_fmac_f32_e32 v0, v2, v114
	v_fmac_f32_e32 v41, v2, v42
	;; [unrolled: 1-line block ×12, first 2 shown]
	buffer_load_dword v44, off, s[40:43], 0 offset:100 ; 4-byte Folded Reload
	v_fmac_f32_e32 v109, v4, v112
	v_fmac_f32_e32 v105, v4, v108
	v_mul_f32_e32 v101, v1, v101
	v_mul_f32_e32 v9, v1, v9
	;; [unrolled: 1-line block ×5, first 2 shown]
	v_fmac_f32_e32 v101, v2, v102
	v_fmac_f32_e32 v9, v2, v10
	v_fmac_f32_e32 v97, v2, v98
	v_fmac_f32_e32 v93, v2, v94
	v_fmac_f32_e32 v13, v2, v14
	v_fmac_f32_e32 v101, v3, v103
	v_fmac_f32_e32 v9, v3, v11
	v_fmac_f32_e32 v97, v3, v99
	v_fmac_f32_e32 v93, v3, v95
	v_mul_f32_e32 v89, v1, v89
	v_fmac_f32_e32 v101, v4, v104
	v_fmac_f32_e32 v9, v4, v12
	;; [unrolled: 1-line block ×6, first 2 shown]
	v_mul_f32_e32 v85, v1, v85
	v_mul_f32_e32 v77, v1, v77
	;; [unrolled: 1-line block ×3, first 2 shown]
	v_fmac_f32_e32 v89, v3, v91
	v_fmac_f32_e32 v13, v4, v16
	;; [unrolled: 1-line block ×4, first 2 shown]
	v_mul_f32_e32 v17, v1, v17
	v_fmac_f32_e32 v89, v4, v92
	v_fmac_f32_e32 v73, v2, v74
	;; [unrolled: 1-line block ×5, first 2 shown]
	v_mul_f32_e32 v69, v1, v69
	v_fmac_f32_e32 v73, v3, v75
	v_fmac_f32_e32 v85, v4, v88
	;; [unrolled: 1-line block ×6, first 2 shown]
	v_mul_f32_e32 v65, v1, v65
	v_mul_f32_e32 v61, v1, v61
	v_fmac_f32_e32 v17, v4, v20
	v_fmac_f32_e32 v69, v3, v71
	v_mul_f32_e32 v57, v1, v57
	v_fmac_f32_e32 v65, v2, v66
	v_fmac_f32_e32 v61, v2, v62
	;; [unrolled: 3-line block ×3, first 2 shown]
	v_fmac_f32_e32 v65, v3, v67
	v_fmac_f32_e32 v61, v3, v63
	;; [unrolled: 1-line block ×3, first 2 shown]
	v_mul_f32_e32 v49, v1, v49
	v_fmac_f32_e32 v57, v3, v59
	v_fmac_f32_e32 v65, v4, v68
	;; [unrolled: 1-line block ×6, first 2 shown]
	v_mul_f32_e32 v45, v1, v45
	v_mul_f32_e32 v37, v1, v37
	v_fmac_f32_e32 v53, v4, v56
	v_fmac_f32_e32 v49, v3, v51
	v_mul_f32_e32 v33, v1, v33
	v_fmac_f32_e32 v45, v2, v46
	v_mul_f32_e32 v29, v1, v29
	v_mul_f32_e32 v25, v1, v25
	v_fmac_f32_e32 v49, v4, v52
	v_mul_f32_e32 v21, v1, v21
	v_fmac_f32_e32 v45, v3, v47
	v_fmac_f32_e32 v37, v2, v38
	;; [unrolled: 1-line block ×17, first 2 shown]
	s_clause 0x6
	buffer_load_dword v8, off, s[40:43], 0 offset:104
	buffer_load_dword v7, off, s[40:43], 0 offset:108
	;; [unrolled: 1-line block ×7, first 2 shown]
	s_waitcnt vmcnt(8)
	v_add_f32_e32 v6, v6, v0
	buffer_load_dword v0, off, s[40:43], 0 offset:4 ; 4-byte Folded Reload
	buffer_store_dword v6, off, s[40:43], 0 ; 4-byte Folded Spill
	s_waitcnt vmcnt(7)
	v_add_f32_e32 v8, v8, v37
	s_waitcnt vmcnt(6)
	v_add_f32_e32 v7, v7, v33
	;; [unrolled: 2-line block ×7, first 2 shown]
	s_clause 0x1
	buffer_load_dword v13, off, s[40:43], 0 offset:132
	buffer_load_dword v17, off, s[40:43], 0 offset:136
	s_waitcnt vmcnt(2)
	v_add_f32_e32 v0, v0, v109
	buffer_store_dword v0, off, s[40:43], 0 offset:4 ; 4-byte Folded Spill
	buffer_load_dword v0, off, s[40:43], 0 offset:20 ; 4-byte Folded Reload
	s_waitcnt vmcnt(2)
	v_add_f32_e32 v13, v13, v5
	s_waitcnt vmcnt(1)
	v_add_f32_e32 v17, v17, v9
	;; [unrolled: 2-line block ×3, first 2 shown]
	buffer_store_dword v0, off, s[40:43], 0 offset:20 ; 4-byte Folded Spill
	buffer_load_dword v0, off, s[40:43], 0 offset:36 ; 4-byte Folded Reload
	s_waitcnt vmcnt(0)
	v_add_f32_e32 v0, v0, v101
	buffer_store_dword v0, off, s[40:43], 0 offset:36 ; 4-byte Folded Spill
	buffer_load_dword v0, off, s[40:43], 0 offset:40 ; 4-byte Folded Reload
	s_waitcnt vmcnt(0)
	v_add_f32_e32 v0, v0, v97
	;; [unrolled: 4-line block ×15, first 2 shown]
	buffer_store_dword v0, off, s[40:43], 0 offset:92 ; 4-byte Folded Spill
	v_mul_f32_e32 v0, v1, v81
	v_fmac_f32_e32 v0, v2, v82
	v_fmac_f32_e32 v0, v3, v83
	;; [unrolled: 1-line block ×3, first 2 shown]
	v_add_f32_e32 v44, v44, v0
.LBB40_34:                              ;   in Loop: Header=BB40_35 Depth=1
	s_or_b32 exec_lo, exec_lo, s14
	v_add_nc_u32_e32 v126, 4, v126
	v_add_co_u32 v117, s0, v117, 16
	v_add_co_ci_u32_e64 v118, null, 0, v118, s0
	v_cmp_le_i32_e32 vcc_lo, s16, v126
	v_add_nc_u32_e32 v121, 0x80, v121
	v_add_nc_u32_e32 v120, 0x200, v120
	s_or_b32 s5, vcc_lo, s5
	s_andn2_b32 exec_lo, exec_lo, s5
	s_cbranch_execz .LBB40_92
.LBB40_35:                              ; =>This Inner Loop Header: Depth=1
	v_mul_hi_u32 v0, v121, s21
	v_mul_lo_u32 v1, v0, s12
	v_add_nc_u32_e32 v2, 1, v0
	v_sub_nc_u32_e32 v1, v121, v1
	v_subrev_nc_u32_e32 v3, s12, v1
	v_cmp_le_u32_e32 vcc_lo, s12, v1
	v_cndmask_b32_e32 v1, v1, v3, vcc_lo
	buffer_load_dword v3, off, s[40:43], 0 offset:96 ; 4-byte Folded Reload
	v_cndmask_b32_e32 v0, v0, v2, vcc_lo
	v_cmp_le_u32_e32 vcc_lo, s12, v1
	v_add_nc_u32_e32 v2, 1, v0
	v_cndmask_b32_e32 v0, v0, v2, vcc_lo
	v_xor_b32_e32 v0, s19, v0
	v_subrev_nc_u32_e32 v0, s19, v0
	v_add_nc_u32_e32 v1, s29, v0
	v_cmp_lt_i32_e64 s0, s2, v0
	v_sub_nc_u32_e32 v2, 0, v1
	v_max_i32_e32 v2, v1, v2
	v_ashrrev_i32_e32 v1, 31, v1
	s_waitcnt vmcnt(0)
	v_mul_hi_u32 v3, v2, v3
	v_mul_lo_u32 v3, v3, s3
	v_sub_nc_u32_e32 v2, v2, v3
	v_subrev_nc_u32_e32 v3, s3, v2
	v_cmp_le_u32_e32 vcc_lo, s3, v2
	v_cndmask_b32_e32 v2, v2, v3, vcc_lo
	v_subrev_nc_u32_e32 v3, s3, v2
	v_cmp_le_u32_e32 vcc_lo, s3, v2
	v_cndmask_b32_e32 v2, v2, v3, vcc_lo
	v_xor_b32_e32 v2, v2, v1
	v_sub_nc_u32_e32 v1, v2, v1
	v_cmp_eq_u32_e32 vcc_lo, 0, v1
	s_or_b32 s0, vcc_lo, s0
	s_and_saveexec_b32 s14, s0
	s_cbranch_execz .LBB40_34
; %bb.36:                               ;   in Loop: Header=BB40_35 Depth=1
	buffer_store_dword v17, off, s[40:43], 0 offset:136 ; 4-byte Folded Spill
	buffer_store_dword v13, off, s[40:43], 0 offset:132 ; 4-byte Folded Spill
	;; [unrolled: 1-line block ×10, first 2 shown]
	global_load_dword v0, v[117:118], off
	buffer_load_dword v2, off, s[40:43], 0 offset:148 ; 4-byte Folded Reload
	s_waitcnt vmcnt(1)
	v_mad_i64_i32 v[0:1], null, v0, s13, 0
	v_lshlrev_b64 v[0:1], 2, v[0:1]
	s_waitcnt vmcnt(0)
	v_add_co_u32 v81, vcc_lo, v2, v0
	buffer_load_dword v0, off, s[40:43], 0 offset:152 ; 4-byte Folded Reload
	s_waitcnt vmcnt(0)
	v_add_co_ci_u32_e64 v82, null, v0, v1, vcc_lo
	buffer_load_dword v0, off, s[40:43], 0 offset:144 ; 4-byte Folded Reload
	ds_read_b128 v[1:4], v120
	v_cmp_eq_u32_e32 vcc_lo, s4, v126
	global_load_dwordx4 v[5:8], v[81:82], off
	s_waitcnt vmcnt(1)
	v_add_nc_u32_e32 v125, v0, v121
	v_add_nc_u32_e32 v119, 1, v125
	;; [unrolled: 1-line block ×4, first 2 shown]
	s_and_saveexec_b32 s15, vcc_lo
	s_cbranch_execnz .LBB40_70
; %bb.37:                               ;   in Loop: Header=BB40_35 Depth=1
	s_or_b32 exec_lo, exec_lo, s15
	global_load_dwordx4 v[9:12], v[81:82], off offset:512
	s_and_saveexec_b32 s15, vcc_lo
	s_cbranch_execnz .LBB40_71
.LBB40_38:                              ;   in Loop: Header=BB40_35 Depth=1
	s_or_b32 exec_lo, exec_lo, s15
	global_load_dwordx4 v[13:16], v[81:82], off offset:1024
	s_and_saveexec_b32 s15, vcc_lo
	s_cbranch_execnz .LBB40_72
.LBB40_39:                              ;   in Loop: Header=BB40_35 Depth=1
	s_or_b32 exec_lo, exec_lo, s15
	global_load_dwordx4 v[17:20], v[81:82], off offset:1536
	s_and_saveexec_b32 s15, vcc_lo
	s_cbranch_execz .LBB40_41
.LBB40_40:                              ;   in Loop: Header=BB40_35 Depth=1
	v_cmp_gt_i32_e64 s0, s28, v125
	s_waitcnt vmcnt(0)
	v_cndmask_b32_e64 v17, 0, v17, s0
	v_cmp_gt_i32_e64 s0, s28, v119
	v_cndmask_b32_e64 v18, 0, v18, s0
	v_cmp_gt_i32_e64 s0, s28, v127
	;; [unrolled: 2-line block ×3, first 2 shown]
	v_cndmask_b32_e64 v20, 0, v20, s0
.LBB40_41:                              ;   in Loop: Header=BB40_35 Depth=1
	s_or_b32 exec_lo, exec_lo, s15
	v_add_co_u32 v33, s0, 0x800, v81
	v_add_co_ci_u32_e64 v34, null, 0, v82, s0
	global_load_dwordx4 v[21:24], v[33:34], off
	s_and_saveexec_b32 s15, vcc_lo
	s_cbranch_execnz .LBB40_73
; %bb.42:                               ;   in Loop: Header=BB40_35 Depth=1
	s_or_b32 exec_lo, exec_lo, s15
	global_load_dwordx4 v[25:28], v[33:34], off offset:512
	s_and_saveexec_b32 s15, vcc_lo
	s_cbranch_execnz .LBB40_74
.LBB40_43:                              ;   in Loop: Header=BB40_35 Depth=1
	s_or_b32 exec_lo, exec_lo, s15
	global_load_dwordx4 v[29:32], v[33:34], off offset:1024
	s_and_saveexec_b32 s15, vcc_lo
	s_cbranch_execnz .LBB40_75
.LBB40_44:                              ;   in Loop: Header=BB40_35 Depth=1
	s_or_b32 exec_lo, exec_lo, s15
	global_load_dwordx4 v[33:36], v[33:34], off offset:1536
	s_and_saveexec_b32 s15, vcc_lo
	s_cbranch_execz .LBB40_46
.LBB40_45:                              ;   in Loop: Header=BB40_35 Depth=1
	v_cmp_gt_i32_e64 s0, s28, v125
	s_waitcnt vmcnt(0)
	v_cndmask_b32_e64 v33, 0, v33, s0
	v_cmp_gt_i32_e64 s0, s28, v119
	v_cndmask_b32_e64 v34, 0, v34, s0
	v_cmp_gt_i32_e64 s0, s28, v127
	;; [unrolled: 2-line block ×3, first 2 shown]
	v_cndmask_b32_e64 v36, 0, v36, s0
.LBB40_46:                              ;   in Loop: Header=BB40_35 Depth=1
	s_or_b32 exec_lo, exec_lo, s15
	v_add_co_u32 v49, s0, 0x1000, v81
	v_add_co_ci_u32_e64 v50, null, 0, v82, s0
	global_load_dwordx4 v[37:40], v[49:50], off
	s_and_saveexec_b32 s15, vcc_lo
	s_cbranch_execnz .LBB40_76
; %bb.47:                               ;   in Loop: Header=BB40_35 Depth=1
	s_or_b32 exec_lo, exec_lo, s15
	global_load_dwordx4 v[41:44], v[49:50], off offset:512
	s_and_saveexec_b32 s15, vcc_lo
	s_cbranch_execnz .LBB40_77
.LBB40_48:                              ;   in Loop: Header=BB40_35 Depth=1
	s_or_b32 exec_lo, exec_lo, s15
	global_load_dwordx4 v[45:48], v[49:50], off offset:1024
	s_and_saveexec_b32 s15, vcc_lo
	s_cbranch_execnz .LBB40_78
.LBB40_49:                              ;   in Loop: Header=BB40_35 Depth=1
	s_or_b32 exec_lo, exec_lo, s15
	global_load_dwordx4 v[49:52], v[49:50], off offset:1536
	s_and_saveexec_b32 s15, vcc_lo
	s_cbranch_execz .LBB40_51
.LBB40_50:                              ;   in Loop: Header=BB40_35 Depth=1
	v_cmp_gt_i32_e64 s0, s28, v125
	s_waitcnt vmcnt(0)
	v_cndmask_b32_e64 v49, 0, v49, s0
	v_cmp_gt_i32_e64 s0, s28, v119
	v_cndmask_b32_e64 v50, 0, v50, s0
	v_cmp_gt_i32_e64 s0, s28, v127
	;; [unrolled: 2-line block ×3, first 2 shown]
	v_cndmask_b32_e64 v52, 0, v52, s0
.LBB40_51:                              ;   in Loop: Header=BB40_35 Depth=1
	s_or_b32 exec_lo, exec_lo, s15
	v_add_co_u32 v65, s0, 0x1800, v81
	v_add_co_ci_u32_e64 v66, null, 0, v82, s0
	global_load_dwordx4 v[53:56], v[65:66], off
	s_and_saveexec_b32 s15, vcc_lo
	s_cbranch_execnz .LBB40_79
; %bb.52:                               ;   in Loop: Header=BB40_35 Depth=1
	s_or_b32 exec_lo, exec_lo, s15
	global_load_dwordx4 v[57:60], v[65:66], off offset:512
	s_and_saveexec_b32 s15, vcc_lo
	s_cbranch_execnz .LBB40_80
.LBB40_53:                              ;   in Loop: Header=BB40_35 Depth=1
	s_or_b32 exec_lo, exec_lo, s15
	global_load_dwordx4 v[61:64], v[65:66], off offset:1024
	s_and_saveexec_b32 s15, vcc_lo
	s_cbranch_execnz .LBB40_81
.LBB40_54:                              ;   in Loop: Header=BB40_35 Depth=1
	s_or_b32 exec_lo, exec_lo, s15
	global_load_dwordx4 v[65:68], v[65:66], off offset:1536
	s_and_saveexec_b32 s15, vcc_lo
	s_cbranch_execz .LBB40_56
.LBB40_55:                              ;   in Loop: Header=BB40_35 Depth=1
	v_cmp_gt_i32_e64 s0, s28, v125
	s_waitcnt vmcnt(0)
	v_cndmask_b32_e64 v65, 0, v65, s0
	v_cmp_gt_i32_e64 s0, s28, v119
	v_cndmask_b32_e64 v66, 0, v66, s0
	v_cmp_gt_i32_e64 s0, s28, v127
	;; [unrolled: 2-line block ×3, first 2 shown]
	v_cndmask_b32_e64 v68, 0, v68, s0
.LBB40_56:                              ;   in Loop: Header=BB40_35 Depth=1
	s_or_b32 exec_lo, exec_lo, s15
	v_add_co_u32 v83, s0, 0x2000, v81
	v_add_co_ci_u32_e64 v84, null, 0, v82, s0
	global_load_dwordx4 v[69:72], v[83:84], off
	s_and_saveexec_b32 s15, vcc_lo
	s_cbranch_execnz .LBB40_82
; %bb.57:                               ;   in Loop: Header=BB40_35 Depth=1
	s_or_b32 exec_lo, exec_lo, s15
	global_load_dwordx4 v[73:76], v[83:84], off offset:512
	s_and_saveexec_b32 s15, vcc_lo
	s_cbranch_execnz .LBB40_83
.LBB40_58:                              ;   in Loop: Header=BB40_35 Depth=1
	s_or_b32 exec_lo, exec_lo, s15
	global_load_dwordx4 v[77:80], v[83:84], off offset:1024
	s_and_saveexec_b32 s15, vcc_lo
	s_cbranch_execnz .LBB40_84
.LBB40_59:                              ;   in Loop: Header=BB40_35 Depth=1
	s_or_b32 exec_lo, exec_lo, s15
	global_load_dwordx4 v[85:88], v[83:84], off offset:1536
	s_and_saveexec_b32 s15, vcc_lo
	s_cbranch_execz .LBB40_61
.LBB40_60:                              ;   in Loop: Header=BB40_35 Depth=1
	v_cmp_gt_i32_e64 s0, s28, v125
	s_waitcnt vmcnt(0)
	v_cndmask_b32_e64 v85, 0, v85, s0
	v_cmp_gt_i32_e64 s0, s28, v119
	v_cndmask_b32_e64 v86, 0, v86, s0
	v_cmp_gt_i32_e64 s0, s28, v127
	;; [unrolled: 2-line block ×3, first 2 shown]
	v_cndmask_b32_e64 v88, 0, v88, s0
.LBB40_61:                              ;   in Loop: Header=BB40_35 Depth=1
	s_or_b32 exec_lo, exec_lo, s15
	v_add_co_u32 v83, s0, 0x2800, v81
	v_add_co_ci_u32_e64 v84, null, 0, v82, s0
	global_load_dwordx4 v[89:92], v[83:84], off
	s_and_saveexec_b32 s15, vcc_lo
	s_cbranch_execnz .LBB40_85
; %bb.62:                               ;   in Loop: Header=BB40_35 Depth=1
	s_or_b32 exec_lo, exec_lo, s15
	global_load_dwordx4 v[93:96], v[83:84], off offset:512
	s_and_saveexec_b32 s15, vcc_lo
	s_cbranch_execnz .LBB40_86
.LBB40_63:                              ;   in Loop: Header=BB40_35 Depth=1
	s_or_b32 exec_lo, exec_lo, s15
	global_load_dwordx4 v[97:100], v[83:84], off offset:1024
	s_and_saveexec_b32 s15, vcc_lo
	s_cbranch_execnz .LBB40_87
.LBB40_64:                              ;   in Loop: Header=BB40_35 Depth=1
	s_or_b32 exec_lo, exec_lo, s15
	global_load_dwordx4 v[101:104], v[83:84], off offset:1536
	s_and_saveexec_b32 s15, vcc_lo
	s_cbranch_execz .LBB40_66
.LBB40_65:                              ;   in Loop: Header=BB40_35 Depth=1
	v_cmp_gt_i32_e64 s0, s28, v125
	s_waitcnt vmcnt(0)
	v_cndmask_b32_e64 v101, 0, v101, s0
	v_cmp_gt_i32_e64 s0, s28, v119
	v_cndmask_b32_e64 v102, 0, v102, s0
	v_cmp_gt_i32_e64 s0, s28, v127
	;; [unrolled: 2-line block ×3, first 2 shown]
	v_cndmask_b32_e64 v104, 0, v104, s0
.LBB40_66:                              ;   in Loop: Header=BB40_35 Depth=1
	s_or_b32 exec_lo, exec_lo, s15
	v_add_co_u32 v81, s0, 0x3000, v81
	v_add_co_ci_u32_e64 v82, null, 0, v82, s0
	global_load_dwordx4 v[105:108], v[81:82], off
	s_and_saveexec_b32 s15, vcc_lo
	s_cbranch_execnz .LBB40_88
; %bb.67:                               ;   in Loop: Header=BB40_35 Depth=1
	s_or_b32 exec_lo, exec_lo, s15
	global_load_dwordx4 v[109:112], v[81:82], off offset:512
	s_and_saveexec_b32 s15, vcc_lo
	s_cbranch_execnz .LBB40_89
.LBB40_68:                              ;   in Loop: Header=BB40_35 Depth=1
	s_or_b32 exec_lo, exec_lo, s15
	global_load_dwordx4 v[113:116], v[81:82], off offset:1024
	s_and_saveexec_b32 s15, vcc_lo
	s_cbranch_execnz .LBB40_90
.LBB40_69:                              ;   in Loop: Header=BB40_35 Depth=1
	s_or_b32 exec_lo, exec_lo, s15
	global_load_dwordx4 v[81:84], v[81:82], off offset:1536
	s_and_saveexec_b32 s0, vcc_lo
	s_cbranch_execz .LBB40_33
	s_branch .LBB40_91
.LBB40_70:                              ;   in Loop: Header=BB40_35 Depth=1
	v_cmp_gt_i32_e64 s0, s28, v125
	s_waitcnt vmcnt(0)
	v_cndmask_b32_e64 v5, 0, v5, s0
	v_cmp_gt_i32_e64 s0, s28, v119
	v_cndmask_b32_e64 v6, 0, v6, s0
	v_cmp_gt_i32_e64 s0, s28, v127
	;; [unrolled: 2-line block ×3, first 2 shown]
	v_cndmask_b32_e64 v8, 0, v8, s0
	s_or_b32 exec_lo, exec_lo, s15
	global_load_dwordx4 v[9:12], v[81:82], off offset:512
	s_and_saveexec_b32 s15, vcc_lo
	s_cbranch_execz .LBB40_38
.LBB40_71:                              ;   in Loop: Header=BB40_35 Depth=1
	v_cmp_gt_i32_e64 s0, s28, v125
	s_waitcnt vmcnt(0)
	v_cndmask_b32_e64 v9, 0, v9, s0
	v_cmp_gt_i32_e64 s0, s28, v119
	v_cndmask_b32_e64 v10, 0, v10, s0
	v_cmp_gt_i32_e64 s0, s28, v127
	v_cndmask_b32_e64 v11, 0, v11, s0
	v_cmp_gt_i32_e64 s0, s28, v0
	v_cndmask_b32_e64 v12, 0, v12, s0
	s_or_b32 exec_lo, exec_lo, s15
	global_load_dwordx4 v[13:16], v[81:82], off offset:1024
	s_and_saveexec_b32 s15, vcc_lo
	s_cbranch_execz .LBB40_39
.LBB40_72:                              ;   in Loop: Header=BB40_35 Depth=1
	v_cmp_gt_i32_e64 s0, s28, v125
	s_waitcnt vmcnt(0)
	v_cndmask_b32_e64 v13, 0, v13, s0
	v_cmp_gt_i32_e64 s0, s28, v119
	v_cndmask_b32_e64 v14, 0, v14, s0
	v_cmp_gt_i32_e64 s0, s28, v127
	;; [unrolled: 2-line block ×3, first 2 shown]
	v_cndmask_b32_e64 v16, 0, v16, s0
	s_or_b32 exec_lo, exec_lo, s15
	global_load_dwordx4 v[17:20], v[81:82], off offset:1536
	s_and_saveexec_b32 s15, vcc_lo
	s_cbranch_execnz .LBB40_40
	s_branch .LBB40_41
.LBB40_73:                              ;   in Loop: Header=BB40_35 Depth=1
	v_cmp_gt_i32_e64 s0, s28, v125
	s_waitcnt vmcnt(0)
	v_cndmask_b32_e64 v21, 0, v21, s0
	v_cmp_gt_i32_e64 s0, s28, v119
	v_cndmask_b32_e64 v22, 0, v22, s0
	v_cmp_gt_i32_e64 s0, s28, v127
	;; [unrolled: 2-line block ×3, first 2 shown]
	v_cndmask_b32_e64 v24, 0, v24, s0
	s_or_b32 exec_lo, exec_lo, s15
	global_load_dwordx4 v[25:28], v[33:34], off offset:512
	s_and_saveexec_b32 s15, vcc_lo
	s_cbranch_execz .LBB40_43
.LBB40_74:                              ;   in Loop: Header=BB40_35 Depth=1
	v_cmp_gt_i32_e64 s0, s28, v125
	s_waitcnt vmcnt(0)
	v_cndmask_b32_e64 v25, 0, v25, s0
	v_cmp_gt_i32_e64 s0, s28, v119
	v_cndmask_b32_e64 v26, 0, v26, s0
	v_cmp_gt_i32_e64 s0, s28, v127
	;; [unrolled: 2-line block ×3, first 2 shown]
	v_cndmask_b32_e64 v28, 0, v28, s0
	s_or_b32 exec_lo, exec_lo, s15
	global_load_dwordx4 v[29:32], v[33:34], off offset:1024
	s_and_saveexec_b32 s15, vcc_lo
	s_cbranch_execz .LBB40_44
.LBB40_75:                              ;   in Loop: Header=BB40_35 Depth=1
	v_cmp_gt_i32_e64 s0, s28, v125
	s_waitcnt vmcnt(0)
	v_cndmask_b32_e64 v29, 0, v29, s0
	v_cmp_gt_i32_e64 s0, s28, v119
	v_cndmask_b32_e64 v30, 0, v30, s0
	v_cmp_gt_i32_e64 s0, s28, v127
	;; [unrolled: 2-line block ×3, first 2 shown]
	v_cndmask_b32_e64 v32, 0, v32, s0
	s_or_b32 exec_lo, exec_lo, s15
	global_load_dwordx4 v[33:36], v[33:34], off offset:1536
	s_and_saveexec_b32 s15, vcc_lo
	s_cbranch_execnz .LBB40_45
	s_branch .LBB40_46
.LBB40_76:                              ;   in Loop: Header=BB40_35 Depth=1
	v_cmp_gt_i32_e64 s0, s28, v125
	s_waitcnt vmcnt(0)
	v_cndmask_b32_e64 v37, 0, v37, s0
	v_cmp_gt_i32_e64 s0, s28, v119
	v_cndmask_b32_e64 v38, 0, v38, s0
	v_cmp_gt_i32_e64 s0, s28, v127
	;; [unrolled: 2-line block ×3, first 2 shown]
	v_cndmask_b32_e64 v40, 0, v40, s0
	s_or_b32 exec_lo, exec_lo, s15
	global_load_dwordx4 v[41:44], v[49:50], off offset:512
	s_and_saveexec_b32 s15, vcc_lo
	s_cbranch_execz .LBB40_48
.LBB40_77:                              ;   in Loop: Header=BB40_35 Depth=1
	v_cmp_gt_i32_e64 s0, s28, v125
	s_waitcnt vmcnt(0)
	v_cndmask_b32_e64 v41, 0, v41, s0
	v_cmp_gt_i32_e64 s0, s28, v119
	v_cndmask_b32_e64 v42, 0, v42, s0
	v_cmp_gt_i32_e64 s0, s28, v127
	;; [unrolled: 2-line block ×3, first 2 shown]
	v_cndmask_b32_e64 v44, 0, v44, s0
	s_or_b32 exec_lo, exec_lo, s15
	global_load_dwordx4 v[45:48], v[49:50], off offset:1024
	s_and_saveexec_b32 s15, vcc_lo
	s_cbranch_execz .LBB40_49
.LBB40_78:                              ;   in Loop: Header=BB40_35 Depth=1
	v_cmp_gt_i32_e64 s0, s28, v125
	s_waitcnt vmcnt(0)
	v_cndmask_b32_e64 v45, 0, v45, s0
	v_cmp_gt_i32_e64 s0, s28, v119
	v_cndmask_b32_e64 v46, 0, v46, s0
	v_cmp_gt_i32_e64 s0, s28, v127
	v_cndmask_b32_e64 v47, 0, v47, s0
	v_cmp_gt_i32_e64 s0, s28, v0
	v_cndmask_b32_e64 v48, 0, v48, s0
	s_or_b32 exec_lo, exec_lo, s15
	global_load_dwordx4 v[49:52], v[49:50], off offset:1536
	s_and_saveexec_b32 s15, vcc_lo
	s_cbranch_execnz .LBB40_50
	s_branch .LBB40_51
.LBB40_79:                              ;   in Loop: Header=BB40_35 Depth=1
	v_cmp_gt_i32_e64 s0, s28, v125
	s_waitcnt vmcnt(0)
	v_cndmask_b32_e64 v53, 0, v53, s0
	v_cmp_gt_i32_e64 s0, s28, v119
	v_cndmask_b32_e64 v54, 0, v54, s0
	v_cmp_gt_i32_e64 s0, s28, v127
	v_cndmask_b32_e64 v55, 0, v55, s0
	v_cmp_gt_i32_e64 s0, s28, v0
	v_cndmask_b32_e64 v56, 0, v56, s0
	s_or_b32 exec_lo, exec_lo, s15
	global_load_dwordx4 v[57:60], v[65:66], off offset:512
	s_and_saveexec_b32 s15, vcc_lo
	s_cbranch_execz .LBB40_53
.LBB40_80:                              ;   in Loop: Header=BB40_35 Depth=1
	v_cmp_gt_i32_e64 s0, s28, v125
	s_waitcnt vmcnt(0)
	v_cndmask_b32_e64 v57, 0, v57, s0
	v_cmp_gt_i32_e64 s0, s28, v119
	v_cndmask_b32_e64 v58, 0, v58, s0
	v_cmp_gt_i32_e64 s0, s28, v127
	v_cndmask_b32_e64 v59, 0, v59, s0
	v_cmp_gt_i32_e64 s0, s28, v0
	v_cndmask_b32_e64 v60, 0, v60, s0
	s_or_b32 exec_lo, exec_lo, s15
	global_load_dwordx4 v[61:64], v[65:66], off offset:1024
	s_and_saveexec_b32 s15, vcc_lo
	s_cbranch_execz .LBB40_54
.LBB40_81:                              ;   in Loop: Header=BB40_35 Depth=1
	v_cmp_gt_i32_e64 s0, s28, v125
	s_waitcnt vmcnt(0)
	v_cndmask_b32_e64 v61, 0, v61, s0
	v_cmp_gt_i32_e64 s0, s28, v119
	v_cndmask_b32_e64 v62, 0, v62, s0
	v_cmp_gt_i32_e64 s0, s28, v127
	;; [unrolled: 2-line block ×3, first 2 shown]
	v_cndmask_b32_e64 v64, 0, v64, s0
	s_or_b32 exec_lo, exec_lo, s15
	global_load_dwordx4 v[65:68], v[65:66], off offset:1536
	s_and_saveexec_b32 s15, vcc_lo
	s_cbranch_execnz .LBB40_55
	s_branch .LBB40_56
.LBB40_82:                              ;   in Loop: Header=BB40_35 Depth=1
	v_cmp_gt_i32_e64 s0, s28, v125
	s_waitcnt vmcnt(0)
	v_cndmask_b32_e64 v69, 0, v69, s0
	v_cmp_gt_i32_e64 s0, s28, v119
	v_cndmask_b32_e64 v70, 0, v70, s0
	v_cmp_gt_i32_e64 s0, s28, v127
	;; [unrolled: 2-line block ×3, first 2 shown]
	v_cndmask_b32_e64 v72, 0, v72, s0
	s_or_b32 exec_lo, exec_lo, s15
	global_load_dwordx4 v[73:76], v[83:84], off offset:512
	s_and_saveexec_b32 s15, vcc_lo
	s_cbranch_execz .LBB40_58
.LBB40_83:                              ;   in Loop: Header=BB40_35 Depth=1
	v_cmp_gt_i32_e64 s0, s28, v125
	s_waitcnt vmcnt(0)
	v_cndmask_b32_e64 v73, 0, v73, s0
	v_cmp_gt_i32_e64 s0, s28, v119
	v_cndmask_b32_e64 v74, 0, v74, s0
	v_cmp_gt_i32_e64 s0, s28, v127
	;; [unrolled: 2-line block ×3, first 2 shown]
	v_cndmask_b32_e64 v76, 0, v76, s0
	s_or_b32 exec_lo, exec_lo, s15
	global_load_dwordx4 v[77:80], v[83:84], off offset:1024
	s_and_saveexec_b32 s15, vcc_lo
	s_cbranch_execz .LBB40_59
.LBB40_84:                              ;   in Loop: Header=BB40_35 Depth=1
	v_cmp_gt_i32_e64 s0, s28, v125
	s_waitcnt vmcnt(0)
	v_cndmask_b32_e64 v77, 0, v77, s0
	v_cmp_gt_i32_e64 s0, s28, v119
	v_cndmask_b32_e64 v78, 0, v78, s0
	v_cmp_gt_i32_e64 s0, s28, v127
	;; [unrolled: 2-line block ×3, first 2 shown]
	v_cndmask_b32_e64 v80, 0, v80, s0
	s_or_b32 exec_lo, exec_lo, s15
	global_load_dwordx4 v[85:88], v[83:84], off offset:1536
	s_and_saveexec_b32 s15, vcc_lo
	s_cbranch_execnz .LBB40_60
	s_branch .LBB40_61
.LBB40_85:                              ;   in Loop: Header=BB40_35 Depth=1
	v_cmp_gt_i32_e64 s0, s28, v125
	s_waitcnt vmcnt(0)
	v_cndmask_b32_e64 v89, 0, v89, s0
	v_cmp_gt_i32_e64 s0, s28, v119
	v_cndmask_b32_e64 v90, 0, v90, s0
	v_cmp_gt_i32_e64 s0, s28, v127
	;; [unrolled: 2-line block ×3, first 2 shown]
	v_cndmask_b32_e64 v92, 0, v92, s0
	s_or_b32 exec_lo, exec_lo, s15
	global_load_dwordx4 v[93:96], v[83:84], off offset:512
	s_and_saveexec_b32 s15, vcc_lo
	s_cbranch_execz .LBB40_63
.LBB40_86:                              ;   in Loop: Header=BB40_35 Depth=1
	v_cmp_gt_i32_e64 s0, s28, v125
	s_waitcnt vmcnt(0)
	v_cndmask_b32_e64 v93, 0, v93, s0
	v_cmp_gt_i32_e64 s0, s28, v119
	v_cndmask_b32_e64 v94, 0, v94, s0
	v_cmp_gt_i32_e64 s0, s28, v127
	;; [unrolled: 2-line block ×3, first 2 shown]
	v_cndmask_b32_e64 v96, 0, v96, s0
	s_or_b32 exec_lo, exec_lo, s15
	global_load_dwordx4 v[97:100], v[83:84], off offset:1024
	s_and_saveexec_b32 s15, vcc_lo
	s_cbranch_execz .LBB40_64
.LBB40_87:                              ;   in Loop: Header=BB40_35 Depth=1
	v_cmp_gt_i32_e64 s0, s28, v125
	s_waitcnt vmcnt(0)
	v_cndmask_b32_e64 v97, 0, v97, s0
	v_cmp_gt_i32_e64 s0, s28, v119
	v_cndmask_b32_e64 v98, 0, v98, s0
	v_cmp_gt_i32_e64 s0, s28, v127
	;; [unrolled: 2-line block ×3, first 2 shown]
	v_cndmask_b32_e64 v100, 0, v100, s0
	s_or_b32 exec_lo, exec_lo, s15
	global_load_dwordx4 v[101:104], v[83:84], off offset:1536
	s_and_saveexec_b32 s15, vcc_lo
	s_cbranch_execnz .LBB40_65
	s_branch .LBB40_66
.LBB40_88:                              ;   in Loop: Header=BB40_35 Depth=1
	v_cmp_gt_i32_e64 s0, s28, v125
	s_waitcnt vmcnt(0)
	v_cndmask_b32_e64 v105, 0, v105, s0
	v_cmp_gt_i32_e64 s0, s28, v119
	v_cndmask_b32_e64 v106, 0, v106, s0
	v_cmp_gt_i32_e64 s0, s28, v127
	;; [unrolled: 2-line block ×3, first 2 shown]
	v_cndmask_b32_e64 v108, 0, v108, s0
	s_or_b32 exec_lo, exec_lo, s15
	global_load_dwordx4 v[109:112], v[81:82], off offset:512
	s_and_saveexec_b32 s15, vcc_lo
	s_cbranch_execz .LBB40_68
.LBB40_89:                              ;   in Loop: Header=BB40_35 Depth=1
	v_cmp_gt_i32_e64 s0, s28, v125
	s_waitcnt vmcnt(0)
	v_cndmask_b32_e64 v109, 0, v109, s0
	v_cmp_gt_i32_e64 s0, s28, v119
	v_cndmask_b32_e64 v110, 0, v110, s0
	v_cmp_gt_i32_e64 s0, s28, v127
	;; [unrolled: 2-line block ×3, first 2 shown]
	v_cndmask_b32_e64 v112, 0, v112, s0
	s_or_b32 exec_lo, exec_lo, s15
	global_load_dwordx4 v[113:116], v[81:82], off offset:1024
	s_and_saveexec_b32 s15, vcc_lo
	s_cbranch_execz .LBB40_69
.LBB40_90:                              ;   in Loop: Header=BB40_35 Depth=1
	v_cmp_gt_i32_e64 s0, s28, v125
	s_waitcnt vmcnt(0)
	v_cndmask_b32_e64 v113, 0, v113, s0
	v_cmp_gt_i32_e64 s0, s28, v119
	v_cndmask_b32_e64 v114, 0, v114, s0
	v_cmp_gt_i32_e64 s0, s28, v127
	;; [unrolled: 2-line block ×3, first 2 shown]
	v_cndmask_b32_e64 v116, 0, v116, s0
	s_or_b32 exec_lo, exec_lo, s15
	global_load_dwordx4 v[81:84], v[81:82], off offset:1536
	s_and_saveexec_b32 s0, vcc_lo
	s_cbranch_execz .LBB40_33
.LBB40_91:                              ;   in Loop: Header=BB40_35 Depth=1
	v_cmp_gt_i32_e32 vcc_lo, s28, v125
	s_waitcnt vmcnt(0)
	v_cndmask_b32_e32 v81, 0, v81, vcc_lo
	v_cmp_gt_i32_e32 vcc_lo, s28, v119
	v_cndmask_b32_e32 v82, 0, v82, vcc_lo
	v_cmp_gt_i32_e32 vcc_lo, s28, v127
	;; [unrolled: 2-line block ×3, first 2 shown]
	v_cndmask_b32_e32 v84, 0, v84, vcc_lo
	s_branch .LBB40_33
.LBB40_92:
	s_or_b32 exec_lo, exec_lo, s5
	s_clause 0x14
	buffer_load_dword v51, off, s[40:43], 0 offset:156
	buffer_load_dword v126, off, s[40:43], 0 offset:160
	;; [unrolled: 1-line block ×3, first 2 shown]
	buffer_load_dword v45, off, s[40:43], 0
	buffer_load_dword v43, off, s[40:43], 0 offset:4
	buffer_load_dword v40, off, s[40:43], 0 offset:20
	;; [unrolled: 1-line block ×17, first 2 shown]
.LBB40_93:
	s_or_b32 exec_lo, exec_lo, s1
	ds_bpermute_b32 v0, v124, v13
	ds_bpermute_b32 v3, v124, v15
	;; [unrolled: 1-line block ×6, first 2 shown]
	v_mov_b32_e32 v10, v7
	ds_bpermute_b32 v7, v124, v7
	v_mov_b32_e32 v21, v8
	ds_bpermute_b32 v8, v124, v8
	s_waitcnt vmcnt(0)
	ds_bpermute_b32 v9, v124, v20
	ds_bpermute_b32 v18, v124, v28
	;; [unrolled: 1-line block ×7, first 2 shown]
	s_mov_b32 s0, exec_lo
	s_waitcnt lgkmcnt(14)
	v_add_f32_e32 v0, v13, v0
	s_waitcnt lgkmcnt(13)
	v_add_f32_e32 v3, v15, v3
	;; [unrolled: 2-line block ×6, first 2 shown]
	ds_bpermute_b32 v13, v123, v3
	s_waitcnt lgkmcnt(9)
	v_add_f32_e32 v7, v10, v7
	ds_bpermute_b32 v10, v123, v0
	ds_bpermute_b32 v14, v123, v4
	;; [unrolled: 1-line block ×4, first 2 shown]
	s_waitcnt lgkmcnt(12)
	v_add_f32_e32 v8, v21, v8
	s_waitcnt lgkmcnt(11)
	v_add_f32_e32 v9, v20, v9
	ds_bpermute_b32 v20, v124, v25
	ds_bpermute_b32 v21, v124, v26
	s_waitcnt lgkmcnt(12)
	v_add_f32_e32 v18, v28, v18
	s_waitcnt lgkmcnt(11)
	v_add_f32_e32 v19, v27, v19
	s_waitcnt lgkmcnt(10)
	v_add_f32_e32 v22, v29, v22
	s_waitcnt lgkmcnt(9)
	v_add_f32_e32 v1, v17, v1
	ds_bpermute_b32 v17, v123, v7
	ds_bpermute_b32 v23, v123, v8
	;; [unrolled: 1-line block ×5, first 2 shown]
	s_waitcnt lgkmcnt(13)
	v_add_f32_e32 v34, v45, v34
	s_waitcnt lgkmcnt(11)
	v_add_f32_e32 v3, v3, v13
	v_add_f32_e32 v35, v44, v35
	s_waitcnt lgkmcnt(10)
	v_add_f32_e32 v0, v0, v10
	s_waitcnt lgkmcnt(9)
	;; [unrolled: 2-line block ×4, first 2 shown]
	v_add_f32_e32 v6, v6, v16
	ds_bpermute_b32 v13, v122, v3
	ds_bpermute_b32 v10, v122, v0
	;; [unrolled: 1-line block ×5, first 2 shown]
	s_waitcnt lgkmcnt(11)
	v_add_f32_e32 v20, v25, v20
	ds_bpermute_b32 v25, v124, v30
	s_waitcnt lgkmcnt(11)
	v_add_f32_e32 v21, v26, v21
	ds_bpermute_b32 v26, v123, v18
	;; [unrolled: 3-line block ×4, first 2 shown]
	ds_bpermute_b32 v23, v124, v37
	ds_bpermute_b32 v17, v122, v7
	ds_bpermute_b32 v24, v123, v9
	s_waitcnt lgkmcnt(12)
	v_add_f32_e32 v1, v1, v11
	v_add_f32_e32 v2, v2, v12
	ds_bpermute_b32 v44, v123, v35
	s_waitcnt lgkmcnt(12)
	v_add_f32_e32 v3, v3, v13
	s_waitcnt lgkmcnt(11)
	v_add_f32_e32 v0, v0, v10
	;; [unrolled: 2-line block ×5, first 2 shown]
	ds_bpermute_b32 v10, v124, v31
	ds_bpermute_b32 v13, v123, v22
	;; [unrolled: 1-line block ×3, first 2 shown]
	s_waitcnt lgkmcnt(9)
	v_add_f32_e32 v15, v18, v26
	v_add_f32_e32 v16, v19, v27
	;; [unrolled: 1-line block ×3, first 2 shown]
	ds_bpermute_b32 v19, v124, v36
	ds_bpermute_b32 v27, v124, v38
	s_waitcnt lgkmcnt(9)
	v_add_f32_e32 v21, v21, v29
	s_waitcnt lgkmcnt(7)
	v_add_f32_e32 v7, v7, v17
	ds_bpermute_b32 v25, v123, v18
	v_add_f32_e32 v17, v20, v28
	ds_bpermute_b32 v20, v122, v15
	ds_bpermute_b32 v28, v124, v42
	;; [unrolled: 1-line block ×4, first 2 shown]
	v_add_f32_e32 v23, v37, v23
	ds_bpermute_b32 v11, v122, v1
	ds_bpermute_b32 v12, v122, v2
	s_waitcnt lgkmcnt(13)
	v_add_f32_e32 v9, v9, v24
	s_waitcnt lgkmcnt(11)
	v_add_f32_e32 v10, v31, v10
	;; [unrolled: 2-line block ×4, first 2 shown]
	ds_bpermute_b32 v14, v124, v43
	ds_bpermute_b32 v31, v124, v40
	;; [unrolled: 1-line block ×3, first 2 shown]
	s_waitcnt lgkmcnt(11)
	v_add_f32_e32 v19, v36, v19
	ds_bpermute_b32 v36, v123, v13
	s_waitcnt lgkmcnt(11)
	v_add_f32_e32 v27, v38, v27
	ds_bpermute_b32 v38, v123, v23
	;; [unrolled: 3-line block ×3, first 2 shown]
	ds_bpermute_b32 v32, v122, v21
	s_waitcnt lgkmcnt(11)
	v_add_f32_e32 v28, v42, v28
	s_waitcnt lgkmcnt(10)
	v_add_f32_e32 v29, v41, v29
	;; [unrolled: 2-line block ×3, first 2 shown]
	ds_bpermute_b32 v39, v123, v27
	v_add_f32_e32 v35, v35, v44
	s_waitcnt lgkmcnt(9)
	v_add_f32_e32 v1, v1, v11
	ds_bpermute_b32 v41, v123, v29
	ds_bpermute_b32 v42, v123, v30
	s_waitcnt lgkmcnt(10)
	v_add_f32_e32 v2, v2, v12
	ds_bpermute_b32 v11, v122, v8
	s_waitcnt lgkmcnt(10)
	v_add_f32_e32 v14, v43, v14
	s_waitcnt lgkmcnt(9)
	v_add_f32_e32 v31, v40, v31
	;; [unrolled: 2-line block ×3, first 2 shown]
	ds_bpermute_b32 v40, v123, v28
	s_waitcnt lgkmcnt(8)
	v_add_f32_e32 v36, v13, v36
	ds_bpermute_b32 v10, v123, v14
	ds_bpermute_b32 v43, v123, v31
	;; [unrolled: 1-line block ×3, first 2 shown]
	s_waitcnt lgkmcnt(9)
	v_add_f32_e32 v19, v19, v25
	ds_bpermute_b32 v25, v122, v18
	v_add_f32_e32 v23, v23, v38
	ds_bpermute_b32 v12, v122, v9
	ds_bpermute_b32 v24, v122, v16
	s_waitcnt lgkmcnt(10)
	v_add_f32_e32 v27, v27, v39
	ds_bpermute_b32 v26, v122, v17
	ds_bpermute_b32 v37, v122, v22
	s_waitcnt lgkmcnt(11)
	v_add_f32_e32 v29, v29, v41
	s_waitcnt lgkmcnt(10)
	v_add_f32_e32 v30, v30, v42
	ds_bpermute_b32 v38, v122, v33
	ds_bpermute_b32 v45, v122, v36
	;; [unrolled: 1-line block ×5, first 2 shown]
	s_waitcnt lgkmcnt(13)
	v_add_f32_e32 v28, v28, v40
	ds_bpermute_b32 v40, v122, v27
	s_waitcnt lgkmcnt(13)
	v_add_f32_e32 v47, v14, v10
	v_add_f32_e32 v10, v15, v20
	s_waitcnt lgkmcnt(12)
	v_add_f32_e32 v31, v31, v43
	ds_bpermute_b32 v41, v122, v28
	s_waitcnt lgkmcnt(11)
	v_add_f32_e32 v15, v18, v25
	buffer_load_dword v25, off, s[40:43], 0 offset:140 ; 4-byte Folded Reload
	v_add_f32_e32 v34, v34, v13
	ds_bpermute_b32 v43, v122, v30
	ds_bpermute_b32 v48, v122, v31
	;; [unrolled: 1-line block ×5, first 2 shown]
	v_add_f32_e32 v13, v21, v32
	v_add_f32_e32 v8, v8, v11
	s_waitcnt lgkmcnt(15)
	v_add_f32_e32 v9, v9, v12
	s_waitcnt lgkmcnt(14)
	v_add_f32_e32 v11, v16, v24
	s_waitcnt lgkmcnt(13)
	v_add_f32_e32 v12, v17, v26
	s_waitcnt lgkmcnt(12)
	v_add_f32_e32 v14, v22, v37
	s_waitcnt lgkmcnt(11)
	v_add_f32_e32 v16, v33, v38
	s_waitcnt lgkmcnt(10)
	v_add_f32_e32 v17, v36, v45
	s_waitcnt lgkmcnt(9)
	v_add_f32_e32 v18, v19, v46
	s_waitcnt lgkmcnt(8)
	v_add_f32_e32 v19, v23, v39
	s_waitcnt lgkmcnt(6)
	v_add_f32_e32 v20, v27, v40
	s_waitcnt lgkmcnt(5)
	v_add_f32_e32 v21, v28, v41
	v_add_f32_e32 v22, v29, v42
	s_waitcnt vmcnt(0) lgkmcnt(0)
	s_waitcnt_vscnt null, 0x0
	s_barrier
	v_add_f32_e32 v23, v30, v43
	v_add_f32_e32 v24, v31, v48
	v_and_b32_e32 v31, 0x3c7, v51
	v_add_f32_e32 v27, v35, v50
	v_add_f32_e32 v26, v34, v49
	v_mul_u32_u24_e32 v30, 0x1c0, v126
	buffer_gl0_inv
	v_lshrrev_b32_e32 v28, 3, v25
	v_add_f32_e32 v25, v47, v44
	v_lshl_add_u32 v29, v28, 2, 0x1e0
	v_cmpx_eq_u32_e32 64, v31
	s_cbranch_execz .LBB40_95
; %bb.94:
	v_add_nc_u32_e32 v31, v29, v30
	v_add_nc_u32_e32 v32, 0xfffffc80, v31
	v_add_nc_u32_e32 v33, 0xfffffc90, v31
	v_add_nc_u32_e32 v35, 0xfffffcb0, v31
	v_add_nc_u32_e32 v34, 0xfffffca0, v31
	v_add_nc_u32_e32 v36, 0xfffffcc0, v31
	v_add_nc_u32_e32 v37, 0xfffffcd0, v31
	v_add_nc_u32_e32 v38, 0xfffffce0, v31
	ds_write_b32 v32, v0
	ds_write_b32 v33, v1
	;; [unrolled: 1-line block ×3, first 2 shown]
	v_add_nc_u32_e32 v32, 0xfffffcf0, v31
	ds_write_b32 v35, v3
	ds_write_b32 v36, v4
	ds_write_b32 v37, v5
	ds_write_b32 v38, v6
	ds_write_b32 v32, v7
	v_add_nc_u32_e32 v32, 0xfffffd00, v31
	v_add_nc_u32_e32 v33, 0xfffffd10, v31
	v_add_nc_u32_e32 v34, 0xfffffd20, v31
	v_add_nc_u32_e32 v35, 0xfffffd30, v31
	v_add_nc_u32_e32 v36, 0xfffffd40, v31
	ds_write_b32 v32, v8
	ds_write_b32 v33, v9
	ds_write_b32 v34, v10
	ds_write_b32 v35, v11
	ds_write_b32 v36, v12
	v_add_nc_u32_e32 v32, 0xfffffd50, v31
	v_add_nc_u32_e32 v33, 0xfffffd60, v31
	v_add_nc_u32_e32 v34, 0xfffffd70, v31
	v_add_nc_u32_e32 v35, 0xfffffd80, v31
	;; [unrolled: 10-line block ×4, first 2 shown]
	v_add_nc_u32_e32 v31, 0xfffffe30, v31
	ds_write_b32 v32, v23
	ds_write_b32 v33, v24
	;; [unrolled: 1-line block ×5, first 2 shown]
.LBB40_95:
	s_or_b32 exec_lo, exec_lo, s0
	v_lshlrev_b32_e32 v28, 2, v28
	s_mov_b32 s1, exec_lo
	v_cmp_eq_u32_e32 vcc_lo, 0, v52
	s_waitcnt lgkmcnt(0)
	s_barrier
	v_add3_u32 v28, 0x1e0, v30, v28
	buffer_gl0_inv
	v_cmpx_gt_u32_e32 64, v51
	s_cbranch_execz .LBB40_126
; %bb.96:
	s_and_saveexec_b32 s0, vcc_lo
	s_cbranch_execnz .LBB40_162
; %bb.97:
	s_or_b32 exec_lo, exec_lo, s0
	s_and_saveexec_b32 s0, vcc_lo
	s_cbranch_execnz .LBB40_163
.LBB40_98:
	s_or_b32 exec_lo, exec_lo, s0
	s_and_saveexec_b32 s0, vcc_lo
	s_cbranch_execnz .LBB40_164
.LBB40_99:
	s_or_b32 exec_lo, exec_lo, s0
	s_and_saveexec_b32 s0, vcc_lo
	s_cbranch_execnz .LBB40_165
.LBB40_100:
	s_or_b32 exec_lo, exec_lo, s0
	s_and_saveexec_b32 s0, vcc_lo
	s_cbranch_execnz .LBB40_166
.LBB40_101:
	s_or_b32 exec_lo, exec_lo, s0
	s_and_saveexec_b32 s0, vcc_lo
	s_cbranch_execnz .LBB40_167
.LBB40_102:
	s_or_b32 exec_lo, exec_lo, s0
	s_and_saveexec_b32 s0, vcc_lo
	s_cbranch_execnz .LBB40_168
.LBB40_103:
	s_or_b32 exec_lo, exec_lo, s0
	s_and_saveexec_b32 s0, vcc_lo
	s_cbranch_execnz .LBB40_169
.LBB40_104:
	s_or_b32 exec_lo, exec_lo, s0
	s_and_saveexec_b32 s0, vcc_lo
	s_cbranch_execnz .LBB40_170
.LBB40_105:
	s_or_b32 exec_lo, exec_lo, s0
	s_and_saveexec_b32 s0, vcc_lo
	s_cbranch_execnz .LBB40_171
.LBB40_106:
	s_or_b32 exec_lo, exec_lo, s0
	s_and_saveexec_b32 s0, vcc_lo
	s_cbranch_execnz .LBB40_172
.LBB40_107:
	s_or_b32 exec_lo, exec_lo, s0
	s_and_saveexec_b32 s0, vcc_lo
	s_cbranch_execnz .LBB40_173
.LBB40_108:
	s_or_b32 exec_lo, exec_lo, s0
	s_and_saveexec_b32 s0, vcc_lo
	s_cbranch_execnz .LBB40_174
.LBB40_109:
	s_or_b32 exec_lo, exec_lo, s0
	s_and_saveexec_b32 s0, vcc_lo
	s_cbranch_execnz .LBB40_175
.LBB40_110:
	s_or_b32 exec_lo, exec_lo, s0
	s_and_saveexec_b32 s0, vcc_lo
	s_cbranch_execnz .LBB40_176
.LBB40_111:
	s_or_b32 exec_lo, exec_lo, s0
	s_and_saveexec_b32 s0, vcc_lo
	s_cbranch_execnz .LBB40_177
.LBB40_112:
	s_or_b32 exec_lo, exec_lo, s0
	s_and_saveexec_b32 s0, vcc_lo
	s_cbranch_execnz .LBB40_178
.LBB40_113:
	s_or_b32 exec_lo, exec_lo, s0
	s_and_saveexec_b32 s0, vcc_lo
	s_cbranch_execnz .LBB40_179
.LBB40_114:
	s_or_b32 exec_lo, exec_lo, s0
	s_and_saveexec_b32 s0, vcc_lo
	s_cbranch_execnz .LBB40_180
.LBB40_115:
	s_or_b32 exec_lo, exec_lo, s0
	s_and_saveexec_b32 s0, vcc_lo
	s_cbranch_execnz .LBB40_181
.LBB40_116:
	s_or_b32 exec_lo, exec_lo, s0
	s_and_saveexec_b32 s0, vcc_lo
	s_cbranch_execnz .LBB40_182
.LBB40_117:
	s_or_b32 exec_lo, exec_lo, s0
	s_and_saveexec_b32 s0, vcc_lo
	s_cbranch_execnz .LBB40_183
.LBB40_118:
	s_or_b32 exec_lo, exec_lo, s0
	s_and_saveexec_b32 s0, vcc_lo
	s_cbranch_execnz .LBB40_184
.LBB40_119:
	s_or_b32 exec_lo, exec_lo, s0
	s_and_saveexec_b32 s0, vcc_lo
	s_cbranch_execnz .LBB40_185
.LBB40_120:
	s_or_b32 exec_lo, exec_lo, s0
	s_and_saveexec_b32 s0, vcc_lo
	s_cbranch_execnz .LBB40_186
.LBB40_121:
	s_or_b32 exec_lo, exec_lo, s0
	s_and_saveexec_b32 s0, vcc_lo
	s_cbranch_execnz .LBB40_187
.LBB40_122:
	s_or_b32 exec_lo, exec_lo, s0
	s_and_saveexec_b32 s0, vcc_lo
	s_cbranch_execnz .LBB40_188
.LBB40_123:
	s_or_b32 exec_lo, exec_lo, s0
	s_and_saveexec_b32 s0, vcc_lo
	s_cbranch_execz .LBB40_125
.LBB40_124:
	ds_read_b32 v30, v28 offset:432
	s_waitcnt lgkmcnt(0)
	v_add_f32_e32 v27, v27, v30
.LBB40_125:
	s_or_b32 exec_lo, exec_lo, s0
.LBB40_126:
	s_or_b32 exec_lo, exec_lo, s1
	v_and_b32_e32 v30, 0x3e7, v51
	s_mov_b32 s1, exec_lo
	s_barrier
	buffer_gl0_inv
	v_cmpx_eq_u32_e32 32, v30
	s_cbranch_execz .LBB40_128
; %bb.127:
	ds_write2_b32 v29, v0, v1 offset1:4
	ds_write2_b32 v29, v2, v3 offset0:8 offset1:12
	ds_write2_b32 v29, v4, v5 offset0:16 offset1:20
	;; [unrolled: 1-line block ×13, first 2 shown]
.LBB40_128:
	s_or_b32 exec_lo, exec_lo, s1
	s_mov_b32 s1, exec_lo
	s_waitcnt lgkmcnt(0)
	s_barrier
	buffer_gl0_inv
	v_cmpx_gt_u32_e32 32, v51
	s_cbranch_execz .LBB40_159
; %bb.129:
	s_and_saveexec_b32 s0, vcc_lo
	s_cbranch_execnz .LBB40_189
; %bb.130:
	s_or_b32 exec_lo, exec_lo, s0
	s_and_saveexec_b32 s0, vcc_lo
	s_cbranch_execnz .LBB40_190
.LBB40_131:
	s_or_b32 exec_lo, exec_lo, s0
	s_and_saveexec_b32 s0, vcc_lo
	s_cbranch_execnz .LBB40_191
.LBB40_132:
	s_or_b32 exec_lo, exec_lo, s0
	s_and_saveexec_b32 s0, vcc_lo
	s_cbranch_execnz .LBB40_192
.LBB40_133:
	s_or_b32 exec_lo, exec_lo, s0
	s_and_saveexec_b32 s0, vcc_lo
	s_cbranch_execnz .LBB40_193
.LBB40_134:
	s_or_b32 exec_lo, exec_lo, s0
	s_and_saveexec_b32 s0, vcc_lo
	s_cbranch_execnz .LBB40_194
.LBB40_135:
	s_or_b32 exec_lo, exec_lo, s0
	s_and_saveexec_b32 s0, vcc_lo
	s_cbranch_execnz .LBB40_195
.LBB40_136:
	s_or_b32 exec_lo, exec_lo, s0
	s_and_saveexec_b32 s0, vcc_lo
	s_cbranch_execnz .LBB40_196
.LBB40_137:
	s_or_b32 exec_lo, exec_lo, s0
	s_and_saveexec_b32 s0, vcc_lo
	s_cbranch_execnz .LBB40_197
.LBB40_138:
	s_or_b32 exec_lo, exec_lo, s0
	s_and_saveexec_b32 s0, vcc_lo
	s_cbranch_execnz .LBB40_198
.LBB40_139:
	s_or_b32 exec_lo, exec_lo, s0
	s_and_saveexec_b32 s0, vcc_lo
	s_cbranch_execnz .LBB40_199
.LBB40_140:
	s_or_b32 exec_lo, exec_lo, s0
	s_and_saveexec_b32 s0, vcc_lo
	s_cbranch_execnz .LBB40_200
.LBB40_141:
	s_or_b32 exec_lo, exec_lo, s0
	s_and_saveexec_b32 s0, vcc_lo
	s_cbranch_execnz .LBB40_201
.LBB40_142:
	s_or_b32 exec_lo, exec_lo, s0
	s_and_saveexec_b32 s0, vcc_lo
	s_cbranch_execnz .LBB40_202
.LBB40_143:
	s_or_b32 exec_lo, exec_lo, s0
	s_and_saveexec_b32 s0, vcc_lo
	s_cbranch_execnz .LBB40_203
.LBB40_144:
	s_or_b32 exec_lo, exec_lo, s0
	s_and_saveexec_b32 s0, vcc_lo
	s_cbranch_execnz .LBB40_204
.LBB40_145:
	s_or_b32 exec_lo, exec_lo, s0
	s_and_saveexec_b32 s0, vcc_lo
	s_cbranch_execnz .LBB40_205
.LBB40_146:
	s_or_b32 exec_lo, exec_lo, s0
	s_and_saveexec_b32 s0, vcc_lo
	s_cbranch_execnz .LBB40_206
.LBB40_147:
	s_or_b32 exec_lo, exec_lo, s0
	s_and_saveexec_b32 s0, vcc_lo
	s_cbranch_execnz .LBB40_207
.LBB40_148:
	s_or_b32 exec_lo, exec_lo, s0
	s_and_saveexec_b32 s0, vcc_lo
	s_cbranch_execnz .LBB40_208
.LBB40_149:
	s_or_b32 exec_lo, exec_lo, s0
	s_and_saveexec_b32 s0, vcc_lo
	s_cbranch_execnz .LBB40_209
.LBB40_150:
	s_or_b32 exec_lo, exec_lo, s0
	s_and_saveexec_b32 s0, vcc_lo
	s_cbranch_execnz .LBB40_210
.LBB40_151:
	s_or_b32 exec_lo, exec_lo, s0
	s_and_saveexec_b32 s0, vcc_lo
	s_cbranch_execnz .LBB40_211
.LBB40_152:
	s_or_b32 exec_lo, exec_lo, s0
	s_and_saveexec_b32 s0, vcc_lo
	s_cbranch_execnz .LBB40_212
.LBB40_153:
	s_or_b32 exec_lo, exec_lo, s0
	s_and_saveexec_b32 s0, vcc_lo
	s_cbranch_execnz .LBB40_213
.LBB40_154:
	s_or_b32 exec_lo, exec_lo, s0
	s_and_saveexec_b32 s0, vcc_lo
	s_cbranch_execnz .LBB40_214
.LBB40_155:
	s_or_b32 exec_lo, exec_lo, s0
	s_and_saveexec_b32 s0, vcc_lo
	s_cbranch_execnz .LBB40_215
.LBB40_156:
	s_or_b32 exec_lo, exec_lo, s0
	s_and_saveexec_b32 s0, vcc_lo
	s_cbranch_execz .LBB40_158
.LBB40_157:
	ds_read_b32 v28, v28 offset:432
	s_waitcnt lgkmcnt(0)
	v_add_f32_e32 v27, v27, v28
.LBB40_158:
	s_or_b32 exec_lo, exec_lo, s0
.LBB40_159:
	s_or_b32 exec_lo, exec_lo, s1
	s_barrier
	buffer_gl0_inv
	s_mov_b32 s0, exec_lo
	v_cmpx_eq_u32_e32 0, v30
	s_cbranch_execz .LBB40_161
; %bb.160:
	s_mul_i32 s0, s10, s11
	s_mul_i32 s2, s11, s20
	;; [unrolled: 1-line block ×3, first 2 shown]
	v_lshrrev_b32_e32 v28, 1, v51
	s_mulk_i32 s0, 0x70
	s_ashr_i32 s1, s0, 31
	s_lshl_b64 s[0:1], s[0:1], 2
	s_add_u32 s4, s6, s0
	s_addc_u32 s5, s7, s1
	s_ashr_i32 s3, s2, 31
	s_lshl_b64 s[0:1], s[2:3], 2
	s_mul_i32 s2, s8, 0x70
	s_add_u32 s4, s4, s0
	s_addc_u32 s5, s5, s1
	s_ashr_i32 s3, s2, 31
	s_lshl_b64 s[0:1], s[2:3], 2
	s_add_u32 s0, s4, s0
	s_addc_u32 s1, s5, s1
	global_store_dword v28, v0, s[0:1]
	global_store_dword v28, v1, s[0:1] offset:16
	global_store_dword v28, v2, s[0:1] offset:32
	;; [unrolled: 1-line block ×27, first 2 shown]
.LBB40_161:
	s_endpgm
.LBB40_162:
	ds_read_b32 v30, v28
	s_waitcnt lgkmcnt(0)
	v_add_f32_e32 v0, v0, v30
	s_or_b32 exec_lo, exec_lo, s0
	s_and_saveexec_b32 s0, vcc_lo
	s_cbranch_execz .LBB40_98
.LBB40_163:
	ds_read_b32 v30, v28 offset:16
	s_waitcnt lgkmcnt(0)
	v_add_f32_e32 v1, v1, v30
	s_or_b32 exec_lo, exec_lo, s0
	s_and_saveexec_b32 s0, vcc_lo
	s_cbranch_execz .LBB40_99
.LBB40_164:
	ds_read_b32 v30, v28 offset:32
	s_waitcnt lgkmcnt(0)
	v_add_f32_e32 v2, v2, v30
	s_or_b32 exec_lo, exec_lo, s0
	s_and_saveexec_b32 s0, vcc_lo
	s_cbranch_execz .LBB40_100
.LBB40_165:
	ds_read_b32 v30, v28 offset:48
	s_waitcnt lgkmcnt(0)
	v_add_f32_e32 v3, v3, v30
	s_or_b32 exec_lo, exec_lo, s0
	s_and_saveexec_b32 s0, vcc_lo
	s_cbranch_execz .LBB40_101
.LBB40_166:
	ds_read_b32 v30, v28 offset:64
	s_waitcnt lgkmcnt(0)
	v_add_f32_e32 v4, v4, v30
	s_or_b32 exec_lo, exec_lo, s0
	s_and_saveexec_b32 s0, vcc_lo
	s_cbranch_execz .LBB40_102
.LBB40_167:
	ds_read_b32 v30, v28 offset:80
	s_waitcnt lgkmcnt(0)
	v_add_f32_e32 v5, v5, v30
	s_or_b32 exec_lo, exec_lo, s0
	s_and_saveexec_b32 s0, vcc_lo
	s_cbranch_execz .LBB40_103
.LBB40_168:
	ds_read_b32 v30, v28 offset:96
	s_waitcnt lgkmcnt(0)
	v_add_f32_e32 v6, v6, v30
	s_or_b32 exec_lo, exec_lo, s0
	s_and_saveexec_b32 s0, vcc_lo
	s_cbranch_execz .LBB40_104
.LBB40_169:
	ds_read_b32 v30, v28 offset:112
	s_waitcnt lgkmcnt(0)
	v_add_f32_e32 v7, v7, v30
	s_or_b32 exec_lo, exec_lo, s0
	s_and_saveexec_b32 s0, vcc_lo
	s_cbranch_execz .LBB40_105
.LBB40_170:
	ds_read_b32 v30, v28 offset:128
	s_waitcnt lgkmcnt(0)
	v_add_f32_e32 v8, v8, v30
	s_or_b32 exec_lo, exec_lo, s0
	s_and_saveexec_b32 s0, vcc_lo
	s_cbranch_execz .LBB40_106
.LBB40_171:
	ds_read_b32 v30, v28 offset:144
	s_waitcnt lgkmcnt(0)
	v_add_f32_e32 v9, v9, v30
	s_or_b32 exec_lo, exec_lo, s0
	s_and_saveexec_b32 s0, vcc_lo
	s_cbranch_execz .LBB40_107
.LBB40_172:
	ds_read_b32 v30, v28 offset:160
	s_waitcnt lgkmcnt(0)
	v_add_f32_e32 v10, v10, v30
	s_or_b32 exec_lo, exec_lo, s0
	s_and_saveexec_b32 s0, vcc_lo
	s_cbranch_execz .LBB40_108
.LBB40_173:
	ds_read_b32 v30, v28 offset:176
	s_waitcnt lgkmcnt(0)
	v_add_f32_e32 v11, v11, v30
	s_or_b32 exec_lo, exec_lo, s0
	s_and_saveexec_b32 s0, vcc_lo
	s_cbranch_execz .LBB40_109
.LBB40_174:
	ds_read_b32 v30, v28 offset:192
	s_waitcnt lgkmcnt(0)
	v_add_f32_e32 v12, v12, v30
	s_or_b32 exec_lo, exec_lo, s0
	s_and_saveexec_b32 s0, vcc_lo
	s_cbranch_execz .LBB40_110
.LBB40_175:
	ds_read_b32 v30, v28 offset:208
	s_waitcnt lgkmcnt(0)
	v_add_f32_e32 v13, v13, v30
	s_or_b32 exec_lo, exec_lo, s0
	s_and_saveexec_b32 s0, vcc_lo
	s_cbranch_execz .LBB40_111
.LBB40_176:
	ds_read_b32 v30, v28 offset:224
	s_waitcnt lgkmcnt(0)
	v_add_f32_e32 v14, v14, v30
	s_or_b32 exec_lo, exec_lo, s0
	s_and_saveexec_b32 s0, vcc_lo
	s_cbranch_execz .LBB40_112
.LBB40_177:
	ds_read_b32 v30, v28 offset:240
	s_waitcnt lgkmcnt(0)
	v_add_f32_e32 v15, v15, v30
	s_or_b32 exec_lo, exec_lo, s0
	s_and_saveexec_b32 s0, vcc_lo
	s_cbranch_execz .LBB40_113
.LBB40_178:
	ds_read_b32 v30, v28 offset:256
	s_waitcnt lgkmcnt(0)
	v_add_f32_e32 v16, v16, v30
	s_or_b32 exec_lo, exec_lo, s0
	s_and_saveexec_b32 s0, vcc_lo
	s_cbranch_execz .LBB40_114
.LBB40_179:
	ds_read_b32 v30, v28 offset:272
	s_waitcnt lgkmcnt(0)
	v_add_f32_e32 v17, v17, v30
	s_or_b32 exec_lo, exec_lo, s0
	s_and_saveexec_b32 s0, vcc_lo
	s_cbranch_execz .LBB40_115
.LBB40_180:
	ds_read_b32 v30, v28 offset:288
	s_waitcnt lgkmcnt(0)
	v_add_f32_e32 v18, v18, v30
	s_or_b32 exec_lo, exec_lo, s0
	s_and_saveexec_b32 s0, vcc_lo
	s_cbranch_execz .LBB40_116
.LBB40_181:
	ds_read_b32 v30, v28 offset:304
	s_waitcnt lgkmcnt(0)
	v_add_f32_e32 v19, v19, v30
	s_or_b32 exec_lo, exec_lo, s0
	s_and_saveexec_b32 s0, vcc_lo
	s_cbranch_execz .LBB40_117
.LBB40_182:
	ds_read_b32 v30, v28 offset:320
	s_waitcnt lgkmcnt(0)
	v_add_f32_e32 v20, v20, v30
	s_or_b32 exec_lo, exec_lo, s0
	s_and_saveexec_b32 s0, vcc_lo
	s_cbranch_execz .LBB40_118
.LBB40_183:
	ds_read_b32 v30, v28 offset:336
	s_waitcnt lgkmcnt(0)
	v_add_f32_e32 v21, v21, v30
	s_or_b32 exec_lo, exec_lo, s0
	s_and_saveexec_b32 s0, vcc_lo
	s_cbranch_execz .LBB40_119
.LBB40_184:
	ds_read_b32 v30, v28 offset:352
	s_waitcnt lgkmcnt(0)
	v_add_f32_e32 v22, v22, v30
	s_or_b32 exec_lo, exec_lo, s0
	s_and_saveexec_b32 s0, vcc_lo
	s_cbranch_execz .LBB40_120
.LBB40_185:
	ds_read_b32 v30, v28 offset:368
	s_waitcnt lgkmcnt(0)
	v_add_f32_e32 v23, v23, v30
	s_or_b32 exec_lo, exec_lo, s0
	s_and_saveexec_b32 s0, vcc_lo
	s_cbranch_execz .LBB40_121
.LBB40_186:
	ds_read_b32 v30, v28 offset:384
	s_waitcnt lgkmcnt(0)
	v_add_f32_e32 v24, v24, v30
	s_or_b32 exec_lo, exec_lo, s0
	s_and_saveexec_b32 s0, vcc_lo
	s_cbranch_execz .LBB40_122
.LBB40_187:
	ds_read_b32 v30, v28 offset:400
	s_waitcnt lgkmcnt(0)
	v_add_f32_e32 v25, v25, v30
	s_or_b32 exec_lo, exec_lo, s0
	s_and_saveexec_b32 s0, vcc_lo
	s_cbranch_execz .LBB40_123
.LBB40_188:
	ds_read_b32 v30, v28 offset:416
	s_waitcnt lgkmcnt(0)
	v_add_f32_e32 v26, v26, v30
	s_or_b32 exec_lo, exec_lo, s0
	s_and_saveexec_b32 s0, vcc_lo
	s_cbranch_execnz .LBB40_124
	s_branch .LBB40_125
.LBB40_189:
	ds_read_b32 v29, v28
	s_waitcnt lgkmcnt(0)
	v_add_f32_e32 v0, v0, v29
	s_or_b32 exec_lo, exec_lo, s0
	s_and_saveexec_b32 s0, vcc_lo
	s_cbranch_execz .LBB40_131
.LBB40_190:
	ds_read_b32 v29, v28 offset:16
	s_waitcnt lgkmcnt(0)
	v_add_f32_e32 v1, v1, v29
	s_or_b32 exec_lo, exec_lo, s0
	s_and_saveexec_b32 s0, vcc_lo
	s_cbranch_execz .LBB40_132
.LBB40_191:
	ds_read_b32 v29, v28 offset:32
	s_waitcnt lgkmcnt(0)
	v_add_f32_e32 v2, v2, v29
	s_or_b32 exec_lo, exec_lo, s0
	s_and_saveexec_b32 s0, vcc_lo
	s_cbranch_execz .LBB40_133
.LBB40_192:
	ds_read_b32 v29, v28 offset:48
	s_waitcnt lgkmcnt(0)
	v_add_f32_e32 v3, v3, v29
	s_or_b32 exec_lo, exec_lo, s0
	s_and_saveexec_b32 s0, vcc_lo
	s_cbranch_execz .LBB40_134
.LBB40_193:
	ds_read_b32 v29, v28 offset:64
	s_waitcnt lgkmcnt(0)
	v_add_f32_e32 v4, v4, v29
	s_or_b32 exec_lo, exec_lo, s0
	s_and_saveexec_b32 s0, vcc_lo
	s_cbranch_execz .LBB40_135
.LBB40_194:
	ds_read_b32 v29, v28 offset:80
	s_waitcnt lgkmcnt(0)
	v_add_f32_e32 v5, v5, v29
	s_or_b32 exec_lo, exec_lo, s0
	s_and_saveexec_b32 s0, vcc_lo
	s_cbranch_execz .LBB40_136
.LBB40_195:
	ds_read_b32 v29, v28 offset:96
	s_waitcnt lgkmcnt(0)
	v_add_f32_e32 v6, v6, v29
	s_or_b32 exec_lo, exec_lo, s0
	s_and_saveexec_b32 s0, vcc_lo
	s_cbranch_execz .LBB40_137
.LBB40_196:
	ds_read_b32 v29, v28 offset:112
	s_waitcnt lgkmcnt(0)
	v_add_f32_e32 v7, v7, v29
	s_or_b32 exec_lo, exec_lo, s0
	s_and_saveexec_b32 s0, vcc_lo
	s_cbranch_execz .LBB40_138
.LBB40_197:
	ds_read_b32 v29, v28 offset:128
	s_waitcnt lgkmcnt(0)
	v_add_f32_e32 v8, v8, v29
	s_or_b32 exec_lo, exec_lo, s0
	s_and_saveexec_b32 s0, vcc_lo
	s_cbranch_execz .LBB40_139
.LBB40_198:
	ds_read_b32 v29, v28 offset:144
	s_waitcnt lgkmcnt(0)
	v_add_f32_e32 v9, v9, v29
	s_or_b32 exec_lo, exec_lo, s0
	s_and_saveexec_b32 s0, vcc_lo
	s_cbranch_execz .LBB40_140
.LBB40_199:
	ds_read_b32 v29, v28 offset:160
	s_waitcnt lgkmcnt(0)
	v_add_f32_e32 v10, v10, v29
	s_or_b32 exec_lo, exec_lo, s0
	s_and_saveexec_b32 s0, vcc_lo
	s_cbranch_execz .LBB40_141
.LBB40_200:
	ds_read_b32 v29, v28 offset:176
	s_waitcnt lgkmcnt(0)
	v_add_f32_e32 v11, v11, v29
	s_or_b32 exec_lo, exec_lo, s0
	s_and_saveexec_b32 s0, vcc_lo
	s_cbranch_execz .LBB40_142
.LBB40_201:
	ds_read_b32 v29, v28 offset:192
	s_waitcnt lgkmcnt(0)
	v_add_f32_e32 v12, v12, v29
	s_or_b32 exec_lo, exec_lo, s0
	s_and_saveexec_b32 s0, vcc_lo
	s_cbranch_execz .LBB40_143
.LBB40_202:
	ds_read_b32 v29, v28 offset:208
	s_waitcnt lgkmcnt(0)
	v_add_f32_e32 v13, v13, v29
	s_or_b32 exec_lo, exec_lo, s0
	s_and_saveexec_b32 s0, vcc_lo
	s_cbranch_execz .LBB40_144
.LBB40_203:
	ds_read_b32 v29, v28 offset:224
	s_waitcnt lgkmcnt(0)
	v_add_f32_e32 v14, v14, v29
	s_or_b32 exec_lo, exec_lo, s0
	s_and_saveexec_b32 s0, vcc_lo
	s_cbranch_execz .LBB40_145
.LBB40_204:
	ds_read_b32 v29, v28 offset:240
	s_waitcnt lgkmcnt(0)
	v_add_f32_e32 v15, v15, v29
	s_or_b32 exec_lo, exec_lo, s0
	s_and_saveexec_b32 s0, vcc_lo
	s_cbranch_execz .LBB40_146
.LBB40_205:
	ds_read_b32 v29, v28 offset:256
	s_waitcnt lgkmcnt(0)
	v_add_f32_e32 v16, v16, v29
	s_or_b32 exec_lo, exec_lo, s0
	s_and_saveexec_b32 s0, vcc_lo
	s_cbranch_execz .LBB40_147
.LBB40_206:
	ds_read_b32 v29, v28 offset:272
	s_waitcnt lgkmcnt(0)
	v_add_f32_e32 v17, v17, v29
	s_or_b32 exec_lo, exec_lo, s0
	s_and_saveexec_b32 s0, vcc_lo
	s_cbranch_execz .LBB40_148
.LBB40_207:
	ds_read_b32 v29, v28 offset:288
	s_waitcnt lgkmcnt(0)
	v_add_f32_e32 v18, v18, v29
	s_or_b32 exec_lo, exec_lo, s0
	s_and_saveexec_b32 s0, vcc_lo
	s_cbranch_execz .LBB40_149
.LBB40_208:
	ds_read_b32 v29, v28 offset:304
	s_waitcnt lgkmcnt(0)
	v_add_f32_e32 v19, v19, v29
	s_or_b32 exec_lo, exec_lo, s0
	s_and_saveexec_b32 s0, vcc_lo
	s_cbranch_execz .LBB40_150
.LBB40_209:
	ds_read_b32 v29, v28 offset:320
	s_waitcnt lgkmcnt(0)
	v_add_f32_e32 v20, v20, v29
	s_or_b32 exec_lo, exec_lo, s0
	s_and_saveexec_b32 s0, vcc_lo
	s_cbranch_execz .LBB40_151
.LBB40_210:
	ds_read_b32 v29, v28 offset:336
	s_waitcnt lgkmcnt(0)
	v_add_f32_e32 v21, v21, v29
	s_or_b32 exec_lo, exec_lo, s0
	s_and_saveexec_b32 s0, vcc_lo
	s_cbranch_execz .LBB40_152
.LBB40_211:
	ds_read_b32 v29, v28 offset:352
	s_waitcnt lgkmcnt(0)
	v_add_f32_e32 v22, v22, v29
	s_or_b32 exec_lo, exec_lo, s0
	s_and_saveexec_b32 s0, vcc_lo
	s_cbranch_execz .LBB40_153
.LBB40_212:
	ds_read_b32 v29, v28 offset:368
	s_waitcnt lgkmcnt(0)
	v_add_f32_e32 v23, v23, v29
	s_or_b32 exec_lo, exec_lo, s0
	s_and_saveexec_b32 s0, vcc_lo
	s_cbranch_execz .LBB40_154
.LBB40_213:
	ds_read_b32 v29, v28 offset:384
	s_waitcnt lgkmcnt(0)
	v_add_f32_e32 v24, v24, v29
	s_or_b32 exec_lo, exec_lo, s0
	s_and_saveexec_b32 s0, vcc_lo
	s_cbranch_execz .LBB40_155
.LBB40_214:
	ds_read_b32 v29, v28 offset:400
	s_waitcnt lgkmcnt(0)
	v_add_f32_e32 v25, v25, v29
	s_or_b32 exec_lo, exec_lo, s0
	s_and_saveexec_b32 s0, vcc_lo
	s_cbranch_execz .LBB40_156
.LBB40_215:
	ds_read_b32 v29, v28 offset:416
	s_waitcnt lgkmcnt(0)
	v_add_f32_e32 v26, v26, v29
	s_or_b32 exec_lo, exec_lo, s0
	s_and_saveexec_b32 s0, vcc_lo
	s_cbranch_execnz .LBB40_157
	s_branch .LBB40_158
	.section	.rodata,"a",@progbits
	.p2align	6, 0x0
	.amdhsa_kernel _ZN4vllm25paged_attention_v1_kernelIffLi112ELi32ELi128ELNS_18Fp8KVCacheDataTypeE0ELb1EEEvPT_PKS2_PKT0_S8_ifPKiSA_iPKfiiiSC_SC_iiiii
		.amdhsa_group_segment_fixed_size 480
		.amdhsa_private_segment_fixed_size 172
		.amdhsa_kernarg_size 384
		.amdhsa_user_sgpr_count 6
		.amdhsa_user_sgpr_private_segment_buffer 1
		.amdhsa_user_sgpr_dispatch_ptr 0
		.amdhsa_user_sgpr_queue_ptr 0
		.amdhsa_user_sgpr_kernarg_segment_ptr 1
		.amdhsa_user_sgpr_dispatch_id 0
		.amdhsa_user_sgpr_flat_scratch_init 0
		.amdhsa_user_sgpr_private_segment_size 0
		.amdhsa_wavefront_size32 1
		.amdhsa_uses_dynamic_stack 0
		.amdhsa_system_sgpr_private_segment_wavefront_offset 1
		.amdhsa_system_sgpr_workgroup_id_x 1
		.amdhsa_system_sgpr_workgroup_id_y 1
		.amdhsa_system_sgpr_workgroup_id_z 1
		.amdhsa_system_sgpr_workgroup_info 0
		.amdhsa_system_vgpr_workitem_id 0
		.amdhsa_next_free_vgpr 128
		.amdhsa_next_free_sgpr 44
		.amdhsa_reserve_vcc 1
		.amdhsa_reserve_flat_scratch 0
		.amdhsa_float_round_mode_32 0
		.amdhsa_float_round_mode_16_64 0
		.amdhsa_float_denorm_mode_32 3
		.amdhsa_float_denorm_mode_16_64 3
		.amdhsa_dx10_clamp 1
		.amdhsa_ieee_mode 1
		.amdhsa_fp16_overflow 0
		.amdhsa_workgroup_processor_mode 1
		.amdhsa_memory_ordered 1
		.amdhsa_forward_progress 1
		.amdhsa_shared_vgpr_count 0
		.amdhsa_exception_fp_ieee_invalid_op 0
		.amdhsa_exception_fp_denorm_src 0
		.amdhsa_exception_fp_ieee_div_zero 0
		.amdhsa_exception_fp_ieee_overflow 0
		.amdhsa_exception_fp_ieee_underflow 0
		.amdhsa_exception_fp_ieee_inexact 0
		.amdhsa_exception_int_div_zero 0
	.end_amdhsa_kernel
	.section	.text._ZN4vllm25paged_attention_v1_kernelIffLi112ELi32ELi128ELNS_18Fp8KVCacheDataTypeE0ELb1EEEvPT_PKS2_PKT0_S8_ifPKiSA_iPKfiiiSC_SC_iiiii,"axG",@progbits,_ZN4vllm25paged_attention_v1_kernelIffLi112ELi32ELi128ELNS_18Fp8KVCacheDataTypeE0ELb1EEEvPT_PKS2_PKT0_S8_ifPKiSA_iPKfiiiSC_SC_iiiii,comdat
.Lfunc_end40:
	.size	_ZN4vllm25paged_attention_v1_kernelIffLi112ELi32ELi128ELNS_18Fp8KVCacheDataTypeE0ELb1EEEvPT_PKS2_PKT0_S8_ifPKiSA_iPKfiiiSC_SC_iiiii, .Lfunc_end40-_ZN4vllm25paged_attention_v1_kernelIffLi112ELi32ELi128ELNS_18Fp8KVCacheDataTypeE0ELb1EEEvPT_PKS2_PKT0_S8_ifPKiSA_iPKfiiiSC_SC_iiiii
                                        ; -- End function
	.set _ZN4vllm25paged_attention_v1_kernelIffLi112ELi32ELi128ELNS_18Fp8KVCacheDataTypeE0ELb1EEEvPT_PKS2_PKT0_S8_ifPKiSA_iPKfiiiSC_SC_iiiii.num_vgpr, 128
	.set _ZN4vllm25paged_attention_v1_kernelIffLi112ELi32ELi128ELNS_18Fp8KVCacheDataTypeE0ELb1EEEvPT_PKS2_PKT0_S8_ifPKiSA_iPKfiiiSC_SC_iiiii.num_agpr, 0
	.set _ZN4vllm25paged_attention_v1_kernelIffLi112ELi32ELi128ELNS_18Fp8KVCacheDataTypeE0ELb1EEEvPT_PKS2_PKT0_S8_ifPKiSA_iPKfiiiSC_SC_iiiii.numbered_sgpr, 44
	.set _ZN4vllm25paged_attention_v1_kernelIffLi112ELi32ELi128ELNS_18Fp8KVCacheDataTypeE0ELb1EEEvPT_PKS2_PKT0_S8_ifPKiSA_iPKfiiiSC_SC_iiiii.num_named_barrier, 0
	.set _ZN4vllm25paged_attention_v1_kernelIffLi112ELi32ELi128ELNS_18Fp8KVCacheDataTypeE0ELb1EEEvPT_PKS2_PKT0_S8_ifPKiSA_iPKfiiiSC_SC_iiiii.private_seg_size, 172
	.set _ZN4vllm25paged_attention_v1_kernelIffLi112ELi32ELi128ELNS_18Fp8KVCacheDataTypeE0ELb1EEEvPT_PKS2_PKT0_S8_ifPKiSA_iPKfiiiSC_SC_iiiii.uses_vcc, 1
	.set _ZN4vllm25paged_attention_v1_kernelIffLi112ELi32ELi128ELNS_18Fp8KVCacheDataTypeE0ELb1EEEvPT_PKS2_PKT0_S8_ifPKiSA_iPKfiiiSC_SC_iiiii.uses_flat_scratch, 0
	.set _ZN4vllm25paged_attention_v1_kernelIffLi112ELi32ELi128ELNS_18Fp8KVCacheDataTypeE0ELb1EEEvPT_PKS2_PKT0_S8_ifPKiSA_iPKfiiiSC_SC_iiiii.has_dyn_sized_stack, 0
	.set _ZN4vllm25paged_attention_v1_kernelIffLi112ELi32ELi128ELNS_18Fp8KVCacheDataTypeE0ELb1EEEvPT_PKS2_PKT0_S8_ifPKiSA_iPKfiiiSC_SC_iiiii.has_recursion, 0
	.set _ZN4vllm25paged_attention_v1_kernelIffLi112ELi32ELi128ELNS_18Fp8KVCacheDataTypeE0ELb1EEEvPT_PKS2_PKT0_S8_ifPKiSA_iPKfiiiSC_SC_iiiii.has_indirect_call, 0
	.section	.AMDGPU.csdata,"",@progbits
; Kernel info:
; codeLenInByte = 13592
; TotalNumSgprs: 46
; NumVgprs: 128
; ScratchSize: 172
; MemoryBound: 0
; FloatMode: 240
; IeeeMode: 1
; LDSByteSize: 480 bytes/workgroup (compile time only)
; SGPRBlocks: 0
; VGPRBlocks: 15
; NumSGPRsForWavesPerEU: 46
; NumVGPRsForWavesPerEU: 128
; Occupancy: 8
; WaveLimiterHint : 1
; COMPUTE_PGM_RSRC2:SCRATCH_EN: 1
; COMPUTE_PGM_RSRC2:USER_SGPR: 6
; COMPUTE_PGM_RSRC2:TRAP_HANDLER: 0
; COMPUTE_PGM_RSRC2:TGID_X_EN: 1
; COMPUTE_PGM_RSRC2:TGID_Y_EN: 1
; COMPUTE_PGM_RSRC2:TGID_Z_EN: 1
; COMPUTE_PGM_RSRC2:TIDIG_COMP_CNT: 0
	.section	.text._ZN4vllm25paged_attention_v1_kernelIffLi120ELi32ELi128ELNS_18Fp8KVCacheDataTypeE0ELb1EEEvPT_PKS2_PKT0_S8_ifPKiSA_iPKfiiiSC_SC_iiiii,"axG",@progbits,_ZN4vllm25paged_attention_v1_kernelIffLi120ELi32ELi128ELNS_18Fp8KVCacheDataTypeE0ELb1EEEvPT_PKS2_PKT0_S8_ifPKiSA_iPKfiiiSC_SC_iiiii,comdat
	.protected	_ZN4vllm25paged_attention_v1_kernelIffLi120ELi32ELi128ELNS_18Fp8KVCacheDataTypeE0ELb1EEEvPT_PKS2_PKT0_S8_ifPKiSA_iPKfiiiSC_SC_iiiii ; -- Begin function _ZN4vllm25paged_attention_v1_kernelIffLi120ELi32ELi128ELNS_18Fp8KVCacheDataTypeE0ELb1EEEvPT_PKS2_PKT0_S8_ifPKiSA_iPKfiiiSC_SC_iiiii
	.globl	_ZN4vllm25paged_attention_v1_kernelIffLi120ELi32ELi128ELNS_18Fp8KVCacheDataTypeE0ELb1EEEvPT_PKS2_PKT0_S8_ifPKiSA_iPKfiiiSC_SC_iiiii
	.p2align	8
	.type	_ZN4vllm25paged_attention_v1_kernelIffLi120ELi32ELi128ELNS_18Fp8KVCacheDataTypeE0ELb1EEEvPT_PKS2_PKT0_S8_ifPKiSA_iPKfiiiSC_SC_iiiii,@function
_ZN4vllm25paged_attention_v1_kernelIffLi120ELi32ELi128ELNS_18Fp8KVCacheDataTypeE0ELb1EEEvPT_PKS2_PKT0_S8_ifPKiSA_iPKfiiiSC_SC_iiiii: ; @_ZN4vllm25paged_attention_v1_kernelIffLi120ELi32ELi128ELNS_18Fp8KVCacheDataTypeE0ELb1EEEvPT_PKS2_PKT0_S8_ifPKiSA_iPKfiiiSC_SC_iiiii
; %bb.0:
	s_mov_b64 s[42:43], s[2:3]
	s_mov_b64 s[40:41], s[0:1]
	s_mov_b32 s10, s7
	s_add_u32 s40, s40, s9
	s_clause 0x2
	s_load_dword s9, s[4:5], 0x80
	s_load_dwordx2 s[0:1], s[4:5], 0x30
	s_load_dwordx2 s[2:3], s[4:5], 0x20
	s_addc_u32 s41, s41, 0
	s_ashr_i32 s11, s7, 31
	v_mov_b32_e32 v54, v0
	s_lshl_b64 s[12:13], s[10:11], 2
	s_mov_b32 s31, 0
	s_waitcnt lgkmcnt(0)
	s_add_u32 s0, s0, s12
	s_addc_u32 s1, s1, s13
	s_abs_i32 s7, s2
	s_abs_i32 s13, s9
	v_cvt_f32_u32_e32 v0, s7
	s_sub_i32 s12, 0, s7
	v_rcp_iflag_f32_e32 v0, v0
	v_mul_f32_e32 v0, 0x4f7ffffe, v0
	v_cvt_u32_f32_e32 v0, v0
	v_readfirstlane_b32 s11, v0
	s_mul_i32 s12, s12, s11
	s_mul_hi_u32 s12, s11, s12
	s_add_i32 s11, s11, s12
	s_xor_b32 s12, s9, s2
	s_mul_hi_u32 s11, s13, s11
	s_ashr_i32 s12, s12, 31
	s_mul_i32 s14, s11, s7
	s_sub_i32 s13, s13, s14
	s_add_i32 s14, s11, 1
	s_sub_i32 s15, s13, s7
	s_cmp_ge_u32 s13, s7
	s_cselect_b32 s11, s14, s11
	s_cselect_b32 s13, s15, s13
	s_add_i32 s14, s11, 1
	s_cmp_ge_u32 s13, s7
	s_cselect_b32 s7, s14, s11
	s_abs_i32 s22, s6
	s_xor_b32 s7, s7, s12
	s_sub_i32 s16, s7, s12
	s_load_dwordx2 s[12:13], s[4:5], 0x40
	s_abs_i32 s11, s16
	v_cvt_f32_u32_e32 v0, s11
	s_sub_i32 s14, 0, s11
	v_rcp_iflag_f32_e32 v0, v0
	v_mul_f32_e32 v0, 0x4f7ffffe, v0
	v_cvt_u32_f32_e32 v0, v0
	v_readfirstlane_b32 s7, v0
	s_mul_i32 s14, s14, s7
	s_mul_hi_u32 s14, s7, s14
	s_add_i32 s7, s7, s14
	s_waitcnt lgkmcnt(0)
	s_cmp_eq_u64 s[12:13], 0
	s_mul_hi_u32 s23, s22, s7
	s_cbranch_scc1 .LBB41_2
; %bb.1:
	s_ashr_i32 s7, s6, 31
	s_lshl_b64 s[14:15], s[6:7], 2
	s_add_u32 s12, s12, s14
	s_addc_u32 s13, s13, s15
	s_load_dword s31, s[12:13], 0x0
.LBB41_2:
	s_load_dword s28, s[0:1], 0x0
	s_load_dwordx4 s[12:15], s[4:5], 0x48
	v_lshlrev_b32_e32 v9, 4, v54
	s_ashr_i32 s0, s6, 31
	s_ashr_i32 s1, s16, 31
	s_mul_i32 s20, s6, 0x78
	s_mov_b32 s7, exec_lo
	v_cmpx_gt_u32_e32 30, v54
	s_cbranch_execz .LBB41_4
; %bb.3:
	s_load_dwordx2 s[16:17], s[4:5], 0x8
	s_waitcnt lgkmcnt(0)
	s_mul_i32 s18, s12, s10
	s_ashr_i32 s19, s18, 31
	s_lshl_b64 s[18:19], s[18:19], 2
	s_add_u32 s12, s16, s18
	s_addc_u32 s15, s17, s19
	s_ashr_i32 s21, s20, 31
	s_lshl_b64 s[16:17], s[20:21], 2
	s_add_u32 s16, s12, s16
	s_addc_u32 s17, s15, s17
	global_load_dwordx4 v[0:3], v9, s[16:17]
	s_waitcnt vmcnt(0)
	ds_write_b128 v9, v[0:3]
.LBB41_4:
	s_or_b32 exec_lo, exec_lo, s7
	s_load_dwordx4 s[16:19], s[4:5], 0x68
	s_mul_i32 s7, s23, s11
	s_xor_b32 s1, s0, s1
	s_sub_i32 s0, s22, s7
	s_add_i32 s7, s23, 1
	s_waitcnt lgkmcnt(0)
	s_sub_i32 s12, s0, s11
	s_cmp_ge_u32 s0, s11
	s_mov_b32 s24, -1
	s_cselect_b32 s7, s7, s23
	s_cselect_b32 s0, s12, s0
	s_add_i32 s12, s7, 1
	s_cmp_ge_u32 s0, s11
	s_load_dword s0, s[4:5], 0x78
	s_cselect_b32 s7, s12, s7
	s_add_i32 s11, s28, -1
	s_xor_b32 s7, s7, s1
	s_waitcnt lgkmcnt(0)
	s_sub_i32 s1, s7, s1
	s_barrier
	buffer_gl0_inv
	s_abs_i32 s12, s19
                                        ; implicit-def: $sgpr29
	v_cvt_f32_u32_e32 v0, s12
	s_sub_i32 s7, 0, s12
	v_rcp_iflag_f32_e32 v0, v0
	v_mul_f32_e32 v0, 0x4f7ffffe, v0
	v_cvt_u32_f32_e32 v0, v0
	v_readfirstlane_b32 s21, v0
	s_mul_i32 s7, s7, s21
	s_mul_hi_u32 s15, s21, s7
	s_abs_i32 s7, s11
	s_add_i32 s21, s21, s15
	s_cmp_lt_i32 s0, 0
	s_mul_hi_u32 s15, s7, s21
	s_cbranch_scc0 .LBB41_6
; %bb.5:
	s_mul_i32 s2, s16, s2
	s_mov_b32 s24, 0
	s_add_i32 s2, s1, s2
	s_mul_i32 s2, s2, s0
	s_sub_i32 s29, 1, s2
.LBB41_6:
	s_load_dwordx2 s[22:23], s[4:5], 0x28
	s_ashr_i32 s2, s11, 31
	s_andn2_b32 vcc_lo, exec_lo, s24
	s_ashr_i32 s19, s19, 31
	s_cbranch_vccnz .LBB41_8
; %bb.7:
	s_mul_i32 s11, s9, s16
	s_add_i32 s6, s11, s6
	s_mul_i32 s0, s6, s0
	s_add_i32 s29, s0, 1
.LBB41_8:
	s_load_dword s0, s[4:5], 0x38
	s_mul_i32 s6, s15, s12
	s_xor_b32 s2, s2, s19
	s_sub_i32 s30, s7, s6
	s_add_i32 s16, s15, 1
	s_clause 0x2
	s_load_dwordx2 s[6:7], s[4:5], 0x0
	s_load_dwordx2 s[26:27], s[4:5], 0x18
	s_load_dword s11, s[4:5], 0x88
	v_lshrrev_b32_e32 v127, 5, v54
	v_and_b32_e32 v0, 31, v54
	v_mov_b32_e32 v126, 0xff7fffff
	v_lshrrev_b32_e32 v10, 3, v54
	s_mul_i32 s14, s1, s14
	buffer_store_dword v0, off, s[40:43], 0 offset:180 ; 4-byte Folded Spill
	v_lshlrev_b32_e32 v11, 2, v0
	v_lshlrev_b32_e32 v0, 5, v127
	buffer_store_dword v0, off, s[40:43], 0 ; 4-byte Folded Spill
	s_waitcnt lgkmcnt(0)
	s_mul_i32 s24, s0, s10
	s_sub_i32 s0, s30, s12
	s_ashr_i32 s25, s24, 31
	s_cmp_ge_u32 s30, s12
	s_cselect_b32 s15, s16, s15
	s_cselect_b32 s0, s0, s30
	s_add_i32 s16, s15, 1
	s_cmp_ge_u32 s0, s12
	s_cselect_b32 s0, s16, s15
	s_add_i32 s15, s28, 31
	s_ashr_i32 s16, s15, 31
	s_lshr_b32 s16, s16, 27
	s_add_i32 s15, s15, s16
	s_ashr_i32 s16, s15, 5
	s_xor_b32 s15, s0, s2
	v_cmp_gt_i32_e64 s0, s16, v127
	s_sub_i32 s30, s15, s2
	s_mov_b32 s33, exec_lo
	s_and_b32 s1, s33, s0
	buffer_store_dword v54, off, s[40:43], 0 offset:196 ; 4-byte Folded Spill
	buffer_store_dword v127, off, s[40:43], 0 offset:200 ; 4-byte Folded Spill
	s_mov_b32 exec_lo, s1
	s_cbranch_execz .LBB41_16
; %bb.9:
	buffer_load_dword v2, off, s[40:43], 0 offset:180 ; 4-byte Folded Reload
	s_load_dwordx2 s[34:35], s[4:5], 0x10
	v_mov_b32_e32 v1, 0
	s_ashr_i32 s15, s14, 31
	s_sub_i32 s4, s30, s17
	s_lshl_b64 s[36:37], s[14:15], 2
	buffer_store_dword v9, off, s[40:43], 0 offset:80 ; 4-byte Folded Spill
	ds_read_b128 v[3:6], v1
	v_cmp_neq_f32_e64 vcc_lo, s31, 0
	v_mov_b32_e32 v126, 0xff7fffff
	s_mov_b32 s5, s13
	s_mov_b32 s15, 0
	s_waitcnt lgkmcnt(0)
	s_add_u32 s1, s34, s36
	s_addc_u32 s2, s35, s37
	s_abs_i32 s34, s18
	s_lshl_b64 s[36:37], s[24:25], 2
	s_waitcnt vmcnt(0)
	v_lshlrev_b32_e32 v0, 4, v2
	v_add_co_u32 v0, s1, s1, v0
	buffer_store_dword v0, off, s[40:43], 0 offset:4 ; 4-byte Folded Spill
	v_add_co_ci_u32_e64 v0, null, s2, 0, s1
	s_sub_i32 s1, 0, s34
	buffer_store_dword v0, off, s[40:43], 0 offset:20 ; 4-byte Folded Spill
	buffer_store_dword v3, off, s[40:43], 0 offset:24 ; 4-byte Folded Spill
	;; [unrolled: 1-line block ×5, first 2 shown]
	ds_read_b128 v[3:6], v1 offset:16
	v_cvt_f32_u32_e32 v0, s34
	s_waitcnt lgkmcnt(0)
	buffer_store_dword v3, off, s[40:43], 0 offset:40 ; 4-byte Folded Spill
	buffer_store_dword v4, off, s[40:43], 0 offset:44 ; 4-byte Folded Spill
	;; [unrolled: 1-line block ×4, first 2 shown]
	ds_read_b128 v[3:6], v1 offset:32
	v_rcp_iflag_f32_e32 v0, v0
	s_waitcnt lgkmcnt(0)
	buffer_store_dword v3, off, s[40:43], 0 offset:56 ; 4-byte Folded Spill
	buffer_store_dword v4, off, s[40:43], 0 offset:60 ; 4-byte Folded Spill
	;; [unrolled: 1-line block ×4, first 2 shown]
	v_mul_f32_e32 v0, 0x4f7ffffe, v0
	ds_read_b128 v[13:16], v1 offset:48
	ds_read_b128 v[17:20], v1 offset:64
	;; [unrolled: 1-line block ×27, first 2 shown]
	buffer_store_dword v10, off, s[40:43], 0 offset:84 ; 4-byte Folded Spill
	v_cvt_u32_f32_e32 v0, v0
	v_mul_lo_u32 v1, s1, v0
	s_add_u32 s1, s22, s36
	s_addc_u32 s2, s23, s37
	v_mul_hi_u32 v1, v0, v1
	v_add_nc_u32_e32 v5, v0, v1
	v_and_b32_e32 v0, 0x7c, v10
	v_mov_b32_e32 v1, v127
	v_add_co_u32 v121, s1, s1, v0
	v_subrev_nc_u32_e32 v0, s28, v2
	v_add_co_ci_u32_e64 v122, null, s2, 0, s1
	v_lshlrev_b32_e32 v127, 5, v1
	v_add_nc_u32_e32 v0, 1, v0
	buffer_store_dword v0, off, s[40:43], 0 offset:76 ; 4-byte Folded Spill
	buffer_store_dword v11, off, s[40:43], 0 offset:88 ; 4-byte Folded Spill
	v_lshl_or_b32 v0, v1, 7, v11
	buffer_store_dword v5, off, s[40:43], 0 offset:72 ; 4-byte Folded Spill
	v_add_nc_u32_e32 v125, 0x200, v0
	v_mov_b32_e32 v0, v1
	s_branch .LBB41_11
.LBB41_10:                              ;   in Loop: Header=BB41_11 Depth=1
	s_or_b32 exec_lo, exec_lo, s2
	v_add_nc_u32_e32 v0, 4, v0
	v_add_co_u32 v121, s1, v121, 16
	v_add_co_ci_u32_e64 v122, null, 0, v122, s1
	v_cmp_le_i32_e64 s1, s16, v0
	v_add_nc_u32_e32 v127, 0x80, v127
	v_add_nc_u32_e32 v125, 0x200, v125
	s_or_b32 s15, s1, s15
	s_andn2_b32 exec_lo, exec_lo, s15
	s_cbranch_execz .LBB41_15
.LBB41_11:                              ; =>This Inner Loop Header: Depth=1
	v_mul_hi_u32 v1, v127, s21
	v_mul_lo_u32 v2, v1, s12
	v_add_nc_u32_e32 v3, 1, v1
	v_sub_nc_u32_e32 v2, v127, v2
	v_subrev_nc_u32_e32 v4, s12, v2
	v_cmp_le_u32_e64 s1, s12, v2
	v_cndmask_b32_e64 v1, v1, v3, s1
	v_cndmask_b32_e64 v2, v2, v4, s1
	v_add_nc_u32_e32 v3, 1, v1
	v_cmp_le_u32_e64 s1, s12, v2
	v_cndmask_b32_e64 v1, v1, v3, s1
	v_xor_b32_e32 v1, s19, v1
	v_subrev_nc_u32_e32 v1, s19, v1
	v_add_nc_u32_e32 v2, s29, v1
	v_cmp_ge_i32_e64 s2, s4, v1
	v_sub_nc_u32_e32 v3, 0, v2
	v_max_i32_e32 v3, v2, v3
	v_ashrrev_i32_e32 v2, 31, v2
	v_mul_hi_u32 v4, v3, v5
	v_mul_lo_u32 v4, v4, s34
	v_sub_nc_u32_e32 v3, v3, v4
	v_subrev_nc_u32_e32 v4, s34, v3
	v_cmp_le_u32_e64 s1, s34, v3
	v_cndmask_b32_e64 v3, v3, v4, s1
	v_subrev_nc_u32_e32 v4, s34, v3
	v_cmp_le_u32_e64 s1, s34, v3
	v_cndmask_b32_e64 v3, v3, v4, s1
	v_xor_b32_e32 v3, v3, v2
	v_sub_nc_u32_e32 v2, v3, v2
	v_cmp_ne_u32_e64 s1, 0, v2
	s_and_b32 s1, s1, s2
	s_and_saveexec_b32 s2, s1
	s_xor_b32 s1, exec_lo, s2
; %bb.12:                               ;   in Loop: Header=BB41_11 Depth=1
	v_mov_b32_e32 v1, 0xff7fffff
	ds_write_b32 v125, v1
; %bb.13:                               ;   in Loop: Header=BB41_11 Depth=1
	s_andn2_saveexec_b32 s2, s1
	s_cbranch_execz .LBB41_10
; %bb.14:                               ;   in Loop: Header=BB41_11 Depth=1
	global_load_dword v1, v[121:122], off
	buffer_load_dword v3, off, s[40:43], 0 offset:4 ; 4-byte Folded Reload
	s_waitcnt vmcnt(1)
	v_mad_i64_i32 v[1:2], null, v1, s5, 0
	v_lshlrev_b64 v[1:2], 2, v[1:2]
	s_waitcnt vmcnt(0)
	v_add_co_u32 v123, s1, v3, v1
	buffer_load_dword v1, off, s[40:43], 0 offset:20 ; 4-byte Folded Reload
	s_waitcnt vmcnt(0)
	v_add_co_ci_u32_e64 v124, null, v1, v2, s1
	global_load_dwordx4 v[5:8], v[123:124], off offset:512
	s_clause 0x3
	buffer_load_dword v9, off, s[40:43], 0 offset:40
	buffer_load_dword v10, off, s[40:43], 0 offset:44
	;; [unrolled: 1-line block ×4, first 2 shown]
	s_waitcnt vmcnt(3)
	v_mul_f32_e32 v2, v9, v5
	s_waitcnt vmcnt(2)
	v_mul_f32_e32 v3, v10, v6
	;; [unrolled: 2-line block ×4, first 2 shown]
	global_load_dwordx4 v[5:8], v[123:124], off
	s_clause 0x3
	buffer_load_dword v9, off, s[40:43], 0 offset:24
	buffer_load_dword v10, off, s[40:43], 0 offset:28
	;; [unrolled: 1-line block ×4, first 2 shown]
	s_waitcnt vmcnt(3)
	v_fmac_f32_e32 v2, v9, v5
	s_waitcnt vmcnt(2)
	v_fmac_f32_e32 v3, v10, v6
	;; [unrolled: 2-line block ×4, first 2 shown]
	global_load_dwordx4 v[5:8], v[123:124], off offset:1024
	s_clause 0x3
	buffer_load_dword v9, off, s[40:43], 0 offset:56
	buffer_load_dword v10, off, s[40:43], 0 offset:60
	;; [unrolled: 1-line block ×4, first 2 shown]
	s_waitcnt vmcnt(3)
	v_fmac_f32_e32 v2, v9, v5
	s_waitcnt vmcnt(2)
	v_fmac_f32_e32 v3, v10, v6
	;; [unrolled: 2-line block ×4, first 2 shown]
	global_load_dwordx4 v[5:8], v[123:124], off offset:1536
	v_add_co_u32 v9, s1, v123, 0x1000
	v_add_co_ci_u32_e64 v10, null, 0, v124, s1
	v_add_co_u32 v11, s1, 0x800, v123
	v_add_co_ci_u32_e64 v12, null, 0, v124, s1
	s_waitcnt vmcnt(0) lgkmcnt(26)
	v_fmac_f32_e32 v2, v13, v5
	v_fmac_f32_e32 v3, v14, v6
	v_fmac_f32_e32 v4, v15, v7
	v_fmac_f32_e32 v1, v16, v8
	global_load_dwordx4 v[5:8], v[9:10], off offset:-2048
	s_waitcnt vmcnt(0) lgkmcnt(25)
	v_fmac_f32_e32 v2, v17, v5
	v_fmac_f32_e32 v3, v18, v6
	v_fmac_f32_e32 v4, v19, v7
	v_fmac_f32_e32 v1, v20, v8
	global_load_dwordx4 v[5:8], v[11:12], off offset:512
	s_waitcnt vmcnt(0) lgkmcnt(24)
	v_fmac_f32_e32 v2, v21, v5
	v_fmac_f32_e32 v3, v22, v6
	v_fmac_f32_e32 v4, v23, v7
	v_fmac_f32_e32 v1, v24, v8
	global_load_dwordx4 v[5:8], v[11:12], off offset:1024
	s_waitcnt vmcnt(0) lgkmcnt(23)
	v_fmac_f32_e32 v2, v25, v5
	v_fmac_f32_e32 v3, v26, v6
	v_fmac_f32_e32 v4, v27, v7
	v_fmac_f32_e32 v1, v28, v8
	global_load_dwordx4 v[5:8], v[11:12], off offset:1536
	s_waitcnt vmcnt(0) lgkmcnt(22)
	v_fmac_f32_e32 v2, v29, v5
	v_fmac_f32_e32 v3, v30, v6
	v_fmac_f32_e32 v4, v31, v7
	v_fmac_f32_e32 v1, v32, v8
	global_load_dwordx4 v[5:8], v[9:10], off
	v_add_co_u32 v9, s1, 0x1000, v123
	v_add_co_ci_u32_e64 v10, null, 0, v124, s1
	s_waitcnt vmcnt(0) lgkmcnt(21)
	v_fmac_f32_e32 v2, v33, v5
	v_fmac_f32_e32 v3, v34, v6
	v_fmac_f32_e32 v4, v35, v7
	v_fmac_f32_e32 v1, v36, v8
	global_load_dwordx4 v[5:8], v[9:10], off offset:512
	s_waitcnt vmcnt(0) lgkmcnt(20)
	v_fmac_f32_e32 v2, v37, v5
	v_fmac_f32_e32 v3, v38, v6
	v_fmac_f32_e32 v4, v39, v7
	v_fmac_f32_e32 v1, v40, v8
	global_load_dwordx4 v[5:8], v[9:10], off offset:1024
	s_waitcnt vmcnt(0) lgkmcnt(19)
	v_fmac_f32_e32 v2, v41, v5
	v_fmac_f32_e32 v3, v42, v6
	v_fmac_f32_e32 v4, v43, v7
	v_fmac_f32_e32 v1, v44, v8
	global_load_dwordx4 v[5:8], v[9:10], off offset:1536
	v_add_co_u32 v9, s1, v123, 0x2000
	v_add_co_ci_u32_e64 v10, null, 0, v124, s1
	v_add_co_u32 v11, s1, 0x1800, v123
	v_add_co_ci_u32_e64 v12, null, 0, v124, s1
	s_waitcnt vmcnt(0) lgkmcnt(18)
	v_fmac_f32_e32 v2, v45, v5
	v_fmac_f32_e32 v3, v46, v6
	v_fmac_f32_e32 v4, v47, v7
	v_fmac_f32_e32 v1, v48, v8
	global_load_dwordx4 v[5:8], v[9:10], off offset:-2048
	s_waitcnt vmcnt(0) lgkmcnt(17)
	v_fmac_f32_e32 v2, v49, v5
	v_fmac_f32_e32 v3, v50, v6
	v_fmac_f32_e32 v4, v51, v7
	v_fmac_f32_e32 v1, v52, v8
	global_load_dwordx4 v[5:8], v[11:12], off offset:512
	s_waitcnt vmcnt(0) lgkmcnt(16)
	v_fmac_f32_e32 v2, v53, v5
	v_fmac_f32_e32 v3, v54, v6
	v_fmac_f32_e32 v4, v55, v7
	v_fmac_f32_e32 v1, v56, v8
	global_load_dwordx4 v[5:8], v[11:12], off offset:1024
	s_waitcnt vmcnt(0) lgkmcnt(15)
	v_fmac_f32_e32 v2, v57, v5
	v_fmac_f32_e32 v3, v58, v6
	v_fmac_f32_e32 v4, v59, v7
	v_fmac_f32_e32 v1, v60, v8
	global_load_dwordx4 v[5:8], v[11:12], off offset:1536
	s_waitcnt vmcnt(0) lgkmcnt(14)
	v_fmac_f32_e32 v2, v61, v5
	v_fmac_f32_e32 v3, v62, v6
	v_fmac_f32_e32 v4, v63, v7
	v_fmac_f32_e32 v1, v64, v8
	global_load_dwordx4 v[5:8], v[9:10], off
	v_add_co_u32 v9, s1, 0x2000, v123
	v_add_co_ci_u32_e64 v10, null, 0, v124, s1
	s_waitcnt vmcnt(0) lgkmcnt(13)
	v_fmac_f32_e32 v2, v65, v5
	v_fmac_f32_e32 v3, v66, v6
	v_fmac_f32_e32 v4, v67, v7
	v_fmac_f32_e32 v1, v68, v8
	global_load_dwordx4 v[5:8], v[9:10], off offset:512
	s_waitcnt vmcnt(0) lgkmcnt(12)
	v_fmac_f32_e32 v2, v69, v5
	v_fmac_f32_e32 v3, v70, v6
	v_fmac_f32_e32 v4, v71, v7
	v_fmac_f32_e32 v1, v72, v8
	global_load_dwordx4 v[5:8], v[9:10], off offset:1024
	s_waitcnt vmcnt(0) lgkmcnt(11)
	v_fmac_f32_e32 v2, v73, v5
	v_fmac_f32_e32 v3, v74, v6
	v_fmac_f32_e32 v4, v75, v7
	v_fmac_f32_e32 v1, v76, v8
	;; [unrolled: 54-line block ×3, first 2 shown]
	global_load_dwordx4 v[5:8], v[9:10], off offset:1536
	v_add_co_u32 v9, s1, 0x3800, v123
	v_add_co_ci_u32_e64 v10, null, 0, v124, s1
	s_waitcnt vmcnt(0) lgkmcnt(2)
	v_fmac_f32_e32 v2, v109, v5
	v_fmac_f32_e32 v3, v110, v6
	;; [unrolled: 1-line block ×4, first 2 shown]
	global_load_dwordx4 v[5:8], v[9:10], off
	s_waitcnt vmcnt(0) lgkmcnt(1)
	v_fmac_f32_e32 v2, v113, v5
	v_fmac_f32_e32 v3, v114, v6
	;; [unrolled: 1-line block ×4, first 2 shown]
	global_load_dwordx4 v[5:8], v[9:10], off offset:512
	s_waitcnt vmcnt(0) lgkmcnt(0)
	v_fmac_f32_e32 v2, v117, v5
	v_fmac_f32_e32 v3, v118, v6
	;; [unrolled: 1-line block ×4, first 2 shown]
	buffer_load_dword v5, off, s[40:43], 0 offset:72 ; 4-byte Folded Reload
	v_add_f32_e32 v2, v2, v3
	buffer_load_dword v3, off, s[40:43], 0 offset:180 ; 4-byte Folded Reload
	v_add_f32_e32 v2, v4, v2
	v_add_f32_e32 v1, v1, v2
	buffer_load_dword v2, off, s[40:43], 0 offset:76 ; 4-byte Folded Reload
	s_waitcnt vmcnt(1)
	v_add_nc_u32_e32 v3, v3, v127
	v_cmp_gt_i32_e64 s1, s28, v3
	s_waitcnt vmcnt(0)
	v_add_nc_u32_e32 v2, v2, v127
	v_cvt_f32_i32_e32 v2, v2
	v_mul_f32_e32 v2, s31, v2
	v_cndmask_b32_e32 v2, 0, v2, vcc_lo
	v_fmac_f32_e32 v2, s3, v1
	v_max_f32_e32 v1, v126, v126
	v_max_f32_e32 v1, v1, v2
	v_cndmask_b32_e64 v126, v126, v1, s1
	v_cndmask_b32_e64 v1, 0, v2, s1
	ds_write_b32 v125, v1
	s_branch .LBB41_10
.LBB41_15:
	s_or_b32 exec_lo, exec_lo, s15
	s_waitcnt lgkmcnt(16)
	s_clause 0x4
	buffer_load_dword v54, off, s[40:43], 0 offset:196
	buffer_load_dword v127, off, s[40:43], 0 offset:200
	buffer_load_dword v9, off, s[40:43], 0 offset:80
	buffer_load_dword v10, off, s[40:43], 0 offset:84
	buffer_load_dword v11, off, s[40:43], 0 offset:88
.LBB41_16:
	s_or_b32 exec_lo, exec_lo, s33
	v_mbcnt_lo_u32_b32 v1, -1, 0
	v_max_f32_e32 v4, v126, v126
	v_xor_b32_e32 v0, 16, v1
	v_xor_b32_e32 v3, 8, v1
	v_cmp_gt_i32_e32 vcc_lo, 32, v0
	v_cndmask_b32_e32 v0, v1, v0, vcc_lo
	v_cmp_gt_i32_e32 vcc_lo, 32, v3
	v_lshlrev_b32_e32 v0, 2, v0
	v_cndmask_b32_e32 v3, v1, v3, vcc_lo
	ds_bpermute_b32 v2, v0, v126
	s_waitcnt lgkmcnt(0)
	v_max_f32_e32 v5, v2, v2
	v_lshlrev_b32_e32 v2, 2, v3
	v_max_f32_e32 v3, v4, v5
	v_xor_b32_e32 v5, 4, v1
	ds_bpermute_b32 v4, v2, v3
	v_cmp_gt_i32_e32 vcc_lo, 32, v5
	v_cndmask_b32_e32 v5, v1, v5, vcc_lo
	v_lshlrev_b32_e32 v37, 2, v5
	v_xor_b32_e32 v5, 2, v1
	v_cmp_gt_i32_e32 vcc_lo, 32, v5
	s_waitcnt lgkmcnt(0)
	v_max_f32_e32 v4, v4, v4
	v_cndmask_b32_e32 v5, v1, v5, vcc_lo
	v_max_f32_e32 v3, v3, v4
	v_lshlrev_b32_e32 v46, 2, v5
	v_xor_b32_e32 v5, 1, v1
	ds_bpermute_b32 v4, v37, v3
	v_cmp_gt_i32_e32 vcc_lo, 32, v5
	v_cndmask_b32_e32 v5, v1, v5, vcc_lo
	v_lshlrev_b32_e32 v53, 2, v5
	s_waitcnt lgkmcnt(0)
	v_max_f32_e32 v4, v4, v4
	v_max_f32_e32 v3, v3, v4
	ds_bpermute_b32 v4, v46, v3
	s_waitcnt lgkmcnt(0)
	v_max_f32_e32 v4, v4, v4
	v_max_f32_e32 v1, v3, v4
	buffer_load_dword v3, off, s[40:43], 0 offset:180 ; 4-byte Folded Reload
	ds_bpermute_b32 v4, v53, v1
	s_waitcnt vmcnt(0)
	v_cmp_eq_u32_e32 vcc_lo, 0, v3
	v_lshlrev_b32_e32 v3, 2, v127
	s_and_saveexec_b32 s1, vcc_lo
	s_cbranch_execz .LBB41_18
; %bb.17:
	s_waitcnt lgkmcnt(0)
	v_max_f32_e32 v4, v4, v4
	v_max_f32_e32 v1, v1, v1
	v_max_f32_e32 v1, v1, v4
	ds_write_b32 v3, v1 offset:480
.LBB41_18:
	s_or_b32 exec_lo, exec_lo, s1
	buffer_load_dword v1, off, s[40:43], 0 offset:180 ; 4-byte Folded Reload
	s_waitcnt vmcnt(0) lgkmcnt(0)
	s_waitcnt_vscnt null, 0x0
	s_barrier
	buffer_gl0_inv
	v_cmp_gt_u32_e64 s1, 4, v1
	v_mov_b32_e32 v1, 0xff7fffff
	s_and_saveexec_b32 s2, s1
; %bb.19:
	ds_read_b32 v1, v11 offset:480
; %bb.20:
	s_or_b32 exec_lo, exec_lo, s2
	s_waitcnt lgkmcnt(0)
	ds_bpermute_b32 v4, v46, v1
	v_max_f32_e32 v1, v1, v1
	s_lshl_b32 s2, s16, 5
	s_min_i32 s4, s2, s28
	v_cmp_gt_i32_e64 s2, s4, v54
	s_waitcnt lgkmcnt(0)
	v_max_f32_e32 v4, v4, v4
	v_max_f32_e32 v1, v1, v4
	ds_bpermute_b32 v4, v53, v1
	s_waitcnt lgkmcnt(0)
	v_max_f32_e32 v4, v4, v4
	v_max_f32_e32 v1, v1, v4
	v_mov_b32_e32 v4, 0
	ds_bpermute_b32 v5, v4, v1
	v_lshl_add_u32 v1, v54, 2, 0x200
	s_and_saveexec_b32 s5, s2
	s_cbranch_execz .LBB41_24
; %bb.21:
	v_lshl_add_u32 v6, v54, 2, 0x200
	v_mov_b32_e32 v4, 0
	v_mov_b32_e32 v7, v54
	s_mov_b32 s15, 0
	.p2align	6
.LBB41_22:                              ; =>This Inner Loop Header: Depth=1
	ds_read_b32 v8, v6
	v_add_nc_u32_e32 v7, 0x80, v7
	v_cmp_le_i32_e64 s3, s4, v7
	s_or_b32 s15, s3, s15
	s_waitcnt lgkmcnt(0)
	v_sub_f32_e32 v8, v8, v5
	v_mul_f32_e32 v8, 0x3fb8aa3b, v8
	v_exp_f32_e32 v8, v8
	ds_write_b32 v6, v8
	v_add_f32_e32 v4, v4, v8
	v_add_nc_u32_e32 v6, 0x200, v6
	s_andn2_b32 exec_lo, exec_lo, s15
	s_cbranch_execnz .LBB41_22
; %bb.23:
	s_or_b32 exec_lo, exec_lo, s15
.LBB41_24:
	s_or_b32 exec_lo, exec_lo, s5
	ds_bpermute_b32 v0, v0, v4
	s_waitcnt lgkmcnt(0)
	v_add_f32_e32 v0, v4, v0
	ds_bpermute_b32 v2, v2, v0
	s_waitcnt lgkmcnt(0)
	v_add_f32_e32 v0, v0, v2
	;; [unrolled: 3-line block ×5, first 2 shown]
	s_and_saveexec_b32 s3, vcc_lo
; %bb.25:
	ds_write_b32 v3, v0 offset:496
; %bb.26:
	s_or_b32 exec_lo, exec_lo, s3
	s_waitcnt lgkmcnt(0)
	s_barrier
	buffer_gl0_inv
	s_and_saveexec_b32 s3, s1
; %bb.27:
	ds_read_b32 v0, v11 offset:496
; %bb.28:
	s_or_b32 exec_lo, exec_lo, s3
	s_waitcnt lgkmcnt(0)
	ds_bpermute_b32 v2, v46, v0
	s_waitcnt lgkmcnt(0)
	v_add_f32_e32 v0, v0, v2
	ds_bpermute_b32 v2, v53, v0
	s_waitcnt lgkmcnt(0)
	v_add_f32_e32 v0, v0, v2
	v_mov_b32_e32 v2, 0
	ds_bpermute_b32 v0, v2, v0
	s_and_saveexec_b32 s1, s2
	s_cbranch_execz .LBB41_31
; %bb.29:
	s_waitcnt lgkmcnt(0)
	v_add_f32_e32 v0, 0x358637bd, v0
	s_mov_b32 s2, 0
	v_div_scale_f32 v2, null, v0, v0, 1.0
	v_div_scale_f32 v5, vcc_lo, 1.0, v0, 1.0
	v_rcp_f32_e32 v3, v2
	v_fma_f32 v4, -v2, v3, 1.0
	v_fmac_f32_e32 v3, v4, v3
	v_mul_f32_e32 v4, v5, v3
	v_fma_f32 v6, -v2, v4, v5
	v_fmac_f32_e32 v4, v6, v3
	v_fma_f32 v2, -v2, v4, v5
	v_div_fmas_f32 v2, v2, v3, v4
	v_div_fixup_f32 v0, v2, v0, 1.0
	v_mov_b32_e32 v2, v54
.LBB41_30:                              ; =>This Inner Loop Header: Depth=1
	ds_read_b32 v3, v1
	v_add_nc_u32_e32 v2, 0x80, v2
	v_cmp_le_i32_e32 vcc_lo, s4, v2
	s_or_b32 s2, vcc_lo, s2
	s_waitcnt lgkmcnt(0)
	v_mul_f32_e32 v3, v0, v3
	ds_write_b32 v1, v3
	v_add_nc_u32_e32 v1, 0x200, v1
	s_andn2_b32 exec_lo, exec_lo, s2
	s_cbranch_execnz .LBB41_30
.LBB41_31:
	s_or_b32 exec_lo, exec_lo, s1
	v_mov_b32_e32 v20, 0
	v_and_b32_e32 v55, 7, v54
	v_mov_b32_e32 v22, 0
	v_mov_b32_e32 v17, 0
	;; [unrolled: 1-line block ×29, first 2 shown]
	s_waitcnt lgkmcnt(0)
	s_barrier
	buffer_gl0_inv
	s_and_saveexec_b32 s1, s0
	s_cbranch_execz .LBB41_97
; %bb.32:
	s_ashr_i32 s15, s14, 31
	s_sub_i32 s2, s30, s17
	s_lshl_b64 s[4:5], s[14:15], 2
	v_lshlrev_b32_e32 v0, 2, v54
	s_add_u32 s0, s26, s4
	s_addc_u32 s5, s27, s5
	s_abs_i32 s3, s18
	v_and_b32_e32 v2, 0x1f0, v9
	v_cvt_f32_u32_e32 v1, s3
	v_and_b32_e32 v0, 28, v0
	v_and_b32_e32 v3, 0x7c, v10
	s_sub_i32 s4, 0, s3
	v_add_co_u32 v2, s0, s0, v2
	v_rcp_iflag_f32_e32 v1, v1
	s_lshl_b64 s[14:15], s[24:25], 2
	buffer_store_dword v37, off, s[40:43], 0 offset:212 ; 4-byte Folded Spill
	buffer_store_dword v46, off, s[40:43], 0 offset:208 ; 4-byte Folded Spill
	;; [unrolled: 1-line block ×5, first 2 shown]
	v_add_co_ci_u32_e64 v2, null, s5, 0, s0
	v_mov_b32_e32 v5, 0
	v_lshlrev_b32_e32 v4, 4, v55
	v_mov_b32_e32 v47, 0
	v_mul_f32_e32 v1, 0x4f7ffffe, v1
	buffer_store_dword v2, off, s[40:43], 0 offset:192 ; 4-byte Folded Spill
	buffer_store_dword v5, off, s[40:43], 0 offset:20 ; 4-byte Folded Spill
	v_mov_b32_e32 v5, 0
	v_lshl_or_b32 v4, v127, 7, v4
	v_cvt_u32_f32_e32 v1, v1
	v_mov_b32_e32 v8, 0
	v_mov_b32_e32 v7, 0
	buffer_store_dword v5, off, s[40:43], 0 offset:24 ; 4-byte Folded Spill
	v_mov_b32_e32 v5, 0
	v_mul_lo_u32 v0, s4, v1
	s_add_i32 s4, s16, -1
	s_add_u32 s0, s22, s14
	s_addc_u32 s5, s23, s15
	v_add_co_u32 v125, s0, s0, v3
	buffer_load_dword v3, off, s[40:43], 0  ; 4-byte Folded Reload
	buffer_store_dword v5, off, s[40:43], 0 offset:40 ; 4-byte Folded Spill
	v_mov_b32_e32 v5, 0
	v_mul_hi_u32 v2, v1, v0
	v_add_nc_u32_e32 v0, 0x200, v4
	v_add_co_ci_u32_e64 v126, null, s5, 0, s0
	buffer_store_dword v5, off, s[40:43], 0 offset:56 ; 4-byte Folded Spill
	v_mov_b32_e32 v5, 0
	v_mov_b32_e32 v6, 0
	;; [unrolled: 1-line block ×3, first 2 shown]
	v_add_nc_u32_e32 v1, v1, v2
	v_mov_b32_e32 v19, 0
	buffer_store_dword v5, off, s[40:43], 0 offset:72 ; 4-byte Folded Spill
	v_mov_b32_e32 v5, 0
	v_mov_b32_e32 v17, 0
	buffer_store_dword v1, off, s[40:43], 0 offset:136 ; 4-byte Folded Spill
	v_mov_b32_e32 v1, 0
	;; [unrolled: 3-line block ×4, first 2 shown]
	s_mov_b32 s5, 0
	buffer_store_dword v5, off, s[40:43], 0 offset:80 ; 4-byte Folded Spill
	v_mov_b32_e32 v5, 0
	buffer_store_dword v55, off, s[40:43], 0 offset:216 ; 4-byte Folded Spill
	buffer_store_dword v1, off, s[40:43], 0 offset:120 ; 4-byte Folded Spill
	v_mov_b32_e32 v1, 0
	buffer_store_dword v5, off, s[40:43], 0 offset:84 ; 4-byte Folded Spill
	v_mov_b32_e32 v5, 0
	;; [unrolled: 2-line block ×6, first 2 shown]
	buffer_store_dword v1, off, s[40:43], 0 offset:132 ; 4-byte Folded Spill
	buffer_store_dword v5, off, s[40:43], 0 offset:96 ; 4-byte Folded Spill
	v_mov_b32_e32 v5, 0
	buffer_store_dword v5, off, s[40:43], 0 offset:100 ; 4-byte Folded Spill
	v_mov_b32_e32 v5, 0
	;; [unrolled: 2-line block ×5, first 2 shown]
	s_branch .LBB41_35
.LBB41_33:                              ;   in Loop: Header=BB41_35 Depth=1
	s_or_b32 exec_lo, exec_lo, s0
	s_waitcnt vmcnt(5) lgkmcnt(0)
	v_mul_f32_e32 v105, v1, v105
	v_mul_f32_e32 v9, v1, v9
	s_waitcnt vmcnt(4)
	v_mul_f32_e32 v8, v1, v109
	s_waitcnt vmcnt(1)
	v_mul_f32_e32 v5, v1, v121
	v_mul_f32_e32 v45, v1, v45
	v_fmac_f32_e32 v105, v2, v106
	v_fmac_f32_e32 v9, v2, v10
	v_mul_f32_e32 v6, v1, v117
	v_fmac_f32_e32 v5, v2, v122
	v_fmac_f32_e32 v45, v2, v46
	;; [unrolled: 1-line block ×8, first 2 shown]
	s_clause 0x5
	buffer_load_dword v106, off, s[40:43], 0 offset:4
	buffer_load_dword v107, off, s[40:43], 0 offset:8
	buffer_load_dword v108, off, s[40:43], 0 offset:12
	buffer_load_dword v109, off, s[40:43], 0 offset:16
	buffer_load_dword v11, off, s[40:43], 0 offset:20
	buffer_load_dword v47, off, s[40:43], 0 offset:140
	v_fmac_f32_e32 v5, v4, v124
	v_fmac_f32_e32 v6, v3, v119
	v_mul_f32_e32 v17, v1, v17
	v_mul_f32_e32 v7, v1, v113
	v_fmac_f32_e32 v8, v2, v110
	v_mul_f32_e32 v101, v1, v101
	v_fmac_f32_e32 v6, v4, v120
	v_fmac_f32_e32 v17, v2, v18
	;; [unrolled: 1-line block ×5, first 2 shown]
	v_mul_f32_e32 v97, v1, v97
	v_fmac_f32_e32 v17, v3, v19
	v_fmac_f32_e32 v7, v3, v115
	;; [unrolled: 1-line block ×7, first 2 shown]
	v_mul_f32_e32 v93, v1, v93
	v_fmac_f32_e32 v101, v4, v104
	v_fmac_f32_e32 v97, v3, v99
	v_mul_f32_e32 v89, v1, v89
	v_mul_f32_e32 v21, v1, v21
	v_fmac_f32_e32 v93, v2, v94
	v_mul_f32_e32 v85, v1, v85
	v_fmac_f32_e32 v97, v4, v100
	v_fmac_f32_e32 v89, v2, v90
	;; [unrolled: 1-line block ×5, first 2 shown]
	v_mul_f32_e32 v77, v1, v77
	v_fmac_f32_e32 v89, v3, v91
	v_mul_f32_e32 v73, v1, v73
	v_fmac_f32_e32 v93, v4, v96
	v_fmac_f32_e32 v85, v3, v87
	;; [unrolled: 1-line block ×5, first 2 shown]
	v_mul_f32_e32 v69, v1, v69
	v_fmac_f32_e32 v85, v4, v88
	v_fmac_f32_e32 v77, v3, v79
	v_mul_f32_e32 v65, v1, v65
	v_fmac_f32_e32 v73, v3, v75
	v_fmac_f32_e32 v69, v2, v70
	;; [unrolled: 3-line block ×3, first 2 shown]
	v_fmac_f32_e32 v73, v4, v76
	v_fmac_f32_e32 v69, v3, v71
	;; [unrolled: 1-line block ×3, first 2 shown]
	v_mul_f32_e32 v57, v1, v57
	v_fmac_f32_e32 v65, v3, v67
	v_mul_f32_e32 v53, v1, v53
	v_fmac_f32_e32 v69, v4, v72
	v_fmac_f32_e32 v61, v3, v63
	;; [unrolled: 1-line block ×5, first 2 shown]
	v_mul_f32_e32 v49, v1, v49
	v_fmac_f32_e32 v61, v4, v64
	v_fmac_f32_e32 v57, v3, v59
	;; [unrolled: 1-line block ×5, first 2 shown]
	v_mul_f32_e32 v41, v1, v41
	v_fmac_f32_e32 v57, v4, v60
	v_mul_f32_e32 v37, v1, v37
	v_fmac_f32_e32 v53, v4, v56
	v_fmac_f32_e32 v49, v3, v51
	;; [unrolled: 1-line block ×3, first 2 shown]
	v_mul_f32_e32 v33, v1, v33
	v_mul_f32_e32 v29, v1, v29
	;; [unrolled: 1-line block ×3, first 2 shown]
	v_fmac_f32_e32 v49, v4, v52
	v_fmac_f32_e32 v41, v3, v43
	v_mul_f32_e32 v13, v1, v13
	v_fmac_f32_e32 v37, v2, v38
	v_fmac_f32_e32 v33, v2, v34
	;; [unrolled: 1-line block ×19, first 2 shown]
	s_clause 0x3
	buffer_load_dword v18, off, s[40:43], 0 offset:160
	buffer_load_dword v19, off, s[40:43], 0 offset:164
	;; [unrolled: 1-line block ×4, first 2 shown]
	s_waitcnt vmcnt(9)
	v_mul_f32_e32 v10, v1, v106
	v_mul_f32_e32 v1, v1, v81
	s_waitcnt vmcnt(5)
	v_add_f32_e32 v11, v11, v5
	buffer_load_dword v5, off, s[40:43], 0 offset:24 ; 4-byte Folded Reload
	v_fmac_f32_e32 v10, v2, v107
	v_fmac_f32_e32 v1, v2, v82
	buffer_store_dword v11, off, s[40:43], 0 offset:20 ; 4-byte Folded Spill
	v_fmac_f32_e32 v10, v3, v108
	v_fmac_f32_e32 v1, v3, v83
	;; [unrolled: 1-line block ×4, first 2 shown]
	s_waitcnt vmcnt(5)
	v_add_f32_e32 v47, v47, v1
	s_waitcnt vmcnt(4)
	v_add_f32_e32 v18, v18, v21
	;; [unrolled: 2-line block ×3, first 2 shown]
	buffer_load_dword v17, off, s[40:43], 0 offset:168 ; 4-byte Folded Reload
	s_waitcnt vmcnt(3)
	v_add_f32_e32 v20, v20, v10
	s_waitcnt vmcnt(2)
	v_add_f32_e32 v22, v22, v9
	;; [unrolled: 2-line block ×3, first 2 shown]
	buffer_load_dword v6, off, s[40:43], 0 offset:152 ; 4-byte Folded Reload
	buffer_store_dword v5, off, s[40:43], 0 offset:24 ; 4-byte Folded Spill
	buffer_load_dword v5, off, s[40:43], 0 offset:40 ; 4-byte Folded Reload
	s_waitcnt vmcnt(2)
	v_add_f32_e32 v17, v17, v13
	s_waitcnt vmcnt(1)
	v_add_f32_e32 v6, v6, v29
	;; [unrolled: 2-line block ×3, first 2 shown]
	buffer_load_dword v7, off, s[40:43], 0 offset:148 ; 4-byte Folded Reload
	buffer_store_dword v5, off, s[40:43], 0 offset:40 ; 4-byte Folded Spill
	buffer_load_dword v5, off, s[40:43], 0 offset:56 ; 4-byte Folded Reload
	s_waitcnt vmcnt(1)
	v_add_f32_e32 v7, v7, v33
	s_waitcnt vmcnt(0)
	v_add_f32_e32 v5, v5, v8
	buffer_load_dword v8, off, s[40:43], 0 offset:144 ; 4-byte Folded Reload
	buffer_store_dword v5, off, s[40:43], 0 offset:56 ; 4-byte Folded Spill
	buffer_load_dword v5, off, s[40:43], 0 offset:72 ; 4-byte Folded Reload
	s_waitcnt vmcnt(1)
	v_add_f32_e32 v8, v8, v37
	s_waitcnt vmcnt(0)
	v_add_f32_e32 v5, v5, v105
	buffer_store_dword v5, off, s[40:43], 0 offset:72 ; 4-byte Folded Spill
	buffer_load_dword v5, off, s[40:43], 0 offset:76 ; 4-byte Folded Reload
	s_waitcnt vmcnt(0)
	v_add_f32_e32 v5, v5, v101
	buffer_store_dword v5, off, s[40:43], 0 offset:76 ; 4-byte Folded Spill
	buffer_load_dword v5, off, s[40:43], 0 offset:80 ; 4-byte Folded Reload
	;; [unrolled: 4-line block ×16, first 2 shown]
	s_waitcnt vmcnt(0)
	v_add_f32_e32 v5, v5, v25
.LBB41_34:                              ;   in Loop: Header=BB41_35 Depth=1
	s_or_b32 exec_lo, exec_lo, s14
	buffer_load_dword v3, off, s[40:43], 0  ; 4-byte Folded Reload
	v_add_nc_u32_e32 v127, 4, v127
	v_add_co_u32 v125, s0, v125, 16
	v_add_co_ci_u32_e64 v126, null, 0, v126, s0
	v_cmp_le_i32_e32 vcc_lo, s16, v127
	v_add_nc_u32_e32 v0, 0x200, v0
	s_or_b32 s5, vcc_lo, s5
	s_waitcnt vmcnt(0)
	v_add_nc_u32_e32 v3, 0x80, v3
	s_andn2_b32 exec_lo, exec_lo, s5
	s_cbranch_execz .LBB41_96
.LBB41_35:                              ; =>This Inner Loop Header: Depth=1
	s_waitcnt vmcnt(0)
	v_mul_hi_u32 v1, v3, s21
	buffer_store_dword v3, off, s[40:43], 0 ; 4-byte Folded Spill
	v_mul_lo_u32 v2, v1, s12
	v_sub_nc_u32_e32 v2, v3, v2
	v_add_nc_u32_e32 v3, 1, v1
	v_subrev_nc_u32_e32 v4, s12, v2
	v_cmp_le_u32_e32 vcc_lo, s12, v2
	v_cndmask_b32_e32 v2, v2, v4, vcc_lo
	buffer_load_dword v4, off, s[40:43], 0 offset:136 ; 4-byte Folded Reload
	v_cndmask_b32_e32 v1, v1, v3, vcc_lo
	v_cmp_le_u32_e32 vcc_lo, s12, v2
	v_add_nc_u32_e32 v3, 1, v1
	v_cndmask_b32_e32 v1, v1, v3, vcc_lo
	v_xor_b32_e32 v1, s19, v1
	v_subrev_nc_u32_e32 v1, s19, v1
	v_add_nc_u32_e32 v2, s29, v1
	v_cmp_lt_i32_e64 s0, s2, v1
	v_sub_nc_u32_e32 v3, 0, v2
	v_max_i32_e32 v3, v2, v3
	v_ashrrev_i32_e32 v2, 31, v2
	s_waitcnt vmcnt(0)
	v_mul_hi_u32 v4, v3, v4
	v_mul_lo_u32 v4, v4, s3
	v_sub_nc_u32_e32 v3, v3, v4
	v_subrev_nc_u32_e32 v4, s3, v3
	v_cmp_le_u32_e32 vcc_lo, s3, v3
	v_cndmask_b32_e32 v3, v3, v4, vcc_lo
	v_subrev_nc_u32_e32 v4, s3, v3
	v_cmp_le_u32_e32 vcc_lo, s3, v3
	v_cndmask_b32_e32 v3, v3, v4, vcc_lo
	v_xor_b32_e32 v3, v3, v2
	v_sub_nc_u32_e32 v2, v3, v2
	v_cmp_eq_u32_e32 vcc_lo, 0, v2
	s_or_b32 s0, vcc_lo, s0
	s_and_saveexec_b32 s14, s0
	s_cbranch_execz .LBB41_34
; %bb.36:                               ;   in Loop: Header=BB41_35 Depth=1
	buffer_store_dword v22, off, s[40:43], 0 offset:176 ; 4-byte Folded Spill
	buffer_store_dword v20, off, s[40:43], 0 offset:172 ; 4-byte Folded Spill
	;; [unrolled: 1-line block ×10, first 2 shown]
	global_load_dword v1, v[125:126], off
	buffer_load_dword v3, off, s[40:43], 0 offset:188 ; 4-byte Folded Reload
	s_waitcnt vmcnt(1)
	v_mad_i64_i32 v[1:2], null, v1, s13, 0
	v_lshlrev_b64 v[1:2], 2, v[1:2]
	s_waitcnt vmcnt(0)
	v_add_co_u32 v81, vcc_lo, v3, v1
	buffer_load_dword v1, off, s[40:43], 0 offset:192 ; 4-byte Folded Reload
	s_waitcnt vmcnt(0)
	v_add_co_ci_u32_e64 v82, null, v1, v2, vcc_lo
	v_cmp_eq_u32_e32 vcc_lo, s4, v127
	global_load_dwordx4 v[1:4], v[81:82], off
	s_waitcnt vmcnt(0)
	buffer_store_dword v1, off, s[40:43], 0 offset:4 ; 4-byte Folded Spill
	buffer_store_dword v2, off, s[40:43], 0 offset:8 ; 4-byte Folded Spill
	;; [unrolled: 1-line block ×4, first 2 shown]
	ds_read_b128 v[1:4], v0
	s_clause 0x1
	buffer_load_dword v5, off, s[40:43], 0
	buffer_load_dword v6, off, s[40:43], 0 offset:184
	s_waitcnt vmcnt(0)
	v_add_nc_u32_e32 v6, v6, v5
	v_add_nc_u32_e32 v8, 1, v6
	;; [unrolled: 1-line block ×4, first 2 shown]
	s_and_saveexec_b32 s15, vcc_lo
	s_cbranch_execnz .LBB41_75
; %bb.37:                               ;   in Loop: Header=BB41_35 Depth=1
	s_or_b32 exec_lo, exec_lo, s15
	global_load_dwordx4 v[9:12], v[81:82], off offset:512
	s_and_saveexec_b32 s15, vcc_lo
	s_cbranch_execnz .LBB41_76
.LBB41_38:                              ;   in Loop: Header=BB41_35 Depth=1
	s_or_b32 exec_lo, exec_lo, s15
	global_load_dwordx4 v[13:16], v[81:82], off offset:1024
	s_and_saveexec_b32 s15, vcc_lo
	s_cbranch_execnz .LBB41_77
.LBB41_39:                              ;   in Loop: Header=BB41_35 Depth=1
	s_or_b32 exec_lo, exec_lo, s15
	global_load_dwordx4 v[17:20], v[81:82], off offset:1536
	s_and_saveexec_b32 s15, vcc_lo
	s_cbranch_execz .LBB41_41
.LBB41_40:                              ;   in Loop: Header=BB41_35 Depth=1
	v_cmp_gt_i32_e64 s0, s28, v6
	s_waitcnt vmcnt(0)
	v_cndmask_b32_e64 v17, 0, v17, s0
	v_cmp_gt_i32_e64 s0, s28, v8
	v_cndmask_b32_e64 v18, 0, v18, s0
	v_cmp_gt_i32_e64 s0, s28, v7
	;; [unrolled: 2-line block ×3, first 2 shown]
	v_cndmask_b32_e64 v20, 0, v20, s0
.LBB41_41:                              ;   in Loop: Header=BB41_35 Depth=1
	s_or_b32 exec_lo, exec_lo, s15
	v_add_co_u32 v33, s0, 0x800, v81
	v_add_co_ci_u32_e64 v34, null, 0, v82, s0
	global_load_dwordx4 v[21:24], v[33:34], off
	s_and_saveexec_b32 s15, vcc_lo
	s_cbranch_execnz .LBB41_78
; %bb.42:                               ;   in Loop: Header=BB41_35 Depth=1
	s_or_b32 exec_lo, exec_lo, s15
	global_load_dwordx4 v[25:28], v[33:34], off offset:512
	s_and_saveexec_b32 s15, vcc_lo
	s_cbranch_execnz .LBB41_79
.LBB41_43:                              ;   in Loop: Header=BB41_35 Depth=1
	s_or_b32 exec_lo, exec_lo, s15
	global_load_dwordx4 v[29:32], v[33:34], off offset:1024
	s_and_saveexec_b32 s15, vcc_lo
	s_cbranch_execnz .LBB41_80
.LBB41_44:                              ;   in Loop: Header=BB41_35 Depth=1
	s_or_b32 exec_lo, exec_lo, s15
	global_load_dwordx4 v[33:36], v[33:34], off offset:1536
	s_and_saveexec_b32 s15, vcc_lo
	s_cbranch_execz .LBB41_46
.LBB41_45:                              ;   in Loop: Header=BB41_35 Depth=1
	v_cmp_gt_i32_e64 s0, s28, v6
	s_waitcnt vmcnt(0)
	v_cndmask_b32_e64 v33, 0, v33, s0
	v_cmp_gt_i32_e64 s0, s28, v8
	v_cndmask_b32_e64 v34, 0, v34, s0
	v_cmp_gt_i32_e64 s0, s28, v7
	;; [unrolled: 2-line block ×3, first 2 shown]
	v_cndmask_b32_e64 v36, 0, v36, s0
.LBB41_46:                              ;   in Loop: Header=BB41_35 Depth=1
	s_or_b32 exec_lo, exec_lo, s15
	v_add_co_u32 v49, s0, 0x1000, v81
	v_add_co_ci_u32_e64 v50, null, 0, v82, s0
	global_load_dwordx4 v[37:40], v[49:50], off
	s_and_saveexec_b32 s15, vcc_lo
	s_cbranch_execnz .LBB41_81
; %bb.47:                               ;   in Loop: Header=BB41_35 Depth=1
	s_or_b32 exec_lo, exec_lo, s15
	global_load_dwordx4 v[41:44], v[49:50], off offset:512
	s_and_saveexec_b32 s15, vcc_lo
	s_cbranch_execnz .LBB41_82
.LBB41_48:                              ;   in Loop: Header=BB41_35 Depth=1
	s_or_b32 exec_lo, exec_lo, s15
	global_load_dwordx4 v[45:48], v[49:50], off offset:1024
	s_and_saveexec_b32 s15, vcc_lo
	s_cbranch_execnz .LBB41_83
.LBB41_49:                              ;   in Loop: Header=BB41_35 Depth=1
	s_or_b32 exec_lo, exec_lo, s15
	global_load_dwordx4 v[49:52], v[49:50], off offset:1536
	s_and_saveexec_b32 s15, vcc_lo
	s_cbranch_execz .LBB41_51
.LBB41_50:                              ;   in Loop: Header=BB41_35 Depth=1
	v_cmp_gt_i32_e64 s0, s28, v6
	s_waitcnt vmcnt(0)
	v_cndmask_b32_e64 v49, 0, v49, s0
	v_cmp_gt_i32_e64 s0, s28, v8
	v_cndmask_b32_e64 v50, 0, v50, s0
	v_cmp_gt_i32_e64 s0, s28, v7
	;; [unrolled: 2-line block ×3, first 2 shown]
	v_cndmask_b32_e64 v52, 0, v52, s0
.LBB41_51:                              ;   in Loop: Header=BB41_35 Depth=1
	s_or_b32 exec_lo, exec_lo, s15
	v_add_co_u32 v65, s0, 0x1800, v81
	v_add_co_ci_u32_e64 v66, null, 0, v82, s0
	global_load_dwordx4 v[53:56], v[65:66], off
	s_and_saveexec_b32 s15, vcc_lo
	s_cbranch_execnz .LBB41_84
; %bb.52:                               ;   in Loop: Header=BB41_35 Depth=1
	s_or_b32 exec_lo, exec_lo, s15
	global_load_dwordx4 v[57:60], v[65:66], off offset:512
	s_and_saveexec_b32 s15, vcc_lo
	s_cbranch_execnz .LBB41_85
.LBB41_53:                              ;   in Loop: Header=BB41_35 Depth=1
	s_or_b32 exec_lo, exec_lo, s15
	global_load_dwordx4 v[61:64], v[65:66], off offset:1024
	s_and_saveexec_b32 s15, vcc_lo
	s_cbranch_execnz .LBB41_86
.LBB41_54:                              ;   in Loop: Header=BB41_35 Depth=1
	s_or_b32 exec_lo, exec_lo, s15
	global_load_dwordx4 v[65:68], v[65:66], off offset:1536
	s_and_saveexec_b32 s15, vcc_lo
	s_cbranch_execz .LBB41_56
.LBB41_55:                              ;   in Loop: Header=BB41_35 Depth=1
	v_cmp_gt_i32_e64 s0, s28, v6
	s_waitcnt vmcnt(0)
	v_cndmask_b32_e64 v65, 0, v65, s0
	v_cmp_gt_i32_e64 s0, s28, v8
	v_cndmask_b32_e64 v66, 0, v66, s0
	v_cmp_gt_i32_e64 s0, s28, v7
	;; [unrolled: 2-line block ×3, first 2 shown]
	v_cndmask_b32_e64 v68, 0, v68, s0
.LBB41_56:                              ;   in Loop: Header=BB41_35 Depth=1
	s_or_b32 exec_lo, exec_lo, s15
	v_add_co_u32 v83, s0, 0x2000, v81
	v_add_co_ci_u32_e64 v84, null, 0, v82, s0
	global_load_dwordx4 v[69:72], v[83:84], off
	s_and_saveexec_b32 s15, vcc_lo
	s_cbranch_execnz .LBB41_87
; %bb.57:                               ;   in Loop: Header=BB41_35 Depth=1
	s_or_b32 exec_lo, exec_lo, s15
	global_load_dwordx4 v[73:76], v[83:84], off offset:512
	s_and_saveexec_b32 s15, vcc_lo
	s_cbranch_execnz .LBB41_88
.LBB41_58:                              ;   in Loop: Header=BB41_35 Depth=1
	s_or_b32 exec_lo, exec_lo, s15
	global_load_dwordx4 v[77:80], v[83:84], off offset:1024
	s_and_saveexec_b32 s15, vcc_lo
	s_cbranch_execnz .LBB41_89
.LBB41_59:                              ;   in Loop: Header=BB41_35 Depth=1
	s_or_b32 exec_lo, exec_lo, s15
	global_load_dwordx4 v[85:88], v[83:84], off offset:1536
	s_and_saveexec_b32 s15, vcc_lo
	s_cbranch_execz .LBB41_61
.LBB41_60:                              ;   in Loop: Header=BB41_35 Depth=1
	v_cmp_gt_i32_e64 s0, s28, v6
	s_waitcnt vmcnt(0)
	v_cndmask_b32_e64 v85, 0, v85, s0
	v_cmp_gt_i32_e64 s0, s28, v8
	v_cndmask_b32_e64 v86, 0, v86, s0
	v_cmp_gt_i32_e64 s0, s28, v7
	;; [unrolled: 2-line block ×3, first 2 shown]
	v_cndmask_b32_e64 v88, 0, v88, s0
.LBB41_61:                              ;   in Loop: Header=BB41_35 Depth=1
	s_or_b32 exec_lo, exec_lo, s15
	v_add_co_u32 v83, s0, 0x2800, v81
	v_add_co_ci_u32_e64 v84, null, 0, v82, s0
	global_load_dwordx4 v[89:92], v[83:84], off
	s_and_saveexec_b32 s15, vcc_lo
	s_cbranch_execnz .LBB41_90
; %bb.62:                               ;   in Loop: Header=BB41_35 Depth=1
	s_or_b32 exec_lo, exec_lo, s15
	global_load_dwordx4 v[93:96], v[83:84], off offset:512
	s_and_saveexec_b32 s15, vcc_lo
	s_cbranch_execnz .LBB41_91
.LBB41_63:                              ;   in Loop: Header=BB41_35 Depth=1
	s_or_b32 exec_lo, exec_lo, s15
	global_load_dwordx4 v[97:100], v[83:84], off offset:1024
	s_and_saveexec_b32 s15, vcc_lo
	s_cbranch_execnz .LBB41_92
.LBB41_64:                              ;   in Loop: Header=BB41_35 Depth=1
	s_or_b32 exec_lo, exec_lo, s15
	global_load_dwordx4 v[101:104], v[83:84], off offset:1536
	s_and_saveexec_b32 s15, vcc_lo
	s_cbranch_execz .LBB41_66
.LBB41_65:                              ;   in Loop: Header=BB41_35 Depth=1
	v_cmp_gt_i32_e64 s0, s28, v6
	s_waitcnt vmcnt(0)
	v_cndmask_b32_e64 v101, 0, v101, s0
	v_cmp_gt_i32_e64 s0, s28, v8
	v_cndmask_b32_e64 v102, 0, v102, s0
	v_cmp_gt_i32_e64 s0, s28, v7
	;; [unrolled: 2-line block ×3, first 2 shown]
	v_cndmask_b32_e64 v104, 0, v104, s0
.LBB41_66:                              ;   in Loop: Header=BB41_35 Depth=1
	s_or_b32 exec_lo, exec_lo, s15
	v_add_co_u32 v83, s0, 0x3000, v81
	v_add_co_ci_u32_e64 v84, null, 0, v82, s0
	global_load_dwordx4 v[105:108], v[83:84], off
	s_and_saveexec_b32 s15, vcc_lo
	s_cbranch_execnz .LBB41_93
; %bb.67:                               ;   in Loop: Header=BB41_35 Depth=1
	s_or_b32 exec_lo, exec_lo, s15
	global_load_dwordx4 v[109:112], v[83:84], off offset:512
	s_and_saveexec_b32 s15, vcc_lo
	s_cbranch_execnz .LBB41_94
.LBB41_68:                              ;   in Loop: Header=BB41_35 Depth=1
	s_or_b32 exec_lo, exec_lo, s15
	global_load_dwordx4 v[113:116], v[83:84], off offset:1024
	s_and_saveexec_b32 s15, vcc_lo
	s_cbranch_execnz .LBB41_95
.LBB41_69:                              ;   in Loop: Header=BB41_35 Depth=1
	s_or_b32 exec_lo, exec_lo, s15
	global_load_dwordx4 v[117:120], v[83:84], off offset:1536
	s_and_saveexec_b32 s15, vcc_lo
	s_cbranch_execz .LBB41_71
.LBB41_70:                              ;   in Loop: Header=BB41_35 Depth=1
	v_cmp_gt_i32_e64 s0, s28, v6
	s_waitcnt vmcnt(0)
	v_cndmask_b32_e64 v117, 0, v117, s0
	v_cmp_gt_i32_e64 s0, s28, v8
	v_cndmask_b32_e64 v118, 0, v118, s0
	v_cmp_gt_i32_e64 s0, s28, v7
	;; [unrolled: 2-line block ×3, first 2 shown]
	v_cndmask_b32_e64 v120, 0, v120, s0
.LBB41_71:                              ;   in Loop: Header=BB41_35 Depth=1
	s_or_b32 exec_lo, exec_lo, s15
	v_add_co_u32 v81, s0, 0x3800, v81
	v_add_co_ci_u32_e64 v82, null, 0, v82, s0
	global_load_dwordx4 v[121:124], v[81:82], off
	s_and_saveexec_b32 s15, vcc_lo
	s_cbranch_execz .LBB41_73
; %bb.72:                               ;   in Loop: Header=BB41_35 Depth=1
	v_cmp_gt_i32_e64 s0, s28, v6
	s_waitcnt vmcnt(0)
	v_cndmask_b32_e64 v121, 0, v121, s0
	v_cmp_gt_i32_e64 s0, s28, v8
	v_cndmask_b32_e64 v122, 0, v122, s0
	v_cmp_gt_i32_e64 s0, s28, v7
	;; [unrolled: 2-line block ×3, first 2 shown]
	v_cndmask_b32_e64 v124, 0, v124, s0
.LBB41_73:                              ;   in Loop: Header=BB41_35 Depth=1
	s_or_b32 exec_lo, exec_lo, s15
	global_load_dwordx4 v[81:84], v[81:82], off offset:512
	s_and_saveexec_b32 s0, vcc_lo
	s_cbranch_execz .LBB41_33
; %bb.74:                               ;   in Loop: Header=BB41_35 Depth=1
	v_cmp_gt_i32_e32 vcc_lo, s28, v6
	s_waitcnt vmcnt(0)
	v_cndmask_b32_e32 v81, 0, v81, vcc_lo
	v_cmp_gt_i32_e32 vcc_lo, s28, v8
	v_cndmask_b32_e32 v82, 0, v82, vcc_lo
	v_cmp_gt_i32_e32 vcc_lo, s28, v7
	;; [unrolled: 2-line block ×3, first 2 shown]
	v_cndmask_b32_e32 v84, 0, v84, vcc_lo
	s_branch .LBB41_33
.LBB41_75:                              ;   in Loop: Header=BB41_35 Depth=1
	s_clause 0x3
	buffer_load_dword v9, off, s[40:43], 0 offset:4
	buffer_load_dword v10, off, s[40:43], 0 offset:8
	;; [unrolled: 1-line block ×4, first 2 shown]
	v_cmp_gt_i32_e64 s0, s28, v6
	s_waitcnt vmcnt(3)
	v_cndmask_b32_e64 v9, 0, v9, s0
	v_cmp_gt_i32_e64 s0, s28, v8
	s_waitcnt vmcnt(2)
	v_cndmask_b32_e64 v10, 0, v10, s0
	;; [unrolled: 3-line block ×4, first 2 shown]
	buffer_store_dword v9, off, s[40:43], 0 offset:4 ; 4-byte Folded Spill
	buffer_store_dword v10, off, s[40:43], 0 offset:8 ; 4-byte Folded Spill
	;; [unrolled: 1-line block ×4, first 2 shown]
	s_or_b32 exec_lo, exec_lo, s15
	global_load_dwordx4 v[9:12], v[81:82], off offset:512
	s_and_saveexec_b32 s15, vcc_lo
	s_cbranch_execz .LBB41_38
.LBB41_76:                              ;   in Loop: Header=BB41_35 Depth=1
	v_cmp_gt_i32_e64 s0, s28, v6
	s_waitcnt vmcnt(0)
	v_cndmask_b32_e64 v9, 0, v9, s0
	v_cmp_gt_i32_e64 s0, s28, v8
	v_cndmask_b32_e64 v10, 0, v10, s0
	v_cmp_gt_i32_e64 s0, s28, v7
	;; [unrolled: 2-line block ×3, first 2 shown]
	v_cndmask_b32_e64 v12, 0, v12, s0
	s_or_b32 exec_lo, exec_lo, s15
	global_load_dwordx4 v[13:16], v[81:82], off offset:1024
	s_and_saveexec_b32 s15, vcc_lo
	s_cbranch_execz .LBB41_39
.LBB41_77:                              ;   in Loop: Header=BB41_35 Depth=1
	v_cmp_gt_i32_e64 s0, s28, v6
	s_waitcnt vmcnt(0)
	v_cndmask_b32_e64 v13, 0, v13, s0
	v_cmp_gt_i32_e64 s0, s28, v8
	v_cndmask_b32_e64 v14, 0, v14, s0
	v_cmp_gt_i32_e64 s0, s28, v7
	v_cndmask_b32_e64 v15, 0, v15, s0
	v_cmp_gt_i32_e64 s0, s28, v5
	v_cndmask_b32_e64 v16, 0, v16, s0
	s_or_b32 exec_lo, exec_lo, s15
	global_load_dwordx4 v[17:20], v[81:82], off offset:1536
	s_and_saveexec_b32 s15, vcc_lo
	s_cbranch_execnz .LBB41_40
	s_branch .LBB41_41
.LBB41_78:                              ;   in Loop: Header=BB41_35 Depth=1
	v_cmp_gt_i32_e64 s0, s28, v6
	s_waitcnt vmcnt(0)
	v_cndmask_b32_e64 v21, 0, v21, s0
	v_cmp_gt_i32_e64 s0, s28, v8
	v_cndmask_b32_e64 v22, 0, v22, s0
	v_cmp_gt_i32_e64 s0, s28, v7
	;; [unrolled: 2-line block ×3, first 2 shown]
	v_cndmask_b32_e64 v24, 0, v24, s0
	s_or_b32 exec_lo, exec_lo, s15
	global_load_dwordx4 v[25:28], v[33:34], off offset:512
	s_and_saveexec_b32 s15, vcc_lo
	s_cbranch_execz .LBB41_43
.LBB41_79:                              ;   in Loop: Header=BB41_35 Depth=1
	v_cmp_gt_i32_e64 s0, s28, v6
	s_waitcnt vmcnt(0)
	v_cndmask_b32_e64 v25, 0, v25, s0
	v_cmp_gt_i32_e64 s0, s28, v8
	v_cndmask_b32_e64 v26, 0, v26, s0
	v_cmp_gt_i32_e64 s0, s28, v7
	v_cndmask_b32_e64 v27, 0, v27, s0
	v_cmp_gt_i32_e64 s0, s28, v5
	v_cndmask_b32_e64 v28, 0, v28, s0
	s_or_b32 exec_lo, exec_lo, s15
	global_load_dwordx4 v[29:32], v[33:34], off offset:1024
	s_and_saveexec_b32 s15, vcc_lo
	s_cbranch_execz .LBB41_44
.LBB41_80:                              ;   in Loop: Header=BB41_35 Depth=1
	v_cmp_gt_i32_e64 s0, s28, v6
	s_waitcnt vmcnt(0)
	v_cndmask_b32_e64 v29, 0, v29, s0
	v_cmp_gt_i32_e64 s0, s28, v8
	v_cndmask_b32_e64 v30, 0, v30, s0
	v_cmp_gt_i32_e64 s0, s28, v7
	;; [unrolled: 2-line block ×3, first 2 shown]
	v_cndmask_b32_e64 v32, 0, v32, s0
	s_or_b32 exec_lo, exec_lo, s15
	global_load_dwordx4 v[33:36], v[33:34], off offset:1536
	s_and_saveexec_b32 s15, vcc_lo
	s_cbranch_execnz .LBB41_45
	s_branch .LBB41_46
.LBB41_81:                              ;   in Loop: Header=BB41_35 Depth=1
	v_cmp_gt_i32_e64 s0, s28, v6
	s_waitcnt vmcnt(0)
	v_cndmask_b32_e64 v37, 0, v37, s0
	v_cmp_gt_i32_e64 s0, s28, v8
	v_cndmask_b32_e64 v38, 0, v38, s0
	v_cmp_gt_i32_e64 s0, s28, v7
	;; [unrolled: 2-line block ×3, first 2 shown]
	v_cndmask_b32_e64 v40, 0, v40, s0
	s_or_b32 exec_lo, exec_lo, s15
	global_load_dwordx4 v[41:44], v[49:50], off offset:512
	s_and_saveexec_b32 s15, vcc_lo
	s_cbranch_execz .LBB41_48
.LBB41_82:                              ;   in Loop: Header=BB41_35 Depth=1
	v_cmp_gt_i32_e64 s0, s28, v6
	s_waitcnt vmcnt(0)
	v_cndmask_b32_e64 v41, 0, v41, s0
	v_cmp_gt_i32_e64 s0, s28, v8
	v_cndmask_b32_e64 v42, 0, v42, s0
	v_cmp_gt_i32_e64 s0, s28, v7
	;; [unrolled: 2-line block ×3, first 2 shown]
	v_cndmask_b32_e64 v44, 0, v44, s0
	s_or_b32 exec_lo, exec_lo, s15
	global_load_dwordx4 v[45:48], v[49:50], off offset:1024
	s_and_saveexec_b32 s15, vcc_lo
	s_cbranch_execz .LBB41_49
.LBB41_83:                              ;   in Loop: Header=BB41_35 Depth=1
	v_cmp_gt_i32_e64 s0, s28, v6
	s_waitcnt vmcnt(0)
	v_cndmask_b32_e64 v45, 0, v45, s0
	v_cmp_gt_i32_e64 s0, s28, v8
	v_cndmask_b32_e64 v46, 0, v46, s0
	v_cmp_gt_i32_e64 s0, s28, v7
	v_cndmask_b32_e64 v47, 0, v47, s0
	v_cmp_gt_i32_e64 s0, s28, v5
	v_cndmask_b32_e64 v48, 0, v48, s0
	s_or_b32 exec_lo, exec_lo, s15
	global_load_dwordx4 v[49:52], v[49:50], off offset:1536
	s_and_saveexec_b32 s15, vcc_lo
	s_cbranch_execnz .LBB41_50
	s_branch .LBB41_51
.LBB41_84:                              ;   in Loop: Header=BB41_35 Depth=1
	v_cmp_gt_i32_e64 s0, s28, v6
	s_waitcnt vmcnt(0)
	v_cndmask_b32_e64 v53, 0, v53, s0
	v_cmp_gt_i32_e64 s0, s28, v8
	v_cndmask_b32_e64 v54, 0, v54, s0
	v_cmp_gt_i32_e64 s0, s28, v7
	;; [unrolled: 2-line block ×3, first 2 shown]
	v_cndmask_b32_e64 v56, 0, v56, s0
	s_or_b32 exec_lo, exec_lo, s15
	global_load_dwordx4 v[57:60], v[65:66], off offset:512
	s_and_saveexec_b32 s15, vcc_lo
	s_cbranch_execz .LBB41_53
.LBB41_85:                              ;   in Loop: Header=BB41_35 Depth=1
	v_cmp_gt_i32_e64 s0, s28, v6
	s_waitcnt vmcnt(0)
	v_cndmask_b32_e64 v57, 0, v57, s0
	v_cmp_gt_i32_e64 s0, s28, v8
	v_cndmask_b32_e64 v58, 0, v58, s0
	v_cmp_gt_i32_e64 s0, s28, v7
	;; [unrolled: 2-line block ×3, first 2 shown]
	v_cndmask_b32_e64 v60, 0, v60, s0
	s_or_b32 exec_lo, exec_lo, s15
	global_load_dwordx4 v[61:64], v[65:66], off offset:1024
	s_and_saveexec_b32 s15, vcc_lo
	s_cbranch_execz .LBB41_54
.LBB41_86:                              ;   in Loop: Header=BB41_35 Depth=1
	v_cmp_gt_i32_e64 s0, s28, v6
	s_waitcnt vmcnt(0)
	v_cndmask_b32_e64 v61, 0, v61, s0
	v_cmp_gt_i32_e64 s0, s28, v8
	v_cndmask_b32_e64 v62, 0, v62, s0
	v_cmp_gt_i32_e64 s0, s28, v7
	;; [unrolled: 2-line block ×3, first 2 shown]
	v_cndmask_b32_e64 v64, 0, v64, s0
	s_or_b32 exec_lo, exec_lo, s15
	global_load_dwordx4 v[65:68], v[65:66], off offset:1536
	s_and_saveexec_b32 s15, vcc_lo
	s_cbranch_execnz .LBB41_55
	s_branch .LBB41_56
.LBB41_87:                              ;   in Loop: Header=BB41_35 Depth=1
	v_cmp_gt_i32_e64 s0, s28, v6
	s_waitcnt vmcnt(0)
	v_cndmask_b32_e64 v69, 0, v69, s0
	v_cmp_gt_i32_e64 s0, s28, v8
	v_cndmask_b32_e64 v70, 0, v70, s0
	v_cmp_gt_i32_e64 s0, s28, v7
	;; [unrolled: 2-line block ×3, first 2 shown]
	v_cndmask_b32_e64 v72, 0, v72, s0
	s_or_b32 exec_lo, exec_lo, s15
	global_load_dwordx4 v[73:76], v[83:84], off offset:512
	s_and_saveexec_b32 s15, vcc_lo
	s_cbranch_execz .LBB41_58
.LBB41_88:                              ;   in Loop: Header=BB41_35 Depth=1
	v_cmp_gt_i32_e64 s0, s28, v6
	s_waitcnt vmcnt(0)
	v_cndmask_b32_e64 v73, 0, v73, s0
	v_cmp_gt_i32_e64 s0, s28, v8
	v_cndmask_b32_e64 v74, 0, v74, s0
	v_cmp_gt_i32_e64 s0, s28, v7
	;; [unrolled: 2-line block ×3, first 2 shown]
	v_cndmask_b32_e64 v76, 0, v76, s0
	s_or_b32 exec_lo, exec_lo, s15
	global_load_dwordx4 v[77:80], v[83:84], off offset:1024
	s_and_saveexec_b32 s15, vcc_lo
	s_cbranch_execz .LBB41_59
.LBB41_89:                              ;   in Loop: Header=BB41_35 Depth=1
	v_cmp_gt_i32_e64 s0, s28, v6
	s_waitcnt vmcnt(0)
	v_cndmask_b32_e64 v77, 0, v77, s0
	v_cmp_gt_i32_e64 s0, s28, v8
	v_cndmask_b32_e64 v78, 0, v78, s0
	v_cmp_gt_i32_e64 s0, s28, v7
	;; [unrolled: 2-line block ×3, first 2 shown]
	v_cndmask_b32_e64 v80, 0, v80, s0
	s_or_b32 exec_lo, exec_lo, s15
	global_load_dwordx4 v[85:88], v[83:84], off offset:1536
	s_and_saveexec_b32 s15, vcc_lo
	s_cbranch_execnz .LBB41_60
	s_branch .LBB41_61
.LBB41_90:                              ;   in Loop: Header=BB41_35 Depth=1
	v_cmp_gt_i32_e64 s0, s28, v6
	s_waitcnt vmcnt(0)
	v_cndmask_b32_e64 v89, 0, v89, s0
	v_cmp_gt_i32_e64 s0, s28, v8
	v_cndmask_b32_e64 v90, 0, v90, s0
	v_cmp_gt_i32_e64 s0, s28, v7
	;; [unrolled: 2-line block ×3, first 2 shown]
	v_cndmask_b32_e64 v92, 0, v92, s0
	s_or_b32 exec_lo, exec_lo, s15
	global_load_dwordx4 v[93:96], v[83:84], off offset:512
	s_and_saveexec_b32 s15, vcc_lo
	s_cbranch_execz .LBB41_63
.LBB41_91:                              ;   in Loop: Header=BB41_35 Depth=1
	v_cmp_gt_i32_e64 s0, s28, v6
	s_waitcnt vmcnt(0)
	v_cndmask_b32_e64 v93, 0, v93, s0
	v_cmp_gt_i32_e64 s0, s28, v8
	v_cndmask_b32_e64 v94, 0, v94, s0
	v_cmp_gt_i32_e64 s0, s28, v7
	;; [unrolled: 2-line block ×3, first 2 shown]
	v_cndmask_b32_e64 v96, 0, v96, s0
	s_or_b32 exec_lo, exec_lo, s15
	global_load_dwordx4 v[97:100], v[83:84], off offset:1024
	s_and_saveexec_b32 s15, vcc_lo
	s_cbranch_execz .LBB41_64
.LBB41_92:                              ;   in Loop: Header=BB41_35 Depth=1
	v_cmp_gt_i32_e64 s0, s28, v6
	s_waitcnt vmcnt(0)
	v_cndmask_b32_e64 v97, 0, v97, s0
	v_cmp_gt_i32_e64 s0, s28, v8
	v_cndmask_b32_e64 v98, 0, v98, s0
	v_cmp_gt_i32_e64 s0, s28, v7
	;; [unrolled: 2-line block ×3, first 2 shown]
	v_cndmask_b32_e64 v100, 0, v100, s0
	s_or_b32 exec_lo, exec_lo, s15
	global_load_dwordx4 v[101:104], v[83:84], off offset:1536
	s_and_saveexec_b32 s15, vcc_lo
	s_cbranch_execnz .LBB41_65
	s_branch .LBB41_66
.LBB41_93:                              ;   in Loop: Header=BB41_35 Depth=1
	v_cmp_gt_i32_e64 s0, s28, v6
	s_waitcnt vmcnt(0)
	v_cndmask_b32_e64 v105, 0, v105, s0
	v_cmp_gt_i32_e64 s0, s28, v8
	v_cndmask_b32_e64 v106, 0, v106, s0
	v_cmp_gt_i32_e64 s0, s28, v7
	;; [unrolled: 2-line block ×3, first 2 shown]
	v_cndmask_b32_e64 v108, 0, v108, s0
	s_or_b32 exec_lo, exec_lo, s15
	global_load_dwordx4 v[109:112], v[83:84], off offset:512
	s_and_saveexec_b32 s15, vcc_lo
	s_cbranch_execz .LBB41_68
.LBB41_94:                              ;   in Loop: Header=BB41_35 Depth=1
	v_cmp_gt_i32_e64 s0, s28, v6
	s_waitcnt vmcnt(0)
	v_cndmask_b32_e64 v109, 0, v109, s0
	v_cmp_gt_i32_e64 s0, s28, v8
	v_cndmask_b32_e64 v110, 0, v110, s0
	v_cmp_gt_i32_e64 s0, s28, v7
	;; [unrolled: 2-line block ×3, first 2 shown]
	v_cndmask_b32_e64 v112, 0, v112, s0
	s_or_b32 exec_lo, exec_lo, s15
	global_load_dwordx4 v[113:116], v[83:84], off offset:1024
	s_and_saveexec_b32 s15, vcc_lo
	s_cbranch_execz .LBB41_69
.LBB41_95:                              ;   in Loop: Header=BB41_35 Depth=1
	v_cmp_gt_i32_e64 s0, s28, v6
	s_waitcnt vmcnt(0)
	v_cndmask_b32_e64 v113, 0, v113, s0
	v_cmp_gt_i32_e64 s0, s28, v8
	v_cndmask_b32_e64 v114, 0, v114, s0
	v_cmp_gt_i32_e64 s0, s28, v7
	v_cndmask_b32_e64 v115, 0, v115, s0
	v_cmp_gt_i32_e64 s0, s28, v5
	v_cndmask_b32_e64 v116, 0, v116, s0
	s_or_b32 exec_lo, exec_lo, s15
	global_load_dwordx4 v[117:120], v[83:84], off offset:1536
	s_and_saveexec_b32 s15, vcc_lo
	s_cbranch_execnz .LBB41_70
	s_branch .LBB41_71
.LBB41_96:
	s_or_b32 exec_lo, exec_lo, s5
	s_clause 0x19
	buffer_load_dword v54, off, s[40:43], 0 offset:196
	buffer_load_dword v127, off, s[40:43], 0 offset:200
	;; [unrolled: 1-line block ×26, first 2 shown]
.LBB41_97:
	s_or_b32 exec_lo, exec_lo, s1
	s_waitcnt vmcnt(21)
	ds_bpermute_b32 v0, v37, v20
	v_mov_b32_e32 v13, v8
	ds_bpermute_b32 v8, v37, v8
	ds_bpermute_b32 v1, v37, v22
	v_mov_b32_e32 v14, v7
	ds_bpermute_b32 v7, v37, v7
	s_waitcnt vmcnt(0)
	ds_bpermute_b32 v9, v37, v21
	ds_bpermute_b32 v23, v37, v28
	;; [unrolled: 1-line block ×7, first 2 shown]
	v_mov_b32_e32 v16, v5
	ds_bpermute_b32 v5, v37, v5
	v_mov_b32_e32 v15, v6
	ds_bpermute_b32 v6, v37, v6
	ds_bpermute_b32 v26, v37, v34
	;; [unrolled: 1-line block ×4, first 2 shown]
	s_waitcnt lgkmcnt(15)
	v_add_f32_e32 v0, v20, v0
	s_mov_b32 s0, exec_lo
	s_waitcnt lgkmcnt(14)
	v_add_f32_e32 v8, v13, v8
	s_waitcnt lgkmcnt(13)
	v_add_f32_e32 v1, v22, v1
	;; [unrolled: 2-line block ×3, first 2 shown]
	ds_bpermute_b32 v13, v46, v0
	s_waitcnt lgkmcnt(12)
	v_add_f32_e32 v9, v21, v9
	ds_bpermute_b32 v14, v46, v1
	ds_bpermute_b32 v21, v37, v27
	s_waitcnt lgkmcnt(13)
	v_add_f32_e32 v23, v28, v23
	s_waitcnt lgkmcnt(12)
	v_add_f32_e32 v11, v30, v11
	ds_bpermute_b32 v25, v46, v9
	s_waitcnt lgkmcnt(11)
	v_add_f32_e32 v3, v19, v3
	s_waitcnt lgkmcnt(10)
	v_add_f32_e32 v2, v17, v2
	;; [unrolled: 2-line block ×5, first 2 shown]
	ds_bpermute_b32 v16, v46, v3
	ds_bpermute_b32 v15, v46, v2
	ds_bpermute_b32 v17, v46, v4
	ds_bpermute_b32 v20, v46, v7
	ds_bpermute_b32 v22, v46, v8
	s_waitcnt lgkmcnt(10)
	v_add_f32_e32 v10, v31, v10
	ds_bpermute_b32 v31, v46, v23
	ds_bpermute_b32 v18, v46, v5
	s_waitcnt lgkmcnt(10)
	v_add_f32_e32 v0, v0, v13
	ds_bpermute_b32 v19, v46, v6
	s_waitcnt lgkmcnt(10)
	v_add_f32_e32 v1, v1, v14
	s_waitcnt lgkmcnt(9)
	v_add_f32_e32 v21, v27, v21
	ds_bpermute_b32 v27, v46, v11
	ds_bpermute_b32 v13, v53, v0
	s_waitcnt lgkmcnt(10)
	v_add_f32_e32 v9, v9, v25
	ds_bpermute_b32 v14, v53, v1
	ds_bpermute_b32 v30, v46, v21
	v_add_f32_e32 v12, v29, v12
	ds_bpermute_b32 v25, v46, v10
	ds_bpermute_b32 v28, v53, v9
	s_waitcnt lgkmcnt(13)
	v_add_f32_e32 v3, v3, v16
	s_waitcnt lgkmcnt(12)
	v_add_f32_e32 v2, v2, v15
	;; [unrolled: 2-line block ×5, first 2 shown]
	ds_bpermute_b32 v16, v53, v3
	ds_bpermute_b32 v15, v53, v2
	;; [unrolled: 1-line block ×5, first 2 shown]
	s_waitcnt lgkmcnt(13)
	v_add_f32_e32 v23, v23, v31
	ds_bpermute_b32 v31, v37, v43
	s_waitcnt lgkmcnt(11)
	v_add_f32_e32 v11, v11, v27
	s_waitcnt lgkmcnt(10)
	v_add_f32_e32 v0, v0, v13
	ds_bpermute_b32 v13, v37, v32
	s_waitcnt lgkmcnt(10)
	v_add_f32_e32 v1, v1, v14
	v_add_f32_e32 v14, v36, v24
	ds_bpermute_b32 v24, v37, v38
	s_waitcnt lgkmcnt(10)
	v_add_f32_e32 v21, v21, v30
	s_waitcnt lgkmcnt(8)
	v_add_f32_e32 v9, v9, v28
	ds_bpermute_b32 v30, v37, v40
	ds_bpermute_b32 v36, v37, v48
	v_add_f32_e32 v5, v5, v18
	ds_bpermute_b32 v27, v53, v21
	v_add_f32_e32 v6, v6, v19
	s_waitcnt lgkmcnt(10)
	v_add_f32_e32 v3, v3, v16
	v_add_f32_e32 v16, v34, v26
	s_waitcnt lgkmcnt(9)
	v_add_f32_e32 v2, v2, v15
	s_waitcnt lgkmcnt(8)
	;; [unrolled: 2-line block ×4, first 2 shown]
	v_add_f32_e32 v8, v8, v22
	ds_bpermute_b32 v15, v46, v14
	ds_bpermute_b32 v17, v37, v33
	;; [unrolled: 1-line block ×3, first 2 shown]
	s_waitcnt lgkmcnt(7)
	v_add_f32_e32 v13, v32, v13
	ds_bpermute_b32 v22, v37, v35
	ds_bpermute_b32 v26, v37, v39
	s_waitcnt lgkmcnt(8)
	v_add_f32_e32 v24, v38, v24
	ds_bpermute_b32 v32, v37, v41
	ds_bpermute_b32 v28, v46, v13
	s_waitcnt lgkmcnt(9)
	v_add_f32_e32 v30, v40, v30
	v_add_f32_e32 v31, v43, v31
	s_waitcnt lgkmcnt(8)
	v_add_f32_e32 v36, v48, v36
	ds_bpermute_b32 v29, v46, v12
	ds_bpermute_b32 v18, v53, v5
	;; [unrolled: 1-line block ×4, first 2 shown]
	v_add_f32_e32 v10, v10, v25
	s_waitcnt lgkmcnt(10)
	v_add_f32_e32 v15, v14, v15
	ds_bpermute_b32 v14, v37, v44
	s_waitcnt lgkmcnt(10)
	v_add_f32_e32 v17, v33, v17
	ds_bpermute_b32 v33, v37, v42
	s_waitcnt lgkmcnt(10)
	v_add_f32_e32 v16, v16, v20
	s_waitcnt lgkmcnt(9)
	v_add_f32_e32 v20, v35, v22
	ds_bpermute_b32 v22, v37, v45
	ds_bpermute_b32 v37, v37, v47
	s_waitcnt lgkmcnt(8)
	v_add_f32_e32 v28, v13, v28
	ds_bpermute_b32 v13, v46, v24
	ds_bpermute_b32 v35, v46, v17
	;; [unrolled: 1-line block ×3, first 2 shown]
	v_add_f32_e32 v26, v39, v26
	v_add_f32_e32 v32, v41, v32
	ds_bpermute_b32 v41, v46, v30
	s_waitcnt lgkmcnt(11)
	v_add_f32_e32 v12, v12, v29
	s_waitcnt lgkmcnt(8)
	v_add_f32_e32 v31, v31, v43
	ds_bpermute_b32 v40, v46, v26
	v_add_f32_e32 v5, v5, v18
	v_add_f32_e32 v6, v6, v19
	ds_bpermute_b32 v18, v53, v10
	s_waitcnt lgkmcnt(9)
	v_add_f32_e32 v14, v44, v14
	ds_bpermute_b32 v44, v46, v32
	s_waitcnt lgkmcnt(9)
	v_add_f32_e32 v33, v42, v33
	ds_bpermute_b32 v19, v53, v11
	ds_bpermute_b32 v25, v53, v12
	s_waitcnt lgkmcnt(10)
	v_add_f32_e32 v22, v45, v22
	s_waitcnt lgkmcnt(9)
	v_add_f32_e32 v37, v47, v37
	ds_bpermute_b32 v42, v46, v14
	s_waitcnt lgkmcnt(9)
	v_add_f32_e32 v24, v24, v13
	v_add_f32_e32 v13, v21, v27
	buffer_load_dword v27, off, s[40:43], 0 offset:180 ; 4-byte Folded Reload
	ds_bpermute_b32 v45, v46, v33
	s_waitcnt lgkmcnt(9)
	v_add_f32_e32 v35, v17, v35
	ds_bpermute_b32 v17, v46, v22
	s_waitcnt lgkmcnt(9)
	v_add_f32_e32 v20, v20, v38
	ds_bpermute_b32 v38, v46, v36
	ds_bpermute_b32 v46, v46, v37
	s_waitcnt lgkmcnt(10)
	v_add_f32_e32 v30, v30, v41
	s_waitcnt lgkmcnt(9)
	v_add_f32_e32 v26, v26, v40
	ds_bpermute_b32 v29, v53, v23
	ds_bpermute_b32 v34, v53, v15
	s_waitcnt lgkmcnt(9)
	v_add_f32_e32 v32, v32, v44
	ds_bpermute_b32 v43, v53, v30
	ds_bpermute_b32 v39, v53, v16
	;; [unrolled: 1-line block ×5, first 2 shown]
	s_waitcnt lgkmcnt(11)
	v_add_f32_e32 v42, v14, v42
	ds_bpermute_b32 v49, v53, v24
	ds_bpermute_b32 v41, v53, v26
	;; [unrolled: 1-line block ×3, first 2 shown]
	s_waitcnt lgkmcnt(13)
	v_add_f32_e32 v33, v33, v45
	ds_bpermute_b32 v44, v53, v42
	s_waitcnt lgkmcnt(13)
	v_add_f32_e32 v51, v22, v17
	ds_bpermute_b32 v45, v53, v31
	s_waitcnt lgkmcnt(13)
	v_add_f32_e32 v36, v36, v38
	s_waitcnt lgkmcnt(12)
	v_add_f32_e32 v37, v37, v46
	ds_bpermute_b32 v52, v53, v33
	ds_bpermute_b32 v38, v53, v51
	v_add_f32_e32 v10, v10, v18
	ds_bpermute_b32 v46, v53, v36
	ds_bpermute_b32 v53, v53, v37
	s_waitcnt lgkmcnt(13)
	v_add_f32_e32 v22, v30, v43
	v_add_f32_e32 v11, v11, v19
	;; [unrolled: 1-line block ×5, first 2 shown]
	s_waitcnt lgkmcnt(12)
	v_add_f32_e32 v16, v16, v39
	s_waitcnt lgkmcnt(11)
	v_add_f32_e32 v17, v28, v47
	;; [unrolled: 2-line block ×8, first 2 shown]
	v_add_f32_e32 v25, v32, v50
	v_mul_u32_u24_e32 v32, 0x1e0, v127
	s_waitcnt lgkmcnt(3)
	v_add_f32_e32 v26, v33, v52
	v_and_b32_e32 v33, 0x3c7, v54
	s_waitcnt vmcnt(0) lgkmcnt(0)
	s_waitcnt_vscnt null, 0x0
	v_add_f32_e32 v28, v36, v46
	v_add_f32_e32 v29, v37, v53
	s_barrier
	buffer_gl0_inv
	v_lshrrev_b32_e32 v30, 3, v27
	v_add_f32_e32 v27, v51, v38
	v_lshl_add_u32 v31, v30, 2, 0x200
	v_cmpx_eq_u32_e32 64, v33
	s_cbranch_execz .LBB41_99
; %bb.98:
	v_add_nc_u32_e32 v33, v31, v32
	v_add_nc_u32_e32 v34, 0xfffffc40, v33
	;; [unrolled: 1-line block ×6, first 2 shown]
	ds_write_b32 v34, v0
	ds_write_b32 v35, v1
	ds_write_b32 v36, v2
	ds_write_b32 v37, v3
	ds_write_b32 v38, v4
	v_add_nc_u32_e32 v34, 0xfffffc90, v33
	v_add_nc_u32_e32 v35, 0xfffffca0, v33
	v_add_nc_u32_e32 v36, 0xfffffcb0, v33
	v_add_nc_u32_e32 v37, 0xfffffcc0, v33
	v_add_nc_u32_e32 v38, 0xfffffcd0, v33
	ds_write_b32 v34, v5
	ds_write_b32 v35, v6
	ds_write_b32 v36, v7
	ds_write_b32 v37, v8
	ds_write_b32 v38, v9
	v_add_nc_u32_e32 v34, 0xfffffce0, v33
	v_add_nc_u32_e32 v35, 0xfffffcf0, v33
	v_add_nc_u32_e32 v36, 0xfffffd00, v33
	v_add_nc_u32_e32 v37, 0xfffffd10, v33
	v_add_nc_u32_e32 v38, 0xfffffd20, v33
	;; [unrolled: 10-line block ×5, first 2 shown]
	ds_write_b32 v34, v25
	ds_write_b32 v35, v26
	;; [unrolled: 1-line block ×5, first 2 shown]
.LBB41_99:
	s_or_b32 exec_lo, exec_lo, s0
	v_lshlrev_b32_e32 v30, 2, v30
	s_mov_b32 s1, exec_lo
	v_cmp_eq_u32_e32 vcc_lo, 0, v55
	s_waitcnt lgkmcnt(0)
	s_barrier
	v_add3_u32 v30, 0x200, v32, v30
	buffer_gl0_inv
	v_cmpx_gt_u32_e32 64, v54
	s_cbranch_execz .LBB41_132
; %bb.100:
	s_and_saveexec_b32 s0, vcc_lo
	s_cbranch_execnz .LBB41_170
; %bb.101:
	s_or_b32 exec_lo, exec_lo, s0
	s_and_saveexec_b32 s0, vcc_lo
	s_cbranch_execnz .LBB41_171
.LBB41_102:
	s_or_b32 exec_lo, exec_lo, s0
	s_and_saveexec_b32 s0, vcc_lo
	s_cbranch_execnz .LBB41_172
.LBB41_103:
	s_or_b32 exec_lo, exec_lo, s0
	s_and_saveexec_b32 s0, vcc_lo
	s_cbranch_execnz .LBB41_173
.LBB41_104:
	s_or_b32 exec_lo, exec_lo, s0
	s_and_saveexec_b32 s0, vcc_lo
	s_cbranch_execnz .LBB41_174
.LBB41_105:
	s_or_b32 exec_lo, exec_lo, s0
	s_and_saveexec_b32 s0, vcc_lo
	s_cbranch_execnz .LBB41_175
.LBB41_106:
	s_or_b32 exec_lo, exec_lo, s0
	s_and_saveexec_b32 s0, vcc_lo
	s_cbranch_execnz .LBB41_176
.LBB41_107:
	s_or_b32 exec_lo, exec_lo, s0
	s_and_saveexec_b32 s0, vcc_lo
	s_cbranch_execnz .LBB41_177
.LBB41_108:
	s_or_b32 exec_lo, exec_lo, s0
	s_and_saveexec_b32 s0, vcc_lo
	s_cbranch_execnz .LBB41_178
.LBB41_109:
	s_or_b32 exec_lo, exec_lo, s0
	s_and_saveexec_b32 s0, vcc_lo
	s_cbranch_execnz .LBB41_179
.LBB41_110:
	s_or_b32 exec_lo, exec_lo, s0
	s_and_saveexec_b32 s0, vcc_lo
	s_cbranch_execnz .LBB41_180
.LBB41_111:
	s_or_b32 exec_lo, exec_lo, s0
	s_and_saveexec_b32 s0, vcc_lo
	s_cbranch_execnz .LBB41_181
.LBB41_112:
	s_or_b32 exec_lo, exec_lo, s0
	s_and_saveexec_b32 s0, vcc_lo
	s_cbranch_execnz .LBB41_182
.LBB41_113:
	s_or_b32 exec_lo, exec_lo, s0
	s_and_saveexec_b32 s0, vcc_lo
	s_cbranch_execnz .LBB41_183
.LBB41_114:
	s_or_b32 exec_lo, exec_lo, s0
	s_and_saveexec_b32 s0, vcc_lo
	s_cbranch_execnz .LBB41_184
.LBB41_115:
	s_or_b32 exec_lo, exec_lo, s0
	s_and_saveexec_b32 s0, vcc_lo
	s_cbranch_execnz .LBB41_185
.LBB41_116:
	s_or_b32 exec_lo, exec_lo, s0
	s_and_saveexec_b32 s0, vcc_lo
	s_cbranch_execnz .LBB41_186
.LBB41_117:
	s_or_b32 exec_lo, exec_lo, s0
	s_and_saveexec_b32 s0, vcc_lo
	s_cbranch_execnz .LBB41_187
.LBB41_118:
	s_or_b32 exec_lo, exec_lo, s0
	s_and_saveexec_b32 s0, vcc_lo
	s_cbranch_execnz .LBB41_188
.LBB41_119:
	s_or_b32 exec_lo, exec_lo, s0
	s_and_saveexec_b32 s0, vcc_lo
	s_cbranch_execnz .LBB41_189
.LBB41_120:
	s_or_b32 exec_lo, exec_lo, s0
	s_and_saveexec_b32 s0, vcc_lo
	s_cbranch_execnz .LBB41_190
.LBB41_121:
	s_or_b32 exec_lo, exec_lo, s0
	s_and_saveexec_b32 s0, vcc_lo
	s_cbranch_execnz .LBB41_191
.LBB41_122:
	s_or_b32 exec_lo, exec_lo, s0
	s_and_saveexec_b32 s0, vcc_lo
	s_cbranch_execnz .LBB41_192
.LBB41_123:
	s_or_b32 exec_lo, exec_lo, s0
	s_and_saveexec_b32 s0, vcc_lo
	s_cbranch_execnz .LBB41_193
.LBB41_124:
	s_or_b32 exec_lo, exec_lo, s0
	s_and_saveexec_b32 s0, vcc_lo
	s_cbranch_execnz .LBB41_194
.LBB41_125:
	s_or_b32 exec_lo, exec_lo, s0
	s_and_saveexec_b32 s0, vcc_lo
	s_cbranch_execnz .LBB41_195
.LBB41_126:
	s_or_b32 exec_lo, exec_lo, s0
	s_and_saveexec_b32 s0, vcc_lo
	s_cbranch_execnz .LBB41_196
.LBB41_127:
	s_or_b32 exec_lo, exec_lo, s0
	s_and_saveexec_b32 s0, vcc_lo
	s_cbranch_execnz .LBB41_197
.LBB41_128:
	s_or_b32 exec_lo, exec_lo, s0
	s_and_saveexec_b32 s0, vcc_lo
	s_cbranch_execnz .LBB41_198
.LBB41_129:
	s_or_b32 exec_lo, exec_lo, s0
	s_and_saveexec_b32 s0, vcc_lo
	s_cbranch_execz .LBB41_131
.LBB41_130:
	ds_read_b32 v32, v30 offset:464
	s_waitcnt lgkmcnt(0)
	v_add_f32_e32 v29, v29, v32
.LBB41_131:
	s_or_b32 exec_lo, exec_lo, s0
.LBB41_132:
	s_or_b32 exec_lo, exec_lo, s1
	v_and_b32_e32 v32, 0x3e7, v54
	s_mov_b32 s1, exec_lo
	s_barrier
	buffer_gl0_inv
	v_cmpx_eq_u32_e32 32, v32
	s_cbranch_execz .LBB41_134
; %bb.133:
	ds_write2_b32 v31, v0, v1 offset1:4
	ds_write2_b32 v31, v2, v3 offset0:8 offset1:12
	ds_write2_b32 v31, v4, v5 offset0:16 offset1:20
	;; [unrolled: 1-line block ×14, first 2 shown]
.LBB41_134:
	s_or_b32 exec_lo, exec_lo, s1
	s_mov_b32 s1, exec_lo
	s_waitcnt lgkmcnt(0)
	s_barrier
	buffer_gl0_inv
	v_cmpx_gt_u32_e32 32, v54
	s_cbranch_execz .LBB41_167
; %bb.135:
	s_and_saveexec_b32 s0, vcc_lo
	s_cbranch_execnz .LBB41_199
; %bb.136:
	s_or_b32 exec_lo, exec_lo, s0
	s_and_saveexec_b32 s0, vcc_lo
	s_cbranch_execnz .LBB41_200
.LBB41_137:
	s_or_b32 exec_lo, exec_lo, s0
	s_and_saveexec_b32 s0, vcc_lo
	s_cbranch_execnz .LBB41_201
.LBB41_138:
	s_or_b32 exec_lo, exec_lo, s0
	s_and_saveexec_b32 s0, vcc_lo
	s_cbranch_execnz .LBB41_202
.LBB41_139:
	s_or_b32 exec_lo, exec_lo, s0
	s_and_saveexec_b32 s0, vcc_lo
	s_cbranch_execnz .LBB41_203
.LBB41_140:
	s_or_b32 exec_lo, exec_lo, s0
	s_and_saveexec_b32 s0, vcc_lo
	s_cbranch_execnz .LBB41_204
.LBB41_141:
	s_or_b32 exec_lo, exec_lo, s0
	s_and_saveexec_b32 s0, vcc_lo
	s_cbranch_execnz .LBB41_205
.LBB41_142:
	s_or_b32 exec_lo, exec_lo, s0
	s_and_saveexec_b32 s0, vcc_lo
	s_cbranch_execnz .LBB41_206
.LBB41_143:
	s_or_b32 exec_lo, exec_lo, s0
	s_and_saveexec_b32 s0, vcc_lo
	s_cbranch_execnz .LBB41_207
.LBB41_144:
	s_or_b32 exec_lo, exec_lo, s0
	s_and_saveexec_b32 s0, vcc_lo
	s_cbranch_execnz .LBB41_208
.LBB41_145:
	s_or_b32 exec_lo, exec_lo, s0
	s_and_saveexec_b32 s0, vcc_lo
	s_cbranch_execnz .LBB41_209
.LBB41_146:
	s_or_b32 exec_lo, exec_lo, s0
	s_and_saveexec_b32 s0, vcc_lo
	s_cbranch_execnz .LBB41_210
.LBB41_147:
	s_or_b32 exec_lo, exec_lo, s0
	s_and_saveexec_b32 s0, vcc_lo
	s_cbranch_execnz .LBB41_211
.LBB41_148:
	s_or_b32 exec_lo, exec_lo, s0
	s_and_saveexec_b32 s0, vcc_lo
	s_cbranch_execnz .LBB41_212
.LBB41_149:
	s_or_b32 exec_lo, exec_lo, s0
	s_and_saveexec_b32 s0, vcc_lo
	s_cbranch_execnz .LBB41_213
.LBB41_150:
	s_or_b32 exec_lo, exec_lo, s0
	s_and_saveexec_b32 s0, vcc_lo
	s_cbranch_execnz .LBB41_214
.LBB41_151:
	s_or_b32 exec_lo, exec_lo, s0
	s_and_saveexec_b32 s0, vcc_lo
	s_cbranch_execnz .LBB41_215
.LBB41_152:
	s_or_b32 exec_lo, exec_lo, s0
	s_and_saveexec_b32 s0, vcc_lo
	s_cbranch_execnz .LBB41_216
.LBB41_153:
	s_or_b32 exec_lo, exec_lo, s0
	s_and_saveexec_b32 s0, vcc_lo
	s_cbranch_execnz .LBB41_217
.LBB41_154:
	s_or_b32 exec_lo, exec_lo, s0
	s_and_saveexec_b32 s0, vcc_lo
	s_cbranch_execnz .LBB41_218
.LBB41_155:
	s_or_b32 exec_lo, exec_lo, s0
	s_and_saveexec_b32 s0, vcc_lo
	s_cbranch_execnz .LBB41_219
.LBB41_156:
	s_or_b32 exec_lo, exec_lo, s0
	s_and_saveexec_b32 s0, vcc_lo
	s_cbranch_execnz .LBB41_220
.LBB41_157:
	s_or_b32 exec_lo, exec_lo, s0
	s_and_saveexec_b32 s0, vcc_lo
	s_cbranch_execnz .LBB41_221
.LBB41_158:
	s_or_b32 exec_lo, exec_lo, s0
	s_and_saveexec_b32 s0, vcc_lo
	s_cbranch_execnz .LBB41_222
.LBB41_159:
	s_or_b32 exec_lo, exec_lo, s0
	s_and_saveexec_b32 s0, vcc_lo
	s_cbranch_execnz .LBB41_223
.LBB41_160:
	s_or_b32 exec_lo, exec_lo, s0
	s_and_saveexec_b32 s0, vcc_lo
	s_cbranch_execnz .LBB41_224
.LBB41_161:
	s_or_b32 exec_lo, exec_lo, s0
	s_and_saveexec_b32 s0, vcc_lo
	s_cbranch_execnz .LBB41_225
.LBB41_162:
	s_or_b32 exec_lo, exec_lo, s0
	s_and_saveexec_b32 s0, vcc_lo
	s_cbranch_execnz .LBB41_226
.LBB41_163:
	s_or_b32 exec_lo, exec_lo, s0
	s_and_saveexec_b32 s0, vcc_lo
	s_cbranch_execnz .LBB41_227
.LBB41_164:
	s_or_b32 exec_lo, exec_lo, s0
	s_and_saveexec_b32 s0, vcc_lo
	s_cbranch_execz .LBB41_166
.LBB41_165:
	ds_read_b32 v30, v30 offset:464
	s_waitcnt lgkmcnt(0)
	v_add_f32_e32 v29, v29, v30
.LBB41_166:
	s_or_b32 exec_lo, exec_lo, s0
.LBB41_167:
	s_or_b32 exec_lo, exec_lo, s1
	s_barrier
	buffer_gl0_inv
	s_mov_b32 s0, exec_lo
	v_cmpx_eq_u32_e32 0, v32
	s_cbranch_execz .LBB41_169
; %bb.168:
	s_mul_i32 s0, s10, s11
	s_mul_i32 s2, s11, s20
	;; [unrolled: 1-line block ×3, first 2 shown]
	v_lshrrev_b32_e32 v30, 1, v54
	s_mulk_i32 s0, 0x78
	s_ashr_i32 s1, s0, 31
	s_lshl_b64 s[0:1], s[0:1], 2
	s_add_u32 s4, s6, s0
	s_addc_u32 s5, s7, s1
	s_ashr_i32 s3, s2, 31
	s_lshl_b64 s[0:1], s[2:3], 2
	s_mul_i32 s2, s8, 0x78
	s_add_u32 s4, s4, s0
	s_addc_u32 s5, s5, s1
	s_ashr_i32 s3, s2, 31
	s_lshl_b64 s[0:1], s[2:3], 2
	s_add_u32 s0, s4, s0
	s_addc_u32 s1, s5, s1
	global_store_dword v30, v0, s[0:1]
	global_store_dword v30, v1, s[0:1] offset:16
	global_store_dword v30, v2, s[0:1] offset:32
	;; [unrolled: 1-line block ×29, first 2 shown]
.LBB41_169:
	s_endpgm
.LBB41_170:
	ds_read_b32 v32, v30
	s_waitcnt lgkmcnt(0)
	v_add_f32_e32 v0, v0, v32
	s_or_b32 exec_lo, exec_lo, s0
	s_and_saveexec_b32 s0, vcc_lo
	s_cbranch_execz .LBB41_102
.LBB41_171:
	ds_read_b32 v32, v30 offset:16
	s_waitcnt lgkmcnt(0)
	v_add_f32_e32 v1, v1, v32
	s_or_b32 exec_lo, exec_lo, s0
	s_and_saveexec_b32 s0, vcc_lo
	s_cbranch_execz .LBB41_103
.LBB41_172:
	ds_read_b32 v32, v30 offset:32
	s_waitcnt lgkmcnt(0)
	v_add_f32_e32 v2, v2, v32
	s_or_b32 exec_lo, exec_lo, s0
	s_and_saveexec_b32 s0, vcc_lo
	s_cbranch_execz .LBB41_104
.LBB41_173:
	ds_read_b32 v32, v30 offset:48
	s_waitcnt lgkmcnt(0)
	v_add_f32_e32 v3, v3, v32
	s_or_b32 exec_lo, exec_lo, s0
	s_and_saveexec_b32 s0, vcc_lo
	s_cbranch_execz .LBB41_105
.LBB41_174:
	ds_read_b32 v32, v30 offset:64
	s_waitcnt lgkmcnt(0)
	v_add_f32_e32 v4, v4, v32
	s_or_b32 exec_lo, exec_lo, s0
	s_and_saveexec_b32 s0, vcc_lo
	s_cbranch_execz .LBB41_106
.LBB41_175:
	ds_read_b32 v32, v30 offset:80
	s_waitcnt lgkmcnt(0)
	v_add_f32_e32 v5, v5, v32
	s_or_b32 exec_lo, exec_lo, s0
	s_and_saveexec_b32 s0, vcc_lo
	s_cbranch_execz .LBB41_107
.LBB41_176:
	ds_read_b32 v32, v30 offset:96
	s_waitcnt lgkmcnt(0)
	v_add_f32_e32 v6, v6, v32
	s_or_b32 exec_lo, exec_lo, s0
	s_and_saveexec_b32 s0, vcc_lo
	s_cbranch_execz .LBB41_108
.LBB41_177:
	ds_read_b32 v32, v30 offset:112
	s_waitcnt lgkmcnt(0)
	v_add_f32_e32 v7, v7, v32
	s_or_b32 exec_lo, exec_lo, s0
	s_and_saveexec_b32 s0, vcc_lo
	s_cbranch_execz .LBB41_109
.LBB41_178:
	ds_read_b32 v32, v30 offset:128
	s_waitcnt lgkmcnt(0)
	v_add_f32_e32 v8, v8, v32
	s_or_b32 exec_lo, exec_lo, s0
	s_and_saveexec_b32 s0, vcc_lo
	s_cbranch_execz .LBB41_110
.LBB41_179:
	ds_read_b32 v32, v30 offset:144
	s_waitcnt lgkmcnt(0)
	v_add_f32_e32 v9, v9, v32
	s_or_b32 exec_lo, exec_lo, s0
	s_and_saveexec_b32 s0, vcc_lo
	s_cbranch_execz .LBB41_111
.LBB41_180:
	ds_read_b32 v32, v30 offset:160
	s_waitcnt lgkmcnt(0)
	v_add_f32_e32 v10, v10, v32
	s_or_b32 exec_lo, exec_lo, s0
	s_and_saveexec_b32 s0, vcc_lo
	s_cbranch_execz .LBB41_112
.LBB41_181:
	ds_read_b32 v32, v30 offset:176
	s_waitcnt lgkmcnt(0)
	v_add_f32_e32 v11, v11, v32
	s_or_b32 exec_lo, exec_lo, s0
	s_and_saveexec_b32 s0, vcc_lo
	s_cbranch_execz .LBB41_113
.LBB41_182:
	ds_read_b32 v32, v30 offset:192
	s_waitcnt lgkmcnt(0)
	v_add_f32_e32 v12, v12, v32
	s_or_b32 exec_lo, exec_lo, s0
	s_and_saveexec_b32 s0, vcc_lo
	s_cbranch_execz .LBB41_114
.LBB41_183:
	ds_read_b32 v32, v30 offset:208
	s_waitcnt lgkmcnt(0)
	v_add_f32_e32 v13, v13, v32
	s_or_b32 exec_lo, exec_lo, s0
	s_and_saveexec_b32 s0, vcc_lo
	s_cbranch_execz .LBB41_115
.LBB41_184:
	ds_read_b32 v32, v30 offset:224
	s_waitcnt lgkmcnt(0)
	v_add_f32_e32 v14, v14, v32
	s_or_b32 exec_lo, exec_lo, s0
	s_and_saveexec_b32 s0, vcc_lo
	s_cbranch_execz .LBB41_116
.LBB41_185:
	ds_read_b32 v32, v30 offset:240
	s_waitcnt lgkmcnt(0)
	v_add_f32_e32 v15, v15, v32
	s_or_b32 exec_lo, exec_lo, s0
	s_and_saveexec_b32 s0, vcc_lo
	s_cbranch_execz .LBB41_117
.LBB41_186:
	ds_read_b32 v32, v30 offset:256
	s_waitcnt lgkmcnt(0)
	v_add_f32_e32 v16, v16, v32
	s_or_b32 exec_lo, exec_lo, s0
	s_and_saveexec_b32 s0, vcc_lo
	s_cbranch_execz .LBB41_118
.LBB41_187:
	ds_read_b32 v32, v30 offset:272
	s_waitcnt lgkmcnt(0)
	v_add_f32_e32 v17, v17, v32
	s_or_b32 exec_lo, exec_lo, s0
	s_and_saveexec_b32 s0, vcc_lo
	s_cbranch_execz .LBB41_119
.LBB41_188:
	ds_read_b32 v32, v30 offset:288
	s_waitcnt lgkmcnt(0)
	v_add_f32_e32 v18, v18, v32
	s_or_b32 exec_lo, exec_lo, s0
	s_and_saveexec_b32 s0, vcc_lo
	s_cbranch_execz .LBB41_120
.LBB41_189:
	ds_read_b32 v32, v30 offset:304
	s_waitcnt lgkmcnt(0)
	v_add_f32_e32 v19, v19, v32
	s_or_b32 exec_lo, exec_lo, s0
	s_and_saveexec_b32 s0, vcc_lo
	s_cbranch_execz .LBB41_121
.LBB41_190:
	ds_read_b32 v32, v30 offset:320
	s_waitcnt lgkmcnt(0)
	v_add_f32_e32 v20, v20, v32
	s_or_b32 exec_lo, exec_lo, s0
	s_and_saveexec_b32 s0, vcc_lo
	s_cbranch_execz .LBB41_122
.LBB41_191:
	ds_read_b32 v32, v30 offset:336
	s_waitcnt lgkmcnt(0)
	v_add_f32_e32 v21, v21, v32
	s_or_b32 exec_lo, exec_lo, s0
	s_and_saveexec_b32 s0, vcc_lo
	s_cbranch_execz .LBB41_123
.LBB41_192:
	ds_read_b32 v32, v30 offset:352
	s_waitcnt lgkmcnt(0)
	v_add_f32_e32 v22, v22, v32
	s_or_b32 exec_lo, exec_lo, s0
	s_and_saveexec_b32 s0, vcc_lo
	s_cbranch_execz .LBB41_124
.LBB41_193:
	ds_read_b32 v32, v30 offset:368
	s_waitcnt lgkmcnt(0)
	v_add_f32_e32 v23, v23, v32
	s_or_b32 exec_lo, exec_lo, s0
	s_and_saveexec_b32 s0, vcc_lo
	s_cbranch_execz .LBB41_125
.LBB41_194:
	ds_read_b32 v32, v30 offset:384
	s_waitcnt lgkmcnt(0)
	v_add_f32_e32 v24, v24, v32
	s_or_b32 exec_lo, exec_lo, s0
	s_and_saveexec_b32 s0, vcc_lo
	s_cbranch_execz .LBB41_126
.LBB41_195:
	ds_read_b32 v32, v30 offset:400
	s_waitcnt lgkmcnt(0)
	v_add_f32_e32 v25, v25, v32
	s_or_b32 exec_lo, exec_lo, s0
	s_and_saveexec_b32 s0, vcc_lo
	s_cbranch_execz .LBB41_127
.LBB41_196:
	ds_read_b32 v32, v30 offset:416
	s_waitcnt lgkmcnt(0)
	v_add_f32_e32 v26, v26, v32
	s_or_b32 exec_lo, exec_lo, s0
	s_and_saveexec_b32 s0, vcc_lo
	s_cbranch_execz .LBB41_128
.LBB41_197:
	ds_read_b32 v32, v30 offset:432
	s_waitcnt lgkmcnt(0)
	v_add_f32_e32 v27, v27, v32
	s_or_b32 exec_lo, exec_lo, s0
	s_and_saveexec_b32 s0, vcc_lo
	s_cbranch_execz .LBB41_129
.LBB41_198:
	ds_read_b32 v32, v30 offset:448
	s_waitcnt lgkmcnt(0)
	v_add_f32_e32 v28, v28, v32
	s_or_b32 exec_lo, exec_lo, s0
	s_and_saveexec_b32 s0, vcc_lo
	s_cbranch_execnz .LBB41_130
	s_branch .LBB41_131
.LBB41_199:
	ds_read_b32 v31, v30
	s_waitcnt lgkmcnt(0)
	v_add_f32_e32 v0, v0, v31
	s_or_b32 exec_lo, exec_lo, s0
	s_and_saveexec_b32 s0, vcc_lo
	s_cbranch_execz .LBB41_137
.LBB41_200:
	ds_read_b32 v31, v30 offset:16
	s_waitcnt lgkmcnt(0)
	v_add_f32_e32 v1, v1, v31
	s_or_b32 exec_lo, exec_lo, s0
	s_and_saveexec_b32 s0, vcc_lo
	s_cbranch_execz .LBB41_138
.LBB41_201:
	ds_read_b32 v31, v30 offset:32
	s_waitcnt lgkmcnt(0)
	v_add_f32_e32 v2, v2, v31
	s_or_b32 exec_lo, exec_lo, s0
	s_and_saveexec_b32 s0, vcc_lo
	s_cbranch_execz .LBB41_139
.LBB41_202:
	ds_read_b32 v31, v30 offset:48
	s_waitcnt lgkmcnt(0)
	v_add_f32_e32 v3, v3, v31
	s_or_b32 exec_lo, exec_lo, s0
	s_and_saveexec_b32 s0, vcc_lo
	s_cbranch_execz .LBB41_140
.LBB41_203:
	ds_read_b32 v31, v30 offset:64
	s_waitcnt lgkmcnt(0)
	v_add_f32_e32 v4, v4, v31
	s_or_b32 exec_lo, exec_lo, s0
	s_and_saveexec_b32 s0, vcc_lo
	s_cbranch_execz .LBB41_141
.LBB41_204:
	ds_read_b32 v31, v30 offset:80
	s_waitcnt lgkmcnt(0)
	v_add_f32_e32 v5, v5, v31
	s_or_b32 exec_lo, exec_lo, s0
	s_and_saveexec_b32 s0, vcc_lo
	s_cbranch_execz .LBB41_142
.LBB41_205:
	ds_read_b32 v31, v30 offset:96
	s_waitcnt lgkmcnt(0)
	v_add_f32_e32 v6, v6, v31
	s_or_b32 exec_lo, exec_lo, s0
	s_and_saveexec_b32 s0, vcc_lo
	s_cbranch_execz .LBB41_143
.LBB41_206:
	ds_read_b32 v31, v30 offset:112
	s_waitcnt lgkmcnt(0)
	v_add_f32_e32 v7, v7, v31
	s_or_b32 exec_lo, exec_lo, s0
	s_and_saveexec_b32 s0, vcc_lo
	s_cbranch_execz .LBB41_144
.LBB41_207:
	ds_read_b32 v31, v30 offset:128
	s_waitcnt lgkmcnt(0)
	v_add_f32_e32 v8, v8, v31
	s_or_b32 exec_lo, exec_lo, s0
	s_and_saveexec_b32 s0, vcc_lo
	s_cbranch_execz .LBB41_145
.LBB41_208:
	ds_read_b32 v31, v30 offset:144
	s_waitcnt lgkmcnt(0)
	v_add_f32_e32 v9, v9, v31
	s_or_b32 exec_lo, exec_lo, s0
	s_and_saveexec_b32 s0, vcc_lo
	s_cbranch_execz .LBB41_146
.LBB41_209:
	ds_read_b32 v31, v30 offset:160
	s_waitcnt lgkmcnt(0)
	v_add_f32_e32 v10, v10, v31
	s_or_b32 exec_lo, exec_lo, s0
	s_and_saveexec_b32 s0, vcc_lo
	s_cbranch_execz .LBB41_147
.LBB41_210:
	ds_read_b32 v31, v30 offset:176
	s_waitcnt lgkmcnt(0)
	v_add_f32_e32 v11, v11, v31
	s_or_b32 exec_lo, exec_lo, s0
	s_and_saveexec_b32 s0, vcc_lo
	s_cbranch_execz .LBB41_148
.LBB41_211:
	ds_read_b32 v31, v30 offset:192
	s_waitcnt lgkmcnt(0)
	v_add_f32_e32 v12, v12, v31
	s_or_b32 exec_lo, exec_lo, s0
	s_and_saveexec_b32 s0, vcc_lo
	s_cbranch_execz .LBB41_149
.LBB41_212:
	ds_read_b32 v31, v30 offset:208
	s_waitcnt lgkmcnt(0)
	v_add_f32_e32 v13, v13, v31
	s_or_b32 exec_lo, exec_lo, s0
	s_and_saveexec_b32 s0, vcc_lo
	s_cbranch_execz .LBB41_150
.LBB41_213:
	ds_read_b32 v31, v30 offset:224
	s_waitcnt lgkmcnt(0)
	v_add_f32_e32 v14, v14, v31
	s_or_b32 exec_lo, exec_lo, s0
	s_and_saveexec_b32 s0, vcc_lo
	s_cbranch_execz .LBB41_151
.LBB41_214:
	ds_read_b32 v31, v30 offset:240
	s_waitcnt lgkmcnt(0)
	v_add_f32_e32 v15, v15, v31
	s_or_b32 exec_lo, exec_lo, s0
	s_and_saveexec_b32 s0, vcc_lo
	s_cbranch_execz .LBB41_152
.LBB41_215:
	ds_read_b32 v31, v30 offset:256
	s_waitcnt lgkmcnt(0)
	v_add_f32_e32 v16, v16, v31
	s_or_b32 exec_lo, exec_lo, s0
	s_and_saveexec_b32 s0, vcc_lo
	s_cbranch_execz .LBB41_153
.LBB41_216:
	ds_read_b32 v31, v30 offset:272
	s_waitcnt lgkmcnt(0)
	v_add_f32_e32 v17, v17, v31
	s_or_b32 exec_lo, exec_lo, s0
	s_and_saveexec_b32 s0, vcc_lo
	s_cbranch_execz .LBB41_154
.LBB41_217:
	ds_read_b32 v31, v30 offset:288
	s_waitcnt lgkmcnt(0)
	v_add_f32_e32 v18, v18, v31
	s_or_b32 exec_lo, exec_lo, s0
	s_and_saveexec_b32 s0, vcc_lo
	s_cbranch_execz .LBB41_155
.LBB41_218:
	ds_read_b32 v31, v30 offset:304
	s_waitcnt lgkmcnt(0)
	v_add_f32_e32 v19, v19, v31
	s_or_b32 exec_lo, exec_lo, s0
	s_and_saveexec_b32 s0, vcc_lo
	s_cbranch_execz .LBB41_156
.LBB41_219:
	ds_read_b32 v31, v30 offset:320
	s_waitcnt lgkmcnt(0)
	v_add_f32_e32 v20, v20, v31
	s_or_b32 exec_lo, exec_lo, s0
	s_and_saveexec_b32 s0, vcc_lo
	s_cbranch_execz .LBB41_157
.LBB41_220:
	ds_read_b32 v31, v30 offset:336
	s_waitcnt lgkmcnt(0)
	v_add_f32_e32 v21, v21, v31
	s_or_b32 exec_lo, exec_lo, s0
	s_and_saveexec_b32 s0, vcc_lo
	s_cbranch_execz .LBB41_158
.LBB41_221:
	ds_read_b32 v31, v30 offset:352
	s_waitcnt lgkmcnt(0)
	v_add_f32_e32 v22, v22, v31
	s_or_b32 exec_lo, exec_lo, s0
	s_and_saveexec_b32 s0, vcc_lo
	s_cbranch_execz .LBB41_159
.LBB41_222:
	ds_read_b32 v31, v30 offset:368
	s_waitcnt lgkmcnt(0)
	v_add_f32_e32 v23, v23, v31
	s_or_b32 exec_lo, exec_lo, s0
	s_and_saveexec_b32 s0, vcc_lo
	s_cbranch_execz .LBB41_160
.LBB41_223:
	ds_read_b32 v31, v30 offset:384
	s_waitcnt lgkmcnt(0)
	v_add_f32_e32 v24, v24, v31
	s_or_b32 exec_lo, exec_lo, s0
	s_and_saveexec_b32 s0, vcc_lo
	s_cbranch_execz .LBB41_161
.LBB41_224:
	ds_read_b32 v31, v30 offset:400
	s_waitcnt lgkmcnt(0)
	v_add_f32_e32 v25, v25, v31
	s_or_b32 exec_lo, exec_lo, s0
	s_and_saveexec_b32 s0, vcc_lo
	s_cbranch_execz .LBB41_162
.LBB41_225:
	ds_read_b32 v31, v30 offset:416
	s_waitcnt lgkmcnt(0)
	v_add_f32_e32 v26, v26, v31
	s_or_b32 exec_lo, exec_lo, s0
	s_and_saveexec_b32 s0, vcc_lo
	s_cbranch_execz .LBB41_163
.LBB41_226:
	ds_read_b32 v31, v30 offset:432
	s_waitcnt lgkmcnt(0)
	v_add_f32_e32 v27, v27, v31
	s_or_b32 exec_lo, exec_lo, s0
	s_and_saveexec_b32 s0, vcc_lo
	s_cbranch_execz .LBB41_164
.LBB41_227:
	ds_read_b32 v31, v30 offset:448
	s_waitcnt lgkmcnt(0)
	v_add_f32_e32 v28, v28, v31
	s_or_b32 exec_lo, exec_lo, s0
	s_and_saveexec_b32 s0, vcc_lo
	s_cbranch_execnz .LBB41_165
	s_branch .LBB41_166
	.section	.rodata,"a",@progbits
	.p2align	6, 0x0
	.amdhsa_kernel _ZN4vllm25paged_attention_v1_kernelIffLi120ELi32ELi128ELNS_18Fp8KVCacheDataTypeE0ELb1EEEvPT_PKS2_PKT0_S8_ifPKiSA_iPKfiiiSC_SC_iiiii
		.amdhsa_group_segment_fixed_size 512
		.amdhsa_private_segment_fixed_size 224
		.amdhsa_kernarg_size 384
		.amdhsa_user_sgpr_count 6
		.amdhsa_user_sgpr_private_segment_buffer 1
		.amdhsa_user_sgpr_dispatch_ptr 0
		.amdhsa_user_sgpr_queue_ptr 0
		.amdhsa_user_sgpr_kernarg_segment_ptr 1
		.amdhsa_user_sgpr_dispatch_id 0
		.amdhsa_user_sgpr_flat_scratch_init 0
		.amdhsa_user_sgpr_private_segment_size 0
		.amdhsa_wavefront_size32 1
		.amdhsa_uses_dynamic_stack 0
		.amdhsa_system_sgpr_private_segment_wavefront_offset 1
		.amdhsa_system_sgpr_workgroup_id_x 1
		.amdhsa_system_sgpr_workgroup_id_y 1
		.amdhsa_system_sgpr_workgroup_id_z 1
		.amdhsa_system_sgpr_workgroup_info 0
		.amdhsa_system_vgpr_workitem_id 0
		.amdhsa_next_free_vgpr 128
		.amdhsa_next_free_sgpr 44
		.amdhsa_reserve_vcc 1
		.amdhsa_reserve_flat_scratch 0
		.amdhsa_float_round_mode_32 0
		.amdhsa_float_round_mode_16_64 0
		.amdhsa_float_denorm_mode_32 3
		.amdhsa_float_denorm_mode_16_64 3
		.amdhsa_dx10_clamp 1
		.amdhsa_ieee_mode 1
		.amdhsa_fp16_overflow 0
		.amdhsa_workgroup_processor_mode 1
		.amdhsa_memory_ordered 1
		.amdhsa_forward_progress 1
		.amdhsa_shared_vgpr_count 0
		.amdhsa_exception_fp_ieee_invalid_op 0
		.amdhsa_exception_fp_denorm_src 0
		.amdhsa_exception_fp_ieee_div_zero 0
		.amdhsa_exception_fp_ieee_overflow 0
		.amdhsa_exception_fp_ieee_underflow 0
		.amdhsa_exception_fp_ieee_inexact 0
		.amdhsa_exception_int_div_zero 0
	.end_amdhsa_kernel
	.section	.text._ZN4vllm25paged_attention_v1_kernelIffLi120ELi32ELi128ELNS_18Fp8KVCacheDataTypeE0ELb1EEEvPT_PKS2_PKT0_S8_ifPKiSA_iPKfiiiSC_SC_iiiii,"axG",@progbits,_ZN4vllm25paged_attention_v1_kernelIffLi120ELi32ELi128ELNS_18Fp8KVCacheDataTypeE0ELb1EEEvPT_PKS2_PKT0_S8_ifPKiSA_iPKfiiiSC_SC_iiiii,comdat
.Lfunc_end41:
	.size	_ZN4vllm25paged_attention_v1_kernelIffLi120ELi32ELi128ELNS_18Fp8KVCacheDataTypeE0ELb1EEEvPT_PKS2_PKT0_S8_ifPKiSA_iPKfiiiSC_SC_iiiii, .Lfunc_end41-_ZN4vllm25paged_attention_v1_kernelIffLi120ELi32ELi128ELNS_18Fp8KVCacheDataTypeE0ELb1EEEvPT_PKS2_PKT0_S8_ifPKiSA_iPKfiiiSC_SC_iiiii
                                        ; -- End function
	.set _ZN4vllm25paged_attention_v1_kernelIffLi120ELi32ELi128ELNS_18Fp8KVCacheDataTypeE0ELb1EEEvPT_PKS2_PKT0_S8_ifPKiSA_iPKfiiiSC_SC_iiiii.num_vgpr, 128
	.set _ZN4vllm25paged_attention_v1_kernelIffLi120ELi32ELi128ELNS_18Fp8KVCacheDataTypeE0ELb1EEEvPT_PKS2_PKT0_S8_ifPKiSA_iPKfiiiSC_SC_iiiii.num_agpr, 0
	.set _ZN4vllm25paged_attention_v1_kernelIffLi120ELi32ELi128ELNS_18Fp8KVCacheDataTypeE0ELb1EEEvPT_PKS2_PKT0_S8_ifPKiSA_iPKfiiiSC_SC_iiiii.numbered_sgpr, 44
	.set _ZN4vllm25paged_attention_v1_kernelIffLi120ELi32ELi128ELNS_18Fp8KVCacheDataTypeE0ELb1EEEvPT_PKS2_PKT0_S8_ifPKiSA_iPKfiiiSC_SC_iiiii.num_named_barrier, 0
	.set _ZN4vllm25paged_attention_v1_kernelIffLi120ELi32ELi128ELNS_18Fp8KVCacheDataTypeE0ELb1EEEvPT_PKS2_PKT0_S8_ifPKiSA_iPKfiiiSC_SC_iiiii.private_seg_size, 224
	.set _ZN4vllm25paged_attention_v1_kernelIffLi120ELi32ELi128ELNS_18Fp8KVCacheDataTypeE0ELb1EEEvPT_PKS2_PKT0_S8_ifPKiSA_iPKfiiiSC_SC_iiiii.uses_vcc, 1
	.set _ZN4vllm25paged_attention_v1_kernelIffLi120ELi32ELi128ELNS_18Fp8KVCacheDataTypeE0ELb1EEEvPT_PKS2_PKT0_S8_ifPKiSA_iPKfiiiSC_SC_iiiii.uses_flat_scratch, 0
	.set _ZN4vllm25paged_attention_v1_kernelIffLi120ELi32ELi128ELNS_18Fp8KVCacheDataTypeE0ELb1EEEvPT_PKS2_PKT0_S8_ifPKiSA_iPKfiiiSC_SC_iiiii.has_dyn_sized_stack, 0
	.set _ZN4vllm25paged_attention_v1_kernelIffLi120ELi32ELi128ELNS_18Fp8KVCacheDataTypeE0ELb1EEEvPT_PKS2_PKT0_S8_ifPKiSA_iPKfiiiSC_SC_iiiii.has_recursion, 0
	.set _ZN4vllm25paged_attention_v1_kernelIffLi120ELi32ELi128ELNS_18Fp8KVCacheDataTypeE0ELb1EEEvPT_PKS2_PKT0_S8_ifPKiSA_iPKfiiiSC_SC_iiiii.has_indirect_call, 0
	.section	.AMDGPU.csdata,"",@progbits
; Kernel info:
; codeLenInByte = 14736
; TotalNumSgprs: 46
; NumVgprs: 128
; ScratchSize: 224
; MemoryBound: 0
; FloatMode: 240
; IeeeMode: 1
; LDSByteSize: 512 bytes/workgroup (compile time only)
; SGPRBlocks: 0
; VGPRBlocks: 15
; NumSGPRsForWavesPerEU: 46
; NumVGPRsForWavesPerEU: 128
; Occupancy: 8
; WaveLimiterHint : 1
; COMPUTE_PGM_RSRC2:SCRATCH_EN: 1
; COMPUTE_PGM_RSRC2:USER_SGPR: 6
; COMPUTE_PGM_RSRC2:TRAP_HANDLER: 0
; COMPUTE_PGM_RSRC2:TGID_X_EN: 1
; COMPUTE_PGM_RSRC2:TGID_Y_EN: 1
; COMPUTE_PGM_RSRC2:TGID_Z_EN: 1
; COMPUTE_PGM_RSRC2:TIDIG_COMP_CNT: 0
	.section	.text._ZN4vllm25paged_attention_v1_kernelIffLi128ELi32ELi128ELNS_18Fp8KVCacheDataTypeE0ELb1EEEvPT_PKS2_PKT0_S8_ifPKiSA_iPKfiiiSC_SC_iiiii,"axG",@progbits,_ZN4vllm25paged_attention_v1_kernelIffLi128ELi32ELi128ELNS_18Fp8KVCacheDataTypeE0ELb1EEEvPT_PKS2_PKT0_S8_ifPKiSA_iPKfiiiSC_SC_iiiii,comdat
	.protected	_ZN4vllm25paged_attention_v1_kernelIffLi128ELi32ELi128ELNS_18Fp8KVCacheDataTypeE0ELb1EEEvPT_PKS2_PKT0_S8_ifPKiSA_iPKfiiiSC_SC_iiiii ; -- Begin function _ZN4vllm25paged_attention_v1_kernelIffLi128ELi32ELi128ELNS_18Fp8KVCacheDataTypeE0ELb1EEEvPT_PKS2_PKT0_S8_ifPKiSA_iPKfiiiSC_SC_iiiii
	.globl	_ZN4vllm25paged_attention_v1_kernelIffLi128ELi32ELi128ELNS_18Fp8KVCacheDataTypeE0ELb1EEEvPT_PKS2_PKT0_S8_ifPKiSA_iPKfiiiSC_SC_iiiii
	.p2align	8
	.type	_ZN4vllm25paged_attention_v1_kernelIffLi128ELi32ELi128ELNS_18Fp8KVCacheDataTypeE0ELb1EEEvPT_PKS2_PKT0_S8_ifPKiSA_iPKfiiiSC_SC_iiiii,@function
_ZN4vllm25paged_attention_v1_kernelIffLi128ELi32ELi128ELNS_18Fp8KVCacheDataTypeE0ELb1EEEvPT_PKS2_PKT0_S8_ifPKiSA_iPKfiiiSC_SC_iiiii: ; @_ZN4vllm25paged_attention_v1_kernelIffLi128ELi32ELi128ELNS_18Fp8KVCacheDataTypeE0ELb1EEEvPT_PKS2_PKT0_S8_ifPKiSA_iPKfiiiSC_SC_iiiii
; %bb.0:
	s_mov_b64 s[42:43], s[2:3]
	s_mov_b64 s[40:41], s[0:1]
	s_mov_b32 s10, s7
	s_add_u32 s40, s40, s9
	s_clause 0x2
	s_load_dword s9, s[4:5], 0x80
	s_load_dwordx2 s[0:1], s[4:5], 0x30
	s_load_dwordx2 s[28:29], s[4:5], 0x20
	s_addc_u32 s41, s41, 0
	s_ashr_i32 s11, s7, 31
	v_mov_b32_e32 v55, v0
	s_lshl_b64 s[2:3], s[10:11], 2
	s_mov_b32 s33, 0
	s_waitcnt lgkmcnt(0)
	s_add_u32 s0, s0, s2
	s_addc_u32 s1, s1, s3
	s_abs_i32 s2, s28
	s_abs_i32 s11, s9
	v_cvt_f32_u32_e32 v0, s2
	s_sub_i32 s7, 0, s2
	v_rcp_iflag_f32_e32 v0, v0
	v_mul_f32_e32 v0, 0x4f7ffffe, v0
	v_cvt_u32_f32_e32 v0, v0
	v_readfirstlane_b32 s3, v0
	s_mul_i32 s7, s7, s3
	s_mul_hi_u32 s7, s3, s7
	s_add_i32 s3, s3, s7
	s_xor_b32 s7, s9, s28
	s_mul_hi_u32 s3, s11, s3
	s_ashr_i32 s7, s7, 31
	s_mul_i32 s12, s3, s2
	s_sub_i32 s11, s11, s12
	s_add_i32 s12, s3, 1
	s_sub_i32 s13, s11, s2
	s_cmp_ge_u32 s11, s2
	s_cselect_b32 s3, s12, s3
	s_cselect_b32 s11, s13, s11
	s_add_i32 s12, s3, 1
	s_cmp_ge_u32 s11, s2
	s_cselect_b32 s2, s12, s3
	s_abs_i32 s22, s6
	s_xor_b32 s2, s2, s7
	s_sub_i32 s16, s2, s7
	s_load_dwordx2 s[2:3], s[4:5], 0x40
	s_abs_i32 s11, s16
	v_cvt_f32_u32_e32 v0, s11
	s_sub_i32 s12, 0, s11
	v_rcp_iflag_f32_e32 v0, v0
	v_mul_f32_e32 v0, 0x4f7ffffe, v0
	v_cvt_u32_f32_e32 v0, v0
	v_readfirstlane_b32 s7, v0
	s_mul_i32 s12, s12, s7
	s_mul_hi_u32 s12, s7, s12
	s_add_i32 s7, s7, s12
	s_waitcnt lgkmcnt(0)
	s_cmp_eq_u64 s[2:3], 0
	s_mul_hi_u32 s23, s22, s7
	s_cbranch_scc1 .LBB42_2
; %bb.1:
	s_ashr_i32 s7, s6, 31
	s_lshl_b64 s[12:13], s[6:7], 2
	s_add_u32 s2, s2, s12
	s_addc_u32 s3, s3, s13
	s_load_dword s33, s[2:3], 0x0
.LBB42_2:
	s_load_dword s30, s[0:1], 0x0
	s_load_dwordx4 s[12:15], s[4:5], 0x48
	v_cmp_gt_u32_e64 s0, 32, v55
	s_ashr_i32 s1, s6, 31
	s_ashr_i32 s2, s16, 31
	s_lshl_b32 s20, s6, 7
	s_and_saveexec_b32 s3, s0
	s_cbranch_execz .LBB42_4
; %bb.3:
	s_load_dwordx2 s[16:17], s[4:5], 0x8
	s_waitcnt lgkmcnt(0)
	s_mul_i32 s18, s12, s10
	v_lshlrev_b32_e32 v4, 4, v55
	s_ashr_i32 s19, s18, 31
	s_lshl_b64 s[18:19], s[18:19], 2
	s_add_u32 s7, s16, s18
	s_addc_u32 s12, s17, s19
	s_ashr_i32 s21, s20, 31
	s_lshl_b64 s[16:17], s[20:21], 2
	s_add_u32 s16, s7, s16
	s_addc_u32 s17, s12, s17
	global_load_dwordx4 v[0:3], v4, s[16:17]
	s_waitcnt vmcnt(0)
	ds_write_b128 v4, v[0:3]
.LBB42_4:
	s_or_b32 exec_lo, exec_lo, s3
	s_load_dwordx4 s[16:19], s[4:5], 0x68
	s_mul_i32 s3, s23, s11
	s_xor_b32 s2, s1, s2
	s_sub_i32 s1, s22, s3
	s_add_i32 s3, s23, 1
	s_sub_i32 s7, s1, s11
	s_cmp_ge_u32 s1, s11
	s_waitcnt lgkmcnt(0)
	s_mov_b32 s15, -1
	s_cselect_b32 s3, s3, s23
	s_cselect_b32 s1, s7, s1
	s_add_i32 s7, s3, 1
	s_cmp_ge_u32 s1, s11
	s_load_dword s1, s[4:5], 0x78
	s_cselect_b32 s3, s7, s3
	s_add_i32 s11, s30, -1
	s_xor_b32 s3, s3, s2
	s_abs_i32 s7, s11
	s_sub_i32 s2, s3, s2
	s_waitcnt lgkmcnt(0)
	s_barrier
	s_abs_i32 s12, s19
	buffer_gl0_inv
	v_cvt_f32_u32_e32 v0, s12
	s_sub_i32 s3, 0, s12
                                        ; implicit-def: $sgpr31
	v_rcp_iflag_f32_e32 v0, v0
	v_mul_f32_e32 v0, 0x4f7ffffe, v0
	v_cvt_u32_f32_e32 v0, v0
	v_readfirstlane_b32 s21, v0
	s_mul_i32 s3, s3, s21
	s_mul_hi_u32 s3, s21, s3
	s_add_i32 s21, s21, s3
	s_cmp_lt_i32 s1, 0
	s_mul_hi_u32 s3, s7, s21
	s_cbranch_scc0 .LBB42_6
; %bb.5:
	s_mul_i32 s15, s16, s28
	s_add_i32 s15, s2, s15
	s_mul_i32 s15, s15, s1
	s_sub_i32 s31, 1, s15
	s_mov_b32 s15, 0
.LBB42_6:
	s_load_dwordx2 s[22:23], s[4:5], 0x28
	s_ashr_i32 s11, s11, 31
	s_andn2_b32 vcc_lo, exec_lo, s15
	s_ashr_i32 s19, s19, 31
	s_cbranch_vccnz .LBB42_8
; %bb.7:
	s_mul_i32 s15, s9, s16
	s_add_i32 s6, s15, s6
	s_mul_i32 s1, s6, s1
	s_add_i32 s31, s1, 1
.LBB42_8:
	s_load_dword s1, s[4:5], 0x38
	s_mul_i32 s6, s3, s12
	s_xor_b32 s15, s11, s19
	s_sub_i32 s28, s7, s6
	s_add_i32 s16, s3, 1
	s_clause 0x2
	s_load_dwordx2 s[6:7], s[4:5], 0x0
	s_load_dwordx2 s[26:27], s[4:5], 0x18
	s_load_dword s11, s[4:5], 0x88
	v_lshrrev_b32_e32 v127, 5, v55
	v_and_b32_e32 v0, 31, v55
	v_mov_b32_e32 v7, 0xff7fffff
	v_lshrrev_b32_e32 v9, 3, v55
	s_mul_i32 s14, s2, s14
	buffer_store_dword v0, off, s[40:43], 0 offset:244 ; 4-byte Folded Spill
	v_lshlrev_b32_e32 v10, 2, v0
	v_lshlrev_b32_e32 v0, 5, v127
	buffer_store_dword v0, off, s[40:43], 0 ; 4-byte Folded Spill
	s_waitcnt lgkmcnt(0)
	s_mul_i32 s24, s1, s10
	s_sub_i32 s1, s28, s12
	s_ashr_i32 s25, s24, 31
	s_cmp_ge_u32 s28, s12
	s_cselect_b32 s3, s16, s3
	s_cselect_b32 s1, s1, s28
	s_add_i32 s16, s3, 1
	s_cmp_ge_u32 s1, s12
	s_cselect_b32 s1, s16, s3
	s_add_i32 s3, s30, 31
	s_ashr_i32 s16, s3, 31
	s_lshr_b32 s16, s16, 27
	s_add_i32 s3, s3, s16
	s_ashr_i32 s16, s3, 5
	s_xor_b32 s3, s1, s15
	v_cmp_gt_i32_e64 s1, s16, v127
	s_sub_i32 s28, s3, s15
	s_mov_b32 s34, exec_lo
	s_and_b32 s2, s34, s1
	buffer_store_dword v55, off, s[40:43], 0 offset:260 ; 4-byte Folded Spill
	buffer_store_dword v127, off, s[40:43], 0 offset:264 ; 4-byte Folded Spill
	s_mov_b32 exec_lo, s2
	s_cbranch_execz .LBB42_16
; %bb.9:
	buffer_load_dword v6, off, s[40:43], 0 offset:244 ; 4-byte Folded Reload
	s_load_dwordx2 s[2:3], s[4:5], 0x10
	v_mov_b32_e32 v1, 0
	s_ashr_i32 s15, s14, 31
	s_sub_i32 s4, s28, s17
	s_lshl_b64 s[36:37], s[14:15], 2
	v_cmp_neq_f32_e64 vcc_lo, s33, 0
	ds_read_b128 v[2:5], v1
	v_lshlrev_b32_e32 v8, 5, v127
	v_mov_b32_e32 v7, 0xff7fffff
	s_mov_b32 s5, s13
	s_mov_b32 s15, 0
	s_waitcnt lgkmcnt(0)
	s_add_u32 s2, s2, s36
	s_addc_u32 s3, s3, s37
	s_abs_i32 s35, s18
	s_waitcnt vmcnt(0)
	v_lshlrev_b32_e32 v0, 4, v6
	v_add_co_u32 v0, s2, s2, v0
	buffer_store_dword v0, off, s[40:43], 0 offset:4 ; 4-byte Folded Spill
	v_add_co_ci_u32_e64 v0, null, s3, 0, s2
	s_sub_i32 s2, 0, s35
	buffer_store_dword v0, off, s[40:43], 0 offset:20 ; 4-byte Folded Spill
	buffer_store_dword v2, off, s[40:43], 0 offset:36 ; 4-byte Folded Spill
	;; [unrolled: 1-line block ×5, first 2 shown]
	ds_read_b128 v[2:5], v1 offset:16
	v_cvt_f32_u32_e32 v0, s35
	s_waitcnt lgkmcnt(0)
	buffer_store_dword v2, off, s[40:43], 0 offset:52 ; 4-byte Folded Spill
	buffer_store_dword v3, off, s[40:43], 0 offset:56 ; 4-byte Folded Spill
	;; [unrolled: 1-line block ×4, first 2 shown]
	ds_read_b128 v[2:5], v1 offset:32
	v_rcp_iflag_f32_e32 v0, v0
	s_waitcnt lgkmcnt(0)
	buffer_store_dword v2, off, s[40:43], 0 offset:68 ; 4-byte Folded Spill
	buffer_store_dword v3, off, s[40:43], 0 offset:72 ; 4-byte Folded Spill
	;; [unrolled: 1-line block ×4, first 2 shown]
	ds_read_b128 v[2:5], v1 offset:48
	v_mul_f32_e32 v0, 0x4f7ffffe, v0
	s_waitcnt lgkmcnt(0)
	buffer_store_dword v2, off, s[40:43], 0 offset:84 ; 4-byte Folded Spill
	buffer_store_dword v3, off, s[40:43], 0 offset:88 ; 4-byte Folded Spill
	;; [unrolled: 1-line block ×4, first 2 shown]
	ds_read_b128 v[2:5], v1 offset:64
	v_cvt_u32_f32_e32 v0, v0
	s_waitcnt lgkmcnt(0)
	buffer_store_dword v2, off, s[40:43], 0 offset:100 ; 4-byte Folded Spill
	buffer_store_dword v3, off, s[40:43], 0 offset:104 ; 4-byte Folded Spill
	;; [unrolled: 1-line block ×4, first 2 shown]
	ds_read_b128 v[2:5], v1 offset:80
	s_waitcnt lgkmcnt(0)
	buffer_store_dword v2, off, s[40:43], 0 offset:116 ; 4-byte Folded Spill
	buffer_store_dword v3, off, s[40:43], 0 offset:120 ; 4-byte Folded Spill
	;; [unrolled: 1-line block ×4, first 2 shown]
	v_mul_lo_u32 v5, s2, v0
	ds_read_b128 v[25:28], v1 offset:96
	ds_read_b128 v[29:32], v1 offset:112
	;; [unrolled: 1-line block ×26, first 2 shown]
	s_lshl_b64 s[2:3], s[24:25], 2
	buffer_store_dword v9, off, s[40:43], 0 offset:140 ; 4-byte Folded Spill
	s_add_u32 s2, s22, s2
	s_addc_u32 s3, s23, s3
	v_mul_hi_u32 v5, v0, v5
	v_add_nc_u32_e32 v11, v0, v5
	v_and_b32_e32 v0, 0x7c, v9
	v_mov_b32_e32 v5, v127
	v_add_co_u32 v125, s2, s2, v0
	v_subrev_nc_u32_e32 v0, s30, v6
	v_add_co_ci_u32_e64 v126, null, s3, 0, s2
	v_add_nc_u32_e32 v0, 1, v0
	buffer_store_dword v0, off, s[40:43], 0 offset:136 ; 4-byte Folded Spill
	buffer_store_dword v10, off, s[40:43], 0 offset:144 ; 4-byte Folded Spill
	v_lshl_or_b32 v0, v127, 7, v10
	buffer_store_dword v11, off, s[40:43], 0 offset:132 ; 4-byte Folded Spill
	v_add_nc_u32_e32 v127, 0x220, v0
	v_mov_b32_e32 v0, v5
	s_branch .LBB42_11
.LBB42_10:                              ;   in Loop: Header=BB42_11 Depth=1
	s_or_b32 exec_lo, exec_lo, s3
	v_add_nc_u32_e32 v0, 4, v0
	v_add_co_u32 v125, s2, v125, 16
	v_add_co_ci_u32_e64 v126, null, 0, v126, s2
	v_cmp_le_i32_e64 s2, s16, v0
	v_add_nc_u32_e32 v8, 0x80, v8
	v_add_nc_u32_e32 v127, 0x200, v127
	s_or_b32 s15, s2, s15
	s_andn2_b32 exec_lo, exec_lo, s15
	s_cbranch_execz .LBB42_15
.LBB42_11:                              ; =>This Inner Loop Header: Depth=1
	v_mul_hi_u32 v5, v8, s21
	v_mul_lo_u32 v6, v5, s12
	v_add_nc_u32_e32 v9, 1, v5
	v_sub_nc_u32_e32 v6, v8, v6
	v_subrev_nc_u32_e32 v10, s12, v6
	v_cmp_le_u32_e64 s2, s12, v6
	v_cndmask_b32_e64 v5, v5, v9, s2
	v_cndmask_b32_e64 v6, v6, v10, s2
	v_add_nc_u32_e32 v9, 1, v5
	v_cmp_le_u32_e64 s2, s12, v6
	v_cndmask_b32_e64 v5, v5, v9, s2
	v_xor_b32_e32 v5, s19, v5
	v_subrev_nc_u32_e32 v5, s19, v5
	v_add_nc_u32_e32 v6, s31, v5
	v_cmp_ge_i32_e64 s3, s4, v5
	v_sub_nc_u32_e32 v9, 0, v6
	v_max_i32_e32 v9, v6, v9
	v_ashrrev_i32_e32 v6, 31, v6
	v_mul_hi_u32 v10, v9, v11
	v_mul_lo_u32 v10, v10, s35
	v_sub_nc_u32_e32 v9, v9, v10
	v_subrev_nc_u32_e32 v10, s35, v9
	v_cmp_le_u32_e64 s2, s35, v9
	v_cndmask_b32_e64 v9, v9, v10, s2
	v_subrev_nc_u32_e32 v10, s35, v9
	v_cmp_le_u32_e64 s2, s35, v9
	v_cndmask_b32_e64 v9, v9, v10, s2
	v_xor_b32_e32 v9, v9, v6
	v_sub_nc_u32_e32 v6, v9, v6
	v_cmp_ne_u32_e64 s2, 0, v6
	s_and_b32 s2, s2, s3
	s_and_saveexec_b32 s3, s2
	s_xor_b32 s2, exec_lo, s3
; %bb.12:                               ;   in Loop: Header=BB42_11 Depth=1
	v_mov_b32_e32 v5, 0xff7fffff
	ds_write_b32 v127, v5
; %bb.13:                               ;   in Loop: Header=BB42_11 Depth=1
	s_andn2_saveexec_b32 s3, s2
	s_cbranch_execz .LBB42_10
; %bb.14:                               ;   in Loop: Header=BB42_11 Depth=1
	global_load_dword v5, v[125:126], off
	buffer_load_dword v9, off, s[40:43], 0 offset:4 ; 4-byte Folded Reload
	s_waitcnt vmcnt(1)
	v_mad_i64_i32 v[5:6], null, v5, s5, 0
	v_lshlrev_b64 v[5:6], 2, v[5:6]
	s_waitcnt vmcnt(0)
	v_add_co_u32 v5, s2, v9, v5
	buffer_load_dword v9, off, s[40:43], 0 offset:20 ; 4-byte Folded Reload
	s_waitcnt vmcnt(0)
	v_add_co_ci_u32_e64 v6, null, v9, v6, s2
	global_load_dwordx4 v[13:16], v[5:6], off offset:512
	s_clause 0x3
	buffer_load_dword v17, off, s[40:43], 0 offset:52
	buffer_load_dword v18, off, s[40:43], 0 offset:56
	;; [unrolled: 1-line block ×4, first 2 shown]
	s_waitcnt vmcnt(3)
	v_mul_f32_e32 v10, v17, v13
	s_waitcnt vmcnt(2)
	v_mul_f32_e32 v11, v18, v14
	;; [unrolled: 2-line block ×4, first 2 shown]
	global_load_dwordx4 v[13:16], v[5:6], off
	s_clause 0x3
	buffer_load_dword v17, off, s[40:43], 0 offset:36
	buffer_load_dword v18, off, s[40:43], 0 offset:40
	;; [unrolled: 1-line block ×4, first 2 shown]
	s_waitcnt vmcnt(3)
	v_fmac_f32_e32 v10, v17, v13
	s_waitcnt vmcnt(2)
	v_fmac_f32_e32 v11, v18, v14
	;; [unrolled: 2-line block ×4, first 2 shown]
	global_load_dwordx4 v[13:16], v[5:6], off offset:1024
	s_clause 0x3
	buffer_load_dword v17, off, s[40:43], 0 offset:68
	buffer_load_dword v18, off, s[40:43], 0 offset:72
	;; [unrolled: 1-line block ×4, first 2 shown]
	s_waitcnt vmcnt(3)
	v_fmac_f32_e32 v10, v17, v13
	s_waitcnt vmcnt(2)
	v_fmac_f32_e32 v11, v18, v14
	;; [unrolled: 2-line block ×4, first 2 shown]
	global_load_dwordx4 v[13:16], v[5:6], off offset:1536
	s_clause 0x3
	buffer_load_dword v17, off, s[40:43], 0 offset:84
	buffer_load_dword v18, off, s[40:43], 0 offset:88
	;; [unrolled: 1-line block ×4, first 2 shown]
	s_waitcnt vmcnt(3)
	v_fmac_f32_e32 v10, v17, v13
	v_add_co_u32 v17, s2, v5, 0x1000
	s_waitcnt vmcnt(2)
	v_fmac_f32_e32 v11, v18, v14
	v_add_co_ci_u32_e64 v18, null, 0, v6, s2
	s_waitcnt vmcnt(1)
	v_fmac_f32_e32 v12, v19, v15
	s_waitcnt vmcnt(0)
	v_fmac_f32_e32 v9, v20, v16
	global_load_dwordx4 v[13:16], v[17:18], off offset:-2048
	s_clause 0x3
	buffer_load_dword v19, off, s[40:43], 0 offset:100
	buffer_load_dword v20, off, s[40:43], 0 offset:104
	;; [unrolled: 1-line block ×4, first 2 shown]
	s_waitcnt vmcnt(3)
	v_fmac_f32_e32 v10, v19, v13
	v_add_co_u32 v19, s2, 0x800, v5
	s_waitcnt vmcnt(2)
	v_fmac_f32_e32 v11, v20, v14
	v_add_co_ci_u32_e64 v20, null, 0, v6, s2
	s_waitcnt vmcnt(1)
	v_fmac_f32_e32 v12, v21, v15
	s_waitcnt vmcnt(0)
	v_fmac_f32_e32 v9, v22, v16
	global_load_dwordx4 v[13:16], v[19:20], off offset:512
	s_clause 0x3
	buffer_load_dword v21, off, s[40:43], 0 offset:116
	buffer_load_dword v22, off, s[40:43], 0 offset:120
	;; [unrolled: 1-line block ×4, first 2 shown]
	s_waitcnt vmcnt(3)
	v_fmac_f32_e32 v10, v21, v13
	s_waitcnt vmcnt(2)
	v_fmac_f32_e32 v11, v22, v14
	;; [unrolled: 2-line block ×4, first 2 shown]
	global_load_dwordx4 v[13:16], v[19:20], off offset:1024
	s_waitcnt vmcnt(0) lgkmcnt(25)
	v_fmac_f32_e32 v10, v25, v13
	v_fmac_f32_e32 v11, v26, v14
	;; [unrolled: 1-line block ×4, first 2 shown]
	global_load_dwordx4 v[13:16], v[19:20], off offset:1536
	s_waitcnt vmcnt(0) lgkmcnt(24)
	v_fmac_f32_e32 v10, v29, v13
	v_fmac_f32_e32 v11, v30, v14
	;; [unrolled: 1-line block ×4, first 2 shown]
	global_load_dwordx4 v[13:16], v[17:18], off
	v_add_co_u32 v17, s2, 0x1000, v5
	v_add_co_ci_u32_e64 v18, null, 0, v6, s2
	s_waitcnt vmcnt(0) lgkmcnt(23)
	v_fmac_f32_e32 v10, v33, v13
	v_fmac_f32_e32 v11, v34, v14
	v_fmac_f32_e32 v12, v35, v15
	v_fmac_f32_e32 v9, v36, v16
	global_load_dwordx4 v[13:16], v[17:18], off offset:512
	s_waitcnt vmcnt(0) lgkmcnt(22)
	v_fmac_f32_e32 v10, v37, v13
	v_fmac_f32_e32 v11, v38, v14
	v_fmac_f32_e32 v12, v39, v15
	v_fmac_f32_e32 v9, v40, v16
	global_load_dwordx4 v[13:16], v[17:18], off offset:1024
	;; [unrolled: 6-line block ×3, first 2 shown]
	v_add_co_u32 v17, s2, v5, 0x2000
	v_add_co_ci_u32_e64 v18, null, 0, v6, s2
	v_add_co_u32 v19, s2, 0x1800, v5
	v_add_co_ci_u32_e64 v20, null, 0, v6, s2
	s_waitcnt vmcnt(0) lgkmcnt(20)
	v_fmac_f32_e32 v10, v45, v13
	v_fmac_f32_e32 v11, v46, v14
	;; [unrolled: 1-line block ×4, first 2 shown]
	global_load_dwordx4 v[13:16], v[17:18], off offset:-2048
	s_waitcnt vmcnt(0) lgkmcnt(19)
	v_fmac_f32_e32 v10, v49, v13
	v_fmac_f32_e32 v11, v50, v14
	v_fmac_f32_e32 v12, v51, v15
	v_fmac_f32_e32 v9, v52, v16
	global_load_dwordx4 v[13:16], v[19:20], off offset:512
	s_waitcnt vmcnt(0) lgkmcnt(18)
	v_fmac_f32_e32 v10, v53, v13
	v_fmac_f32_e32 v11, v54, v14
	v_fmac_f32_e32 v12, v55, v15
	v_fmac_f32_e32 v9, v56, v16
	global_load_dwordx4 v[13:16], v[19:20], off offset:1024
	;; [unrolled: 6-line block ×3, first 2 shown]
	s_waitcnt vmcnt(0) lgkmcnt(16)
	v_fmac_f32_e32 v10, v61, v13
	v_fmac_f32_e32 v11, v62, v14
	;; [unrolled: 1-line block ×4, first 2 shown]
	global_load_dwordx4 v[13:16], v[17:18], off
	v_add_co_u32 v17, s2, 0x2000, v5
	v_add_co_ci_u32_e64 v18, null, 0, v6, s2
	s_waitcnt vmcnt(0) lgkmcnt(15)
	v_fmac_f32_e32 v10, v65, v13
	v_fmac_f32_e32 v11, v66, v14
	v_fmac_f32_e32 v12, v67, v15
	v_fmac_f32_e32 v9, v68, v16
	global_load_dwordx4 v[13:16], v[17:18], off offset:512
	s_waitcnt vmcnt(0) lgkmcnt(14)
	v_fmac_f32_e32 v10, v69, v13
	v_fmac_f32_e32 v11, v70, v14
	v_fmac_f32_e32 v12, v71, v15
	v_fmac_f32_e32 v9, v72, v16
	global_load_dwordx4 v[13:16], v[17:18], off offset:1024
	s_waitcnt vmcnt(0) lgkmcnt(13)
	v_fmac_f32_e32 v10, v73, v13
	v_fmac_f32_e32 v11, v74, v14
	v_fmac_f32_e32 v12, v75, v15
	v_fmac_f32_e32 v9, v76, v16
	global_load_dwordx4 v[13:16], v[17:18], off offset:1536
	v_add_co_u32 v17, s2, v5, 0x3000
	v_add_co_ci_u32_e64 v18, null, 0, v6, s2
	v_add_co_u32 v19, s2, 0x2800, v5
	v_add_co_ci_u32_e64 v20, null, 0, v6, s2
	s_waitcnt vmcnt(0) lgkmcnt(12)
	v_fmac_f32_e32 v10, v77, v13
	v_fmac_f32_e32 v11, v78, v14
	;; [unrolled: 1-line block ×4, first 2 shown]
	global_load_dwordx4 v[13:16], v[17:18], off offset:-2048
	s_waitcnt vmcnt(0) lgkmcnt(11)
	v_fmac_f32_e32 v10, v81, v13
	v_fmac_f32_e32 v11, v82, v14
	v_fmac_f32_e32 v12, v83, v15
	v_fmac_f32_e32 v9, v84, v16
	global_load_dwordx4 v[13:16], v[19:20], off offset:512
	s_waitcnt vmcnt(0) lgkmcnt(10)
	v_fmac_f32_e32 v10, v85, v13
	v_fmac_f32_e32 v11, v86, v14
	v_fmac_f32_e32 v12, v87, v15
	v_fmac_f32_e32 v9, v88, v16
	global_load_dwordx4 v[13:16], v[19:20], off offset:1024
	;; [unrolled: 6-line block ×3, first 2 shown]
	s_waitcnt vmcnt(0) lgkmcnt(8)
	v_fmac_f32_e32 v10, v93, v13
	v_fmac_f32_e32 v11, v94, v14
	;; [unrolled: 1-line block ×4, first 2 shown]
	global_load_dwordx4 v[13:16], v[17:18], off
	v_add_co_u32 v17, s2, 0x3000, v5
	v_add_co_ci_u32_e64 v18, null, 0, v6, s2
	v_add_co_u32 v5, s2, 0x3800, v5
	v_add_co_ci_u32_e64 v6, null, 0, v6, s2
	s_waitcnt vmcnt(0) lgkmcnt(7)
	v_fmac_f32_e32 v10, v97, v13
	v_fmac_f32_e32 v11, v98, v14
	v_fmac_f32_e32 v12, v99, v15
	v_fmac_f32_e32 v9, v100, v16
	global_load_dwordx4 v[13:16], v[17:18], off offset:512
	s_waitcnt vmcnt(0) lgkmcnt(6)
	v_fmac_f32_e32 v10, v101, v13
	v_fmac_f32_e32 v11, v102, v14
	v_fmac_f32_e32 v12, v103, v15
	v_fmac_f32_e32 v9, v104, v16
	global_load_dwordx4 v[13:16], v[17:18], off offset:1024
	;; [unrolled: 6-line block ×3, first 2 shown]
	s_waitcnt vmcnt(0) lgkmcnt(4)
	v_fmac_f32_e32 v10, v109, v13
	v_fmac_f32_e32 v11, v110, v14
	;; [unrolled: 1-line block ×4, first 2 shown]
	global_load_dwordx4 v[13:16], v[5:6], off
	s_waitcnt vmcnt(0) lgkmcnt(3)
	v_fmac_f32_e32 v10, v113, v13
	v_fmac_f32_e32 v11, v114, v14
	v_fmac_f32_e32 v12, v115, v15
	v_fmac_f32_e32 v9, v116, v16
	global_load_dwordx4 v[13:16], v[5:6], off offset:512
	s_waitcnt vmcnt(0) lgkmcnt(2)
	v_fmac_f32_e32 v10, v117, v13
	v_fmac_f32_e32 v11, v118, v14
	v_fmac_f32_e32 v12, v119, v15
	v_fmac_f32_e32 v9, v120, v16
	global_load_dwordx4 v[13:16], v[5:6], off offset:1024
	;; [unrolled: 6-line block ×3, first 2 shown]
	buffer_load_dword v6, off, s[40:43], 0 offset:244 ; 4-byte Folded Reload
	s_waitcnt vmcnt(1) lgkmcnt(0)
	v_fmac_f32_e32 v10, v1, v13
	v_fmac_f32_e32 v11, v2, v14
	s_waitcnt vmcnt(0)
	v_add_nc_u32_e32 v6, v6, v8
	v_fmac_f32_e32 v12, v3, v15
	v_fmac_f32_e32 v9, v4, v16
	v_add_f32_e32 v5, v10, v11
	buffer_load_dword v11, off, s[40:43], 0 offset:132 ; 4-byte Folded Reload
	v_cmp_gt_i32_e64 s2, s30, v6
	buffer_load_dword v6, off, s[40:43], 0 offset:136 ; 4-byte Folded Reload
	v_add_f32_e32 v5, v12, v5
	v_add_f32_e32 v5, v9, v5
	s_waitcnt vmcnt(0)
	v_add_nc_u32_e32 v6, v6, v8
	v_cvt_f32_i32_e32 v6, v6
	v_mul_f32_e32 v6, s33, v6
	v_cndmask_b32_e32 v6, 0, v6, vcc_lo
	v_fmac_f32_e32 v6, s29, v5
	v_max_f32_e32 v5, v7, v7
	v_max_f32_e32 v5, v5, v6
	v_cndmask_b32_e64 v7, v7, v5, s2
	v_cndmask_b32_e64 v5, 0, v6, s2
	ds_write_b32 v127, v5
	s_branch .LBB42_10
.LBB42_15:
	s_or_b32 exec_lo, exec_lo, s15
	s_waitcnt lgkmcnt(18)
	s_clause 0x3
	buffer_load_dword v55, off, s[40:43], 0 offset:260
	buffer_load_dword v127, off, s[40:43], 0 offset:264
	buffer_load_dword v9, off, s[40:43], 0 offset:140
	buffer_load_dword v10, off, s[40:43], 0 offset:144
.LBB42_16:
	s_or_b32 exec_lo, exec_lo, s34
	s_waitcnt lgkmcnt(0)
	v_mbcnt_lo_u32_b32 v1, -1, 0
	v_max_f32_e32 v4, v7, v7
	v_xor_b32_e32 v0, 16, v1
	v_xor_b32_e32 v3, 8, v1
	v_cmp_gt_i32_e32 vcc_lo, 32, v0
	v_cndmask_b32_e32 v0, v1, v0, vcc_lo
	v_cmp_gt_i32_e32 vcc_lo, 32, v3
	v_lshlrev_b32_e32 v0, 2, v0
	v_cndmask_b32_e32 v3, v1, v3, vcc_lo
	ds_bpermute_b32 v2, v0, v7
	s_waitcnt lgkmcnt(0)
	v_max_f32_e32 v5, v2, v2
	v_lshlrev_b32_e32 v2, 2, v3
	v_max_f32_e32 v3, v4, v5
	v_xor_b32_e32 v5, 4, v1
	ds_bpermute_b32 v4, v2, v3
	v_cmp_gt_i32_e32 vcc_lo, 32, v5
	v_cndmask_b32_e32 v5, v1, v5, vcc_lo
	v_lshlrev_b32_e32 v39, 2, v5
	v_xor_b32_e32 v5, 2, v1
	v_cmp_gt_i32_e32 vcc_lo, 32, v5
	s_waitcnt lgkmcnt(0)
	v_max_f32_e32 v4, v4, v4
	v_cndmask_b32_e32 v5, v1, v5, vcc_lo
	v_max_f32_e32 v3, v3, v4
	v_lshlrev_b32_e32 v48, 2, v5
	v_xor_b32_e32 v5, 1, v1
	ds_bpermute_b32 v4, v39, v3
	v_cmp_gt_i32_e32 vcc_lo, 32, v5
	v_cndmask_b32_e32 v5, v1, v5, vcc_lo
	v_lshlrev_b32_e32 v54, 2, v5
	s_waitcnt lgkmcnt(0)
	v_max_f32_e32 v4, v4, v4
	v_max_f32_e32 v3, v3, v4
	ds_bpermute_b32 v4, v48, v3
	s_waitcnt lgkmcnt(0)
	v_max_f32_e32 v4, v4, v4
	v_max_f32_e32 v1, v3, v4
	buffer_load_dword v3, off, s[40:43], 0 offset:244 ; 4-byte Folded Reload
	ds_bpermute_b32 v4, v54, v1
	s_waitcnt vmcnt(0)
	v_cmp_eq_u32_e32 vcc_lo, 0, v3
	v_lshlrev_b32_e32 v3, 2, v127
	s_and_saveexec_b32 s2, vcc_lo
	s_cbranch_execz .LBB42_18
; %bb.17:
	s_waitcnt lgkmcnt(0)
	v_max_f32_e32 v4, v4, v4
	v_max_f32_e32 v1, v1, v1
	;; [unrolled: 1-line block ×3, first 2 shown]
	ds_write_b32 v3, v1 offset:512
.LBB42_18:
	s_or_b32 exec_lo, exec_lo, s2
	buffer_load_dword v1, off, s[40:43], 0 offset:244 ; 4-byte Folded Reload
	s_waitcnt vmcnt(0) lgkmcnt(0)
	s_waitcnt_vscnt null, 0x0
	s_barrier
	buffer_gl0_inv
	v_cmp_gt_u32_e64 s2, 4, v1
	v_mov_b32_e32 v1, 0xff7fffff
	s_and_saveexec_b32 s3, s2
; %bb.19:
	ds_read_b32 v1, v10 offset:512
; %bb.20:
	s_or_b32 exec_lo, exec_lo, s3
	s_waitcnt lgkmcnt(0)
	ds_bpermute_b32 v4, v48, v1
	v_max_f32_e32 v1, v1, v1
	s_lshl_b32 s3, s16, 5
	s_min_i32 s5, s3, s30
	v_cmp_gt_i32_e64 s3, s5, v55
	s_waitcnt lgkmcnt(0)
	v_max_f32_e32 v4, v4, v4
	v_max_f32_e32 v1, v1, v4
	ds_bpermute_b32 v4, v54, v1
	s_waitcnt lgkmcnt(0)
	v_max_f32_e32 v4, v4, v4
	v_max_f32_e32 v1, v1, v4
	v_mov_b32_e32 v4, 0
	ds_bpermute_b32 v5, v4, v1
	v_lshl_add_u32 v1, v55, 2, 0x220
	s_and_saveexec_b32 s15, s3
	s_cbranch_execz .LBB42_24
; %bb.21:
	v_lshl_add_u32 v6, v55, 2, 0x220
	v_mov_b32_e32 v4, 0
	v_mov_b32_e32 v7, v55
	s_mov_b32 s29, 0
	.p2align	6
.LBB42_22:                              ; =>This Inner Loop Header: Depth=1
	ds_read_b32 v8, v6
	v_add_nc_u32_e32 v7, 0x80, v7
	v_cmp_le_i32_e64 s4, s5, v7
	s_or_b32 s29, s4, s29
	s_waitcnt lgkmcnt(0)
	v_sub_f32_e32 v8, v8, v5
	v_mul_f32_e32 v8, 0x3fb8aa3b, v8
	v_exp_f32_e32 v8, v8
	ds_write_b32 v6, v8
	v_add_f32_e32 v4, v4, v8
	v_add_nc_u32_e32 v6, 0x200, v6
	s_andn2_b32 exec_lo, exec_lo, s29
	s_cbranch_execnz .LBB42_22
; %bb.23:
	s_or_b32 exec_lo, exec_lo, s29
.LBB42_24:
	s_or_b32 exec_lo, exec_lo, s15
	ds_bpermute_b32 v0, v0, v4
	s_waitcnt lgkmcnt(0)
	v_add_f32_e32 v0, v4, v0
	ds_bpermute_b32 v2, v2, v0
	s_waitcnt lgkmcnt(0)
	v_add_f32_e32 v0, v0, v2
	;; [unrolled: 3-line block ×5, first 2 shown]
	s_and_saveexec_b32 s4, vcc_lo
; %bb.25:
	ds_write_b32 v3, v0 offset:528
; %bb.26:
	s_or_b32 exec_lo, exec_lo, s4
	s_waitcnt lgkmcnt(0)
	s_barrier
	buffer_gl0_inv
	s_and_saveexec_b32 s4, s2
; %bb.27:
	ds_read_b32 v0, v10 offset:528
; %bb.28:
	s_or_b32 exec_lo, exec_lo, s4
	s_waitcnt lgkmcnt(0)
	ds_bpermute_b32 v2, v48, v0
	s_waitcnt lgkmcnt(0)
	v_add_f32_e32 v0, v0, v2
	ds_bpermute_b32 v2, v54, v0
	s_waitcnt lgkmcnt(0)
	v_add_f32_e32 v0, v0, v2
	v_mov_b32_e32 v2, 0
	ds_bpermute_b32 v0, v2, v0
	s_and_saveexec_b32 s2, s3
	s_cbranch_execz .LBB42_31
; %bb.29:
	s_waitcnt lgkmcnt(0)
	v_add_f32_e32 v0, 0x358637bd, v0
	s_mov_b32 s3, 0
	v_div_scale_f32 v2, null, v0, v0, 1.0
	v_div_scale_f32 v5, vcc_lo, 1.0, v0, 1.0
	v_rcp_f32_e32 v3, v2
	v_fma_f32 v4, -v2, v3, 1.0
	v_fmac_f32_e32 v3, v4, v3
	v_mul_f32_e32 v4, v5, v3
	v_fma_f32 v6, -v2, v4, v5
	v_fmac_f32_e32 v4, v6, v3
	v_fma_f32 v2, -v2, v4, v5
	v_div_fmas_f32 v2, v2, v3, v4
	v_div_fixup_f32 v0, v2, v0, 1.0
	v_mov_b32_e32 v2, v55
.LBB42_30:                              ; =>This Inner Loop Header: Depth=1
	ds_read_b32 v3, v1
	v_add_nc_u32_e32 v2, 0x80, v2
	v_cmp_le_i32_e32 vcc_lo, s5, v2
	s_or_b32 s3, vcc_lo, s3
	s_waitcnt lgkmcnt(0)
	v_mul_f32_e32 v3, v0, v3
	ds_write_b32 v1, v3
	v_add_nc_u32_e32 v1, 0x200, v1
	s_andn2_b32 exec_lo, exec_lo, s3
	s_cbranch_execnz .LBB42_30
.LBB42_31:
	s_or_b32 exec_lo, exec_lo, s2
	v_mov_b32_e32 v18, 0
	v_and_b32_e32 v56, 7, v55
	v_mov_b32_e32 v37, 0
	v_mov_b32_e32 v17, 0
	;; [unrolled: 1-line block ×31, first 2 shown]
	s_waitcnt lgkmcnt(0)
	s_barrier
	buffer_gl0_inv
	s_and_saveexec_b32 s2, s1
	s_cbranch_execz .LBB42_101
; %bb.32:
	v_lshlrev_b32_e32 v0, 2, v55
	v_lshlrev_b32_e32 v3, 4, v56
	buffer_store_dword v39, off, s[40:43], 0 offset:276 ; 4-byte Folded Spill
	buffer_store_dword v48, off, s[40:43], 0 offset:272 ; 4-byte Folded Spill
	buffer_store_dword v54, off, s[40:43], 0 offset:268 ; 4-byte Folded Spill
	s_ashr_i32 s15, s14, 31
	s_sub_i32 s3, s28, s17
	v_and_b32_e32 v5, 0x7c, v0
	v_lshl_or_b32 v3, v127, 7, v3
	v_and_b32_e32 v4, 28, v0
	v_or_b32_e32 v6, 0xf80, v0
	s_lshl_b64 s[4:5], s[14:15], 2
	v_and_b32_e32 v2, 0x7c, v9
	v_add_nc_u32_e32 v0, 0x220, v3
	v_lshlrev_b32_e32 v3, 2, v5
	s_add_u32 s4, s26, s4
	s_addc_u32 s5, s27, s5
	s_abs_i32 s14, s18
	buffer_store_dword v4, off, s[40:43], 0 offset:248 ; 4-byte Folded Spill
	buffer_store_dword v3, off, s[40:43], 0 offset:252 ; 4-byte Folded Spill
	v_lshlrev_b32_e32 v3, 2, v6
	v_cvt_f32_u32_e32 v1, s14
	s_sub_i32 s1, 0, s14
	s_lshl_b64 s[24:25], s[24:25], 2
	s_add_i32 s15, s16, -1
	buffer_store_dword v3, off, s[40:43], 0 offset:256 ; 4-byte Folded Spill
	buffer_load_dword v3, off, s[40:43], 0  ; 4-byte Folded Reload
	v_rcp_iflag_f32_e32 v1, v1
	v_mov_b32_e32 v49, 0
	v_mov_b32_e32 v50, 0
	;; [unrolled: 1-line block ×9, first 2 shown]
	v_mul_f32_e32 v1, 0x4f7ffffe, v1
	v_mov_b32_e32 v40, 0
	v_mov_b32_e32 v38, 0
	;; [unrolled: 1-line block ×4, first 2 shown]
	v_cvt_u32_f32_e32 v1, v1
	v_mov_b32_e32 v32, 0
	v_mov_b32_e32 v34, 0
	;; [unrolled: 1-line block ×4, first 2 shown]
	v_mul_lo_u32 v4, s1, v1
	s_add_u32 s1, s22, s24
	s_addc_u32 s17, s23, s25
	v_add_co_u32 v125, s1, s1, v2
	v_add_co_ci_u32_e64 v126, null, s17, 0, s1
	v_mov_b32_e32 v59, 0
	v_mul_hi_u32 v4, v1, v4
	v_mov_b32_e32 v30, 0
	v_mov_b32_e32 v27, 0
	;; [unrolled: 1-line block ×7, first 2 shown]
	v_add_nc_u32_e32 v1, v1, v4
	v_mov_b32_e32 v33, 0
	v_mov_b32_e32 v29, 0
	;; [unrolled: 1-line block ×7, first 2 shown]
	s_mov_b32 s17, s13
	s_mov_b32 s13, 0
	buffer_store_dword v56, off, s[40:43], 0 offset:280 ; 4-byte Folded Spill
	buffer_store_dword v1, off, s[40:43], 0 offset:52 ; 4-byte Folded Spill
	s_branch .LBB42_35
.LBB42_33:                              ;   in Loop: Header=BB42_35 Depth=1
	s_or_b32 exec_lo, exec_lo, s1
	s_waitcnt lgkmcnt(0)
	v_mul_f32_e32 v77, v1, v77
	v_mul_f32_e32 v16, v1, v81
	v_mul_f32_e32 v17, v1, v17
	v_mul_f32_e32 v25, v1, v25
	v_mul_f32_e32 v21, v1, v21
	v_fmac_f32_e32 v77, v2, v78
	v_mul_f32_e32 v57, v1, v57
	v_fmac_f32_e32 v17, v2, v18
	v_fmac_f32_e32 v25, v2, v26
	;; [unrolled: 1-line block ×6, first 2 shown]
	v_mul_f32_e32 v29, v1, v29
	v_fmac_f32_e32 v25, v3, v27
	v_fmac_f32_e32 v77, v4, v80
	s_clause 0x3
	buffer_load_dword v78, off, s[40:43], 0 offset:36
	buffer_load_dword v79, off, s[40:43], 0 offset:40
	;; [unrolled: 1-line block ×4, first 2 shown]
	v_fmac_f32_e32 v21, v3, v23
	v_fmac_f32_e32 v57, v3, v59
	;; [unrolled: 1-line block ×4, first 2 shown]
	v_mul_f32_e32 v37, v1, v37
	v_fmac_f32_e32 v21, v4, v24
	v_mul_f32_e32 v33, v1, v33
	v_fmac_f32_e32 v29, v3, v31
	v_fmac_f32_e32 v17, v4, v20
	;; [unrolled: 1-line block ×3, first 2 shown]
	v_mul_f32_e32 v49, v1, v49
	v_fmac_f32_e32 v33, v2, v34
	v_fmac_f32_e32 v29, v4, v32
	v_mul_f32_e32 v41, v1, v41
	v_fmac_f32_e32 v37, v3, v39
	v_fmac_f32_e32 v49, v2, v50
	;; [unrolled: 1-line block ×3, first 2 shown]
	v_mul_f32_e32 v45, v1, v45
	v_fmac_f32_e32 v41, v2, v42
	v_fmac_f32_e32 v37, v4, v40
	;; [unrolled: 1-line block ×6, first 2 shown]
	v_mul_f32_e32 v9, v1, v9
	v_fmac_f32_e32 v49, v4, v52
	v_mul_f32_e32 v5, v1, v5
	v_fmac_f32_e32 v45, v3, v47
	v_fmac_f32_e32 v41, v4, v44
	;; [unrolled: 1-line block ×3, first 2 shown]
	v_mul_f32_e32 v10, v1, v109
	v_fmac_f32_e32 v5, v2, v6
	v_mul_f32_e32 v6, v1, v121
	v_mul_f32_e32 v13, v1, v97
	v_fmac_f32_e32 v9, v3, v11
	v_mul_f32_e32 v11, v1, v105
	v_fmac_f32_e32 v5, v3, v7
	v_mul_f32_e32 v7, v1, v117
	v_mul_f32_e32 v14, v1, v93
	v_fmac_f32_e32 v9, v4, v12
	v_mul_f32_e32 v12, v1, v101
	v_fmac_f32_e32 v5, v4, v8
	v_mul_f32_e32 v8, v1, v113
	v_mul_f32_e32 v15, v1, v85
	;; [unrolled: 1-line block ×7, first 2 shown]
	v_fmac_f32_e32 v6, v2, v122
	v_fmac_f32_e32 v7, v2, v118
	;; [unrolled: 1-line block ×47, first 2 shown]
	s_waitcnt vmcnt(3)
	v_mul_f32_e32 v18, v1, v78
	s_waitcnt vmcnt(2)
	v_fmac_f32_e32 v18, v2, v79
	s_waitcnt vmcnt(1)
	v_fmac_f32_e32 v18, v3, v80
	;; [unrolled: 2-line block ×3, first 2 shown]
	s_clause 0x3
	buffer_load_dword v78, off, s[40:43], 0 offset:20
	buffer_load_dword v79, off, s[40:43], 0 offset:24
	;; [unrolled: 1-line block ×4, first 2 shown]
	s_waitcnt vmcnt(3)
	v_mul_f32_e32 v19, v1, v78
	s_waitcnt vmcnt(2)
	v_fmac_f32_e32 v19, v2, v79
	s_waitcnt vmcnt(1)
	v_fmac_f32_e32 v19, v3, v80
	;; [unrolled: 2-line block ×3, first 2 shown]
	s_clause 0x1b
	buffer_load_dword v78, off, s[40:43], 0 offset:4
	buffer_load_dword v79, off, s[40:43], 0 offset:8
	buffer_load_dword v80, off, s[40:43], 0 offset:12
	buffer_load_dword v81, off, s[40:43], 0 offset:16
	buffer_load_dword v58, off, s[40:43], 0 offset:180
	buffer_load_dword v59, off, s[40:43], 0 offset:184
	buffer_load_dword v30, off, s[40:43], 0 offset:188
	buffer_load_dword v27, off, s[40:43], 0 offset:192
	buffer_load_dword v22, off, s[40:43], 0 offset:196
	buffer_load_dword v23, off, s[40:43], 0 offset:200
	buffer_load_dword v24, off, s[40:43], 0 offset:204
	buffer_load_dword v26, off, s[40:43], 0 offset:208
	buffer_load_dword v28, off, s[40:43], 0 offset:212
	buffer_load_dword v50, off, s[40:43], 0 offset:84
	buffer_load_dword v47, off, s[40:43], 0 offset:100
	buffer_load_dword v44, off, s[40:43], 0 offset:116
	buffer_load_dword v43, off, s[40:43], 0 offset:132
	buffer_load_dword v46, off, s[40:43], 0 offset:136
	buffer_load_dword v51, off, s[40:43], 0 offset:140
	buffer_load_dword v42, off, s[40:43], 0 offset:144
	buffer_load_dword v52, off, s[40:43], 0 offset:148
	buffer_load_dword v40, off, s[40:43], 0 offset:152
	buffer_load_dword v38, off, s[40:43], 0 offset:156
	buffer_load_dword v35, off, s[40:43], 0 offset:160
	buffer_load_dword v31, off, s[40:43], 0 offset:164
	buffer_load_dword v32, off, s[40:43], 0 offset:168
	buffer_load_dword v34, off, s[40:43], 0 offset:172
	buffer_load_dword v36, off, s[40:43], 0 offset:176
	s_waitcnt vmcnt(27)
	v_mul_f32_e32 v20, v1, v78
	v_mul_f32_e32 v1, v1, v89
	s_waitcnt vmcnt(23)
	v_add_f32_e32 v58, v58, v65
	v_fmac_f32_e32 v20, v2, v79
	v_fmac_f32_e32 v1, v2, v90
	s_waitcnt vmcnt(22)
	v_add_f32_e32 v59, v59, v61
	s_waitcnt vmcnt(19)
	v_add_f32_e32 v22, v22, v49
	buffer_load_dword v49, off, s[40:43], 0 offset:68 ; 4-byte Folded Reload
	v_fmac_f32_e32 v20, v3, v80
	s_waitcnt vmcnt(17)
	v_add_f32_e32 v26, v26, v37
	buffer_load_dword v37, off, s[40:43], 0 offset:240 ; 4-byte Folded Reload
	s_waitcnt vmcnt(17)
	v_add_f32_e32 v28, v28, v33
	buffer_load_dword v33, off, s[40:43], 0 offset:216 ; 4-byte Folded Reload
	v_fmac_f32_e32 v1, v3, v91
	v_fmac_f32_e32 v20, v4, v81
	s_waitcnt vmcnt(17)
	v_add_f32_e32 v50, v50, v9
	s_waitcnt vmcnt(16)
	v_add_f32_e32 v47, v47, v5
	;; [unrolled: 2-line block ×3, first 2 shown]
	v_fmac_f32_e32 v1, v4, v92
	s_waitcnt vmcnt(14)
	v_add_f32_e32 v43, v43, v7
	s_waitcnt vmcnt(13)
	v_add_f32_e32 v46, v46, v8
	;; [unrolled: 2-line block ×12, first 2 shown]
	v_add_f32_e32 v30, v30, v57
	v_add_f32_e32 v27, v27, v53
	;; [unrolled: 1-line block ×4, first 2 shown]
	s_waitcnt vmcnt(2)
	v_add_f32_e32 v49, v49, v1
	s_waitcnt vmcnt(1)
	v_add_f32_e32 v37, v37, v19
	;; [unrolled: 2-line block ×3, first 2 shown]
	buffer_load_dword v29, off, s[40:43], 0 offset:220 ; 4-byte Folded Reload
	s_waitcnt vmcnt(0)
	v_add_f32_e32 v29, v29, v25
	buffer_load_dword v25, off, s[40:43], 0 offset:224 ; 4-byte Folded Reload
	s_waitcnt vmcnt(0)
	v_add_f32_e32 v25, v25, v21
	;; [unrolled: 3-line block ×5, first 2 shown]
.LBB42_34:                              ;   in Loop: Header=BB42_35 Depth=1
	s_or_b32 exec_lo, exec_lo, s18
	buffer_load_dword v3, off, s[40:43], 0  ; 4-byte Folded Reload
	v_add_nc_u32_e32 v127, 4, v127
	v_add_co_u32 v125, s1, v125, 16
	v_add_co_ci_u32_e64 v126, null, 0, v126, s1
	v_cmp_le_i32_e32 vcc_lo, s16, v127
	v_add_nc_u32_e32 v0, 0x200, v0
	s_or_b32 s13, vcc_lo, s13
	s_waitcnt vmcnt(0)
	v_add_nc_u32_e32 v3, 0x80, v3
	s_andn2_b32 exec_lo, exec_lo, s13
	s_cbranch_execz .LBB42_100
.LBB42_35:                              ; =>This Inner Loop Header: Depth=1
	s_waitcnt vmcnt(0)
	v_mul_hi_u32 v1, v3, s21
	buffer_store_dword v3, off, s[40:43], 0 ; 4-byte Folded Spill
	v_mul_lo_u32 v2, v1, s12
	v_sub_nc_u32_e32 v2, v3, v2
	v_add_nc_u32_e32 v3, 1, v1
	v_subrev_nc_u32_e32 v4, s12, v2
	v_cmp_le_u32_e32 vcc_lo, s12, v2
	v_cndmask_b32_e32 v2, v2, v4, vcc_lo
	buffer_load_dword v4, off, s[40:43], 0 offset:52 ; 4-byte Folded Reload
	v_cndmask_b32_e32 v1, v1, v3, vcc_lo
	v_cmp_le_u32_e32 vcc_lo, s12, v2
	v_add_nc_u32_e32 v3, 1, v1
	v_cndmask_b32_e32 v1, v1, v3, vcc_lo
	v_xor_b32_e32 v1, s19, v1
	v_subrev_nc_u32_e32 v1, s19, v1
	v_add_nc_u32_e32 v2, s31, v1
	v_cmp_lt_i32_e64 s1, s3, v1
	v_sub_nc_u32_e32 v3, 0, v2
	v_max_i32_e32 v3, v2, v3
	v_ashrrev_i32_e32 v2, 31, v2
	s_waitcnt vmcnt(0)
	v_mul_hi_u32 v4, v3, v4
	v_mul_lo_u32 v4, v4, s14
	v_sub_nc_u32_e32 v3, v3, v4
	v_subrev_nc_u32_e32 v4, s14, v3
	v_cmp_le_u32_e32 vcc_lo, s14, v3
	v_cndmask_b32_e32 v3, v3, v4, vcc_lo
	v_subrev_nc_u32_e32 v4, s14, v3
	v_cmp_le_u32_e32 vcc_lo, s14, v3
	v_cndmask_b32_e32 v3, v3, v4, vcc_lo
	v_xor_b32_e32 v3, v3, v2
	v_sub_nc_u32_e32 v2, v3, v2
	v_cmp_eq_u32_e32 vcc_lo, 0, v2
	s_or_b32 s1, vcc_lo, s1
	s_and_saveexec_b32 s18, s1
	s_cbranch_execz .LBB42_34
; %bb.36:                               ;   in Loop: Header=BB42_35 Depth=1
	buffer_store_dword v37, off, s[40:43], 0 offset:240 ; 4-byte Folded Spill
	buffer_store_dword v18, off, s[40:43], 0 offset:236 ; 4-byte Folded Spill
	;; [unrolled: 1-line block ×32, first 2 shown]
	global_load_dword v1, v[125:126], off
	s_waitcnt vmcnt(0)
	v_mad_i64_i32 v[1:2], null, v1, s17, 0
	v_lshlrev_b64 v[1:2], 2, v[1:2]
	v_add_co_u32 v89, vcc_lo, s4, v1
	buffer_load_dword v1, off, s[40:43], 0 offset:252 ; 4-byte Folded Reload
	v_add_co_ci_u32_e64 v90, null, s5, v2, vcc_lo
	s_waitcnt vmcnt(0)
	v_add_co_u32 v5, vcc_lo, v89, v1
	v_add_co_ci_u32_e64 v6, null, 0, v90, vcc_lo
	v_cmp_eq_u32_e32 vcc_lo, s15, v127
	global_load_dwordx4 v[1:4], v[5:6], off
	s_waitcnt vmcnt(0)
	buffer_store_dword v1, off, s[40:43], 0 offset:4 ; 4-byte Folded Spill
	buffer_store_dword v2, off, s[40:43], 0 offset:8 ; 4-byte Folded Spill
	;; [unrolled: 1-line block ×4, first 2 shown]
	ds_read_b128 v[1:4], v0
	s_clause 0x1
	buffer_load_dword v7, off, s[40:43], 0
	buffer_load_dword v8, off, s[40:43], 0 offset:248
	s_waitcnt vmcnt(0)
	v_add_nc_u32_e32 v14, v8, v7
	v_add_nc_u32_e32 v16, 1, v14
	;; [unrolled: 1-line block ×4, first 2 shown]
	s_and_saveexec_b32 s22, vcc_lo
	s_cbranch_execz .LBB42_38
; %bb.37:                               ;   in Loop: Header=BB42_35 Depth=1
	s_clause 0x3
	buffer_load_dword v7, off, s[40:43], 0 offset:4
	buffer_load_dword v8, off, s[40:43], 0 offset:8
	buffer_load_dword v9, off, s[40:43], 0 offset:12
	buffer_load_dword v10, off, s[40:43], 0 offset:16
	v_cmp_gt_i32_e64 s1, s30, v14
	s_waitcnt vmcnt(3)
	v_cndmask_b32_e64 v7, 0, v7, s1
	v_cmp_gt_i32_e64 s1, s30, v16
	s_waitcnt vmcnt(2)
	v_cndmask_b32_e64 v8, 0, v8, s1
	;; [unrolled: 3-line block ×4, first 2 shown]
	buffer_store_dword v7, off, s[40:43], 0 offset:4 ; 4-byte Folded Spill
	buffer_store_dword v8, off, s[40:43], 0 offset:8 ; 4-byte Folded Spill
	buffer_store_dword v9, off, s[40:43], 0 offset:12 ; 4-byte Folded Spill
	buffer_store_dword v10, off, s[40:43], 0 offset:16 ; 4-byte Folded Spill
.LBB42_38:                              ;   in Loop: Header=BB42_35 Depth=1
	s_or_b32 exec_lo, exec_lo, s22
	global_load_dwordx4 v[7:10], v[5:6], off offset:512
	s_waitcnt vmcnt(0)
	buffer_store_dword v7, off, s[40:43], 0 offset:20 ; 4-byte Folded Spill
	buffer_store_dword v8, off, s[40:43], 0 offset:24 ; 4-byte Folded Spill
	;; [unrolled: 1-line block ×4, first 2 shown]
	s_and_saveexec_b32 s22, vcc_lo
	s_cbranch_execz .LBB42_40
; %bb.39:                               ;   in Loop: Header=BB42_35 Depth=1
	s_clause 0x3
	buffer_load_dword v7, off, s[40:43], 0 offset:20
	buffer_load_dword v8, off, s[40:43], 0 offset:24
	;; [unrolled: 1-line block ×4, first 2 shown]
	v_cmp_gt_i32_e64 s1, s30, v14
	s_waitcnt vmcnt(3)
	v_cndmask_b32_e64 v7, 0, v7, s1
	v_cmp_gt_i32_e64 s1, s30, v16
	s_waitcnt vmcnt(2)
	v_cndmask_b32_e64 v8, 0, v8, s1
	;; [unrolled: 3-line block ×4, first 2 shown]
	buffer_store_dword v7, off, s[40:43], 0 offset:20 ; 4-byte Folded Spill
	buffer_store_dword v8, off, s[40:43], 0 offset:24 ; 4-byte Folded Spill
	;; [unrolled: 1-line block ×4, first 2 shown]
.LBB42_40:                              ;   in Loop: Header=BB42_35 Depth=1
	s_or_b32 exec_lo, exec_lo, s22
	global_load_dwordx4 v[7:10], v[5:6], off offset:1024
	s_waitcnt vmcnt(0)
	buffer_store_dword v7, off, s[40:43], 0 offset:36 ; 4-byte Folded Spill
	buffer_store_dword v8, off, s[40:43], 0 offset:40 ; 4-byte Folded Spill
	;; [unrolled: 1-line block ×4, first 2 shown]
	s_and_saveexec_b32 s22, vcc_lo
	s_cbranch_execz .LBB42_42
; %bb.41:                               ;   in Loop: Header=BB42_35 Depth=1
	s_clause 0x3
	buffer_load_dword v7, off, s[40:43], 0 offset:36
	buffer_load_dword v8, off, s[40:43], 0 offset:40
	;; [unrolled: 1-line block ×4, first 2 shown]
	v_cmp_gt_i32_e64 s1, s30, v14
	s_waitcnt vmcnt(3)
	v_cndmask_b32_e64 v7, 0, v7, s1
	v_cmp_gt_i32_e64 s1, s30, v16
	s_waitcnt vmcnt(2)
	v_cndmask_b32_e64 v8, 0, v8, s1
	;; [unrolled: 3-line block ×4, first 2 shown]
	buffer_store_dword v7, off, s[40:43], 0 offset:36 ; 4-byte Folded Spill
	buffer_store_dword v8, off, s[40:43], 0 offset:40 ; 4-byte Folded Spill
	;; [unrolled: 1-line block ×4, first 2 shown]
.LBB42_42:                              ;   in Loop: Header=BB42_35 Depth=1
	s_or_b32 exec_lo, exec_lo, s22
	global_load_dwordx4 v[17:20], v[5:6], off offset:1536
	s_and_saveexec_b32 s22, vcc_lo
	s_cbranch_execz .LBB42_44
; %bb.43:                               ;   in Loop: Header=BB42_35 Depth=1
	v_cmp_gt_i32_e64 s1, s30, v14
	s_waitcnt vmcnt(0)
	v_cndmask_b32_e64 v17, 0, v17, s1
	v_cmp_gt_i32_e64 s1, s30, v16
	v_cndmask_b32_e64 v18, 0, v18, s1
	v_cmp_gt_i32_e64 s1, s30, v15
	v_cndmask_b32_e64 v19, 0, v19, s1
	v_cmp_gt_i32_e64 s1, s30, v13
	v_cndmask_b32_e64 v20, 0, v20, s1
.LBB42_44:                              ;   in Loop: Header=BB42_35 Depth=1
	s_or_b32 exec_lo, exec_lo, s22
	v_add_co_u32 v7, s1, 0x800, v5
	v_add_co_ci_u32_e64 v8, null, 0, v6, s1
	global_load_dwordx4 v[21:24], v[7:8], off
	s_and_saveexec_b32 s22, vcc_lo
	s_cbranch_execnz .LBB42_80
; %bb.45:                               ;   in Loop: Header=BB42_35 Depth=1
	s_or_b32 exec_lo, exec_lo, s22
	global_load_dwordx4 v[25:28], v[7:8], off offset:512
	s_and_saveexec_b32 s22, vcc_lo
	s_cbranch_execnz .LBB42_81
.LBB42_46:                              ;   in Loop: Header=BB42_35 Depth=1
	s_or_b32 exec_lo, exec_lo, s22
	global_load_dwordx4 v[29:32], v[7:8], off offset:1024
	s_and_saveexec_b32 s22, vcc_lo
	s_cbranch_execnz .LBB42_82
.LBB42_47:                              ;   in Loop: Header=BB42_35 Depth=1
	s_or_b32 exec_lo, exec_lo, s22
	global_load_dwordx4 v[33:36], v[7:8], off offset:1536
	s_and_saveexec_b32 s22, vcc_lo
	s_cbranch_execz .LBB42_49
.LBB42_48:                              ;   in Loop: Header=BB42_35 Depth=1
	v_cmp_gt_i32_e64 s1, s30, v14
	s_waitcnt vmcnt(0)
	v_cndmask_b32_e64 v33, 0, v33, s1
	v_cmp_gt_i32_e64 s1, s30, v16
	v_cndmask_b32_e64 v34, 0, v34, s1
	v_cmp_gt_i32_e64 s1, s30, v15
	;; [unrolled: 2-line block ×3, first 2 shown]
	v_cndmask_b32_e64 v36, 0, v36, s1
.LBB42_49:                              ;   in Loop: Header=BB42_35 Depth=1
	s_or_b32 exec_lo, exec_lo, s22
	v_add_co_u32 v7, s1, 0x1000, v5
	v_add_co_ci_u32_e64 v8, null, 0, v6, s1
	global_load_dwordx4 v[37:40], v[7:8], off
	s_and_saveexec_b32 s22, vcc_lo
	s_cbranch_execnz .LBB42_83
; %bb.50:                               ;   in Loop: Header=BB42_35 Depth=1
	s_or_b32 exec_lo, exec_lo, s22
	global_load_dwordx4 v[41:44], v[7:8], off offset:512
	s_and_saveexec_b32 s22, vcc_lo
	s_cbranch_execnz .LBB42_84
.LBB42_51:                              ;   in Loop: Header=BB42_35 Depth=1
	s_or_b32 exec_lo, exec_lo, s22
	global_load_dwordx4 v[45:48], v[7:8], off offset:1024
	s_and_saveexec_b32 s22, vcc_lo
	s_cbranch_execnz .LBB42_85
.LBB42_52:                              ;   in Loop: Header=BB42_35 Depth=1
	s_or_b32 exec_lo, exec_lo, s22
	global_load_dwordx4 v[49:52], v[7:8], off offset:1536
	s_and_saveexec_b32 s22, vcc_lo
	s_cbranch_execz .LBB42_54
.LBB42_53:                              ;   in Loop: Header=BB42_35 Depth=1
	v_cmp_gt_i32_e64 s1, s30, v14
	s_waitcnt vmcnt(0)
	v_cndmask_b32_e64 v49, 0, v49, s1
	v_cmp_gt_i32_e64 s1, s30, v16
	v_cndmask_b32_e64 v50, 0, v50, s1
	v_cmp_gt_i32_e64 s1, s30, v15
	;; [unrolled: 2-line block ×3, first 2 shown]
	v_cndmask_b32_e64 v52, 0, v52, s1
.LBB42_54:                              ;   in Loop: Header=BB42_35 Depth=1
	s_or_b32 exec_lo, exec_lo, s22
	v_add_co_u32 v7, s1, 0x1800, v5
	v_add_co_ci_u32_e64 v8, null, 0, v6, s1
	global_load_dwordx4 v[53:56], v[7:8], off
	s_and_saveexec_b32 s22, vcc_lo
	s_cbranch_execnz .LBB42_86
; %bb.55:                               ;   in Loop: Header=BB42_35 Depth=1
	s_or_b32 exec_lo, exec_lo, s22
	global_load_dwordx4 v[57:60], v[7:8], off offset:512
	s_and_saveexec_b32 s22, vcc_lo
	s_cbranch_execnz .LBB42_87
.LBB42_56:                              ;   in Loop: Header=BB42_35 Depth=1
	s_or_b32 exec_lo, exec_lo, s22
	global_load_dwordx4 v[61:64], v[7:8], off offset:1024
	s_and_saveexec_b32 s22, vcc_lo
	s_cbranch_execnz .LBB42_88
.LBB42_57:                              ;   in Loop: Header=BB42_35 Depth=1
	s_or_b32 exec_lo, exec_lo, s22
	global_load_dwordx4 v[65:68], v[7:8], off offset:1536
	s_and_saveexec_b32 s22, vcc_lo
	s_cbranch_execz .LBB42_59
.LBB42_58:                              ;   in Loop: Header=BB42_35 Depth=1
	v_cmp_gt_i32_e64 s1, s30, v14
	s_waitcnt vmcnt(0)
	v_cndmask_b32_e64 v65, 0, v65, s1
	v_cmp_gt_i32_e64 s1, s30, v16
	v_cndmask_b32_e64 v66, 0, v66, s1
	v_cmp_gt_i32_e64 s1, s30, v15
	;; [unrolled: 2-line block ×3, first 2 shown]
	v_cndmask_b32_e64 v68, 0, v68, s1
.LBB42_59:                              ;   in Loop: Header=BB42_35 Depth=1
	s_or_b32 exec_lo, exec_lo, s22
	v_add_co_u32 v7, s1, 0x2000, v5
	v_add_co_ci_u32_e64 v8, null, 0, v6, s1
	global_load_dwordx4 v[69:72], v[7:8], off
	s_and_saveexec_b32 s22, vcc_lo
	s_cbranch_execnz .LBB42_89
; %bb.60:                               ;   in Loop: Header=BB42_35 Depth=1
	s_or_b32 exec_lo, exec_lo, s22
	global_load_dwordx4 v[73:76], v[7:8], off offset:512
	s_and_saveexec_b32 s22, vcc_lo
	s_cbranch_execnz .LBB42_90
.LBB42_61:                              ;   in Loop: Header=BB42_35 Depth=1
	s_or_b32 exec_lo, exec_lo, s22
	global_load_dwordx4 v[77:80], v[7:8], off offset:1024
	s_and_saveexec_b32 s22, vcc_lo
	s_cbranch_execnz .LBB42_91
.LBB42_62:                              ;   in Loop: Header=BB42_35 Depth=1
	s_or_b32 exec_lo, exec_lo, s22
	global_load_dwordx4 v[81:84], v[7:8], off offset:1536
	s_and_saveexec_b32 s22, vcc_lo
	s_cbranch_execz .LBB42_64
.LBB42_63:                              ;   in Loop: Header=BB42_35 Depth=1
	v_cmp_gt_i32_e64 s1, s30, v14
	s_waitcnt vmcnt(0)
	v_cndmask_b32_e64 v81, 0, v81, s1
	v_cmp_gt_i32_e64 s1, s30, v16
	v_cndmask_b32_e64 v82, 0, v82, s1
	v_cmp_gt_i32_e64 s1, s30, v15
	;; [unrolled: 2-line block ×3, first 2 shown]
	v_cndmask_b32_e64 v84, 0, v84, s1
.LBB42_64:                              ;   in Loop: Header=BB42_35 Depth=1
	s_or_b32 exec_lo, exec_lo, s22
	v_add_co_u32 v7, s1, 0x2800, v5
	v_add_co_ci_u32_e64 v8, null, 0, v6, s1
	global_load_dwordx4 v[85:88], v[7:8], off
	s_and_saveexec_b32 s22, vcc_lo
	s_cbranch_execnz .LBB42_92
; %bb.65:                               ;   in Loop: Header=BB42_35 Depth=1
	s_or_b32 exec_lo, exec_lo, s22
	global_load_dwordx4 v[93:96], v[7:8], off offset:512
	s_and_saveexec_b32 s22, vcc_lo
	s_cbranch_execnz .LBB42_93
.LBB42_66:                              ;   in Loop: Header=BB42_35 Depth=1
	s_or_b32 exec_lo, exec_lo, s22
	global_load_dwordx4 v[97:100], v[7:8], off offset:1024
	s_and_saveexec_b32 s22, vcc_lo
	s_cbranch_execnz .LBB42_94
.LBB42_67:                              ;   in Loop: Header=BB42_35 Depth=1
	s_or_b32 exec_lo, exec_lo, s22
	global_load_dwordx4 v[101:104], v[7:8], off offset:1536
	s_and_saveexec_b32 s22, vcc_lo
	s_cbranch_execz .LBB42_69
.LBB42_68:                              ;   in Loop: Header=BB42_35 Depth=1
	v_cmp_gt_i32_e64 s1, s30, v14
	s_waitcnt vmcnt(0)
	v_cndmask_b32_e64 v101, 0, v101, s1
	v_cmp_gt_i32_e64 s1, s30, v16
	v_cndmask_b32_e64 v102, 0, v102, s1
	v_cmp_gt_i32_e64 s1, s30, v15
	;; [unrolled: 2-line block ×3, first 2 shown]
	v_cndmask_b32_e64 v104, 0, v104, s1
.LBB42_69:                              ;   in Loop: Header=BB42_35 Depth=1
	s_or_b32 exec_lo, exec_lo, s22
	v_add_co_u32 v7, s1, 0x3000, v5
	v_add_co_ci_u32_e64 v8, null, 0, v6, s1
	global_load_dwordx4 v[105:108], v[7:8], off
	s_and_saveexec_b32 s22, vcc_lo
	s_cbranch_execnz .LBB42_95
; %bb.70:                               ;   in Loop: Header=BB42_35 Depth=1
	s_or_b32 exec_lo, exec_lo, s22
	global_load_dwordx4 v[109:112], v[7:8], off offset:512
	s_and_saveexec_b32 s22, vcc_lo
	s_cbranch_execnz .LBB42_96
.LBB42_71:                              ;   in Loop: Header=BB42_35 Depth=1
	s_or_b32 exec_lo, exec_lo, s22
	global_load_dwordx4 v[113:116], v[7:8], off offset:1024
	s_and_saveexec_b32 s22, vcc_lo
	s_cbranch_execnz .LBB42_97
.LBB42_72:                              ;   in Loop: Header=BB42_35 Depth=1
	s_or_b32 exec_lo, exec_lo, s22
	global_load_dwordx4 v[117:120], v[7:8], off offset:1536
	s_and_saveexec_b32 s22, vcc_lo
	s_cbranch_execz .LBB42_74
.LBB42_73:                              ;   in Loop: Header=BB42_35 Depth=1
	v_cmp_gt_i32_e64 s1, s30, v14
	s_waitcnt vmcnt(0)
	v_cndmask_b32_e64 v117, 0, v117, s1
	v_cmp_gt_i32_e64 s1, s30, v16
	v_cndmask_b32_e64 v118, 0, v118, s1
	v_cmp_gt_i32_e64 s1, s30, v15
	;; [unrolled: 2-line block ×3, first 2 shown]
	v_cndmask_b32_e64 v120, 0, v120, s1
.LBB42_74:                              ;   in Loop: Header=BB42_35 Depth=1
	s_or_b32 exec_lo, exec_lo, s22
	v_add_co_u32 v9, s1, 0x3800, v5
	v_add_co_ci_u32_e64 v10, null, 0, v6, s1
	global_load_dwordx4 v[121:124], v[9:10], off
	s_and_saveexec_b32 s22, vcc_lo
	s_cbranch_execnz .LBB42_98
; %bb.75:                               ;   in Loop: Header=BB42_35 Depth=1
	s_or_b32 exec_lo, exec_lo, s22
	global_load_dwordx4 v[5:8], v[9:10], off offset:512
	s_and_saveexec_b32 s22, vcc_lo
	s_cbranch_execnz .LBB42_99
.LBB42_76:                              ;   in Loop: Header=BB42_35 Depth=1
	s_or_b32 exec_lo, exec_lo, s22
	global_load_dwordx4 v[9:12], v[9:10], off offset:1024
	s_and_saveexec_b32 s22, vcc_lo
	s_cbranch_execz .LBB42_78
.LBB42_77:                              ;   in Loop: Header=BB42_35 Depth=1
	v_cmp_gt_i32_e64 s1, s30, v14
	s_waitcnt vmcnt(0)
	v_cndmask_b32_e64 v9, 0, v9, s1
	v_cmp_gt_i32_e64 s1, s30, v16
	v_cndmask_b32_e64 v10, 0, v10, s1
	v_cmp_gt_i32_e64 s1, s30, v15
	;; [unrolled: 2-line block ×3, first 2 shown]
	v_cndmask_b32_e64 v12, 0, v12, s1
.LBB42_78:                              ;   in Loop: Header=BB42_35 Depth=1
	s_or_b32 exec_lo, exec_lo, s22
	buffer_load_dword v91, off, s[40:43], 0 offset:256 ; 4-byte Folded Reload
	s_waitcnt vmcnt(0)
	v_add_co_u32 v89, s1, v89, v91
	v_add_co_ci_u32_e64 v90, null, 0, v90, s1
	global_load_dwordx4 v[89:92], v[89:90], off
	s_and_saveexec_b32 s1, vcc_lo
	s_cbranch_execz .LBB42_33
; %bb.79:                               ;   in Loop: Header=BB42_35 Depth=1
	v_cmp_gt_i32_e32 vcc_lo, s30, v14
	s_waitcnt vmcnt(0)
	v_cndmask_b32_e32 v89, 0, v89, vcc_lo
	v_cmp_gt_i32_e32 vcc_lo, s30, v16
	v_cndmask_b32_e32 v90, 0, v90, vcc_lo
	v_cmp_gt_i32_e32 vcc_lo, s30, v15
	;; [unrolled: 2-line block ×3, first 2 shown]
	v_cndmask_b32_e32 v92, 0, v92, vcc_lo
	s_branch .LBB42_33
.LBB42_80:                              ;   in Loop: Header=BB42_35 Depth=1
	v_cmp_gt_i32_e64 s1, s30, v14
	s_waitcnt vmcnt(0)
	v_cndmask_b32_e64 v21, 0, v21, s1
	v_cmp_gt_i32_e64 s1, s30, v16
	v_cndmask_b32_e64 v22, 0, v22, s1
	v_cmp_gt_i32_e64 s1, s30, v15
	;; [unrolled: 2-line block ×3, first 2 shown]
	v_cndmask_b32_e64 v24, 0, v24, s1
	s_or_b32 exec_lo, exec_lo, s22
	global_load_dwordx4 v[25:28], v[7:8], off offset:512
	s_and_saveexec_b32 s22, vcc_lo
	s_cbranch_execz .LBB42_46
.LBB42_81:                              ;   in Loop: Header=BB42_35 Depth=1
	v_cmp_gt_i32_e64 s1, s30, v14
	s_waitcnt vmcnt(0)
	v_cndmask_b32_e64 v25, 0, v25, s1
	v_cmp_gt_i32_e64 s1, s30, v16
	v_cndmask_b32_e64 v26, 0, v26, s1
	v_cmp_gt_i32_e64 s1, s30, v15
	;; [unrolled: 2-line block ×3, first 2 shown]
	v_cndmask_b32_e64 v28, 0, v28, s1
	s_or_b32 exec_lo, exec_lo, s22
	global_load_dwordx4 v[29:32], v[7:8], off offset:1024
	s_and_saveexec_b32 s22, vcc_lo
	s_cbranch_execz .LBB42_47
.LBB42_82:                              ;   in Loop: Header=BB42_35 Depth=1
	v_cmp_gt_i32_e64 s1, s30, v14
	s_waitcnt vmcnt(0)
	v_cndmask_b32_e64 v29, 0, v29, s1
	v_cmp_gt_i32_e64 s1, s30, v16
	v_cndmask_b32_e64 v30, 0, v30, s1
	v_cmp_gt_i32_e64 s1, s30, v15
	;; [unrolled: 2-line block ×3, first 2 shown]
	v_cndmask_b32_e64 v32, 0, v32, s1
	s_or_b32 exec_lo, exec_lo, s22
	global_load_dwordx4 v[33:36], v[7:8], off offset:1536
	s_and_saveexec_b32 s22, vcc_lo
	s_cbranch_execnz .LBB42_48
	s_branch .LBB42_49
.LBB42_83:                              ;   in Loop: Header=BB42_35 Depth=1
	v_cmp_gt_i32_e64 s1, s30, v14
	s_waitcnt vmcnt(0)
	v_cndmask_b32_e64 v37, 0, v37, s1
	v_cmp_gt_i32_e64 s1, s30, v16
	v_cndmask_b32_e64 v38, 0, v38, s1
	v_cmp_gt_i32_e64 s1, s30, v15
	;; [unrolled: 2-line block ×3, first 2 shown]
	v_cndmask_b32_e64 v40, 0, v40, s1
	s_or_b32 exec_lo, exec_lo, s22
	global_load_dwordx4 v[41:44], v[7:8], off offset:512
	s_and_saveexec_b32 s22, vcc_lo
	s_cbranch_execz .LBB42_51
.LBB42_84:                              ;   in Loop: Header=BB42_35 Depth=1
	v_cmp_gt_i32_e64 s1, s30, v14
	s_waitcnt vmcnt(0)
	v_cndmask_b32_e64 v41, 0, v41, s1
	v_cmp_gt_i32_e64 s1, s30, v16
	v_cndmask_b32_e64 v42, 0, v42, s1
	v_cmp_gt_i32_e64 s1, s30, v15
	;; [unrolled: 2-line block ×3, first 2 shown]
	v_cndmask_b32_e64 v44, 0, v44, s1
	s_or_b32 exec_lo, exec_lo, s22
	global_load_dwordx4 v[45:48], v[7:8], off offset:1024
	s_and_saveexec_b32 s22, vcc_lo
	s_cbranch_execz .LBB42_52
.LBB42_85:                              ;   in Loop: Header=BB42_35 Depth=1
	v_cmp_gt_i32_e64 s1, s30, v14
	s_waitcnt vmcnt(0)
	v_cndmask_b32_e64 v45, 0, v45, s1
	v_cmp_gt_i32_e64 s1, s30, v16
	v_cndmask_b32_e64 v46, 0, v46, s1
	v_cmp_gt_i32_e64 s1, s30, v15
	;; [unrolled: 2-line block ×3, first 2 shown]
	v_cndmask_b32_e64 v48, 0, v48, s1
	s_or_b32 exec_lo, exec_lo, s22
	global_load_dwordx4 v[49:52], v[7:8], off offset:1536
	s_and_saveexec_b32 s22, vcc_lo
	s_cbranch_execnz .LBB42_53
	s_branch .LBB42_54
.LBB42_86:                              ;   in Loop: Header=BB42_35 Depth=1
	v_cmp_gt_i32_e64 s1, s30, v14
	s_waitcnt vmcnt(0)
	v_cndmask_b32_e64 v53, 0, v53, s1
	v_cmp_gt_i32_e64 s1, s30, v16
	v_cndmask_b32_e64 v54, 0, v54, s1
	v_cmp_gt_i32_e64 s1, s30, v15
	;; [unrolled: 2-line block ×3, first 2 shown]
	v_cndmask_b32_e64 v56, 0, v56, s1
	s_or_b32 exec_lo, exec_lo, s22
	global_load_dwordx4 v[57:60], v[7:8], off offset:512
	s_and_saveexec_b32 s22, vcc_lo
	s_cbranch_execz .LBB42_56
.LBB42_87:                              ;   in Loop: Header=BB42_35 Depth=1
	v_cmp_gt_i32_e64 s1, s30, v14
	s_waitcnt vmcnt(0)
	v_cndmask_b32_e64 v57, 0, v57, s1
	v_cmp_gt_i32_e64 s1, s30, v16
	v_cndmask_b32_e64 v58, 0, v58, s1
	v_cmp_gt_i32_e64 s1, s30, v15
	;; [unrolled: 2-line block ×3, first 2 shown]
	v_cndmask_b32_e64 v60, 0, v60, s1
	s_or_b32 exec_lo, exec_lo, s22
	global_load_dwordx4 v[61:64], v[7:8], off offset:1024
	s_and_saveexec_b32 s22, vcc_lo
	s_cbranch_execz .LBB42_57
.LBB42_88:                              ;   in Loop: Header=BB42_35 Depth=1
	v_cmp_gt_i32_e64 s1, s30, v14
	s_waitcnt vmcnt(0)
	v_cndmask_b32_e64 v61, 0, v61, s1
	v_cmp_gt_i32_e64 s1, s30, v16
	v_cndmask_b32_e64 v62, 0, v62, s1
	v_cmp_gt_i32_e64 s1, s30, v15
	;; [unrolled: 2-line block ×3, first 2 shown]
	v_cndmask_b32_e64 v64, 0, v64, s1
	s_or_b32 exec_lo, exec_lo, s22
	global_load_dwordx4 v[65:68], v[7:8], off offset:1536
	s_and_saveexec_b32 s22, vcc_lo
	s_cbranch_execnz .LBB42_58
	s_branch .LBB42_59
.LBB42_89:                              ;   in Loop: Header=BB42_35 Depth=1
	v_cmp_gt_i32_e64 s1, s30, v14
	s_waitcnt vmcnt(0)
	v_cndmask_b32_e64 v69, 0, v69, s1
	v_cmp_gt_i32_e64 s1, s30, v16
	v_cndmask_b32_e64 v70, 0, v70, s1
	v_cmp_gt_i32_e64 s1, s30, v15
	v_cndmask_b32_e64 v71, 0, v71, s1
	v_cmp_gt_i32_e64 s1, s30, v13
	v_cndmask_b32_e64 v72, 0, v72, s1
	s_or_b32 exec_lo, exec_lo, s22
	global_load_dwordx4 v[73:76], v[7:8], off offset:512
	s_and_saveexec_b32 s22, vcc_lo
	s_cbranch_execz .LBB42_61
.LBB42_90:                              ;   in Loop: Header=BB42_35 Depth=1
	v_cmp_gt_i32_e64 s1, s30, v14
	s_waitcnt vmcnt(0)
	v_cndmask_b32_e64 v73, 0, v73, s1
	v_cmp_gt_i32_e64 s1, s30, v16
	v_cndmask_b32_e64 v74, 0, v74, s1
	v_cmp_gt_i32_e64 s1, s30, v15
	;; [unrolled: 2-line block ×3, first 2 shown]
	v_cndmask_b32_e64 v76, 0, v76, s1
	s_or_b32 exec_lo, exec_lo, s22
	global_load_dwordx4 v[77:80], v[7:8], off offset:1024
	s_and_saveexec_b32 s22, vcc_lo
	s_cbranch_execz .LBB42_62
.LBB42_91:                              ;   in Loop: Header=BB42_35 Depth=1
	v_cmp_gt_i32_e64 s1, s30, v14
	s_waitcnt vmcnt(0)
	v_cndmask_b32_e64 v77, 0, v77, s1
	v_cmp_gt_i32_e64 s1, s30, v16
	v_cndmask_b32_e64 v78, 0, v78, s1
	v_cmp_gt_i32_e64 s1, s30, v15
	;; [unrolled: 2-line block ×3, first 2 shown]
	v_cndmask_b32_e64 v80, 0, v80, s1
	s_or_b32 exec_lo, exec_lo, s22
	global_load_dwordx4 v[81:84], v[7:8], off offset:1536
	s_and_saveexec_b32 s22, vcc_lo
	s_cbranch_execnz .LBB42_63
	s_branch .LBB42_64
.LBB42_92:                              ;   in Loop: Header=BB42_35 Depth=1
	v_cmp_gt_i32_e64 s1, s30, v14
	s_waitcnt vmcnt(0)
	v_cndmask_b32_e64 v85, 0, v85, s1
	v_cmp_gt_i32_e64 s1, s30, v16
	v_cndmask_b32_e64 v86, 0, v86, s1
	v_cmp_gt_i32_e64 s1, s30, v15
	;; [unrolled: 2-line block ×3, first 2 shown]
	v_cndmask_b32_e64 v88, 0, v88, s1
	s_or_b32 exec_lo, exec_lo, s22
	global_load_dwordx4 v[93:96], v[7:8], off offset:512
	s_and_saveexec_b32 s22, vcc_lo
	s_cbranch_execz .LBB42_66
.LBB42_93:                              ;   in Loop: Header=BB42_35 Depth=1
	v_cmp_gt_i32_e64 s1, s30, v14
	s_waitcnt vmcnt(0)
	v_cndmask_b32_e64 v93, 0, v93, s1
	v_cmp_gt_i32_e64 s1, s30, v16
	v_cndmask_b32_e64 v94, 0, v94, s1
	v_cmp_gt_i32_e64 s1, s30, v15
	;; [unrolled: 2-line block ×3, first 2 shown]
	v_cndmask_b32_e64 v96, 0, v96, s1
	s_or_b32 exec_lo, exec_lo, s22
	global_load_dwordx4 v[97:100], v[7:8], off offset:1024
	s_and_saveexec_b32 s22, vcc_lo
	s_cbranch_execz .LBB42_67
.LBB42_94:                              ;   in Loop: Header=BB42_35 Depth=1
	v_cmp_gt_i32_e64 s1, s30, v14
	s_waitcnt vmcnt(0)
	v_cndmask_b32_e64 v97, 0, v97, s1
	v_cmp_gt_i32_e64 s1, s30, v16
	v_cndmask_b32_e64 v98, 0, v98, s1
	v_cmp_gt_i32_e64 s1, s30, v15
	v_cndmask_b32_e64 v99, 0, v99, s1
	v_cmp_gt_i32_e64 s1, s30, v13
	v_cndmask_b32_e64 v100, 0, v100, s1
	s_or_b32 exec_lo, exec_lo, s22
	global_load_dwordx4 v[101:104], v[7:8], off offset:1536
	s_and_saveexec_b32 s22, vcc_lo
	s_cbranch_execnz .LBB42_68
	s_branch .LBB42_69
.LBB42_95:                              ;   in Loop: Header=BB42_35 Depth=1
	v_cmp_gt_i32_e64 s1, s30, v14
	s_waitcnt vmcnt(0)
	v_cndmask_b32_e64 v105, 0, v105, s1
	v_cmp_gt_i32_e64 s1, s30, v16
	v_cndmask_b32_e64 v106, 0, v106, s1
	v_cmp_gt_i32_e64 s1, s30, v15
	;; [unrolled: 2-line block ×3, first 2 shown]
	v_cndmask_b32_e64 v108, 0, v108, s1
	s_or_b32 exec_lo, exec_lo, s22
	global_load_dwordx4 v[109:112], v[7:8], off offset:512
	s_and_saveexec_b32 s22, vcc_lo
	s_cbranch_execz .LBB42_71
.LBB42_96:                              ;   in Loop: Header=BB42_35 Depth=1
	v_cmp_gt_i32_e64 s1, s30, v14
	s_waitcnt vmcnt(0)
	v_cndmask_b32_e64 v109, 0, v109, s1
	v_cmp_gt_i32_e64 s1, s30, v16
	v_cndmask_b32_e64 v110, 0, v110, s1
	v_cmp_gt_i32_e64 s1, s30, v15
	;; [unrolled: 2-line block ×3, first 2 shown]
	v_cndmask_b32_e64 v112, 0, v112, s1
	s_or_b32 exec_lo, exec_lo, s22
	global_load_dwordx4 v[113:116], v[7:8], off offset:1024
	s_and_saveexec_b32 s22, vcc_lo
	s_cbranch_execz .LBB42_72
.LBB42_97:                              ;   in Loop: Header=BB42_35 Depth=1
	v_cmp_gt_i32_e64 s1, s30, v14
	s_waitcnt vmcnt(0)
	v_cndmask_b32_e64 v113, 0, v113, s1
	v_cmp_gt_i32_e64 s1, s30, v16
	v_cndmask_b32_e64 v114, 0, v114, s1
	v_cmp_gt_i32_e64 s1, s30, v15
	;; [unrolled: 2-line block ×3, first 2 shown]
	v_cndmask_b32_e64 v116, 0, v116, s1
	s_or_b32 exec_lo, exec_lo, s22
	global_load_dwordx4 v[117:120], v[7:8], off offset:1536
	s_and_saveexec_b32 s22, vcc_lo
	s_cbranch_execnz .LBB42_73
	s_branch .LBB42_74
.LBB42_98:                              ;   in Loop: Header=BB42_35 Depth=1
	v_cmp_gt_i32_e64 s1, s30, v14
	s_waitcnt vmcnt(0)
	v_cndmask_b32_e64 v121, 0, v121, s1
	v_cmp_gt_i32_e64 s1, s30, v16
	v_cndmask_b32_e64 v122, 0, v122, s1
	v_cmp_gt_i32_e64 s1, s30, v15
	;; [unrolled: 2-line block ×3, first 2 shown]
	v_cndmask_b32_e64 v124, 0, v124, s1
	s_or_b32 exec_lo, exec_lo, s22
	global_load_dwordx4 v[5:8], v[9:10], off offset:512
	s_and_saveexec_b32 s22, vcc_lo
	s_cbranch_execz .LBB42_76
.LBB42_99:                              ;   in Loop: Header=BB42_35 Depth=1
	v_cmp_gt_i32_e64 s1, s30, v14
	s_waitcnt vmcnt(0)
	v_cndmask_b32_e64 v5, 0, v5, s1
	v_cmp_gt_i32_e64 s1, s30, v16
	v_cndmask_b32_e64 v6, 0, v6, s1
	v_cmp_gt_i32_e64 s1, s30, v15
	;; [unrolled: 2-line block ×3, first 2 shown]
	v_cndmask_b32_e64 v8, 0, v8, s1
	s_or_b32 exec_lo, exec_lo, s22
	global_load_dwordx4 v[9:12], v[9:10], off offset:1024
	s_and_saveexec_b32 s22, vcc_lo
	s_cbranch_execnz .LBB42_77
	s_branch .LBB42_78
.LBB42_100:
	s_or_b32 exec_lo, exec_lo, s13
	s_clause 0x5
	buffer_load_dword v55, off, s[40:43], 0 offset:260
	buffer_load_dword v127, off, s[40:43], 0 offset:264
	;; [unrolled: 1-line block ×6, first 2 shown]
.LBB42_101:
	s_or_b32 exec_lo, exec_lo, s2
	s_waitcnt vmcnt(1)
	ds_bpermute_b32 v4, v39, v25
	ds_bpermute_b32 v3, v39, v21
	;; [unrolled: 1-line block ×17, first 2 shown]
	s_mov_b32 s1, exec_lo
	s_waitcnt lgkmcnt(16)
	v_add_f32_e32 v4, v25, v4
	s_waitcnt lgkmcnt(15)
	v_add_f32_e32 v3, v21, v3
	;; [unrolled: 2-line block ×5, first 2 shown]
	ds_bpermute_b32 v21, v48, v4
	ds_bpermute_b32 v20, v48, v3
	;; [unrolled: 1-line block ×3, first 2 shown]
	s_waitcnt lgkmcnt(14)
	v_add_f32_e32 v14, v59, v14
	s_waitcnt lgkmcnt(13)
	v_add_f32_e32 v0, v18, v0
	;; [unrolled: 2-line block ×6, first 2 shown]
	ds_bpermute_b32 v17, v48, v0
	ds_bpermute_b32 v18, v48, v1
	s_waitcnt lgkmcnt(10)
	v_add_f32_e32 v9, v24, v9
	s_waitcnt lgkmcnt(9)
	v_add_f32_e32 v10, v23, v10
	ds_bpermute_b32 v23, v48, v6
	ds_bpermute_b32 v24, v48, v7
	s_waitcnt lgkmcnt(10)
	v_add_f32_e32 v12, v27, v12
	ds_bpermute_b32 v27, v48, v9
	s_waitcnt lgkmcnt(10)
	v_add_f32_e32 v13, v30, v13
	s_waitcnt lgkmcnt(9)
	v_add_f32_e32 v8, v26, v8
	ds_bpermute_b32 v26, v39, v34
	s_waitcnt lgkmcnt(8)
	v_add_f32_e32 v4, v4, v21
	s_waitcnt lgkmcnt(7)
	v_add_f32_e32 v3, v3, v20
	;; [unrolled: 2-line block ×3, first 2 shown]
	ds_bpermute_b32 v29, v39, v31
	ds_bpermute_b32 v28, v48, v10
	;; [unrolled: 1-line block ×6, first 2 shown]
	s_waitcnt lgkmcnt(11)
	v_add_f32_e32 v0, v0, v17
	s_waitcnt lgkmcnt(10)
	v_add_f32_e32 v1, v1, v18
	ds_bpermute_b32 v30, v48, v12
	ds_bpermute_b32 v33, v39, v46
	s_waitcnt lgkmcnt(11)
	v_add_f32_e32 v6, v6, v23
	ds_bpermute_b32 v17, v54, v0
	ds_bpermute_b32 v18, v54, v1
	s_waitcnt lgkmcnt(12)
	v_add_f32_e32 v7, v7, v24
	s_waitcnt lgkmcnt(11)
	v_add_f32_e32 v9, v9, v27
	ds_bpermute_b32 v23, v54, v6
	ds_bpermute_b32 v25, v48, v8
	v_add_f32_e32 v16, v36, v16
	ds_bpermute_b32 v24, v54, v7
	ds_bpermute_b32 v27, v54, v9
	s_waitcnt lgkmcnt(12)
	v_add_f32_e32 v10, v10, v28
	s_waitcnt lgkmcnt(11)
	v_add_f32_e32 v4, v4, v21
	ds_bpermute_b32 v21, v48, v15
	s_waitcnt lgkmcnt(11)
	v_add_f32_e32 v3, v3, v20
	ds_bpermute_b32 v20, v48, v14
	ds_bpermute_b32 v28, v54, v10
	s_waitcnt lgkmcnt(12)
	v_add_f32_e32 v5, v5, v22
	s_waitcnt lgkmcnt(11)
	v_add_f32_e32 v2, v2, v19
	;; [unrolled: 2-line block ×6, first 2 shown]
	ds_bpermute_b32 v17, v48, v13
	ds_bpermute_b32 v18, v39, v32
	s_waitcnt lgkmcnt(8)
	v_add_f32_e32 v6, v6, v23
	v_add_f32_e32 v23, v34, v26
	ds_bpermute_b32 v34, v39, v43
	s_waitcnt lgkmcnt(7)
	v_add_f32_e32 v7, v7, v24
	s_waitcnt lgkmcnt(6)
	v_add_f32_e32 v9, v9, v27
	ds_bpermute_b32 v27, v39, v38
	ds_bpermute_b32 v24, v48, v23
	;; [unrolled: 1-line block ×3, first 2 shown]
	s_waitcnt lgkmcnt(8)
	v_add_f32_e32 v15, v15, v21
	ds_bpermute_b32 v21, v39, v40
	s_waitcnt lgkmcnt(8)
	v_add_f32_e32 v14, v14, v20
	v_add_f32_e32 v20, v31, v29
	s_waitcnt lgkmcnt(7)
	v_add_f32_e32 v10, v10, v28
	ds_bpermute_b32 v29, v54, v15
	ds_bpermute_b32 v28, v39, v52
	;; [unrolled: 1-line block ×4, first 2 shown]
	v_add_f32_e32 v8, v8, v25
	s_waitcnt lgkmcnt(10)
	v_add_f32_e32 v13, v13, v17
	s_waitcnt lgkmcnt(9)
	v_add_f32_e32 v17, v32, v18
	ds_bpermute_b32 v18, v39, v35
	ds_bpermute_b32 v32, v39, v42
	s_waitcnt lgkmcnt(10)
	v_add_f32_e32 v34, v43, v34
	ds_bpermute_b32 v45, v48, v33
	ds_bpermute_b32 v26, v48, v17
	;; [unrolled: 1-line block ×3, first 2 shown]
	s_waitcnt lgkmcnt(11)
	v_add_f32_e32 v23, v23, v24
	ds_bpermute_b32 v24, v39, v51
	s_waitcnt lgkmcnt(11)
	v_add_f32_e32 v5, v5, v22
	s_waitcnt lgkmcnt(10)
	v_add_f32_e32 v21, v40, v21
	ds_bpermute_b32 v22, v48, v16
	ds_bpermute_b32 v46, v48, v34
	;; [unrolled: 1-line block ×3, first 2 shown]
	s_waitcnt lgkmcnt(12)
	v_add_f32_e32 v15, v15, v29
	buffer_load_dword v29, off, s[40:43], 0 offset:244 ; 4-byte Folded Reload
	s_waitcnt lgkmcnt(11)
	v_add_f32_e32 v28, v52, v28
	s_waitcnt lgkmcnt(9)
	v_add_f32_e32 v20, v20, v30
	ds_bpermute_b32 v30, v48, v21
	v_add_f32_e32 v2, v2, v19
	ds_bpermute_b32 v19, v54, v11
	s_waitcnt lgkmcnt(10)
	v_add_f32_e32 v18, v35, v18
	ds_bpermute_b32 v35, v39, v44
	s_waitcnt lgkmcnt(10)
	;; [unrolled: 3-line block ×3, first 2 shown]
	v_add_f32_e32 v26, v17, v26
	v_add_f32_e32 v17, v38, v27
	ds_bpermute_b32 v27, v39, v47
	ds_bpermute_b32 v38, v39, v50
	;; [unrolled: 1-line block ×5, first 2 shown]
	s_waitcnt lgkmcnt(12)
	v_add_f32_e32 v24, v51, v24
	ds_bpermute_b32 v43, v48, v32
	s_waitcnt lgkmcnt(12)
	v_add_f32_e32 v16, v16, v22
	v_add_f32_e32 v33, v33, v45
	s_waitcnt lgkmcnt(11)
	v_add_f32_e32 v34, v34, v46
	v_add_f32_e32 v8, v8, v25
	s_waitcnt lgkmcnt(9)
	v_add_f32_e32 v30, v21, v30
	ds_bpermute_b32 v25, v54, v13
	s_waitcnt lgkmcnt(9)
	v_add_f32_e32 v11, v11, v19
	ds_bpermute_b32 v19, v54, v12
	;; [unrolled: 3-line block ×4, first 2 shown]
	ds_bpermute_b32 v31, v54, v16
	s_waitcnt lgkmcnt(10)
	v_add_f32_e32 v27, v47, v27
	s_waitcnt lgkmcnt(9)
	v_add_f32_e32 v38, v50, v38
	;; [unrolled: 2-line block ×3, first 2 shown]
	ds_bpermute_b32 v47, v48, v35
	s_waitcnt lgkmcnt(8)
	v_add_f32_e32 v37, v18, v37
	ds_bpermute_b32 v18, v48, v27
	s_waitcnt lgkmcnt(8)
	v_add_f32_e32 v40, v17, v40
	ds_bpermute_b32 v17, v48, v38
	ds_bpermute_b32 v48, v48, v39
	s_waitcnt lgkmcnt(9)
	v_add_f32_e32 v32, v32, v43
	ds_bpermute_b32 v41, v54, v26
	ds_bpermute_b32 v21, v54, v20
	;; [unrolled: 1-line block ×6, first 2 shown]
	s_waitcnt lgkmcnt(12)
	v_add_f32_e32 v44, v24, v44
	ds_bpermute_b32 v24, v54, v32
	ds_bpermute_b32 v46, v54, v33
	v_add_f32_e32 v12, v12, v19
	v_add_f32_e32 v13, v13, v25
	ds_bpermute_b32 v45, v54, v44
	s_waitcnt lgkmcnt(14)
	v_add_f32_e32 v14, v14, v22
	s_waitcnt lgkmcnt(12)
	v_add_f32_e32 v35, v35, v47
	ds_bpermute_b32 v47, v54, v34
	s_waitcnt lgkmcnt(12)
	v_add_f32_e32 v51, v27, v18
	v_add_f32_e32 v16, v16, v31
	s_waitcnt lgkmcnt(11)
	v_add_f32_e32 v38, v38, v17
	s_waitcnt lgkmcnt(10)
	v_add_f32_e32 v39, v39, v48
	ds_bpermute_b32 v52, v54, v35
	ds_bpermute_b32 v48, v54, v51
	v_add_f32_e32 v17, v23, v36
	ds_bpermute_b32 v53, v54, v38
	ds_bpermute_b32 v54, v54, v39
	s_waitcnt lgkmcnt(13)
	v_add_f32_e32 v18, v26, v41
	s_waitcnt lgkmcnt(12)
	v_add_f32_e32 v19, v20, v21
	;; [unrolled: 2-line block ×4, first 2 shown]
	v_add_f32_e32 v21, v40, v49
	v_add_f32_e32 v22, v30, v50
	;; [unrolled: 1-line block ×3, first 2 shown]
	s_waitcnt lgkmcnt(5)
	v_add_f32_e32 v25, v44, v45
	v_add_f32_e32 v26, v33, v46
	s_waitcnt vmcnt(0) lgkmcnt(0)
	s_waitcnt_vscnt null, 0x0
	v_add_f32_e32 v27, v34, v47
	v_lshlrev_b32_e32 v34, 9, v127
	s_barrier
	buffer_gl0_inv
	v_add_f32_e32 v28, v35, v52
	v_and_b32_e32 v35, 0x3c7, v55
	v_add_f32_e32 v30, v38, v53
	v_add_f32_e32 v31, v39, v54
	v_lshrrev_b32_e32 v32, 3, v29
	v_add_f32_e32 v29, v51, v48
	v_lshl_add_u32 v33, v32, 2, 0x220
	v_cmpx_eq_u32_e32 64, v35
	s_cbranch_execz .LBB42_103
; %bb.102:
	v_add_nc_u32_e32 v35, v33, v34
	v_add_nc_u32_e32 v36, 0xfffffc00, v35
	;; [unrolled: 1-line block ×8, first 2 shown]
	ds_write_b32 v36, v0
	ds_write_b32 v37, v1
	ds_write_b32 v38, v2
	ds_write_b32 v39, v3
	ds_write_b32 v40, v4
	ds_write_b32 v41, v5
	ds_write_b32 v42, v6
	v_add_nc_u32_e32 v36, 0xfffffc70, v35
	v_add_nc_u32_e32 v37, 0xfffffc80, v35
	v_add_nc_u32_e32 v38, 0xfffffc90, v35
	v_add_nc_u32_e32 v39, 0xfffffca0, v35
	v_add_nc_u32_e32 v40, 0xfffffcb0, v35
	ds_write_b32 v36, v7
	ds_write_b32 v37, v8
	ds_write_b32 v38, v9
	ds_write_b32 v39, v10
	ds_write_b32 v40, v11
	v_add_nc_u32_e32 v36, 0xfffffcc0, v35
	v_add_nc_u32_e32 v37, 0xfffffcd0, v35
	v_add_nc_u32_e32 v38, 0xfffffce0, v35
	v_add_nc_u32_e32 v39, 0xfffffcf0, v35
	v_add_nc_u32_e32 v40, 0xfffffd00, v35
	ds_write_b32 v36, v12
	ds_write_b32 v37, v13
	ds_write_b32 v38, v14
	ds_write_b32 v39, v15
	ds_write_b32 v40, v16
	;; [unrolled: 10-line block ×5, first 2 shown]
.LBB42_103:
	s_or_b32 exec_lo, exec_lo, s1
	v_lshlrev_b32_e32 v32, 2, v32
	s_mov_b32 s2, exec_lo
	v_cmp_eq_u32_e32 vcc_lo, 0, v56
	s_waitcnt lgkmcnt(0)
	s_barrier
	v_add3_u32 v32, 0x220, v34, v32
	buffer_gl0_inv
	v_cmpx_gt_u32_e32 64, v55
	s_cbranch_execz .LBB42_138
; %bb.104:
	s_and_saveexec_b32 s1, vcc_lo
	s_cbranch_execnz .LBB42_178
; %bb.105:
	s_or_b32 exec_lo, exec_lo, s1
	s_and_saveexec_b32 s1, vcc_lo
	s_cbranch_execnz .LBB42_179
.LBB42_106:
	s_or_b32 exec_lo, exec_lo, s1
	s_and_saveexec_b32 s1, vcc_lo
	s_cbranch_execnz .LBB42_180
.LBB42_107:
	s_or_b32 exec_lo, exec_lo, s1
	s_and_saveexec_b32 s1, vcc_lo
	s_cbranch_execnz .LBB42_181
.LBB42_108:
	s_or_b32 exec_lo, exec_lo, s1
	s_and_saveexec_b32 s1, vcc_lo
	s_cbranch_execnz .LBB42_182
.LBB42_109:
	s_or_b32 exec_lo, exec_lo, s1
	s_and_saveexec_b32 s1, vcc_lo
	s_cbranch_execnz .LBB42_183
.LBB42_110:
	s_or_b32 exec_lo, exec_lo, s1
	s_and_saveexec_b32 s1, vcc_lo
	s_cbranch_execnz .LBB42_184
.LBB42_111:
	s_or_b32 exec_lo, exec_lo, s1
	s_and_saveexec_b32 s1, vcc_lo
	s_cbranch_execnz .LBB42_185
.LBB42_112:
	s_or_b32 exec_lo, exec_lo, s1
	s_and_saveexec_b32 s1, vcc_lo
	s_cbranch_execnz .LBB42_186
.LBB42_113:
	s_or_b32 exec_lo, exec_lo, s1
	s_and_saveexec_b32 s1, vcc_lo
	s_cbranch_execnz .LBB42_187
.LBB42_114:
	s_or_b32 exec_lo, exec_lo, s1
	s_and_saveexec_b32 s1, vcc_lo
	s_cbranch_execnz .LBB42_188
.LBB42_115:
	s_or_b32 exec_lo, exec_lo, s1
	s_and_saveexec_b32 s1, vcc_lo
	s_cbranch_execnz .LBB42_189
.LBB42_116:
	s_or_b32 exec_lo, exec_lo, s1
	s_and_saveexec_b32 s1, vcc_lo
	s_cbranch_execnz .LBB42_190
.LBB42_117:
	s_or_b32 exec_lo, exec_lo, s1
	s_and_saveexec_b32 s1, vcc_lo
	s_cbranch_execnz .LBB42_191
.LBB42_118:
	s_or_b32 exec_lo, exec_lo, s1
	s_and_saveexec_b32 s1, vcc_lo
	s_cbranch_execnz .LBB42_192
.LBB42_119:
	s_or_b32 exec_lo, exec_lo, s1
	s_and_saveexec_b32 s1, vcc_lo
	s_cbranch_execnz .LBB42_193
.LBB42_120:
	s_or_b32 exec_lo, exec_lo, s1
	s_and_saveexec_b32 s1, vcc_lo
	s_cbranch_execnz .LBB42_194
.LBB42_121:
	s_or_b32 exec_lo, exec_lo, s1
	s_and_saveexec_b32 s1, vcc_lo
	s_cbranch_execnz .LBB42_195
.LBB42_122:
	s_or_b32 exec_lo, exec_lo, s1
	s_and_saveexec_b32 s1, vcc_lo
	s_cbranch_execnz .LBB42_196
.LBB42_123:
	s_or_b32 exec_lo, exec_lo, s1
	s_and_saveexec_b32 s1, vcc_lo
	s_cbranch_execnz .LBB42_197
.LBB42_124:
	s_or_b32 exec_lo, exec_lo, s1
	s_and_saveexec_b32 s1, vcc_lo
	s_cbranch_execnz .LBB42_198
.LBB42_125:
	s_or_b32 exec_lo, exec_lo, s1
	s_and_saveexec_b32 s1, vcc_lo
	s_cbranch_execnz .LBB42_199
.LBB42_126:
	s_or_b32 exec_lo, exec_lo, s1
	s_and_saveexec_b32 s1, vcc_lo
	s_cbranch_execnz .LBB42_200
.LBB42_127:
	s_or_b32 exec_lo, exec_lo, s1
	s_and_saveexec_b32 s1, vcc_lo
	s_cbranch_execnz .LBB42_201
.LBB42_128:
	s_or_b32 exec_lo, exec_lo, s1
	s_and_saveexec_b32 s1, vcc_lo
	s_cbranch_execnz .LBB42_202
.LBB42_129:
	s_or_b32 exec_lo, exec_lo, s1
	s_and_saveexec_b32 s1, vcc_lo
	s_cbranch_execnz .LBB42_203
.LBB42_130:
	s_or_b32 exec_lo, exec_lo, s1
	s_and_saveexec_b32 s1, vcc_lo
	s_cbranch_execnz .LBB42_204
.LBB42_131:
	s_or_b32 exec_lo, exec_lo, s1
	s_and_saveexec_b32 s1, vcc_lo
	s_cbranch_execnz .LBB42_205
.LBB42_132:
	s_or_b32 exec_lo, exec_lo, s1
	s_and_saveexec_b32 s1, vcc_lo
	s_cbranch_execnz .LBB42_206
.LBB42_133:
	s_or_b32 exec_lo, exec_lo, s1
	s_and_saveexec_b32 s1, vcc_lo
	s_cbranch_execnz .LBB42_207
.LBB42_134:
	s_or_b32 exec_lo, exec_lo, s1
	s_and_saveexec_b32 s1, vcc_lo
	s_cbranch_execnz .LBB42_208
.LBB42_135:
	s_or_b32 exec_lo, exec_lo, s1
	s_and_saveexec_b32 s1, vcc_lo
	s_cbranch_execz .LBB42_137
.LBB42_136:
	ds_read_b32 v34, v32 offset:496
	s_waitcnt lgkmcnt(0)
	v_add_f32_e32 v31, v31, v34
.LBB42_137:
	s_or_b32 exec_lo, exec_lo, s1
.LBB42_138:
	s_or_b32 exec_lo, exec_lo, s2
	v_and_b32_e32 v34, 0x3e7, v55
	s_mov_b32 s2, exec_lo
	s_barrier
	buffer_gl0_inv
	v_cmpx_eq_u32_e32 32, v34
	s_cbranch_execz .LBB42_140
; %bb.139:
	ds_write2_b32 v33, v0, v1 offset1:4
	ds_write2_b32 v33, v2, v3 offset0:8 offset1:12
	ds_write2_b32 v33, v4, v5 offset0:16 offset1:20
	;; [unrolled: 1-line block ×15, first 2 shown]
.LBB42_140:
	s_or_b32 exec_lo, exec_lo, s2
	s_waitcnt lgkmcnt(0)
	s_barrier
	buffer_gl0_inv
	s_and_saveexec_b32 s1, s0
	s_cbranch_execz .LBB42_175
; %bb.141:
	s_and_saveexec_b32 s0, vcc_lo
	s_cbranch_execnz .LBB42_209
; %bb.142:
	s_or_b32 exec_lo, exec_lo, s0
	s_and_saveexec_b32 s0, vcc_lo
	s_cbranch_execnz .LBB42_210
.LBB42_143:
	s_or_b32 exec_lo, exec_lo, s0
	s_and_saveexec_b32 s0, vcc_lo
	s_cbranch_execnz .LBB42_211
.LBB42_144:
	s_or_b32 exec_lo, exec_lo, s0
	s_and_saveexec_b32 s0, vcc_lo
	s_cbranch_execnz .LBB42_212
.LBB42_145:
	s_or_b32 exec_lo, exec_lo, s0
	s_and_saveexec_b32 s0, vcc_lo
	s_cbranch_execnz .LBB42_213
.LBB42_146:
	s_or_b32 exec_lo, exec_lo, s0
	s_and_saveexec_b32 s0, vcc_lo
	s_cbranch_execnz .LBB42_214
.LBB42_147:
	s_or_b32 exec_lo, exec_lo, s0
	s_and_saveexec_b32 s0, vcc_lo
	s_cbranch_execnz .LBB42_215
.LBB42_148:
	s_or_b32 exec_lo, exec_lo, s0
	s_and_saveexec_b32 s0, vcc_lo
	s_cbranch_execnz .LBB42_216
.LBB42_149:
	s_or_b32 exec_lo, exec_lo, s0
	s_and_saveexec_b32 s0, vcc_lo
	s_cbranch_execnz .LBB42_217
.LBB42_150:
	s_or_b32 exec_lo, exec_lo, s0
	s_and_saveexec_b32 s0, vcc_lo
	s_cbranch_execnz .LBB42_218
.LBB42_151:
	s_or_b32 exec_lo, exec_lo, s0
	s_and_saveexec_b32 s0, vcc_lo
	s_cbranch_execnz .LBB42_219
.LBB42_152:
	s_or_b32 exec_lo, exec_lo, s0
	s_and_saveexec_b32 s0, vcc_lo
	s_cbranch_execnz .LBB42_220
.LBB42_153:
	s_or_b32 exec_lo, exec_lo, s0
	s_and_saveexec_b32 s0, vcc_lo
	s_cbranch_execnz .LBB42_221
.LBB42_154:
	s_or_b32 exec_lo, exec_lo, s0
	s_and_saveexec_b32 s0, vcc_lo
	s_cbranch_execnz .LBB42_222
.LBB42_155:
	s_or_b32 exec_lo, exec_lo, s0
	s_and_saveexec_b32 s0, vcc_lo
	s_cbranch_execnz .LBB42_223
.LBB42_156:
	s_or_b32 exec_lo, exec_lo, s0
	s_and_saveexec_b32 s0, vcc_lo
	s_cbranch_execnz .LBB42_224
.LBB42_157:
	s_or_b32 exec_lo, exec_lo, s0
	s_and_saveexec_b32 s0, vcc_lo
	s_cbranch_execnz .LBB42_225
.LBB42_158:
	s_or_b32 exec_lo, exec_lo, s0
	s_and_saveexec_b32 s0, vcc_lo
	s_cbranch_execnz .LBB42_226
.LBB42_159:
	s_or_b32 exec_lo, exec_lo, s0
	s_and_saveexec_b32 s0, vcc_lo
	s_cbranch_execnz .LBB42_227
.LBB42_160:
	s_or_b32 exec_lo, exec_lo, s0
	s_and_saveexec_b32 s0, vcc_lo
	s_cbranch_execnz .LBB42_228
.LBB42_161:
	s_or_b32 exec_lo, exec_lo, s0
	s_and_saveexec_b32 s0, vcc_lo
	s_cbranch_execnz .LBB42_229
.LBB42_162:
	s_or_b32 exec_lo, exec_lo, s0
	s_and_saveexec_b32 s0, vcc_lo
	s_cbranch_execnz .LBB42_230
.LBB42_163:
	s_or_b32 exec_lo, exec_lo, s0
	s_and_saveexec_b32 s0, vcc_lo
	s_cbranch_execnz .LBB42_231
.LBB42_164:
	s_or_b32 exec_lo, exec_lo, s0
	s_and_saveexec_b32 s0, vcc_lo
	s_cbranch_execnz .LBB42_232
.LBB42_165:
	s_or_b32 exec_lo, exec_lo, s0
	s_and_saveexec_b32 s0, vcc_lo
	s_cbranch_execnz .LBB42_233
.LBB42_166:
	s_or_b32 exec_lo, exec_lo, s0
	s_and_saveexec_b32 s0, vcc_lo
	s_cbranch_execnz .LBB42_234
.LBB42_167:
	s_or_b32 exec_lo, exec_lo, s0
	s_and_saveexec_b32 s0, vcc_lo
	s_cbranch_execnz .LBB42_235
.LBB42_168:
	s_or_b32 exec_lo, exec_lo, s0
	s_and_saveexec_b32 s0, vcc_lo
	s_cbranch_execnz .LBB42_236
.LBB42_169:
	s_or_b32 exec_lo, exec_lo, s0
	s_and_saveexec_b32 s0, vcc_lo
	s_cbranch_execnz .LBB42_237
.LBB42_170:
	s_or_b32 exec_lo, exec_lo, s0
	s_and_saveexec_b32 s0, vcc_lo
	s_cbranch_execnz .LBB42_238
.LBB42_171:
	s_or_b32 exec_lo, exec_lo, s0
	s_and_saveexec_b32 s0, vcc_lo
	s_cbranch_execnz .LBB42_239
.LBB42_172:
	s_or_b32 exec_lo, exec_lo, s0
	s_and_saveexec_b32 s0, vcc_lo
	s_cbranch_execz .LBB42_174
.LBB42_173:
	ds_read_b32 v32, v32 offset:496
	s_waitcnt lgkmcnt(0)
	v_add_f32_e32 v31, v31, v32
.LBB42_174:
	s_or_b32 exec_lo, exec_lo, s0
.LBB42_175:
	s_or_b32 exec_lo, exec_lo, s1
	s_barrier
	buffer_gl0_inv
	s_mov_b32 s0, exec_lo
	v_cmpx_eq_u32_e32 0, v34
	s_cbranch_execz .LBB42_177
; %bb.176:
	s_mul_i32 s0, s10, s11
	s_mul_i32 s2, s11, s20
	;; [unrolled: 1-line block ×3, first 2 shown]
	v_lshrrev_b32_e32 v32, 1, v55
	s_lshl_b32 s0, s0, 7
	s_ashr_i32 s1, s0, 31
	s_lshl_b64 s[0:1], s[0:1], 2
	s_add_u32 s4, s6, s0
	s_addc_u32 s5, s7, s1
	s_ashr_i32 s3, s2, 31
	s_lshl_b64 s[0:1], s[2:3], 2
	s_add_u32 s2, s4, s0
	s_addc_u32 s3, s5, s1
	s_lshl_b32 s0, s8, 7
	s_ashr_i32 s1, s0, 31
	s_lshl_b64 s[0:1], s[0:1], 2
	s_add_u32 s0, s2, s0
	s_addc_u32 s1, s3, s1
	global_store_dword v32, v0, s[0:1]
	global_store_dword v32, v1, s[0:1] offset:16
	global_store_dword v32, v2, s[0:1] offset:32
	;; [unrolled: 1-line block ×31, first 2 shown]
.LBB42_177:
	s_endpgm
.LBB42_178:
	ds_read_b32 v34, v32
	s_waitcnt lgkmcnt(0)
	v_add_f32_e32 v0, v0, v34
	s_or_b32 exec_lo, exec_lo, s1
	s_and_saveexec_b32 s1, vcc_lo
	s_cbranch_execz .LBB42_106
.LBB42_179:
	ds_read_b32 v34, v32 offset:16
	s_waitcnt lgkmcnt(0)
	v_add_f32_e32 v1, v1, v34
	s_or_b32 exec_lo, exec_lo, s1
	s_and_saveexec_b32 s1, vcc_lo
	s_cbranch_execz .LBB42_107
.LBB42_180:
	ds_read_b32 v34, v32 offset:32
	s_waitcnt lgkmcnt(0)
	v_add_f32_e32 v2, v2, v34
	s_or_b32 exec_lo, exec_lo, s1
	s_and_saveexec_b32 s1, vcc_lo
	s_cbranch_execz .LBB42_108
.LBB42_181:
	ds_read_b32 v34, v32 offset:48
	s_waitcnt lgkmcnt(0)
	v_add_f32_e32 v3, v3, v34
	s_or_b32 exec_lo, exec_lo, s1
	s_and_saveexec_b32 s1, vcc_lo
	s_cbranch_execz .LBB42_109
.LBB42_182:
	ds_read_b32 v34, v32 offset:64
	s_waitcnt lgkmcnt(0)
	v_add_f32_e32 v4, v4, v34
	s_or_b32 exec_lo, exec_lo, s1
	s_and_saveexec_b32 s1, vcc_lo
	s_cbranch_execz .LBB42_110
.LBB42_183:
	ds_read_b32 v34, v32 offset:80
	s_waitcnt lgkmcnt(0)
	v_add_f32_e32 v5, v5, v34
	s_or_b32 exec_lo, exec_lo, s1
	s_and_saveexec_b32 s1, vcc_lo
	s_cbranch_execz .LBB42_111
.LBB42_184:
	ds_read_b32 v34, v32 offset:96
	s_waitcnt lgkmcnt(0)
	v_add_f32_e32 v6, v6, v34
	s_or_b32 exec_lo, exec_lo, s1
	s_and_saveexec_b32 s1, vcc_lo
	s_cbranch_execz .LBB42_112
.LBB42_185:
	ds_read_b32 v34, v32 offset:112
	s_waitcnt lgkmcnt(0)
	v_add_f32_e32 v7, v7, v34
	s_or_b32 exec_lo, exec_lo, s1
	s_and_saveexec_b32 s1, vcc_lo
	s_cbranch_execz .LBB42_113
.LBB42_186:
	ds_read_b32 v34, v32 offset:128
	s_waitcnt lgkmcnt(0)
	v_add_f32_e32 v8, v8, v34
	s_or_b32 exec_lo, exec_lo, s1
	s_and_saveexec_b32 s1, vcc_lo
	s_cbranch_execz .LBB42_114
.LBB42_187:
	ds_read_b32 v34, v32 offset:144
	s_waitcnt lgkmcnt(0)
	v_add_f32_e32 v9, v9, v34
	s_or_b32 exec_lo, exec_lo, s1
	s_and_saveexec_b32 s1, vcc_lo
	s_cbranch_execz .LBB42_115
.LBB42_188:
	ds_read_b32 v34, v32 offset:160
	s_waitcnt lgkmcnt(0)
	v_add_f32_e32 v10, v10, v34
	s_or_b32 exec_lo, exec_lo, s1
	s_and_saveexec_b32 s1, vcc_lo
	s_cbranch_execz .LBB42_116
.LBB42_189:
	ds_read_b32 v34, v32 offset:176
	s_waitcnt lgkmcnt(0)
	v_add_f32_e32 v11, v11, v34
	s_or_b32 exec_lo, exec_lo, s1
	s_and_saveexec_b32 s1, vcc_lo
	s_cbranch_execz .LBB42_117
.LBB42_190:
	ds_read_b32 v34, v32 offset:192
	s_waitcnt lgkmcnt(0)
	v_add_f32_e32 v12, v12, v34
	s_or_b32 exec_lo, exec_lo, s1
	s_and_saveexec_b32 s1, vcc_lo
	s_cbranch_execz .LBB42_118
.LBB42_191:
	ds_read_b32 v34, v32 offset:208
	s_waitcnt lgkmcnt(0)
	v_add_f32_e32 v13, v13, v34
	s_or_b32 exec_lo, exec_lo, s1
	s_and_saveexec_b32 s1, vcc_lo
	s_cbranch_execz .LBB42_119
.LBB42_192:
	ds_read_b32 v34, v32 offset:224
	s_waitcnt lgkmcnt(0)
	v_add_f32_e32 v14, v14, v34
	s_or_b32 exec_lo, exec_lo, s1
	s_and_saveexec_b32 s1, vcc_lo
	s_cbranch_execz .LBB42_120
.LBB42_193:
	ds_read_b32 v34, v32 offset:240
	s_waitcnt lgkmcnt(0)
	v_add_f32_e32 v15, v15, v34
	s_or_b32 exec_lo, exec_lo, s1
	s_and_saveexec_b32 s1, vcc_lo
	s_cbranch_execz .LBB42_121
.LBB42_194:
	ds_read_b32 v34, v32 offset:256
	s_waitcnt lgkmcnt(0)
	v_add_f32_e32 v16, v16, v34
	s_or_b32 exec_lo, exec_lo, s1
	s_and_saveexec_b32 s1, vcc_lo
	s_cbranch_execz .LBB42_122
.LBB42_195:
	ds_read_b32 v34, v32 offset:272
	s_waitcnt lgkmcnt(0)
	v_add_f32_e32 v17, v17, v34
	s_or_b32 exec_lo, exec_lo, s1
	s_and_saveexec_b32 s1, vcc_lo
	s_cbranch_execz .LBB42_123
.LBB42_196:
	ds_read_b32 v34, v32 offset:288
	s_waitcnt lgkmcnt(0)
	v_add_f32_e32 v18, v18, v34
	s_or_b32 exec_lo, exec_lo, s1
	s_and_saveexec_b32 s1, vcc_lo
	s_cbranch_execz .LBB42_124
.LBB42_197:
	ds_read_b32 v34, v32 offset:304
	s_waitcnt lgkmcnt(0)
	v_add_f32_e32 v19, v19, v34
	s_or_b32 exec_lo, exec_lo, s1
	s_and_saveexec_b32 s1, vcc_lo
	s_cbranch_execz .LBB42_125
.LBB42_198:
	ds_read_b32 v34, v32 offset:320
	s_waitcnt lgkmcnt(0)
	v_add_f32_e32 v20, v20, v34
	s_or_b32 exec_lo, exec_lo, s1
	s_and_saveexec_b32 s1, vcc_lo
	s_cbranch_execz .LBB42_126
.LBB42_199:
	ds_read_b32 v34, v32 offset:336
	s_waitcnt lgkmcnt(0)
	v_add_f32_e32 v21, v21, v34
	s_or_b32 exec_lo, exec_lo, s1
	s_and_saveexec_b32 s1, vcc_lo
	s_cbranch_execz .LBB42_127
.LBB42_200:
	ds_read_b32 v34, v32 offset:352
	s_waitcnt lgkmcnt(0)
	v_add_f32_e32 v22, v22, v34
	s_or_b32 exec_lo, exec_lo, s1
	s_and_saveexec_b32 s1, vcc_lo
	s_cbranch_execz .LBB42_128
.LBB42_201:
	ds_read_b32 v34, v32 offset:368
	s_waitcnt lgkmcnt(0)
	v_add_f32_e32 v23, v23, v34
	s_or_b32 exec_lo, exec_lo, s1
	s_and_saveexec_b32 s1, vcc_lo
	s_cbranch_execz .LBB42_129
.LBB42_202:
	ds_read_b32 v34, v32 offset:384
	s_waitcnt lgkmcnt(0)
	v_add_f32_e32 v24, v24, v34
	s_or_b32 exec_lo, exec_lo, s1
	s_and_saveexec_b32 s1, vcc_lo
	s_cbranch_execz .LBB42_130
.LBB42_203:
	ds_read_b32 v34, v32 offset:400
	s_waitcnt lgkmcnt(0)
	v_add_f32_e32 v25, v25, v34
	s_or_b32 exec_lo, exec_lo, s1
	s_and_saveexec_b32 s1, vcc_lo
	s_cbranch_execz .LBB42_131
.LBB42_204:
	ds_read_b32 v34, v32 offset:416
	s_waitcnt lgkmcnt(0)
	v_add_f32_e32 v26, v26, v34
	s_or_b32 exec_lo, exec_lo, s1
	s_and_saveexec_b32 s1, vcc_lo
	s_cbranch_execz .LBB42_132
.LBB42_205:
	ds_read_b32 v34, v32 offset:432
	s_waitcnt lgkmcnt(0)
	v_add_f32_e32 v27, v27, v34
	s_or_b32 exec_lo, exec_lo, s1
	s_and_saveexec_b32 s1, vcc_lo
	s_cbranch_execz .LBB42_133
.LBB42_206:
	ds_read_b32 v34, v32 offset:448
	s_waitcnt lgkmcnt(0)
	v_add_f32_e32 v28, v28, v34
	s_or_b32 exec_lo, exec_lo, s1
	s_and_saveexec_b32 s1, vcc_lo
	s_cbranch_execz .LBB42_134
.LBB42_207:
	ds_read_b32 v34, v32 offset:464
	s_waitcnt lgkmcnt(0)
	v_add_f32_e32 v29, v29, v34
	s_or_b32 exec_lo, exec_lo, s1
	s_and_saveexec_b32 s1, vcc_lo
	s_cbranch_execz .LBB42_135
.LBB42_208:
	ds_read_b32 v34, v32 offset:480
	s_waitcnt lgkmcnt(0)
	v_add_f32_e32 v30, v30, v34
	s_or_b32 exec_lo, exec_lo, s1
	s_and_saveexec_b32 s1, vcc_lo
	s_cbranch_execnz .LBB42_136
	s_branch .LBB42_137
.LBB42_209:
	ds_read_b32 v33, v32
	s_waitcnt lgkmcnt(0)
	v_add_f32_e32 v0, v0, v33
	s_or_b32 exec_lo, exec_lo, s0
	s_and_saveexec_b32 s0, vcc_lo
	s_cbranch_execz .LBB42_143
.LBB42_210:
	ds_read_b32 v33, v32 offset:16
	s_waitcnt lgkmcnt(0)
	v_add_f32_e32 v1, v1, v33
	s_or_b32 exec_lo, exec_lo, s0
	s_and_saveexec_b32 s0, vcc_lo
	s_cbranch_execz .LBB42_144
.LBB42_211:
	ds_read_b32 v33, v32 offset:32
	s_waitcnt lgkmcnt(0)
	v_add_f32_e32 v2, v2, v33
	s_or_b32 exec_lo, exec_lo, s0
	s_and_saveexec_b32 s0, vcc_lo
	s_cbranch_execz .LBB42_145
.LBB42_212:
	ds_read_b32 v33, v32 offset:48
	s_waitcnt lgkmcnt(0)
	v_add_f32_e32 v3, v3, v33
	s_or_b32 exec_lo, exec_lo, s0
	s_and_saveexec_b32 s0, vcc_lo
	s_cbranch_execz .LBB42_146
.LBB42_213:
	ds_read_b32 v33, v32 offset:64
	s_waitcnt lgkmcnt(0)
	v_add_f32_e32 v4, v4, v33
	s_or_b32 exec_lo, exec_lo, s0
	s_and_saveexec_b32 s0, vcc_lo
	s_cbranch_execz .LBB42_147
.LBB42_214:
	ds_read_b32 v33, v32 offset:80
	s_waitcnt lgkmcnt(0)
	v_add_f32_e32 v5, v5, v33
	s_or_b32 exec_lo, exec_lo, s0
	s_and_saveexec_b32 s0, vcc_lo
	s_cbranch_execz .LBB42_148
.LBB42_215:
	ds_read_b32 v33, v32 offset:96
	s_waitcnt lgkmcnt(0)
	v_add_f32_e32 v6, v6, v33
	s_or_b32 exec_lo, exec_lo, s0
	s_and_saveexec_b32 s0, vcc_lo
	s_cbranch_execz .LBB42_149
.LBB42_216:
	ds_read_b32 v33, v32 offset:112
	s_waitcnt lgkmcnt(0)
	v_add_f32_e32 v7, v7, v33
	s_or_b32 exec_lo, exec_lo, s0
	s_and_saveexec_b32 s0, vcc_lo
	s_cbranch_execz .LBB42_150
.LBB42_217:
	ds_read_b32 v33, v32 offset:128
	s_waitcnt lgkmcnt(0)
	v_add_f32_e32 v8, v8, v33
	s_or_b32 exec_lo, exec_lo, s0
	s_and_saveexec_b32 s0, vcc_lo
	s_cbranch_execz .LBB42_151
.LBB42_218:
	ds_read_b32 v33, v32 offset:144
	s_waitcnt lgkmcnt(0)
	v_add_f32_e32 v9, v9, v33
	s_or_b32 exec_lo, exec_lo, s0
	s_and_saveexec_b32 s0, vcc_lo
	s_cbranch_execz .LBB42_152
.LBB42_219:
	ds_read_b32 v33, v32 offset:160
	s_waitcnt lgkmcnt(0)
	v_add_f32_e32 v10, v10, v33
	s_or_b32 exec_lo, exec_lo, s0
	s_and_saveexec_b32 s0, vcc_lo
	s_cbranch_execz .LBB42_153
.LBB42_220:
	ds_read_b32 v33, v32 offset:176
	s_waitcnt lgkmcnt(0)
	v_add_f32_e32 v11, v11, v33
	s_or_b32 exec_lo, exec_lo, s0
	s_and_saveexec_b32 s0, vcc_lo
	s_cbranch_execz .LBB42_154
.LBB42_221:
	ds_read_b32 v33, v32 offset:192
	s_waitcnt lgkmcnt(0)
	v_add_f32_e32 v12, v12, v33
	s_or_b32 exec_lo, exec_lo, s0
	s_and_saveexec_b32 s0, vcc_lo
	s_cbranch_execz .LBB42_155
.LBB42_222:
	ds_read_b32 v33, v32 offset:208
	s_waitcnt lgkmcnt(0)
	v_add_f32_e32 v13, v13, v33
	s_or_b32 exec_lo, exec_lo, s0
	s_and_saveexec_b32 s0, vcc_lo
	s_cbranch_execz .LBB42_156
.LBB42_223:
	ds_read_b32 v33, v32 offset:224
	s_waitcnt lgkmcnt(0)
	v_add_f32_e32 v14, v14, v33
	s_or_b32 exec_lo, exec_lo, s0
	s_and_saveexec_b32 s0, vcc_lo
	s_cbranch_execz .LBB42_157
.LBB42_224:
	ds_read_b32 v33, v32 offset:240
	s_waitcnt lgkmcnt(0)
	v_add_f32_e32 v15, v15, v33
	s_or_b32 exec_lo, exec_lo, s0
	s_and_saveexec_b32 s0, vcc_lo
	s_cbranch_execz .LBB42_158
.LBB42_225:
	ds_read_b32 v33, v32 offset:256
	s_waitcnt lgkmcnt(0)
	v_add_f32_e32 v16, v16, v33
	s_or_b32 exec_lo, exec_lo, s0
	s_and_saveexec_b32 s0, vcc_lo
	s_cbranch_execz .LBB42_159
.LBB42_226:
	ds_read_b32 v33, v32 offset:272
	s_waitcnt lgkmcnt(0)
	v_add_f32_e32 v17, v17, v33
	s_or_b32 exec_lo, exec_lo, s0
	s_and_saveexec_b32 s0, vcc_lo
	s_cbranch_execz .LBB42_160
.LBB42_227:
	ds_read_b32 v33, v32 offset:288
	s_waitcnt lgkmcnt(0)
	v_add_f32_e32 v18, v18, v33
	s_or_b32 exec_lo, exec_lo, s0
	s_and_saveexec_b32 s0, vcc_lo
	s_cbranch_execz .LBB42_161
.LBB42_228:
	ds_read_b32 v33, v32 offset:304
	s_waitcnt lgkmcnt(0)
	v_add_f32_e32 v19, v19, v33
	s_or_b32 exec_lo, exec_lo, s0
	s_and_saveexec_b32 s0, vcc_lo
	s_cbranch_execz .LBB42_162
.LBB42_229:
	ds_read_b32 v33, v32 offset:320
	s_waitcnt lgkmcnt(0)
	v_add_f32_e32 v20, v20, v33
	s_or_b32 exec_lo, exec_lo, s0
	s_and_saveexec_b32 s0, vcc_lo
	s_cbranch_execz .LBB42_163
.LBB42_230:
	ds_read_b32 v33, v32 offset:336
	s_waitcnt lgkmcnt(0)
	v_add_f32_e32 v21, v21, v33
	s_or_b32 exec_lo, exec_lo, s0
	s_and_saveexec_b32 s0, vcc_lo
	s_cbranch_execz .LBB42_164
.LBB42_231:
	ds_read_b32 v33, v32 offset:352
	s_waitcnt lgkmcnt(0)
	v_add_f32_e32 v22, v22, v33
	s_or_b32 exec_lo, exec_lo, s0
	s_and_saveexec_b32 s0, vcc_lo
	s_cbranch_execz .LBB42_165
.LBB42_232:
	ds_read_b32 v33, v32 offset:368
	s_waitcnt lgkmcnt(0)
	v_add_f32_e32 v23, v23, v33
	s_or_b32 exec_lo, exec_lo, s0
	s_and_saveexec_b32 s0, vcc_lo
	s_cbranch_execz .LBB42_166
.LBB42_233:
	ds_read_b32 v33, v32 offset:384
	s_waitcnt lgkmcnt(0)
	v_add_f32_e32 v24, v24, v33
	s_or_b32 exec_lo, exec_lo, s0
	s_and_saveexec_b32 s0, vcc_lo
	s_cbranch_execz .LBB42_167
.LBB42_234:
	ds_read_b32 v33, v32 offset:400
	s_waitcnt lgkmcnt(0)
	v_add_f32_e32 v25, v25, v33
	s_or_b32 exec_lo, exec_lo, s0
	s_and_saveexec_b32 s0, vcc_lo
	s_cbranch_execz .LBB42_168
.LBB42_235:
	ds_read_b32 v33, v32 offset:416
	s_waitcnt lgkmcnt(0)
	v_add_f32_e32 v26, v26, v33
	s_or_b32 exec_lo, exec_lo, s0
	s_and_saveexec_b32 s0, vcc_lo
	s_cbranch_execz .LBB42_169
.LBB42_236:
	ds_read_b32 v33, v32 offset:432
	s_waitcnt lgkmcnt(0)
	v_add_f32_e32 v27, v27, v33
	s_or_b32 exec_lo, exec_lo, s0
	s_and_saveexec_b32 s0, vcc_lo
	s_cbranch_execz .LBB42_170
.LBB42_237:
	ds_read_b32 v33, v32 offset:448
	s_waitcnt lgkmcnt(0)
	v_add_f32_e32 v28, v28, v33
	s_or_b32 exec_lo, exec_lo, s0
	s_and_saveexec_b32 s0, vcc_lo
	s_cbranch_execz .LBB42_171
.LBB42_238:
	ds_read_b32 v33, v32 offset:464
	s_waitcnt lgkmcnt(0)
	v_add_f32_e32 v29, v29, v33
	s_or_b32 exec_lo, exec_lo, s0
	s_and_saveexec_b32 s0, vcc_lo
	s_cbranch_execz .LBB42_172
.LBB42_239:
	ds_read_b32 v33, v32 offset:480
	s_waitcnt lgkmcnt(0)
	v_add_f32_e32 v30, v30, v33
	s_or_b32 exec_lo, exec_lo, s0
	s_and_saveexec_b32 s0, vcc_lo
	s_cbranch_execnz .LBB42_173
	s_branch .LBB42_174
	.section	.rodata,"a",@progbits
	.p2align	6, 0x0
	.amdhsa_kernel _ZN4vllm25paged_attention_v1_kernelIffLi128ELi32ELi128ELNS_18Fp8KVCacheDataTypeE0ELb1EEEvPT_PKS2_PKT0_S8_ifPKiSA_iPKfiiiSC_SC_iiiii
		.amdhsa_group_segment_fixed_size 544
		.amdhsa_private_segment_fixed_size 288
		.amdhsa_kernarg_size 384
		.amdhsa_user_sgpr_count 6
		.amdhsa_user_sgpr_private_segment_buffer 1
		.amdhsa_user_sgpr_dispatch_ptr 0
		.amdhsa_user_sgpr_queue_ptr 0
		.amdhsa_user_sgpr_kernarg_segment_ptr 1
		.amdhsa_user_sgpr_dispatch_id 0
		.amdhsa_user_sgpr_flat_scratch_init 0
		.amdhsa_user_sgpr_private_segment_size 0
		.amdhsa_wavefront_size32 1
		.amdhsa_uses_dynamic_stack 0
		.amdhsa_system_sgpr_private_segment_wavefront_offset 1
		.amdhsa_system_sgpr_workgroup_id_x 1
		.amdhsa_system_sgpr_workgroup_id_y 1
		.amdhsa_system_sgpr_workgroup_id_z 1
		.amdhsa_system_sgpr_workgroup_info 0
		.amdhsa_system_vgpr_workitem_id 0
		.amdhsa_next_free_vgpr 128
		.amdhsa_next_free_sgpr 44
		.amdhsa_reserve_vcc 1
		.amdhsa_reserve_flat_scratch 0
		.amdhsa_float_round_mode_32 0
		.amdhsa_float_round_mode_16_64 0
		.amdhsa_float_denorm_mode_32 3
		.amdhsa_float_denorm_mode_16_64 3
		.amdhsa_dx10_clamp 1
		.amdhsa_ieee_mode 1
		.amdhsa_fp16_overflow 0
		.amdhsa_workgroup_processor_mode 1
		.amdhsa_memory_ordered 1
		.amdhsa_forward_progress 1
		.amdhsa_shared_vgpr_count 0
		.amdhsa_exception_fp_ieee_invalid_op 0
		.amdhsa_exception_fp_denorm_src 0
		.amdhsa_exception_fp_ieee_div_zero 0
		.amdhsa_exception_fp_ieee_overflow 0
		.amdhsa_exception_fp_ieee_underflow 0
		.amdhsa_exception_fp_ieee_inexact 0
		.amdhsa_exception_int_div_zero 0
	.end_amdhsa_kernel
	.section	.text._ZN4vllm25paged_attention_v1_kernelIffLi128ELi32ELi128ELNS_18Fp8KVCacheDataTypeE0ELb1EEEvPT_PKS2_PKT0_S8_ifPKiSA_iPKfiiiSC_SC_iiiii,"axG",@progbits,_ZN4vllm25paged_attention_v1_kernelIffLi128ELi32ELi128ELNS_18Fp8KVCacheDataTypeE0ELb1EEEvPT_PKS2_PKT0_S8_ifPKiSA_iPKfiiiSC_SC_iiiii,comdat
.Lfunc_end42:
	.size	_ZN4vllm25paged_attention_v1_kernelIffLi128ELi32ELi128ELNS_18Fp8KVCacheDataTypeE0ELb1EEEvPT_PKS2_PKT0_S8_ifPKiSA_iPKfiiiSC_SC_iiiii, .Lfunc_end42-_ZN4vllm25paged_attention_v1_kernelIffLi128ELi32ELi128ELNS_18Fp8KVCacheDataTypeE0ELb1EEEvPT_PKS2_PKT0_S8_ifPKiSA_iPKfiiiSC_SC_iiiii
                                        ; -- End function
	.set _ZN4vllm25paged_attention_v1_kernelIffLi128ELi32ELi128ELNS_18Fp8KVCacheDataTypeE0ELb1EEEvPT_PKS2_PKT0_S8_ifPKiSA_iPKfiiiSC_SC_iiiii.num_vgpr, 128
	.set _ZN4vllm25paged_attention_v1_kernelIffLi128ELi32ELi128ELNS_18Fp8KVCacheDataTypeE0ELb1EEEvPT_PKS2_PKT0_S8_ifPKiSA_iPKfiiiSC_SC_iiiii.num_agpr, 0
	.set _ZN4vllm25paged_attention_v1_kernelIffLi128ELi32ELi128ELNS_18Fp8KVCacheDataTypeE0ELb1EEEvPT_PKS2_PKT0_S8_ifPKiSA_iPKfiiiSC_SC_iiiii.numbered_sgpr, 44
	.set _ZN4vllm25paged_attention_v1_kernelIffLi128ELi32ELi128ELNS_18Fp8KVCacheDataTypeE0ELb1EEEvPT_PKS2_PKT0_S8_ifPKiSA_iPKfiiiSC_SC_iiiii.num_named_barrier, 0
	.set _ZN4vllm25paged_attention_v1_kernelIffLi128ELi32ELi128ELNS_18Fp8KVCacheDataTypeE0ELb1EEEvPT_PKS2_PKT0_S8_ifPKiSA_iPKfiiiSC_SC_iiiii.private_seg_size, 288
	.set _ZN4vllm25paged_attention_v1_kernelIffLi128ELi32ELi128ELNS_18Fp8KVCacheDataTypeE0ELb1EEEvPT_PKS2_PKT0_S8_ifPKiSA_iPKfiiiSC_SC_iiiii.uses_vcc, 1
	.set _ZN4vllm25paged_attention_v1_kernelIffLi128ELi32ELi128ELNS_18Fp8KVCacheDataTypeE0ELb1EEEvPT_PKS2_PKT0_S8_ifPKiSA_iPKfiiiSC_SC_iiiii.uses_flat_scratch, 0
	.set _ZN4vllm25paged_attention_v1_kernelIffLi128ELi32ELi128ELNS_18Fp8KVCacheDataTypeE0ELb1EEEvPT_PKS2_PKT0_S8_ifPKiSA_iPKfiiiSC_SC_iiiii.has_dyn_sized_stack, 0
	.set _ZN4vllm25paged_attention_v1_kernelIffLi128ELi32ELi128ELNS_18Fp8KVCacheDataTypeE0ELb1EEEvPT_PKS2_PKT0_S8_ifPKiSA_iPKfiiiSC_SC_iiiii.has_recursion, 0
	.set _ZN4vllm25paged_attention_v1_kernelIffLi128ELi32ELi128ELNS_18Fp8KVCacheDataTypeE0ELb1EEEvPT_PKS2_PKT0_S8_ifPKiSA_iPKfiiiSC_SC_iiiii.has_indirect_call, 0
	.section	.AMDGPU.csdata,"",@progbits
; Kernel info:
; codeLenInByte = 15612
; TotalNumSgprs: 46
; NumVgprs: 128
; ScratchSize: 288
; MemoryBound: 0
; FloatMode: 240
; IeeeMode: 1
; LDSByteSize: 544 bytes/workgroup (compile time only)
; SGPRBlocks: 0
; VGPRBlocks: 15
; NumSGPRsForWavesPerEU: 46
; NumVGPRsForWavesPerEU: 128
; Occupancy: 8
; WaveLimiterHint : 1
; COMPUTE_PGM_RSRC2:SCRATCH_EN: 1
; COMPUTE_PGM_RSRC2:USER_SGPR: 6
; COMPUTE_PGM_RSRC2:TRAP_HANDLER: 0
; COMPUTE_PGM_RSRC2:TGID_X_EN: 1
; COMPUTE_PGM_RSRC2:TGID_Y_EN: 1
; COMPUTE_PGM_RSRC2:TGID_Z_EN: 1
; COMPUTE_PGM_RSRC2:TIDIG_COMP_CNT: 0
	.section	.text._ZN4vllm25paged_attention_v1_kernelIffLi192ELi32ELi128ELNS_18Fp8KVCacheDataTypeE0ELb1EEEvPT_PKS2_PKT0_S8_ifPKiSA_iPKfiiiSC_SC_iiiii,"axG",@progbits,_ZN4vllm25paged_attention_v1_kernelIffLi192ELi32ELi128ELNS_18Fp8KVCacheDataTypeE0ELb1EEEvPT_PKS2_PKT0_S8_ifPKiSA_iPKfiiiSC_SC_iiiii,comdat
	.protected	_ZN4vllm25paged_attention_v1_kernelIffLi192ELi32ELi128ELNS_18Fp8KVCacheDataTypeE0ELb1EEEvPT_PKS2_PKT0_S8_ifPKiSA_iPKfiiiSC_SC_iiiii ; -- Begin function _ZN4vllm25paged_attention_v1_kernelIffLi192ELi32ELi128ELNS_18Fp8KVCacheDataTypeE0ELb1EEEvPT_PKS2_PKT0_S8_ifPKiSA_iPKfiiiSC_SC_iiiii
	.globl	_ZN4vllm25paged_attention_v1_kernelIffLi192ELi32ELi128ELNS_18Fp8KVCacheDataTypeE0ELb1EEEvPT_PKS2_PKT0_S8_ifPKiSA_iPKfiiiSC_SC_iiiii
	.p2align	8
	.type	_ZN4vllm25paged_attention_v1_kernelIffLi192ELi32ELi128ELNS_18Fp8KVCacheDataTypeE0ELb1EEEvPT_PKS2_PKT0_S8_ifPKiSA_iPKfiiiSC_SC_iiiii,@function
_ZN4vllm25paged_attention_v1_kernelIffLi192ELi32ELi128ELNS_18Fp8KVCacheDataTypeE0ELb1EEEvPT_PKS2_PKT0_S8_ifPKiSA_iPKfiiiSC_SC_iiiii: ; @_ZN4vllm25paged_attention_v1_kernelIffLi192ELi32ELi128ELNS_18Fp8KVCacheDataTypeE0ELb1EEEvPT_PKS2_PKT0_S8_ifPKiSA_iPKfiiiSC_SC_iiiii
; %bb.0:
	s_mov_b64 s[42:43], s[2:3]
	s_mov_b64 s[40:41], s[0:1]
	s_mov_b32 s10, s7
	s_add_u32 s40, s40, s9
	s_clause 0x2
	s_load_dword s9, s[4:5], 0x80
	s_load_dwordx2 s[0:1], s[4:5], 0x30
	s_load_dwordx2 s[2:3], s[4:5], 0x20
	s_addc_u32 s41, s41, 0
	s_ashr_i32 s11, s7, 31
	v_mov_b32_e32 v71, v0
	s_lshl_b64 s[12:13], s[10:11], 2
	s_mov_b32 s31, 0
	s_waitcnt lgkmcnt(0)
	s_add_u32 s0, s0, s12
	s_addc_u32 s1, s1, s13
	s_abs_i32 s7, s2
	s_abs_i32 s13, s9
	v_cvt_f32_u32_e32 v0, s7
	s_sub_i32 s12, 0, s7
	v_rcp_iflag_f32_e32 v0, v0
	v_mul_f32_e32 v0, 0x4f7ffffe, v0
	v_cvt_u32_f32_e32 v0, v0
	v_readfirstlane_b32 s11, v0
	s_mul_i32 s12, s12, s11
	s_mul_hi_u32 s12, s11, s12
	s_add_i32 s11, s11, s12
	s_xor_b32 s12, s9, s2
	s_mul_hi_u32 s11, s13, s11
	s_ashr_i32 s12, s12, 31
	s_mul_i32 s14, s11, s7
	s_sub_i32 s13, s13, s14
	s_add_i32 s14, s11, 1
	s_sub_i32 s15, s13, s7
	s_cmp_ge_u32 s13, s7
	s_cselect_b32 s11, s14, s11
	s_cselect_b32 s13, s15, s13
	s_add_i32 s14, s11, 1
	s_cmp_ge_u32 s13, s7
	s_cselect_b32 s7, s14, s11
	s_abs_i32 s22, s6
	s_xor_b32 s7, s7, s12
	s_sub_i32 s16, s7, s12
	s_load_dwordx2 s[12:13], s[4:5], 0x40
	s_abs_i32 s11, s16
	v_cvt_f32_u32_e32 v0, s11
	s_sub_i32 s14, 0, s11
	v_rcp_iflag_f32_e32 v0, v0
	v_mul_f32_e32 v0, 0x4f7ffffe, v0
	v_cvt_u32_f32_e32 v0, v0
	v_readfirstlane_b32 s7, v0
	s_mul_i32 s14, s14, s7
	s_mul_hi_u32 s14, s7, s14
	s_add_i32 s7, s7, s14
	s_waitcnt lgkmcnt(0)
	s_cmp_eq_u64 s[12:13], 0
	s_mul_hi_u32 s23, s22, s7
	s_cbranch_scc1 .LBB43_2
; %bb.1:
	s_ashr_i32 s7, s6, 31
	s_lshl_b64 s[14:15], s[6:7], 2
	s_add_u32 s12, s12, s14
	s_addc_u32 s13, s13, s15
	s_load_dword s31, s[12:13], 0x0
.LBB43_2:
	s_load_dword s28, s[0:1], 0x0
	s_load_dwordx4 s[12:15], s[4:5], 0x48
	s_ashr_i32 s0, s6, 31
	s_ashr_i32 s1, s16, 31
	s_mul_i32 s20, s6, 0xc0
	s_mov_b32 s7, exec_lo
	v_cmpx_gt_u32_e32 48, v71
	s_cbranch_execz .LBB43_4
; %bb.3:
	s_load_dwordx2 s[16:17], s[4:5], 0x8
	s_waitcnt lgkmcnt(0)
	s_mul_i32 s18, s12, s10
	v_lshlrev_b32_e32 v4, 4, v71
	s_ashr_i32 s19, s18, 31
	s_lshl_b64 s[18:19], s[18:19], 2
	s_add_u32 s12, s16, s18
	s_addc_u32 s15, s17, s19
	s_ashr_i32 s21, s20, 31
	s_lshl_b64 s[16:17], s[20:21], 2
	s_add_u32 s16, s12, s16
	s_addc_u32 s17, s15, s17
	global_load_dwordx4 v[0:3], v4, s[16:17]
	s_waitcnt vmcnt(0)
	ds_write_b128 v4, v[0:3]
.LBB43_4:
	s_or_b32 exec_lo, exec_lo, s7
	s_load_dwordx4 s[16:19], s[4:5], 0x68
	s_mul_i32 s7, s23, s11
	s_xor_b32 s1, s0, s1
	s_sub_i32 s0, s22, s7
	s_add_i32 s7, s23, 1
	s_waitcnt lgkmcnt(0)
	s_sub_i32 s12, s0, s11
	s_cmp_ge_u32 s0, s11
	s_mov_b32 s24, -1
	s_cselect_b32 s7, s7, s23
	s_cselect_b32 s0, s12, s0
	s_add_i32 s12, s7, 1
	s_cmp_ge_u32 s0, s11
	s_load_dword s0, s[4:5], 0x78
	s_cselect_b32 s7, s12, s7
	s_add_i32 s11, s28, -1
	s_xor_b32 s7, s7, s1
	s_waitcnt lgkmcnt(0)
	s_sub_i32 s1, s7, s1
	s_barrier
	buffer_gl0_inv
	s_abs_i32 s12, s19
                                        ; implicit-def: $sgpr29
	v_cvt_f32_u32_e32 v0, s12
	s_sub_i32 s7, 0, s12
	v_rcp_iflag_f32_e32 v0, v0
	v_mul_f32_e32 v0, 0x4f7ffffe, v0
	v_cvt_u32_f32_e32 v0, v0
	v_readfirstlane_b32 s21, v0
	s_mul_i32 s7, s7, s21
	s_mul_hi_u32 s15, s21, s7
	s_abs_i32 s7, s11
	s_add_i32 s21, s21, s15
	s_cmp_lt_i32 s0, 0
	s_mul_hi_u32 s15, s7, s21
	s_cbranch_scc0 .LBB43_6
; %bb.5:
	s_mul_i32 s2, s16, s2
	s_mov_b32 s24, 0
	s_add_i32 s2, s1, s2
	s_mul_i32 s2, s2, s0
	s_sub_i32 s29, 1, s2
.LBB43_6:
	s_load_dwordx2 s[22:23], s[4:5], 0x28
	s_ashr_i32 s2, s11, 31
	s_andn2_b32 vcc_lo, exec_lo, s24
	s_ashr_i32 s19, s19, 31
	s_cbranch_vccnz .LBB43_8
; %bb.7:
	s_mul_i32 s11, s9, s16
	s_add_i32 s6, s11, s6
	s_mul_i32 s0, s6, s0
	s_add_i32 s29, s0, 1
.LBB43_8:
	s_load_dword s0, s[4:5], 0x38
	s_mul_i32 s6, s15, s12
	s_xor_b32 s2, s2, s19
	s_sub_i32 s30, s7, s6
	s_add_i32 s16, s15, 1
	s_clause 0x2
	s_load_dwordx2 s[6:7], s[4:5], 0x0
	s_load_dwordx2 s[26:27], s[4:5], 0x18
	s_load_dword s11, s[4:5], 0x88
	v_lshrrev_b32_e32 v84, 5, v71
	v_and_b32_e32 v0, 31, v71
	v_mov_b32_e32 v76, 0xff7fffff
	v_lshrrev_b32_e32 v73, 3, v71
	s_mul_i32 s14, s1, s14
	buffer_store_dword v0, off, s[40:43], 0 offset:552 ; 4-byte Folded Spill
	v_lshlrev_b32_e32 v74, 2, v0
	v_lshlrev_b32_e32 v0, 5, v84
	buffer_store_dword v0, off, s[40:43], 0 offset:532 ; 4-byte Folded Spill
	s_waitcnt lgkmcnt(0)
	s_mul_i32 s24, s0, s10
	s_sub_i32 s0, s30, s12
	s_ashr_i32 s25, s24, 31
	s_cmp_ge_u32 s30, s12
	s_cselect_b32 s15, s16, s15
	s_cselect_b32 s0, s0, s30
	s_add_i32 s16, s15, 1
	s_cmp_ge_u32 s0, s12
	s_cselect_b32 s0, s16, s15
	s_add_i32 s15, s28, 31
	s_ashr_i32 s16, s15, 31
	s_lshr_b32 s16, s16, 27
	s_add_i32 s15, s15, s16
	s_ashr_i32 s16, s15, 5
	s_xor_b32 s15, s0, s2
	v_cmp_gt_i32_e64 s0, s16, v84
	s_sub_i32 s30, s15, s2
	s_mov_b32 s33, exec_lo
	s_and_b32 s1, s33, s0
	buffer_store_dword v71, off, s[40:43], 0 offset:568 ; 4-byte Folded Spill
	buffer_store_dword v84, off, s[40:43], 0 offset:572 ; 4-byte Folded Spill
	s_mov_b32 exec_lo, s1
	s_cbranch_execz .LBB43_16
; %bb.9:
	buffer_load_dword v70, off, s[40:43], 0 offset:552 ; 4-byte Folded Reload
	s_load_dwordx2 s[34:35], s[4:5], 0x10
	s_ashr_i32 s15, s14, 31
	s_sub_i32 s4, s30, s17
	s_lshl_b64 s[36:37], s[14:15], 2
	v_mov_b32_e32 v65, 0
	v_cmp_neq_f32_e64 vcc_lo, s31, 0
	v_mov_b32_e32 v76, 0xff7fffff
	s_mov_b32 s5, s13
	s_mov_b32 s15, 0
	s_waitcnt lgkmcnt(0)
	s_add_u32 s1, s34, s36
	s_addc_u32 s2, s35, s37
	s_abs_i32 s34, s18
	s_lshl_b64 s[36:37], s[24:25], 2
	s_waitcnt vmcnt(0)
	v_lshlrev_b32_e32 v0, 4, v70
	v_add_co_u32 v0, s1, s1, v0
	buffer_store_dword v0, off, s[40:43], 0 ; 4-byte Folded Spill
	v_add_co_ci_u32_e64 v0, null, s2, 0, s1
	s_sub_i32 s1, 0, s34
	buffer_store_dword v0, off, s[40:43], 0 offset:4 ; 4-byte Folded Spill
	ds_read_b128 v[0:3], v65
	s_waitcnt lgkmcnt(0)
	buffer_store_dword v0, off, s[40:43], 0 offset:20 ; 4-byte Folded Spill
	buffer_store_dword v1, off, s[40:43], 0 offset:24 ; 4-byte Folded Spill
	buffer_store_dword v2, off, s[40:43], 0 offset:28 ; 4-byte Folded Spill
	buffer_store_dword v3, off, s[40:43], 0 offset:32 ; 4-byte Folded Spill
	ds_read_b128 v[0:3], v65 offset:16
	s_waitcnt lgkmcnt(0)
	buffer_store_dword v0, off, s[40:43], 0 offset:36 ; 4-byte Folded Spill
	buffer_store_dword v1, off, s[40:43], 0 offset:40 ; 4-byte Folded Spill
	buffer_store_dword v2, off, s[40:43], 0 offset:44 ; 4-byte Folded Spill
	buffer_store_dword v3, off, s[40:43], 0 offset:48 ; 4-byte Folded Spill
	ds_read_b128 v[0:3], v65 offset:32
	;; [unrolled: 6-line block ×21, first 2 shown]
	s_waitcnt lgkmcnt(0)
	buffer_store_dword v0, off, s[40:43], 0 offset:356 ; 4-byte Folded Spill
	buffer_store_dword v1, off, s[40:43], 0 offset:360 ; 4-byte Folded Spill
	buffer_store_dword v2, off, s[40:43], 0 offset:364 ; 4-byte Folded Spill
	buffer_store_dword v3, off, s[40:43], 0 offset:368 ; 4-byte Folded Spill
	v_cvt_f32_u32_e32 v0, s34
	ds_read_b128 v[89:92], v65 offset:352
	ds_read_b128 v[93:96], v65 offset:368
	;; [unrolled: 1-line block ×26, first 2 shown]
	buffer_store_dword v73, off, s[40:43], 0 offset:380 ; 4-byte Folded Spill
	v_rcp_iflag_f32_e32 v0, v0
	v_mul_f32_e32 v0, 0x4f7ffffe, v0
	v_cvt_u32_f32_e32 v0, v0
	v_mul_lo_u32 v69, s1, v0
	s_add_u32 s1, s22, s36
	s_addc_u32 s2, s23, s37
	v_mul_hi_u32 v69, v0, v69
	v_add_nc_u32_e32 v75, v0, v69
	v_and_b32_e32 v0, 0x7c, v73
	v_mov_b32_e32 v69, v84
	v_add_co_u32 v125, s1, s1, v0
	v_subrev_nc_u32_e32 v0, s28, v70
	v_add_co_ci_u32_e64 v126, null, s2, 0, s1
	v_lshlrev_b32_e32 v72, 5, v69
	v_add_nc_u32_e32 v0, 1, v0
	buffer_store_dword v0, off, s[40:43], 0 offset:376 ; 4-byte Folded Spill
	buffer_store_dword v74, off, s[40:43], 0 offset:384 ; 4-byte Folded Spill
	v_lshl_or_b32 v0, v69, 7, v74
	buffer_store_dword v75, off, s[40:43], 0 offset:372 ; 4-byte Folded Spill
	v_add_nc_u32_e32 v127, 0x320, v0
	v_mov_b32_e32 v0, v84
	s_branch .LBB43_11
.LBB43_10:                              ;   in Loop: Header=BB43_11 Depth=1
	s_or_b32 exec_lo, exec_lo, s2
	v_add_nc_u32_e32 v0, 4, v0
	v_add_co_u32 v125, s1, v125, 16
	v_add_co_ci_u32_e64 v126, null, 0, v126, s1
	v_cmp_le_i32_e64 s1, s16, v0
	v_add_nc_u32_e32 v72, 0x80, v72
	v_add_nc_u32_e32 v127, 0x200, v127
	s_or_b32 s15, s1, s15
	s_andn2_b32 exec_lo, exec_lo, s15
	s_cbranch_execz .LBB43_15
.LBB43_11:                              ; =>This Inner Loop Header: Depth=1
	v_mul_hi_u32 v69, v72, s21
	v_mul_lo_u32 v70, v69, s12
	v_add_nc_u32_e32 v71, 1, v69
	v_sub_nc_u32_e32 v70, v72, v70
	v_subrev_nc_u32_e32 v73, s12, v70
	v_cmp_le_u32_e64 s1, s12, v70
	v_cndmask_b32_e64 v69, v69, v71, s1
	v_cndmask_b32_e64 v70, v70, v73, s1
	v_add_nc_u32_e32 v71, 1, v69
	v_cmp_le_u32_e64 s1, s12, v70
	v_cndmask_b32_e64 v69, v69, v71, s1
	v_xor_b32_e32 v69, s19, v69
	v_subrev_nc_u32_e32 v69, s19, v69
	v_add_nc_u32_e32 v70, s29, v69
	v_cmp_ge_i32_e64 s2, s4, v69
	v_sub_nc_u32_e32 v71, 0, v70
	v_max_i32_e32 v71, v70, v71
	v_ashrrev_i32_e32 v70, 31, v70
	v_mul_hi_u32 v73, v71, v75
	v_mul_lo_u32 v73, v73, s34
	v_sub_nc_u32_e32 v71, v71, v73
	v_subrev_nc_u32_e32 v73, s34, v71
	v_cmp_le_u32_e64 s1, s34, v71
	v_cndmask_b32_e64 v71, v71, v73, s1
	v_subrev_nc_u32_e32 v73, s34, v71
	v_cmp_le_u32_e64 s1, s34, v71
	v_cndmask_b32_e64 v71, v71, v73, s1
	v_xor_b32_e32 v71, v71, v70
	v_sub_nc_u32_e32 v70, v71, v70
	v_cmp_ne_u32_e64 s1, 0, v70
	s_and_b32 s1, s1, s2
	s_and_saveexec_b32 s2, s1
	s_xor_b32 s1, exec_lo, s2
; %bb.12:                               ;   in Loop: Header=BB43_11 Depth=1
	v_mov_b32_e32 v69, 0xff7fffff
	ds_write_b32 v127, v69
; %bb.13:                               ;   in Loop: Header=BB43_11 Depth=1
	s_andn2_saveexec_b32 s2, s1
	s_cbranch_execz .LBB43_10
; %bb.14:                               ;   in Loop: Header=BB43_11 Depth=1
	global_load_dword v69, v[125:126], off
	buffer_load_dword v71, off, s[40:43], 0 ; 4-byte Folded Reload
	v_mov_b32_e32 v84, v76
	s_waitcnt vmcnt(1)
	v_mad_i64_i32 v[69:70], null, v69, s5, 0
	v_lshlrev_b64 v[69:70], 2, v[69:70]
	s_waitcnt vmcnt(0)
	v_add_co_u32 v69, s1, v71, v69
	buffer_load_dword v71, off, s[40:43], 0 offset:4 ; 4-byte Folded Reload
	s_waitcnt vmcnt(0)
	v_add_co_ci_u32_e64 v70, null, v71, v70, s1
	global_load_dwordx4 v[73:76], v[69:70], off offset:512
	s_clause 0x3
	buffer_load_dword v77, off, s[40:43], 0 offset:36
	buffer_load_dword v78, off, s[40:43], 0 offset:40
	buffer_load_dword v79, off, s[40:43], 0 offset:44
	buffer_load_dword v80, off, s[40:43], 0 offset:48
	s_waitcnt vmcnt(3)
	v_mul_f32_e32 v73, v77, v73
	s_waitcnt vmcnt(2)
	v_mul_f32_e32 v74, v78, v74
	;; [unrolled: 2-line block ×4, first 2 shown]
	global_load_dwordx4 v[76:79], v[69:70], off
	s_clause 0x3
	buffer_load_dword v80, off, s[40:43], 0 offset:20
	buffer_load_dword v81, off, s[40:43], 0 offset:24
	;; [unrolled: 1-line block ×4, first 2 shown]
	s_waitcnt vmcnt(3)
	v_fmac_f32_e32 v73, v80, v76
	s_waitcnt vmcnt(2)
	v_fmac_f32_e32 v74, v81, v77
	;; [unrolled: 2-line block ×4, first 2 shown]
	global_load_dwordx4 v[76:79], v[69:70], off offset:1024
	s_clause 0x3
	buffer_load_dword v80, off, s[40:43], 0 offset:52
	buffer_load_dword v81, off, s[40:43], 0 offset:56
	;; [unrolled: 1-line block ×4, first 2 shown]
	s_waitcnt vmcnt(3)
	v_fmac_f32_e32 v73, v80, v76
	s_waitcnt vmcnt(2)
	v_fmac_f32_e32 v74, v81, v77
	;; [unrolled: 2-line block ×4, first 2 shown]
	global_load_dwordx4 v[76:79], v[69:70], off offset:1536
	s_clause 0x3
	buffer_load_dword v80, off, s[40:43], 0 offset:68
	buffer_load_dword v81, off, s[40:43], 0 offset:72
	;; [unrolled: 1-line block ×4, first 2 shown]
	s_waitcnt vmcnt(3)
	v_fmac_f32_e32 v73, v80, v76
	v_add_co_u32 v80, s1, v69, 0x1000
	s_waitcnt vmcnt(2)
	v_fmac_f32_e32 v74, v81, v77
	v_add_co_ci_u32_e64 v81, null, 0, v70, s1
	s_waitcnt vmcnt(1)
	v_fmac_f32_e32 v75, v82, v78
	s_waitcnt vmcnt(0)
	v_fmac_f32_e32 v71, v83, v79
	v_add_co_u32 v82, s1, 0x800, v69
	global_load_dwordx4 v[76:79], v[80:81], off offset:-2048
	s_clause 0x3
	buffer_load_dword v85, off, s[40:43], 0 offset:84
	buffer_load_dword v86, off, s[40:43], 0 offset:88
	;; [unrolled: 1-line block ×4, first 2 shown]
	v_add_co_ci_u32_e64 v83, null, 0, v70, s1
	s_waitcnt vmcnt(3)
	v_fmac_f32_e32 v73, v85, v76
	s_waitcnt vmcnt(2)
	v_fmac_f32_e32 v74, v86, v77
	s_waitcnt vmcnt(1)
	v_fmac_f32_e32 v75, v87, v78
	s_waitcnt vmcnt(0)
	v_fmac_f32_e32 v71, v88, v79
	global_load_dwordx4 v[76:79], v[82:83], off offset:512
	s_clause 0x3
	buffer_load_dword v85, off, s[40:43], 0 offset:100
	buffer_load_dword v86, off, s[40:43], 0 offset:104
	buffer_load_dword v87, off, s[40:43], 0 offset:108
	buffer_load_dword v88, off, s[40:43], 0 offset:112
	s_waitcnt vmcnt(3)
	v_fmac_f32_e32 v73, v85, v76
	s_waitcnt vmcnt(2)
	v_fmac_f32_e32 v74, v86, v77
	s_waitcnt vmcnt(1)
	v_fmac_f32_e32 v75, v87, v78
	s_waitcnt vmcnt(0)
	v_fmac_f32_e32 v71, v88, v79
	global_load_dwordx4 v[76:79], v[82:83], off offset:1024
	s_clause 0x3
	buffer_load_dword v85, off, s[40:43], 0 offset:116
	buffer_load_dword v86, off, s[40:43], 0 offset:120
	buffer_load_dword v87, off, s[40:43], 0 offset:124
	buffer_load_dword v88, off, s[40:43], 0 offset:128
	;; [unrolled: 14-line block ×3, first 2 shown]
	s_waitcnt vmcnt(3)
	v_fmac_f32_e32 v73, v85, v76
	s_waitcnt vmcnt(2)
	v_fmac_f32_e32 v74, v86, v77
	;; [unrolled: 2-line block ×4, first 2 shown]
	global_load_dwordx4 v[76:79], v[80:81], off
	s_clause 0x3
	buffer_load_dword v80, off, s[40:43], 0 offset:148
	buffer_load_dword v81, off, s[40:43], 0 offset:152
	buffer_load_dword v82, off, s[40:43], 0 offset:156
	buffer_load_dword v83, off, s[40:43], 0 offset:160
	s_waitcnt vmcnt(3)
	v_fmac_f32_e32 v73, v80, v76
	v_add_co_u32 v80, s1, 0x1000, v69
	s_waitcnt vmcnt(2)
	v_fmac_f32_e32 v74, v81, v77
	v_add_co_ci_u32_e64 v81, null, 0, v70, s1
	s_waitcnt vmcnt(1)
	v_fmac_f32_e32 v75, v82, v78
	s_waitcnt vmcnt(0)
	v_fmac_f32_e32 v71, v83, v79
	global_load_dwordx4 v[76:79], v[80:81], off offset:512
	s_clause 0x3
	buffer_load_dword v85, off, s[40:43], 0 offset:164
	buffer_load_dword v86, off, s[40:43], 0 offset:168
	;; [unrolled: 1-line block ×4, first 2 shown]
	s_waitcnt vmcnt(3)
	v_fmac_f32_e32 v73, v85, v76
	s_waitcnt vmcnt(2)
	v_fmac_f32_e32 v74, v86, v77
	;; [unrolled: 2-line block ×4, first 2 shown]
	global_load_dwordx4 v[76:79], v[80:81], off offset:1024
	s_clause 0x3
	buffer_load_dword v85, off, s[40:43], 0 offset:180
	buffer_load_dword v86, off, s[40:43], 0 offset:184
	;; [unrolled: 1-line block ×4, first 2 shown]
	s_waitcnt vmcnt(3)
	v_fmac_f32_e32 v73, v85, v76
	s_waitcnt vmcnt(2)
	v_fmac_f32_e32 v74, v86, v77
	;; [unrolled: 2-line block ×4, first 2 shown]
	global_load_dwordx4 v[76:79], v[80:81], off offset:1536
	s_clause 0x3
	buffer_load_dword v80, off, s[40:43], 0 offset:196
	buffer_load_dword v81, off, s[40:43], 0 offset:200
	;; [unrolled: 1-line block ×4, first 2 shown]
	s_waitcnt vmcnt(3)
	v_fmac_f32_e32 v73, v80, v76
	v_add_co_u32 v80, s1, v69, 0x2000
	s_waitcnt vmcnt(2)
	v_fmac_f32_e32 v74, v81, v77
	v_add_co_ci_u32_e64 v81, null, 0, v70, s1
	s_waitcnt vmcnt(1)
	v_fmac_f32_e32 v75, v82, v78
	s_waitcnt vmcnt(0)
	v_fmac_f32_e32 v71, v83, v79
	v_add_co_u32 v82, s1, 0x1800, v69
	global_load_dwordx4 v[76:79], v[80:81], off offset:-2048
	s_clause 0x3
	buffer_load_dword v85, off, s[40:43], 0 offset:212
	buffer_load_dword v86, off, s[40:43], 0 offset:216
	;; [unrolled: 1-line block ×4, first 2 shown]
	v_add_co_ci_u32_e64 v83, null, 0, v70, s1
	s_waitcnt vmcnt(3)
	v_fmac_f32_e32 v73, v85, v76
	s_waitcnt vmcnt(2)
	v_fmac_f32_e32 v74, v86, v77
	s_waitcnt vmcnt(1)
	v_fmac_f32_e32 v75, v87, v78
	s_waitcnt vmcnt(0)
	v_fmac_f32_e32 v71, v88, v79
	global_load_dwordx4 v[76:79], v[82:83], off offset:512
	s_clause 0x3
	buffer_load_dword v85, off, s[40:43], 0 offset:228
	buffer_load_dword v86, off, s[40:43], 0 offset:232
	buffer_load_dword v87, off, s[40:43], 0 offset:236
	buffer_load_dword v88, off, s[40:43], 0 offset:240
	s_waitcnt vmcnt(3)
	v_fmac_f32_e32 v73, v85, v76
	s_waitcnt vmcnt(2)
	v_fmac_f32_e32 v74, v86, v77
	s_waitcnt vmcnt(1)
	v_fmac_f32_e32 v75, v87, v78
	s_waitcnt vmcnt(0)
	v_fmac_f32_e32 v71, v88, v79
	global_load_dwordx4 v[76:79], v[82:83], off offset:1024
	s_clause 0x3
	buffer_load_dword v85, off, s[40:43], 0 offset:244
	buffer_load_dword v86, off, s[40:43], 0 offset:248
	buffer_load_dword v87, off, s[40:43], 0 offset:252
	buffer_load_dword v88, off, s[40:43], 0 offset:256
	;; [unrolled: 14-line block ×3, first 2 shown]
	s_waitcnt vmcnt(3)
	v_fmac_f32_e32 v73, v85, v76
	s_waitcnt vmcnt(2)
	v_fmac_f32_e32 v74, v86, v77
	;; [unrolled: 2-line block ×4, first 2 shown]
	global_load_dwordx4 v[76:79], v[80:81], off
	s_clause 0x3
	buffer_load_dword v80, off, s[40:43], 0 offset:276
	buffer_load_dword v81, off, s[40:43], 0 offset:280
	;; [unrolled: 1-line block ×4, first 2 shown]
	s_waitcnt vmcnt(3)
	v_fmac_f32_e32 v73, v80, v76
	v_add_co_u32 v80, s1, 0x2000, v69
	s_waitcnt vmcnt(2)
	v_fmac_f32_e32 v74, v81, v77
	v_add_co_ci_u32_e64 v81, null, 0, v70, s1
	s_waitcnt vmcnt(1)
	v_fmac_f32_e32 v75, v82, v78
	s_waitcnt vmcnt(0)
	v_fmac_f32_e32 v71, v83, v79
	global_load_dwordx4 v[76:79], v[80:81], off offset:512
	s_clause 0x3
	buffer_load_dword v85, off, s[40:43], 0 offset:292
	buffer_load_dword v86, off, s[40:43], 0 offset:296
	;; [unrolled: 1-line block ×4, first 2 shown]
	s_waitcnt vmcnt(3)
	v_fmac_f32_e32 v73, v85, v76
	s_waitcnt vmcnt(2)
	v_fmac_f32_e32 v74, v86, v77
	;; [unrolled: 2-line block ×4, first 2 shown]
	global_load_dwordx4 v[76:79], v[80:81], off offset:1024
	s_clause 0x3
	buffer_load_dword v85, off, s[40:43], 0 offset:308
	buffer_load_dword v86, off, s[40:43], 0 offset:312
	;; [unrolled: 1-line block ×4, first 2 shown]
	s_waitcnt vmcnt(3)
	v_fmac_f32_e32 v73, v85, v76
	s_waitcnt vmcnt(2)
	v_fmac_f32_e32 v74, v86, v77
	;; [unrolled: 2-line block ×4, first 2 shown]
	global_load_dwordx4 v[76:79], v[80:81], off offset:1536
	s_clause 0x3
	buffer_load_dword v80, off, s[40:43], 0 offset:324
	buffer_load_dword v81, off, s[40:43], 0 offset:328
	buffer_load_dword v82, off, s[40:43], 0 offset:332
	buffer_load_dword v83, off, s[40:43], 0 offset:336
	s_waitcnt vmcnt(3)
	v_fmac_f32_e32 v73, v80, v76
	v_add_co_u32 v80, s1, v69, 0x3000
	s_waitcnt vmcnt(2)
	v_fmac_f32_e32 v74, v81, v77
	v_add_co_ci_u32_e64 v81, null, 0, v70, s1
	s_waitcnt vmcnt(1)
	v_fmac_f32_e32 v75, v82, v78
	s_waitcnt vmcnt(0)
	v_fmac_f32_e32 v71, v83, v79
	v_add_co_u32 v82, s1, 0x2800, v69
	global_load_dwordx4 v[76:79], v[80:81], off offset:-2048
	s_clause 0x3
	buffer_load_dword v85, off, s[40:43], 0 offset:340
	buffer_load_dword v86, off, s[40:43], 0 offset:344
	;; [unrolled: 1-line block ×4, first 2 shown]
	v_add_co_ci_u32_e64 v83, null, 0, v70, s1
	s_waitcnt vmcnt(3)
	v_fmac_f32_e32 v73, v85, v76
	s_waitcnt vmcnt(2)
	v_fmac_f32_e32 v74, v86, v77
	;; [unrolled: 2-line block ×4, first 2 shown]
	global_load_dwordx4 v[76:79], v[82:83], off offset:512
	s_clause 0x3
	buffer_load_dword v85, off, s[40:43], 0 offset:356
	buffer_load_dword v86, off, s[40:43], 0 offset:360
	buffer_load_dword v87, off, s[40:43], 0 offset:364
	buffer_load_dword v88, off, s[40:43], 0 offset:368
	s_waitcnt vmcnt(3)
	v_fmac_f32_e32 v73, v85, v76
	s_waitcnt vmcnt(2)
	v_fmac_f32_e32 v74, v86, v77
	;; [unrolled: 2-line block ×4, first 2 shown]
	global_load_dwordx4 v[76:79], v[82:83], off offset:1024
	s_waitcnt vmcnt(0) lgkmcnt(25)
	v_fmac_f32_e32 v73, v89, v76
	v_fmac_f32_e32 v74, v90, v77
	;; [unrolled: 1-line block ×4, first 2 shown]
	global_load_dwordx4 v[76:79], v[82:83], off offset:1536
	s_waitcnt vmcnt(0) lgkmcnt(24)
	v_fmac_f32_e32 v73, v93, v76
	v_fmac_f32_e32 v74, v94, v77
	;; [unrolled: 1-line block ×4, first 2 shown]
	global_load_dwordx4 v[76:79], v[80:81], off
	v_add_co_u32 v80, s1, 0x3000, v69
	v_add_co_ci_u32_e64 v81, null, 0, v70, s1
	s_waitcnt vmcnt(0) lgkmcnt(23)
	v_fmac_f32_e32 v73, v97, v76
	v_fmac_f32_e32 v74, v98, v77
	v_fmac_f32_e32 v75, v99, v78
	v_fmac_f32_e32 v71, v100, v79
	global_load_dwordx4 v[76:79], v[80:81], off offset:512
	s_waitcnt vmcnt(0) lgkmcnt(22)
	v_fmac_f32_e32 v73, v101, v76
	v_fmac_f32_e32 v74, v102, v77
	v_fmac_f32_e32 v75, v103, v78
	v_fmac_f32_e32 v71, v104, v79
	global_load_dwordx4 v[76:79], v[80:81], off offset:1024
	s_waitcnt vmcnt(0) lgkmcnt(21)
	v_fmac_f32_e32 v73, v105, v76
	v_fmac_f32_e32 v74, v106, v77
	v_fmac_f32_e32 v75, v107, v78
	v_fmac_f32_e32 v71, v108, v79
	global_load_dwordx4 v[76:79], v[80:81], off offset:1536
	v_add_co_u32 v80, s1, v69, 0x4000
	v_add_co_ci_u32_e64 v81, null, 0, v70, s1
	v_add_co_u32 v82, s1, 0x3800, v69
	v_add_co_ci_u32_e64 v83, null, 0, v70, s1
	s_waitcnt vmcnt(0) lgkmcnt(20)
	v_fmac_f32_e32 v73, v109, v76
	v_fmac_f32_e32 v74, v110, v77
	;; [unrolled: 1-line block ×4, first 2 shown]
	global_load_dwordx4 v[76:79], v[80:81], off offset:-2048
	s_waitcnt vmcnt(0) lgkmcnt(19)
	v_fmac_f32_e32 v73, v113, v76
	v_fmac_f32_e32 v74, v114, v77
	v_fmac_f32_e32 v75, v115, v78
	v_fmac_f32_e32 v71, v116, v79
	global_load_dwordx4 v[76:79], v[82:83], off offset:512
	s_waitcnt vmcnt(0) lgkmcnt(18)
	v_fmac_f32_e32 v73, v117, v76
	v_fmac_f32_e32 v74, v118, v77
	v_fmac_f32_e32 v75, v119, v78
	v_fmac_f32_e32 v71, v120, v79
	global_load_dwordx4 v[76:79], v[82:83], off offset:1024
	;; [unrolled: 6-line block ×3, first 2 shown]
	s_waitcnt vmcnt(0) lgkmcnt(16)
	v_fmac_f32_e32 v73, v1, v76
	v_fmac_f32_e32 v74, v2, v77
	;; [unrolled: 1-line block ×4, first 2 shown]
	global_load_dwordx4 v[76:79], v[80:81], off
	v_add_co_u32 v80, s1, 0x4000, v69
	v_add_co_ci_u32_e64 v81, null, 0, v70, s1
	s_waitcnt vmcnt(0) lgkmcnt(15)
	v_fmac_f32_e32 v73, v5, v76
	v_fmac_f32_e32 v74, v6, v77
	v_fmac_f32_e32 v75, v7, v78
	v_fmac_f32_e32 v71, v8, v79
	global_load_dwordx4 v[76:79], v[80:81], off offset:512
	s_waitcnt vmcnt(0) lgkmcnt(14)
	v_fmac_f32_e32 v73, v9, v76
	v_fmac_f32_e32 v74, v10, v77
	v_fmac_f32_e32 v75, v11, v78
	v_fmac_f32_e32 v71, v12, v79
	global_load_dwordx4 v[76:79], v[80:81], off offset:1024
	;; [unrolled: 6-line block ×3, first 2 shown]
	v_add_co_u32 v80, s1, v69, 0x5000
	v_add_co_ci_u32_e64 v81, null, 0, v70, s1
	v_add_co_u32 v82, s1, 0x4800, v69
	v_add_co_ci_u32_e64 v83, null, 0, v70, s1
	s_waitcnt vmcnt(0) lgkmcnt(12)
	v_fmac_f32_e32 v73, v17, v76
	v_fmac_f32_e32 v74, v18, v77
	;; [unrolled: 1-line block ×4, first 2 shown]
	global_load_dwordx4 v[76:79], v[80:81], off offset:-2048
	s_waitcnt vmcnt(0) lgkmcnt(11)
	v_fmac_f32_e32 v73, v21, v76
	v_fmac_f32_e32 v74, v22, v77
	v_fmac_f32_e32 v75, v23, v78
	v_fmac_f32_e32 v71, v24, v79
	global_load_dwordx4 v[76:79], v[82:83], off offset:512
	s_waitcnt vmcnt(0) lgkmcnt(10)
	v_fmac_f32_e32 v73, v25, v76
	v_fmac_f32_e32 v74, v26, v77
	v_fmac_f32_e32 v75, v27, v78
	v_fmac_f32_e32 v71, v28, v79
	global_load_dwordx4 v[76:79], v[82:83], off offset:1024
	;; [unrolled: 6-line block ×3, first 2 shown]
	s_waitcnt vmcnt(0) lgkmcnt(8)
	v_fmac_f32_e32 v73, v33, v76
	v_fmac_f32_e32 v74, v34, v77
	;; [unrolled: 1-line block ×4, first 2 shown]
	global_load_dwordx4 v[76:79], v[80:81], off
	v_add_co_u32 v80, s1, 0x5000, v69
	v_add_co_ci_u32_e64 v81, null, 0, v70, s1
	v_add_co_u32 v69, s1, 0x5800, v69
	v_add_co_ci_u32_e64 v70, null, 0, v70, s1
	s_waitcnt vmcnt(0) lgkmcnt(7)
	v_fmac_f32_e32 v73, v37, v76
	v_fmac_f32_e32 v74, v38, v77
	v_fmac_f32_e32 v75, v39, v78
	v_fmac_f32_e32 v71, v40, v79
	global_load_dwordx4 v[76:79], v[80:81], off offset:512
	s_waitcnt vmcnt(0) lgkmcnt(6)
	v_fmac_f32_e32 v73, v41, v76
	v_fmac_f32_e32 v74, v42, v77
	v_fmac_f32_e32 v75, v43, v78
	v_fmac_f32_e32 v71, v44, v79
	global_load_dwordx4 v[76:79], v[80:81], off offset:1024
	;; [unrolled: 6-line block ×3, first 2 shown]
	s_waitcnt vmcnt(0) lgkmcnt(4)
	v_fmac_f32_e32 v73, v49, v76
	v_fmac_f32_e32 v74, v50, v77
	;; [unrolled: 1-line block ×4, first 2 shown]
	global_load_dwordx4 v[76:79], v[69:70], off
	s_waitcnt vmcnt(0) lgkmcnt(3)
	v_fmac_f32_e32 v73, v53, v76
	v_fmac_f32_e32 v74, v54, v77
	v_fmac_f32_e32 v75, v55, v78
	v_fmac_f32_e32 v71, v56, v79
	global_load_dwordx4 v[76:79], v[69:70], off offset:512
	s_waitcnt vmcnt(0) lgkmcnt(2)
	v_fmac_f32_e32 v73, v57, v76
	v_fmac_f32_e32 v74, v58, v77
	v_fmac_f32_e32 v75, v59, v78
	v_fmac_f32_e32 v71, v60, v79
	global_load_dwordx4 v[76:79], v[69:70], off offset:1024
	;; [unrolled: 6-line block ×3, first 2 shown]
	s_waitcnt vmcnt(0) lgkmcnt(0)
	v_fmac_f32_e32 v73, v65, v76
	v_fmac_f32_e32 v74, v66, v77
	v_fmac_f32_e32 v75, v67, v78
	v_fmac_f32_e32 v71, v68, v79
	v_mov_b32_e32 v76, v84
	v_add_f32_e32 v69, v73, v74
	v_add_f32_e32 v69, v75, v69
	s_clause 0x1
	buffer_load_dword v75, off, s[40:43], 0 offset:372
	buffer_load_dword v70, off, s[40:43], 0 offset:552
	v_add_f32_e32 v69, v71, v69
	s_waitcnt vmcnt(0)
	v_add_nc_u32_e32 v70, v70, v72
	v_cmp_gt_i32_e64 s1, s28, v70
	buffer_load_dword v70, off, s[40:43], 0 offset:376 ; 4-byte Folded Reload
	s_waitcnt vmcnt(0)
	v_add_nc_u32_e32 v70, v70, v72
	v_cvt_f32_i32_e32 v70, v70
	v_mul_f32_e32 v70, s31, v70
	v_cndmask_b32_e32 v70, 0, v70, vcc_lo
	v_fmac_f32_e32 v70, s3, v69
	v_max_f32_e32 v69, v76, v76
	v_max_f32_e32 v69, v69, v70
	v_cndmask_b32_e64 v76, v76, v69, s1
	v_cndmask_b32_e64 v69, 0, v70, s1
	ds_write_b32 v127, v69
	s_branch .LBB43_10
.LBB43_15:
	s_or_b32 exec_lo, exec_lo, s15
	s_clause 0x3
	buffer_load_dword v71, off, s[40:43], 0 offset:568
	buffer_load_dword v84, off, s[40:43], 0 offset:572
	;; [unrolled: 1-line block ×4, first 2 shown]
.LBB43_16:
	s_or_b32 exec_lo, exec_lo, s33
	s_waitcnt lgkmcnt(16)
	v_mbcnt_lo_u32_b32 v1, -1, 0
	v_max_f32_e32 v4, v76, v76
	v_xor_b32_e32 v0, 16, v1
	v_xor_b32_e32 v3, 8, v1
	v_cmp_gt_i32_e32 vcc_lo, 32, v0
	v_cndmask_b32_e32 v0, v1, v0, vcc_lo
	v_cmp_gt_i32_e32 vcc_lo, 32, v3
	v_lshlrev_b32_e32 v0, 2, v0
	v_cndmask_b32_e32 v3, v1, v3, vcc_lo
	ds_bpermute_b32 v2, v0, v76
	s_waitcnt lgkmcnt(0)
	v_max_f32_e32 v5, v2, v2
	v_lshlrev_b32_e32 v2, 2, v3
	v_max_f32_e32 v3, v4, v5
	v_xor_b32_e32 v5, 4, v1
	ds_bpermute_b32 v4, v2, v3
	v_cmp_gt_i32_e32 vcc_lo, 32, v5
	v_cndmask_b32_e32 v5, v1, v5, vcc_lo
	v_lshlrev_b32_e32 v55, 2, v5
	v_xor_b32_e32 v5, 2, v1
	v_cmp_gt_i32_e32 vcc_lo, 32, v5
	s_waitcnt lgkmcnt(0)
	v_max_f32_e32 v4, v4, v4
	v_cndmask_b32_e32 v5, v1, v5, vcc_lo
	v_max_f32_e32 v3, v3, v4
	v_lshlrev_b32_e32 v65, 2, v5
	v_xor_b32_e32 v5, 1, v1
	ds_bpermute_b32 v4, v55, v3
	v_cmp_gt_i32_e32 vcc_lo, 32, v5
	v_cndmask_b32_e32 v5, v1, v5, vcc_lo
	v_lshlrev_b32_e32 v70, 2, v5
	s_waitcnt lgkmcnt(0)
	v_max_f32_e32 v4, v4, v4
	v_max_f32_e32 v3, v3, v4
	ds_bpermute_b32 v4, v65, v3
	s_waitcnt lgkmcnt(0)
	v_max_f32_e32 v4, v4, v4
	v_max_f32_e32 v1, v3, v4
	buffer_load_dword v3, off, s[40:43], 0 offset:552 ; 4-byte Folded Reload
	ds_bpermute_b32 v4, v70, v1
	s_waitcnt vmcnt(0)
	v_cmp_eq_u32_e32 vcc_lo, 0, v3
	v_lshlrev_b32_e32 v3, 2, v84
	s_and_saveexec_b32 s1, vcc_lo
	s_cbranch_execz .LBB43_18
; %bb.17:
	s_waitcnt lgkmcnt(0)
	v_max_f32_e32 v4, v4, v4
	v_max_f32_e32 v1, v1, v1
	;; [unrolled: 1-line block ×3, first 2 shown]
	ds_write_b32 v3, v1 offset:768
.LBB43_18:
	s_or_b32 exec_lo, exec_lo, s1
	buffer_load_dword v1, off, s[40:43], 0 offset:552 ; 4-byte Folded Reload
	s_waitcnt vmcnt(0) lgkmcnt(0)
	s_waitcnt_vscnt null, 0x0
	s_barrier
	buffer_gl0_inv
	v_cmp_gt_u32_e64 s1, 4, v1
	v_mov_b32_e32 v1, 0xff7fffff
	s_and_saveexec_b32 s2, s1
; %bb.19:
	ds_read_b32 v1, v74 offset:768
; %bb.20:
	s_or_b32 exec_lo, exec_lo, s2
	s_waitcnt lgkmcnt(0)
	ds_bpermute_b32 v4, v65, v1
	v_max_f32_e32 v1, v1, v1
	s_lshl_b32 s2, s16, 5
	s_min_i32 s4, s2, s28
	v_cmp_gt_i32_e64 s2, s4, v71
	s_waitcnt lgkmcnt(0)
	v_max_f32_e32 v4, v4, v4
	v_max_f32_e32 v1, v1, v4
	ds_bpermute_b32 v4, v70, v1
	s_waitcnt lgkmcnt(0)
	v_max_f32_e32 v4, v4, v4
	v_max_f32_e32 v1, v1, v4
	v_mov_b32_e32 v4, 0
	ds_bpermute_b32 v5, v4, v1
	v_lshl_add_u32 v1, v71, 2, 0x320
	s_and_saveexec_b32 s5, s2
	s_cbranch_execz .LBB43_24
; %bb.21:
	v_lshl_add_u32 v6, v71, 2, 0x320
	v_mov_b32_e32 v4, 0
	v_mov_b32_e32 v7, v71
	s_mov_b32 s15, 0
	.p2align	6
.LBB43_22:                              ; =>This Inner Loop Header: Depth=1
	ds_read_b32 v8, v6
	v_add_nc_u32_e32 v7, 0x80, v7
	v_cmp_le_i32_e64 s3, s4, v7
	s_or_b32 s15, s3, s15
	s_waitcnt lgkmcnt(0)
	v_sub_f32_e32 v8, v8, v5
	v_mul_f32_e32 v8, 0x3fb8aa3b, v8
	v_exp_f32_e32 v8, v8
	ds_write_b32 v6, v8
	v_add_f32_e32 v4, v4, v8
	v_add_nc_u32_e32 v6, 0x200, v6
	s_andn2_b32 exec_lo, exec_lo, s15
	s_cbranch_execnz .LBB43_22
; %bb.23:
	s_or_b32 exec_lo, exec_lo, s15
.LBB43_24:
	s_or_b32 exec_lo, exec_lo, s5
	ds_bpermute_b32 v0, v0, v4
	s_waitcnt lgkmcnt(0)
	v_add_f32_e32 v0, v4, v0
	ds_bpermute_b32 v2, v2, v0
	s_waitcnt lgkmcnt(0)
	v_add_f32_e32 v0, v0, v2
	;; [unrolled: 3-line block ×5, first 2 shown]
	s_and_saveexec_b32 s3, vcc_lo
; %bb.25:
	ds_write_b32 v3, v0 offset:784
; %bb.26:
	s_or_b32 exec_lo, exec_lo, s3
	s_waitcnt lgkmcnt(0)
	s_barrier
	buffer_gl0_inv
	s_and_saveexec_b32 s3, s1
; %bb.27:
	ds_read_b32 v0, v74 offset:784
; %bb.28:
	s_or_b32 exec_lo, exec_lo, s3
	s_waitcnt lgkmcnt(0)
	ds_bpermute_b32 v2, v65, v0
	s_waitcnt lgkmcnt(0)
	v_add_f32_e32 v0, v0, v2
	ds_bpermute_b32 v2, v70, v0
	s_waitcnt lgkmcnt(0)
	v_add_f32_e32 v0, v0, v2
	v_mov_b32_e32 v2, 0
	ds_bpermute_b32 v0, v2, v0
	s_and_saveexec_b32 s1, s2
	s_cbranch_execz .LBB43_31
; %bb.29:
	s_waitcnt lgkmcnt(0)
	v_add_f32_e32 v0, 0x358637bd, v0
	s_mov_b32 s2, 0
	v_div_scale_f32 v2, null, v0, v0, 1.0
	v_div_scale_f32 v5, vcc_lo, 1.0, v0, 1.0
	v_rcp_f32_e32 v3, v2
	v_fma_f32 v4, -v2, v3, 1.0
	v_fmac_f32_e32 v3, v4, v3
	v_mul_f32_e32 v4, v5, v3
	v_fma_f32 v6, -v2, v4, v5
	v_fmac_f32_e32 v4, v6, v3
	v_fma_f32 v2, -v2, v4, v5
	v_div_fmas_f32 v2, v2, v3, v4
	v_div_fixup_f32 v0, v2, v0, 1.0
	v_mov_b32_e32 v2, v71
.LBB43_30:                              ; =>This Inner Loop Header: Depth=1
	ds_read_b32 v3, v1
	v_add_nc_u32_e32 v2, 0x80, v2
	v_cmp_le_i32_e32 vcc_lo, s4, v2
	s_or_b32 s2, vcc_lo, s2
	s_waitcnt lgkmcnt(0)
	v_mul_f32_e32 v3, v0, v3
	ds_write_b32 v1, v3
	v_add_nc_u32_e32 v1, 0x200, v1
	s_andn2_b32 exec_lo, exec_lo, s2
	s_cbranch_execnz .LBB43_30
.LBB43_31:
	s_or_b32 exec_lo, exec_lo, s1
	v_mov_b32_e32 v21, 0
	v_and_b32_e32 v72, 7, v71
	v_mov_b32_e32 v29, 0
	v_mov_b32_e32 v20, 0
	;; [unrolled: 1-line block ×47, first 2 shown]
	s_waitcnt lgkmcnt(0)
	s_barrier
	buffer_gl0_inv
	s_and_saveexec_b32 s1, s0
	s_cbranch_execz .LBB43_133
; %bb.32:
	v_mov_b32_e32 v4, 0
	buffer_store_dword v55, off, s[40:43], 0 offset:584 ; 4-byte Folded Spill
	buffer_store_dword v65, off, s[40:43], 0 offset:580 ; 4-byte Folded Spill
	;; [unrolled: 1-line block ×3, first 2 shown]
	s_ashr_i32 s15, s14, 31
	s_sub_i32 s2, s30, s17
	s_lshl_b64 s[4:5], s[14:15], 2
	buffer_store_dword v4, off, s[40:43], 0 offset:308 ; 4-byte Folded Spill
	v_mov_b32_e32 v4, 0
	s_add_u32 s3, s26, s4
	s_addc_u32 s4, s27, s5
	s_abs_i32 s5, s18
	v_lshlrev_b32_e32 v0, 2, v71
	buffer_store_dword v4, off, s[40:43], 0 offset:324 ; 4-byte Folded Spill
	v_mov_b32_e32 v4, 0
	v_cvt_f32_u32_e32 v1, s5
	v_mov_b32_e32 v2, 0
	s_sub_i32 s0, 0, s5
	s_lshl_b64 s[24:25], s[24:25], 2
	buffer_store_dword v4, off, s[40:43], 0 offset:340 ; 4-byte Folded Spill
	v_mov_b32_e32 v4, 0
	v_rcp_iflag_f32_e32 v1, v1
	buffer_store_dword v2, off, s[40:43], 0 offset:500 ; 4-byte Folded Spill
	v_and_b32_e32 v2, 0x7c, v73
	s_add_i32 s14, s16, -1
	buffer_store_dword v4, off, s[40:43], 0 offset:356 ; 4-byte Folded Spill
	v_mov_b32_e32 v4, 0
	v_and_b32_e32 v5, 0x7c, v0
	v_lshlrev_b32_e32 v3, 4, v72
	v_mov_b32_e32 v80, v84
	v_mov_b32_e32 v10, 0
	buffer_store_dword v4, off, s[40:43], 0 offset:372 ; 4-byte Folded Spill
	v_mov_b32_e32 v4, 0
	v_mul_f32_e32 v1, 0x4f7ffffe, v1
	v_lshl_or_b32 v3, v84, 7, v3
	v_mov_b32_e32 v9, 0
	v_mov_b32_e32 v17, 0
	buffer_store_dword v4, off, s[40:43], 0 offset:376 ; 4-byte Folded Spill
	v_mov_b32_e32 v4, 0
	v_cvt_u32_f32_e32 v1, v1
	v_add_nc_u32_e32 v3, 0x320, v3
	v_mov_b32_e32 v18, 0
	buffer_store_dword v72, off, s[40:43], 0 offset:588 ; 4-byte Folded Spill
	buffer_store_dword v4, off, s[40:43], 0 offset:380 ; 4-byte Folded Spill
	v_mov_b32_e32 v4, 0
	buffer_store_dword v3, off, s[40:43], 0 ; 4-byte Folded Spill
	v_lshlrev_b32_e32 v3, 2, v5
	buffer_store_dword v4, off, s[40:43], 0 offset:384 ; 4-byte Folded Spill
	v_mov_b32_e32 v4, 0
	buffer_store_dword v3, off, s[40:43], 0 offset:560 ; 4-byte Folded Spill
	buffer_store_dword v4, off, s[40:43], 0 offset:388 ; 4-byte Folded Spill
	v_mov_b32_e32 v4, 0
	buffer_store_dword v4, off, s[40:43], 0 offset:392 ; 4-byte Folded Spill
	v_mov_b32_e32 v4, 0
	;; [unrolled: 2-line block ×7, first 2 shown]
	buffer_store_dword v4, off, s[40:43], 0 offset:416 ; 4-byte Folded Spill
	v_and_b32_e32 v4, 28, v0
	v_or_b32_e32 v0, 0xf80, v0
	buffer_store_dword v4, off, s[40:43], 0 offset:556 ; 4-byte Folded Spill
	v_mul_lo_u32 v4, s0, v1
	s_add_u32 s0, s22, s24
	v_lshlrev_b32_e32 v0, 2, v0
	v_add_co_u32 v125, s0, s0, v2
	buffer_load_dword v2, off, s[40:43], 0 offset:532 ; 4-byte Folded Reload
	s_addc_u32 s15, s23, s25
	buffer_store_dword v0, off, s[40:43], 0 offset:564 ; 4-byte Folded Spill
	v_mul_hi_u32 v4, v1, v4
	v_add_co_ci_u32_e64 v126, null, s15, 0, s0
	s_mov_b32 s15, s13
	s_mov_b32 s13, 0
	v_add_nc_u32_e32 v0, v1, v4
	v_mov_b32_e32 v4, 0
	buffer_store_dword v0, off, s[40:43], 0 offset:528 ; 4-byte Folded Spill
	v_mov_b32_e32 v0, 0
	buffer_store_dword v0, off, s[40:43], 0 offset:420 ; 4-byte Folded Spill
	;; [unrolled: 2-line block ×27, first 2 shown]
	s_branch .LBB43_35
.LBB43_33:                              ;   in Loop: Header=BB43_35 Depth=1
	s_or_b32 exec_lo, exec_lo, s0
	s_waitcnt vmcnt(2) lgkmcnt(0)
	v_mul_f32_e32 v69, v1, v69
	s_waitcnt vmcnt(1)
	v_mul_f32_e32 v0, v1, v73
	v_mul_f32_e32 v21, v1, v21
	;; [unrolled: 1-line block ×4, first 2 shown]
	v_fmac_f32_e32 v69, v2, v70
	v_mul_f32_e32 v33, v1, v33
	v_fmac_f32_e32 v21, v2, v22
	v_fmac_f32_e32 v25, v2, v26
	;; [unrolled: 1-line block ×9, first 2 shown]
	s_clause 0x3
	buffer_load_dword v70, off, s[40:43], 0 offset:292
	buffer_load_dword v71, off, s[40:43], 0 offset:296
	;; [unrolled: 1-line block ×4, first 2 shown]
	v_fmac_f32_e32 v21, v4, v24
	v_fmac_f32_e32 v25, v4, v28
	;; [unrolled: 1-line block ×4, first 2 shown]
	v_mul_f32_e32 v37, v1, v37
	v_mul_f32_e32 v41, v1, v41
	v_fmac_f32_e32 v0, v2, v74
	v_mul_f32_e32 v65, v1, v65
	v_fmac_f32_e32 v33, v4, v36
	v_fmac_f32_e32 v37, v2, v38
	;; [unrolled: 1-line block ×5, first 2 shown]
	v_mul_f32_e32 v61, v1, v61
	v_fmac_f32_e32 v37, v3, v39
	v_fmac_f32_e32 v41, v3, v43
	;; [unrolled: 1-line block ×7, first 2 shown]
	v_mul_f32_e32 v57, v1, v57
	v_fmac_f32_e32 v65, v4, v68
	v_fmac_f32_e32 v61, v3, v63
	v_mul_f32_e32 v53, v1, v53
	v_mul_f32_e32 v49, v1, v49
	v_fmac_f32_e32 v57, v2, v58
	v_mul_f32_e32 v45, v1, v45
	v_fmac_f32_e32 v61, v4, v64
	v_fmac_f32_e32 v53, v2, v54
	;; [unrolled: 1-line block ×5, first 2 shown]
	v_mul_f32_e32 v13, v1, v13
	v_fmac_f32_e32 v53, v3, v55
	v_fmac_f32_e32 v49, v3, v51
	;; [unrolled: 1-line block ×7, first 2 shown]
	v_mul_f32_e32 v9, v1, v9
	v_fmac_f32_e32 v45, v4, v48
	v_fmac_f32_e32 v13, v3, v15
	v_mul_f32_e32 v5, v1, v5
	v_mul_f32_e32 v14, v1, v97
	v_fmac_f32_e32 v9, v2, v10
	v_mul_f32_e32 v10, v1, v109
	v_fmac_f32_e32 v13, v4, v16
	v_fmac_f32_e32 v5, v2, v6
	v_mul_f32_e32 v6, v1, v121
	v_fmac_f32_e32 v9, v3, v11
	v_fmac_f32_e32 v10, v2, v110
	v_mul_f32_e32 v11, v1, v105
	v_fmac_f32_e32 v5, v3, v7
	v_fmac_f32_e32 v6, v2, v122
	v_fmac_f32_e32 v9, v4, v12
	v_mul_f32_e32 v7, v1, v117
	v_fmac_f32_e32 v10, v3, v111
	v_fmac_f32_e32 v5, v4, v8
	;; [unrolled: 1-line block ×3, first 2 shown]
	v_mul_f32_e32 v8, v1, v113
	v_fmac_f32_e32 v7, v2, v118
	v_fmac_f32_e32 v10, v4, v112
	;; [unrolled: 1-line block ×6, first 2 shown]
	v_mul_f32_e32 v12, v1, v101
	v_fmac_f32_e32 v11, v3, v107
	v_fmac_f32_e32 v14, v2, v98
	;; [unrolled: 1-line block ×8, first 2 shown]
	v_mul_f32_e32 v15, v1, v93
	v_fmac_f32_e32 v12, v3, v103
	v_mul_f32_e32 v16, v1, v89
	v_fmac_f32_e32 v14, v4, v100
	;; [unrolled: 2-line block ×3, first 2 shown]
	v_fmac_f32_e32 v12, v4, v104
	v_fmac_f32_e32 v16, v2, v90
	v_mul_f32_e32 v23, v1, v81
	v_fmac_f32_e32 v22, v2, v86
	v_fmac_f32_e32 v15, v3, v95
	v_fmac_f32_e32 v16, v3, v91
	v_fmac_f32_e32 v23, v2, v82
	v_fmac_f32_e32 v22, v3, v87
	v_fmac_f32_e32 v15, v4, v96
	v_fmac_f32_e32 v16, v4, v92
	v_fmac_f32_e32 v23, v3, v83
	v_fmac_f32_e32 v22, v4, v88
	v_fmac_f32_e32 v23, v4, v84
	s_waitcnt vmcnt(3)
	v_mul_f32_e32 v24, v1, v70
	s_waitcnt vmcnt(2)
	v_fmac_f32_e32 v24, v2, v71
	s_waitcnt vmcnt(1)
	v_fmac_f32_e32 v24, v3, v72
	s_waitcnt vmcnt(0)
	v_fmac_f32_e32 v24, v4, v73
	s_clause 0x3
	buffer_load_dword v70, off, s[40:43], 0 offset:276
	buffer_load_dword v71, off, s[40:43], 0 offset:280
	buffer_load_dword v72, off, s[40:43], 0 offset:284
	buffer_load_dword v73, off, s[40:43], 0 offset:288
	s_waitcnt vmcnt(3)
	v_mul_f32_e32 v26, v1, v70
	s_waitcnt vmcnt(2)
	v_fmac_f32_e32 v26, v2, v71
	s_waitcnt vmcnt(1)
	v_fmac_f32_e32 v26, v3, v72
	s_waitcnt vmcnt(0)
	v_fmac_f32_e32 v26, v4, v73
	s_clause 0x3
	buffer_load_dword v70, off, s[40:43], 0 offset:260
	buffer_load_dword v71, off, s[40:43], 0 offset:264
	buffer_load_dword v72, off, s[40:43], 0 offset:268
	buffer_load_dword v73, off, s[40:43], 0 offset:272
	;; [unrolled: 13-line block ×14, first 2 shown]
	buffer_load_dword v44, off, s[40:43], 0 offset:308
	s_waitcnt vmcnt(4)
	v_mul_f32_e32 v43, v1, v70
	s_waitcnt vmcnt(0)
	v_add_f32_e32 v44, v44, v0
	buffer_load_dword v0, off, s[40:43], 0 offset:324 ; 4-byte Folded Reload
	v_fmac_f32_e32 v43, v2, v71
	buffer_store_dword v44, off, s[40:43], 0 offset:308 ; 4-byte Folded Spill
	v_fmac_f32_e32 v43, v3, v72
	v_fmac_f32_e32 v43, v4, v73
	s_waitcnt vmcnt(0)
	v_add_f32_e32 v0, v0, v69
	buffer_store_dword v0, off, s[40:43], 0 offset:324 ; 4-byte Folded Spill
	buffer_load_dword v0, off, s[40:43], 0 offset:340 ; 4-byte Folded Reload
	s_waitcnt vmcnt(0)
	v_add_f32_e32 v0, v0, v65
	buffer_store_dword v0, off, s[40:43], 0 offset:340 ; 4-byte Folded Spill
	buffer_load_dword v0, off, s[40:43], 0 offset:356 ; 4-byte Folded Reload
	;; [unrolled: 4-line block ×14, first 2 shown]
	s_waitcnt vmcnt(0)
	v_add_f32_e32 v0, v0, v9
	buffer_load_dword v9, off, s[40:43], 0 offset:532 ; 4-byte Folded Reload
	buffer_store_dword v0, off, s[40:43], 0 offset:416 ; 4-byte Folded Spill
	buffer_load_dword v0, off, s[40:43], 0 offset:420 ; 4-byte Folded Reload
	s_waitcnt vmcnt(1)
	v_add_f32_e32 v9, v9, v36
	s_waitcnt vmcnt(0)
	v_add_f32_e32 v0, v0, v5
	buffer_store_dword v0, off, s[40:43], 0 offset:420 ; 4-byte Folded Spill
	buffer_load_dword v0, off, s[40:43], 0 offset:424 ; 4-byte Folded Reload
	s_waitcnt vmcnt(0)
	v_add_f32_e32 v0, v0, v6
	buffer_store_dword v0, off, s[40:43], 0 offset:424 ; 4-byte Folded Spill
	buffer_load_dword v0, off, s[40:43], 0 offset:428 ; 4-byte Folded Reload
	;; [unrolled: 4-line block ×4, first 2 shown]
	s_waitcnt vmcnt(0)
	v_add_f32_e32 v0, v0, v10
	buffer_load_dword v10, off, s[40:43], 0 offset:548 ; 4-byte Folded Reload
	buffer_store_dword v0, off, s[40:43], 0 offset:436 ; 4-byte Folded Spill
	buffer_load_dword v0, off, s[40:43], 0 offset:440 ; 4-byte Folded Reload
	s_waitcnt vmcnt(1)
	v_add_f32_e32 v10, v10, v35
	s_waitcnt vmcnt(0)
	v_add_f32_e32 v0, v0, v11
	buffer_store_dword v0, off, s[40:43], 0 offset:440 ; 4-byte Folded Spill
	buffer_load_dword v0, off, s[40:43], 0 offset:444 ; 4-byte Folded Reload
	s_waitcnt vmcnt(0)
	v_add_f32_e32 v0, v0, v12
	buffer_store_dword v0, off, s[40:43], 0 offset:444 ; 4-byte Folded Spill
	buffer_load_dword v0, off, s[40:43], 0 offset:448 ; 4-byte Folded Reload
	;; [unrolled: 4-line block ×16, first 2 shown]
	s_waitcnt vmcnt(0)
	v_add_f32_e32 v0, v0, v39
	buffer_store_dword v0, off, s[40:43], 0 offset:508 ; 4-byte Folded Spill
	s_clause 0x7
	buffer_load_dword v5, off, s[40:43], 0 offset:52
	buffer_load_dword v6, off, s[40:43], 0 offset:56
	;; [unrolled: 1-line block ×8, first 2 shown]
	s_waitcnt vmcnt(7)
	v_mul_f32_e32 v0, v1, v5
	s_waitcnt vmcnt(3)
	v_mul_f32_e32 v5, v1, v24
	s_clause 0x7
	buffer_load_dword v21, off, s[40:43], 0 offset:20
	buffer_load_dword v22, off, s[40:43], 0 offset:24
	;; [unrolled: 1-line block ×8, first 2 shown]
	v_fmac_f32_e32 v0, v2, v6
	s_waitcnt vmcnt(10)
	v_fmac_f32_e32 v5, v2, v25
	v_fmac_f32_e32 v0, v3, v7
	s_waitcnt vmcnt(9)
	v_fmac_f32_e32 v5, v3, v26
	v_fmac_f32_e32 v0, v4, v8
	s_waitcnt vmcnt(8)
	v_fmac_f32_e32 v5, v4, v27
	s_waitcnt vmcnt(7)
	v_mul_f32_e32 v6, v1, v21
	s_waitcnt vmcnt(3)
	v_mul_f32_e32 v7, v1, v11
	v_mul_f32_e32 v1, v1, v17
	buffer_load_dword v17, off, s[40:43], 0 offset:536 ; 4-byte Folded Reload
	v_fmac_f32_e32 v6, v2, v22
	s_waitcnt vmcnt(3)
	v_fmac_f32_e32 v7, v2, v12
	v_fmac_f32_e32 v1, v2, v18
	s_clause 0x1
	buffer_load_dword v2, off, s[40:43], 0 offset:512
	buffer_load_dword v18, off, s[40:43], 0 offset:540
	v_fmac_f32_e32 v6, v3, v23
	s_waitcnt vmcnt(4)
	v_fmac_f32_e32 v7, v3, v13
	v_fmac_f32_e32 v1, v3, v19
	;; [unrolled: 1-line block ×3, first 2 shown]
	s_waitcnt vmcnt(3)
	v_fmac_f32_e32 v7, v4, v14
	v_fmac_f32_e32 v1, v4, v20
	buffer_load_dword v4, off, s[40:43], 0 offset:544 ; 4-byte Folded Reload
	s_waitcnt vmcnt(0)
	v_add_f32_e32 v4, v4, v0
	buffer_load_dword v0, off, s[40:43], 0 offset:516 ; 4-byte Folded Reload
	v_add_f32_e32 v17, v17, v40
	s_waitcnt vmcnt(0)
	v_add_f32_e32 v0, v0, v5
	buffer_store_dword v0, off, s[40:43], 0 offset:516 ; 4-byte Folded Spill
	buffer_load_dword v0, off, s[40:43], 0 offset:524 ; 4-byte Folded Reload
	s_waitcnt vmcnt(0)
	v_add_f32_e32 v0, v0, v6
	buffer_store_dword v0, off, s[40:43], 0 offset:524 ; 4-byte Folded Spill
	buffer_load_dword v0, off, s[40:43], 0 offset:520 ; 4-byte Folded Reload
	v_add_f32_e32 v18, v18, v42
	s_waitcnt vmcnt(0)
	v_add_f32_e32 v0, v0, v7
	buffer_store_dword v0, off, s[40:43], 0 offset:520 ; 4-byte Folded Spill
	buffer_load_dword v0, off, s[40:43], 0 offset:500 ; 4-byte Folded Reload
	v_add_f32_e32 v2, v2, v43
	buffer_store_dword v2, off, s[40:43], 0 offset:512 ; 4-byte Folded Spill
	s_waitcnt vmcnt(0)
	v_add_f32_e32 v0, v0, v1
	buffer_store_dword v0, off, s[40:43], 0 offset:500 ; 4-byte Folded Spill
.LBB43_34:                              ;   in Loop: Header=BB43_35 Depth=1
	s_or_b32 exec_lo, exec_lo, s17
	v_mov_b32_e32 v0, v80
	v_mov_b32_e32 v2, v79
	v_add_co_u32 v125, s0, v125, 16
	v_add_co_ci_u32_e64 v126, null, 0, v126, s0
	v_add_nc_u32_e32 v0, 4, v0
	v_add_nc_u32_e32 v2, 0x80, v2
	v_mov_b32_e32 v80, v0
	v_cmp_le_i32_e32 vcc_lo, s16, v0
	buffer_load_dword v0, off, s[40:43], 0  ; 4-byte Folded Reload
	s_or_b32 s13, vcc_lo, s13
	s_waitcnt vmcnt(0)
	v_add_nc_u32_e32 v0, 0x200, v0
	buffer_store_dword v0, off, s[40:43], 0 ; 4-byte Folded Spill
	s_andn2_b32 exec_lo, exec_lo, s13
	s_cbranch_execz .LBB43_132
.LBB43_35:                              ; =>This Inner Loop Header: Depth=1
	s_waitcnt vmcnt(0)
	v_mul_hi_u32 v0, v2, s21
	v_mov_b32_e32 v79, v2
	v_mul_lo_u32 v1, v0, s12
	v_sub_nc_u32_e32 v1, v2, v1
	v_add_nc_u32_e32 v2, 1, v0
	v_subrev_nc_u32_e32 v3, s12, v1
	v_cmp_le_u32_e32 vcc_lo, s12, v1
	v_cndmask_b32_e32 v1, v1, v3, vcc_lo
	buffer_load_dword v3, off, s[40:43], 0 offset:528 ; 4-byte Folded Reload
	v_cndmask_b32_e32 v0, v0, v2, vcc_lo
	v_cmp_le_u32_e32 vcc_lo, s12, v1
	v_add_nc_u32_e32 v2, 1, v0
	v_cndmask_b32_e32 v0, v0, v2, vcc_lo
	v_xor_b32_e32 v0, s19, v0
	v_subrev_nc_u32_e32 v0, s19, v0
	v_add_nc_u32_e32 v1, s29, v0
	v_cmp_lt_i32_e64 s0, s2, v0
	v_sub_nc_u32_e32 v2, 0, v1
	v_max_i32_e32 v2, v1, v2
	v_ashrrev_i32_e32 v1, 31, v1
	s_waitcnt vmcnt(0)
	v_mul_hi_u32 v3, v2, v3
	v_mul_lo_u32 v3, v3, s5
	v_sub_nc_u32_e32 v2, v2, v3
	v_subrev_nc_u32_e32 v3, s5, v2
	v_cmp_le_u32_e32 vcc_lo, s5, v2
	v_cndmask_b32_e32 v2, v2, v3, vcc_lo
	v_subrev_nc_u32_e32 v3, s5, v2
	v_cmp_le_u32_e32 vcc_lo, s5, v2
	v_cndmask_b32_e32 v2, v2, v3, vcc_lo
	v_xor_b32_e32 v2, v2, v1
	v_sub_nc_u32_e32 v1, v2, v1
	v_cmp_eq_u32_e32 vcc_lo, 0, v1
	s_or_b32 s0, vcc_lo, s0
	s_and_saveexec_b32 s17, s0
	s_cbranch_execz .LBB43_34
; %bb.36:                               ;   in Loop: Header=BB43_35 Depth=1
	buffer_store_dword v4, off, s[40:43], 0 offset:544 ; 4-byte Folded Spill
	buffer_store_dword v18, off, s[40:43], 0 offset:540 ; 4-byte Folded Spill
	;; [unrolled: 1-line block ×5, first 2 shown]
	global_load_dword v0, v[125:126], off
	s_waitcnt vmcnt(0)
	v_mad_i64_i32 v[0:1], null, v0, s15, 0
	v_lshlrev_b64 v[0:1], 2, v[0:1]
	v_add_co_u32 v9, vcc_lo, s3, v0
	buffer_load_dword v0, off, s[40:43], 0 offset:560 ; 4-byte Folded Reload
	v_add_co_ci_u32_e64 v10, null, s4, v1, vcc_lo
	s_waitcnt vmcnt(0)
	v_add_co_u32 v17, vcc_lo, v9, v0
	v_add_co_ci_u32_e64 v18, null, 0, v10, vcc_lo
	v_cmp_eq_u32_e32 vcc_lo, s14, v80
	global_load_dwordx4 v[0:3], v[17:18], off
	s_waitcnt vmcnt(0)
	buffer_store_dword v0, off, s[40:43], 0 offset:4 ; 4-byte Folded Spill
	buffer_store_dword v1, off, s[40:43], 0 offset:8 ; 4-byte Folded Spill
	;; [unrolled: 1-line block ×4, first 2 shown]
	buffer_load_dword v0, off, s[40:43], 0  ; 4-byte Folded Reload
	s_waitcnt vmcnt(0)
	ds_read_b128 v[1:4], v0
	buffer_load_dword v0, off, s[40:43], 0 offset:556 ; 4-byte Folded Reload
	s_waitcnt vmcnt(0)
	v_add_nc_u32_e32 v127, v0, v79
	v_add_nc_u32_e32 v78, 1, v127
	;; [unrolled: 1-line block ×4, first 2 shown]
	s_and_saveexec_b32 s18, vcc_lo
	s_cbranch_execz .LBB43_38
; %bb.37:                               ;   in Loop: Header=BB43_35 Depth=1
	s_clause 0x3
	buffer_load_dword v5, off, s[40:43], 0 offset:4
	buffer_load_dword v6, off, s[40:43], 0 offset:8
	buffer_load_dword v7, off, s[40:43], 0 offset:12
	buffer_load_dword v8, off, s[40:43], 0 offset:16
	v_cmp_gt_i32_e64 s0, s28, v127
	s_waitcnt vmcnt(3)
	v_cndmask_b32_e64 v5, 0, v5, s0
	v_cmp_gt_i32_e64 s0, s28, v78
	s_waitcnt vmcnt(2)
	v_cndmask_b32_e64 v6, 0, v6, s0
	v_cmp_gt_i32_e64 s0, s28, v77
	s_waitcnt vmcnt(1)
	v_cndmask_b32_e64 v7, 0, v7, s0
	v_cmp_gt_i32_e64 s0, s28, v0
	s_waitcnt vmcnt(0)
	v_cndmask_b32_e64 v8, 0, v8, s0
	buffer_store_dword v5, off, s[40:43], 0 offset:4 ; 4-byte Folded Spill
	buffer_store_dword v6, off, s[40:43], 0 offset:8 ; 4-byte Folded Spill
	buffer_store_dword v7, off, s[40:43], 0 offset:12 ; 4-byte Folded Spill
	buffer_store_dword v8, off, s[40:43], 0 offset:16 ; 4-byte Folded Spill
.LBB43_38:                              ;   in Loop: Header=BB43_35 Depth=1
	s_or_b32 exec_lo, exec_lo, s18
	global_load_dwordx4 v[5:8], v[17:18], off offset:512
	s_waitcnt vmcnt(0)
	buffer_store_dword v5, off, s[40:43], 0 offset:20 ; 4-byte Folded Spill
	buffer_store_dword v6, off, s[40:43], 0 offset:24 ; 4-byte Folded Spill
	buffer_store_dword v7, off, s[40:43], 0 offset:28 ; 4-byte Folded Spill
	buffer_store_dword v8, off, s[40:43], 0 offset:32 ; 4-byte Folded Spill
	s_and_saveexec_b32 s18, vcc_lo
	s_cbranch_execz .LBB43_40
; %bb.39:                               ;   in Loop: Header=BB43_35 Depth=1
	s_clause 0x3
	buffer_load_dword v5, off, s[40:43], 0 offset:20
	buffer_load_dword v6, off, s[40:43], 0 offset:24
	buffer_load_dword v7, off, s[40:43], 0 offset:28
	buffer_load_dword v8, off, s[40:43], 0 offset:32
	v_cmp_gt_i32_e64 s0, s28, v127
	s_waitcnt vmcnt(3)
	v_cndmask_b32_e64 v5, 0, v5, s0
	v_cmp_gt_i32_e64 s0, s28, v78
	s_waitcnt vmcnt(2)
	v_cndmask_b32_e64 v6, 0, v6, s0
	v_cmp_gt_i32_e64 s0, s28, v77
	s_waitcnt vmcnt(1)
	v_cndmask_b32_e64 v7, 0, v7, s0
	v_cmp_gt_i32_e64 s0, s28, v0
	s_waitcnt vmcnt(0)
	v_cndmask_b32_e64 v8, 0, v8, s0
	buffer_store_dword v5, off, s[40:43], 0 offset:20 ; 4-byte Folded Spill
	buffer_store_dword v6, off, s[40:43], 0 offset:24 ; 4-byte Folded Spill
	buffer_store_dword v7, off, s[40:43], 0 offset:28 ; 4-byte Folded Spill
	buffer_store_dword v8, off, s[40:43], 0 offset:32 ; 4-byte Folded Spill
.LBB43_40:                              ;   in Loop: Header=BB43_35 Depth=1
	s_or_b32 exec_lo, exec_lo, s18
	global_load_dwordx4 v[5:8], v[17:18], off offset:1024
	s_waitcnt vmcnt(0)
	buffer_store_dword v5, off, s[40:43], 0 offset:36 ; 4-byte Folded Spill
	buffer_store_dword v6, off, s[40:43], 0 offset:40 ; 4-byte Folded Spill
	buffer_store_dword v7, off, s[40:43], 0 offset:44 ; 4-byte Folded Spill
	buffer_store_dword v8, off, s[40:43], 0 offset:48 ; 4-byte Folded Spill
	s_and_saveexec_b32 s18, vcc_lo
	s_cbranch_execz .LBB43_42
; %bb.41:                               ;   in Loop: Header=BB43_35 Depth=1
	s_clause 0x3
	buffer_load_dword v5, off, s[40:43], 0 offset:36
	buffer_load_dword v6, off, s[40:43], 0 offset:40
	buffer_load_dword v7, off, s[40:43], 0 offset:44
	buffer_load_dword v8, off, s[40:43], 0 offset:48
	v_cmp_gt_i32_e64 s0, s28, v127
	s_waitcnt vmcnt(3)
	v_cndmask_b32_e64 v5, 0, v5, s0
	v_cmp_gt_i32_e64 s0, s28, v78
	s_waitcnt vmcnt(2)
	v_cndmask_b32_e64 v6, 0, v6, s0
	v_cmp_gt_i32_e64 s0, s28, v77
	s_waitcnt vmcnt(1)
	v_cndmask_b32_e64 v7, 0, v7, s0
	v_cmp_gt_i32_e64 s0, s28, v0
	s_waitcnt vmcnt(0)
	v_cndmask_b32_e64 v8, 0, v8, s0
	buffer_store_dword v5, off, s[40:43], 0 offset:36 ; 4-byte Folded Spill
	buffer_store_dword v6, off, s[40:43], 0 offset:40 ; 4-byte Folded Spill
	buffer_store_dword v7, off, s[40:43], 0 offset:44 ; 4-byte Folded Spill
	buffer_store_dword v8, off, s[40:43], 0 offset:48 ; 4-byte Folded Spill
.LBB43_42:                              ;   in Loop: Header=BB43_35 Depth=1
	s_or_b32 exec_lo, exec_lo, s18
	global_load_dwordx4 v[5:8], v[17:18], off offset:1536
	s_waitcnt vmcnt(0)
	buffer_store_dword v5, off, s[40:43], 0 offset:52 ; 4-byte Folded Spill
	buffer_store_dword v6, off, s[40:43], 0 offset:56 ; 4-byte Folded Spill
	buffer_store_dword v7, off, s[40:43], 0 offset:60 ; 4-byte Folded Spill
	buffer_store_dword v8, off, s[40:43], 0 offset:64 ; 4-byte Folded Spill
	s_and_saveexec_b32 s18, vcc_lo
	s_cbranch_execz .LBB43_44
; %bb.43:                               ;   in Loop: Header=BB43_35 Depth=1
	s_clause 0x3
	buffer_load_dword v5, off, s[40:43], 0 offset:52
	buffer_load_dword v6, off, s[40:43], 0 offset:56
	;; [unrolled: 1-line block ×4, first 2 shown]
	v_cmp_gt_i32_e64 s0, s28, v127
	s_waitcnt vmcnt(3)
	v_cndmask_b32_e64 v5, 0, v5, s0
	v_cmp_gt_i32_e64 s0, s28, v78
	s_waitcnt vmcnt(2)
	v_cndmask_b32_e64 v6, 0, v6, s0
	;; [unrolled: 3-line block ×4, first 2 shown]
	buffer_store_dword v5, off, s[40:43], 0 offset:52 ; 4-byte Folded Spill
	buffer_store_dword v6, off, s[40:43], 0 offset:56 ; 4-byte Folded Spill
	;; [unrolled: 1-line block ×4, first 2 shown]
.LBB43_44:                              ;   in Loop: Header=BB43_35 Depth=1
	s_or_b32 exec_lo, exec_lo, s18
	v_add_co_u32 v5, s0, 0x800, v17
	v_add_co_ci_u32_e64 v6, null, 0, v18, s0
	global_load_dwordx4 v[11:14], v[5:6], off
	s_waitcnt vmcnt(0)
	buffer_store_dword v11, off, s[40:43], 0 offset:68 ; 4-byte Folded Spill
	buffer_store_dword v12, off, s[40:43], 0 offset:72 ; 4-byte Folded Spill
	buffer_store_dword v13, off, s[40:43], 0 offset:76 ; 4-byte Folded Spill
	buffer_store_dword v14, off, s[40:43], 0 offset:80 ; 4-byte Folded Spill
	s_and_saveexec_b32 s18, vcc_lo
	s_cbranch_execz .LBB43_46
; %bb.45:                               ;   in Loop: Header=BB43_35 Depth=1
	s_clause 0x3
	buffer_load_dword v11, off, s[40:43], 0 offset:68
	buffer_load_dword v12, off, s[40:43], 0 offset:72
	buffer_load_dword v13, off, s[40:43], 0 offset:76
	buffer_load_dword v14, off, s[40:43], 0 offset:80
	v_cmp_gt_i32_e64 s0, s28, v127
	s_waitcnt vmcnt(3)
	v_cndmask_b32_e64 v11, 0, v11, s0
	v_cmp_gt_i32_e64 s0, s28, v78
	s_waitcnt vmcnt(2)
	v_cndmask_b32_e64 v12, 0, v12, s0
	v_cmp_gt_i32_e64 s0, s28, v77
	s_waitcnt vmcnt(1)
	v_cndmask_b32_e64 v13, 0, v13, s0
	v_cmp_gt_i32_e64 s0, s28, v0
	s_waitcnt vmcnt(0)
	v_cndmask_b32_e64 v14, 0, v14, s0
	buffer_store_dword v11, off, s[40:43], 0 offset:68 ; 4-byte Folded Spill
	buffer_store_dword v12, off, s[40:43], 0 offset:72 ; 4-byte Folded Spill
	buffer_store_dword v13, off, s[40:43], 0 offset:76 ; 4-byte Folded Spill
	buffer_store_dword v14, off, s[40:43], 0 offset:80 ; 4-byte Folded Spill
.LBB43_46:                              ;   in Loop: Header=BB43_35 Depth=1
	s_or_b32 exec_lo, exec_lo, s18
	global_load_dwordx4 v[11:14], v[5:6], off offset:512
	s_waitcnt vmcnt(0)
	buffer_store_dword v11, off, s[40:43], 0 offset:84 ; 4-byte Folded Spill
	buffer_store_dword v12, off, s[40:43], 0 offset:88 ; 4-byte Folded Spill
	buffer_store_dword v13, off, s[40:43], 0 offset:92 ; 4-byte Folded Spill
	buffer_store_dword v14, off, s[40:43], 0 offset:96 ; 4-byte Folded Spill
	s_and_saveexec_b32 s18, vcc_lo
	s_cbranch_execz .LBB43_48
; %bb.47:                               ;   in Loop: Header=BB43_35 Depth=1
	s_clause 0x3
	buffer_load_dword v11, off, s[40:43], 0 offset:84
	buffer_load_dword v12, off, s[40:43], 0 offset:88
	buffer_load_dword v13, off, s[40:43], 0 offset:92
	buffer_load_dword v14, off, s[40:43], 0 offset:96
	v_cmp_gt_i32_e64 s0, s28, v127
	s_waitcnt vmcnt(3)
	v_cndmask_b32_e64 v11, 0, v11, s0
	v_cmp_gt_i32_e64 s0, s28, v78
	s_waitcnt vmcnt(2)
	v_cndmask_b32_e64 v12, 0, v12, s0
	v_cmp_gt_i32_e64 s0, s28, v77
	s_waitcnt vmcnt(1)
	v_cndmask_b32_e64 v13, 0, v13, s0
	v_cmp_gt_i32_e64 s0, s28, v0
	s_waitcnt vmcnt(0)
	v_cndmask_b32_e64 v14, 0, v14, s0
	buffer_store_dword v11, off, s[40:43], 0 offset:84 ; 4-byte Folded Spill
	buffer_store_dword v12, off, s[40:43], 0 offset:88 ; 4-byte Folded Spill
	buffer_store_dword v13, off, s[40:43], 0 offset:92 ; 4-byte Folded Spill
	buffer_store_dword v14, off, s[40:43], 0 offset:96 ; 4-byte Folded Spill
.LBB43_48:                              ;   in Loop: Header=BB43_35 Depth=1
	s_or_b32 exec_lo, exec_lo, s18
	global_load_dwordx4 v[11:14], v[5:6], off offset:1024
	;; [unrolled: 32-line block ×3, first 2 shown]
	s_waitcnt vmcnt(0)
	buffer_store_dword v5, off, s[40:43], 0 offset:116 ; 4-byte Folded Spill
	buffer_store_dword v6, off, s[40:43], 0 offset:120 ; 4-byte Folded Spill
	;; [unrolled: 1-line block ×4, first 2 shown]
	s_and_saveexec_b32 s18, vcc_lo
	s_cbranch_execz .LBB43_52
; %bb.51:                               ;   in Loop: Header=BB43_35 Depth=1
	s_clause 0x3
	buffer_load_dword v5, off, s[40:43], 0 offset:116
	buffer_load_dword v6, off, s[40:43], 0 offset:120
	;; [unrolled: 1-line block ×4, first 2 shown]
	v_cmp_gt_i32_e64 s0, s28, v127
	s_waitcnt vmcnt(3)
	v_cndmask_b32_e64 v5, 0, v5, s0
	v_cmp_gt_i32_e64 s0, s28, v78
	s_waitcnt vmcnt(2)
	v_cndmask_b32_e64 v6, 0, v6, s0
	;; [unrolled: 3-line block ×4, first 2 shown]
	buffer_store_dword v5, off, s[40:43], 0 offset:116 ; 4-byte Folded Spill
	buffer_store_dword v6, off, s[40:43], 0 offset:120 ; 4-byte Folded Spill
	buffer_store_dword v7, off, s[40:43], 0 offset:124 ; 4-byte Folded Spill
	buffer_store_dword v8, off, s[40:43], 0 offset:128 ; 4-byte Folded Spill
.LBB43_52:                              ;   in Loop: Header=BB43_35 Depth=1
	s_or_b32 exec_lo, exec_lo, s18
	v_add_co_u32 v5, s0, 0x1000, v17
	v_add_co_ci_u32_e64 v6, null, 0, v18, s0
	global_load_dwordx4 v[11:14], v[5:6], off
	s_waitcnt vmcnt(0)
	buffer_store_dword v11, off, s[40:43], 0 offset:132 ; 4-byte Folded Spill
	buffer_store_dword v12, off, s[40:43], 0 offset:136 ; 4-byte Folded Spill
	buffer_store_dword v13, off, s[40:43], 0 offset:140 ; 4-byte Folded Spill
	buffer_store_dword v14, off, s[40:43], 0 offset:144 ; 4-byte Folded Spill
	s_and_saveexec_b32 s18, vcc_lo
	s_cbranch_execz .LBB43_54
; %bb.53:                               ;   in Loop: Header=BB43_35 Depth=1
	s_clause 0x3
	buffer_load_dword v11, off, s[40:43], 0 offset:132
	buffer_load_dword v12, off, s[40:43], 0 offset:136
	buffer_load_dword v13, off, s[40:43], 0 offset:140
	buffer_load_dword v14, off, s[40:43], 0 offset:144
	v_cmp_gt_i32_e64 s0, s28, v127
	s_waitcnt vmcnt(3)
	v_cndmask_b32_e64 v11, 0, v11, s0
	v_cmp_gt_i32_e64 s0, s28, v78
	s_waitcnt vmcnt(2)
	v_cndmask_b32_e64 v12, 0, v12, s0
	v_cmp_gt_i32_e64 s0, s28, v77
	s_waitcnt vmcnt(1)
	v_cndmask_b32_e64 v13, 0, v13, s0
	v_cmp_gt_i32_e64 s0, s28, v0
	s_waitcnt vmcnt(0)
	v_cndmask_b32_e64 v14, 0, v14, s0
	buffer_store_dword v11, off, s[40:43], 0 offset:132 ; 4-byte Folded Spill
	buffer_store_dword v12, off, s[40:43], 0 offset:136 ; 4-byte Folded Spill
	buffer_store_dword v13, off, s[40:43], 0 offset:140 ; 4-byte Folded Spill
	buffer_store_dword v14, off, s[40:43], 0 offset:144 ; 4-byte Folded Spill
.LBB43_54:                              ;   in Loop: Header=BB43_35 Depth=1
	s_or_b32 exec_lo, exec_lo, s18
	global_load_dwordx4 v[11:14], v[5:6], off offset:512
	s_waitcnt vmcnt(0)
	buffer_store_dword v11, off, s[40:43], 0 offset:148 ; 4-byte Folded Spill
	buffer_store_dword v12, off, s[40:43], 0 offset:152 ; 4-byte Folded Spill
	buffer_store_dword v13, off, s[40:43], 0 offset:156 ; 4-byte Folded Spill
	buffer_store_dword v14, off, s[40:43], 0 offset:160 ; 4-byte Folded Spill
	s_and_saveexec_b32 s18, vcc_lo
	s_cbranch_execz .LBB43_56
; %bb.55:                               ;   in Loop: Header=BB43_35 Depth=1
	s_clause 0x3
	buffer_load_dword v11, off, s[40:43], 0 offset:148
	buffer_load_dword v12, off, s[40:43], 0 offset:152
	buffer_load_dword v13, off, s[40:43], 0 offset:156
	buffer_load_dword v14, off, s[40:43], 0 offset:160
	v_cmp_gt_i32_e64 s0, s28, v127
	s_waitcnt vmcnt(3)
	v_cndmask_b32_e64 v11, 0, v11, s0
	v_cmp_gt_i32_e64 s0, s28, v78
	s_waitcnt vmcnt(2)
	v_cndmask_b32_e64 v12, 0, v12, s0
	v_cmp_gt_i32_e64 s0, s28, v77
	s_waitcnt vmcnt(1)
	v_cndmask_b32_e64 v13, 0, v13, s0
	v_cmp_gt_i32_e64 s0, s28, v0
	s_waitcnt vmcnt(0)
	v_cndmask_b32_e64 v14, 0, v14, s0
	buffer_store_dword v11, off, s[40:43], 0 offset:148 ; 4-byte Folded Spill
	buffer_store_dword v12, off, s[40:43], 0 offset:152 ; 4-byte Folded Spill
	buffer_store_dword v13, off, s[40:43], 0 offset:156 ; 4-byte Folded Spill
	buffer_store_dword v14, off, s[40:43], 0 offset:160 ; 4-byte Folded Spill
.LBB43_56:                              ;   in Loop: Header=BB43_35 Depth=1
	s_or_b32 exec_lo, exec_lo, s18
	global_load_dwordx4 v[11:14], v[5:6], off offset:1024
	;; [unrolled: 32-line block ×3, first 2 shown]
	s_waitcnt vmcnt(0)
	buffer_store_dword v5, off, s[40:43], 0 offset:180 ; 4-byte Folded Spill
	buffer_store_dword v6, off, s[40:43], 0 offset:184 ; 4-byte Folded Spill
	buffer_store_dword v7, off, s[40:43], 0 offset:188 ; 4-byte Folded Spill
	buffer_store_dword v8, off, s[40:43], 0 offset:192 ; 4-byte Folded Spill
	s_and_saveexec_b32 s18, vcc_lo
	s_cbranch_execz .LBB43_60
; %bb.59:                               ;   in Loop: Header=BB43_35 Depth=1
	s_clause 0x3
	buffer_load_dword v5, off, s[40:43], 0 offset:180
	buffer_load_dword v6, off, s[40:43], 0 offset:184
	;; [unrolled: 1-line block ×4, first 2 shown]
	v_cmp_gt_i32_e64 s0, s28, v127
	s_waitcnt vmcnt(3)
	v_cndmask_b32_e64 v5, 0, v5, s0
	v_cmp_gt_i32_e64 s0, s28, v78
	s_waitcnt vmcnt(2)
	v_cndmask_b32_e64 v6, 0, v6, s0
	v_cmp_gt_i32_e64 s0, s28, v77
	s_waitcnt vmcnt(1)
	v_cndmask_b32_e64 v7, 0, v7, s0
	v_cmp_gt_i32_e64 s0, s28, v0
	s_waitcnt vmcnt(0)
	v_cndmask_b32_e64 v8, 0, v8, s0
	buffer_store_dword v5, off, s[40:43], 0 offset:180 ; 4-byte Folded Spill
	buffer_store_dword v6, off, s[40:43], 0 offset:184 ; 4-byte Folded Spill
	;; [unrolled: 1-line block ×4, first 2 shown]
.LBB43_60:                              ;   in Loop: Header=BB43_35 Depth=1
	s_or_b32 exec_lo, exec_lo, s18
	v_add_co_u32 v5, s0, 0x1800, v17
	v_add_co_ci_u32_e64 v6, null, 0, v18, s0
	global_load_dwordx4 v[11:14], v[5:6], off
	s_waitcnt vmcnt(0)
	buffer_store_dword v11, off, s[40:43], 0 offset:196 ; 4-byte Folded Spill
	buffer_store_dword v12, off, s[40:43], 0 offset:200 ; 4-byte Folded Spill
	buffer_store_dword v13, off, s[40:43], 0 offset:204 ; 4-byte Folded Spill
	buffer_store_dword v14, off, s[40:43], 0 offset:208 ; 4-byte Folded Spill
	s_and_saveexec_b32 s18, vcc_lo
	s_cbranch_execz .LBB43_62
; %bb.61:                               ;   in Loop: Header=BB43_35 Depth=1
	s_clause 0x3
	buffer_load_dword v11, off, s[40:43], 0 offset:196
	buffer_load_dword v12, off, s[40:43], 0 offset:200
	buffer_load_dword v13, off, s[40:43], 0 offset:204
	buffer_load_dword v14, off, s[40:43], 0 offset:208
	v_cmp_gt_i32_e64 s0, s28, v127
	s_waitcnt vmcnt(3)
	v_cndmask_b32_e64 v11, 0, v11, s0
	v_cmp_gt_i32_e64 s0, s28, v78
	s_waitcnt vmcnt(2)
	v_cndmask_b32_e64 v12, 0, v12, s0
	v_cmp_gt_i32_e64 s0, s28, v77
	s_waitcnt vmcnt(1)
	v_cndmask_b32_e64 v13, 0, v13, s0
	v_cmp_gt_i32_e64 s0, s28, v0
	s_waitcnt vmcnt(0)
	v_cndmask_b32_e64 v14, 0, v14, s0
	buffer_store_dword v11, off, s[40:43], 0 offset:196 ; 4-byte Folded Spill
	buffer_store_dword v12, off, s[40:43], 0 offset:200 ; 4-byte Folded Spill
	buffer_store_dword v13, off, s[40:43], 0 offset:204 ; 4-byte Folded Spill
	buffer_store_dword v14, off, s[40:43], 0 offset:208 ; 4-byte Folded Spill
.LBB43_62:                              ;   in Loop: Header=BB43_35 Depth=1
	s_or_b32 exec_lo, exec_lo, s18
	global_load_dwordx4 v[11:14], v[5:6], off offset:512
	s_waitcnt vmcnt(0)
	buffer_store_dword v11, off, s[40:43], 0 offset:212 ; 4-byte Folded Spill
	buffer_store_dword v12, off, s[40:43], 0 offset:216 ; 4-byte Folded Spill
	buffer_store_dword v13, off, s[40:43], 0 offset:220 ; 4-byte Folded Spill
	buffer_store_dword v14, off, s[40:43], 0 offset:224 ; 4-byte Folded Spill
	s_and_saveexec_b32 s18, vcc_lo
	s_cbranch_execz .LBB43_64
; %bb.63:                               ;   in Loop: Header=BB43_35 Depth=1
	s_clause 0x3
	buffer_load_dword v11, off, s[40:43], 0 offset:212
	buffer_load_dword v12, off, s[40:43], 0 offset:216
	buffer_load_dword v13, off, s[40:43], 0 offset:220
	buffer_load_dword v14, off, s[40:43], 0 offset:224
	v_cmp_gt_i32_e64 s0, s28, v127
	s_waitcnt vmcnt(3)
	v_cndmask_b32_e64 v11, 0, v11, s0
	v_cmp_gt_i32_e64 s0, s28, v78
	s_waitcnt vmcnt(2)
	v_cndmask_b32_e64 v12, 0, v12, s0
	v_cmp_gt_i32_e64 s0, s28, v77
	s_waitcnt vmcnt(1)
	v_cndmask_b32_e64 v13, 0, v13, s0
	v_cmp_gt_i32_e64 s0, s28, v0
	s_waitcnt vmcnt(0)
	v_cndmask_b32_e64 v14, 0, v14, s0
	buffer_store_dword v11, off, s[40:43], 0 offset:212 ; 4-byte Folded Spill
	buffer_store_dword v12, off, s[40:43], 0 offset:216 ; 4-byte Folded Spill
	buffer_store_dword v13, off, s[40:43], 0 offset:220 ; 4-byte Folded Spill
	buffer_store_dword v14, off, s[40:43], 0 offset:224 ; 4-byte Folded Spill
.LBB43_64:                              ;   in Loop: Header=BB43_35 Depth=1
	s_or_b32 exec_lo, exec_lo, s18
	global_load_dwordx4 v[11:14], v[5:6], off offset:1024
	;; [unrolled: 32-line block ×3, first 2 shown]
	s_waitcnt vmcnt(0)
	buffer_store_dword v5, off, s[40:43], 0 offset:244 ; 4-byte Folded Spill
	buffer_store_dword v6, off, s[40:43], 0 offset:248 ; 4-byte Folded Spill
	;; [unrolled: 1-line block ×4, first 2 shown]
	s_and_saveexec_b32 s18, vcc_lo
	s_cbranch_execz .LBB43_68
; %bb.67:                               ;   in Loop: Header=BB43_35 Depth=1
	s_clause 0x3
	buffer_load_dword v5, off, s[40:43], 0 offset:244
	buffer_load_dword v6, off, s[40:43], 0 offset:248
	;; [unrolled: 1-line block ×4, first 2 shown]
	v_cmp_gt_i32_e64 s0, s28, v127
	s_waitcnt vmcnt(3)
	v_cndmask_b32_e64 v5, 0, v5, s0
	v_cmp_gt_i32_e64 s0, s28, v78
	s_waitcnt vmcnt(2)
	v_cndmask_b32_e64 v6, 0, v6, s0
	;; [unrolled: 3-line block ×4, first 2 shown]
	buffer_store_dword v5, off, s[40:43], 0 offset:244 ; 4-byte Folded Spill
	buffer_store_dword v6, off, s[40:43], 0 offset:248 ; 4-byte Folded Spill
	;; [unrolled: 1-line block ×4, first 2 shown]
.LBB43_68:                              ;   in Loop: Header=BB43_35 Depth=1
	s_or_b32 exec_lo, exec_lo, s18
	v_add_co_u32 v5, s0, 0x2000, v17
	v_add_co_ci_u32_e64 v6, null, 0, v18, s0
	global_load_dwordx4 v[11:14], v[5:6], off
	s_waitcnt vmcnt(0)
	buffer_store_dword v11, off, s[40:43], 0 offset:260 ; 4-byte Folded Spill
	buffer_store_dword v12, off, s[40:43], 0 offset:264 ; 4-byte Folded Spill
	buffer_store_dword v13, off, s[40:43], 0 offset:268 ; 4-byte Folded Spill
	buffer_store_dword v14, off, s[40:43], 0 offset:272 ; 4-byte Folded Spill
	s_and_saveexec_b32 s18, vcc_lo
	s_cbranch_execz .LBB43_70
; %bb.69:                               ;   in Loop: Header=BB43_35 Depth=1
	s_clause 0x3
	buffer_load_dword v11, off, s[40:43], 0 offset:260
	buffer_load_dword v12, off, s[40:43], 0 offset:264
	buffer_load_dword v13, off, s[40:43], 0 offset:268
	buffer_load_dword v14, off, s[40:43], 0 offset:272
	v_cmp_gt_i32_e64 s0, s28, v127
	s_waitcnt vmcnt(3)
	v_cndmask_b32_e64 v11, 0, v11, s0
	v_cmp_gt_i32_e64 s0, s28, v78
	s_waitcnt vmcnt(2)
	v_cndmask_b32_e64 v12, 0, v12, s0
	v_cmp_gt_i32_e64 s0, s28, v77
	s_waitcnt vmcnt(1)
	v_cndmask_b32_e64 v13, 0, v13, s0
	v_cmp_gt_i32_e64 s0, s28, v0
	s_waitcnt vmcnt(0)
	v_cndmask_b32_e64 v14, 0, v14, s0
	buffer_store_dword v11, off, s[40:43], 0 offset:260 ; 4-byte Folded Spill
	buffer_store_dword v12, off, s[40:43], 0 offset:264 ; 4-byte Folded Spill
	buffer_store_dword v13, off, s[40:43], 0 offset:268 ; 4-byte Folded Spill
	buffer_store_dword v14, off, s[40:43], 0 offset:272 ; 4-byte Folded Spill
.LBB43_70:                              ;   in Loop: Header=BB43_35 Depth=1
	s_or_b32 exec_lo, exec_lo, s18
	global_load_dwordx4 v[11:14], v[5:6], off offset:512
	s_waitcnt vmcnt(0)
	buffer_store_dword v11, off, s[40:43], 0 offset:276 ; 4-byte Folded Spill
	buffer_store_dword v12, off, s[40:43], 0 offset:280 ; 4-byte Folded Spill
	buffer_store_dword v13, off, s[40:43], 0 offset:284 ; 4-byte Folded Spill
	buffer_store_dword v14, off, s[40:43], 0 offset:288 ; 4-byte Folded Spill
	s_and_saveexec_b32 s18, vcc_lo
	s_cbranch_execz .LBB43_72
; %bb.71:                               ;   in Loop: Header=BB43_35 Depth=1
	s_clause 0x3
	buffer_load_dword v11, off, s[40:43], 0 offset:276
	buffer_load_dword v12, off, s[40:43], 0 offset:280
	buffer_load_dword v13, off, s[40:43], 0 offset:284
	buffer_load_dword v14, off, s[40:43], 0 offset:288
	v_cmp_gt_i32_e64 s0, s28, v127
	s_waitcnt vmcnt(3)
	v_cndmask_b32_e64 v11, 0, v11, s0
	v_cmp_gt_i32_e64 s0, s28, v78
	s_waitcnt vmcnt(2)
	v_cndmask_b32_e64 v12, 0, v12, s0
	v_cmp_gt_i32_e64 s0, s28, v77
	s_waitcnt vmcnt(1)
	v_cndmask_b32_e64 v13, 0, v13, s0
	v_cmp_gt_i32_e64 s0, s28, v0
	s_waitcnt vmcnt(0)
	v_cndmask_b32_e64 v14, 0, v14, s0
	buffer_store_dword v11, off, s[40:43], 0 offset:276 ; 4-byte Folded Spill
	buffer_store_dword v12, off, s[40:43], 0 offset:280 ; 4-byte Folded Spill
	buffer_store_dword v13, off, s[40:43], 0 offset:284 ; 4-byte Folded Spill
	buffer_store_dword v14, off, s[40:43], 0 offset:288 ; 4-byte Folded Spill
.LBB43_72:                              ;   in Loop: Header=BB43_35 Depth=1
	s_or_b32 exec_lo, exec_lo, s18
	global_load_dwordx4 v[11:14], v[5:6], off offset:1024
	;; [unrolled: 32-line block ×3, first 2 shown]
	s_and_saveexec_b32 s18, vcc_lo
	s_cbranch_execz .LBB43_76
; %bb.75:                               ;   in Loop: Header=BB43_35 Depth=1
	v_cmp_gt_i32_e64 s0, s28, v127
	s_waitcnt vmcnt(0)
	v_cndmask_b32_e64 v81, 0, v81, s0
	v_cmp_gt_i32_e64 s0, s28, v78
	v_cndmask_b32_e64 v82, 0, v82, s0
	v_cmp_gt_i32_e64 s0, s28, v77
	;; [unrolled: 2-line block ×3, first 2 shown]
	v_cndmask_b32_e64 v84, 0, v84, s0
.LBB43_76:                              ;   in Loop: Header=BB43_35 Depth=1
	s_or_b32 exec_lo, exec_lo, s18
	v_add_co_u32 v5, s0, 0x2800, v17
	v_add_co_ci_u32_e64 v6, null, 0, v18, s0
	global_load_dwordx4 v[85:88], v[5:6], off
	s_and_saveexec_b32 s18, vcc_lo
	s_cbranch_execnz .LBB43_111
; %bb.77:                               ;   in Loop: Header=BB43_35 Depth=1
	s_or_b32 exec_lo, exec_lo, s18
	global_load_dwordx4 v[89:92], v[5:6], off offset:512
	s_and_saveexec_b32 s18, vcc_lo
	s_cbranch_execnz .LBB43_112
.LBB43_78:                              ;   in Loop: Header=BB43_35 Depth=1
	s_or_b32 exec_lo, exec_lo, s18
	global_load_dwordx4 v[93:96], v[5:6], off offset:1024
	s_and_saveexec_b32 s18, vcc_lo
	s_cbranch_execnz .LBB43_113
.LBB43_79:                              ;   in Loop: Header=BB43_35 Depth=1
	s_or_b32 exec_lo, exec_lo, s18
	global_load_dwordx4 v[97:100], v[5:6], off offset:1536
	s_and_saveexec_b32 s18, vcc_lo
	s_cbranch_execz .LBB43_81
.LBB43_80:                              ;   in Loop: Header=BB43_35 Depth=1
	v_cmp_gt_i32_e64 s0, s28, v127
	s_waitcnt vmcnt(0)
	v_cndmask_b32_e64 v97, 0, v97, s0
	v_cmp_gt_i32_e64 s0, s28, v78
	v_cndmask_b32_e64 v98, 0, v98, s0
	v_cmp_gt_i32_e64 s0, s28, v77
	;; [unrolled: 2-line block ×3, first 2 shown]
	v_cndmask_b32_e64 v100, 0, v100, s0
.LBB43_81:                              ;   in Loop: Header=BB43_35 Depth=1
	s_or_b32 exec_lo, exec_lo, s18
	v_add_co_u32 v5, s0, 0x3000, v17
	v_add_co_ci_u32_e64 v6, null, 0, v18, s0
	global_load_dwordx4 v[101:104], v[5:6], off
	s_and_saveexec_b32 s18, vcc_lo
	s_cbranch_execnz .LBB43_114
; %bb.82:                               ;   in Loop: Header=BB43_35 Depth=1
	s_or_b32 exec_lo, exec_lo, s18
	global_load_dwordx4 v[105:108], v[5:6], off offset:512
	s_and_saveexec_b32 s18, vcc_lo
	s_cbranch_execnz .LBB43_115
.LBB43_83:                              ;   in Loop: Header=BB43_35 Depth=1
	s_or_b32 exec_lo, exec_lo, s18
	global_load_dwordx4 v[109:112], v[5:6], off offset:1024
	s_and_saveexec_b32 s18, vcc_lo
	s_cbranch_execnz .LBB43_116
.LBB43_84:                              ;   in Loop: Header=BB43_35 Depth=1
	s_or_b32 exec_lo, exec_lo, s18
	global_load_dwordx4 v[113:116], v[5:6], off offset:1536
	s_and_saveexec_b32 s18, vcc_lo
	s_cbranch_execz .LBB43_86
.LBB43_85:                              ;   in Loop: Header=BB43_35 Depth=1
	v_cmp_gt_i32_e64 s0, s28, v127
	s_waitcnt vmcnt(0)
	v_cndmask_b32_e64 v113, 0, v113, s0
	v_cmp_gt_i32_e64 s0, s28, v78
	v_cndmask_b32_e64 v114, 0, v114, s0
	v_cmp_gt_i32_e64 s0, s28, v77
	;; [unrolled: 2-line block ×3, first 2 shown]
	v_cndmask_b32_e64 v116, 0, v116, s0
.LBB43_86:                              ;   in Loop: Header=BB43_35 Depth=1
	s_or_b32 exec_lo, exec_lo, s18
	v_add_co_u32 v5, s0, 0x3800, v17
	v_add_co_ci_u32_e64 v6, null, 0, v18, s0
	global_load_dwordx4 v[117:120], v[5:6], off
	s_and_saveexec_b32 s18, vcc_lo
	s_cbranch_execnz .LBB43_117
; %bb.87:                               ;   in Loop: Header=BB43_35 Depth=1
	s_or_b32 exec_lo, exec_lo, s18
	global_load_dwordx4 v[121:124], v[5:6], off offset:512
	s_and_saveexec_b32 s18, vcc_lo
	s_cbranch_execnz .LBB43_118
.LBB43_88:                              ;   in Loop: Header=BB43_35 Depth=1
	s_or_b32 exec_lo, exec_lo, s18
	global_load_dwordx4 v[5:8], v[5:6], off offset:1024
	s_and_saveexec_b32 s18, vcc_lo
	s_cbranch_execz .LBB43_90
.LBB43_89:                              ;   in Loop: Header=BB43_35 Depth=1
	v_cmp_gt_i32_e64 s0, s28, v127
	s_waitcnt vmcnt(0)
	v_cndmask_b32_e64 v5, 0, v5, s0
	v_cmp_gt_i32_e64 s0, s28, v78
	v_cndmask_b32_e64 v6, 0, v6, s0
	v_cmp_gt_i32_e64 s0, s28, v77
	;; [unrolled: 2-line block ×3, first 2 shown]
	v_cndmask_b32_e64 v8, 0, v8, s0
.LBB43_90:                              ;   in Loop: Header=BB43_35 Depth=1
	s_or_b32 exec_lo, exec_lo, s18
	buffer_load_dword v11, off, s[40:43], 0 offset:564 ; 4-byte Folded Reload
	s_waitcnt vmcnt(0)
	v_add_co_u32 v9, s0, v9, v11
	v_add_co_ci_u32_e64 v10, null, 0, v10, s0
	global_load_dwordx4 v[9:12], v[9:10], off
	s_and_saveexec_b32 s18, vcc_lo
	s_cbranch_execz .LBB43_92
; %bb.91:                               ;   in Loop: Header=BB43_35 Depth=1
	v_cmp_gt_i32_e64 s0, s28, v127
	s_waitcnt vmcnt(0)
	v_cndmask_b32_e64 v9, 0, v9, s0
	v_cmp_gt_i32_e64 s0, s28, v78
	v_cndmask_b32_e64 v10, 0, v10, s0
	v_cmp_gt_i32_e64 s0, s28, v77
	;; [unrolled: 2-line block ×3, first 2 shown]
	v_cndmask_b32_e64 v12, 0, v12, s0
.LBB43_92:                              ;   in Loop: Header=BB43_35 Depth=1
	s_or_b32 exec_lo, exec_lo, s18
	v_add_co_u32 v19, s0, 0x4000, v17
	v_add_co_ci_u32_e64 v20, null, 0, v18, s0
	global_load_dwordx4 v[13:16], v[19:20], off
	s_and_saveexec_b32 s18, vcc_lo
	s_cbranch_execnz .LBB43_119
; %bb.93:                               ;   in Loop: Header=BB43_35 Depth=1
	s_or_b32 exec_lo, exec_lo, s18
	global_load_dwordx4 v[21:24], v[19:20], off offset:512
	s_and_saveexec_b32 s18, vcc_lo
	s_cbranch_execnz .LBB43_120
.LBB43_94:                              ;   in Loop: Header=BB43_35 Depth=1
	s_or_b32 exec_lo, exec_lo, s18
	global_load_dwordx4 v[25:28], v[19:20], off offset:1024
	s_and_saveexec_b32 s18, vcc_lo
	s_cbranch_execnz .LBB43_121
.LBB43_95:                              ;   in Loop: Header=BB43_35 Depth=1
	s_or_b32 exec_lo, exec_lo, s18
	global_load_dwordx4 v[29:32], v[19:20], off offset:1536
	s_and_saveexec_b32 s18, vcc_lo
	s_cbranch_execz .LBB43_97
.LBB43_96:                              ;   in Loop: Header=BB43_35 Depth=1
	v_cmp_gt_i32_e64 s0, s28, v127
	s_waitcnt vmcnt(0)
	v_cndmask_b32_e64 v29, 0, v29, s0
	v_cmp_gt_i32_e64 s0, s28, v78
	v_cndmask_b32_e64 v30, 0, v30, s0
	v_cmp_gt_i32_e64 s0, s28, v77
	;; [unrolled: 2-line block ×3, first 2 shown]
	v_cndmask_b32_e64 v32, 0, v32, s0
.LBB43_97:                              ;   in Loop: Header=BB43_35 Depth=1
	s_or_b32 exec_lo, exec_lo, s18
	v_add_co_u32 v19, s0, 0x4800, v17
	v_add_co_ci_u32_e64 v20, null, 0, v18, s0
	global_load_dwordx4 v[33:36], v[19:20], off
	s_and_saveexec_b32 s18, vcc_lo
	s_cbranch_execnz .LBB43_122
; %bb.98:                               ;   in Loop: Header=BB43_35 Depth=1
	s_or_b32 exec_lo, exec_lo, s18
	global_load_dwordx4 v[37:40], v[19:20], off offset:512
	s_and_saveexec_b32 s18, vcc_lo
	s_cbranch_execnz .LBB43_123
.LBB43_99:                              ;   in Loop: Header=BB43_35 Depth=1
	s_or_b32 exec_lo, exec_lo, s18
	global_load_dwordx4 v[41:44], v[19:20], off offset:1024
	s_and_saveexec_b32 s18, vcc_lo
	s_cbranch_execnz .LBB43_124
.LBB43_100:                             ;   in Loop: Header=BB43_35 Depth=1
	s_or_b32 exec_lo, exec_lo, s18
	global_load_dwordx4 v[45:48], v[19:20], off offset:1536
	s_and_saveexec_b32 s18, vcc_lo
	s_cbranch_execz .LBB43_102
.LBB43_101:                             ;   in Loop: Header=BB43_35 Depth=1
	v_cmp_gt_i32_e64 s0, s28, v127
	s_waitcnt vmcnt(0)
	v_cndmask_b32_e64 v45, 0, v45, s0
	v_cmp_gt_i32_e64 s0, s28, v78
	v_cndmask_b32_e64 v46, 0, v46, s0
	v_cmp_gt_i32_e64 s0, s28, v77
	;; [unrolled: 2-line block ×3, first 2 shown]
	v_cndmask_b32_e64 v48, 0, v48, s0
.LBB43_102:                             ;   in Loop: Header=BB43_35 Depth=1
	s_or_b32 exec_lo, exec_lo, s18
	v_add_co_u32 v19, s0, 0x5000, v17
	v_add_co_ci_u32_e64 v20, null, 0, v18, s0
	global_load_dwordx4 v[49:52], v[19:20], off
	s_and_saveexec_b32 s18, vcc_lo
	s_cbranch_execnz .LBB43_125
; %bb.103:                              ;   in Loop: Header=BB43_35 Depth=1
	s_or_b32 exec_lo, exec_lo, s18
	global_load_dwordx4 v[53:56], v[19:20], off offset:512
	s_and_saveexec_b32 s18, vcc_lo
	s_cbranch_execnz .LBB43_126
.LBB43_104:                             ;   in Loop: Header=BB43_35 Depth=1
	s_or_b32 exec_lo, exec_lo, s18
	global_load_dwordx4 v[57:60], v[19:20], off offset:1024
	s_and_saveexec_b32 s18, vcc_lo
	s_cbranch_execnz .LBB43_127
.LBB43_105:                             ;   in Loop: Header=BB43_35 Depth=1
	s_or_b32 exec_lo, exec_lo, s18
	global_load_dwordx4 v[61:64], v[19:20], off offset:1536
	s_and_saveexec_b32 s18, vcc_lo
	s_cbranch_execz .LBB43_107
.LBB43_106:                             ;   in Loop: Header=BB43_35 Depth=1
	v_cmp_gt_i32_e64 s0, s28, v127
	s_waitcnt vmcnt(0)
	v_cndmask_b32_e64 v61, 0, v61, s0
	v_cmp_gt_i32_e64 s0, s28, v78
	v_cndmask_b32_e64 v62, 0, v62, s0
	v_cmp_gt_i32_e64 s0, s28, v77
	;; [unrolled: 2-line block ×3, first 2 shown]
	v_cndmask_b32_e64 v64, 0, v64, s0
.LBB43_107:                             ;   in Loop: Header=BB43_35 Depth=1
	s_or_b32 exec_lo, exec_lo, s18
	v_add_co_u32 v17, s0, 0x5800, v17
	v_add_co_ci_u32_e64 v18, null, 0, v18, s0
	global_load_dwordx4 v[65:68], v[17:18], off
	s_and_saveexec_b32 s18, vcc_lo
	s_cbranch_execnz .LBB43_128
; %bb.108:                              ;   in Loop: Header=BB43_35 Depth=1
	s_or_b32 exec_lo, exec_lo, s18
	global_load_dwordx4 v[69:72], v[17:18], off offset:512
	s_and_saveexec_b32 s18, vcc_lo
	s_cbranch_execnz .LBB43_129
.LBB43_109:                             ;   in Loop: Header=BB43_35 Depth=1
	s_or_b32 exec_lo, exec_lo, s18
	global_load_dwordx4 v[73:76], v[17:18], off offset:1024
	s_and_saveexec_b32 s18, vcc_lo
	s_cbranch_execnz .LBB43_130
.LBB43_110:                             ;   in Loop: Header=BB43_35 Depth=1
	s_or_b32 exec_lo, exec_lo, s18
	global_load_dwordx4 v[17:20], v[17:18], off offset:1536
	s_and_saveexec_b32 s0, vcc_lo
	s_cbranch_execz .LBB43_33
	s_branch .LBB43_131
.LBB43_111:                             ;   in Loop: Header=BB43_35 Depth=1
	v_cmp_gt_i32_e64 s0, s28, v127
	s_waitcnt vmcnt(0)
	v_cndmask_b32_e64 v85, 0, v85, s0
	v_cmp_gt_i32_e64 s0, s28, v78
	v_cndmask_b32_e64 v86, 0, v86, s0
	v_cmp_gt_i32_e64 s0, s28, v77
	;; [unrolled: 2-line block ×3, first 2 shown]
	v_cndmask_b32_e64 v88, 0, v88, s0
	s_or_b32 exec_lo, exec_lo, s18
	global_load_dwordx4 v[89:92], v[5:6], off offset:512
	s_and_saveexec_b32 s18, vcc_lo
	s_cbranch_execz .LBB43_78
.LBB43_112:                             ;   in Loop: Header=BB43_35 Depth=1
	v_cmp_gt_i32_e64 s0, s28, v127
	s_waitcnt vmcnt(0)
	v_cndmask_b32_e64 v89, 0, v89, s0
	v_cmp_gt_i32_e64 s0, s28, v78
	v_cndmask_b32_e64 v90, 0, v90, s0
	v_cmp_gt_i32_e64 s0, s28, v77
	;; [unrolled: 2-line block ×3, first 2 shown]
	v_cndmask_b32_e64 v92, 0, v92, s0
	s_or_b32 exec_lo, exec_lo, s18
	global_load_dwordx4 v[93:96], v[5:6], off offset:1024
	s_and_saveexec_b32 s18, vcc_lo
	s_cbranch_execz .LBB43_79
.LBB43_113:                             ;   in Loop: Header=BB43_35 Depth=1
	v_cmp_gt_i32_e64 s0, s28, v127
	s_waitcnt vmcnt(0)
	v_cndmask_b32_e64 v93, 0, v93, s0
	v_cmp_gt_i32_e64 s0, s28, v78
	v_cndmask_b32_e64 v94, 0, v94, s0
	v_cmp_gt_i32_e64 s0, s28, v77
	;; [unrolled: 2-line block ×3, first 2 shown]
	v_cndmask_b32_e64 v96, 0, v96, s0
	s_or_b32 exec_lo, exec_lo, s18
	global_load_dwordx4 v[97:100], v[5:6], off offset:1536
	s_and_saveexec_b32 s18, vcc_lo
	s_cbranch_execnz .LBB43_80
	s_branch .LBB43_81
.LBB43_114:                             ;   in Loop: Header=BB43_35 Depth=1
	v_cmp_gt_i32_e64 s0, s28, v127
	s_waitcnt vmcnt(0)
	v_cndmask_b32_e64 v101, 0, v101, s0
	v_cmp_gt_i32_e64 s0, s28, v78
	v_cndmask_b32_e64 v102, 0, v102, s0
	v_cmp_gt_i32_e64 s0, s28, v77
	;; [unrolled: 2-line block ×3, first 2 shown]
	v_cndmask_b32_e64 v104, 0, v104, s0
	s_or_b32 exec_lo, exec_lo, s18
	global_load_dwordx4 v[105:108], v[5:6], off offset:512
	s_and_saveexec_b32 s18, vcc_lo
	s_cbranch_execz .LBB43_83
.LBB43_115:                             ;   in Loop: Header=BB43_35 Depth=1
	v_cmp_gt_i32_e64 s0, s28, v127
	s_waitcnt vmcnt(0)
	v_cndmask_b32_e64 v105, 0, v105, s0
	v_cmp_gt_i32_e64 s0, s28, v78
	v_cndmask_b32_e64 v106, 0, v106, s0
	v_cmp_gt_i32_e64 s0, s28, v77
	;; [unrolled: 2-line block ×3, first 2 shown]
	v_cndmask_b32_e64 v108, 0, v108, s0
	s_or_b32 exec_lo, exec_lo, s18
	global_load_dwordx4 v[109:112], v[5:6], off offset:1024
	s_and_saveexec_b32 s18, vcc_lo
	s_cbranch_execz .LBB43_84
.LBB43_116:                             ;   in Loop: Header=BB43_35 Depth=1
	v_cmp_gt_i32_e64 s0, s28, v127
	s_waitcnt vmcnt(0)
	v_cndmask_b32_e64 v109, 0, v109, s0
	v_cmp_gt_i32_e64 s0, s28, v78
	v_cndmask_b32_e64 v110, 0, v110, s0
	v_cmp_gt_i32_e64 s0, s28, v77
	;; [unrolled: 2-line block ×3, first 2 shown]
	v_cndmask_b32_e64 v112, 0, v112, s0
	s_or_b32 exec_lo, exec_lo, s18
	global_load_dwordx4 v[113:116], v[5:6], off offset:1536
	s_and_saveexec_b32 s18, vcc_lo
	s_cbranch_execnz .LBB43_85
	s_branch .LBB43_86
.LBB43_117:                             ;   in Loop: Header=BB43_35 Depth=1
	v_cmp_gt_i32_e64 s0, s28, v127
	s_waitcnt vmcnt(0)
	v_cndmask_b32_e64 v117, 0, v117, s0
	v_cmp_gt_i32_e64 s0, s28, v78
	v_cndmask_b32_e64 v118, 0, v118, s0
	v_cmp_gt_i32_e64 s0, s28, v77
	;; [unrolled: 2-line block ×3, first 2 shown]
	v_cndmask_b32_e64 v120, 0, v120, s0
	s_or_b32 exec_lo, exec_lo, s18
	global_load_dwordx4 v[121:124], v[5:6], off offset:512
	s_and_saveexec_b32 s18, vcc_lo
	s_cbranch_execz .LBB43_88
.LBB43_118:                             ;   in Loop: Header=BB43_35 Depth=1
	v_cmp_gt_i32_e64 s0, s28, v127
	s_waitcnt vmcnt(0)
	v_cndmask_b32_e64 v121, 0, v121, s0
	v_cmp_gt_i32_e64 s0, s28, v78
	v_cndmask_b32_e64 v122, 0, v122, s0
	v_cmp_gt_i32_e64 s0, s28, v77
	;; [unrolled: 2-line block ×3, first 2 shown]
	v_cndmask_b32_e64 v124, 0, v124, s0
	s_or_b32 exec_lo, exec_lo, s18
	global_load_dwordx4 v[5:8], v[5:6], off offset:1024
	s_and_saveexec_b32 s18, vcc_lo
	s_cbranch_execnz .LBB43_89
	s_branch .LBB43_90
.LBB43_119:                             ;   in Loop: Header=BB43_35 Depth=1
	v_cmp_gt_i32_e64 s0, s28, v127
	s_waitcnt vmcnt(0)
	v_cndmask_b32_e64 v13, 0, v13, s0
	v_cmp_gt_i32_e64 s0, s28, v78
	v_cndmask_b32_e64 v14, 0, v14, s0
	v_cmp_gt_i32_e64 s0, s28, v77
	;; [unrolled: 2-line block ×3, first 2 shown]
	v_cndmask_b32_e64 v16, 0, v16, s0
	s_or_b32 exec_lo, exec_lo, s18
	global_load_dwordx4 v[21:24], v[19:20], off offset:512
	s_and_saveexec_b32 s18, vcc_lo
	s_cbranch_execz .LBB43_94
.LBB43_120:                             ;   in Loop: Header=BB43_35 Depth=1
	v_cmp_gt_i32_e64 s0, s28, v127
	s_waitcnt vmcnt(0)
	v_cndmask_b32_e64 v21, 0, v21, s0
	v_cmp_gt_i32_e64 s0, s28, v78
	v_cndmask_b32_e64 v22, 0, v22, s0
	v_cmp_gt_i32_e64 s0, s28, v77
	;; [unrolled: 2-line block ×3, first 2 shown]
	v_cndmask_b32_e64 v24, 0, v24, s0
	s_or_b32 exec_lo, exec_lo, s18
	global_load_dwordx4 v[25:28], v[19:20], off offset:1024
	s_and_saveexec_b32 s18, vcc_lo
	s_cbranch_execz .LBB43_95
.LBB43_121:                             ;   in Loop: Header=BB43_35 Depth=1
	v_cmp_gt_i32_e64 s0, s28, v127
	s_waitcnt vmcnt(0)
	v_cndmask_b32_e64 v25, 0, v25, s0
	v_cmp_gt_i32_e64 s0, s28, v78
	v_cndmask_b32_e64 v26, 0, v26, s0
	v_cmp_gt_i32_e64 s0, s28, v77
	;; [unrolled: 2-line block ×3, first 2 shown]
	v_cndmask_b32_e64 v28, 0, v28, s0
	s_or_b32 exec_lo, exec_lo, s18
	global_load_dwordx4 v[29:32], v[19:20], off offset:1536
	s_and_saveexec_b32 s18, vcc_lo
	s_cbranch_execnz .LBB43_96
	s_branch .LBB43_97
.LBB43_122:                             ;   in Loop: Header=BB43_35 Depth=1
	v_cmp_gt_i32_e64 s0, s28, v127
	s_waitcnt vmcnt(0)
	v_cndmask_b32_e64 v33, 0, v33, s0
	v_cmp_gt_i32_e64 s0, s28, v78
	v_cndmask_b32_e64 v34, 0, v34, s0
	v_cmp_gt_i32_e64 s0, s28, v77
	;; [unrolled: 2-line block ×3, first 2 shown]
	v_cndmask_b32_e64 v36, 0, v36, s0
	s_or_b32 exec_lo, exec_lo, s18
	global_load_dwordx4 v[37:40], v[19:20], off offset:512
	s_and_saveexec_b32 s18, vcc_lo
	s_cbranch_execz .LBB43_99
.LBB43_123:                             ;   in Loop: Header=BB43_35 Depth=1
	v_cmp_gt_i32_e64 s0, s28, v127
	s_waitcnt vmcnt(0)
	v_cndmask_b32_e64 v37, 0, v37, s0
	v_cmp_gt_i32_e64 s0, s28, v78
	v_cndmask_b32_e64 v38, 0, v38, s0
	v_cmp_gt_i32_e64 s0, s28, v77
	;; [unrolled: 2-line block ×3, first 2 shown]
	v_cndmask_b32_e64 v40, 0, v40, s0
	s_or_b32 exec_lo, exec_lo, s18
	global_load_dwordx4 v[41:44], v[19:20], off offset:1024
	s_and_saveexec_b32 s18, vcc_lo
	s_cbranch_execz .LBB43_100
.LBB43_124:                             ;   in Loop: Header=BB43_35 Depth=1
	v_cmp_gt_i32_e64 s0, s28, v127
	s_waitcnt vmcnt(0)
	v_cndmask_b32_e64 v41, 0, v41, s0
	v_cmp_gt_i32_e64 s0, s28, v78
	v_cndmask_b32_e64 v42, 0, v42, s0
	v_cmp_gt_i32_e64 s0, s28, v77
	v_cndmask_b32_e64 v43, 0, v43, s0
	v_cmp_gt_i32_e64 s0, s28, v0
	v_cndmask_b32_e64 v44, 0, v44, s0
	s_or_b32 exec_lo, exec_lo, s18
	global_load_dwordx4 v[45:48], v[19:20], off offset:1536
	s_and_saveexec_b32 s18, vcc_lo
	s_cbranch_execnz .LBB43_101
	s_branch .LBB43_102
.LBB43_125:                             ;   in Loop: Header=BB43_35 Depth=1
	v_cmp_gt_i32_e64 s0, s28, v127
	s_waitcnt vmcnt(0)
	v_cndmask_b32_e64 v49, 0, v49, s0
	v_cmp_gt_i32_e64 s0, s28, v78
	v_cndmask_b32_e64 v50, 0, v50, s0
	v_cmp_gt_i32_e64 s0, s28, v77
	;; [unrolled: 2-line block ×3, first 2 shown]
	v_cndmask_b32_e64 v52, 0, v52, s0
	s_or_b32 exec_lo, exec_lo, s18
	global_load_dwordx4 v[53:56], v[19:20], off offset:512
	s_and_saveexec_b32 s18, vcc_lo
	s_cbranch_execz .LBB43_104
.LBB43_126:                             ;   in Loop: Header=BB43_35 Depth=1
	v_cmp_gt_i32_e64 s0, s28, v127
	s_waitcnt vmcnt(0)
	v_cndmask_b32_e64 v53, 0, v53, s0
	v_cmp_gt_i32_e64 s0, s28, v78
	v_cndmask_b32_e64 v54, 0, v54, s0
	v_cmp_gt_i32_e64 s0, s28, v77
	;; [unrolled: 2-line block ×3, first 2 shown]
	v_cndmask_b32_e64 v56, 0, v56, s0
	s_or_b32 exec_lo, exec_lo, s18
	global_load_dwordx4 v[57:60], v[19:20], off offset:1024
	s_and_saveexec_b32 s18, vcc_lo
	s_cbranch_execz .LBB43_105
.LBB43_127:                             ;   in Loop: Header=BB43_35 Depth=1
	v_cmp_gt_i32_e64 s0, s28, v127
	s_waitcnt vmcnt(0)
	v_cndmask_b32_e64 v57, 0, v57, s0
	v_cmp_gt_i32_e64 s0, s28, v78
	v_cndmask_b32_e64 v58, 0, v58, s0
	v_cmp_gt_i32_e64 s0, s28, v77
	;; [unrolled: 2-line block ×3, first 2 shown]
	v_cndmask_b32_e64 v60, 0, v60, s0
	s_or_b32 exec_lo, exec_lo, s18
	global_load_dwordx4 v[61:64], v[19:20], off offset:1536
	s_and_saveexec_b32 s18, vcc_lo
	s_cbranch_execnz .LBB43_106
	s_branch .LBB43_107
.LBB43_128:                             ;   in Loop: Header=BB43_35 Depth=1
	v_cmp_gt_i32_e64 s0, s28, v127
	s_waitcnt vmcnt(0)
	v_cndmask_b32_e64 v65, 0, v65, s0
	v_cmp_gt_i32_e64 s0, s28, v78
	v_cndmask_b32_e64 v66, 0, v66, s0
	v_cmp_gt_i32_e64 s0, s28, v77
	v_cndmask_b32_e64 v67, 0, v67, s0
	v_cmp_gt_i32_e64 s0, s28, v0
	v_cndmask_b32_e64 v68, 0, v68, s0
	s_or_b32 exec_lo, exec_lo, s18
	global_load_dwordx4 v[69:72], v[17:18], off offset:512
	s_and_saveexec_b32 s18, vcc_lo
	s_cbranch_execz .LBB43_109
.LBB43_129:                             ;   in Loop: Header=BB43_35 Depth=1
	v_cmp_gt_i32_e64 s0, s28, v127
	s_waitcnt vmcnt(0)
	v_cndmask_b32_e64 v69, 0, v69, s0
	v_cmp_gt_i32_e64 s0, s28, v78
	v_cndmask_b32_e64 v70, 0, v70, s0
	v_cmp_gt_i32_e64 s0, s28, v77
	;; [unrolled: 2-line block ×3, first 2 shown]
	v_cndmask_b32_e64 v72, 0, v72, s0
	s_or_b32 exec_lo, exec_lo, s18
	global_load_dwordx4 v[73:76], v[17:18], off offset:1024
	s_and_saveexec_b32 s18, vcc_lo
	s_cbranch_execz .LBB43_110
.LBB43_130:                             ;   in Loop: Header=BB43_35 Depth=1
	v_cmp_gt_i32_e64 s0, s28, v127
	s_waitcnt vmcnt(0)
	v_cndmask_b32_e64 v73, 0, v73, s0
	v_cmp_gt_i32_e64 s0, s28, v78
	v_cndmask_b32_e64 v74, 0, v74, s0
	v_cmp_gt_i32_e64 s0, s28, v77
	;; [unrolled: 2-line block ×3, first 2 shown]
	v_cndmask_b32_e64 v76, 0, v76, s0
	s_or_b32 exec_lo, exec_lo, s18
	global_load_dwordx4 v[17:20], v[17:18], off offset:1536
	s_and_saveexec_b32 s0, vcc_lo
	s_cbranch_execz .LBB43_33
.LBB43_131:                             ;   in Loop: Header=BB43_35 Depth=1
	v_cmp_gt_i32_e32 vcc_lo, s28, v127
	s_waitcnt vmcnt(0)
	v_cndmask_b32_e32 v17, 0, v17, vcc_lo
	v_cmp_gt_i32_e32 vcc_lo, s28, v78
	v_cndmask_b32_e32 v18, 0, v18, vcc_lo
	v_cmp_gt_i32_e32 vcc_lo, s28, v77
	v_cndmask_b32_e32 v19, 0, v19, vcc_lo
	v_cmp_gt_i32_e32 vcc_lo, s28, v0
	v_cndmask_b32_e32 v20, 0, v20, vcc_lo
	s_branch .LBB43_33
.LBB43_132:
	s_or_b32 exec_lo, exec_lo, s13
	s_clause 0x30
	buffer_load_dword v71, off, s[40:43], 0 offset:568
	buffer_load_dword v84, off, s[40:43], 0 offset:572
	;; [unrolled: 1-line block ×49, first 2 shown]
.LBB43_133:
	s_or_b32 exec_lo, exec_lo, s1
	s_waitcnt vmcnt(1)
	ds_bpermute_b32 v0, v55, v21
	s_waitcnt vmcnt(0)
	ds_bpermute_b32 v1, v55, v29
	ds_bpermute_b32 v5, v55, v18
	ds_bpermute_b32 v2, v55, v20
	ds_bpermute_b32 v3, v55, v4
	v_mov_b32_e32 v19, v4
	ds_bpermute_b32 v4, v55, v22
	ds_bpermute_b32 v6, v55, v17
	;; [unrolled: 1-line block ×5, first 2 shown]
	v_mov_b32_e32 v56, v18
	ds_bpermute_b32 v8, v55, v28
	v_mov_b32_e32 v26, v10
	ds_bpermute_b32 v10, v55, v10
	;; [unrolled: 2-line block ×3, first 2 shown]
	ds_bpermute_b32 v14, v55, v30
	ds_bpermute_b32 v13, v55, v31
	;; [unrolled: 1-line block ×3, first 2 shown]
	s_waitcnt lgkmcnt(15)
	v_add_f32_e32 v0, v21, v0
	s_waitcnt lgkmcnt(14)
	v_add_f32_e32 v1, v29, v1
	v_mov_b32_e32 v29, v17
	s_waitcnt lgkmcnt(13)
	v_add_f32_e32 v5, v56, v5
	s_waitcnt lgkmcnt(12)
	v_add_f32_e32 v2, v20, v2
	ds_bpermute_b32 v18, v65, v0
	s_waitcnt lgkmcnt(12)
	v_add_f32_e32 v3, v19, v3
	ds_bpermute_b32 v19, v65, v1
	s_waitcnt lgkmcnt(12)
	v_add_f32_e32 v4, v22, v4
	s_waitcnt lgkmcnt(11)
	v_add_f32_e32 v6, v29, v6
	;; [unrolled: 2-line block ×3, first 2 shown]
	ds_bpermute_b32 v24, v65, v5
	ds_bpermute_b32 v20, v65, v2
	s_waitcnt lgkmcnt(11)
	v_add_f32_e32 v7, v23, v7
	ds_bpermute_b32 v23, v65, v4
	s_waitcnt lgkmcnt(11)
	v_add_f32_e32 v11, v25, v11
	ds_bpermute_b32 v25, v65, v6
	ds_bpermute_b32 v21, v65, v3
	s_waitcnt lgkmcnt(12)
	v_add_f32_e32 v8, v28, v8
	s_waitcnt lgkmcnt(11)
	v_add_f32_e32 v10, v26, v10
	s_waitcnt lgkmcnt(10)
	v_add_f32_e32 v9, v27, v9
	ds_bpermute_b32 v26, v65, v7
	s_waitcnt lgkmcnt(10)
	v_add_f32_e32 v14, v30, v14
	ds_bpermute_b32 v27, v65, v8
	ds_bpermute_b32 v30, v65, v12
	s_waitcnt lgkmcnt(9)
	v_add_f32_e32 v0, v0, v18
	ds_bpermute_b32 v18, v65, v10
	s_waitcnt lgkmcnt(9)
	v_add_f32_e32 v1, v1, v19
	ds_bpermute_b32 v16, v55, v46
	ds_bpermute_b32 v28, v65, v9
	;; [unrolled: 1-line block ×3, first 2 shown]
	s_waitcnt lgkmcnt(11)
	v_add_f32_e32 v5, v5, v24
	s_waitcnt lgkmcnt(10)
	v_add_f32_e32 v2, v2, v20
	ds_bpermute_b32 v20, v70, v1
	s_waitcnt lgkmcnt(10)
	v_add_f32_e32 v4, v4, v23
	ds_bpermute_b32 v23, v65, v11
	;; [unrolled: 3-line block ×3, first 2 shown]
	ds_bpermute_b32 v17, v55, v36
	s_waitcnt lgkmcnt(11)
	v_add_f32_e32 v3, v3, v21
	ds_bpermute_b32 v21, v70, v2
	ds_bpermute_b32 v25, v70, v6
	v_add_f32_e32 v13, v31, v13
	s_waitcnt lgkmcnt(12)
	v_add_f32_e32 v7, v7, v26
	ds_bpermute_b32 v29, v70, v3
	s_waitcnt lgkmcnt(12)
	v_add_f32_e32 v8, v8, v27
	s_waitcnt lgkmcnt(10)
	v_add_f32_e32 v10, v10, v18
	ds_bpermute_b32 v18, v65, v13
	v_add_f32_e32 v12, v12, v30
	v_add_f32_e32 v15, v47, v15
	s_waitcnt lgkmcnt(8)
	v_add_f32_e32 v0, v0, v19
	ds_bpermute_b32 v19, v65, v14
	ds_bpermute_b32 v22, v55, v35
	v_add_f32_e32 v9, v9, v28
	ds_bpermute_b32 v26, v70, v7
	ds_bpermute_b32 v27, v70, v8
	s_waitcnt lgkmcnt(11)
	v_add_f32_e32 v1, v1, v20
	s_waitcnt lgkmcnt(10)
	v_add_f32_e32 v11, v11, v23
	ds_bpermute_b32 v20, v70, v10
	ds_bpermute_b32 v23, v70, v12
	v_add_f32_e32 v16, v46, v16
	s_waitcnt lgkmcnt(11)
	v_add_f32_e32 v5, v5, v24
	ds_bpermute_b32 v24, v65, v15
	ds_bpermute_b32 v28, v70, v9
	s_waitcnt lgkmcnt(11)
	v_add_f32_e32 v2, v2, v21
	ds_bpermute_b32 v21, v70, v11
	v_add_f32_e32 v17, v36, v17
	s_waitcnt lgkmcnt(11)
	v_add_f32_e32 v6, v6, v25
	ds_bpermute_b32 v25, v65, v16
	ds_bpermute_b32 v31, v70, v4
	s_waitcnt lgkmcnt(12)
	v_add_f32_e32 v3, v3, v29
	ds_bpermute_b32 v29, v65, v17
	s_waitcnt lgkmcnt(12)
	v_add_f32_e32 v13, v13, v18
	s_waitcnt lgkmcnt(11)
	v_add_f32_e32 v14, v14, v19
	ds_bpermute_b32 v19, v55, v34
	s_waitcnt lgkmcnt(11)
	v_add_f32_e32 v22, v35, v22
	s_waitcnt lgkmcnt(10)
	v_add_f32_e32 v7, v7, v26
	;; [unrolled: 2-line block ×3, first 2 shown]
	ds_bpermute_b32 v26, v55, v33
	ds_bpermute_b32 v27, v55, v32
	s_waitcnt lgkmcnt(10)
	v_add_f32_e32 v10, v10, v20
	s_waitcnt lgkmcnt(9)
	v_add_f32_e32 v12, v12, v23
	ds_bpermute_b32 v20, v70, v13
	ds_bpermute_b32 v23, v55, v42
	s_waitcnt lgkmcnt(10)
	v_add_f32_e32 v15, v15, v24
	ds_bpermute_b32 v24, v55, v41
	s_waitcnt lgkmcnt(10)
	v_add_f32_e32 v9, v9, v28
	ds_bpermute_b32 v18, v65, v22
	s_waitcnt lgkmcnt(10)
	v_add_f32_e32 v11, v11, v21
	ds_bpermute_b32 v21, v70, v14
	s_waitcnt lgkmcnt(10)
	v_add_f32_e32 v16, v16, v25
	ds_bpermute_b32 v25, v55, v40
	ds_bpermute_b32 v28, v55, v39
	;; [unrolled: 1-line block ×3, first 2 shown]
	s_waitcnt lgkmcnt(12)
	v_add_f32_e32 v4, v4, v31
	s_waitcnt lgkmcnt(11)
	v_add_f32_e32 v17, v17, v29
	ds_bpermute_b32 v29, v70, v15
	ds_bpermute_b32 v31, v70, v16
	s_waitcnt lgkmcnt(12)
	v_add_f32_e32 v19, v34, v19
	s_waitcnt lgkmcnt(11)
	v_add_f32_e32 v26, v33, v26
	;; [unrolled: 2-line block ×3, first 2 shown]
	ds_bpermute_b32 v33, v55, v38
	s_waitcnt lgkmcnt(10)
	v_add_f32_e32 v13, v13, v20
	ds_bpermute_b32 v34, v65, v19
	s_waitcnt lgkmcnt(10)
	v_add_f32_e32 v23, v42, v23
	s_waitcnt lgkmcnt(9)
	v_add_f32_e32 v20, v41, v24
	ds_bpermute_b32 v35, v65, v26
	s_waitcnt lgkmcnt(9)
	v_add_f32_e32 v18, v22, v18
	ds_bpermute_b32 v22, v70, v17
	ds_bpermute_b32 v36, v65, v27
	s_waitcnt lgkmcnt(10)
	v_add_f32_e32 v14, v14, v21
	s_waitcnt lgkmcnt(9)
	v_add_f32_e32 v21, v40, v25
	ds_bpermute_b32 v24, v65, v23
	s_waitcnt lgkmcnt(9)
	v_add_f32_e32 v25, v39, v28
	ds_bpermute_b32 v28, v65, v20
	s_waitcnt lgkmcnt(9)
	v_add_f32_e32 v30, v37, v30
	ds_bpermute_b32 v32, v70, v18
	ds_bpermute_b32 v37, v65, v21
	s_waitcnt lgkmcnt(10)
	v_add_f32_e32 v15, v15, v29
	ds_bpermute_b32 v29, v65, v25
	s_waitcnt lgkmcnt(10)
	v_add_f32_e32 v16, v16, v31
	ds_bpermute_b32 v31, v65, v30
	s_mov_b32 s1, exec_lo
	s_waitcnt lgkmcnt(9)
	v_add_f32_e32 v19, v19, v34
	ds_bpermute_b32 v34, v55, v44
	v_cmp_eq_u32_e32 vcc_lo, 0, v72
	s_waitcnt lgkmcnt(9)
	v_add_f32_e32 v26, v26, v35
	ds_bpermute_b32 v35, v55, v43
	s_waitcnt lgkmcnt(9)
	v_add_f32_e32 v17, v17, v22
	v_add_f32_e32 v22, v38, v33
	s_waitcnt lgkmcnt(8)
	v_add_f32_e32 v27, v27, v36
	ds_bpermute_b32 v36, v70, v19
	s_waitcnt lgkmcnt(8)
	v_add_f32_e32 v23, v23, v24
	ds_bpermute_b32 v38, v70, v26
	;; [unrolled: 3-line block ×4, first 2 shown]
	ds_bpermute_b32 v33, v65, v22
	ds_bpermute_b32 v39, v70, v27
	s_waitcnt lgkmcnt(10)
	v_add_f32_e32 v28, v21, v37
	s_waitcnt lgkmcnt(9)
	v_add_f32_e32 v25, v25, v29
	ds_bpermute_b32 v21, v55, v49
	s_waitcnt lgkmcnt(9)
	v_add_f32_e32 v29, v30, v31
	ds_bpermute_b32 v30, v55, v48
	ds_bpermute_b32 v31, v70, v23
	s_waitcnt lgkmcnt(10)
	v_add_f32_e32 v34, v44, v34
	ds_bpermute_b32 v37, v70, v24
	ds_bpermute_b32 v42, v70, v29
	;; [unrolled: 1-line block ×3, first 2 shown]
	s_waitcnt lgkmcnt(12)
	v_add_f32_e32 v35, v43, v35
	s_waitcnt lgkmcnt(11)
	v_add_f32_e32 v19, v19, v36
	ds_bpermute_b32 v46, v65, v34
	ds_bpermute_b32 v43, v55, v51
	;; [unrolled: 1-line block ×3, first 2 shown]
	s_waitcnt lgkmcnt(12)
	v_add_f32_e32 v36, v54, v20
	v_add_f32_e32 v20, v26, v38
	s_waitcnt lgkmcnt(11)
	v_add_f32_e32 v32, v45, v32
	s_waitcnt lgkmcnt(10)
	v_add_f32_e32 v33, v22, v33
	ds_bpermute_b32 v47, v65, v35
	s_waitcnt lgkmcnt(9)
	v_add_f32_e32 v38, v49, v21
	v_add_f32_e32 v21, v27, v39
	s_waitcnt lgkmcnt(8)
	v_add_f32_e32 v30, v48, v30
	ds_bpermute_b32 v39, v65, v36
	ds_bpermute_b32 v48, v55, v50
	ds_bpermute_b32 v44, v65, v32
	ds_bpermute_b32 v45, v70, v33
	s_waitcnt lgkmcnt(11)
	v_add_f32_e32 v22, v23, v31
	ds_bpermute_b32 v31, v65, v30
	ds_bpermute_b32 v49, v65, v38
	s_waitcnt lgkmcnt(11)
	v_add_f32_e32 v26, v29, v42
	v_add_f32_e32 v23, v24, v37
	s_waitcnt lgkmcnt(10)
	v_add_f32_e32 v24, v28, v40
	s_waitcnt lgkmcnt(8)
	;; [unrolled: 2-line block ×3, first 2 shown]
	v_add_f32_e32 v25, v25, v41
	ds_bpermute_b32 v37, v55, v52
	ds_bpermute_b32 v41, v55, v53
	;; [unrolled: 1-line block ×4, first 2 shown]
	s_waitcnt lgkmcnt(9)
	v_add_f32_e32 v36, v36, v39
	s_waitcnt lgkmcnt(8)
	v_add_f32_e32 v39, v50, v48
	;; [unrolled: 2-line block ×4, first 2 shown]
	ds_bpermute_b32 v45, v55, v64
	s_waitcnt lgkmcnt(6)
	v_add_f32_e32 v44, v30, v31
	ds_bpermute_b32 v31, v65, v39
	s_waitcnt lgkmcnt(6)
	v_add_f32_e32 v38, v38, v49
	ds_bpermute_b32 v49, v55, v59
	v_add_f32_e32 v32, v34, v46
	ds_bpermute_b32 v46, v70, v36
	ds_bpermute_b32 v34, v65, v28
	v_add_f32_e32 v33, v35, v47
	ds_bpermute_b32 v30, v55, v66
	ds_bpermute_b32 v47, v55, v58
	s_waitcnt lgkmcnt(10)
	v_add_f32_e32 v37, v52, v37
	ds_bpermute_b32 v52, v55, v62
	s_waitcnt lgkmcnt(10)
	v_add_f32_e32 v41, v53, v41
	;; [unrolled: 3-line block ×4, first 2 shown]
	ds_bpermute_b32 v57, v65, v41
	ds_bpermute_b32 v35, v70, v29
	;; [unrolled: 1-line block ×4, first 2 shown]
	s_waitcnt lgkmcnt(12)
	v_add_f32_e32 v39, v39, v31
	v_add_f32_e32 v31, v64, v45
	s_waitcnt lgkmcnt(11)
	v_add_f32_e32 v49, v59, v49
	ds_bpermute_b32 v45, v65, v43
	ds_bpermute_b32 v42, v70, v33
	s_waitcnt lgkmcnt(11)
	v_add_f32_e32 v34, v28, v34
	ds_bpermute_b32 v59, v65, v31
	ds_bpermute_b32 v28, v55, v61
	;; [unrolled: 1-line block ×3, first 2 shown]
	s_waitcnt lgkmcnt(13)
	v_add_f32_e32 v30, v66, v30
	s_waitcnt lgkmcnt(12)
	v_add_f32_e32 v47, v58, v47
	s_waitcnt lgkmcnt(11)
	v_add_f32_e32 v52, v62, v52
	s_waitcnt lgkmcnt(10)
	v_add_f32_e32 v53, v63, v53
	ds_bpermute_b32 v62, v65, v51
	ds_bpermute_b32 v58, v65, v30
	ds_bpermute_b32 v60, v65, v47
	ds_bpermute_b32 v64, v65, v52
	s_waitcnt lgkmcnt(13)
	v_add_f32_e32 v37, v37, v56
	ds_bpermute_b32 v56, v65, v53
	s_waitcnt lgkmcnt(13)
	v_add_f32_e32 v41, v41, v57
	ds_bpermute_b32 v50, v70, v44
	ds_bpermute_b32 v54, v70, v34
	s_waitcnt lgkmcnt(11)
	v_add_f32_e32 v43, v43, v45
	ds_bpermute_b32 v45, v70, v37
	ds_bpermute_b32 v66, v70, v41
	s_waitcnt lgkmcnt(11)
	v_add_f32_e32 v59, v31, v59
	v_add_f32_e32 v31, v36, v46
	buffer_load_dword v46, off, s[40:43], 0 offset:552 ; 4-byte Folded Reload
	s_waitcnt lgkmcnt(10)
	v_add_f32_e32 v28, v61, v28
	s_waitcnt lgkmcnt(9)
	v_add_f32_e32 v55, v80, v55
	ds_bpermute_b32 v61, v65, v49
	ds_bpermute_b32 v67, v70, v43
	s_waitcnt lgkmcnt(10)
	v_add_f32_e32 v51, v51, v62
	ds_bpermute_b32 v63, v65, v28
	ds_bpermute_b32 v57, v65, v55
	s_waitcnt lgkmcnt(11)
	v_add_f32_e32 v58, v30, v58
	s_waitcnt lgkmcnt(10)
	v_add_f32_e32 v47, v47, v60
	;; [unrolled: 2-line block ×4, first 2 shown]
	ds_bpermute_b32 v65, v70, v39
	ds_bpermute_b32 v60, v70, v58
	;; [unrolled: 1-line block ×5, first 2 shown]
	v_add_f32_e32 v30, v33, v42
	s_waitcnt lgkmcnt(12)
	v_add_f32_e32 v33, v44, v50
	s_waitcnt lgkmcnt(11)
	;; [unrolled: 2-line block ×4, first 2 shown]
	v_add_f32_e32 v37, v41, v66
	v_mul_u32_u24_e32 v50, 0x300, v84
	s_waitcnt lgkmcnt(8)
	v_add_f32_e32 v49, v49, v61
	ds_bpermute_b32 v61, v70, v59
	s_waitcnt vmcnt(0) lgkmcnt(0)
	s_waitcnt_vscnt null, 0x0
	v_add_f32_e32 v63, v28, v63
	v_add_f32_e32 v55, v55, v57
	ds_bpermute_b32 v68, v70, v49
	ds_bpermute_b32 v57, v70, v52
	v_add_f32_e32 v28, v29, v35
	ds_bpermute_b32 v56, v70, v63
	ds_bpermute_b32 v70, v70, v55
	v_add_f32_e32 v29, v32, v40
	v_add_f32_e32 v32, v38, v48
	;; [unrolled: 1-line block ×7, first 2 shown]
	v_and_b32_e32 v51, 0x3c0, v71
	s_barrier
	s_waitcnt lgkmcnt(0)
	buffer_gl0_inv
	v_add_f32_e32 v40, v59, v61
	v_add_f32_e32 v42, v49, v68
	;; [unrolled: 1-line block ×5, first 2 shown]
	v_lshrrev_b32_e32 v48, 3, v46
	v_add_f32_e32 v46, v53, v69
	v_lshl_add_u32 v49, v48, 2, 0x320
	v_cmpx_eq_u32_e32 64, v51
	s_cbranch_execz .LBB43_136
; %bb.134:
	s_and_b32 exec_lo, exec_lo, vcc_lo
	s_cbranch_execz .LBB43_136
; %bb.135:
	v_add_nc_u32_e32 v51, v49, v50
	v_add_nc_u32_e32 v52, 0xfffffa00, v51
	;; [unrolled: 1-line block ×8, first 2 shown]
	ds_write_b32 v52, v0
	ds_write_b32 v53, v1
	;; [unrolled: 1-line block ×3, first 2 shown]
	v_add_nc_u32_e32 v52, 0xfffffa70, v51
	ds_write_b32 v55, v3
	ds_write_b32 v56, v4
	ds_write_b32 v57, v5
	ds_write_b32 v58, v6
	ds_write_b32 v52, v7
	v_add_nc_u32_e32 v52, 0xfffffa80, v51
	v_add_nc_u32_e32 v53, 0xfffffa90, v51
	v_add_nc_u32_e32 v54, 0xfffffaa0, v51
	v_add_nc_u32_e32 v55, 0xfffffab0, v51
	v_add_nc_u32_e32 v56, 0xfffffac0, v51
	ds_write_b32 v52, v8
	ds_write_b32 v53, v9
	ds_write_b32 v54, v10
	ds_write_b32 v55, v11
	ds_write_b32 v56, v12
	v_add_nc_u32_e32 v52, 0xfffffad0, v51
	v_add_nc_u32_e32 v53, 0xfffffae0, v51
	v_add_nc_u32_e32 v54, 0xfffffaf0, v51
	v_add_nc_u32_e32 v55, 0xfffffb00, v51
	;; [unrolled: 10-line block ×8, first 2 shown]
	v_add_nc_u32_e32 v51, 0xfffffcf0, v51
	ds_write_b32 v52, v43
	ds_write_b32 v53, v44
	ds_write_b32 v54, v45
	ds_write_b32 v55, v46
	ds_write_b32 v51, v47
.LBB43_136:
	s_or_b32 exec_lo, exec_lo, s1
	v_lshlrev_b32_e32 v48, 2, v48
	s_mov_b32 s1, exec_lo
	s_waitcnt lgkmcnt(0)
	s_barrier
	buffer_gl0_inv
	v_add3_u32 v48, 0x320, v50, v48
	v_cmpx_gt_u32_e32 64, v71
	s_cbranch_execz .LBB43_187
; %bb.137:
	s_and_saveexec_b32 s0, vcc_lo
	s_cbranch_execnz .LBB43_243
; %bb.138:
	s_or_b32 exec_lo, exec_lo, s0
	s_and_saveexec_b32 s0, vcc_lo
	s_cbranch_execnz .LBB43_244
.LBB43_139:
	s_or_b32 exec_lo, exec_lo, s0
	s_and_saveexec_b32 s0, vcc_lo
	s_cbranch_execnz .LBB43_245
.LBB43_140:
	s_or_b32 exec_lo, exec_lo, s0
	s_and_saveexec_b32 s0, vcc_lo
	s_cbranch_execnz .LBB43_246
.LBB43_141:
	s_or_b32 exec_lo, exec_lo, s0
	s_and_saveexec_b32 s0, vcc_lo
	s_cbranch_execnz .LBB43_247
.LBB43_142:
	s_or_b32 exec_lo, exec_lo, s0
	s_and_saveexec_b32 s0, vcc_lo
	s_cbranch_execnz .LBB43_248
.LBB43_143:
	s_or_b32 exec_lo, exec_lo, s0
	s_and_saveexec_b32 s0, vcc_lo
	s_cbranch_execnz .LBB43_249
.LBB43_144:
	s_or_b32 exec_lo, exec_lo, s0
	s_and_saveexec_b32 s0, vcc_lo
	s_cbranch_execnz .LBB43_250
.LBB43_145:
	s_or_b32 exec_lo, exec_lo, s0
	s_and_saveexec_b32 s0, vcc_lo
	s_cbranch_execnz .LBB43_251
.LBB43_146:
	s_or_b32 exec_lo, exec_lo, s0
	s_and_saveexec_b32 s0, vcc_lo
	s_cbranch_execnz .LBB43_252
.LBB43_147:
	s_or_b32 exec_lo, exec_lo, s0
	s_and_saveexec_b32 s0, vcc_lo
	s_cbranch_execnz .LBB43_253
.LBB43_148:
	s_or_b32 exec_lo, exec_lo, s0
	s_and_saveexec_b32 s0, vcc_lo
	s_cbranch_execnz .LBB43_254
.LBB43_149:
	s_or_b32 exec_lo, exec_lo, s0
	s_and_saveexec_b32 s0, vcc_lo
	s_cbranch_execnz .LBB43_255
.LBB43_150:
	s_or_b32 exec_lo, exec_lo, s0
	s_and_saveexec_b32 s0, vcc_lo
	s_cbranch_execnz .LBB43_256
.LBB43_151:
	s_or_b32 exec_lo, exec_lo, s0
	s_and_saveexec_b32 s0, vcc_lo
	s_cbranch_execnz .LBB43_257
.LBB43_152:
	s_or_b32 exec_lo, exec_lo, s0
	s_and_saveexec_b32 s0, vcc_lo
	s_cbranch_execnz .LBB43_258
.LBB43_153:
	s_or_b32 exec_lo, exec_lo, s0
	s_and_saveexec_b32 s0, vcc_lo
	s_cbranch_execnz .LBB43_259
.LBB43_154:
	s_or_b32 exec_lo, exec_lo, s0
	s_and_saveexec_b32 s0, vcc_lo
	s_cbranch_execnz .LBB43_260
.LBB43_155:
	s_or_b32 exec_lo, exec_lo, s0
	s_and_saveexec_b32 s0, vcc_lo
	s_cbranch_execnz .LBB43_261
.LBB43_156:
	s_or_b32 exec_lo, exec_lo, s0
	s_and_saveexec_b32 s0, vcc_lo
	s_cbranch_execnz .LBB43_262
.LBB43_157:
	s_or_b32 exec_lo, exec_lo, s0
	s_and_saveexec_b32 s0, vcc_lo
	s_cbranch_execnz .LBB43_263
.LBB43_158:
	s_or_b32 exec_lo, exec_lo, s0
	s_and_saveexec_b32 s0, vcc_lo
	s_cbranch_execnz .LBB43_264
.LBB43_159:
	s_or_b32 exec_lo, exec_lo, s0
	s_and_saveexec_b32 s0, vcc_lo
	s_cbranch_execnz .LBB43_265
.LBB43_160:
	s_or_b32 exec_lo, exec_lo, s0
	s_and_saveexec_b32 s0, vcc_lo
	s_cbranch_execnz .LBB43_266
.LBB43_161:
	s_or_b32 exec_lo, exec_lo, s0
	s_and_saveexec_b32 s0, vcc_lo
	s_cbranch_execnz .LBB43_267
.LBB43_162:
	s_or_b32 exec_lo, exec_lo, s0
	s_and_saveexec_b32 s0, vcc_lo
	s_cbranch_execnz .LBB43_268
.LBB43_163:
	s_or_b32 exec_lo, exec_lo, s0
	s_and_saveexec_b32 s0, vcc_lo
	s_cbranch_execnz .LBB43_269
.LBB43_164:
	s_or_b32 exec_lo, exec_lo, s0
	s_and_saveexec_b32 s0, vcc_lo
	s_cbranch_execnz .LBB43_270
.LBB43_165:
	s_or_b32 exec_lo, exec_lo, s0
	s_and_saveexec_b32 s0, vcc_lo
	s_cbranch_execnz .LBB43_271
.LBB43_166:
	s_or_b32 exec_lo, exec_lo, s0
	s_and_saveexec_b32 s0, vcc_lo
	s_cbranch_execnz .LBB43_272
.LBB43_167:
	s_or_b32 exec_lo, exec_lo, s0
	s_and_saveexec_b32 s0, vcc_lo
	s_cbranch_execnz .LBB43_273
.LBB43_168:
	s_or_b32 exec_lo, exec_lo, s0
	s_and_saveexec_b32 s0, vcc_lo
	s_cbranch_execnz .LBB43_274
.LBB43_169:
	s_or_b32 exec_lo, exec_lo, s0
	s_and_saveexec_b32 s0, vcc_lo
	s_cbranch_execnz .LBB43_275
.LBB43_170:
	s_or_b32 exec_lo, exec_lo, s0
	s_and_saveexec_b32 s0, vcc_lo
	s_cbranch_execnz .LBB43_276
.LBB43_171:
	s_or_b32 exec_lo, exec_lo, s0
	s_and_saveexec_b32 s0, vcc_lo
	s_cbranch_execnz .LBB43_277
.LBB43_172:
	s_or_b32 exec_lo, exec_lo, s0
	s_and_saveexec_b32 s0, vcc_lo
	s_cbranch_execnz .LBB43_278
.LBB43_173:
	s_or_b32 exec_lo, exec_lo, s0
	s_and_saveexec_b32 s0, vcc_lo
	s_cbranch_execnz .LBB43_279
.LBB43_174:
	s_or_b32 exec_lo, exec_lo, s0
	s_and_saveexec_b32 s0, vcc_lo
	s_cbranch_execnz .LBB43_280
.LBB43_175:
	s_or_b32 exec_lo, exec_lo, s0
	s_and_saveexec_b32 s0, vcc_lo
	s_cbranch_execnz .LBB43_281
.LBB43_176:
	s_or_b32 exec_lo, exec_lo, s0
	s_and_saveexec_b32 s0, vcc_lo
	s_cbranch_execnz .LBB43_282
.LBB43_177:
	s_or_b32 exec_lo, exec_lo, s0
	s_and_saveexec_b32 s0, vcc_lo
	s_cbranch_execnz .LBB43_283
.LBB43_178:
	s_or_b32 exec_lo, exec_lo, s0
	s_and_saveexec_b32 s0, vcc_lo
	s_cbranch_execnz .LBB43_284
.LBB43_179:
	s_or_b32 exec_lo, exec_lo, s0
	s_and_saveexec_b32 s0, vcc_lo
	s_cbranch_execnz .LBB43_285
.LBB43_180:
	s_or_b32 exec_lo, exec_lo, s0
	s_and_saveexec_b32 s0, vcc_lo
	s_cbranch_execnz .LBB43_286
.LBB43_181:
	s_or_b32 exec_lo, exec_lo, s0
	s_and_saveexec_b32 s0, vcc_lo
	s_cbranch_execnz .LBB43_287
.LBB43_182:
	s_or_b32 exec_lo, exec_lo, s0
	s_and_saveexec_b32 s0, vcc_lo
	s_cbranch_execnz .LBB43_288
.LBB43_183:
	s_or_b32 exec_lo, exec_lo, s0
	s_and_saveexec_b32 s0, vcc_lo
	s_cbranch_execnz .LBB43_289
.LBB43_184:
	s_or_b32 exec_lo, exec_lo, s0
	s_and_saveexec_b32 s0, vcc_lo
	s_cbranch_execz .LBB43_186
.LBB43_185:
	ds_read_b32 v50, v48 offset:752
	s_waitcnt lgkmcnt(0)
	v_add_f32_e32 v47, v47, v50
.LBB43_186:
	s_or_b32 exec_lo, exec_lo, s0
.LBB43_187:
	s_or_b32 exec_lo, exec_lo, s1
	v_and_b32_e32 v50, 0x3e7, v71
	s_mov_b32 s1, exec_lo
	s_barrier
	buffer_gl0_inv
	v_cmpx_eq_u32_e32 32, v50
	s_cbranch_execz .LBB43_189
; %bb.188:
	ds_write2_b32 v49, v0, v1 offset1:4
	ds_write2_b32 v49, v2, v3 offset0:8 offset1:12
	ds_write2_b32 v49, v4, v5 offset0:16 offset1:20
	;; [unrolled: 1-line block ×23, first 2 shown]
.LBB43_189:
	s_or_b32 exec_lo, exec_lo, s1
	s_mov_b32 s1, exec_lo
	s_waitcnt lgkmcnt(0)
	s_barrier
	buffer_gl0_inv
	v_cmpx_gt_u32_e32 32, v71
	s_cbranch_execz .LBB43_240
; %bb.190:
	s_and_saveexec_b32 s0, vcc_lo
	s_cbranch_execnz .LBB43_290
; %bb.191:
	s_or_b32 exec_lo, exec_lo, s0
	s_and_saveexec_b32 s0, vcc_lo
	s_cbranch_execnz .LBB43_291
.LBB43_192:
	s_or_b32 exec_lo, exec_lo, s0
	s_and_saveexec_b32 s0, vcc_lo
	s_cbranch_execnz .LBB43_292
.LBB43_193:
	s_or_b32 exec_lo, exec_lo, s0
	s_and_saveexec_b32 s0, vcc_lo
	s_cbranch_execnz .LBB43_293
.LBB43_194:
	s_or_b32 exec_lo, exec_lo, s0
	s_and_saveexec_b32 s0, vcc_lo
	s_cbranch_execnz .LBB43_294
.LBB43_195:
	s_or_b32 exec_lo, exec_lo, s0
	s_and_saveexec_b32 s0, vcc_lo
	s_cbranch_execnz .LBB43_295
.LBB43_196:
	s_or_b32 exec_lo, exec_lo, s0
	s_and_saveexec_b32 s0, vcc_lo
	s_cbranch_execnz .LBB43_296
.LBB43_197:
	s_or_b32 exec_lo, exec_lo, s0
	s_and_saveexec_b32 s0, vcc_lo
	s_cbranch_execnz .LBB43_297
.LBB43_198:
	s_or_b32 exec_lo, exec_lo, s0
	s_and_saveexec_b32 s0, vcc_lo
	s_cbranch_execnz .LBB43_298
.LBB43_199:
	s_or_b32 exec_lo, exec_lo, s0
	s_and_saveexec_b32 s0, vcc_lo
	s_cbranch_execnz .LBB43_299
.LBB43_200:
	s_or_b32 exec_lo, exec_lo, s0
	s_and_saveexec_b32 s0, vcc_lo
	s_cbranch_execnz .LBB43_300
.LBB43_201:
	s_or_b32 exec_lo, exec_lo, s0
	s_and_saveexec_b32 s0, vcc_lo
	s_cbranch_execnz .LBB43_301
.LBB43_202:
	s_or_b32 exec_lo, exec_lo, s0
	s_and_saveexec_b32 s0, vcc_lo
	s_cbranch_execnz .LBB43_302
.LBB43_203:
	s_or_b32 exec_lo, exec_lo, s0
	s_and_saveexec_b32 s0, vcc_lo
	s_cbranch_execnz .LBB43_303
.LBB43_204:
	s_or_b32 exec_lo, exec_lo, s0
	s_and_saveexec_b32 s0, vcc_lo
	s_cbranch_execnz .LBB43_304
.LBB43_205:
	s_or_b32 exec_lo, exec_lo, s0
	s_and_saveexec_b32 s0, vcc_lo
	s_cbranch_execnz .LBB43_305
.LBB43_206:
	s_or_b32 exec_lo, exec_lo, s0
	s_and_saveexec_b32 s0, vcc_lo
	s_cbranch_execnz .LBB43_306
.LBB43_207:
	s_or_b32 exec_lo, exec_lo, s0
	s_and_saveexec_b32 s0, vcc_lo
	s_cbranch_execnz .LBB43_307
.LBB43_208:
	s_or_b32 exec_lo, exec_lo, s0
	s_and_saveexec_b32 s0, vcc_lo
	s_cbranch_execnz .LBB43_308
.LBB43_209:
	s_or_b32 exec_lo, exec_lo, s0
	s_and_saveexec_b32 s0, vcc_lo
	s_cbranch_execnz .LBB43_309
.LBB43_210:
	s_or_b32 exec_lo, exec_lo, s0
	s_and_saveexec_b32 s0, vcc_lo
	s_cbranch_execnz .LBB43_310
.LBB43_211:
	s_or_b32 exec_lo, exec_lo, s0
	s_and_saveexec_b32 s0, vcc_lo
	s_cbranch_execnz .LBB43_311
.LBB43_212:
	s_or_b32 exec_lo, exec_lo, s0
	s_and_saveexec_b32 s0, vcc_lo
	s_cbranch_execnz .LBB43_312
.LBB43_213:
	s_or_b32 exec_lo, exec_lo, s0
	s_and_saveexec_b32 s0, vcc_lo
	s_cbranch_execnz .LBB43_313
.LBB43_214:
	s_or_b32 exec_lo, exec_lo, s0
	s_and_saveexec_b32 s0, vcc_lo
	s_cbranch_execnz .LBB43_314
.LBB43_215:
	s_or_b32 exec_lo, exec_lo, s0
	s_and_saveexec_b32 s0, vcc_lo
	s_cbranch_execnz .LBB43_315
.LBB43_216:
	s_or_b32 exec_lo, exec_lo, s0
	s_and_saveexec_b32 s0, vcc_lo
	s_cbranch_execnz .LBB43_316
.LBB43_217:
	s_or_b32 exec_lo, exec_lo, s0
	s_and_saveexec_b32 s0, vcc_lo
	s_cbranch_execnz .LBB43_317
.LBB43_218:
	s_or_b32 exec_lo, exec_lo, s0
	s_and_saveexec_b32 s0, vcc_lo
	s_cbranch_execnz .LBB43_318
.LBB43_219:
	s_or_b32 exec_lo, exec_lo, s0
	s_and_saveexec_b32 s0, vcc_lo
	s_cbranch_execnz .LBB43_319
.LBB43_220:
	s_or_b32 exec_lo, exec_lo, s0
	s_and_saveexec_b32 s0, vcc_lo
	s_cbranch_execnz .LBB43_320
.LBB43_221:
	s_or_b32 exec_lo, exec_lo, s0
	s_and_saveexec_b32 s0, vcc_lo
	s_cbranch_execnz .LBB43_321
.LBB43_222:
	s_or_b32 exec_lo, exec_lo, s0
	s_and_saveexec_b32 s0, vcc_lo
	s_cbranch_execnz .LBB43_322
.LBB43_223:
	s_or_b32 exec_lo, exec_lo, s0
	s_and_saveexec_b32 s0, vcc_lo
	s_cbranch_execnz .LBB43_323
.LBB43_224:
	s_or_b32 exec_lo, exec_lo, s0
	s_and_saveexec_b32 s0, vcc_lo
	s_cbranch_execnz .LBB43_324
.LBB43_225:
	s_or_b32 exec_lo, exec_lo, s0
	s_and_saveexec_b32 s0, vcc_lo
	s_cbranch_execnz .LBB43_325
.LBB43_226:
	s_or_b32 exec_lo, exec_lo, s0
	s_and_saveexec_b32 s0, vcc_lo
	s_cbranch_execnz .LBB43_326
.LBB43_227:
	s_or_b32 exec_lo, exec_lo, s0
	s_and_saveexec_b32 s0, vcc_lo
	s_cbranch_execnz .LBB43_327
.LBB43_228:
	s_or_b32 exec_lo, exec_lo, s0
	s_and_saveexec_b32 s0, vcc_lo
	s_cbranch_execnz .LBB43_328
.LBB43_229:
	s_or_b32 exec_lo, exec_lo, s0
	s_and_saveexec_b32 s0, vcc_lo
	s_cbranch_execnz .LBB43_329
.LBB43_230:
	s_or_b32 exec_lo, exec_lo, s0
	s_and_saveexec_b32 s0, vcc_lo
	s_cbranch_execnz .LBB43_330
.LBB43_231:
	s_or_b32 exec_lo, exec_lo, s0
	s_and_saveexec_b32 s0, vcc_lo
	s_cbranch_execnz .LBB43_331
.LBB43_232:
	s_or_b32 exec_lo, exec_lo, s0
	s_and_saveexec_b32 s0, vcc_lo
	s_cbranch_execnz .LBB43_332
.LBB43_233:
	s_or_b32 exec_lo, exec_lo, s0
	s_and_saveexec_b32 s0, vcc_lo
	s_cbranch_execnz .LBB43_333
.LBB43_234:
	s_or_b32 exec_lo, exec_lo, s0
	s_and_saveexec_b32 s0, vcc_lo
	s_cbranch_execnz .LBB43_334
.LBB43_235:
	s_or_b32 exec_lo, exec_lo, s0
	s_and_saveexec_b32 s0, vcc_lo
	s_cbranch_execnz .LBB43_335
.LBB43_236:
	s_or_b32 exec_lo, exec_lo, s0
	s_and_saveexec_b32 s0, vcc_lo
	s_cbranch_execnz .LBB43_336
.LBB43_237:
	s_or_b32 exec_lo, exec_lo, s0
	s_and_saveexec_b32 s0, vcc_lo
	s_cbranch_execz .LBB43_239
.LBB43_238:
	ds_read_b32 v48, v48 offset:752
	s_waitcnt lgkmcnt(0)
	v_add_f32_e32 v47, v47, v48
.LBB43_239:
	s_or_b32 exec_lo, exec_lo, s0
.LBB43_240:
	s_or_b32 exec_lo, exec_lo, s1
	s_barrier
	buffer_gl0_inv
	s_mov_b32 s0, exec_lo
	v_cmpx_eq_u32_e32 0, v50
	s_cbranch_execz .LBB43_242
; %bb.241:
	s_mul_i32 s0, s10, s11
	s_mul_i32 s2, s11, s20
	;; [unrolled: 1-line block ×3, first 2 shown]
	v_lshrrev_b32_e32 v48, 1, v71
	s_mulk_i32 s0, 0xc0
	s_ashr_i32 s1, s0, 31
	s_lshl_b64 s[0:1], s[0:1], 2
	s_add_u32 s4, s6, s0
	s_addc_u32 s5, s7, s1
	s_ashr_i32 s3, s2, 31
	s_lshl_b64 s[0:1], s[2:3], 2
	s_mul_i32 s2, s8, 0xc0
	s_add_u32 s4, s4, s0
	s_addc_u32 s5, s5, s1
	s_ashr_i32 s3, s2, 31
	s_lshl_b64 s[0:1], s[2:3], 2
	s_add_u32 s0, s4, s0
	s_addc_u32 s1, s5, s1
	global_store_dword v48, v0, s[0:1]
	global_store_dword v48, v1, s[0:1] offset:16
	global_store_dword v48, v2, s[0:1] offset:32
	;; [unrolled: 1-line block ×47, first 2 shown]
.LBB43_242:
	s_endpgm
.LBB43_243:
	ds_read_b32 v50, v48
	s_waitcnt lgkmcnt(0)
	v_add_f32_e32 v0, v0, v50
	s_or_b32 exec_lo, exec_lo, s0
	s_and_saveexec_b32 s0, vcc_lo
	s_cbranch_execz .LBB43_139
.LBB43_244:
	ds_read_b32 v50, v48 offset:16
	s_waitcnt lgkmcnt(0)
	v_add_f32_e32 v1, v1, v50
	s_or_b32 exec_lo, exec_lo, s0
	s_and_saveexec_b32 s0, vcc_lo
	s_cbranch_execz .LBB43_140
.LBB43_245:
	ds_read_b32 v50, v48 offset:32
	s_waitcnt lgkmcnt(0)
	v_add_f32_e32 v2, v2, v50
	s_or_b32 exec_lo, exec_lo, s0
	s_and_saveexec_b32 s0, vcc_lo
	s_cbranch_execz .LBB43_141
.LBB43_246:
	ds_read_b32 v50, v48 offset:48
	s_waitcnt lgkmcnt(0)
	v_add_f32_e32 v3, v3, v50
	s_or_b32 exec_lo, exec_lo, s0
	s_and_saveexec_b32 s0, vcc_lo
	s_cbranch_execz .LBB43_142
.LBB43_247:
	ds_read_b32 v50, v48 offset:64
	s_waitcnt lgkmcnt(0)
	v_add_f32_e32 v4, v4, v50
	s_or_b32 exec_lo, exec_lo, s0
	s_and_saveexec_b32 s0, vcc_lo
	s_cbranch_execz .LBB43_143
.LBB43_248:
	ds_read_b32 v50, v48 offset:80
	s_waitcnt lgkmcnt(0)
	v_add_f32_e32 v5, v5, v50
	s_or_b32 exec_lo, exec_lo, s0
	s_and_saveexec_b32 s0, vcc_lo
	s_cbranch_execz .LBB43_144
.LBB43_249:
	ds_read_b32 v50, v48 offset:96
	s_waitcnt lgkmcnt(0)
	v_add_f32_e32 v6, v6, v50
	s_or_b32 exec_lo, exec_lo, s0
	s_and_saveexec_b32 s0, vcc_lo
	s_cbranch_execz .LBB43_145
.LBB43_250:
	ds_read_b32 v50, v48 offset:112
	s_waitcnt lgkmcnt(0)
	v_add_f32_e32 v7, v7, v50
	s_or_b32 exec_lo, exec_lo, s0
	s_and_saveexec_b32 s0, vcc_lo
	s_cbranch_execz .LBB43_146
.LBB43_251:
	ds_read_b32 v50, v48 offset:128
	s_waitcnt lgkmcnt(0)
	v_add_f32_e32 v8, v8, v50
	s_or_b32 exec_lo, exec_lo, s0
	s_and_saveexec_b32 s0, vcc_lo
	s_cbranch_execz .LBB43_147
.LBB43_252:
	ds_read_b32 v50, v48 offset:144
	s_waitcnt lgkmcnt(0)
	v_add_f32_e32 v9, v9, v50
	s_or_b32 exec_lo, exec_lo, s0
	s_and_saveexec_b32 s0, vcc_lo
	s_cbranch_execz .LBB43_148
.LBB43_253:
	ds_read_b32 v50, v48 offset:160
	s_waitcnt lgkmcnt(0)
	v_add_f32_e32 v10, v10, v50
	s_or_b32 exec_lo, exec_lo, s0
	s_and_saveexec_b32 s0, vcc_lo
	s_cbranch_execz .LBB43_149
.LBB43_254:
	ds_read_b32 v50, v48 offset:176
	s_waitcnt lgkmcnt(0)
	v_add_f32_e32 v11, v11, v50
	s_or_b32 exec_lo, exec_lo, s0
	s_and_saveexec_b32 s0, vcc_lo
	s_cbranch_execz .LBB43_150
.LBB43_255:
	ds_read_b32 v50, v48 offset:192
	s_waitcnt lgkmcnt(0)
	v_add_f32_e32 v12, v12, v50
	s_or_b32 exec_lo, exec_lo, s0
	s_and_saveexec_b32 s0, vcc_lo
	s_cbranch_execz .LBB43_151
.LBB43_256:
	ds_read_b32 v50, v48 offset:208
	s_waitcnt lgkmcnt(0)
	v_add_f32_e32 v13, v13, v50
	s_or_b32 exec_lo, exec_lo, s0
	s_and_saveexec_b32 s0, vcc_lo
	s_cbranch_execz .LBB43_152
.LBB43_257:
	ds_read_b32 v50, v48 offset:224
	s_waitcnt lgkmcnt(0)
	v_add_f32_e32 v14, v14, v50
	s_or_b32 exec_lo, exec_lo, s0
	s_and_saveexec_b32 s0, vcc_lo
	s_cbranch_execz .LBB43_153
.LBB43_258:
	ds_read_b32 v50, v48 offset:240
	s_waitcnt lgkmcnt(0)
	v_add_f32_e32 v15, v15, v50
	s_or_b32 exec_lo, exec_lo, s0
	s_and_saveexec_b32 s0, vcc_lo
	s_cbranch_execz .LBB43_154
.LBB43_259:
	ds_read_b32 v50, v48 offset:256
	s_waitcnt lgkmcnt(0)
	v_add_f32_e32 v16, v16, v50
	s_or_b32 exec_lo, exec_lo, s0
	s_and_saveexec_b32 s0, vcc_lo
	s_cbranch_execz .LBB43_155
.LBB43_260:
	ds_read_b32 v50, v48 offset:272
	s_waitcnt lgkmcnt(0)
	v_add_f32_e32 v17, v17, v50
	s_or_b32 exec_lo, exec_lo, s0
	s_and_saveexec_b32 s0, vcc_lo
	s_cbranch_execz .LBB43_156
.LBB43_261:
	ds_read_b32 v50, v48 offset:288
	s_waitcnt lgkmcnt(0)
	v_add_f32_e32 v18, v18, v50
	s_or_b32 exec_lo, exec_lo, s0
	s_and_saveexec_b32 s0, vcc_lo
	s_cbranch_execz .LBB43_157
.LBB43_262:
	ds_read_b32 v50, v48 offset:304
	s_waitcnt lgkmcnt(0)
	v_add_f32_e32 v19, v19, v50
	s_or_b32 exec_lo, exec_lo, s0
	s_and_saveexec_b32 s0, vcc_lo
	s_cbranch_execz .LBB43_158
.LBB43_263:
	ds_read_b32 v50, v48 offset:320
	s_waitcnt lgkmcnt(0)
	v_add_f32_e32 v20, v20, v50
	s_or_b32 exec_lo, exec_lo, s0
	s_and_saveexec_b32 s0, vcc_lo
	s_cbranch_execz .LBB43_159
.LBB43_264:
	ds_read_b32 v50, v48 offset:336
	s_waitcnt lgkmcnt(0)
	v_add_f32_e32 v21, v21, v50
	s_or_b32 exec_lo, exec_lo, s0
	s_and_saveexec_b32 s0, vcc_lo
	s_cbranch_execz .LBB43_160
.LBB43_265:
	ds_read_b32 v50, v48 offset:352
	s_waitcnt lgkmcnt(0)
	v_add_f32_e32 v22, v22, v50
	s_or_b32 exec_lo, exec_lo, s0
	s_and_saveexec_b32 s0, vcc_lo
	s_cbranch_execz .LBB43_161
.LBB43_266:
	ds_read_b32 v50, v48 offset:368
	s_waitcnt lgkmcnt(0)
	v_add_f32_e32 v23, v23, v50
	s_or_b32 exec_lo, exec_lo, s0
	s_and_saveexec_b32 s0, vcc_lo
	s_cbranch_execz .LBB43_162
.LBB43_267:
	ds_read_b32 v50, v48 offset:384
	s_waitcnt lgkmcnt(0)
	v_add_f32_e32 v24, v24, v50
	s_or_b32 exec_lo, exec_lo, s0
	s_and_saveexec_b32 s0, vcc_lo
	s_cbranch_execz .LBB43_163
.LBB43_268:
	ds_read_b32 v50, v48 offset:400
	s_waitcnt lgkmcnt(0)
	v_add_f32_e32 v25, v25, v50
	s_or_b32 exec_lo, exec_lo, s0
	s_and_saveexec_b32 s0, vcc_lo
	s_cbranch_execz .LBB43_164
.LBB43_269:
	ds_read_b32 v50, v48 offset:416
	s_waitcnt lgkmcnt(0)
	v_add_f32_e32 v26, v26, v50
	s_or_b32 exec_lo, exec_lo, s0
	s_and_saveexec_b32 s0, vcc_lo
	s_cbranch_execz .LBB43_165
.LBB43_270:
	ds_read_b32 v50, v48 offset:432
	s_waitcnt lgkmcnt(0)
	v_add_f32_e32 v27, v27, v50
	s_or_b32 exec_lo, exec_lo, s0
	s_and_saveexec_b32 s0, vcc_lo
	s_cbranch_execz .LBB43_166
.LBB43_271:
	ds_read_b32 v50, v48 offset:448
	s_waitcnt lgkmcnt(0)
	v_add_f32_e32 v28, v28, v50
	s_or_b32 exec_lo, exec_lo, s0
	s_and_saveexec_b32 s0, vcc_lo
	s_cbranch_execz .LBB43_167
.LBB43_272:
	ds_read_b32 v50, v48 offset:464
	s_waitcnt lgkmcnt(0)
	v_add_f32_e32 v29, v29, v50
	s_or_b32 exec_lo, exec_lo, s0
	s_and_saveexec_b32 s0, vcc_lo
	s_cbranch_execz .LBB43_168
.LBB43_273:
	ds_read_b32 v50, v48 offset:480
	s_waitcnt lgkmcnt(0)
	v_add_f32_e32 v30, v30, v50
	s_or_b32 exec_lo, exec_lo, s0
	s_and_saveexec_b32 s0, vcc_lo
	s_cbranch_execz .LBB43_169
.LBB43_274:
	ds_read_b32 v50, v48 offset:496
	s_waitcnt lgkmcnt(0)
	v_add_f32_e32 v31, v31, v50
	s_or_b32 exec_lo, exec_lo, s0
	s_and_saveexec_b32 s0, vcc_lo
	s_cbranch_execz .LBB43_170
.LBB43_275:
	ds_read_b32 v50, v48 offset:512
	s_waitcnt lgkmcnt(0)
	v_add_f32_e32 v32, v32, v50
	s_or_b32 exec_lo, exec_lo, s0
	s_and_saveexec_b32 s0, vcc_lo
	s_cbranch_execz .LBB43_171
.LBB43_276:
	ds_read_b32 v50, v48 offset:528
	s_waitcnt lgkmcnt(0)
	v_add_f32_e32 v33, v33, v50
	s_or_b32 exec_lo, exec_lo, s0
	s_and_saveexec_b32 s0, vcc_lo
	s_cbranch_execz .LBB43_172
.LBB43_277:
	ds_read_b32 v50, v48 offset:544
	s_waitcnt lgkmcnt(0)
	v_add_f32_e32 v34, v34, v50
	s_or_b32 exec_lo, exec_lo, s0
	s_and_saveexec_b32 s0, vcc_lo
	s_cbranch_execz .LBB43_173
.LBB43_278:
	ds_read_b32 v50, v48 offset:560
	s_waitcnt lgkmcnt(0)
	v_add_f32_e32 v35, v35, v50
	s_or_b32 exec_lo, exec_lo, s0
	s_and_saveexec_b32 s0, vcc_lo
	s_cbranch_execz .LBB43_174
.LBB43_279:
	ds_read_b32 v50, v48 offset:576
	s_waitcnt lgkmcnt(0)
	v_add_f32_e32 v36, v36, v50
	s_or_b32 exec_lo, exec_lo, s0
	s_and_saveexec_b32 s0, vcc_lo
	s_cbranch_execz .LBB43_175
.LBB43_280:
	ds_read_b32 v50, v48 offset:592
	s_waitcnt lgkmcnt(0)
	v_add_f32_e32 v37, v37, v50
	s_or_b32 exec_lo, exec_lo, s0
	s_and_saveexec_b32 s0, vcc_lo
	s_cbranch_execz .LBB43_176
.LBB43_281:
	ds_read_b32 v50, v48 offset:608
	s_waitcnt lgkmcnt(0)
	v_add_f32_e32 v38, v38, v50
	s_or_b32 exec_lo, exec_lo, s0
	s_and_saveexec_b32 s0, vcc_lo
	s_cbranch_execz .LBB43_177
.LBB43_282:
	ds_read_b32 v50, v48 offset:624
	s_waitcnt lgkmcnt(0)
	v_add_f32_e32 v39, v39, v50
	s_or_b32 exec_lo, exec_lo, s0
	s_and_saveexec_b32 s0, vcc_lo
	s_cbranch_execz .LBB43_178
.LBB43_283:
	ds_read_b32 v50, v48 offset:640
	s_waitcnt lgkmcnt(0)
	v_add_f32_e32 v40, v40, v50
	s_or_b32 exec_lo, exec_lo, s0
	s_and_saveexec_b32 s0, vcc_lo
	s_cbranch_execz .LBB43_179
.LBB43_284:
	ds_read_b32 v50, v48 offset:656
	s_waitcnt lgkmcnt(0)
	v_add_f32_e32 v41, v41, v50
	s_or_b32 exec_lo, exec_lo, s0
	s_and_saveexec_b32 s0, vcc_lo
	s_cbranch_execz .LBB43_180
.LBB43_285:
	ds_read_b32 v50, v48 offset:672
	s_waitcnt lgkmcnt(0)
	v_add_f32_e32 v42, v42, v50
	s_or_b32 exec_lo, exec_lo, s0
	s_and_saveexec_b32 s0, vcc_lo
	s_cbranch_execz .LBB43_181
.LBB43_286:
	ds_read_b32 v50, v48 offset:688
	s_waitcnt lgkmcnt(0)
	v_add_f32_e32 v43, v43, v50
	s_or_b32 exec_lo, exec_lo, s0
	s_and_saveexec_b32 s0, vcc_lo
	s_cbranch_execz .LBB43_182
.LBB43_287:
	ds_read_b32 v50, v48 offset:704
	s_waitcnt lgkmcnt(0)
	v_add_f32_e32 v44, v44, v50
	s_or_b32 exec_lo, exec_lo, s0
	s_and_saveexec_b32 s0, vcc_lo
	s_cbranch_execz .LBB43_183
.LBB43_288:
	ds_read_b32 v50, v48 offset:720
	s_waitcnt lgkmcnt(0)
	v_add_f32_e32 v45, v45, v50
	s_or_b32 exec_lo, exec_lo, s0
	s_and_saveexec_b32 s0, vcc_lo
	s_cbranch_execz .LBB43_184
.LBB43_289:
	ds_read_b32 v50, v48 offset:736
	s_waitcnt lgkmcnt(0)
	v_add_f32_e32 v46, v46, v50
	s_or_b32 exec_lo, exec_lo, s0
	s_and_saveexec_b32 s0, vcc_lo
	s_cbranch_execnz .LBB43_185
	s_branch .LBB43_186
.LBB43_290:
	ds_read_b32 v49, v48
	s_waitcnt lgkmcnt(0)
	v_add_f32_e32 v0, v0, v49
	s_or_b32 exec_lo, exec_lo, s0
	s_and_saveexec_b32 s0, vcc_lo
	s_cbranch_execz .LBB43_192
.LBB43_291:
	ds_read_b32 v49, v48 offset:16
	s_waitcnt lgkmcnt(0)
	v_add_f32_e32 v1, v1, v49
	s_or_b32 exec_lo, exec_lo, s0
	s_and_saveexec_b32 s0, vcc_lo
	s_cbranch_execz .LBB43_193
.LBB43_292:
	ds_read_b32 v49, v48 offset:32
	s_waitcnt lgkmcnt(0)
	v_add_f32_e32 v2, v2, v49
	s_or_b32 exec_lo, exec_lo, s0
	s_and_saveexec_b32 s0, vcc_lo
	s_cbranch_execz .LBB43_194
.LBB43_293:
	ds_read_b32 v49, v48 offset:48
	s_waitcnt lgkmcnt(0)
	v_add_f32_e32 v3, v3, v49
	s_or_b32 exec_lo, exec_lo, s0
	s_and_saveexec_b32 s0, vcc_lo
	s_cbranch_execz .LBB43_195
.LBB43_294:
	ds_read_b32 v49, v48 offset:64
	s_waitcnt lgkmcnt(0)
	v_add_f32_e32 v4, v4, v49
	s_or_b32 exec_lo, exec_lo, s0
	s_and_saveexec_b32 s0, vcc_lo
	s_cbranch_execz .LBB43_196
.LBB43_295:
	ds_read_b32 v49, v48 offset:80
	s_waitcnt lgkmcnt(0)
	v_add_f32_e32 v5, v5, v49
	s_or_b32 exec_lo, exec_lo, s0
	s_and_saveexec_b32 s0, vcc_lo
	s_cbranch_execz .LBB43_197
.LBB43_296:
	ds_read_b32 v49, v48 offset:96
	s_waitcnt lgkmcnt(0)
	v_add_f32_e32 v6, v6, v49
	s_or_b32 exec_lo, exec_lo, s0
	s_and_saveexec_b32 s0, vcc_lo
	s_cbranch_execz .LBB43_198
.LBB43_297:
	ds_read_b32 v49, v48 offset:112
	s_waitcnt lgkmcnt(0)
	v_add_f32_e32 v7, v7, v49
	s_or_b32 exec_lo, exec_lo, s0
	s_and_saveexec_b32 s0, vcc_lo
	s_cbranch_execz .LBB43_199
.LBB43_298:
	ds_read_b32 v49, v48 offset:128
	s_waitcnt lgkmcnt(0)
	v_add_f32_e32 v8, v8, v49
	s_or_b32 exec_lo, exec_lo, s0
	s_and_saveexec_b32 s0, vcc_lo
	s_cbranch_execz .LBB43_200
.LBB43_299:
	ds_read_b32 v49, v48 offset:144
	s_waitcnt lgkmcnt(0)
	v_add_f32_e32 v9, v9, v49
	s_or_b32 exec_lo, exec_lo, s0
	s_and_saveexec_b32 s0, vcc_lo
	s_cbranch_execz .LBB43_201
.LBB43_300:
	ds_read_b32 v49, v48 offset:160
	s_waitcnt lgkmcnt(0)
	v_add_f32_e32 v10, v10, v49
	s_or_b32 exec_lo, exec_lo, s0
	s_and_saveexec_b32 s0, vcc_lo
	s_cbranch_execz .LBB43_202
.LBB43_301:
	ds_read_b32 v49, v48 offset:176
	s_waitcnt lgkmcnt(0)
	v_add_f32_e32 v11, v11, v49
	s_or_b32 exec_lo, exec_lo, s0
	s_and_saveexec_b32 s0, vcc_lo
	s_cbranch_execz .LBB43_203
.LBB43_302:
	ds_read_b32 v49, v48 offset:192
	s_waitcnt lgkmcnt(0)
	v_add_f32_e32 v12, v12, v49
	s_or_b32 exec_lo, exec_lo, s0
	s_and_saveexec_b32 s0, vcc_lo
	s_cbranch_execz .LBB43_204
.LBB43_303:
	ds_read_b32 v49, v48 offset:208
	s_waitcnt lgkmcnt(0)
	v_add_f32_e32 v13, v13, v49
	s_or_b32 exec_lo, exec_lo, s0
	s_and_saveexec_b32 s0, vcc_lo
	s_cbranch_execz .LBB43_205
.LBB43_304:
	ds_read_b32 v49, v48 offset:224
	s_waitcnt lgkmcnt(0)
	v_add_f32_e32 v14, v14, v49
	s_or_b32 exec_lo, exec_lo, s0
	s_and_saveexec_b32 s0, vcc_lo
	s_cbranch_execz .LBB43_206
.LBB43_305:
	ds_read_b32 v49, v48 offset:240
	s_waitcnt lgkmcnt(0)
	v_add_f32_e32 v15, v15, v49
	s_or_b32 exec_lo, exec_lo, s0
	s_and_saveexec_b32 s0, vcc_lo
	s_cbranch_execz .LBB43_207
.LBB43_306:
	ds_read_b32 v49, v48 offset:256
	s_waitcnt lgkmcnt(0)
	v_add_f32_e32 v16, v16, v49
	s_or_b32 exec_lo, exec_lo, s0
	s_and_saveexec_b32 s0, vcc_lo
	s_cbranch_execz .LBB43_208
.LBB43_307:
	ds_read_b32 v49, v48 offset:272
	s_waitcnt lgkmcnt(0)
	v_add_f32_e32 v17, v17, v49
	s_or_b32 exec_lo, exec_lo, s0
	s_and_saveexec_b32 s0, vcc_lo
	s_cbranch_execz .LBB43_209
.LBB43_308:
	ds_read_b32 v49, v48 offset:288
	s_waitcnt lgkmcnt(0)
	v_add_f32_e32 v18, v18, v49
	s_or_b32 exec_lo, exec_lo, s0
	s_and_saveexec_b32 s0, vcc_lo
	s_cbranch_execz .LBB43_210
.LBB43_309:
	ds_read_b32 v49, v48 offset:304
	s_waitcnt lgkmcnt(0)
	v_add_f32_e32 v19, v19, v49
	s_or_b32 exec_lo, exec_lo, s0
	s_and_saveexec_b32 s0, vcc_lo
	s_cbranch_execz .LBB43_211
.LBB43_310:
	ds_read_b32 v49, v48 offset:320
	s_waitcnt lgkmcnt(0)
	v_add_f32_e32 v20, v20, v49
	s_or_b32 exec_lo, exec_lo, s0
	s_and_saveexec_b32 s0, vcc_lo
	s_cbranch_execz .LBB43_212
.LBB43_311:
	ds_read_b32 v49, v48 offset:336
	s_waitcnt lgkmcnt(0)
	v_add_f32_e32 v21, v21, v49
	s_or_b32 exec_lo, exec_lo, s0
	s_and_saveexec_b32 s0, vcc_lo
	s_cbranch_execz .LBB43_213
.LBB43_312:
	ds_read_b32 v49, v48 offset:352
	s_waitcnt lgkmcnt(0)
	v_add_f32_e32 v22, v22, v49
	s_or_b32 exec_lo, exec_lo, s0
	s_and_saveexec_b32 s0, vcc_lo
	s_cbranch_execz .LBB43_214
.LBB43_313:
	ds_read_b32 v49, v48 offset:368
	s_waitcnt lgkmcnt(0)
	v_add_f32_e32 v23, v23, v49
	s_or_b32 exec_lo, exec_lo, s0
	s_and_saveexec_b32 s0, vcc_lo
	s_cbranch_execz .LBB43_215
.LBB43_314:
	ds_read_b32 v49, v48 offset:384
	s_waitcnt lgkmcnt(0)
	v_add_f32_e32 v24, v24, v49
	s_or_b32 exec_lo, exec_lo, s0
	s_and_saveexec_b32 s0, vcc_lo
	s_cbranch_execz .LBB43_216
.LBB43_315:
	ds_read_b32 v49, v48 offset:400
	s_waitcnt lgkmcnt(0)
	v_add_f32_e32 v25, v25, v49
	s_or_b32 exec_lo, exec_lo, s0
	s_and_saveexec_b32 s0, vcc_lo
	s_cbranch_execz .LBB43_217
.LBB43_316:
	ds_read_b32 v49, v48 offset:416
	s_waitcnt lgkmcnt(0)
	v_add_f32_e32 v26, v26, v49
	s_or_b32 exec_lo, exec_lo, s0
	s_and_saveexec_b32 s0, vcc_lo
	s_cbranch_execz .LBB43_218
.LBB43_317:
	ds_read_b32 v49, v48 offset:432
	s_waitcnt lgkmcnt(0)
	v_add_f32_e32 v27, v27, v49
	s_or_b32 exec_lo, exec_lo, s0
	s_and_saveexec_b32 s0, vcc_lo
	s_cbranch_execz .LBB43_219
.LBB43_318:
	ds_read_b32 v49, v48 offset:448
	s_waitcnt lgkmcnt(0)
	v_add_f32_e32 v28, v28, v49
	s_or_b32 exec_lo, exec_lo, s0
	s_and_saveexec_b32 s0, vcc_lo
	s_cbranch_execz .LBB43_220
.LBB43_319:
	ds_read_b32 v49, v48 offset:464
	s_waitcnt lgkmcnt(0)
	v_add_f32_e32 v29, v29, v49
	s_or_b32 exec_lo, exec_lo, s0
	s_and_saveexec_b32 s0, vcc_lo
	s_cbranch_execz .LBB43_221
.LBB43_320:
	ds_read_b32 v49, v48 offset:480
	s_waitcnt lgkmcnt(0)
	v_add_f32_e32 v30, v30, v49
	s_or_b32 exec_lo, exec_lo, s0
	s_and_saveexec_b32 s0, vcc_lo
	s_cbranch_execz .LBB43_222
.LBB43_321:
	ds_read_b32 v49, v48 offset:496
	s_waitcnt lgkmcnt(0)
	v_add_f32_e32 v31, v31, v49
	s_or_b32 exec_lo, exec_lo, s0
	s_and_saveexec_b32 s0, vcc_lo
	s_cbranch_execz .LBB43_223
.LBB43_322:
	ds_read_b32 v49, v48 offset:512
	s_waitcnt lgkmcnt(0)
	v_add_f32_e32 v32, v32, v49
	s_or_b32 exec_lo, exec_lo, s0
	s_and_saveexec_b32 s0, vcc_lo
	s_cbranch_execz .LBB43_224
.LBB43_323:
	ds_read_b32 v49, v48 offset:528
	s_waitcnt lgkmcnt(0)
	v_add_f32_e32 v33, v33, v49
	s_or_b32 exec_lo, exec_lo, s0
	s_and_saveexec_b32 s0, vcc_lo
	s_cbranch_execz .LBB43_225
.LBB43_324:
	ds_read_b32 v49, v48 offset:544
	s_waitcnt lgkmcnt(0)
	v_add_f32_e32 v34, v34, v49
	s_or_b32 exec_lo, exec_lo, s0
	s_and_saveexec_b32 s0, vcc_lo
	s_cbranch_execz .LBB43_226
.LBB43_325:
	ds_read_b32 v49, v48 offset:560
	s_waitcnt lgkmcnt(0)
	v_add_f32_e32 v35, v35, v49
	s_or_b32 exec_lo, exec_lo, s0
	s_and_saveexec_b32 s0, vcc_lo
	s_cbranch_execz .LBB43_227
.LBB43_326:
	ds_read_b32 v49, v48 offset:576
	s_waitcnt lgkmcnt(0)
	v_add_f32_e32 v36, v36, v49
	s_or_b32 exec_lo, exec_lo, s0
	s_and_saveexec_b32 s0, vcc_lo
	s_cbranch_execz .LBB43_228
.LBB43_327:
	ds_read_b32 v49, v48 offset:592
	s_waitcnt lgkmcnt(0)
	v_add_f32_e32 v37, v37, v49
	s_or_b32 exec_lo, exec_lo, s0
	s_and_saveexec_b32 s0, vcc_lo
	s_cbranch_execz .LBB43_229
.LBB43_328:
	ds_read_b32 v49, v48 offset:608
	s_waitcnt lgkmcnt(0)
	v_add_f32_e32 v38, v38, v49
	s_or_b32 exec_lo, exec_lo, s0
	s_and_saveexec_b32 s0, vcc_lo
	s_cbranch_execz .LBB43_230
.LBB43_329:
	ds_read_b32 v49, v48 offset:624
	s_waitcnt lgkmcnt(0)
	v_add_f32_e32 v39, v39, v49
	s_or_b32 exec_lo, exec_lo, s0
	s_and_saveexec_b32 s0, vcc_lo
	s_cbranch_execz .LBB43_231
.LBB43_330:
	ds_read_b32 v49, v48 offset:640
	s_waitcnt lgkmcnt(0)
	v_add_f32_e32 v40, v40, v49
	s_or_b32 exec_lo, exec_lo, s0
	s_and_saveexec_b32 s0, vcc_lo
	s_cbranch_execz .LBB43_232
.LBB43_331:
	ds_read_b32 v49, v48 offset:656
	s_waitcnt lgkmcnt(0)
	v_add_f32_e32 v41, v41, v49
	s_or_b32 exec_lo, exec_lo, s0
	s_and_saveexec_b32 s0, vcc_lo
	s_cbranch_execz .LBB43_233
.LBB43_332:
	ds_read_b32 v49, v48 offset:672
	s_waitcnt lgkmcnt(0)
	v_add_f32_e32 v42, v42, v49
	s_or_b32 exec_lo, exec_lo, s0
	s_and_saveexec_b32 s0, vcc_lo
	s_cbranch_execz .LBB43_234
.LBB43_333:
	ds_read_b32 v49, v48 offset:688
	s_waitcnt lgkmcnt(0)
	v_add_f32_e32 v43, v43, v49
	s_or_b32 exec_lo, exec_lo, s0
	s_and_saveexec_b32 s0, vcc_lo
	s_cbranch_execz .LBB43_235
.LBB43_334:
	ds_read_b32 v49, v48 offset:704
	s_waitcnt lgkmcnt(0)
	v_add_f32_e32 v44, v44, v49
	s_or_b32 exec_lo, exec_lo, s0
	s_and_saveexec_b32 s0, vcc_lo
	s_cbranch_execz .LBB43_236
.LBB43_335:
	ds_read_b32 v49, v48 offset:720
	s_waitcnt lgkmcnt(0)
	v_add_f32_e32 v45, v45, v49
	s_or_b32 exec_lo, exec_lo, s0
	s_and_saveexec_b32 s0, vcc_lo
	s_cbranch_execz .LBB43_237
.LBB43_336:
	ds_read_b32 v49, v48 offset:736
	s_waitcnt lgkmcnt(0)
	v_add_f32_e32 v46, v46, v49
	s_or_b32 exec_lo, exec_lo, s0
	s_and_saveexec_b32 s0, vcc_lo
	s_cbranch_execnz .LBB43_238
	s_branch .LBB43_239
	.section	.rodata,"a",@progbits
	.p2align	6, 0x0
	.amdhsa_kernel _ZN4vllm25paged_attention_v1_kernelIffLi192ELi32ELi128ELNS_18Fp8KVCacheDataTypeE0ELb1EEEvPT_PKS2_PKT0_S8_ifPKiSA_iPKfiiiSC_SC_iiiii
		.amdhsa_group_segment_fixed_size 800
		.amdhsa_private_segment_fixed_size 596
		.amdhsa_kernarg_size 384
		.amdhsa_user_sgpr_count 6
		.amdhsa_user_sgpr_private_segment_buffer 1
		.amdhsa_user_sgpr_dispatch_ptr 0
		.amdhsa_user_sgpr_queue_ptr 0
		.amdhsa_user_sgpr_kernarg_segment_ptr 1
		.amdhsa_user_sgpr_dispatch_id 0
		.amdhsa_user_sgpr_flat_scratch_init 0
		.amdhsa_user_sgpr_private_segment_size 0
		.amdhsa_wavefront_size32 1
		.amdhsa_uses_dynamic_stack 0
		.amdhsa_system_sgpr_private_segment_wavefront_offset 1
		.amdhsa_system_sgpr_workgroup_id_x 1
		.amdhsa_system_sgpr_workgroup_id_y 1
		.amdhsa_system_sgpr_workgroup_id_z 1
		.amdhsa_system_sgpr_workgroup_info 0
		.amdhsa_system_vgpr_workitem_id 0
		.amdhsa_next_free_vgpr 128
		.amdhsa_next_free_sgpr 44
		.amdhsa_reserve_vcc 1
		.amdhsa_reserve_flat_scratch 0
		.amdhsa_float_round_mode_32 0
		.amdhsa_float_round_mode_16_64 0
		.amdhsa_float_denorm_mode_32 3
		.amdhsa_float_denorm_mode_16_64 3
		.amdhsa_dx10_clamp 1
		.amdhsa_ieee_mode 1
		.amdhsa_fp16_overflow 0
		.amdhsa_workgroup_processor_mode 1
		.amdhsa_memory_ordered 1
		.amdhsa_forward_progress 1
		.amdhsa_shared_vgpr_count 0
		.amdhsa_exception_fp_ieee_invalid_op 0
		.amdhsa_exception_fp_denorm_src 0
		.amdhsa_exception_fp_ieee_div_zero 0
		.amdhsa_exception_fp_ieee_overflow 0
		.amdhsa_exception_fp_ieee_underflow 0
		.amdhsa_exception_fp_ieee_inexact 0
		.amdhsa_exception_int_div_zero 0
	.end_amdhsa_kernel
	.section	.text._ZN4vllm25paged_attention_v1_kernelIffLi192ELi32ELi128ELNS_18Fp8KVCacheDataTypeE0ELb1EEEvPT_PKS2_PKT0_S8_ifPKiSA_iPKfiiiSC_SC_iiiii,"axG",@progbits,_ZN4vllm25paged_attention_v1_kernelIffLi192ELi32ELi128ELNS_18Fp8KVCacheDataTypeE0ELb1EEEvPT_PKS2_PKT0_S8_ifPKiSA_iPKfiiiSC_SC_iiiii,comdat
.Lfunc_end43:
	.size	_ZN4vllm25paged_attention_v1_kernelIffLi192ELi32ELi128ELNS_18Fp8KVCacheDataTypeE0ELb1EEEvPT_PKS2_PKT0_S8_ifPKiSA_iPKfiiiSC_SC_iiiii, .Lfunc_end43-_ZN4vllm25paged_attention_v1_kernelIffLi192ELi32ELi128ELNS_18Fp8KVCacheDataTypeE0ELb1EEEvPT_PKS2_PKT0_S8_ifPKiSA_iPKfiiiSC_SC_iiiii
                                        ; -- End function
	.set _ZN4vllm25paged_attention_v1_kernelIffLi192ELi32ELi128ELNS_18Fp8KVCacheDataTypeE0ELb1EEEvPT_PKS2_PKT0_S8_ifPKiSA_iPKfiiiSC_SC_iiiii.num_vgpr, 128
	.set _ZN4vllm25paged_attention_v1_kernelIffLi192ELi32ELi128ELNS_18Fp8KVCacheDataTypeE0ELb1EEEvPT_PKS2_PKT0_S8_ifPKiSA_iPKfiiiSC_SC_iiiii.num_agpr, 0
	.set _ZN4vllm25paged_attention_v1_kernelIffLi192ELi32ELi128ELNS_18Fp8KVCacheDataTypeE0ELb1EEEvPT_PKS2_PKT0_S8_ifPKiSA_iPKfiiiSC_SC_iiiii.numbered_sgpr, 44
	.set _ZN4vllm25paged_attention_v1_kernelIffLi192ELi32ELi128ELNS_18Fp8KVCacheDataTypeE0ELb1EEEvPT_PKS2_PKT0_S8_ifPKiSA_iPKfiiiSC_SC_iiiii.num_named_barrier, 0
	.set _ZN4vllm25paged_attention_v1_kernelIffLi192ELi32ELi128ELNS_18Fp8KVCacheDataTypeE0ELb1EEEvPT_PKS2_PKT0_S8_ifPKiSA_iPKfiiiSC_SC_iiiii.private_seg_size, 596
	.set _ZN4vllm25paged_attention_v1_kernelIffLi192ELi32ELi128ELNS_18Fp8KVCacheDataTypeE0ELb1EEEvPT_PKS2_PKT0_S8_ifPKiSA_iPKfiiiSC_SC_iiiii.uses_vcc, 1
	.set _ZN4vllm25paged_attention_v1_kernelIffLi192ELi32ELi128ELNS_18Fp8KVCacheDataTypeE0ELb1EEEvPT_PKS2_PKT0_S8_ifPKiSA_iPKfiiiSC_SC_iiiii.uses_flat_scratch, 0
	.set _ZN4vllm25paged_attention_v1_kernelIffLi192ELi32ELi128ELNS_18Fp8KVCacheDataTypeE0ELb1EEEvPT_PKS2_PKT0_S8_ifPKiSA_iPKfiiiSC_SC_iiiii.has_dyn_sized_stack, 0
	.set _ZN4vllm25paged_attention_v1_kernelIffLi192ELi32ELi128ELNS_18Fp8KVCacheDataTypeE0ELb1EEEvPT_PKS2_PKT0_S8_ifPKiSA_iPKfiiiSC_SC_iiiii.has_recursion, 0
	.set _ZN4vllm25paged_attention_v1_kernelIffLi192ELi32ELi128ELNS_18Fp8KVCacheDataTypeE0ELb1EEEvPT_PKS2_PKT0_S8_ifPKiSA_iPKfiiiSC_SC_iiiii.has_indirect_call, 0
	.section	.AMDGPU.csdata,"",@progbits
; Kernel info:
; codeLenInByte = 25804
; TotalNumSgprs: 46
; NumVgprs: 128
; ScratchSize: 596
; MemoryBound: 0
; FloatMode: 240
; IeeeMode: 1
; LDSByteSize: 800 bytes/workgroup (compile time only)
; SGPRBlocks: 0
; VGPRBlocks: 15
; NumSGPRsForWavesPerEU: 46
; NumVGPRsForWavesPerEU: 128
; Occupancy: 8
; WaveLimiterHint : 1
; COMPUTE_PGM_RSRC2:SCRATCH_EN: 1
; COMPUTE_PGM_RSRC2:USER_SGPR: 6
; COMPUTE_PGM_RSRC2:TRAP_HANDLER: 0
; COMPUTE_PGM_RSRC2:TGID_X_EN: 1
; COMPUTE_PGM_RSRC2:TGID_Y_EN: 1
; COMPUTE_PGM_RSRC2:TGID_Z_EN: 1
; COMPUTE_PGM_RSRC2:TIDIG_COMP_CNT: 0
	.section	.text._ZN4vllm25paged_attention_v1_kernelIffLi256ELi32ELi128ELNS_18Fp8KVCacheDataTypeE0ELb1EEEvPT_PKS2_PKT0_S8_ifPKiSA_iPKfiiiSC_SC_iiiii,"axG",@progbits,_ZN4vllm25paged_attention_v1_kernelIffLi256ELi32ELi128ELNS_18Fp8KVCacheDataTypeE0ELb1EEEvPT_PKS2_PKT0_S8_ifPKiSA_iPKfiiiSC_SC_iiiii,comdat
	.protected	_ZN4vllm25paged_attention_v1_kernelIffLi256ELi32ELi128ELNS_18Fp8KVCacheDataTypeE0ELb1EEEvPT_PKS2_PKT0_S8_ifPKiSA_iPKfiiiSC_SC_iiiii ; -- Begin function _ZN4vllm25paged_attention_v1_kernelIffLi256ELi32ELi128ELNS_18Fp8KVCacheDataTypeE0ELb1EEEvPT_PKS2_PKT0_S8_ifPKiSA_iPKfiiiSC_SC_iiiii
	.globl	_ZN4vllm25paged_attention_v1_kernelIffLi256ELi32ELi128ELNS_18Fp8KVCacheDataTypeE0ELb1EEEvPT_PKS2_PKT0_S8_ifPKiSA_iPKfiiiSC_SC_iiiii
	.p2align	8
	.type	_ZN4vllm25paged_attention_v1_kernelIffLi256ELi32ELi128ELNS_18Fp8KVCacheDataTypeE0ELb1EEEvPT_PKS2_PKT0_S8_ifPKiSA_iPKfiiiSC_SC_iiiii,@function
_ZN4vllm25paged_attention_v1_kernelIffLi256ELi32ELi128ELNS_18Fp8KVCacheDataTypeE0ELb1EEEvPT_PKS2_PKT0_S8_ifPKiSA_iPKfiiiSC_SC_iiiii: ; @_ZN4vllm25paged_attention_v1_kernelIffLi256ELi32ELi128ELNS_18Fp8KVCacheDataTypeE0ELb1EEEvPT_PKS2_PKT0_S8_ifPKiSA_iPKfiiiSC_SC_iiiii
; %bb.0:
	s_mov_b64 s[42:43], s[2:3]
	s_mov_b64 s[40:41], s[0:1]
	s_mov_b32 s10, s7
	s_add_u32 s40, s40, s9
	s_addc_u32 s41, s41, 0
	s_ashr_i32 s11, s7, 31
	buffer_store_dword v0, off, s[40:43], 0 offset:876 ; 4-byte Folded Spill
	s_clause 0x2
	s_load_dword s9, s[4:5], 0x80
	s_load_dwordx2 s[0:1], s[4:5], 0x30
	s_load_dwordx2 s[28:29], s[4:5], 0x20
	s_lshl_b64 s[2:3], s[10:11], 2
	s_mov_b32 s33, 0
	s_waitcnt lgkmcnt(0)
	s_add_u32 s0, s0, s2
	s_addc_u32 s1, s1, s3
	s_abs_i32 s2, s28
	s_abs_i32 s11, s9
	v_cvt_f32_u32_e32 v0, s2
	s_sub_i32 s7, 0, s2
	v_rcp_iflag_f32_e32 v0, v0
	v_mul_f32_e32 v0, 0x4f7ffffe, v0
	v_cvt_u32_f32_e32 v0, v0
	v_readfirstlane_b32 s3, v0
	s_mul_i32 s7, s7, s3
	s_mul_hi_u32 s7, s3, s7
	s_add_i32 s3, s3, s7
	s_xor_b32 s7, s9, s28
	s_mul_hi_u32 s3, s11, s3
	s_ashr_i32 s7, s7, 31
	s_mul_i32 s12, s3, s2
	s_sub_i32 s11, s11, s12
	s_add_i32 s12, s3, 1
	s_sub_i32 s13, s11, s2
	s_cmp_ge_u32 s11, s2
	s_cselect_b32 s3, s12, s3
	s_cselect_b32 s11, s13, s11
	s_add_i32 s12, s3, 1
	s_cmp_ge_u32 s11, s2
	s_cselect_b32 s2, s12, s3
	s_abs_i32 s22, s6
	s_xor_b32 s2, s2, s7
	s_sub_i32 s16, s2, s7
	s_load_dwordx2 s[2:3], s[4:5], 0x40
	s_abs_i32 s11, s16
	v_cvt_f32_u32_e32 v0, s11
	s_sub_i32 s12, 0, s11
	v_rcp_iflag_f32_e32 v0, v0
	v_mul_f32_e32 v0, 0x4f7ffffe, v0
	v_cvt_u32_f32_e32 v0, v0
	v_readfirstlane_b32 s7, v0
	s_mul_i32 s12, s12, s7
	s_mul_hi_u32 s12, s7, s12
	s_add_i32 s7, s7, s12
	s_waitcnt lgkmcnt(0)
	s_cmp_eq_u64 s[2:3], 0
	s_mul_hi_u32 s23, s22, s7
	s_cbranch_scc1 .LBB44_2
; %bb.1:
	s_ashr_i32 s7, s6, 31
	s_lshl_b64 s[12:13], s[6:7], 2
	s_add_u32 s2, s2, s12
	s_addc_u32 s3, s3, s13
	s_load_dword s33, s[2:3], 0x0
.LBB44_2:
	s_load_dword s30, s[0:1], 0x0
	s_load_dwordx4 s[12:15], s[4:5], 0x48
	buffer_load_dword v0, off, s[40:43], 0 offset:876 ; 4-byte Folded Reload
	s_ashr_i32 s1, s6, 31
	s_ashr_i32 s2, s16, 31
	s_lshl_b32 s20, s6, 8
	s_waitcnt vmcnt(0)
	v_cmp_gt_u32_e64 s0, 64, v0
	s_and_saveexec_b32 s3, s0
	s_cbranch_execz .LBB44_4
; %bb.3:
	buffer_load_dword v0, off, s[40:43], 0 offset:876 ; 4-byte Folded Reload
	s_load_dwordx2 s[16:17], s[4:5], 0x8
	s_waitcnt lgkmcnt(0)
	s_mul_i32 s18, s12, s10
	s_ashr_i32 s19, s18, 31
	s_lshl_b64 s[18:19], s[18:19], 2
	s_add_u32 s7, s16, s18
	s_addc_u32 s12, s17, s19
	s_ashr_i32 s21, s20, 31
	s_lshl_b64 s[16:17], s[20:21], 2
	s_add_u32 s16, s7, s16
	s_addc_u32 s17, s12, s17
	s_waitcnt vmcnt(0)
	v_lshlrev_b32_e32 v4, 4, v0
	global_load_dwordx4 v[0:3], v4, s[16:17]
	s_waitcnt vmcnt(0)
	ds_write_b128 v4, v[0:3]
.LBB44_4:
	s_or_b32 exec_lo, exec_lo, s3
	s_load_dwordx4 s[16:19], s[4:5], 0x68
	s_mul_i32 s3, s23, s11
	s_xor_b32 s2, s1, s2
	s_sub_i32 s1, s22, s3
	s_add_i32 s3, s23, 1
	s_sub_i32 s7, s1, s11
	s_cmp_ge_u32 s1, s11
	s_waitcnt lgkmcnt(0)
	s_mov_b32 s15, -1
	s_cselect_b32 s3, s3, s23
	s_cselect_b32 s1, s7, s1
	s_add_i32 s7, s3, 1
	s_cmp_ge_u32 s1, s11
	s_load_dword s1, s[4:5], 0x78
	s_cselect_b32 s3, s7, s3
	s_add_i32 s11, s30, -1
	s_xor_b32 s3, s3, s2
	s_abs_i32 s7, s11
	s_sub_i32 s2, s3, s2
	s_waitcnt lgkmcnt(0)
	s_waitcnt_vscnt null, 0x0
	s_barrier
	s_abs_i32 s12, s19
	buffer_gl0_inv
	v_cvt_f32_u32_e32 v0, s12
	s_sub_i32 s3, 0, s12
                                        ; implicit-def: $sgpr31
	v_rcp_iflag_f32_e32 v0, v0
	v_mul_f32_e32 v0, 0x4f7ffffe, v0
	v_cvt_u32_f32_e32 v0, v0
	v_readfirstlane_b32 s21, v0
	s_mul_i32 s3, s3, s21
	s_mul_hi_u32 s3, s21, s3
	s_add_i32 s21, s21, s3
	s_cmp_lt_i32 s1, 0
	s_mul_hi_u32 s3, s7, s21
	s_cbranch_scc0 .LBB44_6
; %bb.5:
	s_mul_i32 s15, s16, s28
	s_add_i32 s15, s2, s15
	s_mul_i32 s15, s15, s1
	s_sub_i32 s31, 1, s15
	s_mov_b32 s15, 0
.LBB44_6:
	s_load_dwordx2 s[22:23], s[4:5], 0x28
	s_ashr_i32 s11, s11, 31
	s_andn2_b32 vcc_lo, exec_lo, s15
	s_ashr_i32 s19, s19, 31
	s_cbranch_vccnz .LBB44_8
; %bb.7:
	s_mul_i32 s15, s9, s16
	s_add_i32 s6, s15, s6
	s_mul_i32 s1, s6, s1
	s_add_i32 s31, s1, 1
.LBB44_8:
	s_mul_i32 s6, s3, s12
	s_xor_b32 s15, s11, s19
	s_sub_i32 s28, s7, s6
	s_clause 0x2
	s_load_dwordx2 s[6:7], s[4:5], 0x0
	s_load_dwordx2 s[24:25], s[4:5], 0x18
	s_load_dword s11, s[4:5], 0x88
	buffer_load_dword v0, off, s[40:43], 0 offset:876 ; 4-byte Folded Reload
	s_load_dword s1, s[4:5], 0x38
	s_add_i32 s16, s3, 1
	s_mul_i32 s14, s2, s14
	s_waitcnt lgkmcnt(0)
	s_mul_i32 s26, s1, s10
	s_sub_i32 s1, s28, s12
	s_ashr_i32 s27, s26, 31
	s_cmp_ge_u32 s28, s12
	s_cselect_b32 s3, s16, s3
	s_cselect_b32 s1, s1, s28
	s_add_i32 s16, s3, 1
	s_cmp_ge_u32 s1, s12
	s_cselect_b32 s1, s16, s3
	s_add_i32 s3, s30, 31
	s_ashr_i32 s16, s3, 31
	s_lshr_b32 s16, s16, 27
	s_add_i32 s3, s3, s16
	s_ashr_i32 s16, s3, 5
	s_xor_b32 s3, s1, s15
	s_sub_i32 s28, s3, s15
	s_waitcnt vmcnt(0)
	v_lshrrev_b32_e32 v1, 5, v0
	v_and_b32_e32 v2, 31, v0
	v_mov_b32_e32 v0, 0xff7fffff
	v_cmp_gt_i32_e64 s1, s16, v1
	v_lshlrev_b32_e32 v12, 2, v2
	buffer_store_dword v1, off, s[40:43], 0 offset:904 ; 4-byte Folded Spill
	buffer_store_dword v2, off, s[40:43], 0 offset:872 ; 4-byte Folded Spill
	s_and_saveexec_b32 s34, s1
	s_cbranch_execz .LBB44_16
; %bb.9:
	buffer_load_dword v10, off, s[40:43], 0 offset:872 ; 4-byte Folded Reload
	s_load_dwordx2 s[2:3], s[4:5], 0x10
	s_ashr_i32 s15, s14, 31
	s_sub_i32 s4, s28, s17
	s_lshl_b64 s[36:37], s[14:15], 2
	v_mov_b32_e32 v5, 0
	v_cmp_neq_f32_e64 vcc_lo, s33, 0
	s_mov_b32 s5, s13
	s_mov_b32 s15, 0
	s_waitcnt lgkmcnt(0)
	s_add_u32 s2, s2, s36
	s_addc_u32 s3, s3, s37
	s_abs_i32 s35, s18
	s_waitcnt vmcnt(0)
	v_lshlrev_b32_e32 v0, 4, v10
	v_add_co_u32 v0, s2, s2, v0
	buffer_store_dword v0, off, s[40:43], 0 ; 4-byte Folded Spill
	v_add_co_ci_u32_e64 v0, null, s3, 0, s2
	s_sub_i32 s2, 0, s35
	buffer_store_dword v0, off, s[40:43], 0 offset:8 ; 4-byte Folded Spill
	ds_read_b128 v[0:3], v5
	s_waitcnt lgkmcnt(0)
	buffer_store_dword v0, off, s[40:43], 0 offset:24 ; 4-byte Folded Spill
	buffer_store_dword v1, off, s[40:43], 0 offset:28 ; 4-byte Folded Spill
	buffer_store_dword v2, off, s[40:43], 0 offset:32 ; 4-byte Folded Spill
	buffer_store_dword v3, off, s[40:43], 0 offset:36 ; 4-byte Folded Spill
	ds_read_b128 v[0:3], v5 offset:16
	s_waitcnt lgkmcnt(0)
	buffer_store_dword v0, off, s[40:43], 0 offset:40 ; 4-byte Folded Spill
	buffer_store_dword v1, off, s[40:43], 0 offset:44 ; 4-byte Folded Spill
	buffer_store_dword v2, off, s[40:43], 0 offset:48 ; 4-byte Folded Spill
	buffer_store_dword v3, off, s[40:43], 0 offset:52 ; 4-byte Folded Spill
	ds_read_b128 v[0:3], v5 offset:32
	;; [unrolled: 6-line block ×37, first 2 shown]
	s_waitcnt lgkmcnt(0)
	buffer_store_dword v0, off, s[40:43], 0 offset:616 ; 4-byte Folded Spill
	buffer_store_dword v1, off, s[40:43], 0 offset:620 ; 4-byte Folded Spill
	;; [unrolled: 1-line block ×4, first 2 shown]
	v_cvt_f32_u32_e32 v0, s35
	ds_read_b128 v[29:32], v5 offset:608
	ds_read_b128 v[33:36], v5 offset:624
	;; [unrolled: 1-line block ×26, first 2 shown]
	buffer_load_dword v127, off, s[40:43], 0 offset:904 ; 4-byte Folded Reload
	v_rcp_iflag_f32_e32 v0, v0
	v_mul_f32_e32 v0, 0x4f7ffffe, v0
	v_cvt_u32_f32_e32 v0, v0
	v_mul_lo_u32 v9, s2, v0
	s_lshl_b64 s[2:3], s[26:27], 2
	s_add_u32 s2, s22, s2
	s_addc_u32 s3, s23, s3
	v_mul_hi_u32 v9, v0, v9
	v_add_nc_u32_e32 v15, v0, v9
	buffer_load_dword v0, off, s[40:43], 0 offset:876 ; 4-byte Folded Reload
	s_waitcnt vmcnt(1)
	v_lshlrev_b32_e32 v11, 5, v127
	s_waitcnt vmcnt(0)
	v_lshrrev_b32_e32 v0, 3, v0
	v_and_b32_e32 v0, 0x7c, v0
	v_add_co_u32 v125, s2, s2, v0
	v_subrev_nc_u32_e32 v0, s30, v10
	v_add_co_ci_u32_e64 v126, null, s3, 0, s2
	v_add_nc_u32_e32 v0, 1, v0
	buffer_store_dword v0, off, s[40:43], 0 offset:636 ; 4-byte Folded Spill
	buffer_store_dword v12, off, s[40:43], 0 offset:640 ; 4-byte Folded Spill
	v_lshl_or_b32 v0, v127, 7, v12
	buffer_store_dword v15, off, s[40:43], 0 offset:632 ; 4-byte Folded Spill
	v_add_nc_u32_e32 v12, 0x420, v0
	v_mov_b32_e32 v0, 0xff7fffff
	s_branch .LBB44_11
.LBB44_10:                              ;   in Loop: Header=BB44_11 Depth=1
	s_or_b32 exec_lo, exec_lo, s3
	v_add_nc_u32_e32 v127, 4, v127
	v_add_co_u32 v125, s2, v125, 16
	v_add_co_ci_u32_e64 v126, null, 0, v126, s2
	v_cmp_le_i32_e64 s2, s16, v127
	v_add_nc_u32_e32 v11, 0x80, v11
	v_add_nc_u32_e32 v12, 0x200, v12
	s_or_b32 s15, s2, s15
	s_andn2_b32 exec_lo, exec_lo, s15
	s_cbranch_execz .LBB44_15
.LBB44_11:                              ; =>This Inner Loop Header: Depth=1
	v_mul_hi_u32 v9, v11, s21
	v_mul_lo_u32 v10, v9, s12
	v_add_nc_u32_e32 v13, 1, v9
	v_sub_nc_u32_e32 v10, v11, v10
	v_subrev_nc_u32_e32 v14, s12, v10
	v_cmp_le_u32_e64 s2, s12, v10
	v_cndmask_b32_e64 v9, v9, v13, s2
	v_cndmask_b32_e64 v10, v10, v14, s2
	v_add_nc_u32_e32 v13, 1, v9
	v_cmp_le_u32_e64 s2, s12, v10
	v_cndmask_b32_e64 v9, v9, v13, s2
	v_xor_b32_e32 v9, s19, v9
	v_subrev_nc_u32_e32 v9, s19, v9
	v_add_nc_u32_e32 v10, s31, v9
	v_cmp_ge_i32_e64 s3, s4, v9
	v_sub_nc_u32_e32 v13, 0, v10
	v_max_i32_e32 v13, v10, v13
	v_ashrrev_i32_e32 v10, 31, v10
	v_mul_hi_u32 v14, v13, v15
	v_mul_lo_u32 v14, v14, s35
	v_sub_nc_u32_e32 v13, v13, v14
	v_subrev_nc_u32_e32 v14, s35, v13
	v_cmp_le_u32_e64 s2, s35, v13
	v_cndmask_b32_e64 v13, v13, v14, s2
	v_subrev_nc_u32_e32 v14, s35, v13
	v_cmp_le_u32_e64 s2, s35, v13
	v_cndmask_b32_e64 v13, v13, v14, s2
	v_xor_b32_e32 v13, v13, v10
	v_sub_nc_u32_e32 v10, v13, v10
	v_cmp_ne_u32_e64 s2, 0, v10
	s_and_b32 s2, s2, s3
	s_and_saveexec_b32 s3, s2
	s_xor_b32 s2, exec_lo, s3
; %bb.12:                               ;   in Loop: Header=BB44_11 Depth=1
	v_mov_b32_e32 v9, 0xff7fffff
	ds_write_b32 v12, v9
; %bb.13:                               ;   in Loop: Header=BB44_11 Depth=1
	s_andn2_saveexec_b32 s3, s2
	s_cbranch_execz .LBB44_10
; %bb.14:                               ;   in Loop: Header=BB44_11 Depth=1
	global_load_dword v9, v[125:126], off
	buffer_load_dword v13, off, s[40:43], 0 ; 4-byte Folded Reload
	s_waitcnt vmcnt(1)
	v_mad_i64_i32 v[9:10], null, v9, s5, 0
	v_lshlrev_b64 v[9:10], 2, v[9:10]
	s_waitcnt vmcnt(0)
	v_add_co_u32 v9, s2, v13, v9
	buffer_load_dword v13, off, s[40:43], 0 offset:8 ; 4-byte Folded Reload
	s_waitcnt vmcnt(0)
	v_add_co_ci_u32_e64 v10, null, v13, v10, s2
	global_load_dwordx4 v[17:20], v[9:10], off offset:512
	s_clause 0x3
	buffer_load_dword v21, off, s[40:43], 0 offset:40
	buffer_load_dword v22, off, s[40:43], 0 offset:44
	;; [unrolled: 1-line block ×4, first 2 shown]
	s_waitcnt vmcnt(3)
	v_mul_f32_e32 v14, v21, v17
	s_waitcnt vmcnt(2)
	v_mul_f32_e32 v15, v22, v18
	;; [unrolled: 2-line block ×4, first 2 shown]
	global_load_dwordx4 v[17:20], v[9:10], off
	s_clause 0x3
	buffer_load_dword v21, off, s[40:43], 0 offset:24
	buffer_load_dword v22, off, s[40:43], 0 offset:28
	;; [unrolled: 1-line block ×4, first 2 shown]
	s_waitcnt vmcnt(3)
	v_fmac_f32_e32 v14, v21, v17
	s_waitcnt vmcnt(2)
	v_fmac_f32_e32 v15, v22, v18
	;; [unrolled: 2-line block ×4, first 2 shown]
	global_load_dwordx4 v[17:20], v[9:10], off offset:1024
	s_clause 0x3
	buffer_load_dword v21, off, s[40:43], 0 offset:56
	buffer_load_dword v22, off, s[40:43], 0 offset:60
	;; [unrolled: 1-line block ×4, first 2 shown]
	s_waitcnt vmcnt(3)
	v_fmac_f32_e32 v14, v21, v17
	s_waitcnt vmcnt(2)
	v_fmac_f32_e32 v15, v22, v18
	;; [unrolled: 2-line block ×4, first 2 shown]
	global_load_dwordx4 v[17:20], v[9:10], off offset:1536
	s_clause 0x3
	buffer_load_dword v21, off, s[40:43], 0 offset:72
	buffer_load_dword v22, off, s[40:43], 0 offset:76
	;; [unrolled: 1-line block ×4, first 2 shown]
	s_waitcnt vmcnt(3)
	v_fmac_f32_e32 v14, v21, v17
	v_add_co_u32 v21, s2, v9, 0x1000
	s_waitcnt vmcnt(2)
	v_fmac_f32_e32 v15, v22, v18
	v_add_co_ci_u32_e64 v22, null, 0, v10, s2
	s_waitcnt vmcnt(1)
	v_fmac_f32_e32 v16, v23, v19
	s_waitcnt vmcnt(0)
	v_fmac_f32_e32 v13, v24, v20
	global_load_dwordx4 v[17:20], v[21:22], off offset:-2048
	s_clause 0x3
	buffer_load_dword v23, off, s[40:43], 0 offset:88
	buffer_load_dword v24, off, s[40:43], 0 offset:92
	;; [unrolled: 1-line block ×4, first 2 shown]
	s_waitcnt vmcnt(3)
	v_fmac_f32_e32 v14, v23, v17
	v_add_co_u32 v23, s2, 0x800, v9
	s_waitcnt vmcnt(2)
	v_fmac_f32_e32 v15, v24, v18
	v_add_co_ci_u32_e64 v24, null, 0, v10, s2
	s_waitcnt vmcnt(1)
	v_fmac_f32_e32 v16, v25, v19
	s_waitcnt vmcnt(0)
	v_fmac_f32_e32 v13, v26, v20
	global_load_dwordx4 v[17:20], v[23:24], off offset:512
	s_clause 0x3
	buffer_load_dword v25, off, s[40:43], 0 offset:104
	buffer_load_dword v26, off, s[40:43], 0 offset:108
	buffer_load_dword v27, off, s[40:43], 0 offset:112
	buffer_load_dword v28, off, s[40:43], 0 offset:116
	s_waitcnt vmcnt(3)
	v_fmac_f32_e32 v14, v25, v17
	s_waitcnt vmcnt(2)
	v_fmac_f32_e32 v15, v26, v18
	s_waitcnt vmcnt(1)
	v_fmac_f32_e32 v16, v27, v19
	s_waitcnt vmcnt(0)
	v_fmac_f32_e32 v13, v28, v20
	global_load_dwordx4 v[17:20], v[23:24], off offset:1024
	s_clause 0x3
	buffer_load_dword v25, off, s[40:43], 0 offset:120
	buffer_load_dword v26, off, s[40:43], 0 offset:124
	buffer_load_dword v27, off, s[40:43], 0 offset:128
	buffer_load_dword v28, off, s[40:43], 0 offset:132
	s_waitcnt vmcnt(3)
	v_fmac_f32_e32 v14, v25, v17
	s_waitcnt vmcnt(2)
	v_fmac_f32_e32 v15, v26, v18
	;; [unrolled: 14-line block ×3, first 2 shown]
	s_waitcnt vmcnt(1)
	v_fmac_f32_e32 v16, v25, v19
	s_waitcnt vmcnt(0)
	v_fmac_f32_e32 v13, v26, v20
	global_load_dwordx4 v[17:20], v[21:22], off
	s_clause 0x3
	buffer_load_dword v21, off, s[40:43], 0 offset:152
	buffer_load_dword v22, off, s[40:43], 0 offset:156
	;; [unrolled: 1-line block ×4, first 2 shown]
	s_waitcnt vmcnt(3)
	v_fmac_f32_e32 v14, v21, v17
	v_add_co_u32 v21, s2, 0x1000, v9
	s_waitcnt vmcnt(2)
	v_fmac_f32_e32 v15, v22, v18
	v_add_co_ci_u32_e64 v22, null, 0, v10, s2
	s_waitcnt vmcnt(1)
	v_fmac_f32_e32 v16, v23, v19
	s_waitcnt vmcnt(0)
	v_fmac_f32_e32 v13, v24, v20
	global_load_dwordx4 v[17:20], v[21:22], off offset:512
	s_clause 0x3
	buffer_load_dword v23, off, s[40:43], 0 offset:168
	buffer_load_dword v24, off, s[40:43], 0 offset:172
	;; [unrolled: 1-line block ×4, first 2 shown]
	s_waitcnt vmcnt(3)
	v_fmac_f32_e32 v14, v23, v17
	s_waitcnt vmcnt(2)
	v_fmac_f32_e32 v15, v24, v18
	;; [unrolled: 2-line block ×4, first 2 shown]
	global_load_dwordx4 v[17:20], v[21:22], off offset:1024
	s_clause 0x3
	buffer_load_dword v23, off, s[40:43], 0 offset:184
	buffer_load_dword v24, off, s[40:43], 0 offset:188
	;; [unrolled: 1-line block ×4, first 2 shown]
	s_waitcnt vmcnt(3)
	v_fmac_f32_e32 v14, v23, v17
	s_waitcnt vmcnt(2)
	v_fmac_f32_e32 v15, v24, v18
	;; [unrolled: 2-line block ×4, first 2 shown]
	global_load_dwordx4 v[17:20], v[21:22], off offset:1536
	s_clause 0x3
	buffer_load_dword v21, off, s[40:43], 0 offset:200
	buffer_load_dword v22, off, s[40:43], 0 offset:204
	buffer_load_dword v23, off, s[40:43], 0 offset:208
	buffer_load_dword v24, off, s[40:43], 0 offset:212
	s_waitcnt vmcnt(3)
	v_fmac_f32_e32 v14, v21, v17
	v_add_co_u32 v21, s2, v9, 0x2000
	s_waitcnt vmcnt(2)
	v_fmac_f32_e32 v15, v22, v18
	v_add_co_ci_u32_e64 v22, null, 0, v10, s2
	s_waitcnt vmcnt(1)
	v_fmac_f32_e32 v16, v23, v19
	s_waitcnt vmcnt(0)
	v_fmac_f32_e32 v13, v24, v20
	global_load_dwordx4 v[17:20], v[21:22], off offset:-2048
	s_clause 0x3
	buffer_load_dword v23, off, s[40:43], 0 offset:216
	buffer_load_dword v24, off, s[40:43], 0 offset:220
	;; [unrolled: 1-line block ×4, first 2 shown]
	s_waitcnt vmcnt(3)
	v_fmac_f32_e32 v14, v23, v17
	v_add_co_u32 v23, s2, 0x1800, v9
	s_waitcnt vmcnt(2)
	v_fmac_f32_e32 v15, v24, v18
	v_add_co_ci_u32_e64 v24, null, 0, v10, s2
	s_waitcnt vmcnt(1)
	v_fmac_f32_e32 v16, v25, v19
	s_waitcnt vmcnt(0)
	v_fmac_f32_e32 v13, v26, v20
	global_load_dwordx4 v[17:20], v[23:24], off offset:512
	s_clause 0x3
	buffer_load_dword v25, off, s[40:43], 0 offset:232
	buffer_load_dword v26, off, s[40:43], 0 offset:236
	buffer_load_dword v27, off, s[40:43], 0 offset:240
	buffer_load_dword v28, off, s[40:43], 0 offset:244
	s_waitcnt vmcnt(3)
	v_fmac_f32_e32 v14, v25, v17
	s_waitcnt vmcnt(2)
	v_fmac_f32_e32 v15, v26, v18
	s_waitcnt vmcnt(1)
	v_fmac_f32_e32 v16, v27, v19
	s_waitcnt vmcnt(0)
	v_fmac_f32_e32 v13, v28, v20
	global_load_dwordx4 v[17:20], v[23:24], off offset:1024
	s_clause 0x3
	buffer_load_dword v25, off, s[40:43], 0 offset:248
	buffer_load_dword v26, off, s[40:43], 0 offset:252
	buffer_load_dword v27, off, s[40:43], 0 offset:256
	buffer_load_dword v28, off, s[40:43], 0 offset:260
	s_waitcnt vmcnt(3)
	v_fmac_f32_e32 v14, v25, v17
	s_waitcnt vmcnt(2)
	v_fmac_f32_e32 v15, v26, v18
	;; [unrolled: 14-line block ×3, first 2 shown]
	s_waitcnt vmcnt(1)
	v_fmac_f32_e32 v16, v25, v19
	s_waitcnt vmcnt(0)
	v_fmac_f32_e32 v13, v26, v20
	global_load_dwordx4 v[17:20], v[21:22], off
	s_clause 0x3
	buffer_load_dword v21, off, s[40:43], 0 offset:280
	buffer_load_dword v22, off, s[40:43], 0 offset:284
	;; [unrolled: 1-line block ×4, first 2 shown]
	s_waitcnt vmcnt(3)
	v_fmac_f32_e32 v14, v21, v17
	v_add_co_u32 v21, s2, 0x2000, v9
	s_waitcnt vmcnt(2)
	v_fmac_f32_e32 v15, v22, v18
	v_add_co_ci_u32_e64 v22, null, 0, v10, s2
	s_waitcnt vmcnt(1)
	v_fmac_f32_e32 v16, v23, v19
	s_waitcnt vmcnt(0)
	v_fmac_f32_e32 v13, v24, v20
	global_load_dwordx4 v[17:20], v[21:22], off offset:512
	s_clause 0x3
	buffer_load_dword v23, off, s[40:43], 0 offset:296
	buffer_load_dword v24, off, s[40:43], 0 offset:300
	buffer_load_dword v25, off, s[40:43], 0 offset:304
	buffer_load_dword v26, off, s[40:43], 0 offset:308
	s_waitcnt vmcnt(3)
	v_fmac_f32_e32 v14, v23, v17
	s_waitcnt vmcnt(2)
	v_fmac_f32_e32 v15, v24, v18
	;; [unrolled: 2-line block ×4, first 2 shown]
	global_load_dwordx4 v[17:20], v[21:22], off offset:1024
	s_clause 0x3
	buffer_load_dword v23, off, s[40:43], 0 offset:312
	buffer_load_dword v24, off, s[40:43], 0 offset:316
	buffer_load_dword v25, off, s[40:43], 0 offset:320
	buffer_load_dword v26, off, s[40:43], 0 offset:324
	s_waitcnt vmcnt(3)
	v_fmac_f32_e32 v14, v23, v17
	s_waitcnt vmcnt(2)
	v_fmac_f32_e32 v15, v24, v18
	;; [unrolled: 2-line block ×4, first 2 shown]
	global_load_dwordx4 v[17:20], v[21:22], off offset:1536
	s_clause 0x3
	buffer_load_dword v21, off, s[40:43], 0 offset:328
	buffer_load_dword v22, off, s[40:43], 0 offset:332
	;; [unrolled: 1-line block ×4, first 2 shown]
	s_waitcnt vmcnt(3)
	v_fmac_f32_e32 v14, v21, v17
	v_add_co_u32 v21, s2, v9, 0x3000
	s_waitcnt vmcnt(2)
	v_fmac_f32_e32 v15, v22, v18
	v_add_co_ci_u32_e64 v22, null, 0, v10, s2
	s_waitcnt vmcnt(1)
	v_fmac_f32_e32 v16, v23, v19
	s_waitcnt vmcnt(0)
	v_fmac_f32_e32 v13, v24, v20
	global_load_dwordx4 v[17:20], v[21:22], off offset:-2048
	s_clause 0x3
	buffer_load_dword v23, off, s[40:43], 0 offset:344
	buffer_load_dword v24, off, s[40:43], 0 offset:348
	;; [unrolled: 1-line block ×4, first 2 shown]
	s_waitcnt vmcnt(3)
	v_fmac_f32_e32 v14, v23, v17
	v_add_co_u32 v23, s2, 0x2800, v9
	s_waitcnt vmcnt(2)
	v_fmac_f32_e32 v15, v24, v18
	v_add_co_ci_u32_e64 v24, null, 0, v10, s2
	s_waitcnt vmcnt(1)
	v_fmac_f32_e32 v16, v25, v19
	s_waitcnt vmcnt(0)
	v_fmac_f32_e32 v13, v26, v20
	global_load_dwordx4 v[17:20], v[23:24], off offset:512
	s_clause 0x3
	buffer_load_dword v25, off, s[40:43], 0 offset:360
	buffer_load_dword v26, off, s[40:43], 0 offset:364
	buffer_load_dword v27, off, s[40:43], 0 offset:368
	buffer_load_dword v28, off, s[40:43], 0 offset:372
	s_waitcnt vmcnt(3)
	v_fmac_f32_e32 v14, v25, v17
	s_waitcnt vmcnt(2)
	v_fmac_f32_e32 v15, v26, v18
	s_waitcnt vmcnt(1)
	v_fmac_f32_e32 v16, v27, v19
	s_waitcnt vmcnt(0)
	v_fmac_f32_e32 v13, v28, v20
	global_load_dwordx4 v[17:20], v[23:24], off offset:1024
	s_clause 0x3
	buffer_load_dword v25, off, s[40:43], 0 offset:376
	buffer_load_dword v26, off, s[40:43], 0 offset:380
	buffer_load_dword v27, off, s[40:43], 0 offset:384
	buffer_load_dword v28, off, s[40:43], 0 offset:388
	s_waitcnt vmcnt(3)
	v_fmac_f32_e32 v14, v25, v17
	s_waitcnt vmcnt(2)
	v_fmac_f32_e32 v15, v26, v18
	;; [unrolled: 14-line block ×3, first 2 shown]
	s_waitcnt vmcnt(1)
	v_fmac_f32_e32 v16, v25, v19
	s_waitcnt vmcnt(0)
	v_fmac_f32_e32 v13, v26, v20
	global_load_dwordx4 v[17:20], v[21:22], off
	s_clause 0x3
	buffer_load_dword v21, off, s[40:43], 0 offset:408
	buffer_load_dword v22, off, s[40:43], 0 offset:412
	;; [unrolled: 1-line block ×4, first 2 shown]
	s_waitcnt vmcnt(3)
	v_fmac_f32_e32 v14, v21, v17
	v_add_co_u32 v21, s2, 0x3000, v9
	s_waitcnt vmcnt(2)
	v_fmac_f32_e32 v15, v22, v18
	v_add_co_ci_u32_e64 v22, null, 0, v10, s2
	s_waitcnt vmcnt(1)
	v_fmac_f32_e32 v16, v23, v19
	s_waitcnt vmcnt(0)
	v_fmac_f32_e32 v13, v24, v20
	global_load_dwordx4 v[17:20], v[21:22], off offset:512
	s_clause 0x3
	buffer_load_dword v23, off, s[40:43], 0 offset:424
	buffer_load_dword v24, off, s[40:43], 0 offset:428
	buffer_load_dword v25, off, s[40:43], 0 offset:432
	buffer_load_dword v26, off, s[40:43], 0 offset:436
	s_waitcnt vmcnt(3)
	v_fmac_f32_e32 v14, v23, v17
	s_waitcnt vmcnt(2)
	v_fmac_f32_e32 v15, v24, v18
	;; [unrolled: 2-line block ×4, first 2 shown]
	global_load_dwordx4 v[17:20], v[21:22], off offset:1024
	s_clause 0x3
	buffer_load_dword v23, off, s[40:43], 0 offset:440
	buffer_load_dword v24, off, s[40:43], 0 offset:444
	;; [unrolled: 1-line block ×4, first 2 shown]
	s_waitcnt vmcnt(3)
	v_fmac_f32_e32 v14, v23, v17
	s_waitcnt vmcnt(2)
	v_fmac_f32_e32 v15, v24, v18
	s_waitcnt vmcnt(1)
	v_fmac_f32_e32 v16, v25, v19
	s_waitcnt vmcnt(0)
	v_fmac_f32_e32 v13, v26, v20
	global_load_dwordx4 v[17:20], v[21:22], off offset:1536
	s_clause 0x3
	buffer_load_dword v21, off, s[40:43], 0 offset:456
	buffer_load_dword v22, off, s[40:43], 0 offset:460
	;; [unrolled: 1-line block ×4, first 2 shown]
	s_waitcnt vmcnt(3)
	v_fmac_f32_e32 v14, v21, v17
	v_add_co_u32 v21, s2, v9, 0x4000
	s_waitcnt vmcnt(2)
	v_fmac_f32_e32 v15, v22, v18
	v_add_co_ci_u32_e64 v22, null, 0, v10, s2
	s_waitcnt vmcnt(1)
	v_fmac_f32_e32 v16, v23, v19
	s_waitcnt vmcnt(0)
	v_fmac_f32_e32 v13, v24, v20
	global_load_dwordx4 v[17:20], v[21:22], off offset:-2048
	s_clause 0x3
	buffer_load_dword v23, off, s[40:43], 0 offset:472
	buffer_load_dword v24, off, s[40:43], 0 offset:476
	;; [unrolled: 1-line block ×4, first 2 shown]
	s_waitcnt vmcnt(3)
	v_fmac_f32_e32 v14, v23, v17
	v_add_co_u32 v23, s2, 0x3800, v9
	s_waitcnt vmcnt(2)
	v_fmac_f32_e32 v15, v24, v18
	v_add_co_ci_u32_e64 v24, null, 0, v10, s2
	s_waitcnt vmcnt(1)
	v_fmac_f32_e32 v16, v25, v19
	s_waitcnt vmcnt(0)
	v_fmac_f32_e32 v13, v26, v20
	global_load_dwordx4 v[17:20], v[23:24], off offset:512
	s_clause 0x3
	buffer_load_dword v25, off, s[40:43], 0 offset:488
	buffer_load_dword v26, off, s[40:43], 0 offset:492
	buffer_load_dword v27, off, s[40:43], 0 offset:496
	buffer_load_dword v28, off, s[40:43], 0 offset:500
	s_waitcnt vmcnt(3)
	v_fmac_f32_e32 v14, v25, v17
	s_waitcnt vmcnt(2)
	v_fmac_f32_e32 v15, v26, v18
	s_waitcnt vmcnt(1)
	v_fmac_f32_e32 v16, v27, v19
	s_waitcnt vmcnt(0)
	v_fmac_f32_e32 v13, v28, v20
	global_load_dwordx4 v[17:20], v[23:24], off offset:1024
	s_clause 0x3
	buffer_load_dword v25, off, s[40:43], 0 offset:504
	buffer_load_dword v26, off, s[40:43], 0 offset:508
	buffer_load_dword v27, off, s[40:43], 0 offset:512
	buffer_load_dword v28, off, s[40:43], 0 offset:516
	s_waitcnt vmcnt(3)
	v_fmac_f32_e32 v14, v25, v17
	s_waitcnt vmcnt(2)
	v_fmac_f32_e32 v15, v26, v18
	;; [unrolled: 14-line block ×3, first 2 shown]
	s_waitcnt vmcnt(1)
	v_fmac_f32_e32 v16, v25, v19
	s_waitcnt vmcnt(0)
	v_fmac_f32_e32 v13, v26, v20
	global_load_dwordx4 v[17:20], v[21:22], off
	s_clause 0x3
	buffer_load_dword v21, off, s[40:43], 0 offset:536
	buffer_load_dword v22, off, s[40:43], 0 offset:540
	;; [unrolled: 1-line block ×4, first 2 shown]
	s_waitcnt vmcnt(3)
	v_fmac_f32_e32 v14, v21, v17
	v_add_co_u32 v21, s2, 0x4000, v9
	s_waitcnt vmcnt(2)
	v_fmac_f32_e32 v15, v22, v18
	v_add_co_ci_u32_e64 v22, null, 0, v10, s2
	s_waitcnt vmcnt(1)
	v_fmac_f32_e32 v16, v23, v19
	s_waitcnt vmcnt(0)
	v_fmac_f32_e32 v13, v24, v20
	global_load_dwordx4 v[17:20], v[21:22], off offset:512
	s_clause 0x3
	buffer_load_dword v23, off, s[40:43], 0 offset:552
	buffer_load_dword v24, off, s[40:43], 0 offset:556
	;; [unrolled: 1-line block ×4, first 2 shown]
	s_waitcnt vmcnt(3)
	v_fmac_f32_e32 v14, v23, v17
	s_waitcnt vmcnt(2)
	v_fmac_f32_e32 v15, v24, v18
	;; [unrolled: 2-line block ×4, first 2 shown]
	global_load_dwordx4 v[17:20], v[21:22], off offset:1024
	s_clause 0x3
	buffer_load_dword v23, off, s[40:43], 0 offset:568
	buffer_load_dword v24, off, s[40:43], 0 offset:572
	;; [unrolled: 1-line block ×4, first 2 shown]
	s_waitcnt vmcnt(3)
	v_fmac_f32_e32 v14, v23, v17
	s_waitcnt vmcnt(2)
	v_fmac_f32_e32 v15, v24, v18
	;; [unrolled: 2-line block ×4, first 2 shown]
	global_load_dwordx4 v[17:20], v[21:22], off offset:1536
	s_clause 0x3
	buffer_load_dword v21, off, s[40:43], 0 offset:584
	buffer_load_dword v22, off, s[40:43], 0 offset:588
	;; [unrolled: 1-line block ×4, first 2 shown]
	s_waitcnt vmcnt(3)
	v_fmac_f32_e32 v14, v21, v17
	v_add_co_u32 v21, s2, v9, 0x5000
	s_waitcnt vmcnt(2)
	v_fmac_f32_e32 v15, v22, v18
	v_add_co_ci_u32_e64 v22, null, 0, v10, s2
	s_waitcnt vmcnt(1)
	v_fmac_f32_e32 v16, v23, v19
	s_waitcnt vmcnt(0)
	v_fmac_f32_e32 v13, v24, v20
	global_load_dwordx4 v[17:20], v[21:22], off offset:-2048
	s_clause 0x3
	buffer_load_dword v23, off, s[40:43], 0 offset:600
	buffer_load_dword v24, off, s[40:43], 0 offset:604
	buffer_load_dword v25, off, s[40:43], 0 offset:608
	buffer_load_dword v26, off, s[40:43], 0 offset:612
	s_waitcnt vmcnt(3)
	v_fmac_f32_e32 v14, v23, v17
	v_add_co_u32 v23, s2, 0x4800, v9
	s_waitcnt vmcnt(2)
	v_fmac_f32_e32 v15, v24, v18
	v_add_co_ci_u32_e64 v24, null, 0, v10, s2
	s_waitcnt vmcnt(1)
	v_fmac_f32_e32 v16, v25, v19
	s_waitcnt vmcnt(0)
	v_fmac_f32_e32 v13, v26, v20
	global_load_dwordx4 v[17:20], v[23:24], off offset:512
	s_clause 0x3
	buffer_load_dword v25, off, s[40:43], 0 offset:616
	buffer_load_dword v26, off, s[40:43], 0 offset:620
	;; [unrolled: 1-line block ×4, first 2 shown]
	s_waitcnt vmcnt(3)
	v_fmac_f32_e32 v14, v25, v17
	s_waitcnt vmcnt(2)
	v_fmac_f32_e32 v15, v26, v18
	;; [unrolled: 2-line block ×4, first 2 shown]
	global_load_dwordx4 v[17:20], v[23:24], off offset:1024
	s_waitcnt vmcnt(0) lgkmcnt(25)
	v_fmac_f32_e32 v14, v29, v17
	v_fmac_f32_e32 v15, v30, v18
	;; [unrolled: 1-line block ×4, first 2 shown]
	global_load_dwordx4 v[17:20], v[23:24], off offset:1536
	s_waitcnt vmcnt(0) lgkmcnt(24)
	v_fmac_f32_e32 v14, v33, v17
	v_fmac_f32_e32 v15, v34, v18
	;; [unrolled: 1-line block ×4, first 2 shown]
	global_load_dwordx4 v[17:20], v[21:22], off
	v_add_co_u32 v21, s2, 0x5000, v9
	v_add_co_ci_u32_e64 v22, null, 0, v10, s2
	s_waitcnt vmcnt(0) lgkmcnt(23)
	v_fmac_f32_e32 v14, v37, v17
	v_fmac_f32_e32 v15, v38, v18
	v_fmac_f32_e32 v16, v39, v19
	v_fmac_f32_e32 v13, v40, v20
	global_load_dwordx4 v[17:20], v[21:22], off offset:512
	s_waitcnt vmcnt(0) lgkmcnt(22)
	v_fmac_f32_e32 v14, v41, v17
	v_fmac_f32_e32 v15, v42, v18
	v_fmac_f32_e32 v16, v43, v19
	v_fmac_f32_e32 v13, v44, v20
	global_load_dwordx4 v[17:20], v[21:22], off offset:1024
	;; [unrolled: 6-line block ×3, first 2 shown]
	v_add_co_u32 v21, s2, v9, 0x6000
	v_add_co_ci_u32_e64 v22, null, 0, v10, s2
	v_add_co_u32 v23, s2, 0x5800, v9
	v_add_co_ci_u32_e64 v24, null, 0, v10, s2
	s_waitcnt vmcnt(0) lgkmcnt(20)
	v_fmac_f32_e32 v14, v49, v17
	v_fmac_f32_e32 v15, v50, v18
	;; [unrolled: 1-line block ×4, first 2 shown]
	global_load_dwordx4 v[17:20], v[21:22], off offset:-2048
	s_waitcnt vmcnt(0) lgkmcnt(19)
	v_fmac_f32_e32 v14, v53, v17
	v_fmac_f32_e32 v15, v54, v18
	v_fmac_f32_e32 v16, v55, v19
	v_fmac_f32_e32 v13, v56, v20
	global_load_dwordx4 v[17:20], v[23:24], off offset:512
	s_waitcnt vmcnt(0) lgkmcnt(18)
	v_fmac_f32_e32 v14, v57, v17
	v_fmac_f32_e32 v15, v58, v18
	v_fmac_f32_e32 v16, v59, v19
	v_fmac_f32_e32 v13, v60, v20
	global_load_dwordx4 v[17:20], v[23:24], off offset:1024
	;; [unrolled: 6-line block ×3, first 2 shown]
	s_waitcnt vmcnt(0) lgkmcnt(16)
	v_fmac_f32_e32 v14, v65, v17
	v_fmac_f32_e32 v15, v66, v18
	v_fmac_f32_e32 v16, v67, v19
	v_fmac_f32_e32 v13, v68, v20
	global_load_dwordx4 v[17:20], v[21:22], off
	v_add_co_u32 v21, s2, 0x6000, v9
	v_add_co_ci_u32_e64 v22, null, 0, v10, s2
	s_waitcnt vmcnt(0) lgkmcnt(15)
	v_fmac_f32_e32 v14, v69, v17
	v_fmac_f32_e32 v15, v70, v18
	v_fmac_f32_e32 v16, v71, v19
	v_fmac_f32_e32 v13, v72, v20
	global_load_dwordx4 v[17:20], v[21:22], off offset:512
	s_waitcnt vmcnt(0) lgkmcnt(14)
	v_fmac_f32_e32 v14, v73, v17
	v_fmac_f32_e32 v15, v74, v18
	v_fmac_f32_e32 v16, v75, v19
	v_fmac_f32_e32 v13, v20, v76
	global_load_dwordx4 v[17:20], v[21:22], off offset:1024
	;; [unrolled: 6-line block ×3, first 2 shown]
	v_add_co_u32 v21, s2, v9, 0x7000
	v_add_co_ci_u32_e64 v22, null, 0, v10, s2
	v_add_co_u32 v23, s2, 0x6800, v9
	v_add_co_ci_u32_e64 v24, null, 0, v10, s2
	s_waitcnt vmcnt(0) lgkmcnt(12)
	v_fmac_f32_e32 v14, v17, v81
	v_fmac_f32_e32 v15, v18, v82
	v_fmac_f32_e32 v16, v19, v83
	v_fmac_f32_e32 v13, v20, v84
	global_load_dwordx4 v[17:20], v[21:22], off offset:-2048
	s_waitcnt vmcnt(0) lgkmcnt(11)
	v_fmac_f32_e32 v14, v17, v85
	v_fmac_f32_e32 v15, v18, v86
	v_fmac_f32_e32 v16, v19, v87
	v_fmac_f32_e32 v13, v20, v88
	global_load_dwordx4 v[17:20], v[23:24], off offset:512
	s_waitcnt vmcnt(0) lgkmcnt(10)
	v_fmac_f32_e32 v14, v17, v89
	v_fmac_f32_e32 v15, v18, v90
	v_fmac_f32_e32 v16, v19, v91
	v_fmac_f32_e32 v13, v20, v92
	global_load_dwordx4 v[17:20], v[23:24], off offset:1024
	;; [unrolled: 6-line block ×3, first 2 shown]
	s_waitcnt vmcnt(0) lgkmcnt(8)
	v_fmac_f32_e32 v14, v17, v97
	v_fmac_f32_e32 v15, v18, v98
	;; [unrolled: 1-line block ×4, first 2 shown]
	global_load_dwordx4 v[17:20], v[21:22], off
	v_add_co_u32 v21, s2, 0x7000, v9
	v_add_co_ci_u32_e64 v22, null, 0, v10, s2
	v_add_co_u32 v9, s2, 0x7800, v9
	v_add_co_ci_u32_e64 v10, null, 0, v10, s2
	s_waitcnt vmcnt(0) lgkmcnt(7)
	v_fmac_f32_e32 v14, v17, v101
	v_fmac_f32_e32 v15, v18, v102
	v_fmac_f32_e32 v16, v19, v103
	v_fmac_f32_e32 v13, v20, v104
	global_load_dwordx4 v[17:20], v[21:22], off offset:512
	s_waitcnt vmcnt(0) lgkmcnt(6)
	v_fmac_f32_e32 v14, v17, v105
	v_fmac_f32_e32 v15, v18, v106
	v_fmac_f32_e32 v16, v19, v107
	v_fmac_f32_e32 v13, v20, v108
	global_load_dwordx4 v[17:20], v[21:22], off offset:1024
	;; [unrolled: 6-line block ×3, first 2 shown]
	s_waitcnt vmcnt(0) lgkmcnt(4)
	v_fmac_f32_e32 v14, v17, v113
	v_fmac_f32_e32 v15, v18, v114
	;; [unrolled: 1-line block ×4, first 2 shown]
	global_load_dwordx4 v[17:20], v[9:10], off
	s_waitcnt vmcnt(0) lgkmcnt(3)
	v_fmac_f32_e32 v14, v17, v117
	v_fmac_f32_e32 v15, v18, v118
	v_fmac_f32_e32 v16, v19, v119
	v_fmac_f32_e32 v13, v20, v120
	global_load_dwordx4 v[17:20], v[9:10], off offset:512
	s_waitcnt vmcnt(0) lgkmcnt(2)
	v_fmac_f32_e32 v14, v17, v121
	v_fmac_f32_e32 v15, v18, v122
	v_fmac_f32_e32 v16, v19, v123
	v_fmac_f32_e32 v13, v20, v124
	global_load_dwordx4 v[17:20], v[9:10], off offset:1024
	;; [unrolled: 6-line block ×3, first 2 shown]
	buffer_load_dword v10, off, s[40:43], 0 offset:872 ; 4-byte Folded Reload
	s_waitcnt vmcnt(1) lgkmcnt(0)
	v_fmac_f32_e32 v14, v17, v5
	v_fmac_f32_e32 v15, v18, v6
	s_waitcnt vmcnt(0)
	v_add_nc_u32_e32 v10, v10, v11
	v_fmac_f32_e32 v16, v19, v7
	v_fmac_f32_e32 v13, v20, v8
	v_add_f32_e32 v9, v14, v15
	buffer_load_dword v15, off, s[40:43], 0 offset:632 ; 4-byte Folded Reload
	v_cmp_gt_i32_e64 s2, s30, v10
	buffer_load_dword v10, off, s[40:43], 0 offset:636 ; 4-byte Folded Reload
	v_add_f32_e32 v9, v16, v9
	v_add_f32_e32 v9, v13, v9
	s_waitcnt vmcnt(0)
	v_add_nc_u32_e32 v10, v10, v11
	v_cvt_f32_i32_e32 v10, v10
	v_mul_f32_e32 v10, s33, v10
	v_cndmask_b32_e32 v10, 0, v10, vcc_lo
	v_fmac_f32_e32 v10, s29, v9
	v_max_f32_e32 v9, v0, v0
	v_max_f32_e32 v9, v9, v10
	v_cndmask_b32_e64 v0, v0, v9, s2
	v_cndmask_b32_e64 v9, 0, v10, s2
	ds_write_b32 v12, v9
	s_branch .LBB44_10
.LBB44_15:
	s_or_b32 exec_lo, exec_lo, s15
	buffer_load_dword v12, off, s[40:43], 0 offset:640 ; 4-byte Folded Reload
.LBB44_16:
	s_or_b32 exec_lo, exec_lo, s34
	s_waitcnt lgkmcnt(1)
	v_mbcnt_lo_u32_b32 v3, -1, 0
	v_xor_b32_e32 v1, 16, v3
	v_xor_b32_e32 v4, 8, v3
	v_cmp_gt_i32_e32 vcc_lo, 32, v1
	v_cndmask_b32_e32 v1, v3, v1, vcc_lo
	v_cmp_gt_i32_e32 vcc_lo, 32, v4
	v_lshlrev_b32_e32 v1, 2, v1
	v_cndmask_b32_e32 v4, v3, v4, vcc_lo
	ds_bpermute_b32 v2, v1, v0
	v_max_f32_e32 v0, v0, v0
	s_waitcnt lgkmcnt(0)
	v_max_f32_e32 v5, v2, v2
	v_lshlrev_b32_e32 v2, 2, v4
	v_max_f32_e32 v0, v0, v5
	v_xor_b32_e32 v5, 4, v3
	ds_bpermute_b32 v4, v2, v0
	v_cmp_gt_i32_e32 vcc_lo, 32, v5
	v_cndmask_b32_e32 v5, v3, v5, vcc_lo
	v_lshlrev_b32_e32 v5, 2, v5
	buffer_store_dword v5, off, s[40:43], 0 offset:908 ; 4-byte Folded Spill
	s_waitcnt lgkmcnt(0)
	v_max_f32_e32 v4, v4, v4
	v_max_f32_e32 v0, v0, v4
	ds_bpermute_b32 v4, v5, v0
	v_xor_b32_e32 v5, 2, v3
	v_cmp_gt_i32_e32 vcc_lo, 32, v5
	v_cndmask_b32_e32 v5, v3, v5, vcc_lo
	v_lshlrev_b32_e32 v5, 2, v5
	s_waitcnt lgkmcnt(0)
	v_max_f32_e32 v4, v4, v4
	buffer_store_dword v5, off, s[40:43], 0 offset:900 ; 4-byte Folded Spill
	v_max_f32_e32 v0, v0, v4
	ds_bpermute_b32 v4, v5, v0
	v_xor_b32_e32 v5, 1, v3
	v_cmp_gt_i32_e32 vcc_lo, 32, v5
	v_cndmask_b32_e32 v3, v3, v5, vcc_lo
	v_lshlrev_b32_e32 v3, 2, v3
	s_waitcnt lgkmcnt(0)
	v_max_f32_e32 v4, v4, v4
	buffer_store_dword v3, off, s[40:43], 0 offset:896 ; 4-byte Folded Spill
	v_max_f32_e32 v0, v0, v4
	ds_bpermute_b32 v4, v3, v0
	buffer_load_dword v3, off, s[40:43], 0 offset:872 ; 4-byte Folded Reload
	s_waitcnt vmcnt(0)
	v_cmp_eq_u32_e32 vcc_lo, 0, v3
	buffer_load_dword v3, off, s[40:43], 0 offset:904 ; 4-byte Folded Reload
	s_waitcnt vmcnt(0)
	v_lshlrev_b32_e32 v3, 2, v3
	s_and_saveexec_b32 s2, vcc_lo
	s_cbranch_execz .LBB44_18
; %bb.17:
	s_waitcnt lgkmcnt(0)
	v_max_f32_e32 v4, v4, v4
	v_max_f32_e32 v0, v0, v0
	;; [unrolled: 1-line block ×3, first 2 shown]
	ds_write_b32 v3, v0 offset:1024
.LBB44_18:
	s_or_b32 exec_lo, exec_lo, s2
	buffer_load_dword v0, off, s[40:43], 0 offset:872 ; 4-byte Folded Reload
	s_waitcnt vmcnt(0) lgkmcnt(0)
	s_waitcnt_vscnt null, 0x0
	s_barrier
	buffer_gl0_inv
	v_cmp_gt_u32_e64 s2, 4, v0
	v_mov_b32_e32 v0, 0xff7fffff
	s_and_saveexec_b32 s3, s2
; %bb.19:
	ds_read_b32 v0, v12 offset:1024
; %bb.20:
	s_or_b32 exec_lo, exec_lo, s3
	buffer_load_dword v4, off, s[40:43], 0 offset:900 ; 4-byte Folded Reload
	s_lshl_b32 s3, s16, 5
	s_min_i32 s5, s3, s30
	s_waitcnt vmcnt(0) lgkmcnt(0)
	ds_bpermute_b32 v4, v4, v0
	v_max_f32_e32 v0, v0, v0
	s_waitcnt lgkmcnt(0)
	v_max_f32_e32 v4, v4, v4
	v_max_f32_e32 v0, v0, v4
	buffer_load_dword v4, off, s[40:43], 0 offset:896 ; 4-byte Folded Reload
	s_waitcnt vmcnt(0)
	ds_bpermute_b32 v4, v4, v0
	s_waitcnt lgkmcnt(0)
	v_max_f32_e32 v4, v4, v4
	v_max_f32_e32 v0, v0, v4
	v_mov_b32_e32 v4, 0
	ds_bpermute_b32 v5, v4, v0
	buffer_load_dword v0, off, s[40:43], 0 offset:876 ; 4-byte Folded Reload
	s_waitcnt vmcnt(0)
	v_cmp_gt_i32_e64 s3, s5, v0
	v_lshl_add_u32 v0, v0, 2, 0x420
	s_and_saveexec_b32 s15, s3
	s_cbranch_execz .LBB44_24
; %bb.21:
	buffer_load_dword v7, off, s[40:43], 0 offset:876 ; 4-byte Folded Reload
	v_mov_b32_e32 v4, 0
	s_mov_b32 s29, 0
	s_waitcnt vmcnt(0)
	v_lshl_add_u32 v6, v7, 2, 0x420
	.p2align	6
.LBB44_22:                              ; =>This Inner Loop Header: Depth=1
	ds_read_b32 v8, v6
	v_add_nc_u32_e32 v7, 0x80, v7
	v_cmp_le_i32_e64 s4, s5, v7
	s_or_b32 s29, s4, s29
	s_waitcnt lgkmcnt(0)
	v_sub_f32_e32 v8, v8, v5
	v_mul_f32_e32 v8, 0x3fb8aa3b, v8
	v_exp_f32_e32 v8, v8
	ds_write_b32 v6, v8
	v_add_f32_e32 v4, v4, v8
	v_add_nc_u32_e32 v6, 0x200, v6
	s_andn2_b32 exec_lo, exec_lo, s29
	s_cbranch_execnz .LBB44_22
; %bb.23:
	s_or_b32 exec_lo, exec_lo, s29
.LBB44_24:
	s_or_b32 exec_lo, exec_lo, s15
	ds_bpermute_b32 v1, v1, v4
	s_waitcnt lgkmcnt(0)
	v_add_f32_e32 v1, v4, v1
	ds_bpermute_b32 v2, v2, v1
	s_waitcnt lgkmcnt(0)
	v_add_f32_e32 v1, v1, v2
	buffer_load_dword v2, off, s[40:43], 0 offset:908 ; 4-byte Folded Reload
	s_waitcnt vmcnt(0)
	ds_bpermute_b32 v2, v2, v1
	s_waitcnt lgkmcnt(0)
	v_add_f32_e32 v1, v1, v2
	buffer_load_dword v2, off, s[40:43], 0 offset:900 ; 4-byte Folded Reload
	s_waitcnt vmcnt(0)
	;; [unrolled: 5-line block ×3, first 2 shown]
	ds_bpermute_b32 v2, v2, v1
	s_waitcnt lgkmcnt(0)
	v_add_f32_e32 v1, v1, v2
	s_and_saveexec_b32 s4, vcc_lo
; %bb.25:
	ds_write_b32 v3, v1 offset:1040
; %bb.26:
	s_or_b32 exec_lo, exec_lo, s4
	s_waitcnt lgkmcnt(0)
	s_barrier
	buffer_gl0_inv
	s_and_saveexec_b32 s4, s2
; %bb.27:
	ds_read_b32 v1, v12 offset:1040
; %bb.28:
	s_or_b32 exec_lo, exec_lo, s4
	buffer_load_dword v2, off, s[40:43], 0 offset:900 ; 4-byte Folded Reload
	s_waitcnt vmcnt(0) lgkmcnt(0)
	ds_bpermute_b32 v2, v2, v1
	s_waitcnt lgkmcnt(0)
	v_add_f32_e32 v1, v1, v2
	buffer_load_dword v2, off, s[40:43], 0 offset:896 ; 4-byte Folded Reload
	s_waitcnt vmcnt(0)
	ds_bpermute_b32 v2, v2, v1
	s_waitcnt lgkmcnt(0)
	v_add_f32_e32 v1, v1, v2
	v_mov_b32_e32 v2, 0
	ds_bpermute_b32 v1, v2, v1
	s_and_saveexec_b32 s2, s3
	s_cbranch_execz .LBB44_31
; %bb.29:
	s_waitcnt lgkmcnt(0)
	v_add_f32_e32 v1, 0x358637bd, v1
	s_mov_b32 s3, 0
	v_div_scale_f32 v2, null, v1, v1, 1.0
	v_div_scale_f32 v5, vcc_lo, 1.0, v1, 1.0
	v_rcp_f32_e32 v3, v2
	v_fma_f32 v4, -v2, v3, 1.0
	v_fmac_f32_e32 v3, v4, v3
	v_mul_f32_e32 v4, v5, v3
	v_fma_f32 v6, -v2, v4, v5
	v_fmac_f32_e32 v4, v6, v3
	v_fma_f32 v2, -v2, v4, v5
	v_div_fmas_f32 v2, v2, v3, v4
	v_div_fixup_f32 v1, v2, v1, 1.0
	buffer_load_dword v2, off, s[40:43], 0 offset:876 ; 4-byte Folded Reload
.LBB44_30:                              ; =>This Inner Loop Header: Depth=1
	ds_read_b32 v3, v0
	s_waitcnt vmcnt(0)
	v_add_nc_u32_e32 v2, 0x80, v2
	v_cmp_le_i32_e32 vcc_lo, s5, v2
	s_or_b32 s3, vcc_lo, s3
	s_waitcnt lgkmcnt(0)
	v_mul_f32_e32 v3, v1, v3
	ds_write_b32 v0, v3
	v_add_nc_u32_e32 v0, 0x200, v0
	s_andn2_b32 exec_lo, exec_lo, s3
	s_cbranch_execnz .LBB44_30
.LBB44_31:
	s_or_b32 exec_lo, exec_lo, s2
	v_mov_b32_e32 v0, 0
	v_mov_b32_e32 v20, 0
	;; [unrolled: 1-line block ×5, first 2 shown]
	buffer_store_dword v0, off, s[40:43], 0 offset:832 ; 4-byte Folded Spill
	v_mov_b32_e32 v0, 0
	v_mov_b32_e32 v4, 0
	;; [unrolled: 1-line block ×5, first 2 shown]
	buffer_store_dword v0, off, s[40:43], 0 offset:828 ; 4-byte Folded Spill
	v_mov_b32_e32 v0, 0
	buffer_store_dword v0, off, s[40:43], 0 offset:824 ; 4-byte Folded Spill
	v_mov_b32_e32 v0, 0
	;; [unrolled: 2-line block ×54, first 2 shown]
	buffer_store_dword v0, off, s[40:43], 0 offset:552 ; 4-byte Folded Spill
	s_waitcnt lgkmcnt(0)
	s_waitcnt_vscnt null, 0x0
	s_barrier
	buffer_gl0_inv
	s_and_saveexec_b32 s2, s1
	s_cbranch_execz .LBB44_165
; %bb.32:
	buffer_load_dword v0, off, s[40:43], 0 offset:876 ; 4-byte Folded Reload
	v_mov_b32_e32 v6, 0
	v_mov_b32_e32 v2, 0
	s_lshl_b64 s[4:5], s[26:27], 2
	v_mov_b32_e32 v3, 0
	s_add_u32 s3, s22, s4
	buffer_store_dword v6, off, s[40:43], 0 offset:700 ; 4-byte Folded Spill
	buffer_load_dword v6, off, s[40:43], 0 offset:904 ; 4-byte Folded Reload
	buffer_store_dword v2, off, s[40:43], 0 offset:552 ; 4-byte Folded Spill
	v_mov_b32_e32 v2, 0
	s_addc_u32 s4, s23, s5
	s_ashr_i32 s15, s14, 31
	s_sub_i32 s5, s28, s17
	s_lshl_b64 s[14:15], s[14:15], 2
	buffer_store_dword v2, off, s[40:43], 0 offset:568 ; 4-byte Folded Spill
	v_mov_b32_e32 v2, 0
	buffer_store_dword v3, off, s[40:43], 0 offset:676 ; 4-byte Folded Spill
	v_mov_b32_e32 v3, 0
	s_add_u32 s14, s24, s14
	s_addc_u32 s15, s25, s15
	buffer_store_dword v2, off, s[40:43], 0 offset:584 ; 4-byte Folded Spill
	v_mov_b32_e32 v2, 0
	s_abs_i32 s17, s18
	buffer_store_dword v3, off, s[40:43], 0 offset:680 ; 4-byte Folded Spill
	v_cvt_f32_u32_e32 v1, s17
	v_mov_b32_e32 v3, 0
	buffer_store_dword v2, off, s[40:43], 0 offset:600 ; 4-byte Folded Spill
	v_mov_b32_e32 v2, 0
	s_sub_i32 s1, 0, s17
	v_rcp_iflag_f32_e32 v1, v1
	buffer_store_dword v3, off, s[40:43], 0 offset:684 ; 4-byte Folded Spill
	v_mov_b32_e32 v3, 0
	buffer_store_dword v2, off, s[40:43], 0 offset:616 ; 4-byte Folded Spill
	v_mov_b32_e32 v2, 0
	v_mov_b32_e32 v7, 0
	v_mov_b32_e32 v81, 0
	buffer_store_dword v3, off, s[40:43], 0 offset:688 ; 4-byte Folded Spill
	v_mov_b32_e32 v3, 0
	buffer_store_dword v2, off, s[40:43], 0 offset:632 ; 4-byte Folded Spill
	v_mov_b32_e32 v2, 0
	v_mul_f32_e32 v1, 0x4f7ffffe, v1
	v_mov_b32_e32 v9, 0
	buffer_store_dword v3, off, s[40:43], 0 offset:692 ; 4-byte Folded Spill
	v_mov_b32_e32 v3, 0
	buffer_store_dword v2, off, s[40:43], 0 offset:636 ; 4-byte Folded Spill
	v_mov_b32_e32 v2, 0
	v_cvt_u32_f32_e32 v1, v1
	v_mov_b32_e32 v10, 0
	buffer_store_dword v3, off, s[40:43], 0 offset:696 ; 4-byte Folded Spill
	v_mov_b32_e32 v17, 0
	buffer_store_dword v2, off, s[40:43], 0 offset:640 ; 4-byte Folded Spill
	v_mov_b32_e32 v2, 0
	v_mov_b32_e32 v18, 0
	;; [unrolled: 1-line block ×4, first 2 shown]
	s_add_i32 s22, s16, -1
	buffer_store_dword v2, off, s[40:43], 0 offset:644 ; 4-byte Folded Spill
	v_mov_b32_e32 v2, 0
	s_mov_b32 s18, 0
	buffer_store_dword v2, off, s[40:43], 0 offset:648 ; 4-byte Folded Spill
	v_mov_b32_e32 v2, 0
	buffer_store_dword v2, off, s[40:43], 0 offset:652 ; 4-byte Folded Spill
	v_mov_b32_e32 v2, 0
	buffer_store_dword v2, off, s[40:43], 0 offset:656 ; 4-byte Folded Spill
	v_mov_b32_e32 v2, 0
	buffer_store_dword v2, off, s[40:43], 0 offset:660 ; 4-byte Folded Spill
	v_mov_b32_e32 v2, 0
	buffer_store_dword v2, off, s[40:43], 0 offset:664 ; 4-byte Folded Spill
	v_mov_b32_e32 v2, 0
	buffer_store_dword v2, off, s[40:43], 0 offset:668 ; 4-byte Folded Spill
	v_mov_b32_e32 v2, 0
	buffer_store_dword v2, off, s[40:43], 0 offset:672 ; 4-byte Folded Spill
	v_mul_lo_u32 v2, s1, v1
	v_mul_hi_u32 v2, v1, v2
	s_waitcnt vmcnt(1)
	v_lshlrev_b32_e32 v0, 2, v0
	v_and_b32_e32 v3, 0x7c, v0
	v_or_b32_e32 v4, 0xf80, v0
	v_or_b32_e32 v5, 0x1f80, v0
	v_and_b32_e32 v0, 28, v0
	buffer_store_dword v0, off, s[40:43], 0 offset:880 ; 4-byte Folded Spill
	v_lshlrev_b32_e32 v0, 2, v3
	buffer_store_dword v0, off, s[40:43], 0 offset:884 ; 4-byte Folded Spill
	v_lshlrev_b32_e32 v0, 2, v4
	;; [unrolled: 2-line block ×3, first 2 shown]
	buffer_store_dword v0, off, s[40:43], 0 offset:892 ; 4-byte Folded Spill
	v_add_nc_u32_e32 v0, v1, v2
	buffer_store_dword v0, off, s[40:43], 0 offset:840 ; 4-byte Folded Spill
	v_mov_b32_e32 v0, 0
	buffer_store_dword v0, off, s[40:43], 0 offset:704 ; 4-byte Folded Spill
	v_mov_b32_e32 v0, 0
	;; [unrolled: 2-line block ×34, first 2 shown]
	buffer_store_dword v0, off, s[40:43], 0 offset:836 ; 4-byte Folded Spill
	s_waitcnt vmcnt(0)
	v_mov_b32_e32 v0, v6
	v_mov_b32_e32 v1, v7
	s_branch .LBB44_35
.LBB44_33:                              ;   in Loop: Header=BB44_35 Depth=1
	s_or_b32 exec_lo, exec_lo, s1
	s_waitcnt lgkmcnt(0)
	v_mul_f32_e32 v0, v5, v17
	v_mul_f32_e32 v65, v5, v65
	v_mul_f32_e32 v21, v5, v21
	v_mul_f32_e32 v25, v5, v25
	v_mul_f32_e32 v29, v5, v29
	v_fmac_f32_e32 v0, v6, v18
	v_fmac_f32_e32 v65, v6, v66
	v_fmac_f32_e32 v21, v6, v22
	v_fmac_f32_e32 v25, v6, v26
	v_fmac_f32_e32 v29, v6, v30
	v_fmac_f32_e32 v0, v7, v19
	v_fmac_f32_e32 v65, v7, v67
	v_fmac_f32_e32 v21, v7, v23
	v_fmac_f32_e32 v25, v7, v27
	v_fmac_f32_e32 v29, v7, v31
	v_fmac_f32_e32 v0, v8, v20
	v_mul_f32_e32 v20, v5, v69
	v_fmac_f32_e32 v65, v8, v68
	s_clause 0x3
	buffer_load_dword v66, off, s[40:43], 0 offset:536
	buffer_load_dword v67, off, s[40:43], 0 offset:540
	;; [unrolled: 1-line block ×4, first 2 shown]
	v_fmac_f32_e32 v21, v8, v24
	v_fmac_f32_e32 v25, v8, v28
	;; [unrolled: 1-line block ×3, first 2 shown]
	v_mul_f32_e32 v33, v5, v33
	v_mul_f32_e32 v37, v5, v37
	;; [unrolled: 1-line block ×5, first 2 shown]
	v_fmac_f32_e32 v33, v6, v34
	v_fmac_f32_e32 v37, v6, v38
	v_fmac_f32_e32 v41, v6, v42
	v_fmac_f32_e32 v45, v6, v46
	v_fmac_f32_e32 v49, v6, v50
	v_fmac_f32_e32 v33, v7, v35
	v_fmac_f32_e32 v37, v7, v39
	v_fmac_f32_e32 v41, v7, v43
	v_fmac_f32_e32 v45, v7, v47
	v_fmac_f32_e32 v49, v7, v51
	v_fmac_f32_e32 v33, v8, v36
	v_fmac_f32_e32 v37, v8, v40
	v_fmac_f32_e32 v41, v8, v44
	v_fmac_f32_e32 v45, v8, v48
	v_fmac_f32_e32 v49, v8, v52
	v_mul_f32_e32 v13, v5, v13
	v_mul_f32_e32 v9, v5, v9
	;; [unrolled: 1-line block ×5, first 2 shown]
	v_fmac_f32_e32 v13, v6, v14
	v_fmac_f32_e32 v9, v6, v10
	;; [unrolled: 1-line block ×3, first 2 shown]
	v_mul_f32_e32 v2, v5, v121
	v_mul_f32_e32 v10, v5, v109
	v_fmac_f32_e32 v13, v7, v15
	v_fmac_f32_e32 v9, v7, v11
	;; [unrolled: 1-line block ×4, first 2 shown]
	v_mul_f32_e32 v3, v5, v117
	v_fmac_f32_e32 v13, v8, v16
	v_fmac_f32_e32 v9, v8, v12
	;; [unrolled: 1-line block ×5, first 2 shown]
	v_mul_f32_e32 v4, v5, v113
	v_fmac_f32_e32 v10, v6, v110
	v_mul_f32_e32 v11, v5, v105
	v_fmac_f32_e32 v2, v8, v124
	v_fmac_f32_e32 v3, v7, v119
	;; [unrolled: 1-line block ×5, first 2 shown]
	v_mul_f32_e32 v12, v5, v101
	v_fmac_f32_e32 v3, v8, v120
	v_fmac_f32_e32 v4, v7, v115
	;; [unrolled: 1-line block ×5, first 2 shown]
	v_mul_f32_e32 v14, v5, v97
	v_fmac_f32_e32 v4, v8, v116
	v_mul_f32_e32 v15, v5, v93
	v_fmac_f32_e32 v11, v8, v108
	v_fmac_f32_e32 v12, v7, v103
	;; [unrolled: 1-line block ×3, first 2 shown]
	v_mul_f32_e32 v16, v5, v89
	v_fmac_f32_e32 v15, v6, v94
	v_fmac_f32_e32 v17, v6, v86
	;; [unrolled: 1-line block ×13, first 2 shown]
	v_mul_f32_e32 v19, v5, v73
	v_fmac_f32_e32 v16, v8, v92
	v_fmac_f32_e32 v20, v6, v70
	v_mul_f32_e32 v61, v5, v61
	v_fmac_f32_e32 v18, v8, v80
	v_fmac_f32_e32 v19, v6, v74
	;; [unrolled: 3-line block ×4, first 2 shown]
	v_fmac_f32_e32 v20, v8, v72
	v_fmac_f32_e32 v61, v7, v63
	;; [unrolled: 1-line block ×9, first 2 shown]
	s_waitcnt vmcnt(3)
	v_mul_f32_e32 v22, v5, v66
	s_waitcnt vmcnt(2)
	v_fmac_f32_e32 v22, v6, v67
	s_waitcnt vmcnt(1)
	v_fmac_f32_e32 v22, v7, v68
	s_waitcnt vmcnt(0)
	v_fmac_f32_e32 v22, v8, v69
	s_clause 0x3
	buffer_load_dword v66, off, s[40:43], 0 offset:520
	buffer_load_dword v67, off, s[40:43], 0 offset:524
	buffer_load_dword v68, off, s[40:43], 0 offset:528
	buffer_load_dword v69, off, s[40:43], 0 offset:532
	s_waitcnt vmcnt(3)
	v_mul_f32_e32 v23, v5, v66
	s_waitcnt vmcnt(2)
	v_fmac_f32_e32 v23, v6, v67
	s_waitcnt vmcnt(1)
	v_fmac_f32_e32 v23, v7, v68
	s_waitcnt vmcnt(0)
	v_fmac_f32_e32 v23, v8, v69
	s_clause 0x3
	buffer_load_dword v66, off, s[40:43], 0 offset:504
	buffer_load_dword v67, off, s[40:43], 0 offset:508
	buffer_load_dword v68, off, s[40:43], 0 offset:512
	buffer_load_dword v69, off, s[40:43], 0 offset:516
	;; [unrolled: 13-line block ×22, first 2 shown]
	buffer_load_dword v52, off, s[40:43], 0 offset:552
	s_waitcnt vmcnt(4)
	v_mul_f32_e32 v51, v5, v66
	s_waitcnt vmcnt(0)
	v_add_f32_e32 v52, v52, v0
	buffer_load_dword v0, off, s[40:43], 0 offset:568 ; 4-byte Folded Reload
	v_fmac_f32_e32 v51, v6, v67
	buffer_store_dword v52, off, s[40:43], 0 offset:552 ; 4-byte Folded Spill
	v_fmac_f32_e32 v51, v7, v68
	v_fmac_f32_e32 v51, v8, v69
	s_waitcnt vmcnt(0)
	v_add_f32_e32 v0, v0, v13
	buffer_store_dword v0, off, s[40:43], 0 offset:568 ; 4-byte Folded Spill
	buffer_load_dword v0, off, s[40:43], 0 offset:848 ; 4-byte Folded Reload
	s_waitcnt vmcnt(0)
	v_add_f32_e32 v9, v0, v9
	buffer_load_dword v0, off, s[40:43], 0 offset:584 ; 4-byte Folded Reload
	s_waitcnt vmcnt(0)
	v_add_f32_e32 v0, v0, v1
	buffer_store_dword v0, off, s[40:43], 0 offset:584 ; 4-byte Folded Spill
	buffer_load_dword v0, off, s[40:43], 0 offset:600 ; 4-byte Folded Reload
	s_waitcnt vmcnt(0)
	v_add_f32_e32 v0, v0, v2
	buffer_store_dword v0, off, s[40:43], 0 offset:600 ; 4-byte Folded Spill
	;; [unrolled: 4-line block ×4, first 2 shown]
	buffer_load_dword v0, off, s[40:43], 0 offset:852 ; 4-byte Folded Reload
	s_waitcnt vmcnt(0)
	v_add_f32_e32 v10, v0, v10
	buffer_load_dword v0, off, s[40:43], 0 offset:636 ; 4-byte Folded Reload
	s_waitcnt vmcnt(0)
	v_add_f32_e32 v0, v0, v11
	buffer_store_dword v0, off, s[40:43], 0 offset:636 ; 4-byte Folded Spill
	buffer_load_dword v0, off, s[40:43], 0 offset:640 ; 4-byte Folded Reload
	s_waitcnt vmcnt(0)
	v_add_f32_e32 v0, v0, v12
	buffer_store_dword v0, off, s[40:43], 0 offset:640 ; 4-byte Folded Spill
	;; [unrolled: 4-line block ×38, first 2 shown]
	s_clause 0x7
	buffer_load_dword v11, off, s[40:43], 0 offset:168
	buffer_load_dword v12, off, s[40:43], 0 offset:172
	;; [unrolled: 1-line block ×8, first 2 shown]
	s_waitcnt vmcnt(7)
	v_mul_f32_e32 v0, v5, v11
	s_waitcnt vmcnt(3)
	v_mul_f32_e32 v1, v5, v1
	v_fmac_f32_e32 v0, v6, v12
	s_waitcnt vmcnt(2)
	v_fmac_f32_e32 v1, v6, v2
	buffer_load_dword v2, off, s[40:43], 0 offset:788 ; 4-byte Folded Reload
	v_fmac_f32_e32 v0, v7, v13
	s_waitcnt vmcnt(2)
	v_fmac_f32_e32 v1, v7, v3
	v_fmac_f32_e32 v0, v8, v14
	s_waitcnt vmcnt(1)
	v_fmac_f32_e32 v1, v8, v4
	s_waitcnt vmcnt(0)
	v_add_f32_e32 v2, v2, v44
	buffer_store_dword v2, off, s[40:43], 0 offset:788 ; 4-byte Folded Spill
	buffer_load_dword v2, off, s[40:43], 0 offset:792 ; 4-byte Folded Reload
	s_waitcnt vmcnt(0)
	v_add_f32_e32 v2, v2, v46
	buffer_store_dword v2, off, s[40:43], 0 offset:792 ; 4-byte Folded Spill
	buffer_load_dword v2, off, s[40:43], 0 offset:796 ; 4-byte Folded Reload
	;; [unrolled: 4-line block ×6, first 2 shown]
	s_waitcnt vmcnt(0)
	v_add_f32_e32 v2, v2, v0
	buffer_load_dword v0, off, s[40:43], 0 offset:816 ; 4-byte Folded Reload
	buffer_store_dword v2, off, s[40:43], 0 offset:812 ; 4-byte Folded Spill
	s_waitcnt vmcnt(0)
	v_add_f32_e32 v0, v0, v1
	buffer_store_dword v0, off, s[40:43], 0 offset:816 ; 4-byte Folded Spill
	s_clause 0x3
	buffer_load_dword v23, off, s[40:43], 0 offset:136
	buffer_load_dword v24, off, s[40:43], 0 offset:140
	;; [unrolled: 1-line block ×4, first 2 shown]
	s_waitcnt vmcnt(3)
	v_mul_f32_e32 v0, v5, v23
	s_clause 0x3
	buffer_load_dword v20, off, s[40:43], 0 offset:120
	buffer_load_dword v21, off, s[40:43], 0 offset:124
	buffer_load_dword v22, off, s[40:43], 0 offset:128
	buffer_load_dword v23, off, s[40:43], 0 offset:132
	s_waitcnt vmcnt(6)
	v_fmac_f32_e32 v0, v6, v24
	s_waitcnt vmcnt(5)
	v_fmac_f32_e32 v0, v7, v25
	s_waitcnt vmcnt(4)
	v_fmac_f32_e32 v0, v8, v26
	s_waitcnt vmcnt(3)
	v_mul_f32_e32 v1, v5, v20
	s_clause 0x3
	buffer_load_dword v17, off, s[40:43], 0 offset:104
	buffer_load_dword v18, off, s[40:43], 0 offset:108
	buffer_load_dword v19, off, s[40:43], 0 offset:112
	buffer_load_dword v20, off, s[40:43], 0 offset:116
	s_waitcnt vmcnt(6)
	v_fmac_f32_e32 v1, v6, v21
	s_waitcnt vmcnt(5)
	v_fmac_f32_e32 v1, v7, v22
	s_waitcnt vmcnt(4)
	v_fmac_f32_e32 v1, v8, v23
	;; [unrolled: 13-line block ×4, first 2 shown]
	s_waitcnt vmcnt(3)
	v_mul_f32_e32 v4, v5, v11
	buffer_load_dword v11, off, s[40:43], 0 offset:820 ; 4-byte Folded Reload
	s_waitcnt vmcnt(3)
	v_fmac_f32_e32 v4, v6, v12
	s_waitcnt vmcnt(2)
	v_fmac_f32_e32 v4, v7, v13
	;; [unrolled: 2-line block ×3, first 2 shown]
	s_waitcnt vmcnt(0)
	v_add_f32_e32 v11, v11, v0
	buffer_load_dword v0, off, s[40:43], 0 offset:824 ; 4-byte Folded Reload
	buffer_store_dword v11, off, s[40:43], 0 offset:820 ; 4-byte Folded Spill
	s_waitcnt vmcnt(0)
	v_add_f32_e32 v0, v0, v1
	buffer_store_dword v0, off, s[40:43], 0 offset:824 ; 4-byte Folded Spill
	buffer_load_dword v0, off, s[40:43], 0 offset:828 ; 4-byte Folded Reload
	s_waitcnt vmcnt(0)
	v_add_f32_e32 v0, v0, v2
	buffer_store_dword v0, off, s[40:43], 0 offset:828 ; 4-byte Folded Spill
	buffer_load_dword v0, off, s[40:43], 0 offset:832 ; 4-byte Folded Reload
	;; [unrolled: 4-line block ×3, first 2 shown]
	s_waitcnt vmcnt(0)
	v_add_f32_e32 v0, v0, v4
	v_mul_f32_e32 v4, v5, v81
	buffer_store_dword v0, off, s[40:43], 0 offset:836 ; 4-byte Folded Spill
	s_clause 0x3
	buffer_load_dword v20, off, s[40:43], 0 offset:56
	buffer_load_dword v21, off, s[40:43], 0 offset:60
	;; [unrolled: 1-line block ×4, first 2 shown]
	v_fmac_f32_e32 v4, v6, v82
	v_fmac_f32_e32 v4, v7, v83
	;; [unrolled: 1-line block ×3, first 2 shown]
	s_waitcnt vmcnt(3)
	v_mul_f32_e32 v0, v5, v20
	s_clause 0x3
	buffer_load_dword v17, off, s[40:43], 0 offset:40
	buffer_load_dword v18, off, s[40:43], 0 offset:44
	;; [unrolled: 1-line block ×4, first 2 shown]
	s_waitcnt vmcnt(6)
	v_fmac_f32_e32 v0, v6, v21
	s_waitcnt vmcnt(5)
	v_fmac_f32_e32 v0, v7, v22
	;; [unrolled: 2-line block ×3, first 2 shown]
	s_waitcnt vmcnt(3)
	v_mul_f32_e32 v1, v5, v17
	s_clause 0x3
	buffer_load_dword v14, off, s[40:43], 0 offset:24
	buffer_load_dword v15, off, s[40:43], 0 offset:28
	;; [unrolled: 1-line block ×4, first 2 shown]
	s_waitcnt vmcnt(6)
	v_fmac_f32_e32 v1, v6, v18
	s_waitcnt vmcnt(5)
	v_fmac_f32_e32 v1, v7, v19
	;; [unrolled: 2-line block ×3, first 2 shown]
	s_waitcnt vmcnt(3)
	v_mul_f32_e32 v2, v5, v14
	s_clause 0x7
	buffer_load_dword v11, off, s[40:43], 0 offset:8
	buffer_load_dword v12, off, s[40:43], 0 offset:12
	;; [unrolled: 1-line block ×8, first 2 shown]
	s_waitcnt vmcnt(10)
	v_fmac_f32_e32 v2, v6, v15
	s_waitcnt vmcnt(9)
	v_fmac_f32_e32 v2, v7, v16
	;; [unrolled: 2-line block ×3, first 2 shown]
	buffer_load_dword v17, off, s[40:43], 0 offset:856 ; 4-byte Folded Reload
	s_waitcnt vmcnt(8)
	v_mul_f32_e32 v3, v5, v11
	s_waitcnt vmcnt(4)
	v_add_f32_e32 v18, v18, v1
	v_fmac_f32_e32 v3, v6, v12
	s_waitcnt vmcnt(3)
	v_add_f32_e32 v19, v19, v2
	s_waitcnt vmcnt(1)
	v_add_f32_e32 v81, v81, v4
	v_fmac_f32_e32 v3, v7, v13
	v_fmac_f32_e32 v3, v8, v14
	s_waitcnt vmcnt(0)
	v_add_f32_e32 v17, v17, v0
	v_add_f32_e32 v20, v20, v3
.LBB44_34:                              ;   in Loop: Header=BB44_35 Depth=1
	s_or_b32 exec_lo, exec_lo, s23
	s_clause 0x1
	buffer_load_dword v0, off, s[40:43], 0
	buffer_load_dword v1, off, s[40:43], 0 offset:4
	s_waitcnt vmcnt(1)
	v_add_nc_u32_e32 v0, 4, v0
	v_cmp_le_i32_e32 vcc_lo, s16, v0
	s_or_b32 s18, vcc_lo, s18
	s_andn2_b32 exec_lo, exec_lo, s18
	s_cbranch_execz .LBB44_164
.LBB44_35:                              ; =>This Inner Loop Header: Depth=1
	buffer_store_dword v0, off, s[40:43], 0 ; 4-byte Folded Spill
	s_waitcnt vmcnt(0)
	buffer_store_dword v1, off, s[40:43], 0 offset:4 ; 4-byte Folded Spill
	v_lshlrev_b32_e32 v0, 5, v0
	v_mul_hi_u32 v1, v0, s21
	v_mul_lo_u32 v2, v1, s12
	v_add_nc_u32_e32 v3, 1, v1
	v_sub_nc_u32_e32 v2, v0, v2
	v_subrev_nc_u32_e32 v4, s12, v2
	v_cmp_le_u32_e32 vcc_lo, s12, v2
	v_cndmask_b32_e32 v2, v2, v4, vcc_lo
	buffer_load_dword v4, off, s[40:43], 0 offset:840 ; 4-byte Folded Reload
	v_cndmask_b32_e32 v1, v1, v3, vcc_lo
	v_cmp_le_u32_e32 vcc_lo, s12, v2
	v_add_nc_u32_e32 v3, 1, v1
	v_cndmask_b32_e32 v1, v1, v3, vcc_lo
	v_xor_b32_e32 v1, s19, v1
	v_subrev_nc_u32_e32 v1, s19, v1
	v_add_nc_u32_e32 v2, s31, v1
	v_cmp_lt_i32_e64 s1, s5, v1
	v_sub_nc_u32_e32 v3, 0, v2
	v_max_i32_e32 v3, v2, v3
	v_ashrrev_i32_e32 v2, 31, v2
	s_waitcnt vmcnt(0)
	v_mul_hi_u32 v4, v3, v4
	v_mul_lo_u32 v4, v4, s17
	v_sub_nc_u32_e32 v3, v3, v4
	v_subrev_nc_u32_e32 v4, s17, v3
	v_cmp_le_u32_e32 vcc_lo, s17, v3
	v_cndmask_b32_e32 v3, v3, v4, vcc_lo
	v_subrev_nc_u32_e32 v4, s17, v3
	v_cmp_le_u32_e32 vcc_lo, s17, v3
	v_cndmask_b32_e32 v3, v3, v4, vcc_lo
	v_xor_b32_e32 v3, v3, v2
	v_sub_nc_u32_e32 v2, v3, v2
	v_cmp_eq_u32_e32 vcc_lo, 0, v2
	s_or_b32 s1, vcc_lo, s1
	s_and_saveexec_b32 s23, s1
	s_cbranch_execz .LBB44_34
; %bb.36:                               ;   in Loop: Header=BB44_35 Depth=1
	buffer_store_dword v20, off, s[40:43], 0 offset:868 ; 4-byte Folded Spill
	buffer_store_dword v19, off, s[40:43], 0 offset:864 ; 4-byte Folded Spill
	;; [unrolled: 1-line block ×7, first 2 shown]
	s_clause 0x1
	buffer_load_dword v3, off, s[40:43], 0
	buffer_load_dword v4, off, s[40:43], 0 offset:4
	s_waitcnt vmcnt(0)
	v_lshlrev_b64 v[1:2], 2, v[3:4]
	v_add_co_u32 v1, vcc_lo, s3, v1
	v_add_co_ci_u32_e64 v2, null, s4, v2, vcc_lo
	global_load_dword v1, v[1:2], off
	s_waitcnt vmcnt(0)
	v_mad_i64_i32 v[1:2], null, v1, s13, 0
	v_lshlrev_b64 v[1:2], 2, v[1:2]
	v_add_co_u32 v81, vcc_lo, s14, v1
	buffer_load_dword v1, off, s[40:43], 0 offset:884 ; 4-byte Folded Reload
	v_add_co_ci_u32_e64 v82, null, s15, v2, vcc_lo
	s_waitcnt vmcnt(0)
	v_add_co_u32 v9, vcc_lo, v81, v1
	v_add_co_ci_u32_e64 v10, null, 0, v82, vcc_lo
	v_cmp_eq_u32_e32 vcc_lo, s22, v3
	global_load_dwordx4 v[4:7], v[9:10], off
	s_waitcnt vmcnt(0)
	buffer_store_dword v4, off, s[40:43], 0 offset:8 ; 4-byte Folded Spill
	buffer_store_dword v5, off, s[40:43], 0 offset:12 ; 4-byte Folded Spill
	buffer_store_dword v6, off, s[40:43], 0 offset:16 ; 4-byte Folded Spill
	buffer_store_dword v7, off, s[40:43], 0 offset:20 ; 4-byte Folded Spill
	buffer_load_dword v1, off, s[40:43], 0 offset:880 ; 4-byte Folded Reload
	s_waitcnt vmcnt(0)
	v_or_b32_e32 v0, v0, v1
	v_lshl_add_u32 v1, v0, 2, 0x420
	v_or_b32_e32 v126, 1, v0
	v_or_b32_e32 v125, 2, v0
	;; [unrolled: 1-line block ×3, first 2 shown]
	ds_read_b128 v[5:8], v1
	s_and_saveexec_b32 s24, vcc_lo
	s_cbranch_execz .LBB44_38
; %bb.37:                               ;   in Loop: Header=BB44_35 Depth=1
	s_clause 0x3
	buffer_load_dword v1, off, s[40:43], 0 offset:8
	buffer_load_dword v2, off, s[40:43], 0 offset:12
	buffer_load_dword v3, off, s[40:43], 0 offset:16
	buffer_load_dword v4, off, s[40:43], 0 offset:20
	v_cmp_gt_i32_e64 s1, s30, v0
	s_waitcnt vmcnt(3)
	v_cndmask_b32_e64 v1, 0, v1, s1
	v_cmp_gt_i32_e64 s1, s30, v126
	s_waitcnt vmcnt(2)
	v_cndmask_b32_e64 v2, 0, v2, s1
	v_cmp_gt_i32_e64 s1, s30, v125
	s_waitcnt vmcnt(1)
	v_cndmask_b32_e64 v3, 0, v3, s1
	v_cmp_gt_i32_e64 s1, s30, v127
	s_waitcnt vmcnt(0)
	v_cndmask_b32_e64 v4, 0, v4, s1
	buffer_store_dword v1, off, s[40:43], 0 offset:8 ; 4-byte Folded Spill
	buffer_store_dword v2, off, s[40:43], 0 offset:12 ; 4-byte Folded Spill
	buffer_store_dword v3, off, s[40:43], 0 offset:16 ; 4-byte Folded Spill
	buffer_store_dword v4, off, s[40:43], 0 offset:20 ; 4-byte Folded Spill
.LBB44_38:                              ;   in Loop: Header=BB44_35 Depth=1
	s_or_b32 exec_lo, exec_lo, s24
	global_load_dwordx4 v[1:4], v[9:10], off offset:512
	s_waitcnt vmcnt(0)
	buffer_store_dword v1, off, s[40:43], 0 offset:24 ; 4-byte Folded Spill
	buffer_store_dword v2, off, s[40:43], 0 offset:28 ; 4-byte Folded Spill
	buffer_store_dword v3, off, s[40:43], 0 offset:32 ; 4-byte Folded Spill
	buffer_store_dword v4, off, s[40:43], 0 offset:36 ; 4-byte Folded Spill
	s_and_saveexec_b32 s24, vcc_lo
	s_cbranch_execz .LBB44_40
; %bb.39:                               ;   in Loop: Header=BB44_35 Depth=1
	s_clause 0x3
	buffer_load_dword v1, off, s[40:43], 0 offset:24
	buffer_load_dword v2, off, s[40:43], 0 offset:28
	buffer_load_dword v3, off, s[40:43], 0 offset:32
	buffer_load_dword v4, off, s[40:43], 0 offset:36
	v_cmp_gt_i32_e64 s1, s30, v0
	s_waitcnt vmcnt(3)
	v_cndmask_b32_e64 v1, 0, v1, s1
	v_cmp_gt_i32_e64 s1, s30, v126
	s_waitcnt vmcnt(2)
	v_cndmask_b32_e64 v2, 0, v2, s1
	v_cmp_gt_i32_e64 s1, s30, v125
	s_waitcnt vmcnt(1)
	v_cndmask_b32_e64 v3, 0, v3, s1
	v_cmp_gt_i32_e64 s1, s30, v127
	s_waitcnt vmcnt(0)
	v_cndmask_b32_e64 v4, 0, v4, s1
	buffer_store_dword v1, off, s[40:43], 0 offset:24 ; 4-byte Folded Spill
	buffer_store_dword v2, off, s[40:43], 0 offset:28 ; 4-byte Folded Spill
	buffer_store_dword v3, off, s[40:43], 0 offset:32 ; 4-byte Folded Spill
	buffer_store_dword v4, off, s[40:43], 0 offset:36 ; 4-byte Folded Spill
.LBB44_40:                              ;   in Loop: Header=BB44_35 Depth=1
	s_or_b32 exec_lo, exec_lo, s24
	global_load_dwordx4 v[1:4], v[9:10], off offset:1024
	s_waitcnt vmcnt(0)
	buffer_store_dword v1, off, s[40:43], 0 offset:40 ; 4-byte Folded Spill
	buffer_store_dword v2, off, s[40:43], 0 offset:44 ; 4-byte Folded Spill
	buffer_store_dword v3, off, s[40:43], 0 offset:48 ; 4-byte Folded Spill
	buffer_store_dword v4, off, s[40:43], 0 offset:52 ; 4-byte Folded Spill
	;; [unrolled: 32-line block ×3, first 2 shown]
	s_and_saveexec_b32 s24, vcc_lo
	s_cbranch_execz .LBB44_44
; %bb.43:                               ;   in Loop: Header=BB44_35 Depth=1
	s_clause 0x3
	buffer_load_dword v1, off, s[40:43], 0 offset:56
	buffer_load_dword v2, off, s[40:43], 0 offset:60
	;; [unrolled: 1-line block ×4, first 2 shown]
	v_cmp_gt_i32_e64 s1, s30, v0
	s_waitcnt vmcnt(3)
	v_cndmask_b32_e64 v1, 0, v1, s1
	v_cmp_gt_i32_e64 s1, s30, v126
	s_waitcnt vmcnt(2)
	v_cndmask_b32_e64 v2, 0, v2, s1
	;; [unrolled: 3-line block ×4, first 2 shown]
	buffer_store_dword v1, off, s[40:43], 0 offset:56 ; 4-byte Folded Spill
	buffer_store_dword v2, off, s[40:43], 0 offset:60 ; 4-byte Folded Spill
	;; [unrolled: 1-line block ×4, first 2 shown]
.LBB44_44:                              ;   in Loop: Header=BB44_35 Depth=1
	s_or_b32 exec_lo, exec_lo, s24
	v_add_co_u32 v1, s1, 0x800, v9
	v_add_co_ci_u32_e64 v2, null, 0, v10, s1
	global_load_dwordx4 v[11:14], v[1:2], off
	s_waitcnt vmcnt(0)
	buffer_store_dword v11, off, s[40:43], 0 offset:72 ; 4-byte Folded Spill
	buffer_store_dword v12, off, s[40:43], 0 offset:76 ; 4-byte Folded Spill
	buffer_store_dword v13, off, s[40:43], 0 offset:80 ; 4-byte Folded Spill
	buffer_store_dword v14, off, s[40:43], 0 offset:84 ; 4-byte Folded Spill
	s_and_saveexec_b32 s24, vcc_lo
	s_cbranch_execz .LBB44_46
; %bb.45:                               ;   in Loop: Header=BB44_35 Depth=1
	s_clause 0x3
	buffer_load_dword v11, off, s[40:43], 0 offset:72
	buffer_load_dword v12, off, s[40:43], 0 offset:76
	buffer_load_dword v13, off, s[40:43], 0 offset:80
	buffer_load_dword v14, off, s[40:43], 0 offset:84
	v_cmp_gt_i32_e64 s1, s30, v0
	s_waitcnt vmcnt(3)
	v_cndmask_b32_e64 v11, 0, v11, s1
	v_cmp_gt_i32_e64 s1, s30, v126
	s_waitcnt vmcnt(2)
	v_cndmask_b32_e64 v12, 0, v12, s1
	v_cmp_gt_i32_e64 s1, s30, v125
	s_waitcnt vmcnt(1)
	v_cndmask_b32_e64 v13, 0, v13, s1
	v_cmp_gt_i32_e64 s1, s30, v127
	s_waitcnt vmcnt(0)
	v_cndmask_b32_e64 v14, 0, v14, s1
	buffer_store_dword v11, off, s[40:43], 0 offset:72 ; 4-byte Folded Spill
	buffer_store_dword v12, off, s[40:43], 0 offset:76 ; 4-byte Folded Spill
	buffer_store_dword v13, off, s[40:43], 0 offset:80 ; 4-byte Folded Spill
	buffer_store_dword v14, off, s[40:43], 0 offset:84 ; 4-byte Folded Spill
.LBB44_46:                              ;   in Loop: Header=BB44_35 Depth=1
	s_or_b32 exec_lo, exec_lo, s24
	global_load_dwordx4 v[11:14], v[1:2], off offset:512
	s_waitcnt vmcnt(0)
	buffer_store_dword v11, off, s[40:43], 0 offset:88 ; 4-byte Folded Spill
	buffer_store_dword v12, off, s[40:43], 0 offset:92 ; 4-byte Folded Spill
	buffer_store_dword v13, off, s[40:43], 0 offset:96 ; 4-byte Folded Spill
	buffer_store_dword v14, off, s[40:43], 0 offset:100 ; 4-byte Folded Spill
	s_and_saveexec_b32 s24, vcc_lo
	s_cbranch_execz .LBB44_48
; %bb.47:                               ;   in Loop: Header=BB44_35 Depth=1
	s_clause 0x3
	buffer_load_dword v11, off, s[40:43], 0 offset:88
	buffer_load_dword v12, off, s[40:43], 0 offset:92
	buffer_load_dword v13, off, s[40:43], 0 offset:96
	buffer_load_dword v14, off, s[40:43], 0 offset:100
	v_cmp_gt_i32_e64 s1, s30, v0
	s_waitcnt vmcnt(3)
	v_cndmask_b32_e64 v11, 0, v11, s1
	v_cmp_gt_i32_e64 s1, s30, v126
	s_waitcnt vmcnt(2)
	v_cndmask_b32_e64 v12, 0, v12, s1
	v_cmp_gt_i32_e64 s1, s30, v125
	s_waitcnt vmcnt(1)
	v_cndmask_b32_e64 v13, 0, v13, s1
	v_cmp_gt_i32_e64 s1, s30, v127
	s_waitcnt vmcnt(0)
	v_cndmask_b32_e64 v14, 0, v14, s1
	buffer_store_dword v11, off, s[40:43], 0 offset:88 ; 4-byte Folded Spill
	buffer_store_dword v12, off, s[40:43], 0 offset:92 ; 4-byte Folded Spill
	buffer_store_dword v13, off, s[40:43], 0 offset:96 ; 4-byte Folded Spill
	buffer_store_dword v14, off, s[40:43], 0 offset:100 ; 4-byte Folded Spill
.LBB44_48:                              ;   in Loop: Header=BB44_35 Depth=1
	s_or_b32 exec_lo, exec_lo, s24
	global_load_dwordx4 v[11:14], v[1:2], off offset:1024
	;; [unrolled: 32-line block ×3, first 2 shown]
	s_waitcnt vmcnt(0)
	buffer_store_dword v1, off, s[40:43], 0 offset:120 ; 4-byte Folded Spill
	buffer_store_dword v2, off, s[40:43], 0 offset:124 ; 4-byte Folded Spill
	;; [unrolled: 1-line block ×4, first 2 shown]
	s_and_saveexec_b32 s24, vcc_lo
	s_cbranch_execz .LBB44_52
; %bb.51:                               ;   in Loop: Header=BB44_35 Depth=1
	s_clause 0x3
	buffer_load_dword v1, off, s[40:43], 0 offset:120
	buffer_load_dword v2, off, s[40:43], 0 offset:124
	;; [unrolled: 1-line block ×4, first 2 shown]
	v_cmp_gt_i32_e64 s1, s30, v0
	s_waitcnt vmcnt(3)
	v_cndmask_b32_e64 v1, 0, v1, s1
	v_cmp_gt_i32_e64 s1, s30, v126
	s_waitcnt vmcnt(2)
	v_cndmask_b32_e64 v2, 0, v2, s1
	;; [unrolled: 3-line block ×4, first 2 shown]
	buffer_store_dword v1, off, s[40:43], 0 offset:120 ; 4-byte Folded Spill
	buffer_store_dword v2, off, s[40:43], 0 offset:124 ; 4-byte Folded Spill
	;; [unrolled: 1-line block ×4, first 2 shown]
.LBB44_52:                              ;   in Loop: Header=BB44_35 Depth=1
	s_or_b32 exec_lo, exec_lo, s24
	v_add_co_u32 v1, s1, 0x1000, v9
	v_add_co_ci_u32_e64 v2, null, 0, v10, s1
	global_load_dwordx4 v[11:14], v[1:2], off
	s_waitcnt vmcnt(0)
	buffer_store_dword v11, off, s[40:43], 0 offset:136 ; 4-byte Folded Spill
	buffer_store_dword v12, off, s[40:43], 0 offset:140 ; 4-byte Folded Spill
	buffer_store_dword v13, off, s[40:43], 0 offset:144 ; 4-byte Folded Spill
	buffer_store_dword v14, off, s[40:43], 0 offset:148 ; 4-byte Folded Spill
	s_and_saveexec_b32 s24, vcc_lo
	s_cbranch_execz .LBB44_54
; %bb.53:                               ;   in Loop: Header=BB44_35 Depth=1
	s_clause 0x3
	buffer_load_dword v11, off, s[40:43], 0 offset:136
	buffer_load_dword v12, off, s[40:43], 0 offset:140
	buffer_load_dword v13, off, s[40:43], 0 offset:144
	buffer_load_dword v14, off, s[40:43], 0 offset:148
	v_cmp_gt_i32_e64 s1, s30, v0
	s_waitcnt vmcnt(3)
	v_cndmask_b32_e64 v11, 0, v11, s1
	v_cmp_gt_i32_e64 s1, s30, v126
	s_waitcnt vmcnt(2)
	v_cndmask_b32_e64 v12, 0, v12, s1
	v_cmp_gt_i32_e64 s1, s30, v125
	s_waitcnt vmcnt(1)
	v_cndmask_b32_e64 v13, 0, v13, s1
	v_cmp_gt_i32_e64 s1, s30, v127
	s_waitcnt vmcnt(0)
	v_cndmask_b32_e64 v14, 0, v14, s1
	buffer_store_dword v11, off, s[40:43], 0 offset:136 ; 4-byte Folded Spill
	buffer_store_dword v12, off, s[40:43], 0 offset:140 ; 4-byte Folded Spill
	buffer_store_dword v13, off, s[40:43], 0 offset:144 ; 4-byte Folded Spill
	buffer_store_dword v14, off, s[40:43], 0 offset:148 ; 4-byte Folded Spill
.LBB44_54:                              ;   in Loop: Header=BB44_35 Depth=1
	s_or_b32 exec_lo, exec_lo, s24
	global_load_dwordx4 v[11:14], v[1:2], off offset:512
	s_waitcnt vmcnt(0)
	buffer_store_dword v11, off, s[40:43], 0 offset:152 ; 4-byte Folded Spill
	buffer_store_dword v12, off, s[40:43], 0 offset:156 ; 4-byte Folded Spill
	buffer_store_dword v13, off, s[40:43], 0 offset:160 ; 4-byte Folded Spill
	buffer_store_dword v14, off, s[40:43], 0 offset:164 ; 4-byte Folded Spill
	s_and_saveexec_b32 s24, vcc_lo
	s_cbranch_execz .LBB44_56
; %bb.55:                               ;   in Loop: Header=BB44_35 Depth=1
	s_clause 0x3
	buffer_load_dword v11, off, s[40:43], 0 offset:152
	buffer_load_dword v12, off, s[40:43], 0 offset:156
	buffer_load_dword v13, off, s[40:43], 0 offset:160
	buffer_load_dword v14, off, s[40:43], 0 offset:164
	v_cmp_gt_i32_e64 s1, s30, v0
	s_waitcnt vmcnt(3)
	v_cndmask_b32_e64 v11, 0, v11, s1
	v_cmp_gt_i32_e64 s1, s30, v126
	s_waitcnt vmcnt(2)
	v_cndmask_b32_e64 v12, 0, v12, s1
	v_cmp_gt_i32_e64 s1, s30, v125
	s_waitcnt vmcnt(1)
	v_cndmask_b32_e64 v13, 0, v13, s1
	v_cmp_gt_i32_e64 s1, s30, v127
	s_waitcnt vmcnt(0)
	v_cndmask_b32_e64 v14, 0, v14, s1
	buffer_store_dword v11, off, s[40:43], 0 offset:152 ; 4-byte Folded Spill
	buffer_store_dword v12, off, s[40:43], 0 offset:156 ; 4-byte Folded Spill
	buffer_store_dword v13, off, s[40:43], 0 offset:160 ; 4-byte Folded Spill
	buffer_store_dword v14, off, s[40:43], 0 offset:164 ; 4-byte Folded Spill
.LBB44_56:                              ;   in Loop: Header=BB44_35 Depth=1
	s_or_b32 exec_lo, exec_lo, s24
	global_load_dwordx4 v[11:14], v[1:2], off offset:1024
	;; [unrolled: 32-line block ×3, first 2 shown]
	s_waitcnt vmcnt(0)
	buffer_store_dword v1, off, s[40:43], 0 offset:184 ; 4-byte Folded Spill
	buffer_store_dword v2, off, s[40:43], 0 offset:188 ; 4-byte Folded Spill
	;; [unrolled: 1-line block ×4, first 2 shown]
	s_and_saveexec_b32 s24, vcc_lo
	s_cbranch_execz .LBB44_60
; %bb.59:                               ;   in Loop: Header=BB44_35 Depth=1
	s_clause 0x3
	buffer_load_dword v1, off, s[40:43], 0 offset:184
	buffer_load_dword v2, off, s[40:43], 0 offset:188
	;; [unrolled: 1-line block ×4, first 2 shown]
	v_cmp_gt_i32_e64 s1, s30, v0
	s_waitcnt vmcnt(3)
	v_cndmask_b32_e64 v1, 0, v1, s1
	v_cmp_gt_i32_e64 s1, s30, v126
	s_waitcnt vmcnt(2)
	v_cndmask_b32_e64 v2, 0, v2, s1
	;; [unrolled: 3-line block ×4, first 2 shown]
	buffer_store_dword v1, off, s[40:43], 0 offset:184 ; 4-byte Folded Spill
	buffer_store_dword v2, off, s[40:43], 0 offset:188 ; 4-byte Folded Spill
	;; [unrolled: 1-line block ×4, first 2 shown]
.LBB44_60:                              ;   in Loop: Header=BB44_35 Depth=1
	s_or_b32 exec_lo, exec_lo, s24
	v_add_co_u32 v1, s1, 0x1800, v9
	v_add_co_ci_u32_e64 v2, null, 0, v10, s1
	global_load_dwordx4 v[11:14], v[1:2], off
	s_waitcnt vmcnt(0)
	buffer_store_dword v11, off, s[40:43], 0 offset:200 ; 4-byte Folded Spill
	buffer_store_dword v12, off, s[40:43], 0 offset:204 ; 4-byte Folded Spill
	buffer_store_dword v13, off, s[40:43], 0 offset:208 ; 4-byte Folded Spill
	buffer_store_dword v14, off, s[40:43], 0 offset:212 ; 4-byte Folded Spill
	s_and_saveexec_b32 s24, vcc_lo
	s_cbranch_execz .LBB44_62
; %bb.61:                               ;   in Loop: Header=BB44_35 Depth=1
	s_clause 0x3
	buffer_load_dword v11, off, s[40:43], 0 offset:200
	buffer_load_dword v12, off, s[40:43], 0 offset:204
	buffer_load_dword v13, off, s[40:43], 0 offset:208
	buffer_load_dword v14, off, s[40:43], 0 offset:212
	v_cmp_gt_i32_e64 s1, s30, v0
	s_waitcnt vmcnt(3)
	v_cndmask_b32_e64 v11, 0, v11, s1
	v_cmp_gt_i32_e64 s1, s30, v126
	s_waitcnt vmcnt(2)
	v_cndmask_b32_e64 v12, 0, v12, s1
	v_cmp_gt_i32_e64 s1, s30, v125
	s_waitcnt vmcnt(1)
	v_cndmask_b32_e64 v13, 0, v13, s1
	v_cmp_gt_i32_e64 s1, s30, v127
	s_waitcnt vmcnt(0)
	v_cndmask_b32_e64 v14, 0, v14, s1
	buffer_store_dword v11, off, s[40:43], 0 offset:200 ; 4-byte Folded Spill
	buffer_store_dword v12, off, s[40:43], 0 offset:204 ; 4-byte Folded Spill
	buffer_store_dword v13, off, s[40:43], 0 offset:208 ; 4-byte Folded Spill
	buffer_store_dword v14, off, s[40:43], 0 offset:212 ; 4-byte Folded Spill
.LBB44_62:                              ;   in Loop: Header=BB44_35 Depth=1
	s_or_b32 exec_lo, exec_lo, s24
	global_load_dwordx4 v[11:14], v[1:2], off offset:512
	s_waitcnt vmcnt(0)
	buffer_store_dword v11, off, s[40:43], 0 offset:216 ; 4-byte Folded Spill
	buffer_store_dword v12, off, s[40:43], 0 offset:220 ; 4-byte Folded Spill
	buffer_store_dword v13, off, s[40:43], 0 offset:224 ; 4-byte Folded Spill
	buffer_store_dword v14, off, s[40:43], 0 offset:228 ; 4-byte Folded Spill
	s_and_saveexec_b32 s24, vcc_lo
	s_cbranch_execz .LBB44_64
; %bb.63:                               ;   in Loop: Header=BB44_35 Depth=1
	s_clause 0x3
	buffer_load_dword v11, off, s[40:43], 0 offset:216
	buffer_load_dword v12, off, s[40:43], 0 offset:220
	buffer_load_dword v13, off, s[40:43], 0 offset:224
	buffer_load_dword v14, off, s[40:43], 0 offset:228
	v_cmp_gt_i32_e64 s1, s30, v0
	s_waitcnt vmcnt(3)
	v_cndmask_b32_e64 v11, 0, v11, s1
	v_cmp_gt_i32_e64 s1, s30, v126
	s_waitcnt vmcnt(2)
	v_cndmask_b32_e64 v12, 0, v12, s1
	v_cmp_gt_i32_e64 s1, s30, v125
	s_waitcnt vmcnt(1)
	v_cndmask_b32_e64 v13, 0, v13, s1
	v_cmp_gt_i32_e64 s1, s30, v127
	s_waitcnt vmcnt(0)
	v_cndmask_b32_e64 v14, 0, v14, s1
	buffer_store_dword v11, off, s[40:43], 0 offset:216 ; 4-byte Folded Spill
	buffer_store_dword v12, off, s[40:43], 0 offset:220 ; 4-byte Folded Spill
	buffer_store_dword v13, off, s[40:43], 0 offset:224 ; 4-byte Folded Spill
	buffer_store_dword v14, off, s[40:43], 0 offset:228 ; 4-byte Folded Spill
.LBB44_64:                              ;   in Loop: Header=BB44_35 Depth=1
	s_or_b32 exec_lo, exec_lo, s24
	global_load_dwordx4 v[11:14], v[1:2], off offset:1024
	;; [unrolled: 32-line block ×3, first 2 shown]
	s_waitcnt vmcnt(0)
	buffer_store_dword v1, off, s[40:43], 0 offset:248 ; 4-byte Folded Spill
	buffer_store_dword v2, off, s[40:43], 0 offset:252 ; 4-byte Folded Spill
	;; [unrolled: 1-line block ×4, first 2 shown]
	s_and_saveexec_b32 s24, vcc_lo
	s_cbranch_execz .LBB44_68
; %bb.67:                               ;   in Loop: Header=BB44_35 Depth=1
	s_clause 0x3
	buffer_load_dword v1, off, s[40:43], 0 offset:248
	buffer_load_dword v2, off, s[40:43], 0 offset:252
	;; [unrolled: 1-line block ×4, first 2 shown]
	v_cmp_gt_i32_e64 s1, s30, v0
	s_waitcnt vmcnt(3)
	v_cndmask_b32_e64 v1, 0, v1, s1
	v_cmp_gt_i32_e64 s1, s30, v126
	s_waitcnt vmcnt(2)
	v_cndmask_b32_e64 v2, 0, v2, s1
	;; [unrolled: 3-line block ×4, first 2 shown]
	buffer_store_dword v1, off, s[40:43], 0 offset:248 ; 4-byte Folded Spill
	buffer_store_dword v2, off, s[40:43], 0 offset:252 ; 4-byte Folded Spill
	;; [unrolled: 1-line block ×4, first 2 shown]
.LBB44_68:                              ;   in Loop: Header=BB44_35 Depth=1
	s_or_b32 exec_lo, exec_lo, s24
	v_add_co_u32 v1, s1, 0x2000, v9
	v_add_co_ci_u32_e64 v2, null, 0, v10, s1
	global_load_dwordx4 v[11:14], v[1:2], off
	s_waitcnt vmcnt(0)
	buffer_store_dword v11, off, s[40:43], 0 offset:264 ; 4-byte Folded Spill
	buffer_store_dword v12, off, s[40:43], 0 offset:268 ; 4-byte Folded Spill
	buffer_store_dword v13, off, s[40:43], 0 offset:272 ; 4-byte Folded Spill
	buffer_store_dword v14, off, s[40:43], 0 offset:276 ; 4-byte Folded Spill
	s_and_saveexec_b32 s24, vcc_lo
	s_cbranch_execz .LBB44_70
; %bb.69:                               ;   in Loop: Header=BB44_35 Depth=1
	s_clause 0x3
	buffer_load_dword v11, off, s[40:43], 0 offset:264
	buffer_load_dword v12, off, s[40:43], 0 offset:268
	buffer_load_dword v13, off, s[40:43], 0 offset:272
	buffer_load_dword v14, off, s[40:43], 0 offset:276
	v_cmp_gt_i32_e64 s1, s30, v0
	s_waitcnt vmcnt(3)
	v_cndmask_b32_e64 v11, 0, v11, s1
	v_cmp_gt_i32_e64 s1, s30, v126
	s_waitcnt vmcnt(2)
	v_cndmask_b32_e64 v12, 0, v12, s1
	v_cmp_gt_i32_e64 s1, s30, v125
	s_waitcnt vmcnt(1)
	v_cndmask_b32_e64 v13, 0, v13, s1
	v_cmp_gt_i32_e64 s1, s30, v127
	s_waitcnt vmcnt(0)
	v_cndmask_b32_e64 v14, 0, v14, s1
	buffer_store_dword v11, off, s[40:43], 0 offset:264 ; 4-byte Folded Spill
	buffer_store_dword v12, off, s[40:43], 0 offset:268 ; 4-byte Folded Spill
	buffer_store_dword v13, off, s[40:43], 0 offset:272 ; 4-byte Folded Spill
	buffer_store_dword v14, off, s[40:43], 0 offset:276 ; 4-byte Folded Spill
.LBB44_70:                              ;   in Loop: Header=BB44_35 Depth=1
	s_or_b32 exec_lo, exec_lo, s24
	global_load_dwordx4 v[11:14], v[1:2], off offset:512
	s_waitcnt vmcnt(0)
	buffer_store_dword v11, off, s[40:43], 0 offset:280 ; 4-byte Folded Spill
	buffer_store_dword v12, off, s[40:43], 0 offset:284 ; 4-byte Folded Spill
	buffer_store_dword v13, off, s[40:43], 0 offset:288 ; 4-byte Folded Spill
	buffer_store_dword v14, off, s[40:43], 0 offset:292 ; 4-byte Folded Spill
	s_and_saveexec_b32 s24, vcc_lo
	s_cbranch_execz .LBB44_72
; %bb.71:                               ;   in Loop: Header=BB44_35 Depth=1
	s_clause 0x3
	buffer_load_dword v11, off, s[40:43], 0 offset:280
	buffer_load_dword v12, off, s[40:43], 0 offset:284
	buffer_load_dword v13, off, s[40:43], 0 offset:288
	buffer_load_dword v14, off, s[40:43], 0 offset:292
	v_cmp_gt_i32_e64 s1, s30, v0
	s_waitcnt vmcnt(3)
	v_cndmask_b32_e64 v11, 0, v11, s1
	v_cmp_gt_i32_e64 s1, s30, v126
	s_waitcnt vmcnt(2)
	v_cndmask_b32_e64 v12, 0, v12, s1
	v_cmp_gt_i32_e64 s1, s30, v125
	s_waitcnt vmcnt(1)
	v_cndmask_b32_e64 v13, 0, v13, s1
	v_cmp_gt_i32_e64 s1, s30, v127
	s_waitcnt vmcnt(0)
	v_cndmask_b32_e64 v14, 0, v14, s1
	buffer_store_dword v11, off, s[40:43], 0 offset:280 ; 4-byte Folded Spill
	buffer_store_dword v12, off, s[40:43], 0 offset:284 ; 4-byte Folded Spill
	buffer_store_dword v13, off, s[40:43], 0 offset:288 ; 4-byte Folded Spill
	buffer_store_dword v14, off, s[40:43], 0 offset:292 ; 4-byte Folded Spill
.LBB44_72:                              ;   in Loop: Header=BB44_35 Depth=1
	s_or_b32 exec_lo, exec_lo, s24
	global_load_dwordx4 v[11:14], v[1:2], off offset:1024
	;; [unrolled: 32-line block ×3, first 2 shown]
	s_waitcnt vmcnt(0)
	buffer_store_dword v1, off, s[40:43], 0 offset:312 ; 4-byte Folded Spill
	buffer_store_dword v2, off, s[40:43], 0 offset:316 ; 4-byte Folded Spill
	buffer_store_dword v3, off, s[40:43], 0 offset:320 ; 4-byte Folded Spill
	buffer_store_dword v4, off, s[40:43], 0 offset:324 ; 4-byte Folded Spill
	s_and_saveexec_b32 s24, vcc_lo
	s_cbranch_execz .LBB44_76
; %bb.75:                               ;   in Loop: Header=BB44_35 Depth=1
	s_clause 0x3
	buffer_load_dword v1, off, s[40:43], 0 offset:312
	buffer_load_dword v2, off, s[40:43], 0 offset:316
	;; [unrolled: 1-line block ×4, first 2 shown]
	v_cmp_gt_i32_e64 s1, s30, v0
	s_waitcnt vmcnt(3)
	v_cndmask_b32_e64 v1, 0, v1, s1
	v_cmp_gt_i32_e64 s1, s30, v126
	s_waitcnt vmcnt(2)
	v_cndmask_b32_e64 v2, 0, v2, s1
	;; [unrolled: 3-line block ×4, first 2 shown]
	buffer_store_dword v1, off, s[40:43], 0 offset:312 ; 4-byte Folded Spill
	buffer_store_dword v2, off, s[40:43], 0 offset:316 ; 4-byte Folded Spill
	;; [unrolled: 1-line block ×4, first 2 shown]
.LBB44_76:                              ;   in Loop: Header=BB44_35 Depth=1
	s_or_b32 exec_lo, exec_lo, s24
	v_add_co_u32 v1, s1, 0x2800, v9
	v_add_co_ci_u32_e64 v2, null, 0, v10, s1
	global_load_dwordx4 v[11:14], v[1:2], off
	s_waitcnt vmcnt(0)
	buffer_store_dword v11, off, s[40:43], 0 offset:328 ; 4-byte Folded Spill
	buffer_store_dword v12, off, s[40:43], 0 offset:332 ; 4-byte Folded Spill
	buffer_store_dword v13, off, s[40:43], 0 offset:336 ; 4-byte Folded Spill
	buffer_store_dword v14, off, s[40:43], 0 offset:340 ; 4-byte Folded Spill
	s_and_saveexec_b32 s24, vcc_lo
	s_cbranch_execz .LBB44_78
; %bb.77:                               ;   in Loop: Header=BB44_35 Depth=1
	s_clause 0x3
	buffer_load_dword v11, off, s[40:43], 0 offset:328
	buffer_load_dword v12, off, s[40:43], 0 offset:332
	buffer_load_dword v13, off, s[40:43], 0 offset:336
	buffer_load_dword v14, off, s[40:43], 0 offset:340
	v_cmp_gt_i32_e64 s1, s30, v0
	s_waitcnt vmcnt(3)
	v_cndmask_b32_e64 v11, 0, v11, s1
	v_cmp_gt_i32_e64 s1, s30, v126
	s_waitcnt vmcnt(2)
	v_cndmask_b32_e64 v12, 0, v12, s1
	v_cmp_gt_i32_e64 s1, s30, v125
	s_waitcnt vmcnt(1)
	v_cndmask_b32_e64 v13, 0, v13, s1
	v_cmp_gt_i32_e64 s1, s30, v127
	s_waitcnt vmcnt(0)
	v_cndmask_b32_e64 v14, 0, v14, s1
	buffer_store_dword v11, off, s[40:43], 0 offset:328 ; 4-byte Folded Spill
	buffer_store_dword v12, off, s[40:43], 0 offset:332 ; 4-byte Folded Spill
	buffer_store_dword v13, off, s[40:43], 0 offset:336 ; 4-byte Folded Spill
	buffer_store_dword v14, off, s[40:43], 0 offset:340 ; 4-byte Folded Spill
.LBB44_78:                              ;   in Loop: Header=BB44_35 Depth=1
	s_or_b32 exec_lo, exec_lo, s24
	global_load_dwordx4 v[11:14], v[1:2], off offset:512
	s_waitcnt vmcnt(0)
	buffer_store_dword v11, off, s[40:43], 0 offset:344 ; 4-byte Folded Spill
	buffer_store_dword v12, off, s[40:43], 0 offset:348 ; 4-byte Folded Spill
	buffer_store_dword v13, off, s[40:43], 0 offset:352 ; 4-byte Folded Spill
	buffer_store_dword v14, off, s[40:43], 0 offset:356 ; 4-byte Folded Spill
	s_and_saveexec_b32 s24, vcc_lo
	s_cbranch_execz .LBB44_80
; %bb.79:                               ;   in Loop: Header=BB44_35 Depth=1
	s_clause 0x3
	buffer_load_dword v11, off, s[40:43], 0 offset:344
	buffer_load_dword v12, off, s[40:43], 0 offset:348
	buffer_load_dword v13, off, s[40:43], 0 offset:352
	buffer_load_dword v14, off, s[40:43], 0 offset:356
	v_cmp_gt_i32_e64 s1, s30, v0
	s_waitcnt vmcnt(3)
	v_cndmask_b32_e64 v11, 0, v11, s1
	v_cmp_gt_i32_e64 s1, s30, v126
	s_waitcnt vmcnt(2)
	v_cndmask_b32_e64 v12, 0, v12, s1
	v_cmp_gt_i32_e64 s1, s30, v125
	s_waitcnt vmcnt(1)
	v_cndmask_b32_e64 v13, 0, v13, s1
	v_cmp_gt_i32_e64 s1, s30, v127
	s_waitcnt vmcnt(0)
	v_cndmask_b32_e64 v14, 0, v14, s1
	buffer_store_dword v11, off, s[40:43], 0 offset:344 ; 4-byte Folded Spill
	buffer_store_dword v12, off, s[40:43], 0 offset:348 ; 4-byte Folded Spill
	buffer_store_dword v13, off, s[40:43], 0 offset:352 ; 4-byte Folded Spill
	buffer_store_dword v14, off, s[40:43], 0 offset:356 ; 4-byte Folded Spill
.LBB44_80:                              ;   in Loop: Header=BB44_35 Depth=1
	s_or_b32 exec_lo, exec_lo, s24
	global_load_dwordx4 v[11:14], v[1:2], off offset:1024
	;; [unrolled: 32-line block ×3, first 2 shown]
	s_waitcnt vmcnt(0)
	buffer_store_dword v1, off, s[40:43], 0 offset:376 ; 4-byte Folded Spill
	buffer_store_dword v2, off, s[40:43], 0 offset:380 ; 4-byte Folded Spill
	;; [unrolled: 1-line block ×4, first 2 shown]
	s_and_saveexec_b32 s24, vcc_lo
	s_cbranch_execz .LBB44_84
; %bb.83:                               ;   in Loop: Header=BB44_35 Depth=1
	s_clause 0x3
	buffer_load_dword v1, off, s[40:43], 0 offset:376
	buffer_load_dword v2, off, s[40:43], 0 offset:380
	;; [unrolled: 1-line block ×4, first 2 shown]
	v_cmp_gt_i32_e64 s1, s30, v0
	s_waitcnt vmcnt(3)
	v_cndmask_b32_e64 v1, 0, v1, s1
	v_cmp_gt_i32_e64 s1, s30, v126
	s_waitcnt vmcnt(2)
	v_cndmask_b32_e64 v2, 0, v2, s1
	;; [unrolled: 3-line block ×4, first 2 shown]
	buffer_store_dword v1, off, s[40:43], 0 offset:376 ; 4-byte Folded Spill
	buffer_store_dword v2, off, s[40:43], 0 offset:380 ; 4-byte Folded Spill
	;; [unrolled: 1-line block ×4, first 2 shown]
.LBB44_84:                              ;   in Loop: Header=BB44_35 Depth=1
	s_or_b32 exec_lo, exec_lo, s24
	v_add_co_u32 v1, s1, 0x3000, v9
	v_add_co_ci_u32_e64 v2, null, 0, v10, s1
	global_load_dwordx4 v[11:14], v[1:2], off
	s_waitcnt vmcnt(0)
	buffer_store_dword v11, off, s[40:43], 0 offset:392 ; 4-byte Folded Spill
	buffer_store_dword v12, off, s[40:43], 0 offset:396 ; 4-byte Folded Spill
	buffer_store_dword v13, off, s[40:43], 0 offset:400 ; 4-byte Folded Spill
	buffer_store_dword v14, off, s[40:43], 0 offset:404 ; 4-byte Folded Spill
	s_and_saveexec_b32 s24, vcc_lo
	s_cbranch_execz .LBB44_86
; %bb.85:                               ;   in Loop: Header=BB44_35 Depth=1
	s_clause 0x3
	buffer_load_dword v11, off, s[40:43], 0 offset:392
	buffer_load_dword v12, off, s[40:43], 0 offset:396
	buffer_load_dword v13, off, s[40:43], 0 offset:400
	buffer_load_dword v14, off, s[40:43], 0 offset:404
	v_cmp_gt_i32_e64 s1, s30, v0
	s_waitcnt vmcnt(3)
	v_cndmask_b32_e64 v11, 0, v11, s1
	v_cmp_gt_i32_e64 s1, s30, v126
	s_waitcnt vmcnt(2)
	v_cndmask_b32_e64 v12, 0, v12, s1
	v_cmp_gt_i32_e64 s1, s30, v125
	s_waitcnt vmcnt(1)
	v_cndmask_b32_e64 v13, 0, v13, s1
	v_cmp_gt_i32_e64 s1, s30, v127
	s_waitcnt vmcnt(0)
	v_cndmask_b32_e64 v14, 0, v14, s1
	buffer_store_dword v11, off, s[40:43], 0 offset:392 ; 4-byte Folded Spill
	buffer_store_dword v12, off, s[40:43], 0 offset:396 ; 4-byte Folded Spill
	buffer_store_dword v13, off, s[40:43], 0 offset:400 ; 4-byte Folded Spill
	buffer_store_dword v14, off, s[40:43], 0 offset:404 ; 4-byte Folded Spill
.LBB44_86:                              ;   in Loop: Header=BB44_35 Depth=1
	s_or_b32 exec_lo, exec_lo, s24
	global_load_dwordx4 v[11:14], v[1:2], off offset:512
	s_waitcnt vmcnt(0)
	buffer_store_dword v11, off, s[40:43], 0 offset:408 ; 4-byte Folded Spill
	buffer_store_dword v12, off, s[40:43], 0 offset:412 ; 4-byte Folded Spill
	buffer_store_dword v13, off, s[40:43], 0 offset:416 ; 4-byte Folded Spill
	buffer_store_dword v14, off, s[40:43], 0 offset:420 ; 4-byte Folded Spill
	s_and_saveexec_b32 s24, vcc_lo
	s_cbranch_execz .LBB44_88
; %bb.87:                               ;   in Loop: Header=BB44_35 Depth=1
	s_clause 0x3
	buffer_load_dword v11, off, s[40:43], 0 offset:408
	buffer_load_dword v12, off, s[40:43], 0 offset:412
	buffer_load_dword v13, off, s[40:43], 0 offset:416
	buffer_load_dword v14, off, s[40:43], 0 offset:420
	v_cmp_gt_i32_e64 s1, s30, v0
	s_waitcnt vmcnt(3)
	v_cndmask_b32_e64 v11, 0, v11, s1
	v_cmp_gt_i32_e64 s1, s30, v126
	s_waitcnt vmcnt(2)
	v_cndmask_b32_e64 v12, 0, v12, s1
	v_cmp_gt_i32_e64 s1, s30, v125
	s_waitcnt vmcnt(1)
	v_cndmask_b32_e64 v13, 0, v13, s1
	v_cmp_gt_i32_e64 s1, s30, v127
	s_waitcnt vmcnt(0)
	v_cndmask_b32_e64 v14, 0, v14, s1
	buffer_store_dword v11, off, s[40:43], 0 offset:408 ; 4-byte Folded Spill
	buffer_store_dword v12, off, s[40:43], 0 offset:412 ; 4-byte Folded Spill
	buffer_store_dword v13, off, s[40:43], 0 offset:416 ; 4-byte Folded Spill
	buffer_store_dword v14, off, s[40:43], 0 offset:420 ; 4-byte Folded Spill
.LBB44_88:                              ;   in Loop: Header=BB44_35 Depth=1
	s_or_b32 exec_lo, exec_lo, s24
	global_load_dwordx4 v[11:14], v[1:2], off offset:1024
	;; [unrolled: 32-line block ×3, first 2 shown]
	s_waitcnt vmcnt(0)
	buffer_store_dword v1, off, s[40:43], 0 offset:440 ; 4-byte Folded Spill
	buffer_store_dword v2, off, s[40:43], 0 offset:444 ; 4-byte Folded Spill
	;; [unrolled: 1-line block ×4, first 2 shown]
	s_and_saveexec_b32 s24, vcc_lo
	s_cbranch_execz .LBB44_92
; %bb.91:                               ;   in Loop: Header=BB44_35 Depth=1
	s_clause 0x3
	buffer_load_dword v1, off, s[40:43], 0 offset:440
	buffer_load_dword v2, off, s[40:43], 0 offset:444
	;; [unrolled: 1-line block ×4, first 2 shown]
	v_cmp_gt_i32_e64 s1, s30, v0
	s_waitcnt vmcnt(3)
	v_cndmask_b32_e64 v1, 0, v1, s1
	v_cmp_gt_i32_e64 s1, s30, v126
	s_waitcnt vmcnt(2)
	v_cndmask_b32_e64 v2, 0, v2, s1
	;; [unrolled: 3-line block ×4, first 2 shown]
	buffer_store_dword v1, off, s[40:43], 0 offset:440 ; 4-byte Folded Spill
	buffer_store_dword v2, off, s[40:43], 0 offset:444 ; 4-byte Folded Spill
	;; [unrolled: 1-line block ×4, first 2 shown]
.LBB44_92:                              ;   in Loop: Header=BB44_35 Depth=1
	s_or_b32 exec_lo, exec_lo, s24
	v_add_co_u32 v1, s1, 0x3800, v9
	v_add_co_ci_u32_e64 v2, null, 0, v10, s1
	global_load_dwordx4 v[11:14], v[1:2], off
	s_waitcnt vmcnt(0)
	buffer_store_dword v11, off, s[40:43], 0 offset:456 ; 4-byte Folded Spill
	buffer_store_dword v12, off, s[40:43], 0 offset:460 ; 4-byte Folded Spill
	;; [unrolled: 1-line block ×4, first 2 shown]
	s_and_saveexec_b32 s24, vcc_lo
	s_cbranch_execz .LBB44_94
; %bb.93:                               ;   in Loop: Header=BB44_35 Depth=1
	s_clause 0x3
	buffer_load_dword v11, off, s[40:43], 0 offset:456
	buffer_load_dword v12, off, s[40:43], 0 offset:460
	;; [unrolled: 1-line block ×4, first 2 shown]
	v_cmp_gt_i32_e64 s1, s30, v0
	s_waitcnt vmcnt(3)
	v_cndmask_b32_e64 v11, 0, v11, s1
	v_cmp_gt_i32_e64 s1, s30, v126
	s_waitcnt vmcnt(2)
	v_cndmask_b32_e64 v12, 0, v12, s1
	;; [unrolled: 3-line block ×4, first 2 shown]
	buffer_store_dword v11, off, s[40:43], 0 offset:456 ; 4-byte Folded Spill
	buffer_store_dword v12, off, s[40:43], 0 offset:460 ; 4-byte Folded Spill
	;; [unrolled: 1-line block ×4, first 2 shown]
.LBB44_94:                              ;   in Loop: Header=BB44_35 Depth=1
	s_or_b32 exec_lo, exec_lo, s24
	global_load_dwordx4 v[11:14], v[1:2], off offset:512
	s_waitcnt vmcnt(0)
	buffer_store_dword v11, off, s[40:43], 0 offset:472 ; 4-byte Folded Spill
	buffer_store_dword v12, off, s[40:43], 0 offset:476 ; 4-byte Folded Spill
	buffer_store_dword v13, off, s[40:43], 0 offset:480 ; 4-byte Folded Spill
	buffer_store_dword v14, off, s[40:43], 0 offset:484 ; 4-byte Folded Spill
	s_and_saveexec_b32 s24, vcc_lo
	s_cbranch_execz .LBB44_96
; %bb.95:                               ;   in Loop: Header=BB44_35 Depth=1
	s_clause 0x3
	buffer_load_dword v11, off, s[40:43], 0 offset:472
	buffer_load_dword v12, off, s[40:43], 0 offset:476
	;; [unrolled: 1-line block ×4, first 2 shown]
	v_cmp_gt_i32_e64 s1, s30, v0
	s_waitcnt vmcnt(3)
	v_cndmask_b32_e64 v11, 0, v11, s1
	v_cmp_gt_i32_e64 s1, s30, v126
	s_waitcnt vmcnt(2)
	v_cndmask_b32_e64 v12, 0, v12, s1
	;; [unrolled: 3-line block ×4, first 2 shown]
	buffer_store_dword v11, off, s[40:43], 0 offset:472 ; 4-byte Folded Spill
	buffer_store_dword v12, off, s[40:43], 0 offset:476 ; 4-byte Folded Spill
	buffer_store_dword v13, off, s[40:43], 0 offset:480 ; 4-byte Folded Spill
	buffer_store_dword v14, off, s[40:43], 0 offset:484 ; 4-byte Folded Spill
.LBB44_96:                              ;   in Loop: Header=BB44_35 Depth=1
	s_or_b32 exec_lo, exec_lo, s24
	global_load_dwordx4 v[1:4], v[1:2], off offset:1024
	s_waitcnt vmcnt(0)
	buffer_store_dword v1, off, s[40:43], 0 offset:488 ; 4-byte Folded Spill
	buffer_store_dword v2, off, s[40:43], 0 offset:492 ; 4-byte Folded Spill
	;; [unrolled: 1-line block ×4, first 2 shown]
	s_and_saveexec_b32 s24, vcc_lo
	s_cbranch_execz .LBB44_98
; %bb.97:                               ;   in Loop: Header=BB44_35 Depth=1
	s_clause 0x3
	buffer_load_dword v1, off, s[40:43], 0 offset:488
	buffer_load_dword v2, off, s[40:43], 0 offset:492
	;; [unrolled: 1-line block ×4, first 2 shown]
	v_cmp_gt_i32_e64 s1, s30, v0
	s_waitcnt vmcnt(3)
	v_cndmask_b32_e64 v1, 0, v1, s1
	v_cmp_gt_i32_e64 s1, s30, v126
	s_waitcnt vmcnt(2)
	v_cndmask_b32_e64 v2, 0, v2, s1
	v_cmp_gt_i32_e64 s1, s30, v125
	s_waitcnt vmcnt(1)
	v_cndmask_b32_e64 v3, 0, v3, s1
	v_cmp_gt_i32_e64 s1, s30, v127
	s_waitcnt vmcnt(0)
	v_cndmask_b32_e64 v4, 0, v4, s1
	buffer_store_dword v1, off, s[40:43], 0 offset:488 ; 4-byte Folded Spill
	buffer_store_dword v2, off, s[40:43], 0 offset:492 ; 4-byte Folded Spill
	;; [unrolled: 1-line block ×4, first 2 shown]
.LBB44_98:                              ;   in Loop: Header=BB44_35 Depth=1
	s_or_b32 exec_lo, exec_lo, s24
	buffer_load_dword v1, off, s[40:43], 0 offset:888 ; 4-byte Folded Reload
	s_waitcnt vmcnt(0)
	v_add_co_u32 v1, s1, v81, v1
	v_add_co_ci_u32_e64 v2, null, 0, v82, s1
	global_load_dwordx4 v[1:4], v[1:2], off
	s_waitcnt vmcnt(0)
	buffer_store_dword v1, off, s[40:43], 0 offset:504 ; 4-byte Folded Spill
	buffer_store_dword v2, off, s[40:43], 0 offset:508 ; 4-byte Folded Spill
	;; [unrolled: 1-line block ×4, first 2 shown]
	s_and_saveexec_b32 s24, vcc_lo
	s_cbranch_execz .LBB44_100
; %bb.99:                               ;   in Loop: Header=BB44_35 Depth=1
	s_clause 0x3
	buffer_load_dword v1, off, s[40:43], 0 offset:504
	buffer_load_dword v2, off, s[40:43], 0 offset:508
	;; [unrolled: 1-line block ×4, first 2 shown]
	v_cmp_gt_i32_e64 s1, s30, v0
	s_waitcnt vmcnt(3)
	v_cndmask_b32_e64 v1, 0, v1, s1
	v_cmp_gt_i32_e64 s1, s30, v126
	s_waitcnt vmcnt(2)
	v_cndmask_b32_e64 v2, 0, v2, s1
	;; [unrolled: 3-line block ×4, first 2 shown]
	buffer_store_dword v1, off, s[40:43], 0 offset:504 ; 4-byte Folded Spill
	buffer_store_dword v2, off, s[40:43], 0 offset:508 ; 4-byte Folded Spill
	;; [unrolled: 1-line block ×4, first 2 shown]
.LBB44_100:                             ;   in Loop: Header=BB44_35 Depth=1
	s_or_b32 exec_lo, exec_lo, s24
	v_add_co_u32 v1, s1, 0x4000, v9
	v_add_co_ci_u32_e64 v2, null, 0, v10, s1
	global_load_dwordx4 v[11:14], v[1:2], off
	s_waitcnt vmcnt(0)
	buffer_store_dword v11, off, s[40:43], 0 offset:520 ; 4-byte Folded Spill
	buffer_store_dword v12, off, s[40:43], 0 offset:524 ; 4-byte Folded Spill
	;; [unrolled: 1-line block ×4, first 2 shown]
	s_and_saveexec_b32 s24, vcc_lo
	s_cbranch_execz .LBB44_102
; %bb.101:                              ;   in Loop: Header=BB44_35 Depth=1
	s_clause 0x3
	buffer_load_dword v11, off, s[40:43], 0 offset:520
	buffer_load_dword v12, off, s[40:43], 0 offset:524
	;; [unrolled: 1-line block ×4, first 2 shown]
	v_cmp_gt_i32_e64 s1, s30, v0
	s_waitcnt vmcnt(3)
	v_cndmask_b32_e64 v11, 0, v11, s1
	v_cmp_gt_i32_e64 s1, s30, v126
	s_waitcnt vmcnt(2)
	v_cndmask_b32_e64 v12, 0, v12, s1
	;; [unrolled: 3-line block ×4, first 2 shown]
	buffer_store_dword v11, off, s[40:43], 0 offset:520 ; 4-byte Folded Spill
	buffer_store_dword v12, off, s[40:43], 0 offset:524 ; 4-byte Folded Spill
	buffer_store_dword v13, off, s[40:43], 0 offset:528 ; 4-byte Folded Spill
	buffer_store_dword v14, off, s[40:43], 0 offset:532 ; 4-byte Folded Spill
.LBB44_102:                             ;   in Loop: Header=BB44_35 Depth=1
	s_or_b32 exec_lo, exec_lo, s24
	global_load_dwordx4 v[11:14], v[1:2], off offset:512
	s_waitcnt vmcnt(0)
	buffer_store_dword v11, off, s[40:43], 0 offset:536 ; 4-byte Folded Spill
	buffer_store_dword v12, off, s[40:43], 0 offset:540 ; 4-byte Folded Spill
	buffer_store_dword v13, off, s[40:43], 0 offset:544 ; 4-byte Folded Spill
	buffer_store_dword v14, off, s[40:43], 0 offset:548 ; 4-byte Folded Spill
	s_and_saveexec_b32 s24, vcc_lo
	s_cbranch_execnz .LBB44_142
; %bb.103:                              ;   in Loop: Header=BB44_35 Depth=1
	s_or_b32 exec_lo, exec_lo, s24
	global_load_dwordx4 v[21:24], v[1:2], off offset:1024
	s_and_saveexec_b32 s24, vcc_lo
	s_cbranch_execnz .LBB44_143
.LBB44_104:                             ;   in Loop: Header=BB44_35 Depth=1
	s_or_b32 exec_lo, exec_lo, s24
	global_load_dwordx4 v[25:28], v[1:2], off offset:1536
	s_and_saveexec_b32 s24, vcc_lo
	s_cbranch_execz .LBB44_106
.LBB44_105:                             ;   in Loop: Header=BB44_35 Depth=1
	v_cmp_gt_i32_e64 s1, s30, v0
	s_waitcnt vmcnt(0)
	v_cndmask_b32_e64 v25, 0, v25, s1
	v_cmp_gt_i32_e64 s1, s30, v126
	v_cndmask_b32_e64 v26, 0, v26, s1
	v_cmp_gt_i32_e64 s1, s30, v125
	;; [unrolled: 2-line block ×3, first 2 shown]
	v_cndmask_b32_e64 v28, 0, v28, s1
.LBB44_106:                             ;   in Loop: Header=BB44_35 Depth=1
	s_or_b32 exec_lo, exec_lo, s24
	v_add_co_u32 v1, s1, 0x4800, v9
	v_add_co_ci_u32_e64 v2, null, 0, v10, s1
	global_load_dwordx4 v[29:32], v[1:2], off
	s_and_saveexec_b32 s24, vcc_lo
	s_cbranch_execnz .LBB44_144
; %bb.107:                              ;   in Loop: Header=BB44_35 Depth=1
	s_or_b32 exec_lo, exec_lo, s24
	global_load_dwordx4 v[33:36], v[1:2], off offset:512
	s_and_saveexec_b32 s24, vcc_lo
	s_cbranch_execnz .LBB44_145
.LBB44_108:                             ;   in Loop: Header=BB44_35 Depth=1
	s_or_b32 exec_lo, exec_lo, s24
	global_load_dwordx4 v[37:40], v[1:2], off offset:1024
	s_and_saveexec_b32 s24, vcc_lo
	s_cbranch_execnz .LBB44_146
.LBB44_109:                             ;   in Loop: Header=BB44_35 Depth=1
	s_or_b32 exec_lo, exec_lo, s24
	global_load_dwordx4 v[41:44], v[1:2], off offset:1536
	s_and_saveexec_b32 s24, vcc_lo
	s_cbranch_execz .LBB44_111
.LBB44_110:                             ;   in Loop: Header=BB44_35 Depth=1
	v_cmp_gt_i32_e64 s1, s30, v0
	s_waitcnt vmcnt(0)
	v_cndmask_b32_e64 v41, 0, v41, s1
	v_cmp_gt_i32_e64 s1, s30, v126
	v_cndmask_b32_e64 v42, 0, v42, s1
	v_cmp_gt_i32_e64 s1, s30, v125
	;; [unrolled: 2-line block ×3, first 2 shown]
	v_cndmask_b32_e64 v44, 0, v44, s1
.LBB44_111:                             ;   in Loop: Header=BB44_35 Depth=1
	s_or_b32 exec_lo, exec_lo, s24
	v_add_co_u32 v1, s1, 0x5000, v9
	v_add_co_ci_u32_e64 v2, null, 0, v10, s1
	global_load_dwordx4 v[45:48], v[1:2], off
	s_and_saveexec_b32 s24, vcc_lo
	s_cbranch_execnz .LBB44_147
; %bb.112:                              ;   in Loop: Header=BB44_35 Depth=1
	s_or_b32 exec_lo, exec_lo, s24
	global_load_dwordx4 v[49:52], v[1:2], off offset:512
	s_and_saveexec_b32 s24, vcc_lo
	s_cbranch_execnz .LBB44_148
.LBB44_113:                             ;   in Loop: Header=BB44_35 Depth=1
	s_or_b32 exec_lo, exec_lo, s24
	global_load_dwordx4 v[53:56], v[1:2], off offset:1024
	s_and_saveexec_b32 s24, vcc_lo
	s_cbranch_execnz .LBB44_149
.LBB44_114:                             ;   in Loop: Header=BB44_35 Depth=1
	s_or_b32 exec_lo, exec_lo, s24
	global_load_dwordx4 v[57:60], v[1:2], off offset:1536
	s_and_saveexec_b32 s24, vcc_lo
	s_cbranch_execz .LBB44_116
.LBB44_115:                             ;   in Loop: Header=BB44_35 Depth=1
	v_cmp_gt_i32_e64 s1, s30, v0
	s_waitcnt vmcnt(0)
	v_cndmask_b32_e64 v57, 0, v57, s1
	v_cmp_gt_i32_e64 s1, s30, v126
	v_cndmask_b32_e64 v58, 0, v58, s1
	v_cmp_gt_i32_e64 s1, s30, v125
	;; [unrolled: 2-line block ×3, first 2 shown]
	v_cndmask_b32_e64 v60, 0, v60, s1
.LBB44_116:                             ;   in Loop: Header=BB44_35 Depth=1
	s_or_b32 exec_lo, exec_lo, s24
	v_add_co_u32 v1, s1, 0x5800, v9
	v_add_co_ci_u32_e64 v2, null, 0, v10, s1
	global_load_dwordx4 v[61:64], v[1:2], off
	s_and_saveexec_b32 s24, vcc_lo
	s_cbranch_execnz .LBB44_150
; %bb.117:                              ;   in Loop: Header=BB44_35 Depth=1
	s_or_b32 exec_lo, exec_lo, s24
	global_load_dwordx4 v[65:68], v[1:2], off offset:512
	s_and_saveexec_b32 s24, vcc_lo
	s_cbranch_execnz .LBB44_151
.LBB44_118:                             ;   in Loop: Header=BB44_35 Depth=1
	s_or_b32 exec_lo, exec_lo, s24
	global_load_dwordx4 v[69:72], v[1:2], off offset:1024
	s_and_saveexec_b32 s24, vcc_lo
	s_cbranch_execnz .LBB44_152
.LBB44_119:                             ;   in Loop: Header=BB44_35 Depth=1
	s_or_b32 exec_lo, exec_lo, s24
	global_load_dwordx4 v[73:76], v[1:2], off offset:1536
	s_and_saveexec_b32 s24, vcc_lo
	s_cbranch_execz .LBB44_121
.LBB44_120:                             ;   in Loop: Header=BB44_35 Depth=1
	v_cmp_gt_i32_e64 s1, s30, v0
	s_waitcnt vmcnt(0)
	v_cndmask_b32_e64 v73, 0, v73, s1
	v_cmp_gt_i32_e64 s1, s30, v126
	v_cndmask_b32_e64 v74, 0, v74, s1
	v_cmp_gt_i32_e64 s1, s30, v125
	;; [unrolled: 2-line block ×3, first 2 shown]
	v_cndmask_b32_e64 v76, 0, v76, s1
.LBB44_121:                             ;   in Loop: Header=BB44_35 Depth=1
	s_or_b32 exec_lo, exec_lo, s24
	v_add_co_u32 v1, s1, 0x6000, v9
	v_add_co_ci_u32_e64 v2, null, 0, v10, s1
	global_load_dwordx4 v[77:80], v[1:2], off
	s_and_saveexec_b32 s24, vcc_lo
	s_cbranch_execnz .LBB44_153
; %bb.122:                              ;   in Loop: Header=BB44_35 Depth=1
	s_or_b32 exec_lo, exec_lo, s24
	global_load_dwordx4 v[85:88], v[1:2], off offset:512
	s_and_saveexec_b32 s24, vcc_lo
	s_cbranch_execnz .LBB44_154
.LBB44_123:                             ;   in Loop: Header=BB44_35 Depth=1
	s_or_b32 exec_lo, exec_lo, s24
	global_load_dwordx4 v[89:92], v[1:2], off offset:1024
	s_and_saveexec_b32 s24, vcc_lo
	s_cbranch_execnz .LBB44_155
.LBB44_124:                             ;   in Loop: Header=BB44_35 Depth=1
	s_or_b32 exec_lo, exec_lo, s24
	global_load_dwordx4 v[93:96], v[1:2], off offset:1536
	s_and_saveexec_b32 s24, vcc_lo
	s_cbranch_execz .LBB44_126
.LBB44_125:                             ;   in Loop: Header=BB44_35 Depth=1
	v_cmp_gt_i32_e64 s1, s30, v0
	s_waitcnt vmcnt(0)
	v_cndmask_b32_e64 v93, 0, v93, s1
	v_cmp_gt_i32_e64 s1, s30, v126
	v_cndmask_b32_e64 v94, 0, v94, s1
	v_cmp_gt_i32_e64 s1, s30, v125
	v_cndmask_b32_e64 v95, 0, v95, s1
	v_cmp_gt_i32_e64 s1, s30, v127
	v_cndmask_b32_e64 v96, 0, v96, s1
.LBB44_126:                             ;   in Loop: Header=BB44_35 Depth=1
	s_or_b32 exec_lo, exec_lo, s24
	v_add_co_u32 v1, s1, 0x6800, v9
	v_add_co_ci_u32_e64 v2, null, 0, v10, s1
	global_load_dwordx4 v[97:100], v[1:2], off
	s_and_saveexec_b32 s24, vcc_lo
	s_cbranch_execnz .LBB44_156
; %bb.127:                              ;   in Loop: Header=BB44_35 Depth=1
	s_or_b32 exec_lo, exec_lo, s24
	global_load_dwordx4 v[101:104], v[1:2], off offset:512
	s_and_saveexec_b32 s24, vcc_lo
	s_cbranch_execnz .LBB44_157
.LBB44_128:                             ;   in Loop: Header=BB44_35 Depth=1
	s_or_b32 exec_lo, exec_lo, s24
	global_load_dwordx4 v[105:108], v[1:2], off offset:1024
	s_and_saveexec_b32 s24, vcc_lo
	s_cbranch_execnz .LBB44_158
.LBB44_129:                             ;   in Loop: Header=BB44_35 Depth=1
	s_or_b32 exec_lo, exec_lo, s24
	global_load_dwordx4 v[109:112], v[1:2], off offset:1536
	s_and_saveexec_b32 s24, vcc_lo
	s_cbranch_execz .LBB44_131
.LBB44_130:                             ;   in Loop: Header=BB44_35 Depth=1
	v_cmp_gt_i32_e64 s1, s30, v0
	s_waitcnt vmcnt(0)
	v_cndmask_b32_e64 v109, 0, v109, s1
	v_cmp_gt_i32_e64 s1, s30, v126
	v_cndmask_b32_e64 v110, 0, v110, s1
	v_cmp_gt_i32_e64 s1, s30, v125
	;; [unrolled: 2-line block ×3, first 2 shown]
	v_cndmask_b32_e64 v112, 0, v112, s1
.LBB44_131:                             ;   in Loop: Header=BB44_35 Depth=1
	s_or_b32 exec_lo, exec_lo, s24
	v_add_co_u32 v1, s1, 0x7000, v9
	v_add_co_ci_u32_e64 v2, null, 0, v10, s1
	global_load_dwordx4 v[113:116], v[1:2], off
	s_and_saveexec_b32 s24, vcc_lo
	s_cbranch_execnz .LBB44_159
; %bb.132:                              ;   in Loop: Header=BB44_35 Depth=1
	s_or_b32 exec_lo, exec_lo, s24
	global_load_dwordx4 v[117:120], v[1:2], off offset:512
	s_and_saveexec_b32 s24, vcc_lo
	s_cbranch_execnz .LBB44_160
.LBB44_133:                             ;   in Loop: Header=BB44_35 Depth=1
	s_or_b32 exec_lo, exec_lo, s24
	global_load_dwordx4 v[121:124], v[1:2], off offset:1024
	s_and_saveexec_b32 s24, vcc_lo
	s_cbranch_execnz .LBB44_161
.LBB44_134:                             ;   in Loop: Header=BB44_35 Depth=1
	s_or_b32 exec_lo, exec_lo, s24
	global_load_dwordx4 v[1:4], v[1:2], off offset:1536
	s_and_saveexec_b32 s24, vcc_lo
	s_cbranch_execz .LBB44_136
.LBB44_135:                             ;   in Loop: Header=BB44_35 Depth=1
	v_cmp_gt_i32_e64 s1, s30, v0
	s_waitcnt vmcnt(0)
	v_cndmask_b32_e64 v1, 0, v1, s1
	v_cmp_gt_i32_e64 s1, s30, v126
	v_cndmask_b32_e64 v2, 0, v2, s1
	v_cmp_gt_i32_e64 s1, s30, v125
	;; [unrolled: 2-line block ×3, first 2 shown]
	v_cndmask_b32_e64 v4, 0, v4, s1
.LBB44_136:                             ;   in Loop: Header=BB44_35 Depth=1
	s_or_b32 exec_lo, exec_lo, s24
	v_add_co_u32 v17, s1, 0x7800, v9
	v_add_co_ci_u32_e64 v18, null, 0, v10, s1
	global_load_dwordx4 v[9:12], v[17:18], off
	s_and_saveexec_b32 s24, vcc_lo
	s_cbranch_execnz .LBB44_162
; %bb.137:                              ;   in Loop: Header=BB44_35 Depth=1
	s_or_b32 exec_lo, exec_lo, s24
	global_load_dwordx4 v[13:16], v[17:18], off offset:512
	s_and_saveexec_b32 s24, vcc_lo
	s_cbranch_execnz .LBB44_163
.LBB44_138:                             ;   in Loop: Header=BB44_35 Depth=1
	s_or_b32 exec_lo, exec_lo, s24
	global_load_dwordx4 v[17:20], v[17:18], off offset:1024
	s_and_saveexec_b32 s24, vcc_lo
	s_cbranch_execz .LBB44_140
.LBB44_139:                             ;   in Loop: Header=BB44_35 Depth=1
	v_cmp_gt_i32_e64 s1, s30, v0
	s_waitcnt vmcnt(0)
	v_cndmask_b32_e64 v17, 0, v17, s1
	v_cmp_gt_i32_e64 s1, s30, v126
	v_cndmask_b32_e64 v18, 0, v18, s1
	v_cmp_gt_i32_e64 s1, s30, v125
	;; [unrolled: 2-line block ×3, first 2 shown]
	v_cndmask_b32_e64 v20, 0, v20, s1
.LBB44_140:                             ;   in Loop: Header=BB44_35 Depth=1
	s_or_b32 exec_lo, exec_lo, s24
	buffer_load_dword v83, off, s[40:43], 0 offset:892 ; 4-byte Folded Reload
	s_waitcnt vmcnt(0)
	v_add_co_u32 v81, s1, v81, v83
	v_add_co_ci_u32_e64 v82, null, 0, v82, s1
	global_load_dwordx4 v[81:84], v[81:82], off
	s_and_saveexec_b32 s1, vcc_lo
	s_cbranch_execz .LBB44_33
; %bb.141:                              ;   in Loop: Header=BB44_35 Depth=1
	v_cmp_gt_i32_e32 vcc_lo, s30, v0
	s_waitcnt vmcnt(0)
	v_cndmask_b32_e32 v81, 0, v81, vcc_lo
	v_cmp_gt_i32_e32 vcc_lo, s30, v126
	v_cndmask_b32_e32 v82, 0, v82, vcc_lo
	v_cmp_gt_i32_e32 vcc_lo, s30, v125
	;; [unrolled: 2-line block ×3, first 2 shown]
	v_cndmask_b32_e32 v84, 0, v84, vcc_lo
	s_branch .LBB44_33
.LBB44_142:                             ;   in Loop: Header=BB44_35 Depth=1
	s_clause 0x3
	buffer_load_dword v11, off, s[40:43], 0 offset:536
	buffer_load_dword v12, off, s[40:43], 0 offset:540
	;; [unrolled: 1-line block ×4, first 2 shown]
	v_cmp_gt_i32_e64 s1, s30, v0
	s_waitcnt vmcnt(3)
	v_cndmask_b32_e64 v11, 0, v11, s1
	v_cmp_gt_i32_e64 s1, s30, v126
	s_waitcnt vmcnt(2)
	v_cndmask_b32_e64 v12, 0, v12, s1
	;; [unrolled: 3-line block ×4, first 2 shown]
	buffer_store_dword v11, off, s[40:43], 0 offset:536 ; 4-byte Folded Spill
	buffer_store_dword v12, off, s[40:43], 0 offset:540 ; 4-byte Folded Spill
	buffer_store_dword v13, off, s[40:43], 0 offset:544 ; 4-byte Folded Spill
	buffer_store_dword v14, off, s[40:43], 0 offset:548 ; 4-byte Folded Spill
	s_or_b32 exec_lo, exec_lo, s24
	global_load_dwordx4 v[21:24], v[1:2], off offset:1024
	s_and_saveexec_b32 s24, vcc_lo
	s_cbranch_execz .LBB44_104
.LBB44_143:                             ;   in Loop: Header=BB44_35 Depth=1
	v_cmp_gt_i32_e64 s1, s30, v0
	s_waitcnt vmcnt(0)
	v_cndmask_b32_e64 v21, 0, v21, s1
	v_cmp_gt_i32_e64 s1, s30, v126
	v_cndmask_b32_e64 v22, 0, v22, s1
	v_cmp_gt_i32_e64 s1, s30, v125
	;; [unrolled: 2-line block ×3, first 2 shown]
	v_cndmask_b32_e64 v24, 0, v24, s1
	s_or_b32 exec_lo, exec_lo, s24
	global_load_dwordx4 v[25:28], v[1:2], off offset:1536
	s_and_saveexec_b32 s24, vcc_lo
	s_cbranch_execnz .LBB44_105
	s_branch .LBB44_106
.LBB44_144:                             ;   in Loop: Header=BB44_35 Depth=1
	v_cmp_gt_i32_e64 s1, s30, v0
	s_waitcnt vmcnt(0)
	v_cndmask_b32_e64 v29, 0, v29, s1
	v_cmp_gt_i32_e64 s1, s30, v126
	v_cndmask_b32_e64 v30, 0, v30, s1
	v_cmp_gt_i32_e64 s1, s30, v125
	;; [unrolled: 2-line block ×3, first 2 shown]
	v_cndmask_b32_e64 v32, 0, v32, s1
	s_or_b32 exec_lo, exec_lo, s24
	global_load_dwordx4 v[33:36], v[1:2], off offset:512
	s_and_saveexec_b32 s24, vcc_lo
	s_cbranch_execz .LBB44_108
.LBB44_145:                             ;   in Loop: Header=BB44_35 Depth=1
	v_cmp_gt_i32_e64 s1, s30, v0
	s_waitcnt vmcnt(0)
	v_cndmask_b32_e64 v33, 0, v33, s1
	v_cmp_gt_i32_e64 s1, s30, v126
	v_cndmask_b32_e64 v34, 0, v34, s1
	v_cmp_gt_i32_e64 s1, s30, v125
	;; [unrolled: 2-line block ×3, first 2 shown]
	v_cndmask_b32_e64 v36, 0, v36, s1
	s_or_b32 exec_lo, exec_lo, s24
	global_load_dwordx4 v[37:40], v[1:2], off offset:1024
	s_and_saveexec_b32 s24, vcc_lo
	s_cbranch_execz .LBB44_109
.LBB44_146:                             ;   in Loop: Header=BB44_35 Depth=1
	v_cmp_gt_i32_e64 s1, s30, v0
	s_waitcnt vmcnt(0)
	v_cndmask_b32_e64 v37, 0, v37, s1
	v_cmp_gt_i32_e64 s1, s30, v126
	v_cndmask_b32_e64 v38, 0, v38, s1
	v_cmp_gt_i32_e64 s1, s30, v125
	v_cndmask_b32_e64 v39, 0, v39, s1
	v_cmp_gt_i32_e64 s1, s30, v127
	v_cndmask_b32_e64 v40, 0, v40, s1
	s_or_b32 exec_lo, exec_lo, s24
	global_load_dwordx4 v[41:44], v[1:2], off offset:1536
	s_and_saveexec_b32 s24, vcc_lo
	s_cbranch_execnz .LBB44_110
	s_branch .LBB44_111
.LBB44_147:                             ;   in Loop: Header=BB44_35 Depth=1
	v_cmp_gt_i32_e64 s1, s30, v0
	s_waitcnt vmcnt(0)
	v_cndmask_b32_e64 v45, 0, v45, s1
	v_cmp_gt_i32_e64 s1, s30, v126
	v_cndmask_b32_e64 v46, 0, v46, s1
	v_cmp_gt_i32_e64 s1, s30, v125
	v_cndmask_b32_e64 v47, 0, v47, s1
	v_cmp_gt_i32_e64 s1, s30, v127
	v_cndmask_b32_e64 v48, 0, v48, s1
	s_or_b32 exec_lo, exec_lo, s24
	global_load_dwordx4 v[49:52], v[1:2], off offset:512
	s_and_saveexec_b32 s24, vcc_lo
	s_cbranch_execz .LBB44_113
.LBB44_148:                             ;   in Loop: Header=BB44_35 Depth=1
	v_cmp_gt_i32_e64 s1, s30, v0
	s_waitcnt vmcnt(0)
	v_cndmask_b32_e64 v49, 0, v49, s1
	v_cmp_gt_i32_e64 s1, s30, v126
	v_cndmask_b32_e64 v50, 0, v50, s1
	v_cmp_gt_i32_e64 s1, s30, v125
	;; [unrolled: 2-line block ×3, first 2 shown]
	v_cndmask_b32_e64 v52, 0, v52, s1
	s_or_b32 exec_lo, exec_lo, s24
	global_load_dwordx4 v[53:56], v[1:2], off offset:1024
	s_and_saveexec_b32 s24, vcc_lo
	s_cbranch_execz .LBB44_114
.LBB44_149:                             ;   in Loop: Header=BB44_35 Depth=1
	v_cmp_gt_i32_e64 s1, s30, v0
	s_waitcnt vmcnt(0)
	v_cndmask_b32_e64 v53, 0, v53, s1
	v_cmp_gt_i32_e64 s1, s30, v126
	v_cndmask_b32_e64 v54, 0, v54, s1
	v_cmp_gt_i32_e64 s1, s30, v125
	;; [unrolled: 2-line block ×3, first 2 shown]
	v_cndmask_b32_e64 v56, 0, v56, s1
	s_or_b32 exec_lo, exec_lo, s24
	global_load_dwordx4 v[57:60], v[1:2], off offset:1536
	s_and_saveexec_b32 s24, vcc_lo
	s_cbranch_execnz .LBB44_115
	s_branch .LBB44_116
.LBB44_150:                             ;   in Loop: Header=BB44_35 Depth=1
	v_cmp_gt_i32_e64 s1, s30, v0
	s_waitcnt vmcnt(0)
	v_cndmask_b32_e64 v61, 0, v61, s1
	v_cmp_gt_i32_e64 s1, s30, v126
	v_cndmask_b32_e64 v62, 0, v62, s1
	v_cmp_gt_i32_e64 s1, s30, v125
	;; [unrolled: 2-line block ×3, first 2 shown]
	v_cndmask_b32_e64 v64, 0, v64, s1
	s_or_b32 exec_lo, exec_lo, s24
	global_load_dwordx4 v[65:68], v[1:2], off offset:512
	s_and_saveexec_b32 s24, vcc_lo
	s_cbranch_execz .LBB44_118
.LBB44_151:                             ;   in Loop: Header=BB44_35 Depth=1
	v_cmp_gt_i32_e64 s1, s30, v0
	s_waitcnt vmcnt(0)
	v_cndmask_b32_e64 v65, 0, v65, s1
	v_cmp_gt_i32_e64 s1, s30, v126
	v_cndmask_b32_e64 v66, 0, v66, s1
	v_cmp_gt_i32_e64 s1, s30, v125
	;; [unrolled: 2-line block ×3, first 2 shown]
	v_cndmask_b32_e64 v68, 0, v68, s1
	s_or_b32 exec_lo, exec_lo, s24
	global_load_dwordx4 v[69:72], v[1:2], off offset:1024
	s_and_saveexec_b32 s24, vcc_lo
	s_cbranch_execz .LBB44_119
.LBB44_152:                             ;   in Loop: Header=BB44_35 Depth=1
	v_cmp_gt_i32_e64 s1, s30, v0
	s_waitcnt vmcnt(0)
	v_cndmask_b32_e64 v69, 0, v69, s1
	v_cmp_gt_i32_e64 s1, s30, v126
	v_cndmask_b32_e64 v70, 0, v70, s1
	v_cmp_gt_i32_e64 s1, s30, v125
	;; [unrolled: 2-line block ×3, first 2 shown]
	v_cndmask_b32_e64 v72, 0, v72, s1
	s_or_b32 exec_lo, exec_lo, s24
	global_load_dwordx4 v[73:76], v[1:2], off offset:1536
	s_and_saveexec_b32 s24, vcc_lo
	s_cbranch_execnz .LBB44_120
	s_branch .LBB44_121
.LBB44_153:                             ;   in Loop: Header=BB44_35 Depth=1
	v_cmp_gt_i32_e64 s1, s30, v0
	s_waitcnt vmcnt(0)
	v_cndmask_b32_e64 v77, 0, v77, s1
	v_cmp_gt_i32_e64 s1, s30, v126
	v_cndmask_b32_e64 v78, 0, v78, s1
	v_cmp_gt_i32_e64 s1, s30, v125
	v_cndmask_b32_e64 v79, 0, v79, s1
	v_cmp_gt_i32_e64 s1, s30, v127
	v_cndmask_b32_e64 v80, 0, v80, s1
	s_or_b32 exec_lo, exec_lo, s24
	global_load_dwordx4 v[85:88], v[1:2], off offset:512
	s_and_saveexec_b32 s24, vcc_lo
	s_cbranch_execz .LBB44_123
.LBB44_154:                             ;   in Loop: Header=BB44_35 Depth=1
	v_cmp_gt_i32_e64 s1, s30, v0
	s_waitcnt vmcnt(0)
	v_cndmask_b32_e64 v85, 0, v85, s1
	v_cmp_gt_i32_e64 s1, s30, v126
	v_cndmask_b32_e64 v86, 0, v86, s1
	v_cmp_gt_i32_e64 s1, s30, v125
	;; [unrolled: 2-line block ×3, first 2 shown]
	v_cndmask_b32_e64 v88, 0, v88, s1
	s_or_b32 exec_lo, exec_lo, s24
	global_load_dwordx4 v[89:92], v[1:2], off offset:1024
	s_and_saveexec_b32 s24, vcc_lo
	s_cbranch_execz .LBB44_124
.LBB44_155:                             ;   in Loop: Header=BB44_35 Depth=1
	v_cmp_gt_i32_e64 s1, s30, v0
	s_waitcnt vmcnt(0)
	v_cndmask_b32_e64 v89, 0, v89, s1
	v_cmp_gt_i32_e64 s1, s30, v126
	v_cndmask_b32_e64 v90, 0, v90, s1
	v_cmp_gt_i32_e64 s1, s30, v125
	;; [unrolled: 2-line block ×3, first 2 shown]
	v_cndmask_b32_e64 v92, 0, v92, s1
	s_or_b32 exec_lo, exec_lo, s24
	global_load_dwordx4 v[93:96], v[1:2], off offset:1536
	s_and_saveexec_b32 s24, vcc_lo
	s_cbranch_execnz .LBB44_125
	s_branch .LBB44_126
.LBB44_156:                             ;   in Loop: Header=BB44_35 Depth=1
	v_cmp_gt_i32_e64 s1, s30, v0
	s_waitcnt vmcnt(0)
	v_cndmask_b32_e64 v97, 0, v97, s1
	v_cmp_gt_i32_e64 s1, s30, v126
	v_cndmask_b32_e64 v98, 0, v98, s1
	v_cmp_gt_i32_e64 s1, s30, v125
	;; [unrolled: 2-line block ×3, first 2 shown]
	v_cndmask_b32_e64 v100, 0, v100, s1
	s_or_b32 exec_lo, exec_lo, s24
	global_load_dwordx4 v[101:104], v[1:2], off offset:512
	s_and_saveexec_b32 s24, vcc_lo
	s_cbranch_execz .LBB44_128
.LBB44_157:                             ;   in Loop: Header=BB44_35 Depth=1
	v_cmp_gt_i32_e64 s1, s30, v0
	s_waitcnt vmcnt(0)
	v_cndmask_b32_e64 v101, 0, v101, s1
	v_cmp_gt_i32_e64 s1, s30, v126
	v_cndmask_b32_e64 v102, 0, v102, s1
	v_cmp_gt_i32_e64 s1, s30, v125
	;; [unrolled: 2-line block ×3, first 2 shown]
	v_cndmask_b32_e64 v104, 0, v104, s1
	s_or_b32 exec_lo, exec_lo, s24
	global_load_dwordx4 v[105:108], v[1:2], off offset:1024
	s_and_saveexec_b32 s24, vcc_lo
	s_cbranch_execz .LBB44_129
.LBB44_158:                             ;   in Loop: Header=BB44_35 Depth=1
	v_cmp_gt_i32_e64 s1, s30, v0
	s_waitcnt vmcnt(0)
	v_cndmask_b32_e64 v105, 0, v105, s1
	v_cmp_gt_i32_e64 s1, s30, v126
	v_cndmask_b32_e64 v106, 0, v106, s1
	v_cmp_gt_i32_e64 s1, s30, v125
	;; [unrolled: 2-line block ×3, first 2 shown]
	v_cndmask_b32_e64 v108, 0, v108, s1
	s_or_b32 exec_lo, exec_lo, s24
	global_load_dwordx4 v[109:112], v[1:2], off offset:1536
	s_and_saveexec_b32 s24, vcc_lo
	s_cbranch_execnz .LBB44_130
	s_branch .LBB44_131
.LBB44_159:                             ;   in Loop: Header=BB44_35 Depth=1
	v_cmp_gt_i32_e64 s1, s30, v0
	s_waitcnt vmcnt(0)
	v_cndmask_b32_e64 v113, 0, v113, s1
	v_cmp_gt_i32_e64 s1, s30, v126
	v_cndmask_b32_e64 v114, 0, v114, s1
	v_cmp_gt_i32_e64 s1, s30, v125
	;; [unrolled: 2-line block ×3, first 2 shown]
	v_cndmask_b32_e64 v116, 0, v116, s1
	s_or_b32 exec_lo, exec_lo, s24
	global_load_dwordx4 v[117:120], v[1:2], off offset:512
	s_and_saveexec_b32 s24, vcc_lo
	s_cbranch_execz .LBB44_133
.LBB44_160:                             ;   in Loop: Header=BB44_35 Depth=1
	v_cmp_gt_i32_e64 s1, s30, v0
	s_waitcnt vmcnt(0)
	v_cndmask_b32_e64 v117, 0, v117, s1
	v_cmp_gt_i32_e64 s1, s30, v126
	v_cndmask_b32_e64 v118, 0, v118, s1
	v_cmp_gt_i32_e64 s1, s30, v125
	;; [unrolled: 2-line block ×3, first 2 shown]
	v_cndmask_b32_e64 v120, 0, v120, s1
	s_or_b32 exec_lo, exec_lo, s24
	global_load_dwordx4 v[121:124], v[1:2], off offset:1024
	s_and_saveexec_b32 s24, vcc_lo
	s_cbranch_execz .LBB44_134
.LBB44_161:                             ;   in Loop: Header=BB44_35 Depth=1
	v_cmp_gt_i32_e64 s1, s30, v0
	s_waitcnt vmcnt(0)
	v_cndmask_b32_e64 v121, 0, v121, s1
	v_cmp_gt_i32_e64 s1, s30, v126
	v_cndmask_b32_e64 v122, 0, v122, s1
	v_cmp_gt_i32_e64 s1, s30, v125
	;; [unrolled: 2-line block ×3, first 2 shown]
	v_cndmask_b32_e64 v124, 0, v124, s1
	s_or_b32 exec_lo, exec_lo, s24
	global_load_dwordx4 v[1:4], v[1:2], off offset:1536
	s_and_saveexec_b32 s24, vcc_lo
	s_cbranch_execnz .LBB44_135
	s_branch .LBB44_136
.LBB44_162:                             ;   in Loop: Header=BB44_35 Depth=1
	v_cmp_gt_i32_e64 s1, s30, v0
	s_waitcnt vmcnt(0)
	v_cndmask_b32_e64 v9, 0, v9, s1
	v_cmp_gt_i32_e64 s1, s30, v126
	v_cndmask_b32_e64 v10, 0, v10, s1
	v_cmp_gt_i32_e64 s1, s30, v125
	;; [unrolled: 2-line block ×3, first 2 shown]
	v_cndmask_b32_e64 v12, 0, v12, s1
	s_or_b32 exec_lo, exec_lo, s24
	global_load_dwordx4 v[13:16], v[17:18], off offset:512
	s_and_saveexec_b32 s24, vcc_lo
	s_cbranch_execz .LBB44_138
.LBB44_163:                             ;   in Loop: Header=BB44_35 Depth=1
	v_cmp_gt_i32_e64 s1, s30, v0
	s_waitcnt vmcnt(0)
	v_cndmask_b32_e64 v13, 0, v13, s1
	v_cmp_gt_i32_e64 s1, s30, v126
	v_cndmask_b32_e64 v14, 0, v14, s1
	v_cmp_gt_i32_e64 s1, s30, v125
	;; [unrolled: 2-line block ×3, first 2 shown]
	v_cndmask_b32_e64 v16, 0, v16, s1
	s_or_b32 exec_lo, exec_lo, s24
	global_load_dwordx4 v[17:20], v[17:18], off offset:1024
	s_and_saveexec_b32 s24, vcc_lo
	s_cbranch_execnz .LBB44_139
	s_branch .LBB44_140
.LBB44_164:
	s_or_b32 exec_lo, exec_lo, s18
	buffer_load_dword v4, off, s[40:43], 0 offset:836 ; 4-byte Folded Reload
.LBB44_165:
	s_or_b32 exec_lo, exec_lo, s2
	s_clause 0x11
	buffer_load_dword v72, off, s[40:43], 0 offset:908
	buffer_load_dword v82, off, s[40:43], 0 offset:900
	;; [unrolled: 1-line block ×18, first 2 shown]
	v_mov_b32_e32 v64, v10
	s_clause 0x5
	buffer_load_dword v48, off, s[40:43], 0 offset:736
	buffer_load_dword v47, off, s[40:43], 0 offset:732
	;; [unrolled: 1-line block ×6, first 2 shown]
	s_waitcnt vmcnt(24)
	v_mov_b32_e32 v16, v4
	v_mov_b32_e32 v66, v9
	s_clause 0xd
	buffer_load_dword v62, off, s[40:43], 0 offset:672
	buffer_load_dword v61, off, s[40:43], 0 offset:668
	;; [unrolled: 1-line block ×14, first 2 shown]
	v_mov_b32_e32 v76, v66
	v_mov_b32_e32 v73, v64
	s_mov_b32 s2, exec_lo
	s_clause 0xc
	buffer_load_dword v39, off, s[40:43], 0 offset:764
	buffer_load_dword v45, off, s[40:43], 0 offset:760
	;; [unrolled: 1-line block ×13, first 2 shown]
	s_waitcnt vmcnt(50)
	ds_bpermute_b32 v0, v72, v20
	ds_bpermute_b32 v1, v72, v19
	;; [unrolled: 1-line block ×3, first 2 shown]
	s_waitcnt vmcnt(47)
	ds_bpermute_b32 v5, v72, v29
	s_waitcnt vmcnt(46)
	ds_bpermute_b32 v6, v72, v28
	s_waitcnt vmcnt(45)
	ds_bpermute_b32 v7, v72, v27
	s_waitcnt vmcnt(44)
	ds_bpermute_b32 v8, v72, v26
	ds_bpermute_b32 v4, v72, v4
	s_waitcnt vmcnt(42)
	ds_bpermute_b32 v10, v72, v24
	s_waitcnt vmcnt(41)
	;; [unrolled: 2-line block ×4, first 2 shown]
	ds_bpermute_b32 v13, v72, v21
	ds_bpermute_b32 v3, v72, v17
	;; [unrolled: 1-line block ×3, first 2 shown]
	s_waitcnt vmcnt(38)
	ds_bpermute_b32 v14, v72, v38
	s_waitcnt vmcnt(37)
	ds_bpermute_b32 v15, v72, v37
	;; [unrolled: 2-line block ×3, first 2 shown]
	ds_bpermute_b32 v66, v72, v66
	s_waitcnt lgkmcnt(17)
	v_add_f32_e32 v0, v20, v0
	s_waitcnt lgkmcnt(16)
	v_add_f32_e32 v1, v19, v1
	;; [unrolled: 2-line block ×12, first 2 shown]
	ds_bpermute_b32 v21, v82, v5
	ds_bpermute_b32 v22, v82, v6
	ds_bpermute_b32 v23, v82, v7
	ds_bpermute_b32 v24, v82, v8
	ds_bpermute_b32 v26, v82, v10
	ds_bpermute_b32 v16, v82, v0
	s_waitcnt lgkmcnt(11)
	v_add_f32_e32 v3, v17, v3
	ds_bpermute_b32 v17, v82, v1
	ds_bpermute_b32 v18, v82, v2
	;; [unrolled: 1-line block ×5, first 2 shown]
	s_waitcnt lgkmcnt(15)
	v_add_f32_e32 v9, v25, v9
	ds_bpermute_b32 v29, v72, v35
	ds_bpermute_b32 v31, v82, v12
	;; [unrolled: 1-line block ×5, first 2 shown]
	s_waitcnt lgkmcnt(18)
	v_add_f32_e32 v15, v37, v15
	s_waitcnt lgkmcnt(16)
	v_add_f32_e32 v66, v76, v66
	;; [unrolled: 2-line block ×7, first 2 shown]
	ds_bpermute_b32 v6, v87, v21
	s_waitcnt lgkmcnt(11)
	v_add_f32_e32 v0, v0, v16
	ds_bpermute_b32 v8, v87, v23
	s_waitcnt lgkmcnt(11)
	v_add_f32_e32 v16, v1, v17
	s_waitcnt lgkmcnt(10)
	v_add_f32_e32 v17, v2, v18
	ds_bpermute_b32 v7, v87, v22
	ds_bpermute_b32 v1, v87, v0
	s_waitcnt lgkmcnt(9)
	v_add_f32_e32 v18, v3, v19
	v_add_f32_e32 v19, v4, v20
	ds_bpermute_b32 v3, v87, v17
	ds_bpermute_b32 v2, v87, v16
	s_waitcnt lgkmcnt(10)
	v_add_f32_e32 v29, v35, v29
	ds_bpermute_b32 v4, v87, v18
	ds_bpermute_b32 v20, v87, v19
	s_waitcnt lgkmcnt(8)
	v_add_f32_e32 v25, v9, v25
	ds_bpermute_b32 v9, v87, v24
	s_waitcnt lgkmcnt(8)
	v_add_f32_e32 v6, v21, v6
	v_add_f32_e32 v21, v34, v30
	buffer_load_dword v34, off, s[40:43], 0 offset:772 ; 4-byte Folded Reload
	s_waitcnt vmcnt(34)
	ds_bpermute_b32 v10, v72, v33
	s_waitcnt lgkmcnt(8)
	v_add_f32_e32 v8, v23, v8
	s_waitcnt lgkmcnt(7)
	v_add_f32_e32 v7, v22, v7
	;; [unrolled: 2-line block ×3, first 2 shown]
	v_add_f32_e32 v0, v11, v27
	v_add_f32_e32 v27, v36, v28
	s_waitcnt lgkmcnt(5)
	v_add_f32_e32 v3, v17, v3
	ds_bpermute_b32 v22, v82, v29
	s_waitcnt lgkmcnt(5)
	v_add_f32_e32 v2, v16, v2
	ds_bpermute_b32 v17, v87, v0
	s_waitcnt lgkmcnt(5)
	v_add_f32_e32 v4, v18, v4
	s_waitcnt lgkmcnt(4)
	v_add_f32_e32 v5, v19, v20
	v_add_f32_e32 v18, v12, v31
	;; [unrolled: 1-line block ×4, first 2 shown]
	ds_bpermute_b32 v11, v87, v25
	ds_bpermute_b32 v16, v87, v26
	ds_bpermute_b32 v13, v87, v18
	ds_bpermute_b32 v28, v82, v20
	ds_bpermute_b32 v14, v87, v19
	s_waitcnt lgkmcnt(7)
	v_add_f32_e32 v23, v33, v10
	buffer_load_dword v33, off, s[40:43], 0 offset:768 ; 4-byte Folded Reload
	ds_bpermute_b32 v31, v82, v15
	ds_bpermute_b32 v30, v82, v21
	;; [unrolled: 1-line block ×3, first 2 shown]
	v_add_f32_e32 v9, v24, v9
	s_waitcnt vmcnt(13)
	ds_bpermute_b32 v24, v72, v45
	s_waitcnt lgkmcnt(10)
	v_add_f32_e32 v22, v29, v22
	s_waitcnt vmcnt(11)
	ds_bpermute_b32 v29, v72, v44
	s_waitcnt lgkmcnt(10)
	;; [unrolled: 4-line block ×3, first 2 shown]
	v_add_f32_e32 v10, v25, v11
	s_waitcnt lgkmcnt(9)
	v_add_f32_e32 v11, v26, v16
	s_waitcnt lgkmcnt(8)
	;; [unrolled: 2-line block ×4, first 2 shown]
	v_add_f32_e32 v14, v19, v14
	ds_bpermute_b32 v16, v82, v23
	ds_bpermute_b32 v25, v72, v40
	s_waitcnt lgkmcnt(7)
	v_add_f32_e32 v19, v15, v31
	ds_bpermute_b32 v15, v72, v39
	ds_bpermute_b32 v26, v87, v18
	ds_bpermute_b32 v31, v87, v22
	s_waitcnt lgkmcnt(9)
	v_add_f32_e32 v21, v21, v30
	s_waitcnt lgkmcnt(8)
	v_add_f32_e32 v20, v27, v32
	ds_bpermute_b32 v27, v87, v19
	ds_bpermute_b32 v30, v72, v43
	s_waitcnt lgkmcnt(8)
	v_add_f32_e32 v29, v44, v29
	ds_bpermute_b32 v32, v87, v21
	ds_bpermute_b32 v28, v87, v20
	v_add_f32_e32 v24, v45, v24
	s_waitcnt lgkmcnt(8)
	v_add_f32_e32 v23, v23, v16
	s_waitcnt lgkmcnt(7)
	;; [unrolled: 2-line block ×5, first 2 shown]
	v_add_f32_e32 v18, v22, v31
	ds_bpermute_b32 v35, v87, v23
	ds_bpermute_b32 v40, v82, v25
	s_waitcnt lgkmcnt(5)
	v_add_f32_e32 v16, v19, v27
	s_waitcnt lgkmcnt(4)
	v_add_f32_e32 v30, v43, v30
	ds_bpermute_b32 v27, v82, v24
	s_waitcnt lgkmcnt(4)
	v_add_f32_e32 v19, v21, v32
	ds_bpermute_b32 v21, v82, v29
	ds_bpermute_b32 v26, v82, v39
	;; [unrolled: 1-line block ×3, first 2 shown]
	s_waitcnt lgkmcnt(4)
	v_add_f32_e32 v25, v25, v40
	s_waitcnt lgkmcnt(3)
	v_add_f32_e32 v24, v24, v27
	;; [unrolled: 2-line block ×5, first 2 shown]
	ds_bpermute_b32 v40, v87, v24
	ds_bpermute_b32 v44, v87, v29
	;; [unrolled: 1-line block ×4, first 2 shown]
	s_waitcnt lgkmcnt(3)
	v_add_f32_e32 v24, v24, v40
	s_waitcnt vmcnt(1)
	ds_bpermute_b32 v0, v72, v34
	s_waitcnt lgkmcnt(0)
	v_add_f32_e32 v0, v34, v0
	ds_bpermute_b32 v34, v72, v42
	s_waitcnt vmcnt(0)
	ds_bpermute_b32 v17, v72, v33
	ds_bpermute_b32 v37, v82, v0
	s_waitcnt lgkmcnt(1)
	v_add_f32_e32 v33, v33, v17
	v_add_f32_e32 v17, v20, v28
	;; [unrolled: 1-line block ×3, first 2 shown]
	s_waitcnt lgkmcnt(0)
	v_add_f32_e32 v0, v0, v37
	v_add_f32_e32 v20, v23, v35
	ds_bpermute_b32 v38, v82, v33
	v_add_f32_e32 v23, v41, v36
	ds_bpermute_b32 v32, v82, v28
	ds_bpermute_b32 v37, v87, v0
	;; [unrolled: 1-line block ×7, first 2 shown]
	s_waitcnt lgkmcnt(7)
	v_add_f32_e32 v31, v33, v38
	ds_bpermute_b32 v38, v72, v52
	ds_bpermute_b32 v33, v72, v48
	s_waitcnt lgkmcnt(7)
	v_add_f32_e32 v21, v0, v37
	v_add_f32_e32 v28, v28, v32
	ds_bpermute_b32 v27, v87, v31
	s_waitcnt lgkmcnt(3)
	v_add_f32_e32 v25, v25, v41
	s_waitcnt lgkmcnt(2)
	v_add_f32_e32 v38, v52, v38
	buffer_load_dword v52, off, s[40:43], 0 offset:712 ; 4-byte Folded Reload
	ds_bpermute_b32 v43, v72, v50
	s_waitcnt lgkmcnt(2)
	v_add_f32_e32 v32, v48, v33
	s_waitcnt lgkmcnt(1)
	v_add_f32_e32 v22, v31, v27
	v_add_f32_e32 v31, v51, v42
	buffer_load_dword v51, off, s[40:43], 0 offset:708 ; 4-byte Folded Reload
	v_add_f32_e32 v33, v23, v34
	v_add_f32_e32 v34, v47, v35
	;; [unrolled: 1-line block ×3, first 2 shown]
	ds_bpermute_b32 v36, v87, v28
	ds_bpermute_b32 v46, v82, v32
	;; [unrolled: 1-line block ×5, first 2 shown]
	v_add_f32_e32 v23, v26, v39
	ds_bpermute_b32 v0, v82, v38
	v_add_f32_e32 v26, v29, v44
	v_add_f32_e32 v27, v30, v45
	ds_bpermute_b32 v40, v82, v31
	s_waitcnt lgkmcnt(7)
	v_add_f32_e32 v37, v50, v43
	buffer_load_dword v50, off, s[40:43], 0 offset:704 ; 4-byte Folded Reload
	ds_bpermute_b32 v43, v72, v59
	ds_bpermute_b32 v41, v82, v37
	s_waitcnt lgkmcnt(8)
	v_add_f32_e32 v28, v28, v36
	ds_bpermute_b32 v36, v72, v60
	s_waitcnt lgkmcnt(7)
	v_add_f32_e32 v29, v33, v47
	s_waitcnt lgkmcnt(6)
	v_add_f32_e32 v33, v34, v48
	v_add_f32_e32 v32, v32, v46
	ds_bpermute_b32 v46, v72, v55
	s_waitcnt lgkmcnt(6)
	v_add_f32_e32 v34, v35, v49
	s_waitcnt lgkmcnt(5)
	v_add_f32_e32 v0, v38, v0
	ds_bpermute_b32 v44, v87, v33
	ds_bpermute_b32 v47, v72, v56
	;; [unrolled: 1-line block ×4, first 2 shown]
	s_waitcnt lgkmcnt(8)
	v_add_f32_e32 v40, v31, v40
	ds_bpermute_b32 v49, v87, v0
	s_waitcnt lgkmcnt(8)
	v_add_f32_e32 v43, v59, v43
	ds_bpermute_b32 v59, v72, v68
	s_waitcnt lgkmcnt(8)
	v_add_f32_e32 v37, v37, v41
	s_waitcnt lgkmcnt(7)
	v_add_f32_e32 v36, v60, v36
	buffer_load_dword v60, off, s[40:43], 0 offset:676 ; 4-byte Folded Reload
	ds_bpermute_b32 v54, v72, v57
	s_waitcnt lgkmcnt(6)
	v_add_f32_e32 v31, v33, v44
	v_add_f32_e32 v44, v55, v46
	s_waitcnt lgkmcnt(5)
	v_add_f32_e32 v47, v56, v47
	ds_bpermute_b32 v55, v82, v43
	ds_bpermute_b32 v46, v82, v36
	s_waitcnt lgkmcnt(4)
	v_add_f32_e32 v33, v0, v49
	ds_bpermute_b32 v56, v82, v44
	ds_bpermute_b32 v49, v72, v62
	s_waitcnt lgkmcnt(5)
	v_add_f32_e32 v59, v68, v59
	s_waitcnt lgkmcnt(3)
	v_add_f32_e32 v43, v43, v55
	ds_bpermute_b32 v55, v72, v65
	s_waitcnt lgkmcnt(3)
	v_add_f32_e32 v46, v36, v46
	s_waitcnt lgkmcnt(2)
	v_add_f32_e32 v44, v44, v56
	;; [unrolled: 2-line block ×4, first 2 shown]
	buffer_load_dword v65, off, s[40:43], 0 offset:648 ; 4-byte Folded Reload
	s_waitcnt vmcnt(4)
	ds_bpermute_b32 v39, v72, v52
	s_waitcnt vmcnt(3)
	ds_bpermute_b32 v30, v72, v51
	s_waitcnt lgkmcnt(1)
	v_add_f32_e32 v38, v52, v39
	ds_bpermute_b32 v39, v72, v58
	s_waitcnt vmcnt(2)
	ds_bpermute_b32 v42, v72, v50
	s_waitcnt lgkmcnt(2)
	v_add_f32_e32 v48, v51, v30
	ds_bpermute_b32 v41, v82, v38
	ds_bpermute_b32 v51, v87, v37
	v_add_f32_e32 v30, v32, v35
	v_add_f32_e32 v32, v34, v45
	ds_bpermute_b32 v52, v82, v48
	ds_bpermute_b32 v45, v82, v47
	s_waitcnt lgkmcnt(5)
	v_add_f32_e32 v39, v58, v39
	s_waitcnt lgkmcnt(4)
	v_add_f32_e32 v42, v50, v42
	ds_bpermute_b32 v50, v87, v40
	s_waitcnt lgkmcnt(4)
	v_add_f32_e32 v38, v38, v41
	ds_bpermute_b32 v41, v82, v39
	;; [unrolled: 3-line block ×3, first 2 shown]
	s_waitcnt lgkmcnt(4)
	v_add_f32_e32 v37, v48, v52
	s_waitcnt lgkmcnt(3)
	v_add_f32_e32 v45, v47, v45
	ds_bpermute_b32 v47, v87, v44
	ds_bpermute_b32 v0, v87, v38
	s_waitcnt vmcnt(1)
	ds_bpermute_b32 v48, v72, v60
	ds_bpermute_b32 v52, v87, v37
	;; [unrolled: 1-line block ×3, first 2 shown]
	s_waitcnt lgkmcnt(7)
	v_add_f32_e32 v34, v40, v50
	v_add_f32_e32 v40, v57, v54
	ds_bpermute_b32 v50, v72, v61
	ds_bpermute_b32 v54, v72, v69
	s_waitcnt lgkmcnt(8)
	v_add_f32_e32 v56, v39, v41
	ds_bpermute_b32 v41, v87, v43
	ds_bpermute_b32 v51, v82, v40
	s_waitcnt lgkmcnt(9)
	;; [unrolled: 4-line block ×4, first 2 shown]
	v_add_f32_e32 v37, v37, v52
	ds_bpermute_b32 v52, v82, v55
	v_add_f32_e32 v48, v60, v48
	ds_bpermute_b32 v60, v72, v67
	s_waitcnt lgkmcnt(9)
	v_add_f32_e32 v50, v61, v50
	s_waitcnt lgkmcnt(8)
	v_add_f32_e32 v54, v69, v54
	ds_bpermute_b32 v61, v82, v48
	s_waitcnt lgkmcnt(7)
	v_add_f32_e32 v51, v40, v51
	v_add_f32_e32 v40, v43, v41
	;; [unrolled: 1-line block ×3, first 2 shown]
	ds_bpermute_b32 v62, v82, v50
	s_waitcnt lgkmcnt(7)
	v_add_f32_e32 v39, v46, v39
	ds_bpermute_b32 v46, v82, v54
	s_waitcnt lgkmcnt(5)
	v_add_f32_e32 v38, v42, v53
	v_add_f32_e32 v42, v56, v57
	;; [unrolled: 1-line block ×3, first 2 shown]
	ds_bpermute_b32 v45, v82, v59
	ds_bpermute_b32 v63, v87, v51
	v_add_f32_e32 v49, v49, v0
	s_waitcnt lgkmcnt(6)
	v_add_f32_e32 v52, v55, v52
	ds_bpermute_b32 v55, v72, v64
	s_waitcnt lgkmcnt(6)
	v_add_f32_e32 v47, v67, v60
	buffer_load_dword v67, off, s[40:43], 0 offset:644 ; 4-byte Folded Reload
	ds_bpermute_b32 v60, v72, v70
	ds_bpermute_b32 v64, v87, v52
	;; [unrolled: 1-line block ×3, first 2 shown]
	s_waitcnt vmcnt(1)
	ds_bpermute_b32 v53, v72, v65
	ds_bpermute_b32 v56, v82, v47
	s_waitcnt lgkmcnt(10)
	v_add_f32_e32 v48, v48, v61
	s_waitcnt lgkmcnt(9)
	v_add_f32_e32 v50, v50, v62
	ds_bpermute_b32 v62, v72, v74
	s_waitcnt lgkmcnt(9)
	v_add_f32_e32 v54, v54, v46
	ds_bpermute_b32 v58, v87, v50
	;; [unrolled: 3-line block ×5, first 2 shown]
	ds_bpermute_b32 v51, v87, v48
	s_waitcnt lgkmcnt(10)
	v_add_f32_e32 v60, v70, v60
	ds_bpermute_b32 v70, v72, v80
	s_waitcnt lgkmcnt(8)
	v_add_f32_e32 v46, v65, v53
	;; [unrolled: 3-line block ×3, first 2 shown]
	ds_bpermute_b32 v47, v72, v79
	ds_bpermute_b32 v65, v72, v78
	s_waitcnt lgkmcnt(9)
	v_add_f32_e32 v62, v74, v62
	ds_bpermute_b32 v73, v82, v60
	ds_bpermute_b32 v74, v82, v55
	;; [unrolled: 1-line block ×4, first 2 shown]
	s_waitcnt lgkmcnt(11)
	v_add_f32_e32 v45, v75, v45
	ds_bpermute_b32 v75, v82, v62
	ds_bpermute_b32 v76, v82, v45
	s_waitcnt lgkmcnt(9)
	v_add_f32_e32 v70, v80, v70
	s_waitcnt lgkmcnt(8)
	v_add_f32_e32 v53, v83, v53
	;; [unrolled: 2-line block ×3, first 2 shown]
	ds_bpermute_b32 v79, v82, v66
	s_waitcnt lgkmcnt(7)
	v_add_f32_e32 v65, v78, v65
	s_waitcnt lgkmcnt(6)
	v_add_f32_e32 v60, v60, v73
	;; [unrolled: 2-line block ×4, first 2 shown]
	ds_bpermute_b32 v46, v82, v53
	ds_bpermute_b32 v78, v82, v65
	;; [unrolled: 1-line block ×3, first 2 shown]
	s_waitcnt lgkmcnt(5)
	v_add_f32_e32 v62, v62, v75
	ds_bpermute_b32 v83, v87, v55
	s_waitcnt lgkmcnt(5)
	v_add_f32_e32 v76, v45, v76
	ds_bpermute_b32 v84, v87, v62
	v_add_f32_e32 v45, v49, v57
	v_add_f32_e32 v49, v59, v68
	s_waitcnt lgkmcnt(5)
	v_add_f32_e32 v66, v66, v79
	ds_bpermute_b32 v85, v87, v66
	s_waitcnt lgkmcnt(4)
	v_add_f32_e32 v65, v65, v78
	ds_bpermute_b32 v78, v87, v76
	s_waitcnt lgkmcnt(3)
	v_add_f32_e32 v55, v55, v83
	s_waitcnt lgkmcnt(0)
	v_add_f32_e32 v57, v76, v78
	s_waitcnt vmcnt(0)
	ds_bpermute_b32 v0, v72, v67
	s_waitcnt lgkmcnt(0)
	v_add_f32_e32 v0, v67, v0
	ds_bpermute_b32 v67, v72, v77
	ds_bpermute_b32 v72, v72, v81
	;; [unrolled: 1-line block ×3, first 2 shown]
	s_waitcnt lgkmcnt(2)
	v_add_f32_e32 v67, v77, v67
	s_waitcnt lgkmcnt(1)
	v_add_f32_e32 v72, v81, v72
	ds_bpermute_b32 v77, v82, v47
	ds_bpermute_b32 v81, v87, v63
	s_waitcnt lgkmcnt(2)
	v_add_f32_e32 v71, v0, v71
	ds_bpermute_b32 v80, v82, v67
	ds_bpermute_b32 v0, v82, v70
	;; [unrolled: 1-line block ×3, first 2 shown]
	v_add_f32_e32 v82, v53, v46
	v_add_f32_e32 v46, v50, v58
	;; [unrolled: 1-line block ×4, first 2 shown]
	ds_bpermute_b32 v53, v87, v71
	ds_bpermute_b32 v75, v87, v82
	s_waitcnt lgkmcnt(6)
	v_add_f32_e32 v77, v47, v77
	v_add_f32_e32 v47, v54, v61
	s_waitcnt lgkmcnt(4)
	v_add_f32_e32 v67, v67, v80
	s_waitcnt lgkmcnt(3)
	v_add_f32_e32 v70, v70, v0
	v_add_f32_e32 v0, v48, v51
	;; [unrolled: 1-line block ×4, first 2 shown]
	buffer_load_dword v63, off, s[40:43], 0 offset:876 ; 4-byte Folded Reload
	ds_bpermute_b32 v80, v87, v65
	s_waitcnt lgkmcnt(3)
	v_add_f32_e32 v72, v72, v73
	ds_bpermute_b32 v79, v87, v77
	s_waitcnt lgkmcnt(3)
	v_add_f32_e32 v52, v71, v53
	v_add_f32_e32 v53, v60, v74
	;; [unrolled: 1-line block ×3, first 2 shown]
	s_clause 0x1
	buffer_load_dword v66, off, s[40:43], 0 offset:904
	buffer_load_dword v62, off, s[40:43], 0 offset:872
	ds_bpermute_b32 v86, v87, v67
	ds_bpermute_b32 v73, v87, v70
	;; [unrolled: 1-line block ×3, first 2 shown]
	s_waitcnt lgkmcnt(5)
	v_add_f32_e32 v54, v82, v75
	s_waitcnt vmcnt(0) lgkmcnt(0)
	s_waitcnt_vscnt null, 0x0
	s_barrier
	buffer_gl0_inv
	v_add_f32_e32 v59, v65, v80
	v_add_f32_e32 v58, v77, v79
	;; [unrolled: 1-line block ×3, first 2 shown]
	v_and_b32_e32 v65, 7, v63
	v_and_b32_e32 v67, 0x3c0, v63
	v_add_f32_e32 v63, v72, v87
	v_cmp_eq_u32_e32 vcc_lo, 0, v65
	v_lshlrev_b32_e32 v66, 10, v66
	v_lshrrev_b32_e32 v64, 3, v62
	v_add_f32_e32 v62, v70, v73
	v_lshl_add_u32 v65, v64, 2, 0x420
	v_cmpx_eq_u32_e32 64, v67
	s_cbranch_execz .LBB44_168
; %bb.166:
	s_and_b32 exec_lo, exec_lo, vcc_lo
	s_cbranch_execz .LBB44_168
; %bb.167:
	v_add_nc_u32_e32 v67, v65, v66
	v_add_nc_u32_e32 v68, 0xfffff800, v67
	;; [unrolled: 1-line block ×7, first 2 shown]
	ds_write_b32 v68, v1
	ds_write_b32 v69, v2
	;; [unrolled: 1-line block ×4, first 2 shown]
	v_add_nc_u32_e32 v68, 0xfffff860, v67
	v_add_nc_u32_e32 v69, 0xfffff870, v67
	v_add_nc_u32_e32 v70, 0xfffff880, v67
	ds_write_b32 v72, v5
	ds_write_b32 v73, v6
	ds_write_b32 v68, v7
	ds_write_b32 v69, v8
	ds_write_b32 v70, v9
	v_add_nc_u32_e32 v68, 0xfffff890, v67
	v_add_nc_u32_e32 v69, 0xfffff8a0, v67
	v_add_nc_u32_e32 v70, 0xfffff8b0, v67
	v_add_nc_u32_e32 v71, 0xfffff8c0, v67
	v_add_nc_u32_e32 v72, 0xfffff8d0, v67
	ds_write_b32 v68, v10
	ds_write_b32 v69, v11
	ds_write_b32 v70, v12
	ds_write_b32 v71, v13
	ds_write_b32 v72, v14
	v_add_nc_u32_e32 v68, 0xfffff8e0, v67
	v_add_nc_u32_e32 v69, 0xfffff8f0, v67
	;; [unrolled: 10-line block ×11, first 2 shown]
	v_add_nc_u32_e32 v70, 0xfffffbd0, v67
	v_add_nc_u32_e32 v71, 0xfffffbe0, v67
	;; [unrolled: 1-line block ×3, first 2 shown]
	ds_write_b32 v68, v59
	ds_write_b32 v69, v60
	;; [unrolled: 1-line block ×5, first 2 shown]
.LBB44_168:
	s_or_b32 exec_lo, exec_lo, s2
	v_lshlrev_b32_e32 v64, 2, v64
	s_waitcnt lgkmcnt(0)
	s_barrier
	buffer_gl0_inv
	v_add3_u32 v64, 0x420, v66, v64
	s_and_saveexec_b32 s1, s0
	s_cbranch_execz .LBB44_235
; %bb.169:
	s_and_saveexec_b32 s0, vcc_lo
	s_cbranch_execnz .LBB44_307
; %bb.170:
	s_or_b32 exec_lo, exec_lo, s0
	s_and_saveexec_b32 s0, vcc_lo
	s_cbranch_execnz .LBB44_308
.LBB44_171:
	s_or_b32 exec_lo, exec_lo, s0
	s_and_saveexec_b32 s0, vcc_lo
	s_cbranch_execnz .LBB44_309
.LBB44_172:
	s_or_b32 exec_lo, exec_lo, s0
	s_and_saveexec_b32 s0, vcc_lo
	s_cbranch_execnz .LBB44_310
.LBB44_173:
	s_or_b32 exec_lo, exec_lo, s0
	s_and_saveexec_b32 s0, vcc_lo
	s_cbranch_execnz .LBB44_311
.LBB44_174:
	s_or_b32 exec_lo, exec_lo, s0
	s_and_saveexec_b32 s0, vcc_lo
	s_cbranch_execnz .LBB44_312
.LBB44_175:
	s_or_b32 exec_lo, exec_lo, s0
	s_and_saveexec_b32 s0, vcc_lo
	s_cbranch_execnz .LBB44_313
.LBB44_176:
	s_or_b32 exec_lo, exec_lo, s0
	s_and_saveexec_b32 s0, vcc_lo
	s_cbranch_execnz .LBB44_314
.LBB44_177:
	s_or_b32 exec_lo, exec_lo, s0
	s_and_saveexec_b32 s0, vcc_lo
	s_cbranch_execnz .LBB44_315
.LBB44_178:
	s_or_b32 exec_lo, exec_lo, s0
	s_and_saveexec_b32 s0, vcc_lo
	s_cbranch_execnz .LBB44_316
.LBB44_179:
	s_or_b32 exec_lo, exec_lo, s0
	s_and_saveexec_b32 s0, vcc_lo
	s_cbranch_execnz .LBB44_317
.LBB44_180:
	s_or_b32 exec_lo, exec_lo, s0
	s_and_saveexec_b32 s0, vcc_lo
	s_cbranch_execnz .LBB44_318
.LBB44_181:
	s_or_b32 exec_lo, exec_lo, s0
	s_and_saveexec_b32 s0, vcc_lo
	s_cbranch_execnz .LBB44_319
.LBB44_182:
	s_or_b32 exec_lo, exec_lo, s0
	s_and_saveexec_b32 s0, vcc_lo
	s_cbranch_execnz .LBB44_320
.LBB44_183:
	s_or_b32 exec_lo, exec_lo, s0
	s_and_saveexec_b32 s0, vcc_lo
	s_cbranch_execnz .LBB44_321
.LBB44_184:
	s_or_b32 exec_lo, exec_lo, s0
	s_and_saveexec_b32 s0, vcc_lo
	s_cbranch_execnz .LBB44_322
.LBB44_185:
	s_or_b32 exec_lo, exec_lo, s0
	s_and_saveexec_b32 s0, vcc_lo
	s_cbranch_execnz .LBB44_323
.LBB44_186:
	s_or_b32 exec_lo, exec_lo, s0
	s_and_saveexec_b32 s0, vcc_lo
	s_cbranch_execnz .LBB44_324
.LBB44_187:
	s_or_b32 exec_lo, exec_lo, s0
	s_and_saveexec_b32 s0, vcc_lo
	s_cbranch_execnz .LBB44_325
.LBB44_188:
	s_or_b32 exec_lo, exec_lo, s0
	s_and_saveexec_b32 s0, vcc_lo
	s_cbranch_execnz .LBB44_326
.LBB44_189:
	s_or_b32 exec_lo, exec_lo, s0
	s_and_saveexec_b32 s0, vcc_lo
	s_cbranch_execnz .LBB44_327
.LBB44_190:
	s_or_b32 exec_lo, exec_lo, s0
	s_and_saveexec_b32 s0, vcc_lo
	s_cbranch_execnz .LBB44_328
.LBB44_191:
	s_or_b32 exec_lo, exec_lo, s0
	s_and_saveexec_b32 s0, vcc_lo
	s_cbranch_execnz .LBB44_329
.LBB44_192:
	s_or_b32 exec_lo, exec_lo, s0
	s_and_saveexec_b32 s0, vcc_lo
	s_cbranch_execnz .LBB44_330
.LBB44_193:
	s_or_b32 exec_lo, exec_lo, s0
	s_and_saveexec_b32 s0, vcc_lo
	s_cbranch_execnz .LBB44_331
.LBB44_194:
	s_or_b32 exec_lo, exec_lo, s0
	s_and_saveexec_b32 s0, vcc_lo
	s_cbranch_execnz .LBB44_332
.LBB44_195:
	s_or_b32 exec_lo, exec_lo, s0
	s_and_saveexec_b32 s0, vcc_lo
	s_cbranch_execnz .LBB44_333
.LBB44_196:
	s_or_b32 exec_lo, exec_lo, s0
	s_and_saveexec_b32 s0, vcc_lo
	s_cbranch_execnz .LBB44_334
.LBB44_197:
	s_or_b32 exec_lo, exec_lo, s0
	s_and_saveexec_b32 s0, vcc_lo
	s_cbranch_execnz .LBB44_335
.LBB44_198:
	s_or_b32 exec_lo, exec_lo, s0
	s_and_saveexec_b32 s0, vcc_lo
	s_cbranch_execnz .LBB44_336
.LBB44_199:
	s_or_b32 exec_lo, exec_lo, s0
	s_and_saveexec_b32 s0, vcc_lo
	s_cbranch_execnz .LBB44_337
.LBB44_200:
	s_or_b32 exec_lo, exec_lo, s0
	s_and_saveexec_b32 s0, vcc_lo
	s_cbranch_execnz .LBB44_338
.LBB44_201:
	s_or_b32 exec_lo, exec_lo, s0
	s_and_saveexec_b32 s0, vcc_lo
	s_cbranch_execnz .LBB44_339
.LBB44_202:
	s_or_b32 exec_lo, exec_lo, s0
	s_and_saveexec_b32 s0, vcc_lo
	s_cbranch_execnz .LBB44_340
.LBB44_203:
	s_or_b32 exec_lo, exec_lo, s0
	s_and_saveexec_b32 s0, vcc_lo
	s_cbranch_execnz .LBB44_341
.LBB44_204:
	s_or_b32 exec_lo, exec_lo, s0
	s_and_saveexec_b32 s0, vcc_lo
	s_cbranch_execnz .LBB44_342
.LBB44_205:
	s_or_b32 exec_lo, exec_lo, s0
	s_and_saveexec_b32 s0, vcc_lo
	s_cbranch_execnz .LBB44_343
.LBB44_206:
	s_or_b32 exec_lo, exec_lo, s0
	s_and_saveexec_b32 s0, vcc_lo
	s_cbranch_execnz .LBB44_344
.LBB44_207:
	s_or_b32 exec_lo, exec_lo, s0
	s_and_saveexec_b32 s0, vcc_lo
	s_cbranch_execnz .LBB44_345
.LBB44_208:
	s_or_b32 exec_lo, exec_lo, s0
	s_and_saveexec_b32 s0, vcc_lo
	s_cbranch_execnz .LBB44_346
.LBB44_209:
	s_or_b32 exec_lo, exec_lo, s0
	s_and_saveexec_b32 s0, vcc_lo
	s_cbranch_execnz .LBB44_347
.LBB44_210:
	s_or_b32 exec_lo, exec_lo, s0
	s_and_saveexec_b32 s0, vcc_lo
	s_cbranch_execnz .LBB44_348
.LBB44_211:
	s_or_b32 exec_lo, exec_lo, s0
	s_and_saveexec_b32 s0, vcc_lo
	s_cbranch_execnz .LBB44_349
.LBB44_212:
	s_or_b32 exec_lo, exec_lo, s0
	s_and_saveexec_b32 s0, vcc_lo
	s_cbranch_execnz .LBB44_350
.LBB44_213:
	s_or_b32 exec_lo, exec_lo, s0
	s_and_saveexec_b32 s0, vcc_lo
	s_cbranch_execnz .LBB44_351
.LBB44_214:
	s_or_b32 exec_lo, exec_lo, s0
	s_and_saveexec_b32 s0, vcc_lo
	s_cbranch_execnz .LBB44_352
.LBB44_215:
	s_or_b32 exec_lo, exec_lo, s0
	s_and_saveexec_b32 s0, vcc_lo
	s_cbranch_execnz .LBB44_353
.LBB44_216:
	s_or_b32 exec_lo, exec_lo, s0
	s_and_saveexec_b32 s0, vcc_lo
	s_cbranch_execnz .LBB44_354
.LBB44_217:
	s_or_b32 exec_lo, exec_lo, s0
	s_and_saveexec_b32 s0, vcc_lo
	s_cbranch_execnz .LBB44_355
.LBB44_218:
	s_or_b32 exec_lo, exec_lo, s0
	s_and_saveexec_b32 s0, vcc_lo
	s_cbranch_execnz .LBB44_356
.LBB44_219:
	s_or_b32 exec_lo, exec_lo, s0
	s_and_saveexec_b32 s0, vcc_lo
	s_cbranch_execnz .LBB44_357
.LBB44_220:
	s_or_b32 exec_lo, exec_lo, s0
	s_and_saveexec_b32 s0, vcc_lo
	s_cbranch_execnz .LBB44_358
.LBB44_221:
	s_or_b32 exec_lo, exec_lo, s0
	s_and_saveexec_b32 s0, vcc_lo
	s_cbranch_execnz .LBB44_359
.LBB44_222:
	s_or_b32 exec_lo, exec_lo, s0
	s_and_saveexec_b32 s0, vcc_lo
	s_cbranch_execnz .LBB44_360
.LBB44_223:
	s_or_b32 exec_lo, exec_lo, s0
	s_and_saveexec_b32 s0, vcc_lo
	s_cbranch_execnz .LBB44_361
.LBB44_224:
	s_or_b32 exec_lo, exec_lo, s0
	s_and_saveexec_b32 s0, vcc_lo
	s_cbranch_execnz .LBB44_362
.LBB44_225:
	s_or_b32 exec_lo, exec_lo, s0
	s_and_saveexec_b32 s0, vcc_lo
	s_cbranch_execnz .LBB44_363
.LBB44_226:
	s_or_b32 exec_lo, exec_lo, s0
	s_and_saveexec_b32 s0, vcc_lo
	s_cbranch_execnz .LBB44_364
.LBB44_227:
	s_or_b32 exec_lo, exec_lo, s0
	s_and_saveexec_b32 s0, vcc_lo
	s_cbranch_execnz .LBB44_365
.LBB44_228:
	s_or_b32 exec_lo, exec_lo, s0
	s_and_saveexec_b32 s0, vcc_lo
	s_cbranch_execnz .LBB44_366
.LBB44_229:
	s_or_b32 exec_lo, exec_lo, s0
	s_and_saveexec_b32 s0, vcc_lo
	s_cbranch_execnz .LBB44_367
.LBB44_230:
	s_or_b32 exec_lo, exec_lo, s0
	s_and_saveexec_b32 s0, vcc_lo
	s_cbranch_execnz .LBB44_368
.LBB44_231:
	s_or_b32 exec_lo, exec_lo, s0
	s_and_saveexec_b32 s0, vcc_lo
	s_cbranch_execnz .LBB44_369
.LBB44_232:
	s_or_b32 exec_lo, exec_lo, s0
	s_and_saveexec_b32 s0, vcc_lo
	s_cbranch_execz .LBB44_234
.LBB44_233:
	ds_read_b32 v66, v64 offset:1008
	s_waitcnt lgkmcnt(0)
	v_add_f32_e32 v63, v63, v66
.LBB44_234:
	s_or_b32 exec_lo, exec_lo, s0
.LBB44_235:
	s_or_b32 exec_lo, exec_lo, s1
	buffer_load_dword v66, off, s[40:43], 0 offset:876 ; 4-byte Folded Reload
	s_mov_b32 s1, exec_lo
	s_waitcnt vmcnt(0)
	s_barrier
	buffer_gl0_inv
	v_and_b32_e32 v66, 0x3e7, v66
	v_cmpx_eq_u32_e32 32, v66
	s_cbranch_execz .LBB44_237
; %bb.236:
	ds_write2_b32 v65, v1, v2 offset1:4
	ds_write2_b32 v65, v3, v4 offset0:8 offset1:12
	ds_write2_b32 v65, v5, v6 offset0:16 offset1:20
	;; [unrolled: 1-line block ×31, first 2 shown]
.LBB44_237:
	s_or_b32 exec_lo, exec_lo, s1
	buffer_load_dword v65, off, s[40:43], 0 offset:876 ; 4-byte Folded Reload
	s_mov_b32 s1, exec_lo
	s_waitcnt vmcnt(0) lgkmcnt(0)
	s_barrier
	buffer_gl0_inv
	v_cmpx_gt_u32_e32 32, v65
	s_cbranch_execz .LBB44_304
; %bb.238:
	s_and_saveexec_b32 s0, vcc_lo
	s_cbranch_execnz .LBB44_370
; %bb.239:
	s_or_b32 exec_lo, exec_lo, s0
	s_and_saveexec_b32 s0, vcc_lo
	s_cbranch_execnz .LBB44_371
.LBB44_240:
	s_or_b32 exec_lo, exec_lo, s0
	s_and_saveexec_b32 s0, vcc_lo
	s_cbranch_execnz .LBB44_372
.LBB44_241:
	s_or_b32 exec_lo, exec_lo, s0
	s_and_saveexec_b32 s0, vcc_lo
	s_cbranch_execnz .LBB44_373
.LBB44_242:
	s_or_b32 exec_lo, exec_lo, s0
	s_and_saveexec_b32 s0, vcc_lo
	s_cbranch_execnz .LBB44_374
.LBB44_243:
	s_or_b32 exec_lo, exec_lo, s0
	s_and_saveexec_b32 s0, vcc_lo
	s_cbranch_execnz .LBB44_375
.LBB44_244:
	s_or_b32 exec_lo, exec_lo, s0
	s_and_saveexec_b32 s0, vcc_lo
	s_cbranch_execnz .LBB44_376
.LBB44_245:
	s_or_b32 exec_lo, exec_lo, s0
	s_and_saveexec_b32 s0, vcc_lo
	s_cbranch_execnz .LBB44_377
.LBB44_246:
	s_or_b32 exec_lo, exec_lo, s0
	s_and_saveexec_b32 s0, vcc_lo
	s_cbranch_execnz .LBB44_378
.LBB44_247:
	s_or_b32 exec_lo, exec_lo, s0
	s_and_saveexec_b32 s0, vcc_lo
	s_cbranch_execnz .LBB44_379
.LBB44_248:
	s_or_b32 exec_lo, exec_lo, s0
	s_and_saveexec_b32 s0, vcc_lo
	s_cbranch_execnz .LBB44_380
.LBB44_249:
	s_or_b32 exec_lo, exec_lo, s0
	s_and_saveexec_b32 s0, vcc_lo
	s_cbranch_execnz .LBB44_381
.LBB44_250:
	s_or_b32 exec_lo, exec_lo, s0
	s_and_saveexec_b32 s0, vcc_lo
	s_cbranch_execnz .LBB44_382
.LBB44_251:
	s_or_b32 exec_lo, exec_lo, s0
	s_and_saveexec_b32 s0, vcc_lo
	s_cbranch_execnz .LBB44_383
.LBB44_252:
	s_or_b32 exec_lo, exec_lo, s0
	s_and_saveexec_b32 s0, vcc_lo
	s_cbranch_execnz .LBB44_384
.LBB44_253:
	s_or_b32 exec_lo, exec_lo, s0
	s_and_saveexec_b32 s0, vcc_lo
	s_cbranch_execnz .LBB44_385
.LBB44_254:
	s_or_b32 exec_lo, exec_lo, s0
	s_and_saveexec_b32 s0, vcc_lo
	s_cbranch_execnz .LBB44_386
.LBB44_255:
	s_or_b32 exec_lo, exec_lo, s0
	s_and_saveexec_b32 s0, vcc_lo
	s_cbranch_execnz .LBB44_387
.LBB44_256:
	s_or_b32 exec_lo, exec_lo, s0
	s_and_saveexec_b32 s0, vcc_lo
	s_cbranch_execnz .LBB44_388
.LBB44_257:
	s_or_b32 exec_lo, exec_lo, s0
	s_and_saveexec_b32 s0, vcc_lo
	s_cbranch_execnz .LBB44_389
.LBB44_258:
	s_or_b32 exec_lo, exec_lo, s0
	s_and_saveexec_b32 s0, vcc_lo
	s_cbranch_execnz .LBB44_390
.LBB44_259:
	s_or_b32 exec_lo, exec_lo, s0
	s_and_saveexec_b32 s0, vcc_lo
	s_cbranch_execnz .LBB44_391
.LBB44_260:
	s_or_b32 exec_lo, exec_lo, s0
	s_and_saveexec_b32 s0, vcc_lo
	s_cbranch_execnz .LBB44_392
.LBB44_261:
	s_or_b32 exec_lo, exec_lo, s0
	s_and_saveexec_b32 s0, vcc_lo
	s_cbranch_execnz .LBB44_393
.LBB44_262:
	s_or_b32 exec_lo, exec_lo, s0
	s_and_saveexec_b32 s0, vcc_lo
	s_cbranch_execnz .LBB44_394
.LBB44_263:
	s_or_b32 exec_lo, exec_lo, s0
	s_and_saveexec_b32 s0, vcc_lo
	s_cbranch_execnz .LBB44_395
.LBB44_264:
	s_or_b32 exec_lo, exec_lo, s0
	s_and_saveexec_b32 s0, vcc_lo
	s_cbranch_execnz .LBB44_396
.LBB44_265:
	s_or_b32 exec_lo, exec_lo, s0
	s_and_saveexec_b32 s0, vcc_lo
	s_cbranch_execnz .LBB44_397
.LBB44_266:
	s_or_b32 exec_lo, exec_lo, s0
	s_and_saveexec_b32 s0, vcc_lo
	s_cbranch_execnz .LBB44_398
.LBB44_267:
	s_or_b32 exec_lo, exec_lo, s0
	s_and_saveexec_b32 s0, vcc_lo
	s_cbranch_execnz .LBB44_399
.LBB44_268:
	s_or_b32 exec_lo, exec_lo, s0
	s_and_saveexec_b32 s0, vcc_lo
	s_cbranch_execnz .LBB44_400
.LBB44_269:
	s_or_b32 exec_lo, exec_lo, s0
	s_and_saveexec_b32 s0, vcc_lo
	s_cbranch_execnz .LBB44_401
.LBB44_270:
	s_or_b32 exec_lo, exec_lo, s0
	s_and_saveexec_b32 s0, vcc_lo
	s_cbranch_execnz .LBB44_402
.LBB44_271:
	s_or_b32 exec_lo, exec_lo, s0
	s_and_saveexec_b32 s0, vcc_lo
	s_cbranch_execnz .LBB44_403
.LBB44_272:
	s_or_b32 exec_lo, exec_lo, s0
	s_and_saveexec_b32 s0, vcc_lo
	s_cbranch_execnz .LBB44_404
.LBB44_273:
	s_or_b32 exec_lo, exec_lo, s0
	s_and_saveexec_b32 s0, vcc_lo
	s_cbranch_execnz .LBB44_405
.LBB44_274:
	s_or_b32 exec_lo, exec_lo, s0
	s_and_saveexec_b32 s0, vcc_lo
	s_cbranch_execnz .LBB44_406
.LBB44_275:
	s_or_b32 exec_lo, exec_lo, s0
	s_and_saveexec_b32 s0, vcc_lo
	s_cbranch_execnz .LBB44_407
.LBB44_276:
	s_or_b32 exec_lo, exec_lo, s0
	s_and_saveexec_b32 s0, vcc_lo
	s_cbranch_execnz .LBB44_408
.LBB44_277:
	s_or_b32 exec_lo, exec_lo, s0
	s_and_saveexec_b32 s0, vcc_lo
	s_cbranch_execnz .LBB44_409
.LBB44_278:
	s_or_b32 exec_lo, exec_lo, s0
	s_and_saveexec_b32 s0, vcc_lo
	s_cbranch_execnz .LBB44_410
.LBB44_279:
	s_or_b32 exec_lo, exec_lo, s0
	s_and_saveexec_b32 s0, vcc_lo
	s_cbranch_execnz .LBB44_411
.LBB44_280:
	s_or_b32 exec_lo, exec_lo, s0
	s_and_saveexec_b32 s0, vcc_lo
	s_cbranch_execnz .LBB44_412
.LBB44_281:
	s_or_b32 exec_lo, exec_lo, s0
	s_and_saveexec_b32 s0, vcc_lo
	s_cbranch_execnz .LBB44_413
.LBB44_282:
	s_or_b32 exec_lo, exec_lo, s0
	s_and_saveexec_b32 s0, vcc_lo
	s_cbranch_execnz .LBB44_414
.LBB44_283:
	s_or_b32 exec_lo, exec_lo, s0
	s_and_saveexec_b32 s0, vcc_lo
	s_cbranch_execnz .LBB44_415
.LBB44_284:
	s_or_b32 exec_lo, exec_lo, s0
	s_and_saveexec_b32 s0, vcc_lo
	s_cbranch_execnz .LBB44_416
.LBB44_285:
	s_or_b32 exec_lo, exec_lo, s0
	s_and_saveexec_b32 s0, vcc_lo
	s_cbranch_execnz .LBB44_417
.LBB44_286:
	s_or_b32 exec_lo, exec_lo, s0
	s_and_saveexec_b32 s0, vcc_lo
	s_cbranch_execnz .LBB44_418
.LBB44_287:
	s_or_b32 exec_lo, exec_lo, s0
	s_and_saveexec_b32 s0, vcc_lo
	s_cbranch_execnz .LBB44_419
.LBB44_288:
	s_or_b32 exec_lo, exec_lo, s0
	s_and_saveexec_b32 s0, vcc_lo
	s_cbranch_execnz .LBB44_420
.LBB44_289:
	s_or_b32 exec_lo, exec_lo, s0
	s_and_saveexec_b32 s0, vcc_lo
	s_cbranch_execnz .LBB44_421
.LBB44_290:
	s_or_b32 exec_lo, exec_lo, s0
	s_and_saveexec_b32 s0, vcc_lo
	s_cbranch_execnz .LBB44_422
.LBB44_291:
	s_or_b32 exec_lo, exec_lo, s0
	s_and_saveexec_b32 s0, vcc_lo
	s_cbranch_execnz .LBB44_423
.LBB44_292:
	s_or_b32 exec_lo, exec_lo, s0
	s_and_saveexec_b32 s0, vcc_lo
	s_cbranch_execnz .LBB44_424
.LBB44_293:
	s_or_b32 exec_lo, exec_lo, s0
	s_and_saveexec_b32 s0, vcc_lo
	s_cbranch_execnz .LBB44_425
.LBB44_294:
	s_or_b32 exec_lo, exec_lo, s0
	s_and_saveexec_b32 s0, vcc_lo
	s_cbranch_execnz .LBB44_426
.LBB44_295:
	s_or_b32 exec_lo, exec_lo, s0
	s_and_saveexec_b32 s0, vcc_lo
	s_cbranch_execnz .LBB44_427
.LBB44_296:
	s_or_b32 exec_lo, exec_lo, s0
	s_and_saveexec_b32 s0, vcc_lo
	s_cbranch_execnz .LBB44_428
.LBB44_297:
	s_or_b32 exec_lo, exec_lo, s0
	s_and_saveexec_b32 s0, vcc_lo
	s_cbranch_execnz .LBB44_429
.LBB44_298:
	s_or_b32 exec_lo, exec_lo, s0
	s_and_saveexec_b32 s0, vcc_lo
	s_cbranch_execnz .LBB44_430
.LBB44_299:
	s_or_b32 exec_lo, exec_lo, s0
	s_and_saveexec_b32 s0, vcc_lo
	s_cbranch_execnz .LBB44_431
.LBB44_300:
	s_or_b32 exec_lo, exec_lo, s0
	s_and_saveexec_b32 s0, vcc_lo
	s_cbranch_execnz .LBB44_432
.LBB44_301:
	s_or_b32 exec_lo, exec_lo, s0
	s_and_saveexec_b32 s0, vcc_lo
	s_cbranch_execz .LBB44_303
.LBB44_302:
	ds_read_b32 v64, v64 offset:1008
	s_waitcnt lgkmcnt(0)
	v_add_f32_e32 v63, v63, v64
.LBB44_303:
	s_or_b32 exec_lo, exec_lo, s0
.LBB44_304:
	s_or_b32 exec_lo, exec_lo, s1
	s_barrier
	buffer_gl0_inv
	s_mov_b32 s0, exec_lo
	v_cmpx_eq_u32_e32 0, v66
	s_cbranch_execz .LBB44_306
; %bb.305:
	buffer_load_dword v64, off, s[40:43], 0 offset:876 ; 4-byte Folded Reload
	s_mul_i32 s0, s10, s11
	s_mul_i32 s2, s11, s20
	;; [unrolled: 1-line block ×3, first 2 shown]
	s_lshl_b32 s0, s0, 8
	s_ashr_i32 s1, s0, 31
	s_lshl_b64 s[0:1], s[0:1], 2
	s_add_u32 s4, s6, s0
	s_addc_u32 s5, s7, s1
	s_ashr_i32 s3, s2, 31
	s_lshl_b64 s[0:1], s[2:3], 2
	s_add_u32 s2, s4, s0
	s_addc_u32 s3, s5, s1
	s_lshl_b32 s0, s8, 8
	s_ashr_i32 s1, s0, 31
	s_lshl_b64 s[0:1], s[0:1], 2
	s_add_u32 s0, s2, s0
	s_addc_u32 s1, s3, s1
	s_waitcnt vmcnt(0)
	v_lshrrev_b32_e32 v64, 1, v64
	global_store_dword v64, v1, s[0:1]
	global_store_dword v64, v2, s[0:1] offset:16
	global_store_dword v64, v3, s[0:1] offset:32
	global_store_dword v64, v4, s[0:1] offset:48
	global_store_dword v64, v5, s[0:1] offset:64
	global_store_dword v64, v6, s[0:1] offset:80
	global_store_dword v64, v7, s[0:1] offset:96
	global_store_dword v64, v8, s[0:1] offset:112
	global_store_dword v64, v9, s[0:1] offset:128
	global_store_dword v64, v10, s[0:1] offset:144
	global_store_dword v64, v11, s[0:1] offset:160
	global_store_dword v64, v12, s[0:1] offset:176
	global_store_dword v64, v13, s[0:1] offset:192
	global_store_dword v64, v14, s[0:1] offset:208
	global_store_dword v64, v15, s[0:1] offset:224
	global_store_dword v64, v16, s[0:1] offset:240
	global_store_dword v64, v17, s[0:1] offset:256
	global_store_dword v64, v18, s[0:1] offset:272
	global_store_dword v64, v19, s[0:1] offset:288
	global_store_dword v64, v20, s[0:1] offset:304
	global_store_dword v64, v21, s[0:1] offset:320
	global_store_dword v64, v22, s[0:1] offset:336
	global_store_dword v64, v23, s[0:1] offset:352
	global_store_dword v64, v24, s[0:1] offset:368
	global_store_dword v64, v25, s[0:1] offset:384
	global_store_dword v64, v26, s[0:1] offset:400
	global_store_dword v64, v27, s[0:1] offset:416
	global_store_dword v64, v28, s[0:1] offset:432
	global_store_dword v64, v29, s[0:1] offset:448
	global_store_dword v64, v30, s[0:1] offset:464
	global_store_dword v64, v31, s[0:1] offset:480
	global_store_dword v64, v32, s[0:1] offset:496
	global_store_dword v64, v33, s[0:1] offset:512
	global_store_dword v64, v34, s[0:1] offset:528
	global_store_dword v64, v35, s[0:1] offset:544
	global_store_dword v64, v36, s[0:1] offset:560
	global_store_dword v64, v37, s[0:1] offset:576
	global_store_dword v64, v38, s[0:1] offset:592
	global_store_dword v64, v39, s[0:1] offset:608
	global_store_dword v64, v40, s[0:1] offset:624
	global_store_dword v64, v41, s[0:1] offset:640
	global_store_dword v64, v42, s[0:1] offset:656
	global_store_dword v64, v43, s[0:1] offset:672
	global_store_dword v64, v44, s[0:1] offset:688
	global_store_dword v64, v0, s[0:1] offset:704
	global_store_dword v64, v45, s[0:1] offset:720
	global_store_dword v64, v46, s[0:1] offset:736
	global_store_dword v64, v47, s[0:1] offset:752
	global_store_dword v64, v48, s[0:1] offset:768
	global_store_dword v64, v49, s[0:1] offset:784
	global_store_dword v64, v50, s[0:1] offset:800
	global_store_dword v64, v51, s[0:1] offset:816
	global_store_dword v64, v52, s[0:1] offset:832
	global_store_dword v64, v53, s[0:1] offset:848
	global_store_dword v64, v54, s[0:1] offset:864
	global_store_dword v64, v55, s[0:1] offset:880
	global_store_dword v64, v56, s[0:1] offset:896
	global_store_dword v64, v57, s[0:1] offset:912
	global_store_dword v64, v58, s[0:1] offset:928
	global_store_dword v64, v59, s[0:1] offset:944
	global_store_dword v64, v60, s[0:1] offset:960
	global_store_dword v64, v61, s[0:1] offset:976
	global_store_dword v64, v62, s[0:1] offset:992
	global_store_dword v64, v63, s[0:1] offset:1008
.LBB44_306:
	s_endpgm
.LBB44_307:
	ds_read_b32 v66, v64
	s_waitcnt lgkmcnt(0)
	v_add_f32_e32 v1, v1, v66
	s_or_b32 exec_lo, exec_lo, s0
	s_and_saveexec_b32 s0, vcc_lo
	s_cbranch_execz .LBB44_171
.LBB44_308:
	ds_read_b32 v66, v64 offset:16
	s_waitcnt lgkmcnt(0)
	v_add_f32_e32 v2, v2, v66
	s_or_b32 exec_lo, exec_lo, s0
	s_and_saveexec_b32 s0, vcc_lo
	s_cbranch_execz .LBB44_172
.LBB44_309:
	ds_read_b32 v66, v64 offset:32
	s_waitcnt lgkmcnt(0)
	v_add_f32_e32 v3, v3, v66
	s_or_b32 exec_lo, exec_lo, s0
	s_and_saveexec_b32 s0, vcc_lo
	s_cbranch_execz .LBB44_173
.LBB44_310:
	ds_read_b32 v66, v64 offset:48
	s_waitcnt lgkmcnt(0)
	v_add_f32_e32 v4, v4, v66
	s_or_b32 exec_lo, exec_lo, s0
	s_and_saveexec_b32 s0, vcc_lo
	s_cbranch_execz .LBB44_174
.LBB44_311:
	ds_read_b32 v66, v64 offset:64
	s_waitcnt lgkmcnt(0)
	v_add_f32_e32 v5, v5, v66
	s_or_b32 exec_lo, exec_lo, s0
	s_and_saveexec_b32 s0, vcc_lo
	s_cbranch_execz .LBB44_175
.LBB44_312:
	ds_read_b32 v66, v64 offset:80
	s_waitcnt lgkmcnt(0)
	v_add_f32_e32 v6, v6, v66
	s_or_b32 exec_lo, exec_lo, s0
	s_and_saveexec_b32 s0, vcc_lo
	s_cbranch_execz .LBB44_176
.LBB44_313:
	ds_read_b32 v66, v64 offset:96
	s_waitcnt lgkmcnt(0)
	v_add_f32_e32 v7, v7, v66
	s_or_b32 exec_lo, exec_lo, s0
	s_and_saveexec_b32 s0, vcc_lo
	s_cbranch_execz .LBB44_177
.LBB44_314:
	ds_read_b32 v66, v64 offset:112
	s_waitcnt lgkmcnt(0)
	v_add_f32_e32 v8, v8, v66
	s_or_b32 exec_lo, exec_lo, s0
	s_and_saveexec_b32 s0, vcc_lo
	s_cbranch_execz .LBB44_178
.LBB44_315:
	ds_read_b32 v66, v64 offset:128
	s_waitcnt lgkmcnt(0)
	v_add_f32_e32 v9, v9, v66
	s_or_b32 exec_lo, exec_lo, s0
	s_and_saveexec_b32 s0, vcc_lo
	s_cbranch_execz .LBB44_179
.LBB44_316:
	ds_read_b32 v66, v64 offset:144
	s_waitcnt lgkmcnt(0)
	v_add_f32_e32 v10, v10, v66
	s_or_b32 exec_lo, exec_lo, s0
	s_and_saveexec_b32 s0, vcc_lo
	s_cbranch_execz .LBB44_180
.LBB44_317:
	ds_read_b32 v66, v64 offset:160
	s_waitcnt lgkmcnt(0)
	v_add_f32_e32 v11, v11, v66
	s_or_b32 exec_lo, exec_lo, s0
	s_and_saveexec_b32 s0, vcc_lo
	s_cbranch_execz .LBB44_181
.LBB44_318:
	ds_read_b32 v66, v64 offset:176
	s_waitcnt lgkmcnt(0)
	v_add_f32_e32 v12, v12, v66
	s_or_b32 exec_lo, exec_lo, s0
	s_and_saveexec_b32 s0, vcc_lo
	s_cbranch_execz .LBB44_182
.LBB44_319:
	ds_read_b32 v66, v64 offset:192
	s_waitcnt lgkmcnt(0)
	v_add_f32_e32 v13, v13, v66
	s_or_b32 exec_lo, exec_lo, s0
	s_and_saveexec_b32 s0, vcc_lo
	s_cbranch_execz .LBB44_183
.LBB44_320:
	ds_read_b32 v66, v64 offset:208
	s_waitcnt lgkmcnt(0)
	v_add_f32_e32 v14, v14, v66
	s_or_b32 exec_lo, exec_lo, s0
	s_and_saveexec_b32 s0, vcc_lo
	s_cbranch_execz .LBB44_184
.LBB44_321:
	ds_read_b32 v66, v64 offset:224
	s_waitcnt lgkmcnt(0)
	v_add_f32_e32 v15, v15, v66
	s_or_b32 exec_lo, exec_lo, s0
	s_and_saveexec_b32 s0, vcc_lo
	s_cbranch_execz .LBB44_185
.LBB44_322:
	ds_read_b32 v66, v64 offset:240
	s_waitcnt lgkmcnt(0)
	v_add_f32_e32 v16, v16, v66
	s_or_b32 exec_lo, exec_lo, s0
	s_and_saveexec_b32 s0, vcc_lo
	s_cbranch_execz .LBB44_186
.LBB44_323:
	ds_read_b32 v66, v64 offset:256
	s_waitcnt lgkmcnt(0)
	v_add_f32_e32 v17, v17, v66
	s_or_b32 exec_lo, exec_lo, s0
	s_and_saveexec_b32 s0, vcc_lo
	s_cbranch_execz .LBB44_187
.LBB44_324:
	ds_read_b32 v66, v64 offset:272
	s_waitcnt lgkmcnt(0)
	v_add_f32_e32 v18, v18, v66
	s_or_b32 exec_lo, exec_lo, s0
	s_and_saveexec_b32 s0, vcc_lo
	s_cbranch_execz .LBB44_188
.LBB44_325:
	ds_read_b32 v66, v64 offset:288
	s_waitcnt lgkmcnt(0)
	v_add_f32_e32 v19, v19, v66
	s_or_b32 exec_lo, exec_lo, s0
	s_and_saveexec_b32 s0, vcc_lo
	s_cbranch_execz .LBB44_189
.LBB44_326:
	ds_read_b32 v66, v64 offset:304
	s_waitcnt lgkmcnt(0)
	v_add_f32_e32 v20, v20, v66
	s_or_b32 exec_lo, exec_lo, s0
	s_and_saveexec_b32 s0, vcc_lo
	s_cbranch_execz .LBB44_190
.LBB44_327:
	ds_read_b32 v66, v64 offset:320
	s_waitcnt lgkmcnt(0)
	v_add_f32_e32 v21, v21, v66
	s_or_b32 exec_lo, exec_lo, s0
	s_and_saveexec_b32 s0, vcc_lo
	s_cbranch_execz .LBB44_191
.LBB44_328:
	ds_read_b32 v66, v64 offset:336
	s_waitcnt lgkmcnt(0)
	v_add_f32_e32 v22, v22, v66
	s_or_b32 exec_lo, exec_lo, s0
	s_and_saveexec_b32 s0, vcc_lo
	s_cbranch_execz .LBB44_192
.LBB44_329:
	ds_read_b32 v66, v64 offset:352
	s_waitcnt lgkmcnt(0)
	v_add_f32_e32 v23, v23, v66
	s_or_b32 exec_lo, exec_lo, s0
	s_and_saveexec_b32 s0, vcc_lo
	s_cbranch_execz .LBB44_193
.LBB44_330:
	ds_read_b32 v66, v64 offset:368
	s_waitcnt lgkmcnt(0)
	v_add_f32_e32 v24, v24, v66
	s_or_b32 exec_lo, exec_lo, s0
	s_and_saveexec_b32 s0, vcc_lo
	s_cbranch_execz .LBB44_194
.LBB44_331:
	ds_read_b32 v66, v64 offset:384
	s_waitcnt lgkmcnt(0)
	v_add_f32_e32 v25, v25, v66
	s_or_b32 exec_lo, exec_lo, s0
	s_and_saveexec_b32 s0, vcc_lo
	s_cbranch_execz .LBB44_195
.LBB44_332:
	ds_read_b32 v66, v64 offset:400
	s_waitcnt lgkmcnt(0)
	v_add_f32_e32 v26, v26, v66
	s_or_b32 exec_lo, exec_lo, s0
	s_and_saveexec_b32 s0, vcc_lo
	s_cbranch_execz .LBB44_196
.LBB44_333:
	ds_read_b32 v66, v64 offset:416
	s_waitcnt lgkmcnt(0)
	v_add_f32_e32 v27, v27, v66
	s_or_b32 exec_lo, exec_lo, s0
	s_and_saveexec_b32 s0, vcc_lo
	s_cbranch_execz .LBB44_197
.LBB44_334:
	ds_read_b32 v66, v64 offset:432
	s_waitcnt lgkmcnt(0)
	v_add_f32_e32 v28, v28, v66
	s_or_b32 exec_lo, exec_lo, s0
	s_and_saveexec_b32 s0, vcc_lo
	s_cbranch_execz .LBB44_198
.LBB44_335:
	ds_read_b32 v66, v64 offset:448
	s_waitcnt lgkmcnt(0)
	v_add_f32_e32 v29, v29, v66
	s_or_b32 exec_lo, exec_lo, s0
	s_and_saveexec_b32 s0, vcc_lo
	s_cbranch_execz .LBB44_199
.LBB44_336:
	ds_read_b32 v66, v64 offset:464
	s_waitcnt lgkmcnt(0)
	v_add_f32_e32 v30, v30, v66
	s_or_b32 exec_lo, exec_lo, s0
	s_and_saveexec_b32 s0, vcc_lo
	s_cbranch_execz .LBB44_200
.LBB44_337:
	ds_read_b32 v66, v64 offset:480
	s_waitcnt lgkmcnt(0)
	v_add_f32_e32 v31, v31, v66
	s_or_b32 exec_lo, exec_lo, s0
	s_and_saveexec_b32 s0, vcc_lo
	s_cbranch_execz .LBB44_201
.LBB44_338:
	ds_read_b32 v66, v64 offset:496
	s_waitcnt lgkmcnt(0)
	v_add_f32_e32 v32, v32, v66
	s_or_b32 exec_lo, exec_lo, s0
	s_and_saveexec_b32 s0, vcc_lo
	s_cbranch_execz .LBB44_202
.LBB44_339:
	ds_read_b32 v66, v64 offset:512
	s_waitcnt lgkmcnt(0)
	v_add_f32_e32 v33, v33, v66
	s_or_b32 exec_lo, exec_lo, s0
	s_and_saveexec_b32 s0, vcc_lo
	s_cbranch_execz .LBB44_203
.LBB44_340:
	ds_read_b32 v66, v64 offset:528
	s_waitcnt lgkmcnt(0)
	v_add_f32_e32 v34, v34, v66
	s_or_b32 exec_lo, exec_lo, s0
	s_and_saveexec_b32 s0, vcc_lo
	s_cbranch_execz .LBB44_204
.LBB44_341:
	ds_read_b32 v66, v64 offset:544
	s_waitcnt lgkmcnt(0)
	v_add_f32_e32 v35, v35, v66
	s_or_b32 exec_lo, exec_lo, s0
	s_and_saveexec_b32 s0, vcc_lo
	s_cbranch_execz .LBB44_205
.LBB44_342:
	ds_read_b32 v66, v64 offset:560
	s_waitcnt lgkmcnt(0)
	v_add_f32_e32 v36, v36, v66
	s_or_b32 exec_lo, exec_lo, s0
	s_and_saveexec_b32 s0, vcc_lo
	s_cbranch_execz .LBB44_206
.LBB44_343:
	ds_read_b32 v66, v64 offset:576
	s_waitcnt lgkmcnt(0)
	v_add_f32_e32 v37, v37, v66
	s_or_b32 exec_lo, exec_lo, s0
	s_and_saveexec_b32 s0, vcc_lo
	s_cbranch_execz .LBB44_207
.LBB44_344:
	ds_read_b32 v66, v64 offset:592
	s_waitcnt lgkmcnt(0)
	v_add_f32_e32 v38, v38, v66
	s_or_b32 exec_lo, exec_lo, s0
	s_and_saveexec_b32 s0, vcc_lo
	s_cbranch_execz .LBB44_208
.LBB44_345:
	ds_read_b32 v66, v64 offset:608
	s_waitcnt lgkmcnt(0)
	v_add_f32_e32 v39, v39, v66
	s_or_b32 exec_lo, exec_lo, s0
	s_and_saveexec_b32 s0, vcc_lo
	s_cbranch_execz .LBB44_209
.LBB44_346:
	ds_read_b32 v66, v64 offset:624
	s_waitcnt lgkmcnt(0)
	v_add_f32_e32 v40, v40, v66
	s_or_b32 exec_lo, exec_lo, s0
	s_and_saveexec_b32 s0, vcc_lo
	s_cbranch_execz .LBB44_210
.LBB44_347:
	ds_read_b32 v66, v64 offset:640
	s_waitcnt lgkmcnt(0)
	v_add_f32_e32 v41, v41, v66
	s_or_b32 exec_lo, exec_lo, s0
	s_and_saveexec_b32 s0, vcc_lo
	s_cbranch_execz .LBB44_211
.LBB44_348:
	ds_read_b32 v66, v64 offset:656
	s_waitcnt lgkmcnt(0)
	v_add_f32_e32 v42, v42, v66
	s_or_b32 exec_lo, exec_lo, s0
	s_and_saveexec_b32 s0, vcc_lo
	s_cbranch_execz .LBB44_212
.LBB44_349:
	ds_read_b32 v66, v64 offset:672
	s_waitcnt lgkmcnt(0)
	v_add_f32_e32 v43, v43, v66
	s_or_b32 exec_lo, exec_lo, s0
	s_and_saveexec_b32 s0, vcc_lo
	s_cbranch_execz .LBB44_213
.LBB44_350:
	ds_read_b32 v66, v64 offset:688
	s_waitcnt lgkmcnt(0)
	v_add_f32_e32 v44, v44, v66
	s_or_b32 exec_lo, exec_lo, s0
	s_and_saveexec_b32 s0, vcc_lo
	s_cbranch_execz .LBB44_214
.LBB44_351:
	ds_read_b32 v66, v64 offset:704
	s_waitcnt lgkmcnt(0)
	v_add_f32_e32 v0, v0, v66
	s_or_b32 exec_lo, exec_lo, s0
	s_and_saveexec_b32 s0, vcc_lo
	s_cbranch_execz .LBB44_215
.LBB44_352:
	ds_read_b32 v66, v64 offset:720
	s_waitcnt lgkmcnt(0)
	v_add_f32_e32 v45, v45, v66
	s_or_b32 exec_lo, exec_lo, s0
	s_and_saveexec_b32 s0, vcc_lo
	s_cbranch_execz .LBB44_216
.LBB44_353:
	ds_read_b32 v66, v64 offset:736
	s_waitcnt lgkmcnt(0)
	v_add_f32_e32 v46, v46, v66
	s_or_b32 exec_lo, exec_lo, s0
	s_and_saveexec_b32 s0, vcc_lo
	s_cbranch_execz .LBB44_217
.LBB44_354:
	ds_read_b32 v66, v64 offset:752
	s_waitcnt lgkmcnt(0)
	v_add_f32_e32 v47, v47, v66
	s_or_b32 exec_lo, exec_lo, s0
	s_and_saveexec_b32 s0, vcc_lo
	s_cbranch_execz .LBB44_218
.LBB44_355:
	ds_read_b32 v66, v64 offset:768
	s_waitcnt lgkmcnt(0)
	v_add_f32_e32 v48, v48, v66
	s_or_b32 exec_lo, exec_lo, s0
	s_and_saveexec_b32 s0, vcc_lo
	s_cbranch_execz .LBB44_219
.LBB44_356:
	ds_read_b32 v66, v64 offset:784
	s_waitcnt lgkmcnt(0)
	v_add_f32_e32 v49, v49, v66
	s_or_b32 exec_lo, exec_lo, s0
	s_and_saveexec_b32 s0, vcc_lo
	s_cbranch_execz .LBB44_220
.LBB44_357:
	ds_read_b32 v66, v64 offset:800
	s_waitcnt lgkmcnt(0)
	v_add_f32_e32 v50, v50, v66
	s_or_b32 exec_lo, exec_lo, s0
	s_and_saveexec_b32 s0, vcc_lo
	s_cbranch_execz .LBB44_221
.LBB44_358:
	ds_read_b32 v66, v64 offset:816
	s_waitcnt lgkmcnt(0)
	v_add_f32_e32 v51, v51, v66
	s_or_b32 exec_lo, exec_lo, s0
	s_and_saveexec_b32 s0, vcc_lo
	s_cbranch_execz .LBB44_222
.LBB44_359:
	ds_read_b32 v66, v64 offset:832
	s_waitcnt lgkmcnt(0)
	v_add_f32_e32 v52, v52, v66
	s_or_b32 exec_lo, exec_lo, s0
	s_and_saveexec_b32 s0, vcc_lo
	s_cbranch_execz .LBB44_223
.LBB44_360:
	ds_read_b32 v66, v64 offset:848
	s_waitcnt lgkmcnt(0)
	v_add_f32_e32 v53, v53, v66
	s_or_b32 exec_lo, exec_lo, s0
	s_and_saveexec_b32 s0, vcc_lo
	s_cbranch_execz .LBB44_224
.LBB44_361:
	ds_read_b32 v66, v64 offset:864
	s_waitcnt lgkmcnt(0)
	v_add_f32_e32 v54, v54, v66
	s_or_b32 exec_lo, exec_lo, s0
	s_and_saveexec_b32 s0, vcc_lo
	s_cbranch_execz .LBB44_225
.LBB44_362:
	ds_read_b32 v66, v64 offset:880
	s_waitcnt lgkmcnt(0)
	v_add_f32_e32 v55, v55, v66
	s_or_b32 exec_lo, exec_lo, s0
	s_and_saveexec_b32 s0, vcc_lo
	s_cbranch_execz .LBB44_226
.LBB44_363:
	ds_read_b32 v66, v64 offset:896
	s_waitcnt lgkmcnt(0)
	v_add_f32_e32 v56, v56, v66
	s_or_b32 exec_lo, exec_lo, s0
	s_and_saveexec_b32 s0, vcc_lo
	s_cbranch_execz .LBB44_227
.LBB44_364:
	ds_read_b32 v66, v64 offset:912
	s_waitcnt lgkmcnt(0)
	v_add_f32_e32 v57, v57, v66
	s_or_b32 exec_lo, exec_lo, s0
	s_and_saveexec_b32 s0, vcc_lo
	s_cbranch_execz .LBB44_228
.LBB44_365:
	ds_read_b32 v66, v64 offset:928
	s_waitcnt lgkmcnt(0)
	v_add_f32_e32 v58, v58, v66
	s_or_b32 exec_lo, exec_lo, s0
	s_and_saveexec_b32 s0, vcc_lo
	s_cbranch_execz .LBB44_229
.LBB44_366:
	ds_read_b32 v66, v64 offset:944
	s_waitcnt lgkmcnt(0)
	v_add_f32_e32 v59, v59, v66
	s_or_b32 exec_lo, exec_lo, s0
	s_and_saveexec_b32 s0, vcc_lo
	s_cbranch_execz .LBB44_230
.LBB44_367:
	ds_read_b32 v66, v64 offset:960
	s_waitcnt lgkmcnt(0)
	v_add_f32_e32 v60, v60, v66
	s_or_b32 exec_lo, exec_lo, s0
	s_and_saveexec_b32 s0, vcc_lo
	s_cbranch_execz .LBB44_231
.LBB44_368:
	ds_read_b32 v66, v64 offset:976
	s_waitcnt lgkmcnt(0)
	v_add_f32_e32 v61, v61, v66
	s_or_b32 exec_lo, exec_lo, s0
	s_and_saveexec_b32 s0, vcc_lo
	s_cbranch_execz .LBB44_232
.LBB44_369:
	ds_read_b32 v66, v64 offset:992
	s_waitcnt lgkmcnt(0)
	v_add_f32_e32 v62, v62, v66
	s_or_b32 exec_lo, exec_lo, s0
	s_and_saveexec_b32 s0, vcc_lo
	s_cbranch_execnz .LBB44_233
	s_branch .LBB44_234
.LBB44_370:
	ds_read_b32 v65, v64
	s_waitcnt lgkmcnt(0)
	v_add_f32_e32 v1, v1, v65
	s_or_b32 exec_lo, exec_lo, s0
	s_and_saveexec_b32 s0, vcc_lo
	s_cbranch_execz .LBB44_240
.LBB44_371:
	ds_read_b32 v65, v64 offset:16
	s_waitcnt lgkmcnt(0)
	v_add_f32_e32 v2, v2, v65
	s_or_b32 exec_lo, exec_lo, s0
	s_and_saveexec_b32 s0, vcc_lo
	s_cbranch_execz .LBB44_241
.LBB44_372:
	ds_read_b32 v65, v64 offset:32
	s_waitcnt lgkmcnt(0)
	v_add_f32_e32 v3, v3, v65
	s_or_b32 exec_lo, exec_lo, s0
	s_and_saveexec_b32 s0, vcc_lo
	s_cbranch_execz .LBB44_242
.LBB44_373:
	ds_read_b32 v65, v64 offset:48
	s_waitcnt lgkmcnt(0)
	v_add_f32_e32 v4, v4, v65
	s_or_b32 exec_lo, exec_lo, s0
	s_and_saveexec_b32 s0, vcc_lo
	s_cbranch_execz .LBB44_243
.LBB44_374:
	ds_read_b32 v65, v64 offset:64
	s_waitcnt lgkmcnt(0)
	v_add_f32_e32 v5, v5, v65
	s_or_b32 exec_lo, exec_lo, s0
	s_and_saveexec_b32 s0, vcc_lo
	s_cbranch_execz .LBB44_244
.LBB44_375:
	ds_read_b32 v65, v64 offset:80
	s_waitcnt lgkmcnt(0)
	v_add_f32_e32 v6, v6, v65
	s_or_b32 exec_lo, exec_lo, s0
	s_and_saveexec_b32 s0, vcc_lo
	s_cbranch_execz .LBB44_245
.LBB44_376:
	ds_read_b32 v65, v64 offset:96
	s_waitcnt lgkmcnt(0)
	v_add_f32_e32 v7, v7, v65
	s_or_b32 exec_lo, exec_lo, s0
	s_and_saveexec_b32 s0, vcc_lo
	s_cbranch_execz .LBB44_246
.LBB44_377:
	ds_read_b32 v65, v64 offset:112
	s_waitcnt lgkmcnt(0)
	v_add_f32_e32 v8, v8, v65
	s_or_b32 exec_lo, exec_lo, s0
	s_and_saveexec_b32 s0, vcc_lo
	s_cbranch_execz .LBB44_247
.LBB44_378:
	ds_read_b32 v65, v64 offset:128
	s_waitcnt lgkmcnt(0)
	v_add_f32_e32 v9, v9, v65
	s_or_b32 exec_lo, exec_lo, s0
	s_and_saveexec_b32 s0, vcc_lo
	s_cbranch_execz .LBB44_248
.LBB44_379:
	ds_read_b32 v65, v64 offset:144
	s_waitcnt lgkmcnt(0)
	v_add_f32_e32 v10, v10, v65
	s_or_b32 exec_lo, exec_lo, s0
	s_and_saveexec_b32 s0, vcc_lo
	s_cbranch_execz .LBB44_249
.LBB44_380:
	ds_read_b32 v65, v64 offset:160
	s_waitcnt lgkmcnt(0)
	v_add_f32_e32 v11, v11, v65
	s_or_b32 exec_lo, exec_lo, s0
	s_and_saveexec_b32 s0, vcc_lo
	s_cbranch_execz .LBB44_250
.LBB44_381:
	ds_read_b32 v65, v64 offset:176
	s_waitcnt lgkmcnt(0)
	v_add_f32_e32 v12, v12, v65
	s_or_b32 exec_lo, exec_lo, s0
	s_and_saveexec_b32 s0, vcc_lo
	s_cbranch_execz .LBB44_251
.LBB44_382:
	ds_read_b32 v65, v64 offset:192
	s_waitcnt lgkmcnt(0)
	v_add_f32_e32 v13, v13, v65
	s_or_b32 exec_lo, exec_lo, s0
	s_and_saveexec_b32 s0, vcc_lo
	s_cbranch_execz .LBB44_252
.LBB44_383:
	ds_read_b32 v65, v64 offset:208
	s_waitcnt lgkmcnt(0)
	v_add_f32_e32 v14, v14, v65
	s_or_b32 exec_lo, exec_lo, s0
	s_and_saveexec_b32 s0, vcc_lo
	s_cbranch_execz .LBB44_253
.LBB44_384:
	ds_read_b32 v65, v64 offset:224
	s_waitcnt lgkmcnt(0)
	v_add_f32_e32 v15, v15, v65
	s_or_b32 exec_lo, exec_lo, s0
	s_and_saveexec_b32 s0, vcc_lo
	s_cbranch_execz .LBB44_254
.LBB44_385:
	ds_read_b32 v65, v64 offset:240
	s_waitcnt lgkmcnt(0)
	v_add_f32_e32 v16, v16, v65
	s_or_b32 exec_lo, exec_lo, s0
	s_and_saveexec_b32 s0, vcc_lo
	s_cbranch_execz .LBB44_255
.LBB44_386:
	ds_read_b32 v65, v64 offset:256
	s_waitcnt lgkmcnt(0)
	v_add_f32_e32 v17, v17, v65
	s_or_b32 exec_lo, exec_lo, s0
	s_and_saveexec_b32 s0, vcc_lo
	s_cbranch_execz .LBB44_256
.LBB44_387:
	ds_read_b32 v65, v64 offset:272
	s_waitcnt lgkmcnt(0)
	v_add_f32_e32 v18, v18, v65
	s_or_b32 exec_lo, exec_lo, s0
	s_and_saveexec_b32 s0, vcc_lo
	s_cbranch_execz .LBB44_257
.LBB44_388:
	ds_read_b32 v65, v64 offset:288
	s_waitcnt lgkmcnt(0)
	v_add_f32_e32 v19, v19, v65
	s_or_b32 exec_lo, exec_lo, s0
	s_and_saveexec_b32 s0, vcc_lo
	s_cbranch_execz .LBB44_258
.LBB44_389:
	ds_read_b32 v65, v64 offset:304
	s_waitcnt lgkmcnt(0)
	v_add_f32_e32 v20, v20, v65
	s_or_b32 exec_lo, exec_lo, s0
	s_and_saveexec_b32 s0, vcc_lo
	s_cbranch_execz .LBB44_259
.LBB44_390:
	ds_read_b32 v65, v64 offset:320
	s_waitcnt lgkmcnt(0)
	v_add_f32_e32 v21, v21, v65
	s_or_b32 exec_lo, exec_lo, s0
	s_and_saveexec_b32 s0, vcc_lo
	s_cbranch_execz .LBB44_260
.LBB44_391:
	ds_read_b32 v65, v64 offset:336
	s_waitcnt lgkmcnt(0)
	v_add_f32_e32 v22, v22, v65
	s_or_b32 exec_lo, exec_lo, s0
	s_and_saveexec_b32 s0, vcc_lo
	s_cbranch_execz .LBB44_261
.LBB44_392:
	ds_read_b32 v65, v64 offset:352
	s_waitcnt lgkmcnt(0)
	v_add_f32_e32 v23, v23, v65
	s_or_b32 exec_lo, exec_lo, s0
	s_and_saveexec_b32 s0, vcc_lo
	s_cbranch_execz .LBB44_262
.LBB44_393:
	ds_read_b32 v65, v64 offset:368
	s_waitcnt lgkmcnt(0)
	v_add_f32_e32 v24, v24, v65
	s_or_b32 exec_lo, exec_lo, s0
	s_and_saveexec_b32 s0, vcc_lo
	s_cbranch_execz .LBB44_263
.LBB44_394:
	ds_read_b32 v65, v64 offset:384
	s_waitcnt lgkmcnt(0)
	v_add_f32_e32 v25, v25, v65
	s_or_b32 exec_lo, exec_lo, s0
	s_and_saveexec_b32 s0, vcc_lo
	s_cbranch_execz .LBB44_264
.LBB44_395:
	ds_read_b32 v65, v64 offset:400
	s_waitcnt lgkmcnt(0)
	v_add_f32_e32 v26, v26, v65
	s_or_b32 exec_lo, exec_lo, s0
	s_and_saveexec_b32 s0, vcc_lo
	s_cbranch_execz .LBB44_265
.LBB44_396:
	ds_read_b32 v65, v64 offset:416
	s_waitcnt lgkmcnt(0)
	v_add_f32_e32 v27, v27, v65
	s_or_b32 exec_lo, exec_lo, s0
	s_and_saveexec_b32 s0, vcc_lo
	s_cbranch_execz .LBB44_266
.LBB44_397:
	ds_read_b32 v65, v64 offset:432
	s_waitcnt lgkmcnt(0)
	v_add_f32_e32 v28, v28, v65
	s_or_b32 exec_lo, exec_lo, s0
	s_and_saveexec_b32 s0, vcc_lo
	s_cbranch_execz .LBB44_267
.LBB44_398:
	ds_read_b32 v65, v64 offset:448
	s_waitcnt lgkmcnt(0)
	v_add_f32_e32 v29, v29, v65
	s_or_b32 exec_lo, exec_lo, s0
	s_and_saveexec_b32 s0, vcc_lo
	s_cbranch_execz .LBB44_268
.LBB44_399:
	ds_read_b32 v65, v64 offset:464
	s_waitcnt lgkmcnt(0)
	v_add_f32_e32 v30, v30, v65
	s_or_b32 exec_lo, exec_lo, s0
	s_and_saveexec_b32 s0, vcc_lo
	s_cbranch_execz .LBB44_269
.LBB44_400:
	ds_read_b32 v65, v64 offset:480
	s_waitcnt lgkmcnt(0)
	v_add_f32_e32 v31, v31, v65
	s_or_b32 exec_lo, exec_lo, s0
	s_and_saveexec_b32 s0, vcc_lo
	s_cbranch_execz .LBB44_270
.LBB44_401:
	ds_read_b32 v65, v64 offset:496
	s_waitcnt lgkmcnt(0)
	v_add_f32_e32 v32, v32, v65
	s_or_b32 exec_lo, exec_lo, s0
	s_and_saveexec_b32 s0, vcc_lo
	s_cbranch_execz .LBB44_271
.LBB44_402:
	ds_read_b32 v65, v64 offset:512
	s_waitcnt lgkmcnt(0)
	v_add_f32_e32 v33, v33, v65
	s_or_b32 exec_lo, exec_lo, s0
	s_and_saveexec_b32 s0, vcc_lo
	s_cbranch_execz .LBB44_272
.LBB44_403:
	ds_read_b32 v65, v64 offset:528
	s_waitcnt lgkmcnt(0)
	v_add_f32_e32 v34, v34, v65
	s_or_b32 exec_lo, exec_lo, s0
	s_and_saveexec_b32 s0, vcc_lo
	s_cbranch_execz .LBB44_273
.LBB44_404:
	ds_read_b32 v65, v64 offset:544
	s_waitcnt lgkmcnt(0)
	v_add_f32_e32 v35, v35, v65
	s_or_b32 exec_lo, exec_lo, s0
	s_and_saveexec_b32 s0, vcc_lo
	s_cbranch_execz .LBB44_274
.LBB44_405:
	ds_read_b32 v65, v64 offset:560
	s_waitcnt lgkmcnt(0)
	v_add_f32_e32 v36, v36, v65
	s_or_b32 exec_lo, exec_lo, s0
	s_and_saveexec_b32 s0, vcc_lo
	s_cbranch_execz .LBB44_275
.LBB44_406:
	ds_read_b32 v65, v64 offset:576
	s_waitcnt lgkmcnt(0)
	v_add_f32_e32 v37, v37, v65
	s_or_b32 exec_lo, exec_lo, s0
	s_and_saveexec_b32 s0, vcc_lo
	s_cbranch_execz .LBB44_276
.LBB44_407:
	ds_read_b32 v65, v64 offset:592
	s_waitcnt lgkmcnt(0)
	v_add_f32_e32 v38, v38, v65
	s_or_b32 exec_lo, exec_lo, s0
	s_and_saveexec_b32 s0, vcc_lo
	s_cbranch_execz .LBB44_277
.LBB44_408:
	ds_read_b32 v65, v64 offset:608
	s_waitcnt lgkmcnt(0)
	v_add_f32_e32 v39, v39, v65
	s_or_b32 exec_lo, exec_lo, s0
	s_and_saveexec_b32 s0, vcc_lo
	s_cbranch_execz .LBB44_278
.LBB44_409:
	ds_read_b32 v65, v64 offset:624
	s_waitcnt lgkmcnt(0)
	v_add_f32_e32 v40, v40, v65
	s_or_b32 exec_lo, exec_lo, s0
	s_and_saveexec_b32 s0, vcc_lo
	s_cbranch_execz .LBB44_279
.LBB44_410:
	ds_read_b32 v65, v64 offset:640
	s_waitcnt lgkmcnt(0)
	v_add_f32_e32 v41, v41, v65
	s_or_b32 exec_lo, exec_lo, s0
	s_and_saveexec_b32 s0, vcc_lo
	s_cbranch_execz .LBB44_280
.LBB44_411:
	ds_read_b32 v65, v64 offset:656
	s_waitcnt lgkmcnt(0)
	v_add_f32_e32 v42, v42, v65
	s_or_b32 exec_lo, exec_lo, s0
	s_and_saveexec_b32 s0, vcc_lo
	s_cbranch_execz .LBB44_281
.LBB44_412:
	ds_read_b32 v65, v64 offset:672
	s_waitcnt lgkmcnt(0)
	v_add_f32_e32 v43, v43, v65
	s_or_b32 exec_lo, exec_lo, s0
	s_and_saveexec_b32 s0, vcc_lo
	s_cbranch_execz .LBB44_282
.LBB44_413:
	ds_read_b32 v65, v64 offset:688
	s_waitcnt lgkmcnt(0)
	v_add_f32_e32 v44, v44, v65
	s_or_b32 exec_lo, exec_lo, s0
	s_and_saveexec_b32 s0, vcc_lo
	s_cbranch_execz .LBB44_283
.LBB44_414:
	ds_read_b32 v65, v64 offset:704
	s_waitcnt lgkmcnt(0)
	v_add_f32_e32 v0, v0, v65
	s_or_b32 exec_lo, exec_lo, s0
	s_and_saveexec_b32 s0, vcc_lo
	s_cbranch_execz .LBB44_284
.LBB44_415:
	ds_read_b32 v65, v64 offset:720
	s_waitcnt lgkmcnt(0)
	v_add_f32_e32 v45, v45, v65
	s_or_b32 exec_lo, exec_lo, s0
	s_and_saveexec_b32 s0, vcc_lo
	s_cbranch_execz .LBB44_285
.LBB44_416:
	ds_read_b32 v65, v64 offset:736
	s_waitcnt lgkmcnt(0)
	v_add_f32_e32 v46, v46, v65
	s_or_b32 exec_lo, exec_lo, s0
	s_and_saveexec_b32 s0, vcc_lo
	s_cbranch_execz .LBB44_286
.LBB44_417:
	ds_read_b32 v65, v64 offset:752
	s_waitcnt lgkmcnt(0)
	v_add_f32_e32 v47, v47, v65
	s_or_b32 exec_lo, exec_lo, s0
	s_and_saveexec_b32 s0, vcc_lo
	s_cbranch_execz .LBB44_287
.LBB44_418:
	ds_read_b32 v65, v64 offset:768
	s_waitcnt lgkmcnt(0)
	v_add_f32_e32 v48, v48, v65
	s_or_b32 exec_lo, exec_lo, s0
	s_and_saveexec_b32 s0, vcc_lo
	s_cbranch_execz .LBB44_288
.LBB44_419:
	ds_read_b32 v65, v64 offset:784
	s_waitcnt lgkmcnt(0)
	v_add_f32_e32 v49, v49, v65
	s_or_b32 exec_lo, exec_lo, s0
	s_and_saveexec_b32 s0, vcc_lo
	s_cbranch_execz .LBB44_289
.LBB44_420:
	ds_read_b32 v65, v64 offset:800
	s_waitcnt lgkmcnt(0)
	v_add_f32_e32 v50, v50, v65
	s_or_b32 exec_lo, exec_lo, s0
	s_and_saveexec_b32 s0, vcc_lo
	s_cbranch_execz .LBB44_290
.LBB44_421:
	ds_read_b32 v65, v64 offset:816
	s_waitcnt lgkmcnt(0)
	v_add_f32_e32 v51, v51, v65
	s_or_b32 exec_lo, exec_lo, s0
	s_and_saveexec_b32 s0, vcc_lo
	s_cbranch_execz .LBB44_291
.LBB44_422:
	ds_read_b32 v65, v64 offset:832
	s_waitcnt lgkmcnt(0)
	v_add_f32_e32 v52, v52, v65
	s_or_b32 exec_lo, exec_lo, s0
	s_and_saveexec_b32 s0, vcc_lo
	s_cbranch_execz .LBB44_292
.LBB44_423:
	ds_read_b32 v65, v64 offset:848
	s_waitcnt lgkmcnt(0)
	v_add_f32_e32 v53, v53, v65
	s_or_b32 exec_lo, exec_lo, s0
	s_and_saveexec_b32 s0, vcc_lo
	s_cbranch_execz .LBB44_293
.LBB44_424:
	ds_read_b32 v65, v64 offset:864
	s_waitcnt lgkmcnt(0)
	v_add_f32_e32 v54, v54, v65
	s_or_b32 exec_lo, exec_lo, s0
	s_and_saveexec_b32 s0, vcc_lo
	s_cbranch_execz .LBB44_294
.LBB44_425:
	ds_read_b32 v65, v64 offset:880
	s_waitcnt lgkmcnt(0)
	v_add_f32_e32 v55, v55, v65
	s_or_b32 exec_lo, exec_lo, s0
	s_and_saveexec_b32 s0, vcc_lo
	s_cbranch_execz .LBB44_295
.LBB44_426:
	ds_read_b32 v65, v64 offset:896
	s_waitcnt lgkmcnt(0)
	v_add_f32_e32 v56, v56, v65
	s_or_b32 exec_lo, exec_lo, s0
	s_and_saveexec_b32 s0, vcc_lo
	s_cbranch_execz .LBB44_296
.LBB44_427:
	ds_read_b32 v65, v64 offset:912
	s_waitcnt lgkmcnt(0)
	v_add_f32_e32 v57, v57, v65
	s_or_b32 exec_lo, exec_lo, s0
	s_and_saveexec_b32 s0, vcc_lo
	s_cbranch_execz .LBB44_297
.LBB44_428:
	ds_read_b32 v65, v64 offset:928
	s_waitcnt lgkmcnt(0)
	v_add_f32_e32 v58, v58, v65
	s_or_b32 exec_lo, exec_lo, s0
	s_and_saveexec_b32 s0, vcc_lo
	s_cbranch_execz .LBB44_298
.LBB44_429:
	ds_read_b32 v65, v64 offset:944
	s_waitcnt lgkmcnt(0)
	v_add_f32_e32 v59, v59, v65
	s_or_b32 exec_lo, exec_lo, s0
	s_and_saveexec_b32 s0, vcc_lo
	s_cbranch_execz .LBB44_299
.LBB44_430:
	ds_read_b32 v65, v64 offset:960
	s_waitcnt lgkmcnt(0)
	v_add_f32_e32 v60, v60, v65
	s_or_b32 exec_lo, exec_lo, s0
	s_and_saveexec_b32 s0, vcc_lo
	s_cbranch_execz .LBB44_300
.LBB44_431:
	ds_read_b32 v65, v64 offset:976
	s_waitcnt lgkmcnt(0)
	v_add_f32_e32 v61, v61, v65
	s_or_b32 exec_lo, exec_lo, s0
	s_and_saveexec_b32 s0, vcc_lo
	s_cbranch_execz .LBB44_301
.LBB44_432:
	ds_read_b32 v65, v64 offset:992
	s_waitcnt lgkmcnt(0)
	v_add_f32_e32 v62, v62, v65
	s_or_b32 exec_lo, exec_lo, s0
	s_and_saveexec_b32 s0, vcc_lo
	s_cbranch_execnz .LBB44_302
	s_branch .LBB44_303
	.section	.rodata,"a",@progbits
	.p2align	6, 0x0
	.amdhsa_kernel _ZN4vllm25paged_attention_v1_kernelIffLi256ELi32ELi128ELNS_18Fp8KVCacheDataTypeE0ELb1EEEvPT_PKS2_PKT0_S8_ifPKiSA_iPKfiiiSC_SC_iiiii
		.amdhsa_group_segment_fixed_size 1056
		.amdhsa_private_segment_fixed_size 916
		.amdhsa_kernarg_size 384
		.amdhsa_user_sgpr_count 6
		.amdhsa_user_sgpr_private_segment_buffer 1
		.amdhsa_user_sgpr_dispatch_ptr 0
		.amdhsa_user_sgpr_queue_ptr 0
		.amdhsa_user_sgpr_kernarg_segment_ptr 1
		.amdhsa_user_sgpr_dispatch_id 0
		.amdhsa_user_sgpr_flat_scratch_init 0
		.amdhsa_user_sgpr_private_segment_size 0
		.amdhsa_wavefront_size32 1
		.amdhsa_uses_dynamic_stack 0
		.amdhsa_system_sgpr_private_segment_wavefront_offset 1
		.amdhsa_system_sgpr_workgroup_id_x 1
		.amdhsa_system_sgpr_workgroup_id_y 1
		.amdhsa_system_sgpr_workgroup_id_z 1
		.amdhsa_system_sgpr_workgroup_info 0
		.amdhsa_system_vgpr_workitem_id 0
		.amdhsa_next_free_vgpr 128
		.amdhsa_next_free_sgpr 44
		.amdhsa_reserve_vcc 1
		.amdhsa_reserve_flat_scratch 0
		.amdhsa_float_round_mode_32 0
		.amdhsa_float_round_mode_16_64 0
		.amdhsa_float_denorm_mode_32 3
		.amdhsa_float_denorm_mode_16_64 3
		.amdhsa_dx10_clamp 1
		.amdhsa_ieee_mode 1
		.amdhsa_fp16_overflow 0
		.amdhsa_workgroup_processor_mode 1
		.amdhsa_memory_ordered 1
		.amdhsa_forward_progress 1
		.amdhsa_shared_vgpr_count 0
		.amdhsa_exception_fp_ieee_invalid_op 0
		.amdhsa_exception_fp_denorm_src 0
		.amdhsa_exception_fp_ieee_div_zero 0
		.amdhsa_exception_fp_ieee_overflow 0
		.amdhsa_exception_fp_ieee_underflow 0
		.amdhsa_exception_fp_ieee_inexact 0
		.amdhsa_exception_int_div_zero 0
	.end_amdhsa_kernel
	.section	.text._ZN4vllm25paged_attention_v1_kernelIffLi256ELi32ELi128ELNS_18Fp8KVCacheDataTypeE0ELb1EEEvPT_PKS2_PKT0_S8_ifPKiSA_iPKfiiiSC_SC_iiiii,"axG",@progbits,_ZN4vllm25paged_attention_v1_kernelIffLi256ELi32ELi128ELNS_18Fp8KVCacheDataTypeE0ELb1EEEvPT_PKS2_PKT0_S8_ifPKiSA_iPKfiiiSC_SC_iiiii,comdat
.Lfunc_end44:
	.size	_ZN4vllm25paged_attention_v1_kernelIffLi256ELi32ELi128ELNS_18Fp8KVCacheDataTypeE0ELb1EEEvPT_PKS2_PKT0_S8_ifPKiSA_iPKfiiiSC_SC_iiiii, .Lfunc_end44-_ZN4vllm25paged_attention_v1_kernelIffLi256ELi32ELi128ELNS_18Fp8KVCacheDataTypeE0ELb1EEEvPT_PKS2_PKT0_S8_ifPKiSA_iPKfiiiSC_SC_iiiii
                                        ; -- End function
	.set _ZN4vllm25paged_attention_v1_kernelIffLi256ELi32ELi128ELNS_18Fp8KVCacheDataTypeE0ELb1EEEvPT_PKS2_PKT0_S8_ifPKiSA_iPKfiiiSC_SC_iiiii.num_vgpr, 128
	.set _ZN4vllm25paged_attention_v1_kernelIffLi256ELi32ELi128ELNS_18Fp8KVCacheDataTypeE0ELb1EEEvPT_PKS2_PKT0_S8_ifPKiSA_iPKfiiiSC_SC_iiiii.num_agpr, 0
	.set _ZN4vllm25paged_attention_v1_kernelIffLi256ELi32ELi128ELNS_18Fp8KVCacheDataTypeE0ELb1EEEvPT_PKS2_PKT0_S8_ifPKiSA_iPKfiiiSC_SC_iiiii.numbered_sgpr, 44
	.set _ZN4vllm25paged_attention_v1_kernelIffLi256ELi32ELi128ELNS_18Fp8KVCacheDataTypeE0ELb1EEEvPT_PKS2_PKT0_S8_ifPKiSA_iPKfiiiSC_SC_iiiii.num_named_barrier, 0
	.set _ZN4vllm25paged_attention_v1_kernelIffLi256ELi32ELi128ELNS_18Fp8KVCacheDataTypeE0ELb1EEEvPT_PKS2_PKT0_S8_ifPKiSA_iPKfiiiSC_SC_iiiii.private_seg_size, 916
	.set _ZN4vllm25paged_attention_v1_kernelIffLi256ELi32ELi128ELNS_18Fp8KVCacheDataTypeE0ELb1EEEvPT_PKS2_PKT0_S8_ifPKiSA_iPKfiiiSC_SC_iiiii.uses_vcc, 1
	.set _ZN4vllm25paged_attention_v1_kernelIffLi256ELi32ELi128ELNS_18Fp8KVCacheDataTypeE0ELb1EEEvPT_PKS2_PKT0_S8_ifPKiSA_iPKfiiiSC_SC_iiiii.uses_flat_scratch, 0
	.set _ZN4vllm25paged_attention_v1_kernelIffLi256ELi32ELi128ELNS_18Fp8KVCacheDataTypeE0ELb1EEEvPT_PKS2_PKT0_S8_ifPKiSA_iPKfiiiSC_SC_iiiii.has_dyn_sized_stack, 0
	.set _ZN4vllm25paged_attention_v1_kernelIffLi256ELi32ELi128ELNS_18Fp8KVCacheDataTypeE0ELb1EEEvPT_PKS2_PKT0_S8_ifPKiSA_iPKfiiiSC_SC_iiiii.has_recursion, 0
	.set _ZN4vllm25paged_attention_v1_kernelIffLi256ELi32ELi128ELNS_18Fp8KVCacheDataTypeE0ELb1EEEvPT_PKS2_PKT0_S8_ifPKiSA_iPKfiiiSC_SC_iiiii.has_indirect_call, 0
	.section	.AMDGPU.csdata,"",@progbits
; Kernel info:
; codeLenInByte = 36028
; TotalNumSgprs: 46
; NumVgprs: 128
; ScratchSize: 916
; MemoryBound: 0
; FloatMode: 240
; IeeeMode: 1
; LDSByteSize: 1056 bytes/workgroup (compile time only)
; SGPRBlocks: 0
; VGPRBlocks: 15
; NumSGPRsForWavesPerEU: 46
; NumVGPRsForWavesPerEU: 128
; Occupancy: 8
; WaveLimiterHint : 1
; COMPUTE_PGM_RSRC2:SCRATCH_EN: 1
; COMPUTE_PGM_RSRC2:USER_SGPR: 6
; COMPUTE_PGM_RSRC2:TRAP_HANDLER: 0
; COMPUTE_PGM_RSRC2:TGID_X_EN: 1
; COMPUTE_PGM_RSRC2:TGID_Y_EN: 1
; COMPUTE_PGM_RSRC2:TGID_Z_EN: 1
; COMPUTE_PGM_RSRC2:TIDIG_COMP_CNT: 0
	.section	.text._ZN4vllm25paged_attention_v1_kernelIffLi32ELi32ELi128ELNS_18Fp8KVCacheDataTypeE0ELb0EEEvPT_PKS2_PKT0_S8_ifPKiSA_iPKfiiiSC_SC_iiiii,"axG",@progbits,_ZN4vllm25paged_attention_v1_kernelIffLi32ELi32ELi128ELNS_18Fp8KVCacheDataTypeE0ELb0EEEvPT_PKS2_PKT0_S8_ifPKiSA_iPKfiiiSC_SC_iiiii,comdat
	.protected	_ZN4vllm25paged_attention_v1_kernelIffLi32ELi32ELi128ELNS_18Fp8KVCacheDataTypeE0ELb0EEEvPT_PKS2_PKT0_S8_ifPKiSA_iPKfiiiSC_SC_iiiii ; -- Begin function _ZN4vllm25paged_attention_v1_kernelIffLi32ELi32ELi128ELNS_18Fp8KVCacheDataTypeE0ELb0EEEvPT_PKS2_PKT0_S8_ifPKiSA_iPKfiiiSC_SC_iiiii
	.globl	_ZN4vllm25paged_attention_v1_kernelIffLi32ELi32ELi128ELNS_18Fp8KVCacheDataTypeE0ELb0EEEvPT_PKS2_PKT0_S8_ifPKiSA_iPKfiiiSC_SC_iiiii
	.p2align	8
	.type	_ZN4vllm25paged_attention_v1_kernelIffLi32ELi32ELi128ELNS_18Fp8KVCacheDataTypeE0ELb0EEEvPT_PKS2_PKT0_S8_ifPKiSA_iPKfiiiSC_SC_iiiii,@function
_ZN4vllm25paged_attention_v1_kernelIffLi32ELi32ELi128ELNS_18Fp8KVCacheDataTypeE0ELb0EEEvPT_PKS2_PKT0_S8_ifPKiSA_iPKfiiiSC_SC_iiiii: ; @_ZN4vllm25paged_attention_v1_kernelIffLi32ELi32ELi128ELNS_18Fp8KVCacheDataTypeE0ELb0EEEvPT_PKS2_PKT0_S8_ifPKiSA_iPKfiiiSC_SC_iiiii
; %bb.0:
	s_clause 0x2
	s_load_dword s9, s[4:5], 0x80
	s_load_dwordx2 s[0:1], s[4:5], 0x30
	s_load_dwordx2 s[2:3], s[4:5], 0x20
	s_mov_b32 s10, s7
	s_ashr_i32 s11, s7, 31
	s_mov_b32 s24, 0
	s_lshl_b64 s[12:13], s[10:11], 2
	s_waitcnt lgkmcnt(0)
	s_add_u32 s0, s0, s12
	s_addc_u32 s1, s1, s13
	s_abs_i32 s7, s2
	s_abs_i32 s13, s9
	v_cvt_f32_u32_e32 v1, s7
	s_sub_i32 s12, 0, s7
	s_xor_b32 s2, s9, s2
	s_ashr_i32 s2, s2, 31
	v_rcp_iflag_f32_e32 v1, v1
	v_mul_f32_e32 v1, 0x4f7ffffe, v1
	v_cvt_u32_f32_e32 v1, v1
	v_readfirstlane_b32 s11, v1
	s_mul_i32 s12, s12, s11
	s_mul_hi_u32 s12, s11, s12
	s_add_i32 s11, s11, s12
	s_mul_hi_u32 s11, s13, s11
	s_mul_i32 s12, s11, s7
	s_sub_i32 s12, s13, s12
	s_add_i32 s13, s11, 1
	s_sub_i32 s14, s12, s7
	s_cmp_ge_u32 s12, s7
	s_cselect_b32 s11, s13, s11
	s_cselect_b32 s12, s14, s12
	s_add_i32 s13, s11, 1
	s_cmp_ge_u32 s12, s7
	s_cselect_b32 s7, s13, s11
	s_load_dwordx2 s[12:13], s[4:5], 0x40
	s_xor_b32 s7, s7, s2
	s_abs_i32 s16, s6
	s_sub_i32 s17, s7, s2
	s_abs_i32 s2, s17
	v_cvt_f32_u32_e32 v1, s2
	s_sub_i32 s11, 0, s2
	v_rcp_iflag_f32_e32 v1, v1
	v_mul_f32_e32 v1, 0x4f7ffffe, v1
	v_cvt_u32_f32_e32 v1, v1
	v_readfirstlane_b32 s7, v1
	s_mul_i32 s11, s11, s7
	s_mul_hi_u32 s11, s7, s11
	s_add_i32 s7, s7, s11
	s_waitcnt lgkmcnt(0)
	s_cmp_eq_u64 s[12:13], 0
	s_mul_hi_u32 s20, s16, s7
	s_cbranch_scc1 .LBB45_2
; %bb.1:
	s_ashr_i32 s7, s6, 31
	s_lshl_b64 s[14:15], s[6:7], 2
	s_add_u32 s12, s12, s14
	s_addc_u32 s13, s13, s15
	s_load_dword s24, s[12:13], 0x0
.LBB45_2:
	s_load_dword s11, s[0:1], 0x0
	s_clause 0x1
	s_load_dwordx2 s[18:19], s[4:5], 0x28
	s_load_dwordx4 s[12:15], s[4:5], 0x48
	v_lshlrev_b32_e32 v35, 4, v0
	s_ashr_i32 s0, s6, 31
	s_ashr_i32 s1, s17, 31
	s_lshl_b32 s6, s6, 5
	s_waitcnt lgkmcnt(0)
	s_mov_b32 s15, exec_lo
	v_cmpx_gt_u32_e32 8, v0
	s_cbranch_execz .LBB45_4
; %bb.3:
	s_load_dwordx2 s[22:23], s[4:5], 0x8
	s_mul_i32 s26, s12, s10
	s_ashr_i32 s27, s26, 31
	s_lshl_b64 s[26:27], s[26:27], 2
	s_waitcnt lgkmcnt(0)
	s_add_u32 s12, s22, s26
	s_addc_u32 s17, s23, s27
	s_ashr_i32 s7, s6, 31
	s_lshl_b64 s[22:23], s[6:7], 2
	s_add_u32 s22, s12, s22
	s_addc_u32 s23, s17, s23
	global_load_dwordx4 v[1:4], v35, s[22:23]
	s_waitcnt vmcnt(0)
	ds_write_b128 v35, v[1:4]
.LBB45_4:
	s_or_b32 exec_lo, exec_lo, s15
	s_add_i32 s7, s11, 31
	s_xor_b32 s0, s0, s1
	s_ashr_i32 s12, s7, 31
	s_load_dword s15, s[4:5], 0x38
	s_lshr_b32 s1, s12, 27
	s_mul_i32 s12, s20, s2
	s_add_i32 s7, s7, s1
	s_sub_i32 s1, s16, s12
	s_ashr_i32 s12, s7, 5
	s_clause 0x2
	s_load_dwordx2 s[16:17], s[4:5], 0x0
	s_load_dwordx2 s[22:23], s[4:5], 0x18
	s_load_dword s7, s[4:5], 0x88
	s_add_i32 s21, s20, 1
	s_sub_i32 s25, s1, s2
	s_cmp_ge_u32 s1, s2
	v_lshrrev_b32_e32 v39, 5, v0
	s_cselect_b32 s20, s21, s20
	s_cselect_b32 s1, s25, s1
	s_add_i32 s21, s20, 1
	s_cmp_ge_u32 s1, s2
	v_and_b32_e32 v40, 31, v0
	s_cselect_b32 s1, s21, s20
	v_mov_b32_e32 v38, 0xff7fffff
	s_xor_b32 s1, s1, s0
	v_lshrrev_b32_e32 v36, 3, v0
	s_sub_i32 s1, s1, s0
	v_cmp_gt_i32_e64 s0, s12, v39
	v_lshlrev_b32_e32 v37, 2, v40
	s_waitcnt lgkmcnt(0)
	s_mul_i32 s20, s15, s10
	s_mul_i32 s14, s1, s14
	s_ashr_i32 s21, s20, 31
	s_barrier
	buffer_gl0_inv
	s_and_saveexec_b32 s25, s0
	s_cbranch_execz .LBB45_8
; %bb.5:
	s_load_dwordx2 s[4:5], s[4:5], 0x10
	v_mov_b32_e32 v29, 0
	s_ashr_i32 s15, s14, 31
	v_lshlrev_b32_e32 v33, 4, v40
	s_lshl_b64 s[26:27], s[14:15], 2
	ds_read_b128 v[1:4], v29
	ds_read_b128 v[5:8], v29 offset:16
	ds_read_b128 v[9:12], v29 offset:32
	;; [unrolled: 1-line block ×7, first 2 shown]
	v_and_b32_e32 v38, 0x7c, v36
	v_lshl_or_b32 v34, v39, 7, v37
	v_cmp_neq_f32_e64 vcc_lo, s24, 0
	v_lshl_or_b32 v41, v39, 5, v40
	v_mov_b32_e32 v45, v39
	s_mov_b32 s15, s13
	v_add_nc_u32_e32 v44, 0xa0, v34
	s_waitcnt lgkmcnt(0)
	s_add_u32 s1, s4, s26
	s_addc_u32 s2, s5, s27
	v_add_co_u32 v42, s1, s1, v33
	s_lshl_b64 s[26:27], s[20:21], 2
	s_sub_i32 s4, 1, s11
	v_add_co_ci_u32_e64 v43, null, s2, 0, s1
	s_add_u32 s1, s18, s26
	s_addc_u32 s2, s19, s27
	v_add_co_u32 v33, s1, s1, v38
	v_add_co_ci_u32_e64 v34, null, s2, 0, s1
	v_mov_b32_e32 v38, 0xff7fffff
	s_mov_b32 s5, 0
.LBB45_6:                               ; =>This Inner Loop Header: Depth=1
	global_load_dword v46, v[33:34], off
	v_add_nc_u32_e32 v45, 4, v45
	v_cmp_le_i32_e64 s2, s12, v45
	s_or_b32 s5, s2, s5
	s_waitcnt vmcnt(0)
	v_mad_i64_i32 v[46:47], null, v46, s15, 0
	v_lshlrev_b64 v[46:47], 2, v[46:47]
	v_add_co_u32 v58, s1, v42, v46
	v_add_co_ci_u32_e64 v59, null, v43, v47, s1
	s_clause 0x2
	global_load_dwordx4 v[46:49], v[58:59], off offset:512
	global_load_dwordx4 v[50:53], v[58:59], off
	global_load_dwordx4 v[54:57], v[58:59], off offset:1024
	s_waitcnt vmcnt(2)
	v_mul_f32_e32 v62, v5, v46
	v_mul_f32_e32 v63, v6, v47
	;; [unrolled: 1-line block ×4, first 2 shown]
	global_load_dwordx4 v[46:49], v[58:59], off offset:1536
	v_add_co_u32 v58, s1, 0x800, v58
	v_add_co_ci_u32_e64 v59, null, 0, v59, s1
	s_waitcnt vmcnt(2)
	v_fmac_f32_e32 v62, v1, v50
	v_fmac_f32_e32 v63, v2, v51
	;; [unrolled: 1-line block ×4, first 2 shown]
	global_load_dwordx4 v[50:53], v[58:59], off
	s_waitcnt vmcnt(2)
	v_fmac_f32_e32 v62, v9, v54
	v_fmac_f32_e32 v63, v10, v55
	;; [unrolled: 1-line block ×4, first 2 shown]
	global_load_dwordx4 v[54:57], v[58:59], off offset:512
	v_add_co_u32 v33, s1, v33, 16
	v_add_co_ci_u32_e64 v34, null, 0, v34, s1
	v_cmp_gt_i32_e64 s1, s11, v41
	s_waitcnt vmcnt(2)
	v_fmac_f32_e32 v62, v13, v46
	v_fmac_f32_e32 v63, v14, v47
	;; [unrolled: 1-line block ×4, first 2 shown]
	s_clause 0x1
	global_load_dwordx4 v[46:49], v[58:59], off offset:1024
	global_load_dwordx4 v[58:61], v[58:59], off offset:1536
	s_waitcnt vmcnt(3)
	v_fmac_f32_e32 v62, v17, v50
	v_fmac_f32_e32 v63, v18, v51
	;; [unrolled: 1-line block ×4, first 2 shown]
	v_add_nc_u32_e32 v50, s4, v41
	s_waitcnt vmcnt(2)
	v_fmac_f32_e32 v62, v21, v54
	v_fmac_f32_e32 v63, v22, v55
	;; [unrolled: 1-line block ×4, first 2 shown]
	v_cvt_f32_i32_e32 v50, v50
	v_max_f32_e32 v51, v38, v38
	v_add_nc_u32_e32 v41, 0x80, v41
	s_waitcnt vmcnt(1)
	v_fmac_f32_e32 v62, v25, v46
	v_fmac_f32_e32 v63, v26, v47
	;; [unrolled: 1-line block ×4, first 2 shown]
	v_mul_f32_e32 v47, s24, v50
	s_waitcnt vmcnt(0)
	v_fmac_f32_e32 v62, v29, v58
	v_fmac_f32_e32 v63, v30, v59
	;; [unrolled: 1-line block ×4, first 2 shown]
	v_cndmask_b32_e32 v47, 0, v47, vcc_lo
	v_add_f32_e32 v46, v62, v63
	v_add_f32_e32 v46, v64, v46
	;; [unrolled: 1-line block ×3, first 2 shown]
	v_fmac_f32_e32 v47, s3, v46
	v_max_f32_e32 v46, v51, v47
	v_cndmask_b32_e64 v47, 0, v47, s1
	v_cndmask_b32_e64 v38, v38, v46, s1
	ds_write_b32 v44, v47
	v_add_nc_u32_e32 v44, 0x200, v44
	s_andn2_b32 exec_lo, exec_lo, s5
	s_cbranch_execnz .LBB45_6
; %bb.7:
	s_or_b32 exec_lo, exec_lo, s5
.LBB45_8:
	s_or_b32 exec_lo, exec_lo, s25
	v_mbcnt_lo_u32_b32 v2, -1, 0
	v_max_f32_e32 v5, v38, v38
	v_xor_b32_e32 v1, 16, v2
	v_xor_b32_e32 v4, 8, v2
	v_cmp_gt_i32_e32 vcc_lo, 32, v1
	v_cndmask_b32_e32 v1, v2, v1, vcc_lo
	v_cmp_gt_i32_e32 vcc_lo, 32, v4
	v_lshlrev_b32_e32 v1, 2, v1
	v_cndmask_b32_e32 v4, v2, v4, vcc_lo
	ds_bpermute_b32 v3, v1, v38
	s_waitcnt lgkmcnt(0)
	v_max_f32_e32 v6, v3, v3
	v_lshlrev_b32_e32 v3, 2, v4
	v_max_f32_e32 v4, v5, v6
	v_xor_b32_e32 v6, 4, v2
	ds_bpermute_b32 v5, v3, v4
	v_cmp_gt_i32_e32 vcc_lo, 32, v6
	v_cndmask_b32_e32 v6, v2, v6, vcc_lo
	v_lshlrev_b32_e32 v43, 2, v6
	v_xor_b32_e32 v6, 2, v2
	v_cmp_gt_i32_e32 vcc_lo, 32, v6
	s_waitcnt lgkmcnt(0)
	v_max_f32_e32 v5, v5, v5
	v_cndmask_b32_e32 v6, v2, v6, vcc_lo
	v_max_f32_e32 v4, v4, v5
	v_lshlrev_b32_e32 v42, 2, v6
	v_xor_b32_e32 v6, 1, v2
	ds_bpermute_b32 v5, v43, v4
	v_cmp_gt_i32_e32 vcc_lo, 32, v6
	v_cndmask_b32_e32 v6, v2, v6, vcc_lo
	v_cmp_eq_u32_e32 vcc_lo, 0, v40
	v_lshlrev_b32_e32 v41, 2, v6
	s_waitcnt lgkmcnt(0)
	v_max_f32_e32 v5, v5, v5
	v_max_f32_e32 v4, v4, v5
	ds_bpermute_b32 v5, v42, v4
	s_waitcnt lgkmcnt(0)
	v_max_f32_e32 v5, v5, v5
	v_max_f32_e32 v2, v4, v5
	v_lshlrev_b32_e32 v4, 2, v39
	ds_bpermute_b32 v5, v41, v2
	s_and_saveexec_b32 s1, vcc_lo
	s_cbranch_execz .LBB45_10
; %bb.9:
	s_waitcnt lgkmcnt(0)
	v_max_f32_e32 v5, v5, v5
	v_max_f32_e32 v2, v2, v2
	;; [unrolled: 1-line block ×3, first 2 shown]
	ds_write_b32 v4, v2 offset:128
.LBB45_10:
	s_or_b32 exec_lo, exec_lo, s1
	v_cmp_gt_u32_e64 s1, 4, v40
	v_mov_b32_e32 v2, 0xff7fffff
	s_waitcnt lgkmcnt(0)
	s_barrier
	buffer_gl0_inv
	s_and_saveexec_b32 s2, s1
; %bb.11:
	ds_read_b32 v2, v37 offset:128
; %bb.12:
	s_or_b32 exec_lo, exec_lo, s2
	s_waitcnt lgkmcnt(0)
	ds_bpermute_b32 v5, v42, v2
	v_max_f32_e32 v2, v2, v2
	s_lshl_b32 s2, s12, 5
	s_min_i32 s4, s2, s11
	v_cmp_gt_i32_e64 s2, s4, v0
	s_waitcnt lgkmcnt(0)
	v_max_f32_e32 v5, v5, v5
	v_max_f32_e32 v2, v2, v5
	ds_bpermute_b32 v5, v41, v2
	s_waitcnt lgkmcnt(0)
	v_max_f32_e32 v5, v5, v5
	v_max_f32_e32 v2, v2, v5
	v_mov_b32_e32 v5, 0
	ds_bpermute_b32 v6, v5, v2
	v_lshl_add_u32 v2, v0, 2, 0xa0
	s_and_saveexec_b32 s5, s2
	s_cbranch_execz .LBB45_16
; %bb.13:
	v_lshl_add_u32 v7, v0, 2, 0xa0
	v_mov_b32_e32 v5, 0
	v_mov_b32_e32 v8, v0
	s_mov_b32 s15, 0
	.p2align	6
.LBB45_14:                              ; =>This Inner Loop Header: Depth=1
	ds_read_b32 v9, v7
	v_add_nc_u32_e32 v8, 0x80, v8
	v_cmp_le_i32_e64 s3, s4, v8
	s_or_b32 s15, s3, s15
	s_waitcnt lgkmcnt(0)
	v_sub_f32_e32 v9, v9, v6
	v_mul_f32_e32 v9, 0x3fb8aa3b, v9
	v_exp_f32_e32 v9, v9
	ds_write_b32 v7, v9
	v_add_f32_e32 v5, v5, v9
	v_add_nc_u32_e32 v7, 0x200, v7
	s_andn2_b32 exec_lo, exec_lo, s15
	s_cbranch_execnz .LBB45_14
; %bb.15:
	s_or_b32 exec_lo, exec_lo, s15
.LBB45_16:
	s_or_b32 exec_lo, exec_lo, s5
	ds_bpermute_b32 v1, v1, v5
	s_waitcnt lgkmcnt(0)
	v_add_f32_e32 v1, v5, v1
	ds_bpermute_b32 v3, v3, v1
	s_waitcnt lgkmcnt(0)
	v_add_f32_e32 v1, v1, v3
	;; [unrolled: 3-line block ×5, first 2 shown]
	s_and_saveexec_b32 s3, vcc_lo
; %bb.17:
	ds_write_b32 v4, v1 offset:144
; %bb.18:
	s_or_b32 exec_lo, exec_lo, s3
	s_waitcnt lgkmcnt(0)
	s_barrier
	buffer_gl0_inv
	s_and_saveexec_b32 s3, s1
; %bb.19:
	ds_read_b32 v1, v37 offset:144
; %bb.20:
	s_or_b32 exec_lo, exec_lo, s3
	s_waitcnt lgkmcnt(0)
	ds_bpermute_b32 v3, v42, v1
	s_waitcnt lgkmcnt(0)
	v_add_f32_e32 v1, v1, v3
	ds_bpermute_b32 v3, v41, v1
	s_waitcnt lgkmcnt(0)
	v_add_f32_e32 v1, v1, v3
	v_mov_b32_e32 v3, 0
	ds_bpermute_b32 v1, v3, v1
	s_and_saveexec_b32 s1, s2
	s_cbranch_execz .LBB45_23
; %bb.21:
	s_waitcnt lgkmcnt(0)
	v_add_f32_e32 v1, 0x358637bd, v1
	s_mov_b32 s2, 0
	v_div_scale_f32 v3, null, v1, v1, 1.0
	v_div_scale_f32 v6, vcc_lo, 1.0, v1, 1.0
	v_rcp_f32_e32 v4, v3
	v_fma_f32 v5, -v3, v4, 1.0
	v_fmac_f32_e32 v4, v5, v4
	v_mul_f32_e32 v5, v6, v4
	v_fma_f32 v7, -v3, v5, v6
	v_fmac_f32_e32 v5, v7, v4
	v_fma_f32 v3, -v3, v5, v6
	v_div_fmas_f32 v3, v3, v4, v5
	v_div_fixup_f32 v1, v3, v1, 1.0
	v_mov_b32_e32 v3, v0
.LBB45_22:                              ; =>This Inner Loop Header: Depth=1
	ds_read_b32 v4, v2
	v_add_nc_u32_e32 v3, 0x80, v3
	v_cmp_le_i32_e32 vcc_lo, s4, v3
	s_or_b32 s2, vcc_lo, s2
	s_waitcnt lgkmcnt(0)
	v_mul_f32_e32 v4, v1, v4
	ds_write_b32 v2, v4
	v_add_nc_u32_e32 v2, 0x200, v2
	s_andn2_b32 exec_lo, exec_lo, s2
	s_cbranch_execnz .LBB45_22
.LBB45_23:
	s_or_b32 exec_lo, exec_lo, s1
	v_mov_b32_e32 v50, 0
	v_and_b32_e32 v44, 7, v0
	v_mov_b32_e32 v52, 0
	v_mov_b32_e32 v51, 0
	;; [unrolled: 1-line block ×7, first 2 shown]
	s_waitcnt lgkmcnt(0)
	s_barrier
	buffer_gl0_inv
	s_and_saveexec_b32 s1, s0
	s_cbranch_execz .LBB45_43
; %bb.24:
	v_lshlrev_b32_e32 v1, 2, v0
	s_ashr_i32 s15, s14, 31
	v_lshlrev_b32_e32 v4, 5, v39
	v_and_b32_e32 v3, 0x1f0, v35
	s_lshl_b64 s[2:3], s[14:15], 2
	v_and_b32_e32 v1, 28, v1
	v_lshlrev_b32_e32 v2, 4, v44
	s_add_u32 s0, s22, s2
	s_addc_u32 s3, s23, s3
	v_add_co_u32 v53, s0, s0, v3
	v_or3_b32 v55, v4, v1, 3
	v_and_b32_e32 v1, 0x7c, v36
	s_lshl_b64 s[4:5], s[20:21], 2
	s_add_i32 s2, s12, -1
	v_lshl_or_b32 v2, v39, 7, v2
	v_add_co_ci_u32_e64 v54, null, s3, 0, s0
	s_add_u32 s0, s18, s4
	s_addc_u32 s3, s19, s5
	v_add_co_u32 v37, s0, s0, v1
	v_mov_b32_e32 v45, 0
	v_add_nc_u32_e32 v56, 0xa0, v2
	v_add_co_ci_u32_e64 v38, null, s3, 0, s0
	v_mov_b32_e32 v46, 0
	v_mov_b32_e32 v47, 0
	;; [unrolled: 1-line block ×8, first 2 shown]
	s_mov_b32 s4, s13
	s_mov_b32 s3, 0
	s_branch .LBB45_26
.LBB45_25:                              ;   in Loop: Header=BB45_26 Depth=1
	s_or_b32 exec_lo, exec_lo, s0
	s_waitcnt vmcnt(1) lgkmcnt(0)
	v_mul_f32_e32 v29, v1, v29
	v_mul_f32_e32 v25, v1, v25
	;; [unrolled: 1-line block ×7, first 2 shown]
	s_waitcnt vmcnt(0)
	v_mul_f32_e32 v1, v1, v33
	v_fmac_f32_e32 v29, v2, v30
	v_fmac_f32_e32 v25, v2, v26
	v_fmac_f32_e32 v21, v2, v22
	v_fmac_f32_e32 v17, v2, v18
	v_fmac_f32_e32 v13, v2, v14
	v_fmac_f32_e32 v9, v2, v10
	v_fmac_f32_e32 v5, v2, v6
	v_fmac_f32_e32 v1, v2, v34
	v_fmac_f32_e32 v29, v3, v31
	v_fmac_f32_e32 v25, v3, v27
	v_fmac_f32_e32 v21, v3, v23
	v_fmac_f32_e32 v17, v3, v19
	v_fmac_f32_e32 v13, v3, v15
	v_fmac_f32_e32 v9, v3, v11
	v_fmac_f32_e32 v5, v3, v7
	v_fmac_f32_e32 v1, v3, v35
	v_add_nc_u32_e32 v57, 4, v57
	v_fmac_f32_e32 v29, v4, v32
	v_fmac_f32_e32 v25, v4, v28
	;; [unrolled: 1-line block ×8, first 2 shown]
	v_cmp_le_i32_e32 vcc_lo, s12, v57
	v_add_co_u32 v37, s0, v37, 16
	v_add_f32_e32 v46, v46, v29
	v_add_f32_e32 v47, v47, v25
	;; [unrolled: 1-line block ×8, first 2 shown]
	v_add_nc_u32_e32 v55, 0x80, v55
	v_add_nc_u32_e32 v56, 0x200, v56
	v_add_co_ci_u32_e64 v38, null, 0, v38, s0
	s_or_b32 s3, vcc_lo, s3
	s_andn2_b32 exec_lo, exec_lo, s3
	s_cbranch_execz .LBB45_42
.LBB45_26:                              ; =>This Inner Loop Header: Depth=1
	global_load_dword v1, v[37:38], off
	v_add_nc_u32_e32 v58, -3, v55
	v_add_nc_u32_e32 v60, -2, v55
	;; [unrolled: 1-line block ×3, first 2 shown]
	s_waitcnt vmcnt(0)
	v_mad_i64_i32 v[1:2], null, v1, s4, 0
	v_lshlrev_b64 v[1:2], 2, v[1:2]
	v_add_co_u32 v21, vcc_lo, v53, v1
	v_add_co_ci_u32_e64 v22, null, v54, v2, vcc_lo
	ds_read_b128 v[1:4], v56
	v_cmp_eq_u32_e32 vcc_lo, s2, v57
	global_load_dwordx4 v[5:8], v[21:22], off
	s_and_saveexec_b32 s5, vcc_lo
	s_cbranch_execnz .LBB45_35
; %bb.27:                               ;   in Loop: Header=BB45_26 Depth=1
	s_or_b32 exec_lo, exec_lo, s5
	global_load_dwordx4 v[9:12], v[21:22], off offset:512
	s_and_saveexec_b32 s5, vcc_lo
	s_cbranch_execnz .LBB45_36
.LBB45_28:                              ;   in Loop: Header=BB45_26 Depth=1
	s_or_b32 exec_lo, exec_lo, s5
	global_load_dwordx4 v[13:16], v[21:22], off offset:1024
	s_and_saveexec_b32 s5, vcc_lo
	s_cbranch_execnz .LBB45_37
.LBB45_29:                              ;   in Loop: Header=BB45_26 Depth=1
	s_or_b32 exec_lo, exec_lo, s5
	global_load_dwordx4 v[17:20], v[21:22], off offset:1536
	s_and_saveexec_b32 s5, vcc_lo
	s_cbranch_execz .LBB45_31
.LBB45_30:                              ;   in Loop: Header=BB45_26 Depth=1
	v_cmp_gt_i32_e64 s0, s11, v58
	s_waitcnt vmcnt(0)
	v_cndmask_b32_e64 v17, 0, v17, s0
	v_cmp_gt_i32_e64 s0, s11, v60
	v_cndmask_b32_e64 v18, 0, v18, s0
	v_cmp_gt_i32_e64 s0, s11, v59
	v_cndmask_b32_e64 v19, 0, v19, s0
	v_cmp_gt_i32_e64 s0, s11, v55
	v_cndmask_b32_e64 v20, 0, v20, s0
.LBB45_31:                              ;   in Loop: Header=BB45_26 Depth=1
	s_or_b32 exec_lo, exec_lo, s5
	v_add_co_u32 v33, s0, 0x800, v21
	v_add_co_ci_u32_e64 v34, null, 0, v22, s0
	global_load_dwordx4 v[21:24], v[33:34], off
	s_and_saveexec_b32 s5, vcc_lo
	s_cbranch_execnz .LBB45_38
; %bb.32:                               ;   in Loop: Header=BB45_26 Depth=1
	s_or_b32 exec_lo, exec_lo, s5
	global_load_dwordx4 v[25:28], v[33:34], off offset:512
	s_and_saveexec_b32 s5, vcc_lo
	s_cbranch_execnz .LBB45_39
.LBB45_33:                              ;   in Loop: Header=BB45_26 Depth=1
	s_or_b32 exec_lo, exec_lo, s5
	global_load_dwordx4 v[29:32], v[33:34], off offset:1024
	s_and_saveexec_b32 s5, vcc_lo
	s_cbranch_execnz .LBB45_40
.LBB45_34:                              ;   in Loop: Header=BB45_26 Depth=1
	s_or_b32 exec_lo, exec_lo, s5
	global_load_dwordx4 v[33:36], v[33:34], off offset:1536
	s_and_saveexec_b32 s0, vcc_lo
	s_cbranch_execz .LBB45_25
	s_branch .LBB45_41
.LBB45_35:                              ;   in Loop: Header=BB45_26 Depth=1
	v_cmp_gt_i32_e64 s0, s11, v58
	s_waitcnt vmcnt(0)
	v_cndmask_b32_e64 v5, 0, v5, s0
	v_cmp_gt_i32_e64 s0, s11, v60
	v_cndmask_b32_e64 v6, 0, v6, s0
	v_cmp_gt_i32_e64 s0, s11, v59
	;; [unrolled: 2-line block ×3, first 2 shown]
	v_cndmask_b32_e64 v8, 0, v8, s0
	s_or_b32 exec_lo, exec_lo, s5
	global_load_dwordx4 v[9:12], v[21:22], off offset:512
	s_and_saveexec_b32 s5, vcc_lo
	s_cbranch_execz .LBB45_28
.LBB45_36:                              ;   in Loop: Header=BB45_26 Depth=1
	v_cmp_gt_i32_e64 s0, s11, v58
	s_waitcnt vmcnt(0)
	v_cndmask_b32_e64 v9, 0, v9, s0
	v_cmp_gt_i32_e64 s0, s11, v60
	v_cndmask_b32_e64 v10, 0, v10, s0
	v_cmp_gt_i32_e64 s0, s11, v59
	;; [unrolled: 2-line block ×3, first 2 shown]
	v_cndmask_b32_e64 v12, 0, v12, s0
	s_or_b32 exec_lo, exec_lo, s5
	global_load_dwordx4 v[13:16], v[21:22], off offset:1024
	s_and_saveexec_b32 s5, vcc_lo
	s_cbranch_execz .LBB45_29
.LBB45_37:                              ;   in Loop: Header=BB45_26 Depth=1
	v_cmp_gt_i32_e64 s0, s11, v58
	s_waitcnt vmcnt(0)
	v_cndmask_b32_e64 v13, 0, v13, s0
	v_cmp_gt_i32_e64 s0, s11, v60
	v_cndmask_b32_e64 v14, 0, v14, s0
	v_cmp_gt_i32_e64 s0, s11, v59
	;; [unrolled: 2-line block ×3, first 2 shown]
	v_cndmask_b32_e64 v16, 0, v16, s0
	s_or_b32 exec_lo, exec_lo, s5
	global_load_dwordx4 v[17:20], v[21:22], off offset:1536
	s_and_saveexec_b32 s5, vcc_lo
	s_cbranch_execnz .LBB45_30
	s_branch .LBB45_31
.LBB45_38:                              ;   in Loop: Header=BB45_26 Depth=1
	v_cmp_gt_i32_e64 s0, s11, v58
	s_waitcnt vmcnt(0)
	v_cndmask_b32_e64 v21, 0, v21, s0
	v_cmp_gt_i32_e64 s0, s11, v60
	v_cndmask_b32_e64 v22, 0, v22, s0
	v_cmp_gt_i32_e64 s0, s11, v59
	;; [unrolled: 2-line block ×3, first 2 shown]
	v_cndmask_b32_e64 v24, 0, v24, s0
	s_or_b32 exec_lo, exec_lo, s5
	global_load_dwordx4 v[25:28], v[33:34], off offset:512
	s_and_saveexec_b32 s5, vcc_lo
	s_cbranch_execz .LBB45_33
.LBB45_39:                              ;   in Loop: Header=BB45_26 Depth=1
	v_cmp_gt_i32_e64 s0, s11, v58
	s_waitcnt vmcnt(0)
	v_cndmask_b32_e64 v25, 0, v25, s0
	v_cmp_gt_i32_e64 s0, s11, v60
	v_cndmask_b32_e64 v26, 0, v26, s0
	v_cmp_gt_i32_e64 s0, s11, v59
	;; [unrolled: 2-line block ×3, first 2 shown]
	v_cndmask_b32_e64 v28, 0, v28, s0
	s_or_b32 exec_lo, exec_lo, s5
	global_load_dwordx4 v[29:32], v[33:34], off offset:1024
	s_and_saveexec_b32 s5, vcc_lo
	s_cbranch_execz .LBB45_34
.LBB45_40:                              ;   in Loop: Header=BB45_26 Depth=1
	v_cmp_gt_i32_e64 s0, s11, v58
	s_waitcnt vmcnt(0)
	v_cndmask_b32_e64 v29, 0, v29, s0
	v_cmp_gt_i32_e64 s0, s11, v60
	v_cndmask_b32_e64 v30, 0, v30, s0
	v_cmp_gt_i32_e64 s0, s11, v59
	;; [unrolled: 2-line block ×3, first 2 shown]
	v_cndmask_b32_e64 v32, 0, v32, s0
	s_or_b32 exec_lo, exec_lo, s5
	global_load_dwordx4 v[33:36], v[33:34], off offset:1536
	s_and_saveexec_b32 s0, vcc_lo
	s_cbranch_execz .LBB45_25
.LBB45_41:                              ;   in Loop: Header=BB45_26 Depth=1
	v_cmp_gt_i32_e32 vcc_lo, s11, v58
	s_waitcnt vmcnt(0)
	v_cndmask_b32_e32 v33, 0, v33, vcc_lo
	v_cmp_gt_i32_e32 vcc_lo, s11, v60
	v_cndmask_b32_e32 v34, 0, v34, vcc_lo
	v_cmp_gt_i32_e32 vcc_lo, s11, v59
	;; [unrolled: 2-line block ×3, first 2 shown]
	v_cndmask_b32_e32 v36, 0, v36, vcc_lo
	s_branch .LBB45_25
.LBB45_42:
	s_or_b32 exec_lo, exec_lo, s3
.LBB45_43:
	s_or_b32 exec_lo, exec_lo, s1
	ds_bpermute_b32 v1, v43, v50
	ds_bpermute_b32 v2, v43, v52
	;; [unrolled: 1-line block ×8, first 2 shown]
	v_and_b32_e32 v19, 0x3c7, v0
	s_mov_b32 s0, exec_lo
	s_waitcnt lgkmcnt(0)
	s_barrier
	buffer_gl0_inv
	v_add_f32_e32 v1, v50, v1
	v_add_f32_e32 v2, v52, v2
	;; [unrolled: 1-line block ×8, first 2 shown]
	ds_bpermute_b32 v9, v42, v1
	ds_bpermute_b32 v10, v42, v2
	;; [unrolled: 1-line block ×8, first 2 shown]
	s_waitcnt lgkmcnt(7)
	v_add_f32_e32 v1, v1, v9
	s_waitcnt lgkmcnt(6)
	v_add_f32_e32 v2, v2, v10
	;; [unrolled: 2-line block ×8, first 2 shown]
	ds_bpermute_b32 v11, v41, v1
	ds_bpermute_b32 v12, v41, v2
	;; [unrolled: 1-line block ×8, first 2 shown]
	v_lshrrev_b32_e32 v9, 3, v40
	v_lshl_add_u32 v10, v9, 2, 0xa0
	s_waitcnt lgkmcnt(7)
	v_add_f32_e32 v1, v1, v11
	s_waitcnt lgkmcnt(6)
	v_add_f32_e32 v2, v2, v12
	;; [unrolled: 2-line block ×8, first 2 shown]
	v_cmpx_eq_u32_e32 64, v19
	s_cbranch_execz .LBB45_45
; %bb.44:
	v_lshl_add_u32 v11, v39, 7, v10
	v_add_nc_u32_e32 v12, 0xffffff00, v11
	v_add_nc_u32_e32 v15, 0xffffff30, v11
	;; [unrolled: 1-line block ×8, first 2 shown]
	ds_write_b32 v12, v1
	ds_write_b32 v13, v2
	;; [unrolled: 1-line block ×8, first 2 shown]
.LBB45_45:
	s_or_b32 exec_lo, exec_lo, s0
	v_and_b32_e32 v11, 0x3e0, v0
	v_lshlrev_b32_e32 v9, 2, v9
	s_mov_b32 s1, exec_lo
	v_cmp_eq_u32_e32 vcc_lo, 0, v44
	s_waitcnt lgkmcnt(0)
	v_lshlrev_b32_e32 v11, 2, v11
	s_barrier
	buffer_gl0_inv
	v_add3_u32 v9, 0xa0, v11, v9
	v_cmpx_gt_u32_e32 64, v0
	s_cbranch_execz .LBB45_56
; %bb.46:
	s_and_saveexec_b32 s0, vcc_lo
	s_cbranch_execnz .LBB45_72
; %bb.47:
	s_or_b32 exec_lo, exec_lo, s0
	s_and_saveexec_b32 s0, vcc_lo
	s_cbranch_execnz .LBB45_73
.LBB45_48:
	s_or_b32 exec_lo, exec_lo, s0
	s_and_saveexec_b32 s0, vcc_lo
	s_cbranch_execnz .LBB45_74
.LBB45_49:
	s_or_b32 exec_lo, exec_lo, s0
	s_and_saveexec_b32 s0, vcc_lo
	s_cbranch_execnz .LBB45_75
.LBB45_50:
	s_or_b32 exec_lo, exec_lo, s0
	s_and_saveexec_b32 s0, vcc_lo
	s_cbranch_execnz .LBB45_76
.LBB45_51:
	s_or_b32 exec_lo, exec_lo, s0
	s_and_saveexec_b32 s0, vcc_lo
	s_cbranch_execnz .LBB45_77
.LBB45_52:
	s_or_b32 exec_lo, exec_lo, s0
	s_and_saveexec_b32 s0, vcc_lo
	s_cbranch_execnz .LBB45_78
.LBB45_53:
	s_or_b32 exec_lo, exec_lo, s0
	s_and_saveexec_b32 s0, vcc_lo
	s_cbranch_execz .LBB45_55
.LBB45_54:
	ds_read_b32 v11, v9 offset:112
	s_waitcnt lgkmcnt(0)
	v_add_f32_e32 v8, v8, v11
.LBB45_55:
	s_or_b32 exec_lo, exec_lo, s0
.LBB45_56:
	s_or_b32 exec_lo, exec_lo, s1
	v_and_b32_e32 v11, 0x3e7, v0
	s_mov_b32 s1, exec_lo
	s_barrier
	buffer_gl0_inv
	v_cmpx_eq_u32_e32 32, v11
	s_cbranch_execz .LBB45_58
; %bb.57:
	ds_write2_b32 v10, v1, v2 offset1:4
	ds_write2_b32 v10, v3, v4 offset0:8 offset1:12
	ds_write2_b32 v10, v5, v6 offset0:16 offset1:20
	;; [unrolled: 1-line block ×3, first 2 shown]
.LBB45_58:
	s_or_b32 exec_lo, exec_lo, s1
	s_mov_b32 s1, exec_lo
	s_waitcnt lgkmcnt(0)
	s_barrier
	buffer_gl0_inv
	v_cmpx_gt_u32_e32 32, v0
	s_cbranch_execz .LBB45_69
; %bb.59:
	s_and_saveexec_b32 s0, vcc_lo
	s_cbranch_execnz .LBB45_79
; %bb.60:
	s_or_b32 exec_lo, exec_lo, s0
	s_and_saveexec_b32 s0, vcc_lo
	s_cbranch_execnz .LBB45_80
.LBB45_61:
	s_or_b32 exec_lo, exec_lo, s0
	s_and_saveexec_b32 s0, vcc_lo
	s_cbranch_execnz .LBB45_81
.LBB45_62:
	s_or_b32 exec_lo, exec_lo, s0
	s_and_saveexec_b32 s0, vcc_lo
	s_cbranch_execnz .LBB45_82
.LBB45_63:
	s_or_b32 exec_lo, exec_lo, s0
	s_and_saveexec_b32 s0, vcc_lo
	s_cbranch_execnz .LBB45_83
.LBB45_64:
	s_or_b32 exec_lo, exec_lo, s0
	s_and_saveexec_b32 s0, vcc_lo
	s_cbranch_execnz .LBB45_84
.LBB45_65:
	s_or_b32 exec_lo, exec_lo, s0
	s_and_saveexec_b32 s0, vcc_lo
	s_cbranch_execnz .LBB45_85
.LBB45_66:
	s_or_b32 exec_lo, exec_lo, s0
	s_and_saveexec_b32 s0, vcc_lo
	s_cbranch_execz .LBB45_68
.LBB45_67:
	ds_read_b32 v9, v9 offset:112
	s_waitcnt lgkmcnt(0)
	v_add_f32_e32 v8, v8, v9
.LBB45_68:
	s_or_b32 exec_lo, exec_lo, s0
.LBB45_69:
	s_or_b32 exec_lo, exec_lo, s1
	s_barrier
	buffer_gl0_inv
	s_mov_b32 s0, exec_lo
	v_cmpx_eq_u32_e32 0, v11
	s_cbranch_execz .LBB45_71
; %bb.70:
	s_mul_i32 s0, s10, s7
	s_mul_i32 s2, s7, s6
	;; [unrolled: 1-line block ×3, first 2 shown]
	v_lshrrev_b32_e32 v0, 1, v0
	s_lshl_b32 s0, s0, 5
	s_ashr_i32 s1, s0, 31
	s_lshl_b64 s[0:1], s[0:1], 2
	s_add_u32 s4, s16, s0
	s_addc_u32 s5, s17, s1
	s_ashr_i32 s3, s2, 31
	s_lshl_b64 s[0:1], s[2:3], 2
	s_add_u32 s2, s4, s0
	s_addc_u32 s3, s5, s1
	s_lshl_b32 s0, s8, 5
	s_ashr_i32 s1, s0, 31
	s_lshl_b64 s[0:1], s[0:1], 2
	s_add_u32 s0, s2, s0
	s_addc_u32 s1, s3, s1
	global_store_dword v0, v1, s[0:1]
	global_store_dword v0, v2, s[0:1] offset:16
	global_store_dword v0, v3, s[0:1] offset:32
	;; [unrolled: 1-line block ×7, first 2 shown]
.LBB45_71:
	s_endpgm
.LBB45_72:
	ds_read_b32 v11, v9
	s_waitcnt lgkmcnt(0)
	v_add_f32_e32 v1, v1, v11
	s_or_b32 exec_lo, exec_lo, s0
	s_and_saveexec_b32 s0, vcc_lo
	s_cbranch_execz .LBB45_48
.LBB45_73:
	ds_read_b32 v11, v9 offset:16
	s_waitcnt lgkmcnt(0)
	v_add_f32_e32 v2, v2, v11
	s_or_b32 exec_lo, exec_lo, s0
	s_and_saveexec_b32 s0, vcc_lo
	s_cbranch_execz .LBB45_49
.LBB45_74:
	ds_read_b32 v11, v9 offset:32
	s_waitcnt lgkmcnt(0)
	v_add_f32_e32 v3, v3, v11
	s_or_b32 exec_lo, exec_lo, s0
	s_and_saveexec_b32 s0, vcc_lo
	s_cbranch_execz .LBB45_50
.LBB45_75:
	ds_read_b32 v11, v9 offset:48
	s_waitcnt lgkmcnt(0)
	v_add_f32_e32 v4, v4, v11
	s_or_b32 exec_lo, exec_lo, s0
	s_and_saveexec_b32 s0, vcc_lo
	s_cbranch_execz .LBB45_51
.LBB45_76:
	ds_read_b32 v11, v9 offset:64
	s_waitcnt lgkmcnt(0)
	v_add_f32_e32 v5, v5, v11
	s_or_b32 exec_lo, exec_lo, s0
	s_and_saveexec_b32 s0, vcc_lo
	s_cbranch_execz .LBB45_52
.LBB45_77:
	ds_read_b32 v11, v9 offset:80
	s_waitcnt lgkmcnt(0)
	v_add_f32_e32 v6, v6, v11
	s_or_b32 exec_lo, exec_lo, s0
	s_and_saveexec_b32 s0, vcc_lo
	s_cbranch_execz .LBB45_53
.LBB45_78:
	ds_read_b32 v11, v9 offset:96
	s_waitcnt lgkmcnt(0)
	v_add_f32_e32 v7, v7, v11
	s_or_b32 exec_lo, exec_lo, s0
	s_and_saveexec_b32 s0, vcc_lo
	s_cbranch_execnz .LBB45_54
	s_branch .LBB45_55
.LBB45_79:
	ds_read_b32 v10, v9
	s_waitcnt lgkmcnt(0)
	v_add_f32_e32 v1, v1, v10
	s_or_b32 exec_lo, exec_lo, s0
	s_and_saveexec_b32 s0, vcc_lo
	s_cbranch_execz .LBB45_61
.LBB45_80:
	ds_read_b32 v10, v9 offset:16
	s_waitcnt lgkmcnt(0)
	v_add_f32_e32 v2, v2, v10
	s_or_b32 exec_lo, exec_lo, s0
	s_and_saveexec_b32 s0, vcc_lo
	s_cbranch_execz .LBB45_62
.LBB45_81:
	ds_read_b32 v10, v9 offset:32
	s_waitcnt lgkmcnt(0)
	v_add_f32_e32 v3, v3, v10
	s_or_b32 exec_lo, exec_lo, s0
	s_and_saveexec_b32 s0, vcc_lo
	s_cbranch_execz .LBB45_63
.LBB45_82:
	ds_read_b32 v10, v9 offset:48
	s_waitcnt lgkmcnt(0)
	v_add_f32_e32 v4, v4, v10
	s_or_b32 exec_lo, exec_lo, s0
	s_and_saveexec_b32 s0, vcc_lo
	s_cbranch_execz .LBB45_64
.LBB45_83:
	ds_read_b32 v10, v9 offset:64
	s_waitcnt lgkmcnt(0)
	v_add_f32_e32 v5, v5, v10
	s_or_b32 exec_lo, exec_lo, s0
	s_and_saveexec_b32 s0, vcc_lo
	s_cbranch_execz .LBB45_65
.LBB45_84:
	ds_read_b32 v10, v9 offset:80
	s_waitcnt lgkmcnt(0)
	v_add_f32_e32 v6, v6, v10
	s_or_b32 exec_lo, exec_lo, s0
	s_and_saveexec_b32 s0, vcc_lo
	s_cbranch_execz .LBB45_66
.LBB45_85:
	ds_read_b32 v10, v9 offset:96
	s_waitcnt lgkmcnt(0)
	v_add_f32_e32 v7, v7, v10
	s_or_b32 exec_lo, exec_lo, s0
	s_and_saveexec_b32 s0, vcc_lo
	s_cbranch_execnz .LBB45_67
	s_branch .LBB45_68
	.section	.rodata,"a",@progbits
	.p2align	6, 0x0
	.amdhsa_kernel _ZN4vllm25paged_attention_v1_kernelIffLi32ELi32ELi128ELNS_18Fp8KVCacheDataTypeE0ELb0EEEvPT_PKS2_PKT0_S8_ifPKiSA_iPKfiiiSC_SC_iiiii
		.amdhsa_group_segment_fixed_size 160
		.amdhsa_private_segment_fixed_size 0
		.amdhsa_kernarg_size 384
		.amdhsa_user_sgpr_count 6
		.amdhsa_user_sgpr_private_segment_buffer 1
		.amdhsa_user_sgpr_dispatch_ptr 0
		.amdhsa_user_sgpr_queue_ptr 0
		.amdhsa_user_sgpr_kernarg_segment_ptr 1
		.amdhsa_user_sgpr_dispatch_id 0
		.amdhsa_user_sgpr_flat_scratch_init 0
		.amdhsa_user_sgpr_private_segment_size 0
		.amdhsa_wavefront_size32 1
		.amdhsa_uses_dynamic_stack 0
		.amdhsa_system_sgpr_private_segment_wavefront_offset 0
		.amdhsa_system_sgpr_workgroup_id_x 1
		.amdhsa_system_sgpr_workgroup_id_y 1
		.amdhsa_system_sgpr_workgroup_id_z 1
		.amdhsa_system_sgpr_workgroup_info 0
		.amdhsa_system_vgpr_workitem_id 0
		.amdhsa_next_free_vgpr 66
		.amdhsa_next_free_sgpr 28
		.amdhsa_reserve_vcc 1
		.amdhsa_reserve_flat_scratch 0
		.amdhsa_float_round_mode_32 0
		.amdhsa_float_round_mode_16_64 0
		.amdhsa_float_denorm_mode_32 3
		.amdhsa_float_denorm_mode_16_64 3
		.amdhsa_dx10_clamp 1
		.amdhsa_ieee_mode 1
		.amdhsa_fp16_overflow 0
		.amdhsa_workgroup_processor_mode 1
		.amdhsa_memory_ordered 1
		.amdhsa_forward_progress 1
		.amdhsa_shared_vgpr_count 0
		.amdhsa_exception_fp_ieee_invalid_op 0
		.amdhsa_exception_fp_denorm_src 0
		.amdhsa_exception_fp_ieee_div_zero 0
		.amdhsa_exception_fp_ieee_overflow 0
		.amdhsa_exception_fp_ieee_underflow 0
		.amdhsa_exception_fp_ieee_inexact 0
		.amdhsa_exception_int_div_zero 0
	.end_amdhsa_kernel
	.section	.text._ZN4vllm25paged_attention_v1_kernelIffLi32ELi32ELi128ELNS_18Fp8KVCacheDataTypeE0ELb0EEEvPT_PKS2_PKT0_S8_ifPKiSA_iPKfiiiSC_SC_iiiii,"axG",@progbits,_ZN4vllm25paged_attention_v1_kernelIffLi32ELi32ELi128ELNS_18Fp8KVCacheDataTypeE0ELb0EEEvPT_PKS2_PKT0_S8_ifPKiSA_iPKfiiiSC_SC_iiiii,comdat
.Lfunc_end45:
	.size	_ZN4vllm25paged_attention_v1_kernelIffLi32ELi32ELi128ELNS_18Fp8KVCacheDataTypeE0ELb0EEEvPT_PKS2_PKT0_S8_ifPKiSA_iPKfiiiSC_SC_iiiii, .Lfunc_end45-_ZN4vllm25paged_attention_v1_kernelIffLi32ELi32ELi128ELNS_18Fp8KVCacheDataTypeE0ELb0EEEvPT_PKS2_PKT0_S8_ifPKiSA_iPKfiiiSC_SC_iiiii
                                        ; -- End function
	.set _ZN4vllm25paged_attention_v1_kernelIffLi32ELi32ELi128ELNS_18Fp8KVCacheDataTypeE0ELb0EEEvPT_PKS2_PKT0_S8_ifPKiSA_iPKfiiiSC_SC_iiiii.num_vgpr, 66
	.set _ZN4vllm25paged_attention_v1_kernelIffLi32ELi32ELi128ELNS_18Fp8KVCacheDataTypeE0ELb0EEEvPT_PKS2_PKT0_S8_ifPKiSA_iPKfiiiSC_SC_iiiii.num_agpr, 0
	.set _ZN4vllm25paged_attention_v1_kernelIffLi32ELi32ELi128ELNS_18Fp8KVCacheDataTypeE0ELb0EEEvPT_PKS2_PKT0_S8_ifPKiSA_iPKfiiiSC_SC_iiiii.numbered_sgpr, 28
	.set _ZN4vllm25paged_attention_v1_kernelIffLi32ELi32ELi128ELNS_18Fp8KVCacheDataTypeE0ELb0EEEvPT_PKS2_PKT0_S8_ifPKiSA_iPKfiiiSC_SC_iiiii.num_named_barrier, 0
	.set _ZN4vllm25paged_attention_v1_kernelIffLi32ELi32ELi128ELNS_18Fp8KVCacheDataTypeE0ELb0EEEvPT_PKS2_PKT0_S8_ifPKiSA_iPKfiiiSC_SC_iiiii.private_seg_size, 0
	.set _ZN4vllm25paged_attention_v1_kernelIffLi32ELi32ELi128ELNS_18Fp8KVCacheDataTypeE0ELb0EEEvPT_PKS2_PKT0_S8_ifPKiSA_iPKfiiiSC_SC_iiiii.uses_vcc, 1
	.set _ZN4vllm25paged_attention_v1_kernelIffLi32ELi32ELi128ELNS_18Fp8KVCacheDataTypeE0ELb0EEEvPT_PKS2_PKT0_S8_ifPKiSA_iPKfiiiSC_SC_iiiii.uses_flat_scratch, 0
	.set _ZN4vllm25paged_attention_v1_kernelIffLi32ELi32ELi128ELNS_18Fp8KVCacheDataTypeE0ELb0EEEvPT_PKS2_PKT0_S8_ifPKiSA_iPKfiiiSC_SC_iiiii.has_dyn_sized_stack, 0
	.set _ZN4vllm25paged_attention_v1_kernelIffLi32ELi32ELi128ELNS_18Fp8KVCacheDataTypeE0ELb0EEEvPT_PKS2_PKT0_S8_ifPKiSA_iPKfiiiSC_SC_iiiii.has_recursion, 0
	.set _ZN4vllm25paged_attention_v1_kernelIffLi32ELi32ELi128ELNS_18Fp8KVCacheDataTypeE0ELb0EEEvPT_PKS2_PKT0_S8_ifPKiSA_iPKfiiiSC_SC_iiiii.has_indirect_call, 0
	.section	.AMDGPU.csdata,"",@progbits
; Kernel info:
; codeLenInByte = 4864
; TotalNumSgprs: 30
; NumVgprs: 66
; ScratchSize: 0
; MemoryBound: 0
; FloatMode: 240
; IeeeMode: 1
; LDSByteSize: 160 bytes/workgroup (compile time only)
; SGPRBlocks: 0
; VGPRBlocks: 8
; NumSGPRsForWavesPerEU: 30
; NumVGPRsForWavesPerEU: 66
; Occupancy: 12
; WaveLimiterHint : 1
; COMPUTE_PGM_RSRC2:SCRATCH_EN: 0
; COMPUTE_PGM_RSRC2:USER_SGPR: 6
; COMPUTE_PGM_RSRC2:TRAP_HANDLER: 0
; COMPUTE_PGM_RSRC2:TGID_X_EN: 1
; COMPUTE_PGM_RSRC2:TGID_Y_EN: 1
; COMPUTE_PGM_RSRC2:TGID_Z_EN: 1
; COMPUTE_PGM_RSRC2:TIDIG_COMP_CNT: 0
	.section	.text._ZN4vllm25paged_attention_v1_kernelIffLi64ELi32ELi128ELNS_18Fp8KVCacheDataTypeE0ELb0EEEvPT_PKS2_PKT0_S8_ifPKiSA_iPKfiiiSC_SC_iiiii,"axG",@progbits,_ZN4vllm25paged_attention_v1_kernelIffLi64ELi32ELi128ELNS_18Fp8KVCacheDataTypeE0ELb0EEEvPT_PKS2_PKT0_S8_ifPKiSA_iPKfiiiSC_SC_iiiii,comdat
	.protected	_ZN4vllm25paged_attention_v1_kernelIffLi64ELi32ELi128ELNS_18Fp8KVCacheDataTypeE0ELb0EEEvPT_PKS2_PKT0_S8_ifPKiSA_iPKfiiiSC_SC_iiiii ; -- Begin function _ZN4vllm25paged_attention_v1_kernelIffLi64ELi32ELi128ELNS_18Fp8KVCacheDataTypeE0ELb0EEEvPT_PKS2_PKT0_S8_ifPKiSA_iPKfiiiSC_SC_iiiii
	.globl	_ZN4vllm25paged_attention_v1_kernelIffLi64ELi32ELi128ELNS_18Fp8KVCacheDataTypeE0ELb0EEEvPT_PKS2_PKT0_S8_ifPKiSA_iPKfiiiSC_SC_iiiii
	.p2align	8
	.type	_ZN4vllm25paged_attention_v1_kernelIffLi64ELi32ELi128ELNS_18Fp8KVCacheDataTypeE0ELb0EEEvPT_PKS2_PKT0_S8_ifPKiSA_iPKfiiiSC_SC_iiiii,@function
_ZN4vllm25paged_attention_v1_kernelIffLi64ELi32ELi128ELNS_18Fp8KVCacheDataTypeE0ELb0EEEvPT_PKS2_PKT0_S8_ifPKiSA_iPKfiiiSC_SC_iiiii: ; @_ZN4vllm25paged_attention_v1_kernelIffLi64ELi32ELi128ELNS_18Fp8KVCacheDataTypeE0ELb0EEEvPT_PKS2_PKT0_S8_ifPKiSA_iPKfiiiSC_SC_iiiii
; %bb.0:
	s_clause 0x2
	s_load_dword s9, s[4:5], 0x80
	s_load_dwordx2 s[0:1], s[4:5], 0x30
	s_load_dwordx2 s[2:3], s[4:5], 0x20
	s_mov_b32 s10, s7
	s_ashr_i32 s11, s7, 31
	s_mov_b32 s24, 0
	s_lshl_b64 s[12:13], s[10:11], 2
	s_waitcnt lgkmcnt(0)
	s_add_u32 s0, s0, s12
	s_addc_u32 s1, s1, s13
	s_abs_i32 s7, s2
	s_abs_i32 s13, s9
	v_cvt_f32_u32_e32 v1, s7
	s_sub_i32 s12, 0, s7
	s_xor_b32 s2, s9, s2
	s_ashr_i32 s2, s2, 31
	v_rcp_iflag_f32_e32 v1, v1
	v_mul_f32_e32 v1, 0x4f7ffffe, v1
	v_cvt_u32_f32_e32 v1, v1
	v_readfirstlane_b32 s11, v1
	s_mul_i32 s12, s12, s11
	s_mul_hi_u32 s12, s11, s12
	s_add_i32 s11, s11, s12
	s_mul_hi_u32 s11, s13, s11
	s_mul_i32 s12, s11, s7
	s_sub_i32 s12, s13, s12
	s_add_i32 s13, s11, 1
	s_sub_i32 s14, s12, s7
	s_cmp_ge_u32 s12, s7
	s_cselect_b32 s11, s13, s11
	s_cselect_b32 s12, s14, s12
	s_add_i32 s13, s11, 1
	s_cmp_ge_u32 s12, s7
	s_cselect_b32 s7, s13, s11
	s_load_dwordx2 s[12:13], s[4:5], 0x40
	s_xor_b32 s7, s7, s2
	s_abs_i32 s16, s6
	s_sub_i32 s17, s7, s2
	s_abs_i32 s2, s17
	v_cvt_f32_u32_e32 v1, s2
	s_sub_i32 s11, 0, s2
	v_rcp_iflag_f32_e32 v1, v1
	v_mul_f32_e32 v1, 0x4f7ffffe, v1
	v_cvt_u32_f32_e32 v1, v1
	v_readfirstlane_b32 s7, v1
	s_mul_i32 s11, s11, s7
	s_mul_hi_u32 s11, s7, s11
	s_add_i32 s7, s7, s11
	s_waitcnt lgkmcnt(0)
	s_cmp_eq_u64 s[12:13], 0
	s_mul_hi_u32 s20, s16, s7
	s_cbranch_scc1 .LBB46_2
; %bb.1:
	s_ashr_i32 s7, s6, 31
	s_lshl_b64 s[14:15], s[6:7], 2
	s_add_u32 s12, s12, s14
	s_addc_u32 s13, s13, s15
	s_load_dword s24, s[12:13], 0x0
.LBB46_2:
	s_load_dword s11, s[0:1], 0x0
	s_clause 0x1
	s_load_dwordx2 s[18:19], s[4:5], 0x28
	s_load_dwordx4 s[12:15], s[4:5], 0x48
	v_lshlrev_b32_e32 v67, 4, v0
	s_ashr_i32 s0, s6, 31
	s_ashr_i32 s1, s17, 31
	s_lshl_b32 s6, s6, 6
	s_waitcnt lgkmcnt(0)
	s_mov_b32 s15, exec_lo
	v_cmpx_gt_u32_e32 16, v0
	s_cbranch_execz .LBB46_4
; %bb.3:
	s_load_dwordx2 s[22:23], s[4:5], 0x8
	s_mul_i32 s26, s12, s10
	s_ashr_i32 s27, s26, 31
	s_lshl_b64 s[26:27], s[26:27], 2
	s_waitcnt lgkmcnt(0)
	s_add_u32 s12, s22, s26
	s_addc_u32 s17, s23, s27
	s_ashr_i32 s7, s6, 31
	s_lshl_b64 s[22:23], s[6:7], 2
	s_add_u32 s22, s12, s22
	s_addc_u32 s23, s17, s23
	global_load_dwordx4 v[1:4], v67, s[22:23]
	s_waitcnt vmcnt(0)
	ds_write_b128 v67, v[1:4]
.LBB46_4:
	s_or_b32 exec_lo, exec_lo, s15
	s_add_i32 s7, s11, 31
	s_xor_b32 s0, s0, s1
	s_ashr_i32 s12, s7, 31
	s_load_dword s15, s[4:5], 0x38
	s_lshr_b32 s1, s12, 27
	s_mul_i32 s12, s20, s2
	s_add_i32 s7, s7, s1
	s_sub_i32 s1, s16, s12
	s_ashr_i32 s12, s7, 5
	s_clause 0x2
	s_load_dwordx2 s[16:17], s[4:5], 0x0
	s_load_dwordx2 s[22:23], s[4:5], 0x18
	s_load_dword s7, s[4:5], 0x88
	s_add_i32 s21, s20, 1
	s_sub_i32 s25, s1, s2
	s_cmp_ge_u32 s1, s2
	v_lshrrev_b32_e32 v71, 5, v0
	s_cselect_b32 s20, s21, s20
	s_cselect_b32 s1, s25, s1
	s_add_i32 s21, s20, 1
	s_cmp_ge_u32 s1, s2
	v_and_b32_e32 v72, 31, v0
	s_cselect_b32 s1, s21, s20
	v_mov_b32_e32 v74, 0xff7fffff
	s_xor_b32 s1, s1, s0
	v_lshrrev_b32_e32 v68, 3, v0
	s_sub_i32 s1, s1, s0
	v_cmp_gt_i32_e64 s0, s12, v71
	v_lshlrev_b32_e32 v69, 2, v72
	s_waitcnt lgkmcnt(0)
	s_mul_i32 s20, s15, s10
	s_mul_i32 s14, s1, s14
	s_ashr_i32 s21, s20, 31
	s_barrier
	buffer_gl0_inv
	s_and_saveexec_b32 s25, s0
	s_cbranch_execz .LBB46_8
; %bb.5:
	s_load_dwordx2 s[4:5], s[4:5], 0x10
	v_mov_b32_e32 v61, 0
	s_ashr_i32 s15, s14, 31
	v_lshlrev_b32_e32 v49, 4, v72
	s_lshl_b64 s[26:27], s[14:15], 2
	ds_read_b128 v[1:4], v61
	ds_read_b128 v[5:8], v61 offset:16
	ds_read_b128 v[9:12], v61 offset:32
	ds_read_b128 v[13:16], v61 offset:48
	ds_read_b128 v[17:20], v61 offset:64
	ds_read_b128 v[21:24], v61 offset:80
	ds_read_b128 v[25:28], v61 offset:96
	ds_read_b128 v[29:32], v61 offset:112
	ds_read_b128 v[33:36], v61 offset:128
	ds_read_b128 v[37:40], v61 offset:144
	ds_read_b128 v[41:44], v61 offset:160
	ds_read_b128 v[45:48], v61 offset:176
	v_lshl_or_b32 v65, v71, 7, v69
	v_and_b32_e32 v66, 0x7c, v68
	v_cmp_neq_f32_e64 vcc_lo, s24, 0
	v_lshl_or_b32 v75, v71, 5, v72
	v_mov_b32_e32 v74, 0xff7fffff
	v_add_nc_u32_e32 v76, 0x120, v65
	v_mov_b32_e32 v77, v71
	s_mov_b32 s15, s13
	s_waitcnt lgkmcnt(0)
	s_add_u32 s1, s4, s26
	s_addc_u32 s2, s5, s27
	v_add_co_u32 v70, s1, s1, v49
	ds_read_b128 v[49:52], v61 offset:192
	ds_read_b128 v[53:56], v61 offset:208
	;; [unrolled: 1-line block ×4, first 2 shown]
	s_lshl_b64 s[26:27], s[20:21], 2
	s_sub_i32 s4, 1, s11
	v_add_co_ci_u32_e64 v73, null, s2, 0, s1
	s_add_u32 s1, s18, s26
	s_addc_u32 s2, s19, s27
	v_add_co_u32 v65, s1, s1, v66
	v_add_co_ci_u32_e64 v66, null, s2, 0, s1
	s_mov_b32 s5, 0
.LBB46_6:                               ; =>This Inner Loop Header: Depth=1
	global_load_dword v78, v[65:66], off
	v_add_nc_u32_e32 v77, 4, v77
	v_cmp_le_i32_e64 s2, s12, v77
	s_or_b32 s5, s2, s5
	s_waitcnt vmcnt(0)
	v_mad_i64_i32 v[78:79], null, v78, s15, 0
	v_lshlrev_b64 v[78:79], 2, v[78:79]
	v_add_co_u32 v94, s1, v70, v78
	v_add_co_ci_u32_e64 v95, null, v73, v79, s1
	s_clause 0x3
	global_load_dwordx4 v[78:81], v[94:95], off offset:512
	global_load_dwordx4 v[82:85], v[94:95], off
	global_load_dwordx4 v[86:89], v[94:95], off offset:1024
	global_load_dwordx4 v[90:93], v[94:95], off offset:1536
	v_add_co_u32 v102, s1, v94, 0x1000
	v_add_co_ci_u32_e64 v103, null, 0, v95, s1
	v_add_co_u32 v104, s1, 0x800, v94
	v_add_co_ci_u32_e64 v105, null, 0, v95, s1
	;; [unrolled: 2-line block ×4, first 2 shown]
	s_clause 0x1
	global_load_dwordx4 v[94:97], v[102:103], off offset:-2048
	global_load_dwordx4 v[98:101], v[104:105], off offset:512
	v_add_co_u32 v65, s1, v65, 16
	v_add_co_ci_u32_e64 v66, null, 0, v66, s1
	v_cmp_gt_i32_e64 s1, s11, v75
	s_waitcnt vmcnt(5)
	v_mul_f32_e32 v110, v5, v78
	v_mul_f32_e32 v111, v6, v79
	;; [unrolled: 1-line block ×4, first 2 shown]
	global_load_dwordx4 v[78:81], v[104:105], off offset:1024
	s_waitcnt vmcnt(5)
	v_fmac_f32_e32 v110, v1, v82
	v_fmac_f32_e32 v111, v2, v83
	;; [unrolled: 1-line block ×4, first 2 shown]
	s_clause 0x1
	global_load_dwordx4 v[82:85], v[104:105], off offset:1536
	global_load_dwordx4 v[102:105], v[102:103], off
	s_waitcnt vmcnt(6)
	v_fmac_f32_e32 v110, v9, v86
	v_fmac_f32_e32 v111, v10, v87
	v_fmac_f32_e32 v112, v11, v88
	v_fmac_f32_e32 v113, v12, v89
	global_load_dwordx4 v[86:89], v[106:107], off offset:512
	s_waitcnt vmcnt(6)
	v_fmac_f32_e32 v110, v13, v90
	v_fmac_f32_e32 v111, v14, v91
	v_fmac_f32_e32 v112, v15, v92
	v_fmac_f32_e32 v113, v16, v93
	global_load_dwordx4 v[90:93], v[106:107], off offset:1024
	s_waitcnt vmcnt(6)
	v_fmac_f32_e32 v110, v17, v94
	v_fmac_f32_e32 v111, v18, v95
	v_fmac_f32_e32 v112, v19, v96
	v_fmac_f32_e32 v113, v20, v97
	global_load_dwordx4 v[94:97], v[106:107], off offset:1536
	s_waitcnt vmcnt(6)
	v_fmac_f32_e32 v110, v21, v98
	v_fmac_f32_e32 v111, v22, v99
	;; [unrolled: 1-line block ×4, first 2 shown]
	global_load_dwordx4 v[98:101], v[108:109], off
	s_waitcnt vmcnt(6)
	v_fmac_f32_e32 v110, v25, v78
	v_fmac_f32_e32 v111, v26, v79
	;; [unrolled: 1-line block ×4, first 2 shown]
	global_load_dwordx4 v[78:81], v[108:109], off offset:512
	s_waitcnt vmcnt(6)
	v_fmac_f32_e32 v110, v29, v82
	v_fmac_f32_e32 v111, v30, v83
	;; [unrolled: 1-line block ×4, first 2 shown]
	s_clause 0x1
	global_load_dwordx4 v[82:85], v[108:109], off offset:1024
	global_load_dwordx4 v[106:109], v[108:109], off offset:1536
	s_waitcnt vmcnt(7)
	v_fmac_f32_e32 v110, v33, v102
	v_fmac_f32_e32 v111, v34, v103
	v_fmac_f32_e32 v112, v35, v104
	v_fmac_f32_e32 v113, v36, v105
	v_add_nc_u32_e32 v102, s4, v75
	s_waitcnt vmcnt(6)
	v_fmac_f32_e32 v110, v37, v86
	v_fmac_f32_e32 v111, v38, v87
	;; [unrolled: 1-line block ×4, first 2 shown]
	v_cvt_f32_i32_e32 v102, v102
	s_waitcnt vmcnt(5)
	v_fmac_f32_e32 v110, v41, v90
	v_fmac_f32_e32 v111, v42, v91
	;; [unrolled: 1-line block ×4, first 2 shown]
	v_max_f32_e32 v103, v74, v74
	s_waitcnt vmcnt(4)
	v_fmac_f32_e32 v110, v45, v94
	v_fmac_f32_e32 v111, v46, v95
	;; [unrolled: 1-line block ×4, first 2 shown]
	v_add_nc_u32_e32 v75, 0x80, v75
	s_waitcnt vmcnt(3) lgkmcnt(3)
	v_fmac_f32_e32 v110, v49, v98
	v_fmac_f32_e32 v111, v50, v99
	;; [unrolled: 1-line block ×4, first 2 shown]
	s_waitcnt vmcnt(2) lgkmcnt(2)
	v_fmac_f32_e32 v110, v53, v78
	v_fmac_f32_e32 v111, v54, v79
	;; [unrolled: 1-line block ×4, first 2 shown]
	v_mul_f32_e32 v79, s24, v102
	s_waitcnt vmcnt(1) lgkmcnt(1)
	v_fmac_f32_e32 v110, v57, v82
	v_fmac_f32_e32 v111, v58, v83
	;; [unrolled: 1-line block ×4, first 2 shown]
	v_cndmask_b32_e32 v79, 0, v79, vcc_lo
	s_waitcnt vmcnt(0) lgkmcnt(0)
	v_fmac_f32_e32 v110, v61, v106
	v_fmac_f32_e32 v111, v62, v107
	;; [unrolled: 1-line block ×4, first 2 shown]
	v_add_f32_e32 v78, v110, v111
	v_add_f32_e32 v78, v112, v78
	;; [unrolled: 1-line block ×3, first 2 shown]
	v_fmac_f32_e32 v79, s3, v78
	v_max_f32_e32 v78, v103, v79
	v_cndmask_b32_e64 v79, 0, v79, s1
	v_cndmask_b32_e64 v74, v74, v78, s1
	ds_write_b32 v76, v79
	v_add_nc_u32_e32 v76, 0x200, v76
	s_andn2_b32 exec_lo, exec_lo, s5
	s_cbranch_execnz .LBB46_6
; %bb.7:
	s_or_b32 exec_lo, exec_lo, s5
.LBB46_8:
	s_or_b32 exec_lo, exec_lo, s25
	v_mbcnt_lo_u32_b32 v2, -1, 0
	v_max_f32_e32 v5, v74, v74
	v_xor_b32_e32 v1, 16, v2
	v_xor_b32_e32 v4, 8, v2
	v_cmp_gt_i32_e32 vcc_lo, 32, v1
	v_cndmask_b32_e32 v1, v2, v1, vcc_lo
	v_cmp_gt_i32_e32 vcc_lo, 32, v4
	v_lshlrev_b32_e32 v1, 2, v1
	v_cndmask_b32_e32 v4, v2, v4, vcc_lo
	ds_bpermute_b32 v3, v1, v74
	s_waitcnt lgkmcnt(0)
	v_max_f32_e32 v6, v3, v3
	v_lshlrev_b32_e32 v3, 2, v4
	v_max_f32_e32 v4, v5, v6
	v_xor_b32_e32 v6, 4, v2
	ds_bpermute_b32 v5, v3, v4
	v_cmp_gt_i32_e32 vcc_lo, 32, v6
	v_cndmask_b32_e32 v6, v2, v6, vcc_lo
	v_lshlrev_b32_e32 v75, 2, v6
	v_xor_b32_e32 v6, 2, v2
	v_cmp_gt_i32_e32 vcc_lo, 32, v6
	s_waitcnt lgkmcnt(0)
	v_max_f32_e32 v5, v5, v5
	v_cndmask_b32_e32 v6, v2, v6, vcc_lo
	v_max_f32_e32 v4, v4, v5
	v_lshlrev_b32_e32 v74, 2, v6
	v_xor_b32_e32 v6, 1, v2
	ds_bpermute_b32 v5, v75, v4
	v_cmp_gt_i32_e32 vcc_lo, 32, v6
	v_cndmask_b32_e32 v6, v2, v6, vcc_lo
	v_cmp_eq_u32_e32 vcc_lo, 0, v72
	v_lshlrev_b32_e32 v73, 2, v6
	s_waitcnt lgkmcnt(0)
	v_max_f32_e32 v5, v5, v5
	v_max_f32_e32 v4, v4, v5
	ds_bpermute_b32 v5, v74, v4
	s_waitcnt lgkmcnt(0)
	v_max_f32_e32 v5, v5, v5
	v_max_f32_e32 v2, v4, v5
	v_lshlrev_b32_e32 v4, 2, v71
	ds_bpermute_b32 v5, v73, v2
	s_and_saveexec_b32 s1, vcc_lo
	s_cbranch_execz .LBB46_10
; %bb.9:
	s_waitcnt lgkmcnt(0)
	v_max_f32_e32 v5, v5, v5
	v_max_f32_e32 v2, v2, v2
	;; [unrolled: 1-line block ×3, first 2 shown]
	ds_write_b32 v4, v2 offset:256
.LBB46_10:
	s_or_b32 exec_lo, exec_lo, s1
	v_cmp_gt_u32_e64 s1, 4, v72
	v_mov_b32_e32 v2, 0xff7fffff
	s_waitcnt lgkmcnt(0)
	s_barrier
	buffer_gl0_inv
	s_and_saveexec_b32 s2, s1
; %bb.11:
	ds_read_b32 v2, v69 offset:256
; %bb.12:
	s_or_b32 exec_lo, exec_lo, s2
	s_waitcnt lgkmcnt(0)
	ds_bpermute_b32 v5, v74, v2
	v_max_f32_e32 v2, v2, v2
	s_lshl_b32 s2, s12, 5
	s_min_i32 s4, s2, s11
	v_cmp_gt_i32_e64 s2, s4, v0
	s_waitcnt lgkmcnt(0)
	v_max_f32_e32 v5, v5, v5
	v_max_f32_e32 v2, v2, v5
	ds_bpermute_b32 v5, v73, v2
	s_waitcnt lgkmcnt(0)
	v_max_f32_e32 v5, v5, v5
	v_max_f32_e32 v2, v2, v5
	v_mov_b32_e32 v5, 0
	ds_bpermute_b32 v6, v5, v2
	v_lshl_add_u32 v2, v0, 2, 0x120
	s_and_saveexec_b32 s5, s2
	s_cbranch_execz .LBB46_16
; %bb.13:
	v_lshl_add_u32 v7, v0, 2, 0x120
	v_mov_b32_e32 v5, 0
	v_mov_b32_e32 v8, v0
	s_mov_b32 s15, 0
	.p2align	6
.LBB46_14:                              ; =>This Inner Loop Header: Depth=1
	ds_read_b32 v9, v7
	v_add_nc_u32_e32 v8, 0x80, v8
	v_cmp_le_i32_e64 s3, s4, v8
	s_or_b32 s15, s3, s15
	s_waitcnt lgkmcnt(0)
	v_sub_f32_e32 v9, v9, v6
	v_mul_f32_e32 v9, 0x3fb8aa3b, v9
	v_exp_f32_e32 v9, v9
	ds_write_b32 v7, v9
	v_add_f32_e32 v5, v5, v9
	v_add_nc_u32_e32 v7, 0x200, v7
	s_andn2_b32 exec_lo, exec_lo, s15
	s_cbranch_execnz .LBB46_14
; %bb.15:
	s_or_b32 exec_lo, exec_lo, s15
.LBB46_16:
	s_or_b32 exec_lo, exec_lo, s5
	ds_bpermute_b32 v1, v1, v5
	s_waitcnt lgkmcnt(0)
	v_add_f32_e32 v1, v5, v1
	ds_bpermute_b32 v3, v3, v1
	s_waitcnt lgkmcnt(0)
	v_add_f32_e32 v1, v1, v3
	;; [unrolled: 3-line block ×5, first 2 shown]
	s_and_saveexec_b32 s3, vcc_lo
; %bb.17:
	ds_write_b32 v4, v1 offset:272
; %bb.18:
	s_or_b32 exec_lo, exec_lo, s3
	s_waitcnt lgkmcnt(0)
	s_barrier
	buffer_gl0_inv
	s_and_saveexec_b32 s3, s1
; %bb.19:
	ds_read_b32 v1, v69 offset:272
; %bb.20:
	s_or_b32 exec_lo, exec_lo, s3
	s_waitcnt lgkmcnt(0)
	ds_bpermute_b32 v3, v74, v1
	s_waitcnt lgkmcnt(0)
	v_add_f32_e32 v1, v1, v3
	ds_bpermute_b32 v3, v73, v1
	s_waitcnt lgkmcnt(0)
	v_add_f32_e32 v1, v1, v3
	v_mov_b32_e32 v3, 0
	ds_bpermute_b32 v1, v3, v1
	s_and_saveexec_b32 s1, s2
	s_cbranch_execz .LBB46_23
; %bb.21:
	s_waitcnt lgkmcnt(0)
	v_add_f32_e32 v1, 0x358637bd, v1
	s_mov_b32 s2, 0
	v_div_scale_f32 v3, null, v1, v1, 1.0
	v_div_scale_f32 v6, vcc_lo, 1.0, v1, 1.0
	v_rcp_f32_e32 v4, v3
	v_fma_f32 v5, -v3, v4, 1.0
	v_fmac_f32_e32 v4, v5, v4
	v_mul_f32_e32 v5, v6, v4
	v_fma_f32 v7, -v3, v5, v6
	v_fmac_f32_e32 v5, v7, v4
	v_fma_f32 v3, -v3, v5, v6
	v_div_fmas_f32 v3, v3, v4, v5
	v_div_fixup_f32 v1, v3, v1, 1.0
	v_mov_b32_e32 v3, v0
.LBB46_22:                              ; =>This Inner Loop Header: Depth=1
	ds_read_b32 v4, v2
	v_add_nc_u32_e32 v3, 0x80, v3
	v_cmp_le_i32_e32 vcc_lo, s4, v3
	s_or_b32 s2, vcc_lo, s2
	s_waitcnt lgkmcnt(0)
	v_mul_f32_e32 v4, v1, v4
	ds_write_b32 v2, v4
	v_add_nc_u32_e32 v2, 0x200, v2
	s_andn2_b32 exec_lo, exec_lo, s2
	s_cbranch_execnz .LBB46_22
.LBB46_23:
	s_or_b32 exec_lo, exec_lo, s1
	v_mov_b32_e32 v90, 0
	v_and_b32_e32 v76, 7, v0
	v_mov_b32_e32 v92, 0
	v_mov_b32_e32 v91, 0
	;; [unrolled: 1-line block ×15, first 2 shown]
	s_waitcnt lgkmcnt(0)
	s_barrier
	buffer_gl0_inv
	s_and_saveexec_b32 s4, s0
	s_cbranch_execz .LBB46_59
; %bb.24:
	v_lshlrev_b32_e32 v1, 2, v0
	s_ashr_i32 s15, s14, 31
	v_and_b32_e32 v3, 0x1f0, v67
	s_lshl_b64 s[0:1], s[14:15], 2
	v_lshlrev_b32_e32 v4, 5, v71
	v_and_b32_e32 v1, 28, v1
	s_add_u32 s0, s22, s0
	v_lshlrev_b32_e32 v2, 4, v76
	s_addc_u32 s1, s23, s1
	v_add_co_u32 v93, s0, s0, v3
	v_or3_b32 v95, v4, v1, 3
	v_and_b32_e32 v1, 0x7c, v68
	v_add_co_ci_u32_e64 v94, null, s1, 0, s0
	s_lshl_b64 s[0:1], s[20:21], 2
	s_add_i32 s5, s12, -1
	v_lshl_or_b32 v2, v71, 7, v2
	s_add_u32 s0, s18, s0
	s_addc_u32 s1, s19, s1
	v_add_co_u32 v69, s0, s0, v1
	v_mov_b32_e32 v77, 0
	v_add_nc_u32_e32 v96, 0x120, v2
	v_add_co_ci_u32_e64 v70, null, s1, 0, s0
	v_mov_b32_e32 v78, 0
	v_mov_b32_e32 v79, 0
	;; [unrolled: 1-line block ×16, first 2 shown]
	s_mov_b32 s14, s13
	s_mov_b32 s13, 0
	s_branch .LBB46_26
.LBB46_25:                              ;   in Loop: Header=BB46_26 Depth=1
	s_or_b32 exec_lo, exec_lo, s0
	s_waitcnt vmcnt(1) lgkmcnt(0)
	v_mul_f32_e32 v65, v1, v65
	v_mul_f32_e32 v61, v1, v61
	;; [unrolled: 1-line block ×15, first 2 shown]
	s_waitcnt vmcnt(0)
	v_mul_f32_e32 v1, v1, v53
	v_fmac_f32_e32 v65, v2, v66
	v_fmac_f32_e32 v61, v2, v62
	;; [unrolled: 1-line block ×32, first 2 shown]
	v_add_nc_u32_e32 v97, 4, v97
	v_fmac_f32_e32 v65, v4, v68
	v_fmac_f32_e32 v61, v4, v64
	;; [unrolled: 1-line block ×16, first 2 shown]
	v_cmp_le_i32_e32 vcc_lo, s12, v97
	v_add_co_u32 v69, s0, v69, 16
	v_add_f32_e32 v78, v78, v65
	v_add_f32_e32 v79, v79, v61
	v_add_f32_e32 v80, v80, v57
	v_add_f32_e32 v81, v81, v49
	v_add_f32_e32 v82, v82, v45
	v_add_f32_e32 v83, v83, v41
	v_add_f32_e32 v84, v84, v37
	v_add_f32_e32 v85, v85, v33
	v_add_f32_e32 v86, v86, v29
	v_add_f32_e32 v87, v87, v25
	v_add_f32_e32 v88, v88, v21
	v_add_f32_e32 v89, v89, v17
	v_add_f32_e32 v91, v91, v13
	v_add_f32_e32 v92, v92, v9
	v_add_f32_e32 v90, v90, v5
	v_add_f32_e32 v77, v77, v1
	v_add_nc_u32_e32 v95, 0x80, v95
	v_add_nc_u32_e32 v96, 0x200, v96
	v_add_co_ci_u32_e64 v70, null, 0, v70, s0
	s_or_b32 s13, vcc_lo, s13
	s_andn2_b32 exec_lo, exec_lo, s13
	s_cbranch_execz .LBB46_58
.LBB46_26:                              ; =>This Inner Loop Header: Depth=1
	global_load_dword v1, v[69:70], off
	v_add_nc_u32_e32 v98, -3, v95
	v_add_nc_u32_e32 v100, -2, v95
	v_add_nc_u32_e32 v99, -1, v95
	s_waitcnt vmcnt(0)
	v_mad_i64_i32 v[1:2], null, v1, s14, 0
	v_lshlrev_b64 v[1:2], 2, v[1:2]
	v_add_co_u32 v53, vcc_lo, v93, v1
	v_add_co_ci_u32_e64 v54, null, v94, v2, vcc_lo
	ds_read_b128 v[1:4], v96
	v_cmp_eq_u32_e32 vcc_lo, s5, v97
	global_load_dwordx4 v[5:8], v[53:54], off
	s_and_saveexec_b32 s1, vcc_lo
	s_cbranch_execnz .LBB46_45
; %bb.27:                               ;   in Loop: Header=BB46_26 Depth=1
	s_or_b32 exec_lo, exec_lo, s1
	global_load_dwordx4 v[9:12], v[53:54], off offset:512
	s_and_saveexec_b32 s1, vcc_lo
	s_cbranch_execnz .LBB46_46
.LBB46_28:                              ;   in Loop: Header=BB46_26 Depth=1
	s_or_b32 exec_lo, exec_lo, s1
	global_load_dwordx4 v[13:16], v[53:54], off offset:1024
	s_and_saveexec_b32 s1, vcc_lo
	s_cbranch_execnz .LBB46_47
.LBB46_29:                              ;   in Loop: Header=BB46_26 Depth=1
	s_or_b32 exec_lo, exec_lo, s1
	global_load_dwordx4 v[17:20], v[53:54], off offset:1536
	s_and_saveexec_b32 s1, vcc_lo
	s_cbranch_execz .LBB46_31
.LBB46_30:                              ;   in Loop: Header=BB46_26 Depth=1
	v_cmp_gt_i32_e64 s0, s11, v98
	s_waitcnt vmcnt(0)
	v_cndmask_b32_e64 v17, 0, v17, s0
	v_cmp_gt_i32_e64 s0, s11, v100
	v_cndmask_b32_e64 v18, 0, v18, s0
	v_cmp_gt_i32_e64 s0, s11, v99
	;; [unrolled: 2-line block ×3, first 2 shown]
	v_cndmask_b32_e64 v20, 0, v20, s0
.LBB46_31:                              ;   in Loop: Header=BB46_26 Depth=1
	s_or_b32 exec_lo, exec_lo, s1
	v_add_co_u32 v33, s0, 0x800, v53
	v_add_co_ci_u32_e64 v34, null, 0, v54, s0
	global_load_dwordx4 v[21:24], v[33:34], off
	s_and_saveexec_b32 s1, vcc_lo
	s_cbranch_execnz .LBB46_48
; %bb.32:                               ;   in Loop: Header=BB46_26 Depth=1
	s_or_b32 exec_lo, exec_lo, s1
	global_load_dwordx4 v[25:28], v[33:34], off offset:512
	s_and_saveexec_b32 s1, vcc_lo
	s_cbranch_execnz .LBB46_49
.LBB46_33:                              ;   in Loop: Header=BB46_26 Depth=1
	s_or_b32 exec_lo, exec_lo, s1
	global_load_dwordx4 v[29:32], v[33:34], off offset:1024
	s_and_saveexec_b32 s1, vcc_lo
	s_cbranch_execnz .LBB46_50
.LBB46_34:                              ;   in Loop: Header=BB46_26 Depth=1
	s_or_b32 exec_lo, exec_lo, s1
	global_load_dwordx4 v[33:36], v[33:34], off offset:1536
	s_and_saveexec_b32 s1, vcc_lo
	s_cbranch_execz .LBB46_36
.LBB46_35:                              ;   in Loop: Header=BB46_26 Depth=1
	v_cmp_gt_i32_e64 s0, s11, v98
	s_waitcnt vmcnt(0)
	v_cndmask_b32_e64 v33, 0, v33, s0
	v_cmp_gt_i32_e64 s0, s11, v100
	v_cndmask_b32_e64 v34, 0, v34, s0
	v_cmp_gt_i32_e64 s0, s11, v99
	;; [unrolled: 2-line block ×3, first 2 shown]
	v_cndmask_b32_e64 v36, 0, v36, s0
.LBB46_36:                              ;   in Loop: Header=BB46_26 Depth=1
	s_or_b32 exec_lo, exec_lo, s1
	v_add_co_u32 v49, s0, 0x1000, v53
	v_add_co_ci_u32_e64 v50, null, 0, v54, s0
	global_load_dwordx4 v[37:40], v[49:50], off
	s_and_saveexec_b32 s1, vcc_lo
	s_cbranch_execnz .LBB46_51
; %bb.37:                               ;   in Loop: Header=BB46_26 Depth=1
	s_or_b32 exec_lo, exec_lo, s1
	global_load_dwordx4 v[41:44], v[49:50], off offset:512
	s_and_saveexec_b32 s1, vcc_lo
	s_cbranch_execnz .LBB46_52
.LBB46_38:                              ;   in Loop: Header=BB46_26 Depth=1
	s_or_b32 exec_lo, exec_lo, s1
	global_load_dwordx4 v[45:48], v[49:50], off offset:1024
	s_and_saveexec_b32 s1, vcc_lo
	s_cbranch_execnz .LBB46_53
.LBB46_39:                              ;   in Loop: Header=BB46_26 Depth=1
	s_or_b32 exec_lo, exec_lo, s1
	global_load_dwordx4 v[49:52], v[49:50], off offset:1536
	s_and_saveexec_b32 s1, vcc_lo
	s_cbranch_execz .LBB46_41
.LBB46_40:                              ;   in Loop: Header=BB46_26 Depth=1
	v_cmp_gt_i32_e64 s0, s11, v98
	s_waitcnt vmcnt(0)
	v_cndmask_b32_e64 v49, 0, v49, s0
	v_cmp_gt_i32_e64 s0, s11, v100
	v_cndmask_b32_e64 v50, 0, v50, s0
	v_cmp_gt_i32_e64 s0, s11, v99
	;; [unrolled: 2-line block ×3, first 2 shown]
	v_cndmask_b32_e64 v52, 0, v52, s0
.LBB46_41:                              ;   in Loop: Header=BB46_26 Depth=1
	s_or_b32 exec_lo, exec_lo, s1
	v_add_co_u32 v53, s0, 0x1800, v53
	v_add_co_ci_u32_e64 v54, null, 0, v54, s0
	global_load_dwordx4 v[57:60], v[53:54], off
	s_and_saveexec_b32 s1, vcc_lo
	s_cbranch_execnz .LBB46_54
; %bb.42:                               ;   in Loop: Header=BB46_26 Depth=1
	s_or_b32 exec_lo, exec_lo, s1
	global_load_dwordx4 v[61:64], v[53:54], off offset:512
	s_and_saveexec_b32 s1, vcc_lo
	s_cbranch_execnz .LBB46_55
.LBB46_43:                              ;   in Loop: Header=BB46_26 Depth=1
	s_or_b32 exec_lo, exec_lo, s1
	global_load_dwordx4 v[65:68], v[53:54], off offset:1024
	s_and_saveexec_b32 s15, vcc_lo
	s_cbranch_execnz .LBB46_56
.LBB46_44:                              ;   in Loop: Header=BB46_26 Depth=1
	s_or_b32 exec_lo, exec_lo, s15
	global_load_dwordx4 v[53:56], v[53:54], off offset:1536
	s_and_saveexec_b32 s0, vcc_lo
	s_cbranch_execz .LBB46_25
	s_branch .LBB46_57
.LBB46_45:                              ;   in Loop: Header=BB46_26 Depth=1
	v_cmp_gt_i32_e64 s0, s11, v98
	s_waitcnt vmcnt(0)
	v_cndmask_b32_e64 v5, 0, v5, s0
	v_cmp_gt_i32_e64 s0, s11, v100
	v_cndmask_b32_e64 v6, 0, v6, s0
	v_cmp_gt_i32_e64 s0, s11, v99
	;; [unrolled: 2-line block ×3, first 2 shown]
	v_cndmask_b32_e64 v8, 0, v8, s0
	s_or_b32 exec_lo, exec_lo, s1
	global_load_dwordx4 v[9:12], v[53:54], off offset:512
	s_and_saveexec_b32 s1, vcc_lo
	s_cbranch_execz .LBB46_28
.LBB46_46:                              ;   in Loop: Header=BB46_26 Depth=1
	v_cmp_gt_i32_e64 s0, s11, v98
	s_waitcnt vmcnt(0)
	v_cndmask_b32_e64 v9, 0, v9, s0
	v_cmp_gt_i32_e64 s0, s11, v100
	v_cndmask_b32_e64 v10, 0, v10, s0
	v_cmp_gt_i32_e64 s0, s11, v99
	;; [unrolled: 2-line block ×3, first 2 shown]
	v_cndmask_b32_e64 v12, 0, v12, s0
	s_or_b32 exec_lo, exec_lo, s1
	global_load_dwordx4 v[13:16], v[53:54], off offset:1024
	s_and_saveexec_b32 s1, vcc_lo
	s_cbranch_execz .LBB46_29
.LBB46_47:                              ;   in Loop: Header=BB46_26 Depth=1
	v_cmp_gt_i32_e64 s0, s11, v98
	s_waitcnt vmcnt(0)
	v_cndmask_b32_e64 v13, 0, v13, s0
	v_cmp_gt_i32_e64 s0, s11, v100
	v_cndmask_b32_e64 v14, 0, v14, s0
	v_cmp_gt_i32_e64 s0, s11, v99
	;; [unrolled: 2-line block ×3, first 2 shown]
	v_cndmask_b32_e64 v16, 0, v16, s0
	s_or_b32 exec_lo, exec_lo, s1
	global_load_dwordx4 v[17:20], v[53:54], off offset:1536
	s_and_saveexec_b32 s1, vcc_lo
	s_cbranch_execnz .LBB46_30
	s_branch .LBB46_31
.LBB46_48:                              ;   in Loop: Header=BB46_26 Depth=1
	v_cmp_gt_i32_e64 s0, s11, v98
	s_waitcnt vmcnt(0)
	v_cndmask_b32_e64 v21, 0, v21, s0
	v_cmp_gt_i32_e64 s0, s11, v100
	v_cndmask_b32_e64 v22, 0, v22, s0
	v_cmp_gt_i32_e64 s0, s11, v99
	;; [unrolled: 2-line block ×3, first 2 shown]
	v_cndmask_b32_e64 v24, 0, v24, s0
	s_or_b32 exec_lo, exec_lo, s1
	global_load_dwordx4 v[25:28], v[33:34], off offset:512
	s_and_saveexec_b32 s1, vcc_lo
	s_cbranch_execz .LBB46_33
.LBB46_49:                              ;   in Loop: Header=BB46_26 Depth=1
	v_cmp_gt_i32_e64 s0, s11, v98
	s_waitcnt vmcnt(0)
	v_cndmask_b32_e64 v25, 0, v25, s0
	v_cmp_gt_i32_e64 s0, s11, v100
	v_cndmask_b32_e64 v26, 0, v26, s0
	v_cmp_gt_i32_e64 s0, s11, v99
	;; [unrolled: 2-line block ×3, first 2 shown]
	v_cndmask_b32_e64 v28, 0, v28, s0
	s_or_b32 exec_lo, exec_lo, s1
	global_load_dwordx4 v[29:32], v[33:34], off offset:1024
	s_and_saveexec_b32 s1, vcc_lo
	s_cbranch_execz .LBB46_34
.LBB46_50:                              ;   in Loop: Header=BB46_26 Depth=1
	v_cmp_gt_i32_e64 s0, s11, v98
	s_waitcnt vmcnt(0)
	v_cndmask_b32_e64 v29, 0, v29, s0
	v_cmp_gt_i32_e64 s0, s11, v100
	v_cndmask_b32_e64 v30, 0, v30, s0
	v_cmp_gt_i32_e64 s0, s11, v99
	;; [unrolled: 2-line block ×3, first 2 shown]
	v_cndmask_b32_e64 v32, 0, v32, s0
	s_or_b32 exec_lo, exec_lo, s1
	global_load_dwordx4 v[33:36], v[33:34], off offset:1536
	s_and_saveexec_b32 s1, vcc_lo
	s_cbranch_execnz .LBB46_35
	s_branch .LBB46_36
.LBB46_51:                              ;   in Loop: Header=BB46_26 Depth=1
	v_cmp_gt_i32_e64 s0, s11, v98
	s_waitcnt vmcnt(0)
	v_cndmask_b32_e64 v37, 0, v37, s0
	v_cmp_gt_i32_e64 s0, s11, v100
	v_cndmask_b32_e64 v38, 0, v38, s0
	v_cmp_gt_i32_e64 s0, s11, v99
	;; [unrolled: 2-line block ×3, first 2 shown]
	v_cndmask_b32_e64 v40, 0, v40, s0
	s_or_b32 exec_lo, exec_lo, s1
	global_load_dwordx4 v[41:44], v[49:50], off offset:512
	s_and_saveexec_b32 s1, vcc_lo
	s_cbranch_execz .LBB46_38
.LBB46_52:                              ;   in Loop: Header=BB46_26 Depth=1
	v_cmp_gt_i32_e64 s0, s11, v98
	s_waitcnt vmcnt(0)
	v_cndmask_b32_e64 v41, 0, v41, s0
	v_cmp_gt_i32_e64 s0, s11, v100
	v_cndmask_b32_e64 v42, 0, v42, s0
	v_cmp_gt_i32_e64 s0, s11, v99
	;; [unrolled: 2-line block ×3, first 2 shown]
	v_cndmask_b32_e64 v44, 0, v44, s0
	s_or_b32 exec_lo, exec_lo, s1
	global_load_dwordx4 v[45:48], v[49:50], off offset:1024
	s_and_saveexec_b32 s1, vcc_lo
	s_cbranch_execz .LBB46_39
.LBB46_53:                              ;   in Loop: Header=BB46_26 Depth=1
	v_cmp_gt_i32_e64 s0, s11, v98
	s_waitcnt vmcnt(0)
	v_cndmask_b32_e64 v45, 0, v45, s0
	v_cmp_gt_i32_e64 s0, s11, v100
	v_cndmask_b32_e64 v46, 0, v46, s0
	v_cmp_gt_i32_e64 s0, s11, v99
	;; [unrolled: 2-line block ×3, first 2 shown]
	v_cndmask_b32_e64 v48, 0, v48, s0
	s_or_b32 exec_lo, exec_lo, s1
	global_load_dwordx4 v[49:52], v[49:50], off offset:1536
	s_and_saveexec_b32 s1, vcc_lo
	s_cbranch_execnz .LBB46_40
	s_branch .LBB46_41
.LBB46_54:                              ;   in Loop: Header=BB46_26 Depth=1
	v_cmp_gt_i32_e64 s0, s11, v98
	s_waitcnt vmcnt(0)
	v_cndmask_b32_e64 v57, 0, v57, s0
	v_cmp_gt_i32_e64 s0, s11, v100
	v_cndmask_b32_e64 v58, 0, v58, s0
	v_cmp_gt_i32_e64 s0, s11, v99
	;; [unrolled: 2-line block ×3, first 2 shown]
	v_cndmask_b32_e64 v60, 0, v60, s0
	s_or_b32 exec_lo, exec_lo, s1
	global_load_dwordx4 v[61:64], v[53:54], off offset:512
	s_and_saveexec_b32 s1, vcc_lo
	s_cbranch_execz .LBB46_43
.LBB46_55:                              ;   in Loop: Header=BB46_26 Depth=1
	v_cmp_gt_i32_e64 s0, s11, v98
	s_waitcnt vmcnt(0)
	v_cndmask_b32_e64 v61, 0, v61, s0
	v_cmp_gt_i32_e64 s0, s11, v100
	v_cndmask_b32_e64 v62, 0, v62, s0
	v_cmp_gt_i32_e64 s0, s11, v99
	;; [unrolled: 2-line block ×3, first 2 shown]
	v_cndmask_b32_e64 v64, 0, v64, s0
	s_or_b32 exec_lo, exec_lo, s1
	global_load_dwordx4 v[65:68], v[53:54], off offset:1024
	s_and_saveexec_b32 s15, vcc_lo
	s_cbranch_execz .LBB46_44
.LBB46_56:                              ;   in Loop: Header=BB46_26 Depth=1
	v_cmp_gt_i32_e64 s0, s11, v98
	v_cmp_gt_i32_e64 s1, s11, v100
	;; [unrolled: 1-line block ×4, first 2 shown]
	s_waitcnt vmcnt(0)
	v_cndmask_b32_e64 v65, 0, v65, s0
	v_cndmask_b32_e64 v66, 0, v66, s1
	;; [unrolled: 1-line block ×4, first 2 shown]
	s_or_b32 exec_lo, exec_lo, s15
	global_load_dwordx4 v[53:56], v[53:54], off offset:1536
	s_and_saveexec_b32 s0, vcc_lo
	s_cbranch_execz .LBB46_25
.LBB46_57:                              ;   in Loop: Header=BB46_26 Depth=1
	v_cmp_gt_i32_e32 vcc_lo, s11, v98
	s_waitcnt vmcnt(0)
	v_cndmask_b32_e32 v53, 0, v53, vcc_lo
	v_cmp_gt_i32_e32 vcc_lo, s11, v100
	v_cndmask_b32_e32 v54, 0, v54, vcc_lo
	v_cmp_gt_i32_e32 vcc_lo, s11, v99
	;; [unrolled: 2-line block ×3, first 2 shown]
	v_cndmask_b32_e32 v56, 0, v56, vcc_lo
	s_branch .LBB46_25
.LBB46_58:
	s_or_b32 exec_lo, exec_lo, s13
.LBB46_59:
	s_or_b32 exec_lo, exec_lo, s4
	ds_bpermute_b32 v1, v75, v90
	ds_bpermute_b32 v5, v75, v88
	;; [unrolled: 1-line block ×16, first 2 shown]
	s_mov_b32 s0, exec_lo
	s_waitcnt lgkmcnt(0)
	s_barrier
	buffer_gl0_inv
	v_add_f32_e32 v1, v90, v1
	v_add_f32_e32 v5, v88, v5
	;; [unrolled: 1-line block ×5, first 2 shown]
	ds_bpermute_b32 v17, v74, v1
	ds_bpermute_b32 v21, v74, v5
	;; [unrolled: 1-line block ×3, first 2 shown]
	v_add_f32_e32 v3, v91, v3
	v_add_f32_e32 v4, v89, v4
	;; [unrolled: 1-line block ×10, first 2 shown]
	ds_bpermute_b32 v26, v74, v10
	v_add_f32_e32 v16, v77, v16
	ds_bpermute_b32 v18, v74, v2
	ds_bpermute_b32 v19, v74, v3
	;; [unrolled: 1-line block ×8, first 2 shown]
	s_waitcnt lgkmcnt(11)
	v_add_f32_e32 v1, v1, v17
	ds_bpermute_b32 v17, v74, v13
	s_waitcnt lgkmcnt(11)
	v_add_f32_e32 v5, v5, v21
	ds_bpermute_b32 v21, v74, v14
	;; [unrolled: 3-line block ×3, first 2 shown]
	ds_bpermute_b32 v29, v74, v16
	ds_bpermute_b32 v30, v73, v6
	s_waitcnt lgkmcnt(13)
	v_add_f32_e32 v10, v10, v26
	s_waitcnt lgkmcnt(12)
	v_add_f32_e32 v2, v2, v18
	s_waitcnt lgkmcnt(11)
	v_add_f32_e32 v3, v3, v19
	s_waitcnt lgkmcnt(10)
	v_add_f32_e32 v4, v4, v20
	s_waitcnt lgkmcnt(9)
	v_add_f32_e32 v7, v7, v23
	s_waitcnt lgkmcnt(8)
	v_add_f32_e32 v8, v8, v24
	s_waitcnt lgkmcnt(7)
	v_add_f32_e32 v9, v9, v25
	s_waitcnt lgkmcnt(6)
	v_add_f32_e32 v11, v11, v27
	s_waitcnt lgkmcnt(5)
	v_add_f32_e32 v12, v12, v28
	ds_bpermute_b32 v18, v73, v1
	s_waitcnt lgkmcnt(5)
	v_add_f32_e32 v13, v13, v17
	ds_bpermute_b32 v17, v73, v10
	s_waitcnt lgkmcnt(5)
	v_add_f32_e32 v14, v14, v21
	;; [unrolled: 3-line block ×3, first 2 shown]
	s_waitcnt lgkmcnt(4)
	v_add_f32_e32 v16, v16, v29
	ds_bpermute_b32 v20, v73, v3
	ds_bpermute_b32 v23, v73, v4
	;; [unrolled: 1-line block ×12, first 2 shown]
	s_waitcnt lgkmcnt(15)
	v_add_f32_e32 v6, v6, v30
	s_waitcnt lgkmcnt(14)
	v_add_f32_e32 v1, v1, v18
	;; [unrolled: 2-line block ×3, first 2 shown]
	v_lshrrev_b32_e32 v17, 3, v72
	s_waitcnt lgkmcnt(12)
	v_add_f32_e32 v2, v2, v19
	v_lshlrev_b32_e32 v19, 8, v71
	s_waitcnt lgkmcnt(11)
	v_add_f32_e32 v3, v3, v20
	s_waitcnt lgkmcnt(10)
	v_add_f32_e32 v4, v4, v23
	;; [unrolled: 2-line block ×10, first 2 shown]
	v_and_b32_e32 v20, 0x3c7, v0
	s_waitcnt lgkmcnt(1)
	v_add_f32_e32 v15, v15, v29
	s_waitcnt lgkmcnt(0)
	v_add_f32_e32 v16, v16, v32
	v_lshl_add_u32 v18, v17, 2, 0x120
	v_cmpx_eq_u32_e32 64, v20
	s_cbranch_execz .LBB46_61
; %bb.60:
	v_add_nc_u32_e32 v20, v18, v19
	v_add_nc_u32_e32 v21, 0xfffffe00, v20
	;; [unrolled: 1-line block ×7, first 2 shown]
	ds_write_b32 v21, v1
	ds_write_b32 v22, v2
	ds_write_b32 v23, v3
	ds_write_b32 v24, v4
	ds_write_b32 v25, v5
	ds_write_b32 v26, v6
	v_add_nc_u32_e32 v21, 0xfffffe60, v20
	v_add_nc_u32_e32 v22, 0xfffffe70, v20
	;; [unrolled: 1-line block ×5, first 2 shown]
	ds_write_b32 v21, v7
	ds_write_b32 v22, v8
	;; [unrolled: 1-line block ×5, first 2 shown]
	v_add_nc_u32_e32 v21, 0xfffffeb0, v20
	v_add_nc_u32_e32 v22, 0xfffffec0, v20
	;; [unrolled: 1-line block ×5, first 2 shown]
	ds_write_b32 v21, v12
	ds_write_b32 v22, v13
	;; [unrolled: 1-line block ×5, first 2 shown]
.LBB46_61:
	s_or_b32 exec_lo, exec_lo, s0
	v_lshlrev_b32_e32 v17, 2, v17
	s_mov_b32 s1, exec_lo
	v_cmp_eq_u32_e32 vcc_lo, 0, v76
	s_waitcnt lgkmcnt(0)
	s_barrier
	v_add3_u32 v17, 0x120, v19, v17
	buffer_gl0_inv
	v_cmpx_gt_u32_e32 64, v0
	s_cbranch_execz .LBB46_80
; %bb.62:
	s_and_saveexec_b32 s0, vcc_lo
	s_cbranch_execnz .LBB46_104
; %bb.63:
	s_or_b32 exec_lo, exec_lo, s0
	s_and_saveexec_b32 s0, vcc_lo
	s_cbranch_execnz .LBB46_105
.LBB46_64:
	s_or_b32 exec_lo, exec_lo, s0
	s_and_saveexec_b32 s0, vcc_lo
	s_cbranch_execnz .LBB46_106
.LBB46_65:
	s_or_b32 exec_lo, exec_lo, s0
	s_and_saveexec_b32 s0, vcc_lo
	s_cbranch_execnz .LBB46_107
.LBB46_66:
	s_or_b32 exec_lo, exec_lo, s0
	s_and_saveexec_b32 s0, vcc_lo
	s_cbranch_execnz .LBB46_108
.LBB46_67:
	s_or_b32 exec_lo, exec_lo, s0
	s_and_saveexec_b32 s0, vcc_lo
	s_cbranch_execnz .LBB46_109
.LBB46_68:
	s_or_b32 exec_lo, exec_lo, s0
	s_and_saveexec_b32 s0, vcc_lo
	s_cbranch_execnz .LBB46_110
.LBB46_69:
	s_or_b32 exec_lo, exec_lo, s0
	s_and_saveexec_b32 s0, vcc_lo
	s_cbranch_execnz .LBB46_111
.LBB46_70:
	s_or_b32 exec_lo, exec_lo, s0
	s_and_saveexec_b32 s0, vcc_lo
	s_cbranch_execnz .LBB46_112
.LBB46_71:
	s_or_b32 exec_lo, exec_lo, s0
	s_and_saveexec_b32 s0, vcc_lo
	s_cbranch_execnz .LBB46_113
.LBB46_72:
	s_or_b32 exec_lo, exec_lo, s0
	s_and_saveexec_b32 s0, vcc_lo
	s_cbranch_execnz .LBB46_114
.LBB46_73:
	s_or_b32 exec_lo, exec_lo, s0
	s_and_saveexec_b32 s0, vcc_lo
	s_cbranch_execnz .LBB46_115
.LBB46_74:
	s_or_b32 exec_lo, exec_lo, s0
	s_and_saveexec_b32 s0, vcc_lo
	s_cbranch_execnz .LBB46_116
.LBB46_75:
	s_or_b32 exec_lo, exec_lo, s0
	s_and_saveexec_b32 s0, vcc_lo
	s_cbranch_execnz .LBB46_117
.LBB46_76:
	s_or_b32 exec_lo, exec_lo, s0
	s_and_saveexec_b32 s0, vcc_lo
	s_cbranch_execnz .LBB46_118
.LBB46_77:
	s_or_b32 exec_lo, exec_lo, s0
	s_and_saveexec_b32 s0, vcc_lo
	s_cbranch_execz .LBB46_79
.LBB46_78:
	ds_read_b32 v19, v17 offset:240
	s_waitcnt lgkmcnt(0)
	v_add_f32_e32 v16, v16, v19
.LBB46_79:
	s_or_b32 exec_lo, exec_lo, s0
.LBB46_80:
	s_or_b32 exec_lo, exec_lo, s1
	v_and_b32_e32 v19, 0x3e7, v0
	s_mov_b32 s1, exec_lo
	s_barrier
	buffer_gl0_inv
	v_cmpx_eq_u32_e32 32, v19
	s_cbranch_execz .LBB46_82
; %bb.81:
	ds_write2_b32 v18, v1, v2 offset1:4
	ds_write2_b32 v18, v3, v4 offset0:8 offset1:12
	ds_write2_b32 v18, v5, v6 offset0:16 offset1:20
	;; [unrolled: 1-line block ×7, first 2 shown]
.LBB46_82:
	s_or_b32 exec_lo, exec_lo, s1
	s_mov_b32 s1, exec_lo
	s_waitcnt lgkmcnt(0)
	s_barrier
	buffer_gl0_inv
	v_cmpx_gt_u32_e32 32, v0
	s_cbranch_execz .LBB46_101
; %bb.83:
	s_and_saveexec_b32 s0, vcc_lo
	s_cbranch_execnz .LBB46_119
; %bb.84:
	s_or_b32 exec_lo, exec_lo, s0
	s_and_saveexec_b32 s0, vcc_lo
	s_cbranch_execnz .LBB46_120
.LBB46_85:
	s_or_b32 exec_lo, exec_lo, s0
	s_and_saveexec_b32 s0, vcc_lo
	s_cbranch_execnz .LBB46_121
.LBB46_86:
	s_or_b32 exec_lo, exec_lo, s0
	s_and_saveexec_b32 s0, vcc_lo
	s_cbranch_execnz .LBB46_122
.LBB46_87:
	s_or_b32 exec_lo, exec_lo, s0
	s_and_saveexec_b32 s0, vcc_lo
	s_cbranch_execnz .LBB46_123
.LBB46_88:
	s_or_b32 exec_lo, exec_lo, s0
	s_and_saveexec_b32 s0, vcc_lo
	s_cbranch_execnz .LBB46_124
.LBB46_89:
	s_or_b32 exec_lo, exec_lo, s0
	s_and_saveexec_b32 s0, vcc_lo
	s_cbranch_execnz .LBB46_125
.LBB46_90:
	s_or_b32 exec_lo, exec_lo, s0
	s_and_saveexec_b32 s0, vcc_lo
	s_cbranch_execnz .LBB46_126
.LBB46_91:
	s_or_b32 exec_lo, exec_lo, s0
	s_and_saveexec_b32 s0, vcc_lo
	s_cbranch_execnz .LBB46_127
.LBB46_92:
	s_or_b32 exec_lo, exec_lo, s0
	s_and_saveexec_b32 s0, vcc_lo
	s_cbranch_execnz .LBB46_128
.LBB46_93:
	s_or_b32 exec_lo, exec_lo, s0
	s_and_saveexec_b32 s0, vcc_lo
	s_cbranch_execnz .LBB46_129
.LBB46_94:
	s_or_b32 exec_lo, exec_lo, s0
	s_and_saveexec_b32 s0, vcc_lo
	s_cbranch_execnz .LBB46_130
.LBB46_95:
	s_or_b32 exec_lo, exec_lo, s0
	s_and_saveexec_b32 s0, vcc_lo
	s_cbranch_execnz .LBB46_131
.LBB46_96:
	s_or_b32 exec_lo, exec_lo, s0
	s_and_saveexec_b32 s0, vcc_lo
	s_cbranch_execnz .LBB46_132
.LBB46_97:
	s_or_b32 exec_lo, exec_lo, s0
	s_and_saveexec_b32 s0, vcc_lo
	s_cbranch_execnz .LBB46_133
.LBB46_98:
	s_or_b32 exec_lo, exec_lo, s0
	s_and_saveexec_b32 s0, vcc_lo
	s_cbranch_execz .LBB46_100
.LBB46_99:
	ds_read_b32 v17, v17 offset:240
	s_waitcnt lgkmcnt(0)
	v_add_f32_e32 v16, v16, v17
.LBB46_100:
	s_or_b32 exec_lo, exec_lo, s0
.LBB46_101:
	s_or_b32 exec_lo, exec_lo, s1
	s_barrier
	buffer_gl0_inv
	s_mov_b32 s0, exec_lo
	v_cmpx_eq_u32_e32 0, v19
	s_cbranch_execz .LBB46_103
; %bb.102:
	s_mul_i32 s0, s10, s7
	s_mul_i32 s2, s7, s6
	s_mul_i32 s0, s0, s9
	v_lshrrev_b32_e32 v0, 1, v0
	s_lshl_b32 s0, s0, 6
	s_ashr_i32 s1, s0, 31
	s_lshl_b64 s[0:1], s[0:1], 2
	s_add_u32 s4, s16, s0
	s_addc_u32 s5, s17, s1
	s_ashr_i32 s3, s2, 31
	s_lshl_b64 s[0:1], s[2:3], 2
	s_add_u32 s2, s4, s0
	s_addc_u32 s3, s5, s1
	s_lshl_b32 s0, s8, 6
	s_ashr_i32 s1, s0, 31
	s_lshl_b64 s[0:1], s[0:1], 2
	s_add_u32 s0, s2, s0
	s_addc_u32 s1, s3, s1
	global_store_dword v0, v1, s[0:1]
	global_store_dword v0, v2, s[0:1] offset:16
	global_store_dword v0, v3, s[0:1] offset:32
	;; [unrolled: 1-line block ×15, first 2 shown]
.LBB46_103:
	s_endpgm
.LBB46_104:
	ds_read_b32 v19, v17
	s_waitcnt lgkmcnt(0)
	v_add_f32_e32 v1, v1, v19
	s_or_b32 exec_lo, exec_lo, s0
	s_and_saveexec_b32 s0, vcc_lo
	s_cbranch_execz .LBB46_64
.LBB46_105:
	ds_read_b32 v19, v17 offset:16
	s_waitcnt lgkmcnt(0)
	v_add_f32_e32 v2, v2, v19
	s_or_b32 exec_lo, exec_lo, s0
	s_and_saveexec_b32 s0, vcc_lo
	s_cbranch_execz .LBB46_65
.LBB46_106:
	ds_read_b32 v19, v17 offset:32
	s_waitcnt lgkmcnt(0)
	v_add_f32_e32 v3, v3, v19
	s_or_b32 exec_lo, exec_lo, s0
	s_and_saveexec_b32 s0, vcc_lo
	s_cbranch_execz .LBB46_66
.LBB46_107:
	ds_read_b32 v19, v17 offset:48
	s_waitcnt lgkmcnt(0)
	v_add_f32_e32 v4, v4, v19
	s_or_b32 exec_lo, exec_lo, s0
	s_and_saveexec_b32 s0, vcc_lo
	s_cbranch_execz .LBB46_67
.LBB46_108:
	ds_read_b32 v19, v17 offset:64
	s_waitcnt lgkmcnt(0)
	v_add_f32_e32 v5, v5, v19
	s_or_b32 exec_lo, exec_lo, s0
	s_and_saveexec_b32 s0, vcc_lo
	s_cbranch_execz .LBB46_68
.LBB46_109:
	ds_read_b32 v19, v17 offset:80
	s_waitcnt lgkmcnt(0)
	v_add_f32_e32 v6, v6, v19
	s_or_b32 exec_lo, exec_lo, s0
	s_and_saveexec_b32 s0, vcc_lo
	s_cbranch_execz .LBB46_69
.LBB46_110:
	ds_read_b32 v19, v17 offset:96
	s_waitcnt lgkmcnt(0)
	v_add_f32_e32 v7, v7, v19
	s_or_b32 exec_lo, exec_lo, s0
	s_and_saveexec_b32 s0, vcc_lo
	s_cbranch_execz .LBB46_70
.LBB46_111:
	ds_read_b32 v19, v17 offset:112
	s_waitcnt lgkmcnt(0)
	v_add_f32_e32 v8, v8, v19
	s_or_b32 exec_lo, exec_lo, s0
	s_and_saveexec_b32 s0, vcc_lo
	s_cbranch_execz .LBB46_71
.LBB46_112:
	ds_read_b32 v19, v17 offset:128
	s_waitcnt lgkmcnt(0)
	v_add_f32_e32 v9, v9, v19
	s_or_b32 exec_lo, exec_lo, s0
	s_and_saveexec_b32 s0, vcc_lo
	s_cbranch_execz .LBB46_72
.LBB46_113:
	ds_read_b32 v19, v17 offset:144
	s_waitcnt lgkmcnt(0)
	v_add_f32_e32 v10, v10, v19
	s_or_b32 exec_lo, exec_lo, s0
	s_and_saveexec_b32 s0, vcc_lo
	s_cbranch_execz .LBB46_73
.LBB46_114:
	ds_read_b32 v19, v17 offset:160
	s_waitcnt lgkmcnt(0)
	v_add_f32_e32 v11, v11, v19
	s_or_b32 exec_lo, exec_lo, s0
	s_and_saveexec_b32 s0, vcc_lo
	s_cbranch_execz .LBB46_74
.LBB46_115:
	ds_read_b32 v19, v17 offset:176
	s_waitcnt lgkmcnt(0)
	v_add_f32_e32 v12, v12, v19
	s_or_b32 exec_lo, exec_lo, s0
	s_and_saveexec_b32 s0, vcc_lo
	s_cbranch_execz .LBB46_75
.LBB46_116:
	ds_read_b32 v19, v17 offset:192
	s_waitcnt lgkmcnt(0)
	v_add_f32_e32 v13, v13, v19
	s_or_b32 exec_lo, exec_lo, s0
	s_and_saveexec_b32 s0, vcc_lo
	s_cbranch_execz .LBB46_76
.LBB46_117:
	ds_read_b32 v19, v17 offset:208
	s_waitcnt lgkmcnt(0)
	v_add_f32_e32 v14, v14, v19
	s_or_b32 exec_lo, exec_lo, s0
	s_and_saveexec_b32 s0, vcc_lo
	s_cbranch_execz .LBB46_77
.LBB46_118:
	ds_read_b32 v19, v17 offset:224
	s_waitcnt lgkmcnt(0)
	v_add_f32_e32 v15, v15, v19
	s_or_b32 exec_lo, exec_lo, s0
	s_and_saveexec_b32 s0, vcc_lo
	s_cbranch_execnz .LBB46_78
	s_branch .LBB46_79
.LBB46_119:
	ds_read_b32 v18, v17
	s_waitcnt lgkmcnt(0)
	v_add_f32_e32 v1, v1, v18
	s_or_b32 exec_lo, exec_lo, s0
	s_and_saveexec_b32 s0, vcc_lo
	s_cbranch_execz .LBB46_85
.LBB46_120:
	ds_read_b32 v18, v17 offset:16
	s_waitcnt lgkmcnt(0)
	v_add_f32_e32 v2, v2, v18
	s_or_b32 exec_lo, exec_lo, s0
	s_and_saveexec_b32 s0, vcc_lo
	s_cbranch_execz .LBB46_86
.LBB46_121:
	ds_read_b32 v18, v17 offset:32
	s_waitcnt lgkmcnt(0)
	v_add_f32_e32 v3, v3, v18
	s_or_b32 exec_lo, exec_lo, s0
	s_and_saveexec_b32 s0, vcc_lo
	s_cbranch_execz .LBB46_87
.LBB46_122:
	ds_read_b32 v18, v17 offset:48
	s_waitcnt lgkmcnt(0)
	v_add_f32_e32 v4, v4, v18
	s_or_b32 exec_lo, exec_lo, s0
	s_and_saveexec_b32 s0, vcc_lo
	s_cbranch_execz .LBB46_88
.LBB46_123:
	ds_read_b32 v18, v17 offset:64
	s_waitcnt lgkmcnt(0)
	v_add_f32_e32 v5, v5, v18
	s_or_b32 exec_lo, exec_lo, s0
	s_and_saveexec_b32 s0, vcc_lo
	s_cbranch_execz .LBB46_89
.LBB46_124:
	ds_read_b32 v18, v17 offset:80
	s_waitcnt lgkmcnt(0)
	v_add_f32_e32 v6, v6, v18
	s_or_b32 exec_lo, exec_lo, s0
	s_and_saveexec_b32 s0, vcc_lo
	s_cbranch_execz .LBB46_90
.LBB46_125:
	ds_read_b32 v18, v17 offset:96
	s_waitcnt lgkmcnt(0)
	v_add_f32_e32 v7, v7, v18
	s_or_b32 exec_lo, exec_lo, s0
	s_and_saveexec_b32 s0, vcc_lo
	s_cbranch_execz .LBB46_91
.LBB46_126:
	ds_read_b32 v18, v17 offset:112
	s_waitcnt lgkmcnt(0)
	v_add_f32_e32 v8, v8, v18
	s_or_b32 exec_lo, exec_lo, s0
	s_and_saveexec_b32 s0, vcc_lo
	s_cbranch_execz .LBB46_92
.LBB46_127:
	ds_read_b32 v18, v17 offset:128
	s_waitcnt lgkmcnt(0)
	v_add_f32_e32 v9, v9, v18
	s_or_b32 exec_lo, exec_lo, s0
	s_and_saveexec_b32 s0, vcc_lo
	s_cbranch_execz .LBB46_93
.LBB46_128:
	ds_read_b32 v18, v17 offset:144
	s_waitcnt lgkmcnt(0)
	v_add_f32_e32 v10, v10, v18
	s_or_b32 exec_lo, exec_lo, s0
	s_and_saveexec_b32 s0, vcc_lo
	s_cbranch_execz .LBB46_94
.LBB46_129:
	ds_read_b32 v18, v17 offset:160
	s_waitcnt lgkmcnt(0)
	v_add_f32_e32 v11, v11, v18
	s_or_b32 exec_lo, exec_lo, s0
	s_and_saveexec_b32 s0, vcc_lo
	s_cbranch_execz .LBB46_95
.LBB46_130:
	ds_read_b32 v18, v17 offset:176
	s_waitcnt lgkmcnt(0)
	v_add_f32_e32 v12, v12, v18
	s_or_b32 exec_lo, exec_lo, s0
	s_and_saveexec_b32 s0, vcc_lo
	s_cbranch_execz .LBB46_96
.LBB46_131:
	ds_read_b32 v18, v17 offset:192
	s_waitcnt lgkmcnt(0)
	v_add_f32_e32 v13, v13, v18
	s_or_b32 exec_lo, exec_lo, s0
	s_and_saveexec_b32 s0, vcc_lo
	s_cbranch_execz .LBB46_97
.LBB46_132:
	ds_read_b32 v18, v17 offset:208
	s_waitcnt lgkmcnt(0)
	v_add_f32_e32 v14, v14, v18
	s_or_b32 exec_lo, exec_lo, s0
	s_and_saveexec_b32 s0, vcc_lo
	s_cbranch_execz .LBB46_98
.LBB46_133:
	ds_read_b32 v18, v17 offset:224
	s_waitcnt lgkmcnt(0)
	v_add_f32_e32 v15, v15, v18
	s_or_b32 exec_lo, exec_lo, s0
	s_and_saveexec_b32 s0, vcc_lo
	s_cbranch_execnz .LBB46_99
	s_branch .LBB46_100
	.section	.rodata,"a",@progbits
	.p2align	6, 0x0
	.amdhsa_kernel _ZN4vllm25paged_attention_v1_kernelIffLi64ELi32ELi128ELNS_18Fp8KVCacheDataTypeE0ELb0EEEvPT_PKS2_PKT0_S8_ifPKiSA_iPKfiiiSC_SC_iiiii
		.amdhsa_group_segment_fixed_size 288
		.amdhsa_private_segment_fixed_size 0
		.amdhsa_kernarg_size 384
		.amdhsa_user_sgpr_count 6
		.amdhsa_user_sgpr_private_segment_buffer 1
		.amdhsa_user_sgpr_dispatch_ptr 0
		.amdhsa_user_sgpr_queue_ptr 0
		.amdhsa_user_sgpr_kernarg_segment_ptr 1
		.amdhsa_user_sgpr_dispatch_id 0
		.amdhsa_user_sgpr_flat_scratch_init 0
		.amdhsa_user_sgpr_private_segment_size 0
		.amdhsa_wavefront_size32 1
		.amdhsa_uses_dynamic_stack 0
		.amdhsa_system_sgpr_private_segment_wavefront_offset 0
		.amdhsa_system_sgpr_workgroup_id_x 1
		.amdhsa_system_sgpr_workgroup_id_y 1
		.amdhsa_system_sgpr_workgroup_id_z 1
		.amdhsa_system_sgpr_workgroup_info 0
		.amdhsa_system_vgpr_workitem_id 0
		.amdhsa_next_free_vgpr 114
		.amdhsa_next_free_sgpr 28
		.amdhsa_reserve_vcc 1
		.amdhsa_reserve_flat_scratch 0
		.amdhsa_float_round_mode_32 0
		.amdhsa_float_round_mode_16_64 0
		.amdhsa_float_denorm_mode_32 3
		.amdhsa_float_denorm_mode_16_64 3
		.amdhsa_dx10_clamp 1
		.amdhsa_ieee_mode 1
		.amdhsa_fp16_overflow 0
		.amdhsa_workgroup_processor_mode 1
		.amdhsa_memory_ordered 1
		.amdhsa_forward_progress 1
		.amdhsa_shared_vgpr_count 0
		.amdhsa_exception_fp_ieee_invalid_op 0
		.amdhsa_exception_fp_denorm_src 0
		.amdhsa_exception_fp_ieee_div_zero 0
		.amdhsa_exception_fp_ieee_overflow 0
		.amdhsa_exception_fp_ieee_underflow 0
		.amdhsa_exception_fp_ieee_inexact 0
		.amdhsa_exception_int_div_zero 0
	.end_amdhsa_kernel
	.section	.text._ZN4vllm25paged_attention_v1_kernelIffLi64ELi32ELi128ELNS_18Fp8KVCacheDataTypeE0ELb0EEEvPT_PKS2_PKT0_S8_ifPKiSA_iPKfiiiSC_SC_iiiii,"axG",@progbits,_ZN4vllm25paged_attention_v1_kernelIffLi64ELi32ELi128ELNS_18Fp8KVCacheDataTypeE0ELb0EEEvPT_PKS2_PKT0_S8_ifPKiSA_iPKfiiiSC_SC_iiiii,comdat
.Lfunc_end46:
	.size	_ZN4vllm25paged_attention_v1_kernelIffLi64ELi32ELi128ELNS_18Fp8KVCacheDataTypeE0ELb0EEEvPT_PKS2_PKT0_S8_ifPKiSA_iPKfiiiSC_SC_iiiii, .Lfunc_end46-_ZN4vllm25paged_attention_v1_kernelIffLi64ELi32ELi128ELNS_18Fp8KVCacheDataTypeE0ELb0EEEvPT_PKS2_PKT0_S8_ifPKiSA_iPKfiiiSC_SC_iiiii
                                        ; -- End function
	.set _ZN4vllm25paged_attention_v1_kernelIffLi64ELi32ELi128ELNS_18Fp8KVCacheDataTypeE0ELb0EEEvPT_PKS2_PKT0_S8_ifPKiSA_iPKfiiiSC_SC_iiiii.num_vgpr, 114
	.set _ZN4vllm25paged_attention_v1_kernelIffLi64ELi32ELi128ELNS_18Fp8KVCacheDataTypeE0ELb0EEEvPT_PKS2_PKT0_S8_ifPKiSA_iPKfiiiSC_SC_iiiii.num_agpr, 0
	.set _ZN4vllm25paged_attention_v1_kernelIffLi64ELi32ELi128ELNS_18Fp8KVCacheDataTypeE0ELb0EEEvPT_PKS2_PKT0_S8_ifPKiSA_iPKfiiiSC_SC_iiiii.numbered_sgpr, 28
	.set _ZN4vllm25paged_attention_v1_kernelIffLi64ELi32ELi128ELNS_18Fp8KVCacheDataTypeE0ELb0EEEvPT_PKS2_PKT0_S8_ifPKiSA_iPKfiiiSC_SC_iiiii.num_named_barrier, 0
	.set _ZN4vllm25paged_attention_v1_kernelIffLi64ELi32ELi128ELNS_18Fp8KVCacheDataTypeE0ELb0EEEvPT_PKS2_PKT0_S8_ifPKiSA_iPKfiiiSC_SC_iiiii.private_seg_size, 0
	.set _ZN4vllm25paged_attention_v1_kernelIffLi64ELi32ELi128ELNS_18Fp8KVCacheDataTypeE0ELb0EEEvPT_PKS2_PKT0_S8_ifPKiSA_iPKfiiiSC_SC_iiiii.uses_vcc, 1
	.set _ZN4vllm25paged_attention_v1_kernelIffLi64ELi32ELi128ELNS_18Fp8KVCacheDataTypeE0ELb0EEEvPT_PKS2_PKT0_S8_ifPKiSA_iPKfiiiSC_SC_iiiii.uses_flat_scratch, 0
	.set _ZN4vllm25paged_attention_v1_kernelIffLi64ELi32ELi128ELNS_18Fp8KVCacheDataTypeE0ELb0EEEvPT_PKS2_PKT0_S8_ifPKiSA_iPKfiiiSC_SC_iiiii.has_dyn_sized_stack, 0
	.set _ZN4vllm25paged_attention_v1_kernelIffLi64ELi32ELi128ELNS_18Fp8KVCacheDataTypeE0ELb0EEEvPT_PKS2_PKT0_S8_ifPKiSA_iPKfiiiSC_SC_iiiii.has_recursion, 0
	.set _ZN4vllm25paged_attention_v1_kernelIffLi64ELi32ELi128ELNS_18Fp8KVCacheDataTypeE0ELb0EEEvPT_PKS2_PKT0_S8_ifPKiSA_iPKfiiiSC_SC_iiiii.has_indirect_call, 0
	.section	.AMDGPU.csdata,"",@progbits
; Kernel info:
; codeLenInByte = 7548
; TotalNumSgprs: 30
; NumVgprs: 114
; ScratchSize: 0
; MemoryBound: 0
; FloatMode: 240
; IeeeMode: 1
; LDSByteSize: 288 bytes/workgroup (compile time only)
; SGPRBlocks: 0
; VGPRBlocks: 14
; NumSGPRsForWavesPerEU: 30
; NumVGPRsForWavesPerEU: 114
; Occupancy: 8
; WaveLimiterHint : 1
; COMPUTE_PGM_RSRC2:SCRATCH_EN: 0
; COMPUTE_PGM_RSRC2:USER_SGPR: 6
; COMPUTE_PGM_RSRC2:TRAP_HANDLER: 0
; COMPUTE_PGM_RSRC2:TGID_X_EN: 1
; COMPUTE_PGM_RSRC2:TGID_Y_EN: 1
; COMPUTE_PGM_RSRC2:TGID_Z_EN: 1
; COMPUTE_PGM_RSRC2:TIDIG_COMP_CNT: 0
	.section	.text._ZN4vllm25paged_attention_v1_kernelIffLi80ELi32ELi128ELNS_18Fp8KVCacheDataTypeE0ELb0EEEvPT_PKS2_PKT0_S8_ifPKiSA_iPKfiiiSC_SC_iiiii,"axG",@progbits,_ZN4vllm25paged_attention_v1_kernelIffLi80ELi32ELi128ELNS_18Fp8KVCacheDataTypeE0ELb0EEEvPT_PKS2_PKT0_S8_ifPKiSA_iPKfiiiSC_SC_iiiii,comdat
	.protected	_ZN4vllm25paged_attention_v1_kernelIffLi80ELi32ELi128ELNS_18Fp8KVCacheDataTypeE0ELb0EEEvPT_PKS2_PKT0_S8_ifPKiSA_iPKfiiiSC_SC_iiiii ; -- Begin function _ZN4vllm25paged_attention_v1_kernelIffLi80ELi32ELi128ELNS_18Fp8KVCacheDataTypeE0ELb0EEEvPT_PKS2_PKT0_S8_ifPKiSA_iPKfiiiSC_SC_iiiii
	.globl	_ZN4vllm25paged_attention_v1_kernelIffLi80ELi32ELi128ELNS_18Fp8KVCacheDataTypeE0ELb0EEEvPT_PKS2_PKT0_S8_ifPKiSA_iPKfiiiSC_SC_iiiii
	.p2align	8
	.type	_ZN4vllm25paged_attention_v1_kernelIffLi80ELi32ELi128ELNS_18Fp8KVCacheDataTypeE0ELb0EEEvPT_PKS2_PKT0_S8_ifPKiSA_iPKfiiiSC_SC_iiiii,@function
_ZN4vllm25paged_attention_v1_kernelIffLi80ELi32ELi128ELNS_18Fp8KVCacheDataTypeE0ELb0EEEvPT_PKS2_PKT0_S8_ifPKiSA_iPKfiiiSC_SC_iiiii: ; @_ZN4vllm25paged_attention_v1_kernelIffLi80ELi32ELi128ELNS_18Fp8KVCacheDataTypeE0ELb0EEEvPT_PKS2_PKT0_S8_ifPKiSA_iPKfiiiSC_SC_iiiii
; %bb.0:
	s_clause 0x2
	s_load_dword s9, s[4:5], 0x80
	s_load_dwordx2 s[0:1], s[4:5], 0x30
	s_load_dwordx2 s[2:3], s[4:5], 0x20
	s_mov_b32 s10, s7
	s_ashr_i32 s11, s7, 31
	s_mov_b32 s24, 0
	s_lshl_b64 s[12:13], s[10:11], 2
	s_waitcnt lgkmcnt(0)
	s_add_u32 s0, s0, s12
	s_addc_u32 s1, s1, s13
	s_abs_i32 s7, s2
	s_abs_i32 s13, s9
	v_cvt_f32_u32_e32 v1, s7
	s_sub_i32 s12, 0, s7
	s_xor_b32 s2, s9, s2
	s_ashr_i32 s2, s2, 31
	v_rcp_iflag_f32_e32 v1, v1
	v_mul_f32_e32 v1, 0x4f7ffffe, v1
	v_cvt_u32_f32_e32 v1, v1
	v_readfirstlane_b32 s11, v1
	s_mul_i32 s12, s12, s11
	s_mul_hi_u32 s12, s11, s12
	s_add_i32 s11, s11, s12
	s_mul_hi_u32 s11, s13, s11
	s_mul_i32 s12, s11, s7
	s_sub_i32 s12, s13, s12
	s_add_i32 s13, s11, 1
	s_sub_i32 s14, s12, s7
	s_cmp_ge_u32 s12, s7
	s_cselect_b32 s11, s13, s11
	s_cselect_b32 s12, s14, s12
	s_add_i32 s13, s11, 1
	s_cmp_ge_u32 s12, s7
	s_cselect_b32 s7, s13, s11
	s_load_dwordx2 s[12:13], s[4:5], 0x40
	s_xor_b32 s7, s7, s2
	s_abs_i32 s16, s6
	s_sub_i32 s17, s7, s2
	s_abs_i32 s2, s17
	v_cvt_f32_u32_e32 v1, s2
	s_sub_i32 s11, 0, s2
	v_rcp_iflag_f32_e32 v1, v1
	v_mul_f32_e32 v1, 0x4f7ffffe, v1
	v_cvt_u32_f32_e32 v1, v1
	v_readfirstlane_b32 s7, v1
	s_mul_i32 s11, s11, s7
	s_mul_hi_u32 s11, s7, s11
	s_add_i32 s7, s7, s11
	s_waitcnt lgkmcnt(0)
	s_cmp_eq_u64 s[12:13], 0
	s_mul_hi_u32 s20, s16, s7
	s_cbranch_scc1 .LBB47_2
; %bb.1:
	s_ashr_i32 s7, s6, 31
	s_lshl_b64 s[14:15], s[6:7], 2
	s_add_u32 s12, s12, s14
	s_addc_u32 s13, s13, s15
	s_load_dword s24, s[12:13], 0x0
.LBB47_2:
	s_load_dword s11, s[0:1], 0x0
	s_clause 0x1
	s_load_dwordx2 s[18:19], s[4:5], 0x28
	s_load_dwordx4 s[12:15], s[4:5], 0x48
	v_lshlrev_b32_e32 v85, 4, v0
	s_ashr_i32 s0, s6, 31
	s_ashr_i32 s1, s17, 31
	s_mulk_i32 s6, 0x50
	s_waitcnt lgkmcnt(0)
	s_mov_b32 s15, exec_lo
	v_cmpx_gt_u32_e32 20, v0
	s_cbranch_execz .LBB47_4
; %bb.3:
	s_load_dwordx2 s[22:23], s[4:5], 0x8
	s_mul_i32 s26, s12, s10
	s_ashr_i32 s27, s26, 31
	s_lshl_b64 s[26:27], s[26:27], 2
	s_waitcnt lgkmcnt(0)
	s_add_u32 s12, s22, s26
	s_addc_u32 s17, s23, s27
	s_ashr_i32 s7, s6, 31
	s_lshl_b64 s[22:23], s[6:7], 2
	s_add_u32 s22, s12, s22
	s_addc_u32 s23, s17, s23
	global_load_dwordx4 v[1:4], v85, s[22:23]
	s_waitcnt vmcnt(0)
	ds_write_b128 v85, v[1:4]
.LBB47_4:
	s_or_b32 exec_lo, exec_lo, s15
	s_add_i32 s7, s11, 31
	s_xor_b32 s0, s0, s1
	s_ashr_i32 s12, s7, 31
	s_load_dword s15, s[4:5], 0x38
	s_lshr_b32 s1, s12, 27
	s_mul_i32 s12, s20, s2
	s_add_i32 s7, s7, s1
	s_sub_i32 s1, s16, s12
	s_ashr_i32 s12, s7, 5
	s_clause 0x2
	s_load_dwordx2 s[16:17], s[4:5], 0x0
	s_load_dwordx2 s[22:23], s[4:5], 0x18
	s_load_dword s7, s[4:5], 0x88
	s_add_i32 s21, s20, 1
	s_sub_i32 s25, s1, s2
	s_cmp_ge_u32 s1, s2
	v_lshrrev_b32_e32 v87, 5, v0
	s_cselect_b32 s20, s21, s20
	s_cselect_b32 s1, s25, s1
	s_add_i32 s21, s20, 1
	s_cmp_ge_u32 s1, s2
	v_and_b32_e32 v88, 31, v0
	s_cselect_b32 s1, s21, s20
	v_mov_b32_e32 v91, 0xff7fffff
	s_xor_b32 s1, s1, s0
	v_lshrrev_b32_e32 v86, 3, v0
	s_sub_i32 s1, s1, s0
	v_cmp_gt_i32_e64 s0, s12, v87
	v_lshlrev_b32_e32 v92, 2, v88
	s_waitcnt lgkmcnt(0)
	s_mul_i32 s20, s15, s10
	s_mul_i32 s14, s1, s14
	s_ashr_i32 s21, s20, 31
	s_barrier
	buffer_gl0_inv
	s_and_saveexec_b32 s25, s0
	s_cbranch_execz .LBB47_8
; %bb.5:
	s_load_dwordx2 s[4:5], s[4:5], 0x10
	v_mov_b32_e32 v77, 0
	s_ashr_i32 s15, s14, 31
	v_lshlrev_b32_e32 v49, 4, v88
	s_lshl_b64 s[26:27], s[14:15], 2
	ds_read_b128 v[1:4], v77
	ds_read_b128 v[5:8], v77 offset:16
	ds_read_b128 v[9:12], v77 offset:32
	;; [unrolled: 1-line block ×11, first 2 shown]
	v_lshl_or_b32 v81, v87, 7, v92
	v_and_b32_e32 v82, 0x7c, v86
	v_cmp_neq_f32_e64 vcc_lo, s24, 0
	v_lshl_or_b32 v93, v87, 5, v88
	v_mov_b32_e32 v91, 0xff7fffff
	v_add_nc_u32_e32 v94, 0x160, v81
	v_mov_b32_e32 v95, v87
	s_mov_b32 s15, s13
	s_waitcnt lgkmcnt(0)
	s_add_u32 s1, s4, s26
	s_addc_u32 s2, s5, s27
	v_add_co_u32 v89, s1, s1, v49
	ds_read_b128 v[49:52], v77 offset:192
	ds_read_b128 v[53:56], v77 offset:208
	;; [unrolled: 1-line block ×8, first 2 shown]
	s_lshl_b64 s[26:27], s[20:21], 2
	s_sub_i32 s4, 1, s11
	v_add_co_ci_u32_e64 v90, null, s2, 0, s1
	s_add_u32 s1, s18, s26
	s_addc_u32 s2, s19, s27
	v_add_co_u32 v81, s1, s1, v82
	v_add_co_ci_u32_e64 v82, null, s2, 0, s1
	s_mov_b32 s5, 0
.LBB47_6:                               ; =>This Inner Loop Header: Depth=1
	global_load_dword v83, v[81:82], off
	v_add_nc_u32_e32 v95, 4, v95
	v_add_co_u32 v81, s2, v81, 16
	v_add_co_ci_u32_e64 v82, null, 0, v82, s2
	v_cmp_le_i32_e64 s2, s12, v95
	s_or_b32 s5, s2, s5
	s_waitcnt vmcnt(0)
	v_mad_i64_i32 v[83:84], null, v83, s15, 0
	v_lshlrev_b64 v[83:84], 2, v[83:84]
	v_add_co_u32 v83, s1, v89, v83
	v_add_co_ci_u32_e64 v84, null, v90, v84, s1
	v_add_co_u32 v104, s1, v83, 0x1000
	global_load_dwordx4 v[98:101], v[83:84], off offset:512
	v_add_co_ci_u32_e64 v105, null, 0, v84, s1
	v_add_co_u32 v106, s1, 0x800, v83
	v_add_co_ci_u32_e64 v107, null, 0, v84, s1
	s_waitcnt vmcnt(0)
	v_mul_f32_e32 v97, v7, v100
	v_mul_f32_e32 v96, v8, v101
	global_load_dwordx4 v[100:103], v[83:84], off
	v_mul_f32_e32 v98, v5, v98
	v_mul_f32_e32 v99, v6, v99
	s_waitcnt vmcnt(0)
	v_fmac_f32_e32 v98, v1, v100
	v_fmac_f32_e32 v99, v2, v101
	;; [unrolled: 1-line block ×4, first 2 shown]
	global_load_dwordx4 v[100:103], v[83:84], off offset:1024
	s_waitcnt vmcnt(0)
	v_fmac_f32_e32 v98, v9, v100
	v_fmac_f32_e32 v99, v10, v101
	v_fmac_f32_e32 v97, v11, v102
	v_fmac_f32_e32 v96, v12, v103
	global_load_dwordx4 v[100:103], v[83:84], off offset:1536
	s_waitcnt vmcnt(0)
	v_fmac_f32_e32 v98, v13, v100
	v_fmac_f32_e32 v99, v14, v101
	;; [unrolled: 1-line block ×4, first 2 shown]
	global_load_dwordx4 v[100:103], v[104:105], off offset:-2048
	s_waitcnt vmcnt(0)
	v_fmac_f32_e32 v98, v17, v100
	v_fmac_f32_e32 v99, v18, v101
	v_fmac_f32_e32 v97, v19, v102
	v_fmac_f32_e32 v96, v20, v103
	global_load_dwordx4 v[100:103], v[106:107], off offset:512
	s_waitcnt vmcnt(0)
	v_fmac_f32_e32 v98, v21, v100
	v_fmac_f32_e32 v99, v22, v101
	v_fmac_f32_e32 v97, v23, v102
	v_fmac_f32_e32 v96, v24, v103
	global_load_dwordx4 v[100:103], v[106:107], off offset:1024
	;; [unrolled: 6-line block ×3, first 2 shown]
	v_add_co_u32 v106, s1, 0x1000, v83
	v_add_co_ci_u32_e64 v107, null, 0, v84, s1
	s_waitcnt vmcnt(0)
	v_fmac_f32_e32 v98, v29, v100
	v_fmac_f32_e32 v99, v30, v101
	;; [unrolled: 1-line block ×4, first 2 shown]
	global_load_dwordx4 v[100:103], v[104:105], off
	v_add_co_u32 v104, s1, v83, 0x2000
	v_add_co_ci_u32_e64 v105, null, 0, v84, s1
	s_waitcnt vmcnt(0)
	v_fmac_f32_e32 v98, v33, v100
	v_fmac_f32_e32 v99, v34, v101
	v_fmac_f32_e32 v97, v35, v102
	v_fmac_f32_e32 v96, v36, v103
	global_load_dwordx4 v[100:103], v[106:107], off offset:512
	s_waitcnt vmcnt(0)
	v_fmac_f32_e32 v98, v37, v100
	v_fmac_f32_e32 v99, v38, v101
	v_fmac_f32_e32 v97, v39, v102
	v_fmac_f32_e32 v96, v40, v103
	global_load_dwordx4 v[100:103], v[106:107], off offset:1024
	;; [unrolled: 6-line block ×3, first 2 shown]
	v_add_co_u32 v106, s1, 0x1800, v83
	v_add_co_ci_u32_e64 v107, null, 0, v84, s1
	v_add_co_u32 v83, s1, 0x2000, v83
	v_add_co_ci_u32_e64 v84, null, 0, v84, s1
	v_cmp_gt_i32_e64 s1, s11, v93
	s_waitcnt vmcnt(0)
	v_fmac_f32_e32 v98, v45, v100
	v_fmac_f32_e32 v99, v46, v101
	;; [unrolled: 1-line block ×4, first 2 shown]
	global_load_dwordx4 v[100:103], v[104:105], off offset:-2048
	s_waitcnt vmcnt(0) lgkmcnt(7)
	v_fmac_f32_e32 v98, v49, v100
	v_fmac_f32_e32 v99, v50, v101
	v_fmac_f32_e32 v97, v51, v102
	v_fmac_f32_e32 v96, v52, v103
	global_load_dwordx4 v[100:103], v[106:107], off offset:512
	s_waitcnt vmcnt(0) lgkmcnt(6)
	v_fmac_f32_e32 v98, v53, v100
	v_fmac_f32_e32 v99, v54, v101
	v_fmac_f32_e32 v97, v55, v102
	v_fmac_f32_e32 v96, v56, v103
	global_load_dwordx4 v[100:103], v[106:107], off offset:1024
	s_waitcnt vmcnt(0) lgkmcnt(5)
	v_fmac_f32_e32 v98, v57, v100
	v_fmac_f32_e32 v99, v58, v101
	v_fmac_f32_e32 v97, v59, v102
	v_fmac_f32_e32 v96, v60, v103
	global_load_dwordx4 v[100:103], v[106:107], off offset:1536
	s_waitcnt vmcnt(0) lgkmcnt(4)
	v_fmac_f32_e32 v98, v61, v100
	v_fmac_f32_e32 v99, v62, v101
	v_fmac_f32_e32 v97, v63, v102
	v_fmac_f32_e32 v96, v64, v103
	global_load_dwordx4 v[100:103], v[104:105], off
	s_waitcnt vmcnt(0) lgkmcnt(3)
	v_fmac_f32_e32 v98, v65, v100
	v_fmac_f32_e32 v99, v66, v101
	;; [unrolled: 1-line block ×4, first 2 shown]
	global_load_dwordx4 v[100:103], v[83:84], off offset:512
	s_waitcnt vmcnt(0) lgkmcnt(2)
	v_fmac_f32_e32 v98, v69, v100
	v_fmac_f32_e32 v99, v70, v101
	;; [unrolled: 1-line block ×4, first 2 shown]
	s_clause 0x1
	global_load_dwordx4 v[100:103], v[83:84], off offset:1024
	global_load_dwordx4 v[104:107], v[83:84], off offset:1536
	v_add_nc_u32_e32 v83, s4, v93
	v_add_nc_u32_e32 v93, 0x80, v93
	v_cvt_f32_i32_e32 v83, v83
	v_mul_f32_e32 v83, s24, v83
	v_cndmask_b32_e32 v83, 0, v83, vcc_lo
	s_waitcnt vmcnt(1) lgkmcnt(1)
	v_fmac_f32_e32 v98, v73, v100
	v_fmac_f32_e32 v99, v74, v101
	;; [unrolled: 1-line block ×4, first 2 shown]
	s_waitcnt vmcnt(0) lgkmcnt(0)
	v_fmac_f32_e32 v98, v77, v104
	v_fmac_f32_e32 v99, v78, v105
	;; [unrolled: 1-line block ×4, first 2 shown]
	v_add_f32_e32 v84, v98, v99
	v_add_f32_e32 v84, v97, v84
	v_max_f32_e32 v97, v91, v91
	v_add_f32_e32 v84, v96, v84
	v_fmac_f32_e32 v83, s3, v84
	v_max_f32_e32 v84, v97, v83
	v_cndmask_b32_e64 v83, 0, v83, s1
	v_cndmask_b32_e64 v91, v91, v84, s1
	ds_write_b32 v94, v83
	v_add_nc_u32_e32 v94, 0x200, v94
	s_andn2_b32 exec_lo, exec_lo, s5
	s_cbranch_execnz .LBB47_6
; %bb.7:
	s_or_b32 exec_lo, exec_lo, s5
.LBB47_8:
	s_or_b32 exec_lo, exec_lo, s25
	v_mbcnt_lo_u32_b32 v2, -1, 0
	v_max_f32_e32 v5, v91, v91
	v_xor_b32_e32 v1, 16, v2
	v_xor_b32_e32 v4, 8, v2
	v_cmp_gt_i32_e32 vcc_lo, 32, v1
	v_cndmask_b32_e32 v1, v2, v1, vcc_lo
	v_cmp_gt_i32_e32 vcc_lo, 32, v4
	v_lshlrev_b32_e32 v1, 2, v1
	v_cndmask_b32_e32 v4, v2, v4, vcc_lo
	ds_bpermute_b32 v3, v1, v91
	s_waitcnt lgkmcnt(0)
	v_max_f32_e32 v6, v3, v3
	v_lshlrev_b32_e32 v3, 2, v4
	v_max_f32_e32 v4, v5, v6
	v_xor_b32_e32 v6, 4, v2
	ds_bpermute_b32 v5, v3, v4
	v_cmp_gt_i32_e32 vcc_lo, 32, v6
	v_cndmask_b32_e32 v6, v2, v6, vcc_lo
	v_lshlrev_b32_e32 v91, 2, v6
	v_xor_b32_e32 v6, 2, v2
	v_cmp_gt_i32_e32 vcc_lo, 32, v6
	s_waitcnt lgkmcnt(0)
	v_max_f32_e32 v5, v5, v5
	v_cndmask_b32_e32 v6, v2, v6, vcc_lo
	v_max_f32_e32 v4, v4, v5
	v_lshlrev_b32_e32 v90, 2, v6
	v_xor_b32_e32 v6, 1, v2
	ds_bpermute_b32 v5, v91, v4
	v_cmp_gt_i32_e32 vcc_lo, 32, v6
	v_cndmask_b32_e32 v6, v2, v6, vcc_lo
	v_cmp_eq_u32_e32 vcc_lo, 0, v88
	v_lshlrev_b32_e32 v89, 2, v6
	s_waitcnt lgkmcnt(0)
	v_max_f32_e32 v5, v5, v5
	v_max_f32_e32 v4, v4, v5
	ds_bpermute_b32 v5, v90, v4
	s_waitcnt lgkmcnt(0)
	v_max_f32_e32 v5, v5, v5
	v_max_f32_e32 v2, v4, v5
	v_lshlrev_b32_e32 v4, 2, v87
	ds_bpermute_b32 v5, v89, v2
	s_and_saveexec_b32 s1, vcc_lo
	s_cbranch_execz .LBB47_10
; %bb.9:
	s_waitcnt lgkmcnt(0)
	v_max_f32_e32 v5, v5, v5
	v_max_f32_e32 v2, v2, v2
	;; [unrolled: 1-line block ×3, first 2 shown]
	ds_write_b32 v4, v2 offset:320
.LBB47_10:
	s_or_b32 exec_lo, exec_lo, s1
	v_cmp_gt_u32_e64 s1, 4, v88
	v_mov_b32_e32 v2, 0xff7fffff
	s_waitcnt lgkmcnt(0)
	s_barrier
	buffer_gl0_inv
	s_and_saveexec_b32 s2, s1
; %bb.11:
	ds_read_b32 v2, v92 offset:320
; %bb.12:
	s_or_b32 exec_lo, exec_lo, s2
	s_waitcnt lgkmcnt(0)
	ds_bpermute_b32 v5, v90, v2
	v_max_f32_e32 v2, v2, v2
	s_lshl_b32 s2, s12, 5
	s_min_i32 s4, s2, s11
	v_cmp_gt_i32_e64 s2, s4, v0
	s_waitcnt lgkmcnt(0)
	v_max_f32_e32 v5, v5, v5
	v_max_f32_e32 v2, v2, v5
	ds_bpermute_b32 v5, v89, v2
	s_waitcnt lgkmcnt(0)
	v_max_f32_e32 v5, v5, v5
	v_max_f32_e32 v2, v2, v5
	v_mov_b32_e32 v5, 0
	ds_bpermute_b32 v6, v5, v2
	v_lshl_add_u32 v2, v0, 2, 0x160
	s_and_saveexec_b32 s5, s2
	s_cbranch_execz .LBB47_16
; %bb.13:
	v_lshl_add_u32 v7, v0, 2, 0x160
	v_mov_b32_e32 v5, 0
	v_mov_b32_e32 v8, v0
	s_mov_b32 s15, 0
	.p2align	6
.LBB47_14:                              ; =>This Inner Loop Header: Depth=1
	ds_read_b32 v9, v7
	v_add_nc_u32_e32 v8, 0x80, v8
	v_cmp_le_i32_e64 s3, s4, v8
	s_or_b32 s15, s3, s15
	s_waitcnt lgkmcnt(0)
	v_sub_f32_e32 v9, v9, v6
	v_mul_f32_e32 v9, 0x3fb8aa3b, v9
	v_exp_f32_e32 v9, v9
	ds_write_b32 v7, v9
	v_add_f32_e32 v5, v5, v9
	v_add_nc_u32_e32 v7, 0x200, v7
	s_andn2_b32 exec_lo, exec_lo, s15
	s_cbranch_execnz .LBB47_14
; %bb.15:
	s_or_b32 exec_lo, exec_lo, s15
.LBB47_16:
	s_or_b32 exec_lo, exec_lo, s5
	ds_bpermute_b32 v1, v1, v5
	s_waitcnt lgkmcnt(0)
	v_add_f32_e32 v1, v5, v1
	ds_bpermute_b32 v3, v3, v1
	s_waitcnt lgkmcnt(0)
	v_add_f32_e32 v1, v1, v3
	;; [unrolled: 3-line block ×5, first 2 shown]
	s_and_saveexec_b32 s3, vcc_lo
; %bb.17:
	ds_write_b32 v4, v1 offset:336
; %bb.18:
	s_or_b32 exec_lo, exec_lo, s3
	s_waitcnt lgkmcnt(0)
	s_barrier
	buffer_gl0_inv
	s_and_saveexec_b32 s3, s1
; %bb.19:
	ds_read_b32 v1, v92 offset:336
; %bb.20:
	s_or_b32 exec_lo, exec_lo, s3
	s_waitcnt lgkmcnt(0)
	ds_bpermute_b32 v3, v90, v1
	s_waitcnt lgkmcnt(0)
	v_add_f32_e32 v1, v1, v3
	ds_bpermute_b32 v3, v89, v1
	s_waitcnt lgkmcnt(0)
	v_add_f32_e32 v1, v1, v3
	v_mov_b32_e32 v3, 0
	ds_bpermute_b32 v1, v3, v1
	s_and_saveexec_b32 s1, s2
	s_cbranch_execz .LBB47_23
; %bb.21:
	s_waitcnt lgkmcnt(0)
	v_add_f32_e32 v1, 0x358637bd, v1
	s_mov_b32 s2, 0
	v_div_scale_f32 v3, null, v1, v1, 1.0
	v_div_scale_f32 v6, vcc_lo, 1.0, v1, 1.0
	v_rcp_f32_e32 v4, v3
	v_fma_f32 v5, -v3, v4, 1.0
	v_fmac_f32_e32 v4, v5, v4
	v_mul_f32_e32 v5, v6, v4
	v_fma_f32 v7, -v3, v5, v6
	v_fmac_f32_e32 v5, v7, v4
	v_fma_f32 v3, -v3, v5, v6
	v_div_fmas_f32 v3, v3, v4, v5
	v_div_fixup_f32 v1, v3, v1, 1.0
	v_mov_b32_e32 v3, v0
.LBB47_22:                              ; =>This Inner Loop Header: Depth=1
	ds_read_b32 v4, v2
	v_add_nc_u32_e32 v3, 0x80, v3
	v_cmp_le_i32_e32 vcc_lo, s4, v3
	s_or_b32 s2, vcc_lo, s2
	s_waitcnt lgkmcnt(0)
	v_mul_f32_e32 v4, v1, v4
	ds_write_b32 v2, v4
	v_add_nc_u32_e32 v2, 0x200, v2
	s_andn2_b32 exec_lo, exec_lo, s2
	s_cbranch_execnz .LBB47_22
.LBB47_23:
	s_or_b32 exec_lo, exec_lo, s1
	v_mov_b32_e32 v110, 0
	v_and_b32_e32 v92, 7, v0
	v_mov_b32_e32 v112, 0
	v_mov_b32_e32 v111, 0
	;; [unrolled: 1-line block ×19, first 2 shown]
	s_waitcnt lgkmcnt(0)
	s_barrier
	buffer_gl0_inv
	s_and_saveexec_b32 s4, s0
	s_cbranch_execz .LBB47_67
; %bb.24:
	v_lshlrev_b32_e32 v1, 2, v0
	s_ashr_i32 s15, s14, 31
	v_and_b32_e32 v3, 0x1f0, v85
	s_lshl_b64 s[0:1], s[14:15], 2
	v_lshlrev_b32_e32 v4, 5, v87
	v_and_b32_e32 v1, 28, v1
	s_add_u32 s0, s22, s0
	v_lshlrev_b32_e32 v2, 4, v92
	s_addc_u32 s1, s23, s1
	v_add_co_u32 v113, s0, s0, v3
	v_or3_b32 v115, v4, v1, 3
	v_and_b32_e32 v1, 0x7c, v86
	v_add_co_ci_u32_e64 v114, null, s1, 0, s0
	s_lshl_b64 s[0:1], s[20:21], 2
	s_add_i32 s5, s12, -1
	v_lshl_or_b32 v2, v87, 7, v2
	s_add_u32 s0, s18, s0
	s_addc_u32 s1, s19, s1
	v_add_co_u32 v85, s0, s0, v1
	v_mov_b32_e32 v93, 0
	v_add_nc_u32_e32 v116, 0x160, v2
	v_add_co_ci_u32_e64 v86, null, s1, 0, s0
	v_mov_b32_e32 v94, 0
	v_mov_b32_e32 v95, 0
	v_mov_b32_e32 v96, 0
	v_mov_b32_e32 v97, 0
	v_mov_b32_e32 v98, 0
	v_mov_b32_e32 v99, 0
	v_mov_b32_e32 v100, 0
	v_mov_b32_e32 v101, 0
	v_mov_b32_e32 v102, 0
	v_mov_b32_e32 v103, 0
	v_mov_b32_e32 v104, 0
	v_mov_b32_e32 v105, 0
	v_mov_b32_e32 v106, 0
	v_mov_b32_e32 v107, 0
	v_mov_b32_e32 v108, 0
	v_mov_b32_e32 v109, 0
	v_mov_b32_e32 v111, 0
	v_mov_b32_e32 v112, 0
	v_mov_b32_e32 v110, 0
	v_mov_b32_e32 v117, v87
	s_mov_b32 s14, s13
	s_mov_b32 s13, 0
	s_branch .LBB47_26
.LBB47_25:                              ;   in Loop: Header=BB47_26 Depth=1
	s_or_b32 exec_lo, exec_lo, s0
	s_waitcnt vmcnt(1) lgkmcnt(0)
	v_mul_f32_e32 v81, v1, v81
	v_mul_f32_e32 v77, v1, v77
	;; [unrolled: 1-line block ×19, first 2 shown]
	s_waitcnt vmcnt(0)
	v_mul_f32_e32 v1, v1, v65
	v_fmac_f32_e32 v81, v2, v82
	v_fmac_f32_e32 v77, v2, v78
	;; [unrolled: 1-line block ×40, first 2 shown]
	v_add_nc_u32_e32 v117, 4, v117
	v_fmac_f32_e32 v81, v4, v84
	v_fmac_f32_e32 v77, v4, v80
	v_fmac_f32_e32 v73, v4, v76
	v_fmac_f32_e32 v69, v4, v72
	v_fmac_f32_e32 v61, v4, v64
	v_fmac_f32_e32 v57, v4, v60
	v_fmac_f32_e32 v53, v4, v56
	v_fmac_f32_e32 v49, v4, v52
	v_fmac_f32_e32 v45, v4, v48
	v_fmac_f32_e32 v41, v4, v44
	v_fmac_f32_e32 v37, v4, v40
	v_fmac_f32_e32 v33, v4, v36
	v_fmac_f32_e32 v29, v4, v32
	v_fmac_f32_e32 v25, v4, v28
	v_fmac_f32_e32 v21, v4, v24
	v_fmac_f32_e32 v17, v4, v20
	v_fmac_f32_e32 v13, v4, v16
	v_fmac_f32_e32 v9, v4, v12
	v_fmac_f32_e32 v5, v4, v8
	v_fmac_f32_e32 v1, v4, v68
	v_cmp_le_i32_e32 vcc_lo, s12, v117
	v_add_co_u32 v85, s0, v85, 16
	v_add_f32_e32 v94, v94, v81
	v_add_f32_e32 v95, v95, v77
	;; [unrolled: 1-line block ×20, first 2 shown]
	v_add_nc_u32_e32 v115, 0x80, v115
	v_add_nc_u32_e32 v116, 0x200, v116
	v_add_co_ci_u32_e64 v86, null, 0, v86, s0
	s_or_b32 s13, vcc_lo, s13
	s_andn2_b32 exec_lo, exec_lo, s13
	s_cbranch_execz .LBB47_66
.LBB47_26:                              ; =>This Inner Loop Header: Depth=1
	global_load_dword v1, v[85:86], off
	v_add_nc_u32_e32 v118, -3, v115
	v_add_nc_u32_e32 v120, -2, v115
	;; [unrolled: 1-line block ×3, first 2 shown]
	s_waitcnt vmcnt(0)
	v_mad_i64_i32 v[1:2], null, v1, s14, 0
	v_lshlrev_b64 v[1:2], 2, v[1:2]
	v_add_co_u32 v65, vcc_lo, v113, v1
	v_add_co_ci_u32_e64 v66, null, v114, v2, vcc_lo
	ds_read_b128 v[1:4], v116
	v_cmp_eq_u32_e32 vcc_lo, s5, v117
	global_load_dwordx4 v[5:8], v[65:66], off
	s_and_saveexec_b32 s1, vcc_lo
	s_cbranch_execnz .LBB47_50
; %bb.27:                               ;   in Loop: Header=BB47_26 Depth=1
	s_or_b32 exec_lo, exec_lo, s1
	global_load_dwordx4 v[9:12], v[65:66], off offset:512
	s_and_saveexec_b32 s1, vcc_lo
	s_cbranch_execnz .LBB47_51
.LBB47_28:                              ;   in Loop: Header=BB47_26 Depth=1
	s_or_b32 exec_lo, exec_lo, s1
	global_load_dwordx4 v[13:16], v[65:66], off offset:1024
	s_and_saveexec_b32 s1, vcc_lo
	s_cbranch_execnz .LBB47_52
.LBB47_29:                              ;   in Loop: Header=BB47_26 Depth=1
	s_or_b32 exec_lo, exec_lo, s1
	global_load_dwordx4 v[17:20], v[65:66], off offset:1536
	s_and_saveexec_b32 s1, vcc_lo
	s_cbranch_execz .LBB47_31
.LBB47_30:                              ;   in Loop: Header=BB47_26 Depth=1
	v_cmp_gt_i32_e64 s0, s11, v118
	s_waitcnt vmcnt(0)
	v_cndmask_b32_e64 v17, 0, v17, s0
	v_cmp_gt_i32_e64 s0, s11, v120
	v_cndmask_b32_e64 v18, 0, v18, s0
	v_cmp_gt_i32_e64 s0, s11, v119
	;; [unrolled: 2-line block ×3, first 2 shown]
	v_cndmask_b32_e64 v20, 0, v20, s0
.LBB47_31:                              ;   in Loop: Header=BB47_26 Depth=1
	s_or_b32 exec_lo, exec_lo, s1
	v_add_co_u32 v33, s0, 0x800, v65
	v_add_co_ci_u32_e64 v34, null, 0, v66, s0
	global_load_dwordx4 v[21:24], v[33:34], off
	s_and_saveexec_b32 s1, vcc_lo
	s_cbranch_execnz .LBB47_53
; %bb.32:                               ;   in Loop: Header=BB47_26 Depth=1
	s_or_b32 exec_lo, exec_lo, s1
	global_load_dwordx4 v[25:28], v[33:34], off offset:512
	s_and_saveexec_b32 s1, vcc_lo
	s_cbranch_execnz .LBB47_54
.LBB47_33:                              ;   in Loop: Header=BB47_26 Depth=1
	s_or_b32 exec_lo, exec_lo, s1
	global_load_dwordx4 v[29:32], v[33:34], off offset:1024
	s_and_saveexec_b32 s1, vcc_lo
	s_cbranch_execnz .LBB47_55
.LBB47_34:                              ;   in Loop: Header=BB47_26 Depth=1
	s_or_b32 exec_lo, exec_lo, s1
	global_load_dwordx4 v[33:36], v[33:34], off offset:1536
	s_and_saveexec_b32 s1, vcc_lo
	s_cbranch_execz .LBB47_36
.LBB47_35:                              ;   in Loop: Header=BB47_26 Depth=1
	v_cmp_gt_i32_e64 s0, s11, v118
	s_waitcnt vmcnt(0)
	v_cndmask_b32_e64 v33, 0, v33, s0
	v_cmp_gt_i32_e64 s0, s11, v120
	v_cndmask_b32_e64 v34, 0, v34, s0
	v_cmp_gt_i32_e64 s0, s11, v119
	;; [unrolled: 2-line block ×3, first 2 shown]
	v_cndmask_b32_e64 v36, 0, v36, s0
.LBB47_36:                              ;   in Loop: Header=BB47_26 Depth=1
	s_or_b32 exec_lo, exec_lo, s1
	v_add_co_u32 v49, s0, 0x1000, v65
	v_add_co_ci_u32_e64 v50, null, 0, v66, s0
	global_load_dwordx4 v[37:40], v[49:50], off
	s_and_saveexec_b32 s1, vcc_lo
	s_cbranch_execnz .LBB47_56
; %bb.37:                               ;   in Loop: Header=BB47_26 Depth=1
	s_or_b32 exec_lo, exec_lo, s1
	global_load_dwordx4 v[41:44], v[49:50], off offset:512
	s_and_saveexec_b32 s1, vcc_lo
	s_cbranch_execnz .LBB47_57
.LBB47_38:                              ;   in Loop: Header=BB47_26 Depth=1
	s_or_b32 exec_lo, exec_lo, s1
	global_load_dwordx4 v[45:48], v[49:50], off offset:1024
	s_and_saveexec_b32 s1, vcc_lo
	s_cbranch_execnz .LBB47_58
.LBB47_39:                              ;   in Loop: Header=BB47_26 Depth=1
	s_or_b32 exec_lo, exec_lo, s1
	global_load_dwordx4 v[49:52], v[49:50], off offset:1536
	s_and_saveexec_b32 s1, vcc_lo
	s_cbranch_execz .LBB47_41
.LBB47_40:                              ;   in Loop: Header=BB47_26 Depth=1
	v_cmp_gt_i32_e64 s0, s11, v118
	s_waitcnt vmcnt(0)
	v_cndmask_b32_e64 v49, 0, v49, s0
	v_cmp_gt_i32_e64 s0, s11, v120
	v_cndmask_b32_e64 v50, 0, v50, s0
	v_cmp_gt_i32_e64 s0, s11, v119
	v_cndmask_b32_e64 v51, 0, v51, s0
	v_cmp_gt_i32_e64 s0, s11, v115
	v_cndmask_b32_e64 v52, 0, v52, s0
.LBB47_41:                              ;   in Loop: Header=BB47_26 Depth=1
	s_or_b32 exec_lo, exec_lo, s1
	v_add_co_u32 v67, s0, 0x1800, v65
	v_add_co_ci_u32_e64 v68, null, 0, v66, s0
	global_load_dwordx4 v[53:56], v[67:68], off
	s_and_saveexec_b32 s1, vcc_lo
	s_cbranch_execnz .LBB47_59
; %bb.42:                               ;   in Loop: Header=BB47_26 Depth=1
	s_or_b32 exec_lo, exec_lo, s1
	global_load_dwordx4 v[57:60], v[67:68], off offset:512
	s_and_saveexec_b32 s1, vcc_lo
	s_cbranch_execnz .LBB47_60
.LBB47_43:                              ;   in Loop: Header=BB47_26 Depth=1
	s_or_b32 exec_lo, exec_lo, s1
	global_load_dwordx4 v[61:64], v[67:68], off offset:1024
	s_and_saveexec_b32 s1, vcc_lo
	s_cbranch_execnz .LBB47_61
.LBB47_44:                              ;   in Loop: Header=BB47_26 Depth=1
	s_or_b32 exec_lo, exec_lo, s1
	global_load_dwordx4 v[69:72], v[67:68], off offset:1536
	s_and_saveexec_b32 s1, vcc_lo
	s_cbranch_execz .LBB47_46
.LBB47_45:                              ;   in Loop: Header=BB47_26 Depth=1
	v_cmp_gt_i32_e64 s0, s11, v118
	s_waitcnt vmcnt(0)
	v_cndmask_b32_e64 v69, 0, v69, s0
	v_cmp_gt_i32_e64 s0, s11, v120
	v_cndmask_b32_e64 v70, 0, v70, s0
	v_cmp_gt_i32_e64 s0, s11, v119
	;; [unrolled: 2-line block ×3, first 2 shown]
	v_cndmask_b32_e64 v72, 0, v72, s0
.LBB47_46:                              ;   in Loop: Header=BB47_26 Depth=1
	s_or_b32 exec_lo, exec_lo, s1
	v_add_co_u32 v65, s0, 0x2000, v65
	v_add_co_ci_u32_e64 v66, null, 0, v66, s0
	global_load_dwordx4 v[73:76], v[65:66], off
	s_and_saveexec_b32 s1, vcc_lo
	s_cbranch_execnz .LBB47_62
; %bb.47:                               ;   in Loop: Header=BB47_26 Depth=1
	s_or_b32 exec_lo, exec_lo, s1
	global_load_dwordx4 v[77:80], v[65:66], off offset:512
	s_and_saveexec_b32 s15, vcc_lo
	s_cbranch_execnz .LBB47_63
.LBB47_48:                              ;   in Loop: Header=BB47_26 Depth=1
	s_or_b32 exec_lo, exec_lo, s15
	global_load_dwordx4 v[81:84], v[65:66], off offset:1024
	s_and_saveexec_b32 s1, vcc_lo
	s_cbranch_execnz .LBB47_64
.LBB47_49:                              ;   in Loop: Header=BB47_26 Depth=1
	s_or_b32 exec_lo, exec_lo, s1
	global_load_dwordx4 v[65:68], v[65:66], off offset:1536
	s_and_saveexec_b32 s0, vcc_lo
	s_cbranch_execz .LBB47_25
	s_branch .LBB47_65
.LBB47_50:                              ;   in Loop: Header=BB47_26 Depth=1
	v_cmp_gt_i32_e64 s0, s11, v118
	s_waitcnt vmcnt(0)
	v_cndmask_b32_e64 v5, 0, v5, s0
	v_cmp_gt_i32_e64 s0, s11, v120
	v_cndmask_b32_e64 v6, 0, v6, s0
	v_cmp_gt_i32_e64 s0, s11, v119
	;; [unrolled: 2-line block ×3, first 2 shown]
	v_cndmask_b32_e64 v8, 0, v8, s0
	s_or_b32 exec_lo, exec_lo, s1
	global_load_dwordx4 v[9:12], v[65:66], off offset:512
	s_and_saveexec_b32 s1, vcc_lo
	s_cbranch_execz .LBB47_28
.LBB47_51:                              ;   in Loop: Header=BB47_26 Depth=1
	v_cmp_gt_i32_e64 s0, s11, v118
	s_waitcnt vmcnt(0)
	v_cndmask_b32_e64 v9, 0, v9, s0
	v_cmp_gt_i32_e64 s0, s11, v120
	v_cndmask_b32_e64 v10, 0, v10, s0
	v_cmp_gt_i32_e64 s0, s11, v119
	;; [unrolled: 2-line block ×3, first 2 shown]
	v_cndmask_b32_e64 v12, 0, v12, s0
	s_or_b32 exec_lo, exec_lo, s1
	global_load_dwordx4 v[13:16], v[65:66], off offset:1024
	s_and_saveexec_b32 s1, vcc_lo
	s_cbranch_execz .LBB47_29
.LBB47_52:                              ;   in Loop: Header=BB47_26 Depth=1
	v_cmp_gt_i32_e64 s0, s11, v118
	s_waitcnt vmcnt(0)
	v_cndmask_b32_e64 v13, 0, v13, s0
	v_cmp_gt_i32_e64 s0, s11, v120
	v_cndmask_b32_e64 v14, 0, v14, s0
	v_cmp_gt_i32_e64 s0, s11, v119
	;; [unrolled: 2-line block ×3, first 2 shown]
	v_cndmask_b32_e64 v16, 0, v16, s0
	s_or_b32 exec_lo, exec_lo, s1
	global_load_dwordx4 v[17:20], v[65:66], off offset:1536
	s_and_saveexec_b32 s1, vcc_lo
	s_cbranch_execnz .LBB47_30
	s_branch .LBB47_31
.LBB47_53:                              ;   in Loop: Header=BB47_26 Depth=1
	v_cmp_gt_i32_e64 s0, s11, v118
	s_waitcnt vmcnt(0)
	v_cndmask_b32_e64 v21, 0, v21, s0
	v_cmp_gt_i32_e64 s0, s11, v120
	v_cndmask_b32_e64 v22, 0, v22, s0
	v_cmp_gt_i32_e64 s0, s11, v119
	;; [unrolled: 2-line block ×3, first 2 shown]
	v_cndmask_b32_e64 v24, 0, v24, s0
	s_or_b32 exec_lo, exec_lo, s1
	global_load_dwordx4 v[25:28], v[33:34], off offset:512
	s_and_saveexec_b32 s1, vcc_lo
	s_cbranch_execz .LBB47_33
.LBB47_54:                              ;   in Loop: Header=BB47_26 Depth=1
	v_cmp_gt_i32_e64 s0, s11, v118
	s_waitcnt vmcnt(0)
	v_cndmask_b32_e64 v25, 0, v25, s0
	v_cmp_gt_i32_e64 s0, s11, v120
	v_cndmask_b32_e64 v26, 0, v26, s0
	v_cmp_gt_i32_e64 s0, s11, v119
	;; [unrolled: 2-line block ×3, first 2 shown]
	v_cndmask_b32_e64 v28, 0, v28, s0
	s_or_b32 exec_lo, exec_lo, s1
	global_load_dwordx4 v[29:32], v[33:34], off offset:1024
	s_and_saveexec_b32 s1, vcc_lo
	s_cbranch_execz .LBB47_34
.LBB47_55:                              ;   in Loop: Header=BB47_26 Depth=1
	v_cmp_gt_i32_e64 s0, s11, v118
	s_waitcnt vmcnt(0)
	v_cndmask_b32_e64 v29, 0, v29, s0
	v_cmp_gt_i32_e64 s0, s11, v120
	v_cndmask_b32_e64 v30, 0, v30, s0
	v_cmp_gt_i32_e64 s0, s11, v119
	;; [unrolled: 2-line block ×3, first 2 shown]
	v_cndmask_b32_e64 v32, 0, v32, s0
	s_or_b32 exec_lo, exec_lo, s1
	global_load_dwordx4 v[33:36], v[33:34], off offset:1536
	s_and_saveexec_b32 s1, vcc_lo
	s_cbranch_execnz .LBB47_35
	s_branch .LBB47_36
.LBB47_56:                              ;   in Loop: Header=BB47_26 Depth=1
	v_cmp_gt_i32_e64 s0, s11, v118
	s_waitcnt vmcnt(0)
	v_cndmask_b32_e64 v37, 0, v37, s0
	v_cmp_gt_i32_e64 s0, s11, v120
	v_cndmask_b32_e64 v38, 0, v38, s0
	v_cmp_gt_i32_e64 s0, s11, v119
	;; [unrolled: 2-line block ×3, first 2 shown]
	v_cndmask_b32_e64 v40, 0, v40, s0
	s_or_b32 exec_lo, exec_lo, s1
	global_load_dwordx4 v[41:44], v[49:50], off offset:512
	s_and_saveexec_b32 s1, vcc_lo
	s_cbranch_execz .LBB47_38
.LBB47_57:                              ;   in Loop: Header=BB47_26 Depth=1
	v_cmp_gt_i32_e64 s0, s11, v118
	s_waitcnt vmcnt(0)
	v_cndmask_b32_e64 v41, 0, v41, s0
	v_cmp_gt_i32_e64 s0, s11, v120
	v_cndmask_b32_e64 v42, 0, v42, s0
	v_cmp_gt_i32_e64 s0, s11, v119
	;; [unrolled: 2-line block ×3, first 2 shown]
	v_cndmask_b32_e64 v44, 0, v44, s0
	s_or_b32 exec_lo, exec_lo, s1
	global_load_dwordx4 v[45:48], v[49:50], off offset:1024
	s_and_saveexec_b32 s1, vcc_lo
	s_cbranch_execz .LBB47_39
.LBB47_58:                              ;   in Loop: Header=BB47_26 Depth=1
	v_cmp_gt_i32_e64 s0, s11, v118
	s_waitcnt vmcnt(0)
	v_cndmask_b32_e64 v45, 0, v45, s0
	v_cmp_gt_i32_e64 s0, s11, v120
	v_cndmask_b32_e64 v46, 0, v46, s0
	v_cmp_gt_i32_e64 s0, s11, v119
	;; [unrolled: 2-line block ×3, first 2 shown]
	v_cndmask_b32_e64 v48, 0, v48, s0
	s_or_b32 exec_lo, exec_lo, s1
	global_load_dwordx4 v[49:52], v[49:50], off offset:1536
	s_and_saveexec_b32 s1, vcc_lo
	s_cbranch_execnz .LBB47_40
	s_branch .LBB47_41
.LBB47_59:                              ;   in Loop: Header=BB47_26 Depth=1
	v_cmp_gt_i32_e64 s0, s11, v118
	s_waitcnt vmcnt(0)
	v_cndmask_b32_e64 v53, 0, v53, s0
	v_cmp_gt_i32_e64 s0, s11, v120
	v_cndmask_b32_e64 v54, 0, v54, s0
	v_cmp_gt_i32_e64 s0, s11, v119
	;; [unrolled: 2-line block ×3, first 2 shown]
	v_cndmask_b32_e64 v56, 0, v56, s0
	s_or_b32 exec_lo, exec_lo, s1
	global_load_dwordx4 v[57:60], v[67:68], off offset:512
	s_and_saveexec_b32 s1, vcc_lo
	s_cbranch_execz .LBB47_43
.LBB47_60:                              ;   in Loop: Header=BB47_26 Depth=1
	v_cmp_gt_i32_e64 s0, s11, v118
	s_waitcnt vmcnt(0)
	v_cndmask_b32_e64 v57, 0, v57, s0
	v_cmp_gt_i32_e64 s0, s11, v120
	v_cndmask_b32_e64 v58, 0, v58, s0
	v_cmp_gt_i32_e64 s0, s11, v119
	;; [unrolled: 2-line block ×3, first 2 shown]
	v_cndmask_b32_e64 v60, 0, v60, s0
	s_or_b32 exec_lo, exec_lo, s1
	global_load_dwordx4 v[61:64], v[67:68], off offset:1024
	s_and_saveexec_b32 s1, vcc_lo
	s_cbranch_execz .LBB47_44
.LBB47_61:                              ;   in Loop: Header=BB47_26 Depth=1
	v_cmp_gt_i32_e64 s0, s11, v118
	s_waitcnt vmcnt(0)
	v_cndmask_b32_e64 v61, 0, v61, s0
	v_cmp_gt_i32_e64 s0, s11, v120
	v_cndmask_b32_e64 v62, 0, v62, s0
	v_cmp_gt_i32_e64 s0, s11, v119
	;; [unrolled: 2-line block ×3, first 2 shown]
	v_cndmask_b32_e64 v64, 0, v64, s0
	s_or_b32 exec_lo, exec_lo, s1
	global_load_dwordx4 v[69:72], v[67:68], off offset:1536
	s_and_saveexec_b32 s1, vcc_lo
	s_cbranch_execnz .LBB47_45
	s_branch .LBB47_46
.LBB47_62:                              ;   in Loop: Header=BB47_26 Depth=1
	v_cmp_gt_i32_e64 s0, s11, v118
	s_waitcnt vmcnt(0)
	v_cndmask_b32_e64 v73, 0, v73, s0
	v_cmp_gt_i32_e64 s0, s11, v120
	v_cndmask_b32_e64 v74, 0, v74, s0
	v_cmp_gt_i32_e64 s0, s11, v119
	;; [unrolled: 2-line block ×3, first 2 shown]
	v_cndmask_b32_e64 v76, 0, v76, s0
	s_or_b32 exec_lo, exec_lo, s1
	global_load_dwordx4 v[77:80], v[65:66], off offset:512
	s_and_saveexec_b32 s15, vcc_lo
	s_cbranch_execz .LBB47_48
.LBB47_63:                              ;   in Loop: Header=BB47_26 Depth=1
	v_cmp_gt_i32_e64 s0, s11, v118
	v_cmp_gt_i32_e64 s1, s11, v120
	;; [unrolled: 1-line block ×4, first 2 shown]
	s_waitcnt vmcnt(0)
	v_cndmask_b32_e64 v77, 0, v77, s0
	v_cndmask_b32_e64 v78, 0, v78, s1
	;; [unrolled: 1-line block ×4, first 2 shown]
	s_or_b32 exec_lo, exec_lo, s15
	global_load_dwordx4 v[81:84], v[65:66], off offset:1024
	s_and_saveexec_b32 s1, vcc_lo
	s_cbranch_execz .LBB47_49
.LBB47_64:                              ;   in Loop: Header=BB47_26 Depth=1
	v_cmp_gt_i32_e64 s0, s11, v118
	s_waitcnt vmcnt(0)
	v_cndmask_b32_e64 v81, 0, v81, s0
	v_cmp_gt_i32_e64 s0, s11, v120
	v_cndmask_b32_e64 v82, 0, v82, s0
	v_cmp_gt_i32_e64 s0, s11, v119
	;; [unrolled: 2-line block ×3, first 2 shown]
	v_cndmask_b32_e64 v84, 0, v84, s0
	s_or_b32 exec_lo, exec_lo, s1
	global_load_dwordx4 v[65:68], v[65:66], off offset:1536
	s_and_saveexec_b32 s0, vcc_lo
	s_cbranch_execz .LBB47_25
.LBB47_65:                              ;   in Loop: Header=BB47_26 Depth=1
	v_cmp_gt_i32_e32 vcc_lo, s11, v118
	s_waitcnt vmcnt(0)
	v_cndmask_b32_e32 v65, 0, v65, vcc_lo
	v_cmp_gt_i32_e32 vcc_lo, s11, v120
	v_cndmask_b32_e32 v66, 0, v66, vcc_lo
	v_cmp_gt_i32_e32 vcc_lo, s11, v119
	;; [unrolled: 2-line block ×3, first 2 shown]
	v_cndmask_b32_e32 v68, 0, v68, vcc_lo
	s_branch .LBB47_25
.LBB47_66:
	s_or_b32 exec_lo, exec_lo, s13
.LBB47_67:
	s_or_b32 exec_lo, exec_lo, s4
	ds_bpermute_b32 v7, v91, v106
	ds_bpermute_b32 v8, v91, v105
	;; [unrolled: 1-line block ×19, first 2 shown]
	s_mov_b32 s0, exec_lo
	s_waitcnt lgkmcnt(18)
	v_add_f32_e32 v7, v106, v7
	s_waitcnt lgkmcnt(17)
	v_add_f32_e32 v8, v105, v8
	;; [unrolled: 2-line block ×5, first 2 shown]
	ds_bpermute_b32 v18, v90, v7
	ds_bpermute_b32 v27, v90, v8
	ds_bpermute_b32 v28, v90, v9
	ds_bpermute_b32 v29, v90, v10
	s_waitcnt lgkmcnt(17)
	v_add_f32_e32 v21, v99, v21
	s_waitcnt lgkmcnt(16)
	v_add_f32_e32 v1, v110, v1
	;; [unrolled: 2-line block ×6, first 2 shown]
	ds_bpermute_b32 v14, v90, v3
	s_waitcnt lgkmcnt(12)
	v_add_f32_e32 v11, v102, v11
	s_waitcnt lgkmcnt(11)
	v_add_f32_e32 v19, v101, v19
	s_waitcnt lgkmcnt(10)
	v_add_f32_e32 v20, v100, v20
	s_waitcnt lgkmcnt(9)
	v_add_f32_e32 v22, v98, v22
	s_waitcnt lgkmcnt(8)
	v_add_f32_e32 v23, v97, v23
	s_waitcnt lgkmcnt(7)
	v_add_f32_e32 v24, v96, v24
	ds_bpermute_b32 v33, v90, v21
	s_waitcnt lgkmcnt(7)
	v_add_f32_e32 v25, v95, v25
	s_waitcnt lgkmcnt(6)
	v_add_f32_e32 v26, v94, v26
	;; [unrolled: 2-line block ×3, first 2 shown]
	ds_bpermute_b32 v18, v91, v93
	ds_bpermute_b32 v12, v90, v1
	;; [unrolled: 1-line block ×6, first 2 shown]
	s_waitcnt lgkmcnt(10)
	v_add_f32_e32 v8, v8, v27
	ds_bpermute_b32 v27, v90, v11
	ds_bpermute_b32 v31, v90, v19
	;; [unrolled: 1-line block ×6, first 2 shown]
	s_waitcnt lgkmcnt(15)
	v_add_f32_e32 v9, v9, v28
	ds_bpermute_b32 v28, v90, v25
	s_waitcnt lgkmcnt(15)
	v_add_f32_e32 v10, v10, v29
	ds_bpermute_b32 v29, v90, v26
	s_waitcnt lgkmcnt(15)
	v_add_f32_e32 v3, v3, v14
	s_waitcnt lgkmcnt(14)
	v_add_f32_e32 v21, v21, v33
	ds_bpermute_b32 v30, v89, v7
	s_waitcnt lgkmcnt(14)
	v_add_f32_e32 v18, v93, v18
	s_waitcnt lgkmcnt(13)
	v_add_f32_e32 v1, v1, v12
	;; [unrolled: 2-line block ×5, first 2 shown]
	ds_bpermute_b32 v37, v90, v18
	s_waitcnt lgkmcnt(10)
	v_add_f32_e32 v6, v6, v17
	ds_bpermute_b32 v14, v89, v3
	s_waitcnt lgkmcnt(10)
	v_add_f32_e32 v11, v11, v27
	s_waitcnt lgkmcnt(9)
	v_add_f32_e32 v19, v19, v31
	s_waitcnt lgkmcnt(8)
	v_add_f32_e32 v20, v20, v32
	s_waitcnt lgkmcnt(7)
	v_add_f32_e32 v22, v22, v34
	s_waitcnt lgkmcnt(6)
	v_add_f32_e32 v23, v23, v35
	s_waitcnt lgkmcnt(5)
	v_add_f32_e32 v24, v24, v36
	ds_bpermute_b32 v34, v89, v21
	s_waitcnt lgkmcnt(5)
	v_add_f32_e32 v25, v25, v28
	s_waitcnt lgkmcnt(4)
	v_add_f32_e32 v26, v26, v29
	ds_bpermute_b32 v12, v89, v1
	ds_bpermute_b32 v13, v89, v2
	ds_bpermute_b32 v15, v89, v4
	ds_bpermute_b32 v16, v89, v5
	ds_bpermute_b32 v17, v89, v6
	ds_bpermute_b32 v27, v89, v8
	ds_bpermute_b32 v31, v89, v9
	ds_bpermute_b32 v38, v89, v10
	s_waitcnt lgkmcnt(10)
	v_add_f32_e32 v29, v18, v37
	ds_bpermute_b32 v39, v89, v11
	ds_bpermute_b32 v32, v89, v19
	;; [unrolled: 1-line block ×9, first 2 shown]
	s_waitcnt lgkmcnt(18)
	v_add_f32_e32 v3, v3, v14
	s_waitcnt lgkmcnt(17)
	v_add_f32_e32 v14, v21, v34
	v_lshrrev_b32_e32 v21, 3, v88
	s_waitcnt lgkmcnt(16)
	v_add_f32_e32 v1, v1, v12
	s_waitcnt lgkmcnt(15)
	v_add_f32_e32 v2, v2, v13
	;; [unrolled: 2-line block ×5, first 2 shown]
	v_add_f32_e32 v7, v7, v30
	s_waitcnt lgkmcnt(11)
	v_add_f32_e32 v8, v8, v27
	s_waitcnt lgkmcnt(10)
	;; [unrolled: 2-line block ×10, first 2 shown]
	v_add_f32_e32 v18, v25, v18
	v_and_b32_e32 v24, 0x3c7, v0
	s_waitcnt lgkmcnt(1)
	v_add_f32_e32 v19, v26, v37
	s_waitcnt lgkmcnt(0)
	v_add_f32_e32 v20, v29, v40
	v_lshl_add_u32 v22, v21, 2, 0x160
	v_mul_u32_u24_e32 v23, 0x140, v87
	s_barrier
	buffer_gl0_inv
	v_cmpx_eq_u32_e32 64, v24
	s_cbranch_execz .LBB47_69
; %bb.68:
	v_add_nc_u32_e32 v24, v22, v23
	v_add_nc_u32_e32 v25, 0xfffffd80, v24
	;; [unrolled: 1-line block ×6, first 2 shown]
	ds_write_b32 v25, v1
	ds_write_b32 v26, v2
	ds_write_b32 v27, v3
	ds_write_b32 v28, v4
	ds_write_b32 v29, v5
	v_add_nc_u32_e32 v25, 0xfffffdd0, v24
	v_add_nc_u32_e32 v26, 0xfffffde0, v24
	v_add_nc_u32_e32 v27, 0xfffffdf0, v24
	v_add_nc_u32_e32 v28, 0xfffffe00, v24
	v_add_nc_u32_e32 v29, 0xfffffe10, v24
	ds_write_b32 v25, v6
	ds_write_b32 v26, v7
	ds_write_b32 v27, v8
	ds_write_b32 v28, v9
	ds_write_b32 v29, v10
	v_add_nc_u32_e32 v25, 0xfffffe20, v24
	v_add_nc_u32_e32 v26, 0xfffffe30, v24
	v_add_nc_u32_e32 v27, 0xfffffe40, v24
	v_add_nc_u32_e32 v28, 0xfffffe50, v24
	v_add_nc_u32_e32 v29, 0xfffffe60, v24
	;; [unrolled: 10-line block ×3, first 2 shown]
	ds_write_b32 v25, v16
	ds_write_b32 v26, v17
	;; [unrolled: 1-line block ×5, first 2 shown]
.LBB47_69:
	s_or_b32 exec_lo, exec_lo, s0
	v_lshlrev_b32_e32 v21, 2, v21
	s_mov_b32 s1, exec_lo
	v_cmp_eq_u32_e32 vcc_lo, 0, v92
	s_waitcnt lgkmcnt(0)
	s_barrier
	v_add3_u32 v21, 0x160, v23, v21
	buffer_gl0_inv
	v_cmpx_gt_u32_e32 64, v0
	s_cbranch_execz .LBB47_92
; %bb.70:
	s_and_saveexec_b32 s0, vcc_lo
	s_cbranch_execnz .LBB47_120
; %bb.71:
	s_or_b32 exec_lo, exec_lo, s0
	s_and_saveexec_b32 s0, vcc_lo
	s_cbranch_execnz .LBB47_121
.LBB47_72:
	s_or_b32 exec_lo, exec_lo, s0
	s_and_saveexec_b32 s0, vcc_lo
	s_cbranch_execnz .LBB47_122
.LBB47_73:
	s_or_b32 exec_lo, exec_lo, s0
	s_and_saveexec_b32 s0, vcc_lo
	s_cbranch_execnz .LBB47_123
.LBB47_74:
	s_or_b32 exec_lo, exec_lo, s0
	s_and_saveexec_b32 s0, vcc_lo
	s_cbranch_execnz .LBB47_124
.LBB47_75:
	s_or_b32 exec_lo, exec_lo, s0
	s_and_saveexec_b32 s0, vcc_lo
	s_cbranch_execnz .LBB47_125
.LBB47_76:
	s_or_b32 exec_lo, exec_lo, s0
	s_and_saveexec_b32 s0, vcc_lo
	s_cbranch_execnz .LBB47_126
.LBB47_77:
	s_or_b32 exec_lo, exec_lo, s0
	s_and_saveexec_b32 s0, vcc_lo
	s_cbranch_execnz .LBB47_127
.LBB47_78:
	s_or_b32 exec_lo, exec_lo, s0
	s_and_saveexec_b32 s0, vcc_lo
	s_cbranch_execnz .LBB47_128
.LBB47_79:
	s_or_b32 exec_lo, exec_lo, s0
	s_and_saveexec_b32 s0, vcc_lo
	s_cbranch_execnz .LBB47_129
.LBB47_80:
	s_or_b32 exec_lo, exec_lo, s0
	s_and_saveexec_b32 s0, vcc_lo
	s_cbranch_execnz .LBB47_130
.LBB47_81:
	s_or_b32 exec_lo, exec_lo, s0
	s_and_saveexec_b32 s0, vcc_lo
	s_cbranch_execnz .LBB47_131
.LBB47_82:
	s_or_b32 exec_lo, exec_lo, s0
	s_and_saveexec_b32 s0, vcc_lo
	s_cbranch_execnz .LBB47_132
.LBB47_83:
	s_or_b32 exec_lo, exec_lo, s0
	s_and_saveexec_b32 s0, vcc_lo
	s_cbranch_execnz .LBB47_133
.LBB47_84:
	s_or_b32 exec_lo, exec_lo, s0
	s_and_saveexec_b32 s0, vcc_lo
	s_cbranch_execnz .LBB47_134
.LBB47_85:
	s_or_b32 exec_lo, exec_lo, s0
	s_and_saveexec_b32 s0, vcc_lo
	s_cbranch_execnz .LBB47_135
.LBB47_86:
	s_or_b32 exec_lo, exec_lo, s0
	s_and_saveexec_b32 s0, vcc_lo
	s_cbranch_execnz .LBB47_136
.LBB47_87:
	s_or_b32 exec_lo, exec_lo, s0
	s_and_saveexec_b32 s0, vcc_lo
	s_cbranch_execnz .LBB47_137
.LBB47_88:
	s_or_b32 exec_lo, exec_lo, s0
	s_and_saveexec_b32 s0, vcc_lo
	s_cbranch_execnz .LBB47_138
.LBB47_89:
	s_or_b32 exec_lo, exec_lo, s0
	s_and_saveexec_b32 s0, vcc_lo
	s_cbranch_execz .LBB47_91
.LBB47_90:
	ds_read_b32 v23, v21 offset:304
	s_waitcnt lgkmcnt(0)
	v_add_f32_e32 v20, v20, v23
.LBB47_91:
	s_or_b32 exec_lo, exec_lo, s0
.LBB47_92:
	s_or_b32 exec_lo, exec_lo, s1
	v_and_b32_e32 v23, 0x3e7, v0
	s_mov_b32 s1, exec_lo
	s_barrier
	buffer_gl0_inv
	v_cmpx_eq_u32_e32 32, v23
	s_cbranch_execz .LBB47_94
; %bb.93:
	ds_write2_b32 v22, v1, v2 offset1:4
	ds_write2_b32 v22, v3, v4 offset0:8 offset1:12
	ds_write2_b32 v22, v5, v6 offset0:16 offset1:20
	;; [unrolled: 1-line block ×9, first 2 shown]
.LBB47_94:
	s_or_b32 exec_lo, exec_lo, s1
	s_mov_b32 s1, exec_lo
	s_waitcnt lgkmcnt(0)
	s_barrier
	buffer_gl0_inv
	v_cmpx_gt_u32_e32 32, v0
	s_cbranch_execz .LBB47_117
; %bb.95:
	s_and_saveexec_b32 s0, vcc_lo
	s_cbranch_execnz .LBB47_139
; %bb.96:
	s_or_b32 exec_lo, exec_lo, s0
	s_and_saveexec_b32 s0, vcc_lo
	s_cbranch_execnz .LBB47_140
.LBB47_97:
	s_or_b32 exec_lo, exec_lo, s0
	s_and_saveexec_b32 s0, vcc_lo
	s_cbranch_execnz .LBB47_141
.LBB47_98:
	s_or_b32 exec_lo, exec_lo, s0
	s_and_saveexec_b32 s0, vcc_lo
	s_cbranch_execnz .LBB47_142
.LBB47_99:
	s_or_b32 exec_lo, exec_lo, s0
	s_and_saveexec_b32 s0, vcc_lo
	s_cbranch_execnz .LBB47_143
.LBB47_100:
	s_or_b32 exec_lo, exec_lo, s0
	s_and_saveexec_b32 s0, vcc_lo
	s_cbranch_execnz .LBB47_144
.LBB47_101:
	s_or_b32 exec_lo, exec_lo, s0
	s_and_saveexec_b32 s0, vcc_lo
	s_cbranch_execnz .LBB47_145
.LBB47_102:
	s_or_b32 exec_lo, exec_lo, s0
	s_and_saveexec_b32 s0, vcc_lo
	s_cbranch_execnz .LBB47_146
.LBB47_103:
	s_or_b32 exec_lo, exec_lo, s0
	s_and_saveexec_b32 s0, vcc_lo
	s_cbranch_execnz .LBB47_147
.LBB47_104:
	s_or_b32 exec_lo, exec_lo, s0
	s_and_saveexec_b32 s0, vcc_lo
	s_cbranch_execnz .LBB47_148
.LBB47_105:
	s_or_b32 exec_lo, exec_lo, s0
	s_and_saveexec_b32 s0, vcc_lo
	s_cbranch_execnz .LBB47_149
.LBB47_106:
	s_or_b32 exec_lo, exec_lo, s0
	s_and_saveexec_b32 s0, vcc_lo
	s_cbranch_execnz .LBB47_150
.LBB47_107:
	s_or_b32 exec_lo, exec_lo, s0
	s_and_saveexec_b32 s0, vcc_lo
	s_cbranch_execnz .LBB47_151
.LBB47_108:
	s_or_b32 exec_lo, exec_lo, s0
	s_and_saveexec_b32 s0, vcc_lo
	s_cbranch_execnz .LBB47_152
.LBB47_109:
	s_or_b32 exec_lo, exec_lo, s0
	s_and_saveexec_b32 s0, vcc_lo
	s_cbranch_execnz .LBB47_153
.LBB47_110:
	s_or_b32 exec_lo, exec_lo, s0
	s_and_saveexec_b32 s0, vcc_lo
	s_cbranch_execnz .LBB47_154
.LBB47_111:
	s_or_b32 exec_lo, exec_lo, s0
	s_and_saveexec_b32 s0, vcc_lo
	s_cbranch_execnz .LBB47_155
.LBB47_112:
	s_or_b32 exec_lo, exec_lo, s0
	s_and_saveexec_b32 s0, vcc_lo
	s_cbranch_execnz .LBB47_156
.LBB47_113:
	s_or_b32 exec_lo, exec_lo, s0
	s_and_saveexec_b32 s0, vcc_lo
	s_cbranch_execnz .LBB47_157
.LBB47_114:
	s_or_b32 exec_lo, exec_lo, s0
	s_and_saveexec_b32 s0, vcc_lo
	s_cbranch_execz .LBB47_116
.LBB47_115:
	ds_read_b32 v21, v21 offset:304
	s_waitcnt lgkmcnt(0)
	v_add_f32_e32 v20, v20, v21
.LBB47_116:
	s_or_b32 exec_lo, exec_lo, s0
.LBB47_117:
	s_or_b32 exec_lo, exec_lo, s1
	s_barrier
	buffer_gl0_inv
	s_mov_b32 s0, exec_lo
	v_cmpx_eq_u32_e32 0, v23
	s_cbranch_execz .LBB47_119
; %bb.118:
	s_mul_i32 s0, s10, s7
	s_mul_i32 s2, s7, s6
	;; [unrolled: 1-line block ×3, first 2 shown]
	v_lshrrev_b32_e32 v0, 1, v0
	s_mulk_i32 s0, 0x50
	s_ashr_i32 s1, s0, 31
	s_lshl_b64 s[0:1], s[0:1], 2
	s_add_u32 s4, s16, s0
	s_addc_u32 s5, s17, s1
	s_ashr_i32 s3, s2, 31
	s_lshl_b64 s[0:1], s[2:3], 2
	s_mul_i32 s2, s8, 0x50
	s_add_u32 s4, s4, s0
	s_addc_u32 s5, s5, s1
	s_ashr_i32 s3, s2, 31
	s_lshl_b64 s[0:1], s[2:3], 2
	s_add_u32 s0, s4, s0
	s_addc_u32 s1, s5, s1
	global_store_dword v0, v1, s[0:1]
	global_store_dword v0, v2, s[0:1] offset:16
	global_store_dword v0, v3, s[0:1] offset:32
	global_store_dword v0, v4, s[0:1] offset:48
	global_store_dword v0, v5, s[0:1] offset:64
	global_store_dword v0, v6, s[0:1] offset:80
	global_store_dword v0, v7, s[0:1] offset:96
	global_store_dword v0, v8, s[0:1] offset:112
	global_store_dword v0, v9, s[0:1] offset:128
	global_store_dword v0, v10, s[0:1] offset:144
	global_store_dword v0, v11, s[0:1] offset:160
	global_store_dword v0, v12, s[0:1] offset:176
	global_store_dword v0, v13, s[0:1] offset:192
	global_store_dword v0, v14, s[0:1] offset:208
	global_store_dword v0, v15, s[0:1] offset:224
	global_store_dword v0, v16, s[0:1] offset:240
	global_store_dword v0, v17, s[0:1] offset:256
	global_store_dword v0, v18, s[0:1] offset:272
	global_store_dword v0, v19, s[0:1] offset:288
	global_store_dword v0, v20, s[0:1] offset:304
.LBB47_119:
	s_endpgm
.LBB47_120:
	ds_read_b32 v23, v21
	s_waitcnt lgkmcnt(0)
	v_add_f32_e32 v1, v1, v23
	s_or_b32 exec_lo, exec_lo, s0
	s_and_saveexec_b32 s0, vcc_lo
	s_cbranch_execz .LBB47_72
.LBB47_121:
	ds_read_b32 v23, v21 offset:16
	s_waitcnt lgkmcnt(0)
	v_add_f32_e32 v2, v2, v23
	s_or_b32 exec_lo, exec_lo, s0
	s_and_saveexec_b32 s0, vcc_lo
	s_cbranch_execz .LBB47_73
.LBB47_122:
	ds_read_b32 v23, v21 offset:32
	s_waitcnt lgkmcnt(0)
	v_add_f32_e32 v3, v3, v23
	s_or_b32 exec_lo, exec_lo, s0
	s_and_saveexec_b32 s0, vcc_lo
	s_cbranch_execz .LBB47_74
.LBB47_123:
	ds_read_b32 v23, v21 offset:48
	s_waitcnt lgkmcnt(0)
	v_add_f32_e32 v4, v4, v23
	s_or_b32 exec_lo, exec_lo, s0
	s_and_saveexec_b32 s0, vcc_lo
	s_cbranch_execz .LBB47_75
.LBB47_124:
	ds_read_b32 v23, v21 offset:64
	s_waitcnt lgkmcnt(0)
	v_add_f32_e32 v5, v5, v23
	s_or_b32 exec_lo, exec_lo, s0
	s_and_saveexec_b32 s0, vcc_lo
	s_cbranch_execz .LBB47_76
.LBB47_125:
	ds_read_b32 v23, v21 offset:80
	s_waitcnt lgkmcnt(0)
	v_add_f32_e32 v6, v6, v23
	s_or_b32 exec_lo, exec_lo, s0
	s_and_saveexec_b32 s0, vcc_lo
	s_cbranch_execz .LBB47_77
.LBB47_126:
	ds_read_b32 v23, v21 offset:96
	s_waitcnt lgkmcnt(0)
	v_add_f32_e32 v7, v7, v23
	s_or_b32 exec_lo, exec_lo, s0
	s_and_saveexec_b32 s0, vcc_lo
	s_cbranch_execz .LBB47_78
.LBB47_127:
	ds_read_b32 v23, v21 offset:112
	s_waitcnt lgkmcnt(0)
	v_add_f32_e32 v8, v8, v23
	s_or_b32 exec_lo, exec_lo, s0
	s_and_saveexec_b32 s0, vcc_lo
	s_cbranch_execz .LBB47_79
.LBB47_128:
	ds_read_b32 v23, v21 offset:128
	s_waitcnt lgkmcnt(0)
	v_add_f32_e32 v9, v9, v23
	s_or_b32 exec_lo, exec_lo, s0
	s_and_saveexec_b32 s0, vcc_lo
	s_cbranch_execz .LBB47_80
.LBB47_129:
	ds_read_b32 v23, v21 offset:144
	s_waitcnt lgkmcnt(0)
	v_add_f32_e32 v10, v10, v23
	s_or_b32 exec_lo, exec_lo, s0
	s_and_saveexec_b32 s0, vcc_lo
	s_cbranch_execz .LBB47_81
.LBB47_130:
	ds_read_b32 v23, v21 offset:160
	s_waitcnt lgkmcnt(0)
	v_add_f32_e32 v11, v11, v23
	s_or_b32 exec_lo, exec_lo, s0
	s_and_saveexec_b32 s0, vcc_lo
	s_cbranch_execz .LBB47_82
.LBB47_131:
	ds_read_b32 v23, v21 offset:176
	s_waitcnt lgkmcnt(0)
	v_add_f32_e32 v12, v12, v23
	s_or_b32 exec_lo, exec_lo, s0
	s_and_saveexec_b32 s0, vcc_lo
	s_cbranch_execz .LBB47_83
.LBB47_132:
	ds_read_b32 v23, v21 offset:192
	s_waitcnt lgkmcnt(0)
	v_add_f32_e32 v13, v13, v23
	s_or_b32 exec_lo, exec_lo, s0
	s_and_saveexec_b32 s0, vcc_lo
	s_cbranch_execz .LBB47_84
.LBB47_133:
	ds_read_b32 v23, v21 offset:208
	s_waitcnt lgkmcnt(0)
	v_add_f32_e32 v14, v14, v23
	s_or_b32 exec_lo, exec_lo, s0
	s_and_saveexec_b32 s0, vcc_lo
	s_cbranch_execz .LBB47_85
.LBB47_134:
	ds_read_b32 v23, v21 offset:224
	s_waitcnt lgkmcnt(0)
	v_add_f32_e32 v15, v15, v23
	s_or_b32 exec_lo, exec_lo, s0
	s_and_saveexec_b32 s0, vcc_lo
	s_cbranch_execz .LBB47_86
.LBB47_135:
	ds_read_b32 v23, v21 offset:240
	s_waitcnt lgkmcnt(0)
	v_add_f32_e32 v16, v16, v23
	s_or_b32 exec_lo, exec_lo, s0
	s_and_saveexec_b32 s0, vcc_lo
	s_cbranch_execz .LBB47_87
.LBB47_136:
	ds_read_b32 v23, v21 offset:256
	s_waitcnt lgkmcnt(0)
	v_add_f32_e32 v17, v17, v23
	s_or_b32 exec_lo, exec_lo, s0
	s_and_saveexec_b32 s0, vcc_lo
	s_cbranch_execz .LBB47_88
.LBB47_137:
	ds_read_b32 v23, v21 offset:272
	s_waitcnt lgkmcnt(0)
	v_add_f32_e32 v18, v18, v23
	s_or_b32 exec_lo, exec_lo, s0
	s_and_saveexec_b32 s0, vcc_lo
	s_cbranch_execz .LBB47_89
.LBB47_138:
	ds_read_b32 v23, v21 offset:288
	s_waitcnt lgkmcnt(0)
	v_add_f32_e32 v19, v19, v23
	s_or_b32 exec_lo, exec_lo, s0
	s_and_saveexec_b32 s0, vcc_lo
	s_cbranch_execnz .LBB47_90
	s_branch .LBB47_91
.LBB47_139:
	ds_read_b32 v22, v21
	s_waitcnt lgkmcnt(0)
	v_add_f32_e32 v1, v1, v22
	s_or_b32 exec_lo, exec_lo, s0
	s_and_saveexec_b32 s0, vcc_lo
	s_cbranch_execz .LBB47_97
.LBB47_140:
	ds_read_b32 v22, v21 offset:16
	s_waitcnt lgkmcnt(0)
	v_add_f32_e32 v2, v2, v22
	s_or_b32 exec_lo, exec_lo, s0
	s_and_saveexec_b32 s0, vcc_lo
	s_cbranch_execz .LBB47_98
.LBB47_141:
	ds_read_b32 v22, v21 offset:32
	s_waitcnt lgkmcnt(0)
	v_add_f32_e32 v3, v3, v22
	s_or_b32 exec_lo, exec_lo, s0
	s_and_saveexec_b32 s0, vcc_lo
	s_cbranch_execz .LBB47_99
.LBB47_142:
	ds_read_b32 v22, v21 offset:48
	s_waitcnt lgkmcnt(0)
	v_add_f32_e32 v4, v4, v22
	s_or_b32 exec_lo, exec_lo, s0
	s_and_saveexec_b32 s0, vcc_lo
	s_cbranch_execz .LBB47_100
.LBB47_143:
	ds_read_b32 v22, v21 offset:64
	s_waitcnt lgkmcnt(0)
	v_add_f32_e32 v5, v5, v22
	s_or_b32 exec_lo, exec_lo, s0
	s_and_saveexec_b32 s0, vcc_lo
	s_cbranch_execz .LBB47_101
.LBB47_144:
	ds_read_b32 v22, v21 offset:80
	s_waitcnt lgkmcnt(0)
	v_add_f32_e32 v6, v6, v22
	s_or_b32 exec_lo, exec_lo, s0
	s_and_saveexec_b32 s0, vcc_lo
	s_cbranch_execz .LBB47_102
.LBB47_145:
	ds_read_b32 v22, v21 offset:96
	s_waitcnt lgkmcnt(0)
	v_add_f32_e32 v7, v7, v22
	s_or_b32 exec_lo, exec_lo, s0
	s_and_saveexec_b32 s0, vcc_lo
	s_cbranch_execz .LBB47_103
.LBB47_146:
	ds_read_b32 v22, v21 offset:112
	s_waitcnt lgkmcnt(0)
	v_add_f32_e32 v8, v8, v22
	s_or_b32 exec_lo, exec_lo, s0
	s_and_saveexec_b32 s0, vcc_lo
	s_cbranch_execz .LBB47_104
.LBB47_147:
	ds_read_b32 v22, v21 offset:128
	s_waitcnt lgkmcnt(0)
	v_add_f32_e32 v9, v9, v22
	s_or_b32 exec_lo, exec_lo, s0
	s_and_saveexec_b32 s0, vcc_lo
	s_cbranch_execz .LBB47_105
.LBB47_148:
	ds_read_b32 v22, v21 offset:144
	s_waitcnt lgkmcnt(0)
	v_add_f32_e32 v10, v10, v22
	s_or_b32 exec_lo, exec_lo, s0
	s_and_saveexec_b32 s0, vcc_lo
	s_cbranch_execz .LBB47_106
.LBB47_149:
	ds_read_b32 v22, v21 offset:160
	s_waitcnt lgkmcnt(0)
	v_add_f32_e32 v11, v11, v22
	s_or_b32 exec_lo, exec_lo, s0
	s_and_saveexec_b32 s0, vcc_lo
	s_cbranch_execz .LBB47_107
.LBB47_150:
	ds_read_b32 v22, v21 offset:176
	s_waitcnt lgkmcnt(0)
	v_add_f32_e32 v12, v12, v22
	s_or_b32 exec_lo, exec_lo, s0
	s_and_saveexec_b32 s0, vcc_lo
	s_cbranch_execz .LBB47_108
.LBB47_151:
	ds_read_b32 v22, v21 offset:192
	s_waitcnt lgkmcnt(0)
	v_add_f32_e32 v13, v13, v22
	s_or_b32 exec_lo, exec_lo, s0
	s_and_saveexec_b32 s0, vcc_lo
	s_cbranch_execz .LBB47_109
.LBB47_152:
	ds_read_b32 v22, v21 offset:208
	s_waitcnt lgkmcnt(0)
	v_add_f32_e32 v14, v14, v22
	s_or_b32 exec_lo, exec_lo, s0
	s_and_saveexec_b32 s0, vcc_lo
	s_cbranch_execz .LBB47_110
.LBB47_153:
	ds_read_b32 v22, v21 offset:224
	s_waitcnt lgkmcnt(0)
	v_add_f32_e32 v15, v15, v22
	s_or_b32 exec_lo, exec_lo, s0
	s_and_saveexec_b32 s0, vcc_lo
	s_cbranch_execz .LBB47_111
.LBB47_154:
	ds_read_b32 v22, v21 offset:240
	s_waitcnt lgkmcnt(0)
	v_add_f32_e32 v16, v16, v22
	s_or_b32 exec_lo, exec_lo, s0
	s_and_saveexec_b32 s0, vcc_lo
	s_cbranch_execz .LBB47_112
.LBB47_155:
	ds_read_b32 v22, v21 offset:256
	s_waitcnt lgkmcnt(0)
	v_add_f32_e32 v17, v17, v22
	s_or_b32 exec_lo, exec_lo, s0
	s_and_saveexec_b32 s0, vcc_lo
	s_cbranch_execz .LBB47_113
.LBB47_156:
	ds_read_b32 v22, v21 offset:272
	s_waitcnt lgkmcnt(0)
	v_add_f32_e32 v18, v18, v22
	s_or_b32 exec_lo, exec_lo, s0
	s_and_saveexec_b32 s0, vcc_lo
	s_cbranch_execz .LBB47_114
.LBB47_157:
	ds_read_b32 v22, v21 offset:288
	s_waitcnt lgkmcnt(0)
	v_add_f32_e32 v19, v19, v22
	s_or_b32 exec_lo, exec_lo, s0
	s_and_saveexec_b32 s0, vcc_lo
	s_cbranch_execnz .LBB47_115
	s_branch .LBB47_116
	.section	.rodata,"a",@progbits
	.p2align	6, 0x0
	.amdhsa_kernel _ZN4vllm25paged_attention_v1_kernelIffLi80ELi32ELi128ELNS_18Fp8KVCacheDataTypeE0ELb0EEEvPT_PKS2_PKT0_S8_ifPKiSA_iPKfiiiSC_SC_iiiii
		.amdhsa_group_segment_fixed_size 352
		.amdhsa_private_segment_fixed_size 0
		.amdhsa_kernarg_size 384
		.amdhsa_user_sgpr_count 6
		.amdhsa_user_sgpr_private_segment_buffer 1
		.amdhsa_user_sgpr_dispatch_ptr 0
		.amdhsa_user_sgpr_queue_ptr 0
		.amdhsa_user_sgpr_kernarg_segment_ptr 1
		.amdhsa_user_sgpr_dispatch_id 0
		.amdhsa_user_sgpr_flat_scratch_init 0
		.amdhsa_user_sgpr_private_segment_size 0
		.amdhsa_wavefront_size32 1
		.amdhsa_uses_dynamic_stack 0
		.amdhsa_system_sgpr_private_segment_wavefront_offset 0
		.amdhsa_system_sgpr_workgroup_id_x 1
		.amdhsa_system_sgpr_workgroup_id_y 1
		.amdhsa_system_sgpr_workgroup_id_z 1
		.amdhsa_system_sgpr_workgroup_info 0
		.amdhsa_system_vgpr_workitem_id 0
		.amdhsa_next_free_vgpr 121
		.amdhsa_next_free_sgpr 28
		.amdhsa_reserve_vcc 1
		.amdhsa_reserve_flat_scratch 0
		.amdhsa_float_round_mode_32 0
		.amdhsa_float_round_mode_16_64 0
		.amdhsa_float_denorm_mode_32 3
		.amdhsa_float_denorm_mode_16_64 3
		.amdhsa_dx10_clamp 1
		.amdhsa_ieee_mode 1
		.amdhsa_fp16_overflow 0
		.amdhsa_workgroup_processor_mode 1
		.amdhsa_memory_ordered 1
		.amdhsa_forward_progress 1
		.amdhsa_shared_vgpr_count 0
		.amdhsa_exception_fp_ieee_invalid_op 0
		.amdhsa_exception_fp_denorm_src 0
		.amdhsa_exception_fp_ieee_div_zero 0
		.amdhsa_exception_fp_ieee_overflow 0
		.amdhsa_exception_fp_ieee_underflow 0
		.amdhsa_exception_fp_ieee_inexact 0
		.amdhsa_exception_int_div_zero 0
	.end_amdhsa_kernel
	.section	.text._ZN4vllm25paged_attention_v1_kernelIffLi80ELi32ELi128ELNS_18Fp8KVCacheDataTypeE0ELb0EEEvPT_PKS2_PKT0_S8_ifPKiSA_iPKfiiiSC_SC_iiiii,"axG",@progbits,_ZN4vllm25paged_attention_v1_kernelIffLi80ELi32ELi128ELNS_18Fp8KVCacheDataTypeE0ELb0EEEvPT_PKS2_PKT0_S8_ifPKiSA_iPKfiiiSC_SC_iiiii,comdat
.Lfunc_end47:
	.size	_ZN4vllm25paged_attention_v1_kernelIffLi80ELi32ELi128ELNS_18Fp8KVCacheDataTypeE0ELb0EEEvPT_PKS2_PKT0_S8_ifPKiSA_iPKfiiiSC_SC_iiiii, .Lfunc_end47-_ZN4vllm25paged_attention_v1_kernelIffLi80ELi32ELi128ELNS_18Fp8KVCacheDataTypeE0ELb0EEEvPT_PKS2_PKT0_S8_ifPKiSA_iPKfiiiSC_SC_iiiii
                                        ; -- End function
	.set _ZN4vllm25paged_attention_v1_kernelIffLi80ELi32ELi128ELNS_18Fp8KVCacheDataTypeE0ELb0EEEvPT_PKS2_PKT0_S8_ifPKiSA_iPKfiiiSC_SC_iiiii.num_vgpr, 121
	.set _ZN4vllm25paged_attention_v1_kernelIffLi80ELi32ELi128ELNS_18Fp8KVCacheDataTypeE0ELb0EEEvPT_PKS2_PKT0_S8_ifPKiSA_iPKfiiiSC_SC_iiiii.num_agpr, 0
	.set _ZN4vllm25paged_attention_v1_kernelIffLi80ELi32ELi128ELNS_18Fp8KVCacheDataTypeE0ELb0EEEvPT_PKS2_PKT0_S8_ifPKiSA_iPKfiiiSC_SC_iiiii.numbered_sgpr, 28
	.set _ZN4vllm25paged_attention_v1_kernelIffLi80ELi32ELi128ELNS_18Fp8KVCacheDataTypeE0ELb0EEEvPT_PKS2_PKT0_S8_ifPKiSA_iPKfiiiSC_SC_iiiii.num_named_barrier, 0
	.set _ZN4vllm25paged_attention_v1_kernelIffLi80ELi32ELi128ELNS_18Fp8KVCacheDataTypeE0ELb0EEEvPT_PKS2_PKT0_S8_ifPKiSA_iPKfiiiSC_SC_iiiii.private_seg_size, 0
	.set _ZN4vllm25paged_attention_v1_kernelIffLi80ELi32ELi128ELNS_18Fp8KVCacheDataTypeE0ELb0EEEvPT_PKS2_PKT0_S8_ifPKiSA_iPKfiiiSC_SC_iiiii.uses_vcc, 1
	.set _ZN4vllm25paged_attention_v1_kernelIffLi80ELi32ELi128ELNS_18Fp8KVCacheDataTypeE0ELb0EEEvPT_PKS2_PKT0_S8_ifPKiSA_iPKfiiiSC_SC_iiiii.uses_flat_scratch, 0
	.set _ZN4vllm25paged_attention_v1_kernelIffLi80ELi32ELi128ELNS_18Fp8KVCacheDataTypeE0ELb0EEEvPT_PKS2_PKT0_S8_ifPKiSA_iPKfiiiSC_SC_iiiii.has_dyn_sized_stack, 0
	.set _ZN4vllm25paged_attention_v1_kernelIffLi80ELi32ELi128ELNS_18Fp8KVCacheDataTypeE0ELb0EEEvPT_PKS2_PKT0_S8_ifPKiSA_iPKfiiiSC_SC_iiiii.has_recursion, 0
	.set _ZN4vllm25paged_attention_v1_kernelIffLi80ELi32ELi128ELNS_18Fp8KVCacheDataTypeE0ELb0EEEvPT_PKS2_PKT0_S8_ifPKiSA_iPKfiiiSC_SC_iiiii.has_indirect_call, 0
	.section	.AMDGPU.csdata,"",@progbits
; Kernel info:
; codeLenInByte = 8976
; TotalNumSgprs: 30
; NumVgprs: 121
; ScratchSize: 0
; MemoryBound: 0
; FloatMode: 240
; IeeeMode: 1
; LDSByteSize: 352 bytes/workgroup (compile time only)
; SGPRBlocks: 0
; VGPRBlocks: 15
; NumSGPRsForWavesPerEU: 30
; NumVGPRsForWavesPerEU: 121
; Occupancy: 8
; WaveLimiterHint : 1
; COMPUTE_PGM_RSRC2:SCRATCH_EN: 0
; COMPUTE_PGM_RSRC2:USER_SGPR: 6
; COMPUTE_PGM_RSRC2:TRAP_HANDLER: 0
; COMPUTE_PGM_RSRC2:TGID_X_EN: 1
; COMPUTE_PGM_RSRC2:TGID_Y_EN: 1
; COMPUTE_PGM_RSRC2:TGID_Z_EN: 1
; COMPUTE_PGM_RSRC2:TIDIG_COMP_CNT: 0
	.section	.text._ZN4vllm25paged_attention_v1_kernelIffLi96ELi32ELi128ELNS_18Fp8KVCacheDataTypeE0ELb0EEEvPT_PKS2_PKT0_S8_ifPKiSA_iPKfiiiSC_SC_iiiii,"axG",@progbits,_ZN4vllm25paged_attention_v1_kernelIffLi96ELi32ELi128ELNS_18Fp8KVCacheDataTypeE0ELb0EEEvPT_PKS2_PKT0_S8_ifPKiSA_iPKfiiiSC_SC_iiiii,comdat
	.protected	_ZN4vllm25paged_attention_v1_kernelIffLi96ELi32ELi128ELNS_18Fp8KVCacheDataTypeE0ELb0EEEvPT_PKS2_PKT0_S8_ifPKiSA_iPKfiiiSC_SC_iiiii ; -- Begin function _ZN4vllm25paged_attention_v1_kernelIffLi96ELi32ELi128ELNS_18Fp8KVCacheDataTypeE0ELb0EEEvPT_PKS2_PKT0_S8_ifPKiSA_iPKfiiiSC_SC_iiiii
	.globl	_ZN4vllm25paged_attention_v1_kernelIffLi96ELi32ELi128ELNS_18Fp8KVCacheDataTypeE0ELb0EEEvPT_PKS2_PKT0_S8_ifPKiSA_iPKfiiiSC_SC_iiiii
	.p2align	8
	.type	_ZN4vllm25paged_attention_v1_kernelIffLi96ELi32ELi128ELNS_18Fp8KVCacheDataTypeE0ELb0EEEvPT_PKS2_PKT0_S8_ifPKiSA_iPKfiiiSC_SC_iiiii,@function
_ZN4vllm25paged_attention_v1_kernelIffLi96ELi32ELi128ELNS_18Fp8KVCacheDataTypeE0ELb0EEEvPT_PKS2_PKT0_S8_ifPKiSA_iPKfiiiSC_SC_iiiii: ; @_ZN4vllm25paged_attention_v1_kernelIffLi96ELi32ELi128ELNS_18Fp8KVCacheDataTypeE0ELb0EEEvPT_PKS2_PKT0_S8_ifPKiSA_iPKfiiiSC_SC_iiiii
; %bb.0:
	s_mov_b64 s[30:31], s[2:3]
	s_mov_b64 s[28:29], s[0:1]
	s_mov_b32 s10, s7
	s_add_u32 s28, s28, s9
	s_clause 0x2
	s_load_dword s9, s[4:5], 0x80
	s_load_dwordx2 s[0:1], s[4:5], 0x30
	s_load_dwordx2 s[2:3], s[4:5], 0x20
	s_addc_u32 s29, s29, 0
	s_ashr_i32 s11, s7, 31
	v_mov_b32_e32 v47, v0
	s_lshl_b64 s[12:13], s[10:11], 2
	s_mov_b32 s24, 0
	s_waitcnt lgkmcnt(0)
	s_add_u32 s0, s0, s12
	s_addc_u32 s1, s1, s13
	s_abs_i32 s7, s2
	s_abs_i32 s13, s9
	v_cvt_f32_u32_e32 v0, s7
	s_sub_i32 s12, 0, s7
	s_xor_b32 s2, s9, s2
	s_ashr_i32 s2, s2, 31
	v_rcp_iflag_f32_e32 v0, v0
	v_mul_f32_e32 v0, 0x4f7ffffe, v0
	v_cvt_u32_f32_e32 v0, v0
	v_readfirstlane_b32 s11, v0
	s_mul_i32 s12, s12, s11
	s_mul_hi_u32 s12, s11, s12
	s_add_i32 s11, s11, s12
	s_mul_hi_u32 s11, s13, s11
	s_mul_i32 s12, s11, s7
	s_sub_i32 s12, s13, s12
	s_add_i32 s13, s11, 1
	s_sub_i32 s14, s12, s7
	s_cmp_ge_u32 s12, s7
	s_cselect_b32 s11, s13, s11
	s_cselect_b32 s12, s14, s12
	s_add_i32 s13, s11, 1
	s_cmp_ge_u32 s12, s7
	s_cselect_b32 s7, s13, s11
	s_load_dwordx2 s[12:13], s[4:5], 0x40
	s_xor_b32 s7, s7, s2
	s_abs_i32 s16, s6
	s_sub_i32 s17, s7, s2
	s_abs_i32 s2, s17
	v_cvt_f32_u32_e32 v0, s2
	s_sub_i32 s11, 0, s2
	v_rcp_iflag_f32_e32 v0, v0
	v_mul_f32_e32 v0, 0x4f7ffffe, v0
	v_cvt_u32_f32_e32 v0, v0
	v_readfirstlane_b32 s7, v0
	s_mul_i32 s11, s11, s7
	s_mul_hi_u32 s11, s7, s11
	s_add_i32 s7, s7, s11
	s_waitcnt lgkmcnt(0)
	s_cmp_eq_u64 s[12:13], 0
	s_mul_hi_u32 s20, s16, s7
	s_cbranch_scc1 .LBB48_2
; %bb.1:
	s_ashr_i32 s7, s6, 31
	s_lshl_b64 s[14:15], s[6:7], 2
	s_add_u32 s12, s12, s14
	s_addc_u32 s13, s13, s15
	s_load_dword s24, s[12:13], 0x0
.LBB48_2:
	s_load_dword s11, s[0:1], 0x0
	s_clause 0x1
	s_load_dwordx2 s[18:19], s[4:5], 0x28
	s_load_dwordx4 s[12:15], s[4:5], 0x48
	v_lshlrev_b32_e32 v101, 4, v47
	s_ashr_i32 s0, s6, 31
	s_ashr_i32 s1, s17, 31
	s_mulk_i32 s6, 0x60
	s_waitcnt lgkmcnt(0)
	s_mov_b32 s15, exec_lo
	v_cmpx_gt_u32_e32 24, v47
	s_cbranch_execz .LBB48_4
; %bb.3:
	s_load_dwordx2 s[22:23], s[4:5], 0x8
	s_mul_i32 s26, s12, s10
	s_ashr_i32 s27, s26, 31
	s_lshl_b64 s[26:27], s[26:27], 2
	s_waitcnt lgkmcnt(0)
	s_add_u32 s12, s22, s26
	s_addc_u32 s17, s23, s27
	s_ashr_i32 s7, s6, 31
	s_lshl_b64 s[22:23], s[6:7], 2
	s_add_u32 s22, s12, s22
	s_addc_u32 s23, s17, s23
	global_load_dwordx4 v[0:3], v101, s[22:23]
	s_waitcnt vmcnt(0)
	ds_write_b128 v101, v[0:3]
.LBB48_4:
	s_or_b32 exec_lo, exec_lo, s15
	s_add_i32 s7, s11, 31
	s_xor_b32 s0, s0, s1
	s_ashr_i32 s12, s7, 31
	s_load_dword s15, s[4:5], 0x38
	s_lshr_b32 s1, s12, 27
	s_mul_i32 s12, s20, s2
	s_add_i32 s7, s7, s1
	s_sub_i32 s1, s16, s12
	s_ashr_i32 s12, s7, 5
	s_clause 0x2
	s_load_dwordx2 s[16:17], s[4:5], 0x0
	s_load_dwordx2 s[22:23], s[4:5], 0x18
	s_load_dword s7, s[4:5], 0x88
	s_add_i32 s21, s20, 1
	s_sub_i32 s25, s1, s2
	s_cmp_ge_u32 s1, s2
	v_lshrrev_b32_e32 v109, 5, v47
	s_cselect_b32 s20, s21, s20
	s_cselect_b32 s1, s25, s1
	s_add_i32 s21, s20, 1
	s_cmp_ge_u32 s1, s2
	v_and_b32_e32 v98, 31, v47
	s_cselect_b32 s1, s21, s20
	v_mov_b32_e32 v105, 0xff7fffff
	s_xor_b32 s1, s1, s0
	v_lshrrev_b32_e32 v102, 3, v47
	s_sub_i32 s1, s1, s0
	v_cmp_gt_i32_e64 s0, s12, v109
	v_lshlrev_b32_e32 v0, 2, v98
	s_waitcnt lgkmcnt(0)
	s_mul_i32 s20, s15, s10
	s_mul_i32 s14, s1, s14
	s_ashr_i32 s21, s20, 31
	s_barrier
	buffer_gl0_inv
	s_and_saveexec_b32 s25, s0
	s_cbranch_execz .LBB48_8
; %bb.5:
	s_load_dwordx2 s[4:5], s[4:5], 0x10
	s_ashr_i32 s15, s14, 31
	v_mov_b32_e32 v93, 0
	v_lshlrev_b32_e32 v49, 4, v98
	s_lshl_b64 s[26:27], s[14:15], 2
	v_mov_b32_e32 v121, v47
	ds_read_b128 v[1:4], v93
	ds_read_b128 v[5:8], v93 offset:16
	ds_read_b128 v[9:12], v93 offset:32
	;; [unrolled: 1-line block ×11, first 2 shown]
	v_lshl_or_b32 v97, v109, 7, v0
	v_mov_b32_e32 v123, v98
	v_lshl_or_b32 v106, v109, 5, v98
	v_and_b32_e32 v98, 0x7c, v102
	v_cmp_neq_f32_e64 vcc_lo, s24, 0
	v_add_nc_u32_e32 v107, 0x1a0, v97
	v_mov_b32_e32 v105, 0xff7fffff
	v_mov_b32_e32 v122, v109
	;; [unrolled: 1-line block ×3, first 2 shown]
	s_mov_b32 s15, s13
	s_waitcnt lgkmcnt(0)
	s_add_u32 s1, s4, s26
	s_addc_u32 s2, s5, s27
	v_add_co_u32 v103, s1, s1, v49
	ds_read_b128 v[49:52], v93 offset:192
	ds_read_b128 v[53:56], v93 offset:208
	;; [unrolled: 1-line block ×12, first 2 shown]
	s_lshl_b64 s[26:27], s[20:21], 2
	s_sub_i32 s4, 1, s11
	v_add_co_ci_u32_e64 v104, null, s2, 0, s1
	s_add_u32 s1, s18, s26
	s_addc_u32 s2, s19, s27
	v_add_co_u32 v97, s1, s1, v98
	v_add_co_ci_u32_e64 v98, null, s2, 0, s1
	s_mov_b32 s5, 0
.LBB48_6:                               ; =>This Inner Loop Header: Depth=1
	global_load_dword v99, v[97:98], off
	v_add_nc_u32_e32 v108, 4, v108
	v_cmp_le_i32_e64 s2, s12, v108
	s_or_b32 s5, s2, s5
	s_waitcnt vmcnt(0)
	v_mad_i64_i32 v[99:100], null, v99, s15, 0
	v_lshlrev_b64 v[99:100], 2, v[99:100]
	v_add_co_u32 v99, s1, v103, v99
	v_add_co_ci_u32_e64 v100, null, v104, v100, s1
	v_add_co_u32 v117, s1, v99, 0x1000
	global_load_dwordx4 v[111:114], v[99:100], off offset:512
	v_add_co_ci_u32_e64 v118, null, 0, v100, s1
	v_add_co_u32 v119, s1, 0x800, v99
	v_add_co_ci_u32_e64 v120, null, 0, v100, s1
	s_waitcnt vmcnt(0)
	v_mul_f32_e32 v110, v7, v113
	v_mul_f32_e32 v109, v8, v114
	global_load_dwordx4 v[113:116], v[99:100], off
	v_mul_f32_e32 v111, v5, v111
	v_mul_f32_e32 v112, v6, v112
	s_waitcnt vmcnt(0)
	v_fmac_f32_e32 v111, v1, v113
	v_fmac_f32_e32 v112, v2, v114
	;; [unrolled: 1-line block ×4, first 2 shown]
	global_load_dwordx4 v[113:116], v[99:100], off offset:1024
	s_waitcnt vmcnt(0)
	v_fmac_f32_e32 v111, v9, v113
	v_fmac_f32_e32 v112, v10, v114
	;; [unrolled: 1-line block ×4, first 2 shown]
	global_load_dwordx4 v[113:116], v[99:100], off offset:1536
	s_waitcnt vmcnt(0)
	v_fmac_f32_e32 v111, v13, v113
	v_fmac_f32_e32 v112, v14, v114
	;; [unrolled: 1-line block ×4, first 2 shown]
	global_load_dwordx4 v[113:116], v[117:118], off offset:-2048
	s_waitcnt vmcnt(0)
	v_fmac_f32_e32 v111, v17, v113
	v_fmac_f32_e32 v112, v18, v114
	v_fmac_f32_e32 v110, v19, v115
	v_fmac_f32_e32 v109, v20, v116
	global_load_dwordx4 v[113:116], v[119:120], off offset:512
	s_waitcnt vmcnt(0)
	v_fmac_f32_e32 v111, v21, v113
	v_fmac_f32_e32 v112, v22, v114
	v_fmac_f32_e32 v110, v23, v115
	v_fmac_f32_e32 v109, v24, v116
	global_load_dwordx4 v[113:116], v[119:120], off offset:1024
	;; [unrolled: 6-line block ×3, first 2 shown]
	s_waitcnt vmcnt(0)
	v_fmac_f32_e32 v111, v29, v113
	v_fmac_f32_e32 v112, v30, v114
	;; [unrolled: 1-line block ×4, first 2 shown]
	global_load_dwordx4 v[113:116], v[117:118], off
	v_add_co_u32 v117, s1, 0x1000, v99
	v_add_co_ci_u32_e64 v118, null, 0, v100, s1
	s_waitcnt vmcnt(0)
	v_fmac_f32_e32 v111, v33, v113
	v_fmac_f32_e32 v112, v34, v114
	v_fmac_f32_e32 v110, v35, v115
	v_fmac_f32_e32 v109, v36, v116
	global_load_dwordx4 v[113:116], v[117:118], off offset:512
	s_waitcnt vmcnt(0)
	v_fmac_f32_e32 v111, v37, v113
	v_fmac_f32_e32 v112, v38, v114
	v_fmac_f32_e32 v110, v39, v115
	v_fmac_f32_e32 v109, v40, v116
	global_load_dwordx4 v[113:116], v[117:118], off offset:1024
	;; [unrolled: 6-line block ×3, first 2 shown]
	v_add_co_u32 v117, s1, v99, 0x2000
	v_add_co_ci_u32_e64 v118, null, 0, v100, s1
	v_add_co_u32 v119, s1, 0x1800, v99
	v_add_co_ci_u32_e64 v120, null, 0, v100, s1
	s_waitcnt vmcnt(0)
	v_fmac_f32_e32 v111, v45, v113
	v_fmac_f32_e32 v112, v46, v114
	;; [unrolled: 1-line block ×4, first 2 shown]
	global_load_dwordx4 v[113:116], v[117:118], off offset:-2048
	s_waitcnt vmcnt(0) lgkmcnt(11)
	v_fmac_f32_e32 v111, v49, v113
	v_fmac_f32_e32 v112, v50, v114
	v_fmac_f32_e32 v110, v51, v115
	v_fmac_f32_e32 v109, v52, v116
	global_load_dwordx4 v[113:116], v[119:120], off offset:512
	s_waitcnt vmcnt(0) lgkmcnt(10)
	v_fmac_f32_e32 v111, v53, v113
	v_fmac_f32_e32 v112, v54, v114
	v_fmac_f32_e32 v110, v55, v115
	v_fmac_f32_e32 v109, v56, v116
	global_load_dwordx4 v[113:116], v[119:120], off offset:1024
	;; [unrolled: 6-line block ×3, first 2 shown]
	s_waitcnt vmcnt(0) lgkmcnt(8)
	v_fmac_f32_e32 v111, v61, v113
	v_fmac_f32_e32 v112, v62, v114
	;; [unrolled: 1-line block ×4, first 2 shown]
	global_load_dwordx4 v[113:116], v[117:118], off
	v_add_co_u32 v117, s1, 0x2000, v99
	v_add_co_ci_u32_e64 v118, null, 0, v100, s1
	v_add_co_u32 v99, s1, 0x2800, v99
	v_add_co_ci_u32_e64 v100, null, 0, v100, s1
	v_cmp_gt_i32_e64 s1, s11, v106
	s_waitcnt vmcnt(0) lgkmcnt(7)
	v_fmac_f32_e32 v111, v65, v113
	v_fmac_f32_e32 v112, v66, v114
	v_fmac_f32_e32 v110, v67, v115
	v_fmac_f32_e32 v109, v68, v116
	global_load_dwordx4 v[113:116], v[117:118], off offset:512
	s_waitcnt vmcnt(0) lgkmcnt(6)
	v_fmac_f32_e32 v111, v69, v113
	v_fmac_f32_e32 v112, v70, v114
	v_fmac_f32_e32 v110, v71, v115
	v_fmac_f32_e32 v109, v72, v116
	global_load_dwordx4 v[113:116], v[117:118], off offset:1024
	;; [unrolled: 6-line block ×3, first 2 shown]
	s_waitcnt vmcnt(0) lgkmcnt(4)
	v_fmac_f32_e32 v111, v77, v113
	v_fmac_f32_e32 v112, v78, v114
	;; [unrolled: 1-line block ×4, first 2 shown]
	global_load_dwordx4 v[113:116], v[99:100], off
	s_waitcnt vmcnt(0) lgkmcnt(3)
	v_fmac_f32_e32 v111, v81, v113
	v_fmac_f32_e32 v112, v82, v114
	v_fmac_f32_e32 v110, v83, v115
	v_fmac_f32_e32 v109, v84, v116
	global_load_dwordx4 v[113:116], v[99:100], off offset:512
	s_waitcnt vmcnt(0) lgkmcnt(2)
	v_fmac_f32_e32 v111, v85, v113
	v_fmac_f32_e32 v112, v86, v114
	v_fmac_f32_e32 v110, v87, v115
	v_fmac_f32_e32 v109, v88, v116
	global_load_dwordx4 v[113:116], v[99:100], off offset:1024
	;; [unrolled: 6-line block ×3, first 2 shown]
	v_add_nc_u32_e32 v100, s4, v106
	v_add_nc_u32_e32 v106, 0x80, v106
	v_cvt_f32_i32_e32 v100, v100
	v_mul_f32_e32 v100, s24, v100
	v_cndmask_b32_e32 v100, 0, v100, vcc_lo
	s_waitcnt vmcnt(0) lgkmcnt(0)
	v_fmac_f32_e32 v111, v93, v113
	v_fmac_f32_e32 v112, v94, v114
	;; [unrolled: 1-line block ×4, first 2 shown]
	v_add_f32_e32 v99, v111, v112
	v_add_f32_e32 v99, v110, v99
	;; [unrolled: 1-line block ×3, first 2 shown]
	v_fmac_f32_e32 v100, s3, v99
	v_max_f32_e32 v99, v105, v105
	v_max_f32_e32 v99, v99, v100
	v_cndmask_b32_e64 v105, v105, v99, s1
	v_cndmask_b32_e64 v99, 0, v100, s1
	v_add_co_u32 v97, s1, v97, 16
	v_add_co_ci_u32_e64 v98, null, 0, v98, s1
	ds_write_b32 v107, v99
	v_add_nc_u32_e32 v107, 0x200, v107
	s_andn2_b32 exec_lo, exec_lo, s5
	s_cbranch_execnz .LBB48_6
; %bb.7:
	s_or_b32 exec_lo, exec_lo, s5
	v_mov_b32_e32 v47, v121
	v_mov_b32_e32 v109, v122
	;; [unrolled: 1-line block ×3, first 2 shown]
.LBB48_8:
	s_or_b32 exec_lo, exec_lo, s25
	v_mbcnt_lo_u32_b32 v2, -1, 0
	v_max_f32_e32 v5, v105, v105
	v_xor_b32_e32 v1, 16, v2
	v_xor_b32_e32 v4, 8, v2
	v_cmp_gt_i32_e32 vcc_lo, 32, v1
	v_cndmask_b32_e32 v1, v2, v1, vcc_lo
	v_cmp_gt_i32_e32 vcc_lo, 32, v4
	v_lshlrev_b32_e32 v1, 2, v1
	v_cndmask_b32_e32 v4, v2, v4, vcc_lo
	ds_bpermute_b32 v3, v1, v105
	s_waitcnt lgkmcnt(0)
	v_max_f32_e32 v6, v3, v3
	v_lshlrev_b32_e32 v3, 2, v4
	v_max_f32_e32 v4, v5, v6
	v_xor_b32_e32 v6, 4, v2
	ds_bpermute_b32 v5, v3, v4
	v_cmp_gt_i32_e32 vcc_lo, 32, v6
	v_cndmask_b32_e32 v6, v2, v6, vcc_lo
	v_lshlrev_b32_e32 v33, 2, v6
	v_xor_b32_e32 v6, 2, v2
	v_cmp_gt_i32_e32 vcc_lo, 32, v6
	s_waitcnt lgkmcnt(0)
	v_max_f32_e32 v5, v5, v5
	v_cndmask_b32_e32 v6, v2, v6, vcc_lo
	v_max_f32_e32 v4, v4, v5
	v_lshlrev_b32_e32 v40, 2, v6
	v_xor_b32_e32 v6, 1, v2
	ds_bpermute_b32 v5, v33, v4
	v_cmp_gt_i32_e32 vcc_lo, 32, v6
	v_cndmask_b32_e32 v6, v2, v6, vcc_lo
	v_cmp_eq_u32_e32 vcc_lo, 0, v98
	v_lshlrev_b32_e32 v46, 2, v6
	s_waitcnt lgkmcnt(0)
	v_max_f32_e32 v5, v5, v5
	v_max_f32_e32 v4, v4, v5
	ds_bpermute_b32 v5, v40, v4
	s_waitcnt lgkmcnt(0)
	v_max_f32_e32 v5, v5, v5
	v_max_f32_e32 v2, v4, v5
	v_lshlrev_b32_e32 v4, 2, v109
	ds_bpermute_b32 v5, v46, v2
	s_and_saveexec_b32 s1, vcc_lo
	s_cbranch_execz .LBB48_10
; %bb.9:
	s_waitcnt lgkmcnt(0)
	v_max_f32_e32 v5, v5, v5
	v_max_f32_e32 v2, v2, v2
	;; [unrolled: 1-line block ×3, first 2 shown]
	ds_write_b32 v4, v2 offset:384
.LBB48_10:
	s_or_b32 exec_lo, exec_lo, s1
	v_cmp_gt_u32_e64 s1, 4, v98
	v_mov_b32_e32 v2, 0xff7fffff
	s_waitcnt lgkmcnt(0)
	s_barrier
	buffer_gl0_inv
	s_and_saveexec_b32 s2, s1
; %bb.11:
	ds_read_b32 v2, v0 offset:384
; %bb.12:
	s_or_b32 exec_lo, exec_lo, s2
	s_waitcnt lgkmcnt(0)
	ds_bpermute_b32 v5, v40, v2
	v_max_f32_e32 v2, v2, v2
	s_lshl_b32 s2, s12, 5
	s_min_i32 s4, s2, s11
	v_cmp_gt_i32_e64 s2, s4, v47
	s_waitcnt lgkmcnt(0)
	v_max_f32_e32 v5, v5, v5
	v_max_f32_e32 v2, v2, v5
	ds_bpermute_b32 v5, v46, v2
	s_waitcnt lgkmcnt(0)
	v_max_f32_e32 v5, v5, v5
	v_max_f32_e32 v2, v2, v5
	v_mov_b32_e32 v5, 0
	ds_bpermute_b32 v6, v5, v2
	v_lshl_add_u32 v2, v47, 2, 0x1a0
	s_and_saveexec_b32 s5, s2
	s_cbranch_execz .LBB48_16
; %bb.13:
	v_lshl_add_u32 v7, v47, 2, 0x1a0
	v_mov_b32_e32 v5, 0
	v_mov_b32_e32 v8, v47
	s_mov_b32 s15, 0
	.p2align	6
.LBB48_14:                              ; =>This Inner Loop Header: Depth=1
	ds_read_b32 v9, v7
	v_add_nc_u32_e32 v8, 0x80, v8
	v_cmp_le_i32_e64 s3, s4, v8
	s_or_b32 s15, s3, s15
	s_waitcnt lgkmcnt(0)
	v_sub_f32_e32 v9, v9, v6
	v_mul_f32_e32 v9, 0x3fb8aa3b, v9
	v_exp_f32_e32 v9, v9
	ds_write_b32 v7, v9
	v_add_f32_e32 v5, v5, v9
	v_add_nc_u32_e32 v7, 0x200, v7
	s_andn2_b32 exec_lo, exec_lo, s15
	s_cbranch_execnz .LBB48_14
; %bb.15:
	s_or_b32 exec_lo, exec_lo, s15
.LBB48_16:
	s_or_b32 exec_lo, exec_lo, s5
	ds_bpermute_b32 v1, v1, v5
	s_waitcnt lgkmcnt(0)
	v_add_f32_e32 v1, v5, v1
	ds_bpermute_b32 v3, v3, v1
	s_waitcnt lgkmcnt(0)
	v_add_f32_e32 v1, v1, v3
	;; [unrolled: 3-line block ×5, first 2 shown]
	s_and_saveexec_b32 s3, vcc_lo
; %bb.17:
	ds_write_b32 v4, v1 offset:400
; %bb.18:
	s_or_b32 exec_lo, exec_lo, s3
	s_waitcnt lgkmcnt(0)
	s_barrier
	buffer_gl0_inv
	s_and_saveexec_b32 s3, s1
; %bb.19:
	ds_read_b32 v1, v0 offset:400
; %bb.20:
	s_or_b32 exec_lo, exec_lo, s3
	s_waitcnt lgkmcnt(0)
	ds_bpermute_b32 v0, v40, v1
	s_waitcnt lgkmcnt(0)
	v_add_f32_e32 v0, v1, v0
	ds_bpermute_b32 v1, v46, v0
	s_waitcnt lgkmcnt(0)
	v_add_f32_e32 v0, v0, v1
	v_mov_b32_e32 v1, 0
	ds_bpermute_b32 v0, v1, v0
	s_and_saveexec_b32 s1, s2
	s_cbranch_execz .LBB48_23
; %bb.21:
	s_waitcnt lgkmcnt(0)
	v_add_f32_e32 v0, 0x358637bd, v0
	s_mov_b32 s2, 0
	v_div_scale_f32 v1, null, v0, v0, 1.0
	v_div_scale_f32 v5, vcc_lo, 1.0, v0, 1.0
	v_rcp_f32_e32 v3, v1
	v_fma_f32 v4, -v1, v3, 1.0
	v_fmac_f32_e32 v3, v4, v3
	v_mul_f32_e32 v4, v5, v3
	v_fma_f32 v6, -v1, v4, v5
	v_fmac_f32_e32 v4, v6, v3
	v_fma_f32 v1, -v1, v4, v5
	v_div_fmas_f32 v1, v1, v3, v4
	v_div_fixup_f32 v0, v1, v0, 1.0
	v_mov_b32_e32 v1, v47
.LBB48_22:                              ; =>This Inner Loop Header: Depth=1
	ds_read_b32 v3, v2
	v_add_nc_u32_e32 v1, 0x80, v1
	v_cmp_le_i32_e32 vcc_lo, s4, v1
	s_or_b32 s2, vcc_lo, s2
	s_waitcnt lgkmcnt(0)
	v_mul_f32_e32 v3, v0, v3
	ds_write_b32 v2, v3
	v_add_nc_u32_e32 v2, 0x200, v2
	s_andn2_b32 exec_lo, exec_lo, s2
	s_cbranch_execnz .LBB48_22
.LBB48_23:
	s_or_b32 exec_lo, exec_lo, s1
	v_mov_b32_e32 v5, 0
	v_and_b32_e32 v48, 7, v47
	v_mov_b32_e32 v113, 0
	v_mov_b32_e32 v19, 0
	;; [unrolled: 1-line block ×23, first 2 shown]
	s_waitcnt lgkmcnt(0)
	s_barrier
	buffer_gl0_inv
	s_and_saveexec_b32 s1, s0
	s_cbranch_execz .LBB48_75
; %bb.24:
	v_lshlrev_b32_e32 v0, 2, v47
	s_ashr_i32 s15, s14, 31
	v_and_b32_e32 v2, 0x1f0, v101
	s_lshl_b64 s[2:3], s[14:15], 2
	v_lshlrev_b32_e32 v3, 5, v109
	v_and_b32_e32 v0, 28, v0
	s_add_u32 s0, s22, s2
	s_addc_u32 s3, s23, s3
	v_add_co_u32 v2, s0, s0, v2
	v_or3_b32 v105, v3, v0, 3
	v_and_b32_e32 v0, 0x7c, v102
	s_lshl_b64 s[4:5], s[20:21], 2
	s_add_i32 s2, s12, -1
	buffer_store_dword v33, off, s[28:31], 0 offset:44 ; 4-byte Folded Spill
	buffer_store_dword v40, off, s[28:31], 0 offset:40 ; 4-byte Folded Spill
	;; [unrolled: 1-line block ×6, first 2 shown]
	v_add_co_ci_u32_e64 v2, null, s3, 0, s0
	s_add_u32 s0, s18, s4
	v_lshlrev_b32_e32 v1, 4, v48
	v_add_co_u32 v101, s0, s0, v0
	v_mov_b32_e32 v0, 0
	s_addc_u32 s3, s19, s5
	v_lshl_or_b32 v1, v109, 7, v1
	v_mov_b32_e32 v41, 0
	v_add_co_ci_u32_e64 v102, null, s3, 0, s0
	buffer_store_dword v0, off, s[28:31], 0 ; 4-byte Folded Spill
	v_mov_b32_e32 v0, 0
	v_add_nc_u32_e32 v106, 0x1a0, v1
	v_mov_b32_e32 v115, 0
	v_mov_b32_e32 v116, 0
	;; [unrolled: 1-line block ×3, first 2 shown]
	buffer_store_dword v0, off, s[28:31], 0 offset:4 ; 4-byte Folded Spill
	v_mov_b32_e32 v118, 0
	v_mov_b32_e32 v119, 0
	;; [unrolled: 1-line block ×18, first 2 shown]
	s_mov_b32 s4, s13
	s_mov_b32 s3, 0
	buffer_store_dword v48, off, s[28:31], 0 offset:48 ; 4-byte Folded Spill
	buffer_store_dword v2, off, s[28:31], 0 offset:20 ; 4-byte Folded Spill
	;; [unrolled: 1-line block ×3, first 2 shown]
	s_branch .LBB48_26
.LBB48_25:                              ;   in Loop: Header=BB48_26 Depth=1
	s_or_b32 exec_lo, exec_lo, s0
	s_waitcnt vmcnt(14) lgkmcnt(0)
	v_mul_f32_e32 v41, v1, v41
	s_waitcnt vmcnt(1)
	v_mul_f32_e32 v97, v1, v97
	v_mul_f32_e32 v93, v1, v93
	;; [unrolled: 1-line block ×4, first 2 shown]
	v_fmac_f32_e32 v41, v2, v42
	v_fmac_f32_e32 v97, v2, v98
	buffer_load_dword v98, off, s[28:31], 0 ; 4-byte Folded Reload
	v_fmac_f32_e32 v93, v2, v94
	buffer_load_dword v94, off, s[28:31], 0 offset:4 ; 4-byte Folded Reload
	v_fmac_f32_e32 v41, v3, v43
	v_fmac_f32_e32 v5, v2, v6
	buffer_load_dword v6, off, s[28:31], 0 offset:12 ; 4-byte Folded Reload
	v_mul_f32_e32 v85, v1, v85
	v_mul_f32_e32 v81, v1, v81
	v_fmac_f32_e32 v41, v4, v44
	v_mul_f32_e32 v77, v1, v77
	v_mul_f32_e32 v73, v1, v73
	;; [unrolled: 1-line block ×4, first 2 shown]
	v_add_f32_e32 v126, v126, v41
	buffer_load_dword v41, off, s[28:31], 0 offset:8 ; 4-byte Folded Reload
	v_mul_f32_e32 v57, v1, v57
	v_mul_f32_e32 v53, v1, v53
	v_mul_f32_e32 v49, v1, v49
	v_mul_f32_e32 v45, v1, v45
	v_mul_f32_e32 v37, v1, v37
	v_mul_f32_e32 v33, v1, v33
	v_mul_f32_e32 v29, v1, v29
	v_mul_f32_e32 v25, v1, v25
	v_mul_f32_e32 v21, v1, v21
	v_mul_f32_e32 v17, v1, v17
	v_mul_f32_e32 v13, v1, v13
	v_mul_f32_e32 v9, v1, v9
	s_waitcnt vmcnt(4)
	v_mul_f32_e32 v1, v1, v69
	v_fmac_f32_e32 v89, v2, v90
	v_fmac_f32_e32 v85, v2, v86
	;; [unrolled: 1-line block ×43, first 2 shown]
	v_add_nc_u32_e32 v109, 4, v109
	v_fmac_f32_e32 v97, v4, v100
	v_fmac_f32_e32 v93, v4, v96
	;; [unrolled: 1-line block ×23, first 2 shown]
	v_add_co_u32 v101, vcc_lo, v101, 16
	v_add_co_ci_u32_e64 v102, null, 0, v102, vcc_lo
	v_cmp_le_i32_e32 vcc_lo, s12, v109
	v_add_f32_e32 v115, v115, v89
	v_add_f32_e32 v116, v116, v85
	;; [unrolled: 1-line block ×19, first 2 shown]
	v_add_nc_u32_e32 v105, 0x80, v105
	v_add_nc_u32_e32 v106, 0x200, v106
	s_or_b32 s3, vcc_lo, s3
	s_waitcnt vmcnt(3)
	v_add_f32_e32 v98, v98, v97
	s_waitcnt vmcnt(2)
	v_add_f32_e32 v94, v94, v93
	;; [unrolled: 2-line block ×3, first 2 shown]
	buffer_store_dword v98, off, s[28:31], 0 ; 4-byte Folded Spill
	buffer_store_dword v94, off, s[28:31], 0 offset:4 ; 4-byte Folded Spill
	s_waitcnt vmcnt(0)
	v_add_f32_e32 v41, v41, v1
	s_andn2_b32 exec_lo, exec_lo, s3
	s_cbranch_execz .LBB48_74
.LBB48_26:                              ; =>This Inner Loop Header: Depth=1
	buffer_store_dword v5, off, s[28:31], 0 offset:12 ; 4-byte Folded Spill
	buffer_store_dword v41, off, s[28:31], 0 offset:8 ; 4-byte Folded Spill
	global_load_dword v1, v[101:102], off
	buffer_load_dword v3, off, s[28:31], 0 offset:16 ; 4-byte Folded Reload
	v_add_nc_u32_e32 v110, -3, v105
	v_add_nc_u32_e32 v112, -2, v105
	;; [unrolled: 1-line block ×3, first 2 shown]
	s_waitcnt vmcnt(1)
	v_mad_i64_i32 v[1:2], null, v1, s4, 0
	v_lshlrev_b64 v[1:2], 2, v[1:2]
	s_waitcnt vmcnt(0)
	v_add_co_u32 v69, vcc_lo, v3, v1
	buffer_load_dword v1, off, s[28:31], 0 offset:20 ; 4-byte Folded Reload
	s_waitcnt vmcnt(0)
	v_add_co_ci_u32_e64 v70, null, v1, v2, vcc_lo
	ds_read_b128 v[1:4], v106
	v_cmp_eq_u32_e32 vcc_lo, s2, v109
	global_load_dwordx4 v[5:8], v[69:70], off
	s_and_saveexec_b32 s5, vcc_lo
	s_cbranch_execnz .LBB48_55
; %bb.27:                               ;   in Loop: Header=BB48_26 Depth=1
	s_or_b32 exec_lo, exec_lo, s5
	global_load_dwordx4 v[9:12], v[69:70], off offset:512
	s_and_saveexec_b32 s5, vcc_lo
	s_cbranch_execnz .LBB48_56
.LBB48_28:                              ;   in Loop: Header=BB48_26 Depth=1
	s_or_b32 exec_lo, exec_lo, s5
	global_load_dwordx4 v[13:16], v[69:70], off offset:1024
	s_and_saveexec_b32 s5, vcc_lo
	s_cbranch_execnz .LBB48_57
.LBB48_29:                              ;   in Loop: Header=BB48_26 Depth=1
	s_or_b32 exec_lo, exec_lo, s5
	global_load_dwordx4 v[17:20], v[69:70], off offset:1536
	s_and_saveexec_b32 s5, vcc_lo
	s_cbranch_execz .LBB48_31
.LBB48_30:                              ;   in Loop: Header=BB48_26 Depth=1
	v_cmp_gt_i32_e64 s0, s11, v110
	s_waitcnt vmcnt(0)
	v_cndmask_b32_e64 v17, 0, v17, s0
	v_cmp_gt_i32_e64 s0, s11, v112
	v_cndmask_b32_e64 v18, 0, v18, s0
	v_cmp_gt_i32_e64 s0, s11, v111
	;; [unrolled: 2-line block ×3, first 2 shown]
	v_cndmask_b32_e64 v20, 0, v20, s0
.LBB48_31:                              ;   in Loop: Header=BB48_26 Depth=1
	s_or_b32 exec_lo, exec_lo, s5
	v_add_co_u32 v33, s0, 0x800, v69
	v_add_co_ci_u32_e64 v34, null, 0, v70, s0
	global_load_dwordx4 v[21:24], v[33:34], off
	s_and_saveexec_b32 s5, vcc_lo
	s_cbranch_execnz .LBB48_58
; %bb.32:                               ;   in Loop: Header=BB48_26 Depth=1
	s_or_b32 exec_lo, exec_lo, s5
	global_load_dwordx4 v[25:28], v[33:34], off offset:512
	s_and_saveexec_b32 s5, vcc_lo
	s_cbranch_execnz .LBB48_59
.LBB48_33:                              ;   in Loop: Header=BB48_26 Depth=1
	s_or_b32 exec_lo, exec_lo, s5
	global_load_dwordx4 v[29:32], v[33:34], off offset:1024
	s_and_saveexec_b32 s5, vcc_lo
	s_cbranch_execnz .LBB48_60
.LBB48_34:                              ;   in Loop: Header=BB48_26 Depth=1
	s_or_b32 exec_lo, exec_lo, s5
	global_load_dwordx4 v[33:36], v[33:34], off offset:1536
	s_and_saveexec_b32 s5, vcc_lo
	s_cbranch_execz .LBB48_36
.LBB48_35:                              ;   in Loop: Header=BB48_26 Depth=1
	v_cmp_gt_i32_e64 s0, s11, v110
	s_waitcnt vmcnt(0)
	v_cndmask_b32_e64 v33, 0, v33, s0
	v_cmp_gt_i32_e64 s0, s11, v112
	v_cndmask_b32_e64 v34, 0, v34, s0
	v_cmp_gt_i32_e64 s0, s11, v111
	;; [unrolled: 2-line block ×3, first 2 shown]
	v_cndmask_b32_e64 v36, 0, v36, s0
.LBB48_36:                              ;   in Loop: Header=BB48_26 Depth=1
	s_or_b32 exec_lo, exec_lo, s5
	v_add_co_u32 v49, s0, 0x1000, v69
	v_add_co_ci_u32_e64 v50, null, 0, v70, s0
	global_load_dwordx4 v[37:40], v[49:50], off
	s_and_saveexec_b32 s5, vcc_lo
	s_cbranch_execnz .LBB48_61
; %bb.37:                               ;   in Loop: Header=BB48_26 Depth=1
	s_or_b32 exec_lo, exec_lo, s5
	global_load_dwordx4 v[41:44], v[49:50], off offset:512
	s_and_saveexec_b32 s5, vcc_lo
	s_cbranch_execnz .LBB48_62
.LBB48_38:                              ;   in Loop: Header=BB48_26 Depth=1
	s_or_b32 exec_lo, exec_lo, s5
	global_load_dwordx4 v[45:48], v[49:50], off offset:1024
	s_and_saveexec_b32 s5, vcc_lo
	s_cbranch_execnz .LBB48_63
.LBB48_39:                              ;   in Loop: Header=BB48_26 Depth=1
	s_or_b32 exec_lo, exec_lo, s5
	global_load_dwordx4 v[49:52], v[49:50], off offset:1536
	s_and_saveexec_b32 s5, vcc_lo
	s_cbranch_execz .LBB48_41
.LBB48_40:                              ;   in Loop: Header=BB48_26 Depth=1
	v_cmp_gt_i32_e64 s0, s11, v110
	s_waitcnt vmcnt(0)
	v_cndmask_b32_e64 v49, 0, v49, s0
	v_cmp_gt_i32_e64 s0, s11, v112
	v_cndmask_b32_e64 v50, 0, v50, s0
	v_cmp_gt_i32_e64 s0, s11, v111
	;; [unrolled: 2-line block ×3, first 2 shown]
	v_cndmask_b32_e64 v52, 0, v52, s0
.LBB48_41:                              ;   in Loop: Header=BB48_26 Depth=1
	s_or_b32 exec_lo, exec_lo, s5
	v_add_co_u32 v65, s0, 0x1800, v69
	v_add_co_ci_u32_e64 v66, null, 0, v70, s0
	global_load_dwordx4 v[53:56], v[65:66], off
	s_and_saveexec_b32 s5, vcc_lo
	s_cbranch_execnz .LBB48_64
; %bb.42:                               ;   in Loop: Header=BB48_26 Depth=1
	s_or_b32 exec_lo, exec_lo, s5
	global_load_dwordx4 v[57:60], v[65:66], off offset:512
	s_and_saveexec_b32 s5, vcc_lo
	s_cbranch_execnz .LBB48_65
.LBB48_43:                              ;   in Loop: Header=BB48_26 Depth=1
	s_or_b32 exec_lo, exec_lo, s5
	global_load_dwordx4 v[61:64], v[65:66], off offset:1024
	s_and_saveexec_b32 s5, vcc_lo
	s_cbranch_execnz .LBB48_66
.LBB48_44:                              ;   in Loop: Header=BB48_26 Depth=1
	s_or_b32 exec_lo, exec_lo, s5
	global_load_dwordx4 v[65:68], v[65:66], off offset:1536
	s_and_saveexec_b32 s5, vcc_lo
	s_cbranch_execz .LBB48_46
.LBB48_45:                              ;   in Loop: Header=BB48_26 Depth=1
	v_cmp_gt_i32_e64 s0, s11, v110
	s_waitcnt vmcnt(0)
	v_cndmask_b32_e64 v65, 0, v65, s0
	v_cmp_gt_i32_e64 s0, s11, v112
	v_cndmask_b32_e64 v66, 0, v66, s0
	v_cmp_gt_i32_e64 s0, s11, v111
	;; [unrolled: 2-line block ×3, first 2 shown]
	v_cndmask_b32_e64 v68, 0, v68, s0
.LBB48_46:                              ;   in Loop: Header=BB48_26 Depth=1
	s_or_b32 exec_lo, exec_lo, s5
	v_add_co_u32 v71, s0, 0x2000, v69
	v_add_co_ci_u32_e64 v72, null, 0, v70, s0
	global_load_dwordx4 v[73:76], v[71:72], off
	s_and_saveexec_b32 s5, vcc_lo
	s_cbranch_execnz .LBB48_67
; %bb.47:                               ;   in Loop: Header=BB48_26 Depth=1
	s_or_b32 exec_lo, exec_lo, s5
	global_load_dwordx4 v[77:80], v[71:72], off offset:512
	s_and_saveexec_b32 s5, vcc_lo
	s_cbranch_execnz .LBB48_68
.LBB48_48:                              ;   in Loop: Header=BB48_26 Depth=1
	s_or_b32 exec_lo, exec_lo, s5
	global_load_dwordx4 v[81:84], v[71:72], off offset:1024
	s_and_saveexec_b32 s5, vcc_lo
	s_cbranch_execnz .LBB48_69
.LBB48_49:                              ;   in Loop: Header=BB48_26 Depth=1
	s_or_b32 exec_lo, exec_lo, s5
	global_load_dwordx4 v[85:88], v[71:72], off offset:1536
	s_and_saveexec_b32 s5, vcc_lo
	s_cbranch_execz .LBB48_51
.LBB48_50:                              ;   in Loop: Header=BB48_26 Depth=1
	v_cmp_gt_i32_e64 s0, s11, v110
	s_waitcnt vmcnt(0)
	v_cndmask_b32_e64 v85, 0, v85, s0
	v_cmp_gt_i32_e64 s0, s11, v112
	v_cndmask_b32_e64 v86, 0, v86, s0
	v_cmp_gt_i32_e64 s0, s11, v111
	v_cndmask_b32_e64 v87, 0, v87, s0
	v_cmp_gt_i32_e64 s0, s11, v105
	v_cndmask_b32_e64 v88, 0, v88, s0
.LBB48_51:                              ;   in Loop: Header=BB48_26 Depth=1
	s_or_b32 exec_lo, exec_lo, s5
	v_add_co_u32 v69, s0, 0x2800, v69
	v_add_co_ci_u32_e64 v70, null, 0, v70, s0
	global_load_dwordx4 v[89:92], v[69:70], off
	s_and_saveexec_b32 s5, vcc_lo
	s_cbranch_execnz .LBB48_70
; %bb.52:                               ;   in Loop: Header=BB48_26 Depth=1
	s_or_b32 exec_lo, exec_lo, s5
	global_load_dwordx4 v[93:96], v[69:70], off offset:512
	s_and_saveexec_b32 s5, vcc_lo
	s_cbranch_execnz .LBB48_71
.LBB48_53:                              ;   in Loop: Header=BB48_26 Depth=1
	s_or_b32 exec_lo, exec_lo, s5
	global_load_dwordx4 v[97:100], v[69:70], off offset:1024
	s_and_saveexec_b32 s5, vcc_lo
	s_cbranch_execnz .LBB48_72
.LBB48_54:                              ;   in Loop: Header=BB48_26 Depth=1
	s_or_b32 exec_lo, exec_lo, s5
	global_load_dwordx4 v[69:72], v[69:70], off offset:1536
	s_and_saveexec_b32 s0, vcc_lo
	s_cbranch_execz .LBB48_25
	s_branch .LBB48_73
.LBB48_55:                              ;   in Loop: Header=BB48_26 Depth=1
	v_cmp_gt_i32_e64 s0, s11, v110
	s_waitcnt vmcnt(0)
	v_cndmask_b32_e64 v5, 0, v5, s0
	v_cmp_gt_i32_e64 s0, s11, v112
	v_cndmask_b32_e64 v6, 0, v6, s0
	v_cmp_gt_i32_e64 s0, s11, v111
	;; [unrolled: 2-line block ×3, first 2 shown]
	v_cndmask_b32_e64 v8, 0, v8, s0
	s_or_b32 exec_lo, exec_lo, s5
	global_load_dwordx4 v[9:12], v[69:70], off offset:512
	s_and_saveexec_b32 s5, vcc_lo
	s_cbranch_execz .LBB48_28
.LBB48_56:                              ;   in Loop: Header=BB48_26 Depth=1
	v_cmp_gt_i32_e64 s0, s11, v110
	s_waitcnt vmcnt(0)
	v_cndmask_b32_e64 v9, 0, v9, s0
	v_cmp_gt_i32_e64 s0, s11, v112
	v_cndmask_b32_e64 v10, 0, v10, s0
	v_cmp_gt_i32_e64 s0, s11, v111
	;; [unrolled: 2-line block ×3, first 2 shown]
	v_cndmask_b32_e64 v12, 0, v12, s0
	s_or_b32 exec_lo, exec_lo, s5
	global_load_dwordx4 v[13:16], v[69:70], off offset:1024
	s_and_saveexec_b32 s5, vcc_lo
	s_cbranch_execz .LBB48_29
.LBB48_57:                              ;   in Loop: Header=BB48_26 Depth=1
	v_cmp_gt_i32_e64 s0, s11, v110
	s_waitcnt vmcnt(0)
	v_cndmask_b32_e64 v13, 0, v13, s0
	v_cmp_gt_i32_e64 s0, s11, v112
	v_cndmask_b32_e64 v14, 0, v14, s0
	v_cmp_gt_i32_e64 s0, s11, v111
	;; [unrolled: 2-line block ×3, first 2 shown]
	v_cndmask_b32_e64 v16, 0, v16, s0
	s_or_b32 exec_lo, exec_lo, s5
	global_load_dwordx4 v[17:20], v[69:70], off offset:1536
	s_and_saveexec_b32 s5, vcc_lo
	s_cbranch_execnz .LBB48_30
	s_branch .LBB48_31
.LBB48_58:                              ;   in Loop: Header=BB48_26 Depth=1
	v_cmp_gt_i32_e64 s0, s11, v110
	s_waitcnt vmcnt(0)
	v_cndmask_b32_e64 v21, 0, v21, s0
	v_cmp_gt_i32_e64 s0, s11, v112
	v_cndmask_b32_e64 v22, 0, v22, s0
	v_cmp_gt_i32_e64 s0, s11, v111
	;; [unrolled: 2-line block ×3, first 2 shown]
	v_cndmask_b32_e64 v24, 0, v24, s0
	s_or_b32 exec_lo, exec_lo, s5
	global_load_dwordx4 v[25:28], v[33:34], off offset:512
	s_and_saveexec_b32 s5, vcc_lo
	s_cbranch_execz .LBB48_33
.LBB48_59:                              ;   in Loop: Header=BB48_26 Depth=1
	v_cmp_gt_i32_e64 s0, s11, v110
	s_waitcnt vmcnt(0)
	v_cndmask_b32_e64 v25, 0, v25, s0
	v_cmp_gt_i32_e64 s0, s11, v112
	v_cndmask_b32_e64 v26, 0, v26, s0
	v_cmp_gt_i32_e64 s0, s11, v111
	;; [unrolled: 2-line block ×3, first 2 shown]
	v_cndmask_b32_e64 v28, 0, v28, s0
	s_or_b32 exec_lo, exec_lo, s5
	global_load_dwordx4 v[29:32], v[33:34], off offset:1024
	s_and_saveexec_b32 s5, vcc_lo
	s_cbranch_execz .LBB48_34
.LBB48_60:                              ;   in Loop: Header=BB48_26 Depth=1
	v_cmp_gt_i32_e64 s0, s11, v110
	s_waitcnt vmcnt(0)
	v_cndmask_b32_e64 v29, 0, v29, s0
	v_cmp_gt_i32_e64 s0, s11, v112
	v_cndmask_b32_e64 v30, 0, v30, s0
	v_cmp_gt_i32_e64 s0, s11, v111
	v_cndmask_b32_e64 v31, 0, v31, s0
	v_cmp_gt_i32_e64 s0, s11, v105
	v_cndmask_b32_e64 v32, 0, v32, s0
	s_or_b32 exec_lo, exec_lo, s5
	global_load_dwordx4 v[33:36], v[33:34], off offset:1536
	s_and_saveexec_b32 s5, vcc_lo
	s_cbranch_execnz .LBB48_35
	s_branch .LBB48_36
.LBB48_61:                              ;   in Loop: Header=BB48_26 Depth=1
	v_cmp_gt_i32_e64 s0, s11, v110
	s_waitcnt vmcnt(0)
	v_cndmask_b32_e64 v37, 0, v37, s0
	v_cmp_gt_i32_e64 s0, s11, v112
	v_cndmask_b32_e64 v38, 0, v38, s0
	v_cmp_gt_i32_e64 s0, s11, v111
	;; [unrolled: 2-line block ×3, first 2 shown]
	v_cndmask_b32_e64 v40, 0, v40, s0
	s_or_b32 exec_lo, exec_lo, s5
	global_load_dwordx4 v[41:44], v[49:50], off offset:512
	s_and_saveexec_b32 s5, vcc_lo
	s_cbranch_execz .LBB48_38
.LBB48_62:                              ;   in Loop: Header=BB48_26 Depth=1
	v_cmp_gt_i32_e64 s0, s11, v110
	s_waitcnt vmcnt(0)
	v_cndmask_b32_e64 v41, 0, v41, s0
	v_cmp_gt_i32_e64 s0, s11, v112
	v_cndmask_b32_e64 v42, 0, v42, s0
	v_cmp_gt_i32_e64 s0, s11, v111
	;; [unrolled: 2-line block ×3, first 2 shown]
	v_cndmask_b32_e64 v44, 0, v44, s0
	s_or_b32 exec_lo, exec_lo, s5
	global_load_dwordx4 v[45:48], v[49:50], off offset:1024
	s_and_saveexec_b32 s5, vcc_lo
	s_cbranch_execz .LBB48_39
.LBB48_63:                              ;   in Loop: Header=BB48_26 Depth=1
	v_cmp_gt_i32_e64 s0, s11, v110
	s_waitcnt vmcnt(0)
	v_cndmask_b32_e64 v45, 0, v45, s0
	v_cmp_gt_i32_e64 s0, s11, v112
	v_cndmask_b32_e64 v46, 0, v46, s0
	v_cmp_gt_i32_e64 s0, s11, v111
	;; [unrolled: 2-line block ×3, first 2 shown]
	v_cndmask_b32_e64 v48, 0, v48, s0
	s_or_b32 exec_lo, exec_lo, s5
	global_load_dwordx4 v[49:52], v[49:50], off offset:1536
	s_and_saveexec_b32 s5, vcc_lo
	s_cbranch_execnz .LBB48_40
	s_branch .LBB48_41
.LBB48_64:                              ;   in Loop: Header=BB48_26 Depth=1
	v_cmp_gt_i32_e64 s0, s11, v110
	s_waitcnt vmcnt(0)
	v_cndmask_b32_e64 v53, 0, v53, s0
	v_cmp_gt_i32_e64 s0, s11, v112
	v_cndmask_b32_e64 v54, 0, v54, s0
	v_cmp_gt_i32_e64 s0, s11, v111
	;; [unrolled: 2-line block ×3, first 2 shown]
	v_cndmask_b32_e64 v56, 0, v56, s0
	s_or_b32 exec_lo, exec_lo, s5
	global_load_dwordx4 v[57:60], v[65:66], off offset:512
	s_and_saveexec_b32 s5, vcc_lo
	s_cbranch_execz .LBB48_43
.LBB48_65:                              ;   in Loop: Header=BB48_26 Depth=1
	v_cmp_gt_i32_e64 s0, s11, v110
	s_waitcnt vmcnt(0)
	v_cndmask_b32_e64 v57, 0, v57, s0
	v_cmp_gt_i32_e64 s0, s11, v112
	v_cndmask_b32_e64 v58, 0, v58, s0
	v_cmp_gt_i32_e64 s0, s11, v111
	;; [unrolled: 2-line block ×3, first 2 shown]
	v_cndmask_b32_e64 v60, 0, v60, s0
	s_or_b32 exec_lo, exec_lo, s5
	global_load_dwordx4 v[61:64], v[65:66], off offset:1024
	s_and_saveexec_b32 s5, vcc_lo
	s_cbranch_execz .LBB48_44
.LBB48_66:                              ;   in Loop: Header=BB48_26 Depth=1
	v_cmp_gt_i32_e64 s0, s11, v110
	s_waitcnt vmcnt(0)
	v_cndmask_b32_e64 v61, 0, v61, s0
	v_cmp_gt_i32_e64 s0, s11, v112
	v_cndmask_b32_e64 v62, 0, v62, s0
	v_cmp_gt_i32_e64 s0, s11, v111
	;; [unrolled: 2-line block ×3, first 2 shown]
	v_cndmask_b32_e64 v64, 0, v64, s0
	s_or_b32 exec_lo, exec_lo, s5
	global_load_dwordx4 v[65:68], v[65:66], off offset:1536
	s_and_saveexec_b32 s5, vcc_lo
	s_cbranch_execnz .LBB48_45
	s_branch .LBB48_46
.LBB48_67:                              ;   in Loop: Header=BB48_26 Depth=1
	v_cmp_gt_i32_e64 s0, s11, v110
	s_waitcnt vmcnt(0)
	v_cndmask_b32_e64 v73, 0, v73, s0
	v_cmp_gt_i32_e64 s0, s11, v112
	v_cndmask_b32_e64 v74, 0, v74, s0
	v_cmp_gt_i32_e64 s0, s11, v111
	;; [unrolled: 2-line block ×3, first 2 shown]
	v_cndmask_b32_e64 v76, 0, v76, s0
	s_or_b32 exec_lo, exec_lo, s5
	global_load_dwordx4 v[77:80], v[71:72], off offset:512
	s_and_saveexec_b32 s5, vcc_lo
	s_cbranch_execz .LBB48_48
.LBB48_68:                              ;   in Loop: Header=BB48_26 Depth=1
	v_cmp_gt_i32_e64 s0, s11, v110
	s_waitcnt vmcnt(0)
	v_cndmask_b32_e64 v77, 0, v77, s0
	v_cmp_gt_i32_e64 s0, s11, v112
	v_cndmask_b32_e64 v78, 0, v78, s0
	v_cmp_gt_i32_e64 s0, s11, v111
	;; [unrolled: 2-line block ×3, first 2 shown]
	v_cndmask_b32_e64 v80, 0, v80, s0
	s_or_b32 exec_lo, exec_lo, s5
	global_load_dwordx4 v[81:84], v[71:72], off offset:1024
	s_and_saveexec_b32 s5, vcc_lo
	s_cbranch_execz .LBB48_49
.LBB48_69:                              ;   in Loop: Header=BB48_26 Depth=1
	v_cmp_gt_i32_e64 s0, s11, v110
	s_waitcnt vmcnt(0)
	v_cndmask_b32_e64 v81, 0, v81, s0
	v_cmp_gt_i32_e64 s0, s11, v112
	v_cndmask_b32_e64 v82, 0, v82, s0
	v_cmp_gt_i32_e64 s0, s11, v111
	;; [unrolled: 2-line block ×3, first 2 shown]
	v_cndmask_b32_e64 v84, 0, v84, s0
	s_or_b32 exec_lo, exec_lo, s5
	global_load_dwordx4 v[85:88], v[71:72], off offset:1536
	s_and_saveexec_b32 s5, vcc_lo
	s_cbranch_execnz .LBB48_50
	s_branch .LBB48_51
.LBB48_70:                              ;   in Loop: Header=BB48_26 Depth=1
	v_cmp_gt_i32_e64 s0, s11, v110
	s_waitcnt vmcnt(0)
	v_cndmask_b32_e64 v89, 0, v89, s0
	v_cmp_gt_i32_e64 s0, s11, v112
	v_cndmask_b32_e64 v90, 0, v90, s0
	v_cmp_gt_i32_e64 s0, s11, v111
	;; [unrolled: 2-line block ×3, first 2 shown]
	v_cndmask_b32_e64 v92, 0, v92, s0
	s_or_b32 exec_lo, exec_lo, s5
	global_load_dwordx4 v[93:96], v[69:70], off offset:512
	s_and_saveexec_b32 s5, vcc_lo
	s_cbranch_execz .LBB48_53
.LBB48_71:                              ;   in Loop: Header=BB48_26 Depth=1
	v_cmp_gt_i32_e64 s0, s11, v110
	s_waitcnt vmcnt(0)
	v_cndmask_b32_e64 v93, 0, v93, s0
	v_cmp_gt_i32_e64 s0, s11, v112
	v_cndmask_b32_e64 v94, 0, v94, s0
	v_cmp_gt_i32_e64 s0, s11, v111
	;; [unrolled: 2-line block ×3, first 2 shown]
	v_cndmask_b32_e64 v96, 0, v96, s0
	s_or_b32 exec_lo, exec_lo, s5
	global_load_dwordx4 v[97:100], v[69:70], off offset:1024
	s_and_saveexec_b32 s5, vcc_lo
	s_cbranch_execz .LBB48_54
.LBB48_72:                              ;   in Loop: Header=BB48_26 Depth=1
	v_cmp_gt_i32_e64 s0, s11, v110
	s_waitcnt vmcnt(0)
	v_cndmask_b32_e64 v97, 0, v97, s0
	v_cmp_gt_i32_e64 s0, s11, v112
	v_cndmask_b32_e64 v98, 0, v98, s0
	v_cmp_gt_i32_e64 s0, s11, v111
	;; [unrolled: 2-line block ×3, first 2 shown]
	v_cndmask_b32_e64 v100, 0, v100, s0
	s_or_b32 exec_lo, exec_lo, s5
	global_load_dwordx4 v[69:72], v[69:70], off offset:1536
	s_and_saveexec_b32 s0, vcc_lo
	s_cbranch_execz .LBB48_25
.LBB48_73:                              ;   in Loop: Header=BB48_26 Depth=1
	v_cmp_gt_i32_e32 vcc_lo, s11, v110
	s_waitcnt vmcnt(0)
	v_cndmask_b32_e32 v69, 0, v69, vcc_lo
	v_cmp_gt_i32_e32 vcc_lo, s11, v112
	v_cndmask_b32_e32 v70, 0, v70, vcc_lo
	v_cmp_gt_i32_e32 vcc_lo, s11, v111
	;; [unrolled: 2-line block ×3, first 2 shown]
	v_cndmask_b32_e32 v72, 0, v72, vcc_lo
	s_branch .LBB48_25
.LBB48_74:
	s_or_b32 exec_lo, exec_lo, s3
	s_clause 0x8
	buffer_load_dword v47, off, s[28:31], 0 offset:24
	buffer_load_dword v109, off, s[28:31], 0 offset:28
	;; [unrolled: 1-line block ×7, first 2 shown]
	buffer_load_dword v42, off, s[28:31], 0
	buffer_load_dword v39, off, s[28:31], 0 offset:4
	v_mov_b32_e32 v19, v0
.LBB48_75:
	s_or_b32 exec_lo, exec_lo, s1
	s_waitcnt vmcnt(3)
	ds_bpermute_b32 v1, v33, v5
	ds_bpermute_b32 v2, v33, v113
	;; [unrolled: 1-line block ×4, first 2 shown]
	v_mov_b32_e32 v0, v5
	ds_bpermute_b32 v11, v33, v125
	ds_bpermute_b32 v5, v33, v107
	;; [unrolled: 1-line block ×15, first 2 shown]
	s_waitcnt lgkmcnt(18)
	v_add_f32_e32 v1, v0, v1
	s_waitcnt lgkmcnt(17)
	v_add_f32_e32 v0, v113, v2
	;; [unrolled: 2-line block ×4, first 2 shown]
	ds_bpermute_b32 v4, v33, v118
	ds_bpermute_b32 v18, v40, v1
	;; [unrolled: 1-line block ×5, first 2 shown]
	s_waitcnt lgkmcnt(19)
	v_add_f32_e32 v11, v125, v11
	s_waitcnt lgkmcnt(18)
	v_add_f32_e32 v5, v107, v5
	;; [unrolled: 2-line block ×3, first 2 shown]
	ds_bpermute_b32 v31, v33, v115
	s_waitcnt lgkmcnt(17)
	v_add_f32_e32 v13, v123, v13
	ds_bpermute_b32 v29, v40, v11
	s_waitcnt lgkmcnt(17)
	v_add_f32_e32 v14, v122, v14
	ds_bpermute_b32 v23, v40, v5
	ds_bpermute_b32 v32, v40, v12
	s_waitcnt lgkmcnt(18)
	v_add_f32_e32 v6, v103, v6
	s_waitcnt lgkmcnt(17)
	v_add_f32_e32 v7, v104, v7
	;; [unrolled: 2-line block ×5, first 2 shown]
	ds_bpermute_b32 v24, v40, v6
	s_waitcnt lgkmcnt(14)
	v_add_f32_e32 v15, v121, v15
	s_waitcnt lgkmcnt(8)
	v_add_f32_e32 v1, v1, v18
	;; [unrolled: 2-line block ×5, first 2 shown]
	v_add_f32_e32 v16, v120, v16
	ds_bpermute_b32 v0, v46, v1
	ds_bpermute_b32 v19, v46, v18
	;; [unrolled: 1-line block ×4, first 2 shown]
	s_waitcnt lgkmcnt(7)
	v_add_f32_e32 v11, v11, v29
	ds_bpermute_b32 v29, v40, v14
	v_add_f32_e32 v17, v119, v17
	v_add_f32_e32 v4, v118, v4
	;; [unrolled: 1-line block ×5, first 2 shown]
	ds_bpermute_b32 v25, v40, v7
	ds_bpermute_b32 v26, v40, v8
	;; [unrolled: 1-line block ×4, first 2 shown]
	s_waitcnt lgkmcnt(11)
	v_add_f32_e32 v5, v5, v23
	s_waitcnt lgkmcnt(10)
	v_add_f32_e32 v12, v12, v32
	ds_bpermute_b32 v32, v40, v15
	ds_bpermute_b32 v34, v40, v16
	;; [unrolled: 1-line block ×3, first 2 shown]
	s_waitcnt lgkmcnt(11)
	v_add_f32_e32 v0, v1, v0
	s_waitcnt lgkmcnt(10)
	v_add_f32_e32 v1, v18, v19
	;; [unrolled: 2-line block ×4, first 2 shown]
	s_waitcnt vmcnt(0)
	ds_bpermute_b32 v18, v33, v39
	ds_bpermute_b32 v20, v33, v42
	;; [unrolled: 1-line block ×7, first 2 shown]
	s_waitcnt lgkmcnt(14)
	v_add_f32_e32 v14, v14, v29
	ds_bpermute_b32 v23, v46, v5
	v_add_f32_e32 v6, v6, v24
	s_waitcnt lgkmcnt(14)
	v_add_f32_e32 v7, v7, v25
	s_waitcnt lgkmcnt(13)
	;; [unrolled: 2-line block ×4, first 2 shown]
	v_add_f32_e32 v10, v10, v28
	ds_bpermute_b32 v24, v46, v6
	s_waitcnt lgkmcnt(11)
	v_add_f32_e32 v15, v15, v32
	s_waitcnt lgkmcnt(10)
	v_add_f32_e32 v16, v16, v34
	;; [unrolled: 2-line block ×3, first 2 shown]
	ds_bpermute_b32 v25, v46, v7
	ds_bpermute_b32 v26, v46, v8
	s_waitcnt lgkmcnt(10)
	v_add_f32_e32 v18, v39, v18
	s_waitcnt lgkmcnt(9)
	v_add_f32_e32 v20, v42, v20
	;; [unrolled: 2-line block ×3, first 2 shown]
	ds_bpermute_b32 v39, v40, v31
	s_waitcnt lgkmcnt(8)
	v_add_f32_e32 v13, v13, v19
	ds_bpermute_b32 v19, v40, v18
	ds_bpermute_b32 v29, v40, v20
	;; [unrolled: 1-line block ×3, first 2 shown]
	s_waitcnt lgkmcnt(10)
	v_add_f32_e32 v36, v4, v36
	s_waitcnt lgkmcnt(9)
	v_add_f32_e32 v22, v22, v37
	;; [unrolled: 2-line block ×3, first 2 shown]
	ds_bpermute_b32 v27, v46, v9
	ds_bpermute_b32 v28, v46, v10
	;; [unrolled: 1-line block ×11, first 2 shown]
	s_waitcnt lgkmcnt(18)
	v_add_f32_e32 v4, v5, v23
	s_waitcnt lgkmcnt(14)
	v_add_f32_e32 v31, v31, v39
	ds_bpermute_b32 v39, v46, v22
	s_waitcnt lgkmcnt(14)
	v_add_f32_e32 v44, v18, v19
	s_waitcnt lgkmcnt(13)
	v_add_f32_e32 v29, v20, v29
	;; [unrolled: 2-line block ×3, first 2 shown]
	ds_bpermute_b32 v45, v46, v31
	v_add_f32_e32 v5, v6, v24
	ds_bpermute_b32 v21, v46, v44
	ds_bpermute_b32 v23, v46, v29
	ds_bpermute_b32 v46, v46, v40
	v_lshrrev_b32_e32 v24, 3, v98
	v_add_f32_e32 v6, v7, v25
	v_add_f32_e32 v7, v8, v26
	s_waitcnt lgkmcnt(15)
	v_add_f32_e32 v8, v9, v27
	s_waitcnt lgkmcnt(14)
	;; [unrolled: 2-line block ×11, first 2 shown]
	v_add_f32_e32 v18, v22, v39
	v_add_f32_e32 v19, v30, v43
	s_waitcnt lgkmcnt(3)
	v_add_f32_e32 v20, v31, v45
	v_and_b32_e32 v27, 0x3c7, v47
	s_waitcnt lgkmcnt(2)
	v_add_f32_e32 v21, v44, v21
	s_waitcnt lgkmcnt(1)
	v_add_f32_e32 v22, v29, v23
	;; [unrolled: 2-line block ×3, first 2 shown]
	v_lshl_add_u32 v25, v24, 2, 0x1a0
	v_mul_u32_u24_e32 v26, 0x180, v109
	s_mov_b32 s0, exec_lo
	s_waitcnt_vscnt null, 0x0
	s_barrier
	buffer_gl0_inv
	v_cmpx_eq_u32_e32 64, v27
	s_cbranch_execz .LBB48_77
; %bb.76:
	v_add_nc_u32_e32 v27, v25, v26
	v_add_nc_u32_e32 v28, 0xfffffd00, v27
	;; [unrolled: 1-line block ×7, first 2 shown]
	ds_write_b32 v28, v0
	ds_write_b32 v29, v1
	;; [unrolled: 1-line block ×4, first 2 shown]
	v_add_nc_u32_e32 v28, 0xfffffd60, v27
	v_add_nc_u32_e32 v29, 0xfffffd70, v27
	v_add_nc_u32_e32 v30, 0xfffffd80, v27
	ds_write_b32 v32, v4
	ds_write_b32 v33, v5
	ds_write_b32 v28, v6
	ds_write_b32 v29, v7
	ds_write_b32 v30, v8
	v_add_nc_u32_e32 v28, 0xfffffd90, v27
	v_add_nc_u32_e32 v29, 0xfffffda0, v27
	v_add_nc_u32_e32 v30, 0xfffffdb0, v27
	v_add_nc_u32_e32 v31, 0xfffffdc0, v27
	v_add_nc_u32_e32 v32, 0xfffffdd0, v27
	ds_write_b32 v28, v9
	ds_write_b32 v29, v10
	ds_write_b32 v30, v11
	ds_write_b32 v31, v12
	ds_write_b32 v32, v13
	v_add_nc_u32_e32 v28, 0xfffffde0, v27
	v_add_nc_u32_e32 v29, 0xfffffdf0, v27
	;; [unrolled: 10-line block ×3, first 2 shown]
	v_add_nc_u32_e32 v30, 0xfffffe50, v27
	v_add_nc_u32_e32 v31, 0xfffffe60, v27
	;; [unrolled: 1-line block ×3, first 2 shown]
	ds_write_b32 v28, v19
	ds_write_b32 v29, v20
	;; [unrolled: 1-line block ×5, first 2 shown]
.LBB48_77:
	s_or_b32 exec_lo, exec_lo, s0
	v_lshlrev_b32_e32 v24, 2, v24
	s_mov_b32 s1, exec_lo
	v_cmp_eq_u32_e32 vcc_lo, 0, v48
	s_waitcnt lgkmcnt(0)
	s_barrier
	v_add3_u32 v24, 0x1a0, v26, v24
	buffer_gl0_inv
	v_cmpx_gt_u32_e32 64, v47
	s_cbranch_execz .LBB48_104
; %bb.78:
	s_and_saveexec_b32 s0, vcc_lo
	s_cbranch_execnz .LBB48_136
; %bb.79:
	s_or_b32 exec_lo, exec_lo, s0
	s_and_saveexec_b32 s0, vcc_lo
	s_cbranch_execnz .LBB48_137
.LBB48_80:
	s_or_b32 exec_lo, exec_lo, s0
	s_and_saveexec_b32 s0, vcc_lo
	s_cbranch_execnz .LBB48_138
.LBB48_81:
	s_or_b32 exec_lo, exec_lo, s0
	s_and_saveexec_b32 s0, vcc_lo
	s_cbranch_execnz .LBB48_139
.LBB48_82:
	s_or_b32 exec_lo, exec_lo, s0
	s_and_saveexec_b32 s0, vcc_lo
	s_cbranch_execnz .LBB48_140
.LBB48_83:
	s_or_b32 exec_lo, exec_lo, s0
	s_and_saveexec_b32 s0, vcc_lo
	s_cbranch_execnz .LBB48_141
.LBB48_84:
	s_or_b32 exec_lo, exec_lo, s0
	s_and_saveexec_b32 s0, vcc_lo
	s_cbranch_execnz .LBB48_142
.LBB48_85:
	s_or_b32 exec_lo, exec_lo, s0
	s_and_saveexec_b32 s0, vcc_lo
	s_cbranch_execnz .LBB48_143
.LBB48_86:
	s_or_b32 exec_lo, exec_lo, s0
	s_and_saveexec_b32 s0, vcc_lo
	s_cbranch_execnz .LBB48_144
.LBB48_87:
	s_or_b32 exec_lo, exec_lo, s0
	s_and_saveexec_b32 s0, vcc_lo
	s_cbranch_execnz .LBB48_145
.LBB48_88:
	s_or_b32 exec_lo, exec_lo, s0
	s_and_saveexec_b32 s0, vcc_lo
	s_cbranch_execnz .LBB48_146
.LBB48_89:
	s_or_b32 exec_lo, exec_lo, s0
	s_and_saveexec_b32 s0, vcc_lo
	s_cbranch_execnz .LBB48_147
.LBB48_90:
	s_or_b32 exec_lo, exec_lo, s0
	s_and_saveexec_b32 s0, vcc_lo
	s_cbranch_execnz .LBB48_148
.LBB48_91:
	s_or_b32 exec_lo, exec_lo, s0
	s_and_saveexec_b32 s0, vcc_lo
	s_cbranch_execnz .LBB48_149
.LBB48_92:
	s_or_b32 exec_lo, exec_lo, s0
	s_and_saveexec_b32 s0, vcc_lo
	s_cbranch_execnz .LBB48_150
.LBB48_93:
	s_or_b32 exec_lo, exec_lo, s0
	s_and_saveexec_b32 s0, vcc_lo
	s_cbranch_execnz .LBB48_151
.LBB48_94:
	s_or_b32 exec_lo, exec_lo, s0
	s_and_saveexec_b32 s0, vcc_lo
	s_cbranch_execnz .LBB48_152
.LBB48_95:
	s_or_b32 exec_lo, exec_lo, s0
	s_and_saveexec_b32 s0, vcc_lo
	s_cbranch_execnz .LBB48_153
.LBB48_96:
	s_or_b32 exec_lo, exec_lo, s0
	s_and_saveexec_b32 s0, vcc_lo
	s_cbranch_execnz .LBB48_154
.LBB48_97:
	s_or_b32 exec_lo, exec_lo, s0
	s_and_saveexec_b32 s0, vcc_lo
	s_cbranch_execnz .LBB48_155
.LBB48_98:
	s_or_b32 exec_lo, exec_lo, s0
	s_and_saveexec_b32 s0, vcc_lo
	s_cbranch_execnz .LBB48_156
.LBB48_99:
	s_or_b32 exec_lo, exec_lo, s0
	s_and_saveexec_b32 s0, vcc_lo
	s_cbranch_execnz .LBB48_157
.LBB48_100:
	s_or_b32 exec_lo, exec_lo, s0
	s_and_saveexec_b32 s0, vcc_lo
	s_cbranch_execnz .LBB48_158
.LBB48_101:
	s_or_b32 exec_lo, exec_lo, s0
	s_and_saveexec_b32 s0, vcc_lo
	s_cbranch_execz .LBB48_103
.LBB48_102:
	ds_read_b32 v26, v24 offset:368
	s_waitcnt lgkmcnt(0)
	v_add_f32_e32 v23, v23, v26
.LBB48_103:
	s_or_b32 exec_lo, exec_lo, s0
.LBB48_104:
	s_or_b32 exec_lo, exec_lo, s1
	v_and_b32_e32 v26, 0x3e7, v47
	s_mov_b32 s1, exec_lo
	s_barrier
	buffer_gl0_inv
	v_cmpx_eq_u32_e32 32, v26
	s_cbranch_execz .LBB48_106
; %bb.105:
	ds_write2_b32 v25, v0, v1 offset1:4
	ds_write2_b32 v25, v2, v3 offset0:8 offset1:12
	ds_write2_b32 v25, v4, v5 offset0:16 offset1:20
	;; [unrolled: 1-line block ×11, first 2 shown]
.LBB48_106:
	s_or_b32 exec_lo, exec_lo, s1
	s_mov_b32 s1, exec_lo
	s_waitcnt lgkmcnt(0)
	s_barrier
	buffer_gl0_inv
	v_cmpx_gt_u32_e32 32, v47
	s_cbranch_execz .LBB48_133
; %bb.107:
	s_and_saveexec_b32 s0, vcc_lo
	s_cbranch_execnz .LBB48_159
; %bb.108:
	s_or_b32 exec_lo, exec_lo, s0
	s_and_saveexec_b32 s0, vcc_lo
	s_cbranch_execnz .LBB48_160
.LBB48_109:
	s_or_b32 exec_lo, exec_lo, s0
	s_and_saveexec_b32 s0, vcc_lo
	s_cbranch_execnz .LBB48_161
.LBB48_110:
	s_or_b32 exec_lo, exec_lo, s0
	s_and_saveexec_b32 s0, vcc_lo
	s_cbranch_execnz .LBB48_162
.LBB48_111:
	s_or_b32 exec_lo, exec_lo, s0
	s_and_saveexec_b32 s0, vcc_lo
	s_cbranch_execnz .LBB48_163
.LBB48_112:
	s_or_b32 exec_lo, exec_lo, s0
	s_and_saveexec_b32 s0, vcc_lo
	s_cbranch_execnz .LBB48_164
.LBB48_113:
	s_or_b32 exec_lo, exec_lo, s0
	s_and_saveexec_b32 s0, vcc_lo
	s_cbranch_execnz .LBB48_165
.LBB48_114:
	s_or_b32 exec_lo, exec_lo, s0
	s_and_saveexec_b32 s0, vcc_lo
	s_cbranch_execnz .LBB48_166
.LBB48_115:
	s_or_b32 exec_lo, exec_lo, s0
	s_and_saveexec_b32 s0, vcc_lo
	s_cbranch_execnz .LBB48_167
.LBB48_116:
	s_or_b32 exec_lo, exec_lo, s0
	s_and_saveexec_b32 s0, vcc_lo
	s_cbranch_execnz .LBB48_168
.LBB48_117:
	s_or_b32 exec_lo, exec_lo, s0
	s_and_saveexec_b32 s0, vcc_lo
	s_cbranch_execnz .LBB48_169
.LBB48_118:
	s_or_b32 exec_lo, exec_lo, s0
	s_and_saveexec_b32 s0, vcc_lo
	s_cbranch_execnz .LBB48_170
.LBB48_119:
	s_or_b32 exec_lo, exec_lo, s0
	s_and_saveexec_b32 s0, vcc_lo
	s_cbranch_execnz .LBB48_171
.LBB48_120:
	s_or_b32 exec_lo, exec_lo, s0
	s_and_saveexec_b32 s0, vcc_lo
	s_cbranch_execnz .LBB48_172
.LBB48_121:
	s_or_b32 exec_lo, exec_lo, s0
	s_and_saveexec_b32 s0, vcc_lo
	s_cbranch_execnz .LBB48_173
.LBB48_122:
	s_or_b32 exec_lo, exec_lo, s0
	s_and_saveexec_b32 s0, vcc_lo
	s_cbranch_execnz .LBB48_174
.LBB48_123:
	s_or_b32 exec_lo, exec_lo, s0
	s_and_saveexec_b32 s0, vcc_lo
	s_cbranch_execnz .LBB48_175
.LBB48_124:
	s_or_b32 exec_lo, exec_lo, s0
	s_and_saveexec_b32 s0, vcc_lo
	s_cbranch_execnz .LBB48_176
.LBB48_125:
	s_or_b32 exec_lo, exec_lo, s0
	s_and_saveexec_b32 s0, vcc_lo
	s_cbranch_execnz .LBB48_177
.LBB48_126:
	s_or_b32 exec_lo, exec_lo, s0
	s_and_saveexec_b32 s0, vcc_lo
	s_cbranch_execnz .LBB48_178
.LBB48_127:
	s_or_b32 exec_lo, exec_lo, s0
	s_and_saveexec_b32 s0, vcc_lo
	s_cbranch_execnz .LBB48_179
.LBB48_128:
	s_or_b32 exec_lo, exec_lo, s0
	s_and_saveexec_b32 s0, vcc_lo
	s_cbranch_execnz .LBB48_180
.LBB48_129:
	s_or_b32 exec_lo, exec_lo, s0
	s_and_saveexec_b32 s0, vcc_lo
	s_cbranch_execnz .LBB48_181
.LBB48_130:
	s_or_b32 exec_lo, exec_lo, s0
	s_and_saveexec_b32 s0, vcc_lo
	s_cbranch_execz .LBB48_132
.LBB48_131:
	ds_read_b32 v24, v24 offset:368
	s_waitcnt lgkmcnt(0)
	v_add_f32_e32 v23, v23, v24
.LBB48_132:
	s_or_b32 exec_lo, exec_lo, s0
.LBB48_133:
	s_or_b32 exec_lo, exec_lo, s1
	s_barrier
	buffer_gl0_inv
	s_mov_b32 s0, exec_lo
	v_cmpx_eq_u32_e32 0, v26
	s_cbranch_execz .LBB48_135
; %bb.134:
	s_mul_i32 s0, s10, s7
	s_mul_i32 s2, s7, s6
	;; [unrolled: 1-line block ×3, first 2 shown]
	v_lshrrev_b32_e32 v24, 1, v47
	s_mulk_i32 s0, 0x60
	s_ashr_i32 s1, s0, 31
	s_lshl_b64 s[0:1], s[0:1], 2
	s_add_u32 s4, s16, s0
	s_addc_u32 s5, s17, s1
	s_ashr_i32 s3, s2, 31
	s_lshl_b64 s[0:1], s[2:3], 2
	s_mul_i32 s2, s8, 0x60
	s_add_u32 s4, s4, s0
	s_addc_u32 s5, s5, s1
	s_ashr_i32 s3, s2, 31
	s_lshl_b64 s[0:1], s[2:3], 2
	s_add_u32 s0, s4, s0
	s_addc_u32 s1, s5, s1
	global_store_dword v24, v0, s[0:1]
	global_store_dword v24, v1, s[0:1] offset:16
	global_store_dword v24, v2, s[0:1] offset:32
	;; [unrolled: 1-line block ×23, first 2 shown]
.LBB48_135:
	s_endpgm
.LBB48_136:
	ds_read_b32 v26, v24
	s_waitcnt lgkmcnt(0)
	v_add_f32_e32 v0, v0, v26
	s_or_b32 exec_lo, exec_lo, s0
	s_and_saveexec_b32 s0, vcc_lo
	s_cbranch_execz .LBB48_80
.LBB48_137:
	ds_read_b32 v26, v24 offset:16
	s_waitcnt lgkmcnt(0)
	v_add_f32_e32 v1, v1, v26
	s_or_b32 exec_lo, exec_lo, s0
	s_and_saveexec_b32 s0, vcc_lo
	s_cbranch_execz .LBB48_81
.LBB48_138:
	ds_read_b32 v26, v24 offset:32
	s_waitcnt lgkmcnt(0)
	v_add_f32_e32 v2, v2, v26
	s_or_b32 exec_lo, exec_lo, s0
	s_and_saveexec_b32 s0, vcc_lo
	s_cbranch_execz .LBB48_82
.LBB48_139:
	ds_read_b32 v26, v24 offset:48
	s_waitcnt lgkmcnt(0)
	v_add_f32_e32 v3, v3, v26
	s_or_b32 exec_lo, exec_lo, s0
	s_and_saveexec_b32 s0, vcc_lo
	s_cbranch_execz .LBB48_83
.LBB48_140:
	ds_read_b32 v26, v24 offset:64
	s_waitcnt lgkmcnt(0)
	v_add_f32_e32 v4, v4, v26
	s_or_b32 exec_lo, exec_lo, s0
	s_and_saveexec_b32 s0, vcc_lo
	s_cbranch_execz .LBB48_84
.LBB48_141:
	ds_read_b32 v26, v24 offset:80
	s_waitcnt lgkmcnt(0)
	v_add_f32_e32 v5, v5, v26
	s_or_b32 exec_lo, exec_lo, s0
	s_and_saveexec_b32 s0, vcc_lo
	s_cbranch_execz .LBB48_85
.LBB48_142:
	ds_read_b32 v26, v24 offset:96
	s_waitcnt lgkmcnt(0)
	v_add_f32_e32 v6, v6, v26
	s_or_b32 exec_lo, exec_lo, s0
	s_and_saveexec_b32 s0, vcc_lo
	s_cbranch_execz .LBB48_86
.LBB48_143:
	ds_read_b32 v26, v24 offset:112
	s_waitcnt lgkmcnt(0)
	v_add_f32_e32 v7, v7, v26
	s_or_b32 exec_lo, exec_lo, s0
	s_and_saveexec_b32 s0, vcc_lo
	s_cbranch_execz .LBB48_87
.LBB48_144:
	ds_read_b32 v26, v24 offset:128
	s_waitcnt lgkmcnt(0)
	v_add_f32_e32 v8, v8, v26
	s_or_b32 exec_lo, exec_lo, s0
	s_and_saveexec_b32 s0, vcc_lo
	s_cbranch_execz .LBB48_88
.LBB48_145:
	ds_read_b32 v26, v24 offset:144
	s_waitcnt lgkmcnt(0)
	v_add_f32_e32 v9, v9, v26
	s_or_b32 exec_lo, exec_lo, s0
	s_and_saveexec_b32 s0, vcc_lo
	s_cbranch_execz .LBB48_89
.LBB48_146:
	ds_read_b32 v26, v24 offset:160
	s_waitcnt lgkmcnt(0)
	v_add_f32_e32 v10, v10, v26
	s_or_b32 exec_lo, exec_lo, s0
	s_and_saveexec_b32 s0, vcc_lo
	s_cbranch_execz .LBB48_90
.LBB48_147:
	ds_read_b32 v26, v24 offset:176
	s_waitcnt lgkmcnt(0)
	v_add_f32_e32 v11, v11, v26
	s_or_b32 exec_lo, exec_lo, s0
	s_and_saveexec_b32 s0, vcc_lo
	s_cbranch_execz .LBB48_91
.LBB48_148:
	ds_read_b32 v26, v24 offset:192
	s_waitcnt lgkmcnt(0)
	v_add_f32_e32 v12, v12, v26
	s_or_b32 exec_lo, exec_lo, s0
	s_and_saveexec_b32 s0, vcc_lo
	s_cbranch_execz .LBB48_92
.LBB48_149:
	ds_read_b32 v26, v24 offset:208
	s_waitcnt lgkmcnt(0)
	v_add_f32_e32 v13, v13, v26
	s_or_b32 exec_lo, exec_lo, s0
	s_and_saveexec_b32 s0, vcc_lo
	s_cbranch_execz .LBB48_93
.LBB48_150:
	ds_read_b32 v26, v24 offset:224
	s_waitcnt lgkmcnt(0)
	v_add_f32_e32 v14, v14, v26
	s_or_b32 exec_lo, exec_lo, s0
	s_and_saveexec_b32 s0, vcc_lo
	s_cbranch_execz .LBB48_94
.LBB48_151:
	ds_read_b32 v26, v24 offset:240
	s_waitcnt lgkmcnt(0)
	v_add_f32_e32 v15, v15, v26
	s_or_b32 exec_lo, exec_lo, s0
	s_and_saveexec_b32 s0, vcc_lo
	s_cbranch_execz .LBB48_95
.LBB48_152:
	ds_read_b32 v26, v24 offset:256
	s_waitcnt lgkmcnt(0)
	v_add_f32_e32 v16, v16, v26
	s_or_b32 exec_lo, exec_lo, s0
	s_and_saveexec_b32 s0, vcc_lo
	s_cbranch_execz .LBB48_96
.LBB48_153:
	ds_read_b32 v26, v24 offset:272
	s_waitcnt lgkmcnt(0)
	v_add_f32_e32 v17, v17, v26
	s_or_b32 exec_lo, exec_lo, s0
	s_and_saveexec_b32 s0, vcc_lo
	s_cbranch_execz .LBB48_97
.LBB48_154:
	ds_read_b32 v26, v24 offset:288
	s_waitcnt lgkmcnt(0)
	v_add_f32_e32 v18, v18, v26
	s_or_b32 exec_lo, exec_lo, s0
	s_and_saveexec_b32 s0, vcc_lo
	s_cbranch_execz .LBB48_98
.LBB48_155:
	ds_read_b32 v26, v24 offset:304
	s_waitcnt lgkmcnt(0)
	v_add_f32_e32 v19, v19, v26
	s_or_b32 exec_lo, exec_lo, s0
	s_and_saveexec_b32 s0, vcc_lo
	s_cbranch_execz .LBB48_99
.LBB48_156:
	ds_read_b32 v26, v24 offset:320
	s_waitcnt lgkmcnt(0)
	v_add_f32_e32 v20, v20, v26
	s_or_b32 exec_lo, exec_lo, s0
	s_and_saveexec_b32 s0, vcc_lo
	s_cbranch_execz .LBB48_100
.LBB48_157:
	ds_read_b32 v26, v24 offset:336
	s_waitcnt lgkmcnt(0)
	v_add_f32_e32 v21, v21, v26
	s_or_b32 exec_lo, exec_lo, s0
	s_and_saveexec_b32 s0, vcc_lo
	s_cbranch_execz .LBB48_101
.LBB48_158:
	ds_read_b32 v26, v24 offset:352
	s_waitcnt lgkmcnt(0)
	v_add_f32_e32 v22, v22, v26
	s_or_b32 exec_lo, exec_lo, s0
	s_and_saveexec_b32 s0, vcc_lo
	s_cbranch_execnz .LBB48_102
	s_branch .LBB48_103
.LBB48_159:
	ds_read_b32 v25, v24
	s_waitcnt lgkmcnt(0)
	v_add_f32_e32 v0, v0, v25
	s_or_b32 exec_lo, exec_lo, s0
	s_and_saveexec_b32 s0, vcc_lo
	s_cbranch_execz .LBB48_109
.LBB48_160:
	ds_read_b32 v25, v24 offset:16
	s_waitcnt lgkmcnt(0)
	v_add_f32_e32 v1, v1, v25
	s_or_b32 exec_lo, exec_lo, s0
	s_and_saveexec_b32 s0, vcc_lo
	s_cbranch_execz .LBB48_110
.LBB48_161:
	ds_read_b32 v25, v24 offset:32
	s_waitcnt lgkmcnt(0)
	v_add_f32_e32 v2, v2, v25
	s_or_b32 exec_lo, exec_lo, s0
	s_and_saveexec_b32 s0, vcc_lo
	s_cbranch_execz .LBB48_111
.LBB48_162:
	ds_read_b32 v25, v24 offset:48
	s_waitcnt lgkmcnt(0)
	v_add_f32_e32 v3, v3, v25
	s_or_b32 exec_lo, exec_lo, s0
	s_and_saveexec_b32 s0, vcc_lo
	s_cbranch_execz .LBB48_112
.LBB48_163:
	ds_read_b32 v25, v24 offset:64
	s_waitcnt lgkmcnt(0)
	v_add_f32_e32 v4, v4, v25
	s_or_b32 exec_lo, exec_lo, s0
	s_and_saveexec_b32 s0, vcc_lo
	s_cbranch_execz .LBB48_113
.LBB48_164:
	ds_read_b32 v25, v24 offset:80
	s_waitcnt lgkmcnt(0)
	v_add_f32_e32 v5, v5, v25
	s_or_b32 exec_lo, exec_lo, s0
	s_and_saveexec_b32 s0, vcc_lo
	s_cbranch_execz .LBB48_114
.LBB48_165:
	ds_read_b32 v25, v24 offset:96
	s_waitcnt lgkmcnt(0)
	v_add_f32_e32 v6, v6, v25
	s_or_b32 exec_lo, exec_lo, s0
	s_and_saveexec_b32 s0, vcc_lo
	s_cbranch_execz .LBB48_115
.LBB48_166:
	ds_read_b32 v25, v24 offset:112
	s_waitcnt lgkmcnt(0)
	v_add_f32_e32 v7, v7, v25
	s_or_b32 exec_lo, exec_lo, s0
	s_and_saveexec_b32 s0, vcc_lo
	s_cbranch_execz .LBB48_116
.LBB48_167:
	ds_read_b32 v25, v24 offset:128
	s_waitcnt lgkmcnt(0)
	v_add_f32_e32 v8, v8, v25
	s_or_b32 exec_lo, exec_lo, s0
	s_and_saveexec_b32 s0, vcc_lo
	s_cbranch_execz .LBB48_117
.LBB48_168:
	ds_read_b32 v25, v24 offset:144
	s_waitcnt lgkmcnt(0)
	v_add_f32_e32 v9, v9, v25
	s_or_b32 exec_lo, exec_lo, s0
	s_and_saveexec_b32 s0, vcc_lo
	s_cbranch_execz .LBB48_118
.LBB48_169:
	ds_read_b32 v25, v24 offset:160
	s_waitcnt lgkmcnt(0)
	v_add_f32_e32 v10, v10, v25
	s_or_b32 exec_lo, exec_lo, s0
	s_and_saveexec_b32 s0, vcc_lo
	s_cbranch_execz .LBB48_119
.LBB48_170:
	ds_read_b32 v25, v24 offset:176
	s_waitcnt lgkmcnt(0)
	v_add_f32_e32 v11, v11, v25
	s_or_b32 exec_lo, exec_lo, s0
	s_and_saveexec_b32 s0, vcc_lo
	s_cbranch_execz .LBB48_120
.LBB48_171:
	ds_read_b32 v25, v24 offset:192
	s_waitcnt lgkmcnt(0)
	v_add_f32_e32 v12, v12, v25
	s_or_b32 exec_lo, exec_lo, s0
	s_and_saveexec_b32 s0, vcc_lo
	s_cbranch_execz .LBB48_121
.LBB48_172:
	ds_read_b32 v25, v24 offset:208
	s_waitcnt lgkmcnt(0)
	v_add_f32_e32 v13, v13, v25
	s_or_b32 exec_lo, exec_lo, s0
	s_and_saveexec_b32 s0, vcc_lo
	s_cbranch_execz .LBB48_122
.LBB48_173:
	ds_read_b32 v25, v24 offset:224
	s_waitcnt lgkmcnt(0)
	v_add_f32_e32 v14, v14, v25
	s_or_b32 exec_lo, exec_lo, s0
	s_and_saveexec_b32 s0, vcc_lo
	s_cbranch_execz .LBB48_123
.LBB48_174:
	ds_read_b32 v25, v24 offset:240
	s_waitcnt lgkmcnt(0)
	v_add_f32_e32 v15, v15, v25
	s_or_b32 exec_lo, exec_lo, s0
	s_and_saveexec_b32 s0, vcc_lo
	s_cbranch_execz .LBB48_124
.LBB48_175:
	ds_read_b32 v25, v24 offset:256
	s_waitcnt lgkmcnt(0)
	v_add_f32_e32 v16, v16, v25
	s_or_b32 exec_lo, exec_lo, s0
	s_and_saveexec_b32 s0, vcc_lo
	s_cbranch_execz .LBB48_125
.LBB48_176:
	ds_read_b32 v25, v24 offset:272
	s_waitcnt lgkmcnt(0)
	v_add_f32_e32 v17, v17, v25
	s_or_b32 exec_lo, exec_lo, s0
	s_and_saveexec_b32 s0, vcc_lo
	s_cbranch_execz .LBB48_126
.LBB48_177:
	ds_read_b32 v25, v24 offset:288
	s_waitcnt lgkmcnt(0)
	v_add_f32_e32 v18, v18, v25
	s_or_b32 exec_lo, exec_lo, s0
	s_and_saveexec_b32 s0, vcc_lo
	s_cbranch_execz .LBB48_127
.LBB48_178:
	ds_read_b32 v25, v24 offset:304
	s_waitcnt lgkmcnt(0)
	v_add_f32_e32 v19, v19, v25
	s_or_b32 exec_lo, exec_lo, s0
	s_and_saveexec_b32 s0, vcc_lo
	s_cbranch_execz .LBB48_128
.LBB48_179:
	ds_read_b32 v25, v24 offset:320
	s_waitcnt lgkmcnt(0)
	v_add_f32_e32 v20, v20, v25
	s_or_b32 exec_lo, exec_lo, s0
	s_and_saveexec_b32 s0, vcc_lo
	s_cbranch_execz .LBB48_129
.LBB48_180:
	ds_read_b32 v25, v24 offset:336
	s_waitcnt lgkmcnt(0)
	v_add_f32_e32 v21, v21, v25
	s_or_b32 exec_lo, exec_lo, s0
	s_and_saveexec_b32 s0, vcc_lo
	s_cbranch_execz .LBB48_130
.LBB48_181:
	ds_read_b32 v25, v24 offset:352
	s_waitcnt lgkmcnt(0)
	v_add_f32_e32 v22, v22, v25
	s_or_b32 exec_lo, exec_lo, s0
	s_and_saveexec_b32 s0, vcc_lo
	s_cbranch_execnz .LBB48_131
	s_branch .LBB48_132
	.section	.rodata,"a",@progbits
	.p2align	6, 0x0
	.amdhsa_kernel _ZN4vllm25paged_attention_v1_kernelIffLi96ELi32ELi128ELNS_18Fp8KVCacheDataTypeE0ELb0EEEvPT_PKS2_PKT0_S8_ifPKiSA_iPKfiiiSC_SC_iiiii
		.amdhsa_group_segment_fixed_size 416
		.amdhsa_private_segment_fixed_size 56
		.amdhsa_kernarg_size 384
		.amdhsa_user_sgpr_count 6
		.amdhsa_user_sgpr_private_segment_buffer 1
		.amdhsa_user_sgpr_dispatch_ptr 0
		.amdhsa_user_sgpr_queue_ptr 0
		.amdhsa_user_sgpr_kernarg_segment_ptr 1
		.amdhsa_user_sgpr_dispatch_id 0
		.amdhsa_user_sgpr_flat_scratch_init 0
		.amdhsa_user_sgpr_private_segment_size 0
		.amdhsa_wavefront_size32 1
		.amdhsa_uses_dynamic_stack 0
		.amdhsa_system_sgpr_private_segment_wavefront_offset 1
		.amdhsa_system_sgpr_workgroup_id_x 1
		.amdhsa_system_sgpr_workgroup_id_y 1
		.amdhsa_system_sgpr_workgroup_id_z 1
		.amdhsa_system_sgpr_workgroup_info 0
		.amdhsa_system_vgpr_workitem_id 0
		.amdhsa_next_free_vgpr 128
		.amdhsa_next_free_sgpr 32
		.amdhsa_reserve_vcc 1
		.amdhsa_reserve_flat_scratch 0
		.amdhsa_float_round_mode_32 0
		.amdhsa_float_round_mode_16_64 0
		.amdhsa_float_denorm_mode_32 3
		.amdhsa_float_denorm_mode_16_64 3
		.amdhsa_dx10_clamp 1
		.amdhsa_ieee_mode 1
		.amdhsa_fp16_overflow 0
		.amdhsa_workgroup_processor_mode 1
		.amdhsa_memory_ordered 1
		.amdhsa_forward_progress 1
		.amdhsa_shared_vgpr_count 0
		.amdhsa_exception_fp_ieee_invalid_op 0
		.amdhsa_exception_fp_denorm_src 0
		.amdhsa_exception_fp_ieee_div_zero 0
		.amdhsa_exception_fp_ieee_overflow 0
		.amdhsa_exception_fp_ieee_underflow 0
		.amdhsa_exception_fp_ieee_inexact 0
		.amdhsa_exception_int_div_zero 0
	.end_amdhsa_kernel
	.section	.text._ZN4vllm25paged_attention_v1_kernelIffLi96ELi32ELi128ELNS_18Fp8KVCacheDataTypeE0ELb0EEEvPT_PKS2_PKT0_S8_ifPKiSA_iPKfiiiSC_SC_iiiii,"axG",@progbits,_ZN4vllm25paged_attention_v1_kernelIffLi96ELi32ELi128ELNS_18Fp8KVCacheDataTypeE0ELb0EEEvPT_PKS2_PKT0_S8_ifPKiSA_iPKfiiiSC_SC_iiiii,comdat
.Lfunc_end48:
	.size	_ZN4vllm25paged_attention_v1_kernelIffLi96ELi32ELi128ELNS_18Fp8KVCacheDataTypeE0ELb0EEEvPT_PKS2_PKT0_S8_ifPKiSA_iPKfiiiSC_SC_iiiii, .Lfunc_end48-_ZN4vllm25paged_attention_v1_kernelIffLi96ELi32ELi128ELNS_18Fp8KVCacheDataTypeE0ELb0EEEvPT_PKS2_PKT0_S8_ifPKiSA_iPKfiiiSC_SC_iiiii
                                        ; -- End function
	.set _ZN4vllm25paged_attention_v1_kernelIffLi96ELi32ELi128ELNS_18Fp8KVCacheDataTypeE0ELb0EEEvPT_PKS2_PKT0_S8_ifPKiSA_iPKfiiiSC_SC_iiiii.num_vgpr, 128
	.set _ZN4vllm25paged_attention_v1_kernelIffLi96ELi32ELi128ELNS_18Fp8KVCacheDataTypeE0ELb0EEEvPT_PKS2_PKT0_S8_ifPKiSA_iPKfiiiSC_SC_iiiii.num_agpr, 0
	.set _ZN4vllm25paged_attention_v1_kernelIffLi96ELi32ELi128ELNS_18Fp8KVCacheDataTypeE0ELb0EEEvPT_PKS2_PKT0_S8_ifPKiSA_iPKfiiiSC_SC_iiiii.numbered_sgpr, 32
	.set _ZN4vllm25paged_attention_v1_kernelIffLi96ELi32ELi128ELNS_18Fp8KVCacheDataTypeE0ELb0EEEvPT_PKS2_PKT0_S8_ifPKiSA_iPKfiiiSC_SC_iiiii.num_named_barrier, 0
	.set _ZN4vllm25paged_attention_v1_kernelIffLi96ELi32ELi128ELNS_18Fp8KVCacheDataTypeE0ELb0EEEvPT_PKS2_PKT0_S8_ifPKiSA_iPKfiiiSC_SC_iiiii.private_seg_size, 56
	.set _ZN4vllm25paged_attention_v1_kernelIffLi96ELi32ELi128ELNS_18Fp8KVCacheDataTypeE0ELb0EEEvPT_PKS2_PKT0_S8_ifPKiSA_iPKfiiiSC_SC_iiiii.uses_vcc, 1
	.set _ZN4vllm25paged_attention_v1_kernelIffLi96ELi32ELi128ELNS_18Fp8KVCacheDataTypeE0ELb0EEEvPT_PKS2_PKT0_S8_ifPKiSA_iPKfiiiSC_SC_iiiii.uses_flat_scratch, 0
	.set _ZN4vllm25paged_attention_v1_kernelIffLi96ELi32ELi128ELNS_18Fp8KVCacheDataTypeE0ELb0EEEvPT_PKS2_PKT0_S8_ifPKiSA_iPKfiiiSC_SC_iiiii.has_dyn_sized_stack, 0
	.set _ZN4vllm25paged_attention_v1_kernelIffLi96ELi32ELi128ELNS_18Fp8KVCacheDataTypeE0ELb0EEEvPT_PKS2_PKT0_S8_ifPKiSA_iPKfiiiSC_SC_iiiii.has_recursion, 0
	.set _ZN4vllm25paged_attention_v1_kernelIffLi96ELi32ELi128ELNS_18Fp8KVCacheDataTypeE0ELb0EEEvPT_PKS2_PKT0_S8_ifPKiSA_iPKfiiiSC_SC_iiiii.has_indirect_call, 0
	.section	.AMDGPU.csdata,"",@progbits
; Kernel info:
; codeLenInByte = 10588
; TotalNumSgprs: 34
; NumVgprs: 128
; ScratchSize: 56
; MemoryBound: 0
; FloatMode: 240
; IeeeMode: 1
; LDSByteSize: 416 bytes/workgroup (compile time only)
; SGPRBlocks: 0
; VGPRBlocks: 15
; NumSGPRsForWavesPerEU: 34
; NumVGPRsForWavesPerEU: 128
; Occupancy: 8
; WaveLimiterHint : 1
; COMPUTE_PGM_RSRC2:SCRATCH_EN: 1
; COMPUTE_PGM_RSRC2:USER_SGPR: 6
; COMPUTE_PGM_RSRC2:TRAP_HANDLER: 0
; COMPUTE_PGM_RSRC2:TGID_X_EN: 1
; COMPUTE_PGM_RSRC2:TGID_Y_EN: 1
; COMPUTE_PGM_RSRC2:TGID_Z_EN: 1
; COMPUTE_PGM_RSRC2:TIDIG_COMP_CNT: 0
	.section	.text._ZN4vllm25paged_attention_v1_kernelIffLi112ELi32ELi128ELNS_18Fp8KVCacheDataTypeE0ELb0EEEvPT_PKS2_PKT0_S8_ifPKiSA_iPKfiiiSC_SC_iiiii,"axG",@progbits,_ZN4vllm25paged_attention_v1_kernelIffLi112ELi32ELi128ELNS_18Fp8KVCacheDataTypeE0ELb0EEEvPT_PKS2_PKT0_S8_ifPKiSA_iPKfiiiSC_SC_iiiii,comdat
	.protected	_ZN4vllm25paged_attention_v1_kernelIffLi112ELi32ELi128ELNS_18Fp8KVCacheDataTypeE0ELb0EEEvPT_PKS2_PKT0_S8_ifPKiSA_iPKfiiiSC_SC_iiiii ; -- Begin function _ZN4vllm25paged_attention_v1_kernelIffLi112ELi32ELi128ELNS_18Fp8KVCacheDataTypeE0ELb0EEEvPT_PKS2_PKT0_S8_ifPKiSA_iPKfiiiSC_SC_iiiii
	.globl	_ZN4vllm25paged_attention_v1_kernelIffLi112ELi32ELi128ELNS_18Fp8KVCacheDataTypeE0ELb0EEEvPT_PKS2_PKT0_S8_ifPKiSA_iPKfiiiSC_SC_iiiii
	.p2align	8
	.type	_ZN4vllm25paged_attention_v1_kernelIffLi112ELi32ELi128ELNS_18Fp8KVCacheDataTypeE0ELb0EEEvPT_PKS2_PKT0_S8_ifPKiSA_iPKfiiiSC_SC_iiiii,@function
_ZN4vllm25paged_attention_v1_kernelIffLi112ELi32ELi128ELNS_18Fp8KVCacheDataTypeE0ELb0EEEvPT_PKS2_PKT0_S8_ifPKiSA_iPKfiiiSC_SC_iiiii: ; @_ZN4vllm25paged_attention_v1_kernelIffLi112ELi32ELi128ELNS_18Fp8KVCacheDataTypeE0ELb0EEEvPT_PKS2_PKT0_S8_ifPKiSA_iPKfiiiSC_SC_iiiii
; %bb.0:
	s_mov_b64 s[30:31], s[2:3]
	s_mov_b64 s[28:29], s[0:1]
	s_mov_b32 s10, s7
	s_add_u32 s28, s28, s9
	s_clause 0x2
	s_load_dword s9, s[4:5], 0x80
	s_load_dwordx2 s[0:1], s[4:5], 0x30
	s_load_dwordx2 s[2:3], s[4:5], 0x20
	s_addc_u32 s29, s29, 0
	s_ashr_i32 s11, s7, 31
	v_mov_b32_e32 v51, v0
	s_lshl_b64 s[12:13], s[10:11], 2
	s_mov_b32 s24, 0
	s_waitcnt lgkmcnt(0)
	s_add_u32 s0, s0, s12
	s_addc_u32 s1, s1, s13
	s_abs_i32 s7, s2
	s_abs_i32 s13, s9
	v_cvt_f32_u32_e32 v0, s7
	s_sub_i32 s12, 0, s7
	s_xor_b32 s2, s9, s2
	s_ashr_i32 s2, s2, 31
	v_rcp_iflag_f32_e32 v0, v0
	v_mul_f32_e32 v0, 0x4f7ffffe, v0
	v_cvt_u32_f32_e32 v0, v0
	v_readfirstlane_b32 s11, v0
	s_mul_i32 s12, s12, s11
	s_mul_hi_u32 s12, s11, s12
	s_add_i32 s11, s11, s12
	s_mul_hi_u32 s11, s13, s11
	s_mul_i32 s12, s11, s7
	s_sub_i32 s12, s13, s12
	s_add_i32 s13, s11, 1
	s_sub_i32 s14, s12, s7
	s_cmp_ge_u32 s12, s7
	s_cselect_b32 s11, s13, s11
	s_cselect_b32 s12, s14, s12
	s_add_i32 s13, s11, 1
	s_cmp_ge_u32 s12, s7
	s_cselect_b32 s7, s13, s11
	s_load_dwordx2 s[12:13], s[4:5], 0x40
	s_xor_b32 s7, s7, s2
	s_abs_i32 s16, s6
	s_sub_i32 s17, s7, s2
	s_abs_i32 s2, s17
	v_cvt_f32_u32_e32 v0, s2
	s_sub_i32 s11, 0, s2
	v_rcp_iflag_f32_e32 v0, v0
	v_mul_f32_e32 v0, 0x4f7ffffe, v0
	v_cvt_u32_f32_e32 v0, v0
	v_readfirstlane_b32 s7, v0
	s_mul_i32 s11, s11, s7
	s_mul_hi_u32 s11, s7, s11
	s_add_i32 s7, s7, s11
	s_waitcnt lgkmcnt(0)
	s_cmp_eq_u64 s[12:13], 0
	s_mul_hi_u32 s20, s16, s7
	s_cbranch_scc1 .LBB49_2
; %bb.1:
	s_ashr_i32 s7, s6, 31
	s_lshl_b64 s[14:15], s[6:7], 2
	s_add_u32 s12, s12, s14
	s_addc_u32 s13, s13, s15
	s_load_dword s24, s[12:13], 0x0
.LBB49_2:
	s_load_dword s11, s[0:1], 0x0
	s_clause 0x1
	s_load_dwordx2 s[18:19], s[4:5], 0x28
	s_load_dwordx4 s[12:15], s[4:5], 0x48
	v_lshlrev_b32_e32 v9, 4, v51
	s_ashr_i32 s0, s6, 31
	s_ashr_i32 s1, s17, 31
	s_mulk_i32 s6, 0x70
	s_waitcnt lgkmcnt(0)
	s_mov_b32 s15, exec_lo
	v_cmpx_gt_u32_e32 28, v51
	s_cbranch_execz .LBB49_4
; %bb.3:
	s_load_dwordx2 s[22:23], s[4:5], 0x8
	s_mul_i32 s26, s12, s10
	s_ashr_i32 s27, s26, 31
	s_lshl_b64 s[26:27], s[26:27], 2
	s_waitcnt lgkmcnt(0)
	s_add_u32 s12, s22, s26
	s_addc_u32 s17, s23, s27
	s_ashr_i32 s7, s6, 31
	s_lshl_b64 s[22:23], s[6:7], 2
	s_add_u32 s22, s12, s22
	s_addc_u32 s23, s17, s23
	global_load_dwordx4 v[0:3], v9, s[22:23]
	s_waitcnt vmcnt(0)
	ds_write_b128 v9, v[0:3]
.LBB49_4:
	s_or_b32 exec_lo, exec_lo, s15
	s_add_i32 s7, s11, 31
	s_xor_b32 s0, s0, s1
	s_ashr_i32 s12, s7, 31
	s_load_dword s15, s[4:5], 0x38
	s_lshr_b32 s1, s12, 27
	s_mul_i32 s12, s20, s2
	s_add_i32 s7, s7, s1
	s_sub_i32 s1, s16, s12
	s_ashr_i32 s12, s7, 5
	s_clause 0x2
	s_load_dwordx2 s[16:17], s[4:5], 0x0
	s_load_dwordx2 s[22:23], s[4:5], 0x18
	s_load_dword s7, s[4:5], 0x88
	s_add_i32 s21, s20, 1
	s_sub_i32 s25, s1, s2
	s_cmp_ge_u32 s1, s2
	v_lshrrev_b32_e32 v125, 5, v51
	s_cselect_b32 s20, s21, s20
	s_cselect_b32 s1, s25, s1
	s_add_i32 s21, s20, 1
	s_cmp_ge_u32 s1, s2
	v_and_b32_e32 v113, 31, v51
	s_cselect_b32 s1, s21, s20
	v_mov_b32_e32 v121, 0xff7fffff
	s_xor_b32 s1, s1, s0
	v_lshrrev_b32_e32 v114, 3, v51
	s_sub_i32 s1, s1, s0
	v_cmp_gt_i32_e64 s0, s12, v125
	v_lshlrev_b32_e32 v115, 2, v113
	s_waitcnt lgkmcnt(0)
	s_mul_i32 s20, s15, s10
	s_mul_i32 s14, s1, s14
	s_ashr_i32 s21, s20, 31
	s_barrier
	buffer_gl0_inv
	s_mov_b32 s25, exec_lo
	s_and_b32 s1, s25, s0
	buffer_store_dword v51, off, s[28:31], 0 offset:128 ; 4-byte Folded Spill
	buffer_store_dword v125, off, s[28:31], 0 offset:132 ; 4-byte Folded Spill
	;; [unrolled: 1-line block ×3, first 2 shown]
	s_mov_b32 exec_lo, s1
	s_cbranch_execz .LBB49_8
; %bb.5:
	v_mov_b32_e32 v0, 0
	s_load_dwordx2 s[4:5], s[4:5], 0x10
	buffer_store_dword v9, off, s[28:31], 0 offset:36 ; 4-byte Folded Spill
	s_ashr_i32 s15, s14, 31
	v_lshlrev_b32_e32 v1, 4, v113
	ds_read_b128 v[2:5], v0
	s_lshl_b64 s[26:27], s[14:15], 2
	v_lshl_or_b32 v122, v125, 5, v113
	v_cmp_neq_f32_e64 vcc_lo, s24, 0
	v_mov_b32_e32 v121, 0xff7fffff
	v_mov_b32_e32 v124, v125
	s_mov_b32 s15, s13
	s_waitcnt lgkmcnt(0)
	buffer_store_dword v2, off, s[28:31], 0 ; 4-byte Folded Spill
	buffer_store_dword v3, off, s[28:31], 0 offset:4 ; 4-byte Folded Spill
	buffer_store_dword v4, off, s[28:31], 0 offset:8 ; 4-byte Folded Spill
	;; [unrolled: 1-line block ×3, first 2 shown]
	ds_read_b128 v[2:5], v0 offset:16
	s_add_u32 s1, s4, s26
	s_addc_u32 s2, s5, s27
	v_add_co_u32 v1, s1, s1, v1
	s_lshl_b64 s[26:27], s[20:21], 2
	s_sub_i32 s4, 1, s11
	v_add_co_ci_u32_e64 v117, null, s2, 0, s1
	s_add_u32 s1, s18, s26
	s_addc_u32 s2, s19, s27
	s_mov_b32 s5, 0
	s_waitcnt lgkmcnt(0)
	buffer_store_dword v2, off, s[28:31], 0 offset:16 ; 4-byte Folded Spill
	buffer_store_dword v3, off, s[28:31], 0 offset:20 ; 4-byte Folded Spill
	buffer_store_dword v4, off, s[28:31], 0 offset:24 ; 4-byte Folded Spill
	buffer_store_dword v5, off, s[28:31], 0 offset:28 ; 4-byte Folded Spill
	ds_read_b128 v[9:12], v0 offset:32
	ds_read_b128 v[13:16], v0 offset:48
	;; [unrolled: 1-line block ×10, first 2 shown]
	buffer_store_dword v1, off, s[28:31], 0 offset:32 ; 4-byte Folded Spill
	ds_read_b128 v[49:52], v0 offset:192
	ds_read_b128 v[53:56], v0 offset:208
	;; [unrolled: 1-line block ×16, first 2 shown]
	v_and_b32_e32 v1, 0x7c, v114
	v_lshl_or_b32 v0, v125, 7, v115
	buffer_store_dword v114, off, s[28:31], 0 offset:40 ; 4-byte Folded Spill
	buffer_store_dword v115, off, s[28:31], 0 offset:44 ; 4-byte Folded Spill
	v_add_co_u32 v113, s1, s1, v1
	v_add_nc_u32_e32 v123, 0x1e0, v0
	v_add_co_ci_u32_e64 v114, null, s2, 0, s1
.LBB49_6:                               ; =>This Inner Loop Header: Depth=1
	global_load_dword v0, v[113:114], off
	buffer_load_dword v2, off, s[28:31], 0 offset:32 ; 4-byte Folded Reload
	v_add_nc_u32_e32 v124, 4, v124
	v_cmp_le_i32_e64 s2, s12, v124
	s_or_b32 s5, s2, s5
	s_waitcnt vmcnt(1)
	v_mad_i64_i32 v[0:1], null, v0, s15, 0
	v_lshlrev_b64 v[0:1], 2, v[0:1]
	s_waitcnt vmcnt(0)
	v_add_co_u32 v115, s1, v2, v0
	v_add_co_ci_u32_e64 v116, null, v117, v1, s1
	v_add_co_u32 v119, s1, v115, 0x1000
	global_load_dwordx4 v[0:3], v[115:116], off offset:512
	s_clause 0x3
	buffer_load_dword v4, off, s[28:31], 0 offset:16
	buffer_load_dword v5, off, s[28:31], 0 offset:20
	buffer_load_dword v6, off, s[28:31], 0 offset:24
	buffer_load_dword v7, off, s[28:31], 0 offset:28
	v_add_co_ci_u32_e64 v120, null, 0, v116, s1
	s_waitcnt vmcnt(3)
	v_mul_f32_e32 v127, v4, v0
	s_waitcnt vmcnt(2)
	v_mul_f32_e32 v118, v5, v1
	;; [unrolled: 2-line block ×4, first 2 shown]
	global_load_dwordx4 v[0:3], v[115:116], off
	s_clause 0x3
	buffer_load_dword v4, off, s[28:31], 0
	buffer_load_dword v5, off, s[28:31], 0 offset:4
	buffer_load_dword v6, off, s[28:31], 0 offset:8
	;; [unrolled: 1-line block ×3, first 2 shown]
	s_waitcnt vmcnt(3)
	v_fmac_f32_e32 v127, v4, v0
	s_waitcnt vmcnt(2)
	v_fmac_f32_e32 v118, v5, v1
	;; [unrolled: 2-line block ×4, first 2 shown]
	global_load_dwordx4 v[0:3], v[115:116], off offset:1024
	v_add_co_u32 v4, s1, 0x800, v115
	v_add_co_ci_u32_e64 v5, null, 0, v116, s1
	s_waitcnt vmcnt(0) lgkmcnt(25)
	v_fmac_f32_e32 v127, v9, v0
	v_fmac_f32_e32 v118, v10, v1
	;; [unrolled: 1-line block ×4, first 2 shown]
	global_load_dwordx4 v[0:3], v[115:116], off offset:1536
	s_waitcnt vmcnt(0) lgkmcnt(24)
	v_fmac_f32_e32 v127, v13, v0
	v_fmac_f32_e32 v118, v14, v1
	;; [unrolled: 1-line block ×4, first 2 shown]
	global_load_dwordx4 v[0:3], v[119:120], off offset:-2048
	s_waitcnt vmcnt(0) lgkmcnt(23)
	v_fmac_f32_e32 v127, v17, v0
	v_fmac_f32_e32 v118, v18, v1
	v_fmac_f32_e32 v126, v19, v2
	v_fmac_f32_e32 v125, v20, v3
	global_load_dwordx4 v[0:3], v[4:5], off offset:512
	s_waitcnt vmcnt(0) lgkmcnt(22)
	v_fmac_f32_e32 v127, v21, v0
	v_fmac_f32_e32 v118, v22, v1
	v_fmac_f32_e32 v126, v23, v2
	v_fmac_f32_e32 v125, v24, v3
	global_load_dwordx4 v[0:3], v[4:5], off offset:1024
	;; [unrolled: 6-line block ×3, first 2 shown]
	v_add_co_u32 v4, s1, 0x1000, v115
	v_add_co_ci_u32_e64 v5, null, 0, v116, s1
	s_waitcnt vmcnt(0) lgkmcnt(20)
	v_fmac_f32_e32 v127, v29, v0
	v_fmac_f32_e32 v118, v30, v1
	;; [unrolled: 1-line block ×4, first 2 shown]
	global_load_dwordx4 v[0:3], v[119:120], off
	s_waitcnt vmcnt(0) lgkmcnt(19)
	v_fmac_f32_e32 v127, v33, v0
	v_fmac_f32_e32 v118, v34, v1
	v_fmac_f32_e32 v126, v35, v2
	v_fmac_f32_e32 v125, v36, v3
	global_load_dwordx4 v[0:3], v[4:5], off offset:512
	s_waitcnt vmcnt(0) lgkmcnt(18)
	v_fmac_f32_e32 v127, v37, v0
	v_fmac_f32_e32 v118, v38, v1
	v_fmac_f32_e32 v126, v39, v2
	v_fmac_f32_e32 v125, v40, v3
	global_load_dwordx4 v[0:3], v[4:5], off offset:1024
	;; [unrolled: 6-line block ×3, first 2 shown]
	v_add_co_u32 v4, s1, v115, 0x2000
	v_add_co_ci_u32_e64 v5, null, 0, v116, s1
	v_add_co_u32 v7, s1, 0x1800, v115
	v_add_co_ci_u32_e64 v8, null, 0, v116, s1
	s_waitcnt vmcnt(0) lgkmcnt(16)
	v_fmac_f32_e32 v127, v45, v0
	v_fmac_f32_e32 v118, v46, v1
	;; [unrolled: 1-line block ×4, first 2 shown]
	global_load_dwordx4 v[0:3], v[4:5], off offset:-2048
	s_waitcnt vmcnt(0) lgkmcnt(15)
	v_fmac_f32_e32 v127, v49, v0
	v_fmac_f32_e32 v118, v50, v1
	v_fmac_f32_e32 v126, v51, v2
	v_fmac_f32_e32 v125, v52, v3
	global_load_dwordx4 v[0:3], v[7:8], off offset:512
	s_waitcnt vmcnt(0) lgkmcnt(14)
	v_fmac_f32_e32 v127, v53, v0
	v_fmac_f32_e32 v118, v54, v1
	v_fmac_f32_e32 v126, v55, v2
	v_fmac_f32_e32 v125, v56, v3
	global_load_dwordx4 v[0:3], v[7:8], off offset:1024
	;; [unrolled: 6-line block ×3, first 2 shown]
	s_waitcnt vmcnt(0) lgkmcnt(12)
	v_fmac_f32_e32 v127, v61, v0
	v_fmac_f32_e32 v118, v62, v1
	;; [unrolled: 1-line block ×4, first 2 shown]
	global_load_dwordx4 v[0:3], v[4:5], off
	v_add_co_u32 v4, s1, 0x2000, v115
	v_add_co_ci_u32_e64 v5, null, 0, v116, s1
	s_waitcnt vmcnt(0) lgkmcnt(11)
	v_fmac_f32_e32 v127, v65, v0
	v_fmac_f32_e32 v118, v66, v1
	v_fmac_f32_e32 v126, v67, v2
	v_fmac_f32_e32 v125, v68, v3
	global_load_dwordx4 v[0:3], v[4:5], off offset:512
	s_waitcnt vmcnt(0) lgkmcnt(10)
	v_fmac_f32_e32 v127, v69, v0
	v_fmac_f32_e32 v118, v70, v1
	v_fmac_f32_e32 v126, v71, v2
	v_fmac_f32_e32 v125, v72, v3
	global_load_dwordx4 v[0:3], v[4:5], off offset:1024
	;; [unrolled: 6-line block ×3, first 2 shown]
	v_add_co_u32 v4, s1, v115, 0x3000
	v_add_co_ci_u32_e64 v5, null, 0, v116, s1
	v_add_co_u32 v7, s1, 0x2800, v115
	v_add_co_ci_u32_e64 v8, null, 0, v116, s1
	s_waitcnt vmcnt(0) lgkmcnt(8)
	v_fmac_f32_e32 v127, v77, v0
	v_fmac_f32_e32 v118, v78, v1
	;; [unrolled: 1-line block ×4, first 2 shown]
	global_load_dwordx4 v[0:3], v[4:5], off offset:-2048
	s_waitcnt vmcnt(0) lgkmcnt(7)
	v_fmac_f32_e32 v127, v81, v0
	v_fmac_f32_e32 v118, v82, v1
	v_fmac_f32_e32 v126, v83, v2
	v_fmac_f32_e32 v125, v84, v3
	global_load_dwordx4 v[0:3], v[7:8], off offset:512
	s_waitcnt vmcnt(0) lgkmcnt(6)
	v_fmac_f32_e32 v127, v85, v0
	v_fmac_f32_e32 v118, v86, v1
	v_fmac_f32_e32 v126, v87, v2
	v_fmac_f32_e32 v125, v88, v3
	global_load_dwordx4 v[0:3], v[7:8], off offset:1024
	s_waitcnt vmcnt(0) lgkmcnt(5)
	v_fmac_f32_e32 v127, v89, v0
	v_fmac_f32_e32 v118, v90, v1
	v_fmac_f32_e32 v126, v91, v2
	v_fmac_f32_e32 v125, v92, v3
	global_load_dwordx4 v[0:3], v[7:8], off offset:1536
	s_waitcnt vmcnt(0) lgkmcnt(4)
	v_fmac_f32_e32 v127, v93, v0
	v_fmac_f32_e32 v118, v94, v1
	;; [unrolled: 1-line block ×4, first 2 shown]
	global_load_dwordx4 v[0:3], v[4:5], off
	v_add_co_u32 v4, s1, 0x3000, v115
	v_add_co_ci_u32_e64 v5, null, 0, v116, s1
	v_cmp_gt_i32_e64 s1, s11, v122
	s_waitcnt vmcnt(0) lgkmcnt(3)
	v_fmac_f32_e32 v127, v97, v0
	v_fmac_f32_e32 v118, v98, v1
	v_fmac_f32_e32 v126, v99, v2
	v_fmac_f32_e32 v125, v100, v3
	global_load_dwordx4 v[0:3], v[4:5], off offset:512
	s_waitcnt vmcnt(0) lgkmcnt(2)
	v_fmac_f32_e32 v127, v101, v0
	v_fmac_f32_e32 v118, v102, v1
	v_fmac_f32_e32 v126, v103, v2
	v_fmac_f32_e32 v125, v104, v3
	global_load_dwordx4 v[0:3], v[4:5], off offset:1024
	;; [unrolled: 6-line block ×3, first 2 shown]
	s_waitcnt vmcnt(0) lgkmcnt(0)
	v_fmac_f32_e32 v127, v109, v0
	v_fmac_f32_e32 v118, v110, v1
	v_add_nc_u32_e32 v1, s4, v122
	v_fmac_f32_e32 v126, v111, v2
	v_fmac_f32_e32 v125, v112, v3
	v_add_nc_u32_e32 v122, 0x80, v122
	v_add_f32_e32 v0, v127, v118
	v_cvt_f32_i32_e32 v1, v1
	v_add_f32_e32 v0, v126, v0
	v_mul_f32_e32 v1, s24, v1
	v_add_f32_e32 v0, v125, v0
	v_cndmask_b32_e32 v1, 0, v1, vcc_lo
	v_fmac_f32_e32 v1, s3, v0
	v_max_f32_e32 v0, v121, v121
	v_max_f32_e32 v0, v0, v1
	v_cndmask_b32_e64 v121, v121, v0, s1
	v_cndmask_b32_e64 v0, 0, v1, s1
	v_add_co_u32 v113, s1, v113, 16
	v_add_co_ci_u32_e64 v114, null, 0, v114, s1
	ds_write_b32 v123, v0
	v_add_nc_u32_e32 v123, 0x200, v123
	s_andn2_b32 exec_lo, exec_lo, s5
	s_cbranch_execnz .LBB49_6
; %bb.7:
	s_or_b32 exec_lo, exec_lo, s5
	s_clause 0x5
	buffer_load_dword v51, off, s[28:31], 0 offset:128
	buffer_load_dword v125, off, s[28:31], 0 offset:132
	;; [unrolled: 1-line block ×6, first 2 shown]
.LBB49_8:
	s_or_b32 exec_lo, exec_lo, s25
	v_mbcnt_lo_u32_b32 v0, -1, 0
	v_max_f32_e32 v4, v121, v121
	v_xor_b32_e32 v1, 16, v0
	v_xor_b32_e32 v3, 8, v0
	;; [unrolled: 1-line block ×3, first 2 shown]
	v_cmp_gt_i32_e32 vcc_lo, 32, v1
	v_cndmask_b32_e32 v1, v0, v1, vcc_lo
	v_cmp_gt_i32_e32 vcc_lo, 32, v3
	v_lshlrev_b32_e32 v1, 2, v1
	v_cndmask_b32_e32 v3, v0, v3, vcc_lo
	v_cmp_gt_i32_e32 vcc_lo, 32, v5
	ds_bpermute_b32 v2, v1, v121
	v_lshlrev_b32_e32 v3, 2, v3
	v_cndmask_b32_e32 v5, v0, v5, vcc_lo
	v_lshlrev_b32_e32 v35, 2, v5
	v_xor_b32_e32 v5, 2, v0
	v_cmp_gt_i32_e32 vcc_lo, 32, v5
	v_cndmask_b32_e32 v5, v0, v5, vcc_lo
	s_waitcnt lgkmcnt(0)
	v_max_f32_e32 v2, v2, v2
	v_lshlrev_b32_e32 v44, 2, v5
	v_xor_b32_e32 v5, 1, v0
	v_max_f32_e32 v2, v4, v2
	v_cmp_gt_i32_e32 vcc_lo, 32, v5
	ds_bpermute_b32 v4, v3, v2
	v_cndmask_b32_e32 v0, v0, v5, vcc_lo
	s_waitcnt vmcnt(3)
	v_cmp_eq_u32_e32 vcc_lo, 0, v113
	v_lshlrev_b32_e32 v50, 2, v0
	s_waitcnt lgkmcnt(0)
	v_max_f32_e32 v4, v4, v4
	v_max_f32_e32 v2, v2, v4
	ds_bpermute_b32 v4, v35, v2
	s_waitcnt lgkmcnt(0)
	v_max_f32_e32 v4, v4, v4
	v_max_f32_e32 v2, v2, v4
	ds_bpermute_b32 v4, v44, v2
	s_waitcnt lgkmcnt(0)
	v_max_f32_e32 v4, v4, v4
	v_max_f32_e32 v2, v2, v4
	v_lshlrev_b32_e32 v4, 2, v125
	ds_bpermute_b32 v5, v50, v2
	s_and_saveexec_b32 s1, vcc_lo
	s_cbranch_execz .LBB49_10
; %bb.9:
	s_waitcnt lgkmcnt(0)
	v_max_f32_e32 v0, v5, v5
	v_max_f32_e32 v2, v2, v2
	;; [unrolled: 1-line block ×3, first 2 shown]
	ds_write_b32 v4, v0 offset:448
.LBB49_10:
	s_or_b32 exec_lo, exec_lo, s1
	v_cmp_gt_u32_e64 s1, 4, v113
	v_mov_b32_e32 v2, 0xff7fffff
	s_waitcnt vmcnt(0) lgkmcnt(0)
	s_waitcnt_vscnt null, 0x0
	s_barrier
	buffer_gl0_inv
	s_and_saveexec_b32 s2, s1
; %bb.11:
	ds_read_b32 v2, v115 offset:448
; %bb.12:
	s_or_b32 exec_lo, exec_lo, s2
	s_waitcnt lgkmcnt(0)
	ds_bpermute_b32 v0, v44, v2
	v_max_f32_e32 v2, v2, v2
	v_mov_b32_e32 v5, 0
	s_lshl_b32 s2, s12, 5
	s_min_i32 s4, s2, s11
	v_cmp_gt_i32_e64 s2, s4, v51
	s_waitcnt lgkmcnt(0)
	v_max_f32_e32 v0, v0, v0
	v_max_f32_e32 v0, v2, v0
	ds_bpermute_b32 v2, v50, v0
	s_waitcnt lgkmcnt(0)
	v_max_f32_e32 v2, v2, v2
	v_max_f32_e32 v0, v0, v2
	v_lshl_add_u32 v2, v51, 2, 0x1e0
	ds_bpermute_b32 v6, v5, v0
	s_and_saveexec_b32 s5, s2
	s_cbranch_execz .LBB49_16
; %bb.13:
	v_lshl_add_u32 v7, v51, 2, 0x1e0
	v_mov_b32_e32 v5, 0
	v_mov_b32_e32 v8, v51
	s_mov_b32 s15, 0
	.p2align	6
.LBB49_14:                              ; =>This Inner Loop Header: Depth=1
	ds_read_b32 v0, v7
	v_add_nc_u32_e32 v8, 0x80, v8
	v_cmp_le_i32_e64 s3, s4, v8
	s_or_b32 s15, s3, s15
	s_waitcnt lgkmcnt(0)
	v_sub_f32_e32 v0, v0, v6
	v_mul_f32_e32 v0, 0x3fb8aa3b, v0
	v_exp_f32_e32 v0, v0
	ds_write_b32 v7, v0
	v_add_f32_e32 v5, v5, v0
	v_add_nc_u32_e32 v7, 0x200, v7
	s_andn2_b32 exec_lo, exec_lo, s15
	s_cbranch_execnz .LBB49_14
; %bb.15:
	s_or_b32 exec_lo, exec_lo, s15
.LBB49_16:
	s_or_b32 exec_lo, exec_lo, s5
	ds_bpermute_b32 v0, v1, v5
	s_waitcnt lgkmcnt(0)
	v_add_f32_e32 v0, v5, v0
	ds_bpermute_b32 v1, v3, v0
	s_waitcnt lgkmcnt(0)
	v_add_f32_e32 v0, v0, v1
	;; [unrolled: 3-line block ×5, first 2 shown]
	s_and_saveexec_b32 s3, vcc_lo
; %bb.17:
	ds_write_b32 v4, v1 offset:464
; %bb.18:
	s_or_b32 exec_lo, exec_lo, s3
	s_waitcnt lgkmcnt(0)
	s_barrier
	buffer_gl0_inv
	s_and_saveexec_b32 s3, s1
; %bb.19:
	ds_read_b32 v1, v115 offset:464
; %bb.20:
	s_or_b32 exec_lo, exec_lo, s3
	s_waitcnt lgkmcnt(0)
	ds_bpermute_b32 v0, v44, v1
	s_waitcnt lgkmcnt(0)
	v_add_f32_e32 v0, v1, v0
	ds_bpermute_b32 v1, v50, v0
	s_waitcnt lgkmcnt(0)
	v_add_f32_e32 v0, v0, v1
	v_mov_b32_e32 v1, 0
	ds_bpermute_b32 v0, v1, v0
	s_and_saveexec_b32 s1, s2
	s_cbranch_execz .LBB49_23
; %bb.21:
	s_waitcnt lgkmcnt(0)
	v_add_f32_e32 v0, 0x358637bd, v0
	s_mov_b32 s2, 0
	v_div_scale_f32 v1, null, v0, v0, 1.0
	v_div_scale_f32 v5, vcc_lo, 1.0, v0, 1.0
	v_rcp_f32_e32 v3, v1
	v_fma_f32 v4, -v1, v3, 1.0
	v_fmac_f32_e32 v3, v4, v3
	v_mul_f32_e32 v4, v5, v3
	v_fma_f32 v6, -v1, v4, v5
	v_fmac_f32_e32 v4, v6, v3
	v_fma_f32 v1, -v1, v4, v5
	v_div_fmas_f32 v1, v1, v3, v4
	v_div_fixup_f32 v0, v1, v0, 1.0
	v_mov_b32_e32 v1, v51
.LBB49_22:                              ; =>This Inner Loop Header: Depth=1
	ds_read_b32 v3, v2
	v_add_nc_u32_e32 v1, 0x80, v1
	v_cmp_le_i32_e32 vcc_lo, s4, v1
	s_or_b32 s2, vcc_lo, s2
	s_waitcnt lgkmcnt(0)
	v_mul_f32_e32 v3, v0, v3
	ds_write_b32 v2, v3
	v_add_nc_u32_e32 v2, 0x200, v2
	s_andn2_b32 exec_lo, exec_lo, s2
	s_cbranch_execnz .LBB49_22
.LBB49_23:
	s_or_b32 exec_lo, exec_lo, s1
	v_mov_b32_e32 v5, 0
	v_and_b32_e32 v52, 7, v51
	v_mov_b32_e32 v120, 0
	v_mov_b32_e32 v14, 0
	;; [unrolled: 1-line block ×27, first 2 shown]
	s_waitcnt lgkmcnt(0)
	s_barrier
	buffer_gl0_inv
	s_and_saveexec_b32 s1, s0
	s_cbranch_execz .LBB49_83
; %bb.24:
	v_lshlrev_b32_e32 v0, 2, v51
	s_ashr_i32 s15, s14, 31
	v_and_b32_e32 v2, 0x1f0, v9
	s_lshl_b64 s[2:3], s[14:15], 2
	v_lshlrev_b32_e32 v3, 5, v125
	v_and_b32_e32 v0, 28, v0
	s_add_u32 s0, s22, s2
	s_addc_u32 s3, s23, s3
	v_add_co_u32 v2, s0, s0, v2
	v_or3_b32 v121, v3, v0, 3
	v_and_b32_e32 v0, 0x7c, v114
	s_lshl_b64 s[4:5], s[20:21], 2
	s_add_i32 s2, s12, -1
	buffer_store_dword v35, off, s[28:31], 0 offset:148 ; 4-byte Folded Spill
	buffer_store_dword v44, off, s[28:31], 0 offset:144 ; 4-byte Folded Spill
	;; [unrolled: 1-line block ×4, first 2 shown]
	v_add_co_ci_u32_e64 v2, null, s3, 0, s0
	s_add_u32 s0, s18, s4
	v_lshlrev_b32_e32 v1, 4, v52
	v_add_co_u32 v117, s0, s0, v0
	v_mov_b32_e32 v0, 0
	s_addc_u32 s3, s19, s5
	v_lshl_or_b32 v1, v125, 7, v1
	v_mov_b32_e32 v45, 0
	v_add_co_ci_u32_e64 v118, null, s3, 0, s0
	buffer_store_dword v0, off, s[28:31], 0 ; 4-byte Folded Spill
	v_mov_b32_e32 v0, 0
	v_add_nc_u32_e32 v122, 0x1e0, v1
	v_mov_b32_e32 v123, 0
	v_mov_b32_e32 v119, 0
	;; [unrolled: 1-line block ×3, first 2 shown]
	buffer_store_dword v0, off, s[28:31], 0 offset:16 ; 4-byte Folded Spill
	v_mov_b32_e32 v0, 0
	v_mov_b32_e32 v5, 0
	s_mov_b32 s4, s13
	s_mov_b32 s3, 0
	buffer_store_dword v52, off, s[28:31], 0 offset:152 ; 4-byte Folded Spill
	buffer_store_dword v0, off, s[28:31], 0 offset:32 ; 4-byte Folded Spill
	v_mov_b32_e32 v0, 0
	buffer_store_dword v2, off, s[28:31], 0 offset:124 ; 4-byte Folded Spill
	buffer_store_dword v0, off, s[28:31], 0 offset:36 ; 4-byte Folded Spill
	v_mov_b32_e32 v0, 0
	buffer_store_dword v0, off, s[28:31], 0 offset:40 ; 4-byte Folded Spill
	v_mov_b32_e32 v0, 0
	;; [unrolled: 2-line block ×19, first 2 shown]
	s_branch .LBB49_26
.LBB49_25:                              ;   in Loop: Header=BB49_26 Depth=1
	s_or_b32 exec_lo, exec_lo, s0
	s_waitcnt vmcnt(17) lgkmcnt(0)
	v_mul_f32_e32 v45, v1, v45
	s_waitcnt vmcnt(1)
	v_mul_f32_e32 v113, v1, v113
	v_mul_f32_e32 v109, v1, v109
	;; [unrolled: 1-line block ×4, first 2 shown]
	v_fmac_f32_e32 v45, v2, v46
	buffer_load_dword v46, off, s[28:31], 0 offset:88 ; 4-byte Folded Reload
	v_mul_f32_e32 v97, v1, v97
	v_mul_f32_e32 v93, v1, v93
	;; [unrolled: 1-line block ×3, first 2 shown]
	v_fmac_f32_e32 v45, v3, v47
	v_mul_f32_e32 v85, v1, v85
	v_mul_f32_e32 v77, v1, v77
	v_mul_f32_e32 v73, v1, v73
	v_mul_f32_e32 v69, v1, v69
	v_mul_f32_e32 v65, v1, v65
	v_mul_f32_e32 v61, v1, v61
	v_mul_f32_e32 v57, v1, v57
	v_mul_f32_e32 v53, v1, v53
	v_mul_f32_e32 v49, v1, v49
	v_fmac_f32_e32 v45, v4, v48
	v_mul_f32_e32 v41, v1, v41
	v_mul_f32_e32 v37, v1, v37
	;; [unrolled: 1-line block ×6, first 2 shown]
	v_fmac_f32_e32 v113, v2, v114
	buffer_load_dword v114, off, s[28:31], 0 ; 4-byte Folded Reload
	v_fmac_f32_e32 v109, v2, v110
	buffer_load_dword v110, off, s[28:31], 0 offset:16 ; 4-byte Folded Reload
	v_fmac_f32_e32 v105, v2, v106
	buffer_load_dword v106, off, s[28:31], 0 offset:32 ; 4-byte Folded Reload
	;; [unrolled: 2-line block ×21, first 2 shown]
	v_mul_f32_e32 v21, v1, v21
	v_mul_f32_e32 v17, v1, v17
	;; [unrolled: 1-line block ×4, first 2 shown]
	s_waitcnt vmcnt(23)
	v_mul_f32_e32 v1, v1, v81
	v_fmac_f32_e32 v21, v2, v22
	v_fmac_f32_e32 v17, v2, v18
	;; [unrolled: 1-line block ×32, first 2 shown]
	v_add_nc_u32_e32 v125, 4, v125
	v_fmac_f32_e32 v113, v4, v116
	v_fmac_f32_e32 v109, v4, v112
	;; [unrolled: 1-line block ×27, first 2 shown]
	v_add_co_u32 v117, vcc_lo, v117, 16
	v_add_co_ci_u32_e64 v118, null, 0, v118, vcc_lo
	v_cmp_le_i32_e32 vcc_lo, s12, v125
	v_add_f32_e32 v123, v123, v21
	v_add_f32_e32 v119, v119, v17
	;; [unrolled: 1-line block ×4, first 2 shown]
	v_add_nc_u32_e32 v121, 0x80, v121
	v_add_nc_u32_e32 v122, 0x200, v122
	s_or_b32 s3, vcc_lo, s3
	s_waitcnt vmcnt(22)
	v_add_f32_e32 v46, v46, v45
	buffer_load_dword v45, off, s[28:31], 0 offset:112 ; 4-byte Folded Reload
	buffer_store_dword v46, off, s[28:31], 0 offset:88 ; 4-byte Folded Spill
	s_waitcnt vmcnt(22)
	v_add_f32_e32 v114, v114, v113
	s_waitcnt vmcnt(21)
	v_add_f32_e32 v110, v110, v109
	;; [unrolled: 2-line block ×3, first 2 shown]
	buffer_store_dword v114, off, s[28:31], 0 ; 4-byte Folded Spill
	s_waitcnt vmcnt(19)
	v_add_f32_e32 v102, v102, v101
	buffer_store_dword v110, off, s[28:31], 0 offset:16 ; 4-byte Folded Spill
	s_waitcnt vmcnt(18)
	v_add_f32_e32 v98, v98, v97
	buffer_store_dword v106, off, s[28:31], 0 offset:32 ; 4-byte Folded Spill
	;; [unrolled: 3-line block ×19, first 2 shown]
	buffer_store_dword v26, off, s[28:31], 0 offset:108 ; 4-byte Folded Spill
	s_waitcnt vmcnt(0)
	v_add_f32_e32 v45, v45, v1
	s_andn2_b32 exec_lo, exec_lo, s3
	s_cbranch_execz .LBB49_82
.LBB49_26:                              ; =>This Inner Loop Header: Depth=1
	buffer_store_dword v5, off, s[28:31], 0 offset:116 ; 4-byte Folded Spill
	buffer_store_dword v45, off, s[28:31], 0 offset:112 ; 4-byte Folded Spill
	global_load_dword v1, v[117:118], off
	buffer_load_dword v3, off, s[28:31], 0 offset:120 ; 4-byte Folded Reload
	v_add_nc_u32_e32 v126, -3, v121
	v_add_nc_u32_e32 v124, -2, v121
	;; [unrolled: 1-line block ×3, first 2 shown]
	s_waitcnt vmcnt(1)
	v_mad_i64_i32 v[1:2], null, v1, s4, 0
	v_lshlrev_b64 v[1:2], 2, v[1:2]
	s_waitcnt vmcnt(0)
	v_add_co_u32 v81, vcc_lo, v3, v1
	buffer_load_dword v1, off, s[28:31], 0 offset:124 ; 4-byte Folded Reload
	s_waitcnt vmcnt(0)
	v_add_co_ci_u32_e64 v82, null, v1, v2, vcc_lo
	ds_read_b128 v[1:4], v122
	v_cmp_eq_u32_e32 vcc_lo, s2, v125
	global_load_dwordx4 v[5:8], v[81:82], off
	s_and_saveexec_b32 s5, vcc_lo
	s_cbranch_execnz .LBB49_60
; %bb.27:                               ;   in Loop: Header=BB49_26 Depth=1
	s_or_b32 exec_lo, exec_lo, s5
	global_load_dwordx4 v[9:12], v[81:82], off offset:512
	s_and_saveexec_b32 s5, vcc_lo
	s_cbranch_execnz .LBB49_61
.LBB49_28:                              ;   in Loop: Header=BB49_26 Depth=1
	s_or_b32 exec_lo, exec_lo, s5
	global_load_dwordx4 v[13:16], v[81:82], off offset:1024
	s_and_saveexec_b32 s5, vcc_lo
	s_cbranch_execnz .LBB49_62
.LBB49_29:                              ;   in Loop: Header=BB49_26 Depth=1
	s_or_b32 exec_lo, exec_lo, s5
	global_load_dwordx4 v[17:20], v[81:82], off offset:1536
	s_and_saveexec_b32 s5, vcc_lo
	s_cbranch_execz .LBB49_31
.LBB49_30:                              ;   in Loop: Header=BB49_26 Depth=1
	v_cmp_gt_i32_e64 s0, s11, v126
	s_waitcnt vmcnt(0)
	v_cndmask_b32_e64 v17, 0, v17, s0
	v_cmp_gt_i32_e64 s0, s11, v124
	v_cndmask_b32_e64 v18, 0, v18, s0
	v_cmp_gt_i32_e64 s0, s11, v127
	;; [unrolled: 2-line block ×3, first 2 shown]
	v_cndmask_b32_e64 v20, 0, v20, s0
.LBB49_31:                              ;   in Loop: Header=BB49_26 Depth=1
	s_or_b32 exec_lo, exec_lo, s5
	v_add_co_u32 v33, s0, 0x800, v81
	v_add_co_ci_u32_e64 v34, null, 0, v82, s0
	global_load_dwordx4 v[21:24], v[33:34], off
	s_and_saveexec_b32 s5, vcc_lo
	s_cbranch_execnz .LBB49_63
; %bb.32:                               ;   in Loop: Header=BB49_26 Depth=1
	s_or_b32 exec_lo, exec_lo, s5
	global_load_dwordx4 v[25:28], v[33:34], off offset:512
	s_and_saveexec_b32 s5, vcc_lo
	s_cbranch_execnz .LBB49_64
.LBB49_33:                              ;   in Loop: Header=BB49_26 Depth=1
	s_or_b32 exec_lo, exec_lo, s5
	global_load_dwordx4 v[29:32], v[33:34], off offset:1024
	s_and_saveexec_b32 s5, vcc_lo
	s_cbranch_execnz .LBB49_65
.LBB49_34:                              ;   in Loop: Header=BB49_26 Depth=1
	s_or_b32 exec_lo, exec_lo, s5
	global_load_dwordx4 v[33:36], v[33:34], off offset:1536
	s_and_saveexec_b32 s5, vcc_lo
	s_cbranch_execz .LBB49_36
.LBB49_35:                              ;   in Loop: Header=BB49_26 Depth=1
	v_cmp_gt_i32_e64 s0, s11, v126
	s_waitcnt vmcnt(0)
	v_cndmask_b32_e64 v33, 0, v33, s0
	v_cmp_gt_i32_e64 s0, s11, v124
	v_cndmask_b32_e64 v34, 0, v34, s0
	v_cmp_gt_i32_e64 s0, s11, v127
	;; [unrolled: 2-line block ×3, first 2 shown]
	v_cndmask_b32_e64 v36, 0, v36, s0
.LBB49_36:                              ;   in Loop: Header=BB49_26 Depth=1
	s_or_b32 exec_lo, exec_lo, s5
	v_add_co_u32 v49, s0, 0x1000, v81
	v_add_co_ci_u32_e64 v50, null, 0, v82, s0
	global_load_dwordx4 v[37:40], v[49:50], off
	s_and_saveexec_b32 s5, vcc_lo
	s_cbranch_execnz .LBB49_66
; %bb.37:                               ;   in Loop: Header=BB49_26 Depth=1
	s_or_b32 exec_lo, exec_lo, s5
	global_load_dwordx4 v[41:44], v[49:50], off offset:512
	s_and_saveexec_b32 s5, vcc_lo
	s_cbranch_execnz .LBB49_67
.LBB49_38:                              ;   in Loop: Header=BB49_26 Depth=1
	s_or_b32 exec_lo, exec_lo, s5
	global_load_dwordx4 v[45:48], v[49:50], off offset:1024
	s_and_saveexec_b32 s5, vcc_lo
	s_cbranch_execnz .LBB49_68
.LBB49_39:                              ;   in Loop: Header=BB49_26 Depth=1
	s_or_b32 exec_lo, exec_lo, s5
	global_load_dwordx4 v[49:52], v[49:50], off offset:1536
	s_and_saveexec_b32 s5, vcc_lo
	s_cbranch_execz .LBB49_41
.LBB49_40:                              ;   in Loop: Header=BB49_26 Depth=1
	v_cmp_gt_i32_e64 s0, s11, v126
	s_waitcnt vmcnt(0)
	v_cndmask_b32_e64 v49, 0, v49, s0
	v_cmp_gt_i32_e64 s0, s11, v124
	v_cndmask_b32_e64 v50, 0, v50, s0
	v_cmp_gt_i32_e64 s0, s11, v127
	;; [unrolled: 2-line block ×3, first 2 shown]
	v_cndmask_b32_e64 v52, 0, v52, s0
.LBB49_41:                              ;   in Loop: Header=BB49_26 Depth=1
	s_or_b32 exec_lo, exec_lo, s5
	v_add_co_u32 v65, s0, 0x1800, v81
	v_add_co_ci_u32_e64 v66, null, 0, v82, s0
	global_load_dwordx4 v[53:56], v[65:66], off
	s_and_saveexec_b32 s5, vcc_lo
	s_cbranch_execnz .LBB49_69
; %bb.42:                               ;   in Loop: Header=BB49_26 Depth=1
	s_or_b32 exec_lo, exec_lo, s5
	global_load_dwordx4 v[57:60], v[65:66], off offset:512
	s_and_saveexec_b32 s5, vcc_lo
	s_cbranch_execnz .LBB49_70
.LBB49_43:                              ;   in Loop: Header=BB49_26 Depth=1
	s_or_b32 exec_lo, exec_lo, s5
	global_load_dwordx4 v[61:64], v[65:66], off offset:1024
	s_and_saveexec_b32 s5, vcc_lo
	s_cbranch_execnz .LBB49_71
.LBB49_44:                              ;   in Loop: Header=BB49_26 Depth=1
	s_or_b32 exec_lo, exec_lo, s5
	global_load_dwordx4 v[65:68], v[65:66], off offset:1536
	s_and_saveexec_b32 s5, vcc_lo
	s_cbranch_execz .LBB49_46
.LBB49_45:                              ;   in Loop: Header=BB49_26 Depth=1
	v_cmp_gt_i32_e64 s0, s11, v126
	s_waitcnt vmcnt(0)
	v_cndmask_b32_e64 v65, 0, v65, s0
	v_cmp_gt_i32_e64 s0, s11, v124
	v_cndmask_b32_e64 v66, 0, v66, s0
	v_cmp_gt_i32_e64 s0, s11, v127
	;; [unrolled: 2-line block ×3, first 2 shown]
	v_cndmask_b32_e64 v68, 0, v68, s0
.LBB49_46:                              ;   in Loop: Header=BB49_26 Depth=1
	s_or_b32 exec_lo, exec_lo, s5
	v_add_co_u32 v83, s0, 0x2000, v81
	v_add_co_ci_u32_e64 v84, null, 0, v82, s0
	global_load_dwordx4 v[69:72], v[83:84], off
	s_and_saveexec_b32 s5, vcc_lo
	s_cbranch_execnz .LBB49_72
; %bb.47:                               ;   in Loop: Header=BB49_26 Depth=1
	s_or_b32 exec_lo, exec_lo, s5
	global_load_dwordx4 v[73:76], v[83:84], off offset:512
	s_and_saveexec_b32 s5, vcc_lo
	s_cbranch_execnz .LBB49_73
.LBB49_48:                              ;   in Loop: Header=BB49_26 Depth=1
	s_or_b32 exec_lo, exec_lo, s5
	global_load_dwordx4 v[77:80], v[83:84], off offset:1024
	s_and_saveexec_b32 s5, vcc_lo
	s_cbranch_execnz .LBB49_74
.LBB49_49:                              ;   in Loop: Header=BB49_26 Depth=1
	s_or_b32 exec_lo, exec_lo, s5
	global_load_dwordx4 v[85:88], v[83:84], off offset:1536
	s_and_saveexec_b32 s5, vcc_lo
	s_cbranch_execz .LBB49_51
.LBB49_50:                              ;   in Loop: Header=BB49_26 Depth=1
	v_cmp_gt_i32_e64 s0, s11, v126
	s_waitcnt vmcnt(0)
	v_cndmask_b32_e64 v85, 0, v85, s0
	v_cmp_gt_i32_e64 s0, s11, v124
	v_cndmask_b32_e64 v86, 0, v86, s0
	v_cmp_gt_i32_e64 s0, s11, v127
	;; [unrolled: 2-line block ×3, first 2 shown]
	v_cndmask_b32_e64 v88, 0, v88, s0
.LBB49_51:                              ;   in Loop: Header=BB49_26 Depth=1
	s_or_b32 exec_lo, exec_lo, s5
	v_add_co_u32 v83, s0, 0x2800, v81
	v_add_co_ci_u32_e64 v84, null, 0, v82, s0
	global_load_dwordx4 v[89:92], v[83:84], off
	s_and_saveexec_b32 s5, vcc_lo
	s_cbranch_execnz .LBB49_75
; %bb.52:                               ;   in Loop: Header=BB49_26 Depth=1
	s_or_b32 exec_lo, exec_lo, s5
	global_load_dwordx4 v[93:96], v[83:84], off offset:512
	s_and_saveexec_b32 s5, vcc_lo
	s_cbranch_execnz .LBB49_76
.LBB49_53:                              ;   in Loop: Header=BB49_26 Depth=1
	s_or_b32 exec_lo, exec_lo, s5
	global_load_dwordx4 v[97:100], v[83:84], off offset:1024
	s_and_saveexec_b32 s5, vcc_lo
	s_cbranch_execnz .LBB49_77
.LBB49_54:                              ;   in Loop: Header=BB49_26 Depth=1
	s_or_b32 exec_lo, exec_lo, s5
	global_load_dwordx4 v[101:104], v[83:84], off offset:1536
	s_and_saveexec_b32 s5, vcc_lo
	s_cbranch_execz .LBB49_56
.LBB49_55:                              ;   in Loop: Header=BB49_26 Depth=1
	v_cmp_gt_i32_e64 s0, s11, v126
	s_waitcnt vmcnt(0)
	v_cndmask_b32_e64 v101, 0, v101, s0
	v_cmp_gt_i32_e64 s0, s11, v124
	v_cndmask_b32_e64 v102, 0, v102, s0
	v_cmp_gt_i32_e64 s0, s11, v127
	;; [unrolled: 2-line block ×3, first 2 shown]
	v_cndmask_b32_e64 v104, 0, v104, s0
.LBB49_56:                              ;   in Loop: Header=BB49_26 Depth=1
	s_or_b32 exec_lo, exec_lo, s5
	v_add_co_u32 v81, s0, 0x3000, v81
	v_add_co_ci_u32_e64 v82, null, 0, v82, s0
	global_load_dwordx4 v[105:108], v[81:82], off
	s_and_saveexec_b32 s5, vcc_lo
	s_cbranch_execnz .LBB49_78
; %bb.57:                               ;   in Loop: Header=BB49_26 Depth=1
	s_or_b32 exec_lo, exec_lo, s5
	global_load_dwordx4 v[109:112], v[81:82], off offset:512
	s_and_saveexec_b32 s5, vcc_lo
	s_cbranch_execnz .LBB49_79
.LBB49_58:                              ;   in Loop: Header=BB49_26 Depth=1
	s_or_b32 exec_lo, exec_lo, s5
	global_load_dwordx4 v[113:116], v[81:82], off offset:1024
	s_and_saveexec_b32 s5, vcc_lo
	s_cbranch_execnz .LBB49_80
.LBB49_59:                              ;   in Loop: Header=BB49_26 Depth=1
	s_or_b32 exec_lo, exec_lo, s5
	global_load_dwordx4 v[81:84], v[81:82], off offset:1536
	s_and_saveexec_b32 s0, vcc_lo
	s_cbranch_execz .LBB49_25
	s_branch .LBB49_81
.LBB49_60:                              ;   in Loop: Header=BB49_26 Depth=1
	v_cmp_gt_i32_e64 s0, s11, v126
	s_waitcnt vmcnt(0)
	v_cndmask_b32_e64 v5, 0, v5, s0
	v_cmp_gt_i32_e64 s0, s11, v124
	v_cndmask_b32_e64 v6, 0, v6, s0
	v_cmp_gt_i32_e64 s0, s11, v127
	;; [unrolled: 2-line block ×3, first 2 shown]
	v_cndmask_b32_e64 v8, 0, v8, s0
	s_or_b32 exec_lo, exec_lo, s5
	global_load_dwordx4 v[9:12], v[81:82], off offset:512
	s_and_saveexec_b32 s5, vcc_lo
	s_cbranch_execz .LBB49_28
.LBB49_61:                              ;   in Loop: Header=BB49_26 Depth=1
	v_cmp_gt_i32_e64 s0, s11, v126
	s_waitcnt vmcnt(0)
	v_cndmask_b32_e64 v9, 0, v9, s0
	v_cmp_gt_i32_e64 s0, s11, v124
	v_cndmask_b32_e64 v10, 0, v10, s0
	v_cmp_gt_i32_e64 s0, s11, v127
	;; [unrolled: 2-line block ×3, first 2 shown]
	v_cndmask_b32_e64 v12, 0, v12, s0
	s_or_b32 exec_lo, exec_lo, s5
	global_load_dwordx4 v[13:16], v[81:82], off offset:1024
	s_and_saveexec_b32 s5, vcc_lo
	s_cbranch_execz .LBB49_29
.LBB49_62:                              ;   in Loop: Header=BB49_26 Depth=1
	v_cmp_gt_i32_e64 s0, s11, v126
	s_waitcnt vmcnt(0)
	v_cndmask_b32_e64 v13, 0, v13, s0
	v_cmp_gt_i32_e64 s0, s11, v124
	v_cndmask_b32_e64 v14, 0, v14, s0
	v_cmp_gt_i32_e64 s0, s11, v127
	;; [unrolled: 2-line block ×3, first 2 shown]
	v_cndmask_b32_e64 v16, 0, v16, s0
	s_or_b32 exec_lo, exec_lo, s5
	global_load_dwordx4 v[17:20], v[81:82], off offset:1536
	s_and_saveexec_b32 s5, vcc_lo
	s_cbranch_execnz .LBB49_30
	s_branch .LBB49_31
.LBB49_63:                              ;   in Loop: Header=BB49_26 Depth=1
	v_cmp_gt_i32_e64 s0, s11, v126
	s_waitcnt vmcnt(0)
	v_cndmask_b32_e64 v21, 0, v21, s0
	v_cmp_gt_i32_e64 s0, s11, v124
	v_cndmask_b32_e64 v22, 0, v22, s0
	v_cmp_gt_i32_e64 s0, s11, v127
	;; [unrolled: 2-line block ×3, first 2 shown]
	v_cndmask_b32_e64 v24, 0, v24, s0
	s_or_b32 exec_lo, exec_lo, s5
	global_load_dwordx4 v[25:28], v[33:34], off offset:512
	s_and_saveexec_b32 s5, vcc_lo
	s_cbranch_execz .LBB49_33
.LBB49_64:                              ;   in Loop: Header=BB49_26 Depth=1
	v_cmp_gt_i32_e64 s0, s11, v126
	s_waitcnt vmcnt(0)
	v_cndmask_b32_e64 v25, 0, v25, s0
	v_cmp_gt_i32_e64 s0, s11, v124
	v_cndmask_b32_e64 v26, 0, v26, s0
	v_cmp_gt_i32_e64 s0, s11, v127
	;; [unrolled: 2-line block ×3, first 2 shown]
	v_cndmask_b32_e64 v28, 0, v28, s0
	s_or_b32 exec_lo, exec_lo, s5
	global_load_dwordx4 v[29:32], v[33:34], off offset:1024
	s_and_saveexec_b32 s5, vcc_lo
	s_cbranch_execz .LBB49_34
.LBB49_65:                              ;   in Loop: Header=BB49_26 Depth=1
	v_cmp_gt_i32_e64 s0, s11, v126
	s_waitcnt vmcnt(0)
	v_cndmask_b32_e64 v29, 0, v29, s0
	v_cmp_gt_i32_e64 s0, s11, v124
	v_cndmask_b32_e64 v30, 0, v30, s0
	v_cmp_gt_i32_e64 s0, s11, v127
	;; [unrolled: 2-line block ×3, first 2 shown]
	v_cndmask_b32_e64 v32, 0, v32, s0
	s_or_b32 exec_lo, exec_lo, s5
	global_load_dwordx4 v[33:36], v[33:34], off offset:1536
	s_and_saveexec_b32 s5, vcc_lo
	s_cbranch_execnz .LBB49_35
	s_branch .LBB49_36
.LBB49_66:                              ;   in Loop: Header=BB49_26 Depth=1
	v_cmp_gt_i32_e64 s0, s11, v126
	s_waitcnt vmcnt(0)
	v_cndmask_b32_e64 v37, 0, v37, s0
	v_cmp_gt_i32_e64 s0, s11, v124
	v_cndmask_b32_e64 v38, 0, v38, s0
	v_cmp_gt_i32_e64 s0, s11, v127
	;; [unrolled: 2-line block ×3, first 2 shown]
	v_cndmask_b32_e64 v40, 0, v40, s0
	s_or_b32 exec_lo, exec_lo, s5
	global_load_dwordx4 v[41:44], v[49:50], off offset:512
	s_and_saveexec_b32 s5, vcc_lo
	s_cbranch_execz .LBB49_38
.LBB49_67:                              ;   in Loop: Header=BB49_26 Depth=1
	v_cmp_gt_i32_e64 s0, s11, v126
	s_waitcnt vmcnt(0)
	v_cndmask_b32_e64 v41, 0, v41, s0
	v_cmp_gt_i32_e64 s0, s11, v124
	v_cndmask_b32_e64 v42, 0, v42, s0
	v_cmp_gt_i32_e64 s0, s11, v127
	;; [unrolled: 2-line block ×3, first 2 shown]
	v_cndmask_b32_e64 v44, 0, v44, s0
	s_or_b32 exec_lo, exec_lo, s5
	global_load_dwordx4 v[45:48], v[49:50], off offset:1024
	s_and_saveexec_b32 s5, vcc_lo
	s_cbranch_execz .LBB49_39
.LBB49_68:                              ;   in Loop: Header=BB49_26 Depth=1
	v_cmp_gt_i32_e64 s0, s11, v126
	s_waitcnt vmcnt(0)
	v_cndmask_b32_e64 v45, 0, v45, s0
	v_cmp_gt_i32_e64 s0, s11, v124
	v_cndmask_b32_e64 v46, 0, v46, s0
	v_cmp_gt_i32_e64 s0, s11, v127
	;; [unrolled: 2-line block ×3, first 2 shown]
	v_cndmask_b32_e64 v48, 0, v48, s0
	s_or_b32 exec_lo, exec_lo, s5
	global_load_dwordx4 v[49:52], v[49:50], off offset:1536
	s_and_saveexec_b32 s5, vcc_lo
	s_cbranch_execnz .LBB49_40
	s_branch .LBB49_41
.LBB49_69:                              ;   in Loop: Header=BB49_26 Depth=1
	v_cmp_gt_i32_e64 s0, s11, v126
	s_waitcnt vmcnt(0)
	v_cndmask_b32_e64 v53, 0, v53, s0
	v_cmp_gt_i32_e64 s0, s11, v124
	v_cndmask_b32_e64 v54, 0, v54, s0
	v_cmp_gt_i32_e64 s0, s11, v127
	;; [unrolled: 2-line block ×3, first 2 shown]
	v_cndmask_b32_e64 v56, 0, v56, s0
	s_or_b32 exec_lo, exec_lo, s5
	global_load_dwordx4 v[57:60], v[65:66], off offset:512
	s_and_saveexec_b32 s5, vcc_lo
	s_cbranch_execz .LBB49_43
.LBB49_70:                              ;   in Loop: Header=BB49_26 Depth=1
	v_cmp_gt_i32_e64 s0, s11, v126
	s_waitcnt vmcnt(0)
	v_cndmask_b32_e64 v57, 0, v57, s0
	v_cmp_gt_i32_e64 s0, s11, v124
	v_cndmask_b32_e64 v58, 0, v58, s0
	v_cmp_gt_i32_e64 s0, s11, v127
	;; [unrolled: 2-line block ×3, first 2 shown]
	v_cndmask_b32_e64 v60, 0, v60, s0
	s_or_b32 exec_lo, exec_lo, s5
	global_load_dwordx4 v[61:64], v[65:66], off offset:1024
	s_and_saveexec_b32 s5, vcc_lo
	s_cbranch_execz .LBB49_44
.LBB49_71:                              ;   in Loop: Header=BB49_26 Depth=1
	v_cmp_gt_i32_e64 s0, s11, v126
	s_waitcnt vmcnt(0)
	v_cndmask_b32_e64 v61, 0, v61, s0
	v_cmp_gt_i32_e64 s0, s11, v124
	v_cndmask_b32_e64 v62, 0, v62, s0
	v_cmp_gt_i32_e64 s0, s11, v127
	;; [unrolled: 2-line block ×3, first 2 shown]
	v_cndmask_b32_e64 v64, 0, v64, s0
	s_or_b32 exec_lo, exec_lo, s5
	global_load_dwordx4 v[65:68], v[65:66], off offset:1536
	s_and_saveexec_b32 s5, vcc_lo
	s_cbranch_execnz .LBB49_45
	s_branch .LBB49_46
.LBB49_72:                              ;   in Loop: Header=BB49_26 Depth=1
	v_cmp_gt_i32_e64 s0, s11, v126
	s_waitcnt vmcnt(0)
	v_cndmask_b32_e64 v69, 0, v69, s0
	v_cmp_gt_i32_e64 s0, s11, v124
	v_cndmask_b32_e64 v70, 0, v70, s0
	v_cmp_gt_i32_e64 s0, s11, v127
	;; [unrolled: 2-line block ×3, first 2 shown]
	v_cndmask_b32_e64 v72, 0, v72, s0
	s_or_b32 exec_lo, exec_lo, s5
	global_load_dwordx4 v[73:76], v[83:84], off offset:512
	s_and_saveexec_b32 s5, vcc_lo
	s_cbranch_execz .LBB49_48
.LBB49_73:                              ;   in Loop: Header=BB49_26 Depth=1
	v_cmp_gt_i32_e64 s0, s11, v126
	s_waitcnt vmcnt(0)
	v_cndmask_b32_e64 v73, 0, v73, s0
	v_cmp_gt_i32_e64 s0, s11, v124
	v_cndmask_b32_e64 v74, 0, v74, s0
	v_cmp_gt_i32_e64 s0, s11, v127
	;; [unrolled: 2-line block ×3, first 2 shown]
	v_cndmask_b32_e64 v76, 0, v76, s0
	s_or_b32 exec_lo, exec_lo, s5
	global_load_dwordx4 v[77:80], v[83:84], off offset:1024
	s_and_saveexec_b32 s5, vcc_lo
	s_cbranch_execz .LBB49_49
.LBB49_74:                              ;   in Loop: Header=BB49_26 Depth=1
	v_cmp_gt_i32_e64 s0, s11, v126
	s_waitcnt vmcnt(0)
	v_cndmask_b32_e64 v77, 0, v77, s0
	v_cmp_gt_i32_e64 s0, s11, v124
	v_cndmask_b32_e64 v78, 0, v78, s0
	v_cmp_gt_i32_e64 s0, s11, v127
	;; [unrolled: 2-line block ×3, first 2 shown]
	v_cndmask_b32_e64 v80, 0, v80, s0
	s_or_b32 exec_lo, exec_lo, s5
	global_load_dwordx4 v[85:88], v[83:84], off offset:1536
	s_and_saveexec_b32 s5, vcc_lo
	s_cbranch_execnz .LBB49_50
	s_branch .LBB49_51
.LBB49_75:                              ;   in Loop: Header=BB49_26 Depth=1
	v_cmp_gt_i32_e64 s0, s11, v126
	s_waitcnt vmcnt(0)
	v_cndmask_b32_e64 v89, 0, v89, s0
	v_cmp_gt_i32_e64 s0, s11, v124
	v_cndmask_b32_e64 v90, 0, v90, s0
	v_cmp_gt_i32_e64 s0, s11, v127
	;; [unrolled: 2-line block ×3, first 2 shown]
	v_cndmask_b32_e64 v92, 0, v92, s0
	s_or_b32 exec_lo, exec_lo, s5
	global_load_dwordx4 v[93:96], v[83:84], off offset:512
	s_and_saveexec_b32 s5, vcc_lo
	s_cbranch_execz .LBB49_53
.LBB49_76:                              ;   in Loop: Header=BB49_26 Depth=1
	v_cmp_gt_i32_e64 s0, s11, v126
	s_waitcnt vmcnt(0)
	v_cndmask_b32_e64 v93, 0, v93, s0
	v_cmp_gt_i32_e64 s0, s11, v124
	v_cndmask_b32_e64 v94, 0, v94, s0
	v_cmp_gt_i32_e64 s0, s11, v127
	;; [unrolled: 2-line block ×3, first 2 shown]
	v_cndmask_b32_e64 v96, 0, v96, s0
	s_or_b32 exec_lo, exec_lo, s5
	global_load_dwordx4 v[97:100], v[83:84], off offset:1024
	s_and_saveexec_b32 s5, vcc_lo
	s_cbranch_execz .LBB49_54
.LBB49_77:                              ;   in Loop: Header=BB49_26 Depth=1
	v_cmp_gt_i32_e64 s0, s11, v126
	s_waitcnt vmcnt(0)
	v_cndmask_b32_e64 v97, 0, v97, s0
	v_cmp_gt_i32_e64 s0, s11, v124
	v_cndmask_b32_e64 v98, 0, v98, s0
	v_cmp_gt_i32_e64 s0, s11, v127
	;; [unrolled: 2-line block ×3, first 2 shown]
	v_cndmask_b32_e64 v100, 0, v100, s0
	s_or_b32 exec_lo, exec_lo, s5
	global_load_dwordx4 v[101:104], v[83:84], off offset:1536
	s_and_saveexec_b32 s5, vcc_lo
	s_cbranch_execnz .LBB49_55
	s_branch .LBB49_56
.LBB49_78:                              ;   in Loop: Header=BB49_26 Depth=1
	v_cmp_gt_i32_e64 s0, s11, v126
	s_waitcnt vmcnt(0)
	v_cndmask_b32_e64 v105, 0, v105, s0
	v_cmp_gt_i32_e64 s0, s11, v124
	v_cndmask_b32_e64 v106, 0, v106, s0
	v_cmp_gt_i32_e64 s0, s11, v127
	;; [unrolled: 2-line block ×3, first 2 shown]
	v_cndmask_b32_e64 v108, 0, v108, s0
	s_or_b32 exec_lo, exec_lo, s5
	global_load_dwordx4 v[109:112], v[81:82], off offset:512
	s_and_saveexec_b32 s5, vcc_lo
	s_cbranch_execz .LBB49_58
.LBB49_79:                              ;   in Loop: Header=BB49_26 Depth=1
	v_cmp_gt_i32_e64 s0, s11, v126
	s_waitcnt vmcnt(0)
	v_cndmask_b32_e64 v109, 0, v109, s0
	v_cmp_gt_i32_e64 s0, s11, v124
	v_cndmask_b32_e64 v110, 0, v110, s0
	v_cmp_gt_i32_e64 s0, s11, v127
	;; [unrolled: 2-line block ×3, first 2 shown]
	v_cndmask_b32_e64 v112, 0, v112, s0
	s_or_b32 exec_lo, exec_lo, s5
	global_load_dwordx4 v[113:116], v[81:82], off offset:1024
	s_and_saveexec_b32 s5, vcc_lo
	s_cbranch_execz .LBB49_59
.LBB49_80:                              ;   in Loop: Header=BB49_26 Depth=1
	v_cmp_gt_i32_e64 s0, s11, v126
	s_waitcnt vmcnt(0)
	v_cndmask_b32_e64 v113, 0, v113, s0
	v_cmp_gt_i32_e64 s0, s11, v124
	v_cndmask_b32_e64 v114, 0, v114, s0
	v_cmp_gt_i32_e64 s0, s11, v127
	v_cndmask_b32_e64 v115, 0, v115, s0
	v_cmp_gt_i32_e64 s0, s11, v121
	v_cndmask_b32_e64 v116, 0, v116, s0
	s_or_b32 exec_lo, exec_lo, s5
	global_load_dwordx4 v[81:84], v[81:82], off offset:1536
	s_and_saveexec_b32 s0, vcc_lo
	s_cbranch_execz .LBB49_25
.LBB49_81:                              ;   in Loop: Header=BB49_26 Depth=1
	v_cmp_gt_i32_e32 vcc_lo, s11, v126
	s_waitcnt vmcnt(0)
	v_cndmask_b32_e32 v81, 0, v81, vcc_lo
	v_cmp_gt_i32_e32 vcc_lo, s11, v124
	v_cndmask_b32_e32 v82, 0, v82, vcc_lo
	v_cmp_gt_i32_e32 vcc_lo, s11, v127
	;; [unrolled: 2-line block ×3, first 2 shown]
	v_cndmask_b32_e32 v84, 0, v84, vcc_lo
	s_branch .LBB49_25
.LBB49_82:
	s_or_b32 exec_lo, exec_lo, s3
	s_clause 0x1c
	buffer_load_dword v51, off, s[28:31], 0 offset:128
	buffer_load_dword v125, off, s[28:31], 0 offset:132
	;; [unrolled: 1-line block ×7, first 2 shown]
	buffer_load_dword v46, off, s[28:31], 0
	buffer_load_dword v43, off, s[28:31], 0 offset:16
	buffer_load_dword v41, off, s[28:31], 0 offset:32
	;; [unrolled: 1-line block ×21, first 2 shown]
	v_mov_b32_e32 v14, v0
.LBB49_83:
	s_or_b32 exec_lo, exec_lo, s1
	s_waitcnt vmcnt(23)
	ds_bpermute_b32 v1, v35, v5
	ds_bpermute_b32 v2, v35, v120
	;; [unrolled: 1-line block ×4, first 2 shown]
	v_mov_b32_e32 v0, v5
	ds_bpermute_b32 v5, v35, v123
	s_waitcnt vmcnt(0)
	ds_bpermute_b32 v6, v35, v15
	ds_bpermute_b32 v7, v35, v13
	;; [unrolled: 1-line block ×9, first 2 shown]
	s_mov_b32 s0, exec_lo
	s_waitcnt lgkmcnt(0)
	s_waitcnt_vscnt null, 0x0
	s_barrier
	buffer_gl0_inv
	v_add_f32_e32 v1, v0, v1
	v_add_f32_e32 v0, v120, v2
	;; [unrolled: 1-line block ×8, first 2 shown]
	ds_bpermute_b32 v8, v44, v1
	ds_bpermute_b32 v11, v44, v0
	;; [unrolled: 1-line block ×6, first 2 shown]
	v_add_f32_e32 v9, v20, v9
	ds_bpermute_b32 v20, v35, v25
	ds_bpermute_b32 v15, v44, v5
	v_add_f32_e32 v10, v21, v10
	ds_bpermute_b32 v21, v35, v26
	v_add_f32_e32 v19, v27, v19
	v_add_f32_e32 v18, v28, v18
	;; [unrolled: 1-line block ×3, first 2 shown]
	ds_bpermute_b32 v23, v44, v9
	ds_bpermute_b32 v12, v44, v2
	ds_bpermute_b32 v27, v44, v19
	v_add_f32_e32 v34, v46, v34
	ds_bpermute_b32 v24, v44, v10
	s_waitcnt lgkmcnt(12)
	v_add_f32_e32 v1, v1, v8
	s_waitcnt lgkmcnt(11)
	v_add_f32_e32 v8, v0, v11
	;; [unrolled: 2-line block ×5, first 2 shown]
	ds_bpermute_b32 v0, v50, v1
	ds_bpermute_b32 v11, v50, v8
	;; [unrolled: 1-line block ×5, first 2 shown]
	s_waitcnt lgkmcnt(12)
	v_add_f32_e32 v7, v7, v17
	s_waitcnt lgkmcnt(11)
	v_add_f32_e32 v20, v25, v20
	;; [unrolled: 2-line block ×4, first 2 shown]
	ds_bpermute_b32 v25, v35, v30
	ds_bpermute_b32 v17, v50, v7
	;; [unrolled: 1-line block ×6, first 2 shown]
	s_waitcnt lgkmcnt(14)
	v_add_f32_e32 v9, v9, v23
	ds_bpermute_b32 v23, v35, v37
	s_waitcnt lgkmcnt(14)
	v_add_f32_e32 v2, v2, v12
	s_waitcnt lgkmcnt(12)
	v_add_f32_e32 v10, v10, v24
	;; [unrolled: 2-line block ×6, first 2 shown]
	ds_bpermute_b32 v8, v35, v31
	ds_bpermute_b32 v13, v44, v22
	;; [unrolled: 1-line block ×3, first 2 shown]
	s_waitcnt lgkmcnt(10)
	v_add_f32_e32 v6, v6, v16
	v_add_f32_e32 v16, v19, v27
	ds_bpermute_b32 v19, v35, v36
	s_waitcnt lgkmcnt(9)
	v_add_f32_e32 v7, v7, v17
	s_waitcnt lgkmcnt(8)
	v_add_f32_e32 v17, v20, v28
	ds_bpermute_b32 v28, v35, v42
	s_waitcnt lgkmcnt(8)
	v_add_f32_e32 v5, v5, v15
	s_waitcnt lgkmcnt(7)
	v_add_f32_e32 v15, v18, v26
	v_add_f32_e32 v18, v30, v25
	ds_bpermute_b32 v27, v35, v38
	s_waitcnt lgkmcnt(7)
	v_add_f32_e32 v21, v21, v29
	ds_bpermute_b32 v29, v35, v40
	ds_bpermute_b32 v30, v35, v39
	;; [unrolled: 1-line block ×3, first 2 shown]
	s_waitcnt lgkmcnt(9)
	v_add_f32_e32 v23, v37, v23
	ds_bpermute_b32 v12, v50, v2
	ds_bpermute_b32 v32, v50, v21
	s_waitcnt lgkmcnt(10)
	v_add_f32_e32 v8, v31, v8
	ds_bpermute_b32 v31, v35, v41
	s_waitcnt lgkmcnt(10)
	v_add_f32_e32 v22, v22, v13
	s_waitcnt lgkmcnt(9)
	v_add_f32_e32 v13, v33, v14
	ds_bpermute_b32 v14, v35, v43
	ds_bpermute_b32 v35, v35, v45
	;; [unrolled: 1-line block ×3, first 2 shown]
	s_waitcnt lgkmcnt(11)
	v_add_f32_e32 v19, v36, v19
	ds_bpermute_b32 v36, v44, v13
	s_waitcnt lgkmcnt(11)
	v_add_f32_e32 v28, v42, v28
	ds_bpermute_b32 v11, v50, v9
	ds_bpermute_b32 v20, v50, v15
	s_waitcnt lgkmcnt(12)
	v_add_f32_e32 v27, v38, v27
	ds_bpermute_b32 v38, v44, v23
	s_waitcnt lgkmcnt(12)
	v_add_f32_e32 v29, v40, v29
	s_waitcnt lgkmcnt(11)
	v_add_f32_e32 v30, v39, v30
	ds_bpermute_b32 v40, v44, v28
	s_waitcnt lgkmcnt(11)
	v_add_f32_e32 v18, v18, v25
	ds_bpermute_b32 v25, v44, v19
	ds_bpermute_b32 v39, v44, v27
	;; [unrolled: 1-line block ×3, first 2 shown]
	s_waitcnt lgkmcnt(11)
	v_add_f32_e32 v31, v41, v31
	ds_bpermute_b32 v41, v44, v29
	v_add_f32_e32 v2, v2, v12
	s_waitcnt lgkmcnt(11)
	v_add_f32_e32 v14, v43, v14
	s_waitcnt lgkmcnt(10)
	v_add_f32_e32 v35, v45, v35
	ds_bpermute_b32 v43, v44, v31
	s_waitcnt lgkmcnt(10)
	v_add_f32_e32 v33, v8, v33
	s_waitcnt lgkmcnt(9)
	v_add_f32_e32 v36, v13, v36
	ds_bpermute_b32 v8, v44, v14
	ds_bpermute_b32 v13, v44, v34
	;; [unrolled: 1-line block ×4, first 2 shown]
	s_waitcnt lgkmcnt(10)
	v_add_f32_e32 v23, v23, v38
	ds_bpermute_b32 v24, v50, v16
	ds_bpermute_b32 v26, v50, v17
	s_waitcnt lgkmcnt(11)
	v_add_f32_e32 v28, v28, v40
	ds_bpermute_b32 v37, v50, v22
	s_waitcnt lgkmcnt(11)
	v_add_f32_e32 v19, v19, v25
	s_waitcnt lgkmcnt(10)
	v_add_f32_e32 v27, v27, v39
	;; [unrolled: 2-line block ×3, first 2 shown]
	ds_bpermute_b32 v25, v50, v18
	s_waitcnt lgkmcnt(9)
	v_add_f32_e32 v29, v29, v41
	ds_bpermute_b32 v41, v50, v28
	ds_bpermute_b32 v38, v50, v33
	;; [unrolled: 1-line block ×3, first 2 shown]
	s_waitcnt lgkmcnt(11)
	v_add_f32_e32 v31, v31, v43
	ds_bpermute_b32 v46, v50, v19
	ds_bpermute_b32 v39, v50, v23
	s_waitcnt lgkmcnt(12)
	v_add_f32_e32 v47, v14, v8
	s_waitcnt lgkmcnt(11)
	v_add_f32_e32 v34, v34, v13
	;; [unrolled: 2-line block ×3, first 2 shown]
	ds_bpermute_b32 v40, v50, v27
	ds_bpermute_b32 v42, v50, v29
	;; [unrolled: 1-line block ×7, first 2 shown]
	v_add_f32_e32 v13, v21, v32
	v_add_f32_e32 v8, v9, v11
	s_waitcnt lgkmcnt(16)
	v_add_f32_e32 v9, v10, v12
	v_add_f32_e32 v10, v15, v20
	s_waitcnt lgkmcnt(11)
	v_add_f32_e32 v21, v28, v41
	v_lshrrev_b32_e32 v28, 3, v113
	v_add_f32_e32 v11, v16, v24
	v_add_f32_e32 v12, v17, v26
	;; [unrolled: 1-line block ×4, first 2 shown]
	s_waitcnt lgkmcnt(10)
	v_add_f32_e32 v16, v33, v38
	s_waitcnt lgkmcnt(9)
	v_add_f32_e32 v17, v36, v45
	;; [unrolled: 2-line block ×9, first 2 shown]
	v_and_b32_e32 v31, 0x3c7, v51
	s_waitcnt lgkmcnt(1)
	v_add_f32_e32 v26, v34, v49
	s_waitcnt lgkmcnt(0)
	v_add_f32_e32 v27, v35, v50
	v_lshl_add_u32 v29, v28, 2, 0x1e0
	v_mul_u32_u24_e32 v30, 0x1c0, v125
	v_cmpx_eq_u32_e32 64, v31
	s_cbranch_execz .LBB49_85
; %bb.84:
	v_add_nc_u32_e32 v31, v29, v30
	v_add_nc_u32_e32 v32, 0xfffffc80, v31
	;; [unrolled: 1-line block ×8, first 2 shown]
	ds_write_b32 v32, v0
	ds_write_b32 v33, v1
	;; [unrolled: 1-line block ×3, first 2 shown]
	v_add_nc_u32_e32 v32, 0xfffffcf0, v31
	ds_write_b32 v35, v3
	ds_write_b32 v36, v4
	ds_write_b32 v37, v5
	ds_write_b32 v38, v6
	ds_write_b32 v32, v7
	v_add_nc_u32_e32 v32, 0xfffffd00, v31
	v_add_nc_u32_e32 v33, 0xfffffd10, v31
	v_add_nc_u32_e32 v34, 0xfffffd20, v31
	v_add_nc_u32_e32 v35, 0xfffffd30, v31
	v_add_nc_u32_e32 v36, 0xfffffd40, v31
	ds_write_b32 v32, v8
	ds_write_b32 v33, v9
	ds_write_b32 v34, v10
	ds_write_b32 v35, v11
	ds_write_b32 v36, v12
	v_add_nc_u32_e32 v32, 0xfffffd50, v31
	v_add_nc_u32_e32 v33, 0xfffffd60, v31
	v_add_nc_u32_e32 v34, 0xfffffd70, v31
	v_add_nc_u32_e32 v35, 0xfffffd80, v31
	;; [unrolled: 10-line block ×4, first 2 shown]
	v_add_nc_u32_e32 v31, 0xfffffe30, v31
	ds_write_b32 v32, v23
	ds_write_b32 v33, v24
	;; [unrolled: 1-line block ×5, first 2 shown]
.LBB49_85:
	s_or_b32 exec_lo, exec_lo, s0
	v_lshlrev_b32_e32 v28, 2, v28
	s_mov_b32 s1, exec_lo
	v_cmp_eq_u32_e32 vcc_lo, 0, v52
	s_waitcnt lgkmcnt(0)
	s_barrier
	v_add3_u32 v28, 0x1e0, v30, v28
	buffer_gl0_inv
	v_cmpx_gt_u32_e32 64, v51
	s_cbranch_execz .LBB49_116
; %bb.86:
	s_and_saveexec_b32 s0, vcc_lo
	s_cbranch_execnz .LBB49_152
; %bb.87:
	s_or_b32 exec_lo, exec_lo, s0
	s_and_saveexec_b32 s0, vcc_lo
	s_cbranch_execnz .LBB49_153
.LBB49_88:
	s_or_b32 exec_lo, exec_lo, s0
	s_and_saveexec_b32 s0, vcc_lo
	s_cbranch_execnz .LBB49_154
.LBB49_89:
	s_or_b32 exec_lo, exec_lo, s0
	s_and_saveexec_b32 s0, vcc_lo
	s_cbranch_execnz .LBB49_155
.LBB49_90:
	s_or_b32 exec_lo, exec_lo, s0
	s_and_saveexec_b32 s0, vcc_lo
	s_cbranch_execnz .LBB49_156
.LBB49_91:
	s_or_b32 exec_lo, exec_lo, s0
	s_and_saveexec_b32 s0, vcc_lo
	s_cbranch_execnz .LBB49_157
.LBB49_92:
	s_or_b32 exec_lo, exec_lo, s0
	s_and_saveexec_b32 s0, vcc_lo
	s_cbranch_execnz .LBB49_158
.LBB49_93:
	s_or_b32 exec_lo, exec_lo, s0
	s_and_saveexec_b32 s0, vcc_lo
	s_cbranch_execnz .LBB49_159
.LBB49_94:
	s_or_b32 exec_lo, exec_lo, s0
	s_and_saveexec_b32 s0, vcc_lo
	s_cbranch_execnz .LBB49_160
.LBB49_95:
	s_or_b32 exec_lo, exec_lo, s0
	s_and_saveexec_b32 s0, vcc_lo
	s_cbranch_execnz .LBB49_161
.LBB49_96:
	s_or_b32 exec_lo, exec_lo, s0
	s_and_saveexec_b32 s0, vcc_lo
	s_cbranch_execnz .LBB49_162
.LBB49_97:
	s_or_b32 exec_lo, exec_lo, s0
	s_and_saveexec_b32 s0, vcc_lo
	s_cbranch_execnz .LBB49_163
.LBB49_98:
	s_or_b32 exec_lo, exec_lo, s0
	s_and_saveexec_b32 s0, vcc_lo
	s_cbranch_execnz .LBB49_164
.LBB49_99:
	s_or_b32 exec_lo, exec_lo, s0
	s_and_saveexec_b32 s0, vcc_lo
	s_cbranch_execnz .LBB49_165
.LBB49_100:
	s_or_b32 exec_lo, exec_lo, s0
	s_and_saveexec_b32 s0, vcc_lo
	s_cbranch_execnz .LBB49_166
.LBB49_101:
	s_or_b32 exec_lo, exec_lo, s0
	s_and_saveexec_b32 s0, vcc_lo
	s_cbranch_execnz .LBB49_167
.LBB49_102:
	s_or_b32 exec_lo, exec_lo, s0
	s_and_saveexec_b32 s0, vcc_lo
	s_cbranch_execnz .LBB49_168
.LBB49_103:
	s_or_b32 exec_lo, exec_lo, s0
	s_and_saveexec_b32 s0, vcc_lo
	s_cbranch_execnz .LBB49_169
.LBB49_104:
	s_or_b32 exec_lo, exec_lo, s0
	s_and_saveexec_b32 s0, vcc_lo
	s_cbranch_execnz .LBB49_170
.LBB49_105:
	s_or_b32 exec_lo, exec_lo, s0
	s_and_saveexec_b32 s0, vcc_lo
	s_cbranch_execnz .LBB49_171
.LBB49_106:
	s_or_b32 exec_lo, exec_lo, s0
	s_and_saveexec_b32 s0, vcc_lo
	s_cbranch_execnz .LBB49_172
.LBB49_107:
	s_or_b32 exec_lo, exec_lo, s0
	s_and_saveexec_b32 s0, vcc_lo
	s_cbranch_execnz .LBB49_173
.LBB49_108:
	s_or_b32 exec_lo, exec_lo, s0
	s_and_saveexec_b32 s0, vcc_lo
	s_cbranch_execnz .LBB49_174
.LBB49_109:
	s_or_b32 exec_lo, exec_lo, s0
	s_and_saveexec_b32 s0, vcc_lo
	s_cbranch_execnz .LBB49_175
.LBB49_110:
	s_or_b32 exec_lo, exec_lo, s0
	s_and_saveexec_b32 s0, vcc_lo
	s_cbranch_execnz .LBB49_176
.LBB49_111:
	s_or_b32 exec_lo, exec_lo, s0
	s_and_saveexec_b32 s0, vcc_lo
	s_cbranch_execnz .LBB49_177
.LBB49_112:
	s_or_b32 exec_lo, exec_lo, s0
	s_and_saveexec_b32 s0, vcc_lo
	s_cbranch_execnz .LBB49_178
.LBB49_113:
	s_or_b32 exec_lo, exec_lo, s0
	s_and_saveexec_b32 s0, vcc_lo
	s_cbranch_execz .LBB49_115
.LBB49_114:
	ds_read_b32 v30, v28 offset:432
	s_waitcnt lgkmcnt(0)
	v_add_f32_e32 v27, v27, v30
.LBB49_115:
	s_or_b32 exec_lo, exec_lo, s0
.LBB49_116:
	s_or_b32 exec_lo, exec_lo, s1
	v_and_b32_e32 v30, 0x3e7, v51
	s_mov_b32 s1, exec_lo
	s_barrier
	buffer_gl0_inv
	v_cmpx_eq_u32_e32 32, v30
	s_cbranch_execz .LBB49_118
; %bb.117:
	ds_write2_b32 v29, v0, v1 offset1:4
	ds_write2_b32 v29, v2, v3 offset0:8 offset1:12
	ds_write2_b32 v29, v4, v5 offset0:16 offset1:20
	;; [unrolled: 1-line block ×13, first 2 shown]
.LBB49_118:
	s_or_b32 exec_lo, exec_lo, s1
	s_mov_b32 s1, exec_lo
	s_waitcnt lgkmcnt(0)
	s_barrier
	buffer_gl0_inv
	v_cmpx_gt_u32_e32 32, v51
	s_cbranch_execz .LBB49_149
; %bb.119:
	s_and_saveexec_b32 s0, vcc_lo
	s_cbranch_execnz .LBB49_179
; %bb.120:
	s_or_b32 exec_lo, exec_lo, s0
	s_and_saveexec_b32 s0, vcc_lo
	s_cbranch_execnz .LBB49_180
.LBB49_121:
	s_or_b32 exec_lo, exec_lo, s0
	s_and_saveexec_b32 s0, vcc_lo
	s_cbranch_execnz .LBB49_181
.LBB49_122:
	s_or_b32 exec_lo, exec_lo, s0
	s_and_saveexec_b32 s0, vcc_lo
	s_cbranch_execnz .LBB49_182
.LBB49_123:
	s_or_b32 exec_lo, exec_lo, s0
	s_and_saveexec_b32 s0, vcc_lo
	s_cbranch_execnz .LBB49_183
.LBB49_124:
	s_or_b32 exec_lo, exec_lo, s0
	s_and_saveexec_b32 s0, vcc_lo
	s_cbranch_execnz .LBB49_184
.LBB49_125:
	s_or_b32 exec_lo, exec_lo, s0
	s_and_saveexec_b32 s0, vcc_lo
	s_cbranch_execnz .LBB49_185
.LBB49_126:
	s_or_b32 exec_lo, exec_lo, s0
	s_and_saveexec_b32 s0, vcc_lo
	s_cbranch_execnz .LBB49_186
.LBB49_127:
	s_or_b32 exec_lo, exec_lo, s0
	s_and_saveexec_b32 s0, vcc_lo
	s_cbranch_execnz .LBB49_187
.LBB49_128:
	s_or_b32 exec_lo, exec_lo, s0
	s_and_saveexec_b32 s0, vcc_lo
	s_cbranch_execnz .LBB49_188
.LBB49_129:
	s_or_b32 exec_lo, exec_lo, s0
	s_and_saveexec_b32 s0, vcc_lo
	s_cbranch_execnz .LBB49_189
.LBB49_130:
	s_or_b32 exec_lo, exec_lo, s0
	s_and_saveexec_b32 s0, vcc_lo
	s_cbranch_execnz .LBB49_190
.LBB49_131:
	s_or_b32 exec_lo, exec_lo, s0
	s_and_saveexec_b32 s0, vcc_lo
	s_cbranch_execnz .LBB49_191
.LBB49_132:
	s_or_b32 exec_lo, exec_lo, s0
	s_and_saveexec_b32 s0, vcc_lo
	s_cbranch_execnz .LBB49_192
.LBB49_133:
	s_or_b32 exec_lo, exec_lo, s0
	s_and_saveexec_b32 s0, vcc_lo
	s_cbranch_execnz .LBB49_193
.LBB49_134:
	s_or_b32 exec_lo, exec_lo, s0
	s_and_saveexec_b32 s0, vcc_lo
	s_cbranch_execnz .LBB49_194
.LBB49_135:
	s_or_b32 exec_lo, exec_lo, s0
	s_and_saveexec_b32 s0, vcc_lo
	s_cbranch_execnz .LBB49_195
.LBB49_136:
	s_or_b32 exec_lo, exec_lo, s0
	s_and_saveexec_b32 s0, vcc_lo
	s_cbranch_execnz .LBB49_196
.LBB49_137:
	s_or_b32 exec_lo, exec_lo, s0
	s_and_saveexec_b32 s0, vcc_lo
	s_cbranch_execnz .LBB49_197
.LBB49_138:
	s_or_b32 exec_lo, exec_lo, s0
	s_and_saveexec_b32 s0, vcc_lo
	s_cbranch_execnz .LBB49_198
.LBB49_139:
	s_or_b32 exec_lo, exec_lo, s0
	s_and_saveexec_b32 s0, vcc_lo
	s_cbranch_execnz .LBB49_199
.LBB49_140:
	s_or_b32 exec_lo, exec_lo, s0
	s_and_saveexec_b32 s0, vcc_lo
	s_cbranch_execnz .LBB49_200
.LBB49_141:
	s_or_b32 exec_lo, exec_lo, s0
	s_and_saveexec_b32 s0, vcc_lo
	s_cbranch_execnz .LBB49_201
.LBB49_142:
	s_or_b32 exec_lo, exec_lo, s0
	s_and_saveexec_b32 s0, vcc_lo
	s_cbranch_execnz .LBB49_202
.LBB49_143:
	s_or_b32 exec_lo, exec_lo, s0
	s_and_saveexec_b32 s0, vcc_lo
	s_cbranch_execnz .LBB49_203
.LBB49_144:
	s_or_b32 exec_lo, exec_lo, s0
	s_and_saveexec_b32 s0, vcc_lo
	s_cbranch_execnz .LBB49_204
.LBB49_145:
	s_or_b32 exec_lo, exec_lo, s0
	s_and_saveexec_b32 s0, vcc_lo
	s_cbranch_execnz .LBB49_205
.LBB49_146:
	s_or_b32 exec_lo, exec_lo, s0
	s_and_saveexec_b32 s0, vcc_lo
	s_cbranch_execz .LBB49_148
.LBB49_147:
	ds_read_b32 v28, v28 offset:432
	s_waitcnt lgkmcnt(0)
	v_add_f32_e32 v27, v27, v28
.LBB49_148:
	s_or_b32 exec_lo, exec_lo, s0
.LBB49_149:
	s_or_b32 exec_lo, exec_lo, s1
	s_barrier
	buffer_gl0_inv
	s_mov_b32 s0, exec_lo
	v_cmpx_eq_u32_e32 0, v30
	s_cbranch_execz .LBB49_151
; %bb.150:
	s_mul_i32 s0, s10, s7
	s_mul_i32 s2, s7, s6
	;; [unrolled: 1-line block ×3, first 2 shown]
	v_lshrrev_b32_e32 v28, 1, v51
	s_mulk_i32 s0, 0x70
	s_ashr_i32 s1, s0, 31
	s_lshl_b64 s[0:1], s[0:1], 2
	s_add_u32 s4, s16, s0
	s_addc_u32 s5, s17, s1
	s_ashr_i32 s3, s2, 31
	s_lshl_b64 s[0:1], s[2:3], 2
	s_mul_i32 s2, s8, 0x70
	s_add_u32 s4, s4, s0
	s_addc_u32 s5, s5, s1
	s_ashr_i32 s3, s2, 31
	s_lshl_b64 s[0:1], s[2:3], 2
	s_add_u32 s0, s4, s0
	s_addc_u32 s1, s5, s1
	global_store_dword v28, v0, s[0:1]
	global_store_dword v28, v1, s[0:1] offset:16
	global_store_dword v28, v2, s[0:1] offset:32
	;; [unrolled: 1-line block ×27, first 2 shown]
.LBB49_151:
	s_endpgm
.LBB49_152:
	ds_read_b32 v30, v28
	s_waitcnt lgkmcnt(0)
	v_add_f32_e32 v0, v0, v30
	s_or_b32 exec_lo, exec_lo, s0
	s_and_saveexec_b32 s0, vcc_lo
	s_cbranch_execz .LBB49_88
.LBB49_153:
	ds_read_b32 v30, v28 offset:16
	s_waitcnt lgkmcnt(0)
	v_add_f32_e32 v1, v1, v30
	s_or_b32 exec_lo, exec_lo, s0
	s_and_saveexec_b32 s0, vcc_lo
	s_cbranch_execz .LBB49_89
.LBB49_154:
	ds_read_b32 v30, v28 offset:32
	s_waitcnt lgkmcnt(0)
	v_add_f32_e32 v2, v2, v30
	s_or_b32 exec_lo, exec_lo, s0
	s_and_saveexec_b32 s0, vcc_lo
	s_cbranch_execz .LBB49_90
.LBB49_155:
	ds_read_b32 v30, v28 offset:48
	s_waitcnt lgkmcnt(0)
	v_add_f32_e32 v3, v3, v30
	s_or_b32 exec_lo, exec_lo, s0
	s_and_saveexec_b32 s0, vcc_lo
	s_cbranch_execz .LBB49_91
.LBB49_156:
	ds_read_b32 v30, v28 offset:64
	s_waitcnt lgkmcnt(0)
	v_add_f32_e32 v4, v4, v30
	s_or_b32 exec_lo, exec_lo, s0
	s_and_saveexec_b32 s0, vcc_lo
	s_cbranch_execz .LBB49_92
.LBB49_157:
	ds_read_b32 v30, v28 offset:80
	s_waitcnt lgkmcnt(0)
	v_add_f32_e32 v5, v5, v30
	s_or_b32 exec_lo, exec_lo, s0
	s_and_saveexec_b32 s0, vcc_lo
	s_cbranch_execz .LBB49_93
.LBB49_158:
	ds_read_b32 v30, v28 offset:96
	s_waitcnt lgkmcnt(0)
	v_add_f32_e32 v6, v6, v30
	s_or_b32 exec_lo, exec_lo, s0
	s_and_saveexec_b32 s0, vcc_lo
	s_cbranch_execz .LBB49_94
.LBB49_159:
	ds_read_b32 v30, v28 offset:112
	s_waitcnt lgkmcnt(0)
	v_add_f32_e32 v7, v7, v30
	s_or_b32 exec_lo, exec_lo, s0
	s_and_saveexec_b32 s0, vcc_lo
	s_cbranch_execz .LBB49_95
.LBB49_160:
	ds_read_b32 v30, v28 offset:128
	s_waitcnt lgkmcnt(0)
	v_add_f32_e32 v8, v8, v30
	s_or_b32 exec_lo, exec_lo, s0
	s_and_saveexec_b32 s0, vcc_lo
	s_cbranch_execz .LBB49_96
.LBB49_161:
	ds_read_b32 v30, v28 offset:144
	s_waitcnt lgkmcnt(0)
	v_add_f32_e32 v9, v9, v30
	s_or_b32 exec_lo, exec_lo, s0
	s_and_saveexec_b32 s0, vcc_lo
	s_cbranch_execz .LBB49_97
.LBB49_162:
	ds_read_b32 v30, v28 offset:160
	s_waitcnt lgkmcnt(0)
	v_add_f32_e32 v10, v10, v30
	s_or_b32 exec_lo, exec_lo, s0
	s_and_saveexec_b32 s0, vcc_lo
	s_cbranch_execz .LBB49_98
.LBB49_163:
	ds_read_b32 v30, v28 offset:176
	s_waitcnt lgkmcnt(0)
	v_add_f32_e32 v11, v11, v30
	s_or_b32 exec_lo, exec_lo, s0
	s_and_saveexec_b32 s0, vcc_lo
	s_cbranch_execz .LBB49_99
.LBB49_164:
	ds_read_b32 v30, v28 offset:192
	s_waitcnt lgkmcnt(0)
	v_add_f32_e32 v12, v12, v30
	s_or_b32 exec_lo, exec_lo, s0
	s_and_saveexec_b32 s0, vcc_lo
	s_cbranch_execz .LBB49_100
.LBB49_165:
	ds_read_b32 v30, v28 offset:208
	s_waitcnt lgkmcnt(0)
	v_add_f32_e32 v13, v13, v30
	s_or_b32 exec_lo, exec_lo, s0
	s_and_saveexec_b32 s0, vcc_lo
	s_cbranch_execz .LBB49_101
.LBB49_166:
	ds_read_b32 v30, v28 offset:224
	s_waitcnt lgkmcnt(0)
	v_add_f32_e32 v14, v14, v30
	s_or_b32 exec_lo, exec_lo, s0
	s_and_saveexec_b32 s0, vcc_lo
	s_cbranch_execz .LBB49_102
.LBB49_167:
	ds_read_b32 v30, v28 offset:240
	s_waitcnt lgkmcnt(0)
	v_add_f32_e32 v15, v15, v30
	s_or_b32 exec_lo, exec_lo, s0
	s_and_saveexec_b32 s0, vcc_lo
	s_cbranch_execz .LBB49_103
.LBB49_168:
	ds_read_b32 v30, v28 offset:256
	s_waitcnt lgkmcnt(0)
	v_add_f32_e32 v16, v16, v30
	s_or_b32 exec_lo, exec_lo, s0
	s_and_saveexec_b32 s0, vcc_lo
	s_cbranch_execz .LBB49_104
.LBB49_169:
	ds_read_b32 v30, v28 offset:272
	s_waitcnt lgkmcnt(0)
	v_add_f32_e32 v17, v17, v30
	s_or_b32 exec_lo, exec_lo, s0
	s_and_saveexec_b32 s0, vcc_lo
	s_cbranch_execz .LBB49_105
.LBB49_170:
	ds_read_b32 v30, v28 offset:288
	s_waitcnt lgkmcnt(0)
	v_add_f32_e32 v18, v18, v30
	s_or_b32 exec_lo, exec_lo, s0
	s_and_saveexec_b32 s0, vcc_lo
	s_cbranch_execz .LBB49_106
.LBB49_171:
	ds_read_b32 v30, v28 offset:304
	s_waitcnt lgkmcnt(0)
	v_add_f32_e32 v19, v19, v30
	s_or_b32 exec_lo, exec_lo, s0
	s_and_saveexec_b32 s0, vcc_lo
	s_cbranch_execz .LBB49_107
.LBB49_172:
	ds_read_b32 v30, v28 offset:320
	s_waitcnt lgkmcnt(0)
	v_add_f32_e32 v20, v20, v30
	s_or_b32 exec_lo, exec_lo, s0
	s_and_saveexec_b32 s0, vcc_lo
	s_cbranch_execz .LBB49_108
.LBB49_173:
	ds_read_b32 v30, v28 offset:336
	s_waitcnt lgkmcnt(0)
	v_add_f32_e32 v21, v21, v30
	s_or_b32 exec_lo, exec_lo, s0
	s_and_saveexec_b32 s0, vcc_lo
	s_cbranch_execz .LBB49_109
.LBB49_174:
	ds_read_b32 v30, v28 offset:352
	s_waitcnt lgkmcnt(0)
	v_add_f32_e32 v22, v22, v30
	s_or_b32 exec_lo, exec_lo, s0
	s_and_saveexec_b32 s0, vcc_lo
	s_cbranch_execz .LBB49_110
.LBB49_175:
	ds_read_b32 v30, v28 offset:368
	s_waitcnt lgkmcnt(0)
	v_add_f32_e32 v23, v23, v30
	s_or_b32 exec_lo, exec_lo, s0
	s_and_saveexec_b32 s0, vcc_lo
	s_cbranch_execz .LBB49_111
.LBB49_176:
	ds_read_b32 v30, v28 offset:384
	s_waitcnt lgkmcnt(0)
	v_add_f32_e32 v24, v24, v30
	s_or_b32 exec_lo, exec_lo, s0
	s_and_saveexec_b32 s0, vcc_lo
	s_cbranch_execz .LBB49_112
.LBB49_177:
	ds_read_b32 v30, v28 offset:400
	s_waitcnt lgkmcnt(0)
	v_add_f32_e32 v25, v25, v30
	s_or_b32 exec_lo, exec_lo, s0
	s_and_saveexec_b32 s0, vcc_lo
	s_cbranch_execz .LBB49_113
.LBB49_178:
	ds_read_b32 v30, v28 offset:416
	s_waitcnt lgkmcnt(0)
	v_add_f32_e32 v26, v26, v30
	s_or_b32 exec_lo, exec_lo, s0
	s_and_saveexec_b32 s0, vcc_lo
	s_cbranch_execnz .LBB49_114
	s_branch .LBB49_115
.LBB49_179:
	ds_read_b32 v29, v28
	s_waitcnt lgkmcnt(0)
	v_add_f32_e32 v0, v0, v29
	s_or_b32 exec_lo, exec_lo, s0
	s_and_saveexec_b32 s0, vcc_lo
	s_cbranch_execz .LBB49_121
.LBB49_180:
	ds_read_b32 v29, v28 offset:16
	s_waitcnt lgkmcnt(0)
	v_add_f32_e32 v1, v1, v29
	s_or_b32 exec_lo, exec_lo, s0
	s_and_saveexec_b32 s0, vcc_lo
	s_cbranch_execz .LBB49_122
.LBB49_181:
	ds_read_b32 v29, v28 offset:32
	s_waitcnt lgkmcnt(0)
	v_add_f32_e32 v2, v2, v29
	s_or_b32 exec_lo, exec_lo, s0
	s_and_saveexec_b32 s0, vcc_lo
	s_cbranch_execz .LBB49_123
.LBB49_182:
	ds_read_b32 v29, v28 offset:48
	s_waitcnt lgkmcnt(0)
	v_add_f32_e32 v3, v3, v29
	s_or_b32 exec_lo, exec_lo, s0
	s_and_saveexec_b32 s0, vcc_lo
	s_cbranch_execz .LBB49_124
.LBB49_183:
	ds_read_b32 v29, v28 offset:64
	s_waitcnt lgkmcnt(0)
	v_add_f32_e32 v4, v4, v29
	s_or_b32 exec_lo, exec_lo, s0
	s_and_saveexec_b32 s0, vcc_lo
	s_cbranch_execz .LBB49_125
.LBB49_184:
	ds_read_b32 v29, v28 offset:80
	s_waitcnt lgkmcnt(0)
	v_add_f32_e32 v5, v5, v29
	s_or_b32 exec_lo, exec_lo, s0
	s_and_saveexec_b32 s0, vcc_lo
	s_cbranch_execz .LBB49_126
.LBB49_185:
	ds_read_b32 v29, v28 offset:96
	s_waitcnt lgkmcnt(0)
	v_add_f32_e32 v6, v6, v29
	s_or_b32 exec_lo, exec_lo, s0
	s_and_saveexec_b32 s0, vcc_lo
	s_cbranch_execz .LBB49_127
.LBB49_186:
	ds_read_b32 v29, v28 offset:112
	s_waitcnt lgkmcnt(0)
	v_add_f32_e32 v7, v7, v29
	s_or_b32 exec_lo, exec_lo, s0
	s_and_saveexec_b32 s0, vcc_lo
	s_cbranch_execz .LBB49_128
.LBB49_187:
	ds_read_b32 v29, v28 offset:128
	s_waitcnt lgkmcnt(0)
	v_add_f32_e32 v8, v8, v29
	s_or_b32 exec_lo, exec_lo, s0
	s_and_saveexec_b32 s0, vcc_lo
	s_cbranch_execz .LBB49_129
.LBB49_188:
	ds_read_b32 v29, v28 offset:144
	s_waitcnt lgkmcnt(0)
	v_add_f32_e32 v9, v9, v29
	s_or_b32 exec_lo, exec_lo, s0
	s_and_saveexec_b32 s0, vcc_lo
	s_cbranch_execz .LBB49_130
.LBB49_189:
	ds_read_b32 v29, v28 offset:160
	s_waitcnt lgkmcnt(0)
	v_add_f32_e32 v10, v10, v29
	s_or_b32 exec_lo, exec_lo, s0
	s_and_saveexec_b32 s0, vcc_lo
	s_cbranch_execz .LBB49_131
.LBB49_190:
	ds_read_b32 v29, v28 offset:176
	s_waitcnt lgkmcnt(0)
	v_add_f32_e32 v11, v11, v29
	s_or_b32 exec_lo, exec_lo, s0
	s_and_saveexec_b32 s0, vcc_lo
	s_cbranch_execz .LBB49_132
.LBB49_191:
	ds_read_b32 v29, v28 offset:192
	s_waitcnt lgkmcnt(0)
	v_add_f32_e32 v12, v12, v29
	s_or_b32 exec_lo, exec_lo, s0
	s_and_saveexec_b32 s0, vcc_lo
	s_cbranch_execz .LBB49_133
.LBB49_192:
	ds_read_b32 v29, v28 offset:208
	s_waitcnt lgkmcnt(0)
	v_add_f32_e32 v13, v13, v29
	s_or_b32 exec_lo, exec_lo, s0
	s_and_saveexec_b32 s0, vcc_lo
	s_cbranch_execz .LBB49_134
.LBB49_193:
	ds_read_b32 v29, v28 offset:224
	s_waitcnt lgkmcnt(0)
	v_add_f32_e32 v14, v14, v29
	s_or_b32 exec_lo, exec_lo, s0
	s_and_saveexec_b32 s0, vcc_lo
	s_cbranch_execz .LBB49_135
.LBB49_194:
	ds_read_b32 v29, v28 offset:240
	s_waitcnt lgkmcnt(0)
	v_add_f32_e32 v15, v15, v29
	s_or_b32 exec_lo, exec_lo, s0
	s_and_saveexec_b32 s0, vcc_lo
	s_cbranch_execz .LBB49_136
.LBB49_195:
	ds_read_b32 v29, v28 offset:256
	s_waitcnt lgkmcnt(0)
	v_add_f32_e32 v16, v16, v29
	s_or_b32 exec_lo, exec_lo, s0
	s_and_saveexec_b32 s0, vcc_lo
	s_cbranch_execz .LBB49_137
.LBB49_196:
	ds_read_b32 v29, v28 offset:272
	s_waitcnt lgkmcnt(0)
	v_add_f32_e32 v17, v17, v29
	s_or_b32 exec_lo, exec_lo, s0
	s_and_saveexec_b32 s0, vcc_lo
	s_cbranch_execz .LBB49_138
.LBB49_197:
	ds_read_b32 v29, v28 offset:288
	s_waitcnt lgkmcnt(0)
	v_add_f32_e32 v18, v18, v29
	s_or_b32 exec_lo, exec_lo, s0
	s_and_saveexec_b32 s0, vcc_lo
	s_cbranch_execz .LBB49_139
.LBB49_198:
	ds_read_b32 v29, v28 offset:304
	s_waitcnt lgkmcnt(0)
	v_add_f32_e32 v19, v19, v29
	s_or_b32 exec_lo, exec_lo, s0
	s_and_saveexec_b32 s0, vcc_lo
	s_cbranch_execz .LBB49_140
.LBB49_199:
	ds_read_b32 v29, v28 offset:320
	s_waitcnt lgkmcnt(0)
	v_add_f32_e32 v20, v20, v29
	s_or_b32 exec_lo, exec_lo, s0
	s_and_saveexec_b32 s0, vcc_lo
	s_cbranch_execz .LBB49_141
.LBB49_200:
	ds_read_b32 v29, v28 offset:336
	s_waitcnt lgkmcnt(0)
	v_add_f32_e32 v21, v21, v29
	s_or_b32 exec_lo, exec_lo, s0
	s_and_saveexec_b32 s0, vcc_lo
	s_cbranch_execz .LBB49_142
.LBB49_201:
	ds_read_b32 v29, v28 offset:352
	s_waitcnt lgkmcnt(0)
	v_add_f32_e32 v22, v22, v29
	s_or_b32 exec_lo, exec_lo, s0
	s_and_saveexec_b32 s0, vcc_lo
	s_cbranch_execz .LBB49_143
.LBB49_202:
	ds_read_b32 v29, v28 offset:368
	s_waitcnt lgkmcnt(0)
	v_add_f32_e32 v23, v23, v29
	s_or_b32 exec_lo, exec_lo, s0
	s_and_saveexec_b32 s0, vcc_lo
	s_cbranch_execz .LBB49_144
.LBB49_203:
	ds_read_b32 v29, v28 offset:384
	s_waitcnt lgkmcnt(0)
	v_add_f32_e32 v24, v24, v29
	s_or_b32 exec_lo, exec_lo, s0
	s_and_saveexec_b32 s0, vcc_lo
	s_cbranch_execz .LBB49_145
.LBB49_204:
	ds_read_b32 v29, v28 offset:400
	s_waitcnt lgkmcnt(0)
	v_add_f32_e32 v25, v25, v29
	s_or_b32 exec_lo, exec_lo, s0
	s_and_saveexec_b32 s0, vcc_lo
	s_cbranch_execz .LBB49_146
.LBB49_205:
	ds_read_b32 v29, v28 offset:416
	s_waitcnt lgkmcnt(0)
	v_add_f32_e32 v26, v26, v29
	s_or_b32 exec_lo, exec_lo, s0
	s_and_saveexec_b32 s0, vcc_lo
	s_cbranch_execnz .LBB49_147
	s_branch .LBB49_148
	.section	.rodata,"a",@progbits
	.p2align	6, 0x0
	.amdhsa_kernel _ZN4vllm25paged_attention_v1_kernelIffLi112ELi32ELi128ELNS_18Fp8KVCacheDataTypeE0ELb0EEEvPT_PKS2_PKT0_S8_ifPKiSA_iPKfiiiSC_SC_iiiii
		.amdhsa_group_segment_fixed_size 480
		.amdhsa_private_segment_fixed_size 160
		.amdhsa_kernarg_size 384
		.amdhsa_user_sgpr_count 6
		.amdhsa_user_sgpr_private_segment_buffer 1
		.amdhsa_user_sgpr_dispatch_ptr 0
		.amdhsa_user_sgpr_queue_ptr 0
		.amdhsa_user_sgpr_kernarg_segment_ptr 1
		.amdhsa_user_sgpr_dispatch_id 0
		.amdhsa_user_sgpr_flat_scratch_init 0
		.amdhsa_user_sgpr_private_segment_size 0
		.amdhsa_wavefront_size32 1
		.amdhsa_uses_dynamic_stack 0
		.amdhsa_system_sgpr_private_segment_wavefront_offset 1
		.amdhsa_system_sgpr_workgroup_id_x 1
		.amdhsa_system_sgpr_workgroup_id_y 1
		.amdhsa_system_sgpr_workgroup_id_z 1
		.amdhsa_system_sgpr_workgroup_info 0
		.amdhsa_system_vgpr_workitem_id 0
		.amdhsa_next_free_vgpr 128
		.amdhsa_next_free_sgpr 32
		.amdhsa_reserve_vcc 1
		.amdhsa_reserve_flat_scratch 0
		.amdhsa_float_round_mode_32 0
		.amdhsa_float_round_mode_16_64 0
		.amdhsa_float_denorm_mode_32 3
		.amdhsa_float_denorm_mode_16_64 3
		.amdhsa_dx10_clamp 1
		.amdhsa_ieee_mode 1
		.amdhsa_fp16_overflow 0
		.amdhsa_workgroup_processor_mode 1
		.amdhsa_memory_ordered 1
		.amdhsa_forward_progress 1
		.amdhsa_shared_vgpr_count 0
		.amdhsa_exception_fp_ieee_invalid_op 0
		.amdhsa_exception_fp_denorm_src 0
		.amdhsa_exception_fp_ieee_div_zero 0
		.amdhsa_exception_fp_ieee_overflow 0
		.amdhsa_exception_fp_ieee_underflow 0
		.amdhsa_exception_fp_ieee_inexact 0
		.amdhsa_exception_int_div_zero 0
	.end_amdhsa_kernel
	.section	.text._ZN4vllm25paged_attention_v1_kernelIffLi112ELi32ELi128ELNS_18Fp8KVCacheDataTypeE0ELb0EEEvPT_PKS2_PKT0_S8_ifPKiSA_iPKfiiiSC_SC_iiiii,"axG",@progbits,_ZN4vllm25paged_attention_v1_kernelIffLi112ELi32ELi128ELNS_18Fp8KVCacheDataTypeE0ELb0EEEvPT_PKS2_PKT0_S8_ifPKiSA_iPKfiiiSC_SC_iiiii,comdat
.Lfunc_end49:
	.size	_ZN4vllm25paged_attention_v1_kernelIffLi112ELi32ELi128ELNS_18Fp8KVCacheDataTypeE0ELb0EEEvPT_PKS2_PKT0_S8_ifPKiSA_iPKfiiiSC_SC_iiiii, .Lfunc_end49-_ZN4vllm25paged_attention_v1_kernelIffLi112ELi32ELi128ELNS_18Fp8KVCacheDataTypeE0ELb0EEEvPT_PKS2_PKT0_S8_ifPKiSA_iPKfiiiSC_SC_iiiii
                                        ; -- End function
	.set _ZN4vllm25paged_attention_v1_kernelIffLi112ELi32ELi128ELNS_18Fp8KVCacheDataTypeE0ELb0EEEvPT_PKS2_PKT0_S8_ifPKiSA_iPKfiiiSC_SC_iiiii.num_vgpr, 128
	.set _ZN4vllm25paged_attention_v1_kernelIffLi112ELi32ELi128ELNS_18Fp8KVCacheDataTypeE0ELb0EEEvPT_PKS2_PKT0_S8_ifPKiSA_iPKfiiiSC_SC_iiiii.num_agpr, 0
	.set _ZN4vllm25paged_attention_v1_kernelIffLi112ELi32ELi128ELNS_18Fp8KVCacheDataTypeE0ELb0EEEvPT_PKS2_PKT0_S8_ifPKiSA_iPKfiiiSC_SC_iiiii.numbered_sgpr, 32
	.set _ZN4vllm25paged_attention_v1_kernelIffLi112ELi32ELi128ELNS_18Fp8KVCacheDataTypeE0ELb0EEEvPT_PKS2_PKT0_S8_ifPKiSA_iPKfiiiSC_SC_iiiii.num_named_barrier, 0
	.set _ZN4vllm25paged_attention_v1_kernelIffLi112ELi32ELi128ELNS_18Fp8KVCacheDataTypeE0ELb0EEEvPT_PKS2_PKT0_S8_ifPKiSA_iPKfiiiSC_SC_iiiii.private_seg_size, 160
	.set _ZN4vllm25paged_attention_v1_kernelIffLi112ELi32ELi128ELNS_18Fp8KVCacheDataTypeE0ELb0EEEvPT_PKS2_PKT0_S8_ifPKiSA_iPKfiiiSC_SC_iiiii.uses_vcc, 1
	.set _ZN4vllm25paged_attention_v1_kernelIffLi112ELi32ELi128ELNS_18Fp8KVCacheDataTypeE0ELb0EEEvPT_PKS2_PKT0_S8_ifPKiSA_iPKfiiiSC_SC_iiiii.uses_flat_scratch, 0
	.set _ZN4vllm25paged_attention_v1_kernelIffLi112ELi32ELi128ELNS_18Fp8KVCacheDataTypeE0ELb0EEEvPT_PKS2_PKT0_S8_ifPKiSA_iPKfiiiSC_SC_iiiii.has_dyn_sized_stack, 0
	.set _ZN4vllm25paged_attention_v1_kernelIffLi112ELi32ELi128ELNS_18Fp8KVCacheDataTypeE0ELb0EEEvPT_PKS2_PKT0_S8_ifPKiSA_iPKfiiiSC_SC_iiiii.has_recursion, 0
	.set _ZN4vllm25paged_attention_v1_kernelIffLi112ELi32ELi128ELNS_18Fp8KVCacheDataTypeE0ELb0EEEvPT_PKS2_PKT0_S8_ifPKiSA_iPKfiiiSC_SC_iiiii.has_indirect_call, 0
	.section	.AMDGPU.csdata,"",@progbits
; Kernel info:
; codeLenInByte = 12856
; TotalNumSgprs: 34
; NumVgprs: 128
; ScratchSize: 160
; MemoryBound: 0
; FloatMode: 240
; IeeeMode: 1
; LDSByteSize: 480 bytes/workgroup (compile time only)
; SGPRBlocks: 0
; VGPRBlocks: 15
; NumSGPRsForWavesPerEU: 34
; NumVGPRsForWavesPerEU: 128
; Occupancy: 8
; WaveLimiterHint : 1
; COMPUTE_PGM_RSRC2:SCRATCH_EN: 1
; COMPUTE_PGM_RSRC2:USER_SGPR: 6
; COMPUTE_PGM_RSRC2:TRAP_HANDLER: 0
; COMPUTE_PGM_RSRC2:TGID_X_EN: 1
; COMPUTE_PGM_RSRC2:TGID_Y_EN: 1
; COMPUTE_PGM_RSRC2:TGID_Z_EN: 1
; COMPUTE_PGM_RSRC2:TIDIG_COMP_CNT: 0
	.section	.text._ZN4vllm25paged_attention_v1_kernelIffLi120ELi32ELi128ELNS_18Fp8KVCacheDataTypeE0ELb0EEEvPT_PKS2_PKT0_S8_ifPKiSA_iPKfiiiSC_SC_iiiii,"axG",@progbits,_ZN4vllm25paged_attention_v1_kernelIffLi120ELi32ELi128ELNS_18Fp8KVCacheDataTypeE0ELb0EEEvPT_PKS2_PKT0_S8_ifPKiSA_iPKfiiiSC_SC_iiiii,comdat
	.protected	_ZN4vllm25paged_attention_v1_kernelIffLi120ELi32ELi128ELNS_18Fp8KVCacheDataTypeE0ELb0EEEvPT_PKS2_PKT0_S8_ifPKiSA_iPKfiiiSC_SC_iiiii ; -- Begin function _ZN4vllm25paged_attention_v1_kernelIffLi120ELi32ELi128ELNS_18Fp8KVCacheDataTypeE0ELb0EEEvPT_PKS2_PKT0_S8_ifPKiSA_iPKfiiiSC_SC_iiiii
	.globl	_ZN4vllm25paged_attention_v1_kernelIffLi120ELi32ELi128ELNS_18Fp8KVCacheDataTypeE0ELb0EEEvPT_PKS2_PKT0_S8_ifPKiSA_iPKfiiiSC_SC_iiiii
	.p2align	8
	.type	_ZN4vllm25paged_attention_v1_kernelIffLi120ELi32ELi128ELNS_18Fp8KVCacheDataTypeE0ELb0EEEvPT_PKS2_PKT0_S8_ifPKiSA_iPKfiiiSC_SC_iiiii,@function
_ZN4vllm25paged_attention_v1_kernelIffLi120ELi32ELi128ELNS_18Fp8KVCacheDataTypeE0ELb0EEEvPT_PKS2_PKT0_S8_ifPKiSA_iPKfiiiSC_SC_iiiii: ; @_ZN4vllm25paged_attention_v1_kernelIffLi120ELi32ELi128ELNS_18Fp8KVCacheDataTypeE0ELb0EEEvPT_PKS2_PKT0_S8_ifPKiSA_iPKfiiiSC_SC_iiiii
; %bb.0:
	s_mov_b64 s[38:39], s[2:3]
	s_mov_b64 s[36:37], s[0:1]
	s_mov_b32 s10, s7
	s_add_u32 s36, s36, s9
	s_clause 0x2
	s_load_dword s9, s[4:5], 0x80
	s_load_dwordx2 s[0:1], s[4:5], 0x30
	s_load_dwordx2 s[2:3], s[4:5], 0x20
	s_addc_u32 s37, s37, 0
	s_ashr_i32 s11, s7, 31
	v_mov_b32_e32 v54, v0
	s_lshl_b64 s[12:13], s[10:11], 2
	s_mov_b32 s24, 0
	s_waitcnt lgkmcnt(0)
	s_add_u32 s0, s0, s12
	s_addc_u32 s1, s1, s13
	s_abs_i32 s7, s2
	s_abs_i32 s13, s9
	v_cvt_f32_u32_e32 v0, s7
	s_sub_i32 s12, 0, s7
	s_xor_b32 s2, s9, s2
	s_ashr_i32 s2, s2, 31
	v_rcp_iflag_f32_e32 v0, v0
	v_mul_f32_e32 v0, 0x4f7ffffe, v0
	v_cvt_u32_f32_e32 v0, v0
	v_readfirstlane_b32 s11, v0
	s_mul_i32 s12, s12, s11
	s_mul_hi_u32 s12, s11, s12
	s_add_i32 s11, s11, s12
	s_mul_hi_u32 s11, s13, s11
	s_mul_i32 s12, s11, s7
	s_sub_i32 s12, s13, s12
	s_add_i32 s13, s11, 1
	s_sub_i32 s14, s12, s7
	s_cmp_ge_u32 s12, s7
	s_cselect_b32 s11, s13, s11
	s_cselect_b32 s12, s14, s12
	s_add_i32 s13, s11, 1
	s_cmp_ge_u32 s12, s7
	s_cselect_b32 s7, s13, s11
	s_load_dwordx2 s[12:13], s[4:5], 0x40
	s_xor_b32 s7, s7, s2
	s_abs_i32 s16, s6
	s_sub_i32 s17, s7, s2
	s_abs_i32 s2, s17
	v_cvt_f32_u32_e32 v0, s2
	s_sub_i32 s11, 0, s2
	v_rcp_iflag_f32_e32 v0, v0
	v_mul_f32_e32 v0, 0x4f7ffffe, v0
	v_cvt_u32_f32_e32 v0, v0
	v_readfirstlane_b32 s7, v0
	s_mul_i32 s11, s11, s7
	s_mul_hi_u32 s11, s7, s11
	s_add_i32 s7, s7, s11
	s_waitcnt lgkmcnt(0)
	s_cmp_eq_u64 s[12:13], 0
	s_mul_hi_u32 s20, s16, s7
	s_cbranch_scc1 .LBB50_2
; %bb.1:
	s_ashr_i32 s7, s6, 31
	s_lshl_b64 s[14:15], s[6:7], 2
	s_add_u32 s12, s12, s14
	s_addc_u32 s13, s13, s15
	s_load_dword s24, s[12:13], 0x0
.LBB50_2:
	s_load_dword s11, s[0:1], 0x0
	s_clause 0x1
	s_load_dwordx2 s[18:19], s[4:5], 0x28
	s_load_dwordx4 s[12:15], s[4:5], 0x48
	v_lshlrev_b32_e32 v9, 4, v54
	s_ashr_i32 s0, s6, 31
	s_ashr_i32 s1, s17, 31
	s_mulk_i32 s6, 0x78
	s_waitcnt lgkmcnt(0)
	s_mov_b32 s15, exec_lo
	v_cmpx_gt_u32_e32 30, v54
	s_cbranch_execz .LBB50_4
; %bb.3:
	s_load_dwordx2 s[22:23], s[4:5], 0x8
	s_mul_i32 s26, s12, s10
	s_ashr_i32 s27, s26, 31
	s_lshl_b64 s[26:27], s[26:27], 2
	s_waitcnt lgkmcnt(0)
	s_add_u32 s12, s22, s26
	s_addc_u32 s17, s23, s27
	s_ashr_i32 s7, s6, 31
	s_lshl_b64 s[22:23], s[6:7], 2
	s_add_u32 s22, s12, s22
	s_addc_u32 s23, s17, s23
	global_load_dwordx4 v[0:3], v9, s[22:23]
	s_waitcnt vmcnt(0)
	ds_write_b128 v9, v[0:3]
.LBB50_4:
	s_or_b32 exec_lo, exec_lo, s15
	s_add_i32 s7, s11, 31
	s_xor_b32 s0, s0, s1
	s_ashr_i32 s12, s7, 31
	s_load_dword s15, s[4:5], 0x38
	s_lshr_b32 s1, s12, 27
	s_mul_i32 s12, s20, s2
	s_add_i32 s7, s7, s1
	s_sub_i32 s1, s16, s12
	s_ashr_i32 s12, s7, 5
	s_clause 0x2
	s_load_dwordx2 s[16:17], s[4:5], 0x0
	s_load_dwordx2 s[22:23], s[4:5], 0x18
	s_load_dword s7, s[4:5], 0x88
	s_add_i32 s21, s20, 1
	s_sub_i32 s25, s1, s2
	s_cmp_ge_u32 s1, s2
	v_lshrrev_b32_e32 v125, 5, v54
	s_cselect_b32 s20, s21, s20
	s_cselect_b32 s1, s25, s1
	s_add_i32 s21, s20, 1
	s_cmp_ge_u32 s1, s2
	v_and_b32_e32 v121, 31, v54
	s_cselect_b32 s1, s21, s20
	v_mov_b32_e32 v127, 0xff7fffff
	s_xor_b32 s1, s1, s0
	v_lshrrev_b32_e32 v10, 3, v54
	s_sub_i32 s1, s1, s0
	v_cmp_gt_i32_e64 s0, s12, v125
	v_lshlrev_b32_e32 v11, 2, v121
	s_waitcnt lgkmcnt(0)
	s_mul_i32 s20, s15, s10
	s_mul_i32 s14, s1, s14
	s_ashr_i32 s21, s20, 31
	s_barrier
	buffer_gl0_inv
	s_mov_b32 s25, exec_lo
	s_and_b32 s1, s25, s0
	buffer_store_dword v54, off, s[36:39], 0 offset:180 ; 4-byte Folded Spill
	buffer_store_dword v125, off, s[36:39], 0 offset:184 ; 4-byte Folded Spill
	;; [unrolled: 1-line block ×3, first 2 shown]
	s_mov_b32 exec_lo, s1
	s_cbranch_execz .LBB50_8
; %bb.5:
	s_load_dwordx2 s[26:27], s[4:5], 0x10
	v_mov_b32_e32 v1, 0
	s_ashr_i32 s15, s14, 31
	v_lshlrev_b32_e32 v0, 4, v121
	s_lshl_b64 s[28:29], s[14:15], 2
	buffer_store_dword v9, off, s[36:39], 0 offset:68 ; 4-byte Folded Spill
	ds_read_b128 v[2:5], v1
	v_cmp_neq_f32_e64 vcc_lo, s24, 0
	v_mov_b32_e32 v127, 0xff7fffff
	s_mov_b32 s4, s13
	s_mov_b32 s5, 0
	s_waitcnt lgkmcnt(0)
	s_add_u32 s1, s26, s28
	s_addc_u32 s2, s27, s29
	v_add_co_u32 v0, s1, s1, v0
	s_lshl_b64 s[26:27], s[20:21], 2
	s_sub_i32 s15, 1, s11
	buffer_store_dword v0, off, s[36:39], 0 ; 4-byte Folded Spill
	v_add_co_ci_u32_e64 v0, null, s2, 0, s1
	s_add_u32 s1, s18, s26
	s_addc_u32 s2, s19, s27
	buffer_store_dword v0, off, s[36:39], 0 offset:16 ; 4-byte Folded Spill
	buffer_store_dword v2, off, s[36:39], 0 offset:20 ; 4-byte Folded Spill
	;; [unrolled: 1-line block ×5, first 2 shown]
	ds_read_b128 v[2:5], v1 offset:16
	v_lshl_or_b32 v0, v125, 5, v121
	s_waitcnt lgkmcnt(0)
	buffer_store_dword v2, off, s[36:39], 0 offset:36 ; 4-byte Folded Spill
	buffer_store_dword v3, off, s[36:39], 0 offset:40 ; 4-byte Folded Spill
	;; [unrolled: 1-line block ×4, first 2 shown]
	ds_read_b128 v[2:5], v1 offset:32
	s_waitcnt lgkmcnt(0)
	buffer_store_dword v2, off, s[36:39], 0 offset:52 ; 4-byte Folded Spill
	buffer_store_dword v3, off, s[36:39], 0 offset:56 ; 4-byte Folded Spill
	;; [unrolled: 1-line block ×4, first 2 shown]
	ds_read_b128 v[13:16], v1 offset:48
	ds_read_b128 v[17:20], v1 offset:64
	;; [unrolled: 1-line block ×27, first 2 shown]
	v_lshl_or_b32 v1, v125, 7, v11
	buffer_store_dword v11, off, s[36:39], 0 offset:76 ; 4-byte Folded Spill
	buffer_store_dword v10, off, s[36:39], 0 offset:72 ; 4-byte Folded Spill
	v_add_nc_u32_e32 v126, 0x200, v1
	v_and_b32_e32 v1, 0x7c, v10
	v_add_co_u32 v121, s1, s1, v1
	v_add_co_ci_u32_e64 v122, null, s2, 0, s1
.LBB50_6:                               ; =>This Inner Loop Header: Depth=1
	global_load_dword v1, v[121:122], off
	buffer_load_dword v3, off, s[36:39], 0  ; 4-byte Folded Reload
	v_add_nc_u32_e32 v125, 4, v125
	v_cmp_le_i32_e64 s2, s12, v125
	s_or_b32 s5, s2, s5
	s_waitcnt vmcnt(1)
	v_mad_i64_i32 v[1:2], null, v1, s4, 0
	v_lshlrev_b64 v[1:2], 2, v[1:2]
	s_waitcnt vmcnt(0)
	v_add_co_u32 v123, s1, v3, v1
	buffer_load_dword v1, off, s[36:39], 0 offset:16 ; 4-byte Folded Reload
	s_waitcnt vmcnt(0)
	v_add_co_ci_u32_e64 v124, null, v1, v2, s1
	global_load_dwordx4 v[1:4], v[123:124], off offset:512
	s_clause 0x3
	buffer_load_dword v5, off, s[36:39], 0 offset:36
	buffer_load_dword v6, off, s[36:39], 0 offset:40
	;; [unrolled: 1-line block ×4, first 2 shown]
	s_waitcnt vmcnt(3)
	v_mul_f32_e32 v1, v5, v1
	s_waitcnt vmcnt(2)
	v_mul_f32_e32 v2, v6, v2
	;; [unrolled: 2-line block ×4, first 2 shown]
	global_load_dwordx4 v[5:8], v[123:124], off
	s_clause 0x3
	buffer_load_dword v9, off, s[36:39], 0 offset:20
	buffer_load_dword v10, off, s[36:39], 0 offset:24
	;; [unrolled: 1-line block ×4, first 2 shown]
	s_waitcnt vmcnt(3)
	v_fmac_f32_e32 v1, v9, v5
	s_waitcnt vmcnt(2)
	v_fmac_f32_e32 v2, v10, v6
	;; [unrolled: 2-line block ×4, first 2 shown]
	global_load_dwordx4 v[5:8], v[123:124], off offset:1024
	s_clause 0x3
	buffer_load_dword v9, off, s[36:39], 0 offset:52
	buffer_load_dword v10, off, s[36:39], 0 offset:56
	;; [unrolled: 1-line block ×4, first 2 shown]
	s_waitcnt vmcnt(3)
	v_fmac_f32_e32 v1, v9, v5
	s_waitcnt vmcnt(2)
	v_fmac_f32_e32 v2, v10, v6
	;; [unrolled: 2-line block ×4, first 2 shown]
	global_load_dwordx4 v[5:8], v[123:124], off offset:1536
	v_add_co_u32 v9, s1, v123, 0x1000
	v_add_co_ci_u32_e64 v10, null, 0, v124, s1
	v_add_co_u32 v11, s1, 0x800, v123
	v_add_co_ci_u32_e64 v12, null, 0, v124, s1
	s_waitcnt vmcnt(0) lgkmcnt(26)
	v_fmac_f32_e32 v1, v13, v5
	v_fmac_f32_e32 v2, v14, v6
	v_fmac_f32_e32 v3, v15, v7
	v_fmac_f32_e32 v4, v16, v8
	global_load_dwordx4 v[5:8], v[9:10], off offset:-2048
	s_waitcnt vmcnt(0) lgkmcnt(25)
	v_fmac_f32_e32 v1, v17, v5
	v_fmac_f32_e32 v2, v18, v6
	v_fmac_f32_e32 v3, v19, v7
	v_fmac_f32_e32 v4, v20, v8
	global_load_dwordx4 v[5:8], v[11:12], off offset:512
	s_waitcnt vmcnt(0) lgkmcnt(24)
	v_fmac_f32_e32 v1, v21, v5
	v_fmac_f32_e32 v2, v22, v6
	v_fmac_f32_e32 v3, v23, v7
	v_fmac_f32_e32 v4, v24, v8
	global_load_dwordx4 v[5:8], v[11:12], off offset:1024
	s_waitcnt vmcnt(0) lgkmcnt(23)
	v_fmac_f32_e32 v1, v25, v5
	v_fmac_f32_e32 v2, v26, v6
	v_fmac_f32_e32 v3, v27, v7
	v_fmac_f32_e32 v4, v28, v8
	global_load_dwordx4 v[5:8], v[11:12], off offset:1536
	s_waitcnt vmcnt(0) lgkmcnt(22)
	v_fmac_f32_e32 v1, v29, v5
	v_fmac_f32_e32 v2, v30, v6
	v_fmac_f32_e32 v3, v31, v7
	v_fmac_f32_e32 v4, v32, v8
	global_load_dwordx4 v[5:8], v[9:10], off
	v_add_co_u32 v9, s1, 0x1000, v123
	v_add_co_ci_u32_e64 v10, null, 0, v124, s1
	s_waitcnt vmcnt(0) lgkmcnt(21)
	v_fmac_f32_e32 v1, v33, v5
	v_fmac_f32_e32 v2, v34, v6
	v_fmac_f32_e32 v3, v35, v7
	v_fmac_f32_e32 v4, v36, v8
	global_load_dwordx4 v[5:8], v[9:10], off offset:512
	s_waitcnt vmcnt(0) lgkmcnt(20)
	v_fmac_f32_e32 v1, v37, v5
	v_fmac_f32_e32 v2, v38, v6
	v_fmac_f32_e32 v3, v39, v7
	v_fmac_f32_e32 v4, v40, v8
	global_load_dwordx4 v[5:8], v[9:10], off offset:1024
	s_waitcnt vmcnt(0) lgkmcnt(19)
	v_fmac_f32_e32 v1, v41, v5
	v_fmac_f32_e32 v2, v42, v6
	v_fmac_f32_e32 v3, v43, v7
	v_fmac_f32_e32 v4, v44, v8
	global_load_dwordx4 v[5:8], v[9:10], off offset:1536
	v_add_co_u32 v9, s1, v123, 0x2000
	v_add_co_ci_u32_e64 v10, null, 0, v124, s1
	v_add_co_u32 v11, s1, 0x1800, v123
	v_add_co_ci_u32_e64 v12, null, 0, v124, s1
	s_waitcnt vmcnt(0) lgkmcnt(18)
	v_fmac_f32_e32 v1, v45, v5
	v_fmac_f32_e32 v2, v46, v6
	v_fmac_f32_e32 v3, v47, v7
	v_fmac_f32_e32 v4, v48, v8
	global_load_dwordx4 v[5:8], v[9:10], off offset:-2048
	s_waitcnt vmcnt(0) lgkmcnt(17)
	v_fmac_f32_e32 v1, v49, v5
	v_fmac_f32_e32 v2, v50, v6
	v_fmac_f32_e32 v3, v51, v7
	v_fmac_f32_e32 v4, v52, v8
	global_load_dwordx4 v[5:8], v[11:12], off offset:512
	s_waitcnt vmcnt(0) lgkmcnt(16)
	v_fmac_f32_e32 v1, v53, v5
	v_fmac_f32_e32 v2, v54, v6
	v_fmac_f32_e32 v3, v55, v7
	v_fmac_f32_e32 v4, v56, v8
	global_load_dwordx4 v[5:8], v[11:12], off offset:1024
	s_waitcnt vmcnt(0) lgkmcnt(15)
	v_fmac_f32_e32 v1, v57, v5
	v_fmac_f32_e32 v2, v58, v6
	v_fmac_f32_e32 v3, v59, v7
	v_fmac_f32_e32 v4, v60, v8
	global_load_dwordx4 v[5:8], v[11:12], off offset:1536
	s_waitcnt vmcnt(0) lgkmcnt(14)
	v_fmac_f32_e32 v1, v61, v5
	v_fmac_f32_e32 v2, v62, v6
	v_fmac_f32_e32 v3, v63, v7
	v_fmac_f32_e32 v4, v64, v8
	global_load_dwordx4 v[5:8], v[9:10], off
	v_add_co_u32 v9, s1, 0x2000, v123
	v_add_co_ci_u32_e64 v10, null, 0, v124, s1
	s_waitcnt vmcnt(0) lgkmcnt(13)
	v_fmac_f32_e32 v1, v65, v5
	v_fmac_f32_e32 v2, v66, v6
	v_fmac_f32_e32 v3, v67, v7
	v_fmac_f32_e32 v4, v68, v8
	global_load_dwordx4 v[5:8], v[9:10], off offset:512
	s_waitcnt vmcnt(0) lgkmcnt(12)
	v_fmac_f32_e32 v1, v69, v5
	v_fmac_f32_e32 v2, v70, v6
	v_fmac_f32_e32 v3, v71, v7
	v_fmac_f32_e32 v4, v72, v8
	global_load_dwordx4 v[5:8], v[9:10], off offset:1024
	s_waitcnt vmcnt(0) lgkmcnt(11)
	v_fmac_f32_e32 v1, v73, v5
	v_fmac_f32_e32 v2, v74, v6
	v_fmac_f32_e32 v3, v75, v7
	v_fmac_f32_e32 v4, v76, v8
	;; [unrolled: 54-line block ×3, first 2 shown]
	global_load_dwordx4 v[5:8], v[9:10], off offset:1536
	v_add_co_u32 v9, s1, 0x3800, v123
	v_add_co_ci_u32_e64 v10, null, 0, v124, s1
	v_cmp_gt_i32_e64 s1, s11, v0
	s_waitcnt vmcnt(0) lgkmcnt(2)
	v_fmac_f32_e32 v1, v109, v5
	v_fmac_f32_e32 v2, v110, v6
	;; [unrolled: 1-line block ×4, first 2 shown]
	global_load_dwordx4 v[5:8], v[9:10], off
	s_waitcnt vmcnt(0) lgkmcnt(1)
	v_fmac_f32_e32 v1, v113, v5
	v_fmac_f32_e32 v2, v114, v6
	;; [unrolled: 1-line block ×4, first 2 shown]
	global_load_dwordx4 v[5:8], v[9:10], off offset:512
	s_waitcnt vmcnt(0) lgkmcnt(0)
	v_fmac_f32_e32 v1, v117, v5
	v_fmac_f32_e32 v2, v118, v6
	;; [unrolled: 1-line block ×4, first 2 shown]
	v_add_f32_e32 v1, v1, v2
	v_add_nc_u32_e32 v2, s15, v0
	v_add_nc_u32_e32 v0, 0x80, v0
	v_add_f32_e32 v1, v3, v1
	v_cvt_f32_i32_e32 v2, v2
	v_add_f32_e32 v1, v4, v1
	v_mul_f32_e32 v2, s24, v2
	v_cndmask_b32_e32 v2, 0, v2, vcc_lo
	v_fmac_f32_e32 v2, s3, v1
	v_max_f32_e32 v1, v127, v127
	v_max_f32_e32 v1, v1, v2
	v_cndmask_b32_e64 v127, v127, v1, s1
	v_cndmask_b32_e64 v1, 0, v2, s1
	v_add_co_u32 v121, s1, v121, 16
	v_add_co_ci_u32_e64 v122, null, 0, v122, s1
	ds_write_b32 v126, v1
	v_add_nc_u32_e32 v126, 0x200, v126
	s_andn2_b32 exec_lo, exec_lo, s5
	s_cbranch_execnz .LBB50_6
; %bb.7:
	s_or_b32 exec_lo, exec_lo, s5
	s_clause 0x5
	buffer_load_dword v54, off, s[36:39], 0 offset:180
	buffer_load_dword v125, off, s[36:39], 0 offset:184
	;; [unrolled: 1-line block ×6, first 2 shown]
.LBB50_8:
	s_or_b32 exec_lo, exec_lo, s25
	v_mbcnt_lo_u32_b32 v1, -1, 0
	v_max_f32_e32 v4, v127, v127
	v_xor_b32_e32 v0, 16, v1
	v_xor_b32_e32 v3, 8, v1
	v_cmp_gt_i32_e32 vcc_lo, 32, v0
	v_cndmask_b32_e32 v0, v1, v0, vcc_lo
	v_cmp_gt_i32_e32 vcc_lo, 32, v3
	v_lshlrev_b32_e32 v0, 2, v0
	v_cndmask_b32_e32 v3, v1, v3, vcc_lo
	ds_bpermute_b32 v2, v0, v127
	s_waitcnt lgkmcnt(0)
	v_max_f32_e32 v5, v2, v2
	v_lshlrev_b32_e32 v2, 2, v3
	v_max_f32_e32 v3, v4, v5
	v_xor_b32_e32 v5, 4, v1
	ds_bpermute_b32 v4, v2, v3
	v_cmp_gt_i32_e32 vcc_lo, 32, v5
	v_cndmask_b32_e32 v5, v1, v5, vcc_lo
	v_lshlrev_b32_e32 v37, 2, v5
	v_xor_b32_e32 v5, 2, v1
	v_cmp_gt_i32_e32 vcc_lo, 32, v5
	s_waitcnt lgkmcnt(0)
	v_max_f32_e32 v4, v4, v4
	v_cndmask_b32_e32 v5, v1, v5, vcc_lo
	v_max_f32_e32 v3, v3, v4
	v_lshlrev_b32_e32 v46, 2, v5
	v_xor_b32_e32 v5, 1, v1
	ds_bpermute_b32 v4, v37, v3
	v_cmp_gt_i32_e32 vcc_lo, 32, v5
	v_cndmask_b32_e32 v5, v1, v5, vcc_lo
	s_waitcnt vmcnt(3)
	v_cmp_eq_u32_e32 vcc_lo, 0, v121
	v_lshlrev_b32_e32 v53, 2, v5
	s_waitcnt lgkmcnt(0)
	v_max_f32_e32 v4, v4, v4
	v_max_f32_e32 v3, v3, v4
	ds_bpermute_b32 v4, v46, v3
	s_waitcnt lgkmcnt(0)
	v_max_f32_e32 v4, v4, v4
	v_max_f32_e32 v1, v3, v4
	v_lshlrev_b32_e32 v3, 2, v125
	ds_bpermute_b32 v4, v53, v1
	s_and_saveexec_b32 s1, vcc_lo
	s_cbranch_execz .LBB50_10
; %bb.9:
	s_waitcnt lgkmcnt(0)
	v_max_f32_e32 v4, v4, v4
	v_max_f32_e32 v1, v1, v1
	;; [unrolled: 1-line block ×3, first 2 shown]
	ds_write_b32 v3, v1 offset:480
.LBB50_10:
	s_or_b32 exec_lo, exec_lo, s1
	v_cmp_gt_u32_e64 s1, 4, v121
	v_mov_b32_e32 v1, 0xff7fffff
	s_waitcnt vmcnt(0) lgkmcnt(0)
	s_waitcnt_vscnt null, 0x0
	s_barrier
	buffer_gl0_inv
	s_and_saveexec_b32 s2, s1
; %bb.11:
	ds_read_b32 v1, v11 offset:480
; %bb.12:
	s_or_b32 exec_lo, exec_lo, s2
	s_waitcnt lgkmcnt(0)
	ds_bpermute_b32 v4, v46, v1
	v_max_f32_e32 v1, v1, v1
	s_lshl_b32 s2, s12, 5
	s_min_i32 s4, s2, s11
	v_cmp_gt_i32_e64 s2, s4, v54
	s_waitcnt lgkmcnt(0)
	v_max_f32_e32 v4, v4, v4
	v_max_f32_e32 v1, v1, v4
	ds_bpermute_b32 v4, v53, v1
	s_waitcnt lgkmcnt(0)
	v_max_f32_e32 v4, v4, v4
	v_max_f32_e32 v1, v1, v4
	v_mov_b32_e32 v4, 0
	ds_bpermute_b32 v5, v4, v1
	v_lshl_add_u32 v1, v54, 2, 0x200
	s_and_saveexec_b32 s5, s2
	s_cbranch_execz .LBB50_16
; %bb.13:
	v_lshl_add_u32 v6, v54, 2, 0x200
	v_mov_b32_e32 v4, 0
	v_mov_b32_e32 v7, v54
	s_mov_b32 s15, 0
	.p2align	6
.LBB50_14:                              ; =>This Inner Loop Header: Depth=1
	ds_read_b32 v8, v6
	v_add_nc_u32_e32 v7, 0x80, v7
	v_cmp_le_i32_e64 s3, s4, v7
	s_or_b32 s15, s3, s15
	s_waitcnt lgkmcnt(0)
	v_sub_f32_e32 v8, v8, v5
	v_mul_f32_e32 v8, 0x3fb8aa3b, v8
	v_exp_f32_e32 v8, v8
	ds_write_b32 v6, v8
	v_add_f32_e32 v4, v4, v8
	v_add_nc_u32_e32 v6, 0x200, v6
	s_andn2_b32 exec_lo, exec_lo, s15
	s_cbranch_execnz .LBB50_14
; %bb.15:
	s_or_b32 exec_lo, exec_lo, s15
.LBB50_16:
	s_or_b32 exec_lo, exec_lo, s5
	ds_bpermute_b32 v0, v0, v4
	s_waitcnt lgkmcnt(0)
	v_add_f32_e32 v0, v4, v0
	ds_bpermute_b32 v2, v2, v0
	s_waitcnt lgkmcnt(0)
	v_add_f32_e32 v0, v0, v2
	;; [unrolled: 3-line block ×5, first 2 shown]
	s_and_saveexec_b32 s3, vcc_lo
; %bb.17:
	ds_write_b32 v3, v0 offset:496
; %bb.18:
	s_or_b32 exec_lo, exec_lo, s3
	s_waitcnt lgkmcnt(0)
	s_barrier
	buffer_gl0_inv
	s_and_saveexec_b32 s3, s1
; %bb.19:
	ds_read_b32 v0, v11 offset:496
; %bb.20:
	s_or_b32 exec_lo, exec_lo, s3
	s_waitcnt lgkmcnt(0)
	ds_bpermute_b32 v2, v46, v0
	s_waitcnt lgkmcnt(0)
	v_add_f32_e32 v0, v0, v2
	ds_bpermute_b32 v2, v53, v0
	s_waitcnt lgkmcnt(0)
	v_add_f32_e32 v0, v0, v2
	v_mov_b32_e32 v2, 0
	ds_bpermute_b32 v0, v2, v0
	s_and_saveexec_b32 s1, s2
	s_cbranch_execz .LBB50_23
; %bb.21:
	s_waitcnt lgkmcnt(0)
	v_add_f32_e32 v0, 0x358637bd, v0
	s_mov_b32 s2, 0
	v_div_scale_f32 v2, null, v0, v0, 1.0
	v_div_scale_f32 v5, vcc_lo, 1.0, v0, 1.0
	v_rcp_f32_e32 v3, v2
	v_fma_f32 v4, -v2, v3, 1.0
	v_fmac_f32_e32 v3, v4, v3
	v_mul_f32_e32 v4, v5, v3
	v_fma_f32 v6, -v2, v4, v5
	v_fmac_f32_e32 v4, v6, v3
	v_fma_f32 v2, -v2, v4, v5
	v_div_fmas_f32 v2, v2, v3, v4
	v_div_fixup_f32 v0, v2, v0, 1.0
	v_mov_b32_e32 v2, v54
.LBB50_22:                              ; =>This Inner Loop Header: Depth=1
	ds_read_b32 v3, v1
	v_add_nc_u32_e32 v2, 0x80, v2
	v_cmp_le_i32_e32 vcc_lo, s4, v2
	s_or_b32 s2, vcc_lo, s2
	s_waitcnt lgkmcnt(0)
	v_mul_f32_e32 v3, v0, v3
	ds_write_b32 v1, v3
	v_add_nc_u32_e32 v1, 0x200, v1
	s_andn2_b32 exec_lo, exec_lo, s2
	s_cbranch_execnz .LBB50_22
.LBB50_23:
	s_or_b32 exec_lo, exec_lo, s1
	v_mov_b32_e32 v19, 0
	v_and_b32_e32 v55, 7, v54
	v_mov_b32_e32 v22, 0
	v_mov_b32_e32 v6, 0
	;; [unrolled: 1-line block ×29, first 2 shown]
	s_waitcnt lgkmcnt(0)
	s_barrier
	buffer_gl0_inv
	s_and_saveexec_b32 s1, s0
	s_cbranch_execz .LBB50_87
; %bb.24:
	v_lshlrev_b32_e32 v0, 2, v54
	s_ashr_i32 s15, s14, 31
	v_and_b32_e32 v2, 0x1f0, v9
	s_lshl_b64 s[2:3], s[14:15], 2
	v_lshlrev_b32_e32 v1, 4, v55
	v_and_b32_e32 v0, 28, v0
	v_lshlrev_b32_e32 v3, 5, v125
	s_add_u32 s0, s22, s2
	s_addc_u32 s3, s23, s3
	v_add_co_u32 v2, s0, s0, v2
	v_lshl_or_b32 v1, v125, 7, v1
	v_or3_b32 v127, v3, v0, 3
	v_and_b32_e32 v0, 0x7c, v10
	s_lshl_b64 s[4:5], s[20:21], 2
	s_add_i32 s2, s12, -1
	buffer_store_dword v37, off, s[36:39], 0 offset:200 ; 4-byte Folded Spill
	buffer_store_dword v46, off, s[36:39], 0 offset:196 ; 4-byte Folded Spill
	;; [unrolled: 1-line block ×4, first 2 shown]
	v_add_co_ci_u32_e64 v2, null, s3, 0, s0
	s_add_u32 s0, s18, s4
	v_add_nc_u32_e32 v3, 0x200, v1
	v_mov_b32_e32 v1, v125
	v_add_co_u32 v125, s0, s0, v0
	v_mov_b32_e32 v0, 0
	s_addc_u32 s3, s19, s5
	v_mov_b32_e32 v47, 0
	v_add_co_ci_u32_e64 v126, null, s3, 0, s0
	buffer_store_dword v0, off, s[36:39], 0 offset:16 ; 4-byte Folded Spill
	v_mov_b32_e32 v0, 0
	v_mov_b32_e32 v5, 0
	;; [unrolled: 1-line block ×5, first 2 shown]
	buffer_store_dword v0, off, s[36:39], 0 offset:20 ; 4-byte Folded Spill
	v_mov_b32_e32 v0, 0
	s_mov_b32 s4, s13
	s_mov_b32 s3, 0
	buffer_store_dword v55, off, s[36:39], 0 offset:204 ; 4-byte Folded Spill
	buffer_store_dword v2, off, s[36:39], 0 offset:176 ; 4-byte Folded Spill
	;; [unrolled: 1-line block ×3, first 2 shown]
	v_mov_b32_e32 v0, 0
	buffer_store_dword v0, off, s[36:39], 0 offset:52 ; 4-byte Folded Spill
	v_mov_b32_e32 v0, 0
	buffer_store_dword v0, off, s[36:39], 0 offset:68 ; 4-byte Folded Spill
	;; [unrolled: 2-line block ×22, first 2 shown]
	s_branch .LBB50_26
.LBB50_25:                              ;   in Loop: Header=BB50_26 Depth=1
	s_or_b32 exec_lo, exec_lo, s0
	s_clause 0x1
	buffer_load_dword v5, off, s[36:39], 0 offset:16
	buffer_load_dword v6, off, s[36:39], 0 offset:144
	s_waitcnt vmcnt(3) lgkmcnt(0)
	v_mul_f32_e32 v0, v1, v121
	v_add_co_u32 v125, vcc_lo, v125, 16
	v_add_co_ci_u32_e64 v126, null, 0, v126, vcc_lo
	v_fmac_f32_e32 v0, v2, v122
	v_add_nc_u32_e32 v127, 0x80, v127
	v_fmac_f32_e32 v0, v3, v123
	v_fmac_f32_e32 v0, v4, v124
	s_waitcnt vmcnt(1)
	v_add_f32_e32 v5, v5, v0
	v_mul_f32_e32 v0, v1, v117
	buffer_store_dword v5, off, s[36:39], 0 offset:16 ; 4-byte Folded Spill
	buffer_load_dword v5, off, s[36:39], 0 offset:20 ; 4-byte Folded Reload
	v_fmac_f32_e32 v0, v2, v118
	v_fmac_f32_e32 v0, v3, v119
	v_fmac_f32_e32 v0, v4, v120
	s_waitcnt vmcnt(0)
	v_add_f32_e32 v5, v5, v0
	v_mul_f32_e32 v0, v1, v113
	buffer_store_dword v5, off, s[36:39], 0 offset:20 ; 4-byte Folded Spill
	buffer_load_dword v5, off, s[36:39], 0 offset:36 ; 4-byte Folded Reload
	v_fmac_f32_e32 v0, v2, v114
	;; [unrolled: 8-line block ×23, first 2 shown]
	v_fmac_f32_e32 v0, v3, v27
	v_fmac_f32_e32 v0, v4, v28
	s_waitcnt vmcnt(0)
	v_add_f32_e32 v5, v5, v0
	v_mul_f32_e32 v0, v1, v21
	v_fmac_f32_e32 v0, v2, v22
	v_fmac_f32_e32 v0, v3, v23
	;; [unrolled: 1-line block ×3, first 2 shown]
	v_add_f32_e32 v6, v6, v0
	v_mul_f32_e32 v0, v1, v17
	buffer_store_dword v6, off, s[36:39], 0 offset:144 ; 4-byte Folded Spill
	buffer_load_dword v6, off, s[36:39], 0 offset:148 ; 4-byte Folded Reload
	v_fmac_f32_e32 v0, v2, v18
	v_fmac_f32_e32 v0, v3, v19
	;; [unrolled: 1-line block ×3, first 2 shown]
	s_waitcnt vmcnt(0)
	v_add_f32_e32 v6, v6, v0
	v_mul_f32_e32 v0, v1, v13
	buffer_store_dword v6, off, s[36:39], 0 offset:148 ; 4-byte Folded Spill
	buffer_load_dword v6, off, s[36:39], 0 offset:160 ; 4-byte Folded Reload
	v_fmac_f32_e32 v0, v2, v14
	v_fmac_f32_e32 v0, v3, v15
	;; [unrolled: 1-line block ×3, first 2 shown]
	s_waitcnt vmcnt(0)
	v_add_f32_e32 v6, v6, v0
	v_mul_f32_e32 v0, v1, v9
	v_fmac_f32_e32 v0, v2, v10
	v_fmac_f32_e32 v0, v3, v11
	;; [unrolled: 1-line block ×3, first 2 shown]
	s_clause 0x4
	buffer_load_dword v9, off, s[36:39], 0
	buffer_load_dword v10, off, s[36:39], 0 offset:4
	buffer_load_dword v11, off, s[36:39], 0 offset:8
	;; [unrolled: 1-line block ×4, first 2 shown]
	v_add_f32_e32 v8, v8, v0
	s_waitcnt vmcnt(4)
	v_mul_f32_e32 v0, v1, v9
	s_waitcnt vmcnt(3)
	v_fmac_f32_e32 v0, v2, v10
	s_waitcnt vmcnt(2)
	v_fmac_f32_e32 v0, v3, v11
	;; [unrolled: 2-line block ×3, first 2 shown]
	v_add_f32_e32 v7, v7, v0
	v_mul_f32_e32 v0, v1, v89
	buffer_load_dword v1, off, s[36:39], 0 offset:168 ; 4-byte Folded Reload
	v_fmac_f32_e32 v0, v2, v90
	v_fmac_f32_e32 v0, v3, v91
	buffer_load_dword v3, off, s[36:39], 0 offset:164 ; 4-byte Folded Reload
	v_fmac_f32_e32 v0, v4, v92
	s_waitcnt vmcnt(2)
	v_add_f32_e32 v47, v47, v0
	s_waitcnt vmcnt(1)
	v_add_nc_u32_e32 v1, 4, v1
	v_cmp_le_i32_e32 vcc_lo, s12, v1
	s_waitcnt vmcnt(0)
	v_add_nc_u32_e32 v3, 0x200, v3
	s_or_b32 s3, vcc_lo, s3
	s_andn2_b32 exec_lo, exec_lo, s3
	s_cbranch_execz .LBB50_86
.LBB50_26:                              ; =>This Inner Loop Header: Depth=1
	buffer_store_dword v6, off, s[36:39], 0 offset:160 ; 4-byte Folded Spill
	buffer_store_dword v5, off, s[36:39], 0 offset:156 ; 4-byte Folded Spill
	;; [unrolled: 1-line block ×3, first 2 shown]
	global_load_dword v0, v[125:126], off
	buffer_load_dword v2, off, s[36:39], 0 offset:172 ; 4-byte Folded Reload
	v_mov_b32_e32 v5, v1
	v_add_nc_u32_e32 v6, -2, v127
	s_waitcnt vmcnt(1)
	v_mad_i64_i32 v[0:1], null, v0, s4, 0
	v_lshlrev_b64 v[0:1], 2, v[0:1]
	s_waitcnt vmcnt(0)
	v_add_co_u32 v89, vcc_lo, v2, v0
	buffer_load_dword v0, off, s[36:39], 0 offset:176 ; 4-byte Folded Reload
	s_waitcnt vmcnt(0)
	v_add_co_ci_u32_e64 v90, null, v0, v1, vcc_lo
	v_add_nc_u32_e32 v0, -3, v127
	v_cmp_eq_u32_e32 vcc_lo, s2, v5
	global_load_dwordx4 v[9:12], v[89:90], off
	s_waitcnt vmcnt(0)
	buffer_store_dword v9, off, s[36:39], 0 ; 4-byte Folded Spill
	buffer_store_dword v10, off, s[36:39], 0 offset:4 ; 4-byte Folded Spill
	buffer_store_dword v11, off, s[36:39], 0 offset:8 ; 4-byte Folded Spill
	;; [unrolled: 1-line block ×4, first 2 shown]
	ds_read_b128 v[1:4], v3
	buffer_store_dword v5, off, s[36:39], 0 offset:168 ; 4-byte Folded Spill
	v_add_nc_u32_e32 v5, -1, v127
	s_and_saveexec_b32 s5, vcc_lo
	s_cbranch_execnz .LBB50_65
; %bb.27:                               ;   in Loop: Header=BB50_26 Depth=1
	s_or_b32 exec_lo, exec_lo, s5
	global_load_dwordx4 v[9:12], v[89:90], off offset:512
	s_and_saveexec_b32 s5, vcc_lo
	s_cbranch_execnz .LBB50_66
.LBB50_28:                              ;   in Loop: Header=BB50_26 Depth=1
	s_or_b32 exec_lo, exec_lo, s5
	global_load_dwordx4 v[13:16], v[89:90], off offset:1024
	s_and_saveexec_b32 s5, vcc_lo
	s_cbranch_execnz .LBB50_67
.LBB50_29:                              ;   in Loop: Header=BB50_26 Depth=1
	s_or_b32 exec_lo, exec_lo, s5
	global_load_dwordx4 v[17:20], v[89:90], off offset:1536
	s_and_saveexec_b32 s5, vcc_lo
	s_cbranch_execz .LBB50_31
.LBB50_30:                              ;   in Loop: Header=BB50_26 Depth=1
	v_cmp_gt_i32_e64 s0, s11, v0
	s_waitcnt vmcnt(0)
	v_cndmask_b32_e64 v17, 0, v17, s0
	v_cmp_gt_i32_e64 s0, s11, v6
	v_cndmask_b32_e64 v18, 0, v18, s0
	v_cmp_gt_i32_e64 s0, s11, v5
	v_cndmask_b32_e64 v19, 0, v19, s0
	v_cmp_gt_i32_e64 s0, s11, v127
	v_cndmask_b32_e64 v20, 0, v20, s0
.LBB50_31:                              ;   in Loop: Header=BB50_26 Depth=1
	s_or_b32 exec_lo, exec_lo, s5
	v_add_co_u32 v33, s0, 0x800, v89
	v_add_co_ci_u32_e64 v34, null, 0, v90, s0
	global_load_dwordx4 v[21:24], v[33:34], off
	s_and_saveexec_b32 s5, vcc_lo
	s_cbranch_execnz .LBB50_68
; %bb.32:                               ;   in Loop: Header=BB50_26 Depth=1
	s_or_b32 exec_lo, exec_lo, s5
	global_load_dwordx4 v[25:28], v[33:34], off offset:512
	s_and_saveexec_b32 s5, vcc_lo
	s_cbranch_execnz .LBB50_69
.LBB50_33:                              ;   in Loop: Header=BB50_26 Depth=1
	s_or_b32 exec_lo, exec_lo, s5
	global_load_dwordx4 v[29:32], v[33:34], off offset:1024
	s_and_saveexec_b32 s5, vcc_lo
	s_cbranch_execnz .LBB50_70
.LBB50_34:                              ;   in Loop: Header=BB50_26 Depth=1
	s_or_b32 exec_lo, exec_lo, s5
	global_load_dwordx4 v[33:36], v[33:34], off offset:1536
	s_and_saveexec_b32 s5, vcc_lo
	s_cbranch_execz .LBB50_36
.LBB50_35:                              ;   in Loop: Header=BB50_26 Depth=1
	v_cmp_gt_i32_e64 s0, s11, v0
	s_waitcnt vmcnt(0)
	v_cndmask_b32_e64 v33, 0, v33, s0
	v_cmp_gt_i32_e64 s0, s11, v6
	v_cndmask_b32_e64 v34, 0, v34, s0
	v_cmp_gt_i32_e64 s0, s11, v5
	;; [unrolled: 2-line block ×3, first 2 shown]
	v_cndmask_b32_e64 v36, 0, v36, s0
.LBB50_36:                              ;   in Loop: Header=BB50_26 Depth=1
	s_or_b32 exec_lo, exec_lo, s5
	v_add_co_u32 v49, s0, 0x1000, v89
	v_add_co_ci_u32_e64 v50, null, 0, v90, s0
	global_load_dwordx4 v[37:40], v[49:50], off
	s_and_saveexec_b32 s5, vcc_lo
	s_cbranch_execnz .LBB50_71
; %bb.37:                               ;   in Loop: Header=BB50_26 Depth=1
	s_or_b32 exec_lo, exec_lo, s5
	global_load_dwordx4 v[41:44], v[49:50], off offset:512
	s_and_saveexec_b32 s5, vcc_lo
	s_cbranch_execnz .LBB50_72
.LBB50_38:                              ;   in Loop: Header=BB50_26 Depth=1
	s_or_b32 exec_lo, exec_lo, s5
	global_load_dwordx4 v[45:48], v[49:50], off offset:1024
	s_and_saveexec_b32 s5, vcc_lo
	s_cbranch_execnz .LBB50_73
.LBB50_39:                              ;   in Loop: Header=BB50_26 Depth=1
	s_or_b32 exec_lo, exec_lo, s5
	global_load_dwordx4 v[49:52], v[49:50], off offset:1536
	s_and_saveexec_b32 s5, vcc_lo
	s_cbranch_execz .LBB50_41
.LBB50_40:                              ;   in Loop: Header=BB50_26 Depth=1
	v_cmp_gt_i32_e64 s0, s11, v0
	s_waitcnt vmcnt(0)
	v_cndmask_b32_e64 v49, 0, v49, s0
	v_cmp_gt_i32_e64 s0, s11, v6
	v_cndmask_b32_e64 v50, 0, v50, s0
	v_cmp_gt_i32_e64 s0, s11, v5
	;; [unrolled: 2-line block ×3, first 2 shown]
	v_cndmask_b32_e64 v52, 0, v52, s0
.LBB50_41:                              ;   in Loop: Header=BB50_26 Depth=1
	s_or_b32 exec_lo, exec_lo, s5
	v_add_co_u32 v65, s0, 0x1800, v89
	v_add_co_ci_u32_e64 v66, null, 0, v90, s0
	global_load_dwordx4 v[53:56], v[65:66], off
	s_and_saveexec_b32 s5, vcc_lo
	s_cbranch_execnz .LBB50_74
; %bb.42:                               ;   in Loop: Header=BB50_26 Depth=1
	s_or_b32 exec_lo, exec_lo, s5
	global_load_dwordx4 v[57:60], v[65:66], off offset:512
	s_and_saveexec_b32 s5, vcc_lo
	s_cbranch_execnz .LBB50_75
.LBB50_43:                              ;   in Loop: Header=BB50_26 Depth=1
	s_or_b32 exec_lo, exec_lo, s5
	global_load_dwordx4 v[61:64], v[65:66], off offset:1024
	s_and_saveexec_b32 s5, vcc_lo
	s_cbranch_execnz .LBB50_76
.LBB50_44:                              ;   in Loop: Header=BB50_26 Depth=1
	s_or_b32 exec_lo, exec_lo, s5
	global_load_dwordx4 v[65:68], v[65:66], off offset:1536
	s_and_saveexec_b32 s5, vcc_lo
	s_cbranch_execz .LBB50_46
.LBB50_45:                              ;   in Loop: Header=BB50_26 Depth=1
	v_cmp_gt_i32_e64 s0, s11, v0
	s_waitcnt vmcnt(0)
	v_cndmask_b32_e64 v65, 0, v65, s0
	v_cmp_gt_i32_e64 s0, s11, v6
	v_cndmask_b32_e64 v66, 0, v66, s0
	v_cmp_gt_i32_e64 s0, s11, v5
	;; [unrolled: 2-line block ×3, first 2 shown]
	v_cndmask_b32_e64 v68, 0, v68, s0
.LBB50_46:                              ;   in Loop: Header=BB50_26 Depth=1
	s_or_b32 exec_lo, exec_lo, s5
	v_add_co_u32 v81, s0, 0x2000, v89
	v_add_co_ci_u32_e64 v82, null, 0, v90, s0
	global_load_dwordx4 v[69:72], v[81:82], off
	s_and_saveexec_b32 s5, vcc_lo
	s_cbranch_execnz .LBB50_77
; %bb.47:                               ;   in Loop: Header=BB50_26 Depth=1
	s_or_b32 exec_lo, exec_lo, s5
	global_load_dwordx4 v[73:76], v[81:82], off offset:512
	s_and_saveexec_b32 s5, vcc_lo
	s_cbranch_execnz .LBB50_78
.LBB50_48:                              ;   in Loop: Header=BB50_26 Depth=1
	s_or_b32 exec_lo, exec_lo, s5
	global_load_dwordx4 v[77:80], v[81:82], off offset:1024
	s_and_saveexec_b32 s5, vcc_lo
	s_cbranch_execnz .LBB50_79
.LBB50_49:                              ;   in Loop: Header=BB50_26 Depth=1
	s_or_b32 exec_lo, exec_lo, s5
	global_load_dwordx4 v[81:84], v[81:82], off offset:1536
	s_and_saveexec_b32 s5, vcc_lo
	s_cbranch_execz .LBB50_51
.LBB50_50:                              ;   in Loop: Header=BB50_26 Depth=1
	v_cmp_gt_i32_e64 s0, s11, v0
	s_waitcnt vmcnt(0)
	v_cndmask_b32_e64 v81, 0, v81, s0
	v_cmp_gt_i32_e64 s0, s11, v6
	v_cndmask_b32_e64 v82, 0, v82, s0
	v_cmp_gt_i32_e64 s0, s11, v5
	;; [unrolled: 2-line block ×3, first 2 shown]
	v_cndmask_b32_e64 v84, 0, v84, s0
.LBB50_51:                              ;   in Loop: Header=BB50_26 Depth=1
	s_or_b32 exec_lo, exec_lo, s5
	v_add_co_u32 v91, s0, 0x2800, v89
	v_add_co_ci_u32_e64 v92, null, 0, v90, s0
	global_load_dwordx4 v[85:88], v[91:92], off
	s_and_saveexec_b32 s5, vcc_lo
	s_cbranch_execnz .LBB50_80
; %bb.52:                               ;   in Loop: Header=BB50_26 Depth=1
	s_or_b32 exec_lo, exec_lo, s5
	global_load_dwordx4 v[93:96], v[91:92], off offset:512
	s_and_saveexec_b32 s5, vcc_lo
	s_cbranch_execnz .LBB50_81
.LBB50_53:                              ;   in Loop: Header=BB50_26 Depth=1
	s_or_b32 exec_lo, exec_lo, s5
	global_load_dwordx4 v[97:100], v[91:92], off offset:1024
	s_and_saveexec_b32 s5, vcc_lo
	s_cbranch_execnz .LBB50_82
.LBB50_54:                              ;   in Loop: Header=BB50_26 Depth=1
	s_or_b32 exec_lo, exec_lo, s5
	global_load_dwordx4 v[101:104], v[91:92], off offset:1536
	s_and_saveexec_b32 s5, vcc_lo
	s_cbranch_execz .LBB50_56
.LBB50_55:                              ;   in Loop: Header=BB50_26 Depth=1
	v_cmp_gt_i32_e64 s0, s11, v0
	s_waitcnt vmcnt(0)
	v_cndmask_b32_e64 v101, 0, v101, s0
	v_cmp_gt_i32_e64 s0, s11, v6
	v_cndmask_b32_e64 v102, 0, v102, s0
	v_cmp_gt_i32_e64 s0, s11, v5
	;; [unrolled: 2-line block ×3, first 2 shown]
	v_cndmask_b32_e64 v104, 0, v104, s0
.LBB50_56:                              ;   in Loop: Header=BB50_26 Depth=1
	s_or_b32 exec_lo, exec_lo, s5
	v_add_co_u32 v91, s0, 0x3000, v89
	v_add_co_ci_u32_e64 v92, null, 0, v90, s0
	global_load_dwordx4 v[105:108], v[91:92], off
	s_and_saveexec_b32 s5, vcc_lo
	s_cbranch_execnz .LBB50_83
; %bb.57:                               ;   in Loop: Header=BB50_26 Depth=1
	s_or_b32 exec_lo, exec_lo, s5
	global_load_dwordx4 v[109:112], v[91:92], off offset:512
	s_and_saveexec_b32 s5, vcc_lo
	s_cbranch_execnz .LBB50_84
.LBB50_58:                              ;   in Loop: Header=BB50_26 Depth=1
	s_or_b32 exec_lo, exec_lo, s5
	global_load_dwordx4 v[113:116], v[91:92], off offset:1024
	s_and_saveexec_b32 s5, vcc_lo
	s_cbranch_execnz .LBB50_85
.LBB50_59:                              ;   in Loop: Header=BB50_26 Depth=1
	s_or_b32 exec_lo, exec_lo, s5
	global_load_dwordx4 v[117:120], v[91:92], off offset:1536
	s_and_saveexec_b32 s5, vcc_lo
	s_cbranch_execz .LBB50_61
.LBB50_60:                              ;   in Loop: Header=BB50_26 Depth=1
	v_cmp_gt_i32_e64 s0, s11, v0
	s_waitcnt vmcnt(0)
	v_cndmask_b32_e64 v117, 0, v117, s0
	v_cmp_gt_i32_e64 s0, s11, v6
	v_cndmask_b32_e64 v118, 0, v118, s0
	v_cmp_gt_i32_e64 s0, s11, v5
	;; [unrolled: 2-line block ×3, first 2 shown]
	v_cndmask_b32_e64 v120, 0, v120, s0
.LBB50_61:                              ;   in Loop: Header=BB50_26 Depth=1
	s_or_b32 exec_lo, exec_lo, s5
	v_add_co_u32 v89, s0, 0x3800, v89
	v_add_co_ci_u32_e64 v90, null, 0, v90, s0
	global_load_dwordx4 v[121:124], v[89:90], off
	s_and_saveexec_b32 s5, vcc_lo
	s_cbranch_execz .LBB50_63
; %bb.62:                               ;   in Loop: Header=BB50_26 Depth=1
	v_cmp_gt_i32_e64 s0, s11, v0
	s_waitcnt vmcnt(0)
	v_cndmask_b32_e64 v121, 0, v121, s0
	v_cmp_gt_i32_e64 s0, s11, v6
	v_cndmask_b32_e64 v122, 0, v122, s0
	v_cmp_gt_i32_e64 s0, s11, v5
	;; [unrolled: 2-line block ×3, first 2 shown]
	v_cndmask_b32_e64 v124, 0, v124, s0
.LBB50_63:                              ;   in Loop: Header=BB50_26 Depth=1
	s_or_b32 exec_lo, exec_lo, s5
	global_load_dwordx4 v[89:92], v[89:90], off offset:512
	s_and_saveexec_b32 s0, vcc_lo
	s_cbranch_execz .LBB50_25
; %bb.64:                               ;   in Loop: Header=BB50_26 Depth=1
	v_cmp_gt_i32_e32 vcc_lo, s11, v0
	s_waitcnt vmcnt(0)
	v_cndmask_b32_e32 v89, 0, v89, vcc_lo
	v_cmp_gt_i32_e32 vcc_lo, s11, v6
	v_cndmask_b32_e32 v90, 0, v90, vcc_lo
	v_cmp_gt_i32_e32 vcc_lo, s11, v5
	;; [unrolled: 2-line block ×3, first 2 shown]
	v_cndmask_b32_e32 v92, 0, v92, vcc_lo
	s_branch .LBB50_25
.LBB50_65:                              ;   in Loop: Header=BB50_26 Depth=1
	s_clause 0x3
	buffer_load_dword v9, off, s[36:39], 0
	buffer_load_dword v10, off, s[36:39], 0 offset:4
	buffer_load_dword v11, off, s[36:39], 0 offset:8
	;; [unrolled: 1-line block ×3, first 2 shown]
	v_cmp_gt_i32_e64 s0, s11, v0
	s_waitcnt vmcnt(3)
	v_cndmask_b32_e64 v9, 0, v9, s0
	v_cmp_gt_i32_e64 s0, s11, v6
	s_waitcnt vmcnt(2)
	v_cndmask_b32_e64 v10, 0, v10, s0
	;; [unrolled: 3-line block ×4, first 2 shown]
	buffer_store_dword v9, off, s[36:39], 0 ; 4-byte Folded Spill
	buffer_store_dword v10, off, s[36:39], 0 offset:4 ; 4-byte Folded Spill
	buffer_store_dword v11, off, s[36:39], 0 offset:8 ; 4-byte Folded Spill
	;; [unrolled: 1-line block ×3, first 2 shown]
	s_or_b32 exec_lo, exec_lo, s5
	global_load_dwordx4 v[9:12], v[89:90], off offset:512
	s_and_saveexec_b32 s5, vcc_lo
	s_cbranch_execz .LBB50_28
.LBB50_66:                              ;   in Loop: Header=BB50_26 Depth=1
	v_cmp_gt_i32_e64 s0, s11, v0
	s_waitcnt vmcnt(0)
	v_cndmask_b32_e64 v9, 0, v9, s0
	v_cmp_gt_i32_e64 s0, s11, v6
	v_cndmask_b32_e64 v10, 0, v10, s0
	v_cmp_gt_i32_e64 s0, s11, v5
	v_cndmask_b32_e64 v11, 0, v11, s0
	v_cmp_gt_i32_e64 s0, s11, v127
	v_cndmask_b32_e64 v12, 0, v12, s0
	s_or_b32 exec_lo, exec_lo, s5
	global_load_dwordx4 v[13:16], v[89:90], off offset:1024
	s_and_saveexec_b32 s5, vcc_lo
	s_cbranch_execz .LBB50_29
.LBB50_67:                              ;   in Loop: Header=BB50_26 Depth=1
	v_cmp_gt_i32_e64 s0, s11, v0
	s_waitcnt vmcnt(0)
	v_cndmask_b32_e64 v13, 0, v13, s0
	v_cmp_gt_i32_e64 s0, s11, v6
	v_cndmask_b32_e64 v14, 0, v14, s0
	v_cmp_gt_i32_e64 s0, s11, v5
	;; [unrolled: 2-line block ×3, first 2 shown]
	v_cndmask_b32_e64 v16, 0, v16, s0
	s_or_b32 exec_lo, exec_lo, s5
	global_load_dwordx4 v[17:20], v[89:90], off offset:1536
	s_and_saveexec_b32 s5, vcc_lo
	s_cbranch_execnz .LBB50_30
	s_branch .LBB50_31
.LBB50_68:                              ;   in Loop: Header=BB50_26 Depth=1
	v_cmp_gt_i32_e64 s0, s11, v0
	s_waitcnt vmcnt(0)
	v_cndmask_b32_e64 v21, 0, v21, s0
	v_cmp_gt_i32_e64 s0, s11, v6
	v_cndmask_b32_e64 v22, 0, v22, s0
	v_cmp_gt_i32_e64 s0, s11, v5
	;; [unrolled: 2-line block ×3, first 2 shown]
	v_cndmask_b32_e64 v24, 0, v24, s0
	s_or_b32 exec_lo, exec_lo, s5
	global_load_dwordx4 v[25:28], v[33:34], off offset:512
	s_and_saveexec_b32 s5, vcc_lo
	s_cbranch_execz .LBB50_33
.LBB50_69:                              ;   in Loop: Header=BB50_26 Depth=1
	v_cmp_gt_i32_e64 s0, s11, v0
	s_waitcnt vmcnt(0)
	v_cndmask_b32_e64 v25, 0, v25, s0
	v_cmp_gt_i32_e64 s0, s11, v6
	v_cndmask_b32_e64 v26, 0, v26, s0
	v_cmp_gt_i32_e64 s0, s11, v5
	;; [unrolled: 2-line block ×3, first 2 shown]
	v_cndmask_b32_e64 v28, 0, v28, s0
	s_or_b32 exec_lo, exec_lo, s5
	global_load_dwordx4 v[29:32], v[33:34], off offset:1024
	s_and_saveexec_b32 s5, vcc_lo
	s_cbranch_execz .LBB50_34
.LBB50_70:                              ;   in Loop: Header=BB50_26 Depth=1
	v_cmp_gt_i32_e64 s0, s11, v0
	s_waitcnt vmcnt(0)
	v_cndmask_b32_e64 v29, 0, v29, s0
	v_cmp_gt_i32_e64 s0, s11, v6
	v_cndmask_b32_e64 v30, 0, v30, s0
	v_cmp_gt_i32_e64 s0, s11, v5
	;; [unrolled: 2-line block ×3, first 2 shown]
	v_cndmask_b32_e64 v32, 0, v32, s0
	s_or_b32 exec_lo, exec_lo, s5
	global_load_dwordx4 v[33:36], v[33:34], off offset:1536
	s_and_saveexec_b32 s5, vcc_lo
	s_cbranch_execnz .LBB50_35
	s_branch .LBB50_36
.LBB50_71:                              ;   in Loop: Header=BB50_26 Depth=1
	v_cmp_gt_i32_e64 s0, s11, v0
	s_waitcnt vmcnt(0)
	v_cndmask_b32_e64 v37, 0, v37, s0
	v_cmp_gt_i32_e64 s0, s11, v6
	v_cndmask_b32_e64 v38, 0, v38, s0
	v_cmp_gt_i32_e64 s0, s11, v5
	v_cndmask_b32_e64 v39, 0, v39, s0
	v_cmp_gt_i32_e64 s0, s11, v127
	v_cndmask_b32_e64 v40, 0, v40, s0
	s_or_b32 exec_lo, exec_lo, s5
	global_load_dwordx4 v[41:44], v[49:50], off offset:512
	s_and_saveexec_b32 s5, vcc_lo
	s_cbranch_execz .LBB50_38
.LBB50_72:                              ;   in Loop: Header=BB50_26 Depth=1
	v_cmp_gt_i32_e64 s0, s11, v0
	s_waitcnt vmcnt(0)
	v_cndmask_b32_e64 v41, 0, v41, s0
	v_cmp_gt_i32_e64 s0, s11, v6
	v_cndmask_b32_e64 v42, 0, v42, s0
	v_cmp_gt_i32_e64 s0, s11, v5
	;; [unrolled: 2-line block ×3, first 2 shown]
	v_cndmask_b32_e64 v44, 0, v44, s0
	s_or_b32 exec_lo, exec_lo, s5
	global_load_dwordx4 v[45:48], v[49:50], off offset:1024
	s_and_saveexec_b32 s5, vcc_lo
	s_cbranch_execz .LBB50_39
.LBB50_73:                              ;   in Loop: Header=BB50_26 Depth=1
	v_cmp_gt_i32_e64 s0, s11, v0
	s_waitcnt vmcnt(0)
	v_cndmask_b32_e64 v45, 0, v45, s0
	v_cmp_gt_i32_e64 s0, s11, v6
	v_cndmask_b32_e64 v46, 0, v46, s0
	v_cmp_gt_i32_e64 s0, s11, v5
	;; [unrolled: 2-line block ×3, first 2 shown]
	v_cndmask_b32_e64 v48, 0, v48, s0
	s_or_b32 exec_lo, exec_lo, s5
	global_load_dwordx4 v[49:52], v[49:50], off offset:1536
	s_and_saveexec_b32 s5, vcc_lo
	s_cbranch_execnz .LBB50_40
	s_branch .LBB50_41
.LBB50_74:                              ;   in Loop: Header=BB50_26 Depth=1
	v_cmp_gt_i32_e64 s0, s11, v0
	s_waitcnt vmcnt(0)
	v_cndmask_b32_e64 v53, 0, v53, s0
	v_cmp_gt_i32_e64 s0, s11, v6
	v_cndmask_b32_e64 v54, 0, v54, s0
	v_cmp_gt_i32_e64 s0, s11, v5
	;; [unrolled: 2-line block ×3, first 2 shown]
	v_cndmask_b32_e64 v56, 0, v56, s0
	s_or_b32 exec_lo, exec_lo, s5
	global_load_dwordx4 v[57:60], v[65:66], off offset:512
	s_and_saveexec_b32 s5, vcc_lo
	s_cbranch_execz .LBB50_43
.LBB50_75:                              ;   in Loop: Header=BB50_26 Depth=1
	v_cmp_gt_i32_e64 s0, s11, v0
	s_waitcnt vmcnt(0)
	v_cndmask_b32_e64 v57, 0, v57, s0
	v_cmp_gt_i32_e64 s0, s11, v6
	v_cndmask_b32_e64 v58, 0, v58, s0
	v_cmp_gt_i32_e64 s0, s11, v5
	;; [unrolled: 2-line block ×3, first 2 shown]
	v_cndmask_b32_e64 v60, 0, v60, s0
	s_or_b32 exec_lo, exec_lo, s5
	global_load_dwordx4 v[61:64], v[65:66], off offset:1024
	s_and_saveexec_b32 s5, vcc_lo
	s_cbranch_execz .LBB50_44
.LBB50_76:                              ;   in Loop: Header=BB50_26 Depth=1
	v_cmp_gt_i32_e64 s0, s11, v0
	s_waitcnt vmcnt(0)
	v_cndmask_b32_e64 v61, 0, v61, s0
	v_cmp_gt_i32_e64 s0, s11, v6
	v_cndmask_b32_e64 v62, 0, v62, s0
	v_cmp_gt_i32_e64 s0, s11, v5
	;; [unrolled: 2-line block ×3, first 2 shown]
	v_cndmask_b32_e64 v64, 0, v64, s0
	s_or_b32 exec_lo, exec_lo, s5
	global_load_dwordx4 v[65:68], v[65:66], off offset:1536
	s_and_saveexec_b32 s5, vcc_lo
	s_cbranch_execnz .LBB50_45
	s_branch .LBB50_46
.LBB50_77:                              ;   in Loop: Header=BB50_26 Depth=1
	v_cmp_gt_i32_e64 s0, s11, v0
	s_waitcnt vmcnt(0)
	v_cndmask_b32_e64 v69, 0, v69, s0
	v_cmp_gt_i32_e64 s0, s11, v6
	v_cndmask_b32_e64 v70, 0, v70, s0
	v_cmp_gt_i32_e64 s0, s11, v5
	;; [unrolled: 2-line block ×3, first 2 shown]
	v_cndmask_b32_e64 v72, 0, v72, s0
	s_or_b32 exec_lo, exec_lo, s5
	global_load_dwordx4 v[73:76], v[81:82], off offset:512
	s_and_saveexec_b32 s5, vcc_lo
	s_cbranch_execz .LBB50_48
.LBB50_78:                              ;   in Loop: Header=BB50_26 Depth=1
	v_cmp_gt_i32_e64 s0, s11, v0
	s_waitcnt vmcnt(0)
	v_cndmask_b32_e64 v73, 0, v73, s0
	v_cmp_gt_i32_e64 s0, s11, v6
	v_cndmask_b32_e64 v74, 0, v74, s0
	v_cmp_gt_i32_e64 s0, s11, v5
	;; [unrolled: 2-line block ×3, first 2 shown]
	v_cndmask_b32_e64 v76, 0, v76, s0
	s_or_b32 exec_lo, exec_lo, s5
	global_load_dwordx4 v[77:80], v[81:82], off offset:1024
	s_and_saveexec_b32 s5, vcc_lo
	s_cbranch_execz .LBB50_49
.LBB50_79:                              ;   in Loop: Header=BB50_26 Depth=1
	v_cmp_gt_i32_e64 s0, s11, v0
	s_waitcnt vmcnt(0)
	v_cndmask_b32_e64 v77, 0, v77, s0
	v_cmp_gt_i32_e64 s0, s11, v6
	v_cndmask_b32_e64 v78, 0, v78, s0
	v_cmp_gt_i32_e64 s0, s11, v5
	;; [unrolled: 2-line block ×3, first 2 shown]
	v_cndmask_b32_e64 v80, 0, v80, s0
	s_or_b32 exec_lo, exec_lo, s5
	global_load_dwordx4 v[81:84], v[81:82], off offset:1536
	s_and_saveexec_b32 s5, vcc_lo
	s_cbranch_execnz .LBB50_50
	s_branch .LBB50_51
.LBB50_80:                              ;   in Loop: Header=BB50_26 Depth=1
	v_cmp_gt_i32_e64 s0, s11, v0
	s_waitcnt vmcnt(0)
	v_cndmask_b32_e64 v85, 0, v85, s0
	v_cmp_gt_i32_e64 s0, s11, v6
	v_cndmask_b32_e64 v86, 0, v86, s0
	v_cmp_gt_i32_e64 s0, s11, v5
	;; [unrolled: 2-line block ×3, first 2 shown]
	v_cndmask_b32_e64 v88, 0, v88, s0
	s_or_b32 exec_lo, exec_lo, s5
	global_load_dwordx4 v[93:96], v[91:92], off offset:512
	s_and_saveexec_b32 s5, vcc_lo
	s_cbranch_execz .LBB50_53
.LBB50_81:                              ;   in Loop: Header=BB50_26 Depth=1
	v_cmp_gt_i32_e64 s0, s11, v0
	s_waitcnt vmcnt(0)
	v_cndmask_b32_e64 v93, 0, v93, s0
	v_cmp_gt_i32_e64 s0, s11, v6
	v_cndmask_b32_e64 v94, 0, v94, s0
	v_cmp_gt_i32_e64 s0, s11, v5
	;; [unrolled: 2-line block ×3, first 2 shown]
	v_cndmask_b32_e64 v96, 0, v96, s0
	s_or_b32 exec_lo, exec_lo, s5
	global_load_dwordx4 v[97:100], v[91:92], off offset:1024
	s_and_saveexec_b32 s5, vcc_lo
	s_cbranch_execz .LBB50_54
.LBB50_82:                              ;   in Loop: Header=BB50_26 Depth=1
	v_cmp_gt_i32_e64 s0, s11, v0
	s_waitcnt vmcnt(0)
	v_cndmask_b32_e64 v97, 0, v97, s0
	v_cmp_gt_i32_e64 s0, s11, v6
	v_cndmask_b32_e64 v98, 0, v98, s0
	v_cmp_gt_i32_e64 s0, s11, v5
	;; [unrolled: 2-line block ×3, first 2 shown]
	v_cndmask_b32_e64 v100, 0, v100, s0
	s_or_b32 exec_lo, exec_lo, s5
	global_load_dwordx4 v[101:104], v[91:92], off offset:1536
	s_and_saveexec_b32 s5, vcc_lo
	s_cbranch_execnz .LBB50_55
	s_branch .LBB50_56
.LBB50_83:                              ;   in Loop: Header=BB50_26 Depth=1
	v_cmp_gt_i32_e64 s0, s11, v0
	s_waitcnt vmcnt(0)
	v_cndmask_b32_e64 v105, 0, v105, s0
	v_cmp_gt_i32_e64 s0, s11, v6
	v_cndmask_b32_e64 v106, 0, v106, s0
	v_cmp_gt_i32_e64 s0, s11, v5
	;; [unrolled: 2-line block ×3, first 2 shown]
	v_cndmask_b32_e64 v108, 0, v108, s0
	s_or_b32 exec_lo, exec_lo, s5
	global_load_dwordx4 v[109:112], v[91:92], off offset:512
	s_and_saveexec_b32 s5, vcc_lo
	s_cbranch_execz .LBB50_58
.LBB50_84:                              ;   in Loop: Header=BB50_26 Depth=1
	v_cmp_gt_i32_e64 s0, s11, v0
	s_waitcnt vmcnt(0)
	v_cndmask_b32_e64 v109, 0, v109, s0
	v_cmp_gt_i32_e64 s0, s11, v6
	v_cndmask_b32_e64 v110, 0, v110, s0
	v_cmp_gt_i32_e64 s0, s11, v5
	;; [unrolled: 2-line block ×3, first 2 shown]
	v_cndmask_b32_e64 v112, 0, v112, s0
	s_or_b32 exec_lo, exec_lo, s5
	global_load_dwordx4 v[113:116], v[91:92], off offset:1024
	s_and_saveexec_b32 s5, vcc_lo
	s_cbranch_execz .LBB50_59
.LBB50_85:                              ;   in Loop: Header=BB50_26 Depth=1
	v_cmp_gt_i32_e64 s0, s11, v0
	s_waitcnt vmcnt(0)
	v_cndmask_b32_e64 v113, 0, v113, s0
	v_cmp_gt_i32_e64 s0, s11, v6
	v_cndmask_b32_e64 v114, 0, v114, s0
	v_cmp_gt_i32_e64 s0, s11, v5
	;; [unrolled: 2-line block ×3, first 2 shown]
	v_cndmask_b32_e64 v116, 0, v116, s0
	s_or_b32 exec_lo, exec_lo, s5
	global_load_dwordx4 v[117:120], v[91:92], off offset:1536
	s_and_saveexec_b32 s5, vcc_lo
	s_cbranch_execnz .LBB50_60
	s_branch .LBB50_61
.LBB50_86:
	s_or_b32 exec_lo, exec_lo, s3
	s_clause 0x1f
	buffer_load_dword v54, off, s[36:39], 0 offset:180
	buffer_load_dword v125, off, s[36:39], 0 offset:184
	;; [unrolled: 1-line block ×32, first 2 shown]
	v_mov_b32_e32 v19, v7
	v_mov_b32_e32 v22, v8
.LBB50_87:
	s_or_b32 exec_lo, exec_lo, s1
	s_waitcnt vmcnt(26)
	ds_bpermute_b32 v1, v37, v22
	s_waitcnt vmcnt(0)
	ds_bpermute_b32 v3, v37, v18
	ds_bpermute_b32 v0, v37, v19
	;; [unrolled: 1-line block ×4, first 2 shown]
	v_mov_b32_e32 v16, v5
	ds_bpermute_b32 v5, v37, v5
	ds_bpermute_b32 v7, v37, v14
	;; [unrolled: 1-line block ×3, first 2 shown]
	v_mov_b32_e32 v20, v6
	ds_bpermute_b32 v6, v37, v15
	ds_bpermute_b32 v9, v37, v21
	;; [unrolled: 1-line block ×8, first 2 shown]
	s_mov_b32 s0, exec_lo
	s_waitcnt lgkmcnt(0)
	s_waitcnt_vscnt null, 0x0
	v_add_f32_e32 v1, v22, v1
	v_add_f32_e32 v3, v18, v3
	;; [unrolled: 1-line block ×5, first 2 shown]
	s_barrier
	v_add_f32_e32 v5, v16, v5
	v_add_f32_e32 v7, v14, v7
	;; [unrolled: 1-line block ×3, first 2 shown]
	ds_bpermute_b32 v14, v46, v1
	ds_bpermute_b32 v16, v46, v3
	v_add_f32_e32 v6, v15, v6
	ds_bpermute_b32 v13, v46, v0
	ds_bpermute_b32 v15, v46, v2
	;; [unrolled: 1-line block ×5, first 2 shown]
	v_add_f32_e32 v9, v21, v9
	ds_bpermute_b32 v21, v37, v27
	v_add_f32_e32 v11, v30, v11
	v_add_f32_e32 v23, v28, v23
	v_add_f32_e32 v10, v31, v10
	ds_bpermute_b32 v25, v46, v9
	ds_bpermute_b32 v18, v46, v5
	;; [unrolled: 1-line block ×4, first 2 shown]
	v_add_f32_e32 v12, v29, v12
	s_waitcnt lgkmcnt(0)
	buffer_gl0_inv
	v_add_f32_e32 v1, v1, v14
	v_add_f32_e32 v3, v3, v16
	ds_bpermute_b32 v29, v46, v12
	v_add_f32_e32 v0, v0, v13
	v_add_f32_e32 v2, v2, v15
	;; [unrolled: 1-line block ×4, first 2 shown]
	ds_bpermute_b32 v14, v53, v1
	ds_bpermute_b32 v16, v53, v3
	v_add_f32_e32 v8, v8, v22
	ds_bpermute_b32 v13, v53, v0
	ds_bpermute_b32 v15, v53, v2
	;; [unrolled: 1-line block ×5, first 2 shown]
	v_add_f32_e32 v21, v27, v21
	v_add_f32_e32 v9, v9, v25
	;; [unrolled: 1-line block ×3, first 2 shown]
	ds_bpermute_b32 v31, v37, v43
	v_add_f32_e32 v5, v5, v18
	ds_bpermute_b32 v30, v46, v21
	ds_bpermute_b32 v28, v53, v9
	v_add_f32_e32 v6, v6, v19
	ds_bpermute_b32 v25, v46, v10
	ds_bpermute_b32 v27, v46, v11
	;; [unrolled: 1-line block ×3, first 2 shown]
	s_waitcnt lgkmcnt(13)
	v_add_f32_e32 v12, v12, v29
	s_waitcnt lgkmcnt(12)
	v_add_f32_e32 v1, v1, v14
	;; [unrolled: 2-line block ×3, first 2 shown]
	v_add_f32_e32 v14, v36, v24
	v_add_f32_e32 v16, v34, v26
	s_waitcnt lgkmcnt(10)
	v_add_f32_e32 v0, v0, v13
	s_waitcnt lgkmcnt(9)
	v_add_f32_e32 v2, v2, v15
	ds_bpermute_b32 v13, v37, v32
	s_waitcnt lgkmcnt(9)
	v_add_f32_e32 v4, v4, v17
	s_waitcnt lgkmcnt(8)
	v_add_f32_e32 v7, v7, v20
	;; [unrolled: 2-line block ×3, first 2 shown]
	ds_bpermute_b32 v15, v46, v14
	ds_bpermute_b32 v17, v37, v33
	;; [unrolled: 1-line block ×5, first 2 shown]
	s_waitcnt lgkmcnt(10)
	v_add_f32_e32 v21, v21, v30
	ds_bpermute_b32 v30, v37, v40
	ds_bpermute_b32 v26, v37, v39
	;; [unrolled: 1-line block ×3, first 2 shown]
	s_waitcnt lgkmcnt(12)
	v_add_f32_e32 v9, v9, v28
	v_add_f32_e32 v31, v43, v31
	ds_bpermute_b32 v19, v53, v6
	s_waitcnt lgkmcnt(12)
	v_add_f32_e32 v10, v10, v25
	s_waitcnt lgkmcnt(11)
	v_add_f32_e32 v11, v11, v27
	;; [unrolled: 2-line block ×3, first 2 shown]
	ds_bpermute_b32 v43, v46, v31
	s_waitcnt lgkmcnt(10)
	v_add_f32_e32 v13, v32, v13
	ds_bpermute_b32 v32, v37, v41
	ds_bpermute_b32 v18, v53, v10
	;; [unrolled: 1-line block ×3, first 2 shown]
	s_waitcnt lgkmcnt(12)
	v_add_f32_e32 v15, v14, v15
	ds_bpermute_b32 v14, v37, v44
	s_waitcnt lgkmcnt(12)
	v_add_f32_e32 v17, v33, v17
	ds_bpermute_b32 v33, v37, v42
	s_waitcnt lgkmcnt(12)
	v_add_f32_e32 v16, v16, v20
	s_waitcnt lgkmcnt(11)
	v_add_f32_e32 v20, v35, v22
	ds_bpermute_b32 v22, v37, v45
	ds_bpermute_b32 v37, v37, v47
	;; [unrolled: 1-line block ×4, first 2 shown]
	s_waitcnt lgkmcnt(14)
	v_add_f32_e32 v24, v38, v24
	ds_bpermute_b32 v38, v46, v20
	s_waitcnt lgkmcnt(14)
	v_add_f32_e32 v30, v40, v30
	s_waitcnt lgkmcnt(13)
	v_add_f32_e32 v26, v39, v26
	;; [unrolled: 2-line block ×4, first 2 shown]
	v_add_f32_e32 v6, v6, v19
	s_waitcnt lgkmcnt(9)
	v_add_f32_e32 v32, v41, v32
	ds_bpermute_b32 v41, v46, v30
	ds_bpermute_b32 v40, v46, v26
	;; [unrolled: 1-line block ×3, first 2 shown]
	s_waitcnt lgkmcnt(9)
	v_add_f32_e32 v14, v44, v14
	ds_bpermute_b32 v44, v46, v32
	s_waitcnt lgkmcnt(9)
	v_add_f32_e32 v33, v42, v33
	ds_bpermute_b32 v27, v53, v21
	ds_bpermute_b32 v29, v53, v23
	s_waitcnt lgkmcnt(10)
	v_add_f32_e32 v22, v45, v22
	s_waitcnt lgkmcnt(9)
	v_add_f32_e32 v37, v47, v37
	s_waitcnt lgkmcnt(8)
	v_add_f32_e32 v28, v13, v28
	ds_bpermute_b32 v13, v46, v24
	ds_bpermute_b32 v42, v46, v14
	;; [unrolled: 1-line block ×3, first 2 shown]
	s_waitcnt lgkmcnt(10)
	v_add_f32_e32 v35, v17, v35
	ds_bpermute_b32 v17, v46, v22
	s_waitcnt lgkmcnt(10)
	v_add_f32_e32 v20, v20, v38
	ds_bpermute_b32 v38, v46, v36
	ds_bpermute_b32 v46, v46, v37
	;; [unrolled: 1-line block ×3, first 2 shown]
	s_waitcnt lgkmcnt(12)
	v_add_f32_e32 v30, v30, v41
	s_waitcnt lgkmcnt(11)
	v_add_f32_e32 v26, v26, v40
	ds_bpermute_b32 v39, v53, v16
	ds_bpermute_b32 v47, v53, v28
	s_waitcnt lgkmcnt(11)
	v_add_f32_e32 v32, v32, v44
	ds_bpermute_b32 v43, v53, v30
	ds_bpermute_b32 v40, v53, v35
	;; [unrolled: 1-line block ×5, first 2 shown]
	v_add_f32_e32 v10, v10, v18
	s_waitcnt lgkmcnt(13)
	v_add_f32_e32 v24, v24, v13
	s_waitcnt lgkmcnt(12)
	;; [unrolled: 2-line block ×3, first 2 shown]
	v_add_f32_e32 v33, v33, v45
	ds_bpermute_b32 v45, v53, v31
	s_waitcnt lgkmcnt(11)
	v_add_f32_e32 v51, v22, v17
	ds_bpermute_b32 v49, v53, v24
	s_waitcnt lgkmcnt(11)
	v_add_f32_e32 v36, v36, v38
	s_waitcnt lgkmcnt(10)
	v_add_f32_e32 v37, v37, v46
	ds_bpermute_b32 v44, v53, v42
	ds_bpermute_b32 v52, v53, v33
	ds_bpermute_b32 v38, v53, v51
	ds_bpermute_b32 v46, v53, v36
	ds_bpermute_b32 v53, v53, v37
	v_add_f32_e32 v11, v11, v19
	s_waitcnt lgkmcnt(11)
	v_add_f32_e32 v22, v30, v43
	v_lshrrev_b32_e32 v30, 3, v121
	v_add_f32_e32 v12, v12, v25
	v_add_f32_e32 v13, v21, v27
	;; [unrolled: 1-line block ×6, first 2 shown]
	s_waitcnt lgkmcnt(10)
	v_add_f32_e32 v18, v35, v40
	s_waitcnt lgkmcnt(9)
	v_add_f32_e32 v19, v20, v48
	s_waitcnt lgkmcnt(8)
	v_add_f32_e32 v21, v26, v41
	s_waitcnt lgkmcnt(5)
	v_add_f32_e32 v20, v24, v49
	v_add_f32_e32 v24, v31, v45
	v_add_f32_e32 v25, v32, v50
	s_waitcnt lgkmcnt(4)
	v_add_f32_e32 v23, v42, v44
	s_waitcnt lgkmcnt(3)
	;; [unrolled: 2-line block ×3, first 2 shown]
	v_add_f32_e32 v27, v51, v38
	v_and_b32_e32 v33, 0x3c7, v54
	s_waitcnt lgkmcnt(1)
	v_add_f32_e32 v28, v36, v46
	s_waitcnt lgkmcnt(0)
	v_add_f32_e32 v29, v37, v53
	v_lshl_add_u32 v31, v30, 2, 0x200
	v_mul_u32_u24_e32 v32, 0x1e0, v125
	v_cmpx_eq_u32_e32 64, v33
	s_cbranch_execz .LBB50_89
; %bb.88:
	v_add_nc_u32_e32 v33, v31, v32
	v_add_nc_u32_e32 v34, 0xfffffc40, v33
	;; [unrolled: 1-line block ×6, first 2 shown]
	ds_write_b32 v34, v0
	ds_write_b32 v35, v1
	ds_write_b32 v36, v2
	ds_write_b32 v37, v3
	ds_write_b32 v38, v4
	v_add_nc_u32_e32 v34, 0xfffffc90, v33
	v_add_nc_u32_e32 v35, 0xfffffca0, v33
	v_add_nc_u32_e32 v36, 0xfffffcb0, v33
	v_add_nc_u32_e32 v37, 0xfffffcc0, v33
	v_add_nc_u32_e32 v38, 0xfffffcd0, v33
	ds_write_b32 v34, v5
	ds_write_b32 v35, v6
	ds_write_b32 v36, v7
	ds_write_b32 v37, v8
	ds_write_b32 v38, v9
	v_add_nc_u32_e32 v34, 0xfffffce0, v33
	v_add_nc_u32_e32 v35, 0xfffffcf0, v33
	v_add_nc_u32_e32 v36, 0xfffffd00, v33
	v_add_nc_u32_e32 v37, 0xfffffd10, v33
	v_add_nc_u32_e32 v38, 0xfffffd20, v33
	;; [unrolled: 10-line block ×5, first 2 shown]
	ds_write_b32 v34, v25
	ds_write_b32 v35, v26
	;; [unrolled: 1-line block ×5, first 2 shown]
.LBB50_89:
	s_or_b32 exec_lo, exec_lo, s0
	v_lshlrev_b32_e32 v30, 2, v30
	s_mov_b32 s1, exec_lo
	v_cmp_eq_u32_e32 vcc_lo, 0, v55
	s_waitcnt lgkmcnt(0)
	s_barrier
	v_add3_u32 v30, 0x200, v32, v30
	buffer_gl0_inv
	v_cmpx_gt_u32_e32 64, v54
	s_cbranch_execz .LBB50_122
; %bb.90:
	s_and_saveexec_b32 s0, vcc_lo
	s_cbranch_execnz .LBB50_160
; %bb.91:
	s_or_b32 exec_lo, exec_lo, s0
	s_and_saveexec_b32 s0, vcc_lo
	s_cbranch_execnz .LBB50_161
.LBB50_92:
	s_or_b32 exec_lo, exec_lo, s0
	s_and_saveexec_b32 s0, vcc_lo
	s_cbranch_execnz .LBB50_162
.LBB50_93:
	s_or_b32 exec_lo, exec_lo, s0
	s_and_saveexec_b32 s0, vcc_lo
	s_cbranch_execnz .LBB50_163
.LBB50_94:
	s_or_b32 exec_lo, exec_lo, s0
	s_and_saveexec_b32 s0, vcc_lo
	s_cbranch_execnz .LBB50_164
.LBB50_95:
	s_or_b32 exec_lo, exec_lo, s0
	s_and_saveexec_b32 s0, vcc_lo
	s_cbranch_execnz .LBB50_165
.LBB50_96:
	s_or_b32 exec_lo, exec_lo, s0
	s_and_saveexec_b32 s0, vcc_lo
	s_cbranch_execnz .LBB50_166
.LBB50_97:
	s_or_b32 exec_lo, exec_lo, s0
	s_and_saveexec_b32 s0, vcc_lo
	s_cbranch_execnz .LBB50_167
.LBB50_98:
	s_or_b32 exec_lo, exec_lo, s0
	s_and_saveexec_b32 s0, vcc_lo
	s_cbranch_execnz .LBB50_168
.LBB50_99:
	s_or_b32 exec_lo, exec_lo, s0
	s_and_saveexec_b32 s0, vcc_lo
	s_cbranch_execnz .LBB50_169
.LBB50_100:
	s_or_b32 exec_lo, exec_lo, s0
	s_and_saveexec_b32 s0, vcc_lo
	s_cbranch_execnz .LBB50_170
.LBB50_101:
	s_or_b32 exec_lo, exec_lo, s0
	s_and_saveexec_b32 s0, vcc_lo
	s_cbranch_execnz .LBB50_171
.LBB50_102:
	s_or_b32 exec_lo, exec_lo, s0
	s_and_saveexec_b32 s0, vcc_lo
	s_cbranch_execnz .LBB50_172
.LBB50_103:
	s_or_b32 exec_lo, exec_lo, s0
	s_and_saveexec_b32 s0, vcc_lo
	s_cbranch_execnz .LBB50_173
.LBB50_104:
	s_or_b32 exec_lo, exec_lo, s0
	s_and_saveexec_b32 s0, vcc_lo
	s_cbranch_execnz .LBB50_174
.LBB50_105:
	s_or_b32 exec_lo, exec_lo, s0
	s_and_saveexec_b32 s0, vcc_lo
	s_cbranch_execnz .LBB50_175
.LBB50_106:
	s_or_b32 exec_lo, exec_lo, s0
	s_and_saveexec_b32 s0, vcc_lo
	s_cbranch_execnz .LBB50_176
.LBB50_107:
	s_or_b32 exec_lo, exec_lo, s0
	s_and_saveexec_b32 s0, vcc_lo
	s_cbranch_execnz .LBB50_177
.LBB50_108:
	s_or_b32 exec_lo, exec_lo, s0
	s_and_saveexec_b32 s0, vcc_lo
	s_cbranch_execnz .LBB50_178
.LBB50_109:
	s_or_b32 exec_lo, exec_lo, s0
	s_and_saveexec_b32 s0, vcc_lo
	s_cbranch_execnz .LBB50_179
.LBB50_110:
	s_or_b32 exec_lo, exec_lo, s0
	s_and_saveexec_b32 s0, vcc_lo
	s_cbranch_execnz .LBB50_180
.LBB50_111:
	s_or_b32 exec_lo, exec_lo, s0
	s_and_saveexec_b32 s0, vcc_lo
	s_cbranch_execnz .LBB50_181
.LBB50_112:
	s_or_b32 exec_lo, exec_lo, s0
	s_and_saveexec_b32 s0, vcc_lo
	s_cbranch_execnz .LBB50_182
.LBB50_113:
	s_or_b32 exec_lo, exec_lo, s0
	s_and_saveexec_b32 s0, vcc_lo
	s_cbranch_execnz .LBB50_183
.LBB50_114:
	s_or_b32 exec_lo, exec_lo, s0
	s_and_saveexec_b32 s0, vcc_lo
	s_cbranch_execnz .LBB50_184
.LBB50_115:
	s_or_b32 exec_lo, exec_lo, s0
	s_and_saveexec_b32 s0, vcc_lo
	s_cbranch_execnz .LBB50_185
.LBB50_116:
	s_or_b32 exec_lo, exec_lo, s0
	s_and_saveexec_b32 s0, vcc_lo
	s_cbranch_execnz .LBB50_186
.LBB50_117:
	s_or_b32 exec_lo, exec_lo, s0
	s_and_saveexec_b32 s0, vcc_lo
	s_cbranch_execnz .LBB50_187
.LBB50_118:
	s_or_b32 exec_lo, exec_lo, s0
	s_and_saveexec_b32 s0, vcc_lo
	s_cbranch_execnz .LBB50_188
.LBB50_119:
	s_or_b32 exec_lo, exec_lo, s0
	s_and_saveexec_b32 s0, vcc_lo
	s_cbranch_execz .LBB50_121
.LBB50_120:
	ds_read_b32 v32, v30 offset:464
	s_waitcnt lgkmcnt(0)
	v_add_f32_e32 v29, v29, v32
.LBB50_121:
	s_or_b32 exec_lo, exec_lo, s0
.LBB50_122:
	s_or_b32 exec_lo, exec_lo, s1
	v_and_b32_e32 v32, 0x3e7, v54
	s_mov_b32 s1, exec_lo
	s_barrier
	buffer_gl0_inv
	v_cmpx_eq_u32_e32 32, v32
	s_cbranch_execz .LBB50_124
; %bb.123:
	ds_write2_b32 v31, v0, v1 offset1:4
	ds_write2_b32 v31, v2, v3 offset0:8 offset1:12
	ds_write2_b32 v31, v4, v5 offset0:16 offset1:20
	;; [unrolled: 1-line block ×14, first 2 shown]
.LBB50_124:
	s_or_b32 exec_lo, exec_lo, s1
	s_mov_b32 s1, exec_lo
	s_waitcnt lgkmcnt(0)
	s_barrier
	buffer_gl0_inv
	v_cmpx_gt_u32_e32 32, v54
	s_cbranch_execz .LBB50_157
; %bb.125:
	s_and_saveexec_b32 s0, vcc_lo
	s_cbranch_execnz .LBB50_189
; %bb.126:
	s_or_b32 exec_lo, exec_lo, s0
	s_and_saveexec_b32 s0, vcc_lo
	s_cbranch_execnz .LBB50_190
.LBB50_127:
	s_or_b32 exec_lo, exec_lo, s0
	s_and_saveexec_b32 s0, vcc_lo
	s_cbranch_execnz .LBB50_191
.LBB50_128:
	s_or_b32 exec_lo, exec_lo, s0
	s_and_saveexec_b32 s0, vcc_lo
	s_cbranch_execnz .LBB50_192
.LBB50_129:
	s_or_b32 exec_lo, exec_lo, s0
	s_and_saveexec_b32 s0, vcc_lo
	s_cbranch_execnz .LBB50_193
.LBB50_130:
	s_or_b32 exec_lo, exec_lo, s0
	s_and_saveexec_b32 s0, vcc_lo
	s_cbranch_execnz .LBB50_194
.LBB50_131:
	s_or_b32 exec_lo, exec_lo, s0
	s_and_saveexec_b32 s0, vcc_lo
	s_cbranch_execnz .LBB50_195
.LBB50_132:
	s_or_b32 exec_lo, exec_lo, s0
	s_and_saveexec_b32 s0, vcc_lo
	s_cbranch_execnz .LBB50_196
.LBB50_133:
	s_or_b32 exec_lo, exec_lo, s0
	s_and_saveexec_b32 s0, vcc_lo
	s_cbranch_execnz .LBB50_197
.LBB50_134:
	s_or_b32 exec_lo, exec_lo, s0
	s_and_saveexec_b32 s0, vcc_lo
	s_cbranch_execnz .LBB50_198
.LBB50_135:
	s_or_b32 exec_lo, exec_lo, s0
	s_and_saveexec_b32 s0, vcc_lo
	s_cbranch_execnz .LBB50_199
.LBB50_136:
	s_or_b32 exec_lo, exec_lo, s0
	s_and_saveexec_b32 s0, vcc_lo
	s_cbranch_execnz .LBB50_200
.LBB50_137:
	s_or_b32 exec_lo, exec_lo, s0
	s_and_saveexec_b32 s0, vcc_lo
	s_cbranch_execnz .LBB50_201
.LBB50_138:
	s_or_b32 exec_lo, exec_lo, s0
	s_and_saveexec_b32 s0, vcc_lo
	s_cbranch_execnz .LBB50_202
.LBB50_139:
	s_or_b32 exec_lo, exec_lo, s0
	s_and_saveexec_b32 s0, vcc_lo
	s_cbranch_execnz .LBB50_203
.LBB50_140:
	s_or_b32 exec_lo, exec_lo, s0
	s_and_saveexec_b32 s0, vcc_lo
	s_cbranch_execnz .LBB50_204
.LBB50_141:
	s_or_b32 exec_lo, exec_lo, s0
	s_and_saveexec_b32 s0, vcc_lo
	s_cbranch_execnz .LBB50_205
.LBB50_142:
	s_or_b32 exec_lo, exec_lo, s0
	s_and_saveexec_b32 s0, vcc_lo
	s_cbranch_execnz .LBB50_206
.LBB50_143:
	s_or_b32 exec_lo, exec_lo, s0
	s_and_saveexec_b32 s0, vcc_lo
	s_cbranch_execnz .LBB50_207
.LBB50_144:
	s_or_b32 exec_lo, exec_lo, s0
	s_and_saveexec_b32 s0, vcc_lo
	s_cbranch_execnz .LBB50_208
.LBB50_145:
	s_or_b32 exec_lo, exec_lo, s0
	s_and_saveexec_b32 s0, vcc_lo
	s_cbranch_execnz .LBB50_209
.LBB50_146:
	s_or_b32 exec_lo, exec_lo, s0
	s_and_saveexec_b32 s0, vcc_lo
	s_cbranch_execnz .LBB50_210
.LBB50_147:
	s_or_b32 exec_lo, exec_lo, s0
	s_and_saveexec_b32 s0, vcc_lo
	s_cbranch_execnz .LBB50_211
.LBB50_148:
	s_or_b32 exec_lo, exec_lo, s0
	s_and_saveexec_b32 s0, vcc_lo
	s_cbranch_execnz .LBB50_212
.LBB50_149:
	s_or_b32 exec_lo, exec_lo, s0
	s_and_saveexec_b32 s0, vcc_lo
	s_cbranch_execnz .LBB50_213
.LBB50_150:
	s_or_b32 exec_lo, exec_lo, s0
	s_and_saveexec_b32 s0, vcc_lo
	s_cbranch_execnz .LBB50_214
.LBB50_151:
	s_or_b32 exec_lo, exec_lo, s0
	s_and_saveexec_b32 s0, vcc_lo
	s_cbranch_execnz .LBB50_215
.LBB50_152:
	s_or_b32 exec_lo, exec_lo, s0
	s_and_saveexec_b32 s0, vcc_lo
	s_cbranch_execnz .LBB50_216
.LBB50_153:
	s_or_b32 exec_lo, exec_lo, s0
	s_and_saveexec_b32 s0, vcc_lo
	s_cbranch_execnz .LBB50_217
.LBB50_154:
	s_or_b32 exec_lo, exec_lo, s0
	s_and_saveexec_b32 s0, vcc_lo
	s_cbranch_execz .LBB50_156
.LBB50_155:
	ds_read_b32 v30, v30 offset:464
	s_waitcnt lgkmcnt(0)
	v_add_f32_e32 v29, v29, v30
.LBB50_156:
	s_or_b32 exec_lo, exec_lo, s0
.LBB50_157:
	s_or_b32 exec_lo, exec_lo, s1
	s_barrier
	buffer_gl0_inv
	s_mov_b32 s0, exec_lo
	v_cmpx_eq_u32_e32 0, v32
	s_cbranch_execz .LBB50_159
; %bb.158:
	s_mul_i32 s0, s10, s7
	s_mul_i32 s2, s7, s6
	s_mul_i32 s0, s0, s9
	v_lshrrev_b32_e32 v30, 1, v54
	s_mulk_i32 s0, 0x78
	s_ashr_i32 s1, s0, 31
	s_lshl_b64 s[0:1], s[0:1], 2
	s_add_u32 s4, s16, s0
	s_addc_u32 s5, s17, s1
	s_ashr_i32 s3, s2, 31
	s_lshl_b64 s[0:1], s[2:3], 2
	s_mul_i32 s2, s8, 0x78
	s_add_u32 s4, s4, s0
	s_addc_u32 s5, s5, s1
	s_ashr_i32 s3, s2, 31
	s_lshl_b64 s[0:1], s[2:3], 2
	s_add_u32 s0, s4, s0
	s_addc_u32 s1, s5, s1
	global_store_dword v30, v0, s[0:1]
	global_store_dword v30, v1, s[0:1] offset:16
	global_store_dword v30, v2, s[0:1] offset:32
	global_store_dword v30, v3, s[0:1] offset:48
	global_store_dword v30, v4, s[0:1] offset:64
	global_store_dword v30, v5, s[0:1] offset:80
	global_store_dword v30, v6, s[0:1] offset:96
	global_store_dword v30, v7, s[0:1] offset:112
	global_store_dword v30, v8, s[0:1] offset:128
	global_store_dword v30, v9, s[0:1] offset:144
	global_store_dword v30, v10, s[0:1] offset:160
	global_store_dword v30, v11, s[0:1] offset:176
	global_store_dword v30, v12, s[0:1] offset:192
	global_store_dword v30, v13, s[0:1] offset:208
	global_store_dword v30, v14, s[0:1] offset:224
	global_store_dword v30, v15, s[0:1] offset:240
	global_store_dword v30, v16, s[0:1] offset:256
	global_store_dword v30, v17, s[0:1] offset:272
	global_store_dword v30, v18, s[0:1] offset:288
	global_store_dword v30, v19, s[0:1] offset:304
	global_store_dword v30, v20, s[0:1] offset:320
	global_store_dword v30, v21, s[0:1] offset:336
	global_store_dword v30, v22, s[0:1] offset:352
	global_store_dword v30, v23, s[0:1] offset:368
	global_store_dword v30, v24, s[0:1] offset:384
	global_store_dword v30, v25, s[0:1] offset:400
	global_store_dword v30, v26, s[0:1] offset:416
	global_store_dword v30, v27, s[0:1] offset:432
	global_store_dword v30, v28, s[0:1] offset:448
	global_store_dword v30, v29, s[0:1] offset:464
.LBB50_159:
	s_endpgm
.LBB50_160:
	ds_read_b32 v32, v30
	s_waitcnt lgkmcnt(0)
	v_add_f32_e32 v0, v0, v32
	s_or_b32 exec_lo, exec_lo, s0
	s_and_saveexec_b32 s0, vcc_lo
	s_cbranch_execz .LBB50_92
.LBB50_161:
	ds_read_b32 v32, v30 offset:16
	s_waitcnt lgkmcnt(0)
	v_add_f32_e32 v1, v1, v32
	s_or_b32 exec_lo, exec_lo, s0
	s_and_saveexec_b32 s0, vcc_lo
	s_cbranch_execz .LBB50_93
.LBB50_162:
	ds_read_b32 v32, v30 offset:32
	s_waitcnt lgkmcnt(0)
	v_add_f32_e32 v2, v2, v32
	s_or_b32 exec_lo, exec_lo, s0
	s_and_saveexec_b32 s0, vcc_lo
	s_cbranch_execz .LBB50_94
.LBB50_163:
	ds_read_b32 v32, v30 offset:48
	s_waitcnt lgkmcnt(0)
	v_add_f32_e32 v3, v3, v32
	s_or_b32 exec_lo, exec_lo, s0
	s_and_saveexec_b32 s0, vcc_lo
	s_cbranch_execz .LBB50_95
.LBB50_164:
	ds_read_b32 v32, v30 offset:64
	s_waitcnt lgkmcnt(0)
	v_add_f32_e32 v4, v4, v32
	s_or_b32 exec_lo, exec_lo, s0
	s_and_saveexec_b32 s0, vcc_lo
	s_cbranch_execz .LBB50_96
.LBB50_165:
	ds_read_b32 v32, v30 offset:80
	s_waitcnt lgkmcnt(0)
	v_add_f32_e32 v5, v5, v32
	s_or_b32 exec_lo, exec_lo, s0
	s_and_saveexec_b32 s0, vcc_lo
	s_cbranch_execz .LBB50_97
.LBB50_166:
	ds_read_b32 v32, v30 offset:96
	s_waitcnt lgkmcnt(0)
	v_add_f32_e32 v6, v6, v32
	s_or_b32 exec_lo, exec_lo, s0
	s_and_saveexec_b32 s0, vcc_lo
	s_cbranch_execz .LBB50_98
.LBB50_167:
	ds_read_b32 v32, v30 offset:112
	s_waitcnt lgkmcnt(0)
	v_add_f32_e32 v7, v7, v32
	s_or_b32 exec_lo, exec_lo, s0
	s_and_saveexec_b32 s0, vcc_lo
	s_cbranch_execz .LBB50_99
.LBB50_168:
	ds_read_b32 v32, v30 offset:128
	s_waitcnt lgkmcnt(0)
	v_add_f32_e32 v8, v8, v32
	s_or_b32 exec_lo, exec_lo, s0
	s_and_saveexec_b32 s0, vcc_lo
	s_cbranch_execz .LBB50_100
.LBB50_169:
	ds_read_b32 v32, v30 offset:144
	s_waitcnt lgkmcnt(0)
	v_add_f32_e32 v9, v9, v32
	s_or_b32 exec_lo, exec_lo, s0
	s_and_saveexec_b32 s0, vcc_lo
	s_cbranch_execz .LBB50_101
.LBB50_170:
	ds_read_b32 v32, v30 offset:160
	s_waitcnt lgkmcnt(0)
	v_add_f32_e32 v10, v10, v32
	s_or_b32 exec_lo, exec_lo, s0
	s_and_saveexec_b32 s0, vcc_lo
	s_cbranch_execz .LBB50_102
.LBB50_171:
	ds_read_b32 v32, v30 offset:176
	s_waitcnt lgkmcnt(0)
	v_add_f32_e32 v11, v11, v32
	s_or_b32 exec_lo, exec_lo, s0
	s_and_saveexec_b32 s0, vcc_lo
	s_cbranch_execz .LBB50_103
.LBB50_172:
	ds_read_b32 v32, v30 offset:192
	s_waitcnt lgkmcnt(0)
	v_add_f32_e32 v12, v12, v32
	s_or_b32 exec_lo, exec_lo, s0
	s_and_saveexec_b32 s0, vcc_lo
	s_cbranch_execz .LBB50_104
.LBB50_173:
	ds_read_b32 v32, v30 offset:208
	s_waitcnt lgkmcnt(0)
	v_add_f32_e32 v13, v13, v32
	s_or_b32 exec_lo, exec_lo, s0
	s_and_saveexec_b32 s0, vcc_lo
	s_cbranch_execz .LBB50_105
.LBB50_174:
	ds_read_b32 v32, v30 offset:224
	s_waitcnt lgkmcnt(0)
	v_add_f32_e32 v14, v14, v32
	s_or_b32 exec_lo, exec_lo, s0
	s_and_saveexec_b32 s0, vcc_lo
	s_cbranch_execz .LBB50_106
.LBB50_175:
	ds_read_b32 v32, v30 offset:240
	s_waitcnt lgkmcnt(0)
	v_add_f32_e32 v15, v15, v32
	s_or_b32 exec_lo, exec_lo, s0
	s_and_saveexec_b32 s0, vcc_lo
	s_cbranch_execz .LBB50_107
.LBB50_176:
	ds_read_b32 v32, v30 offset:256
	s_waitcnt lgkmcnt(0)
	v_add_f32_e32 v16, v16, v32
	s_or_b32 exec_lo, exec_lo, s0
	s_and_saveexec_b32 s0, vcc_lo
	s_cbranch_execz .LBB50_108
.LBB50_177:
	ds_read_b32 v32, v30 offset:272
	s_waitcnt lgkmcnt(0)
	v_add_f32_e32 v17, v17, v32
	s_or_b32 exec_lo, exec_lo, s0
	s_and_saveexec_b32 s0, vcc_lo
	s_cbranch_execz .LBB50_109
.LBB50_178:
	ds_read_b32 v32, v30 offset:288
	s_waitcnt lgkmcnt(0)
	v_add_f32_e32 v18, v18, v32
	s_or_b32 exec_lo, exec_lo, s0
	s_and_saveexec_b32 s0, vcc_lo
	s_cbranch_execz .LBB50_110
.LBB50_179:
	ds_read_b32 v32, v30 offset:304
	s_waitcnt lgkmcnt(0)
	v_add_f32_e32 v19, v19, v32
	s_or_b32 exec_lo, exec_lo, s0
	s_and_saveexec_b32 s0, vcc_lo
	s_cbranch_execz .LBB50_111
.LBB50_180:
	ds_read_b32 v32, v30 offset:320
	s_waitcnt lgkmcnt(0)
	v_add_f32_e32 v20, v20, v32
	s_or_b32 exec_lo, exec_lo, s0
	s_and_saveexec_b32 s0, vcc_lo
	s_cbranch_execz .LBB50_112
.LBB50_181:
	ds_read_b32 v32, v30 offset:336
	s_waitcnt lgkmcnt(0)
	v_add_f32_e32 v21, v21, v32
	s_or_b32 exec_lo, exec_lo, s0
	s_and_saveexec_b32 s0, vcc_lo
	s_cbranch_execz .LBB50_113
.LBB50_182:
	ds_read_b32 v32, v30 offset:352
	s_waitcnt lgkmcnt(0)
	v_add_f32_e32 v22, v22, v32
	s_or_b32 exec_lo, exec_lo, s0
	s_and_saveexec_b32 s0, vcc_lo
	s_cbranch_execz .LBB50_114
.LBB50_183:
	ds_read_b32 v32, v30 offset:368
	s_waitcnt lgkmcnt(0)
	v_add_f32_e32 v23, v23, v32
	s_or_b32 exec_lo, exec_lo, s0
	s_and_saveexec_b32 s0, vcc_lo
	s_cbranch_execz .LBB50_115
.LBB50_184:
	ds_read_b32 v32, v30 offset:384
	s_waitcnt lgkmcnt(0)
	v_add_f32_e32 v24, v24, v32
	s_or_b32 exec_lo, exec_lo, s0
	s_and_saveexec_b32 s0, vcc_lo
	s_cbranch_execz .LBB50_116
.LBB50_185:
	ds_read_b32 v32, v30 offset:400
	s_waitcnt lgkmcnt(0)
	v_add_f32_e32 v25, v25, v32
	s_or_b32 exec_lo, exec_lo, s0
	s_and_saveexec_b32 s0, vcc_lo
	s_cbranch_execz .LBB50_117
.LBB50_186:
	ds_read_b32 v32, v30 offset:416
	s_waitcnt lgkmcnt(0)
	v_add_f32_e32 v26, v26, v32
	s_or_b32 exec_lo, exec_lo, s0
	s_and_saveexec_b32 s0, vcc_lo
	s_cbranch_execz .LBB50_118
.LBB50_187:
	ds_read_b32 v32, v30 offset:432
	s_waitcnt lgkmcnt(0)
	v_add_f32_e32 v27, v27, v32
	s_or_b32 exec_lo, exec_lo, s0
	s_and_saveexec_b32 s0, vcc_lo
	s_cbranch_execz .LBB50_119
.LBB50_188:
	ds_read_b32 v32, v30 offset:448
	s_waitcnt lgkmcnt(0)
	v_add_f32_e32 v28, v28, v32
	s_or_b32 exec_lo, exec_lo, s0
	s_and_saveexec_b32 s0, vcc_lo
	s_cbranch_execnz .LBB50_120
	s_branch .LBB50_121
.LBB50_189:
	ds_read_b32 v31, v30
	s_waitcnt lgkmcnt(0)
	v_add_f32_e32 v0, v0, v31
	s_or_b32 exec_lo, exec_lo, s0
	s_and_saveexec_b32 s0, vcc_lo
	s_cbranch_execz .LBB50_127
.LBB50_190:
	ds_read_b32 v31, v30 offset:16
	s_waitcnt lgkmcnt(0)
	v_add_f32_e32 v1, v1, v31
	s_or_b32 exec_lo, exec_lo, s0
	s_and_saveexec_b32 s0, vcc_lo
	s_cbranch_execz .LBB50_128
.LBB50_191:
	ds_read_b32 v31, v30 offset:32
	s_waitcnt lgkmcnt(0)
	v_add_f32_e32 v2, v2, v31
	s_or_b32 exec_lo, exec_lo, s0
	s_and_saveexec_b32 s0, vcc_lo
	s_cbranch_execz .LBB50_129
.LBB50_192:
	ds_read_b32 v31, v30 offset:48
	s_waitcnt lgkmcnt(0)
	v_add_f32_e32 v3, v3, v31
	s_or_b32 exec_lo, exec_lo, s0
	s_and_saveexec_b32 s0, vcc_lo
	s_cbranch_execz .LBB50_130
.LBB50_193:
	ds_read_b32 v31, v30 offset:64
	s_waitcnt lgkmcnt(0)
	v_add_f32_e32 v4, v4, v31
	s_or_b32 exec_lo, exec_lo, s0
	s_and_saveexec_b32 s0, vcc_lo
	s_cbranch_execz .LBB50_131
.LBB50_194:
	ds_read_b32 v31, v30 offset:80
	s_waitcnt lgkmcnt(0)
	v_add_f32_e32 v5, v5, v31
	s_or_b32 exec_lo, exec_lo, s0
	s_and_saveexec_b32 s0, vcc_lo
	s_cbranch_execz .LBB50_132
.LBB50_195:
	ds_read_b32 v31, v30 offset:96
	s_waitcnt lgkmcnt(0)
	v_add_f32_e32 v6, v6, v31
	s_or_b32 exec_lo, exec_lo, s0
	s_and_saveexec_b32 s0, vcc_lo
	s_cbranch_execz .LBB50_133
.LBB50_196:
	ds_read_b32 v31, v30 offset:112
	s_waitcnt lgkmcnt(0)
	v_add_f32_e32 v7, v7, v31
	s_or_b32 exec_lo, exec_lo, s0
	s_and_saveexec_b32 s0, vcc_lo
	s_cbranch_execz .LBB50_134
.LBB50_197:
	ds_read_b32 v31, v30 offset:128
	s_waitcnt lgkmcnt(0)
	v_add_f32_e32 v8, v8, v31
	s_or_b32 exec_lo, exec_lo, s0
	s_and_saveexec_b32 s0, vcc_lo
	s_cbranch_execz .LBB50_135
.LBB50_198:
	ds_read_b32 v31, v30 offset:144
	s_waitcnt lgkmcnt(0)
	v_add_f32_e32 v9, v9, v31
	s_or_b32 exec_lo, exec_lo, s0
	s_and_saveexec_b32 s0, vcc_lo
	s_cbranch_execz .LBB50_136
.LBB50_199:
	ds_read_b32 v31, v30 offset:160
	s_waitcnt lgkmcnt(0)
	v_add_f32_e32 v10, v10, v31
	s_or_b32 exec_lo, exec_lo, s0
	s_and_saveexec_b32 s0, vcc_lo
	s_cbranch_execz .LBB50_137
.LBB50_200:
	ds_read_b32 v31, v30 offset:176
	s_waitcnt lgkmcnt(0)
	v_add_f32_e32 v11, v11, v31
	s_or_b32 exec_lo, exec_lo, s0
	s_and_saveexec_b32 s0, vcc_lo
	s_cbranch_execz .LBB50_138
.LBB50_201:
	ds_read_b32 v31, v30 offset:192
	s_waitcnt lgkmcnt(0)
	v_add_f32_e32 v12, v12, v31
	s_or_b32 exec_lo, exec_lo, s0
	s_and_saveexec_b32 s0, vcc_lo
	s_cbranch_execz .LBB50_139
.LBB50_202:
	ds_read_b32 v31, v30 offset:208
	s_waitcnt lgkmcnt(0)
	v_add_f32_e32 v13, v13, v31
	s_or_b32 exec_lo, exec_lo, s0
	s_and_saveexec_b32 s0, vcc_lo
	s_cbranch_execz .LBB50_140
.LBB50_203:
	ds_read_b32 v31, v30 offset:224
	s_waitcnt lgkmcnt(0)
	v_add_f32_e32 v14, v14, v31
	s_or_b32 exec_lo, exec_lo, s0
	s_and_saveexec_b32 s0, vcc_lo
	s_cbranch_execz .LBB50_141
.LBB50_204:
	ds_read_b32 v31, v30 offset:240
	s_waitcnt lgkmcnt(0)
	v_add_f32_e32 v15, v15, v31
	s_or_b32 exec_lo, exec_lo, s0
	s_and_saveexec_b32 s0, vcc_lo
	s_cbranch_execz .LBB50_142
.LBB50_205:
	ds_read_b32 v31, v30 offset:256
	s_waitcnt lgkmcnt(0)
	v_add_f32_e32 v16, v16, v31
	s_or_b32 exec_lo, exec_lo, s0
	s_and_saveexec_b32 s0, vcc_lo
	s_cbranch_execz .LBB50_143
.LBB50_206:
	ds_read_b32 v31, v30 offset:272
	s_waitcnt lgkmcnt(0)
	v_add_f32_e32 v17, v17, v31
	s_or_b32 exec_lo, exec_lo, s0
	s_and_saveexec_b32 s0, vcc_lo
	s_cbranch_execz .LBB50_144
.LBB50_207:
	ds_read_b32 v31, v30 offset:288
	s_waitcnt lgkmcnt(0)
	v_add_f32_e32 v18, v18, v31
	s_or_b32 exec_lo, exec_lo, s0
	s_and_saveexec_b32 s0, vcc_lo
	s_cbranch_execz .LBB50_145
.LBB50_208:
	ds_read_b32 v31, v30 offset:304
	s_waitcnt lgkmcnt(0)
	v_add_f32_e32 v19, v19, v31
	s_or_b32 exec_lo, exec_lo, s0
	s_and_saveexec_b32 s0, vcc_lo
	s_cbranch_execz .LBB50_146
.LBB50_209:
	ds_read_b32 v31, v30 offset:320
	s_waitcnt lgkmcnt(0)
	v_add_f32_e32 v20, v20, v31
	s_or_b32 exec_lo, exec_lo, s0
	s_and_saveexec_b32 s0, vcc_lo
	s_cbranch_execz .LBB50_147
.LBB50_210:
	ds_read_b32 v31, v30 offset:336
	s_waitcnt lgkmcnt(0)
	v_add_f32_e32 v21, v21, v31
	s_or_b32 exec_lo, exec_lo, s0
	s_and_saveexec_b32 s0, vcc_lo
	s_cbranch_execz .LBB50_148
.LBB50_211:
	ds_read_b32 v31, v30 offset:352
	s_waitcnt lgkmcnt(0)
	v_add_f32_e32 v22, v22, v31
	s_or_b32 exec_lo, exec_lo, s0
	s_and_saveexec_b32 s0, vcc_lo
	s_cbranch_execz .LBB50_149
.LBB50_212:
	ds_read_b32 v31, v30 offset:368
	s_waitcnt lgkmcnt(0)
	v_add_f32_e32 v23, v23, v31
	s_or_b32 exec_lo, exec_lo, s0
	s_and_saveexec_b32 s0, vcc_lo
	s_cbranch_execz .LBB50_150
.LBB50_213:
	ds_read_b32 v31, v30 offset:384
	s_waitcnt lgkmcnt(0)
	v_add_f32_e32 v24, v24, v31
	s_or_b32 exec_lo, exec_lo, s0
	s_and_saveexec_b32 s0, vcc_lo
	s_cbranch_execz .LBB50_151
.LBB50_214:
	ds_read_b32 v31, v30 offset:400
	s_waitcnt lgkmcnt(0)
	v_add_f32_e32 v25, v25, v31
	s_or_b32 exec_lo, exec_lo, s0
	s_and_saveexec_b32 s0, vcc_lo
	s_cbranch_execz .LBB50_152
.LBB50_215:
	ds_read_b32 v31, v30 offset:416
	s_waitcnt lgkmcnt(0)
	v_add_f32_e32 v26, v26, v31
	s_or_b32 exec_lo, exec_lo, s0
	s_and_saveexec_b32 s0, vcc_lo
	s_cbranch_execz .LBB50_153
.LBB50_216:
	ds_read_b32 v31, v30 offset:432
	s_waitcnt lgkmcnt(0)
	v_add_f32_e32 v27, v27, v31
	s_or_b32 exec_lo, exec_lo, s0
	s_and_saveexec_b32 s0, vcc_lo
	s_cbranch_execz .LBB50_154
.LBB50_217:
	ds_read_b32 v31, v30 offset:448
	s_waitcnt lgkmcnt(0)
	v_add_f32_e32 v28, v28, v31
	s_or_b32 exec_lo, exec_lo, s0
	s_and_saveexec_b32 s0, vcc_lo
	s_cbranch_execnz .LBB50_155
	s_branch .LBB50_156
	.section	.rodata,"a",@progbits
	.p2align	6, 0x0
	.amdhsa_kernel _ZN4vllm25paged_attention_v1_kernelIffLi120ELi32ELi128ELNS_18Fp8KVCacheDataTypeE0ELb0EEEvPT_PKS2_PKT0_S8_ifPKiSA_iPKfiiiSC_SC_iiiii
		.amdhsa_group_segment_fixed_size 512
		.amdhsa_private_segment_fixed_size 212
		.amdhsa_kernarg_size 384
		.amdhsa_user_sgpr_count 6
		.amdhsa_user_sgpr_private_segment_buffer 1
		.amdhsa_user_sgpr_dispatch_ptr 0
		.amdhsa_user_sgpr_queue_ptr 0
		.amdhsa_user_sgpr_kernarg_segment_ptr 1
		.amdhsa_user_sgpr_dispatch_id 0
		.amdhsa_user_sgpr_flat_scratch_init 0
		.amdhsa_user_sgpr_private_segment_size 0
		.amdhsa_wavefront_size32 1
		.amdhsa_uses_dynamic_stack 0
		.amdhsa_system_sgpr_private_segment_wavefront_offset 1
		.amdhsa_system_sgpr_workgroup_id_x 1
		.amdhsa_system_sgpr_workgroup_id_y 1
		.amdhsa_system_sgpr_workgroup_id_z 1
		.amdhsa_system_sgpr_workgroup_info 0
		.amdhsa_system_vgpr_workitem_id 0
		.amdhsa_next_free_vgpr 128
		.amdhsa_next_free_sgpr 40
		.amdhsa_reserve_vcc 1
		.amdhsa_reserve_flat_scratch 0
		.amdhsa_float_round_mode_32 0
		.amdhsa_float_round_mode_16_64 0
		.amdhsa_float_denorm_mode_32 3
		.amdhsa_float_denorm_mode_16_64 3
		.amdhsa_dx10_clamp 1
		.amdhsa_ieee_mode 1
		.amdhsa_fp16_overflow 0
		.amdhsa_workgroup_processor_mode 1
		.amdhsa_memory_ordered 1
		.amdhsa_forward_progress 1
		.amdhsa_shared_vgpr_count 0
		.amdhsa_exception_fp_ieee_invalid_op 0
		.amdhsa_exception_fp_denorm_src 0
		.amdhsa_exception_fp_ieee_div_zero 0
		.amdhsa_exception_fp_ieee_overflow 0
		.amdhsa_exception_fp_ieee_underflow 0
		.amdhsa_exception_fp_ieee_inexact 0
		.amdhsa_exception_int_div_zero 0
	.end_amdhsa_kernel
	.section	.text._ZN4vllm25paged_attention_v1_kernelIffLi120ELi32ELi128ELNS_18Fp8KVCacheDataTypeE0ELb0EEEvPT_PKS2_PKT0_S8_ifPKiSA_iPKfiiiSC_SC_iiiii,"axG",@progbits,_ZN4vllm25paged_attention_v1_kernelIffLi120ELi32ELi128ELNS_18Fp8KVCacheDataTypeE0ELb0EEEvPT_PKS2_PKT0_S8_ifPKiSA_iPKfiiiSC_SC_iiiii,comdat
.Lfunc_end50:
	.size	_ZN4vllm25paged_attention_v1_kernelIffLi120ELi32ELi128ELNS_18Fp8KVCacheDataTypeE0ELb0EEEvPT_PKS2_PKT0_S8_ifPKiSA_iPKfiiiSC_SC_iiiii, .Lfunc_end50-_ZN4vllm25paged_attention_v1_kernelIffLi120ELi32ELi128ELNS_18Fp8KVCacheDataTypeE0ELb0EEEvPT_PKS2_PKT0_S8_ifPKiSA_iPKfiiiSC_SC_iiiii
                                        ; -- End function
	.set _ZN4vllm25paged_attention_v1_kernelIffLi120ELi32ELi128ELNS_18Fp8KVCacheDataTypeE0ELb0EEEvPT_PKS2_PKT0_S8_ifPKiSA_iPKfiiiSC_SC_iiiii.num_vgpr, 128
	.set _ZN4vllm25paged_attention_v1_kernelIffLi120ELi32ELi128ELNS_18Fp8KVCacheDataTypeE0ELb0EEEvPT_PKS2_PKT0_S8_ifPKiSA_iPKfiiiSC_SC_iiiii.num_agpr, 0
	.set _ZN4vllm25paged_attention_v1_kernelIffLi120ELi32ELi128ELNS_18Fp8KVCacheDataTypeE0ELb0EEEvPT_PKS2_PKT0_S8_ifPKiSA_iPKfiiiSC_SC_iiiii.numbered_sgpr, 40
	.set _ZN4vllm25paged_attention_v1_kernelIffLi120ELi32ELi128ELNS_18Fp8KVCacheDataTypeE0ELb0EEEvPT_PKS2_PKT0_S8_ifPKiSA_iPKfiiiSC_SC_iiiii.num_named_barrier, 0
	.set _ZN4vllm25paged_attention_v1_kernelIffLi120ELi32ELi128ELNS_18Fp8KVCacheDataTypeE0ELb0EEEvPT_PKS2_PKT0_S8_ifPKiSA_iPKfiiiSC_SC_iiiii.private_seg_size, 212
	.set _ZN4vllm25paged_attention_v1_kernelIffLi120ELi32ELi128ELNS_18Fp8KVCacheDataTypeE0ELb0EEEvPT_PKS2_PKT0_S8_ifPKiSA_iPKfiiiSC_SC_iiiii.uses_vcc, 1
	.set _ZN4vllm25paged_attention_v1_kernelIffLi120ELi32ELi128ELNS_18Fp8KVCacheDataTypeE0ELb0EEEvPT_PKS2_PKT0_S8_ifPKiSA_iPKfiiiSC_SC_iiiii.uses_flat_scratch, 0
	.set _ZN4vllm25paged_attention_v1_kernelIffLi120ELi32ELi128ELNS_18Fp8KVCacheDataTypeE0ELb0EEEvPT_PKS2_PKT0_S8_ifPKiSA_iPKfiiiSC_SC_iiiii.has_dyn_sized_stack, 0
	.set _ZN4vllm25paged_attention_v1_kernelIffLi120ELi32ELi128ELNS_18Fp8KVCacheDataTypeE0ELb0EEEvPT_PKS2_PKT0_S8_ifPKiSA_iPKfiiiSC_SC_iiiii.has_recursion, 0
	.set _ZN4vllm25paged_attention_v1_kernelIffLi120ELi32ELi128ELNS_18Fp8KVCacheDataTypeE0ELb0EEEvPT_PKS2_PKT0_S8_ifPKiSA_iPKfiiiSC_SC_iiiii.has_indirect_call, 0
	.section	.AMDGPU.csdata,"",@progbits
; Kernel info:
; codeLenInByte = 13896
; TotalNumSgprs: 42
; NumVgprs: 128
; ScratchSize: 212
; MemoryBound: 0
; FloatMode: 240
; IeeeMode: 1
; LDSByteSize: 512 bytes/workgroup (compile time only)
; SGPRBlocks: 0
; VGPRBlocks: 15
; NumSGPRsForWavesPerEU: 42
; NumVGPRsForWavesPerEU: 128
; Occupancy: 8
; WaveLimiterHint : 1
; COMPUTE_PGM_RSRC2:SCRATCH_EN: 1
; COMPUTE_PGM_RSRC2:USER_SGPR: 6
; COMPUTE_PGM_RSRC2:TRAP_HANDLER: 0
; COMPUTE_PGM_RSRC2:TGID_X_EN: 1
; COMPUTE_PGM_RSRC2:TGID_Y_EN: 1
; COMPUTE_PGM_RSRC2:TGID_Z_EN: 1
; COMPUTE_PGM_RSRC2:TIDIG_COMP_CNT: 0
	.section	.text._ZN4vllm25paged_attention_v1_kernelIffLi128ELi32ELi128ELNS_18Fp8KVCacheDataTypeE0ELb0EEEvPT_PKS2_PKT0_S8_ifPKiSA_iPKfiiiSC_SC_iiiii,"axG",@progbits,_ZN4vllm25paged_attention_v1_kernelIffLi128ELi32ELi128ELNS_18Fp8KVCacheDataTypeE0ELb0EEEvPT_PKS2_PKT0_S8_ifPKiSA_iPKfiiiSC_SC_iiiii,comdat
	.protected	_ZN4vllm25paged_attention_v1_kernelIffLi128ELi32ELi128ELNS_18Fp8KVCacheDataTypeE0ELb0EEEvPT_PKS2_PKT0_S8_ifPKiSA_iPKfiiiSC_SC_iiiii ; -- Begin function _ZN4vllm25paged_attention_v1_kernelIffLi128ELi32ELi128ELNS_18Fp8KVCacheDataTypeE0ELb0EEEvPT_PKS2_PKT0_S8_ifPKiSA_iPKfiiiSC_SC_iiiii
	.globl	_ZN4vllm25paged_attention_v1_kernelIffLi128ELi32ELi128ELNS_18Fp8KVCacheDataTypeE0ELb0EEEvPT_PKS2_PKT0_S8_ifPKiSA_iPKfiiiSC_SC_iiiii
	.p2align	8
	.type	_ZN4vllm25paged_attention_v1_kernelIffLi128ELi32ELi128ELNS_18Fp8KVCacheDataTypeE0ELb0EEEvPT_PKS2_PKT0_S8_ifPKiSA_iPKfiiiSC_SC_iiiii,@function
_ZN4vllm25paged_attention_v1_kernelIffLi128ELi32ELi128ELNS_18Fp8KVCacheDataTypeE0ELb0EEEvPT_PKS2_PKT0_S8_ifPKiSA_iPKfiiiSC_SC_iiiii: ; @_ZN4vllm25paged_attention_v1_kernelIffLi128ELi32ELi128ELNS_18Fp8KVCacheDataTypeE0ELb0EEEvPT_PKS2_PKT0_S8_ifPKiSA_iPKfiiiSC_SC_iiiii
; %bb.0:
	s_mov_b64 s[38:39], s[2:3]
	s_mov_b64 s[36:37], s[0:1]
	s_mov_b32 s10, s7
	s_add_u32 s36, s36, s9
	s_clause 0x2
	s_load_dword s9, s[4:5], 0x80
	s_load_dwordx2 s[0:1], s[4:5], 0x30
	s_load_dwordx2 s[24:25], s[4:5], 0x20
	s_addc_u32 s37, s37, 0
	s_ashr_i32 s11, s7, 31
	v_mov_b32_e32 v55, v0
	s_lshl_b64 s[2:3], s[10:11], 2
	s_waitcnt lgkmcnt(0)
	s_add_u32 s0, s0, s2
	s_addc_u32 s1, s1, s3
	s_abs_i32 s2, s24
	s_abs_i32 s11, s9
	v_cvt_f32_u32_e32 v0, s2
	s_sub_i32 s7, 0, s2
	v_rcp_iflag_f32_e32 v0, v0
	v_mul_f32_e32 v0, 0x4f7ffffe, v0
	v_cvt_u32_f32_e32 v0, v0
	v_readfirstlane_b32 s3, v0
	s_mul_i32 s7, s7, s3
	s_mul_hi_u32 s7, s3, s7
	s_add_i32 s3, s3, s7
	s_xor_b32 s7, s9, s24
	s_mul_hi_u32 s3, s11, s3
	s_ashr_i32 s7, s7, 31
	s_mul_i32 s12, s3, s2
	s_mov_b32 s24, 0
	s_sub_i32 s11, s11, s12
	s_add_i32 s12, s3, 1
	s_sub_i32 s13, s11, s2
	s_cmp_ge_u32 s11, s2
	s_cselect_b32 s3, s12, s3
	s_cselect_b32 s11, s13, s11
	s_add_i32 s12, s3, 1
	s_cmp_ge_u32 s11, s2
	s_cselect_b32 s2, s12, s3
	s_abs_i32 s16, s6
	s_xor_b32 s2, s2, s7
	s_sub_i32 s17, s2, s7
	s_load_dwordx2 s[2:3], s[4:5], 0x40
	s_abs_i32 s20, s17
	v_cvt_f32_u32_e32 v0, s20
	s_sub_i32 s11, 0, s20
	v_rcp_iflag_f32_e32 v0, v0
	v_mul_f32_e32 v0, 0x4f7ffffe, v0
	v_cvt_u32_f32_e32 v0, v0
	v_readfirstlane_b32 s7, v0
	s_mul_i32 s11, s11, s7
	s_mul_hi_u32 s11, s7, s11
	s_add_i32 s7, s7, s11
	s_waitcnt lgkmcnt(0)
	s_cmp_eq_u64 s[2:3], 0
	s_mul_hi_u32 s21, s16, s7
	s_cbranch_scc1 .LBB51_2
; %bb.1:
	s_ashr_i32 s7, s6, 31
	s_lshl_b64 s[12:13], s[6:7], 2
	s_add_u32 s2, s2, s12
	s_addc_u32 s3, s3, s13
	s_load_dword s24, s[2:3], 0x0
.LBB51_2:
	s_load_dword s11, s[0:1], 0x0
	s_clause 0x1
	s_load_dwordx2 s[18:19], s[4:5], 0x28
	s_load_dwordx4 s[12:15], s[4:5], 0x48
	v_cmp_gt_u32_e64 s0, 32, v55
	s_ashr_i32 s1, s6, 31
	s_ashr_i32 s2, s17, 31
	s_lshl_b32 s6, s6, 7
	s_and_saveexec_b32 s3, s0
	s_cbranch_execz .LBB51_4
; %bb.3:
	s_load_dwordx2 s[22:23], s[4:5], 0x8
	s_waitcnt lgkmcnt(0)
	s_mul_i32 s26, s12, s10
	v_lshlrev_b32_e32 v4, 4, v55
	s_ashr_i32 s27, s26, 31
	s_lshl_b64 s[26:27], s[26:27], 2
	s_add_u32 s12, s22, s26
	s_addc_u32 s15, s23, s27
	s_ashr_i32 s7, s6, 31
	s_lshl_b64 s[22:23], s[6:7], 2
	s_add_u32 s22, s12, s22
	s_addc_u32 s23, s15, s23
	global_load_dwordx4 v[0:3], v4, s[22:23]
	s_waitcnt vmcnt(0)
	ds_write_b128 v4, v[0:3]
.LBB51_4:
	s_or_b32 exec_lo, exec_lo, s3
	s_waitcnt lgkmcnt(0)
	s_add_i32 s3, s11, 31
	s_load_dword s15, s[4:5], 0x38
	s_ashr_i32 s7, s3, 31
	s_xor_b32 s1, s1, s2
	s_lshr_b32 s2, s7, 27
	s_mul_i32 s7, s21, s20
	s_add_i32 s3, s3, s2
	s_sub_i32 s2, s16, s7
	s_clause 0x2
	s_load_dwordx2 s[16:17], s[4:5], 0x0
	s_load_dwordx2 s[22:23], s[4:5], 0x18
	s_load_dword s7, s[4:5], 0x88
	s_ashr_i32 s12, s3, 5
	s_add_i32 s3, s21, 1
	s_sub_i32 s26, s2, s20
	s_cmp_ge_u32 s2, s20
	v_lshrrev_b32_e32 v127, 5, v55
	s_cselect_b32 s3, s3, s21
	s_cselect_b32 s2, s26, s2
	s_add_i32 s21, s3, 1
	s_cmp_ge_u32 s2, s20
	v_and_b32_e32 v125, 31, v55
	s_cselect_b32 s2, s21, s3
	v_mov_b32_e32 v8, 0xff7fffff
	s_xor_b32 s2, s2, s1
	v_lshrrev_b32_e32 v9, 3, v55
	s_sub_i32 s2, s2, s1
	v_cmp_gt_i32_e64 s1, s12, v127
	v_lshlrev_b32_e32 v10, 2, v125
	s_waitcnt lgkmcnt(0)
	s_mul_i32 s20, s15, s10
	s_mul_i32 s14, s2, s14
	s_ashr_i32 s21, s20, 31
	s_barrier
	buffer_gl0_inv
	s_mov_b32 s26, exec_lo
	s_and_b32 s2, s26, s1
	buffer_store_dword v55, off, s[36:39], 0 offset:252 ; 4-byte Folded Spill
	buffer_store_dword v127, off, s[36:39], 0 offset:256 ; 4-byte Folded Spill
	;; [unrolled: 1-line block ×3, first 2 shown]
	s_mov_b32 exec_lo, s2
	s_cbranch_execz .LBB51_8
; %bb.5:
	s_load_dwordx2 s[2:3], s[4:5], 0x10
	v_mov_b32_e32 v1, 0
	s_ashr_i32 s15, s14, 31
	v_lshlrev_b32_e32 v0, 4, v125
	s_lshl_b64 s[28:29], s[14:15], 2
	v_cmp_neq_f32_e64 vcc_lo, s24, 0
	ds_read_b128 v[2:5], v1
	v_mov_b32_e32 v8, 0xff7fffff
	s_mov_b32 s4, s13
	s_mov_b32 s5, 0
	s_waitcnt lgkmcnt(0)
	s_add_u32 s2, s2, s28
	s_addc_u32 s3, s3, s29
	v_add_co_u32 v0, s2, s2, v0
	s_sub_i32 s15, 1, s11
	buffer_store_dword v0, off, s[36:39], 0 ; 4-byte Folded Spill
	v_add_co_ci_u32_e64 v0, null, s3, 0, s2
	s_lshl_b64 s[2:3], s[20:21], 2
	s_add_u32 s2, s18, s2
	buffer_store_dword v0, off, s[36:39], 0 offset:16 ; 4-byte Folded Spill
	buffer_store_dword v2, off, s[36:39], 0 offset:32 ; 4-byte Folded Spill
	;; [unrolled: 1-line block ×5, first 2 shown]
	ds_read_b128 v[2:5], v1 offset:16
	v_lshl_or_b32 v0, v127, 5, v125
	s_addc_u32 s3, s19, s3
	s_waitcnt lgkmcnt(0)
	buffer_store_dword v2, off, s[36:39], 0 offset:48 ; 4-byte Folded Spill
	buffer_store_dword v3, off, s[36:39], 0 offset:52 ; 4-byte Folded Spill
	buffer_store_dword v4, off, s[36:39], 0 offset:56 ; 4-byte Folded Spill
	buffer_store_dword v5, off, s[36:39], 0 offset:60 ; 4-byte Folded Spill
	ds_read_b128 v[2:5], v1 offset:32
	s_waitcnt lgkmcnt(0)
	buffer_store_dword v2, off, s[36:39], 0 offset:64 ; 4-byte Folded Spill
	buffer_store_dword v3, off, s[36:39], 0 offset:68 ; 4-byte Folded Spill
	buffer_store_dword v4, off, s[36:39], 0 offset:72 ; 4-byte Folded Spill
	buffer_store_dword v5, off, s[36:39], 0 offset:76 ; 4-byte Folded Spill
	ds_read_b128 v[2:5], v1 offset:48
	;; [unrolled: 6-line block ×5, first 2 shown]
	ds_read_b128 v[29:32], v1 offset:112
	ds_read_b128 v[33:36], v1 offset:128
	;; [unrolled: 1-line block ×25, first 2 shown]
	v_lshl_or_b32 v5, v127, 7, v10
	buffer_store_dword v10, off, s[36:39], 0 offset:132 ; 4-byte Folded Spill
	buffer_store_dword v9, off, s[36:39], 0 offset:128 ; 4-byte Folded Spill
	v_add_nc_u32_e32 v7, 0x220, v5
	v_and_b32_e32 v5, 0x7c, v9
	v_add_co_u32 v125, s2, s2, v5
	v_add_co_ci_u32_e64 v126, null, s3, 0, s2
.LBB51_6:                               ; =>This Inner Loop Header: Depth=1
	global_load_dword v5, v[125:126], off
	buffer_load_dword v9, off, s[36:39], 0  ; 4-byte Folded Reload
	v_add_nc_u32_e32 v127, 4, v127
	v_cmp_le_i32_e64 s3, s12, v127
	s_or_b32 s5, s3, s5
	s_waitcnt vmcnt(1)
	v_mad_i64_i32 v[5:6], null, v5, s4, 0
	v_lshlrev_b64 v[5:6], 2, v[5:6]
	s_waitcnt vmcnt(0)
	v_add_co_u32 v5, s2, v9, v5
	buffer_load_dword v9, off, s[36:39], 0 offset:16 ; 4-byte Folded Reload
	s_waitcnt vmcnt(0)
	v_add_co_ci_u32_e64 v6, null, v9, v6, s2
	global_load_dwordx4 v[9:12], v[5:6], off offset:512
	s_clause 0x3
	buffer_load_dword v13, off, s[36:39], 0 offset:48
	buffer_load_dword v14, off, s[36:39], 0 offset:52
	;; [unrolled: 1-line block ×4, first 2 shown]
	s_waitcnt vmcnt(3)
	v_mul_f32_e32 v9, v13, v9
	s_waitcnt vmcnt(2)
	v_mul_f32_e32 v10, v14, v10
	;; [unrolled: 2-line block ×4, first 2 shown]
	global_load_dwordx4 v[13:16], v[5:6], off
	s_clause 0x3
	buffer_load_dword v17, off, s[36:39], 0 offset:32
	buffer_load_dword v18, off, s[36:39], 0 offset:36
	;; [unrolled: 1-line block ×4, first 2 shown]
	s_waitcnt vmcnt(3)
	v_fmac_f32_e32 v9, v17, v13
	s_waitcnt vmcnt(2)
	v_fmac_f32_e32 v10, v18, v14
	;; [unrolled: 2-line block ×4, first 2 shown]
	global_load_dwordx4 v[13:16], v[5:6], off offset:1024
	s_clause 0x3
	buffer_load_dword v17, off, s[36:39], 0 offset:64
	buffer_load_dword v18, off, s[36:39], 0 offset:68
	;; [unrolled: 1-line block ×4, first 2 shown]
	s_waitcnt vmcnt(3)
	v_fmac_f32_e32 v9, v17, v13
	s_waitcnt vmcnt(2)
	v_fmac_f32_e32 v10, v18, v14
	;; [unrolled: 2-line block ×4, first 2 shown]
	global_load_dwordx4 v[13:16], v[5:6], off offset:1536
	s_clause 0x3
	buffer_load_dword v17, off, s[36:39], 0 offset:80
	buffer_load_dword v18, off, s[36:39], 0 offset:84
	;; [unrolled: 1-line block ×4, first 2 shown]
	s_waitcnt vmcnt(3)
	v_fmac_f32_e32 v9, v17, v13
	v_add_co_u32 v17, s2, v5, 0x1000
	s_waitcnt vmcnt(2)
	v_fmac_f32_e32 v10, v18, v14
	v_add_co_ci_u32_e64 v18, null, 0, v6, s2
	s_waitcnt vmcnt(1)
	v_fmac_f32_e32 v11, v19, v15
	s_waitcnt vmcnt(0)
	v_fmac_f32_e32 v12, v20, v16
	global_load_dwordx4 v[13:16], v[17:18], off offset:-2048
	s_clause 0x3
	buffer_load_dword v19, off, s[36:39], 0 offset:96
	buffer_load_dword v20, off, s[36:39], 0 offset:100
	;; [unrolled: 1-line block ×4, first 2 shown]
	s_waitcnt vmcnt(3)
	v_fmac_f32_e32 v9, v19, v13
	v_add_co_u32 v19, s2, 0x800, v5
	s_waitcnt vmcnt(2)
	v_fmac_f32_e32 v10, v20, v14
	v_add_co_ci_u32_e64 v20, null, 0, v6, s2
	s_waitcnt vmcnt(1)
	v_fmac_f32_e32 v11, v21, v15
	s_waitcnt vmcnt(0)
	v_fmac_f32_e32 v12, v22, v16
	global_load_dwordx4 v[13:16], v[19:20], off offset:512
	s_clause 0x3
	buffer_load_dword v21, off, s[36:39], 0 offset:112
	buffer_load_dword v22, off, s[36:39], 0 offset:116
	;; [unrolled: 1-line block ×4, first 2 shown]
	s_waitcnt vmcnt(3)
	v_fmac_f32_e32 v9, v21, v13
	s_waitcnt vmcnt(2)
	v_fmac_f32_e32 v10, v22, v14
	;; [unrolled: 2-line block ×4, first 2 shown]
	global_load_dwordx4 v[13:16], v[19:20], off offset:1024
	s_waitcnt vmcnt(0) lgkmcnt(25)
	v_fmac_f32_e32 v9, v25, v13
	v_fmac_f32_e32 v10, v26, v14
	;; [unrolled: 1-line block ×4, first 2 shown]
	global_load_dwordx4 v[13:16], v[19:20], off offset:1536
	s_waitcnt vmcnt(0) lgkmcnt(24)
	v_fmac_f32_e32 v9, v29, v13
	v_fmac_f32_e32 v10, v30, v14
	;; [unrolled: 1-line block ×4, first 2 shown]
	global_load_dwordx4 v[13:16], v[17:18], off
	v_add_co_u32 v17, s2, 0x1000, v5
	v_add_co_ci_u32_e64 v18, null, 0, v6, s2
	s_waitcnt vmcnt(0) lgkmcnt(23)
	v_fmac_f32_e32 v9, v33, v13
	v_fmac_f32_e32 v10, v34, v14
	v_fmac_f32_e32 v11, v35, v15
	v_fmac_f32_e32 v12, v36, v16
	global_load_dwordx4 v[13:16], v[17:18], off offset:512
	s_waitcnt vmcnt(0) lgkmcnt(22)
	v_fmac_f32_e32 v9, v37, v13
	v_fmac_f32_e32 v10, v38, v14
	v_fmac_f32_e32 v11, v39, v15
	v_fmac_f32_e32 v12, v40, v16
	global_load_dwordx4 v[13:16], v[17:18], off offset:1024
	;; [unrolled: 6-line block ×3, first 2 shown]
	v_add_co_u32 v17, s2, v5, 0x2000
	v_add_co_ci_u32_e64 v18, null, 0, v6, s2
	v_add_co_u32 v19, s2, 0x1800, v5
	v_add_co_ci_u32_e64 v20, null, 0, v6, s2
	s_waitcnt vmcnt(0) lgkmcnt(20)
	v_fmac_f32_e32 v9, v45, v13
	v_fmac_f32_e32 v10, v46, v14
	;; [unrolled: 1-line block ×4, first 2 shown]
	global_load_dwordx4 v[13:16], v[17:18], off offset:-2048
	s_waitcnt vmcnt(0) lgkmcnt(19)
	v_fmac_f32_e32 v9, v49, v13
	v_fmac_f32_e32 v10, v50, v14
	v_fmac_f32_e32 v11, v51, v15
	v_fmac_f32_e32 v12, v52, v16
	global_load_dwordx4 v[13:16], v[19:20], off offset:512
	s_waitcnt vmcnt(0) lgkmcnt(18)
	v_fmac_f32_e32 v9, v53, v13
	v_fmac_f32_e32 v10, v54, v14
	v_fmac_f32_e32 v11, v55, v15
	v_fmac_f32_e32 v12, v56, v16
	global_load_dwordx4 v[13:16], v[19:20], off offset:1024
	;; [unrolled: 6-line block ×3, first 2 shown]
	s_waitcnt vmcnt(0) lgkmcnt(16)
	v_fmac_f32_e32 v9, v61, v13
	v_fmac_f32_e32 v10, v62, v14
	;; [unrolled: 1-line block ×4, first 2 shown]
	global_load_dwordx4 v[13:16], v[17:18], off
	v_add_co_u32 v17, s2, 0x2000, v5
	v_add_co_ci_u32_e64 v18, null, 0, v6, s2
	s_waitcnt vmcnt(0) lgkmcnt(15)
	v_fmac_f32_e32 v9, v65, v13
	v_fmac_f32_e32 v10, v66, v14
	v_fmac_f32_e32 v11, v67, v15
	v_fmac_f32_e32 v12, v68, v16
	global_load_dwordx4 v[13:16], v[17:18], off offset:512
	s_waitcnt vmcnt(0) lgkmcnt(14)
	v_fmac_f32_e32 v9, v69, v13
	v_fmac_f32_e32 v10, v70, v14
	v_fmac_f32_e32 v11, v71, v15
	v_fmac_f32_e32 v12, v72, v16
	global_load_dwordx4 v[13:16], v[17:18], off offset:1024
	;; [unrolled: 6-line block ×3, first 2 shown]
	v_add_co_u32 v17, s2, v5, 0x3000
	v_add_co_ci_u32_e64 v18, null, 0, v6, s2
	v_add_co_u32 v19, s2, 0x2800, v5
	v_add_co_ci_u32_e64 v20, null, 0, v6, s2
	s_waitcnt vmcnt(0) lgkmcnt(12)
	v_fmac_f32_e32 v9, v77, v13
	v_fmac_f32_e32 v10, v78, v14
	;; [unrolled: 1-line block ×4, first 2 shown]
	global_load_dwordx4 v[13:16], v[17:18], off offset:-2048
	s_waitcnt vmcnt(0) lgkmcnt(11)
	v_fmac_f32_e32 v9, v81, v13
	v_fmac_f32_e32 v10, v82, v14
	v_fmac_f32_e32 v11, v83, v15
	v_fmac_f32_e32 v12, v84, v16
	global_load_dwordx4 v[13:16], v[19:20], off offset:512
	s_waitcnt vmcnt(0) lgkmcnt(10)
	v_fmac_f32_e32 v9, v85, v13
	v_fmac_f32_e32 v10, v86, v14
	v_fmac_f32_e32 v11, v87, v15
	v_fmac_f32_e32 v12, v88, v16
	global_load_dwordx4 v[13:16], v[19:20], off offset:1024
	;; [unrolled: 6-line block ×3, first 2 shown]
	s_waitcnt vmcnt(0) lgkmcnt(8)
	v_fmac_f32_e32 v9, v93, v13
	v_fmac_f32_e32 v10, v94, v14
	v_fmac_f32_e32 v11, v95, v15
	v_fmac_f32_e32 v12, v96, v16
	global_load_dwordx4 v[13:16], v[17:18], off
	v_add_co_u32 v17, s2, 0x3000, v5
	v_add_co_ci_u32_e64 v18, null, 0, v6, s2
	v_add_co_u32 v5, s2, 0x3800, v5
	v_add_co_ci_u32_e64 v6, null, 0, v6, s2
	v_cmp_gt_i32_e64 s2, s11, v0
	s_waitcnt vmcnt(0) lgkmcnt(7)
	v_fmac_f32_e32 v9, v97, v13
	v_fmac_f32_e32 v10, v98, v14
	v_fmac_f32_e32 v11, v99, v15
	v_fmac_f32_e32 v12, v100, v16
	global_load_dwordx4 v[13:16], v[17:18], off offset:512
	s_waitcnt vmcnt(0) lgkmcnt(6)
	v_fmac_f32_e32 v9, v101, v13
	v_fmac_f32_e32 v10, v102, v14
	v_fmac_f32_e32 v11, v103, v15
	v_fmac_f32_e32 v12, v104, v16
	global_load_dwordx4 v[13:16], v[17:18], off offset:1024
	;; [unrolled: 6-line block ×3, first 2 shown]
	s_waitcnt vmcnt(0) lgkmcnt(4)
	v_fmac_f32_e32 v9, v109, v13
	v_fmac_f32_e32 v10, v110, v14
	;; [unrolled: 1-line block ×4, first 2 shown]
	global_load_dwordx4 v[13:16], v[5:6], off
	s_waitcnt vmcnt(0) lgkmcnt(3)
	v_fmac_f32_e32 v9, v113, v13
	v_fmac_f32_e32 v10, v114, v14
	v_fmac_f32_e32 v11, v115, v15
	v_fmac_f32_e32 v12, v116, v16
	global_load_dwordx4 v[13:16], v[5:6], off offset:512
	s_waitcnt vmcnt(0) lgkmcnt(2)
	v_fmac_f32_e32 v9, v117, v13
	v_fmac_f32_e32 v10, v118, v14
	v_fmac_f32_e32 v11, v119, v15
	v_fmac_f32_e32 v12, v120, v16
	global_load_dwordx4 v[13:16], v[5:6], off offset:1024
	;; [unrolled: 6-line block ×3, first 2 shown]
	v_add_nc_u32_e32 v6, s15, v0
	v_add_nc_u32_e32 v0, 0x80, v0
	v_cvt_f32_i32_e32 v6, v6
	v_mul_f32_e32 v6, s24, v6
	v_cndmask_b32_e32 v6, 0, v6, vcc_lo
	s_waitcnt vmcnt(0) lgkmcnt(0)
	v_fmac_f32_e32 v9, v1, v13
	v_fmac_f32_e32 v10, v2, v14
	;; [unrolled: 1-line block ×4, first 2 shown]
	v_add_f32_e32 v5, v9, v10
	v_add_f32_e32 v5, v11, v5
	;; [unrolled: 1-line block ×3, first 2 shown]
	v_fmac_f32_e32 v6, s25, v5
	v_max_f32_e32 v5, v8, v8
	v_max_f32_e32 v5, v5, v6
	v_cndmask_b32_e64 v6, 0, v6, s2
	v_cndmask_b32_e64 v8, v8, v5, s2
	v_add_co_u32 v125, s2, v125, 16
	ds_write_b32 v7, v6
	v_add_co_ci_u32_e64 v126, null, 0, v126, s2
	v_add_nc_u32_e32 v7, 0x200, v7
	s_andn2_b32 exec_lo, exec_lo, s5
	s_cbranch_execnz .LBB51_6
; %bb.7:
	s_or_b32 exec_lo, exec_lo, s5
	s_clause 0x4
	buffer_load_dword v55, off, s[36:39], 0 offset:252
	buffer_load_dword v127, off, s[36:39], 0 offset:256
	;; [unrolled: 1-line block ×5, first 2 shown]
.LBB51_8:
	s_or_b32 exec_lo, exec_lo, s26
	v_mbcnt_lo_u32_b32 v1, -1, 0
	v_max_f32_e32 v4, v8, v8
	v_xor_b32_e32 v0, 16, v1
	v_xor_b32_e32 v3, 8, v1
	v_cmp_gt_i32_e32 vcc_lo, 32, v0
	v_cndmask_b32_e32 v0, v1, v0, vcc_lo
	v_cmp_gt_i32_e32 vcc_lo, 32, v3
	v_lshlrev_b32_e32 v0, 2, v0
	v_cndmask_b32_e32 v3, v1, v3, vcc_lo
	ds_bpermute_b32 v2, v0, v8
	s_waitcnt lgkmcnt(0)
	v_max_f32_e32 v5, v2, v2
	v_lshlrev_b32_e32 v2, 2, v3
	v_max_f32_e32 v3, v4, v5
	v_xor_b32_e32 v5, 4, v1
	ds_bpermute_b32 v4, v2, v3
	v_cmp_gt_i32_e32 vcc_lo, 32, v5
	v_cndmask_b32_e32 v5, v1, v5, vcc_lo
	v_lshlrev_b32_e32 v39, 2, v5
	v_xor_b32_e32 v5, 2, v1
	v_cmp_gt_i32_e32 vcc_lo, 32, v5
	s_waitcnt lgkmcnt(0)
	v_max_f32_e32 v4, v4, v4
	v_cndmask_b32_e32 v5, v1, v5, vcc_lo
	v_max_f32_e32 v3, v3, v4
	v_lshlrev_b32_e32 v48, 2, v5
	v_xor_b32_e32 v5, 1, v1
	ds_bpermute_b32 v4, v39, v3
	v_cmp_gt_i32_e32 vcc_lo, 32, v5
	v_cndmask_b32_e32 v5, v1, v5, vcc_lo
	s_waitcnt vmcnt(2)
	v_cmp_eq_u32_e32 vcc_lo, 0, v125
	v_lshlrev_b32_e32 v54, 2, v5
	s_waitcnt lgkmcnt(0)
	v_max_f32_e32 v4, v4, v4
	v_max_f32_e32 v3, v3, v4
	ds_bpermute_b32 v4, v48, v3
	s_waitcnt lgkmcnt(0)
	v_max_f32_e32 v4, v4, v4
	v_max_f32_e32 v1, v3, v4
	v_lshlrev_b32_e32 v3, 2, v127
	ds_bpermute_b32 v4, v54, v1
	s_and_saveexec_b32 s2, vcc_lo
	s_cbranch_execz .LBB51_10
; %bb.9:
	s_waitcnt lgkmcnt(0)
	v_max_f32_e32 v4, v4, v4
	v_max_f32_e32 v1, v1, v1
	;; [unrolled: 1-line block ×3, first 2 shown]
	ds_write_b32 v3, v1 offset:512
.LBB51_10:
	s_or_b32 exec_lo, exec_lo, s2
	v_cmp_gt_u32_e64 s2, 4, v125
	v_mov_b32_e32 v1, 0xff7fffff
	s_waitcnt vmcnt(0) lgkmcnt(0)
	s_waitcnt_vscnt null, 0x0
	s_barrier
	buffer_gl0_inv
	s_and_saveexec_b32 s3, s2
; %bb.11:
	ds_read_b32 v1, v10 offset:512
; %bb.12:
	s_or_b32 exec_lo, exec_lo, s3
	s_waitcnt lgkmcnt(0)
	ds_bpermute_b32 v4, v48, v1
	v_max_f32_e32 v1, v1, v1
	s_lshl_b32 s3, s12, 5
	s_min_i32 s5, s3, s11
	v_cmp_gt_i32_e64 s3, s5, v55
	s_waitcnt lgkmcnt(0)
	v_max_f32_e32 v4, v4, v4
	v_max_f32_e32 v1, v1, v4
	ds_bpermute_b32 v4, v54, v1
	s_waitcnt lgkmcnt(0)
	v_max_f32_e32 v4, v4, v4
	v_max_f32_e32 v1, v1, v4
	v_mov_b32_e32 v4, 0
	ds_bpermute_b32 v5, v4, v1
	v_lshl_add_u32 v1, v55, 2, 0x220
	s_and_saveexec_b32 s15, s3
	s_cbranch_execz .LBB51_16
; %bb.13:
	v_lshl_add_u32 v6, v55, 2, 0x220
	v_mov_b32_e32 v4, 0
	v_mov_b32_e32 v7, v55
	s_mov_b32 s24, 0
	.p2align	6
.LBB51_14:                              ; =>This Inner Loop Header: Depth=1
	ds_read_b32 v8, v6
	v_add_nc_u32_e32 v7, 0x80, v7
	v_cmp_le_i32_e64 s4, s5, v7
	s_or_b32 s24, s4, s24
	s_waitcnt lgkmcnt(0)
	v_sub_f32_e32 v8, v8, v5
	v_mul_f32_e32 v8, 0x3fb8aa3b, v8
	v_exp_f32_e32 v8, v8
	ds_write_b32 v6, v8
	v_add_f32_e32 v4, v4, v8
	v_add_nc_u32_e32 v6, 0x200, v6
	s_andn2_b32 exec_lo, exec_lo, s24
	s_cbranch_execnz .LBB51_14
; %bb.15:
	s_or_b32 exec_lo, exec_lo, s24
.LBB51_16:
	s_or_b32 exec_lo, exec_lo, s15
	ds_bpermute_b32 v0, v0, v4
	s_waitcnt lgkmcnt(0)
	v_add_f32_e32 v0, v4, v0
	ds_bpermute_b32 v2, v2, v0
	s_waitcnt lgkmcnt(0)
	v_add_f32_e32 v0, v0, v2
	;; [unrolled: 3-line block ×5, first 2 shown]
	s_and_saveexec_b32 s4, vcc_lo
; %bb.17:
	ds_write_b32 v3, v0 offset:528
; %bb.18:
	s_or_b32 exec_lo, exec_lo, s4
	s_waitcnt lgkmcnt(0)
	s_barrier
	buffer_gl0_inv
	s_and_saveexec_b32 s4, s2
; %bb.19:
	ds_read_b32 v0, v10 offset:528
; %bb.20:
	s_or_b32 exec_lo, exec_lo, s4
	s_waitcnt lgkmcnt(0)
	ds_bpermute_b32 v2, v48, v0
	s_waitcnt lgkmcnt(0)
	v_add_f32_e32 v0, v0, v2
	ds_bpermute_b32 v2, v54, v0
	s_waitcnt lgkmcnt(0)
	v_add_f32_e32 v0, v0, v2
	v_mov_b32_e32 v2, 0
	ds_bpermute_b32 v0, v2, v0
	s_and_saveexec_b32 s2, s3
	s_cbranch_execz .LBB51_23
; %bb.21:
	s_waitcnt lgkmcnt(0)
	v_add_f32_e32 v0, 0x358637bd, v0
	s_mov_b32 s3, 0
	v_div_scale_f32 v2, null, v0, v0, 1.0
	v_div_scale_f32 v5, vcc_lo, 1.0, v0, 1.0
	v_rcp_f32_e32 v3, v2
	v_fma_f32 v4, -v2, v3, 1.0
	v_fmac_f32_e32 v3, v4, v3
	v_mul_f32_e32 v4, v5, v3
	v_fma_f32 v6, -v2, v4, v5
	v_fmac_f32_e32 v4, v6, v3
	v_fma_f32 v2, -v2, v4, v5
	v_div_fmas_f32 v2, v2, v3, v4
	v_div_fixup_f32 v0, v2, v0, 1.0
	v_mov_b32_e32 v2, v55
.LBB51_22:                              ; =>This Inner Loop Header: Depth=1
	ds_read_b32 v3, v1
	v_add_nc_u32_e32 v2, 0x80, v2
	v_cmp_le_i32_e32 vcc_lo, s5, v2
	s_or_b32 s3, vcc_lo, s3
	s_waitcnt lgkmcnt(0)
	v_mul_f32_e32 v3, v0, v3
	ds_write_b32 v1, v3
	v_add_nc_u32_e32 v1, 0x200, v1
	s_andn2_b32 exec_lo, exec_lo, s3
	s_cbranch_execnz .LBB51_22
.LBB51_23:
	s_or_b32 exec_lo, exec_lo, s2
	v_mov_b32_e32 v20, 0
	v_and_b32_e32 v56, 7, v55
	v_mov_b32_e32 v29, 0
	v_mov_b32_e32 v28, 0
	;; [unrolled: 1-line block ×31, first 2 shown]
	s_waitcnt lgkmcnt(0)
	s_barrier
	buffer_gl0_inv
	s_and_saveexec_b32 s2, s1
	s_cbranch_execz .LBB51_91
; %bb.24:
	v_lshlrev_b32_e32 v0, 2, v55
	buffer_store_dword v39, off, s[36:39], 0 offset:272 ; 4-byte Folded Spill
	buffer_store_dword v48, off, s[36:39], 0 offset:268 ; 4-byte Folded Spill
	;; [unrolled: 1-line block ×3, first 2 shown]
	v_lshlrev_b32_e32 v2, 4, v56
	v_lshlrev_b32_e32 v4, 5, v127
	v_mov_b32_e32 v5, 0
	v_and_b32_e32 v1, 28, v0
	v_and_b32_e32 v3, 0x7c, v0
	v_or_b32_e32 v0, 0xf80, v0
	s_ashr_i32 s15, s14, 31
	buffer_store_dword v5, off, s[36:39], 0 offset:48 ; 4-byte Folded Spill
	s_lshl_b64 s[4:5], s[14:15], 2
	v_lshl_or_b32 v2, v127, 7, v2
	v_lshlrev_b32_e32 v0, 2, v0
	s_add_u32 s3, s22, s4
	v_mov_b32_e32 v5, v127
	v_or3_b32 v127, v4, v1, 3
	v_and_b32_e32 v1, 0x7c, v9
	buffer_store_dword v0, off, s[36:39], 0 offset:248 ; 4-byte Folded Spill
	v_mov_b32_e32 v0, 0
	s_addc_u32 s4, s23, s5
	s_lshl_b64 s[14:15], s[20:21], 2
	s_add_i32 s5, s12, -1
	s_add_u32 s1, s18, s14
	buffer_store_dword v0, off, s[36:39], 0 offset:64 ; 4-byte Folded Spill
	v_mov_b32_e32 v0, 0
	s_addc_u32 s14, s19, s15
	v_add_co_u32 v125, s1, s1, v1
	v_add_nc_u32_e32 v2, 0x220, v2
	buffer_store_dword v0, off, s[36:39], 0 offset:80 ; 4-byte Folded Spill
	v_mov_b32_e32 v0, 0
	v_add_co_ci_u32_e64 v126, null, s14, 0, s1
	v_lshlrev_b32_e32 v1, 2, v3
	v_mov_b32_e32 v6, 0
	buffer_store_dword v0, off, s[36:39], 0 offset:96 ; 4-byte Folded Spill
	v_mov_b32_e32 v0, 0
	s_mov_b32 s14, s13
	s_mov_b32 s13, 0
	buffer_store_dword v56, off, s[36:39], 0 offset:276 ; 4-byte Folded Spill
	buffer_store_dword v1, off, s[36:39], 0 offset:244 ; 4-byte Folded Spill
	;; [unrolled: 1-line block ×3, first 2 shown]
	v_mov_b32_e32 v0, 0
	buffer_store_dword v0, off, s[36:39], 0 offset:128 ; 4-byte Folded Spill
	v_mov_b32_e32 v0, 0
	buffer_store_dword v0, off, s[36:39], 0 offset:132 ; 4-byte Folded Spill
	;; [unrolled: 2-line block ×26, first 2 shown]
	s_branch .LBB51_26
.LBB51_25:                              ;   in Loop: Header=BB51_26 Depth=1
	s_or_b32 exec_lo, exec_lo, s1
	s_waitcnt lgkmcnt(0)
	v_mul_f32_e32 v0, v1, v9
	buffer_load_dword v9, off, s[36:39], 0 offset:64 ; 4-byte Folded Reload
	v_add_co_u32 v125, vcc_lo, v125, 16
	v_add_co_ci_u32_e64 v126, null, 0, v126, vcc_lo
	v_fmac_f32_e32 v0, v2, v10
	v_add_nc_u32_e32 v127, 0x80, v127
	v_fmac_f32_e32 v0, v3, v11
	v_fmac_f32_e32 v0, v4, v12
	s_waitcnt vmcnt(0)
	v_add_f32_e32 v9, v9, v0
	v_mul_f32_e32 v0, v1, v5
	buffer_load_dword v5, off, s[36:39], 0 offset:80 ; 4-byte Folded Reload
	buffer_store_dword v9, off, s[36:39], 0 offset:64 ; 4-byte Folded Spill
	v_fmac_f32_e32 v0, v2, v6
	buffer_load_dword v6, off, s[36:39], 0 offset:232 ; 4-byte Folded Reload
	v_fmac_f32_e32 v0, v3, v7
	v_fmac_f32_e32 v0, v4, v8
	s_waitcnt vmcnt(1)
	v_add_f32_e32 v5, v5, v0
	v_mul_f32_e32 v0, v1, v121
	buffer_store_dword v5, off, s[36:39], 0 offset:80 ; 4-byte Folded Spill
	buffer_load_dword v5, off, s[36:39], 0 offset:96 ; 4-byte Folded Reload
	v_fmac_f32_e32 v0, v2, v122
	v_fmac_f32_e32 v0, v3, v123
	v_fmac_f32_e32 v0, v4, v124
	s_waitcnt vmcnt(0)
	v_add_f32_e32 v5, v5, v0
	v_mul_f32_e32 v0, v1, v117
	buffer_store_dword v5, off, s[36:39], 0 offset:96 ; 4-byte Folded Spill
	buffer_load_dword v5, off, s[36:39], 0 offset:112 ; 4-byte Folded Reload
	v_fmac_f32_e32 v0, v2, v118
	;; [unrolled: 8-line block ×23, first 2 shown]
	v_fmac_f32_e32 v0, v3, v31
	v_fmac_f32_e32 v0, v4, v32
	v_add_f32_e32 v6, v6, v0
	v_mul_f32_e32 v0, v1, v25
	v_fmac_f32_e32 v0, v2, v26
	v_fmac_f32_e32 v0, v3, v27
	;; [unrolled: 1-line block ×3, first 2 shown]
	s_waitcnt vmcnt(0)
	v_add_f32_e32 v5, v5, v0
	v_mul_f32_e32 v0, v1, v21
	buffer_store_dword v5, off, s[36:39], 0 offset:208 ; 4-byte Folded Spill
	buffer_load_dword v5, off, s[36:39], 0 offset:212 ; 4-byte Folded Reload
	v_fmac_f32_e32 v0, v2, v22
	v_fmac_f32_e32 v0, v3, v23
	;; [unrolled: 1-line block ×3, first 2 shown]
	s_waitcnt vmcnt(0)
	v_add_f32_e32 v5, v5, v0
	v_mul_f32_e32 v0, v1, v17
	buffer_store_dword v5, off, s[36:39], 0 offset:212 ; 4-byte Folded Spill
	buffer_load_dword v5, off, s[36:39], 0 offset:216 ; 4-byte Folded Reload
	v_fmac_f32_e32 v0, v2, v18
	v_fmac_f32_e32 v0, v3, v19
	;; [unrolled: 1-line block ×3, first 2 shown]
	s_waitcnt vmcnt(0)
	v_add_f32_e32 v5, v5, v0
	buffer_store_dword v5, off, s[36:39], 0 offset:216 ; 4-byte Folded Spill
	s_clause 0x4
	buffer_load_dword v7, off, s[36:39], 0 offset:32
	buffer_load_dword v8, off, s[36:39], 0 offset:36
	;; [unrolled: 1-line block ×5, first 2 shown]
	s_waitcnt vmcnt(4)
	v_mul_f32_e32 v0, v1, v7
	s_waitcnt vmcnt(3)
	v_fmac_f32_e32 v0, v2, v8
	s_waitcnt vmcnt(2)
	v_fmac_f32_e32 v0, v3, v9
	s_waitcnt vmcnt(1)
	v_fmac_f32_e32 v0, v4, v10
	s_waitcnt vmcnt(0)
	v_add_f32_e32 v5, v5, v0
	buffer_store_dword v5, off, s[36:39], 0 offset:224 ; 4-byte Folded Spill
	s_clause 0x4
	buffer_load_dword v7, off, s[36:39], 0 offset:16
	buffer_load_dword v8, off, s[36:39], 0 offset:20
	;; [unrolled: 1-line block ×5, first 2 shown]
	s_waitcnt vmcnt(4)
	v_mul_f32_e32 v0, v1, v7
	s_waitcnt vmcnt(3)
	v_fmac_f32_e32 v0, v2, v8
	s_waitcnt vmcnt(2)
	v_fmac_f32_e32 v0, v3, v9
	;; [unrolled: 2-line block ×3, first 2 shown]
	s_waitcnt vmcnt(0)
	v_add_f32_e32 v5, v5, v0
	buffer_store_dword v5, off, s[36:39], 0 offset:228 ; 4-byte Folded Spill
	s_clause 0x4
	buffer_load_dword v7, off, s[36:39], 0
	buffer_load_dword v8, off, s[36:39], 0 offset:4
	buffer_load_dword v9, off, s[36:39], 0 offset:8
	;; [unrolled: 1-line block ×4, first 2 shown]
	s_waitcnt vmcnt(4)
	v_mul_f32_e32 v0, v1, v7
	s_waitcnt vmcnt(3)
	v_fmac_f32_e32 v0, v2, v8
	s_waitcnt vmcnt(2)
	v_fmac_f32_e32 v0, v3, v9
	;; [unrolled: 2-line block ×3, first 2 shown]
	s_waitcnt vmcnt(0)
	v_add_f32_e32 v5, v5, v0
	v_mul_f32_e32 v0, v1, v93
	buffer_load_dword v1, off, s[36:39], 0 offset:48 ; 4-byte Folded Reload
	buffer_store_dword v5, off, s[36:39], 0 offset:220 ; 4-byte Folded Spill
	buffer_load_dword v5, off, s[36:39], 0 offset:240 ; 4-byte Folded Reload
	v_fmac_f32_e32 v0, v2, v94
	buffer_load_dword v2, off, s[36:39], 0 offset:236 ; 4-byte Folded Reload
	v_fmac_f32_e32 v0, v3, v95
	v_fmac_f32_e32 v0, v4, v96
	s_waitcnt vmcnt(2)
	v_add_f32_e32 v1, v1, v0
	s_waitcnt vmcnt(1)
	v_add_nc_u32_e32 v5, 4, v5
	buffer_store_dword v1, off, s[36:39], 0 offset:48 ; 4-byte Folded Spill
	s_waitcnt vmcnt(0)
	v_add_nc_u32_e32 v2, 0x200, v2
	v_cmp_le_i32_e32 vcc_lo, s12, v5
	s_or_b32 s13, vcc_lo, s13
	s_andn2_b32 exec_lo, exec_lo, s13
	s_cbranch_execz .LBB51_90
.LBB51_26:                              ; =>This Inner Loop Header: Depth=1
	global_load_dword v0, v[125:126], off
	v_mov_b32_e32 v7, v5
	buffer_store_dword v6, off, s[36:39], 0 offset:232 ; 4-byte Folded Spill
	v_add_nc_u32_e32 v14, -2, v127
	v_add_nc_u32_e32 v13, -1, v127
	s_waitcnt vmcnt(0)
	v_mad_i64_i32 v[0:1], null, v0, s14, 0
	v_lshlrev_b64 v[0:1], 2, v[0:1]
	v_add_co_u32 v15, vcc_lo, s3, v0
	buffer_load_dword v0, off, s[36:39], 0 offset:244 ; 4-byte Folded Reload
	v_add_co_ci_u32_e64 v16, null, s4, v1, vcc_lo
	s_waitcnt vmcnt(0)
	v_add_co_u32 v5, vcc_lo, v15, v0
	v_add_co_ci_u32_e64 v6, null, 0, v16, vcc_lo
	v_add_nc_u32_e32 v0, -3, v127
	v_cmp_eq_u32_e32 vcc_lo, s5, v7
	global_load_dwordx4 v[8:11], v[5:6], off
	s_waitcnt vmcnt(0)
	buffer_store_dword v8, off, s[36:39], 0 ; 4-byte Folded Spill
	buffer_store_dword v9, off, s[36:39], 0 offset:4 ; 4-byte Folded Spill
	buffer_store_dword v10, off, s[36:39], 0 offset:8 ; 4-byte Folded Spill
	;; [unrolled: 1-line block ×4, first 2 shown]
	ds_read_b128 v[1:4], v2
	buffer_store_dword v7, off, s[36:39], 0 offset:240 ; 4-byte Folded Spill
	s_and_saveexec_b32 s15, vcc_lo
	s_cbranch_execz .LBB51_28
; %bb.27:                               ;   in Loop: Header=BB51_26 Depth=1
	s_clause 0x3
	buffer_load_dword v7, off, s[36:39], 0
	buffer_load_dword v8, off, s[36:39], 0 offset:4
	buffer_load_dword v9, off, s[36:39], 0 offset:8
	;; [unrolled: 1-line block ×3, first 2 shown]
	v_cmp_gt_i32_e64 s1, s11, v0
	s_waitcnt vmcnt(3)
	v_cndmask_b32_e64 v7, 0, v7, s1
	v_cmp_gt_i32_e64 s1, s11, v14
	s_waitcnt vmcnt(2)
	v_cndmask_b32_e64 v8, 0, v8, s1
	;; [unrolled: 3-line block ×4, first 2 shown]
	buffer_store_dword v7, off, s[36:39], 0 ; 4-byte Folded Spill
	buffer_store_dword v8, off, s[36:39], 0 offset:4 ; 4-byte Folded Spill
	buffer_store_dword v9, off, s[36:39], 0 offset:8 ; 4-byte Folded Spill
	;; [unrolled: 1-line block ×3, first 2 shown]
.LBB51_28:                              ;   in Loop: Header=BB51_26 Depth=1
	s_or_b32 exec_lo, exec_lo, s15
	global_load_dwordx4 v[7:10], v[5:6], off offset:512
	s_waitcnt vmcnt(0)
	buffer_store_dword v7, off, s[36:39], 0 offset:16 ; 4-byte Folded Spill
	buffer_store_dword v8, off, s[36:39], 0 offset:20 ; 4-byte Folded Spill
	;; [unrolled: 1-line block ×4, first 2 shown]
	s_and_saveexec_b32 s15, vcc_lo
	s_cbranch_execz .LBB51_30
; %bb.29:                               ;   in Loop: Header=BB51_26 Depth=1
	s_clause 0x3
	buffer_load_dword v7, off, s[36:39], 0 offset:16
	buffer_load_dword v8, off, s[36:39], 0 offset:20
	;; [unrolled: 1-line block ×4, first 2 shown]
	v_cmp_gt_i32_e64 s1, s11, v0
	s_waitcnt vmcnt(3)
	v_cndmask_b32_e64 v7, 0, v7, s1
	v_cmp_gt_i32_e64 s1, s11, v14
	s_waitcnt vmcnt(2)
	v_cndmask_b32_e64 v8, 0, v8, s1
	;; [unrolled: 3-line block ×4, first 2 shown]
	buffer_store_dword v7, off, s[36:39], 0 offset:16 ; 4-byte Folded Spill
	buffer_store_dword v8, off, s[36:39], 0 offset:20 ; 4-byte Folded Spill
	;; [unrolled: 1-line block ×4, first 2 shown]
.LBB51_30:                              ;   in Loop: Header=BB51_26 Depth=1
	s_or_b32 exec_lo, exec_lo, s15
	global_load_dwordx4 v[7:10], v[5:6], off offset:1024
	s_waitcnt vmcnt(0)
	buffer_store_dword v7, off, s[36:39], 0 offset:32 ; 4-byte Folded Spill
	buffer_store_dword v8, off, s[36:39], 0 offset:36 ; 4-byte Folded Spill
	;; [unrolled: 1-line block ×4, first 2 shown]
	s_and_saveexec_b32 s15, vcc_lo
	s_cbranch_execz .LBB51_32
; %bb.31:                               ;   in Loop: Header=BB51_26 Depth=1
	s_clause 0x3
	buffer_load_dword v7, off, s[36:39], 0 offset:32
	buffer_load_dword v8, off, s[36:39], 0 offset:36
	;; [unrolled: 1-line block ×4, first 2 shown]
	v_cmp_gt_i32_e64 s1, s11, v0
	s_waitcnt vmcnt(3)
	v_cndmask_b32_e64 v7, 0, v7, s1
	v_cmp_gt_i32_e64 s1, s11, v14
	s_waitcnt vmcnt(2)
	v_cndmask_b32_e64 v8, 0, v8, s1
	;; [unrolled: 3-line block ×4, first 2 shown]
	buffer_store_dword v7, off, s[36:39], 0 offset:32 ; 4-byte Folded Spill
	buffer_store_dword v8, off, s[36:39], 0 offset:36 ; 4-byte Folded Spill
	;; [unrolled: 1-line block ×4, first 2 shown]
.LBB51_32:                              ;   in Loop: Header=BB51_26 Depth=1
	s_or_b32 exec_lo, exec_lo, s15
	global_load_dwordx4 v[17:20], v[5:6], off offset:1536
	s_and_saveexec_b32 s15, vcc_lo
	s_cbranch_execz .LBB51_34
; %bb.33:                               ;   in Loop: Header=BB51_26 Depth=1
	v_cmp_gt_i32_e64 s1, s11, v0
	s_waitcnt vmcnt(0)
	v_cndmask_b32_e64 v17, 0, v17, s1
	v_cmp_gt_i32_e64 s1, s11, v14
	v_cndmask_b32_e64 v18, 0, v18, s1
	v_cmp_gt_i32_e64 s1, s11, v13
	;; [unrolled: 2-line block ×3, first 2 shown]
	v_cndmask_b32_e64 v20, 0, v20, s1
.LBB51_34:                              ;   in Loop: Header=BB51_26 Depth=1
	s_or_b32 exec_lo, exec_lo, s15
	v_add_co_u32 v7, s1, 0x800, v5
	v_add_co_ci_u32_e64 v8, null, 0, v6, s1
	global_load_dwordx4 v[21:24], v[7:8], off
	s_and_saveexec_b32 s15, vcc_lo
	s_cbranch_execnz .LBB51_70
; %bb.35:                               ;   in Loop: Header=BB51_26 Depth=1
	s_or_b32 exec_lo, exec_lo, s15
	global_load_dwordx4 v[25:28], v[7:8], off offset:512
	s_and_saveexec_b32 s15, vcc_lo
	s_cbranch_execnz .LBB51_71
.LBB51_36:                              ;   in Loop: Header=BB51_26 Depth=1
	s_or_b32 exec_lo, exec_lo, s15
	global_load_dwordx4 v[29:32], v[7:8], off offset:1024
	s_and_saveexec_b32 s15, vcc_lo
	s_cbranch_execnz .LBB51_72
.LBB51_37:                              ;   in Loop: Header=BB51_26 Depth=1
	s_or_b32 exec_lo, exec_lo, s15
	global_load_dwordx4 v[33:36], v[7:8], off offset:1536
	s_and_saveexec_b32 s15, vcc_lo
	s_cbranch_execz .LBB51_39
.LBB51_38:                              ;   in Loop: Header=BB51_26 Depth=1
	v_cmp_gt_i32_e64 s1, s11, v0
	s_waitcnt vmcnt(0)
	v_cndmask_b32_e64 v33, 0, v33, s1
	v_cmp_gt_i32_e64 s1, s11, v14
	v_cndmask_b32_e64 v34, 0, v34, s1
	v_cmp_gt_i32_e64 s1, s11, v13
	;; [unrolled: 2-line block ×3, first 2 shown]
	v_cndmask_b32_e64 v36, 0, v36, s1
.LBB51_39:                              ;   in Loop: Header=BB51_26 Depth=1
	s_or_b32 exec_lo, exec_lo, s15
	v_add_co_u32 v7, s1, 0x1000, v5
	v_add_co_ci_u32_e64 v8, null, 0, v6, s1
	global_load_dwordx4 v[37:40], v[7:8], off
	s_and_saveexec_b32 s15, vcc_lo
	s_cbranch_execnz .LBB51_73
; %bb.40:                               ;   in Loop: Header=BB51_26 Depth=1
	s_or_b32 exec_lo, exec_lo, s15
	global_load_dwordx4 v[41:44], v[7:8], off offset:512
	s_and_saveexec_b32 s15, vcc_lo
	s_cbranch_execnz .LBB51_74
.LBB51_41:                              ;   in Loop: Header=BB51_26 Depth=1
	s_or_b32 exec_lo, exec_lo, s15
	global_load_dwordx4 v[45:48], v[7:8], off offset:1024
	s_and_saveexec_b32 s15, vcc_lo
	s_cbranch_execnz .LBB51_75
.LBB51_42:                              ;   in Loop: Header=BB51_26 Depth=1
	s_or_b32 exec_lo, exec_lo, s15
	global_load_dwordx4 v[49:52], v[7:8], off offset:1536
	s_and_saveexec_b32 s15, vcc_lo
	s_cbranch_execz .LBB51_44
.LBB51_43:                              ;   in Loop: Header=BB51_26 Depth=1
	v_cmp_gt_i32_e64 s1, s11, v0
	s_waitcnt vmcnt(0)
	v_cndmask_b32_e64 v49, 0, v49, s1
	v_cmp_gt_i32_e64 s1, s11, v14
	v_cndmask_b32_e64 v50, 0, v50, s1
	v_cmp_gt_i32_e64 s1, s11, v13
	;; [unrolled: 2-line block ×3, first 2 shown]
	v_cndmask_b32_e64 v52, 0, v52, s1
.LBB51_44:                              ;   in Loop: Header=BB51_26 Depth=1
	s_or_b32 exec_lo, exec_lo, s15
	v_add_co_u32 v7, s1, 0x1800, v5
	v_add_co_ci_u32_e64 v8, null, 0, v6, s1
	global_load_dwordx4 v[53:56], v[7:8], off
	s_and_saveexec_b32 s15, vcc_lo
	s_cbranch_execnz .LBB51_76
; %bb.45:                               ;   in Loop: Header=BB51_26 Depth=1
	s_or_b32 exec_lo, exec_lo, s15
	global_load_dwordx4 v[57:60], v[7:8], off offset:512
	s_and_saveexec_b32 s15, vcc_lo
	s_cbranch_execnz .LBB51_77
.LBB51_46:                              ;   in Loop: Header=BB51_26 Depth=1
	s_or_b32 exec_lo, exec_lo, s15
	global_load_dwordx4 v[61:64], v[7:8], off offset:1024
	s_and_saveexec_b32 s15, vcc_lo
	s_cbranch_execnz .LBB51_78
.LBB51_47:                              ;   in Loop: Header=BB51_26 Depth=1
	s_or_b32 exec_lo, exec_lo, s15
	global_load_dwordx4 v[65:68], v[7:8], off offset:1536
	s_and_saveexec_b32 s15, vcc_lo
	s_cbranch_execz .LBB51_49
.LBB51_48:                              ;   in Loop: Header=BB51_26 Depth=1
	v_cmp_gt_i32_e64 s1, s11, v0
	s_waitcnt vmcnt(0)
	v_cndmask_b32_e64 v65, 0, v65, s1
	v_cmp_gt_i32_e64 s1, s11, v14
	v_cndmask_b32_e64 v66, 0, v66, s1
	v_cmp_gt_i32_e64 s1, s11, v13
	;; [unrolled: 2-line block ×3, first 2 shown]
	v_cndmask_b32_e64 v68, 0, v68, s1
.LBB51_49:                              ;   in Loop: Header=BB51_26 Depth=1
	s_or_b32 exec_lo, exec_lo, s15
	v_add_co_u32 v7, s1, 0x2000, v5
	v_add_co_ci_u32_e64 v8, null, 0, v6, s1
	global_load_dwordx4 v[69:72], v[7:8], off
	s_and_saveexec_b32 s15, vcc_lo
	s_cbranch_execnz .LBB51_79
; %bb.50:                               ;   in Loop: Header=BB51_26 Depth=1
	s_or_b32 exec_lo, exec_lo, s15
	global_load_dwordx4 v[73:76], v[7:8], off offset:512
	s_and_saveexec_b32 s15, vcc_lo
	s_cbranch_execnz .LBB51_80
.LBB51_51:                              ;   in Loop: Header=BB51_26 Depth=1
	s_or_b32 exec_lo, exec_lo, s15
	global_load_dwordx4 v[77:80], v[7:8], off offset:1024
	s_and_saveexec_b32 s15, vcc_lo
	s_cbranch_execnz .LBB51_81
.LBB51_52:                              ;   in Loop: Header=BB51_26 Depth=1
	s_or_b32 exec_lo, exec_lo, s15
	global_load_dwordx4 v[81:84], v[7:8], off offset:1536
	s_and_saveexec_b32 s15, vcc_lo
	s_cbranch_execz .LBB51_54
.LBB51_53:                              ;   in Loop: Header=BB51_26 Depth=1
	v_cmp_gt_i32_e64 s1, s11, v0
	s_waitcnt vmcnt(0)
	v_cndmask_b32_e64 v81, 0, v81, s1
	v_cmp_gt_i32_e64 s1, s11, v14
	v_cndmask_b32_e64 v82, 0, v82, s1
	v_cmp_gt_i32_e64 s1, s11, v13
	;; [unrolled: 2-line block ×3, first 2 shown]
	v_cndmask_b32_e64 v84, 0, v84, s1
.LBB51_54:                              ;   in Loop: Header=BB51_26 Depth=1
	s_or_b32 exec_lo, exec_lo, s15
	v_add_co_u32 v7, s1, 0x2800, v5
	v_add_co_ci_u32_e64 v8, null, 0, v6, s1
	global_load_dwordx4 v[85:88], v[7:8], off
	s_and_saveexec_b32 s15, vcc_lo
	s_cbranch_execnz .LBB51_82
; %bb.55:                               ;   in Loop: Header=BB51_26 Depth=1
	s_or_b32 exec_lo, exec_lo, s15
	global_load_dwordx4 v[89:92], v[7:8], off offset:512
	s_and_saveexec_b32 s15, vcc_lo
	s_cbranch_execnz .LBB51_83
.LBB51_56:                              ;   in Loop: Header=BB51_26 Depth=1
	s_or_b32 exec_lo, exec_lo, s15
	global_load_dwordx4 v[97:100], v[7:8], off offset:1024
	s_and_saveexec_b32 s15, vcc_lo
	s_cbranch_execnz .LBB51_84
.LBB51_57:                              ;   in Loop: Header=BB51_26 Depth=1
	s_or_b32 exec_lo, exec_lo, s15
	global_load_dwordx4 v[101:104], v[7:8], off offset:1536
	s_and_saveexec_b32 s15, vcc_lo
	s_cbranch_execz .LBB51_59
.LBB51_58:                              ;   in Loop: Header=BB51_26 Depth=1
	v_cmp_gt_i32_e64 s1, s11, v0
	s_waitcnt vmcnt(0)
	v_cndmask_b32_e64 v101, 0, v101, s1
	v_cmp_gt_i32_e64 s1, s11, v14
	v_cndmask_b32_e64 v102, 0, v102, s1
	v_cmp_gt_i32_e64 s1, s11, v13
	;; [unrolled: 2-line block ×3, first 2 shown]
	v_cndmask_b32_e64 v104, 0, v104, s1
.LBB51_59:                              ;   in Loop: Header=BB51_26 Depth=1
	s_or_b32 exec_lo, exec_lo, s15
	v_add_co_u32 v7, s1, 0x3000, v5
	v_add_co_ci_u32_e64 v8, null, 0, v6, s1
	global_load_dwordx4 v[105:108], v[7:8], off
	s_and_saveexec_b32 s15, vcc_lo
	s_cbranch_execnz .LBB51_85
; %bb.60:                               ;   in Loop: Header=BB51_26 Depth=1
	s_or_b32 exec_lo, exec_lo, s15
	global_load_dwordx4 v[109:112], v[7:8], off offset:512
	s_and_saveexec_b32 s15, vcc_lo
	s_cbranch_execnz .LBB51_86
.LBB51_61:                              ;   in Loop: Header=BB51_26 Depth=1
	s_or_b32 exec_lo, exec_lo, s15
	global_load_dwordx4 v[113:116], v[7:8], off offset:1024
	s_and_saveexec_b32 s15, vcc_lo
	s_cbranch_execnz .LBB51_87
.LBB51_62:                              ;   in Loop: Header=BB51_26 Depth=1
	s_or_b32 exec_lo, exec_lo, s15
	global_load_dwordx4 v[117:120], v[7:8], off offset:1536
	s_and_saveexec_b32 s15, vcc_lo
	s_cbranch_execz .LBB51_64
.LBB51_63:                              ;   in Loop: Header=BB51_26 Depth=1
	v_cmp_gt_i32_e64 s1, s11, v0
	s_waitcnt vmcnt(0)
	v_cndmask_b32_e64 v117, 0, v117, s1
	v_cmp_gt_i32_e64 s1, s11, v14
	v_cndmask_b32_e64 v118, 0, v118, s1
	v_cmp_gt_i32_e64 s1, s11, v13
	;; [unrolled: 2-line block ×3, first 2 shown]
	v_cndmask_b32_e64 v120, 0, v120, s1
.LBB51_64:                              ;   in Loop: Header=BB51_26 Depth=1
	s_or_b32 exec_lo, exec_lo, s15
	v_add_co_u32 v9, s1, 0x3800, v5
	v_add_co_ci_u32_e64 v10, null, 0, v6, s1
	global_load_dwordx4 v[121:124], v[9:10], off
	s_and_saveexec_b32 s15, vcc_lo
	s_cbranch_execnz .LBB51_88
; %bb.65:                               ;   in Loop: Header=BB51_26 Depth=1
	s_or_b32 exec_lo, exec_lo, s15
	global_load_dwordx4 v[5:8], v[9:10], off offset:512
	s_and_saveexec_b32 s15, vcc_lo
	s_cbranch_execnz .LBB51_89
.LBB51_66:                              ;   in Loop: Header=BB51_26 Depth=1
	s_or_b32 exec_lo, exec_lo, s15
	global_load_dwordx4 v[9:12], v[9:10], off offset:1024
	s_and_saveexec_b32 s15, vcc_lo
	s_cbranch_execz .LBB51_68
.LBB51_67:                              ;   in Loop: Header=BB51_26 Depth=1
	v_cmp_gt_i32_e64 s1, s11, v0
	s_waitcnt vmcnt(0)
	v_cndmask_b32_e64 v9, 0, v9, s1
	v_cmp_gt_i32_e64 s1, s11, v14
	v_cndmask_b32_e64 v10, 0, v10, s1
	v_cmp_gt_i32_e64 s1, s11, v13
	;; [unrolled: 2-line block ×3, first 2 shown]
	v_cndmask_b32_e64 v12, 0, v12, s1
.LBB51_68:                              ;   in Loop: Header=BB51_26 Depth=1
	s_or_b32 exec_lo, exec_lo, s15
	buffer_load_dword v93, off, s[36:39], 0 offset:248 ; 4-byte Folded Reload
	s_waitcnt vmcnt(0)
	v_add_co_u32 v15, s1, v15, v93
	v_add_co_ci_u32_e64 v16, null, 0, v16, s1
	global_load_dwordx4 v[93:96], v[15:16], off
	s_and_saveexec_b32 s1, vcc_lo
	s_cbranch_execz .LBB51_25
; %bb.69:                               ;   in Loop: Header=BB51_26 Depth=1
	v_cmp_gt_i32_e32 vcc_lo, s11, v0
	s_waitcnt vmcnt(0)
	v_cndmask_b32_e32 v93, 0, v93, vcc_lo
	v_cmp_gt_i32_e32 vcc_lo, s11, v14
	v_cndmask_b32_e32 v94, 0, v94, vcc_lo
	v_cmp_gt_i32_e32 vcc_lo, s11, v13
	;; [unrolled: 2-line block ×3, first 2 shown]
	v_cndmask_b32_e32 v96, 0, v96, vcc_lo
	s_branch .LBB51_25
.LBB51_70:                              ;   in Loop: Header=BB51_26 Depth=1
	v_cmp_gt_i32_e64 s1, s11, v0
	s_waitcnt vmcnt(0)
	v_cndmask_b32_e64 v21, 0, v21, s1
	v_cmp_gt_i32_e64 s1, s11, v14
	v_cndmask_b32_e64 v22, 0, v22, s1
	v_cmp_gt_i32_e64 s1, s11, v13
	;; [unrolled: 2-line block ×3, first 2 shown]
	v_cndmask_b32_e64 v24, 0, v24, s1
	s_or_b32 exec_lo, exec_lo, s15
	global_load_dwordx4 v[25:28], v[7:8], off offset:512
	s_and_saveexec_b32 s15, vcc_lo
	s_cbranch_execz .LBB51_36
.LBB51_71:                              ;   in Loop: Header=BB51_26 Depth=1
	v_cmp_gt_i32_e64 s1, s11, v0
	s_waitcnt vmcnt(0)
	v_cndmask_b32_e64 v25, 0, v25, s1
	v_cmp_gt_i32_e64 s1, s11, v14
	v_cndmask_b32_e64 v26, 0, v26, s1
	v_cmp_gt_i32_e64 s1, s11, v13
	;; [unrolled: 2-line block ×3, first 2 shown]
	v_cndmask_b32_e64 v28, 0, v28, s1
	s_or_b32 exec_lo, exec_lo, s15
	global_load_dwordx4 v[29:32], v[7:8], off offset:1024
	s_and_saveexec_b32 s15, vcc_lo
	s_cbranch_execz .LBB51_37
.LBB51_72:                              ;   in Loop: Header=BB51_26 Depth=1
	v_cmp_gt_i32_e64 s1, s11, v0
	s_waitcnt vmcnt(0)
	v_cndmask_b32_e64 v29, 0, v29, s1
	v_cmp_gt_i32_e64 s1, s11, v14
	v_cndmask_b32_e64 v30, 0, v30, s1
	v_cmp_gt_i32_e64 s1, s11, v13
	;; [unrolled: 2-line block ×3, first 2 shown]
	v_cndmask_b32_e64 v32, 0, v32, s1
	s_or_b32 exec_lo, exec_lo, s15
	global_load_dwordx4 v[33:36], v[7:8], off offset:1536
	s_and_saveexec_b32 s15, vcc_lo
	s_cbranch_execnz .LBB51_38
	s_branch .LBB51_39
.LBB51_73:                              ;   in Loop: Header=BB51_26 Depth=1
	v_cmp_gt_i32_e64 s1, s11, v0
	s_waitcnt vmcnt(0)
	v_cndmask_b32_e64 v37, 0, v37, s1
	v_cmp_gt_i32_e64 s1, s11, v14
	v_cndmask_b32_e64 v38, 0, v38, s1
	v_cmp_gt_i32_e64 s1, s11, v13
	;; [unrolled: 2-line block ×3, first 2 shown]
	v_cndmask_b32_e64 v40, 0, v40, s1
	s_or_b32 exec_lo, exec_lo, s15
	global_load_dwordx4 v[41:44], v[7:8], off offset:512
	s_and_saveexec_b32 s15, vcc_lo
	s_cbranch_execz .LBB51_41
.LBB51_74:                              ;   in Loop: Header=BB51_26 Depth=1
	v_cmp_gt_i32_e64 s1, s11, v0
	s_waitcnt vmcnt(0)
	v_cndmask_b32_e64 v41, 0, v41, s1
	v_cmp_gt_i32_e64 s1, s11, v14
	v_cndmask_b32_e64 v42, 0, v42, s1
	v_cmp_gt_i32_e64 s1, s11, v13
	v_cndmask_b32_e64 v43, 0, v43, s1
	v_cmp_gt_i32_e64 s1, s11, v127
	v_cndmask_b32_e64 v44, 0, v44, s1
	s_or_b32 exec_lo, exec_lo, s15
	global_load_dwordx4 v[45:48], v[7:8], off offset:1024
	s_and_saveexec_b32 s15, vcc_lo
	s_cbranch_execz .LBB51_42
.LBB51_75:                              ;   in Loop: Header=BB51_26 Depth=1
	v_cmp_gt_i32_e64 s1, s11, v0
	s_waitcnt vmcnt(0)
	v_cndmask_b32_e64 v45, 0, v45, s1
	v_cmp_gt_i32_e64 s1, s11, v14
	v_cndmask_b32_e64 v46, 0, v46, s1
	v_cmp_gt_i32_e64 s1, s11, v13
	;; [unrolled: 2-line block ×3, first 2 shown]
	v_cndmask_b32_e64 v48, 0, v48, s1
	s_or_b32 exec_lo, exec_lo, s15
	global_load_dwordx4 v[49:52], v[7:8], off offset:1536
	s_and_saveexec_b32 s15, vcc_lo
	s_cbranch_execnz .LBB51_43
	s_branch .LBB51_44
.LBB51_76:                              ;   in Loop: Header=BB51_26 Depth=1
	v_cmp_gt_i32_e64 s1, s11, v0
	s_waitcnt vmcnt(0)
	v_cndmask_b32_e64 v53, 0, v53, s1
	v_cmp_gt_i32_e64 s1, s11, v14
	v_cndmask_b32_e64 v54, 0, v54, s1
	v_cmp_gt_i32_e64 s1, s11, v13
	;; [unrolled: 2-line block ×3, first 2 shown]
	v_cndmask_b32_e64 v56, 0, v56, s1
	s_or_b32 exec_lo, exec_lo, s15
	global_load_dwordx4 v[57:60], v[7:8], off offset:512
	s_and_saveexec_b32 s15, vcc_lo
	s_cbranch_execz .LBB51_46
.LBB51_77:                              ;   in Loop: Header=BB51_26 Depth=1
	v_cmp_gt_i32_e64 s1, s11, v0
	s_waitcnt vmcnt(0)
	v_cndmask_b32_e64 v57, 0, v57, s1
	v_cmp_gt_i32_e64 s1, s11, v14
	v_cndmask_b32_e64 v58, 0, v58, s1
	v_cmp_gt_i32_e64 s1, s11, v13
	;; [unrolled: 2-line block ×3, first 2 shown]
	v_cndmask_b32_e64 v60, 0, v60, s1
	s_or_b32 exec_lo, exec_lo, s15
	global_load_dwordx4 v[61:64], v[7:8], off offset:1024
	s_and_saveexec_b32 s15, vcc_lo
	s_cbranch_execz .LBB51_47
.LBB51_78:                              ;   in Loop: Header=BB51_26 Depth=1
	v_cmp_gt_i32_e64 s1, s11, v0
	s_waitcnt vmcnt(0)
	v_cndmask_b32_e64 v61, 0, v61, s1
	v_cmp_gt_i32_e64 s1, s11, v14
	v_cndmask_b32_e64 v62, 0, v62, s1
	v_cmp_gt_i32_e64 s1, s11, v13
	;; [unrolled: 2-line block ×3, first 2 shown]
	v_cndmask_b32_e64 v64, 0, v64, s1
	s_or_b32 exec_lo, exec_lo, s15
	global_load_dwordx4 v[65:68], v[7:8], off offset:1536
	s_and_saveexec_b32 s15, vcc_lo
	s_cbranch_execnz .LBB51_48
	s_branch .LBB51_49
.LBB51_79:                              ;   in Loop: Header=BB51_26 Depth=1
	v_cmp_gt_i32_e64 s1, s11, v0
	s_waitcnt vmcnt(0)
	v_cndmask_b32_e64 v69, 0, v69, s1
	v_cmp_gt_i32_e64 s1, s11, v14
	v_cndmask_b32_e64 v70, 0, v70, s1
	v_cmp_gt_i32_e64 s1, s11, v13
	;; [unrolled: 2-line block ×3, first 2 shown]
	v_cndmask_b32_e64 v72, 0, v72, s1
	s_or_b32 exec_lo, exec_lo, s15
	global_load_dwordx4 v[73:76], v[7:8], off offset:512
	s_and_saveexec_b32 s15, vcc_lo
	s_cbranch_execz .LBB51_51
.LBB51_80:                              ;   in Loop: Header=BB51_26 Depth=1
	v_cmp_gt_i32_e64 s1, s11, v0
	s_waitcnt vmcnt(0)
	v_cndmask_b32_e64 v73, 0, v73, s1
	v_cmp_gt_i32_e64 s1, s11, v14
	v_cndmask_b32_e64 v74, 0, v74, s1
	v_cmp_gt_i32_e64 s1, s11, v13
	;; [unrolled: 2-line block ×3, first 2 shown]
	v_cndmask_b32_e64 v76, 0, v76, s1
	s_or_b32 exec_lo, exec_lo, s15
	global_load_dwordx4 v[77:80], v[7:8], off offset:1024
	s_and_saveexec_b32 s15, vcc_lo
	s_cbranch_execz .LBB51_52
.LBB51_81:                              ;   in Loop: Header=BB51_26 Depth=1
	v_cmp_gt_i32_e64 s1, s11, v0
	s_waitcnt vmcnt(0)
	v_cndmask_b32_e64 v77, 0, v77, s1
	v_cmp_gt_i32_e64 s1, s11, v14
	v_cndmask_b32_e64 v78, 0, v78, s1
	v_cmp_gt_i32_e64 s1, s11, v13
	;; [unrolled: 2-line block ×3, first 2 shown]
	v_cndmask_b32_e64 v80, 0, v80, s1
	s_or_b32 exec_lo, exec_lo, s15
	global_load_dwordx4 v[81:84], v[7:8], off offset:1536
	s_and_saveexec_b32 s15, vcc_lo
	s_cbranch_execnz .LBB51_53
	s_branch .LBB51_54
.LBB51_82:                              ;   in Loop: Header=BB51_26 Depth=1
	v_cmp_gt_i32_e64 s1, s11, v0
	s_waitcnt vmcnt(0)
	v_cndmask_b32_e64 v85, 0, v85, s1
	v_cmp_gt_i32_e64 s1, s11, v14
	v_cndmask_b32_e64 v86, 0, v86, s1
	v_cmp_gt_i32_e64 s1, s11, v13
	v_cndmask_b32_e64 v87, 0, v87, s1
	v_cmp_gt_i32_e64 s1, s11, v127
	v_cndmask_b32_e64 v88, 0, v88, s1
	s_or_b32 exec_lo, exec_lo, s15
	global_load_dwordx4 v[89:92], v[7:8], off offset:512
	s_and_saveexec_b32 s15, vcc_lo
	s_cbranch_execz .LBB51_56
.LBB51_83:                              ;   in Loop: Header=BB51_26 Depth=1
	v_cmp_gt_i32_e64 s1, s11, v0
	s_waitcnt vmcnt(0)
	v_cndmask_b32_e64 v89, 0, v89, s1
	v_cmp_gt_i32_e64 s1, s11, v14
	v_cndmask_b32_e64 v90, 0, v90, s1
	v_cmp_gt_i32_e64 s1, s11, v13
	v_cndmask_b32_e64 v91, 0, v91, s1
	v_cmp_gt_i32_e64 s1, s11, v127
	v_cndmask_b32_e64 v92, 0, v92, s1
	s_or_b32 exec_lo, exec_lo, s15
	global_load_dwordx4 v[97:100], v[7:8], off offset:1024
	s_and_saveexec_b32 s15, vcc_lo
	s_cbranch_execz .LBB51_57
.LBB51_84:                              ;   in Loop: Header=BB51_26 Depth=1
	v_cmp_gt_i32_e64 s1, s11, v0
	s_waitcnt vmcnt(0)
	v_cndmask_b32_e64 v97, 0, v97, s1
	v_cmp_gt_i32_e64 s1, s11, v14
	v_cndmask_b32_e64 v98, 0, v98, s1
	v_cmp_gt_i32_e64 s1, s11, v13
	;; [unrolled: 2-line block ×3, first 2 shown]
	v_cndmask_b32_e64 v100, 0, v100, s1
	s_or_b32 exec_lo, exec_lo, s15
	global_load_dwordx4 v[101:104], v[7:8], off offset:1536
	s_and_saveexec_b32 s15, vcc_lo
	s_cbranch_execnz .LBB51_58
	s_branch .LBB51_59
.LBB51_85:                              ;   in Loop: Header=BB51_26 Depth=1
	v_cmp_gt_i32_e64 s1, s11, v0
	s_waitcnt vmcnt(0)
	v_cndmask_b32_e64 v105, 0, v105, s1
	v_cmp_gt_i32_e64 s1, s11, v14
	v_cndmask_b32_e64 v106, 0, v106, s1
	v_cmp_gt_i32_e64 s1, s11, v13
	v_cndmask_b32_e64 v107, 0, v107, s1
	v_cmp_gt_i32_e64 s1, s11, v127
	v_cndmask_b32_e64 v108, 0, v108, s1
	s_or_b32 exec_lo, exec_lo, s15
	global_load_dwordx4 v[109:112], v[7:8], off offset:512
	s_and_saveexec_b32 s15, vcc_lo
	s_cbranch_execz .LBB51_61
.LBB51_86:                              ;   in Loop: Header=BB51_26 Depth=1
	v_cmp_gt_i32_e64 s1, s11, v0
	s_waitcnt vmcnt(0)
	v_cndmask_b32_e64 v109, 0, v109, s1
	v_cmp_gt_i32_e64 s1, s11, v14
	v_cndmask_b32_e64 v110, 0, v110, s1
	v_cmp_gt_i32_e64 s1, s11, v13
	v_cndmask_b32_e64 v111, 0, v111, s1
	v_cmp_gt_i32_e64 s1, s11, v127
	v_cndmask_b32_e64 v112, 0, v112, s1
	s_or_b32 exec_lo, exec_lo, s15
	global_load_dwordx4 v[113:116], v[7:8], off offset:1024
	s_and_saveexec_b32 s15, vcc_lo
	s_cbranch_execz .LBB51_62
.LBB51_87:                              ;   in Loop: Header=BB51_26 Depth=1
	v_cmp_gt_i32_e64 s1, s11, v0
	s_waitcnt vmcnt(0)
	v_cndmask_b32_e64 v113, 0, v113, s1
	v_cmp_gt_i32_e64 s1, s11, v14
	v_cndmask_b32_e64 v114, 0, v114, s1
	v_cmp_gt_i32_e64 s1, s11, v13
	;; [unrolled: 2-line block ×3, first 2 shown]
	v_cndmask_b32_e64 v116, 0, v116, s1
	s_or_b32 exec_lo, exec_lo, s15
	global_load_dwordx4 v[117:120], v[7:8], off offset:1536
	s_and_saveexec_b32 s15, vcc_lo
	s_cbranch_execnz .LBB51_63
	s_branch .LBB51_64
.LBB51_88:                              ;   in Loop: Header=BB51_26 Depth=1
	v_cmp_gt_i32_e64 s1, s11, v0
	s_waitcnt vmcnt(0)
	v_cndmask_b32_e64 v121, 0, v121, s1
	v_cmp_gt_i32_e64 s1, s11, v14
	v_cndmask_b32_e64 v122, 0, v122, s1
	v_cmp_gt_i32_e64 s1, s11, v13
	;; [unrolled: 2-line block ×3, first 2 shown]
	v_cndmask_b32_e64 v124, 0, v124, s1
	s_or_b32 exec_lo, exec_lo, s15
	global_load_dwordx4 v[5:8], v[9:10], off offset:512
	s_and_saveexec_b32 s15, vcc_lo
	s_cbranch_execz .LBB51_66
.LBB51_89:                              ;   in Loop: Header=BB51_26 Depth=1
	v_cmp_gt_i32_e64 s1, s11, v0
	s_waitcnt vmcnt(0)
	v_cndmask_b32_e64 v5, 0, v5, s1
	v_cmp_gt_i32_e64 s1, s11, v14
	v_cndmask_b32_e64 v6, 0, v6, s1
	v_cmp_gt_i32_e64 s1, s11, v13
	;; [unrolled: 2-line block ×3, first 2 shown]
	v_cndmask_b32_e64 v8, 0, v8, s1
	s_or_b32 exec_lo, exec_lo, s15
	global_load_dwordx4 v[9:12], v[9:10], off offset:1024
	s_and_saveexec_b32 s15, vcc_lo
	s_cbranch_execnz .LBB51_67
	s_branch .LBB51_68
.LBB51_90:
	s_or_b32 exec_lo, exec_lo, s13
	s_clause 0x25
	buffer_load_dword v55, off, s[36:39], 0 offset:252
	buffer_load_dword v127, off, s[36:39], 0 offset:256
	;; [unrolled: 1-line block ×38, first 2 shown]
.LBB51_91:
	s_or_b32 exec_lo, exec_lo, s2
	s_waitcnt vmcnt(2)
	ds_bpermute_b32 v0, v39, v20
	s_waitcnt vmcnt(0)
	ds_bpermute_b32 v1, v39, v29
	ds_bpermute_b32 v4, v39, v18
	;; [unrolled: 1-line block ×4, first 2 shown]
	v_mov_b32_e32 v26, v6
	ds_bpermute_b32 v6, v39, v6
	ds_bpermute_b32 v3, v39, v19
	;; [unrolled: 1-line block ×12, first 2 shown]
	s_mov_b32 s1, exec_lo
	s_waitcnt lgkmcnt(0)
	s_waitcnt_vscnt null, 0x0
	v_add_f32_e32 v0, v20, v0
	v_add_f32_e32 v1, v29, v1
	;; [unrolled: 1-line block ×5, first 2 shown]
	ds_bpermute_b32 v17, v48, v0
	ds_bpermute_b32 v18, v48, v1
	ds_bpermute_b32 v21, v48, v4
	v_add_f32_e32 v6, v26, v6
	v_add_f32_e32 v3, v19, v3
	;; [unrolled: 1-line block ×5, first 2 shown]
	ds_bpermute_b32 v23, v48, v6
	ds_bpermute_b32 v20, v48, v3
	;; [unrolled: 1-line block ×3, first 2 shown]
	v_add_f32_e32 v12, v27, v12
	ds_bpermute_b32 v27, v48, v9
	v_add_f32_e32 v10, v22, v10
	v_add_f32_e32 v13, v30, v13
	;; [unrolled: 1-line block ×3, first 2 shown]
	ds_bpermute_b32 v26, v39, v33
	ds_bpermute_b32 v29, v48, v11
	;; [unrolled: 1-line block ×3, first 2 shown]
	v_add_f32_e32 v15, v36, v15
	s_waitcnt lgkmcnt(9)
	v_add_f32_e32 v0, v0, v17
	s_waitcnt lgkmcnt(8)
	;; [unrolled: 2-line block ×3, first 2 shown]
	v_add_f32_e32 v4, v4, v21
	v_add_f32_e32 v14, v38, v14
	ds_bpermute_b32 v22, v48, v5
	ds_bpermute_b32 v17, v54, v0
	;; [unrolled: 1-line block ×4, first 2 shown]
	s_waitcnt lgkmcnt(10)
	v_add_f32_e32 v6, v6, v23
	s_waitcnt lgkmcnt(9)
	v_add_f32_e32 v3, v3, v20
	;; [unrolled: 2-line block ×3, first 2 shown]
	ds_bpermute_b32 v19, v48, v2
	s_waitcnt lgkmcnt(8)
	v_add_f32_e32 v9, v9, v27
	ds_bpermute_b32 v23, v54, v6
	ds_bpermute_b32 v20, v54, v3
	;; [unrolled: 1-line block ×5, first 2 shown]
	s_waitcnt lgkmcnt(10)
	v_add_f32_e32 v10, v10, v28
	v_add_f32_e32 v11, v11, v29
	ds_bpermute_b32 v29, v39, v31
	v_add_f32_e32 v16, v34, v16
	ds_bpermute_b32 v34, v39, v43
	ds_bpermute_b32 v28, v54, v10
	s_waitcnt lgkmcnt(12)
	v_add_f32_e32 v5, v5, v22
	s_waitcnt lgkmcnt(11)
	v_add_f32_e32 v0, v0, v17
	;; [unrolled: 2-line block ×3, first 2 shown]
	ds_bpermute_b32 v17, v48, v13
	ds_bpermute_b32 v18, v39, v32
	s_waitcnt lgkmcnt(11)
	v_add_f32_e32 v4, v4, v21
	ds_bpermute_b32 v21, v48, v15
	ds_bpermute_b32 v38, v39, v50
	;; [unrolled: 1-line block ×3, first 2 shown]
	s_waitcnt lgkmcnt(12)
	v_add_f32_e32 v6, v6, v23
	v_add_f32_e32 v23, v33, v26
	s_waitcnt lgkmcnt(11)
	v_add_f32_e32 v3, v3, v20
	ds_bpermute_b32 v20, v48, v14
	s_waitcnt lgkmcnt(11)
	v_add_f32_e32 v7, v7, v24
	s_waitcnt lgkmcnt(9)
	v_add_f32_e32 v9, v9, v27
	ds_bpermute_b32 v24, v48, v23
	ds_bpermute_b32 v27, v39, v37
	;; [unrolled: 1-line block ×3, first 2 shown]
	v_add_f32_e32 v2, v2, v19
	s_waitcnt lgkmcnt(9)
	v_add_f32_e32 v10, v10, v28
	ds_bpermute_b32 v28, v39, v41
	ds_bpermute_b32 v22, v54, v5
	v_add_f32_e32 v12, v12, v30
	s_waitcnt lgkmcnt(10)
	v_add_f32_e32 v13, v13, v17
	s_waitcnt lgkmcnt(9)
	v_add_f32_e32 v17, v32, v18
	ds_bpermute_b32 v18, v39, v35
	s_waitcnt lgkmcnt(9)
	v_add_f32_e32 v15, v15, v21
	ds_bpermute_b32 v21, v39, v40
	ds_bpermute_b32 v32, v39, v42
	;; [unrolled: 1-line block ×4, first 2 shown]
	v_add_f32_e32 v34, v43, v34
	s_waitcnt lgkmcnt(10)
	v_add_f32_e32 v14, v14, v20
	v_add_f32_e32 v20, v31, v29
	;; [unrolled: 1-line block ×3, first 2 shown]
	s_waitcnt lgkmcnt(9)
	v_add_f32_e32 v23, v23, v24
	ds_bpermute_b32 v24, v39, v46
	s_waitcnt lgkmcnt(8)
	v_add_f32_e32 v33, v45, v33
	ds_bpermute_b32 v30, v48, v20
	v_add_f32_e32 v8, v8, v25
	s_waitcnt lgkmcnt(8)
	v_add_f32_e32 v28, v41, v28
	s_waitcnt lgkmcnt(7)
	v_add_f32_e32 v5, v5, v22
	ds_bpermute_b32 v22, v48, v16
	ds_bpermute_b32 v45, v48, v33
	;; [unrolled: 1-line block ×3, first 2 shown]
	s_waitcnt lgkmcnt(9)
	v_add_f32_e32 v18, v35, v18
	ds_bpermute_b32 v35, v39, v44
	s_waitcnt lgkmcnt(9)
	v_add_f32_e32 v21, v40, v21
	s_waitcnt lgkmcnt(8)
	v_add_f32_e32 v32, v42, v32
	s_waitcnt lgkmcnt(7)
	v_add_f32_e32 v26, v17, v26
	v_add_f32_e32 v17, v37, v27
	ds_bpermute_b32 v27, v39, v47
	ds_bpermute_b32 v39, v39, v49
	;; [unrolled: 1-line block ×5, first 2 shown]
	s_waitcnt lgkmcnt(10)
	v_add_f32_e32 v24, v46, v24
	ds_bpermute_b32 v42, v48, v28
	s_waitcnt lgkmcnt(10)
	v_add_f32_e32 v20, v20, v30
	ds_bpermute_b32 v30, v48, v21
	ds_bpermute_b32 v46, v48, v34
	v_add_f32_e32 v2, v2, v19
	ds_bpermute_b32 v19, v54, v11
	s_waitcnt lgkmcnt(12)
	v_add_f32_e32 v16, v16, v22
	s_waitcnt lgkmcnt(11)
	v_add_f32_e32 v33, v33, v45
	;; [unrolled: 2-line block ×4, first 2 shown]
	ds_bpermute_b32 v44, v48, v24
	ds_bpermute_b32 v25, v54, v13
	;; [unrolled: 1-line block ×4, first 2 shown]
	s_waitcnt lgkmcnt(12)
	v_add_f32_e32 v27, v47, v27
	s_waitcnt lgkmcnt(11)
	v_add_f32_e32 v39, v49, v39
	ds_bpermute_b32 v47, v48, v35
	s_waitcnt lgkmcnt(11)
	v_add_f32_e32 v37, v18, v37
	s_waitcnt lgkmcnt(9)
	v_add_f32_e32 v40, v17, v40
	ds_bpermute_b32 v18, v48, v27
	ds_bpermute_b32 v17, v48, v38
	;; [unrolled: 1-line block ×3, first 2 shown]
	v_add_f32_e32 v32, v32, v43
	s_waitcnt lgkmcnt(10)
	v_add_f32_e32 v30, v21, v30
	v_add_f32_e32 v28, v28, v42
	s_waitcnt lgkmcnt(9)
	v_add_f32_e32 v34, v34, v46
	s_waitcnt lgkmcnt(8)
	v_add_f32_e32 v11, v11, v19
	ds_bpermute_b32 v19, v54, v12
	ds_bpermute_b32 v31, v54, v16
	;; [unrolled: 1-line block ×3, first 2 shown]
	s_waitcnt lgkmcnt(10)
	v_add_f32_e32 v44, v24, v44
	ds_bpermute_b32 v24, v54, v32
	ds_bpermute_b32 v41, v54, v26
	;; [unrolled: 1-line block ×5, first 2 shown]
	s_waitcnt lgkmcnt(11)
	v_add_f32_e32 v35, v35, v47
	ds_bpermute_b32 v50, v54, v30
	ds_bpermute_b32 v43, v54, v28
	s_waitcnt lgkmcnt(12)
	v_add_f32_e32 v51, v27, v18
	s_waitcnt lgkmcnt(11)
	v_add_f32_e32 v38, v38, v17
	;; [unrolled: 2-line block ×3, first 2 shown]
	ds_bpermute_b32 v45, v54, v44
	ds_bpermute_b32 v46, v54, v33
	;; [unrolled: 1-line block ×7, first 2 shown]
	s_waitcnt lgkmcnt(16)
	v_add_f32_e32 v12, v12, v19
	v_add_f32_e32 v13, v13, v25
	s_waitcnt lgkmcnt(13)
	v_add_f32_e32 v24, v32, v24
	v_lshrrev_b32_e32 v32, 3, v125
	v_add_f32_e32 v14, v14, v22
	v_add_f32_e32 v15, v15, v29
	;; [unrolled: 1-line block ×4, first 2 shown]
	s_waitcnt lgkmcnt(12)
	v_add_f32_e32 v18, v26, v41
	s_waitcnt lgkmcnt(11)
	v_add_f32_e32 v19, v20, v21
	;; [unrolled: 2-line block ×11, first 2 shown]
	v_and_b32_e32 v35, 0x3c7, v55
	s_waitcnt lgkmcnt(1)
	v_add_f32_e32 v30, v38, v53
	s_waitcnt lgkmcnt(0)
	v_add_f32_e32 v31, v39, v54
	v_lshl_add_u32 v33, v32, 2, 0x220
	v_lshlrev_b32_e32 v34, 9, v127
	s_barrier
	buffer_gl0_inv
	v_cmpx_eq_u32_e32 64, v35
	s_cbranch_execz .LBB51_93
; %bb.92:
	v_add_nc_u32_e32 v35, v33, v34
	v_add_nc_u32_e32 v36, 0xfffffc00, v35
	;; [unrolled: 1-line block ×8, first 2 shown]
	ds_write_b32 v36, v0
	ds_write_b32 v37, v1
	;; [unrolled: 1-line block ×7, first 2 shown]
	v_add_nc_u32_e32 v36, 0xfffffc70, v35
	v_add_nc_u32_e32 v37, 0xfffffc80, v35
	v_add_nc_u32_e32 v38, 0xfffffc90, v35
	v_add_nc_u32_e32 v39, 0xfffffca0, v35
	v_add_nc_u32_e32 v40, 0xfffffcb0, v35
	ds_write_b32 v36, v7
	ds_write_b32 v37, v8
	ds_write_b32 v38, v9
	ds_write_b32 v39, v10
	ds_write_b32 v40, v11
	v_add_nc_u32_e32 v36, 0xfffffcc0, v35
	v_add_nc_u32_e32 v37, 0xfffffcd0, v35
	v_add_nc_u32_e32 v38, 0xfffffce0, v35
	v_add_nc_u32_e32 v39, 0xfffffcf0, v35
	v_add_nc_u32_e32 v40, 0xfffffd00, v35
	ds_write_b32 v36, v12
	ds_write_b32 v37, v13
	ds_write_b32 v38, v14
	ds_write_b32 v39, v15
	ds_write_b32 v40, v16
	;; [unrolled: 10-line block ×5, first 2 shown]
.LBB51_93:
	s_or_b32 exec_lo, exec_lo, s1
	v_lshlrev_b32_e32 v32, 2, v32
	s_mov_b32 s2, exec_lo
	v_cmp_eq_u32_e32 vcc_lo, 0, v56
	s_waitcnt lgkmcnt(0)
	s_barrier
	v_add3_u32 v32, 0x220, v34, v32
	buffer_gl0_inv
	v_cmpx_gt_u32_e32 64, v55
	s_cbranch_execz .LBB51_128
; %bb.94:
	s_and_saveexec_b32 s1, vcc_lo
	s_cbranch_execnz .LBB51_168
; %bb.95:
	s_or_b32 exec_lo, exec_lo, s1
	s_and_saveexec_b32 s1, vcc_lo
	s_cbranch_execnz .LBB51_169
.LBB51_96:
	s_or_b32 exec_lo, exec_lo, s1
	s_and_saveexec_b32 s1, vcc_lo
	s_cbranch_execnz .LBB51_170
.LBB51_97:
	s_or_b32 exec_lo, exec_lo, s1
	s_and_saveexec_b32 s1, vcc_lo
	s_cbranch_execnz .LBB51_171
.LBB51_98:
	s_or_b32 exec_lo, exec_lo, s1
	s_and_saveexec_b32 s1, vcc_lo
	s_cbranch_execnz .LBB51_172
.LBB51_99:
	s_or_b32 exec_lo, exec_lo, s1
	s_and_saveexec_b32 s1, vcc_lo
	s_cbranch_execnz .LBB51_173
.LBB51_100:
	s_or_b32 exec_lo, exec_lo, s1
	s_and_saveexec_b32 s1, vcc_lo
	s_cbranch_execnz .LBB51_174
.LBB51_101:
	s_or_b32 exec_lo, exec_lo, s1
	s_and_saveexec_b32 s1, vcc_lo
	s_cbranch_execnz .LBB51_175
.LBB51_102:
	s_or_b32 exec_lo, exec_lo, s1
	s_and_saveexec_b32 s1, vcc_lo
	s_cbranch_execnz .LBB51_176
.LBB51_103:
	s_or_b32 exec_lo, exec_lo, s1
	s_and_saveexec_b32 s1, vcc_lo
	s_cbranch_execnz .LBB51_177
.LBB51_104:
	s_or_b32 exec_lo, exec_lo, s1
	s_and_saveexec_b32 s1, vcc_lo
	s_cbranch_execnz .LBB51_178
.LBB51_105:
	s_or_b32 exec_lo, exec_lo, s1
	s_and_saveexec_b32 s1, vcc_lo
	s_cbranch_execnz .LBB51_179
.LBB51_106:
	s_or_b32 exec_lo, exec_lo, s1
	s_and_saveexec_b32 s1, vcc_lo
	s_cbranch_execnz .LBB51_180
.LBB51_107:
	s_or_b32 exec_lo, exec_lo, s1
	s_and_saveexec_b32 s1, vcc_lo
	s_cbranch_execnz .LBB51_181
.LBB51_108:
	s_or_b32 exec_lo, exec_lo, s1
	s_and_saveexec_b32 s1, vcc_lo
	s_cbranch_execnz .LBB51_182
.LBB51_109:
	s_or_b32 exec_lo, exec_lo, s1
	s_and_saveexec_b32 s1, vcc_lo
	s_cbranch_execnz .LBB51_183
.LBB51_110:
	s_or_b32 exec_lo, exec_lo, s1
	s_and_saveexec_b32 s1, vcc_lo
	s_cbranch_execnz .LBB51_184
.LBB51_111:
	s_or_b32 exec_lo, exec_lo, s1
	s_and_saveexec_b32 s1, vcc_lo
	s_cbranch_execnz .LBB51_185
.LBB51_112:
	s_or_b32 exec_lo, exec_lo, s1
	s_and_saveexec_b32 s1, vcc_lo
	s_cbranch_execnz .LBB51_186
.LBB51_113:
	s_or_b32 exec_lo, exec_lo, s1
	s_and_saveexec_b32 s1, vcc_lo
	s_cbranch_execnz .LBB51_187
.LBB51_114:
	s_or_b32 exec_lo, exec_lo, s1
	s_and_saveexec_b32 s1, vcc_lo
	s_cbranch_execnz .LBB51_188
.LBB51_115:
	s_or_b32 exec_lo, exec_lo, s1
	s_and_saveexec_b32 s1, vcc_lo
	s_cbranch_execnz .LBB51_189
.LBB51_116:
	s_or_b32 exec_lo, exec_lo, s1
	s_and_saveexec_b32 s1, vcc_lo
	s_cbranch_execnz .LBB51_190
.LBB51_117:
	s_or_b32 exec_lo, exec_lo, s1
	s_and_saveexec_b32 s1, vcc_lo
	s_cbranch_execnz .LBB51_191
.LBB51_118:
	s_or_b32 exec_lo, exec_lo, s1
	s_and_saveexec_b32 s1, vcc_lo
	s_cbranch_execnz .LBB51_192
.LBB51_119:
	s_or_b32 exec_lo, exec_lo, s1
	s_and_saveexec_b32 s1, vcc_lo
	s_cbranch_execnz .LBB51_193
.LBB51_120:
	s_or_b32 exec_lo, exec_lo, s1
	s_and_saveexec_b32 s1, vcc_lo
	s_cbranch_execnz .LBB51_194
.LBB51_121:
	s_or_b32 exec_lo, exec_lo, s1
	s_and_saveexec_b32 s1, vcc_lo
	s_cbranch_execnz .LBB51_195
.LBB51_122:
	s_or_b32 exec_lo, exec_lo, s1
	s_and_saveexec_b32 s1, vcc_lo
	s_cbranch_execnz .LBB51_196
.LBB51_123:
	s_or_b32 exec_lo, exec_lo, s1
	s_and_saveexec_b32 s1, vcc_lo
	s_cbranch_execnz .LBB51_197
.LBB51_124:
	s_or_b32 exec_lo, exec_lo, s1
	s_and_saveexec_b32 s1, vcc_lo
	s_cbranch_execnz .LBB51_198
.LBB51_125:
	s_or_b32 exec_lo, exec_lo, s1
	s_and_saveexec_b32 s1, vcc_lo
	s_cbranch_execz .LBB51_127
.LBB51_126:
	ds_read_b32 v34, v32 offset:496
	s_waitcnt lgkmcnt(0)
	v_add_f32_e32 v31, v31, v34
.LBB51_127:
	s_or_b32 exec_lo, exec_lo, s1
.LBB51_128:
	s_or_b32 exec_lo, exec_lo, s2
	v_and_b32_e32 v34, 0x3e7, v55
	s_mov_b32 s2, exec_lo
	s_barrier
	buffer_gl0_inv
	v_cmpx_eq_u32_e32 32, v34
	s_cbranch_execz .LBB51_130
; %bb.129:
	ds_write2_b32 v33, v0, v1 offset1:4
	ds_write2_b32 v33, v2, v3 offset0:8 offset1:12
	ds_write2_b32 v33, v4, v5 offset0:16 offset1:20
	;; [unrolled: 1-line block ×15, first 2 shown]
.LBB51_130:
	s_or_b32 exec_lo, exec_lo, s2
	s_waitcnt lgkmcnt(0)
	s_barrier
	buffer_gl0_inv
	s_and_saveexec_b32 s1, s0
	s_cbranch_execz .LBB51_165
; %bb.131:
	s_and_saveexec_b32 s0, vcc_lo
	s_cbranch_execnz .LBB51_199
; %bb.132:
	s_or_b32 exec_lo, exec_lo, s0
	s_and_saveexec_b32 s0, vcc_lo
	s_cbranch_execnz .LBB51_200
.LBB51_133:
	s_or_b32 exec_lo, exec_lo, s0
	s_and_saveexec_b32 s0, vcc_lo
	s_cbranch_execnz .LBB51_201
.LBB51_134:
	s_or_b32 exec_lo, exec_lo, s0
	s_and_saveexec_b32 s0, vcc_lo
	s_cbranch_execnz .LBB51_202
.LBB51_135:
	s_or_b32 exec_lo, exec_lo, s0
	s_and_saveexec_b32 s0, vcc_lo
	s_cbranch_execnz .LBB51_203
.LBB51_136:
	s_or_b32 exec_lo, exec_lo, s0
	s_and_saveexec_b32 s0, vcc_lo
	s_cbranch_execnz .LBB51_204
.LBB51_137:
	s_or_b32 exec_lo, exec_lo, s0
	s_and_saveexec_b32 s0, vcc_lo
	s_cbranch_execnz .LBB51_205
.LBB51_138:
	s_or_b32 exec_lo, exec_lo, s0
	s_and_saveexec_b32 s0, vcc_lo
	s_cbranch_execnz .LBB51_206
.LBB51_139:
	s_or_b32 exec_lo, exec_lo, s0
	s_and_saveexec_b32 s0, vcc_lo
	s_cbranch_execnz .LBB51_207
.LBB51_140:
	s_or_b32 exec_lo, exec_lo, s0
	s_and_saveexec_b32 s0, vcc_lo
	s_cbranch_execnz .LBB51_208
.LBB51_141:
	s_or_b32 exec_lo, exec_lo, s0
	s_and_saveexec_b32 s0, vcc_lo
	s_cbranch_execnz .LBB51_209
.LBB51_142:
	s_or_b32 exec_lo, exec_lo, s0
	s_and_saveexec_b32 s0, vcc_lo
	s_cbranch_execnz .LBB51_210
.LBB51_143:
	s_or_b32 exec_lo, exec_lo, s0
	s_and_saveexec_b32 s0, vcc_lo
	s_cbranch_execnz .LBB51_211
.LBB51_144:
	s_or_b32 exec_lo, exec_lo, s0
	s_and_saveexec_b32 s0, vcc_lo
	s_cbranch_execnz .LBB51_212
.LBB51_145:
	s_or_b32 exec_lo, exec_lo, s0
	s_and_saveexec_b32 s0, vcc_lo
	s_cbranch_execnz .LBB51_213
.LBB51_146:
	s_or_b32 exec_lo, exec_lo, s0
	s_and_saveexec_b32 s0, vcc_lo
	s_cbranch_execnz .LBB51_214
.LBB51_147:
	s_or_b32 exec_lo, exec_lo, s0
	s_and_saveexec_b32 s0, vcc_lo
	s_cbranch_execnz .LBB51_215
.LBB51_148:
	s_or_b32 exec_lo, exec_lo, s0
	s_and_saveexec_b32 s0, vcc_lo
	s_cbranch_execnz .LBB51_216
.LBB51_149:
	s_or_b32 exec_lo, exec_lo, s0
	s_and_saveexec_b32 s0, vcc_lo
	s_cbranch_execnz .LBB51_217
.LBB51_150:
	s_or_b32 exec_lo, exec_lo, s0
	s_and_saveexec_b32 s0, vcc_lo
	s_cbranch_execnz .LBB51_218
.LBB51_151:
	s_or_b32 exec_lo, exec_lo, s0
	s_and_saveexec_b32 s0, vcc_lo
	s_cbranch_execnz .LBB51_219
.LBB51_152:
	s_or_b32 exec_lo, exec_lo, s0
	s_and_saveexec_b32 s0, vcc_lo
	s_cbranch_execnz .LBB51_220
.LBB51_153:
	s_or_b32 exec_lo, exec_lo, s0
	s_and_saveexec_b32 s0, vcc_lo
	s_cbranch_execnz .LBB51_221
.LBB51_154:
	s_or_b32 exec_lo, exec_lo, s0
	s_and_saveexec_b32 s0, vcc_lo
	s_cbranch_execnz .LBB51_222
.LBB51_155:
	s_or_b32 exec_lo, exec_lo, s0
	s_and_saveexec_b32 s0, vcc_lo
	s_cbranch_execnz .LBB51_223
.LBB51_156:
	s_or_b32 exec_lo, exec_lo, s0
	s_and_saveexec_b32 s0, vcc_lo
	s_cbranch_execnz .LBB51_224
.LBB51_157:
	s_or_b32 exec_lo, exec_lo, s0
	s_and_saveexec_b32 s0, vcc_lo
	s_cbranch_execnz .LBB51_225
.LBB51_158:
	s_or_b32 exec_lo, exec_lo, s0
	s_and_saveexec_b32 s0, vcc_lo
	s_cbranch_execnz .LBB51_226
.LBB51_159:
	s_or_b32 exec_lo, exec_lo, s0
	s_and_saveexec_b32 s0, vcc_lo
	s_cbranch_execnz .LBB51_227
.LBB51_160:
	s_or_b32 exec_lo, exec_lo, s0
	s_and_saveexec_b32 s0, vcc_lo
	s_cbranch_execnz .LBB51_228
.LBB51_161:
	s_or_b32 exec_lo, exec_lo, s0
	s_and_saveexec_b32 s0, vcc_lo
	s_cbranch_execnz .LBB51_229
.LBB51_162:
	s_or_b32 exec_lo, exec_lo, s0
	s_and_saveexec_b32 s0, vcc_lo
	s_cbranch_execz .LBB51_164
.LBB51_163:
	ds_read_b32 v32, v32 offset:496
	s_waitcnt lgkmcnt(0)
	v_add_f32_e32 v31, v31, v32
.LBB51_164:
	s_or_b32 exec_lo, exec_lo, s0
.LBB51_165:
	s_or_b32 exec_lo, exec_lo, s1
	s_barrier
	buffer_gl0_inv
	s_mov_b32 s0, exec_lo
	v_cmpx_eq_u32_e32 0, v34
	s_cbranch_execz .LBB51_167
; %bb.166:
	s_mul_i32 s0, s10, s7
	s_mul_i32 s2, s7, s6
	s_mul_i32 s0, s0, s9
	v_lshrrev_b32_e32 v32, 1, v55
	s_lshl_b32 s0, s0, 7
	s_ashr_i32 s1, s0, 31
	s_lshl_b64 s[0:1], s[0:1], 2
	s_add_u32 s4, s16, s0
	s_addc_u32 s5, s17, s1
	s_ashr_i32 s3, s2, 31
	s_lshl_b64 s[0:1], s[2:3], 2
	s_add_u32 s2, s4, s0
	s_addc_u32 s3, s5, s1
	s_lshl_b32 s0, s8, 7
	s_ashr_i32 s1, s0, 31
	s_lshl_b64 s[0:1], s[0:1], 2
	s_add_u32 s0, s2, s0
	s_addc_u32 s1, s3, s1
	global_store_dword v32, v0, s[0:1]
	global_store_dword v32, v1, s[0:1] offset:16
	global_store_dword v32, v2, s[0:1] offset:32
	;; [unrolled: 1-line block ×31, first 2 shown]
.LBB51_167:
	s_endpgm
.LBB51_168:
	ds_read_b32 v34, v32
	s_waitcnt lgkmcnt(0)
	v_add_f32_e32 v0, v0, v34
	s_or_b32 exec_lo, exec_lo, s1
	s_and_saveexec_b32 s1, vcc_lo
	s_cbranch_execz .LBB51_96
.LBB51_169:
	ds_read_b32 v34, v32 offset:16
	s_waitcnt lgkmcnt(0)
	v_add_f32_e32 v1, v1, v34
	s_or_b32 exec_lo, exec_lo, s1
	s_and_saveexec_b32 s1, vcc_lo
	s_cbranch_execz .LBB51_97
.LBB51_170:
	ds_read_b32 v34, v32 offset:32
	s_waitcnt lgkmcnt(0)
	v_add_f32_e32 v2, v2, v34
	s_or_b32 exec_lo, exec_lo, s1
	s_and_saveexec_b32 s1, vcc_lo
	s_cbranch_execz .LBB51_98
.LBB51_171:
	ds_read_b32 v34, v32 offset:48
	s_waitcnt lgkmcnt(0)
	v_add_f32_e32 v3, v3, v34
	s_or_b32 exec_lo, exec_lo, s1
	s_and_saveexec_b32 s1, vcc_lo
	s_cbranch_execz .LBB51_99
.LBB51_172:
	ds_read_b32 v34, v32 offset:64
	s_waitcnt lgkmcnt(0)
	v_add_f32_e32 v4, v4, v34
	s_or_b32 exec_lo, exec_lo, s1
	s_and_saveexec_b32 s1, vcc_lo
	s_cbranch_execz .LBB51_100
.LBB51_173:
	ds_read_b32 v34, v32 offset:80
	s_waitcnt lgkmcnt(0)
	v_add_f32_e32 v5, v5, v34
	s_or_b32 exec_lo, exec_lo, s1
	s_and_saveexec_b32 s1, vcc_lo
	s_cbranch_execz .LBB51_101
.LBB51_174:
	ds_read_b32 v34, v32 offset:96
	s_waitcnt lgkmcnt(0)
	v_add_f32_e32 v6, v6, v34
	s_or_b32 exec_lo, exec_lo, s1
	s_and_saveexec_b32 s1, vcc_lo
	s_cbranch_execz .LBB51_102
.LBB51_175:
	ds_read_b32 v34, v32 offset:112
	s_waitcnt lgkmcnt(0)
	v_add_f32_e32 v7, v7, v34
	s_or_b32 exec_lo, exec_lo, s1
	s_and_saveexec_b32 s1, vcc_lo
	s_cbranch_execz .LBB51_103
.LBB51_176:
	ds_read_b32 v34, v32 offset:128
	s_waitcnt lgkmcnt(0)
	v_add_f32_e32 v8, v8, v34
	s_or_b32 exec_lo, exec_lo, s1
	s_and_saveexec_b32 s1, vcc_lo
	s_cbranch_execz .LBB51_104
.LBB51_177:
	ds_read_b32 v34, v32 offset:144
	s_waitcnt lgkmcnt(0)
	v_add_f32_e32 v9, v9, v34
	s_or_b32 exec_lo, exec_lo, s1
	s_and_saveexec_b32 s1, vcc_lo
	s_cbranch_execz .LBB51_105
.LBB51_178:
	ds_read_b32 v34, v32 offset:160
	s_waitcnt lgkmcnt(0)
	v_add_f32_e32 v10, v10, v34
	s_or_b32 exec_lo, exec_lo, s1
	s_and_saveexec_b32 s1, vcc_lo
	s_cbranch_execz .LBB51_106
.LBB51_179:
	ds_read_b32 v34, v32 offset:176
	s_waitcnt lgkmcnt(0)
	v_add_f32_e32 v11, v11, v34
	s_or_b32 exec_lo, exec_lo, s1
	s_and_saveexec_b32 s1, vcc_lo
	s_cbranch_execz .LBB51_107
.LBB51_180:
	ds_read_b32 v34, v32 offset:192
	s_waitcnt lgkmcnt(0)
	v_add_f32_e32 v12, v12, v34
	s_or_b32 exec_lo, exec_lo, s1
	s_and_saveexec_b32 s1, vcc_lo
	s_cbranch_execz .LBB51_108
.LBB51_181:
	ds_read_b32 v34, v32 offset:208
	s_waitcnt lgkmcnt(0)
	v_add_f32_e32 v13, v13, v34
	s_or_b32 exec_lo, exec_lo, s1
	s_and_saveexec_b32 s1, vcc_lo
	s_cbranch_execz .LBB51_109
.LBB51_182:
	ds_read_b32 v34, v32 offset:224
	s_waitcnt lgkmcnt(0)
	v_add_f32_e32 v14, v14, v34
	s_or_b32 exec_lo, exec_lo, s1
	s_and_saveexec_b32 s1, vcc_lo
	s_cbranch_execz .LBB51_110
.LBB51_183:
	ds_read_b32 v34, v32 offset:240
	s_waitcnt lgkmcnt(0)
	v_add_f32_e32 v15, v15, v34
	s_or_b32 exec_lo, exec_lo, s1
	s_and_saveexec_b32 s1, vcc_lo
	s_cbranch_execz .LBB51_111
.LBB51_184:
	ds_read_b32 v34, v32 offset:256
	s_waitcnt lgkmcnt(0)
	v_add_f32_e32 v16, v16, v34
	s_or_b32 exec_lo, exec_lo, s1
	s_and_saveexec_b32 s1, vcc_lo
	s_cbranch_execz .LBB51_112
.LBB51_185:
	ds_read_b32 v34, v32 offset:272
	s_waitcnt lgkmcnt(0)
	v_add_f32_e32 v17, v17, v34
	s_or_b32 exec_lo, exec_lo, s1
	s_and_saveexec_b32 s1, vcc_lo
	s_cbranch_execz .LBB51_113
.LBB51_186:
	ds_read_b32 v34, v32 offset:288
	s_waitcnt lgkmcnt(0)
	v_add_f32_e32 v18, v18, v34
	s_or_b32 exec_lo, exec_lo, s1
	s_and_saveexec_b32 s1, vcc_lo
	s_cbranch_execz .LBB51_114
.LBB51_187:
	ds_read_b32 v34, v32 offset:304
	s_waitcnt lgkmcnt(0)
	v_add_f32_e32 v19, v19, v34
	s_or_b32 exec_lo, exec_lo, s1
	s_and_saveexec_b32 s1, vcc_lo
	s_cbranch_execz .LBB51_115
.LBB51_188:
	ds_read_b32 v34, v32 offset:320
	s_waitcnt lgkmcnt(0)
	v_add_f32_e32 v20, v20, v34
	s_or_b32 exec_lo, exec_lo, s1
	s_and_saveexec_b32 s1, vcc_lo
	s_cbranch_execz .LBB51_116
.LBB51_189:
	ds_read_b32 v34, v32 offset:336
	s_waitcnt lgkmcnt(0)
	v_add_f32_e32 v21, v21, v34
	s_or_b32 exec_lo, exec_lo, s1
	s_and_saveexec_b32 s1, vcc_lo
	s_cbranch_execz .LBB51_117
.LBB51_190:
	ds_read_b32 v34, v32 offset:352
	s_waitcnt lgkmcnt(0)
	v_add_f32_e32 v22, v22, v34
	s_or_b32 exec_lo, exec_lo, s1
	s_and_saveexec_b32 s1, vcc_lo
	s_cbranch_execz .LBB51_118
.LBB51_191:
	ds_read_b32 v34, v32 offset:368
	s_waitcnt lgkmcnt(0)
	v_add_f32_e32 v23, v23, v34
	s_or_b32 exec_lo, exec_lo, s1
	s_and_saveexec_b32 s1, vcc_lo
	s_cbranch_execz .LBB51_119
.LBB51_192:
	ds_read_b32 v34, v32 offset:384
	s_waitcnt lgkmcnt(0)
	v_add_f32_e32 v24, v24, v34
	s_or_b32 exec_lo, exec_lo, s1
	s_and_saveexec_b32 s1, vcc_lo
	s_cbranch_execz .LBB51_120
.LBB51_193:
	ds_read_b32 v34, v32 offset:400
	s_waitcnt lgkmcnt(0)
	v_add_f32_e32 v25, v25, v34
	s_or_b32 exec_lo, exec_lo, s1
	s_and_saveexec_b32 s1, vcc_lo
	s_cbranch_execz .LBB51_121
.LBB51_194:
	ds_read_b32 v34, v32 offset:416
	s_waitcnt lgkmcnt(0)
	v_add_f32_e32 v26, v26, v34
	s_or_b32 exec_lo, exec_lo, s1
	s_and_saveexec_b32 s1, vcc_lo
	s_cbranch_execz .LBB51_122
.LBB51_195:
	ds_read_b32 v34, v32 offset:432
	s_waitcnt lgkmcnt(0)
	v_add_f32_e32 v27, v27, v34
	s_or_b32 exec_lo, exec_lo, s1
	s_and_saveexec_b32 s1, vcc_lo
	s_cbranch_execz .LBB51_123
.LBB51_196:
	ds_read_b32 v34, v32 offset:448
	s_waitcnt lgkmcnt(0)
	v_add_f32_e32 v28, v28, v34
	s_or_b32 exec_lo, exec_lo, s1
	s_and_saveexec_b32 s1, vcc_lo
	s_cbranch_execz .LBB51_124
.LBB51_197:
	ds_read_b32 v34, v32 offset:464
	s_waitcnt lgkmcnt(0)
	v_add_f32_e32 v29, v29, v34
	s_or_b32 exec_lo, exec_lo, s1
	s_and_saveexec_b32 s1, vcc_lo
	s_cbranch_execz .LBB51_125
.LBB51_198:
	ds_read_b32 v34, v32 offset:480
	s_waitcnt lgkmcnt(0)
	v_add_f32_e32 v30, v30, v34
	s_or_b32 exec_lo, exec_lo, s1
	s_and_saveexec_b32 s1, vcc_lo
	s_cbranch_execnz .LBB51_126
	s_branch .LBB51_127
.LBB51_199:
	ds_read_b32 v33, v32
	s_waitcnt lgkmcnt(0)
	v_add_f32_e32 v0, v0, v33
	s_or_b32 exec_lo, exec_lo, s0
	s_and_saveexec_b32 s0, vcc_lo
	s_cbranch_execz .LBB51_133
.LBB51_200:
	ds_read_b32 v33, v32 offset:16
	s_waitcnt lgkmcnt(0)
	v_add_f32_e32 v1, v1, v33
	s_or_b32 exec_lo, exec_lo, s0
	s_and_saveexec_b32 s0, vcc_lo
	s_cbranch_execz .LBB51_134
.LBB51_201:
	ds_read_b32 v33, v32 offset:32
	s_waitcnt lgkmcnt(0)
	v_add_f32_e32 v2, v2, v33
	s_or_b32 exec_lo, exec_lo, s0
	s_and_saveexec_b32 s0, vcc_lo
	s_cbranch_execz .LBB51_135
.LBB51_202:
	ds_read_b32 v33, v32 offset:48
	s_waitcnt lgkmcnt(0)
	v_add_f32_e32 v3, v3, v33
	s_or_b32 exec_lo, exec_lo, s0
	s_and_saveexec_b32 s0, vcc_lo
	s_cbranch_execz .LBB51_136
.LBB51_203:
	ds_read_b32 v33, v32 offset:64
	s_waitcnt lgkmcnt(0)
	v_add_f32_e32 v4, v4, v33
	s_or_b32 exec_lo, exec_lo, s0
	s_and_saveexec_b32 s0, vcc_lo
	s_cbranch_execz .LBB51_137
.LBB51_204:
	ds_read_b32 v33, v32 offset:80
	s_waitcnt lgkmcnt(0)
	v_add_f32_e32 v5, v5, v33
	s_or_b32 exec_lo, exec_lo, s0
	s_and_saveexec_b32 s0, vcc_lo
	s_cbranch_execz .LBB51_138
.LBB51_205:
	ds_read_b32 v33, v32 offset:96
	s_waitcnt lgkmcnt(0)
	v_add_f32_e32 v6, v6, v33
	s_or_b32 exec_lo, exec_lo, s0
	s_and_saveexec_b32 s0, vcc_lo
	s_cbranch_execz .LBB51_139
.LBB51_206:
	ds_read_b32 v33, v32 offset:112
	s_waitcnt lgkmcnt(0)
	v_add_f32_e32 v7, v7, v33
	s_or_b32 exec_lo, exec_lo, s0
	s_and_saveexec_b32 s0, vcc_lo
	s_cbranch_execz .LBB51_140
.LBB51_207:
	ds_read_b32 v33, v32 offset:128
	s_waitcnt lgkmcnt(0)
	v_add_f32_e32 v8, v8, v33
	s_or_b32 exec_lo, exec_lo, s0
	s_and_saveexec_b32 s0, vcc_lo
	s_cbranch_execz .LBB51_141
.LBB51_208:
	ds_read_b32 v33, v32 offset:144
	s_waitcnt lgkmcnt(0)
	v_add_f32_e32 v9, v9, v33
	s_or_b32 exec_lo, exec_lo, s0
	s_and_saveexec_b32 s0, vcc_lo
	s_cbranch_execz .LBB51_142
.LBB51_209:
	ds_read_b32 v33, v32 offset:160
	s_waitcnt lgkmcnt(0)
	v_add_f32_e32 v10, v10, v33
	s_or_b32 exec_lo, exec_lo, s0
	s_and_saveexec_b32 s0, vcc_lo
	s_cbranch_execz .LBB51_143
.LBB51_210:
	ds_read_b32 v33, v32 offset:176
	s_waitcnt lgkmcnt(0)
	v_add_f32_e32 v11, v11, v33
	s_or_b32 exec_lo, exec_lo, s0
	s_and_saveexec_b32 s0, vcc_lo
	s_cbranch_execz .LBB51_144
.LBB51_211:
	ds_read_b32 v33, v32 offset:192
	s_waitcnt lgkmcnt(0)
	v_add_f32_e32 v12, v12, v33
	s_or_b32 exec_lo, exec_lo, s0
	s_and_saveexec_b32 s0, vcc_lo
	s_cbranch_execz .LBB51_145
.LBB51_212:
	ds_read_b32 v33, v32 offset:208
	s_waitcnt lgkmcnt(0)
	v_add_f32_e32 v13, v13, v33
	s_or_b32 exec_lo, exec_lo, s0
	s_and_saveexec_b32 s0, vcc_lo
	s_cbranch_execz .LBB51_146
.LBB51_213:
	ds_read_b32 v33, v32 offset:224
	s_waitcnt lgkmcnt(0)
	v_add_f32_e32 v14, v14, v33
	s_or_b32 exec_lo, exec_lo, s0
	s_and_saveexec_b32 s0, vcc_lo
	s_cbranch_execz .LBB51_147
.LBB51_214:
	ds_read_b32 v33, v32 offset:240
	s_waitcnt lgkmcnt(0)
	v_add_f32_e32 v15, v15, v33
	s_or_b32 exec_lo, exec_lo, s0
	s_and_saveexec_b32 s0, vcc_lo
	s_cbranch_execz .LBB51_148
.LBB51_215:
	ds_read_b32 v33, v32 offset:256
	s_waitcnt lgkmcnt(0)
	v_add_f32_e32 v16, v16, v33
	s_or_b32 exec_lo, exec_lo, s0
	s_and_saveexec_b32 s0, vcc_lo
	s_cbranch_execz .LBB51_149
.LBB51_216:
	ds_read_b32 v33, v32 offset:272
	s_waitcnt lgkmcnt(0)
	v_add_f32_e32 v17, v17, v33
	s_or_b32 exec_lo, exec_lo, s0
	s_and_saveexec_b32 s0, vcc_lo
	s_cbranch_execz .LBB51_150
.LBB51_217:
	ds_read_b32 v33, v32 offset:288
	s_waitcnt lgkmcnt(0)
	v_add_f32_e32 v18, v18, v33
	s_or_b32 exec_lo, exec_lo, s0
	s_and_saveexec_b32 s0, vcc_lo
	s_cbranch_execz .LBB51_151
.LBB51_218:
	ds_read_b32 v33, v32 offset:304
	s_waitcnt lgkmcnt(0)
	v_add_f32_e32 v19, v19, v33
	s_or_b32 exec_lo, exec_lo, s0
	s_and_saveexec_b32 s0, vcc_lo
	s_cbranch_execz .LBB51_152
.LBB51_219:
	ds_read_b32 v33, v32 offset:320
	s_waitcnt lgkmcnt(0)
	v_add_f32_e32 v20, v20, v33
	s_or_b32 exec_lo, exec_lo, s0
	s_and_saveexec_b32 s0, vcc_lo
	s_cbranch_execz .LBB51_153
.LBB51_220:
	ds_read_b32 v33, v32 offset:336
	s_waitcnt lgkmcnt(0)
	v_add_f32_e32 v21, v21, v33
	s_or_b32 exec_lo, exec_lo, s0
	s_and_saveexec_b32 s0, vcc_lo
	s_cbranch_execz .LBB51_154
.LBB51_221:
	ds_read_b32 v33, v32 offset:352
	s_waitcnt lgkmcnt(0)
	v_add_f32_e32 v22, v22, v33
	s_or_b32 exec_lo, exec_lo, s0
	s_and_saveexec_b32 s0, vcc_lo
	s_cbranch_execz .LBB51_155
.LBB51_222:
	ds_read_b32 v33, v32 offset:368
	s_waitcnt lgkmcnt(0)
	v_add_f32_e32 v23, v23, v33
	s_or_b32 exec_lo, exec_lo, s0
	s_and_saveexec_b32 s0, vcc_lo
	s_cbranch_execz .LBB51_156
.LBB51_223:
	ds_read_b32 v33, v32 offset:384
	s_waitcnt lgkmcnt(0)
	v_add_f32_e32 v24, v24, v33
	s_or_b32 exec_lo, exec_lo, s0
	s_and_saveexec_b32 s0, vcc_lo
	s_cbranch_execz .LBB51_157
.LBB51_224:
	ds_read_b32 v33, v32 offset:400
	s_waitcnt lgkmcnt(0)
	v_add_f32_e32 v25, v25, v33
	s_or_b32 exec_lo, exec_lo, s0
	s_and_saveexec_b32 s0, vcc_lo
	s_cbranch_execz .LBB51_158
.LBB51_225:
	ds_read_b32 v33, v32 offset:416
	s_waitcnt lgkmcnt(0)
	v_add_f32_e32 v26, v26, v33
	s_or_b32 exec_lo, exec_lo, s0
	s_and_saveexec_b32 s0, vcc_lo
	s_cbranch_execz .LBB51_159
.LBB51_226:
	ds_read_b32 v33, v32 offset:432
	s_waitcnt lgkmcnt(0)
	v_add_f32_e32 v27, v27, v33
	s_or_b32 exec_lo, exec_lo, s0
	s_and_saveexec_b32 s0, vcc_lo
	s_cbranch_execz .LBB51_160
.LBB51_227:
	ds_read_b32 v33, v32 offset:448
	s_waitcnt lgkmcnt(0)
	v_add_f32_e32 v28, v28, v33
	s_or_b32 exec_lo, exec_lo, s0
	s_and_saveexec_b32 s0, vcc_lo
	s_cbranch_execz .LBB51_161
.LBB51_228:
	ds_read_b32 v33, v32 offset:464
	s_waitcnt lgkmcnt(0)
	v_add_f32_e32 v29, v29, v33
	s_or_b32 exec_lo, exec_lo, s0
	s_and_saveexec_b32 s0, vcc_lo
	s_cbranch_execz .LBB51_162
.LBB51_229:
	ds_read_b32 v33, v32 offset:480
	s_waitcnt lgkmcnt(0)
	v_add_f32_e32 v30, v30, v33
	s_or_b32 exec_lo, exec_lo, s0
	s_and_saveexec_b32 s0, vcc_lo
	s_cbranch_execnz .LBB51_163
	s_branch .LBB51_164
	.section	.rodata,"a",@progbits
	.p2align	6, 0x0
	.amdhsa_kernel _ZN4vllm25paged_attention_v1_kernelIffLi128ELi32ELi128ELNS_18Fp8KVCacheDataTypeE0ELb0EEEvPT_PKS2_PKT0_S8_ifPKiSA_iPKfiiiSC_SC_iiiii
		.amdhsa_group_segment_fixed_size 544
		.amdhsa_private_segment_fixed_size 284
		.amdhsa_kernarg_size 384
		.amdhsa_user_sgpr_count 6
		.amdhsa_user_sgpr_private_segment_buffer 1
		.amdhsa_user_sgpr_dispatch_ptr 0
		.amdhsa_user_sgpr_queue_ptr 0
		.amdhsa_user_sgpr_kernarg_segment_ptr 1
		.amdhsa_user_sgpr_dispatch_id 0
		.amdhsa_user_sgpr_flat_scratch_init 0
		.amdhsa_user_sgpr_private_segment_size 0
		.amdhsa_wavefront_size32 1
		.amdhsa_uses_dynamic_stack 0
		.amdhsa_system_sgpr_private_segment_wavefront_offset 1
		.amdhsa_system_sgpr_workgroup_id_x 1
		.amdhsa_system_sgpr_workgroup_id_y 1
		.amdhsa_system_sgpr_workgroup_id_z 1
		.amdhsa_system_sgpr_workgroup_info 0
		.amdhsa_system_vgpr_workitem_id 0
		.amdhsa_next_free_vgpr 128
		.amdhsa_next_free_sgpr 40
		.amdhsa_reserve_vcc 1
		.amdhsa_reserve_flat_scratch 0
		.amdhsa_float_round_mode_32 0
		.amdhsa_float_round_mode_16_64 0
		.amdhsa_float_denorm_mode_32 3
		.amdhsa_float_denorm_mode_16_64 3
		.amdhsa_dx10_clamp 1
		.amdhsa_ieee_mode 1
		.amdhsa_fp16_overflow 0
		.amdhsa_workgroup_processor_mode 1
		.amdhsa_memory_ordered 1
		.amdhsa_forward_progress 1
		.amdhsa_shared_vgpr_count 0
		.amdhsa_exception_fp_ieee_invalid_op 0
		.amdhsa_exception_fp_denorm_src 0
		.amdhsa_exception_fp_ieee_div_zero 0
		.amdhsa_exception_fp_ieee_overflow 0
		.amdhsa_exception_fp_ieee_underflow 0
		.amdhsa_exception_fp_ieee_inexact 0
		.amdhsa_exception_int_div_zero 0
	.end_amdhsa_kernel
	.section	.text._ZN4vllm25paged_attention_v1_kernelIffLi128ELi32ELi128ELNS_18Fp8KVCacheDataTypeE0ELb0EEEvPT_PKS2_PKT0_S8_ifPKiSA_iPKfiiiSC_SC_iiiii,"axG",@progbits,_ZN4vllm25paged_attention_v1_kernelIffLi128ELi32ELi128ELNS_18Fp8KVCacheDataTypeE0ELb0EEEvPT_PKS2_PKT0_S8_ifPKiSA_iPKfiiiSC_SC_iiiii,comdat
.Lfunc_end51:
	.size	_ZN4vllm25paged_attention_v1_kernelIffLi128ELi32ELi128ELNS_18Fp8KVCacheDataTypeE0ELb0EEEvPT_PKS2_PKT0_S8_ifPKiSA_iPKfiiiSC_SC_iiiii, .Lfunc_end51-_ZN4vllm25paged_attention_v1_kernelIffLi128ELi32ELi128ELNS_18Fp8KVCacheDataTypeE0ELb0EEEvPT_PKS2_PKT0_S8_ifPKiSA_iPKfiiiSC_SC_iiiii
                                        ; -- End function
	.set _ZN4vllm25paged_attention_v1_kernelIffLi128ELi32ELi128ELNS_18Fp8KVCacheDataTypeE0ELb0EEEvPT_PKS2_PKT0_S8_ifPKiSA_iPKfiiiSC_SC_iiiii.num_vgpr, 128
	.set _ZN4vllm25paged_attention_v1_kernelIffLi128ELi32ELi128ELNS_18Fp8KVCacheDataTypeE0ELb0EEEvPT_PKS2_PKT0_S8_ifPKiSA_iPKfiiiSC_SC_iiiii.num_agpr, 0
	.set _ZN4vllm25paged_attention_v1_kernelIffLi128ELi32ELi128ELNS_18Fp8KVCacheDataTypeE0ELb0EEEvPT_PKS2_PKT0_S8_ifPKiSA_iPKfiiiSC_SC_iiiii.numbered_sgpr, 40
	.set _ZN4vllm25paged_attention_v1_kernelIffLi128ELi32ELi128ELNS_18Fp8KVCacheDataTypeE0ELb0EEEvPT_PKS2_PKT0_S8_ifPKiSA_iPKfiiiSC_SC_iiiii.num_named_barrier, 0
	.set _ZN4vllm25paged_attention_v1_kernelIffLi128ELi32ELi128ELNS_18Fp8KVCacheDataTypeE0ELb0EEEvPT_PKS2_PKT0_S8_ifPKiSA_iPKfiiiSC_SC_iiiii.private_seg_size, 284
	.set _ZN4vllm25paged_attention_v1_kernelIffLi128ELi32ELi128ELNS_18Fp8KVCacheDataTypeE0ELb0EEEvPT_PKS2_PKT0_S8_ifPKiSA_iPKfiiiSC_SC_iiiii.uses_vcc, 1
	.set _ZN4vllm25paged_attention_v1_kernelIffLi128ELi32ELi128ELNS_18Fp8KVCacheDataTypeE0ELb0EEEvPT_PKS2_PKT0_S8_ifPKiSA_iPKfiiiSC_SC_iiiii.uses_flat_scratch, 0
	.set _ZN4vllm25paged_attention_v1_kernelIffLi128ELi32ELi128ELNS_18Fp8KVCacheDataTypeE0ELb0EEEvPT_PKS2_PKT0_S8_ifPKiSA_iPKfiiiSC_SC_iiiii.has_dyn_sized_stack, 0
	.set _ZN4vllm25paged_attention_v1_kernelIffLi128ELi32ELi128ELNS_18Fp8KVCacheDataTypeE0ELb0EEEvPT_PKS2_PKT0_S8_ifPKiSA_iPKfiiiSC_SC_iiiii.has_recursion, 0
	.set _ZN4vllm25paged_attention_v1_kernelIffLi128ELi32ELi128ELNS_18Fp8KVCacheDataTypeE0ELb0EEEvPT_PKS2_PKT0_S8_ifPKiSA_iPKfiiiSC_SC_iiiii.has_indirect_call, 0
	.section	.AMDGPU.csdata,"",@progbits
; Kernel info:
; codeLenInByte = 15276
; TotalNumSgprs: 42
; NumVgprs: 128
; ScratchSize: 284
; MemoryBound: 0
; FloatMode: 240
; IeeeMode: 1
; LDSByteSize: 544 bytes/workgroup (compile time only)
; SGPRBlocks: 0
; VGPRBlocks: 15
; NumSGPRsForWavesPerEU: 42
; NumVGPRsForWavesPerEU: 128
; Occupancy: 8
; WaveLimiterHint : 1
; COMPUTE_PGM_RSRC2:SCRATCH_EN: 1
; COMPUTE_PGM_RSRC2:USER_SGPR: 6
; COMPUTE_PGM_RSRC2:TRAP_HANDLER: 0
; COMPUTE_PGM_RSRC2:TGID_X_EN: 1
; COMPUTE_PGM_RSRC2:TGID_Y_EN: 1
; COMPUTE_PGM_RSRC2:TGID_Z_EN: 1
; COMPUTE_PGM_RSRC2:TIDIG_COMP_CNT: 0
	.section	.text._ZN4vllm25paged_attention_v1_kernelIffLi192ELi32ELi128ELNS_18Fp8KVCacheDataTypeE0ELb0EEEvPT_PKS2_PKT0_S8_ifPKiSA_iPKfiiiSC_SC_iiiii,"axG",@progbits,_ZN4vllm25paged_attention_v1_kernelIffLi192ELi32ELi128ELNS_18Fp8KVCacheDataTypeE0ELb0EEEvPT_PKS2_PKT0_S8_ifPKiSA_iPKfiiiSC_SC_iiiii,comdat
	.protected	_ZN4vllm25paged_attention_v1_kernelIffLi192ELi32ELi128ELNS_18Fp8KVCacheDataTypeE0ELb0EEEvPT_PKS2_PKT0_S8_ifPKiSA_iPKfiiiSC_SC_iiiii ; -- Begin function _ZN4vllm25paged_attention_v1_kernelIffLi192ELi32ELi128ELNS_18Fp8KVCacheDataTypeE0ELb0EEEvPT_PKS2_PKT0_S8_ifPKiSA_iPKfiiiSC_SC_iiiii
	.globl	_ZN4vllm25paged_attention_v1_kernelIffLi192ELi32ELi128ELNS_18Fp8KVCacheDataTypeE0ELb0EEEvPT_PKS2_PKT0_S8_ifPKiSA_iPKfiiiSC_SC_iiiii
	.p2align	8
	.type	_ZN4vllm25paged_attention_v1_kernelIffLi192ELi32ELi128ELNS_18Fp8KVCacheDataTypeE0ELb0EEEvPT_PKS2_PKT0_S8_ifPKiSA_iPKfiiiSC_SC_iiiii,@function
_ZN4vllm25paged_attention_v1_kernelIffLi192ELi32ELi128ELNS_18Fp8KVCacheDataTypeE0ELb0EEEvPT_PKS2_PKT0_S8_ifPKiSA_iPKfiiiSC_SC_iiiii: ; @_ZN4vllm25paged_attention_v1_kernelIffLi192ELi32ELi128ELNS_18Fp8KVCacheDataTypeE0ELb0EEEvPT_PKS2_PKT0_S8_ifPKiSA_iPKfiiiSC_SC_iiiii
; %bb.0:
	s_mov_b64 s[38:39], s[2:3]
	s_mov_b64 s[36:37], s[0:1]
	s_mov_b32 s10, s7
	s_add_u32 s36, s36, s9
	s_clause 0x2
	s_load_dword s9, s[4:5], 0x80
	s_load_dwordx2 s[0:1], s[4:5], 0x30
	s_load_dwordx2 s[2:3], s[4:5], 0x20
	s_addc_u32 s37, s37, 0
	s_ashr_i32 s11, s7, 31
	v_mov_b32_e32 v71, v0
	s_lshl_b64 s[12:13], s[10:11], 2
	s_mov_b32 s24, 0
	s_waitcnt lgkmcnt(0)
	s_add_u32 s0, s0, s12
	s_addc_u32 s1, s1, s13
	s_abs_i32 s7, s2
	s_abs_i32 s13, s9
	v_cvt_f32_u32_e32 v0, s7
	s_sub_i32 s12, 0, s7
	s_xor_b32 s2, s9, s2
	s_ashr_i32 s2, s2, 31
	v_rcp_iflag_f32_e32 v0, v0
	v_mul_f32_e32 v0, 0x4f7ffffe, v0
	v_cvt_u32_f32_e32 v0, v0
	v_readfirstlane_b32 s11, v0
	s_mul_i32 s12, s12, s11
	s_mul_hi_u32 s12, s11, s12
	s_add_i32 s11, s11, s12
	s_mul_hi_u32 s11, s13, s11
	s_mul_i32 s12, s11, s7
	s_sub_i32 s12, s13, s12
	s_add_i32 s13, s11, 1
	s_sub_i32 s14, s12, s7
	s_cmp_ge_u32 s12, s7
	s_cselect_b32 s11, s13, s11
	s_cselect_b32 s12, s14, s12
	s_add_i32 s13, s11, 1
	s_cmp_ge_u32 s12, s7
	s_cselect_b32 s7, s13, s11
	s_load_dwordx2 s[12:13], s[4:5], 0x40
	s_xor_b32 s7, s7, s2
	s_abs_i32 s16, s6
	s_sub_i32 s17, s7, s2
	s_abs_i32 s2, s17
	v_cvt_f32_u32_e32 v0, s2
	s_sub_i32 s11, 0, s2
	v_rcp_iflag_f32_e32 v0, v0
	v_mul_f32_e32 v0, 0x4f7ffffe, v0
	v_cvt_u32_f32_e32 v0, v0
	v_readfirstlane_b32 s7, v0
	s_mul_i32 s11, s11, s7
	s_mul_hi_u32 s11, s7, s11
	s_add_i32 s7, s7, s11
	s_waitcnt lgkmcnt(0)
	s_cmp_eq_u64 s[12:13], 0
	s_mul_hi_u32 s20, s16, s7
	s_cbranch_scc1 .LBB52_2
; %bb.1:
	s_ashr_i32 s7, s6, 31
	s_lshl_b64 s[14:15], s[6:7], 2
	s_add_u32 s12, s12, s14
	s_addc_u32 s13, s13, s15
	s_load_dword s24, s[12:13], 0x0
.LBB52_2:
	s_load_dword s11, s[0:1], 0x0
	s_clause 0x1
	s_load_dwordx2 s[18:19], s[4:5], 0x28
	s_load_dwordx4 s[12:15], s[4:5], 0x48
	s_ashr_i32 s0, s6, 31
	s_ashr_i32 s1, s17, 31
	s_mulk_i32 s6, 0xc0
	s_waitcnt lgkmcnt(0)
	s_mov_b32 s15, exec_lo
	v_cmpx_gt_u32_e32 48, v71
	s_cbranch_execz .LBB52_4
; %bb.3:
	s_load_dwordx2 s[22:23], s[4:5], 0x8
	s_mul_i32 s26, s12, s10
	v_lshlrev_b32_e32 v4, 4, v71
	s_ashr_i32 s27, s26, 31
	s_lshl_b64 s[26:27], s[26:27], 2
	s_waitcnt lgkmcnt(0)
	s_add_u32 s12, s22, s26
	s_addc_u32 s17, s23, s27
	s_ashr_i32 s7, s6, 31
	s_lshl_b64 s[22:23], s[6:7], 2
	s_add_u32 s22, s12, s22
	s_addc_u32 s23, s17, s23
	global_load_dwordx4 v[0:3], v4, s[22:23]
	s_waitcnt vmcnt(0)
	ds_write_b128 v4, v[0:3]
.LBB52_4:
	s_or_b32 exec_lo, exec_lo, s15
	s_add_i32 s7, s11, 31
	s_xor_b32 s0, s0, s1
	s_ashr_i32 s12, s7, 31
	s_load_dword s15, s[4:5], 0x38
	s_lshr_b32 s1, s12, 27
	s_mul_i32 s12, s20, s2
	s_add_i32 s7, s7, s1
	s_sub_i32 s1, s16, s12
	s_ashr_i32 s12, s7, 5
	s_clause 0x2
	s_load_dwordx2 s[16:17], s[4:5], 0x0
	s_load_dwordx2 s[22:23], s[4:5], 0x18
	s_load_dword s7, s[4:5], 0x88
	s_add_i32 s21, s20, 1
	s_sub_i32 s25, s1, s2
	s_cmp_ge_u32 s1, s2
	v_lshrrev_b32_e32 v127, 5, v71
	s_cselect_b32 s20, s21, s20
	s_cselect_b32 s1, s25, s1
	s_add_i32 s21, s20, 1
	s_cmp_ge_u32 s1, s2
	v_and_b32_e32 v0, 31, v71
	s_cselect_b32 s1, s21, s20
	v_mov_b32_e32 v72, 0xff7fffff
	s_xor_b32 s1, s1, s0
	v_lshrrev_b32_e32 v70, 3, v71
	s_sub_i32 s1, s1, s0
	v_cmp_gt_i32_e64 s0, s12, v127
	v_lshlrev_b32_e32 v73, 2, v0
	s_waitcnt lgkmcnt(0)
	s_mul_i32 s20, s15, s10
	s_mul_i32 s14, s1, s14
	s_ashr_i32 s21, s20, 31
	buffer_store_dword v0, off, s[36:39], 0 offset:584 ; 4-byte Folded Spill
	s_barrier
	s_waitcnt_vscnt null, 0x0
	buffer_gl0_inv
	s_mov_b32 s25, exec_lo
	s_and_b32 s1, s25, s0
	buffer_store_dword v71, off, s[36:39], 0 offset:596 ; 4-byte Folded Spill
	buffer_store_dword v127, off, s[36:39], 0 offset:600 ; 4-byte Folded Spill
	s_mov_b32 exec_lo, s1
	s_cbranch_execz .LBB52_8
; %bb.5:
	buffer_load_dword v69, off, s[36:39], 0 offset:584 ; 4-byte Folded Reload
	s_load_dwordx2 s[26:27], s[4:5], 0x10
	s_ashr_i32 s15, s14, 31
	v_mov_b32_e32 v65, 0
	s_lshl_b64 s[28:29], s[14:15], 2
	v_cmp_neq_f32_e64 vcc_lo, s24, 0
	v_mov_b32_e32 v72, 0xff7fffff
	s_mov_b32 s4, s13
	s_mov_b32 s5, 0
	s_waitcnt lgkmcnt(0)
	s_add_u32 s1, s26, s28
	s_addc_u32 s2, s27, s29
	s_lshl_b64 s[26:27], s[20:21], 2
	s_sub_i32 s15, 1, s11
	s_waitcnt vmcnt(0)
	v_lshlrev_b32_e32 v0, 4, v69
	v_add_co_u32 v0, s1, s1, v0
	buffer_store_dword v0, off, s[36:39], 0 ; 4-byte Folded Spill
	v_add_co_ci_u32_e64 v0, null, s2, 0, s1
	s_add_u32 s1, s18, s26
	s_addc_u32 s2, s19, s27
	buffer_store_dword v0, off, s[36:39], 0 offset:16 ; 4-byte Folded Spill
	ds_read_b128 v[0:3], v65
	s_waitcnt lgkmcnt(0)
	buffer_store_dword v0, off, s[36:39], 0 offset:32 ; 4-byte Folded Spill
	buffer_store_dword v1, off, s[36:39], 0 offset:36 ; 4-byte Folded Spill
	buffer_store_dword v2, off, s[36:39], 0 offset:40 ; 4-byte Folded Spill
	buffer_store_dword v3, off, s[36:39], 0 offset:44 ; 4-byte Folded Spill
	ds_read_b128 v[0:3], v65 offset:16
	s_waitcnt lgkmcnt(0)
	buffer_store_dword v0, off, s[36:39], 0 offset:48 ; 4-byte Folded Spill
	buffer_store_dword v1, off, s[36:39], 0 offset:52 ; 4-byte Folded Spill
	buffer_store_dword v2, off, s[36:39], 0 offset:56 ; 4-byte Folded Spill
	buffer_store_dword v3, off, s[36:39], 0 offset:60 ; 4-byte Folded Spill
	ds_read_b128 v[0:3], v65 offset:32
	;; [unrolled: 6-line block ×22, first 2 shown]
	ds_read_b128 v[93:96], v65 offset:368
	ds_read_b128 v[97:100], v65 offset:384
	;; [unrolled: 1-line block ×25, first 2 shown]
	v_lshl_or_b32 v0, v127, 5, v69
	v_lshl_or_b32 v69, v127, 7, v73
	buffer_store_dword v73, off, s[36:39], 0 offset:388 ; 4-byte Folded Spill
	buffer_store_dword v70, off, s[36:39], 0 offset:384 ; 4-byte Folded Spill
	v_add_nc_u32_e32 v71, 0x320, v69
	v_and_b32_e32 v69, 0x7c, v70
	v_add_co_u32 v125, s1, s1, v69
	v_add_co_ci_u32_e64 v126, null, s2, 0, s1
.LBB52_6:                               ; =>This Inner Loop Header: Depth=1
	global_load_dword v69, v[125:126], off
	buffer_load_dword v73, off, s[36:39], 0 ; 4-byte Folded Reload
	v_add_nc_u32_e32 v127, 4, v127
	v_cmp_le_i32_e64 s2, s12, v127
	s_or_b32 s5, s2, s5
	s_waitcnt vmcnt(1)
	v_mad_i64_i32 v[69:70], null, v69, s4, 0
	v_lshlrev_b64 v[69:70], 2, v[69:70]
	s_waitcnt vmcnt(0)
	v_add_co_u32 v69, s1, v73, v69
	buffer_load_dword v73, off, s[36:39], 0 offset:16 ; 4-byte Folded Reload
	s_waitcnt vmcnt(0)
	v_add_co_ci_u32_e64 v70, null, v73, v70, s1
	global_load_dwordx4 v[73:76], v[69:70], off offset:512
	s_clause 0x3
	buffer_load_dword v77, off, s[36:39], 0 offset:48
	buffer_load_dword v78, off, s[36:39], 0 offset:52
	buffer_load_dword v79, off, s[36:39], 0 offset:56
	buffer_load_dword v80, off, s[36:39], 0 offset:60
	s_waitcnt vmcnt(3)
	v_mul_f32_e32 v73, v77, v73
	s_waitcnt vmcnt(2)
	v_mul_f32_e32 v74, v78, v74
	;; [unrolled: 2-line block ×4, first 2 shown]
	global_load_dwordx4 v[77:80], v[69:70], off
	s_clause 0x3
	buffer_load_dword v81, off, s[36:39], 0 offset:32
	buffer_load_dword v82, off, s[36:39], 0 offset:36
	;; [unrolled: 1-line block ×4, first 2 shown]
	s_waitcnt vmcnt(3)
	v_fmac_f32_e32 v73, v81, v77
	s_waitcnt vmcnt(2)
	v_fmac_f32_e32 v74, v82, v78
	;; [unrolled: 2-line block ×4, first 2 shown]
	global_load_dwordx4 v[77:80], v[69:70], off offset:1024
	s_clause 0x3
	buffer_load_dword v81, off, s[36:39], 0 offset:64
	buffer_load_dword v82, off, s[36:39], 0 offset:68
	buffer_load_dword v83, off, s[36:39], 0 offset:72
	buffer_load_dword v84, off, s[36:39], 0 offset:76
	s_waitcnt vmcnt(3)
	v_fmac_f32_e32 v73, v81, v77
	s_waitcnt vmcnt(2)
	v_fmac_f32_e32 v74, v82, v78
	;; [unrolled: 2-line block ×4, first 2 shown]
	global_load_dwordx4 v[77:80], v[69:70], off offset:1536
	s_clause 0x3
	buffer_load_dword v81, off, s[36:39], 0 offset:80
	buffer_load_dword v82, off, s[36:39], 0 offset:84
	buffer_load_dword v83, off, s[36:39], 0 offset:88
	buffer_load_dword v84, off, s[36:39], 0 offset:92
	s_waitcnt vmcnt(3)
	v_fmac_f32_e32 v73, v81, v77
	v_add_co_u32 v81, s1, v69, 0x1000
	s_waitcnt vmcnt(2)
	v_fmac_f32_e32 v74, v82, v78
	v_add_co_ci_u32_e64 v82, null, 0, v70, s1
	s_waitcnt vmcnt(1)
	v_fmac_f32_e32 v75, v83, v79
	s_waitcnt vmcnt(0)
	v_fmac_f32_e32 v76, v84, v80
	global_load_dwordx4 v[77:80], v[81:82], off offset:-2048
	s_clause 0x3
	buffer_load_dword v83, off, s[36:39], 0 offset:96
	buffer_load_dword v84, off, s[36:39], 0 offset:100
	buffer_load_dword v85, off, s[36:39], 0 offset:104
	buffer_load_dword v86, off, s[36:39], 0 offset:108
	s_waitcnt vmcnt(3)
	v_fmac_f32_e32 v73, v83, v77
	v_add_co_u32 v83, s1, 0x800, v69
	s_waitcnt vmcnt(2)
	v_fmac_f32_e32 v74, v84, v78
	v_add_co_ci_u32_e64 v84, null, 0, v70, s1
	s_waitcnt vmcnt(1)
	v_fmac_f32_e32 v75, v85, v79
	s_waitcnt vmcnt(0)
	v_fmac_f32_e32 v76, v86, v80
	global_load_dwordx4 v[77:80], v[83:84], off offset:512
	s_clause 0x3
	buffer_load_dword v85, off, s[36:39], 0 offset:112
	buffer_load_dword v86, off, s[36:39], 0 offset:116
	buffer_load_dword v87, off, s[36:39], 0 offset:120
	buffer_load_dword v88, off, s[36:39], 0 offset:124
	s_waitcnt vmcnt(3)
	v_fmac_f32_e32 v73, v85, v77
	s_waitcnt vmcnt(2)
	v_fmac_f32_e32 v74, v86, v78
	s_waitcnt vmcnt(1)
	v_fmac_f32_e32 v75, v87, v79
	s_waitcnt vmcnt(0)
	v_fmac_f32_e32 v76, v88, v80
	global_load_dwordx4 v[77:80], v[83:84], off offset:1024
	s_clause 0x3
	buffer_load_dword v85, off, s[36:39], 0 offset:128
	buffer_load_dword v86, off, s[36:39], 0 offset:132
	buffer_load_dword v87, off, s[36:39], 0 offset:136
	buffer_load_dword v88, off, s[36:39], 0 offset:140
	s_waitcnt vmcnt(3)
	v_fmac_f32_e32 v73, v85, v77
	s_waitcnt vmcnt(2)
	v_fmac_f32_e32 v74, v86, v78
	;; [unrolled: 14-line block ×3, first 2 shown]
	s_waitcnt vmcnt(1)
	v_fmac_f32_e32 v75, v85, v79
	s_waitcnt vmcnt(0)
	v_fmac_f32_e32 v76, v86, v80
	global_load_dwordx4 v[77:80], v[81:82], off
	s_clause 0x3
	buffer_load_dword v81, off, s[36:39], 0 offset:160
	buffer_load_dword v82, off, s[36:39], 0 offset:164
	;; [unrolled: 1-line block ×4, first 2 shown]
	s_waitcnt vmcnt(3)
	v_fmac_f32_e32 v73, v81, v77
	v_add_co_u32 v81, s1, 0x1000, v69
	s_waitcnt vmcnt(2)
	v_fmac_f32_e32 v74, v82, v78
	v_add_co_ci_u32_e64 v82, null, 0, v70, s1
	s_waitcnt vmcnt(1)
	v_fmac_f32_e32 v75, v83, v79
	s_waitcnt vmcnt(0)
	v_fmac_f32_e32 v76, v84, v80
	global_load_dwordx4 v[77:80], v[81:82], off offset:512
	s_clause 0x3
	buffer_load_dword v83, off, s[36:39], 0 offset:176
	buffer_load_dword v84, off, s[36:39], 0 offset:180
	;; [unrolled: 1-line block ×4, first 2 shown]
	s_waitcnt vmcnt(3)
	v_fmac_f32_e32 v73, v83, v77
	s_waitcnt vmcnt(2)
	v_fmac_f32_e32 v74, v84, v78
	;; [unrolled: 2-line block ×4, first 2 shown]
	global_load_dwordx4 v[77:80], v[81:82], off offset:1024
	s_clause 0x3
	buffer_load_dword v83, off, s[36:39], 0 offset:192
	buffer_load_dword v84, off, s[36:39], 0 offset:196
	;; [unrolled: 1-line block ×4, first 2 shown]
	s_waitcnt vmcnt(3)
	v_fmac_f32_e32 v73, v83, v77
	s_waitcnt vmcnt(2)
	v_fmac_f32_e32 v74, v84, v78
	;; [unrolled: 2-line block ×4, first 2 shown]
	global_load_dwordx4 v[77:80], v[81:82], off offset:1536
	s_clause 0x3
	buffer_load_dword v81, off, s[36:39], 0 offset:208
	buffer_load_dword v82, off, s[36:39], 0 offset:212
	;; [unrolled: 1-line block ×4, first 2 shown]
	s_waitcnt vmcnt(3)
	v_fmac_f32_e32 v73, v81, v77
	v_add_co_u32 v81, s1, v69, 0x2000
	s_waitcnt vmcnt(2)
	v_fmac_f32_e32 v74, v82, v78
	v_add_co_ci_u32_e64 v82, null, 0, v70, s1
	s_waitcnt vmcnt(1)
	v_fmac_f32_e32 v75, v83, v79
	s_waitcnt vmcnt(0)
	v_fmac_f32_e32 v76, v84, v80
	global_load_dwordx4 v[77:80], v[81:82], off offset:-2048
	s_clause 0x3
	buffer_load_dword v83, off, s[36:39], 0 offset:224
	buffer_load_dword v84, off, s[36:39], 0 offset:228
	;; [unrolled: 1-line block ×4, first 2 shown]
	s_waitcnt vmcnt(3)
	v_fmac_f32_e32 v73, v83, v77
	v_add_co_u32 v83, s1, 0x1800, v69
	s_waitcnt vmcnt(2)
	v_fmac_f32_e32 v74, v84, v78
	v_add_co_ci_u32_e64 v84, null, 0, v70, s1
	s_waitcnt vmcnt(1)
	v_fmac_f32_e32 v75, v85, v79
	s_waitcnt vmcnt(0)
	v_fmac_f32_e32 v76, v86, v80
	global_load_dwordx4 v[77:80], v[83:84], off offset:512
	s_clause 0x3
	buffer_load_dword v85, off, s[36:39], 0 offset:240
	buffer_load_dword v86, off, s[36:39], 0 offset:244
	buffer_load_dword v87, off, s[36:39], 0 offset:248
	buffer_load_dword v88, off, s[36:39], 0 offset:252
	s_waitcnt vmcnt(3)
	v_fmac_f32_e32 v73, v85, v77
	s_waitcnt vmcnt(2)
	v_fmac_f32_e32 v74, v86, v78
	s_waitcnt vmcnt(1)
	v_fmac_f32_e32 v75, v87, v79
	s_waitcnt vmcnt(0)
	v_fmac_f32_e32 v76, v88, v80
	global_load_dwordx4 v[77:80], v[83:84], off offset:1024
	s_clause 0x3
	buffer_load_dword v85, off, s[36:39], 0 offset:256
	buffer_load_dword v86, off, s[36:39], 0 offset:260
	buffer_load_dword v87, off, s[36:39], 0 offset:264
	buffer_load_dword v88, off, s[36:39], 0 offset:268
	s_waitcnt vmcnt(3)
	v_fmac_f32_e32 v73, v85, v77
	s_waitcnt vmcnt(2)
	v_fmac_f32_e32 v74, v86, v78
	;; [unrolled: 14-line block ×3, first 2 shown]
	s_waitcnt vmcnt(1)
	v_fmac_f32_e32 v75, v85, v79
	s_waitcnt vmcnt(0)
	v_fmac_f32_e32 v76, v86, v80
	global_load_dwordx4 v[77:80], v[81:82], off
	s_clause 0x3
	buffer_load_dword v81, off, s[36:39], 0 offset:288
	buffer_load_dword v82, off, s[36:39], 0 offset:292
	;; [unrolled: 1-line block ×4, first 2 shown]
	s_waitcnt vmcnt(3)
	v_fmac_f32_e32 v73, v81, v77
	v_add_co_u32 v81, s1, 0x2000, v69
	s_waitcnt vmcnt(2)
	v_fmac_f32_e32 v74, v82, v78
	v_add_co_ci_u32_e64 v82, null, 0, v70, s1
	s_waitcnt vmcnt(1)
	v_fmac_f32_e32 v75, v83, v79
	s_waitcnt vmcnt(0)
	v_fmac_f32_e32 v76, v84, v80
	global_load_dwordx4 v[77:80], v[81:82], off offset:512
	s_clause 0x3
	buffer_load_dword v83, off, s[36:39], 0 offset:304
	buffer_load_dword v84, off, s[36:39], 0 offset:308
	;; [unrolled: 1-line block ×4, first 2 shown]
	s_waitcnt vmcnt(3)
	v_fmac_f32_e32 v73, v83, v77
	s_waitcnt vmcnt(2)
	v_fmac_f32_e32 v74, v84, v78
	;; [unrolled: 2-line block ×4, first 2 shown]
	global_load_dwordx4 v[77:80], v[81:82], off offset:1024
	s_clause 0x3
	buffer_load_dword v83, off, s[36:39], 0 offset:320
	buffer_load_dword v84, off, s[36:39], 0 offset:324
	;; [unrolled: 1-line block ×4, first 2 shown]
	s_waitcnt vmcnt(3)
	v_fmac_f32_e32 v73, v83, v77
	s_waitcnt vmcnt(2)
	v_fmac_f32_e32 v74, v84, v78
	;; [unrolled: 2-line block ×4, first 2 shown]
	global_load_dwordx4 v[77:80], v[81:82], off offset:1536
	s_clause 0x3
	buffer_load_dword v81, off, s[36:39], 0 offset:336
	buffer_load_dword v82, off, s[36:39], 0 offset:340
	;; [unrolled: 1-line block ×4, first 2 shown]
	s_waitcnt vmcnt(3)
	v_fmac_f32_e32 v73, v81, v77
	v_add_co_u32 v81, s1, v69, 0x3000
	s_waitcnt vmcnt(2)
	v_fmac_f32_e32 v74, v82, v78
	v_add_co_ci_u32_e64 v82, null, 0, v70, s1
	s_waitcnt vmcnt(1)
	v_fmac_f32_e32 v75, v83, v79
	s_waitcnt vmcnt(0)
	v_fmac_f32_e32 v76, v84, v80
	global_load_dwordx4 v[77:80], v[81:82], off offset:-2048
	s_clause 0x3
	buffer_load_dword v83, off, s[36:39], 0 offset:352
	buffer_load_dword v84, off, s[36:39], 0 offset:356
	;; [unrolled: 1-line block ×4, first 2 shown]
	s_waitcnt vmcnt(3)
	v_fmac_f32_e32 v73, v83, v77
	v_add_co_u32 v83, s1, 0x2800, v69
	s_waitcnt vmcnt(2)
	v_fmac_f32_e32 v74, v84, v78
	v_add_co_ci_u32_e64 v84, null, 0, v70, s1
	s_waitcnt vmcnt(1)
	v_fmac_f32_e32 v75, v85, v79
	s_waitcnt vmcnt(0)
	v_fmac_f32_e32 v76, v86, v80
	global_load_dwordx4 v[77:80], v[83:84], off offset:512
	s_clause 0x3
	buffer_load_dword v85, off, s[36:39], 0 offset:368
	buffer_load_dword v86, off, s[36:39], 0 offset:372
	;; [unrolled: 1-line block ×4, first 2 shown]
	s_waitcnt vmcnt(3)
	v_fmac_f32_e32 v73, v85, v77
	s_waitcnt vmcnt(2)
	v_fmac_f32_e32 v74, v86, v78
	;; [unrolled: 2-line block ×4, first 2 shown]
	global_load_dwordx4 v[77:80], v[83:84], off offset:1024
	s_waitcnt vmcnt(0) lgkmcnt(25)
	v_fmac_f32_e32 v73, v89, v77
	v_fmac_f32_e32 v74, v90, v78
	;; [unrolled: 1-line block ×4, first 2 shown]
	global_load_dwordx4 v[77:80], v[83:84], off offset:1536
	s_waitcnt vmcnt(0) lgkmcnt(24)
	v_fmac_f32_e32 v73, v93, v77
	v_fmac_f32_e32 v74, v94, v78
	;; [unrolled: 1-line block ×4, first 2 shown]
	global_load_dwordx4 v[77:80], v[81:82], off
	v_add_co_u32 v81, s1, 0x3000, v69
	v_add_co_ci_u32_e64 v82, null, 0, v70, s1
	s_waitcnt vmcnt(0) lgkmcnt(23)
	v_fmac_f32_e32 v73, v97, v77
	v_fmac_f32_e32 v74, v98, v78
	v_fmac_f32_e32 v75, v99, v79
	v_fmac_f32_e32 v76, v100, v80
	global_load_dwordx4 v[77:80], v[81:82], off offset:512
	s_waitcnt vmcnt(0) lgkmcnt(22)
	v_fmac_f32_e32 v73, v101, v77
	v_fmac_f32_e32 v74, v102, v78
	v_fmac_f32_e32 v75, v103, v79
	v_fmac_f32_e32 v76, v104, v80
	global_load_dwordx4 v[77:80], v[81:82], off offset:1024
	;; [unrolled: 6-line block ×3, first 2 shown]
	v_add_co_u32 v81, s1, v69, 0x4000
	v_add_co_ci_u32_e64 v82, null, 0, v70, s1
	v_add_co_u32 v83, s1, 0x3800, v69
	v_add_co_ci_u32_e64 v84, null, 0, v70, s1
	s_waitcnt vmcnt(0) lgkmcnt(20)
	v_fmac_f32_e32 v73, v109, v77
	v_fmac_f32_e32 v74, v110, v78
	;; [unrolled: 1-line block ×4, first 2 shown]
	global_load_dwordx4 v[77:80], v[81:82], off offset:-2048
	s_waitcnt vmcnt(0) lgkmcnt(19)
	v_fmac_f32_e32 v73, v113, v77
	v_fmac_f32_e32 v74, v114, v78
	v_fmac_f32_e32 v75, v115, v79
	v_fmac_f32_e32 v76, v116, v80
	global_load_dwordx4 v[77:80], v[83:84], off offset:512
	s_waitcnt vmcnt(0) lgkmcnt(18)
	v_fmac_f32_e32 v73, v117, v77
	v_fmac_f32_e32 v74, v118, v78
	v_fmac_f32_e32 v75, v119, v79
	v_fmac_f32_e32 v76, v120, v80
	global_load_dwordx4 v[77:80], v[83:84], off offset:1024
	;; [unrolled: 6-line block ×3, first 2 shown]
	s_waitcnt vmcnt(0) lgkmcnt(16)
	v_fmac_f32_e32 v73, v1, v77
	v_fmac_f32_e32 v74, v2, v78
	;; [unrolled: 1-line block ×4, first 2 shown]
	global_load_dwordx4 v[77:80], v[81:82], off
	v_add_co_u32 v81, s1, 0x4000, v69
	v_add_co_ci_u32_e64 v82, null, 0, v70, s1
	s_waitcnt vmcnt(0) lgkmcnt(15)
	v_fmac_f32_e32 v73, v5, v77
	v_fmac_f32_e32 v74, v6, v78
	v_fmac_f32_e32 v75, v7, v79
	v_fmac_f32_e32 v76, v8, v80
	global_load_dwordx4 v[77:80], v[81:82], off offset:512
	s_waitcnt vmcnt(0) lgkmcnt(14)
	v_fmac_f32_e32 v73, v9, v77
	v_fmac_f32_e32 v74, v10, v78
	v_fmac_f32_e32 v75, v11, v79
	v_fmac_f32_e32 v76, v12, v80
	global_load_dwordx4 v[77:80], v[81:82], off offset:1024
	s_waitcnt vmcnt(0) lgkmcnt(13)
	v_fmac_f32_e32 v73, v13, v77
	v_fmac_f32_e32 v74, v14, v78
	v_fmac_f32_e32 v75, v15, v79
	v_fmac_f32_e32 v76, v16, v80
	global_load_dwordx4 v[77:80], v[81:82], off offset:1536
	v_add_co_u32 v81, s1, v69, 0x5000
	v_add_co_ci_u32_e64 v82, null, 0, v70, s1
	v_add_co_u32 v83, s1, 0x4800, v69
	v_add_co_ci_u32_e64 v84, null, 0, v70, s1
	s_waitcnt vmcnt(0) lgkmcnt(12)
	v_fmac_f32_e32 v73, v17, v77
	v_fmac_f32_e32 v74, v18, v78
	;; [unrolled: 1-line block ×4, first 2 shown]
	global_load_dwordx4 v[77:80], v[81:82], off offset:-2048
	s_waitcnt vmcnt(0) lgkmcnt(11)
	v_fmac_f32_e32 v73, v21, v77
	v_fmac_f32_e32 v74, v22, v78
	v_fmac_f32_e32 v75, v23, v79
	v_fmac_f32_e32 v76, v24, v80
	global_load_dwordx4 v[77:80], v[83:84], off offset:512
	s_waitcnt vmcnt(0) lgkmcnt(10)
	v_fmac_f32_e32 v73, v25, v77
	v_fmac_f32_e32 v74, v26, v78
	v_fmac_f32_e32 v75, v27, v79
	v_fmac_f32_e32 v76, v28, v80
	global_load_dwordx4 v[77:80], v[83:84], off offset:1024
	;; [unrolled: 6-line block ×3, first 2 shown]
	s_waitcnt vmcnt(0) lgkmcnt(8)
	v_fmac_f32_e32 v73, v33, v77
	v_fmac_f32_e32 v74, v34, v78
	;; [unrolled: 1-line block ×4, first 2 shown]
	global_load_dwordx4 v[77:80], v[81:82], off
	v_add_co_u32 v81, s1, 0x5000, v69
	v_add_co_ci_u32_e64 v82, null, 0, v70, s1
	v_add_co_u32 v69, s1, 0x5800, v69
	v_add_co_ci_u32_e64 v70, null, 0, v70, s1
	v_cmp_gt_i32_e64 s1, s11, v0
	s_waitcnt vmcnt(0) lgkmcnt(7)
	v_fmac_f32_e32 v73, v37, v77
	v_fmac_f32_e32 v74, v38, v78
	v_fmac_f32_e32 v75, v39, v79
	v_fmac_f32_e32 v76, v40, v80
	global_load_dwordx4 v[77:80], v[81:82], off offset:512
	s_waitcnt vmcnt(0) lgkmcnt(6)
	v_fmac_f32_e32 v73, v41, v77
	v_fmac_f32_e32 v74, v42, v78
	v_fmac_f32_e32 v75, v43, v79
	v_fmac_f32_e32 v76, v44, v80
	global_load_dwordx4 v[77:80], v[81:82], off offset:1024
	;; [unrolled: 6-line block ×3, first 2 shown]
	s_waitcnt vmcnt(0) lgkmcnt(4)
	v_fmac_f32_e32 v73, v49, v77
	v_fmac_f32_e32 v74, v50, v78
	;; [unrolled: 1-line block ×4, first 2 shown]
	global_load_dwordx4 v[77:80], v[69:70], off
	s_waitcnt vmcnt(0) lgkmcnt(3)
	v_fmac_f32_e32 v73, v53, v77
	v_fmac_f32_e32 v74, v54, v78
	v_fmac_f32_e32 v75, v55, v79
	v_fmac_f32_e32 v76, v56, v80
	global_load_dwordx4 v[77:80], v[69:70], off offset:512
	s_waitcnt vmcnt(0) lgkmcnt(2)
	v_fmac_f32_e32 v73, v57, v77
	v_fmac_f32_e32 v74, v58, v78
	v_fmac_f32_e32 v75, v59, v79
	v_fmac_f32_e32 v76, v60, v80
	global_load_dwordx4 v[77:80], v[69:70], off offset:1024
	;; [unrolled: 6-line block ×3, first 2 shown]
	v_add_nc_u32_e32 v70, s15, v0
	v_add_nc_u32_e32 v0, 0x80, v0
	v_cvt_f32_i32_e32 v70, v70
	v_mul_f32_e32 v70, s24, v70
	v_cndmask_b32_e32 v70, 0, v70, vcc_lo
	s_waitcnt vmcnt(0) lgkmcnt(0)
	v_fmac_f32_e32 v73, v65, v77
	v_fmac_f32_e32 v74, v66, v78
	;; [unrolled: 1-line block ×4, first 2 shown]
	v_add_f32_e32 v69, v73, v74
	v_add_f32_e32 v69, v75, v69
	;; [unrolled: 1-line block ×3, first 2 shown]
	v_fmac_f32_e32 v70, s3, v69
	v_max_f32_e32 v69, v72, v72
	v_max_f32_e32 v69, v69, v70
	v_cndmask_b32_e64 v70, 0, v70, s1
	v_cndmask_b32_e64 v72, v72, v69, s1
	v_add_co_u32 v125, s1, v125, 16
	ds_write_b32 v71, v70
	v_add_co_ci_u32_e64 v126, null, 0, v126, s1
	v_add_nc_u32_e32 v71, 0x200, v71
	s_andn2_b32 exec_lo, exec_lo, s5
	s_cbranch_execnz .LBB52_6
; %bb.7:
	s_or_b32 exec_lo, exec_lo, s5
	s_clause 0x3
	buffer_load_dword v71, off, s[36:39], 0 offset:596
	buffer_load_dword v127, off, s[36:39], 0 offset:600
	;; [unrolled: 1-line block ×4, first 2 shown]
.LBB52_8:
	s_or_b32 exec_lo, exec_lo, s25
	v_mbcnt_lo_u32_b32 v1, -1, 0
	v_max_f32_e32 v4, v72, v72
	v_xor_b32_e32 v0, 16, v1
	v_xor_b32_e32 v3, 8, v1
	v_cmp_gt_i32_e32 vcc_lo, 32, v0
	v_cndmask_b32_e32 v0, v1, v0, vcc_lo
	v_cmp_gt_i32_e32 vcc_lo, 32, v3
	v_lshlrev_b32_e32 v0, 2, v0
	v_cndmask_b32_e32 v3, v1, v3, vcc_lo
	ds_bpermute_b32 v2, v0, v72
	s_waitcnt lgkmcnt(0)
	v_max_f32_e32 v5, v2, v2
	v_lshlrev_b32_e32 v2, 2, v3
	v_max_f32_e32 v3, v4, v5
	v_xor_b32_e32 v5, 4, v1
	ds_bpermute_b32 v4, v2, v3
	v_cmp_gt_i32_e32 vcc_lo, 32, v5
	v_cndmask_b32_e32 v5, v1, v5, vcc_lo
	v_lshlrev_b32_e32 v5, 2, v5
	buffer_store_dword v5, off, s[36:39], 0 offset:588 ; 4-byte Folded Spill
	s_waitcnt lgkmcnt(0)
	v_max_f32_e32 v4, v4, v4
	v_max_f32_e32 v3, v3, v4
	ds_bpermute_b32 v4, v5, v3
	v_xor_b32_e32 v5, 2, v1
	v_cmp_gt_i32_e32 vcc_lo, 32, v5
	v_cndmask_b32_e32 v5, v1, v5, vcc_lo
	v_lshlrev_b32_e32 v5, 2, v5
	s_waitcnt lgkmcnt(0)
	v_max_f32_e32 v4, v4, v4
	buffer_store_dword v5, off, s[36:39], 0 offset:580 ; 4-byte Folded Spill
	v_max_f32_e32 v3, v3, v4
	ds_bpermute_b32 v4, v5, v3
	v_xor_b32_e32 v5, 1, v1
	v_cmp_gt_i32_e32 vcc_lo, 32, v5
	v_cndmask_b32_e32 v5, v1, v5, vcc_lo
	s_waitcnt lgkmcnt(0)
	v_max_f32_e32 v4, v4, v4
	v_max_f32_e32 v1, v3, v4
	v_lshlrev_b32_e32 v3, 2, v5
	buffer_store_dword v3, off, s[36:39], 0 offset:576 ; 4-byte Folded Spill
	ds_bpermute_b32 v4, v3, v1
	buffer_load_dword v3, off, s[36:39], 0 offset:584 ; 4-byte Folded Reload
	s_waitcnt vmcnt(0)
	v_cmp_eq_u32_e32 vcc_lo, 0, v3
	v_lshlrev_b32_e32 v3, 2, v127
	s_and_saveexec_b32 s1, vcc_lo
	s_cbranch_execz .LBB52_10
; %bb.9:
	s_waitcnt lgkmcnt(0)
	v_max_f32_e32 v4, v4, v4
	v_max_f32_e32 v1, v1, v1
	;; [unrolled: 1-line block ×3, first 2 shown]
	ds_write_b32 v3, v1 offset:768
.LBB52_10:
	s_or_b32 exec_lo, exec_lo, s1
	buffer_load_dword v1, off, s[36:39], 0 offset:584 ; 4-byte Folded Reload
	s_waitcnt vmcnt(0) lgkmcnt(0)
	s_waitcnt_vscnt null, 0x0
	s_barrier
	buffer_gl0_inv
	v_cmp_gt_u32_e64 s1, 4, v1
	v_mov_b32_e32 v1, 0xff7fffff
	s_and_saveexec_b32 s2, s1
; %bb.11:
	ds_read_b32 v1, v73 offset:768
; %bb.12:
	s_or_b32 exec_lo, exec_lo, s2
	buffer_load_dword v4, off, s[36:39], 0 offset:580 ; 4-byte Folded Reload
	s_lshl_b32 s2, s12, 5
	s_min_i32 s4, s2, s11
	v_cmp_gt_i32_e64 s2, s4, v71
	s_waitcnt vmcnt(0) lgkmcnt(0)
	ds_bpermute_b32 v4, v4, v1
	v_max_f32_e32 v1, v1, v1
	s_waitcnt lgkmcnt(0)
	v_max_f32_e32 v4, v4, v4
	v_max_f32_e32 v1, v1, v4
	buffer_load_dword v4, off, s[36:39], 0 offset:576 ; 4-byte Folded Reload
	s_waitcnt vmcnt(0)
	ds_bpermute_b32 v4, v4, v1
	s_waitcnt lgkmcnt(0)
	v_max_f32_e32 v4, v4, v4
	v_max_f32_e32 v1, v1, v4
	v_mov_b32_e32 v4, 0
	ds_bpermute_b32 v5, v4, v1
	v_lshl_add_u32 v1, v71, 2, 0x320
	s_and_saveexec_b32 s5, s2
	s_cbranch_execz .LBB52_16
; %bb.13:
	v_lshl_add_u32 v6, v71, 2, 0x320
	v_mov_b32_e32 v4, 0
	v_mov_b32_e32 v7, v71
	s_mov_b32 s15, 0
	.p2align	6
.LBB52_14:                              ; =>This Inner Loop Header: Depth=1
	ds_read_b32 v8, v6
	v_add_nc_u32_e32 v7, 0x80, v7
	v_cmp_le_i32_e64 s3, s4, v7
	s_or_b32 s15, s3, s15
	s_waitcnt lgkmcnt(0)
	v_sub_f32_e32 v8, v8, v5
	v_mul_f32_e32 v8, 0x3fb8aa3b, v8
	v_exp_f32_e32 v8, v8
	ds_write_b32 v6, v8
	v_add_f32_e32 v4, v4, v8
	v_add_nc_u32_e32 v6, 0x200, v6
	s_andn2_b32 exec_lo, exec_lo, s15
	s_cbranch_execnz .LBB52_14
; %bb.15:
	s_or_b32 exec_lo, exec_lo, s15
.LBB52_16:
	s_or_b32 exec_lo, exec_lo, s5
	ds_bpermute_b32 v0, v0, v4
	s_waitcnt lgkmcnt(0)
	v_add_f32_e32 v0, v4, v0
	ds_bpermute_b32 v2, v2, v0
	s_waitcnt lgkmcnt(0)
	v_add_f32_e32 v0, v0, v2
	buffer_load_dword v2, off, s[36:39], 0 offset:588 ; 4-byte Folded Reload
	s_waitcnt vmcnt(0)
	ds_bpermute_b32 v2, v2, v0
	s_waitcnt lgkmcnt(0)
	v_add_f32_e32 v0, v0, v2
	buffer_load_dword v2, off, s[36:39], 0 offset:580 ; 4-byte Folded Reload
	s_waitcnt vmcnt(0)
	;; [unrolled: 5-line block ×3, first 2 shown]
	ds_bpermute_b32 v2, v2, v0
	s_waitcnt lgkmcnt(0)
	v_add_f32_e32 v0, v0, v2
	s_and_saveexec_b32 s3, vcc_lo
; %bb.17:
	ds_write_b32 v3, v0 offset:784
; %bb.18:
	s_or_b32 exec_lo, exec_lo, s3
	s_waitcnt lgkmcnt(0)
	s_barrier
	buffer_gl0_inv
	s_and_saveexec_b32 s3, s1
; %bb.19:
	ds_read_b32 v0, v73 offset:784
; %bb.20:
	s_or_b32 exec_lo, exec_lo, s3
	buffer_load_dword v2, off, s[36:39], 0 offset:580 ; 4-byte Folded Reload
	s_waitcnt vmcnt(0) lgkmcnt(0)
	ds_bpermute_b32 v2, v2, v0
	s_waitcnt lgkmcnt(0)
	v_add_f32_e32 v0, v0, v2
	buffer_load_dword v2, off, s[36:39], 0 offset:576 ; 4-byte Folded Reload
	s_waitcnt vmcnt(0)
	ds_bpermute_b32 v2, v2, v0
	s_waitcnt lgkmcnt(0)
	v_add_f32_e32 v0, v0, v2
	v_mov_b32_e32 v2, 0
	ds_bpermute_b32 v0, v2, v0
	s_and_saveexec_b32 s1, s2
	s_cbranch_execz .LBB52_23
; %bb.21:
	s_waitcnt lgkmcnt(0)
	v_add_f32_e32 v0, 0x358637bd, v0
	s_mov_b32 s2, 0
	v_div_scale_f32 v2, null, v0, v0, 1.0
	v_div_scale_f32 v5, vcc_lo, 1.0, v0, 1.0
	v_rcp_f32_e32 v3, v2
	v_fma_f32 v4, -v2, v3, 1.0
	v_fmac_f32_e32 v3, v4, v3
	v_mul_f32_e32 v4, v5, v3
	v_fma_f32 v6, -v2, v4, v5
	v_fmac_f32_e32 v4, v6, v3
	v_fma_f32 v2, -v2, v4, v5
	v_div_fmas_f32 v2, v2, v3, v4
	v_div_fixup_f32 v0, v2, v0, 1.0
	v_mov_b32_e32 v2, v71
.LBB52_22:                              ; =>This Inner Loop Header: Depth=1
	ds_read_b32 v3, v1
	v_add_nc_u32_e32 v2, 0x80, v2
	v_cmp_le_i32_e32 vcc_lo, s4, v2
	s_or_b32 s2, vcc_lo, s2
	s_waitcnt lgkmcnt(0)
	v_mul_f32_e32 v3, v0, v3
	ds_write_b32 v1, v3
	v_add_nc_u32_e32 v1, 0x200, v1
	s_andn2_b32 exec_lo, exec_lo, s2
	s_cbranch_execnz .LBB52_22
.LBB52_23:
	s_or_b32 exec_lo, exec_lo, s1
	s_waitcnt lgkmcnt(0)
	v_and_b32_e32 v0, 7, v71
	v_mov_b32_e32 v1, 0
	v_mov_b32_e32 v5, 0
	v_mov_b32_e32 v2, 0
	v_mov_b32_e32 v3, 0
	buffer_store_dword v0, off, s[36:39], 0 offset:592 ; 4-byte Folded Spill
	v_mov_b32_e32 v0, 0
	v_mov_b32_e32 v4, 0
	v_mov_b32_e32 v20, 0
	v_mov_b32_e32 v19, 0
	v_mov_b32_e32 v18, 0
	buffer_store_dword v0, off, s[36:39], 0 offset:368 ; 4-byte Folded Spill
	v_mov_b32_e32 v0, 0
	;; [unrolled: 6-line block ×6, first 2 shown]
	v_mov_b32_e32 v43, 0
	v_mov_b32_e32 v54, 0
	;; [unrolled: 1-line block ×18, first 2 shown]
	buffer_store_dword v0, off, s[36:39], 0 offset:288 ; 4-byte Folded Spill
	s_waitcnt_vscnt null, 0x0
	s_barrier
	buffer_gl0_inv
	s_and_saveexec_b32 s1, s0
	s_cbranch_execz .LBB52_123
; %bb.24:
	buffer_load_dword v2, off, s[36:39], 0 offset:592 ; 4-byte Folded Reload
	v_lshlrev_b32_e32 v0, 2, v71
	v_lshlrev_b32_e32 v4, 5, v127
	s_ashr_i32 s15, s14, 31
	v_mov_b32_e32 v5, v127
	s_lshl_b64 s[2:3], s[14:15], 2
	v_and_b32_e32 v1, 28, v0
	v_and_b32_e32 v3, 0x7c, v0
	v_or_b32_e32 v0, 0xf80, v0
	s_add_u32 s2, s22, s2
	s_addc_u32 s3, s23, s3
	s_lshl_b64 s[14:15], s[20:21], 2
	s_add_i32 s4, s12, -1
	v_lshlrev_b32_e32 v0, 2, v0
	s_add_u32 s0, s18, s14
	s_addc_u32 s5, s19, s15
	v_mov_b32_e32 v56, 0
	v_mov_b32_e32 v6, 0
	buffer_store_dword v0, off, s[36:39], 0 offset:572 ; 4-byte Folded Spill
	v_mov_b32_e32 v0, 0
	v_mov_b32_e32 v7, 0
	;; [unrolled: 1-line block ×5, first 2 shown]
	buffer_store_dword v0, off, s[36:39], 0 offset:384 ; 4-byte Folded Spill
	v_mov_b32_e32 v0, 0
	buffer_store_dword v0, off, s[36:39], 0 offset:388 ; 4-byte Folded Spill
	v_mov_b32_e32 v0, 0
	;; [unrolled: 2-line block ×41, first 2 shown]
	buffer_store_dword v0, off, s[36:39], 0 offset:516 ; 4-byte Folded Spill
	s_waitcnt vmcnt(0)
	v_lshlrev_b32_e32 v2, 4, v2
	v_lshl_or_b32 v2, v127, 7, v2
	v_or3_b32 v127, v4, v1, 3
	v_and_b32_e32 v1, 0x7c, v70
	v_add_nc_u32_e32 v2, 0x320, v2
	v_add_co_u32 v11, s0, s0, v1
	v_add_co_ci_u32_e64 v12, null, s5, 0, s0
	v_lshlrev_b32_e32 v1, 2, v3
	s_mov_b32 s5, 0
	buffer_store_dword v1, off, s[36:39], 0 offset:568 ; 4-byte Folded Spill
	s_branch .LBB52_26
.LBB52_25:                              ;   in Loop: Header=BB52_26 Depth=1
	s_or_b32 exec_lo, exec_lo, s0
	s_waitcnt vmcnt(1) lgkmcnt(0)
	v_mul_f32_e32 v0, v1, v73
	buffer_load_dword v73, off, s[36:39], 0 offset:384 ; 4-byte Folded Reload
	v_add_nc_u32_e32 v127, 0x80, v127
	v_fmac_f32_e32 v0, v2, v74
	v_fmac_f32_e32 v0, v3, v75
	v_fmac_f32_e32 v0, v4, v76
	s_waitcnt vmcnt(0)
	v_add_f32_e32 v73, v73, v0
	v_mul_f32_e32 v0, v1, v69
	buffer_load_dword v69, off, s[36:39], 0 offset:388 ; 4-byte Folded Reload
	buffer_store_dword v73, off, s[36:39], 0 offset:384 ; 4-byte Folded Spill
	v_fmac_f32_e32 v0, v2, v70
	v_fmac_f32_e32 v0, v3, v71
	v_fmac_f32_e32 v0, v4, v72
	s_waitcnt vmcnt(0)
	v_add_f32_e32 v69, v69, v0
	v_mul_f32_e32 v0, v1, v65
	buffer_load_dword v65, off, s[36:39], 0 offset:392 ; 4-byte Folded Reload
	buffer_store_dword v69, off, s[36:39], 0 offset:388 ; 4-byte Folded Spill
	;; [unrolled: 8-line block ×16, first 2 shown]
	v_fmac_f32_e32 v0, v2, v6
	buffer_load_dword v6, off, s[36:39], 0 offset:532 ; 4-byte Folded Reload
	v_fmac_f32_e32 v0, v3, v7
	v_fmac_f32_e32 v0, v4, v8
	s_waitcnt vmcnt(1)
	v_add_f32_e32 v5, v5, v0
	v_mul_f32_e32 v0, v1, v121
	buffer_store_dword v5, off, s[36:39], 0 offset:448 ; 4-byte Folded Spill
	buffer_load_dword v5, off, s[36:39], 0 offset:452 ; 4-byte Folded Reload
	v_fmac_f32_e32 v0, v2, v122
	v_fmac_f32_e32 v0, v3, v123
	v_fmac_f32_e32 v0, v4, v124
	s_waitcnt vmcnt(0)
	v_add_f32_e32 v5, v5, v0
	v_mul_f32_e32 v0, v1, v117
	buffer_store_dword v5, off, s[36:39], 0 offset:452 ; 4-byte Folded Spill
	buffer_load_dword v5, off, s[36:39], 0 offset:456 ; 4-byte Folded Reload
	v_fmac_f32_e32 v0, v2, v118
	;; [unrolled: 8-line block ×11, first 2 shown]
	v_fmac_f32_e32 v0, v3, v83
	v_fmac_f32_e32 v0, v4, v84
	s_waitcnt vmcnt(0)
	v_add_f32_e32 v5, v5, v0
	v_mul_f32_e32 v0, v1, v77
	buffer_store_dword v5, off, s[36:39], 0 offset:492 ; 4-byte Folded Spill
	s_clause 0x3
	buffer_load_dword v7, off, s[36:39], 0 offset:272
	buffer_load_dword v8, off, s[36:39], 0 offset:276
	;; [unrolled: 1-line block ×4, first 2 shown]
	v_fmac_f32_e32 v0, v2, v78
	v_fmac_f32_e32 v0, v3, v79
	;; [unrolled: 1-line block ×3, first 2 shown]
	v_add_f32_e32 v6, v6, v0
	s_waitcnt vmcnt(3)
	v_mul_f32_e32 v0, v1, v7
	buffer_load_dword v7, off, s[36:39], 0 offset:536 ; 4-byte Folded Reload
	s_waitcnt vmcnt(3)
	v_fmac_f32_e32 v0, v2, v8
	s_waitcnt vmcnt(2)
	v_fmac_f32_e32 v0, v3, v9
	s_waitcnt vmcnt(1)
	v_fmac_f32_e32 v0, v4, v10
	s_clause 0x3
	buffer_load_dword v8, off, s[36:39], 0 offset:256
	buffer_load_dword v9, off, s[36:39], 0 offset:260
	buffer_load_dword v10, off, s[36:39], 0 offset:264
	buffer_load_dword v11, off, s[36:39], 0 offset:268
	s_waitcnt vmcnt(4)
	v_add_f32_e32 v7, v7, v0
	s_waitcnt vmcnt(3)
	v_mul_f32_e32 v0, v1, v8
	buffer_load_dword v8, off, s[36:39], 0 offset:540 ; 4-byte Folded Reload
	s_waitcnt vmcnt(3)
	v_fmac_f32_e32 v0, v2, v9
	s_waitcnt vmcnt(2)
	v_fmac_f32_e32 v0, v3, v10
	s_waitcnt vmcnt(1)
	v_fmac_f32_e32 v0, v4, v11
	s_clause 0x3
	buffer_load_dword v9, off, s[36:39], 0 offset:240
	buffer_load_dword v10, off, s[36:39], 0 offset:244
	buffer_load_dword v11, off, s[36:39], 0 offset:248
	buffer_load_dword v12, off, s[36:39], 0 offset:252
	s_waitcnt vmcnt(4)
	;; [unrolled: 16-line block ×3, first 2 shown]
	v_add_f32_e32 v9, v9, v0
	s_waitcnt vmcnt(3)
	v_mul_f32_e32 v0, v1, v10
	buffer_load_dword v10, off, s[36:39], 0 offset:548 ; 4-byte Folded Reload
	s_waitcnt vmcnt(3)
	v_fmac_f32_e32 v0, v2, v11
	s_waitcnt vmcnt(2)
	v_fmac_f32_e32 v0, v3, v12
	;; [unrolled: 2-line block ×3, first 2 shown]
	s_clause 0x4
	buffer_load_dword v11, off, s[36:39], 0 offset:208
	buffer_load_dword v12, off, s[36:39], 0 offset:212
	;; [unrolled: 1-line block ×5, first 2 shown]
	s_waitcnt vmcnt(5)
	v_add_f32_e32 v10, v10, v0
	s_waitcnt vmcnt(4)
	v_mul_f32_e32 v0, v1, v11
	s_waitcnt vmcnt(3)
	v_fmac_f32_e32 v0, v2, v12
	s_waitcnt vmcnt(2)
	v_fmac_f32_e32 v0, v3, v13
	s_waitcnt vmcnt(1)
	v_fmac_f32_e32 v0, v4, v14
	s_waitcnt vmcnt(0)
	v_add_f32_e32 v5, v5, v0
	buffer_store_dword v5, off, s[36:39], 0 offset:496 ; 4-byte Folded Spill
	s_clause 0x4
	buffer_load_dword v11, off, s[36:39], 0 offset:192
	buffer_load_dword v12, off, s[36:39], 0 offset:196
	buffer_load_dword v13, off, s[36:39], 0 offset:200
	buffer_load_dword v14, off, s[36:39], 0 offset:204
	buffer_load_dword v5, off, s[36:39], 0 offset:500
	s_waitcnt vmcnt(4)
	v_mul_f32_e32 v0, v1, v11
	s_waitcnt vmcnt(3)
	v_fmac_f32_e32 v0, v2, v12
	s_waitcnt vmcnt(2)
	v_fmac_f32_e32 v0, v3, v13
	s_waitcnt vmcnt(1)
	v_fmac_f32_e32 v0, v4, v14
	s_waitcnt vmcnt(0)
	v_add_f32_e32 v5, v5, v0
	buffer_store_dword v5, off, s[36:39], 0 offset:500 ; 4-byte Folded Spill
	s_clause 0x4
	buffer_load_dword v11, off, s[36:39], 0 offset:176
	buffer_load_dword v12, off, s[36:39], 0 offset:180
	buffer_load_dword v13, off, s[36:39], 0 offset:184
	buffer_load_dword v14, off, s[36:39], 0 offset:188
	buffer_load_dword v5, off, s[36:39], 0 offset:504
	;; [unrolled: 17-line block ×12, first 2 shown]
	s_waitcnt vmcnt(4)
	v_mul_f32_e32 v0, v1, v11
	s_waitcnt vmcnt(3)
	v_fmac_f32_e32 v0, v2, v12
	s_waitcnt vmcnt(2)
	v_fmac_f32_e32 v0, v3, v13
	;; [unrolled: 2-line block ×3, first 2 shown]
	s_waitcnt vmcnt(0)
	v_add_f32_e32 v5, v5, v0
	buffer_store_dword v5, off, s[36:39], 0 offset:524 ; 4-byte Folded Spill
	s_clause 0x5
	buffer_load_dword v11, off, s[36:39], 0
	buffer_load_dword v12, off, s[36:39], 0 offset:4
	buffer_load_dword v13, off, s[36:39], 0 offset:8
	;; [unrolled: 1-line block ×5, first 2 shown]
	s_waitcnt vmcnt(5)
	v_mul_f32_e32 v0, v1, v11
	s_waitcnt vmcnt(4)
	v_fmac_f32_e32 v0, v2, v12
	s_waitcnt vmcnt(3)
	v_fmac_f32_e32 v0, v3, v13
	;; [unrolled: 2-line block ×3, first 2 shown]
	s_waitcnt vmcnt(1)
	v_add_f32_e32 v5, v5, v0
	v_mul_f32_e32 v0, v1, v17
	buffer_store_dword v5, off, s[36:39], 0 offset:516 ; 4-byte Folded Spill
	buffer_load_dword v5, off, s[36:39], 0 offset:564 ; 4-byte Folded Reload
	v_fmac_f32_e32 v0, v2, v18
	s_clause 0x2
	buffer_load_dword v2, off, s[36:39], 0 offset:552
	buffer_load_dword v11, off, s[36:39], 0 offset:556
	;; [unrolled: 1-line block ×3, first 2 shown]
	v_fmac_f32_e32 v0, v3, v19
	v_fmac_f32_e32 v0, v4, v20
	s_waitcnt vmcnt(4)
	v_add_f32_e32 v56, v56, v0
	s_waitcnt vmcnt(3)
	v_add_nc_u32_e32 v5, 4, v5
	s_waitcnt vmcnt(1)
	v_add_co_u32 v11, vcc_lo, v11, 16
	s_waitcnt vmcnt(0)
	v_add_co_ci_u32_e64 v12, null, 0, v12, vcc_lo
	v_cmp_le_i32_e32 vcc_lo, s12, v5
	v_add_nc_u32_e32 v2, 0x200, v2
	s_or_b32 s5, vcc_lo, s5
	s_andn2_b32 exec_lo, exec_lo, s5
	s_cbranch_execz .LBB52_122
.LBB52_26:                              ; =>This Inner Loop Header: Depth=1
	buffer_store_dword v10, off, s[36:39], 0 offset:548 ; 4-byte Folded Spill
	buffer_store_dword v9, off, s[36:39], 0 offset:544 ; 4-byte Folded Spill
	;; [unrolled: 1-line block ×8, first 2 shown]
	v_add_nc_u32_e32 v126, -2, v127
	v_add_nc_u32_e32 v125, -1, v127
	global_load_dword v0, v[11:12], off
	s_waitcnt vmcnt(0)
	v_mad_i64_i32 v[0:1], null, v0, s13, 0
	v_lshlrev_b64 v[0:1], 2, v[0:1]
	v_add_co_u32 v9, vcc_lo, s2, v0
	buffer_load_dword v0, off, s[36:39], 0 offset:568 ; 4-byte Folded Reload
	v_add_co_ci_u32_e64 v10, null, s3, v1, vcc_lo
	s_waitcnt vmcnt(0)
	v_add_co_u32 v17, vcc_lo, v9, v0
	v_add_co_ci_u32_e64 v18, null, 0, v10, vcc_lo
	v_add_nc_u32_e32 v0, -3, v127
	v_cmp_eq_u32_e32 vcc_lo, s4, v5
	global_load_dwordx4 v[11:14], v[17:18], off
	s_waitcnt vmcnt(0)
	buffer_store_dword v11, off, s[36:39], 0 ; 4-byte Folded Spill
	buffer_store_dword v12, off, s[36:39], 0 offset:4 ; 4-byte Folded Spill
	buffer_store_dword v13, off, s[36:39], 0 offset:8 ; 4-byte Folded Spill
	;; [unrolled: 1-line block ×4, first 2 shown]
	ds_read_b128 v[1:4], v2
	buffer_store_dword v5, off, s[36:39], 0 offset:564 ; 4-byte Folded Spill
	s_and_saveexec_b32 s14, vcc_lo
	s_cbranch_execz .LBB52_28
; %bb.27:                               ;   in Loop: Header=BB52_26 Depth=1
	s_clause 0x3
	buffer_load_dword v5, off, s[36:39], 0
	buffer_load_dword v6, off, s[36:39], 0 offset:4
	buffer_load_dword v7, off, s[36:39], 0 offset:8
	;; [unrolled: 1-line block ×3, first 2 shown]
	v_cmp_gt_i32_e64 s0, s11, v0
	s_waitcnt vmcnt(3)
	v_cndmask_b32_e64 v5, 0, v5, s0
	v_cmp_gt_i32_e64 s0, s11, v126
	s_waitcnt vmcnt(2)
	v_cndmask_b32_e64 v6, 0, v6, s0
	;; [unrolled: 3-line block ×4, first 2 shown]
	buffer_store_dword v5, off, s[36:39], 0 ; 4-byte Folded Spill
	buffer_store_dword v6, off, s[36:39], 0 offset:4 ; 4-byte Folded Spill
	buffer_store_dword v7, off, s[36:39], 0 offset:8 ; 4-byte Folded Spill
	;; [unrolled: 1-line block ×3, first 2 shown]
.LBB52_28:                              ;   in Loop: Header=BB52_26 Depth=1
	s_or_b32 exec_lo, exec_lo, s14
	global_load_dwordx4 v[5:8], v[17:18], off offset:512
	s_waitcnt vmcnt(0)
	buffer_store_dword v5, off, s[36:39], 0 offset:16 ; 4-byte Folded Spill
	buffer_store_dword v6, off, s[36:39], 0 offset:20 ; 4-byte Folded Spill
	buffer_store_dword v7, off, s[36:39], 0 offset:24 ; 4-byte Folded Spill
	buffer_store_dword v8, off, s[36:39], 0 offset:28 ; 4-byte Folded Spill
	s_and_saveexec_b32 s14, vcc_lo
	s_cbranch_execz .LBB52_30
; %bb.29:                               ;   in Loop: Header=BB52_26 Depth=1
	s_clause 0x3
	buffer_load_dword v5, off, s[36:39], 0 offset:16
	buffer_load_dword v6, off, s[36:39], 0 offset:20
	buffer_load_dword v7, off, s[36:39], 0 offset:24
	buffer_load_dword v8, off, s[36:39], 0 offset:28
	v_cmp_gt_i32_e64 s0, s11, v0
	s_waitcnt vmcnt(3)
	v_cndmask_b32_e64 v5, 0, v5, s0
	v_cmp_gt_i32_e64 s0, s11, v126
	s_waitcnt vmcnt(2)
	v_cndmask_b32_e64 v6, 0, v6, s0
	v_cmp_gt_i32_e64 s0, s11, v125
	s_waitcnt vmcnt(1)
	v_cndmask_b32_e64 v7, 0, v7, s0
	v_cmp_gt_i32_e64 s0, s11, v127
	s_waitcnt vmcnt(0)
	v_cndmask_b32_e64 v8, 0, v8, s0
	buffer_store_dword v5, off, s[36:39], 0 offset:16 ; 4-byte Folded Spill
	buffer_store_dword v6, off, s[36:39], 0 offset:20 ; 4-byte Folded Spill
	buffer_store_dword v7, off, s[36:39], 0 offset:24 ; 4-byte Folded Spill
	buffer_store_dword v8, off, s[36:39], 0 offset:28 ; 4-byte Folded Spill
.LBB52_30:                              ;   in Loop: Header=BB52_26 Depth=1
	s_or_b32 exec_lo, exec_lo, s14
	global_load_dwordx4 v[5:8], v[17:18], off offset:1024
	s_waitcnt vmcnt(0)
	buffer_store_dword v5, off, s[36:39], 0 offset:32 ; 4-byte Folded Spill
	buffer_store_dword v6, off, s[36:39], 0 offset:36 ; 4-byte Folded Spill
	buffer_store_dword v7, off, s[36:39], 0 offset:40 ; 4-byte Folded Spill
	buffer_store_dword v8, off, s[36:39], 0 offset:44 ; 4-byte Folded Spill
	s_and_saveexec_b32 s14, vcc_lo
	s_cbranch_execz .LBB52_32
; %bb.31:                               ;   in Loop: Header=BB52_26 Depth=1
	s_clause 0x3
	buffer_load_dword v5, off, s[36:39], 0 offset:32
	buffer_load_dword v6, off, s[36:39], 0 offset:36
	buffer_load_dword v7, off, s[36:39], 0 offset:40
	buffer_load_dword v8, off, s[36:39], 0 offset:44
	v_cmp_gt_i32_e64 s0, s11, v0
	s_waitcnt vmcnt(3)
	v_cndmask_b32_e64 v5, 0, v5, s0
	v_cmp_gt_i32_e64 s0, s11, v126
	s_waitcnt vmcnt(2)
	v_cndmask_b32_e64 v6, 0, v6, s0
	v_cmp_gt_i32_e64 s0, s11, v125
	s_waitcnt vmcnt(1)
	v_cndmask_b32_e64 v7, 0, v7, s0
	v_cmp_gt_i32_e64 s0, s11, v127
	s_waitcnt vmcnt(0)
	v_cndmask_b32_e64 v8, 0, v8, s0
	buffer_store_dword v5, off, s[36:39], 0 offset:32 ; 4-byte Folded Spill
	buffer_store_dword v6, off, s[36:39], 0 offset:36 ; 4-byte Folded Spill
	buffer_store_dword v7, off, s[36:39], 0 offset:40 ; 4-byte Folded Spill
	buffer_store_dword v8, off, s[36:39], 0 offset:44 ; 4-byte Folded Spill
.LBB52_32:                              ;   in Loop: Header=BB52_26 Depth=1
	;; [unrolled: 32-line block ×3, first 2 shown]
	s_or_b32 exec_lo, exec_lo, s14
	v_add_co_u32 v5, s0, 0x800, v17
	v_add_co_ci_u32_e64 v6, null, 0, v18, s0
	global_load_dwordx4 v[11:14], v[5:6], off
	s_waitcnt vmcnt(0)
	buffer_store_dword v11, off, s[36:39], 0 offset:64 ; 4-byte Folded Spill
	buffer_store_dword v12, off, s[36:39], 0 offset:68 ; 4-byte Folded Spill
	buffer_store_dword v13, off, s[36:39], 0 offset:72 ; 4-byte Folded Spill
	buffer_store_dword v14, off, s[36:39], 0 offset:76 ; 4-byte Folded Spill
	s_and_saveexec_b32 s14, vcc_lo
	s_cbranch_execz .LBB52_36
; %bb.35:                               ;   in Loop: Header=BB52_26 Depth=1
	s_clause 0x3
	buffer_load_dword v11, off, s[36:39], 0 offset:64
	buffer_load_dword v12, off, s[36:39], 0 offset:68
	buffer_load_dword v13, off, s[36:39], 0 offset:72
	buffer_load_dword v14, off, s[36:39], 0 offset:76
	v_cmp_gt_i32_e64 s0, s11, v0
	s_waitcnt vmcnt(3)
	v_cndmask_b32_e64 v11, 0, v11, s0
	v_cmp_gt_i32_e64 s0, s11, v126
	s_waitcnt vmcnt(2)
	v_cndmask_b32_e64 v12, 0, v12, s0
	v_cmp_gt_i32_e64 s0, s11, v125
	s_waitcnt vmcnt(1)
	v_cndmask_b32_e64 v13, 0, v13, s0
	v_cmp_gt_i32_e64 s0, s11, v127
	s_waitcnt vmcnt(0)
	v_cndmask_b32_e64 v14, 0, v14, s0
	buffer_store_dword v11, off, s[36:39], 0 offset:64 ; 4-byte Folded Spill
	buffer_store_dword v12, off, s[36:39], 0 offset:68 ; 4-byte Folded Spill
	buffer_store_dword v13, off, s[36:39], 0 offset:72 ; 4-byte Folded Spill
	buffer_store_dword v14, off, s[36:39], 0 offset:76 ; 4-byte Folded Spill
.LBB52_36:                              ;   in Loop: Header=BB52_26 Depth=1
	s_or_b32 exec_lo, exec_lo, s14
	global_load_dwordx4 v[11:14], v[5:6], off offset:512
	s_waitcnt vmcnt(0)
	buffer_store_dword v11, off, s[36:39], 0 offset:80 ; 4-byte Folded Spill
	buffer_store_dword v12, off, s[36:39], 0 offset:84 ; 4-byte Folded Spill
	buffer_store_dword v13, off, s[36:39], 0 offset:88 ; 4-byte Folded Spill
	buffer_store_dword v14, off, s[36:39], 0 offset:92 ; 4-byte Folded Spill
	s_and_saveexec_b32 s14, vcc_lo
	s_cbranch_execz .LBB52_38
; %bb.37:                               ;   in Loop: Header=BB52_26 Depth=1
	s_clause 0x3
	buffer_load_dword v11, off, s[36:39], 0 offset:80
	buffer_load_dword v12, off, s[36:39], 0 offset:84
	buffer_load_dword v13, off, s[36:39], 0 offset:88
	buffer_load_dword v14, off, s[36:39], 0 offset:92
	v_cmp_gt_i32_e64 s0, s11, v0
	s_waitcnt vmcnt(3)
	v_cndmask_b32_e64 v11, 0, v11, s0
	v_cmp_gt_i32_e64 s0, s11, v126
	s_waitcnt vmcnt(2)
	v_cndmask_b32_e64 v12, 0, v12, s0
	v_cmp_gt_i32_e64 s0, s11, v125
	s_waitcnt vmcnt(1)
	v_cndmask_b32_e64 v13, 0, v13, s0
	v_cmp_gt_i32_e64 s0, s11, v127
	s_waitcnt vmcnt(0)
	v_cndmask_b32_e64 v14, 0, v14, s0
	buffer_store_dword v11, off, s[36:39], 0 offset:80 ; 4-byte Folded Spill
	buffer_store_dword v12, off, s[36:39], 0 offset:84 ; 4-byte Folded Spill
	buffer_store_dword v13, off, s[36:39], 0 offset:88 ; 4-byte Folded Spill
	buffer_store_dword v14, off, s[36:39], 0 offset:92 ; 4-byte Folded Spill
.LBB52_38:                              ;   in Loop: Header=BB52_26 Depth=1
	s_or_b32 exec_lo, exec_lo, s14
	global_load_dwordx4 v[11:14], v[5:6], off offset:1024
	;; [unrolled: 32-line block ×3, first 2 shown]
	s_waitcnt vmcnt(0)
	buffer_store_dword v5, off, s[36:39], 0 offset:112 ; 4-byte Folded Spill
	buffer_store_dword v6, off, s[36:39], 0 offset:116 ; 4-byte Folded Spill
	;; [unrolled: 1-line block ×4, first 2 shown]
	s_and_saveexec_b32 s14, vcc_lo
	s_cbranch_execz .LBB52_42
; %bb.41:                               ;   in Loop: Header=BB52_26 Depth=1
	s_clause 0x3
	buffer_load_dword v5, off, s[36:39], 0 offset:112
	buffer_load_dword v6, off, s[36:39], 0 offset:116
	;; [unrolled: 1-line block ×4, first 2 shown]
	v_cmp_gt_i32_e64 s0, s11, v0
	s_waitcnt vmcnt(3)
	v_cndmask_b32_e64 v5, 0, v5, s0
	v_cmp_gt_i32_e64 s0, s11, v126
	s_waitcnt vmcnt(2)
	v_cndmask_b32_e64 v6, 0, v6, s0
	;; [unrolled: 3-line block ×4, first 2 shown]
	buffer_store_dword v5, off, s[36:39], 0 offset:112 ; 4-byte Folded Spill
	buffer_store_dword v6, off, s[36:39], 0 offset:116 ; 4-byte Folded Spill
	;; [unrolled: 1-line block ×4, first 2 shown]
.LBB52_42:                              ;   in Loop: Header=BB52_26 Depth=1
	s_or_b32 exec_lo, exec_lo, s14
	v_add_co_u32 v5, s0, 0x1000, v17
	v_add_co_ci_u32_e64 v6, null, 0, v18, s0
	global_load_dwordx4 v[11:14], v[5:6], off
	s_waitcnt vmcnt(0)
	buffer_store_dword v11, off, s[36:39], 0 offset:128 ; 4-byte Folded Spill
	buffer_store_dword v12, off, s[36:39], 0 offset:132 ; 4-byte Folded Spill
	buffer_store_dword v13, off, s[36:39], 0 offset:136 ; 4-byte Folded Spill
	buffer_store_dword v14, off, s[36:39], 0 offset:140 ; 4-byte Folded Spill
	s_and_saveexec_b32 s14, vcc_lo
	s_cbranch_execz .LBB52_44
; %bb.43:                               ;   in Loop: Header=BB52_26 Depth=1
	s_clause 0x3
	buffer_load_dword v11, off, s[36:39], 0 offset:128
	buffer_load_dword v12, off, s[36:39], 0 offset:132
	buffer_load_dword v13, off, s[36:39], 0 offset:136
	buffer_load_dword v14, off, s[36:39], 0 offset:140
	v_cmp_gt_i32_e64 s0, s11, v0
	s_waitcnt vmcnt(3)
	v_cndmask_b32_e64 v11, 0, v11, s0
	v_cmp_gt_i32_e64 s0, s11, v126
	s_waitcnt vmcnt(2)
	v_cndmask_b32_e64 v12, 0, v12, s0
	v_cmp_gt_i32_e64 s0, s11, v125
	s_waitcnt vmcnt(1)
	v_cndmask_b32_e64 v13, 0, v13, s0
	v_cmp_gt_i32_e64 s0, s11, v127
	s_waitcnt vmcnt(0)
	v_cndmask_b32_e64 v14, 0, v14, s0
	buffer_store_dword v11, off, s[36:39], 0 offset:128 ; 4-byte Folded Spill
	buffer_store_dword v12, off, s[36:39], 0 offset:132 ; 4-byte Folded Spill
	buffer_store_dword v13, off, s[36:39], 0 offset:136 ; 4-byte Folded Spill
	buffer_store_dword v14, off, s[36:39], 0 offset:140 ; 4-byte Folded Spill
.LBB52_44:                              ;   in Loop: Header=BB52_26 Depth=1
	s_or_b32 exec_lo, exec_lo, s14
	global_load_dwordx4 v[11:14], v[5:6], off offset:512
	s_waitcnt vmcnt(0)
	buffer_store_dword v11, off, s[36:39], 0 offset:144 ; 4-byte Folded Spill
	buffer_store_dword v12, off, s[36:39], 0 offset:148 ; 4-byte Folded Spill
	buffer_store_dword v13, off, s[36:39], 0 offset:152 ; 4-byte Folded Spill
	buffer_store_dword v14, off, s[36:39], 0 offset:156 ; 4-byte Folded Spill
	s_and_saveexec_b32 s14, vcc_lo
	s_cbranch_execz .LBB52_46
; %bb.45:                               ;   in Loop: Header=BB52_26 Depth=1
	s_clause 0x3
	buffer_load_dword v11, off, s[36:39], 0 offset:144
	buffer_load_dword v12, off, s[36:39], 0 offset:148
	buffer_load_dword v13, off, s[36:39], 0 offset:152
	buffer_load_dword v14, off, s[36:39], 0 offset:156
	v_cmp_gt_i32_e64 s0, s11, v0
	s_waitcnt vmcnt(3)
	v_cndmask_b32_e64 v11, 0, v11, s0
	v_cmp_gt_i32_e64 s0, s11, v126
	s_waitcnt vmcnt(2)
	v_cndmask_b32_e64 v12, 0, v12, s0
	v_cmp_gt_i32_e64 s0, s11, v125
	s_waitcnt vmcnt(1)
	v_cndmask_b32_e64 v13, 0, v13, s0
	v_cmp_gt_i32_e64 s0, s11, v127
	s_waitcnt vmcnt(0)
	v_cndmask_b32_e64 v14, 0, v14, s0
	buffer_store_dword v11, off, s[36:39], 0 offset:144 ; 4-byte Folded Spill
	buffer_store_dword v12, off, s[36:39], 0 offset:148 ; 4-byte Folded Spill
	buffer_store_dword v13, off, s[36:39], 0 offset:152 ; 4-byte Folded Spill
	buffer_store_dword v14, off, s[36:39], 0 offset:156 ; 4-byte Folded Spill
.LBB52_46:                              ;   in Loop: Header=BB52_26 Depth=1
	s_or_b32 exec_lo, exec_lo, s14
	global_load_dwordx4 v[11:14], v[5:6], off offset:1024
	;; [unrolled: 32-line block ×3, first 2 shown]
	s_waitcnt vmcnt(0)
	buffer_store_dword v5, off, s[36:39], 0 offset:176 ; 4-byte Folded Spill
	buffer_store_dword v6, off, s[36:39], 0 offset:180 ; 4-byte Folded Spill
	;; [unrolled: 1-line block ×4, first 2 shown]
	s_and_saveexec_b32 s14, vcc_lo
	s_cbranch_execz .LBB52_50
; %bb.49:                               ;   in Loop: Header=BB52_26 Depth=1
	s_clause 0x3
	buffer_load_dword v5, off, s[36:39], 0 offset:176
	buffer_load_dword v6, off, s[36:39], 0 offset:180
	;; [unrolled: 1-line block ×4, first 2 shown]
	v_cmp_gt_i32_e64 s0, s11, v0
	s_waitcnt vmcnt(3)
	v_cndmask_b32_e64 v5, 0, v5, s0
	v_cmp_gt_i32_e64 s0, s11, v126
	s_waitcnt vmcnt(2)
	v_cndmask_b32_e64 v6, 0, v6, s0
	;; [unrolled: 3-line block ×4, first 2 shown]
	buffer_store_dword v5, off, s[36:39], 0 offset:176 ; 4-byte Folded Spill
	buffer_store_dword v6, off, s[36:39], 0 offset:180 ; 4-byte Folded Spill
	;; [unrolled: 1-line block ×4, first 2 shown]
.LBB52_50:                              ;   in Loop: Header=BB52_26 Depth=1
	s_or_b32 exec_lo, exec_lo, s14
	v_add_co_u32 v5, s0, 0x1800, v17
	v_add_co_ci_u32_e64 v6, null, 0, v18, s0
	global_load_dwordx4 v[11:14], v[5:6], off
	s_waitcnt vmcnt(0)
	buffer_store_dword v11, off, s[36:39], 0 offset:192 ; 4-byte Folded Spill
	buffer_store_dword v12, off, s[36:39], 0 offset:196 ; 4-byte Folded Spill
	buffer_store_dword v13, off, s[36:39], 0 offset:200 ; 4-byte Folded Spill
	buffer_store_dword v14, off, s[36:39], 0 offset:204 ; 4-byte Folded Spill
	s_and_saveexec_b32 s14, vcc_lo
	s_cbranch_execz .LBB52_52
; %bb.51:                               ;   in Loop: Header=BB52_26 Depth=1
	s_clause 0x3
	buffer_load_dword v11, off, s[36:39], 0 offset:192
	buffer_load_dword v12, off, s[36:39], 0 offset:196
	buffer_load_dword v13, off, s[36:39], 0 offset:200
	buffer_load_dword v14, off, s[36:39], 0 offset:204
	v_cmp_gt_i32_e64 s0, s11, v0
	s_waitcnt vmcnt(3)
	v_cndmask_b32_e64 v11, 0, v11, s0
	v_cmp_gt_i32_e64 s0, s11, v126
	s_waitcnt vmcnt(2)
	v_cndmask_b32_e64 v12, 0, v12, s0
	v_cmp_gt_i32_e64 s0, s11, v125
	s_waitcnt vmcnt(1)
	v_cndmask_b32_e64 v13, 0, v13, s0
	v_cmp_gt_i32_e64 s0, s11, v127
	s_waitcnt vmcnt(0)
	v_cndmask_b32_e64 v14, 0, v14, s0
	buffer_store_dword v11, off, s[36:39], 0 offset:192 ; 4-byte Folded Spill
	buffer_store_dword v12, off, s[36:39], 0 offset:196 ; 4-byte Folded Spill
	buffer_store_dword v13, off, s[36:39], 0 offset:200 ; 4-byte Folded Spill
	buffer_store_dword v14, off, s[36:39], 0 offset:204 ; 4-byte Folded Spill
.LBB52_52:                              ;   in Loop: Header=BB52_26 Depth=1
	s_or_b32 exec_lo, exec_lo, s14
	global_load_dwordx4 v[11:14], v[5:6], off offset:512
	s_waitcnt vmcnt(0)
	buffer_store_dword v11, off, s[36:39], 0 offset:208 ; 4-byte Folded Spill
	buffer_store_dword v12, off, s[36:39], 0 offset:212 ; 4-byte Folded Spill
	buffer_store_dword v13, off, s[36:39], 0 offset:216 ; 4-byte Folded Spill
	buffer_store_dword v14, off, s[36:39], 0 offset:220 ; 4-byte Folded Spill
	s_and_saveexec_b32 s14, vcc_lo
	s_cbranch_execz .LBB52_54
; %bb.53:                               ;   in Loop: Header=BB52_26 Depth=1
	s_clause 0x3
	buffer_load_dword v11, off, s[36:39], 0 offset:208
	buffer_load_dword v12, off, s[36:39], 0 offset:212
	buffer_load_dword v13, off, s[36:39], 0 offset:216
	buffer_load_dword v14, off, s[36:39], 0 offset:220
	v_cmp_gt_i32_e64 s0, s11, v0
	s_waitcnt vmcnt(3)
	v_cndmask_b32_e64 v11, 0, v11, s0
	v_cmp_gt_i32_e64 s0, s11, v126
	s_waitcnt vmcnt(2)
	v_cndmask_b32_e64 v12, 0, v12, s0
	v_cmp_gt_i32_e64 s0, s11, v125
	s_waitcnt vmcnt(1)
	v_cndmask_b32_e64 v13, 0, v13, s0
	v_cmp_gt_i32_e64 s0, s11, v127
	s_waitcnt vmcnt(0)
	v_cndmask_b32_e64 v14, 0, v14, s0
	buffer_store_dword v11, off, s[36:39], 0 offset:208 ; 4-byte Folded Spill
	buffer_store_dword v12, off, s[36:39], 0 offset:212 ; 4-byte Folded Spill
	buffer_store_dword v13, off, s[36:39], 0 offset:216 ; 4-byte Folded Spill
	buffer_store_dword v14, off, s[36:39], 0 offset:220 ; 4-byte Folded Spill
.LBB52_54:                              ;   in Loop: Header=BB52_26 Depth=1
	s_or_b32 exec_lo, exec_lo, s14
	global_load_dwordx4 v[11:14], v[5:6], off offset:1024
	;; [unrolled: 32-line block ×3, first 2 shown]
	s_waitcnt vmcnt(0)
	buffer_store_dword v5, off, s[36:39], 0 offset:240 ; 4-byte Folded Spill
	buffer_store_dword v6, off, s[36:39], 0 offset:244 ; 4-byte Folded Spill
	;; [unrolled: 1-line block ×4, first 2 shown]
	s_and_saveexec_b32 s14, vcc_lo
	s_cbranch_execz .LBB52_58
; %bb.57:                               ;   in Loop: Header=BB52_26 Depth=1
	s_clause 0x3
	buffer_load_dword v5, off, s[36:39], 0 offset:240
	buffer_load_dword v6, off, s[36:39], 0 offset:244
	;; [unrolled: 1-line block ×4, first 2 shown]
	v_cmp_gt_i32_e64 s0, s11, v0
	s_waitcnt vmcnt(3)
	v_cndmask_b32_e64 v5, 0, v5, s0
	v_cmp_gt_i32_e64 s0, s11, v126
	s_waitcnt vmcnt(2)
	v_cndmask_b32_e64 v6, 0, v6, s0
	;; [unrolled: 3-line block ×4, first 2 shown]
	buffer_store_dword v5, off, s[36:39], 0 offset:240 ; 4-byte Folded Spill
	buffer_store_dword v6, off, s[36:39], 0 offset:244 ; 4-byte Folded Spill
	;; [unrolled: 1-line block ×4, first 2 shown]
.LBB52_58:                              ;   in Loop: Header=BB52_26 Depth=1
	s_or_b32 exec_lo, exec_lo, s14
	v_add_co_u32 v5, s0, 0x2000, v17
	v_add_co_ci_u32_e64 v6, null, 0, v18, s0
	global_load_dwordx4 v[11:14], v[5:6], off
	s_waitcnt vmcnt(0)
	buffer_store_dword v11, off, s[36:39], 0 offset:256 ; 4-byte Folded Spill
	buffer_store_dword v12, off, s[36:39], 0 offset:260 ; 4-byte Folded Spill
	;; [unrolled: 1-line block ×4, first 2 shown]
	s_and_saveexec_b32 s14, vcc_lo
	s_cbranch_execz .LBB52_60
; %bb.59:                               ;   in Loop: Header=BB52_26 Depth=1
	s_clause 0x3
	buffer_load_dword v11, off, s[36:39], 0 offset:256
	buffer_load_dword v12, off, s[36:39], 0 offset:260
	;; [unrolled: 1-line block ×4, first 2 shown]
	v_cmp_gt_i32_e64 s0, s11, v0
	s_waitcnt vmcnt(3)
	v_cndmask_b32_e64 v11, 0, v11, s0
	v_cmp_gt_i32_e64 s0, s11, v126
	s_waitcnt vmcnt(2)
	v_cndmask_b32_e64 v12, 0, v12, s0
	v_cmp_gt_i32_e64 s0, s11, v125
	s_waitcnt vmcnt(1)
	v_cndmask_b32_e64 v13, 0, v13, s0
	v_cmp_gt_i32_e64 s0, s11, v127
	s_waitcnt vmcnt(0)
	v_cndmask_b32_e64 v14, 0, v14, s0
	buffer_store_dword v11, off, s[36:39], 0 offset:256 ; 4-byte Folded Spill
	buffer_store_dword v12, off, s[36:39], 0 offset:260 ; 4-byte Folded Spill
	;; [unrolled: 1-line block ×4, first 2 shown]
.LBB52_60:                              ;   in Loop: Header=BB52_26 Depth=1
	s_or_b32 exec_lo, exec_lo, s14
	global_load_dwordx4 v[11:14], v[5:6], off offset:512
	s_waitcnt vmcnt(0)
	buffer_store_dword v11, off, s[36:39], 0 offset:272 ; 4-byte Folded Spill
	buffer_store_dword v12, off, s[36:39], 0 offset:276 ; 4-byte Folded Spill
	;; [unrolled: 1-line block ×4, first 2 shown]
	s_and_saveexec_b32 s14, vcc_lo
	s_cbranch_execnz .LBB52_99
; %bb.61:                               ;   in Loop: Header=BB52_26 Depth=1
	s_or_b32 exec_lo, exec_lo, s14
	global_load_dwordx4 v[77:80], v[5:6], off offset:1024
	s_and_saveexec_b32 s14, vcc_lo
	s_cbranch_execnz .LBB52_100
.LBB52_62:                              ;   in Loop: Header=BB52_26 Depth=1
	s_or_b32 exec_lo, exec_lo, s14
	global_load_dwordx4 v[81:84], v[5:6], off offset:1536
	s_and_saveexec_b32 s14, vcc_lo
	s_cbranch_execz .LBB52_64
.LBB52_63:                              ;   in Loop: Header=BB52_26 Depth=1
	v_cmp_gt_i32_e64 s0, s11, v0
	s_waitcnt vmcnt(0)
	v_cndmask_b32_e64 v81, 0, v81, s0
	v_cmp_gt_i32_e64 s0, s11, v126
	v_cndmask_b32_e64 v82, 0, v82, s0
	v_cmp_gt_i32_e64 s0, s11, v125
	;; [unrolled: 2-line block ×3, first 2 shown]
	v_cndmask_b32_e64 v84, 0, v84, s0
.LBB52_64:                              ;   in Loop: Header=BB52_26 Depth=1
	s_or_b32 exec_lo, exec_lo, s14
	v_add_co_u32 v5, s0, 0x2800, v17
	v_add_co_ci_u32_e64 v6, null, 0, v18, s0
	global_load_dwordx4 v[85:88], v[5:6], off
	s_and_saveexec_b32 s14, vcc_lo
	s_cbranch_execnz .LBB52_101
; %bb.65:                               ;   in Loop: Header=BB52_26 Depth=1
	s_or_b32 exec_lo, exec_lo, s14
	global_load_dwordx4 v[89:92], v[5:6], off offset:512
	s_and_saveexec_b32 s14, vcc_lo
	s_cbranch_execnz .LBB52_102
.LBB52_66:                              ;   in Loop: Header=BB52_26 Depth=1
	s_or_b32 exec_lo, exec_lo, s14
	global_load_dwordx4 v[93:96], v[5:6], off offset:1024
	s_and_saveexec_b32 s14, vcc_lo
	s_cbranch_execnz .LBB52_103
.LBB52_67:                              ;   in Loop: Header=BB52_26 Depth=1
	s_or_b32 exec_lo, exec_lo, s14
	global_load_dwordx4 v[97:100], v[5:6], off offset:1536
	s_and_saveexec_b32 s14, vcc_lo
	s_cbranch_execz .LBB52_69
.LBB52_68:                              ;   in Loop: Header=BB52_26 Depth=1
	v_cmp_gt_i32_e64 s0, s11, v0
	s_waitcnt vmcnt(0)
	v_cndmask_b32_e64 v97, 0, v97, s0
	v_cmp_gt_i32_e64 s0, s11, v126
	v_cndmask_b32_e64 v98, 0, v98, s0
	v_cmp_gt_i32_e64 s0, s11, v125
	;; [unrolled: 2-line block ×3, first 2 shown]
	v_cndmask_b32_e64 v100, 0, v100, s0
.LBB52_69:                              ;   in Loop: Header=BB52_26 Depth=1
	s_or_b32 exec_lo, exec_lo, s14
	v_add_co_u32 v5, s0, 0x3000, v17
	v_add_co_ci_u32_e64 v6, null, 0, v18, s0
	global_load_dwordx4 v[101:104], v[5:6], off
	s_and_saveexec_b32 s14, vcc_lo
	s_cbranch_execnz .LBB52_104
; %bb.70:                               ;   in Loop: Header=BB52_26 Depth=1
	s_or_b32 exec_lo, exec_lo, s14
	global_load_dwordx4 v[105:108], v[5:6], off offset:512
	s_and_saveexec_b32 s14, vcc_lo
	s_cbranch_execnz .LBB52_105
.LBB52_71:                              ;   in Loop: Header=BB52_26 Depth=1
	s_or_b32 exec_lo, exec_lo, s14
	global_load_dwordx4 v[109:112], v[5:6], off offset:1024
	s_and_saveexec_b32 s14, vcc_lo
	s_cbranch_execnz .LBB52_106
.LBB52_72:                              ;   in Loop: Header=BB52_26 Depth=1
	s_or_b32 exec_lo, exec_lo, s14
	global_load_dwordx4 v[113:116], v[5:6], off offset:1536
	s_and_saveexec_b32 s14, vcc_lo
	s_cbranch_execz .LBB52_74
.LBB52_73:                              ;   in Loop: Header=BB52_26 Depth=1
	v_cmp_gt_i32_e64 s0, s11, v0
	s_waitcnt vmcnt(0)
	v_cndmask_b32_e64 v113, 0, v113, s0
	v_cmp_gt_i32_e64 s0, s11, v126
	v_cndmask_b32_e64 v114, 0, v114, s0
	v_cmp_gt_i32_e64 s0, s11, v125
	;; [unrolled: 2-line block ×3, first 2 shown]
	v_cndmask_b32_e64 v116, 0, v116, s0
.LBB52_74:                              ;   in Loop: Header=BB52_26 Depth=1
	s_or_b32 exec_lo, exec_lo, s14
	v_add_co_u32 v5, s0, 0x3800, v17
	v_add_co_ci_u32_e64 v6, null, 0, v18, s0
	global_load_dwordx4 v[117:120], v[5:6], off
	s_and_saveexec_b32 s14, vcc_lo
	s_cbranch_execnz .LBB52_107
; %bb.75:                               ;   in Loop: Header=BB52_26 Depth=1
	s_or_b32 exec_lo, exec_lo, s14
	global_load_dwordx4 v[121:124], v[5:6], off offset:512
	s_and_saveexec_b32 s14, vcc_lo
	s_cbranch_execnz .LBB52_108
.LBB52_76:                              ;   in Loop: Header=BB52_26 Depth=1
	s_or_b32 exec_lo, exec_lo, s14
	global_load_dwordx4 v[5:8], v[5:6], off offset:1024
	s_and_saveexec_b32 s14, vcc_lo
	s_cbranch_execz .LBB52_78
.LBB52_77:                              ;   in Loop: Header=BB52_26 Depth=1
	v_cmp_gt_i32_e64 s0, s11, v0
	s_waitcnt vmcnt(0)
	v_cndmask_b32_e64 v5, 0, v5, s0
	v_cmp_gt_i32_e64 s0, s11, v126
	v_cndmask_b32_e64 v6, 0, v6, s0
	v_cmp_gt_i32_e64 s0, s11, v125
	;; [unrolled: 2-line block ×3, first 2 shown]
	v_cndmask_b32_e64 v8, 0, v8, s0
.LBB52_78:                              ;   in Loop: Header=BB52_26 Depth=1
	s_or_b32 exec_lo, exec_lo, s14
	buffer_load_dword v11, off, s[36:39], 0 offset:572 ; 4-byte Folded Reload
	s_waitcnt vmcnt(0)
	v_add_co_u32 v9, s0, v9, v11
	v_add_co_ci_u32_e64 v10, null, 0, v10, s0
	global_load_dwordx4 v[9:12], v[9:10], off
	s_and_saveexec_b32 s14, vcc_lo
	s_cbranch_execz .LBB52_80
; %bb.79:                               ;   in Loop: Header=BB52_26 Depth=1
	v_cmp_gt_i32_e64 s0, s11, v0
	s_waitcnt vmcnt(0)
	v_cndmask_b32_e64 v9, 0, v9, s0
	v_cmp_gt_i32_e64 s0, s11, v126
	v_cndmask_b32_e64 v10, 0, v10, s0
	v_cmp_gt_i32_e64 s0, s11, v125
	;; [unrolled: 2-line block ×3, first 2 shown]
	v_cndmask_b32_e64 v12, 0, v12, s0
.LBB52_80:                              ;   in Loop: Header=BB52_26 Depth=1
	s_or_b32 exec_lo, exec_lo, s14
	v_add_co_u32 v19, s0, 0x4000, v17
	v_add_co_ci_u32_e64 v20, null, 0, v18, s0
	global_load_dwordx4 v[13:16], v[19:20], off
	s_and_saveexec_b32 s14, vcc_lo
	s_cbranch_execnz .LBB52_109
; %bb.81:                               ;   in Loop: Header=BB52_26 Depth=1
	s_or_b32 exec_lo, exec_lo, s14
	global_load_dwordx4 v[21:24], v[19:20], off offset:512
	s_and_saveexec_b32 s14, vcc_lo
	s_cbranch_execnz .LBB52_110
.LBB52_82:                              ;   in Loop: Header=BB52_26 Depth=1
	s_or_b32 exec_lo, exec_lo, s14
	global_load_dwordx4 v[25:28], v[19:20], off offset:1024
	s_and_saveexec_b32 s14, vcc_lo
	s_cbranch_execnz .LBB52_111
.LBB52_83:                              ;   in Loop: Header=BB52_26 Depth=1
	s_or_b32 exec_lo, exec_lo, s14
	global_load_dwordx4 v[29:32], v[19:20], off offset:1536
	s_and_saveexec_b32 s14, vcc_lo
	s_cbranch_execz .LBB52_85
.LBB52_84:                              ;   in Loop: Header=BB52_26 Depth=1
	v_cmp_gt_i32_e64 s0, s11, v0
	s_waitcnt vmcnt(0)
	v_cndmask_b32_e64 v29, 0, v29, s0
	v_cmp_gt_i32_e64 s0, s11, v126
	v_cndmask_b32_e64 v30, 0, v30, s0
	v_cmp_gt_i32_e64 s0, s11, v125
	;; [unrolled: 2-line block ×3, first 2 shown]
	v_cndmask_b32_e64 v32, 0, v32, s0
.LBB52_85:                              ;   in Loop: Header=BB52_26 Depth=1
	s_or_b32 exec_lo, exec_lo, s14
	v_add_co_u32 v19, s0, 0x4800, v17
	v_add_co_ci_u32_e64 v20, null, 0, v18, s0
	global_load_dwordx4 v[33:36], v[19:20], off
	s_and_saveexec_b32 s14, vcc_lo
	s_cbranch_execnz .LBB52_112
; %bb.86:                               ;   in Loop: Header=BB52_26 Depth=1
	s_or_b32 exec_lo, exec_lo, s14
	global_load_dwordx4 v[37:40], v[19:20], off offset:512
	s_and_saveexec_b32 s14, vcc_lo
	s_cbranch_execnz .LBB52_113
.LBB52_87:                              ;   in Loop: Header=BB52_26 Depth=1
	s_or_b32 exec_lo, exec_lo, s14
	global_load_dwordx4 v[41:44], v[19:20], off offset:1024
	s_and_saveexec_b32 s14, vcc_lo
	s_cbranch_execnz .LBB52_114
.LBB52_88:                              ;   in Loop: Header=BB52_26 Depth=1
	s_or_b32 exec_lo, exec_lo, s14
	global_load_dwordx4 v[45:48], v[19:20], off offset:1536
	s_and_saveexec_b32 s14, vcc_lo
	s_cbranch_execz .LBB52_90
.LBB52_89:                              ;   in Loop: Header=BB52_26 Depth=1
	v_cmp_gt_i32_e64 s0, s11, v0
	s_waitcnt vmcnt(0)
	v_cndmask_b32_e64 v45, 0, v45, s0
	v_cmp_gt_i32_e64 s0, s11, v126
	v_cndmask_b32_e64 v46, 0, v46, s0
	v_cmp_gt_i32_e64 s0, s11, v125
	;; [unrolled: 2-line block ×3, first 2 shown]
	v_cndmask_b32_e64 v48, 0, v48, s0
.LBB52_90:                              ;   in Loop: Header=BB52_26 Depth=1
	s_or_b32 exec_lo, exec_lo, s14
	v_add_co_u32 v19, s0, 0x5000, v17
	v_add_co_ci_u32_e64 v20, null, 0, v18, s0
	global_load_dwordx4 v[49:52], v[19:20], off
	s_and_saveexec_b32 s14, vcc_lo
	s_cbranch_execnz .LBB52_115
; %bb.91:                               ;   in Loop: Header=BB52_26 Depth=1
	s_or_b32 exec_lo, exec_lo, s14
	global_load_dwordx4 v[53:56], v[19:20], off offset:512
	s_and_saveexec_b32 s14, vcc_lo
	s_cbranch_execnz .LBB52_116
.LBB52_92:                              ;   in Loop: Header=BB52_26 Depth=1
	s_or_b32 exec_lo, exec_lo, s14
	global_load_dwordx4 v[57:60], v[19:20], off offset:1024
	s_and_saveexec_b32 s14, vcc_lo
	s_cbranch_execnz .LBB52_117
.LBB52_93:                              ;   in Loop: Header=BB52_26 Depth=1
	s_or_b32 exec_lo, exec_lo, s14
	global_load_dwordx4 v[61:64], v[19:20], off offset:1536
	s_and_saveexec_b32 s14, vcc_lo
	s_cbranch_execz .LBB52_95
.LBB52_94:                              ;   in Loop: Header=BB52_26 Depth=1
	v_cmp_gt_i32_e64 s0, s11, v0
	s_waitcnt vmcnt(0)
	v_cndmask_b32_e64 v61, 0, v61, s0
	v_cmp_gt_i32_e64 s0, s11, v126
	v_cndmask_b32_e64 v62, 0, v62, s0
	v_cmp_gt_i32_e64 s0, s11, v125
	;; [unrolled: 2-line block ×3, first 2 shown]
	v_cndmask_b32_e64 v64, 0, v64, s0
.LBB52_95:                              ;   in Loop: Header=BB52_26 Depth=1
	s_or_b32 exec_lo, exec_lo, s14
	v_add_co_u32 v17, s0, 0x5800, v17
	v_add_co_ci_u32_e64 v18, null, 0, v18, s0
	global_load_dwordx4 v[65:68], v[17:18], off
	s_and_saveexec_b32 s14, vcc_lo
	s_cbranch_execnz .LBB52_118
; %bb.96:                               ;   in Loop: Header=BB52_26 Depth=1
	s_or_b32 exec_lo, exec_lo, s14
	global_load_dwordx4 v[69:72], v[17:18], off offset:512
	s_and_saveexec_b32 s14, vcc_lo
	s_cbranch_execnz .LBB52_119
.LBB52_97:                              ;   in Loop: Header=BB52_26 Depth=1
	s_or_b32 exec_lo, exec_lo, s14
	global_load_dwordx4 v[73:76], v[17:18], off offset:1024
	s_and_saveexec_b32 s14, vcc_lo
	s_cbranch_execnz .LBB52_120
.LBB52_98:                              ;   in Loop: Header=BB52_26 Depth=1
	s_or_b32 exec_lo, exec_lo, s14
	global_load_dwordx4 v[17:20], v[17:18], off offset:1536
	s_and_saveexec_b32 s0, vcc_lo
	s_cbranch_execz .LBB52_25
	s_branch .LBB52_121
.LBB52_99:                              ;   in Loop: Header=BB52_26 Depth=1
	s_clause 0x3
	buffer_load_dword v11, off, s[36:39], 0 offset:272
	buffer_load_dword v12, off, s[36:39], 0 offset:276
	;; [unrolled: 1-line block ×4, first 2 shown]
	v_cmp_gt_i32_e64 s0, s11, v0
	s_waitcnt vmcnt(3)
	v_cndmask_b32_e64 v11, 0, v11, s0
	v_cmp_gt_i32_e64 s0, s11, v126
	s_waitcnt vmcnt(2)
	v_cndmask_b32_e64 v12, 0, v12, s0
	v_cmp_gt_i32_e64 s0, s11, v125
	s_waitcnt vmcnt(1)
	v_cndmask_b32_e64 v13, 0, v13, s0
	v_cmp_gt_i32_e64 s0, s11, v127
	s_waitcnt vmcnt(0)
	v_cndmask_b32_e64 v14, 0, v14, s0
	buffer_store_dword v11, off, s[36:39], 0 offset:272 ; 4-byte Folded Spill
	buffer_store_dword v12, off, s[36:39], 0 offset:276 ; 4-byte Folded Spill
	;; [unrolled: 1-line block ×4, first 2 shown]
	s_or_b32 exec_lo, exec_lo, s14
	global_load_dwordx4 v[77:80], v[5:6], off offset:1024
	s_and_saveexec_b32 s14, vcc_lo
	s_cbranch_execz .LBB52_62
.LBB52_100:                             ;   in Loop: Header=BB52_26 Depth=1
	v_cmp_gt_i32_e64 s0, s11, v0
	s_waitcnt vmcnt(0)
	v_cndmask_b32_e64 v77, 0, v77, s0
	v_cmp_gt_i32_e64 s0, s11, v126
	v_cndmask_b32_e64 v78, 0, v78, s0
	v_cmp_gt_i32_e64 s0, s11, v125
	;; [unrolled: 2-line block ×3, first 2 shown]
	v_cndmask_b32_e64 v80, 0, v80, s0
	s_or_b32 exec_lo, exec_lo, s14
	global_load_dwordx4 v[81:84], v[5:6], off offset:1536
	s_and_saveexec_b32 s14, vcc_lo
	s_cbranch_execnz .LBB52_63
	s_branch .LBB52_64
.LBB52_101:                             ;   in Loop: Header=BB52_26 Depth=1
	v_cmp_gt_i32_e64 s0, s11, v0
	s_waitcnt vmcnt(0)
	v_cndmask_b32_e64 v85, 0, v85, s0
	v_cmp_gt_i32_e64 s0, s11, v126
	v_cndmask_b32_e64 v86, 0, v86, s0
	v_cmp_gt_i32_e64 s0, s11, v125
	;; [unrolled: 2-line block ×3, first 2 shown]
	v_cndmask_b32_e64 v88, 0, v88, s0
	s_or_b32 exec_lo, exec_lo, s14
	global_load_dwordx4 v[89:92], v[5:6], off offset:512
	s_and_saveexec_b32 s14, vcc_lo
	s_cbranch_execz .LBB52_66
.LBB52_102:                             ;   in Loop: Header=BB52_26 Depth=1
	v_cmp_gt_i32_e64 s0, s11, v0
	s_waitcnt vmcnt(0)
	v_cndmask_b32_e64 v89, 0, v89, s0
	v_cmp_gt_i32_e64 s0, s11, v126
	v_cndmask_b32_e64 v90, 0, v90, s0
	v_cmp_gt_i32_e64 s0, s11, v125
	;; [unrolled: 2-line block ×3, first 2 shown]
	v_cndmask_b32_e64 v92, 0, v92, s0
	s_or_b32 exec_lo, exec_lo, s14
	global_load_dwordx4 v[93:96], v[5:6], off offset:1024
	s_and_saveexec_b32 s14, vcc_lo
	s_cbranch_execz .LBB52_67
.LBB52_103:                             ;   in Loop: Header=BB52_26 Depth=1
	v_cmp_gt_i32_e64 s0, s11, v0
	s_waitcnt vmcnt(0)
	v_cndmask_b32_e64 v93, 0, v93, s0
	v_cmp_gt_i32_e64 s0, s11, v126
	v_cndmask_b32_e64 v94, 0, v94, s0
	v_cmp_gt_i32_e64 s0, s11, v125
	;; [unrolled: 2-line block ×3, first 2 shown]
	v_cndmask_b32_e64 v96, 0, v96, s0
	s_or_b32 exec_lo, exec_lo, s14
	global_load_dwordx4 v[97:100], v[5:6], off offset:1536
	s_and_saveexec_b32 s14, vcc_lo
	s_cbranch_execnz .LBB52_68
	s_branch .LBB52_69
.LBB52_104:                             ;   in Loop: Header=BB52_26 Depth=1
	v_cmp_gt_i32_e64 s0, s11, v0
	s_waitcnt vmcnt(0)
	v_cndmask_b32_e64 v101, 0, v101, s0
	v_cmp_gt_i32_e64 s0, s11, v126
	v_cndmask_b32_e64 v102, 0, v102, s0
	v_cmp_gt_i32_e64 s0, s11, v125
	;; [unrolled: 2-line block ×3, first 2 shown]
	v_cndmask_b32_e64 v104, 0, v104, s0
	s_or_b32 exec_lo, exec_lo, s14
	global_load_dwordx4 v[105:108], v[5:6], off offset:512
	s_and_saveexec_b32 s14, vcc_lo
	s_cbranch_execz .LBB52_71
.LBB52_105:                             ;   in Loop: Header=BB52_26 Depth=1
	v_cmp_gt_i32_e64 s0, s11, v0
	s_waitcnt vmcnt(0)
	v_cndmask_b32_e64 v105, 0, v105, s0
	v_cmp_gt_i32_e64 s0, s11, v126
	v_cndmask_b32_e64 v106, 0, v106, s0
	v_cmp_gt_i32_e64 s0, s11, v125
	;; [unrolled: 2-line block ×3, first 2 shown]
	v_cndmask_b32_e64 v108, 0, v108, s0
	s_or_b32 exec_lo, exec_lo, s14
	global_load_dwordx4 v[109:112], v[5:6], off offset:1024
	s_and_saveexec_b32 s14, vcc_lo
	s_cbranch_execz .LBB52_72
.LBB52_106:                             ;   in Loop: Header=BB52_26 Depth=1
	v_cmp_gt_i32_e64 s0, s11, v0
	s_waitcnt vmcnt(0)
	v_cndmask_b32_e64 v109, 0, v109, s0
	v_cmp_gt_i32_e64 s0, s11, v126
	v_cndmask_b32_e64 v110, 0, v110, s0
	v_cmp_gt_i32_e64 s0, s11, v125
	;; [unrolled: 2-line block ×3, first 2 shown]
	v_cndmask_b32_e64 v112, 0, v112, s0
	s_or_b32 exec_lo, exec_lo, s14
	global_load_dwordx4 v[113:116], v[5:6], off offset:1536
	s_and_saveexec_b32 s14, vcc_lo
	s_cbranch_execnz .LBB52_73
	s_branch .LBB52_74
.LBB52_107:                             ;   in Loop: Header=BB52_26 Depth=1
	v_cmp_gt_i32_e64 s0, s11, v0
	s_waitcnt vmcnt(0)
	v_cndmask_b32_e64 v117, 0, v117, s0
	v_cmp_gt_i32_e64 s0, s11, v126
	v_cndmask_b32_e64 v118, 0, v118, s0
	v_cmp_gt_i32_e64 s0, s11, v125
	;; [unrolled: 2-line block ×3, first 2 shown]
	v_cndmask_b32_e64 v120, 0, v120, s0
	s_or_b32 exec_lo, exec_lo, s14
	global_load_dwordx4 v[121:124], v[5:6], off offset:512
	s_and_saveexec_b32 s14, vcc_lo
	s_cbranch_execz .LBB52_76
.LBB52_108:                             ;   in Loop: Header=BB52_26 Depth=1
	v_cmp_gt_i32_e64 s0, s11, v0
	s_waitcnt vmcnt(0)
	v_cndmask_b32_e64 v121, 0, v121, s0
	v_cmp_gt_i32_e64 s0, s11, v126
	v_cndmask_b32_e64 v122, 0, v122, s0
	v_cmp_gt_i32_e64 s0, s11, v125
	;; [unrolled: 2-line block ×3, first 2 shown]
	v_cndmask_b32_e64 v124, 0, v124, s0
	s_or_b32 exec_lo, exec_lo, s14
	global_load_dwordx4 v[5:8], v[5:6], off offset:1024
	s_and_saveexec_b32 s14, vcc_lo
	s_cbranch_execnz .LBB52_77
	s_branch .LBB52_78
.LBB52_109:                             ;   in Loop: Header=BB52_26 Depth=1
	v_cmp_gt_i32_e64 s0, s11, v0
	s_waitcnt vmcnt(0)
	v_cndmask_b32_e64 v13, 0, v13, s0
	v_cmp_gt_i32_e64 s0, s11, v126
	v_cndmask_b32_e64 v14, 0, v14, s0
	v_cmp_gt_i32_e64 s0, s11, v125
	;; [unrolled: 2-line block ×3, first 2 shown]
	v_cndmask_b32_e64 v16, 0, v16, s0
	s_or_b32 exec_lo, exec_lo, s14
	global_load_dwordx4 v[21:24], v[19:20], off offset:512
	s_and_saveexec_b32 s14, vcc_lo
	s_cbranch_execz .LBB52_82
.LBB52_110:                             ;   in Loop: Header=BB52_26 Depth=1
	v_cmp_gt_i32_e64 s0, s11, v0
	s_waitcnt vmcnt(0)
	v_cndmask_b32_e64 v21, 0, v21, s0
	v_cmp_gt_i32_e64 s0, s11, v126
	v_cndmask_b32_e64 v22, 0, v22, s0
	v_cmp_gt_i32_e64 s0, s11, v125
	;; [unrolled: 2-line block ×3, first 2 shown]
	v_cndmask_b32_e64 v24, 0, v24, s0
	s_or_b32 exec_lo, exec_lo, s14
	global_load_dwordx4 v[25:28], v[19:20], off offset:1024
	s_and_saveexec_b32 s14, vcc_lo
	s_cbranch_execz .LBB52_83
.LBB52_111:                             ;   in Loop: Header=BB52_26 Depth=1
	v_cmp_gt_i32_e64 s0, s11, v0
	s_waitcnt vmcnt(0)
	v_cndmask_b32_e64 v25, 0, v25, s0
	v_cmp_gt_i32_e64 s0, s11, v126
	v_cndmask_b32_e64 v26, 0, v26, s0
	v_cmp_gt_i32_e64 s0, s11, v125
	;; [unrolled: 2-line block ×3, first 2 shown]
	v_cndmask_b32_e64 v28, 0, v28, s0
	s_or_b32 exec_lo, exec_lo, s14
	global_load_dwordx4 v[29:32], v[19:20], off offset:1536
	s_and_saveexec_b32 s14, vcc_lo
	s_cbranch_execnz .LBB52_84
	s_branch .LBB52_85
.LBB52_112:                             ;   in Loop: Header=BB52_26 Depth=1
	v_cmp_gt_i32_e64 s0, s11, v0
	s_waitcnt vmcnt(0)
	v_cndmask_b32_e64 v33, 0, v33, s0
	v_cmp_gt_i32_e64 s0, s11, v126
	v_cndmask_b32_e64 v34, 0, v34, s0
	v_cmp_gt_i32_e64 s0, s11, v125
	;; [unrolled: 2-line block ×3, first 2 shown]
	v_cndmask_b32_e64 v36, 0, v36, s0
	s_or_b32 exec_lo, exec_lo, s14
	global_load_dwordx4 v[37:40], v[19:20], off offset:512
	s_and_saveexec_b32 s14, vcc_lo
	s_cbranch_execz .LBB52_87
.LBB52_113:                             ;   in Loop: Header=BB52_26 Depth=1
	v_cmp_gt_i32_e64 s0, s11, v0
	s_waitcnt vmcnt(0)
	v_cndmask_b32_e64 v37, 0, v37, s0
	v_cmp_gt_i32_e64 s0, s11, v126
	v_cndmask_b32_e64 v38, 0, v38, s0
	v_cmp_gt_i32_e64 s0, s11, v125
	v_cndmask_b32_e64 v39, 0, v39, s0
	v_cmp_gt_i32_e64 s0, s11, v127
	v_cndmask_b32_e64 v40, 0, v40, s0
	s_or_b32 exec_lo, exec_lo, s14
	global_load_dwordx4 v[41:44], v[19:20], off offset:1024
	s_and_saveexec_b32 s14, vcc_lo
	s_cbranch_execz .LBB52_88
.LBB52_114:                             ;   in Loop: Header=BB52_26 Depth=1
	v_cmp_gt_i32_e64 s0, s11, v0
	s_waitcnt vmcnt(0)
	v_cndmask_b32_e64 v41, 0, v41, s0
	v_cmp_gt_i32_e64 s0, s11, v126
	v_cndmask_b32_e64 v42, 0, v42, s0
	v_cmp_gt_i32_e64 s0, s11, v125
	;; [unrolled: 2-line block ×3, first 2 shown]
	v_cndmask_b32_e64 v44, 0, v44, s0
	s_or_b32 exec_lo, exec_lo, s14
	global_load_dwordx4 v[45:48], v[19:20], off offset:1536
	s_and_saveexec_b32 s14, vcc_lo
	s_cbranch_execnz .LBB52_89
	s_branch .LBB52_90
.LBB52_115:                             ;   in Loop: Header=BB52_26 Depth=1
	v_cmp_gt_i32_e64 s0, s11, v0
	s_waitcnt vmcnt(0)
	v_cndmask_b32_e64 v49, 0, v49, s0
	v_cmp_gt_i32_e64 s0, s11, v126
	v_cndmask_b32_e64 v50, 0, v50, s0
	v_cmp_gt_i32_e64 s0, s11, v125
	;; [unrolled: 2-line block ×3, first 2 shown]
	v_cndmask_b32_e64 v52, 0, v52, s0
	s_or_b32 exec_lo, exec_lo, s14
	global_load_dwordx4 v[53:56], v[19:20], off offset:512
	s_and_saveexec_b32 s14, vcc_lo
	s_cbranch_execz .LBB52_92
.LBB52_116:                             ;   in Loop: Header=BB52_26 Depth=1
	v_cmp_gt_i32_e64 s0, s11, v0
	s_waitcnt vmcnt(0)
	v_cndmask_b32_e64 v53, 0, v53, s0
	v_cmp_gt_i32_e64 s0, s11, v126
	v_cndmask_b32_e64 v54, 0, v54, s0
	v_cmp_gt_i32_e64 s0, s11, v125
	v_cndmask_b32_e64 v55, 0, v55, s0
	v_cmp_gt_i32_e64 s0, s11, v127
	v_cndmask_b32_e64 v56, 0, v56, s0
	s_or_b32 exec_lo, exec_lo, s14
	global_load_dwordx4 v[57:60], v[19:20], off offset:1024
	s_and_saveexec_b32 s14, vcc_lo
	s_cbranch_execz .LBB52_93
.LBB52_117:                             ;   in Loop: Header=BB52_26 Depth=1
	v_cmp_gt_i32_e64 s0, s11, v0
	s_waitcnt vmcnt(0)
	v_cndmask_b32_e64 v57, 0, v57, s0
	v_cmp_gt_i32_e64 s0, s11, v126
	v_cndmask_b32_e64 v58, 0, v58, s0
	v_cmp_gt_i32_e64 s0, s11, v125
	;; [unrolled: 2-line block ×3, first 2 shown]
	v_cndmask_b32_e64 v60, 0, v60, s0
	s_or_b32 exec_lo, exec_lo, s14
	global_load_dwordx4 v[61:64], v[19:20], off offset:1536
	s_and_saveexec_b32 s14, vcc_lo
	s_cbranch_execnz .LBB52_94
	s_branch .LBB52_95
.LBB52_118:                             ;   in Loop: Header=BB52_26 Depth=1
	v_cmp_gt_i32_e64 s0, s11, v0
	s_waitcnt vmcnt(0)
	v_cndmask_b32_e64 v65, 0, v65, s0
	v_cmp_gt_i32_e64 s0, s11, v126
	v_cndmask_b32_e64 v66, 0, v66, s0
	v_cmp_gt_i32_e64 s0, s11, v125
	;; [unrolled: 2-line block ×3, first 2 shown]
	v_cndmask_b32_e64 v68, 0, v68, s0
	s_or_b32 exec_lo, exec_lo, s14
	global_load_dwordx4 v[69:72], v[17:18], off offset:512
	s_and_saveexec_b32 s14, vcc_lo
	s_cbranch_execz .LBB52_97
.LBB52_119:                             ;   in Loop: Header=BB52_26 Depth=1
	v_cmp_gt_i32_e64 s0, s11, v0
	s_waitcnt vmcnt(0)
	v_cndmask_b32_e64 v69, 0, v69, s0
	v_cmp_gt_i32_e64 s0, s11, v126
	v_cndmask_b32_e64 v70, 0, v70, s0
	v_cmp_gt_i32_e64 s0, s11, v125
	;; [unrolled: 2-line block ×3, first 2 shown]
	v_cndmask_b32_e64 v72, 0, v72, s0
	s_or_b32 exec_lo, exec_lo, s14
	global_load_dwordx4 v[73:76], v[17:18], off offset:1024
	s_and_saveexec_b32 s14, vcc_lo
	s_cbranch_execz .LBB52_98
.LBB52_120:                             ;   in Loop: Header=BB52_26 Depth=1
	v_cmp_gt_i32_e64 s0, s11, v0
	s_waitcnt vmcnt(0)
	v_cndmask_b32_e64 v73, 0, v73, s0
	v_cmp_gt_i32_e64 s0, s11, v126
	v_cndmask_b32_e64 v74, 0, v74, s0
	v_cmp_gt_i32_e64 s0, s11, v125
	v_cndmask_b32_e64 v75, 0, v75, s0
	v_cmp_gt_i32_e64 s0, s11, v127
	v_cndmask_b32_e64 v76, 0, v76, s0
	s_or_b32 exec_lo, exec_lo, s14
	global_load_dwordx4 v[17:20], v[17:18], off offset:1536
	s_and_saveexec_b32 s0, vcc_lo
	s_cbranch_execz .LBB52_25
.LBB52_121:                             ;   in Loop: Header=BB52_26 Depth=1
	v_cmp_gt_i32_e32 vcc_lo, s11, v0
	s_waitcnt vmcnt(0)
	v_cndmask_b32_e32 v17, 0, v17, vcc_lo
	v_cmp_gt_i32_e32 vcc_lo, s11, v126
	v_cndmask_b32_e32 v18, 0, v18, vcc_lo
	v_cmp_gt_i32_e32 vcc_lo, s11, v125
	;; [unrolled: 2-line block ×3, first 2 shown]
	v_cndmask_b32_e32 v20, 0, v20, vcc_lo
	s_branch .LBB52_25
.LBB52_122:
	s_or_b32 exec_lo, exec_lo, s5
	s_clause 0x25
	buffer_load_dword v71, off, s[36:39], 0 offset:596
	buffer_load_dword v127, off, s[36:39], 0 offset:600
	;; [unrolled: 1-line block ×38, first 2 shown]
.LBB52_123:
	s_or_b32 exec_lo, exec_lo, s1
	s_clause 0x8
	buffer_load_dword v55, off, s[36:39], 0 offset:588
	buffer_load_dword v64, off, s[36:39], 0 offset:368
	;; [unrolled: 1-line block ×9, first 2 shown]
	s_waitcnt vmcnt(11)
	v_mov_b32_e32 v24, v1
	v_mov_b32_e32 v22, v6
	s_waitcnt vmcnt(10)
	v_mov_b32_e32 v25, v2
	v_mov_b32_e32 v35, v4
	;; [unrolled: 3-line block ×3, first 2 shown]
	v_mov_b32_e32 v21, v3
	v_mov_b32_e32 v14, v10
	;; [unrolled: 1-line block ×5, first 2 shown]
	s_mov_b32 s1, exec_lo
	v_mov_b32_e32 v30, v14
	v_mov_b32_e32 v46, v16
	;; [unrolled: 1-line block ×3, first 2 shown]
	s_waitcnt vmcnt(8)
	ds_bpermute_b32 v0, v55, v1
	ds_bpermute_b32 v1, v55, v5
	;; [unrolled: 1-line block ×4, first 2 shown]
	s_waitcnt vmcnt(7)
	ds_bpermute_b32 v5, v55, v64
	s_waitcnt vmcnt(4)
	ds_bpermute_b32 v6, v55, v29
	ds_bpermute_b32 v3, v55, v3
	s_waitcnt vmcnt(3)
	ds_bpermute_b32 v7, v55, v23
	ds_bpermute_b32 v11, v55, v20
	;; [unrolled: 1-line block ×3, first 2 shown]
	s_waitcnt vmcnt(2)
	ds_bpermute_b32 v8, v55, v28
	s_waitcnt vmcnt(0)
	ds_bpermute_b32 v10, v55, v26
	ds_bpermute_b32 v13, v55, v18
	;; [unrolled: 1-line block ×7, first 2 shown]
	s_waitcnt lgkmcnt(17)
	v_add_f32_e32 v0, v24, v0
	s_waitcnt lgkmcnt(16)
	v_add_f32_e32 v1, v31, v1
	v_mov_b32_e32 v31, v18
	v_mov_b32_e32 v24, v19
	s_waitcnt lgkmcnt(15)
	v_add_f32_e32 v2, v25, v2
	ds_bpermute_b32 v18, v65, v0
	ds_bpermute_b32 v19, v65, v1
	v_mov_b32_e32 v25, v20
	s_waitcnt lgkmcnt(16)
	v_add_f32_e32 v4, v35, v4
	s_waitcnt lgkmcnt(15)
	v_add_f32_e32 v5, v64, v5
	;; [unrolled: 2-line block ×4, first 2 shown]
	ds_bpermute_b32 v20, v65, v2
	s_waitcnt lgkmcnt(13)
	v_add_f32_e32 v7, v23, v7
	ds_bpermute_b32 v23, v65, v4
	s_waitcnt lgkmcnt(13)
	v_add_f32_e32 v11, v25, v11
	s_waitcnt lgkmcnt(12)
	v_add_f32_e32 v12, v24, v12
	ds_bpermute_b32 v24, v65, v5
	ds_bpermute_b32 v25, v65, v6
	;; [unrolled: 1-line block ×3, first 2 shown]
	s_waitcnt lgkmcnt(14)
	v_add_f32_e32 v8, v28, v8
	s_waitcnt lgkmcnt(13)
	v_add_f32_e32 v10, v26, v10
	ds_bpermute_b32 v26, v65, v7
	s_waitcnt lgkmcnt(12)
	v_add_f32_e32 v9, v27, v9
	s_waitcnt lgkmcnt(11)
	v_add_f32_e32 v14, v30, v14
	;; [unrolled: 2-line block ×3, first 2 shown]
	ds_bpermute_b32 v27, v65, v8
	s_waitcnt lgkmcnt(7)
	v_add_f32_e32 v1, v1, v19
	ds_bpermute_b32 v18, v65, v10
	ds_bpermute_b32 v30, v65, v12
	;; [unrolled: 1-line block ×3, first 2 shown]
	v_mov_b32_e32 v35, v22
	s_waitcnt lgkmcnt(9)
	v_add_f32_e32 v2, v2, v20
	ds_bpermute_b32 v22, v55, v22
	s_waitcnt lgkmcnt(9)
	v_add_f32_e32 v4, v4, v23
	ds_bpermute_b32 v23, v65, v11
	ds_bpermute_b32 v28, v65, v9
	s_waitcnt lgkmcnt(10)
	v_add_f32_e32 v5, v5, v24
	s_waitcnt lgkmcnt(9)
	v_add_f32_e32 v6, v6, v25
	;; [unrolled: 2-line block ×3, first 2 shown]
	ds_bpermute_b32 v20, v70, v1
	ds_bpermute_b32 v21, v70, v2
	v_add_f32_e32 v13, v31, v13
	s_waitcnt lgkmcnt(9)
	v_add_f32_e32 v7, v7, v26
	ds_bpermute_b32 v24, v70, v5
	ds_bpermute_b32 v25, v70, v6
	s_waitcnt lgkmcnt(10)
	v_add_f32_e32 v8, v8, v27
	ds_bpermute_b32 v29, v70, v3
	ds_bpermute_b32 v26, v70, v7
	s_waitcnt lgkmcnt(11)
	v_add_f32_e32 v10, v10, v18
	s_waitcnt lgkmcnt(9)
	v_add_f32_e32 v0, v0, v19
	ds_bpermute_b32 v18, v65, v13
	ds_bpermute_b32 v19, v65, v14
	;; [unrolled: 1-line block ×3, first 2 shown]
	v_add_f32_e32 v12, v12, v30
	s_waitcnt lgkmcnt(10)
	v_add_f32_e32 v11, v11, v23
	v_add_f32_e32 v15, v47, v15
	;; [unrolled: 1-line block ×3, first 2 shown]
	s_waitcnt lgkmcnt(9)
	v_add_f32_e32 v9, v9, v28
	ds_bpermute_b32 v23, v70, v12
	s_waitcnt lgkmcnt(9)
	v_add_f32_e32 v1, v1, v20
	s_waitcnt lgkmcnt(8)
	v_add_f32_e32 v2, v2, v21
	ds_bpermute_b32 v20, v70, v10
	ds_bpermute_b32 v21, v70, v11
	s_waitcnt lgkmcnt(9)
	v_add_f32_e32 v5, v5, v24
	ds_bpermute_b32 v24, v65, v15
	s_waitcnt lgkmcnt(9)
	v_add_f32_e32 v6, v6, v25
	ds_bpermute_b32 v25, v65, v16
	v_add_f32_e32 v22, v35, v22
	ds_bpermute_b32 v28, v70, v9
	v_add_f32_e32 v17, v36, v17
	s_waitcnt lgkmcnt(9)
	v_add_f32_e32 v7, v7, v26
	s_waitcnt lgkmcnt(8)
	v_add_f32_e32 v13, v13, v18
	ds_bpermute_b32 v18, v65, v22
	s_waitcnt lgkmcnt(8)
	v_add_f32_e32 v14, v14, v19
	ds_bpermute_b32 v19, v55, v34
	ds_bpermute_b32 v26, v55, v33
	;; [unrolled: 1-line block ×3, first 2 shown]
	v_add_f32_e32 v3, v3, v29
	ds_bpermute_b32 v29, v65, v17
	s_waitcnt lgkmcnt(11)
	v_add_f32_e32 v8, v8, v27
	ds_bpermute_b32 v27, v55, v32
	s_waitcnt lgkmcnt(10)
	v_add_f32_e32 v10, v10, v20
	s_waitcnt lgkmcnt(9)
	v_add_f32_e32 v11, v11, v21
	v_add_f32_e32 v12, v12, v23
	ds_bpermute_b32 v20, v70, v13
	ds_bpermute_b32 v21, v70, v14
	;; [unrolled: 1-line block ×3, first 2 shown]
	s_waitcnt lgkmcnt(11)
	v_add_f32_e32 v15, v15, v24
	ds_bpermute_b32 v24, v55, v41
	s_waitcnt lgkmcnt(11)
	v_add_f32_e32 v16, v16, v25
	ds_bpermute_b32 v25, v55, v40
	;; [unrolled: 3-line block ×3, first 2 shown]
	ds_bpermute_b32 v30, v55, v37
	s_waitcnt lgkmcnt(12)
	v_add_f32_e32 v18, v22, v18
	s_waitcnt lgkmcnt(11)
	v_add_f32_e32 v19, v34, v19
	;; [unrolled: 2-line block ×5, first 2 shown]
	ds_bpermute_b32 v29, v70, v15
	ds_bpermute_b32 v31, v70, v16
	s_waitcnt lgkmcnt(9)
	v_add_f32_e32 v27, v32, v27
	ds_bpermute_b32 v32, v70, v18
	ds_bpermute_b32 v34, v65, v19
	ds_bpermute_b32 v35, v65, v26
	s_waitcnt lgkmcnt(11)
	v_add_f32_e32 v13, v13, v20
	s_waitcnt lgkmcnt(9)
	v_add_f32_e32 v23, v42, v23
	v_add_f32_e32 v14, v14, v21
	s_waitcnt lgkmcnt(8)
	v_add_f32_e32 v20, v41, v24
	ds_bpermute_b32 v22, v70, v17
	s_waitcnt lgkmcnt(8)
	v_add_f32_e32 v21, v40, v25
	ds_bpermute_b32 v33, v55, v38
	ds_bpermute_b32 v36, v65, v27
	;; [unrolled: 1-line block ×3, first 2 shown]
	s_waitcnt lgkmcnt(10)
	v_add_f32_e32 v25, v39, v28
	ds_bpermute_b32 v28, v65, v20
	s_waitcnt lgkmcnt(10)
	v_add_f32_e32 v30, v37, v30
	ds_bpermute_b32 v37, v65, v21
	v_mov_b32_e32 v64, v56
	s_waitcnt lgkmcnt(10)
	v_add_f32_e32 v15, v15, v29
	ds_bpermute_b32 v29, v65, v25
	s_waitcnt lgkmcnt(10)
	v_add_f32_e32 v16, v16, v31
	ds_bpermute_b32 v31, v65, v30
	s_waitcnt lgkmcnt(10)
	v_add_f32_e32 v18, v18, v32
	s_waitcnt lgkmcnt(9)
	v_add_f32_e32 v19, v19, v34
	;; [unrolled: 2-line block ×3, first 2 shown]
	ds_bpermute_b32 v32, v55, v45
	ds_bpermute_b32 v34, v55, v44
	;; [unrolled: 1-line block ×3, first 2 shown]
	s_waitcnt lgkmcnt(10)
	v_add_f32_e32 v17, v17, v22
	s_waitcnt lgkmcnt(9)
	v_add_f32_e32 v22, v38, v33
	;; [unrolled: 2-line block ×3, first 2 shown]
	ds_bpermute_b32 v36, v70, v19
	ds_bpermute_b32 v38, v70, v26
	s_waitcnt lgkmcnt(9)
	v_add_f32_e32 v23, v23, v24
	s_waitcnt lgkmcnt(8)
	v_add_f32_e32 v24, v20, v28
	;; [unrolled: 2-line block ×3, first 2 shown]
	ds_bpermute_b32 v20, v55, v54
	ds_bpermute_b32 v21, v55, v49
	;; [unrolled: 1-line block ×3, first 2 shown]
	s_waitcnt lgkmcnt(9)
	v_add_f32_e32 v25, v25, v29
	s_waitcnt lgkmcnt(8)
	v_add_f32_e32 v29, v30, v31
	ds_bpermute_b32 v31, v70, v23
	ds_bpermute_b32 v37, v70, v24
	;; [unrolled: 1-line block ×3, first 2 shown]
	s_waitcnt lgkmcnt(10)
	v_add_f32_e32 v32, v45, v32
	s_waitcnt lgkmcnt(9)
	v_add_f32_e32 v34, v44, v34
	;; [unrolled: 2-line block ×3, first 2 shown]
	ds_bpermute_b32 v43, v55, v51
	ds_bpermute_b32 v42, v70, v29
	;; [unrolled: 1-line block ×6, first 2 shown]
	s_waitcnt lgkmcnt(13)
	v_add_f32_e32 v19, v19, v36
	ds_bpermute_b32 v47, v65, v35
	ds_bpermute_b32 v41, v70, v25
	s_waitcnt lgkmcnt(13)
	v_add_f32_e32 v36, v54, v20
	v_add_f32_e32 v20, v26, v38
	s_waitcnt lgkmcnt(12)
	v_add_f32_e32 v38, v49, v21
	s_waitcnt lgkmcnt(11)
	;; [unrolled: 2-line block ×4, first 2 shown]
	v_add_f32_e32 v23, v24, v37
	ds_bpermute_b32 v49, v65, v38
	s_waitcnt lgkmcnt(9)
	v_add_f32_e32 v24, v28, v40
	ds_bpermute_b32 v45, v70, v33
	ds_bpermute_b32 v37, v55, v52
	s_waitcnt lgkmcnt(10)
	v_add_f32_e32 v28, v51, v43
	s_waitcnt lgkmcnt(9)
	v_add_f32_e32 v26, v29, v42
	;; [unrolled: 2-line block ×5, first 2 shown]
	ds_bpermute_b32 v34, v65, v28
	s_waitcnt lgkmcnt(6)
	v_add_f32_e32 v30, v48, v30
	ds_bpermute_b32 v39, v65, v36
	ds_bpermute_b32 v48, v55, v50
	s_waitcnt lgkmcnt(6)
	v_add_f32_e32 v25, v25, v41
	ds_bpermute_b32 v41, v55, v53
	ds_bpermute_b32 v31, v65, v30
	;; [unrolled: 1-line block ×5, first 2 shown]
	s_waitcnt lgkmcnt(10)
	v_add_f32_e32 v38, v38, v49
	ds_bpermute_b32 v49, v55, v59
	s_waitcnt lgkmcnt(10)
	v_add_f32_e32 v27, v33, v45
	ds_bpermute_b32 v45, v55, v66
	v_add_f32_e32 v33, v35, v47
	ds_bpermute_b32 v47, v55, v58
	s_waitcnt lgkmcnt(11)
	v_add_f32_e32 v37, v52, v37
	ds_bpermute_b32 v52, v55, v62
	ds_bpermute_b32 v35, v70, v29
	s_waitcnt lgkmcnt(12)
	v_add_f32_e32 v34, v28, v34
	ds_bpermute_b32 v28, v55, v61
	s_waitcnt lgkmcnt(12)
	v_add_f32_e32 v36, v36, v39
	s_waitcnt lgkmcnt(11)
	v_add_f32_e32 v39, v50, v48
	ds_bpermute_b32 v42, v70, v33
	s_waitcnt lgkmcnt(11)
	v_add_f32_e32 v41, v53, v41
	s_waitcnt lgkmcnt(10)
	v_add_f32_e32 v44, v30, v31
	ds_bpermute_b32 v30, v55, v67
	ds_bpermute_b32 v31, v65, v39
	;; [unrolled: 1-line block ×5, first 2 shown]
	s_waitcnt lgkmcnt(11)
	v_add_f32_e32 v49, v59, v49
	ds_bpermute_b32 v56, v65, v37
	v_add_f32_e32 v43, v57, v43
	ds_bpermute_b32 v57, v65, v41
	s_waitcnt lgkmcnt(11)
	v_add_f32_e32 v47, v58, v47
	v_add_f32_e32 v51, v60, v51
	s_waitcnt lgkmcnt(10)
	v_add_f32_e32 v52, v62, v52
	ds_bpermute_b32 v48, v70, v38
	ds_bpermute_b32 v50, v70, v44
	s_waitcnt lgkmcnt(10)
	v_add_f32_e32 v28, v61, v28
	ds_bpermute_b32 v61, v65, v49
	ds_bpermute_b32 v60, v65, v47
	ds_bpermute_b32 v62, v65, v51
	ds_bpermute_b32 v54, v70, v34
	s_waitcnt lgkmcnt(12)
	v_add_f32_e32 v30, v67, v30
	s_waitcnt lgkmcnt(11)
	v_add_f32_e32 v39, v39, v31
	v_add_f32_e32 v31, v66, v45
	s_waitcnt lgkmcnt(9)
	v_add_f32_e32 v53, v63, v53
	s_waitcnt lgkmcnt(8)
	v_add_f32_e32 v55, v64, v55
	ds_bpermute_b32 v58, v65, v30
	ds_bpermute_b32 v45, v65, v43
	;; [unrolled: 1-line block ×5, first 2 shown]
	s_waitcnt lgkmcnt(12)
	v_add_f32_e32 v37, v37, v56
	ds_bpermute_b32 v56, v65, v53
	s_waitcnt lgkmcnt(12)
	v_add_f32_e32 v41, v41, v57
	ds_bpermute_b32 v57, v65, v55
	ds_bpermute_b32 v65, v70, v39
	s_waitcnt lgkmcnt(11)
	v_add_f32_e32 v49, v49, v61
	s_waitcnt lgkmcnt(10)
	v_add_f32_e32 v47, v47, v60
	;; [unrolled: 2-line block ×3, first 2 shown]
	ds_bpermute_b32 v66, v70, v41
	s_waitcnt lgkmcnt(9)
	v_add_f32_e32 v34, v34, v54
	ds_bpermute_b32 v68, v70, v49
	ds_bpermute_b32 v62, v70, v47
	s_waitcnt lgkmcnt(10)
	v_add_f32_e32 v58, v30, v58
	v_add_f32_e32 v30, v33, v42
	s_waitcnt lgkmcnt(8)
	v_add_f32_e32 v59, v31, v59
	v_add_f32_e32 v31, v36, v46
	buffer_load_dword v46, off, s[36:39], 0 offset:584 ; 4-byte Folded Reload
	v_add_f32_e32 v43, v43, v45
	s_waitcnt lgkmcnt(7)
	v_add_f32_e32 v63, v28, v63
	s_waitcnt lgkmcnt(6)
	v_add_f32_e32 v52, v52, v64
	s_waitcnt lgkmcnt(5)
	v_add_f32_e32 v53, v53, v56
	s_waitcnt lgkmcnt(4)
	v_add_f32_e32 v55, v55, v57
	ds_bpermute_b32 v45, v70, v37
	ds_bpermute_b32 v67, v70, v43
	;; [unrolled: 1-line block ×5, first 2 shown]
	s_waitcnt lgkmcnt(6)
	v_add_f32_e32 v42, v49, v68
	buffer_load_dword v49, off, s[36:39], 0 offset:592 ; 4-byte Folded Reload
	ds_bpermute_b32 v56, v70, v63
	ds_bpermute_b32 v57, v70, v52
	ds_bpermute_b32 v69, v70, v53
	ds_bpermute_b32 v70, v70, v55
	v_add_f32_e32 v28, v29, v35
	v_add_f32_e32 v29, v32, v40
	;; [unrolled: 1-line block ×5, first 2 shown]
	v_mul_u32_u24_e32 v50, 0x300, v127
	s_waitcnt vmcnt(0) lgkmcnt(0)
	s_waitcnt_vscnt null, 0x0
	s_barrier
	buffer_gl0_inv
	v_add_f32_e32 v36, v37, v45
	v_add_f32_e32 v37, v41, v66
	;; [unrolled: 1-line block ×9, first 2 shown]
	v_and_b32_e32 v51, 0x3c0, v71
	v_add_f32_e32 v47, v55, v70
	v_lshrrev_b32_e32 v48, 3, v46
	v_add_f32_e32 v46, v53, v69
	v_cmp_eq_u32_e32 vcc_lo, 0, v49
	v_lshl_add_u32 v49, v48, 2, 0x320
	v_cmpx_eq_u32_e32 64, v51
	s_cbranch_execz .LBB52_126
; %bb.124:
	s_and_b32 exec_lo, exec_lo, vcc_lo
	s_cbranch_execz .LBB52_126
; %bb.125:
	v_add_nc_u32_e32 v51, v49, v50
	v_add_nc_u32_e32 v52, 0xfffffa00, v51
	v_add_nc_u32_e32 v53, 0xfffffa10, v51
	v_add_nc_u32_e32 v55, 0xfffffa30, v51
	v_add_nc_u32_e32 v54, 0xfffffa20, v51
	v_add_nc_u32_e32 v56, 0xfffffa40, v51
	v_add_nc_u32_e32 v57, 0xfffffa50, v51
	v_add_nc_u32_e32 v58, 0xfffffa60, v51
	ds_write_b32 v52, v0
	ds_write_b32 v53, v1
	;; [unrolled: 1-line block ×3, first 2 shown]
	v_add_nc_u32_e32 v52, 0xfffffa70, v51
	ds_write_b32 v55, v3
	ds_write_b32 v56, v4
	ds_write_b32 v57, v5
	ds_write_b32 v58, v6
	ds_write_b32 v52, v7
	v_add_nc_u32_e32 v52, 0xfffffa80, v51
	v_add_nc_u32_e32 v53, 0xfffffa90, v51
	v_add_nc_u32_e32 v54, 0xfffffaa0, v51
	v_add_nc_u32_e32 v55, 0xfffffab0, v51
	v_add_nc_u32_e32 v56, 0xfffffac0, v51
	ds_write_b32 v52, v8
	ds_write_b32 v53, v9
	ds_write_b32 v54, v10
	ds_write_b32 v55, v11
	ds_write_b32 v56, v12
	v_add_nc_u32_e32 v52, 0xfffffad0, v51
	v_add_nc_u32_e32 v53, 0xfffffae0, v51
	v_add_nc_u32_e32 v54, 0xfffffaf0, v51
	v_add_nc_u32_e32 v55, 0xfffffb00, v51
	;; [unrolled: 10-line block ×8, first 2 shown]
	v_add_nc_u32_e32 v51, 0xfffffcf0, v51
	ds_write_b32 v52, v43
	ds_write_b32 v53, v44
	;; [unrolled: 1-line block ×5, first 2 shown]
.LBB52_126:
	s_or_b32 exec_lo, exec_lo, s1
	v_lshlrev_b32_e32 v48, 2, v48
	s_mov_b32 s1, exec_lo
	s_waitcnt lgkmcnt(0)
	s_barrier
	buffer_gl0_inv
	v_add3_u32 v48, 0x320, v50, v48
	v_cmpx_gt_u32_e32 64, v71
	s_cbranch_execz .LBB52_177
; %bb.127:
	s_and_saveexec_b32 s0, vcc_lo
	s_cbranch_execnz .LBB52_233
; %bb.128:
	s_or_b32 exec_lo, exec_lo, s0
	s_and_saveexec_b32 s0, vcc_lo
	s_cbranch_execnz .LBB52_234
.LBB52_129:
	s_or_b32 exec_lo, exec_lo, s0
	s_and_saveexec_b32 s0, vcc_lo
	s_cbranch_execnz .LBB52_235
.LBB52_130:
	s_or_b32 exec_lo, exec_lo, s0
	s_and_saveexec_b32 s0, vcc_lo
	s_cbranch_execnz .LBB52_236
.LBB52_131:
	s_or_b32 exec_lo, exec_lo, s0
	s_and_saveexec_b32 s0, vcc_lo
	s_cbranch_execnz .LBB52_237
.LBB52_132:
	s_or_b32 exec_lo, exec_lo, s0
	s_and_saveexec_b32 s0, vcc_lo
	s_cbranch_execnz .LBB52_238
.LBB52_133:
	s_or_b32 exec_lo, exec_lo, s0
	s_and_saveexec_b32 s0, vcc_lo
	s_cbranch_execnz .LBB52_239
.LBB52_134:
	s_or_b32 exec_lo, exec_lo, s0
	s_and_saveexec_b32 s0, vcc_lo
	s_cbranch_execnz .LBB52_240
.LBB52_135:
	s_or_b32 exec_lo, exec_lo, s0
	s_and_saveexec_b32 s0, vcc_lo
	s_cbranch_execnz .LBB52_241
.LBB52_136:
	s_or_b32 exec_lo, exec_lo, s0
	s_and_saveexec_b32 s0, vcc_lo
	s_cbranch_execnz .LBB52_242
.LBB52_137:
	s_or_b32 exec_lo, exec_lo, s0
	s_and_saveexec_b32 s0, vcc_lo
	s_cbranch_execnz .LBB52_243
.LBB52_138:
	s_or_b32 exec_lo, exec_lo, s0
	s_and_saveexec_b32 s0, vcc_lo
	s_cbranch_execnz .LBB52_244
.LBB52_139:
	s_or_b32 exec_lo, exec_lo, s0
	s_and_saveexec_b32 s0, vcc_lo
	s_cbranch_execnz .LBB52_245
.LBB52_140:
	s_or_b32 exec_lo, exec_lo, s0
	s_and_saveexec_b32 s0, vcc_lo
	s_cbranch_execnz .LBB52_246
.LBB52_141:
	s_or_b32 exec_lo, exec_lo, s0
	s_and_saveexec_b32 s0, vcc_lo
	s_cbranch_execnz .LBB52_247
.LBB52_142:
	s_or_b32 exec_lo, exec_lo, s0
	s_and_saveexec_b32 s0, vcc_lo
	s_cbranch_execnz .LBB52_248
.LBB52_143:
	s_or_b32 exec_lo, exec_lo, s0
	s_and_saveexec_b32 s0, vcc_lo
	s_cbranch_execnz .LBB52_249
.LBB52_144:
	s_or_b32 exec_lo, exec_lo, s0
	s_and_saveexec_b32 s0, vcc_lo
	s_cbranch_execnz .LBB52_250
.LBB52_145:
	s_or_b32 exec_lo, exec_lo, s0
	s_and_saveexec_b32 s0, vcc_lo
	s_cbranch_execnz .LBB52_251
.LBB52_146:
	s_or_b32 exec_lo, exec_lo, s0
	s_and_saveexec_b32 s0, vcc_lo
	s_cbranch_execnz .LBB52_252
.LBB52_147:
	s_or_b32 exec_lo, exec_lo, s0
	s_and_saveexec_b32 s0, vcc_lo
	s_cbranch_execnz .LBB52_253
.LBB52_148:
	s_or_b32 exec_lo, exec_lo, s0
	s_and_saveexec_b32 s0, vcc_lo
	s_cbranch_execnz .LBB52_254
.LBB52_149:
	s_or_b32 exec_lo, exec_lo, s0
	s_and_saveexec_b32 s0, vcc_lo
	s_cbranch_execnz .LBB52_255
.LBB52_150:
	s_or_b32 exec_lo, exec_lo, s0
	s_and_saveexec_b32 s0, vcc_lo
	s_cbranch_execnz .LBB52_256
.LBB52_151:
	s_or_b32 exec_lo, exec_lo, s0
	s_and_saveexec_b32 s0, vcc_lo
	s_cbranch_execnz .LBB52_257
.LBB52_152:
	s_or_b32 exec_lo, exec_lo, s0
	s_and_saveexec_b32 s0, vcc_lo
	s_cbranch_execnz .LBB52_258
.LBB52_153:
	s_or_b32 exec_lo, exec_lo, s0
	s_and_saveexec_b32 s0, vcc_lo
	s_cbranch_execnz .LBB52_259
.LBB52_154:
	s_or_b32 exec_lo, exec_lo, s0
	s_and_saveexec_b32 s0, vcc_lo
	s_cbranch_execnz .LBB52_260
.LBB52_155:
	s_or_b32 exec_lo, exec_lo, s0
	s_and_saveexec_b32 s0, vcc_lo
	s_cbranch_execnz .LBB52_261
.LBB52_156:
	s_or_b32 exec_lo, exec_lo, s0
	s_and_saveexec_b32 s0, vcc_lo
	s_cbranch_execnz .LBB52_262
.LBB52_157:
	s_or_b32 exec_lo, exec_lo, s0
	s_and_saveexec_b32 s0, vcc_lo
	s_cbranch_execnz .LBB52_263
.LBB52_158:
	s_or_b32 exec_lo, exec_lo, s0
	s_and_saveexec_b32 s0, vcc_lo
	s_cbranch_execnz .LBB52_264
.LBB52_159:
	s_or_b32 exec_lo, exec_lo, s0
	s_and_saveexec_b32 s0, vcc_lo
	s_cbranch_execnz .LBB52_265
.LBB52_160:
	s_or_b32 exec_lo, exec_lo, s0
	s_and_saveexec_b32 s0, vcc_lo
	s_cbranch_execnz .LBB52_266
.LBB52_161:
	s_or_b32 exec_lo, exec_lo, s0
	s_and_saveexec_b32 s0, vcc_lo
	s_cbranch_execnz .LBB52_267
.LBB52_162:
	s_or_b32 exec_lo, exec_lo, s0
	s_and_saveexec_b32 s0, vcc_lo
	s_cbranch_execnz .LBB52_268
.LBB52_163:
	s_or_b32 exec_lo, exec_lo, s0
	s_and_saveexec_b32 s0, vcc_lo
	s_cbranch_execnz .LBB52_269
.LBB52_164:
	s_or_b32 exec_lo, exec_lo, s0
	s_and_saveexec_b32 s0, vcc_lo
	s_cbranch_execnz .LBB52_270
.LBB52_165:
	s_or_b32 exec_lo, exec_lo, s0
	s_and_saveexec_b32 s0, vcc_lo
	s_cbranch_execnz .LBB52_271
.LBB52_166:
	s_or_b32 exec_lo, exec_lo, s0
	s_and_saveexec_b32 s0, vcc_lo
	s_cbranch_execnz .LBB52_272
.LBB52_167:
	s_or_b32 exec_lo, exec_lo, s0
	s_and_saveexec_b32 s0, vcc_lo
	s_cbranch_execnz .LBB52_273
.LBB52_168:
	s_or_b32 exec_lo, exec_lo, s0
	s_and_saveexec_b32 s0, vcc_lo
	s_cbranch_execnz .LBB52_274
.LBB52_169:
	s_or_b32 exec_lo, exec_lo, s0
	s_and_saveexec_b32 s0, vcc_lo
	s_cbranch_execnz .LBB52_275
.LBB52_170:
	s_or_b32 exec_lo, exec_lo, s0
	s_and_saveexec_b32 s0, vcc_lo
	s_cbranch_execnz .LBB52_276
.LBB52_171:
	s_or_b32 exec_lo, exec_lo, s0
	s_and_saveexec_b32 s0, vcc_lo
	s_cbranch_execnz .LBB52_277
.LBB52_172:
	s_or_b32 exec_lo, exec_lo, s0
	s_and_saveexec_b32 s0, vcc_lo
	s_cbranch_execnz .LBB52_278
.LBB52_173:
	s_or_b32 exec_lo, exec_lo, s0
	s_and_saveexec_b32 s0, vcc_lo
	s_cbranch_execnz .LBB52_279
.LBB52_174:
	s_or_b32 exec_lo, exec_lo, s0
	s_and_saveexec_b32 s0, vcc_lo
	s_cbranch_execz .LBB52_176
.LBB52_175:
	ds_read_b32 v50, v48 offset:752
	s_waitcnt lgkmcnt(0)
	v_add_f32_e32 v47, v47, v50
.LBB52_176:
	s_or_b32 exec_lo, exec_lo, s0
.LBB52_177:
	s_or_b32 exec_lo, exec_lo, s1
	v_and_b32_e32 v50, 0x3e7, v71
	s_mov_b32 s1, exec_lo
	s_barrier
	buffer_gl0_inv
	v_cmpx_eq_u32_e32 32, v50
	s_cbranch_execz .LBB52_179
; %bb.178:
	ds_write2_b32 v49, v0, v1 offset1:4
	ds_write2_b32 v49, v2, v3 offset0:8 offset1:12
	ds_write2_b32 v49, v4, v5 offset0:16 offset1:20
	;; [unrolled: 1-line block ×23, first 2 shown]
.LBB52_179:
	s_or_b32 exec_lo, exec_lo, s1
	s_mov_b32 s1, exec_lo
	s_waitcnt lgkmcnt(0)
	s_barrier
	buffer_gl0_inv
	v_cmpx_gt_u32_e32 32, v71
	s_cbranch_execz .LBB52_230
; %bb.180:
	s_and_saveexec_b32 s0, vcc_lo
	s_cbranch_execnz .LBB52_280
; %bb.181:
	s_or_b32 exec_lo, exec_lo, s0
	s_and_saveexec_b32 s0, vcc_lo
	s_cbranch_execnz .LBB52_281
.LBB52_182:
	s_or_b32 exec_lo, exec_lo, s0
	s_and_saveexec_b32 s0, vcc_lo
	s_cbranch_execnz .LBB52_282
.LBB52_183:
	s_or_b32 exec_lo, exec_lo, s0
	s_and_saveexec_b32 s0, vcc_lo
	s_cbranch_execnz .LBB52_283
.LBB52_184:
	s_or_b32 exec_lo, exec_lo, s0
	s_and_saveexec_b32 s0, vcc_lo
	s_cbranch_execnz .LBB52_284
.LBB52_185:
	s_or_b32 exec_lo, exec_lo, s0
	s_and_saveexec_b32 s0, vcc_lo
	s_cbranch_execnz .LBB52_285
.LBB52_186:
	s_or_b32 exec_lo, exec_lo, s0
	s_and_saveexec_b32 s0, vcc_lo
	s_cbranch_execnz .LBB52_286
.LBB52_187:
	s_or_b32 exec_lo, exec_lo, s0
	s_and_saveexec_b32 s0, vcc_lo
	s_cbranch_execnz .LBB52_287
.LBB52_188:
	s_or_b32 exec_lo, exec_lo, s0
	s_and_saveexec_b32 s0, vcc_lo
	s_cbranch_execnz .LBB52_288
.LBB52_189:
	s_or_b32 exec_lo, exec_lo, s0
	s_and_saveexec_b32 s0, vcc_lo
	s_cbranch_execnz .LBB52_289
.LBB52_190:
	s_or_b32 exec_lo, exec_lo, s0
	s_and_saveexec_b32 s0, vcc_lo
	s_cbranch_execnz .LBB52_290
.LBB52_191:
	s_or_b32 exec_lo, exec_lo, s0
	s_and_saveexec_b32 s0, vcc_lo
	s_cbranch_execnz .LBB52_291
.LBB52_192:
	s_or_b32 exec_lo, exec_lo, s0
	s_and_saveexec_b32 s0, vcc_lo
	s_cbranch_execnz .LBB52_292
.LBB52_193:
	s_or_b32 exec_lo, exec_lo, s0
	s_and_saveexec_b32 s0, vcc_lo
	s_cbranch_execnz .LBB52_293
.LBB52_194:
	s_or_b32 exec_lo, exec_lo, s0
	s_and_saveexec_b32 s0, vcc_lo
	s_cbranch_execnz .LBB52_294
.LBB52_195:
	s_or_b32 exec_lo, exec_lo, s0
	s_and_saveexec_b32 s0, vcc_lo
	s_cbranch_execnz .LBB52_295
.LBB52_196:
	s_or_b32 exec_lo, exec_lo, s0
	s_and_saveexec_b32 s0, vcc_lo
	s_cbranch_execnz .LBB52_296
.LBB52_197:
	s_or_b32 exec_lo, exec_lo, s0
	s_and_saveexec_b32 s0, vcc_lo
	s_cbranch_execnz .LBB52_297
.LBB52_198:
	s_or_b32 exec_lo, exec_lo, s0
	s_and_saveexec_b32 s0, vcc_lo
	s_cbranch_execnz .LBB52_298
.LBB52_199:
	s_or_b32 exec_lo, exec_lo, s0
	s_and_saveexec_b32 s0, vcc_lo
	s_cbranch_execnz .LBB52_299
.LBB52_200:
	s_or_b32 exec_lo, exec_lo, s0
	s_and_saveexec_b32 s0, vcc_lo
	s_cbranch_execnz .LBB52_300
.LBB52_201:
	s_or_b32 exec_lo, exec_lo, s0
	s_and_saveexec_b32 s0, vcc_lo
	s_cbranch_execnz .LBB52_301
.LBB52_202:
	s_or_b32 exec_lo, exec_lo, s0
	s_and_saveexec_b32 s0, vcc_lo
	s_cbranch_execnz .LBB52_302
.LBB52_203:
	s_or_b32 exec_lo, exec_lo, s0
	s_and_saveexec_b32 s0, vcc_lo
	s_cbranch_execnz .LBB52_303
.LBB52_204:
	s_or_b32 exec_lo, exec_lo, s0
	s_and_saveexec_b32 s0, vcc_lo
	s_cbranch_execnz .LBB52_304
.LBB52_205:
	s_or_b32 exec_lo, exec_lo, s0
	s_and_saveexec_b32 s0, vcc_lo
	s_cbranch_execnz .LBB52_305
.LBB52_206:
	s_or_b32 exec_lo, exec_lo, s0
	s_and_saveexec_b32 s0, vcc_lo
	s_cbranch_execnz .LBB52_306
.LBB52_207:
	s_or_b32 exec_lo, exec_lo, s0
	s_and_saveexec_b32 s0, vcc_lo
	s_cbranch_execnz .LBB52_307
.LBB52_208:
	s_or_b32 exec_lo, exec_lo, s0
	s_and_saveexec_b32 s0, vcc_lo
	s_cbranch_execnz .LBB52_308
.LBB52_209:
	s_or_b32 exec_lo, exec_lo, s0
	s_and_saveexec_b32 s0, vcc_lo
	s_cbranch_execnz .LBB52_309
.LBB52_210:
	s_or_b32 exec_lo, exec_lo, s0
	s_and_saveexec_b32 s0, vcc_lo
	s_cbranch_execnz .LBB52_310
.LBB52_211:
	s_or_b32 exec_lo, exec_lo, s0
	s_and_saveexec_b32 s0, vcc_lo
	s_cbranch_execnz .LBB52_311
.LBB52_212:
	s_or_b32 exec_lo, exec_lo, s0
	s_and_saveexec_b32 s0, vcc_lo
	s_cbranch_execnz .LBB52_312
.LBB52_213:
	s_or_b32 exec_lo, exec_lo, s0
	s_and_saveexec_b32 s0, vcc_lo
	s_cbranch_execnz .LBB52_313
.LBB52_214:
	s_or_b32 exec_lo, exec_lo, s0
	s_and_saveexec_b32 s0, vcc_lo
	s_cbranch_execnz .LBB52_314
.LBB52_215:
	s_or_b32 exec_lo, exec_lo, s0
	s_and_saveexec_b32 s0, vcc_lo
	s_cbranch_execnz .LBB52_315
.LBB52_216:
	s_or_b32 exec_lo, exec_lo, s0
	s_and_saveexec_b32 s0, vcc_lo
	s_cbranch_execnz .LBB52_316
.LBB52_217:
	s_or_b32 exec_lo, exec_lo, s0
	s_and_saveexec_b32 s0, vcc_lo
	s_cbranch_execnz .LBB52_317
.LBB52_218:
	s_or_b32 exec_lo, exec_lo, s0
	s_and_saveexec_b32 s0, vcc_lo
	s_cbranch_execnz .LBB52_318
.LBB52_219:
	s_or_b32 exec_lo, exec_lo, s0
	s_and_saveexec_b32 s0, vcc_lo
	s_cbranch_execnz .LBB52_319
.LBB52_220:
	s_or_b32 exec_lo, exec_lo, s0
	s_and_saveexec_b32 s0, vcc_lo
	s_cbranch_execnz .LBB52_320
.LBB52_221:
	s_or_b32 exec_lo, exec_lo, s0
	s_and_saveexec_b32 s0, vcc_lo
	s_cbranch_execnz .LBB52_321
.LBB52_222:
	s_or_b32 exec_lo, exec_lo, s0
	s_and_saveexec_b32 s0, vcc_lo
	s_cbranch_execnz .LBB52_322
.LBB52_223:
	s_or_b32 exec_lo, exec_lo, s0
	s_and_saveexec_b32 s0, vcc_lo
	s_cbranch_execnz .LBB52_323
.LBB52_224:
	s_or_b32 exec_lo, exec_lo, s0
	s_and_saveexec_b32 s0, vcc_lo
	s_cbranch_execnz .LBB52_324
.LBB52_225:
	s_or_b32 exec_lo, exec_lo, s0
	s_and_saveexec_b32 s0, vcc_lo
	s_cbranch_execnz .LBB52_325
.LBB52_226:
	s_or_b32 exec_lo, exec_lo, s0
	s_and_saveexec_b32 s0, vcc_lo
	s_cbranch_execnz .LBB52_326
.LBB52_227:
	s_or_b32 exec_lo, exec_lo, s0
	s_and_saveexec_b32 s0, vcc_lo
	s_cbranch_execz .LBB52_229
.LBB52_228:
	ds_read_b32 v48, v48 offset:752
	s_waitcnt lgkmcnt(0)
	v_add_f32_e32 v47, v47, v48
.LBB52_229:
	s_or_b32 exec_lo, exec_lo, s0
.LBB52_230:
	s_or_b32 exec_lo, exec_lo, s1
	s_barrier
	buffer_gl0_inv
	s_mov_b32 s0, exec_lo
	v_cmpx_eq_u32_e32 0, v50
	s_cbranch_execz .LBB52_232
; %bb.231:
	s_mul_i32 s0, s10, s7
	s_mul_i32 s2, s7, s6
	;; [unrolled: 1-line block ×3, first 2 shown]
	v_lshrrev_b32_e32 v48, 1, v71
	s_mulk_i32 s0, 0xc0
	s_ashr_i32 s1, s0, 31
	s_lshl_b64 s[0:1], s[0:1], 2
	s_add_u32 s4, s16, s0
	s_addc_u32 s5, s17, s1
	s_ashr_i32 s3, s2, 31
	s_lshl_b64 s[0:1], s[2:3], 2
	s_mul_i32 s2, s8, 0xc0
	s_add_u32 s4, s4, s0
	s_addc_u32 s5, s5, s1
	s_ashr_i32 s3, s2, 31
	s_lshl_b64 s[0:1], s[2:3], 2
	s_add_u32 s0, s4, s0
	s_addc_u32 s1, s5, s1
	global_store_dword v48, v0, s[0:1]
	global_store_dword v48, v1, s[0:1] offset:16
	global_store_dword v48, v2, s[0:1] offset:32
	global_store_dword v48, v3, s[0:1] offset:48
	global_store_dword v48, v4, s[0:1] offset:64
	global_store_dword v48, v5, s[0:1] offset:80
	global_store_dword v48, v6, s[0:1] offset:96
	global_store_dword v48, v7, s[0:1] offset:112
	global_store_dword v48, v8, s[0:1] offset:128
	global_store_dword v48, v9, s[0:1] offset:144
	global_store_dword v48, v10, s[0:1] offset:160
	global_store_dword v48, v11, s[0:1] offset:176
	global_store_dword v48, v12, s[0:1] offset:192
	global_store_dword v48, v13, s[0:1] offset:208
	global_store_dword v48, v14, s[0:1] offset:224
	global_store_dword v48, v15, s[0:1] offset:240
	global_store_dword v48, v16, s[0:1] offset:256
	global_store_dword v48, v17, s[0:1] offset:272
	global_store_dword v48, v18, s[0:1] offset:288
	global_store_dword v48, v19, s[0:1] offset:304
	global_store_dword v48, v20, s[0:1] offset:320
	global_store_dword v48, v21, s[0:1] offset:336
	global_store_dword v48, v22, s[0:1] offset:352
	global_store_dword v48, v23, s[0:1] offset:368
	global_store_dword v48, v24, s[0:1] offset:384
	global_store_dword v48, v25, s[0:1] offset:400
	global_store_dword v48, v26, s[0:1] offset:416
	global_store_dword v48, v27, s[0:1] offset:432
	global_store_dword v48, v28, s[0:1] offset:448
	global_store_dword v48, v29, s[0:1] offset:464
	global_store_dword v48, v30, s[0:1] offset:480
	global_store_dword v48, v31, s[0:1] offset:496
	global_store_dword v48, v32, s[0:1] offset:512
	global_store_dword v48, v33, s[0:1] offset:528
	global_store_dword v48, v34, s[0:1] offset:544
	global_store_dword v48, v35, s[0:1] offset:560
	global_store_dword v48, v36, s[0:1] offset:576
	global_store_dword v48, v37, s[0:1] offset:592
	global_store_dword v48, v38, s[0:1] offset:608
	global_store_dword v48, v39, s[0:1] offset:624
	global_store_dword v48, v40, s[0:1] offset:640
	global_store_dword v48, v41, s[0:1] offset:656
	global_store_dword v48, v42, s[0:1] offset:672
	global_store_dword v48, v43, s[0:1] offset:688
	global_store_dword v48, v44, s[0:1] offset:704
	global_store_dword v48, v45, s[0:1] offset:720
	global_store_dword v48, v46, s[0:1] offset:736
	global_store_dword v48, v47, s[0:1] offset:752
.LBB52_232:
	s_endpgm
.LBB52_233:
	ds_read_b32 v50, v48
	s_waitcnt lgkmcnt(0)
	v_add_f32_e32 v0, v0, v50
	s_or_b32 exec_lo, exec_lo, s0
	s_and_saveexec_b32 s0, vcc_lo
	s_cbranch_execz .LBB52_129
.LBB52_234:
	ds_read_b32 v50, v48 offset:16
	s_waitcnt lgkmcnt(0)
	v_add_f32_e32 v1, v1, v50
	s_or_b32 exec_lo, exec_lo, s0
	s_and_saveexec_b32 s0, vcc_lo
	s_cbranch_execz .LBB52_130
.LBB52_235:
	ds_read_b32 v50, v48 offset:32
	s_waitcnt lgkmcnt(0)
	v_add_f32_e32 v2, v2, v50
	s_or_b32 exec_lo, exec_lo, s0
	s_and_saveexec_b32 s0, vcc_lo
	s_cbranch_execz .LBB52_131
.LBB52_236:
	ds_read_b32 v50, v48 offset:48
	s_waitcnt lgkmcnt(0)
	v_add_f32_e32 v3, v3, v50
	s_or_b32 exec_lo, exec_lo, s0
	s_and_saveexec_b32 s0, vcc_lo
	s_cbranch_execz .LBB52_132
.LBB52_237:
	ds_read_b32 v50, v48 offset:64
	s_waitcnt lgkmcnt(0)
	v_add_f32_e32 v4, v4, v50
	s_or_b32 exec_lo, exec_lo, s0
	s_and_saveexec_b32 s0, vcc_lo
	s_cbranch_execz .LBB52_133
.LBB52_238:
	ds_read_b32 v50, v48 offset:80
	s_waitcnt lgkmcnt(0)
	v_add_f32_e32 v5, v5, v50
	s_or_b32 exec_lo, exec_lo, s0
	s_and_saveexec_b32 s0, vcc_lo
	s_cbranch_execz .LBB52_134
.LBB52_239:
	ds_read_b32 v50, v48 offset:96
	s_waitcnt lgkmcnt(0)
	v_add_f32_e32 v6, v6, v50
	s_or_b32 exec_lo, exec_lo, s0
	s_and_saveexec_b32 s0, vcc_lo
	s_cbranch_execz .LBB52_135
.LBB52_240:
	ds_read_b32 v50, v48 offset:112
	s_waitcnt lgkmcnt(0)
	v_add_f32_e32 v7, v7, v50
	s_or_b32 exec_lo, exec_lo, s0
	s_and_saveexec_b32 s0, vcc_lo
	s_cbranch_execz .LBB52_136
.LBB52_241:
	ds_read_b32 v50, v48 offset:128
	s_waitcnt lgkmcnt(0)
	v_add_f32_e32 v8, v8, v50
	s_or_b32 exec_lo, exec_lo, s0
	s_and_saveexec_b32 s0, vcc_lo
	s_cbranch_execz .LBB52_137
.LBB52_242:
	ds_read_b32 v50, v48 offset:144
	s_waitcnt lgkmcnt(0)
	v_add_f32_e32 v9, v9, v50
	s_or_b32 exec_lo, exec_lo, s0
	s_and_saveexec_b32 s0, vcc_lo
	s_cbranch_execz .LBB52_138
.LBB52_243:
	ds_read_b32 v50, v48 offset:160
	s_waitcnt lgkmcnt(0)
	v_add_f32_e32 v10, v10, v50
	s_or_b32 exec_lo, exec_lo, s0
	s_and_saveexec_b32 s0, vcc_lo
	s_cbranch_execz .LBB52_139
.LBB52_244:
	ds_read_b32 v50, v48 offset:176
	s_waitcnt lgkmcnt(0)
	v_add_f32_e32 v11, v11, v50
	s_or_b32 exec_lo, exec_lo, s0
	s_and_saveexec_b32 s0, vcc_lo
	s_cbranch_execz .LBB52_140
.LBB52_245:
	ds_read_b32 v50, v48 offset:192
	s_waitcnt lgkmcnt(0)
	v_add_f32_e32 v12, v12, v50
	s_or_b32 exec_lo, exec_lo, s0
	s_and_saveexec_b32 s0, vcc_lo
	s_cbranch_execz .LBB52_141
.LBB52_246:
	ds_read_b32 v50, v48 offset:208
	s_waitcnt lgkmcnt(0)
	v_add_f32_e32 v13, v13, v50
	s_or_b32 exec_lo, exec_lo, s0
	s_and_saveexec_b32 s0, vcc_lo
	s_cbranch_execz .LBB52_142
.LBB52_247:
	ds_read_b32 v50, v48 offset:224
	s_waitcnt lgkmcnt(0)
	v_add_f32_e32 v14, v14, v50
	s_or_b32 exec_lo, exec_lo, s0
	s_and_saveexec_b32 s0, vcc_lo
	s_cbranch_execz .LBB52_143
.LBB52_248:
	ds_read_b32 v50, v48 offset:240
	s_waitcnt lgkmcnt(0)
	v_add_f32_e32 v15, v15, v50
	s_or_b32 exec_lo, exec_lo, s0
	s_and_saveexec_b32 s0, vcc_lo
	s_cbranch_execz .LBB52_144
.LBB52_249:
	ds_read_b32 v50, v48 offset:256
	s_waitcnt lgkmcnt(0)
	v_add_f32_e32 v16, v16, v50
	s_or_b32 exec_lo, exec_lo, s0
	s_and_saveexec_b32 s0, vcc_lo
	s_cbranch_execz .LBB52_145
.LBB52_250:
	ds_read_b32 v50, v48 offset:272
	s_waitcnt lgkmcnt(0)
	v_add_f32_e32 v17, v17, v50
	s_or_b32 exec_lo, exec_lo, s0
	s_and_saveexec_b32 s0, vcc_lo
	s_cbranch_execz .LBB52_146
.LBB52_251:
	ds_read_b32 v50, v48 offset:288
	s_waitcnt lgkmcnt(0)
	v_add_f32_e32 v18, v18, v50
	s_or_b32 exec_lo, exec_lo, s0
	s_and_saveexec_b32 s0, vcc_lo
	s_cbranch_execz .LBB52_147
.LBB52_252:
	ds_read_b32 v50, v48 offset:304
	s_waitcnt lgkmcnt(0)
	v_add_f32_e32 v19, v19, v50
	s_or_b32 exec_lo, exec_lo, s0
	s_and_saveexec_b32 s0, vcc_lo
	s_cbranch_execz .LBB52_148
.LBB52_253:
	ds_read_b32 v50, v48 offset:320
	s_waitcnt lgkmcnt(0)
	v_add_f32_e32 v20, v20, v50
	s_or_b32 exec_lo, exec_lo, s0
	s_and_saveexec_b32 s0, vcc_lo
	s_cbranch_execz .LBB52_149
.LBB52_254:
	ds_read_b32 v50, v48 offset:336
	s_waitcnt lgkmcnt(0)
	v_add_f32_e32 v21, v21, v50
	s_or_b32 exec_lo, exec_lo, s0
	s_and_saveexec_b32 s0, vcc_lo
	s_cbranch_execz .LBB52_150
.LBB52_255:
	ds_read_b32 v50, v48 offset:352
	s_waitcnt lgkmcnt(0)
	v_add_f32_e32 v22, v22, v50
	s_or_b32 exec_lo, exec_lo, s0
	s_and_saveexec_b32 s0, vcc_lo
	s_cbranch_execz .LBB52_151
.LBB52_256:
	ds_read_b32 v50, v48 offset:368
	s_waitcnt lgkmcnt(0)
	v_add_f32_e32 v23, v23, v50
	s_or_b32 exec_lo, exec_lo, s0
	s_and_saveexec_b32 s0, vcc_lo
	s_cbranch_execz .LBB52_152
.LBB52_257:
	ds_read_b32 v50, v48 offset:384
	s_waitcnt lgkmcnt(0)
	v_add_f32_e32 v24, v24, v50
	s_or_b32 exec_lo, exec_lo, s0
	s_and_saveexec_b32 s0, vcc_lo
	s_cbranch_execz .LBB52_153
.LBB52_258:
	ds_read_b32 v50, v48 offset:400
	s_waitcnt lgkmcnt(0)
	v_add_f32_e32 v25, v25, v50
	s_or_b32 exec_lo, exec_lo, s0
	s_and_saveexec_b32 s0, vcc_lo
	s_cbranch_execz .LBB52_154
.LBB52_259:
	ds_read_b32 v50, v48 offset:416
	s_waitcnt lgkmcnt(0)
	v_add_f32_e32 v26, v26, v50
	s_or_b32 exec_lo, exec_lo, s0
	s_and_saveexec_b32 s0, vcc_lo
	s_cbranch_execz .LBB52_155
.LBB52_260:
	ds_read_b32 v50, v48 offset:432
	s_waitcnt lgkmcnt(0)
	v_add_f32_e32 v27, v27, v50
	s_or_b32 exec_lo, exec_lo, s0
	s_and_saveexec_b32 s0, vcc_lo
	s_cbranch_execz .LBB52_156
.LBB52_261:
	ds_read_b32 v50, v48 offset:448
	s_waitcnt lgkmcnt(0)
	v_add_f32_e32 v28, v28, v50
	s_or_b32 exec_lo, exec_lo, s0
	s_and_saveexec_b32 s0, vcc_lo
	s_cbranch_execz .LBB52_157
.LBB52_262:
	ds_read_b32 v50, v48 offset:464
	s_waitcnt lgkmcnt(0)
	v_add_f32_e32 v29, v29, v50
	s_or_b32 exec_lo, exec_lo, s0
	s_and_saveexec_b32 s0, vcc_lo
	s_cbranch_execz .LBB52_158
.LBB52_263:
	ds_read_b32 v50, v48 offset:480
	s_waitcnt lgkmcnt(0)
	v_add_f32_e32 v30, v30, v50
	s_or_b32 exec_lo, exec_lo, s0
	s_and_saveexec_b32 s0, vcc_lo
	s_cbranch_execz .LBB52_159
.LBB52_264:
	ds_read_b32 v50, v48 offset:496
	s_waitcnt lgkmcnt(0)
	v_add_f32_e32 v31, v31, v50
	s_or_b32 exec_lo, exec_lo, s0
	s_and_saveexec_b32 s0, vcc_lo
	s_cbranch_execz .LBB52_160
.LBB52_265:
	ds_read_b32 v50, v48 offset:512
	s_waitcnt lgkmcnt(0)
	v_add_f32_e32 v32, v32, v50
	s_or_b32 exec_lo, exec_lo, s0
	s_and_saveexec_b32 s0, vcc_lo
	s_cbranch_execz .LBB52_161
.LBB52_266:
	ds_read_b32 v50, v48 offset:528
	s_waitcnt lgkmcnt(0)
	v_add_f32_e32 v33, v33, v50
	s_or_b32 exec_lo, exec_lo, s0
	s_and_saveexec_b32 s0, vcc_lo
	s_cbranch_execz .LBB52_162
.LBB52_267:
	ds_read_b32 v50, v48 offset:544
	s_waitcnt lgkmcnt(0)
	v_add_f32_e32 v34, v34, v50
	s_or_b32 exec_lo, exec_lo, s0
	s_and_saveexec_b32 s0, vcc_lo
	s_cbranch_execz .LBB52_163
.LBB52_268:
	ds_read_b32 v50, v48 offset:560
	s_waitcnt lgkmcnt(0)
	v_add_f32_e32 v35, v35, v50
	s_or_b32 exec_lo, exec_lo, s0
	s_and_saveexec_b32 s0, vcc_lo
	s_cbranch_execz .LBB52_164
.LBB52_269:
	ds_read_b32 v50, v48 offset:576
	s_waitcnt lgkmcnt(0)
	v_add_f32_e32 v36, v36, v50
	s_or_b32 exec_lo, exec_lo, s0
	s_and_saveexec_b32 s0, vcc_lo
	s_cbranch_execz .LBB52_165
.LBB52_270:
	ds_read_b32 v50, v48 offset:592
	s_waitcnt lgkmcnt(0)
	v_add_f32_e32 v37, v37, v50
	s_or_b32 exec_lo, exec_lo, s0
	s_and_saveexec_b32 s0, vcc_lo
	s_cbranch_execz .LBB52_166
.LBB52_271:
	ds_read_b32 v50, v48 offset:608
	s_waitcnt lgkmcnt(0)
	v_add_f32_e32 v38, v38, v50
	s_or_b32 exec_lo, exec_lo, s0
	s_and_saveexec_b32 s0, vcc_lo
	s_cbranch_execz .LBB52_167
.LBB52_272:
	ds_read_b32 v50, v48 offset:624
	s_waitcnt lgkmcnt(0)
	v_add_f32_e32 v39, v39, v50
	s_or_b32 exec_lo, exec_lo, s0
	s_and_saveexec_b32 s0, vcc_lo
	s_cbranch_execz .LBB52_168
.LBB52_273:
	ds_read_b32 v50, v48 offset:640
	s_waitcnt lgkmcnt(0)
	v_add_f32_e32 v40, v40, v50
	s_or_b32 exec_lo, exec_lo, s0
	s_and_saveexec_b32 s0, vcc_lo
	s_cbranch_execz .LBB52_169
.LBB52_274:
	ds_read_b32 v50, v48 offset:656
	s_waitcnt lgkmcnt(0)
	v_add_f32_e32 v41, v41, v50
	s_or_b32 exec_lo, exec_lo, s0
	s_and_saveexec_b32 s0, vcc_lo
	s_cbranch_execz .LBB52_170
.LBB52_275:
	ds_read_b32 v50, v48 offset:672
	s_waitcnt lgkmcnt(0)
	v_add_f32_e32 v42, v42, v50
	s_or_b32 exec_lo, exec_lo, s0
	s_and_saveexec_b32 s0, vcc_lo
	s_cbranch_execz .LBB52_171
.LBB52_276:
	ds_read_b32 v50, v48 offset:688
	s_waitcnt lgkmcnt(0)
	v_add_f32_e32 v43, v43, v50
	s_or_b32 exec_lo, exec_lo, s0
	s_and_saveexec_b32 s0, vcc_lo
	s_cbranch_execz .LBB52_172
.LBB52_277:
	ds_read_b32 v50, v48 offset:704
	s_waitcnt lgkmcnt(0)
	v_add_f32_e32 v44, v44, v50
	s_or_b32 exec_lo, exec_lo, s0
	s_and_saveexec_b32 s0, vcc_lo
	s_cbranch_execz .LBB52_173
.LBB52_278:
	ds_read_b32 v50, v48 offset:720
	s_waitcnt lgkmcnt(0)
	v_add_f32_e32 v45, v45, v50
	s_or_b32 exec_lo, exec_lo, s0
	s_and_saveexec_b32 s0, vcc_lo
	s_cbranch_execz .LBB52_174
.LBB52_279:
	ds_read_b32 v50, v48 offset:736
	s_waitcnt lgkmcnt(0)
	v_add_f32_e32 v46, v46, v50
	s_or_b32 exec_lo, exec_lo, s0
	s_and_saveexec_b32 s0, vcc_lo
	s_cbranch_execnz .LBB52_175
	s_branch .LBB52_176
.LBB52_280:
	ds_read_b32 v49, v48
	s_waitcnt lgkmcnt(0)
	v_add_f32_e32 v0, v0, v49
	s_or_b32 exec_lo, exec_lo, s0
	s_and_saveexec_b32 s0, vcc_lo
	s_cbranch_execz .LBB52_182
.LBB52_281:
	ds_read_b32 v49, v48 offset:16
	s_waitcnt lgkmcnt(0)
	v_add_f32_e32 v1, v1, v49
	s_or_b32 exec_lo, exec_lo, s0
	s_and_saveexec_b32 s0, vcc_lo
	s_cbranch_execz .LBB52_183
.LBB52_282:
	ds_read_b32 v49, v48 offset:32
	s_waitcnt lgkmcnt(0)
	v_add_f32_e32 v2, v2, v49
	s_or_b32 exec_lo, exec_lo, s0
	s_and_saveexec_b32 s0, vcc_lo
	s_cbranch_execz .LBB52_184
.LBB52_283:
	ds_read_b32 v49, v48 offset:48
	s_waitcnt lgkmcnt(0)
	v_add_f32_e32 v3, v3, v49
	s_or_b32 exec_lo, exec_lo, s0
	s_and_saveexec_b32 s0, vcc_lo
	s_cbranch_execz .LBB52_185
.LBB52_284:
	ds_read_b32 v49, v48 offset:64
	s_waitcnt lgkmcnt(0)
	v_add_f32_e32 v4, v4, v49
	s_or_b32 exec_lo, exec_lo, s0
	s_and_saveexec_b32 s0, vcc_lo
	s_cbranch_execz .LBB52_186
.LBB52_285:
	ds_read_b32 v49, v48 offset:80
	s_waitcnt lgkmcnt(0)
	v_add_f32_e32 v5, v5, v49
	s_or_b32 exec_lo, exec_lo, s0
	s_and_saveexec_b32 s0, vcc_lo
	s_cbranch_execz .LBB52_187
.LBB52_286:
	ds_read_b32 v49, v48 offset:96
	s_waitcnt lgkmcnt(0)
	v_add_f32_e32 v6, v6, v49
	s_or_b32 exec_lo, exec_lo, s0
	s_and_saveexec_b32 s0, vcc_lo
	s_cbranch_execz .LBB52_188
.LBB52_287:
	ds_read_b32 v49, v48 offset:112
	s_waitcnt lgkmcnt(0)
	v_add_f32_e32 v7, v7, v49
	s_or_b32 exec_lo, exec_lo, s0
	s_and_saveexec_b32 s0, vcc_lo
	s_cbranch_execz .LBB52_189
.LBB52_288:
	ds_read_b32 v49, v48 offset:128
	s_waitcnt lgkmcnt(0)
	v_add_f32_e32 v8, v8, v49
	s_or_b32 exec_lo, exec_lo, s0
	s_and_saveexec_b32 s0, vcc_lo
	s_cbranch_execz .LBB52_190
.LBB52_289:
	ds_read_b32 v49, v48 offset:144
	s_waitcnt lgkmcnt(0)
	v_add_f32_e32 v9, v9, v49
	s_or_b32 exec_lo, exec_lo, s0
	s_and_saveexec_b32 s0, vcc_lo
	s_cbranch_execz .LBB52_191
.LBB52_290:
	ds_read_b32 v49, v48 offset:160
	s_waitcnt lgkmcnt(0)
	v_add_f32_e32 v10, v10, v49
	s_or_b32 exec_lo, exec_lo, s0
	s_and_saveexec_b32 s0, vcc_lo
	s_cbranch_execz .LBB52_192
.LBB52_291:
	ds_read_b32 v49, v48 offset:176
	s_waitcnt lgkmcnt(0)
	v_add_f32_e32 v11, v11, v49
	s_or_b32 exec_lo, exec_lo, s0
	s_and_saveexec_b32 s0, vcc_lo
	s_cbranch_execz .LBB52_193
.LBB52_292:
	ds_read_b32 v49, v48 offset:192
	s_waitcnt lgkmcnt(0)
	v_add_f32_e32 v12, v12, v49
	s_or_b32 exec_lo, exec_lo, s0
	s_and_saveexec_b32 s0, vcc_lo
	s_cbranch_execz .LBB52_194
.LBB52_293:
	ds_read_b32 v49, v48 offset:208
	s_waitcnt lgkmcnt(0)
	v_add_f32_e32 v13, v13, v49
	s_or_b32 exec_lo, exec_lo, s0
	s_and_saveexec_b32 s0, vcc_lo
	s_cbranch_execz .LBB52_195
.LBB52_294:
	ds_read_b32 v49, v48 offset:224
	s_waitcnt lgkmcnt(0)
	v_add_f32_e32 v14, v14, v49
	s_or_b32 exec_lo, exec_lo, s0
	s_and_saveexec_b32 s0, vcc_lo
	s_cbranch_execz .LBB52_196
.LBB52_295:
	ds_read_b32 v49, v48 offset:240
	s_waitcnt lgkmcnt(0)
	v_add_f32_e32 v15, v15, v49
	s_or_b32 exec_lo, exec_lo, s0
	s_and_saveexec_b32 s0, vcc_lo
	s_cbranch_execz .LBB52_197
.LBB52_296:
	ds_read_b32 v49, v48 offset:256
	s_waitcnt lgkmcnt(0)
	v_add_f32_e32 v16, v16, v49
	s_or_b32 exec_lo, exec_lo, s0
	s_and_saveexec_b32 s0, vcc_lo
	s_cbranch_execz .LBB52_198
.LBB52_297:
	ds_read_b32 v49, v48 offset:272
	s_waitcnt lgkmcnt(0)
	v_add_f32_e32 v17, v17, v49
	s_or_b32 exec_lo, exec_lo, s0
	s_and_saveexec_b32 s0, vcc_lo
	s_cbranch_execz .LBB52_199
.LBB52_298:
	ds_read_b32 v49, v48 offset:288
	s_waitcnt lgkmcnt(0)
	v_add_f32_e32 v18, v18, v49
	s_or_b32 exec_lo, exec_lo, s0
	s_and_saveexec_b32 s0, vcc_lo
	s_cbranch_execz .LBB52_200
.LBB52_299:
	ds_read_b32 v49, v48 offset:304
	s_waitcnt lgkmcnt(0)
	v_add_f32_e32 v19, v19, v49
	s_or_b32 exec_lo, exec_lo, s0
	s_and_saveexec_b32 s0, vcc_lo
	s_cbranch_execz .LBB52_201
.LBB52_300:
	ds_read_b32 v49, v48 offset:320
	s_waitcnt lgkmcnt(0)
	v_add_f32_e32 v20, v20, v49
	s_or_b32 exec_lo, exec_lo, s0
	s_and_saveexec_b32 s0, vcc_lo
	s_cbranch_execz .LBB52_202
.LBB52_301:
	ds_read_b32 v49, v48 offset:336
	s_waitcnt lgkmcnt(0)
	v_add_f32_e32 v21, v21, v49
	s_or_b32 exec_lo, exec_lo, s0
	s_and_saveexec_b32 s0, vcc_lo
	s_cbranch_execz .LBB52_203
.LBB52_302:
	ds_read_b32 v49, v48 offset:352
	s_waitcnt lgkmcnt(0)
	v_add_f32_e32 v22, v22, v49
	s_or_b32 exec_lo, exec_lo, s0
	s_and_saveexec_b32 s0, vcc_lo
	s_cbranch_execz .LBB52_204
.LBB52_303:
	ds_read_b32 v49, v48 offset:368
	s_waitcnt lgkmcnt(0)
	v_add_f32_e32 v23, v23, v49
	s_or_b32 exec_lo, exec_lo, s0
	s_and_saveexec_b32 s0, vcc_lo
	s_cbranch_execz .LBB52_205
.LBB52_304:
	ds_read_b32 v49, v48 offset:384
	s_waitcnt lgkmcnt(0)
	v_add_f32_e32 v24, v24, v49
	s_or_b32 exec_lo, exec_lo, s0
	s_and_saveexec_b32 s0, vcc_lo
	s_cbranch_execz .LBB52_206
.LBB52_305:
	ds_read_b32 v49, v48 offset:400
	s_waitcnt lgkmcnt(0)
	v_add_f32_e32 v25, v25, v49
	s_or_b32 exec_lo, exec_lo, s0
	s_and_saveexec_b32 s0, vcc_lo
	s_cbranch_execz .LBB52_207
.LBB52_306:
	ds_read_b32 v49, v48 offset:416
	s_waitcnt lgkmcnt(0)
	v_add_f32_e32 v26, v26, v49
	s_or_b32 exec_lo, exec_lo, s0
	s_and_saveexec_b32 s0, vcc_lo
	s_cbranch_execz .LBB52_208
.LBB52_307:
	ds_read_b32 v49, v48 offset:432
	s_waitcnt lgkmcnt(0)
	v_add_f32_e32 v27, v27, v49
	s_or_b32 exec_lo, exec_lo, s0
	s_and_saveexec_b32 s0, vcc_lo
	s_cbranch_execz .LBB52_209
.LBB52_308:
	ds_read_b32 v49, v48 offset:448
	s_waitcnt lgkmcnt(0)
	v_add_f32_e32 v28, v28, v49
	s_or_b32 exec_lo, exec_lo, s0
	s_and_saveexec_b32 s0, vcc_lo
	s_cbranch_execz .LBB52_210
.LBB52_309:
	ds_read_b32 v49, v48 offset:464
	s_waitcnt lgkmcnt(0)
	v_add_f32_e32 v29, v29, v49
	s_or_b32 exec_lo, exec_lo, s0
	s_and_saveexec_b32 s0, vcc_lo
	s_cbranch_execz .LBB52_211
.LBB52_310:
	ds_read_b32 v49, v48 offset:480
	s_waitcnt lgkmcnt(0)
	v_add_f32_e32 v30, v30, v49
	s_or_b32 exec_lo, exec_lo, s0
	s_and_saveexec_b32 s0, vcc_lo
	s_cbranch_execz .LBB52_212
.LBB52_311:
	ds_read_b32 v49, v48 offset:496
	s_waitcnt lgkmcnt(0)
	v_add_f32_e32 v31, v31, v49
	s_or_b32 exec_lo, exec_lo, s0
	s_and_saveexec_b32 s0, vcc_lo
	s_cbranch_execz .LBB52_213
.LBB52_312:
	ds_read_b32 v49, v48 offset:512
	s_waitcnt lgkmcnt(0)
	v_add_f32_e32 v32, v32, v49
	s_or_b32 exec_lo, exec_lo, s0
	s_and_saveexec_b32 s0, vcc_lo
	s_cbranch_execz .LBB52_214
.LBB52_313:
	ds_read_b32 v49, v48 offset:528
	s_waitcnt lgkmcnt(0)
	v_add_f32_e32 v33, v33, v49
	s_or_b32 exec_lo, exec_lo, s0
	s_and_saveexec_b32 s0, vcc_lo
	s_cbranch_execz .LBB52_215
.LBB52_314:
	ds_read_b32 v49, v48 offset:544
	s_waitcnt lgkmcnt(0)
	v_add_f32_e32 v34, v34, v49
	s_or_b32 exec_lo, exec_lo, s0
	s_and_saveexec_b32 s0, vcc_lo
	s_cbranch_execz .LBB52_216
.LBB52_315:
	ds_read_b32 v49, v48 offset:560
	s_waitcnt lgkmcnt(0)
	v_add_f32_e32 v35, v35, v49
	s_or_b32 exec_lo, exec_lo, s0
	s_and_saveexec_b32 s0, vcc_lo
	s_cbranch_execz .LBB52_217
.LBB52_316:
	ds_read_b32 v49, v48 offset:576
	s_waitcnt lgkmcnt(0)
	v_add_f32_e32 v36, v36, v49
	s_or_b32 exec_lo, exec_lo, s0
	s_and_saveexec_b32 s0, vcc_lo
	s_cbranch_execz .LBB52_218
.LBB52_317:
	ds_read_b32 v49, v48 offset:592
	s_waitcnt lgkmcnt(0)
	v_add_f32_e32 v37, v37, v49
	s_or_b32 exec_lo, exec_lo, s0
	s_and_saveexec_b32 s0, vcc_lo
	s_cbranch_execz .LBB52_219
.LBB52_318:
	ds_read_b32 v49, v48 offset:608
	s_waitcnt lgkmcnt(0)
	v_add_f32_e32 v38, v38, v49
	s_or_b32 exec_lo, exec_lo, s0
	s_and_saveexec_b32 s0, vcc_lo
	s_cbranch_execz .LBB52_220
.LBB52_319:
	ds_read_b32 v49, v48 offset:624
	s_waitcnt lgkmcnt(0)
	v_add_f32_e32 v39, v39, v49
	s_or_b32 exec_lo, exec_lo, s0
	s_and_saveexec_b32 s0, vcc_lo
	s_cbranch_execz .LBB52_221
.LBB52_320:
	ds_read_b32 v49, v48 offset:640
	s_waitcnt lgkmcnt(0)
	v_add_f32_e32 v40, v40, v49
	s_or_b32 exec_lo, exec_lo, s0
	s_and_saveexec_b32 s0, vcc_lo
	s_cbranch_execz .LBB52_222
.LBB52_321:
	ds_read_b32 v49, v48 offset:656
	s_waitcnt lgkmcnt(0)
	v_add_f32_e32 v41, v41, v49
	s_or_b32 exec_lo, exec_lo, s0
	s_and_saveexec_b32 s0, vcc_lo
	s_cbranch_execz .LBB52_223
.LBB52_322:
	ds_read_b32 v49, v48 offset:672
	s_waitcnt lgkmcnt(0)
	v_add_f32_e32 v42, v42, v49
	s_or_b32 exec_lo, exec_lo, s0
	s_and_saveexec_b32 s0, vcc_lo
	s_cbranch_execz .LBB52_224
.LBB52_323:
	ds_read_b32 v49, v48 offset:688
	s_waitcnt lgkmcnt(0)
	v_add_f32_e32 v43, v43, v49
	s_or_b32 exec_lo, exec_lo, s0
	s_and_saveexec_b32 s0, vcc_lo
	s_cbranch_execz .LBB52_225
.LBB52_324:
	ds_read_b32 v49, v48 offset:704
	s_waitcnt lgkmcnt(0)
	v_add_f32_e32 v44, v44, v49
	s_or_b32 exec_lo, exec_lo, s0
	s_and_saveexec_b32 s0, vcc_lo
	s_cbranch_execz .LBB52_226
.LBB52_325:
	ds_read_b32 v49, v48 offset:720
	s_waitcnt lgkmcnt(0)
	v_add_f32_e32 v45, v45, v49
	s_or_b32 exec_lo, exec_lo, s0
	s_and_saveexec_b32 s0, vcc_lo
	s_cbranch_execz .LBB52_227
.LBB52_326:
	ds_read_b32 v49, v48 offset:736
	s_waitcnt lgkmcnt(0)
	v_add_f32_e32 v46, v46, v49
	s_or_b32 exec_lo, exec_lo, s0
	s_and_saveexec_b32 s0, vcc_lo
	s_cbranch_execnz .LBB52_228
	s_branch .LBB52_229
	.section	.rodata,"a",@progbits
	.p2align	6, 0x0
	.amdhsa_kernel _ZN4vllm25paged_attention_v1_kernelIffLi192ELi32ELi128ELNS_18Fp8KVCacheDataTypeE0ELb0EEEvPT_PKS2_PKT0_S8_ifPKiSA_iPKfiiiSC_SC_iiiii
		.amdhsa_group_segment_fixed_size 800
		.amdhsa_private_segment_fixed_size 608
		.amdhsa_kernarg_size 384
		.amdhsa_user_sgpr_count 6
		.amdhsa_user_sgpr_private_segment_buffer 1
		.amdhsa_user_sgpr_dispatch_ptr 0
		.amdhsa_user_sgpr_queue_ptr 0
		.amdhsa_user_sgpr_kernarg_segment_ptr 1
		.amdhsa_user_sgpr_dispatch_id 0
		.amdhsa_user_sgpr_flat_scratch_init 0
		.amdhsa_user_sgpr_private_segment_size 0
		.amdhsa_wavefront_size32 1
		.amdhsa_uses_dynamic_stack 0
		.amdhsa_system_sgpr_private_segment_wavefront_offset 1
		.amdhsa_system_sgpr_workgroup_id_x 1
		.amdhsa_system_sgpr_workgroup_id_y 1
		.amdhsa_system_sgpr_workgroup_id_z 1
		.amdhsa_system_sgpr_workgroup_info 0
		.amdhsa_system_vgpr_workitem_id 0
		.amdhsa_next_free_vgpr 128
		.amdhsa_next_free_sgpr 40
		.amdhsa_reserve_vcc 1
		.amdhsa_reserve_flat_scratch 0
		.amdhsa_float_round_mode_32 0
		.amdhsa_float_round_mode_16_64 0
		.amdhsa_float_denorm_mode_32 3
		.amdhsa_float_denorm_mode_16_64 3
		.amdhsa_dx10_clamp 1
		.amdhsa_ieee_mode 1
		.amdhsa_fp16_overflow 0
		.amdhsa_workgroup_processor_mode 1
		.amdhsa_memory_ordered 1
		.amdhsa_forward_progress 1
		.amdhsa_shared_vgpr_count 0
		.amdhsa_exception_fp_ieee_invalid_op 0
		.amdhsa_exception_fp_denorm_src 0
		.amdhsa_exception_fp_ieee_div_zero 0
		.amdhsa_exception_fp_ieee_overflow 0
		.amdhsa_exception_fp_ieee_underflow 0
		.amdhsa_exception_fp_ieee_inexact 0
		.amdhsa_exception_int_div_zero 0
	.end_amdhsa_kernel
	.section	.text._ZN4vllm25paged_attention_v1_kernelIffLi192ELi32ELi128ELNS_18Fp8KVCacheDataTypeE0ELb0EEEvPT_PKS2_PKT0_S8_ifPKiSA_iPKfiiiSC_SC_iiiii,"axG",@progbits,_ZN4vllm25paged_attention_v1_kernelIffLi192ELi32ELi128ELNS_18Fp8KVCacheDataTypeE0ELb0EEEvPT_PKS2_PKT0_S8_ifPKiSA_iPKfiiiSC_SC_iiiii,comdat
.Lfunc_end52:
	.size	_ZN4vllm25paged_attention_v1_kernelIffLi192ELi32ELi128ELNS_18Fp8KVCacheDataTypeE0ELb0EEEvPT_PKS2_PKT0_S8_ifPKiSA_iPKfiiiSC_SC_iiiii, .Lfunc_end52-_ZN4vllm25paged_attention_v1_kernelIffLi192ELi32ELi128ELNS_18Fp8KVCacheDataTypeE0ELb0EEEvPT_PKS2_PKT0_S8_ifPKiSA_iPKfiiiSC_SC_iiiii
                                        ; -- End function
	.set _ZN4vllm25paged_attention_v1_kernelIffLi192ELi32ELi128ELNS_18Fp8KVCacheDataTypeE0ELb0EEEvPT_PKS2_PKT0_S8_ifPKiSA_iPKfiiiSC_SC_iiiii.num_vgpr, 128
	.set _ZN4vllm25paged_attention_v1_kernelIffLi192ELi32ELi128ELNS_18Fp8KVCacheDataTypeE0ELb0EEEvPT_PKS2_PKT0_S8_ifPKiSA_iPKfiiiSC_SC_iiiii.num_agpr, 0
	.set _ZN4vllm25paged_attention_v1_kernelIffLi192ELi32ELi128ELNS_18Fp8KVCacheDataTypeE0ELb0EEEvPT_PKS2_PKT0_S8_ifPKiSA_iPKfiiiSC_SC_iiiii.numbered_sgpr, 40
	.set _ZN4vllm25paged_attention_v1_kernelIffLi192ELi32ELi128ELNS_18Fp8KVCacheDataTypeE0ELb0EEEvPT_PKS2_PKT0_S8_ifPKiSA_iPKfiiiSC_SC_iiiii.num_named_barrier, 0
	.set _ZN4vllm25paged_attention_v1_kernelIffLi192ELi32ELi128ELNS_18Fp8KVCacheDataTypeE0ELb0EEEvPT_PKS2_PKT0_S8_ifPKiSA_iPKfiiiSC_SC_iiiii.private_seg_size, 608
	.set _ZN4vllm25paged_attention_v1_kernelIffLi192ELi32ELi128ELNS_18Fp8KVCacheDataTypeE0ELb0EEEvPT_PKS2_PKT0_S8_ifPKiSA_iPKfiiiSC_SC_iiiii.uses_vcc, 1
	.set _ZN4vllm25paged_attention_v1_kernelIffLi192ELi32ELi128ELNS_18Fp8KVCacheDataTypeE0ELb0EEEvPT_PKS2_PKT0_S8_ifPKiSA_iPKfiiiSC_SC_iiiii.uses_flat_scratch, 0
	.set _ZN4vllm25paged_attention_v1_kernelIffLi192ELi32ELi128ELNS_18Fp8KVCacheDataTypeE0ELb0EEEvPT_PKS2_PKT0_S8_ifPKiSA_iPKfiiiSC_SC_iiiii.has_dyn_sized_stack, 0
	.set _ZN4vllm25paged_attention_v1_kernelIffLi192ELi32ELi128ELNS_18Fp8KVCacheDataTypeE0ELb0EEEvPT_PKS2_PKT0_S8_ifPKiSA_iPKfiiiSC_SC_iiiii.has_recursion, 0
	.set _ZN4vllm25paged_attention_v1_kernelIffLi192ELi32ELi128ELNS_18Fp8KVCacheDataTypeE0ELb0EEEvPT_PKS2_PKT0_S8_ifPKiSA_iPKfiiiSC_SC_iiiii.has_indirect_call, 0
	.section	.AMDGPU.csdata,"",@progbits
; Kernel info:
; codeLenInByte = 25136
; TotalNumSgprs: 42
; NumVgprs: 128
; ScratchSize: 608
; MemoryBound: 0
; FloatMode: 240
; IeeeMode: 1
; LDSByteSize: 800 bytes/workgroup (compile time only)
; SGPRBlocks: 0
; VGPRBlocks: 15
; NumSGPRsForWavesPerEU: 42
; NumVGPRsForWavesPerEU: 128
; Occupancy: 8
; WaveLimiterHint : 1
; COMPUTE_PGM_RSRC2:SCRATCH_EN: 1
; COMPUTE_PGM_RSRC2:USER_SGPR: 6
; COMPUTE_PGM_RSRC2:TRAP_HANDLER: 0
; COMPUTE_PGM_RSRC2:TGID_X_EN: 1
; COMPUTE_PGM_RSRC2:TGID_Y_EN: 1
; COMPUTE_PGM_RSRC2:TGID_Z_EN: 1
; COMPUTE_PGM_RSRC2:TIDIG_COMP_CNT: 0
	.section	.text._ZN4vllm25paged_attention_v1_kernelIffLi256ELi32ELi128ELNS_18Fp8KVCacheDataTypeE0ELb0EEEvPT_PKS2_PKT0_S8_ifPKiSA_iPKfiiiSC_SC_iiiii,"axG",@progbits,_ZN4vllm25paged_attention_v1_kernelIffLi256ELi32ELi128ELNS_18Fp8KVCacheDataTypeE0ELb0EEEvPT_PKS2_PKT0_S8_ifPKiSA_iPKfiiiSC_SC_iiiii,comdat
	.protected	_ZN4vllm25paged_attention_v1_kernelIffLi256ELi32ELi128ELNS_18Fp8KVCacheDataTypeE0ELb0EEEvPT_PKS2_PKT0_S8_ifPKiSA_iPKfiiiSC_SC_iiiii ; -- Begin function _ZN4vllm25paged_attention_v1_kernelIffLi256ELi32ELi128ELNS_18Fp8KVCacheDataTypeE0ELb0EEEvPT_PKS2_PKT0_S8_ifPKiSA_iPKfiiiSC_SC_iiiii
	.globl	_ZN4vllm25paged_attention_v1_kernelIffLi256ELi32ELi128ELNS_18Fp8KVCacheDataTypeE0ELb0EEEvPT_PKS2_PKT0_S8_ifPKiSA_iPKfiiiSC_SC_iiiii
	.p2align	8
	.type	_ZN4vllm25paged_attention_v1_kernelIffLi256ELi32ELi128ELNS_18Fp8KVCacheDataTypeE0ELb0EEEvPT_PKS2_PKT0_S8_ifPKiSA_iPKfiiiSC_SC_iiiii,@function
_ZN4vllm25paged_attention_v1_kernelIffLi256ELi32ELi128ELNS_18Fp8KVCacheDataTypeE0ELb0EEEvPT_PKS2_PKT0_S8_ifPKiSA_iPKfiiiSC_SC_iiiii: ; @_ZN4vllm25paged_attention_v1_kernelIffLi256ELi32ELi128ELNS_18Fp8KVCacheDataTypeE0ELb0EEEvPT_PKS2_PKT0_S8_ifPKiSA_iPKfiiiSC_SC_iiiii
; %bb.0:
	s_mov_b64 s[38:39], s[2:3]
	s_mov_b64 s[36:37], s[0:1]
	s_mov_b32 s10, s7
	s_add_u32 s36, s36, s9
	s_clause 0x2
	s_load_dword s9, s[4:5], 0x80
	s_load_dwordx2 s[0:1], s[4:5], 0x30
	s_load_dwordx2 s[24:25], s[4:5], 0x20
	s_addc_u32 s37, s37, 0
	s_ashr_i32 s11, s7, 31
	s_lshl_b64 s[2:3], s[10:11], 2
	s_waitcnt lgkmcnt(0)
	s_add_u32 s0, s0, s2
	s_addc_u32 s1, s1, s3
	s_abs_i32 s2, s24
	s_abs_i32 s11, s9
	v_cvt_f32_u32_e32 v1, s2
	s_sub_i32 s7, 0, s2
	v_rcp_iflag_f32_e32 v1, v1
	v_mul_f32_e32 v1, 0x4f7ffffe, v1
	v_cvt_u32_f32_e32 v1, v1
	v_readfirstlane_b32 s3, v1
	s_mul_i32 s7, s7, s3
	s_mul_hi_u32 s7, s3, s7
	s_add_i32 s3, s3, s7
	s_xor_b32 s7, s9, s24
	s_mul_hi_u32 s3, s11, s3
	s_ashr_i32 s7, s7, 31
	s_mul_i32 s12, s3, s2
	s_mov_b32 s24, 0
	s_sub_i32 s11, s11, s12
	s_add_i32 s12, s3, 1
	s_sub_i32 s13, s11, s2
	s_cmp_ge_u32 s11, s2
	s_cselect_b32 s3, s12, s3
	s_cselect_b32 s11, s13, s11
	s_add_i32 s12, s3, 1
	s_cmp_ge_u32 s11, s2
	s_cselect_b32 s2, s12, s3
	s_abs_i32 s16, s6
	s_xor_b32 s2, s2, s7
	s_sub_i32 s17, s2, s7
	s_load_dwordx2 s[2:3], s[4:5], 0x40
	s_abs_i32 s22, s17
	v_cvt_f32_u32_e32 v1, s22
	s_sub_i32 s11, 0, s22
	v_rcp_iflag_f32_e32 v1, v1
	v_mul_f32_e32 v1, 0x4f7ffffe, v1
	v_cvt_u32_f32_e32 v1, v1
	v_readfirstlane_b32 s7, v1
	s_mul_i32 s11, s11, s7
	s_mul_hi_u32 s11, s7, s11
	s_add_i32 s7, s7, s11
	s_waitcnt lgkmcnt(0)
	s_cmp_eq_u64 s[2:3], 0
	s_mul_hi_u32 s23, s16, s7
	s_cbranch_scc1 .LBB53_2
; %bb.1:
	s_ashr_i32 s7, s6, 31
	s_lshl_b64 s[12:13], s[6:7], 2
	s_add_u32 s2, s2, s12
	s_addc_u32 s3, s3, s13
	s_load_dword s24, s[2:3], 0x0
.LBB53_2:
	s_load_dword s11, s[0:1], 0x0
	s_clause 0x1
	s_load_dwordx2 s[20:21], s[4:5], 0x28
	s_load_dwordx4 s[12:15], s[4:5], 0x48
	v_cmp_gt_u32_e64 s0, 64, v0
	s_ashr_i32 s1, s6, 31
	s_ashr_i32 s2, s17, 31
	s_lshl_b32 s6, s6, 8
	s_mov_b32 s3, exec_lo
	s_and_b32 s7, s3, s0
	buffer_store_dword v0, off, s[36:39], 0 offset:896 ; 4-byte Folded Spill
	s_mov_b32 exec_lo, s7
	s_cbranch_execz .LBB53_4
; %bb.3:
	s_load_dwordx2 s[18:19], s[4:5], 0x8
	s_waitcnt lgkmcnt(0)
	s_mul_i32 s26, s12, s10
	v_lshlrev_b32_e32 v4, 4, v0
	s_ashr_i32 s27, s26, 31
	s_lshl_b64 s[26:27], s[26:27], 2
	s_add_u32 s12, s18, s26
	s_addc_u32 s15, s19, s27
	s_ashr_i32 s7, s6, 31
	s_lshl_b64 s[18:19], s[6:7], 2
	s_add_u32 s18, s12, s18
	s_addc_u32 s19, s15, s19
	global_load_dwordx4 v[0:3], v4, s[18:19]
	s_waitcnt vmcnt(0)
	ds_write_b128 v4, v[0:3]
	buffer_load_dword v0, off, s[36:39], 0 offset:896 ; 4-byte Folded Reload
.LBB53_4:
	s_or_b32 exec_lo, exec_lo, s3
	s_waitcnt lgkmcnt(0)
	s_add_i32 s3, s11, 31
	s_load_dword s15, s[4:5], 0x38
	s_ashr_i32 s7, s3, 31
	s_xor_b32 s1, s1, s2
	s_lshr_b32 s2, s7, 27
	s_mul_i32 s7, s23, s22
	s_add_i32 s3, s3, s2
	s_sub_i32 s2, s16, s7
	s_clause 0x2
	s_load_dwordx2 s[16:17], s[4:5], 0x0
	s_load_dwordx2 s[18:19], s[4:5], 0x18
	s_load_dword s7, s[4:5], 0x88
	s_ashr_i32 s12, s3, 5
	s_add_i32 s3, s23, 1
	s_sub_i32 s26, s2, s22
	s_cmp_ge_u32 s2, s22
	s_waitcnt vmcnt(0)
	v_lshrrev_b32_e32 v1, 5, v0
	s_cselect_b32 s3, s3, s23
	s_cselect_b32 s2, s26, s2
	s_add_i32 s23, s3, 1
	s_cmp_ge_u32 s2, s22
	v_and_b32_e32 v0, 31, v0
	s_cselect_b32 s2, s23, s3
	v_mov_b32_e32 v11, 0xff7fffff
	s_xor_b32 s2, s2, s1
	s_waitcnt lgkmcnt(0)
	s_mul_i32 s22, s15, s10
	s_sub_i32 s2, s2, s1
	v_cmp_gt_i32_e64 s1, s12, v1
	v_lshlrev_b32_e32 v10, 2, v0
	s_ashr_i32 s23, s22, 31
	s_mul_i32 s14, s2, s14
	s_waitcnt_vscnt null, 0x0
	buffer_store_dword v1, off, s[36:39], 0 offset:912 ; 4-byte Folded Spill
	buffer_store_dword v0, off, s[36:39], 0 offset:908 ; 4-byte Folded Spill
	s_barrier
	s_waitcnt_vscnt null, 0x0
	buffer_gl0_inv
	s_and_saveexec_b32 s26, s1
	s_cbranch_execz .LBB53_8
; %bb.5:
	buffer_load_dword v9, off, s[36:39], 0 offset:908 ; 4-byte Folded Reload
	s_load_dwordx2 s[2:3], s[4:5], 0x10
	s_ashr_i32 s15, s14, 31
	v_mov_b32_e32 v5, 0
	s_lshl_b64 s[28:29], s[14:15], 2
	v_cmp_neq_f32_e64 vcc_lo, s24, 0
	v_mov_b32_e32 v11, 0xff7fffff
	s_mov_b32 s4, s13
	s_mov_b32 s5, 0
	s_waitcnt lgkmcnt(0)
	s_add_u32 s2, s2, s28
	s_addc_u32 s3, s3, s29
	s_sub_i32 s15, 1, s11
	s_waitcnt vmcnt(0)
	v_lshlrev_b32_e32 v0, 4, v9
	v_add_co_u32 v0, s2, s2, v0
	buffer_store_dword v0, off, s[36:39], 0 ; 4-byte Folded Spill
	v_add_co_ci_u32_e64 v0, null, s3, 0, s2
	s_lshl_b64 s[2:3], s[22:23], 2
	s_add_u32 s2, s20, s2
	buffer_store_dword v0, off, s[36:39], 0 offset:16 ; 4-byte Folded Spill
	ds_read_b128 v[0:3], v5
	s_addc_u32 s3, s21, s3
	s_waitcnt lgkmcnt(0)
	buffer_store_dword v0, off, s[36:39], 0 offset:32 ; 4-byte Folded Spill
	buffer_store_dword v1, off, s[36:39], 0 offset:36 ; 4-byte Folded Spill
	buffer_store_dword v2, off, s[36:39], 0 offset:40 ; 4-byte Folded Spill
	buffer_store_dword v3, off, s[36:39], 0 offset:44 ; 4-byte Folded Spill
	ds_read_b128 v[0:3], v5 offset:16
	s_waitcnt lgkmcnt(0)
	buffer_store_dword v0, off, s[36:39], 0 offset:48 ; 4-byte Folded Spill
	buffer_store_dword v1, off, s[36:39], 0 offset:52 ; 4-byte Folded Spill
	buffer_store_dword v2, off, s[36:39], 0 offset:56 ; 4-byte Folded Spill
	buffer_store_dword v3, off, s[36:39], 0 offset:60 ; 4-byte Folded Spill
	ds_read_b128 v[0:3], v5 offset:32
	;; [unrolled: 6-line block ×38, first 2 shown]
	ds_read_b128 v[33:36], v5 offset:624
	ds_read_b128 v[37:40], v5 offset:640
	;; [unrolled: 1-line block ×25, first 2 shown]
	buffer_load_dword v12, off, s[36:39], 0 offset:912 ; 4-byte Folded Reload
	buffer_store_dword v10, off, s[36:39], 0 offset:640 ; 4-byte Folded Spill
	s_waitcnt vmcnt(0)
	v_lshl_or_b32 v127, v12, 5, v9
	buffer_load_dword v9, off, s[36:39], 0 offset:896 ; 4-byte Folded Reload
	v_lshl_or_b32 v0, v12, 7, v10
	v_add_nc_u32_e32 v0, 0x420, v0
	s_waitcnt vmcnt(0)
	v_lshrrev_b32_e32 v9, 3, v9
	v_and_b32_e32 v9, 0x7c, v9
	v_add_co_u32 v125, s2, s2, v9
	v_add_co_ci_u32_e64 v126, null, s3, 0, s2
.LBB53_6:                               ; =>This Inner Loop Header: Depth=1
	global_load_dword v9, v[125:126], off
	buffer_load_dword v13, off, s[36:39], 0 ; 4-byte Folded Reload
	v_add_nc_u32_e32 v12, 4, v12
	v_cmp_le_i32_e64 s3, s12, v12
	s_or_b32 s5, s3, s5
	s_waitcnt vmcnt(1)
	v_mad_i64_i32 v[9:10], null, v9, s4, 0
	v_lshlrev_b64 v[9:10], 2, v[9:10]
	s_waitcnt vmcnt(0)
	v_add_co_u32 v9, s2, v13, v9
	buffer_load_dword v13, off, s[36:39], 0 offset:16 ; 4-byte Folded Reload
	s_waitcnt vmcnt(0)
	v_add_co_ci_u32_e64 v10, null, v13, v10, s2
	global_load_dwordx4 v[13:16], v[9:10], off offset:512
	s_clause 0x3
	buffer_load_dword v17, off, s[36:39], 0 offset:48
	buffer_load_dword v18, off, s[36:39], 0 offset:52
	;; [unrolled: 1-line block ×4, first 2 shown]
	s_waitcnt vmcnt(3)
	v_mul_f32_e32 v13, v17, v13
	s_waitcnt vmcnt(2)
	v_mul_f32_e32 v14, v18, v14
	;; [unrolled: 2-line block ×4, first 2 shown]
	global_load_dwordx4 v[17:20], v[9:10], off
	s_clause 0x3
	buffer_load_dword v21, off, s[36:39], 0 offset:32
	buffer_load_dword v22, off, s[36:39], 0 offset:36
	;; [unrolled: 1-line block ×4, first 2 shown]
	s_waitcnt vmcnt(3)
	v_fmac_f32_e32 v13, v21, v17
	s_waitcnt vmcnt(2)
	v_fmac_f32_e32 v14, v22, v18
	;; [unrolled: 2-line block ×4, first 2 shown]
	global_load_dwordx4 v[17:20], v[9:10], off offset:1024
	s_clause 0x3
	buffer_load_dword v21, off, s[36:39], 0 offset:64
	buffer_load_dword v22, off, s[36:39], 0 offset:68
	;; [unrolled: 1-line block ×4, first 2 shown]
	s_waitcnt vmcnt(3)
	v_fmac_f32_e32 v13, v21, v17
	s_waitcnt vmcnt(2)
	v_fmac_f32_e32 v14, v22, v18
	;; [unrolled: 2-line block ×4, first 2 shown]
	global_load_dwordx4 v[17:20], v[9:10], off offset:1536
	s_clause 0x3
	buffer_load_dword v21, off, s[36:39], 0 offset:80
	buffer_load_dword v22, off, s[36:39], 0 offset:84
	;; [unrolled: 1-line block ×4, first 2 shown]
	s_waitcnt vmcnt(3)
	v_fmac_f32_e32 v13, v21, v17
	v_add_co_u32 v21, s2, v9, 0x1000
	s_waitcnt vmcnt(2)
	v_fmac_f32_e32 v14, v22, v18
	v_add_co_ci_u32_e64 v22, null, 0, v10, s2
	s_waitcnt vmcnt(1)
	v_fmac_f32_e32 v15, v23, v19
	s_waitcnt vmcnt(0)
	v_fmac_f32_e32 v16, v24, v20
	global_load_dwordx4 v[17:20], v[21:22], off offset:-2048
	s_clause 0x3
	buffer_load_dword v23, off, s[36:39], 0 offset:96
	buffer_load_dword v24, off, s[36:39], 0 offset:100
	;; [unrolled: 1-line block ×4, first 2 shown]
	s_waitcnt vmcnt(3)
	v_fmac_f32_e32 v13, v23, v17
	v_add_co_u32 v23, s2, 0x800, v9
	s_waitcnt vmcnt(2)
	v_fmac_f32_e32 v14, v24, v18
	v_add_co_ci_u32_e64 v24, null, 0, v10, s2
	s_waitcnt vmcnt(1)
	v_fmac_f32_e32 v15, v25, v19
	s_waitcnt vmcnt(0)
	v_fmac_f32_e32 v16, v26, v20
	global_load_dwordx4 v[17:20], v[23:24], off offset:512
	s_clause 0x3
	buffer_load_dword v25, off, s[36:39], 0 offset:112
	buffer_load_dword v26, off, s[36:39], 0 offset:116
	buffer_load_dword v27, off, s[36:39], 0 offset:120
	buffer_load_dword v28, off, s[36:39], 0 offset:124
	s_waitcnt vmcnt(3)
	v_fmac_f32_e32 v13, v25, v17
	s_waitcnt vmcnt(2)
	v_fmac_f32_e32 v14, v26, v18
	s_waitcnt vmcnt(1)
	v_fmac_f32_e32 v15, v27, v19
	s_waitcnt vmcnt(0)
	v_fmac_f32_e32 v16, v28, v20
	global_load_dwordx4 v[17:20], v[23:24], off offset:1024
	s_clause 0x3
	buffer_load_dword v25, off, s[36:39], 0 offset:128
	buffer_load_dword v26, off, s[36:39], 0 offset:132
	buffer_load_dword v27, off, s[36:39], 0 offset:136
	buffer_load_dword v28, off, s[36:39], 0 offset:140
	s_waitcnt vmcnt(3)
	v_fmac_f32_e32 v13, v25, v17
	s_waitcnt vmcnt(2)
	v_fmac_f32_e32 v14, v26, v18
	;; [unrolled: 14-line block ×3, first 2 shown]
	s_waitcnt vmcnt(1)
	v_fmac_f32_e32 v15, v25, v19
	s_waitcnt vmcnt(0)
	v_fmac_f32_e32 v16, v26, v20
	global_load_dwordx4 v[17:20], v[21:22], off
	s_clause 0x3
	buffer_load_dword v21, off, s[36:39], 0 offset:160
	buffer_load_dword v22, off, s[36:39], 0 offset:164
	;; [unrolled: 1-line block ×4, first 2 shown]
	s_waitcnt vmcnt(3)
	v_fmac_f32_e32 v13, v21, v17
	v_add_co_u32 v21, s2, 0x1000, v9
	s_waitcnt vmcnt(2)
	v_fmac_f32_e32 v14, v22, v18
	v_add_co_ci_u32_e64 v22, null, 0, v10, s2
	s_waitcnt vmcnt(1)
	v_fmac_f32_e32 v15, v23, v19
	s_waitcnt vmcnt(0)
	v_fmac_f32_e32 v16, v24, v20
	global_load_dwordx4 v[17:20], v[21:22], off offset:512
	s_clause 0x3
	buffer_load_dword v23, off, s[36:39], 0 offset:176
	buffer_load_dword v24, off, s[36:39], 0 offset:180
	;; [unrolled: 1-line block ×4, first 2 shown]
	s_waitcnt vmcnt(3)
	v_fmac_f32_e32 v13, v23, v17
	s_waitcnt vmcnt(2)
	v_fmac_f32_e32 v14, v24, v18
	;; [unrolled: 2-line block ×4, first 2 shown]
	global_load_dwordx4 v[17:20], v[21:22], off offset:1024
	s_clause 0x3
	buffer_load_dword v23, off, s[36:39], 0 offset:192
	buffer_load_dword v24, off, s[36:39], 0 offset:196
	;; [unrolled: 1-line block ×4, first 2 shown]
	s_waitcnt vmcnt(3)
	v_fmac_f32_e32 v13, v23, v17
	s_waitcnt vmcnt(2)
	v_fmac_f32_e32 v14, v24, v18
	;; [unrolled: 2-line block ×4, first 2 shown]
	global_load_dwordx4 v[17:20], v[21:22], off offset:1536
	s_clause 0x3
	buffer_load_dword v21, off, s[36:39], 0 offset:208
	buffer_load_dword v22, off, s[36:39], 0 offset:212
	;; [unrolled: 1-line block ×4, first 2 shown]
	s_waitcnt vmcnt(3)
	v_fmac_f32_e32 v13, v21, v17
	v_add_co_u32 v21, s2, v9, 0x2000
	s_waitcnt vmcnt(2)
	v_fmac_f32_e32 v14, v22, v18
	v_add_co_ci_u32_e64 v22, null, 0, v10, s2
	s_waitcnt vmcnt(1)
	v_fmac_f32_e32 v15, v23, v19
	s_waitcnt vmcnt(0)
	v_fmac_f32_e32 v16, v24, v20
	global_load_dwordx4 v[17:20], v[21:22], off offset:-2048
	s_clause 0x3
	buffer_load_dword v23, off, s[36:39], 0 offset:224
	buffer_load_dword v24, off, s[36:39], 0 offset:228
	;; [unrolled: 1-line block ×4, first 2 shown]
	s_waitcnt vmcnt(3)
	v_fmac_f32_e32 v13, v23, v17
	v_add_co_u32 v23, s2, 0x1800, v9
	s_waitcnt vmcnt(2)
	v_fmac_f32_e32 v14, v24, v18
	v_add_co_ci_u32_e64 v24, null, 0, v10, s2
	s_waitcnt vmcnt(1)
	v_fmac_f32_e32 v15, v25, v19
	s_waitcnt vmcnt(0)
	v_fmac_f32_e32 v16, v26, v20
	global_load_dwordx4 v[17:20], v[23:24], off offset:512
	s_clause 0x3
	buffer_load_dword v25, off, s[36:39], 0 offset:240
	buffer_load_dword v26, off, s[36:39], 0 offset:244
	buffer_load_dword v27, off, s[36:39], 0 offset:248
	buffer_load_dword v28, off, s[36:39], 0 offset:252
	s_waitcnt vmcnt(3)
	v_fmac_f32_e32 v13, v25, v17
	s_waitcnt vmcnt(2)
	v_fmac_f32_e32 v14, v26, v18
	s_waitcnt vmcnt(1)
	v_fmac_f32_e32 v15, v27, v19
	s_waitcnt vmcnt(0)
	v_fmac_f32_e32 v16, v28, v20
	global_load_dwordx4 v[17:20], v[23:24], off offset:1024
	s_clause 0x3
	buffer_load_dword v25, off, s[36:39], 0 offset:256
	buffer_load_dword v26, off, s[36:39], 0 offset:260
	buffer_load_dword v27, off, s[36:39], 0 offset:264
	buffer_load_dword v28, off, s[36:39], 0 offset:268
	s_waitcnt vmcnt(3)
	v_fmac_f32_e32 v13, v25, v17
	s_waitcnt vmcnt(2)
	v_fmac_f32_e32 v14, v26, v18
	;; [unrolled: 14-line block ×3, first 2 shown]
	s_waitcnt vmcnt(1)
	v_fmac_f32_e32 v15, v25, v19
	s_waitcnt vmcnt(0)
	v_fmac_f32_e32 v16, v26, v20
	global_load_dwordx4 v[17:20], v[21:22], off
	s_clause 0x3
	buffer_load_dword v21, off, s[36:39], 0 offset:288
	buffer_load_dword v22, off, s[36:39], 0 offset:292
	;; [unrolled: 1-line block ×4, first 2 shown]
	s_waitcnt vmcnt(3)
	v_fmac_f32_e32 v13, v21, v17
	v_add_co_u32 v21, s2, 0x2000, v9
	s_waitcnt vmcnt(2)
	v_fmac_f32_e32 v14, v22, v18
	v_add_co_ci_u32_e64 v22, null, 0, v10, s2
	s_waitcnt vmcnt(1)
	v_fmac_f32_e32 v15, v23, v19
	s_waitcnt vmcnt(0)
	v_fmac_f32_e32 v16, v24, v20
	global_load_dwordx4 v[17:20], v[21:22], off offset:512
	s_clause 0x3
	buffer_load_dword v23, off, s[36:39], 0 offset:304
	buffer_load_dword v24, off, s[36:39], 0 offset:308
	;; [unrolled: 1-line block ×4, first 2 shown]
	s_waitcnt vmcnt(3)
	v_fmac_f32_e32 v13, v23, v17
	s_waitcnt vmcnt(2)
	v_fmac_f32_e32 v14, v24, v18
	;; [unrolled: 2-line block ×4, first 2 shown]
	global_load_dwordx4 v[17:20], v[21:22], off offset:1024
	s_clause 0x3
	buffer_load_dword v23, off, s[36:39], 0 offset:320
	buffer_load_dword v24, off, s[36:39], 0 offset:324
	;; [unrolled: 1-line block ×4, first 2 shown]
	s_waitcnt vmcnt(3)
	v_fmac_f32_e32 v13, v23, v17
	s_waitcnt vmcnt(2)
	v_fmac_f32_e32 v14, v24, v18
	;; [unrolled: 2-line block ×4, first 2 shown]
	global_load_dwordx4 v[17:20], v[21:22], off offset:1536
	s_clause 0x3
	buffer_load_dword v21, off, s[36:39], 0 offset:336
	buffer_load_dword v22, off, s[36:39], 0 offset:340
	;; [unrolled: 1-line block ×4, first 2 shown]
	s_waitcnt vmcnt(3)
	v_fmac_f32_e32 v13, v21, v17
	v_add_co_u32 v21, s2, v9, 0x3000
	s_waitcnt vmcnt(2)
	v_fmac_f32_e32 v14, v22, v18
	v_add_co_ci_u32_e64 v22, null, 0, v10, s2
	s_waitcnt vmcnt(1)
	v_fmac_f32_e32 v15, v23, v19
	s_waitcnt vmcnt(0)
	v_fmac_f32_e32 v16, v24, v20
	global_load_dwordx4 v[17:20], v[21:22], off offset:-2048
	s_clause 0x3
	buffer_load_dword v23, off, s[36:39], 0 offset:352
	buffer_load_dword v24, off, s[36:39], 0 offset:356
	;; [unrolled: 1-line block ×4, first 2 shown]
	s_waitcnt vmcnt(3)
	v_fmac_f32_e32 v13, v23, v17
	v_add_co_u32 v23, s2, 0x2800, v9
	s_waitcnt vmcnt(2)
	v_fmac_f32_e32 v14, v24, v18
	v_add_co_ci_u32_e64 v24, null, 0, v10, s2
	s_waitcnt vmcnt(1)
	v_fmac_f32_e32 v15, v25, v19
	s_waitcnt vmcnt(0)
	v_fmac_f32_e32 v16, v26, v20
	global_load_dwordx4 v[17:20], v[23:24], off offset:512
	s_clause 0x3
	buffer_load_dword v25, off, s[36:39], 0 offset:368
	buffer_load_dword v26, off, s[36:39], 0 offset:372
	buffer_load_dword v27, off, s[36:39], 0 offset:376
	buffer_load_dword v28, off, s[36:39], 0 offset:380
	s_waitcnt vmcnt(3)
	v_fmac_f32_e32 v13, v25, v17
	s_waitcnt vmcnt(2)
	v_fmac_f32_e32 v14, v26, v18
	s_waitcnt vmcnt(1)
	v_fmac_f32_e32 v15, v27, v19
	s_waitcnt vmcnt(0)
	v_fmac_f32_e32 v16, v28, v20
	global_load_dwordx4 v[17:20], v[23:24], off offset:1024
	s_clause 0x3
	buffer_load_dword v25, off, s[36:39], 0 offset:384
	buffer_load_dword v26, off, s[36:39], 0 offset:388
	buffer_load_dword v27, off, s[36:39], 0 offset:392
	buffer_load_dword v28, off, s[36:39], 0 offset:396
	s_waitcnt vmcnt(3)
	v_fmac_f32_e32 v13, v25, v17
	s_waitcnt vmcnt(2)
	v_fmac_f32_e32 v14, v26, v18
	;; [unrolled: 14-line block ×3, first 2 shown]
	s_waitcnt vmcnt(1)
	v_fmac_f32_e32 v15, v25, v19
	s_waitcnt vmcnt(0)
	v_fmac_f32_e32 v16, v26, v20
	global_load_dwordx4 v[17:20], v[21:22], off
	s_clause 0x3
	buffer_load_dword v21, off, s[36:39], 0 offset:416
	buffer_load_dword v22, off, s[36:39], 0 offset:420
	;; [unrolled: 1-line block ×4, first 2 shown]
	s_waitcnt vmcnt(3)
	v_fmac_f32_e32 v13, v21, v17
	v_add_co_u32 v21, s2, 0x3000, v9
	s_waitcnt vmcnt(2)
	v_fmac_f32_e32 v14, v22, v18
	v_add_co_ci_u32_e64 v22, null, 0, v10, s2
	s_waitcnt vmcnt(1)
	v_fmac_f32_e32 v15, v23, v19
	s_waitcnt vmcnt(0)
	v_fmac_f32_e32 v16, v24, v20
	global_load_dwordx4 v[17:20], v[21:22], off offset:512
	s_clause 0x3
	buffer_load_dword v23, off, s[36:39], 0 offset:432
	buffer_load_dword v24, off, s[36:39], 0 offset:436
	buffer_load_dword v25, off, s[36:39], 0 offset:440
	buffer_load_dword v26, off, s[36:39], 0 offset:444
	s_waitcnt vmcnt(3)
	v_fmac_f32_e32 v13, v23, v17
	s_waitcnt vmcnt(2)
	v_fmac_f32_e32 v14, v24, v18
	;; [unrolled: 2-line block ×4, first 2 shown]
	global_load_dwordx4 v[17:20], v[21:22], off offset:1024
	s_clause 0x3
	buffer_load_dword v23, off, s[36:39], 0 offset:448
	buffer_load_dword v24, off, s[36:39], 0 offset:452
	;; [unrolled: 1-line block ×4, first 2 shown]
	s_waitcnt vmcnt(3)
	v_fmac_f32_e32 v13, v23, v17
	s_waitcnt vmcnt(2)
	v_fmac_f32_e32 v14, v24, v18
	;; [unrolled: 2-line block ×4, first 2 shown]
	global_load_dwordx4 v[17:20], v[21:22], off offset:1536
	s_clause 0x3
	buffer_load_dword v21, off, s[36:39], 0 offset:464
	buffer_load_dword v22, off, s[36:39], 0 offset:468
	;; [unrolled: 1-line block ×4, first 2 shown]
	s_waitcnt vmcnt(3)
	v_fmac_f32_e32 v13, v21, v17
	v_add_co_u32 v21, s2, v9, 0x4000
	s_waitcnt vmcnt(2)
	v_fmac_f32_e32 v14, v22, v18
	v_add_co_ci_u32_e64 v22, null, 0, v10, s2
	s_waitcnt vmcnt(1)
	v_fmac_f32_e32 v15, v23, v19
	s_waitcnt vmcnt(0)
	v_fmac_f32_e32 v16, v24, v20
	global_load_dwordx4 v[17:20], v[21:22], off offset:-2048
	s_clause 0x3
	buffer_load_dword v23, off, s[36:39], 0 offset:480
	buffer_load_dword v24, off, s[36:39], 0 offset:484
	;; [unrolled: 1-line block ×4, first 2 shown]
	s_waitcnt vmcnt(3)
	v_fmac_f32_e32 v13, v23, v17
	v_add_co_u32 v23, s2, 0x3800, v9
	s_waitcnt vmcnt(2)
	v_fmac_f32_e32 v14, v24, v18
	v_add_co_ci_u32_e64 v24, null, 0, v10, s2
	s_waitcnt vmcnt(1)
	v_fmac_f32_e32 v15, v25, v19
	s_waitcnt vmcnt(0)
	v_fmac_f32_e32 v16, v26, v20
	global_load_dwordx4 v[17:20], v[23:24], off offset:512
	s_clause 0x3
	buffer_load_dword v25, off, s[36:39], 0 offset:496
	buffer_load_dword v26, off, s[36:39], 0 offset:500
	buffer_load_dword v27, off, s[36:39], 0 offset:504
	buffer_load_dword v28, off, s[36:39], 0 offset:508
	s_waitcnt vmcnt(3)
	v_fmac_f32_e32 v13, v25, v17
	s_waitcnt vmcnt(2)
	v_fmac_f32_e32 v14, v26, v18
	s_waitcnt vmcnt(1)
	v_fmac_f32_e32 v15, v27, v19
	s_waitcnt vmcnt(0)
	v_fmac_f32_e32 v16, v28, v20
	global_load_dwordx4 v[17:20], v[23:24], off offset:1024
	s_clause 0x3
	buffer_load_dword v25, off, s[36:39], 0 offset:512
	buffer_load_dword v26, off, s[36:39], 0 offset:516
	buffer_load_dword v27, off, s[36:39], 0 offset:520
	buffer_load_dword v28, off, s[36:39], 0 offset:524
	s_waitcnt vmcnt(3)
	v_fmac_f32_e32 v13, v25, v17
	s_waitcnt vmcnt(2)
	v_fmac_f32_e32 v14, v26, v18
	;; [unrolled: 14-line block ×3, first 2 shown]
	s_waitcnt vmcnt(1)
	v_fmac_f32_e32 v15, v25, v19
	s_waitcnt vmcnt(0)
	v_fmac_f32_e32 v16, v26, v20
	global_load_dwordx4 v[17:20], v[21:22], off
	s_clause 0x3
	buffer_load_dword v21, off, s[36:39], 0 offset:544
	buffer_load_dword v22, off, s[36:39], 0 offset:548
	;; [unrolled: 1-line block ×4, first 2 shown]
	s_waitcnt vmcnt(3)
	v_fmac_f32_e32 v13, v21, v17
	v_add_co_u32 v21, s2, 0x4000, v9
	s_waitcnt vmcnt(2)
	v_fmac_f32_e32 v14, v22, v18
	v_add_co_ci_u32_e64 v22, null, 0, v10, s2
	s_waitcnt vmcnt(1)
	v_fmac_f32_e32 v15, v23, v19
	s_waitcnt vmcnt(0)
	v_fmac_f32_e32 v16, v24, v20
	global_load_dwordx4 v[17:20], v[21:22], off offset:512
	s_clause 0x3
	buffer_load_dword v23, off, s[36:39], 0 offset:560
	buffer_load_dword v24, off, s[36:39], 0 offset:564
	;; [unrolled: 1-line block ×4, first 2 shown]
	s_waitcnt vmcnt(3)
	v_fmac_f32_e32 v13, v23, v17
	s_waitcnt vmcnt(2)
	v_fmac_f32_e32 v14, v24, v18
	;; [unrolled: 2-line block ×4, first 2 shown]
	global_load_dwordx4 v[17:20], v[21:22], off offset:1024
	s_clause 0x3
	buffer_load_dword v23, off, s[36:39], 0 offset:576
	buffer_load_dword v24, off, s[36:39], 0 offset:580
	;; [unrolled: 1-line block ×4, first 2 shown]
	s_waitcnt vmcnt(3)
	v_fmac_f32_e32 v13, v23, v17
	s_waitcnt vmcnt(2)
	v_fmac_f32_e32 v14, v24, v18
	;; [unrolled: 2-line block ×4, first 2 shown]
	global_load_dwordx4 v[17:20], v[21:22], off offset:1536
	s_clause 0x3
	buffer_load_dword v21, off, s[36:39], 0 offset:592
	buffer_load_dword v22, off, s[36:39], 0 offset:596
	;; [unrolled: 1-line block ×4, first 2 shown]
	s_waitcnt vmcnt(3)
	v_fmac_f32_e32 v13, v21, v17
	v_add_co_u32 v21, s2, v9, 0x5000
	s_waitcnt vmcnt(2)
	v_fmac_f32_e32 v14, v22, v18
	v_add_co_ci_u32_e64 v22, null, 0, v10, s2
	s_waitcnt vmcnt(1)
	v_fmac_f32_e32 v15, v23, v19
	s_waitcnt vmcnt(0)
	v_fmac_f32_e32 v16, v24, v20
	global_load_dwordx4 v[17:20], v[21:22], off offset:-2048
	s_clause 0x3
	buffer_load_dword v23, off, s[36:39], 0 offset:608
	buffer_load_dword v24, off, s[36:39], 0 offset:612
	;; [unrolled: 1-line block ×4, first 2 shown]
	s_waitcnt vmcnt(3)
	v_fmac_f32_e32 v13, v23, v17
	v_add_co_u32 v23, s2, 0x4800, v9
	s_waitcnt vmcnt(2)
	v_fmac_f32_e32 v14, v24, v18
	v_add_co_ci_u32_e64 v24, null, 0, v10, s2
	s_waitcnt vmcnt(1)
	v_fmac_f32_e32 v15, v25, v19
	s_waitcnt vmcnt(0)
	v_fmac_f32_e32 v16, v26, v20
	global_load_dwordx4 v[17:20], v[23:24], off offset:512
	s_clause 0x3
	buffer_load_dword v25, off, s[36:39], 0 offset:624
	buffer_load_dword v26, off, s[36:39], 0 offset:628
	;; [unrolled: 1-line block ×4, first 2 shown]
	s_waitcnt vmcnt(3)
	v_fmac_f32_e32 v13, v25, v17
	s_waitcnt vmcnt(2)
	v_fmac_f32_e32 v14, v26, v18
	;; [unrolled: 2-line block ×4, first 2 shown]
	global_load_dwordx4 v[17:20], v[23:24], off offset:1024
	s_waitcnt vmcnt(0) lgkmcnt(25)
	v_fmac_f32_e32 v13, v29, v17
	v_fmac_f32_e32 v14, v30, v18
	;; [unrolled: 1-line block ×4, first 2 shown]
	global_load_dwordx4 v[17:20], v[23:24], off offset:1536
	s_waitcnt vmcnt(0) lgkmcnt(24)
	v_fmac_f32_e32 v13, v33, v17
	v_fmac_f32_e32 v14, v34, v18
	;; [unrolled: 1-line block ×4, first 2 shown]
	global_load_dwordx4 v[17:20], v[21:22], off
	v_add_co_u32 v21, s2, 0x5000, v9
	v_add_co_ci_u32_e64 v22, null, 0, v10, s2
	s_waitcnt vmcnt(0) lgkmcnt(23)
	v_fmac_f32_e32 v13, v37, v17
	v_fmac_f32_e32 v14, v38, v18
	v_fmac_f32_e32 v15, v39, v19
	v_fmac_f32_e32 v16, v40, v20
	global_load_dwordx4 v[17:20], v[21:22], off offset:512
	s_waitcnt vmcnt(0) lgkmcnt(22)
	v_fmac_f32_e32 v13, v41, v17
	v_fmac_f32_e32 v14, v42, v18
	v_fmac_f32_e32 v15, v43, v19
	v_fmac_f32_e32 v16, v44, v20
	global_load_dwordx4 v[17:20], v[21:22], off offset:1024
	;; [unrolled: 6-line block ×3, first 2 shown]
	v_add_co_u32 v21, s2, v9, 0x6000
	v_add_co_ci_u32_e64 v22, null, 0, v10, s2
	v_add_co_u32 v23, s2, 0x5800, v9
	v_add_co_ci_u32_e64 v24, null, 0, v10, s2
	s_waitcnt vmcnt(0) lgkmcnt(20)
	v_fmac_f32_e32 v13, v49, v17
	v_fmac_f32_e32 v14, v50, v18
	v_fmac_f32_e32 v15, v51, v19
	v_fmac_f32_e32 v16, v52, v20
	global_load_dwordx4 v[17:20], v[21:22], off offset:-2048
	s_waitcnt vmcnt(0) lgkmcnt(19)
	v_fmac_f32_e32 v13, v53, v17
	v_fmac_f32_e32 v14, v54, v18
	v_fmac_f32_e32 v15, v55, v19
	v_fmac_f32_e32 v16, v56, v20
	global_load_dwordx4 v[17:20], v[23:24], off offset:512
	s_waitcnt vmcnt(0) lgkmcnt(18)
	v_fmac_f32_e32 v13, v57, v17
	v_fmac_f32_e32 v14, v58, v18
	v_fmac_f32_e32 v15, v59, v19
	v_fmac_f32_e32 v16, v60, v20
	global_load_dwordx4 v[17:20], v[23:24], off offset:1024
	;; [unrolled: 6-line block ×3, first 2 shown]
	s_waitcnt vmcnt(0) lgkmcnt(16)
	v_fmac_f32_e32 v13, v65, v17
	v_fmac_f32_e32 v14, v66, v18
	;; [unrolled: 1-line block ×4, first 2 shown]
	global_load_dwordx4 v[17:20], v[21:22], off
	v_add_co_u32 v21, s2, 0x6000, v9
	v_add_co_ci_u32_e64 v22, null, 0, v10, s2
	s_waitcnt vmcnt(0) lgkmcnt(15)
	v_fmac_f32_e32 v13, v69, v17
	v_fmac_f32_e32 v14, v70, v18
	v_fmac_f32_e32 v15, v71, v19
	v_fmac_f32_e32 v16, v72, v20
	global_load_dwordx4 v[17:20], v[21:22], off offset:512
	s_waitcnt vmcnt(0) lgkmcnt(14)
	v_fmac_f32_e32 v13, v73, v17
	v_fmac_f32_e32 v14, v74, v18
	v_fmac_f32_e32 v15, v75, v19
	v_fmac_f32_e32 v16, v20, v76
	global_load_dwordx4 v[17:20], v[21:22], off offset:1024
	;; [unrolled: 6-line block ×3, first 2 shown]
	v_add_co_u32 v21, s2, v9, 0x7000
	v_add_co_ci_u32_e64 v22, null, 0, v10, s2
	v_add_co_u32 v23, s2, 0x6800, v9
	v_add_co_ci_u32_e64 v24, null, 0, v10, s2
	s_waitcnt vmcnt(0) lgkmcnt(12)
	v_fmac_f32_e32 v13, v17, v81
	v_fmac_f32_e32 v14, v18, v82
	;; [unrolled: 1-line block ×4, first 2 shown]
	global_load_dwordx4 v[17:20], v[21:22], off offset:-2048
	s_waitcnt vmcnt(0) lgkmcnt(11)
	v_fmac_f32_e32 v13, v17, v85
	v_fmac_f32_e32 v14, v18, v86
	v_fmac_f32_e32 v15, v19, v87
	v_fmac_f32_e32 v16, v20, v88
	global_load_dwordx4 v[17:20], v[23:24], off offset:512
	s_waitcnt vmcnt(0) lgkmcnt(10)
	v_fmac_f32_e32 v13, v17, v89
	v_fmac_f32_e32 v14, v18, v90
	v_fmac_f32_e32 v15, v19, v91
	v_fmac_f32_e32 v16, v20, v92
	global_load_dwordx4 v[17:20], v[23:24], off offset:1024
	;; [unrolled: 6-line block ×3, first 2 shown]
	s_waitcnt vmcnt(0) lgkmcnt(8)
	v_fmac_f32_e32 v13, v17, v97
	v_fmac_f32_e32 v14, v18, v98
	;; [unrolled: 1-line block ×4, first 2 shown]
	global_load_dwordx4 v[17:20], v[21:22], off
	v_add_co_u32 v21, s2, 0x7000, v9
	v_add_co_ci_u32_e64 v22, null, 0, v10, s2
	v_add_co_u32 v9, s2, 0x7800, v9
	v_add_co_ci_u32_e64 v10, null, 0, v10, s2
	v_cmp_gt_i32_e64 s2, s11, v127
	s_waitcnt vmcnt(0) lgkmcnt(7)
	v_fmac_f32_e32 v13, v17, v101
	v_fmac_f32_e32 v14, v18, v102
	v_fmac_f32_e32 v15, v19, v103
	v_fmac_f32_e32 v16, v20, v104
	global_load_dwordx4 v[17:20], v[21:22], off offset:512
	s_waitcnt vmcnt(0) lgkmcnt(6)
	v_fmac_f32_e32 v13, v17, v105
	v_fmac_f32_e32 v14, v18, v106
	v_fmac_f32_e32 v15, v19, v107
	v_fmac_f32_e32 v16, v20, v108
	global_load_dwordx4 v[17:20], v[21:22], off offset:1024
	s_waitcnt vmcnt(0) lgkmcnt(5)
	v_fmac_f32_e32 v13, v17, v109
	v_fmac_f32_e32 v14, v18, v110
	v_fmac_f32_e32 v15, v19, v111
	v_fmac_f32_e32 v16, v20, v112
	global_load_dwordx4 v[17:20], v[21:22], off offset:1536
	s_waitcnt vmcnt(0) lgkmcnt(4)
	v_fmac_f32_e32 v13, v17, v113
	v_fmac_f32_e32 v14, v18, v114
	;; [unrolled: 1-line block ×4, first 2 shown]
	global_load_dwordx4 v[17:20], v[9:10], off
	s_waitcnt vmcnt(0) lgkmcnt(3)
	v_fmac_f32_e32 v13, v17, v117
	v_fmac_f32_e32 v14, v18, v118
	v_fmac_f32_e32 v15, v19, v119
	v_fmac_f32_e32 v16, v20, v120
	global_load_dwordx4 v[17:20], v[9:10], off offset:512
	s_waitcnt vmcnt(0) lgkmcnt(2)
	v_fmac_f32_e32 v13, v17, v121
	v_fmac_f32_e32 v14, v18, v122
	v_fmac_f32_e32 v15, v19, v123
	v_fmac_f32_e32 v16, v20, v124
	global_load_dwordx4 v[17:20], v[9:10], off offset:1024
	;; [unrolled: 6-line block ×3, first 2 shown]
	v_add_nc_u32_e32 v10, s15, v127
	v_add_nc_u32_e32 v127, 0x80, v127
	v_cvt_f32_i32_e32 v10, v10
	v_mul_f32_e32 v10, s24, v10
	v_cndmask_b32_e32 v10, 0, v10, vcc_lo
	s_waitcnt vmcnt(0) lgkmcnt(0)
	v_fmac_f32_e32 v13, v17, v5
	v_fmac_f32_e32 v14, v18, v6
	;; [unrolled: 1-line block ×4, first 2 shown]
	v_add_f32_e32 v9, v13, v14
	v_add_f32_e32 v9, v15, v9
	;; [unrolled: 1-line block ×3, first 2 shown]
	v_fmac_f32_e32 v10, s25, v9
	v_max_f32_e32 v9, v11, v11
	v_max_f32_e32 v9, v9, v10
	v_cndmask_b32_e64 v10, 0, v10, s2
	v_cndmask_b32_e64 v11, v11, v9, s2
	v_add_co_u32 v125, s2, v125, 16
	ds_write_b32 v0, v10
	v_add_co_ci_u32_e64 v126, null, 0, v126, s2
	v_add_nc_u32_e32 v0, 0x200, v0
	s_andn2_b32 exec_lo, exec_lo, s5
	s_cbranch_execnz .LBB53_6
; %bb.7:
	s_or_b32 exec_lo, exec_lo, s5
	buffer_load_dword v10, off, s[36:39], 0 offset:640 ; 4-byte Folded Reload
.LBB53_8:
	s_or_b32 exec_lo, exec_lo, s26
	v_mbcnt_lo_u32_b32 v1, -1, 0
	v_max_f32_e32 v4, v11, v11
	v_xor_b32_e32 v0, 16, v1
	v_xor_b32_e32 v3, 8, v1
	v_cmp_gt_i32_e32 vcc_lo, 32, v0
	v_cndmask_b32_e32 v0, v1, v0, vcc_lo
	v_cmp_gt_i32_e32 vcc_lo, 32, v3
	v_lshlrev_b32_e32 v0, 2, v0
	v_cndmask_b32_e32 v3, v1, v3, vcc_lo
	ds_bpermute_b32 v2, v0, v11
	s_waitcnt lgkmcnt(0)
	v_max_f32_e32 v5, v2, v2
	v_lshlrev_b32_e32 v2, 2, v3
	v_max_f32_e32 v3, v4, v5
	v_xor_b32_e32 v5, 4, v1
	ds_bpermute_b32 v4, v2, v3
	v_cmp_gt_i32_e32 vcc_lo, 32, v5
	v_cndmask_b32_e32 v5, v1, v5, vcc_lo
	v_lshlrev_b32_e32 v5, 2, v5
	buffer_store_dword v5, off, s[36:39], 0 offset:916 ; 4-byte Folded Spill
	s_waitcnt lgkmcnt(0)
	v_max_f32_e32 v4, v4, v4
	v_max_f32_e32 v3, v3, v4
	ds_bpermute_b32 v4, v5, v3
	v_xor_b32_e32 v5, 2, v1
	v_cmp_gt_i32_e32 vcc_lo, 32, v5
	v_cndmask_b32_e32 v5, v1, v5, vcc_lo
	v_lshlrev_b32_e32 v5, 2, v5
	s_waitcnt lgkmcnt(0)
	v_max_f32_e32 v4, v4, v4
	buffer_store_dword v5, off, s[36:39], 0 offset:904 ; 4-byte Folded Spill
	v_max_f32_e32 v3, v3, v4
	ds_bpermute_b32 v4, v5, v3
	v_xor_b32_e32 v5, 1, v1
	v_cmp_gt_i32_e32 vcc_lo, 32, v5
	v_cndmask_b32_e32 v5, v1, v5, vcc_lo
	s_waitcnt lgkmcnt(0)
	v_max_f32_e32 v4, v4, v4
	v_max_f32_e32 v1, v3, v4
	v_lshlrev_b32_e32 v3, 2, v5
	buffer_store_dword v3, off, s[36:39], 0 offset:900 ; 4-byte Folded Spill
	ds_bpermute_b32 v4, v3, v1
	buffer_load_dword v3, off, s[36:39], 0 offset:908 ; 4-byte Folded Reload
	s_waitcnt vmcnt(0)
	v_cmp_eq_u32_e32 vcc_lo, 0, v3
	buffer_load_dword v3, off, s[36:39], 0 offset:912 ; 4-byte Folded Reload
	s_waitcnt vmcnt(0)
	v_lshlrev_b32_e32 v3, 2, v3
	s_and_saveexec_b32 s2, vcc_lo
	s_cbranch_execz .LBB53_10
; %bb.9:
	s_waitcnt lgkmcnt(0)
	v_max_f32_e32 v4, v4, v4
	v_max_f32_e32 v1, v1, v1
	;; [unrolled: 1-line block ×3, first 2 shown]
	ds_write_b32 v3, v1 offset:1024
.LBB53_10:
	s_or_b32 exec_lo, exec_lo, s2
	buffer_load_dword v1, off, s[36:39], 0 offset:908 ; 4-byte Folded Reload
	s_waitcnt vmcnt(0) lgkmcnt(0)
	s_waitcnt_vscnt null, 0x0
	s_barrier
	buffer_gl0_inv
	v_cmp_gt_u32_e64 s2, 4, v1
	v_mov_b32_e32 v1, 0xff7fffff
	s_and_saveexec_b32 s3, s2
; %bb.11:
	ds_read_b32 v1, v10 offset:1024
; %bb.12:
	s_or_b32 exec_lo, exec_lo, s3
	buffer_load_dword v4, off, s[36:39], 0 offset:904 ; 4-byte Folded Reload
	s_lshl_b32 s3, s12, 5
	s_min_i32 s5, s3, s11
	s_waitcnt vmcnt(0) lgkmcnt(0)
	ds_bpermute_b32 v4, v4, v1
	v_max_f32_e32 v1, v1, v1
	s_waitcnt lgkmcnt(0)
	v_max_f32_e32 v4, v4, v4
	v_max_f32_e32 v1, v1, v4
	buffer_load_dword v4, off, s[36:39], 0 offset:900 ; 4-byte Folded Reload
	s_waitcnt vmcnt(0)
	ds_bpermute_b32 v4, v4, v1
	s_waitcnt lgkmcnt(0)
	v_max_f32_e32 v4, v4, v4
	v_max_f32_e32 v1, v1, v4
	v_mov_b32_e32 v4, 0
	ds_bpermute_b32 v5, v4, v1
	buffer_load_dword v1, off, s[36:39], 0 offset:896 ; 4-byte Folded Reload
	s_waitcnt vmcnt(0)
	v_cmp_gt_i32_e64 s3, s5, v1
	v_lshl_add_u32 v1, v1, 2, 0x420
	s_and_saveexec_b32 s15, s3
	s_cbranch_execz .LBB53_16
; %bb.13:
	buffer_load_dword v7, off, s[36:39], 0 offset:896 ; 4-byte Folded Reload
	v_mov_b32_e32 v4, 0
	s_mov_b32 s24, 0
	s_waitcnt vmcnt(0)
	v_lshl_add_u32 v6, v7, 2, 0x420
	.p2align	6
.LBB53_14:                              ; =>This Inner Loop Header: Depth=1
	ds_read_b32 v8, v6
	v_add_nc_u32_e32 v7, 0x80, v7
	v_cmp_le_i32_e64 s4, s5, v7
	s_or_b32 s24, s4, s24
	s_waitcnt lgkmcnt(0)
	v_sub_f32_e32 v8, v8, v5
	v_mul_f32_e32 v8, 0x3fb8aa3b, v8
	v_exp_f32_e32 v8, v8
	ds_write_b32 v6, v8
	v_add_f32_e32 v4, v4, v8
	v_add_nc_u32_e32 v6, 0x200, v6
	s_andn2_b32 exec_lo, exec_lo, s24
	s_cbranch_execnz .LBB53_14
; %bb.15:
	s_or_b32 exec_lo, exec_lo, s24
.LBB53_16:
	s_or_b32 exec_lo, exec_lo, s15
	ds_bpermute_b32 v0, v0, v4
	s_waitcnt lgkmcnt(0)
	v_add_f32_e32 v0, v4, v0
	ds_bpermute_b32 v2, v2, v0
	s_waitcnt lgkmcnt(0)
	v_add_f32_e32 v0, v0, v2
	buffer_load_dword v2, off, s[36:39], 0 offset:916 ; 4-byte Folded Reload
	s_waitcnt vmcnt(0)
	ds_bpermute_b32 v2, v2, v0
	s_waitcnt lgkmcnt(0)
	v_add_f32_e32 v0, v0, v2
	buffer_load_dword v2, off, s[36:39], 0 offset:904 ; 4-byte Folded Reload
	s_waitcnt vmcnt(0)
	;; [unrolled: 5-line block ×3, first 2 shown]
	ds_bpermute_b32 v2, v2, v0
	s_waitcnt lgkmcnt(0)
	v_add_f32_e32 v0, v0, v2
	s_and_saveexec_b32 s4, vcc_lo
; %bb.17:
	ds_write_b32 v3, v0 offset:1040
; %bb.18:
	s_or_b32 exec_lo, exec_lo, s4
	s_waitcnt lgkmcnt(0)
	s_barrier
	buffer_gl0_inv
	s_and_saveexec_b32 s4, s2
; %bb.19:
	ds_read_b32 v0, v10 offset:1040
; %bb.20:
	s_or_b32 exec_lo, exec_lo, s4
	buffer_load_dword v2, off, s[36:39], 0 offset:904 ; 4-byte Folded Reload
	s_waitcnt vmcnt(0) lgkmcnt(0)
	ds_bpermute_b32 v2, v2, v0
	s_waitcnt lgkmcnt(0)
	v_add_f32_e32 v0, v0, v2
	buffer_load_dword v2, off, s[36:39], 0 offset:900 ; 4-byte Folded Reload
	s_waitcnt vmcnt(0)
	ds_bpermute_b32 v2, v2, v0
	s_waitcnt lgkmcnt(0)
	v_add_f32_e32 v0, v0, v2
	v_mov_b32_e32 v2, 0
	ds_bpermute_b32 v0, v2, v0
	s_and_saveexec_b32 s2, s3
	s_cbranch_execz .LBB53_23
; %bb.21:
	s_waitcnt lgkmcnt(0)
	v_add_f32_e32 v0, 0x358637bd, v0
	s_mov_b32 s3, 0
	v_div_scale_f32 v2, null, v0, v0, 1.0
	v_div_scale_f32 v5, vcc_lo, 1.0, v0, 1.0
	v_rcp_f32_e32 v3, v2
	v_fma_f32 v4, -v2, v3, 1.0
	v_fmac_f32_e32 v3, v4, v3
	v_mul_f32_e32 v4, v5, v3
	v_fma_f32 v6, -v2, v4, v5
	v_fmac_f32_e32 v4, v6, v3
	v_fma_f32 v2, -v2, v4, v5
	v_div_fmas_f32 v2, v2, v3, v4
	v_div_fixup_f32 v0, v2, v0, 1.0
	buffer_load_dword v2, off, s[36:39], 0 offset:896 ; 4-byte Folded Reload
.LBB53_22:                              ; =>This Inner Loop Header: Depth=1
	ds_read_b32 v3, v1
	s_waitcnt vmcnt(0)
	v_add_nc_u32_e32 v2, 0x80, v2
	v_cmp_le_i32_e32 vcc_lo, s5, v2
	s_or_b32 s3, vcc_lo, s3
	s_waitcnt lgkmcnt(0)
	v_mul_f32_e32 v3, v0, v3
	ds_write_b32 v1, v3
	v_add_nc_u32_e32 v1, 0x200, v1
	s_andn2_b32 exec_lo, exec_lo, s3
	s_cbranch_execnz .LBB53_22
.LBB53_23:
	s_or_b32 exec_lo, exec_lo, s2
	v_mov_b32_e32 v24, 0
	v_mov_b32_e32 v25, 0
	;; [unrolled: 1-line block ×64, first 2 shown]
	s_waitcnt lgkmcnt(0)
	s_barrier
	buffer_gl0_inv
	s_mov_b32 s2, exec_lo
	buffer_load_dword v0, off, s[36:39], 0 offset:896 ; 4-byte Folded Reload
	s_and_b32 s1, s2, s1
	s_mov_b32 exec_lo, s1
	s_cbranch_execz .LBB53_155
; %bb.24:
	buffer_load_dword v11, off, s[36:39], 0 offset:912 ; 4-byte Folded Reload
	s_waitcnt vmcnt(1)
	v_lshlrev_b32_e32 v0, 2, v0
	s_lshl_b64 s[4:5], s[22:23], 2
	v_mov_b32_e32 v12, 0
	s_add_u32 s3, s20, s4
	s_addc_u32 s4, s21, s5
	v_and_b32_e32 v1, 28, v0
	v_or_b32_e32 v2, 0xf80, v0
	s_ashr_i32 s15, s14, 31
	v_mov_b32_e32 v81, 0
	s_lshl_b64 s[14:15], s[14:15], 2
	buffer_store_dword v1, off, s[36:39], 0 offset:880 ; 4-byte Folded Spill
	v_and_b32_e32 v1, 0x7c, v0
	v_or_b32_e32 v0, 0x1f80, v0
	v_mov_b32_e32 v9, 0
	v_mov_b32_e32 v10, 0
	;; [unrolled: 1-line block ×3, first 2 shown]
	v_lshlrev_b32_e32 v1, 2, v1
	v_lshlrev_b32_e32 v0, 2, v0
	v_mov_b32_e32 v23, 0
	v_mov_b32_e32 v25, 0
	;; [unrolled: 1-line block ×3, first 2 shown]
	buffer_store_dword v1, off, s[36:39], 0 offset:884 ; 4-byte Folded Spill
	buffer_store_dword v0, off, s[36:39], 0 offset:892 ; 4-byte Folded Spill
	v_mov_b32_e32 v0, 0
	v_lshlrev_b32_e32 v1, 2, v2
	s_mov_b32 s5, s13
	s_add_u32 s13, s18, s14
	s_addc_u32 s14, s19, s15
	buffer_store_dword v0, off, s[36:39], 0 offset:544 ; 4-byte Folded Spill
	v_mov_b32_e32 v0, 0
	s_add_i32 s18, s12, -1
	s_mov_b32 s15, 0
	buffer_store_dword v1, off, s[36:39], 0 offset:888 ; 4-byte Folded Spill
	buffer_store_dword v0, off, s[36:39], 0 offset:560 ; 4-byte Folded Spill
	v_mov_b32_e32 v0, 0
	buffer_store_dword v0, off, s[36:39], 0 offset:576 ; 4-byte Folded Spill
	v_mov_b32_e32 v0, 0
	;; [unrolled: 2-line block ×55, first 2 shown]
	buffer_store_dword v0, off, s[36:39], 0 offset:840 ; 4-byte Folded Spill
	s_branch .LBB53_26
.LBB53_25:                              ;   in Loop: Header=BB53_26 Depth=1
	s_or_b32 exec_lo, exec_lo, s1
	s_waitcnt lgkmcnt(0)
	v_mul_f32_e32 v0, v5, v17
	v_mul_f32_e32 v65, v5, v65
	v_mul_f32_e32 v21, v5, v21
	v_mul_f32_e32 v25, v5, v25
	v_mul_f32_e32 v29, v5, v29
	v_fmac_f32_e32 v0, v6, v18
	v_fmac_f32_e32 v65, v6, v66
	;; [unrolled: 1-line block ×11, first 2 shown]
	v_mul_f32_e32 v20, v5, v69
	v_fmac_f32_e32 v65, v8, v68
	s_clause 0x3
	buffer_load_dword v66, off, s[36:39], 0 offset:528
	buffer_load_dword v67, off, s[36:39], 0 offset:532
	;; [unrolled: 1-line block ×4, first 2 shown]
	v_fmac_f32_e32 v21, v8, v24
	v_fmac_f32_e32 v25, v8, v28
	;; [unrolled: 1-line block ×3, first 2 shown]
	v_mul_f32_e32 v33, v5, v33
	v_mul_f32_e32 v37, v5, v37
	;; [unrolled: 1-line block ×5, first 2 shown]
	v_fmac_f32_e32 v33, v6, v34
	v_fmac_f32_e32 v37, v6, v38
	;; [unrolled: 1-line block ×15, first 2 shown]
	v_mul_f32_e32 v13, v5, v13
	v_mul_f32_e32 v9, v5, v9
	;; [unrolled: 1-line block ×5, first 2 shown]
	v_fmac_f32_e32 v13, v6, v14
	v_fmac_f32_e32 v9, v6, v10
	;; [unrolled: 1-line block ×3, first 2 shown]
	v_mul_f32_e32 v2, v5, v121
	v_mul_f32_e32 v10, v5, v109
	v_fmac_f32_e32 v13, v7, v15
	v_fmac_f32_e32 v9, v7, v11
	;; [unrolled: 1-line block ×4, first 2 shown]
	v_mul_f32_e32 v3, v5, v117
	v_fmac_f32_e32 v13, v8, v16
	v_fmac_f32_e32 v9, v8, v12
	;; [unrolled: 1-line block ×5, first 2 shown]
	v_mul_f32_e32 v4, v5, v113
	v_fmac_f32_e32 v10, v6, v110
	v_mul_f32_e32 v11, v5, v105
	v_fmac_f32_e32 v2, v8, v124
	v_fmac_f32_e32 v3, v7, v119
	;; [unrolled: 1-line block ×5, first 2 shown]
	v_mul_f32_e32 v12, v5, v101
	v_fmac_f32_e32 v3, v8, v120
	v_fmac_f32_e32 v4, v7, v115
	;; [unrolled: 1-line block ×5, first 2 shown]
	v_mul_f32_e32 v14, v5, v97
	v_fmac_f32_e32 v4, v8, v116
	v_mul_f32_e32 v15, v5, v93
	v_fmac_f32_e32 v11, v8, v108
	v_fmac_f32_e32 v12, v7, v103
	;; [unrolled: 1-line block ×3, first 2 shown]
	v_mul_f32_e32 v16, v5, v89
	v_fmac_f32_e32 v15, v6, v94
	v_fmac_f32_e32 v17, v6, v86
	;; [unrolled: 1-line block ×13, first 2 shown]
	v_mul_f32_e32 v19, v5, v73
	v_fmac_f32_e32 v16, v8, v92
	v_fmac_f32_e32 v20, v6, v70
	v_mul_f32_e32 v61, v5, v61
	v_fmac_f32_e32 v18, v8, v80
	v_fmac_f32_e32 v19, v6, v74
	;; [unrolled: 3-line block ×4, first 2 shown]
	v_fmac_f32_e32 v20, v8, v72
	v_fmac_f32_e32 v61, v7, v63
	;; [unrolled: 1-line block ×9, first 2 shown]
	s_waitcnt vmcnt(3)
	v_mul_f32_e32 v22, v5, v66
	s_waitcnt vmcnt(2)
	v_fmac_f32_e32 v22, v6, v67
	s_waitcnt vmcnt(1)
	v_fmac_f32_e32 v22, v7, v68
	s_waitcnt vmcnt(0)
	v_fmac_f32_e32 v22, v8, v69
	s_clause 0x3
	buffer_load_dword v66, off, s[36:39], 0 offset:512
	buffer_load_dword v67, off, s[36:39], 0 offset:516
	buffer_load_dword v68, off, s[36:39], 0 offset:520
	buffer_load_dword v69, off, s[36:39], 0 offset:524
	s_waitcnt vmcnt(3)
	v_mul_f32_e32 v23, v5, v66
	s_waitcnt vmcnt(2)
	v_fmac_f32_e32 v23, v6, v67
	s_waitcnt vmcnt(1)
	v_fmac_f32_e32 v23, v7, v68
	s_waitcnt vmcnt(0)
	v_fmac_f32_e32 v23, v8, v69
	s_clause 0x3
	buffer_load_dword v66, off, s[36:39], 0 offset:496
	buffer_load_dword v67, off, s[36:39], 0 offset:500
	buffer_load_dword v68, off, s[36:39], 0 offset:504
	buffer_load_dword v69, off, s[36:39], 0 offset:508
	s_waitcnt vmcnt(3)
	v_mul_f32_e32 v24, v5, v66
	s_waitcnt vmcnt(2)
	v_fmac_f32_e32 v24, v6, v67
	s_waitcnt vmcnt(1)
	v_fmac_f32_e32 v24, v7, v68
	s_waitcnt vmcnt(0)
	v_fmac_f32_e32 v24, v8, v69
	s_clause 0x3
	buffer_load_dword v66, off, s[36:39], 0 offset:480
	buffer_load_dword v67, off, s[36:39], 0 offset:484
	buffer_load_dword v68, off, s[36:39], 0 offset:488
	buffer_load_dword v69, off, s[36:39], 0 offset:492
	s_waitcnt vmcnt(3)
	v_mul_f32_e32 v26, v5, v66
	s_waitcnt vmcnt(2)
	v_fmac_f32_e32 v26, v6, v67
	s_waitcnt vmcnt(1)
	v_fmac_f32_e32 v26, v7, v68
	s_waitcnt vmcnt(0)
	v_fmac_f32_e32 v26, v8, v69
	s_clause 0x3
	buffer_load_dword v66, off, s[36:39], 0 offset:464
	buffer_load_dword v67, off, s[36:39], 0 offset:468
	buffer_load_dword v68, off, s[36:39], 0 offset:472
	buffer_load_dword v69, off, s[36:39], 0 offset:476
	s_waitcnt vmcnt(3)
	v_mul_f32_e32 v27, v5, v66
	s_waitcnt vmcnt(2)
	v_fmac_f32_e32 v27, v6, v67
	s_waitcnt vmcnt(1)
	v_fmac_f32_e32 v27, v7, v68
	s_waitcnt vmcnt(0)
	v_fmac_f32_e32 v27, v8, v69
	s_clause 0x3
	buffer_load_dword v66, off, s[36:39], 0 offset:448
	buffer_load_dword v67, off, s[36:39], 0 offset:452
	buffer_load_dword v68, off, s[36:39], 0 offset:456
	buffer_load_dword v69, off, s[36:39], 0 offset:460
	s_waitcnt vmcnt(3)
	v_mul_f32_e32 v28, v5, v66
	s_waitcnt vmcnt(2)
	v_fmac_f32_e32 v28, v6, v67
	s_waitcnt vmcnt(1)
	v_fmac_f32_e32 v28, v7, v68
	s_waitcnt vmcnt(0)
	v_fmac_f32_e32 v28, v8, v69
	s_clause 0x3
	buffer_load_dword v66, off, s[36:39], 0 offset:432
	buffer_load_dword v67, off, s[36:39], 0 offset:436
	buffer_load_dword v68, off, s[36:39], 0 offset:440
	buffer_load_dword v69, off, s[36:39], 0 offset:444
	s_waitcnt vmcnt(3)
	v_mul_f32_e32 v30, v5, v66
	s_waitcnt vmcnt(2)
	v_fmac_f32_e32 v30, v6, v67
	s_waitcnt vmcnt(1)
	v_fmac_f32_e32 v30, v7, v68
	s_waitcnt vmcnt(0)
	v_fmac_f32_e32 v30, v8, v69
	s_clause 0x3
	buffer_load_dword v66, off, s[36:39], 0 offset:416
	buffer_load_dword v67, off, s[36:39], 0 offset:420
	buffer_load_dword v68, off, s[36:39], 0 offset:424
	buffer_load_dword v69, off, s[36:39], 0 offset:428
	s_waitcnt vmcnt(3)
	v_mul_f32_e32 v31, v5, v66
	s_waitcnt vmcnt(2)
	v_fmac_f32_e32 v31, v6, v67
	s_waitcnt vmcnt(1)
	v_fmac_f32_e32 v31, v7, v68
	s_waitcnt vmcnt(0)
	v_fmac_f32_e32 v31, v8, v69
	s_clause 0x3
	buffer_load_dword v66, off, s[36:39], 0 offset:400
	buffer_load_dword v67, off, s[36:39], 0 offset:404
	buffer_load_dword v68, off, s[36:39], 0 offset:408
	buffer_load_dword v69, off, s[36:39], 0 offset:412
	s_waitcnt vmcnt(3)
	v_mul_f32_e32 v32, v5, v66
	s_waitcnt vmcnt(2)
	v_fmac_f32_e32 v32, v6, v67
	s_waitcnt vmcnt(1)
	v_fmac_f32_e32 v32, v7, v68
	s_waitcnt vmcnt(0)
	v_fmac_f32_e32 v32, v8, v69
	s_clause 0x3
	buffer_load_dword v66, off, s[36:39], 0 offset:384
	buffer_load_dword v67, off, s[36:39], 0 offset:388
	buffer_load_dword v68, off, s[36:39], 0 offset:392
	buffer_load_dword v69, off, s[36:39], 0 offset:396
	s_waitcnt vmcnt(3)
	v_mul_f32_e32 v34, v5, v66
	s_waitcnt vmcnt(2)
	v_fmac_f32_e32 v34, v6, v67
	s_waitcnt vmcnt(1)
	v_fmac_f32_e32 v34, v7, v68
	s_waitcnt vmcnt(0)
	v_fmac_f32_e32 v34, v8, v69
	s_clause 0x3
	buffer_load_dword v66, off, s[36:39], 0 offset:368
	buffer_load_dword v67, off, s[36:39], 0 offset:372
	buffer_load_dword v68, off, s[36:39], 0 offset:376
	buffer_load_dword v69, off, s[36:39], 0 offset:380
	s_waitcnt vmcnt(3)
	v_mul_f32_e32 v35, v5, v66
	s_waitcnt vmcnt(2)
	v_fmac_f32_e32 v35, v6, v67
	s_waitcnt vmcnt(1)
	v_fmac_f32_e32 v35, v7, v68
	s_waitcnt vmcnt(0)
	v_fmac_f32_e32 v35, v8, v69
	s_clause 0x3
	buffer_load_dword v66, off, s[36:39], 0 offset:352
	buffer_load_dword v67, off, s[36:39], 0 offset:356
	buffer_load_dword v68, off, s[36:39], 0 offset:360
	buffer_load_dword v69, off, s[36:39], 0 offset:364
	s_waitcnt vmcnt(3)
	v_mul_f32_e32 v36, v5, v66
	s_waitcnt vmcnt(2)
	v_fmac_f32_e32 v36, v6, v67
	s_waitcnt vmcnt(1)
	v_fmac_f32_e32 v36, v7, v68
	s_waitcnt vmcnt(0)
	v_fmac_f32_e32 v36, v8, v69
	s_clause 0x3
	buffer_load_dword v66, off, s[36:39], 0 offset:336
	buffer_load_dword v67, off, s[36:39], 0 offset:340
	buffer_load_dword v68, off, s[36:39], 0 offset:344
	buffer_load_dword v69, off, s[36:39], 0 offset:348
	s_waitcnt vmcnt(3)
	v_mul_f32_e32 v38, v5, v66
	s_waitcnt vmcnt(2)
	v_fmac_f32_e32 v38, v6, v67
	s_waitcnt vmcnt(1)
	v_fmac_f32_e32 v38, v7, v68
	s_waitcnt vmcnt(0)
	v_fmac_f32_e32 v38, v8, v69
	s_clause 0x3
	buffer_load_dword v66, off, s[36:39], 0 offset:320
	buffer_load_dword v67, off, s[36:39], 0 offset:324
	buffer_load_dword v68, off, s[36:39], 0 offset:328
	buffer_load_dword v69, off, s[36:39], 0 offset:332
	s_waitcnt vmcnt(3)
	v_mul_f32_e32 v39, v5, v66
	s_waitcnt vmcnt(2)
	v_fmac_f32_e32 v39, v6, v67
	s_waitcnt vmcnt(1)
	v_fmac_f32_e32 v39, v7, v68
	s_waitcnt vmcnt(0)
	v_fmac_f32_e32 v39, v8, v69
	s_clause 0x3
	buffer_load_dword v66, off, s[36:39], 0 offset:304
	buffer_load_dword v67, off, s[36:39], 0 offset:308
	buffer_load_dword v68, off, s[36:39], 0 offset:312
	buffer_load_dword v69, off, s[36:39], 0 offset:316
	s_waitcnt vmcnt(3)
	v_mul_f32_e32 v40, v5, v66
	s_waitcnt vmcnt(2)
	v_fmac_f32_e32 v40, v6, v67
	s_waitcnt vmcnt(1)
	v_fmac_f32_e32 v40, v7, v68
	s_waitcnt vmcnt(0)
	v_fmac_f32_e32 v40, v8, v69
	s_clause 0x3
	buffer_load_dword v66, off, s[36:39], 0 offset:288
	buffer_load_dword v67, off, s[36:39], 0 offset:292
	buffer_load_dword v68, off, s[36:39], 0 offset:296
	buffer_load_dword v69, off, s[36:39], 0 offset:300
	s_waitcnt vmcnt(3)
	v_mul_f32_e32 v42, v5, v66
	s_waitcnt vmcnt(2)
	v_fmac_f32_e32 v42, v6, v67
	s_waitcnt vmcnt(1)
	v_fmac_f32_e32 v42, v7, v68
	s_waitcnt vmcnt(0)
	v_fmac_f32_e32 v42, v8, v69
	s_clause 0x3
	buffer_load_dword v66, off, s[36:39], 0 offset:272
	buffer_load_dword v67, off, s[36:39], 0 offset:276
	buffer_load_dword v68, off, s[36:39], 0 offset:280
	buffer_load_dword v69, off, s[36:39], 0 offset:284
	s_waitcnt vmcnt(3)
	v_mul_f32_e32 v43, v5, v66
	s_waitcnt vmcnt(2)
	v_fmac_f32_e32 v43, v6, v67
	s_waitcnt vmcnt(1)
	v_fmac_f32_e32 v43, v7, v68
	s_waitcnt vmcnt(0)
	v_fmac_f32_e32 v43, v8, v69
	s_clause 0x3
	buffer_load_dword v66, off, s[36:39], 0 offset:256
	buffer_load_dword v67, off, s[36:39], 0 offset:260
	buffer_load_dword v68, off, s[36:39], 0 offset:264
	buffer_load_dword v69, off, s[36:39], 0 offset:268
	s_waitcnt vmcnt(3)
	v_mul_f32_e32 v44, v5, v66
	s_waitcnt vmcnt(2)
	v_fmac_f32_e32 v44, v6, v67
	s_waitcnt vmcnt(1)
	v_fmac_f32_e32 v44, v7, v68
	s_waitcnt vmcnt(0)
	v_fmac_f32_e32 v44, v8, v69
	s_clause 0x3
	buffer_load_dword v66, off, s[36:39], 0 offset:240
	buffer_load_dword v67, off, s[36:39], 0 offset:244
	buffer_load_dword v68, off, s[36:39], 0 offset:248
	buffer_load_dword v69, off, s[36:39], 0 offset:252
	s_waitcnt vmcnt(3)
	v_mul_f32_e32 v46, v5, v66
	s_waitcnt vmcnt(2)
	v_fmac_f32_e32 v46, v6, v67
	s_waitcnt vmcnt(1)
	v_fmac_f32_e32 v46, v7, v68
	s_waitcnt vmcnt(0)
	v_fmac_f32_e32 v46, v8, v69
	s_clause 0x3
	buffer_load_dword v66, off, s[36:39], 0 offset:224
	buffer_load_dword v67, off, s[36:39], 0 offset:228
	buffer_load_dword v68, off, s[36:39], 0 offset:232
	buffer_load_dword v69, off, s[36:39], 0 offset:236
	s_waitcnt vmcnt(3)
	v_mul_f32_e32 v47, v5, v66
	s_waitcnt vmcnt(2)
	v_fmac_f32_e32 v47, v6, v67
	s_waitcnt vmcnt(1)
	v_fmac_f32_e32 v47, v7, v68
	s_waitcnt vmcnt(0)
	v_fmac_f32_e32 v47, v8, v69
	s_clause 0x3
	buffer_load_dword v66, off, s[36:39], 0 offset:208
	buffer_load_dword v67, off, s[36:39], 0 offset:212
	buffer_load_dword v68, off, s[36:39], 0 offset:216
	buffer_load_dword v69, off, s[36:39], 0 offset:220
	s_waitcnt vmcnt(3)
	v_mul_f32_e32 v48, v5, v66
	s_waitcnt vmcnt(2)
	v_fmac_f32_e32 v48, v6, v67
	s_waitcnt vmcnt(1)
	v_fmac_f32_e32 v48, v7, v68
	s_waitcnt vmcnt(0)
	v_fmac_f32_e32 v48, v8, v69
	s_clause 0x3
	buffer_load_dword v66, off, s[36:39], 0 offset:192
	buffer_load_dword v67, off, s[36:39], 0 offset:196
	buffer_load_dword v68, off, s[36:39], 0 offset:200
	buffer_load_dword v69, off, s[36:39], 0 offset:204
	s_waitcnt vmcnt(3)
	v_mul_f32_e32 v50, v5, v66
	s_waitcnt vmcnt(2)
	v_fmac_f32_e32 v50, v6, v67
	s_waitcnt vmcnt(1)
	v_fmac_f32_e32 v50, v7, v68
	s_waitcnt vmcnt(0)
	v_fmac_f32_e32 v50, v8, v69
	s_clause 0x4
	buffer_load_dword v66, off, s[36:39], 0 offset:176
	buffer_load_dword v67, off, s[36:39], 0 offset:180
	buffer_load_dword v68, off, s[36:39], 0 offset:184
	buffer_load_dword v69, off, s[36:39], 0 offset:188
	buffer_load_dword v52, off, s[36:39], 0 offset:544
	s_waitcnt vmcnt(4)
	v_mul_f32_e32 v51, v5, v66
	s_waitcnt vmcnt(0)
	v_add_f32_e32 v52, v52, v0
	buffer_load_dword v0, off, s[36:39], 0 offset:560 ; 4-byte Folded Reload
	v_fmac_f32_e32 v51, v6, v67
	buffer_store_dword v52, off, s[36:39], 0 offset:544 ; 4-byte Folded Spill
	v_fmac_f32_e32 v51, v7, v68
	v_fmac_f32_e32 v51, v8, v69
	s_waitcnt vmcnt(0)
	v_add_f32_e32 v0, v0, v13
	buffer_store_dword v0, off, s[36:39], 0 offset:560 ; 4-byte Folded Spill
	buffer_load_dword v0, off, s[36:39], 0 offset:576 ; 4-byte Folded Reload
	s_waitcnt vmcnt(0)
	v_add_f32_e32 v0, v0, v9
	buffer_store_dword v0, off, s[36:39], 0 offset:576 ; 4-byte Folded Spill
	buffer_load_dword v0, off, s[36:39], 0 offset:592 ; 4-byte Folded Reload
	;; [unrolled: 4-line block ×46, first 2 shown]
	s_waitcnt vmcnt(0)
	v_add_f32_e32 v0, v0, v46
	buffer_store_dword v0, off, s[36:39], 0 offset:804 ; 4-byte Folded Spill
	s_clause 0x7
	buffer_load_dword v9, off, s[36:39], 0 offset:160
	buffer_load_dword v10, off, s[36:39], 0 offset:164
	buffer_load_dword v11, off, s[36:39], 0 offset:168
	buffer_load_dword v12, off, s[36:39], 0 offset:172
	buffer_load_dword v1, off, s[36:39], 0 offset:144
	buffer_load_dword v2, off, s[36:39], 0 offset:148
	buffer_load_dword v3, off, s[36:39], 0 offset:152
	buffer_load_dword v4, off, s[36:39], 0 offset:156
	s_waitcnt vmcnt(7)
	v_mul_f32_e32 v0, v5, v9
	s_waitcnt vmcnt(3)
	v_mul_f32_e32 v1, v5, v1
	v_fmac_f32_e32 v0, v6, v10
	s_waitcnt vmcnt(2)
	v_fmac_f32_e32 v1, v6, v2
	buffer_load_dword v2, off, s[36:39], 0 offset:808 ; 4-byte Folded Reload
	v_fmac_f32_e32 v0, v7, v11
	s_waitcnt vmcnt(2)
	v_fmac_f32_e32 v1, v7, v3
	v_fmac_f32_e32 v0, v8, v12
	s_waitcnt vmcnt(1)
	v_fmac_f32_e32 v1, v8, v4
	s_waitcnt vmcnt(0)
	v_add_f32_e32 v2, v2, v47
	buffer_store_dword v2, off, s[36:39], 0 offset:808 ; 4-byte Folded Spill
	s_clause 0x6
	buffer_load_dword v22, off, s[36:39], 0 offset:128
	buffer_load_dword v23, off, s[36:39], 0 offset:132
	;; [unrolled: 1-line block ×7, first 2 shown]
	s_waitcnt vmcnt(6)
	v_mul_f32_e32 v2, v5, v22
	s_waitcnt vmcnt(2)
	v_add_f32_e32 v9, v9, v48
	s_waitcnt vmcnt(1)
	v_add_f32_e32 v3, v3, v51
	v_fmac_f32_e32 v2, v6, v23
	buffer_store_dword v3, off, s[36:39], 0 offset:812 ; 4-byte Folded Spill
	buffer_load_dword v3, off, s[36:39], 0 offset:816 ; 4-byte Folded Reload
	v_fmac_f32_e32 v2, v7, v24
	s_waitcnt vmcnt(1)
	v_add_f32_e32 v10, v10, v50
	v_fmac_f32_e32 v2, v8, v25
	s_waitcnt vmcnt(0)
	v_add_f32_e32 v3, v3, v0
	buffer_load_dword v0, off, s[36:39], 0 offset:820 ; 4-byte Folded Reload
	buffer_store_dword v3, off, s[36:39], 0 offset:816 ; 4-byte Folded Spill
	s_waitcnt vmcnt(0)
	v_add_f32_e32 v0, v0, v1
	buffer_store_dword v0, off, s[36:39], 0 offset:820 ; 4-byte Folded Spill
	s_clause 0x7
	buffer_load_dword v17, off, s[36:39], 0 offset:112
	buffer_load_dword v18, off, s[36:39], 0 offset:116
	;; [unrolled: 1-line block ×8, first 2 shown]
	s_waitcnt vmcnt(7)
	v_mul_f32_e32 v0, v5, v17
	s_clause 0x3
	buffer_load_dword v14, off, s[36:39], 0 offset:80
	buffer_load_dword v15, off, s[36:39], 0 offset:84
	;; [unrolled: 1-line block ×4, first 2 shown]
	s_waitcnt vmcnt(7)
	v_mul_f32_e32 v1, v5, v21
	v_fmac_f32_e32 v0, v6, v18
	s_waitcnt vmcnt(6)
	v_fmac_f32_e32 v1, v6, v22
	v_fmac_f32_e32 v0, v7, v19
	s_waitcnt vmcnt(5)
	v_fmac_f32_e32 v1, v7, v23
	;; [unrolled: 3-line block ×3, first 2 shown]
	s_waitcnt vmcnt(3)
	v_mul_f32_e32 v3, v5, v14
	s_clause 0x3
	buffer_load_dword v11, off, s[36:39], 0 offset:64
	buffer_load_dword v12, off, s[36:39], 0 offset:68
	;; [unrolled: 1-line block ×4, first 2 shown]
	s_waitcnt vmcnt(6)
	v_fmac_f32_e32 v3, v6, v15
	s_waitcnt vmcnt(5)
	v_fmac_f32_e32 v3, v7, v16
	;; [unrolled: 2-line block ×3, first 2 shown]
	s_waitcnt vmcnt(3)
	v_mul_f32_e32 v4, v5, v11
	buffer_load_dword v11, off, s[36:39], 0 offset:824 ; 4-byte Folded Reload
	s_waitcnt vmcnt(3)
	v_fmac_f32_e32 v4, v6, v12
	s_waitcnt vmcnt(2)
	v_fmac_f32_e32 v4, v7, v13
	;; [unrolled: 2-line block ×3, first 2 shown]
	s_waitcnt vmcnt(0)
	v_add_f32_e32 v11, v11, v2
	buffer_store_dword v11, off, s[36:39], 0 offset:824 ; 4-byte Folded Spill
	s_clause 0x4
	buffer_load_dword v20, off, s[36:39], 0 offset:48
	buffer_load_dword v21, off, s[36:39], 0 offset:52
	;; [unrolled: 1-line block ×5, first 2 shown]
	s_waitcnt vmcnt(4)
	v_mul_f32_e32 v2, v5, v20
	s_waitcnt vmcnt(0)
	v_add_f32_e32 v11, v11, v0
	buffer_load_dword v0, off, s[36:39], 0 offset:832 ; 4-byte Folded Reload
	v_fmac_f32_e32 v2, v6, v21
	buffer_store_dword v11, off, s[36:39], 0 offset:828 ; 4-byte Folded Spill
	v_fmac_f32_e32 v2, v7, v22
	v_fmac_f32_e32 v2, v8, v23
	s_waitcnt vmcnt(0)
	v_add_f32_e32 v0, v0, v1
	buffer_store_dword v0, off, s[36:39], 0 offset:832 ; 4-byte Folded Spill
	buffer_load_dword v0, off, s[36:39], 0 offset:836 ; 4-byte Folded Reload
	s_waitcnt vmcnt(0)
	v_add_f32_e32 v0, v0, v3
	buffer_store_dword v0, off, s[36:39], 0 offset:836 ; 4-byte Folded Spill
	buffer_load_dword v0, off, s[36:39], 0 offset:840 ; 4-byte Folded Reload
	s_waitcnt vmcnt(0)
	v_add_f32_e32 v0, v0, v4
	v_mul_f32_e32 v4, v5, v81
	buffer_store_dword v0, off, s[36:39], 0 offset:840 ; 4-byte Folded Spill
	s_clause 0x7
	buffer_load_dword v18, off, s[36:39], 0 offset:32
	buffer_load_dword v19, off, s[36:39], 0 offset:36
	;; [unrolled: 1-line block ×8, first 2 shown]
	v_fmac_f32_e32 v4, v6, v82
	v_fmac_f32_e32 v4, v7, v83
	;; [unrolled: 1-line block ×3, first 2 shown]
	s_waitcnt vmcnt(7)
	v_mul_f32_e32 v0, v5, v18
	s_waitcnt vmcnt(3)
	v_mul_f32_e32 v1, v5, v14
	s_clause 0x3
	buffer_load_dword v11, off, s[36:39], 0
	buffer_load_dword v12, off, s[36:39], 0 offset:4
	buffer_load_dword v13, off, s[36:39], 0 offset:8
	;; [unrolled: 1-line block ×3, first 2 shown]
	v_fmac_f32_e32 v0, v6, v19
	s_waitcnt vmcnt(6)
	v_fmac_f32_e32 v1, v6, v15
	v_fmac_f32_e32 v0, v7, v20
	buffer_load_dword v20, off, s[36:39], 0 offset:856 ; 4-byte Folded Reload
	s_waitcnt vmcnt(6)
	v_fmac_f32_e32 v1, v7, v16
	v_fmac_f32_e32 v0, v8, v21
	s_waitcnt vmcnt(5)
	v_fmac_f32_e32 v1, v8, v17
	s_waitcnt vmcnt(4)
	v_mul_f32_e32 v3, v5, v11
	s_waitcnt vmcnt(3)
	v_fmac_f32_e32 v3, v6, v12
	s_clause 0x5
	buffer_load_dword v11, off, s[36:39], 0 offset:872
	buffer_load_dword v12, off, s[36:39], 0 offset:876
	;; [unrolled: 1-line block ×6, first 2 shown]
	s_waitcnt vmcnt(8)
	v_fmac_f32_e32 v3, v7, v13
	s_waitcnt vmcnt(6)
	v_add_f32_e32 v20, v20, v2
	v_fmac_f32_e32 v3, v8, v14
	s_waitcnt vmcnt(5)
	v_add_nc_u32_e32 v11, 4, v11
	s_waitcnt vmcnt(3)
	v_add_f32_e32 v23, v23, v0
	s_waitcnt vmcnt(2)
	v_add_f32_e32 v25, v25, v1
	;; [unrolled: 2-line block ×3, first 2 shown]
	v_cmp_le_i32_e32 vcc_lo, s12, v11
	s_waitcnt vmcnt(0)
	v_add_f32_e32 v81, v81, v4
	s_or_b32 s15, vcc_lo, s15
	s_andn2_b32 exec_lo, exec_lo, s15
	s_cbranch_execz .LBB53_154
.LBB53_26:                              ; =>This Inner Loop Header: Depth=1
	s_waitcnt vmcnt(0)
	v_lshlrev_b64 v[0:1], 2, v[11:12]
	buffer_store_dword v25, off, s[36:39], 0 offset:868 ; 4-byte Folded Spill
	buffer_store_dword v24, off, s[36:39], 0 offset:864 ; 4-byte Folded Spill
	buffer_store_dword v23, off, s[36:39], 0 offset:860 ; 4-byte Folded Spill
	buffer_store_dword v20, off, s[36:39], 0 offset:856 ; 4-byte Folded Spill
	buffer_store_dword v10, off, s[36:39], 0 offset:852 ; 4-byte Folded Spill
	buffer_store_dword v9, off, s[36:39], 0 offset:848 ; 4-byte Folded Spill
	buffer_store_dword v81, off, s[36:39], 0 offset:844 ; 4-byte Folded Spill
	v_add_co_u32 v0, vcc_lo, s3, v0
	v_add_co_ci_u32_e64 v1, null, s4, v1, vcc_lo
	global_load_dword v0, v[0:1], off
	s_waitcnt vmcnt(0)
	v_mad_i64_i32 v[0:1], null, v0, s5, 0
	v_lshlrev_b64 v[0:1], 2, v[0:1]
	v_add_co_u32 v81, vcc_lo, s13, v0
	buffer_load_dword v0, off, s[36:39], 0 offset:884 ; 4-byte Folded Reload
	v_add_co_ci_u32_e64 v82, null, s14, v1, vcc_lo
	s_waitcnt vmcnt(0)
	v_add_co_u32 v9, vcc_lo, v81, v0
	v_add_co_ci_u32_e64 v10, null, 0, v82, vcc_lo
	global_load_dwordx4 v[0:3], v[9:10], off
	s_waitcnt vmcnt(0)
	buffer_store_dword v0, off, s[36:39], 0 ; 4-byte Folded Spill
	buffer_store_dword v1, off, s[36:39], 0 offset:4 ; 4-byte Folded Spill
	buffer_store_dword v2, off, s[36:39], 0 offset:8 ; 4-byte Folded Spill
	;; [unrolled: 1-line block ×3, first 2 shown]
	buffer_load_dword v0, off, s[36:39], 0 offset:880 ; 4-byte Folded Reload
	s_waitcnt vmcnt(0)
	v_lshl_or_b32 v0, v11, 5, v0
	v_lshl_add_u32 v1, v0, 2, 0x420
	v_or_b32_e32 v126, 1, v0
	v_or_b32_e32 v125, 2, v0
	;; [unrolled: 1-line block ×3, first 2 shown]
	ds_read_b128 v[5:8], v1
	buffer_store_dword v11, off, s[36:39], 0 offset:872 ; 4-byte Folded Spill
	buffer_store_dword v12, off, s[36:39], 0 offset:876 ; 4-byte Folded Spill
	v_cmp_eq_u32_e32 vcc_lo, s18, v11
	s_and_saveexec_b32 s19, vcc_lo
	s_cbranch_execz .LBB53_28
; %bb.27:                               ;   in Loop: Header=BB53_26 Depth=1
	s_clause 0x3
	buffer_load_dword v1, off, s[36:39], 0
	buffer_load_dword v2, off, s[36:39], 0 offset:4
	buffer_load_dword v3, off, s[36:39], 0 offset:8
	;; [unrolled: 1-line block ×3, first 2 shown]
	v_cmp_gt_i32_e64 s1, s11, v0
	s_waitcnt vmcnt(3)
	v_cndmask_b32_e64 v1, 0, v1, s1
	v_cmp_gt_i32_e64 s1, s11, v126
	s_waitcnt vmcnt(2)
	v_cndmask_b32_e64 v2, 0, v2, s1
	;; [unrolled: 3-line block ×4, first 2 shown]
	buffer_store_dword v1, off, s[36:39], 0 ; 4-byte Folded Spill
	buffer_store_dword v2, off, s[36:39], 0 offset:4 ; 4-byte Folded Spill
	buffer_store_dword v3, off, s[36:39], 0 offset:8 ; 4-byte Folded Spill
	;; [unrolled: 1-line block ×3, first 2 shown]
.LBB53_28:                              ;   in Loop: Header=BB53_26 Depth=1
	s_or_b32 exec_lo, exec_lo, s19
	global_load_dwordx4 v[1:4], v[9:10], off offset:512
	s_waitcnt vmcnt(0)
	buffer_store_dword v1, off, s[36:39], 0 offset:16 ; 4-byte Folded Spill
	buffer_store_dword v2, off, s[36:39], 0 offset:20 ; 4-byte Folded Spill
	buffer_store_dword v3, off, s[36:39], 0 offset:24 ; 4-byte Folded Spill
	buffer_store_dword v4, off, s[36:39], 0 offset:28 ; 4-byte Folded Spill
	s_and_saveexec_b32 s19, vcc_lo
	s_cbranch_execz .LBB53_30
; %bb.29:                               ;   in Loop: Header=BB53_26 Depth=1
	s_clause 0x3
	buffer_load_dword v1, off, s[36:39], 0 offset:16
	buffer_load_dword v2, off, s[36:39], 0 offset:20
	buffer_load_dword v3, off, s[36:39], 0 offset:24
	buffer_load_dword v4, off, s[36:39], 0 offset:28
	v_cmp_gt_i32_e64 s1, s11, v0
	s_waitcnt vmcnt(3)
	v_cndmask_b32_e64 v1, 0, v1, s1
	v_cmp_gt_i32_e64 s1, s11, v126
	s_waitcnt vmcnt(2)
	v_cndmask_b32_e64 v2, 0, v2, s1
	v_cmp_gt_i32_e64 s1, s11, v125
	s_waitcnt vmcnt(1)
	v_cndmask_b32_e64 v3, 0, v3, s1
	v_cmp_gt_i32_e64 s1, s11, v127
	s_waitcnt vmcnt(0)
	v_cndmask_b32_e64 v4, 0, v4, s1
	buffer_store_dword v1, off, s[36:39], 0 offset:16 ; 4-byte Folded Spill
	buffer_store_dword v2, off, s[36:39], 0 offset:20 ; 4-byte Folded Spill
	buffer_store_dword v3, off, s[36:39], 0 offset:24 ; 4-byte Folded Spill
	buffer_store_dword v4, off, s[36:39], 0 offset:28 ; 4-byte Folded Spill
.LBB53_30:                              ;   in Loop: Header=BB53_26 Depth=1
	s_or_b32 exec_lo, exec_lo, s19
	global_load_dwordx4 v[1:4], v[9:10], off offset:1024
	s_waitcnt vmcnt(0)
	buffer_store_dword v1, off, s[36:39], 0 offset:32 ; 4-byte Folded Spill
	buffer_store_dword v2, off, s[36:39], 0 offset:36 ; 4-byte Folded Spill
	buffer_store_dword v3, off, s[36:39], 0 offset:40 ; 4-byte Folded Spill
	buffer_store_dword v4, off, s[36:39], 0 offset:44 ; 4-byte Folded Spill
	s_and_saveexec_b32 s19, vcc_lo
	s_cbranch_execz .LBB53_32
; %bb.31:                               ;   in Loop: Header=BB53_26 Depth=1
	s_clause 0x3
	buffer_load_dword v1, off, s[36:39], 0 offset:32
	buffer_load_dword v2, off, s[36:39], 0 offset:36
	buffer_load_dword v3, off, s[36:39], 0 offset:40
	buffer_load_dword v4, off, s[36:39], 0 offset:44
	v_cmp_gt_i32_e64 s1, s11, v0
	s_waitcnt vmcnt(3)
	v_cndmask_b32_e64 v1, 0, v1, s1
	v_cmp_gt_i32_e64 s1, s11, v126
	s_waitcnt vmcnt(2)
	v_cndmask_b32_e64 v2, 0, v2, s1
	v_cmp_gt_i32_e64 s1, s11, v125
	s_waitcnt vmcnt(1)
	v_cndmask_b32_e64 v3, 0, v3, s1
	v_cmp_gt_i32_e64 s1, s11, v127
	s_waitcnt vmcnt(0)
	v_cndmask_b32_e64 v4, 0, v4, s1
	buffer_store_dword v1, off, s[36:39], 0 offset:32 ; 4-byte Folded Spill
	buffer_store_dword v2, off, s[36:39], 0 offset:36 ; 4-byte Folded Spill
	buffer_store_dword v3, off, s[36:39], 0 offset:40 ; 4-byte Folded Spill
	buffer_store_dword v4, off, s[36:39], 0 offset:44 ; 4-byte Folded Spill
.LBB53_32:                              ;   in Loop: Header=BB53_26 Depth=1
	;; [unrolled: 32-line block ×3, first 2 shown]
	s_or_b32 exec_lo, exec_lo, s19
	v_add_co_u32 v1, s1, 0x800, v9
	v_add_co_ci_u32_e64 v2, null, 0, v10, s1
	global_load_dwordx4 v[11:14], v[1:2], off
	s_waitcnt vmcnt(0)
	buffer_store_dword v11, off, s[36:39], 0 offset:64 ; 4-byte Folded Spill
	buffer_store_dword v12, off, s[36:39], 0 offset:68 ; 4-byte Folded Spill
	buffer_store_dword v13, off, s[36:39], 0 offset:72 ; 4-byte Folded Spill
	buffer_store_dword v14, off, s[36:39], 0 offset:76 ; 4-byte Folded Spill
	s_and_saveexec_b32 s19, vcc_lo
	s_cbranch_execz .LBB53_36
; %bb.35:                               ;   in Loop: Header=BB53_26 Depth=1
	s_clause 0x3
	buffer_load_dword v11, off, s[36:39], 0 offset:64
	buffer_load_dword v12, off, s[36:39], 0 offset:68
	buffer_load_dword v13, off, s[36:39], 0 offset:72
	buffer_load_dword v14, off, s[36:39], 0 offset:76
	v_cmp_gt_i32_e64 s1, s11, v0
	s_waitcnt vmcnt(3)
	v_cndmask_b32_e64 v11, 0, v11, s1
	v_cmp_gt_i32_e64 s1, s11, v126
	s_waitcnt vmcnt(2)
	v_cndmask_b32_e64 v12, 0, v12, s1
	v_cmp_gt_i32_e64 s1, s11, v125
	s_waitcnt vmcnt(1)
	v_cndmask_b32_e64 v13, 0, v13, s1
	v_cmp_gt_i32_e64 s1, s11, v127
	s_waitcnt vmcnt(0)
	v_cndmask_b32_e64 v14, 0, v14, s1
	buffer_store_dword v11, off, s[36:39], 0 offset:64 ; 4-byte Folded Spill
	buffer_store_dword v12, off, s[36:39], 0 offset:68 ; 4-byte Folded Spill
	buffer_store_dword v13, off, s[36:39], 0 offset:72 ; 4-byte Folded Spill
	buffer_store_dword v14, off, s[36:39], 0 offset:76 ; 4-byte Folded Spill
.LBB53_36:                              ;   in Loop: Header=BB53_26 Depth=1
	s_or_b32 exec_lo, exec_lo, s19
	global_load_dwordx4 v[11:14], v[1:2], off offset:512
	s_waitcnt vmcnt(0)
	buffer_store_dword v11, off, s[36:39], 0 offset:80 ; 4-byte Folded Spill
	buffer_store_dword v12, off, s[36:39], 0 offset:84 ; 4-byte Folded Spill
	buffer_store_dword v13, off, s[36:39], 0 offset:88 ; 4-byte Folded Spill
	buffer_store_dword v14, off, s[36:39], 0 offset:92 ; 4-byte Folded Spill
	s_and_saveexec_b32 s19, vcc_lo
	s_cbranch_execz .LBB53_38
; %bb.37:                               ;   in Loop: Header=BB53_26 Depth=1
	s_clause 0x3
	buffer_load_dword v11, off, s[36:39], 0 offset:80
	buffer_load_dword v12, off, s[36:39], 0 offset:84
	buffer_load_dword v13, off, s[36:39], 0 offset:88
	buffer_load_dword v14, off, s[36:39], 0 offset:92
	v_cmp_gt_i32_e64 s1, s11, v0
	s_waitcnt vmcnt(3)
	v_cndmask_b32_e64 v11, 0, v11, s1
	v_cmp_gt_i32_e64 s1, s11, v126
	s_waitcnt vmcnt(2)
	v_cndmask_b32_e64 v12, 0, v12, s1
	v_cmp_gt_i32_e64 s1, s11, v125
	s_waitcnt vmcnt(1)
	v_cndmask_b32_e64 v13, 0, v13, s1
	v_cmp_gt_i32_e64 s1, s11, v127
	s_waitcnt vmcnt(0)
	v_cndmask_b32_e64 v14, 0, v14, s1
	buffer_store_dword v11, off, s[36:39], 0 offset:80 ; 4-byte Folded Spill
	buffer_store_dword v12, off, s[36:39], 0 offset:84 ; 4-byte Folded Spill
	buffer_store_dword v13, off, s[36:39], 0 offset:88 ; 4-byte Folded Spill
	buffer_store_dword v14, off, s[36:39], 0 offset:92 ; 4-byte Folded Spill
.LBB53_38:                              ;   in Loop: Header=BB53_26 Depth=1
	s_or_b32 exec_lo, exec_lo, s19
	global_load_dwordx4 v[11:14], v[1:2], off offset:1024
	;; [unrolled: 32-line block ×3, first 2 shown]
	s_waitcnt vmcnt(0)
	buffer_store_dword v1, off, s[36:39], 0 offset:112 ; 4-byte Folded Spill
	buffer_store_dword v2, off, s[36:39], 0 offset:116 ; 4-byte Folded Spill
	;; [unrolled: 1-line block ×4, first 2 shown]
	s_and_saveexec_b32 s19, vcc_lo
	s_cbranch_execz .LBB53_42
; %bb.41:                               ;   in Loop: Header=BB53_26 Depth=1
	s_clause 0x3
	buffer_load_dword v1, off, s[36:39], 0 offset:112
	buffer_load_dword v2, off, s[36:39], 0 offset:116
	;; [unrolled: 1-line block ×4, first 2 shown]
	v_cmp_gt_i32_e64 s1, s11, v0
	s_waitcnt vmcnt(3)
	v_cndmask_b32_e64 v1, 0, v1, s1
	v_cmp_gt_i32_e64 s1, s11, v126
	s_waitcnt vmcnt(2)
	v_cndmask_b32_e64 v2, 0, v2, s1
	;; [unrolled: 3-line block ×4, first 2 shown]
	buffer_store_dword v1, off, s[36:39], 0 offset:112 ; 4-byte Folded Spill
	buffer_store_dword v2, off, s[36:39], 0 offset:116 ; 4-byte Folded Spill
	;; [unrolled: 1-line block ×4, first 2 shown]
.LBB53_42:                              ;   in Loop: Header=BB53_26 Depth=1
	s_or_b32 exec_lo, exec_lo, s19
	v_add_co_u32 v1, s1, 0x1000, v9
	v_add_co_ci_u32_e64 v2, null, 0, v10, s1
	global_load_dwordx4 v[11:14], v[1:2], off
	s_waitcnt vmcnt(0)
	buffer_store_dword v11, off, s[36:39], 0 offset:128 ; 4-byte Folded Spill
	buffer_store_dword v12, off, s[36:39], 0 offset:132 ; 4-byte Folded Spill
	buffer_store_dword v13, off, s[36:39], 0 offset:136 ; 4-byte Folded Spill
	buffer_store_dword v14, off, s[36:39], 0 offset:140 ; 4-byte Folded Spill
	s_and_saveexec_b32 s19, vcc_lo
	s_cbranch_execz .LBB53_44
; %bb.43:                               ;   in Loop: Header=BB53_26 Depth=1
	s_clause 0x3
	buffer_load_dword v11, off, s[36:39], 0 offset:128
	buffer_load_dword v12, off, s[36:39], 0 offset:132
	buffer_load_dword v13, off, s[36:39], 0 offset:136
	buffer_load_dword v14, off, s[36:39], 0 offset:140
	v_cmp_gt_i32_e64 s1, s11, v0
	s_waitcnt vmcnt(3)
	v_cndmask_b32_e64 v11, 0, v11, s1
	v_cmp_gt_i32_e64 s1, s11, v126
	s_waitcnt vmcnt(2)
	v_cndmask_b32_e64 v12, 0, v12, s1
	v_cmp_gt_i32_e64 s1, s11, v125
	s_waitcnt vmcnt(1)
	v_cndmask_b32_e64 v13, 0, v13, s1
	v_cmp_gt_i32_e64 s1, s11, v127
	s_waitcnt vmcnt(0)
	v_cndmask_b32_e64 v14, 0, v14, s1
	buffer_store_dword v11, off, s[36:39], 0 offset:128 ; 4-byte Folded Spill
	buffer_store_dword v12, off, s[36:39], 0 offset:132 ; 4-byte Folded Spill
	buffer_store_dword v13, off, s[36:39], 0 offset:136 ; 4-byte Folded Spill
	buffer_store_dword v14, off, s[36:39], 0 offset:140 ; 4-byte Folded Spill
.LBB53_44:                              ;   in Loop: Header=BB53_26 Depth=1
	s_or_b32 exec_lo, exec_lo, s19
	global_load_dwordx4 v[11:14], v[1:2], off offset:512
	s_waitcnt vmcnt(0)
	buffer_store_dword v11, off, s[36:39], 0 offset:144 ; 4-byte Folded Spill
	buffer_store_dword v12, off, s[36:39], 0 offset:148 ; 4-byte Folded Spill
	buffer_store_dword v13, off, s[36:39], 0 offset:152 ; 4-byte Folded Spill
	buffer_store_dword v14, off, s[36:39], 0 offset:156 ; 4-byte Folded Spill
	s_and_saveexec_b32 s19, vcc_lo
	s_cbranch_execz .LBB53_46
; %bb.45:                               ;   in Loop: Header=BB53_26 Depth=1
	s_clause 0x3
	buffer_load_dword v11, off, s[36:39], 0 offset:144
	buffer_load_dword v12, off, s[36:39], 0 offset:148
	buffer_load_dword v13, off, s[36:39], 0 offset:152
	buffer_load_dword v14, off, s[36:39], 0 offset:156
	v_cmp_gt_i32_e64 s1, s11, v0
	s_waitcnt vmcnt(3)
	v_cndmask_b32_e64 v11, 0, v11, s1
	v_cmp_gt_i32_e64 s1, s11, v126
	s_waitcnt vmcnt(2)
	v_cndmask_b32_e64 v12, 0, v12, s1
	v_cmp_gt_i32_e64 s1, s11, v125
	s_waitcnt vmcnt(1)
	v_cndmask_b32_e64 v13, 0, v13, s1
	v_cmp_gt_i32_e64 s1, s11, v127
	s_waitcnt vmcnt(0)
	v_cndmask_b32_e64 v14, 0, v14, s1
	buffer_store_dword v11, off, s[36:39], 0 offset:144 ; 4-byte Folded Spill
	buffer_store_dword v12, off, s[36:39], 0 offset:148 ; 4-byte Folded Spill
	buffer_store_dword v13, off, s[36:39], 0 offset:152 ; 4-byte Folded Spill
	buffer_store_dword v14, off, s[36:39], 0 offset:156 ; 4-byte Folded Spill
.LBB53_46:                              ;   in Loop: Header=BB53_26 Depth=1
	s_or_b32 exec_lo, exec_lo, s19
	global_load_dwordx4 v[11:14], v[1:2], off offset:1024
	;; [unrolled: 32-line block ×3, first 2 shown]
	s_waitcnt vmcnt(0)
	buffer_store_dword v1, off, s[36:39], 0 offset:176 ; 4-byte Folded Spill
	buffer_store_dword v2, off, s[36:39], 0 offset:180 ; 4-byte Folded Spill
	;; [unrolled: 1-line block ×4, first 2 shown]
	s_and_saveexec_b32 s19, vcc_lo
	s_cbranch_execz .LBB53_50
; %bb.49:                               ;   in Loop: Header=BB53_26 Depth=1
	s_clause 0x3
	buffer_load_dword v1, off, s[36:39], 0 offset:176
	buffer_load_dword v2, off, s[36:39], 0 offset:180
	buffer_load_dword v3, off, s[36:39], 0 offset:184
	buffer_load_dword v4, off, s[36:39], 0 offset:188
	v_cmp_gt_i32_e64 s1, s11, v0
	s_waitcnt vmcnt(3)
	v_cndmask_b32_e64 v1, 0, v1, s1
	v_cmp_gt_i32_e64 s1, s11, v126
	s_waitcnt vmcnt(2)
	v_cndmask_b32_e64 v2, 0, v2, s1
	;; [unrolled: 3-line block ×4, first 2 shown]
	buffer_store_dword v1, off, s[36:39], 0 offset:176 ; 4-byte Folded Spill
	buffer_store_dword v2, off, s[36:39], 0 offset:180 ; 4-byte Folded Spill
	buffer_store_dword v3, off, s[36:39], 0 offset:184 ; 4-byte Folded Spill
	buffer_store_dword v4, off, s[36:39], 0 offset:188 ; 4-byte Folded Spill
.LBB53_50:                              ;   in Loop: Header=BB53_26 Depth=1
	s_or_b32 exec_lo, exec_lo, s19
	v_add_co_u32 v1, s1, 0x1800, v9
	v_add_co_ci_u32_e64 v2, null, 0, v10, s1
	global_load_dwordx4 v[11:14], v[1:2], off
	s_waitcnt vmcnt(0)
	buffer_store_dword v11, off, s[36:39], 0 offset:192 ; 4-byte Folded Spill
	buffer_store_dword v12, off, s[36:39], 0 offset:196 ; 4-byte Folded Spill
	buffer_store_dword v13, off, s[36:39], 0 offset:200 ; 4-byte Folded Spill
	buffer_store_dword v14, off, s[36:39], 0 offset:204 ; 4-byte Folded Spill
	s_and_saveexec_b32 s19, vcc_lo
	s_cbranch_execz .LBB53_52
; %bb.51:                               ;   in Loop: Header=BB53_26 Depth=1
	s_clause 0x3
	buffer_load_dword v11, off, s[36:39], 0 offset:192
	buffer_load_dword v12, off, s[36:39], 0 offset:196
	buffer_load_dword v13, off, s[36:39], 0 offset:200
	buffer_load_dword v14, off, s[36:39], 0 offset:204
	v_cmp_gt_i32_e64 s1, s11, v0
	s_waitcnt vmcnt(3)
	v_cndmask_b32_e64 v11, 0, v11, s1
	v_cmp_gt_i32_e64 s1, s11, v126
	s_waitcnt vmcnt(2)
	v_cndmask_b32_e64 v12, 0, v12, s1
	v_cmp_gt_i32_e64 s1, s11, v125
	s_waitcnt vmcnt(1)
	v_cndmask_b32_e64 v13, 0, v13, s1
	v_cmp_gt_i32_e64 s1, s11, v127
	s_waitcnt vmcnt(0)
	v_cndmask_b32_e64 v14, 0, v14, s1
	buffer_store_dword v11, off, s[36:39], 0 offset:192 ; 4-byte Folded Spill
	buffer_store_dword v12, off, s[36:39], 0 offset:196 ; 4-byte Folded Spill
	buffer_store_dword v13, off, s[36:39], 0 offset:200 ; 4-byte Folded Spill
	buffer_store_dword v14, off, s[36:39], 0 offset:204 ; 4-byte Folded Spill
.LBB53_52:                              ;   in Loop: Header=BB53_26 Depth=1
	s_or_b32 exec_lo, exec_lo, s19
	global_load_dwordx4 v[11:14], v[1:2], off offset:512
	s_waitcnt vmcnt(0)
	buffer_store_dword v11, off, s[36:39], 0 offset:208 ; 4-byte Folded Spill
	buffer_store_dword v12, off, s[36:39], 0 offset:212 ; 4-byte Folded Spill
	buffer_store_dword v13, off, s[36:39], 0 offset:216 ; 4-byte Folded Spill
	buffer_store_dword v14, off, s[36:39], 0 offset:220 ; 4-byte Folded Spill
	s_and_saveexec_b32 s19, vcc_lo
	s_cbranch_execz .LBB53_54
; %bb.53:                               ;   in Loop: Header=BB53_26 Depth=1
	s_clause 0x3
	buffer_load_dword v11, off, s[36:39], 0 offset:208
	buffer_load_dword v12, off, s[36:39], 0 offset:212
	buffer_load_dword v13, off, s[36:39], 0 offset:216
	buffer_load_dword v14, off, s[36:39], 0 offset:220
	v_cmp_gt_i32_e64 s1, s11, v0
	s_waitcnt vmcnt(3)
	v_cndmask_b32_e64 v11, 0, v11, s1
	v_cmp_gt_i32_e64 s1, s11, v126
	s_waitcnt vmcnt(2)
	v_cndmask_b32_e64 v12, 0, v12, s1
	v_cmp_gt_i32_e64 s1, s11, v125
	s_waitcnt vmcnt(1)
	v_cndmask_b32_e64 v13, 0, v13, s1
	v_cmp_gt_i32_e64 s1, s11, v127
	s_waitcnt vmcnt(0)
	v_cndmask_b32_e64 v14, 0, v14, s1
	buffer_store_dword v11, off, s[36:39], 0 offset:208 ; 4-byte Folded Spill
	buffer_store_dword v12, off, s[36:39], 0 offset:212 ; 4-byte Folded Spill
	buffer_store_dword v13, off, s[36:39], 0 offset:216 ; 4-byte Folded Spill
	buffer_store_dword v14, off, s[36:39], 0 offset:220 ; 4-byte Folded Spill
.LBB53_54:                              ;   in Loop: Header=BB53_26 Depth=1
	s_or_b32 exec_lo, exec_lo, s19
	global_load_dwordx4 v[11:14], v[1:2], off offset:1024
	;; [unrolled: 32-line block ×3, first 2 shown]
	s_waitcnt vmcnt(0)
	buffer_store_dword v1, off, s[36:39], 0 offset:240 ; 4-byte Folded Spill
	buffer_store_dword v2, off, s[36:39], 0 offset:244 ; 4-byte Folded Spill
	;; [unrolled: 1-line block ×4, first 2 shown]
	s_and_saveexec_b32 s19, vcc_lo
	s_cbranch_execz .LBB53_58
; %bb.57:                               ;   in Loop: Header=BB53_26 Depth=1
	s_clause 0x3
	buffer_load_dword v1, off, s[36:39], 0 offset:240
	buffer_load_dword v2, off, s[36:39], 0 offset:244
	;; [unrolled: 1-line block ×4, first 2 shown]
	v_cmp_gt_i32_e64 s1, s11, v0
	s_waitcnt vmcnt(3)
	v_cndmask_b32_e64 v1, 0, v1, s1
	v_cmp_gt_i32_e64 s1, s11, v126
	s_waitcnt vmcnt(2)
	v_cndmask_b32_e64 v2, 0, v2, s1
	v_cmp_gt_i32_e64 s1, s11, v125
	s_waitcnt vmcnt(1)
	v_cndmask_b32_e64 v3, 0, v3, s1
	v_cmp_gt_i32_e64 s1, s11, v127
	s_waitcnt vmcnt(0)
	v_cndmask_b32_e64 v4, 0, v4, s1
	buffer_store_dword v1, off, s[36:39], 0 offset:240 ; 4-byte Folded Spill
	buffer_store_dword v2, off, s[36:39], 0 offset:244 ; 4-byte Folded Spill
	;; [unrolled: 1-line block ×4, first 2 shown]
.LBB53_58:                              ;   in Loop: Header=BB53_26 Depth=1
	s_or_b32 exec_lo, exec_lo, s19
	v_add_co_u32 v1, s1, 0x2000, v9
	v_add_co_ci_u32_e64 v2, null, 0, v10, s1
	global_load_dwordx4 v[11:14], v[1:2], off
	s_waitcnt vmcnt(0)
	buffer_store_dword v11, off, s[36:39], 0 offset:256 ; 4-byte Folded Spill
	buffer_store_dword v12, off, s[36:39], 0 offset:260 ; 4-byte Folded Spill
	buffer_store_dword v13, off, s[36:39], 0 offset:264 ; 4-byte Folded Spill
	buffer_store_dword v14, off, s[36:39], 0 offset:268 ; 4-byte Folded Spill
	s_and_saveexec_b32 s19, vcc_lo
	s_cbranch_execz .LBB53_60
; %bb.59:                               ;   in Loop: Header=BB53_26 Depth=1
	s_clause 0x3
	buffer_load_dword v11, off, s[36:39], 0 offset:256
	buffer_load_dword v12, off, s[36:39], 0 offset:260
	buffer_load_dword v13, off, s[36:39], 0 offset:264
	buffer_load_dword v14, off, s[36:39], 0 offset:268
	v_cmp_gt_i32_e64 s1, s11, v0
	s_waitcnt vmcnt(3)
	v_cndmask_b32_e64 v11, 0, v11, s1
	v_cmp_gt_i32_e64 s1, s11, v126
	s_waitcnt vmcnt(2)
	v_cndmask_b32_e64 v12, 0, v12, s1
	v_cmp_gt_i32_e64 s1, s11, v125
	s_waitcnt vmcnt(1)
	v_cndmask_b32_e64 v13, 0, v13, s1
	v_cmp_gt_i32_e64 s1, s11, v127
	s_waitcnt vmcnt(0)
	v_cndmask_b32_e64 v14, 0, v14, s1
	buffer_store_dword v11, off, s[36:39], 0 offset:256 ; 4-byte Folded Spill
	buffer_store_dword v12, off, s[36:39], 0 offset:260 ; 4-byte Folded Spill
	buffer_store_dword v13, off, s[36:39], 0 offset:264 ; 4-byte Folded Spill
	buffer_store_dword v14, off, s[36:39], 0 offset:268 ; 4-byte Folded Spill
.LBB53_60:                              ;   in Loop: Header=BB53_26 Depth=1
	s_or_b32 exec_lo, exec_lo, s19
	global_load_dwordx4 v[11:14], v[1:2], off offset:512
	s_waitcnt vmcnt(0)
	buffer_store_dword v11, off, s[36:39], 0 offset:272 ; 4-byte Folded Spill
	buffer_store_dword v12, off, s[36:39], 0 offset:276 ; 4-byte Folded Spill
	buffer_store_dword v13, off, s[36:39], 0 offset:280 ; 4-byte Folded Spill
	buffer_store_dword v14, off, s[36:39], 0 offset:284 ; 4-byte Folded Spill
	s_and_saveexec_b32 s19, vcc_lo
	s_cbranch_execz .LBB53_62
; %bb.61:                               ;   in Loop: Header=BB53_26 Depth=1
	s_clause 0x3
	buffer_load_dword v11, off, s[36:39], 0 offset:272
	buffer_load_dword v12, off, s[36:39], 0 offset:276
	buffer_load_dword v13, off, s[36:39], 0 offset:280
	buffer_load_dword v14, off, s[36:39], 0 offset:284
	v_cmp_gt_i32_e64 s1, s11, v0
	s_waitcnt vmcnt(3)
	v_cndmask_b32_e64 v11, 0, v11, s1
	v_cmp_gt_i32_e64 s1, s11, v126
	s_waitcnt vmcnt(2)
	v_cndmask_b32_e64 v12, 0, v12, s1
	v_cmp_gt_i32_e64 s1, s11, v125
	s_waitcnt vmcnt(1)
	v_cndmask_b32_e64 v13, 0, v13, s1
	v_cmp_gt_i32_e64 s1, s11, v127
	s_waitcnt vmcnt(0)
	v_cndmask_b32_e64 v14, 0, v14, s1
	buffer_store_dword v11, off, s[36:39], 0 offset:272 ; 4-byte Folded Spill
	buffer_store_dword v12, off, s[36:39], 0 offset:276 ; 4-byte Folded Spill
	buffer_store_dword v13, off, s[36:39], 0 offset:280 ; 4-byte Folded Spill
	buffer_store_dword v14, off, s[36:39], 0 offset:284 ; 4-byte Folded Spill
.LBB53_62:                              ;   in Loop: Header=BB53_26 Depth=1
	s_or_b32 exec_lo, exec_lo, s19
	global_load_dwordx4 v[11:14], v[1:2], off offset:1024
	;; [unrolled: 32-line block ×3, first 2 shown]
	s_waitcnt vmcnt(0)
	buffer_store_dword v1, off, s[36:39], 0 offset:304 ; 4-byte Folded Spill
	buffer_store_dword v2, off, s[36:39], 0 offset:308 ; 4-byte Folded Spill
	;; [unrolled: 1-line block ×4, first 2 shown]
	s_and_saveexec_b32 s19, vcc_lo
	s_cbranch_execz .LBB53_66
; %bb.65:                               ;   in Loop: Header=BB53_26 Depth=1
	s_clause 0x3
	buffer_load_dword v1, off, s[36:39], 0 offset:304
	buffer_load_dword v2, off, s[36:39], 0 offset:308
	;; [unrolled: 1-line block ×4, first 2 shown]
	v_cmp_gt_i32_e64 s1, s11, v0
	s_waitcnt vmcnt(3)
	v_cndmask_b32_e64 v1, 0, v1, s1
	v_cmp_gt_i32_e64 s1, s11, v126
	s_waitcnt vmcnt(2)
	v_cndmask_b32_e64 v2, 0, v2, s1
	v_cmp_gt_i32_e64 s1, s11, v125
	s_waitcnt vmcnt(1)
	v_cndmask_b32_e64 v3, 0, v3, s1
	v_cmp_gt_i32_e64 s1, s11, v127
	s_waitcnt vmcnt(0)
	v_cndmask_b32_e64 v4, 0, v4, s1
	buffer_store_dword v1, off, s[36:39], 0 offset:304 ; 4-byte Folded Spill
	buffer_store_dword v2, off, s[36:39], 0 offset:308 ; 4-byte Folded Spill
	;; [unrolled: 1-line block ×4, first 2 shown]
.LBB53_66:                              ;   in Loop: Header=BB53_26 Depth=1
	s_or_b32 exec_lo, exec_lo, s19
	v_add_co_u32 v1, s1, 0x2800, v9
	v_add_co_ci_u32_e64 v2, null, 0, v10, s1
	global_load_dwordx4 v[11:14], v[1:2], off
	s_waitcnt vmcnt(0)
	buffer_store_dword v11, off, s[36:39], 0 offset:320 ; 4-byte Folded Spill
	buffer_store_dword v12, off, s[36:39], 0 offset:324 ; 4-byte Folded Spill
	buffer_store_dword v13, off, s[36:39], 0 offset:328 ; 4-byte Folded Spill
	buffer_store_dword v14, off, s[36:39], 0 offset:332 ; 4-byte Folded Spill
	s_and_saveexec_b32 s19, vcc_lo
	s_cbranch_execz .LBB53_68
; %bb.67:                               ;   in Loop: Header=BB53_26 Depth=1
	s_clause 0x3
	buffer_load_dword v11, off, s[36:39], 0 offset:320
	buffer_load_dword v12, off, s[36:39], 0 offset:324
	buffer_load_dword v13, off, s[36:39], 0 offset:328
	buffer_load_dword v14, off, s[36:39], 0 offset:332
	v_cmp_gt_i32_e64 s1, s11, v0
	s_waitcnt vmcnt(3)
	v_cndmask_b32_e64 v11, 0, v11, s1
	v_cmp_gt_i32_e64 s1, s11, v126
	s_waitcnt vmcnt(2)
	v_cndmask_b32_e64 v12, 0, v12, s1
	v_cmp_gt_i32_e64 s1, s11, v125
	s_waitcnt vmcnt(1)
	v_cndmask_b32_e64 v13, 0, v13, s1
	v_cmp_gt_i32_e64 s1, s11, v127
	s_waitcnt vmcnt(0)
	v_cndmask_b32_e64 v14, 0, v14, s1
	buffer_store_dword v11, off, s[36:39], 0 offset:320 ; 4-byte Folded Spill
	buffer_store_dword v12, off, s[36:39], 0 offset:324 ; 4-byte Folded Spill
	buffer_store_dword v13, off, s[36:39], 0 offset:328 ; 4-byte Folded Spill
	buffer_store_dword v14, off, s[36:39], 0 offset:332 ; 4-byte Folded Spill
.LBB53_68:                              ;   in Loop: Header=BB53_26 Depth=1
	s_or_b32 exec_lo, exec_lo, s19
	global_load_dwordx4 v[11:14], v[1:2], off offset:512
	s_waitcnt vmcnt(0)
	buffer_store_dword v11, off, s[36:39], 0 offset:336 ; 4-byte Folded Spill
	buffer_store_dword v12, off, s[36:39], 0 offset:340 ; 4-byte Folded Spill
	buffer_store_dword v13, off, s[36:39], 0 offset:344 ; 4-byte Folded Spill
	buffer_store_dword v14, off, s[36:39], 0 offset:348 ; 4-byte Folded Spill
	s_and_saveexec_b32 s19, vcc_lo
	s_cbranch_execz .LBB53_70
; %bb.69:                               ;   in Loop: Header=BB53_26 Depth=1
	s_clause 0x3
	buffer_load_dword v11, off, s[36:39], 0 offset:336
	buffer_load_dword v12, off, s[36:39], 0 offset:340
	buffer_load_dword v13, off, s[36:39], 0 offset:344
	buffer_load_dword v14, off, s[36:39], 0 offset:348
	v_cmp_gt_i32_e64 s1, s11, v0
	s_waitcnt vmcnt(3)
	v_cndmask_b32_e64 v11, 0, v11, s1
	v_cmp_gt_i32_e64 s1, s11, v126
	s_waitcnt vmcnt(2)
	v_cndmask_b32_e64 v12, 0, v12, s1
	v_cmp_gt_i32_e64 s1, s11, v125
	s_waitcnt vmcnt(1)
	v_cndmask_b32_e64 v13, 0, v13, s1
	v_cmp_gt_i32_e64 s1, s11, v127
	s_waitcnt vmcnt(0)
	v_cndmask_b32_e64 v14, 0, v14, s1
	buffer_store_dword v11, off, s[36:39], 0 offset:336 ; 4-byte Folded Spill
	buffer_store_dword v12, off, s[36:39], 0 offset:340 ; 4-byte Folded Spill
	buffer_store_dword v13, off, s[36:39], 0 offset:344 ; 4-byte Folded Spill
	buffer_store_dword v14, off, s[36:39], 0 offset:348 ; 4-byte Folded Spill
.LBB53_70:                              ;   in Loop: Header=BB53_26 Depth=1
	s_or_b32 exec_lo, exec_lo, s19
	global_load_dwordx4 v[11:14], v[1:2], off offset:1024
	;; [unrolled: 32-line block ×3, first 2 shown]
	s_waitcnt vmcnt(0)
	buffer_store_dword v1, off, s[36:39], 0 offset:368 ; 4-byte Folded Spill
	buffer_store_dword v2, off, s[36:39], 0 offset:372 ; 4-byte Folded Spill
	;; [unrolled: 1-line block ×4, first 2 shown]
	s_and_saveexec_b32 s19, vcc_lo
	s_cbranch_execz .LBB53_74
; %bb.73:                               ;   in Loop: Header=BB53_26 Depth=1
	s_clause 0x3
	buffer_load_dword v1, off, s[36:39], 0 offset:368
	buffer_load_dword v2, off, s[36:39], 0 offset:372
	;; [unrolled: 1-line block ×4, first 2 shown]
	v_cmp_gt_i32_e64 s1, s11, v0
	s_waitcnt vmcnt(3)
	v_cndmask_b32_e64 v1, 0, v1, s1
	v_cmp_gt_i32_e64 s1, s11, v126
	s_waitcnt vmcnt(2)
	v_cndmask_b32_e64 v2, 0, v2, s1
	;; [unrolled: 3-line block ×4, first 2 shown]
	buffer_store_dword v1, off, s[36:39], 0 offset:368 ; 4-byte Folded Spill
	buffer_store_dword v2, off, s[36:39], 0 offset:372 ; 4-byte Folded Spill
	;; [unrolled: 1-line block ×4, first 2 shown]
.LBB53_74:                              ;   in Loop: Header=BB53_26 Depth=1
	s_or_b32 exec_lo, exec_lo, s19
	v_add_co_u32 v1, s1, 0x3000, v9
	v_add_co_ci_u32_e64 v2, null, 0, v10, s1
	global_load_dwordx4 v[11:14], v[1:2], off
	s_waitcnt vmcnt(0)
	buffer_store_dword v11, off, s[36:39], 0 offset:384 ; 4-byte Folded Spill
	buffer_store_dword v12, off, s[36:39], 0 offset:388 ; 4-byte Folded Spill
	buffer_store_dword v13, off, s[36:39], 0 offset:392 ; 4-byte Folded Spill
	buffer_store_dword v14, off, s[36:39], 0 offset:396 ; 4-byte Folded Spill
	s_and_saveexec_b32 s19, vcc_lo
	s_cbranch_execz .LBB53_76
; %bb.75:                               ;   in Loop: Header=BB53_26 Depth=1
	s_clause 0x3
	buffer_load_dword v11, off, s[36:39], 0 offset:384
	buffer_load_dword v12, off, s[36:39], 0 offset:388
	buffer_load_dword v13, off, s[36:39], 0 offset:392
	buffer_load_dword v14, off, s[36:39], 0 offset:396
	v_cmp_gt_i32_e64 s1, s11, v0
	s_waitcnt vmcnt(3)
	v_cndmask_b32_e64 v11, 0, v11, s1
	v_cmp_gt_i32_e64 s1, s11, v126
	s_waitcnt vmcnt(2)
	v_cndmask_b32_e64 v12, 0, v12, s1
	v_cmp_gt_i32_e64 s1, s11, v125
	s_waitcnt vmcnt(1)
	v_cndmask_b32_e64 v13, 0, v13, s1
	v_cmp_gt_i32_e64 s1, s11, v127
	s_waitcnt vmcnt(0)
	v_cndmask_b32_e64 v14, 0, v14, s1
	buffer_store_dword v11, off, s[36:39], 0 offset:384 ; 4-byte Folded Spill
	buffer_store_dword v12, off, s[36:39], 0 offset:388 ; 4-byte Folded Spill
	buffer_store_dword v13, off, s[36:39], 0 offset:392 ; 4-byte Folded Spill
	buffer_store_dword v14, off, s[36:39], 0 offset:396 ; 4-byte Folded Spill
.LBB53_76:                              ;   in Loop: Header=BB53_26 Depth=1
	s_or_b32 exec_lo, exec_lo, s19
	global_load_dwordx4 v[11:14], v[1:2], off offset:512
	s_waitcnt vmcnt(0)
	buffer_store_dword v11, off, s[36:39], 0 offset:400 ; 4-byte Folded Spill
	buffer_store_dword v12, off, s[36:39], 0 offset:404 ; 4-byte Folded Spill
	buffer_store_dword v13, off, s[36:39], 0 offset:408 ; 4-byte Folded Spill
	buffer_store_dword v14, off, s[36:39], 0 offset:412 ; 4-byte Folded Spill
	s_and_saveexec_b32 s19, vcc_lo
	s_cbranch_execz .LBB53_78
; %bb.77:                               ;   in Loop: Header=BB53_26 Depth=1
	s_clause 0x3
	buffer_load_dword v11, off, s[36:39], 0 offset:400
	buffer_load_dword v12, off, s[36:39], 0 offset:404
	buffer_load_dword v13, off, s[36:39], 0 offset:408
	buffer_load_dword v14, off, s[36:39], 0 offset:412
	v_cmp_gt_i32_e64 s1, s11, v0
	s_waitcnt vmcnt(3)
	v_cndmask_b32_e64 v11, 0, v11, s1
	v_cmp_gt_i32_e64 s1, s11, v126
	s_waitcnt vmcnt(2)
	v_cndmask_b32_e64 v12, 0, v12, s1
	v_cmp_gt_i32_e64 s1, s11, v125
	s_waitcnt vmcnt(1)
	v_cndmask_b32_e64 v13, 0, v13, s1
	v_cmp_gt_i32_e64 s1, s11, v127
	s_waitcnt vmcnt(0)
	v_cndmask_b32_e64 v14, 0, v14, s1
	buffer_store_dword v11, off, s[36:39], 0 offset:400 ; 4-byte Folded Spill
	buffer_store_dword v12, off, s[36:39], 0 offset:404 ; 4-byte Folded Spill
	buffer_store_dword v13, off, s[36:39], 0 offset:408 ; 4-byte Folded Spill
	buffer_store_dword v14, off, s[36:39], 0 offset:412 ; 4-byte Folded Spill
.LBB53_78:                              ;   in Loop: Header=BB53_26 Depth=1
	s_or_b32 exec_lo, exec_lo, s19
	global_load_dwordx4 v[11:14], v[1:2], off offset:1024
	;; [unrolled: 32-line block ×3, first 2 shown]
	s_waitcnt vmcnt(0)
	buffer_store_dword v1, off, s[36:39], 0 offset:432 ; 4-byte Folded Spill
	buffer_store_dword v2, off, s[36:39], 0 offset:436 ; 4-byte Folded Spill
	;; [unrolled: 1-line block ×4, first 2 shown]
	s_and_saveexec_b32 s19, vcc_lo
	s_cbranch_execz .LBB53_82
; %bb.81:                               ;   in Loop: Header=BB53_26 Depth=1
	s_clause 0x3
	buffer_load_dword v1, off, s[36:39], 0 offset:432
	buffer_load_dword v2, off, s[36:39], 0 offset:436
	;; [unrolled: 1-line block ×4, first 2 shown]
	v_cmp_gt_i32_e64 s1, s11, v0
	s_waitcnt vmcnt(3)
	v_cndmask_b32_e64 v1, 0, v1, s1
	v_cmp_gt_i32_e64 s1, s11, v126
	s_waitcnt vmcnt(2)
	v_cndmask_b32_e64 v2, 0, v2, s1
	;; [unrolled: 3-line block ×4, first 2 shown]
	buffer_store_dword v1, off, s[36:39], 0 offset:432 ; 4-byte Folded Spill
	buffer_store_dword v2, off, s[36:39], 0 offset:436 ; 4-byte Folded Spill
	buffer_store_dword v3, off, s[36:39], 0 offset:440 ; 4-byte Folded Spill
	buffer_store_dword v4, off, s[36:39], 0 offset:444 ; 4-byte Folded Spill
.LBB53_82:                              ;   in Loop: Header=BB53_26 Depth=1
	s_or_b32 exec_lo, exec_lo, s19
	v_add_co_u32 v1, s1, 0x3800, v9
	v_add_co_ci_u32_e64 v2, null, 0, v10, s1
	global_load_dwordx4 v[11:14], v[1:2], off
	s_waitcnt vmcnt(0)
	buffer_store_dword v11, off, s[36:39], 0 offset:448 ; 4-byte Folded Spill
	buffer_store_dword v12, off, s[36:39], 0 offset:452 ; 4-byte Folded Spill
	;; [unrolled: 1-line block ×4, first 2 shown]
	s_and_saveexec_b32 s19, vcc_lo
	s_cbranch_execz .LBB53_84
; %bb.83:                               ;   in Loop: Header=BB53_26 Depth=1
	s_clause 0x3
	buffer_load_dword v11, off, s[36:39], 0 offset:448
	buffer_load_dword v12, off, s[36:39], 0 offset:452
	;; [unrolled: 1-line block ×4, first 2 shown]
	v_cmp_gt_i32_e64 s1, s11, v0
	s_waitcnt vmcnt(3)
	v_cndmask_b32_e64 v11, 0, v11, s1
	v_cmp_gt_i32_e64 s1, s11, v126
	s_waitcnt vmcnt(2)
	v_cndmask_b32_e64 v12, 0, v12, s1
	;; [unrolled: 3-line block ×4, first 2 shown]
	buffer_store_dword v11, off, s[36:39], 0 offset:448 ; 4-byte Folded Spill
	buffer_store_dword v12, off, s[36:39], 0 offset:452 ; 4-byte Folded Spill
	;; [unrolled: 1-line block ×4, first 2 shown]
.LBB53_84:                              ;   in Loop: Header=BB53_26 Depth=1
	s_or_b32 exec_lo, exec_lo, s19
	global_load_dwordx4 v[11:14], v[1:2], off offset:512
	s_waitcnt vmcnt(0)
	buffer_store_dword v11, off, s[36:39], 0 offset:464 ; 4-byte Folded Spill
	buffer_store_dword v12, off, s[36:39], 0 offset:468 ; 4-byte Folded Spill
	;; [unrolled: 1-line block ×4, first 2 shown]
	s_and_saveexec_b32 s19, vcc_lo
	s_cbranch_execz .LBB53_86
; %bb.85:                               ;   in Loop: Header=BB53_26 Depth=1
	s_clause 0x3
	buffer_load_dword v11, off, s[36:39], 0 offset:464
	buffer_load_dword v12, off, s[36:39], 0 offset:468
	;; [unrolled: 1-line block ×4, first 2 shown]
	v_cmp_gt_i32_e64 s1, s11, v0
	s_waitcnt vmcnt(3)
	v_cndmask_b32_e64 v11, 0, v11, s1
	v_cmp_gt_i32_e64 s1, s11, v126
	s_waitcnt vmcnt(2)
	v_cndmask_b32_e64 v12, 0, v12, s1
	;; [unrolled: 3-line block ×4, first 2 shown]
	buffer_store_dword v11, off, s[36:39], 0 offset:464 ; 4-byte Folded Spill
	buffer_store_dword v12, off, s[36:39], 0 offset:468 ; 4-byte Folded Spill
	;; [unrolled: 1-line block ×4, first 2 shown]
.LBB53_86:                              ;   in Loop: Header=BB53_26 Depth=1
	s_or_b32 exec_lo, exec_lo, s19
	global_load_dwordx4 v[1:4], v[1:2], off offset:1024
	s_waitcnt vmcnt(0)
	buffer_store_dword v1, off, s[36:39], 0 offset:480 ; 4-byte Folded Spill
	buffer_store_dword v2, off, s[36:39], 0 offset:484 ; 4-byte Folded Spill
	;; [unrolled: 1-line block ×4, first 2 shown]
	s_and_saveexec_b32 s19, vcc_lo
	s_cbranch_execz .LBB53_88
; %bb.87:                               ;   in Loop: Header=BB53_26 Depth=1
	s_clause 0x3
	buffer_load_dword v1, off, s[36:39], 0 offset:480
	buffer_load_dword v2, off, s[36:39], 0 offset:484
	;; [unrolled: 1-line block ×4, first 2 shown]
	v_cmp_gt_i32_e64 s1, s11, v0
	s_waitcnt vmcnt(3)
	v_cndmask_b32_e64 v1, 0, v1, s1
	v_cmp_gt_i32_e64 s1, s11, v126
	s_waitcnt vmcnt(2)
	v_cndmask_b32_e64 v2, 0, v2, s1
	;; [unrolled: 3-line block ×4, first 2 shown]
	buffer_store_dword v1, off, s[36:39], 0 offset:480 ; 4-byte Folded Spill
	buffer_store_dword v2, off, s[36:39], 0 offset:484 ; 4-byte Folded Spill
	;; [unrolled: 1-line block ×4, first 2 shown]
.LBB53_88:                              ;   in Loop: Header=BB53_26 Depth=1
	s_or_b32 exec_lo, exec_lo, s19
	buffer_load_dword v1, off, s[36:39], 0 offset:888 ; 4-byte Folded Reload
	s_waitcnt vmcnt(0)
	v_add_co_u32 v1, s1, v81, v1
	v_add_co_ci_u32_e64 v2, null, 0, v82, s1
	global_load_dwordx4 v[1:4], v[1:2], off
	s_waitcnt vmcnt(0)
	buffer_store_dword v1, off, s[36:39], 0 offset:496 ; 4-byte Folded Spill
	buffer_store_dword v2, off, s[36:39], 0 offset:500 ; 4-byte Folded Spill
	;; [unrolled: 1-line block ×4, first 2 shown]
	s_and_saveexec_b32 s19, vcc_lo
	s_cbranch_execz .LBB53_90
; %bb.89:                               ;   in Loop: Header=BB53_26 Depth=1
	s_clause 0x3
	buffer_load_dword v1, off, s[36:39], 0 offset:496
	buffer_load_dword v2, off, s[36:39], 0 offset:500
	;; [unrolled: 1-line block ×4, first 2 shown]
	v_cmp_gt_i32_e64 s1, s11, v0
	s_waitcnt vmcnt(3)
	v_cndmask_b32_e64 v1, 0, v1, s1
	v_cmp_gt_i32_e64 s1, s11, v126
	s_waitcnt vmcnt(2)
	v_cndmask_b32_e64 v2, 0, v2, s1
	;; [unrolled: 3-line block ×4, first 2 shown]
	buffer_store_dword v1, off, s[36:39], 0 offset:496 ; 4-byte Folded Spill
	buffer_store_dword v2, off, s[36:39], 0 offset:500 ; 4-byte Folded Spill
	;; [unrolled: 1-line block ×4, first 2 shown]
.LBB53_90:                              ;   in Loop: Header=BB53_26 Depth=1
	s_or_b32 exec_lo, exec_lo, s19
	v_add_co_u32 v1, s1, 0x4000, v9
	v_add_co_ci_u32_e64 v2, null, 0, v10, s1
	global_load_dwordx4 v[11:14], v[1:2], off
	s_waitcnt vmcnt(0)
	buffer_store_dword v11, off, s[36:39], 0 offset:512 ; 4-byte Folded Spill
	buffer_store_dword v12, off, s[36:39], 0 offset:516 ; 4-byte Folded Spill
	;; [unrolled: 1-line block ×4, first 2 shown]
	s_and_saveexec_b32 s19, vcc_lo
	s_cbranch_execz .LBB53_92
; %bb.91:                               ;   in Loop: Header=BB53_26 Depth=1
	s_clause 0x3
	buffer_load_dword v11, off, s[36:39], 0 offset:512
	buffer_load_dword v12, off, s[36:39], 0 offset:516
	;; [unrolled: 1-line block ×4, first 2 shown]
	v_cmp_gt_i32_e64 s1, s11, v0
	s_waitcnt vmcnt(3)
	v_cndmask_b32_e64 v11, 0, v11, s1
	v_cmp_gt_i32_e64 s1, s11, v126
	s_waitcnt vmcnt(2)
	v_cndmask_b32_e64 v12, 0, v12, s1
	;; [unrolled: 3-line block ×4, first 2 shown]
	buffer_store_dword v11, off, s[36:39], 0 offset:512 ; 4-byte Folded Spill
	buffer_store_dword v12, off, s[36:39], 0 offset:516 ; 4-byte Folded Spill
	;; [unrolled: 1-line block ×4, first 2 shown]
.LBB53_92:                              ;   in Loop: Header=BB53_26 Depth=1
	s_or_b32 exec_lo, exec_lo, s19
	global_load_dwordx4 v[11:14], v[1:2], off offset:512
	s_waitcnt vmcnt(0)
	buffer_store_dword v11, off, s[36:39], 0 offset:528 ; 4-byte Folded Spill
	buffer_store_dword v12, off, s[36:39], 0 offset:532 ; 4-byte Folded Spill
	;; [unrolled: 1-line block ×4, first 2 shown]
	s_and_saveexec_b32 s19, vcc_lo
	s_cbranch_execnz .LBB53_132
; %bb.93:                               ;   in Loop: Header=BB53_26 Depth=1
	s_or_b32 exec_lo, exec_lo, s19
	global_load_dwordx4 v[21:24], v[1:2], off offset:1024
	s_and_saveexec_b32 s19, vcc_lo
	s_cbranch_execnz .LBB53_133
.LBB53_94:                              ;   in Loop: Header=BB53_26 Depth=1
	s_or_b32 exec_lo, exec_lo, s19
	global_load_dwordx4 v[25:28], v[1:2], off offset:1536
	s_and_saveexec_b32 s19, vcc_lo
	s_cbranch_execz .LBB53_96
.LBB53_95:                              ;   in Loop: Header=BB53_26 Depth=1
	v_cmp_gt_i32_e64 s1, s11, v0
	s_waitcnt vmcnt(0)
	v_cndmask_b32_e64 v25, 0, v25, s1
	v_cmp_gt_i32_e64 s1, s11, v126
	v_cndmask_b32_e64 v26, 0, v26, s1
	v_cmp_gt_i32_e64 s1, s11, v125
	;; [unrolled: 2-line block ×3, first 2 shown]
	v_cndmask_b32_e64 v28, 0, v28, s1
.LBB53_96:                              ;   in Loop: Header=BB53_26 Depth=1
	s_or_b32 exec_lo, exec_lo, s19
	v_add_co_u32 v1, s1, 0x4800, v9
	v_add_co_ci_u32_e64 v2, null, 0, v10, s1
	global_load_dwordx4 v[29:32], v[1:2], off
	s_and_saveexec_b32 s19, vcc_lo
	s_cbranch_execnz .LBB53_134
; %bb.97:                               ;   in Loop: Header=BB53_26 Depth=1
	s_or_b32 exec_lo, exec_lo, s19
	global_load_dwordx4 v[33:36], v[1:2], off offset:512
	s_and_saveexec_b32 s19, vcc_lo
	s_cbranch_execnz .LBB53_135
.LBB53_98:                              ;   in Loop: Header=BB53_26 Depth=1
	s_or_b32 exec_lo, exec_lo, s19
	global_load_dwordx4 v[37:40], v[1:2], off offset:1024
	s_and_saveexec_b32 s19, vcc_lo
	s_cbranch_execnz .LBB53_136
.LBB53_99:                              ;   in Loop: Header=BB53_26 Depth=1
	s_or_b32 exec_lo, exec_lo, s19
	global_load_dwordx4 v[41:44], v[1:2], off offset:1536
	s_and_saveexec_b32 s19, vcc_lo
	s_cbranch_execz .LBB53_101
.LBB53_100:                             ;   in Loop: Header=BB53_26 Depth=1
	v_cmp_gt_i32_e64 s1, s11, v0
	s_waitcnt vmcnt(0)
	v_cndmask_b32_e64 v41, 0, v41, s1
	v_cmp_gt_i32_e64 s1, s11, v126
	v_cndmask_b32_e64 v42, 0, v42, s1
	v_cmp_gt_i32_e64 s1, s11, v125
	;; [unrolled: 2-line block ×3, first 2 shown]
	v_cndmask_b32_e64 v44, 0, v44, s1
.LBB53_101:                             ;   in Loop: Header=BB53_26 Depth=1
	s_or_b32 exec_lo, exec_lo, s19
	v_add_co_u32 v1, s1, 0x5000, v9
	v_add_co_ci_u32_e64 v2, null, 0, v10, s1
	global_load_dwordx4 v[45:48], v[1:2], off
	s_and_saveexec_b32 s19, vcc_lo
	s_cbranch_execnz .LBB53_137
; %bb.102:                              ;   in Loop: Header=BB53_26 Depth=1
	s_or_b32 exec_lo, exec_lo, s19
	global_load_dwordx4 v[49:52], v[1:2], off offset:512
	s_and_saveexec_b32 s19, vcc_lo
	s_cbranch_execnz .LBB53_138
.LBB53_103:                             ;   in Loop: Header=BB53_26 Depth=1
	s_or_b32 exec_lo, exec_lo, s19
	global_load_dwordx4 v[53:56], v[1:2], off offset:1024
	s_and_saveexec_b32 s19, vcc_lo
	s_cbranch_execnz .LBB53_139
.LBB53_104:                             ;   in Loop: Header=BB53_26 Depth=1
	s_or_b32 exec_lo, exec_lo, s19
	global_load_dwordx4 v[57:60], v[1:2], off offset:1536
	s_and_saveexec_b32 s19, vcc_lo
	s_cbranch_execz .LBB53_106
.LBB53_105:                             ;   in Loop: Header=BB53_26 Depth=1
	v_cmp_gt_i32_e64 s1, s11, v0
	s_waitcnt vmcnt(0)
	v_cndmask_b32_e64 v57, 0, v57, s1
	v_cmp_gt_i32_e64 s1, s11, v126
	v_cndmask_b32_e64 v58, 0, v58, s1
	v_cmp_gt_i32_e64 s1, s11, v125
	;; [unrolled: 2-line block ×3, first 2 shown]
	v_cndmask_b32_e64 v60, 0, v60, s1
.LBB53_106:                             ;   in Loop: Header=BB53_26 Depth=1
	s_or_b32 exec_lo, exec_lo, s19
	v_add_co_u32 v1, s1, 0x5800, v9
	v_add_co_ci_u32_e64 v2, null, 0, v10, s1
	global_load_dwordx4 v[61:64], v[1:2], off
	s_and_saveexec_b32 s19, vcc_lo
	s_cbranch_execnz .LBB53_140
; %bb.107:                              ;   in Loop: Header=BB53_26 Depth=1
	s_or_b32 exec_lo, exec_lo, s19
	global_load_dwordx4 v[65:68], v[1:2], off offset:512
	s_and_saveexec_b32 s19, vcc_lo
	s_cbranch_execnz .LBB53_141
.LBB53_108:                             ;   in Loop: Header=BB53_26 Depth=1
	s_or_b32 exec_lo, exec_lo, s19
	global_load_dwordx4 v[69:72], v[1:2], off offset:1024
	s_and_saveexec_b32 s19, vcc_lo
	s_cbranch_execnz .LBB53_142
.LBB53_109:                             ;   in Loop: Header=BB53_26 Depth=1
	s_or_b32 exec_lo, exec_lo, s19
	global_load_dwordx4 v[73:76], v[1:2], off offset:1536
	s_and_saveexec_b32 s19, vcc_lo
	s_cbranch_execz .LBB53_111
.LBB53_110:                             ;   in Loop: Header=BB53_26 Depth=1
	v_cmp_gt_i32_e64 s1, s11, v0
	s_waitcnt vmcnt(0)
	v_cndmask_b32_e64 v73, 0, v73, s1
	v_cmp_gt_i32_e64 s1, s11, v126
	v_cndmask_b32_e64 v74, 0, v74, s1
	v_cmp_gt_i32_e64 s1, s11, v125
	;; [unrolled: 2-line block ×3, first 2 shown]
	v_cndmask_b32_e64 v76, 0, v76, s1
.LBB53_111:                             ;   in Loop: Header=BB53_26 Depth=1
	s_or_b32 exec_lo, exec_lo, s19
	v_add_co_u32 v1, s1, 0x6000, v9
	v_add_co_ci_u32_e64 v2, null, 0, v10, s1
	global_load_dwordx4 v[77:80], v[1:2], off
	s_and_saveexec_b32 s19, vcc_lo
	s_cbranch_execnz .LBB53_143
; %bb.112:                              ;   in Loop: Header=BB53_26 Depth=1
	s_or_b32 exec_lo, exec_lo, s19
	global_load_dwordx4 v[85:88], v[1:2], off offset:512
	s_and_saveexec_b32 s19, vcc_lo
	s_cbranch_execnz .LBB53_144
.LBB53_113:                             ;   in Loop: Header=BB53_26 Depth=1
	s_or_b32 exec_lo, exec_lo, s19
	global_load_dwordx4 v[89:92], v[1:2], off offset:1024
	s_and_saveexec_b32 s19, vcc_lo
	s_cbranch_execnz .LBB53_145
.LBB53_114:                             ;   in Loop: Header=BB53_26 Depth=1
	s_or_b32 exec_lo, exec_lo, s19
	global_load_dwordx4 v[93:96], v[1:2], off offset:1536
	s_and_saveexec_b32 s19, vcc_lo
	s_cbranch_execz .LBB53_116
.LBB53_115:                             ;   in Loop: Header=BB53_26 Depth=1
	v_cmp_gt_i32_e64 s1, s11, v0
	s_waitcnt vmcnt(0)
	v_cndmask_b32_e64 v93, 0, v93, s1
	v_cmp_gt_i32_e64 s1, s11, v126
	v_cndmask_b32_e64 v94, 0, v94, s1
	v_cmp_gt_i32_e64 s1, s11, v125
	v_cndmask_b32_e64 v95, 0, v95, s1
	v_cmp_gt_i32_e64 s1, s11, v127
	v_cndmask_b32_e64 v96, 0, v96, s1
.LBB53_116:                             ;   in Loop: Header=BB53_26 Depth=1
	s_or_b32 exec_lo, exec_lo, s19
	v_add_co_u32 v1, s1, 0x6800, v9
	v_add_co_ci_u32_e64 v2, null, 0, v10, s1
	global_load_dwordx4 v[97:100], v[1:2], off
	s_and_saveexec_b32 s19, vcc_lo
	s_cbranch_execnz .LBB53_146
; %bb.117:                              ;   in Loop: Header=BB53_26 Depth=1
	s_or_b32 exec_lo, exec_lo, s19
	global_load_dwordx4 v[101:104], v[1:2], off offset:512
	s_and_saveexec_b32 s19, vcc_lo
	s_cbranch_execnz .LBB53_147
.LBB53_118:                             ;   in Loop: Header=BB53_26 Depth=1
	s_or_b32 exec_lo, exec_lo, s19
	global_load_dwordx4 v[105:108], v[1:2], off offset:1024
	s_and_saveexec_b32 s19, vcc_lo
	s_cbranch_execnz .LBB53_148
.LBB53_119:                             ;   in Loop: Header=BB53_26 Depth=1
	s_or_b32 exec_lo, exec_lo, s19
	global_load_dwordx4 v[109:112], v[1:2], off offset:1536
	s_and_saveexec_b32 s19, vcc_lo
	s_cbranch_execz .LBB53_121
.LBB53_120:                             ;   in Loop: Header=BB53_26 Depth=1
	v_cmp_gt_i32_e64 s1, s11, v0
	s_waitcnt vmcnt(0)
	v_cndmask_b32_e64 v109, 0, v109, s1
	v_cmp_gt_i32_e64 s1, s11, v126
	v_cndmask_b32_e64 v110, 0, v110, s1
	v_cmp_gt_i32_e64 s1, s11, v125
	v_cndmask_b32_e64 v111, 0, v111, s1
	v_cmp_gt_i32_e64 s1, s11, v127
	v_cndmask_b32_e64 v112, 0, v112, s1
.LBB53_121:                             ;   in Loop: Header=BB53_26 Depth=1
	s_or_b32 exec_lo, exec_lo, s19
	v_add_co_u32 v1, s1, 0x7000, v9
	v_add_co_ci_u32_e64 v2, null, 0, v10, s1
	global_load_dwordx4 v[113:116], v[1:2], off
	s_and_saveexec_b32 s19, vcc_lo
	s_cbranch_execnz .LBB53_149
; %bb.122:                              ;   in Loop: Header=BB53_26 Depth=1
	s_or_b32 exec_lo, exec_lo, s19
	global_load_dwordx4 v[117:120], v[1:2], off offset:512
	s_and_saveexec_b32 s19, vcc_lo
	s_cbranch_execnz .LBB53_150
.LBB53_123:                             ;   in Loop: Header=BB53_26 Depth=1
	s_or_b32 exec_lo, exec_lo, s19
	global_load_dwordx4 v[121:124], v[1:2], off offset:1024
	s_and_saveexec_b32 s19, vcc_lo
	s_cbranch_execnz .LBB53_151
.LBB53_124:                             ;   in Loop: Header=BB53_26 Depth=1
	s_or_b32 exec_lo, exec_lo, s19
	global_load_dwordx4 v[1:4], v[1:2], off offset:1536
	s_and_saveexec_b32 s19, vcc_lo
	s_cbranch_execz .LBB53_126
.LBB53_125:                             ;   in Loop: Header=BB53_26 Depth=1
	v_cmp_gt_i32_e64 s1, s11, v0
	s_waitcnt vmcnt(0)
	v_cndmask_b32_e64 v1, 0, v1, s1
	v_cmp_gt_i32_e64 s1, s11, v126
	v_cndmask_b32_e64 v2, 0, v2, s1
	v_cmp_gt_i32_e64 s1, s11, v125
	;; [unrolled: 2-line block ×3, first 2 shown]
	v_cndmask_b32_e64 v4, 0, v4, s1
.LBB53_126:                             ;   in Loop: Header=BB53_26 Depth=1
	s_or_b32 exec_lo, exec_lo, s19
	v_add_co_u32 v17, s1, 0x7800, v9
	v_add_co_ci_u32_e64 v18, null, 0, v10, s1
	global_load_dwordx4 v[9:12], v[17:18], off
	s_and_saveexec_b32 s19, vcc_lo
	s_cbranch_execnz .LBB53_152
; %bb.127:                              ;   in Loop: Header=BB53_26 Depth=1
	s_or_b32 exec_lo, exec_lo, s19
	global_load_dwordx4 v[13:16], v[17:18], off offset:512
	s_and_saveexec_b32 s19, vcc_lo
	s_cbranch_execnz .LBB53_153
.LBB53_128:                             ;   in Loop: Header=BB53_26 Depth=1
	s_or_b32 exec_lo, exec_lo, s19
	global_load_dwordx4 v[17:20], v[17:18], off offset:1024
	s_and_saveexec_b32 s19, vcc_lo
	s_cbranch_execz .LBB53_130
.LBB53_129:                             ;   in Loop: Header=BB53_26 Depth=1
	v_cmp_gt_i32_e64 s1, s11, v0
	s_waitcnt vmcnt(0)
	v_cndmask_b32_e64 v17, 0, v17, s1
	v_cmp_gt_i32_e64 s1, s11, v126
	v_cndmask_b32_e64 v18, 0, v18, s1
	v_cmp_gt_i32_e64 s1, s11, v125
	;; [unrolled: 2-line block ×3, first 2 shown]
	v_cndmask_b32_e64 v20, 0, v20, s1
.LBB53_130:                             ;   in Loop: Header=BB53_26 Depth=1
	s_or_b32 exec_lo, exec_lo, s19
	buffer_load_dword v83, off, s[36:39], 0 offset:892 ; 4-byte Folded Reload
	s_waitcnt vmcnt(0)
	v_add_co_u32 v81, s1, v81, v83
	v_add_co_ci_u32_e64 v82, null, 0, v82, s1
	global_load_dwordx4 v[81:84], v[81:82], off
	s_and_saveexec_b32 s1, vcc_lo
	s_cbranch_execz .LBB53_25
; %bb.131:                              ;   in Loop: Header=BB53_26 Depth=1
	v_cmp_gt_i32_e32 vcc_lo, s11, v0
	s_waitcnt vmcnt(0)
	v_cndmask_b32_e32 v81, 0, v81, vcc_lo
	v_cmp_gt_i32_e32 vcc_lo, s11, v126
	v_cndmask_b32_e32 v82, 0, v82, vcc_lo
	v_cmp_gt_i32_e32 vcc_lo, s11, v125
	;; [unrolled: 2-line block ×3, first 2 shown]
	v_cndmask_b32_e32 v84, 0, v84, vcc_lo
	s_branch .LBB53_25
.LBB53_132:                             ;   in Loop: Header=BB53_26 Depth=1
	s_clause 0x3
	buffer_load_dword v11, off, s[36:39], 0 offset:528
	buffer_load_dword v12, off, s[36:39], 0 offset:532
	;; [unrolled: 1-line block ×4, first 2 shown]
	v_cmp_gt_i32_e64 s1, s11, v0
	s_waitcnt vmcnt(3)
	v_cndmask_b32_e64 v11, 0, v11, s1
	v_cmp_gt_i32_e64 s1, s11, v126
	s_waitcnt vmcnt(2)
	v_cndmask_b32_e64 v12, 0, v12, s1
	v_cmp_gt_i32_e64 s1, s11, v125
	s_waitcnt vmcnt(1)
	v_cndmask_b32_e64 v13, 0, v13, s1
	v_cmp_gt_i32_e64 s1, s11, v127
	s_waitcnt vmcnt(0)
	v_cndmask_b32_e64 v14, 0, v14, s1
	buffer_store_dword v11, off, s[36:39], 0 offset:528 ; 4-byte Folded Spill
	buffer_store_dword v12, off, s[36:39], 0 offset:532 ; 4-byte Folded Spill
	;; [unrolled: 1-line block ×4, first 2 shown]
	s_or_b32 exec_lo, exec_lo, s19
	global_load_dwordx4 v[21:24], v[1:2], off offset:1024
	s_and_saveexec_b32 s19, vcc_lo
	s_cbranch_execz .LBB53_94
.LBB53_133:                             ;   in Loop: Header=BB53_26 Depth=1
	v_cmp_gt_i32_e64 s1, s11, v0
	s_waitcnt vmcnt(0)
	v_cndmask_b32_e64 v21, 0, v21, s1
	v_cmp_gt_i32_e64 s1, s11, v126
	v_cndmask_b32_e64 v22, 0, v22, s1
	v_cmp_gt_i32_e64 s1, s11, v125
	;; [unrolled: 2-line block ×3, first 2 shown]
	v_cndmask_b32_e64 v24, 0, v24, s1
	s_or_b32 exec_lo, exec_lo, s19
	global_load_dwordx4 v[25:28], v[1:2], off offset:1536
	s_and_saveexec_b32 s19, vcc_lo
	s_cbranch_execnz .LBB53_95
	s_branch .LBB53_96
.LBB53_134:                             ;   in Loop: Header=BB53_26 Depth=1
	v_cmp_gt_i32_e64 s1, s11, v0
	s_waitcnt vmcnt(0)
	v_cndmask_b32_e64 v29, 0, v29, s1
	v_cmp_gt_i32_e64 s1, s11, v126
	v_cndmask_b32_e64 v30, 0, v30, s1
	v_cmp_gt_i32_e64 s1, s11, v125
	;; [unrolled: 2-line block ×3, first 2 shown]
	v_cndmask_b32_e64 v32, 0, v32, s1
	s_or_b32 exec_lo, exec_lo, s19
	global_load_dwordx4 v[33:36], v[1:2], off offset:512
	s_and_saveexec_b32 s19, vcc_lo
	s_cbranch_execz .LBB53_98
.LBB53_135:                             ;   in Loop: Header=BB53_26 Depth=1
	v_cmp_gt_i32_e64 s1, s11, v0
	s_waitcnt vmcnt(0)
	v_cndmask_b32_e64 v33, 0, v33, s1
	v_cmp_gt_i32_e64 s1, s11, v126
	v_cndmask_b32_e64 v34, 0, v34, s1
	v_cmp_gt_i32_e64 s1, s11, v125
	;; [unrolled: 2-line block ×3, first 2 shown]
	v_cndmask_b32_e64 v36, 0, v36, s1
	s_or_b32 exec_lo, exec_lo, s19
	global_load_dwordx4 v[37:40], v[1:2], off offset:1024
	s_and_saveexec_b32 s19, vcc_lo
	s_cbranch_execz .LBB53_99
.LBB53_136:                             ;   in Loop: Header=BB53_26 Depth=1
	v_cmp_gt_i32_e64 s1, s11, v0
	s_waitcnt vmcnt(0)
	v_cndmask_b32_e64 v37, 0, v37, s1
	v_cmp_gt_i32_e64 s1, s11, v126
	v_cndmask_b32_e64 v38, 0, v38, s1
	v_cmp_gt_i32_e64 s1, s11, v125
	;; [unrolled: 2-line block ×3, first 2 shown]
	v_cndmask_b32_e64 v40, 0, v40, s1
	s_or_b32 exec_lo, exec_lo, s19
	global_load_dwordx4 v[41:44], v[1:2], off offset:1536
	s_and_saveexec_b32 s19, vcc_lo
	s_cbranch_execnz .LBB53_100
	s_branch .LBB53_101
.LBB53_137:                             ;   in Loop: Header=BB53_26 Depth=1
	v_cmp_gt_i32_e64 s1, s11, v0
	s_waitcnt vmcnt(0)
	v_cndmask_b32_e64 v45, 0, v45, s1
	v_cmp_gt_i32_e64 s1, s11, v126
	v_cndmask_b32_e64 v46, 0, v46, s1
	v_cmp_gt_i32_e64 s1, s11, v125
	;; [unrolled: 2-line block ×3, first 2 shown]
	v_cndmask_b32_e64 v48, 0, v48, s1
	s_or_b32 exec_lo, exec_lo, s19
	global_load_dwordx4 v[49:52], v[1:2], off offset:512
	s_and_saveexec_b32 s19, vcc_lo
	s_cbranch_execz .LBB53_103
.LBB53_138:                             ;   in Loop: Header=BB53_26 Depth=1
	v_cmp_gt_i32_e64 s1, s11, v0
	s_waitcnt vmcnt(0)
	v_cndmask_b32_e64 v49, 0, v49, s1
	v_cmp_gt_i32_e64 s1, s11, v126
	v_cndmask_b32_e64 v50, 0, v50, s1
	v_cmp_gt_i32_e64 s1, s11, v125
	;; [unrolled: 2-line block ×3, first 2 shown]
	v_cndmask_b32_e64 v52, 0, v52, s1
	s_or_b32 exec_lo, exec_lo, s19
	global_load_dwordx4 v[53:56], v[1:2], off offset:1024
	s_and_saveexec_b32 s19, vcc_lo
	s_cbranch_execz .LBB53_104
.LBB53_139:                             ;   in Loop: Header=BB53_26 Depth=1
	v_cmp_gt_i32_e64 s1, s11, v0
	s_waitcnt vmcnt(0)
	v_cndmask_b32_e64 v53, 0, v53, s1
	v_cmp_gt_i32_e64 s1, s11, v126
	v_cndmask_b32_e64 v54, 0, v54, s1
	v_cmp_gt_i32_e64 s1, s11, v125
	;; [unrolled: 2-line block ×3, first 2 shown]
	v_cndmask_b32_e64 v56, 0, v56, s1
	s_or_b32 exec_lo, exec_lo, s19
	global_load_dwordx4 v[57:60], v[1:2], off offset:1536
	s_and_saveexec_b32 s19, vcc_lo
	s_cbranch_execnz .LBB53_105
	s_branch .LBB53_106
.LBB53_140:                             ;   in Loop: Header=BB53_26 Depth=1
	v_cmp_gt_i32_e64 s1, s11, v0
	s_waitcnt vmcnt(0)
	v_cndmask_b32_e64 v61, 0, v61, s1
	v_cmp_gt_i32_e64 s1, s11, v126
	v_cndmask_b32_e64 v62, 0, v62, s1
	v_cmp_gt_i32_e64 s1, s11, v125
	;; [unrolled: 2-line block ×3, first 2 shown]
	v_cndmask_b32_e64 v64, 0, v64, s1
	s_or_b32 exec_lo, exec_lo, s19
	global_load_dwordx4 v[65:68], v[1:2], off offset:512
	s_and_saveexec_b32 s19, vcc_lo
	s_cbranch_execz .LBB53_108
.LBB53_141:                             ;   in Loop: Header=BB53_26 Depth=1
	v_cmp_gt_i32_e64 s1, s11, v0
	s_waitcnt vmcnt(0)
	v_cndmask_b32_e64 v65, 0, v65, s1
	v_cmp_gt_i32_e64 s1, s11, v126
	v_cndmask_b32_e64 v66, 0, v66, s1
	v_cmp_gt_i32_e64 s1, s11, v125
	;; [unrolled: 2-line block ×3, first 2 shown]
	v_cndmask_b32_e64 v68, 0, v68, s1
	s_or_b32 exec_lo, exec_lo, s19
	global_load_dwordx4 v[69:72], v[1:2], off offset:1024
	s_and_saveexec_b32 s19, vcc_lo
	s_cbranch_execz .LBB53_109
.LBB53_142:                             ;   in Loop: Header=BB53_26 Depth=1
	v_cmp_gt_i32_e64 s1, s11, v0
	s_waitcnt vmcnt(0)
	v_cndmask_b32_e64 v69, 0, v69, s1
	v_cmp_gt_i32_e64 s1, s11, v126
	v_cndmask_b32_e64 v70, 0, v70, s1
	v_cmp_gt_i32_e64 s1, s11, v125
	;; [unrolled: 2-line block ×3, first 2 shown]
	v_cndmask_b32_e64 v72, 0, v72, s1
	s_or_b32 exec_lo, exec_lo, s19
	global_load_dwordx4 v[73:76], v[1:2], off offset:1536
	s_and_saveexec_b32 s19, vcc_lo
	s_cbranch_execnz .LBB53_110
	s_branch .LBB53_111
.LBB53_143:                             ;   in Loop: Header=BB53_26 Depth=1
	v_cmp_gt_i32_e64 s1, s11, v0
	s_waitcnt vmcnt(0)
	v_cndmask_b32_e64 v77, 0, v77, s1
	v_cmp_gt_i32_e64 s1, s11, v126
	v_cndmask_b32_e64 v78, 0, v78, s1
	v_cmp_gt_i32_e64 s1, s11, v125
	;; [unrolled: 2-line block ×3, first 2 shown]
	v_cndmask_b32_e64 v80, 0, v80, s1
	s_or_b32 exec_lo, exec_lo, s19
	global_load_dwordx4 v[85:88], v[1:2], off offset:512
	s_and_saveexec_b32 s19, vcc_lo
	s_cbranch_execz .LBB53_113
.LBB53_144:                             ;   in Loop: Header=BB53_26 Depth=1
	v_cmp_gt_i32_e64 s1, s11, v0
	s_waitcnt vmcnt(0)
	v_cndmask_b32_e64 v85, 0, v85, s1
	v_cmp_gt_i32_e64 s1, s11, v126
	v_cndmask_b32_e64 v86, 0, v86, s1
	v_cmp_gt_i32_e64 s1, s11, v125
	;; [unrolled: 2-line block ×3, first 2 shown]
	v_cndmask_b32_e64 v88, 0, v88, s1
	s_or_b32 exec_lo, exec_lo, s19
	global_load_dwordx4 v[89:92], v[1:2], off offset:1024
	s_and_saveexec_b32 s19, vcc_lo
	s_cbranch_execz .LBB53_114
.LBB53_145:                             ;   in Loop: Header=BB53_26 Depth=1
	v_cmp_gt_i32_e64 s1, s11, v0
	s_waitcnt vmcnt(0)
	v_cndmask_b32_e64 v89, 0, v89, s1
	v_cmp_gt_i32_e64 s1, s11, v126
	v_cndmask_b32_e64 v90, 0, v90, s1
	v_cmp_gt_i32_e64 s1, s11, v125
	;; [unrolled: 2-line block ×3, first 2 shown]
	v_cndmask_b32_e64 v92, 0, v92, s1
	s_or_b32 exec_lo, exec_lo, s19
	global_load_dwordx4 v[93:96], v[1:2], off offset:1536
	s_and_saveexec_b32 s19, vcc_lo
	s_cbranch_execnz .LBB53_115
	s_branch .LBB53_116
.LBB53_146:                             ;   in Loop: Header=BB53_26 Depth=1
	v_cmp_gt_i32_e64 s1, s11, v0
	s_waitcnt vmcnt(0)
	v_cndmask_b32_e64 v97, 0, v97, s1
	v_cmp_gt_i32_e64 s1, s11, v126
	v_cndmask_b32_e64 v98, 0, v98, s1
	v_cmp_gt_i32_e64 s1, s11, v125
	;; [unrolled: 2-line block ×3, first 2 shown]
	v_cndmask_b32_e64 v100, 0, v100, s1
	s_or_b32 exec_lo, exec_lo, s19
	global_load_dwordx4 v[101:104], v[1:2], off offset:512
	s_and_saveexec_b32 s19, vcc_lo
	s_cbranch_execz .LBB53_118
.LBB53_147:                             ;   in Loop: Header=BB53_26 Depth=1
	v_cmp_gt_i32_e64 s1, s11, v0
	s_waitcnt vmcnt(0)
	v_cndmask_b32_e64 v101, 0, v101, s1
	v_cmp_gt_i32_e64 s1, s11, v126
	v_cndmask_b32_e64 v102, 0, v102, s1
	v_cmp_gt_i32_e64 s1, s11, v125
	;; [unrolled: 2-line block ×3, first 2 shown]
	v_cndmask_b32_e64 v104, 0, v104, s1
	s_or_b32 exec_lo, exec_lo, s19
	global_load_dwordx4 v[105:108], v[1:2], off offset:1024
	s_and_saveexec_b32 s19, vcc_lo
	s_cbranch_execz .LBB53_119
.LBB53_148:                             ;   in Loop: Header=BB53_26 Depth=1
	v_cmp_gt_i32_e64 s1, s11, v0
	s_waitcnt vmcnt(0)
	v_cndmask_b32_e64 v105, 0, v105, s1
	v_cmp_gt_i32_e64 s1, s11, v126
	v_cndmask_b32_e64 v106, 0, v106, s1
	v_cmp_gt_i32_e64 s1, s11, v125
	;; [unrolled: 2-line block ×3, first 2 shown]
	v_cndmask_b32_e64 v108, 0, v108, s1
	s_or_b32 exec_lo, exec_lo, s19
	global_load_dwordx4 v[109:112], v[1:2], off offset:1536
	s_and_saveexec_b32 s19, vcc_lo
	s_cbranch_execnz .LBB53_120
	s_branch .LBB53_121
.LBB53_149:                             ;   in Loop: Header=BB53_26 Depth=1
	v_cmp_gt_i32_e64 s1, s11, v0
	s_waitcnt vmcnt(0)
	v_cndmask_b32_e64 v113, 0, v113, s1
	v_cmp_gt_i32_e64 s1, s11, v126
	v_cndmask_b32_e64 v114, 0, v114, s1
	v_cmp_gt_i32_e64 s1, s11, v125
	;; [unrolled: 2-line block ×3, first 2 shown]
	v_cndmask_b32_e64 v116, 0, v116, s1
	s_or_b32 exec_lo, exec_lo, s19
	global_load_dwordx4 v[117:120], v[1:2], off offset:512
	s_and_saveexec_b32 s19, vcc_lo
	s_cbranch_execz .LBB53_123
.LBB53_150:                             ;   in Loop: Header=BB53_26 Depth=1
	v_cmp_gt_i32_e64 s1, s11, v0
	s_waitcnt vmcnt(0)
	v_cndmask_b32_e64 v117, 0, v117, s1
	v_cmp_gt_i32_e64 s1, s11, v126
	v_cndmask_b32_e64 v118, 0, v118, s1
	v_cmp_gt_i32_e64 s1, s11, v125
	;; [unrolled: 2-line block ×3, first 2 shown]
	v_cndmask_b32_e64 v120, 0, v120, s1
	s_or_b32 exec_lo, exec_lo, s19
	global_load_dwordx4 v[121:124], v[1:2], off offset:1024
	s_and_saveexec_b32 s19, vcc_lo
	s_cbranch_execz .LBB53_124
.LBB53_151:                             ;   in Loop: Header=BB53_26 Depth=1
	v_cmp_gt_i32_e64 s1, s11, v0
	s_waitcnt vmcnt(0)
	v_cndmask_b32_e64 v121, 0, v121, s1
	v_cmp_gt_i32_e64 s1, s11, v126
	v_cndmask_b32_e64 v122, 0, v122, s1
	v_cmp_gt_i32_e64 s1, s11, v125
	;; [unrolled: 2-line block ×3, first 2 shown]
	v_cndmask_b32_e64 v124, 0, v124, s1
	s_or_b32 exec_lo, exec_lo, s19
	global_load_dwordx4 v[1:4], v[1:2], off offset:1536
	s_and_saveexec_b32 s19, vcc_lo
	s_cbranch_execnz .LBB53_125
	s_branch .LBB53_126
.LBB53_152:                             ;   in Loop: Header=BB53_26 Depth=1
	v_cmp_gt_i32_e64 s1, s11, v0
	s_waitcnt vmcnt(0)
	v_cndmask_b32_e64 v9, 0, v9, s1
	v_cmp_gt_i32_e64 s1, s11, v126
	v_cndmask_b32_e64 v10, 0, v10, s1
	v_cmp_gt_i32_e64 s1, s11, v125
	;; [unrolled: 2-line block ×3, first 2 shown]
	v_cndmask_b32_e64 v12, 0, v12, s1
	s_or_b32 exec_lo, exec_lo, s19
	global_load_dwordx4 v[13:16], v[17:18], off offset:512
	s_and_saveexec_b32 s19, vcc_lo
	s_cbranch_execz .LBB53_128
.LBB53_153:                             ;   in Loop: Header=BB53_26 Depth=1
	v_cmp_gt_i32_e64 s1, s11, v0
	s_waitcnt vmcnt(0)
	v_cndmask_b32_e64 v13, 0, v13, s1
	v_cmp_gt_i32_e64 s1, s11, v126
	v_cndmask_b32_e64 v14, 0, v14, s1
	v_cmp_gt_i32_e64 s1, s11, v125
	v_cndmask_b32_e64 v15, 0, v15, s1
	v_cmp_gt_i32_e64 s1, s11, v127
	v_cndmask_b32_e64 v16, 0, v16, s1
	s_or_b32 exec_lo, exec_lo, s19
	global_load_dwordx4 v[17:20], v[17:18], off offset:1024
	s_and_saveexec_b32 s19, vcc_lo
	s_cbranch_execnz .LBB53_129
	s_branch .LBB53_130
.LBB53_154:
	s_or_b32 exec_lo, exec_lo, s15
	s_clause 0x38
	buffer_load_dword v80, off, s[36:39], 0 offset:544
	buffer_load_dword v77, off, s[36:39], 0 offset:560
	;; [unrolled: 1-line block ×57, first 2 shown]
.LBB53_155:
	s_or_b32 exec_lo, exec_lo, s2
	s_clause 0x2
	buffer_load_dword v72, off, s[36:39], 0 offset:916
	buffer_load_dword v82, off, s[36:39], 0 offset:904
	buffer_load_dword v88, off, s[36:39], 0 offset:900
	v_mov_b32_e32 v12, v10
	v_mov_b32_e32 v13, v9
	s_waitcnt vmcnt(4)
	v_mov_b32_e32 v29, v5
	v_mov_b32_e32 v28, v6
	;; [unrolled: 1-line block ×6, first 2 shown]
	s_mov_b32 s2, exec_lo
	s_waitcnt vmcnt(2)
	ds_bpermute_b32 v1, v72, v25
	ds_bpermute_b32 v0, v72, v24
	;; [unrolled: 1-line block ×17, first 2 shown]
	s_waitcnt lgkmcnt(16)
	v_add_f32_e32 v1, v25, v1
	s_waitcnt lgkmcnt(15)
	v_add_f32_e32 v0, v24, v0
	;; [unrolled: 2-line block ×3, first 2 shown]
	v_mov_b32_e32 v24, v17
	s_waitcnt lgkmcnt(13)
	v_add_f32_e32 v2, v23, v2
	s_waitcnt vmcnt(1)
	ds_bpermute_b32 v17, v82, v1
	s_waitcnt lgkmcnt(13)
	v_add_f32_e32 v4, v19, v4
	v_mov_b32_e32 v23, v16
	ds_bpermute_b32 v16, v82, v0
	ds_bpermute_b32 v19, v82, v3
	v_mov_b32_e32 v25, v18
	ds_bpermute_b32 v18, v82, v2
	ds_bpermute_b32 v20, v82, v4
	s_waitcnt lgkmcnt(16)
	v_add_f32_e32 v5, v29, v5
	s_waitcnt lgkmcnt(15)
	v_add_f32_e32 v6, v28, v6
	;; [unrolled: 2-line block ×7, first 2 shown]
	ds_bpermute_b32 v21, v82, v5
	ds_bpermute_b32 v22, v82, v6
	s_waitcnt lgkmcnt(11)
	v_add_f32_e32 v9, v25, v9
	s_waitcnt lgkmcnt(10)
	v_add_f32_e32 v11, v23, v11
	ds_bpermute_b32 v23, v82, v7
	s_waitcnt lgkmcnt(7)
	v_add_f32_e32 v1, v1, v17
	ds_bpermute_b32 v24, v82, v8
	ds_bpermute_b32 v26, v82, v10
	s_waitcnt lgkmcnt(8)
	v_add_f32_e32 v0, v0, v16
	s_waitcnt lgkmcnt(7)
	v_add_f32_e32 v3, v3, v19
	s_waitcnt vmcnt(0)
	ds_bpermute_b32 v17, v88, v1
	ds_bpermute_b32 v25, v82, v9
	s_waitcnt lgkmcnt(8)
	v_add_f32_e32 v2, v2, v18
	s_waitcnt lgkmcnt(7)
	v_add_f32_e32 v4, v4, v20
	ds_bpermute_b32 v16, v88, v0
	ds_bpermute_b32 v19, v88, v3
	;; [unrolled: 1-line block ×9, first 2 shown]
	s_waitcnt lgkmcnt(15)
	v_add_f32_e32 v5, v5, v21
	s_waitcnt lgkmcnt(14)
	v_add_f32_e32 v6, v6, v22
	;; [unrolled: 2-line block ×5, first 2 shown]
	ds_bpermute_b32 v21, v88, v5
	ds_bpermute_b32 v22, v88, v6
	s_waitcnt lgkmcnt(12)
	v_add_f32_e32 v1, v1, v17
	ds_bpermute_b32 v17, v72, v33
	s_waitcnt lgkmcnt(12)
	v_add_f32_e32 v9, v9, v25
	;; [unrolled: 3-line block ×3, first 2 shown]
	s_waitcnt lgkmcnt(11)
	v_add_f32_e32 v3, v3, v19
	s_waitcnt lgkmcnt(10)
	v_add_f32_e32 v11, v11, v27
	ds_bpermute_b32 v16, v88, v8
	ds_bpermute_b32 v19, v88, v10
	s_waitcnt lgkmcnt(10)
	v_add_f32_e32 v12, v12, v31
	v_add_f32_e32 v14, v50, v14
	;; [unrolled: 1-line block ×4, first 2 shown]
	s_waitcnt lgkmcnt(9)
	v_add_f32_e32 v2, v2, v18
	s_waitcnt lgkmcnt(8)
	v_add_f32_e32 v4, v4, v20
	ds_bpermute_b32 v18, v88, v9
	ds_bpermute_b32 v20, v88, v11
	;; [unrolled: 1-line block ×6, first 2 shown]
	s_waitcnt lgkmcnt(12)
	v_add_f32_e32 v13, v13, v32
	v_add_f32_e32 v29, v37, v29
	s_waitcnt lgkmcnt(11)
	v_add_f32_e32 v5, v5, v21
	v_add_f32_e32 v21, v36, v30
	s_waitcnt lgkmcnt(10)
	v_add_f32_e32 v6, v6, v22
	ds_bpermute_b32 v26, v88, v13
	ds_bpermute_b32 v22, v82, v29
	s_waitcnt lgkmcnt(11)
	v_add_f32_e32 v17, v33, v17
	s_waitcnt lgkmcnt(10)
	v_add_f32_e32 v7, v7, v23
	ds_bpermute_b32 v23, v82, v21
	s_waitcnt lgkmcnt(10)
	v_add_f32_e32 v8, v8, v16
	s_waitcnt lgkmcnt(9)
	v_add_f32_e32 v10, v10, v19
	ds_bpermute_b32 v16, v82, v17
	ds_bpermute_b32 v19, v72, v35
	s_waitcnt lgkmcnt(10)
	v_add_f32_e32 v9, v9, v18
	s_waitcnt lgkmcnt(9)
	v_add_f32_e32 v11, v11, v20
	ds_bpermute_b32 v18, v72, v34
	s_waitcnt lgkmcnt(9)
	v_add_f32_e32 v12, v12, v25
	s_waitcnt lgkmcnt(8)
	v_add_f32_e32 v14, v14, v27
	;; [unrolled: 2-line block ×4, first 2 shown]
	ds_bpermute_b32 v24, v72, v46
	ds_bpermute_b32 v25, v72, v45
	;; [unrolled: 1-line block ×4, first 2 shown]
	s_waitcnt lgkmcnt(9)
	v_add_f32_e32 v13, v13, v26
	ds_bpermute_b32 v26, v72, v40
	s_waitcnt lgkmcnt(9)
	v_add_f32_e32 v22, v29, v22
	ds_bpermute_b32 v29, v88, v20
	;; [unrolled: 3-line block ×3, first 2 shown]
	ds_bpermute_b32 v30, v72, v43
	ds_bpermute_b32 v31, v88, v22
	s_waitcnt lgkmcnt(11)
	v_add_f32_e32 v32, v17, v16
	s_waitcnt lgkmcnt(10)
	v_add_f32_e32 v35, v35, v19
	ds_bpermute_b32 v19, v72, v42
	ds_bpermute_b32 v37, v72, v41
	;; [unrolled: 1-line block ×3, first 2 shown]
	s_waitcnt lgkmcnt(12)
	v_add_f32_e32 v34, v34, v18
	ds_bpermute_b32 v36, v88, v32
	ds_bpermute_b32 v39, v82, v35
	s_waitcnt lgkmcnt(13)
	v_add_f32_e32 v24, v46, v24
	s_waitcnt lgkmcnt(12)
	v_add_f32_e32 v25, v45, v25
	ds_bpermute_b32 v38, v82, v34
	s_waitcnt lgkmcnt(12)
	v_add_f32_e32 v14, v14, v27
	s_waitcnt lgkmcnt(11)
	v_add_f32_e32 v15, v15, v28
	ds_bpermute_b32 v27, v82, v24
	ds_bpermute_b32 v28, v82, v25
	s_waitcnt lgkmcnt(12)
	v_add_f32_e32 v26, v40, v26
	s_waitcnt lgkmcnt(11)
	v_add_f32_e32 v16, v20, v29
	;; [unrolled: 2-line block ×5, first 2 shown]
	ds_bpermute_b32 v40, v82, v26
	ds_bpermute_b32 v43, v72, v84
	s_waitcnt lgkmcnt(9)
	v_add_f32_e32 v22, v42, v19
	s_waitcnt lgkmcnt(8)
	v_add_f32_e32 v29, v41, v37
	;; [unrolled: 2-line block ×3, first 2 shown]
	ds_bpermute_b32 v20, v82, v23
	ds_bpermute_b32 v21, v82, v30
	s_waitcnt lgkmcnt(8)
	v_add_f32_e32 v19, v32, v36
	s_waitcnt lgkmcnt(7)
	v_add_f32_e32 v32, v35, v39
	ds_bpermute_b32 v33, v82, v22
	ds_bpermute_b32 v35, v82, v29
	;; [unrolled: 1-line block ×4, first 2 shown]
	s_waitcnt lgkmcnt(10)
	v_add_f32_e32 v31, v34, v38
	ds_bpermute_b32 v34, v72, v49
	s_waitcnt lgkmcnt(10)
	v_add_f32_e32 v24, v24, v27
	s_waitcnt lgkmcnt(9)
	v_add_f32_e32 v25, v25, v28
	ds_bpermute_b32 v28, v72, v51
	ds_bpermute_b32 v38, v88, v31
	;; [unrolled: 1-line block ×4, first 2 shown]
	s_waitcnt lgkmcnt(12)
	v_add_f32_e32 v26, v26, v40
	ds_bpermute_b32 v40, v88, v25
	ds_bpermute_b32 v44, v72, v71
	s_waitcnt lgkmcnt(12)
	v_add_f32_e32 v41, v23, v20
	s_waitcnt lgkmcnt(11)
	v_add_f32_e32 v30, v30, v21
	ds_bpermute_b32 v42, v88, v26
	s_waitcnt lgkmcnt(11)
	v_add_f32_e32 v33, v22, v33
	s_waitcnt lgkmcnt(10)
	v_add_f32_e32 v29, v29, v35
	;; [unrolled: 2-line block ×4, first 2 shown]
	ds_bpermute_b32 v45, v88, v41
	ds_bpermute_b32 v46, v88, v30
	s_waitcnt lgkmcnt(9)
	v_add_f32_e32 v34, v49, v34
	ds_bpermute_b32 v37, v88, v33
	ds_bpermute_b32 v49, v82, v35
	ds_bpermute_b32 v50, v82, v36
	s_waitcnt lgkmcnt(11)
	v_add_f32_e32 v51, v51, v28
	ds_bpermute_b32 v47, v82, v34
	s_waitcnt lgkmcnt(11)
	v_add_f32_e32 v20, v31, v38
	s_waitcnt lgkmcnt(10)
	v_add_f32_e32 v21, v32, v27
	;; [unrolled: 2-line block ×3, first 2 shown]
	ds_bpermute_b32 v31, v82, v51
	v_add_f32_e32 v32, v84, v43
	ds_bpermute_b32 v39, v72, v63
	s_waitcnt lgkmcnt(10)
	v_add_f32_e32 v23, v25, v40
	s_waitcnt lgkmcnt(9)
	v_add_f32_e32 v38, v71, v44
	;; [unrolled: 2-line block ×3, first 2 shown]
	ds_bpermute_b32 v40, v82, v32
	ds_bpermute_b32 v42, v72, v52
	;; [unrolled: 1-line block ×3, first 2 shown]
	s_waitcnt lgkmcnt(10)
	v_add_f32_e32 v25, v41, v45
	ds_bpermute_b32 v41, v82, v38
	s_waitcnt lgkmcnt(10)
	v_add_f32_e32 v26, v30, v46
	ds_bpermute_b32 v30, v72, v53
	s_waitcnt lgkmcnt(10)
	v_add_f32_e32 v27, v33, v37
	s_waitcnt lgkmcnt(9)
	v_add_f32_e32 v33, v35, v49
	;; [unrolled: 2-line block ×3, first 2 shown]
	ds_bpermute_b32 v36, v72, v62
	ds_bpermute_b32 v37, v72, v58
	s_waitcnt lgkmcnt(9)
	v_add_f32_e32 v34, v34, v47
	ds_bpermute_b32 v43, v88, v33
	ds_bpermute_b32 v45, v72, v54
	s_waitcnt lgkmcnt(10)
	v_add_f32_e32 v46, v51, v31
	s_waitcnt lgkmcnt(9)
	v_add_f32_e32 v39, v63, v39
	ds_bpermute_b32 v31, v72, v55
	ds_bpermute_b32 v47, v72, v56
	;; [unrolled: 1-line block ×3, first 2 shown]
	s_waitcnt lgkmcnt(11)
	v_add_f32_e32 v40, v32, v40
	ds_bpermute_b32 v32, v82, v39
	s_waitcnt lgkmcnt(11)
	v_add_f32_e32 v42, v52, v42
	s_waitcnt lgkmcnt(10)
	v_add_f32_e32 v28, v29, v48
	;; [unrolled: 2-line block ×3, first 2 shown]
	ds_bpermute_b32 v49, v88, v40
	s_waitcnt lgkmcnt(9)
	v_add_f32_e32 v41, v53, v30
	ds_bpermute_b32 v53, v72, v57
	ds_bpermute_b32 v29, v88, v34
	;; [unrolled: 1-line block ×3, first 2 shown]
	s_waitcnt lgkmcnt(11)
	v_add_f32_e32 v36, v62, v36
	s_waitcnt lgkmcnt(10)
	v_add_f32_e32 v37, v58, v37
	ds_bpermute_b32 v51, v82, v41
	s_waitcnt lgkmcnt(10)
	v_add_f32_e32 v30, v33, v43
	s_waitcnt lgkmcnt(9)
	v_add_f32_e32 v43, v54, v45
	ds_bpermute_b32 v45, v82, v36
	ds_bpermute_b32 v54, v82, v37
	s_waitcnt lgkmcnt(10)
	v_add_f32_e32 v55, v55, v31
	s_waitcnt lgkmcnt(9)
	v_add_f32_e32 v47, v56, v47
	ds_bpermute_b32 v50, v88, v38
	;; [unrolled: 6-line block ×3, first 2 shown]
	ds_bpermute_b32 v44, v82, v47
	s_waitcnt lgkmcnt(10)
	v_add_f32_e32 v33, v40, v49
	ds_bpermute_b32 v49, v72, v60
	ds_bpermute_b32 v58, v72, v69
	s_waitcnt lgkmcnt(10)
	v_add_f32_e32 v29, v34, v29
	s_waitcnt lgkmcnt(9)
	v_add_f32_e32 v32, v46, v48
	ds_bpermute_b32 v46, v72, v59
	ds_bpermute_b32 v56, v82, v43
	s_waitcnt lgkmcnt(10)
	v_add_f32_e32 v40, v41, v51
	v_add_f32_e32 v41, v57, v53
	ds_bpermute_b32 v48, v72, v61
	s_waitcnt lgkmcnt(10)
	v_add_f32_e32 v45, v36, v45
	s_waitcnt lgkmcnt(9)
	v_add_f32_e32 v53, v37, v54
	ds_bpermute_b32 v36, v72, v64
	ds_bpermute_b32 v37, v72, v65
	s_waitcnt lgkmcnt(10)
	v_add_f32_e32 v34, v38, v50
	ds_bpermute_b32 v38, v88, v35
	s_waitcnt lgkmcnt(10)
	v_add_f32_e32 v42, v42, v52
	;; [unrolled: 3-line block ×3, first 2 shown]
	s_waitcnt lgkmcnt(9)
	v_add_f32_e32 v44, v47, v44
	ds_bpermute_b32 v39, v88, v45
	ds_bpermute_b32 v47, v88, v53
	;; [unrolled: 1-line block ×5, first 2 shown]
	s_waitcnt lgkmcnt(13)
	v_add_f32_e32 v49, v60, v49
	s_waitcnt lgkmcnt(11)
	v_add_f32_e32 v46, v59, v46
	;; [unrolled: 2-line block ×3, first 2 shown]
	ds_bpermute_b32 v59, v72, v68
	ds_bpermute_b32 v56, v88, v54
	;; [unrolled: 1-line block ×4, first 2 shown]
	s_waitcnt lgkmcnt(12)
	v_add_f32_e32 v64, v64, v36
	s_waitcnt lgkmcnt(11)
	v_add_f32_e32 v65, v65, v37
	ds_bpermute_b32 v55, v88, v43
	s_waitcnt lgkmcnt(11)
	v_add_f32_e32 v35, v35, v38
	v_add_f32_e32 v48, v61, v48
	s_waitcnt lgkmcnt(10)
	v_add_f32_e32 v50, v41, v50
	s_waitcnt lgkmcnt(9)
	v_add_f32_e32 v38, v45, v39
	s_waitcnt lgkmcnt(8)
	v_add_f32_e32 v39, v53, v47
	v_add_f32_e32 v47, v69, v58
	s_waitcnt lgkmcnt(7)
	v_add_f32_e32 v36, v40, v51
	s_waitcnt lgkmcnt(6)
	v_add_f32_e32 v37, v42, v52
	ds_bpermute_b32 v45, v82, v64
	ds_bpermute_b32 v51, v82, v65
	;; [unrolled: 1-line block ×3, first 2 shown]
	s_waitcnt lgkmcnt(8)
	v_add_f32_e32 v42, v44, v57
	ds_bpermute_b32 v44, v82, v47
	ds_bpermute_b32 v63, v88, v50
	s_waitcnt lgkmcnt(7)
	v_add_f32_e32 v49, v49, v62
	ds_bpermute_b32 v62, v72, v74
	v_add_f32_e32 v53, v68, v59
	s_waitcnt lgkmcnt(7)
	v_add_f32_e32 v46, v46, v60
	ds_bpermute_b32 v60, v72, v73
	s_waitcnt lgkmcnt(7)
	v_add_f32_e32 v40, v43, v55
	v_add_f32_e32 v41, v54, v56
	ds_bpermute_b32 v54, v82, v53
	ds_bpermute_b32 v58, v72, v70
	;; [unrolled: 1-line block ×5, first 2 shown]
	s_waitcnt lgkmcnt(11)
	v_add_f32_e32 v59, v64, v45
	s_waitcnt lgkmcnt(10)
	v_add_f32_e32 v51, v65, v51
	;; [unrolled: 2-line block ×3, first 2 shown]
	ds_bpermute_b32 v66, v72, v76
	s_waitcnt lgkmcnt(9)
	v_add_f32_e32 v65, v47, v44
	ds_bpermute_b32 v44, v72, v75
	s_waitcnt lgkmcnt(9)
	v_add_f32_e32 v43, v50, v63
	ds_bpermute_b32 v50, v72, v67
	ds_bpermute_b32 v47, v72, v79
	s_waitcnt lgkmcnt(10)
	v_add_f32_e32 v62, v74, v62
	ds_bpermute_b32 v52, v72, v83
	ds_bpermute_b32 v63, v82, v45
	s_waitcnt lgkmcnt(11)
	v_add_f32_e32 v60, v73, v60
	s_waitcnt lgkmcnt(10)
	v_add_f32_e32 v53, v53, v54
	ds_bpermute_b32 v54, v72, v78
	s_waitcnt lgkmcnt(10)
	v_add_f32_e32 v58, v70, v58
	ds_bpermute_b32 v70, v72, v80
	ds_bpermute_b32 v74, v82, v60
	s_waitcnt lgkmcnt(11)
	v_add_f32_e32 v48, v48, v61
	ds_bpermute_b32 v64, v88, v51
	ds_bpermute_b32 v73, v82, v58
	;; [unrolled: 1-line block ×4, first 2 shown]
	s_waitcnt lgkmcnt(12)
	v_add_f32_e32 v66, v76, v66
	ds_bpermute_b32 v56, v88, v48
	s_waitcnt lgkmcnt(12)
	v_add_f32_e32 v44, v75, v44
	ds_bpermute_b32 v75, v82, v62
	;; [unrolled: 3-line block ×3, first 2 shown]
	ds_bpermute_b32 v72, v72, v81
	s_waitcnt lgkmcnt(13)
	v_add_f32_e32 v47, v79, v47
	ds_bpermute_b32 v79, v82, v66
	s_waitcnt lgkmcnt(13)
	v_add_f32_e32 v52, v83, v52
	s_waitcnt lgkmcnt(12)
	v_add_f32_e32 v63, v45, v63
	ds_bpermute_b32 v71, v82, v50
	ds_bpermute_b32 v76, v82, v44
	s_waitcnt lgkmcnt(13)
	v_add_f32_e32 v54, v78, v54
	ds_bpermute_b32 v45, v82, v52
	s_waitcnt lgkmcnt(12)
	v_add_f32_e32 v60, v60, v74
	v_add_f32_e32 v70, v80, v70
	s_waitcnt lgkmcnt(10)
	v_add_f32_e32 v58, v58, v73
	ds_bpermute_b32 v78, v82, v54
	ds_bpermute_b32 v69, v88, v53
	;; [unrolled: 1-line block ×4, first 2 shown]
	s_waitcnt lgkmcnt(10)
	v_add_f32_e32 v62, v62, v75
	s_waitcnt lgkmcnt(9)
	v_add_f32_e32 v67, v77, v67
	;; [unrolled: 2-line block ×3, first 2 shown]
	ds_bpermute_b32 v81, v88, v63
	ds_bpermute_b32 v84, v88, v62
	s_waitcnt lgkmcnt(9)
	v_add_f32_e32 v66, v66, v79
	ds_bpermute_b32 v77, v82, v47
	ds_bpermute_b32 v80, v82, v67
	s_waitcnt lgkmcnt(10)
	v_add_f32_e32 v71, v50, v71
	ds_bpermute_b32 v50, v82, v70
	ds_bpermute_b32 v86, v88, v66
	;; [unrolled: 1-line block ×3, first 2 shown]
	s_waitcnt lgkmcnt(11)
	v_add_f32_e32 v82, v52, v45
	v_add_f32_e32 v45, v48, v56
	;; [unrolled: 1-line block ×5, first 2 shown]
	s_waitcnt lgkmcnt(8)
	v_add_f32_e32 v55, v60, v83
	v_add_f32_e32 v78, v54, v78
	ds_bpermute_b32 v52, v88, v71
	ds_bpermute_b32 v75, v88, v82
	;; [unrolled: 1-line block ×3, first 2 shown]
	v_add_f32_e32 v46, v49, v57
	s_waitcnt lgkmcnt(9)
	v_add_f32_e32 v51, v63, v81
	s_waitcnt lgkmcnt(8)
	v_add_f32_e32 v56, v62, v84
	s_clause 0x1
	buffer_load_dword v63, off, s[36:39], 0 offset:896
	buffer_load_dword v62, off, s[36:39], 0 offset:908
	s_waitcnt lgkmcnt(7)
	v_add_f32_e32 v77, v47, v77
	s_waitcnt lgkmcnt(6)
	v_add_f32_e32 v67, v67, v80
	;; [unrolled: 2-line block ×4, first 2 shown]
	buffer_load_dword v66, off, s[36:39], 0 offset:912 ; 4-byte Folded Reload
	s_waitcnt lgkmcnt(3)
	v_add_f32_e32 v72, v72, v73
	ds_bpermute_b32 v80, v88, v77
	ds_bpermute_b32 v85, v88, v78
	;; [unrolled: 1-line block ×5, first 2 shown]
	v_add_f32_e32 v49, v65, v68
	v_add_f32_e32 v47, v59, v61
	;; [unrolled: 1-line block ×3, first 2 shown]
	s_waitcnt lgkmcnt(7)
	v_add_f32_e32 v52, v71, v52
	v_add_f32_e32 v53, v58, v74
	s_waitcnt lgkmcnt(6)
	v_add_f32_e32 v54, v82, v75
	s_waitcnt lgkmcnt(5)
	v_add_f32_e32 v57, v76, v79
	s_waitcnt vmcnt(0) lgkmcnt(0)
	s_waitcnt_vscnt null, 0x0
	s_barrier
	buffer_gl0_inv
	v_add_f32_e32 v58, v77, v80
	v_add_f32_e32 v59, v78, v85
	;; [unrolled: 1-line block ×3, first 2 shown]
	v_and_b32_e32 v65, 7, v63
	v_lshrrev_b32_e32 v64, 3, v62
	v_add_f32_e32 v62, v70, v73
	v_and_b32_e32 v67, 0x3c0, v63
	v_add_f32_e32 v63, v72, v88
	v_cmp_eq_u32_e32 vcc_lo, 0, v65
	v_lshl_add_u32 v65, v64, 2, 0x420
	v_lshlrev_b32_e32 v66, 10, v66
	v_cmpx_eq_u32_e32 64, v67
	s_cbranch_execz .LBB53_158
; %bb.156:
	s_and_b32 exec_lo, exec_lo, vcc_lo
	s_cbranch_execz .LBB53_158
; %bb.157:
	v_add_nc_u32_e32 v67, v65, v66
	v_add_nc_u32_e32 v68, 0xfffff800, v67
	;; [unrolled: 1-line block ×7, first 2 shown]
	ds_write_b32 v68, v0
	ds_write_b32 v69, v1
	;; [unrolled: 1-line block ×4, first 2 shown]
	v_add_nc_u32_e32 v68, 0xfffff860, v67
	v_add_nc_u32_e32 v69, 0xfffff870, v67
	v_add_nc_u32_e32 v70, 0xfffff880, v67
	ds_write_b32 v72, v4
	ds_write_b32 v73, v5
	ds_write_b32 v68, v6
	ds_write_b32 v69, v7
	ds_write_b32 v70, v8
	v_add_nc_u32_e32 v68, 0xfffff890, v67
	v_add_nc_u32_e32 v69, 0xfffff8a0, v67
	v_add_nc_u32_e32 v70, 0xfffff8b0, v67
	v_add_nc_u32_e32 v71, 0xfffff8c0, v67
	v_add_nc_u32_e32 v72, 0xfffff8d0, v67
	ds_write_b32 v68, v9
	ds_write_b32 v69, v10
	ds_write_b32 v70, v11
	ds_write_b32 v71, v12
	ds_write_b32 v72, v13
	v_add_nc_u32_e32 v68, 0xfffff8e0, v67
	v_add_nc_u32_e32 v69, 0xfffff8f0, v67
	;; [unrolled: 10-line block ×11, first 2 shown]
	v_add_nc_u32_e32 v70, 0xfffffbd0, v67
	v_add_nc_u32_e32 v71, 0xfffffbe0, v67
	;; [unrolled: 1-line block ×3, first 2 shown]
	ds_write_b32 v68, v59
	ds_write_b32 v69, v60
	;; [unrolled: 1-line block ×5, first 2 shown]
.LBB53_158:
	s_or_b32 exec_lo, exec_lo, s2
	v_lshlrev_b32_e32 v64, 2, v64
	s_waitcnt lgkmcnt(0)
	s_barrier
	buffer_gl0_inv
	v_add3_u32 v64, 0x420, v66, v64
	s_and_saveexec_b32 s1, s0
	s_cbranch_execz .LBB53_225
; %bb.159:
	s_and_saveexec_b32 s0, vcc_lo
	s_cbranch_execnz .LBB53_297
; %bb.160:
	s_or_b32 exec_lo, exec_lo, s0
	s_and_saveexec_b32 s0, vcc_lo
	s_cbranch_execnz .LBB53_298
.LBB53_161:
	s_or_b32 exec_lo, exec_lo, s0
	s_and_saveexec_b32 s0, vcc_lo
	s_cbranch_execnz .LBB53_299
.LBB53_162:
	s_or_b32 exec_lo, exec_lo, s0
	s_and_saveexec_b32 s0, vcc_lo
	s_cbranch_execnz .LBB53_300
.LBB53_163:
	s_or_b32 exec_lo, exec_lo, s0
	s_and_saveexec_b32 s0, vcc_lo
	s_cbranch_execnz .LBB53_301
.LBB53_164:
	s_or_b32 exec_lo, exec_lo, s0
	s_and_saveexec_b32 s0, vcc_lo
	s_cbranch_execnz .LBB53_302
.LBB53_165:
	s_or_b32 exec_lo, exec_lo, s0
	s_and_saveexec_b32 s0, vcc_lo
	s_cbranch_execnz .LBB53_303
.LBB53_166:
	s_or_b32 exec_lo, exec_lo, s0
	s_and_saveexec_b32 s0, vcc_lo
	s_cbranch_execnz .LBB53_304
.LBB53_167:
	s_or_b32 exec_lo, exec_lo, s0
	s_and_saveexec_b32 s0, vcc_lo
	s_cbranch_execnz .LBB53_305
.LBB53_168:
	s_or_b32 exec_lo, exec_lo, s0
	s_and_saveexec_b32 s0, vcc_lo
	s_cbranch_execnz .LBB53_306
.LBB53_169:
	s_or_b32 exec_lo, exec_lo, s0
	s_and_saveexec_b32 s0, vcc_lo
	s_cbranch_execnz .LBB53_307
.LBB53_170:
	s_or_b32 exec_lo, exec_lo, s0
	s_and_saveexec_b32 s0, vcc_lo
	s_cbranch_execnz .LBB53_308
.LBB53_171:
	s_or_b32 exec_lo, exec_lo, s0
	s_and_saveexec_b32 s0, vcc_lo
	s_cbranch_execnz .LBB53_309
.LBB53_172:
	s_or_b32 exec_lo, exec_lo, s0
	s_and_saveexec_b32 s0, vcc_lo
	s_cbranch_execnz .LBB53_310
.LBB53_173:
	s_or_b32 exec_lo, exec_lo, s0
	s_and_saveexec_b32 s0, vcc_lo
	s_cbranch_execnz .LBB53_311
.LBB53_174:
	s_or_b32 exec_lo, exec_lo, s0
	s_and_saveexec_b32 s0, vcc_lo
	s_cbranch_execnz .LBB53_312
.LBB53_175:
	s_or_b32 exec_lo, exec_lo, s0
	s_and_saveexec_b32 s0, vcc_lo
	s_cbranch_execnz .LBB53_313
.LBB53_176:
	s_or_b32 exec_lo, exec_lo, s0
	s_and_saveexec_b32 s0, vcc_lo
	s_cbranch_execnz .LBB53_314
.LBB53_177:
	s_or_b32 exec_lo, exec_lo, s0
	s_and_saveexec_b32 s0, vcc_lo
	s_cbranch_execnz .LBB53_315
.LBB53_178:
	s_or_b32 exec_lo, exec_lo, s0
	s_and_saveexec_b32 s0, vcc_lo
	s_cbranch_execnz .LBB53_316
.LBB53_179:
	s_or_b32 exec_lo, exec_lo, s0
	s_and_saveexec_b32 s0, vcc_lo
	s_cbranch_execnz .LBB53_317
.LBB53_180:
	s_or_b32 exec_lo, exec_lo, s0
	s_and_saveexec_b32 s0, vcc_lo
	s_cbranch_execnz .LBB53_318
.LBB53_181:
	s_or_b32 exec_lo, exec_lo, s0
	s_and_saveexec_b32 s0, vcc_lo
	s_cbranch_execnz .LBB53_319
.LBB53_182:
	s_or_b32 exec_lo, exec_lo, s0
	s_and_saveexec_b32 s0, vcc_lo
	s_cbranch_execnz .LBB53_320
.LBB53_183:
	s_or_b32 exec_lo, exec_lo, s0
	s_and_saveexec_b32 s0, vcc_lo
	s_cbranch_execnz .LBB53_321
.LBB53_184:
	s_or_b32 exec_lo, exec_lo, s0
	s_and_saveexec_b32 s0, vcc_lo
	s_cbranch_execnz .LBB53_322
.LBB53_185:
	s_or_b32 exec_lo, exec_lo, s0
	s_and_saveexec_b32 s0, vcc_lo
	s_cbranch_execnz .LBB53_323
.LBB53_186:
	s_or_b32 exec_lo, exec_lo, s0
	s_and_saveexec_b32 s0, vcc_lo
	s_cbranch_execnz .LBB53_324
.LBB53_187:
	s_or_b32 exec_lo, exec_lo, s0
	s_and_saveexec_b32 s0, vcc_lo
	s_cbranch_execnz .LBB53_325
.LBB53_188:
	s_or_b32 exec_lo, exec_lo, s0
	s_and_saveexec_b32 s0, vcc_lo
	s_cbranch_execnz .LBB53_326
.LBB53_189:
	s_or_b32 exec_lo, exec_lo, s0
	s_and_saveexec_b32 s0, vcc_lo
	s_cbranch_execnz .LBB53_327
.LBB53_190:
	s_or_b32 exec_lo, exec_lo, s0
	s_and_saveexec_b32 s0, vcc_lo
	s_cbranch_execnz .LBB53_328
.LBB53_191:
	s_or_b32 exec_lo, exec_lo, s0
	s_and_saveexec_b32 s0, vcc_lo
	s_cbranch_execnz .LBB53_329
.LBB53_192:
	s_or_b32 exec_lo, exec_lo, s0
	s_and_saveexec_b32 s0, vcc_lo
	s_cbranch_execnz .LBB53_330
.LBB53_193:
	s_or_b32 exec_lo, exec_lo, s0
	s_and_saveexec_b32 s0, vcc_lo
	s_cbranch_execnz .LBB53_331
.LBB53_194:
	s_or_b32 exec_lo, exec_lo, s0
	s_and_saveexec_b32 s0, vcc_lo
	s_cbranch_execnz .LBB53_332
.LBB53_195:
	s_or_b32 exec_lo, exec_lo, s0
	s_and_saveexec_b32 s0, vcc_lo
	s_cbranch_execnz .LBB53_333
.LBB53_196:
	s_or_b32 exec_lo, exec_lo, s0
	s_and_saveexec_b32 s0, vcc_lo
	s_cbranch_execnz .LBB53_334
.LBB53_197:
	s_or_b32 exec_lo, exec_lo, s0
	s_and_saveexec_b32 s0, vcc_lo
	s_cbranch_execnz .LBB53_335
.LBB53_198:
	s_or_b32 exec_lo, exec_lo, s0
	s_and_saveexec_b32 s0, vcc_lo
	s_cbranch_execnz .LBB53_336
.LBB53_199:
	s_or_b32 exec_lo, exec_lo, s0
	s_and_saveexec_b32 s0, vcc_lo
	s_cbranch_execnz .LBB53_337
.LBB53_200:
	s_or_b32 exec_lo, exec_lo, s0
	s_and_saveexec_b32 s0, vcc_lo
	s_cbranch_execnz .LBB53_338
.LBB53_201:
	s_or_b32 exec_lo, exec_lo, s0
	s_and_saveexec_b32 s0, vcc_lo
	s_cbranch_execnz .LBB53_339
.LBB53_202:
	s_or_b32 exec_lo, exec_lo, s0
	s_and_saveexec_b32 s0, vcc_lo
	s_cbranch_execnz .LBB53_340
.LBB53_203:
	s_or_b32 exec_lo, exec_lo, s0
	s_and_saveexec_b32 s0, vcc_lo
	s_cbranch_execnz .LBB53_341
.LBB53_204:
	s_or_b32 exec_lo, exec_lo, s0
	s_and_saveexec_b32 s0, vcc_lo
	s_cbranch_execnz .LBB53_342
.LBB53_205:
	s_or_b32 exec_lo, exec_lo, s0
	s_and_saveexec_b32 s0, vcc_lo
	s_cbranch_execnz .LBB53_343
.LBB53_206:
	s_or_b32 exec_lo, exec_lo, s0
	s_and_saveexec_b32 s0, vcc_lo
	s_cbranch_execnz .LBB53_344
.LBB53_207:
	s_or_b32 exec_lo, exec_lo, s0
	s_and_saveexec_b32 s0, vcc_lo
	s_cbranch_execnz .LBB53_345
.LBB53_208:
	s_or_b32 exec_lo, exec_lo, s0
	s_and_saveexec_b32 s0, vcc_lo
	s_cbranch_execnz .LBB53_346
.LBB53_209:
	s_or_b32 exec_lo, exec_lo, s0
	s_and_saveexec_b32 s0, vcc_lo
	s_cbranch_execnz .LBB53_347
.LBB53_210:
	s_or_b32 exec_lo, exec_lo, s0
	s_and_saveexec_b32 s0, vcc_lo
	s_cbranch_execnz .LBB53_348
.LBB53_211:
	s_or_b32 exec_lo, exec_lo, s0
	s_and_saveexec_b32 s0, vcc_lo
	s_cbranch_execnz .LBB53_349
.LBB53_212:
	s_or_b32 exec_lo, exec_lo, s0
	s_and_saveexec_b32 s0, vcc_lo
	s_cbranch_execnz .LBB53_350
.LBB53_213:
	s_or_b32 exec_lo, exec_lo, s0
	s_and_saveexec_b32 s0, vcc_lo
	s_cbranch_execnz .LBB53_351
.LBB53_214:
	s_or_b32 exec_lo, exec_lo, s0
	s_and_saveexec_b32 s0, vcc_lo
	s_cbranch_execnz .LBB53_352
.LBB53_215:
	s_or_b32 exec_lo, exec_lo, s0
	s_and_saveexec_b32 s0, vcc_lo
	s_cbranch_execnz .LBB53_353
.LBB53_216:
	s_or_b32 exec_lo, exec_lo, s0
	s_and_saveexec_b32 s0, vcc_lo
	s_cbranch_execnz .LBB53_354
.LBB53_217:
	s_or_b32 exec_lo, exec_lo, s0
	s_and_saveexec_b32 s0, vcc_lo
	s_cbranch_execnz .LBB53_355
.LBB53_218:
	s_or_b32 exec_lo, exec_lo, s0
	s_and_saveexec_b32 s0, vcc_lo
	s_cbranch_execnz .LBB53_356
.LBB53_219:
	s_or_b32 exec_lo, exec_lo, s0
	s_and_saveexec_b32 s0, vcc_lo
	s_cbranch_execnz .LBB53_357
.LBB53_220:
	s_or_b32 exec_lo, exec_lo, s0
	s_and_saveexec_b32 s0, vcc_lo
	s_cbranch_execnz .LBB53_358
.LBB53_221:
	s_or_b32 exec_lo, exec_lo, s0
	s_and_saveexec_b32 s0, vcc_lo
	s_cbranch_execnz .LBB53_359
.LBB53_222:
	s_or_b32 exec_lo, exec_lo, s0
	s_and_saveexec_b32 s0, vcc_lo
	s_cbranch_execz .LBB53_224
.LBB53_223:
	ds_read_b32 v66, v64 offset:1008
	s_waitcnt lgkmcnt(0)
	v_add_f32_e32 v63, v63, v66
.LBB53_224:
	s_or_b32 exec_lo, exec_lo, s0
.LBB53_225:
	s_or_b32 exec_lo, exec_lo, s1
	buffer_load_dword v66, off, s[36:39], 0 offset:896 ; 4-byte Folded Reload
	s_mov_b32 s1, exec_lo
	s_waitcnt vmcnt(0)
	s_barrier
	buffer_gl0_inv
	v_and_b32_e32 v66, 0x3e7, v66
	v_cmpx_eq_u32_e32 32, v66
	s_cbranch_execz .LBB53_227
; %bb.226:
	ds_write2_b32 v65, v0, v1 offset1:4
	ds_write2_b32 v65, v2, v3 offset0:8 offset1:12
	ds_write2_b32 v65, v4, v5 offset0:16 offset1:20
	;; [unrolled: 1-line block ×31, first 2 shown]
.LBB53_227:
	s_or_b32 exec_lo, exec_lo, s1
	buffer_load_dword v65, off, s[36:39], 0 offset:896 ; 4-byte Folded Reload
	s_mov_b32 s1, exec_lo
	s_waitcnt vmcnt(0) lgkmcnt(0)
	s_barrier
	buffer_gl0_inv
	v_cmpx_gt_u32_e32 32, v65
	s_cbranch_execz .LBB53_294
; %bb.228:
	s_and_saveexec_b32 s0, vcc_lo
	s_cbranch_execnz .LBB53_360
; %bb.229:
	s_or_b32 exec_lo, exec_lo, s0
	s_and_saveexec_b32 s0, vcc_lo
	s_cbranch_execnz .LBB53_361
.LBB53_230:
	s_or_b32 exec_lo, exec_lo, s0
	s_and_saveexec_b32 s0, vcc_lo
	s_cbranch_execnz .LBB53_362
.LBB53_231:
	s_or_b32 exec_lo, exec_lo, s0
	s_and_saveexec_b32 s0, vcc_lo
	s_cbranch_execnz .LBB53_363
.LBB53_232:
	s_or_b32 exec_lo, exec_lo, s0
	s_and_saveexec_b32 s0, vcc_lo
	s_cbranch_execnz .LBB53_364
.LBB53_233:
	s_or_b32 exec_lo, exec_lo, s0
	s_and_saveexec_b32 s0, vcc_lo
	s_cbranch_execnz .LBB53_365
.LBB53_234:
	s_or_b32 exec_lo, exec_lo, s0
	s_and_saveexec_b32 s0, vcc_lo
	s_cbranch_execnz .LBB53_366
.LBB53_235:
	s_or_b32 exec_lo, exec_lo, s0
	s_and_saveexec_b32 s0, vcc_lo
	s_cbranch_execnz .LBB53_367
.LBB53_236:
	s_or_b32 exec_lo, exec_lo, s0
	s_and_saveexec_b32 s0, vcc_lo
	s_cbranch_execnz .LBB53_368
.LBB53_237:
	s_or_b32 exec_lo, exec_lo, s0
	s_and_saveexec_b32 s0, vcc_lo
	s_cbranch_execnz .LBB53_369
.LBB53_238:
	s_or_b32 exec_lo, exec_lo, s0
	s_and_saveexec_b32 s0, vcc_lo
	s_cbranch_execnz .LBB53_370
.LBB53_239:
	s_or_b32 exec_lo, exec_lo, s0
	s_and_saveexec_b32 s0, vcc_lo
	s_cbranch_execnz .LBB53_371
.LBB53_240:
	s_or_b32 exec_lo, exec_lo, s0
	s_and_saveexec_b32 s0, vcc_lo
	s_cbranch_execnz .LBB53_372
.LBB53_241:
	s_or_b32 exec_lo, exec_lo, s0
	s_and_saveexec_b32 s0, vcc_lo
	s_cbranch_execnz .LBB53_373
.LBB53_242:
	s_or_b32 exec_lo, exec_lo, s0
	s_and_saveexec_b32 s0, vcc_lo
	s_cbranch_execnz .LBB53_374
.LBB53_243:
	s_or_b32 exec_lo, exec_lo, s0
	s_and_saveexec_b32 s0, vcc_lo
	s_cbranch_execnz .LBB53_375
.LBB53_244:
	s_or_b32 exec_lo, exec_lo, s0
	s_and_saveexec_b32 s0, vcc_lo
	s_cbranch_execnz .LBB53_376
.LBB53_245:
	s_or_b32 exec_lo, exec_lo, s0
	s_and_saveexec_b32 s0, vcc_lo
	s_cbranch_execnz .LBB53_377
.LBB53_246:
	s_or_b32 exec_lo, exec_lo, s0
	s_and_saveexec_b32 s0, vcc_lo
	s_cbranch_execnz .LBB53_378
.LBB53_247:
	s_or_b32 exec_lo, exec_lo, s0
	s_and_saveexec_b32 s0, vcc_lo
	s_cbranch_execnz .LBB53_379
.LBB53_248:
	s_or_b32 exec_lo, exec_lo, s0
	s_and_saveexec_b32 s0, vcc_lo
	s_cbranch_execnz .LBB53_380
.LBB53_249:
	s_or_b32 exec_lo, exec_lo, s0
	s_and_saveexec_b32 s0, vcc_lo
	s_cbranch_execnz .LBB53_381
.LBB53_250:
	s_or_b32 exec_lo, exec_lo, s0
	s_and_saveexec_b32 s0, vcc_lo
	s_cbranch_execnz .LBB53_382
.LBB53_251:
	s_or_b32 exec_lo, exec_lo, s0
	s_and_saveexec_b32 s0, vcc_lo
	s_cbranch_execnz .LBB53_383
.LBB53_252:
	s_or_b32 exec_lo, exec_lo, s0
	s_and_saveexec_b32 s0, vcc_lo
	s_cbranch_execnz .LBB53_384
.LBB53_253:
	s_or_b32 exec_lo, exec_lo, s0
	s_and_saveexec_b32 s0, vcc_lo
	s_cbranch_execnz .LBB53_385
.LBB53_254:
	s_or_b32 exec_lo, exec_lo, s0
	s_and_saveexec_b32 s0, vcc_lo
	s_cbranch_execnz .LBB53_386
.LBB53_255:
	s_or_b32 exec_lo, exec_lo, s0
	s_and_saveexec_b32 s0, vcc_lo
	s_cbranch_execnz .LBB53_387
.LBB53_256:
	s_or_b32 exec_lo, exec_lo, s0
	s_and_saveexec_b32 s0, vcc_lo
	s_cbranch_execnz .LBB53_388
.LBB53_257:
	s_or_b32 exec_lo, exec_lo, s0
	s_and_saveexec_b32 s0, vcc_lo
	s_cbranch_execnz .LBB53_389
.LBB53_258:
	s_or_b32 exec_lo, exec_lo, s0
	s_and_saveexec_b32 s0, vcc_lo
	s_cbranch_execnz .LBB53_390
.LBB53_259:
	s_or_b32 exec_lo, exec_lo, s0
	s_and_saveexec_b32 s0, vcc_lo
	s_cbranch_execnz .LBB53_391
.LBB53_260:
	s_or_b32 exec_lo, exec_lo, s0
	s_and_saveexec_b32 s0, vcc_lo
	s_cbranch_execnz .LBB53_392
.LBB53_261:
	s_or_b32 exec_lo, exec_lo, s0
	s_and_saveexec_b32 s0, vcc_lo
	s_cbranch_execnz .LBB53_393
.LBB53_262:
	s_or_b32 exec_lo, exec_lo, s0
	s_and_saveexec_b32 s0, vcc_lo
	s_cbranch_execnz .LBB53_394
.LBB53_263:
	s_or_b32 exec_lo, exec_lo, s0
	s_and_saveexec_b32 s0, vcc_lo
	s_cbranch_execnz .LBB53_395
.LBB53_264:
	s_or_b32 exec_lo, exec_lo, s0
	s_and_saveexec_b32 s0, vcc_lo
	s_cbranch_execnz .LBB53_396
.LBB53_265:
	s_or_b32 exec_lo, exec_lo, s0
	s_and_saveexec_b32 s0, vcc_lo
	s_cbranch_execnz .LBB53_397
.LBB53_266:
	s_or_b32 exec_lo, exec_lo, s0
	s_and_saveexec_b32 s0, vcc_lo
	s_cbranch_execnz .LBB53_398
.LBB53_267:
	s_or_b32 exec_lo, exec_lo, s0
	s_and_saveexec_b32 s0, vcc_lo
	s_cbranch_execnz .LBB53_399
.LBB53_268:
	s_or_b32 exec_lo, exec_lo, s0
	s_and_saveexec_b32 s0, vcc_lo
	s_cbranch_execnz .LBB53_400
.LBB53_269:
	s_or_b32 exec_lo, exec_lo, s0
	s_and_saveexec_b32 s0, vcc_lo
	s_cbranch_execnz .LBB53_401
.LBB53_270:
	s_or_b32 exec_lo, exec_lo, s0
	s_and_saveexec_b32 s0, vcc_lo
	s_cbranch_execnz .LBB53_402
.LBB53_271:
	s_or_b32 exec_lo, exec_lo, s0
	s_and_saveexec_b32 s0, vcc_lo
	s_cbranch_execnz .LBB53_403
.LBB53_272:
	s_or_b32 exec_lo, exec_lo, s0
	s_and_saveexec_b32 s0, vcc_lo
	s_cbranch_execnz .LBB53_404
.LBB53_273:
	s_or_b32 exec_lo, exec_lo, s0
	s_and_saveexec_b32 s0, vcc_lo
	s_cbranch_execnz .LBB53_405
.LBB53_274:
	s_or_b32 exec_lo, exec_lo, s0
	s_and_saveexec_b32 s0, vcc_lo
	s_cbranch_execnz .LBB53_406
.LBB53_275:
	s_or_b32 exec_lo, exec_lo, s0
	s_and_saveexec_b32 s0, vcc_lo
	s_cbranch_execnz .LBB53_407
.LBB53_276:
	s_or_b32 exec_lo, exec_lo, s0
	s_and_saveexec_b32 s0, vcc_lo
	s_cbranch_execnz .LBB53_408
.LBB53_277:
	s_or_b32 exec_lo, exec_lo, s0
	s_and_saveexec_b32 s0, vcc_lo
	s_cbranch_execnz .LBB53_409
.LBB53_278:
	s_or_b32 exec_lo, exec_lo, s0
	s_and_saveexec_b32 s0, vcc_lo
	s_cbranch_execnz .LBB53_410
.LBB53_279:
	s_or_b32 exec_lo, exec_lo, s0
	s_and_saveexec_b32 s0, vcc_lo
	s_cbranch_execnz .LBB53_411
.LBB53_280:
	s_or_b32 exec_lo, exec_lo, s0
	s_and_saveexec_b32 s0, vcc_lo
	s_cbranch_execnz .LBB53_412
.LBB53_281:
	s_or_b32 exec_lo, exec_lo, s0
	s_and_saveexec_b32 s0, vcc_lo
	s_cbranch_execnz .LBB53_413
.LBB53_282:
	s_or_b32 exec_lo, exec_lo, s0
	s_and_saveexec_b32 s0, vcc_lo
	s_cbranch_execnz .LBB53_414
.LBB53_283:
	s_or_b32 exec_lo, exec_lo, s0
	s_and_saveexec_b32 s0, vcc_lo
	s_cbranch_execnz .LBB53_415
.LBB53_284:
	s_or_b32 exec_lo, exec_lo, s0
	s_and_saveexec_b32 s0, vcc_lo
	s_cbranch_execnz .LBB53_416
.LBB53_285:
	s_or_b32 exec_lo, exec_lo, s0
	s_and_saveexec_b32 s0, vcc_lo
	s_cbranch_execnz .LBB53_417
.LBB53_286:
	s_or_b32 exec_lo, exec_lo, s0
	s_and_saveexec_b32 s0, vcc_lo
	s_cbranch_execnz .LBB53_418
.LBB53_287:
	s_or_b32 exec_lo, exec_lo, s0
	s_and_saveexec_b32 s0, vcc_lo
	s_cbranch_execnz .LBB53_419
.LBB53_288:
	s_or_b32 exec_lo, exec_lo, s0
	s_and_saveexec_b32 s0, vcc_lo
	s_cbranch_execnz .LBB53_420
.LBB53_289:
	s_or_b32 exec_lo, exec_lo, s0
	s_and_saveexec_b32 s0, vcc_lo
	s_cbranch_execnz .LBB53_421
.LBB53_290:
	s_or_b32 exec_lo, exec_lo, s0
	s_and_saveexec_b32 s0, vcc_lo
	s_cbranch_execnz .LBB53_422
.LBB53_291:
	s_or_b32 exec_lo, exec_lo, s0
	s_and_saveexec_b32 s0, vcc_lo
	s_cbranch_execz .LBB53_293
.LBB53_292:
	ds_read_b32 v64, v64 offset:1008
	s_waitcnt lgkmcnt(0)
	v_add_f32_e32 v63, v63, v64
.LBB53_293:
	s_or_b32 exec_lo, exec_lo, s0
.LBB53_294:
	s_or_b32 exec_lo, exec_lo, s1
	s_barrier
	buffer_gl0_inv
	s_mov_b32 s0, exec_lo
	v_cmpx_eq_u32_e32 0, v66
	s_cbranch_execz .LBB53_296
; %bb.295:
	buffer_load_dword v64, off, s[36:39], 0 offset:896 ; 4-byte Folded Reload
	s_mul_i32 s0, s10, s7
	s_mul_i32 s2, s7, s6
	;; [unrolled: 1-line block ×3, first 2 shown]
	s_lshl_b32 s0, s0, 8
	s_ashr_i32 s1, s0, 31
	s_lshl_b64 s[0:1], s[0:1], 2
	s_add_u32 s4, s16, s0
	s_addc_u32 s5, s17, s1
	s_ashr_i32 s3, s2, 31
	s_lshl_b64 s[0:1], s[2:3], 2
	s_add_u32 s2, s4, s0
	s_addc_u32 s3, s5, s1
	s_lshl_b32 s0, s8, 8
	s_ashr_i32 s1, s0, 31
	s_lshl_b64 s[0:1], s[0:1], 2
	s_add_u32 s0, s2, s0
	s_addc_u32 s1, s3, s1
	s_waitcnt vmcnt(0)
	v_lshrrev_b32_e32 v64, 1, v64
	global_store_dword v64, v0, s[0:1]
	global_store_dword v64, v1, s[0:1] offset:16
	global_store_dword v64, v2, s[0:1] offset:32
	global_store_dword v64, v3, s[0:1] offset:48
	global_store_dword v64, v4, s[0:1] offset:64
	global_store_dword v64, v5, s[0:1] offset:80
	global_store_dword v64, v6, s[0:1] offset:96
	global_store_dword v64, v7, s[0:1] offset:112
	global_store_dword v64, v8, s[0:1] offset:128
	global_store_dword v64, v9, s[0:1] offset:144
	global_store_dword v64, v10, s[0:1] offset:160
	global_store_dword v64, v11, s[0:1] offset:176
	global_store_dword v64, v12, s[0:1] offset:192
	global_store_dword v64, v13, s[0:1] offset:208
	global_store_dword v64, v14, s[0:1] offset:224
	global_store_dword v64, v15, s[0:1] offset:240
	global_store_dword v64, v16, s[0:1] offset:256
	global_store_dword v64, v17, s[0:1] offset:272
	global_store_dword v64, v18, s[0:1] offset:288
	global_store_dword v64, v19, s[0:1] offset:304
	global_store_dword v64, v20, s[0:1] offset:320
	global_store_dword v64, v21, s[0:1] offset:336
	global_store_dword v64, v22, s[0:1] offset:352
	global_store_dword v64, v23, s[0:1] offset:368
	global_store_dword v64, v24, s[0:1] offset:384
	global_store_dword v64, v25, s[0:1] offset:400
	global_store_dword v64, v26, s[0:1] offset:416
	global_store_dword v64, v27, s[0:1] offset:432
	global_store_dword v64, v28, s[0:1] offset:448
	global_store_dword v64, v29, s[0:1] offset:464
	global_store_dword v64, v30, s[0:1] offset:480
	global_store_dword v64, v31, s[0:1] offset:496
	global_store_dword v64, v32, s[0:1] offset:512
	global_store_dword v64, v33, s[0:1] offset:528
	global_store_dword v64, v34, s[0:1] offset:544
	global_store_dword v64, v35, s[0:1] offset:560
	global_store_dword v64, v36, s[0:1] offset:576
	global_store_dword v64, v37, s[0:1] offset:592
	global_store_dword v64, v38, s[0:1] offset:608
	global_store_dword v64, v39, s[0:1] offset:624
	global_store_dword v64, v40, s[0:1] offset:640
	global_store_dword v64, v41, s[0:1] offset:656
	global_store_dword v64, v42, s[0:1] offset:672
	global_store_dword v64, v43, s[0:1] offset:688
	global_store_dword v64, v44, s[0:1] offset:704
	global_store_dword v64, v45, s[0:1] offset:720
	global_store_dword v64, v46, s[0:1] offset:736
	global_store_dword v64, v47, s[0:1] offset:752
	global_store_dword v64, v48, s[0:1] offset:768
	global_store_dword v64, v49, s[0:1] offset:784
	global_store_dword v64, v50, s[0:1] offset:800
	global_store_dword v64, v51, s[0:1] offset:816
	global_store_dword v64, v52, s[0:1] offset:832
	global_store_dword v64, v53, s[0:1] offset:848
	global_store_dword v64, v54, s[0:1] offset:864
	global_store_dword v64, v55, s[0:1] offset:880
	global_store_dword v64, v56, s[0:1] offset:896
	global_store_dword v64, v57, s[0:1] offset:912
	global_store_dword v64, v58, s[0:1] offset:928
	global_store_dword v64, v59, s[0:1] offset:944
	global_store_dword v64, v60, s[0:1] offset:960
	global_store_dword v64, v61, s[0:1] offset:976
	global_store_dword v64, v62, s[0:1] offset:992
	global_store_dword v64, v63, s[0:1] offset:1008
.LBB53_296:
	s_endpgm
.LBB53_297:
	ds_read_b32 v66, v64
	s_waitcnt lgkmcnt(0)
	v_add_f32_e32 v0, v0, v66
	s_or_b32 exec_lo, exec_lo, s0
	s_and_saveexec_b32 s0, vcc_lo
	s_cbranch_execz .LBB53_161
.LBB53_298:
	ds_read_b32 v66, v64 offset:16
	s_waitcnt lgkmcnt(0)
	v_add_f32_e32 v1, v1, v66
	s_or_b32 exec_lo, exec_lo, s0
	s_and_saveexec_b32 s0, vcc_lo
	s_cbranch_execz .LBB53_162
.LBB53_299:
	ds_read_b32 v66, v64 offset:32
	s_waitcnt lgkmcnt(0)
	v_add_f32_e32 v2, v2, v66
	s_or_b32 exec_lo, exec_lo, s0
	s_and_saveexec_b32 s0, vcc_lo
	s_cbranch_execz .LBB53_163
.LBB53_300:
	ds_read_b32 v66, v64 offset:48
	s_waitcnt lgkmcnt(0)
	v_add_f32_e32 v3, v3, v66
	s_or_b32 exec_lo, exec_lo, s0
	s_and_saveexec_b32 s0, vcc_lo
	s_cbranch_execz .LBB53_164
.LBB53_301:
	ds_read_b32 v66, v64 offset:64
	s_waitcnt lgkmcnt(0)
	v_add_f32_e32 v4, v4, v66
	s_or_b32 exec_lo, exec_lo, s0
	s_and_saveexec_b32 s0, vcc_lo
	s_cbranch_execz .LBB53_165
.LBB53_302:
	ds_read_b32 v66, v64 offset:80
	s_waitcnt lgkmcnt(0)
	v_add_f32_e32 v5, v5, v66
	s_or_b32 exec_lo, exec_lo, s0
	s_and_saveexec_b32 s0, vcc_lo
	s_cbranch_execz .LBB53_166
.LBB53_303:
	ds_read_b32 v66, v64 offset:96
	s_waitcnt lgkmcnt(0)
	v_add_f32_e32 v6, v6, v66
	s_or_b32 exec_lo, exec_lo, s0
	s_and_saveexec_b32 s0, vcc_lo
	s_cbranch_execz .LBB53_167
.LBB53_304:
	ds_read_b32 v66, v64 offset:112
	s_waitcnt lgkmcnt(0)
	v_add_f32_e32 v7, v7, v66
	s_or_b32 exec_lo, exec_lo, s0
	s_and_saveexec_b32 s0, vcc_lo
	s_cbranch_execz .LBB53_168
.LBB53_305:
	ds_read_b32 v66, v64 offset:128
	s_waitcnt lgkmcnt(0)
	v_add_f32_e32 v8, v8, v66
	s_or_b32 exec_lo, exec_lo, s0
	s_and_saveexec_b32 s0, vcc_lo
	s_cbranch_execz .LBB53_169
.LBB53_306:
	ds_read_b32 v66, v64 offset:144
	s_waitcnt lgkmcnt(0)
	v_add_f32_e32 v9, v9, v66
	s_or_b32 exec_lo, exec_lo, s0
	s_and_saveexec_b32 s0, vcc_lo
	s_cbranch_execz .LBB53_170
.LBB53_307:
	ds_read_b32 v66, v64 offset:160
	s_waitcnt lgkmcnt(0)
	v_add_f32_e32 v10, v10, v66
	s_or_b32 exec_lo, exec_lo, s0
	s_and_saveexec_b32 s0, vcc_lo
	s_cbranch_execz .LBB53_171
.LBB53_308:
	ds_read_b32 v66, v64 offset:176
	s_waitcnt lgkmcnt(0)
	v_add_f32_e32 v11, v11, v66
	s_or_b32 exec_lo, exec_lo, s0
	s_and_saveexec_b32 s0, vcc_lo
	s_cbranch_execz .LBB53_172
.LBB53_309:
	ds_read_b32 v66, v64 offset:192
	s_waitcnt lgkmcnt(0)
	v_add_f32_e32 v12, v12, v66
	s_or_b32 exec_lo, exec_lo, s0
	s_and_saveexec_b32 s0, vcc_lo
	s_cbranch_execz .LBB53_173
.LBB53_310:
	ds_read_b32 v66, v64 offset:208
	s_waitcnt lgkmcnt(0)
	v_add_f32_e32 v13, v13, v66
	s_or_b32 exec_lo, exec_lo, s0
	s_and_saveexec_b32 s0, vcc_lo
	s_cbranch_execz .LBB53_174
.LBB53_311:
	ds_read_b32 v66, v64 offset:224
	s_waitcnt lgkmcnt(0)
	v_add_f32_e32 v14, v14, v66
	s_or_b32 exec_lo, exec_lo, s0
	s_and_saveexec_b32 s0, vcc_lo
	s_cbranch_execz .LBB53_175
.LBB53_312:
	ds_read_b32 v66, v64 offset:240
	s_waitcnt lgkmcnt(0)
	v_add_f32_e32 v15, v15, v66
	s_or_b32 exec_lo, exec_lo, s0
	s_and_saveexec_b32 s0, vcc_lo
	s_cbranch_execz .LBB53_176
.LBB53_313:
	ds_read_b32 v66, v64 offset:256
	s_waitcnt lgkmcnt(0)
	v_add_f32_e32 v16, v16, v66
	s_or_b32 exec_lo, exec_lo, s0
	s_and_saveexec_b32 s0, vcc_lo
	s_cbranch_execz .LBB53_177
.LBB53_314:
	ds_read_b32 v66, v64 offset:272
	s_waitcnt lgkmcnt(0)
	v_add_f32_e32 v17, v17, v66
	s_or_b32 exec_lo, exec_lo, s0
	s_and_saveexec_b32 s0, vcc_lo
	s_cbranch_execz .LBB53_178
.LBB53_315:
	ds_read_b32 v66, v64 offset:288
	s_waitcnt lgkmcnt(0)
	v_add_f32_e32 v18, v18, v66
	s_or_b32 exec_lo, exec_lo, s0
	s_and_saveexec_b32 s0, vcc_lo
	s_cbranch_execz .LBB53_179
.LBB53_316:
	ds_read_b32 v66, v64 offset:304
	s_waitcnt lgkmcnt(0)
	v_add_f32_e32 v19, v19, v66
	s_or_b32 exec_lo, exec_lo, s0
	s_and_saveexec_b32 s0, vcc_lo
	s_cbranch_execz .LBB53_180
.LBB53_317:
	ds_read_b32 v66, v64 offset:320
	s_waitcnt lgkmcnt(0)
	v_add_f32_e32 v20, v20, v66
	s_or_b32 exec_lo, exec_lo, s0
	s_and_saveexec_b32 s0, vcc_lo
	s_cbranch_execz .LBB53_181
.LBB53_318:
	ds_read_b32 v66, v64 offset:336
	s_waitcnt lgkmcnt(0)
	v_add_f32_e32 v21, v21, v66
	s_or_b32 exec_lo, exec_lo, s0
	s_and_saveexec_b32 s0, vcc_lo
	s_cbranch_execz .LBB53_182
.LBB53_319:
	ds_read_b32 v66, v64 offset:352
	s_waitcnt lgkmcnt(0)
	v_add_f32_e32 v22, v22, v66
	s_or_b32 exec_lo, exec_lo, s0
	s_and_saveexec_b32 s0, vcc_lo
	s_cbranch_execz .LBB53_183
.LBB53_320:
	ds_read_b32 v66, v64 offset:368
	s_waitcnt lgkmcnt(0)
	v_add_f32_e32 v23, v23, v66
	s_or_b32 exec_lo, exec_lo, s0
	s_and_saveexec_b32 s0, vcc_lo
	s_cbranch_execz .LBB53_184
.LBB53_321:
	ds_read_b32 v66, v64 offset:384
	s_waitcnt lgkmcnt(0)
	v_add_f32_e32 v24, v24, v66
	s_or_b32 exec_lo, exec_lo, s0
	s_and_saveexec_b32 s0, vcc_lo
	s_cbranch_execz .LBB53_185
.LBB53_322:
	ds_read_b32 v66, v64 offset:400
	s_waitcnt lgkmcnt(0)
	v_add_f32_e32 v25, v25, v66
	s_or_b32 exec_lo, exec_lo, s0
	s_and_saveexec_b32 s0, vcc_lo
	s_cbranch_execz .LBB53_186
.LBB53_323:
	ds_read_b32 v66, v64 offset:416
	s_waitcnt lgkmcnt(0)
	v_add_f32_e32 v26, v26, v66
	s_or_b32 exec_lo, exec_lo, s0
	s_and_saveexec_b32 s0, vcc_lo
	s_cbranch_execz .LBB53_187
.LBB53_324:
	ds_read_b32 v66, v64 offset:432
	s_waitcnt lgkmcnt(0)
	v_add_f32_e32 v27, v27, v66
	s_or_b32 exec_lo, exec_lo, s0
	s_and_saveexec_b32 s0, vcc_lo
	s_cbranch_execz .LBB53_188
.LBB53_325:
	ds_read_b32 v66, v64 offset:448
	s_waitcnt lgkmcnt(0)
	v_add_f32_e32 v28, v28, v66
	s_or_b32 exec_lo, exec_lo, s0
	s_and_saveexec_b32 s0, vcc_lo
	s_cbranch_execz .LBB53_189
.LBB53_326:
	ds_read_b32 v66, v64 offset:464
	s_waitcnt lgkmcnt(0)
	v_add_f32_e32 v29, v29, v66
	s_or_b32 exec_lo, exec_lo, s0
	s_and_saveexec_b32 s0, vcc_lo
	s_cbranch_execz .LBB53_190
.LBB53_327:
	ds_read_b32 v66, v64 offset:480
	s_waitcnt lgkmcnt(0)
	v_add_f32_e32 v30, v30, v66
	s_or_b32 exec_lo, exec_lo, s0
	s_and_saveexec_b32 s0, vcc_lo
	s_cbranch_execz .LBB53_191
.LBB53_328:
	ds_read_b32 v66, v64 offset:496
	s_waitcnt lgkmcnt(0)
	v_add_f32_e32 v31, v31, v66
	s_or_b32 exec_lo, exec_lo, s0
	s_and_saveexec_b32 s0, vcc_lo
	s_cbranch_execz .LBB53_192
.LBB53_329:
	ds_read_b32 v66, v64 offset:512
	s_waitcnt lgkmcnt(0)
	v_add_f32_e32 v32, v32, v66
	s_or_b32 exec_lo, exec_lo, s0
	s_and_saveexec_b32 s0, vcc_lo
	s_cbranch_execz .LBB53_193
.LBB53_330:
	ds_read_b32 v66, v64 offset:528
	s_waitcnt lgkmcnt(0)
	v_add_f32_e32 v33, v33, v66
	s_or_b32 exec_lo, exec_lo, s0
	s_and_saveexec_b32 s0, vcc_lo
	s_cbranch_execz .LBB53_194
.LBB53_331:
	ds_read_b32 v66, v64 offset:544
	s_waitcnt lgkmcnt(0)
	v_add_f32_e32 v34, v34, v66
	s_or_b32 exec_lo, exec_lo, s0
	s_and_saveexec_b32 s0, vcc_lo
	s_cbranch_execz .LBB53_195
.LBB53_332:
	ds_read_b32 v66, v64 offset:560
	s_waitcnt lgkmcnt(0)
	v_add_f32_e32 v35, v35, v66
	s_or_b32 exec_lo, exec_lo, s0
	s_and_saveexec_b32 s0, vcc_lo
	s_cbranch_execz .LBB53_196
.LBB53_333:
	ds_read_b32 v66, v64 offset:576
	s_waitcnt lgkmcnt(0)
	v_add_f32_e32 v36, v36, v66
	s_or_b32 exec_lo, exec_lo, s0
	s_and_saveexec_b32 s0, vcc_lo
	s_cbranch_execz .LBB53_197
.LBB53_334:
	ds_read_b32 v66, v64 offset:592
	s_waitcnt lgkmcnt(0)
	v_add_f32_e32 v37, v37, v66
	s_or_b32 exec_lo, exec_lo, s0
	s_and_saveexec_b32 s0, vcc_lo
	s_cbranch_execz .LBB53_198
.LBB53_335:
	ds_read_b32 v66, v64 offset:608
	s_waitcnt lgkmcnt(0)
	v_add_f32_e32 v38, v38, v66
	s_or_b32 exec_lo, exec_lo, s0
	s_and_saveexec_b32 s0, vcc_lo
	s_cbranch_execz .LBB53_199
.LBB53_336:
	ds_read_b32 v66, v64 offset:624
	s_waitcnt lgkmcnt(0)
	v_add_f32_e32 v39, v39, v66
	s_or_b32 exec_lo, exec_lo, s0
	s_and_saveexec_b32 s0, vcc_lo
	s_cbranch_execz .LBB53_200
.LBB53_337:
	ds_read_b32 v66, v64 offset:640
	s_waitcnt lgkmcnt(0)
	v_add_f32_e32 v40, v40, v66
	s_or_b32 exec_lo, exec_lo, s0
	s_and_saveexec_b32 s0, vcc_lo
	s_cbranch_execz .LBB53_201
.LBB53_338:
	ds_read_b32 v66, v64 offset:656
	s_waitcnt lgkmcnt(0)
	v_add_f32_e32 v41, v41, v66
	s_or_b32 exec_lo, exec_lo, s0
	s_and_saveexec_b32 s0, vcc_lo
	s_cbranch_execz .LBB53_202
.LBB53_339:
	ds_read_b32 v66, v64 offset:672
	s_waitcnt lgkmcnt(0)
	v_add_f32_e32 v42, v42, v66
	s_or_b32 exec_lo, exec_lo, s0
	s_and_saveexec_b32 s0, vcc_lo
	s_cbranch_execz .LBB53_203
.LBB53_340:
	ds_read_b32 v66, v64 offset:688
	s_waitcnt lgkmcnt(0)
	v_add_f32_e32 v43, v43, v66
	s_or_b32 exec_lo, exec_lo, s0
	s_and_saveexec_b32 s0, vcc_lo
	s_cbranch_execz .LBB53_204
.LBB53_341:
	ds_read_b32 v66, v64 offset:704
	s_waitcnt lgkmcnt(0)
	v_add_f32_e32 v44, v44, v66
	s_or_b32 exec_lo, exec_lo, s0
	s_and_saveexec_b32 s0, vcc_lo
	s_cbranch_execz .LBB53_205
.LBB53_342:
	ds_read_b32 v66, v64 offset:720
	s_waitcnt lgkmcnt(0)
	v_add_f32_e32 v45, v45, v66
	s_or_b32 exec_lo, exec_lo, s0
	s_and_saveexec_b32 s0, vcc_lo
	s_cbranch_execz .LBB53_206
.LBB53_343:
	ds_read_b32 v66, v64 offset:736
	s_waitcnt lgkmcnt(0)
	v_add_f32_e32 v46, v46, v66
	s_or_b32 exec_lo, exec_lo, s0
	s_and_saveexec_b32 s0, vcc_lo
	s_cbranch_execz .LBB53_207
.LBB53_344:
	ds_read_b32 v66, v64 offset:752
	s_waitcnt lgkmcnt(0)
	v_add_f32_e32 v47, v47, v66
	s_or_b32 exec_lo, exec_lo, s0
	s_and_saveexec_b32 s0, vcc_lo
	s_cbranch_execz .LBB53_208
.LBB53_345:
	ds_read_b32 v66, v64 offset:768
	s_waitcnt lgkmcnt(0)
	v_add_f32_e32 v48, v48, v66
	s_or_b32 exec_lo, exec_lo, s0
	s_and_saveexec_b32 s0, vcc_lo
	s_cbranch_execz .LBB53_209
.LBB53_346:
	ds_read_b32 v66, v64 offset:784
	s_waitcnt lgkmcnt(0)
	v_add_f32_e32 v49, v49, v66
	s_or_b32 exec_lo, exec_lo, s0
	s_and_saveexec_b32 s0, vcc_lo
	s_cbranch_execz .LBB53_210
.LBB53_347:
	ds_read_b32 v66, v64 offset:800
	s_waitcnt lgkmcnt(0)
	v_add_f32_e32 v50, v50, v66
	s_or_b32 exec_lo, exec_lo, s0
	s_and_saveexec_b32 s0, vcc_lo
	s_cbranch_execz .LBB53_211
.LBB53_348:
	ds_read_b32 v66, v64 offset:816
	s_waitcnt lgkmcnt(0)
	v_add_f32_e32 v51, v51, v66
	s_or_b32 exec_lo, exec_lo, s0
	s_and_saveexec_b32 s0, vcc_lo
	s_cbranch_execz .LBB53_212
.LBB53_349:
	ds_read_b32 v66, v64 offset:832
	s_waitcnt lgkmcnt(0)
	v_add_f32_e32 v52, v52, v66
	s_or_b32 exec_lo, exec_lo, s0
	s_and_saveexec_b32 s0, vcc_lo
	s_cbranch_execz .LBB53_213
.LBB53_350:
	ds_read_b32 v66, v64 offset:848
	s_waitcnt lgkmcnt(0)
	v_add_f32_e32 v53, v53, v66
	s_or_b32 exec_lo, exec_lo, s0
	s_and_saveexec_b32 s0, vcc_lo
	s_cbranch_execz .LBB53_214
.LBB53_351:
	ds_read_b32 v66, v64 offset:864
	s_waitcnt lgkmcnt(0)
	v_add_f32_e32 v54, v54, v66
	s_or_b32 exec_lo, exec_lo, s0
	s_and_saveexec_b32 s0, vcc_lo
	s_cbranch_execz .LBB53_215
.LBB53_352:
	ds_read_b32 v66, v64 offset:880
	s_waitcnt lgkmcnt(0)
	v_add_f32_e32 v55, v55, v66
	s_or_b32 exec_lo, exec_lo, s0
	s_and_saveexec_b32 s0, vcc_lo
	s_cbranch_execz .LBB53_216
.LBB53_353:
	ds_read_b32 v66, v64 offset:896
	s_waitcnt lgkmcnt(0)
	v_add_f32_e32 v56, v56, v66
	s_or_b32 exec_lo, exec_lo, s0
	s_and_saveexec_b32 s0, vcc_lo
	s_cbranch_execz .LBB53_217
.LBB53_354:
	ds_read_b32 v66, v64 offset:912
	s_waitcnt lgkmcnt(0)
	v_add_f32_e32 v57, v57, v66
	s_or_b32 exec_lo, exec_lo, s0
	s_and_saveexec_b32 s0, vcc_lo
	s_cbranch_execz .LBB53_218
.LBB53_355:
	ds_read_b32 v66, v64 offset:928
	s_waitcnt lgkmcnt(0)
	v_add_f32_e32 v58, v58, v66
	s_or_b32 exec_lo, exec_lo, s0
	s_and_saveexec_b32 s0, vcc_lo
	s_cbranch_execz .LBB53_219
.LBB53_356:
	ds_read_b32 v66, v64 offset:944
	s_waitcnt lgkmcnt(0)
	v_add_f32_e32 v59, v59, v66
	s_or_b32 exec_lo, exec_lo, s0
	s_and_saveexec_b32 s0, vcc_lo
	s_cbranch_execz .LBB53_220
.LBB53_357:
	ds_read_b32 v66, v64 offset:960
	s_waitcnt lgkmcnt(0)
	v_add_f32_e32 v60, v60, v66
	s_or_b32 exec_lo, exec_lo, s0
	s_and_saveexec_b32 s0, vcc_lo
	s_cbranch_execz .LBB53_221
.LBB53_358:
	ds_read_b32 v66, v64 offset:976
	s_waitcnt lgkmcnt(0)
	v_add_f32_e32 v61, v61, v66
	s_or_b32 exec_lo, exec_lo, s0
	s_and_saveexec_b32 s0, vcc_lo
	s_cbranch_execz .LBB53_222
.LBB53_359:
	ds_read_b32 v66, v64 offset:992
	s_waitcnt lgkmcnt(0)
	v_add_f32_e32 v62, v62, v66
	s_or_b32 exec_lo, exec_lo, s0
	s_and_saveexec_b32 s0, vcc_lo
	s_cbranch_execnz .LBB53_223
	s_branch .LBB53_224
.LBB53_360:
	ds_read_b32 v65, v64
	s_waitcnt lgkmcnt(0)
	v_add_f32_e32 v0, v0, v65
	s_or_b32 exec_lo, exec_lo, s0
	s_and_saveexec_b32 s0, vcc_lo
	s_cbranch_execz .LBB53_230
.LBB53_361:
	ds_read_b32 v65, v64 offset:16
	s_waitcnt lgkmcnt(0)
	v_add_f32_e32 v1, v1, v65
	s_or_b32 exec_lo, exec_lo, s0
	s_and_saveexec_b32 s0, vcc_lo
	s_cbranch_execz .LBB53_231
.LBB53_362:
	ds_read_b32 v65, v64 offset:32
	s_waitcnt lgkmcnt(0)
	v_add_f32_e32 v2, v2, v65
	s_or_b32 exec_lo, exec_lo, s0
	s_and_saveexec_b32 s0, vcc_lo
	s_cbranch_execz .LBB53_232
.LBB53_363:
	ds_read_b32 v65, v64 offset:48
	s_waitcnt lgkmcnt(0)
	v_add_f32_e32 v3, v3, v65
	s_or_b32 exec_lo, exec_lo, s0
	s_and_saveexec_b32 s0, vcc_lo
	s_cbranch_execz .LBB53_233
.LBB53_364:
	ds_read_b32 v65, v64 offset:64
	s_waitcnt lgkmcnt(0)
	v_add_f32_e32 v4, v4, v65
	s_or_b32 exec_lo, exec_lo, s0
	s_and_saveexec_b32 s0, vcc_lo
	s_cbranch_execz .LBB53_234
.LBB53_365:
	ds_read_b32 v65, v64 offset:80
	s_waitcnt lgkmcnt(0)
	v_add_f32_e32 v5, v5, v65
	s_or_b32 exec_lo, exec_lo, s0
	s_and_saveexec_b32 s0, vcc_lo
	s_cbranch_execz .LBB53_235
.LBB53_366:
	ds_read_b32 v65, v64 offset:96
	s_waitcnt lgkmcnt(0)
	v_add_f32_e32 v6, v6, v65
	s_or_b32 exec_lo, exec_lo, s0
	s_and_saveexec_b32 s0, vcc_lo
	s_cbranch_execz .LBB53_236
.LBB53_367:
	ds_read_b32 v65, v64 offset:112
	s_waitcnt lgkmcnt(0)
	v_add_f32_e32 v7, v7, v65
	s_or_b32 exec_lo, exec_lo, s0
	s_and_saveexec_b32 s0, vcc_lo
	s_cbranch_execz .LBB53_237
.LBB53_368:
	ds_read_b32 v65, v64 offset:128
	s_waitcnt lgkmcnt(0)
	v_add_f32_e32 v8, v8, v65
	s_or_b32 exec_lo, exec_lo, s0
	s_and_saveexec_b32 s0, vcc_lo
	s_cbranch_execz .LBB53_238
.LBB53_369:
	ds_read_b32 v65, v64 offset:144
	s_waitcnt lgkmcnt(0)
	v_add_f32_e32 v9, v9, v65
	s_or_b32 exec_lo, exec_lo, s0
	s_and_saveexec_b32 s0, vcc_lo
	s_cbranch_execz .LBB53_239
.LBB53_370:
	ds_read_b32 v65, v64 offset:160
	s_waitcnt lgkmcnt(0)
	v_add_f32_e32 v10, v10, v65
	s_or_b32 exec_lo, exec_lo, s0
	s_and_saveexec_b32 s0, vcc_lo
	s_cbranch_execz .LBB53_240
.LBB53_371:
	ds_read_b32 v65, v64 offset:176
	s_waitcnt lgkmcnt(0)
	v_add_f32_e32 v11, v11, v65
	s_or_b32 exec_lo, exec_lo, s0
	s_and_saveexec_b32 s0, vcc_lo
	s_cbranch_execz .LBB53_241
.LBB53_372:
	ds_read_b32 v65, v64 offset:192
	s_waitcnt lgkmcnt(0)
	v_add_f32_e32 v12, v12, v65
	s_or_b32 exec_lo, exec_lo, s0
	s_and_saveexec_b32 s0, vcc_lo
	s_cbranch_execz .LBB53_242
.LBB53_373:
	ds_read_b32 v65, v64 offset:208
	s_waitcnt lgkmcnt(0)
	v_add_f32_e32 v13, v13, v65
	s_or_b32 exec_lo, exec_lo, s0
	s_and_saveexec_b32 s0, vcc_lo
	s_cbranch_execz .LBB53_243
.LBB53_374:
	ds_read_b32 v65, v64 offset:224
	s_waitcnt lgkmcnt(0)
	v_add_f32_e32 v14, v14, v65
	s_or_b32 exec_lo, exec_lo, s0
	s_and_saveexec_b32 s0, vcc_lo
	s_cbranch_execz .LBB53_244
.LBB53_375:
	ds_read_b32 v65, v64 offset:240
	s_waitcnt lgkmcnt(0)
	v_add_f32_e32 v15, v15, v65
	s_or_b32 exec_lo, exec_lo, s0
	s_and_saveexec_b32 s0, vcc_lo
	s_cbranch_execz .LBB53_245
.LBB53_376:
	ds_read_b32 v65, v64 offset:256
	s_waitcnt lgkmcnt(0)
	v_add_f32_e32 v16, v16, v65
	s_or_b32 exec_lo, exec_lo, s0
	s_and_saveexec_b32 s0, vcc_lo
	s_cbranch_execz .LBB53_246
.LBB53_377:
	ds_read_b32 v65, v64 offset:272
	s_waitcnt lgkmcnt(0)
	v_add_f32_e32 v17, v17, v65
	s_or_b32 exec_lo, exec_lo, s0
	s_and_saveexec_b32 s0, vcc_lo
	s_cbranch_execz .LBB53_247
.LBB53_378:
	ds_read_b32 v65, v64 offset:288
	s_waitcnt lgkmcnt(0)
	v_add_f32_e32 v18, v18, v65
	s_or_b32 exec_lo, exec_lo, s0
	s_and_saveexec_b32 s0, vcc_lo
	s_cbranch_execz .LBB53_248
.LBB53_379:
	ds_read_b32 v65, v64 offset:304
	s_waitcnt lgkmcnt(0)
	v_add_f32_e32 v19, v19, v65
	s_or_b32 exec_lo, exec_lo, s0
	s_and_saveexec_b32 s0, vcc_lo
	s_cbranch_execz .LBB53_249
.LBB53_380:
	ds_read_b32 v65, v64 offset:320
	s_waitcnt lgkmcnt(0)
	v_add_f32_e32 v20, v20, v65
	s_or_b32 exec_lo, exec_lo, s0
	s_and_saveexec_b32 s0, vcc_lo
	s_cbranch_execz .LBB53_250
.LBB53_381:
	ds_read_b32 v65, v64 offset:336
	s_waitcnt lgkmcnt(0)
	v_add_f32_e32 v21, v21, v65
	s_or_b32 exec_lo, exec_lo, s0
	s_and_saveexec_b32 s0, vcc_lo
	s_cbranch_execz .LBB53_251
.LBB53_382:
	ds_read_b32 v65, v64 offset:352
	s_waitcnt lgkmcnt(0)
	v_add_f32_e32 v22, v22, v65
	s_or_b32 exec_lo, exec_lo, s0
	s_and_saveexec_b32 s0, vcc_lo
	s_cbranch_execz .LBB53_252
.LBB53_383:
	ds_read_b32 v65, v64 offset:368
	s_waitcnt lgkmcnt(0)
	v_add_f32_e32 v23, v23, v65
	s_or_b32 exec_lo, exec_lo, s0
	s_and_saveexec_b32 s0, vcc_lo
	s_cbranch_execz .LBB53_253
.LBB53_384:
	ds_read_b32 v65, v64 offset:384
	s_waitcnt lgkmcnt(0)
	v_add_f32_e32 v24, v24, v65
	s_or_b32 exec_lo, exec_lo, s0
	s_and_saveexec_b32 s0, vcc_lo
	s_cbranch_execz .LBB53_254
.LBB53_385:
	ds_read_b32 v65, v64 offset:400
	s_waitcnt lgkmcnt(0)
	v_add_f32_e32 v25, v25, v65
	s_or_b32 exec_lo, exec_lo, s0
	s_and_saveexec_b32 s0, vcc_lo
	s_cbranch_execz .LBB53_255
.LBB53_386:
	ds_read_b32 v65, v64 offset:416
	s_waitcnt lgkmcnt(0)
	v_add_f32_e32 v26, v26, v65
	s_or_b32 exec_lo, exec_lo, s0
	s_and_saveexec_b32 s0, vcc_lo
	s_cbranch_execz .LBB53_256
.LBB53_387:
	ds_read_b32 v65, v64 offset:432
	s_waitcnt lgkmcnt(0)
	v_add_f32_e32 v27, v27, v65
	s_or_b32 exec_lo, exec_lo, s0
	s_and_saveexec_b32 s0, vcc_lo
	s_cbranch_execz .LBB53_257
.LBB53_388:
	ds_read_b32 v65, v64 offset:448
	s_waitcnt lgkmcnt(0)
	v_add_f32_e32 v28, v28, v65
	s_or_b32 exec_lo, exec_lo, s0
	s_and_saveexec_b32 s0, vcc_lo
	s_cbranch_execz .LBB53_258
.LBB53_389:
	ds_read_b32 v65, v64 offset:464
	s_waitcnt lgkmcnt(0)
	v_add_f32_e32 v29, v29, v65
	s_or_b32 exec_lo, exec_lo, s0
	s_and_saveexec_b32 s0, vcc_lo
	s_cbranch_execz .LBB53_259
.LBB53_390:
	ds_read_b32 v65, v64 offset:480
	s_waitcnt lgkmcnt(0)
	v_add_f32_e32 v30, v30, v65
	s_or_b32 exec_lo, exec_lo, s0
	s_and_saveexec_b32 s0, vcc_lo
	s_cbranch_execz .LBB53_260
.LBB53_391:
	ds_read_b32 v65, v64 offset:496
	s_waitcnt lgkmcnt(0)
	v_add_f32_e32 v31, v31, v65
	s_or_b32 exec_lo, exec_lo, s0
	s_and_saveexec_b32 s0, vcc_lo
	s_cbranch_execz .LBB53_261
.LBB53_392:
	ds_read_b32 v65, v64 offset:512
	s_waitcnt lgkmcnt(0)
	v_add_f32_e32 v32, v32, v65
	s_or_b32 exec_lo, exec_lo, s0
	s_and_saveexec_b32 s0, vcc_lo
	s_cbranch_execz .LBB53_262
.LBB53_393:
	ds_read_b32 v65, v64 offset:528
	s_waitcnt lgkmcnt(0)
	v_add_f32_e32 v33, v33, v65
	s_or_b32 exec_lo, exec_lo, s0
	s_and_saveexec_b32 s0, vcc_lo
	s_cbranch_execz .LBB53_263
.LBB53_394:
	ds_read_b32 v65, v64 offset:544
	s_waitcnt lgkmcnt(0)
	v_add_f32_e32 v34, v34, v65
	s_or_b32 exec_lo, exec_lo, s0
	s_and_saveexec_b32 s0, vcc_lo
	s_cbranch_execz .LBB53_264
.LBB53_395:
	ds_read_b32 v65, v64 offset:560
	s_waitcnt lgkmcnt(0)
	v_add_f32_e32 v35, v35, v65
	s_or_b32 exec_lo, exec_lo, s0
	s_and_saveexec_b32 s0, vcc_lo
	s_cbranch_execz .LBB53_265
.LBB53_396:
	ds_read_b32 v65, v64 offset:576
	s_waitcnt lgkmcnt(0)
	v_add_f32_e32 v36, v36, v65
	s_or_b32 exec_lo, exec_lo, s0
	s_and_saveexec_b32 s0, vcc_lo
	s_cbranch_execz .LBB53_266
.LBB53_397:
	ds_read_b32 v65, v64 offset:592
	s_waitcnt lgkmcnt(0)
	v_add_f32_e32 v37, v37, v65
	s_or_b32 exec_lo, exec_lo, s0
	s_and_saveexec_b32 s0, vcc_lo
	s_cbranch_execz .LBB53_267
.LBB53_398:
	ds_read_b32 v65, v64 offset:608
	s_waitcnt lgkmcnt(0)
	v_add_f32_e32 v38, v38, v65
	s_or_b32 exec_lo, exec_lo, s0
	s_and_saveexec_b32 s0, vcc_lo
	s_cbranch_execz .LBB53_268
.LBB53_399:
	ds_read_b32 v65, v64 offset:624
	s_waitcnt lgkmcnt(0)
	v_add_f32_e32 v39, v39, v65
	s_or_b32 exec_lo, exec_lo, s0
	s_and_saveexec_b32 s0, vcc_lo
	s_cbranch_execz .LBB53_269
.LBB53_400:
	ds_read_b32 v65, v64 offset:640
	s_waitcnt lgkmcnt(0)
	v_add_f32_e32 v40, v40, v65
	s_or_b32 exec_lo, exec_lo, s0
	s_and_saveexec_b32 s0, vcc_lo
	s_cbranch_execz .LBB53_270
.LBB53_401:
	ds_read_b32 v65, v64 offset:656
	s_waitcnt lgkmcnt(0)
	v_add_f32_e32 v41, v41, v65
	s_or_b32 exec_lo, exec_lo, s0
	s_and_saveexec_b32 s0, vcc_lo
	s_cbranch_execz .LBB53_271
.LBB53_402:
	ds_read_b32 v65, v64 offset:672
	s_waitcnt lgkmcnt(0)
	v_add_f32_e32 v42, v42, v65
	s_or_b32 exec_lo, exec_lo, s0
	s_and_saveexec_b32 s0, vcc_lo
	s_cbranch_execz .LBB53_272
.LBB53_403:
	ds_read_b32 v65, v64 offset:688
	s_waitcnt lgkmcnt(0)
	v_add_f32_e32 v43, v43, v65
	s_or_b32 exec_lo, exec_lo, s0
	s_and_saveexec_b32 s0, vcc_lo
	s_cbranch_execz .LBB53_273
.LBB53_404:
	ds_read_b32 v65, v64 offset:704
	s_waitcnt lgkmcnt(0)
	v_add_f32_e32 v44, v44, v65
	s_or_b32 exec_lo, exec_lo, s0
	s_and_saveexec_b32 s0, vcc_lo
	s_cbranch_execz .LBB53_274
.LBB53_405:
	ds_read_b32 v65, v64 offset:720
	s_waitcnt lgkmcnt(0)
	v_add_f32_e32 v45, v45, v65
	s_or_b32 exec_lo, exec_lo, s0
	s_and_saveexec_b32 s0, vcc_lo
	s_cbranch_execz .LBB53_275
.LBB53_406:
	ds_read_b32 v65, v64 offset:736
	s_waitcnt lgkmcnt(0)
	v_add_f32_e32 v46, v46, v65
	s_or_b32 exec_lo, exec_lo, s0
	s_and_saveexec_b32 s0, vcc_lo
	s_cbranch_execz .LBB53_276
.LBB53_407:
	ds_read_b32 v65, v64 offset:752
	s_waitcnt lgkmcnt(0)
	v_add_f32_e32 v47, v47, v65
	s_or_b32 exec_lo, exec_lo, s0
	s_and_saveexec_b32 s0, vcc_lo
	s_cbranch_execz .LBB53_277
.LBB53_408:
	ds_read_b32 v65, v64 offset:768
	s_waitcnt lgkmcnt(0)
	v_add_f32_e32 v48, v48, v65
	s_or_b32 exec_lo, exec_lo, s0
	s_and_saveexec_b32 s0, vcc_lo
	s_cbranch_execz .LBB53_278
.LBB53_409:
	ds_read_b32 v65, v64 offset:784
	s_waitcnt lgkmcnt(0)
	v_add_f32_e32 v49, v49, v65
	s_or_b32 exec_lo, exec_lo, s0
	s_and_saveexec_b32 s0, vcc_lo
	s_cbranch_execz .LBB53_279
.LBB53_410:
	ds_read_b32 v65, v64 offset:800
	s_waitcnt lgkmcnt(0)
	v_add_f32_e32 v50, v50, v65
	s_or_b32 exec_lo, exec_lo, s0
	s_and_saveexec_b32 s0, vcc_lo
	s_cbranch_execz .LBB53_280
.LBB53_411:
	ds_read_b32 v65, v64 offset:816
	s_waitcnt lgkmcnt(0)
	v_add_f32_e32 v51, v51, v65
	s_or_b32 exec_lo, exec_lo, s0
	s_and_saveexec_b32 s0, vcc_lo
	s_cbranch_execz .LBB53_281
.LBB53_412:
	ds_read_b32 v65, v64 offset:832
	s_waitcnt lgkmcnt(0)
	v_add_f32_e32 v52, v52, v65
	s_or_b32 exec_lo, exec_lo, s0
	s_and_saveexec_b32 s0, vcc_lo
	s_cbranch_execz .LBB53_282
.LBB53_413:
	ds_read_b32 v65, v64 offset:848
	s_waitcnt lgkmcnt(0)
	v_add_f32_e32 v53, v53, v65
	s_or_b32 exec_lo, exec_lo, s0
	s_and_saveexec_b32 s0, vcc_lo
	s_cbranch_execz .LBB53_283
.LBB53_414:
	ds_read_b32 v65, v64 offset:864
	s_waitcnt lgkmcnt(0)
	v_add_f32_e32 v54, v54, v65
	s_or_b32 exec_lo, exec_lo, s0
	s_and_saveexec_b32 s0, vcc_lo
	s_cbranch_execz .LBB53_284
.LBB53_415:
	ds_read_b32 v65, v64 offset:880
	s_waitcnt lgkmcnt(0)
	v_add_f32_e32 v55, v55, v65
	s_or_b32 exec_lo, exec_lo, s0
	s_and_saveexec_b32 s0, vcc_lo
	s_cbranch_execz .LBB53_285
.LBB53_416:
	ds_read_b32 v65, v64 offset:896
	s_waitcnt lgkmcnt(0)
	v_add_f32_e32 v56, v56, v65
	s_or_b32 exec_lo, exec_lo, s0
	s_and_saveexec_b32 s0, vcc_lo
	s_cbranch_execz .LBB53_286
.LBB53_417:
	ds_read_b32 v65, v64 offset:912
	s_waitcnt lgkmcnt(0)
	v_add_f32_e32 v57, v57, v65
	s_or_b32 exec_lo, exec_lo, s0
	s_and_saveexec_b32 s0, vcc_lo
	s_cbranch_execz .LBB53_287
.LBB53_418:
	ds_read_b32 v65, v64 offset:928
	s_waitcnt lgkmcnt(0)
	v_add_f32_e32 v58, v58, v65
	s_or_b32 exec_lo, exec_lo, s0
	s_and_saveexec_b32 s0, vcc_lo
	s_cbranch_execz .LBB53_288
.LBB53_419:
	ds_read_b32 v65, v64 offset:944
	s_waitcnt lgkmcnt(0)
	v_add_f32_e32 v59, v59, v65
	s_or_b32 exec_lo, exec_lo, s0
	s_and_saveexec_b32 s0, vcc_lo
	s_cbranch_execz .LBB53_289
.LBB53_420:
	ds_read_b32 v65, v64 offset:960
	s_waitcnt lgkmcnt(0)
	v_add_f32_e32 v60, v60, v65
	s_or_b32 exec_lo, exec_lo, s0
	s_and_saveexec_b32 s0, vcc_lo
	s_cbranch_execz .LBB53_290
.LBB53_421:
	ds_read_b32 v65, v64 offset:976
	s_waitcnt lgkmcnt(0)
	v_add_f32_e32 v61, v61, v65
	s_or_b32 exec_lo, exec_lo, s0
	s_and_saveexec_b32 s0, vcc_lo
	s_cbranch_execz .LBB53_291
.LBB53_422:
	ds_read_b32 v65, v64 offset:992
	s_waitcnt lgkmcnt(0)
	v_add_f32_e32 v62, v62, v65
	s_or_b32 exec_lo, exec_lo, s0
	s_and_saveexec_b32 s0, vcc_lo
	s_cbranch_execnz .LBB53_292
	s_branch .LBB53_293
	.section	.rodata,"a",@progbits
	.p2align	6, 0x0
	.amdhsa_kernel _ZN4vllm25paged_attention_v1_kernelIffLi256ELi32ELi128ELNS_18Fp8KVCacheDataTypeE0ELb0EEEvPT_PKS2_PKT0_S8_ifPKiSA_iPKfiiiSC_SC_iiiii
		.amdhsa_group_segment_fixed_size 1056
		.amdhsa_private_segment_fixed_size 924
		.amdhsa_kernarg_size 384
		.amdhsa_user_sgpr_count 6
		.amdhsa_user_sgpr_private_segment_buffer 1
		.amdhsa_user_sgpr_dispatch_ptr 0
		.amdhsa_user_sgpr_queue_ptr 0
		.amdhsa_user_sgpr_kernarg_segment_ptr 1
		.amdhsa_user_sgpr_dispatch_id 0
		.amdhsa_user_sgpr_flat_scratch_init 0
		.amdhsa_user_sgpr_private_segment_size 0
		.amdhsa_wavefront_size32 1
		.amdhsa_uses_dynamic_stack 0
		.amdhsa_system_sgpr_private_segment_wavefront_offset 1
		.amdhsa_system_sgpr_workgroup_id_x 1
		.amdhsa_system_sgpr_workgroup_id_y 1
		.amdhsa_system_sgpr_workgroup_id_z 1
		.amdhsa_system_sgpr_workgroup_info 0
		.amdhsa_system_vgpr_workitem_id 0
		.amdhsa_next_free_vgpr 128
		.amdhsa_next_free_sgpr 40
		.amdhsa_reserve_vcc 1
		.amdhsa_reserve_flat_scratch 0
		.amdhsa_float_round_mode_32 0
		.amdhsa_float_round_mode_16_64 0
		.amdhsa_float_denorm_mode_32 3
		.amdhsa_float_denorm_mode_16_64 3
		.amdhsa_dx10_clamp 1
		.amdhsa_ieee_mode 1
		.amdhsa_fp16_overflow 0
		.amdhsa_workgroup_processor_mode 1
		.amdhsa_memory_ordered 1
		.amdhsa_forward_progress 1
		.amdhsa_shared_vgpr_count 0
		.amdhsa_exception_fp_ieee_invalid_op 0
		.amdhsa_exception_fp_denorm_src 0
		.amdhsa_exception_fp_ieee_div_zero 0
		.amdhsa_exception_fp_ieee_overflow 0
		.amdhsa_exception_fp_ieee_underflow 0
		.amdhsa_exception_fp_ieee_inexact 0
		.amdhsa_exception_int_div_zero 0
	.end_amdhsa_kernel
	.section	.text._ZN4vllm25paged_attention_v1_kernelIffLi256ELi32ELi128ELNS_18Fp8KVCacheDataTypeE0ELb0EEEvPT_PKS2_PKT0_S8_ifPKiSA_iPKfiiiSC_SC_iiiii,"axG",@progbits,_ZN4vllm25paged_attention_v1_kernelIffLi256ELi32ELi128ELNS_18Fp8KVCacheDataTypeE0ELb0EEEvPT_PKS2_PKT0_S8_ifPKiSA_iPKfiiiSC_SC_iiiii,comdat
.Lfunc_end53:
	.size	_ZN4vllm25paged_attention_v1_kernelIffLi256ELi32ELi128ELNS_18Fp8KVCacheDataTypeE0ELb0EEEvPT_PKS2_PKT0_S8_ifPKiSA_iPKfiiiSC_SC_iiiii, .Lfunc_end53-_ZN4vllm25paged_attention_v1_kernelIffLi256ELi32ELi128ELNS_18Fp8KVCacheDataTypeE0ELb0EEEvPT_PKS2_PKT0_S8_ifPKiSA_iPKfiiiSC_SC_iiiii
                                        ; -- End function
	.set _ZN4vllm25paged_attention_v1_kernelIffLi256ELi32ELi128ELNS_18Fp8KVCacheDataTypeE0ELb0EEEvPT_PKS2_PKT0_S8_ifPKiSA_iPKfiiiSC_SC_iiiii.num_vgpr, 128
	.set _ZN4vllm25paged_attention_v1_kernelIffLi256ELi32ELi128ELNS_18Fp8KVCacheDataTypeE0ELb0EEEvPT_PKS2_PKT0_S8_ifPKiSA_iPKfiiiSC_SC_iiiii.num_agpr, 0
	.set _ZN4vllm25paged_attention_v1_kernelIffLi256ELi32ELi128ELNS_18Fp8KVCacheDataTypeE0ELb0EEEvPT_PKS2_PKT0_S8_ifPKiSA_iPKfiiiSC_SC_iiiii.numbered_sgpr, 40
	.set _ZN4vllm25paged_attention_v1_kernelIffLi256ELi32ELi128ELNS_18Fp8KVCacheDataTypeE0ELb0EEEvPT_PKS2_PKT0_S8_ifPKiSA_iPKfiiiSC_SC_iiiii.num_named_barrier, 0
	.set _ZN4vllm25paged_attention_v1_kernelIffLi256ELi32ELi128ELNS_18Fp8KVCacheDataTypeE0ELb0EEEvPT_PKS2_PKT0_S8_ifPKiSA_iPKfiiiSC_SC_iiiii.private_seg_size, 924
	.set _ZN4vllm25paged_attention_v1_kernelIffLi256ELi32ELi128ELNS_18Fp8KVCacheDataTypeE0ELb0EEEvPT_PKS2_PKT0_S8_ifPKiSA_iPKfiiiSC_SC_iiiii.uses_vcc, 1
	.set _ZN4vllm25paged_attention_v1_kernelIffLi256ELi32ELi128ELNS_18Fp8KVCacheDataTypeE0ELb0EEEvPT_PKS2_PKT0_S8_ifPKiSA_iPKfiiiSC_SC_iiiii.uses_flat_scratch, 0
	.set _ZN4vllm25paged_attention_v1_kernelIffLi256ELi32ELi128ELNS_18Fp8KVCacheDataTypeE0ELb0EEEvPT_PKS2_PKT0_S8_ifPKiSA_iPKfiiiSC_SC_iiiii.has_dyn_sized_stack, 0
	.set _ZN4vllm25paged_attention_v1_kernelIffLi256ELi32ELi128ELNS_18Fp8KVCacheDataTypeE0ELb0EEEvPT_PKS2_PKT0_S8_ifPKiSA_iPKfiiiSC_SC_iiiii.has_recursion, 0
	.set _ZN4vllm25paged_attention_v1_kernelIffLi256ELi32ELi128ELNS_18Fp8KVCacheDataTypeE0ELb0EEEvPT_PKS2_PKT0_S8_ifPKiSA_iPKfiiiSC_SC_iiiii.has_indirect_call, 0
	.section	.AMDGPU.csdata,"",@progbits
; Kernel info:
; codeLenInByte = 34724
; TotalNumSgprs: 42
; NumVgprs: 128
; ScratchSize: 924
; MemoryBound: 0
; FloatMode: 240
; IeeeMode: 1
; LDSByteSize: 1056 bytes/workgroup (compile time only)
; SGPRBlocks: 0
; VGPRBlocks: 15
; NumSGPRsForWavesPerEU: 42
; NumVGPRsForWavesPerEU: 128
; Occupancy: 8
; WaveLimiterHint : 1
; COMPUTE_PGM_RSRC2:SCRATCH_EN: 1
; COMPUTE_PGM_RSRC2:USER_SGPR: 6
; COMPUTE_PGM_RSRC2:TRAP_HANDLER: 0
; COMPUTE_PGM_RSRC2:TGID_X_EN: 1
; COMPUTE_PGM_RSRC2:TGID_Y_EN: 1
; COMPUTE_PGM_RSRC2:TGID_Z_EN: 1
; COMPUTE_PGM_RSRC2:TIDIG_COMP_CNT: 0
	.section	.text._ZN4vllm25paged_attention_v1_kernelIttLi32ELi8ELi128ELNS_18Fp8KVCacheDataTypeE0ELb1EEEvPT_PKS2_PKT0_S8_ifPKiSA_iPKfiiiSC_SC_iiiii,"axG",@progbits,_ZN4vllm25paged_attention_v1_kernelIttLi32ELi8ELi128ELNS_18Fp8KVCacheDataTypeE0ELb1EEEvPT_PKS2_PKT0_S8_ifPKiSA_iPKfiiiSC_SC_iiiii,comdat
	.protected	_ZN4vllm25paged_attention_v1_kernelIttLi32ELi8ELi128ELNS_18Fp8KVCacheDataTypeE0ELb1EEEvPT_PKS2_PKT0_S8_ifPKiSA_iPKfiiiSC_SC_iiiii ; -- Begin function _ZN4vllm25paged_attention_v1_kernelIttLi32ELi8ELi128ELNS_18Fp8KVCacheDataTypeE0ELb1EEEvPT_PKS2_PKT0_S8_ifPKiSA_iPKfiiiSC_SC_iiiii
	.globl	_ZN4vllm25paged_attention_v1_kernelIttLi32ELi8ELi128ELNS_18Fp8KVCacheDataTypeE0ELb1EEEvPT_PKS2_PKT0_S8_ifPKiSA_iPKfiiiSC_SC_iiiii
	.p2align	8
	.type	_ZN4vllm25paged_attention_v1_kernelIttLi32ELi8ELi128ELNS_18Fp8KVCacheDataTypeE0ELb1EEEvPT_PKS2_PKT0_S8_ifPKiSA_iPKfiiiSC_SC_iiiii,@function
_ZN4vllm25paged_attention_v1_kernelIttLi32ELi8ELi128ELNS_18Fp8KVCacheDataTypeE0ELb1EEEvPT_PKS2_PKT0_S8_ifPKiSA_iPKfiiiSC_SC_iiiii: ; @_ZN4vllm25paged_attention_v1_kernelIttLi32ELi8ELi128ELNS_18Fp8KVCacheDataTypeE0ELb1EEEvPT_PKS2_PKT0_S8_ifPKiSA_iPKfiiiSC_SC_iiiii
; %bb.0:
	s_clause 0x2
	s_load_dword s9, s[4:5], 0x80
	s_load_dwordx2 s[0:1], s[4:5], 0x30
	s_load_dwordx2 s[28:29], s[4:5], 0x20
	s_mov_b32 s10, s7
	s_ashr_i32 s11, s7, 31
	s_mov_b32 s33, 0
	s_lshl_b64 s[2:3], s[10:11], 2
	s_waitcnt lgkmcnt(0)
	s_add_u32 s0, s0, s2
	s_addc_u32 s1, s1, s3
	s_abs_i32 s2, s28
	s_abs_i32 s11, s9
	v_cvt_f32_u32_e32 v1, s2
	s_sub_i32 s7, 0, s2
	v_rcp_iflag_f32_e32 v1, v1
	v_mul_f32_e32 v1, 0x4f7ffffe, v1
	v_cvt_u32_f32_e32 v1, v1
	v_readfirstlane_b32 s3, v1
	s_mul_i32 s7, s7, s3
	s_mul_hi_u32 s7, s3, s7
	s_add_i32 s3, s3, s7
	s_xor_b32 s7, s9, s28
	s_mul_hi_u32 s3, s11, s3
	s_ashr_i32 s7, s7, 31
	s_mul_i32 s12, s3, s2
	s_sub_i32 s11, s11, s12
	s_add_i32 s12, s3, 1
	s_sub_i32 s13, s11, s2
	s_cmp_ge_u32 s11, s2
	s_cselect_b32 s3, s12, s3
	s_cselect_b32 s11, s13, s11
	s_add_i32 s12, s3, 1
	s_cmp_ge_u32 s11, s2
	s_cselect_b32 s2, s12, s3
	s_abs_i32 s23, s6
	s_xor_b32 s2, s2, s7
	s_sub_i32 s16, s2, s7
	s_load_dwordx2 s[2:3], s[4:5], 0x40
	s_abs_i32 s22, s16
	v_cvt_f32_u32_e32 v1, s22
	s_sub_i32 s11, 0, s22
	v_rcp_iflag_f32_e32 v1, v1
	v_mul_f32_e32 v1, 0x4f7ffffe, v1
	v_cvt_u32_f32_e32 v1, v1
	v_readfirstlane_b32 s7, v1
	s_mul_i32 s11, s11, s7
	s_mul_hi_u32 s11, s7, s11
	s_add_i32 s7, s7, s11
	s_waitcnt lgkmcnt(0)
	s_cmp_eq_u64 s[2:3], 0
	s_mul_hi_u32 s24, s23, s7
	s_cbranch_scc1 .LBB54_2
; %bb.1:
	s_ashr_i32 s7, s6, 31
	s_lshl_b64 s[12:13], s[6:7], 2
	s_add_u32 s2, s2, s12
	s_addc_u32 s3, s3, s13
	s_load_dword s33, s[2:3], 0x0
.LBB54_2:
	s_load_dword s11, s[0:1], 0x0
	s_load_dwordx4 s[12:15], s[4:5], 0x48
	v_and_b32_e32 v1, 3, v0
	v_lshlrev_b32_e32 v2, 2, v0
	s_ashr_i32 s0, s6, 31
	s_ashr_i32 s1, s16, 31
	s_lshl_b32 s20, s6, 5
	s_mov_b32 s2, exec_lo
	v_cmpx_gt_u32_e32 16, v0
	s_cbranch_execz .LBB54_4
; %bb.3:
	s_load_dwordx2 s[16:17], s[4:5], 0x8
	s_waitcnt lgkmcnt(0)
	s_mul_i32 s18, s12, s10
	v_and_b32_e32 v4, 0x3fc, v0
	s_ashr_i32 s19, s18, 31
	s_lshl_b64 s[18:19], s[18:19], 1
	v_lshl_add_u32 v4, v1, 4, v4
	s_add_u32 s3, s16, s18
	s_addc_u32 s7, s17, s19
	s_ashr_i32 s21, s20, 31
	s_lshl_b64 s[16:17], s[20:21], 1
	s_add_u32 s16, s3, s16
	s_addc_u32 s17, s7, s17
	global_load_dword v3, v2, s[16:17]
	s_waitcnt vmcnt(0)
	ds_write_b32 v4, v3
.LBB54_4:
	s_or_b32 exec_lo, exec_lo, s2
	s_load_dwordx4 s[16:19], s[4:5], 0x68
	s_mul_i32 s2, s24, s22
	s_xor_b32 s1, s0, s1
	s_sub_i32 s0, s23, s2
	s_add_i32 s2, s24, 1
	s_sub_i32 s3, s0, s22
	s_cmp_ge_u32 s0, s22
	s_waitcnt lgkmcnt(0)
	s_mov_b32 s12, -1
	s_cselect_b32 s2, s2, s24
	s_cselect_b32 s0, s3, s0
	s_add_i32 s3, s2, 1
	s_cmp_ge_u32 s0, s22
	s_load_dword s0, s[4:5], 0x78
	s_cselect_b32 s2, s3, s2
	s_add_i32 s7, s11, -1
	s_xor_b32 s2, s2, s1
	s_abs_i32 s3, s7
	s_sub_i32 s1, s2, s1
	s_waitcnt lgkmcnt(0)
	s_barrier
	s_abs_i32 s21, s19
	buffer_gl0_inv
	v_cvt_f32_u32_e32 v3, s21
	s_sub_i32 s2, 0, s21
                                        ; implicit-def: $sgpr31
	v_rcp_iflag_f32_e32 v3, v3
	v_mul_f32_e32 v3, 0x4f7ffffe, v3
	v_cvt_u32_f32_e32 v3, v3
	v_readfirstlane_b32 s30, v3
	s_mul_i32 s2, s2, s30
	s_mul_hi_u32 s2, s30, s2
	s_add_i32 s30, s30, s2
	s_cmp_lt_i32 s0, 0
	s_mul_hi_u32 s2, s3, s30
	s_cbranch_scc0 .LBB54_6
; %bb.5:
	s_mul_i32 s12, s16, s28
	s_add_i32 s12, s1, s12
	s_mul_i32 s12, s12, s0
	s_sub_i32 s31, 1, s12
	s_mov_b32 s12, 0
.LBB54_6:
	s_load_dwordx2 s[22:23], s[4:5], 0x28
	s_ashr_i32 s7, s7, 31
	s_andn2_b32 vcc_lo, exec_lo, s12
	s_ashr_i32 s19, s19, 31
	s_cbranch_vccnz .LBB54_8
; %bb.7:
	s_mul_i32 s12, s9, s16
	s_add_i32 s6, s12, s6
	s_mul_i32 s0, s6, s0
	s_add_i32 s31, s0, 1
.LBB54_8:
	s_load_dword s0, s[4:5], 0x38
	s_mul_i32 s6, s2, s21
	s_xor_b32 s15, s7, s19
	s_sub_i32 s3, s3, s6
	s_add_i32 s16, s2, 1
	s_clause 0x2
	s_load_dwordx2 s[6:7], s[4:5], 0x0
	s_load_dwordx2 s[26:27], s[4:5], 0x18
	s_load_dword s12, s[4:5], 0x88
	v_lshrrev_b32_e32 v7, 5, v0
	v_mov_b32_e32 v5, 0xff7fffff
	v_lshrrev_b32_e32 v3, 3, v0
	v_mbcnt_lo_u32_b32 v4, -1, 0
	s_mul_i32 s14, s1, s14
	v_lshlrev_b32_e32 v8, 3, v7
	s_waitcnt lgkmcnt(0)
	s_mul_i32 s24, s0, s10
	s_sub_i32 s0, s3, s21
	s_ashr_i32 s25, s24, 31
	s_cmp_ge_u32 s3, s21
	s_cselect_b32 s2, s16, s2
	s_cselect_b32 s0, s0, s3
	s_add_i32 s3, s2, 1
	s_cmp_ge_u32 s0, s21
	s_cselect_b32 s0, s3, s2
	s_add_i32 s2, s11, 7
	s_ashr_i32 s3, s2, 31
	s_lshr_b32 s3, s3, 29
	s_add_i32 s2, s2, s3
	s_ashr_i32 s16, s2, 3
	s_xor_b32 s2, s0, s15
	v_cmp_gt_i32_e64 s0, s16, v7
	s_sub_i32 s28, s2, s15
	s_and_saveexec_b32 s34, s0
	s_cbranch_execz .LBB54_20
; %bb.9:
	s_load_dwordx2 s[2:3], s[4:5], 0x10
	s_ashr_i32 s15, s14, 31
	s_sub_i32 s4, s28, s17
	s_lshl_b64 s[36:37], s[14:15], 1
	v_bfe_u32 v6, v0, 2, 3
	v_and_b32_e32 v16, 12, v2
	v_cmp_eq_u32_e32 vcc_lo, 0, v1
	v_lshlrev_b32_e32 v9, 4, v1
	v_and_b32_e32 v1, 0x7c, v3
	v_lshlrev_b32_e32 v2, 2, v6
	v_subrev_nc_u32_e32 v15, s11, v6
	v_lshlrev_b32_e32 v17, 4, v6
	v_cmp_neq_f32_e64 s1, s33, 0
	v_lshlrev_b32_e32 v10, 3, v7
	v_lshl_or_b32 v2, v7, 5, v2
	v_mov_b32_e32 v11, 0xff7fffff
	v_xor_b32_e32 v12, 2, v4
	v_xor_b32_e32 v13, 1, v4
	s_waitcnt lgkmcnt(0)
	s_add_u32 s15, s2, s36
	s_addc_u32 s35, s3, s37
	s_abs_i32 s5, s18
	v_add_co_u32 v17, s15, s15, v17
	v_cvt_f32_u32_e32 v5, s5
	s_sub_i32 s2, 0, s5
	v_add_co_ci_u32_e64 v19, null, s35, 0, s15
	s_mov_b32 s15, 0
	v_rcp_iflag_f32_e32 v5, v5
	s_mov_b32 s35, s13
	v_mul_f32_e32 v14, 0x4f7ffffe, v5
	v_mov_b32_e32 v5, 0xff7fffff
	v_cvt_u32_f32_e32 v18, v14
	v_add_nc_u32_e32 v14, 1, v15
	v_add_nc_u32_e32 v15, 0x60, v2
	v_mul_lo_u32 v2, s2, v18
	s_lshl_b64 s[2:3], s[24:25], 2
	s_add_u32 s2, s22, s2
	s_addc_u32 s3, s23, s3
	v_add_co_u32 v1, s2, s2, v1
	v_mul_hi_u32 v20, v18, v2
	v_add_co_ci_u32_e64 v2, null, s3, 0, s2
	v_add_co_u32 v16, s2, v17, v16
	v_add_co_ci_u32_e64 v17, null, 0, v19, s2
	v_mov_b32_e32 v19, v7
	v_add_nc_u32_e32 v18, v18, v20
	s_branch .LBB54_12
.LBB54_10:                              ;   in Loop: Header=BB54_12 Depth=1
	s_or_b32 exec_lo, exec_lo, s36
.LBB54_11:                              ;   in Loop: Header=BB54_12 Depth=1
	s_or_b32 exec_lo, exec_lo, s3
	v_add_nc_u32_e32 v19, 4, v19
	v_add_co_u32 v1, s3, v1, 16
	v_add_co_ci_u32_e64 v2, null, 0, v2, s3
	v_cmp_le_i32_e64 s2, s16, v19
	v_add_nc_u32_e32 v10, 32, v10
	v_add_nc_u32_e32 v15, 0x80, v15
	s_or_b32 s15, s2, s15
	s_andn2_b32 exec_lo, exec_lo, s15
	s_cbranch_execz .LBB54_19
.LBB54_12:                              ; =>This Inner Loop Header: Depth=1
	v_mul_hi_u32 v20, v10, s30
	s_waitcnt lgkmcnt(0)
	v_mul_lo_u32 v21, v20, s21
	v_add_nc_u32_e32 v22, 1, v20
	v_sub_nc_u32_e32 v21, v10, v21
	v_subrev_nc_u32_e32 v23, s21, v21
	v_cmp_le_u32_e64 s2, s21, v21
	v_cndmask_b32_e64 v20, v20, v22, s2
	v_cndmask_b32_e64 v21, v21, v23, s2
	v_add_nc_u32_e32 v22, 1, v20
	v_cmp_le_u32_e64 s2, s21, v21
	v_cndmask_b32_e64 v20, v20, v22, s2
	v_xor_b32_e32 v20, s19, v20
	v_subrev_nc_u32_e32 v20, s19, v20
	v_add_nc_u32_e32 v21, s31, v20
	v_cmp_ge_i32_e64 s3, s4, v20
	v_sub_nc_u32_e32 v22, 0, v21
	v_max_i32_e32 v22, v21, v22
	v_ashrrev_i32_e32 v21, 31, v21
	v_mul_hi_u32 v23, v22, v18
	v_mul_lo_u32 v23, v23, s5
	v_sub_nc_u32_e32 v22, v22, v23
	v_subrev_nc_u32_e32 v23, s5, v22
	v_cmp_le_u32_e64 s2, s5, v22
	v_cndmask_b32_e64 v22, v22, v23, s2
	v_subrev_nc_u32_e32 v23, s5, v22
	v_cmp_le_u32_e64 s2, s5, v22
	v_cndmask_b32_e64 v22, v22, v23, s2
	v_xor_b32_e32 v22, v22, v21
	v_sub_nc_u32_e32 v21, v22, v21
	v_cmp_ne_u32_e64 s2, 0, v21
	s_and_b32 s2, s2, s3
	s_and_saveexec_b32 s3, s2
	s_xor_b32 s2, exec_lo, s3
	s_cbranch_execz .LBB54_16
; %bb.13:                               ;   in Loop: Header=BB54_12 Depth=1
	s_and_saveexec_b32 s3, vcc_lo
; %bb.14:                               ;   in Loop: Header=BB54_12 Depth=1
	ds_write_b32 v15, v11
; %bb.15:                               ;   in Loop: Header=BB54_12 Depth=1
	s_or_b32 exec_lo, exec_lo, s3
.LBB54_16:                              ;   in Loop: Header=BB54_12 Depth=1
	s_andn2_saveexec_b32 s3, s2
	s_cbranch_execz .LBB54_11
; %bb.17:                               ;   in Loop: Header=BB54_12 Depth=1
	global_load_dword v20, v[1:2], off
	s_waitcnt vmcnt(0)
	v_mad_i64_i32 v[20:21], null, v20, s35, 0
	v_lshlrev_b64 v[20:21], 1, v[20:21]
	v_add_co_u32 v20, s2, v16, v20
	v_add_co_ci_u32_e64 v21, null, v17, v21, s2
	v_cmp_gt_i32_e64 s2, 32, v12
	s_clause 0x3
	global_load_dword v22, v[20:21], off
	global_load_dword v23, v[20:21], off offset:128
	global_load_dword v24, v[20:21], off offset:256
	;; [unrolled: 1-line block ×3, first 2 shown]
	ds_read_b32 v21, v9
	s_waitcnt lgkmcnt(0)
	v_and_b32_e32 v25, 0xffff, v21
	v_lshrrev_b32_e32 v26, 16, v21
	;;#ASMSTART
	v_cvt_f32_f16 v21, v25;
	;;#ASMEND
	s_waitcnt vmcnt(3)
	v_and_b32_e32 v27, 0xffff, v22
	v_lshrrev_b32_e32 v28, 16, v22
	;;#ASMSTART
	v_cvt_f32_f16 v22, v26;
	;;#ASMEND
	;;#ASMSTART
	v_cvt_f32_f16 v25, v27;
	;;#ASMEND
	;; [unrolled: 3-line block ×3, first 2 shown]
	ds_read_b32 v27, v9 offset:4
	s_waitcnt vmcnt(2)
	v_and_b32_e32 v29, 0xffff, v23
	v_lshrrev_b32_e32 v30, 16, v23
	s_waitcnt vmcnt(1)
	v_and_b32_e32 v32, 0xffff, v24
	v_lshrrev_b32_e32 v33, 16, v24
	s_waitcnt lgkmcnt(0)
	v_and_b32_e32 v28, 0xffff, v27
	v_lshrrev_b32_e32 v27, 16, v27
	;;#ASMSTART
	v_cvt_f32_f16 v23, v28;
	;;#ASMEND
	;;#ASMSTART
	v_cvt_f32_f16 v27, v27;
	;;#ASMEND
	;; [unrolled: 3-line block ×4, first 2 shown]
	ds_read_b32 v30, v9 offset:8
	v_mul_f32_e32 v23, v23, v28
	v_mul_f32_e32 v27, v27, v29
	v_cndmask_b32_e64 v28, v4, v12, s2
	s_waitcnt vmcnt(0)
	v_lshrrev_b32_e32 v29, 16, v20
	v_cmp_gt_i32_e64 s2, 32, v13
	v_fmac_f32_e32 v23, v21, v25
	v_fmac_f32_e32 v27, v22, v26
	v_and_b32_e32 v25, 0xffff, v20
	s_waitcnt lgkmcnt(0)
	v_and_b32_e32 v31, 0xffff, v30
	v_lshrrev_b32_e32 v30, 16, v30
	;;#ASMSTART
	v_cvt_f32_f16 v24, v31;
	;;#ASMEND
	;;#ASMSTART
	v_cvt_f32_f16 v30, v30;
	;;#ASMEND
	;; [unrolled: 3-line block ×4, first 2 shown]
	ds_read_b32 v33, v9 offset:12
	v_fmac_f32_e32 v23, v24, v31
	v_fmac_f32_e32 v27, v30, v32
	s_waitcnt lgkmcnt(0)
	v_and_b32_e32 v21, 0xffff, v33
	v_lshrrev_b32_e32 v22, 16, v33
	;;#ASMSTART
	v_cvt_f32_f16 v20, v21;
	;;#ASMEND
	;;#ASMSTART
	v_cvt_f32_f16 v21, v22;
	;;#ASMEND
	;; [unrolled: 3-line block ×4, first 2 shown]
	v_fmac_f32_e32 v23, v20, v22
	v_fmac_f32_e32 v27, v21, v24
	v_lshlrev_b32_e32 v20, 2, v28
	v_cndmask_b32_e64 v22, v4, v13, s2
	v_add_f32_e32 v21, v23, v27
	ds_bpermute_b32 v20, v20, v21
	s_waitcnt lgkmcnt(0)
	v_add_f32_e32 v20, v21, v20
	v_lshlrev_b32_e32 v21, 2, v22
	ds_bpermute_b32 v21, v21, v20
	s_and_saveexec_b32 s36, vcc_lo
	s_cbranch_execz .LBB54_10
; %bb.18:                               ;   in Loop: Header=BB54_12 Depth=1
	v_add_nc_u32_e32 v22, v14, v10
	s_waitcnt lgkmcnt(0)
	v_add_f32_e32 v20, v20, v21
	v_cvt_f32_i32_e32 v22, v22
	v_mul_f32_e32 v22, s33, v22
	v_cndmask_b32_e64 v21, 0, v22, s1
	v_max_f32_e32 v22, v5, v5
	v_fmac_f32_e32 v21, s29, v20
	v_add_nc_u32_e32 v20, v6, v10
	v_max_f32_e32 v22, v22, v21
	v_cmp_gt_i32_e64 s2, s11, v20
	v_cndmask_b32_e64 v20, 0, v21, s2
	v_cndmask_b32_e64 v5, v5, v22, s2
	ds_write_b32 v15, v20
	s_branch .LBB54_10
.LBB54_19:
	s_or_b32 exec_lo, exec_lo, s15
.LBB54_20:
	s_or_b32 exec_lo, exec_lo, s34
	v_xor_b32_e32 v1, 16, v4
	v_xor_b32_e32 v6, 8, v4
	v_max_f32_e32 v9, v5, v5
	v_cmp_gt_i32_e32 vcc_lo, 32, v1
	v_cndmask_b32_e32 v1, v4, v1, vcc_lo
	v_cmp_gt_i32_e32 vcc_lo, 32, v6
	v_lshlrev_b32_e32 v2, 2, v1
	ds_bpermute_b32 v1, v2, v5
	v_cndmask_b32_e32 v5, v4, v6, vcc_lo
	v_lshlrev_b32_e32 v5, 2, v5
	s_waitcnt lgkmcnt(0)
	v_max_f32_e32 v1, v1, v1
	v_max_f32_e32 v1, v9, v1
	v_xor_b32_e32 v9, 4, v4
	ds_bpermute_b32 v6, v5, v1
	v_cmp_gt_i32_e32 vcc_lo, 32, v9
	v_cndmask_b32_e32 v9, v4, v9, vcc_lo
	v_lshlrev_b32_e32 v11, 2, v9
	v_and_b32_e32 v9, 31, v0
	v_cmp_eq_u32_e32 vcc_lo, 0, v9
	s_waitcnt lgkmcnt(0)
	v_max_f32_e32 v6, v6, v6
	v_max_f32_e32 v1, v1, v6
	v_lshlrev_b32_e32 v6, 2, v7
	ds_bpermute_b32 v10, v11, v1
	s_and_saveexec_b32 s1, vcc_lo
	s_cbranch_execz .LBB54_22
; %bb.21:
	s_waitcnt lgkmcnt(0)
	v_max_f32_e32 v10, v10, v10
	v_max_f32_e32 v1, v1, v1
	;; [unrolled: 1-line block ×3, first 2 shown]
	ds_write_b32 v6, v1 offset:64
.LBB54_22:
	s_or_b32 exec_lo, exec_lo, s1
	v_cmp_gt_u32_e64 s1, 4, v9
	v_mov_b32_e32 v1, 0xff7fffff
	s_waitcnt lgkmcnt(0)
	v_lshlrev_b32_e32 v10, 2, v9
	s_barrier
	buffer_gl0_inv
	s_and_saveexec_b32 s2, s1
; %bb.23:
	ds_read_b32 v1, v10 offset:64
; %bb.24:
	s_or_b32 exec_lo, exec_lo, s2
	v_xor_b32_e32 v12, 2, v4
	v_xor_b32_e32 v14, 1, v4
	v_cmp_gt_i32_e64 s2, 32, v12
	v_cndmask_b32_e64 v12, v4, v12, s2
	v_cmp_gt_i32_e64 s2, 32, v14
	v_lshlrev_b32_e32 v12, 2, v12
	v_cndmask_b32_e64 v4, v4, v14, s2
	s_lshl_b32 s2, s16, 3
	s_min_i32 s4, s2, s11
	s_waitcnt lgkmcnt(0)
	ds_bpermute_b32 v13, v12, v1
	v_max_f32_e32 v1, v1, v1
	v_lshlrev_b32_e32 v4, 2, v4
	v_cmp_gt_i32_e64 s2, s4, v0
	s_waitcnt lgkmcnt(0)
	v_max_f32_e32 v13, v13, v13
	v_max_f32_e32 v1, v1, v13
	ds_bpermute_b32 v13, v4, v1
	s_waitcnt lgkmcnt(0)
	v_max_f32_e32 v13, v13, v13
	v_max_f32_e32 v1, v1, v13
	v_mov_b32_e32 v13, 0
	ds_bpermute_b32 v14, v13, v1
	v_lshl_add_u32 v1, v0, 2, 0x60
	s_and_saveexec_b32 s5, s2
	s_cbranch_execz .LBB54_28
; %bb.25:
	v_lshl_add_u32 v15, v0, 2, 0x60
	v_mov_b32_e32 v13, 0
	v_mov_b32_e32 v16, v0
	s_mov_b32 s15, 0
	.p2align	6
.LBB54_26:                              ; =>This Inner Loop Header: Depth=1
	ds_read_b32 v17, v15
	v_add_nc_u32_e32 v16, 0x80, v16
	v_cmp_le_i32_e64 s3, s4, v16
	s_or_b32 s15, s3, s15
	s_waitcnt lgkmcnt(0)
	v_sub_f32_e32 v17, v17, v14
	v_mul_f32_e32 v17, 0x3fb8aa3b, v17
	v_exp_f32_e32 v17, v17
	ds_write_b32 v15, v17
	v_add_f32_e32 v13, v13, v17
	v_add_nc_u32_e32 v15, 0x200, v15
	s_andn2_b32 exec_lo, exec_lo, s15
	s_cbranch_execnz .LBB54_26
; %bb.27:
	s_or_b32 exec_lo, exec_lo, s15
.LBB54_28:
	s_or_b32 exec_lo, exec_lo, s5
	ds_bpermute_b32 v2, v2, v13
	s_waitcnt lgkmcnt(0)
	v_add_f32_e32 v2, v13, v2
	ds_bpermute_b32 v5, v5, v2
	s_waitcnt lgkmcnt(0)
	v_add_f32_e32 v2, v2, v5
	;; [unrolled: 3-line block ×5, first 2 shown]
	s_and_saveexec_b32 s3, vcc_lo
; %bb.29:
	ds_write_b32 v6, v2 offset:80
; %bb.30:
	s_or_b32 exec_lo, exec_lo, s3
	s_waitcnt lgkmcnt(0)
	s_barrier
	buffer_gl0_inv
	s_and_saveexec_b32 s3, s1
; %bb.31:
	ds_read_b32 v2, v10 offset:80
; %bb.32:
	s_or_b32 exec_lo, exec_lo, s3
	s_waitcnt lgkmcnt(0)
	ds_bpermute_b32 v5, v12, v2
	s_waitcnt lgkmcnt(0)
	v_add_f32_e32 v2, v2, v5
	ds_bpermute_b32 v4, v4, v2
	s_waitcnt lgkmcnt(0)
	v_add_f32_e32 v2, v2, v4
	v_mov_b32_e32 v4, 0
	ds_bpermute_b32 v2, v4, v2
	s_and_saveexec_b32 s1, s2
	s_cbranch_execz .LBB54_35
; %bb.33:
	s_waitcnt lgkmcnt(0)
	v_add_f32_e32 v2, 0x358637bd, v2
	s_mov_b32 s2, 0
	v_div_scale_f32 v4, null, v2, v2, 1.0
	v_div_scale_f32 v10, vcc_lo, 1.0, v2, 1.0
	v_rcp_f32_e32 v5, v4
	v_fma_f32 v6, -v4, v5, 1.0
	v_fmac_f32_e32 v5, v6, v5
	v_mul_f32_e32 v6, v10, v5
	v_fma_f32 v11, -v4, v6, v10
	v_fmac_f32_e32 v6, v11, v5
	v_fma_f32 v4, -v4, v6, v10
	v_div_fmas_f32 v4, v4, v5, v6
	v_div_fixup_f32 v2, v4, v2, 1.0
	v_mov_b32_e32 v4, v0
.LBB54_34:                              ; =>This Inner Loop Header: Depth=1
	ds_read_b32 v5, v1
	v_add_nc_u32_e32 v4, 0x80, v4
	v_cmp_le_i32_e32 vcc_lo, s4, v4
	s_or_b32 s2, vcc_lo, s2
	s_waitcnt lgkmcnt(0)
	v_mul_f32_e32 v5, v2, v5
	ds_write_b32 v1, v5
	v_add_nc_u32_e32 v1, 0x200, v1
	s_andn2_b32 exec_lo, exec_lo, s2
	s_cbranch_execnz .LBB54_34
.LBB54_35:
	s_or_b32 exec_lo, exec_lo, s1
	v_mov_b32_e32 v10, 0
	s_waitcnt lgkmcnt(0)
	s_barrier
	buffer_gl0_inv
	s_and_saveexec_b32 s1, s0
	s_cbranch_execz .LBB54_43
; %bb.36:
	s_ashr_i32 s15, s14, 31
	s_sub_i32 s2, s28, s17
	s_lshl_b64 s[4:5], s[14:15], 1
	v_lshlrev_b32_e32 v4, 4, v9
	s_add_u32 s0, s26, s4
	s_addc_u32 s5, s27, s5
	s_abs_i32 s3, s18
	v_and_b32_e32 v3, 0x7c, v3
	v_cvt_f32_u32_e32 v1, s3
	s_sub_i32 s4, 0, s3
	s_lshl_b64 s[14:15], s[24:25], 2
	v_add_co_u32 v14, s0, s0, v4
	v_rcp_iflag_f32_e32 v1, v1
	v_add_co_ci_u32_e64 v15, null, s5, 0, s0
	v_mov_b32_e32 v11, 0
	v_lshl_add_u32 v12, v7, 5, 0x60
	v_mov_b32_e32 v13, v7
	v_mov_b32_e32 v10, 0
	v_mul_f32_e32 v1, 0x4f7ffffe, v1
	v_cvt_u32_f32_e32 v1, v1
	v_mul_lo_u32 v2, s4, v1
	s_add_i32 s4, s16, -1
	s_add_u32 s0, s22, s14
	s_addc_u32 s5, s23, s15
	v_add_co_u32 v5, s0, s0, v3
	v_add_co_ci_u32_e64 v6, null, s5, 0, s0
	v_mul_hi_u32 v2, v1, v2
	s_mov_b32 s5, 0
	v_add_nc_u32_e32 v16, v1, v2
	s_branch .LBB54_39
.LBB54_37:                              ;   in Loop: Header=BB54_39 Depth=1
	s_or_b32 exec_lo, exec_lo, s14
	v_and_b32_e32 v22, 0xffff, v22
	v_and_b32_e32 v23, 0xffff, v23
	v_lshlrev_b32_e32 v27, 16, v27
	v_and_b32_e32 v24, 0xffff, v24
	v_and_b32_e32 v21, 0xffff, v21
	v_lshl_or_b32 v19, v19, 16, v22
	v_lshl_or_b32 v20, v20, 16, v23
	v_lshlrev_b32_e32 v22, 16, v26
	v_lshlrev_b32_e32 v23, 16, v25
	v_and_or_b32 v1, 0xffff, v1, v27
	;;#ASMSTART
	v_pk_mul_f16 v1, v19, v1;

	;;#ASMEND
	v_lshl_or_b32 v18, v18, 16, v24
	v_and_or_b32 v2, 0xffff, v2, v22
	v_and_or_b32 v3, 0xffff, v3, v23
	v_lshl_or_b32 v17, v17, 16, v21
	;;#ASMSTART
	v_pk_mul_f16 v2, v20, v2;

	;;#ASMEND
	;;#ASMSTART
	v_pk_mul_f16 v3, v18, v3;

	;;#ASMEND
	;; [unrolled: 4-line block ×3, first 2 shown]
	;;#ASMSTART
	v_pk_add_f16 v1, v1, v2;

	;;#ASMEND
	;;#ASMSTART
	v_pk_add_f16 v1, v1, v3;

	;;#ASMEND
	;; [unrolled: 4-line block ×3, first 2 shown]
	v_and_b32_e32 v2, 0xffff, v1
	v_lshrrev_b32_e32 v3, 16, v1
	;;#ASMSTART
	v_cvt_f32_f16 v1, v2;
	;;#ASMEND
	;;#ASMSTART
	v_cvt_f32_f16 v2, v3;
	;;#ASMEND
	v_add_f32_e32 v1, v1, v2
	v_add_f32_e32 v10, v10, v1
.LBB54_38:                              ;   in Loop: Header=BB54_39 Depth=1
	s_or_b32 exec_lo, exec_lo, s0
	v_add_nc_u32_e32 v13, 4, v13
	v_add_co_u32 v5, s0, v5, 16
	v_add_co_ci_u32_e64 v6, null, 0, v6, s0
	v_cmp_le_i32_e32 vcc_lo, s16, v13
	v_add_nc_u32_e32 v8, 32, v8
	v_add_nc_u32_e32 v12, 0x80, v12
	s_or_b32 s5, vcc_lo, s5
	s_andn2_b32 exec_lo, exec_lo, s5
	s_cbranch_execz .LBB54_42
.LBB54_39:                              ; =>This Inner Loop Header: Depth=1
	v_mul_hi_u32 v1, v8, s30
	v_mul_lo_u32 v2, v1, s21
	v_add_nc_u32_e32 v3, 1, v1
	v_sub_nc_u32_e32 v2, v8, v2
	v_subrev_nc_u32_e32 v4, s21, v2
	v_cmp_le_u32_e32 vcc_lo, s21, v2
	v_cndmask_b32_e32 v1, v1, v3, vcc_lo
	v_cndmask_b32_e32 v2, v2, v4, vcc_lo
	v_add_nc_u32_e32 v3, 1, v1
	v_cmp_le_u32_e32 vcc_lo, s21, v2
	v_cndmask_b32_e32 v1, v1, v3, vcc_lo
	v_xor_b32_e32 v1, s19, v1
	v_subrev_nc_u32_e32 v1, s19, v1
	v_add_nc_u32_e32 v2, s31, v1
	v_cmp_lt_i32_e64 s0, s2, v1
	v_sub_nc_u32_e32 v3, 0, v2
	v_max_i32_e32 v3, v2, v3
	v_ashrrev_i32_e32 v2, 31, v2
	v_mul_hi_u32 v4, v3, v16
	v_mul_lo_u32 v4, v4, s3
	v_sub_nc_u32_e32 v3, v3, v4
	v_subrev_nc_u32_e32 v4, s3, v3
	v_cmp_le_u32_e32 vcc_lo, s3, v3
	v_cndmask_b32_e32 v3, v3, v4, vcc_lo
	v_subrev_nc_u32_e32 v4, s3, v3
	v_cmp_le_u32_e32 vcc_lo, s3, v3
	v_cndmask_b32_e32 v3, v3, v4, vcc_lo
	v_xor_b32_e32 v3, v3, v2
	v_sub_nc_u32_e32 v2, v3, v2
	v_cmp_eq_u32_e32 vcc_lo, 0, v2
	s_or_b32 s14, vcc_lo, s0
	s_and_saveexec_b32 s0, s14
	s_cbranch_execz .LBB54_38
; %bb.40:                               ;   in Loop: Header=BB54_39 Depth=1
	global_load_dword v17, v[5:6], off
	ds_read2_b64 v[1:4], v12 offset1:1
	ds_read2_b64 v[24:27], v12 offset0:2 offset1:3
	s_mov_b32 s14, exec_lo
	s_waitcnt lgkmcnt(1)
	;;#ASMSTART
	v_cvt_f16_f32 v22, v1;

	;;#ASMEND
	;;#ASMSTART
	v_cvt_f16_f32 v19, v2;

	;;#ASMEND
	;; [unrolled: 4-line block ×4, first 2 shown]
	s_waitcnt lgkmcnt(0)
	;;#ASMSTART
	v_cvt_f16_f32 v24, v24;

	;;#ASMEND
	s_waitcnt vmcnt(0)
	v_mad_i64_i32 v[17:18], null, v17, s13, 0
	v_lshlrev_b64 v[17:18], 1, v[17:18]
	v_add_co_u32 v1, vcc_lo, v14, v17
	v_add_co_ci_u32_e64 v2, null, v15, v18, vcc_lo
	;;#ASMSTART
	v_cvt_f16_f32 v18, v25;

	;;#ASMEND
	;;#ASMSTART
	v_cvt_f16_f32 v21, v26;

	;;#ASMEND
	;;#ASMSTART
	v_cvt_f16_f32 v17, v27;

	;;#ASMEND
	global_load_dwordx4 v[1:4], v[1:2], off
	s_waitcnt vmcnt(0)
	v_lshrrev_b32_e32 v27, 16, v1
	v_lshrrev_b32_e32 v26, 16, v2
	;; [unrolled: 1-line block ×3, first 2 shown]
	v_cmpx_eq_u32_e64 s4, v13
	s_cbranch_execz .LBB54_37
; %bb.41:                               ;   in Loop: Header=BB54_39 Depth=1
	v_add_nc_u32_e32 v28, 1, v8
	v_cmp_gt_i32_e32 vcc_lo, s11, v8
	v_add_nc_u32_e32 v29, 2, v8
	v_add_nc_u32_e32 v30, 3, v8
	v_and_b32_e32 v31, 0xffff0000, v4
	v_cndmask_b32_e32 v1, 0, v1, vcc_lo
	v_cmp_gt_i32_e32 vcc_lo, s11, v28
	v_add_nc_u32_e32 v28, 6, v8
	v_cndmask_b32_e32 v27, 0, v27, vcc_lo
	v_cmp_gt_i32_e32 vcc_lo, s11, v29
	v_add_nc_u32_e32 v29, 5, v8
	;; [unrolled: 3-line block ×4, first 2 shown]
	v_cndmask_b32_sdwa v4, v11, v4, vcc_lo dst_sel:DWORD dst_unused:UNUSED_PAD src0_sel:DWORD src1_sel:WORD_0
	v_cmp_gt_i32_e32 vcc_lo, s11, v30
	v_cndmask_b32_e32 v30, 0, v31, vcc_lo
	v_cmp_gt_i32_e32 vcc_lo, s11, v28
	v_or_b32_e32 v4, v4, v30
	v_cndmask_b32_e32 v3, 0, v3, vcc_lo
	v_cmp_gt_i32_e32 vcc_lo, s11, v29
	v_cndmask_b32_e32 v25, 0, v25, vcc_lo
	s_branch .LBB54_37
.LBB54_42:
	s_or_b32 exec_lo, exec_lo, s5
.LBB54_43:
	s_or_b32 exec_lo, exec_lo, s1
	v_and_b32_e32 v2, 0x3c0, v0
	v_lshl_add_u32 v1, v9, 2, 0x60
	s_mov_b32 s0, exec_lo
	s_barrier
	buffer_gl0_inv
	v_cmpx_eq_u32_e32 64, v2
; %bb.44:
	v_lshlrev_b32_e32 v2, 7, v7
	v_add3_u32 v2, v1, v2, 0xffffff00
	ds_write_b32 v2, v10
; %bb.45:
	s_or_b32 exec_lo, exec_lo, s0
	v_and_b32_e32 v3, 0x3e0, v0
	s_mov_b32 s0, exec_lo
	s_waitcnt lgkmcnt(0)
	s_barrier
	buffer_gl0_inv
	v_lshl_add_u32 v2, v3, 2, v1
	v_cmpx_gt_u32_e32 64, v0
	s_cbranch_execz .LBB54_47
; %bb.46:
	ds_read_b32 v4, v2
	s_waitcnt lgkmcnt(0)
	v_add_f32_e32 v10, v10, v4
.LBB54_47:
	s_or_b32 exec_lo, exec_lo, s0
	s_mov_b32 s0, exec_lo
	s_barrier
	buffer_gl0_inv
	v_cmpx_eq_u32_e32 32, v3
; %bb.48:
	ds_write_b32 v1, v10
; %bb.49:
	s_or_b32 exec_lo, exec_lo, s0
	v_cmp_gt_u32_e32 vcc_lo, 32, v0
	s_waitcnt lgkmcnt(0)
	s_barrier
	buffer_gl0_inv
	s_and_saveexec_b32 s0, vcc_lo
	s_cbranch_execz .LBB54_51
; %bb.50:
	ds_read_b32 v0, v2
	s_waitcnt lgkmcnt(0)
	v_add_f32_e32 v10, v10, v0
.LBB54_51:
	s_or_b32 exec_lo, exec_lo, s0
	s_barrier
	buffer_gl0_inv
	s_and_saveexec_b32 s0, vcc_lo
	s_cbranch_execz .LBB54_53
; %bb.52:
	s_mul_i32 s0, s10, s12
	s_mul_i32 s2, s12, s20
	;; [unrolled: 1-line block ×3, first 2 shown]
	v_lshlrev_b32_e32 v0, 1, v9
	s_lshl_b32 s0, s0, 5
	;;#ASMSTART
	v_cvt_f16_f32 v1, v10;

	;;#ASMEND
	s_ashr_i32 s1, s0, 31
	s_lshl_b64 s[0:1], s[0:1], 1
	s_add_u32 s4, s6, s0
	s_addc_u32 s5, s7, s1
	s_ashr_i32 s3, s2, 31
	s_lshl_b64 s[0:1], s[2:3], 1
	s_add_u32 s2, s4, s0
	s_addc_u32 s3, s5, s1
	s_lshl_b32 s0, s8, 5
	s_ashr_i32 s1, s0, 31
	s_lshl_b64 s[0:1], s[0:1], 1
	s_add_u32 s0, s2, s0
	s_addc_u32 s1, s3, s1
	global_store_short v0, v1, s[0:1]
.LBB54_53:
	s_endpgm
	.section	.rodata,"a",@progbits
	.p2align	6, 0x0
	.amdhsa_kernel _ZN4vllm25paged_attention_v1_kernelIttLi32ELi8ELi128ELNS_18Fp8KVCacheDataTypeE0ELb1EEEvPT_PKS2_PKT0_S8_ifPKiSA_iPKfiiiSC_SC_iiiii
		.amdhsa_group_segment_fixed_size 96
		.amdhsa_private_segment_fixed_size 0
		.amdhsa_kernarg_size 384
		.amdhsa_user_sgpr_count 6
		.amdhsa_user_sgpr_private_segment_buffer 1
		.amdhsa_user_sgpr_dispatch_ptr 0
		.amdhsa_user_sgpr_queue_ptr 0
		.amdhsa_user_sgpr_kernarg_segment_ptr 1
		.amdhsa_user_sgpr_dispatch_id 0
		.amdhsa_user_sgpr_flat_scratch_init 0
		.amdhsa_user_sgpr_private_segment_size 0
		.amdhsa_wavefront_size32 1
		.amdhsa_uses_dynamic_stack 0
		.amdhsa_system_sgpr_private_segment_wavefront_offset 0
		.amdhsa_system_sgpr_workgroup_id_x 1
		.amdhsa_system_sgpr_workgroup_id_y 1
		.amdhsa_system_sgpr_workgroup_id_z 1
		.amdhsa_system_sgpr_workgroup_info 0
		.amdhsa_system_vgpr_workitem_id 0
		.amdhsa_next_free_vgpr 34
		.amdhsa_next_free_sgpr 38
		.amdhsa_reserve_vcc 1
		.amdhsa_reserve_flat_scratch 0
		.amdhsa_float_round_mode_32 0
		.amdhsa_float_round_mode_16_64 0
		.amdhsa_float_denorm_mode_32 3
		.amdhsa_float_denorm_mode_16_64 3
		.amdhsa_dx10_clamp 1
		.amdhsa_ieee_mode 1
		.amdhsa_fp16_overflow 0
		.amdhsa_workgroup_processor_mode 1
		.amdhsa_memory_ordered 1
		.amdhsa_forward_progress 1
		.amdhsa_shared_vgpr_count 0
		.amdhsa_exception_fp_ieee_invalid_op 0
		.amdhsa_exception_fp_denorm_src 0
		.amdhsa_exception_fp_ieee_div_zero 0
		.amdhsa_exception_fp_ieee_overflow 0
		.amdhsa_exception_fp_ieee_underflow 0
		.amdhsa_exception_fp_ieee_inexact 0
		.amdhsa_exception_int_div_zero 0
	.end_amdhsa_kernel
	.section	.text._ZN4vllm25paged_attention_v1_kernelIttLi32ELi8ELi128ELNS_18Fp8KVCacheDataTypeE0ELb1EEEvPT_PKS2_PKT0_S8_ifPKiSA_iPKfiiiSC_SC_iiiii,"axG",@progbits,_ZN4vllm25paged_attention_v1_kernelIttLi32ELi8ELi128ELNS_18Fp8KVCacheDataTypeE0ELb1EEEvPT_PKS2_PKT0_S8_ifPKiSA_iPKfiiiSC_SC_iiiii,comdat
.Lfunc_end54:
	.size	_ZN4vllm25paged_attention_v1_kernelIttLi32ELi8ELi128ELNS_18Fp8KVCacheDataTypeE0ELb1EEEvPT_PKS2_PKT0_S8_ifPKiSA_iPKfiiiSC_SC_iiiii, .Lfunc_end54-_ZN4vllm25paged_attention_v1_kernelIttLi32ELi8ELi128ELNS_18Fp8KVCacheDataTypeE0ELb1EEEvPT_PKS2_PKT0_S8_ifPKiSA_iPKfiiiSC_SC_iiiii
                                        ; -- End function
	.set _ZN4vllm25paged_attention_v1_kernelIttLi32ELi8ELi128ELNS_18Fp8KVCacheDataTypeE0ELb1EEEvPT_PKS2_PKT0_S8_ifPKiSA_iPKfiiiSC_SC_iiiii.num_vgpr, 34
	.set _ZN4vllm25paged_attention_v1_kernelIttLi32ELi8ELi128ELNS_18Fp8KVCacheDataTypeE0ELb1EEEvPT_PKS2_PKT0_S8_ifPKiSA_iPKfiiiSC_SC_iiiii.num_agpr, 0
	.set _ZN4vllm25paged_attention_v1_kernelIttLi32ELi8ELi128ELNS_18Fp8KVCacheDataTypeE0ELb1EEEvPT_PKS2_PKT0_S8_ifPKiSA_iPKfiiiSC_SC_iiiii.numbered_sgpr, 38
	.set _ZN4vllm25paged_attention_v1_kernelIttLi32ELi8ELi128ELNS_18Fp8KVCacheDataTypeE0ELb1EEEvPT_PKS2_PKT0_S8_ifPKiSA_iPKfiiiSC_SC_iiiii.num_named_barrier, 0
	.set _ZN4vllm25paged_attention_v1_kernelIttLi32ELi8ELi128ELNS_18Fp8KVCacheDataTypeE0ELb1EEEvPT_PKS2_PKT0_S8_ifPKiSA_iPKfiiiSC_SC_iiiii.private_seg_size, 0
	.set _ZN4vllm25paged_attention_v1_kernelIttLi32ELi8ELi128ELNS_18Fp8KVCacheDataTypeE0ELb1EEEvPT_PKS2_PKT0_S8_ifPKiSA_iPKfiiiSC_SC_iiiii.uses_vcc, 1
	.set _ZN4vllm25paged_attention_v1_kernelIttLi32ELi8ELi128ELNS_18Fp8KVCacheDataTypeE0ELb1EEEvPT_PKS2_PKT0_S8_ifPKiSA_iPKfiiiSC_SC_iiiii.uses_flat_scratch, 0
	.set _ZN4vllm25paged_attention_v1_kernelIttLi32ELi8ELi128ELNS_18Fp8KVCacheDataTypeE0ELb1EEEvPT_PKS2_PKT0_S8_ifPKiSA_iPKfiiiSC_SC_iiiii.has_dyn_sized_stack, 0
	.set _ZN4vllm25paged_attention_v1_kernelIttLi32ELi8ELi128ELNS_18Fp8KVCacheDataTypeE0ELb1EEEvPT_PKS2_PKT0_S8_ifPKiSA_iPKfiiiSC_SC_iiiii.has_recursion, 0
	.set _ZN4vllm25paged_attention_v1_kernelIttLi32ELi8ELi128ELNS_18Fp8KVCacheDataTypeE0ELb1EEEvPT_PKS2_PKT0_S8_ifPKiSA_iPKfiiiSC_SC_iiiii.has_indirect_call, 0
	.section	.AMDGPU.csdata,"",@progbits
; Kernel info:
; codeLenInByte = 4348
; TotalNumSgprs: 40
; NumVgprs: 34
; ScratchSize: 0
; MemoryBound: 0
; FloatMode: 240
; IeeeMode: 1
; LDSByteSize: 96 bytes/workgroup (compile time only)
; SGPRBlocks: 0
; VGPRBlocks: 4
; NumSGPRsForWavesPerEU: 40
; NumVGPRsForWavesPerEU: 34
; Occupancy: 16
; WaveLimiterHint : 1
; COMPUTE_PGM_RSRC2:SCRATCH_EN: 0
; COMPUTE_PGM_RSRC2:USER_SGPR: 6
; COMPUTE_PGM_RSRC2:TRAP_HANDLER: 0
; COMPUTE_PGM_RSRC2:TGID_X_EN: 1
; COMPUTE_PGM_RSRC2:TGID_Y_EN: 1
; COMPUTE_PGM_RSRC2:TGID_Z_EN: 1
; COMPUTE_PGM_RSRC2:TIDIG_COMP_CNT: 0
	.section	.text._ZN4vllm25paged_attention_v1_kernelIttLi64ELi8ELi128ELNS_18Fp8KVCacheDataTypeE0ELb1EEEvPT_PKS2_PKT0_S8_ifPKiSA_iPKfiiiSC_SC_iiiii,"axG",@progbits,_ZN4vllm25paged_attention_v1_kernelIttLi64ELi8ELi128ELNS_18Fp8KVCacheDataTypeE0ELb1EEEvPT_PKS2_PKT0_S8_ifPKiSA_iPKfiiiSC_SC_iiiii,comdat
	.protected	_ZN4vllm25paged_attention_v1_kernelIttLi64ELi8ELi128ELNS_18Fp8KVCacheDataTypeE0ELb1EEEvPT_PKS2_PKT0_S8_ifPKiSA_iPKfiiiSC_SC_iiiii ; -- Begin function _ZN4vllm25paged_attention_v1_kernelIttLi64ELi8ELi128ELNS_18Fp8KVCacheDataTypeE0ELb1EEEvPT_PKS2_PKT0_S8_ifPKiSA_iPKfiiiSC_SC_iiiii
	.globl	_ZN4vllm25paged_attention_v1_kernelIttLi64ELi8ELi128ELNS_18Fp8KVCacheDataTypeE0ELb1EEEvPT_PKS2_PKT0_S8_ifPKiSA_iPKfiiiSC_SC_iiiii
	.p2align	8
	.type	_ZN4vllm25paged_attention_v1_kernelIttLi64ELi8ELi128ELNS_18Fp8KVCacheDataTypeE0ELb1EEEvPT_PKS2_PKT0_S8_ifPKiSA_iPKfiiiSC_SC_iiiii,@function
_ZN4vllm25paged_attention_v1_kernelIttLi64ELi8ELi128ELNS_18Fp8KVCacheDataTypeE0ELb1EEEvPT_PKS2_PKT0_S8_ifPKiSA_iPKfiiiSC_SC_iiiii: ; @_ZN4vllm25paged_attention_v1_kernelIttLi64ELi8ELi128ELNS_18Fp8KVCacheDataTypeE0ELb1EEEvPT_PKS2_PKT0_S8_ifPKiSA_iPKfiiiSC_SC_iiiii
; %bb.0:
	s_clause 0x2
	s_load_dword s9, s[4:5], 0x80
	s_load_dwordx2 s[0:1], s[4:5], 0x30
	s_load_dwordx2 s[28:29], s[4:5], 0x20
	s_mov_b32 s10, s7
	s_ashr_i32 s11, s7, 31
	s_mov_b32 s33, 0
	s_lshl_b64 s[2:3], s[10:11], 2
	s_waitcnt lgkmcnt(0)
	s_add_u32 s0, s0, s2
	s_addc_u32 s1, s1, s3
	s_abs_i32 s2, s28
	s_abs_i32 s11, s9
	v_cvt_f32_u32_e32 v1, s2
	s_sub_i32 s7, 0, s2
	v_rcp_iflag_f32_e32 v1, v1
	v_mul_f32_e32 v1, 0x4f7ffffe, v1
	v_cvt_u32_f32_e32 v1, v1
	v_readfirstlane_b32 s3, v1
	s_mul_i32 s7, s7, s3
	s_mul_hi_u32 s7, s3, s7
	s_add_i32 s3, s3, s7
	s_xor_b32 s7, s9, s28
	s_mul_hi_u32 s3, s11, s3
	s_ashr_i32 s7, s7, 31
	s_mul_i32 s12, s3, s2
	s_sub_i32 s11, s11, s12
	s_add_i32 s12, s3, 1
	s_sub_i32 s13, s11, s2
	s_cmp_ge_u32 s11, s2
	s_cselect_b32 s3, s12, s3
	s_cselect_b32 s11, s13, s11
	s_add_i32 s12, s3, 1
	s_cmp_ge_u32 s11, s2
	s_cselect_b32 s2, s12, s3
	s_abs_i32 s23, s6
	s_xor_b32 s2, s2, s7
	s_sub_i32 s16, s2, s7
	s_load_dwordx2 s[2:3], s[4:5], 0x40
	s_abs_i32 s22, s16
	v_cvt_f32_u32_e32 v1, s22
	s_sub_i32 s11, 0, s22
	v_rcp_iflag_f32_e32 v1, v1
	v_mul_f32_e32 v1, 0x4f7ffffe, v1
	v_cvt_u32_f32_e32 v1, v1
	v_readfirstlane_b32 s7, v1
	s_mul_i32 s11, s11, s7
	s_mul_hi_u32 s11, s7, s11
	s_add_i32 s7, s7, s11
	s_waitcnt lgkmcnt(0)
	s_cmp_eq_u64 s[2:3], 0
	s_mul_hi_u32 s24, s23, s7
	s_cbranch_scc1 .LBB55_2
; %bb.1:
	s_ashr_i32 s7, s6, 31
	s_lshl_b64 s[12:13], s[6:7], 2
	s_add_u32 s2, s2, s12
	s_addc_u32 s3, s3, s13
	s_load_dword s33, s[2:3], 0x0
.LBB55_2:
	s_load_dword s11, s[0:1], 0x0
	s_load_dwordx4 s[12:15], s[4:5], 0x48
	v_and_b32_e32 v1, 3, v0
	v_cmp_gt_u32_e64 s0, 32, v0
	v_lshlrev_b32_e32 v2, 2, v0
	s_ashr_i32 s1, s6, 31
	s_ashr_i32 s2, s16, 31
	s_lshl_b32 s20, s6, 6
	s_and_saveexec_b32 s3, s0
	s_cbranch_execz .LBB55_4
; %bb.3:
	s_load_dwordx2 s[16:17], s[4:5], 0x8
	s_waitcnt lgkmcnt(0)
	s_mul_i32 s18, s12, s10
	v_and_b32_e32 v4, 0x3fc, v0
	s_ashr_i32 s19, s18, 31
	s_lshl_b64 s[18:19], s[18:19], 1
	v_lshl_add_u32 v4, v1, 5, v4
	s_add_u32 s7, s16, s18
	s_addc_u32 s12, s17, s19
	s_ashr_i32 s21, s20, 31
	s_lshl_b64 s[16:17], s[20:21], 1
	s_add_u32 s16, s7, s16
	s_addc_u32 s17, s12, s17
	global_load_dword v3, v2, s[16:17]
	s_waitcnt vmcnt(0)
	ds_write_b32 v4, v3
.LBB55_4:
	s_or_b32 exec_lo, exec_lo, s3
	s_load_dwordx4 s[16:19], s[4:5], 0x68
	s_mul_i32 s3, s24, s22
	s_xor_b32 s2, s1, s2
	s_sub_i32 s1, s23, s3
	s_add_i32 s3, s24, 1
	s_sub_i32 s7, s1, s22
	s_cmp_ge_u32 s1, s22
	s_waitcnt lgkmcnt(0)
	s_mov_b32 s15, -1
	s_cselect_b32 s3, s3, s24
	s_cselect_b32 s1, s7, s1
	s_add_i32 s7, s3, 1
	s_cmp_ge_u32 s1, s22
	s_load_dword s1, s[4:5], 0x78
	s_cselect_b32 s3, s7, s3
	s_add_i32 s12, s11, -1
	s_xor_b32 s3, s3, s2
	s_abs_i32 s7, s12
	s_sub_i32 s2, s3, s2
	s_waitcnt lgkmcnt(0)
	s_barrier
	s_abs_i32 s21, s19
	buffer_gl0_inv
	v_cvt_f32_u32_e32 v3, s21
	s_sub_i32 s3, 0, s21
                                        ; implicit-def: $sgpr31
	v_rcp_iflag_f32_e32 v3, v3
	v_mul_f32_e32 v3, 0x4f7ffffe, v3
	v_cvt_u32_f32_e32 v3, v3
	v_readfirstlane_b32 s30, v3
	s_mul_i32 s3, s3, s30
	s_mul_hi_u32 s3, s30, s3
	s_add_i32 s30, s30, s3
	s_cmp_lt_i32 s1, 0
	s_mul_hi_u32 s3, s7, s30
	s_cbranch_scc0 .LBB55_6
; %bb.5:
	s_mul_i32 s15, s16, s28
	s_add_i32 s15, s2, s15
	s_mul_i32 s15, s15, s1
	s_sub_i32 s31, 1, s15
	s_mov_b32 s15, 0
.LBB55_6:
	s_load_dwordx2 s[22:23], s[4:5], 0x28
	s_ashr_i32 s12, s12, 31
	s_andn2_b32 vcc_lo, exec_lo, s15
	s_ashr_i32 s19, s19, 31
	s_cbranch_vccnz .LBB55_8
; %bb.7:
	s_mul_i32 s15, s9, s16
	s_add_i32 s6, s15, s6
	s_mul_i32 s1, s6, s1
	s_add_i32 s31, s1, 1
.LBB55_8:
	s_load_dword s1, s[4:5], 0x38
	s_mul_i32 s6, s3, s21
	s_xor_b32 s15, s12, s19
	s_sub_i32 s28, s7, s6
	s_add_i32 s16, s3, 1
	s_clause 0x2
	s_load_dwordx2 s[6:7], s[4:5], 0x0
	s_load_dwordx2 s[26:27], s[4:5], 0x18
	s_load_dword s12, s[4:5], 0x88
	v_lshrrev_b32_e32 v9, 5, v0
	v_mov_b32_e32 v5, 0xff7fffff
	v_lshrrev_b32_e32 v3, 3, v0
	v_mbcnt_lo_u32_b32 v4, -1, 0
	s_mul_i32 s14, s2, s14
	v_lshlrev_b32_e32 v10, 3, v9
	s_waitcnt lgkmcnt(0)
	s_mul_i32 s24, s1, s10
	s_sub_i32 s1, s28, s21
	s_ashr_i32 s25, s24, 31
	s_cmp_ge_u32 s28, s21
	s_cselect_b32 s3, s16, s3
	s_cselect_b32 s1, s1, s28
	s_add_i32 s16, s3, 1
	s_cmp_ge_u32 s1, s21
	s_cselect_b32 s1, s16, s3
	s_add_i32 s3, s11, 7
	s_ashr_i32 s16, s3, 31
	s_lshr_b32 s16, s16, 29
	s_add_i32 s3, s3, s16
	s_ashr_i32 s16, s3, 3
	s_xor_b32 s3, s1, s15
	v_cmp_gt_i32_e64 s1, s16, v9
	s_sub_i32 s28, s3, s15
	s_and_saveexec_b32 s34, s1
	s_cbranch_execz .LBB55_20
; %bb.9:
	s_load_dwordx2 s[2:3], s[4:5], 0x10
	s_ashr_i32 s15, s14, 31
	s_sub_i32 s5, s28, s17
	s_lshl_b64 s[36:37], s[14:15], 1
	v_bfe_u32 v6, v0, 2, 3
	v_and_b32_e32 v16, 12, v2
	v_cmp_eq_u32_e32 vcc_lo, 0, v1
	v_lshlrev_b32_e32 v7, 5, v1
	v_and_b32_e32 v1, 0x7c, v3
	v_lshlrev_b32_e32 v2, 2, v6
	v_subrev_nc_u32_e32 v15, s11, v6
	v_lshlrev_b32_e32 v17, 4, v6
	v_lshlrev_b32_e32 v8, 3, v9
	v_mov_b32_e32 v11, 0xff7fffff
	v_lshl_or_b32 v2, v9, 5, v2
	v_xor_b32_e32 v12, 2, v4
	v_xor_b32_e32 v13, 1, v4
	s_waitcnt lgkmcnt(0)
	s_add_u32 s4, s2, s36
	s_addc_u32 s3, s3, s37
	s_abs_i32 s15, s18
	s_lshl_b64 s[36:37], s[24:25], 2
	v_cvt_f32_u32_e32 v5, s15
	s_sub_i32 s35, 0, s15
	v_add_co_u32 v17, s4, s4, v17
	v_add_co_ci_u32_e64 v19, null, s3, 0, s4
	v_rcp_iflag_f32_e32 v5, v5
	s_add_u32 s3, s22, s36
	s_addc_u32 s4, s23, s37
	v_add_co_u32 v1, s3, s3, v1
	v_cmp_neq_f32_e64 s2, s33, 0
	s_mov_b32 s36, s13
	v_mul_f32_e32 v14, 0x4f7ffffe, v5
	v_mov_b32_e32 v5, 0xff7fffff
	v_cvt_u32_f32_e32 v18, v14
	v_add_nc_u32_e32 v14, 1, v15
	v_add_nc_u32_e32 v15, 0xa0, v2
	v_mul_lo_u32 v2, s35, v18
	s_mov_b32 s35, 0
	v_mul_hi_u32 v20, v18, v2
	v_add_co_ci_u32_e64 v2, null, s4, 0, s3
	v_add_co_u32 v16, s3, v17, v16
	v_add_co_ci_u32_e64 v17, null, 0, v19, s3
	v_mov_b32_e32 v19, v9
	v_add_nc_u32_e32 v18, v18, v20
	s_branch .LBB55_12
.LBB55_10:                              ;   in Loop: Header=BB55_12 Depth=1
	s_or_b32 exec_lo, exec_lo, s37
.LBB55_11:                              ;   in Loop: Header=BB55_12 Depth=1
	s_or_b32 exec_lo, exec_lo, s4
	v_add_nc_u32_e32 v19, 4, v19
	v_add_co_u32 v1, s4, v1, 16
	v_add_co_ci_u32_e64 v2, null, 0, v2, s4
	v_cmp_le_i32_e64 s3, s16, v19
	v_add_nc_u32_e32 v8, 32, v8
	v_add_nc_u32_e32 v15, 0x80, v15
	s_or_b32 s35, s3, s35
	s_andn2_b32 exec_lo, exec_lo, s35
	s_cbranch_execz .LBB55_19
.LBB55_12:                              ; =>This Inner Loop Header: Depth=1
	v_mul_hi_u32 v20, v8, s30
	s_waitcnt lgkmcnt(0)
	v_mul_lo_u32 v21, v20, s21
	v_add_nc_u32_e32 v22, 1, v20
	v_sub_nc_u32_e32 v21, v8, v21
	v_subrev_nc_u32_e32 v23, s21, v21
	v_cmp_le_u32_e64 s3, s21, v21
	v_cndmask_b32_e64 v20, v20, v22, s3
	v_cndmask_b32_e64 v21, v21, v23, s3
	v_add_nc_u32_e32 v22, 1, v20
	v_cmp_le_u32_e64 s3, s21, v21
	v_cndmask_b32_e64 v20, v20, v22, s3
	v_xor_b32_e32 v20, s19, v20
	v_subrev_nc_u32_e32 v20, s19, v20
	v_add_nc_u32_e32 v21, s31, v20
	v_cmp_ge_i32_e64 s4, s5, v20
	v_sub_nc_u32_e32 v22, 0, v21
	v_max_i32_e32 v22, v21, v22
	v_ashrrev_i32_e32 v21, 31, v21
	v_mul_hi_u32 v23, v22, v18
	v_mul_lo_u32 v23, v23, s15
	v_sub_nc_u32_e32 v22, v22, v23
	v_subrev_nc_u32_e32 v23, s15, v22
	v_cmp_le_u32_e64 s3, s15, v22
	v_cndmask_b32_e64 v22, v22, v23, s3
	v_subrev_nc_u32_e32 v23, s15, v22
	v_cmp_le_u32_e64 s3, s15, v22
	v_cndmask_b32_e64 v22, v22, v23, s3
	v_xor_b32_e32 v22, v22, v21
	v_sub_nc_u32_e32 v21, v22, v21
	v_cmp_ne_u32_e64 s3, 0, v21
	s_and_b32 s3, s3, s4
	s_and_saveexec_b32 s4, s3
	s_xor_b32 s3, exec_lo, s4
	s_cbranch_execz .LBB55_16
; %bb.13:                               ;   in Loop: Header=BB55_12 Depth=1
	s_and_saveexec_b32 s4, vcc_lo
; %bb.14:                               ;   in Loop: Header=BB55_12 Depth=1
	ds_write_b32 v15, v11
; %bb.15:                               ;   in Loop: Header=BB55_12 Depth=1
	s_or_b32 exec_lo, exec_lo, s4
.LBB55_16:                              ;   in Loop: Header=BB55_12 Depth=1
	s_andn2_saveexec_b32 s4, s3
	s_cbranch_execz .LBB55_11
; %bb.17:                               ;   in Loop: Header=BB55_12 Depth=1
	global_load_dword v20, v[1:2], off
	s_waitcnt vmcnt(0)
	v_mad_i64_i32 v[20:21], null, v20, s36, 0
	v_lshlrev_b64 v[20:21], 1, v[20:21]
	v_add_co_u32 v20, s3, v16, v20
	v_add_co_ci_u32_e64 v21, null, v17, v21, s3
	v_cmp_gt_i32_e64 s3, 32, v12
	s_clause 0x7
	global_load_dword v22, v[20:21], off
	global_load_dword v23, v[20:21], off offset:128
	global_load_dword v24, v[20:21], off offset:256
	;; [unrolled: 1-line block ×7, first 2 shown]
	ds_read_b32 v21, v7
	s_waitcnt lgkmcnt(0)
	v_and_b32_e32 v29, 0xffff, v21
	v_lshrrev_b32_e32 v30, 16, v21
	;;#ASMSTART
	v_cvt_f32_f16 v21, v29;
	;;#ASMEND
	s_waitcnt vmcnt(7)
	v_and_b32_e32 v31, 0xffff, v22
	v_lshrrev_b32_e32 v32, 16, v22
	;;#ASMSTART
	v_cvt_f32_f16 v22, v30;
	;;#ASMEND
	;;#ASMSTART
	v_cvt_f32_f16 v29, v31;
	;;#ASMEND
	;;#ASMSTART
	v_cvt_f32_f16 v30, v32;
	;;#ASMEND
	ds_read_b32 v31, v7 offset:4
	s_waitcnt vmcnt(6)
	v_and_b32_e32 v33, 0xffff, v23
	v_lshrrev_b32_e32 v34, 16, v23
	s_waitcnt vmcnt(5)
	v_and_b32_e32 v36, 0xffff, v24
	v_lshrrev_b32_e32 v37, 16, v24
	;; [unrolled: 3-line block ×5, first 2 shown]
	s_waitcnt vmcnt(1)
	v_lshrrev_b32_e32 v47, 16, v28
	v_and_b32_e32 v28, 0xffff, v28
	s_waitcnt lgkmcnt(0)
	v_and_b32_e32 v32, 0xffff, v31
	v_lshrrev_b32_e32 v31, 16, v31
	;;#ASMSTART
	v_cvt_f32_f16 v23, v32;
	;;#ASMEND
	;;#ASMSTART
	v_cvt_f32_f16 v31, v31;
	;;#ASMEND
	;; [unrolled: 3-line block ×4, first 2 shown]
	ds_read_b32 v34, v7 offset:8
	v_mul_f32_e32 v23, v23, v32
	v_mul_f32_e32 v31, v31, v33
	v_fmac_f32_e32 v23, v21, v29
	v_fmac_f32_e32 v31, v22, v30
	s_waitcnt lgkmcnt(0)
	v_and_b32_e32 v35, 0xffff, v34
	v_lshrrev_b32_e32 v34, 16, v34
	;;#ASMSTART
	v_cvt_f32_f16 v24, v35;
	;;#ASMEND
	;;#ASMSTART
	v_cvt_f32_f16 v34, v34;
	;;#ASMEND
	;; [unrolled: 3-line block ×4, first 2 shown]
	ds_read_b32 v37, v7 offset:12
	v_fmac_f32_e32 v23, v24, v35
	v_fmac_f32_e32 v31, v34, v36
	v_cndmask_b32_e64 v24, v4, v12, s3
	v_cmp_gt_i32_e64 s3, 32, v13
	s_waitcnt lgkmcnt(0)
	v_and_b32_e32 v38, 0xffff, v37
	v_lshrrev_b32_e32 v37, 16, v37
	;;#ASMSTART
	v_cvt_f32_f16 v25, v38;
	;;#ASMEND
	;;#ASMSTART
	v_cvt_f32_f16 v37, v37;
	;;#ASMEND
	;; [unrolled: 3-line block ×4, first 2 shown]
	ds_read_b32 v40, v7 offset:16
	v_fmac_f32_e32 v23, v25, v38
	v_fmac_f32_e32 v31, v37, v39
	s_waitcnt vmcnt(0)
	v_lshrrev_b32_e32 v25, 16, v20
	s_waitcnt lgkmcnt(0)
	v_and_b32_e32 v41, 0xffff, v40
	v_lshrrev_b32_e32 v40, 16, v40
	;;#ASMSTART
	v_cvt_f32_f16 v26, v41;
	;;#ASMEND
	;;#ASMSTART
	v_cvt_f32_f16 v40, v40;
	;;#ASMEND
	;;#ASMSTART
	v_cvt_f32_f16 v41, v42;
	;;#ASMEND
	;;#ASMSTART
	v_cvt_f32_f16 v42, v43;
	;;#ASMEND
	ds_read_b32 v43, v7 offset:20
	v_fmac_f32_e32 v23, v26, v41
	v_fmac_f32_e32 v31, v40, v42
	s_waitcnt lgkmcnt(0)
	v_and_b32_e32 v44, 0xffff, v43
	v_lshrrev_b32_e32 v43, 16, v43
	;;#ASMSTART
	v_cvt_f32_f16 v27, v44;
	;;#ASMEND
	;;#ASMSTART
	v_cvt_f32_f16 v43, v43;
	;;#ASMEND
	;;#ASMSTART
	v_cvt_f32_f16 v44, v45;
	;;#ASMEND
	;;#ASMSTART
	v_cvt_f32_f16 v45, v46;
	;;#ASMEND
	ds_read_b32 v46, v7 offset:24
	v_fmac_f32_e32 v23, v27, v44
	v_fmac_f32_e32 v31, v43, v45
	;; [unrolled: 18-line block ×3, first 2 shown]
	s_waitcnt lgkmcnt(0)
	v_and_b32_e32 v26, 0xffff, v30
	v_lshrrev_b32_e32 v27, 16, v30
	v_and_b32_e32 v30, 0xffff, v20
	;;#ASMSTART
	v_cvt_f32_f16 v20, v26;
	;;#ASMEND
	;;#ASMSTART
	v_cvt_f32_f16 v21, v27;
	;;#ASMEND
	;; [unrolled: 3-line block ×4, first 2 shown]
	v_fmac_f32_e32 v23, v20, v22
	v_fmac_f32_e32 v31, v21, v25
	v_lshlrev_b32_e32 v20, 2, v24
	v_cndmask_b32_e64 v22, v4, v13, s3
	v_add_f32_e32 v21, v23, v31
	ds_bpermute_b32 v20, v20, v21
	s_waitcnt lgkmcnt(0)
	v_add_f32_e32 v20, v21, v20
	v_lshlrev_b32_e32 v21, 2, v22
	ds_bpermute_b32 v21, v21, v20
	s_and_saveexec_b32 s37, vcc_lo
	s_cbranch_execz .LBB55_10
; %bb.18:                               ;   in Loop: Header=BB55_12 Depth=1
	v_add_nc_u32_e32 v22, v14, v8
	s_waitcnt lgkmcnt(0)
	v_add_f32_e32 v20, v20, v21
	v_cvt_f32_i32_e32 v22, v22
	v_mul_f32_e32 v22, s33, v22
	v_cndmask_b32_e64 v21, 0, v22, s2
	v_max_f32_e32 v22, v5, v5
	v_fmac_f32_e32 v21, s29, v20
	v_add_nc_u32_e32 v20, v6, v8
	v_max_f32_e32 v22, v22, v21
	v_cmp_gt_i32_e64 s3, s11, v20
	v_cndmask_b32_e64 v20, 0, v21, s3
	v_cndmask_b32_e64 v5, v5, v22, s3
	ds_write_b32 v15, v20
	s_branch .LBB55_10
.LBB55_19:
	s_or_b32 exec_lo, exec_lo, s35
.LBB55_20:
	s_or_b32 exec_lo, exec_lo, s34
	v_xor_b32_e32 v1, 16, v4
	v_xor_b32_e32 v6, 8, v4
	v_max_f32_e32 v7, v5, v5
	v_and_b32_e32 v11, 31, v0
	v_cmp_gt_i32_e32 vcc_lo, 32, v1
	v_cndmask_b32_e32 v1, v4, v1, vcc_lo
	v_cmp_gt_i32_e32 vcc_lo, 32, v6
	v_lshlrev_b32_e32 v2, 2, v1
	ds_bpermute_b32 v1, v2, v5
	v_cndmask_b32_e32 v5, v4, v6, vcc_lo
	v_lshlrev_b32_e32 v5, 2, v5
	s_waitcnt lgkmcnt(0)
	v_max_f32_e32 v1, v1, v1
	v_max_f32_e32 v1, v7, v1
	v_xor_b32_e32 v7, 4, v4
	ds_bpermute_b32 v6, v5, v1
	v_cmp_gt_i32_e32 vcc_lo, 32, v7
	v_cndmask_b32_e32 v7, v4, v7, vcc_lo
	v_cmp_eq_u32_e32 vcc_lo, 0, v11
	v_lshlrev_b32_e32 v8, 2, v7
	s_waitcnt lgkmcnt(0)
	v_max_f32_e32 v6, v6, v6
	v_max_f32_e32 v1, v1, v6
	v_lshlrev_b32_e32 v6, 2, v9
	ds_bpermute_b32 v7, v8, v1
	s_and_saveexec_b32 s2, vcc_lo
	s_cbranch_execz .LBB55_22
; %bb.21:
	s_waitcnt lgkmcnt(0)
	v_max_f32_e32 v7, v7, v7
	v_max_f32_e32 v1, v1, v1
	;; [unrolled: 1-line block ×3, first 2 shown]
	ds_write_b32 v6, v1 offset:128
.LBB55_22:
	s_or_b32 exec_lo, exec_lo, s2
	v_cmp_gt_u32_e64 s2, 4, v11
	v_mov_b32_e32 v1, 0xff7fffff
	s_waitcnt lgkmcnt(0)
	v_lshlrev_b32_e32 v7, 2, v11
	s_barrier
	buffer_gl0_inv
	s_and_saveexec_b32 s3, s2
; %bb.23:
	ds_read_b32 v1, v7 offset:128
; %bb.24:
	s_or_b32 exec_lo, exec_lo, s3
	v_xor_b32_e32 v12, 2, v4
	v_xor_b32_e32 v14, 1, v4
	v_cmp_gt_i32_e64 s3, 32, v12
	v_cndmask_b32_e64 v12, v4, v12, s3
	v_cmp_gt_i32_e64 s3, 32, v14
	v_lshlrev_b32_e32 v12, 2, v12
	v_cndmask_b32_e64 v4, v4, v14, s3
	s_lshl_b32 s3, s16, 3
	s_min_i32 s5, s3, s11
	s_waitcnt lgkmcnt(0)
	ds_bpermute_b32 v13, v12, v1
	v_max_f32_e32 v1, v1, v1
	v_lshlrev_b32_e32 v4, 2, v4
	v_cmp_gt_i32_e64 s3, s5, v0
	s_waitcnt lgkmcnt(0)
	v_max_f32_e32 v13, v13, v13
	v_max_f32_e32 v1, v1, v13
	ds_bpermute_b32 v13, v4, v1
	s_waitcnt lgkmcnt(0)
	v_max_f32_e32 v13, v13, v13
	v_max_f32_e32 v1, v1, v13
	v_mov_b32_e32 v13, 0
	ds_bpermute_b32 v14, v13, v1
	v_lshl_add_u32 v1, v0, 2, 0xa0
	s_and_saveexec_b32 s15, s3
	s_cbranch_execz .LBB55_28
; %bb.25:
	v_lshl_add_u32 v15, v0, 2, 0xa0
	v_mov_b32_e32 v13, 0
	v_mov_b32_e32 v16, v0
	s_mov_b32 s29, 0
	.p2align	6
.LBB55_26:                              ; =>This Inner Loop Header: Depth=1
	ds_read_b32 v17, v15
	v_add_nc_u32_e32 v16, 0x80, v16
	v_cmp_le_i32_e64 s4, s5, v16
	s_or_b32 s29, s4, s29
	s_waitcnt lgkmcnt(0)
	v_sub_f32_e32 v17, v17, v14
	v_mul_f32_e32 v17, 0x3fb8aa3b, v17
	v_exp_f32_e32 v17, v17
	ds_write_b32 v15, v17
	v_add_f32_e32 v13, v13, v17
	v_add_nc_u32_e32 v15, 0x200, v15
	s_andn2_b32 exec_lo, exec_lo, s29
	s_cbranch_execnz .LBB55_26
; %bb.27:
	s_or_b32 exec_lo, exec_lo, s29
.LBB55_28:
	s_or_b32 exec_lo, exec_lo, s15
	ds_bpermute_b32 v2, v2, v13
	s_waitcnt lgkmcnt(0)
	v_add_f32_e32 v2, v13, v2
	ds_bpermute_b32 v5, v5, v2
	s_waitcnt lgkmcnt(0)
	v_add_f32_e32 v2, v2, v5
	;; [unrolled: 3-line block ×5, first 2 shown]
	s_and_saveexec_b32 s4, vcc_lo
; %bb.29:
	ds_write_b32 v6, v2 offset:144
; %bb.30:
	s_or_b32 exec_lo, exec_lo, s4
	s_waitcnt lgkmcnt(0)
	s_barrier
	buffer_gl0_inv
	s_and_saveexec_b32 s4, s2
; %bb.31:
	ds_read_b32 v2, v7 offset:144
; %bb.32:
	s_or_b32 exec_lo, exec_lo, s4
	s_waitcnt lgkmcnt(0)
	ds_bpermute_b32 v5, v12, v2
	s_waitcnt lgkmcnt(0)
	v_add_f32_e32 v2, v2, v5
	ds_bpermute_b32 v4, v4, v2
	s_waitcnt lgkmcnt(0)
	v_add_f32_e32 v2, v2, v4
	v_mov_b32_e32 v4, 0
	ds_bpermute_b32 v2, v4, v2
	s_and_saveexec_b32 s2, s3
	s_cbranch_execz .LBB55_35
; %bb.33:
	s_waitcnt lgkmcnt(0)
	v_add_f32_e32 v2, 0x358637bd, v2
	s_mov_b32 s3, 0
	v_div_scale_f32 v4, null, v2, v2, 1.0
	v_div_scale_f32 v7, vcc_lo, 1.0, v2, 1.0
	v_rcp_f32_e32 v5, v4
	v_fma_f32 v6, -v4, v5, 1.0
	v_fmac_f32_e32 v5, v6, v5
	v_mul_f32_e32 v6, v7, v5
	v_fma_f32 v8, -v4, v6, v7
	v_fmac_f32_e32 v6, v8, v5
	v_fma_f32 v4, -v4, v6, v7
	v_div_fmas_f32 v4, v4, v5, v6
	v_div_fixup_f32 v2, v4, v2, 1.0
	v_mov_b32_e32 v4, v0
.LBB55_34:                              ; =>This Inner Loop Header: Depth=1
	ds_read_b32 v5, v1
	v_add_nc_u32_e32 v4, 0x80, v4
	v_cmp_le_i32_e32 vcc_lo, s5, v4
	s_or_b32 s3, vcc_lo, s3
	s_waitcnt lgkmcnt(0)
	v_mul_f32_e32 v5, v2, v5
	ds_write_b32 v1, v5
	v_add_nc_u32_e32 v1, 0x200, v1
	s_andn2_b32 exec_lo, exec_lo, s3
	s_cbranch_execnz .LBB55_34
.LBB55_35:
	s_or_b32 exec_lo, exec_lo, s2
	v_mov_b32_e32 v13, 0
	v_mov_b32_e32 v12, 0
	s_waitcnt lgkmcnt(0)
	s_barrier
	buffer_gl0_inv
	s_and_saveexec_b32 s3, s1
	s_cbranch_execz .LBB55_45
; %bb.36:
	s_ashr_i32 s15, s14, 31
	s_sub_i32 s4, s28, s17
	s_lshl_b64 s[14:15], s[14:15], 1
	v_lshlrev_b32_e32 v2, 4, v11
	s_add_u32 s1, s26, s14
	s_addc_u32 s2, s27, s15
	s_abs_i32 s5, s18
	v_and_b32_e32 v3, 0x7c, v3
	v_cvt_f32_u32_e32 v1, s5
	s_sub_i32 s14, 0, s5
	s_lshl_b64 s[24:25], s[24:25], 2
	v_add_co_u32 v16, s1, s1, v2
	v_rcp_iflag_f32_e32 v1, v1
	v_add_co_ci_u32_e64 v17, null, s2, 0, s1
	v_mov_b32_e32 v14, 0
	v_lshl_add_u32 v15, v9, 5, 0xa0
	v_mov_b32_e32 v12, 0
	v_mov_b32_e32 v13, 0
	;; [unrolled: 1-line block ×3, first 2 shown]
	s_mov_b32 s15, s13
	s_mov_b32 s13, 0
	v_mul_f32_e32 v1, 0x4f7ffffe, v1
	v_cvt_u32_f32_e32 v1, v1
	v_mul_lo_u32 v4, s14, v1
	s_add_i32 s14, s16, -1
	s_add_u32 s1, s22, s24
	s_addc_u32 s2, s23, s25
	v_add_co_u32 v5, s1, s1, v3
	v_add_co_ci_u32_e64 v6, null, s2, 0, s1
	v_mul_hi_u32 v4, v1, v4
	v_add_nc_u32_e32 v18, v1, v4
	s_branch .LBB55_39
.LBB55_37:                              ;   in Loop: Header=BB55_39 Depth=1
	s_or_b32 exec_lo, exec_lo, s2
	v_lshlrev_b32_e32 v20, 16, v33
	v_lshlrev_b32_e32 v8, 16, v8
	;; [unrolled: 1-line block ×3, first 2 shown]
	v_and_or_b32 v1, 0xffff, v1, v20
	v_and_or_b32 v2, 0xffff, v2, v8
	;; [unrolled: 1-line block ×3, first 2 shown]
	;;#ASMSTART
	v_pk_mul_f16 v1, v28, v1;

	;;#ASMEND
	;;#ASMSTART
	v_pk_mul_f16 v2, v27, v2;

	;;#ASMEND
	;; [unrolled: 4-line block ×4, first 2 shown]
	;;#ASMSTART
	v_pk_add_f16 v1, v1, v2;

	;;#ASMEND
	;;#ASMSTART
	v_pk_add_f16 v1, v1, v3;

	;;#ASMEND
	;; [unrolled: 4-line block ×3, first 2 shown]
	v_and_b32_e32 v2, 0xffff, v1
	v_lshrrev_b32_e32 v3, 16, v1
	;;#ASMSTART
	v_cvt_f32_f16 v2, v2;
	;;#ASMEND
	v_add_f32_e32 v1, v29, v32
	;;#ASMSTART
	v_cvt_f32_f16 v3, v3;
	;;#ASMEND
	v_add_f32_e32 v2, v2, v3
	v_add_f32_e32 v13, v13, v1
	;; [unrolled: 1-line block ×3, first 2 shown]
.LBB55_38:                              ;   in Loop: Header=BB55_39 Depth=1
	s_or_b32 exec_lo, exec_lo, s17
	v_add_nc_u32_e32 v19, 4, v19
	v_add_co_u32 v5, s1, v5, 16
	v_add_co_ci_u32_e64 v6, null, 0, v6, s1
	v_cmp_le_i32_e32 vcc_lo, s16, v19
	v_add_nc_u32_e32 v10, 32, v10
	v_add_nc_u32_e32 v15, 0x80, v15
	s_or_b32 s13, vcc_lo, s13
	s_andn2_b32 exec_lo, exec_lo, s13
	s_cbranch_execz .LBB55_44
.LBB55_39:                              ; =>This Inner Loop Header: Depth=1
	v_mul_hi_u32 v1, v10, s30
	v_mul_lo_u32 v2, v1, s21
	v_add_nc_u32_e32 v3, 1, v1
	v_sub_nc_u32_e32 v2, v10, v2
	v_subrev_nc_u32_e32 v4, s21, v2
	v_cmp_le_u32_e32 vcc_lo, s21, v2
	v_cndmask_b32_e32 v1, v1, v3, vcc_lo
	v_cndmask_b32_e32 v2, v2, v4, vcc_lo
	v_add_nc_u32_e32 v3, 1, v1
	v_cmp_le_u32_e32 vcc_lo, s21, v2
	v_cndmask_b32_e32 v1, v1, v3, vcc_lo
	v_xor_b32_e32 v1, s19, v1
	v_subrev_nc_u32_e32 v1, s19, v1
	v_add_nc_u32_e32 v2, s31, v1
	v_cmp_lt_i32_e64 s1, s4, v1
	v_sub_nc_u32_e32 v3, 0, v2
	v_max_i32_e32 v3, v2, v3
	v_ashrrev_i32_e32 v2, 31, v2
	v_mul_hi_u32 v4, v3, v18
	v_mul_lo_u32 v4, v4, s5
	v_sub_nc_u32_e32 v3, v3, v4
	v_subrev_nc_u32_e32 v4, s5, v3
	v_cmp_le_u32_e32 vcc_lo, s5, v3
	v_cndmask_b32_e32 v3, v3, v4, vcc_lo
	v_subrev_nc_u32_e32 v4, s5, v3
	v_cmp_le_u32_e32 vcc_lo, s5, v3
	v_cndmask_b32_e32 v3, v3, v4, vcc_lo
	v_xor_b32_e32 v3, v3, v2
	v_sub_nc_u32_e32 v2, v3, v2
	v_cmp_eq_u32_e32 vcc_lo, 0, v2
	s_or_b32 s1, vcc_lo, s1
	s_and_saveexec_b32 s17, s1
	s_cbranch_execz .LBB55_38
; %bb.40:                               ;   in Loop: Header=BB55_39 Depth=1
	global_load_dword v7, v[5:6], off
	ds_read2_b64 v[1:4], v15 offset1:1
	ds_read2_b64 v[20:23], v15 offset0:2 offset1:3
	v_cmp_eq_u32_e64 s1, s14, v19
	v_add_nc_u32_e32 v26, 1, v10
	v_add_nc_u32_e32 v24, 2, v10
	v_add_nc_u32_e32 v25, 6, v10
	s_waitcnt lgkmcnt(1)
	;;#ASMSTART
	v_cvt_f16_f32 v28, v1;

	;;#ASMEND
	;;#ASMSTART
	v_cvt_f16_f32 v27, v2;

	;;#ASMEND
	;; [unrolled: 4-line block ×4, first 2 shown]
	s_waitcnt lgkmcnt(0)
	;;#ASMSTART
	v_cvt_f16_f32 v34, v20;

	;;#ASMEND
	;;#ASMSTART
	v_cvt_f16_f32 v30, v21;

	;;#ASMEND
	;; [unrolled: 4-line block ×4, first 2 shown]
	v_add_nc_u32_e32 v23, 3, v10
	v_add_nc_u32_e32 v21, 4, v10
	;; [unrolled: 1-line block ×4, first 2 shown]
	s_waitcnt vmcnt(0)
	v_mad_i64_i32 v[7:8], null, v7, s15, 0
	v_lshlrev_b64 v[7:8], 1, v[7:8]
	v_add_co_u32 v7, vcc_lo, v16, v7
	v_add_co_ci_u32_e64 v8, null, v17, v8, vcc_lo
	global_load_dwordx4 v[1:4], v[7:8], off
	s_waitcnt vmcnt(0)
	v_lshrrev_b32_e32 v37, 16, v1
	v_lshrrev_b32_e32 v36, 16, v2
	;; [unrolled: 1-line block ×3, first 2 shown]
	s_and_saveexec_b32 s18, s1
	s_cbranch_execz .LBB55_42
; %bb.41:                               ;   in Loop: Header=BB55_39 Depth=1
	v_cmp_gt_i32_e32 vcc_lo, s11, v10
	v_and_b32_e32 v38, 0xffff0000, v4
	v_cmp_gt_i32_e64 s2, s11, v24
	v_cndmask_b32_e32 v1, 0, v1, vcc_lo
	v_cmp_gt_i32_e32 vcc_lo, s11, v26
	v_cndmask_b32_e64 v2, 0, v2, s2
	v_cmp_gt_i32_e64 s2, s11, v23
	v_cndmask_b32_e32 v37, 0, v37, vcc_lo
	v_cmp_gt_i32_e32 vcc_lo, s11, v25
	v_cndmask_b32_e64 v36, 0, v36, s2
	v_cndmask_b32_sdwa v4, v14, v4, vcc_lo dst_sel:DWORD dst_unused:UNUSED_PAD src0_sel:DWORD src1_sel:WORD_0
	v_cmp_gt_i32_e32 vcc_lo, s11, v22
	v_cndmask_b32_e32 v38, 0, v38, vcc_lo
	v_cmp_gt_i32_e32 vcc_lo, s11, v21
	v_or_b32_e32 v4, v4, v38
	v_cndmask_b32_e32 v3, 0, v3, vcc_lo
	v_cmp_gt_i32_e32 vcc_lo, s11, v20
	v_cndmask_b32_e32 v35, 0, v35, vcc_lo
.LBB55_42:                              ;   in Loop: Header=BB55_39 Depth=1
	s_or_b32 exec_lo, exec_lo, s18
	v_and_b32_e32 v28, 0xffff, v28
	v_and_b32_e32 v33, 0xffff, v33
	v_lshlrev_b32_e32 v37, 16, v37
	v_and_b32_e32 v34, 0xffff, v34
	v_and_b32_e32 v32, 0xffff, v32
	v_lshl_or_b32 v28, v27, 16, v28
	v_lshl_or_b32 v27, v31, 16, v33
	v_lshlrev_b32_e32 v31, 16, v36
	v_lshlrev_b32_e32 v33, 16, v35
	v_and_or_b32 v1, 0xffff, v1, v37
	;;#ASMSTART
	v_pk_mul_f16 v1, v28, v1;

	;;#ASMEND
	v_lshl_or_b32 v30, v30, 16, v34
	v_and_or_b32 v2, 0xffff, v2, v31
	v_and_or_b32 v3, 0xffff, v3, v33
	v_lshl_or_b32 v31, v29, 16, v32
	;;#ASMSTART
	v_pk_mul_f16 v2, v27, v2;

	;;#ASMEND
	;;#ASMSTART
	v_pk_mul_f16 v3, v30, v3;

	;;#ASMEND
	;; [unrolled: 4-line block ×3, first 2 shown]
	;;#ASMSTART
	v_pk_add_f16 v1, v1, v2;

	;;#ASMEND
	;;#ASMSTART
	v_pk_add_f16 v1, v1, v3;

	;;#ASMEND
	;; [unrolled: 4-line block ×3, first 2 shown]
	v_and_b32_e32 v2, 0xffff, v1
	v_lshrrev_b32_e32 v1, 16, v1
	;;#ASMSTART
	v_cvt_f32_f16 v29, v2;
	;;#ASMEND
	;;#ASMSTART
	v_cvt_f32_f16 v32, v1;
	;;#ASMEND
	global_load_dwordx4 v[1:4], v[7:8], off offset:512
	s_waitcnt vmcnt(0)
	v_lshrrev_b32_e32 v33, 16, v1
	v_lshrrev_b32_e32 v8, 16, v2
	;; [unrolled: 1-line block ×3, first 2 shown]
	s_and_saveexec_b32 s2, s1
	s_cbranch_execz .LBB55_37
; %bb.43:                               ;   in Loop: Header=BB55_39 Depth=1
	v_cmp_gt_i32_e32 vcc_lo, s11, v10
	v_cmp_gt_i32_e64 s1, s11, v24
	v_cndmask_b32_e32 v1, 0, v1, vcc_lo
	v_cmp_gt_i32_e32 vcc_lo, s11, v26
	v_cndmask_b32_e64 v2, 0, v2, s1
	v_cmp_gt_i32_e64 s1, s11, v23
	v_and_b32_e32 v23, 0xffff0000, v4
	v_cndmask_b32_e32 v33, 0, v33, vcc_lo
	v_cmp_gt_i32_e32 vcc_lo, s11, v25
	v_cndmask_b32_e64 v8, 0, v8, s1
	v_cndmask_b32_sdwa v4, v14, v4, vcc_lo dst_sel:DWORD dst_unused:UNUSED_PAD src0_sel:DWORD src1_sel:WORD_0
	v_cmp_gt_i32_e32 vcc_lo, s11, v22
	v_cndmask_b32_e32 v22, 0, v23, vcc_lo
	v_cmp_gt_i32_e32 vcc_lo, s11, v21
	v_or_b32_e32 v4, v4, v22
	v_cndmask_b32_e32 v3, 0, v3, vcc_lo
	v_cmp_gt_i32_e32 vcc_lo, s11, v20
	v_cndmask_b32_e32 v7, 0, v7, vcc_lo
	s_branch .LBB55_37
.LBB55_44:
	s_or_b32 exec_lo, exec_lo, s13
.LBB55_45:
	s_or_b32 exec_lo, exec_lo, s3
	v_lshl_add_u32 v2, v11, 2, 0xa0
	v_and_b32_e32 v3, 0x3c0, v0
	s_mov_b32 s1, exec_lo
	s_barrier
	v_lshl_add_u32 v1, v9, 8, v2
	buffer_gl0_inv
	v_cmpx_eq_u32_e32 64, v3
	s_cbranch_execz .LBB55_47
; %bb.46:
	v_add_nc_u32_e32 v3, 0xfffffe00, v1
	v_add_nc_u32_e32 v4, 0xfffffe80, v1
	ds_write_b32 v3, v13
	ds_write_b32 v4, v12
.LBB55_47:
	s_or_b32 exec_lo, exec_lo, s1
	s_mov_b32 s1, exec_lo
	s_waitcnt lgkmcnt(0)
	s_barrier
	buffer_gl0_inv
	v_cmpx_gt_u32_e32 64, v0
	s_cbranch_execz .LBB55_49
; %bb.48:
	ds_read2_b32 v[3:4], v1 offset1:32
	s_waitcnt lgkmcnt(0)
	v_add_f32_e32 v13, v13, v3
	v_add_f32_e32 v12, v12, v4
.LBB55_49:
	s_or_b32 exec_lo, exec_lo, s1
	v_and_b32_e32 v3, 0x3e0, v0
	s_mov_b32 s1, exec_lo
	s_barrier
	buffer_gl0_inv
	v_cmpx_eq_u32_e32 32, v3
; %bb.50:
	ds_write2_b32 v2, v13, v12 offset1:32
; %bb.51:
	s_or_b32 exec_lo, exec_lo, s1
	s_waitcnt lgkmcnt(0)
	s_barrier
	buffer_gl0_inv
	s_and_saveexec_b32 s1, s0
	s_cbranch_execz .LBB55_53
; %bb.52:
	ds_read2_b32 v[1:2], v1 offset1:32
	s_waitcnt lgkmcnt(0)
	v_add_f32_e32 v13, v13, v1
	v_add_f32_e32 v12, v12, v2
.LBB55_53:
	s_or_b32 exec_lo, exec_lo, s1
	s_barrier
	buffer_gl0_inv
	s_and_saveexec_b32 s1, s0
	s_cbranch_execz .LBB55_55
; %bb.54:
	s_mul_i32 s0, s10, s12
	s_mul_i32 s2, s12, s20
	;; [unrolled: 1-line block ×3, first 2 shown]
	v_lshlrev_b32_e32 v0, 1, v0
	s_lshl_b32 s0, s0, 6
	;;#ASMSTART
	v_cvt_f16_f32 v1, v13;

	;;#ASMEND
	s_ashr_i32 s1, s0, 31
	s_lshl_b64 s[0:1], s[0:1], 1
	s_add_u32 s4, s6, s0
	s_addc_u32 s5, s7, s1
	s_ashr_i32 s3, s2, 31
	s_lshl_b64 s[0:1], s[2:3], 1
	s_add_u32 s2, s4, s0
	s_addc_u32 s3, s5, s1
	s_lshl_b32 s0, s8, 6
	s_ashr_i32 s1, s0, 31
	s_lshl_b64 s[0:1], s[0:1], 1
	s_add_u32 s0, s2, s0
	s_addc_u32 s1, s3, s1
	global_store_short v0, v1, s[0:1]
	;;#ASMSTART
	v_cvt_f16_f32 v1, v12;

	;;#ASMEND
	global_store_short v0, v1, s[0:1] offset:64
.LBB55_55:
	s_endpgm
	.section	.rodata,"a",@progbits
	.p2align	6, 0x0
	.amdhsa_kernel _ZN4vllm25paged_attention_v1_kernelIttLi64ELi8ELi128ELNS_18Fp8KVCacheDataTypeE0ELb1EEEvPT_PKS2_PKT0_S8_ifPKiSA_iPKfiiiSC_SC_iiiii
		.amdhsa_group_segment_fixed_size 160
		.amdhsa_private_segment_fixed_size 0
		.amdhsa_kernarg_size 384
		.amdhsa_user_sgpr_count 6
		.amdhsa_user_sgpr_private_segment_buffer 1
		.amdhsa_user_sgpr_dispatch_ptr 0
		.amdhsa_user_sgpr_queue_ptr 0
		.amdhsa_user_sgpr_kernarg_segment_ptr 1
		.amdhsa_user_sgpr_dispatch_id 0
		.amdhsa_user_sgpr_flat_scratch_init 0
		.amdhsa_user_sgpr_private_segment_size 0
		.amdhsa_wavefront_size32 1
		.amdhsa_uses_dynamic_stack 0
		.amdhsa_system_sgpr_private_segment_wavefront_offset 0
		.amdhsa_system_sgpr_workgroup_id_x 1
		.amdhsa_system_sgpr_workgroup_id_y 1
		.amdhsa_system_sgpr_workgroup_id_z 1
		.amdhsa_system_sgpr_workgroup_info 0
		.amdhsa_system_vgpr_workitem_id 0
		.amdhsa_next_free_vgpr 48
		.amdhsa_next_free_sgpr 38
		.amdhsa_reserve_vcc 1
		.amdhsa_reserve_flat_scratch 0
		.amdhsa_float_round_mode_32 0
		.amdhsa_float_round_mode_16_64 0
		.amdhsa_float_denorm_mode_32 3
		.amdhsa_float_denorm_mode_16_64 3
		.amdhsa_dx10_clamp 1
		.amdhsa_ieee_mode 1
		.amdhsa_fp16_overflow 0
		.amdhsa_workgroup_processor_mode 1
		.amdhsa_memory_ordered 1
		.amdhsa_forward_progress 1
		.amdhsa_shared_vgpr_count 0
		.amdhsa_exception_fp_ieee_invalid_op 0
		.amdhsa_exception_fp_denorm_src 0
		.amdhsa_exception_fp_ieee_div_zero 0
		.amdhsa_exception_fp_ieee_overflow 0
		.amdhsa_exception_fp_ieee_underflow 0
		.amdhsa_exception_fp_ieee_inexact 0
		.amdhsa_exception_int_div_zero 0
	.end_amdhsa_kernel
	.section	.text._ZN4vllm25paged_attention_v1_kernelIttLi64ELi8ELi128ELNS_18Fp8KVCacheDataTypeE0ELb1EEEvPT_PKS2_PKT0_S8_ifPKiSA_iPKfiiiSC_SC_iiiii,"axG",@progbits,_ZN4vllm25paged_attention_v1_kernelIttLi64ELi8ELi128ELNS_18Fp8KVCacheDataTypeE0ELb1EEEvPT_PKS2_PKT0_S8_ifPKiSA_iPKfiiiSC_SC_iiiii,comdat
.Lfunc_end55:
	.size	_ZN4vllm25paged_attention_v1_kernelIttLi64ELi8ELi128ELNS_18Fp8KVCacheDataTypeE0ELb1EEEvPT_PKS2_PKT0_S8_ifPKiSA_iPKfiiiSC_SC_iiiii, .Lfunc_end55-_ZN4vllm25paged_attention_v1_kernelIttLi64ELi8ELi128ELNS_18Fp8KVCacheDataTypeE0ELb1EEEvPT_PKS2_PKT0_S8_ifPKiSA_iPKfiiiSC_SC_iiiii
                                        ; -- End function
	.set _ZN4vllm25paged_attention_v1_kernelIttLi64ELi8ELi128ELNS_18Fp8KVCacheDataTypeE0ELb1EEEvPT_PKS2_PKT0_S8_ifPKiSA_iPKfiiiSC_SC_iiiii.num_vgpr, 48
	.set _ZN4vllm25paged_attention_v1_kernelIttLi64ELi8ELi128ELNS_18Fp8KVCacheDataTypeE0ELb1EEEvPT_PKS2_PKT0_S8_ifPKiSA_iPKfiiiSC_SC_iiiii.num_agpr, 0
	.set _ZN4vllm25paged_attention_v1_kernelIttLi64ELi8ELi128ELNS_18Fp8KVCacheDataTypeE0ELb1EEEvPT_PKS2_PKT0_S8_ifPKiSA_iPKfiiiSC_SC_iiiii.numbered_sgpr, 38
	.set _ZN4vllm25paged_attention_v1_kernelIttLi64ELi8ELi128ELNS_18Fp8KVCacheDataTypeE0ELb1EEEvPT_PKS2_PKT0_S8_ifPKiSA_iPKfiiiSC_SC_iiiii.num_named_barrier, 0
	.set _ZN4vllm25paged_attention_v1_kernelIttLi64ELi8ELi128ELNS_18Fp8KVCacheDataTypeE0ELb1EEEvPT_PKS2_PKT0_S8_ifPKiSA_iPKfiiiSC_SC_iiiii.private_seg_size, 0
	.set _ZN4vllm25paged_attention_v1_kernelIttLi64ELi8ELi128ELNS_18Fp8KVCacheDataTypeE0ELb1EEEvPT_PKS2_PKT0_S8_ifPKiSA_iPKfiiiSC_SC_iiiii.uses_vcc, 1
	.set _ZN4vllm25paged_attention_v1_kernelIttLi64ELi8ELi128ELNS_18Fp8KVCacheDataTypeE0ELb1EEEvPT_PKS2_PKT0_S8_ifPKiSA_iPKfiiiSC_SC_iiiii.uses_flat_scratch, 0
	.set _ZN4vllm25paged_attention_v1_kernelIttLi64ELi8ELi128ELNS_18Fp8KVCacheDataTypeE0ELb1EEEvPT_PKS2_PKT0_S8_ifPKiSA_iPKfiiiSC_SC_iiiii.has_dyn_sized_stack, 0
	.set _ZN4vllm25paged_attention_v1_kernelIttLi64ELi8ELi128ELNS_18Fp8KVCacheDataTypeE0ELb1EEEvPT_PKS2_PKT0_S8_ifPKiSA_iPKfiiiSC_SC_iiiii.has_recursion, 0
	.set _ZN4vllm25paged_attention_v1_kernelIttLi64ELi8ELi128ELNS_18Fp8KVCacheDataTypeE0ELb1EEEvPT_PKS2_PKT0_S8_ifPKiSA_iPKfiiiSC_SC_iiiii.has_indirect_call, 0
	.section	.AMDGPU.csdata,"",@progbits
; Kernel info:
; codeLenInByte = 5312
; TotalNumSgprs: 40
; NumVgprs: 48
; ScratchSize: 0
; MemoryBound: 0
; FloatMode: 240
; IeeeMode: 1
; LDSByteSize: 160 bytes/workgroup (compile time only)
; SGPRBlocks: 0
; VGPRBlocks: 5
; NumSGPRsForWavesPerEU: 40
; NumVGPRsForWavesPerEU: 48
; Occupancy: 16
; WaveLimiterHint : 1
; COMPUTE_PGM_RSRC2:SCRATCH_EN: 0
; COMPUTE_PGM_RSRC2:USER_SGPR: 6
; COMPUTE_PGM_RSRC2:TRAP_HANDLER: 0
; COMPUTE_PGM_RSRC2:TGID_X_EN: 1
; COMPUTE_PGM_RSRC2:TGID_Y_EN: 1
; COMPUTE_PGM_RSRC2:TGID_Z_EN: 1
; COMPUTE_PGM_RSRC2:TIDIG_COMP_CNT: 0
	.section	.text._ZN4vllm25paged_attention_v1_kernelIttLi80ELi8ELi128ELNS_18Fp8KVCacheDataTypeE0ELb1EEEvPT_PKS2_PKT0_S8_ifPKiSA_iPKfiiiSC_SC_iiiii,"axG",@progbits,_ZN4vllm25paged_attention_v1_kernelIttLi80ELi8ELi128ELNS_18Fp8KVCacheDataTypeE0ELb1EEEvPT_PKS2_PKT0_S8_ifPKiSA_iPKfiiiSC_SC_iiiii,comdat
	.protected	_ZN4vllm25paged_attention_v1_kernelIttLi80ELi8ELi128ELNS_18Fp8KVCacheDataTypeE0ELb1EEEvPT_PKS2_PKT0_S8_ifPKiSA_iPKfiiiSC_SC_iiiii ; -- Begin function _ZN4vllm25paged_attention_v1_kernelIttLi80ELi8ELi128ELNS_18Fp8KVCacheDataTypeE0ELb1EEEvPT_PKS2_PKT0_S8_ifPKiSA_iPKfiiiSC_SC_iiiii
	.globl	_ZN4vllm25paged_attention_v1_kernelIttLi80ELi8ELi128ELNS_18Fp8KVCacheDataTypeE0ELb1EEEvPT_PKS2_PKT0_S8_ifPKiSA_iPKfiiiSC_SC_iiiii
	.p2align	8
	.type	_ZN4vllm25paged_attention_v1_kernelIttLi80ELi8ELi128ELNS_18Fp8KVCacheDataTypeE0ELb1EEEvPT_PKS2_PKT0_S8_ifPKiSA_iPKfiiiSC_SC_iiiii,@function
_ZN4vllm25paged_attention_v1_kernelIttLi80ELi8ELi128ELNS_18Fp8KVCacheDataTypeE0ELb1EEEvPT_PKS2_PKT0_S8_ifPKiSA_iPKfiiiSC_SC_iiiii: ; @_ZN4vllm25paged_attention_v1_kernelIttLi80ELi8ELi128ELNS_18Fp8KVCacheDataTypeE0ELb1EEEvPT_PKS2_PKT0_S8_ifPKiSA_iPKfiiiSC_SC_iiiii
; %bb.0:
	s_clause 0x2
	s_load_dword s9, s[4:5], 0x80
	s_load_dwordx2 s[0:1], s[4:5], 0x30
	s_load_dwordx2 s[28:29], s[4:5], 0x20
	s_mov_b32 s10, s7
	s_ashr_i32 s11, s7, 31
	s_mov_b32 s33, 0
	s_lshl_b64 s[2:3], s[10:11], 2
	s_waitcnt lgkmcnt(0)
	s_add_u32 s0, s0, s2
	s_addc_u32 s1, s1, s3
	s_abs_i32 s2, s28
	s_abs_i32 s11, s9
	v_cvt_f32_u32_e32 v1, s2
	s_sub_i32 s7, 0, s2
	v_rcp_iflag_f32_e32 v1, v1
	v_mul_f32_e32 v1, 0x4f7ffffe, v1
	v_cvt_u32_f32_e32 v1, v1
	v_readfirstlane_b32 s3, v1
	s_mul_i32 s7, s7, s3
	s_mul_hi_u32 s7, s3, s7
	s_add_i32 s3, s3, s7
	s_xor_b32 s7, s9, s28
	s_mul_hi_u32 s3, s11, s3
	s_ashr_i32 s7, s7, 31
	s_mul_i32 s12, s3, s2
	s_sub_i32 s11, s11, s12
	s_add_i32 s12, s3, 1
	s_sub_i32 s13, s11, s2
	s_cmp_ge_u32 s11, s2
	s_cselect_b32 s3, s12, s3
	s_cselect_b32 s11, s13, s11
	s_add_i32 s12, s3, 1
	s_cmp_ge_u32 s11, s2
	s_cselect_b32 s2, s12, s3
	s_abs_i32 s22, s6
	s_xor_b32 s2, s2, s7
	s_sub_i32 s16, s2, s7
	s_load_dwordx2 s[2:3], s[4:5], 0x40
	s_abs_i32 s11, s16
	v_cvt_f32_u32_e32 v1, s11
	s_sub_i32 s12, 0, s11
	v_rcp_iflag_f32_e32 v1, v1
	v_mul_f32_e32 v1, 0x4f7ffffe, v1
	v_cvt_u32_f32_e32 v1, v1
	v_readfirstlane_b32 s7, v1
	s_mul_i32 s12, s12, s7
	s_mul_hi_u32 s12, s7, s12
	s_add_i32 s7, s7, s12
	s_waitcnt lgkmcnt(0)
	s_cmp_eq_u64 s[2:3], 0
	s_mul_hi_u32 s23, s22, s7
	s_cbranch_scc1 .LBB56_2
; %bb.1:
	s_ashr_i32 s7, s6, 31
	s_lshl_b64 s[12:13], s[6:7], 2
	s_add_u32 s2, s2, s12
	s_addc_u32 s3, s3, s13
	s_load_dword s33, s[2:3], 0x0
.LBB56_2:
	s_load_dword s30, s[0:1], 0x0
	s_load_dwordx4 s[12:15], s[4:5], 0x48
	v_and_b32_e32 v1, 3, v0
	v_lshlrev_b32_e32 v2, 2, v0
	s_ashr_i32 s0, s6, 31
	s_ashr_i32 s1, s16, 31
	s_mul_i32 s20, s6, 0x50
	s_mov_b32 s2, exec_lo
	v_cmpx_gt_u32_e32 40, v0
	s_cbranch_execz .LBB56_4
; %bb.3:
	s_load_dwordx2 s[16:17], s[4:5], 0x8
	s_waitcnt lgkmcnt(0)
	s_mul_i32 s18, s12, s10
	v_and_b32_e32 v4, 0x3fc, v0
	s_ashr_i32 s19, s18, 31
	s_lshl_b64 s[18:19], s[18:19], 1
	v_mad_u32_u24 v4, v1, 40, v4
	s_add_u32 s3, s16, s18
	s_addc_u32 s7, s17, s19
	s_ashr_i32 s21, s20, 31
	s_lshl_b64 s[16:17], s[20:21], 1
	s_add_u32 s16, s3, s16
	s_addc_u32 s17, s7, s17
	global_load_dword v3, v2, s[16:17]
	s_waitcnt vmcnt(0)
	ds_write_b32 v4, v3
.LBB56_4:
	s_or_b32 exec_lo, exec_lo, s2
	s_load_dwordx4 s[16:19], s[4:5], 0x68
	s_mul_i32 s2, s23, s11
	s_xor_b32 s1, s0, s1
	s_sub_i32 s0, s22, s2
	s_add_i32 s2, s23, 1
	s_sub_i32 s3, s0, s11
	s_cmp_ge_u32 s0, s11
	s_waitcnt lgkmcnt(0)
	s_cselect_b32 s2, s2, s23
	s_cselect_b32 s0, s3, s0
	s_add_i32 s3, s2, 1
	s_cmp_ge_u32 s0, s11
	s_load_dword s0, s[4:5], 0x78
	s_cselect_b32 s2, s3, s2
	s_add_i32 s7, s30, -1
	s_xor_b32 s2, s2, s1
	s_abs_i32 s3, s7
	s_sub_i32 s1, s2, s1
	s_mov_b32 s11, -1
	s_barrier
	s_abs_i32 s12, s19
	s_waitcnt lgkmcnt(0)
	buffer_gl0_inv
	v_cvt_f32_u32_e32 v3, s12
	s_sub_i32 s2, 0, s12
                                        ; implicit-def: $sgpr31
	v_rcp_iflag_f32_e32 v3, v3
	v_mul_f32_e32 v3, 0x4f7ffffe, v3
	v_cvt_u32_f32_e32 v3, v3
	v_readfirstlane_b32 s21, v3
	s_mul_i32 s2, s2, s21
	s_mul_hi_u32 s2, s21, s2
	s_add_i32 s21, s21, s2
	s_cmp_lt_i32 s0, 0
	s_mul_hi_u32 s2, s3, s21
	s_cbranch_scc0 .LBB56_6
; %bb.5:
	s_mul_i32 s11, s16, s28
	s_add_i32 s11, s1, s11
	s_mul_i32 s11, s11, s0
	s_sub_i32 s31, 1, s11
	s_mov_b32 s11, 0
.LBB56_6:
	s_load_dwordx2 s[22:23], s[4:5], 0x28
	s_ashr_i32 s7, s7, 31
	s_andn2_b32 vcc_lo, exec_lo, s11
	s_ashr_i32 s19, s19, 31
	s_cbranch_vccnz .LBB56_8
; %bb.7:
	s_mul_i32 s11, s9, s16
	s_add_i32 s6, s11, s6
	s_mul_i32 s0, s6, s0
	s_add_i32 s31, s0, 1
.LBB56_8:
	s_load_dword s0, s[4:5], 0x38
	s_mul_i32 s6, s2, s12
	s_xor_b32 s15, s7, s19
	s_sub_i32 s3, s3, s6
	s_add_i32 s16, s2, 1
	s_clause 0x2
	s_load_dwordx2 s[6:7], s[4:5], 0x0
	s_load_dwordx2 s[26:27], s[4:5], 0x18
	s_load_dword s11, s[4:5], 0x88
	v_lshrrev_b32_e32 v9, 5, v0
	v_mov_b32_e32 v5, 0xff7fffff
	v_lshrrev_b32_e32 v3, 3, v0
	v_mbcnt_lo_u32_b32 v4, -1, 0
	s_mul_i32 s14, s1, s14
	v_lshlrev_b32_e32 v10, 3, v9
	s_waitcnt lgkmcnt(0)
	s_mul_i32 s24, s0, s10
	s_sub_i32 s0, s3, s12
	s_ashr_i32 s25, s24, 31
	s_cmp_ge_u32 s3, s12
	s_cselect_b32 s2, s16, s2
	s_cselect_b32 s0, s0, s3
	s_add_i32 s3, s2, 1
	s_cmp_ge_u32 s0, s12
	s_cselect_b32 s0, s3, s2
	s_add_i32 s2, s30, 7
	s_ashr_i32 s3, s2, 31
	s_lshr_b32 s3, s3, 29
	s_add_i32 s2, s2, s3
	s_ashr_i32 s16, s2, 3
	s_xor_b32 s2, s0, s15
	v_cmp_gt_i32_e64 s0, s16, v9
	s_sub_i32 s28, s2, s15
	s_and_saveexec_b32 s34, s0
	s_cbranch_execz .LBB56_20
; %bb.9:
	s_load_dwordx2 s[2:3], s[4:5], 0x10
	s_ashr_i32 s15, s14, 31
	s_sub_i32 s4, s28, s17
	s_lshl_b64 s[36:37], s[14:15], 1
	v_bfe_u32 v6, v0, 2, 3
	v_and_b32_e32 v16, 12, v2
	v_cmp_eq_u32_e32 vcc_lo, 0, v1
	v_mul_u32_u24_e32 v7, 40, v1
	v_and_b32_e32 v1, 0x7c, v3
	v_lshlrev_b32_e32 v2, 2, v6
	v_subrev_nc_u32_e32 v15, s30, v6
	v_lshlrev_b32_e32 v17, 4, v6
	v_cmp_neq_f32_e64 s1, s33, 0
	v_lshlrev_b32_e32 v8, 3, v9
	v_lshl_or_b32 v2, v9, 5, v2
	v_mov_b32_e32 v11, 0xff7fffff
	v_xor_b32_e32 v12, 2, v4
	v_xor_b32_e32 v13, 1, v4
	s_waitcnt lgkmcnt(0)
	s_add_u32 s15, s2, s36
	s_addc_u32 s35, s3, s37
	s_abs_i32 s5, s18
	v_add_co_u32 v17, s15, s15, v17
	v_cvt_f32_u32_e32 v5, s5
	s_sub_i32 s2, 0, s5
	v_add_co_ci_u32_e64 v19, null, s35, 0, s15
	s_mov_b32 s15, 0
	v_rcp_iflag_f32_e32 v5, v5
	s_mov_b32 s35, s13
	v_mul_f32_e32 v14, 0x4f7ffffe, v5
	v_mov_b32_e32 v5, 0xff7fffff
	v_cvt_u32_f32_e32 v18, v14
	v_add_nc_u32_e32 v14, 1, v15
	v_add_nc_u32_e32 v15, 0xc0, v2
	v_mul_lo_u32 v2, s2, v18
	s_lshl_b64 s[2:3], s[24:25], 2
	s_add_u32 s2, s22, s2
	s_addc_u32 s3, s23, s3
	v_add_co_u32 v1, s2, s2, v1
	v_mul_hi_u32 v20, v18, v2
	v_add_co_ci_u32_e64 v2, null, s3, 0, s2
	v_add_co_u32 v16, s2, v17, v16
	v_add_co_ci_u32_e64 v17, null, 0, v19, s2
	v_mov_b32_e32 v19, v9
	v_add_nc_u32_e32 v18, v18, v20
	s_branch .LBB56_12
.LBB56_10:                              ;   in Loop: Header=BB56_12 Depth=1
	s_or_b32 exec_lo, exec_lo, s36
.LBB56_11:                              ;   in Loop: Header=BB56_12 Depth=1
	s_or_b32 exec_lo, exec_lo, s3
	v_add_nc_u32_e32 v19, 4, v19
	v_add_co_u32 v1, s3, v1, 16
	v_add_co_ci_u32_e64 v2, null, 0, v2, s3
	v_cmp_le_i32_e64 s2, s16, v19
	v_add_nc_u32_e32 v8, 32, v8
	v_add_nc_u32_e32 v15, 0x80, v15
	s_or_b32 s15, s2, s15
	s_andn2_b32 exec_lo, exec_lo, s15
	s_cbranch_execz .LBB56_19
.LBB56_12:                              ; =>This Inner Loop Header: Depth=1
	v_mul_hi_u32 v20, v8, s21
	s_waitcnt lgkmcnt(0)
	v_mul_lo_u32 v21, v20, s12
	v_add_nc_u32_e32 v22, 1, v20
	v_sub_nc_u32_e32 v21, v8, v21
	v_subrev_nc_u32_e32 v23, s12, v21
	v_cmp_le_u32_e64 s2, s12, v21
	v_cndmask_b32_e64 v20, v20, v22, s2
	v_cndmask_b32_e64 v21, v21, v23, s2
	v_add_nc_u32_e32 v22, 1, v20
	v_cmp_le_u32_e64 s2, s12, v21
	v_cndmask_b32_e64 v20, v20, v22, s2
	v_xor_b32_e32 v20, s19, v20
	v_subrev_nc_u32_e32 v20, s19, v20
	v_add_nc_u32_e32 v21, s31, v20
	v_cmp_ge_i32_e64 s3, s4, v20
	v_sub_nc_u32_e32 v22, 0, v21
	v_max_i32_e32 v22, v21, v22
	v_ashrrev_i32_e32 v21, 31, v21
	v_mul_hi_u32 v23, v22, v18
	v_mul_lo_u32 v23, v23, s5
	v_sub_nc_u32_e32 v22, v22, v23
	v_subrev_nc_u32_e32 v23, s5, v22
	v_cmp_le_u32_e64 s2, s5, v22
	v_cndmask_b32_e64 v22, v22, v23, s2
	v_subrev_nc_u32_e32 v23, s5, v22
	v_cmp_le_u32_e64 s2, s5, v22
	v_cndmask_b32_e64 v22, v22, v23, s2
	v_xor_b32_e32 v22, v22, v21
	v_sub_nc_u32_e32 v21, v22, v21
	v_cmp_ne_u32_e64 s2, 0, v21
	s_and_b32 s2, s2, s3
	s_and_saveexec_b32 s3, s2
	s_xor_b32 s2, exec_lo, s3
	s_cbranch_execz .LBB56_16
; %bb.13:                               ;   in Loop: Header=BB56_12 Depth=1
	s_and_saveexec_b32 s3, vcc_lo
; %bb.14:                               ;   in Loop: Header=BB56_12 Depth=1
	ds_write_b32 v15, v11
; %bb.15:                               ;   in Loop: Header=BB56_12 Depth=1
	s_or_b32 exec_lo, exec_lo, s3
.LBB56_16:                              ;   in Loop: Header=BB56_12 Depth=1
	s_andn2_saveexec_b32 s3, s2
	s_cbranch_execz .LBB56_11
; %bb.17:                               ;   in Loop: Header=BB56_12 Depth=1
	global_load_dword v20, v[1:2], off
	s_waitcnt vmcnt(0)
	v_mad_i64_i32 v[20:21], null, v20, s35, 0
	v_lshlrev_b64 v[20:21], 1, v[20:21]
	v_add_co_u32 v20, s2, v16, v20
	v_add_co_ci_u32_e64 v21, null, v17, v21, s2
	v_cmp_gt_i32_e64 s2, 32, v12
	s_clause 0x9
	global_load_dword v22, v[20:21], off
	global_load_dword v23, v[20:21], off offset:128
	global_load_dword v24, v[20:21], off offset:256
	;; [unrolled: 1-line block ×9, first 2 shown]
	ds_read_b32 v21, v7
	s_waitcnt lgkmcnt(0)
	v_and_b32_e32 v31, 0xffff, v21
	v_lshrrev_b32_e32 v32, 16, v21
	;;#ASMSTART
	v_cvt_f32_f16 v21, v31;
	;;#ASMEND
	s_waitcnt vmcnt(9)
	v_and_b32_e32 v33, 0xffff, v22
	v_lshrrev_b32_e32 v34, 16, v22
	;;#ASMSTART
	v_cvt_f32_f16 v22, v32;
	;;#ASMEND
	;;#ASMSTART
	v_cvt_f32_f16 v31, v33;
	;;#ASMEND
	;; [unrolled: 3-line block ×3, first 2 shown]
	ds_read_b32 v33, v7 offset:4
	s_waitcnt vmcnt(8)
	v_and_b32_e32 v35, 0xffff, v23
	v_lshrrev_b32_e32 v36, 16, v23
	s_waitcnt vmcnt(7)
	v_and_b32_e32 v38, 0xffff, v24
	v_lshrrev_b32_e32 v39, 16, v24
	;; [unrolled: 3-line block ×7, first 2 shown]
	s_waitcnt lgkmcnt(0)
	v_and_b32_e32 v34, 0xffff, v33
	v_lshrrev_b32_e32 v33, 16, v33
	;;#ASMSTART
	v_cvt_f32_f16 v23, v34;
	;;#ASMEND
	;;#ASMSTART
	v_cvt_f32_f16 v33, v33;
	;;#ASMEND
	;; [unrolled: 3-line block ×4, first 2 shown]
	ds_read_b32 v36, v7 offset:8
	v_mul_f32_e32 v23, v23, v34
	v_mul_f32_e32 v33, v33, v35
	v_fmac_f32_e32 v23, v21, v31
	v_fmac_f32_e32 v33, v22, v32
	s_waitcnt vmcnt(1)
	v_lshrrev_b32_e32 v31, 16, v30
	s_waitcnt lgkmcnt(0)
	v_and_b32_e32 v37, 0xffff, v36
	v_lshrrev_b32_e32 v36, 16, v36
	;;#ASMSTART
	v_cvt_f32_f16 v24, v37;
	;;#ASMEND
	;;#ASMSTART
	v_cvt_f32_f16 v36, v36;
	;;#ASMEND
	;; [unrolled: 3-line block ×4, first 2 shown]
	ds_read_b32 v39, v7 offset:12
	v_fmac_f32_e32 v23, v24, v37
	v_fmac_f32_e32 v33, v36, v38
	v_and_b32_e32 v24, 0xffff, v30
	s_waitcnt lgkmcnt(0)
	v_and_b32_e32 v40, 0xffff, v39
	v_lshrrev_b32_e32 v39, 16, v39
	;;#ASMSTART
	v_cvt_f32_f16 v25, v40;
	;;#ASMEND
	;;#ASMSTART
	v_cvt_f32_f16 v39, v39;
	;;#ASMEND
	;; [unrolled: 3-line block ×4, first 2 shown]
	ds_read_b32 v42, v7 offset:16
	v_fmac_f32_e32 v23, v25, v40
	v_fmac_f32_e32 v33, v39, v41
	s_waitcnt lgkmcnt(0)
	v_and_b32_e32 v43, 0xffff, v42
	v_lshrrev_b32_e32 v42, 16, v42
	;;#ASMSTART
	v_cvt_f32_f16 v26, v43;
	;;#ASMEND
	;;#ASMSTART
	v_cvt_f32_f16 v42, v42;
	;;#ASMEND
	;; [unrolled: 3-line block ×4, first 2 shown]
	ds_read_b32 v45, v7 offset:20
	v_fmac_f32_e32 v23, v26, v43
	v_fmac_f32_e32 v33, v42, v44
	v_cndmask_b32_e64 v26, v4, v12, s2
	v_cmp_gt_i32_e64 s2, 32, v13
	s_waitcnt lgkmcnt(0)
	v_and_b32_e32 v46, 0xffff, v45
	v_lshrrev_b32_e32 v45, 16, v45
	;;#ASMSTART
	v_cvt_f32_f16 v27, v46;
	;;#ASMEND
	;;#ASMSTART
	v_cvt_f32_f16 v45, v45;
	;;#ASMEND
	;; [unrolled: 3-line block ×4, first 2 shown]
	ds_read_b32 v48, v7 offset:24
	v_fmac_f32_e32 v23, v27, v46
	v_fmac_f32_e32 v33, v45, v47
	s_waitcnt vmcnt(0)
	v_lshrrev_b32_e32 v27, 16, v20
	s_waitcnt lgkmcnt(0)
	v_and_b32_e32 v49, 0xffff, v48
	v_lshrrev_b32_e32 v48, 16, v48
	;;#ASMSTART
	v_cvt_f32_f16 v28, v49;
	;;#ASMEND
	;;#ASMSTART
	v_cvt_f32_f16 v48, v48;
	;;#ASMEND
	;;#ASMSTART
	v_cvt_f32_f16 v49, v50;
	;;#ASMEND
	;;#ASMSTART
	v_cvt_f32_f16 v50, v51;
	;;#ASMEND
	ds_read_b32 v51, v7 offset:28
	v_fmac_f32_e32 v23, v28, v49
	v_fmac_f32_e32 v33, v48, v50
	s_waitcnt lgkmcnt(0)
	v_and_b32_e32 v52, 0xffff, v51
	v_lshrrev_b32_e32 v51, 16, v51
	;;#ASMSTART
	v_cvt_f32_f16 v29, v52;
	;;#ASMEND
	;;#ASMSTART
	v_cvt_f32_f16 v51, v51;
	;;#ASMEND
	;;#ASMSTART
	v_cvt_f32_f16 v52, v53;
	;;#ASMEND
	;;#ASMSTART
	v_cvt_f32_f16 v53, v54;
	;;#ASMEND
	ds_read_b32 v54, v7 offset:32
	v_fmac_f32_e32 v23, v29, v52
	v_fmac_f32_e32 v33, v51, v53
	;; [unrolled: 18-line block ×3, first 2 shown]
	s_waitcnt lgkmcnt(0)
	v_and_b32_e32 v28, 0xffff, v30
	v_lshrrev_b32_e32 v29, 16, v30
	v_and_b32_e32 v30, 0xffff, v20
	;;#ASMSTART
	v_cvt_f32_f16 v20, v28;
	;;#ASMEND
	;;#ASMSTART
	v_cvt_f32_f16 v21, v29;
	;;#ASMEND
	;; [unrolled: 3-line block ×4, first 2 shown]
	v_fmac_f32_e32 v23, v20, v22
	v_fmac_f32_e32 v33, v21, v24
	v_lshlrev_b32_e32 v20, 2, v26
	v_cndmask_b32_e64 v22, v4, v13, s2
	v_add_f32_e32 v21, v23, v33
	ds_bpermute_b32 v20, v20, v21
	s_waitcnt lgkmcnt(0)
	v_add_f32_e32 v20, v21, v20
	v_lshlrev_b32_e32 v21, 2, v22
	ds_bpermute_b32 v21, v21, v20
	s_and_saveexec_b32 s36, vcc_lo
	s_cbranch_execz .LBB56_10
; %bb.18:                               ;   in Loop: Header=BB56_12 Depth=1
	v_add_nc_u32_e32 v22, v14, v8
	s_waitcnt lgkmcnt(0)
	v_add_f32_e32 v20, v20, v21
	v_cvt_f32_i32_e32 v22, v22
	v_mul_f32_e32 v22, s33, v22
	v_cndmask_b32_e64 v21, 0, v22, s1
	v_max_f32_e32 v22, v5, v5
	v_fmac_f32_e32 v21, s29, v20
	v_add_nc_u32_e32 v20, v6, v8
	v_max_f32_e32 v22, v22, v21
	v_cmp_gt_i32_e64 s2, s30, v20
	v_cndmask_b32_e64 v20, 0, v21, s2
	v_cndmask_b32_e64 v5, v5, v22, s2
	ds_write_b32 v15, v20
	s_branch .LBB56_10
.LBB56_19:
	s_or_b32 exec_lo, exec_lo, s15
.LBB56_20:
	s_or_b32 exec_lo, exec_lo, s34
	v_xor_b32_e32 v1, 16, v4
	v_xor_b32_e32 v6, 8, v4
	v_and_b32_e32 v11, 31, v0
	v_cmp_gt_i32_e32 vcc_lo, 32, v1
	v_cndmask_b32_e32 v1, v4, v1, vcc_lo
	v_cmp_gt_i32_e32 vcc_lo, 32, v6
	v_lshlrev_b32_e32 v1, 2, v1
	v_cndmask_b32_e32 v6, v4, v6, vcc_lo
	ds_bpermute_b32 v2, v1, v5
	v_max_f32_e32 v5, v5, v5
	s_waitcnt lgkmcnt(0)
	v_max_f32_e32 v7, v2, v2
	v_lshlrev_b32_e32 v2, 2, v6
	v_max_f32_e32 v5, v5, v7
	v_xor_b32_e32 v7, 4, v4
	ds_bpermute_b32 v6, v2, v5
	v_cmp_gt_i32_e32 vcc_lo, 32, v7
	v_cndmask_b32_e32 v7, v4, v7, vcc_lo
	v_cmp_eq_u32_e32 vcc_lo, 0, v11
	v_lshlrev_b32_e32 v7, 2, v7
	s_waitcnt lgkmcnt(0)
	v_max_f32_e32 v6, v6, v6
	v_max_f32_e32 v6, v5, v6
	v_lshlrev_b32_e32 v5, 2, v9
	ds_bpermute_b32 v8, v7, v6
	s_and_saveexec_b32 s1, vcc_lo
	s_cbranch_execz .LBB56_22
; %bb.21:
	s_waitcnt lgkmcnt(0)
	v_max_f32_e32 v8, v8, v8
	v_max_f32_e32 v6, v6, v6
	;; [unrolled: 1-line block ×3, first 2 shown]
	ds_write_b32 v5, v6 offset:160
.LBB56_22:
	s_or_b32 exec_lo, exec_lo, s1
	v_cmp_gt_u32_e64 s1, 4, v11
	v_mov_b32_e32 v12, 0xff7fffff
	v_lshlrev_b32_e32 v6, 2, v11
	s_waitcnt lgkmcnt(0)
	s_barrier
	buffer_gl0_inv
	s_and_saveexec_b32 s2, s1
; %bb.23:
	ds_read_b32 v12, v6 offset:160
; %bb.24:
	s_or_b32 exec_lo, exec_lo, s2
	v_xor_b32_e32 v8, 2, v4
	v_xor_b32_e32 v14, 1, v4
	v_cmp_gt_i32_e64 s2, 32, v8
	v_cndmask_b32_e64 v8, v4, v8, s2
	v_cmp_gt_i32_e64 s2, 32, v14
	v_lshlrev_b32_e32 v8, 2, v8
	v_cndmask_b32_e64 v4, v4, v14, s2
	s_lshl_b32 s2, s16, 3
	s_min_i32 s4, s2, s30
	s_waitcnt lgkmcnt(0)
	ds_bpermute_b32 v13, v8, v12
	v_max_f32_e32 v12, v12, v12
	v_lshlrev_b32_e32 v4, 2, v4
	v_cmp_gt_i32_e64 s2, s4, v0
	s_waitcnt lgkmcnt(0)
	v_max_f32_e32 v13, v13, v13
	v_max_f32_e32 v12, v12, v13
	ds_bpermute_b32 v13, v4, v12
	s_waitcnt lgkmcnt(0)
	v_max_f32_e32 v13, v13, v13
	v_max_f32_e32 v12, v12, v13
	v_mov_b32_e32 v13, 0
	ds_bpermute_b32 v14, v13, v12
	v_lshl_add_u32 v12, v0, 2, 0xc0
	s_and_saveexec_b32 s5, s2
	s_cbranch_execz .LBB56_28
; %bb.25:
	v_lshl_add_u32 v15, v0, 2, 0xc0
	v_mov_b32_e32 v13, 0
	v_mov_b32_e32 v16, v0
	s_mov_b32 s15, 0
	.p2align	6
.LBB56_26:                              ; =>This Inner Loop Header: Depth=1
	ds_read_b32 v17, v15
	v_add_nc_u32_e32 v16, 0x80, v16
	v_cmp_le_i32_e64 s3, s4, v16
	s_or_b32 s15, s3, s15
	s_waitcnt lgkmcnt(0)
	v_sub_f32_e32 v17, v17, v14
	v_mul_f32_e32 v17, 0x3fb8aa3b, v17
	v_exp_f32_e32 v17, v17
	ds_write_b32 v15, v17
	v_add_f32_e32 v13, v13, v17
	v_add_nc_u32_e32 v15, 0x200, v15
	s_andn2_b32 exec_lo, exec_lo, s15
	s_cbranch_execnz .LBB56_26
; %bb.27:
	s_or_b32 exec_lo, exec_lo, s15
.LBB56_28:
	s_or_b32 exec_lo, exec_lo, s5
	ds_bpermute_b32 v1, v1, v13
	s_waitcnt lgkmcnt(0)
	v_add_f32_e32 v1, v13, v1
	ds_bpermute_b32 v2, v2, v1
	s_waitcnt lgkmcnt(0)
	v_add_f32_e32 v1, v1, v2
	;; [unrolled: 3-line block ×5, first 2 shown]
	s_and_saveexec_b32 s3, vcc_lo
; %bb.29:
	ds_write_b32 v5, v1 offset:176
; %bb.30:
	s_or_b32 exec_lo, exec_lo, s3
	s_waitcnt lgkmcnt(0)
	s_barrier
	buffer_gl0_inv
	s_and_saveexec_b32 s3, s1
; %bb.31:
	ds_read_b32 v1, v6 offset:176
; %bb.32:
	s_or_b32 exec_lo, exec_lo, s3
	s_waitcnt lgkmcnt(0)
	ds_bpermute_b32 v2, v8, v1
	s_waitcnt lgkmcnt(0)
	v_add_f32_e32 v1, v1, v2
	ds_bpermute_b32 v2, v4, v1
	s_waitcnt lgkmcnt(0)
	v_add_f32_e32 v1, v1, v2
	v_mov_b32_e32 v2, 0
	ds_bpermute_b32 v1, v2, v1
	s_and_saveexec_b32 s1, s2
	s_cbranch_execz .LBB56_35
; %bb.33:
	s_waitcnt lgkmcnt(0)
	v_add_f32_e32 v2, 0x358637bd, v1
	s_mov_b32 s2, 0
	v_div_scale_f32 v1, null, v2, v2, 1.0
	v_div_scale_f32 v6, vcc_lo, 1.0, v2, 1.0
	v_rcp_f32_e32 v4, v1
	v_fma_f32 v5, -v1, v4, 1.0
	v_fmac_f32_e32 v4, v5, v4
	v_mul_f32_e32 v5, v6, v4
	v_fma_f32 v7, -v1, v5, v6
	v_fmac_f32_e32 v5, v7, v4
	v_fma_f32 v1, -v1, v5, v6
	v_div_fmas_f32 v4, v1, v4, v5
	v_mov_b32_e32 v1, v12
	v_div_fixup_f32 v2, v4, v2, 1.0
	v_mov_b32_e32 v4, v0
.LBB56_34:                              ; =>This Inner Loop Header: Depth=1
	ds_read_b32 v5, v1
	v_add_nc_u32_e32 v4, 0x80, v4
	v_cmp_le_i32_e32 vcc_lo, s4, v4
	s_or_b32 s2, vcc_lo, s2
	s_waitcnt lgkmcnt(0)
	v_mul_f32_e32 v5, v2, v5
	ds_write_b32 v1, v5
	v_add_nc_u32_e32 v1, 0x200, v1
	s_andn2_b32 exec_lo, exec_lo, s2
	s_cbranch_execnz .LBB56_34
.LBB56_35:
	s_or_b32 exec_lo, exec_lo, s1
	v_mov_b32_e32 v15, 0
	v_or_b32_e32 v16, 64, v11
	v_mov_b32_e32 v14, 0
	v_mov_b32_e32 v13, 0
	s_waitcnt lgkmcnt(0)
	s_barrier
	buffer_gl0_inv
	s_and_saveexec_b32 s2, s0
	s_cbranch_execz .LBB56_49
; %bb.36:
	s_ashr_i32 s15, s14, 31
	s_sub_i32 s3, s28, s17
	s_lshl_b64 s[0:1], s[14:15], 1
	v_lshlrev_b32_e32 v2, 3, v11
	s_add_u32 s4, s26, s0
	s_addc_u32 s5, s27, s1
	s_abs_i32 s14, s18
	v_and_b32_e32 v3, 0x7c, v3
	v_cvt_f32_u32_e32 v1, s14
	s_sub_i32 s1, 0, s14
	v_lshlrev_b32_e32 v19, 1, v2
	s_lshl_b64 s[24:25], s[24:25], 2
	v_lshlrev_b32_e32 v4, 3, v16
	v_rcp_iflag_f32_e32 v1, v1
	s_add_i32 s15, s16, -1
	v_mov_b32_e32 v17, 0
	v_cmp_gt_u32_e64 s0, 0x50, v16
	v_lshl_add_u32 v18, v9, 5, 0xc0
	v_mov_b32_e32 v13, 0
	v_mov_b32_e32 v14, 0
	;; [unrolled: 1-line block ×3, first 2 shown]
	v_lshlrev_b32_e32 v20, 1, v4
	v_mov_b32_e32 v22, v9
	v_mul_f32_e32 v1, 0x4f7ffffe, v1
	v_cvt_u32_f32_e32 v1, v1
	v_mul_lo_u32 v5, s1, v1
	s_add_u32 s1, s22, s24
	s_addc_u32 s17, s23, s25
	v_mul_hi_u32 v2, v1, v5
	v_add_co_u32 v5, s1, s1, v3
	v_add_co_ci_u32_e64 v6, null, s17, 0, s1
	s_mov_b32 s17, s13
	s_mov_b32 s13, 0
	v_add_nc_u32_e32 v21, v1, v2
	s_branch .LBB56_40
.LBB56_37:                              ;   in Loop: Header=BB56_40 Depth=1
	s_or_b32 exec_lo, exec_lo, s23
	v_lshlrev_b32_e32 v31, 16, v31
	v_lshlrev_b32_e32 v24, 16, v24
	v_lshlrev_b32_e32 v23, 16, v23
	v_and_or_b32 v1, 0xffff, v1, v31
	v_and_or_b32 v2, 0xffff, v2, v24
	;; [unrolled: 1-line block ×3, first 2 shown]
	;;#ASMSTART
	v_pk_mul_f16 v1, v28, v1;

	;;#ASMEND
	;;#ASMSTART
	v_pk_mul_f16 v2, v27, v2;

	;;#ASMEND
	;; [unrolled: 4-line block ×4, first 2 shown]
	;;#ASMSTART
	v_pk_add_f16 v1, v1, v2;

	;;#ASMEND
	;;#ASMSTART
	v_pk_add_f16 v1, v1, v3;

	;;#ASMEND
	;; [unrolled: 4-line block ×3, first 2 shown]
	v_and_b32_e32 v2, 0xffff, v1
	v_lshrrev_b32_e32 v3, 16, v1
	;;#ASMSTART
	v_cvt_f32_f16 v1, v2;
	;;#ASMEND
	;;#ASMSTART
	v_cvt_f32_f16 v2, v3;
	;;#ASMEND
	v_add_f32_e32 v1, v1, v2
	v_add_f32_e32 v13, v13, v1
.LBB56_38:                              ;   in Loop: Header=BB56_40 Depth=1
	s_or_b32 exec_lo, exec_lo, s22
	v_add_f32_e32 v1, v25, v26
	v_add_f32_e32 v2, v7, v8
	;; [unrolled: 1-line block ×4, first 2 shown]
.LBB56_39:                              ;   in Loop: Header=BB56_40 Depth=1
	s_or_b32 exec_lo, exec_lo, s18
	v_add_nc_u32_e32 v22, 4, v22
	v_add_co_u32 v5, s1, v5, 16
	v_add_co_ci_u32_e64 v6, null, 0, v6, s1
	v_cmp_le_i32_e32 vcc_lo, s16, v22
	v_add_nc_u32_e32 v10, 32, v10
	v_add_nc_u32_e32 v18, 0x80, v18
	s_or_b32 s13, vcc_lo, s13
	s_andn2_b32 exec_lo, exec_lo, s13
	s_cbranch_execz .LBB56_48
.LBB56_40:                              ; =>This Inner Loop Header: Depth=1
	v_mul_hi_u32 v1, v10, s21
	v_mul_lo_u32 v2, v1, s12
	v_add_nc_u32_e32 v3, 1, v1
	v_sub_nc_u32_e32 v2, v10, v2
	v_subrev_nc_u32_e32 v4, s12, v2
	v_cmp_le_u32_e32 vcc_lo, s12, v2
	v_cndmask_b32_e32 v1, v1, v3, vcc_lo
	v_cndmask_b32_e32 v2, v2, v4, vcc_lo
	v_add_nc_u32_e32 v3, 1, v1
	v_cmp_le_u32_e32 vcc_lo, s12, v2
	v_cndmask_b32_e32 v1, v1, v3, vcc_lo
	v_xor_b32_e32 v1, s19, v1
	v_subrev_nc_u32_e32 v1, s19, v1
	v_add_nc_u32_e32 v2, s31, v1
	v_cmp_lt_i32_e64 s1, s3, v1
	v_sub_nc_u32_e32 v3, 0, v2
	v_max_i32_e32 v3, v2, v3
	v_ashrrev_i32_e32 v2, 31, v2
	v_mul_hi_u32 v4, v3, v21
	v_mul_lo_u32 v4, v4, s14
	v_sub_nc_u32_e32 v3, v3, v4
	v_subrev_nc_u32_e32 v4, s14, v3
	v_cmp_le_u32_e32 vcc_lo, s14, v3
	v_cndmask_b32_e32 v3, v3, v4, vcc_lo
	v_subrev_nc_u32_e32 v4, s14, v3
	v_cmp_le_u32_e32 vcc_lo, s14, v3
	v_cndmask_b32_e32 v3, v3, v4, vcc_lo
	v_xor_b32_e32 v3, v3, v2
	v_sub_nc_u32_e32 v2, v3, v2
	v_cmp_eq_u32_e32 vcc_lo, 0, v2
	s_or_b32 s1, vcc_lo, s1
	s_and_saveexec_b32 s18, s1
	s_cbranch_execz .LBB56_39
; %bb.41:                               ;   in Loop: Header=BB56_40 Depth=1
	global_load_dword v7, v[5:6], off
	ds_read2_b64 v[1:4], v18 offset1:1
	ds_read2_b64 v[32:35], v18 offset0:2 offset1:3
	s_waitcnt lgkmcnt(1)
	;;#ASMSTART
	v_cvt_f16_f32 v28, v1;

	;;#ASMEND
	;;#ASMSTART
	v_cvt_f16_f32 v25, v2;

	;;#ASMEND
	;; [unrolled: 4-line block ×4, first 2 shown]
	s_waitcnt lgkmcnt(0)
	;;#ASMSTART
	v_cvt_f16_f32 v32, v32;

	;;#ASMEND
	;;#ASMSTART
	v_cvt_f16_f32 v29, v33;

	;;#ASMEND
	;; [unrolled: 4-line block ×4, first 2 shown]
	v_cmp_eq_u32_e64 s1, s15, v22
	s_waitcnt vmcnt(0)
	v_mad_i64_i32 v[7:8], null, v7, s17, 0
	v_lshlrev_b64 v[7:8], 1, v[7:8]
	v_add_co_u32 v23, vcc_lo, s4, v7
	v_add_co_ci_u32_e64 v24, null, s5, v8, vcc_lo
	v_add_co_u32 v7, vcc_lo, v23, v19
	v_add_co_ci_u32_e64 v8, null, 0, v24, vcc_lo
	global_load_dwordx4 v[1:4], v[7:8], off
	s_waitcnt vmcnt(0)
	v_lshrrev_b32_e32 v35, 16, v1
	v_lshrrev_b32_e32 v34, 16, v2
	;; [unrolled: 1-line block ×3, first 2 shown]
	s_and_saveexec_b32 s22, s1
	s_cbranch_execz .LBB56_43
; %bb.42:                               ;   in Loop: Header=BB56_40 Depth=1
	v_add_nc_u32_e32 v36, 1, v10
	v_cmp_gt_i32_e32 vcc_lo, s30, v10
	v_add_nc_u32_e32 v37, 2, v10
	v_add_nc_u32_e32 v38, 3, v10
	v_and_b32_e32 v39, 0xffff0000, v4
	v_cndmask_b32_e32 v1, 0, v1, vcc_lo
	v_cmp_gt_i32_e32 vcc_lo, s30, v36
	v_add_nc_u32_e32 v36, 6, v10
	v_cndmask_b32_e32 v35, 0, v35, vcc_lo
	v_cmp_gt_i32_e32 vcc_lo, s30, v37
	v_add_nc_u32_e32 v37, 5, v10
	;; [unrolled: 3-line block ×4, first 2 shown]
	v_cndmask_b32_sdwa v4, v17, v4, vcc_lo dst_sel:DWORD dst_unused:UNUSED_PAD src0_sel:DWORD src1_sel:WORD_0
	v_cmp_gt_i32_e32 vcc_lo, s30, v38
	v_cndmask_b32_e32 v38, 0, v39, vcc_lo
	v_cmp_gt_i32_e32 vcc_lo, s30, v36
	v_or_b32_e32 v4, v4, v38
	v_cndmask_b32_e32 v3, 0, v3, vcc_lo
	v_cmp_gt_i32_e32 vcc_lo, s30, v37
	v_cndmask_b32_e32 v33, 0, v33, vcc_lo
.LBB56_43:                              ;   in Loop: Header=BB56_40 Depth=1
	s_or_b32 exec_lo, exec_lo, s22
	v_and_b32_e32 v28, 0xffff, v28
	v_and_b32_e32 v31, 0xffff, v31
	v_lshlrev_b32_e32 v35, 16, v35
	v_and_b32_e32 v32, 0xffff, v32
	v_and_b32_e32 v30, 0xffff, v30
	v_lshl_or_b32 v28, v25, 16, v28
	v_lshl_or_b32 v27, v27, 16, v31
	v_lshlrev_b32_e32 v25, 16, v34
	v_lshlrev_b32_e32 v31, 16, v33
	v_and_or_b32 v1, 0xffff, v1, v35
	;;#ASMSTART
	v_pk_mul_f16 v1, v28, v1;

	;;#ASMEND
	v_lshl_or_b32 v29, v29, 16, v32
	v_and_or_b32 v2, 0xffff, v2, v25
	v_and_or_b32 v3, 0xffff, v3, v31
	v_lshl_or_b32 v30, v26, 16, v30
	;;#ASMSTART
	v_pk_mul_f16 v2, v27, v2;

	;;#ASMEND
	;;#ASMSTART
	v_pk_mul_f16 v3, v29, v3;

	;;#ASMEND
	;; [unrolled: 4-line block ×3, first 2 shown]
	;;#ASMSTART
	v_pk_add_f16 v1, v1, v2;

	;;#ASMEND
	;;#ASMSTART
	v_pk_add_f16 v1, v1, v3;

	;;#ASMEND
	;; [unrolled: 4-line block ×3, first 2 shown]
	v_and_b32_e32 v2, 0xffff, v1
	v_lshrrev_b32_e32 v1, 16, v1
	;;#ASMSTART
	v_cvt_f32_f16 v25, v2;
	;;#ASMEND
	;;#ASMSTART
	v_cvt_f32_f16 v26, v1;
	;;#ASMEND
	global_load_dwordx4 v[1:4], v[7:8], off offset:512
	s_waitcnt vmcnt(0)
	v_lshrrev_b32_e32 v31, 16, v1
	v_lshrrev_b32_e32 v8, 16, v2
	;; [unrolled: 1-line block ×3, first 2 shown]
	s_and_saveexec_b32 s22, s1
	s_cbranch_execz .LBB56_45
; %bb.44:                               ;   in Loop: Header=BB56_40 Depth=1
	v_add_nc_u32_e32 v32, 1, v10
	v_cmp_gt_i32_e32 vcc_lo, s30, v10
	v_add_nc_u32_e32 v33, 2, v10
	v_add_nc_u32_e32 v34, 3, v10
	v_and_b32_e32 v35, 0xffff0000, v4
	v_cndmask_b32_e32 v1, 0, v1, vcc_lo
	v_cmp_gt_i32_e32 vcc_lo, s30, v32
	v_add_nc_u32_e32 v32, 6, v10
	v_cndmask_b32_e32 v31, 0, v31, vcc_lo
	v_cmp_gt_i32_e32 vcc_lo, s30, v33
	v_add_nc_u32_e32 v33, 5, v10
	;; [unrolled: 3-line block ×4, first 2 shown]
	v_cndmask_b32_sdwa v4, v17, v4, vcc_lo dst_sel:DWORD dst_unused:UNUSED_PAD src0_sel:DWORD src1_sel:WORD_0
	v_cmp_gt_i32_e32 vcc_lo, s30, v34
	v_cndmask_b32_e32 v34, 0, v35, vcc_lo
	v_cmp_gt_i32_e32 vcc_lo, s30, v32
	v_or_b32_e32 v4, v4, v34
	v_cndmask_b32_e32 v3, 0, v3, vcc_lo
	v_cmp_gt_i32_e32 vcc_lo, s30, v33
	v_cndmask_b32_e32 v7, 0, v7, vcc_lo
.LBB56_45:                              ;   in Loop: Header=BB56_40 Depth=1
	s_or_b32 exec_lo, exec_lo, s22
	v_lshlrev_b32_e32 v31, 16, v31
	v_lshlrev_b32_e32 v8, 16, v8
	;; [unrolled: 1-line block ×3, first 2 shown]
	v_and_or_b32 v1, 0xffff, v1, v31
	v_and_or_b32 v2, 0xffff, v2, v8
	;; [unrolled: 1-line block ×3, first 2 shown]
	;;#ASMSTART
	v_pk_mul_f16 v1, v28, v1;

	;;#ASMEND
	;;#ASMSTART
	v_pk_mul_f16 v2, v27, v2;

	;;#ASMEND
	;; [unrolled: 4-line block ×4, first 2 shown]
	;;#ASMSTART
	v_pk_add_f16 v1, v1, v2;

	;;#ASMEND
	;;#ASMSTART
	v_pk_add_f16 v1, v1, v3;

	;;#ASMEND
	;; [unrolled: 4-line block ×3, first 2 shown]
	v_and_b32_e32 v2, 0xffff, v1
	v_lshrrev_b32_e32 v1, 16, v1
	;;#ASMSTART
	v_cvt_f32_f16 v7, v2;
	;;#ASMEND
	;;#ASMSTART
	v_cvt_f32_f16 v8, v1;
	;;#ASMEND
	s_and_saveexec_b32 s22, s0
	s_cbranch_execz .LBB56_38
; %bb.46:                               ;   in Loop: Header=BB56_40 Depth=1
	v_add_co_u32 v1, vcc_lo, v23, v20
	v_add_co_ci_u32_e64 v2, null, 0, v24, vcc_lo
	global_load_dwordx4 v[1:4], v[1:2], off
	s_waitcnt vmcnt(0)
	v_lshrrev_b32_e32 v31, 16, v1
	v_lshrrev_b32_e32 v24, 16, v2
	;; [unrolled: 1-line block ×3, first 2 shown]
	s_and_saveexec_b32 s23, s1
	s_cbranch_execz .LBB56_37
; %bb.47:                               ;   in Loop: Header=BB56_40 Depth=1
	v_add_nc_u32_e32 v32, 1, v10
	v_cmp_gt_i32_e32 vcc_lo, s30, v10
	v_add_nc_u32_e32 v33, 2, v10
	v_add_nc_u32_e32 v34, 3, v10
	v_and_b32_e32 v35, 0xffff0000, v4
	v_cndmask_b32_e32 v1, 0, v1, vcc_lo
	v_cmp_gt_i32_e32 vcc_lo, s30, v32
	v_add_nc_u32_e32 v32, 6, v10
	v_cndmask_b32_e32 v31, 0, v31, vcc_lo
	v_cmp_gt_i32_e32 vcc_lo, s30, v33
	v_add_nc_u32_e32 v33, 5, v10
	;; [unrolled: 3-line block ×4, first 2 shown]
	v_cndmask_b32_sdwa v4, v17, v4, vcc_lo dst_sel:DWORD dst_unused:UNUSED_PAD src0_sel:DWORD src1_sel:WORD_0
	v_cmp_gt_i32_e32 vcc_lo, s30, v34
	v_cndmask_b32_e32 v34, 0, v35, vcc_lo
	v_cmp_gt_i32_e32 vcc_lo, s30, v32
	v_or_b32_e32 v4, v4, v34
	v_cndmask_b32_e32 v3, 0, v3, vcc_lo
	v_cmp_gt_i32_e32 vcc_lo, s30, v33
	v_cndmask_b32_e32 v23, 0, v23, vcc_lo
	s_branch .LBB56_37
.LBB56_48:
	s_or_b32 exec_lo, exec_lo, s13
.LBB56_49:
	s_or_b32 exec_lo, exec_lo, s2
	s_movk_i32 s0, 0x140
	v_and_b32_e32 v2, 0x3c0, v0
	v_mad_u32_u24 v1, v9, s0, 0xc0
	s_mov_b32 s0, exec_lo
	s_barrier
	buffer_gl0_inv
	v_cmpx_eq_u32_e32 64, v2
	s_cbranch_execz .LBB56_52
; %bb.50:
	v_add_nc_u32_e32 v2, 0xfffffd80, v1
	v_cmp_gt_u32_e32 vcc_lo, 0x50, v16
	v_lshl_add_u32 v3, v11, 2, v2
	ds_write2_b32 v3, v15, v14 offset1:32
	s_and_b32 exec_lo, exec_lo, vcc_lo
; %bb.51:
	v_lshl_add_u32 v2, v16, 2, v2
	ds_write_b32 v2, v13
.LBB56_52:
	s_or_b32 exec_lo, exec_lo, s0
	v_lshl_add_u32 v2, v11, 2, v1
	s_mov_b32 s0, exec_lo
	s_waitcnt lgkmcnt(0)
	s_barrier
	buffer_gl0_inv
	v_cmpx_gt_u32_e32 64, v0
	s_cbranch_execz .LBB56_56
; %bb.53:
	v_lshl_or_b32 v3, v0, 2, 0x80
	s_mov_b32 s1, exec_lo
	v_add_nc_u32_e32 v4, v1, v3
	ds_read_b32 v3, v2
	ds_read_b32 v4, v4
	v_cmpx_gt_u32_e32 0x50, v16
	s_cbranch_execz .LBB56_55
; %bb.54:
	ds_read_b32 v5, v2 offset:256
	s_waitcnt lgkmcnt(0)
	v_add_f32_e32 v13, v13, v5
.LBB56_55:
	s_or_b32 exec_lo, exec_lo, s1
	s_waitcnt lgkmcnt(1)
	v_add_f32_e32 v15, v15, v3
	s_waitcnt lgkmcnt(0)
	v_add_f32_e32 v14, v14, v4
.LBB56_56:
	s_or_b32 exec_lo, exec_lo, s0
	v_and_b32_e32 v3, 0x3e0, v0
	s_mov_b32 s0, exec_lo
	s_barrier
	buffer_gl0_inv
	v_cmpx_eq_u32_e32 32, v3
	s_cbranch_execz .LBB56_59
; %bb.57:
	v_lshl_add_u32 v3, v11, 2, 0xc0
	v_cmp_gt_u32_e32 vcc_lo, 0x50, v16
	ds_write_b32 v3, v15
	ds_write_b32 v12, v14
	s_and_b32 exec_lo, exec_lo, vcc_lo
; %bb.58:
	ds_write_b32 v3, v13 offset:256
.LBB56_59:
	s_or_b32 exec_lo, exec_lo, s0
	v_cmp_gt_u32_e32 vcc_lo, 32, v0
	v_or_b32_e32 v3, 64, v0
	s_waitcnt lgkmcnt(0)
	s_barrier
	buffer_gl0_inv
	s_and_saveexec_b32 s1, vcc_lo
	s_cbranch_execz .LBB56_63
; %bb.60:
	v_lshl_add_u32 v4, v0, 2, v1
	s_mov_b32 s2, exec_lo
	ds_read_b32 v1, v2
	ds_read_b32 v2, v4 offset:128
	v_cmpx_gt_u32_e32 0x50, v3
	s_cbranch_execz .LBB56_62
; %bb.61:
	ds_read_b32 v4, v4 offset:256
	s_waitcnt lgkmcnt(0)
	v_add_f32_e32 v13, v13, v4
.LBB56_62:
	s_or_b32 exec_lo, exec_lo, s2
	s_waitcnt lgkmcnt(1)
	v_add_f32_e32 v15, v15, v1
	s_waitcnt lgkmcnt(0)
	v_add_f32_e32 v14, v14, v2
.LBB56_63:
	s_or_b32 exec_lo, exec_lo, s1
	s_barrier
	buffer_gl0_inv
	s_and_saveexec_b32 s0, vcc_lo
	s_cbranch_execz .LBB56_66
; %bb.64:
	s_mul_i32 s0, s10, s11
	s_mul_i32 s2, s11, s20
	;; [unrolled: 1-line block ×3, first 2 shown]
	v_lshlrev_b32_e32 v0, 1, v0
	s_mulk_i32 s0, 0x50
	v_cmp_gt_u32_e32 vcc_lo, 0x50, v3
	s_ashr_i32 s1, s0, 31
	;;#ASMSTART
	v_cvt_f16_f32 v1, v15;

	;;#ASMEND
	s_lshl_b64 s[0:1], s[0:1], 1
	s_add_u32 s4, s6, s0
	s_addc_u32 s5, s7, s1
	s_ashr_i32 s3, s2, 31
	s_lshl_b64 s[0:1], s[2:3], 1
	s_mul_i32 s2, s8, 0x50
	s_add_u32 s4, s4, s0
	s_addc_u32 s5, s5, s1
	s_ashr_i32 s3, s2, 31
	s_lshl_b64 s[0:1], s[2:3], 1
	s_add_u32 s0, s4, s0
	s_addc_u32 s1, s5, s1
	global_store_short v0, v1, s[0:1]
	;;#ASMSTART
	v_cvt_f16_f32 v1, v14;

	;;#ASMEND
	global_store_short v0, v1, s[0:1] offset:64
	s_and_b32 exec_lo, exec_lo, vcc_lo
	s_cbranch_execz .LBB56_66
; %bb.65:
	v_add_co_u32 v0, s0, s0, v0
	v_add_co_ci_u32_e64 v1, null, s1, 0, s0
	;;#ASMSTART
	v_cvt_f16_f32 v2, v13;

	;;#ASMEND
	global_store_short v[0:1], v2, off offset:128
.LBB56_66:
	s_endpgm
	.section	.rodata,"a",@progbits
	.p2align	6, 0x0
	.amdhsa_kernel _ZN4vllm25paged_attention_v1_kernelIttLi80ELi8ELi128ELNS_18Fp8KVCacheDataTypeE0ELb1EEEvPT_PKS2_PKT0_S8_ifPKiSA_iPKfiiiSC_SC_iiiii
		.amdhsa_group_segment_fixed_size 192
		.amdhsa_private_segment_fixed_size 0
		.amdhsa_kernarg_size 384
		.amdhsa_user_sgpr_count 6
		.amdhsa_user_sgpr_private_segment_buffer 1
		.amdhsa_user_sgpr_dispatch_ptr 0
		.amdhsa_user_sgpr_queue_ptr 0
		.amdhsa_user_sgpr_kernarg_segment_ptr 1
		.amdhsa_user_sgpr_dispatch_id 0
		.amdhsa_user_sgpr_flat_scratch_init 0
		.amdhsa_user_sgpr_private_segment_size 0
		.amdhsa_wavefront_size32 1
		.amdhsa_uses_dynamic_stack 0
		.amdhsa_system_sgpr_private_segment_wavefront_offset 0
		.amdhsa_system_sgpr_workgroup_id_x 1
		.amdhsa_system_sgpr_workgroup_id_y 1
		.amdhsa_system_sgpr_workgroup_id_z 1
		.amdhsa_system_sgpr_workgroup_info 0
		.amdhsa_system_vgpr_workitem_id 0
		.amdhsa_next_free_vgpr 55
		.amdhsa_next_free_sgpr 38
		.amdhsa_reserve_vcc 1
		.amdhsa_reserve_flat_scratch 0
		.amdhsa_float_round_mode_32 0
		.amdhsa_float_round_mode_16_64 0
		.amdhsa_float_denorm_mode_32 3
		.amdhsa_float_denorm_mode_16_64 3
		.amdhsa_dx10_clamp 1
		.amdhsa_ieee_mode 1
		.amdhsa_fp16_overflow 0
		.amdhsa_workgroup_processor_mode 1
		.amdhsa_memory_ordered 1
		.amdhsa_forward_progress 1
		.amdhsa_shared_vgpr_count 0
		.amdhsa_exception_fp_ieee_invalid_op 0
		.amdhsa_exception_fp_denorm_src 0
		.amdhsa_exception_fp_ieee_div_zero 0
		.amdhsa_exception_fp_ieee_overflow 0
		.amdhsa_exception_fp_ieee_underflow 0
		.amdhsa_exception_fp_ieee_inexact 0
		.amdhsa_exception_int_div_zero 0
	.end_amdhsa_kernel
	.section	.text._ZN4vllm25paged_attention_v1_kernelIttLi80ELi8ELi128ELNS_18Fp8KVCacheDataTypeE0ELb1EEEvPT_PKS2_PKT0_S8_ifPKiSA_iPKfiiiSC_SC_iiiii,"axG",@progbits,_ZN4vllm25paged_attention_v1_kernelIttLi80ELi8ELi128ELNS_18Fp8KVCacheDataTypeE0ELb1EEEvPT_PKS2_PKT0_S8_ifPKiSA_iPKfiiiSC_SC_iiiii,comdat
.Lfunc_end56:
	.size	_ZN4vllm25paged_attention_v1_kernelIttLi80ELi8ELi128ELNS_18Fp8KVCacheDataTypeE0ELb1EEEvPT_PKS2_PKT0_S8_ifPKiSA_iPKfiiiSC_SC_iiiii, .Lfunc_end56-_ZN4vllm25paged_attention_v1_kernelIttLi80ELi8ELi128ELNS_18Fp8KVCacheDataTypeE0ELb1EEEvPT_PKS2_PKT0_S8_ifPKiSA_iPKfiiiSC_SC_iiiii
                                        ; -- End function
	.set _ZN4vllm25paged_attention_v1_kernelIttLi80ELi8ELi128ELNS_18Fp8KVCacheDataTypeE0ELb1EEEvPT_PKS2_PKT0_S8_ifPKiSA_iPKfiiiSC_SC_iiiii.num_vgpr, 55
	.set _ZN4vllm25paged_attention_v1_kernelIttLi80ELi8ELi128ELNS_18Fp8KVCacheDataTypeE0ELb1EEEvPT_PKS2_PKT0_S8_ifPKiSA_iPKfiiiSC_SC_iiiii.num_agpr, 0
	.set _ZN4vllm25paged_attention_v1_kernelIttLi80ELi8ELi128ELNS_18Fp8KVCacheDataTypeE0ELb1EEEvPT_PKS2_PKT0_S8_ifPKiSA_iPKfiiiSC_SC_iiiii.numbered_sgpr, 38
	.set _ZN4vllm25paged_attention_v1_kernelIttLi80ELi8ELi128ELNS_18Fp8KVCacheDataTypeE0ELb1EEEvPT_PKS2_PKT0_S8_ifPKiSA_iPKfiiiSC_SC_iiiii.num_named_barrier, 0
	.set _ZN4vllm25paged_attention_v1_kernelIttLi80ELi8ELi128ELNS_18Fp8KVCacheDataTypeE0ELb1EEEvPT_PKS2_PKT0_S8_ifPKiSA_iPKfiiiSC_SC_iiiii.private_seg_size, 0
	.set _ZN4vllm25paged_attention_v1_kernelIttLi80ELi8ELi128ELNS_18Fp8KVCacheDataTypeE0ELb1EEEvPT_PKS2_PKT0_S8_ifPKiSA_iPKfiiiSC_SC_iiiii.uses_vcc, 1
	.set _ZN4vllm25paged_attention_v1_kernelIttLi80ELi8ELi128ELNS_18Fp8KVCacheDataTypeE0ELb1EEEvPT_PKS2_PKT0_S8_ifPKiSA_iPKfiiiSC_SC_iiiii.uses_flat_scratch, 0
	.set _ZN4vllm25paged_attention_v1_kernelIttLi80ELi8ELi128ELNS_18Fp8KVCacheDataTypeE0ELb1EEEvPT_PKS2_PKT0_S8_ifPKiSA_iPKfiiiSC_SC_iiiii.has_dyn_sized_stack, 0
	.set _ZN4vllm25paged_attention_v1_kernelIttLi80ELi8ELi128ELNS_18Fp8KVCacheDataTypeE0ELb1EEEvPT_PKS2_PKT0_S8_ifPKiSA_iPKfiiiSC_SC_iiiii.has_recursion, 0
	.set _ZN4vllm25paged_attention_v1_kernelIttLi80ELi8ELi128ELNS_18Fp8KVCacheDataTypeE0ELb1EEEvPT_PKS2_PKT0_S8_ifPKiSA_iPKfiiiSC_SC_iiiii.has_indirect_call, 0
	.section	.AMDGPU.csdata,"",@progbits
; Kernel info:
; codeLenInByte = 6284
; TotalNumSgprs: 40
; NumVgprs: 55
; ScratchSize: 0
; MemoryBound: 0
; FloatMode: 240
; IeeeMode: 1
; LDSByteSize: 192 bytes/workgroup (compile time only)
; SGPRBlocks: 0
; VGPRBlocks: 6
; NumSGPRsForWavesPerEU: 40
; NumVGPRsForWavesPerEU: 55
; Occupancy: 16
; WaveLimiterHint : 1
; COMPUTE_PGM_RSRC2:SCRATCH_EN: 0
; COMPUTE_PGM_RSRC2:USER_SGPR: 6
; COMPUTE_PGM_RSRC2:TRAP_HANDLER: 0
; COMPUTE_PGM_RSRC2:TGID_X_EN: 1
; COMPUTE_PGM_RSRC2:TGID_Y_EN: 1
; COMPUTE_PGM_RSRC2:TGID_Z_EN: 1
; COMPUTE_PGM_RSRC2:TIDIG_COMP_CNT: 0
	.section	.text._ZN4vllm25paged_attention_v1_kernelIttLi96ELi8ELi128ELNS_18Fp8KVCacheDataTypeE0ELb1EEEvPT_PKS2_PKT0_S8_ifPKiSA_iPKfiiiSC_SC_iiiii,"axG",@progbits,_ZN4vllm25paged_attention_v1_kernelIttLi96ELi8ELi128ELNS_18Fp8KVCacheDataTypeE0ELb1EEEvPT_PKS2_PKT0_S8_ifPKiSA_iPKfiiiSC_SC_iiiii,comdat
	.protected	_ZN4vllm25paged_attention_v1_kernelIttLi96ELi8ELi128ELNS_18Fp8KVCacheDataTypeE0ELb1EEEvPT_PKS2_PKT0_S8_ifPKiSA_iPKfiiiSC_SC_iiiii ; -- Begin function _ZN4vllm25paged_attention_v1_kernelIttLi96ELi8ELi128ELNS_18Fp8KVCacheDataTypeE0ELb1EEEvPT_PKS2_PKT0_S8_ifPKiSA_iPKfiiiSC_SC_iiiii
	.globl	_ZN4vllm25paged_attention_v1_kernelIttLi96ELi8ELi128ELNS_18Fp8KVCacheDataTypeE0ELb1EEEvPT_PKS2_PKT0_S8_ifPKiSA_iPKfiiiSC_SC_iiiii
	.p2align	8
	.type	_ZN4vllm25paged_attention_v1_kernelIttLi96ELi8ELi128ELNS_18Fp8KVCacheDataTypeE0ELb1EEEvPT_PKS2_PKT0_S8_ifPKiSA_iPKfiiiSC_SC_iiiii,@function
_ZN4vllm25paged_attention_v1_kernelIttLi96ELi8ELi128ELNS_18Fp8KVCacheDataTypeE0ELb1EEEvPT_PKS2_PKT0_S8_ifPKiSA_iPKfiiiSC_SC_iiiii: ; @_ZN4vllm25paged_attention_v1_kernelIttLi96ELi8ELi128ELNS_18Fp8KVCacheDataTypeE0ELb1EEEvPT_PKS2_PKT0_S8_ifPKiSA_iPKfiiiSC_SC_iiiii
; %bb.0:
	s_clause 0x2
	s_load_dword s9, s[4:5], 0x80
	s_load_dwordx2 s[0:1], s[4:5], 0x30
	s_load_dwordx2 s[28:29], s[4:5], 0x20
	s_mov_b32 s10, s7
	s_ashr_i32 s11, s7, 31
	s_mov_b32 s33, 0
	s_lshl_b64 s[2:3], s[10:11], 2
	s_waitcnt lgkmcnt(0)
	s_add_u32 s0, s0, s2
	s_addc_u32 s1, s1, s3
	s_abs_i32 s2, s28
	s_abs_i32 s11, s9
	v_cvt_f32_u32_e32 v1, s2
	s_sub_i32 s7, 0, s2
	v_rcp_iflag_f32_e32 v1, v1
	v_mul_f32_e32 v1, 0x4f7ffffe, v1
	v_cvt_u32_f32_e32 v1, v1
	v_readfirstlane_b32 s3, v1
	s_mul_i32 s7, s7, s3
	s_mul_hi_u32 s7, s3, s7
	s_add_i32 s3, s3, s7
	s_xor_b32 s7, s9, s28
	s_mul_hi_u32 s3, s11, s3
	s_ashr_i32 s7, s7, 31
	s_mul_i32 s12, s3, s2
	s_sub_i32 s11, s11, s12
	s_add_i32 s12, s3, 1
	s_sub_i32 s13, s11, s2
	s_cmp_ge_u32 s11, s2
	s_cselect_b32 s3, s12, s3
	s_cselect_b32 s11, s13, s11
	s_add_i32 s12, s3, 1
	s_cmp_ge_u32 s11, s2
	s_cselect_b32 s2, s12, s3
	s_abs_i32 s23, s6
	s_xor_b32 s2, s2, s7
	s_sub_i32 s16, s2, s7
	s_load_dwordx2 s[2:3], s[4:5], 0x40
	s_abs_i32 s22, s16
	v_cvt_f32_u32_e32 v1, s22
	s_sub_i32 s11, 0, s22
	v_rcp_iflag_f32_e32 v1, v1
	v_mul_f32_e32 v1, 0x4f7ffffe, v1
	v_cvt_u32_f32_e32 v1, v1
	v_readfirstlane_b32 s7, v1
	s_mul_i32 s11, s11, s7
	s_mul_hi_u32 s11, s7, s11
	s_add_i32 s7, s7, s11
	s_waitcnt lgkmcnt(0)
	s_cmp_eq_u64 s[2:3], 0
	s_mul_hi_u32 s24, s23, s7
	s_cbranch_scc1 .LBB57_2
; %bb.1:
	s_ashr_i32 s7, s6, 31
	s_lshl_b64 s[12:13], s[6:7], 2
	s_add_u32 s2, s2, s12
	s_addc_u32 s3, s3, s13
	s_load_dword s33, s[2:3], 0x0
.LBB57_2:
	s_load_dword s11, s[0:1], 0x0
	s_load_dwordx4 s[12:15], s[4:5], 0x48
	v_and_b32_e32 v1, 3, v0
	v_lshlrev_b32_e32 v2, 2, v0
	s_ashr_i32 s0, s6, 31
	s_ashr_i32 s1, s16, 31
	s_mul_i32 s20, s6, 0x60
	s_mov_b32 s2, exec_lo
	v_cmpx_gt_u32_e32 48, v0
	s_cbranch_execz .LBB57_4
; %bb.3:
	s_load_dwordx2 s[16:17], s[4:5], 0x8
	s_waitcnt lgkmcnt(0)
	s_mul_i32 s18, s12, s10
	v_and_b32_e32 v4, 0x3fc, v0
	s_ashr_i32 s19, s18, 31
	s_lshl_b64 s[18:19], s[18:19], 1
	v_mad_u32_u24 v4, v1, 48, v4
	s_add_u32 s3, s16, s18
	s_addc_u32 s7, s17, s19
	s_ashr_i32 s21, s20, 31
	s_lshl_b64 s[16:17], s[20:21], 1
	s_add_u32 s16, s3, s16
	s_addc_u32 s17, s7, s17
	global_load_dword v3, v2, s[16:17]
	s_waitcnt vmcnt(0)
	ds_write_b32 v4, v3
.LBB57_4:
	s_or_b32 exec_lo, exec_lo, s2
	s_load_dwordx4 s[16:19], s[4:5], 0x68
	s_mul_i32 s2, s24, s22
	s_xor_b32 s1, s0, s1
	s_sub_i32 s0, s23, s2
	s_add_i32 s2, s24, 1
	s_sub_i32 s3, s0, s22
	s_cmp_ge_u32 s0, s22
	s_waitcnt lgkmcnt(0)
	s_mov_b32 s12, -1
	s_cselect_b32 s2, s2, s24
	s_cselect_b32 s0, s3, s0
	s_add_i32 s3, s2, 1
	s_cmp_ge_u32 s0, s22
	s_load_dword s0, s[4:5], 0x78
	s_cselect_b32 s2, s3, s2
	s_add_i32 s7, s11, -1
	s_xor_b32 s2, s2, s1
	s_abs_i32 s3, s7
	s_sub_i32 s1, s2, s1
	s_waitcnt lgkmcnt(0)
	s_barrier
	s_abs_i32 s21, s19
	buffer_gl0_inv
	v_cvt_f32_u32_e32 v3, s21
	s_sub_i32 s2, 0, s21
                                        ; implicit-def: $sgpr31
	v_rcp_iflag_f32_e32 v3, v3
	v_mul_f32_e32 v3, 0x4f7ffffe, v3
	v_cvt_u32_f32_e32 v3, v3
	v_readfirstlane_b32 s30, v3
	s_mul_i32 s2, s2, s30
	s_mul_hi_u32 s2, s30, s2
	s_add_i32 s30, s30, s2
	s_cmp_lt_i32 s0, 0
	s_mul_hi_u32 s2, s3, s30
	s_cbranch_scc0 .LBB57_6
; %bb.5:
	s_mul_i32 s12, s16, s28
	s_add_i32 s12, s1, s12
	s_mul_i32 s12, s12, s0
	s_sub_i32 s31, 1, s12
	s_mov_b32 s12, 0
.LBB57_6:
	s_load_dwordx2 s[22:23], s[4:5], 0x28
	s_ashr_i32 s7, s7, 31
	s_andn2_b32 vcc_lo, exec_lo, s12
	s_ashr_i32 s19, s19, 31
	s_cbranch_vccnz .LBB57_8
; %bb.7:
	s_mul_i32 s12, s9, s16
	s_add_i32 s6, s12, s6
	s_mul_i32 s0, s6, s0
	s_add_i32 s31, s0, 1
.LBB57_8:
	s_load_dword s0, s[4:5], 0x38
	s_mul_i32 s6, s2, s21
	s_xor_b32 s15, s7, s19
	s_sub_i32 s3, s3, s6
	s_add_i32 s16, s2, 1
	s_clause 0x2
	s_load_dwordx2 s[6:7], s[4:5], 0x0
	s_load_dwordx2 s[26:27], s[4:5], 0x18
	s_load_dword s12, s[4:5], 0x88
	v_lshrrev_b32_e32 v9, 5, v0
	v_mov_b32_e32 v5, 0xff7fffff
	v_lshrrev_b32_e32 v3, 3, v0
	v_mbcnt_lo_u32_b32 v4, -1, 0
	s_mul_i32 s14, s1, s14
	v_lshlrev_b32_e32 v10, 3, v9
	s_waitcnt lgkmcnt(0)
	s_mul_i32 s24, s0, s10
	s_sub_i32 s0, s3, s21
	s_ashr_i32 s25, s24, 31
	s_cmp_ge_u32 s3, s21
	s_cselect_b32 s2, s16, s2
	s_cselect_b32 s0, s0, s3
	s_add_i32 s3, s2, 1
	s_cmp_ge_u32 s0, s21
	s_cselect_b32 s0, s3, s2
	s_add_i32 s2, s11, 7
	s_ashr_i32 s3, s2, 31
	s_lshr_b32 s3, s3, 29
	s_add_i32 s2, s2, s3
	s_ashr_i32 s16, s2, 3
	s_xor_b32 s2, s0, s15
	v_cmp_gt_i32_e64 s0, s16, v9
	s_sub_i32 s28, s2, s15
	s_and_saveexec_b32 s34, s0
	s_cbranch_execz .LBB57_20
; %bb.9:
	s_load_dwordx2 s[2:3], s[4:5], 0x10
	s_ashr_i32 s15, s14, 31
	s_sub_i32 s4, s28, s17
	s_lshl_b64 s[36:37], s[14:15], 1
	v_bfe_u32 v6, v0, 2, 3
	v_and_b32_e32 v16, 12, v2
	v_cmp_eq_u32_e32 vcc_lo, 0, v1
	v_mul_u32_u24_e32 v7, 48, v1
	v_and_b32_e32 v1, 0x7c, v3
	v_lshlrev_b32_e32 v2, 2, v6
	v_subrev_nc_u32_e32 v15, s11, v6
	v_lshlrev_b32_e32 v17, 4, v6
	v_cmp_neq_f32_e64 s1, s33, 0
	v_lshlrev_b32_e32 v8, 3, v9
	v_lshl_or_b32 v2, v9, 5, v2
	v_mov_b32_e32 v11, 0xff7fffff
	v_xor_b32_e32 v12, 2, v4
	v_xor_b32_e32 v13, 1, v4
	s_waitcnt lgkmcnt(0)
	s_add_u32 s15, s2, s36
	s_addc_u32 s35, s3, s37
	s_abs_i32 s5, s18
	v_add_co_u32 v17, s15, s15, v17
	v_cvt_f32_u32_e32 v5, s5
	s_sub_i32 s2, 0, s5
	v_add_co_ci_u32_e64 v19, null, s35, 0, s15
	s_mov_b32 s15, 0
	v_rcp_iflag_f32_e32 v5, v5
	s_mov_b32 s35, s13
	v_mul_f32_e32 v14, 0x4f7ffffe, v5
	v_mov_b32_e32 v5, 0xff7fffff
	v_cvt_u32_f32_e32 v18, v14
	v_add_nc_u32_e32 v14, 1, v15
	v_add_nc_u32_e32 v15, 0xe0, v2
	v_mul_lo_u32 v2, s2, v18
	s_lshl_b64 s[2:3], s[24:25], 2
	s_add_u32 s2, s22, s2
	s_addc_u32 s3, s23, s3
	v_add_co_u32 v1, s2, s2, v1
	v_mul_hi_u32 v20, v18, v2
	v_add_co_ci_u32_e64 v2, null, s3, 0, s2
	v_add_co_u32 v16, s2, v17, v16
	v_add_co_ci_u32_e64 v17, null, 0, v19, s2
	v_mov_b32_e32 v19, v9
	v_add_nc_u32_e32 v18, v18, v20
	s_branch .LBB57_12
.LBB57_10:                              ;   in Loop: Header=BB57_12 Depth=1
	s_or_b32 exec_lo, exec_lo, s36
.LBB57_11:                              ;   in Loop: Header=BB57_12 Depth=1
	s_or_b32 exec_lo, exec_lo, s3
	v_add_nc_u32_e32 v19, 4, v19
	v_add_co_u32 v1, s3, v1, 16
	v_add_co_ci_u32_e64 v2, null, 0, v2, s3
	v_cmp_le_i32_e64 s2, s16, v19
	v_add_nc_u32_e32 v8, 32, v8
	v_add_nc_u32_e32 v15, 0x80, v15
	s_or_b32 s15, s2, s15
	s_andn2_b32 exec_lo, exec_lo, s15
	s_cbranch_execz .LBB57_19
.LBB57_12:                              ; =>This Inner Loop Header: Depth=1
	v_mul_hi_u32 v20, v8, s30
	s_waitcnt lgkmcnt(0)
	v_mul_lo_u32 v21, v20, s21
	v_add_nc_u32_e32 v22, 1, v20
	v_sub_nc_u32_e32 v21, v8, v21
	v_subrev_nc_u32_e32 v23, s21, v21
	v_cmp_le_u32_e64 s2, s21, v21
	v_cndmask_b32_e64 v20, v20, v22, s2
	v_cndmask_b32_e64 v21, v21, v23, s2
	v_add_nc_u32_e32 v22, 1, v20
	v_cmp_le_u32_e64 s2, s21, v21
	v_cndmask_b32_e64 v20, v20, v22, s2
	v_xor_b32_e32 v20, s19, v20
	v_subrev_nc_u32_e32 v20, s19, v20
	v_add_nc_u32_e32 v21, s31, v20
	v_cmp_ge_i32_e64 s3, s4, v20
	v_sub_nc_u32_e32 v22, 0, v21
	v_max_i32_e32 v22, v21, v22
	v_ashrrev_i32_e32 v21, 31, v21
	v_mul_hi_u32 v23, v22, v18
	v_mul_lo_u32 v23, v23, s5
	v_sub_nc_u32_e32 v22, v22, v23
	v_subrev_nc_u32_e32 v23, s5, v22
	v_cmp_le_u32_e64 s2, s5, v22
	v_cndmask_b32_e64 v22, v22, v23, s2
	v_subrev_nc_u32_e32 v23, s5, v22
	v_cmp_le_u32_e64 s2, s5, v22
	v_cndmask_b32_e64 v22, v22, v23, s2
	v_xor_b32_e32 v22, v22, v21
	v_sub_nc_u32_e32 v21, v22, v21
	v_cmp_ne_u32_e64 s2, 0, v21
	s_and_b32 s2, s2, s3
	s_and_saveexec_b32 s3, s2
	s_xor_b32 s2, exec_lo, s3
	s_cbranch_execz .LBB57_16
; %bb.13:                               ;   in Loop: Header=BB57_12 Depth=1
	s_and_saveexec_b32 s3, vcc_lo
; %bb.14:                               ;   in Loop: Header=BB57_12 Depth=1
	ds_write_b32 v15, v11
; %bb.15:                               ;   in Loop: Header=BB57_12 Depth=1
	s_or_b32 exec_lo, exec_lo, s3
.LBB57_16:                              ;   in Loop: Header=BB57_12 Depth=1
	s_andn2_saveexec_b32 s3, s2
	s_cbranch_execz .LBB57_11
; %bb.17:                               ;   in Loop: Header=BB57_12 Depth=1
	global_load_dword v20, v[1:2], off
	s_waitcnt vmcnt(0)
	v_mad_i64_i32 v[20:21], null, v20, s35, 0
	v_lshlrev_b64 v[20:21], 1, v[20:21]
	v_add_co_u32 v20, s2, v16, v20
	v_add_co_ci_u32_e64 v21, null, v17, v21, s2
	v_cmp_gt_i32_e64 s2, 32, v12
	s_clause 0xb
	global_load_dword v22, v[20:21], off
	global_load_dword v23, v[20:21], off offset:128
	global_load_dword v24, v[20:21], off offset:256
	;; [unrolled: 1-line block ×11, first 2 shown]
	ds_read_b32 v33, v7
	s_waitcnt lgkmcnt(0)
	v_and_b32_e32 v21, 0xffff, v33
	v_lshrrev_b32_e32 v33, 16, v33
	;;#ASMSTART
	v_cvt_f32_f16 v21, v21;
	;;#ASMEND
	s_waitcnt vmcnt(11)
	v_and_b32_e32 v34, 0xffff, v22
	v_lshrrev_b32_e32 v35, 16, v22
	;;#ASMSTART
	v_cvt_f32_f16 v22, v33;
	;;#ASMEND
	;;#ASMSTART
	v_cvt_f32_f16 v33, v34;
	;;#ASMEND
	;; [unrolled: 3-line block ×3, first 2 shown]
	ds_read_b32 v35, v7 offset:4
	s_waitcnt vmcnt(10)
	v_and_b32_e32 v37, 0xffff, v23
	v_lshrrev_b32_e32 v38, 16, v23
	s_waitcnt vmcnt(9)
	v_and_b32_e32 v40, 0xffff, v24
	v_lshrrev_b32_e32 v41, 16, v24
	;; [unrolled: 3-line block ×8, first 2 shown]
	s_waitcnt vmcnt(2)
	v_lshrrev_b32_e32 v60, 16, v31
	v_and_b32_e32 v62, 0xffff, v31
	s_waitcnt lgkmcnt(0)
	v_and_b32_e32 v36, 0xffff, v35
	v_lshrrev_b32_e32 v35, 16, v35
	;;#ASMSTART
	v_cvt_f32_f16 v23, v36;
	;;#ASMEND
	;;#ASMSTART
	v_cvt_f32_f16 v35, v35;
	;;#ASMEND
	;; [unrolled: 3-line block ×4, first 2 shown]
	ds_read_b32 v38, v7 offset:8
	v_mul_f32_e32 v23, v23, v36
	v_mul_f32_e32 v31, v35, v37
	v_fmac_f32_e32 v23, v21, v33
	v_fmac_f32_e32 v31, v22, v34
	s_waitcnt lgkmcnt(0)
	v_and_b32_e32 v39, 0xffff, v38
	v_lshrrev_b32_e32 v38, 16, v38
	;;#ASMSTART
	v_cvt_f32_f16 v24, v39;
	;;#ASMEND
	;;#ASMSTART
	v_cvt_f32_f16 v38, v38;
	;;#ASMEND
	;; [unrolled: 3-line block ×4, first 2 shown]
	ds_read_b32 v41, v7 offset:12
	v_fmac_f32_e32 v23, v24, v39
	v_fmac_f32_e32 v31, v38, v40
	s_waitcnt vmcnt(1)
	v_and_b32_e32 v24, 0xffff, v32
	s_waitcnt lgkmcnt(0)
	v_and_b32_e32 v42, 0xffff, v41
	v_lshrrev_b32_e32 v41, 16, v41
	;;#ASMSTART
	v_cvt_f32_f16 v25, v42;
	;;#ASMEND
	;;#ASMSTART
	v_cvt_f32_f16 v41, v41;
	;;#ASMEND
	;; [unrolled: 3-line block ×4, first 2 shown]
	ds_read_b32 v44, v7 offset:16
	v_fmac_f32_e32 v23, v25, v42
	v_fmac_f32_e32 v31, v41, v43
	v_lshrrev_b32_e32 v25, 16, v32
	s_waitcnt lgkmcnt(0)
	v_and_b32_e32 v45, 0xffff, v44
	v_lshrrev_b32_e32 v44, 16, v44
	;;#ASMSTART
	v_cvt_f32_f16 v26, v45;
	;;#ASMEND
	;;#ASMSTART
	v_cvt_f32_f16 v44, v44;
	;;#ASMEND
	;; [unrolled: 3-line block ×4, first 2 shown]
	ds_read_b32 v47, v7 offset:20
	v_fmac_f32_e32 v23, v26, v45
	v_fmac_f32_e32 v31, v44, v46
	s_waitcnt lgkmcnt(0)
	v_and_b32_e32 v48, 0xffff, v47
	v_lshrrev_b32_e32 v47, 16, v47
	;;#ASMSTART
	v_cvt_f32_f16 v27, v48;
	;;#ASMEND
	;;#ASMSTART
	v_cvt_f32_f16 v47, v47;
	;;#ASMEND
	;; [unrolled: 3-line block ×4, first 2 shown]
	ds_read_b32 v50, v7 offset:24
	v_fmac_f32_e32 v23, v27, v48
	v_fmac_f32_e32 v31, v47, v49
	v_cndmask_b32_e64 v27, v4, v12, s2
	v_cmp_gt_i32_e64 s2, 32, v13
	s_waitcnt lgkmcnt(0)
	v_and_b32_e32 v51, 0xffff, v50
	v_lshrrev_b32_e32 v50, 16, v50
	;;#ASMSTART
	v_cvt_f32_f16 v28, v51;
	;;#ASMEND
	;;#ASMSTART
	v_cvt_f32_f16 v50, v50;
	;;#ASMEND
	;; [unrolled: 3-line block ×4, first 2 shown]
	ds_read_b32 v53, v7 offset:28
	v_fmac_f32_e32 v23, v28, v51
	v_fmac_f32_e32 v31, v50, v52
	s_waitcnt vmcnt(0)
	v_lshrrev_b32_e32 v28, 16, v20
	s_waitcnt lgkmcnt(0)
	v_and_b32_e32 v54, 0xffff, v53
	v_lshrrev_b32_e32 v53, 16, v53
	;;#ASMSTART
	v_cvt_f32_f16 v29, v54;
	;;#ASMEND
	;;#ASMSTART
	v_cvt_f32_f16 v53, v53;
	;;#ASMEND
	;; [unrolled: 3-line block ×4, first 2 shown]
	ds_read_b32 v56, v7 offset:32
	v_fmac_f32_e32 v23, v29, v54
	v_fmac_f32_e32 v31, v53, v55
	s_waitcnt lgkmcnt(0)
	v_and_b32_e32 v57, 0xffff, v56
	v_lshrrev_b32_e32 v56, 16, v56
	;;#ASMSTART
	v_cvt_f32_f16 v30, v57;
	;;#ASMEND
	;;#ASMSTART
	v_cvt_f32_f16 v56, v56;
	;;#ASMEND
	;; [unrolled: 3-line block ×4, first 2 shown]
	ds_read_b32 v59, v7 offset:36
	v_fmac_f32_e32 v23, v30, v57
	v_fmac_f32_e32 v31, v56, v58
	v_and_b32_e32 v30, 0xffff, v20
	s_waitcnt lgkmcnt(0)
	v_and_b32_e32 v61, 0xffff, v59
	v_lshrrev_b32_e32 v59, 16, v59
	;;#ASMSTART
	v_cvt_f32_f16 v35, v61;
	;;#ASMEND
	;;#ASMSTART
	v_cvt_f32_f16 v36, v59;
	;;#ASMEND
	;; [unrolled: 3-line block ×4, first 2 shown]
	ds_read_b32 v60, v7 offset:40
	v_fmac_f32_e32 v23, v35, v37
	v_fmac_f32_e32 v31, v36, v59
	s_waitcnt lgkmcnt(0)
	v_and_b32_e32 v21, 0xffff, v60
	v_lshrrev_b32_e32 v22, 16, v60
	;;#ASMSTART
	v_cvt_f32_f16 v21, v21;
	;;#ASMEND
	;;#ASMSTART
	v_cvt_f32_f16 v22, v22;
	;;#ASMEND
	;;#ASMSTART
	v_cvt_f32_f16 v24, v24;
	;;#ASMEND
	;;#ASMSTART
	v_cvt_f32_f16 v25, v25;
	;;#ASMEND
	ds_read_b32 v26, v7 offset:44
	v_fmac_f32_e32 v23, v21, v24
	v_fmac_f32_e32 v31, v22, v25
	s_waitcnt lgkmcnt(0)
	v_and_b32_e32 v29, 0xffff, v26
	v_lshrrev_b32_e32 v26, 16, v26
	;;#ASMSTART
	v_cvt_f32_f16 v20, v29;
	;;#ASMEND
	;;#ASMSTART
	v_cvt_f32_f16 v21, v26;
	;;#ASMEND
	;; [unrolled: 3-line block ×4, first 2 shown]
	v_fmac_f32_e32 v23, v20, v22
	v_fmac_f32_e32 v31, v21, v24
	v_lshlrev_b32_e32 v20, 2, v27
	v_cndmask_b32_e64 v22, v4, v13, s2
	v_add_f32_e32 v21, v23, v31
	ds_bpermute_b32 v20, v20, v21
	s_waitcnt lgkmcnt(0)
	v_add_f32_e32 v20, v21, v20
	v_lshlrev_b32_e32 v21, 2, v22
	ds_bpermute_b32 v21, v21, v20
	s_and_saveexec_b32 s36, vcc_lo
	s_cbranch_execz .LBB57_10
; %bb.18:                               ;   in Loop: Header=BB57_12 Depth=1
	v_add_nc_u32_e32 v22, v14, v8
	s_waitcnt lgkmcnt(0)
	v_add_f32_e32 v20, v20, v21
	v_cvt_f32_i32_e32 v22, v22
	v_mul_f32_e32 v22, s33, v22
	v_cndmask_b32_e64 v21, 0, v22, s1
	v_max_f32_e32 v22, v5, v5
	v_fmac_f32_e32 v21, s29, v20
	v_add_nc_u32_e32 v20, v6, v8
	v_max_f32_e32 v22, v22, v21
	v_cmp_gt_i32_e64 s2, s11, v20
	v_cndmask_b32_e64 v20, 0, v21, s2
	v_cndmask_b32_e64 v5, v5, v22, s2
	ds_write_b32 v15, v20
	s_branch .LBB57_10
.LBB57_19:
	s_or_b32 exec_lo, exec_lo, s15
.LBB57_20:
	s_or_b32 exec_lo, exec_lo, s34
	v_xor_b32_e32 v1, 16, v4
	v_xor_b32_e32 v6, 8, v4
	v_max_f32_e32 v7, v5, v5
	v_and_b32_e32 v11, 31, v0
	v_cmp_gt_i32_e32 vcc_lo, 32, v1
	v_cndmask_b32_e32 v1, v4, v1, vcc_lo
	v_cmp_gt_i32_e32 vcc_lo, 32, v6
	v_lshlrev_b32_e32 v2, 2, v1
	ds_bpermute_b32 v1, v2, v5
	v_cndmask_b32_e32 v5, v4, v6, vcc_lo
	v_lshlrev_b32_e32 v5, 2, v5
	s_waitcnt lgkmcnt(0)
	v_max_f32_e32 v1, v1, v1
	v_max_f32_e32 v1, v7, v1
	v_xor_b32_e32 v7, 4, v4
	ds_bpermute_b32 v6, v5, v1
	v_cmp_gt_i32_e32 vcc_lo, 32, v7
	v_cndmask_b32_e32 v7, v4, v7, vcc_lo
	v_cmp_eq_u32_e32 vcc_lo, 0, v11
	v_lshlrev_b32_e32 v8, 2, v7
	s_waitcnt lgkmcnt(0)
	v_max_f32_e32 v6, v6, v6
	v_max_f32_e32 v1, v1, v6
	v_lshlrev_b32_e32 v6, 2, v9
	ds_bpermute_b32 v7, v8, v1
	s_and_saveexec_b32 s1, vcc_lo
	s_cbranch_execz .LBB57_22
; %bb.21:
	s_waitcnt lgkmcnt(0)
	v_max_f32_e32 v7, v7, v7
	v_max_f32_e32 v1, v1, v1
	;; [unrolled: 1-line block ×3, first 2 shown]
	ds_write_b32 v6, v1 offset:192
.LBB57_22:
	s_or_b32 exec_lo, exec_lo, s1
	v_cmp_gt_u32_e64 s1, 4, v11
	v_mov_b32_e32 v1, 0xff7fffff
	s_waitcnt lgkmcnt(0)
	v_lshlrev_b32_e32 v7, 2, v11
	s_barrier
	buffer_gl0_inv
	s_and_saveexec_b32 s2, s1
; %bb.23:
	ds_read_b32 v1, v7 offset:192
; %bb.24:
	s_or_b32 exec_lo, exec_lo, s2
	v_xor_b32_e32 v12, 2, v4
	v_xor_b32_e32 v14, 1, v4
	v_cmp_gt_i32_e64 s2, 32, v12
	v_cndmask_b32_e64 v12, v4, v12, s2
	v_cmp_gt_i32_e64 s2, 32, v14
	v_lshlrev_b32_e32 v12, 2, v12
	v_cndmask_b32_e64 v4, v4, v14, s2
	s_lshl_b32 s2, s16, 3
	s_min_i32 s4, s2, s11
	s_waitcnt lgkmcnt(0)
	ds_bpermute_b32 v13, v12, v1
	v_max_f32_e32 v1, v1, v1
	v_lshlrev_b32_e32 v4, 2, v4
	v_cmp_gt_i32_e64 s2, s4, v0
	s_waitcnt lgkmcnt(0)
	v_max_f32_e32 v13, v13, v13
	v_max_f32_e32 v1, v1, v13
	ds_bpermute_b32 v13, v4, v1
	s_waitcnt lgkmcnt(0)
	v_max_f32_e32 v13, v13, v13
	v_max_f32_e32 v1, v1, v13
	v_mov_b32_e32 v13, 0
	ds_bpermute_b32 v14, v13, v1
	v_lshl_add_u32 v1, v0, 2, 0xe0
	s_and_saveexec_b32 s5, s2
	s_cbranch_execz .LBB57_28
; %bb.25:
	v_lshl_add_u32 v15, v0, 2, 0xe0
	v_mov_b32_e32 v13, 0
	v_mov_b32_e32 v16, v0
	s_mov_b32 s15, 0
	.p2align	6
.LBB57_26:                              ; =>This Inner Loop Header: Depth=1
	ds_read_b32 v17, v15
	v_add_nc_u32_e32 v16, 0x80, v16
	v_cmp_le_i32_e64 s3, s4, v16
	s_or_b32 s15, s3, s15
	s_waitcnt lgkmcnt(0)
	v_sub_f32_e32 v17, v17, v14
	v_mul_f32_e32 v17, 0x3fb8aa3b, v17
	v_exp_f32_e32 v17, v17
	ds_write_b32 v15, v17
	v_add_f32_e32 v13, v13, v17
	v_add_nc_u32_e32 v15, 0x200, v15
	s_andn2_b32 exec_lo, exec_lo, s15
	s_cbranch_execnz .LBB57_26
; %bb.27:
	s_or_b32 exec_lo, exec_lo, s15
.LBB57_28:
	s_or_b32 exec_lo, exec_lo, s5
	ds_bpermute_b32 v2, v2, v13
	s_waitcnt lgkmcnt(0)
	v_add_f32_e32 v2, v13, v2
	ds_bpermute_b32 v5, v5, v2
	s_waitcnt lgkmcnt(0)
	v_add_f32_e32 v2, v2, v5
	;; [unrolled: 3-line block ×5, first 2 shown]
	s_and_saveexec_b32 s3, vcc_lo
; %bb.29:
	ds_write_b32 v6, v2 offset:208
; %bb.30:
	s_or_b32 exec_lo, exec_lo, s3
	s_waitcnt lgkmcnt(0)
	s_barrier
	buffer_gl0_inv
	s_and_saveexec_b32 s3, s1
; %bb.31:
	ds_read_b32 v2, v7 offset:208
; %bb.32:
	s_or_b32 exec_lo, exec_lo, s3
	s_waitcnt lgkmcnt(0)
	ds_bpermute_b32 v5, v12, v2
	s_waitcnt lgkmcnt(0)
	v_add_f32_e32 v2, v2, v5
	ds_bpermute_b32 v4, v4, v2
	s_waitcnt lgkmcnt(0)
	v_add_f32_e32 v2, v2, v4
	v_mov_b32_e32 v4, 0
	ds_bpermute_b32 v2, v4, v2
	s_and_saveexec_b32 s1, s2
	s_cbranch_execz .LBB57_35
; %bb.33:
	s_waitcnt lgkmcnt(0)
	v_add_f32_e32 v2, 0x358637bd, v2
	s_mov_b32 s2, 0
	v_div_scale_f32 v4, null, v2, v2, 1.0
	v_div_scale_f32 v7, vcc_lo, 1.0, v2, 1.0
	v_rcp_f32_e32 v5, v4
	v_fma_f32 v6, -v4, v5, 1.0
	v_fmac_f32_e32 v5, v6, v5
	v_mul_f32_e32 v6, v7, v5
	v_fma_f32 v8, -v4, v6, v7
	v_fmac_f32_e32 v6, v8, v5
	v_fma_f32 v4, -v4, v6, v7
	v_div_fmas_f32 v4, v4, v5, v6
	v_div_fixup_f32 v2, v4, v2, 1.0
	v_mov_b32_e32 v4, v0
.LBB57_34:                              ; =>This Inner Loop Header: Depth=1
	ds_read_b32 v5, v1
	v_add_nc_u32_e32 v4, 0x80, v4
	v_cmp_le_i32_e32 vcc_lo, s4, v4
	s_or_b32 s2, vcc_lo, s2
	s_waitcnt lgkmcnt(0)
	v_mul_f32_e32 v5, v2, v5
	ds_write_b32 v1, v5
	v_add_nc_u32_e32 v1, 0x200, v1
	s_andn2_b32 exec_lo, exec_lo, s2
	s_cbranch_execnz .LBB57_34
.LBB57_35:
	s_or_b32 exec_lo, exec_lo, s1
	v_mov_b32_e32 v14, 0
	v_mov_b32_e32 v13, 0
	;; [unrolled: 1-line block ×3, first 2 shown]
	s_waitcnt lgkmcnt(0)
	s_barrier
	buffer_gl0_inv
	s_and_saveexec_b32 s2, s0
	s_cbranch_execz .LBB57_47
; %bb.36:
	s_ashr_i32 s15, s14, 31
	s_sub_i32 s3, s28, s17
	s_lshl_b64 s[0:1], s[14:15], 1
	v_lshlrev_b32_e32 v2, 4, v11
	s_add_u32 s14, s26, s0
	s_addc_u32 s15, s27, s1
	s_abs_i32 s4, s18
	v_and_b32_e32 v3, 0x7c, v3
	v_cvt_f32_u32_e32 v1, s4
	s_sub_i32 s0, 0, s4
	s_add_i32 s5, s16, -1
	v_add_co_u32 v17, s14, s14, v2
	v_rcp_iflag_f32_e32 v1, v1
	v_mov_b32_e32 v15, 0
	v_lshl_add_u32 v16, v9, 5, 0xe0
	v_mov_b32_e32 v12, 0
	v_mov_b32_e32 v13, 0
	;; [unrolled: 1-line block ×3, first 2 shown]
	v_add_co_ci_u32_e64 v18, null, s15, 0, s14
	v_mov_b32_e32 v20, v9
	s_mov_b32 s14, s13
	v_mul_f32_e32 v1, 0x4f7ffffe, v1
	s_mov_b32 s13, 0
	v_cvt_u32_f32_e32 v1, v1
	v_mul_lo_u32 v4, s0, v1
	s_lshl_b64 s[0:1], s[24:25], 2
	s_add_u32 s0, s22, s0
	s_addc_u32 s1, s23, s1
	v_add_co_u32 v5, s0, s0, v3
	v_add_co_ci_u32_e64 v6, null, s1, 0, s0
	v_mul_hi_u32 v4, v1, v4
	v_add_nc_u32_e32 v19, v1, v4
	s_branch .LBB57_39
.LBB57_37:                              ;   in Loop: Header=BB57_39 Depth=1
	s_or_b32 exec_lo, exec_lo, s1
	v_lshlrev_b32_e32 v21, 16, v36
	v_lshlrev_b32_e32 v8, 16, v8
	;; [unrolled: 1-line block ×3, first 2 shown]
	v_and_or_b32 v1, 0xffff, v1, v21
	v_and_or_b32 v2, 0xffff, v2, v8
	;; [unrolled: 1-line block ×3, first 2 shown]
	;;#ASMSTART
	v_pk_mul_f16 v1, v29, v1;

	;;#ASMEND
	;;#ASMSTART
	v_pk_mul_f16 v2, v28, v2;

	;;#ASMEND
	;; [unrolled: 4-line block ×4, first 2 shown]
	;;#ASMSTART
	v_pk_add_f16 v1, v1, v2;

	;;#ASMEND
	;;#ASMSTART
	v_pk_add_f16 v1, v1, v3;

	;;#ASMEND
	;; [unrolled: 4-line block ×3, first 2 shown]
	v_and_b32_e32 v3, 0xffff, v1
	v_lshrrev_b32_e32 v4, 16, v1
	;;#ASMSTART
	v_cvt_f32_f16 v3, v3;
	;;#ASMEND
	v_add_f32_e32 v1, v34, v35
	v_add_f32_e32 v2, v30, v32
	;;#ASMSTART
	v_cvt_f32_f16 v4, v4;
	;;#ASMEND
	v_add_f32_e32 v3, v3, v4
	v_add_f32_e32 v13, v13, v1
	;; [unrolled: 1-line block ×4, first 2 shown]
.LBB57_38:                              ;   in Loop: Header=BB57_39 Depth=1
	s_or_b32 exec_lo, exec_lo, s15
	v_add_nc_u32_e32 v20, 4, v20
	v_add_co_u32 v5, s0, v5, 16
	v_add_co_ci_u32_e64 v6, null, 0, v6, s0
	v_cmp_le_i32_e32 vcc_lo, s16, v20
	v_add_nc_u32_e32 v10, 32, v10
	v_add_nc_u32_e32 v16, 0x80, v16
	s_or_b32 s13, vcc_lo, s13
	s_andn2_b32 exec_lo, exec_lo, s13
	s_cbranch_execz .LBB57_46
.LBB57_39:                              ; =>This Inner Loop Header: Depth=1
	v_mul_hi_u32 v1, v10, s30
	v_mul_lo_u32 v2, v1, s21
	v_add_nc_u32_e32 v3, 1, v1
	v_sub_nc_u32_e32 v2, v10, v2
	v_subrev_nc_u32_e32 v4, s21, v2
	v_cmp_le_u32_e32 vcc_lo, s21, v2
	v_cndmask_b32_e32 v1, v1, v3, vcc_lo
	v_cndmask_b32_e32 v2, v2, v4, vcc_lo
	v_add_nc_u32_e32 v3, 1, v1
	v_cmp_le_u32_e32 vcc_lo, s21, v2
	v_cndmask_b32_e32 v1, v1, v3, vcc_lo
	v_xor_b32_e32 v1, s19, v1
	v_subrev_nc_u32_e32 v1, s19, v1
	v_add_nc_u32_e32 v2, s31, v1
	v_cmp_lt_i32_e64 s0, s3, v1
	v_sub_nc_u32_e32 v3, 0, v2
	v_max_i32_e32 v3, v2, v3
	v_ashrrev_i32_e32 v2, 31, v2
	v_mul_hi_u32 v4, v3, v19
	v_mul_lo_u32 v4, v4, s4
	v_sub_nc_u32_e32 v3, v3, v4
	v_subrev_nc_u32_e32 v4, s4, v3
	v_cmp_le_u32_e32 vcc_lo, s4, v3
	v_cndmask_b32_e32 v3, v3, v4, vcc_lo
	v_subrev_nc_u32_e32 v4, s4, v3
	v_cmp_le_u32_e32 vcc_lo, s4, v3
	v_cndmask_b32_e32 v3, v3, v4, vcc_lo
	v_xor_b32_e32 v3, v3, v2
	v_sub_nc_u32_e32 v2, v3, v2
	v_cmp_eq_u32_e32 vcc_lo, 0, v2
	s_or_b32 s0, vcc_lo, s0
	s_and_saveexec_b32 s15, s0
	s_cbranch_execz .LBB57_38
; %bb.40:                               ;   in Loop: Header=BB57_39 Depth=1
	global_load_dword v7, v[5:6], off
	ds_read2_b64 v[1:4], v16 offset1:1
	ds_read2_b64 v[21:24], v16 offset0:2 offset1:3
	v_cmp_eq_u32_e64 s0, s5, v20
	v_add_nc_u32_e32 v27, 1, v10
	v_add_nc_u32_e32 v25, 2, v10
	;; [unrolled: 1-line block ×3, first 2 shown]
	s_waitcnt lgkmcnt(1)
	;;#ASMSTART
	v_cvt_f16_f32 v29, v1;

	;;#ASMEND
	;;#ASMSTART
	v_cvt_f16_f32 v28, v2;

	;;#ASMEND
	;; [unrolled: 4-line block ×4, first 2 shown]
	s_waitcnt lgkmcnt(0)
	;;#ASMSTART
	v_cvt_f16_f32 v35, v21;

	;;#ASMEND
	;;#ASMSTART
	v_cvt_f16_f32 v31, v22;

	;;#ASMEND
	;; [unrolled: 4-line block ×4, first 2 shown]
	v_add_nc_u32_e32 v24, 3, v10
	v_add_nc_u32_e32 v22, 4, v10
	;; [unrolled: 1-line block ×4, first 2 shown]
	s_waitcnt vmcnt(0)
	v_mad_i64_i32 v[7:8], null, v7, s14, 0
	v_lshlrev_b64 v[7:8], 1, v[7:8]
	v_add_co_u32 v7, vcc_lo, v17, v7
	v_add_co_ci_u32_e64 v8, null, v18, v8, vcc_lo
	global_load_dwordx4 v[1:4], v[7:8], off
	s_waitcnt vmcnt(0)
	v_lshrrev_b32_e32 v38, 16, v1
	v_lshrrev_b32_e32 v37, 16, v2
	v_lshrrev_b32_e32 v36, 16, v3
	s_and_saveexec_b32 s17, s0
	s_cbranch_execz .LBB57_42
; %bb.41:                               ;   in Loop: Header=BB57_39 Depth=1
	v_cmp_gt_i32_e32 vcc_lo, s11, v10
	v_and_b32_e32 v39, 0xffff0000, v4
	v_cmp_gt_i32_e64 s1, s11, v25
	v_cndmask_b32_e32 v1, 0, v1, vcc_lo
	v_cmp_gt_i32_e32 vcc_lo, s11, v27
	v_cndmask_b32_e64 v2, 0, v2, s1
	v_cmp_gt_i32_e64 s1, s11, v24
	v_cndmask_b32_e32 v38, 0, v38, vcc_lo
	v_cmp_gt_i32_e32 vcc_lo, s11, v26
	v_cndmask_b32_e64 v37, 0, v37, s1
	v_cndmask_b32_sdwa v4, v15, v4, vcc_lo dst_sel:DWORD dst_unused:UNUSED_PAD src0_sel:DWORD src1_sel:WORD_0
	v_cmp_gt_i32_e32 vcc_lo, s11, v23
	v_cndmask_b32_e32 v39, 0, v39, vcc_lo
	v_cmp_gt_i32_e32 vcc_lo, s11, v22
	v_or_b32_e32 v4, v4, v39
	v_cndmask_b32_e32 v3, 0, v3, vcc_lo
	v_cmp_gt_i32_e32 vcc_lo, s11, v21
	v_cndmask_b32_e32 v36, 0, v36, vcc_lo
.LBB57_42:                              ;   in Loop: Header=BB57_39 Depth=1
	s_or_b32 exec_lo, exec_lo, s17
	v_and_b32_e32 v29, 0xffff, v29
	v_and_b32_e32 v34, 0xffff, v34
	v_lshlrev_b32_e32 v38, 16, v38
	v_and_b32_e32 v35, 0xffff, v35
	v_and_b32_e32 v33, 0xffff, v33
	v_lshl_or_b32 v29, v28, 16, v29
	v_lshl_or_b32 v28, v32, 16, v34
	v_lshlrev_b32_e32 v32, 16, v37
	v_lshlrev_b32_e32 v34, 16, v36
	v_and_or_b32 v1, 0xffff, v1, v38
	;;#ASMSTART
	v_pk_mul_f16 v1, v29, v1;

	;;#ASMEND
	v_lshl_or_b32 v31, v31, 16, v35
	v_and_or_b32 v2, 0xffff, v2, v32
	v_and_or_b32 v3, 0xffff, v3, v34
	v_lshl_or_b32 v33, v30, 16, v33
	;;#ASMSTART
	v_pk_mul_f16 v2, v28, v2;

	;;#ASMEND
	;;#ASMSTART
	v_pk_mul_f16 v3, v31, v3;

	;;#ASMEND
	;; [unrolled: 4-line block ×3, first 2 shown]
	;;#ASMSTART
	v_pk_add_f16 v1, v1, v2;

	;;#ASMEND
	;;#ASMSTART
	v_pk_add_f16 v1, v1, v3;

	;;#ASMEND
	;; [unrolled: 4-line block ×3, first 2 shown]
	v_and_b32_e32 v2, 0xffff, v1
	v_lshrrev_b32_e32 v1, 16, v1
	;;#ASMSTART
	v_cvt_f32_f16 v30, v2;
	;;#ASMEND
	;;#ASMSTART
	v_cvt_f32_f16 v32, v1;
	;;#ASMEND
	global_load_dwordx4 v[1:4], v[7:8], off offset:512
	s_waitcnt vmcnt(0)
	v_lshrrev_b32_e32 v36, 16, v1
	v_lshrrev_b32_e32 v35, 16, v2
	;; [unrolled: 1-line block ×3, first 2 shown]
	s_and_saveexec_b32 s17, s0
	s_cbranch_execz .LBB57_44
; %bb.43:                               ;   in Loop: Header=BB57_39 Depth=1
	v_cmp_gt_i32_e32 vcc_lo, s11, v10
	v_and_b32_e32 v37, 0xffff0000, v4
	v_cmp_gt_i32_e64 s1, s11, v25
	v_cndmask_b32_e32 v1, 0, v1, vcc_lo
	v_cmp_gt_i32_e32 vcc_lo, s11, v27
	v_cndmask_b32_e64 v2, 0, v2, s1
	v_cmp_gt_i32_e64 s1, s11, v24
	v_cndmask_b32_e32 v36, 0, v36, vcc_lo
	v_cmp_gt_i32_e32 vcc_lo, s11, v26
	v_cndmask_b32_e64 v35, 0, v35, s1
	v_cndmask_b32_sdwa v4, v15, v4, vcc_lo dst_sel:DWORD dst_unused:UNUSED_PAD src0_sel:DWORD src1_sel:WORD_0
	v_cmp_gt_i32_e32 vcc_lo, s11, v23
	v_cndmask_b32_e32 v37, 0, v37, vcc_lo
	v_cmp_gt_i32_e32 vcc_lo, s11, v22
	v_or_b32_e32 v4, v4, v37
	v_cndmask_b32_e32 v3, 0, v3, vcc_lo
	v_cmp_gt_i32_e32 vcc_lo, s11, v21
	v_cndmask_b32_e32 v34, 0, v34, vcc_lo
.LBB57_44:                              ;   in Loop: Header=BB57_39 Depth=1
	s_or_b32 exec_lo, exec_lo, s17
	v_lshlrev_b32_e32 v36, 16, v36
	v_lshlrev_b32_e32 v35, 16, v35
	;; [unrolled: 1-line block ×3, first 2 shown]
	v_and_or_b32 v1, 0xffff, v1, v36
	v_and_or_b32 v2, 0xffff, v2, v35
	v_and_or_b32 v3, 0xffff, v3, v34
	;;#ASMSTART
	v_pk_mul_f16 v1, v29, v1;

	;;#ASMEND
	;;#ASMSTART
	v_pk_mul_f16 v2, v28, v2;

	;;#ASMEND
	;; [unrolled: 4-line block ×4, first 2 shown]
	;;#ASMSTART
	v_pk_add_f16 v1, v1, v2;

	;;#ASMEND
	;;#ASMSTART
	v_pk_add_f16 v1, v1, v3;

	;;#ASMEND
	;; [unrolled: 4-line block ×3, first 2 shown]
	v_and_b32_e32 v2, 0xffff, v1
	v_lshrrev_b32_e32 v1, 16, v1
	;;#ASMSTART
	v_cvt_f32_f16 v34, v2;
	;;#ASMEND
	;;#ASMSTART
	v_cvt_f32_f16 v35, v1;
	;;#ASMEND
	global_load_dwordx4 v[1:4], v[7:8], off offset:1024
	s_waitcnt vmcnt(0)
	v_lshrrev_b32_e32 v36, 16, v1
	v_lshrrev_b32_e32 v8, 16, v2
	;; [unrolled: 1-line block ×3, first 2 shown]
	s_and_saveexec_b32 s1, s0
	s_cbranch_execz .LBB57_37
; %bb.45:                               ;   in Loop: Header=BB57_39 Depth=1
	v_cmp_gt_i32_e32 vcc_lo, s11, v10
	v_cmp_gt_i32_e64 s0, s11, v25
	v_cndmask_b32_e32 v1, 0, v1, vcc_lo
	v_cmp_gt_i32_e32 vcc_lo, s11, v27
	v_cndmask_b32_e64 v2, 0, v2, s0
	v_cmp_gt_i32_e64 s0, s11, v24
	v_and_b32_e32 v24, 0xffff0000, v4
	v_cndmask_b32_e32 v36, 0, v36, vcc_lo
	v_cmp_gt_i32_e32 vcc_lo, s11, v26
	v_cndmask_b32_e64 v8, 0, v8, s0
	v_cndmask_b32_sdwa v4, v15, v4, vcc_lo dst_sel:DWORD dst_unused:UNUSED_PAD src0_sel:DWORD src1_sel:WORD_0
	v_cmp_gt_i32_e32 vcc_lo, s11, v23
	v_cndmask_b32_e32 v23, 0, v24, vcc_lo
	v_cmp_gt_i32_e32 vcc_lo, s11, v22
	v_or_b32_e32 v4, v4, v23
	v_cndmask_b32_e32 v3, 0, v3, vcc_lo
	v_cmp_gt_i32_e32 vcc_lo, s11, v21
	v_cndmask_b32_e32 v7, 0, v7, vcc_lo
	s_branch .LBB57_37
.LBB57_46:
	s_or_b32 exec_lo, exec_lo, s13
.LBB57_47:
	s_or_b32 exec_lo, exec_lo, s2
	v_lshl_add_u32 v2, v11, 2, 0xe0
	v_and_b32_e32 v3, 0x3c0, v0
	s_mov_b32 s0, exec_lo
	s_barrier
	v_mad_u32_u24 v1, 0x180, v9, v2
	buffer_gl0_inv
	v_cmpx_eq_u32_e32 64, v3
	s_cbranch_execz .LBB57_49
; %bb.48:
	v_add_nc_u32_e32 v3, 0xfffffd00, v1
	v_add_nc_u32_e32 v4, 0xfffffd80, v1
	;; [unrolled: 1-line block ×3, first 2 shown]
	ds_write_b32 v3, v14
	ds_write_b32 v4, v13
	;; [unrolled: 1-line block ×3, first 2 shown]
.LBB57_49:
	s_or_b32 exec_lo, exec_lo, s0
	s_mov_b32 s0, exec_lo
	s_waitcnt lgkmcnt(0)
	s_barrier
	buffer_gl0_inv
	v_cmpx_gt_u32_e32 64, v0
	s_cbranch_execz .LBB57_51
; %bb.50:
	ds_read2_b32 v[3:4], v1 offset1:32
	ds_read_b32 v5, v1 offset:256
	s_waitcnt lgkmcnt(1)
	v_add_f32_e32 v14, v14, v3
	v_add_f32_e32 v13, v13, v4
	s_waitcnt lgkmcnt(0)
	v_add_f32_e32 v12, v12, v5
.LBB57_51:
	s_or_b32 exec_lo, exec_lo, s0
	v_and_b32_e32 v3, 0x3e0, v0
	s_mov_b32 s0, exec_lo
	s_barrier
	buffer_gl0_inv
	v_cmpx_eq_u32_e32 32, v3
	s_cbranch_execz .LBB57_53
; %bb.52:
	ds_write2_b32 v2, v14, v13 offset1:32
	ds_write_b32 v2, v12 offset:256
.LBB57_53:
	s_or_b32 exec_lo, exec_lo, s0
	v_cmp_gt_u32_e32 vcc_lo, 32, v0
	s_waitcnt lgkmcnt(0)
	s_barrier
	buffer_gl0_inv
	s_and_saveexec_b32 s0, vcc_lo
	s_cbranch_execz .LBB57_55
; %bb.54:
	ds_read2_b32 v[2:3], v1 offset1:32
	ds_read_b32 v1, v1 offset:256
	s_waitcnt lgkmcnt(1)
	v_add_f32_e32 v14, v14, v2
	v_add_f32_e32 v13, v13, v3
	s_waitcnt lgkmcnt(0)
	v_add_f32_e32 v12, v12, v1
.LBB57_55:
	s_or_b32 exec_lo, exec_lo, s0
	s_barrier
	buffer_gl0_inv
	s_and_saveexec_b32 s0, vcc_lo
	s_cbranch_execz .LBB57_57
; %bb.56:
	s_mul_i32 s0, s10, s12
	s_mul_i32 s2, s12, s20
	;; [unrolled: 1-line block ×3, first 2 shown]
	v_lshlrev_b32_e32 v0, 1, v0
	s_mulk_i32 s0, 0x60
	;;#ASMSTART
	v_cvt_f16_f32 v1, v14;

	;;#ASMEND
	s_ashr_i32 s1, s0, 31
	s_lshl_b64 s[0:1], s[0:1], 1
	s_add_u32 s4, s6, s0
	s_addc_u32 s5, s7, s1
	s_ashr_i32 s3, s2, 31
	s_lshl_b64 s[0:1], s[2:3], 1
	s_mul_i32 s2, s8, 0x60
	s_add_u32 s4, s4, s0
	s_addc_u32 s5, s5, s1
	s_ashr_i32 s3, s2, 31
	s_lshl_b64 s[0:1], s[2:3], 1
	s_add_u32 s0, s4, s0
	s_addc_u32 s1, s5, s1
	global_store_short v0, v1, s[0:1]
	;;#ASMSTART
	v_cvt_f16_f32 v1, v13;

	;;#ASMEND
	global_store_short v0, v1, s[0:1] offset:64
	;;#ASMSTART
	v_cvt_f16_f32 v1, v12;

	;;#ASMEND
	global_store_short v0, v1, s[0:1] offset:128
.LBB57_57:
	s_endpgm
	.section	.rodata,"a",@progbits
	.p2align	6, 0x0
	.amdhsa_kernel _ZN4vllm25paged_attention_v1_kernelIttLi96ELi8ELi128ELNS_18Fp8KVCacheDataTypeE0ELb1EEEvPT_PKS2_PKT0_S8_ifPKiSA_iPKfiiiSC_SC_iiiii
		.amdhsa_group_segment_fixed_size 224
		.amdhsa_private_segment_fixed_size 0
		.amdhsa_kernarg_size 384
		.amdhsa_user_sgpr_count 6
		.amdhsa_user_sgpr_private_segment_buffer 1
		.amdhsa_user_sgpr_dispatch_ptr 0
		.amdhsa_user_sgpr_queue_ptr 0
		.amdhsa_user_sgpr_kernarg_segment_ptr 1
		.amdhsa_user_sgpr_dispatch_id 0
		.amdhsa_user_sgpr_flat_scratch_init 0
		.amdhsa_user_sgpr_private_segment_size 0
		.amdhsa_wavefront_size32 1
		.amdhsa_uses_dynamic_stack 0
		.amdhsa_system_sgpr_private_segment_wavefront_offset 0
		.amdhsa_system_sgpr_workgroup_id_x 1
		.amdhsa_system_sgpr_workgroup_id_y 1
		.amdhsa_system_sgpr_workgroup_id_z 1
		.amdhsa_system_sgpr_workgroup_info 0
		.amdhsa_system_vgpr_workitem_id 0
		.amdhsa_next_free_vgpr 63
		.amdhsa_next_free_sgpr 38
		.amdhsa_reserve_vcc 1
		.amdhsa_reserve_flat_scratch 0
		.amdhsa_float_round_mode_32 0
		.amdhsa_float_round_mode_16_64 0
		.amdhsa_float_denorm_mode_32 3
		.amdhsa_float_denorm_mode_16_64 3
		.amdhsa_dx10_clamp 1
		.amdhsa_ieee_mode 1
		.amdhsa_fp16_overflow 0
		.amdhsa_workgroup_processor_mode 1
		.amdhsa_memory_ordered 1
		.amdhsa_forward_progress 1
		.amdhsa_shared_vgpr_count 0
		.amdhsa_exception_fp_ieee_invalid_op 0
		.amdhsa_exception_fp_denorm_src 0
		.amdhsa_exception_fp_ieee_div_zero 0
		.amdhsa_exception_fp_ieee_overflow 0
		.amdhsa_exception_fp_ieee_underflow 0
		.amdhsa_exception_fp_ieee_inexact 0
		.amdhsa_exception_int_div_zero 0
	.end_amdhsa_kernel
	.section	.text._ZN4vllm25paged_attention_v1_kernelIttLi96ELi8ELi128ELNS_18Fp8KVCacheDataTypeE0ELb1EEEvPT_PKS2_PKT0_S8_ifPKiSA_iPKfiiiSC_SC_iiiii,"axG",@progbits,_ZN4vllm25paged_attention_v1_kernelIttLi96ELi8ELi128ELNS_18Fp8KVCacheDataTypeE0ELb1EEEvPT_PKS2_PKT0_S8_ifPKiSA_iPKfiiiSC_SC_iiiii,comdat
.Lfunc_end57:
	.size	_ZN4vllm25paged_attention_v1_kernelIttLi96ELi8ELi128ELNS_18Fp8KVCacheDataTypeE0ELb1EEEvPT_PKS2_PKT0_S8_ifPKiSA_iPKfiiiSC_SC_iiiii, .Lfunc_end57-_ZN4vllm25paged_attention_v1_kernelIttLi96ELi8ELi128ELNS_18Fp8KVCacheDataTypeE0ELb1EEEvPT_PKS2_PKT0_S8_ifPKiSA_iPKfiiiSC_SC_iiiii
                                        ; -- End function
	.set _ZN4vllm25paged_attention_v1_kernelIttLi96ELi8ELi128ELNS_18Fp8KVCacheDataTypeE0ELb1EEEvPT_PKS2_PKT0_S8_ifPKiSA_iPKfiiiSC_SC_iiiii.num_vgpr, 63
	.set _ZN4vllm25paged_attention_v1_kernelIttLi96ELi8ELi128ELNS_18Fp8KVCacheDataTypeE0ELb1EEEvPT_PKS2_PKT0_S8_ifPKiSA_iPKfiiiSC_SC_iiiii.num_agpr, 0
	.set _ZN4vllm25paged_attention_v1_kernelIttLi96ELi8ELi128ELNS_18Fp8KVCacheDataTypeE0ELb1EEEvPT_PKS2_PKT0_S8_ifPKiSA_iPKfiiiSC_SC_iiiii.numbered_sgpr, 38
	.set _ZN4vllm25paged_attention_v1_kernelIttLi96ELi8ELi128ELNS_18Fp8KVCacheDataTypeE0ELb1EEEvPT_PKS2_PKT0_S8_ifPKiSA_iPKfiiiSC_SC_iiiii.num_named_barrier, 0
	.set _ZN4vllm25paged_attention_v1_kernelIttLi96ELi8ELi128ELNS_18Fp8KVCacheDataTypeE0ELb1EEEvPT_PKS2_PKT0_S8_ifPKiSA_iPKfiiiSC_SC_iiiii.private_seg_size, 0
	.set _ZN4vllm25paged_attention_v1_kernelIttLi96ELi8ELi128ELNS_18Fp8KVCacheDataTypeE0ELb1EEEvPT_PKS2_PKT0_S8_ifPKiSA_iPKfiiiSC_SC_iiiii.uses_vcc, 1
	.set _ZN4vllm25paged_attention_v1_kernelIttLi96ELi8ELi128ELNS_18Fp8KVCacheDataTypeE0ELb1EEEvPT_PKS2_PKT0_S8_ifPKiSA_iPKfiiiSC_SC_iiiii.uses_flat_scratch, 0
	.set _ZN4vllm25paged_attention_v1_kernelIttLi96ELi8ELi128ELNS_18Fp8KVCacheDataTypeE0ELb1EEEvPT_PKS2_PKT0_S8_ifPKiSA_iPKfiiiSC_SC_iiiii.has_dyn_sized_stack, 0
	.set _ZN4vllm25paged_attention_v1_kernelIttLi96ELi8ELi128ELNS_18Fp8KVCacheDataTypeE0ELb1EEEvPT_PKS2_PKT0_S8_ifPKiSA_iPKfiiiSC_SC_iiiii.has_recursion, 0
	.set _ZN4vllm25paged_attention_v1_kernelIttLi96ELi8ELi128ELNS_18Fp8KVCacheDataTypeE0ELb1EEEvPT_PKS2_PKT0_S8_ifPKiSA_iPKfiiiSC_SC_iiiii.has_indirect_call, 0
	.section	.AMDGPU.csdata,"",@progbits
; Kernel info:
; codeLenInByte = 6376
; TotalNumSgprs: 40
; NumVgprs: 63
; ScratchSize: 0
; MemoryBound: 0
; FloatMode: 240
; IeeeMode: 1
; LDSByteSize: 224 bytes/workgroup (compile time only)
; SGPRBlocks: 0
; VGPRBlocks: 7
; NumSGPRsForWavesPerEU: 40
; NumVGPRsForWavesPerEU: 63
; Occupancy: 16
; WaveLimiterHint : 1
; COMPUTE_PGM_RSRC2:SCRATCH_EN: 0
; COMPUTE_PGM_RSRC2:USER_SGPR: 6
; COMPUTE_PGM_RSRC2:TRAP_HANDLER: 0
; COMPUTE_PGM_RSRC2:TGID_X_EN: 1
; COMPUTE_PGM_RSRC2:TGID_Y_EN: 1
; COMPUTE_PGM_RSRC2:TGID_Z_EN: 1
; COMPUTE_PGM_RSRC2:TIDIG_COMP_CNT: 0
	.section	.text._ZN4vllm25paged_attention_v1_kernelIttLi112ELi8ELi128ELNS_18Fp8KVCacheDataTypeE0ELb1EEEvPT_PKS2_PKT0_S8_ifPKiSA_iPKfiiiSC_SC_iiiii,"axG",@progbits,_ZN4vllm25paged_attention_v1_kernelIttLi112ELi8ELi128ELNS_18Fp8KVCacheDataTypeE0ELb1EEEvPT_PKS2_PKT0_S8_ifPKiSA_iPKfiiiSC_SC_iiiii,comdat
	.protected	_ZN4vllm25paged_attention_v1_kernelIttLi112ELi8ELi128ELNS_18Fp8KVCacheDataTypeE0ELb1EEEvPT_PKS2_PKT0_S8_ifPKiSA_iPKfiiiSC_SC_iiiii ; -- Begin function _ZN4vllm25paged_attention_v1_kernelIttLi112ELi8ELi128ELNS_18Fp8KVCacheDataTypeE0ELb1EEEvPT_PKS2_PKT0_S8_ifPKiSA_iPKfiiiSC_SC_iiiii
	.globl	_ZN4vllm25paged_attention_v1_kernelIttLi112ELi8ELi128ELNS_18Fp8KVCacheDataTypeE0ELb1EEEvPT_PKS2_PKT0_S8_ifPKiSA_iPKfiiiSC_SC_iiiii
	.p2align	8
	.type	_ZN4vllm25paged_attention_v1_kernelIttLi112ELi8ELi128ELNS_18Fp8KVCacheDataTypeE0ELb1EEEvPT_PKS2_PKT0_S8_ifPKiSA_iPKfiiiSC_SC_iiiii,@function
_ZN4vllm25paged_attention_v1_kernelIttLi112ELi8ELi128ELNS_18Fp8KVCacheDataTypeE0ELb1EEEvPT_PKS2_PKT0_S8_ifPKiSA_iPKfiiiSC_SC_iiiii: ; @_ZN4vllm25paged_attention_v1_kernelIttLi112ELi8ELi128ELNS_18Fp8KVCacheDataTypeE0ELb1EEEvPT_PKS2_PKT0_S8_ifPKiSA_iPKfiiiSC_SC_iiiii
; %bb.0:
	s_clause 0x2
	s_load_dword s9, s[4:5], 0x80
	s_load_dwordx2 s[0:1], s[4:5], 0x30
	s_load_dwordx2 s[28:29], s[4:5], 0x20
	s_mov_b32 s10, s7
	s_ashr_i32 s11, s7, 31
	s_mov_b32 s33, 0
	s_lshl_b64 s[2:3], s[10:11], 2
	s_waitcnt lgkmcnt(0)
	s_add_u32 s0, s0, s2
	s_addc_u32 s1, s1, s3
	s_abs_i32 s2, s28
	s_abs_i32 s11, s9
	v_cvt_f32_u32_e32 v1, s2
	s_sub_i32 s7, 0, s2
	v_rcp_iflag_f32_e32 v1, v1
	v_mul_f32_e32 v1, 0x4f7ffffe, v1
	v_cvt_u32_f32_e32 v1, v1
	v_readfirstlane_b32 s3, v1
	s_mul_i32 s7, s7, s3
	s_mul_hi_u32 s7, s3, s7
	s_add_i32 s3, s3, s7
	s_xor_b32 s7, s9, s28
	s_mul_hi_u32 s3, s11, s3
	s_ashr_i32 s7, s7, 31
	s_mul_i32 s12, s3, s2
	s_sub_i32 s11, s11, s12
	s_add_i32 s12, s3, 1
	s_sub_i32 s13, s11, s2
	s_cmp_ge_u32 s11, s2
	s_cselect_b32 s3, s12, s3
	s_cselect_b32 s11, s13, s11
	s_add_i32 s12, s3, 1
	s_cmp_ge_u32 s11, s2
	s_cselect_b32 s2, s12, s3
	s_abs_i32 s22, s6
	s_xor_b32 s2, s2, s7
	s_sub_i32 s16, s2, s7
	s_load_dwordx2 s[2:3], s[4:5], 0x40
	s_abs_i32 s11, s16
	v_cvt_f32_u32_e32 v1, s11
	s_sub_i32 s12, 0, s11
	v_rcp_iflag_f32_e32 v1, v1
	v_mul_f32_e32 v1, 0x4f7ffffe, v1
	v_cvt_u32_f32_e32 v1, v1
	v_readfirstlane_b32 s7, v1
	s_mul_i32 s12, s12, s7
	s_mul_hi_u32 s12, s7, s12
	s_add_i32 s7, s7, s12
	s_waitcnt lgkmcnt(0)
	s_cmp_eq_u64 s[2:3], 0
	s_mul_hi_u32 s23, s22, s7
	s_cbranch_scc1 .LBB58_2
; %bb.1:
	s_ashr_i32 s7, s6, 31
	s_lshl_b64 s[12:13], s[6:7], 2
	s_add_u32 s2, s2, s12
	s_addc_u32 s3, s3, s13
	s_load_dword s33, s[2:3], 0x0
.LBB58_2:
	s_load_dword s30, s[0:1], 0x0
	s_load_dwordx4 s[12:15], s[4:5], 0x48
	v_and_b32_e32 v1, 3, v0
	v_lshlrev_b32_e32 v2, 2, v0
	s_ashr_i32 s0, s6, 31
	s_ashr_i32 s1, s16, 31
	s_mul_i32 s20, s6, 0x70
	s_mov_b32 s2, exec_lo
	v_cmpx_gt_u32_e32 56, v0
	s_cbranch_execz .LBB58_4
; %bb.3:
	s_load_dwordx2 s[16:17], s[4:5], 0x8
	s_waitcnt lgkmcnt(0)
	s_mul_i32 s18, s12, s10
	v_and_b32_e32 v4, 0x3fc, v0
	s_ashr_i32 s19, s18, 31
	s_lshl_b64 s[18:19], s[18:19], 1
	v_mad_u32_u24 v4, v1, 56, v4
	s_add_u32 s3, s16, s18
	s_addc_u32 s7, s17, s19
	s_ashr_i32 s21, s20, 31
	s_lshl_b64 s[16:17], s[20:21], 1
	s_add_u32 s16, s3, s16
	s_addc_u32 s17, s7, s17
	global_load_dword v3, v2, s[16:17]
	s_waitcnt vmcnt(0)
	ds_write_b32 v4, v3
.LBB58_4:
	s_or_b32 exec_lo, exec_lo, s2
	s_load_dwordx4 s[16:19], s[4:5], 0x68
	s_mul_i32 s2, s23, s11
	s_xor_b32 s1, s0, s1
	s_sub_i32 s0, s22, s2
	s_add_i32 s2, s23, 1
	s_sub_i32 s3, s0, s11
	s_cmp_ge_u32 s0, s11
	s_waitcnt lgkmcnt(0)
	s_cselect_b32 s2, s2, s23
	s_cselect_b32 s0, s3, s0
	s_add_i32 s3, s2, 1
	s_cmp_ge_u32 s0, s11
	s_load_dword s0, s[4:5], 0x78
	s_cselect_b32 s2, s3, s2
	s_add_i32 s7, s30, -1
	s_xor_b32 s2, s2, s1
	s_abs_i32 s3, s7
	s_sub_i32 s1, s2, s1
	s_mov_b32 s11, -1
	s_barrier
	s_abs_i32 s12, s19
	s_waitcnt lgkmcnt(0)
	buffer_gl0_inv
	v_cvt_f32_u32_e32 v3, s12
	s_sub_i32 s2, 0, s12
                                        ; implicit-def: $sgpr31
	v_rcp_iflag_f32_e32 v3, v3
	v_mul_f32_e32 v3, 0x4f7ffffe, v3
	v_cvt_u32_f32_e32 v3, v3
	v_readfirstlane_b32 s21, v3
	s_mul_i32 s2, s2, s21
	s_mul_hi_u32 s2, s21, s2
	s_add_i32 s21, s21, s2
	s_cmp_lt_i32 s0, 0
	s_mul_hi_u32 s2, s3, s21
	s_cbranch_scc0 .LBB58_6
; %bb.5:
	s_mul_i32 s11, s16, s28
	s_add_i32 s11, s1, s11
	s_mul_i32 s11, s11, s0
	s_sub_i32 s31, 1, s11
	s_mov_b32 s11, 0
.LBB58_6:
	s_load_dwordx2 s[22:23], s[4:5], 0x28
	s_ashr_i32 s7, s7, 31
	s_andn2_b32 vcc_lo, exec_lo, s11
	s_ashr_i32 s19, s19, 31
	s_cbranch_vccnz .LBB58_8
; %bb.7:
	s_mul_i32 s11, s9, s16
	s_add_i32 s6, s11, s6
	s_mul_i32 s0, s6, s0
	s_add_i32 s31, s0, 1
.LBB58_8:
	s_load_dword s0, s[4:5], 0x38
	s_mul_i32 s6, s2, s12
	s_xor_b32 s15, s7, s19
	s_sub_i32 s3, s3, s6
	s_add_i32 s16, s2, 1
	s_clause 0x2
	s_load_dwordx2 s[6:7], s[4:5], 0x0
	s_load_dwordx2 s[26:27], s[4:5], 0x18
	s_load_dword s11, s[4:5], 0x88
	v_lshrrev_b32_e32 v9, 5, v0
	v_mov_b32_e32 v5, 0xff7fffff
	v_lshrrev_b32_e32 v3, 3, v0
	v_mbcnt_lo_u32_b32 v4, -1, 0
	s_mul_i32 s14, s1, s14
	v_lshlrev_b32_e32 v10, 3, v9
	s_waitcnt lgkmcnt(0)
	s_mul_i32 s24, s0, s10
	s_sub_i32 s0, s3, s12
	s_ashr_i32 s25, s24, 31
	s_cmp_ge_u32 s3, s12
	s_cselect_b32 s2, s16, s2
	s_cselect_b32 s0, s0, s3
	s_add_i32 s3, s2, 1
	s_cmp_ge_u32 s0, s12
	s_cselect_b32 s0, s3, s2
	s_add_i32 s2, s30, 7
	s_ashr_i32 s3, s2, 31
	s_lshr_b32 s3, s3, 29
	s_add_i32 s2, s2, s3
	s_ashr_i32 s16, s2, 3
	s_xor_b32 s2, s0, s15
	v_cmp_gt_i32_e64 s0, s16, v9
	s_sub_i32 s28, s2, s15
	s_and_saveexec_b32 s34, s0
	s_cbranch_execz .LBB58_20
; %bb.9:
	s_load_dwordx2 s[2:3], s[4:5], 0x10
	s_ashr_i32 s15, s14, 31
	s_sub_i32 s4, s28, s17
	s_lshl_b64 s[36:37], s[14:15], 1
	v_bfe_u32 v6, v0, 2, 3
	v_and_b32_e32 v16, 12, v2
	v_cmp_eq_u32_e32 vcc_lo, 0, v1
	v_mul_u32_u24_e32 v7, 56, v1
	v_and_b32_e32 v1, 0x7c, v3
	v_lshlrev_b32_e32 v2, 2, v6
	v_subrev_nc_u32_e32 v15, s30, v6
	v_lshlrev_b32_e32 v17, 4, v6
	v_cmp_neq_f32_e64 s1, s33, 0
	v_lshlrev_b32_e32 v8, 3, v9
	v_lshl_or_b32 v2, v9, 5, v2
	v_mov_b32_e32 v11, 0xff7fffff
	v_xor_b32_e32 v12, 2, v4
	v_xor_b32_e32 v13, 1, v4
	s_waitcnt lgkmcnt(0)
	s_add_u32 s15, s2, s36
	s_addc_u32 s35, s3, s37
	s_abs_i32 s5, s18
	v_add_co_u32 v17, s15, s15, v17
	v_cvt_f32_u32_e32 v5, s5
	s_sub_i32 s2, 0, s5
	v_add_co_ci_u32_e64 v19, null, s35, 0, s15
	s_mov_b32 s15, 0
	v_rcp_iflag_f32_e32 v5, v5
	s_mov_b32 s35, s13
	v_mul_f32_e32 v14, 0x4f7ffffe, v5
	v_mov_b32_e32 v5, 0xff7fffff
	v_cvt_u32_f32_e32 v18, v14
	v_add_nc_u32_e32 v14, 1, v15
	v_add_nc_u32_e32 v15, 0x100, v2
	v_mul_lo_u32 v2, s2, v18
	s_lshl_b64 s[2:3], s[24:25], 2
	s_add_u32 s2, s22, s2
	s_addc_u32 s3, s23, s3
	v_add_co_u32 v1, s2, s2, v1
	v_mul_hi_u32 v20, v18, v2
	v_add_co_ci_u32_e64 v2, null, s3, 0, s2
	v_add_co_u32 v16, s2, v17, v16
	v_add_co_ci_u32_e64 v17, null, 0, v19, s2
	v_mov_b32_e32 v19, v9
	v_add_nc_u32_e32 v18, v18, v20
	s_branch .LBB58_12
.LBB58_10:                              ;   in Loop: Header=BB58_12 Depth=1
	s_or_b32 exec_lo, exec_lo, s36
.LBB58_11:                              ;   in Loop: Header=BB58_12 Depth=1
	s_or_b32 exec_lo, exec_lo, s3
	v_add_nc_u32_e32 v19, 4, v19
	v_add_co_u32 v1, s3, v1, 16
	v_add_co_ci_u32_e64 v2, null, 0, v2, s3
	v_cmp_le_i32_e64 s2, s16, v19
	v_add_nc_u32_e32 v8, 32, v8
	v_add_nc_u32_e32 v15, 0x80, v15
	s_or_b32 s15, s2, s15
	s_andn2_b32 exec_lo, exec_lo, s15
	s_cbranch_execz .LBB58_19
.LBB58_12:                              ; =>This Inner Loop Header: Depth=1
	v_mul_hi_u32 v20, v8, s21
	s_waitcnt lgkmcnt(0)
	v_mul_lo_u32 v21, v20, s12
	v_add_nc_u32_e32 v22, 1, v20
	v_sub_nc_u32_e32 v21, v8, v21
	v_subrev_nc_u32_e32 v23, s12, v21
	v_cmp_le_u32_e64 s2, s12, v21
	v_cndmask_b32_e64 v20, v20, v22, s2
	v_cndmask_b32_e64 v21, v21, v23, s2
	v_add_nc_u32_e32 v22, 1, v20
	v_cmp_le_u32_e64 s2, s12, v21
	v_cndmask_b32_e64 v20, v20, v22, s2
	v_xor_b32_e32 v20, s19, v20
	v_subrev_nc_u32_e32 v20, s19, v20
	v_add_nc_u32_e32 v21, s31, v20
	v_cmp_ge_i32_e64 s3, s4, v20
	v_sub_nc_u32_e32 v22, 0, v21
	v_max_i32_e32 v22, v21, v22
	v_ashrrev_i32_e32 v21, 31, v21
	v_mul_hi_u32 v23, v22, v18
	v_mul_lo_u32 v23, v23, s5
	v_sub_nc_u32_e32 v22, v22, v23
	v_subrev_nc_u32_e32 v23, s5, v22
	v_cmp_le_u32_e64 s2, s5, v22
	v_cndmask_b32_e64 v22, v22, v23, s2
	v_subrev_nc_u32_e32 v23, s5, v22
	v_cmp_le_u32_e64 s2, s5, v22
	v_cndmask_b32_e64 v22, v22, v23, s2
	v_xor_b32_e32 v22, v22, v21
	v_sub_nc_u32_e32 v21, v22, v21
	v_cmp_ne_u32_e64 s2, 0, v21
	s_and_b32 s2, s2, s3
	s_and_saveexec_b32 s3, s2
	s_xor_b32 s2, exec_lo, s3
	s_cbranch_execz .LBB58_16
; %bb.13:                               ;   in Loop: Header=BB58_12 Depth=1
	s_and_saveexec_b32 s3, vcc_lo
; %bb.14:                               ;   in Loop: Header=BB58_12 Depth=1
	ds_write_b32 v15, v11
; %bb.15:                               ;   in Loop: Header=BB58_12 Depth=1
	s_or_b32 exec_lo, exec_lo, s3
.LBB58_16:                              ;   in Loop: Header=BB58_12 Depth=1
	s_andn2_saveexec_b32 s3, s2
	s_cbranch_execz .LBB58_11
; %bb.17:                               ;   in Loop: Header=BB58_12 Depth=1
	global_load_dword v20, v[1:2], off
	s_waitcnt vmcnt(0)
	v_mad_i64_i32 v[20:21], null, v20, s35, 0
	v_lshlrev_b64 v[20:21], 1, v[20:21]
	v_add_co_u32 v22, s2, v16, v20
	v_add_co_ci_u32_e64 v23, null, v17, v21, s2
	v_cmp_gt_i32_e64 s2, 32, v12
	s_clause 0xb
	global_load_dword v20, v[22:23], off
	global_load_dword v24, v[22:23], off offset:128
	global_load_dword v25, v[22:23], off offset:256
	;; [unrolled: 1-line block ×11, first 2 shown]
	ds_read_b32 v21, v7
	s_waitcnt lgkmcnt(0)
	v_lshrrev_b32_e32 v35, 16, v21
	v_and_b32_e32 v36, 0xffff, v21
	s_waitcnt vmcnt(11)
	v_lshrrev_b32_e32 v37, 16, v20
	v_and_b32_e32 v38, 0xffff, v20
	s_clause 0x1
	global_load_dword v21, v[22:23], off offset:1536
	global_load_dword v20, v[22:23], off offset:1664
	;;#ASMSTART
	v_cvt_f32_f16 v22, v36;
	;;#ASMEND
	;;#ASMSTART
	v_cvt_f32_f16 v23, v35;
	;;#ASMEND
	;; [unrolled: 3-line block ×4, first 2 shown]
	ds_read_b32 v37, v7 offset:4
	s_waitcnt vmcnt(12)
	v_and_b32_e32 v39, 0xffff, v24
	v_lshrrev_b32_e32 v40, 16, v24
	s_waitcnt vmcnt(11)
	v_and_b32_e32 v42, 0xffff, v25
	v_lshrrev_b32_e32 v43, 16, v25
	;; [unrolled: 3-line block ×9, first 2 shown]
	s_waitcnt vmcnt(3)
	v_and_b32_e32 v66, 0xffff, v33
	s_waitcnt lgkmcnt(0)
	v_and_b32_e32 v38, 0xffff, v37
	v_lshrrev_b32_e32 v37, 16, v37
	;;#ASMSTART
	v_cvt_f32_f16 v24, v38;
	;;#ASMEND
	;;#ASMSTART
	v_cvt_f32_f16 v37, v37;
	;;#ASMEND
	;; [unrolled: 3-line block ×4, first 2 shown]
	ds_read_b32 v40, v7 offset:8
	v_mul_f32_e32 v24, v24, v38
	v_mul_f32_e32 v37, v37, v39
	v_lshrrev_b32_e32 v67, 16, v33
	s_waitcnt vmcnt(2)
	v_lshrrev_b32_e32 v38, 16, v34
	v_and_b32_e32 v34, 0xffff, v34
	v_fmac_f32_e32 v24, v22, v35
	v_fmac_f32_e32 v37, v23, v36
	s_waitcnt lgkmcnt(0)
	v_and_b32_e32 v41, 0xffff, v40
	v_lshrrev_b32_e32 v40, 16, v40
	;;#ASMSTART
	v_cvt_f32_f16 v25, v41;
	;;#ASMEND
	;;#ASMSTART
	v_cvt_f32_f16 v40, v40;
	;;#ASMEND
	;;#ASMSTART
	v_cvt_f32_f16 v41, v42;
	;;#ASMEND
	;;#ASMSTART
	v_cvt_f32_f16 v42, v43;
	;;#ASMEND
	ds_read_b32 v43, v7 offset:12
	v_fmac_f32_e32 v24, v25, v41
	v_fmac_f32_e32 v37, v40, v42
	s_waitcnt lgkmcnt(0)
	v_and_b32_e32 v44, 0xffff, v43
	v_lshrrev_b32_e32 v43, 16, v43
	;;#ASMSTART
	v_cvt_f32_f16 v26, v44;
	;;#ASMEND
	;;#ASMSTART
	v_cvt_f32_f16 v43, v43;
	;;#ASMEND
	;;#ASMSTART
	v_cvt_f32_f16 v44, v45;
	;;#ASMEND
	;;#ASMSTART
	v_cvt_f32_f16 v45, v46;
	;;#ASMEND
	ds_read_b32 v46, v7 offset:16
	v_fmac_f32_e32 v24, v26, v44
	v_fmac_f32_e32 v37, v43, v45
	s_waitcnt lgkmcnt(0)
	v_and_b32_e32 v47, 0xffff, v46
	v_lshrrev_b32_e32 v46, 16, v46
	;;#ASMSTART
	v_cvt_f32_f16 v27, v47;
	;;#ASMEND
	;;#ASMSTART
	v_cvt_f32_f16 v46, v46;
	;;#ASMEND
	;;#ASMSTART
	v_cvt_f32_f16 v47, v48;
	;;#ASMEND
	;;#ASMSTART
	v_cvt_f32_f16 v48, v49;
	;;#ASMEND
	ds_read_b32 v49, v7 offset:20
	v_fmac_f32_e32 v24, v27, v47
	v_fmac_f32_e32 v37, v46, v48
	s_waitcnt lgkmcnt(0)
	v_and_b32_e32 v50, 0xffff, v49
	v_lshrrev_b32_e32 v49, 16, v49
	;;#ASMSTART
	v_cvt_f32_f16 v28, v50;
	;;#ASMEND
	;;#ASMSTART
	v_cvt_f32_f16 v49, v49;
	;;#ASMEND
	;;#ASMSTART
	v_cvt_f32_f16 v50, v51;
	;;#ASMEND
	;;#ASMSTART
	v_cvt_f32_f16 v51, v52;
	;;#ASMEND
	ds_read_b32 v52, v7 offset:24
	v_fmac_f32_e32 v24, v28, v50
	v_fmac_f32_e32 v37, v49, v51
	s_waitcnt lgkmcnt(0)
	v_and_b32_e32 v53, 0xffff, v52
	v_lshrrev_b32_e32 v52, 16, v52
	;;#ASMSTART
	v_cvt_f32_f16 v29, v53;
	;;#ASMEND
	;;#ASMSTART
	v_cvt_f32_f16 v52, v52;
	;;#ASMEND
	;;#ASMSTART
	v_cvt_f32_f16 v53, v54;
	;;#ASMEND
	;;#ASMSTART
	v_cvt_f32_f16 v54, v55;
	;;#ASMEND
	ds_read_b32 v55, v7 offset:28
	v_fmac_f32_e32 v24, v29, v53
	v_fmac_f32_e32 v37, v52, v54
	s_waitcnt lgkmcnt(0)
	v_and_b32_e32 v56, 0xffff, v55
	v_lshrrev_b32_e32 v55, 16, v55
	;;#ASMSTART
	v_cvt_f32_f16 v30, v56;
	;;#ASMEND
	;;#ASMSTART
	v_cvt_f32_f16 v55, v55;
	;;#ASMEND
	;;#ASMSTART
	v_cvt_f32_f16 v56, v57;
	;;#ASMEND
	;;#ASMSTART
	v_cvt_f32_f16 v57, v58;
	;;#ASMEND
	ds_read_b32 v58, v7 offset:32
	v_fmac_f32_e32 v24, v30, v56
	v_fmac_f32_e32 v37, v55, v57
	v_cndmask_b32_e64 v30, v4, v12, s2
	v_cmp_gt_i32_e64 s2, 32, v13
	s_waitcnt lgkmcnt(0)
	v_and_b32_e32 v59, 0xffff, v58
	v_lshrrev_b32_e32 v58, 16, v58
	;;#ASMSTART
	v_cvt_f32_f16 v31, v59;
	;;#ASMEND
	;;#ASMSTART
	v_cvt_f32_f16 v58, v58;
	;;#ASMEND
	;;#ASMSTART
	v_cvt_f32_f16 v59, v60;
	;;#ASMEND
	;;#ASMSTART
	v_cvt_f32_f16 v60, v61;
	;;#ASMEND
	ds_read_b32 v61, v7 offset:36
	v_fmac_f32_e32 v24, v31, v59
	v_fmac_f32_e32 v37, v58, v60
	s_waitcnt lgkmcnt(0)
	v_and_b32_e32 v62, 0xffff, v61
	v_lshrrev_b32_e32 v61, 16, v61
	;;#ASMSTART
	v_cvt_f32_f16 v32, v62;
	;;#ASMEND
	;;#ASMSTART
	v_cvt_f32_f16 v61, v61;
	;;#ASMEND
	;;#ASMSTART
	v_cvt_f32_f16 v62, v63;
	;;#ASMEND
	;;#ASMSTART
	v_cvt_f32_f16 v63, v64;
	;;#ASMEND
	ds_read_b32 v64, v7 offset:40
	v_fmac_f32_e32 v24, v32, v62
	v_fmac_f32_e32 v37, v61, v63
	;; [unrolled: 18-line block ×4, first 2 shown]
	s_waitcnt lgkmcnt(0)
	v_and_b32_e32 v26, 0xffff, v35
	v_lshrrev_b32_e32 v27, 16, v35
	s_waitcnt vmcnt(1)
	v_lshrrev_b32_e32 v28, 16, v21
	v_and_b32_e32 v29, 0xffff, v21
	;;#ASMSTART
	v_cvt_f32_f16 v21, v26;
	;;#ASMEND
	;;#ASMSTART
	v_cvt_f32_f16 v26, v27;
	;;#ASMEND
	;; [unrolled: 3-line block ×4, first 2 shown]
	ds_read_b32 v29, v7 offset:52
	v_fmac_f32_e32 v24, v21, v27
	v_fmac_f32_e32 v37, v26, v28
	s_waitcnt vmcnt(0)
	v_lshrrev_b32_e32 v31, 16, v20
	v_and_b32_e32 v25, 0xffff, v20
	s_waitcnt lgkmcnt(0)
	v_and_b32_e32 v22, 0xffff, v29
	v_lshrrev_b32_e32 v23, 16, v29
	;;#ASMSTART
	v_cvt_f32_f16 v20, v22;
	;;#ASMEND
	;;#ASMSTART
	v_cvt_f32_f16 v21, v23;
	;;#ASMEND
	;; [unrolled: 3-line block ×4, first 2 shown]
	v_fmac_f32_e32 v24, v20, v22
	v_fmac_f32_e32 v37, v21, v23
	v_lshlrev_b32_e32 v20, 2, v30
	v_cndmask_b32_e64 v22, v4, v13, s2
	v_add_f32_e32 v21, v24, v37
	ds_bpermute_b32 v20, v20, v21
	s_waitcnt lgkmcnt(0)
	v_add_f32_e32 v20, v21, v20
	v_lshlrev_b32_e32 v21, 2, v22
	ds_bpermute_b32 v21, v21, v20
	s_and_saveexec_b32 s36, vcc_lo
	s_cbranch_execz .LBB58_10
; %bb.18:                               ;   in Loop: Header=BB58_12 Depth=1
	v_add_nc_u32_e32 v22, v14, v8
	s_waitcnt lgkmcnt(0)
	v_add_f32_e32 v20, v20, v21
	v_cvt_f32_i32_e32 v22, v22
	v_mul_f32_e32 v22, s33, v22
	v_cndmask_b32_e64 v21, 0, v22, s1
	v_max_f32_e32 v22, v5, v5
	v_fmac_f32_e32 v21, s29, v20
	v_add_nc_u32_e32 v20, v6, v8
	v_max_f32_e32 v22, v22, v21
	v_cmp_gt_i32_e64 s2, s30, v20
	v_cndmask_b32_e64 v20, 0, v21, s2
	v_cndmask_b32_e64 v5, v5, v22, s2
	ds_write_b32 v15, v20
	s_branch .LBB58_10
.LBB58_19:
	s_or_b32 exec_lo, exec_lo, s15
.LBB58_20:
	s_or_b32 exec_lo, exec_lo, s34
	v_xor_b32_e32 v1, 16, v4
	v_xor_b32_e32 v6, 8, v4
	v_and_b32_e32 v11, 31, v0
	v_cmp_gt_i32_e32 vcc_lo, 32, v1
	v_cndmask_b32_e32 v1, v4, v1, vcc_lo
	v_cmp_gt_i32_e32 vcc_lo, 32, v6
	v_lshlrev_b32_e32 v1, 2, v1
	v_cndmask_b32_e32 v6, v4, v6, vcc_lo
	ds_bpermute_b32 v2, v1, v5
	v_max_f32_e32 v5, v5, v5
	s_waitcnt lgkmcnt(0)
	v_max_f32_e32 v7, v2, v2
	v_lshlrev_b32_e32 v2, 2, v6
	v_max_f32_e32 v5, v5, v7
	v_xor_b32_e32 v7, 4, v4
	ds_bpermute_b32 v6, v2, v5
	v_cmp_gt_i32_e32 vcc_lo, 32, v7
	v_cndmask_b32_e32 v7, v4, v7, vcc_lo
	v_cmp_eq_u32_e32 vcc_lo, 0, v11
	v_lshlrev_b32_e32 v7, 2, v7
	s_waitcnt lgkmcnt(0)
	v_max_f32_e32 v6, v6, v6
	v_max_f32_e32 v6, v5, v6
	v_lshlrev_b32_e32 v5, 2, v9
	ds_bpermute_b32 v8, v7, v6
	s_and_saveexec_b32 s1, vcc_lo
	s_cbranch_execz .LBB58_22
; %bb.21:
	s_waitcnt lgkmcnt(0)
	v_max_f32_e32 v8, v8, v8
	v_max_f32_e32 v6, v6, v6
	;; [unrolled: 1-line block ×3, first 2 shown]
	ds_write_b32 v5, v6 offset:224
.LBB58_22:
	s_or_b32 exec_lo, exec_lo, s1
	v_cmp_gt_u32_e64 s1, 4, v11
	v_mov_b32_e32 v12, 0xff7fffff
	v_lshlrev_b32_e32 v6, 2, v11
	s_waitcnt lgkmcnt(0)
	s_barrier
	buffer_gl0_inv
	s_and_saveexec_b32 s2, s1
; %bb.23:
	ds_read_b32 v12, v6 offset:224
; %bb.24:
	s_or_b32 exec_lo, exec_lo, s2
	v_xor_b32_e32 v8, 2, v4
	v_xor_b32_e32 v14, 1, v4
	v_cmp_gt_i32_e64 s2, 32, v8
	v_cndmask_b32_e64 v8, v4, v8, s2
	v_cmp_gt_i32_e64 s2, 32, v14
	v_lshlrev_b32_e32 v8, 2, v8
	v_cndmask_b32_e64 v4, v4, v14, s2
	s_lshl_b32 s2, s16, 3
	s_min_i32 s4, s2, s30
	s_waitcnt lgkmcnt(0)
	ds_bpermute_b32 v13, v8, v12
	v_max_f32_e32 v12, v12, v12
	v_lshlrev_b32_e32 v4, 2, v4
	v_cmp_gt_i32_e64 s2, s4, v0
	s_waitcnt lgkmcnt(0)
	v_max_f32_e32 v13, v13, v13
	v_max_f32_e32 v12, v12, v13
	ds_bpermute_b32 v13, v4, v12
	s_waitcnt lgkmcnt(0)
	v_max_f32_e32 v13, v13, v13
	v_max_f32_e32 v12, v12, v13
	v_mov_b32_e32 v13, 0
	ds_bpermute_b32 v14, v13, v12
	v_lshl_add_u32 v12, v0, 2, 0x100
	s_and_saveexec_b32 s5, s2
	s_cbranch_execz .LBB58_28
; %bb.25:
	v_lshl_add_u32 v15, v0, 2, 0x100
	v_mov_b32_e32 v13, 0
	v_mov_b32_e32 v16, v0
	s_mov_b32 s15, 0
	.p2align	6
.LBB58_26:                              ; =>This Inner Loop Header: Depth=1
	ds_read_b32 v17, v15
	v_add_nc_u32_e32 v16, 0x80, v16
	v_cmp_le_i32_e64 s3, s4, v16
	s_or_b32 s15, s3, s15
	s_waitcnt lgkmcnt(0)
	v_sub_f32_e32 v17, v17, v14
	v_mul_f32_e32 v17, 0x3fb8aa3b, v17
	v_exp_f32_e32 v17, v17
	ds_write_b32 v15, v17
	v_add_f32_e32 v13, v13, v17
	v_add_nc_u32_e32 v15, 0x200, v15
	s_andn2_b32 exec_lo, exec_lo, s15
	s_cbranch_execnz .LBB58_26
; %bb.27:
	s_or_b32 exec_lo, exec_lo, s15
.LBB58_28:
	s_or_b32 exec_lo, exec_lo, s5
	ds_bpermute_b32 v1, v1, v13
	s_waitcnt lgkmcnt(0)
	v_add_f32_e32 v1, v13, v1
	ds_bpermute_b32 v2, v2, v1
	s_waitcnt lgkmcnt(0)
	v_add_f32_e32 v1, v1, v2
	ds_bpermute_b32 v2, v7, v1
	s_waitcnt lgkmcnt(0)
	v_add_f32_e32 v1, v1, v2
	ds_bpermute_b32 v2, v8, v1
	s_waitcnt lgkmcnt(0)
	v_add_f32_e32 v1, v1, v2
	ds_bpermute_b32 v2, v4, v1
	s_waitcnt lgkmcnt(0)
	v_add_f32_e32 v1, v1, v2
	s_and_saveexec_b32 s3, vcc_lo
; %bb.29:
	ds_write_b32 v5, v1 offset:240
; %bb.30:
	s_or_b32 exec_lo, exec_lo, s3
	s_waitcnt lgkmcnt(0)
	s_barrier
	buffer_gl0_inv
	s_and_saveexec_b32 s3, s1
; %bb.31:
	ds_read_b32 v1, v6 offset:240
; %bb.32:
	s_or_b32 exec_lo, exec_lo, s3
	s_waitcnt lgkmcnt(0)
	ds_bpermute_b32 v2, v8, v1
	s_waitcnt lgkmcnt(0)
	v_add_f32_e32 v1, v1, v2
	ds_bpermute_b32 v2, v4, v1
	s_waitcnt lgkmcnt(0)
	v_add_f32_e32 v1, v1, v2
	v_mov_b32_e32 v2, 0
	ds_bpermute_b32 v1, v2, v1
	s_and_saveexec_b32 s1, s2
	s_cbranch_execz .LBB58_35
; %bb.33:
	s_waitcnt lgkmcnt(0)
	v_add_f32_e32 v2, 0x358637bd, v1
	s_mov_b32 s2, 0
	v_div_scale_f32 v1, null, v2, v2, 1.0
	v_div_scale_f32 v6, vcc_lo, 1.0, v2, 1.0
	v_rcp_f32_e32 v4, v1
	v_fma_f32 v5, -v1, v4, 1.0
	v_fmac_f32_e32 v4, v5, v4
	v_mul_f32_e32 v5, v6, v4
	v_fma_f32 v7, -v1, v5, v6
	v_fmac_f32_e32 v5, v7, v4
	v_fma_f32 v1, -v1, v5, v6
	v_div_fmas_f32 v4, v1, v4, v5
	v_mov_b32_e32 v1, v12
	v_div_fixup_f32 v2, v4, v2, 1.0
	v_mov_b32_e32 v4, v0
.LBB58_34:                              ; =>This Inner Loop Header: Depth=1
	ds_read_b32 v5, v1
	v_add_nc_u32_e32 v4, 0x80, v4
	v_cmp_le_i32_e32 vcc_lo, s4, v4
	s_or_b32 s2, vcc_lo, s2
	s_waitcnt lgkmcnt(0)
	v_mul_f32_e32 v5, v2, v5
	ds_write_b32 v1, v5
	v_add_nc_u32_e32 v1, 0x200, v1
	s_andn2_b32 exec_lo, exec_lo, s2
	s_cbranch_execnz .LBB58_34
.LBB58_35:
	s_or_b32 exec_lo, exec_lo, s1
	v_mov_b32_e32 v16, 0
	v_mov_b32_e32 v15, 0
	;; [unrolled: 1-line block ×4, first 2 shown]
	s_waitcnt lgkmcnt(0)
	s_barrier
	buffer_gl0_inv
	s_and_saveexec_b32 s2, s0
	s_cbranch_execz .LBB58_51
; %bb.36:
	s_ashr_i32 s15, s14, 31
	s_sub_i32 s3, s28, s17
	s_lshl_b64 s[0:1], s[14:15], 1
	v_lshlrev_b32_e32 v2, 3, v11
	s_add_u32 s4, s26, s0
	s_addc_u32 s5, s27, s1
	s_abs_i32 s14, s18
	v_or_b32_e32 v4, 0x60, v11
	v_cvt_f32_u32_e32 v1, s14
	s_sub_i32 s0, 0, s14
	v_lshlrev_b32_e32 v19, 1, v2
	v_and_b32_e32 v3, 0x7c, v3
	s_lshl_b64 s[24:25], s[24:25], 2
	v_rcp_iflag_f32_e32 v1, v1
	s_add_i32 s15, s16, -1
	s_add_u32 s1, s22, s24
	s_addc_u32 s17, s23, s25
	v_mov_b32_e32 v17, 0
	v_lshl_add_u32 v18, v9, 5, 0x100
	v_mov_b32_e32 v13, 0
	v_mov_b32_e32 v14, 0
	;; [unrolled: 1-line block ×4, first 2 shown]
	v_mul_f32_e32 v1, 0x4f7ffffe, v1
	v_mov_b32_e32 v22, v9
	v_cvt_u32_f32_e32 v1, v1
	v_mul_lo_u32 v5, s0, v1
	v_cmp_gt_u32_e64 s0, 0x70, v4
	v_lshlrev_b32_e32 v4, 3, v4
	v_lshlrev_b32_e32 v20, 1, v4
	v_mul_hi_u32 v2, v1, v5
	v_add_co_u32 v5, s1, s1, v3
	v_add_co_ci_u32_e64 v6, null, s17, 0, s1
	s_mov_b32 s17, s13
	s_mov_b32 s13, 0
	v_add_nc_u32_e32 v21, v1, v2
	s_branch .LBB58_40
.LBB58_37:                              ;   in Loop: Header=BB58_40 Depth=1
	s_or_b32 exec_lo, exec_lo, s23
	v_lshlrev_b32_e32 v33, 16, v33
	v_lshlrev_b32_e32 v25, 16, v25
	v_lshlrev_b32_e32 v24, 16, v24
	v_and_or_b32 v1, 0xffff, v1, v33
	v_and_or_b32 v2, 0xffff, v2, v25
	;; [unrolled: 1-line block ×3, first 2 shown]
	;;#ASMSTART
	v_pk_mul_f16 v1, v28, v1;

	;;#ASMEND
	;;#ASMSTART
	v_pk_mul_f16 v2, v27, v2;

	;;#ASMEND
	;;#ASMSTART
	v_pk_mul_f16 v3, v29, v3;

	;;#ASMEND
	;;#ASMSTART
	v_pk_mul_f16 v4, v30, v4;

	;;#ASMEND
	;;#ASMSTART
	v_pk_add_f16 v1, v1, v2;

	;;#ASMEND
	;;#ASMSTART
	v_pk_add_f16 v1, v1, v3;

	;;#ASMEND
	;; [unrolled: 4-line block ×3, first 2 shown]
	v_and_b32_e32 v2, 0xffff, v1
	v_lshrrev_b32_e32 v3, 16, v1
	;;#ASMSTART
	v_cvt_f32_f16 v1, v2;
	;;#ASMEND
	;;#ASMSTART
	v_cvt_f32_f16 v2, v3;
	;;#ASMEND
	v_add_f32_e32 v1, v1, v2
	v_add_f32_e32 v13, v13, v1
.LBB58_38:                              ;   in Loop: Header=BB58_40 Depth=1
	s_or_b32 exec_lo, exec_lo, s22
	v_add_f32_e32 v1, v31, v32
	v_add_f32_e32 v2, v23, v26
	;; [unrolled: 1-line block ×6, first 2 shown]
.LBB58_39:                              ;   in Loop: Header=BB58_40 Depth=1
	s_or_b32 exec_lo, exec_lo, s18
	v_add_nc_u32_e32 v22, 4, v22
	v_add_co_u32 v5, s1, v5, 16
	v_add_co_ci_u32_e64 v6, null, 0, v6, s1
	v_cmp_le_i32_e32 vcc_lo, s16, v22
	v_add_nc_u32_e32 v10, 32, v10
	v_add_nc_u32_e32 v18, 0x80, v18
	s_or_b32 s13, vcc_lo, s13
	s_andn2_b32 exec_lo, exec_lo, s13
	s_cbranch_execz .LBB58_50
.LBB58_40:                              ; =>This Inner Loop Header: Depth=1
	v_mul_hi_u32 v1, v10, s21
	v_mul_lo_u32 v2, v1, s12
	v_add_nc_u32_e32 v3, 1, v1
	v_sub_nc_u32_e32 v2, v10, v2
	v_subrev_nc_u32_e32 v4, s12, v2
	v_cmp_le_u32_e32 vcc_lo, s12, v2
	v_cndmask_b32_e32 v1, v1, v3, vcc_lo
	v_cndmask_b32_e32 v2, v2, v4, vcc_lo
	v_add_nc_u32_e32 v3, 1, v1
	v_cmp_le_u32_e32 vcc_lo, s12, v2
	v_cndmask_b32_e32 v1, v1, v3, vcc_lo
	v_xor_b32_e32 v1, s19, v1
	v_subrev_nc_u32_e32 v1, s19, v1
	v_add_nc_u32_e32 v2, s31, v1
	v_cmp_lt_i32_e64 s1, s3, v1
	v_sub_nc_u32_e32 v3, 0, v2
	v_max_i32_e32 v3, v2, v3
	v_ashrrev_i32_e32 v2, 31, v2
	v_mul_hi_u32 v4, v3, v21
	v_mul_lo_u32 v4, v4, s14
	v_sub_nc_u32_e32 v3, v3, v4
	v_subrev_nc_u32_e32 v4, s14, v3
	v_cmp_le_u32_e32 vcc_lo, s14, v3
	v_cndmask_b32_e32 v3, v3, v4, vcc_lo
	v_subrev_nc_u32_e32 v4, s14, v3
	v_cmp_le_u32_e32 vcc_lo, s14, v3
	v_cndmask_b32_e32 v3, v3, v4, vcc_lo
	v_xor_b32_e32 v3, v3, v2
	v_sub_nc_u32_e32 v2, v3, v2
	v_cmp_eq_u32_e32 vcc_lo, 0, v2
	s_or_b32 s1, vcc_lo, s1
	s_and_saveexec_b32 s18, s1
	s_cbranch_execz .LBB58_39
; %bb.41:                               ;   in Loop: Header=BB58_40 Depth=1
	global_load_dword v7, v[5:6], off
	ds_read2_b64 v[1:4], v18 offset1:1
	ds_read2_b64 v[32:35], v18 offset0:2 offset1:3
	s_waitcnt lgkmcnt(1)
	;;#ASMSTART
	v_cvt_f16_f32 v28, v1;

	;;#ASMEND
	;;#ASMSTART
	v_cvt_f16_f32 v23, v2;

	;;#ASMEND
	;; [unrolled: 4-line block ×4, first 2 shown]
	s_waitcnt lgkmcnt(0)
	;;#ASMSTART
	v_cvt_f16_f32 v32, v32;

	;;#ASMEND
	;;#ASMSTART
	v_cvt_f16_f32 v29, v33;

	;;#ASMEND
	;; [unrolled: 4-line block ×4, first 2 shown]
	v_cmp_eq_u32_e64 s1, s15, v22
	s_waitcnt vmcnt(0)
	v_mad_i64_i32 v[7:8], null, v7, s17, 0
	v_lshlrev_b64 v[7:8], 1, v[7:8]
	v_add_co_u32 v24, vcc_lo, s4, v7
	v_add_co_ci_u32_e64 v25, null, s5, v8, vcc_lo
	v_add_co_u32 v7, vcc_lo, v24, v19
	v_add_co_ci_u32_e64 v8, null, 0, v25, vcc_lo
	global_load_dwordx4 v[1:4], v[7:8], off
	s_waitcnt vmcnt(0)
	v_lshrrev_b32_e32 v35, 16, v1
	v_lshrrev_b32_e32 v34, 16, v2
	;; [unrolled: 1-line block ×3, first 2 shown]
	s_and_saveexec_b32 s22, s1
	s_cbranch_execz .LBB58_43
; %bb.42:                               ;   in Loop: Header=BB58_40 Depth=1
	v_add_nc_u32_e32 v36, 1, v10
	v_cmp_gt_i32_e32 vcc_lo, s30, v10
	v_add_nc_u32_e32 v37, 2, v10
	v_add_nc_u32_e32 v38, 3, v10
	v_and_b32_e32 v39, 0xffff0000, v4
	v_cndmask_b32_e32 v1, 0, v1, vcc_lo
	v_cmp_gt_i32_e32 vcc_lo, s30, v36
	v_add_nc_u32_e32 v36, 6, v10
	v_cndmask_b32_e32 v35, 0, v35, vcc_lo
	v_cmp_gt_i32_e32 vcc_lo, s30, v37
	v_add_nc_u32_e32 v37, 5, v10
	;; [unrolled: 3-line block ×4, first 2 shown]
	v_cndmask_b32_sdwa v4, v17, v4, vcc_lo dst_sel:DWORD dst_unused:UNUSED_PAD src0_sel:DWORD src1_sel:WORD_0
	v_cmp_gt_i32_e32 vcc_lo, s30, v38
	v_cndmask_b32_e32 v38, 0, v39, vcc_lo
	v_cmp_gt_i32_e32 vcc_lo, s30, v36
	v_or_b32_e32 v4, v4, v38
	v_cndmask_b32_e32 v3, 0, v3, vcc_lo
	v_cmp_gt_i32_e32 vcc_lo, s30, v37
	v_cndmask_b32_e32 v33, 0, v33, vcc_lo
.LBB58_43:                              ;   in Loop: Header=BB58_40 Depth=1
	s_or_b32 exec_lo, exec_lo, s22
	v_and_b32_e32 v28, 0xffff, v28
	v_and_b32_e32 v31, 0xffff, v31
	v_lshlrev_b32_e32 v35, 16, v35
	v_and_b32_e32 v32, 0xffff, v32
	v_and_b32_e32 v30, 0xffff, v30
	v_lshl_or_b32 v28, v23, 16, v28
	v_lshl_or_b32 v27, v27, 16, v31
	v_lshlrev_b32_e32 v23, 16, v34
	v_lshlrev_b32_e32 v31, 16, v33
	v_and_or_b32 v1, 0xffff, v1, v35
	;;#ASMSTART
	v_pk_mul_f16 v1, v28, v1;

	;;#ASMEND
	v_lshl_or_b32 v29, v29, 16, v32
	v_and_or_b32 v2, 0xffff, v2, v23
	v_and_or_b32 v3, 0xffff, v3, v31
	v_lshl_or_b32 v30, v26, 16, v30
	;;#ASMSTART
	v_pk_mul_f16 v2, v27, v2;

	;;#ASMEND
	;;#ASMSTART
	v_pk_mul_f16 v3, v29, v3;

	;;#ASMEND
	;; [unrolled: 4-line block ×3, first 2 shown]
	;;#ASMSTART
	v_pk_add_f16 v1, v1, v2;

	;;#ASMEND
	;;#ASMSTART
	v_pk_add_f16 v1, v1, v3;

	;;#ASMEND
	;; [unrolled: 4-line block ×3, first 2 shown]
	v_and_b32_e32 v2, 0xffff, v1
	v_lshrrev_b32_e32 v1, 16, v1
	;;#ASMSTART
	v_cvt_f32_f16 v23, v2;
	;;#ASMEND
	;;#ASMSTART
	v_cvt_f32_f16 v26, v1;
	;;#ASMEND
	global_load_dwordx4 v[1:4], v[7:8], off offset:512
	s_waitcnt vmcnt(0)
	v_lshrrev_b32_e32 v33, 16, v1
	v_lshrrev_b32_e32 v32, 16, v2
	;; [unrolled: 1-line block ×3, first 2 shown]
	s_and_saveexec_b32 s22, s1
	s_cbranch_execz .LBB58_45
; %bb.44:                               ;   in Loop: Header=BB58_40 Depth=1
	v_add_nc_u32_e32 v34, 1, v10
	v_cmp_gt_i32_e32 vcc_lo, s30, v10
	v_add_nc_u32_e32 v35, 2, v10
	v_add_nc_u32_e32 v36, 3, v10
	v_and_b32_e32 v37, 0xffff0000, v4
	v_cndmask_b32_e32 v1, 0, v1, vcc_lo
	v_cmp_gt_i32_e32 vcc_lo, s30, v34
	v_add_nc_u32_e32 v34, 6, v10
	v_cndmask_b32_e32 v33, 0, v33, vcc_lo
	v_cmp_gt_i32_e32 vcc_lo, s30, v35
	v_add_nc_u32_e32 v35, 5, v10
	;; [unrolled: 3-line block ×4, first 2 shown]
	v_cndmask_b32_sdwa v4, v17, v4, vcc_lo dst_sel:DWORD dst_unused:UNUSED_PAD src0_sel:DWORD src1_sel:WORD_0
	v_cmp_gt_i32_e32 vcc_lo, s30, v36
	v_cndmask_b32_e32 v36, 0, v37, vcc_lo
	v_cmp_gt_i32_e32 vcc_lo, s30, v34
	v_or_b32_e32 v4, v4, v36
	v_cndmask_b32_e32 v3, 0, v3, vcc_lo
	v_cmp_gt_i32_e32 vcc_lo, s30, v35
	v_cndmask_b32_e32 v31, 0, v31, vcc_lo
.LBB58_45:                              ;   in Loop: Header=BB58_40 Depth=1
	s_or_b32 exec_lo, exec_lo, s22
	v_lshlrev_b32_e32 v33, 16, v33
	v_lshlrev_b32_e32 v32, 16, v32
	;; [unrolled: 1-line block ×3, first 2 shown]
	v_and_or_b32 v1, 0xffff, v1, v33
	v_and_or_b32 v2, 0xffff, v2, v32
	;; [unrolled: 1-line block ×3, first 2 shown]
	;;#ASMSTART
	v_pk_mul_f16 v1, v28, v1;

	;;#ASMEND
	;;#ASMSTART
	v_pk_mul_f16 v2, v27, v2;

	;;#ASMEND
	;; [unrolled: 4-line block ×4, first 2 shown]
	;;#ASMSTART
	v_pk_add_f16 v1, v1, v2;

	;;#ASMEND
	;;#ASMSTART
	v_pk_add_f16 v1, v1, v3;

	;;#ASMEND
	;; [unrolled: 4-line block ×3, first 2 shown]
	v_and_b32_e32 v2, 0xffff, v1
	v_lshrrev_b32_e32 v1, 16, v1
	;;#ASMSTART
	v_cvt_f32_f16 v31, v2;
	;;#ASMEND
	;;#ASMSTART
	v_cvt_f32_f16 v32, v1;
	;;#ASMEND
	global_load_dwordx4 v[1:4], v[7:8], off offset:1024
	s_waitcnt vmcnt(0)
	v_lshrrev_b32_e32 v33, 16, v1
	v_lshrrev_b32_e32 v8, 16, v2
	;; [unrolled: 1-line block ×3, first 2 shown]
	s_and_saveexec_b32 s22, s1
	s_cbranch_execz .LBB58_47
; %bb.46:                               ;   in Loop: Header=BB58_40 Depth=1
	v_add_nc_u32_e32 v34, 1, v10
	v_cmp_gt_i32_e32 vcc_lo, s30, v10
	v_add_nc_u32_e32 v35, 2, v10
	v_add_nc_u32_e32 v36, 3, v10
	v_and_b32_e32 v37, 0xffff0000, v4
	v_cndmask_b32_e32 v1, 0, v1, vcc_lo
	v_cmp_gt_i32_e32 vcc_lo, s30, v34
	v_add_nc_u32_e32 v34, 6, v10
	v_cndmask_b32_e32 v33, 0, v33, vcc_lo
	v_cmp_gt_i32_e32 vcc_lo, s30, v35
	v_add_nc_u32_e32 v35, 5, v10
	;; [unrolled: 3-line block ×4, first 2 shown]
	v_cndmask_b32_sdwa v4, v17, v4, vcc_lo dst_sel:DWORD dst_unused:UNUSED_PAD src0_sel:DWORD src1_sel:WORD_0
	v_cmp_gt_i32_e32 vcc_lo, s30, v36
	v_cndmask_b32_e32 v36, 0, v37, vcc_lo
	v_cmp_gt_i32_e32 vcc_lo, s30, v34
	v_or_b32_e32 v4, v4, v36
	v_cndmask_b32_e32 v3, 0, v3, vcc_lo
	v_cmp_gt_i32_e32 vcc_lo, s30, v35
	v_cndmask_b32_e32 v7, 0, v7, vcc_lo
.LBB58_47:                              ;   in Loop: Header=BB58_40 Depth=1
	s_or_b32 exec_lo, exec_lo, s22
	v_lshlrev_b32_e32 v33, 16, v33
	v_lshlrev_b32_e32 v8, 16, v8
	;; [unrolled: 1-line block ×3, first 2 shown]
	v_and_or_b32 v1, 0xffff, v1, v33
	v_and_or_b32 v2, 0xffff, v2, v8
	;; [unrolled: 1-line block ×3, first 2 shown]
	;;#ASMSTART
	v_pk_mul_f16 v1, v28, v1;

	;;#ASMEND
	;;#ASMSTART
	v_pk_mul_f16 v2, v27, v2;

	;;#ASMEND
	;; [unrolled: 4-line block ×4, first 2 shown]
	;;#ASMSTART
	v_pk_add_f16 v1, v1, v2;

	;;#ASMEND
	;;#ASMSTART
	v_pk_add_f16 v1, v1, v3;

	;;#ASMEND
	;; [unrolled: 4-line block ×3, first 2 shown]
	v_and_b32_e32 v2, 0xffff, v1
	v_lshrrev_b32_e32 v1, 16, v1
	;;#ASMSTART
	v_cvt_f32_f16 v7, v2;
	;;#ASMEND
	;;#ASMSTART
	v_cvt_f32_f16 v8, v1;
	;;#ASMEND
	s_and_saveexec_b32 s22, s0
	s_cbranch_execz .LBB58_38
; %bb.48:                               ;   in Loop: Header=BB58_40 Depth=1
	v_add_co_u32 v1, vcc_lo, v24, v20
	v_add_co_ci_u32_e64 v2, null, 0, v25, vcc_lo
	global_load_dwordx4 v[1:4], v[1:2], off
	s_waitcnt vmcnt(0)
	v_lshrrev_b32_e32 v33, 16, v1
	v_lshrrev_b32_e32 v25, 16, v2
	;; [unrolled: 1-line block ×3, first 2 shown]
	s_and_saveexec_b32 s23, s1
	s_cbranch_execz .LBB58_37
; %bb.49:                               ;   in Loop: Header=BB58_40 Depth=1
	v_add_nc_u32_e32 v34, 1, v10
	v_cmp_gt_i32_e32 vcc_lo, s30, v10
	v_add_nc_u32_e32 v35, 2, v10
	v_add_nc_u32_e32 v36, 3, v10
	v_and_b32_e32 v37, 0xffff0000, v4
	v_cndmask_b32_e32 v1, 0, v1, vcc_lo
	v_cmp_gt_i32_e32 vcc_lo, s30, v34
	v_add_nc_u32_e32 v34, 6, v10
	v_cndmask_b32_e32 v33, 0, v33, vcc_lo
	v_cmp_gt_i32_e32 vcc_lo, s30, v35
	v_add_nc_u32_e32 v35, 5, v10
	v_cndmask_b32_e32 v2, 0, v2, vcc_lo
	v_cmp_gt_i32_e32 vcc_lo, s30, v36
	v_add_nc_u32_e32 v36, 7, v10
	v_cndmask_b32_e32 v25, 0, v25, vcc_lo
	v_cmp_gt_i32_e32 vcc_lo, s30, v34
	v_add_nc_u32_e32 v34, 4, v10
	v_cndmask_b32_sdwa v4, v17, v4, vcc_lo dst_sel:DWORD dst_unused:UNUSED_PAD src0_sel:DWORD src1_sel:WORD_0
	v_cmp_gt_i32_e32 vcc_lo, s30, v36
	v_cndmask_b32_e32 v36, 0, v37, vcc_lo
	v_cmp_gt_i32_e32 vcc_lo, s30, v34
	v_or_b32_e32 v4, v4, v36
	v_cndmask_b32_e32 v3, 0, v3, vcc_lo
	v_cmp_gt_i32_e32 vcc_lo, s30, v35
	v_cndmask_b32_e32 v24, 0, v24, vcc_lo
	s_branch .LBB58_37
.LBB58_50:
	s_or_b32 exec_lo, exec_lo, s13
.LBB58_51:
	s_or_b32 exec_lo, exec_lo, s2
	s_movk_i32 s0, 0x1c0
	v_and_b32_e32 v1, 0x3c0, v0
	v_mad_u32_u24 v4, v9, s0, 0x100
	v_or_b32_e32 v3, 0x60, v0
	s_mov_b32 s0, exec_lo
	s_barrier
	buffer_gl0_inv
	v_cmpx_eq_u32_e32 64, v1
	s_cbranch_execz .LBB58_54
; %bb.52:
	v_add_nc_u32_e32 v1, 0xfffffc80, v4
	v_cmp_gt_u32_e32 vcc_lo, 0x70, v3
	v_lshl_add_u32 v2, v11, 2, v1
	ds_write2_b32 v2, v16, v15 offset1:32
	ds_write_b32 v2, v14 offset:256
	s_and_b32 exec_lo, exec_lo, vcc_lo
; %bb.53:
	v_lshl_add_u32 v1, v3, 2, v1
	ds_write_b32 v1, v13
.LBB58_54:
	s_or_b32 exec_lo, exec_lo, s0
	v_lshl_add_u32 v5, v11, 2, v4
	s_mov_b32 s0, exec_lo
	s_waitcnt lgkmcnt(0)
	s_barrier
	buffer_gl0_inv
	v_cmpx_gt_u32_e32 64, v0
	s_cbranch_execz .LBB58_58
; %bb.55:
	v_lshl_or_b32 v1, v0, 2, 0x80
	s_mov_b32 s1, exec_lo
	v_add_nc_u32_e32 v6, v4, v1
	ds_read2st64_b32 v[1:2], v5 offset1:1
	ds_read_b32 v6, v6
	v_cmpx_gt_u32_e32 0x70, v3
	s_cbranch_execz .LBB58_57
; %bb.56:
	v_lshl_add_u32 v7, v3, 2, v4
	ds_read_b32 v7, v7
	s_waitcnt lgkmcnt(0)
	v_add_f32_e32 v13, v13, v7
.LBB58_57:
	s_or_b32 exec_lo, exec_lo, s1
	s_waitcnt lgkmcnt(1)
	v_add_f32_e32 v16, v16, v1
	s_waitcnt lgkmcnt(0)
	v_add_f32_e32 v15, v15, v6
	v_add_f32_e32 v14, v14, v2
.LBB58_58:
	s_or_b32 exec_lo, exec_lo, s0
	v_and_b32_e32 v1, 0x3e0, v0
	s_mov_b32 s0, exec_lo
	s_barrier
	buffer_gl0_inv
	v_cmpx_eq_u32_e32 32, v1
	s_cbranch_execz .LBB58_61
; %bb.59:
	v_lshl_add_u32 v1, v11, 2, 0x100
	v_cmp_gt_u32_e32 vcc_lo, 0x70, v3
	ds_write_b32 v1, v16
	ds_write_b32 v12, v15
	ds_write_b32 v1, v14 offset:256
	s_and_b32 exec_lo, exec_lo, vcc_lo
; %bb.60:
	v_lshl_add_u32 v1, v3, 2, 0x100
	ds_write_b32 v1, v13
.LBB58_61:
	s_or_b32 exec_lo, exec_lo, s0
	v_cmp_gt_u32_e32 vcc_lo, 32, v0
	s_waitcnt lgkmcnt(0)
	s_barrier
	buffer_gl0_inv
	s_and_saveexec_b32 s1, vcc_lo
	s_cbranch_execz .LBB58_65
; %bb.62:
	v_lshl_add_u32 v6, v0, 2, v4
	s_mov_b32 s2, exec_lo
	ds_read_b32 v4, v5
	ds_read2_b32 v[1:2], v6 offset0:32 offset1:64
	v_cmpx_gt_u32_e32 0x70, v3
	s_cbranch_execz .LBB58_64
; %bb.63:
	ds_read_b32 v5, v6 offset:384
	s_waitcnt lgkmcnt(0)
	v_add_f32_e32 v13, v13, v5
.LBB58_64:
	s_or_b32 exec_lo, exec_lo, s2
	s_waitcnt lgkmcnt(1)
	v_add_f32_e32 v16, v16, v4
	s_waitcnt lgkmcnt(0)
	v_add_f32_e32 v15, v15, v1
	v_add_f32_e32 v14, v14, v2
.LBB58_65:
	s_or_b32 exec_lo, exec_lo, s1
	s_barrier
	buffer_gl0_inv
	s_and_saveexec_b32 s0, vcc_lo
	s_cbranch_execz .LBB58_68
; %bb.66:
	s_mul_i32 s0, s10, s11
	s_mul_i32 s2, s11, s20
	;; [unrolled: 1-line block ×3, first 2 shown]
	v_lshlrev_b32_e32 v0, 1, v0
	s_mulk_i32 s0, 0x70
	v_cmp_gt_u32_e32 vcc_lo, 0x70, v3
	s_ashr_i32 s1, s0, 31
	;;#ASMSTART
	v_cvt_f16_f32 v1, v16;

	;;#ASMEND
	s_lshl_b64 s[0:1], s[0:1], 1
	s_add_u32 s4, s6, s0
	s_addc_u32 s5, s7, s1
	s_ashr_i32 s3, s2, 31
	s_lshl_b64 s[0:1], s[2:3], 1
	s_mul_i32 s2, s8, 0x70
	s_add_u32 s4, s4, s0
	s_addc_u32 s5, s5, s1
	s_ashr_i32 s3, s2, 31
	s_lshl_b64 s[0:1], s[2:3], 1
	s_add_u32 s0, s4, s0
	s_addc_u32 s1, s5, s1
	global_store_short v0, v1, s[0:1]
	;;#ASMSTART
	v_cvt_f16_f32 v1, v15;

	;;#ASMEND
	global_store_short v0, v1, s[0:1] offset:64
	;;#ASMSTART
	v_cvt_f16_f32 v1, v14;

	;;#ASMEND
	global_store_short v0, v1, s[0:1] offset:128
	s_and_b32 exec_lo, exec_lo, vcc_lo
	s_cbranch_execz .LBB58_68
; %bb.67:
	v_add_co_u32 v0, s0, s0, v0
	v_add_co_ci_u32_e64 v1, null, s1, 0, s0
	;;#ASMSTART
	v_cvt_f16_f32 v2, v13;

	;;#ASMEND
	global_store_short v[0:1], v2, off offset:192
.LBB58_68:
	s_endpgm
	.section	.rodata,"a",@progbits
	.p2align	6, 0x0
	.amdhsa_kernel _ZN4vllm25paged_attention_v1_kernelIttLi112ELi8ELi128ELNS_18Fp8KVCacheDataTypeE0ELb1EEEvPT_PKS2_PKT0_S8_ifPKiSA_iPKfiiiSC_SC_iiiii
		.amdhsa_group_segment_fixed_size 256
		.amdhsa_private_segment_fixed_size 0
		.amdhsa_kernarg_size 384
		.amdhsa_user_sgpr_count 6
		.amdhsa_user_sgpr_private_segment_buffer 1
		.amdhsa_user_sgpr_dispatch_ptr 0
		.amdhsa_user_sgpr_queue_ptr 0
		.amdhsa_user_sgpr_kernarg_segment_ptr 1
		.amdhsa_user_sgpr_dispatch_id 0
		.amdhsa_user_sgpr_flat_scratch_init 0
		.amdhsa_user_sgpr_private_segment_size 0
		.amdhsa_wavefront_size32 1
		.amdhsa_uses_dynamic_stack 0
		.amdhsa_system_sgpr_private_segment_wavefront_offset 0
		.amdhsa_system_sgpr_workgroup_id_x 1
		.amdhsa_system_sgpr_workgroup_id_y 1
		.amdhsa_system_sgpr_workgroup_id_z 1
		.amdhsa_system_sgpr_workgroup_info 0
		.amdhsa_system_vgpr_workitem_id 0
		.amdhsa_next_free_vgpr 68
		.amdhsa_next_free_sgpr 38
		.amdhsa_reserve_vcc 1
		.amdhsa_reserve_flat_scratch 0
		.amdhsa_float_round_mode_32 0
		.amdhsa_float_round_mode_16_64 0
		.amdhsa_float_denorm_mode_32 3
		.amdhsa_float_denorm_mode_16_64 3
		.amdhsa_dx10_clamp 1
		.amdhsa_ieee_mode 1
		.amdhsa_fp16_overflow 0
		.amdhsa_workgroup_processor_mode 1
		.amdhsa_memory_ordered 1
		.amdhsa_forward_progress 1
		.amdhsa_shared_vgpr_count 0
		.amdhsa_exception_fp_ieee_invalid_op 0
		.amdhsa_exception_fp_denorm_src 0
		.amdhsa_exception_fp_ieee_div_zero 0
		.amdhsa_exception_fp_ieee_overflow 0
		.amdhsa_exception_fp_ieee_underflow 0
		.amdhsa_exception_fp_ieee_inexact 0
		.amdhsa_exception_int_div_zero 0
	.end_amdhsa_kernel
	.section	.text._ZN4vllm25paged_attention_v1_kernelIttLi112ELi8ELi128ELNS_18Fp8KVCacheDataTypeE0ELb1EEEvPT_PKS2_PKT0_S8_ifPKiSA_iPKfiiiSC_SC_iiiii,"axG",@progbits,_ZN4vllm25paged_attention_v1_kernelIttLi112ELi8ELi128ELNS_18Fp8KVCacheDataTypeE0ELb1EEEvPT_PKS2_PKT0_S8_ifPKiSA_iPKfiiiSC_SC_iiiii,comdat
.Lfunc_end58:
	.size	_ZN4vllm25paged_attention_v1_kernelIttLi112ELi8ELi128ELNS_18Fp8KVCacheDataTypeE0ELb1EEEvPT_PKS2_PKT0_S8_ifPKiSA_iPKfiiiSC_SC_iiiii, .Lfunc_end58-_ZN4vllm25paged_attention_v1_kernelIttLi112ELi8ELi128ELNS_18Fp8KVCacheDataTypeE0ELb1EEEvPT_PKS2_PKT0_S8_ifPKiSA_iPKfiiiSC_SC_iiiii
                                        ; -- End function
	.set _ZN4vllm25paged_attention_v1_kernelIttLi112ELi8ELi128ELNS_18Fp8KVCacheDataTypeE0ELb1EEEvPT_PKS2_PKT0_S8_ifPKiSA_iPKfiiiSC_SC_iiiii.num_vgpr, 68
	.set _ZN4vllm25paged_attention_v1_kernelIttLi112ELi8ELi128ELNS_18Fp8KVCacheDataTypeE0ELb1EEEvPT_PKS2_PKT0_S8_ifPKiSA_iPKfiiiSC_SC_iiiii.num_agpr, 0
	.set _ZN4vllm25paged_attention_v1_kernelIttLi112ELi8ELi128ELNS_18Fp8KVCacheDataTypeE0ELb1EEEvPT_PKS2_PKT0_S8_ifPKiSA_iPKfiiiSC_SC_iiiii.numbered_sgpr, 38
	.set _ZN4vllm25paged_attention_v1_kernelIttLi112ELi8ELi128ELNS_18Fp8KVCacheDataTypeE0ELb1EEEvPT_PKS2_PKT0_S8_ifPKiSA_iPKfiiiSC_SC_iiiii.num_named_barrier, 0
	.set _ZN4vllm25paged_attention_v1_kernelIttLi112ELi8ELi128ELNS_18Fp8KVCacheDataTypeE0ELb1EEEvPT_PKS2_PKT0_S8_ifPKiSA_iPKfiiiSC_SC_iiiii.private_seg_size, 0
	.set _ZN4vllm25paged_attention_v1_kernelIttLi112ELi8ELi128ELNS_18Fp8KVCacheDataTypeE0ELb1EEEvPT_PKS2_PKT0_S8_ifPKiSA_iPKfiiiSC_SC_iiiii.uses_vcc, 1
	.set _ZN4vllm25paged_attention_v1_kernelIttLi112ELi8ELi128ELNS_18Fp8KVCacheDataTypeE0ELb1EEEvPT_PKS2_PKT0_S8_ifPKiSA_iPKfiiiSC_SC_iiiii.uses_flat_scratch, 0
	.set _ZN4vllm25paged_attention_v1_kernelIttLi112ELi8ELi128ELNS_18Fp8KVCacheDataTypeE0ELb1EEEvPT_PKS2_PKT0_S8_ifPKiSA_iPKfiiiSC_SC_iiiii.has_dyn_sized_stack, 0
	.set _ZN4vllm25paged_attention_v1_kernelIttLi112ELi8ELi128ELNS_18Fp8KVCacheDataTypeE0ELb1EEEvPT_PKS2_PKT0_S8_ifPKiSA_iPKfiiiSC_SC_iiiii.has_recursion, 0
	.set _ZN4vllm25paged_attention_v1_kernelIttLi112ELi8ELi128ELNS_18Fp8KVCacheDataTypeE0ELb1EEEvPT_PKS2_PKT0_S8_ifPKiSA_iPKfiiiSC_SC_iiiii.has_indirect_call, 0
	.section	.AMDGPU.csdata,"",@progbits
; Kernel info:
; codeLenInByte = 7340
; TotalNumSgprs: 40
; NumVgprs: 68
; ScratchSize: 0
; MemoryBound: 0
; FloatMode: 240
; IeeeMode: 1
; LDSByteSize: 256 bytes/workgroup (compile time only)
; SGPRBlocks: 0
; VGPRBlocks: 8
; NumSGPRsForWavesPerEU: 40
; NumVGPRsForWavesPerEU: 68
; Occupancy: 12
; WaveLimiterHint : 1
; COMPUTE_PGM_RSRC2:SCRATCH_EN: 0
; COMPUTE_PGM_RSRC2:USER_SGPR: 6
; COMPUTE_PGM_RSRC2:TRAP_HANDLER: 0
; COMPUTE_PGM_RSRC2:TGID_X_EN: 1
; COMPUTE_PGM_RSRC2:TGID_Y_EN: 1
; COMPUTE_PGM_RSRC2:TGID_Z_EN: 1
; COMPUTE_PGM_RSRC2:TIDIG_COMP_CNT: 0
	.section	.text._ZN4vllm25paged_attention_v1_kernelIttLi120ELi8ELi128ELNS_18Fp8KVCacheDataTypeE0ELb1EEEvPT_PKS2_PKT0_S8_ifPKiSA_iPKfiiiSC_SC_iiiii,"axG",@progbits,_ZN4vllm25paged_attention_v1_kernelIttLi120ELi8ELi128ELNS_18Fp8KVCacheDataTypeE0ELb1EEEvPT_PKS2_PKT0_S8_ifPKiSA_iPKfiiiSC_SC_iiiii,comdat
	.protected	_ZN4vllm25paged_attention_v1_kernelIttLi120ELi8ELi128ELNS_18Fp8KVCacheDataTypeE0ELb1EEEvPT_PKS2_PKT0_S8_ifPKiSA_iPKfiiiSC_SC_iiiii ; -- Begin function _ZN4vllm25paged_attention_v1_kernelIttLi120ELi8ELi128ELNS_18Fp8KVCacheDataTypeE0ELb1EEEvPT_PKS2_PKT0_S8_ifPKiSA_iPKfiiiSC_SC_iiiii
	.globl	_ZN4vllm25paged_attention_v1_kernelIttLi120ELi8ELi128ELNS_18Fp8KVCacheDataTypeE0ELb1EEEvPT_PKS2_PKT0_S8_ifPKiSA_iPKfiiiSC_SC_iiiii
	.p2align	8
	.type	_ZN4vllm25paged_attention_v1_kernelIttLi120ELi8ELi128ELNS_18Fp8KVCacheDataTypeE0ELb1EEEvPT_PKS2_PKT0_S8_ifPKiSA_iPKfiiiSC_SC_iiiii,@function
_ZN4vllm25paged_attention_v1_kernelIttLi120ELi8ELi128ELNS_18Fp8KVCacheDataTypeE0ELb1EEEvPT_PKS2_PKT0_S8_ifPKiSA_iPKfiiiSC_SC_iiiii: ; @_ZN4vllm25paged_attention_v1_kernelIttLi120ELi8ELi128ELNS_18Fp8KVCacheDataTypeE0ELb1EEEvPT_PKS2_PKT0_S8_ifPKiSA_iPKfiiiSC_SC_iiiii
; %bb.0:
	s_clause 0x2
	s_load_dword s9, s[4:5], 0x80
	s_load_dwordx2 s[0:1], s[4:5], 0x30
	s_load_dwordx2 s[28:29], s[4:5], 0x20
	s_mov_b32 s10, s7
	s_ashr_i32 s11, s7, 31
	s_mov_b32 s33, 0
	s_lshl_b64 s[2:3], s[10:11], 2
	s_waitcnt lgkmcnt(0)
	s_add_u32 s0, s0, s2
	s_addc_u32 s1, s1, s3
	s_abs_i32 s2, s28
	s_abs_i32 s11, s9
	v_cvt_f32_u32_e32 v1, s2
	s_sub_i32 s7, 0, s2
	v_rcp_iflag_f32_e32 v1, v1
	v_mul_f32_e32 v1, 0x4f7ffffe, v1
	v_cvt_u32_f32_e32 v1, v1
	v_readfirstlane_b32 s3, v1
	s_mul_i32 s7, s7, s3
	s_mul_hi_u32 s7, s3, s7
	s_add_i32 s3, s3, s7
	s_xor_b32 s7, s9, s28
	s_mul_hi_u32 s3, s11, s3
	s_ashr_i32 s7, s7, 31
	s_mul_i32 s12, s3, s2
	s_sub_i32 s11, s11, s12
	s_add_i32 s12, s3, 1
	s_sub_i32 s13, s11, s2
	s_cmp_ge_u32 s11, s2
	s_cselect_b32 s3, s12, s3
	s_cselect_b32 s11, s13, s11
	s_add_i32 s12, s3, 1
	s_cmp_ge_u32 s11, s2
	s_cselect_b32 s2, s12, s3
	s_abs_i32 s22, s6
	s_xor_b32 s2, s2, s7
	s_sub_i32 s16, s2, s7
	s_load_dwordx2 s[2:3], s[4:5], 0x40
	s_abs_i32 s11, s16
	v_cvt_f32_u32_e32 v1, s11
	s_sub_i32 s12, 0, s11
	v_rcp_iflag_f32_e32 v1, v1
	v_mul_f32_e32 v1, 0x4f7ffffe, v1
	v_cvt_u32_f32_e32 v1, v1
	v_readfirstlane_b32 s7, v1
	s_mul_i32 s12, s12, s7
	s_mul_hi_u32 s12, s7, s12
	s_add_i32 s7, s7, s12
	s_waitcnt lgkmcnt(0)
	s_cmp_eq_u64 s[2:3], 0
	s_mul_hi_u32 s23, s22, s7
	s_cbranch_scc1 .LBB59_2
; %bb.1:
	s_ashr_i32 s7, s6, 31
	s_lshl_b64 s[12:13], s[6:7], 2
	s_add_u32 s2, s2, s12
	s_addc_u32 s3, s3, s13
	s_load_dword s33, s[2:3], 0x0
.LBB59_2:
	s_load_dword s30, s[0:1], 0x0
	s_load_dwordx4 s[12:15], s[4:5], 0x48
	v_and_b32_e32 v1, 3, v0
	v_lshlrev_b32_e32 v2, 2, v0
	s_ashr_i32 s0, s6, 31
	s_ashr_i32 s1, s16, 31
	s_mul_i32 s20, s6, 0x78
	s_mov_b32 s2, exec_lo
	v_cmpx_gt_u32_e32 60, v0
	s_cbranch_execz .LBB59_4
; %bb.3:
	s_load_dwordx2 s[16:17], s[4:5], 0x8
	s_waitcnt lgkmcnt(0)
	s_mul_i32 s18, s12, s10
	v_and_b32_e32 v4, 0x3fc, v0
	s_ashr_i32 s19, s18, 31
	s_lshl_b64 s[18:19], s[18:19], 1
	v_mad_u32_u24 v4, v1, 60, v4
	s_add_u32 s3, s16, s18
	s_addc_u32 s7, s17, s19
	s_ashr_i32 s21, s20, 31
	s_lshl_b64 s[16:17], s[20:21], 1
	s_add_u32 s16, s3, s16
	s_addc_u32 s17, s7, s17
	global_load_dword v3, v2, s[16:17]
	s_waitcnt vmcnt(0)
	ds_write_b32 v4, v3
.LBB59_4:
	s_or_b32 exec_lo, exec_lo, s2
	s_load_dwordx4 s[16:19], s[4:5], 0x68
	s_mul_i32 s2, s23, s11
	s_xor_b32 s1, s0, s1
	s_sub_i32 s0, s22, s2
	s_add_i32 s2, s23, 1
	s_sub_i32 s3, s0, s11
	s_cmp_ge_u32 s0, s11
	s_waitcnt lgkmcnt(0)
	s_cselect_b32 s2, s2, s23
	s_cselect_b32 s0, s3, s0
	s_add_i32 s3, s2, 1
	s_cmp_ge_u32 s0, s11
	s_load_dword s0, s[4:5], 0x78
	s_cselect_b32 s2, s3, s2
	s_add_i32 s7, s30, -1
	s_xor_b32 s2, s2, s1
	s_abs_i32 s3, s7
	s_sub_i32 s1, s2, s1
	s_mov_b32 s11, -1
	s_barrier
	s_abs_i32 s12, s19
	s_waitcnt lgkmcnt(0)
	buffer_gl0_inv
	v_cvt_f32_u32_e32 v3, s12
	s_sub_i32 s2, 0, s12
                                        ; implicit-def: $sgpr31
	v_rcp_iflag_f32_e32 v3, v3
	v_mul_f32_e32 v3, 0x4f7ffffe, v3
	v_cvt_u32_f32_e32 v3, v3
	v_readfirstlane_b32 s21, v3
	s_mul_i32 s2, s2, s21
	s_mul_hi_u32 s2, s21, s2
	s_add_i32 s21, s21, s2
	s_cmp_lt_i32 s0, 0
	s_mul_hi_u32 s2, s3, s21
	s_cbranch_scc0 .LBB59_6
; %bb.5:
	s_mul_i32 s11, s16, s28
	s_add_i32 s11, s1, s11
	s_mul_i32 s11, s11, s0
	s_sub_i32 s31, 1, s11
	s_mov_b32 s11, 0
.LBB59_6:
	s_load_dwordx2 s[22:23], s[4:5], 0x28
	s_ashr_i32 s7, s7, 31
	s_andn2_b32 vcc_lo, exec_lo, s11
	s_ashr_i32 s19, s19, 31
	s_cbranch_vccnz .LBB59_8
; %bb.7:
	s_mul_i32 s11, s9, s16
	s_add_i32 s6, s11, s6
	s_mul_i32 s0, s6, s0
	s_add_i32 s31, s0, 1
.LBB59_8:
	s_load_dword s0, s[4:5], 0x38
	s_mul_i32 s6, s2, s12
	s_xor_b32 s15, s7, s19
	s_sub_i32 s3, s3, s6
	s_add_i32 s16, s2, 1
	s_clause 0x2
	s_load_dwordx2 s[6:7], s[4:5], 0x0
	s_load_dwordx2 s[26:27], s[4:5], 0x18
	s_load_dword s11, s[4:5], 0x88
	v_lshrrev_b32_e32 v9, 5, v0
	v_mov_b32_e32 v5, 0xff7fffff
	v_lshrrev_b32_e32 v3, 3, v0
	v_mbcnt_lo_u32_b32 v4, -1, 0
	s_mul_i32 s14, s1, s14
	v_lshlrev_b32_e32 v10, 3, v9
	s_waitcnt lgkmcnt(0)
	s_mul_i32 s24, s0, s10
	s_sub_i32 s0, s3, s12
	s_ashr_i32 s25, s24, 31
	s_cmp_ge_u32 s3, s12
	s_cselect_b32 s2, s16, s2
	s_cselect_b32 s0, s0, s3
	s_add_i32 s3, s2, 1
	s_cmp_ge_u32 s0, s12
	s_cselect_b32 s0, s3, s2
	s_add_i32 s2, s30, 7
	s_ashr_i32 s3, s2, 31
	s_lshr_b32 s3, s3, 29
	s_add_i32 s2, s2, s3
	s_ashr_i32 s16, s2, 3
	s_xor_b32 s2, s0, s15
	v_cmp_gt_i32_e64 s0, s16, v9
	s_sub_i32 s28, s2, s15
	s_and_saveexec_b32 s34, s0
	s_cbranch_execz .LBB59_20
; %bb.9:
	s_load_dwordx2 s[2:3], s[4:5], 0x10
	s_ashr_i32 s15, s14, 31
	s_sub_i32 s4, s28, s17
	s_lshl_b64 s[36:37], s[14:15], 1
	v_bfe_u32 v6, v0, 2, 3
	v_and_b32_e32 v16, 12, v2
	v_cmp_eq_u32_e32 vcc_lo, 0, v1
	v_mul_u32_u24_e32 v7, 60, v1
	v_and_b32_e32 v1, 0x7c, v3
	v_lshlrev_b32_e32 v2, 2, v6
	v_subrev_nc_u32_e32 v15, s30, v6
	v_lshlrev_b32_e32 v17, 4, v6
	v_cmp_neq_f32_e64 s1, s33, 0
	v_lshlrev_b32_e32 v8, 3, v9
	v_lshl_or_b32 v2, v9, 5, v2
	v_mov_b32_e32 v11, 0xff7fffff
	v_xor_b32_e32 v12, 2, v4
	v_xor_b32_e32 v13, 1, v4
	s_waitcnt lgkmcnt(0)
	s_add_u32 s15, s2, s36
	s_addc_u32 s35, s3, s37
	s_abs_i32 s5, s18
	v_add_co_u32 v17, s15, s15, v17
	v_cvt_f32_u32_e32 v5, s5
	s_sub_i32 s2, 0, s5
	v_add_co_ci_u32_e64 v19, null, s35, 0, s15
	s_mov_b32 s15, 0
	v_rcp_iflag_f32_e32 v5, v5
	s_mov_b32 s35, s13
	v_mul_f32_e32 v14, 0x4f7ffffe, v5
	v_mov_b32_e32 v5, 0xff7fffff
	v_cvt_u32_f32_e32 v18, v14
	v_add_nc_u32_e32 v14, 1, v15
	v_add_nc_u32_e32 v15, 0x110, v2
	v_mul_lo_u32 v2, s2, v18
	s_lshl_b64 s[2:3], s[24:25], 2
	s_add_u32 s2, s22, s2
	s_addc_u32 s3, s23, s3
	v_add_co_u32 v1, s2, s2, v1
	v_mul_hi_u32 v20, v18, v2
	v_add_co_ci_u32_e64 v2, null, s3, 0, s2
	v_add_co_u32 v16, s2, v17, v16
	v_add_co_ci_u32_e64 v17, null, 0, v19, s2
	v_mov_b32_e32 v19, v9
	v_add_nc_u32_e32 v18, v18, v20
	s_branch .LBB59_12
.LBB59_10:                              ;   in Loop: Header=BB59_12 Depth=1
	s_or_b32 exec_lo, exec_lo, s36
.LBB59_11:                              ;   in Loop: Header=BB59_12 Depth=1
	s_or_b32 exec_lo, exec_lo, s3
	v_add_nc_u32_e32 v19, 4, v19
	v_add_co_u32 v1, s3, v1, 16
	v_add_co_ci_u32_e64 v2, null, 0, v2, s3
	v_cmp_le_i32_e64 s2, s16, v19
	v_add_nc_u32_e32 v8, 32, v8
	v_add_nc_u32_e32 v15, 0x80, v15
	s_or_b32 s15, s2, s15
	s_andn2_b32 exec_lo, exec_lo, s15
	s_cbranch_execz .LBB59_19
.LBB59_12:                              ; =>This Inner Loop Header: Depth=1
	v_mul_hi_u32 v20, v8, s21
	s_waitcnt lgkmcnt(0)
	v_mul_lo_u32 v21, v20, s12
	v_add_nc_u32_e32 v22, 1, v20
	v_sub_nc_u32_e32 v21, v8, v21
	v_subrev_nc_u32_e32 v23, s12, v21
	v_cmp_le_u32_e64 s2, s12, v21
	v_cndmask_b32_e64 v20, v20, v22, s2
	v_cndmask_b32_e64 v21, v21, v23, s2
	v_add_nc_u32_e32 v22, 1, v20
	v_cmp_le_u32_e64 s2, s12, v21
	v_cndmask_b32_e64 v20, v20, v22, s2
	v_xor_b32_e32 v20, s19, v20
	v_subrev_nc_u32_e32 v20, s19, v20
	v_add_nc_u32_e32 v21, s31, v20
	v_cmp_ge_i32_e64 s3, s4, v20
	v_sub_nc_u32_e32 v22, 0, v21
	v_max_i32_e32 v22, v21, v22
	v_ashrrev_i32_e32 v21, 31, v21
	v_mul_hi_u32 v23, v22, v18
	v_mul_lo_u32 v23, v23, s5
	v_sub_nc_u32_e32 v22, v22, v23
	v_subrev_nc_u32_e32 v23, s5, v22
	v_cmp_le_u32_e64 s2, s5, v22
	v_cndmask_b32_e64 v22, v22, v23, s2
	v_subrev_nc_u32_e32 v23, s5, v22
	v_cmp_le_u32_e64 s2, s5, v22
	v_cndmask_b32_e64 v22, v22, v23, s2
	v_xor_b32_e32 v22, v22, v21
	v_sub_nc_u32_e32 v21, v22, v21
	v_cmp_ne_u32_e64 s2, 0, v21
	s_and_b32 s2, s2, s3
	s_and_saveexec_b32 s3, s2
	s_xor_b32 s2, exec_lo, s3
	s_cbranch_execz .LBB59_16
; %bb.13:                               ;   in Loop: Header=BB59_12 Depth=1
	s_and_saveexec_b32 s3, vcc_lo
; %bb.14:                               ;   in Loop: Header=BB59_12 Depth=1
	ds_write_b32 v15, v11
; %bb.15:                               ;   in Loop: Header=BB59_12 Depth=1
	s_or_b32 exec_lo, exec_lo, s3
.LBB59_16:                              ;   in Loop: Header=BB59_12 Depth=1
	s_andn2_saveexec_b32 s3, s2
	s_cbranch_execz .LBB59_11
; %bb.17:                               ;   in Loop: Header=BB59_12 Depth=1
	global_load_dword v20, v[1:2], off
	s_waitcnt vmcnt(0)
	v_mad_i64_i32 v[20:21], null, v20, s35, 0
	v_lshlrev_b64 v[20:21], 1, v[20:21]
	v_add_co_u32 v23, s2, v16, v20
	v_add_co_ci_u32_e64 v24, null, v17, v21, s2
	v_cmp_gt_i32_e64 s2, 32, v12
	s_clause 0xa
	global_load_dword v20, v[23:24], off
	global_load_dword v25, v[23:24], off offset:128
	global_load_dword v26, v[23:24], off offset:256
	;; [unrolled: 1-line block ×10, first 2 shown]
	ds_read_b32 v21, v7
	s_waitcnt lgkmcnt(0)
	v_lshrrev_b32_e32 v36, 16, v21
	v_and_b32_e32 v37, 0xffff, v21
	s_waitcnt vmcnt(10)
	v_lshrrev_b32_e32 v38, 16, v20
	v_and_b32_e32 v39, 0xffff, v20
	s_clause 0x3
	global_load_dword v35, v[23:24], off offset:1408
	global_load_dword v22, v[23:24], off offset:1536
	;; [unrolled: 1-line block ×4, first 2 shown]
	;;#ASMSTART
	v_cvt_f32_f16 v23, v37;
	;;#ASMEND
	;;#ASMSTART
	v_cvt_f32_f16 v24, v36;
	;;#ASMEND
	;;#ASMSTART
	v_cvt_f32_f16 v36, v39;
	;;#ASMEND
	;;#ASMSTART
	v_cvt_f32_f16 v37, v38;
	;;#ASMEND
	ds_read_b32 v38, v7 offset:4
	s_waitcnt vmcnt(13)
	v_and_b32_e32 v40, 0xffff, v25
	v_lshrrev_b32_e32 v41, 16, v25
	s_waitcnt vmcnt(12)
	v_and_b32_e32 v43, 0xffff, v26
	v_lshrrev_b32_e32 v44, 16, v26
	;; [unrolled: 3-line block ×9, first 2 shown]
	s_waitcnt vmcnt(4)
	v_and_b32_e32 v67, 0xffff, v34
	s_waitcnt lgkmcnt(0)
	v_and_b32_e32 v39, 0xffff, v38
	v_lshrrev_b32_e32 v38, 16, v38
	;;#ASMSTART
	v_cvt_f32_f16 v25, v39;
	;;#ASMEND
	;;#ASMSTART
	v_cvt_f32_f16 v38, v38;
	;;#ASMEND
	;; [unrolled: 3-line block ×4, first 2 shown]
	ds_read_b32 v41, v7 offset:8
	v_lshrrev_b32_e32 v68, 16, v34
	v_mul_f32_e32 v25, v25, v39
	v_mul_f32_e32 v38, v38, v40
	v_fmac_f32_e32 v25, v23, v36
	v_fmac_f32_e32 v38, v24, v37
	s_waitcnt lgkmcnt(0)
	v_and_b32_e32 v42, 0xffff, v41
	v_lshrrev_b32_e32 v41, 16, v41
	;;#ASMSTART
	v_cvt_f32_f16 v26, v42;
	;;#ASMEND
	;;#ASMSTART
	v_cvt_f32_f16 v41, v41;
	;;#ASMEND
	;;#ASMSTART
	v_cvt_f32_f16 v42, v43;
	;;#ASMEND
	;;#ASMSTART
	v_cvt_f32_f16 v43, v44;
	;;#ASMEND
	ds_read_b32 v44, v7 offset:12
	v_fmac_f32_e32 v25, v26, v42
	v_fmac_f32_e32 v38, v41, v43
	s_waitcnt lgkmcnt(0)
	v_and_b32_e32 v45, 0xffff, v44
	v_lshrrev_b32_e32 v44, 16, v44
	;;#ASMSTART
	v_cvt_f32_f16 v27, v45;
	;;#ASMEND
	;;#ASMSTART
	v_cvt_f32_f16 v44, v44;
	;;#ASMEND
	;;#ASMSTART
	v_cvt_f32_f16 v45, v46;
	;;#ASMEND
	;;#ASMSTART
	v_cvt_f32_f16 v46, v47;
	;;#ASMEND
	ds_read_b32 v47, v7 offset:16
	v_fmac_f32_e32 v25, v27, v45
	v_fmac_f32_e32 v38, v44, v46
	s_waitcnt lgkmcnt(0)
	v_and_b32_e32 v48, 0xffff, v47
	v_lshrrev_b32_e32 v47, 16, v47
	;;#ASMSTART
	v_cvt_f32_f16 v28, v48;
	;;#ASMEND
	;;#ASMSTART
	v_cvt_f32_f16 v47, v47;
	;;#ASMEND
	;;#ASMSTART
	v_cvt_f32_f16 v48, v49;
	;;#ASMEND
	;;#ASMSTART
	v_cvt_f32_f16 v49, v50;
	;;#ASMEND
	ds_read_b32 v50, v7 offset:20
	v_fmac_f32_e32 v25, v28, v48
	v_fmac_f32_e32 v38, v47, v49
	s_waitcnt lgkmcnt(0)
	v_and_b32_e32 v51, 0xffff, v50
	v_lshrrev_b32_e32 v50, 16, v50
	;;#ASMSTART
	v_cvt_f32_f16 v29, v51;
	;;#ASMEND
	;;#ASMSTART
	v_cvt_f32_f16 v50, v50;
	;;#ASMEND
	;;#ASMSTART
	v_cvt_f32_f16 v51, v52;
	;;#ASMEND
	;;#ASMSTART
	v_cvt_f32_f16 v52, v53;
	;;#ASMEND
	ds_read_b32 v53, v7 offset:24
	v_fmac_f32_e32 v25, v29, v51
	v_fmac_f32_e32 v38, v50, v52
	s_waitcnt lgkmcnt(0)
	v_and_b32_e32 v54, 0xffff, v53
	v_lshrrev_b32_e32 v53, 16, v53
	;;#ASMSTART
	v_cvt_f32_f16 v30, v54;
	;;#ASMEND
	;;#ASMSTART
	v_cvt_f32_f16 v53, v53;
	;;#ASMEND
	;;#ASMSTART
	v_cvt_f32_f16 v54, v55;
	;;#ASMEND
	;;#ASMSTART
	v_cvt_f32_f16 v55, v56;
	;;#ASMEND
	ds_read_b32 v56, v7 offset:28
	v_fmac_f32_e32 v25, v30, v54
	v_fmac_f32_e32 v38, v53, v55
	s_waitcnt lgkmcnt(0)
	v_and_b32_e32 v57, 0xffff, v56
	v_lshrrev_b32_e32 v56, 16, v56
	;;#ASMSTART
	v_cvt_f32_f16 v31, v57;
	;;#ASMEND
	;;#ASMSTART
	v_cvt_f32_f16 v56, v56;
	;;#ASMEND
	;;#ASMSTART
	v_cvt_f32_f16 v57, v58;
	;;#ASMEND
	;;#ASMSTART
	v_cvt_f32_f16 v58, v59;
	;;#ASMEND
	ds_read_b32 v59, v7 offset:32
	v_fmac_f32_e32 v25, v31, v57
	v_fmac_f32_e32 v38, v56, v58
	v_cndmask_b32_e64 v31, v4, v12, s2
	v_cmp_gt_i32_e64 s2, 32, v13
	s_waitcnt lgkmcnt(0)
	v_and_b32_e32 v60, 0xffff, v59
	v_lshrrev_b32_e32 v59, 16, v59
	;;#ASMSTART
	v_cvt_f32_f16 v32, v60;
	;;#ASMEND
	;;#ASMSTART
	v_cvt_f32_f16 v59, v59;
	;;#ASMEND
	;;#ASMSTART
	v_cvt_f32_f16 v60, v61;
	;;#ASMEND
	;;#ASMSTART
	v_cvt_f32_f16 v61, v62;
	;;#ASMEND
	ds_read_b32 v62, v7 offset:36
	v_fmac_f32_e32 v25, v32, v60
	v_fmac_f32_e32 v38, v59, v61
	s_waitcnt lgkmcnt(0)
	v_and_b32_e32 v63, 0xffff, v62
	v_lshrrev_b32_e32 v62, 16, v62
	;;#ASMSTART
	v_cvt_f32_f16 v33, v63;
	;;#ASMEND
	;;#ASMSTART
	v_cvt_f32_f16 v62, v62;
	;;#ASMEND
	;;#ASMSTART
	v_cvt_f32_f16 v63, v64;
	;;#ASMEND
	;;#ASMSTART
	v_cvt_f32_f16 v64, v65;
	;;#ASMEND
	ds_read_b32 v65, v7 offset:40
	v_fmac_f32_e32 v25, v33, v63
	v_fmac_f32_e32 v38, v62, v64
	s_waitcnt lgkmcnt(0)
	v_and_b32_e32 v66, 0xffff, v65
	v_lshrrev_b32_e32 v65, 16, v65
	;;#ASMSTART
	v_cvt_f32_f16 v34, v66;
	;;#ASMEND
	;;#ASMSTART
	v_cvt_f32_f16 v65, v65;
	;;#ASMEND
	;;#ASMSTART
	v_cvt_f32_f16 v66, v67;
	;;#ASMEND
	;;#ASMSTART
	v_cvt_f32_f16 v67, v68;
	;;#ASMEND
	ds_read_b32 v68, v7 offset:44
	v_fmac_f32_e32 v25, v34, v66
	v_fmac_f32_e32 v38, v65, v67
	s_waitcnt lgkmcnt(0)
	v_and_b32_e32 v69, 0xffff, v68
	v_lshrrev_b32_e32 v68, 16, v68
	s_waitcnt vmcnt(3)
	v_and_b32_e32 v70, 0xffff, v35
	v_lshrrev_b32_e32 v71, 16, v35
	;;#ASMSTART
	v_cvt_f32_f16 v35, v69;
	;;#ASMEND
	;;#ASMSTART
	v_cvt_f32_f16 v68, v68;
	;;#ASMEND
	;; [unrolled: 3-line block ×4, first 2 shown]
	ds_read_b32 v71, v7 offset:48
	s_waitcnt vmcnt(2)
	v_and_b32_e32 v26, 0xffff, v22
	v_lshrrev_b32_e32 v36, 16, v22
	s_waitcnt vmcnt(1)
	v_lshrrev_b32_e32 v29, 16, v21
	v_and_b32_e32 v30, 0xffff, v21
	v_fmac_f32_e32 v25, v35, v69
	v_fmac_f32_e32 v38, v68, v70
	s_waitcnt vmcnt(0)
	v_lshrrev_b32_e32 v32, 16, v20
	s_waitcnt lgkmcnt(0)
	v_and_b32_e32 v23, 0xffff, v71
	v_lshrrev_b32_e32 v24, 16, v71
	;;#ASMSTART
	v_cvt_f32_f16 v22, v23;
	;;#ASMEND
	;;#ASMSTART
	v_cvt_f32_f16 v23, v24;
	;;#ASMEND
	;; [unrolled: 3-line block ×4, first 2 shown]
	ds_read_b32 v27, v7 offset:52
	v_fmac_f32_e32 v25, v22, v24
	v_fmac_f32_e32 v38, v23, v26
	v_and_b32_e32 v24, 0xffff, v20
	s_waitcnt lgkmcnt(0)
	v_and_b32_e32 v28, 0xffff, v27
	v_lshrrev_b32_e32 v27, 16, v27
	;;#ASMSTART
	v_cvt_f32_f16 v21, v28;
	;;#ASMEND
	;;#ASMSTART
	v_cvt_f32_f16 v27, v27;
	;;#ASMEND
	;; [unrolled: 3-line block ×4, first 2 shown]
	ds_read_b32 v30, v7 offset:56
	v_fmac_f32_e32 v25, v21, v28
	v_fmac_f32_e32 v38, v27, v29
	s_waitcnt lgkmcnt(0)
	v_and_b32_e32 v22, 0xffff, v30
	v_lshrrev_b32_e32 v23, 16, v30
	;;#ASMSTART
	v_cvt_f32_f16 v20, v22;
	;;#ASMEND
	;;#ASMSTART
	v_cvt_f32_f16 v21, v23;
	;;#ASMEND
	;; [unrolled: 3-line block ×4, first 2 shown]
	v_fmac_f32_e32 v25, v20, v22
	v_fmac_f32_e32 v38, v21, v23
	v_lshlrev_b32_e32 v20, 2, v31
	v_cndmask_b32_e64 v22, v4, v13, s2
	v_add_f32_e32 v21, v25, v38
	ds_bpermute_b32 v20, v20, v21
	s_waitcnt lgkmcnt(0)
	v_add_f32_e32 v20, v21, v20
	v_lshlrev_b32_e32 v21, 2, v22
	ds_bpermute_b32 v21, v21, v20
	s_and_saveexec_b32 s36, vcc_lo
	s_cbranch_execz .LBB59_10
; %bb.18:                               ;   in Loop: Header=BB59_12 Depth=1
	v_add_nc_u32_e32 v22, v14, v8
	s_waitcnt lgkmcnt(0)
	v_add_f32_e32 v20, v20, v21
	v_cvt_f32_i32_e32 v22, v22
	v_mul_f32_e32 v22, s33, v22
	v_cndmask_b32_e64 v21, 0, v22, s1
	v_max_f32_e32 v22, v5, v5
	v_fmac_f32_e32 v21, s29, v20
	v_add_nc_u32_e32 v20, v6, v8
	v_max_f32_e32 v22, v22, v21
	v_cmp_gt_i32_e64 s2, s30, v20
	v_cndmask_b32_e64 v20, 0, v21, s2
	v_cndmask_b32_e64 v5, v5, v22, s2
	ds_write_b32 v15, v20
	s_branch .LBB59_10
.LBB59_19:
	s_or_b32 exec_lo, exec_lo, s15
.LBB59_20:
	s_or_b32 exec_lo, exec_lo, s34
	v_xor_b32_e32 v1, 16, v4
	v_xor_b32_e32 v6, 8, v4
	v_and_b32_e32 v11, 31, v0
	v_cmp_gt_i32_e32 vcc_lo, 32, v1
	v_cndmask_b32_e32 v1, v4, v1, vcc_lo
	v_cmp_gt_i32_e32 vcc_lo, 32, v6
	v_lshlrev_b32_e32 v1, 2, v1
	v_cndmask_b32_e32 v6, v4, v6, vcc_lo
	ds_bpermute_b32 v2, v1, v5
	v_max_f32_e32 v5, v5, v5
	s_waitcnt lgkmcnt(0)
	v_max_f32_e32 v7, v2, v2
	v_lshlrev_b32_e32 v2, 2, v6
	v_max_f32_e32 v5, v5, v7
	v_xor_b32_e32 v7, 4, v4
	ds_bpermute_b32 v6, v2, v5
	v_cmp_gt_i32_e32 vcc_lo, 32, v7
	v_cndmask_b32_e32 v7, v4, v7, vcc_lo
	v_cmp_eq_u32_e32 vcc_lo, 0, v11
	v_lshlrev_b32_e32 v7, 2, v7
	s_waitcnt lgkmcnt(0)
	v_max_f32_e32 v6, v6, v6
	v_max_f32_e32 v6, v5, v6
	v_lshlrev_b32_e32 v5, 2, v9
	ds_bpermute_b32 v8, v7, v6
	s_and_saveexec_b32 s1, vcc_lo
	s_cbranch_execz .LBB59_22
; %bb.21:
	s_waitcnt lgkmcnt(0)
	v_max_f32_e32 v8, v8, v8
	v_max_f32_e32 v6, v6, v6
	;; [unrolled: 1-line block ×3, first 2 shown]
	ds_write_b32 v5, v6 offset:240
.LBB59_22:
	s_or_b32 exec_lo, exec_lo, s1
	v_cmp_gt_u32_e64 s1, 4, v11
	v_mov_b32_e32 v12, 0xff7fffff
	v_lshlrev_b32_e32 v6, 2, v11
	s_waitcnt lgkmcnt(0)
	s_barrier
	buffer_gl0_inv
	s_and_saveexec_b32 s2, s1
; %bb.23:
	ds_read_b32 v12, v6 offset:240
; %bb.24:
	s_or_b32 exec_lo, exec_lo, s2
	v_xor_b32_e32 v8, 2, v4
	v_xor_b32_e32 v14, 1, v4
	v_cmp_gt_i32_e64 s2, 32, v8
	v_cndmask_b32_e64 v8, v4, v8, s2
	v_cmp_gt_i32_e64 s2, 32, v14
	v_lshlrev_b32_e32 v8, 2, v8
	v_cndmask_b32_e64 v4, v4, v14, s2
	s_lshl_b32 s2, s16, 3
	s_min_i32 s4, s2, s30
	s_waitcnt lgkmcnt(0)
	ds_bpermute_b32 v13, v8, v12
	v_max_f32_e32 v12, v12, v12
	v_lshlrev_b32_e32 v4, 2, v4
	v_cmp_gt_i32_e64 s2, s4, v0
	s_waitcnt lgkmcnt(0)
	v_max_f32_e32 v13, v13, v13
	v_max_f32_e32 v12, v12, v13
	ds_bpermute_b32 v13, v4, v12
	s_waitcnt lgkmcnt(0)
	v_max_f32_e32 v13, v13, v13
	v_max_f32_e32 v12, v12, v13
	v_mov_b32_e32 v13, 0
	ds_bpermute_b32 v14, v13, v12
	v_lshl_add_u32 v12, v0, 2, 0x110
	s_and_saveexec_b32 s5, s2
	s_cbranch_execz .LBB59_28
; %bb.25:
	v_lshl_add_u32 v15, v0, 2, 0x110
	v_mov_b32_e32 v13, 0
	v_mov_b32_e32 v16, v0
	s_mov_b32 s15, 0
	.p2align	6
.LBB59_26:                              ; =>This Inner Loop Header: Depth=1
	ds_read_b32 v17, v15
	v_add_nc_u32_e32 v16, 0x80, v16
	v_cmp_le_i32_e64 s3, s4, v16
	s_or_b32 s15, s3, s15
	s_waitcnt lgkmcnt(0)
	v_sub_f32_e32 v17, v17, v14
	v_mul_f32_e32 v17, 0x3fb8aa3b, v17
	v_exp_f32_e32 v17, v17
	ds_write_b32 v15, v17
	v_add_f32_e32 v13, v13, v17
	v_add_nc_u32_e32 v15, 0x200, v15
	s_andn2_b32 exec_lo, exec_lo, s15
	s_cbranch_execnz .LBB59_26
; %bb.27:
	s_or_b32 exec_lo, exec_lo, s15
.LBB59_28:
	s_or_b32 exec_lo, exec_lo, s5
	ds_bpermute_b32 v1, v1, v13
	s_waitcnt lgkmcnt(0)
	v_add_f32_e32 v1, v13, v1
	ds_bpermute_b32 v2, v2, v1
	s_waitcnt lgkmcnt(0)
	v_add_f32_e32 v1, v1, v2
	;; [unrolled: 3-line block ×5, first 2 shown]
	s_and_saveexec_b32 s3, vcc_lo
; %bb.29:
	ds_write_b32 v5, v1 offset:256
; %bb.30:
	s_or_b32 exec_lo, exec_lo, s3
	s_waitcnt lgkmcnt(0)
	s_barrier
	buffer_gl0_inv
	s_and_saveexec_b32 s3, s1
; %bb.31:
	ds_read_b32 v1, v6 offset:256
; %bb.32:
	s_or_b32 exec_lo, exec_lo, s3
	s_waitcnt lgkmcnt(0)
	ds_bpermute_b32 v2, v8, v1
	s_waitcnt lgkmcnt(0)
	v_add_f32_e32 v1, v1, v2
	ds_bpermute_b32 v2, v4, v1
	s_waitcnt lgkmcnt(0)
	v_add_f32_e32 v1, v1, v2
	v_mov_b32_e32 v2, 0
	ds_bpermute_b32 v1, v2, v1
	s_and_saveexec_b32 s1, s2
	s_cbranch_execz .LBB59_35
; %bb.33:
	s_waitcnt lgkmcnt(0)
	v_add_f32_e32 v2, 0x358637bd, v1
	s_mov_b32 s2, 0
	v_div_scale_f32 v1, null, v2, v2, 1.0
	v_div_scale_f32 v6, vcc_lo, 1.0, v2, 1.0
	v_rcp_f32_e32 v4, v1
	v_fma_f32 v5, -v1, v4, 1.0
	v_fmac_f32_e32 v4, v5, v4
	v_mul_f32_e32 v5, v6, v4
	v_fma_f32 v7, -v1, v5, v6
	v_fmac_f32_e32 v5, v7, v4
	v_fma_f32 v1, -v1, v5, v6
	v_div_fmas_f32 v4, v1, v4, v5
	v_mov_b32_e32 v1, v12
	v_div_fixup_f32 v2, v4, v2, 1.0
	v_mov_b32_e32 v4, v0
.LBB59_34:                              ; =>This Inner Loop Header: Depth=1
	ds_read_b32 v5, v1
	v_add_nc_u32_e32 v4, 0x80, v4
	v_cmp_le_i32_e32 vcc_lo, s4, v4
	s_or_b32 s2, vcc_lo, s2
	s_waitcnt lgkmcnt(0)
	v_mul_f32_e32 v5, v2, v5
	ds_write_b32 v1, v5
	v_add_nc_u32_e32 v1, 0x200, v1
	s_andn2_b32 exec_lo, exec_lo, s2
	s_cbranch_execnz .LBB59_34
.LBB59_35:
	s_or_b32 exec_lo, exec_lo, s1
	v_mov_b32_e32 v16, 0
	v_mov_b32_e32 v15, 0
	;; [unrolled: 1-line block ×4, first 2 shown]
	s_waitcnt lgkmcnt(0)
	s_barrier
	buffer_gl0_inv
	s_and_saveexec_b32 s2, s0
	s_cbranch_execz .LBB59_51
; %bb.36:
	s_ashr_i32 s15, s14, 31
	s_sub_i32 s3, s28, s17
	s_lshl_b64 s[0:1], s[14:15], 1
	v_lshlrev_b32_e32 v2, 3, v11
	s_add_u32 s4, s26, s0
	s_addc_u32 s5, s27, s1
	s_abs_i32 s14, s18
	v_or_b32_e32 v4, 0x60, v11
	v_cvt_f32_u32_e32 v1, s14
	s_sub_i32 s0, 0, s14
	v_lshlrev_b32_e32 v19, 1, v2
	v_and_b32_e32 v3, 0x7c, v3
	s_lshl_b64 s[24:25], s[24:25], 2
	v_rcp_iflag_f32_e32 v1, v1
	s_add_i32 s15, s16, -1
	s_add_u32 s1, s22, s24
	s_addc_u32 s17, s23, s25
	v_mov_b32_e32 v17, 0
	v_lshl_add_u32 v18, v9, 5, 0x110
	v_mov_b32_e32 v13, 0
	v_mov_b32_e32 v14, 0
	;; [unrolled: 1-line block ×4, first 2 shown]
	v_mul_f32_e32 v1, 0x4f7ffffe, v1
	v_mov_b32_e32 v22, v9
	v_cvt_u32_f32_e32 v1, v1
	v_mul_lo_u32 v5, s0, v1
	v_cmp_gt_u32_e64 s0, 0x78, v4
	v_lshlrev_b32_e32 v4, 3, v4
	v_lshlrev_b32_e32 v20, 1, v4
	v_mul_hi_u32 v2, v1, v5
	v_add_co_u32 v5, s1, s1, v3
	v_add_co_ci_u32_e64 v6, null, s17, 0, s1
	s_mov_b32 s17, s13
	s_mov_b32 s13, 0
	v_add_nc_u32_e32 v21, v1, v2
	s_branch .LBB59_40
.LBB59_37:                              ;   in Loop: Header=BB59_40 Depth=1
	s_or_b32 exec_lo, exec_lo, s23
	v_lshlrev_b32_e32 v33, 16, v33
	v_lshlrev_b32_e32 v25, 16, v25
	;; [unrolled: 1-line block ×3, first 2 shown]
	v_and_or_b32 v1, 0xffff, v1, v33
	v_and_or_b32 v2, 0xffff, v2, v25
	;; [unrolled: 1-line block ×3, first 2 shown]
	;;#ASMSTART
	v_pk_mul_f16 v1, v28, v1;

	;;#ASMEND
	;;#ASMSTART
	v_pk_mul_f16 v2, v27, v2;

	;;#ASMEND
	;; [unrolled: 4-line block ×4, first 2 shown]
	;;#ASMSTART
	v_pk_add_f16 v1, v1, v2;

	;;#ASMEND
	;;#ASMSTART
	v_pk_add_f16 v1, v1, v3;

	;;#ASMEND
	;; [unrolled: 4-line block ×3, first 2 shown]
	v_and_b32_e32 v2, 0xffff, v1
	v_lshrrev_b32_e32 v3, 16, v1
	;;#ASMSTART
	v_cvt_f32_f16 v1, v2;
	;;#ASMEND
	;;#ASMSTART
	v_cvt_f32_f16 v2, v3;
	;;#ASMEND
	v_add_f32_e32 v1, v1, v2
	v_add_f32_e32 v13, v13, v1
.LBB59_38:                              ;   in Loop: Header=BB59_40 Depth=1
	s_or_b32 exec_lo, exec_lo, s22
	v_add_f32_e32 v1, v31, v32
	v_add_f32_e32 v2, v23, v26
	;; [unrolled: 1-line block ×6, first 2 shown]
.LBB59_39:                              ;   in Loop: Header=BB59_40 Depth=1
	s_or_b32 exec_lo, exec_lo, s18
	v_add_nc_u32_e32 v22, 4, v22
	v_add_co_u32 v5, s1, v5, 16
	v_add_co_ci_u32_e64 v6, null, 0, v6, s1
	v_cmp_le_i32_e32 vcc_lo, s16, v22
	v_add_nc_u32_e32 v10, 32, v10
	v_add_nc_u32_e32 v18, 0x80, v18
	s_or_b32 s13, vcc_lo, s13
	s_andn2_b32 exec_lo, exec_lo, s13
	s_cbranch_execz .LBB59_50
.LBB59_40:                              ; =>This Inner Loop Header: Depth=1
	v_mul_hi_u32 v1, v10, s21
	v_mul_lo_u32 v2, v1, s12
	v_add_nc_u32_e32 v3, 1, v1
	v_sub_nc_u32_e32 v2, v10, v2
	v_subrev_nc_u32_e32 v4, s12, v2
	v_cmp_le_u32_e32 vcc_lo, s12, v2
	v_cndmask_b32_e32 v1, v1, v3, vcc_lo
	v_cndmask_b32_e32 v2, v2, v4, vcc_lo
	v_add_nc_u32_e32 v3, 1, v1
	v_cmp_le_u32_e32 vcc_lo, s12, v2
	v_cndmask_b32_e32 v1, v1, v3, vcc_lo
	v_xor_b32_e32 v1, s19, v1
	v_subrev_nc_u32_e32 v1, s19, v1
	v_add_nc_u32_e32 v2, s31, v1
	v_cmp_lt_i32_e64 s1, s3, v1
	v_sub_nc_u32_e32 v3, 0, v2
	v_max_i32_e32 v3, v2, v3
	v_ashrrev_i32_e32 v2, 31, v2
	v_mul_hi_u32 v4, v3, v21
	v_mul_lo_u32 v4, v4, s14
	v_sub_nc_u32_e32 v3, v3, v4
	v_subrev_nc_u32_e32 v4, s14, v3
	v_cmp_le_u32_e32 vcc_lo, s14, v3
	v_cndmask_b32_e32 v3, v3, v4, vcc_lo
	v_subrev_nc_u32_e32 v4, s14, v3
	v_cmp_le_u32_e32 vcc_lo, s14, v3
	v_cndmask_b32_e32 v3, v3, v4, vcc_lo
	v_xor_b32_e32 v3, v3, v2
	v_sub_nc_u32_e32 v2, v3, v2
	v_cmp_eq_u32_e32 vcc_lo, 0, v2
	s_or_b32 s1, vcc_lo, s1
	s_and_saveexec_b32 s18, s1
	s_cbranch_execz .LBB59_39
; %bb.41:                               ;   in Loop: Header=BB59_40 Depth=1
	global_load_dword v7, v[5:6], off
	ds_read2_b64 v[1:4], v18 offset1:1
	ds_read2_b64 v[32:35], v18 offset0:2 offset1:3
	s_waitcnt lgkmcnt(1)
	;;#ASMSTART
	v_cvt_f16_f32 v28, v1;

	;;#ASMEND
	;;#ASMSTART
	v_cvt_f16_f32 v23, v2;

	;;#ASMEND
	;;#ASMSTART
	v_cvt_f16_f32 v31, v3;

	;;#ASMEND
	;;#ASMSTART
	v_cvt_f16_f32 v27, v4;

	;;#ASMEND
	s_waitcnt lgkmcnt(0)
	;;#ASMSTART
	v_cvt_f16_f32 v32, v32;

	;;#ASMEND
	;;#ASMSTART
	v_cvt_f16_f32 v29, v33;

	;;#ASMEND
	;; [unrolled: 4-line block ×4, first 2 shown]
	v_cmp_eq_u32_e64 s1, s15, v22
	s_waitcnt vmcnt(0)
	v_mad_i64_i32 v[7:8], null, v7, s17, 0
	v_lshlrev_b64 v[7:8], 1, v[7:8]
	v_add_co_u32 v24, vcc_lo, s4, v7
	v_add_co_ci_u32_e64 v25, null, s5, v8, vcc_lo
	v_add_co_u32 v7, vcc_lo, v24, v19
	v_add_co_ci_u32_e64 v8, null, 0, v25, vcc_lo
	global_load_dwordx4 v[1:4], v[7:8], off
	s_waitcnt vmcnt(0)
	v_lshrrev_b32_e32 v35, 16, v1
	v_lshrrev_b32_e32 v34, 16, v2
	;; [unrolled: 1-line block ×3, first 2 shown]
	s_and_saveexec_b32 s22, s1
	s_cbranch_execz .LBB59_43
; %bb.42:                               ;   in Loop: Header=BB59_40 Depth=1
	v_add_nc_u32_e32 v36, 1, v10
	v_cmp_gt_i32_e32 vcc_lo, s30, v10
	v_add_nc_u32_e32 v37, 2, v10
	v_add_nc_u32_e32 v38, 3, v10
	v_and_b32_e32 v39, 0xffff0000, v4
	v_cndmask_b32_e32 v1, 0, v1, vcc_lo
	v_cmp_gt_i32_e32 vcc_lo, s30, v36
	v_add_nc_u32_e32 v36, 6, v10
	v_cndmask_b32_e32 v35, 0, v35, vcc_lo
	v_cmp_gt_i32_e32 vcc_lo, s30, v37
	v_add_nc_u32_e32 v37, 5, v10
	;; [unrolled: 3-line block ×4, first 2 shown]
	v_cndmask_b32_sdwa v4, v17, v4, vcc_lo dst_sel:DWORD dst_unused:UNUSED_PAD src0_sel:DWORD src1_sel:WORD_0
	v_cmp_gt_i32_e32 vcc_lo, s30, v38
	v_cndmask_b32_e32 v38, 0, v39, vcc_lo
	v_cmp_gt_i32_e32 vcc_lo, s30, v36
	v_or_b32_e32 v4, v4, v38
	v_cndmask_b32_e32 v3, 0, v3, vcc_lo
	v_cmp_gt_i32_e32 vcc_lo, s30, v37
	v_cndmask_b32_e32 v33, 0, v33, vcc_lo
.LBB59_43:                              ;   in Loop: Header=BB59_40 Depth=1
	s_or_b32 exec_lo, exec_lo, s22
	v_and_b32_e32 v28, 0xffff, v28
	v_and_b32_e32 v31, 0xffff, v31
	v_lshlrev_b32_e32 v35, 16, v35
	v_and_b32_e32 v32, 0xffff, v32
	v_and_b32_e32 v30, 0xffff, v30
	v_lshl_or_b32 v28, v23, 16, v28
	v_lshl_or_b32 v27, v27, 16, v31
	v_lshlrev_b32_e32 v23, 16, v34
	v_lshlrev_b32_e32 v31, 16, v33
	v_and_or_b32 v1, 0xffff, v1, v35
	;;#ASMSTART
	v_pk_mul_f16 v1, v28, v1;

	;;#ASMEND
	v_lshl_or_b32 v29, v29, 16, v32
	v_and_or_b32 v2, 0xffff, v2, v23
	v_and_or_b32 v3, 0xffff, v3, v31
	v_lshl_or_b32 v30, v26, 16, v30
	;;#ASMSTART
	v_pk_mul_f16 v2, v27, v2;

	;;#ASMEND
	;;#ASMSTART
	v_pk_mul_f16 v3, v29, v3;

	;;#ASMEND
	;;#ASMSTART
	v_pk_mul_f16 v4, v30, v4;

	;;#ASMEND
	;;#ASMSTART
	v_pk_add_f16 v1, v1, v2;

	;;#ASMEND
	;;#ASMSTART
	v_pk_add_f16 v1, v1, v3;

	;;#ASMEND
	;; [unrolled: 4-line block ×3, first 2 shown]
	v_and_b32_e32 v2, 0xffff, v1
	v_lshrrev_b32_e32 v1, 16, v1
	;;#ASMSTART
	v_cvt_f32_f16 v23, v2;
	;;#ASMEND
	;;#ASMSTART
	v_cvt_f32_f16 v26, v1;
	;;#ASMEND
	global_load_dwordx4 v[1:4], v[7:8], off offset:512
	s_waitcnt vmcnt(0)
	v_lshrrev_b32_e32 v33, 16, v1
	v_lshrrev_b32_e32 v32, 16, v2
	;; [unrolled: 1-line block ×3, first 2 shown]
	s_and_saveexec_b32 s22, s1
	s_cbranch_execz .LBB59_45
; %bb.44:                               ;   in Loop: Header=BB59_40 Depth=1
	v_add_nc_u32_e32 v34, 1, v10
	v_cmp_gt_i32_e32 vcc_lo, s30, v10
	v_add_nc_u32_e32 v35, 2, v10
	v_add_nc_u32_e32 v36, 3, v10
	v_and_b32_e32 v37, 0xffff0000, v4
	v_cndmask_b32_e32 v1, 0, v1, vcc_lo
	v_cmp_gt_i32_e32 vcc_lo, s30, v34
	v_add_nc_u32_e32 v34, 6, v10
	v_cndmask_b32_e32 v33, 0, v33, vcc_lo
	v_cmp_gt_i32_e32 vcc_lo, s30, v35
	v_add_nc_u32_e32 v35, 5, v10
	;; [unrolled: 3-line block ×4, first 2 shown]
	v_cndmask_b32_sdwa v4, v17, v4, vcc_lo dst_sel:DWORD dst_unused:UNUSED_PAD src0_sel:DWORD src1_sel:WORD_0
	v_cmp_gt_i32_e32 vcc_lo, s30, v36
	v_cndmask_b32_e32 v36, 0, v37, vcc_lo
	v_cmp_gt_i32_e32 vcc_lo, s30, v34
	v_or_b32_e32 v4, v4, v36
	v_cndmask_b32_e32 v3, 0, v3, vcc_lo
	v_cmp_gt_i32_e32 vcc_lo, s30, v35
	v_cndmask_b32_e32 v31, 0, v31, vcc_lo
.LBB59_45:                              ;   in Loop: Header=BB59_40 Depth=1
	s_or_b32 exec_lo, exec_lo, s22
	v_lshlrev_b32_e32 v33, 16, v33
	v_lshlrev_b32_e32 v32, 16, v32
	;; [unrolled: 1-line block ×3, first 2 shown]
	v_and_or_b32 v1, 0xffff, v1, v33
	v_and_or_b32 v2, 0xffff, v2, v32
	v_and_or_b32 v3, 0xffff, v3, v31
	;;#ASMSTART
	v_pk_mul_f16 v1, v28, v1;

	;;#ASMEND
	;;#ASMSTART
	v_pk_mul_f16 v2, v27, v2;

	;;#ASMEND
	;; [unrolled: 4-line block ×4, first 2 shown]
	;;#ASMSTART
	v_pk_add_f16 v1, v1, v2;

	;;#ASMEND
	;;#ASMSTART
	v_pk_add_f16 v1, v1, v3;

	;;#ASMEND
	;; [unrolled: 4-line block ×3, first 2 shown]
	v_and_b32_e32 v2, 0xffff, v1
	v_lshrrev_b32_e32 v1, 16, v1
	;;#ASMSTART
	v_cvt_f32_f16 v31, v2;
	;;#ASMEND
	;;#ASMSTART
	v_cvt_f32_f16 v32, v1;
	;;#ASMEND
	global_load_dwordx4 v[1:4], v[7:8], off offset:1024
	s_waitcnt vmcnt(0)
	v_lshrrev_b32_e32 v33, 16, v1
	v_lshrrev_b32_e32 v8, 16, v2
	;; [unrolled: 1-line block ×3, first 2 shown]
	s_and_saveexec_b32 s22, s1
	s_cbranch_execz .LBB59_47
; %bb.46:                               ;   in Loop: Header=BB59_40 Depth=1
	v_add_nc_u32_e32 v34, 1, v10
	v_cmp_gt_i32_e32 vcc_lo, s30, v10
	v_add_nc_u32_e32 v35, 2, v10
	v_add_nc_u32_e32 v36, 3, v10
	v_and_b32_e32 v37, 0xffff0000, v4
	v_cndmask_b32_e32 v1, 0, v1, vcc_lo
	v_cmp_gt_i32_e32 vcc_lo, s30, v34
	v_add_nc_u32_e32 v34, 6, v10
	v_cndmask_b32_e32 v33, 0, v33, vcc_lo
	v_cmp_gt_i32_e32 vcc_lo, s30, v35
	v_add_nc_u32_e32 v35, 5, v10
	;; [unrolled: 3-line block ×4, first 2 shown]
	v_cndmask_b32_sdwa v4, v17, v4, vcc_lo dst_sel:DWORD dst_unused:UNUSED_PAD src0_sel:DWORD src1_sel:WORD_0
	v_cmp_gt_i32_e32 vcc_lo, s30, v36
	v_cndmask_b32_e32 v36, 0, v37, vcc_lo
	v_cmp_gt_i32_e32 vcc_lo, s30, v34
	v_or_b32_e32 v4, v4, v36
	v_cndmask_b32_e32 v3, 0, v3, vcc_lo
	v_cmp_gt_i32_e32 vcc_lo, s30, v35
	v_cndmask_b32_e32 v7, 0, v7, vcc_lo
.LBB59_47:                              ;   in Loop: Header=BB59_40 Depth=1
	s_or_b32 exec_lo, exec_lo, s22
	v_lshlrev_b32_e32 v33, 16, v33
	v_lshlrev_b32_e32 v8, 16, v8
	;; [unrolled: 1-line block ×3, first 2 shown]
	v_and_or_b32 v1, 0xffff, v1, v33
	v_and_or_b32 v2, 0xffff, v2, v8
	;; [unrolled: 1-line block ×3, first 2 shown]
	;;#ASMSTART
	v_pk_mul_f16 v1, v28, v1;

	;;#ASMEND
	;;#ASMSTART
	v_pk_mul_f16 v2, v27, v2;

	;;#ASMEND
	;; [unrolled: 4-line block ×4, first 2 shown]
	;;#ASMSTART
	v_pk_add_f16 v1, v1, v2;

	;;#ASMEND
	;;#ASMSTART
	v_pk_add_f16 v1, v1, v3;

	;;#ASMEND
	;; [unrolled: 4-line block ×3, first 2 shown]
	v_and_b32_e32 v2, 0xffff, v1
	v_lshrrev_b32_e32 v1, 16, v1
	;;#ASMSTART
	v_cvt_f32_f16 v7, v2;
	;;#ASMEND
	;;#ASMSTART
	v_cvt_f32_f16 v8, v1;
	;;#ASMEND
	s_and_saveexec_b32 s22, s0
	s_cbranch_execz .LBB59_38
; %bb.48:                               ;   in Loop: Header=BB59_40 Depth=1
	v_add_co_u32 v1, vcc_lo, v24, v20
	v_add_co_ci_u32_e64 v2, null, 0, v25, vcc_lo
	global_load_dwordx4 v[1:4], v[1:2], off
	s_waitcnt vmcnt(0)
	v_lshrrev_b32_e32 v33, 16, v1
	v_lshrrev_b32_e32 v25, 16, v2
	;; [unrolled: 1-line block ×3, first 2 shown]
	s_and_saveexec_b32 s23, s1
	s_cbranch_execz .LBB59_37
; %bb.49:                               ;   in Loop: Header=BB59_40 Depth=1
	v_add_nc_u32_e32 v34, 1, v10
	v_cmp_gt_i32_e32 vcc_lo, s30, v10
	v_add_nc_u32_e32 v35, 2, v10
	v_add_nc_u32_e32 v36, 3, v10
	v_and_b32_e32 v37, 0xffff0000, v4
	v_cndmask_b32_e32 v1, 0, v1, vcc_lo
	v_cmp_gt_i32_e32 vcc_lo, s30, v34
	v_add_nc_u32_e32 v34, 6, v10
	v_cndmask_b32_e32 v33, 0, v33, vcc_lo
	v_cmp_gt_i32_e32 vcc_lo, s30, v35
	v_add_nc_u32_e32 v35, 5, v10
	;; [unrolled: 3-line block ×4, first 2 shown]
	v_cndmask_b32_sdwa v4, v17, v4, vcc_lo dst_sel:DWORD dst_unused:UNUSED_PAD src0_sel:DWORD src1_sel:WORD_0
	v_cmp_gt_i32_e32 vcc_lo, s30, v36
	v_cndmask_b32_e32 v36, 0, v37, vcc_lo
	v_cmp_gt_i32_e32 vcc_lo, s30, v34
	v_or_b32_e32 v4, v4, v36
	v_cndmask_b32_e32 v3, 0, v3, vcc_lo
	v_cmp_gt_i32_e32 vcc_lo, s30, v35
	v_cndmask_b32_e32 v24, 0, v24, vcc_lo
	s_branch .LBB59_37
.LBB59_50:
	s_or_b32 exec_lo, exec_lo, s13
.LBB59_51:
	s_or_b32 exec_lo, exec_lo, s2
	s_movk_i32 s0, 0x1e0
	v_and_b32_e32 v1, 0x3c0, v0
	v_mad_u32_u24 v4, v9, s0, 0x110
	v_or_b32_e32 v3, 0x60, v0
	s_mov_b32 s0, exec_lo
	s_barrier
	buffer_gl0_inv
	v_cmpx_eq_u32_e32 64, v1
	s_cbranch_execz .LBB59_54
; %bb.52:
	v_add_nc_u32_e32 v1, 0xfffffc40, v4
	v_cmp_gt_u32_e32 vcc_lo, 0x78, v3
	v_lshl_add_u32 v2, v11, 2, v1
	ds_write2_b32 v2, v16, v15 offset1:32
	ds_write_b32 v2, v14 offset:256
	s_and_b32 exec_lo, exec_lo, vcc_lo
; %bb.53:
	v_lshl_add_u32 v1, v3, 2, v1
	ds_write_b32 v1, v13
.LBB59_54:
	s_or_b32 exec_lo, exec_lo, s0
	v_lshl_add_u32 v5, v11, 2, v4
	s_mov_b32 s0, exec_lo
	s_waitcnt lgkmcnt(0)
	s_barrier
	buffer_gl0_inv
	v_cmpx_gt_u32_e32 64, v0
	s_cbranch_execz .LBB59_58
; %bb.55:
	v_lshl_or_b32 v1, v0, 2, 0x80
	s_mov_b32 s1, exec_lo
	v_add_nc_u32_e32 v6, v4, v1
	ds_read2st64_b32 v[1:2], v5 offset1:1
	ds_read_b32 v6, v6
	v_cmpx_gt_u32_e32 0x78, v3
	s_cbranch_execz .LBB59_57
; %bb.56:
	v_lshl_add_u32 v7, v3, 2, v4
	ds_read_b32 v7, v7
	s_waitcnt lgkmcnt(0)
	v_add_f32_e32 v13, v13, v7
.LBB59_57:
	s_or_b32 exec_lo, exec_lo, s1
	s_waitcnt lgkmcnt(1)
	v_add_f32_e32 v16, v16, v1
	s_waitcnt lgkmcnt(0)
	v_add_f32_e32 v15, v15, v6
	v_add_f32_e32 v14, v14, v2
.LBB59_58:
	s_or_b32 exec_lo, exec_lo, s0
	v_and_b32_e32 v1, 0x3e0, v0
	s_mov_b32 s0, exec_lo
	s_barrier
	buffer_gl0_inv
	v_cmpx_eq_u32_e32 32, v1
	s_cbranch_execz .LBB59_61
; %bb.59:
	v_lshl_add_u32 v1, v11, 2, 0x110
	v_cmp_gt_u32_e32 vcc_lo, 0x78, v3
	ds_write_b32 v1, v16
	ds_write_b32 v12, v15
	ds_write_b32 v1, v14 offset:256
	s_and_b32 exec_lo, exec_lo, vcc_lo
; %bb.60:
	v_lshl_add_u32 v1, v3, 2, 0x110
	ds_write_b32 v1, v13
.LBB59_61:
	s_or_b32 exec_lo, exec_lo, s0
	v_cmp_gt_u32_e32 vcc_lo, 32, v0
	s_waitcnt lgkmcnt(0)
	s_barrier
	buffer_gl0_inv
	s_and_saveexec_b32 s1, vcc_lo
	s_cbranch_execz .LBB59_65
; %bb.62:
	v_lshl_add_u32 v6, v0, 2, v4
	s_mov_b32 s2, exec_lo
	ds_read_b32 v4, v5
	ds_read2_b32 v[1:2], v6 offset0:32 offset1:64
	v_cmpx_gt_u32_e32 0x78, v3
	s_cbranch_execz .LBB59_64
; %bb.63:
	ds_read_b32 v5, v6 offset:384
	s_waitcnt lgkmcnt(0)
	v_add_f32_e32 v13, v13, v5
.LBB59_64:
	s_or_b32 exec_lo, exec_lo, s2
	s_waitcnt lgkmcnt(1)
	v_add_f32_e32 v16, v16, v4
	s_waitcnt lgkmcnt(0)
	v_add_f32_e32 v15, v15, v1
	v_add_f32_e32 v14, v14, v2
.LBB59_65:
	s_or_b32 exec_lo, exec_lo, s1
	s_barrier
	buffer_gl0_inv
	s_and_saveexec_b32 s0, vcc_lo
	s_cbranch_execz .LBB59_68
; %bb.66:
	s_mul_i32 s0, s10, s11
	s_mul_i32 s2, s11, s20
	;; [unrolled: 1-line block ×3, first 2 shown]
	v_lshlrev_b32_e32 v0, 1, v0
	s_mulk_i32 s0, 0x78
	v_cmp_gt_u32_e32 vcc_lo, 0x78, v3
	s_ashr_i32 s1, s0, 31
	;;#ASMSTART
	v_cvt_f16_f32 v1, v16;

	;;#ASMEND
	s_lshl_b64 s[0:1], s[0:1], 1
	s_add_u32 s4, s6, s0
	s_addc_u32 s5, s7, s1
	s_ashr_i32 s3, s2, 31
	s_lshl_b64 s[0:1], s[2:3], 1
	s_mul_i32 s2, s8, 0x78
	s_add_u32 s4, s4, s0
	s_addc_u32 s5, s5, s1
	s_ashr_i32 s3, s2, 31
	s_lshl_b64 s[0:1], s[2:3], 1
	s_add_u32 s0, s4, s0
	s_addc_u32 s1, s5, s1
	global_store_short v0, v1, s[0:1]
	;;#ASMSTART
	v_cvt_f16_f32 v1, v15;

	;;#ASMEND
	global_store_short v0, v1, s[0:1] offset:64
	;;#ASMSTART
	v_cvt_f16_f32 v1, v14;

	;;#ASMEND
	global_store_short v0, v1, s[0:1] offset:128
	s_and_b32 exec_lo, exec_lo, vcc_lo
	s_cbranch_execz .LBB59_68
; %bb.67:
	v_add_co_u32 v0, s0, s0, v0
	v_add_co_ci_u32_e64 v1, null, s1, 0, s0
	;;#ASMSTART
	v_cvt_f16_f32 v2, v13;

	;;#ASMEND
	global_store_short v[0:1], v2, off offset:192
.LBB59_68:
	s_endpgm
	.section	.rodata,"a",@progbits
	.p2align	6, 0x0
	.amdhsa_kernel _ZN4vllm25paged_attention_v1_kernelIttLi120ELi8ELi128ELNS_18Fp8KVCacheDataTypeE0ELb1EEEvPT_PKS2_PKT0_S8_ifPKiSA_iPKfiiiSC_SC_iiiii
		.amdhsa_group_segment_fixed_size 272
		.amdhsa_private_segment_fixed_size 0
		.amdhsa_kernarg_size 384
		.amdhsa_user_sgpr_count 6
		.amdhsa_user_sgpr_private_segment_buffer 1
		.amdhsa_user_sgpr_dispatch_ptr 0
		.amdhsa_user_sgpr_queue_ptr 0
		.amdhsa_user_sgpr_kernarg_segment_ptr 1
		.amdhsa_user_sgpr_dispatch_id 0
		.amdhsa_user_sgpr_flat_scratch_init 0
		.amdhsa_user_sgpr_private_segment_size 0
		.amdhsa_wavefront_size32 1
		.amdhsa_uses_dynamic_stack 0
		.amdhsa_system_sgpr_private_segment_wavefront_offset 0
		.amdhsa_system_sgpr_workgroup_id_x 1
		.amdhsa_system_sgpr_workgroup_id_y 1
		.amdhsa_system_sgpr_workgroup_id_z 1
		.amdhsa_system_sgpr_workgroup_info 0
		.amdhsa_system_vgpr_workitem_id 0
		.amdhsa_next_free_vgpr 72
		.amdhsa_next_free_sgpr 38
		.amdhsa_reserve_vcc 1
		.amdhsa_reserve_flat_scratch 0
		.amdhsa_float_round_mode_32 0
		.amdhsa_float_round_mode_16_64 0
		.amdhsa_float_denorm_mode_32 3
		.amdhsa_float_denorm_mode_16_64 3
		.amdhsa_dx10_clamp 1
		.amdhsa_ieee_mode 1
		.amdhsa_fp16_overflow 0
		.amdhsa_workgroup_processor_mode 1
		.amdhsa_memory_ordered 1
		.amdhsa_forward_progress 1
		.amdhsa_shared_vgpr_count 0
		.amdhsa_exception_fp_ieee_invalid_op 0
		.amdhsa_exception_fp_denorm_src 0
		.amdhsa_exception_fp_ieee_div_zero 0
		.amdhsa_exception_fp_ieee_overflow 0
		.amdhsa_exception_fp_ieee_underflow 0
		.amdhsa_exception_fp_ieee_inexact 0
		.amdhsa_exception_int_div_zero 0
	.end_amdhsa_kernel
	.section	.text._ZN4vllm25paged_attention_v1_kernelIttLi120ELi8ELi128ELNS_18Fp8KVCacheDataTypeE0ELb1EEEvPT_PKS2_PKT0_S8_ifPKiSA_iPKfiiiSC_SC_iiiii,"axG",@progbits,_ZN4vllm25paged_attention_v1_kernelIttLi120ELi8ELi128ELNS_18Fp8KVCacheDataTypeE0ELb1EEEvPT_PKS2_PKT0_S8_ifPKiSA_iPKfiiiSC_SC_iiiii,comdat
.Lfunc_end59:
	.size	_ZN4vllm25paged_attention_v1_kernelIttLi120ELi8ELi128ELNS_18Fp8KVCacheDataTypeE0ELb1EEEvPT_PKS2_PKT0_S8_ifPKiSA_iPKfiiiSC_SC_iiiii, .Lfunc_end59-_ZN4vllm25paged_attention_v1_kernelIttLi120ELi8ELi128ELNS_18Fp8KVCacheDataTypeE0ELb1EEEvPT_PKS2_PKT0_S8_ifPKiSA_iPKfiiiSC_SC_iiiii
                                        ; -- End function
	.set _ZN4vllm25paged_attention_v1_kernelIttLi120ELi8ELi128ELNS_18Fp8KVCacheDataTypeE0ELb1EEEvPT_PKS2_PKT0_S8_ifPKiSA_iPKfiiiSC_SC_iiiii.num_vgpr, 72
	.set _ZN4vllm25paged_attention_v1_kernelIttLi120ELi8ELi128ELNS_18Fp8KVCacheDataTypeE0ELb1EEEvPT_PKS2_PKT0_S8_ifPKiSA_iPKfiiiSC_SC_iiiii.num_agpr, 0
	.set _ZN4vllm25paged_attention_v1_kernelIttLi120ELi8ELi128ELNS_18Fp8KVCacheDataTypeE0ELb1EEEvPT_PKS2_PKT0_S8_ifPKiSA_iPKfiiiSC_SC_iiiii.numbered_sgpr, 38
	.set _ZN4vllm25paged_attention_v1_kernelIttLi120ELi8ELi128ELNS_18Fp8KVCacheDataTypeE0ELb1EEEvPT_PKS2_PKT0_S8_ifPKiSA_iPKfiiiSC_SC_iiiii.num_named_barrier, 0
	.set _ZN4vllm25paged_attention_v1_kernelIttLi120ELi8ELi128ELNS_18Fp8KVCacheDataTypeE0ELb1EEEvPT_PKS2_PKT0_S8_ifPKiSA_iPKfiiiSC_SC_iiiii.private_seg_size, 0
	.set _ZN4vllm25paged_attention_v1_kernelIttLi120ELi8ELi128ELNS_18Fp8KVCacheDataTypeE0ELb1EEEvPT_PKS2_PKT0_S8_ifPKiSA_iPKfiiiSC_SC_iiiii.uses_vcc, 1
	.set _ZN4vllm25paged_attention_v1_kernelIttLi120ELi8ELi128ELNS_18Fp8KVCacheDataTypeE0ELb1EEEvPT_PKS2_PKT0_S8_ifPKiSA_iPKfiiiSC_SC_iiiii.uses_flat_scratch, 0
	.set _ZN4vllm25paged_attention_v1_kernelIttLi120ELi8ELi128ELNS_18Fp8KVCacheDataTypeE0ELb1EEEvPT_PKS2_PKT0_S8_ifPKiSA_iPKfiiiSC_SC_iiiii.has_dyn_sized_stack, 0
	.set _ZN4vllm25paged_attention_v1_kernelIttLi120ELi8ELi128ELNS_18Fp8KVCacheDataTypeE0ELb1EEEvPT_PKS2_PKT0_S8_ifPKiSA_iPKfiiiSC_SC_iiiii.has_recursion, 0
	.set _ZN4vllm25paged_attention_v1_kernelIttLi120ELi8ELi128ELNS_18Fp8KVCacheDataTypeE0ELb1EEEvPT_PKS2_PKT0_S8_ifPKiSA_iPKfiiiSC_SC_iiiii.has_indirect_call, 0
	.section	.AMDGPU.csdata,"",@progbits
; Kernel info:
; codeLenInByte = 7468
; TotalNumSgprs: 40
; NumVgprs: 72
; ScratchSize: 0
; MemoryBound: 0
; FloatMode: 240
; IeeeMode: 1
; LDSByteSize: 272 bytes/workgroup (compile time only)
; SGPRBlocks: 0
; VGPRBlocks: 8
; NumSGPRsForWavesPerEU: 40
; NumVGPRsForWavesPerEU: 72
; Occupancy: 12
; WaveLimiterHint : 1
; COMPUTE_PGM_RSRC2:SCRATCH_EN: 0
; COMPUTE_PGM_RSRC2:USER_SGPR: 6
; COMPUTE_PGM_RSRC2:TRAP_HANDLER: 0
; COMPUTE_PGM_RSRC2:TGID_X_EN: 1
; COMPUTE_PGM_RSRC2:TGID_Y_EN: 1
; COMPUTE_PGM_RSRC2:TGID_Z_EN: 1
; COMPUTE_PGM_RSRC2:TIDIG_COMP_CNT: 0
	.section	.text._ZN4vllm25paged_attention_v1_kernelIttLi128ELi8ELi128ELNS_18Fp8KVCacheDataTypeE0ELb1EEEvPT_PKS2_PKT0_S8_ifPKiSA_iPKfiiiSC_SC_iiiii,"axG",@progbits,_ZN4vllm25paged_attention_v1_kernelIttLi128ELi8ELi128ELNS_18Fp8KVCacheDataTypeE0ELb1EEEvPT_PKS2_PKT0_S8_ifPKiSA_iPKfiiiSC_SC_iiiii,comdat
	.protected	_ZN4vllm25paged_attention_v1_kernelIttLi128ELi8ELi128ELNS_18Fp8KVCacheDataTypeE0ELb1EEEvPT_PKS2_PKT0_S8_ifPKiSA_iPKfiiiSC_SC_iiiii ; -- Begin function _ZN4vllm25paged_attention_v1_kernelIttLi128ELi8ELi128ELNS_18Fp8KVCacheDataTypeE0ELb1EEEvPT_PKS2_PKT0_S8_ifPKiSA_iPKfiiiSC_SC_iiiii
	.globl	_ZN4vllm25paged_attention_v1_kernelIttLi128ELi8ELi128ELNS_18Fp8KVCacheDataTypeE0ELb1EEEvPT_PKS2_PKT0_S8_ifPKiSA_iPKfiiiSC_SC_iiiii
	.p2align	8
	.type	_ZN4vllm25paged_attention_v1_kernelIttLi128ELi8ELi128ELNS_18Fp8KVCacheDataTypeE0ELb1EEEvPT_PKS2_PKT0_S8_ifPKiSA_iPKfiiiSC_SC_iiiii,@function
_ZN4vllm25paged_attention_v1_kernelIttLi128ELi8ELi128ELNS_18Fp8KVCacheDataTypeE0ELb1EEEvPT_PKS2_PKT0_S8_ifPKiSA_iPKfiiiSC_SC_iiiii: ; @_ZN4vllm25paged_attention_v1_kernelIttLi128ELi8ELi128ELNS_18Fp8KVCacheDataTypeE0ELb1EEEvPT_PKS2_PKT0_S8_ifPKiSA_iPKfiiiSC_SC_iiiii
; %bb.0:
	s_clause 0x2
	s_load_dword s9, s[4:5], 0x80
	s_load_dwordx2 s[0:1], s[4:5], 0x30
	s_load_dwordx2 s[28:29], s[4:5], 0x20
	s_mov_b32 s10, s7
	s_ashr_i32 s11, s7, 31
	s_mov_b32 s33, 0
	s_lshl_b64 s[2:3], s[10:11], 2
	s_waitcnt lgkmcnt(0)
	s_add_u32 s0, s0, s2
	s_addc_u32 s1, s1, s3
	s_abs_i32 s2, s28
	s_abs_i32 s11, s9
	v_cvt_f32_u32_e32 v1, s2
	s_sub_i32 s7, 0, s2
	v_rcp_iflag_f32_e32 v1, v1
	v_mul_f32_e32 v1, 0x4f7ffffe, v1
	v_cvt_u32_f32_e32 v1, v1
	v_readfirstlane_b32 s3, v1
	s_mul_i32 s7, s7, s3
	s_mul_hi_u32 s7, s3, s7
	s_add_i32 s3, s3, s7
	s_xor_b32 s7, s9, s28
	s_mul_hi_u32 s3, s11, s3
	s_ashr_i32 s7, s7, 31
	s_mul_i32 s12, s3, s2
	s_sub_i32 s11, s11, s12
	s_add_i32 s12, s3, 1
	s_sub_i32 s13, s11, s2
	s_cmp_ge_u32 s11, s2
	s_cselect_b32 s3, s12, s3
	s_cselect_b32 s11, s13, s11
	s_add_i32 s12, s3, 1
	s_cmp_ge_u32 s11, s2
	s_cselect_b32 s2, s12, s3
	s_abs_i32 s22, s6
	s_xor_b32 s2, s2, s7
	s_sub_i32 s16, s2, s7
	s_load_dwordx2 s[2:3], s[4:5], 0x40
	s_abs_i32 s11, s16
	v_cvt_f32_u32_e32 v1, s11
	s_sub_i32 s12, 0, s11
	v_rcp_iflag_f32_e32 v1, v1
	v_mul_f32_e32 v1, 0x4f7ffffe, v1
	v_cvt_u32_f32_e32 v1, v1
	v_readfirstlane_b32 s7, v1
	s_mul_i32 s12, s12, s7
	s_mul_hi_u32 s12, s7, s12
	s_add_i32 s7, s7, s12
	s_waitcnt lgkmcnt(0)
	s_cmp_eq_u64 s[2:3], 0
	s_mul_hi_u32 s23, s22, s7
	s_cbranch_scc1 .LBB60_2
; %bb.1:
	s_ashr_i32 s7, s6, 31
	s_lshl_b64 s[12:13], s[6:7], 2
	s_add_u32 s2, s2, s12
	s_addc_u32 s3, s3, s13
	s_load_dword s33, s[2:3], 0x0
.LBB60_2:
	s_load_dword s30, s[0:1], 0x0
	s_load_dwordx4 s[12:15], s[4:5], 0x48
	v_and_b32_e32 v1, 3, v0
	v_cmp_gt_u32_e64 s0, 64, v0
	v_lshlrev_b32_e32 v2, 2, v0
	s_ashr_i32 s1, s6, 31
	s_ashr_i32 s2, s16, 31
	s_lshl_b32 s20, s6, 7
	s_and_saveexec_b32 s3, s0
	s_cbranch_execz .LBB60_4
; %bb.3:
	s_load_dwordx2 s[16:17], s[4:5], 0x8
	s_waitcnt lgkmcnt(0)
	s_mul_i32 s18, s12, s10
	v_and_b32_e32 v4, 0x3fc, v0
	s_ashr_i32 s19, s18, 31
	s_lshl_b64 s[18:19], s[18:19], 1
	v_lshl_add_u32 v4, v1, 6, v4
	s_add_u32 s7, s16, s18
	s_addc_u32 s12, s17, s19
	s_ashr_i32 s21, s20, 31
	s_lshl_b64 s[16:17], s[20:21], 1
	s_add_u32 s16, s7, s16
	s_addc_u32 s17, s12, s17
	global_load_dword v3, v2, s[16:17]
	s_waitcnt vmcnt(0)
	ds_write_b32 v4, v3
.LBB60_4:
	s_or_b32 exec_lo, exec_lo, s3
	s_load_dwordx4 s[16:19], s[4:5], 0x68
	s_mul_i32 s3, s23, s11
	s_xor_b32 s2, s1, s2
	s_sub_i32 s1, s22, s3
	s_add_i32 s3, s23, 1
	s_sub_i32 s7, s1, s11
	s_cmp_ge_u32 s1, s11
	s_waitcnt lgkmcnt(0)
	s_mov_b32 s15, -1
	s_cselect_b32 s3, s3, s23
	s_cselect_b32 s1, s7, s1
	s_add_i32 s7, s3, 1
	s_cmp_ge_u32 s1, s11
	s_load_dword s1, s[4:5], 0x78
	s_cselect_b32 s3, s7, s3
	s_add_i32 s11, s30, -1
	s_xor_b32 s3, s3, s2
	s_abs_i32 s7, s11
	s_sub_i32 s2, s3, s2
	s_waitcnt lgkmcnt(0)
	s_barrier
	s_abs_i32 s12, s19
	buffer_gl0_inv
	v_cvt_f32_u32_e32 v3, s12
	s_sub_i32 s3, 0, s12
                                        ; implicit-def: $sgpr31
	v_rcp_iflag_f32_e32 v3, v3
	v_mul_f32_e32 v3, 0x4f7ffffe, v3
	v_cvt_u32_f32_e32 v3, v3
	v_readfirstlane_b32 s21, v3
	s_mul_i32 s3, s3, s21
	s_mul_hi_u32 s3, s21, s3
	s_add_i32 s21, s21, s3
	s_cmp_lt_i32 s1, 0
	s_mul_hi_u32 s3, s7, s21
	s_cbranch_scc0 .LBB60_6
; %bb.5:
	s_mul_i32 s15, s16, s28
	s_add_i32 s15, s2, s15
	s_mul_i32 s15, s15, s1
	s_sub_i32 s31, 1, s15
	s_mov_b32 s15, 0
.LBB60_6:
	s_load_dwordx2 s[22:23], s[4:5], 0x28
	s_ashr_i32 s11, s11, 31
	s_andn2_b32 vcc_lo, exec_lo, s15
	s_ashr_i32 s19, s19, 31
	s_cbranch_vccnz .LBB60_8
; %bb.7:
	s_mul_i32 s15, s9, s16
	s_add_i32 s6, s15, s6
	s_mul_i32 s1, s6, s1
	s_add_i32 s31, s1, 1
.LBB60_8:
	s_load_dword s1, s[4:5], 0x38
	s_mul_i32 s6, s3, s12
	s_xor_b32 s15, s11, s19
	s_sub_i32 s28, s7, s6
	s_add_i32 s16, s3, 1
	s_clause 0x2
	s_load_dwordx2 s[6:7], s[4:5], 0x0
	s_load_dwordx2 s[26:27], s[4:5], 0x18
	s_load_dword s11, s[4:5], 0x88
	v_lshrrev_b32_e32 v9, 5, v0
	v_mov_b32_e32 v5, 0xff7fffff
	v_lshrrev_b32_e32 v3, 3, v0
	v_mbcnt_lo_u32_b32 v4, -1, 0
	s_mul_i32 s14, s2, s14
	v_lshlrev_b32_e32 v10, 3, v9
	s_waitcnt lgkmcnt(0)
	s_mul_i32 s24, s1, s10
	s_sub_i32 s1, s28, s12
	s_ashr_i32 s25, s24, 31
	s_cmp_ge_u32 s28, s12
	s_cselect_b32 s3, s16, s3
	s_cselect_b32 s1, s1, s28
	s_add_i32 s16, s3, 1
	s_cmp_ge_u32 s1, s12
	s_cselect_b32 s1, s16, s3
	s_add_i32 s3, s30, 7
	s_ashr_i32 s16, s3, 31
	s_lshr_b32 s16, s16, 29
	s_add_i32 s3, s3, s16
	s_ashr_i32 s16, s3, 3
	s_xor_b32 s3, s1, s15
	v_cmp_gt_i32_e64 s1, s16, v9
	s_sub_i32 s28, s3, s15
	s_and_saveexec_b32 s34, s1
	s_cbranch_execz .LBB60_20
; %bb.9:
	s_load_dwordx2 s[2:3], s[4:5], 0x10
	s_ashr_i32 s15, s14, 31
	s_sub_i32 s5, s28, s17
	s_lshl_b64 s[36:37], s[14:15], 1
	v_bfe_u32 v6, v0, 2, 3
	v_and_b32_e32 v16, 12, v2
	v_cmp_eq_u32_e32 vcc_lo, 0, v1
	v_lshlrev_b32_e32 v7, 6, v1
	v_and_b32_e32 v1, 0x7c, v3
	v_lshlrev_b32_e32 v2, 2, v6
	v_subrev_nc_u32_e32 v15, s30, v6
	v_lshlrev_b32_e32 v17, 4, v6
	v_lshlrev_b32_e32 v8, 3, v9
	v_mov_b32_e32 v11, 0xff7fffff
	v_lshl_or_b32 v2, v9, 5, v2
	v_xor_b32_e32 v12, 2, v4
	v_xor_b32_e32 v13, 1, v4
	s_waitcnt lgkmcnt(0)
	s_add_u32 s4, s2, s36
	s_addc_u32 s3, s3, s37
	s_abs_i32 s15, s18
	s_lshl_b64 s[36:37], s[24:25], 2
	v_cvt_f32_u32_e32 v5, s15
	s_sub_i32 s35, 0, s15
	v_add_co_u32 v17, s4, s4, v17
	v_add_co_ci_u32_e64 v19, null, s3, 0, s4
	v_rcp_iflag_f32_e32 v5, v5
	s_add_u32 s3, s22, s36
	s_addc_u32 s4, s23, s37
	v_add_co_u32 v1, s3, s3, v1
	v_cmp_neq_f32_e64 s2, s33, 0
	s_mov_b32 s36, s13
	v_mul_f32_e32 v14, 0x4f7ffffe, v5
	v_mov_b32_e32 v5, 0xff7fffff
	v_cvt_u32_f32_e32 v18, v14
	v_add_nc_u32_e32 v14, 1, v15
	v_add_nc_u32_e32 v15, 0x120, v2
	v_mul_lo_u32 v2, s35, v18
	s_mov_b32 s35, 0
	v_mul_hi_u32 v20, v18, v2
	v_add_co_ci_u32_e64 v2, null, s4, 0, s3
	v_add_co_u32 v16, s3, v17, v16
	v_add_co_ci_u32_e64 v17, null, 0, v19, s3
	v_mov_b32_e32 v19, v9
	v_add_nc_u32_e32 v18, v18, v20
	s_branch .LBB60_12
.LBB60_10:                              ;   in Loop: Header=BB60_12 Depth=1
	s_or_b32 exec_lo, exec_lo, s37
.LBB60_11:                              ;   in Loop: Header=BB60_12 Depth=1
	s_or_b32 exec_lo, exec_lo, s4
	v_add_nc_u32_e32 v19, 4, v19
	v_add_co_u32 v1, s4, v1, 16
	v_add_co_ci_u32_e64 v2, null, 0, v2, s4
	v_cmp_le_i32_e64 s3, s16, v19
	v_add_nc_u32_e32 v8, 32, v8
	v_add_nc_u32_e32 v15, 0x80, v15
	s_or_b32 s35, s3, s35
	s_andn2_b32 exec_lo, exec_lo, s35
	s_cbranch_execz .LBB60_19
.LBB60_12:                              ; =>This Inner Loop Header: Depth=1
	v_mul_hi_u32 v20, v8, s21
	s_waitcnt lgkmcnt(0)
	v_mul_lo_u32 v21, v20, s12
	v_add_nc_u32_e32 v22, 1, v20
	v_sub_nc_u32_e32 v21, v8, v21
	v_subrev_nc_u32_e32 v23, s12, v21
	v_cmp_le_u32_e64 s3, s12, v21
	v_cndmask_b32_e64 v20, v20, v22, s3
	v_cndmask_b32_e64 v21, v21, v23, s3
	v_add_nc_u32_e32 v22, 1, v20
	v_cmp_le_u32_e64 s3, s12, v21
	v_cndmask_b32_e64 v20, v20, v22, s3
	v_xor_b32_e32 v20, s19, v20
	v_subrev_nc_u32_e32 v20, s19, v20
	v_add_nc_u32_e32 v21, s31, v20
	v_cmp_ge_i32_e64 s4, s5, v20
	v_sub_nc_u32_e32 v22, 0, v21
	v_max_i32_e32 v22, v21, v22
	v_ashrrev_i32_e32 v21, 31, v21
	v_mul_hi_u32 v23, v22, v18
	v_mul_lo_u32 v23, v23, s15
	v_sub_nc_u32_e32 v22, v22, v23
	v_subrev_nc_u32_e32 v23, s15, v22
	v_cmp_le_u32_e64 s3, s15, v22
	v_cndmask_b32_e64 v22, v22, v23, s3
	v_subrev_nc_u32_e32 v23, s15, v22
	v_cmp_le_u32_e64 s3, s15, v22
	v_cndmask_b32_e64 v22, v22, v23, s3
	v_xor_b32_e32 v22, v22, v21
	v_sub_nc_u32_e32 v21, v22, v21
	v_cmp_ne_u32_e64 s3, 0, v21
	s_and_b32 s3, s3, s4
	s_and_saveexec_b32 s4, s3
	s_xor_b32 s3, exec_lo, s4
	s_cbranch_execz .LBB60_16
; %bb.13:                               ;   in Loop: Header=BB60_12 Depth=1
	s_and_saveexec_b32 s4, vcc_lo
; %bb.14:                               ;   in Loop: Header=BB60_12 Depth=1
	ds_write_b32 v15, v11
; %bb.15:                               ;   in Loop: Header=BB60_12 Depth=1
	s_or_b32 exec_lo, exec_lo, s4
.LBB60_16:                              ;   in Loop: Header=BB60_12 Depth=1
	s_andn2_saveexec_b32 s4, s3
	s_cbranch_execz .LBB60_11
; %bb.17:                               ;   in Loop: Header=BB60_12 Depth=1
	global_load_dword v20, v[1:2], off
	s_waitcnt vmcnt(0)
	v_mad_i64_i32 v[20:21], null, v20, s36, 0
	v_lshlrev_b64 v[20:21], 1, v[20:21]
	v_add_co_u32 v23, s3, v16, v20
	v_add_co_ci_u32_e64 v24, null, v17, v21, s3
	v_cmp_gt_i32_e64 s3, 32, v12
	s_clause 0xa
	global_load_dword v20, v[23:24], off
	global_load_dword v28, v[23:24], off offset:128
	global_load_dword v34, v[23:24], off offset:256
	;; [unrolled: 1-line block ×10, first 2 shown]
	ds_read_b32 v21, v7
	s_waitcnt lgkmcnt(0)
	v_lshrrev_b32_e32 v25, 16, v21
	v_and_b32_e32 v26, 0xffff, v21
	s_waitcnt vmcnt(10)
	v_and_b32_e32 v29, 0xffff, v20
	v_lshrrev_b32_e32 v31, 16, v20
	s_clause 0x4
	global_load_dword v30, v[23:24], off offset:1408
	global_load_dword v27, v[23:24], off offset:1536
	;; [unrolled: 1-line block ×5, first 2 shown]
	;;#ASMSTART
	v_cvt_f32_f16 v23, v26;
	;;#ASMEND
	;;#ASMSTART
	v_cvt_f32_f16 v24, v25;
	;;#ASMEND
	;; [unrolled: 3-line block ×4, first 2 shown]
	ds_read_b32 v29, v7 offset:4
	s_waitcnt vmcnt(14)
	v_and_b32_e32 v33, 0xffff, v28
	v_lshrrev_b32_e32 v35, 16, v28
	s_waitcnt vmcnt(13)
	v_and_b32_e32 v37, 0xffff, v34
	v_lshrrev_b32_e32 v40, 16, v34
	;; [unrolled: 3-line block ×9, first 2 shown]
	s_waitcnt vmcnt(5)
	v_and_b32_e32 v68, 0xffff, v32
	s_waitcnt lgkmcnt(0)
	v_and_b32_e32 v31, 0xffff, v29
	v_lshrrev_b32_e32 v29, 16, v29
	;;#ASMSTART
	v_cvt_f32_f16 v28, v31;
	;;#ASMEND
	;;#ASMSTART
	v_cvt_f32_f16 v29, v29;
	;;#ASMEND
	;; [unrolled: 3-line block ×4, first 2 shown]
	ds_read_b32 v35, v7 offset:8
	v_lshrrev_b32_e32 v69, 16, v32
	v_mul_f32_e32 v28, v28, v31
	v_mul_f32_e32 v29, v29, v33
	v_fmac_f32_e32 v28, v23, v25
	v_fmac_f32_e32 v29, v24, v26
	s_waitcnt lgkmcnt(0)
	v_and_b32_e32 v36, 0xffff, v35
	v_lshrrev_b32_e32 v35, 16, v35
	;;#ASMSTART
	v_cvt_f32_f16 v34, v36;
	;;#ASMEND
	;;#ASMSTART
	v_cvt_f32_f16 v35, v35;
	;;#ASMEND
	;;#ASMSTART
	v_cvt_f32_f16 v36, v37;
	;;#ASMEND
	;;#ASMSTART
	v_cvt_f32_f16 v37, v40;
	;;#ASMEND
	ds_read_b32 v40, v7 offset:12
	v_fmac_f32_e32 v28, v34, v36
	v_fmac_f32_e32 v29, v35, v37
	s_waitcnt lgkmcnt(0)
	v_and_b32_e32 v46, 0xffff, v40
	v_lshrrev_b32_e32 v40, 16, v40
	;;#ASMSTART
	v_cvt_f32_f16 v39, v46;
	;;#ASMEND
	;;#ASMSTART
	v_cvt_f32_f16 v40, v40;
	;;#ASMEND
	;;#ASMSTART
	v_cvt_f32_f16 v46, v47;
	;;#ASMEND
	;;#ASMSTART
	v_cvt_f32_f16 v47, v48;
	;;#ASMEND
	ds_read_b32 v48, v7 offset:16
	;; [unrolled: 18-line block ×9, first 2 shown]
	v_fmac_f32_e32 v28, v32, v67
	v_fmac_f32_e32 v29, v66, v68
	s_waitcnt lgkmcnt(0)
	v_and_b32_e32 v70, 0xffff, v69
	v_lshrrev_b32_e32 v69, 16, v69
	s_waitcnt vmcnt(4)
	v_and_b32_e32 v71, 0xffff, v30
	v_lshrrev_b32_e32 v72, 16, v30
	;;#ASMSTART
	v_cvt_f32_f16 v30, v70;
	;;#ASMEND
	;;#ASMSTART
	v_cvt_f32_f16 v69, v69;
	;;#ASMEND
	;; [unrolled: 3-line block ×4, first 2 shown]
	ds_read_b32 v72, v7 offset:48
	s_waitcnt vmcnt(3)
	v_and_b32_e32 v74, 0xffff, v27
	v_lshrrev_b32_e32 v75, 16, v27
	s_waitcnt vmcnt(2)
	v_lshrrev_b32_e32 v25, 16, v22
	v_and_b32_e32 v26, 0xffff, v22
	s_waitcnt vmcnt(1)
	v_lshrrev_b32_e32 v33, 16, v21
	v_and_b32_e32 v34, 0xffff, v21
	v_fmac_f32_e32 v28, v30, v70
	v_fmac_f32_e32 v29, v69, v71
	s_waitcnt vmcnt(0)
	v_lshrrev_b32_e32 v30, 16, v20
	s_waitcnt lgkmcnt(0)
	v_and_b32_e32 v73, 0xffff, v72
	v_lshrrev_b32_e32 v72, 16, v72
	;;#ASMSTART
	v_cvt_f32_f16 v27, v73;
	;;#ASMEND
	;;#ASMSTART
	v_cvt_f32_f16 v72, v72;
	;;#ASMEND
	;;#ASMSTART
	v_cvt_f32_f16 v73, v74;
	;;#ASMEND
	;;#ASMSTART
	v_cvt_f32_f16 v74, v75;
	;;#ASMEND
	ds_read_b32 v75, v7 offset:52
	v_fmac_f32_e32 v28, v27, v73
	v_fmac_f32_e32 v29, v72, v74
	v_cndmask_b32_e64 v27, v4, v12, s3
	v_cmp_gt_i32_e64 s3, 32, v13
	s_waitcnt lgkmcnt(0)
	v_and_b32_e32 v23, 0xffff, v75
	v_lshrrev_b32_e32 v24, 16, v75
	;;#ASMSTART
	v_cvt_f32_f16 v22, v23;
	;;#ASMEND
	;;#ASMSTART
	v_cvt_f32_f16 v23, v24;
	;;#ASMEND
	;;#ASMSTART
	v_cvt_f32_f16 v24, v26;
	;;#ASMEND
	;;#ASMSTART
	v_cvt_f32_f16 v25, v25;
	;;#ASMEND
	ds_read_b32 v26, v7 offset:56
	v_fmac_f32_e32 v28, v22, v24
	v_fmac_f32_e32 v29, v23, v25
	v_and_b32_e32 v24, 0xffff, v20
	s_waitcnt lgkmcnt(0)
	v_and_b32_e32 v31, 0xffff, v26
	v_lshrrev_b32_e32 v26, 16, v26
	;;#ASMSTART
	v_cvt_f32_f16 v21, v31;
	;;#ASMEND
	;;#ASMSTART
	v_cvt_f32_f16 v26, v26;
	;;#ASMEND
	;; [unrolled: 3-line block ×4, first 2 shown]
	ds_read_b32 v34, v7 offset:60
	v_fmac_f32_e32 v28, v21, v31
	v_fmac_f32_e32 v29, v26, v33
	s_waitcnt lgkmcnt(0)
	v_and_b32_e32 v22, 0xffff, v34
	v_lshrrev_b32_e32 v23, 16, v34
	;;#ASMSTART
	v_cvt_f32_f16 v20, v22;
	;;#ASMEND
	;;#ASMSTART
	v_cvt_f32_f16 v21, v23;
	;;#ASMEND
	;; [unrolled: 3-line block ×4, first 2 shown]
	v_fmac_f32_e32 v28, v20, v22
	v_fmac_f32_e32 v29, v21, v23
	v_lshlrev_b32_e32 v20, 2, v27
	v_cndmask_b32_e64 v22, v4, v13, s3
	v_add_f32_e32 v21, v28, v29
	ds_bpermute_b32 v20, v20, v21
	s_waitcnt lgkmcnt(0)
	v_add_f32_e32 v20, v21, v20
	v_lshlrev_b32_e32 v21, 2, v22
	ds_bpermute_b32 v21, v21, v20
	s_and_saveexec_b32 s37, vcc_lo
	s_cbranch_execz .LBB60_10
; %bb.18:                               ;   in Loop: Header=BB60_12 Depth=1
	v_add_nc_u32_e32 v22, v14, v8
	s_waitcnt lgkmcnt(0)
	v_add_f32_e32 v20, v20, v21
	v_cvt_f32_i32_e32 v22, v22
	v_mul_f32_e32 v22, s33, v22
	v_cndmask_b32_e64 v21, 0, v22, s2
	v_max_f32_e32 v22, v5, v5
	v_fmac_f32_e32 v21, s29, v20
	v_add_nc_u32_e32 v20, v6, v8
	v_max_f32_e32 v22, v22, v21
	v_cmp_gt_i32_e64 s3, s30, v20
	v_cndmask_b32_e64 v20, 0, v21, s3
	v_cndmask_b32_e64 v5, v5, v22, s3
	ds_write_b32 v15, v20
	s_branch .LBB60_10
.LBB60_19:
	s_or_b32 exec_lo, exec_lo, s35
.LBB60_20:
	s_or_b32 exec_lo, exec_lo, s34
	v_xor_b32_e32 v1, 16, v4
	v_xor_b32_e32 v6, 8, v4
	v_max_f32_e32 v7, v5, v5
	v_and_b32_e32 v11, 31, v0
	v_cmp_gt_i32_e32 vcc_lo, 32, v1
	v_cndmask_b32_e32 v1, v4, v1, vcc_lo
	v_cmp_gt_i32_e32 vcc_lo, 32, v6
	v_lshlrev_b32_e32 v2, 2, v1
	ds_bpermute_b32 v1, v2, v5
	v_cndmask_b32_e32 v5, v4, v6, vcc_lo
	v_lshlrev_b32_e32 v5, 2, v5
	s_waitcnt lgkmcnt(0)
	v_max_f32_e32 v1, v1, v1
	v_max_f32_e32 v1, v7, v1
	v_xor_b32_e32 v7, 4, v4
	ds_bpermute_b32 v6, v5, v1
	v_cmp_gt_i32_e32 vcc_lo, 32, v7
	v_cndmask_b32_e32 v7, v4, v7, vcc_lo
	v_cmp_eq_u32_e32 vcc_lo, 0, v11
	v_lshlrev_b32_e32 v8, 2, v7
	s_waitcnt lgkmcnt(0)
	v_max_f32_e32 v6, v6, v6
	v_max_f32_e32 v1, v1, v6
	v_lshlrev_b32_e32 v6, 2, v9
	ds_bpermute_b32 v7, v8, v1
	s_and_saveexec_b32 s2, vcc_lo
	s_cbranch_execz .LBB60_22
; %bb.21:
	s_waitcnt lgkmcnt(0)
	v_max_f32_e32 v7, v7, v7
	v_max_f32_e32 v1, v1, v1
	;; [unrolled: 1-line block ×3, first 2 shown]
	ds_write_b32 v6, v1 offset:256
.LBB60_22:
	s_or_b32 exec_lo, exec_lo, s2
	v_cmp_gt_u32_e64 s2, 4, v11
	v_mov_b32_e32 v1, 0xff7fffff
	s_waitcnt lgkmcnt(0)
	v_lshlrev_b32_e32 v7, 2, v11
	s_barrier
	buffer_gl0_inv
	s_and_saveexec_b32 s3, s2
; %bb.23:
	ds_read_b32 v1, v7 offset:256
; %bb.24:
	s_or_b32 exec_lo, exec_lo, s3
	v_xor_b32_e32 v12, 2, v4
	v_xor_b32_e32 v14, 1, v4
	v_cmp_gt_i32_e64 s3, 32, v12
	v_cndmask_b32_e64 v12, v4, v12, s3
	v_cmp_gt_i32_e64 s3, 32, v14
	v_lshlrev_b32_e32 v12, 2, v12
	v_cndmask_b32_e64 v4, v4, v14, s3
	s_lshl_b32 s3, s16, 3
	s_min_i32 s5, s3, s30
	s_waitcnt lgkmcnt(0)
	ds_bpermute_b32 v13, v12, v1
	v_max_f32_e32 v1, v1, v1
	v_lshlrev_b32_e32 v4, 2, v4
	v_cmp_gt_i32_e64 s3, s5, v0
	s_waitcnt lgkmcnt(0)
	v_max_f32_e32 v13, v13, v13
	v_max_f32_e32 v1, v1, v13
	ds_bpermute_b32 v13, v4, v1
	s_waitcnt lgkmcnt(0)
	v_max_f32_e32 v13, v13, v13
	v_max_f32_e32 v1, v1, v13
	v_mov_b32_e32 v13, 0
	ds_bpermute_b32 v14, v13, v1
	v_lshl_add_u32 v1, v0, 2, 0x120
	s_and_saveexec_b32 s15, s3
	s_cbranch_execz .LBB60_28
; %bb.25:
	v_lshl_add_u32 v15, v0, 2, 0x120
	v_mov_b32_e32 v13, 0
	v_mov_b32_e32 v16, v0
	s_mov_b32 s29, 0
	.p2align	6
.LBB60_26:                              ; =>This Inner Loop Header: Depth=1
	ds_read_b32 v17, v15
	v_add_nc_u32_e32 v16, 0x80, v16
	v_cmp_le_i32_e64 s4, s5, v16
	s_or_b32 s29, s4, s29
	s_waitcnt lgkmcnt(0)
	v_sub_f32_e32 v17, v17, v14
	v_mul_f32_e32 v17, 0x3fb8aa3b, v17
	v_exp_f32_e32 v17, v17
	ds_write_b32 v15, v17
	v_add_f32_e32 v13, v13, v17
	v_add_nc_u32_e32 v15, 0x200, v15
	s_andn2_b32 exec_lo, exec_lo, s29
	s_cbranch_execnz .LBB60_26
; %bb.27:
	s_or_b32 exec_lo, exec_lo, s29
.LBB60_28:
	s_or_b32 exec_lo, exec_lo, s15
	ds_bpermute_b32 v2, v2, v13
	s_waitcnt lgkmcnt(0)
	v_add_f32_e32 v2, v13, v2
	ds_bpermute_b32 v5, v5, v2
	s_waitcnt lgkmcnt(0)
	v_add_f32_e32 v2, v2, v5
	;; [unrolled: 3-line block ×5, first 2 shown]
	s_and_saveexec_b32 s4, vcc_lo
; %bb.29:
	ds_write_b32 v6, v2 offset:272
; %bb.30:
	s_or_b32 exec_lo, exec_lo, s4
	s_waitcnt lgkmcnt(0)
	s_barrier
	buffer_gl0_inv
	s_and_saveexec_b32 s4, s2
; %bb.31:
	ds_read_b32 v2, v7 offset:272
; %bb.32:
	s_or_b32 exec_lo, exec_lo, s4
	s_waitcnt lgkmcnt(0)
	ds_bpermute_b32 v5, v12, v2
	s_waitcnt lgkmcnt(0)
	v_add_f32_e32 v2, v2, v5
	ds_bpermute_b32 v4, v4, v2
	s_waitcnt lgkmcnt(0)
	v_add_f32_e32 v2, v2, v4
	v_mov_b32_e32 v4, 0
	ds_bpermute_b32 v2, v4, v2
	s_and_saveexec_b32 s2, s3
	s_cbranch_execz .LBB60_35
; %bb.33:
	s_waitcnt lgkmcnt(0)
	v_add_f32_e32 v2, 0x358637bd, v2
	s_mov_b32 s3, 0
	v_div_scale_f32 v4, null, v2, v2, 1.0
	v_div_scale_f32 v7, vcc_lo, 1.0, v2, 1.0
	v_rcp_f32_e32 v5, v4
	v_fma_f32 v6, -v4, v5, 1.0
	v_fmac_f32_e32 v5, v6, v5
	v_mul_f32_e32 v6, v7, v5
	v_fma_f32 v8, -v4, v6, v7
	v_fmac_f32_e32 v6, v8, v5
	v_fma_f32 v4, -v4, v6, v7
	v_div_fmas_f32 v4, v4, v5, v6
	v_div_fixup_f32 v2, v4, v2, 1.0
	v_mov_b32_e32 v4, v0
.LBB60_34:                              ; =>This Inner Loop Header: Depth=1
	ds_read_b32 v5, v1
	v_add_nc_u32_e32 v4, 0x80, v4
	v_cmp_le_i32_e32 vcc_lo, s5, v4
	s_or_b32 s3, vcc_lo, s3
	s_waitcnt lgkmcnt(0)
	v_mul_f32_e32 v5, v2, v5
	ds_write_b32 v1, v5
	v_add_nc_u32_e32 v1, 0x200, v1
	s_andn2_b32 exec_lo, exec_lo, s3
	s_cbranch_execnz .LBB60_34
.LBB60_35:
	s_or_b32 exec_lo, exec_lo, s2
	v_mov_b32_e32 v15, 0
	v_mov_b32_e32 v14, 0
	;; [unrolled: 1-line block ×4, first 2 shown]
	s_waitcnt lgkmcnt(0)
	s_barrier
	buffer_gl0_inv
	s_and_saveexec_b32 s3, s1
	s_cbranch_execz .LBB60_49
; %bb.36:
	s_ashr_i32 s15, s14, 31
	s_sub_i32 s4, s28, s17
	s_lshl_b64 s[14:15], s[14:15], 1
	v_lshlrev_b32_e32 v2, 4, v11
	s_add_u32 s1, s26, s14
	s_addc_u32 s2, s27, s15
	s_abs_i32 s5, s18
	v_and_b32_e32 v3, 0x7c, v3
	v_cvt_f32_u32_e32 v1, s5
	s_sub_i32 s14, 0, s5
	s_lshl_b64 s[24:25], s[24:25], 2
	v_add_co_u32 v18, s1, s1, v2
	v_rcp_iflag_f32_e32 v1, v1
	v_add_co_ci_u32_e64 v19, null, s2, 0, s1
	v_mov_b32_e32 v16, 0
	v_lshl_add_u32 v17, v9, 5, 0x120
	v_mov_b32_e32 v12, 0
	v_mov_b32_e32 v13, 0
	;; [unrolled: 1-line block ×5, first 2 shown]
	v_mul_f32_e32 v1, 0x4f7ffffe, v1
	s_mov_b32 s15, s13
	s_mov_b32 s13, 0
	v_cvt_u32_f32_e32 v1, v1
	v_mul_lo_u32 v4, s14, v1
	s_add_i32 s14, s16, -1
	s_add_u32 s1, s22, s24
	s_addc_u32 s2, s23, s25
	v_add_co_u32 v5, s1, s1, v3
	v_add_co_ci_u32_e64 v6, null, s2, 0, s1
	v_mul_hi_u32 v4, v1, v4
	v_add_nc_u32_e32 v20, v1, v4
	s_branch .LBB60_39
.LBB60_37:                              ;   in Loop: Header=BB60_39 Depth=1
	s_or_b32 exec_lo, exec_lo, s2
	v_lshlrev_b32_e32 v22, 16, v39
	v_lshlrev_b32_e32 v8, 16, v8
	;; [unrolled: 1-line block ×3, first 2 shown]
	v_and_or_b32 v1, 0xffff, v1, v22
	v_and_or_b32 v2, 0xffff, v2, v8
	;; [unrolled: 1-line block ×3, first 2 shown]
	;;#ASMSTART
	v_pk_mul_f16 v1, v30, v1;

	;;#ASMEND
	;;#ASMSTART
	v_pk_mul_f16 v2, v29, v2;

	;;#ASMEND
	;; [unrolled: 4-line block ×4, first 2 shown]
	;;#ASMSTART
	v_pk_add_f16 v1, v1, v2;

	;;#ASMEND
	;;#ASMSTART
	v_pk_add_f16 v1, v1, v3;

	;;#ASMEND
	;; [unrolled: 4-line block ×3, first 2 shown]
	v_and_b32_e32 v4, 0xffff, v1
	v_lshrrev_b32_e32 v7, 16, v1
	;;#ASMSTART
	v_cvt_f32_f16 v4, v4;
	;;#ASMEND
	v_add_f32_e32 v1, v37, v38
	v_add_f32_e32 v2, v35, v36
	;; [unrolled: 1-line block ×3, first 2 shown]
	;;#ASMSTART
	v_cvt_f32_f16 v7, v7;
	;;#ASMEND
	v_add_f32_e32 v4, v4, v7
	v_add_f32_e32 v13, v13, v1
	;; [unrolled: 1-line block ×5, first 2 shown]
.LBB60_38:                              ;   in Loop: Header=BB60_39 Depth=1
	s_or_b32 exec_lo, exec_lo, s17
	v_add_nc_u32_e32 v21, 4, v21
	v_add_co_u32 v5, s1, v5, 16
	v_add_co_ci_u32_e64 v6, null, 0, v6, s1
	v_cmp_le_i32_e32 vcc_lo, s16, v21
	v_add_nc_u32_e32 v10, 32, v10
	v_add_nc_u32_e32 v17, 0x80, v17
	s_or_b32 s13, vcc_lo, s13
	s_andn2_b32 exec_lo, exec_lo, s13
	s_cbranch_execz .LBB60_48
.LBB60_39:                              ; =>This Inner Loop Header: Depth=1
	v_mul_hi_u32 v1, v10, s21
	v_mul_lo_u32 v2, v1, s12
	v_add_nc_u32_e32 v3, 1, v1
	v_sub_nc_u32_e32 v2, v10, v2
	v_subrev_nc_u32_e32 v4, s12, v2
	v_cmp_le_u32_e32 vcc_lo, s12, v2
	v_cndmask_b32_e32 v1, v1, v3, vcc_lo
	v_cndmask_b32_e32 v2, v2, v4, vcc_lo
	v_add_nc_u32_e32 v3, 1, v1
	v_cmp_le_u32_e32 vcc_lo, s12, v2
	v_cndmask_b32_e32 v1, v1, v3, vcc_lo
	v_xor_b32_e32 v1, s19, v1
	v_subrev_nc_u32_e32 v1, s19, v1
	v_add_nc_u32_e32 v2, s31, v1
	v_cmp_lt_i32_e64 s1, s4, v1
	v_sub_nc_u32_e32 v3, 0, v2
	v_max_i32_e32 v3, v2, v3
	v_ashrrev_i32_e32 v2, 31, v2
	v_mul_hi_u32 v4, v3, v20
	v_mul_lo_u32 v4, v4, s5
	v_sub_nc_u32_e32 v3, v3, v4
	v_subrev_nc_u32_e32 v4, s5, v3
	v_cmp_le_u32_e32 vcc_lo, s5, v3
	v_cndmask_b32_e32 v3, v3, v4, vcc_lo
	v_subrev_nc_u32_e32 v4, s5, v3
	v_cmp_le_u32_e32 vcc_lo, s5, v3
	v_cndmask_b32_e32 v3, v3, v4, vcc_lo
	v_xor_b32_e32 v3, v3, v2
	v_sub_nc_u32_e32 v2, v3, v2
	v_cmp_eq_u32_e32 vcc_lo, 0, v2
	s_or_b32 s1, vcc_lo, s1
	s_and_saveexec_b32 s17, s1
	s_cbranch_execz .LBB60_38
; %bb.40:                               ;   in Loop: Header=BB60_39 Depth=1
	global_load_dword v7, v[5:6], off
	ds_read2_b64 v[1:4], v17 offset1:1
	ds_read2_b64 v[22:25], v17 offset0:2 offset1:3
	v_cmp_eq_u32_e64 s1, s14, v21
	v_add_nc_u32_e32 v28, 1, v10
	v_add_nc_u32_e32 v26, 2, v10
	v_add_nc_u32_e32 v27, 6, v10
	s_waitcnt lgkmcnt(1)
	;;#ASMSTART
	v_cvt_f16_f32 v30, v1;

	;;#ASMEND
	;;#ASMSTART
	v_cvt_f16_f32 v29, v2;

	;;#ASMEND
	;; [unrolled: 4-line block ×4, first 2 shown]
	s_waitcnt lgkmcnt(0)
	;;#ASMSTART
	v_cvt_f16_f32 v36, v22;

	;;#ASMEND
	;;#ASMSTART
	v_cvt_f16_f32 v32, v23;

	;;#ASMEND
	;; [unrolled: 4-line block ×4, first 2 shown]
	v_add_nc_u32_e32 v25, 3, v10
	v_add_nc_u32_e32 v23, 4, v10
	;; [unrolled: 1-line block ×4, first 2 shown]
	s_waitcnt vmcnt(0)
	v_mad_i64_i32 v[7:8], null, v7, s15, 0
	v_lshlrev_b64 v[7:8], 1, v[7:8]
	v_add_co_u32 v7, vcc_lo, v18, v7
	v_add_co_ci_u32_e64 v8, null, v19, v8, vcc_lo
	global_load_dwordx4 v[1:4], v[7:8], off
	s_waitcnt vmcnt(0)
	v_lshrrev_b32_e32 v39, 16, v1
	v_lshrrev_b32_e32 v38, 16, v2
	;; [unrolled: 1-line block ×3, first 2 shown]
	s_and_saveexec_b32 s18, s1
	s_cbranch_execz .LBB60_42
; %bb.41:                               ;   in Loop: Header=BB60_39 Depth=1
	v_cmp_gt_i32_e32 vcc_lo, s30, v10
	v_and_b32_e32 v40, 0xffff0000, v4
	v_cmp_gt_i32_e64 s2, s30, v26
	v_cndmask_b32_e32 v1, 0, v1, vcc_lo
	v_cmp_gt_i32_e32 vcc_lo, s30, v28
	v_cndmask_b32_e64 v2, 0, v2, s2
	v_cmp_gt_i32_e64 s2, s30, v25
	v_cndmask_b32_e32 v39, 0, v39, vcc_lo
	v_cmp_gt_i32_e32 vcc_lo, s30, v27
	v_cndmask_b32_e64 v38, 0, v38, s2
	v_cndmask_b32_sdwa v4, v16, v4, vcc_lo dst_sel:DWORD dst_unused:UNUSED_PAD src0_sel:DWORD src1_sel:WORD_0
	v_cmp_gt_i32_e32 vcc_lo, s30, v24
	v_cndmask_b32_e32 v40, 0, v40, vcc_lo
	v_cmp_gt_i32_e32 vcc_lo, s30, v23
	v_or_b32_e32 v4, v4, v40
	v_cndmask_b32_e32 v3, 0, v3, vcc_lo
	v_cmp_gt_i32_e32 vcc_lo, s30, v22
	v_cndmask_b32_e32 v37, 0, v37, vcc_lo
.LBB60_42:                              ;   in Loop: Header=BB60_39 Depth=1
	s_or_b32 exec_lo, exec_lo, s18
	v_and_b32_e32 v30, 0xffff, v30
	v_and_b32_e32 v35, 0xffff, v35
	v_lshlrev_b32_e32 v39, 16, v39
	v_lshlrev_b32_e32 v37, 16, v37
	v_and_b32_e32 v36, 0xffff, v36
	v_lshl_or_b32 v30, v29, 16, v30
	v_lshl_or_b32 v29, v33, 16, v35
	v_lshlrev_b32_e32 v35, 16, v38
	v_and_b32_e32 v34, 0xffff, v34
	v_and_or_b32 v1, 0xffff, v1, v39
	v_and_or_b32 v3, 0xffff, v3, v37
	;;#ASMSTART
	v_pk_mul_f16 v1, v30, v1;

	;;#ASMEND
	v_and_or_b32 v2, 0xffff, v2, v35
	v_lshl_or_b32 v33, v32, 16, v36
	v_lshl_or_b32 v34, v31, 16, v34
	;;#ASMSTART
	v_pk_mul_f16 v2, v29, v2;

	;;#ASMEND
	;;#ASMSTART
	v_pk_mul_f16 v3, v33, v3;

	;;#ASMEND
	;; [unrolled: 4-line block ×3, first 2 shown]
	;;#ASMSTART
	v_pk_add_f16 v1, v1, v2;

	;;#ASMEND
	;;#ASMSTART
	v_pk_add_f16 v1, v1, v3;

	;;#ASMEND
	;; [unrolled: 4-line block ×3, first 2 shown]
	v_and_b32_e32 v2, 0xffff, v1
	v_lshrrev_b32_e32 v1, 16, v1
	;;#ASMSTART
	v_cvt_f32_f16 v31, v2;
	;;#ASMEND
	;;#ASMSTART
	v_cvt_f32_f16 v32, v1;
	;;#ASMEND
	global_load_dwordx4 v[1:4], v[7:8], off offset:512
	s_waitcnt vmcnt(0)
	v_lshrrev_b32_e32 v37, 16, v1
	v_lshrrev_b32_e32 v36, 16, v2
	;; [unrolled: 1-line block ×3, first 2 shown]
	s_and_saveexec_b32 s18, s1
	s_cbranch_execz .LBB60_44
; %bb.43:                               ;   in Loop: Header=BB60_39 Depth=1
	v_cmp_gt_i32_e32 vcc_lo, s30, v10
	v_and_b32_e32 v38, 0xffff0000, v4
	v_cmp_gt_i32_e64 s2, s30, v26
	v_cndmask_b32_e32 v1, 0, v1, vcc_lo
	v_cmp_gt_i32_e32 vcc_lo, s30, v28
	v_cndmask_b32_e64 v2, 0, v2, s2
	v_cmp_gt_i32_e64 s2, s30, v25
	v_cndmask_b32_e32 v37, 0, v37, vcc_lo
	v_cmp_gt_i32_e32 vcc_lo, s30, v27
	v_cndmask_b32_e64 v36, 0, v36, s2
	v_cndmask_b32_sdwa v4, v16, v4, vcc_lo dst_sel:DWORD dst_unused:UNUSED_PAD src0_sel:DWORD src1_sel:WORD_0
	v_cmp_gt_i32_e32 vcc_lo, s30, v24
	v_cndmask_b32_e32 v38, 0, v38, vcc_lo
	v_cmp_gt_i32_e32 vcc_lo, s30, v23
	v_or_b32_e32 v4, v4, v38
	v_cndmask_b32_e32 v3, 0, v3, vcc_lo
	v_cmp_gt_i32_e32 vcc_lo, s30, v22
	v_cndmask_b32_e32 v35, 0, v35, vcc_lo
.LBB60_44:                              ;   in Loop: Header=BB60_39 Depth=1
	s_or_b32 exec_lo, exec_lo, s18
	v_lshlrev_b32_e32 v37, 16, v37
	v_lshlrev_b32_e32 v36, 16, v36
	;; [unrolled: 1-line block ×3, first 2 shown]
	v_and_or_b32 v1, 0xffff, v1, v37
	v_and_or_b32 v2, 0xffff, v2, v36
	;; [unrolled: 1-line block ×3, first 2 shown]
	;;#ASMSTART
	v_pk_mul_f16 v1, v30, v1;

	;;#ASMEND
	;;#ASMSTART
	v_pk_mul_f16 v2, v29, v2;

	;;#ASMEND
	;; [unrolled: 4-line block ×4, first 2 shown]
	;;#ASMSTART
	v_pk_add_f16 v1, v1, v2;

	;;#ASMEND
	;;#ASMSTART
	v_pk_add_f16 v1, v1, v3;

	;;#ASMEND
	;; [unrolled: 4-line block ×3, first 2 shown]
	v_and_b32_e32 v2, 0xffff, v1
	v_lshrrev_b32_e32 v1, 16, v1
	;;#ASMSTART
	v_cvt_f32_f16 v35, v2;
	;;#ASMEND
	;;#ASMSTART
	v_cvt_f32_f16 v36, v1;
	;;#ASMEND
	global_load_dwordx4 v[1:4], v[7:8], off offset:1024
	s_waitcnt vmcnt(0)
	v_lshrrev_b32_e32 v39, 16, v1
	v_lshrrev_b32_e32 v38, 16, v2
	;; [unrolled: 1-line block ×3, first 2 shown]
	s_and_saveexec_b32 s18, s1
	s_cbranch_execz .LBB60_46
; %bb.45:                               ;   in Loop: Header=BB60_39 Depth=1
	v_cmp_gt_i32_e32 vcc_lo, s30, v10
	v_and_b32_e32 v40, 0xffff0000, v4
	v_cmp_gt_i32_e64 s2, s30, v26
	v_cndmask_b32_e32 v1, 0, v1, vcc_lo
	v_cmp_gt_i32_e32 vcc_lo, s30, v28
	v_cndmask_b32_e64 v2, 0, v2, s2
	v_cmp_gt_i32_e64 s2, s30, v25
	v_cndmask_b32_e32 v39, 0, v39, vcc_lo
	v_cmp_gt_i32_e32 vcc_lo, s30, v27
	v_cndmask_b32_e64 v38, 0, v38, s2
	v_cndmask_b32_sdwa v4, v16, v4, vcc_lo dst_sel:DWORD dst_unused:UNUSED_PAD src0_sel:DWORD src1_sel:WORD_0
	v_cmp_gt_i32_e32 vcc_lo, s30, v24
	v_cndmask_b32_e32 v40, 0, v40, vcc_lo
	v_cmp_gt_i32_e32 vcc_lo, s30, v23
	v_or_b32_e32 v4, v4, v40
	v_cndmask_b32_e32 v3, 0, v3, vcc_lo
	v_cmp_gt_i32_e32 vcc_lo, s30, v22
	v_cndmask_b32_e32 v37, 0, v37, vcc_lo
.LBB60_46:                              ;   in Loop: Header=BB60_39 Depth=1
	s_or_b32 exec_lo, exec_lo, s18
	v_lshlrev_b32_e32 v39, 16, v39
	v_lshlrev_b32_e32 v38, 16, v38
	;; [unrolled: 1-line block ×3, first 2 shown]
	v_and_or_b32 v1, 0xffff, v1, v39
	v_and_or_b32 v2, 0xffff, v2, v38
	;; [unrolled: 1-line block ×3, first 2 shown]
	;;#ASMSTART
	v_pk_mul_f16 v1, v30, v1;

	;;#ASMEND
	;;#ASMSTART
	v_pk_mul_f16 v2, v29, v2;

	;;#ASMEND
	;; [unrolled: 4-line block ×4, first 2 shown]
	;;#ASMSTART
	v_pk_add_f16 v1, v1, v2;

	;;#ASMEND
	;;#ASMSTART
	v_pk_add_f16 v1, v1, v3;

	;;#ASMEND
	;; [unrolled: 4-line block ×3, first 2 shown]
	v_and_b32_e32 v2, 0xffff, v1
	v_lshrrev_b32_e32 v1, 16, v1
	;;#ASMSTART
	v_cvt_f32_f16 v37, v2;
	;;#ASMEND
	;;#ASMSTART
	v_cvt_f32_f16 v38, v1;
	;;#ASMEND
	global_load_dwordx4 v[1:4], v[7:8], off offset:1536
	s_waitcnt vmcnt(0)
	v_lshrrev_b32_e32 v39, 16, v1
	v_lshrrev_b32_e32 v8, 16, v2
	;; [unrolled: 1-line block ×3, first 2 shown]
	s_and_saveexec_b32 s2, s1
	s_cbranch_execz .LBB60_37
; %bb.47:                               ;   in Loop: Header=BB60_39 Depth=1
	v_cmp_gt_i32_e32 vcc_lo, s30, v10
	v_cmp_gt_i32_e64 s1, s30, v26
	v_cndmask_b32_e32 v1, 0, v1, vcc_lo
	v_cmp_gt_i32_e32 vcc_lo, s30, v28
	v_cndmask_b32_e64 v2, 0, v2, s1
	v_cmp_gt_i32_e64 s1, s30, v25
	v_and_b32_e32 v25, 0xffff0000, v4
	v_cndmask_b32_e32 v39, 0, v39, vcc_lo
	v_cmp_gt_i32_e32 vcc_lo, s30, v27
	v_cndmask_b32_e64 v8, 0, v8, s1
	v_cndmask_b32_sdwa v4, v16, v4, vcc_lo dst_sel:DWORD dst_unused:UNUSED_PAD src0_sel:DWORD src1_sel:WORD_0
	v_cmp_gt_i32_e32 vcc_lo, s30, v24
	v_cndmask_b32_e32 v24, 0, v25, vcc_lo
	v_cmp_gt_i32_e32 vcc_lo, s30, v23
	v_or_b32_e32 v4, v4, v24
	v_cndmask_b32_e32 v3, 0, v3, vcc_lo
	v_cmp_gt_i32_e32 vcc_lo, s30, v22
	v_cndmask_b32_e32 v7, 0, v7, vcc_lo
	s_branch .LBB60_37
.LBB60_48:
	s_or_b32 exec_lo, exec_lo, s13
.LBB60_49:
	s_or_b32 exec_lo, exec_lo, s3
	v_lshl_add_u32 v2, v11, 2, 0x120
	v_and_b32_e32 v3, 0x3c0, v0
	s_mov_b32 s1, exec_lo
	s_barrier
	v_lshl_add_u32 v1, v9, 9, v2
	buffer_gl0_inv
	v_cmpx_eq_u32_e32 64, v3
	s_cbranch_execz .LBB60_51
; %bb.50:
	v_add_nc_u32_e32 v3, 0xfffffc00, v1
	v_add_nc_u32_e32 v4, 0xfffffc80, v1
	;; [unrolled: 1-line block ×4, first 2 shown]
	ds_write_b32 v3, v15
	ds_write_b32 v4, v14
	;; [unrolled: 1-line block ×4, first 2 shown]
.LBB60_51:
	s_or_b32 exec_lo, exec_lo, s1
	s_waitcnt lgkmcnt(0)
	s_barrier
	buffer_gl0_inv
	s_and_saveexec_b32 s1, s0
	s_cbranch_execz .LBB60_53
; %bb.52:
	ds_read2_b32 v[3:4], v1 offset1:32
	ds_read2_b32 v[5:6], v1 offset0:64 offset1:96
	s_waitcnt lgkmcnt(1)
	v_add_f32_e32 v15, v15, v3
	v_add_f32_e32 v14, v14, v4
	s_waitcnt lgkmcnt(0)
	v_add_f32_e32 v13, v13, v5
	v_add_f32_e32 v12, v12, v6
.LBB60_53:
	s_or_b32 exec_lo, exec_lo, s1
	v_and_b32_e32 v3, 0x3e0, v0
	s_mov_b32 s0, exec_lo
	s_barrier
	buffer_gl0_inv
	v_cmpx_eq_u32_e32 32, v3
	s_cbranch_execz .LBB60_55
; %bb.54:
	ds_write2_b32 v2, v15, v14 offset1:32
	ds_write2_b32 v2, v13, v12 offset0:64 offset1:96
.LBB60_55:
	s_or_b32 exec_lo, exec_lo, s0
	v_cmp_gt_u32_e32 vcc_lo, 32, v0
	s_waitcnt lgkmcnt(0)
	s_barrier
	buffer_gl0_inv
	s_and_saveexec_b32 s0, vcc_lo
	s_cbranch_execz .LBB60_57
; %bb.56:
	ds_read2_b32 v[2:3], v1 offset1:32
	ds_read2_b32 v[4:5], v1 offset0:64 offset1:96
	s_waitcnt lgkmcnt(1)
	v_add_f32_e32 v15, v15, v2
	v_add_f32_e32 v14, v14, v3
	s_waitcnt lgkmcnt(0)
	v_add_f32_e32 v13, v13, v4
	v_add_f32_e32 v12, v12, v5
.LBB60_57:
	s_or_b32 exec_lo, exec_lo, s0
	s_barrier
	buffer_gl0_inv
	s_and_saveexec_b32 s0, vcc_lo
	s_cbranch_execz .LBB60_59
; %bb.58:
	s_mul_i32 s0, s10, s11
	s_mul_i32 s2, s11, s20
	s_mul_i32 s0, s0, s9
	v_lshlrev_b32_e32 v0, 1, v0
	s_lshl_b32 s0, s0, 7
	;;#ASMSTART
	v_cvt_f16_f32 v1, v15;

	;;#ASMEND
	s_ashr_i32 s1, s0, 31
	s_lshl_b64 s[0:1], s[0:1], 1
	s_add_u32 s4, s6, s0
	s_addc_u32 s5, s7, s1
	s_ashr_i32 s3, s2, 31
	s_lshl_b64 s[0:1], s[2:3], 1
	s_add_u32 s2, s4, s0
	s_addc_u32 s3, s5, s1
	s_lshl_b32 s0, s8, 7
	s_ashr_i32 s1, s0, 31
	s_lshl_b64 s[0:1], s[0:1], 1
	s_add_u32 s0, s2, s0
	s_addc_u32 s1, s3, s1
	global_store_short v0, v1, s[0:1]
	;;#ASMSTART
	v_cvt_f16_f32 v1, v14;

	;;#ASMEND
	global_store_short v0, v1, s[0:1] offset:64
	;;#ASMSTART
	v_cvt_f16_f32 v1, v13;

	;;#ASMEND
	global_store_short v0, v1, s[0:1] offset:128
	;; [unrolled: 5-line block ×3, first 2 shown]
.LBB60_59:
	s_endpgm
	.section	.rodata,"a",@progbits
	.p2align	6, 0x0
	.amdhsa_kernel _ZN4vllm25paged_attention_v1_kernelIttLi128ELi8ELi128ELNS_18Fp8KVCacheDataTypeE0ELb1EEEvPT_PKS2_PKT0_S8_ifPKiSA_iPKfiiiSC_SC_iiiii
		.amdhsa_group_segment_fixed_size 288
		.amdhsa_private_segment_fixed_size 0
		.amdhsa_kernarg_size 384
		.amdhsa_user_sgpr_count 6
		.amdhsa_user_sgpr_private_segment_buffer 1
		.amdhsa_user_sgpr_dispatch_ptr 0
		.amdhsa_user_sgpr_queue_ptr 0
		.amdhsa_user_sgpr_kernarg_segment_ptr 1
		.amdhsa_user_sgpr_dispatch_id 0
		.amdhsa_user_sgpr_flat_scratch_init 0
		.amdhsa_user_sgpr_private_segment_size 0
		.amdhsa_wavefront_size32 1
		.amdhsa_uses_dynamic_stack 0
		.amdhsa_system_sgpr_private_segment_wavefront_offset 0
		.amdhsa_system_sgpr_workgroup_id_x 1
		.amdhsa_system_sgpr_workgroup_id_y 1
		.amdhsa_system_sgpr_workgroup_id_z 1
		.amdhsa_system_sgpr_workgroup_info 0
		.amdhsa_system_vgpr_workitem_id 0
		.amdhsa_next_free_vgpr 76
		.amdhsa_next_free_sgpr 38
		.amdhsa_reserve_vcc 1
		.amdhsa_reserve_flat_scratch 0
		.amdhsa_float_round_mode_32 0
		.amdhsa_float_round_mode_16_64 0
		.amdhsa_float_denorm_mode_32 3
		.amdhsa_float_denorm_mode_16_64 3
		.amdhsa_dx10_clamp 1
		.amdhsa_ieee_mode 1
		.amdhsa_fp16_overflow 0
		.amdhsa_workgroup_processor_mode 1
		.amdhsa_memory_ordered 1
		.amdhsa_forward_progress 1
		.amdhsa_shared_vgpr_count 0
		.amdhsa_exception_fp_ieee_invalid_op 0
		.amdhsa_exception_fp_denorm_src 0
		.amdhsa_exception_fp_ieee_div_zero 0
		.amdhsa_exception_fp_ieee_overflow 0
		.amdhsa_exception_fp_ieee_underflow 0
		.amdhsa_exception_fp_ieee_inexact 0
		.amdhsa_exception_int_div_zero 0
	.end_amdhsa_kernel
	.section	.text._ZN4vllm25paged_attention_v1_kernelIttLi128ELi8ELi128ELNS_18Fp8KVCacheDataTypeE0ELb1EEEvPT_PKS2_PKT0_S8_ifPKiSA_iPKfiiiSC_SC_iiiii,"axG",@progbits,_ZN4vllm25paged_attention_v1_kernelIttLi128ELi8ELi128ELNS_18Fp8KVCacheDataTypeE0ELb1EEEvPT_PKS2_PKT0_S8_ifPKiSA_iPKfiiiSC_SC_iiiii,comdat
.Lfunc_end60:
	.size	_ZN4vllm25paged_attention_v1_kernelIttLi128ELi8ELi128ELNS_18Fp8KVCacheDataTypeE0ELb1EEEvPT_PKS2_PKT0_S8_ifPKiSA_iPKfiiiSC_SC_iiiii, .Lfunc_end60-_ZN4vllm25paged_attention_v1_kernelIttLi128ELi8ELi128ELNS_18Fp8KVCacheDataTypeE0ELb1EEEvPT_PKS2_PKT0_S8_ifPKiSA_iPKfiiiSC_SC_iiiii
                                        ; -- End function
	.set _ZN4vllm25paged_attention_v1_kernelIttLi128ELi8ELi128ELNS_18Fp8KVCacheDataTypeE0ELb1EEEvPT_PKS2_PKT0_S8_ifPKiSA_iPKfiiiSC_SC_iiiii.num_vgpr, 76
	.set _ZN4vllm25paged_attention_v1_kernelIttLi128ELi8ELi128ELNS_18Fp8KVCacheDataTypeE0ELb1EEEvPT_PKS2_PKT0_S8_ifPKiSA_iPKfiiiSC_SC_iiiii.num_agpr, 0
	.set _ZN4vllm25paged_attention_v1_kernelIttLi128ELi8ELi128ELNS_18Fp8KVCacheDataTypeE0ELb1EEEvPT_PKS2_PKT0_S8_ifPKiSA_iPKfiiiSC_SC_iiiii.numbered_sgpr, 38
	.set _ZN4vllm25paged_attention_v1_kernelIttLi128ELi8ELi128ELNS_18Fp8KVCacheDataTypeE0ELb1EEEvPT_PKS2_PKT0_S8_ifPKiSA_iPKfiiiSC_SC_iiiii.num_named_barrier, 0
	.set _ZN4vllm25paged_attention_v1_kernelIttLi128ELi8ELi128ELNS_18Fp8KVCacheDataTypeE0ELb1EEEvPT_PKS2_PKT0_S8_ifPKiSA_iPKfiiiSC_SC_iiiii.private_seg_size, 0
	.set _ZN4vllm25paged_attention_v1_kernelIttLi128ELi8ELi128ELNS_18Fp8KVCacheDataTypeE0ELb1EEEvPT_PKS2_PKT0_S8_ifPKiSA_iPKfiiiSC_SC_iiiii.uses_vcc, 1
	.set _ZN4vllm25paged_attention_v1_kernelIttLi128ELi8ELi128ELNS_18Fp8KVCacheDataTypeE0ELb1EEEvPT_PKS2_PKT0_S8_ifPKiSA_iPKfiiiSC_SC_iiiii.uses_flat_scratch, 0
	.set _ZN4vllm25paged_attention_v1_kernelIttLi128ELi8ELi128ELNS_18Fp8KVCacheDataTypeE0ELb1EEEvPT_PKS2_PKT0_S8_ifPKiSA_iPKfiiiSC_SC_iiiii.has_dyn_sized_stack, 0
	.set _ZN4vllm25paged_attention_v1_kernelIttLi128ELi8ELi128ELNS_18Fp8KVCacheDataTypeE0ELb1EEEvPT_PKS2_PKT0_S8_ifPKiSA_iPKfiiiSC_SC_iiiii.has_recursion, 0
	.set _ZN4vllm25paged_attention_v1_kernelIttLi128ELi8ELi128ELNS_18Fp8KVCacheDataTypeE0ELb1EEEvPT_PKS2_PKT0_S8_ifPKiSA_iPKfiiiSC_SC_iiiii.has_indirect_call, 0
	.section	.AMDGPU.csdata,"",@progbits
; Kernel info:
; codeLenInByte = 7316
; TotalNumSgprs: 40
; NumVgprs: 76
; ScratchSize: 0
; MemoryBound: 0
; FloatMode: 240
; IeeeMode: 1
; LDSByteSize: 288 bytes/workgroup (compile time only)
; SGPRBlocks: 0
; VGPRBlocks: 9
; NumSGPRsForWavesPerEU: 40
; NumVGPRsForWavesPerEU: 76
; Occupancy: 12
; WaveLimiterHint : 1
; COMPUTE_PGM_RSRC2:SCRATCH_EN: 0
; COMPUTE_PGM_RSRC2:USER_SGPR: 6
; COMPUTE_PGM_RSRC2:TRAP_HANDLER: 0
; COMPUTE_PGM_RSRC2:TGID_X_EN: 1
; COMPUTE_PGM_RSRC2:TGID_Y_EN: 1
; COMPUTE_PGM_RSRC2:TGID_Z_EN: 1
; COMPUTE_PGM_RSRC2:TIDIG_COMP_CNT: 0
	.section	.text._ZN4vllm25paged_attention_v1_kernelIttLi192ELi8ELi128ELNS_18Fp8KVCacheDataTypeE0ELb1EEEvPT_PKS2_PKT0_S8_ifPKiSA_iPKfiiiSC_SC_iiiii,"axG",@progbits,_ZN4vllm25paged_attention_v1_kernelIttLi192ELi8ELi128ELNS_18Fp8KVCacheDataTypeE0ELb1EEEvPT_PKS2_PKT0_S8_ifPKiSA_iPKfiiiSC_SC_iiiii,comdat
	.protected	_ZN4vllm25paged_attention_v1_kernelIttLi192ELi8ELi128ELNS_18Fp8KVCacheDataTypeE0ELb1EEEvPT_PKS2_PKT0_S8_ifPKiSA_iPKfiiiSC_SC_iiiii ; -- Begin function _ZN4vllm25paged_attention_v1_kernelIttLi192ELi8ELi128ELNS_18Fp8KVCacheDataTypeE0ELb1EEEvPT_PKS2_PKT0_S8_ifPKiSA_iPKfiiiSC_SC_iiiii
	.globl	_ZN4vllm25paged_attention_v1_kernelIttLi192ELi8ELi128ELNS_18Fp8KVCacheDataTypeE0ELb1EEEvPT_PKS2_PKT0_S8_ifPKiSA_iPKfiiiSC_SC_iiiii
	.p2align	8
	.type	_ZN4vllm25paged_attention_v1_kernelIttLi192ELi8ELi128ELNS_18Fp8KVCacheDataTypeE0ELb1EEEvPT_PKS2_PKT0_S8_ifPKiSA_iPKfiiiSC_SC_iiiii,@function
_ZN4vllm25paged_attention_v1_kernelIttLi192ELi8ELi128ELNS_18Fp8KVCacheDataTypeE0ELb1EEEvPT_PKS2_PKT0_S8_ifPKiSA_iPKfiiiSC_SC_iiiii: ; @_ZN4vllm25paged_attention_v1_kernelIttLi192ELi8ELi128ELNS_18Fp8KVCacheDataTypeE0ELb1EEEvPT_PKS2_PKT0_S8_ifPKiSA_iPKfiiiSC_SC_iiiii
; %bb.0:
	s_clause 0x2
	s_load_dword s9, s[4:5], 0x80
	s_load_dwordx2 s[0:1], s[4:5], 0x30
	s_load_dwordx2 s[28:29], s[4:5], 0x20
	s_mov_b32 s10, s7
	s_ashr_i32 s11, s7, 31
	s_mov_b32 s33, 0
	s_lshl_b64 s[2:3], s[10:11], 2
	s_waitcnt lgkmcnt(0)
	s_add_u32 s0, s0, s2
	s_addc_u32 s1, s1, s3
	s_abs_i32 s2, s28
	s_abs_i32 s11, s9
	v_cvt_f32_u32_e32 v1, s2
	s_sub_i32 s7, 0, s2
	v_rcp_iflag_f32_e32 v1, v1
	v_mul_f32_e32 v1, 0x4f7ffffe, v1
	v_cvt_u32_f32_e32 v1, v1
	v_readfirstlane_b32 s3, v1
	s_mul_i32 s7, s7, s3
	s_mul_hi_u32 s7, s3, s7
	s_add_i32 s3, s3, s7
	s_xor_b32 s7, s9, s28
	s_mul_hi_u32 s3, s11, s3
	s_ashr_i32 s7, s7, 31
	s_mul_i32 s12, s3, s2
	s_sub_i32 s11, s11, s12
	s_add_i32 s12, s3, 1
	s_sub_i32 s13, s11, s2
	s_cmp_ge_u32 s11, s2
	s_cselect_b32 s3, s12, s3
	s_cselect_b32 s11, s13, s11
	s_add_i32 s12, s3, 1
	s_cmp_ge_u32 s11, s2
	s_cselect_b32 s2, s12, s3
	s_abs_i32 s22, s6
	s_xor_b32 s2, s2, s7
	s_sub_i32 s16, s2, s7
	s_load_dwordx2 s[2:3], s[4:5], 0x40
	s_abs_i32 s11, s16
	v_cvt_f32_u32_e32 v1, s11
	s_sub_i32 s12, 0, s11
	v_rcp_iflag_f32_e32 v1, v1
	v_mul_f32_e32 v1, 0x4f7ffffe, v1
	v_cvt_u32_f32_e32 v1, v1
	v_readfirstlane_b32 s7, v1
	s_mul_i32 s12, s12, s7
	s_mul_hi_u32 s12, s7, s12
	s_add_i32 s7, s7, s12
	s_waitcnt lgkmcnt(0)
	s_cmp_eq_u64 s[2:3], 0
	s_mul_hi_u32 s23, s22, s7
	s_cbranch_scc1 .LBB61_2
; %bb.1:
	s_ashr_i32 s7, s6, 31
	s_lshl_b64 s[12:13], s[6:7], 2
	s_add_u32 s2, s2, s12
	s_addc_u32 s3, s3, s13
	s_load_dword s33, s[2:3], 0x0
.LBB61_2:
	s_load_dword s30, s[0:1], 0x0
	s_load_dwordx4 s[12:15], s[4:5], 0x48
	v_and_b32_e32 v1, 3, v0
	v_lshlrev_b32_e32 v2, 2, v0
	s_ashr_i32 s0, s6, 31
	s_ashr_i32 s1, s16, 31
	s_mul_i32 s20, s6, 0xc0
	s_mov_b32 s2, exec_lo
	v_cmpx_gt_u32_e32 0x60, v0
	s_cbranch_execz .LBB61_4
; %bb.3:
	s_load_dwordx2 s[16:17], s[4:5], 0x8
	s_waitcnt lgkmcnt(0)
	s_mul_i32 s18, s12, s10
	v_and_b32_e32 v4, 0x3fc, v0
	s_ashr_i32 s19, s18, 31
	s_lshl_b64 s[18:19], s[18:19], 1
	v_mad_u32_u24 v4, 0x60, v1, v4
	s_add_u32 s3, s16, s18
	s_addc_u32 s7, s17, s19
	s_ashr_i32 s21, s20, 31
	s_lshl_b64 s[16:17], s[20:21], 1
	s_add_u32 s16, s3, s16
	s_addc_u32 s17, s7, s17
	global_load_dword v3, v2, s[16:17]
	s_waitcnt vmcnt(0)
	ds_write_b32 v4, v3
.LBB61_4:
	s_or_b32 exec_lo, exec_lo, s2
	s_load_dwordx4 s[16:19], s[4:5], 0x68
	s_mul_i32 s2, s23, s11
	s_xor_b32 s1, s0, s1
	s_sub_i32 s0, s22, s2
	s_add_i32 s2, s23, 1
	s_sub_i32 s3, s0, s11
	s_cmp_ge_u32 s0, s11
	s_waitcnt lgkmcnt(0)
	s_cselect_b32 s2, s2, s23
	s_cselect_b32 s0, s3, s0
	s_add_i32 s3, s2, 1
	s_cmp_ge_u32 s0, s11
	s_load_dword s0, s[4:5], 0x78
	s_cselect_b32 s2, s3, s2
	s_add_i32 s7, s30, -1
	s_xor_b32 s2, s2, s1
	s_abs_i32 s3, s7
	s_sub_i32 s1, s2, s1
	s_mov_b32 s11, -1
	s_barrier
	s_abs_i32 s12, s19
	s_waitcnt lgkmcnt(0)
	buffer_gl0_inv
	v_cvt_f32_u32_e32 v3, s12
	s_sub_i32 s2, 0, s12
                                        ; implicit-def: $sgpr31
	v_rcp_iflag_f32_e32 v3, v3
	v_mul_f32_e32 v3, 0x4f7ffffe, v3
	v_cvt_u32_f32_e32 v3, v3
	v_readfirstlane_b32 s21, v3
	s_mul_i32 s2, s2, s21
	s_mul_hi_u32 s2, s21, s2
	s_add_i32 s21, s21, s2
	s_cmp_lt_i32 s0, 0
	s_mul_hi_u32 s2, s3, s21
	s_cbranch_scc0 .LBB61_6
; %bb.5:
	s_mul_i32 s11, s16, s28
	s_add_i32 s11, s1, s11
	s_mul_i32 s11, s11, s0
	s_sub_i32 s31, 1, s11
	s_mov_b32 s11, 0
.LBB61_6:
	s_load_dwordx2 s[22:23], s[4:5], 0x28
	s_ashr_i32 s7, s7, 31
	s_andn2_b32 vcc_lo, exec_lo, s11
	s_ashr_i32 s19, s19, 31
	s_cbranch_vccnz .LBB61_8
; %bb.7:
	s_mul_i32 s11, s9, s16
	s_add_i32 s6, s11, s6
	s_mul_i32 s0, s6, s0
	s_add_i32 s31, s0, 1
.LBB61_8:
	s_load_dword s0, s[4:5], 0x38
	s_mul_i32 s6, s2, s12
	s_xor_b32 s15, s7, s19
	s_sub_i32 s3, s3, s6
	s_add_i32 s16, s2, 1
	s_clause 0x2
	s_load_dwordx2 s[6:7], s[4:5], 0x0
	s_load_dwordx2 s[26:27], s[4:5], 0x18
	s_load_dword s11, s[4:5], 0x88
	v_lshrrev_b32_e32 v9, 5, v0
	v_mov_b32_e32 v5, 0xff7fffff
	v_lshrrev_b32_e32 v3, 3, v0
	v_mbcnt_lo_u32_b32 v4, -1, 0
	s_mul_i32 s14, s1, s14
	v_lshlrev_b32_e32 v10, 3, v9
	s_waitcnt lgkmcnt(0)
	s_mul_i32 s24, s0, s10
	s_sub_i32 s0, s3, s12
	s_ashr_i32 s25, s24, 31
	s_cmp_ge_u32 s3, s12
	s_cselect_b32 s2, s16, s2
	s_cselect_b32 s0, s0, s3
	s_add_i32 s3, s2, 1
	s_cmp_ge_u32 s0, s12
	s_cselect_b32 s0, s3, s2
	s_add_i32 s2, s30, 7
	s_ashr_i32 s3, s2, 31
	s_lshr_b32 s3, s3, 29
	s_add_i32 s2, s2, s3
	s_ashr_i32 s16, s2, 3
	s_xor_b32 s2, s0, s15
	v_cmp_gt_i32_e64 s0, s16, v9
	s_sub_i32 s28, s2, s15
	s_and_saveexec_b32 s34, s0
	s_cbranch_execz .LBB61_20
; %bb.9:
	s_load_dwordx2 s[2:3], s[4:5], 0x10
	s_ashr_i32 s15, s14, 31
	s_sub_i32 s4, s28, s17
	s_lshl_b64 s[36:37], s[14:15], 1
	v_bfe_u32 v6, v0, 2, 3
	v_and_b32_e32 v16, 12, v2
	v_cmp_eq_u32_e32 vcc_lo, 0, v1
	v_mul_u32_u24_e32 v7, 0x60, v1
	v_and_b32_e32 v1, 0x7c, v3
	v_lshlrev_b32_e32 v2, 2, v6
	v_subrev_nc_u32_e32 v15, s30, v6
	v_lshlrev_b32_e32 v17, 4, v6
	v_cmp_neq_f32_e64 s1, s33, 0
	v_lshlrev_b32_e32 v8, 3, v9
	v_lshl_or_b32 v2, v9, 5, v2
	v_mov_b32_e32 v11, 0xff7fffff
	v_xor_b32_e32 v12, 2, v4
	v_xor_b32_e32 v13, 1, v4
	s_waitcnt lgkmcnt(0)
	s_add_u32 s15, s2, s36
	s_addc_u32 s35, s3, s37
	s_abs_i32 s5, s18
	v_add_co_u32 v17, s15, s15, v17
	v_cvt_f32_u32_e32 v5, s5
	s_sub_i32 s2, 0, s5
	v_add_co_ci_u32_e64 v19, null, s35, 0, s15
	s_mov_b32 s15, 0
	v_rcp_iflag_f32_e32 v5, v5
	s_mov_b32 s35, s13
	v_mul_f32_e32 v14, 0x4f7ffffe, v5
	v_mov_b32_e32 v5, 0xff7fffff
	v_cvt_u32_f32_e32 v18, v14
	v_add_nc_u32_e32 v14, 1, v15
	v_add_nc_u32_e32 v15, 0x1a0, v2
	v_mul_lo_u32 v2, s2, v18
	s_lshl_b64 s[2:3], s[24:25], 2
	s_add_u32 s2, s22, s2
	s_addc_u32 s3, s23, s3
	v_add_co_u32 v1, s2, s2, v1
	v_mul_hi_u32 v20, v18, v2
	v_add_co_ci_u32_e64 v2, null, s3, 0, s2
	v_add_co_u32 v16, s2, v17, v16
	v_add_co_ci_u32_e64 v17, null, 0, v19, s2
	v_mov_b32_e32 v19, v9
	v_add_nc_u32_e32 v18, v18, v20
	s_branch .LBB61_12
.LBB61_10:                              ;   in Loop: Header=BB61_12 Depth=1
	s_or_b32 exec_lo, exec_lo, s36
.LBB61_11:                              ;   in Loop: Header=BB61_12 Depth=1
	s_or_b32 exec_lo, exec_lo, s3
	v_add_nc_u32_e32 v19, 4, v19
	v_add_co_u32 v1, s3, v1, 16
	v_add_co_ci_u32_e64 v2, null, 0, v2, s3
	v_cmp_le_i32_e64 s2, s16, v19
	v_add_nc_u32_e32 v8, 32, v8
	v_add_nc_u32_e32 v15, 0x80, v15
	s_or_b32 s15, s2, s15
	s_andn2_b32 exec_lo, exec_lo, s15
	s_cbranch_execz .LBB61_19
.LBB61_12:                              ; =>This Inner Loop Header: Depth=1
	v_mul_hi_u32 v20, v8, s21
	s_waitcnt lgkmcnt(0)
	v_mul_lo_u32 v21, v20, s12
	v_add_nc_u32_e32 v22, 1, v20
	v_sub_nc_u32_e32 v21, v8, v21
	v_subrev_nc_u32_e32 v23, s12, v21
	v_cmp_le_u32_e64 s2, s12, v21
	v_cndmask_b32_e64 v20, v20, v22, s2
	v_cndmask_b32_e64 v21, v21, v23, s2
	v_add_nc_u32_e32 v22, 1, v20
	v_cmp_le_u32_e64 s2, s12, v21
	v_cndmask_b32_e64 v20, v20, v22, s2
	v_xor_b32_e32 v20, s19, v20
	v_subrev_nc_u32_e32 v20, s19, v20
	v_add_nc_u32_e32 v21, s31, v20
	v_cmp_ge_i32_e64 s3, s4, v20
	v_sub_nc_u32_e32 v22, 0, v21
	v_max_i32_e32 v22, v21, v22
	v_ashrrev_i32_e32 v21, 31, v21
	v_mul_hi_u32 v23, v22, v18
	v_mul_lo_u32 v23, v23, s5
	v_sub_nc_u32_e32 v22, v22, v23
	v_subrev_nc_u32_e32 v23, s5, v22
	v_cmp_le_u32_e64 s2, s5, v22
	v_cndmask_b32_e64 v22, v22, v23, s2
	v_subrev_nc_u32_e32 v23, s5, v22
	v_cmp_le_u32_e64 s2, s5, v22
	v_cndmask_b32_e64 v22, v22, v23, s2
	v_xor_b32_e32 v22, v22, v21
	v_sub_nc_u32_e32 v21, v22, v21
	v_cmp_ne_u32_e64 s2, 0, v21
	s_and_b32 s2, s2, s3
	s_and_saveexec_b32 s3, s2
	s_xor_b32 s2, exec_lo, s3
	s_cbranch_execz .LBB61_16
; %bb.13:                               ;   in Loop: Header=BB61_12 Depth=1
	s_and_saveexec_b32 s3, vcc_lo
; %bb.14:                               ;   in Loop: Header=BB61_12 Depth=1
	ds_write_b32 v15, v11
; %bb.15:                               ;   in Loop: Header=BB61_12 Depth=1
	s_or_b32 exec_lo, exec_lo, s3
.LBB61_16:                              ;   in Loop: Header=BB61_12 Depth=1
	s_andn2_saveexec_b32 s3, s2
	s_cbranch_execz .LBB61_11
; %bb.17:                               ;   in Loop: Header=BB61_12 Depth=1
	global_load_dword v20, v[1:2], off
	s_waitcnt vmcnt(0)
	v_mad_i64_i32 v[20:21], null, v20, s35, 0
	v_lshlrev_b64 v[20:21], 1, v[20:21]
	v_add_co_u32 v20, s2, v16, v20
	v_add_co_ci_u32_e64 v21, null, v17, v21, s2
	s_clause 0xa
	global_load_dword v22, v[20:21], off
	global_load_dword v29, v[20:21], off offset:128
	global_load_dword v30, v[20:21], off offset:256
	global_load_dword v32, v[20:21], off offset:384
	global_load_dword v33, v[20:21], off offset:512
	global_load_dword v35, v[20:21], off offset:640
	global_load_dword v51, v[20:21], off offset:768
	global_load_dword v57, v[20:21], off offset:896
	global_load_dword v64, v[20:21], off offset:1024
	global_load_dword v69, v[20:21], off offset:1152
	global_load_dword v73, v[20:21], off offset:1280
	ds_read_b32 v23, v7
	s_clause 0x4
	global_load_dword v68, v[20:21], off offset:1408
	global_load_dword v63, v[20:21], off offset:1536
	;; [unrolled: 1-line block ×5, first 2 shown]
	v_add_co_u32 v27, s2, 0x800, v20
	v_add_co_ci_u32_e64 v28, null, 0, v21, s2
	v_cmp_gt_i32_e64 s2, 32, v12
	s_waitcnt lgkmcnt(0)
	v_lshrrev_b32_e32 v36, 16, v23
	v_and_b32_e32 v37, 0xffff, v23
	s_waitcnt vmcnt(15)
	v_and_b32_e32 v38, 0xffff, v22
	v_lshrrev_b32_e32 v39, 16, v22
	s_clause 0x7
	global_load_dword v31, v[27:28], off
	global_load_dword v26, v[27:28], off offset:128
	global_load_dword v25, v[27:28], off offset:256
	;; [unrolled: 1-line block ×7, first 2 shown]
	;;#ASMSTART
	v_cvt_f32_f16 v45, v37;
	;;#ASMEND
	;;#ASMSTART
	v_cvt_f32_f16 v43, v36;
	;;#ASMEND
	;; [unrolled: 3-line block ×4, first 2 shown]
	ds_read_b32 v27, v7 offset:4
	s_waitcnt vmcnt(22)
	v_and_b32_e32 v36, 0xffff, v29
	v_lshrrev_b32_e32 v29, 16, v29
	s_waitcnt vmcnt(18)
	v_and_b32_e32 v52, 0xffff, v35
	v_lshrrev_b32_e32 v53, 16, v35
	;; [unrolled: 3-line block ×9, first 2 shown]
	s_waitcnt vmcnt(10)
	v_and_b32_e32 v86, 0xffff, v50
	s_waitcnt lgkmcnt(0)
	v_and_b32_e32 v28, 0xffff, v27
	v_lshrrev_b32_e32 v27, 16, v27
	;;#ASMSTART
	v_cvt_f32_f16 v61, v28;
	;;#ASMEND
	;;#ASMSTART
	v_cvt_f32_f16 v55, v27;
	;;#ASMEND
	;;#ASMSTART
	v_cvt_f32_f16 v62, v36;
	;;#ASMEND
	;;#ASMSTART
	v_cvt_f32_f16 v56, v29;
	;;#ASMEND
	ds_read_b32 v27, v7 offset:8
	v_and_b32_e32 v29, 0xffff, v30
	v_lshrrev_b32_e32 v30, 16, v30
	v_lshrrev_b32_e32 v50, 16, v50
	s_waitcnt vmcnt(9)
	v_lshrrev_b32_e32 v88, 16, v47
	s_waitcnt lgkmcnt(0)
	v_and_b32_e32 v28, 0xffff, v27
	v_lshrrev_b32_e32 v27, 16, v27
	;;#ASMSTART
	v_cvt_f32_f16 v48, v28;
	;;#ASMEND
	;;#ASMSTART
	v_cvt_f32_f16 v38, v27;
	;;#ASMEND
	;; [unrolled: 3-line block ×4, first 2 shown]
	ds_read_b32 v27, v7 offset:12
	v_and_b32_e32 v29, 0xffff, v32
	v_lshrrev_b32_e32 v30, 16, v32
	v_lshrrev_b32_e32 v32, 16, v33
	s_waitcnt lgkmcnt(0)
	v_and_b32_e32 v28, 0xffff, v27
	v_lshrrev_b32_e32 v27, 16, v27
	;;#ASMSTART
	v_cvt_f32_f16 v41, v28;
	;;#ASMEND
	;;#ASMSTART
	v_cvt_f32_f16 v37, v27;
	;;#ASMEND
	;; [unrolled: 3-line block ×4, first 2 shown]
	ds_read_b32 v27, v7 offset:16
	v_and_b32_e32 v30, 0xffff, v33
	s_waitcnt lgkmcnt(0)
	v_and_b32_e32 v28, 0xffff, v27
	v_lshrrev_b32_e32 v27, 16, v27
	;;#ASMSTART
	v_cvt_f32_f16 v29, v28;
	;;#ASMEND
	;;#ASMSTART
	v_cvt_f32_f16 v27, v27;
	;;#ASMEND
	;;#ASMSTART
	v_cvt_f32_f16 v30, v30;
	;;#ASMEND
	;;#ASMSTART
	v_cvt_f32_f16 v28, v32;
	;;#ASMEND
	ds_read_b32 v32, v7 offset:20
	s_waitcnt lgkmcnt(0)
	v_and_b32_e32 v33, 0xffff, v32
	v_lshrrev_b32_e32 v36, 16, v32
	;;#ASMSTART
	v_cvt_f32_f16 v32, v33;
	;;#ASMEND
	;;#ASMSTART
	v_cvt_f32_f16 v33, v36;
	;;#ASMEND
	;;#ASMSTART
	v_cvt_f32_f16 v35, v52;
	;;#ASMEND
	;;#ASMSTART
	v_cvt_f32_f16 v36, v53;
	;;#ASMEND
	ds_read_b32 v52, v7 offset:24
	s_waitcnt lgkmcnt(0)
	v_and_b32_e32 v53, 0xffff, v52
	v_lshrrev_b32_e32 v52, 16, v52
	;;#ASMSTART
	v_cvt_f32_f16 v51, v53;
	;;#ASMEND
	;;#ASMSTART
	v_cvt_f32_f16 v52, v52;
	;;#ASMEND
	;;#ASMSTART
	v_cvt_f32_f16 v53, v54;
	;;#ASMEND
	;;#ASMSTART
	v_cvt_f32_f16 v54, v58;
	;;#ASMEND
	ds_read_b32 v58, v7 offset:28
	s_waitcnt lgkmcnt(0)
	v_and_b32_e32 v59, 0xffff, v58
	v_lshrrev_b32_e32 v58, 16, v58
	;;#ASMSTART
	v_cvt_f32_f16 v57, v59;
	;;#ASMEND
	;;#ASMSTART
	v_cvt_f32_f16 v58, v58;
	;;#ASMEND
	;;#ASMSTART
	v_cvt_f32_f16 v59, v60;
	;;#ASMEND
	;;#ASMSTART
	v_cvt_f32_f16 v60, v65;
	;;#ASMEND
	ds_read_b32 v65, v7 offset:32
	s_waitcnt lgkmcnt(0)
	v_and_b32_e32 v66, 0xffff, v65
	v_lshrrev_b32_e32 v65, 16, v65
	;;#ASMSTART
	v_cvt_f32_f16 v64, v66;
	;;#ASMEND
	;;#ASMSTART
	v_cvt_f32_f16 v65, v65;
	;;#ASMEND
	;;#ASMSTART
	v_cvt_f32_f16 v66, v67;
	;;#ASMEND
	;;#ASMSTART
	v_cvt_f32_f16 v67, v70;
	;;#ASMEND
	ds_read_b32 v70, v7 offset:36
	s_waitcnt lgkmcnt(0)
	v_and_b32_e32 v71, 0xffff, v70
	v_lshrrev_b32_e32 v70, 16, v70
	;;#ASMSTART
	v_cvt_f32_f16 v69, v71;
	;;#ASMEND
	;;#ASMSTART
	v_cvt_f32_f16 v70, v70;
	;;#ASMEND
	;;#ASMSTART
	v_cvt_f32_f16 v71, v72;
	;;#ASMEND
	;;#ASMSTART
	v_cvt_f32_f16 v72, v74;
	;;#ASMEND
	ds_read_b32 v74, v7 offset:40
	s_waitcnt lgkmcnt(0)
	v_and_b32_e32 v75, 0xffff, v74
	v_lshrrev_b32_e32 v74, 16, v74
	;;#ASMSTART
	v_cvt_f32_f16 v73, v75;
	;;#ASMEND
	;;#ASMSTART
	v_cvt_f32_f16 v74, v74;
	;;#ASMEND
	;;#ASMSTART
	v_cvt_f32_f16 v75, v76;
	;;#ASMEND
	;;#ASMSTART
	v_cvt_f32_f16 v76, v77;
	;;#ASMEND
	ds_read_b32 v77, v7 offset:44
	s_waitcnt lgkmcnt(0)
	v_and_b32_e32 v78, 0xffff, v77
	v_lshrrev_b32_e32 v77, 16, v77
	;;#ASMSTART
	v_cvt_f32_f16 v68, v78;
	;;#ASMEND
	;;#ASMSTART
	v_cvt_f32_f16 v77, v77;
	;;#ASMEND
	;;#ASMSTART
	v_cvt_f32_f16 v78, v79;
	;;#ASMEND
	;;#ASMSTART
	v_cvt_f32_f16 v79, v80;
	;;#ASMEND
	ds_read_b32 v80, v7 offset:48
	s_waitcnt lgkmcnt(0)
	v_and_b32_e32 v81, 0xffff, v80
	v_lshrrev_b32_e32 v80, 16, v80
	;;#ASMSTART
	v_cvt_f32_f16 v63, v81;
	;;#ASMEND
	;;#ASMSTART
	v_cvt_f32_f16 v80, v80;
	;;#ASMEND
	;;#ASMSTART
	v_cvt_f32_f16 v81, v82;
	;;#ASMEND
	;;#ASMSTART
	v_cvt_f32_f16 v82, v83;
	;;#ASMEND
	ds_read_b32 v83, v7 offset:52
	s_waitcnt lgkmcnt(0)
	v_and_b32_e32 v84, 0xffff, v83
	v_lshrrev_b32_e32 v85, 16, v83
	;;#ASMSTART
	v_cvt_f32_f16 v83, v84;
	;;#ASMEND
	;;#ASMSTART
	v_cvt_f32_f16 v84, v85;
	;;#ASMEND
	;;#ASMSTART
	v_cvt_f32_f16 v85, v86;
	;;#ASMEND
	;;#ASMSTART
	v_cvt_f32_f16 v86, v50;
	;;#ASMEND
	ds_read_b32 v87, v7 offset:56
	v_mul_f32_e32 v50, v61, v62
	v_fmac_f32_e32 v50, v45, v46
	v_fmac_f32_e32 v50, v48, v49
	s_waitcnt vmcnt(7)
	v_and_b32_e32 v49, 0xffff, v31
	v_fmac_f32_e32 v50, v41, v42
	s_waitcnt lgkmcnt(0)
	v_and_b32_e32 v61, 0xffff, v87
	v_lshrrev_b32_e32 v62, 16, v87
	v_and_b32_e32 v87, 0xffff, v47
	v_mul_f32_e32 v47, v55, v56
	;;#ASMSTART
	v_cvt_f32_f16 v55, v61;
	;;#ASMEND
	;;#ASMSTART
	v_cvt_f32_f16 v56, v62;
	;;#ASMEND
	;; [unrolled: 3-line block ×4, first 2 shown]
	ds_read_b32 v87, v7 offset:60
	v_lshrrev_b32_e32 v88, 16, v34
	v_fmac_f32_e32 v47, v43, v44
	v_fmac_f32_e32 v50, v29, v30
	;; [unrolled: 1-line block ×4, first 2 shown]
	s_waitcnt vmcnt(3)
	v_and_b32_e32 v32, 0xffff, v23
	v_lshrrev_b32_e32 v35, 16, v23
	v_fmac_f32_e32 v47, v37, v39
	v_fmac_f32_e32 v50, v51, v53
	s_waitcnt vmcnt(2)
	v_lshrrev_b32_e32 v51, 16, v22
	v_fmac_f32_e32 v47, v27, v28
	v_fmac_f32_e32 v50, v57, v59
	s_waitcnt lgkmcnt(0)
	v_and_b32_e32 v45, 0xffff, v87
	v_lshrrev_b32_e32 v46, 16, v87
	v_and_b32_e32 v87, 0xffff, v34
	;;#ASMSTART
	v_cvt_f32_f16 v34, v45;
	;;#ASMEND
	;;#ASMSTART
	v_cvt_f32_f16 v43, v46;
	;;#ASMEND
	;; [unrolled: 3-line block ×4, first 2 shown]
	ds_read_b32 v46, v7 offset:64
	v_lshrrev_b32_e32 v87, 16, v31
	v_lshrrev_b32_e32 v88, 16, v26
	v_fmac_f32_e32 v47, v33, v36
	v_fmac_f32_e32 v50, v64, v66
	;; [unrolled: 1-line block ×4, first 2 shown]
	v_and_b32_e32 v52, 0xffff, v22
	v_fmac_f32_e32 v47, v58, v60
	v_fmac_f32_e32 v50, v73, v75
	;; [unrolled: 1-line block ×4, first 2 shown]
	s_waitcnt lgkmcnt(0)
	v_and_b32_e32 v48, 0xffff, v46
	v_lshrrev_b32_e32 v46, 16, v46
	;;#ASMSTART
	v_cvt_f32_f16 v31, v48;
	;;#ASMEND
	;;#ASMSTART
	v_cvt_f32_f16 v46, v46;
	;;#ASMEND
	;; [unrolled: 3-line block ×4, first 2 shown]
	ds_read_b32 v87, v7 offset:68
	v_fmac_f32_e32 v47, v70, v72
	v_fmac_f32_e32 v50, v63, v81
	;; [unrolled: 1-line block ×8, first 2 shown]
	s_waitcnt vmcnt(1)
	v_lshrrev_b32_e32 v34, 16, v21
	v_and_b32_e32 v44, 0xffff, v21
	s_waitcnt lgkmcnt(0)
	v_and_b32_e32 v38, 0xffff, v87
	v_lshrrev_b32_e32 v40, 16, v87
	v_and_b32_e32 v87, 0xffff, v26
	;;#ASMSTART
	v_cvt_f32_f16 v26, v38;
	;;#ASMEND
	;;#ASMSTART
	v_cvt_f32_f16 v38, v40;
	;;#ASMEND
	;; [unrolled: 3-line block ×4, first 2 shown]
	ds_read_b32 v42, v7 offset:72
	v_lshrrev_b32_e32 v87, 16, v25
	v_lshrrev_b32_e32 v88, 16, v24
	v_fmac_f32_e32 v47, v84, v86
	v_fmac_f32_e32 v50, v31, v48
	;; [unrolled: 1-line block ×6, first 2 shown]
	s_waitcnt lgkmcnt(0)
	v_and_b32_e32 v37, 0xffff, v42
	v_lshrrev_b32_e32 v39, 16, v42
	v_and_b32_e32 v42, 0xffff, v25
	;;#ASMSTART
	v_cvt_f32_f16 v25, v37;
	;;#ASMEND
	;;#ASMSTART
	v_cvt_f32_f16 v37, v39;
	;;#ASMEND
	;; [unrolled: 3-line block ×4, first 2 shown]
	ds_read_b32 v87, v7 offset:76
	v_fmac_f32_e32 v47, v38, v41
	v_fmac_f32_e32 v50, v25, v39
	;; [unrolled: 1-line block ×3, first 2 shown]
	s_waitcnt lgkmcnt(0)
	v_and_b32_e32 v29, 0xffff, v87
	v_lshrrev_b32_e32 v30, 16, v87
	v_and_b32_e32 v87, 0xffff, v24
	;;#ASMSTART
	v_cvt_f32_f16 v24, v29;
	;;#ASMEND
	;;#ASMSTART
	v_cvt_f32_f16 v27, v30;
	;;#ASMEND
	;; [unrolled: 3-line block ×4, first 2 shown]
	ds_read_b32 v30, v7 offset:80
	v_fmac_f32_e32 v50, v24, v28
	v_fmac_f32_e32 v47, v27, v29
	s_waitcnt vmcnt(0)
	v_lshrrev_b32_e32 v24, 16, v20
	v_and_b32_e32 v27, 0xffff, v20
	s_waitcnt lgkmcnt(0)
	v_and_b32_e32 v33, 0xffff, v30
	v_lshrrev_b32_e32 v30, 16, v30
	;;#ASMSTART
	v_cvt_f32_f16 v23, v33;
	;;#ASMEND
	;;#ASMSTART
	v_cvt_f32_f16 v30, v30;
	;;#ASMEND
	;; [unrolled: 3-line block ×4, first 2 shown]
	ds_read_b32 v35, v7 offset:84
	v_fmac_f32_e32 v50, v23, v32
	v_fmac_f32_e32 v47, v30, v33
	v_cndmask_b32_e64 v23, v4, v12, s2
	v_cmp_gt_i32_e64 s2, 32, v13
	s_waitcnt lgkmcnt(0)
	v_and_b32_e32 v36, 0xffff, v35
	v_lshrrev_b32_e32 v35, 16, v35
	;;#ASMSTART
	v_cvt_f32_f16 v22, v36;
	;;#ASMEND
	;;#ASMSTART
	v_cvt_f32_f16 v35, v35;
	;;#ASMEND
	;; [unrolled: 3-line block ×4, first 2 shown]
	ds_read_b32 v52, v7 offset:88
	v_fmac_f32_e32 v50, v22, v36
	v_fmac_f32_e32 v47, v35, v51
	s_waitcnt lgkmcnt(0)
	v_and_b32_e32 v31, 0xffff, v52
	v_lshrrev_b32_e32 v43, 16, v52
	;;#ASMSTART
	v_cvt_f32_f16 v21, v31;
	;;#ASMEND
	;;#ASMSTART
	v_cvt_f32_f16 v26, v43;
	;;#ASMEND
	;; [unrolled: 3-line block ×4, first 2 shown]
	ds_read_b32 v38, v7 offset:92
	v_fmac_f32_e32 v50, v21, v31
	v_fmac_f32_e32 v47, v26, v34
	s_waitcnt lgkmcnt(0)
	v_and_b32_e32 v22, 0xffff, v38
	v_lshrrev_b32_e32 v25, 16, v38
	;;#ASMSTART
	v_cvt_f32_f16 v20, v22;
	;;#ASMEND
	;;#ASMSTART
	v_cvt_f32_f16 v21, v25;
	;;#ASMEND
	;; [unrolled: 3-line block ×4, first 2 shown]
	v_fmac_f32_e32 v50, v20, v22
	v_fmac_f32_e32 v47, v21, v24
	v_lshlrev_b32_e32 v20, 2, v23
	v_cndmask_b32_e64 v22, v4, v13, s2
	v_add_f32_e32 v21, v50, v47
	ds_bpermute_b32 v20, v20, v21
	s_waitcnt lgkmcnt(0)
	v_add_f32_e32 v20, v21, v20
	v_lshlrev_b32_e32 v21, 2, v22
	ds_bpermute_b32 v21, v21, v20
	s_and_saveexec_b32 s36, vcc_lo
	s_cbranch_execz .LBB61_10
; %bb.18:                               ;   in Loop: Header=BB61_12 Depth=1
	v_add_nc_u32_e32 v22, v14, v8
	s_waitcnt lgkmcnt(0)
	v_add_f32_e32 v20, v20, v21
	v_cvt_f32_i32_e32 v22, v22
	v_mul_f32_e32 v22, s33, v22
	v_cndmask_b32_e64 v21, 0, v22, s1
	v_max_f32_e32 v22, v5, v5
	v_fmac_f32_e32 v21, s29, v20
	v_add_nc_u32_e32 v20, v6, v8
	v_max_f32_e32 v22, v22, v21
	v_cmp_gt_i32_e64 s2, s30, v20
	v_cndmask_b32_e64 v20, 0, v21, s2
	v_cndmask_b32_e64 v5, v5, v22, s2
	ds_write_b32 v15, v20
	s_branch .LBB61_10
.LBB61_19:
	s_or_b32 exec_lo, exec_lo, s15
.LBB61_20:
	s_or_b32 exec_lo, exec_lo, s34
	v_xor_b32_e32 v1, 16, v4
	v_xor_b32_e32 v6, 8, v4
	v_max_f32_e32 v7, v5, v5
	v_and_b32_e32 v11, 31, v0
	v_cmp_gt_i32_e32 vcc_lo, 32, v1
	v_cndmask_b32_e32 v1, v4, v1, vcc_lo
	v_cmp_gt_i32_e32 vcc_lo, 32, v6
	v_lshlrev_b32_e32 v2, 2, v1
	ds_bpermute_b32 v1, v2, v5
	v_cndmask_b32_e32 v5, v4, v6, vcc_lo
	v_lshlrev_b32_e32 v5, 2, v5
	s_waitcnt lgkmcnt(0)
	v_max_f32_e32 v1, v1, v1
	v_max_f32_e32 v1, v7, v1
	v_xor_b32_e32 v7, 4, v4
	ds_bpermute_b32 v6, v5, v1
	v_cmp_gt_i32_e32 vcc_lo, 32, v7
	v_cndmask_b32_e32 v7, v4, v7, vcc_lo
	v_cmp_eq_u32_e32 vcc_lo, 0, v11
	v_lshlrev_b32_e32 v8, 2, v7
	s_waitcnt lgkmcnt(0)
	v_max_f32_e32 v6, v6, v6
	v_max_f32_e32 v1, v1, v6
	v_lshlrev_b32_e32 v6, 2, v9
	ds_bpermute_b32 v7, v8, v1
	s_and_saveexec_b32 s1, vcc_lo
	s_cbranch_execz .LBB61_22
; %bb.21:
	s_waitcnt lgkmcnt(0)
	v_max_f32_e32 v7, v7, v7
	v_max_f32_e32 v1, v1, v1
	;; [unrolled: 1-line block ×3, first 2 shown]
	ds_write_b32 v6, v1 offset:384
.LBB61_22:
	s_or_b32 exec_lo, exec_lo, s1
	v_cmp_gt_u32_e64 s1, 4, v11
	v_mov_b32_e32 v1, 0xff7fffff
	s_waitcnt lgkmcnt(0)
	v_lshlrev_b32_e32 v7, 2, v11
	s_barrier
	buffer_gl0_inv
	s_and_saveexec_b32 s2, s1
; %bb.23:
	ds_read_b32 v1, v7 offset:384
; %bb.24:
	s_or_b32 exec_lo, exec_lo, s2
	v_xor_b32_e32 v12, 2, v4
	v_xor_b32_e32 v14, 1, v4
	v_cmp_gt_i32_e64 s2, 32, v12
	v_cndmask_b32_e64 v12, v4, v12, s2
	v_cmp_gt_i32_e64 s2, 32, v14
	v_lshlrev_b32_e32 v12, 2, v12
	v_cndmask_b32_e64 v4, v4, v14, s2
	s_lshl_b32 s2, s16, 3
	s_min_i32 s4, s2, s30
	s_waitcnt lgkmcnt(0)
	ds_bpermute_b32 v13, v12, v1
	v_max_f32_e32 v1, v1, v1
	v_lshlrev_b32_e32 v4, 2, v4
	v_cmp_gt_i32_e64 s2, s4, v0
	s_waitcnt lgkmcnt(0)
	v_max_f32_e32 v13, v13, v13
	v_max_f32_e32 v1, v1, v13
	ds_bpermute_b32 v13, v4, v1
	s_waitcnt lgkmcnt(0)
	v_max_f32_e32 v13, v13, v13
	v_max_f32_e32 v1, v1, v13
	v_mov_b32_e32 v13, 0
	ds_bpermute_b32 v14, v13, v1
	v_lshl_add_u32 v1, v0, 2, 0x1a0
	s_and_saveexec_b32 s5, s2
	s_cbranch_execz .LBB61_28
; %bb.25:
	v_lshl_add_u32 v15, v0, 2, 0x1a0
	v_mov_b32_e32 v13, 0
	v_mov_b32_e32 v16, v0
	s_mov_b32 s15, 0
	.p2align	6
.LBB61_26:                              ; =>This Inner Loop Header: Depth=1
	ds_read_b32 v17, v15
	v_add_nc_u32_e32 v16, 0x80, v16
	v_cmp_le_i32_e64 s3, s4, v16
	s_or_b32 s15, s3, s15
	s_waitcnt lgkmcnt(0)
	v_sub_f32_e32 v17, v17, v14
	v_mul_f32_e32 v17, 0x3fb8aa3b, v17
	v_exp_f32_e32 v17, v17
	ds_write_b32 v15, v17
	v_add_f32_e32 v13, v13, v17
	v_add_nc_u32_e32 v15, 0x200, v15
	s_andn2_b32 exec_lo, exec_lo, s15
	s_cbranch_execnz .LBB61_26
; %bb.27:
	s_or_b32 exec_lo, exec_lo, s15
.LBB61_28:
	s_or_b32 exec_lo, exec_lo, s5
	ds_bpermute_b32 v2, v2, v13
	s_waitcnt lgkmcnt(0)
	v_add_f32_e32 v2, v13, v2
	ds_bpermute_b32 v5, v5, v2
	s_waitcnt lgkmcnt(0)
	v_add_f32_e32 v2, v2, v5
	;; [unrolled: 3-line block ×5, first 2 shown]
	s_and_saveexec_b32 s3, vcc_lo
; %bb.29:
	ds_write_b32 v6, v2 offset:400
; %bb.30:
	s_or_b32 exec_lo, exec_lo, s3
	s_waitcnt lgkmcnt(0)
	s_barrier
	buffer_gl0_inv
	s_and_saveexec_b32 s3, s1
; %bb.31:
	ds_read_b32 v2, v7 offset:400
; %bb.32:
	s_or_b32 exec_lo, exec_lo, s3
	s_waitcnt lgkmcnt(0)
	ds_bpermute_b32 v5, v12, v2
	s_waitcnt lgkmcnt(0)
	v_add_f32_e32 v2, v2, v5
	ds_bpermute_b32 v4, v4, v2
	s_waitcnt lgkmcnt(0)
	v_add_f32_e32 v2, v2, v4
	v_mov_b32_e32 v4, 0
	ds_bpermute_b32 v2, v4, v2
	s_and_saveexec_b32 s1, s2
	s_cbranch_execz .LBB61_35
; %bb.33:
	s_waitcnt lgkmcnt(0)
	v_add_f32_e32 v2, 0x358637bd, v2
	s_mov_b32 s2, 0
	v_div_scale_f32 v4, null, v2, v2, 1.0
	v_div_scale_f32 v7, vcc_lo, 1.0, v2, 1.0
	v_rcp_f32_e32 v5, v4
	v_fma_f32 v6, -v4, v5, 1.0
	v_fmac_f32_e32 v5, v6, v5
	v_mul_f32_e32 v6, v7, v5
	v_fma_f32 v8, -v4, v6, v7
	v_fmac_f32_e32 v6, v8, v5
	v_fma_f32 v4, -v4, v6, v7
	v_div_fmas_f32 v4, v4, v5, v6
	v_div_fixup_f32 v2, v4, v2, 1.0
	v_mov_b32_e32 v4, v0
.LBB61_34:                              ; =>This Inner Loop Header: Depth=1
	ds_read_b32 v5, v1
	v_add_nc_u32_e32 v4, 0x80, v4
	v_cmp_le_i32_e32 vcc_lo, s4, v4
	s_or_b32 s2, vcc_lo, s2
	s_waitcnt lgkmcnt(0)
	v_mul_f32_e32 v5, v2, v5
	ds_write_b32 v1, v5
	v_add_nc_u32_e32 v1, 0x200, v1
	s_andn2_b32 exec_lo, exec_lo, s2
	s_cbranch_execnz .LBB61_34
.LBB61_35:
	s_or_b32 exec_lo, exec_lo, s1
	v_mov_b32_e32 v17, 0
	v_mov_b32_e32 v16, 0
	;; [unrolled: 1-line block ×6, first 2 shown]
	s_waitcnt lgkmcnt(0)
	s_barrier
	buffer_gl0_inv
	s_and_saveexec_b32 s2, s0
	s_cbranch_execz .LBB61_53
; %bb.36:
	s_ashr_i32 s15, s14, 31
	s_sub_i32 s3, s28, s17
	s_lshl_b64 s[0:1], s[14:15], 1
	v_lshlrev_b32_e32 v2, 4, v11
	s_add_u32 s14, s26, s0
	s_addc_u32 s15, s27, s1
	s_abs_i32 s4, s18
	v_and_b32_e32 v3, 0x7c, v3
	v_cvt_f32_u32_e32 v1, s4
	s_sub_i32 s0, 0, s4
	s_add_i32 s5, s16, -1
	v_add_co_u32 v20, s14, s14, v2
	v_rcp_iflag_f32_e32 v1, v1
	v_mov_b32_e32 v18, 0
	v_lshl_add_u32 v19, v9, 5, 0x1a0
	v_mov_b32_e32 v12, 0
	v_mov_b32_e32 v13, 0
	v_mov_b32_e32 v14, 0
	v_mov_b32_e32 v15, 0
	v_mov_b32_e32 v16, 0
	v_mov_b32_e32 v17, 0
	v_add_co_ci_u32_e64 v21, null, s15, 0, s14
	v_mul_f32_e32 v1, 0x4f7ffffe, v1
	v_mov_b32_e32 v23, v9
	s_mov_b32 s14, s13
	s_mov_b32 s13, 0
	v_cvt_u32_f32_e32 v1, v1
	v_mul_lo_u32 v4, s0, v1
	s_lshl_b64 s[0:1], s[24:25], 2
	s_add_u32 s0, s22, s0
	s_addc_u32 s1, s23, s1
	v_add_co_u32 v5, s0, s0, v3
	v_add_co_ci_u32_e64 v6, null, s1, 0, s0
	v_mul_hi_u32 v4, v1, v4
	v_add_nc_u32_e32 v22, v1, v4
	s_branch .LBB61_39
.LBB61_37:                              ;   in Loop: Header=BB61_39 Depth=1
	s_or_b32 exec_lo, exec_lo, s1
	v_lshlrev_b32_e32 v24, 16, v45
	v_lshlrev_b32_e32 v8, 16, v8
	v_lshlrev_b32_e32 v7, 16, v7
	v_add_f32_e32 v25, v43, v44
	v_and_or_b32 v1, 0xffff, v1, v24
	v_and_or_b32 v2, 0xffff, v2, v8
	;; [unrolled: 1-line block ×3, first 2 shown]
	;;#ASMSTART
	v_pk_mul_f16 v1, v32, v1;

	;;#ASMEND
	;;#ASMSTART
	v_pk_mul_f16 v2, v31, v2;

	;;#ASMEND
	;; [unrolled: 4-line block ×4, first 2 shown]
	;;#ASMSTART
	v_pk_add_f16 v1, v1, v2;

	;;#ASMEND
	;;#ASMSTART
	v_pk_add_f16 v1, v1, v3;

	;;#ASMEND
	;; [unrolled: 4-line block ×3, first 2 shown]
	v_and_b32_e32 v4, 0xffff, v1
	v_lshrrev_b32_e32 v8, 16, v1
	;;#ASMSTART
	v_cvt_f32_f16 v4, v4;
	;;#ASMEND
	v_add_f32_e32 v7, v41, v42
	v_add_f32_e32 v1, v39, v40
	;; [unrolled: 1-line block ×4, first 2 shown]
	;;#ASMSTART
	v_cvt_f32_f16 v8, v8;
	;;#ASMEND
	v_add_f32_e32 v4, v4, v8
	v_add_f32_e32 v13, v13, v25
	;; [unrolled: 1-line block ×7, first 2 shown]
.LBB61_38:                              ;   in Loop: Header=BB61_39 Depth=1
	s_or_b32 exec_lo, exec_lo, s15
	v_add_nc_u32_e32 v23, 4, v23
	v_add_co_u32 v5, s0, v5, 16
	v_add_co_ci_u32_e64 v6, null, 0, v6, s0
	v_cmp_le_i32_e32 vcc_lo, s16, v23
	v_add_nc_u32_e32 v10, 32, v10
	v_add_nc_u32_e32 v19, 0x80, v19
	s_or_b32 s13, vcc_lo, s13
	s_andn2_b32 exec_lo, exec_lo, s13
	s_cbranch_execz .LBB61_52
.LBB61_39:                              ; =>This Inner Loop Header: Depth=1
	v_mul_hi_u32 v1, v10, s21
	v_mul_lo_u32 v2, v1, s12
	v_add_nc_u32_e32 v3, 1, v1
	v_sub_nc_u32_e32 v2, v10, v2
	v_subrev_nc_u32_e32 v4, s12, v2
	v_cmp_le_u32_e32 vcc_lo, s12, v2
	v_cndmask_b32_e32 v1, v1, v3, vcc_lo
	v_cndmask_b32_e32 v2, v2, v4, vcc_lo
	v_add_nc_u32_e32 v3, 1, v1
	v_cmp_le_u32_e32 vcc_lo, s12, v2
	v_cndmask_b32_e32 v1, v1, v3, vcc_lo
	v_xor_b32_e32 v1, s19, v1
	v_subrev_nc_u32_e32 v1, s19, v1
	v_add_nc_u32_e32 v2, s31, v1
	v_cmp_lt_i32_e64 s0, s3, v1
	v_sub_nc_u32_e32 v3, 0, v2
	v_max_i32_e32 v3, v2, v3
	v_ashrrev_i32_e32 v2, 31, v2
	v_mul_hi_u32 v4, v3, v22
	v_mul_lo_u32 v4, v4, s4
	v_sub_nc_u32_e32 v3, v3, v4
	v_subrev_nc_u32_e32 v4, s4, v3
	v_cmp_le_u32_e32 vcc_lo, s4, v3
	v_cndmask_b32_e32 v3, v3, v4, vcc_lo
	v_subrev_nc_u32_e32 v4, s4, v3
	v_cmp_le_u32_e32 vcc_lo, s4, v3
	v_cndmask_b32_e32 v3, v3, v4, vcc_lo
	v_xor_b32_e32 v3, v3, v2
	v_sub_nc_u32_e32 v2, v3, v2
	v_cmp_eq_u32_e32 vcc_lo, 0, v2
	s_or_b32 s0, vcc_lo, s0
	s_and_saveexec_b32 s15, s0
	s_cbranch_execz .LBB61_38
; %bb.40:                               ;   in Loop: Header=BB61_39 Depth=1
	global_load_dword v7, v[5:6], off
	ds_read2_b64 v[1:4], v19 offset1:1
	ds_read2_b64 v[24:27], v19 offset0:2 offset1:3
	v_cmp_eq_u32_e64 s0, s5, v23
	v_add_nc_u32_e32 v30, 1, v10
	v_add_nc_u32_e32 v28, 2, v10
	;; [unrolled: 1-line block ×3, first 2 shown]
	s_waitcnt lgkmcnt(1)
	;;#ASMSTART
	v_cvt_f16_f32 v32, v1;

	;;#ASMEND
	;;#ASMSTART
	v_cvt_f16_f32 v31, v2;

	;;#ASMEND
	;; [unrolled: 4-line block ×4, first 2 shown]
	s_waitcnt lgkmcnt(0)
	;;#ASMSTART
	v_cvt_f16_f32 v38, v24;

	;;#ASMEND
	;;#ASMSTART
	v_cvt_f16_f32 v34, v25;

	;;#ASMEND
	;; [unrolled: 4-line block ×4, first 2 shown]
	v_add_nc_u32_e32 v27, 3, v10
	v_add_nc_u32_e32 v25, 4, v10
	;; [unrolled: 1-line block ×4, first 2 shown]
	s_waitcnt vmcnt(0)
	v_mad_i64_i32 v[7:8], null, v7, s14, 0
	v_lshlrev_b64 v[7:8], 1, v[7:8]
	v_add_co_u32 v7, vcc_lo, v20, v7
	v_add_co_ci_u32_e64 v8, null, v21, v8, vcc_lo
	global_load_dwordx4 v[1:4], v[7:8], off
	s_waitcnt vmcnt(0)
	v_lshrrev_b32_e32 v41, 16, v1
	v_lshrrev_b32_e32 v40, 16, v2
	;; [unrolled: 1-line block ×3, first 2 shown]
	s_and_saveexec_b32 s17, s0
	s_cbranch_execz .LBB61_42
; %bb.41:                               ;   in Loop: Header=BB61_39 Depth=1
	v_cmp_gt_i32_e32 vcc_lo, s30, v10
	v_and_b32_e32 v42, 0xffff0000, v4
	v_cmp_gt_i32_e64 s1, s30, v28
	v_cndmask_b32_e32 v1, 0, v1, vcc_lo
	v_cmp_gt_i32_e32 vcc_lo, s30, v30
	v_cndmask_b32_e64 v2, 0, v2, s1
	v_cmp_gt_i32_e64 s1, s30, v27
	v_cndmask_b32_e32 v41, 0, v41, vcc_lo
	v_cmp_gt_i32_e32 vcc_lo, s30, v29
	v_cndmask_b32_e64 v40, 0, v40, s1
	v_cndmask_b32_sdwa v4, v18, v4, vcc_lo dst_sel:DWORD dst_unused:UNUSED_PAD src0_sel:DWORD src1_sel:WORD_0
	v_cmp_gt_i32_e32 vcc_lo, s30, v26
	v_cndmask_b32_e32 v42, 0, v42, vcc_lo
	v_cmp_gt_i32_e32 vcc_lo, s30, v25
	v_or_b32_e32 v4, v4, v42
	v_cndmask_b32_e32 v3, 0, v3, vcc_lo
	v_cmp_gt_i32_e32 vcc_lo, s30, v24
	v_cndmask_b32_e32 v39, 0, v39, vcc_lo
.LBB61_42:                              ;   in Loop: Header=BB61_39 Depth=1
	s_or_b32 exec_lo, exec_lo, s17
	v_and_b32_e32 v32, 0xffff, v32
	v_and_b32_e32 v37, 0xffff, v37
	v_lshlrev_b32_e32 v41, 16, v41
	v_lshlrev_b32_e32 v39, 16, v39
	v_and_b32_e32 v38, 0xffff, v38
	v_lshl_or_b32 v32, v31, 16, v32
	v_lshl_or_b32 v31, v35, 16, v37
	v_lshlrev_b32_e32 v37, 16, v40
	v_and_b32_e32 v36, 0xffff, v36
	v_and_or_b32 v1, 0xffff, v1, v41
	v_and_or_b32 v3, 0xffff, v3, v39
	;;#ASMSTART
	v_pk_mul_f16 v1, v32, v1;

	;;#ASMEND
	v_and_or_b32 v2, 0xffff, v2, v37
	v_lshl_or_b32 v35, v34, 16, v38
	v_lshl_or_b32 v36, v33, 16, v36
	;;#ASMSTART
	v_pk_mul_f16 v2, v31, v2;

	;;#ASMEND
	;;#ASMSTART
	v_pk_mul_f16 v3, v35, v3;

	;;#ASMEND
	;; [unrolled: 4-line block ×3, first 2 shown]
	;;#ASMSTART
	v_pk_add_f16 v1, v1, v2;

	;;#ASMEND
	;;#ASMSTART
	v_pk_add_f16 v1, v1, v3;

	;;#ASMEND
	;; [unrolled: 4-line block ×3, first 2 shown]
	v_and_b32_e32 v2, 0xffff, v1
	v_lshrrev_b32_e32 v1, 16, v1
	;;#ASMSTART
	v_cvt_f32_f16 v33, v2;
	;;#ASMEND
	;;#ASMSTART
	v_cvt_f32_f16 v34, v1;
	;;#ASMEND
	global_load_dwordx4 v[1:4], v[7:8], off offset:512
	s_waitcnt vmcnt(0)
	v_lshrrev_b32_e32 v39, 16, v1
	v_lshrrev_b32_e32 v38, 16, v2
	;; [unrolled: 1-line block ×3, first 2 shown]
	s_and_saveexec_b32 s17, s0
	s_cbranch_execz .LBB61_44
; %bb.43:                               ;   in Loop: Header=BB61_39 Depth=1
	v_cmp_gt_i32_e32 vcc_lo, s30, v10
	v_and_b32_e32 v40, 0xffff0000, v4
	v_cmp_gt_i32_e64 s1, s30, v28
	v_cndmask_b32_e32 v1, 0, v1, vcc_lo
	v_cmp_gt_i32_e32 vcc_lo, s30, v30
	v_cndmask_b32_e64 v2, 0, v2, s1
	v_cmp_gt_i32_e64 s1, s30, v27
	v_cndmask_b32_e32 v39, 0, v39, vcc_lo
	v_cmp_gt_i32_e32 vcc_lo, s30, v29
	v_cndmask_b32_e64 v38, 0, v38, s1
	v_cndmask_b32_sdwa v4, v18, v4, vcc_lo dst_sel:DWORD dst_unused:UNUSED_PAD src0_sel:DWORD src1_sel:WORD_0
	v_cmp_gt_i32_e32 vcc_lo, s30, v26
	v_cndmask_b32_e32 v40, 0, v40, vcc_lo
	v_cmp_gt_i32_e32 vcc_lo, s30, v25
	v_or_b32_e32 v4, v4, v40
	v_cndmask_b32_e32 v3, 0, v3, vcc_lo
	v_cmp_gt_i32_e32 vcc_lo, s30, v24
	v_cndmask_b32_e32 v37, 0, v37, vcc_lo
.LBB61_44:                              ;   in Loop: Header=BB61_39 Depth=1
	s_or_b32 exec_lo, exec_lo, s17
	v_lshlrev_b32_e32 v39, 16, v39
	v_lshlrev_b32_e32 v38, 16, v38
	;; [unrolled: 1-line block ×3, first 2 shown]
	v_and_or_b32 v1, 0xffff, v1, v39
	v_and_or_b32 v2, 0xffff, v2, v38
	;; [unrolled: 1-line block ×3, first 2 shown]
	;;#ASMSTART
	v_pk_mul_f16 v1, v32, v1;

	;;#ASMEND
	;;#ASMSTART
	v_pk_mul_f16 v2, v31, v2;

	;;#ASMEND
	;; [unrolled: 4-line block ×4, first 2 shown]
	;;#ASMSTART
	v_pk_add_f16 v1, v1, v2;

	;;#ASMEND
	;;#ASMSTART
	v_pk_add_f16 v1, v1, v3;

	;;#ASMEND
	;; [unrolled: 4-line block ×3, first 2 shown]
	v_and_b32_e32 v2, 0xffff, v1
	v_lshrrev_b32_e32 v1, 16, v1
	;;#ASMSTART
	v_cvt_f32_f16 v37, v2;
	;;#ASMEND
	;;#ASMSTART
	v_cvt_f32_f16 v38, v1;
	;;#ASMEND
	global_load_dwordx4 v[1:4], v[7:8], off offset:1024
	s_waitcnt vmcnt(0)
	v_lshrrev_b32_e32 v41, 16, v1
	v_lshrrev_b32_e32 v40, 16, v2
	;; [unrolled: 1-line block ×3, first 2 shown]
	s_and_saveexec_b32 s17, s0
	s_cbranch_execz .LBB61_46
; %bb.45:                               ;   in Loop: Header=BB61_39 Depth=1
	v_cmp_gt_i32_e32 vcc_lo, s30, v10
	v_and_b32_e32 v42, 0xffff0000, v4
	v_cmp_gt_i32_e64 s1, s30, v28
	v_cndmask_b32_e32 v1, 0, v1, vcc_lo
	v_cmp_gt_i32_e32 vcc_lo, s30, v30
	v_cndmask_b32_e64 v2, 0, v2, s1
	v_cmp_gt_i32_e64 s1, s30, v27
	v_cndmask_b32_e32 v41, 0, v41, vcc_lo
	v_cmp_gt_i32_e32 vcc_lo, s30, v29
	v_cndmask_b32_e64 v40, 0, v40, s1
	v_cndmask_b32_sdwa v4, v18, v4, vcc_lo dst_sel:DWORD dst_unused:UNUSED_PAD src0_sel:DWORD src1_sel:WORD_0
	v_cmp_gt_i32_e32 vcc_lo, s30, v26
	v_cndmask_b32_e32 v42, 0, v42, vcc_lo
	v_cmp_gt_i32_e32 vcc_lo, s30, v25
	v_or_b32_e32 v4, v4, v42
	v_cndmask_b32_e32 v3, 0, v3, vcc_lo
	v_cmp_gt_i32_e32 vcc_lo, s30, v24
	v_cndmask_b32_e32 v39, 0, v39, vcc_lo
.LBB61_46:                              ;   in Loop: Header=BB61_39 Depth=1
	s_or_b32 exec_lo, exec_lo, s17
	v_lshlrev_b32_e32 v41, 16, v41
	v_lshlrev_b32_e32 v40, 16, v40
	;; [unrolled: 1-line block ×3, first 2 shown]
	v_and_or_b32 v1, 0xffff, v1, v41
	v_and_or_b32 v2, 0xffff, v2, v40
	;; [unrolled: 1-line block ×3, first 2 shown]
	;;#ASMSTART
	v_pk_mul_f16 v1, v32, v1;

	;;#ASMEND
	;;#ASMSTART
	v_pk_mul_f16 v2, v31, v2;

	;;#ASMEND
	;; [unrolled: 4-line block ×4, first 2 shown]
	;;#ASMSTART
	v_pk_add_f16 v1, v1, v2;

	;;#ASMEND
	;;#ASMSTART
	v_pk_add_f16 v1, v1, v3;

	;;#ASMEND
	;; [unrolled: 4-line block ×3, first 2 shown]
	v_and_b32_e32 v2, 0xffff, v1
	v_lshrrev_b32_e32 v1, 16, v1
	;;#ASMSTART
	v_cvt_f32_f16 v39, v2;
	;;#ASMEND
	;;#ASMSTART
	v_cvt_f32_f16 v40, v1;
	;;#ASMEND
	global_load_dwordx4 v[1:4], v[7:8], off offset:1536
	s_waitcnt vmcnt(0)
	v_lshrrev_b32_e32 v43, 16, v1
	v_lshrrev_b32_e32 v42, 16, v2
	;; [unrolled: 1-line block ×3, first 2 shown]
	s_and_saveexec_b32 s17, s0
	s_cbranch_execz .LBB61_48
; %bb.47:                               ;   in Loop: Header=BB61_39 Depth=1
	v_cmp_gt_i32_e32 vcc_lo, s30, v10
	v_and_b32_e32 v44, 0xffff0000, v4
	v_cmp_gt_i32_e64 s1, s30, v28
	v_cndmask_b32_e32 v1, 0, v1, vcc_lo
	v_cmp_gt_i32_e32 vcc_lo, s30, v30
	v_cndmask_b32_e64 v2, 0, v2, s1
	v_cmp_gt_i32_e64 s1, s30, v27
	v_cndmask_b32_e32 v43, 0, v43, vcc_lo
	v_cmp_gt_i32_e32 vcc_lo, s30, v29
	v_cndmask_b32_e64 v42, 0, v42, s1
	v_cndmask_b32_sdwa v4, v18, v4, vcc_lo dst_sel:DWORD dst_unused:UNUSED_PAD src0_sel:DWORD src1_sel:WORD_0
	v_cmp_gt_i32_e32 vcc_lo, s30, v26
	v_cndmask_b32_e32 v44, 0, v44, vcc_lo
	v_cmp_gt_i32_e32 vcc_lo, s30, v25
	v_or_b32_e32 v4, v4, v44
	v_cndmask_b32_e32 v3, 0, v3, vcc_lo
	v_cmp_gt_i32_e32 vcc_lo, s30, v24
	v_cndmask_b32_e32 v41, 0, v41, vcc_lo
.LBB61_48:                              ;   in Loop: Header=BB61_39 Depth=1
	s_or_b32 exec_lo, exec_lo, s17
	v_lshlrev_b32_e32 v43, 16, v43
	v_lshlrev_b32_e32 v42, 16, v42
	;; [unrolled: 1-line block ×3, first 2 shown]
	v_add_co_u32 v7, vcc_lo, 0x800, v7
	v_and_or_b32 v1, 0xffff, v1, v43
	v_and_or_b32 v2, 0xffff, v2, v42
	;; [unrolled: 1-line block ×3, first 2 shown]
	;;#ASMSTART
	v_pk_mul_f16 v1, v32, v1;

	;;#ASMEND
	v_add_co_ci_u32_e64 v8, null, 0, v8, vcc_lo
	;;#ASMSTART
	v_pk_mul_f16 v2, v31, v2;

	;;#ASMEND
	;;#ASMSTART
	v_pk_mul_f16 v3, v35, v3;

	;;#ASMEND
	;; [unrolled: 4-line block ×3, first 2 shown]
	;;#ASMSTART
	v_pk_add_f16 v1, v1, v2;

	;;#ASMEND
	;;#ASMSTART
	v_pk_add_f16 v1, v1, v3;

	;;#ASMEND
	;; [unrolled: 4-line block ×3, first 2 shown]
	v_lshrrev_b32_e32 v2, 16, v1
	v_and_b32_e32 v1, 0xffff, v1
	;;#ASMSTART
	v_cvt_f32_f16 v41, v1;
	;;#ASMEND
	;;#ASMSTART
	v_cvt_f32_f16 v42, v2;
	;;#ASMEND
	global_load_dwordx4 v[1:4], v[7:8], off
	s_waitcnt vmcnt(0)
	v_lshrrev_b32_e32 v45, 16, v1
	v_lshrrev_b32_e32 v44, 16, v2
	;; [unrolled: 1-line block ×3, first 2 shown]
	s_and_saveexec_b32 s17, s0
	s_cbranch_execz .LBB61_50
; %bb.49:                               ;   in Loop: Header=BB61_39 Depth=1
	v_cmp_gt_i32_e32 vcc_lo, s30, v10
	v_and_b32_e32 v46, 0xffff0000, v4
	v_cmp_gt_i32_e64 s1, s30, v28
	v_cndmask_b32_e32 v1, 0, v1, vcc_lo
	v_cmp_gt_i32_e32 vcc_lo, s30, v30
	v_cndmask_b32_e64 v2, 0, v2, s1
	v_cmp_gt_i32_e64 s1, s30, v27
	v_cndmask_b32_e32 v45, 0, v45, vcc_lo
	v_cmp_gt_i32_e32 vcc_lo, s30, v29
	v_cndmask_b32_e64 v44, 0, v44, s1
	v_cndmask_b32_sdwa v4, v18, v4, vcc_lo dst_sel:DWORD dst_unused:UNUSED_PAD src0_sel:DWORD src1_sel:WORD_0
	v_cmp_gt_i32_e32 vcc_lo, s30, v26
	v_cndmask_b32_e32 v46, 0, v46, vcc_lo
	v_cmp_gt_i32_e32 vcc_lo, s30, v25
	v_or_b32_e32 v4, v4, v46
	v_cndmask_b32_e32 v3, 0, v3, vcc_lo
	v_cmp_gt_i32_e32 vcc_lo, s30, v24
	v_cndmask_b32_e32 v43, 0, v43, vcc_lo
.LBB61_50:                              ;   in Loop: Header=BB61_39 Depth=1
	s_or_b32 exec_lo, exec_lo, s17
	v_lshlrev_b32_e32 v45, 16, v45
	v_lshlrev_b32_e32 v44, 16, v44
	;; [unrolled: 1-line block ×3, first 2 shown]
	v_and_or_b32 v1, 0xffff, v1, v45
	v_and_or_b32 v2, 0xffff, v2, v44
	;; [unrolled: 1-line block ×3, first 2 shown]
	;;#ASMSTART
	v_pk_mul_f16 v1, v32, v1;

	;;#ASMEND
	;;#ASMSTART
	v_pk_mul_f16 v2, v31, v2;

	;;#ASMEND
	;; [unrolled: 4-line block ×4, first 2 shown]
	;;#ASMSTART
	v_pk_add_f16 v1, v1, v2;

	;;#ASMEND
	;;#ASMSTART
	v_pk_add_f16 v1, v1, v3;

	;;#ASMEND
	;; [unrolled: 4-line block ×3, first 2 shown]
	v_and_b32_e32 v2, 0xffff, v1
	v_lshrrev_b32_e32 v1, 16, v1
	;;#ASMSTART
	v_cvt_f32_f16 v43, v2;
	;;#ASMEND
	;;#ASMSTART
	v_cvt_f32_f16 v44, v1;
	;;#ASMEND
	global_load_dwordx4 v[1:4], v[7:8], off offset:512
	s_waitcnt vmcnt(0)
	v_lshrrev_b32_e32 v45, 16, v1
	v_lshrrev_b32_e32 v8, 16, v2
	;; [unrolled: 1-line block ×3, first 2 shown]
	s_and_saveexec_b32 s1, s0
	s_cbranch_execz .LBB61_37
; %bb.51:                               ;   in Loop: Header=BB61_39 Depth=1
	v_cmp_gt_i32_e32 vcc_lo, s30, v10
	v_cmp_gt_i32_e64 s0, s30, v28
	v_cndmask_b32_e32 v1, 0, v1, vcc_lo
	v_cmp_gt_i32_e32 vcc_lo, s30, v30
	v_cndmask_b32_e64 v2, 0, v2, s0
	v_cmp_gt_i32_e64 s0, s30, v27
	v_and_b32_e32 v27, 0xffff0000, v4
	v_cndmask_b32_e32 v45, 0, v45, vcc_lo
	v_cmp_gt_i32_e32 vcc_lo, s30, v29
	v_cndmask_b32_e64 v8, 0, v8, s0
	v_cndmask_b32_sdwa v4, v18, v4, vcc_lo dst_sel:DWORD dst_unused:UNUSED_PAD src0_sel:DWORD src1_sel:WORD_0
	v_cmp_gt_i32_e32 vcc_lo, s30, v26
	v_cndmask_b32_e32 v26, 0, v27, vcc_lo
	v_cmp_gt_i32_e32 vcc_lo, s30, v25
	v_or_b32_e32 v4, v4, v26
	v_cndmask_b32_e32 v3, 0, v3, vcc_lo
	v_cmp_gt_i32_e32 vcc_lo, s30, v24
	v_cndmask_b32_e32 v7, 0, v7, vcc_lo
	s_branch .LBB61_37
.LBB61_52:
	s_or_b32 exec_lo, exec_lo, s13
.LBB61_53:
	s_or_b32 exec_lo, exec_lo, s2
	v_lshl_add_u32 v2, v11, 2, 0x1a0
	v_and_b32_e32 v3, 0x3c0, v0
	s_mov_b32 s0, exec_lo
	s_barrier
	v_mad_u32_u24 v1, 0x300, v9, v2
	buffer_gl0_inv
	v_cmpx_eq_u32_e32 64, v3
	s_cbranch_execz .LBB61_55
; %bb.54:
	v_add_nc_u32_e32 v3, 0xfffffa00, v1
	v_add_nc_u32_e32 v4, 0xfffffa80, v1
	;; [unrolled: 1-line block ×5, first 2 shown]
	ds_write_b32 v3, v17
	v_add_nc_u32_e32 v3, 0xfffffc80, v1
	ds_write_b32 v4, v16
	ds_write_b32 v5, v15
	;; [unrolled: 1-line block ×5, first 2 shown]
.LBB61_55:
	s_or_b32 exec_lo, exec_lo, s0
	s_mov_b32 s0, exec_lo
	s_waitcnt lgkmcnt(0)
	s_barrier
	buffer_gl0_inv
	v_cmpx_gt_u32_e32 64, v0
	s_cbranch_execz .LBB61_57
; %bb.56:
	ds_read2_b32 v[3:4], v1 offset1:32
	ds_read2_b32 v[5:6], v1 offset0:64 offset1:96
	ds_read2_b32 v[7:8], v1 offset0:128 offset1:160
	s_waitcnt lgkmcnt(2)
	v_add_f32_e32 v17, v17, v3
	v_add_f32_e32 v16, v16, v4
	s_waitcnt lgkmcnt(1)
	v_add_f32_e32 v15, v15, v5
	v_add_f32_e32 v14, v14, v6
	;; [unrolled: 3-line block ×3, first 2 shown]
.LBB61_57:
	s_or_b32 exec_lo, exec_lo, s0
	v_and_b32_e32 v3, 0x3e0, v0
	s_mov_b32 s0, exec_lo
	s_barrier
	buffer_gl0_inv
	v_cmpx_eq_u32_e32 32, v3
	s_cbranch_execz .LBB61_59
; %bb.58:
	ds_write2_b32 v2, v17, v16 offset1:32
	ds_write2_b32 v2, v15, v14 offset0:64 offset1:96
	ds_write2_b32 v2, v13, v12 offset0:128 offset1:160
.LBB61_59:
	s_or_b32 exec_lo, exec_lo, s0
	v_cmp_gt_u32_e32 vcc_lo, 32, v0
	s_waitcnt lgkmcnt(0)
	s_barrier
	buffer_gl0_inv
	s_and_saveexec_b32 s0, vcc_lo
	s_cbranch_execz .LBB61_61
; %bb.60:
	ds_read2_b32 v[2:3], v1 offset1:32
	ds_read2_b32 v[4:5], v1 offset0:64 offset1:96
	ds_read2_b32 v[6:7], v1 offset0:128 offset1:160
	s_waitcnt lgkmcnt(2)
	v_add_f32_e32 v17, v17, v2
	v_add_f32_e32 v16, v16, v3
	s_waitcnt lgkmcnt(1)
	v_add_f32_e32 v15, v15, v4
	v_add_f32_e32 v14, v14, v5
	;; [unrolled: 3-line block ×3, first 2 shown]
.LBB61_61:
	s_or_b32 exec_lo, exec_lo, s0
	s_barrier
	buffer_gl0_inv
	s_and_saveexec_b32 s0, vcc_lo
	s_cbranch_execz .LBB61_63
; %bb.62:
	s_mul_i32 s0, s10, s11
	s_mul_i32 s2, s11, s20
	s_mul_i32 s0, s0, s9
	v_lshlrev_b32_e32 v0, 1, v0
	s_mulk_i32 s0, 0xc0
	;;#ASMSTART
	v_cvt_f16_f32 v1, v17;

	;;#ASMEND
	s_ashr_i32 s1, s0, 31
	s_lshl_b64 s[0:1], s[0:1], 1
	s_add_u32 s4, s6, s0
	s_addc_u32 s5, s7, s1
	s_ashr_i32 s3, s2, 31
	s_lshl_b64 s[0:1], s[2:3], 1
	s_mul_i32 s2, s8, 0xc0
	s_add_u32 s4, s4, s0
	s_addc_u32 s5, s5, s1
	s_ashr_i32 s3, s2, 31
	s_lshl_b64 s[0:1], s[2:3], 1
	s_add_u32 s0, s4, s0
	s_addc_u32 s1, s5, s1
	global_store_short v0, v1, s[0:1]
	;;#ASMSTART
	v_cvt_f16_f32 v1, v16;

	;;#ASMEND
	global_store_short v0, v1, s[0:1] offset:64
	;;#ASMSTART
	v_cvt_f16_f32 v1, v15;

	;;#ASMEND
	global_store_short v0, v1, s[0:1] offset:128
	;; [unrolled: 5-line block ×5, first 2 shown]
.LBB61_63:
	s_endpgm
	.section	.rodata,"a",@progbits
	.p2align	6, 0x0
	.amdhsa_kernel _ZN4vllm25paged_attention_v1_kernelIttLi192ELi8ELi128ELNS_18Fp8KVCacheDataTypeE0ELb1EEEvPT_PKS2_PKT0_S8_ifPKiSA_iPKfiiiSC_SC_iiiii
		.amdhsa_group_segment_fixed_size 416
		.amdhsa_private_segment_fixed_size 0
		.amdhsa_kernarg_size 384
		.amdhsa_user_sgpr_count 6
		.amdhsa_user_sgpr_private_segment_buffer 1
		.amdhsa_user_sgpr_dispatch_ptr 0
		.amdhsa_user_sgpr_queue_ptr 0
		.amdhsa_user_sgpr_kernarg_segment_ptr 1
		.amdhsa_user_sgpr_dispatch_id 0
		.amdhsa_user_sgpr_flat_scratch_init 0
		.amdhsa_user_sgpr_private_segment_size 0
		.amdhsa_wavefront_size32 1
		.amdhsa_uses_dynamic_stack 0
		.amdhsa_system_sgpr_private_segment_wavefront_offset 0
		.amdhsa_system_sgpr_workgroup_id_x 1
		.amdhsa_system_sgpr_workgroup_id_y 1
		.amdhsa_system_sgpr_workgroup_id_z 1
		.amdhsa_system_sgpr_workgroup_info 0
		.amdhsa_system_vgpr_workitem_id 0
		.amdhsa_next_free_vgpr 89
		.amdhsa_next_free_sgpr 38
		.amdhsa_reserve_vcc 1
		.amdhsa_reserve_flat_scratch 0
		.amdhsa_float_round_mode_32 0
		.amdhsa_float_round_mode_16_64 0
		.amdhsa_float_denorm_mode_32 3
		.amdhsa_float_denorm_mode_16_64 3
		.amdhsa_dx10_clamp 1
		.amdhsa_ieee_mode 1
		.amdhsa_fp16_overflow 0
		.amdhsa_workgroup_processor_mode 1
		.amdhsa_memory_ordered 1
		.amdhsa_forward_progress 1
		.amdhsa_shared_vgpr_count 0
		.amdhsa_exception_fp_ieee_invalid_op 0
		.amdhsa_exception_fp_denorm_src 0
		.amdhsa_exception_fp_ieee_div_zero 0
		.amdhsa_exception_fp_ieee_overflow 0
		.amdhsa_exception_fp_ieee_underflow 0
		.amdhsa_exception_fp_ieee_inexact 0
		.amdhsa_exception_int_div_zero 0
	.end_amdhsa_kernel
	.section	.text._ZN4vllm25paged_attention_v1_kernelIttLi192ELi8ELi128ELNS_18Fp8KVCacheDataTypeE0ELb1EEEvPT_PKS2_PKT0_S8_ifPKiSA_iPKfiiiSC_SC_iiiii,"axG",@progbits,_ZN4vllm25paged_attention_v1_kernelIttLi192ELi8ELi128ELNS_18Fp8KVCacheDataTypeE0ELb1EEEvPT_PKS2_PKT0_S8_ifPKiSA_iPKfiiiSC_SC_iiiii,comdat
.Lfunc_end61:
	.size	_ZN4vllm25paged_attention_v1_kernelIttLi192ELi8ELi128ELNS_18Fp8KVCacheDataTypeE0ELb1EEEvPT_PKS2_PKT0_S8_ifPKiSA_iPKfiiiSC_SC_iiiii, .Lfunc_end61-_ZN4vllm25paged_attention_v1_kernelIttLi192ELi8ELi128ELNS_18Fp8KVCacheDataTypeE0ELb1EEEvPT_PKS2_PKT0_S8_ifPKiSA_iPKfiiiSC_SC_iiiii
                                        ; -- End function
	.set _ZN4vllm25paged_attention_v1_kernelIttLi192ELi8ELi128ELNS_18Fp8KVCacheDataTypeE0ELb1EEEvPT_PKS2_PKT0_S8_ifPKiSA_iPKfiiiSC_SC_iiiii.num_vgpr, 89
	.set _ZN4vllm25paged_attention_v1_kernelIttLi192ELi8ELi128ELNS_18Fp8KVCacheDataTypeE0ELb1EEEvPT_PKS2_PKT0_S8_ifPKiSA_iPKfiiiSC_SC_iiiii.num_agpr, 0
	.set _ZN4vllm25paged_attention_v1_kernelIttLi192ELi8ELi128ELNS_18Fp8KVCacheDataTypeE0ELb1EEEvPT_PKS2_PKT0_S8_ifPKiSA_iPKfiiiSC_SC_iiiii.numbered_sgpr, 38
	.set _ZN4vllm25paged_attention_v1_kernelIttLi192ELi8ELi128ELNS_18Fp8KVCacheDataTypeE0ELb1EEEvPT_PKS2_PKT0_S8_ifPKiSA_iPKfiiiSC_SC_iiiii.num_named_barrier, 0
	.set _ZN4vllm25paged_attention_v1_kernelIttLi192ELi8ELi128ELNS_18Fp8KVCacheDataTypeE0ELb1EEEvPT_PKS2_PKT0_S8_ifPKiSA_iPKfiiiSC_SC_iiiii.private_seg_size, 0
	.set _ZN4vllm25paged_attention_v1_kernelIttLi192ELi8ELi128ELNS_18Fp8KVCacheDataTypeE0ELb1EEEvPT_PKS2_PKT0_S8_ifPKiSA_iPKfiiiSC_SC_iiiii.uses_vcc, 1
	.set _ZN4vllm25paged_attention_v1_kernelIttLi192ELi8ELi128ELNS_18Fp8KVCacheDataTypeE0ELb1EEEvPT_PKS2_PKT0_S8_ifPKiSA_iPKfiiiSC_SC_iiiii.uses_flat_scratch, 0
	.set _ZN4vllm25paged_attention_v1_kernelIttLi192ELi8ELi128ELNS_18Fp8KVCacheDataTypeE0ELb1EEEvPT_PKS2_PKT0_S8_ifPKiSA_iPKfiiiSC_SC_iiiii.has_dyn_sized_stack, 0
	.set _ZN4vllm25paged_attention_v1_kernelIttLi192ELi8ELi128ELNS_18Fp8KVCacheDataTypeE0ELb1EEEvPT_PKS2_PKT0_S8_ifPKiSA_iPKfiiiSC_SC_iiiii.has_recursion, 0
	.set _ZN4vllm25paged_attention_v1_kernelIttLi192ELi8ELi128ELNS_18Fp8KVCacheDataTypeE0ELb1EEEvPT_PKS2_PKT0_S8_ifPKiSA_iPKfiiiSC_SC_iiiii.has_indirect_call, 0
	.section	.AMDGPU.csdata,"",@progbits
; Kernel info:
; codeLenInByte = 9348
; TotalNumSgprs: 40
; NumVgprs: 89
; ScratchSize: 0
; MemoryBound: 0
; FloatMode: 240
; IeeeMode: 1
; LDSByteSize: 416 bytes/workgroup (compile time only)
; SGPRBlocks: 0
; VGPRBlocks: 11
; NumSGPRsForWavesPerEU: 40
; NumVGPRsForWavesPerEU: 89
; Occupancy: 10
; WaveLimiterHint : 1
; COMPUTE_PGM_RSRC2:SCRATCH_EN: 0
; COMPUTE_PGM_RSRC2:USER_SGPR: 6
; COMPUTE_PGM_RSRC2:TRAP_HANDLER: 0
; COMPUTE_PGM_RSRC2:TGID_X_EN: 1
; COMPUTE_PGM_RSRC2:TGID_Y_EN: 1
; COMPUTE_PGM_RSRC2:TGID_Z_EN: 1
; COMPUTE_PGM_RSRC2:TIDIG_COMP_CNT: 0
	.section	.text._ZN4vllm25paged_attention_v1_kernelIttLi256ELi8ELi128ELNS_18Fp8KVCacheDataTypeE0ELb1EEEvPT_PKS2_PKT0_S8_ifPKiSA_iPKfiiiSC_SC_iiiii,"axG",@progbits,_ZN4vllm25paged_attention_v1_kernelIttLi256ELi8ELi128ELNS_18Fp8KVCacheDataTypeE0ELb1EEEvPT_PKS2_PKT0_S8_ifPKiSA_iPKfiiiSC_SC_iiiii,comdat
	.protected	_ZN4vllm25paged_attention_v1_kernelIttLi256ELi8ELi128ELNS_18Fp8KVCacheDataTypeE0ELb1EEEvPT_PKS2_PKT0_S8_ifPKiSA_iPKfiiiSC_SC_iiiii ; -- Begin function _ZN4vllm25paged_attention_v1_kernelIttLi256ELi8ELi128ELNS_18Fp8KVCacheDataTypeE0ELb1EEEvPT_PKS2_PKT0_S8_ifPKiSA_iPKfiiiSC_SC_iiiii
	.globl	_ZN4vllm25paged_attention_v1_kernelIttLi256ELi8ELi128ELNS_18Fp8KVCacheDataTypeE0ELb1EEEvPT_PKS2_PKT0_S8_ifPKiSA_iPKfiiiSC_SC_iiiii
	.p2align	8
	.type	_ZN4vllm25paged_attention_v1_kernelIttLi256ELi8ELi128ELNS_18Fp8KVCacheDataTypeE0ELb1EEEvPT_PKS2_PKT0_S8_ifPKiSA_iPKfiiiSC_SC_iiiii,@function
_ZN4vllm25paged_attention_v1_kernelIttLi256ELi8ELi128ELNS_18Fp8KVCacheDataTypeE0ELb1EEEvPT_PKS2_PKT0_S8_ifPKiSA_iPKfiiiSC_SC_iiiii: ; @_ZN4vllm25paged_attention_v1_kernelIttLi256ELi8ELi128ELNS_18Fp8KVCacheDataTypeE0ELb1EEEvPT_PKS2_PKT0_S8_ifPKiSA_iPKfiiiSC_SC_iiiii
; %bb.0:
	s_clause 0x2
	s_load_dword s9, s[4:5], 0x80
	s_load_dwordx2 s[0:1], s[4:5], 0x30
	s_load_dwordx2 s[28:29], s[4:5], 0x20
	s_mov_b32 s10, s7
	s_ashr_i32 s11, s7, 31
	s_mov_b32 s33, 0
	s_lshl_b64 s[2:3], s[10:11], 2
	s_waitcnt lgkmcnt(0)
	s_add_u32 s0, s0, s2
	s_addc_u32 s1, s1, s3
	s_abs_i32 s2, s28
	s_abs_i32 s11, s9
	v_cvt_f32_u32_e32 v1, s2
	s_sub_i32 s7, 0, s2
	v_rcp_iflag_f32_e32 v1, v1
	v_mul_f32_e32 v1, 0x4f7ffffe, v1
	v_cvt_u32_f32_e32 v1, v1
	v_readfirstlane_b32 s3, v1
	s_mul_i32 s7, s7, s3
	s_mul_hi_u32 s7, s3, s7
	s_add_i32 s3, s3, s7
	s_xor_b32 s7, s9, s28
	s_mul_hi_u32 s3, s11, s3
	s_ashr_i32 s7, s7, 31
	s_mul_i32 s12, s3, s2
	s_sub_i32 s11, s11, s12
	s_add_i32 s12, s3, 1
	s_sub_i32 s13, s11, s2
	s_cmp_ge_u32 s11, s2
	s_cselect_b32 s3, s12, s3
	s_cselect_b32 s11, s13, s11
	s_add_i32 s12, s3, 1
	s_cmp_ge_u32 s11, s2
	s_cselect_b32 s2, s12, s3
	s_abs_i32 s22, s6
	s_xor_b32 s2, s2, s7
	s_sub_i32 s16, s2, s7
	s_load_dwordx2 s[2:3], s[4:5], 0x40
	s_abs_i32 s11, s16
	v_cvt_f32_u32_e32 v1, s11
	s_sub_i32 s12, 0, s11
	v_rcp_iflag_f32_e32 v1, v1
	v_mul_f32_e32 v1, 0x4f7ffffe, v1
	v_cvt_u32_f32_e32 v1, v1
	v_readfirstlane_b32 s7, v1
	s_mul_i32 s12, s12, s7
	s_mul_hi_u32 s12, s7, s12
	s_add_i32 s7, s7, s12
	s_waitcnt lgkmcnt(0)
	s_cmp_eq_u64 s[2:3], 0
	s_mul_hi_u32 s23, s22, s7
	s_cbranch_scc1 .LBB62_2
; %bb.1:
	s_ashr_i32 s7, s6, 31
	s_lshl_b64 s[12:13], s[6:7], 2
	s_add_u32 s2, s2, s12
	s_addc_u32 s3, s3, s13
	s_load_dword s33, s[2:3], 0x0
.LBB62_2:
	s_load_dword s30, s[0:1], 0x0
	s_load_dwordx4 s[12:15], s[4:5], 0x48
	v_and_b32_e32 v1, 3, v0
	v_lshlrev_b32_e32 v2, 2, v0
	s_ashr_i32 s0, s6, 31
	s_ashr_i32 s1, s16, 31
	s_lshl_b32 s20, s6, 8
	s_mov_b32 s2, exec_lo
	v_cmpx_gt_u32_e32 0x80, v0
	s_cbranch_execz .LBB62_4
; %bb.3:
	s_load_dwordx2 s[16:17], s[4:5], 0x8
	s_waitcnt lgkmcnt(0)
	s_mul_i32 s18, s12, s10
	v_and_b32_e32 v4, 0x3fc, v0
	s_ashr_i32 s19, s18, 31
	s_lshl_b64 s[18:19], s[18:19], 1
	v_lshl_add_u32 v4, v1, 7, v4
	s_add_u32 s3, s16, s18
	s_addc_u32 s7, s17, s19
	s_ashr_i32 s21, s20, 31
	s_lshl_b64 s[16:17], s[20:21], 1
	s_add_u32 s16, s3, s16
	s_addc_u32 s17, s7, s17
	global_load_dword v3, v2, s[16:17]
	s_waitcnt vmcnt(0)
	ds_write_b32 v4, v3
.LBB62_4:
	s_or_b32 exec_lo, exec_lo, s2
	s_load_dwordx4 s[16:19], s[4:5], 0x68
	s_mul_i32 s2, s23, s11
	s_xor_b32 s1, s0, s1
	s_sub_i32 s0, s22, s2
	s_add_i32 s2, s23, 1
	s_sub_i32 s3, s0, s11
	s_cmp_ge_u32 s0, s11
	s_waitcnt lgkmcnt(0)
	s_cselect_b32 s2, s2, s23
	s_cselect_b32 s0, s3, s0
	s_add_i32 s3, s2, 1
	s_cmp_ge_u32 s0, s11
	s_load_dword s0, s[4:5], 0x78
	s_cselect_b32 s2, s3, s2
	s_add_i32 s7, s30, -1
	s_xor_b32 s2, s2, s1
	s_abs_i32 s3, s7
	s_sub_i32 s1, s2, s1
	s_mov_b32 s11, -1
	s_barrier
	s_abs_i32 s12, s19
	s_waitcnt lgkmcnt(0)
	buffer_gl0_inv
	v_cvt_f32_u32_e32 v3, s12
	s_sub_i32 s2, 0, s12
                                        ; implicit-def: $sgpr31
	v_rcp_iflag_f32_e32 v3, v3
	v_mul_f32_e32 v3, 0x4f7ffffe, v3
	v_cvt_u32_f32_e32 v3, v3
	v_readfirstlane_b32 s21, v3
	s_mul_i32 s2, s2, s21
	s_mul_hi_u32 s2, s21, s2
	s_add_i32 s21, s21, s2
	s_cmp_lt_i32 s0, 0
	s_mul_hi_u32 s2, s3, s21
	s_cbranch_scc0 .LBB62_6
; %bb.5:
	s_mul_i32 s11, s16, s28
	s_add_i32 s11, s1, s11
	s_mul_i32 s11, s11, s0
	s_sub_i32 s31, 1, s11
	s_mov_b32 s11, 0
.LBB62_6:
	s_load_dwordx2 s[22:23], s[4:5], 0x28
	s_ashr_i32 s7, s7, 31
	s_andn2_b32 vcc_lo, exec_lo, s11
	s_ashr_i32 s19, s19, 31
	s_cbranch_vccnz .LBB62_8
; %bb.7:
	s_mul_i32 s11, s9, s16
	s_add_i32 s6, s11, s6
	s_mul_i32 s0, s6, s0
	s_add_i32 s31, s0, 1
.LBB62_8:
	s_load_dword s0, s[4:5], 0x38
	s_mul_i32 s6, s2, s12
	s_xor_b32 s15, s7, s19
	s_sub_i32 s3, s3, s6
	s_add_i32 s16, s2, 1
	s_clause 0x2
	s_load_dwordx2 s[6:7], s[4:5], 0x0
	s_load_dwordx2 s[26:27], s[4:5], 0x18
	s_load_dword s11, s[4:5], 0x88
	v_lshrrev_b32_e32 v9, 5, v0
	v_mov_b32_e32 v5, 0xff7fffff
	v_lshrrev_b32_e32 v3, 3, v0
	v_mbcnt_lo_u32_b32 v4, -1, 0
	s_mul_i32 s14, s1, s14
	v_lshlrev_b32_e32 v10, 3, v9
	s_waitcnt lgkmcnt(0)
	s_mul_i32 s24, s0, s10
	s_sub_i32 s0, s3, s12
	s_ashr_i32 s25, s24, 31
	s_cmp_ge_u32 s3, s12
	s_cselect_b32 s2, s16, s2
	s_cselect_b32 s0, s0, s3
	s_add_i32 s3, s2, 1
	s_cmp_ge_u32 s0, s12
	s_cselect_b32 s0, s3, s2
	s_add_i32 s2, s30, 7
	s_ashr_i32 s3, s2, 31
	s_lshr_b32 s3, s3, 29
	s_add_i32 s2, s2, s3
	s_ashr_i32 s16, s2, 3
	s_xor_b32 s2, s0, s15
	v_cmp_gt_i32_e64 s0, s16, v9
	s_sub_i32 s28, s2, s15
	s_and_saveexec_b32 s34, s0
	s_cbranch_execz .LBB62_20
; %bb.9:
	s_load_dwordx2 s[2:3], s[4:5], 0x10
	s_ashr_i32 s15, s14, 31
	s_sub_i32 s4, s28, s17
	s_lshl_b64 s[36:37], s[14:15], 1
	v_bfe_u32 v6, v0, 2, 3
	v_and_b32_e32 v16, 12, v2
	v_cmp_eq_u32_e32 vcc_lo, 0, v1
	v_lshlrev_b32_e32 v7, 7, v1
	v_and_b32_e32 v1, 0x7c, v3
	v_lshlrev_b32_e32 v2, 2, v6
	v_subrev_nc_u32_e32 v15, s30, v6
	v_lshlrev_b32_e32 v17, 4, v6
	v_cmp_neq_f32_e64 s1, s33, 0
	v_lshlrev_b32_e32 v8, 3, v9
	v_lshl_or_b32 v2, v9, 5, v2
	v_mov_b32_e32 v11, 0xff7fffff
	v_xor_b32_e32 v12, 2, v4
	v_xor_b32_e32 v13, 1, v4
	s_waitcnt lgkmcnt(0)
	s_add_u32 s15, s2, s36
	s_addc_u32 s35, s3, s37
	s_abs_i32 s5, s18
	v_add_co_u32 v17, s15, s15, v17
	v_cvt_f32_u32_e32 v5, s5
	s_sub_i32 s2, 0, s5
	v_add_co_ci_u32_e64 v19, null, s35, 0, s15
	s_mov_b32 s15, 0
	v_rcp_iflag_f32_e32 v5, v5
	s_mov_b32 s35, s13
	v_mul_f32_e32 v14, 0x4f7ffffe, v5
	v_mov_b32_e32 v5, 0xff7fffff
	v_cvt_u32_f32_e32 v18, v14
	v_add_nc_u32_e32 v14, 1, v15
	v_add_nc_u32_e32 v15, 0x220, v2
	v_mul_lo_u32 v2, s2, v18
	s_lshl_b64 s[2:3], s[24:25], 2
	s_add_u32 s2, s22, s2
	s_addc_u32 s3, s23, s3
	v_add_co_u32 v1, s2, s2, v1
	v_mul_hi_u32 v20, v18, v2
	v_add_co_ci_u32_e64 v2, null, s3, 0, s2
	v_add_co_u32 v16, s2, v17, v16
	v_add_co_ci_u32_e64 v17, null, 0, v19, s2
	v_mov_b32_e32 v19, v9
	v_add_nc_u32_e32 v18, v18, v20
	s_branch .LBB62_12
.LBB62_10:                              ;   in Loop: Header=BB62_12 Depth=1
	s_or_b32 exec_lo, exec_lo, s36
.LBB62_11:                              ;   in Loop: Header=BB62_12 Depth=1
	s_or_b32 exec_lo, exec_lo, s3
	v_add_nc_u32_e32 v19, 4, v19
	v_add_co_u32 v1, s3, v1, 16
	v_add_co_ci_u32_e64 v2, null, 0, v2, s3
	v_cmp_le_i32_e64 s2, s16, v19
	v_add_nc_u32_e32 v8, 32, v8
	v_add_nc_u32_e32 v15, 0x80, v15
	s_or_b32 s15, s2, s15
	s_andn2_b32 exec_lo, exec_lo, s15
	s_cbranch_execz .LBB62_19
.LBB62_12:                              ; =>This Inner Loop Header: Depth=1
	v_mul_hi_u32 v20, v8, s21
	s_waitcnt lgkmcnt(0)
	v_mul_lo_u32 v21, v20, s12
	v_add_nc_u32_e32 v22, 1, v20
	v_sub_nc_u32_e32 v21, v8, v21
	v_subrev_nc_u32_e32 v23, s12, v21
	v_cmp_le_u32_e64 s2, s12, v21
	v_cndmask_b32_e64 v20, v20, v22, s2
	v_cndmask_b32_e64 v21, v21, v23, s2
	v_add_nc_u32_e32 v22, 1, v20
	v_cmp_le_u32_e64 s2, s12, v21
	v_cndmask_b32_e64 v20, v20, v22, s2
	v_xor_b32_e32 v20, s19, v20
	v_subrev_nc_u32_e32 v20, s19, v20
	v_add_nc_u32_e32 v21, s31, v20
	v_cmp_ge_i32_e64 s3, s4, v20
	v_sub_nc_u32_e32 v22, 0, v21
	v_max_i32_e32 v22, v21, v22
	v_ashrrev_i32_e32 v21, 31, v21
	v_mul_hi_u32 v23, v22, v18
	v_mul_lo_u32 v23, v23, s5
	v_sub_nc_u32_e32 v22, v22, v23
	v_subrev_nc_u32_e32 v23, s5, v22
	v_cmp_le_u32_e64 s2, s5, v22
	v_cndmask_b32_e64 v22, v22, v23, s2
	v_subrev_nc_u32_e32 v23, s5, v22
	v_cmp_le_u32_e64 s2, s5, v22
	v_cndmask_b32_e64 v22, v22, v23, s2
	v_xor_b32_e32 v22, v22, v21
	v_sub_nc_u32_e32 v21, v22, v21
	v_cmp_ne_u32_e64 s2, 0, v21
	s_and_b32 s2, s2, s3
	s_and_saveexec_b32 s3, s2
	s_xor_b32 s2, exec_lo, s3
	s_cbranch_execz .LBB62_16
; %bb.13:                               ;   in Loop: Header=BB62_12 Depth=1
	s_and_saveexec_b32 s3, vcc_lo
; %bb.14:                               ;   in Loop: Header=BB62_12 Depth=1
	ds_write_b32 v15, v11
; %bb.15:                               ;   in Loop: Header=BB62_12 Depth=1
	s_or_b32 exec_lo, exec_lo, s3
.LBB62_16:                              ;   in Loop: Header=BB62_12 Depth=1
	s_andn2_saveexec_b32 s3, s2
	s_cbranch_execz .LBB62_11
; %bb.17:                               ;   in Loop: Header=BB62_12 Depth=1
	global_load_dword v20, v[1:2], off
	s_waitcnt vmcnt(0)
	v_mad_i64_i32 v[20:21], null, v20, s35, 0
	v_lshlrev_b64 v[20:21], 1, v[20:21]
	v_add_co_u32 v20, s2, v16, v20
	v_add_co_ci_u32_e64 v21, null, v17, v21, s2
	s_clause 0xa
	global_load_dword v22, v[20:21], off
	global_load_dword v45, v[20:21], off offset:128
	global_load_dword v50, v[20:21], off offset:256
	;; [unrolled: 1-line block ×10, first 2 shown]
	v_add_co_u32 v40, s2, 0x800, v20
	ds_read_b32 v23, v7
	v_add_co_ci_u32_e64 v41, null, 0, v21, s2
	s_clause 0xc
	global_load_dword v32, v[20:21], off offset:1408
	global_load_dword v34, v[20:21], off offset:1536
	;; [unrolled: 1-line block ×5, first 2 shown]
	global_load_dword v37, v[40:41], off
	global_load_dword v36, v[40:41], off offset:128
	global_load_dword v35, v[40:41], off offset:256
	;; [unrolled: 1-line block ×7, first 2 shown]
	v_cmp_gt_i32_e64 s2, 32, v12
	s_waitcnt lgkmcnt(0)
	v_lshrrev_b32_e32 v43, 16, v23
	v_and_b32_e32 v46, 0xffff, v23
	s_waitcnt vmcnt(23)
	v_lshrrev_b32_e32 v54, 16, v22
	v_and_b32_e32 v48, 0xffff, v22
	s_clause 0x7
	global_load_dword v27, v[40:41], off offset:1024
	global_load_dword v26, v[40:41], off offset:1152
	;; [unrolled: 1-line block ×8, first 2 shown]
	;;#ASMSTART
	v_cvt_f32_f16 v40, v46;
	;;#ASMEND
	;;#ASMSTART
	v_cvt_f32_f16 v53, v43;
	;;#ASMEND
	;; [unrolled: 3-line block ×4, first 2 shown]
	ds_read_b32 v41, v7 offset:4
	s_waitcnt vmcnt(30)
	v_and_b32_e32 v48, 0xffff, v45
	v_lshrrev_b32_e32 v55, 16, v45
	s_waitcnt vmcnt(29)
	v_and_b32_e32 v61, 0xffff, v50
	v_lshrrev_b32_e32 v50, 16, v50
	s_waitcnt vmcnt(21)
	v_lshrrev_b32_e32 v87, 16, v44
	s_waitcnt vmcnt(20)
	;; [unrolled: 2-line block ×3, first 2 shown]
	v_lshrrev_b32_e32 v89, 16, v34
	s_waitcnt lgkmcnt(0)
	v_and_b32_e32 v46, 0xffff, v41
	v_lshrrev_b32_e32 v41, 16, v41
	;;#ASMSTART
	v_cvt_f32_f16 v45, v46;
	;;#ASMEND
	;;#ASMSTART
	v_cvt_f32_f16 v41, v41;
	;;#ASMEND
	;; [unrolled: 3-line block ×4, first 2 shown]
	ds_read_b32 v55, v7 offset:8
	s_waitcnt lgkmcnt(0)
	v_and_b32_e32 v59, 0xffff, v55
	v_lshrrev_b32_e32 v60, 16, v55
	;;#ASMSTART
	v_cvt_f32_f16 v55, v59;
	;;#ASMEND
	;;#ASMSTART
	v_cvt_f32_f16 v65, v60;
	;;#ASMEND
	;;#ASMSTART
	v_cvt_f32_f16 v68, v61;
	;;#ASMEND
	;;#ASMSTART
	v_cvt_f32_f16 v67, v50;
	;;#ASMEND
	ds_read_b32 v50, v7 offset:12
	v_and_b32_e32 v61, 0xffff, v51
	v_lshrrev_b32_e32 v51, 16, v51
	s_waitcnt lgkmcnt(0)
	v_and_b32_e32 v59, 0xffff, v50
	v_lshrrev_b32_e32 v50, 16, v50
	;;#ASMSTART
	v_cvt_f32_f16 v72, v59;
	;;#ASMEND
	;;#ASMSTART
	v_cvt_f32_f16 v60, v50;
	;;#ASMEND
	;;#ASMSTART
	v_cvt_f32_f16 v74, v61;
	;;#ASMEND
	;;#ASMSTART
	v_cvt_f32_f16 v63, v51;
	;;#ASMEND
	ds_read_b32 v50, v7 offset:16
	v_and_b32_e32 v59, 0xffff, v56
	v_lshrrev_b32_e32 v56, 16, v56
	;; [unrolled: 18-line block ×7, first 2 shown]
	s_waitcnt lgkmcnt(0)
	v_and_b32_e32 v49, 0xffff, v47
	v_lshrrev_b32_e32 v47, 16, v47
	;;#ASMSTART
	v_cvt_f32_f16 v56, v49;
	;;#ASMEND
	;;#ASMSTART
	v_cvt_f32_f16 v50, v47;
	;;#ASMEND
	;; [unrolled: 3-line block ×4, first 2 shown]
	ds_read_b32 v42, v7 offset:40
	v_and_b32_e32 v49, 0xffff, v44
	s_waitcnt lgkmcnt(0)
	v_and_b32_e32 v47, 0xffff, v42
	v_lshrrev_b32_e32 v42, 16, v42
	;;#ASMSTART
	v_cvt_f32_f16 v61, v47;
	;;#ASMEND
	;;#ASMSTART
	v_cvt_f32_f16 v44, v42;
	;;#ASMEND
	;; [unrolled: 3-line block ×4, first 2 shown]
	ds_read_b32 v42, v7 offset:44
	v_and_b32_e32 v87, 0xffff, v32
	v_mul_f32_e32 v32, v45, v48
	v_fmac_f32_e32 v32, v40, v43
	v_fmac_f32_e32 v32, v55, v68
	;; [unrolled: 1-line block ×3, first 2 shown]
	s_waitcnt lgkmcnt(0)
	v_and_b32_e32 v49, 0xffff, v42
	v_lshrrev_b32_e32 v42, 16, v42
	;;#ASMSTART
	v_cvt_f32_f16 v48, v49;
	;;#ASMEND
	;;#ASMSTART
	v_cvt_f32_f16 v42, v42;
	;;#ASMEND
	;;#ASMSTART
	v_cvt_f32_f16 v49, v87;
	;;#ASMEND
	;;#ASMSTART
	v_cvt_f32_f16 v45, v88;
	;;#ASMEND
	ds_read_b32 v87, v7 offset:48
	v_and_b32_e32 v88, 0xffff, v34
	v_mul_f32_e32 v34, v41, v46
	v_fmac_f32_e32 v32, v85, v86
	s_waitcnt vmcnt(15)
	v_and_b32_e32 v86, 0xffff, v37
	v_fmac_f32_e32 v34, v53, v54
	v_fmac_f32_e32 v32, v83, v84
	;; [unrolled: 1-line block ×6, first 2 shown]
	s_waitcnt lgkmcnt(0)
	v_and_b32_e32 v40, 0xffff, v87
	v_lshrrev_b32_e32 v87, 16, v87
	;;#ASMSTART
	v_cvt_f32_f16 v43, v40;
	;;#ASMEND
	;;#ASMSTART
	v_cvt_f32_f16 v40, v87;
	;;#ASMEND
	;; [unrolled: 3-line block ×4, first 2 shown]
	ds_read_b32 v87, v7 offset:52
	v_lshrrev_b32_e32 v88, 16, v52
	v_fmac_f32_e32 v34, v80, v82
	v_fmac_f32_e32 v32, v69, v70
	;; [unrolled: 1-line block ×6, first 2 shown]
	s_waitcnt vmcnt(7)
	v_and_b32_e32 v62, 0xffff, v27
	v_fmac_f32_e32 v34, v58, v59
	v_fmac_f32_e32 v32, v48, v49
	s_waitcnt lgkmcnt(0)
	v_and_b32_e32 v53, 0xffff, v87
	v_lshrrev_b32_e32 v54, 16, v87
	v_and_b32_e32 v87, 0xffff, v52
	;;#ASMSTART
	v_cvt_f32_f16 v52, v53;
	;;#ASMEND
	;;#ASMSTART
	v_cvt_f32_f16 v53, v54;
	;;#ASMEND
	;; [unrolled: 3-line block ×4, first 2 shown]
	ds_read_b32 v68, v7 offset:56
	v_lshrrev_b32_e32 v87, 16, v39
	v_lshrrev_b32_e32 v88, 16, v38
	v_fmac_f32_e32 v34, v64, v66
	v_fmac_f32_e32 v32, v43, v46
	;; [unrolled: 1-line block ×4, first 2 shown]
	s_waitcnt vmcnt(3)
	v_and_b32_e32 v52, 0xffff, v23
	v_fmac_f32_e32 v34, v44, v47
	v_fmac_f32_e32 v34, v42, v45
	s_waitcnt lgkmcnt(0)
	v_and_b32_e32 v65, 0xffff, v68
	v_lshrrev_b32_e32 v67, 16, v68
	v_and_b32_e32 v68, 0xffff, v39
	;;#ASMSTART
	v_cvt_f32_f16 v39, v65;
	;;#ASMEND
	;;#ASMSTART
	v_cvt_f32_f16 v65, v67;
	;;#ASMEND
	;; [unrolled: 3-line block ×4, first 2 shown]
	ds_read_b32 v87, v7 offset:60
	v_fmac_f32_e32 v34, v40, v41
	v_fmac_f32_e32 v32, v39, v67
	;; [unrolled: 1-line block ×3, first 2 shown]
	v_lshrrev_b32_e32 v53, 16, v23
	v_fmac_f32_e32 v34, v65, v68
	s_waitcnt lgkmcnt(0)
	v_and_b32_e32 v72, 0xffff, v87
	v_lshrrev_b32_e32 v74, 16, v87
	v_and_b32_e32 v87, 0xffff, v38
	;;#ASMSTART
	v_cvt_f32_f16 v38, v72;
	;;#ASMEND
	;;#ASMSTART
	v_cvt_f32_f16 v60, v74;
	;;#ASMEND
	;; [unrolled: 3-line block ×4, first 2 shown]
	ds_read_b32 v74, v7 offset:64
	v_lshrrev_b32_e32 v87, 16, v37
	v_lshrrev_b32_e32 v88, 16, v36
	v_fmac_f32_e32 v32, v38, v63
	v_fmac_f32_e32 v34, v60, v72
	s_waitcnt lgkmcnt(0)
	v_and_b32_e32 v85, 0xffff, v74
	v_lshrrev_b32_e32 v74, 16, v74
	;;#ASMSTART
	v_cvt_f32_f16 v37, v85;
	;;#ASMEND
	;;#ASMSTART
	v_cvt_f32_f16 v74, v74;
	;;#ASMEND
	;; [unrolled: 3-line block ×4, first 2 shown]
	ds_read_b32 v87, v7 offset:68
	v_fmac_f32_e32 v32, v37, v85
	v_fmac_f32_e32 v34, v74, v86
	s_waitcnt vmcnt(2)
	v_and_b32_e32 v37, 0xffff, v22
	s_waitcnt lgkmcnt(0)
	v_and_b32_e32 v80, 0xffff, v87
	v_lshrrev_b32_e32 v82, 16, v87
	v_and_b32_e32 v87, 0xffff, v36
	;;#ASMSTART
	v_cvt_f32_f16 v36, v80;
	;;#ASMEND
	;;#ASMSTART
	v_cvt_f32_f16 v80, v82;
	;;#ASMEND
	;; [unrolled: 3-line block ×4, first 2 shown]
	ds_read_b32 v84, v7 offset:72
	v_lshrrev_b32_e32 v87, 16, v35
	v_lshrrev_b32_e32 v88, 16, v33
	v_fmac_f32_e32 v32, v36, v82
	v_fmac_f32_e32 v34, v80, v83
	s_waitcnt lgkmcnt(0)
	v_and_b32_e32 v78, 0xffff, v84
	v_lshrrev_b32_e32 v81, 16, v84
	v_and_b32_e32 v84, 0xffff, v35
	;;#ASMSTART
	v_cvt_f32_f16 v35, v78;
	;;#ASMEND
	;;#ASMSTART
	v_cvt_f32_f16 v78, v81;
	;;#ASMEND
	;; [unrolled: 3-line block ×4, first 2 shown]
	ds_read_b32 v87, v7 offset:76
	v_fmac_f32_e32 v32, v35, v81
	v_fmac_f32_e32 v34, v78, v84
	v_lshrrev_b32_e32 v35, 16, v22
	s_waitcnt lgkmcnt(0)
	v_and_b32_e32 v76, 0xffff, v87
	v_lshrrev_b32_e32 v79, 16, v87
	v_and_b32_e32 v87, 0xffff, v33
	;;#ASMSTART
	v_cvt_f32_f16 v33, v76;
	;;#ASMEND
	;;#ASMSTART
	v_cvt_f32_f16 v71, v79;
	;;#ASMEND
	;; [unrolled: 3-line block ×4, first 2 shown]
	ds_read_b32 v79, v7 offset:80
	v_lshrrev_b32_e32 v87, 16, v31
	v_lshrrev_b32_e32 v88, 16, v30
	v_fmac_f32_e32 v32, v33, v73
	v_fmac_f32_e32 v34, v71, v76
	s_waitcnt lgkmcnt(0)
	v_and_b32_e32 v75, 0xffff, v79
	v_lshrrev_b32_e32 v77, 16, v79
	v_and_b32_e32 v79, 0xffff, v31
	;;#ASMSTART
	v_cvt_f32_f16 v31, v75;
	;;#ASMEND
	;;#ASMSTART
	v_cvt_f32_f16 v75, v77;
	;;#ASMEND
	;; [unrolled: 3-line block ×4, first 2 shown]
	ds_read_b32 v87, v7 offset:84
	v_fmac_f32_e32 v32, v31, v77
	v_fmac_f32_e32 v34, v75, v79
	s_waitcnt lgkmcnt(0)
	v_and_b32_e32 v58, 0xffff, v87
	v_lshrrev_b32_e32 v59, 16, v87
	v_and_b32_e32 v87, 0xffff, v30
	;;#ASMSTART
	v_cvt_f32_f16 v30, v58;
	;;#ASMEND
	;;#ASMSTART
	v_cvt_f32_f16 v58, v59;
	;;#ASMEND
	;; [unrolled: 3-line block ×4, first 2 shown]
	ds_read_b32 v70, v7 offset:88
	v_lshrrev_b32_e32 v87, 16, v29
	v_lshrrev_b32_e32 v88, 16, v28
	v_fmac_f32_e32 v32, v30, v59
	v_fmac_f32_e32 v34, v58, v69
	s_waitcnt vmcnt(1)
	v_and_b32_e32 v30, 0xffff, v21
	s_waitcnt lgkmcnt(0)
	v_and_b32_e32 v64, 0xffff, v70
	v_lshrrev_b32_e32 v66, 16, v70
	v_and_b32_e32 v70, 0xffff, v29
	;;#ASMSTART
	v_cvt_f32_f16 v29, v64;
	;;#ASMEND
	;;#ASMSTART
	v_cvt_f32_f16 v64, v66;
	;;#ASMEND
	;; [unrolled: 3-line block ×4, first 2 shown]
	ds_read_b32 v87, v7 offset:92
	v_fmac_f32_e32 v32, v29, v66
	v_fmac_f32_e32 v34, v64, v70
	s_waitcnt lgkmcnt(0)
	v_and_b32_e32 v56, 0xffff, v87
	v_lshrrev_b32_e32 v57, 16, v87
	v_and_b32_e32 v87, 0xffff, v28
	;;#ASMSTART
	v_cvt_f32_f16 v28, v56;
	;;#ASMEND
	;;#ASMSTART
	v_cvt_f32_f16 v50, v57;
	;;#ASMEND
	;;#ASMSTART
	v_cvt_f32_f16 v51, v87;
	;;#ASMEND
	;;#ASMSTART
	v_cvt_f32_f16 v56, v88;
	;;#ASMEND
	ds_read_b32 v57, v7 offset:96
	v_lshrrev_b32_e32 v87, 16, v27
	v_lshrrev_b32_e32 v88, 16, v26
	v_fmac_f32_e32 v32, v28, v51
	v_fmac_f32_e32 v34, v50, v56
	v_lshrrev_b32_e32 v28, 16, v21
	s_waitcnt lgkmcnt(0)
	v_and_b32_e32 v61, 0xffff, v57
	v_lshrrev_b32_e32 v57, 16, v57
	;;#ASMSTART
	v_cvt_f32_f16 v27, v61;
	;;#ASMEND
	;;#ASMSTART
	v_cvt_f32_f16 v57, v57;
	;;#ASMEND
	;; [unrolled: 3-line block ×4, first 2 shown]
	ds_read_b32 v87, v7 offset:100
	v_fmac_f32_e32 v32, v27, v61
	v_fmac_f32_e32 v34, v57, v62
	s_waitcnt lgkmcnt(0)
	v_and_b32_e32 v44, 0xffff, v87
	v_lshrrev_b32_e32 v47, 16, v87
	v_and_b32_e32 v87, 0xffff, v26
	;;#ASMSTART
	v_cvt_f32_f16 v26, v44;
	;;#ASMEND
	;;#ASMSTART
	v_cvt_f32_f16 v44, v47;
	;;#ASMEND
	;; [unrolled: 3-line block ×4, first 2 shown]
	ds_read_b32 v49, v7 offset:104
	v_lshrrev_b32_e32 v87, 16, v25
	v_lshrrev_b32_e32 v88, 16, v24
	v_fmac_f32_e32 v32, v26, v47
	v_fmac_f32_e32 v34, v44, v48
	s_waitcnt lgkmcnt(0)
	v_and_b32_e32 v42, 0xffff, v49
	v_lshrrev_b32_e32 v45, 16, v49
	v_and_b32_e32 v49, 0xffff, v25
	;;#ASMSTART
	v_cvt_f32_f16 v25, v42;
	;;#ASMEND
	;;#ASMSTART
	v_cvt_f32_f16 v42, v45;
	;;#ASMEND
	;; [unrolled: 3-line block ×4, first 2 shown]
	ds_read_b32 v87, v7 offset:108
	v_fmac_f32_e32 v32, v25, v45
	v_fmac_f32_e32 v34, v42, v49
	s_waitcnt lgkmcnt(0)
	v_and_b32_e32 v43, 0xffff, v87
	v_lshrrev_b32_e32 v46, 16, v87
	v_and_b32_e32 v87, 0xffff, v24
	;;#ASMSTART
	v_cvt_f32_f16 v24, v43;
	;;#ASMEND
	;;#ASMSTART
	v_cvt_f32_f16 v40, v46;
	;;#ASMEND
	;; [unrolled: 3-line block ×4, first 2 shown]
	ds_read_b32 v46, v7 offset:112
	v_fmac_f32_e32 v32, v24, v41
	v_fmac_f32_e32 v34, v40, v43
	s_waitcnt vmcnt(0)
	v_lshrrev_b32_e32 v24, 16, v20
	s_waitcnt lgkmcnt(0)
	v_and_b32_e32 v39, 0xffff, v46
	v_lshrrev_b32_e32 v46, 16, v46
	;;#ASMSTART
	v_cvt_f32_f16 v23, v39;
	;;#ASMEND
	;;#ASMSTART
	v_cvt_f32_f16 v38, v46;
	;;#ASMEND
	;; [unrolled: 3-line block ×4, first 2 shown]
	ds_read_b32 v52, v7 offset:116
	v_fmac_f32_e32 v32, v23, v39
	v_fmac_f32_e32 v34, v38, v46
	v_cndmask_b32_e64 v23, v4, v12, s2
	v_cmp_gt_i32_e64 s2, 32, v13
	s_waitcnt lgkmcnt(0)
	v_and_b32_e32 v33, 0xffff, v52
	v_lshrrev_b32_e32 v36, 16, v52
	;;#ASMSTART
	v_cvt_f32_f16 v22, v33;
	;;#ASMEND
	;;#ASMSTART
	v_cvt_f32_f16 v31, v36;
	;;#ASMEND
	;; [unrolled: 3-line block ×4, first 2 shown]
	ds_read_b32 v36, v7 offset:120
	v_fmac_f32_e32 v32, v22, v33
	v_fmac_f32_e32 v34, v31, v35
	s_waitcnt lgkmcnt(0)
	v_and_b32_e32 v27, 0xffff, v36
	v_lshrrev_b32_e32 v29, 16, v36
	;;#ASMSTART
	v_cvt_f32_f16 v21, v27;
	;;#ASMEND
	;;#ASMSTART
	v_cvt_f32_f16 v26, v29;
	;;#ASMEND
	;; [unrolled: 3-line block ×4, first 2 shown]
	ds_read_b32 v29, v7 offset:124
	v_fmac_f32_e32 v32, v21, v27
	v_fmac_f32_e32 v34, v26, v28
	s_waitcnt lgkmcnt(0)
	v_and_b32_e32 v22, 0xffff, v29
	v_lshrrev_b32_e32 v25, 16, v29
	v_and_b32_e32 v29, 0xffff, v20
	;;#ASMSTART
	v_cvt_f32_f16 v20, v22;
	;;#ASMEND
	;;#ASMSTART
	v_cvt_f32_f16 v21, v25;
	;;#ASMEND
	;; [unrolled: 3-line block ×4, first 2 shown]
	v_fmac_f32_e32 v32, v20, v22
	v_fmac_f32_e32 v34, v21, v24
	v_lshlrev_b32_e32 v20, 2, v23
	v_cndmask_b32_e64 v22, v4, v13, s2
	v_add_f32_e32 v21, v32, v34
	ds_bpermute_b32 v20, v20, v21
	s_waitcnt lgkmcnt(0)
	v_add_f32_e32 v20, v21, v20
	v_lshlrev_b32_e32 v21, 2, v22
	ds_bpermute_b32 v21, v21, v20
	s_and_saveexec_b32 s36, vcc_lo
	s_cbranch_execz .LBB62_10
; %bb.18:                               ;   in Loop: Header=BB62_12 Depth=1
	v_add_nc_u32_e32 v22, v14, v8
	s_waitcnt lgkmcnt(0)
	v_add_f32_e32 v20, v20, v21
	v_cvt_f32_i32_e32 v22, v22
	v_mul_f32_e32 v22, s33, v22
	v_cndmask_b32_e64 v21, 0, v22, s1
	v_max_f32_e32 v22, v5, v5
	v_fmac_f32_e32 v21, s29, v20
	v_add_nc_u32_e32 v20, v6, v8
	v_max_f32_e32 v22, v22, v21
	v_cmp_gt_i32_e64 s2, s30, v20
	v_cndmask_b32_e64 v20, 0, v21, s2
	v_cndmask_b32_e64 v5, v5, v22, s2
	ds_write_b32 v15, v20
	s_branch .LBB62_10
.LBB62_19:
	s_or_b32 exec_lo, exec_lo, s15
.LBB62_20:
	s_or_b32 exec_lo, exec_lo, s34
	v_xor_b32_e32 v1, 16, v4
	v_xor_b32_e32 v6, 8, v4
	v_max_f32_e32 v7, v5, v5
	v_and_b32_e32 v11, 31, v0
	v_cmp_gt_i32_e32 vcc_lo, 32, v1
	v_cndmask_b32_e32 v1, v4, v1, vcc_lo
	v_cmp_gt_i32_e32 vcc_lo, 32, v6
	v_lshlrev_b32_e32 v2, 2, v1
	ds_bpermute_b32 v1, v2, v5
	v_cndmask_b32_e32 v5, v4, v6, vcc_lo
	v_lshlrev_b32_e32 v5, 2, v5
	s_waitcnt lgkmcnt(0)
	v_max_f32_e32 v1, v1, v1
	v_max_f32_e32 v1, v7, v1
	v_xor_b32_e32 v7, 4, v4
	ds_bpermute_b32 v6, v5, v1
	v_cmp_gt_i32_e32 vcc_lo, 32, v7
	v_cndmask_b32_e32 v7, v4, v7, vcc_lo
	v_cmp_eq_u32_e32 vcc_lo, 0, v11
	v_lshlrev_b32_e32 v8, 2, v7
	s_waitcnt lgkmcnt(0)
	v_max_f32_e32 v6, v6, v6
	v_max_f32_e32 v1, v1, v6
	v_lshlrev_b32_e32 v6, 2, v9
	ds_bpermute_b32 v7, v8, v1
	s_and_saveexec_b32 s1, vcc_lo
	s_cbranch_execz .LBB62_22
; %bb.21:
	s_waitcnt lgkmcnt(0)
	v_max_f32_e32 v7, v7, v7
	v_max_f32_e32 v1, v1, v1
	;; [unrolled: 1-line block ×3, first 2 shown]
	ds_write_b32 v6, v1 offset:512
.LBB62_22:
	s_or_b32 exec_lo, exec_lo, s1
	v_cmp_gt_u32_e64 s1, 4, v11
	v_mov_b32_e32 v1, 0xff7fffff
	s_waitcnt lgkmcnt(0)
	v_lshlrev_b32_e32 v7, 2, v11
	s_barrier
	buffer_gl0_inv
	s_and_saveexec_b32 s2, s1
; %bb.23:
	ds_read_b32 v1, v7 offset:512
; %bb.24:
	s_or_b32 exec_lo, exec_lo, s2
	v_xor_b32_e32 v12, 2, v4
	v_xor_b32_e32 v14, 1, v4
	v_cmp_gt_i32_e64 s2, 32, v12
	v_cndmask_b32_e64 v12, v4, v12, s2
	v_cmp_gt_i32_e64 s2, 32, v14
	v_lshlrev_b32_e32 v12, 2, v12
	v_cndmask_b32_e64 v4, v4, v14, s2
	s_lshl_b32 s2, s16, 3
	s_min_i32 s4, s2, s30
	s_waitcnt lgkmcnt(0)
	ds_bpermute_b32 v13, v12, v1
	v_max_f32_e32 v1, v1, v1
	v_lshlrev_b32_e32 v4, 2, v4
	v_cmp_gt_i32_e64 s2, s4, v0
	s_waitcnt lgkmcnt(0)
	v_max_f32_e32 v13, v13, v13
	v_max_f32_e32 v1, v1, v13
	ds_bpermute_b32 v13, v4, v1
	s_waitcnt lgkmcnt(0)
	v_max_f32_e32 v13, v13, v13
	v_max_f32_e32 v1, v1, v13
	v_mov_b32_e32 v13, 0
	ds_bpermute_b32 v14, v13, v1
	v_lshl_add_u32 v1, v0, 2, 0x220
	s_and_saveexec_b32 s5, s2
	s_cbranch_execz .LBB62_28
; %bb.25:
	v_lshl_add_u32 v15, v0, 2, 0x220
	v_mov_b32_e32 v13, 0
	v_mov_b32_e32 v16, v0
	s_mov_b32 s15, 0
	.p2align	6
.LBB62_26:                              ; =>This Inner Loop Header: Depth=1
	ds_read_b32 v17, v15
	v_add_nc_u32_e32 v16, 0x80, v16
	v_cmp_le_i32_e64 s3, s4, v16
	s_or_b32 s15, s3, s15
	s_waitcnt lgkmcnt(0)
	v_sub_f32_e32 v17, v17, v14
	v_mul_f32_e32 v17, 0x3fb8aa3b, v17
	v_exp_f32_e32 v17, v17
	ds_write_b32 v15, v17
	v_add_f32_e32 v13, v13, v17
	v_add_nc_u32_e32 v15, 0x200, v15
	s_andn2_b32 exec_lo, exec_lo, s15
	s_cbranch_execnz .LBB62_26
; %bb.27:
	s_or_b32 exec_lo, exec_lo, s15
.LBB62_28:
	s_or_b32 exec_lo, exec_lo, s5
	ds_bpermute_b32 v2, v2, v13
	s_waitcnt lgkmcnt(0)
	v_add_f32_e32 v2, v13, v2
	ds_bpermute_b32 v5, v5, v2
	s_waitcnt lgkmcnt(0)
	v_add_f32_e32 v2, v2, v5
	;; [unrolled: 3-line block ×5, first 2 shown]
	s_and_saveexec_b32 s3, vcc_lo
; %bb.29:
	ds_write_b32 v6, v2 offset:528
; %bb.30:
	s_or_b32 exec_lo, exec_lo, s3
	s_waitcnt lgkmcnt(0)
	s_barrier
	buffer_gl0_inv
	s_and_saveexec_b32 s3, s1
; %bb.31:
	ds_read_b32 v2, v7 offset:528
; %bb.32:
	s_or_b32 exec_lo, exec_lo, s3
	s_waitcnt lgkmcnt(0)
	ds_bpermute_b32 v5, v12, v2
	s_waitcnt lgkmcnt(0)
	v_add_f32_e32 v2, v2, v5
	ds_bpermute_b32 v4, v4, v2
	s_waitcnt lgkmcnt(0)
	v_add_f32_e32 v2, v2, v4
	v_mov_b32_e32 v4, 0
	ds_bpermute_b32 v2, v4, v2
	s_and_saveexec_b32 s1, s2
	s_cbranch_execz .LBB62_35
; %bb.33:
	s_waitcnt lgkmcnt(0)
	v_add_f32_e32 v2, 0x358637bd, v2
	s_mov_b32 s2, 0
	v_div_scale_f32 v4, null, v2, v2, 1.0
	v_div_scale_f32 v7, vcc_lo, 1.0, v2, 1.0
	v_rcp_f32_e32 v5, v4
	v_fma_f32 v6, -v4, v5, 1.0
	v_fmac_f32_e32 v5, v6, v5
	v_mul_f32_e32 v6, v7, v5
	v_fma_f32 v8, -v4, v6, v7
	v_fmac_f32_e32 v6, v8, v5
	v_fma_f32 v4, -v4, v6, v7
	v_div_fmas_f32 v4, v4, v5, v6
	v_div_fixup_f32 v2, v4, v2, 1.0
	v_mov_b32_e32 v4, v0
.LBB62_34:                              ; =>This Inner Loop Header: Depth=1
	ds_read_b32 v5, v1
	v_add_nc_u32_e32 v4, 0x80, v4
	v_cmp_le_i32_e32 vcc_lo, s4, v4
	s_or_b32 s2, vcc_lo, s2
	s_waitcnt lgkmcnt(0)
	v_mul_f32_e32 v5, v2, v5
	ds_write_b32 v1, v5
	v_add_nc_u32_e32 v1, 0x200, v1
	s_andn2_b32 exec_lo, exec_lo, s2
	s_cbranch_execnz .LBB62_34
.LBB62_35:
	s_or_b32 exec_lo, exec_lo, s1
	v_mov_b32_e32 v19, 0
	v_mov_b32_e32 v18, 0
	;; [unrolled: 1-line block ×8, first 2 shown]
	s_waitcnt lgkmcnt(0)
	s_barrier
	buffer_gl0_inv
	s_and_saveexec_b32 s2, s0
	s_cbranch_execz .LBB62_57
; %bb.36:
	s_ashr_i32 s15, s14, 31
	s_sub_i32 s3, s28, s17
	s_lshl_b64 s[0:1], s[14:15], 1
	v_lshlrev_b32_e32 v2, 4, v11
	s_add_u32 s14, s26, s0
	s_addc_u32 s15, s27, s1
	s_abs_i32 s4, s18
	v_and_b32_e32 v3, 0x7c, v3
	v_cvt_f32_u32_e32 v1, s4
	s_sub_i32 s0, 0, s4
	s_add_i32 s5, s16, -1
	v_add_co_u32 v22, s14, s14, v2
	v_rcp_iflag_f32_e32 v1, v1
	v_mov_b32_e32 v20, 0
	v_lshl_add_u32 v21, v9, 5, 0x220
	v_mov_b32_e32 v12, 0
	v_mov_b32_e32 v13, 0
	;; [unrolled: 1-line block ×7, first 2 shown]
	v_mul_f32_e32 v1, 0x4f7ffffe, v1
	v_mov_b32_e32 v19, 0
	v_add_co_ci_u32_e64 v23, null, s15, 0, s14
	v_mov_b32_e32 v25, v9
	v_cvt_u32_f32_e32 v1, v1
	s_mov_b32 s14, s13
	s_mov_b32 s13, 0
	v_mul_lo_u32 v4, s0, v1
	s_lshl_b64 s[0:1], s[24:25], 2
	s_add_u32 s0, s22, s0
	s_addc_u32 s1, s23, s1
	v_add_co_u32 v5, s0, s0, v3
	v_add_co_ci_u32_e64 v6, null, s1, 0, s0
	v_mul_hi_u32 v4, v1, v4
	v_add_nc_u32_e32 v24, v1, v4
	s_branch .LBB62_39
.LBB62_37:                              ;   in Loop: Header=BB62_39 Depth=1
	s_or_b32 exec_lo, exec_lo, s1
	v_lshlrev_b32_e32 v28, 16, v49
	v_lshlrev_b32_e32 v8, 16, v8
	;; [unrolled: 1-line block ×3, first 2 shown]
	v_add_f32_e32 v26, v50, v51
	v_add_f32_e32 v27, v47, v48
	v_and_or_b32 v1, 0xffff, v1, v28
	v_and_or_b32 v2, 0xffff, v2, v8
	;; [unrolled: 1-line block ×3, first 2 shown]
	;;#ASMSTART
	v_pk_mul_f16 v1, v34, v1;

	;;#ASMEND
	;;#ASMSTART
	v_pk_mul_f16 v2, v33, v2;

	;;#ASMEND
	;; [unrolled: 4-line block ×4, first 2 shown]
	;;#ASMSTART
	v_pk_add_f16 v1, v1, v2;

	;;#ASMEND
	;;#ASMSTART
	v_pk_add_f16 v1, v1, v3;

	;;#ASMEND
	;; [unrolled: 4-line block ×3, first 2 shown]
	v_and_b32_e32 v4, 0xffff, v1
	v_lshrrev_b32_e32 v8, 16, v1
	;;#ASMSTART
	v_cvt_f32_f16 v4, v4;
	;;#ASMEND
	v_add_f32_e32 v13, v13, v26
	v_add_f32_e32 v26, v45, v46
	;; [unrolled: 1-line block ×6, first 2 shown]
	;;#ASMSTART
	v_cvt_f32_f16 v8, v8;
	;;#ASMEND
	v_add_f32_e32 v4, v4, v8
	v_add_f32_e32 v14, v14, v27
	;; [unrolled: 1-line block ×8, first 2 shown]
.LBB62_38:                              ;   in Loop: Header=BB62_39 Depth=1
	s_or_b32 exec_lo, exec_lo, s15
	v_add_nc_u32_e32 v25, 4, v25
	v_add_co_u32 v5, s0, v5, 16
	v_add_co_ci_u32_e64 v6, null, 0, v6, s0
	v_cmp_le_i32_e32 vcc_lo, s16, v25
	v_add_nc_u32_e32 v10, 32, v10
	v_add_nc_u32_e32 v21, 0x80, v21
	s_or_b32 s13, vcc_lo, s13
	s_andn2_b32 exec_lo, exec_lo, s13
	s_cbranch_execz .LBB62_56
.LBB62_39:                              ; =>This Inner Loop Header: Depth=1
	v_mul_hi_u32 v1, v10, s21
	v_mul_lo_u32 v2, v1, s12
	v_add_nc_u32_e32 v3, 1, v1
	v_sub_nc_u32_e32 v2, v10, v2
	v_subrev_nc_u32_e32 v4, s12, v2
	v_cmp_le_u32_e32 vcc_lo, s12, v2
	v_cndmask_b32_e32 v1, v1, v3, vcc_lo
	v_cndmask_b32_e32 v2, v2, v4, vcc_lo
	v_add_nc_u32_e32 v3, 1, v1
	v_cmp_le_u32_e32 vcc_lo, s12, v2
	v_cndmask_b32_e32 v1, v1, v3, vcc_lo
	v_xor_b32_e32 v1, s19, v1
	v_subrev_nc_u32_e32 v1, s19, v1
	v_add_nc_u32_e32 v2, s31, v1
	v_cmp_lt_i32_e64 s0, s3, v1
	v_sub_nc_u32_e32 v3, 0, v2
	v_max_i32_e32 v3, v2, v3
	v_ashrrev_i32_e32 v2, 31, v2
	v_mul_hi_u32 v4, v3, v24
	v_mul_lo_u32 v4, v4, s4
	v_sub_nc_u32_e32 v3, v3, v4
	v_subrev_nc_u32_e32 v4, s4, v3
	v_cmp_le_u32_e32 vcc_lo, s4, v3
	v_cndmask_b32_e32 v3, v3, v4, vcc_lo
	v_subrev_nc_u32_e32 v4, s4, v3
	v_cmp_le_u32_e32 vcc_lo, s4, v3
	v_cndmask_b32_e32 v3, v3, v4, vcc_lo
	v_xor_b32_e32 v3, v3, v2
	v_sub_nc_u32_e32 v2, v3, v2
	v_cmp_eq_u32_e32 vcc_lo, 0, v2
	s_or_b32 s0, vcc_lo, s0
	s_and_saveexec_b32 s15, s0
	s_cbranch_execz .LBB62_38
; %bb.40:                               ;   in Loop: Header=BB62_39 Depth=1
	global_load_dword v7, v[5:6], off
	ds_read2_b64 v[1:4], v21 offset1:1
	ds_read2_b64 v[26:29], v21 offset0:2 offset1:3
	v_cmp_eq_u32_e64 s0, s5, v25
	v_add_nc_u32_e32 v32, 1, v10
	v_add_nc_u32_e32 v30, 2, v10
	;; [unrolled: 1-line block ×3, first 2 shown]
	s_waitcnt lgkmcnt(1)
	;;#ASMSTART
	v_cvt_f16_f32 v34, v1;

	;;#ASMEND
	;;#ASMSTART
	v_cvt_f16_f32 v33, v2;

	;;#ASMEND
	;; [unrolled: 4-line block ×4, first 2 shown]
	s_waitcnt lgkmcnt(0)
	;;#ASMSTART
	v_cvt_f16_f32 v40, v26;

	;;#ASMEND
	;;#ASMSTART
	v_cvt_f16_f32 v36, v27;

	;;#ASMEND
	;; [unrolled: 4-line block ×4, first 2 shown]
	v_add_nc_u32_e32 v29, 3, v10
	v_add_nc_u32_e32 v27, 4, v10
	;; [unrolled: 1-line block ×4, first 2 shown]
	s_waitcnt vmcnt(0)
	v_mad_i64_i32 v[7:8], null, v7, s14, 0
	v_lshlrev_b64 v[7:8], 1, v[7:8]
	v_add_co_u32 v7, vcc_lo, v22, v7
	v_add_co_ci_u32_e64 v8, null, v23, v8, vcc_lo
	global_load_dwordx4 v[1:4], v[7:8], off
	s_waitcnt vmcnt(0)
	v_lshrrev_b32_e32 v43, 16, v1
	v_lshrrev_b32_e32 v42, 16, v2
	;; [unrolled: 1-line block ×3, first 2 shown]
	s_and_saveexec_b32 s17, s0
	s_cbranch_execz .LBB62_42
; %bb.41:                               ;   in Loop: Header=BB62_39 Depth=1
	v_cmp_gt_i32_e32 vcc_lo, s30, v10
	v_and_b32_e32 v44, 0xffff0000, v4
	v_cmp_gt_i32_e64 s1, s30, v30
	v_cndmask_b32_e32 v1, 0, v1, vcc_lo
	v_cmp_gt_i32_e32 vcc_lo, s30, v32
	v_cndmask_b32_e64 v2, 0, v2, s1
	v_cmp_gt_i32_e64 s1, s30, v29
	v_cndmask_b32_e32 v43, 0, v43, vcc_lo
	v_cmp_gt_i32_e32 vcc_lo, s30, v31
	v_cndmask_b32_e64 v42, 0, v42, s1
	v_cndmask_b32_sdwa v4, v20, v4, vcc_lo dst_sel:DWORD dst_unused:UNUSED_PAD src0_sel:DWORD src1_sel:WORD_0
	v_cmp_gt_i32_e32 vcc_lo, s30, v28
	v_cndmask_b32_e32 v44, 0, v44, vcc_lo
	v_cmp_gt_i32_e32 vcc_lo, s30, v27
	v_or_b32_e32 v4, v4, v44
	v_cndmask_b32_e32 v3, 0, v3, vcc_lo
	v_cmp_gt_i32_e32 vcc_lo, s30, v26
	v_cndmask_b32_e32 v41, 0, v41, vcc_lo
.LBB62_42:                              ;   in Loop: Header=BB62_39 Depth=1
	s_or_b32 exec_lo, exec_lo, s17
	v_and_b32_e32 v34, 0xffff, v34
	v_and_b32_e32 v39, 0xffff, v39
	v_lshlrev_b32_e32 v43, 16, v43
	v_lshlrev_b32_e32 v41, 16, v41
	v_and_b32_e32 v40, 0xffff, v40
	v_lshl_or_b32 v34, v33, 16, v34
	v_lshl_or_b32 v33, v37, 16, v39
	v_lshlrev_b32_e32 v39, 16, v42
	v_and_b32_e32 v38, 0xffff, v38
	v_and_or_b32 v1, 0xffff, v1, v43
	v_and_or_b32 v3, 0xffff, v3, v41
	;;#ASMSTART
	v_pk_mul_f16 v1, v34, v1;

	;;#ASMEND
	v_and_or_b32 v2, 0xffff, v2, v39
	v_lshl_or_b32 v37, v36, 16, v40
	v_lshl_or_b32 v38, v35, 16, v38
	;;#ASMSTART
	v_pk_mul_f16 v2, v33, v2;

	;;#ASMEND
	;;#ASMSTART
	v_pk_mul_f16 v3, v37, v3;

	;;#ASMEND
	;; [unrolled: 4-line block ×3, first 2 shown]
	;;#ASMSTART
	v_pk_add_f16 v1, v1, v2;

	;;#ASMEND
	;;#ASMSTART
	v_pk_add_f16 v1, v1, v3;

	;;#ASMEND
	;; [unrolled: 4-line block ×3, first 2 shown]
	v_and_b32_e32 v2, 0xffff, v1
	v_lshrrev_b32_e32 v1, 16, v1
	;;#ASMSTART
	v_cvt_f32_f16 v35, v2;
	;;#ASMEND
	;;#ASMSTART
	v_cvt_f32_f16 v36, v1;
	;;#ASMEND
	global_load_dwordx4 v[1:4], v[7:8], off offset:512
	s_waitcnt vmcnt(0)
	v_lshrrev_b32_e32 v41, 16, v1
	v_lshrrev_b32_e32 v40, 16, v2
	;; [unrolled: 1-line block ×3, first 2 shown]
	s_and_saveexec_b32 s17, s0
	s_cbranch_execz .LBB62_44
; %bb.43:                               ;   in Loop: Header=BB62_39 Depth=1
	v_cmp_gt_i32_e32 vcc_lo, s30, v10
	v_and_b32_e32 v42, 0xffff0000, v4
	v_cmp_gt_i32_e64 s1, s30, v30
	v_cndmask_b32_e32 v1, 0, v1, vcc_lo
	v_cmp_gt_i32_e32 vcc_lo, s30, v32
	v_cndmask_b32_e64 v2, 0, v2, s1
	v_cmp_gt_i32_e64 s1, s30, v29
	v_cndmask_b32_e32 v41, 0, v41, vcc_lo
	v_cmp_gt_i32_e32 vcc_lo, s30, v31
	v_cndmask_b32_e64 v40, 0, v40, s1
	v_cndmask_b32_sdwa v4, v20, v4, vcc_lo dst_sel:DWORD dst_unused:UNUSED_PAD src0_sel:DWORD src1_sel:WORD_0
	v_cmp_gt_i32_e32 vcc_lo, s30, v28
	v_cndmask_b32_e32 v42, 0, v42, vcc_lo
	v_cmp_gt_i32_e32 vcc_lo, s30, v27
	v_or_b32_e32 v4, v4, v42
	v_cndmask_b32_e32 v3, 0, v3, vcc_lo
	v_cmp_gt_i32_e32 vcc_lo, s30, v26
	v_cndmask_b32_e32 v39, 0, v39, vcc_lo
.LBB62_44:                              ;   in Loop: Header=BB62_39 Depth=1
	s_or_b32 exec_lo, exec_lo, s17
	v_lshlrev_b32_e32 v41, 16, v41
	v_lshlrev_b32_e32 v40, 16, v40
	v_lshlrev_b32_e32 v39, 16, v39
	v_and_or_b32 v1, 0xffff, v1, v41
	v_and_or_b32 v2, 0xffff, v2, v40
	;; [unrolled: 1-line block ×3, first 2 shown]
	;;#ASMSTART
	v_pk_mul_f16 v1, v34, v1;

	;;#ASMEND
	;;#ASMSTART
	v_pk_mul_f16 v2, v33, v2;

	;;#ASMEND
	;; [unrolled: 4-line block ×4, first 2 shown]
	;;#ASMSTART
	v_pk_add_f16 v1, v1, v2;

	;;#ASMEND
	;;#ASMSTART
	v_pk_add_f16 v1, v1, v3;

	;;#ASMEND
	;; [unrolled: 4-line block ×3, first 2 shown]
	v_and_b32_e32 v2, 0xffff, v1
	v_lshrrev_b32_e32 v1, 16, v1
	;;#ASMSTART
	v_cvt_f32_f16 v39, v2;
	;;#ASMEND
	;;#ASMSTART
	v_cvt_f32_f16 v40, v1;
	;;#ASMEND
	global_load_dwordx4 v[1:4], v[7:8], off offset:1024
	s_waitcnt vmcnt(0)
	v_lshrrev_b32_e32 v43, 16, v1
	v_lshrrev_b32_e32 v42, 16, v2
	;; [unrolled: 1-line block ×3, first 2 shown]
	s_and_saveexec_b32 s17, s0
	s_cbranch_execz .LBB62_46
; %bb.45:                               ;   in Loop: Header=BB62_39 Depth=1
	v_cmp_gt_i32_e32 vcc_lo, s30, v10
	v_and_b32_e32 v44, 0xffff0000, v4
	v_cmp_gt_i32_e64 s1, s30, v30
	v_cndmask_b32_e32 v1, 0, v1, vcc_lo
	v_cmp_gt_i32_e32 vcc_lo, s30, v32
	v_cndmask_b32_e64 v2, 0, v2, s1
	v_cmp_gt_i32_e64 s1, s30, v29
	v_cndmask_b32_e32 v43, 0, v43, vcc_lo
	v_cmp_gt_i32_e32 vcc_lo, s30, v31
	v_cndmask_b32_e64 v42, 0, v42, s1
	v_cndmask_b32_sdwa v4, v20, v4, vcc_lo dst_sel:DWORD dst_unused:UNUSED_PAD src0_sel:DWORD src1_sel:WORD_0
	v_cmp_gt_i32_e32 vcc_lo, s30, v28
	v_cndmask_b32_e32 v44, 0, v44, vcc_lo
	v_cmp_gt_i32_e32 vcc_lo, s30, v27
	v_or_b32_e32 v4, v4, v44
	v_cndmask_b32_e32 v3, 0, v3, vcc_lo
	v_cmp_gt_i32_e32 vcc_lo, s30, v26
	v_cndmask_b32_e32 v41, 0, v41, vcc_lo
.LBB62_46:                              ;   in Loop: Header=BB62_39 Depth=1
	s_or_b32 exec_lo, exec_lo, s17
	v_lshlrev_b32_e32 v43, 16, v43
	v_lshlrev_b32_e32 v42, 16, v42
	;; [unrolled: 1-line block ×3, first 2 shown]
	v_and_or_b32 v1, 0xffff, v1, v43
	v_and_or_b32 v2, 0xffff, v2, v42
	;; [unrolled: 1-line block ×3, first 2 shown]
	;;#ASMSTART
	v_pk_mul_f16 v1, v34, v1;

	;;#ASMEND
	;;#ASMSTART
	v_pk_mul_f16 v2, v33, v2;

	;;#ASMEND
	;;#ASMSTART
	v_pk_mul_f16 v3, v37, v3;

	;;#ASMEND
	;;#ASMSTART
	v_pk_mul_f16 v4, v38, v4;

	;;#ASMEND
	;;#ASMSTART
	v_pk_add_f16 v1, v1, v2;

	;;#ASMEND
	;;#ASMSTART
	v_pk_add_f16 v1, v1, v3;

	;;#ASMEND
	;; [unrolled: 4-line block ×3, first 2 shown]
	v_and_b32_e32 v2, 0xffff, v1
	v_lshrrev_b32_e32 v1, 16, v1
	;;#ASMSTART
	v_cvt_f32_f16 v41, v2;
	;;#ASMEND
	;;#ASMSTART
	v_cvt_f32_f16 v42, v1;
	;;#ASMEND
	global_load_dwordx4 v[1:4], v[7:8], off offset:1536
	s_waitcnt vmcnt(0)
	v_lshrrev_b32_e32 v45, 16, v1
	v_lshrrev_b32_e32 v44, 16, v2
	;; [unrolled: 1-line block ×3, first 2 shown]
	s_and_saveexec_b32 s17, s0
	s_cbranch_execz .LBB62_48
; %bb.47:                               ;   in Loop: Header=BB62_39 Depth=1
	v_cmp_gt_i32_e32 vcc_lo, s30, v10
	v_and_b32_e32 v46, 0xffff0000, v4
	v_cmp_gt_i32_e64 s1, s30, v30
	v_cndmask_b32_e32 v1, 0, v1, vcc_lo
	v_cmp_gt_i32_e32 vcc_lo, s30, v32
	v_cndmask_b32_e64 v2, 0, v2, s1
	v_cmp_gt_i32_e64 s1, s30, v29
	v_cndmask_b32_e32 v45, 0, v45, vcc_lo
	v_cmp_gt_i32_e32 vcc_lo, s30, v31
	v_cndmask_b32_e64 v44, 0, v44, s1
	v_cndmask_b32_sdwa v4, v20, v4, vcc_lo dst_sel:DWORD dst_unused:UNUSED_PAD src0_sel:DWORD src1_sel:WORD_0
	v_cmp_gt_i32_e32 vcc_lo, s30, v28
	v_cndmask_b32_e32 v46, 0, v46, vcc_lo
	v_cmp_gt_i32_e32 vcc_lo, s30, v27
	v_or_b32_e32 v4, v4, v46
	v_cndmask_b32_e32 v3, 0, v3, vcc_lo
	v_cmp_gt_i32_e32 vcc_lo, s30, v26
	v_cndmask_b32_e32 v43, 0, v43, vcc_lo
.LBB62_48:                              ;   in Loop: Header=BB62_39 Depth=1
	s_or_b32 exec_lo, exec_lo, s17
	v_lshlrev_b32_e32 v45, 16, v45
	v_lshlrev_b32_e32 v44, 16, v44
	;; [unrolled: 1-line block ×3, first 2 shown]
	v_add_co_u32 v7, vcc_lo, 0x800, v7
	v_and_or_b32 v1, 0xffff, v1, v45
	v_and_or_b32 v2, 0xffff, v2, v44
	v_and_or_b32 v3, 0xffff, v3, v43
	;;#ASMSTART
	v_pk_mul_f16 v1, v34, v1;

	;;#ASMEND
	v_add_co_ci_u32_e64 v8, null, 0, v8, vcc_lo
	;;#ASMSTART
	v_pk_mul_f16 v2, v33, v2;

	;;#ASMEND
	;;#ASMSTART
	v_pk_mul_f16 v3, v37, v3;

	;;#ASMEND
	;; [unrolled: 4-line block ×3, first 2 shown]
	;;#ASMSTART
	v_pk_add_f16 v1, v1, v2;

	;;#ASMEND
	;;#ASMSTART
	v_pk_add_f16 v1, v1, v3;

	;;#ASMEND
	;; [unrolled: 4-line block ×3, first 2 shown]
	v_lshrrev_b32_e32 v2, 16, v1
	v_and_b32_e32 v1, 0xffff, v1
	;;#ASMSTART
	v_cvt_f32_f16 v43, v1;
	;;#ASMEND
	;;#ASMSTART
	v_cvt_f32_f16 v44, v2;
	;;#ASMEND
	global_load_dwordx4 v[1:4], v[7:8], off
	s_waitcnt vmcnt(0)
	v_lshrrev_b32_e32 v47, 16, v1
	v_lshrrev_b32_e32 v46, 16, v2
	;; [unrolled: 1-line block ×3, first 2 shown]
	s_and_saveexec_b32 s17, s0
	s_cbranch_execz .LBB62_50
; %bb.49:                               ;   in Loop: Header=BB62_39 Depth=1
	v_cmp_gt_i32_e32 vcc_lo, s30, v10
	v_and_b32_e32 v48, 0xffff0000, v4
	v_cmp_gt_i32_e64 s1, s30, v30
	v_cndmask_b32_e32 v1, 0, v1, vcc_lo
	v_cmp_gt_i32_e32 vcc_lo, s30, v32
	v_cndmask_b32_e64 v2, 0, v2, s1
	v_cmp_gt_i32_e64 s1, s30, v29
	v_cndmask_b32_e32 v47, 0, v47, vcc_lo
	v_cmp_gt_i32_e32 vcc_lo, s30, v31
	v_cndmask_b32_e64 v46, 0, v46, s1
	v_cndmask_b32_sdwa v4, v20, v4, vcc_lo dst_sel:DWORD dst_unused:UNUSED_PAD src0_sel:DWORD src1_sel:WORD_0
	v_cmp_gt_i32_e32 vcc_lo, s30, v28
	v_cndmask_b32_e32 v48, 0, v48, vcc_lo
	v_cmp_gt_i32_e32 vcc_lo, s30, v27
	v_or_b32_e32 v4, v4, v48
	v_cndmask_b32_e32 v3, 0, v3, vcc_lo
	v_cmp_gt_i32_e32 vcc_lo, s30, v26
	v_cndmask_b32_e32 v45, 0, v45, vcc_lo
.LBB62_50:                              ;   in Loop: Header=BB62_39 Depth=1
	s_or_b32 exec_lo, exec_lo, s17
	v_lshlrev_b32_e32 v47, 16, v47
	v_lshlrev_b32_e32 v46, 16, v46
	;; [unrolled: 1-line block ×3, first 2 shown]
	v_and_or_b32 v1, 0xffff, v1, v47
	v_and_or_b32 v2, 0xffff, v2, v46
	;; [unrolled: 1-line block ×3, first 2 shown]
	;;#ASMSTART
	v_pk_mul_f16 v1, v34, v1;

	;;#ASMEND
	;;#ASMSTART
	v_pk_mul_f16 v2, v33, v2;

	;;#ASMEND
	;; [unrolled: 4-line block ×4, first 2 shown]
	;;#ASMSTART
	v_pk_add_f16 v1, v1, v2;

	;;#ASMEND
	;;#ASMSTART
	v_pk_add_f16 v1, v1, v3;

	;;#ASMEND
	;; [unrolled: 4-line block ×3, first 2 shown]
	v_and_b32_e32 v2, 0xffff, v1
	v_lshrrev_b32_e32 v1, 16, v1
	;;#ASMSTART
	v_cvt_f32_f16 v45, v2;
	;;#ASMEND
	;;#ASMSTART
	v_cvt_f32_f16 v46, v1;
	;;#ASMEND
	global_load_dwordx4 v[1:4], v[7:8], off offset:512
	s_waitcnt vmcnt(0)
	v_lshrrev_b32_e32 v49, 16, v1
	v_lshrrev_b32_e32 v48, 16, v2
	;; [unrolled: 1-line block ×3, first 2 shown]
	s_and_saveexec_b32 s17, s0
	s_cbranch_execz .LBB62_52
; %bb.51:                               ;   in Loop: Header=BB62_39 Depth=1
	v_cmp_gt_i32_e32 vcc_lo, s30, v10
	v_and_b32_e32 v50, 0xffff0000, v4
	v_cmp_gt_i32_e64 s1, s30, v30
	v_cndmask_b32_e32 v1, 0, v1, vcc_lo
	v_cmp_gt_i32_e32 vcc_lo, s30, v32
	v_cndmask_b32_e64 v2, 0, v2, s1
	v_cmp_gt_i32_e64 s1, s30, v29
	v_cndmask_b32_e32 v49, 0, v49, vcc_lo
	v_cmp_gt_i32_e32 vcc_lo, s30, v31
	v_cndmask_b32_e64 v48, 0, v48, s1
	v_cndmask_b32_sdwa v4, v20, v4, vcc_lo dst_sel:DWORD dst_unused:UNUSED_PAD src0_sel:DWORD src1_sel:WORD_0
	v_cmp_gt_i32_e32 vcc_lo, s30, v28
	v_cndmask_b32_e32 v50, 0, v50, vcc_lo
	v_cmp_gt_i32_e32 vcc_lo, s30, v27
	v_or_b32_e32 v4, v4, v50
	v_cndmask_b32_e32 v3, 0, v3, vcc_lo
	v_cmp_gt_i32_e32 vcc_lo, s30, v26
	v_cndmask_b32_e32 v47, 0, v47, vcc_lo
.LBB62_52:                              ;   in Loop: Header=BB62_39 Depth=1
	s_or_b32 exec_lo, exec_lo, s17
	v_lshlrev_b32_e32 v49, 16, v49
	v_lshlrev_b32_e32 v48, 16, v48
	;; [unrolled: 1-line block ×3, first 2 shown]
	v_and_or_b32 v1, 0xffff, v1, v49
	v_and_or_b32 v2, 0xffff, v2, v48
	;; [unrolled: 1-line block ×3, first 2 shown]
	;;#ASMSTART
	v_pk_mul_f16 v1, v34, v1;

	;;#ASMEND
	;;#ASMSTART
	v_pk_mul_f16 v2, v33, v2;

	;;#ASMEND
	;; [unrolled: 4-line block ×4, first 2 shown]
	;;#ASMSTART
	v_pk_add_f16 v1, v1, v2;

	;;#ASMEND
	;;#ASMSTART
	v_pk_add_f16 v1, v1, v3;

	;;#ASMEND
	;; [unrolled: 4-line block ×3, first 2 shown]
	v_and_b32_e32 v2, 0xffff, v1
	v_lshrrev_b32_e32 v1, 16, v1
	;;#ASMSTART
	v_cvt_f32_f16 v47, v2;
	;;#ASMEND
	;;#ASMSTART
	v_cvt_f32_f16 v48, v1;
	;;#ASMEND
	global_load_dwordx4 v[1:4], v[7:8], off offset:1024
	s_waitcnt vmcnt(0)
	v_lshrrev_b32_e32 v51, 16, v1
	v_lshrrev_b32_e32 v50, 16, v2
	;; [unrolled: 1-line block ×3, first 2 shown]
	s_and_saveexec_b32 s17, s0
	s_cbranch_execz .LBB62_54
; %bb.53:                               ;   in Loop: Header=BB62_39 Depth=1
	v_cmp_gt_i32_e32 vcc_lo, s30, v10
	v_and_b32_e32 v52, 0xffff0000, v4
	v_cmp_gt_i32_e64 s1, s30, v30
	v_cndmask_b32_e32 v1, 0, v1, vcc_lo
	v_cmp_gt_i32_e32 vcc_lo, s30, v32
	v_cndmask_b32_e64 v2, 0, v2, s1
	v_cmp_gt_i32_e64 s1, s30, v29
	v_cndmask_b32_e32 v51, 0, v51, vcc_lo
	v_cmp_gt_i32_e32 vcc_lo, s30, v31
	v_cndmask_b32_e64 v50, 0, v50, s1
	v_cndmask_b32_sdwa v4, v20, v4, vcc_lo dst_sel:DWORD dst_unused:UNUSED_PAD src0_sel:DWORD src1_sel:WORD_0
	v_cmp_gt_i32_e32 vcc_lo, s30, v28
	v_cndmask_b32_e32 v52, 0, v52, vcc_lo
	v_cmp_gt_i32_e32 vcc_lo, s30, v27
	v_or_b32_e32 v4, v4, v52
	v_cndmask_b32_e32 v3, 0, v3, vcc_lo
	v_cmp_gt_i32_e32 vcc_lo, s30, v26
	v_cndmask_b32_e32 v49, 0, v49, vcc_lo
.LBB62_54:                              ;   in Loop: Header=BB62_39 Depth=1
	s_or_b32 exec_lo, exec_lo, s17
	v_lshlrev_b32_e32 v51, 16, v51
	v_lshlrev_b32_e32 v50, 16, v50
	v_lshlrev_b32_e32 v49, 16, v49
	v_and_or_b32 v1, 0xffff, v1, v51
	v_and_or_b32 v2, 0xffff, v2, v50
	;; [unrolled: 1-line block ×3, first 2 shown]
	;;#ASMSTART
	v_pk_mul_f16 v1, v34, v1;

	;;#ASMEND
	;;#ASMSTART
	v_pk_mul_f16 v2, v33, v2;

	;;#ASMEND
	;; [unrolled: 4-line block ×4, first 2 shown]
	;;#ASMSTART
	v_pk_add_f16 v1, v1, v2;

	;;#ASMEND
	;;#ASMSTART
	v_pk_add_f16 v1, v1, v3;

	;;#ASMEND
	;; [unrolled: 4-line block ×3, first 2 shown]
	v_and_b32_e32 v2, 0xffff, v1
	v_lshrrev_b32_e32 v1, 16, v1
	;;#ASMSTART
	v_cvt_f32_f16 v50, v2;
	;;#ASMEND
	;;#ASMSTART
	v_cvt_f32_f16 v51, v1;
	;;#ASMEND
	global_load_dwordx4 v[1:4], v[7:8], off offset:1536
	s_waitcnt vmcnt(0)
	v_lshrrev_b32_e32 v49, 16, v1
	v_lshrrev_b32_e32 v8, 16, v2
	;; [unrolled: 1-line block ×3, first 2 shown]
	s_and_saveexec_b32 s1, s0
	s_cbranch_execz .LBB62_37
; %bb.55:                               ;   in Loop: Header=BB62_39 Depth=1
	v_cmp_gt_i32_e32 vcc_lo, s30, v10
	v_cmp_gt_i32_e64 s0, s30, v30
	v_cndmask_b32_e32 v1, 0, v1, vcc_lo
	v_cmp_gt_i32_e32 vcc_lo, s30, v32
	v_cndmask_b32_e64 v2, 0, v2, s0
	v_cmp_gt_i32_e64 s0, s30, v29
	v_and_b32_e32 v29, 0xffff0000, v4
	v_cndmask_b32_e32 v49, 0, v49, vcc_lo
	v_cmp_gt_i32_e32 vcc_lo, s30, v31
	v_cndmask_b32_e64 v8, 0, v8, s0
	v_cndmask_b32_sdwa v4, v20, v4, vcc_lo dst_sel:DWORD dst_unused:UNUSED_PAD src0_sel:DWORD src1_sel:WORD_0
	v_cmp_gt_i32_e32 vcc_lo, s30, v28
	v_cndmask_b32_e32 v28, 0, v29, vcc_lo
	v_cmp_gt_i32_e32 vcc_lo, s30, v27
	v_or_b32_e32 v4, v4, v28
	v_cndmask_b32_e32 v3, 0, v3, vcc_lo
	v_cmp_gt_i32_e32 vcc_lo, s30, v26
	v_cndmask_b32_e32 v7, 0, v7, vcc_lo
	s_branch .LBB62_37
.LBB62_56:
	s_or_b32 exec_lo, exec_lo, s13
.LBB62_57:
	s_or_b32 exec_lo, exec_lo, s2
	v_lshl_add_u32 v2, v11, 2, 0x220
	v_and_b32_e32 v3, 0x3c0, v0
	s_mov_b32 s0, exec_lo
	s_barrier
	v_lshl_add_u32 v1, v9, 10, v2
	buffer_gl0_inv
	v_cmpx_eq_u32_e32 64, v3
	s_cbranch_execz .LBB62_59
; %bb.58:
	v_add_nc_u32_e32 v3, 0xfffff800, v1
	v_add_nc_u32_e32 v4, 0xfffff880, v1
	;; [unrolled: 1-line block ×5, first 2 shown]
	ds_write_b32 v3, v19
	ds_write_b32 v4, v18
	;; [unrolled: 1-line block ×3, first 2 shown]
	v_add_nc_u32_e32 v3, 0xfffff980, v1
	v_add_nc_u32_e32 v4, 0xfffffa00, v1
	;; [unrolled: 1-line block ×3, first 2 shown]
	ds_write_b32 v3, v16
	ds_write_b32 v4, v15
	;; [unrolled: 1-line block ×5, first 2 shown]
.LBB62_59:
	s_or_b32 exec_lo, exec_lo, s0
	s_mov_b32 s0, exec_lo
	s_waitcnt lgkmcnt(0)
	s_barrier
	buffer_gl0_inv
	v_cmpx_gt_u32_e32 64, v0
	s_cbranch_execz .LBB62_61
; %bb.60:
	ds_read2_b32 v[3:4], v1 offset1:32
	ds_read2_b32 v[5:6], v1 offset0:64 offset1:96
	ds_read2_b32 v[7:8], v1 offset0:128 offset1:160
	;; [unrolled: 1-line block ×3, first 2 shown]
	s_waitcnt lgkmcnt(3)
	v_add_f32_e32 v19, v19, v3
	v_add_f32_e32 v18, v18, v4
	s_waitcnt lgkmcnt(2)
	v_add_f32_e32 v17, v17, v5
	v_add_f32_e32 v16, v16, v6
	;; [unrolled: 3-line block ×4, first 2 shown]
.LBB62_61:
	s_or_b32 exec_lo, exec_lo, s0
	v_and_b32_e32 v3, 0x3e0, v0
	s_mov_b32 s0, exec_lo
	s_barrier
	buffer_gl0_inv
	v_cmpx_eq_u32_e32 32, v3
	s_cbranch_execz .LBB62_63
; %bb.62:
	ds_write2_b32 v2, v19, v18 offset1:32
	ds_write2_b32 v2, v17, v16 offset0:64 offset1:96
	ds_write2_b32 v2, v15, v14 offset0:128 offset1:160
	;; [unrolled: 1-line block ×3, first 2 shown]
.LBB62_63:
	s_or_b32 exec_lo, exec_lo, s0
	v_cmp_gt_u32_e32 vcc_lo, 32, v0
	s_waitcnt lgkmcnt(0)
	s_barrier
	buffer_gl0_inv
	s_and_saveexec_b32 s0, vcc_lo
	s_cbranch_execz .LBB62_65
; %bb.64:
	ds_read2_b32 v[2:3], v1 offset1:32
	ds_read2_b32 v[4:5], v1 offset0:64 offset1:96
	ds_read2_b32 v[6:7], v1 offset0:128 offset1:160
	;; [unrolled: 1-line block ×3, first 2 shown]
	s_waitcnt lgkmcnt(3)
	v_add_f32_e32 v19, v19, v2
	v_add_f32_e32 v18, v18, v3
	s_waitcnt lgkmcnt(2)
	v_add_f32_e32 v17, v17, v4
	v_add_f32_e32 v16, v16, v5
	s_waitcnt lgkmcnt(1)
	v_add_f32_e32 v15, v15, v6
	v_add_f32_e32 v14, v14, v7
	s_waitcnt lgkmcnt(0)
	v_add_f32_e32 v13, v13, v8
	v_add_f32_e32 v12, v12, v9
.LBB62_65:
	s_or_b32 exec_lo, exec_lo, s0
	s_barrier
	buffer_gl0_inv
	s_and_saveexec_b32 s0, vcc_lo
	s_cbranch_execz .LBB62_67
; %bb.66:
	s_mul_i32 s0, s10, s11
	s_mul_i32 s2, s11, s20
	;; [unrolled: 1-line block ×3, first 2 shown]
	v_lshlrev_b32_e32 v0, 1, v0
	s_lshl_b32 s0, s0, 8
	;;#ASMSTART
	v_cvt_f16_f32 v1, v19;

	;;#ASMEND
	s_ashr_i32 s1, s0, 31
	s_lshl_b64 s[0:1], s[0:1], 1
	s_add_u32 s4, s6, s0
	s_addc_u32 s5, s7, s1
	s_ashr_i32 s3, s2, 31
	s_lshl_b64 s[0:1], s[2:3], 1
	s_add_u32 s2, s4, s0
	s_addc_u32 s3, s5, s1
	s_lshl_b32 s0, s8, 8
	s_ashr_i32 s1, s0, 31
	s_lshl_b64 s[0:1], s[0:1], 1
	s_add_u32 s0, s2, s0
	s_addc_u32 s1, s3, s1
	global_store_short v0, v1, s[0:1]
	;;#ASMSTART
	v_cvt_f16_f32 v1, v18;

	;;#ASMEND
	global_store_short v0, v1, s[0:1] offset:64
	;;#ASMSTART
	v_cvt_f16_f32 v1, v17;

	;;#ASMEND
	global_store_short v0, v1, s[0:1] offset:128
	;;#ASMSTART
	v_cvt_f16_f32 v1, v16;

	;;#ASMEND
	global_store_short v0, v1, s[0:1] offset:192
	;;#ASMSTART
	v_cvt_f16_f32 v1, v15;

	;;#ASMEND
	global_store_short v0, v1, s[0:1] offset:256
	;;#ASMSTART
	v_cvt_f16_f32 v1, v14;

	;;#ASMEND
	global_store_short v0, v1, s[0:1] offset:320
	;;#ASMSTART
	v_cvt_f16_f32 v1, v13;

	;;#ASMEND
	global_store_short v0, v1, s[0:1] offset:384
	;;#ASMSTART
	v_cvt_f16_f32 v1, v12;

	;;#ASMEND
	global_store_short v0, v1, s[0:1] offset:448
.LBB62_67:
	s_endpgm
	.section	.rodata,"a",@progbits
	.p2align	6, 0x0
	.amdhsa_kernel _ZN4vllm25paged_attention_v1_kernelIttLi256ELi8ELi128ELNS_18Fp8KVCacheDataTypeE0ELb1EEEvPT_PKS2_PKT0_S8_ifPKiSA_iPKfiiiSC_SC_iiiii
		.amdhsa_group_segment_fixed_size 544
		.amdhsa_private_segment_fixed_size 0
		.amdhsa_kernarg_size 384
		.amdhsa_user_sgpr_count 6
		.amdhsa_user_sgpr_private_segment_buffer 1
		.amdhsa_user_sgpr_dispatch_ptr 0
		.amdhsa_user_sgpr_queue_ptr 0
		.amdhsa_user_sgpr_kernarg_segment_ptr 1
		.amdhsa_user_sgpr_dispatch_id 0
		.amdhsa_user_sgpr_flat_scratch_init 0
		.amdhsa_user_sgpr_private_segment_size 0
		.amdhsa_wavefront_size32 1
		.amdhsa_uses_dynamic_stack 0
		.amdhsa_system_sgpr_private_segment_wavefront_offset 0
		.amdhsa_system_sgpr_workgroup_id_x 1
		.amdhsa_system_sgpr_workgroup_id_y 1
		.amdhsa_system_sgpr_workgroup_id_z 1
		.amdhsa_system_sgpr_workgroup_info 0
		.amdhsa_system_vgpr_workitem_id 0
		.amdhsa_next_free_vgpr 90
		.amdhsa_next_free_sgpr 38
		.amdhsa_reserve_vcc 1
		.amdhsa_reserve_flat_scratch 0
		.amdhsa_float_round_mode_32 0
		.amdhsa_float_round_mode_16_64 0
		.amdhsa_float_denorm_mode_32 3
		.amdhsa_float_denorm_mode_16_64 3
		.amdhsa_dx10_clamp 1
		.amdhsa_ieee_mode 1
		.amdhsa_fp16_overflow 0
		.amdhsa_workgroup_processor_mode 1
		.amdhsa_memory_ordered 1
		.amdhsa_forward_progress 1
		.amdhsa_shared_vgpr_count 0
		.amdhsa_exception_fp_ieee_invalid_op 0
		.amdhsa_exception_fp_denorm_src 0
		.amdhsa_exception_fp_ieee_div_zero 0
		.amdhsa_exception_fp_ieee_overflow 0
		.amdhsa_exception_fp_ieee_underflow 0
		.amdhsa_exception_fp_ieee_inexact 0
		.amdhsa_exception_int_div_zero 0
	.end_amdhsa_kernel
	.section	.text._ZN4vllm25paged_attention_v1_kernelIttLi256ELi8ELi128ELNS_18Fp8KVCacheDataTypeE0ELb1EEEvPT_PKS2_PKT0_S8_ifPKiSA_iPKfiiiSC_SC_iiiii,"axG",@progbits,_ZN4vllm25paged_attention_v1_kernelIttLi256ELi8ELi128ELNS_18Fp8KVCacheDataTypeE0ELb1EEEvPT_PKS2_PKT0_S8_ifPKiSA_iPKfiiiSC_SC_iiiii,comdat
.Lfunc_end62:
	.size	_ZN4vllm25paged_attention_v1_kernelIttLi256ELi8ELi128ELNS_18Fp8KVCacheDataTypeE0ELb1EEEvPT_PKS2_PKT0_S8_ifPKiSA_iPKfiiiSC_SC_iiiii, .Lfunc_end62-_ZN4vllm25paged_attention_v1_kernelIttLi256ELi8ELi128ELNS_18Fp8KVCacheDataTypeE0ELb1EEEvPT_PKS2_PKT0_S8_ifPKiSA_iPKfiiiSC_SC_iiiii
                                        ; -- End function
	.set _ZN4vllm25paged_attention_v1_kernelIttLi256ELi8ELi128ELNS_18Fp8KVCacheDataTypeE0ELb1EEEvPT_PKS2_PKT0_S8_ifPKiSA_iPKfiiiSC_SC_iiiii.num_vgpr, 90
	.set _ZN4vllm25paged_attention_v1_kernelIttLi256ELi8ELi128ELNS_18Fp8KVCacheDataTypeE0ELb1EEEvPT_PKS2_PKT0_S8_ifPKiSA_iPKfiiiSC_SC_iiiii.num_agpr, 0
	.set _ZN4vllm25paged_attention_v1_kernelIttLi256ELi8ELi128ELNS_18Fp8KVCacheDataTypeE0ELb1EEEvPT_PKS2_PKT0_S8_ifPKiSA_iPKfiiiSC_SC_iiiii.numbered_sgpr, 38
	.set _ZN4vllm25paged_attention_v1_kernelIttLi256ELi8ELi128ELNS_18Fp8KVCacheDataTypeE0ELb1EEEvPT_PKS2_PKT0_S8_ifPKiSA_iPKfiiiSC_SC_iiiii.num_named_barrier, 0
	.set _ZN4vllm25paged_attention_v1_kernelIttLi256ELi8ELi128ELNS_18Fp8KVCacheDataTypeE0ELb1EEEvPT_PKS2_PKT0_S8_ifPKiSA_iPKfiiiSC_SC_iiiii.private_seg_size, 0
	.set _ZN4vllm25paged_attention_v1_kernelIttLi256ELi8ELi128ELNS_18Fp8KVCacheDataTypeE0ELb1EEEvPT_PKS2_PKT0_S8_ifPKiSA_iPKfiiiSC_SC_iiiii.uses_vcc, 1
	.set _ZN4vllm25paged_attention_v1_kernelIttLi256ELi8ELi128ELNS_18Fp8KVCacheDataTypeE0ELb1EEEvPT_PKS2_PKT0_S8_ifPKiSA_iPKfiiiSC_SC_iiiii.uses_flat_scratch, 0
	.set _ZN4vllm25paged_attention_v1_kernelIttLi256ELi8ELi128ELNS_18Fp8KVCacheDataTypeE0ELb1EEEvPT_PKS2_PKT0_S8_ifPKiSA_iPKfiiiSC_SC_iiiii.has_dyn_sized_stack, 0
	.set _ZN4vllm25paged_attention_v1_kernelIttLi256ELi8ELi128ELNS_18Fp8KVCacheDataTypeE0ELb1EEEvPT_PKS2_PKT0_S8_ifPKiSA_iPKfiiiSC_SC_iiiii.has_recursion, 0
	.set _ZN4vllm25paged_attention_v1_kernelIttLi256ELi8ELi128ELNS_18Fp8KVCacheDataTypeE0ELb1EEEvPT_PKS2_PKT0_S8_ifPKiSA_iPKfiiiSC_SC_iiiii.has_indirect_call, 0
	.section	.AMDGPU.csdata,"",@progbits
; Kernel info:
; codeLenInByte = 11276
; TotalNumSgprs: 40
; NumVgprs: 90
; ScratchSize: 0
; MemoryBound: 0
; FloatMode: 240
; IeeeMode: 1
; LDSByteSize: 544 bytes/workgroup (compile time only)
; SGPRBlocks: 0
; VGPRBlocks: 11
; NumSGPRsForWavesPerEU: 40
; NumVGPRsForWavesPerEU: 90
; Occupancy: 10
; WaveLimiterHint : 1
; COMPUTE_PGM_RSRC2:SCRATCH_EN: 0
; COMPUTE_PGM_RSRC2:USER_SGPR: 6
; COMPUTE_PGM_RSRC2:TRAP_HANDLER: 0
; COMPUTE_PGM_RSRC2:TGID_X_EN: 1
; COMPUTE_PGM_RSRC2:TGID_Y_EN: 1
; COMPUTE_PGM_RSRC2:TGID_Z_EN: 1
; COMPUTE_PGM_RSRC2:TIDIG_COMP_CNT: 0
	.section	.text._ZN4vllm25paged_attention_v1_kernelIttLi32ELi8ELi128ELNS_18Fp8KVCacheDataTypeE0ELb0EEEvPT_PKS2_PKT0_S8_ifPKiSA_iPKfiiiSC_SC_iiiii,"axG",@progbits,_ZN4vllm25paged_attention_v1_kernelIttLi32ELi8ELi128ELNS_18Fp8KVCacheDataTypeE0ELb0EEEvPT_PKS2_PKT0_S8_ifPKiSA_iPKfiiiSC_SC_iiiii,comdat
	.protected	_ZN4vllm25paged_attention_v1_kernelIttLi32ELi8ELi128ELNS_18Fp8KVCacheDataTypeE0ELb0EEEvPT_PKS2_PKT0_S8_ifPKiSA_iPKfiiiSC_SC_iiiii ; -- Begin function _ZN4vllm25paged_attention_v1_kernelIttLi32ELi8ELi128ELNS_18Fp8KVCacheDataTypeE0ELb0EEEvPT_PKS2_PKT0_S8_ifPKiSA_iPKfiiiSC_SC_iiiii
	.globl	_ZN4vllm25paged_attention_v1_kernelIttLi32ELi8ELi128ELNS_18Fp8KVCacheDataTypeE0ELb0EEEvPT_PKS2_PKT0_S8_ifPKiSA_iPKfiiiSC_SC_iiiii
	.p2align	8
	.type	_ZN4vllm25paged_attention_v1_kernelIttLi32ELi8ELi128ELNS_18Fp8KVCacheDataTypeE0ELb0EEEvPT_PKS2_PKT0_S8_ifPKiSA_iPKfiiiSC_SC_iiiii,@function
_ZN4vllm25paged_attention_v1_kernelIttLi32ELi8ELi128ELNS_18Fp8KVCacheDataTypeE0ELb0EEEvPT_PKS2_PKT0_S8_ifPKiSA_iPKfiiiSC_SC_iiiii: ; @_ZN4vllm25paged_attention_v1_kernelIttLi32ELi8ELi128ELNS_18Fp8KVCacheDataTypeE0ELb0EEEvPT_PKS2_PKT0_S8_ifPKiSA_iPKfiiiSC_SC_iiiii
; %bb.0:
	s_clause 0x2
	s_load_dword s9, s[4:5], 0x80
	s_load_dwordx2 s[0:1], s[4:5], 0x30
	s_load_dwordx2 s[24:25], s[4:5], 0x20
	s_mov_b32 s10, s7
	s_ashr_i32 s11, s7, 31
	s_lshl_b64 s[2:3], s[10:11], 2
	s_waitcnt lgkmcnt(0)
	s_add_u32 s0, s0, s2
	s_addc_u32 s1, s1, s3
	s_abs_i32 s2, s24
	s_abs_i32 s11, s9
	v_cvt_f32_u32_e32 v1, s2
	s_sub_i32 s7, 0, s2
	v_rcp_iflag_f32_e32 v1, v1
	v_mul_f32_e32 v1, 0x4f7ffffe, v1
	v_cvt_u32_f32_e32 v1, v1
	v_readfirstlane_b32 s3, v1
	s_mul_i32 s7, s7, s3
	s_mul_hi_u32 s7, s3, s7
	s_add_i32 s3, s3, s7
	s_xor_b32 s7, s9, s24
	s_mul_hi_u32 s3, s11, s3
	s_ashr_i32 s7, s7, 31
	s_mul_i32 s12, s3, s2
	s_mov_b32 s24, 0
	s_sub_i32 s11, s11, s12
	s_add_i32 s12, s3, 1
	s_sub_i32 s13, s11, s2
	s_cmp_ge_u32 s11, s2
	s_cselect_b32 s3, s12, s3
	s_cselect_b32 s11, s13, s11
	s_add_i32 s12, s3, 1
	s_cmp_ge_u32 s11, s2
	s_cselect_b32 s2, s12, s3
	s_abs_i32 s17, s6
	s_xor_b32 s2, s2, s7
	s_sub_i32 s18, s2, s7
	s_load_dwordx2 s[2:3], s[4:5], 0x40
	s_abs_i32 s16, s18
	v_cvt_f32_u32_e32 v1, s16
	s_sub_i32 s11, 0, s16
	v_rcp_iflag_f32_e32 v1, v1
	v_mul_f32_e32 v1, 0x4f7ffffe, v1
	v_cvt_u32_f32_e32 v1, v1
	v_readfirstlane_b32 s7, v1
	s_mul_i32 s11, s11, s7
	s_mul_hi_u32 s11, s7, s11
	s_add_i32 s7, s7, s11
	s_waitcnt lgkmcnt(0)
	s_cmp_eq_u64 s[2:3], 0
	s_mul_hi_u32 s20, s17, s7
	s_cbranch_scc1 .LBB63_2
; %bb.1:
	s_ashr_i32 s7, s6, 31
	s_lshl_b64 s[12:13], s[6:7], 2
	s_add_u32 s2, s2, s12
	s_addc_u32 s3, s3, s13
	s_load_dword s24, s[2:3], 0x0
.LBB63_2:
	s_load_dword s11, s[0:1], 0x0
	s_load_dwordx4 s[12:15], s[4:5], 0x48
	v_and_b32_e32 v1, 3, v0
	v_lshlrev_b32_e32 v2, 2, v0
	s_ashr_i32 s0, s6, 31
	s_ashr_i32 s1, s18, 31
	s_lshl_b32 s6, s6, 5
	s_mov_b32 s2, exec_lo
	v_cmpx_gt_u32_e32 16, v0
	s_cbranch_execz .LBB63_4
; %bb.3:
	s_load_dwordx2 s[18:19], s[4:5], 0x8
	s_waitcnt lgkmcnt(0)
	s_mul_i32 s22, s12, s10
	v_and_b32_e32 v4, 0x3fc, v0
	s_ashr_i32 s23, s22, 31
	s_lshl_b64 s[22:23], s[22:23], 1
	v_lshl_add_u32 v4, v1, 4, v4
	s_add_u32 s3, s18, s22
	s_addc_u32 s12, s19, s23
	s_ashr_i32 s7, s6, 31
	s_lshl_b64 s[18:19], s[6:7], 1
	s_add_u32 s18, s3, s18
	s_addc_u32 s19, s12, s19
	global_load_dword v3, v2, s[18:19]
	s_waitcnt vmcnt(0)
	ds_write_b32 v4, v3
.LBB63_4:
	s_or_b32 exec_lo, exec_lo, s2
	s_waitcnt lgkmcnt(0)
	s_add_i32 s2, s11, 7
	s_clause 0x1
	s_load_dwordx2 s[18:19], s[4:5], 0x28
	s_load_dword s7, s[4:5], 0x38
	s_ashr_i32 s3, s2, 31
	s_xor_b32 s0, s0, s1
	s_lshr_b32 s3, s3, 29
	s_mul_i32 s1, s20, s16
	s_add_i32 s2, s2, s3
	s_sub_i32 s1, s17, s1
	s_ashr_i32 s12, s2, 3
	s_add_i32 s2, s20, 1
	s_sub_i32 s3, s1, s16
	s_cmp_ge_u32 s1, s16
	v_lshrrev_b32_e32 v7, 5, v0
	s_cselect_b32 s2, s2, s20
	s_cselect_b32 s1, s3, s1
	s_add_i32 s3, s2, 1
	s_cmp_ge_u32 s1, s16
	v_mbcnt_lo_u32_b32 v4, -1, 0
	s_cselect_b32 s1, s3, s2
	s_mov_b32 s2, exec_lo
	s_xor_b32 s1, s1, s0
	s_waitcnt lgkmcnt(0)
	s_mul_i32 s20, s7, s10
	s_sub_i32 s1, s1, s0
	v_cmp_gt_i32_e64 s0, s12, v7
	s_ashr_i32 s21, s20, 31
	s_barrier
	buffer_gl0_inv
                                        ; implicit-def: $vgpr5
                                        ; implicit-def: $vgpr6
	v_cmpx_le_i32_e64 s12, v7
	s_xor_b32 s2, exec_lo, s2
; %bb.5:
	v_mov_b32_e32 v5, 0
	v_mbcnt_lo_u32_b32 v4, -1, 0
	v_mov_b32_e32 v6, 32
                                        ; implicit-def: $vgpr2
                                        ; implicit-def: $vgpr1
; %bb.6:
	s_or_saveexec_b32 s26, s2
	s_clause 0x2
	s_load_dwordx2 s[16:17], s[4:5], 0x0
	s_load_dwordx2 s[22:23], s[4:5], 0x18
	s_load_dword s7, s[4:5], 0x88
	v_mov_b32_e32 v8, 0xff7fffff
	v_lshrrev_b32_e32 v3, 3, v0
	s_mul_i32 s14, s1, s14
	s_xor_b32 exec_lo, exec_lo, s26
	s_cbranch_execz .LBB63_12
; %bb.7:
	s_load_dwordx2 s[2:3], s[4:5], 0x10
	v_bfe_u32 v6, v0, 2, 3
	s_ashr_i32 s15, s14, 31
	v_lshlrev_b32_e32 v9, 4, v1
	v_cmp_eq_u32_e32 vcc_lo, 0, v1
	s_lshl_b64 s[4:5], s[14:15], 1
	v_lshlrev_b32_e32 v8, 2, v6
	v_lshlrev_b32_e32 v12, 4, v6
	v_and_b32_e32 v2, 12, v2
	v_lshl_or_b32 v10, v7, 3, v6
	v_mov_b32_e32 v5, 0
	v_lshl_or_b32 v1, v7, 5, v8
	v_and_b32_e32 v8, 0x7c, v3
	v_cmp_neq_f32_e64 s1, s24, 0
	v_xor_b32_e32 v14, 2, v4
	v_xor_b32_e32 v15, 1, v4
	v_add_nc_u32_e32 v11, 0x60, v1
	v_mov_b32_e32 v16, v7
	s_waitcnt lgkmcnt(0)
	s_add_u32 s15, s2, s4
	s_addc_u32 s5, s3, s5
	v_add_co_u32 v1, s15, s15, v12
	v_add_co_ci_u32_e64 v6, null, s5, 0, s15
	s_lshl_b64 s[2:3], s[20:21], 2
	s_sub_i32 s4, 1, s11
	s_add_u32 s5, s18, s2
	v_add_co_u32 v12, s2, v1, v2
	s_addc_u32 s3, s19, s3
	v_add_co_ci_u32_e64 v13, null, 0, v6, s2
	v_add_co_u32 v1, s2, s5, v8
	v_add_co_ci_u32_e64 v2, null, s3, 0, s2
	v_mov_b32_e32 v8, 0xff7fffff
	v_mov_b32_e32 v6, 32
	s_mov_b32 s15, s13
	s_mov_b32 s5, 0
	s_branch .LBB63_9
.LBB63_8:                               ;   in Loop: Header=BB63_9 Depth=1
	s_or_b32 exec_lo, exec_lo, s3
	v_add_nc_u32_e32 v16, 4, v16
	v_add_co_u32 v1, s3, v1, 16
	v_add_nc_u32_e32 v10, 32, v10
	v_add_nc_u32_e32 v11, 0x80, v11
	v_cmp_le_i32_e64 s2, s12, v16
	v_add_co_ci_u32_e64 v2, null, 0, v2, s3
	s_or_b32 s5, s2, s5
	s_andn2_b32 exec_lo, exec_lo, s5
	s_cbranch_execz .LBB63_11
.LBB63_9:                               ; =>This Inner Loop Header: Depth=1
	global_load_dword v17, v[1:2], off
	s_waitcnt vmcnt(0) lgkmcnt(0)
	v_mad_i64_i32 v[17:18], null, v17, s15, 0
	v_lshlrev_b64 v[17:18], 1, v[17:18]
	v_add_co_u32 v17, s2, v12, v17
	v_add_co_ci_u32_e64 v18, null, v13, v18, s2
	v_cmp_gt_i32_e64 s2, 32, v14
	s_clause 0x3
	global_load_dword v19, v[17:18], off
	global_load_dword v20, v[17:18], off offset:128
	global_load_dword v21, v[17:18], off offset:256
	;; [unrolled: 1-line block ×3, first 2 shown]
	ds_read_b32 v18, v9
	s_waitcnt lgkmcnt(0)
	v_and_b32_e32 v22, 0xffff, v18
	v_lshrrev_b32_e32 v23, 16, v18
	;;#ASMSTART
	v_cvt_f32_f16 v18, v22;
	;;#ASMEND
	s_waitcnt vmcnt(3)
	v_and_b32_e32 v24, 0xffff, v19
	v_lshrrev_b32_e32 v25, 16, v19
	;;#ASMSTART
	v_cvt_f32_f16 v19, v23;
	;;#ASMEND
	;;#ASMSTART
	v_cvt_f32_f16 v22, v24;
	;;#ASMEND
	;; [unrolled: 3-line block ×3, first 2 shown]
	ds_read_b32 v24, v9 offset:4
	s_waitcnt vmcnt(2)
	v_and_b32_e32 v26, 0xffff, v20
	v_lshrrev_b32_e32 v27, 16, v20
	s_waitcnt vmcnt(1)
	v_and_b32_e32 v29, 0xffff, v21
	v_lshrrev_b32_e32 v30, 16, v21
	s_waitcnt lgkmcnt(0)
	v_and_b32_e32 v25, 0xffff, v24
	v_lshrrev_b32_e32 v24, 16, v24
	;;#ASMSTART
	v_cvt_f32_f16 v20, v25;
	;;#ASMEND
	;;#ASMSTART
	v_cvt_f32_f16 v24, v24;
	;;#ASMEND
	;; [unrolled: 3-line block ×4, first 2 shown]
	ds_read_b32 v27, v9 offset:8
	v_mul_f32_e32 v20, v20, v25
	v_mul_f32_e32 v24, v24, v26
	v_cndmask_b32_e64 v25, v4, v14, s2
	s_waitcnt vmcnt(0)
	v_lshrrev_b32_e32 v26, 16, v17
	v_cmp_gt_i32_e64 s2, 32, v15
	v_fmac_f32_e32 v20, v18, v22
	v_fmac_f32_e32 v24, v19, v23
	v_and_b32_e32 v22, 0xffff, v17
	s_waitcnt lgkmcnt(0)
	v_and_b32_e32 v28, 0xffff, v27
	v_lshrrev_b32_e32 v27, 16, v27
	;;#ASMSTART
	v_cvt_f32_f16 v21, v28;
	;;#ASMEND
	;;#ASMSTART
	v_cvt_f32_f16 v27, v27;
	;;#ASMEND
	;; [unrolled: 3-line block ×4, first 2 shown]
	ds_read_b32 v30, v9 offset:12
	v_fmac_f32_e32 v20, v21, v28
	v_fmac_f32_e32 v24, v27, v29
	s_waitcnt lgkmcnt(0)
	v_and_b32_e32 v18, 0xffff, v30
	v_lshrrev_b32_e32 v19, 16, v30
	;;#ASMSTART
	v_cvt_f32_f16 v17, v18;
	;;#ASMEND
	;;#ASMSTART
	v_cvt_f32_f16 v18, v19;
	;;#ASMEND
	;; [unrolled: 3-line block ×4, first 2 shown]
	v_fmac_f32_e32 v20, v17, v19
	v_fmac_f32_e32 v24, v18, v21
	v_lshlrev_b32_e32 v17, 2, v25
	v_cndmask_b32_e64 v19, v4, v15, s2
	v_add_f32_e32 v18, v20, v24
	ds_bpermute_b32 v17, v17, v18
	s_waitcnt lgkmcnt(0)
	v_add_f32_e32 v17, v18, v17
	v_lshlrev_b32_e32 v18, 2, v19
	ds_bpermute_b32 v18, v18, v17
	s_and_saveexec_b32 s3, vcc_lo
	s_cbranch_execz .LBB63_8
; %bb.10:                               ;   in Loop: Header=BB63_9 Depth=1
	v_add_nc_u32_e32 v19, s4, v10
	s_waitcnt lgkmcnt(0)
	v_add_f32_e32 v17, v17, v18
	v_cmp_gt_i32_e64 s2, s11, v10
	v_cvt_f32_i32_e32 v19, v19
	v_mul_f32_e32 v19, s24, v19
	v_cndmask_b32_e64 v18, 0, v19, s1
	v_max_f32_e32 v19, v8, v8
	v_fmac_f32_e32 v18, s25, v17
	v_max_f32_e32 v17, v19, v18
	v_cndmask_b32_e64 v18, 0, v18, s2
	v_cndmask_b32_e64 v8, v8, v17, s2
	ds_write_b32 v11, v18
	s_branch .LBB63_8
.LBB63_11:
	s_or_b32 exec_lo, exec_lo, s5
.LBB63_12:
	s_or_b32 exec_lo, exec_lo, s26
	v_xor_b32_e32 v1, 16, v4
	v_xor_b32_e32 v9, 8, v4
	;; [unrolled: 1-line block ×3, first 2 shown]
	v_cmp_lt_i32_e32 vcc_lo, v1, v6
	v_cndmask_b32_e32 v1, v4, v1, vcc_lo
	v_cmp_lt_i32_e32 vcc_lo, v9, v6
	v_lshlrev_b32_e32 v2, 2, v1
	v_cndmask_b32_e32 v9, v4, v9, vcc_lo
	v_cmp_lt_i32_e32 vcc_lo, v10, v6
	ds_bpermute_b32 v1, v2, v8
	v_max_f32_e32 v8, v8, v8
	v_lshlrev_b32_e32 v9, 2, v9
	v_cndmask_b32_e32 v10, v4, v10, vcc_lo
	v_lshlrev_b32_e32 v12, 2, v10
	v_lshlrev_b32_e32 v10, 2, v7
	s_waitcnt lgkmcnt(0)
	v_max_f32_e32 v1, v1, v1
	v_max_f32_e32 v1, v8, v1
	ds_bpermute_b32 v8, v9, v1
	s_waitcnt lgkmcnt(0)
	v_max_f32_e32 v8, v8, v8
	v_max_f32_e32 v1, v1, v8
	v_and_b32_e32 v8, 31, v0
	ds_bpermute_b32 v11, v12, v1
	v_cmp_eq_u32_e32 vcc_lo, 0, v8
	s_and_saveexec_b32 s1, vcc_lo
	s_cbranch_execz .LBB63_14
; %bb.13:
	s_waitcnt lgkmcnt(0)
	v_max_f32_e32 v11, v11, v11
	v_max_f32_e32 v1, v1, v1
	;; [unrolled: 1-line block ×3, first 2 shown]
	ds_write_b32 v10, v1 offset:64
.LBB63_14:
	s_or_b32 exec_lo, exec_lo, s1
	v_cmp_gt_u32_e64 s1, 4, v8
	v_mov_b32_e32 v1, 0xff7fffff
	s_waitcnt lgkmcnt(0)
	v_lshlrev_b32_e32 v11, 2, v8
	s_barrier
	buffer_gl0_inv
	s_and_saveexec_b32 s2, s1
; %bb.15:
	ds_read_b32 v1, v11 offset:64
; %bb.16:
	s_or_b32 exec_lo, exec_lo, s2
	v_xor_b32_e32 v13, 2, v4
	v_xor_b32_e32 v15, 1, v4
	v_lshlrev_b32_e32 v5, 2, v5
	v_cmp_lt_i32_e64 s2, v13, v6
	v_cndmask_b32_e64 v13, v4, v13, s2
	v_cmp_lt_i32_e64 s2, v15, v6
	v_lshlrev_b32_e32 v13, 2, v13
	v_cndmask_b32_e64 v6, v4, v15, s2
	s_lshl_b32 s2, s12, 3
	s_min_i32 s4, s2, s11
	s_waitcnt lgkmcnt(0)
	ds_bpermute_b32 v14, v13, v1
	v_max_f32_e32 v1, v1, v1
	v_lshlrev_b32_e32 v6, 2, v6
	v_cmp_gt_i32_e64 s2, s4, v0
	s_waitcnt lgkmcnt(0)
	v_max_f32_e32 v14, v14, v14
	v_max_f32_e32 v1, v1, v14
	ds_bpermute_b32 v14, v6, v1
	s_waitcnt lgkmcnt(0)
	v_max_f32_e32 v14, v14, v14
	v_max_f32_e32 v1, v1, v14
	ds_bpermute_b32 v14, v5, v1
	v_mov_b32_e32 v5, 0
	v_lshl_add_u32 v1, v0, 2, 0x60
	s_and_saveexec_b32 s5, s2
	s_cbranch_execz .LBB63_20
; %bb.17:
	v_lshl_add_u32 v15, v0, 2, 0x60
	v_mov_b32_e32 v5, 0
	v_mov_b32_e32 v16, v0
	s_mov_b32 s15, 0
	.p2align	6
.LBB63_18:                              ; =>This Inner Loop Header: Depth=1
	ds_read_b32 v17, v15
	v_add_nc_u32_e32 v16, 0x80, v16
	v_cmp_le_i32_e64 s3, s4, v16
	s_or_b32 s15, s3, s15
	s_waitcnt lgkmcnt(0)
	v_sub_f32_e32 v17, v17, v14
	v_mul_f32_e32 v17, 0x3fb8aa3b, v17
	v_exp_f32_e32 v17, v17
	ds_write_b32 v15, v17
	v_add_f32_e32 v5, v5, v17
	v_add_nc_u32_e32 v15, 0x200, v15
	s_andn2_b32 exec_lo, exec_lo, s15
	s_cbranch_execnz .LBB63_18
; %bb.19:
	s_or_b32 exec_lo, exec_lo, s15
.LBB63_20:
	s_or_b32 exec_lo, exec_lo, s5
	ds_bpermute_b32 v2, v2, v5
	s_waitcnt lgkmcnt(0)
	v_add_f32_e32 v2, v5, v2
	ds_bpermute_b32 v5, v9, v2
	s_waitcnt lgkmcnt(0)
	v_add_f32_e32 v2, v2, v5
	;; [unrolled: 3-line block ×5, first 2 shown]
	s_and_saveexec_b32 s3, vcc_lo
; %bb.21:
	ds_write_b32 v10, v2 offset:80
; %bb.22:
	s_or_b32 exec_lo, exec_lo, s3
	s_waitcnt lgkmcnt(0)
	s_barrier
	buffer_gl0_inv
	s_and_saveexec_b32 s3, s1
; %bb.23:
	ds_read_b32 v2, v11 offset:80
; %bb.24:
	s_or_b32 exec_lo, exec_lo, s3
	s_waitcnt lgkmcnt(0)
	ds_bpermute_b32 v5, v13, v2
	v_lshlrev_b32_e32 v4, 2, v4
	v_and_b32_e32 v4, 0xffffff80, v4
	s_waitcnt lgkmcnt(0)
	v_add_f32_e32 v2, v2, v5
	ds_bpermute_b32 v5, v6, v2
	s_waitcnt lgkmcnt(0)
	v_add_f32_e32 v2, v2, v5
	ds_bpermute_b32 v2, v4, v2
	s_and_saveexec_b32 s1, s2
	s_cbranch_execz .LBB63_27
; %bb.25:
	s_waitcnt lgkmcnt(0)
	v_add_f32_e32 v2, 0x358637bd, v2
	s_mov_b32 s2, 0
	v_div_scale_f32 v4, null, v2, v2, 1.0
	v_div_scale_f32 v9, vcc_lo, 1.0, v2, 1.0
	v_rcp_f32_e32 v5, v4
	v_fma_f32 v6, -v4, v5, 1.0
	v_fmac_f32_e32 v5, v6, v5
	v_mul_f32_e32 v6, v9, v5
	v_fma_f32 v10, -v4, v6, v9
	v_fmac_f32_e32 v6, v10, v5
	v_fma_f32 v4, -v4, v6, v9
	v_div_fmas_f32 v4, v4, v5, v6
	v_div_fixup_f32 v2, v4, v2, 1.0
	v_mov_b32_e32 v4, v0
.LBB63_26:                              ; =>This Inner Loop Header: Depth=1
	ds_read_b32 v5, v1
	v_add_nc_u32_e32 v4, 0x80, v4
	v_cmp_le_i32_e32 vcc_lo, s4, v4
	s_or_b32 s2, vcc_lo, s2
	s_waitcnt lgkmcnt(0)
	v_mul_f32_e32 v5, v2, v5
	ds_write_b32 v1, v5
	v_add_nc_u32_e32 v1, 0x200, v1
	s_andn2_b32 exec_lo, exec_lo, s2
	s_cbranch_execnz .LBB63_26
.LBB63_27:
	s_or_b32 exec_lo, exec_lo, s1
	v_mov_b32_e32 v9, 0
	s_waitcnt lgkmcnt(0)
	s_barrier
	buffer_gl0_inv
	s_and_saveexec_b32 s1, s0
	s_cbranch_execz .LBB63_33
; %bb.28:
	s_ashr_i32 s15, s14, 31
	v_lshlrev_b32_e32 v1, 4, v8
	s_lshl_b64 s[2:3], s[14:15], 1
	v_mov_b32_e32 v10, 0
	s_add_u32 s0, s22, s2
	s_addc_u32 s2, s23, s3
	v_add_co_u32 v11, s0, s0, v1
	v_and_b32_e32 v1, 0x7c, v3
	s_lshl_b64 s[4:5], s[20:21], 2
	v_add_co_ci_u32_e64 v12, null, s2, 0, s0
	s_add_i32 s2, s12, -1
	s_add_u32 s0, s18, s4
	s_addc_u32 s3, s19, s5
	v_add_co_u32 v5, s0, s0, v1
	v_lshl_or_b32 v13, v7, 3, 7
	v_lshl_add_u32 v14, v7, 5, 0x60
	v_add_co_ci_u32_e64 v6, null, s3, 0, s0
	v_mov_b32_e32 v15, v7
	v_mov_b32_e32 v9, 0
	s_mov_b32 s4, s13
	s_mov_b32 s3, 0
	s_branch .LBB63_30
.LBB63_29:                              ;   in Loop: Header=BB63_30 Depth=1
	s_or_b32 exec_lo, exec_lo, s5
	v_and_b32_e32 v21, 0xffff, v21
	v_and_b32_e32 v22, 0xffff, v22
	v_lshlrev_b32_e32 v26, 16, v26
	v_and_b32_e32 v23, 0xffff, v23
	v_and_b32_e32 v20, 0xffff, v20
	v_lshl_or_b32 v18, v18, 16, v21
	v_lshl_or_b32 v19, v19, 16, v22
	v_lshlrev_b32_e32 v21, 16, v25
	v_lshlrev_b32_e32 v22, 16, v24
	v_and_or_b32 v1, 0xffff, v1, v26
	;;#ASMSTART
	v_pk_mul_f16 v1, v18, v1;

	;;#ASMEND
	v_lshl_or_b32 v17, v17, 16, v23
	v_and_or_b32 v2, 0xffff, v2, v21
	v_and_or_b32 v3, 0xffff, v3, v22
	v_lshl_or_b32 v16, v16, 16, v20
	;;#ASMSTART
	v_pk_mul_f16 v2, v19, v2;

	;;#ASMEND
	;;#ASMSTART
	v_pk_mul_f16 v3, v17, v3;

	;;#ASMEND
	;; [unrolled: 4-line block ×3, first 2 shown]
	;;#ASMSTART
	v_pk_add_f16 v1, v1, v2;

	;;#ASMEND
	;;#ASMSTART
	v_pk_add_f16 v1, v1, v3;

	;;#ASMEND
	;; [unrolled: 4-line block ×3, first 2 shown]
	v_add_nc_u32_e32 v15, 4, v15
	v_and_b32_e32 v2, 0xffff, v1
	v_lshrrev_b32_e32 v3, 16, v1
	;;#ASMSTART
	v_cvt_f32_f16 v1, v2;
	;;#ASMEND
	;;#ASMSTART
	v_cvt_f32_f16 v2, v3;
	;;#ASMEND
	v_add_f32_e32 v1, v1, v2
	v_cmp_le_i32_e32 vcc_lo, s12, v15
	v_add_co_u32 v5, s0, v5, 16
	v_add_nc_u32_e32 v13, 32, v13
	v_add_f32_e32 v9, v9, v1
	v_add_nc_u32_e32 v14, 0x80, v14
	v_add_co_ci_u32_e64 v6, null, 0, v6, s0
	s_or_b32 s3, vcc_lo, s3
	s_andn2_b32 exec_lo, exec_lo, s3
	s_cbranch_execz .LBB63_32
.LBB63_30:                              ; =>This Inner Loop Header: Depth=1
	global_load_dword v16, v[5:6], off
	ds_read2_b64 v[1:4], v14 offset1:1
	ds_read2_b64 v[23:26], v14 offset0:2 offset1:3
	s_mov_b32 s5, exec_lo
	s_waitcnt lgkmcnt(1)
	;;#ASMSTART
	v_cvt_f16_f32 v21, v1;

	;;#ASMEND
	;;#ASMSTART
	v_cvt_f16_f32 v18, v2;

	;;#ASMEND
	;; [unrolled: 4-line block ×4, first 2 shown]
	s_waitcnt lgkmcnt(0)
	;;#ASMSTART
	v_cvt_f16_f32 v23, v23;

	;;#ASMEND
	s_waitcnt vmcnt(0)
	v_mad_i64_i32 v[16:17], null, v16, s4, 0
	v_lshlrev_b64 v[16:17], 1, v[16:17]
	v_add_co_u32 v1, vcc_lo, v11, v16
	v_add_co_ci_u32_e64 v2, null, v12, v17, vcc_lo
	;;#ASMSTART
	v_cvt_f16_f32 v17, v24;

	;;#ASMEND
	;;#ASMSTART
	v_cvt_f16_f32 v20, v25;

	;;#ASMEND
	;; [unrolled: 4-line block ×3, first 2 shown]
	global_load_dwordx4 v[1:4], v[1:2], off
	s_waitcnt vmcnt(0)
	v_lshrrev_b32_e32 v26, 16, v1
	v_lshrrev_b32_e32 v25, 16, v2
	;; [unrolled: 1-line block ×3, first 2 shown]
	v_cmpx_eq_u32_e64 s2, v15
	s_cbranch_execz .LBB63_29
; %bb.31:                               ;   in Loop: Header=BB63_30 Depth=1
	v_add_nc_u32_e32 v27, -7, v13
	v_add_nc_u32_e32 v28, -6, v13
	;; [unrolled: 1-line block ×4, first 2 shown]
	v_cmp_gt_i32_e32 vcc_lo, s11, v27
	v_add_nc_u32_e32 v27, -1, v13
	v_cmp_gt_i32_e64 s0, s11, v30
	v_cndmask_b32_e32 v1, 0, v1, vcc_lo
	v_cmp_gt_i32_e32 vcc_lo, s11, v28
	v_add_nc_u32_e32 v28, -2, v13
	v_cndmask_b32_e64 v25, 0, v25, s0
	v_cndmask_b32_e32 v26, 0, v26, vcc_lo
	v_cmp_gt_i32_e32 vcc_lo, s11, v29
	v_and_b32_e32 v29, 0xffff0000, v4
	v_cndmask_b32_e32 v2, 0, v2, vcc_lo
	v_cmp_gt_i32_e32 vcc_lo, s11, v27
	v_add_nc_u32_e32 v27, -3, v13
	v_cndmask_b32_sdwa v4, v10, v4, vcc_lo dst_sel:DWORD dst_unused:UNUSED_PAD src0_sel:DWORD src1_sel:WORD_0
	v_cmp_gt_i32_e32 vcc_lo, s11, v13
	v_cndmask_b32_e32 v29, 0, v29, vcc_lo
	v_cmp_gt_i32_e32 vcc_lo, s11, v27
	v_or_b32_e32 v4, v4, v29
	v_cndmask_b32_e32 v3, 0, v3, vcc_lo
	v_cmp_gt_i32_e32 vcc_lo, s11, v28
	v_cndmask_b32_e32 v24, 0, v24, vcc_lo
	s_branch .LBB63_29
.LBB63_32:
	s_or_b32 exec_lo, exec_lo, s3
.LBB63_33:
	s_or_b32 exec_lo, exec_lo, s1
	v_and_b32_e32 v2, 0x3c0, v0
	v_lshl_add_u32 v1, v8, 2, 0x60
	s_mov_b32 s0, exec_lo
	s_barrier
	buffer_gl0_inv
	v_cmpx_eq_u32_e32 64, v2
; %bb.34:
	v_lshlrev_b32_e32 v2, 7, v7
	v_add3_u32 v2, v1, v2, 0xffffff00
	ds_write_b32 v2, v9
; %bb.35:
	s_or_b32 exec_lo, exec_lo, s0
	v_and_b32_e32 v3, 0x3e0, v0
	s_mov_b32 s0, exec_lo
	s_waitcnt lgkmcnt(0)
	s_barrier
	buffer_gl0_inv
	v_lshl_add_u32 v2, v3, 2, v1
	v_cmpx_gt_u32_e32 64, v0
	s_cbranch_execz .LBB63_37
; %bb.36:
	ds_read_b32 v4, v2
	s_waitcnt lgkmcnt(0)
	v_add_f32_e32 v9, v9, v4
.LBB63_37:
	s_or_b32 exec_lo, exec_lo, s0
	s_mov_b32 s0, exec_lo
	s_barrier
	buffer_gl0_inv
	v_cmpx_eq_u32_e32 32, v3
; %bb.38:
	ds_write_b32 v1, v9
; %bb.39:
	s_or_b32 exec_lo, exec_lo, s0
	v_cmp_gt_u32_e32 vcc_lo, 32, v0
	s_waitcnt lgkmcnt(0)
	s_barrier
	buffer_gl0_inv
	s_and_saveexec_b32 s0, vcc_lo
	s_cbranch_execz .LBB63_41
; %bb.40:
	ds_read_b32 v0, v2
	s_waitcnt lgkmcnt(0)
	v_add_f32_e32 v9, v9, v0
.LBB63_41:
	s_or_b32 exec_lo, exec_lo, s0
	s_barrier
	buffer_gl0_inv
	s_and_saveexec_b32 s0, vcc_lo
	s_cbranch_execz .LBB63_43
; %bb.42:
	s_mul_i32 s0, s10, s7
	s_mul_i32 s2, s7, s6
	;; [unrolled: 1-line block ×3, first 2 shown]
	v_lshlrev_b32_e32 v0, 1, v8
	s_lshl_b32 s0, s0, 5
	;;#ASMSTART
	v_cvt_f16_f32 v1, v9;

	;;#ASMEND
	s_ashr_i32 s1, s0, 31
	s_lshl_b64 s[0:1], s[0:1], 1
	s_add_u32 s4, s16, s0
	s_addc_u32 s5, s17, s1
	s_ashr_i32 s3, s2, 31
	s_lshl_b64 s[0:1], s[2:3], 1
	s_add_u32 s2, s4, s0
	s_addc_u32 s3, s5, s1
	s_lshl_b32 s0, s8, 5
	s_ashr_i32 s1, s0, 31
	s_lshl_b64 s[0:1], s[0:1], 1
	s_add_u32 s0, s2, s0
	s_addc_u32 s1, s3, s1
	global_store_short v0, v1, s[0:1]
.LBB63_43:
	s_endpgm
	.section	.rodata,"a",@progbits
	.p2align	6, 0x0
	.amdhsa_kernel _ZN4vllm25paged_attention_v1_kernelIttLi32ELi8ELi128ELNS_18Fp8KVCacheDataTypeE0ELb0EEEvPT_PKS2_PKT0_S8_ifPKiSA_iPKfiiiSC_SC_iiiii
		.amdhsa_group_segment_fixed_size 96
		.amdhsa_private_segment_fixed_size 0
		.amdhsa_kernarg_size 384
		.amdhsa_user_sgpr_count 6
		.amdhsa_user_sgpr_private_segment_buffer 1
		.amdhsa_user_sgpr_dispatch_ptr 0
		.amdhsa_user_sgpr_queue_ptr 0
		.amdhsa_user_sgpr_kernarg_segment_ptr 1
		.amdhsa_user_sgpr_dispatch_id 0
		.amdhsa_user_sgpr_flat_scratch_init 0
		.amdhsa_user_sgpr_private_segment_size 0
		.amdhsa_wavefront_size32 1
		.amdhsa_uses_dynamic_stack 0
		.amdhsa_system_sgpr_private_segment_wavefront_offset 0
		.amdhsa_system_sgpr_workgroup_id_x 1
		.amdhsa_system_sgpr_workgroup_id_y 1
		.amdhsa_system_sgpr_workgroup_id_z 1
		.amdhsa_system_sgpr_workgroup_info 0
		.amdhsa_system_vgpr_workitem_id 0
		.amdhsa_next_free_vgpr 31
		.amdhsa_next_free_sgpr 27
		.amdhsa_reserve_vcc 1
		.amdhsa_reserve_flat_scratch 0
		.amdhsa_float_round_mode_32 0
		.amdhsa_float_round_mode_16_64 0
		.amdhsa_float_denorm_mode_32 3
		.amdhsa_float_denorm_mode_16_64 3
		.amdhsa_dx10_clamp 1
		.amdhsa_ieee_mode 1
		.amdhsa_fp16_overflow 0
		.amdhsa_workgroup_processor_mode 1
		.amdhsa_memory_ordered 1
		.amdhsa_forward_progress 1
		.amdhsa_shared_vgpr_count 0
		.amdhsa_exception_fp_ieee_invalid_op 0
		.amdhsa_exception_fp_denorm_src 0
		.amdhsa_exception_fp_ieee_div_zero 0
		.amdhsa_exception_fp_ieee_overflow 0
		.amdhsa_exception_fp_ieee_underflow 0
		.amdhsa_exception_fp_ieee_inexact 0
		.amdhsa_exception_int_div_zero 0
	.end_amdhsa_kernel
	.section	.text._ZN4vllm25paged_attention_v1_kernelIttLi32ELi8ELi128ELNS_18Fp8KVCacheDataTypeE0ELb0EEEvPT_PKS2_PKT0_S8_ifPKiSA_iPKfiiiSC_SC_iiiii,"axG",@progbits,_ZN4vllm25paged_attention_v1_kernelIttLi32ELi8ELi128ELNS_18Fp8KVCacheDataTypeE0ELb0EEEvPT_PKS2_PKT0_S8_ifPKiSA_iPKfiiiSC_SC_iiiii,comdat
.Lfunc_end63:
	.size	_ZN4vllm25paged_attention_v1_kernelIttLi32ELi8ELi128ELNS_18Fp8KVCacheDataTypeE0ELb0EEEvPT_PKS2_PKT0_S8_ifPKiSA_iPKfiiiSC_SC_iiiii, .Lfunc_end63-_ZN4vllm25paged_attention_v1_kernelIttLi32ELi8ELi128ELNS_18Fp8KVCacheDataTypeE0ELb0EEEvPT_PKS2_PKT0_S8_ifPKiSA_iPKfiiiSC_SC_iiiii
                                        ; -- End function
	.set _ZN4vllm25paged_attention_v1_kernelIttLi32ELi8ELi128ELNS_18Fp8KVCacheDataTypeE0ELb0EEEvPT_PKS2_PKT0_S8_ifPKiSA_iPKfiiiSC_SC_iiiii.num_vgpr, 31
	.set _ZN4vllm25paged_attention_v1_kernelIttLi32ELi8ELi128ELNS_18Fp8KVCacheDataTypeE0ELb0EEEvPT_PKS2_PKT0_S8_ifPKiSA_iPKfiiiSC_SC_iiiii.num_agpr, 0
	.set _ZN4vllm25paged_attention_v1_kernelIttLi32ELi8ELi128ELNS_18Fp8KVCacheDataTypeE0ELb0EEEvPT_PKS2_PKT0_S8_ifPKiSA_iPKfiiiSC_SC_iiiii.numbered_sgpr, 27
	.set _ZN4vllm25paged_attention_v1_kernelIttLi32ELi8ELi128ELNS_18Fp8KVCacheDataTypeE0ELb0EEEvPT_PKS2_PKT0_S8_ifPKiSA_iPKfiiiSC_SC_iiiii.num_named_barrier, 0
	.set _ZN4vllm25paged_attention_v1_kernelIttLi32ELi8ELi128ELNS_18Fp8KVCacheDataTypeE0ELb0EEEvPT_PKS2_PKT0_S8_ifPKiSA_iPKfiiiSC_SC_iiiii.private_seg_size, 0
	.set _ZN4vllm25paged_attention_v1_kernelIttLi32ELi8ELi128ELNS_18Fp8KVCacheDataTypeE0ELb0EEEvPT_PKS2_PKT0_S8_ifPKiSA_iPKfiiiSC_SC_iiiii.uses_vcc, 1
	.set _ZN4vllm25paged_attention_v1_kernelIttLi32ELi8ELi128ELNS_18Fp8KVCacheDataTypeE0ELb0EEEvPT_PKS2_PKT0_S8_ifPKiSA_iPKfiiiSC_SC_iiiii.uses_flat_scratch, 0
	.set _ZN4vllm25paged_attention_v1_kernelIttLi32ELi8ELi128ELNS_18Fp8KVCacheDataTypeE0ELb0EEEvPT_PKS2_PKT0_S8_ifPKiSA_iPKfiiiSC_SC_iiiii.has_dyn_sized_stack, 0
	.set _ZN4vllm25paged_attention_v1_kernelIttLi32ELi8ELi128ELNS_18Fp8KVCacheDataTypeE0ELb0EEEvPT_PKS2_PKT0_S8_ifPKiSA_iPKfiiiSC_SC_iiiii.has_recursion, 0
	.set _ZN4vllm25paged_attention_v1_kernelIttLi32ELi8ELi128ELNS_18Fp8KVCacheDataTypeE0ELb0EEEvPT_PKS2_PKT0_S8_ifPKiSA_iPKfiiiSC_SC_iiiii.has_indirect_call, 0
	.section	.AMDGPU.csdata,"",@progbits
; Kernel info:
; codeLenInByte = 3720
; TotalNumSgprs: 29
; NumVgprs: 31
; ScratchSize: 0
; MemoryBound: 0
; FloatMode: 240
; IeeeMode: 1
; LDSByteSize: 96 bytes/workgroup (compile time only)
; SGPRBlocks: 0
; VGPRBlocks: 3
; NumSGPRsForWavesPerEU: 29
; NumVGPRsForWavesPerEU: 31
; Occupancy: 16
; WaveLimiterHint : 1
; COMPUTE_PGM_RSRC2:SCRATCH_EN: 0
; COMPUTE_PGM_RSRC2:USER_SGPR: 6
; COMPUTE_PGM_RSRC2:TRAP_HANDLER: 0
; COMPUTE_PGM_RSRC2:TGID_X_EN: 1
; COMPUTE_PGM_RSRC2:TGID_Y_EN: 1
; COMPUTE_PGM_RSRC2:TGID_Z_EN: 1
; COMPUTE_PGM_RSRC2:TIDIG_COMP_CNT: 0
	.section	.text._ZN4vllm25paged_attention_v1_kernelIttLi64ELi8ELi128ELNS_18Fp8KVCacheDataTypeE0ELb0EEEvPT_PKS2_PKT0_S8_ifPKiSA_iPKfiiiSC_SC_iiiii,"axG",@progbits,_ZN4vllm25paged_attention_v1_kernelIttLi64ELi8ELi128ELNS_18Fp8KVCacheDataTypeE0ELb0EEEvPT_PKS2_PKT0_S8_ifPKiSA_iPKfiiiSC_SC_iiiii,comdat
	.protected	_ZN4vllm25paged_attention_v1_kernelIttLi64ELi8ELi128ELNS_18Fp8KVCacheDataTypeE0ELb0EEEvPT_PKS2_PKT0_S8_ifPKiSA_iPKfiiiSC_SC_iiiii ; -- Begin function _ZN4vllm25paged_attention_v1_kernelIttLi64ELi8ELi128ELNS_18Fp8KVCacheDataTypeE0ELb0EEEvPT_PKS2_PKT0_S8_ifPKiSA_iPKfiiiSC_SC_iiiii
	.globl	_ZN4vllm25paged_attention_v1_kernelIttLi64ELi8ELi128ELNS_18Fp8KVCacheDataTypeE0ELb0EEEvPT_PKS2_PKT0_S8_ifPKiSA_iPKfiiiSC_SC_iiiii
	.p2align	8
	.type	_ZN4vllm25paged_attention_v1_kernelIttLi64ELi8ELi128ELNS_18Fp8KVCacheDataTypeE0ELb0EEEvPT_PKS2_PKT0_S8_ifPKiSA_iPKfiiiSC_SC_iiiii,@function
_ZN4vllm25paged_attention_v1_kernelIttLi64ELi8ELi128ELNS_18Fp8KVCacheDataTypeE0ELb0EEEvPT_PKS2_PKT0_S8_ifPKiSA_iPKfiiiSC_SC_iiiii: ; @_ZN4vllm25paged_attention_v1_kernelIttLi64ELi8ELi128ELNS_18Fp8KVCacheDataTypeE0ELb0EEEvPT_PKS2_PKT0_S8_ifPKiSA_iPKfiiiSC_SC_iiiii
; %bb.0:
	s_clause 0x2
	s_load_dword s9, s[4:5], 0x80
	s_load_dwordx2 s[0:1], s[4:5], 0x30
	s_load_dwordx2 s[24:25], s[4:5], 0x20
	s_mov_b32 s10, s7
	s_ashr_i32 s11, s7, 31
	s_lshl_b64 s[2:3], s[10:11], 2
	s_waitcnt lgkmcnt(0)
	s_add_u32 s0, s0, s2
	s_addc_u32 s1, s1, s3
	s_abs_i32 s2, s24
	s_abs_i32 s11, s9
	v_cvt_f32_u32_e32 v1, s2
	s_sub_i32 s7, 0, s2
	v_rcp_iflag_f32_e32 v1, v1
	v_mul_f32_e32 v1, 0x4f7ffffe, v1
	v_cvt_u32_f32_e32 v1, v1
	v_readfirstlane_b32 s3, v1
	s_mul_i32 s7, s7, s3
	s_mul_hi_u32 s7, s3, s7
	s_add_i32 s3, s3, s7
	s_xor_b32 s7, s9, s24
	s_mul_hi_u32 s3, s11, s3
	s_ashr_i32 s7, s7, 31
	s_mul_i32 s12, s3, s2
	s_mov_b32 s24, 0
	s_sub_i32 s11, s11, s12
	s_add_i32 s12, s3, 1
	s_sub_i32 s13, s11, s2
	s_cmp_ge_u32 s11, s2
	s_cselect_b32 s3, s12, s3
	s_cselect_b32 s11, s13, s11
	s_add_i32 s12, s3, 1
	s_cmp_ge_u32 s11, s2
	s_cselect_b32 s2, s12, s3
	s_abs_i32 s17, s6
	s_xor_b32 s2, s2, s7
	s_sub_i32 s18, s2, s7
	s_load_dwordx2 s[2:3], s[4:5], 0x40
	s_abs_i32 s16, s18
	v_cvt_f32_u32_e32 v1, s16
	s_sub_i32 s11, 0, s16
	v_rcp_iflag_f32_e32 v1, v1
	v_mul_f32_e32 v1, 0x4f7ffffe, v1
	v_cvt_u32_f32_e32 v1, v1
	v_readfirstlane_b32 s7, v1
	s_mul_i32 s11, s11, s7
	s_mul_hi_u32 s11, s7, s11
	s_add_i32 s7, s7, s11
	s_waitcnt lgkmcnt(0)
	s_cmp_eq_u64 s[2:3], 0
	s_mul_hi_u32 s20, s17, s7
	s_cbranch_scc1 .LBB64_2
; %bb.1:
	s_ashr_i32 s7, s6, 31
	s_lshl_b64 s[12:13], s[6:7], 2
	s_add_u32 s2, s2, s12
	s_addc_u32 s3, s3, s13
	s_load_dword s24, s[2:3], 0x0
.LBB64_2:
	s_load_dword s11, s[0:1], 0x0
	s_load_dwordx4 s[12:15], s[4:5], 0x48
	v_and_b32_e32 v1, 3, v0
	v_cmp_gt_u32_e64 s0, 32, v0
	v_lshlrev_b32_e32 v2, 2, v0
	s_ashr_i32 s1, s6, 31
	s_ashr_i32 s2, s18, 31
	s_lshl_b32 s6, s6, 6
	s_and_saveexec_b32 s3, s0
	s_cbranch_execz .LBB64_4
; %bb.3:
	s_load_dwordx2 s[18:19], s[4:5], 0x8
	s_waitcnt lgkmcnt(0)
	s_mul_i32 s22, s12, s10
	v_and_b32_e32 v4, 0x3fc, v0
	s_ashr_i32 s23, s22, 31
	s_lshl_b64 s[22:23], s[22:23], 1
	v_lshl_add_u32 v4, v1, 5, v4
	s_add_u32 s12, s18, s22
	s_addc_u32 s15, s19, s23
	s_ashr_i32 s7, s6, 31
	s_lshl_b64 s[18:19], s[6:7], 1
	s_add_u32 s18, s12, s18
	s_addc_u32 s19, s15, s19
	global_load_dword v3, v2, s[18:19]
	s_waitcnt vmcnt(0)
	ds_write_b32 v4, v3
.LBB64_4:
	s_or_b32 exec_lo, exec_lo, s3
	s_waitcnt lgkmcnt(0)
	s_add_i32 s3, s11, 7
	s_clause 0x1
	s_load_dwordx2 s[18:19], s[4:5], 0x28
	s_load_dword s15, s[4:5], 0x38
	s_ashr_i32 s7, s3, 31
	s_xor_b32 s1, s1, s2
	s_lshr_b32 s7, s7, 29
	s_mul_i32 s2, s20, s16
	s_add_i32 s3, s3, s7
	s_sub_i32 s2, s17, s2
	s_ashr_i32 s12, s3, 3
	s_add_i32 s3, s20, 1
	s_sub_i32 s7, s2, s16
	s_cmp_ge_u32 s2, s16
	v_lshrrev_b32_e32 v9, 5, v0
	s_cselect_b32 s3, s3, s20
	s_cselect_b32 s2, s7, s2
	s_add_i32 s7, s3, 1
	s_cmp_ge_u32 s2, s16
	v_mbcnt_lo_u32_b32 v4, -1, 0
	s_cselect_b32 s2, s7, s3
	s_mov_b32 s3, exec_lo
	s_xor_b32 s2, s2, s1
	s_waitcnt lgkmcnt(0)
	s_mul_i32 s20, s15, s10
	s_sub_i32 s2, s2, s1
	v_cmp_gt_i32_e64 s1, s12, v9
	s_ashr_i32 s21, s20, 31
	s_barrier
	buffer_gl0_inv
                                        ; implicit-def: $vgpr5
                                        ; implicit-def: $vgpr6
	v_cmpx_le_i32_e64 s12, v9
	s_xor_b32 s3, exec_lo, s3
; %bb.5:
	v_mov_b32_e32 v5, 0
	v_mbcnt_lo_u32_b32 v4, -1, 0
	v_mov_b32_e32 v6, 32
                                        ; implicit-def: $vgpr2
                                        ; implicit-def: $vgpr1
; %bb.6:
	s_or_saveexec_b32 s26, s3
	s_clause 0x2
	s_load_dwordx2 s[16:17], s[4:5], 0x0
	s_load_dwordx2 s[22:23], s[4:5], 0x18
	s_load_dword s7, s[4:5], 0x88
	v_mov_b32_e32 v7, 0xff7fffff
	v_lshrrev_b32_e32 v3, 3, v0
	s_mul_i32 s14, s2, s14
	s_xor_b32 exec_lo, exec_lo, s26
	s_cbranch_execz .LBB64_12
; %bb.7:
	s_load_dwordx2 s[4:5], s[4:5], 0x10
	v_bfe_u32 v6, v0, 2, 3
	s_ashr_i32 s15, s14, 31
	v_lshlrev_b32_e32 v8, 5, v1
	v_cmp_eq_u32_e32 vcc_lo, 0, v1
	s_lshl_b64 s[28:29], s[14:15], 1
	v_lshlrev_b32_e32 v7, 2, v6
	v_lshlrev_b32_e32 v12, 4, v6
	v_and_b32_e32 v2, 12, v2
	v_lshl_or_b32 v10, v9, 3, v6
	v_mov_b32_e32 v5, 0
	v_lshl_or_b32 v1, v9, 5, v7
	v_and_b32_e32 v7, 0x7c, v3
	v_cmp_neq_f32_e64 s2, s24, 0
	v_xor_b32_e32 v14, 2, v4
	v_xor_b32_e32 v15, 1, v4
	v_add_nc_u32_e32 v11, 0xa0, v1
	v_mov_b32_e32 v16, v9
	s_mov_b32 s27, s13
	s_waitcnt lgkmcnt(0)
	s_add_u32 s3, s4, s28
	s_addc_u32 s4, s5, s29
	v_add_co_u32 v1, s3, s3, v12
	v_add_co_ci_u32_e64 v6, null, s4, 0, s3
	s_lshl_b64 s[28:29], s[20:21], 2
	s_sub_i32 s5, 1, s11
	s_add_u32 s4, s18, s28
	v_add_co_u32 v12, s3, v1, v2
	s_addc_u32 s15, s19, s29
	v_add_co_ci_u32_e64 v13, null, 0, v6, s3
	v_add_co_u32 v1, s3, s4, v7
	v_add_co_ci_u32_e64 v2, null, s15, 0, s3
	v_mov_b32_e32 v7, 0xff7fffff
	v_mov_b32_e32 v6, 32
	s_mov_b32 s15, 0
	s_branch .LBB64_9
.LBB64_8:                               ;   in Loop: Header=BB64_9 Depth=1
	s_or_b32 exec_lo, exec_lo, s4
	v_add_nc_u32_e32 v16, 4, v16
	v_add_co_u32 v1, s4, v1, 16
	v_add_nc_u32_e32 v10, 32, v10
	v_add_nc_u32_e32 v11, 0x80, v11
	v_cmp_le_i32_e64 s3, s12, v16
	v_add_co_ci_u32_e64 v2, null, 0, v2, s4
	s_or_b32 s15, s3, s15
	s_andn2_b32 exec_lo, exec_lo, s15
	s_cbranch_execz .LBB64_11
.LBB64_9:                               ; =>This Inner Loop Header: Depth=1
	global_load_dword v17, v[1:2], off
	s_waitcnt vmcnt(0) lgkmcnt(0)
	v_mad_i64_i32 v[17:18], null, v17, s27, 0
	v_lshlrev_b64 v[17:18], 1, v[17:18]
	v_add_co_u32 v17, s3, v12, v17
	v_add_co_ci_u32_e64 v18, null, v13, v18, s3
	v_cmp_gt_i32_e64 s3, 32, v14
	s_clause 0x7
	global_load_dword v19, v[17:18], off
	global_load_dword v20, v[17:18], off offset:128
	global_load_dword v21, v[17:18], off offset:256
	;; [unrolled: 1-line block ×7, first 2 shown]
	ds_read_b32 v18, v8
	s_waitcnt lgkmcnt(0)
	v_and_b32_e32 v26, 0xffff, v18
	v_lshrrev_b32_e32 v27, 16, v18
	;;#ASMSTART
	v_cvt_f32_f16 v18, v26;
	;;#ASMEND
	s_waitcnt vmcnt(7)
	v_and_b32_e32 v28, 0xffff, v19
	v_lshrrev_b32_e32 v29, 16, v19
	;;#ASMSTART
	v_cvt_f32_f16 v19, v27;
	;;#ASMEND
	;;#ASMSTART
	v_cvt_f32_f16 v26, v28;
	;;#ASMEND
	;; [unrolled: 3-line block ×3, first 2 shown]
	ds_read_b32 v28, v8 offset:4
	s_waitcnt vmcnt(6)
	v_and_b32_e32 v30, 0xffff, v20
	v_lshrrev_b32_e32 v31, 16, v20
	s_waitcnt vmcnt(5)
	v_and_b32_e32 v33, 0xffff, v21
	v_lshrrev_b32_e32 v34, 16, v21
	;; [unrolled: 3-line block ×5, first 2 shown]
	s_waitcnt vmcnt(1)
	v_lshrrev_b32_e32 v44, 16, v25
	v_and_b32_e32 v25, 0xffff, v25
	s_waitcnt lgkmcnt(0)
	v_and_b32_e32 v29, 0xffff, v28
	v_lshrrev_b32_e32 v28, 16, v28
	;;#ASMSTART
	v_cvt_f32_f16 v20, v29;
	;;#ASMEND
	;;#ASMSTART
	v_cvt_f32_f16 v28, v28;
	;;#ASMEND
	;; [unrolled: 3-line block ×4, first 2 shown]
	ds_read_b32 v31, v8 offset:8
	v_mul_f32_e32 v20, v20, v29
	v_mul_f32_e32 v28, v28, v30
	v_fmac_f32_e32 v20, v18, v26
	v_fmac_f32_e32 v28, v19, v27
	s_waitcnt lgkmcnt(0)
	v_and_b32_e32 v32, 0xffff, v31
	v_lshrrev_b32_e32 v31, 16, v31
	;;#ASMSTART
	v_cvt_f32_f16 v21, v32;
	;;#ASMEND
	;;#ASMSTART
	v_cvt_f32_f16 v31, v31;
	;;#ASMEND
	;; [unrolled: 3-line block ×4, first 2 shown]
	ds_read_b32 v34, v8 offset:12
	v_fmac_f32_e32 v20, v21, v32
	v_fmac_f32_e32 v28, v31, v33
	v_cndmask_b32_e64 v21, v4, v14, s3
	v_cmp_gt_i32_e64 s3, 32, v15
	s_waitcnt lgkmcnt(0)
	v_and_b32_e32 v35, 0xffff, v34
	v_lshrrev_b32_e32 v34, 16, v34
	;;#ASMSTART
	v_cvt_f32_f16 v22, v35;
	;;#ASMEND
	;;#ASMSTART
	v_cvt_f32_f16 v34, v34;
	;;#ASMEND
	;; [unrolled: 3-line block ×4, first 2 shown]
	ds_read_b32 v37, v8 offset:16
	v_fmac_f32_e32 v20, v22, v35
	v_fmac_f32_e32 v28, v34, v36
	s_waitcnt vmcnt(0)
	v_lshrrev_b32_e32 v22, 16, v17
	s_waitcnt lgkmcnt(0)
	v_and_b32_e32 v38, 0xffff, v37
	v_lshrrev_b32_e32 v37, 16, v37
	;;#ASMSTART
	v_cvt_f32_f16 v23, v38;
	;;#ASMEND
	;;#ASMSTART
	v_cvt_f32_f16 v37, v37;
	;;#ASMEND
	;;#ASMSTART
	v_cvt_f32_f16 v38, v39;
	;;#ASMEND
	;;#ASMSTART
	v_cvt_f32_f16 v39, v40;
	;;#ASMEND
	ds_read_b32 v40, v8 offset:20
	v_fmac_f32_e32 v20, v23, v38
	v_fmac_f32_e32 v28, v37, v39
	s_waitcnt lgkmcnt(0)
	v_and_b32_e32 v41, 0xffff, v40
	v_lshrrev_b32_e32 v40, 16, v40
	;;#ASMSTART
	v_cvt_f32_f16 v24, v41;
	;;#ASMEND
	;;#ASMSTART
	v_cvt_f32_f16 v40, v40;
	;;#ASMEND
	;;#ASMSTART
	v_cvt_f32_f16 v41, v42;
	;;#ASMEND
	;;#ASMSTART
	v_cvt_f32_f16 v42, v43;
	;;#ASMEND
	ds_read_b32 v43, v8 offset:24
	v_fmac_f32_e32 v20, v24, v41
	v_fmac_f32_e32 v28, v40, v42
	;; [unrolled: 18-line block ×3, first 2 shown]
	s_waitcnt lgkmcnt(0)
	v_and_b32_e32 v23, 0xffff, v27
	v_lshrrev_b32_e32 v24, 16, v27
	v_and_b32_e32 v27, 0xffff, v17
	;;#ASMSTART
	v_cvt_f32_f16 v17, v23;
	;;#ASMEND
	;;#ASMSTART
	v_cvt_f32_f16 v18, v24;
	;;#ASMEND
	;; [unrolled: 3-line block ×4, first 2 shown]
	v_fmac_f32_e32 v20, v17, v19
	v_fmac_f32_e32 v28, v18, v22
	v_lshlrev_b32_e32 v17, 2, v21
	v_cndmask_b32_e64 v19, v4, v15, s3
	v_add_f32_e32 v18, v20, v28
	ds_bpermute_b32 v17, v17, v18
	s_waitcnt lgkmcnt(0)
	v_add_f32_e32 v17, v18, v17
	v_lshlrev_b32_e32 v18, 2, v19
	ds_bpermute_b32 v18, v18, v17
	s_and_saveexec_b32 s4, vcc_lo
	s_cbranch_execz .LBB64_8
; %bb.10:                               ;   in Loop: Header=BB64_9 Depth=1
	v_add_nc_u32_e32 v19, s5, v10
	s_waitcnt lgkmcnt(0)
	v_add_f32_e32 v17, v17, v18
	v_cmp_gt_i32_e64 s3, s11, v10
	v_cvt_f32_i32_e32 v19, v19
	v_mul_f32_e32 v19, s24, v19
	v_cndmask_b32_e64 v18, 0, v19, s2
	v_max_f32_e32 v19, v7, v7
	v_fmac_f32_e32 v18, s25, v17
	v_max_f32_e32 v17, v19, v18
	v_cndmask_b32_e64 v18, 0, v18, s3
	v_cndmask_b32_e64 v7, v7, v17, s3
	ds_write_b32 v11, v18
	s_branch .LBB64_8
.LBB64_11:
	s_or_b32 exec_lo, exec_lo, s15
.LBB64_12:
	s_or_b32 exec_lo, exec_lo, s26
	v_xor_b32_e32 v1, 16, v4
	v_xor_b32_e32 v8, 8, v4
	v_max_f32_e32 v10, v7, v7
	v_cmp_lt_i32_e32 vcc_lo, v1, v6
	v_cndmask_b32_e32 v1, v4, v1, vcc_lo
	v_cmp_lt_i32_e32 vcc_lo, v8, v6
	v_lshlrev_b32_e32 v2, 2, v1
	ds_bpermute_b32 v1, v2, v7
	v_cndmask_b32_e32 v7, v4, v8, vcc_lo
	v_lshlrev_b32_e32 v7, 2, v7
	s_waitcnt lgkmcnt(0)
	v_max_f32_e32 v1, v1, v1
	v_max_f32_e32 v1, v10, v1
	v_xor_b32_e32 v10, 4, v4
	ds_bpermute_b32 v8, v7, v1
	v_cmp_lt_i32_e32 vcc_lo, v10, v6
	v_cndmask_b32_e32 v10, v4, v10, vcc_lo
	v_lshlrev_b32_e32 v12, 2, v10
	v_and_b32_e32 v10, 31, v0
	v_cmp_eq_u32_e32 vcc_lo, 0, v10
	s_waitcnt lgkmcnt(0)
	v_max_f32_e32 v8, v8, v8
	v_max_f32_e32 v1, v1, v8
	v_lshlrev_b32_e32 v8, 2, v9
	ds_bpermute_b32 v11, v12, v1
	s_and_saveexec_b32 s2, vcc_lo
	s_cbranch_execz .LBB64_14
; %bb.13:
	s_waitcnt lgkmcnt(0)
	v_max_f32_e32 v11, v11, v11
	v_max_f32_e32 v1, v1, v1
	;; [unrolled: 1-line block ×3, first 2 shown]
	ds_write_b32 v8, v1 offset:128
.LBB64_14:
	s_or_b32 exec_lo, exec_lo, s2
	v_cmp_gt_u32_e64 s2, 4, v10
	v_mov_b32_e32 v1, 0xff7fffff
	s_waitcnt lgkmcnt(0)
	v_lshlrev_b32_e32 v11, 2, v10
	s_barrier
	buffer_gl0_inv
	s_and_saveexec_b32 s3, s2
; %bb.15:
	ds_read_b32 v1, v11 offset:128
; %bb.16:
	s_or_b32 exec_lo, exec_lo, s3
	v_xor_b32_e32 v13, 2, v4
	v_xor_b32_e32 v15, 1, v4
	v_lshlrev_b32_e32 v5, 2, v5
	v_cmp_lt_i32_e64 s3, v13, v6
	v_cndmask_b32_e64 v13, v4, v13, s3
	v_cmp_lt_i32_e64 s3, v15, v6
	v_lshlrev_b32_e32 v13, 2, v13
	v_cndmask_b32_e64 v6, v4, v15, s3
	s_lshl_b32 s3, s12, 3
	s_min_i32 s5, s3, s11
	s_waitcnt lgkmcnt(0)
	ds_bpermute_b32 v14, v13, v1
	v_max_f32_e32 v1, v1, v1
	v_lshlrev_b32_e32 v6, 2, v6
	v_cmp_gt_i32_e64 s3, s5, v0
	s_waitcnt lgkmcnt(0)
	v_max_f32_e32 v14, v14, v14
	v_max_f32_e32 v1, v1, v14
	ds_bpermute_b32 v14, v6, v1
	s_waitcnt lgkmcnt(0)
	v_max_f32_e32 v14, v14, v14
	v_max_f32_e32 v1, v1, v14
	ds_bpermute_b32 v14, v5, v1
	v_mov_b32_e32 v5, 0
	v_lshl_add_u32 v1, v0, 2, 0xa0
	s_and_saveexec_b32 s15, s3
	s_cbranch_execz .LBB64_20
; %bb.17:
	v_lshl_add_u32 v15, v0, 2, 0xa0
	v_mov_b32_e32 v5, 0
	v_mov_b32_e32 v16, v0
	s_mov_b32 s24, 0
	.p2align	6
.LBB64_18:                              ; =>This Inner Loop Header: Depth=1
	ds_read_b32 v17, v15
	v_add_nc_u32_e32 v16, 0x80, v16
	v_cmp_le_i32_e64 s4, s5, v16
	s_or_b32 s24, s4, s24
	s_waitcnt lgkmcnt(0)
	v_sub_f32_e32 v17, v17, v14
	v_mul_f32_e32 v17, 0x3fb8aa3b, v17
	v_exp_f32_e32 v17, v17
	ds_write_b32 v15, v17
	v_add_f32_e32 v5, v5, v17
	v_add_nc_u32_e32 v15, 0x200, v15
	s_andn2_b32 exec_lo, exec_lo, s24
	s_cbranch_execnz .LBB64_18
; %bb.19:
	s_or_b32 exec_lo, exec_lo, s24
.LBB64_20:
	s_or_b32 exec_lo, exec_lo, s15
	ds_bpermute_b32 v2, v2, v5
	s_waitcnt lgkmcnt(0)
	v_add_f32_e32 v2, v5, v2
	ds_bpermute_b32 v5, v7, v2
	s_waitcnt lgkmcnt(0)
	v_add_f32_e32 v2, v2, v5
	ds_bpermute_b32 v5, v12, v2
	s_waitcnt lgkmcnt(0)
	v_add_f32_e32 v2, v2, v5
	ds_bpermute_b32 v5, v13, v2
	s_waitcnt lgkmcnt(0)
	v_add_f32_e32 v2, v2, v5
	ds_bpermute_b32 v5, v6, v2
	s_waitcnt lgkmcnt(0)
	v_add_f32_e32 v2, v2, v5
	s_and_saveexec_b32 s4, vcc_lo
; %bb.21:
	ds_write_b32 v8, v2 offset:144
; %bb.22:
	s_or_b32 exec_lo, exec_lo, s4
	s_waitcnt lgkmcnt(0)
	s_barrier
	buffer_gl0_inv
	s_and_saveexec_b32 s4, s2
; %bb.23:
	ds_read_b32 v2, v11 offset:144
; %bb.24:
	s_or_b32 exec_lo, exec_lo, s4
	s_waitcnt lgkmcnt(0)
	ds_bpermute_b32 v5, v13, v2
	v_lshlrev_b32_e32 v4, 2, v4
	v_and_b32_e32 v4, 0xffffff80, v4
	s_waitcnt lgkmcnt(0)
	v_add_f32_e32 v2, v2, v5
	ds_bpermute_b32 v5, v6, v2
	s_waitcnt lgkmcnt(0)
	v_add_f32_e32 v2, v2, v5
	ds_bpermute_b32 v2, v4, v2
	s_and_saveexec_b32 s2, s3
	s_cbranch_execz .LBB64_27
; %bb.25:
	s_waitcnt lgkmcnt(0)
	v_add_f32_e32 v2, 0x358637bd, v2
	s_mov_b32 s3, 0
	v_div_scale_f32 v4, null, v2, v2, 1.0
	v_div_scale_f32 v7, vcc_lo, 1.0, v2, 1.0
	v_rcp_f32_e32 v5, v4
	v_fma_f32 v6, -v4, v5, 1.0
	v_fmac_f32_e32 v5, v6, v5
	v_mul_f32_e32 v6, v7, v5
	v_fma_f32 v8, -v4, v6, v7
	v_fmac_f32_e32 v6, v8, v5
	v_fma_f32 v4, -v4, v6, v7
	v_div_fmas_f32 v4, v4, v5, v6
	v_div_fixup_f32 v2, v4, v2, 1.0
	v_mov_b32_e32 v4, v0
.LBB64_26:                              ; =>This Inner Loop Header: Depth=1
	ds_read_b32 v5, v1
	v_add_nc_u32_e32 v4, 0x80, v4
	v_cmp_le_i32_e32 vcc_lo, s5, v4
	s_or_b32 s3, vcc_lo, s3
	s_waitcnt lgkmcnt(0)
	v_mul_f32_e32 v5, v2, v5
	ds_write_b32 v1, v5
	v_add_nc_u32_e32 v1, 0x200, v1
	s_andn2_b32 exec_lo, exec_lo, s3
	s_cbranch_execnz .LBB64_26
.LBB64_27:
	s_or_b32 exec_lo, exec_lo, s2
	v_mov_b32_e32 v12, 0
	v_mov_b32_e32 v11, 0
	s_waitcnt lgkmcnt(0)
	s_barrier
	buffer_gl0_inv
	s_and_saveexec_b32 s3, s1
	s_cbranch_execz .LBB64_35
; %bb.28:
	s_ashr_i32 s15, s14, 31
	v_lshlrev_b32_e32 v1, 4, v10
	s_lshl_b64 s[4:5], s[14:15], 1
	v_mov_b32_e32 v13, 0
	s_add_u32 s1, s22, s4
	s_addc_u32 s2, s23, s5
	v_add_co_u32 v14, s1, s1, v1
	v_and_b32_e32 v1, 0x7c, v3
	s_lshl_b64 s[14:15], s[20:21], 2
	s_add_i32 s4, s12, -1
	v_add_co_ci_u32_e64 v15, null, s2, 0, s1
	s_add_u32 s1, s18, s14
	s_addc_u32 s2, s19, s15
	v_add_co_u32 v5, s1, s1, v1
	v_lshl_or_b32 v16, v9, 3, 7
	v_lshl_add_u32 v17, v9, 5, 0xa0
	v_add_co_ci_u32_e64 v6, null, s2, 0, s1
	v_mov_b32_e32 v11, 0
	v_mov_b32_e32 v12, 0
	;; [unrolled: 1-line block ×3, first 2 shown]
	s_mov_b32 s5, 0
	s_branch .LBB64_30
.LBB64_29:                              ;   in Loop: Header=BB64_30 Depth=1
	s_or_b32 exec_lo, exec_lo, s2
	v_lshlrev_b32_e32 v19, 16, v32
	v_lshlrev_b32_e32 v8, 16, v8
	v_lshlrev_b32_e32 v7, 16, v7
	v_add_nc_u32_e32 v18, 4, v18
	v_add_co_u32 v5, s1, v5, 16
	v_and_or_b32 v1, 0xffff, v1, v19
	v_and_or_b32 v2, 0xffff, v2, v8
	;; [unrolled: 1-line block ×3, first 2 shown]
	;;#ASMSTART
	v_pk_mul_f16 v1, v27, v1;

	;;#ASMEND
	;;#ASMSTART
	v_pk_mul_f16 v2, v26, v2;

	;;#ASMEND
	;; [unrolled: 4-line block ×4, first 2 shown]
	;;#ASMSTART
	v_pk_add_f16 v1, v1, v2;

	;;#ASMEND
	;;#ASMSTART
	v_pk_add_f16 v1, v1, v3;

	;;#ASMEND
	;;#ASMSTART
	v_pk_add_f16 v1, v1, v4;

	;;#ASMEND
	v_and_b32_e32 v2, 0xffff, v1
	v_lshrrev_b32_e32 v3, 16, v1
	;;#ASMSTART
	v_cvt_f32_f16 v2, v2;
	;;#ASMEND
	v_add_f32_e32 v1, v30, v31
	;;#ASMSTART
	v_cvt_f32_f16 v3, v3;
	;;#ASMEND
	v_add_f32_e32 v2, v2, v3
	v_cmp_le_i32_e32 vcc_lo, s12, v18
	v_add_nc_u32_e32 v16, 32, v16
	v_add_nc_u32_e32 v17, 0x80, v17
	v_add_f32_e32 v12, v12, v1
	v_add_f32_e32 v11, v11, v2
	v_add_co_ci_u32_e64 v6, null, 0, v6, s1
	s_or_b32 s5, vcc_lo, s5
	s_andn2_b32 exec_lo, exec_lo, s5
	s_cbranch_execz .LBB64_34
.LBB64_30:                              ; =>This Inner Loop Header: Depth=1
	global_load_dword v7, v[5:6], off
	ds_read2_b64 v[1:4], v17 offset1:1
	ds_read2_b64 v[19:22], v17 offset0:2 offset1:3
	v_add_nc_u32_e32 v23, -7, v16
	v_cmp_eq_u32_e64 s1, s4, v18
	v_add_nc_u32_e32 v25, -6, v16
	v_add_nc_u32_e32 v24, -1, v16
	s_waitcnt lgkmcnt(1)
	;;#ASMSTART
	v_cvt_f16_f32 v27, v1;

	;;#ASMEND
	;;#ASMSTART
	v_cvt_f16_f32 v26, v2;

	;;#ASMEND
	;; [unrolled: 4-line block ×4, first 2 shown]
	s_waitcnt lgkmcnt(0)
	;;#ASMSTART
	v_cvt_f16_f32 v33, v19;

	;;#ASMEND
	;;#ASMSTART
	v_cvt_f16_f32 v29, v20;

	;;#ASMEND
	;; [unrolled: 4-line block ×4, first 2 shown]
	v_add_nc_u32_e32 v22, -5, v16
	v_add_nc_u32_e32 v21, -4, v16
	;; [unrolled: 1-line block ×4, first 2 shown]
	s_waitcnt vmcnt(0)
	v_mad_i64_i32 v[7:8], null, v7, s13, 0
	v_lshlrev_b64 v[7:8], 1, v[7:8]
	v_add_co_u32 v7, vcc_lo, v14, v7
	v_add_co_ci_u32_e64 v8, null, v15, v8, vcc_lo
	global_load_dwordx4 v[1:4], v[7:8], off
	s_waitcnt vmcnt(0)
	v_lshrrev_b32_e32 v36, 16, v1
	v_lshrrev_b32_e32 v35, 16, v2
	;; [unrolled: 1-line block ×3, first 2 shown]
	s_and_saveexec_b32 s14, s1
	s_cbranch_execz .LBB64_32
; %bb.31:                               ;   in Loop: Header=BB64_30 Depth=1
	v_cmp_gt_i32_e32 vcc_lo, s11, v23
	v_and_b32_e32 v37, 0xffff0000, v4
	v_cmp_gt_i32_e64 s2, s11, v22
	v_cndmask_b32_e32 v1, 0, v1, vcc_lo
	v_cmp_gt_i32_e32 vcc_lo, s11, v25
	v_cndmask_b32_e64 v2, 0, v2, s2
	v_cmp_gt_i32_e64 s2, s11, v21
	v_cndmask_b32_e32 v36, 0, v36, vcc_lo
	v_cmp_gt_i32_e32 vcc_lo, s11, v24
	v_cndmask_b32_e64 v35, 0, v35, s2
	v_cndmask_b32_sdwa v4, v13, v4, vcc_lo dst_sel:DWORD dst_unused:UNUSED_PAD src0_sel:DWORD src1_sel:WORD_0
	v_cmp_gt_i32_e32 vcc_lo, s11, v16
	v_cndmask_b32_e32 v37, 0, v37, vcc_lo
	v_cmp_gt_i32_e32 vcc_lo, s11, v20
	v_or_b32_e32 v4, v4, v37
	v_cndmask_b32_e32 v3, 0, v3, vcc_lo
	v_cmp_gt_i32_e32 vcc_lo, s11, v19
	v_cndmask_b32_e32 v34, 0, v34, vcc_lo
.LBB64_32:                              ;   in Loop: Header=BB64_30 Depth=1
	s_or_b32 exec_lo, exec_lo, s14
	v_and_b32_e32 v27, 0xffff, v27
	v_and_b32_e32 v32, 0xffff, v32
	v_lshlrev_b32_e32 v36, 16, v36
	v_and_b32_e32 v33, 0xffff, v33
	v_and_b32_e32 v31, 0xffff, v31
	v_lshl_or_b32 v27, v26, 16, v27
	v_lshl_or_b32 v26, v30, 16, v32
	v_lshlrev_b32_e32 v30, 16, v35
	v_lshlrev_b32_e32 v32, 16, v34
	v_and_or_b32 v1, 0xffff, v1, v36
	;;#ASMSTART
	v_pk_mul_f16 v1, v27, v1;

	;;#ASMEND
	v_lshl_or_b32 v29, v29, 16, v33
	v_and_or_b32 v2, 0xffff, v2, v30
	v_and_or_b32 v3, 0xffff, v3, v32
	v_lshl_or_b32 v28, v28, 16, v31
	;;#ASMSTART
	v_pk_mul_f16 v2, v26, v2;

	;;#ASMEND
	;;#ASMSTART
	v_pk_mul_f16 v3, v29, v3;

	;;#ASMEND
	;; [unrolled: 4-line block ×3, first 2 shown]
	;;#ASMSTART
	v_pk_add_f16 v1, v1, v2;

	;;#ASMEND
	;;#ASMSTART
	v_pk_add_f16 v1, v1, v3;

	;;#ASMEND
	;; [unrolled: 4-line block ×3, first 2 shown]
	v_and_b32_e32 v2, 0xffff, v1
	v_lshrrev_b32_e32 v1, 16, v1
	;;#ASMSTART
	v_cvt_f32_f16 v30, v2;
	;;#ASMEND
	;;#ASMSTART
	v_cvt_f32_f16 v31, v1;
	;;#ASMEND
	global_load_dwordx4 v[1:4], v[7:8], off offset:512
	s_waitcnt vmcnt(0)
	v_lshrrev_b32_e32 v32, 16, v1
	v_lshrrev_b32_e32 v8, 16, v2
	;; [unrolled: 1-line block ×3, first 2 shown]
	s_and_saveexec_b32 s2, s1
	s_cbranch_execz .LBB64_29
; %bb.33:                               ;   in Loop: Header=BB64_30 Depth=1
	v_cmp_gt_i32_e32 vcc_lo, s11, v23
	v_cmp_gt_i32_e64 s1, s11, v22
	v_cndmask_b32_e32 v1, 0, v1, vcc_lo
	v_cmp_gt_i32_e32 vcc_lo, s11, v25
	v_cndmask_b32_e64 v2, 0, v2, s1
	v_cmp_gt_i32_e64 s1, s11, v21
	v_and_b32_e32 v21, 0xffff0000, v4
	v_cndmask_b32_e32 v32, 0, v32, vcc_lo
	v_cmp_gt_i32_e32 vcc_lo, s11, v24
	v_cndmask_b32_e64 v8, 0, v8, s1
	v_cndmask_b32_sdwa v4, v13, v4, vcc_lo dst_sel:DWORD dst_unused:UNUSED_PAD src0_sel:DWORD src1_sel:WORD_0
	v_cmp_gt_i32_e32 vcc_lo, s11, v16
	v_cndmask_b32_e32 v21, 0, v21, vcc_lo
	v_cmp_gt_i32_e32 vcc_lo, s11, v20
	v_or_b32_e32 v4, v4, v21
	v_cndmask_b32_e32 v3, 0, v3, vcc_lo
	v_cmp_gt_i32_e32 vcc_lo, s11, v19
	v_cndmask_b32_e32 v7, 0, v7, vcc_lo
	s_branch .LBB64_29
.LBB64_34:
	s_or_b32 exec_lo, exec_lo, s5
.LBB64_35:
	s_or_b32 exec_lo, exec_lo, s3
	v_lshl_add_u32 v2, v10, 2, 0xa0
	v_and_b32_e32 v3, 0x3c0, v0
	s_mov_b32 s1, exec_lo
	s_barrier
	v_lshl_add_u32 v1, v9, 8, v2
	buffer_gl0_inv
	v_cmpx_eq_u32_e32 64, v3
	s_cbranch_execz .LBB64_37
; %bb.36:
	v_add_nc_u32_e32 v3, 0xfffffe00, v1
	v_add_nc_u32_e32 v4, 0xfffffe80, v1
	ds_write_b32 v3, v12
	ds_write_b32 v4, v11
.LBB64_37:
	s_or_b32 exec_lo, exec_lo, s1
	s_mov_b32 s1, exec_lo
	s_waitcnt lgkmcnt(0)
	s_barrier
	buffer_gl0_inv
	v_cmpx_gt_u32_e32 64, v0
	s_cbranch_execz .LBB64_39
; %bb.38:
	ds_read2_b32 v[3:4], v1 offset1:32
	s_waitcnt lgkmcnt(0)
	v_add_f32_e32 v12, v12, v3
	v_add_f32_e32 v11, v11, v4
.LBB64_39:
	s_or_b32 exec_lo, exec_lo, s1
	v_and_b32_e32 v3, 0x3e0, v0
	s_mov_b32 s1, exec_lo
	s_barrier
	buffer_gl0_inv
	v_cmpx_eq_u32_e32 32, v3
; %bb.40:
	ds_write2_b32 v2, v12, v11 offset1:32
; %bb.41:
	s_or_b32 exec_lo, exec_lo, s1
	s_waitcnt lgkmcnt(0)
	s_barrier
	buffer_gl0_inv
	s_and_saveexec_b32 s1, s0
	s_cbranch_execz .LBB64_43
; %bb.42:
	ds_read2_b32 v[1:2], v1 offset1:32
	s_waitcnt lgkmcnt(0)
	v_add_f32_e32 v12, v12, v1
	v_add_f32_e32 v11, v11, v2
.LBB64_43:
	s_or_b32 exec_lo, exec_lo, s1
	s_barrier
	buffer_gl0_inv
	s_and_saveexec_b32 s1, s0
	s_cbranch_execz .LBB64_45
; %bb.44:
	s_mul_i32 s0, s10, s7
	s_mul_i32 s2, s7, s6
	;; [unrolled: 1-line block ×3, first 2 shown]
	v_lshlrev_b32_e32 v0, 1, v0
	s_lshl_b32 s0, s0, 6
	;;#ASMSTART
	v_cvt_f16_f32 v1, v12;

	;;#ASMEND
	s_ashr_i32 s1, s0, 31
	s_lshl_b64 s[0:1], s[0:1], 1
	s_add_u32 s4, s16, s0
	s_addc_u32 s5, s17, s1
	s_ashr_i32 s3, s2, 31
	s_lshl_b64 s[0:1], s[2:3], 1
	s_add_u32 s2, s4, s0
	s_addc_u32 s3, s5, s1
	s_lshl_b32 s0, s8, 6
	s_ashr_i32 s1, s0, 31
	s_lshl_b64 s[0:1], s[0:1], 1
	s_add_u32 s0, s2, s0
	s_addc_u32 s1, s3, s1
	global_store_short v0, v1, s[0:1]
	;;#ASMSTART
	v_cvt_f16_f32 v1, v11;

	;;#ASMEND
	global_store_short v0, v1, s[0:1] offset:64
.LBB64_45:
	s_endpgm
	.section	.rodata,"a",@progbits
	.p2align	6, 0x0
	.amdhsa_kernel _ZN4vllm25paged_attention_v1_kernelIttLi64ELi8ELi128ELNS_18Fp8KVCacheDataTypeE0ELb0EEEvPT_PKS2_PKT0_S8_ifPKiSA_iPKfiiiSC_SC_iiiii
		.amdhsa_group_segment_fixed_size 160
		.amdhsa_private_segment_fixed_size 0
		.amdhsa_kernarg_size 384
		.amdhsa_user_sgpr_count 6
		.amdhsa_user_sgpr_private_segment_buffer 1
		.amdhsa_user_sgpr_dispatch_ptr 0
		.amdhsa_user_sgpr_queue_ptr 0
		.amdhsa_user_sgpr_kernarg_segment_ptr 1
		.amdhsa_user_sgpr_dispatch_id 0
		.amdhsa_user_sgpr_flat_scratch_init 0
		.amdhsa_user_sgpr_private_segment_size 0
		.amdhsa_wavefront_size32 1
		.amdhsa_uses_dynamic_stack 0
		.amdhsa_system_sgpr_private_segment_wavefront_offset 0
		.amdhsa_system_sgpr_workgroup_id_x 1
		.amdhsa_system_sgpr_workgroup_id_y 1
		.amdhsa_system_sgpr_workgroup_id_z 1
		.amdhsa_system_sgpr_workgroup_info 0
		.amdhsa_system_vgpr_workitem_id 0
		.amdhsa_next_free_vgpr 45
		.amdhsa_next_free_sgpr 30
		.amdhsa_reserve_vcc 1
		.amdhsa_reserve_flat_scratch 0
		.amdhsa_float_round_mode_32 0
		.amdhsa_float_round_mode_16_64 0
		.amdhsa_float_denorm_mode_32 3
		.amdhsa_float_denorm_mode_16_64 3
		.amdhsa_dx10_clamp 1
		.amdhsa_ieee_mode 1
		.amdhsa_fp16_overflow 0
		.amdhsa_workgroup_processor_mode 1
		.amdhsa_memory_ordered 1
		.amdhsa_forward_progress 1
		.amdhsa_shared_vgpr_count 0
		.amdhsa_exception_fp_ieee_invalid_op 0
		.amdhsa_exception_fp_denorm_src 0
		.amdhsa_exception_fp_ieee_div_zero 0
		.amdhsa_exception_fp_ieee_overflow 0
		.amdhsa_exception_fp_ieee_underflow 0
		.amdhsa_exception_fp_ieee_inexact 0
		.amdhsa_exception_int_div_zero 0
	.end_amdhsa_kernel
	.section	.text._ZN4vllm25paged_attention_v1_kernelIttLi64ELi8ELi128ELNS_18Fp8KVCacheDataTypeE0ELb0EEEvPT_PKS2_PKT0_S8_ifPKiSA_iPKfiiiSC_SC_iiiii,"axG",@progbits,_ZN4vllm25paged_attention_v1_kernelIttLi64ELi8ELi128ELNS_18Fp8KVCacheDataTypeE0ELb0EEEvPT_PKS2_PKT0_S8_ifPKiSA_iPKfiiiSC_SC_iiiii,comdat
.Lfunc_end64:
	.size	_ZN4vllm25paged_attention_v1_kernelIttLi64ELi8ELi128ELNS_18Fp8KVCacheDataTypeE0ELb0EEEvPT_PKS2_PKT0_S8_ifPKiSA_iPKfiiiSC_SC_iiiii, .Lfunc_end64-_ZN4vllm25paged_attention_v1_kernelIttLi64ELi8ELi128ELNS_18Fp8KVCacheDataTypeE0ELb0EEEvPT_PKS2_PKT0_S8_ifPKiSA_iPKfiiiSC_SC_iiiii
                                        ; -- End function
	.set _ZN4vllm25paged_attention_v1_kernelIttLi64ELi8ELi128ELNS_18Fp8KVCacheDataTypeE0ELb0EEEvPT_PKS2_PKT0_S8_ifPKiSA_iPKfiiiSC_SC_iiiii.num_vgpr, 45
	.set _ZN4vllm25paged_attention_v1_kernelIttLi64ELi8ELi128ELNS_18Fp8KVCacheDataTypeE0ELb0EEEvPT_PKS2_PKT0_S8_ifPKiSA_iPKfiiiSC_SC_iiiii.num_agpr, 0
	.set _ZN4vllm25paged_attention_v1_kernelIttLi64ELi8ELi128ELNS_18Fp8KVCacheDataTypeE0ELb0EEEvPT_PKS2_PKT0_S8_ifPKiSA_iPKfiiiSC_SC_iiiii.numbered_sgpr, 30
	.set _ZN4vllm25paged_attention_v1_kernelIttLi64ELi8ELi128ELNS_18Fp8KVCacheDataTypeE0ELb0EEEvPT_PKS2_PKT0_S8_ifPKiSA_iPKfiiiSC_SC_iiiii.num_named_barrier, 0
	.set _ZN4vllm25paged_attention_v1_kernelIttLi64ELi8ELi128ELNS_18Fp8KVCacheDataTypeE0ELb0EEEvPT_PKS2_PKT0_S8_ifPKiSA_iPKfiiiSC_SC_iiiii.private_seg_size, 0
	.set _ZN4vllm25paged_attention_v1_kernelIttLi64ELi8ELi128ELNS_18Fp8KVCacheDataTypeE0ELb0EEEvPT_PKS2_PKT0_S8_ifPKiSA_iPKfiiiSC_SC_iiiii.uses_vcc, 1
	.set _ZN4vllm25paged_attention_v1_kernelIttLi64ELi8ELi128ELNS_18Fp8KVCacheDataTypeE0ELb0EEEvPT_PKS2_PKT0_S8_ifPKiSA_iPKfiiiSC_SC_iiiii.uses_flat_scratch, 0
	.set _ZN4vllm25paged_attention_v1_kernelIttLi64ELi8ELi128ELNS_18Fp8KVCacheDataTypeE0ELb0EEEvPT_PKS2_PKT0_S8_ifPKiSA_iPKfiiiSC_SC_iiiii.has_dyn_sized_stack, 0
	.set _ZN4vllm25paged_attention_v1_kernelIttLi64ELi8ELi128ELNS_18Fp8KVCacheDataTypeE0ELb0EEEvPT_PKS2_PKT0_S8_ifPKiSA_iPKfiiiSC_SC_iiiii.has_recursion, 0
	.set _ZN4vllm25paged_attention_v1_kernelIttLi64ELi8ELi128ELNS_18Fp8KVCacheDataTypeE0ELb0EEEvPT_PKS2_PKT0_S8_ifPKiSA_iPKfiiiSC_SC_iiiii.has_indirect_call, 0
	.section	.AMDGPU.csdata,"",@progbits
; Kernel info:
; codeLenInByte = 4668
; TotalNumSgprs: 32
; NumVgprs: 45
; ScratchSize: 0
; MemoryBound: 0
; FloatMode: 240
; IeeeMode: 1
; LDSByteSize: 160 bytes/workgroup (compile time only)
; SGPRBlocks: 0
; VGPRBlocks: 5
; NumSGPRsForWavesPerEU: 32
; NumVGPRsForWavesPerEU: 45
; Occupancy: 16
; WaveLimiterHint : 1
; COMPUTE_PGM_RSRC2:SCRATCH_EN: 0
; COMPUTE_PGM_RSRC2:USER_SGPR: 6
; COMPUTE_PGM_RSRC2:TRAP_HANDLER: 0
; COMPUTE_PGM_RSRC2:TGID_X_EN: 1
; COMPUTE_PGM_RSRC2:TGID_Y_EN: 1
; COMPUTE_PGM_RSRC2:TGID_Z_EN: 1
; COMPUTE_PGM_RSRC2:TIDIG_COMP_CNT: 0
	.section	.text._ZN4vllm25paged_attention_v1_kernelIttLi80ELi8ELi128ELNS_18Fp8KVCacheDataTypeE0ELb0EEEvPT_PKS2_PKT0_S8_ifPKiSA_iPKfiiiSC_SC_iiiii,"axG",@progbits,_ZN4vllm25paged_attention_v1_kernelIttLi80ELi8ELi128ELNS_18Fp8KVCacheDataTypeE0ELb0EEEvPT_PKS2_PKT0_S8_ifPKiSA_iPKfiiiSC_SC_iiiii,comdat
	.protected	_ZN4vllm25paged_attention_v1_kernelIttLi80ELi8ELi128ELNS_18Fp8KVCacheDataTypeE0ELb0EEEvPT_PKS2_PKT0_S8_ifPKiSA_iPKfiiiSC_SC_iiiii ; -- Begin function _ZN4vllm25paged_attention_v1_kernelIttLi80ELi8ELi128ELNS_18Fp8KVCacheDataTypeE0ELb0EEEvPT_PKS2_PKT0_S8_ifPKiSA_iPKfiiiSC_SC_iiiii
	.globl	_ZN4vllm25paged_attention_v1_kernelIttLi80ELi8ELi128ELNS_18Fp8KVCacheDataTypeE0ELb0EEEvPT_PKS2_PKT0_S8_ifPKiSA_iPKfiiiSC_SC_iiiii
	.p2align	8
	.type	_ZN4vllm25paged_attention_v1_kernelIttLi80ELi8ELi128ELNS_18Fp8KVCacheDataTypeE0ELb0EEEvPT_PKS2_PKT0_S8_ifPKiSA_iPKfiiiSC_SC_iiiii,@function
_ZN4vllm25paged_attention_v1_kernelIttLi80ELi8ELi128ELNS_18Fp8KVCacheDataTypeE0ELb0EEEvPT_PKS2_PKT0_S8_ifPKiSA_iPKfiiiSC_SC_iiiii: ; @_ZN4vllm25paged_attention_v1_kernelIttLi80ELi8ELi128ELNS_18Fp8KVCacheDataTypeE0ELb0EEEvPT_PKS2_PKT0_S8_ifPKiSA_iPKfiiiSC_SC_iiiii
; %bb.0:
	s_clause 0x2
	s_load_dword s9, s[4:5], 0x80
	s_load_dwordx2 s[0:1], s[4:5], 0x30
	s_load_dwordx2 s[24:25], s[4:5], 0x20
	s_mov_b32 s10, s7
	s_ashr_i32 s11, s7, 31
	s_lshl_b64 s[2:3], s[10:11], 2
	s_waitcnt lgkmcnt(0)
	s_add_u32 s0, s0, s2
	s_addc_u32 s1, s1, s3
	s_abs_i32 s2, s24
	s_abs_i32 s11, s9
	v_cvt_f32_u32_e32 v1, s2
	s_sub_i32 s7, 0, s2
	v_rcp_iflag_f32_e32 v1, v1
	v_mul_f32_e32 v1, 0x4f7ffffe, v1
	v_cvt_u32_f32_e32 v1, v1
	v_readfirstlane_b32 s3, v1
	s_mul_i32 s7, s7, s3
	s_mul_hi_u32 s7, s3, s7
	s_add_i32 s3, s3, s7
	s_xor_b32 s7, s9, s24
	s_mul_hi_u32 s3, s11, s3
	s_ashr_i32 s7, s7, 31
	s_mul_i32 s12, s3, s2
	s_mov_b32 s24, 0
	s_sub_i32 s11, s11, s12
	s_add_i32 s12, s3, 1
	s_sub_i32 s13, s11, s2
	s_cmp_ge_u32 s11, s2
	s_cselect_b32 s3, s12, s3
	s_cselect_b32 s11, s13, s11
	s_add_i32 s12, s3, 1
	s_cmp_ge_u32 s11, s2
	s_cselect_b32 s2, s12, s3
	s_abs_i32 s17, s6
	s_xor_b32 s2, s2, s7
	s_sub_i32 s18, s2, s7
	s_load_dwordx2 s[2:3], s[4:5], 0x40
	s_abs_i32 s16, s18
	v_cvt_f32_u32_e32 v1, s16
	s_sub_i32 s11, 0, s16
	v_rcp_iflag_f32_e32 v1, v1
	v_mul_f32_e32 v1, 0x4f7ffffe, v1
	v_cvt_u32_f32_e32 v1, v1
	v_readfirstlane_b32 s7, v1
	s_mul_i32 s11, s11, s7
	s_mul_hi_u32 s11, s7, s11
	s_add_i32 s7, s7, s11
	s_waitcnt lgkmcnt(0)
	s_cmp_eq_u64 s[2:3], 0
	s_mul_hi_u32 s20, s17, s7
	s_cbranch_scc1 .LBB65_2
; %bb.1:
	s_ashr_i32 s7, s6, 31
	s_lshl_b64 s[12:13], s[6:7], 2
	s_add_u32 s2, s2, s12
	s_addc_u32 s3, s3, s13
	s_load_dword s24, s[2:3], 0x0
.LBB65_2:
	s_load_dword s11, s[0:1], 0x0
	s_load_dwordx4 s[12:15], s[4:5], 0x48
	v_and_b32_e32 v1, 3, v0
	v_lshlrev_b32_e32 v2, 2, v0
	s_ashr_i32 s0, s6, 31
	s_ashr_i32 s1, s18, 31
	s_mulk_i32 s6, 0x50
	s_mov_b32 s2, exec_lo
	v_cmpx_gt_u32_e32 40, v0
	s_cbranch_execz .LBB65_4
; %bb.3:
	s_load_dwordx2 s[18:19], s[4:5], 0x8
	s_waitcnt lgkmcnt(0)
	s_mul_i32 s22, s12, s10
	v_and_b32_e32 v4, 0x3fc, v0
	s_ashr_i32 s23, s22, 31
	s_lshl_b64 s[22:23], s[22:23], 1
	v_mad_u32_u24 v4, v1, 40, v4
	s_add_u32 s3, s18, s22
	s_addc_u32 s12, s19, s23
	s_ashr_i32 s7, s6, 31
	s_lshl_b64 s[18:19], s[6:7], 1
	s_add_u32 s18, s3, s18
	s_addc_u32 s19, s12, s19
	global_load_dword v3, v2, s[18:19]
	s_waitcnt vmcnt(0)
	ds_write_b32 v4, v3
.LBB65_4:
	s_or_b32 exec_lo, exec_lo, s2
	s_waitcnt lgkmcnt(0)
	s_add_i32 s2, s11, 7
	s_clause 0x1
	s_load_dwordx2 s[18:19], s[4:5], 0x28
	s_load_dword s7, s[4:5], 0x38
	s_ashr_i32 s3, s2, 31
	s_xor_b32 s0, s0, s1
	s_lshr_b32 s3, s3, 29
	s_mul_i32 s1, s20, s16
	s_add_i32 s2, s2, s3
	s_sub_i32 s1, s17, s1
	s_ashr_i32 s12, s2, 3
	s_add_i32 s2, s20, 1
	s_sub_i32 s3, s1, s16
	s_cmp_ge_u32 s1, s16
	v_lshrrev_b32_e32 v9, 5, v0
	s_cselect_b32 s2, s2, s20
	s_cselect_b32 s1, s3, s1
	s_add_i32 s3, s2, 1
	s_cmp_ge_u32 s1, s16
	v_mbcnt_lo_u32_b32 v4, -1, 0
	s_cselect_b32 s1, s3, s2
	s_mov_b32 s2, exec_lo
	s_xor_b32 s1, s1, s0
	s_waitcnt lgkmcnt(0)
	s_mul_i32 s20, s7, s10
	s_sub_i32 s1, s1, s0
	v_cmp_gt_i32_e64 s0, s12, v9
	s_ashr_i32 s21, s20, 31
	s_barrier
	buffer_gl0_inv
                                        ; implicit-def: $vgpr5
                                        ; implicit-def: $vgpr6
	v_cmpx_le_i32_e64 s12, v9
	s_xor_b32 s2, exec_lo, s2
; %bb.5:
	v_mov_b32_e32 v5, 0
	v_mbcnt_lo_u32_b32 v4, -1, 0
	v_mov_b32_e32 v6, 32
                                        ; implicit-def: $vgpr2
                                        ; implicit-def: $vgpr1
; %bb.6:
	s_or_saveexec_b32 s26, s2
	s_clause 0x2
	s_load_dwordx2 s[16:17], s[4:5], 0x0
	s_load_dwordx2 s[22:23], s[4:5], 0x18
	s_load_dword s7, s[4:5], 0x88
	v_mov_b32_e32 v7, 0xff7fffff
	v_lshrrev_b32_e32 v3, 3, v0
	s_mul_i32 s14, s1, s14
	s_xor_b32 exec_lo, exec_lo, s26
	s_cbranch_execz .LBB65_12
; %bb.7:
	s_load_dwordx2 s[2:3], s[4:5], 0x10
	v_bfe_u32 v6, v0, 2, 3
	s_ashr_i32 s15, s14, 31
	v_mul_u32_u24_e32 v8, 40, v1
	v_cmp_eq_u32_e32 vcc_lo, 0, v1
	s_lshl_b64 s[4:5], s[14:15], 1
	v_lshlrev_b32_e32 v7, 2, v6
	v_lshlrev_b32_e32 v12, 4, v6
	v_and_b32_e32 v2, 12, v2
	v_lshl_or_b32 v10, v9, 3, v6
	v_mov_b32_e32 v5, 0
	v_lshl_or_b32 v1, v9, 5, v7
	v_and_b32_e32 v7, 0x7c, v3
	v_cmp_neq_f32_e64 s1, s24, 0
	v_xor_b32_e32 v14, 2, v4
	v_xor_b32_e32 v15, 1, v4
	v_add_nc_u32_e32 v11, 0xc0, v1
	v_mov_b32_e32 v16, v9
	s_waitcnt lgkmcnt(0)
	s_add_u32 s15, s2, s4
	s_addc_u32 s5, s3, s5
	v_add_co_u32 v1, s15, s15, v12
	v_add_co_ci_u32_e64 v6, null, s5, 0, s15
	s_lshl_b64 s[2:3], s[20:21], 2
	s_sub_i32 s4, 1, s11
	s_add_u32 s5, s18, s2
	v_add_co_u32 v12, s2, v1, v2
	s_addc_u32 s3, s19, s3
	v_add_co_ci_u32_e64 v13, null, 0, v6, s2
	v_add_co_u32 v1, s2, s5, v7
	v_add_co_ci_u32_e64 v2, null, s3, 0, s2
	v_mov_b32_e32 v7, 0xff7fffff
	v_mov_b32_e32 v6, 32
	s_mov_b32 s15, s13
	s_mov_b32 s5, 0
	s_branch .LBB65_9
.LBB65_8:                               ;   in Loop: Header=BB65_9 Depth=1
	s_or_b32 exec_lo, exec_lo, s3
	v_add_nc_u32_e32 v16, 4, v16
	v_add_co_u32 v1, s3, v1, 16
	v_add_nc_u32_e32 v10, 32, v10
	v_add_nc_u32_e32 v11, 0x80, v11
	v_cmp_le_i32_e64 s2, s12, v16
	v_add_co_ci_u32_e64 v2, null, 0, v2, s3
	s_or_b32 s5, s2, s5
	s_andn2_b32 exec_lo, exec_lo, s5
	s_cbranch_execz .LBB65_11
.LBB65_9:                               ; =>This Inner Loop Header: Depth=1
	global_load_dword v17, v[1:2], off
	s_waitcnt vmcnt(0) lgkmcnt(0)
	v_mad_i64_i32 v[17:18], null, v17, s15, 0
	v_lshlrev_b64 v[17:18], 1, v[17:18]
	v_add_co_u32 v17, s2, v12, v17
	v_add_co_ci_u32_e64 v18, null, v13, v18, s2
	v_cmp_gt_i32_e64 s2, 32, v14
	s_clause 0x9
	global_load_dword v19, v[17:18], off
	global_load_dword v20, v[17:18], off offset:128
	global_load_dword v21, v[17:18], off offset:256
	;; [unrolled: 1-line block ×9, first 2 shown]
	ds_read_b32 v18, v8
	s_waitcnt lgkmcnt(0)
	v_and_b32_e32 v28, 0xffff, v18
	v_lshrrev_b32_e32 v29, 16, v18
	;;#ASMSTART
	v_cvt_f32_f16 v18, v28;
	;;#ASMEND
	s_waitcnt vmcnt(9)
	v_and_b32_e32 v30, 0xffff, v19
	v_lshrrev_b32_e32 v31, 16, v19
	;;#ASMSTART
	v_cvt_f32_f16 v19, v29;
	;;#ASMEND
	;;#ASMSTART
	v_cvt_f32_f16 v28, v30;
	;;#ASMEND
	;; [unrolled: 3-line block ×3, first 2 shown]
	ds_read_b32 v30, v8 offset:4
	s_waitcnt vmcnt(8)
	v_and_b32_e32 v32, 0xffff, v20
	v_lshrrev_b32_e32 v33, 16, v20
	s_waitcnt vmcnt(7)
	v_and_b32_e32 v35, 0xffff, v21
	v_lshrrev_b32_e32 v36, 16, v21
	;; [unrolled: 3-line block ×7, first 2 shown]
	s_waitcnt lgkmcnt(0)
	v_and_b32_e32 v31, 0xffff, v30
	v_lshrrev_b32_e32 v30, 16, v30
	;;#ASMSTART
	v_cvt_f32_f16 v20, v31;
	;;#ASMEND
	;;#ASMSTART
	v_cvt_f32_f16 v30, v30;
	;;#ASMEND
	;;#ASMSTART
	v_cvt_f32_f16 v31, v32;
	;;#ASMEND
	;;#ASMSTART
	v_cvt_f32_f16 v32, v33;
	;;#ASMEND
	ds_read_b32 v33, v8 offset:8
	v_mul_f32_e32 v20, v20, v31
	v_mul_f32_e32 v30, v30, v32
	v_fmac_f32_e32 v20, v18, v28
	v_fmac_f32_e32 v30, v19, v29
	s_waitcnt vmcnt(1)
	v_lshrrev_b32_e32 v28, 16, v27
	s_waitcnt lgkmcnt(0)
	v_and_b32_e32 v34, 0xffff, v33
	v_lshrrev_b32_e32 v33, 16, v33
	;;#ASMSTART
	v_cvt_f32_f16 v21, v34;
	;;#ASMEND
	;;#ASMSTART
	v_cvt_f32_f16 v33, v33;
	;;#ASMEND
	;; [unrolled: 3-line block ×4, first 2 shown]
	ds_read_b32 v36, v8 offset:12
	v_fmac_f32_e32 v20, v21, v34
	v_fmac_f32_e32 v30, v33, v35
	v_and_b32_e32 v21, 0xffff, v27
	s_waitcnt lgkmcnt(0)
	v_and_b32_e32 v37, 0xffff, v36
	v_lshrrev_b32_e32 v36, 16, v36
	;;#ASMSTART
	v_cvt_f32_f16 v22, v37;
	;;#ASMEND
	;;#ASMSTART
	v_cvt_f32_f16 v36, v36;
	;;#ASMEND
	;; [unrolled: 3-line block ×4, first 2 shown]
	ds_read_b32 v39, v8 offset:16
	v_fmac_f32_e32 v20, v22, v37
	v_fmac_f32_e32 v30, v36, v38
	s_waitcnt lgkmcnt(0)
	v_and_b32_e32 v40, 0xffff, v39
	v_lshrrev_b32_e32 v39, 16, v39
	;;#ASMSTART
	v_cvt_f32_f16 v23, v40;
	;;#ASMEND
	;;#ASMSTART
	v_cvt_f32_f16 v39, v39;
	;;#ASMEND
	;; [unrolled: 3-line block ×4, first 2 shown]
	ds_read_b32 v42, v8 offset:20
	v_fmac_f32_e32 v20, v23, v40
	v_fmac_f32_e32 v30, v39, v41
	v_cndmask_b32_e64 v23, v4, v14, s2
	v_cmp_gt_i32_e64 s2, 32, v15
	s_waitcnt lgkmcnt(0)
	v_and_b32_e32 v43, 0xffff, v42
	v_lshrrev_b32_e32 v42, 16, v42
	;;#ASMSTART
	v_cvt_f32_f16 v24, v43;
	;;#ASMEND
	;;#ASMSTART
	v_cvt_f32_f16 v42, v42;
	;;#ASMEND
	;; [unrolled: 3-line block ×4, first 2 shown]
	ds_read_b32 v45, v8 offset:24
	v_fmac_f32_e32 v20, v24, v43
	v_fmac_f32_e32 v30, v42, v44
	s_waitcnt vmcnt(0)
	v_lshrrev_b32_e32 v24, 16, v17
	s_waitcnt lgkmcnt(0)
	v_and_b32_e32 v46, 0xffff, v45
	v_lshrrev_b32_e32 v45, 16, v45
	;;#ASMSTART
	v_cvt_f32_f16 v25, v46;
	;;#ASMEND
	;;#ASMSTART
	v_cvt_f32_f16 v45, v45;
	;;#ASMEND
	;;#ASMSTART
	v_cvt_f32_f16 v46, v47;
	;;#ASMEND
	;;#ASMSTART
	v_cvt_f32_f16 v47, v48;
	;;#ASMEND
	ds_read_b32 v48, v8 offset:28
	v_fmac_f32_e32 v20, v25, v46
	v_fmac_f32_e32 v30, v45, v47
	s_waitcnt lgkmcnt(0)
	v_and_b32_e32 v49, 0xffff, v48
	v_lshrrev_b32_e32 v48, 16, v48
	;;#ASMSTART
	v_cvt_f32_f16 v26, v49;
	;;#ASMEND
	;;#ASMSTART
	v_cvt_f32_f16 v48, v48;
	;;#ASMEND
	;;#ASMSTART
	v_cvt_f32_f16 v49, v50;
	;;#ASMEND
	;;#ASMSTART
	v_cvt_f32_f16 v50, v51;
	;;#ASMEND
	ds_read_b32 v51, v8 offset:32
	v_fmac_f32_e32 v20, v26, v49
	v_fmac_f32_e32 v30, v48, v50
	;; [unrolled: 18-line block ×3, first 2 shown]
	s_waitcnt lgkmcnt(0)
	v_and_b32_e32 v25, 0xffff, v27
	v_lshrrev_b32_e32 v26, 16, v27
	v_and_b32_e32 v27, 0xffff, v17
	;;#ASMSTART
	v_cvt_f32_f16 v17, v25;
	;;#ASMEND
	;;#ASMSTART
	v_cvt_f32_f16 v18, v26;
	;;#ASMEND
	;; [unrolled: 3-line block ×4, first 2 shown]
	v_fmac_f32_e32 v20, v17, v19
	v_fmac_f32_e32 v30, v18, v21
	v_lshlrev_b32_e32 v17, 2, v23
	v_cndmask_b32_e64 v19, v4, v15, s2
	v_add_f32_e32 v18, v20, v30
	ds_bpermute_b32 v17, v17, v18
	s_waitcnt lgkmcnt(0)
	v_add_f32_e32 v17, v18, v17
	v_lshlrev_b32_e32 v18, 2, v19
	ds_bpermute_b32 v18, v18, v17
	s_and_saveexec_b32 s3, vcc_lo
	s_cbranch_execz .LBB65_8
; %bb.10:                               ;   in Loop: Header=BB65_9 Depth=1
	v_add_nc_u32_e32 v19, s4, v10
	s_waitcnt lgkmcnt(0)
	v_add_f32_e32 v17, v17, v18
	v_cmp_gt_i32_e64 s2, s11, v10
	v_cvt_f32_i32_e32 v19, v19
	v_mul_f32_e32 v19, s24, v19
	v_cndmask_b32_e64 v18, 0, v19, s1
	v_max_f32_e32 v19, v7, v7
	v_fmac_f32_e32 v18, s25, v17
	v_max_f32_e32 v17, v19, v18
	v_cndmask_b32_e64 v18, 0, v18, s2
	v_cndmask_b32_e64 v7, v7, v17, s2
	ds_write_b32 v11, v18
	s_branch .LBB65_8
.LBB65_11:
	s_or_b32 exec_lo, exec_lo, s5
.LBB65_12:
	s_or_b32 exec_lo, exec_lo, s26
	v_xor_b32_e32 v1, 16, v4
	v_xor_b32_e32 v8, 8, v4
	v_cmp_lt_i32_e32 vcc_lo, v1, v6
	v_cndmask_b32_e32 v1, v4, v1, vcc_lo
	v_cmp_lt_i32_e32 vcc_lo, v8, v6
	v_lshlrev_b32_e32 v1, 2, v1
	v_cndmask_b32_e32 v8, v4, v8, vcc_lo
	ds_bpermute_b32 v2, v1, v7
	v_max_f32_e32 v7, v7, v7
	s_waitcnt lgkmcnt(0)
	v_max_f32_e32 v10, v2, v2
	v_lshlrev_b32_e32 v2, 2, v8
	v_max_f32_e32 v7, v7, v10
	v_xor_b32_e32 v10, 4, v4
	ds_bpermute_b32 v8, v2, v7
	v_cmp_lt_i32_e32 vcc_lo, v10, v6
	v_cndmask_b32_e32 v10, v4, v10, vcc_lo
	v_lshlrev_b32_e32 v12, 2, v10
	v_and_b32_e32 v10, 31, v0
	v_cmp_eq_u32_e32 vcc_lo, 0, v10
	s_waitcnt lgkmcnt(0)
	v_max_f32_e32 v8, v8, v8
	v_max_f32_e32 v8, v7, v8
	v_lshlrev_b32_e32 v7, 2, v9
	ds_bpermute_b32 v11, v12, v8
	s_and_saveexec_b32 s1, vcc_lo
	s_cbranch_execz .LBB65_14
; %bb.13:
	s_waitcnt lgkmcnt(0)
	v_max_f32_e32 v11, v11, v11
	v_max_f32_e32 v8, v8, v8
	;; [unrolled: 1-line block ×3, first 2 shown]
	ds_write_b32 v7, v8 offset:160
.LBB65_14:
	s_or_b32 exec_lo, exec_lo, s1
	v_cmp_gt_u32_e64 s1, 4, v10
	s_waitcnt lgkmcnt(0)
	v_mov_b32_e32 v11, 0xff7fffff
	v_lshlrev_b32_e32 v8, 2, v10
	s_barrier
	buffer_gl0_inv
	s_and_saveexec_b32 s2, s1
; %bb.15:
	ds_read_b32 v11, v8 offset:160
; %bb.16:
	s_or_b32 exec_lo, exec_lo, s2
	v_xor_b32_e32 v13, 2, v4
	v_xor_b32_e32 v15, 1, v4
	v_lshlrev_b32_e32 v5, 2, v5
	v_cmp_lt_i32_e64 s2, v13, v6
	v_cndmask_b32_e64 v13, v4, v13, s2
	v_cmp_lt_i32_e64 s2, v15, v6
	v_lshlrev_b32_e32 v13, 2, v13
	v_cndmask_b32_e64 v6, v4, v15, s2
	s_lshl_b32 s2, s12, 3
	s_min_i32 s4, s2, s11
	s_waitcnt lgkmcnt(0)
	ds_bpermute_b32 v14, v13, v11
	v_max_f32_e32 v11, v11, v11
	v_lshlrev_b32_e32 v6, 2, v6
	v_cmp_gt_i32_e64 s2, s4, v0
	s_waitcnt lgkmcnt(0)
	v_max_f32_e32 v14, v14, v14
	v_max_f32_e32 v11, v11, v14
	ds_bpermute_b32 v14, v6, v11
	s_waitcnt lgkmcnt(0)
	v_max_f32_e32 v14, v14, v14
	v_max_f32_e32 v11, v11, v14
	ds_bpermute_b32 v14, v5, v11
	v_mov_b32_e32 v5, 0
	v_lshl_add_u32 v11, v0, 2, 0xc0
	s_and_saveexec_b32 s5, s2
	s_cbranch_execz .LBB65_20
; %bb.17:
	v_lshl_add_u32 v15, v0, 2, 0xc0
	v_mov_b32_e32 v5, 0
	v_mov_b32_e32 v16, v0
	s_mov_b32 s15, 0
	.p2align	6
.LBB65_18:                              ; =>This Inner Loop Header: Depth=1
	ds_read_b32 v17, v15
	v_add_nc_u32_e32 v16, 0x80, v16
	v_cmp_le_i32_e64 s3, s4, v16
	s_or_b32 s15, s3, s15
	s_waitcnt lgkmcnt(0)
	v_sub_f32_e32 v17, v17, v14
	v_mul_f32_e32 v17, 0x3fb8aa3b, v17
	v_exp_f32_e32 v17, v17
	ds_write_b32 v15, v17
	v_add_f32_e32 v5, v5, v17
	v_add_nc_u32_e32 v15, 0x200, v15
	s_andn2_b32 exec_lo, exec_lo, s15
	s_cbranch_execnz .LBB65_18
; %bb.19:
	s_or_b32 exec_lo, exec_lo, s15
.LBB65_20:
	s_or_b32 exec_lo, exec_lo, s5
	ds_bpermute_b32 v1, v1, v5
	s_waitcnt lgkmcnt(0)
	v_add_f32_e32 v1, v5, v1
	ds_bpermute_b32 v2, v2, v1
	s_waitcnt lgkmcnt(0)
	v_add_f32_e32 v1, v1, v2
	;; [unrolled: 3-line block ×5, first 2 shown]
	s_and_saveexec_b32 s3, vcc_lo
; %bb.21:
	ds_write_b32 v7, v1 offset:176
; %bb.22:
	s_or_b32 exec_lo, exec_lo, s3
	s_waitcnt lgkmcnt(0)
	s_barrier
	buffer_gl0_inv
	s_and_saveexec_b32 s3, s1
; %bb.23:
	ds_read_b32 v1, v8 offset:176
; %bb.24:
	s_or_b32 exec_lo, exec_lo, s3
	s_waitcnt lgkmcnt(0)
	ds_bpermute_b32 v2, v13, v1
	v_lshlrev_b32_e32 v4, 2, v4
	s_waitcnt lgkmcnt(0)
	v_add_f32_e32 v1, v1, v2
	ds_bpermute_b32 v2, v6, v1
	s_waitcnt lgkmcnt(0)
	v_add_f32_e32 v1, v1, v2
	v_and_b32_e32 v2, 0xffffff80, v4
	ds_bpermute_b32 v1, v2, v1
	s_and_saveexec_b32 s1, s2
	s_cbranch_execz .LBB65_27
; %bb.25:
	s_waitcnt lgkmcnt(0)
	v_add_f32_e32 v2, 0x358637bd, v1
	s_mov_b32 s2, 0
	v_div_scale_f32 v1, null, v2, v2, 1.0
	v_div_scale_f32 v6, vcc_lo, 1.0, v2, 1.0
	v_rcp_f32_e32 v4, v1
	v_fma_f32 v5, -v1, v4, 1.0
	v_fmac_f32_e32 v4, v5, v4
	v_mul_f32_e32 v5, v6, v4
	v_fma_f32 v7, -v1, v5, v6
	v_fmac_f32_e32 v5, v7, v4
	v_fma_f32 v1, -v1, v5, v6
	v_div_fmas_f32 v4, v1, v4, v5
	v_mov_b32_e32 v1, v11
	v_div_fixup_f32 v2, v4, v2, 1.0
	v_mov_b32_e32 v4, v0
.LBB65_26:                              ; =>This Inner Loop Header: Depth=1
	ds_read_b32 v5, v1
	v_add_nc_u32_e32 v4, 0x80, v4
	v_cmp_le_i32_e32 vcc_lo, s4, v4
	s_or_b32 s2, vcc_lo, s2
	s_waitcnt lgkmcnt(0)
	v_mul_f32_e32 v5, v2, v5
	ds_write_b32 v1, v5
	v_add_nc_u32_e32 v1, 0x200, v1
	s_andn2_b32 exec_lo, exec_lo, s2
	s_cbranch_execnz .LBB65_26
.LBB65_27:
	s_or_b32 exec_lo, exec_lo, s1
	v_mov_b32_e32 v14, 0
	v_or_b32_e32 v15, 64, v10
	v_mov_b32_e32 v13, 0
	v_mov_b32_e32 v12, 0
	s_waitcnt lgkmcnt(0)
	s_barrier
	buffer_gl0_inv
	s_and_saveexec_b32 s3, s0
	s_cbranch_execz .LBB65_39
; %bb.28:
	s_ashr_i32 s15, s14, 31
	v_and_b32_e32 v3, 0x7c, v3
	s_lshl_b64 s[0:1], s[14:15], 1
	v_lshlrev_b32_e32 v1, 3, v10
	s_add_u32 s4, s22, s0
	s_addc_u32 s5, s23, s1
	s_lshl_b64 s[20:21], s[20:21], 2
	s_add_i32 s14, s12, -1
	v_lshlrev_b32_e32 v2, 3, v15
	s_add_u32 s1, s18, s20
	s_addc_u32 s2, s19, s21
	v_add_co_u32 v5, s1, s1, v3
	v_mov_b32_e32 v16, 0
	v_cmp_gt_u32_e64 s0, 0x50, v15
	v_lshl_or_b32 v17, v9, 3, 7
	v_lshl_add_u32 v18, v9, 5, 0xc0
	v_add_co_ci_u32_e64 v6, null, s2, 0, s1
	v_lshlrev_b32_e32 v19, 1, v1
	v_lshlrev_b32_e32 v20, 1, v2
	v_mov_b32_e32 v12, 0
	v_mov_b32_e32 v13, 0
	;; [unrolled: 1-line block ×4, first 2 shown]
	s_mov_b32 s15, s13
	s_mov_b32 s13, 0
	s_branch .LBB65_31
.LBB65_29:                              ;   in Loop: Header=BB65_31 Depth=1
	s_or_b32 exec_lo, exec_lo, s18
	v_lshlrev_b32_e32 v22, 16, v31
	v_lshlrev_b32_e32 v26, 16, v26
	v_lshlrev_b32_e32 v25, 16, v25
	v_and_or_b32 v1, 0xffff, v1, v22
	v_and_or_b32 v2, 0xffff, v2, v26
	;; [unrolled: 1-line block ×3, first 2 shown]
	;;#ASMSTART
	v_pk_mul_f16 v1, v28, v1;

	;;#ASMEND
	;;#ASMSTART
	v_pk_mul_f16 v2, v27, v2;

	;;#ASMEND
	;; [unrolled: 4-line block ×4, first 2 shown]
	;;#ASMSTART
	v_pk_add_f16 v1, v1, v2;

	;;#ASMEND
	;;#ASMSTART
	v_pk_add_f16 v1, v1, v3;

	;;#ASMEND
	;; [unrolled: 4-line block ×3, first 2 shown]
	v_and_b32_e32 v2, 0xffff, v1
	v_lshrrev_b32_e32 v3, 16, v1
	;;#ASMSTART
	v_cvt_f32_f16 v1, v2;
	;;#ASMEND
	;;#ASMSTART
	v_cvt_f32_f16 v2, v3;
	;;#ASMEND
	v_add_f32_e32 v1, v1, v2
	v_add_f32_e32 v12, v12, v1
.LBB65_30:                              ;   in Loop: Header=BB65_31 Depth=1
	s_or_b32 exec_lo, exec_lo, s2
	v_add_nc_u32_e32 v21, 4, v21
	v_add_f32_e32 v1, v7, v8
	v_add_f32_e32 v2, v23, v24
	v_add_co_u32 v5, s1, v5, 16
	v_cmp_le_i32_e32 vcc_lo, s12, v21
	v_add_nc_u32_e32 v17, 32, v17
	v_add_f32_e32 v13, v13, v1
	v_add_f32_e32 v14, v14, v2
	v_add_nc_u32_e32 v18, 0x80, v18
	v_add_co_ci_u32_e64 v6, null, 0, v6, s1
	s_or_b32 s13, vcc_lo, s13
	s_andn2_b32 exec_lo, exec_lo, s13
	s_cbranch_execz .LBB65_38
.LBB65_31:                              ; =>This Inner Loop Header: Depth=1
	global_load_dword v7, v[5:6], off
	ds_read2_b64 v[1:4], v18 offset1:1
	ds_read2_b64 v[32:35], v18 offset0:2 offset1:3
	s_waitcnt lgkmcnt(1)
	;;#ASMSTART
	v_cvt_f16_f32 v28, v1;

	;;#ASMEND
	;;#ASMSTART
	v_cvt_f16_f32 v23, v2;

	;;#ASMEND
	;; [unrolled: 4-line block ×4, first 2 shown]
	s_waitcnt lgkmcnt(0)
	;;#ASMSTART
	v_cvt_f16_f32 v32, v32;

	;;#ASMEND
	;;#ASMSTART
	v_cvt_f16_f32 v29, v33;

	;;#ASMEND
	;; [unrolled: 4-line block ×4, first 2 shown]
	v_add_nc_u32_e32 v22, -7, v17
	v_cmp_eq_u32_e64 s1, s14, v21
	s_waitcnt vmcnt(0)
	v_mad_i64_i32 v[7:8], null, v7, s15, 0
	v_lshlrev_b64 v[7:8], 1, v[7:8]
	v_add_co_u32 v25, vcc_lo, s4, v7
	v_add_co_ci_u32_e64 v26, null, s5, v8, vcc_lo
	v_add_co_u32 v7, vcc_lo, v25, v19
	v_add_co_ci_u32_e64 v8, null, 0, v26, vcc_lo
	global_load_dwordx4 v[1:4], v[7:8], off
	s_waitcnt vmcnt(0)
	v_lshrrev_b32_e32 v35, 16, v1
	v_lshrrev_b32_e32 v34, 16, v2
	;; [unrolled: 1-line block ×3, first 2 shown]
	s_and_saveexec_b32 s18, s1
	s_cbranch_execz .LBB65_33
; %bb.32:                               ;   in Loop: Header=BB65_31 Depth=1
	v_add_nc_u32_e32 v36, -6, v17
	v_cmp_gt_i32_e32 vcc_lo, s11, v22
	v_add_nc_u32_e32 v37, -5, v17
	v_add_nc_u32_e32 v39, -1, v17
	;; [unrolled: 1-line block ×3, first 2 shown]
	v_cndmask_b32_e32 v1, 0, v1, vcc_lo
	v_cmp_gt_i32_e32 vcc_lo, s11, v36
	v_add_nc_u32_e32 v36, -3, v17
	v_cmp_gt_i32_e64 s2, s11, v38
	v_and_b32_e32 v38, 0xffff0000, v4
	v_cndmask_b32_e32 v35, 0, v35, vcc_lo
	v_cmp_gt_i32_e32 vcc_lo, s11, v37
	v_add_nc_u32_e32 v37, -2, v17
	v_cndmask_b32_e64 v34, 0, v34, s2
	v_cndmask_b32_e32 v2, 0, v2, vcc_lo
	v_cmp_gt_i32_e32 vcc_lo, s11, v39
	v_cndmask_b32_sdwa v4, v16, v4, vcc_lo dst_sel:DWORD dst_unused:UNUSED_PAD src0_sel:DWORD src1_sel:WORD_0
	v_cmp_gt_i32_e32 vcc_lo, s11, v17
	v_cndmask_b32_e32 v38, 0, v38, vcc_lo
	v_cmp_gt_i32_e32 vcc_lo, s11, v36
	v_or_b32_e32 v4, v4, v38
	v_cndmask_b32_e32 v3, 0, v3, vcc_lo
	v_cmp_gt_i32_e32 vcc_lo, s11, v37
	v_cndmask_b32_e32 v33, 0, v33, vcc_lo
.LBB65_33:                              ;   in Loop: Header=BB65_31 Depth=1
	s_or_b32 exec_lo, exec_lo, s18
	v_and_b32_e32 v28, 0xffff, v28
	v_and_b32_e32 v31, 0xffff, v31
	v_lshlrev_b32_e32 v35, 16, v35
	v_and_b32_e32 v32, 0xffff, v32
	v_and_b32_e32 v30, 0xffff, v30
	v_lshl_or_b32 v28, v23, 16, v28
	v_lshl_or_b32 v27, v27, 16, v31
	v_lshlrev_b32_e32 v23, 16, v34
	v_lshlrev_b32_e32 v31, 16, v33
	v_and_or_b32 v1, 0xffff, v1, v35
	;;#ASMSTART
	v_pk_mul_f16 v1, v28, v1;

	;;#ASMEND
	v_lshl_or_b32 v29, v29, 16, v32
	v_and_or_b32 v2, 0xffff, v2, v23
	v_and_or_b32 v3, 0xffff, v3, v31
	v_lshl_or_b32 v30, v24, 16, v30
	;;#ASMSTART
	v_pk_mul_f16 v2, v27, v2;

	;;#ASMEND
	;;#ASMSTART
	v_pk_mul_f16 v3, v29, v3;

	;;#ASMEND
	;; [unrolled: 4-line block ×3, first 2 shown]
	;;#ASMSTART
	v_pk_add_f16 v1, v1, v2;

	;;#ASMEND
	;;#ASMSTART
	v_pk_add_f16 v1, v1, v3;

	;;#ASMEND
	;; [unrolled: 4-line block ×3, first 2 shown]
	v_and_b32_e32 v2, 0xffff, v1
	v_lshrrev_b32_e32 v1, 16, v1
	;;#ASMSTART
	v_cvt_f32_f16 v23, v2;
	;;#ASMEND
	;;#ASMSTART
	v_cvt_f32_f16 v24, v1;
	;;#ASMEND
	global_load_dwordx4 v[1:4], v[7:8], off offset:512
	s_waitcnt vmcnt(0)
	v_lshrrev_b32_e32 v31, 16, v1
	v_lshrrev_b32_e32 v8, 16, v2
	;; [unrolled: 1-line block ×3, first 2 shown]
	s_and_saveexec_b32 s18, s1
	s_cbranch_execz .LBB65_35
; %bb.34:                               ;   in Loop: Header=BB65_31 Depth=1
	v_add_nc_u32_e32 v32, -6, v17
	v_cmp_gt_i32_e32 vcc_lo, s11, v22
	v_add_nc_u32_e32 v33, -5, v17
	v_add_nc_u32_e32 v35, -1, v17
	v_add_nc_u32_e32 v34, -4, v17
	v_cndmask_b32_e32 v1, 0, v1, vcc_lo
	v_cmp_gt_i32_e32 vcc_lo, s11, v32
	v_add_nc_u32_e32 v32, -3, v17
	v_cmp_gt_i32_e64 s2, s11, v34
	v_and_b32_e32 v34, 0xffff0000, v4
	v_cndmask_b32_e32 v31, 0, v31, vcc_lo
	v_cmp_gt_i32_e32 vcc_lo, s11, v33
	v_add_nc_u32_e32 v33, -2, v17
	v_cndmask_b32_e64 v8, 0, v8, s2
	v_cndmask_b32_e32 v2, 0, v2, vcc_lo
	v_cmp_gt_i32_e32 vcc_lo, s11, v35
	v_cndmask_b32_sdwa v4, v16, v4, vcc_lo dst_sel:DWORD dst_unused:UNUSED_PAD src0_sel:DWORD src1_sel:WORD_0
	v_cmp_gt_i32_e32 vcc_lo, s11, v17
	v_cndmask_b32_e32 v34, 0, v34, vcc_lo
	v_cmp_gt_i32_e32 vcc_lo, s11, v32
	v_or_b32_e32 v4, v4, v34
	v_cndmask_b32_e32 v3, 0, v3, vcc_lo
	v_cmp_gt_i32_e32 vcc_lo, s11, v33
	v_cndmask_b32_e32 v7, 0, v7, vcc_lo
.LBB65_35:                              ;   in Loop: Header=BB65_31 Depth=1
	s_or_b32 exec_lo, exec_lo, s18
	v_lshlrev_b32_e32 v31, 16, v31
	v_lshlrev_b32_e32 v8, 16, v8
	;; [unrolled: 1-line block ×3, first 2 shown]
	v_and_or_b32 v1, 0xffff, v1, v31
	v_and_or_b32 v2, 0xffff, v2, v8
	;; [unrolled: 1-line block ×3, first 2 shown]
	;;#ASMSTART
	v_pk_mul_f16 v1, v28, v1;

	;;#ASMEND
	;;#ASMSTART
	v_pk_mul_f16 v2, v27, v2;

	;;#ASMEND
	;; [unrolled: 4-line block ×4, first 2 shown]
	;;#ASMSTART
	v_pk_add_f16 v1, v1, v2;

	;;#ASMEND
	;;#ASMSTART
	v_pk_add_f16 v1, v1, v3;

	;;#ASMEND
	;; [unrolled: 4-line block ×3, first 2 shown]
	v_and_b32_e32 v2, 0xffff, v1
	v_lshrrev_b32_e32 v1, 16, v1
	;;#ASMSTART
	v_cvt_f32_f16 v7, v2;
	;;#ASMEND
	;;#ASMSTART
	v_cvt_f32_f16 v8, v1;
	;;#ASMEND
	s_and_saveexec_b32 s2, s0
	s_cbranch_execz .LBB65_30
; %bb.36:                               ;   in Loop: Header=BB65_31 Depth=1
	v_add_co_u32 v1, vcc_lo, v25, v20
	v_add_co_ci_u32_e64 v2, null, 0, v26, vcc_lo
	global_load_dwordx4 v[1:4], v[1:2], off
	s_waitcnt vmcnt(0)
	v_lshrrev_b32_e32 v31, 16, v1
	v_lshrrev_b32_e32 v26, 16, v2
	;; [unrolled: 1-line block ×3, first 2 shown]
	s_and_saveexec_b32 s18, s1
	s_cbranch_execz .LBB65_29
; %bb.37:                               ;   in Loop: Header=BB65_31 Depth=1
	v_add_nc_u32_e32 v32, -6, v17
	v_cmp_gt_i32_e32 vcc_lo, s11, v22
	v_add_nc_u32_e32 v22, -5, v17
	v_add_nc_u32_e32 v34, -1, v17
	;; [unrolled: 1-line block ×3, first 2 shown]
	v_cndmask_b32_e32 v1, 0, v1, vcc_lo
	v_cmp_gt_i32_e32 vcc_lo, s11, v32
	v_add_nc_u32_e32 v32, -2, v17
	v_cmp_gt_i32_e64 s1, s11, v33
	v_and_b32_e32 v33, 0xffff0000, v4
	v_cndmask_b32_e32 v31, 0, v31, vcc_lo
	v_cmp_gt_i32_e32 vcc_lo, s11, v22
	v_add_nc_u32_e32 v22, -3, v17
	v_cndmask_b32_e64 v26, 0, v26, s1
	v_cndmask_b32_e32 v2, 0, v2, vcc_lo
	v_cmp_gt_i32_e32 vcc_lo, s11, v34
	v_cndmask_b32_sdwa v4, v16, v4, vcc_lo dst_sel:DWORD dst_unused:UNUSED_PAD src0_sel:DWORD src1_sel:WORD_0
	v_cmp_gt_i32_e32 vcc_lo, s11, v17
	v_cndmask_b32_e32 v33, 0, v33, vcc_lo
	v_cmp_gt_i32_e32 vcc_lo, s11, v22
	v_or_b32_e32 v4, v4, v33
	v_cndmask_b32_e32 v3, 0, v3, vcc_lo
	v_cmp_gt_i32_e32 vcc_lo, s11, v32
	v_cndmask_b32_e32 v25, 0, v25, vcc_lo
	s_branch .LBB65_29
.LBB65_38:
	s_or_b32 exec_lo, exec_lo, s13
.LBB65_39:
	s_or_b32 exec_lo, exec_lo, s3
	s_movk_i32 s0, 0x140
	v_and_b32_e32 v2, 0x3c0, v0
	v_mad_u32_u24 v1, v9, s0, 0xc0
	s_mov_b32 s0, exec_lo
	s_barrier
	buffer_gl0_inv
	v_cmpx_eq_u32_e32 64, v2
	s_cbranch_execz .LBB65_42
; %bb.40:
	v_add_nc_u32_e32 v2, 0xfffffd80, v1
	v_cmp_gt_u32_e32 vcc_lo, 0x50, v15
	v_lshl_add_u32 v3, v10, 2, v2
	ds_write2_b32 v3, v14, v13 offset1:32
	s_and_b32 exec_lo, exec_lo, vcc_lo
; %bb.41:
	v_lshl_add_u32 v2, v15, 2, v2
	ds_write_b32 v2, v12
.LBB65_42:
	s_or_b32 exec_lo, exec_lo, s0
	v_lshl_add_u32 v2, v10, 2, v1
	s_mov_b32 s0, exec_lo
	s_waitcnt lgkmcnt(0)
	s_barrier
	buffer_gl0_inv
	v_cmpx_gt_u32_e32 64, v0
	s_cbranch_execz .LBB65_46
; %bb.43:
	v_lshl_or_b32 v3, v0, 2, 0x80
	s_mov_b32 s1, exec_lo
	v_add_nc_u32_e32 v4, v1, v3
	ds_read_b32 v3, v2
	ds_read_b32 v4, v4
	v_cmpx_gt_u32_e32 0x50, v15
	s_cbranch_execz .LBB65_45
; %bb.44:
	ds_read_b32 v5, v2 offset:256
	s_waitcnt lgkmcnt(0)
	v_add_f32_e32 v12, v12, v5
.LBB65_45:
	s_or_b32 exec_lo, exec_lo, s1
	s_waitcnt lgkmcnt(1)
	v_add_f32_e32 v14, v14, v3
	s_waitcnt lgkmcnt(0)
	v_add_f32_e32 v13, v13, v4
.LBB65_46:
	s_or_b32 exec_lo, exec_lo, s0
	v_and_b32_e32 v3, 0x3e0, v0
	s_mov_b32 s0, exec_lo
	s_barrier
	buffer_gl0_inv
	v_cmpx_eq_u32_e32 32, v3
	s_cbranch_execz .LBB65_49
; %bb.47:
	v_lshl_add_u32 v3, v10, 2, 0xc0
	v_cmp_gt_u32_e32 vcc_lo, 0x50, v15
	ds_write_b32 v3, v14
	ds_write_b32 v11, v13
	s_and_b32 exec_lo, exec_lo, vcc_lo
; %bb.48:
	ds_write_b32 v3, v12 offset:256
.LBB65_49:
	s_or_b32 exec_lo, exec_lo, s0
	v_cmp_gt_u32_e32 vcc_lo, 32, v0
	v_or_b32_e32 v3, 64, v0
	s_waitcnt lgkmcnt(0)
	s_barrier
	buffer_gl0_inv
	s_and_saveexec_b32 s1, vcc_lo
	s_cbranch_execz .LBB65_53
; %bb.50:
	v_lshl_add_u32 v4, v0, 2, v1
	s_mov_b32 s2, exec_lo
	ds_read_b32 v1, v2
	ds_read_b32 v2, v4 offset:128
	v_cmpx_gt_u32_e32 0x50, v3
	s_cbranch_execz .LBB65_52
; %bb.51:
	ds_read_b32 v4, v4 offset:256
	s_waitcnt lgkmcnt(0)
	v_add_f32_e32 v12, v12, v4
.LBB65_52:
	s_or_b32 exec_lo, exec_lo, s2
	s_waitcnt lgkmcnt(1)
	v_add_f32_e32 v14, v14, v1
	s_waitcnt lgkmcnt(0)
	v_add_f32_e32 v13, v13, v2
.LBB65_53:
	s_or_b32 exec_lo, exec_lo, s1
	s_barrier
	buffer_gl0_inv
	s_and_saveexec_b32 s0, vcc_lo
	s_cbranch_execz .LBB65_56
; %bb.54:
	s_mul_i32 s0, s10, s7
	s_mul_i32 s2, s7, s6
	;; [unrolled: 1-line block ×3, first 2 shown]
	v_lshlrev_b32_e32 v0, 1, v0
	s_mulk_i32 s0, 0x50
	v_cmp_gt_u32_e32 vcc_lo, 0x50, v3
	s_ashr_i32 s1, s0, 31
	;;#ASMSTART
	v_cvt_f16_f32 v1, v14;

	;;#ASMEND
	s_lshl_b64 s[0:1], s[0:1], 1
	s_add_u32 s4, s16, s0
	s_addc_u32 s5, s17, s1
	s_ashr_i32 s3, s2, 31
	s_lshl_b64 s[0:1], s[2:3], 1
	s_mul_i32 s2, s8, 0x50
	s_add_u32 s4, s4, s0
	s_addc_u32 s5, s5, s1
	s_ashr_i32 s3, s2, 31
	s_lshl_b64 s[0:1], s[2:3], 1
	s_add_u32 s0, s4, s0
	s_addc_u32 s1, s5, s1
	global_store_short v0, v1, s[0:1]
	;;#ASMSTART
	v_cvt_f16_f32 v1, v13;

	;;#ASMEND
	global_store_short v0, v1, s[0:1] offset:64
	s_and_b32 exec_lo, exec_lo, vcc_lo
	s_cbranch_execz .LBB65_56
; %bb.55:
	v_add_co_u32 v0, s0, s0, v0
	v_add_co_ci_u32_e64 v1, null, s1, 0, s0
	;;#ASMSTART
	v_cvt_f16_f32 v2, v12;

	;;#ASMEND
	global_store_short v[0:1], v2, off offset:128
.LBB65_56:
	s_endpgm
	.section	.rodata,"a",@progbits
	.p2align	6, 0x0
	.amdhsa_kernel _ZN4vllm25paged_attention_v1_kernelIttLi80ELi8ELi128ELNS_18Fp8KVCacheDataTypeE0ELb0EEEvPT_PKS2_PKT0_S8_ifPKiSA_iPKfiiiSC_SC_iiiii
		.amdhsa_group_segment_fixed_size 192
		.amdhsa_private_segment_fixed_size 0
		.amdhsa_kernarg_size 384
		.amdhsa_user_sgpr_count 6
		.amdhsa_user_sgpr_private_segment_buffer 1
		.amdhsa_user_sgpr_dispatch_ptr 0
		.amdhsa_user_sgpr_queue_ptr 0
		.amdhsa_user_sgpr_kernarg_segment_ptr 1
		.amdhsa_user_sgpr_dispatch_id 0
		.amdhsa_user_sgpr_flat_scratch_init 0
		.amdhsa_user_sgpr_private_segment_size 0
		.amdhsa_wavefront_size32 1
		.amdhsa_uses_dynamic_stack 0
		.amdhsa_system_sgpr_private_segment_wavefront_offset 0
		.amdhsa_system_sgpr_workgroup_id_x 1
		.amdhsa_system_sgpr_workgroup_id_y 1
		.amdhsa_system_sgpr_workgroup_id_z 1
		.amdhsa_system_sgpr_workgroup_info 0
		.amdhsa_system_vgpr_workitem_id 0
		.amdhsa_next_free_vgpr 52
		.amdhsa_next_free_sgpr 27
		.amdhsa_reserve_vcc 1
		.amdhsa_reserve_flat_scratch 0
		.amdhsa_float_round_mode_32 0
		.amdhsa_float_round_mode_16_64 0
		.amdhsa_float_denorm_mode_32 3
		.amdhsa_float_denorm_mode_16_64 3
		.amdhsa_dx10_clamp 1
		.amdhsa_ieee_mode 1
		.amdhsa_fp16_overflow 0
		.amdhsa_workgroup_processor_mode 1
		.amdhsa_memory_ordered 1
		.amdhsa_forward_progress 1
		.amdhsa_shared_vgpr_count 0
		.amdhsa_exception_fp_ieee_invalid_op 0
		.amdhsa_exception_fp_denorm_src 0
		.amdhsa_exception_fp_ieee_div_zero 0
		.amdhsa_exception_fp_ieee_overflow 0
		.amdhsa_exception_fp_ieee_underflow 0
		.amdhsa_exception_fp_ieee_inexact 0
		.amdhsa_exception_int_div_zero 0
	.end_amdhsa_kernel
	.section	.text._ZN4vllm25paged_attention_v1_kernelIttLi80ELi8ELi128ELNS_18Fp8KVCacheDataTypeE0ELb0EEEvPT_PKS2_PKT0_S8_ifPKiSA_iPKfiiiSC_SC_iiiii,"axG",@progbits,_ZN4vllm25paged_attention_v1_kernelIttLi80ELi8ELi128ELNS_18Fp8KVCacheDataTypeE0ELb0EEEvPT_PKS2_PKT0_S8_ifPKiSA_iPKfiiiSC_SC_iiiii,comdat
.Lfunc_end65:
	.size	_ZN4vllm25paged_attention_v1_kernelIttLi80ELi8ELi128ELNS_18Fp8KVCacheDataTypeE0ELb0EEEvPT_PKS2_PKT0_S8_ifPKiSA_iPKfiiiSC_SC_iiiii, .Lfunc_end65-_ZN4vllm25paged_attention_v1_kernelIttLi80ELi8ELi128ELNS_18Fp8KVCacheDataTypeE0ELb0EEEvPT_PKS2_PKT0_S8_ifPKiSA_iPKfiiiSC_SC_iiiii
                                        ; -- End function
	.set _ZN4vllm25paged_attention_v1_kernelIttLi80ELi8ELi128ELNS_18Fp8KVCacheDataTypeE0ELb0EEEvPT_PKS2_PKT0_S8_ifPKiSA_iPKfiiiSC_SC_iiiii.num_vgpr, 52
	.set _ZN4vllm25paged_attention_v1_kernelIttLi80ELi8ELi128ELNS_18Fp8KVCacheDataTypeE0ELb0EEEvPT_PKS2_PKT0_S8_ifPKiSA_iPKfiiiSC_SC_iiiii.num_agpr, 0
	.set _ZN4vllm25paged_attention_v1_kernelIttLi80ELi8ELi128ELNS_18Fp8KVCacheDataTypeE0ELb0EEEvPT_PKS2_PKT0_S8_ifPKiSA_iPKfiiiSC_SC_iiiii.numbered_sgpr, 27
	.set _ZN4vllm25paged_attention_v1_kernelIttLi80ELi8ELi128ELNS_18Fp8KVCacheDataTypeE0ELb0EEEvPT_PKS2_PKT0_S8_ifPKiSA_iPKfiiiSC_SC_iiiii.num_named_barrier, 0
	.set _ZN4vllm25paged_attention_v1_kernelIttLi80ELi8ELi128ELNS_18Fp8KVCacheDataTypeE0ELb0EEEvPT_PKS2_PKT0_S8_ifPKiSA_iPKfiiiSC_SC_iiiii.private_seg_size, 0
	.set _ZN4vllm25paged_attention_v1_kernelIttLi80ELi8ELi128ELNS_18Fp8KVCacheDataTypeE0ELb0EEEvPT_PKS2_PKT0_S8_ifPKiSA_iPKfiiiSC_SC_iiiii.uses_vcc, 1
	.set _ZN4vllm25paged_attention_v1_kernelIttLi80ELi8ELi128ELNS_18Fp8KVCacheDataTypeE0ELb0EEEvPT_PKS2_PKT0_S8_ifPKiSA_iPKfiiiSC_SC_iiiii.uses_flat_scratch, 0
	.set _ZN4vllm25paged_attention_v1_kernelIttLi80ELi8ELi128ELNS_18Fp8KVCacheDataTypeE0ELb0EEEvPT_PKS2_PKT0_S8_ifPKiSA_iPKfiiiSC_SC_iiiii.has_dyn_sized_stack, 0
	.set _ZN4vllm25paged_attention_v1_kernelIttLi80ELi8ELi128ELNS_18Fp8KVCacheDataTypeE0ELb0EEEvPT_PKS2_PKT0_S8_ifPKiSA_iPKfiiiSC_SC_iiiii.has_recursion, 0
	.set _ZN4vllm25paged_attention_v1_kernelIttLi80ELi8ELi128ELNS_18Fp8KVCacheDataTypeE0ELb0EEEvPT_PKS2_PKT0_S8_ifPKiSA_iPKfiiiSC_SC_iiiii.has_indirect_call, 0
	.section	.AMDGPU.csdata,"",@progbits
; Kernel info:
; codeLenInByte = 5724
; TotalNumSgprs: 29
; NumVgprs: 52
; ScratchSize: 0
; MemoryBound: 0
; FloatMode: 240
; IeeeMode: 1
; LDSByteSize: 192 bytes/workgroup (compile time only)
; SGPRBlocks: 0
; VGPRBlocks: 6
; NumSGPRsForWavesPerEU: 29
; NumVGPRsForWavesPerEU: 52
; Occupancy: 16
; WaveLimiterHint : 1
; COMPUTE_PGM_RSRC2:SCRATCH_EN: 0
; COMPUTE_PGM_RSRC2:USER_SGPR: 6
; COMPUTE_PGM_RSRC2:TRAP_HANDLER: 0
; COMPUTE_PGM_RSRC2:TGID_X_EN: 1
; COMPUTE_PGM_RSRC2:TGID_Y_EN: 1
; COMPUTE_PGM_RSRC2:TGID_Z_EN: 1
; COMPUTE_PGM_RSRC2:TIDIG_COMP_CNT: 0
	.section	.text._ZN4vllm25paged_attention_v1_kernelIttLi96ELi8ELi128ELNS_18Fp8KVCacheDataTypeE0ELb0EEEvPT_PKS2_PKT0_S8_ifPKiSA_iPKfiiiSC_SC_iiiii,"axG",@progbits,_ZN4vllm25paged_attention_v1_kernelIttLi96ELi8ELi128ELNS_18Fp8KVCacheDataTypeE0ELb0EEEvPT_PKS2_PKT0_S8_ifPKiSA_iPKfiiiSC_SC_iiiii,comdat
	.protected	_ZN4vllm25paged_attention_v1_kernelIttLi96ELi8ELi128ELNS_18Fp8KVCacheDataTypeE0ELb0EEEvPT_PKS2_PKT0_S8_ifPKiSA_iPKfiiiSC_SC_iiiii ; -- Begin function _ZN4vllm25paged_attention_v1_kernelIttLi96ELi8ELi128ELNS_18Fp8KVCacheDataTypeE0ELb0EEEvPT_PKS2_PKT0_S8_ifPKiSA_iPKfiiiSC_SC_iiiii
	.globl	_ZN4vllm25paged_attention_v1_kernelIttLi96ELi8ELi128ELNS_18Fp8KVCacheDataTypeE0ELb0EEEvPT_PKS2_PKT0_S8_ifPKiSA_iPKfiiiSC_SC_iiiii
	.p2align	8
	.type	_ZN4vllm25paged_attention_v1_kernelIttLi96ELi8ELi128ELNS_18Fp8KVCacheDataTypeE0ELb0EEEvPT_PKS2_PKT0_S8_ifPKiSA_iPKfiiiSC_SC_iiiii,@function
_ZN4vllm25paged_attention_v1_kernelIttLi96ELi8ELi128ELNS_18Fp8KVCacheDataTypeE0ELb0EEEvPT_PKS2_PKT0_S8_ifPKiSA_iPKfiiiSC_SC_iiiii: ; @_ZN4vllm25paged_attention_v1_kernelIttLi96ELi8ELi128ELNS_18Fp8KVCacheDataTypeE0ELb0EEEvPT_PKS2_PKT0_S8_ifPKiSA_iPKfiiiSC_SC_iiiii
; %bb.0:
	s_clause 0x2
	s_load_dword s9, s[4:5], 0x80
	s_load_dwordx2 s[0:1], s[4:5], 0x30
	s_load_dwordx2 s[24:25], s[4:5], 0x20
	s_mov_b32 s10, s7
	s_ashr_i32 s11, s7, 31
	s_lshl_b64 s[2:3], s[10:11], 2
	s_waitcnt lgkmcnt(0)
	s_add_u32 s0, s0, s2
	s_addc_u32 s1, s1, s3
	s_abs_i32 s2, s24
	s_abs_i32 s11, s9
	v_cvt_f32_u32_e32 v1, s2
	s_sub_i32 s7, 0, s2
	v_rcp_iflag_f32_e32 v1, v1
	v_mul_f32_e32 v1, 0x4f7ffffe, v1
	v_cvt_u32_f32_e32 v1, v1
	v_readfirstlane_b32 s3, v1
	s_mul_i32 s7, s7, s3
	s_mul_hi_u32 s7, s3, s7
	s_add_i32 s3, s3, s7
	s_xor_b32 s7, s9, s24
	s_mul_hi_u32 s3, s11, s3
	s_ashr_i32 s7, s7, 31
	s_mul_i32 s12, s3, s2
	s_mov_b32 s24, 0
	s_sub_i32 s11, s11, s12
	s_add_i32 s12, s3, 1
	s_sub_i32 s13, s11, s2
	s_cmp_ge_u32 s11, s2
	s_cselect_b32 s3, s12, s3
	s_cselect_b32 s11, s13, s11
	s_add_i32 s12, s3, 1
	s_cmp_ge_u32 s11, s2
	s_cselect_b32 s2, s12, s3
	s_abs_i32 s17, s6
	s_xor_b32 s2, s2, s7
	s_sub_i32 s18, s2, s7
	s_load_dwordx2 s[2:3], s[4:5], 0x40
	s_abs_i32 s16, s18
	v_cvt_f32_u32_e32 v1, s16
	s_sub_i32 s11, 0, s16
	v_rcp_iflag_f32_e32 v1, v1
	v_mul_f32_e32 v1, 0x4f7ffffe, v1
	v_cvt_u32_f32_e32 v1, v1
	v_readfirstlane_b32 s7, v1
	s_mul_i32 s11, s11, s7
	s_mul_hi_u32 s11, s7, s11
	s_add_i32 s7, s7, s11
	s_waitcnt lgkmcnt(0)
	s_cmp_eq_u64 s[2:3], 0
	s_mul_hi_u32 s20, s17, s7
	s_cbranch_scc1 .LBB66_2
; %bb.1:
	s_ashr_i32 s7, s6, 31
	s_lshl_b64 s[12:13], s[6:7], 2
	s_add_u32 s2, s2, s12
	s_addc_u32 s3, s3, s13
	s_load_dword s24, s[2:3], 0x0
.LBB66_2:
	s_load_dword s11, s[0:1], 0x0
	s_load_dwordx4 s[12:15], s[4:5], 0x48
	v_and_b32_e32 v1, 3, v0
	v_lshlrev_b32_e32 v2, 2, v0
	s_ashr_i32 s0, s6, 31
	s_ashr_i32 s1, s18, 31
	s_mulk_i32 s6, 0x60
	s_mov_b32 s2, exec_lo
	v_cmpx_gt_u32_e32 48, v0
	s_cbranch_execz .LBB66_4
; %bb.3:
	s_load_dwordx2 s[18:19], s[4:5], 0x8
	s_waitcnt lgkmcnt(0)
	s_mul_i32 s22, s12, s10
	v_and_b32_e32 v4, 0x3fc, v0
	s_ashr_i32 s23, s22, 31
	s_lshl_b64 s[22:23], s[22:23], 1
	v_mad_u32_u24 v4, v1, 48, v4
	s_add_u32 s3, s18, s22
	s_addc_u32 s12, s19, s23
	s_ashr_i32 s7, s6, 31
	s_lshl_b64 s[18:19], s[6:7], 1
	s_add_u32 s18, s3, s18
	s_addc_u32 s19, s12, s19
	global_load_dword v3, v2, s[18:19]
	s_waitcnt vmcnt(0)
	ds_write_b32 v4, v3
.LBB66_4:
	s_or_b32 exec_lo, exec_lo, s2
	s_waitcnt lgkmcnt(0)
	s_add_i32 s2, s11, 7
	s_clause 0x1
	s_load_dwordx2 s[18:19], s[4:5], 0x28
	s_load_dword s7, s[4:5], 0x38
	s_ashr_i32 s3, s2, 31
	s_xor_b32 s0, s0, s1
	s_lshr_b32 s3, s3, 29
	s_mul_i32 s1, s20, s16
	s_add_i32 s2, s2, s3
	s_sub_i32 s1, s17, s1
	s_ashr_i32 s12, s2, 3
	s_add_i32 s2, s20, 1
	s_sub_i32 s3, s1, s16
	s_cmp_ge_u32 s1, s16
	v_lshrrev_b32_e32 v9, 5, v0
	s_cselect_b32 s2, s2, s20
	s_cselect_b32 s1, s3, s1
	s_add_i32 s3, s2, 1
	s_cmp_ge_u32 s1, s16
	v_mbcnt_lo_u32_b32 v4, -1, 0
	s_cselect_b32 s1, s3, s2
	s_mov_b32 s2, exec_lo
	s_xor_b32 s1, s1, s0
	s_waitcnt lgkmcnt(0)
	s_mul_i32 s20, s7, s10
	s_sub_i32 s1, s1, s0
	v_cmp_gt_i32_e64 s0, s12, v9
	s_ashr_i32 s21, s20, 31
	s_barrier
	buffer_gl0_inv
                                        ; implicit-def: $vgpr5
                                        ; implicit-def: $vgpr6
	v_cmpx_le_i32_e64 s12, v9
	s_xor_b32 s2, exec_lo, s2
; %bb.5:
	v_mov_b32_e32 v5, 0
	v_mbcnt_lo_u32_b32 v4, -1, 0
	v_mov_b32_e32 v6, 32
                                        ; implicit-def: $vgpr2
                                        ; implicit-def: $vgpr1
; %bb.6:
	s_or_saveexec_b32 s26, s2
	s_clause 0x2
	s_load_dwordx2 s[16:17], s[4:5], 0x0
	s_load_dwordx2 s[22:23], s[4:5], 0x18
	s_load_dword s7, s[4:5], 0x88
	v_mov_b32_e32 v7, 0xff7fffff
	v_lshrrev_b32_e32 v3, 3, v0
	s_mul_i32 s14, s1, s14
	s_xor_b32 exec_lo, exec_lo, s26
	s_cbranch_execz .LBB66_12
; %bb.7:
	s_load_dwordx2 s[2:3], s[4:5], 0x10
	v_bfe_u32 v6, v0, 2, 3
	s_ashr_i32 s15, s14, 31
	v_mul_u32_u24_e32 v8, 48, v1
	v_cmp_eq_u32_e32 vcc_lo, 0, v1
	s_lshl_b64 s[4:5], s[14:15], 1
	v_lshlrev_b32_e32 v7, 2, v6
	v_lshlrev_b32_e32 v12, 4, v6
	v_and_b32_e32 v2, 12, v2
	v_lshl_or_b32 v10, v9, 3, v6
	v_mov_b32_e32 v5, 0
	v_lshl_or_b32 v1, v9, 5, v7
	v_and_b32_e32 v7, 0x7c, v3
	v_cmp_neq_f32_e64 s1, s24, 0
	v_xor_b32_e32 v14, 2, v4
	v_xor_b32_e32 v15, 1, v4
	v_add_nc_u32_e32 v11, 0xe0, v1
	v_mov_b32_e32 v16, v9
	s_waitcnt lgkmcnt(0)
	s_add_u32 s15, s2, s4
	s_addc_u32 s5, s3, s5
	v_add_co_u32 v1, s15, s15, v12
	v_add_co_ci_u32_e64 v6, null, s5, 0, s15
	s_lshl_b64 s[2:3], s[20:21], 2
	s_sub_i32 s4, 1, s11
	s_add_u32 s5, s18, s2
	v_add_co_u32 v12, s2, v1, v2
	s_addc_u32 s3, s19, s3
	v_add_co_ci_u32_e64 v13, null, 0, v6, s2
	v_add_co_u32 v1, s2, s5, v7
	v_add_co_ci_u32_e64 v2, null, s3, 0, s2
	v_mov_b32_e32 v7, 0xff7fffff
	v_mov_b32_e32 v6, 32
	s_mov_b32 s15, s13
	s_mov_b32 s5, 0
	s_branch .LBB66_9
.LBB66_8:                               ;   in Loop: Header=BB66_9 Depth=1
	s_or_b32 exec_lo, exec_lo, s3
	v_add_nc_u32_e32 v16, 4, v16
	v_add_co_u32 v1, s3, v1, 16
	v_add_nc_u32_e32 v10, 32, v10
	v_add_nc_u32_e32 v11, 0x80, v11
	v_cmp_le_i32_e64 s2, s12, v16
	v_add_co_ci_u32_e64 v2, null, 0, v2, s3
	s_or_b32 s5, s2, s5
	s_andn2_b32 exec_lo, exec_lo, s5
	s_cbranch_execz .LBB66_11
.LBB66_9:                               ; =>This Inner Loop Header: Depth=1
	global_load_dword v17, v[1:2], off
	s_waitcnt vmcnt(0) lgkmcnt(0)
	v_mad_i64_i32 v[17:18], null, v17, s15, 0
	v_lshlrev_b64 v[17:18], 1, v[17:18]
	v_add_co_u32 v17, s2, v12, v17
	v_add_co_ci_u32_e64 v18, null, v13, v18, s2
	v_cmp_gt_i32_e64 s2, 32, v14
	s_clause 0xb
	global_load_dword v19, v[17:18], off
	global_load_dword v20, v[17:18], off offset:128
	global_load_dword v21, v[17:18], off offset:256
	;; [unrolled: 1-line block ×11, first 2 shown]
	ds_read_b32 v30, v8
	s_waitcnt lgkmcnt(0)
	v_and_b32_e32 v18, 0xffff, v30
	v_lshrrev_b32_e32 v30, 16, v30
	;;#ASMSTART
	v_cvt_f32_f16 v18, v18;
	;;#ASMEND
	s_waitcnt vmcnt(11)
	v_and_b32_e32 v31, 0xffff, v19
	v_lshrrev_b32_e32 v32, 16, v19
	;;#ASMSTART
	v_cvt_f32_f16 v19, v30;
	;;#ASMEND
	;;#ASMSTART
	v_cvt_f32_f16 v30, v31;
	;;#ASMEND
	;; [unrolled: 3-line block ×3, first 2 shown]
	ds_read_b32 v32, v8 offset:4
	s_waitcnt vmcnt(10)
	v_and_b32_e32 v34, 0xffff, v20
	v_lshrrev_b32_e32 v35, 16, v20
	s_waitcnt vmcnt(9)
	v_and_b32_e32 v37, 0xffff, v21
	v_lshrrev_b32_e32 v38, 16, v21
	;; [unrolled: 3-line block ×8, first 2 shown]
	s_waitcnt vmcnt(2)
	v_lshrrev_b32_e32 v57, 16, v28
	v_and_b32_e32 v59, 0xffff, v28
	s_waitcnt lgkmcnt(0)
	v_and_b32_e32 v33, 0xffff, v32
	v_lshrrev_b32_e32 v32, 16, v32
	;;#ASMSTART
	v_cvt_f32_f16 v20, v33;
	;;#ASMEND
	;;#ASMSTART
	v_cvt_f32_f16 v32, v32;
	;;#ASMEND
	;; [unrolled: 3-line block ×4, first 2 shown]
	ds_read_b32 v35, v8 offset:8
	v_mul_f32_e32 v20, v20, v33
	v_mul_f32_e32 v28, v32, v34
	v_fmac_f32_e32 v20, v18, v30
	v_fmac_f32_e32 v28, v19, v31
	s_waitcnt lgkmcnt(0)
	v_and_b32_e32 v36, 0xffff, v35
	v_lshrrev_b32_e32 v35, 16, v35
	;;#ASMSTART
	v_cvt_f32_f16 v21, v36;
	;;#ASMEND
	;;#ASMSTART
	v_cvt_f32_f16 v35, v35;
	;;#ASMEND
	;; [unrolled: 3-line block ×4, first 2 shown]
	ds_read_b32 v38, v8 offset:12
	v_fmac_f32_e32 v20, v21, v36
	v_fmac_f32_e32 v28, v35, v37
	s_waitcnt vmcnt(1)
	v_and_b32_e32 v21, 0xffff, v29
	s_waitcnt lgkmcnt(0)
	v_and_b32_e32 v39, 0xffff, v38
	v_lshrrev_b32_e32 v38, 16, v38
	;;#ASMSTART
	v_cvt_f32_f16 v22, v39;
	;;#ASMEND
	;;#ASMSTART
	v_cvt_f32_f16 v38, v38;
	;;#ASMEND
	;; [unrolled: 3-line block ×4, first 2 shown]
	ds_read_b32 v41, v8 offset:16
	v_fmac_f32_e32 v20, v22, v39
	v_fmac_f32_e32 v28, v38, v40
	v_lshrrev_b32_e32 v22, 16, v29
	s_waitcnt lgkmcnt(0)
	v_and_b32_e32 v42, 0xffff, v41
	v_lshrrev_b32_e32 v41, 16, v41
	;;#ASMSTART
	v_cvt_f32_f16 v23, v42;
	;;#ASMEND
	;;#ASMSTART
	v_cvt_f32_f16 v41, v41;
	;;#ASMEND
	;; [unrolled: 3-line block ×4, first 2 shown]
	ds_read_b32 v44, v8 offset:20
	v_fmac_f32_e32 v20, v23, v42
	v_fmac_f32_e32 v28, v41, v43
	s_waitcnt lgkmcnt(0)
	v_and_b32_e32 v45, 0xffff, v44
	v_lshrrev_b32_e32 v44, 16, v44
	;;#ASMSTART
	v_cvt_f32_f16 v24, v45;
	;;#ASMEND
	;;#ASMSTART
	v_cvt_f32_f16 v44, v44;
	;;#ASMEND
	;; [unrolled: 3-line block ×4, first 2 shown]
	ds_read_b32 v47, v8 offset:24
	v_fmac_f32_e32 v20, v24, v45
	v_fmac_f32_e32 v28, v44, v46
	v_cndmask_b32_e64 v24, v4, v14, s2
	v_cmp_gt_i32_e64 s2, 32, v15
	s_waitcnt lgkmcnt(0)
	v_and_b32_e32 v48, 0xffff, v47
	v_lshrrev_b32_e32 v47, 16, v47
	;;#ASMSTART
	v_cvt_f32_f16 v25, v48;
	;;#ASMEND
	;;#ASMSTART
	v_cvt_f32_f16 v47, v47;
	;;#ASMEND
	;; [unrolled: 3-line block ×4, first 2 shown]
	ds_read_b32 v50, v8 offset:28
	v_fmac_f32_e32 v20, v25, v48
	v_fmac_f32_e32 v28, v47, v49
	s_waitcnt vmcnt(0)
	v_lshrrev_b32_e32 v25, 16, v17
	s_waitcnt lgkmcnt(0)
	v_and_b32_e32 v51, 0xffff, v50
	v_lshrrev_b32_e32 v50, 16, v50
	;;#ASMSTART
	v_cvt_f32_f16 v26, v51;
	;;#ASMEND
	;;#ASMSTART
	v_cvt_f32_f16 v50, v50;
	;;#ASMEND
	;; [unrolled: 3-line block ×4, first 2 shown]
	ds_read_b32 v53, v8 offset:32
	v_fmac_f32_e32 v20, v26, v51
	v_fmac_f32_e32 v28, v50, v52
	s_waitcnt lgkmcnt(0)
	v_and_b32_e32 v54, 0xffff, v53
	v_lshrrev_b32_e32 v53, 16, v53
	;;#ASMSTART
	v_cvt_f32_f16 v27, v54;
	;;#ASMEND
	;;#ASMSTART
	v_cvt_f32_f16 v53, v53;
	;;#ASMEND
	;; [unrolled: 3-line block ×4, first 2 shown]
	ds_read_b32 v56, v8 offset:36
	v_fmac_f32_e32 v20, v27, v54
	v_fmac_f32_e32 v28, v53, v55
	v_and_b32_e32 v27, 0xffff, v17
	s_waitcnt lgkmcnt(0)
	v_and_b32_e32 v58, 0xffff, v56
	v_lshrrev_b32_e32 v56, 16, v56
	;;#ASMSTART
	v_cvt_f32_f16 v32, v58;
	;;#ASMEND
	;;#ASMSTART
	v_cvt_f32_f16 v33, v56;
	;;#ASMEND
	;; [unrolled: 3-line block ×4, first 2 shown]
	ds_read_b32 v57, v8 offset:40
	v_fmac_f32_e32 v20, v32, v34
	v_fmac_f32_e32 v28, v33, v56
	s_waitcnt lgkmcnt(0)
	v_and_b32_e32 v18, 0xffff, v57
	v_lshrrev_b32_e32 v19, 16, v57
	;;#ASMSTART
	v_cvt_f32_f16 v18, v18;
	;;#ASMEND
	;;#ASMSTART
	v_cvt_f32_f16 v19, v19;
	;;#ASMEND
	;; [unrolled: 3-line block ×4, first 2 shown]
	ds_read_b32 v23, v8 offset:44
	v_fmac_f32_e32 v20, v18, v21
	v_fmac_f32_e32 v28, v19, v22
	s_waitcnt lgkmcnt(0)
	v_and_b32_e32 v26, 0xffff, v23
	v_lshrrev_b32_e32 v23, 16, v23
	;;#ASMSTART
	v_cvt_f32_f16 v17, v26;
	;;#ASMEND
	;;#ASMSTART
	v_cvt_f32_f16 v18, v23;
	;;#ASMEND
	;; [unrolled: 3-line block ×4, first 2 shown]
	v_fmac_f32_e32 v20, v17, v19
	v_fmac_f32_e32 v28, v18, v21
	v_lshlrev_b32_e32 v17, 2, v24
	v_cndmask_b32_e64 v19, v4, v15, s2
	v_add_f32_e32 v18, v20, v28
	ds_bpermute_b32 v17, v17, v18
	s_waitcnt lgkmcnt(0)
	v_add_f32_e32 v17, v18, v17
	v_lshlrev_b32_e32 v18, 2, v19
	ds_bpermute_b32 v18, v18, v17
	s_and_saveexec_b32 s3, vcc_lo
	s_cbranch_execz .LBB66_8
; %bb.10:                               ;   in Loop: Header=BB66_9 Depth=1
	v_add_nc_u32_e32 v19, s4, v10
	s_waitcnt lgkmcnt(0)
	v_add_f32_e32 v17, v17, v18
	v_cmp_gt_i32_e64 s2, s11, v10
	v_cvt_f32_i32_e32 v19, v19
	v_mul_f32_e32 v19, s24, v19
	v_cndmask_b32_e64 v18, 0, v19, s1
	v_max_f32_e32 v19, v7, v7
	v_fmac_f32_e32 v18, s25, v17
	v_max_f32_e32 v17, v19, v18
	v_cndmask_b32_e64 v18, 0, v18, s2
	v_cndmask_b32_e64 v7, v7, v17, s2
	ds_write_b32 v11, v18
	s_branch .LBB66_8
.LBB66_11:
	s_or_b32 exec_lo, exec_lo, s5
.LBB66_12:
	s_or_b32 exec_lo, exec_lo, s26
	v_xor_b32_e32 v1, 16, v4
	v_xor_b32_e32 v8, 8, v4
	v_max_f32_e32 v10, v7, v7
	v_cmp_lt_i32_e32 vcc_lo, v1, v6
	v_cndmask_b32_e32 v1, v4, v1, vcc_lo
	v_cmp_lt_i32_e32 vcc_lo, v8, v6
	v_lshlrev_b32_e32 v2, 2, v1
	ds_bpermute_b32 v1, v2, v7
	v_cndmask_b32_e32 v7, v4, v8, vcc_lo
	v_lshlrev_b32_e32 v7, 2, v7
	s_waitcnt lgkmcnt(0)
	v_max_f32_e32 v1, v1, v1
	v_max_f32_e32 v1, v10, v1
	v_xor_b32_e32 v10, 4, v4
	ds_bpermute_b32 v8, v7, v1
	v_cmp_lt_i32_e32 vcc_lo, v10, v6
	v_cndmask_b32_e32 v10, v4, v10, vcc_lo
	v_lshlrev_b32_e32 v12, 2, v10
	v_and_b32_e32 v10, 31, v0
	v_cmp_eq_u32_e32 vcc_lo, 0, v10
	s_waitcnt lgkmcnt(0)
	v_max_f32_e32 v8, v8, v8
	v_max_f32_e32 v1, v1, v8
	v_lshlrev_b32_e32 v8, 2, v9
	ds_bpermute_b32 v11, v12, v1
	s_and_saveexec_b32 s1, vcc_lo
	s_cbranch_execz .LBB66_14
; %bb.13:
	s_waitcnt lgkmcnt(0)
	v_max_f32_e32 v11, v11, v11
	v_max_f32_e32 v1, v1, v1
	;; [unrolled: 1-line block ×3, first 2 shown]
	ds_write_b32 v8, v1 offset:192
.LBB66_14:
	s_or_b32 exec_lo, exec_lo, s1
	v_cmp_gt_u32_e64 s1, 4, v10
	v_mov_b32_e32 v1, 0xff7fffff
	s_waitcnt lgkmcnt(0)
	v_lshlrev_b32_e32 v11, 2, v10
	s_barrier
	buffer_gl0_inv
	s_and_saveexec_b32 s2, s1
; %bb.15:
	ds_read_b32 v1, v11 offset:192
; %bb.16:
	s_or_b32 exec_lo, exec_lo, s2
	v_xor_b32_e32 v13, 2, v4
	v_xor_b32_e32 v15, 1, v4
	v_lshlrev_b32_e32 v5, 2, v5
	v_cmp_lt_i32_e64 s2, v13, v6
	v_cndmask_b32_e64 v13, v4, v13, s2
	v_cmp_lt_i32_e64 s2, v15, v6
	v_lshlrev_b32_e32 v13, 2, v13
	v_cndmask_b32_e64 v6, v4, v15, s2
	s_lshl_b32 s2, s12, 3
	s_min_i32 s4, s2, s11
	s_waitcnt lgkmcnt(0)
	ds_bpermute_b32 v14, v13, v1
	v_max_f32_e32 v1, v1, v1
	v_lshlrev_b32_e32 v6, 2, v6
	v_cmp_gt_i32_e64 s2, s4, v0
	s_waitcnt lgkmcnt(0)
	v_max_f32_e32 v14, v14, v14
	v_max_f32_e32 v1, v1, v14
	ds_bpermute_b32 v14, v6, v1
	s_waitcnt lgkmcnt(0)
	v_max_f32_e32 v14, v14, v14
	v_max_f32_e32 v1, v1, v14
	ds_bpermute_b32 v14, v5, v1
	v_mov_b32_e32 v5, 0
	v_lshl_add_u32 v1, v0, 2, 0xe0
	s_and_saveexec_b32 s5, s2
	s_cbranch_execz .LBB66_20
; %bb.17:
	v_lshl_add_u32 v15, v0, 2, 0xe0
	v_mov_b32_e32 v5, 0
	v_mov_b32_e32 v16, v0
	s_mov_b32 s15, 0
	.p2align	6
.LBB66_18:                              ; =>This Inner Loop Header: Depth=1
	ds_read_b32 v17, v15
	v_add_nc_u32_e32 v16, 0x80, v16
	v_cmp_le_i32_e64 s3, s4, v16
	s_or_b32 s15, s3, s15
	s_waitcnt lgkmcnt(0)
	v_sub_f32_e32 v17, v17, v14
	v_mul_f32_e32 v17, 0x3fb8aa3b, v17
	v_exp_f32_e32 v17, v17
	ds_write_b32 v15, v17
	v_add_f32_e32 v5, v5, v17
	v_add_nc_u32_e32 v15, 0x200, v15
	s_andn2_b32 exec_lo, exec_lo, s15
	s_cbranch_execnz .LBB66_18
; %bb.19:
	s_or_b32 exec_lo, exec_lo, s15
.LBB66_20:
	s_or_b32 exec_lo, exec_lo, s5
	ds_bpermute_b32 v2, v2, v5
	s_waitcnt lgkmcnt(0)
	v_add_f32_e32 v2, v5, v2
	ds_bpermute_b32 v5, v7, v2
	s_waitcnt lgkmcnt(0)
	v_add_f32_e32 v2, v2, v5
	;; [unrolled: 3-line block ×5, first 2 shown]
	s_and_saveexec_b32 s3, vcc_lo
; %bb.21:
	ds_write_b32 v8, v2 offset:208
; %bb.22:
	s_or_b32 exec_lo, exec_lo, s3
	s_waitcnt lgkmcnt(0)
	s_barrier
	buffer_gl0_inv
	s_and_saveexec_b32 s3, s1
; %bb.23:
	ds_read_b32 v2, v11 offset:208
; %bb.24:
	s_or_b32 exec_lo, exec_lo, s3
	s_waitcnt lgkmcnt(0)
	ds_bpermute_b32 v5, v13, v2
	v_lshlrev_b32_e32 v4, 2, v4
	v_and_b32_e32 v4, 0xffffff80, v4
	s_waitcnt lgkmcnt(0)
	v_add_f32_e32 v2, v2, v5
	ds_bpermute_b32 v5, v6, v2
	s_waitcnt lgkmcnt(0)
	v_add_f32_e32 v2, v2, v5
	ds_bpermute_b32 v2, v4, v2
	s_and_saveexec_b32 s1, s2
	s_cbranch_execz .LBB66_27
; %bb.25:
	s_waitcnt lgkmcnt(0)
	v_add_f32_e32 v2, 0x358637bd, v2
	s_mov_b32 s2, 0
	v_div_scale_f32 v4, null, v2, v2, 1.0
	v_div_scale_f32 v7, vcc_lo, 1.0, v2, 1.0
	v_rcp_f32_e32 v5, v4
	v_fma_f32 v6, -v4, v5, 1.0
	v_fmac_f32_e32 v5, v6, v5
	v_mul_f32_e32 v6, v7, v5
	v_fma_f32 v8, -v4, v6, v7
	v_fmac_f32_e32 v6, v8, v5
	v_fma_f32 v4, -v4, v6, v7
	v_div_fmas_f32 v4, v4, v5, v6
	v_div_fixup_f32 v2, v4, v2, 1.0
	v_mov_b32_e32 v4, v0
.LBB66_26:                              ; =>This Inner Loop Header: Depth=1
	ds_read_b32 v5, v1
	v_add_nc_u32_e32 v4, 0x80, v4
	v_cmp_le_i32_e32 vcc_lo, s4, v4
	s_or_b32 s2, vcc_lo, s2
	s_waitcnt lgkmcnt(0)
	v_mul_f32_e32 v5, v2, v5
	ds_write_b32 v1, v5
	v_add_nc_u32_e32 v1, 0x200, v1
	s_andn2_b32 exec_lo, exec_lo, s2
	s_cbranch_execnz .LBB66_26
.LBB66_27:
	s_or_b32 exec_lo, exec_lo, s1
	v_mov_b32_e32 v13, 0
	v_mov_b32_e32 v12, 0
	;; [unrolled: 1-line block ×3, first 2 shown]
	s_waitcnt lgkmcnt(0)
	s_barrier
	buffer_gl0_inv
	s_and_saveexec_b32 s2, s0
	s_cbranch_execz .LBB66_37
; %bb.28:
	s_ashr_i32 s15, s14, 31
	v_lshlrev_b32_e32 v1, 4, v10
	s_lshl_b64 s[0:1], s[14:15], 1
	v_mov_b32_e32 v14, 0
	s_add_u32 s0, s22, s0
	s_addc_u32 s1, s23, s1
	v_add_co_u32 v15, s0, s0, v1
	v_and_b32_e32 v1, 0x7c, v3
	v_add_co_ci_u32_e64 v16, null, s1, 0, s0
	s_lshl_b64 s[0:1], s[20:21], 2
	s_add_i32 s3, s12, -1
	s_add_u32 s0, s18, s0
	s_addc_u32 s1, s19, s1
	v_add_co_u32 v5, s0, s0, v1
	v_lshl_or_b32 v17, v9, 3, 7
	v_lshl_add_u32 v18, v9, 5, 0xe0
	v_add_co_ci_u32_e64 v6, null, s1, 0, s0
	v_mov_b32_e32 v11, 0
	v_mov_b32_e32 v12, 0
	;; [unrolled: 1-line block ×4, first 2 shown]
	s_mov_b32 s5, s13
	s_mov_b32 s4, 0
	s_branch .LBB66_30
.LBB66_29:                              ;   in Loop: Header=BB66_30 Depth=1
	s_or_b32 exec_lo, exec_lo, s1
	v_lshlrev_b32_e32 v20, 16, v35
	v_lshlrev_b32_e32 v8, 16, v8
	;; [unrolled: 1-line block ×3, first 2 shown]
	v_add_nc_u32_e32 v19, 4, v19
	v_add_co_u32 v5, s0, v5, 16
	v_and_or_b32 v1, 0xffff, v1, v20
	v_and_or_b32 v2, 0xffff, v2, v8
	;; [unrolled: 1-line block ×3, first 2 shown]
	;;#ASMSTART
	v_pk_mul_f16 v1, v28, v1;

	;;#ASMEND
	;;#ASMSTART
	v_pk_mul_f16 v2, v27, v2;

	;;#ASMEND
	;; [unrolled: 4-line block ×4, first 2 shown]
	;;#ASMSTART
	v_pk_add_f16 v1, v1, v2;

	;;#ASMEND
	;;#ASMSTART
	v_pk_add_f16 v1, v1, v3;

	;;#ASMEND
	;; [unrolled: 4-line block ×3, first 2 shown]
	v_and_b32_e32 v3, 0xffff, v1
	v_lshrrev_b32_e32 v4, 16, v1
	;;#ASMSTART
	v_cvt_f32_f16 v3, v3;
	;;#ASMEND
	v_add_f32_e32 v1, v33, v34
	v_add_f32_e32 v2, v31, v32
	;;#ASMSTART
	v_cvt_f32_f16 v4, v4;
	;;#ASMEND
	v_add_f32_e32 v3, v3, v4
	v_cmp_le_i32_e32 vcc_lo, s12, v19
	v_add_nc_u32_e32 v17, 32, v17
	v_add_nc_u32_e32 v18, 0x80, v18
	v_add_f32_e32 v12, v12, v1
	v_add_f32_e32 v13, v13, v2
	;; [unrolled: 1-line block ×3, first 2 shown]
	v_add_co_ci_u32_e64 v6, null, 0, v6, s0
	s_or_b32 s4, vcc_lo, s4
	s_andn2_b32 exec_lo, exec_lo, s4
	s_cbranch_execz .LBB66_36
.LBB66_30:                              ; =>This Inner Loop Header: Depth=1
	global_load_dword v7, v[5:6], off
	ds_read2_b64 v[1:4], v18 offset1:1
	ds_read2_b64 v[20:23], v18 offset0:2 offset1:3
	v_add_nc_u32_e32 v24, -7, v17
	v_cmp_eq_u32_e64 s0, s3, v19
	v_add_nc_u32_e32 v26, -6, v17
	v_add_nc_u32_e32 v25, -1, v17
	s_waitcnt lgkmcnt(1)
	;;#ASMSTART
	v_cvt_f16_f32 v28, v1;

	;;#ASMEND
	;;#ASMSTART
	v_cvt_f16_f32 v27, v2;

	;;#ASMEND
	;; [unrolled: 4-line block ×4, first 2 shown]
	s_waitcnt lgkmcnt(0)
	;;#ASMSTART
	v_cvt_f16_f32 v34, v20;

	;;#ASMEND
	;;#ASMSTART
	v_cvt_f16_f32 v29, v21;

	;;#ASMEND
	;; [unrolled: 4-line block ×4, first 2 shown]
	v_add_nc_u32_e32 v23, -5, v17
	v_add_nc_u32_e32 v22, -4, v17
	;; [unrolled: 1-line block ×4, first 2 shown]
	s_waitcnt vmcnt(0)
	v_mad_i64_i32 v[7:8], null, v7, s5, 0
	v_lshlrev_b64 v[7:8], 1, v[7:8]
	v_add_co_u32 v7, vcc_lo, v15, v7
	v_add_co_ci_u32_e64 v8, null, v16, v8, vcc_lo
	global_load_dwordx4 v[1:4], v[7:8], off
	s_waitcnt vmcnt(0)
	v_lshrrev_b32_e32 v37, 16, v1
	v_lshrrev_b32_e32 v36, 16, v2
	;; [unrolled: 1-line block ×3, first 2 shown]
	s_and_saveexec_b32 s13, s0
	s_cbranch_execz .LBB66_32
; %bb.31:                               ;   in Loop: Header=BB66_30 Depth=1
	v_cmp_gt_i32_e32 vcc_lo, s11, v24
	v_and_b32_e32 v38, 0xffff0000, v4
	v_cmp_gt_i32_e64 s1, s11, v23
	v_cndmask_b32_e32 v1, 0, v1, vcc_lo
	v_cmp_gt_i32_e32 vcc_lo, s11, v26
	v_cndmask_b32_e64 v2, 0, v2, s1
	v_cmp_gt_i32_e64 s1, s11, v22
	v_cndmask_b32_e32 v37, 0, v37, vcc_lo
	v_cmp_gt_i32_e32 vcc_lo, s11, v25
	v_cndmask_b32_e64 v36, 0, v36, s1
	v_cndmask_b32_sdwa v4, v14, v4, vcc_lo dst_sel:DWORD dst_unused:UNUSED_PAD src0_sel:DWORD src1_sel:WORD_0
	v_cmp_gt_i32_e32 vcc_lo, s11, v17
	v_cndmask_b32_e32 v38, 0, v38, vcc_lo
	v_cmp_gt_i32_e32 vcc_lo, s11, v21
	v_or_b32_e32 v4, v4, v38
	v_cndmask_b32_e32 v3, 0, v3, vcc_lo
	v_cmp_gt_i32_e32 vcc_lo, s11, v20
	v_cndmask_b32_e32 v35, 0, v35, vcc_lo
.LBB66_32:                              ;   in Loop: Header=BB66_30 Depth=1
	s_or_b32 exec_lo, exec_lo, s13
	v_and_b32_e32 v28, 0xffff, v28
	v_and_b32_e32 v33, 0xffff, v33
	v_lshlrev_b32_e32 v37, 16, v37
	v_and_b32_e32 v34, 0xffff, v34
	v_and_b32_e32 v32, 0xffff, v32
	v_lshl_or_b32 v28, v27, 16, v28
	v_lshl_or_b32 v27, v31, 16, v33
	v_lshlrev_b32_e32 v31, 16, v36
	v_lshlrev_b32_e32 v33, 16, v35
	v_and_or_b32 v1, 0xffff, v1, v37
	;;#ASMSTART
	v_pk_mul_f16 v1, v28, v1;

	;;#ASMEND
	v_lshl_or_b32 v29, v29, 16, v34
	v_and_or_b32 v2, 0xffff, v2, v31
	v_and_or_b32 v3, 0xffff, v3, v33
	v_lshl_or_b32 v30, v30, 16, v32
	;;#ASMSTART
	v_pk_mul_f16 v2, v27, v2;

	;;#ASMEND
	;;#ASMSTART
	v_pk_mul_f16 v3, v29, v3;

	;;#ASMEND
	;; [unrolled: 4-line block ×3, first 2 shown]
	;;#ASMSTART
	v_pk_add_f16 v1, v1, v2;

	;;#ASMEND
	;;#ASMSTART
	v_pk_add_f16 v1, v1, v3;

	;;#ASMEND
	;; [unrolled: 4-line block ×3, first 2 shown]
	v_and_b32_e32 v2, 0xffff, v1
	v_lshrrev_b32_e32 v1, 16, v1
	;;#ASMSTART
	v_cvt_f32_f16 v31, v2;
	;;#ASMEND
	;;#ASMSTART
	v_cvt_f32_f16 v32, v1;
	;;#ASMEND
	global_load_dwordx4 v[1:4], v[7:8], off offset:512
	s_waitcnt vmcnt(0)
	v_lshrrev_b32_e32 v35, 16, v1
	v_lshrrev_b32_e32 v34, 16, v2
	;; [unrolled: 1-line block ×3, first 2 shown]
	s_and_saveexec_b32 s13, s0
	s_cbranch_execz .LBB66_34
; %bb.33:                               ;   in Loop: Header=BB66_30 Depth=1
	v_cmp_gt_i32_e32 vcc_lo, s11, v24
	v_and_b32_e32 v36, 0xffff0000, v4
	v_cmp_gt_i32_e64 s1, s11, v23
	v_cndmask_b32_e32 v1, 0, v1, vcc_lo
	v_cmp_gt_i32_e32 vcc_lo, s11, v26
	v_cndmask_b32_e64 v2, 0, v2, s1
	v_cmp_gt_i32_e64 s1, s11, v22
	v_cndmask_b32_e32 v35, 0, v35, vcc_lo
	v_cmp_gt_i32_e32 vcc_lo, s11, v25
	v_cndmask_b32_e64 v34, 0, v34, s1
	v_cndmask_b32_sdwa v4, v14, v4, vcc_lo dst_sel:DWORD dst_unused:UNUSED_PAD src0_sel:DWORD src1_sel:WORD_0
	v_cmp_gt_i32_e32 vcc_lo, s11, v17
	v_cndmask_b32_e32 v36, 0, v36, vcc_lo
	v_cmp_gt_i32_e32 vcc_lo, s11, v21
	v_or_b32_e32 v4, v4, v36
	v_cndmask_b32_e32 v3, 0, v3, vcc_lo
	v_cmp_gt_i32_e32 vcc_lo, s11, v20
	v_cndmask_b32_e32 v33, 0, v33, vcc_lo
.LBB66_34:                              ;   in Loop: Header=BB66_30 Depth=1
	s_or_b32 exec_lo, exec_lo, s13
	v_lshlrev_b32_e32 v35, 16, v35
	v_lshlrev_b32_e32 v34, 16, v34
	;; [unrolled: 1-line block ×3, first 2 shown]
	v_and_or_b32 v1, 0xffff, v1, v35
	v_and_or_b32 v2, 0xffff, v2, v34
	;; [unrolled: 1-line block ×3, first 2 shown]
	;;#ASMSTART
	v_pk_mul_f16 v1, v28, v1;

	;;#ASMEND
	;;#ASMSTART
	v_pk_mul_f16 v2, v27, v2;

	;;#ASMEND
	;; [unrolled: 4-line block ×4, first 2 shown]
	;;#ASMSTART
	v_pk_add_f16 v1, v1, v2;

	;;#ASMEND
	;;#ASMSTART
	v_pk_add_f16 v1, v1, v3;

	;;#ASMEND
	;; [unrolled: 4-line block ×3, first 2 shown]
	v_and_b32_e32 v2, 0xffff, v1
	v_lshrrev_b32_e32 v1, 16, v1
	;;#ASMSTART
	v_cvt_f32_f16 v33, v2;
	;;#ASMEND
	;;#ASMSTART
	v_cvt_f32_f16 v34, v1;
	;;#ASMEND
	global_load_dwordx4 v[1:4], v[7:8], off offset:1024
	s_waitcnt vmcnt(0)
	v_lshrrev_b32_e32 v35, 16, v1
	v_lshrrev_b32_e32 v8, 16, v2
	;; [unrolled: 1-line block ×3, first 2 shown]
	s_and_saveexec_b32 s1, s0
	s_cbranch_execz .LBB66_29
; %bb.35:                               ;   in Loop: Header=BB66_30 Depth=1
	v_cmp_gt_i32_e32 vcc_lo, s11, v24
	v_cmp_gt_i32_e64 s0, s11, v23
	v_cndmask_b32_e32 v1, 0, v1, vcc_lo
	v_cmp_gt_i32_e32 vcc_lo, s11, v26
	v_cndmask_b32_e64 v2, 0, v2, s0
	v_cmp_gt_i32_e64 s0, s11, v22
	v_and_b32_e32 v22, 0xffff0000, v4
	v_cndmask_b32_e32 v35, 0, v35, vcc_lo
	v_cmp_gt_i32_e32 vcc_lo, s11, v25
	v_cndmask_b32_e64 v8, 0, v8, s0
	v_cndmask_b32_sdwa v4, v14, v4, vcc_lo dst_sel:DWORD dst_unused:UNUSED_PAD src0_sel:DWORD src1_sel:WORD_0
	v_cmp_gt_i32_e32 vcc_lo, s11, v17
	v_cndmask_b32_e32 v22, 0, v22, vcc_lo
	v_cmp_gt_i32_e32 vcc_lo, s11, v21
	v_or_b32_e32 v4, v4, v22
	v_cndmask_b32_e32 v3, 0, v3, vcc_lo
	v_cmp_gt_i32_e32 vcc_lo, s11, v20
	v_cndmask_b32_e32 v7, 0, v7, vcc_lo
	s_branch .LBB66_29
.LBB66_36:
	s_or_b32 exec_lo, exec_lo, s4
.LBB66_37:
	s_or_b32 exec_lo, exec_lo, s2
	v_lshl_add_u32 v2, v10, 2, 0xe0
	v_and_b32_e32 v3, 0x3c0, v0
	s_mov_b32 s0, exec_lo
	s_barrier
	v_mad_u32_u24 v1, 0x180, v9, v2
	buffer_gl0_inv
	v_cmpx_eq_u32_e32 64, v3
	s_cbranch_execz .LBB66_39
; %bb.38:
	v_add_nc_u32_e32 v3, 0xfffffd00, v1
	v_add_nc_u32_e32 v4, 0xfffffd80, v1
	;; [unrolled: 1-line block ×3, first 2 shown]
	ds_write_b32 v3, v13
	ds_write_b32 v4, v12
	;; [unrolled: 1-line block ×3, first 2 shown]
.LBB66_39:
	s_or_b32 exec_lo, exec_lo, s0
	s_mov_b32 s0, exec_lo
	s_waitcnt lgkmcnt(0)
	s_barrier
	buffer_gl0_inv
	v_cmpx_gt_u32_e32 64, v0
	s_cbranch_execz .LBB66_41
; %bb.40:
	ds_read2_b32 v[3:4], v1 offset1:32
	ds_read_b32 v5, v1 offset:256
	s_waitcnt lgkmcnt(1)
	v_add_f32_e32 v13, v13, v3
	v_add_f32_e32 v12, v12, v4
	s_waitcnt lgkmcnt(0)
	v_add_f32_e32 v11, v11, v5
.LBB66_41:
	s_or_b32 exec_lo, exec_lo, s0
	v_and_b32_e32 v3, 0x3e0, v0
	s_mov_b32 s0, exec_lo
	s_barrier
	buffer_gl0_inv
	v_cmpx_eq_u32_e32 32, v3
	s_cbranch_execz .LBB66_43
; %bb.42:
	ds_write2_b32 v2, v13, v12 offset1:32
	ds_write_b32 v2, v11 offset:256
.LBB66_43:
	s_or_b32 exec_lo, exec_lo, s0
	v_cmp_gt_u32_e32 vcc_lo, 32, v0
	s_waitcnt lgkmcnt(0)
	s_barrier
	buffer_gl0_inv
	s_and_saveexec_b32 s0, vcc_lo
	s_cbranch_execz .LBB66_45
; %bb.44:
	ds_read2_b32 v[2:3], v1 offset1:32
	ds_read_b32 v1, v1 offset:256
	s_waitcnt lgkmcnt(1)
	v_add_f32_e32 v13, v13, v2
	v_add_f32_e32 v12, v12, v3
	s_waitcnt lgkmcnt(0)
	v_add_f32_e32 v11, v11, v1
.LBB66_45:
	s_or_b32 exec_lo, exec_lo, s0
	s_barrier
	buffer_gl0_inv
	s_and_saveexec_b32 s0, vcc_lo
	s_cbranch_execz .LBB66_47
; %bb.46:
	s_mul_i32 s0, s10, s7
	s_mul_i32 s2, s7, s6
	;; [unrolled: 1-line block ×3, first 2 shown]
	v_lshlrev_b32_e32 v0, 1, v0
	s_mulk_i32 s0, 0x60
	;;#ASMSTART
	v_cvt_f16_f32 v1, v13;

	;;#ASMEND
	s_ashr_i32 s1, s0, 31
	s_lshl_b64 s[0:1], s[0:1], 1
	s_add_u32 s4, s16, s0
	s_addc_u32 s5, s17, s1
	s_ashr_i32 s3, s2, 31
	s_lshl_b64 s[0:1], s[2:3], 1
	s_mul_i32 s2, s8, 0x60
	s_add_u32 s4, s4, s0
	s_addc_u32 s5, s5, s1
	s_ashr_i32 s3, s2, 31
	s_lshl_b64 s[0:1], s[2:3], 1
	s_add_u32 s0, s4, s0
	s_addc_u32 s1, s5, s1
	global_store_short v0, v1, s[0:1]
	;;#ASMSTART
	v_cvt_f16_f32 v1, v12;

	;;#ASMEND
	global_store_short v0, v1, s[0:1] offset:64
	;;#ASMSTART
	v_cvt_f16_f32 v1, v11;

	;;#ASMEND
	global_store_short v0, v1, s[0:1] offset:128
.LBB66_47:
	s_endpgm
	.section	.rodata,"a",@progbits
	.p2align	6, 0x0
	.amdhsa_kernel _ZN4vllm25paged_attention_v1_kernelIttLi96ELi8ELi128ELNS_18Fp8KVCacheDataTypeE0ELb0EEEvPT_PKS2_PKT0_S8_ifPKiSA_iPKfiiiSC_SC_iiiii
		.amdhsa_group_segment_fixed_size 224
		.amdhsa_private_segment_fixed_size 0
		.amdhsa_kernarg_size 384
		.amdhsa_user_sgpr_count 6
		.amdhsa_user_sgpr_private_segment_buffer 1
		.amdhsa_user_sgpr_dispatch_ptr 0
		.amdhsa_user_sgpr_queue_ptr 0
		.amdhsa_user_sgpr_kernarg_segment_ptr 1
		.amdhsa_user_sgpr_dispatch_id 0
		.amdhsa_user_sgpr_flat_scratch_init 0
		.amdhsa_user_sgpr_private_segment_size 0
		.amdhsa_wavefront_size32 1
		.amdhsa_uses_dynamic_stack 0
		.amdhsa_system_sgpr_private_segment_wavefront_offset 0
		.amdhsa_system_sgpr_workgroup_id_x 1
		.amdhsa_system_sgpr_workgroup_id_y 1
		.amdhsa_system_sgpr_workgroup_id_z 1
		.amdhsa_system_sgpr_workgroup_info 0
		.amdhsa_system_vgpr_workitem_id 0
		.amdhsa_next_free_vgpr 60
		.amdhsa_next_free_sgpr 27
		.amdhsa_reserve_vcc 1
		.amdhsa_reserve_flat_scratch 0
		.amdhsa_float_round_mode_32 0
		.amdhsa_float_round_mode_16_64 0
		.amdhsa_float_denorm_mode_32 3
		.amdhsa_float_denorm_mode_16_64 3
		.amdhsa_dx10_clamp 1
		.amdhsa_ieee_mode 1
		.amdhsa_fp16_overflow 0
		.amdhsa_workgroup_processor_mode 1
		.amdhsa_memory_ordered 1
		.amdhsa_forward_progress 1
		.amdhsa_shared_vgpr_count 0
		.amdhsa_exception_fp_ieee_invalid_op 0
		.amdhsa_exception_fp_denorm_src 0
		.amdhsa_exception_fp_ieee_div_zero 0
		.amdhsa_exception_fp_ieee_overflow 0
		.amdhsa_exception_fp_ieee_underflow 0
		.amdhsa_exception_fp_ieee_inexact 0
		.amdhsa_exception_int_div_zero 0
	.end_amdhsa_kernel
	.section	.text._ZN4vllm25paged_attention_v1_kernelIttLi96ELi8ELi128ELNS_18Fp8KVCacheDataTypeE0ELb0EEEvPT_PKS2_PKT0_S8_ifPKiSA_iPKfiiiSC_SC_iiiii,"axG",@progbits,_ZN4vllm25paged_attention_v1_kernelIttLi96ELi8ELi128ELNS_18Fp8KVCacheDataTypeE0ELb0EEEvPT_PKS2_PKT0_S8_ifPKiSA_iPKfiiiSC_SC_iiiii,comdat
.Lfunc_end66:
	.size	_ZN4vllm25paged_attention_v1_kernelIttLi96ELi8ELi128ELNS_18Fp8KVCacheDataTypeE0ELb0EEEvPT_PKS2_PKT0_S8_ifPKiSA_iPKfiiiSC_SC_iiiii, .Lfunc_end66-_ZN4vllm25paged_attention_v1_kernelIttLi96ELi8ELi128ELNS_18Fp8KVCacheDataTypeE0ELb0EEEvPT_PKS2_PKT0_S8_ifPKiSA_iPKfiiiSC_SC_iiiii
                                        ; -- End function
	.set _ZN4vllm25paged_attention_v1_kernelIttLi96ELi8ELi128ELNS_18Fp8KVCacheDataTypeE0ELb0EEEvPT_PKS2_PKT0_S8_ifPKiSA_iPKfiiiSC_SC_iiiii.num_vgpr, 60
	.set _ZN4vllm25paged_attention_v1_kernelIttLi96ELi8ELi128ELNS_18Fp8KVCacheDataTypeE0ELb0EEEvPT_PKS2_PKT0_S8_ifPKiSA_iPKfiiiSC_SC_iiiii.num_agpr, 0
	.set _ZN4vllm25paged_attention_v1_kernelIttLi96ELi8ELi128ELNS_18Fp8KVCacheDataTypeE0ELb0EEEvPT_PKS2_PKT0_S8_ifPKiSA_iPKfiiiSC_SC_iiiii.numbered_sgpr, 27
	.set _ZN4vllm25paged_attention_v1_kernelIttLi96ELi8ELi128ELNS_18Fp8KVCacheDataTypeE0ELb0EEEvPT_PKS2_PKT0_S8_ifPKiSA_iPKfiiiSC_SC_iiiii.num_named_barrier, 0
	.set _ZN4vllm25paged_attention_v1_kernelIttLi96ELi8ELi128ELNS_18Fp8KVCacheDataTypeE0ELb0EEEvPT_PKS2_PKT0_S8_ifPKiSA_iPKfiiiSC_SC_iiiii.private_seg_size, 0
	.set _ZN4vllm25paged_attention_v1_kernelIttLi96ELi8ELi128ELNS_18Fp8KVCacheDataTypeE0ELb0EEEvPT_PKS2_PKT0_S8_ifPKiSA_iPKfiiiSC_SC_iiiii.uses_vcc, 1
	.set _ZN4vllm25paged_attention_v1_kernelIttLi96ELi8ELi128ELNS_18Fp8KVCacheDataTypeE0ELb0EEEvPT_PKS2_PKT0_S8_ifPKiSA_iPKfiiiSC_SC_iiiii.uses_flat_scratch, 0
	.set _ZN4vllm25paged_attention_v1_kernelIttLi96ELi8ELi128ELNS_18Fp8KVCacheDataTypeE0ELb0EEEvPT_PKS2_PKT0_S8_ifPKiSA_iPKfiiiSC_SC_iiiii.has_dyn_sized_stack, 0
	.set _ZN4vllm25paged_attention_v1_kernelIttLi96ELi8ELi128ELNS_18Fp8KVCacheDataTypeE0ELb0EEEvPT_PKS2_PKT0_S8_ifPKiSA_iPKfiiiSC_SC_iiiii.has_recursion, 0
	.set _ZN4vllm25paged_attention_v1_kernelIttLi96ELi8ELi128ELNS_18Fp8KVCacheDataTypeE0ELb0EEEvPT_PKS2_PKT0_S8_ifPKiSA_iPKfiiiSC_SC_iiiii.has_indirect_call, 0
	.section	.AMDGPU.csdata,"",@progbits
; Kernel info:
; codeLenInByte = 5736
; TotalNumSgprs: 29
; NumVgprs: 60
; ScratchSize: 0
; MemoryBound: 0
; FloatMode: 240
; IeeeMode: 1
; LDSByteSize: 224 bytes/workgroup (compile time only)
; SGPRBlocks: 0
; VGPRBlocks: 7
; NumSGPRsForWavesPerEU: 29
; NumVGPRsForWavesPerEU: 60
; Occupancy: 16
; WaveLimiterHint : 1
; COMPUTE_PGM_RSRC2:SCRATCH_EN: 0
; COMPUTE_PGM_RSRC2:USER_SGPR: 6
; COMPUTE_PGM_RSRC2:TRAP_HANDLER: 0
; COMPUTE_PGM_RSRC2:TGID_X_EN: 1
; COMPUTE_PGM_RSRC2:TGID_Y_EN: 1
; COMPUTE_PGM_RSRC2:TGID_Z_EN: 1
; COMPUTE_PGM_RSRC2:TIDIG_COMP_CNT: 0
	.section	.text._ZN4vllm25paged_attention_v1_kernelIttLi112ELi8ELi128ELNS_18Fp8KVCacheDataTypeE0ELb0EEEvPT_PKS2_PKT0_S8_ifPKiSA_iPKfiiiSC_SC_iiiii,"axG",@progbits,_ZN4vllm25paged_attention_v1_kernelIttLi112ELi8ELi128ELNS_18Fp8KVCacheDataTypeE0ELb0EEEvPT_PKS2_PKT0_S8_ifPKiSA_iPKfiiiSC_SC_iiiii,comdat
	.protected	_ZN4vllm25paged_attention_v1_kernelIttLi112ELi8ELi128ELNS_18Fp8KVCacheDataTypeE0ELb0EEEvPT_PKS2_PKT0_S8_ifPKiSA_iPKfiiiSC_SC_iiiii ; -- Begin function _ZN4vllm25paged_attention_v1_kernelIttLi112ELi8ELi128ELNS_18Fp8KVCacheDataTypeE0ELb0EEEvPT_PKS2_PKT0_S8_ifPKiSA_iPKfiiiSC_SC_iiiii
	.globl	_ZN4vllm25paged_attention_v1_kernelIttLi112ELi8ELi128ELNS_18Fp8KVCacheDataTypeE0ELb0EEEvPT_PKS2_PKT0_S8_ifPKiSA_iPKfiiiSC_SC_iiiii
	.p2align	8
	.type	_ZN4vllm25paged_attention_v1_kernelIttLi112ELi8ELi128ELNS_18Fp8KVCacheDataTypeE0ELb0EEEvPT_PKS2_PKT0_S8_ifPKiSA_iPKfiiiSC_SC_iiiii,@function
_ZN4vllm25paged_attention_v1_kernelIttLi112ELi8ELi128ELNS_18Fp8KVCacheDataTypeE0ELb0EEEvPT_PKS2_PKT0_S8_ifPKiSA_iPKfiiiSC_SC_iiiii: ; @_ZN4vllm25paged_attention_v1_kernelIttLi112ELi8ELi128ELNS_18Fp8KVCacheDataTypeE0ELb0EEEvPT_PKS2_PKT0_S8_ifPKiSA_iPKfiiiSC_SC_iiiii
; %bb.0:
	s_clause 0x2
	s_load_dword s9, s[4:5], 0x80
	s_load_dwordx2 s[0:1], s[4:5], 0x30
	s_load_dwordx2 s[24:25], s[4:5], 0x20
	s_mov_b32 s10, s7
	s_ashr_i32 s11, s7, 31
	s_lshl_b64 s[2:3], s[10:11], 2
	s_waitcnt lgkmcnt(0)
	s_add_u32 s0, s0, s2
	s_addc_u32 s1, s1, s3
	s_abs_i32 s2, s24
	s_abs_i32 s11, s9
	v_cvt_f32_u32_e32 v1, s2
	s_sub_i32 s7, 0, s2
	v_rcp_iflag_f32_e32 v1, v1
	v_mul_f32_e32 v1, 0x4f7ffffe, v1
	v_cvt_u32_f32_e32 v1, v1
	v_readfirstlane_b32 s3, v1
	s_mul_i32 s7, s7, s3
	s_mul_hi_u32 s7, s3, s7
	s_add_i32 s3, s3, s7
	s_xor_b32 s7, s9, s24
	s_mul_hi_u32 s3, s11, s3
	s_ashr_i32 s7, s7, 31
	s_mul_i32 s12, s3, s2
	s_mov_b32 s24, 0
	s_sub_i32 s11, s11, s12
	s_add_i32 s12, s3, 1
	s_sub_i32 s13, s11, s2
	s_cmp_ge_u32 s11, s2
	s_cselect_b32 s3, s12, s3
	s_cselect_b32 s11, s13, s11
	s_add_i32 s12, s3, 1
	s_cmp_ge_u32 s11, s2
	s_cselect_b32 s2, s12, s3
	s_abs_i32 s17, s6
	s_xor_b32 s2, s2, s7
	s_sub_i32 s18, s2, s7
	s_load_dwordx2 s[2:3], s[4:5], 0x40
	s_abs_i32 s16, s18
	v_cvt_f32_u32_e32 v1, s16
	s_sub_i32 s11, 0, s16
	v_rcp_iflag_f32_e32 v1, v1
	v_mul_f32_e32 v1, 0x4f7ffffe, v1
	v_cvt_u32_f32_e32 v1, v1
	v_readfirstlane_b32 s7, v1
	s_mul_i32 s11, s11, s7
	s_mul_hi_u32 s11, s7, s11
	s_add_i32 s7, s7, s11
	s_waitcnt lgkmcnt(0)
	s_cmp_eq_u64 s[2:3], 0
	s_mul_hi_u32 s20, s17, s7
	s_cbranch_scc1 .LBB67_2
; %bb.1:
	s_ashr_i32 s7, s6, 31
	s_lshl_b64 s[12:13], s[6:7], 2
	s_add_u32 s2, s2, s12
	s_addc_u32 s3, s3, s13
	s_load_dword s24, s[2:3], 0x0
.LBB67_2:
	s_load_dword s11, s[0:1], 0x0
	s_load_dwordx4 s[12:15], s[4:5], 0x48
	v_and_b32_e32 v1, 3, v0
	v_lshlrev_b32_e32 v2, 2, v0
	s_ashr_i32 s0, s6, 31
	s_ashr_i32 s1, s18, 31
	s_mulk_i32 s6, 0x70
	s_mov_b32 s2, exec_lo
	v_cmpx_gt_u32_e32 56, v0
	s_cbranch_execz .LBB67_4
; %bb.3:
	s_load_dwordx2 s[18:19], s[4:5], 0x8
	s_waitcnt lgkmcnt(0)
	s_mul_i32 s22, s12, s10
	v_and_b32_e32 v4, 0x3fc, v0
	s_ashr_i32 s23, s22, 31
	s_lshl_b64 s[22:23], s[22:23], 1
	v_mad_u32_u24 v4, v1, 56, v4
	s_add_u32 s3, s18, s22
	s_addc_u32 s12, s19, s23
	s_ashr_i32 s7, s6, 31
	s_lshl_b64 s[18:19], s[6:7], 1
	s_add_u32 s18, s3, s18
	s_addc_u32 s19, s12, s19
	global_load_dword v3, v2, s[18:19]
	s_waitcnt vmcnt(0)
	ds_write_b32 v4, v3
.LBB67_4:
	s_or_b32 exec_lo, exec_lo, s2
	s_waitcnt lgkmcnt(0)
	s_add_i32 s2, s11, 7
	s_clause 0x1
	s_load_dwordx2 s[18:19], s[4:5], 0x28
	s_load_dword s7, s[4:5], 0x38
	s_ashr_i32 s3, s2, 31
	s_xor_b32 s0, s0, s1
	s_lshr_b32 s3, s3, 29
	s_mul_i32 s1, s20, s16
	s_add_i32 s2, s2, s3
	s_sub_i32 s1, s17, s1
	s_ashr_i32 s12, s2, 3
	s_add_i32 s2, s20, 1
	s_sub_i32 s3, s1, s16
	s_cmp_ge_u32 s1, s16
	v_lshrrev_b32_e32 v9, 5, v0
	s_cselect_b32 s2, s2, s20
	s_cselect_b32 s1, s3, s1
	s_add_i32 s3, s2, 1
	s_cmp_ge_u32 s1, s16
	v_mbcnt_lo_u32_b32 v4, -1, 0
	s_cselect_b32 s1, s3, s2
	s_mov_b32 s2, exec_lo
	s_xor_b32 s1, s1, s0
	s_waitcnt lgkmcnt(0)
	s_mul_i32 s20, s7, s10
	s_sub_i32 s1, s1, s0
	v_cmp_gt_i32_e64 s0, s12, v9
	s_ashr_i32 s21, s20, 31
	s_barrier
	buffer_gl0_inv
                                        ; implicit-def: $vgpr5
                                        ; implicit-def: $vgpr6
	v_cmpx_le_i32_e64 s12, v9
	s_xor_b32 s2, exec_lo, s2
; %bb.5:
	v_mov_b32_e32 v5, 0
	v_mbcnt_lo_u32_b32 v4, -1, 0
	v_mov_b32_e32 v6, 32
                                        ; implicit-def: $vgpr2
                                        ; implicit-def: $vgpr1
; %bb.6:
	s_or_saveexec_b32 s26, s2
	s_clause 0x2
	s_load_dwordx2 s[16:17], s[4:5], 0x0
	s_load_dwordx2 s[22:23], s[4:5], 0x18
	s_load_dword s7, s[4:5], 0x88
	v_mov_b32_e32 v7, 0xff7fffff
	v_lshrrev_b32_e32 v3, 3, v0
	s_mul_i32 s14, s1, s14
	s_xor_b32 exec_lo, exec_lo, s26
	s_cbranch_execz .LBB67_12
; %bb.7:
	s_load_dwordx2 s[2:3], s[4:5], 0x10
	v_bfe_u32 v6, v0, 2, 3
	s_ashr_i32 s15, s14, 31
	v_mul_u32_u24_e32 v8, 56, v1
	v_cmp_eq_u32_e32 vcc_lo, 0, v1
	s_lshl_b64 s[4:5], s[14:15], 1
	v_lshlrev_b32_e32 v7, 2, v6
	v_lshlrev_b32_e32 v12, 4, v6
	v_and_b32_e32 v2, 12, v2
	v_lshl_or_b32 v10, v9, 3, v6
	v_mov_b32_e32 v5, 0
	v_lshl_or_b32 v1, v9, 5, v7
	v_and_b32_e32 v7, 0x7c, v3
	v_cmp_neq_f32_e64 s1, s24, 0
	v_xor_b32_e32 v14, 2, v4
	v_xor_b32_e32 v15, 1, v4
	v_add_nc_u32_e32 v11, 0x100, v1
	v_mov_b32_e32 v16, v9
	s_waitcnt lgkmcnt(0)
	s_add_u32 s15, s2, s4
	s_addc_u32 s5, s3, s5
	v_add_co_u32 v1, s15, s15, v12
	v_add_co_ci_u32_e64 v6, null, s5, 0, s15
	s_lshl_b64 s[2:3], s[20:21], 2
	s_sub_i32 s4, 1, s11
	s_add_u32 s5, s18, s2
	v_add_co_u32 v12, s2, v1, v2
	s_addc_u32 s3, s19, s3
	v_add_co_ci_u32_e64 v13, null, 0, v6, s2
	v_add_co_u32 v1, s2, s5, v7
	v_add_co_ci_u32_e64 v2, null, s3, 0, s2
	v_mov_b32_e32 v7, 0xff7fffff
	v_mov_b32_e32 v6, 32
	s_mov_b32 s15, s13
	s_mov_b32 s5, 0
	s_branch .LBB67_9
.LBB67_8:                               ;   in Loop: Header=BB67_9 Depth=1
	s_or_b32 exec_lo, exec_lo, s3
	v_add_nc_u32_e32 v16, 4, v16
	v_add_co_u32 v1, s3, v1, 16
	v_add_nc_u32_e32 v10, 32, v10
	v_add_nc_u32_e32 v11, 0x80, v11
	v_cmp_le_i32_e64 s2, s12, v16
	v_add_co_ci_u32_e64 v2, null, 0, v2, s3
	s_or_b32 s5, s2, s5
	s_andn2_b32 exec_lo, exec_lo, s5
	s_cbranch_execz .LBB67_11
.LBB67_9:                               ; =>This Inner Loop Header: Depth=1
	global_load_dword v17, v[1:2], off
	s_waitcnt vmcnt(0) lgkmcnt(0)
	v_mad_i64_i32 v[17:18], null, v17, s15, 0
	v_lshlrev_b64 v[17:18], 1, v[17:18]
	v_add_co_u32 v19, s2, v12, v17
	v_add_co_ci_u32_e64 v20, null, v13, v18, s2
	v_cmp_gt_i32_e64 s2, 32, v14
	s_clause 0xb
	global_load_dword v17, v[19:20], off
	global_load_dword v21, v[19:20], off offset:128
	global_load_dword v22, v[19:20], off offset:256
	;; [unrolled: 1-line block ×11, first 2 shown]
	ds_read_b32 v18, v8
	s_waitcnt lgkmcnt(0)
	v_lshrrev_b32_e32 v32, 16, v18
	v_and_b32_e32 v33, 0xffff, v18
	s_waitcnt vmcnt(11)
	v_lshrrev_b32_e32 v34, 16, v17
	v_and_b32_e32 v35, 0xffff, v17
	s_clause 0x1
	global_load_dword v18, v[19:20], off offset:1536
	global_load_dword v17, v[19:20], off offset:1664
	;;#ASMSTART
	v_cvt_f32_f16 v19, v33;
	;;#ASMEND
	;;#ASMSTART
	v_cvt_f32_f16 v20, v32;
	;;#ASMEND
	;; [unrolled: 3-line block ×4, first 2 shown]
	ds_read_b32 v34, v8 offset:4
	s_waitcnt vmcnt(12)
	v_and_b32_e32 v36, 0xffff, v21
	v_lshrrev_b32_e32 v37, 16, v21
	s_waitcnt vmcnt(11)
	v_and_b32_e32 v39, 0xffff, v22
	v_lshrrev_b32_e32 v40, 16, v22
	;; [unrolled: 3-line block ×9, first 2 shown]
	s_waitcnt vmcnt(3)
	v_and_b32_e32 v63, 0xffff, v30
	s_waitcnt lgkmcnt(0)
	v_and_b32_e32 v35, 0xffff, v34
	v_lshrrev_b32_e32 v34, 16, v34
	;;#ASMSTART
	v_cvt_f32_f16 v21, v35;
	;;#ASMEND
	;;#ASMSTART
	v_cvt_f32_f16 v34, v34;
	;;#ASMEND
	;; [unrolled: 3-line block ×4, first 2 shown]
	ds_read_b32 v37, v8 offset:8
	v_mul_f32_e32 v21, v21, v35
	v_mul_f32_e32 v34, v34, v36
	v_lshrrev_b32_e32 v64, 16, v30
	s_waitcnt vmcnt(2)
	v_lshrrev_b32_e32 v35, 16, v31
	v_and_b32_e32 v31, 0xffff, v31
	v_fmac_f32_e32 v21, v19, v32
	v_fmac_f32_e32 v34, v20, v33
	s_waitcnt lgkmcnt(0)
	v_and_b32_e32 v38, 0xffff, v37
	v_lshrrev_b32_e32 v37, 16, v37
	;;#ASMSTART
	v_cvt_f32_f16 v22, v38;
	;;#ASMEND
	;;#ASMSTART
	v_cvt_f32_f16 v37, v37;
	;;#ASMEND
	;;#ASMSTART
	v_cvt_f32_f16 v38, v39;
	;;#ASMEND
	;;#ASMSTART
	v_cvt_f32_f16 v39, v40;
	;;#ASMEND
	ds_read_b32 v40, v8 offset:12
	v_fmac_f32_e32 v21, v22, v38
	v_fmac_f32_e32 v34, v37, v39
	s_waitcnt lgkmcnt(0)
	v_and_b32_e32 v41, 0xffff, v40
	v_lshrrev_b32_e32 v40, 16, v40
	;;#ASMSTART
	v_cvt_f32_f16 v23, v41;
	;;#ASMEND
	;;#ASMSTART
	v_cvt_f32_f16 v40, v40;
	;;#ASMEND
	;;#ASMSTART
	v_cvt_f32_f16 v41, v42;
	;;#ASMEND
	;;#ASMSTART
	v_cvt_f32_f16 v42, v43;
	;;#ASMEND
	ds_read_b32 v43, v8 offset:16
	;; [unrolled: 18-line block ×6, first 2 shown]
	v_fmac_f32_e32 v21, v27, v53
	v_fmac_f32_e32 v34, v52, v54
	v_cndmask_b32_e64 v27, v4, v14, s2
	v_cmp_gt_i32_e64 s2, 32, v15
	s_waitcnt lgkmcnt(0)
	v_and_b32_e32 v56, 0xffff, v55
	v_lshrrev_b32_e32 v55, 16, v55
	;;#ASMSTART
	v_cvt_f32_f16 v28, v56;
	;;#ASMEND
	;;#ASMSTART
	v_cvt_f32_f16 v55, v55;
	;;#ASMEND
	;;#ASMSTART
	v_cvt_f32_f16 v56, v57;
	;;#ASMEND
	;;#ASMSTART
	v_cvt_f32_f16 v57, v58;
	;;#ASMEND
	ds_read_b32 v58, v8 offset:36
	v_fmac_f32_e32 v21, v28, v56
	v_fmac_f32_e32 v34, v55, v57
	s_waitcnt lgkmcnt(0)
	v_and_b32_e32 v59, 0xffff, v58
	v_lshrrev_b32_e32 v58, 16, v58
	;;#ASMSTART
	v_cvt_f32_f16 v29, v59;
	;;#ASMEND
	;;#ASMSTART
	v_cvt_f32_f16 v58, v58;
	;;#ASMEND
	;;#ASMSTART
	v_cvt_f32_f16 v59, v60;
	;;#ASMEND
	;;#ASMSTART
	v_cvt_f32_f16 v60, v61;
	;;#ASMEND
	ds_read_b32 v61, v8 offset:40
	v_fmac_f32_e32 v21, v29, v59
	v_fmac_f32_e32 v34, v58, v60
	;; [unrolled: 18-line block ×4, first 2 shown]
	s_waitcnt lgkmcnt(0)
	v_and_b32_e32 v23, 0xffff, v32
	v_lshrrev_b32_e32 v24, 16, v32
	s_waitcnt vmcnt(1)
	v_lshrrev_b32_e32 v25, 16, v18
	v_and_b32_e32 v26, 0xffff, v18
	;;#ASMSTART
	v_cvt_f32_f16 v18, v23;
	;;#ASMEND
	;;#ASMSTART
	v_cvt_f32_f16 v23, v24;
	;;#ASMEND
	;; [unrolled: 3-line block ×4, first 2 shown]
	ds_read_b32 v26, v8 offset:52
	v_fmac_f32_e32 v21, v18, v24
	v_fmac_f32_e32 v34, v23, v25
	s_waitcnt vmcnt(0)
	v_lshrrev_b32_e32 v28, 16, v17
	v_and_b32_e32 v22, 0xffff, v17
	s_waitcnt lgkmcnt(0)
	v_and_b32_e32 v19, 0xffff, v26
	v_lshrrev_b32_e32 v20, 16, v26
	;;#ASMSTART
	v_cvt_f32_f16 v17, v19;
	;;#ASMEND
	;;#ASMSTART
	v_cvt_f32_f16 v18, v20;
	;;#ASMEND
	;; [unrolled: 3-line block ×4, first 2 shown]
	v_fmac_f32_e32 v21, v17, v19
	v_fmac_f32_e32 v34, v18, v20
	v_lshlrev_b32_e32 v17, 2, v27
	v_cndmask_b32_e64 v19, v4, v15, s2
	v_add_f32_e32 v18, v21, v34
	ds_bpermute_b32 v17, v17, v18
	s_waitcnt lgkmcnt(0)
	v_add_f32_e32 v17, v18, v17
	v_lshlrev_b32_e32 v18, 2, v19
	ds_bpermute_b32 v18, v18, v17
	s_and_saveexec_b32 s3, vcc_lo
	s_cbranch_execz .LBB67_8
; %bb.10:                               ;   in Loop: Header=BB67_9 Depth=1
	v_add_nc_u32_e32 v19, s4, v10
	s_waitcnt lgkmcnt(0)
	v_add_f32_e32 v17, v17, v18
	v_cmp_gt_i32_e64 s2, s11, v10
	v_cvt_f32_i32_e32 v19, v19
	v_mul_f32_e32 v19, s24, v19
	v_cndmask_b32_e64 v18, 0, v19, s1
	v_max_f32_e32 v19, v7, v7
	v_fmac_f32_e32 v18, s25, v17
	v_max_f32_e32 v17, v19, v18
	v_cndmask_b32_e64 v18, 0, v18, s2
	v_cndmask_b32_e64 v7, v7, v17, s2
	ds_write_b32 v11, v18
	s_branch .LBB67_8
.LBB67_11:
	s_or_b32 exec_lo, exec_lo, s5
.LBB67_12:
	s_or_b32 exec_lo, exec_lo, s26
	v_xor_b32_e32 v1, 16, v4
	v_xor_b32_e32 v8, 8, v4
	v_cmp_lt_i32_e32 vcc_lo, v1, v6
	v_cndmask_b32_e32 v1, v4, v1, vcc_lo
	v_cmp_lt_i32_e32 vcc_lo, v8, v6
	v_lshlrev_b32_e32 v1, 2, v1
	v_cndmask_b32_e32 v8, v4, v8, vcc_lo
	ds_bpermute_b32 v2, v1, v7
	v_max_f32_e32 v7, v7, v7
	s_waitcnt lgkmcnt(0)
	v_max_f32_e32 v10, v2, v2
	v_lshlrev_b32_e32 v2, 2, v8
	v_max_f32_e32 v7, v7, v10
	v_xor_b32_e32 v10, 4, v4
	ds_bpermute_b32 v8, v2, v7
	v_cmp_lt_i32_e32 vcc_lo, v10, v6
	v_cndmask_b32_e32 v10, v4, v10, vcc_lo
	v_lshlrev_b32_e32 v12, 2, v10
	v_and_b32_e32 v10, 31, v0
	v_cmp_eq_u32_e32 vcc_lo, 0, v10
	s_waitcnt lgkmcnt(0)
	v_max_f32_e32 v8, v8, v8
	v_max_f32_e32 v8, v7, v8
	v_lshlrev_b32_e32 v7, 2, v9
	ds_bpermute_b32 v11, v12, v8
	s_and_saveexec_b32 s1, vcc_lo
	s_cbranch_execz .LBB67_14
; %bb.13:
	s_waitcnt lgkmcnt(0)
	v_max_f32_e32 v11, v11, v11
	v_max_f32_e32 v8, v8, v8
	;; [unrolled: 1-line block ×3, first 2 shown]
	ds_write_b32 v7, v8 offset:224
.LBB67_14:
	s_or_b32 exec_lo, exec_lo, s1
	v_cmp_gt_u32_e64 s1, 4, v10
	s_waitcnt lgkmcnt(0)
	v_mov_b32_e32 v11, 0xff7fffff
	v_lshlrev_b32_e32 v8, 2, v10
	s_barrier
	buffer_gl0_inv
	s_and_saveexec_b32 s2, s1
; %bb.15:
	ds_read_b32 v11, v8 offset:224
; %bb.16:
	s_or_b32 exec_lo, exec_lo, s2
	v_xor_b32_e32 v13, 2, v4
	v_xor_b32_e32 v15, 1, v4
	v_lshlrev_b32_e32 v5, 2, v5
	v_cmp_lt_i32_e64 s2, v13, v6
	v_cndmask_b32_e64 v13, v4, v13, s2
	v_cmp_lt_i32_e64 s2, v15, v6
	v_lshlrev_b32_e32 v13, 2, v13
	v_cndmask_b32_e64 v6, v4, v15, s2
	s_lshl_b32 s2, s12, 3
	s_min_i32 s4, s2, s11
	s_waitcnt lgkmcnt(0)
	ds_bpermute_b32 v14, v13, v11
	v_max_f32_e32 v11, v11, v11
	v_lshlrev_b32_e32 v6, 2, v6
	v_cmp_gt_i32_e64 s2, s4, v0
	s_waitcnt lgkmcnt(0)
	v_max_f32_e32 v14, v14, v14
	v_max_f32_e32 v11, v11, v14
	ds_bpermute_b32 v14, v6, v11
	s_waitcnt lgkmcnt(0)
	v_max_f32_e32 v14, v14, v14
	v_max_f32_e32 v11, v11, v14
	ds_bpermute_b32 v14, v5, v11
	v_mov_b32_e32 v5, 0
	v_lshl_add_u32 v11, v0, 2, 0x100
	s_and_saveexec_b32 s5, s2
	s_cbranch_execz .LBB67_20
; %bb.17:
	v_lshl_add_u32 v15, v0, 2, 0x100
	v_mov_b32_e32 v5, 0
	v_mov_b32_e32 v16, v0
	s_mov_b32 s15, 0
	.p2align	6
.LBB67_18:                              ; =>This Inner Loop Header: Depth=1
	ds_read_b32 v17, v15
	v_add_nc_u32_e32 v16, 0x80, v16
	v_cmp_le_i32_e64 s3, s4, v16
	s_or_b32 s15, s3, s15
	s_waitcnt lgkmcnt(0)
	v_sub_f32_e32 v17, v17, v14
	v_mul_f32_e32 v17, 0x3fb8aa3b, v17
	v_exp_f32_e32 v17, v17
	ds_write_b32 v15, v17
	v_add_f32_e32 v5, v5, v17
	v_add_nc_u32_e32 v15, 0x200, v15
	s_andn2_b32 exec_lo, exec_lo, s15
	s_cbranch_execnz .LBB67_18
; %bb.19:
	s_or_b32 exec_lo, exec_lo, s15
.LBB67_20:
	s_or_b32 exec_lo, exec_lo, s5
	ds_bpermute_b32 v1, v1, v5
	s_waitcnt lgkmcnt(0)
	v_add_f32_e32 v1, v5, v1
	ds_bpermute_b32 v2, v2, v1
	s_waitcnt lgkmcnt(0)
	v_add_f32_e32 v1, v1, v2
	;; [unrolled: 3-line block ×5, first 2 shown]
	s_and_saveexec_b32 s3, vcc_lo
; %bb.21:
	ds_write_b32 v7, v1 offset:240
; %bb.22:
	s_or_b32 exec_lo, exec_lo, s3
	s_waitcnt lgkmcnt(0)
	s_barrier
	buffer_gl0_inv
	s_and_saveexec_b32 s3, s1
; %bb.23:
	ds_read_b32 v1, v8 offset:240
; %bb.24:
	s_or_b32 exec_lo, exec_lo, s3
	s_waitcnt lgkmcnt(0)
	ds_bpermute_b32 v2, v13, v1
	v_lshlrev_b32_e32 v4, 2, v4
	s_waitcnt lgkmcnt(0)
	v_add_f32_e32 v1, v1, v2
	ds_bpermute_b32 v2, v6, v1
	s_waitcnt lgkmcnt(0)
	v_add_f32_e32 v1, v1, v2
	v_and_b32_e32 v2, 0xffffff80, v4
	ds_bpermute_b32 v1, v2, v1
	s_and_saveexec_b32 s1, s2
	s_cbranch_execz .LBB67_27
; %bb.25:
	s_waitcnt lgkmcnt(0)
	v_add_f32_e32 v2, 0x358637bd, v1
	s_mov_b32 s2, 0
	v_div_scale_f32 v1, null, v2, v2, 1.0
	v_div_scale_f32 v6, vcc_lo, 1.0, v2, 1.0
	v_rcp_f32_e32 v4, v1
	v_fma_f32 v5, -v1, v4, 1.0
	v_fmac_f32_e32 v4, v5, v4
	v_mul_f32_e32 v5, v6, v4
	v_fma_f32 v7, -v1, v5, v6
	v_fmac_f32_e32 v5, v7, v4
	v_fma_f32 v1, -v1, v5, v6
	v_div_fmas_f32 v4, v1, v4, v5
	v_mov_b32_e32 v1, v11
	v_div_fixup_f32 v2, v4, v2, 1.0
	v_mov_b32_e32 v4, v0
.LBB67_26:                              ; =>This Inner Loop Header: Depth=1
	ds_read_b32 v5, v1
	v_add_nc_u32_e32 v4, 0x80, v4
	v_cmp_le_i32_e32 vcc_lo, s4, v4
	s_or_b32 s2, vcc_lo, s2
	s_waitcnt lgkmcnt(0)
	v_mul_f32_e32 v5, v2, v5
	ds_write_b32 v1, v5
	v_add_nc_u32_e32 v1, 0x200, v1
	s_andn2_b32 exec_lo, exec_lo, s2
	s_cbranch_execnz .LBB67_26
.LBB67_27:
	s_or_b32 exec_lo, exec_lo, s1
	v_mov_b32_e32 v15, 0
	v_mov_b32_e32 v14, 0
	;; [unrolled: 1-line block ×4, first 2 shown]
	s_waitcnt lgkmcnt(0)
	s_barrier
	buffer_gl0_inv
	s_and_saveexec_b32 s3, s0
	s_cbranch_execz .LBB67_41
; %bb.28:
	s_ashr_i32 s15, s14, 31
	v_or_b32_e32 v1, 0x60, v10
	s_lshl_b64 s[0:1], s[14:15], 1
	v_and_b32_e32 v3, 0x7c, v3
	s_add_u32 s4, s22, s0
	s_addc_u32 s5, s23, s1
	s_lshl_b64 s[20:21], s[20:21], 2
	s_add_i32 s14, s12, -1
	v_lshlrev_b32_e32 v2, 3, v10
	v_cmp_gt_u32_e64 s0, 0x70, v1
	v_lshlrev_b32_e32 v1, 3, v1
	s_add_u32 s1, s18, s20
	s_addc_u32 s2, s19, s21
	v_add_co_u32 v5, s1, s1, v3
	v_mov_b32_e32 v16, 0
	v_lshl_or_b32 v17, v9, 3, 7
	v_lshl_add_u32 v18, v9, 5, 0x100
	v_add_co_ci_u32_e64 v6, null, s2, 0, s1
	v_lshlrev_b32_e32 v19, 1, v2
	v_lshlrev_b32_e32 v20, 1, v1
	v_mov_b32_e32 v12, 0
	v_mov_b32_e32 v13, 0
	;; [unrolled: 1-line block ×5, first 2 shown]
	s_mov_b32 s15, s13
	s_mov_b32 s13, 0
	s_branch .LBB67_31
.LBB67_29:                              ;   in Loop: Header=BB67_31 Depth=1
	s_or_b32 exec_lo, exec_lo, s18
	v_lshlrev_b32_e32 v22, 16, v33
	v_lshlrev_b32_e32 v26, 16, v26
	;; [unrolled: 1-line block ×3, first 2 shown]
	v_and_or_b32 v1, 0xffff, v1, v22
	v_and_or_b32 v2, 0xffff, v2, v26
	;; [unrolled: 1-line block ×3, first 2 shown]
	;;#ASMSTART
	v_pk_mul_f16 v1, v28, v1;

	;;#ASMEND
	;;#ASMSTART
	v_pk_mul_f16 v2, v27, v2;

	;;#ASMEND
	;; [unrolled: 4-line block ×4, first 2 shown]
	;;#ASMSTART
	v_pk_add_f16 v1, v1, v2;

	;;#ASMEND
	;;#ASMSTART
	v_pk_add_f16 v1, v1, v3;

	;;#ASMEND
	;; [unrolled: 4-line block ×3, first 2 shown]
	v_and_b32_e32 v2, 0xffff, v1
	v_lshrrev_b32_e32 v3, 16, v1
	;;#ASMSTART
	v_cvt_f32_f16 v1, v2;
	;;#ASMEND
	;;#ASMSTART
	v_cvt_f32_f16 v2, v3;
	;;#ASMEND
	v_add_f32_e32 v1, v1, v2
	v_add_f32_e32 v12, v12, v1
.LBB67_30:                              ;   in Loop: Header=BB67_31 Depth=1
	s_or_b32 exec_lo, exec_lo, s2
	v_add_nc_u32_e32 v21, 4, v21
	v_add_f32_e32 v1, v7, v8
	v_add_f32_e32 v2, v31, v32
	;; [unrolled: 1-line block ×3, first 2 shown]
	v_add_co_u32 v5, s1, v5, 16
	v_cmp_le_i32_e32 vcc_lo, s12, v21
	v_add_f32_e32 v13, v13, v1
	v_add_f32_e32 v14, v14, v2
	;; [unrolled: 1-line block ×3, first 2 shown]
	v_add_nc_u32_e32 v17, 32, v17
	v_add_nc_u32_e32 v18, 0x80, v18
	v_add_co_ci_u32_e64 v6, null, 0, v6, s1
	s_or_b32 s13, vcc_lo, s13
	s_andn2_b32 exec_lo, exec_lo, s13
	s_cbranch_execz .LBB67_40
.LBB67_31:                              ; =>This Inner Loop Header: Depth=1
	global_load_dword v7, v[5:6], off
	ds_read2_b64 v[1:4], v18 offset1:1
	ds_read2_b64 v[32:35], v18 offset0:2 offset1:3
	s_waitcnt lgkmcnt(1)
	;;#ASMSTART
	v_cvt_f16_f32 v28, v1;

	;;#ASMEND
	;;#ASMSTART
	v_cvt_f16_f32 v23, v2;

	;;#ASMEND
	;; [unrolled: 4-line block ×4, first 2 shown]
	s_waitcnt lgkmcnt(0)
	;;#ASMSTART
	v_cvt_f16_f32 v32, v32;

	;;#ASMEND
	;;#ASMSTART
	v_cvt_f16_f32 v29, v33;

	;;#ASMEND
	;; [unrolled: 4-line block ×4, first 2 shown]
	v_add_nc_u32_e32 v22, -7, v17
	v_cmp_eq_u32_e64 s1, s14, v21
	s_waitcnt vmcnt(0)
	v_mad_i64_i32 v[7:8], null, v7, s15, 0
	v_lshlrev_b64 v[7:8], 1, v[7:8]
	v_add_co_u32 v25, vcc_lo, s4, v7
	v_add_co_ci_u32_e64 v26, null, s5, v8, vcc_lo
	v_add_co_u32 v7, vcc_lo, v25, v19
	v_add_co_ci_u32_e64 v8, null, 0, v26, vcc_lo
	global_load_dwordx4 v[1:4], v[7:8], off
	s_waitcnt vmcnt(0)
	v_lshrrev_b32_e32 v35, 16, v1
	v_lshrrev_b32_e32 v34, 16, v2
	;; [unrolled: 1-line block ×3, first 2 shown]
	s_and_saveexec_b32 s18, s1
	s_cbranch_execz .LBB67_33
; %bb.32:                               ;   in Loop: Header=BB67_31 Depth=1
	v_add_nc_u32_e32 v36, -6, v17
	v_cmp_gt_i32_e32 vcc_lo, s11, v22
	v_add_nc_u32_e32 v37, -5, v17
	v_add_nc_u32_e32 v39, -1, v17
	;; [unrolled: 1-line block ×3, first 2 shown]
	v_cndmask_b32_e32 v1, 0, v1, vcc_lo
	v_cmp_gt_i32_e32 vcc_lo, s11, v36
	v_add_nc_u32_e32 v36, -3, v17
	v_cmp_gt_i32_e64 s2, s11, v38
	v_and_b32_e32 v38, 0xffff0000, v4
	v_cndmask_b32_e32 v35, 0, v35, vcc_lo
	v_cmp_gt_i32_e32 vcc_lo, s11, v37
	v_add_nc_u32_e32 v37, -2, v17
	v_cndmask_b32_e64 v34, 0, v34, s2
	v_cndmask_b32_e32 v2, 0, v2, vcc_lo
	v_cmp_gt_i32_e32 vcc_lo, s11, v39
	v_cndmask_b32_sdwa v4, v16, v4, vcc_lo dst_sel:DWORD dst_unused:UNUSED_PAD src0_sel:DWORD src1_sel:WORD_0
	v_cmp_gt_i32_e32 vcc_lo, s11, v17
	v_cndmask_b32_e32 v38, 0, v38, vcc_lo
	v_cmp_gt_i32_e32 vcc_lo, s11, v36
	v_or_b32_e32 v4, v4, v38
	v_cndmask_b32_e32 v3, 0, v3, vcc_lo
	v_cmp_gt_i32_e32 vcc_lo, s11, v37
	v_cndmask_b32_e32 v33, 0, v33, vcc_lo
.LBB67_33:                              ;   in Loop: Header=BB67_31 Depth=1
	s_or_b32 exec_lo, exec_lo, s18
	v_and_b32_e32 v28, 0xffff, v28
	v_and_b32_e32 v31, 0xffff, v31
	v_lshlrev_b32_e32 v35, 16, v35
	v_and_b32_e32 v32, 0xffff, v32
	v_and_b32_e32 v30, 0xffff, v30
	v_lshl_or_b32 v28, v23, 16, v28
	v_lshl_or_b32 v27, v27, 16, v31
	v_lshlrev_b32_e32 v23, 16, v34
	v_lshlrev_b32_e32 v31, 16, v33
	v_and_or_b32 v1, 0xffff, v1, v35
	;;#ASMSTART
	v_pk_mul_f16 v1, v28, v1;

	;;#ASMEND
	v_lshl_or_b32 v29, v29, 16, v32
	v_and_or_b32 v2, 0xffff, v2, v23
	v_and_or_b32 v3, 0xffff, v3, v31
	v_lshl_or_b32 v30, v24, 16, v30
	;;#ASMSTART
	v_pk_mul_f16 v2, v27, v2;

	;;#ASMEND
	;;#ASMSTART
	v_pk_mul_f16 v3, v29, v3;

	;;#ASMEND
	;; [unrolled: 4-line block ×3, first 2 shown]
	;;#ASMSTART
	v_pk_add_f16 v1, v1, v2;

	;;#ASMEND
	;;#ASMSTART
	v_pk_add_f16 v1, v1, v3;

	;;#ASMEND
	;; [unrolled: 4-line block ×3, first 2 shown]
	v_and_b32_e32 v2, 0xffff, v1
	v_lshrrev_b32_e32 v1, 16, v1
	;;#ASMSTART
	v_cvt_f32_f16 v23, v2;
	;;#ASMEND
	;;#ASMSTART
	v_cvt_f32_f16 v24, v1;
	;;#ASMEND
	global_load_dwordx4 v[1:4], v[7:8], off offset:512
	s_waitcnt vmcnt(0)
	v_lshrrev_b32_e32 v33, 16, v1
	v_lshrrev_b32_e32 v32, 16, v2
	v_lshrrev_b32_e32 v31, 16, v3
	s_and_saveexec_b32 s18, s1
	s_cbranch_execz .LBB67_35
; %bb.34:                               ;   in Loop: Header=BB67_31 Depth=1
	v_add_nc_u32_e32 v34, -6, v17
	v_cmp_gt_i32_e32 vcc_lo, s11, v22
	v_add_nc_u32_e32 v35, -5, v17
	v_add_nc_u32_e32 v37, -1, v17
	;; [unrolled: 1-line block ×3, first 2 shown]
	v_cndmask_b32_e32 v1, 0, v1, vcc_lo
	v_cmp_gt_i32_e32 vcc_lo, s11, v34
	v_add_nc_u32_e32 v34, -3, v17
	v_cmp_gt_i32_e64 s2, s11, v36
	v_and_b32_e32 v36, 0xffff0000, v4
	v_cndmask_b32_e32 v33, 0, v33, vcc_lo
	v_cmp_gt_i32_e32 vcc_lo, s11, v35
	v_add_nc_u32_e32 v35, -2, v17
	v_cndmask_b32_e64 v32, 0, v32, s2
	v_cndmask_b32_e32 v2, 0, v2, vcc_lo
	v_cmp_gt_i32_e32 vcc_lo, s11, v37
	v_cndmask_b32_sdwa v4, v16, v4, vcc_lo dst_sel:DWORD dst_unused:UNUSED_PAD src0_sel:DWORD src1_sel:WORD_0
	v_cmp_gt_i32_e32 vcc_lo, s11, v17
	v_cndmask_b32_e32 v36, 0, v36, vcc_lo
	v_cmp_gt_i32_e32 vcc_lo, s11, v34
	v_or_b32_e32 v4, v4, v36
	v_cndmask_b32_e32 v3, 0, v3, vcc_lo
	v_cmp_gt_i32_e32 vcc_lo, s11, v35
	v_cndmask_b32_e32 v31, 0, v31, vcc_lo
.LBB67_35:                              ;   in Loop: Header=BB67_31 Depth=1
	s_or_b32 exec_lo, exec_lo, s18
	v_lshlrev_b32_e32 v33, 16, v33
	v_lshlrev_b32_e32 v32, 16, v32
	;; [unrolled: 1-line block ×3, first 2 shown]
	v_and_or_b32 v1, 0xffff, v1, v33
	v_and_or_b32 v2, 0xffff, v2, v32
	;; [unrolled: 1-line block ×3, first 2 shown]
	;;#ASMSTART
	v_pk_mul_f16 v1, v28, v1;

	;;#ASMEND
	;;#ASMSTART
	v_pk_mul_f16 v2, v27, v2;

	;;#ASMEND
	;; [unrolled: 4-line block ×4, first 2 shown]
	;;#ASMSTART
	v_pk_add_f16 v1, v1, v2;

	;;#ASMEND
	;;#ASMSTART
	v_pk_add_f16 v1, v1, v3;

	;;#ASMEND
	;; [unrolled: 4-line block ×3, first 2 shown]
	v_and_b32_e32 v2, 0xffff, v1
	v_lshrrev_b32_e32 v1, 16, v1
	;;#ASMSTART
	v_cvt_f32_f16 v31, v2;
	;;#ASMEND
	;;#ASMSTART
	v_cvt_f32_f16 v32, v1;
	;;#ASMEND
	global_load_dwordx4 v[1:4], v[7:8], off offset:1024
	s_waitcnt vmcnt(0)
	v_lshrrev_b32_e32 v33, 16, v1
	v_lshrrev_b32_e32 v8, 16, v2
	;; [unrolled: 1-line block ×3, first 2 shown]
	s_and_saveexec_b32 s18, s1
	s_cbranch_execz .LBB67_37
; %bb.36:                               ;   in Loop: Header=BB67_31 Depth=1
	v_add_nc_u32_e32 v34, -6, v17
	v_cmp_gt_i32_e32 vcc_lo, s11, v22
	v_add_nc_u32_e32 v35, -5, v17
	v_add_nc_u32_e32 v37, -1, v17
	;; [unrolled: 1-line block ×3, first 2 shown]
	v_cndmask_b32_e32 v1, 0, v1, vcc_lo
	v_cmp_gt_i32_e32 vcc_lo, s11, v34
	v_add_nc_u32_e32 v34, -3, v17
	v_cmp_gt_i32_e64 s2, s11, v36
	v_and_b32_e32 v36, 0xffff0000, v4
	v_cndmask_b32_e32 v33, 0, v33, vcc_lo
	v_cmp_gt_i32_e32 vcc_lo, s11, v35
	v_add_nc_u32_e32 v35, -2, v17
	v_cndmask_b32_e64 v8, 0, v8, s2
	v_cndmask_b32_e32 v2, 0, v2, vcc_lo
	v_cmp_gt_i32_e32 vcc_lo, s11, v37
	v_cndmask_b32_sdwa v4, v16, v4, vcc_lo dst_sel:DWORD dst_unused:UNUSED_PAD src0_sel:DWORD src1_sel:WORD_0
	v_cmp_gt_i32_e32 vcc_lo, s11, v17
	v_cndmask_b32_e32 v36, 0, v36, vcc_lo
	v_cmp_gt_i32_e32 vcc_lo, s11, v34
	v_or_b32_e32 v4, v4, v36
	v_cndmask_b32_e32 v3, 0, v3, vcc_lo
	v_cmp_gt_i32_e32 vcc_lo, s11, v35
	v_cndmask_b32_e32 v7, 0, v7, vcc_lo
.LBB67_37:                              ;   in Loop: Header=BB67_31 Depth=1
	s_or_b32 exec_lo, exec_lo, s18
	v_lshlrev_b32_e32 v33, 16, v33
	v_lshlrev_b32_e32 v8, 16, v8
	v_lshlrev_b32_e32 v7, 16, v7
	v_and_or_b32 v1, 0xffff, v1, v33
	v_and_or_b32 v2, 0xffff, v2, v8
	;; [unrolled: 1-line block ×3, first 2 shown]
	;;#ASMSTART
	v_pk_mul_f16 v1, v28, v1;

	;;#ASMEND
	;;#ASMSTART
	v_pk_mul_f16 v2, v27, v2;

	;;#ASMEND
	;; [unrolled: 4-line block ×4, first 2 shown]
	;;#ASMSTART
	v_pk_add_f16 v1, v1, v2;

	;;#ASMEND
	;;#ASMSTART
	v_pk_add_f16 v1, v1, v3;

	;;#ASMEND
	;; [unrolled: 4-line block ×3, first 2 shown]
	v_and_b32_e32 v2, 0xffff, v1
	v_lshrrev_b32_e32 v1, 16, v1
	;;#ASMSTART
	v_cvt_f32_f16 v7, v2;
	;;#ASMEND
	;;#ASMSTART
	v_cvt_f32_f16 v8, v1;
	;;#ASMEND
	s_and_saveexec_b32 s2, s0
	s_cbranch_execz .LBB67_30
; %bb.38:                               ;   in Loop: Header=BB67_31 Depth=1
	v_add_co_u32 v1, vcc_lo, v25, v20
	v_add_co_ci_u32_e64 v2, null, 0, v26, vcc_lo
	global_load_dwordx4 v[1:4], v[1:2], off
	s_waitcnt vmcnt(0)
	v_lshrrev_b32_e32 v33, 16, v1
	v_lshrrev_b32_e32 v26, 16, v2
	v_lshrrev_b32_e32 v25, 16, v3
	s_and_saveexec_b32 s18, s1
	s_cbranch_execz .LBB67_29
; %bb.39:                               ;   in Loop: Header=BB67_31 Depth=1
	v_add_nc_u32_e32 v34, -6, v17
	v_cmp_gt_i32_e32 vcc_lo, s11, v22
	v_add_nc_u32_e32 v22, -5, v17
	v_add_nc_u32_e32 v36, -1, v17
	v_add_nc_u32_e32 v35, -4, v17
	v_cndmask_b32_e32 v1, 0, v1, vcc_lo
	v_cmp_gt_i32_e32 vcc_lo, s11, v34
	v_add_nc_u32_e32 v34, -2, v17
	v_cmp_gt_i32_e64 s1, s11, v35
	v_and_b32_e32 v35, 0xffff0000, v4
	v_cndmask_b32_e32 v33, 0, v33, vcc_lo
	v_cmp_gt_i32_e32 vcc_lo, s11, v22
	v_add_nc_u32_e32 v22, -3, v17
	v_cndmask_b32_e64 v26, 0, v26, s1
	v_cndmask_b32_e32 v2, 0, v2, vcc_lo
	v_cmp_gt_i32_e32 vcc_lo, s11, v36
	v_cndmask_b32_sdwa v4, v16, v4, vcc_lo dst_sel:DWORD dst_unused:UNUSED_PAD src0_sel:DWORD src1_sel:WORD_0
	v_cmp_gt_i32_e32 vcc_lo, s11, v17
	v_cndmask_b32_e32 v35, 0, v35, vcc_lo
	v_cmp_gt_i32_e32 vcc_lo, s11, v22
	v_or_b32_e32 v4, v4, v35
	v_cndmask_b32_e32 v3, 0, v3, vcc_lo
	v_cmp_gt_i32_e32 vcc_lo, s11, v34
	v_cndmask_b32_e32 v25, 0, v25, vcc_lo
	s_branch .LBB67_29
.LBB67_40:
	s_or_b32 exec_lo, exec_lo, s13
.LBB67_41:
	s_or_b32 exec_lo, exec_lo, s3
	s_movk_i32 s0, 0x1c0
	v_and_b32_e32 v1, 0x3c0, v0
	v_mad_u32_u24 v4, v9, s0, 0x100
	v_or_b32_e32 v3, 0x60, v0
	s_mov_b32 s0, exec_lo
	s_barrier
	buffer_gl0_inv
	v_cmpx_eq_u32_e32 64, v1
	s_cbranch_execz .LBB67_44
; %bb.42:
	v_add_nc_u32_e32 v1, 0xfffffc80, v4
	v_cmp_gt_u32_e32 vcc_lo, 0x70, v3
	v_lshl_add_u32 v2, v10, 2, v1
	ds_write2_b32 v2, v15, v14 offset1:32
	ds_write_b32 v2, v13 offset:256
	s_and_b32 exec_lo, exec_lo, vcc_lo
; %bb.43:
	v_lshl_add_u32 v1, v3, 2, v1
	ds_write_b32 v1, v12
.LBB67_44:
	s_or_b32 exec_lo, exec_lo, s0
	v_lshl_add_u32 v5, v10, 2, v4
	s_mov_b32 s0, exec_lo
	s_waitcnt lgkmcnt(0)
	s_barrier
	buffer_gl0_inv
	v_cmpx_gt_u32_e32 64, v0
	s_cbranch_execz .LBB67_48
; %bb.45:
	v_lshl_or_b32 v1, v0, 2, 0x80
	s_mov_b32 s1, exec_lo
	v_add_nc_u32_e32 v6, v4, v1
	ds_read2st64_b32 v[1:2], v5 offset1:1
	ds_read_b32 v6, v6
	v_cmpx_gt_u32_e32 0x70, v3
	s_cbranch_execz .LBB67_47
; %bb.46:
	v_lshl_add_u32 v7, v3, 2, v4
	ds_read_b32 v7, v7
	s_waitcnt lgkmcnt(0)
	v_add_f32_e32 v12, v12, v7
.LBB67_47:
	s_or_b32 exec_lo, exec_lo, s1
	s_waitcnt lgkmcnt(1)
	v_add_f32_e32 v15, v15, v1
	s_waitcnt lgkmcnt(0)
	v_add_f32_e32 v14, v14, v6
	v_add_f32_e32 v13, v13, v2
.LBB67_48:
	s_or_b32 exec_lo, exec_lo, s0
	v_and_b32_e32 v1, 0x3e0, v0
	s_mov_b32 s0, exec_lo
	s_barrier
	buffer_gl0_inv
	v_cmpx_eq_u32_e32 32, v1
	s_cbranch_execz .LBB67_51
; %bb.49:
	v_lshl_add_u32 v1, v10, 2, 0x100
	v_cmp_gt_u32_e32 vcc_lo, 0x70, v3
	ds_write_b32 v1, v15
	ds_write_b32 v11, v14
	ds_write_b32 v1, v13 offset:256
	s_and_b32 exec_lo, exec_lo, vcc_lo
; %bb.50:
	v_lshl_add_u32 v1, v3, 2, 0x100
	ds_write_b32 v1, v12
.LBB67_51:
	s_or_b32 exec_lo, exec_lo, s0
	v_cmp_gt_u32_e32 vcc_lo, 32, v0
	s_waitcnt lgkmcnt(0)
	s_barrier
	buffer_gl0_inv
	s_and_saveexec_b32 s1, vcc_lo
	s_cbranch_execz .LBB67_55
; %bb.52:
	v_lshl_add_u32 v6, v0, 2, v4
	s_mov_b32 s2, exec_lo
	ds_read_b32 v4, v5
	ds_read2_b32 v[1:2], v6 offset0:32 offset1:64
	v_cmpx_gt_u32_e32 0x70, v3
	s_cbranch_execz .LBB67_54
; %bb.53:
	ds_read_b32 v5, v6 offset:384
	s_waitcnt lgkmcnt(0)
	v_add_f32_e32 v12, v12, v5
.LBB67_54:
	s_or_b32 exec_lo, exec_lo, s2
	s_waitcnt lgkmcnt(1)
	v_add_f32_e32 v15, v15, v4
	s_waitcnt lgkmcnt(0)
	v_add_f32_e32 v14, v14, v1
	v_add_f32_e32 v13, v13, v2
.LBB67_55:
	s_or_b32 exec_lo, exec_lo, s1
	s_barrier
	buffer_gl0_inv
	s_and_saveexec_b32 s0, vcc_lo
	s_cbranch_execz .LBB67_58
; %bb.56:
	s_mul_i32 s0, s10, s7
	s_mul_i32 s2, s7, s6
	;; [unrolled: 1-line block ×3, first 2 shown]
	v_lshlrev_b32_e32 v0, 1, v0
	s_mulk_i32 s0, 0x70
	v_cmp_gt_u32_e32 vcc_lo, 0x70, v3
	s_ashr_i32 s1, s0, 31
	;;#ASMSTART
	v_cvt_f16_f32 v1, v15;

	;;#ASMEND
	s_lshl_b64 s[0:1], s[0:1], 1
	s_add_u32 s4, s16, s0
	s_addc_u32 s5, s17, s1
	s_ashr_i32 s3, s2, 31
	s_lshl_b64 s[0:1], s[2:3], 1
	s_mul_i32 s2, s8, 0x70
	s_add_u32 s4, s4, s0
	s_addc_u32 s5, s5, s1
	s_ashr_i32 s3, s2, 31
	s_lshl_b64 s[0:1], s[2:3], 1
	s_add_u32 s0, s4, s0
	s_addc_u32 s1, s5, s1
	global_store_short v0, v1, s[0:1]
	;;#ASMSTART
	v_cvt_f16_f32 v1, v14;

	;;#ASMEND
	global_store_short v0, v1, s[0:1] offset:64
	;;#ASMSTART
	v_cvt_f16_f32 v1, v13;

	;;#ASMEND
	global_store_short v0, v1, s[0:1] offset:128
	s_and_b32 exec_lo, exec_lo, vcc_lo
	s_cbranch_execz .LBB67_58
; %bb.57:
	v_add_co_u32 v0, s0, s0, v0
	v_add_co_ci_u32_e64 v1, null, s1, 0, s0
	;;#ASMSTART
	v_cvt_f16_f32 v2, v12;

	;;#ASMEND
	global_store_short v[0:1], v2, off offset:192
.LBB67_58:
	s_endpgm
	.section	.rodata,"a",@progbits
	.p2align	6, 0x0
	.amdhsa_kernel _ZN4vllm25paged_attention_v1_kernelIttLi112ELi8ELi128ELNS_18Fp8KVCacheDataTypeE0ELb0EEEvPT_PKS2_PKT0_S8_ifPKiSA_iPKfiiiSC_SC_iiiii
		.amdhsa_group_segment_fixed_size 256
		.amdhsa_private_segment_fixed_size 0
		.amdhsa_kernarg_size 384
		.amdhsa_user_sgpr_count 6
		.amdhsa_user_sgpr_private_segment_buffer 1
		.amdhsa_user_sgpr_dispatch_ptr 0
		.amdhsa_user_sgpr_queue_ptr 0
		.amdhsa_user_sgpr_kernarg_segment_ptr 1
		.amdhsa_user_sgpr_dispatch_id 0
		.amdhsa_user_sgpr_flat_scratch_init 0
		.amdhsa_user_sgpr_private_segment_size 0
		.amdhsa_wavefront_size32 1
		.amdhsa_uses_dynamic_stack 0
		.amdhsa_system_sgpr_private_segment_wavefront_offset 0
		.amdhsa_system_sgpr_workgroup_id_x 1
		.amdhsa_system_sgpr_workgroup_id_y 1
		.amdhsa_system_sgpr_workgroup_id_z 1
		.amdhsa_system_sgpr_workgroup_info 0
		.amdhsa_system_vgpr_workitem_id 0
		.amdhsa_next_free_vgpr 65
		.amdhsa_next_free_sgpr 27
		.amdhsa_reserve_vcc 1
		.amdhsa_reserve_flat_scratch 0
		.amdhsa_float_round_mode_32 0
		.amdhsa_float_round_mode_16_64 0
		.amdhsa_float_denorm_mode_32 3
		.amdhsa_float_denorm_mode_16_64 3
		.amdhsa_dx10_clamp 1
		.amdhsa_ieee_mode 1
		.amdhsa_fp16_overflow 0
		.amdhsa_workgroup_processor_mode 1
		.amdhsa_memory_ordered 1
		.amdhsa_forward_progress 1
		.amdhsa_shared_vgpr_count 0
		.amdhsa_exception_fp_ieee_invalid_op 0
		.amdhsa_exception_fp_denorm_src 0
		.amdhsa_exception_fp_ieee_div_zero 0
		.amdhsa_exception_fp_ieee_overflow 0
		.amdhsa_exception_fp_ieee_underflow 0
		.amdhsa_exception_fp_ieee_inexact 0
		.amdhsa_exception_int_div_zero 0
	.end_amdhsa_kernel
	.section	.text._ZN4vllm25paged_attention_v1_kernelIttLi112ELi8ELi128ELNS_18Fp8KVCacheDataTypeE0ELb0EEEvPT_PKS2_PKT0_S8_ifPKiSA_iPKfiiiSC_SC_iiiii,"axG",@progbits,_ZN4vllm25paged_attention_v1_kernelIttLi112ELi8ELi128ELNS_18Fp8KVCacheDataTypeE0ELb0EEEvPT_PKS2_PKT0_S8_ifPKiSA_iPKfiiiSC_SC_iiiii,comdat
.Lfunc_end67:
	.size	_ZN4vllm25paged_attention_v1_kernelIttLi112ELi8ELi128ELNS_18Fp8KVCacheDataTypeE0ELb0EEEvPT_PKS2_PKT0_S8_ifPKiSA_iPKfiiiSC_SC_iiiii, .Lfunc_end67-_ZN4vllm25paged_attention_v1_kernelIttLi112ELi8ELi128ELNS_18Fp8KVCacheDataTypeE0ELb0EEEvPT_PKS2_PKT0_S8_ifPKiSA_iPKfiiiSC_SC_iiiii
                                        ; -- End function
	.set _ZN4vllm25paged_attention_v1_kernelIttLi112ELi8ELi128ELNS_18Fp8KVCacheDataTypeE0ELb0EEEvPT_PKS2_PKT0_S8_ifPKiSA_iPKfiiiSC_SC_iiiii.num_vgpr, 65
	.set _ZN4vllm25paged_attention_v1_kernelIttLi112ELi8ELi128ELNS_18Fp8KVCacheDataTypeE0ELb0EEEvPT_PKS2_PKT0_S8_ifPKiSA_iPKfiiiSC_SC_iiiii.num_agpr, 0
	.set _ZN4vllm25paged_attention_v1_kernelIttLi112ELi8ELi128ELNS_18Fp8KVCacheDataTypeE0ELb0EEEvPT_PKS2_PKT0_S8_ifPKiSA_iPKfiiiSC_SC_iiiii.numbered_sgpr, 27
	.set _ZN4vllm25paged_attention_v1_kernelIttLi112ELi8ELi128ELNS_18Fp8KVCacheDataTypeE0ELb0EEEvPT_PKS2_PKT0_S8_ifPKiSA_iPKfiiiSC_SC_iiiii.num_named_barrier, 0
	.set _ZN4vllm25paged_attention_v1_kernelIttLi112ELi8ELi128ELNS_18Fp8KVCacheDataTypeE0ELb0EEEvPT_PKS2_PKT0_S8_ifPKiSA_iPKfiiiSC_SC_iiiii.private_seg_size, 0
	.set _ZN4vllm25paged_attention_v1_kernelIttLi112ELi8ELi128ELNS_18Fp8KVCacheDataTypeE0ELb0EEEvPT_PKS2_PKT0_S8_ifPKiSA_iPKfiiiSC_SC_iiiii.uses_vcc, 1
	.set _ZN4vllm25paged_attention_v1_kernelIttLi112ELi8ELi128ELNS_18Fp8KVCacheDataTypeE0ELb0EEEvPT_PKS2_PKT0_S8_ifPKiSA_iPKfiiiSC_SC_iiiii.uses_flat_scratch, 0
	.set _ZN4vllm25paged_attention_v1_kernelIttLi112ELi8ELi128ELNS_18Fp8KVCacheDataTypeE0ELb0EEEvPT_PKS2_PKT0_S8_ifPKiSA_iPKfiiiSC_SC_iiiii.has_dyn_sized_stack, 0
	.set _ZN4vllm25paged_attention_v1_kernelIttLi112ELi8ELi128ELNS_18Fp8KVCacheDataTypeE0ELb0EEEvPT_PKS2_PKT0_S8_ifPKiSA_iPKfiiiSC_SC_iiiii.has_recursion, 0
	.set _ZN4vllm25paged_attention_v1_kernelIttLi112ELi8ELi128ELNS_18Fp8KVCacheDataTypeE0ELb0EEEvPT_PKS2_PKT0_S8_ifPKiSA_iPKfiiiSC_SC_iiiii.has_indirect_call, 0
	.section	.AMDGPU.csdata,"",@progbits
; Kernel info:
; codeLenInByte = 6720
; TotalNumSgprs: 29
; NumVgprs: 65
; ScratchSize: 0
; MemoryBound: 0
; FloatMode: 240
; IeeeMode: 1
; LDSByteSize: 256 bytes/workgroup (compile time only)
; SGPRBlocks: 0
; VGPRBlocks: 8
; NumSGPRsForWavesPerEU: 29
; NumVGPRsForWavesPerEU: 65
; Occupancy: 12
; WaveLimiterHint : 1
; COMPUTE_PGM_RSRC2:SCRATCH_EN: 0
; COMPUTE_PGM_RSRC2:USER_SGPR: 6
; COMPUTE_PGM_RSRC2:TRAP_HANDLER: 0
; COMPUTE_PGM_RSRC2:TGID_X_EN: 1
; COMPUTE_PGM_RSRC2:TGID_Y_EN: 1
; COMPUTE_PGM_RSRC2:TGID_Z_EN: 1
; COMPUTE_PGM_RSRC2:TIDIG_COMP_CNT: 0
	.section	.text._ZN4vllm25paged_attention_v1_kernelIttLi120ELi8ELi128ELNS_18Fp8KVCacheDataTypeE0ELb0EEEvPT_PKS2_PKT0_S8_ifPKiSA_iPKfiiiSC_SC_iiiii,"axG",@progbits,_ZN4vllm25paged_attention_v1_kernelIttLi120ELi8ELi128ELNS_18Fp8KVCacheDataTypeE0ELb0EEEvPT_PKS2_PKT0_S8_ifPKiSA_iPKfiiiSC_SC_iiiii,comdat
	.protected	_ZN4vllm25paged_attention_v1_kernelIttLi120ELi8ELi128ELNS_18Fp8KVCacheDataTypeE0ELb0EEEvPT_PKS2_PKT0_S8_ifPKiSA_iPKfiiiSC_SC_iiiii ; -- Begin function _ZN4vllm25paged_attention_v1_kernelIttLi120ELi8ELi128ELNS_18Fp8KVCacheDataTypeE0ELb0EEEvPT_PKS2_PKT0_S8_ifPKiSA_iPKfiiiSC_SC_iiiii
	.globl	_ZN4vllm25paged_attention_v1_kernelIttLi120ELi8ELi128ELNS_18Fp8KVCacheDataTypeE0ELb0EEEvPT_PKS2_PKT0_S8_ifPKiSA_iPKfiiiSC_SC_iiiii
	.p2align	8
	.type	_ZN4vllm25paged_attention_v1_kernelIttLi120ELi8ELi128ELNS_18Fp8KVCacheDataTypeE0ELb0EEEvPT_PKS2_PKT0_S8_ifPKiSA_iPKfiiiSC_SC_iiiii,@function
_ZN4vllm25paged_attention_v1_kernelIttLi120ELi8ELi128ELNS_18Fp8KVCacheDataTypeE0ELb0EEEvPT_PKS2_PKT0_S8_ifPKiSA_iPKfiiiSC_SC_iiiii: ; @_ZN4vllm25paged_attention_v1_kernelIttLi120ELi8ELi128ELNS_18Fp8KVCacheDataTypeE0ELb0EEEvPT_PKS2_PKT0_S8_ifPKiSA_iPKfiiiSC_SC_iiiii
; %bb.0:
	s_clause 0x2
	s_load_dword s9, s[4:5], 0x80
	s_load_dwordx2 s[0:1], s[4:5], 0x30
	s_load_dwordx2 s[24:25], s[4:5], 0x20
	s_mov_b32 s10, s7
	s_ashr_i32 s11, s7, 31
	s_lshl_b64 s[2:3], s[10:11], 2
	s_waitcnt lgkmcnt(0)
	s_add_u32 s0, s0, s2
	s_addc_u32 s1, s1, s3
	s_abs_i32 s2, s24
	s_abs_i32 s11, s9
	v_cvt_f32_u32_e32 v1, s2
	s_sub_i32 s7, 0, s2
	v_rcp_iflag_f32_e32 v1, v1
	v_mul_f32_e32 v1, 0x4f7ffffe, v1
	v_cvt_u32_f32_e32 v1, v1
	v_readfirstlane_b32 s3, v1
	s_mul_i32 s7, s7, s3
	s_mul_hi_u32 s7, s3, s7
	s_add_i32 s3, s3, s7
	s_xor_b32 s7, s9, s24
	s_mul_hi_u32 s3, s11, s3
	s_ashr_i32 s7, s7, 31
	s_mul_i32 s12, s3, s2
	s_mov_b32 s24, 0
	s_sub_i32 s11, s11, s12
	s_add_i32 s12, s3, 1
	s_sub_i32 s13, s11, s2
	s_cmp_ge_u32 s11, s2
	s_cselect_b32 s3, s12, s3
	s_cselect_b32 s11, s13, s11
	s_add_i32 s12, s3, 1
	s_cmp_ge_u32 s11, s2
	s_cselect_b32 s2, s12, s3
	s_abs_i32 s17, s6
	s_xor_b32 s2, s2, s7
	s_sub_i32 s18, s2, s7
	s_load_dwordx2 s[2:3], s[4:5], 0x40
	s_abs_i32 s16, s18
	v_cvt_f32_u32_e32 v1, s16
	s_sub_i32 s11, 0, s16
	v_rcp_iflag_f32_e32 v1, v1
	v_mul_f32_e32 v1, 0x4f7ffffe, v1
	v_cvt_u32_f32_e32 v1, v1
	v_readfirstlane_b32 s7, v1
	s_mul_i32 s11, s11, s7
	s_mul_hi_u32 s11, s7, s11
	s_add_i32 s7, s7, s11
	s_waitcnt lgkmcnt(0)
	s_cmp_eq_u64 s[2:3], 0
	s_mul_hi_u32 s20, s17, s7
	s_cbranch_scc1 .LBB68_2
; %bb.1:
	s_ashr_i32 s7, s6, 31
	s_lshl_b64 s[12:13], s[6:7], 2
	s_add_u32 s2, s2, s12
	s_addc_u32 s3, s3, s13
	s_load_dword s24, s[2:3], 0x0
.LBB68_2:
	s_load_dword s11, s[0:1], 0x0
	s_load_dwordx4 s[12:15], s[4:5], 0x48
	v_and_b32_e32 v1, 3, v0
	v_lshlrev_b32_e32 v2, 2, v0
	s_ashr_i32 s0, s6, 31
	s_ashr_i32 s1, s18, 31
	s_mulk_i32 s6, 0x78
	s_mov_b32 s2, exec_lo
	v_cmpx_gt_u32_e32 60, v0
	s_cbranch_execz .LBB68_4
; %bb.3:
	s_load_dwordx2 s[18:19], s[4:5], 0x8
	s_waitcnt lgkmcnt(0)
	s_mul_i32 s22, s12, s10
	v_and_b32_e32 v4, 0x3fc, v0
	s_ashr_i32 s23, s22, 31
	s_lshl_b64 s[22:23], s[22:23], 1
	v_mad_u32_u24 v4, v1, 60, v4
	s_add_u32 s3, s18, s22
	s_addc_u32 s12, s19, s23
	s_ashr_i32 s7, s6, 31
	s_lshl_b64 s[18:19], s[6:7], 1
	s_add_u32 s18, s3, s18
	s_addc_u32 s19, s12, s19
	global_load_dword v3, v2, s[18:19]
	s_waitcnt vmcnt(0)
	ds_write_b32 v4, v3
.LBB68_4:
	s_or_b32 exec_lo, exec_lo, s2
	s_waitcnt lgkmcnt(0)
	s_add_i32 s2, s11, 7
	s_clause 0x1
	s_load_dwordx2 s[18:19], s[4:5], 0x28
	s_load_dword s7, s[4:5], 0x38
	s_ashr_i32 s3, s2, 31
	s_xor_b32 s0, s0, s1
	s_lshr_b32 s3, s3, 29
	s_mul_i32 s1, s20, s16
	s_add_i32 s2, s2, s3
	s_sub_i32 s1, s17, s1
	s_ashr_i32 s12, s2, 3
	s_add_i32 s2, s20, 1
	s_sub_i32 s3, s1, s16
	s_cmp_ge_u32 s1, s16
	v_lshrrev_b32_e32 v9, 5, v0
	s_cselect_b32 s2, s2, s20
	s_cselect_b32 s1, s3, s1
	s_add_i32 s3, s2, 1
	s_cmp_ge_u32 s1, s16
	v_mbcnt_lo_u32_b32 v4, -1, 0
	s_cselect_b32 s1, s3, s2
	s_mov_b32 s2, exec_lo
	s_xor_b32 s1, s1, s0
	s_waitcnt lgkmcnt(0)
	s_mul_i32 s20, s7, s10
	s_sub_i32 s1, s1, s0
	v_cmp_gt_i32_e64 s0, s12, v9
	s_ashr_i32 s21, s20, 31
	s_barrier
	buffer_gl0_inv
                                        ; implicit-def: $vgpr5
                                        ; implicit-def: $vgpr6
	v_cmpx_le_i32_e64 s12, v9
	s_xor_b32 s2, exec_lo, s2
; %bb.5:
	v_mov_b32_e32 v5, 0
	v_mbcnt_lo_u32_b32 v4, -1, 0
	v_mov_b32_e32 v6, 32
                                        ; implicit-def: $vgpr2
                                        ; implicit-def: $vgpr1
; %bb.6:
	s_or_saveexec_b32 s26, s2
	s_clause 0x2
	s_load_dwordx2 s[16:17], s[4:5], 0x0
	s_load_dwordx2 s[22:23], s[4:5], 0x18
	s_load_dword s7, s[4:5], 0x88
	v_mov_b32_e32 v7, 0xff7fffff
	v_lshrrev_b32_e32 v3, 3, v0
	s_mul_i32 s14, s1, s14
	s_xor_b32 exec_lo, exec_lo, s26
	s_cbranch_execz .LBB68_12
; %bb.7:
	s_load_dwordx2 s[2:3], s[4:5], 0x10
	v_bfe_u32 v6, v0, 2, 3
	s_ashr_i32 s15, s14, 31
	v_mul_u32_u24_e32 v8, 60, v1
	v_cmp_eq_u32_e32 vcc_lo, 0, v1
	s_lshl_b64 s[4:5], s[14:15], 1
	v_lshlrev_b32_e32 v7, 2, v6
	v_lshlrev_b32_e32 v12, 4, v6
	v_and_b32_e32 v2, 12, v2
	v_lshl_or_b32 v10, v9, 3, v6
	v_mov_b32_e32 v5, 0
	v_lshl_or_b32 v1, v9, 5, v7
	v_and_b32_e32 v7, 0x7c, v3
	v_cmp_neq_f32_e64 s1, s24, 0
	v_xor_b32_e32 v14, 2, v4
	v_xor_b32_e32 v15, 1, v4
	v_add_nc_u32_e32 v11, 0x110, v1
	v_mov_b32_e32 v16, v9
	s_waitcnt lgkmcnt(0)
	s_add_u32 s15, s2, s4
	s_addc_u32 s5, s3, s5
	v_add_co_u32 v1, s15, s15, v12
	v_add_co_ci_u32_e64 v6, null, s5, 0, s15
	s_lshl_b64 s[2:3], s[20:21], 2
	s_sub_i32 s4, 1, s11
	s_add_u32 s5, s18, s2
	v_add_co_u32 v12, s2, v1, v2
	s_addc_u32 s3, s19, s3
	v_add_co_ci_u32_e64 v13, null, 0, v6, s2
	v_add_co_u32 v1, s2, s5, v7
	v_add_co_ci_u32_e64 v2, null, s3, 0, s2
	v_mov_b32_e32 v7, 0xff7fffff
	v_mov_b32_e32 v6, 32
	s_mov_b32 s15, s13
	s_mov_b32 s5, 0
	s_branch .LBB68_9
.LBB68_8:                               ;   in Loop: Header=BB68_9 Depth=1
	s_or_b32 exec_lo, exec_lo, s3
	v_add_nc_u32_e32 v16, 4, v16
	v_add_co_u32 v1, s3, v1, 16
	v_add_nc_u32_e32 v10, 32, v10
	v_add_nc_u32_e32 v11, 0x80, v11
	v_cmp_le_i32_e64 s2, s12, v16
	v_add_co_ci_u32_e64 v2, null, 0, v2, s3
	s_or_b32 s5, s2, s5
	s_andn2_b32 exec_lo, exec_lo, s5
	s_cbranch_execz .LBB68_11
.LBB68_9:                               ; =>This Inner Loop Header: Depth=1
	global_load_dword v17, v[1:2], off
	s_waitcnt vmcnt(0) lgkmcnt(0)
	v_mad_i64_i32 v[17:18], null, v17, s15, 0
	v_lshlrev_b64 v[17:18], 1, v[17:18]
	v_add_co_u32 v20, s2, v12, v17
	v_add_co_ci_u32_e64 v21, null, v13, v18, s2
	v_cmp_gt_i32_e64 s2, 32, v14
	s_clause 0xa
	global_load_dword v17, v[20:21], off
	global_load_dword v22, v[20:21], off offset:128
	global_load_dword v23, v[20:21], off offset:256
	;; [unrolled: 1-line block ×10, first 2 shown]
	ds_read_b32 v18, v8
	s_waitcnt lgkmcnt(0)
	v_lshrrev_b32_e32 v33, 16, v18
	v_and_b32_e32 v34, 0xffff, v18
	s_waitcnt vmcnt(10)
	v_lshrrev_b32_e32 v35, 16, v17
	v_and_b32_e32 v36, 0xffff, v17
	s_clause 0x3
	global_load_dword v32, v[20:21], off offset:1408
	global_load_dword v19, v[20:21], off offset:1536
	;; [unrolled: 1-line block ×4, first 2 shown]
	;;#ASMSTART
	v_cvt_f32_f16 v20, v34;
	;;#ASMEND
	;;#ASMSTART
	v_cvt_f32_f16 v21, v33;
	;;#ASMEND
	;; [unrolled: 3-line block ×4, first 2 shown]
	ds_read_b32 v35, v8 offset:4
	s_waitcnt vmcnt(13)
	v_and_b32_e32 v37, 0xffff, v22
	v_lshrrev_b32_e32 v38, 16, v22
	s_waitcnt vmcnt(12)
	v_and_b32_e32 v40, 0xffff, v23
	v_lshrrev_b32_e32 v41, 16, v23
	s_waitcnt vmcnt(11)
	v_and_b32_e32 v43, 0xffff, v24
	v_lshrrev_b32_e32 v44, 16, v24
	s_waitcnt vmcnt(10)
	v_and_b32_e32 v46, 0xffff, v25
	v_lshrrev_b32_e32 v47, 16, v25
	s_waitcnt vmcnt(9)
	v_and_b32_e32 v49, 0xffff, v26
	v_lshrrev_b32_e32 v50, 16, v26
	s_waitcnt vmcnt(8)
	v_and_b32_e32 v52, 0xffff, v27
	v_lshrrev_b32_e32 v53, 16, v27
	s_waitcnt vmcnt(7)
	v_and_b32_e32 v55, 0xffff, v28
	v_lshrrev_b32_e32 v56, 16, v28
	s_waitcnt vmcnt(6)
	v_and_b32_e32 v58, 0xffff, v29
	v_lshrrev_b32_e32 v59, 16, v29
	s_waitcnt vmcnt(5)
	v_and_b32_e32 v61, 0xffff, v30
	v_lshrrev_b32_e32 v62, 16, v30
	s_waitcnt vmcnt(4)
	v_and_b32_e32 v64, 0xffff, v31
	s_waitcnt lgkmcnt(0)
	v_and_b32_e32 v36, 0xffff, v35
	v_lshrrev_b32_e32 v35, 16, v35
	;;#ASMSTART
	v_cvt_f32_f16 v22, v36;
	;;#ASMEND
	;;#ASMSTART
	v_cvt_f32_f16 v35, v35;
	;;#ASMEND
	;;#ASMSTART
	v_cvt_f32_f16 v36, v37;
	;;#ASMEND
	;;#ASMSTART
	v_cvt_f32_f16 v37, v38;
	;;#ASMEND
	ds_read_b32 v38, v8 offset:8
	v_lshrrev_b32_e32 v65, 16, v31
	v_mul_f32_e32 v22, v22, v36
	v_mul_f32_e32 v35, v35, v37
	v_fmac_f32_e32 v22, v20, v33
	v_fmac_f32_e32 v35, v21, v34
	s_waitcnt lgkmcnt(0)
	v_and_b32_e32 v39, 0xffff, v38
	v_lshrrev_b32_e32 v38, 16, v38
	;;#ASMSTART
	v_cvt_f32_f16 v23, v39;
	;;#ASMEND
	;;#ASMSTART
	v_cvt_f32_f16 v38, v38;
	;;#ASMEND
	;;#ASMSTART
	v_cvt_f32_f16 v39, v40;
	;;#ASMEND
	;;#ASMSTART
	v_cvt_f32_f16 v40, v41;
	;;#ASMEND
	ds_read_b32 v41, v8 offset:12
	v_fmac_f32_e32 v22, v23, v39
	v_fmac_f32_e32 v35, v38, v40
	s_waitcnt lgkmcnt(0)
	v_and_b32_e32 v42, 0xffff, v41
	v_lshrrev_b32_e32 v41, 16, v41
	;;#ASMSTART
	v_cvt_f32_f16 v24, v42;
	;;#ASMEND
	;;#ASMSTART
	v_cvt_f32_f16 v41, v41;
	;;#ASMEND
	;;#ASMSTART
	v_cvt_f32_f16 v42, v43;
	;;#ASMEND
	;;#ASMSTART
	v_cvt_f32_f16 v43, v44;
	;;#ASMEND
	ds_read_b32 v44, v8 offset:16
	;; [unrolled: 18-line block ×6, first 2 shown]
	v_fmac_f32_e32 v22, v28, v54
	v_fmac_f32_e32 v35, v53, v55
	v_cndmask_b32_e64 v28, v4, v14, s2
	v_cmp_gt_i32_e64 s2, 32, v15
	s_waitcnt lgkmcnt(0)
	v_and_b32_e32 v57, 0xffff, v56
	v_lshrrev_b32_e32 v56, 16, v56
	;;#ASMSTART
	v_cvt_f32_f16 v29, v57;
	;;#ASMEND
	;;#ASMSTART
	v_cvt_f32_f16 v56, v56;
	;;#ASMEND
	;;#ASMSTART
	v_cvt_f32_f16 v57, v58;
	;;#ASMEND
	;;#ASMSTART
	v_cvt_f32_f16 v58, v59;
	;;#ASMEND
	ds_read_b32 v59, v8 offset:36
	v_fmac_f32_e32 v22, v29, v57
	v_fmac_f32_e32 v35, v56, v58
	s_waitcnt lgkmcnt(0)
	v_and_b32_e32 v60, 0xffff, v59
	v_lshrrev_b32_e32 v59, 16, v59
	;;#ASMSTART
	v_cvt_f32_f16 v30, v60;
	;;#ASMEND
	;;#ASMSTART
	v_cvt_f32_f16 v59, v59;
	;;#ASMEND
	;;#ASMSTART
	v_cvt_f32_f16 v60, v61;
	;;#ASMEND
	;;#ASMSTART
	v_cvt_f32_f16 v61, v62;
	;;#ASMEND
	ds_read_b32 v62, v8 offset:40
	v_fmac_f32_e32 v22, v30, v60
	v_fmac_f32_e32 v35, v59, v61
	;; [unrolled: 18-line block ×3, first 2 shown]
	s_waitcnt lgkmcnt(0)
	v_and_b32_e32 v66, 0xffff, v65
	v_lshrrev_b32_e32 v65, 16, v65
	s_waitcnt vmcnt(3)
	v_and_b32_e32 v67, 0xffff, v32
	v_lshrrev_b32_e32 v68, 16, v32
	;;#ASMSTART
	v_cvt_f32_f16 v32, v66;
	;;#ASMEND
	;;#ASMSTART
	v_cvt_f32_f16 v65, v65;
	;;#ASMEND
	;; [unrolled: 3-line block ×4, first 2 shown]
	ds_read_b32 v68, v8 offset:48
	s_waitcnt vmcnt(2)
	v_and_b32_e32 v23, 0xffff, v19
	v_lshrrev_b32_e32 v33, 16, v19
	s_waitcnt vmcnt(1)
	v_lshrrev_b32_e32 v26, 16, v18
	v_and_b32_e32 v27, 0xffff, v18
	v_fmac_f32_e32 v22, v32, v66
	v_fmac_f32_e32 v35, v65, v67
	s_waitcnt vmcnt(0)
	v_lshrrev_b32_e32 v29, 16, v17
	s_waitcnt lgkmcnt(0)
	v_and_b32_e32 v20, 0xffff, v68
	v_lshrrev_b32_e32 v21, 16, v68
	;;#ASMSTART
	v_cvt_f32_f16 v19, v20;
	;;#ASMEND
	;;#ASMSTART
	v_cvt_f32_f16 v20, v21;
	;;#ASMEND
	;; [unrolled: 3-line block ×4, first 2 shown]
	ds_read_b32 v24, v8 offset:52
	v_fmac_f32_e32 v22, v19, v21
	v_fmac_f32_e32 v35, v20, v23
	v_and_b32_e32 v21, 0xffff, v17
	s_waitcnt lgkmcnt(0)
	v_and_b32_e32 v25, 0xffff, v24
	v_lshrrev_b32_e32 v24, 16, v24
	;;#ASMSTART
	v_cvt_f32_f16 v18, v25;
	;;#ASMEND
	;;#ASMSTART
	v_cvt_f32_f16 v24, v24;
	;;#ASMEND
	;; [unrolled: 3-line block ×4, first 2 shown]
	ds_read_b32 v27, v8 offset:56
	v_fmac_f32_e32 v22, v18, v25
	v_fmac_f32_e32 v35, v24, v26
	s_waitcnt lgkmcnt(0)
	v_and_b32_e32 v19, 0xffff, v27
	v_lshrrev_b32_e32 v20, 16, v27
	;;#ASMSTART
	v_cvt_f32_f16 v17, v19;
	;;#ASMEND
	;;#ASMSTART
	v_cvt_f32_f16 v18, v20;
	;;#ASMEND
	;; [unrolled: 3-line block ×4, first 2 shown]
	v_fmac_f32_e32 v22, v17, v19
	v_fmac_f32_e32 v35, v18, v20
	v_lshlrev_b32_e32 v17, 2, v28
	v_cndmask_b32_e64 v19, v4, v15, s2
	v_add_f32_e32 v18, v22, v35
	ds_bpermute_b32 v17, v17, v18
	s_waitcnt lgkmcnt(0)
	v_add_f32_e32 v17, v18, v17
	v_lshlrev_b32_e32 v18, 2, v19
	ds_bpermute_b32 v18, v18, v17
	s_and_saveexec_b32 s3, vcc_lo
	s_cbranch_execz .LBB68_8
; %bb.10:                               ;   in Loop: Header=BB68_9 Depth=1
	v_add_nc_u32_e32 v19, s4, v10
	s_waitcnt lgkmcnt(0)
	v_add_f32_e32 v17, v17, v18
	v_cmp_gt_i32_e64 s2, s11, v10
	v_cvt_f32_i32_e32 v19, v19
	v_mul_f32_e32 v19, s24, v19
	v_cndmask_b32_e64 v18, 0, v19, s1
	v_max_f32_e32 v19, v7, v7
	v_fmac_f32_e32 v18, s25, v17
	v_max_f32_e32 v17, v19, v18
	v_cndmask_b32_e64 v18, 0, v18, s2
	v_cndmask_b32_e64 v7, v7, v17, s2
	ds_write_b32 v11, v18
	s_branch .LBB68_8
.LBB68_11:
	s_or_b32 exec_lo, exec_lo, s5
.LBB68_12:
	s_or_b32 exec_lo, exec_lo, s26
	v_xor_b32_e32 v1, 16, v4
	v_xor_b32_e32 v8, 8, v4
	v_cmp_lt_i32_e32 vcc_lo, v1, v6
	v_cndmask_b32_e32 v1, v4, v1, vcc_lo
	v_cmp_lt_i32_e32 vcc_lo, v8, v6
	v_lshlrev_b32_e32 v1, 2, v1
	v_cndmask_b32_e32 v8, v4, v8, vcc_lo
	ds_bpermute_b32 v2, v1, v7
	v_max_f32_e32 v7, v7, v7
	s_waitcnt lgkmcnt(0)
	v_max_f32_e32 v10, v2, v2
	v_lshlrev_b32_e32 v2, 2, v8
	v_max_f32_e32 v7, v7, v10
	v_xor_b32_e32 v10, 4, v4
	ds_bpermute_b32 v8, v2, v7
	v_cmp_lt_i32_e32 vcc_lo, v10, v6
	v_cndmask_b32_e32 v10, v4, v10, vcc_lo
	v_lshlrev_b32_e32 v12, 2, v10
	v_and_b32_e32 v10, 31, v0
	v_cmp_eq_u32_e32 vcc_lo, 0, v10
	s_waitcnt lgkmcnt(0)
	v_max_f32_e32 v8, v8, v8
	v_max_f32_e32 v8, v7, v8
	v_lshlrev_b32_e32 v7, 2, v9
	ds_bpermute_b32 v11, v12, v8
	s_and_saveexec_b32 s1, vcc_lo
	s_cbranch_execz .LBB68_14
; %bb.13:
	s_waitcnt lgkmcnt(0)
	v_max_f32_e32 v11, v11, v11
	v_max_f32_e32 v8, v8, v8
	;; [unrolled: 1-line block ×3, first 2 shown]
	ds_write_b32 v7, v8 offset:240
.LBB68_14:
	s_or_b32 exec_lo, exec_lo, s1
	v_cmp_gt_u32_e64 s1, 4, v10
	s_waitcnt lgkmcnt(0)
	v_mov_b32_e32 v11, 0xff7fffff
	v_lshlrev_b32_e32 v8, 2, v10
	s_barrier
	buffer_gl0_inv
	s_and_saveexec_b32 s2, s1
; %bb.15:
	ds_read_b32 v11, v8 offset:240
; %bb.16:
	s_or_b32 exec_lo, exec_lo, s2
	v_xor_b32_e32 v13, 2, v4
	v_xor_b32_e32 v15, 1, v4
	v_lshlrev_b32_e32 v5, 2, v5
	v_cmp_lt_i32_e64 s2, v13, v6
	v_cndmask_b32_e64 v13, v4, v13, s2
	v_cmp_lt_i32_e64 s2, v15, v6
	v_lshlrev_b32_e32 v13, 2, v13
	v_cndmask_b32_e64 v6, v4, v15, s2
	s_lshl_b32 s2, s12, 3
	s_min_i32 s4, s2, s11
	s_waitcnt lgkmcnt(0)
	ds_bpermute_b32 v14, v13, v11
	v_max_f32_e32 v11, v11, v11
	v_lshlrev_b32_e32 v6, 2, v6
	v_cmp_gt_i32_e64 s2, s4, v0
	s_waitcnt lgkmcnt(0)
	v_max_f32_e32 v14, v14, v14
	v_max_f32_e32 v11, v11, v14
	ds_bpermute_b32 v14, v6, v11
	s_waitcnt lgkmcnt(0)
	v_max_f32_e32 v14, v14, v14
	v_max_f32_e32 v11, v11, v14
	ds_bpermute_b32 v14, v5, v11
	v_mov_b32_e32 v5, 0
	v_lshl_add_u32 v11, v0, 2, 0x110
	s_and_saveexec_b32 s5, s2
	s_cbranch_execz .LBB68_20
; %bb.17:
	v_lshl_add_u32 v15, v0, 2, 0x110
	v_mov_b32_e32 v5, 0
	v_mov_b32_e32 v16, v0
	s_mov_b32 s15, 0
	.p2align	6
.LBB68_18:                              ; =>This Inner Loop Header: Depth=1
	ds_read_b32 v17, v15
	v_add_nc_u32_e32 v16, 0x80, v16
	v_cmp_le_i32_e64 s3, s4, v16
	s_or_b32 s15, s3, s15
	s_waitcnt lgkmcnt(0)
	v_sub_f32_e32 v17, v17, v14
	v_mul_f32_e32 v17, 0x3fb8aa3b, v17
	v_exp_f32_e32 v17, v17
	ds_write_b32 v15, v17
	v_add_f32_e32 v5, v5, v17
	v_add_nc_u32_e32 v15, 0x200, v15
	s_andn2_b32 exec_lo, exec_lo, s15
	s_cbranch_execnz .LBB68_18
; %bb.19:
	s_or_b32 exec_lo, exec_lo, s15
.LBB68_20:
	s_or_b32 exec_lo, exec_lo, s5
	ds_bpermute_b32 v1, v1, v5
	s_waitcnt lgkmcnt(0)
	v_add_f32_e32 v1, v5, v1
	ds_bpermute_b32 v2, v2, v1
	s_waitcnt lgkmcnt(0)
	v_add_f32_e32 v1, v1, v2
	;; [unrolled: 3-line block ×5, first 2 shown]
	s_and_saveexec_b32 s3, vcc_lo
; %bb.21:
	ds_write_b32 v7, v1 offset:256
; %bb.22:
	s_or_b32 exec_lo, exec_lo, s3
	s_waitcnt lgkmcnt(0)
	s_barrier
	buffer_gl0_inv
	s_and_saveexec_b32 s3, s1
; %bb.23:
	ds_read_b32 v1, v8 offset:256
; %bb.24:
	s_or_b32 exec_lo, exec_lo, s3
	s_waitcnt lgkmcnt(0)
	ds_bpermute_b32 v2, v13, v1
	v_lshlrev_b32_e32 v4, 2, v4
	s_waitcnt lgkmcnt(0)
	v_add_f32_e32 v1, v1, v2
	ds_bpermute_b32 v2, v6, v1
	s_waitcnt lgkmcnt(0)
	v_add_f32_e32 v1, v1, v2
	v_and_b32_e32 v2, 0xffffff80, v4
	ds_bpermute_b32 v1, v2, v1
	s_and_saveexec_b32 s1, s2
	s_cbranch_execz .LBB68_27
; %bb.25:
	s_waitcnt lgkmcnt(0)
	v_add_f32_e32 v2, 0x358637bd, v1
	s_mov_b32 s2, 0
	v_div_scale_f32 v1, null, v2, v2, 1.0
	v_div_scale_f32 v6, vcc_lo, 1.0, v2, 1.0
	v_rcp_f32_e32 v4, v1
	v_fma_f32 v5, -v1, v4, 1.0
	v_fmac_f32_e32 v4, v5, v4
	v_mul_f32_e32 v5, v6, v4
	v_fma_f32 v7, -v1, v5, v6
	v_fmac_f32_e32 v5, v7, v4
	v_fma_f32 v1, -v1, v5, v6
	v_div_fmas_f32 v4, v1, v4, v5
	v_mov_b32_e32 v1, v11
	v_div_fixup_f32 v2, v4, v2, 1.0
	v_mov_b32_e32 v4, v0
.LBB68_26:                              ; =>This Inner Loop Header: Depth=1
	ds_read_b32 v5, v1
	v_add_nc_u32_e32 v4, 0x80, v4
	v_cmp_le_i32_e32 vcc_lo, s4, v4
	s_or_b32 s2, vcc_lo, s2
	s_waitcnt lgkmcnt(0)
	v_mul_f32_e32 v5, v2, v5
	ds_write_b32 v1, v5
	v_add_nc_u32_e32 v1, 0x200, v1
	s_andn2_b32 exec_lo, exec_lo, s2
	s_cbranch_execnz .LBB68_26
.LBB68_27:
	s_or_b32 exec_lo, exec_lo, s1
	v_mov_b32_e32 v15, 0
	v_mov_b32_e32 v14, 0
	;; [unrolled: 1-line block ×4, first 2 shown]
	s_waitcnt lgkmcnt(0)
	s_barrier
	buffer_gl0_inv
	s_and_saveexec_b32 s3, s0
	s_cbranch_execz .LBB68_41
; %bb.28:
	s_ashr_i32 s15, s14, 31
	v_or_b32_e32 v1, 0x60, v10
	s_lshl_b64 s[0:1], s[14:15], 1
	v_and_b32_e32 v3, 0x7c, v3
	s_add_u32 s4, s22, s0
	s_addc_u32 s5, s23, s1
	s_lshl_b64 s[20:21], s[20:21], 2
	s_add_i32 s14, s12, -1
	v_lshlrev_b32_e32 v2, 3, v10
	v_cmp_gt_u32_e64 s0, 0x78, v1
	v_lshlrev_b32_e32 v1, 3, v1
	s_add_u32 s1, s18, s20
	s_addc_u32 s2, s19, s21
	v_add_co_u32 v5, s1, s1, v3
	v_mov_b32_e32 v16, 0
	v_lshl_or_b32 v17, v9, 3, 7
	v_lshl_add_u32 v18, v9, 5, 0x110
	v_add_co_ci_u32_e64 v6, null, s2, 0, s1
	v_lshlrev_b32_e32 v19, 1, v2
	v_lshlrev_b32_e32 v20, 1, v1
	v_mov_b32_e32 v12, 0
	v_mov_b32_e32 v13, 0
	;; [unrolled: 1-line block ×5, first 2 shown]
	s_mov_b32 s15, s13
	s_mov_b32 s13, 0
	s_branch .LBB68_31
.LBB68_29:                              ;   in Loop: Header=BB68_31 Depth=1
	s_or_b32 exec_lo, exec_lo, s18
	v_lshlrev_b32_e32 v22, 16, v33
	v_lshlrev_b32_e32 v26, 16, v26
	;; [unrolled: 1-line block ×3, first 2 shown]
	v_and_or_b32 v1, 0xffff, v1, v22
	v_and_or_b32 v2, 0xffff, v2, v26
	;; [unrolled: 1-line block ×3, first 2 shown]
	;;#ASMSTART
	v_pk_mul_f16 v1, v28, v1;

	;;#ASMEND
	;;#ASMSTART
	v_pk_mul_f16 v2, v27, v2;

	;;#ASMEND
	;; [unrolled: 4-line block ×4, first 2 shown]
	;;#ASMSTART
	v_pk_add_f16 v1, v1, v2;

	;;#ASMEND
	;;#ASMSTART
	v_pk_add_f16 v1, v1, v3;

	;;#ASMEND
	;; [unrolled: 4-line block ×3, first 2 shown]
	v_and_b32_e32 v2, 0xffff, v1
	v_lshrrev_b32_e32 v3, 16, v1
	;;#ASMSTART
	v_cvt_f32_f16 v1, v2;
	;;#ASMEND
	;;#ASMSTART
	v_cvt_f32_f16 v2, v3;
	;;#ASMEND
	v_add_f32_e32 v1, v1, v2
	v_add_f32_e32 v12, v12, v1
.LBB68_30:                              ;   in Loop: Header=BB68_31 Depth=1
	s_or_b32 exec_lo, exec_lo, s2
	v_add_nc_u32_e32 v21, 4, v21
	v_add_f32_e32 v1, v7, v8
	v_add_f32_e32 v2, v31, v32
	;; [unrolled: 1-line block ×3, first 2 shown]
	v_add_co_u32 v5, s1, v5, 16
	v_cmp_le_i32_e32 vcc_lo, s12, v21
	v_add_f32_e32 v13, v13, v1
	v_add_f32_e32 v14, v14, v2
	v_add_f32_e32 v15, v15, v3
	v_add_nc_u32_e32 v17, 32, v17
	v_add_nc_u32_e32 v18, 0x80, v18
	v_add_co_ci_u32_e64 v6, null, 0, v6, s1
	s_or_b32 s13, vcc_lo, s13
	s_andn2_b32 exec_lo, exec_lo, s13
	s_cbranch_execz .LBB68_40
.LBB68_31:                              ; =>This Inner Loop Header: Depth=1
	global_load_dword v7, v[5:6], off
	ds_read2_b64 v[1:4], v18 offset1:1
	ds_read2_b64 v[32:35], v18 offset0:2 offset1:3
	s_waitcnt lgkmcnt(1)
	;;#ASMSTART
	v_cvt_f16_f32 v28, v1;

	;;#ASMEND
	;;#ASMSTART
	v_cvt_f16_f32 v23, v2;

	;;#ASMEND
	;; [unrolled: 4-line block ×4, first 2 shown]
	s_waitcnt lgkmcnt(0)
	;;#ASMSTART
	v_cvt_f16_f32 v32, v32;

	;;#ASMEND
	;;#ASMSTART
	v_cvt_f16_f32 v29, v33;

	;;#ASMEND
	;; [unrolled: 4-line block ×4, first 2 shown]
	v_add_nc_u32_e32 v22, -7, v17
	v_cmp_eq_u32_e64 s1, s14, v21
	s_waitcnt vmcnt(0)
	v_mad_i64_i32 v[7:8], null, v7, s15, 0
	v_lshlrev_b64 v[7:8], 1, v[7:8]
	v_add_co_u32 v25, vcc_lo, s4, v7
	v_add_co_ci_u32_e64 v26, null, s5, v8, vcc_lo
	v_add_co_u32 v7, vcc_lo, v25, v19
	v_add_co_ci_u32_e64 v8, null, 0, v26, vcc_lo
	global_load_dwordx4 v[1:4], v[7:8], off
	s_waitcnt vmcnt(0)
	v_lshrrev_b32_e32 v35, 16, v1
	v_lshrrev_b32_e32 v34, 16, v2
	;; [unrolled: 1-line block ×3, first 2 shown]
	s_and_saveexec_b32 s18, s1
	s_cbranch_execz .LBB68_33
; %bb.32:                               ;   in Loop: Header=BB68_31 Depth=1
	v_add_nc_u32_e32 v36, -6, v17
	v_cmp_gt_i32_e32 vcc_lo, s11, v22
	v_add_nc_u32_e32 v37, -5, v17
	v_add_nc_u32_e32 v39, -1, v17
	;; [unrolled: 1-line block ×3, first 2 shown]
	v_cndmask_b32_e32 v1, 0, v1, vcc_lo
	v_cmp_gt_i32_e32 vcc_lo, s11, v36
	v_add_nc_u32_e32 v36, -3, v17
	v_cmp_gt_i32_e64 s2, s11, v38
	v_and_b32_e32 v38, 0xffff0000, v4
	v_cndmask_b32_e32 v35, 0, v35, vcc_lo
	v_cmp_gt_i32_e32 vcc_lo, s11, v37
	v_add_nc_u32_e32 v37, -2, v17
	v_cndmask_b32_e64 v34, 0, v34, s2
	v_cndmask_b32_e32 v2, 0, v2, vcc_lo
	v_cmp_gt_i32_e32 vcc_lo, s11, v39
	v_cndmask_b32_sdwa v4, v16, v4, vcc_lo dst_sel:DWORD dst_unused:UNUSED_PAD src0_sel:DWORD src1_sel:WORD_0
	v_cmp_gt_i32_e32 vcc_lo, s11, v17
	v_cndmask_b32_e32 v38, 0, v38, vcc_lo
	v_cmp_gt_i32_e32 vcc_lo, s11, v36
	v_or_b32_e32 v4, v4, v38
	v_cndmask_b32_e32 v3, 0, v3, vcc_lo
	v_cmp_gt_i32_e32 vcc_lo, s11, v37
	v_cndmask_b32_e32 v33, 0, v33, vcc_lo
.LBB68_33:                              ;   in Loop: Header=BB68_31 Depth=1
	s_or_b32 exec_lo, exec_lo, s18
	v_and_b32_e32 v28, 0xffff, v28
	v_and_b32_e32 v31, 0xffff, v31
	v_lshlrev_b32_e32 v35, 16, v35
	v_and_b32_e32 v32, 0xffff, v32
	v_and_b32_e32 v30, 0xffff, v30
	v_lshl_or_b32 v28, v23, 16, v28
	v_lshl_or_b32 v27, v27, 16, v31
	v_lshlrev_b32_e32 v23, 16, v34
	v_lshlrev_b32_e32 v31, 16, v33
	v_and_or_b32 v1, 0xffff, v1, v35
	;;#ASMSTART
	v_pk_mul_f16 v1, v28, v1;

	;;#ASMEND
	v_lshl_or_b32 v29, v29, 16, v32
	v_and_or_b32 v2, 0xffff, v2, v23
	v_and_or_b32 v3, 0xffff, v3, v31
	v_lshl_or_b32 v30, v24, 16, v30
	;;#ASMSTART
	v_pk_mul_f16 v2, v27, v2;

	;;#ASMEND
	;;#ASMSTART
	v_pk_mul_f16 v3, v29, v3;

	;;#ASMEND
	;;#ASMSTART
	v_pk_mul_f16 v4, v30, v4;

	;;#ASMEND
	;;#ASMSTART
	v_pk_add_f16 v1, v1, v2;

	;;#ASMEND
	;;#ASMSTART
	v_pk_add_f16 v1, v1, v3;

	;;#ASMEND
	;; [unrolled: 4-line block ×3, first 2 shown]
	v_and_b32_e32 v2, 0xffff, v1
	v_lshrrev_b32_e32 v1, 16, v1
	;;#ASMSTART
	v_cvt_f32_f16 v23, v2;
	;;#ASMEND
	;;#ASMSTART
	v_cvt_f32_f16 v24, v1;
	;;#ASMEND
	global_load_dwordx4 v[1:4], v[7:8], off offset:512
	s_waitcnt vmcnt(0)
	v_lshrrev_b32_e32 v33, 16, v1
	v_lshrrev_b32_e32 v32, 16, v2
	;; [unrolled: 1-line block ×3, first 2 shown]
	s_and_saveexec_b32 s18, s1
	s_cbranch_execz .LBB68_35
; %bb.34:                               ;   in Loop: Header=BB68_31 Depth=1
	v_add_nc_u32_e32 v34, -6, v17
	v_cmp_gt_i32_e32 vcc_lo, s11, v22
	v_add_nc_u32_e32 v35, -5, v17
	v_add_nc_u32_e32 v37, -1, v17
	;; [unrolled: 1-line block ×3, first 2 shown]
	v_cndmask_b32_e32 v1, 0, v1, vcc_lo
	v_cmp_gt_i32_e32 vcc_lo, s11, v34
	v_add_nc_u32_e32 v34, -3, v17
	v_cmp_gt_i32_e64 s2, s11, v36
	v_and_b32_e32 v36, 0xffff0000, v4
	v_cndmask_b32_e32 v33, 0, v33, vcc_lo
	v_cmp_gt_i32_e32 vcc_lo, s11, v35
	v_add_nc_u32_e32 v35, -2, v17
	v_cndmask_b32_e64 v32, 0, v32, s2
	v_cndmask_b32_e32 v2, 0, v2, vcc_lo
	v_cmp_gt_i32_e32 vcc_lo, s11, v37
	v_cndmask_b32_sdwa v4, v16, v4, vcc_lo dst_sel:DWORD dst_unused:UNUSED_PAD src0_sel:DWORD src1_sel:WORD_0
	v_cmp_gt_i32_e32 vcc_lo, s11, v17
	v_cndmask_b32_e32 v36, 0, v36, vcc_lo
	v_cmp_gt_i32_e32 vcc_lo, s11, v34
	v_or_b32_e32 v4, v4, v36
	v_cndmask_b32_e32 v3, 0, v3, vcc_lo
	v_cmp_gt_i32_e32 vcc_lo, s11, v35
	v_cndmask_b32_e32 v31, 0, v31, vcc_lo
.LBB68_35:                              ;   in Loop: Header=BB68_31 Depth=1
	s_or_b32 exec_lo, exec_lo, s18
	v_lshlrev_b32_e32 v33, 16, v33
	v_lshlrev_b32_e32 v32, 16, v32
	;; [unrolled: 1-line block ×3, first 2 shown]
	v_and_or_b32 v1, 0xffff, v1, v33
	v_and_or_b32 v2, 0xffff, v2, v32
	;; [unrolled: 1-line block ×3, first 2 shown]
	;;#ASMSTART
	v_pk_mul_f16 v1, v28, v1;

	;;#ASMEND
	;;#ASMSTART
	v_pk_mul_f16 v2, v27, v2;

	;;#ASMEND
	;; [unrolled: 4-line block ×4, first 2 shown]
	;;#ASMSTART
	v_pk_add_f16 v1, v1, v2;

	;;#ASMEND
	;;#ASMSTART
	v_pk_add_f16 v1, v1, v3;

	;;#ASMEND
	;; [unrolled: 4-line block ×3, first 2 shown]
	v_and_b32_e32 v2, 0xffff, v1
	v_lshrrev_b32_e32 v1, 16, v1
	;;#ASMSTART
	v_cvt_f32_f16 v31, v2;
	;;#ASMEND
	;;#ASMSTART
	v_cvt_f32_f16 v32, v1;
	;;#ASMEND
	global_load_dwordx4 v[1:4], v[7:8], off offset:1024
	s_waitcnt vmcnt(0)
	v_lshrrev_b32_e32 v33, 16, v1
	v_lshrrev_b32_e32 v8, 16, v2
	;; [unrolled: 1-line block ×3, first 2 shown]
	s_and_saveexec_b32 s18, s1
	s_cbranch_execz .LBB68_37
; %bb.36:                               ;   in Loop: Header=BB68_31 Depth=1
	v_add_nc_u32_e32 v34, -6, v17
	v_cmp_gt_i32_e32 vcc_lo, s11, v22
	v_add_nc_u32_e32 v35, -5, v17
	v_add_nc_u32_e32 v37, -1, v17
	v_add_nc_u32_e32 v36, -4, v17
	v_cndmask_b32_e32 v1, 0, v1, vcc_lo
	v_cmp_gt_i32_e32 vcc_lo, s11, v34
	v_add_nc_u32_e32 v34, -3, v17
	v_cmp_gt_i32_e64 s2, s11, v36
	v_and_b32_e32 v36, 0xffff0000, v4
	v_cndmask_b32_e32 v33, 0, v33, vcc_lo
	v_cmp_gt_i32_e32 vcc_lo, s11, v35
	v_add_nc_u32_e32 v35, -2, v17
	v_cndmask_b32_e64 v8, 0, v8, s2
	v_cndmask_b32_e32 v2, 0, v2, vcc_lo
	v_cmp_gt_i32_e32 vcc_lo, s11, v37
	v_cndmask_b32_sdwa v4, v16, v4, vcc_lo dst_sel:DWORD dst_unused:UNUSED_PAD src0_sel:DWORD src1_sel:WORD_0
	v_cmp_gt_i32_e32 vcc_lo, s11, v17
	v_cndmask_b32_e32 v36, 0, v36, vcc_lo
	v_cmp_gt_i32_e32 vcc_lo, s11, v34
	v_or_b32_e32 v4, v4, v36
	v_cndmask_b32_e32 v3, 0, v3, vcc_lo
	v_cmp_gt_i32_e32 vcc_lo, s11, v35
	v_cndmask_b32_e32 v7, 0, v7, vcc_lo
.LBB68_37:                              ;   in Loop: Header=BB68_31 Depth=1
	s_or_b32 exec_lo, exec_lo, s18
	v_lshlrev_b32_e32 v33, 16, v33
	v_lshlrev_b32_e32 v8, 16, v8
	;; [unrolled: 1-line block ×3, first 2 shown]
	v_and_or_b32 v1, 0xffff, v1, v33
	v_and_or_b32 v2, 0xffff, v2, v8
	;; [unrolled: 1-line block ×3, first 2 shown]
	;;#ASMSTART
	v_pk_mul_f16 v1, v28, v1;

	;;#ASMEND
	;;#ASMSTART
	v_pk_mul_f16 v2, v27, v2;

	;;#ASMEND
	;; [unrolled: 4-line block ×4, first 2 shown]
	;;#ASMSTART
	v_pk_add_f16 v1, v1, v2;

	;;#ASMEND
	;;#ASMSTART
	v_pk_add_f16 v1, v1, v3;

	;;#ASMEND
	;; [unrolled: 4-line block ×3, first 2 shown]
	v_and_b32_e32 v2, 0xffff, v1
	v_lshrrev_b32_e32 v1, 16, v1
	;;#ASMSTART
	v_cvt_f32_f16 v7, v2;
	;;#ASMEND
	;;#ASMSTART
	v_cvt_f32_f16 v8, v1;
	;;#ASMEND
	s_and_saveexec_b32 s2, s0
	s_cbranch_execz .LBB68_30
; %bb.38:                               ;   in Loop: Header=BB68_31 Depth=1
	v_add_co_u32 v1, vcc_lo, v25, v20
	v_add_co_ci_u32_e64 v2, null, 0, v26, vcc_lo
	global_load_dwordx4 v[1:4], v[1:2], off
	s_waitcnt vmcnt(0)
	v_lshrrev_b32_e32 v33, 16, v1
	v_lshrrev_b32_e32 v26, 16, v2
	v_lshrrev_b32_e32 v25, 16, v3
	s_and_saveexec_b32 s18, s1
	s_cbranch_execz .LBB68_29
; %bb.39:                               ;   in Loop: Header=BB68_31 Depth=1
	v_add_nc_u32_e32 v34, -6, v17
	v_cmp_gt_i32_e32 vcc_lo, s11, v22
	v_add_nc_u32_e32 v22, -5, v17
	v_add_nc_u32_e32 v36, -1, v17
	;; [unrolled: 1-line block ×3, first 2 shown]
	v_cndmask_b32_e32 v1, 0, v1, vcc_lo
	v_cmp_gt_i32_e32 vcc_lo, s11, v34
	v_add_nc_u32_e32 v34, -2, v17
	v_cmp_gt_i32_e64 s1, s11, v35
	v_and_b32_e32 v35, 0xffff0000, v4
	v_cndmask_b32_e32 v33, 0, v33, vcc_lo
	v_cmp_gt_i32_e32 vcc_lo, s11, v22
	v_add_nc_u32_e32 v22, -3, v17
	v_cndmask_b32_e64 v26, 0, v26, s1
	v_cndmask_b32_e32 v2, 0, v2, vcc_lo
	v_cmp_gt_i32_e32 vcc_lo, s11, v36
	v_cndmask_b32_sdwa v4, v16, v4, vcc_lo dst_sel:DWORD dst_unused:UNUSED_PAD src0_sel:DWORD src1_sel:WORD_0
	v_cmp_gt_i32_e32 vcc_lo, s11, v17
	v_cndmask_b32_e32 v35, 0, v35, vcc_lo
	v_cmp_gt_i32_e32 vcc_lo, s11, v22
	v_or_b32_e32 v4, v4, v35
	v_cndmask_b32_e32 v3, 0, v3, vcc_lo
	v_cmp_gt_i32_e32 vcc_lo, s11, v34
	v_cndmask_b32_e32 v25, 0, v25, vcc_lo
	s_branch .LBB68_29
.LBB68_40:
	s_or_b32 exec_lo, exec_lo, s13
.LBB68_41:
	s_or_b32 exec_lo, exec_lo, s3
	s_movk_i32 s0, 0x1e0
	v_and_b32_e32 v1, 0x3c0, v0
	v_mad_u32_u24 v4, v9, s0, 0x110
	v_or_b32_e32 v3, 0x60, v0
	s_mov_b32 s0, exec_lo
	s_barrier
	buffer_gl0_inv
	v_cmpx_eq_u32_e32 64, v1
	s_cbranch_execz .LBB68_44
; %bb.42:
	v_add_nc_u32_e32 v1, 0xfffffc40, v4
	v_cmp_gt_u32_e32 vcc_lo, 0x78, v3
	v_lshl_add_u32 v2, v10, 2, v1
	ds_write2_b32 v2, v15, v14 offset1:32
	ds_write_b32 v2, v13 offset:256
	s_and_b32 exec_lo, exec_lo, vcc_lo
; %bb.43:
	v_lshl_add_u32 v1, v3, 2, v1
	ds_write_b32 v1, v12
.LBB68_44:
	s_or_b32 exec_lo, exec_lo, s0
	v_lshl_add_u32 v5, v10, 2, v4
	s_mov_b32 s0, exec_lo
	s_waitcnt lgkmcnt(0)
	s_barrier
	buffer_gl0_inv
	v_cmpx_gt_u32_e32 64, v0
	s_cbranch_execz .LBB68_48
; %bb.45:
	v_lshl_or_b32 v1, v0, 2, 0x80
	s_mov_b32 s1, exec_lo
	v_add_nc_u32_e32 v6, v4, v1
	ds_read2st64_b32 v[1:2], v5 offset1:1
	ds_read_b32 v6, v6
	v_cmpx_gt_u32_e32 0x78, v3
	s_cbranch_execz .LBB68_47
; %bb.46:
	v_lshl_add_u32 v7, v3, 2, v4
	ds_read_b32 v7, v7
	s_waitcnt lgkmcnt(0)
	v_add_f32_e32 v12, v12, v7
.LBB68_47:
	s_or_b32 exec_lo, exec_lo, s1
	s_waitcnt lgkmcnt(1)
	v_add_f32_e32 v15, v15, v1
	s_waitcnt lgkmcnt(0)
	v_add_f32_e32 v14, v14, v6
	v_add_f32_e32 v13, v13, v2
.LBB68_48:
	s_or_b32 exec_lo, exec_lo, s0
	v_and_b32_e32 v1, 0x3e0, v0
	s_mov_b32 s0, exec_lo
	s_barrier
	buffer_gl0_inv
	v_cmpx_eq_u32_e32 32, v1
	s_cbranch_execz .LBB68_51
; %bb.49:
	v_lshl_add_u32 v1, v10, 2, 0x110
	v_cmp_gt_u32_e32 vcc_lo, 0x78, v3
	ds_write_b32 v1, v15
	ds_write_b32 v11, v14
	ds_write_b32 v1, v13 offset:256
	s_and_b32 exec_lo, exec_lo, vcc_lo
; %bb.50:
	v_lshl_add_u32 v1, v3, 2, 0x110
	ds_write_b32 v1, v12
.LBB68_51:
	s_or_b32 exec_lo, exec_lo, s0
	v_cmp_gt_u32_e32 vcc_lo, 32, v0
	s_waitcnt lgkmcnt(0)
	s_barrier
	buffer_gl0_inv
	s_and_saveexec_b32 s1, vcc_lo
	s_cbranch_execz .LBB68_55
; %bb.52:
	v_lshl_add_u32 v6, v0, 2, v4
	s_mov_b32 s2, exec_lo
	ds_read_b32 v4, v5
	ds_read2_b32 v[1:2], v6 offset0:32 offset1:64
	v_cmpx_gt_u32_e32 0x78, v3
	s_cbranch_execz .LBB68_54
; %bb.53:
	ds_read_b32 v5, v6 offset:384
	s_waitcnt lgkmcnt(0)
	v_add_f32_e32 v12, v12, v5
.LBB68_54:
	s_or_b32 exec_lo, exec_lo, s2
	s_waitcnt lgkmcnt(1)
	v_add_f32_e32 v15, v15, v4
	s_waitcnt lgkmcnt(0)
	v_add_f32_e32 v14, v14, v1
	v_add_f32_e32 v13, v13, v2
.LBB68_55:
	s_or_b32 exec_lo, exec_lo, s1
	s_barrier
	buffer_gl0_inv
	s_and_saveexec_b32 s0, vcc_lo
	s_cbranch_execz .LBB68_58
; %bb.56:
	s_mul_i32 s0, s10, s7
	s_mul_i32 s2, s7, s6
	;; [unrolled: 1-line block ×3, first 2 shown]
	v_lshlrev_b32_e32 v0, 1, v0
	s_mulk_i32 s0, 0x78
	v_cmp_gt_u32_e32 vcc_lo, 0x78, v3
	s_ashr_i32 s1, s0, 31
	;;#ASMSTART
	v_cvt_f16_f32 v1, v15;

	;;#ASMEND
	s_lshl_b64 s[0:1], s[0:1], 1
	s_add_u32 s4, s16, s0
	s_addc_u32 s5, s17, s1
	s_ashr_i32 s3, s2, 31
	s_lshl_b64 s[0:1], s[2:3], 1
	s_mul_i32 s2, s8, 0x78
	s_add_u32 s4, s4, s0
	s_addc_u32 s5, s5, s1
	s_ashr_i32 s3, s2, 31
	s_lshl_b64 s[0:1], s[2:3], 1
	s_add_u32 s0, s4, s0
	s_addc_u32 s1, s5, s1
	global_store_short v0, v1, s[0:1]
	;;#ASMSTART
	v_cvt_f16_f32 v1, v14;

	;;#ASMEND
	global_store_short v0, v1, s[0:1] offset:64
	;;#ASMSTART
	v_cvt_f16_f32 v1, v13;

	;;#ASMEND
	global_store_short v0, v1, s[0:1] offset:128
	s_and_b32 exec_lo, exec_lo, vcc_lo
	s_cbranch_execz .LBB68_58
; %bb.57:
	v_add_co_u32 v0, s0, s0, v0
	v_add_co_ci_u32_e64 v1, null, s1, 0, s0
	;;#ASMSTART
	v_cvt_f16_f32 v2, v12;

	;;#ASMEND
	global_store_short v[0:1], v2, off offset:192
.LBB68_58:
	s_endpgm
	.section	.rodata,"a",@progbits
	.p2align	6, 0x0
	.amdhsa_kernel _ZN4vllm25paged_attention_v1_kernelIttLi120ELi8ELi128ELNS_18Fp8KVCacheDataTypeE0ELb0EEEvPT_PKS2_PKT0_S8_ifPKiSA_iPKfiiiSC_SC_iiiii
		.amdhsa_group_segment_fixed_size 272
		.amdhsa_private_segment_fixed_size 0
		.amdhsa_kernarg_size 384
		.amdhsa_user_sgpr_count 6
		.amdhsa_user_sgpr_private_segment_buffer 1
		.amdhsa_user_sgpr_dispatch_ptr 0
		.amdhsa_user_sgpr_queue_ptr 0
		.amdhsa_user_sgpr_kernarg_segment_ptr 1
		.amdhsa_user_sgpr_dispatch_id 0
		.amdhsa_user_sgpr_flat_scratch_init 0
		.amdhsa_user_sgpr_private_segment_size 0
		.amdhsa_wavefront_size32 1
		.amdhsa_uses_dynamic_stack 0
		.amdhsa_system_sgpr_private_segment_wavefront_offset 0
		.amdhsa_system_sgpr_workgroup_id_x 1
		.amdhsa_system_sgpr_workgroup_id_y 1
		.amdhsa_system_sgpr_workgroup_id_z 1
		.amdhsa_system_sgpr_workgroup_info 0
		.amdhsa_system_vgpr_workitem_id 0
		.amdhsa_next_free_vgpr 69
		.amdhsa_next_free_sgpr 27
		.amdhsa_reserve_vcc 1
		.amdhsa_reserve_flat_scratch 0
		.amdhsa_float_round_mode_32 0
		.amdhsa_float_round_mode_16_64 0
		.amdhsa_float_denorm_mode_32 3
		.amdhsa_float_denorm_mode_16_64 3
		.amdhsa_dx10_clamp 1
		.amdhsa_ieee_mode 1
		.amdhsa_fp16_overflow 0
		.amdhsa_workgroup_processor_mode 1
		.amdhsa_memory_ordered 1
		.amdhsa_forward_progress 1
		.amdhsa_shared_vgpr_count 0
		.amdhsa_exception_fp_ieee_invalid_op 0
		.amdhsa_exception_fp_denorm_src 0
		.amdhsa_exception_fp_ieee_div_zero 0
		.amdhsa_exception_fp_ieee_overflow 0
		.amdhsa_exception_fp_ieee_underflow 0
		.amdhsa_exception_fp_ieee_inexact 0
		.amdhsa_exception_int_div_zero 0
	.end_amdhsa_kernel
	.section	.text._ZN4vllm25paged_attention_v1_kernelIttLi120ELi8ELi128ELNS_18Fp8KVCacheDataTypeE0ELb0EEEvPT_PKS2_PKT0_S8_ifPKiSA_iPKfiiiSC_SC_iiiii,"axG",@progbits,_ZN4vllm25paged_attention_v1_kernelIttLi120ELi8ELi128ELNS_18Fp8KVCacheDataTypeE0ELb0EEEvPT_PKS2_PKT0_S8_ifPKiSA_iPKfiiiSC_SC_iiiii,comdat
.Lfunc_end68:
	.size	_ZN4vllm25paged_attention_v1_kernelIttLi120ELi8ELi128ELNS_18Fp8KVCacheDataTypeE0ELb0EEEvPT_PKS2_PKT0_S8_ifPKiSA_iPKfiiiSC_SC_iiiii, .Lfunc_end68-_ZN4vllm25paged_attention_v1_kernelIttLi120ELi8ELi128ELNS_18Fp8KVCacheDataTypeE0ELb0EEEvPT_PKS2_PKT0_S8_ifPKiSA_iPKfiiiSC_SC_iiiii
                                        ; -- End function
	.set _ZN4vllm25paged_attention_v1_kernelIttLi120ELi8ELi128ELNS_18Fp8KVCacheDataTypeE0ELb0EEEvPT_PKS2_PKT0_S8_ifPKiSA_iPKfiiiSC_SC_iiiii.num_vgpr, 69
	.set _ZN4vllm25paged_attention_v1_kernelIttLi120ELi8ELi128ELNS_18Fp8KVCacheDataTypeE0ELb0EEEvPT_PKS2_PKT0_S8_ifPKiSA_iPKfiiiSC_SC_iiiii.num_agpr, 0
	.set _ZN4vllm25paged_attention_v1_kernelIttLi120ELi8ELi128ELNS_18Fp8KVCacheDataTypeE0ELb0EEEvPT_PKS2_PKT0_S8_ifPKiSA_iPKfiiiSC_SC_iiiii.numbered_sgpr, 27
	.set _ZN4vllm25paged_attention_v1_kernelIttLi120ELi8ELi128ELNS_18Fp8KVCacheDataTypeE0ELb0EEEvPT_PKS2_PKT0_S8_ifPKiSA_iPKfiiiSC_SC_iiiii.num_named_barrier, 0
	.set _ZN4vllm25paged_attention_v1_kernelIttLi120ELi8ELi128ELNS_18Fp8KVCacheDataTypeE0ELb0EEEvPT_PKS2_PKT0_S8_ifPKiSA_iPKfiiiSC_SC_iiiii.private_seg_size, 0
	.set _ZN4vllm25paged_attention_v1_kernelIttLi120ELi8ELi128ELNS_18Fp8KVCacheDataTypeE0ELb0EEEvPT_PKS2_PKT0_S8_ifPKiSA_iPKfiiiSC_SC_iiiii.uses_vcc, 1
	.set _ZN4vllm25paged_attention_v1_kernelIttLi120ELi8ELi128ELNS_18Fp8KVCacheDataTypeE0ELb0EEEvPT_PKS2_PKT0_S8_ifPKiSA_iPKfiiiSC_SC_iiiii.uses_flat_scratch, 0
	.set _ZN4vllm25paged_attention_v1_kernelIttLi120ELi8ELi128ELNS_18Fp8KVCacheDataTypeE0ELb0EEEvPT_PKS2_PKT0_S8_ifPKiSA_iPKfiiiSC_SC_iiiii.has_dyn_sized_stack, 0
	.set _ZN4vllm25paged_attention_v1_kernelIttLi120ELi8ELi128ELNS_18Fp8KVCacheDataTypeE0ELb0EEEvPT_PKS2_PKT0_S8_ifPKiSA_iPKfiiiSC_SC_iiiii.has_recursion, 0
	.set _ZN4vllm25paged_attention_v1_kernelIttLi120ELi8ELi128ELNS_18Fp8KVCacheDataTypeE0ELb0EEEvPT_PKS2_PKT0_S8_ifPKiSA_iPKfiiiSC_SC_iiiii.has_indirect_call, 0
	.section	.AMDGPU.csdata,"",@progbits
; Kernel info:
; codeLenInByte = 6848
; TotalNumSgprs: 29
; NumVgprs: 69
; ScratchSize: 0
; MemoryBound: 0
; FloatMode: 240
; IeeeMode: 1
; LDSByteSize: 272 bytes/workgroup (compile time only)
; SGPRBlocks: 0
; VGPRBlocks: 8
; NumSGPRsForWavesPerEU: 29
; NumVGPRsForWavesPerEU: 69
; Occupancy: 12
; WaveLimiterHint : 1
; COMPUTE_PGM_RSRC2:SCRATCH_EN: 0
; COMPUTE_PGM_RSRC2:USER_SGPR: 6
; COMPUTE_PGM_RSRC2:TRAP_HANDLER: 0
; COMPUTE_PGM_RSRC2:TGID_X_EN: 1
; COMPUTE_PGM_RSRC2:TGID_Y_EN: 1
; COMPUTE_PGM_RSRC2:TGID_Z_EN: 1
; COMPUTE_PGM_RSRC2:TIDIG_COMP_CNT: 0
	.section	.text._ZN4vllm25paged_attention_v1_kernelIttLi128ELi8ELi128ELNS_18Fp8KVCacheDataTypeE0ELb0EEEvPT_PKS2_PKT0_S8_ifPKiSA_iPKfiiiSC_SC_iiiii,"axG",@progbits,_ZN4vllm25paged_attention_v1_kernelIttLi128ELi8ELi128ELNS_18Fp8KVCacheDataTypeE0ELb0EEEvPT_PKS2_PKT0_S8_ifPKiSA_iPKfiiiSC_SC_iiiii,comdat
	.protected	_ZN4vllm25paged_attention_v1_kernelIttLi128ELi8ELi128ELNS_18Fp8KVCacheDataTypeE0ELb0EEEvPT_PKS2_PKT0_S8_ifPKiSA_iPKfiiiSC_SC_iiiii ; -- Begin function _ZN4vllm25paged_attention_v1_kernelIttLi128ELi8ELi128ELNS_18Fp8KVCacheDataTypeE0ELb0EEEvPT_PKS2_PKT0_S8_ifPKiSA_iPKfiiiSC_SC_iiiii
	.globl	_ZN4vllm25paged_attention_v1_kernelIttLi128ELi8ELi128ELNS_18Fp8KVCacheDataTypeE0ELb0EEEvPT_PKS2_PKT0_S8_ifPKiSA_iPKfiiiSC_SC_iiiii
	.p2align	8
	.type	_ZN4vllm25paged_attention_v1_kernelIttLi128ELi8ELi128ELNS_18Fp8KVCacheDataTypeE0ELb0EEEvPT_PKS2_PKT0_S8_ifPKiSA_iPKfiiiSC_SC_iiiii,@function
_ZN4vllm25paged_attention_v1_kernelIttLi128ELi8ELi128ELNS_18Fp8KVCacheDataTypeE0ELb0EEEvPT_PKS2_PKT0_S8_ifPKiSA_iPKfiiiSC_SC_iiiii: ; @_ZN4vllm25paged_attention_v1_kernelIttLi128ELi8ELi128ELNS_18Fp8KVCacheDataTypeE0ELb0EEEvPT_PKS2_PKT0_S8_ifPKiSA_iPKfiiiSC_SC_iiiii
; %bb.0:
	s_clause 0x2
	s_load_dword s9, s[4:5], 0x80
	s_load_dwordx2 s[0:1], s[4:5], 0x30
	s_load_dwordx2 s[24:25], s[4:5], 0x20
	s_mov_b32 s10, s7
	s_ashr_i32 s11, s7, 31
	s_lshl_b64 s[2:3], s[10:11], 2
	s_waitcnt lgkmcnt(0)
	s_add_u32 s0, s0, s2
	s_addc_u32 s1, s1, s3
	s_abs_i32 s2, s24
	s_abs_i32 s11, s9
	v_cvt_f32_u32_e32 v1, s2
	s_sub_i32 s7, 0, s2
	v_rcp_iflag_f32_e32 v1, v1
	v_mul_f32_e32 v1, 0x4f7ffffe, v1
	v_cvt_u32_f32_e32 v1, v1
	v_readfirstlane_b32 s3, v1
	s_mul_i32 s7, s7, s3
	s_mul_hi_u32 s7, s3, s7
	s_add_i32 s3, s3, s7
	s_xor_b32 s7, s9, s24
	s_mul_hi_u32 s3, s11, s3
	s_ashr_i32 s7, s7, 31
	s_mul_i32 s12, s3, s2
	s_mov_b32 s24, 0
	s_sub_i32 s11, s11, s12
	s_add_i32 s12, s3, 1
	s_sub_i32 s13, s11, s2
	s_cmp_ge_u32 s11, s2
	s_cselect_b32 s3, s12, s3
	s_cselect_b32 s11, s13, s11
	s_add_i32 s12, s3, 1
	s_cmp_ge_u32 s11, s2
	s_cselect_b32 s2, s12, s3
	s_abs_i32 s17, s6
	s_xor_b32 s2, s2, s7
	s_sub_i32 s18, s2, s7
	s_load_dwordx2 s[2:3], s[4:5], 0x40
	s_abs_i32 s16, s18
	v_cvt_f32_u32_e32 v1, s16
	s_sub_i32 s11, 0, s16
	v_rcp_iflag_f32_e32 v1, v1
	v_mul_f32_e32 v1, 0x4f7ffffe, v1
	v_cvt_u32_f32_e32 v1, v1
	v_readfirstlane_b32 s7, v1
	s_mul_i32 s11, s11, s7
	s_mul_hi_u32 s11, s7, s11
	s_add_i32 s7, s7, s11
	s_waitcnt lgkmcnt(0)
	s_cmp_eq_u64 s[2:3], 0
	s_mul_hi_u32 s20, s17, s7
	s_cbranch_scc1 .LBB69_2
; %bb.1:
	s_ashr_i32 s7, s6, 31
	s_lshl_b64 s[12:13], s[6:7], 2
	s_add_u32 s2, s2, s12
	s_addc_u32 s3, s3, s13
	s_load_dword s24, s[2:3], 0x0
.LBB69_2:
	s_load_dword s11, s[0:1], 0x0
	s_load_dwordx4 s[12:15], s[4:5], 0x48
	v_and_b32_e32 v1, 3, v0
	v_cmp_gt_u32_e64 s0, 64, v0
	v_lshlrev_b32_e32 v2, 2, v0
	s_ashr_i32 s1, s6, 31
	s_ashr_i32 s2, s18, 31
	s_lshl_b32 s6, s6, 7
	s_and_saveexec_b32 s3, s0
	s_cbranch_execz .LBB69_4
; %bb.3:
	s_load_dwordx2 s[18:19], s[4:5], 0x8
	s_waitcnt lgkmcnt(0)
	s_mul_i32 s22, s12, s10
	v_and_b32_e32 v4, 0x3fc, v0
	s_ashr_i32 s23, s22, 31
	s_lshl_b64 s[22:23], s[22:23], 1
	v_lshl_add_u32 v4, v1, 6, v4
	s_add_u32 s12, s18, s22
	s_addc_u32 s15, s19, s23
	s_ashr_i32 s7, s6, 31
	s_lshl_b64 s[18:19], s[6:7], 1
	s_add_u32 s18, s12, s18
	s_addc_u32 s19, s15, s19
	global_load_dword v3, v2, s[18:19]
	s_waitcnt vmcnt(0)
	ds_write_b32 v4, v3
.LBB69_4:
	s_or_b32 exec_lo, exec_lo, s3
	s_waitcnt lgkmcnt(0)
	s_add_i32 s3, s11, 7
	s_clause 0x1
	s_load_dwordx2 s[18:19], s[4:5], 0x28
	s_load_dword s15, s[4:5], 0x38
	s_ashr_i32 s7, s3, 31
	s_xor_b32 s1, s1, s2
	s_lshr_b32 s7, s7, 29
	s_mul_i32 s2, s20, s16
	s_add_i32 s3, s3, s7
	s_sub_i32 s2, s17, s2
	s_ashr_i32 s12, s3, 3
	s_add_i32 s3, s20, 1
	s_sub_i32 s7, s2, s16
	s_cmp_ge_u32 s2, s16
	v_lshrrev_b32_e32 v9, 5, v0
	s_cselect_b32 s3, s3, s20
	s_cselect_b32 s2, s7, s2
	s_add_i32 s7, s3, 1
	s_cmp_ge_u32 s2, s16
	v_mbcnt_lo_u32_b32 v4, -1, 0
	s_cselect_b32 s2, s7, s3
	s_mov_b32 s3, exec_lo
	s_xor_b32 s2, s2, s1
	s_waitcnt lgkmcnt(0)
	s_mul_i32 s20, s15, s10
	s_sub_i32 s2, s2, s1
	v_cmp_gt_i32_e64 s1, s12, v9
	s_ashr_i32 s21, s20, 31
	s_barrier
	buffer_gl0_inv
                                        ; implicit-def: $vgpr5
                                        ; implicit-def: $vgpr6
	v_cmpx_le_i32_e64 s12, v9
	s_xor_b32 s3, exec_lo, s3
; %bb.5:
	v_mov_b32_e32 v5, 0
	v_mbcnt_lo_u32_b32 v4, -1, 0
	v_mov_b32_e32 v6, 32
                                        ; implicit-def: $vgpr2
                                        ; implicit-def: $vgpr1
; %bb.6:
	s_or_saveexec_b32 s26, s3
	s_clause 0x2
	s_load_dwordx2 s[16:17], s[4:5], 0x0
	s_load_dwordx2 s[22:23], s[4:5], 0x18
	s_load_dword s7, s[4:5], 0x88
	v_mov_b32_e32 v7, 0xff7fffff
	v_lshrrev_b32_e32 v3, 3, v0
	s_mul_i32 s14, s2, s14
	s_xor_b32 exec_lo, exec_lo, s26
	s_cbranch_execz .LBB69_12
; %bb.7:
	s_load_dwordx2 s[4:5], s[4:5], 0x10
	v_bfe_u32 v6, v0, 2, 3
	s_ashr_i32 s15, s14, 31
	v_lshlrev_b32_e32 v8, 6, v1
	v_cmp_eq_u32_e32 vcc_lo, 0, v1
	s_lshl_b64 s[28:29], s[14:15], 1
	v_lshlrev_b32_e32 v7, 2, v6
	v_lshlrev_b32_e32 v12, 4, v6
	v_and_b32_e32 v2, 12, v2
	v_lshl_or_b32 v10, v9, 3, v6
	v_mov_b32_e32 v5, 0
	v_lshl_or_b32 v1, v9, 5, v7
	v_and_b32_e32 v7, 0x7c, v3
	v_cmp_neq_f32_e64 s2, s24, 0
	v_xor_b32_e32 v14, 2, v4
	v_xor_b32_e32 v15, 1, v4
	v_add_nc_u32_e32 v11, 0x120, v1
	v_mov_b32_e32 v16, v9
	s_mov_b32 s27, s13
	s_waitcnt lgkmcnt(0)
	s_add_u32 s3, s4, s28
	s_addc_u32 s4, s5, s29
	v_add_co_u32 v1, s3, s3, v12
	v_add_co_ci_u32_e64 v6, null, s4, 0, s3
	s_lshl_b64 s[28:29], s[20:21], 2
	s_sub_i32 s5, 1, s11
	s_add_u32 s4, s18, s28
	v_add_co_u32 v12, s3, v1, v2
	s_addc_u32 s15, s19, s29
	v_add_co_ci_u32_e64 v13, null, 0, v6, s3
	v_add_co_u32 v1, s3, s4, v7
	v_add_co_ci_u32_e64 v2, null, s15, 0, s3
	v_mov_b32_e32 v7, 0xff7fffff
	v_mov_b32_e32 v6, 32
	s_mov_b32 s15, 0
	s_branch .LBB69_9
.LBB69_8:                               ;   in Loop: Header=BB69_9 Depth=1
	s_or_b32 exec_lo, exec_lo, s4
	v_add_nc_u32_e32 v16, 4, v16
	v_add_co_u32 v1, s4, v1, 16
	v_add_nc_u32_e32 v10, 32, v10
	v_add_nc_u32_e32 v11, 0x80, v11
	v_cmp_le_i32_e64 s3, s12, v16
	v_add_co_ci_u32_e64 v2, null, 0, v2, s4
	s_or_b32 s15, s3, s15
	s_andn2_b32 exec_lo, exec_lo, s15
	s_cbranch_execz .LBB69_11
.LBB69_9:                               ; =>This Inner Loop Header: Depth=1
	global_load_dword v17, v[1:2], off
	s_waitcnt vmcnt(0) lgkmcnt(0)
	v_mad_i64_i32 v[17:18], null, v17, s27, 0
	v_lshlrev_b64 v[17:18], 1, v[17:18]
	v_add_co_u32 v20, s3, v12, v17
	v_add_co_ci_u32_e64 v21, null, v13, v18, s3
	v_cmp_gt_i32_e64 s3, 32, v14
	s_clause 0xa
	global_load_dword v17, v[20:21], off
	global_load_dword v27, v[20:21], off offset:128
	global_load_dword v29, v[20:21], off offset:256
	;; [unrolled: 1-line block ×10, first 2 shown]
	ds_read_b32 v18, v8
	s_waitcnt lgkmcnt(0)
	v_lshrrev_b32_e32 v25, 16, v18
	v_and_b32_e32 v23, 0xffff, v18
	s_waitcnt vmcnt(10)
	v_and_b32_e32 v28, 0xffff, v17
	v_lshrrev_b32_e32 v30, 16, v17
	s_clause 0x4
	global_load_dword v24, v[20:21], off offset:1408
	global_load_dword v22, v[20:21], off offset:1536
	;; [unrolled: 1-line block ×5, first 2 shown]
	;;#ASMSTART
	v_cvt_f32_f16 v23, v23;
	;;#ASMEND
	;;#ASMSTART
	v_cvt_f32_f16 v20, v25;
	;;#ASMEND
	;;#ASMSTART
	v_cvt_f32_f16 v25, v28;
	;;#ASMEND
	;;#ASMSTART
	v_cvt_f32_f16 v21, v30;
	;;#ASMEND
	ds_read_b32 v28, v8 offset:4
	s_waitcnt vmcnt(14)
	v_and_b32_e32 v31, 0xffff, v27
	v_lshrrev_b32_e32 v33, 16, v27
	s_waitcnt vmcnt(13)
	v_lshrrev_b32_e32 v37, 16, v29
	s_waitcnt vmcnt(12)
	v_and_b32_e32 v44, 0xffff, v36
	v_lshrrev_b32_e32 v45, 16, v36
	s_waitcnt vmcnt(11)
	v_and_b32_e32 v47, 0xffff, v38
	;; [unrolled: 3-line block ×8, first 2 shown]
	v_lshrrev_b32_e32 v66, 16, v26
	s_waitcnt lgkmcnt(0)
	v_and_b32_e32 v30, 0xffff, v28
	v_lshrrev_b32_e32 v28, 16, v28
	;;#ASMSTART
	v_cvt_f32_f16 v32, v30;
	;;#ASMEND
	;;#ASMSTART
	v_cvt_f32_f16 v27, v28;
	;;#ASMEND
	;;#ASMSTART
	v_cvt_f32_f16 v34, v31;
	;;#ASMEND
	;;#ASMSTART
	v_cvt_f32_f16 v28, v33;
	;;#ASMEND
	ds_read_b32 v30, v8 offset:8
	v_and_b32_e32 v33, 0xffff, v29
	s_waitcnt lgkmcnt(0)
	v_and_b32_e32 v31, 0xffff, v30
	v_lshrrev_b32_e32 v30, 16, v30
	;;#ASMSTART
	v_cvt_f32_f16 v29, v31;
	;;#ASMEND
	;;#ASMSTART
	v_cvt_f32_f16 v30, v30;
	;;#ASMEND
	;;#ASMSTART
	v_cvt_f32_f16 v31, v33;
	;;#ASMEND
	;;#ASMSTART
	v_cvt_f32_f16 v33, v37;
	;;#ASMEND
	ds_read_b32 v37, v8 offset:12
	s_waitcnt lgkmcnt(0)
	v_and_b32_e32 v43, 0xffff, v37
	v_lshrrev_b32_e32 v37, 16, v37
	;;#ASMSTART
	v_cvt_f32_f16 v36, v43;
	;;#ASMEND
	;;#ASMSTART
	v_cvt_f32_f16 v37, v37;
	;;#ASMEND
	;;#ASMSTART
	v_cvt_f32_f16 v43, v44;
	;;#ASMEND
	;;#ASMSTART
	v_cvt_f32_f16 v44, v45;
	;;#ASMEND
	ds_read_b32 v45, v8 offset:16
	;; [unrolled: 16-line block ×9, first 2 shown]
	s_waitcnt lgkmcnt(0)
	v_and_b32_e32 v67, 0xffff, v66
	v_lshrrev_b32_e32 v66, 16, v66
	s_waitcnt vmcnt(4)
	v_and_b32_e32 v68, 0xffff, v24
	v_lshrrev_b32_e32 v69, 16, v24
	v_mul_f32_e32 v24, v32, v34
	;;#ASMSTART
	v_cvt_f32_f16 v32, v67;
	;;#ASMEND
	;;#ASMSTART
	v_cvt_f32_f16 v34, v66;
	;;#ASMEND
	;; [unrolled: 3-line block ×4, first 2 shown]
	ds_read_b32 v68, v8 offset:48
	v_fmac_f32_e32 v24, v23, v25
	s_waitcnt vmcnt(3)
	v_lshrrev_b32_e32 v69, 16, v22
	v_fmac_f32_e32 v24, v29, v31
	s_waitcnt vmcnt(2)
	v_lshrrev_b32_e32 v29, 16, v19
	v_fmac_f32_e32 v24, v36, v43
	s_waitcnt vmcnt(1)
	v_and_b32_e32 v36, 0xffff, v18
	v_fmac_f32_e32 v24, v38, v46
	s_waitcnt lgkmcnt(0)
	v_and_b32_e32 v23, 0xffff, v68
	v_lshrrev_b32_e32 v25, 16, v68
	v_and_b32_e32 v68, 0xffff, v22
	v_mul_f32_e32 v22, v27, v28
	;;#ASMSTART
	v_cvt_f32_f16 v23, v23;
	;;#ASMEND
	;;#ASMSTART
	v_cvt_f32_f16 v25, v25;
	;;#ASMEND
	;; [unrolled: 3-line block ×4, first 2 shown]
	v_fmac_f32_e32 v22, v20, v21
	ds_read_b32 v68, v8 offset:52
	v_fmac_f32_e32 v24, v39, v49
	v_fmac_f32_e32 v22, v30, v33
	v_and_b32_e32 v30, 0xffff, v19
	v_fmac_f32_e32 v24, v40, v52
	v_lshrrev_b32_e32 v33, 16, v18
	v_fmac_f32_e32 v22, v37, v44
	v_fmac_f32_e32 v24, v41, v55
	;; [unrolled: 1-line block ×5, first 2 shown]
	s_waitcnt lgkmcnt(0)
	v_and_b32_e32 v20, 0xffff, v68
	v_lshrrev_b32_e32 v21, 16, v68
	;;#ASMSTART
	v_cvt_f32_f16 v19, v20;
	;;#ASMEND
	;;#ASMSTART
	v_cvt_f32_f16 v20, v21;
	;;#ASMEND
	v_fmac_f32_e32 v22, v51, v53
	;;#ASMSTART
	v_cvt_f32_f16 v21, v30;
	;;#ASMEND
	;;#ASMSTART
	v_cvt_f32_f16 v29, v29;
	;;#ASMEND
	ds_read_b32 v30, v8 offset:56
	v_fmac_f32_e32 v24, v35, v61
	v_fmac_f32_e32 v22, v54, v56
	;; [unrolled: 1-line block ×8, first 2 shown]
	v_cndmask_b32_e64 v23, v4, v14, s3
	v_cmp_gt_i32_e64 s3, 32, v15
	s_waitcnt lgkmcnt(0)
	v_and_b32_e32 v31, 0xffff, v30
	v_lshrrev_b32_e32 v30, 16, v30
	;;#ASMSTART
	v_cvt_f32_f16 v18, v31;
	;;#ASMEND
	;;#ASMSTART
	v_cvt_f32_f16 v30, v30;
	;;#ASMEND
	;; [unrolled: 3-line block ×4, first 2 shown]
	ds_read_b32 v35, v8 offset:60
	v_fmac_f32_e32 v22, v34, v67
	v_fmac_f32_e32 v24, v19, v21
	s_waitcnt vmcnt(0)
	v_and_b32_e32 v21, 0xffff, v17
	v_fmac_f32_e32 v22, v25, v28
	v_fmac_f32_e32 v24, v18, v31
	v_lshrrev_b32_e32 v25, 16, v17
	v_fmac_f32_e32 v22, v20, v29
	v_fmac_f32_e32 v22, v30, v33
	s_waitcnt lgkmcnt(0)
	v_and_b32_e32 v19, 0xffff, v35
	v_lshrrev_b32_e32 v20, 16, v35
	;;#ASMSTART
	v_cvt_f32_f16 v17, v19;
	;;#ASMEND
	;;#ASMSTART
	v_cvt_f32_f16 v18, v20;
	;;#ASMEND
	;; [unrolled: 3-line block ×4, first 2 shown]
	v_fmac_f32_e32 v24, v17, v19
	v_fmac_f32_e32 v22, v18, v20
	v_lshlrev_b32_e32 v17, 2, v23
	v_cndmask_b32_e64 v19, v4, v15, s3
	v_add_f32_e32 v18, v24, v22
	ds_bpermute_b32 v17, v17, v18
	s_waitcnt lgkmcnt(0)
	v_add_f32_e32 v17, v18, v17
	v_lshlrev_b32_e32 v18, 2, v19
	ds_bpermute_b32 v18, v18, v17
	s_and_saveexec_b32 s4, vcc_lo
	s_cbranch_execz .LBB69_8
; %bb.10:                               ;   in Loop: Header=BB69_9 Depth=1
	v_add_nc_u32_e32 v19, s5, v10
	s_waitcnt lgkmcnt(0)
	v_add_f32_e32 v17, v17, v18
	v_cmp_gt_i32_e64 s3, s11, v10
	v_cvt_f32_i32_e32 v19, v19
	v_mul_f32_e32 v19, s24, v19
	v_cndmask_b32_e64 v18, 0, v19, s2
	v_max_f32_e32 v19, v7, v7
	v_fmac_f32_e32 v18, s25, v17
	v_max_f32_e32 v17, v19, v18
	v_cndmask_b32_e64 v18, 0, v18, s3
	v_cndmask_b32_e64 v7, v7, v17, s3
	ds_write_b32 v11, v18
	s_branch .LBB69_8
.LBB69_11:
	s_or_b32 exec_lo, exec_lo, s15
.LBB69_12:
	s_or_b32 exec_lo, exec_lo, s26
	v_xor_b32_e32 v1, 16, v4
	v_xor_b32_e32 v8, 8, v4
	v_max_f32_e32 v10, v7, v7
	v_cmp_lt_i32_e32 vcc_lo, v1, v6
	v_cndmask_b32_e32 v1, v4, v1, vcc_lo
	v_cmp_lt_i32_e32 vcc_lo, v8, v6
	v_lshlrev_b32_e32 v2, 2, v1
	ds_bpermute_b32 v1, v2, v7
	v_cndmask_b32_e32 v7, v4, v8, vcc_lo
	v_lshlrev_b32_e32 v7, 2, v7
	s_waitcnt lgkmcnt(0)
	v_max_f32_e32 v1, v1, v1
	v_max_f32_e32 v1, v10, v1
	v_xor_b32_e32 v10, 4, v4
	ds_bpermute_b32 v8, v7, v1
	v_cmp_lt_i32_e32 vcc_lo, v10, v6
	v_cndmask_b32_e32 v10, v4, v10, vcc_lo
	v_lshlrev_b32_e32 v12, 2, v10
	v_and_b32_e32 v10, 31, v0
	v_cmp_eq_u32_e32 vcc_lo, 0, v10
	s_waitcnt lgkmcnt(0)
	v_max_f32_e32 v8, v8, v8
	v_max_f32_e32 v1, v1, v8
	v_lshlrev_b32_e32 v8, 2, v9
	ds_bpermute_b32 v11, v12, v1
	s_and_saveexec_b32 s2, vcc_lo
	s_cbranch_execz .LBB69_14
; %bb.13:
	s_waitcnt lgkmcnt(0)
	v_max_f32_e32 v11, v11, v11
	v_max_f32_e32 v1, v1, v1
	;; [unrolled: 1-line block ×3, first 2 shown]
	ds_write_b32 v8, v1 offset:256
.LBB69_14:
	s_or_b32 exec_lo, exec_lo, s2
	v_cmp_gt_u32_e64 s2, 4, v10
	v_mov_b32_e32 v1, 0xff7fffff
	s_waitcnt lgkmcnt(0)
	v_lshlrev_b32_e32 v11, 2, v10
	s_barrier
	buffer_gl0_inv
	s_and_saveexec_b32 s3, s2
; %bb.15:
	ds_read_b32 v1, v11 offset:256
; %bb.16:
	s_or_b32 exec_lo, exec_lo, s3
	v_xor_b32_e32 v13, 2, v4
	v_xor_b32_e32 v15, 1, v4
	v_lshlrev_b32_e32 v5, 2, v5
	v_cmp_lt_i32_e64 s3, v13, v6
	v_cndmask_b32_e64 v13, v4, v13, s3
	v_cmp_lt_i32_e64 s3, v15, v6
	v_lshlrev_b32_e32 v13, 2, v13
	v_cndmask_b32_e64 v6, v4, v15, s3
	s_lshl_b32 s3, s12, 3
	s_min_i32 s5, s3, s11
	s_waitcnt lgkmcnt(0)
	ds_bpermute_b32 v14, v13, v1
	v_max_f32_e32 v1, v1, v1
	v_lshlrev_b32_e32 v6, 2, v6
	v_cmp_gt_i32_e64 s3, s5, v0
	s_waitcnt lgkmcnt(0)
	v_max_f32_e32 v14, v14, v14
	v_max_f32_e32 v1, v1, v14
	ds_bpermute_b32 v14, v6, v1
	s_waitcnt lgkmcnt(0)
	v_max_f32_e32 v14, v14, v14
	v_max_f32_e32 v1, v1, v14
	ds_bpermute_b32 v14, v5, v1
	v_mov_b32_e32 v5, 0
	v_lshl_add_u32 v1, v0, 2, 0x120
	s_and_saveexec_b32 s15, s3
	s_cbranch_execz .LBB69_20
; %bb.17:
	v_lshl_add_u32 v15, v0, 2, 0x120
	v_mov_b32_e32 v5, 0
	v_mov_b32_e32 v16, v0
	s_mov_b32 s24, 0
	.p2align	6
.LBB69_18:                              ; =>This Inner Loop Header: Depth=1
	ds_read_b32 v17, v15
	v_add_nc_u32_e32 v16, 0x80, v16
	v_cmp_le_i32_e64 s4, s5, v16
	s_or_b32 s24, s4, s24
	s_waitcnt lgkmcnt(0)
	v_sub_f32_e32 v17, v17, v14
	v_mul_f32_e32 v17, 0x3fb8aa3b, v17
	v_exp_f32_e32 v17, v17
	ds_write_b32 v15, v17
	v_add_f32_e32 v5, v5, v17
	v_add_nc_u32_e32 v15, 0x200, v15
	s_andn2_b32 exec_lo, exec_lo, s24
	s_cbranch_execnz .LBB69_18
; %bb.19:
	s_or_b32 exec_lo, exec_lo, s24
.LBB69_20:
	s_or_b32 exec_lo, exec_lo, s15
	ds_bpermute_b32 v2, v2, v5
	s_waitcnt lgkmcnt(0)
	v_add_f32_e32 v2, v5, v2
	ds_bpermute_b32 v5, v7, v2
	s_waitcnt lgkmcnt(0)
	v_add_f32_e32 v2, v2, v5
	;; [unrolled: 3-line block ×5, first 2 shown]
	s_and_saveexec_b32 s4, vcc_lo
; %bb.21:
	ds_write_b32 v8, v2 offset:272
; %bb.22:
	s_or_b32 exec_lo, exec_lo, s4
	s_waitcnt lgkmcnt(0)
	s_barrier
	buffer_gl0_inv
	s_and_saveexec_b32 s4, s2
; %bb.23:
	ds_read_b32 v2, v11 offset:272
; %bb.24:
	s_or_b32 exec_lo, exec_lo, s4
	s_waitcnt lgkmcnt(0)
	ds_bpermute_b32 v5, v13, v2
	v_lshlrev_b32_e32 v4, 2, v4
	v_and_b32_e32 v4, 0xffffff80, v4
	s_waitcnt lgkmcnt(0)
	v_add_f32_e32 v2, v2, v5
	ds_bpermute_b32 v5, v6, v2
	s_waitcnt lgkmcnt(0)
	v_add_f32_e32 v2, v2, v5
	ds_bpermute_b32 v2, v4, v2
	s_and_saveexec_b32 s2, s3
	s_cbranch_execz .LBB69_27
; %bb.25:
	s_waitcnt lgkmcnt(0)
	v_add_f32_e32 v2, 0x358637bd, v2
	s_mov_b32 s3, 0
	v_div_scale_f32 v4, null, v2, v2, 1.0
	v_div_scale_f32 v7, vcc_lo, 1.0, v2, 1.0
	v_rcp_f32_e32 v5, v4
	v_fma_f32 v6, -v4, v5, 1.0
	v_fmac_f32_e32 v5, v6, v5
	v_mul_f32_e32 v6, v7, v5
	v_fma_f32 v8, -v4, v6, v7
	v_fmac_f32_e32 v6, v8, v5
	v_fma_f32 v4, -v4, v6, v7
	v_div_fmas_f32 v4, v4, v5, v6
	v_div_fixup_f32 v2, v4, v2, 1.0
	v_mov_b32_e32 v4, v0
.LBB69_26:                              ; =>This Inner Loop Header: Depth=1
	ds_read_b32 v5, v1
	v_add_nc_u32_e32 v4, 0x80, v4
	v_cmp_le_i32_e32 vcc_lo, s5, v4
	s_or_b32 s3, vcc_lo, s3
	s_waitcnt lgkmcnt(0)
	v_mul_f32_e32 v5, v2, v5
	ds_write_b32 v1, v5
	v_add_nc_u32_e32 v1, 0x200, v1
	s_andn2_b32 exec_lo, exec_lo, s3
	s_cbranch_execnz .LBB69_26
.LBB69_27:
	s_or_b32 exec_lo, exec_lo, s2
	v_mov_b32_e32 v14, 0
	v_mov_b32_e32 v13, 0
	;; [unrolled: 1-line block ×4, first 2 shown]
	s_waitcnt lgkmcnt(0)
	s_barrier
	buffer_gl0_inv
	s_and_saveexec_b32 s3, s1
	s_cbranch_execz .LBB69_39
; %bb.28:
	s_ashr_i32 s15, s14, 31
	v_lshlrev_b32_e32 v1, 4, v10
	s_lshl_b64 s[4:5], s[14:15], 1
	v_mov_b32_e32 v15, 0
	s_add_u32 s1, s22, s4
	s_addc_u32 s2, s23, s5
	v_add_co_u32 v16, s1, s1, v1
	v_and_b32_e32 v1, 0x7c, v3
	s_lshl_b64 s[14:15], s[20:21], 2
	s_add_i32 s4, s12, -1
	v_add_co_ci_u32_e64 v17, null, s2, 0, s1
	s_add_u32 s1, s18, s14
	s_addc_u32 s2, s19, s15
	v_add_co_u32 v5, s1, s1, v1
	v_lshl_or_b32 v18, v9, 3, 7
	v_lshl_add_u32 v19, v9, 5, 0x120
	v_add_co_ci_u32_e64 v6, null, s2, 0, s1
	v_mov_b32_e32 v11, 0
	v_mov_b32_e32 v12, 0
	;; [unrolled: 1-line block ×5, first 2 shown]
	s_mov_b32 s5, 0
	s_branch .LBB69_30
.LBB69_29:                              ;   in Loop: Header=BB69_30 Depth=1
	s_or_b32 exec_lo, exec_lo, s2
	v_lshlrev_b32_e32 v21, 16, v38
	v_lshlrev_b32_e32 v8, 16, v8
	;; [unrolled: 1-line block ×3, first 2 shown]
	v_add_nc_u32_e32 v20, 4, v20
	v_add_co_u32 v5, s1, v5, 16
	v_and_or_b32 v1, 0xffff, v1, v21
	v_and_or_b32 v2, 0xffff, v2, v8
	;; [unrolled: 1-line block ×3, first 2 shown]
	;;#ASMSTART
	v_pk_mul_f16 v1, v29, v1;

	;;#ASMEND
	;;#ASMSTART
	v_pk_mul_f16 v2, v28, v2;

	;;#ASMEND
	;;#ASMSTART
	v_pk_mul_f16 v3, v30, v3;

	;;#ASMEND
	;;#ASMSTART
	v_pk_mul_f16 v4, v31, v4;

	;;#ASMEND
	;;#ASMSTART
	v_pk_add_f16 v1, v1, v2;

	;;#ASMEND
	;;#ASMSTART
	v_pk_add_f16 v1, v1, v3;

	;;#ASMEND
	;;#ASMSTART
	v_pk_add_f16 v1, v1, v4;

	;;#ASMEND
	v_and_b32_e32 v4, 0xffff, v1
	v_lshrrev_b32_e32 v7, 16, v1
	;;#ASMSTART
	v_cvt_f32_f16 v4, v4;
	;;#ASMEND
	v_add_f32_e32 v1, v36, v37
	v_add_f32_e32 v2, v34, v35
	;; [unrolled: 1-line block ×3, first 2 shown]
	;;#ASMSTART
	v_cvt_f32_f16 v7, v7;
	;;#ASMEND
	v_add_f32_e32 v4, v4, v7
	v_cmp_le_i32_e32 vcc_lo, s12, v20
	v_add_f32_e32 v12, v12, v1
	v_add_f32_e32 v13, v13, v2
	;; [unrolled: 1-line block ×4, first 2 shown]
	v_add_nc_u32_e32 v18, 32, v18
	v_add_nc_u32_e32 v19, 0x80, v19
	v_add_co_ci_u32_e64 v6, null, 0, v6, s1
	s_or_b32 s5, vcc_lo, s5
	s_andn2_b32 exec_lo, exec_lo, s5
	s_cbranch_execz .LBB69_38
.LBB69_30:                              ; =>This Inner Loop Header: Depth=1
	global_load_dword v7, v[5:6], off
	ds_read2_b64 v[1:4], v19 offset1:1
	ds_read2_b64 v[21:24], v19 offset0:2 offset1:3
	v_add_nc_u32_e32 v25, -7, v18
	v_cmp_eq_u32_e64 s1, s4, v20
	v_add_nc_u32_e32 v27, -6, v18
	v_add_nc_u32_e32 v26, -1, v18
	s_waitcnt lgkmcnt(1)
	;;#ASMSTART
	v_cvt_f16_f32 v29, v1;

	;;#ASMEND
	;;#ASMSTART
	v_cvt_f16_f32 v28, v2;

	;;#ASMEND
	;; [unrolled: 4-line block ×4, first 2 shown]
	s_waitcnt lgkmcnt(0)
	;;#ASMSTART
	v_cvt_f16_f32 v35, v21;

	;;#ASMEND
	;;#ASMSTART
	v_cvt_f16_f32 v30, v22;

	;;#ASMEND
	;; [unrolled: 4-line block ×4, first 2 shown]
	v_add_nc_u32_e32 v24, -5, v18
	v_add_nc_u32_e32 v23, -4, v18
	;; [unrolled: 1-line block ×4, first 2 shown]
	s_waitcnt vmcnt(0)
	v_mad_i64_i32 v[7:8], null, v7, s13, 0
	v_lshlrev_b64 v[7:8], 1, v[7:8]
	v_add_co_u32 v7, vcc_lo, v16, v7
	v_add_co_ci_u32_e64 v8, null, v17, v8, vcc_lo
	global_load_dwordx4 v[1:4], v[7:8], off
	s_waitcnt vmcnt(0)
	v_lshrrev_b32_e32 v38, 16, v1
	v_lshrrev_b32_e32 v37, 16, v2
	;; [unrolled: 1-line block ×3, first 2 shown]
	s_and_saveexec_b32 s14, s1
	s_cbranch_execz .LBB69_32
; %bb.31:                               ;   in Loop: Header=BB69_30 Depth=1
	v_cmp_gt_i32_e32 vcc_lo, s11, v25
	v_and_b32_e32 v39, 0xffff0000, v4
	v_cmp_gt_i32_e64 s2, s11, v24
	v_cndmask_b32_e32 v1, 0, v1, vcc_lo
	v_cmp_gt_i32_e32 vcc_lo, s11, v27
	v_cndmask_b32_e64 v2, 0, v2, s2
	v_cmp_gt_i32_e64 s2, s11, v23
	v_cndmask_b32_e32 v38, 0, v38, vcc_lo
	v_cmp_gt_i32_e32 vcc_lo, s11, v26
	v_cndmask_b32_e64 v37, 0, v37, s2
	v_cndmask_b32_sdwa v4, v15, v4, vcc_lo dst_sel:DWORD dst_unused:UNUSED_PAD src0_sel:DWORD src1_sel:WORD_0
	v_cmp_gt_i32_e32 vcc_lo, s11, v18
	v_cndmask_b32_e32 v39, 0, v39, vcc_lo
	v_cmp_gt_i32_e32 vcc_lo, s11, v22
	v_or_b32_e32 v4, v4, v39
	v_cndmask_b32_e32 v3, 0, v3, vcc_lo
	v_cmp_gt_i32_e32 vcc_lo, s11, v21
	v_cndmask_b32_e32 v36, 0, v36, vcc_lo
.LBB69_32:                              ;   in Loop: Header=BB69_30 Depth=1
	s_or_b32 exec_lo, exec_lo, s14
	v_and_b32_e32 v29, 0xffff, v29
	v_and_b32_e32 v34, 0xffff, v34
	v_lshlrev_b32_e32 v38, 16, v38
	v_and_b32_e32 v35, 0xffff, v35
	v_and_b32_e32 v33, 0xffff, v33
	v_lshl_or_b32 v29, v28, 16, v29
	v_lshl_or_b32 v28, v32, 16, v34
	v_lshlrev_b32_e32 v32, 16, v37
	v_lshlrev_b32_e32 v34, 16, v36
	v_and_or_b32 v1, 0xffff, v1, v38
	;;#ASMSTART
	v_pk_mul_f16 v1, v29, v1;

	;;#ASMEND
	v_lshl_or_b32 v30, v30, 16, v35
	v_and_or_b32 v2, 0xffff, v2, v32
	v_and_or_b32 v3, 0xffff, v3, v34
	v_lshl_or_b32 v31, v31, 16, v33
	;;#ASMSTART
	v_pk_mul_f16 v2, v28, v2;

	;;#ASMEND
	;;#ASMSTART
	v_pk_mul_f16 v3, v30, v3;

	;;#ASMEND
	;; [unrolled: 4-line block ×3, first 2 shown]
	;;#ASMSTART
	v_pk_add_f16 v1, v1, v2;

	;;#ASMEND
	;;#ASMSTART
	v_pk_add_f16 v1, v1, v3;

	;;#ASMEND
	;; [unrolled: 4-line block ×3, first 2 shown]
	v_and_b32_e32 v2, 0xffff, v1
	v_lshrrev_b32_e32 v1, 16, v1
	;;#ASMSTART
	v_cvt_f32_f16 v32, v2;
	;;#ASMEND
	;;#ASMSTART
	v_cvt_f32_f16 v33, v1;
	;;#ASMEND
	global_load_dwordx4 v[1:4], v[7:8], off offset:512
	s_waitcnt vmcnt(0)
	v_lshrrev_b32_e32 v36, 16, v1
	v_lshrrev_b32_e32 v35, 16, v2
	;; [unrolled: 1-line block ×3, first 2 shown]
	s_and_saveexec_b32 s14, s1
	s_cbranch_execz .LBB69_34
; %bb.33:                               ;   in Loop: Header=BB69_30 Depth=1
	v_cmp_gt_i32_e32 vcc_lo, s11, v25
	v_and_b32_e32 v37, 0xffff0000, v4
	v_cmp_gt_i32_e64 s2, s11, v24
	v_cndmask_b32_e32 v1, 0, v1, vcc_lo
	v_cmp_gt_i32_e32 vcc_lo, s11, v27
	v_cndmask_b32_e64 v2, 0, v2, s2
	v_cmp_gt_i32_e64 s2, s11, v23
	v_cndmask_b32_e32 v36, 0, v36, vcc_lo
	v_cmp_gt_i32_e32 vcc_lo, s11, v26
	v_cndmask_b32_e64 v35, 0, v35, s2
	v_cndmask_b32_sdwa v4, v15, v4, vcc_lo dst_sel:DWORD dst_unused:UNUSED_PAD src0_sel:DWORD src1_sel:WORD_0
	v_cmp_gt_i32_e32 vcc_lo, s11, v18
	v_cndmask_b32_e32 v37, 0, v37, vcc_lo
	v_cmp_gt_i32_e32 vcc_lo, s11, v22
	v_or_b32_e32 v4, v4, v37
	v_cndmask_b32_e32 v3, 0, v3, vcc_lo
	v_cmp_gt_i32_e32 vcc_lo, s11, v21
	v_cndmask_b32_e32 v34, 0, v34, vcc_lo
.LBB69_34:                              ;   in Loop: Header=BB69_30 Depth=1
	s_or_b32 exec_lo, exec_lo, s14
	v_lshlrev_b32_e32 v36, 16, v36
	v_lshlrev_b32_e32 v35, 16, v35
	;; [unrolled: 1-line block ×3, first 2 shown]
	v_and_or_b32 v1, 0xffff, v1, v36
	v_and_or_b32 v2, 0xffff, v2, v35
	;; [unrolled: 1-line block ×3, first 2 shown]
	;;#ASMSTART
	v_pk_mul_f16 v1, v29, v1;

	;;#ASMEND
	;;#ASMSTART
	v_pk_mul_f16 v2, v28, v2;

	;;#ASMEND
	;; [unrolled: 4-line block ×4, first 2 shown]
	;;#ASMSTART
	v_pk_add_f16 v1, v1, v2;

	;;#ASMEND
	;;#ASMSTART
	v_pk_add_f16 v1, v1, v3;

	;;#ASMEND
	;; [unrolled: 4-line block ×3, first 2 shown]
	v_and_b32_e32 v2, 0xffff, v1
	v_lshrrev_b32_e32 v1, 16, v1
	;;#ASMSTART
	v_cvt_f32_f16 v34, v2;
	;;#ASMEND
	;;#ASMSTART
	v_cvt_f32_f16 v35, v1;
	;;#ASMEND
	global_load_dwordx4 v[1:4], v[7:8], off offset:1024
	s_waitcnt vmcnt(0)
	v_lshrrev_b32_e32 v38, 16, v1
	v_lshrrev_b32_e32 v37, 16, v2
	;; [unrolled: 1-line block ×3, first 2 shown]
	s_and_saveexec_b32 s14, s1
	s_cbranch_execz .LBB69_36
; %bb.35:                               ;   in Loop: Header=BB69_30 Depth=1
	v_cmp_gt_i32_e32 vcc_lo, s11, v25
	v_and_b32_e32 v39, 0xffff0000, v4
	v_cmp_gt_i32_e64 s2, s11, v24
	v_cndmask_b32_e32 v1, 0, v1, vcc_lo
	v_cmp_gt_i32_e32 vcc_lo, s11, v27
	v_cndmask_b32_e64 v2, 0, v2, s2
	v_cmp_gt_i32_e64 s2, s11, v23
	v_cndmask_b32_e32 v38, 0, v38, vcc_lo
	v_cmp_gt_i32_e32 vcc_lo, s11, v26
	v_cndmask_b32_e64 v37, 0, v37, s2
	v_cndmask_b32_sdwa v4, v15, v4, vcc_lo dst_sel:DWORD dst_unused:UNUSED_PAD src0_sel:DWORD src1_sel:WORD_0
	v_cmp_gt_i32_e32 vcc_lo, s11, v18
	v_cndmask_b32_e32 v39, 0, v39, vcc_lo
	v_cmp_gt_i32_e32 vcc_lo, s11, v22
	v_or_b32_e32 v4, v4, v39
	v_cndmask_b32_e32 v3, 0, v3, vcc_lo
	v_cmp_gt_i32_e32 vcc_lo, s11, v21
	v_cndmask_b32_e32 v36, 0, v36, vcc_lo
.LBB69_36:                              ;   in Loop: Header=BB69_30 Depth=1
	s_or_b32 exec_lo, exec_lo, s14
	v_lshlrev_b32_e32 v38, 16, v38
	v_lshlrev_b32_e32 v37, 16, v37
	;; [unrolled: 1-line block ×3, first 2 shown]
	v_and_or_b32 v1, 0xffff, v1, v38
	v_and_or_b32 v2, 0xffff, v2, v37
	v_and_or_b32 v3, 0xffff, v3, v36
	;;#ASMSTART
	v_pk_mul_f16 v1, v29, v1;

	;;#ASMEND
	;;#ASMSTART
	v_pk_mul_f16 v2, v28, v2;

	;;#ASMEND
	;; [unrolled: 4-line block ×4, first 2 shown]
	;;#ASMSTART
	v_pk_add_f16 v1, v1, v2;

	;;#ASMEND
	;;#ASMSTART
	v_pk_add_f16 v1, v1, v3;

	;;#ASMEND
	;; [unrolled: 4-line block ×3, first 2 shown]
	v_and_b32_e32 v2, 0xffff, v1
	v_lshrrev_b32_e32 v1, 16, v1
	;;#ASMSTART
	v_cvt_f32_f16 v36, v2;
	;;#ASMEND
	;;#ASMSTART
	v_cvt_f32_f16 v37, v1;
	;;#ASMEND
	global_load_dwordx4 v[1:4], v[7:8], off offset:1536
	s_waitcnt vmcnt(0)
	v_lshrrev_b32_e32 v38, 16, v1
	v_lshrrev_b32_e32 v8, 16, v2
	;; [unrolled: 1-line block ×3, first 2 shown]
	s_and_saveexec_b32 s2, s1
	s_cbranch_execz .LBB69_29
; %bb.37:                               ;   in Loop: Header=BB69_30 Depth=1
	v_cmp_gt_i32_e32 vcc_lo, s11, v25
	v_cmp_gt_i32_e64 s1, s11, v24
	v_cndmask_b32_e32 v1, 0, v1, vcc_lo
	v_cmp_gt_i32_e32 vcc_lo, s11, v27
	v_cndmask_b32_e64 v2, 0, v2, s1
	v_cmp_gt_i32_e64 s1, s11, v23
	v_and_b32_e32 v23, 0xffff0000, v4
	v_cndmask_b32_e32 v38, 0, v38, vcc_lo
	v_cmp_gt_i32_e32 vcc_lo, s11, v26
	v_cndmask_b32_e64 v8, 0, v8, s1
	v_cndmask_b32_sdwa v4, v15, v4, vcc_lo dst_sel:DWORD dst_unused:UNUSED_PAD src0_sel:DWORD src1_sel:WORD_0
	v_cmp_gt_i32_e32 vcc_lo, s11, v18
	v_cndmask_b32_e32 v23, 0, v23, vcc_lo
	v_cmp_gt_i32_e32 vcc_lo, s11, v22
	v_or_b32_e32 v4, v4, v23
	v_cndmask_b32_e32 v3, 0, v3, vcc_lo
	v_cmp_gt_i32_e32 vcc_lo, s11, v21
	v_cndmask_b32_e32 v7, 0, v7, vcc_lo
	s_branch .LBB69_29
.LBB69_38:
	s_or_b32 exec_lo, exec_lo, s5
.LBB69_39:
	s_or_b32 exec_lo, exec_lo, s3
	v_lshl_add_u32 v2, v10, 2, 0x120
	v_and_b32_e32 v3, 0x3c0, v0
	s_mov_b32 s1, exec_lo
	s_barrier
	v_lshl_add_u32 v1, v9, 9, v2
	buffer_gl0_inv
	v_cmpx_eq_u32_e32 64, v3
	s_cbranch_execz .LBB69_41
; %bb.40:
	v_add_nc_u32_e32 v3, 0xfffffc00, v1
	v_add_nc_u32_e32 v4, 0xfffffc80, v1
	;; [unrolled: 1-line block ×4, first 2 shown]
	ds_write_b32 v3, v14
	ds_write_b32 v4, v13
	;; [unrolled: 1-line block ×4, first 2 shown]
.LBB69_41:
	s_or_b32 exec_lo, exec_lo, s1
	s_waitcnt lgkmcnt(0)
	s_barrier
	buffer_gl0_inv
	s_and_saveexec_b32 s1, s0
	s_cbranch_execz .LBB69_43
; %bb.42:
	ds_read2_b32 v[3:4], v1 offset1:32
	ds_read2_b32 v[5:6], v1 offset0:64 offset1:96
	s_waitcnt lgkmcnt(1)
	v_add_f32_e32 v14, v14, v3
	v_add_f32_e32 v13, v13, v4
	s_waitcnt lgkmcnt(0)
	v_add_f32_e32 v12, v12, v5
	v_add_f32_e32 v11, v11, v6
.LBB69_43:
	s_or_b32 exec_lo, exec_lo, s1
	v_and_b32_e32 v3, 0x3e0, v0
	s_mov_b32 s0, exec_lo
	s_barrier
	buffer_gl0_inv
	v_cmpx_eq_u32_e32 32, v3
	s_cbranch_execz .LBB69_45
; %bb.44:
	ds_write2_b32 v2, v14, v13 offset1:32
	ds_write2_b32 v2, v12, v11 offset0:64 offset1:96
.LBB69_45:
	s_or_b32 exec_lo, exec_lo, s0
	v_cmp_gt_u32_e32 vcc_lo, 32, v0
	s_waitcnt lgkmcnt(0)
	s_barrier
	buffer_gl0_inv
	s_and_saveexec_b32 s0, vcc_lo
	s_cbranch_execz .LBB69_47
; %bb.46:
	ds_read2_b32 v[2:3], v1 offset1:32
	ds_read2_b32 v[4:5], v1 offset0:64 offset1:96
	s_waitcnt lgkmcnt(1)
	v_add_f32_e32 v14, v14, v2
	v_add_f32_e32 v13, v13, v3
	s_waitcnt lgkmcnt(0)
	v_add_f32_e32 v12, v12, v4
	v_add_f32_e32 v11, v11, v5
.LBB69_47:
	s_or_b32 exec_lo, exec_lo, s0
	s_barrier
	buffer_gl0_inv
	s_and_saveexec_b32 s0, vcc_lo
	s_cbranch_execz .LBB69_49
; %bb.48:
	s_mul_i32 s0, s10, s7
	s_mul_i32 s2, s7, s6
	;; [unrolled: 1-line block ×3, first 2 shown]
	v_lshlrev_b32_e32 v0, 1, v0
	s_lshl_b32 s0, s0, 7
	;;#ASMSTART
	v_cvt_f16_f32 v1, v14;

	;;#ASMEND
	s_ashr_i32 s1, s0, 31
	s_lshl_b64 s[0:1], s[0:1], 1
	s_add_u32 s4, s16, s0
	s_addc_u32 s5, s17, s1
	s_ashr_i32 s3, s2, 31
	s_lshl_b64 s[0:1], s[2:3], 1
	s_add_u32 s2, s4, s0
	s_addc_u32 s3, s5, s1
	s_lshl_b32 s0, s8, 7
	s_ashr_i32 s1, s0, 31
	s_lshl_b64 s[0:1], s[0:1], 1
	s_add_u32 s0, s2, s0
	s_addc_u32 s1, s3, s1
	global_store_short v0, v1, s[0:1]
	;;#ASMSTART
	v_cvt_f16_f32 v1, v13;

	;;#ASMEND
	global_store_short v0, v1, s[0:1] offset:64
	;;#ASMSTART
	v_cvt_f16_f32 v1, v12;

	;;#ASMEND
	global_store_short v0, v1, s[0:1] offset:128
	;; [unrolled: 5-line block ×3, first 2 shown]
.LBB69_49:
	s_endpgm
	.section	.rodata,"a",@progbits
	.p2align	6, 0x0
	.amdhsa_kernel _ZN4vllm25paged_attention_v1_kernelIttLi128ELi8ELi128ELNS_18Fp8KVCacheDataTypeE0ELb0EEEvPT_PKS2_PKT0_S8_ifPKiSA_iPKfiiiSC_SC_iiiii
		.amdhsa_group_segment_fixed_size 288
		.amdhsa_private_segment_fixed_size 0
		.amdhsa_kernarg_size 384
		.amdhsa_user_sgpr_count 6
		.amdhsa_user_sgpr_private_segment_buffer 1
		.amdhsa_user_sgpr_dispatch_ptr 0
		.amdhsa_user_sgpr_queue_ptr 0
		.amdhsa_user_sgpr_kernarg_segment_ptr 1
		.amdhsa_user_sgpr_dispatch_id 0
		.amdhsa_user_sgpr_flat_scratch_init 0
		.amdhsa_user_sgpr_private_segment_size 0
		.amdhsa_wavefront_size32 1
		.amdhsa_uses_dynamic_stack 0
		.amdhsa_system_sgpr_private_segment_wavefront_offset 0
		.amdhsa_system_sgpr_workgroup_id_x 1
		.amdhsa_system_sgpr_workgroup_id_y 1
		.amdhsa_system_sgpr_workgroup_id_z 1
		.amdhsa_system_sgpr_workgroup_info 0
		.amdhsa_system_vgpr_workitem_id 0
		.amdhsa_next_free_vgpr 70
		.amdhsa_next_free_sgpr 30
		.amdhsa_reserve_vcc 1
		.amdhsa_reserve_flat_scratch 0
		.amdhsa_float_round_mode_32 0
		.amdhsa_float_round_mode_16_64 0
		.amdhsa_float_denorm_mode_32 3
		.amdhsa_float_denorm_mode_16_64 3
		.amdhsa_dx10_clamp 1
		.amdhsa_ieee_mode 1
		.amdhsa_fp16_overflow 0
		.amdhsa_workgroup_processor_mode 1
		.amdhsa_memory_ordered 1
		.amdhsa_forward_progress 1
		.amdhsa_shared_vgpr_count 0
		.amdhsa_exception_fp_ieee_invalid_op 0
		.amdhsa_exception_fp_denorm_src 0
		.amdhsa_exception_fp_ieee_div_zero 0
		.amdhsa_exception_fp_ieee_overflow 0
		.amdhsa_exception_fp_ieee_underflow 0
		.amdhsa_exception_fp_ieee_inexact 0
		.amdhsa_exception_int_div_zero 0
	.end_amdhsa_kernel
	.section	.text._ZN4vllm25paged_attention_v1_kernelIttLi128ELi8ELi128ELNS_18Fp8KVCacheDataTypeE0ELb0EEEvPT_PKS2_PKT0_S8_ifPKiSA_iPKfiiiSC_SC_iiiii,"axG",@progbits,_ZN4vllm25paged_attention_v1_kernelIttLi128ELi8ELi128ELNS_18Fp8KVCacheDataTypeE0ELb0EEEvPT_PKS2_PKT0_S8_ifPKiSA_iPKfiiiSC_SC_iiiii,comdat
.Lfunc_end69:
	.size	_ZN4vllm25paged_attention_v1_kernelIttLi128ELi8ELi128ELNS_18Fp8KVCacheDataTypeE0ELb0EEEvPT_PKS2_PKT0_S8_ifPKiSA_iPKfiiiSC_SC_iiiii, .Lfunc_end69-_ZN4vllm25paged_attention_v1_kernelIttLi128ELi8ELi128ELNS_18Fp8KVCacheDataTypeE0ELb0EEEvPT_PKS2_PKT0_S8_ifPKiSA_iPKfiiiSC_SC_iiiii
                                        ; -- End function
	.set _ZN4vllm25paged_attention_v1_kernelIttLi128ELi8ELi128ELNS_18Fp8KVCacheDataTypeE0ELb0EEEvPT_PKS2_PKT0_S8_ifPKiSA_iPKfiiiSC_SC_iiiii.num_vgpr, 70
	.set _ZN4vllm25paged_attention_v1_kernelIttLi128ELi8ELi128ELNS_18Fp8KVCacheDataTypeE0ELb0EEEvPT_PKS2_PKT0_S8_ifPKiSA_iPKfiiiSC_SC_iiiii.num_agpr, 0
	.set _ZN4vllm25paged_attention_v1_kernelIttLi128ELi8ELi128ELNS_18Fp8KVCacheDataTypeE0ELb0EEEvPT_PKS2_PKT0_S8_ifPKiSA_iPKfiiiSC_SC_iiiii.numbered_sgpr, 30
	.set _ZN4vllm25paged_attention_v1_kernelIttLi128ELi8ELi128ELNS_18Fp8KVCacheDataTypeE0ELb0EEEvPT_PKS2_PKT0_S8_ifPKiSA_iPKfiiiSC_SC_iiiii.num_named_barrier, 0
	.set _ZN4vllm25paged_attention_v1_kernelIttLi128ELi8ELi128ELNS_18Fp8KVCacheDataTypeE0ELb0EEEvPT_PKS2_PKT0_S8_ifPKiSA_iPKfiiiSC_SC_iiiii.private_seg_size, 0
	.set _ZN4vllm25paged_attention_v1_kernelIttLi128ELi8ELi128ELNS_18Fp8KVCacheDataTypeE0ELb0EEEvPT_PKS2_PKT0_S8_ifPKiSA_iPKfiiiSC_SC_iiiii.uses_vcc, 1
	.set _ZN4vllm25paged_attention_v1_kernelIttLi128ELi8ELi128ELNS_18Fp8KVCacheDataTypeE0ELb0EEEvPT_PKS2_PKT0_S8_ifPKiSA_iPKfiiiSC_SC_iiiii.uses_flat_scratch, 0
	.set _ZN4vllm25paged_attention_v1_kernelIttLi128ELi8ELi128ELNS_18Fp8KVCacheDataTypeE0ELb0EEEvPT_PKS2_PKT0_S8_ifPKiSA_iPKfiiiSC_SC_iiiii.has_dyn_sized_stack, 0
	.set _ZN4vllm25paged_attention_v1_kernelIttLi128ELi8ELi128ELNS_18Fp8KVCacheDataTypeE0ELb0EEEvPT_PKS2_PKT0_S8_ifPKiSA_iPKfiiiSC_SC_iiiii.has_recursion, 0
	.set _ZN4vllm25paged_attention_v1_kernelIttLi128ELi8ELi128ELNS_18Fp8KVCacheDataTypeE0ELb0EEEvPT_PKS2_PKT0_S8_ifPKiSA_iPKfiiiSC_SC_iiiii.has_indirect_call, 0
	.section	.AMDGPU.csdata,"",@progbits
; Kernel info:
; codeLenInByte = 6672
; TotalNumSgprs: 32
; NumVgprs: 70
; ScratchSize: 0
; MemoryBound: 0
; FloatMode: 240
; IeeeMode: 1
; LDSByteSize: 288 bytes/workgroup (compile time only)
; SGPRBlocks: 0
; VGPRBlocks: 8
; NumSGPRsForWavesPerEU: 32
; NumVGPRsForWavesPerEU: 70
; Occupancy: 12
; WaveLimiterHint : 1
; COMPUTE_PGM_RSRC2:SCRATCH_EN: 0
; COMPUTE_PGM_RSRC2:USER_SGPR: 6
; COMPUTE_PGM_RSRC2:TRAP_HANDLER: 0
; COMPUTE_PGM_RSRC2:TGID_X_EN: 1
; COMPUTE_PGM_RSRC2:TGID_Y_EN: 1
; COMPUTE_PGM_RSRC2:TGID_Z_EN: 1
; COMPUTE_PGM_RSRC2:TIDIG_COMP_CNT: 0
	.section	.text._ZN4vllm25paged_attention_v1_kernelIttLi192ELi8ELi128ELNS_18Fp8KVCacheDataTypeE0ELb0EEEvPT_PKS2_PKT0_S8_ifPKiSA_iPKfiiiSC_SC_iiiii,"axG",@progbits,_ZN4vllm25paged_attention_v1_kernelIttLi192ELi8ELi128ELNS_18Fp8KVCacheDataTypeE0ELb0EEEvPT_PKS2_PKT0_S8_ifPKiSA_iPKfiiiSC_SC_iiiii,comdat
	.protected	_ZN4vllm25paged_attention_v1_kernelIttLi192ELi8ELi128ELNS_18Fp8KVCacheDataTypeE0ELb0EEEvPT_PKS2_PKT0_S8_ifPKiSA_iPKfiiiSC_SC_iiiii ; -- Begin function _ZN4vllm25paged_attention_v1_kernelIttLi192ELi8ELi128ELNS_18Fp8KVCacheDataTypeE0ELb0EEEvPT_PKS2_PKT0_S8_ifPKiSA_iPKfiiiSC_SC_iiiii
	.globl	_ZN4vllm25paged_attention_v1_kernelIttLi192ELi8ELi128ELNS_18Fp8KVCacheDataTypeE0ELb0EEEvPT_PKS2_PKT0_S8_ifPKiSA_iPKfiiiSC_SC_iiiii
	.p2align	8
	.type	_ZN4vllm25paged_attention_v1_kernelIttLi192ELi8ELi128ELNS_18Fp8KVCacheDataTypeE0ELb0EEEvPT_PKS2_PKT0_S8_ifPKiSA_iPKfiiiSC_SC_iiiii,@function
_ZN4vllm25paged_attention_v1_kernelIttLi192ELi8ELi128ELNS_18Fp8KVCacheDataTypeE0ELb0EEEvPT_PKS2_PKT0_S8_ifPKiSA_iPKfiiiSC_SC_iiiii: ; @_ZN4vllm25paged_attention_v1_kernelIttLi192ELi8ELi128ELNS_18Fp8KVCacheDataTypeE0ELb0EEEvPT_PKS2_PKT0_S8_ifPKiSA_iPKfiiiSC_SC_iiiii
; %bb.0:
	s_clause 0x2
	s_load_dword s9, s[4:5], 0x80
	s_load_dwordx2 s[0:1], s[4:5], 0x30
	s_load_dwordx2 s[24:25], s[4:5], 0x20
	s_mov_b32 s10, s7
	s_ashr_i32 s11, s7, 31
	s_lshl_b64 s[2:3], s[10:11], 2
	s_waitcnt lgkmcnt(0)
	s_add_u32 s0, s0, s2
	s_addc_u32 s1, s1, s3
	s_abs_i32 s2, s24
	s_abs_i32 s11, s9
	v_cvt_f32_u32_e32 v1, s2
	s_sub_i32 s7, 0, s2
	v_rcp_iflag_f32_e32 v1, v1
	v_mul_f32_e32 v1, 0x4f7ffffe, v1
	v_cvt_u32_f32_e32 v1, v1
	v_readfirstlane_b32 s3, v1
	s_mul_i32 s7, s7, s3
	s_mul_hi_u32 s7, s3, s7
	s_add_i32 s3, s3, s7
	s_xor_b32 s7, s9, s24
	s_mul_hi_u32 s3, s11, s3
	s_ashr_i32 s7, s7, 31
	s_mul_i32 s12, s3, s2
	s_mov_b32 s24, 0
	s_sub_i32 s11, s11, s12
	s_add_i32 s12, s3, 1
	s_sub_i32 s13, s11, s2
	s_cmp_ge_u32 s11, s2
	s_cselect_b32 s3, s12, s3
	s_cselect_b32 s11, s13, s11
	s_add_i32 s12, s3, 1
	s_cmp_ge_u32 s11, s2
	s_cselect_b32 s2, s12, s3
	s_abs_i32 s17, s6
	s_xor_b32 s2, s2, s7
	s_sub_i32 s18, s2, s7
	s_load_dwordx2 s[2:3], s[4:5], 0x40
	s_abs_i32 s16, s18
	v_cvt_f32_u32_e32 v1, s16
	s_sub_i32 s11, 0, s16
	v_rcp_iflag_f32_e32 v1, v1
	v_mul_f32_e32 v1, 0x4f7ffffe, v1
	v_cvt_u32_f32_e32 v1, v1
	v_readfirstlane_b32 s7, v1
	s_mul_i32 s11, s11, s7
	s_mul_hi_u32 s11, s7, s11
	s_add_i32 s7, s7, s11
	s_waitcnt lgkmcnt(0)
	s_cmp_eq_u64 s[2:3], 0
	s_mul_hi_u32 s20, s17, s7
	s_cbranch_scc1 .LBB70_2
; %bb.1:
	s_ashr_i32 s7, s6, 31
	s_lshl_b64 s[12:13], s[6:7], 2
	s_add_u32 s2, s2, s12
	s_addc_u32 s3, s3, s13
	s_load_dword s24, s[2:3], 0x0
.LBB70_2:
	s_load_dword s11, s[0:1], 0x0
	s_load_dwordx4 s[12:15], s[4:5], 0x48
	v_and_b32_e32 v1, 3, v0
	v_lshlrev_b32_e32 v2, 2, v0
	s_ashr_i32 s0, s6, 31
	s_ashr_i32 s1, s18, 31
	s_mulk_i32 s6, 0xc0
	s_mov_b32 s2, exec_lo
	v_cmpx_gt_u32_e32 0x60, v0
	s_cbranch_execz .LBB70_4
; %bb.3:
	s_load_dwordx2 s[18:19], s[4:5], 0x8
	s_waitcnt lgkmcnt(0)
	s_mul_i32 s22, s12, s10
	v_and_b32_e32 v4, 0x3fc, v0
	s_ashr_i32 s23, s22, 31
	s_lshl_b64 s[22:23], s[22:23], 1
	v_mad_u32_u24 v4, 0x60, v1, v4
	s_add_u32 s3, s18, s22
	s_addc_u32 s12, s19, s23
	s_ashr_i32 s7, s6, 31
	s_lshl_b64 s[18:19], s[6:7], 1
	s_add_u32 s18, s3, s18
	s_addc_u32 s19, s12, s19
	global_load_dword v3, v2, s[18:19]
	s_waitcnt vmcnt(0)
	ds_write_b32 v4, v3
.LBB70_4:
	s_or_b32 exec_lo, exec_lo, s2
	s_waitcnt lgkmcnt(0)
	s_add_i32 s2, s11, 7
	s_clause 0x1
	s_load_dwordx2 s[18:19], s[4:5], 0x28
	s_load_dword s7, s[4:5], 0x38
	s_ashr_i32 s3, s2, 31
	s_xor_b32 s0, s0, s1
	s_lshr_b32 s3, s3, 29
	s_mul_i32 s1, s20, s16
	s_add_i32 s2, s2, s3
	s_sub_i32 s1, s17, s1
	s_ashr_i32 s12, s2, 3
	s_add_i32 s2, s20, 1
	s_sub_i32 s3, s1, s16
	s_cmp_ge_u32 s1, s16
	v_lshrrev_b32_e32 v9, 5, v0
	s_cselect_b32 s2, s2, s20
	s_cselect_b32 s1, s3, s1
	s_add_i32 s3, s2, 1
	s_cmp_ge_u32 s1, s16
	v_mbcnt_lo_u32_b32 v4, -1, 0
	s_cselect_b32 s1, s3, s2
	s_mov_b32 s2, exec_lo
	s_xor_b32 s1, s1, s0
	s_waitcnt lgkmcnt(0)
	s_mul_i32 s20, s7, s10
	s_sub_i32 s1, s1, s0
	v_cmp_gt_i32_e64 s0, s12, v9
	s_ashr_i32 s21, s20, 31
	s_barrier
	buffer_gl0_inv
                                        ; implicit-def: $vgpr5
                                        ; implicit-def: $vgpr6
	v_cmpx_le_i32_e64 s12, v9
	s_xor_b32 s2, exec_lo, s2
; %bb.5:
	v_mov_b32_e32 v5, 0
	v_mbcnt_lo_u32_b32 v4, -1, 0
	v_mov_b32_e32 v6, 32
                                        ; implicit-def: $vgpr2
                                        ; implicit-def: $vgpr1
; %bb.6:
	s_or_saveexec_b32 s26, s2
	s_clause 0x2
	s_load_dwordx2 s[16:17], s[4:5], 0x0
	s_load_dwordx2 s[22:23], s[4:5], 0x18
	s_load_dword s7, s[4:5], 0x88
	v_mov_b32_e32 v7, 0xff7fffff
	v_lshrrev_b32_e32 v3, 3, v0
	s_mul_i32 s14, s1, s14
	s_xor_b32 exec_lo, exec_lo, s26
	s_cbranch_execz .LBB70_12
; %bb.7:
	s_load_dwordx2 s[2:3], s[4:5], 0x10
	v_bfe_u32 v6, v0, 2, 3
	s_ashr_i32 s15, s14, 31
	v_mul_u32_u24_e32 v8, 0x60, v1
	v_cmp_eq_u32_e32 vcc_lo, 0, v1
	s_lshl_b64 s[4:5], s[14:15], 1
	v_lshlrev_b32_e32 v7, 2, v6
	v_lshlrev_b32_e32 v12, 4, v6
	v_and_b32_e32 v2, 12, v2
	v_lshl_or_b32 v10, v9, 3, v6
	v_mov_b32_e32 v5, 0
	v_lshl_or_b32 v1, v9, 5, v7
	v_and_b32_e32 v7, 0x7c, v3
	v_cmp_neq_f32_e64 s1, s24, 0
	v_xor_b32_e32 v14, 2, v4
	v_xor_b32_e32 v15, 1, v4
	v_add_nc_u32_e32 v11, 0x1a0, v1
	v_mov_b32_e32 v16, v9
	s_waitcnt lgkmcnt(0)
	s_add_u32 s15, s2, s4
	s_addc_u32 s5, s3, s5
	v_add_co_u32 v1, s15, s15, v12
	v_add_co_ci_u32_e64 v6, null, s5, 0, s15
	s_lshl_b64 s[2:3], s[20:21], 2
	s_sub_i32 s4, 1, s11
	s_add_u32 s5, s18, s2
	v_add_co_u32 v12, s2, v1, v2
	s_addc_u32 s3, s19, s3
	v_add_co_ci_u32_e64 v13, null, 0, v6, s2
	v_add_co_u32 v1, s2, s5, v7
	v_add_co_ci_u32_e64 v2, null, s3, 0, s2
	v_mov_b32_e32 v7, 0xff7fffff
	v_mov_b32_e32 v6, 32
	s_mov_b32 s15, s13
	s_mov_b32 s5, 0
	s_branch .LBB70_9
.LBB70_8:                               ;   in Loop: Header=BB70_9 Depth=1
	s_or_b32 exec_lo, exec_lo, s3
	v_add_nc_u32_e32 v16, 4, v16
	v_add_co_u32 v1, s3, v1, 16
	v_add_nc_u32_e32 v10, 32, v10
	v_add_nc_u32_e32 v11, 0x80, v11
	v_cmp_le_i32_e64 s2, s12, v16
	v_add_co_ci_u32_e64 v2, null, 0, v2, s3
	s_or_b32 s5, s2, s5
	s_andn2_b32 exec_lo, exec_lo, s5
	s_cbranch_execz .LBB70_11
.LBB70_9:                               ; =>This Inner Loop Header: Depth=1
	global_load_dword v17, v[1:2], off
	s_waitcnt vmcnt(0) lgkmcnt(0)
	v_mad_i64_i32 v[17:18], null, v17, s15, 0
	v_lshlrev_b64 v[17:18], 1, v[17:18]
	v_add_co_u32 v17, s2, v12, v17
	v_add_co_ci_u32_e64 v18, null, v13, v18, s2
	s_clause 0xa
	global_load_dword v19, v[17:18], off
	global_load_dword v31, v[17:18], off offset:128
	global_load_dword v35, v[17:18], off offset:256
	;; [unrolled: 1-line block ×10, first 2 shown]
	ds_read_b32 v20, v8
	s_clause 0x4
	global_load_dword v32, v[17:18], off offset:1408
	global_load_dword v30, v[17:18], off offset:1536
	;; [unrolled: 1-line block ×5, first 2 shown]
	v_add_co_u32 v33, s2, 0x800, v17
	v_add_co_ci_u32_e64 v34, null, 0, v18, s2
	v_cmp_gt_i32_e64 s2, 32, v14
	s_waitcnt lgkmcnt(0)
	v_lshrrev_b32_e32 v41, 16, v20
	v_and_b32_e32 v42, 0xffff, v20
	s_waitcnt vmcnt(15)
	v_and_b32_e32 v43, 0xffff, v19
	v_lshrrev_b32_e32 v45, 16, v19
	s_clause 0x7
	global_load_dword v24, v[33:34], off
	global_load_dword v23, v[33:34], off offset:128
	global_load_dword v22, v[33:34], off offset:256
	;; [unrolled: 1-line block ×7, first 2 shown]
	;;#ASMSTART
	v_cvt_f32_f16 v34, v42;
	;;#ASMEND
	;;#ASMSTART
	v_cvt_f32_f16 v57, v41;
	;;#ASMEND
	;; [unrolled: 3-line block ×4, first 2 shown]
	ds_read_b32 v33, v8 offset:4
	s_waitcnt vmcnt(22)
	v_and_b32_e32 v42, 0xffff, v31
	v_lshrrev_b32_e32 v31, 16, v31
	s_waitcnt lgkmcnt(0)
	v_and_b32_e32 v41, 0xffff, v33
	v_lshrrev_b32_e32 v33, 16, v33
	;;#ASMSTART
	v_cvt_f32_f16 v45, v41;
	;;#ASMEND
	;;#ASMSTART
	v_cvt_f32_f16 v59, v33;
	;;#ASMEND
	;;#ASMSTART
	v_cvt_f32_f16 v68, v42;
	;;#ASMEND
	;;#ASMSTART
	v_cvt_f32_f16 v69, v31;
	;;#ASMEND
	ds_read_b32 v31, v8 offset:8
	s_waitcnt vmcnt(21)
	v_and_b32_e32 v41, 0xffff, v35
	v_lshrrev_b32_e32 v35, 16, v35
	s_waitcnt lgkmcnt(0)
	v_and_b32_e32 v33, 0xffff, v31
	v_lshrrev_b32_e32 v31, 16, v31
	;;#ASMSTART
	v_cvt_f32_f16 v64, v33;
	;;#ASMEND
	;;#ASMSTART
	v_cvt_f32_f16 v61, v31;
	;;#ASMEND
	;; [unrolled: 3-line block ×4, first 2 shown]
	ds_read_b32 v31, v8 offset:12
	s_waitcnt vmcnt(20)
	v_and_b32_e32 v35, 0xffff, v36
	v_lshrrev_b32_e32 v36, 16, v36
	s_waitcnt vmcnt(17)
	v_and_b32_e32 v41, 0xffff, v39
	v_lshrrev_b32_e32 v39, 16, v39
	s_waitcnt lgkmcnt(0)
	v_and_b32_e32 v33, 0xffff, v31
	v_lshrrev_b32_e32 v31, 16, v31
	;;#ASMSTART
	v_cvt_f32_f16 v65, v33;
	;;#ASMEND
	;;#ASMSTART
	v_cvt_f32_f16 v50, v31;
	;;#ASMEND
	;; [unrolled: 3-line block ×4, first 2 shown]
	ds_read_b32 v31, v8 offset:16
	v_and_b32_e32 v35, 0xffff, v37
	v_lshrrev_b32_e32 v36, 16, v37
	v_lshrrev_b32_e32 v37, 16, v38
	s_waitcnt lgkmcnt(0)
	v_and_b32_e32 v33, 0xffff, v31
	v_lshrrev_b32_e32 v31, 16, v31
	;;#ASMSTART
	v_cvt_f32_f16 v55, v33;
	;;#ASMEND
	;;#ASMSTART
	v_cvt_f32_f16 v48, v31;
	;;#ASMEND
	;; [unrolled: 3-line block ×4, first 2 shown]
	ds_read_b32 v31, v8 offset:20
	v_and_b32_e32 v36, 0xffff, v38
	s_waitcnt lgkmcnt(0)
	v_and_b32_e32 v33, 0xffff, v31
	v_lshrrev_b32_e32 v31, 16, v31
	;;#ASMSTART
	v_cvt_f32_f16 v35, v33;
	;;#ASMEND
	;;#ASMSTART
	v_cvt_f32_f16 v31, v31;
	;;#ASMEND
	;; [unrolled: 3-line block ×4, first 2 shown]
	ds_read_b32 v36, v8 offset:24
	s_waitcnt lgkmcnt(0)
	v_and_b32_e32 v37, 0xffff, v36
	v_lshrrev_b32_e32 v36, 16, v36
	;;#ASMSTART
	v_cvt_f32_f16 v60, v37;
	;;#ASMEND
	;;#ASMSTART
	v_cvt_f32_f16 v42, v36;
	;;#ASMEND
	;; [unrolled: 3-line block ×4, first 2 shown]
	ds_read_b32 v36, v8 offset:28
	s_waitcnt vmcnt(16)
	v_and_b32_e32 v39, 0xffff, v40
	v_lshrrev_b32_e32 v40, 16, v40
	s_waitcnt lgkmcnt(0)
	v_and_b32_e32 v37, 0xffff, v36
	v_lshrrev_b32_e32 v36, 16, v36
	;;#ASMSTART
	v_cvt_f32_f16 v51, v37;
	;;#ASMEND
	;;#ASMSTART
	v_cvt_f32_f16 v46, v36;
	;;#ASMEND
	;; [unrolled: 3-line block ×4, first 2 shown]
	ds_read_b32 v36, v8 offset:32
	s_waitcnt vmcnt(15)
	v_and_b32_e32 v39, 0xffff, v26
	v_lshrrev_b32_e32 v26, 16, v26
	s_waitcnt lgkmcnt(0)
	v_and_b32_e32 v37, 0xffff, v36
	v_lshrrev_b32_e32 v36, 16, v36
	;;#ASMSTART
	v_cvt_f32_f16 v40, v37;
	;;#ASMEND
	;;#ASMSTART
	v_cvt_f32_f16 v37, v36;
	;;#ASMEND
	;; [unrolled: 3-line block ×4, first 2 shown]
	ds_read_b32 v36, v8 offset:36
	v_mul_f32_e32 v26, v45, v68
	s_waitcnt vmcnt(14)
	v_and_b32_e32 v45, 0xffff, v28
	v_lshrrev_b32_e32 v28, 16, v28
	v_fmac_f32_e32 v26, v34, v44
	v_fmac_f32_e32 v26, v64, v67
	;; [unrolled: 1-line block ×3, first 2 shown]
	s_waitcnt lgkmcnt(0)
	v_and_b32_e32 v34, 0xffff, v36
	v_lshrrev_b32_e32 v36, 16, v36
	;;#ASMSTART
	v_cvt_f32_f16 v44, v34;
	;;#ASMEND
	;;#ASMSTART
	v_cvt_f32_f16 v34, v36;
	;;#ASMEND
	;; [unrolled: 3-line block ×4, first 2 shown]
	ds_read_b32 v68, v8 offset:40
	v_mul_f32_e32 v28, v59, v69
	s_waitcnt vmcnt(13)
	v_and_b32_e32 v59, 0xffff, v49
	s_waitcnt vmcnt(12)
	v_lshrrev_b32_e32 v69, 16, v32
	v_fmac_f32_e32 v26, v55, v56
	v_fmac_f32_e32 v28, v57, v58
	;; [unrolled: 1-line block ×7, first 2 shown]
	s_waitcnt lgkmcnt(0)
	v_and_b32_e32 v57, 0xffff, v68
	v_lshrrev_b32_e32 v58, 16, v68
	v_lshrrev_b32_e32 v68, 16, v49
	;;#ASMSTART
	v_cvt_f32_f16 v49, v57;
	;;#ASMEND
	;;#ASMSTART
	v_cvt_f32_f16 v57, v58;
	;;#ASMEND
	;; [unrolled: 3-line block ×4, first 2 shown]
	ds_read_b32 v68, v8 offset:44
	v_fmac_f32_e32 v28, v48, v53
	v_fmac_f32_e32 v26, v40, v41
	v_fmac_f32_e32 v28, v31, v33
	v_fmac_f32_e32 v26, v44, v45
	v_fmac_f32_e32 v28, v42, v43
	v_fmac_f32_e32 v26, v49, v58
	v_fmac_f32_e32 v28, v46, v47
	s_waitcnt lgkmcnt(0)
	v_and_b32_e32 v64, 0xffff, v68
	v_lshrrev_b32_e32 v67, 16, v68
	v_and_b32_e32 v68, 0xffff, v32
	;;#ASMSTART
	v_cvt_f32_f16 v32, v64;
	;;#ASMEND
	;;#ASMSTART
	v_cvt_f32_f16 v61, v67;
	;;#ASMEND
	;; [unrolled: 3-line block ×4, first 2 shown]
	ds_read_b32 v67, v8 offset:48
	s_waitcnt vmcnt(11)
	v_lshrrev_b32_e32 v68, 16, v30
	s_waitcnt vmcnt(10)
	v_lshrrev_b32_e32 v69, 16, v29
	v_fmac_f32_e32 v28, v37, v39
	v_fmac_f32_e32 v26, v32, v63
	;; [unrolled: 1-line block ×5, first 2 shown]
	s_waitcnt lgkmcnt(0)
	v_and_b32_e32 v65, 0xffff, v67
	v_lshrrev_b32_e32 v66, 16, v67
	v_and_b32_e32 v67, 0xffff, v30
	;;#ASMSTART
	v_cvt_f32_f16 v30, v65;
	;;#ASMEND
	;;#ASMSTART
	v_cvt_f32_f16 v65, v66;
	;;#ASMEND
	;; [unrolled: 3-line block ×4, first 2 shown]
	ds_read_b32 v68, v8 offset:52
	s_waitcnt vmcnt(7)
	v_and_b32_e32 v62, 0xffff, v24
	s_waitcnt vmcnt(3)
	v_and_b32_e32 v45, 0xffff, v20
	v_fmac_f32_e32 v26, v30, v66
	v_fmac_f32_e32 v28, v65, v67
	s_waitcnt vmcnt(2)
	v_lshrrev_b32_e32 v34, 16, v19
	v_and_b32_e32 v49, 0xffff, v19
	s_waitcnt lgkmcnt(0)
	v_and_b32_e32 v50, 0xffff, v68
	v_lshrrev_b32_e32 v54, 16, v68
	v_and_b32_e32 v68, 0xffff, v29
	;;#ASMSTART
	v_cvt_f32_f16 v29, v50;
	;;#ASMEND
	;;#ASMSTART
	v_cvt_f32_f16 v50, v54;
	;;#ASMEND
	;; [unrolled: 3-line block ×4, first 2 shown]
	ds_read_b32 v56, v8 offset:56
	v_lshrrev_b32_e32 v68, 16, v27
	v_lshrrev_b32_e32 v69, 16, v25
	v_fmac_f32_e32 v26, v29, v54
	v_fmac_f32_e32 v28, v50, v55
	s_waitcnt vmcnt(1)
	v_and_b32_e32 v29, 0xffff, v18
	s_waitcnt lgkmcnt(0)
	v_and_b32_e32 v48, 0xffff, v56
	v_lshrrev_b32_e32 v53, 16, v56
	v_and_b32_e32 v56, 0xffff, v27
	;;#ASMSTART
	v_cvt_f32_f16 v27, v48;
	;;#ASMEND
	;;#ASMSTART
	v_cvt_f32_f16 v48, v53;
	;;#ASMEND
	;; [unrolled: 3-line block ×4, first 2 shown]
	ds_read_b32 v68, v8 offset:60
	v_fmac_f32_e32 v26, v27, v53
	v_fmac_f32_e32 v28, v48, v56
	s_waitcnt lgkmcnt(0)
	v_and_b32_e32 v35, 0xffff, v68
	v_lshrrev_b32_e32 v38, 16, v68
	v_and_b32_e32 v68, 0xffff, v25
	;;#ASMSTART
	v_cvt_f32_f16 v25, v35;
	;;#ASMEND
	;;#ASMSTART
	v_cvt_f32_f16 v31, v38;
	;;#ASMEND
	;; [unrolled: 3-line block ×4, first 2 shown]
	ds_read_b32 v38, v8 offset:64
	v_lshrrev_b32_e32 v68, 16, v24
	v_lshrrev_b32_e32 v69, 16, v23
	v_fmac_f32_e32 v26, v25, v33
	v_fmac_f32_e32 v28, v31, v35
	v_lshrrev_b32_e32 v25, 16, v18
	s_waitcnt lgkmcnt(0)
	v_and_b32_e32 v60, 0xffff, v38
	v_lshrrev_b32_e32 v38, 16, v38
	;;#ASMSTART
	v_cvt_f32_f16 v24, v60;
	;;#ASMEND
	;;#ASMSTART
	v_cvt_f32_f16 v38, v38;
	;;#ASMEND
	;; [unrolled: 3-line block ×4, first 2 shown]
	ds_read_b32 v68, v8 offset:68
	v_fmac_f32_e32 v26, v24, v60
	v_fmac_f32_e32 v28, v38, v62
	s_waitcnt lgkmcnt(0)
	v_and_b32_e32 v42, 0xffff, v68
	v_lshrrev_b32_e32 v43, 16, v68
	v_and_b32_e32 v68, 0xffff, v23
	;;#ASMSTART
	v_cvt_f32_f16 v23, v42;
	;;#ASMEND
	;;#ASMSTART
	v_cvt_f32_f16 v42, v43;
	;;#ASMEND
	;;#ASMSTART
	v_cvt_f32_f16 v43, v68;
	;;#ASMEND
	;;#ASMSTART
	v_cvt_f32_f16 v51, v69;
	;;#ASMEND
	ds_read_b32 v52, v8 offset:72
	v_lshrrev_b32_e32 v68, 16, v22
	v_lshrrev_b32_e32 v69, 16, v21
	v_fmac_f32_e32 v26, v23, v43
	v_fmac_f32_e32 v28, v42, v51
	s_waitcnt lgkmcnt(0)
	v_and_b32_e32 v46, 0xffff, v52
	v_lshrrev_b32_e32 v47, 16, v52
	v_and_b32_e32 v52, 0xffff, v22
	;;#ASMSTART
	v_cvt_f32_f16 v22, v46;
	;;#ASMEND
	;;#ASMSTART
	v_cvt_f32_f16 v46, v47;
	;;#ASMEND
	;; [unrolled: 3-line block ×4, first 2 shown]
	ds_read_b32 v68, v8 offset:76
	v_fmac_f32_e32 v26, v22, v47
	v_fmac_f32_e32 v28, v46, v52
	s_waitcnt lgkmcnt(0)
	v_and_b32_e32 v40, 0xffff, v68
	v_lshrrev_b32_e32 v41, 16, v68
	v_and_b32_e32 v68, 0xffff, v21
	;;#ASMSTART
	v_cvt_f32_f16 v21, v40;
	;;#ASMEND
	;;#ASMSTART
	v_cvt_f32_f16 v37, v41;
	;;#ASMEND
	;; [unrolled: 3-line block ×4, first 2 shown]
	ds_read_b32 v41, v8 offset:80
	v_lshrrev_b32_e32 v68, 16, v20
	v_fmac_f32_e32 v26, v21, v39
	v_fmac_f32_e32 v28, v37, v40
	s_waitcnt vmcnt(0)
	v_lshrrev_b32_e32 v21, 16, v17
	s_waitcnt lgkmcnt(0)
	v_and_b32_e32 v44, 0xffff, v41
	v_lshrrev_b32_e32 v41, 16, v41
	;;#ASMSTART
	v_cvt_f32_f16 v20, v44;
	;;#ASMEND
	;;#ASMSTART
	v_cvt_f32_f16 v41, v41;
	;;#ASMEND
	;; [unrolled: 3-line block ×4, first 2 shown]
	ds_read_b32 v68, v8 offset:84
	v_fmac_f32_e32 v26, v20, v44
	v_fmac_f32_e32 v28, v41, v45
	v_cndmask_b32_e64 v20, v4, v14, s2
	v_cmp_gt_i32_e64 s2, 32, v15
	s_waitcnt lgkmcnt(0)
	v_and_b32_e32 v32, 0xffff, v68
	v_lshrrev_b32_e32 v36, 16, v68
	;;#ASMSTART
	v_cvt_f32_f16 v19, v32;
	;;#ASMEND
	;;#ASMSTART
	v_cvt_f32_f16 v30, v36;
	;;#ASMEND
	;;#ASMSTART
	v_cvt_f32_f16 v32, v49;
	;;#ASMEND
	;;#ASMSTART
	v_cvt_f32_f16 v34, v34;
	;;#ASMEND
	ds_read_b32 v36, v8 offset:88
	v_fmac_f32_e32 v26, v19, v32
	v_fmac_f32_e32 v28, v30, v34
	s_waitcnt lgkmcnt(0)
	v_and_b32_e32 v24, 0xffff, v36
	v_lshrrev_b32_e32 v27, 16, v36
	;;#ASMSTART
	v_cvt_f32_f16 v18, v24;
	;;#ASMEND
	;;#ASMSTART
	v_cvt_f32_f16 v23, v27;
	;;#ASMEND
	;; [unrolled: 3-line block ×4, first 2 shown]
	ds_read_b32 v27, v8 offset:92
	v_fmac_f32_e32 v26, v18, v24
	v_fmac_f32_e32 v28, v23, v25
	s_waitcnt lgkmcnt(0)
	v_and_b32_e32 v19, 0xffff, v27
	v_lshrrev_b32_e32 v22, 16, v27
	v_and_b32_e32 v27, 0xffff, v17
	;;#ASMSTART
	v_cvt_f32_f16 v17, v19;
	;;#ASMEND
	;;#ASMSTART
	v_cvt_f32_f16 v18, v22;
	;;#ASMEND
	;; [unrolled: 3-line block ×4, first 2 shown]
	v_fmac_f32_e32 v26, v17, v19
	v_fmac_f32_e32 v28, v18, v21
	v_lshlrev_b32_e32 v17, 2, v20
	v_cndmask_b32_e64 v19, v4, v15, s2
	v_add_f32_e32 v18, v26, v28
	ds_bpermute_b32 v17, v17, v18
	s_waitcnt lgkmcnt(0)
	v_add_f32_e32 v17, v18, v17
	v_lshlrev_b32_e32 v18, 2, v19
	ds_bpermute_b32 v18, v18, v17
	s_and_saveexec_b32 s3, vcc_lo
	s_cbranch_execz .LBB70_8
; %bb.10:                               ;   in Loop: Header=BB70_9 Depth=1
	v_add_nc_u32_e32 v19, s4, v10
	s_waitcnt lgkmcnt(0)
	v_add_f32_e32 v17, v17, v18
	v_cmp_gt_i32_e64 s2, s11, v10
	v_cvt_f32_i32_e32 v19, v19
	v_mul_f32_e32 v19, s24, v19
	v_cndmask_b32_e64 v18, 0, v19, s1
	v_max_f32_e32 v19, v7, v7
	v_fmac_f32_e32 v18, s25, v17
	v_max_f32_e32 v17, v19, v18
	v_cndmask_b32_e64 v18, 0, v18, s2
	v_cndmask_b32_e64 v7, v7, v17, s2
	ds_write_b32 v11, v18
	s_branch .LBB70_8
.LBB70_11:
	s_or_b32 exec_lo, exec_lo, s5
.LBB70_12:
	s_or_b32 exec_lo, exec_lo, s26
	v_xor_b32_e32 v1, 16, v4
	v_xor_b32_e32 v8, 8, v4
	v_max_f32_e32 v10, v7, v7
	v_cmp_lt_i32_e32 vcc_lo, v1, v6
	v_cndmask_b32_e32 v1, v4, v1, vcc_lo
	v_cmp_lt_i32_e32 vcc_lo, v8, v6
	v_lshlrev_b32_e32 v2, 2, v1
	ds_bpermute_b32 v1, v2, v7
	v_cndmask_b32_e32 v7, v4, v8, vcc_lo
	v_lshlrev_b32_e32 v7, 2, v7
	s_waitcnt lgkmcnt(0)
	v_max_f32_e32 v1, v1, v1
	v_max_f32_e32 v1, v10, v1
	v_xor_b32_e32 v10, 4, v4
	ds_bpermute_b32 v8, v7, v1
	v_cmp_lt_i32_e32 vcc_lo, v10, v6
	v_cndmask_b32_e32 v10, v4, v10, vcc_lo
	v_lshlrev_b32_e32 v12, 2, v10
	v_and_b32_e32 v10, 31, v0
	v_cmp_eq_u32_e32 vcc_lo, 0, v10
	s_waitcnt lgkmcnt(0)
	v_max_f32_e32 v8, v8, v8
	v_max_f32_e32 v1, v1, v8
	v_lshlrev_b32_e32 v8, 2, v9
	ds_bpermute_b32 v11, v12, v1
	s_and_saveexec_b32 s1, vcc_lo
	s_cbranch_execz .LBB70_14
; %bb.13:
	s_waitcnt lgkmcnt(0)
	v_max_f32_e32 v11, v11, v11
	v_max_f32_e32 v1, v1, v1
	;; [unrolled: 1-line block ×3, first 2 shown]
	ds_write_b32 v8, v1 offset:384
.LBB70_14:
	s_or_b32 exec_lo, exec_lo, s1
	v_cmp_gt_u32_e64 s1, 4, v10
	v_mov_b32_e32 v1, 0xff7fffff
	s_waitcnt lgkmcnt(0)
	v_lshlrev_b32_e32 v11, 2, v10
	s_barrier
	buffer_gl0_inv
	s_and_saveexec_b32 s2, s1
; %bb.15:
	ds_read_b32 v1, v11 offset:384
; %bb.16:
	s_or_b32 exec_lo, exec_lo, s2
	v_xor_b32_e32 v13, 2, v4
	v_xor_b32_e32 v15, 1, v4
	v_lshlrev_b32_e32 v5, 2, v5
	v_cmp_lt_i32_e64 s2, v13, v6
	v_cndmask_b32_e64 v13, v4, v13, s2
	v_cmp_lt_i32_e64 s2, v15, v6
	v_lshlrev_b32_e32 v13, 2, v13
	v_cndmask_b32_e64 v6, v4, v15, s2
	s_lshl_b32 s2, s12, 3
	s_min_i32 s4, s2, s11
	s_waitcnt lgkmcnt(0)
	ds_bpermute_b32 v14, v13, v1
	v_max_f32_e32 v1, v1, v1
	v_lshlrev_b32_e32 v6, 2, v6
	v_cmp_gt_i32_e64 s2, s4, v0
	s_waitcnt lgkmcnt(0)
	v_max_f32_e32 v14, v14, v14
	v_max_f32_e32 v1, v1, v14
	ds_bpermute_b32 v14, v6, v1
	s_waitcnt lgkmcnt(0)
	v_max_f32_e32 v14, v14, v14
	v_max_f32_e32 v1, v1, v14
	ds_bpermute_b32 v14, v5, v1
	v_mov_b32_e32 v5, 0
	v_lshl_add_u32 v1, v0, 2, 0x1a0
	s_and_saveexec_b32 s5, s2
	s_cbranch_execz .LBB70_20
; %bb.17:
	v_lshl_add_u32 v15, v0, 2, 0x1a0
	v_mov_b32_e32 v5, 0
	v_mov_b32_e32 v16, v0
	s_mov_b32 s15, 0
	.p2align	6
.LBB70_18:                              ; =>This Inner Loop Header: Depth=1
	ds_read_b32 v17, v15
	v_add_nc_u32_e32 v16, 0x80, v16
	v_cmp_le_i32_e64 s3, s4, v16
	s_or_b32 s15, s3, s15
	s_waitcnt lgkmcnt(0)
	v_sub_f32_e32 v17, v17, v14
	v_mul_f32_e32 v17, 0x3fb8aa3b, v17
	v_exp_f32_e32 v17, v17
	ds_write_b32 v15, v17
	v_add_f32_e32 v5, v5, v17
	v_add_nc_u32_e32 v15, 0x200, v15
	s_andn2_b32 exec_lo, exec_lo, s15
	s_cbranch_execnz .LBB70_18
; %bb.19:
	s_or_b32 exec_lo, exec_lo, s15
.LBB70_20:
	s_or_b32 exec_lo, exec_lo, s5
	ds_bpermute_b32 v2, v2, v5
	s_waitcnt lgkmcnt(0)
	v_add_f32_e32 v2, v5, v2
	ds_bpermute_b32 v5, v7, v2
	s_waitcnt lgkmcnt(0)
	v_add_f32_e32 v2, v2, v5
	;; [unrolled: 3-line block ×5, first 2 shown]
	s_and_saveexec_b32 s3, vcc_lo
; %bb.21:
	ds_write_b32 v8, v2 offset:400
; %bb.22:
	s_or_b32 exec_lo, exec_lo, s3
	s_waitcnt lgkmcnt(0)
	s_barrier
	buffer_gl0_inv
	s_and_saveexec_b32 s3, s1
; %bb.23:
	ds_read_b32 v2, v11 offset:400
; %bb.24:
	s_or_b32 exec_lo, exec_lo, s3
	s_waitcnt lgkmcnt(0)
	ds_bpermute_b32 v5, v13, v2
	v_lshlrev_b32_e32 v4, 2, v4
	v_and_b32_e32 v4, 0xffffff80, v4
	s_waitcnt lgkmcnt(0)
	v_add_f32_e32 v2, v2, v5
	ds_bpermute_b32 v5, v6, v2
	s_waitcnt lgkmcnt(0)
	v_add_f32_e32 v2, v2, v5
	ds_bpermute_b32 v2, v4, v2
	s_and_saveexec_b32 s1, s2
	s_cbranch_execz .LBB70_27
; %bb.25:
	s_waitcnt lgkmcnt(0)
	v_add_f32_e32 v2, 0x358637bd, v2
	s_mov_b32 s2, 0
	v_div_scale_f32 v4, null, v2, v2, 1.0
	v_div_scale_f32 v7, vcc_lo, 1.0, v2, 1.0
	v_rcp_f32_e32 v5, v4
	v_fma_f32 v6, -v4, v5, 1.0
	v_fmac_f32_e32 v5, v6, v5
	v_mul_f32_e32 v6, v7, v5
	v_fma_f32 v8, -v4, v6, v7
	v_fmac_f32_e32 v6, v8, v5
	v_fma_f32 v4, -v4, v6, v7
	v_div_fmas_f32 v4, v4, v5, v6
	v_div_fixup_f32 v2, v4, v2, 1.0
	v_mov_b32_e32 v4, v0
.LBB70_26:                              ; =>This Inner Loop Header: Depth=1
	ds_read_b32 v5, v1
	v_add_nc_u32_e32 v4, 0x80, v4
	v_cmp_le_i32_e32 vcc_lo, s4, v4
	s_or_b32 s2, vcc_lo, s2
	s_waitcnt lgkmcnt(0)
	v_mul_f32_e32 v5, v2, v5
	ds_write_b32 v1, v5
	v_add_nc_u32_e32 v1, 0x200, v1
	s_andn2_b32 exec_lo, exec_lo, s2
	s_cbranch_execnz .LBB70_26
.LBB70_27:
	s_or_b32 exec_lo, exec_lo, s1
	v_mov_b32_e32 v16, 0
	v_mov_b32_e32 v15, 0
	;; [unrolled: 1-line block ×6, first 2 shown]
	s_waitcnt lgkmcnt(0)
	s_barrier
	buffer_gl0_inv
	s_and_saveexec_b32 s2, s0
	s_cbranch_execz .LBB70_43
; %bb.28:
	s_ashr_i32 s15, s14, 31
	v_lshlrev_b32_e32 v1, 4, v10
	s_lshl_b64 s[0:1], s[14:15], 1
	v_mov_b32_e32 v17, 0
	s_add_u32 s0, s22, s0
	s_addc_u32 s1, s23, s1
	v_add_co_u32 v18, s0, s0, v1
	v_and_b32_e32 v1, 0x7c, v3
	v_add_co_ci_u32_e64 v19, null, s1, 0, s0
	s_lshl_b64 s[0:1], s[20:21], 2
	s_add_i32 s3, s12, -1
	s_add_u32 s0, s18, s0
	s_addc_u32 s1, s19, s1
	v_add_co_u32 v5, s0, s0, v1
	v_lshl_or_b32 v20, v9, 3, 7
	v_lshl_add_u32 v21, v9, 5, 0x1a0
	v_add_co_ci_u32_e64 v6, null, s1, 0, s0
	v_mov_b32_e32 v11, 0
	v_mov_b32_e32 v12, 0
	;; [unrolled: 1-line block ×7, first 2 shown]
	s_mov_b32 s5, s13
	s_mov_b32 s4, 0
	s_branch .LBB70_30
.LBB70_29:                              ;   in Loop: Header=BB70_30 Depth=1
	s_or_b32 exec_lo, exec_lo, s1
	v_lshlrev_b32_e32 v23, 16, v44
	v_lshlrev_b32_e32 v8, 16, v8
	;; [unrolled: 1-line block ×3, first 2 shown]
	v_add_nc_u32_e32 v22, 4, v22
	v_add_f32_e32 v24, v42, v43
	v_and_or_b32 v1, 0xffff, v1, v23
	v_and_or_b32 v2, 0xffff, v2, v8
	v_and_or_b32 v3, 0xffff, v3, v7
	;;#ASMSTART
	v_pk_mul_f16 v1, v31, v1;

	;;#ASMEND
	;;#ASMSTART
	v_pk_mul_f16 v2, v30, v2;

	;;#ASMEND
	;; [unrolled: 4-line block ×4, first 2 shown]
	;;#ASMSTART
	v_pk_add_f16 v1, v1, v2;

	;;#ASMEND
	;;#ASMSTART
	v_pk_add_f16 v1, v1, v3;

	;;#ASMEND
	;; [unrolled: 4-line block ×3, first 2 shown]
	v_and_b32_e32 v4, 0xffff, v1
	v_lshrrev_b32_e32 v7, 16, v1
	;;#ASMSTART
	v_cvt_f32_f16 v4, v4;
	;;#ASMEND
	v_add_f32_e32 v25, v40, v41
	v_add_f32_e32 v1, v38, v39
	;; [unrolled: 1-line block ×4, first 2 shown]
	;;#ASMSTART
	v_cvt_f32_f16 v7, v7;
	;;#ASMEND
	v_add_f32_e32 v4, v4, v7
	v_cmp_le_i32_e32 vcc_lo, s12, v22
	v_add_co_u32 v5, s0, v5, 16
	v_add_f32_e32 v12, v12, v24
	v_add_f32_e32 v13, v13, v25
	;; [unrolled: 1-line block ×6, first 2 shown]
	v_add_nc_u32_e32 v20, 32, v20
	v_add_nc_u32_e32 v21, 0x80, v21
	v_add_co_ci_u32_e64 v6, null, 0, v6, s0
	s_or_b32 s4, vcc_lo, s4
	s_andn2_b32 exec_lo, exec_lo, s4
	s_cbranch_execz .LBB70_42
.LBB70_30:                              ; =>This Inner Loop Header: Depth=1
	global_load_dword v7, v[5:6], off
	ds_read2_b64 v[1:4], v21 offset1:1
	ds_read2_b64 v[23:26], v21 offset0:2 offset1:3
	v_add_nc_u32_e32 v27, -7, v20
	v_cmp_eq_u32_e64 s0, s3, v22
	v_add_nc_u32_e32 v29, -6, v20
	v_add_nc_u32_e32 v28, -1, v20
	s_waitcnt lgkmcnt(1)
	;;#ASMSTART
	v_cvt_f16_f32 v31, v1;

	;;#ASMEND
	;;#ASMSTART
	v_cvt_f16_f32 v30, v2;

	;;#ASMEND
	;; [unrolled: 4-line block ×4, first 2 shown]
	s_waitcnt lgkmcnt(0)
	;;#ASMSTART
	v_cvt_f16_f32 v37, v23;

	;;#ASMEND
	;;#ASMSTART
	v_cvt_f16_f32 v32, v24;

	;;#ASMEND
	;; [unrolled: 4-line block ×4, first 2 shown]
	v_add_nc_u32_e32 v26, -5, v20
	v_add_nc_u32_e32 v25, -4, v20
	v_add_nc_u32_e32 v24, -3, v20
	v_add_nc_u32_e32 v23, -2, v20
	s_waitcnt vmcnt(0)
	v_mad_i64_i32 v[7:8], null, v7, s5, 0
	v_lshlrev_b64 v[7:8], 1, v[7:8]
	v_add_co_u32 v7, vcc_lo, v18, v7
	v_add_co_ci_u32_e64 v8, null, v19, v8, vcc_lo
	global_load_dwordx4 v[1:4], v[7:8], off
	s_waitcnt vmcnt(0)
	v_lshrrev_b32_e32 v40, 16, v1
	v_lshrrev_b32_e32 v39, 16, v2
	;; [unrolled: 1-line block ×3, first 2 shown]
	s_and_saveexec_b32 s13, s0
	s_cbranch_execz .LBB70_32
; %bb.31:                               ;   in Loop: Header=BB70_30 Depth=1
	v_cmp_gt_i32_e32 vcc_lo, s11, v27
	v_and_b32_e32 v41, 0xffff0000, v4
	v_cmp_gt_i32_e64 s1, s11, v26
	v_cndmask_b32_e32 v1, 0, v1, vcc_lo
	v_cmp_gt_i32_e32 vcc_lo, s11, v29
	v_cndmask_b32_e64 v2, 0, v2, s1
	v_cmp_gt_i32_e64 s1, s11, v25
	v_cndmask_b32_e32 v40, 0, v40, vcc_lo
	v_cmp_gt_i32_e32 vcc_lo, s11, v28
	v_cndmask_b32_e64 v39, 0, v39, s1
	v_cndmask_b32_sdwa v4, v17, v4, vcc_lo dst_sel:DWORD dst_unused:UNUSED_PAD src0_sel:DWORD src1_sel:WORD_0
	v_cmp_gt_i32_e32 vcc_lo, s11, v20
	v_cndmask_b32_e32 v41, 0, v41, vcc_lo
	v_cmp_gt_i32_e32 vcc_lo, s11, v24
	v_or_b32_e32 v4, v4, v41
	v_cndmask_b32_e32 v3, 0, v3, vcc_lo
	v_cmp_gt_i32_e32 vcc_lo, s11, v23
	v_cndmask_b32_e32 v38, 0, v38, vcc_lo
.LBB70_32:                              ;   in Loop: Header=BB70_30 Depth=1
	s_or_b32 exec_lo, exec_lo, s13
	v_and_b32_e32 v31, 0xffff, v31
	v_and_b32_e32 v36, 0xffff, v36
	v_lshlrev_b32_e32 v40, 16, v40
	v_and_b32_e32 v37, 0xffff, v37
	v_and_b32_e32 v35, 0xffff, v35
	v_lshl_or_b32 v31, v30, 16, v31
	v_lshl_or_b32 v30, v34, 16, v36
	v_lshlrev_b32_e32 v34, 16, v39
	v_lshlrev_b32_e32 v36, 16, v38
	v_and_or_b32 v1, 0xffff, v1, v40
	;;#ASMSTART
	v_pk_mul_f16 v1, v31, v1;

	;;#ASMEND
	v_lshl_or_b32 v32, v32, 16, v37
	v_and_or_b32 v2, 0xffff, v2, v34
	v_and_or_b32 v3, 0xffff, v3, v36
	v_lshl_or_b32 v33, v33, 16, v35
	;;#ASMSTART
	v_pk_mul_f16 v2, v30, v2;

	;;#ASMEND
	;;#ASMSTART
	v_pk_mul_f16 v3, v32, v3;

	;;#ASMEND
	;; [unrolled: 4-line block ×3, first 2 shown]
	;;#ASMSTART
	v_pk_add_f16 v1, v1, v2;

	;;#ASMEND
	;;#ASMSTART
	v_pk_add_f16 v1, v1, v3;

	;;#ASMEND
	;; [unrolled: 4-line block ×3, first 2 shown]
	v_and_b32_e32 v2, 0xffff, v1
	v_lshrrev_b32_e32 v1, 16, v1
	;;#ASMSTART
	v_cvt_f32_f16 v34, v2;
	;;#ASMEND
	;;#ASMSTART
	v_cvt_f32_f16 v35, v1;
	;;#ASMEND
	global_load_dwordx4 v[1:4], v[7:8], off offset:512
	s_waitcnt vmcnt(0)
	v_lshrrev_b32_e32 v38, 16, v1
	v_lshrrev_b32_e32 v37, 16, v2
	;; [unrolled: 1-line block ×3, first 2 shown]
	s_and_saveexec_b32 s13, s0
	s_cbranch_execz .LBB70_34
; %bb.33:                               ;   in Loop: Header=BB70_30 Depth=1
	v_cmp_gt_i32_e32 vcc_lo, s11, v27
	v_and_b32_e32 v39, 0xffff0000, v4
	v_cmp_gt_i32_e64 s1, s11, v26
	v_cndmask_b32_e32 v1, 0, v1, vcc_lo
	v_cmp_gt_i32_e32 vcc_lo, s11, v29
	v_cndmask_b32_e64 v2, 0, v2, s1
	v_cmp_gt_i32_e64 s1, s11, v25
	v_cndmask_b32_e32 v38, 0, v38, vcc_lo
	v_cmp_gt_i32_e32 vcc_lo, s11, v28
	v_cndmask_b32_e64 v37, 0, v37, s1
	v_cndmask_b32_sdwa v4, v17, v4, vcc_lo dst_sel:DWORD dst_unused:UNUSED_PAD src0_sel:DWORD src1_sel:WORD_0
	v_cmp_gt_i32_e32 vcc_lo, s11, v20
	v_cndmask_b32_e32 v39, 0, v39, vcc_lo
	v_cmp_gt_i32_e32 vcc_lo, s11, v24
	v_or_b32_e32 v4, v4, v39
	v_cndmask_b32_e32 v3, 0, v3, vcc_lo
	v_cmp_gt_i32_e32 vcc_lo, s11, v23
	v_cndmask_b32_e32 v36, 0, v36, vcc_lo
.LBB70_34:                              ;   in Loop: Header=BB70_30 Depth=1
	s_or_b32 exec_lo, exec_lo, s13
	v_lshlrev_b32_e32 v38, 16, v38
	v_lshlrev_b32_e32 v37, 16, v37
	;; [unrolled: 1-line block ×3, first 2 shown]
	v_and_or_b32 v1, 0xffff, v1, v38
	v_and_or_b32 v2, 0xffff, v2, v37
	;; [unrolled: 1-line block ×3, first 2 shown]
	;;#ASMSTART
	v_pk_mul_f16 v1, v31, v1;

	;;#ASMEND
	;;#ASMSTART
	v_pk_mul_f16 v2, v30, v2;

	;;#ASMEND
	;; [unrolled: 4-line block ×4, first 2 shown]
	;;#ASMSTART
	v_pk_add_f16 v1, v1, v2;

	;;#ASMEND
	;;#ASMSTART
	v_pk_add_f16 v1, v1, v3;

	;;#ASMEND
	;; [unrolled: 4-line block ×3, first 2 shown]
	v_and_b32_e32 v2, 0xffff, v1
	v_lshrrev_b32_e32 v1, 16, v1
	;;#ASMSTART
	v_cvt_f32_f16 v36, v2;
	;;#ASMEND
	;;#ASMSTART
	v_cvt_f32_f16 v37, v1;
	;;#ASMEND
	global_load_dwordx4 v[1:4], v[7:8], off offset:1024
	s_waitcnt vmcnt(0)
	v_lshrrev_b32_e32 v40, 16, v1
	v_lshrrev_b32_e32 v39, 16, v2
	;; [unrolled: 1-line block ×3, first 2 shown]
	s_and_saveexec_b32 s13, s0
	s_cbranch_execz .LBB70_36
; %bb.35:                               ;   in Loop: Header=BB70_30 Depth=1
	v_cmp_gt_i32_e32 vcc_lo, s11, v27
	v_and_b32_e32 v41, 0xffff0000, v4
	v_cmp_gt_i32_e64 s1, s11, v26
	v_cndmask_b32_e32 v1, 0, v1, vcc_lo
	v_cmp_gt_i32_e32 vcc_lo, s11, v29
	v_cndmask_b32_e64 v2, 0, v2, s1
	v_cmp_gt_i32_e64 s1, s11, v25
	v_cndmask_b32_e32 v40, 0, v40, vcc_lo
	v_cmp_gt_i32_e32 vcc_lo, s11, v28
	v_cndmask_b32_e64 v39, 0, v39, s1
	v_cndmask_b32_sdwa v4, v17, v4, vcc_lo dst_sel:DWORD dst_unused:UNUSED_PAD src0_sel:DWORD src1_sel:WORD_0
	v_cmp_gt_i32_e32 vcc_lo, s11, v20
	v_cndmask_b32_e32 v41, 0, v41, vcc_lo
	v_cmp_gt_i32_e32 vcc_lo, s11, v24
	v_or_b32_e32 v4, v4, v41
	v_cndmask_b32_e32 v3, 0, v3, vcc_lo
	v_cmp_gt_i32_e32 vcc_lo, s11, v23
	v_cndmask_b32_e32 v38, 0, v38, vcc_lo
.LBB70_36:                              ;   in Loop: Header=BB70_30 Depth=1
	s_or_b32 exec_lo, exec_lo, s13
	v_lshlrev_b32_e32 v40, 16, v40
	v_lshlrev_b32_e32 v39, 16, v39
	;; [unrolled: 1-line block ×3, first 2 shown]
	v_and_or_b32 v1, 0xffff, v1, v40
	v_and_or_b32 v2, 0xffff, v2, v39
	;; [unrolled: 1-line block ×3, first 2 shown]
	;;#ASMSTART
	v_pk_mul_f16 v1, v31, v1;

	;;#ASMEND
	;;#ASMSTART
	v_pk_mul_f16 v2, v30, v2;

	;;#ASMEND
	;; [unrolled: 4-line block ×4, first 2 shown]
	;;#ASMSTART
	v_pk_add_f16 v1, v1, v2;

	;;#ASMEND
	;;#ASMSTART
	v_pk_add_f16 v1, v1, v3;

	;;#ASMEND
	;; [unrolled: 4-line block ×3, first 2 shown]
	v_and_b32_e32 v2, 0xffff, v1
	v_lshrrev_b32_e32 v1, 16, v1
	;;#ASMSTART
	v_cvt_f32_f16 v38, v2;
	;;#ASMEND
	;;#ASMSTART
	v_cvt_f32_f16 v39, v1;
	;;#ASMEND
	global_load_dwordx4 v[1:4], v[7:8], off offset:1536
	s_waitcnt vmcnt(0)
	v_lshrrev_b32_e32 v42, 16, v1
	v_lshrrev_b32_e32 v41, 16, v2
	;; [unrolled: 1-line block ×3, first 2 shown]
	s_and_saveexec_b32 s13, s0
	s_cbranch_execz .LBB70_38
; %bb.37:                               ;   in Loop: Header=BB70_30 Depth=1
	v_cmp_gt_i32_e32 vcc_lo, s11, v27
	v_and_b32_e32 v43, 0xffff0000, v4
	v_cmp_gt_i32_e64 s1, s11, v26
	v_cndmask_b32_e32 v1, 0, v1, vcc_lo
	v_cmp_gt_i32_e32 vcc_lo, s11, v29
	v_cndmask_b32_e64 v2, 0, v2, s1
	v_cmp_gt_i32_e64 s1, s11, v25
	v_cndmask_b32_e32 v42, 0, v42, vcc_lo
	v_cmp_gt_i32_e32 vcc_lo, s11, v28
	v_cndmask_b32_e64 v41, 0, v41, s1
	v_cndmask_b32_sdwa v4, v17, v4, vcc_lo dst_sel:DWORD dst_unused:UNUSED_PAD src0_sel:DWORD src1_sel:WORD_0
	v_cmp_gt_i32_e32 vcc_lo, s11, v20
	v_cndmask_b32_e32 v43, 0, v43, vcc_lo
	v_cmp_gt_i32_e32 vcc_lo, s11, v24
	v_or_b32_e32 v4, v4, v43
	v_cndmask_b32_e32 v3, 0, v3, vcc_lo
	v_cmp_gt_i32_e32 vcc_lo, s11, v23
	v_cndmask_b32_e32 v40, 0, v40, vcc_lo
.LBB70_38:                              ;   in Loop: Header=BB70_30 Depth=1
	s_or_b32 exec_lo, exec_lo, s13
	v_lshlrev_b32_e32 v42, 16, v42
	v_lshlrev_b32_e32 v41, 16, v41
	;; [unrolled: 1-line block ×3, first 2 shown]
	v_add_co_u32 v7, vcc_lo, 0x800, v7
	v_and_or_b32 v1, 0xffff, v1, v42
	v_and_or_b32 v2, 0xffff, v2, v41
	;; [unrolled: 1-line block ×3, first 2 shown]
	;;#ASMSTART
	v_pk_mul_f16 v1, v31, v1;

	;;#ASMEND
	v_add_co_ci_u32_e64 v8, null, 0, v8, vcc_lo
	;;#ASMSTART
	v_pk_mul_f16 v2, v30, v2;

	;;#ASMEND
	;;#ASMSTART
	v_pk_mul_f16 v3, v32, v3;

	;;#ASMEND
	;; [unrolled: 4-line block ×3, first 2 shown]
	;;#ASMSTART
	v_pk_add_f16 v1, v1, v2;

	;;#ASMEND
	;;#ASMSTART
	v_pk_add_f16 v1, v1, v3;

	;;#ASMEND
	;; [unrolled: 4-line block ×3, first 2 shown]
	v_lshrrev_b32_e32 v2, 16, v1
	v_and_b32_e32 v1, 0xffff, v1
	;;#ASMSTART
	v_cvt_f32_f16 v40, v1;
	;;#ASMEND
	;;#ASMSTART
	v_cvt_f32_f16 v41, v2;
	;;#ASMEND
	global_load_dwordx4 v[1:4], v[7:8], off
	s_waitcnt vmcnt(0)
	v_lshrrev_b32_e32 v44, 16, v1
	v_lshrrev_b32_e32 v43, 16, v2
	;; [unrolled: 1-line block ×3, first 2 shown]
	s_and_saveexec_b32 s13, s0
	s_cbranch_execz .LBB70_40
; %bb.39:                               ;   in Loop: Header=BB70_30 Depth=1
	v_cmp_gt_i32_e32 vcc_lo, s11, v27
	v_and_b32_e32 v45, 0xffff0000, v4
	v_cmp_gt_i32_e64 s1, s11, v26
	v_cndmask_b32_e32 v1, 0, v1, vcc_lo
	v_cmp_gt_i32_e32 vcc_lo, s11, v29
	v_cndmask_b32_e64 v2, 0, v2, s1
	v_cmp_gt_i32_e64 s1, s11, v25
	v_cndmask_b32_e32 v44, 0, v44, vcc_lo
	v_cmp_gt_i32_e32 vcc_lo, s11, v28
	v_cndmask_b32_e64 v43, 0, v43, s1
	v_cndmask_b32_sdwa v4, v17, v4, vcc_lo dst_sel:DWORD dst_unused:UNUSED_PAD src0_sel:DWORD src1_sel:WORD_0
	v_cmp_gt_i32_e32 vcc_lo, s11, v20
	v_cndmask_b32_e32 v45, 0, v45, vcc_lo
	v_cmp_gt_i32_e32 vcc_lo, s11, v24
	v_or_b32_e32 v4, v4, v45
	v_cndmask_b32_e32 v3, 0, v3, vcc_lo
	v_cmp_gt_i32_e32 vcc_lo, s11, v23
	v_cndmask_b32_e32 v42, 0, v42, vcc_lo
.LBB70_40:                              ;   in Loop: Header=BB70_30 Depth=1
	s_or_b32 exec_lo, exec_lo, s13
	v_lshlrev_b32_e32 v44, 16, v44
	v_lshlrev_b32_e32 v43, 16, v43
	;; [unrolled: 1-line block ×3, first 2 shown]
	v_and_or_b32 v1, 0xffff, v1, v44
	v_and_or_b32 v2, 0xffff, v2, v43
	;; [unrolled: 1-line block ×3, first 2 shown]
	;;#ASMSTART
	v_pk_mul_f16 v1, v31, v1;

	;;#ASMEND
	;;#ASMSTART
	v_pk_mul_f16 v2, v30, v2;

	;;#ASMEND
	;;#ASMSTART
	v_pk_mul_f16 v3, v32, v3;

	;;#ASMEND
	;;#ASMSTART
	v_pk_mul_f16 v4, v33, v4;

	;;#ASMEND
	;;#ASMSTART
	v_pk_add_f16 v1, v1, v2;

	;;#ASMEND
	;;#ASMSTART
	v_pk_add_f16 v1, v1, v3;

	;;#ASMEND
	;;#ASMSTART
	v_pk_add_f16 v1, v1, v4;

	;;#ASMEND
	v_and_b32_e32 v2, 0xffff, v1
	v_lshrrev_b32_e32 v1, 16, v1
	;;#ASMSTART
	v_cvt_f32_f16 v42, v2;
	;;#ASMEND
	;;#ASMSTART
	v_cvt_f32_f16 v43, v1;
	;;#ASMEND
	global_load_dwordx4 v[1:4], v[7:8], off offset:512
	s_waitcnt vmcnt(0)
	v_lshrrev_b32_e32 v44, 16, v1
	v_lshrrev_b32_e32 v8, 16, v2
	v_lshrrev_b32_e32 v7, 16, v3
	s_and_saveexec_b32 s1, s0
	s_cbranch_execz .LBB70_29
; %bb.41:                               ;   in Loop: Header=BB70_30 Depth=1
	v_cmp_gt_i32_e32 vcc_lo, s11, v27
	v_cmp_gt_i32_e64 s0, s11, v26
	v_cndmask_b32_e32 v1, 0, v1, vcc_lo
	v_cmp_gt_i32_e32 vcc_lo, s11, v29
	v_cndmask_b32_e64 v2, 0, v2, s0
	v_cmp_gt_i32_e64 s0, s11, v25
	v_and_b32_e32 v25, 0xffff0000, v4
	v_cndmask_b32_e32 v44, 0, v44, vcc_lo
	v_cmp_gt_i32_e32 vcc_lo, s11, v28
	v_cndmask_b32_e64 v8, 0, v8, s0
	v_cndmask_b32_sdwa v4, v17, v4, vcc_lo dst_sel:DWORD dst_unused:UNUSED_PAD src0_sel:DWORD src1_sel:WORD_0
	v_cmp_gt_i32_e32 vcc_lo, s11, v20
	v_cndmask_b32_e32 v25, 0, v25, vcc_lo
	v_cmp_gt_i32_e32 vcc_lo, s11, v24
	v_or_b32_e32 v4, v4, v25
	v_cndmask_b32_e32 v3, 0, v3, vcc_lo
	v_cmp_gt_i32_e32 vcc_lo, s11, v23
	v_cndmask_b32_e32 v7, 0, v7, vcc_lo
	s_branch .LBB70_29
.LBB70_42:
	s_or_b32 exec_lo, exec_lo, s4
.LBB70_43:
	s_or_b32 exec_lo, exec_lo, s2
	v_lshl_add_u32 v2, v10, 2, 0x1a0
	v_and_b32_e32 v3, 0x3c0, v0
	s_mov_b32 s0, exec_lo
	s_barrier
	v_mad_u32_u24 v1, 0x300, v9, v2
	buffer_gl0_inv
	v_cmpx_eq_u32_e32 64, v3
	s_cbranch_execz .LBB70_45
; %bb.44:
	v_add_nc_u32_e32 v3, 0xfffffa00, v1
	v_add_nc_u32_e32 v4, 0xfffffa80, v1
	;; [unrolled: 1-line block ×5, first 2 shown]
	ds_write_b32 v3, v16
	v_add_nc_u32_e32 v3, 0xfffffc80, v1
	ds_write_b32 v4, v15
	ds_write_b32 v5, v14
	;; [unrolled: 1-line block ×5, first 2 shown]
.LBB70_45:
	s_or_b32 exec_lo, exec_lo, s0
	s_mov_b32 s0, exec_lo
	s_waitcnt lgkmcnt(0)
	s_barrier
	buffer_gl0_inv
	v_cmpx_gt_u32_e32 64, v0
	s_cbranch_execz .LBB70_47
; %bb.46:
	ds_read2_b32 v[3:4], v1 offset1:32
	ds_read2_b32 v[5:6], v1 offset0:64 offset1:96
	ds_read2_b32 v[7:8], v1 offset0:128 offset1:160
	s_waitcnt lgkmcnt(2)
	v_add_f32_e32 v16, v16, v3
	v_add_f32_e32 v15, v15, v4
	s_waitcnt lgkmcnt(1)
	v_add_f32_e32 v14, v14, v5
	v_add_f32_e32 v13, v13, v6
	;; [unrolled: 3-line block ×3, first 2 shown]
.LBB70_47:
	s_or_b32 exec_lo, exec_lo, s0
	v_and_b32_e32 v3, 0x3e0, v0
	s_mov_b32 s0, exec_lo
	s_barrier
	buffer_gl0_inv
	v_cmpx_eq_u32_e32 32, v3
	s_cbranch_execz .LBB70_49
; %bb.48:
	ds_write2_b32 v2, v16, v15 offset1:32
	ds_write2_b32 v2, v14, v13 offset0:64 offset1:96
	ds_write2_b32 v2, v12, v11 offset0:128 offset1:160
.LBB70_49:
	s_or_b32 exec_lo, exec_lo, s0
	v_cmp_gt_u32_e32 vcc_lo, 32, v0
	s_waitcnt lgkmcnt(0)
	s_barrier
	buffer_gl0_inv
	s_and_saveexec_b32 s0, vcc_lo
	s_cbranch_execz .LBB70_51
; %bb.50:
	ds_read2_b32 v[2:3], v1 offset1:32
	ds_read2_b32 v[4:5], v1 offset0:64 offset1:96
	ds_read2_b32 v[6:7], v1 offset0:128 offset1:160
	s_waitcnt lgkmcnt(2)
	v_add_f32_e32 v16, v16, v2
	v_add_f32_e32 v15, v15, v3
	s_waitcnt lgkmcnt(1)
	v_add_f32_e32 v14, v14, v4
	v_add_f32_e32 v13, v13, v5
	;; [unrolled: 3-line block ×3, first 2 shown]
.LBB70_51:
	s_or_b32 exec_lo, exec_lo, s0
	s_barrier
	buffer_gl0_inv
	s_and_saveexec_b32 s0, vcc_lo
	s_cbranch_execz .LBB70_53
; %bb.52:
	s_mul_i32 s0, s10, s7
	s_mul_i32 s2, s7, s6
	;; [unrolled: 1-line block ×3, first 2 shown]
	v_lshlrev_b32_e32 v0, 1, v0
	s_mulk_i32 s0, 0xc0
	;;#ASMSTART
	v_cvt_f16_f32 v1, v16;

	;;#ASMEND
	s_ashr_i32 s1, s0, 31
	s_lshl_b64 s[0:1], s[0:1], 1
	s_add_u32 s4, s16, s0
	s_addc_u32 s5, s17, s1
	s_ashr_i32 s3, s2, 31
	s_lshl_b64 s[0:1], s[2:3], 1
	s_mul_i32 s2, s8, 0xc0
	s_add_u32 s4, s4, s0
	s_addc_u32 s5, s5, s1
	s_ashr_i32 s3, s2, 31
	s_lshl_b64 s[0:1], s[2:3], 1
	s_add_u32 s0, s4, s0
	s_addc_u32 s1, s5, s1
	global_store_short v0, v1, s[0:1]
	;;#ASMSTART
	v_cvt_f16_f32 v1, v15;

	;;#ASMEND
	global_store_short v0, v1, s[0:1] offset:64
	;;#ASMSTART
	v_cvt_f16_f32 v1, v14;

	;;#ASMEND
	global_store_short v0, v1, s[0:1] offset:128
	;; [unrolled: 5-line block ×5, first 2 shown]
.LBB70_53:
	s_endpgm
	.section	.rodata,"a",@progbits
	.p2align	6, 0x0
	.amdhsa_kernel _ZN4vllm25paged_attention_v1_kernelIttLi192ELi8ELi128ELNS_18Fp8KVCacheDataTypeE0ELb0EEEvPT_PKS2_PKT0_S8_ifPKiSA_iPKfiiiSC_SC_iiiii
		.amdhsa_group_segment_fixed_size 416
		.amdhsa_private_segment_fixed_size 0
		.amdhsa_kernarg_size 384
		.amdhsa_user_sgpr_count 6
		.amdhsa_user_sgpr_private_segment_buffer 1
		.amdhsa_user_sgpr_dispatch_ptr 0
		.amdhsa_user_sgpr_queue_ptr 0
		.amdhsa_user_sgpr_kernarg_segment_ptr 1
		.amdhsa_user_sgpr_dispatch_id 0
		.amdhsa_user_sgpr_flat_scratch_init 0
		.amdhsa_user_sgpr_private_segment_size 0
		.amdhsa_wavefront_size32 1
		.amdhsa_uses_dynamic_stack 0
		.amdhsa_system_sgpr_private_segment_wavefront_offset 0
		.amdhsa_system_sgpr_workgroup_id_x 1
		.amdhsa_system_sgpr_workgroup_id_y 1
		.amdhsa_system_sgpr_workgroup_id_z 1
		.amdhsa_system_sgpr_workgroup_info 0
		.amdhsa_system_vgpr_workitem_id 0
		.amdhsa_next_free_vgpr 70
		.amdhsa_next_free_sgpr 27
		.amdhsa_reserve_vcc 1
		.amdhsa_reserve_flat_scratch 0
		.amdhsa_float_round_mode_32 0
		.amdhsa_float_round_mode_16_64 0
		.amdhsa_float_denorm_mode_32 3
		.amdhsa_float_denorm_mode_16_64 3
		.amdhsa_dx10_clamp 1
		.amdhsa_ieee_mode 1
		.amdhsa_fp16_overflow 0
		.amdhsa_workgroup_processor_mode 1
		.amdhsa_memory_ordered 1
		.amdhsa_forward_progress 1
		.amdhsa_shared_vgpr_count 0
		.amdhsa_exception_fp_ieee_invalid_op 0
		.amdhsa_exception_fp_denorm_src 0
		.amdhsa_exception_fp_ieee_div_zero 0
		.amdhsa_exception_fp_ieee_overflow 0
		.amdhsa_exception_fp_ieee_underflow 0
		.amdhsa_exception_fp_ieee_inexact 0
		.amdhsa_exception_int_div_zero 0
	.end_amdhsa_kernel
	.section	.text._ZN4vllm25paged_attention_v1_kernelIttLi192ELi8ELi128ELNS_18Fp8KVCacheDataTypeE0ELb0EEEvPT_PKS2_PKT0_S8_ifPKiSA_iPKfiiiSC_SC_iiiii,"axG",@progbits,_ZN4vllm25paged_attention_v1_kernelIttLi192ELi8ELi128ELNS_18Fp8KVCacheDataTypeE0ELb0EEEvPT_PKS2_PKT0_S8_ifPKiSA_iPKfiiiSC_SC_iiiii,comdat
.Lfunc_end70:
	.size	_ZN4vllm25paged_attention_v1_kernelIttLi192ELi8ELi128ELNS_18Fp8KVCacheDataTypeE0ELb0EEEvPT_PKS2_PKT0_S8_ifPKiSA_iPKfiiiSC_SC_iiiii, .Lfunc_end70-_ZN4vllm25paged_attention_v1_kernelIttLi192ELi8ELi128ELNS_18Fp8KVCacheDataTypeE0ELb0EEEvPT_PKS2_PKT0_S8_ifPKiSA_iPKfiiiSC_SC_iiiii
                                        ; -- End function
	.set _ZN4vllm25paged_attention_v1_kernelIttLi192ELi8ELi128ELNS_18Fp8KVCacheDataTypeE0ELb0EEEvPT_PKS2_PKT0_S8_ifPKiSA_iPKfiiiSC_SC_iiiii.num_vgpr, 70
	.set _ZN4vllm25paged_attention_v1_kernelIttLi192ELi8ELi128ELNS_18Fp8KVCacheDataTypeE0ELb0EEEvPT_PKS2_PKT0_S8_ifPKiSA_iPKfiiiSC_SC_iiiii.num_agpr, 0
	.set _ZN4vllm25paged_attention_v1_kernelIttLi192ELi8ELi128ELNS_18Fp8KVCacheDataTypeE0ELb0EEEvPT_PKS2_PKT0_S8_ifPKiSA_iPKfiiiSC_SC_iiiii.numbered_sgpr, 27
	.set _ZN4vllm25paged_attention_v1_kernelIttLi192ELi8ELi128ELNS_18Fp8KVCacheDataTypeE0ELb0EEEvPT_PKS2_PKT0_S8_ifPKiSA_iPKfiiiSC_SC_iiiii.num_named_barrier, 0
	.set _ZN4vllm25paged_attention_v1_kernelIttLi192ELi8ELi128ELNS_18Fp8KVCacheDataTypeE0ELb0EEEvPT_PKS2_PKT0_S8_ifPKiSA_iPKfiiiSC_SC_iiiii.private_seg_size, 0
	.set _ZN4vllm25paged_attention_v1_kernelIttLi192ELi8ELi128ELNS_18Fp8KVCacheDataTypeE0ELb0EEEvPT_PKS2_PKT0_S8_ifPKiSA_iPKfiiiSC_SC_iiiii.uses_vcc, 1
	.set _ZN4vllm25paged_attention_v1_kernelIttLi192ELi8ELi128ELNS_18Fp8KVCacheDataTypeE0ELb0EEEvPT_PKS2_PKT0_S8_ifPKiSA_iPKfiiiSC_SC_iiiii.uses_flat_scratch, 0
	.set _ZN4vllm25paged_attention_v1_kernelIttLi192ELi8ELi128ELNS_18Fp8KVCacheDataTypeE0ELb0EEEvPT_PKS2_PKT0_S8_ifPKiSA_iPKfiiiSC_SC_iiiii.has_dyn_sized_stack, 0
	.set _ZN4vllm25paged_attention_v1_kernelIttLi192ELi8ELi128ELNS_18Fp8KVCacheDataTypeE0ELb0EEEvPT_PKS2_PKT0_S8_ifPKiSA_iPKfiiiSC_SC_iiiii.has_recursion, 0
	.set _ZN4vllm25paged_attention_v1_kernelIttLi192ELi8ELi128ELNS_18Fp8KVCacheDataTypeE0ELb0EEEvPT_PKS2_PKT0_S8_ifPKiSA_iPKfiiiSC_SC_iiiii.has_indirect_call, 0
	.section	.AMDGPU.csdata,"",@progbits
; Kernel info:
; codeLenInByte = 8708
; TotalNumSgprs: 29
; NumVgprs: 70
; ScratchSize: 0
; MemoryBound: 0
; FloatMode: 240
; IeeeMode: 1
; LDSByteSize: 416 bytes/workgroup (compile time only)
; SGPRBlocks: 0
; VGPRBlocks: 8
; NumSGPRsForWavesPerEU: 29
; NumVGPRsForWavesPerEU: 70
; Occupancy: 12
; WaveLimiterHint : 1
; COMPUTE_PGM_RSRC2:SCRATCH_EN: 0
; COMPUTE_PGM_RSRC2:USER_SGPR: 6
; COMPUTE_PGM_RSRC2:TRAP_HANDLER: 0
; COMPUTE_PGM_RSRC2:TGID_X_EN: 1
; COMPUTE_PGM_RSRC2:TGID_Y_EN: 1
; COMPUTE_PGM_RSRC2:TGID_Z_EN: 1
; COMPUTE_PGM_RSRC2:TIDIG_COMP_CNT: 0
	.section	.text._ZN4vllm25paged_attention_v1_kernelIttLi256ELi8ELi128ELNS_18Fp8KVCacheDataTypeE0ELb0EEEvPT_PKS2_PKT0_S8_ifPKiSA_iPKfiiiSC_SC_iiiii,"axG",@progbits,_ZN4vllm25paged_attention_v1_kernelIttLi256ELi8ELi128ELNS_18Fp8KVCacheDataTypeE0ELb0EEEvPT_PKS2_PKT0_S8_ifPKiSA_iPKfiiiSC_SC_iiiii,comdat
	.protected	_ZN4vllm25paged_attention_v1_kernelIttLi256ELi8ELi128ELNS_18Fp8KVCacheDataTypeE0ELb0EEEvPT_PKS2_PKT0_S8_ifPKiSA_iPKfiiiSC_SC_iiiii ; -- Begin function _ZN4vllm25paged_attention_v1_kernelIttLi256ELi8ELi128ELNS_18Fp8KVCacheDataTypeE0ELb0EEEvPT_PKS2_PKT0_S8_ifPKiSA_iPKfiiiSC_SC_iiiii
	.globl	_ZN4vllm25paged_attention_v1_kernelIttLi256ELi8ELi128ELNS_18Fp8KVCacheDataTypeE0ELb0EEEvPT_PKS2_PKT0_S8_ifPKiSA_iPKfiiiSC_SC_iiiii
	.p2align	8
	.type	_ZN4vllm25paged_attention_v1_kernelIttLi256ELi8ELi128ELNS_18Fp8KVCacheDataTypeE0ELb0EEEvPT_PKS2_PKT0_S8_ifPKiSA_iPKfiiiSC_SC_iiiii,@function
_ZN4vllm25paged_attention_v1_kernelIttLi256ELi8ELi128ELNS_18Fp8KVCacheDataTypeE0ELb0EEEvPT_PKS2_PKT0_S8_ifPKiSA_iPKfiiiSC_SC_iiiii: ; @_ZN4vllm25paged_attention_v1_kernelIttLi256ELi8ELi128ELNS_18Fp8KVCacheDataTypeE0ELb0EEEvPT_PKS2_PKT0_S8_ifPKiSA_iPKfiiiSC_SC_iiiii
; %bb.0:
	s_clause 0x2
	s_load_dword s9, s[4:5], 0x80
	s_load_dwordx2 s[0:1], s[4:5], 0x30
	s_load_dwordx2 s[24:25], s[4:5], 0x20
	s_mov_b32 s10, s7
	s_ashr_i32 s11, s7, 31
	s_lshl_b64 s[2:3], s[10:11], 2
	s_waitcnt lgkmcnt(0)
	s_add_u32 s0, s0, s2
	s_addc_u32 s1, s1, s3
	s_abs_i32 s2, s24
	s_abs_i32 s11, s9
	v_cvt_f32_u32_e32 v1, s2
	s_sub_i32 s7, 0, s2
	v_rcp_iflag_f32_e32 v1, v1
	v_mul_f32_e32 v1, 0x4f7ffffe, v1
	v_cvt_u32_f32_e32 v1, v1
	v_readfirstlane_b32 s3, v1
	s_mul_i32 s7, s7, s3
	s_mul_hi_u32 s7, s3, s7
	s_add_i32 s3, s3, s7
	s_xor_b32 s7, s9, s24
	s_mul_hi_u32 s3, s11, s3
	s_ashr_i32 s7, s7, 31
	s_mul_i32 s12, s3, s2
	s_mov_b32 s24, 0
	s_sub_i32 s11, s11, s12
	s_add_i32 s12, s3, 1
	s_sub_i32 s13, s11, s2
	s_cmp_ge_u32 s11, s2
	s_cselect_b32 s3, s12, s3
	s_cselect_b32 s11, s13, s11
	s_add_i32 s12, s3, 1
	s_cmp_ge_u32 s11, s2
	s_cselect_b32 s2, s12, s3
	s_abs_i32 s17, s6
	s_xor_b32 s2, s2, s7
	s_sub_i32 s18, s2, s7
	s_load_dwordx2 s[2:3], s[4:5], 0x40
	s_abs_i32 s16, s18
	v_cvt_f32_u32_e32 v1, s16
	s_sub_i32 s11, 0, s16
	v_rcp_iflag_f32_e32 v1, v1
	v_mul_f32_e32 v1, 0x4f7ffffe, v1
	v_cvt_u32_f32_e32 v1, v1
	v_readfirstlane_b32 s7, v1
	s_mul_i32 s11, s11, s7
	s_mul_hi_u32 s11, s7, s11
	s_add_i32 s7, s7, s11
	s_waitcnt lgkmcnt(0)
	s_cmp_eq_u64 s[2:3], 0
	s_mul_hi_u32 s20, s17, s7
	s_cbranch_scc1 .LBB71_2
; %bb.1:
	s_ashr_i32 s7, s6, 31
	s_lshl_b64 s[12:13], s[6:7], 2
	s_add_u32 s2, s2, s12
	s_addc_u32 s3, s3, s13
	s_load_dword s24, s[2:3], 0x0
.LBB71_2:
	s_load_dword s11, s[0:1], 0x0
	s_load_dwordx4 s[12:15], s[4:5], 0x48
	v_and_b32_e32 v1, 3, v0
	v_lshlrev_b32_e32 v2, 2, v0
	s_ashr_i32 s0, s6, 31
	s_ashr_i32 s1, s18, 31
	s_lshl_b32 s6, s6, 8
	s_mov_b32 s2, exec_lo
	v_cmpx_gt_u32_e32 0x80, v0
	s_cbranch_execz .LBB71_4
; %bb.3:
	s_load_dwordx2 s[18:19], s[4:5], 0x8
	s_waitcnt lgkmcnt(0)
	s_mul_i32 s22, s12, s10
	v_and_b32_e32 v4, 0x3fc, v0
	s_ashr_i32 s23, s22, 31
	s_lshl_b64 s[22:23], s[22:23], 1
	v_lshl_add_u32 v4, v1, 7, v4
	s_add_u32 s3, s18, s22
	s_addc_u32 s12, s19, s23
	s_ashr_i32 s7, s6, 31
	s_lshl_b64 s[18:19], s[6:7], 1
	s_add_u32 s18, s3, s18
	s_addc_u32 s19, s12, s19
	global_load_dword v3, v2, s[18:19]
	s_waitcnt vmcnt(0)
	ds_write_b32 v4, v3
.LBB71_4:
	s_or_b32 exec_lo, exec_lo, s2
	s_waitcnt lgkmcnt(0)
	s_add_i32 s2, s11, 7
	s_clause 0x1
	s_load_dwordx2 s[18:19], s[4:5], 0x28
	s_load_dword s7, s[4:5], 0x38
	s_ashr_i32 s3, s2, 31
	s_xor_b32 s0, s0, s1
	s_lshr_b32 s3, s3, 29
	s_mul_i32 s1, s20, s16
	s_add_i32 s2, s2, s3
	s_sub_i32 s1, s17, s1
	s_ashr_i32 s12, s2, 3
	s_add_i32 s2, s20, 1
	s_sub_i32 s3, s1, s16
	s_cmp_ge_u32 s1, s16
	v_lshrrev_b32_e32 v9, 5, v0
	s_cselect_b32 s2, s2, s20
	s_cselect_b32 s1, s3, s1
	s_add_i32 s3, s2, 1
	s_cmp_ge_u32 s1, s16
	v_mbcnt_lo_u32_b32 v4, -1, 0
	s_cselect_b32 s1, s3, s2
	s_mov_b32 s2, exec_lo
	s_xor_b32 s1, s1, s0
	s_waitcnt lgkmcnt(0)
	s_mul_i32 s20, s7, s10
	s_sub_i32 s1, s1, s0
	v_cmp_gt_i32_e64 s0, s12, v9
	s_ashr_i32 s21, s20, 31
	s_barrier
	buffer_gl0_inv
                                        ; implicit-def: $vgpr5
                                        ; implicit-def: $vgpr6
	v_cmpx_le_i32_e64 s12, v9
	s_xor_b32 s2, exec_lo, s2
; %bb.5:
	v_mov_b32_e32 v5, 0
	v_mbcnt_lo_u32_b32 v4, -1, 0
	v_mov_b32_e32 v6, 32
                                        ; implicit-def: $vgpr2
                                        ; implicit-def: $vgpr1
; %bb.6:
	s_or_saveexec_b32 s26, s2
	s_clause 0x2
	s_load_dwordx2 s[16:17], s[4:5], 0x0
	s_load_dwordx2 s[22:23], s[4:5], 0x18
	s_load_dword s7, s[4:5], 0x88
	v_mov_b32_e32 v7, 0xff7fffff
	v_lshrrev_b32_e32 v3, 3, v0
	s_mul_i32 s14, s1, s14
	s_xor_b32 exec_lo, exec_lo, s26
	s_cbranch_execz .LBB71_12
; %bb.7:
	s_load_dwordx2 s[2:3], s[4:5], 0x10
	v_bfe_u32 v6, v0, 2, 3
	s_ashr_i32 s15, s14, 31
	v_lshlrev_b32_e32 v8, 7, v1
	v_cmp_eq_u32_e32 vcc_lo, 0, v1
	s_lshl_b64 s[4:5], s[14:15], 1
	v_lshlrev_b32_e32 v7, 2, v6
	v_lshlrev_b32_e32 v12, 4, v6
	v_and_b32_e32 v2, 12, v2
	v_lshl_or_b32 v10, v9, 3, v6
	v_mov_b32_e32 v5, 0
	v_lshl_or_b32 v1, v9, 5, v7
	v_and_b32_e32 v7, 0x7c, v3
	v_cmp_neq_f32_e64 s1, s24, 0
	v_xor_b32_e32 v14, 2, v4
	v_xor_b32_e32 v15, 1, v4
	v_add_nc_u32_e32 v11, 0x220, v1
	v_mov_b32_e32 v16, v9
	s_waitcnt lgkmcnt(0)
	s_add_u32 s15, s2, s4
	s_addc_u32 s5, s3, s5
	v_add_co_u32 v1, s15, s15, v12
	v_add_co_ci_u32_e64 v6, null, s5, 0, s15
	s_lshl_b64 s[2:3], s[20:21], 2
	s_sub_i32 s4, 1, s11
	s_add_u32 s5, s18, s2
	v_add_co_u32 v12, s2, v1, v2
	s_addc_u32 s3, s19, s3
	v_add_co_ci_u32_e64 v13, null, 0, v6, s2
	v_add_co_u32 v1, s2, s5, v7
	v_add_co_ci_u32_e64 v2, null, s3, 0, s2
	v_mov_b32_e32 v7, 0xff7fffff
	v_mov_b32_e32 v6, 32
	s_mov_b32 s15, s13
	s_mov_b32 s5, 0
	s_branch .LBB71_9
.LBB71_8:                               ;   in Loop: Header=BB71_9 Depth=1
	s_or_b32 exec_lo, exec_lo, s3
	v_add_nc_u32_e32 v16, 4, v16
	v_add_co_u32 v1, s3, v1, 16
	v_add_nc_u32_e32 v10, 32, v10
	v_add_nc_u32_e32 v11, 0x80, v11
	v_cmp_le_i32_e64 s2, s12, v16
	v_add_co_ci_u32_e64 v2, null, 0, v2, s3
	s_or_b32 s5, s2, s5
	s_andn2_b32 exec_lo, exec_lo, s5
	s_cbranch_execz .LBB71_11
.LBB71_9:                               ; =>This Inner Loop Header: Depth=1
	global_load_dword v17, v[1:2], off
	s_waitcnt vmcnt(0) lgkmcnt(0)
	v_mad_i64_i32 v[17:18], null, v17, s15, 0
	v_lshlrev_b64 v[17:18], 1, v[17:18]
	v_add_co_u32 v17, s2, v12, v17
	v_add_co_ci_u32_e64 v18, null, v13, v18, s2
	s_clause 0xa
	global_load_dword v19, v[17:18], off
	global_load_dword v23, v[17:18], off offset:128
	global_load_dword v25, v[17:18], off offset:256
	;; [unrolled: 1-line block ×10, first 2 shown]
	v_add_co_u32 v44, s2, 0x800, v17
	ds_read_b32 v20, v8
	v_add_co_ci_u32_e64 v45, null, 0, v18, s2
	s_clause 0xc
	global_load_dword v39, v[17:18], off offset:1408
	global_load_dword v38, v[17:18], off offset:1536
	;; [unrolled: 1-line block ×5, first 2 shown]
	global_load_dword v34, v[44:45], off
	global_load_dword v33, v[44:45], off offset:128
	global_load_dword v32, v[44:45], off offset:256
	;; [unrolled: 1-line block ×7, first 2 shown]
	v_cmp_gt_i32_e64 s2, 32, v14
	s_waitcnt lgkmcnt(0)
	v_lshrrev_b32_e32 v50, 16, v20
	v_and_b32_e32 v51, 0xffff, v20
	s_waitcnt vmcnt(23)
	v_and_b32_e32 v52, 0xffff, v19
	v_lshrrev_b32_e32 v53, 16, v19
	s_clause 0x7
	global_load_dword v26, v[44:45], off offset:1024
	global_load_dword v24, v[44:45], off offset:1152
	global_load_dword v22, v[44:45], off offset:1280
	global_load_dword v21, v[44:45], off offset:1408
	global_load_dword v20, v[44:45], off offset:1536
	global_load_dword v19, v[44:45], off offset:1664
	global_load_dword v18, v[44:45], off offset:1792
	global_load_dword v17, v[44:45], off offset:1920
	;;#ASMSTART
	v_cvt_f32_f16 v44, v51;
	;;#ASMEND
	;;#ASMSTART
	v_cvt_f32_f16 v45, v50;
	;;#ASMEND
	;; [unrolled: 3-line block ×4, first 2 shown]
	ds_read_b32 v52, v8 offset:4
	s_waitcnt vmcnt(30)
	v_and_b32_e32 v54, 0xffff, v23
	v_lshrrev_b32_e32 v55, 16, v23
	s_waitcnt vmcnt(29)
	v_and_b32_e32 v58, 0xffff, v25
	v_lshrrev_b32_e32 v25, 16, v25
	;; [unrolled: 3-line block ×4, first 2 shown]
	s_waitcnt lgkmcnt(0)
	v_and_b32_e32 v53, 0xffff, v52
	v_lshrrev_b32_e32 v52, 16, v52
	;;#ASMSTART
	v_cvt_f32_f16 v23, v53;
	;;#ASMEND
	;;#ASMSTART
	v_cvt_f32_f16 v52, v52;
	;;#ASMEND
	;; [unrolled: 3-line block ×4, first 2 shown]
	ds_read_b32 v55, v8 offset:8
	v_mul_f32_e32 v23, v23, v53
	s_waitcnt vmcnt(25)
	v_and_b32_e32 v53, 0xffff, v49
	v_fmac_f32_e32 v23, v44, v50
	s_waitcnt vmcnt(24)
	v_lshrrev_b32_e32 v50, 16, v43
	s_waitcnt lgkmcnt(0)
	v_and_b32_e32 v56, 0xffff, v55
	v_lshrrev_b32_e32 v57, 16, v55
	;;#ASMSTART
	v_cvt_f32_f16 v55, v56;
	;;#ASMEND
	;;#ASMSTART
	v_cvt_f32_f16 v56, v57;
	;;#ASMEND
	;;#ASMSTART
	v_cvt_f32_f16 v57, v58;
	;;#ASMEND
	;;#ASMSTART
	v_cvt_f32_f16 v58, v25;
	;;#ASMEND
	ds_read_b32 v25, v8 offset:12
	v_fmac_f32_e32 v23, v55, v57
	s_waitcnt lgkmcnt(0)
	v_and_b32_e32 v59, 0xffff, v25
	v_lshrrev_b32_e32 v25, 16, v25
	;;#ASMSTART
	v_cvt_f32_f16 v46, v59;
	;;#ASMEND
	;;#ASMSTART
	v_cvt_f32_f16 v59, v25;
	;;#ASMEND
	;; [unrolled: 3-line block ×4, first 2 shown]
	ds_read_b32 v25, v8 offset:16
	v_fmac_f32_e32 v23, v46, v60
	s_waitcnt lgkmcnt(0)
	v_and_b32_e32 v62, 0xffff, v25
	v_lshrrev_b32_e32 v25, 16, v25
	;;#ASMSTART
	v_cvt_f32_f16 v62, v62;
	;;#ASMEND
	;;#ASMSTART
	v_cvt_f32_f16 v65, v25;
	;;#ASMEND
	;; [unrolled: 3-line block ×4, first 2 shown]
	ds_read_b32 v25, v8 offset:20
	v_and_b32_e32 v63, 0xffff, v48
	v_lshrrev_b32_e32 v48, 16, v48
	v_fmac_f32_e32 v23, v62, v67
	s_waitcnt lgkmcnt(0)
	v_and_b32_e32 v47, 0xffff, v25
	v_lshrrev_b32_e32 v25, 16, v25
	;;#ASMSTART
	v_cvt_f32_f16 v70, v47;
	;;#ASMEND
	;;#ASMSTART
	v_cvt_f32_f16 v71, v25;
	;;#ASMEND
	;; [unrolled: 3-line block ×4, first 2 shown]
	ds_read_b32 v25, v8 offset:24
	v_lshrrev_b32_e32 v63, 16, v49
	v_fmac_f32_e32 v23, v70, v72
	s_waitcnt lgkmcnt(0)
	v_and_b32_e32 v47, 0xffff, v25
	v_lshrrev_b32_e32 v48, 16, v25
	;;#ASMSTART
	v_cvt_f32_f16 v49, v47;
	;;#ASMEND
	;;#ASMSTART
	v_cvt_f32_f16 v74, v48;
	;;#ASMEND
	;; [unrolled: 3-line block ×4, first 2 shown]
	ds_read_b32 v47, v8 offset:28
	v_mul_f32_e32 v25, v52, v54
	v_and_b32_e32 v48, 0xffff, v43
	v_fmac_f32_e32 v23, v49, v75
	v_fmac_f32_e32 v25, v45, v51
	v_fmac_f32_e32 v25, v56, v58
	v_fmac_f32_e32 v25, v59, v61
	s_waitcnt lgkmcnt(0)
	v_and_b32_e32 v44, 0xffff, v47
	v_lshrrev_b32_e32 v47, 16, v47
	;;#ASMSTART
	v_cvt_f32_f16 v77, v44;
	;;#ASMEND
	;;#ASMSTART
	v_cvt_f32_f16 v43, v47;
	;;#ASMEND
	;; [unrolled: 3-line block ×4, first 2 shown]
	ds_read_b32 v44, v8 offset:32
	s_waitcnt vmcnt(23)
	v_and_b32_e32 v48, 0xffff, v42
	v_lshrrev_b32_e32 v42, 16, v42
	s_waitcnt vmcnt(22)
	v_and_b32_e32 v50, 0xffff, v40
	v_lshrrev_b32_e32 v40, 16, v40
	v_fmac_f32_e32 v25, v65, v69
	v_fmac_f32_e32 v23, v77, v78
	s_waitcnt vmcnt(14)
	v_lshrrev_b32_e32 v69, 16, v33
	v_fmac_f32_e32 v25, v71, v73
	v_fmac_f32_e32 v25, v74, v76
	s_waitcnt lgkmcnt(0)
	v_and_b32_e32 v47, 0xffff, v44
	v_lshrrev_b32_e32 v44, 16, v44
	;;#ASMSTART
	v_cvt_f32_f16 v79, v47;
	;;#ASMEND
	;;#ASMSTART
	v_cvt_f32_f16 v47, v44;
	;;#ASMEND
	;; [unrolled: 3-line block ×4, first 2 shown]
	ds_read_b32 v42, v8 offset:36
	v_fmac_f32_e32 v25, v43, v45
	v_fmac_f32_e32 v23, v79, v80
	;; [unrolled: 1-line block ×3, first 2 shown]
	v_and_b32_e32 v48, 0xffff, v33
	s_waitcnt lgkmcnt(0)
	v_and_b32_e32 v44, 0xffff, v42
	v_lshrrev_b32_e32 v42, 16, v42
	;;#ASMSTART
	v_cvt_f32_f16 v55, v44;
	;;#ASMEND
	;;#ASMSTART
	v_cvt_f32_f16 v53, v42;
	;;#ASMEND
	;; [unrolled: 3-line block ×4, first 2 shown]
	ds_read_b32 v40, v8 offset:40
	v_and_b32_e32 v44, 0xffff, v41
	v_lshrrev_b32_e32 v41, 16, v41
	v_fmac_f32_e32 v23, v55, v68
	v_fmac_f32_e32 v25, v53, v54
	s_waitcnt vmcnt(13)
	v_lshrrev_b32_e32 v68, 16, v32
	s_waitcnt lgkmcnt(0)
	v_and_b32_e32 v42, 0xffff, v40
	v_lshrrev_b32_e32 v40, 16, v40
	;;#ASMSTART
	v_cvt_f32_f16 v64, v42;
	;;#ASMEND
	;;#ASMSTART
	v_cvt_f32_f16 v61, v40;
	;;#ASMEND
	;; [unrolled: 3-line block ×4, first 2 shown]
	ds_read_b32 v40, v8 offset:44
	v_and_b32_e32 v42, 0xffff, v39
	v_lshrrev_b32_e32 v39, 16, v39
	v_fmac_f32_e32 v23, v64, v66
	v_fmac_f32_e32 v25, v61, v63
	s_waitcnt lgkmcnt(0)
	v_and_b32_e32 v41, 0xffff, v40
	v_lshrrev_b32_e32 v40, 16, v40
	;;#ASMSTART
	v_cvt_f32_f16 v65, v41;
	;;#ASMEND
	;;#ASMSTART
	v_cvt_f32_f16 v50, v40;
	;;#ASMEND
	;; [unrolled: 3-line block ×4, first 2 shown]
	ds_read_b32 v39, v8 offset:48
	v_and_b32_e32 v41, 0xffff, v38
	v_lshrrev_b32_e32 v38, 16, v38
	v_fmac_f32_e32 v23, v65, v67
	s_waitcnt vmcnt(11)
	v_and_b32_e32 v67, 0xffff, v30
	v_fmac_f32_e32 v25, v50, v52
	s_waitcnt lgkmcnt(0)
	v_and_b32_e32 v40, 0xffff, v39
	v_lshrrev_b32_e32 v39, 16, v39
	;;#ASMSTART
	v_cvt_f32_f16 v60, v40;
	;;#ASMEND
	;;#ASMSTART
	v_cvt_f32_f16 v57, v39;
	;;#ASMEND
	;; [unrolled: 3-line block ×4, first 2 shown]
	ds_read_b32 v38, v8 offset:52
	v_and_b32_e32 v40, 0xffff, v37
	v_lshrrev_b32_e32 v37, 16, v37
	v_fmac_f32_e32 v23, v60, v62
	v_fmac_f32_e32 v25, v57, v59
	s_waitcnt lgkmcnt(0)
	v_and_b32_e32 v39, 0xffff, v38
	v_lshrrev_b32_e32 v38, 16, v38
	;;#ASMSTART
	v_cvt_f32_f16 v49, v39;
	;;#ASMEND
	;;#ASMSTART
	v_cvt_f32_f16 v44, v38;
	;;#ASMEND
	;; [unrolled: 3-line block ×4, first 2 shown]
	ds_read_b32 v37, v8 offset:56
	v_and_b32_e32 v39, 0xffff, v36
	v_lshrrev_b32_e32 v36, 16, v36
	v_and_b32_e32 v40, 0xffff, v35
	v_lshrrev_b32_e32 v35, 16, v35
	v_fmac_f32_e32 v23, v49, v51
	v_fmac_f32_e32 v25, v44, v46
	s_waitcnt lgkmcnt(0)
	v_and_b32_e32 v38, 0xffff, v37
	v_lshrrev_b32_e32 v37, 16, v37
	;;#ASMSTART
	v_cvt_f32_f16 v56, v38;
	;;#ASMEND
	;;#ASMSTART
	v_cvt_f32_f16 v38, v37;
	;;#ASMEND
	;; [unrolled: 3-line block ×4, first 2 shown]
	ds_read_b32 v36, v8 offset:60
	v_fmac_f32_e32 v23, v56, v58
	s_waitcnt vmcnt(7)
	v_and_b32_e32 v58, 0xffff, v26
	v_fmac_f32_e32 v25, v38, v41
	s_waitcnt lgkmcnt(0)
	v_and_b32_e32 v37, 0xffff, v36
	v_lshrrev_b32_e32 v36, 16, v36
	;;#ASMSTART
	v_cvt_f32_f16 v43, v37;
	;;#ASMEND
	;;#ASMSTART
	v_cvt_f32_f16 v39, v36;
	;;#ASMEND
	;; [unrolled: 3-line block ×4, first 2 shown]
	ds_read_b32 v35, v8 offset:64
	v_and_b32_e32 v40, 0xffff, v34
	v_lshrrev_b32_e32 v34, 16, v34
	v_fmac_f32_e32 v23, v43, v45
	v_fmac_f32_e32 v25, v39, v42
	s_waitcnt lgkmcnt(0)
	v_and_b32_e32 v36, 0xffff, v35
	v_lshrrev_b32_e32 v35, 16, v35
	;;#ASMSTART
	v_cvt_f32_f16 v37, v36;
	;;#ASMEND
	;;#ASMSTART
	v_cvt_f32_f16 v35, v35;
	;;#ASMEND
	;; [unrolled: 3-line block ×4, first 2 shown]
	ds_read_b32 v34, v8 offset:68
	v_fmac_f32_e32 v23, v37, v40
	v_fmac_f32_e32 v25, v35, v36
	s_waitcnt lgkmcnt(0)
	v_and_b32_e32 v47, 0xffff, v34
	v_lshrrev_b32_e32 v34, 16, v34
	;;#ASMSTART
	v_cvt_f32_f16 v47, v47;
	;;#ASMEND
	;;#ASMSTART
	v_cvt_f32_f16 v33, v34;
	;;#ASMEND
	;;#ASMSTART
	v_cvt_f32_f16 v48, v48;
	;;#ASMEND
	;;#ASMSTART
	v_cvt_f32_f16 v34, v69;
	;;#ASMEND
	ds_read_b32 v55, v8 offset:72
	v_lshrrev_b32_e32 v69, 16, v31
	v_fmac_f32_e32 v23, v47, v48
	v_fmac_f32_e32 v25, v33, v34
	s_waitcnt vmcnt(3)
	v_and_b32_e32 v48, 0xffff, v20
	s_waitcnt vmcnt(2)
	v_and_b32_e32 v34, 0xffff, v19
	s_waitcnt lgkmcnt(0)
	v_and_b32_e32 v53, 0xffff, v55
	v_lshrrev_b32_e32 v54, 16, v55
	v_and_b32_e32 v55, 0xffff, v32
	;;#ASMSTART
	v_cvt_f32_f16 v32, v53;
	;;#ASMEND
	;;#ASMSTART
	v_cvt_f32_f16 v53, v54;
	;;#ASMEND
	;;#ASMSTART
	v_cvt_f32_f16 v54, v55;
	;;#ASMEND
	;;#ASMSTART
	v_cvt_f32_f16 v55, v68;
	;;#ASMEND
	ds_read_b32 v68, v8 offset:76
	v_fmac_f32_e32 v23, v32, v54
	v_fmac_f32_e32 v25, v53, v55
	v_lshrrev_b32_e32 v32, 16, v19
	s_waitcnt lgkmcnt(0)
	v_and_b32_e32 v64, 0xffff, v68
	v_lshrrev_b32_e32 v66, 16, v68
	v_and_b32_e32 v68, 0xffff, v31
	;;#ASMSTART
	v_cvt_f32_f16 v31, v64;
	;;#ASMEND
	;;#ASMSTART
	v_cvt_f32_f16 v61, v66;
	;;#ASMEND
	;;#ASMSTART
	v_cvt_f32_f16 v63, v68;
	;;#ASMEND
	;;#ASMSTART
	v_cvt_f32_f16 v64, v69;
	;;#ASMEND
	ds_read_b32 v66, v8 offset:80
	v_lshrrev_b32_e32 v68, 16, v30
	v_lshrrev_b32_e32 v69, 16, v29
	v_fmac_f32_e32 v23, v31, v63
	v_fmac_f32_e32 v25, v61, v64
	s_waitcnt lgkmcnt(0)
	v_and_b32_e32 v65, 0xffff, v66
	v_lshrrev_b32_e32 v66, 16, v66
	;;#ASMSTART
	v_cvt_f32_f16 v30, v65;
	;;#ASMEND
	;;#ASMSTART
	v_cvt_f32_f16 v65, v66;
	;;#ASMEND
	;; [unrolled: 3-line block ×4, first 2 shown]
	ds_read_b32 v68, v8 offset:84
	v_fmac_f32_e32 v23, v30, v66
	v_fmac_f32_e32 v25, v65, v67
	s_waitcnt lgkmcnt(0)
	v_and_b32_e32 v50, 0xffff, v68
	v_lshrrev_b32_e32 v52, 16, v68
	v_and_b32_e32 v68, 0xffff, v29
	;;#ASMSTART
	v_cvt_f32_f16 v29, v50;
	;;#ASMEND
	;;#ASMSTART
	v_cvt_f32_f16 v50, v52;
	;;#ASMEND
	;; [unrolled: 3-line block ×4, first 2 shown]
	ds_read_b32 v62, v8 offset:88
	v_lshrrev_b32_e32 v68, 16, v28
	v_lshrrev_b32_e32 v69, 16, v27
	v_fmac_f32_e32 v23, v29, v52
	v_fmac_f32_e32 v25, v50, v60
	s_waitcnt vmcnt(1)
	v_and_b32_e32 v29, 0xffff, v18
	s_waitcnt lgkmcnt(0)
	v_and_b32_e32 v57, 0xffff, v62
	v_lshrrev_b32_e32 v59, 16, v62
	v_and_b32_e32 v62, 0xffff, v28
	;;#ASMSTART
	v_cvt_f32_f16 v28, v57;
	;;#ASMEND
	;;#ASMSTART
	v_cvt_f32_f16 v57, v59;
	;;#ASMEND
	;; [unrolled: 3-line block ×4, first 2 shown]
	ds_read_b32 v68, v8 offset:92
	v_fmac_f32_e32 v23, v28, v59
	v_fmac_f32_e32 v25, v57, v62
	s_waitcnt lgkmcnt(0)
	v_and_b32_e32 v49, 0xffff, v68
	v_lshrrev_b32_e32 v51, 16, v68
	v_and_b32_e32 v68, 0xffff, v27
	;;#ASMSTART
	v_cvt_f32_f16 v27, v49;
	;;#ASMEND
	;;#ASMSTART
	v_cvt_f32_f16 v44, v51;
	;;#ASMEND
	;; [unrolled: 3-line block ×4, first 2 shown]
	ds_read_b32 v51, v8 offset:96
	v_lshrrev_b32_e32 v68, 16, v26
	v_lshrrev_b32_e32 v69, 16, v24
	v_fmac_f32_e32 v23, v27, v46
	v_fmac_f32_e32 v25, v44, v49
	v_lshrrev_b32_e32 v27, 16, v18
	s_waitcnt lgkmcnt(0)
	v_and_b32_e32 v56, 0xffff, v51
	v_lshrrev_b32_e32 v51, 16, v51
	;;#ASMSTART
	v_cvt_f32_f16 v26, v56;
	;;#ASMEND
	;;#ASMSTART
	v_cvt_f32_f16 v51, v51;
	;;#ASMEND
	;; [unrolled: 3-line block ×4, first 2 shown]
	ds_read_b32 v68, v8 offset:100
	v_fmac_f32_e32 v23, v26, v56
	v_fmac_f32_e32 v25, v51, v58
	s_waitcnt lgkmcnt(0)
	v_and_b32_e32 v38, 0xffff, v68
	v_lshrrev_b32_e32 v41, 16, v68
	v_and_b32_e32 v68, 0xffff, v24
	;;#ASMSTART
	v_cvt_f32_f16 v24, v38;
	;;#ASMEND
	;;#ASMSTART
	v_cvt_f32_f16 v38, v41;
	;;#ASMEND
	;; [unrolled: 3-line block ×4, first 2 shown]
	ds_read_b32 v45, v8 offset:104
	v_lshrrev_b32_e32 v68, 16, v22
	v_lshrrev_b32_e32 v69, 16, v21
	v_fmac_f32_e32 v23, v24, v41
	v_fmac_f32_e32 v25, v38, v43
	s_waitcnt lgkmcnt(0)
	v_and_b32_e32 v39, 0xffff, v45
	v_lshrrev_b32_e32 v42, 16, v45
	v_and_b32_e32 v45, 0xffff, v22
	;;#ASMSTART
	v_cvt_f32_f16 v22, v39;
	;;#ASMEND
	;;#ASMSTART
	v_cvt_f32_f16 v39, v42;
	;;#ASMEND
	;; [unrolled: 3-line block ×4, first 2 shown]
	ds_read_b32 v68, v8 offset:108
	v_fmac_f32_e32 v23, v22, v42
	v_fmac_f32_e32 v25, v39, v45
	s_waitcnt lgkmcnt(0)
	v_and_b32_e32 v37, 0xffff, v68
	v_lshrrev_b32_e32 v40, 16, v68
	v_and_b32_e32 v68, 0xffff, v21
	;;#ASMSTART
	v_cvt_f32_f16 v21, v37;
	;;#ASMEND
	;;#ASMSTART
	v_cvt_f32_f16 v35, v40;
	;;#ASMEND
	;; [unrolled: 3-line block ×4, first 2 shown]
	ds_read_b32 v40, v8 offset:112
	v_lshrrev_b32_e32 v68, 16, v20
	v_fmac_f32_e32 v23, v21, v36
	v_fmac_f32_e32 v25, v35, v37
	s_waitcnt vmcnt(0)
	v_lshrrev_b32_e32 v21, 16, v17
	s_waitcnt lgkmcnt(0)
	v_and_b32_e32 v47, 0xffff, v40
	v_lshrrev_b32_e32 v40, 16, v40
	;;#ASMSTART
	v_cvt_f32_f16 v20, v47;
	;;#ASMEND
	;;#ASMSTART
	v_cvt_f32_f16 v40, v40;
	;;#ASMEND
	;; [unrolled: 3-line block ×4, first 2 shown]
	ds_read_b32 v68, v8 offset:116
	v_fmac_f32_e32 v23, v20, v47
	v_fmac_f32_e32 v25, v40, v48
	v_cndmask_b32_e64 v20, v4, v14, s2
	v_cmp_gt_i32_e64 s2, 32, v15
	s_waitcnt lgkmcnt(0)
	v_and_b32_e32 v31, 0xffff, v68
	v_lshrrev_b32_e32 v33, 16, v68
	;;#ASMSTART
	v_cvt_f32_f16 v19, v31;
	;;#ASMEND
	;;#ASMSTART
	v_cvt_f32_f16 v30, v33;
	;;#ASMEND
	;; [unrolled: 3-line block ×4, first 2 shown]
	ds_read_b32 v33, v8 offset:120
	v_fmac_f32_e32 v23, v19, v31
	v_fmac_f32_e32 v25, v30, v32
	s_waitcnt lgkmcnt(0)
	v_and_b32_e32 v26, 0xffff, v33
	v_lshrrev_b32_e32 v28, 16, v33
	;;#ASMSTART
	v_cvt_f32_f16 v18, v26;
	;;#ASMEND
	;;#ASMSTART
	v_cvt_f32_f16 v24, v28;
	;;#ASMEND
	;; [unrolled: 3-line block ×4, first 2 shown]
	ds_read_b32 v28, v8 offset:124
	v_fmac_f32_e32 v23, v18, v26
	v_fmac_f32_e32 v25, v24, v27
	s_waitcnt lgkmcnt(0)
	v_and_b32_e32 v19, 0xffff, v28
	v_lshrrev_b32_e32 v22, 16, v28
	v_and_b32_e32 v28, 0xffff, v17
	;;#ASMSTART
	v_cvt_f32_f16 v17, v19;
	;;#ASMEND
	;;#ASMSTART
	v_cvt_f32_f16 v18, v22;
	;;#ASMEND
	;; [unrolled: 3-line block ×4, first 2 shown]
	v_fmac_f32_e32 v23, v17, v19
	v_fmac_f32_e32 v25, v18, v21
	v_lshlrev_b32_e32 v17, 2, v20
	v_cndmask_b32_e64 v19, v4, v15, s2
	v_add_f32_e32 v18, v23, v25
	ds_bpermute_b32 v17, v17, v18
	s_waitcnt lgkmcnt(0)
	v_add_f32_e32 v17, v18, v17
	v_lshlrev_b32_e32 v18, 2, v19
	ds_bpermute_b32 v18, v18, v17
	s_and_saveexec_b32 s3, vcc_lo
	s_cbranch_execz .LBB71_8
; %bb.10:                               ;   in Loop: Header=BB71_9 Depth=1
	v_add_nc_u32_e32 v19, s4, v10
	s_waitcnt lgkmcnt(0)
	v_add_f32_e32 v17, v17, v18
	v_cmp_gt_i32_e64 s2, s11, v10
	v_cvt_f32_i32_e32 v19, v19
	v_mul_f32_e32 v19, s24, v19
	v_cndmask_b32_e64 v18, 0, v19, s1
	v_max_f32_e32 v19, v7, v7
	v_fmac_f32_e32 v18, s25, v17
	v_max_f32_e32 v17, v19, v18
	v_cndmask_b32_e64 v18, 0, v18, s2
	v_cndmask_b32_e64 v7, v7, v17, s2
	ds_write_b32 v11, v18
	s_branch .LBB71_8
.LBB71_11:
	s_or_b32 exec_lo, exec_lo, s5
.LBB71_12:
	s_or_b32 exec_lo, exec_lo, s26
	v_xor_b32_e32 v1, 16, v4
	v_xor_b32_e32 v8, 8, v4
	v_max_f32_e32 v10, v7, v7
	v_cmp_lt_i32_e32 vcc_lo, v1, v6
	v_cndmask_b32_e32 v1, v4, v1, vcc_lo
	v_cmp_lt_i32_e32 vcc_lo, v8, v6
	v_lshlrev_b32_e32 v2, 2, v1
	ds_bpermute_b32 v1, v2, v7
	v_cndmask_b32_e32 v7, v4, v8, vcc_lo
	v_lshlrev_b32_e32 v7, 2, v7
	s_waitcnt lgkmcnt(0)
	v_max_f32_e32 v1, v1, v1
	v_max_f32_e32 v1, v10, v1
	v_xor_b32_e32 v10, 4, v4
	ds_bpermute_b32 v8, v7, v1
	v_cmp_lt_i32_e32 vcc_lo, v10, v6
	v_cndmask_b32_e32 v10, v4, v10, vcc_lo
	v_lshlrev_b32_e32 v12, 2, v10
	v_and_b32_e32 v10, 31, v0
	v_cmp_eq_u32_e32 vcc_lo, 0, v10
	s_waitcnt lgkmcnt(0)
	v_max_f32_e32 v8, v8, v8
	v_max_f32_e32 v1, v1, v8
	v_lshlrev_b32_e32 v8, 2, v9
	ds_bpermute_b32 v11, v12, v1
	s_and_saveexec_b32 s1, vcc_lo
	s_cbranch_execz .LBB71_14
; %bb.13:
	s_waitcnt lgkmcnt(0)
	v_max_f32_e32 v11, v11, v11
	v_max_f32_e32 v1, v1, v1
	;; [unrolled: 1-line block ×3, first 2 shown]
	ds_write_b32 v8, v1 offset:512
.LBB71_14:
	s_or_b32 exec_lo, exec_lo, s1
	v_cmp_gt_u32_e64 s1, 4, v10
	v_mov_b32_e32 v1, 0xff7fffff
	s_waitcnt lgkmcnt(0)
	v_lshlrev_b32_e32 v11, 2, v10
	s_barrier
	buffer_gl0_inv
	s_and_saveexec_b32 s2, s1
; %bb.15:
	ds_read_b32 v1, v11 offset:512
; %bb.16:
	s_or_b32 exec_lo, exec_lo, s2
	v_xor_b32_e32 v13, 2, v4
	v_xor_b32_e32 v15, 1, v4
	v_lshlrev_b32_e32 v5, 2, v5
	v_cmp_lt_i32_e64 s2, v13, v6
	v_cndmask_b32_e64 v13, v4, v13, s2
	v_cmp_lt_i32_e64 s2, v15, v6
	v_lshlrev_b32_e32 v13, 2, v13
	v_cndmask_b32_e64 v6, v4, v15, s2
	s_lshl_b32 s2, s12, 3
	s_min_i32 s4, s2, s11
	s_waitcnt lgkmcnt(0)
	ds_bpermute_b32 v14, v13, v1
	v_max_f32_e32 v1, v1, v1
	v_lshlrev_b32_e32 v6, 2, v6
	v_cmp_gt_i32_e64 s2, s4, v0
	s_waitcnt lgkmcnt(0)
	v_max_f32_e32 v14, v14, v14
	v_max_f32_e32 v1, v1, v14
	ds_bpermute_b32 v14, v6, v1
	s_waitcnt lgkmcnt(0)
	v_max_f32_e32 v14, v14, v14
	v_max_f32_e32 v1, v1, v14
	ds_bpermute_b32 v14, v5, v1
	v_mov_b32_e32 v5, 0
	v_lshl_add_u32 v1, v0, 2, 0x220
	s_and_saveexec_b32 s5, s2
	s_cbranch_execz .LBB71_20
; %bb.17:
	v_lshl_add_u32 v15, v0, 2, 0x220
	v_mov_b32_e32 v5, 0
	v_mov_b32_e32 v16, v0
	s_mov_b32 s15, 0
	.p2align	6
.LBB71_18:                              ; =>This Inner Loop Header: Depth=1
	ds_read_b32 v17, v15
	v_add_nc_u32_e32 v16, 0x80, v16
	v_cmp_le_i32_e64 s3, s4, v16
	s_or_b32 s15, s3, s15
	s_waitcnt lgkmcnt(0)
	v_sub_f32_e32 v17, v17, v14
	v_mul_f32_e32 v17, 0x3fb8aa3b, v17
	v_exp_f32_e32 v17, v17
	ds_write_b32 v15, v17
	v_add_f32_e32 v5, v5, v17
	v_add_nc_u32_e32 v15, 0x200, v15
	s_andn2_b32 exec_lo, exec_lo, s15
	s_cbranch_execnz .LBB71_18
; %bb.19:
	s_or_b32 exec_lo, exec_lo, s15
.LBB71_20:
	s_or_b32 exec_lo, exec_lo, s5
	ds_bpermute_b32 v2, v2, v5
	s_waitcnt lgkmcnt(0)
	v_add_f32_e32 v2, v5, v2
	ds_bpermute_b32 v5, v7, v2
	s_waitcnt lgkmcnt(0)
	v_add_f32_e32 v2, v2, v5
	ds_bpermute_b32 v5, v12, v2
	s_waitcnt lgkmcnt(0)
	v_add_f32_e32 v2, v2, v5
	ds_bpermute_b32 v5, v13, v2
	s_waitcnt lgkmcnt(0)
	v_add_f32_e32 v2, v2, v5
	ds_bpermute_b32 v5, v6, v2
	s_waitcnt lgkmcnt(0)
	v_add_f32_e32 v2, v2, v5
	s_and_saveexec_b32 s3, vcc_lo
; %bb.21:
	ds_write_b32 v8, v2 offset:528
; %bb.22:
	s_or_b32 exec_lo, exec_lo, s3
	s_waitcnt lgkmcnt(0)
	s_barrier
	buffer_gl0_inv
	s_and_saveexec_b32 s3, s1
; %bb.23:
	ds_read_b32 v2, v11 offset:528
; %bb.24:
	s_or_b32 exec_lo, exec_lo, s3
	s_waitcnt lgkmcnt(0)
	ds_bpermute_b32 v5, v13, v2
	v_lshlrev_b32_e32 v4, 2, v4
	v_and_b32_e32 v4, 0xffffff80, v4
	s_waitcnt lgkmcnt(0)
	v_add_f32_e32 v2, v2, v5
	ds_bpermute_b32 v5, v6, v2
	s_waitcnt lgkmcnt(0)
	v_add_f32_e32 v2, v2, v5
	ds_bpermute_b32 v2, v4, v2
	s_and_saveexec_b32 s1, s2
	s_cbranch_execz .LBB71_27
; %bb.25:
	s_waitcnt lgkmcnt(0)
	v_add_f32_e32 v2, 0x358637bd, v2
	s_mov_b32 s2, 0
	v_div_scale_f32 v4, null, v2, v2, 1.0
	v_div_scale_f32 v7, vcc_lo, 1.0, v2, 1.0
	v_rcp_f32_e32 v5, v4
	v_fma_f32 v6, -v4, v5, 1.0
	v_fmac_f32_e32 v5, v6, v5
	v_mul_f32_e32 v6, v7, v5
	v_fma_f32 v8, -v4, v6, v7
	v_fmac_f32_e32 v6, v8, v5
	v_fma_f32 v4, -v4, v6, v7
	v_div_fmas_f32 v4, v4, v5, v6
	v_div_fixup_f32 v2, v4, v2, 1.0
	v_mov_b32_e32 v4, v0
.LBB71_26:                              ; =>This Inner Loop Header: Depth=1
	ds_read_b32 v5, v1
	v_add_nc_u32_e32 v4, 0x80, v4
	v_cmp_le_i32_e32 vcc_lo, s4, v4
	s_or_b32 s2, vcc_lo, s2
	s_waitcnt lgkmcnt(0)
	v_mul_f32_e32 v5, v2, v5
	ds_write_b32 v1, v5
	v_add_nc_u32_e32 v1, 0x200, v1
	s_andn2_b32 exec_lo, exec_lo, s2
	s_cbranch_execnz .LBB71_26
.LBB71_27:
	s_or_b32 exec_lo, exec_lo, s1
	v_mov_b32_e32 v18, 0
	v_mov_b32_e32 v17, 0
	;; [unrolled: 1-line block ×8, first 2 shown]
	s_waitcnt lgkmcnt(0)
	s_barrier
	buffer_gl0_inv
	s_and_saveexec_b32 s2, s0
	s_cbranch_execz .LBB71_47
; %bb.28:
	s_ashr_i32 s15, s14, 31
	v_lshlrev_b32_e32 v1, 4, v10
	s_lshl_b64 s[0:1], s[14:15], 1
	v_mov_b32_e32 v19, 0
	s_add_u32 s0, s22, s0
	s_addc_u32 s1, s23, s1
	v_add_co_u32 v20, s0, s0, v1
	v_and_b32_e32 v1, 0x7c, v3
	v_add_co_ci_u32_e64 v21, null, s1, 0, s0
	s_lshl_b64 s[0:1], s[20:21], 2
	s_add_i32 s3, s12, -1
	s_add_u32 s0, s18, s0
	s_addc_u32 s1, s19, s1
	v_add_co_u32 v5, s0, s0, v1
	v_lshl_or_b32 v22, v9, 3, 7
	v_lshl_add_u32 v23, v9, 5, 0x220
	v_add_co_ci_u32_e64 v6, null, s1, 0, s0
	v_mov_b32_e32 v11, 0
	v_mov_b32_e32 v12, 0
	;; [unrolled: 1-line block ×9, first 2 shown]
	s_mov_b32 s5, s13
	s_mov_b32 s4, 0
	s_branch .LBB71_30
.LBB71_29:                              ;   in Loop: Header=BB71_30 Depth=1
	s_or_b32 exec_lo, exec_lo, s1
	v_lshlrev_b32_e32 v27, 16, v48
	v_lshlrev_b32_e32 v8, 16, v8
	;; [unrolled: 1-line block ×3, first 2 shown]
	v_add_f32_e32 v25, v49, v50
	v_add_f32_e32 v26, v46, v47
	v_and_or_b32 v1, 0xffff, v1, v27
	v_and_or_b32 v2, 0xffff, v2, v8
	;; [unrolled: 1-line block ×3, first 2 shown]
	;;#ASMSTART
	v_pk_mul_f16 v1, v33, v1;

	;;#ASMEND
	;;#ASMSTART
	v_pk_mul_f16 v2, v32, v2;

	;;#ASMEND
	;;#ASMSTART
	v_pk_mul_f16 v3, v34, v3;

	;;#ASMEND
	;;#ASMSTART
	v_pk_mul_f16 v4, v35, v4;

	;;#ASMEND
	;;#ASMSTART
	v_pk_add_f16 v1, v1, v2;

	;;#ASMEND
	;;#ASMSTART
	v_pk_add_f16 v1, v1, v3;

	;;#ASMEND
	;; [unrolled: 4-line block ×3, first 2 shown]
	v_and_b32_e32 v4, 0xffff, v1
	v_add_nc_u32_e32 v24, 4, v24
	v_lshrrev_b32_e32 v7, 16, v1
	;;#ASMSTART
	v_cvt_f32_f16 v4, v4;
	;;#ASMEND
	v_add_f32_e32 v12, v12, v25
	v_add_f32_e32 v13, v13, v26
	;; [unrolled: 1-line block ×7, first 2 shown]
	;;#ASMSTART
	v_cvt_f32_f16 v7, v7;
	;;#ASMEND
	v_add_f32_e32 v4, v4, v7
	v_cmp_le_i32_e32 vcc_lo, s12, v24
	v_add_co_u32 v5, s0, v5, 16
	v_add_f32_e32 v14, v14, v25
	v_add_f32_e32 v15, v15, v26
	;; [unrolled: 1-line block ×6, first 2 shown]
	v_add_nc_u32_e32 v22, 32, v22
	v_add_nc_u32_e32 v23, 0x80, v23
	v_add_co_ci_u32_e64 v6, null, 0, v6, s0
	s_or_b32 s4, vcc_lo, s4
	s_andn2_b32 exec_lo, exec_lo, s4
	s_cbranch_execz .LBB71_46
.LBB71_30:                              ; =>This Inner Loop Header: Depth=1
	global_load_dword v7, v[5:6], off
	ds_read2_b64 v[1:4], v23 offset1:1
	ds_read2_b64 v[25:28], v23 offset0:2 offset1:3
	v_add_nc_u32_e32 v29, -7, v22
	v_cmp_eq_u32_e64 s0, s3, v24
	v_add_nc_u32_e32 v31, -6, v22
	v_add_nc_u32_e32 v30, -1, v22
	s_waitcnt lgkmcnt(1)
	;;#ASMSTART
	v_cvt_f16_f32 v33, v1;

	;;#ASMEND
	;;#ASMSTART
	v_cvt_f16_f32 v32, v2;

	;;#ASMEND
	;; [unrolled: 4-line block ×4, first 2 shown]
	s_waitcnt lgkmcnt(0)
	;;#ASMSTART
	v_cvt_f16_f32 v39, v25;

	;;#ASMEND
	;;#ASMSTART
	v_cvt_f16_f32 v34, v26;

	;;#ASMEND
	;; [unrolled: 4-line block ×4, first 2 shown]
	v_add_nc_u32_e32 v28, -5, v22
	v_add_nc_u32_e32 v27, -4, v22
	;; [unrolled: 1-line block ×4, first 2 shown]
	s_waitcnt vmcnt(0)
	v_mad_i64_i32 v[7:8], null, v7, s5, 0
	v_lshlrev_b64 v[7:8], 1, v[7:8]
	v_add_co_u32 v7, vcc_lo, v20, v7
	v_add_co_ci_u32_e64 v8, null, v21, v8, vcc_lo
	global_load_dwordx4 v[1:4], v[7:8], off
	s_waitcnt vmcnt(0)
	v_lshrrev_b32_e32 v42, 16, v1
	v_lshrrev_b32_e32 v41, 16, v2
	;; [unrolled: 1-line block ×3, first 2 shown]
	s_and_saveexec_b32 s13, s0
	s_cbranch_execz .LBB71_32
; %bb.31:                               ;   in Loop: Header=BB71_30 Depth=1
	v_cmp_gt_i32_e32 vcc_lo, s11, v29
	v_and_b32_e32 v43, 0xffff0000, v4
	v_cmp_gt_i32_e64 s1, s11, v28
	v_cndmask_b32_e32 v1, 0, v1, vcc_lo
	v_cmp_gt_i32_e32 vcc_lo, s11, v31
	v_cndmask_b32_e64 v2, 0, v2, s1
	v_cmp_gt_i32_e64 s1, s11, v27
	v_cndmask_b32_e32 v42, 0, v42, vcc_lo
	v_cmp_gt_i32_e32 vcc_lo, s11, v30
	v_cndmask_b32_e64 v41, 0, v41, s1
	v_cndmask_b32_sdwa v4, v19, v4, vcc_lo dst_sel:DWORD dst_unused:UNUSED_PAD src0_sel:DWORD src1_sel:WORD_0
	v_cmp_gt_i32_e32 vcc_lo, s11, v22
	v_cndmask_b32_e32 v43, 0, v43, vcc_lo
	v_cmp_gt_i32_e32 vcc_lo, s11, v26
	v_or_b32_e32 v4, v4, v43
	v_cndmask_b32_e32 v3, 0, v3, vcc_lo
	v_cmp_gt_i32_e32 vcc_lo, s11, v25
	v_cndmask_b32_e32 v40, 0, v40, vcc_lo
.LBB71_32:                              ;   in Loop: Header=BB71_30 Depth=1
	s_or_b32 exec_lo, exec_lo, s13
	v_and_b32_e32 v33, 0xffff, v33
	v_and_b32_e32 v38, 0xffff, v38
	v_lshlrev_b32_e32 v42, 16, v42
	v_and_b32_e32 v39, 0xffff, v39
	v_and_b32_e32 v37, 0xffff, v37
	v_lshl_or_b32 v33, v32, 16, v33
	v_lshl_or_b32 v32, v36, 16, v38
	v_lshlrev_b32_e32 v36, 16, v41
	v_lshlrev_b32_e32 v38, 16, v40
	v_and_or_b32 v1, 0xffff, v1, v42
	;;#ASMSTART
	v_pk_mul_f16 v1, v33, v1;

	;;#ASMEND
	v_lshl_or_b32 v34, v34, 16, v39
	v_and_or_b32 v2, 0xffff, v2, v36
	v_and_or_b32 v3, 0xffff, v3, v38
	v_lshl_or_b32 v35, v35, 16, v37
	;;#ASMSTART
	v_pk_mul_f16 v2, v32, v2;

	;;#ASMEND
	;;#ASMSTART
	v_pk_mul_f16 v3, v34, v3;

	;;#ASMEND
	;; [unrolled: 4-line block ×3, first 2 shown]
	;;#ASMSTART
	v_pk_add_f16 v1, v1, v2;

	;;#ASMEND
	;;#ASMSTART
	v_pk_add_f16 v1, v1, v3;

	;;#ASMEND
	;; [unrolled: 4-line block ×3, first 2 shown]
	v_and_b32_e32 v2, 0xffff, v1
	v_lshrrev_b32_e32 v1, 16, v1
	;;#ASMSTART
	v_cvt_f32_f16 v36, v2;
	;;#ASMEND
	;;#ASMSTART
	v_cvt_f32_f16 v37, v1;
	;;#ASMEND
	global_load_dwordx4 v[1:4], v[7:8], off offset:512
	s_waitcnt vmcnt(0)
	v_lshrrev_b32_e32 v40, 16, v1
	v_lshrrev_b32_e32 v39, 16, v2
	;; [unrolled: 1-line block ×3, first 2 shown]
	s_and_saveexec_b32 s13, s0
	s_cbranch_execz .LBB71_34
; %bb.33:                               ;   in Loop: Header=BB71_30 Depth=1
	v_cmp_gt_i32_e32 vcc_lo, s11, v29
	v_and_b32_e32 v41, 0xffff0000, v4
	v_cmp_gt_i32_e64 s1, s11, v28
	v_cndmask_b32_e32 v1, 0, v1, vcc_lo
	v_cmp_gt_i32_e32 vcc_lo, s11, v31
	v_cndmask_b32_e64 v2, 0, v2, s1
	v_cmp_gt_i32_e64 s1, s11, v27
	v_cndmask_b32_e32 v40, 0, v40, vcc_lo
	v_cmp_gt_i32_e32 vcc_lo, s11, v30
	v_cndmask_b32_e64 v39, 0, v39, s1
	v_cndmask_b32_sdwa v4, v19, v4, vcc_lo dst_sel:DWORD dst_unused:UNUSED_PAD src0_sel:DWORD src1_sel:WORD_0
	v_cmp_gt_i32_e32 vcc_lo, s11, v22
	v_cndmask_b32_e32 v41, 0, v41, vcc_lo
	v_cmp_gt_i32_e32 vcc_lo, s11, v26
	v_or_b32_e32 v4, v4, v41
	v_cndmask_b32_e32 v3, 0, v3, vcc_lo
	v_cmp_gt_i32_e32 vcc_lo, s11, v25
	v_cndmask_b32_e32 v38, 0, v38, vcc_lo
.LBB71_34:                              ;   in Loop: Header=BB71_30 Depth=1
	s_or_b32 exec_lo, exec_lo, s13
	v_lshlrev_b32_e32 v40, 16, v40
	v_lshlrev_b32_e32 v39, 16, v39
	;; [unrolled: 1-line block ×3, first 2 shown]
	v_and_or_b32 v1, 0xffff, v1, v40
	v_and_or_b32 v2, 0xffff, v2, v39
	;; [unrolled: 1-line block ×3, first 2 shown]
	;;#ASMSTART
	v_pk_mul_f16 v1, v33, v1;

	;;#ASMEND
	;;#ASMSTART
	v_pk_mul_f16 v2, v32, v2;

	;;#ASMEND
	;; [unrolled: 4-line block ×4, first 2 shown]
	;;#ASMSTART
	v_pk_add_f16 v1, v1, v2;

	;;#ASMEND
	;;#ASMSTART
	v_pk_add_f16 v1, v1, v3;

	;;#ASMEND
	;; [unrolled: 4-line block ×3, first 2 shown]
	v_and_b32_e32 v2, 0xffff, v1
	v_lshrrev_b32_e32 v1, 16, v1
	;;#ASMSTART
	v_cvt_f32_f16 v38, v2;
	;;#ASMEND
	;;#ASMSTART
	v_cvt_f32_f16 v39, v1;
	;;#ASMEND
	global_load_dwordx4 v[1:4], v[7:8], off offset:1024
	s_waitcnt vmcnt(0)
	v_lshrrev_b32_e32 v42, 16, v1
	v_lshrrev_b32_e32 v41, 16, v2
	;; [unrolled: 1-line block ×3, first 2 shown]
	s_and_saveexec_b32 s13, s0
	s_cbranch_execz .LBB71_36
; %bb.35:                               ;   in Loop: Header=BB71_30 Depth=1
	v_cmp_gt_i32_e32 vcc_lo, s11, v29
	v_and_b32_e32 v43, 0xffff0000, v4
	v_cmp_gt_i32_e64 s1, s11, v28
	v_cndmask_b32_e32 v1, 0, v1, vcc_lo
	v_cmp_gt_i32_e32 vcc_lo, s11, v31
	v_cndmask_b32_e64 v2, 0, v2, s1
	v_cmp_gt_i32_e64 s1, s11, v27
	v_cndmask_b32_e32 v42, 0, v42, vcc_lo
	v_cmp_gt_i32_e32 vcc_lo, s11, v30
	v_cndmask_b32_e64 v41, 0, v41, s1
	v_cndmask_b32_sdwa v4, v19, v4, vcc_lo dst_sel:DWORD dst_unused:UNUSED_PAD src0_sel:DWORD src1_sel:WORD_0
	v_cmp_gt_i32_e32 vcc_lo, s11, v22
	v_cndmask_b32_e32 v43, 0, v43, vcc_lo
	v_cmp_gt_i32_e32 vcc_lo, s11, v26
	v_or_b32_e32 v4, v4, v43
	v_cndmask_b32_e32 v3, 0, v3, vcc_lo
	v_cmp_gt_i32_e32 vcc_lo, s11, v25
	v_cndmask_b32_e32 v40, 0, v40, vcc_lo
.LBB71_36:                              ;   in Loop: Header=BB71_30 Depth=1
	s_or_b32 exec_lo, exec_lo, s13
	v_lshlrev_b32_e32 v42, 16, v42
	v_lshlrev_b32_e32 v41, 16, v41
	;; [unrolled: 1-line block ×3, first 2 shown]
	v_and_or_b32 v1, 0xffff, v1, v42
	v_and_or_b32 v2, 0xffff, v2, v41
	;; [unrolled: 1-line block ×3, first 2 shown]
	;;#ASMSTART
	v_pk_mul_f16 v1, v33, v1;

	;;#ASMEND
	;;#ASMSTART
	v_pk_mul_f16 v2, v32, v2;

	;;#ASMEND
	;; [unrolled: 4-line block ×4, first 2 shown]
	;;#ASMSTART
	v_pk_add_f16 v1, v1, v2;

	;;#ASMEND
	;;#ASMSTART
	v_pk_add_f16 v1, v1, v3;

	;;#ASMEND
	;; [unrolled: 4-line block ×3, first 2 shown]
	v_and_b32_e32 v2, 0xffff, v1
	v_lshrrev_b32_e32 v1, 16, v1
	;;#ASMSTART
	v_cvt_f32_f16 v40, v2;
	;;#ASMEND
	;;#ASMSTART
	v_cvt_f32_f16 v41, v1;
	;;#ASMEND
	global_load_dwordx4 v[1:4], v[7:8], off offset:1536
	s_waitcnt vmcnt(0)
	v_lshrrev_b32_e32 v44, 16, v1
	v_lshrrev_b32_e32 v43, 16, v2
	v_lshrrev_b32_e32 v42, 16, v3
	s_and_saveexec_b32 s13, s0
	s_cbranch_execz .LBB71_38
; %bb.37:                               ;   in Loop: Header=BB71_30 Depth=1
	v_cmp_gt_i32_e32 vcc_lo, s11, v29
	v_and_b32_e32 v45, 0xffff0000, v4
	v_cmp_gt_i32_e64 s1, s11, v28
	v_cndmask_b32_e32 v1, 0, v1, vcc_lo
	v_cmp_gt_i32_e32 vcc_lo, s11, v31
	v_cndmask_b32_e64 v2, 0, v2, s1
	v_cmp_gt_i32_e64 s1, s11, v27
	v_cndmask_b32_e32 v44, 0, v44, vcc_lo
	v_cmp_gt_i32_e32 vcc_lo, s11, v30
	v_cndmask_b32_e64 v43, 0, v43, s1
	v_cndmask_b32_sdwa v4, v19, v4, vcc_lo dst_sel:DWORD dst_unused:UNUSED_PAD src0_sel:DWORD src1_sel:WORD_0
	v_cmp_gt_i32_e32 vcc_lo, s11, v22
	v_cndmask_b32_e32 v45, 0, v45, vcc_lo
	v_cmp_gt_i32_e32 vcc_lo, s11, v26
	v_or_b32_e32 v4, v4, v45
	v_cndmask_b32_e32 v3, 0, v3, vcc_lo
	v_cmp_gt_i32_e32 vcc_lo, s11, v25
	v_cndmask_b32_e32 v42, 0, v42, vcc_lo
.LBB71_38:                              ;   in Loop: Header=BB71_30 Depth=1
	s_or_b32 exec_lo, exec_lo, s13
	v_lshlrev_b32_e32 v44, 16, v44
	v_lshlrev_b32_e32 v43, 16, v43
	;; [unrolled: 1-line block ×3, first 2 shown]
	v_add_co_u32 v7, vcc_lo, 0x800, v7
	v_and_or_b32 v1, 0xffff, v1, v44
	v_and_or_b32 v2, 0xffff, v2, v43
	;; [unrolled: 1-line block ×3, first 2 shown]
	;;#ASMSTART
	v_pk_mul_f16 v1, v33, v1;

	;;#ASMEND
	v_add_co_ci_u32_e64 v8, null, 0, v8, vcc_lo
	;;#ASMSTART
	v_pk_mul_f16 v2, v32, v2;

	;;#ASMEND
	;;#ASMSTART
	v_pk_mul_f16 v3, v34, v3;

	;;#ASMEND
	;; [unrolled: 4-line block ×3, first 2 shown]
	;;#ASMSTART
	v_pk_add_f16 v1, v1, v2;

	;;#ASMEND
	;;#ASMSTART
	v_pk_add_f16 v1, v1, v3;

	;;#ASMEND
	;; [unrolled: 4-line block ×3, first 2 shown]
	v_lshrrev_b32_e32 v2, 16, v1
	v_and_b32_e32 v1, 0xffff, v1
	;;#ASMSTART
	v_cvt_f32_f16 v42, v1;
	;;#ASMEND
	;;#ASMSTART
	v_cvt_f32_f16 v43, v2;
	;;#ASMEND
	global_load_dwordx4 v[1:4], v[7:8], off
	s_waitcnt vmcnt(0)
	v_lshrrev_b32_e32 v46, 16, v1
	v_lshrrev_b32_e32 v45, 16, v2
	;; [unrolled: 1-line block ×3, first 2 shown]
	s_and_saveexec_b32 s13, s0
	s_cbranch_execz .LBB71_40
; %bb.39:                               ;   in Loop: Header=BB71_30 Depth=1
	v_cmp_gt_i32_e32 vcc_lo, s11, v29
	v_and_b32_e32 v47, 0xffff0000, v4
	v_cmp_gt_i32_e64 s1, s11, v28
	v_cndmask_b32_e32 v1, 0, v1, vcc_lo
	v_cmp_gt_i32_e32 vcc_lo, s11, v31
	v_cndmask_b32_e64 v2, 0, v2, s1
	v_cmp_gt_i32_e64 s1, s11, v27
	v_cndmask_b32_e32 v46, 0, v46, vcc_lo
	v_cmp_gt_i32_e32 vcc_lo, s11, v30
	v_cndmask_b32_e64 v45, 0, v45, s1
	v_cndmask_b32_sdwa v4, v19, v4, vcc_lo dst_sel:DWORD dst_unused:UNUSED_PAD src0_sel:DWORD src1_sel:WORD_0
	v_cmp_gt_i32_e32 vcc_lo, s11, v22
	v_cndmask_b32_e32 v47, 0, v47, vcc_lo
	v_cmp_gt_i32_e32 vcc_lo, s11, v26
	v_or_b32_e32 v4, v4, v47
	v_cndmask_b32_e32 v3, 0, v3, vcc_lo
	v_cmp_gt_i32_e32 vcc_lo, s11, v25
	v_cndmask_b32_e32 v44, 0, v44, vcc_lo
.LBB71_40:                              ;   in Loop: Header=BB71_30 Depth=1
	s_or_b32 exec_lo, exec_lo, s13
	v_lshlrev_b32_e32 v46, 16, v46
	v_lshlrev_b32_e32 v45, 16, v45
	;; [unrolled: 1-line block ×3, first 2 shown]
	v_and_or_b32 v1, 0xffff, v1, v46
	v_and_or_b32 v2, 0xffff, v2, v45
	;; [unrolled: 1-line block ×3, first 2 shown]
	;;#ASMSTART
	v_pk_mul_f16 v1, v33, v1;

	;;#ASMEND
	;;#ASMSTART
	v_pk_mul_f16 v2, v32, v2;

	;;#ASMEND
	;; [unrolled: 4-line block ×4, first 2 shown]
	;;#ASMSTART
	v_pk_add_f16 v1, v1, v2;

	;;#ASMEND
	;;#ASMSTART
	v_pk_add_f16 v1, v1, v3;

	;;#ASMEND
	;; [unrolled: 4-line block ×3, first 2 shown]
	v_and_b32_e32 v2, 0xffff, v1
	v_lshrrev_b32_e32 v1, 16, v1
	;;#ASMSTART
	v_cvt_f32_f16 v44, v2;
	;;#ASMEND
	;;#ASMSTART
	v_cvt_f32_f16 v45, v1;
	;;#ASMEND
	global_load_dwordx4 v[1:4], v[7:8], off offset:512
	s_waitcnt vmcnt(0)
	v_lshrrev_b32_e32 v48, 16, v1
	v_lshrrev_b32_e32 v47, 16, v2
	;; [unrolled: 1-line block ×3, first 2 shown]
	s_and_saveexec_b32 s13, s0
	s_cbranch_execz .LBB71_42
; %bb.41:                               ;   in Loop: Header=BB71_30 Depth=1
	v_cmp_gt_i32_e32 vcc_lo, s11, v29
	v_and_b32_e32 v49, 0xffff0000, v4
	v_cmp_gt_i32_e64 s1, s11, v28
	v_cndmask_b32_e32 v1, 0, v1, vcc_lo
	v_cmp_gt_i32_e32 vcc_lo, s11, v31
	v_cndmask_b32_e64 v2, 0, v2, s1
	v_cmp_gt_i32_e64 s1, s11, v27
	v_cndmask_b32_e32 v48, 0, v48, vcc_lo
	v_cmp_gt_i32_e32 vcc_lo, s11, v30
	v_cndmask_b32_e64 v47, 0, v47, s1
	v_cndmask_b32_sdwa v4, v19, v4, vcc_lo dst_sel:DWORD dst_unused:UNUSED_PAD src0_sel:DWORD src1_sel:WORD_0
	v_cmp_gt_i32_e32 vcc_lo, s11, v22
	v_cndmask_b32_e32 v49, 0, v49, vcc_lo
	v_cmp_gt_i32_e32 vcc_lo, s11, v26
	v_or_b32_e32 v4, v4, v49
	v_cndmask_b32_e32 v3, 0, v3, vcc_lo
	v_cmp_gt_i32_e32 vcc_lo, s11, v25
	v_cndmask_b32_e32 v46, 0, v46, vcc_lo
.LBB71_42:                              ;   in Loop: Header=BB71_30 Depth=1
	s_or_b32 exec_lo, exec_lo, s13
	v_lshlrev_b32_e32 v48, 16, v48
	v_lshlrev_b32_e32 v47, 16, v47
	;; [unrolled: 1-line block ×3, first 2 shown]
	v_and_or_b32 v1, 0xffff, v1, v48
	v_and_or_b32 v2, 0xffff, v2, v47
	v_and_or_b32 v3, 0xffff, v3, v46
	;;#ASMSTART
	v_pk_mul_f16 v1, v33, v1;

	;;#ASMEND
	;;#ASMSTART
	v_pk_mul_f16 v2, v32, v2;

	;;#ASMEND
	;; [unrolled: 4-line block ×4, first 2 shown]
	;;#ASMSTART
	v_pk_add_f16 v1, v1, v2;

	;;#ASMEND
	;;#ASMSTART
	v_pk_add_f16 v1, v1, v3;

	;;#ASMEND
	;; [unrolled: 4-line block ×3, first 2 shown]
	v_and_b32_e32 v2, 0xffff, v1
	v_lshrrev_b32_e32 v1, 16, v1
	;;#ASMSTART
	v_cvt_f32_f16 v46, v2;
	;;#ASMEND
	;;#ASMSTART
	v_cvt_f32_f16 v47, v1;
	;;#ASMEND
	global_load_dwordx4 v[1:4], v[7:8], off offset:1024
	s_waitcnt vmcnt(0)
	v_lshrrev_b32_e32 v50, 16, v1
	v_lshrrev_b32_e32 v49, 16, v2
	;; [unrolled: 1-line block ×3, first 2 shown]
	s_and_saveexec_b32 s13, s0
	s_cbranch_execz .LBB71_44
; %bb.43:                               ;   in Loop: Header=BB71_30 Depth=1
	v_cmp_gt_i32_e32 vcc_lo, s11, v29
	v_and_b32_e32 v51, 0xffff0000, v4
	v_cmp_gt_i32_e64 s1, s11, v28
	v_cndmask_b32_e32 v1, 0, v1, vcc_lo
	v_cmp_gt_i32_e32 vcc_lo, s11, v31
	v_cndmask_b32_e64 v2, 0, v2, s1
	v_cmp_gt_i32_e64 s1, s11, v27
	v_cndmask_b32_e32 v50, 0, v50, vcc_lo
	v_cmp_gt_i32_e32 vcc_lo, s11, v30
	v_cndmask_b32_e64 v49, 0, v49, s1
	v_cndmask_b32_sdwa v4, v19, v4, vcc_lo dst_sel:DWORD dst_unused:UNUSED_PAD src0_sel:DWORD src1_sel:WORD_0
	v_cmp_gt_i32_e32 vcc_lo, s11, v22
	v_cndmask_b32_e32 v51, 0, v51, vcc_lo
	v_cmp_gt_i32_e32 vcc_lo, s11, v26
	v_or_b32_e32 v4, v4, v51
	v_cndmask_b32_e32 v3, 0, v3, vcc_lo
	v_cmp_gt_i32_e32 vcc_lo, s11, v25
	v_cndmask_b32_e32 v48, 0, v48, vcc_lo
.LBB71_44:                              ;   in Loop: Header=BB71_30 Depth=1
	s_or_b32 exec_lo, exec_lo, s13
	v_lshlrev_b32_e32 v50, 16, v50
	v_lshlrev_b32_e32 v49, 16, v49
	;; [unrolled: 1-line block ×3, first 2 shown]
	v_and_or_b32 v1, 0xffff, v1, v50
	v_and_or_b32 v2, 0xffff, v2, v49
	;; [unrolled: 1-line block ×3, first 2 shown]
	;;#ASMSTART
	v_pk_mul_f16 v1, v33, v1;

	;;#ASMEND
	;;#ASMSTART
	v_pk_mul_f16 v2, v32, v2;

	;;#ASMEND
	;; [unrolled: 4-line block ×4, first 2 shown]
	;;#ASMSTART
	v_pk_add_f16 v1, v1, v2;

	;;#ASMEND
	;;#ASMSTART
	v_pk_add_f16 v1, v1, v3;

	;;#ASMEND
	;; [unrolled: 4-line block ×3, first 2 shown]
	v_and_b32_e32 v2, 0xffff, v1
	v_lshrrev_b32_e32 v1, 16, v1
	;;#ASMSTART
	v_cvt_f32_f16 v49, v2;
	;;#ASMEND
	;;#ASMSTART
	v_cvt_f32_f16 v50, v1;
	;;#ASMEND
	global_load_dwordx4 v[1:4], v[7:8], off offset:1536
	s_waitcnt vmcnt(0)
	v_lshrrev_b32_e32 v48, 16, v1
	v_lshrrev_b32_e32 v8, 16, v2
	v_lshrrev_b32_e32 v7, 16, v3
	s_and_saveexec_b32 s1, s0
	s_cbranch_execz .LBB71_29
; %bb.45:                               ;   in Loop: Header=BB71_30 Depth=1
	v_cmp_gt_i32_e32 vcc_lo, s11, v29
	v_cmp_gt_i32_e64 s0, s11, v28
	v_cndmask_b32_e32 v1, 0, v1, vcc_lo
	v_cmp_gt_i32_e32 vcc_lo, s11, v31
	v_cndmask_b32_e64 v2, 0, v2, s0
	v_cmp_gt_i32_e64 s0, s11, v27
	v_and_b32_e32 v27, 0xffff0000, v4
	v_cndmask_b32_e32 v48, 0, v48, vcc_lo
	v_cmp_gt_i32_e32 vcc_lo, s11, v30
	v_cndmask_b32_e64 v8, 0, v8, s0
	v_cndmask_b32_sdwa v4, v19, v4, vcc_lo dst_sel:DWORD dst_unused:UNUSED_PAD src0_sel:DWORD src1_sel:WORD_0
	v_cmp_gt_i32_e32 vcc_lo, s11, v22
	v_cndmask_b32_e32 v27, 0, v27, vcc_lo
	v_cmp_gt_i32_e32 vcc_lo, s11, v26
	v_or_b32_e32 v4, v4, v27
	v_cndmask_b32_e32 v3, 0, v3, vcc_lo
	v_cmp_gt_i32_e32 vcc_lo, s11, v25
	v_cndmask_b32_e32 v7, 0, v7, vcc_lo
	s_branch .LBB71_29
.LBB71_46:
	s_or_b32 exec_lo, exec_lo, s4
.LBB71_47:
	s_or_b32 exec_lo, exec_lo, s2
	v_lshl_add_u32 v2, v10, 2, 0x220
	v_and_b32_e32 v3, 0x3c0, v0
	s_mov_b32 s0, exec_lo
	s_barrier
	v_lshl_add_u32 v1, v9, 10, v2
	buffer_gl0_inv
	v_cmpx_eq_u32_e32 64, v3
	s_cbranch_execz .LBB71_49
; %bb.48:
	v_add_nc_u32_e32 v3, 0xfffff800, v1
	v_add_nc_u32_e32 v4, 0xfffff880, v1
	;; [unrolled: 1-line block ×5, first 2 shown]
	ds_write_b32 v3, v18
	ds_write_b32 v4, v17
	;; [unrolled: 1-line block ×3, first 2 shown]
	v_add_nc_u32_e32 v3, 0xfffff980, v1
	v_add_nc_u32_e32 v4, 0xfffffa00, v1
	;; [unrolled: 1-line block ×3, first 2 shown]
	ds_write_b32 v3, v15
	ds_write_b32 v4, v14
	;; [unrolled: 1-line block ×5, first 2 shown]
.LBB71_49:
	s_or_b32 exec_lo, exec_lo, s0
	s_mov_b32 s0, exec_lo
	s_waitcnt lgkmcnt(0)
	s_barrier
	buffer_gl0_inv
	v_cmpx_gt_u32_e32 64, v0
	s_cbranch_execz .LBB71_51
; %bb.50:
	ds_read2_b32 v[3:4], v1 offset1:32
	ds_read2_b32 v[5:6], v1 offset0:64 offset1:96
	ds_read2_b32 v[7:8], v1 offset0:128 offset1:160
	;; [unrolled: 1-line block ×3, first 2 shown]
	s_waitcnt lgkmcnt(3)
	v_add_f32_e32 v18, v18, v3
	v_add_f32_e32 v17, v17, v4
	s_waitcnt lgkmcnt(2)
	v_add_f32_e32 v16, v16, v5
	v_add_f32_e32 v15, v15, v6
	;; [unrolled: 3-line block ×4, first 2 shown]
.LBB71_51:
	s_or_b32 exec_lo, exec_lo, s0
	v_and_b32_e32 v3, 0x3e0, v0
	s_mov_b32 s0, exec_lo
	s_barrier
	buffer_gl0_inv
	v_cmpx_eq_u32_e32 32, v3
	s_cbranch_execz .LBB71_53
; %bb.52:
	ds_write2_b32 v2, v18, v17 offset1:32
	ds_write2_b32 v2, v16, v15 offset0:64 offset1:96
	ds_write2_b32 v2, v14, v13 offset0:128 offset1:160
	;; [unrolled: 1-line block ×3, first 2 shown]
.LBB71_53:
	s_or_b32 exec_lo, exec_lo, s0
	v_cmp_gt_u32_e32 vcc_lo, 32, v0
	s_waitcnt lgkmcnt(0)
	s_barrier
	buffer_gl0_inv
	s_and_saveexec_b32 s0, vcc_lo
	s_cbranch_execz .LBB71_55
; %bb.54:
	ds_read2_b32 v[2:3], v1 offset1:32
	ds_read2_b32 v[4:5], v1 offset0:64 offset1:96
	ds_read2_b32 v[6:7], v1 offset0:128 offset1:160
	ds_read2_b32 v[8:9], v1 offset0:192 offset1:224
	s_waitcnt lgkmcnt(3)
	v_add_f32_e32 v18, v18, v2
	v_add_f32_e32 v17, v17, v3
	s_waitcnt lgkmcnt(2)
	v_add_f32_e32 v16, v16, v4
	v_add_f32_e32 v15, v15, v5
	;; [unrolled: 3-line block ×4, first 2 shown]
.LBB71_55:
	s_or_b32 exec_lo, exec_lo, s0
	s_barrier
	buffer_gl0_inv
	s_and_saveexec_b32 s0, vcc_lo
	s_cbranch_execz .LBB71_57
; %bb.56:
	s_mul_i32 s0, s10, s7
	s_mul_i32 s2, s7, s6
	;; [unrolled: 1-line block ×3, first 2 shown]
	v_lshlrev_b32_e32 v0, 1, v0
	s_lshl_b32 s0, s0, 8
	;;#ASMSTART
	v_cvt_f16_f32 v1, v18;

	;;#ASMEND
	s_ashr_i32 s1, s0, 31
	s_lshl_b64 s[0:1], s[0:1], 1
	s_add_u32 s4, s16, s0
	s_addc_u32 s5, s17, s1
	s_ashr_i32 s3, s2, 31
	s_lshl_b64 s[0:1], s[2:3], 1
	s_add_u32 s2, s4, s0
	s_addc_u32 s3, s5, s1
	s_lshl_b32 s0, s8, 8
	s_ashr_i32 s1, s0, 31
	s_lshl_b64 s[0:1], s[0:1], 1
	s_add_u32 s0, s2, s0
	s_addc_u32 s1, s3, s1
	global_store_short v0, v1, s[0:1]
	;;#ASMSTART
	v_cvt_f16_f32 v1, v17;

	;;#ASMEND
	global_store_short v0, v1, s[0:1] offset:64
	;;#ASMSTART
	v_cvt_f16_f32 v1, v16;

	;;#ASMEND
	global_store_short v0, v1, s[0:1] offset:128
	;; [unrolled: 5-line block ×7, first 2 shown]
.LBB71_57:
	s_endpgm
	.section	.rodata,"a",@progbits
	.p2align	6, 0x0
	.amdhsa_kernel _ZN4vllm25paged_attention_v1_kernelIttLi256ELi8ELi128ELNS_18Fp8KVCacheDataTypeE0ELb0EEEvPT_PKS2_PKT0_S8_ifPKiSA_iPKfiiiSC_SC_iiiii
		.amdhsa_group_segment_fixed_size 544
		.amdhsa_private_segment_fixed_size 0
		.amdhsa_kernarg_size 384
		.amdhsa_user_sgpr_count 6
		.amdhsa_user_sgpr_private_segment_buffer 1
		.amdhsa_user_sgpr_dispatch_ptr 0
		.amdhsa_user_sgpr_queue_ptr 0
		.amdhsa_user_sgpr_kernarg_segment_ptr 1
		.amdhsa_user_sgpr_dispatch_id 0
		.amdhsa_user_sgpr_flat_scratch_init 0
		.amdhsa_user_sgpr_private_segment_size 0
		.amdhsa_wavefront_size32 1
		.amdhsa_uses_dynamic_stack 0
		.amdhsa_system_sgpr_private_segment_wavefront_offset 0
		.amdhsa_system_sgpr_workgroup_id_x 1
		.amdhsa_system_sgpr_workgroup_id_y 1
		.amdhsa_system_sgpr_workgroup_id_z 1
		.amdhsa_system_sgpr_workgroup_info 0
		.amdhsa_system_vgpr_workitem_id 0
		.amdhsa_next_free_vgpr 81
		.amdhsa_next_free_sgpr 27
		.amdhsa_reserve_vcc 1
		.amdhsa_reserve_flat_scratch 0
		.amdhsa_float_round_mode_32 0
		.amdhsa_float_round_mode_16_64 0
		.amdhsa_float_denorm_mode_32 3
		.amdhsa_float_denorm_mode_16_64 3
		.amdhsa_dx10_clamp 1
		.amdhsa_ieee_mode 1
		.amdhsa_fp16_overflow 0
		.amdhsa_workgroup_processor_mode 1
		.amdhsa_memory_ordered 1
		.amdhsa_forward_progress 1
		.amdhsa_shared_vgpr_count 0
		.amdhsa_exception_fp_ieee_invalid_op 0
		.amdhsa_exception_fp_denorm_src 0
		.amdhsa_exception_fp_ieee_div_zero 0
		.amdhsa_exception_fp_ieee_overflow 0
		.amdhsa_exception_fp_ieee_underflow 0
		.amdhsa_exception_fp_ieee_inexact 0
		.amdhsa_exception_int_div_zero 0
	.end_amdhsa_kernel
	.section	.text._ZN4vllm25paged_attention_v1_kernelIttLi256ELi8ELi128ELNS_18Fp8KVCacheDataTypeE0ELb0EEEvPT_PKS2_PKT0_S8_ifPKiSA_iPKfiiiSC_SC_iiiii,"axG",@progbits,_ZN4vllm25paged_attention_v1_kernelIttLi256ELi8ELi128ELNS_18Fp8KVCacheDataTypeE0ELb0EEEvPT_PKS2_PKT0_S8_ifPKiSA_iPKfiiiSC_SC_iiiii,comdat
.Lfunc_end71:
	.size	_ZN4vllm25paged_attention_v1_kernelIttLi256ELi8ELi128ELNS_18Fp8KVCacheDataTypeE0ELb0EEEvPT_PKS2_PKT0_S8_ifPKiSA_iPKfiiiSC_SC_iiiii, .Lfunc_end71-_ZN4vllm25paged_attention_v1_kernelIttLi256ELi8ELi128ELNS_18Fp8KVCacheDataTypeE0ELb0EEEvPT_PKS2_PKT0_S8_ifPKiSA_iPKfiiiSC_SC_iiiii
                                        ; -- End function
	.set _ZN4vllm25paged_attention_v1_kernelIttLi256ELi8ELi128ELNS_18Fp8KVCacheDataTypeE0ELb0EEEvPT_PKS2_PKT0_S8_ifPKiSA_iPKfiiiSC_SC_iiiii.num_vgpr, 81
	.set _ZN4vllm25paged_attention_v1_kernelIttLi256ELi8ELi128ELNS_18Fp8KVCacheDataTypeE0ELb0EEEvPT_PKS2_PKT0_S8_ifPKiSA_iPKfiiiSC_SC_iiiii.num_agpr, 0
	.set _ZN4vllm25paged_attention_v1_kernelIttLi256ELi8ELi128ELNS_18Fp8KVCacheDataTypeE0ELb0EEEvPT_PKS2_PKT0_S8_ifPKiSA_iPKfiiiSC_SC_iiiii.numbered_sgpr, 27
	.set _ZN4vllm25paged_attention_v1_kernelIttLi256ELi8ELi128ELNS_18Fp8KVCacheDataTypeE0ELb0EEEvPT_PKS2_PKT0_S8_ifPKiSA_iPKfiiiSC_SC_iiiii.num_named_barrier, 0
	.set _ZN4vllm25paged_attention_v1_kernelIttLi256ELi8ELi128ELNS_18Fp8KVCacheDataTypeE0ELb0EEEvPT_PKS2_PKT0_S8_ifPKiSA_iPKfiiiSC_SC_iiiii.private_seg_size, 0
	.set _ZN4vllm25paged_attention_v1_kernelIttLi256ELi8ELi128ELNS_18Fp8KVCacheDataTypeE0ELb0EEEvPT_PKS2_PKT0_S8_ifPKiSA_iPKfiiiSC_SC_iiiii.uses_vcc, 1
	.set _ZN4vllm25paged_attention_v1_kernelIttLi256ELi8ELi128ELNS_18Fp8KVCacheDataTypeE0ELb0EEEvPT_PKS2_PKT0_S8_ifPKiSA_iPKfiiiSC_SC_iiiii.uses_flat_scratch, 0
	.set _ZN4vllm25paged_attention_v1_kernelIttLi256ELi8ELi128ELNS_18Fp8KVCacheDataTypeE0ELb0EEEvPT_PKS2_PKT0_S8_ifPKiSA_iPKfiiiSC_SC_iiiii.has_dyn_sized_stack, 0
	.set _ZN4vllm25paged_attention_v1_kernelIttLi256ELi8ELi128ELNS_18Fp8KVCacheDataTypeE0ELb0EEEvPT_PKS2_PKT0_S8_ifPKiSA_iPKfiiiSC_SC_iiiii.has_recursion, 0
	.set _ZN4vllm25paged_attention_v1_kernelIttLi256ELi8ELi128ELNS_18Fp8KVCacheDataTypeE0ELb0EEEvPT_PKS2_PKT0_S8_ifPKiSA_iPKfiiiSC_SC_iiiii.has_indirect_call, 0
	.section	.AMDGPU.csdata,"",@progbits
; Kernel info:
; codeLenInByte = 10700
; TotalNumSgprs: 29
; NumVgprs: 81
; ScratchSize: 0
; MemoryBound: 0
; FloatMode: 240
; IeeeMode: 1
; LDSByteSize: 544 bytes/workgroup (compile time only)
; SGPRBlocks: 0
; VGPRBlocks: 10
; NumSGPRsForWavesPerEU: 29
; NumVGPRsForWavesPerEU: 81
; Occupancy: 10
; WaveLimiterHint : 1
; COMPUTE_PGM_RSRC2:SCRATCH_EN: 0
; COMPUTE_PGM_RSRC2:USER_SGPR: 6
; COMPUTE_PGM_RSRC2:TRAP_HANDLER: 0
; COMPUTE_PGM_RSRC2:TGID_X_EN: 1
; COMPUTE_PGM_RSRC2:TGID_Y_EN: 1
; COMPUTE_PGM_RSRC2:TGID_Z_EN: 1
; COMPUTE_PGM_RSRC2:TIDIG_COMP_CNT: 0
	.section	.text._ZN4vllm25paged_attention_v1_kernelIttLi32ELi16ELi128ELNS_18Fp8KVCacheDataTypeE0ELb1EEEvPT_PKS2_PKT0_S8_ifPKiSA_iPKfiiiSC_SC_iiiii,"axG",@progbits,_ZN4vllm25paged_attention_v1_kernelIttLi32ELi16ELi128ELNS_18Fp8KVCacheDataTypeE0ELb1EEEvPT_PKS2_PKT0_S8_ifPKiSA_iPKfiiiSC_SC_iiiii,comdat
	.protected	_ZN4vllm25paged_attention_v1_kernelIttLi32ELi16ELi128ELNS_18Fp8KVCacheDataTypeE0ELb1EEEvPT_PKS2_PKT0_S8_ifPKiSA_iPKfiiiSC_SC_iiiii ; -- Begin function _ZN4vllm25paged_attention_v1_kernelIttLi32ELi16ELi128ELNS_18Fp8KVCacheDataTypeE0ELb1EEEvPT_PKS2_PKT0_S8_ifPKiSA_iPKfiiiSC_SC_iiiii
	.globl	_ZN4vllm25paged_attention_v1_kernelIttLi32ELi16ELi128ELNS_18Fp8KVCacheDataTypeE0ELb1EEEvPT_PKS2_PKT0_S8_ifPKiSA_iPKfiiiSC_SC_iiiii
	.p2align	8
	.type	_ZN4vllm25paged_attention_v1_kernelIttLi32ELi16ELi128ELNS_18Fp8KVCacheDataTypeE0ELb1EEEvPT_PKS2_PKT0_S8_ifPKiSA_iPKfiiiSC_SC_iiiii,@function
_ZN4vllm25paged_attention_v1_kernelIttLi32ELi16ELi128ELNS_18Fp8KVCacheDataTypeE0ELb1EEEvPT_PKS2_PKT0_S8_ifPKiSA_iPKfiiiSC_SC_iiiii: ; @_ZN4vllm25paged_attention_v1_kernelIttLi32ELi16ELi128ELNS_18Fp8KVCacheDataTypeE0ELb1EEEvPT_PKS2_PKT0_S8_ifPKiSA_iPKfiiiSC_SC_iiiii
; %bb.0:
	s_clause 0x2
	s_load_dword s9, s[4:5], 0x80
	s_load_dwordx2 s[0:1], s[4:5], 0x30
	s_load_dwordx2 s[28:29], s[4:5], 0x20
	s_mov_b32 s10, s7
	s_ashr_i32 s11, s7, 31
	s_mov_b32 s33, 0
	s_lshl_b64 s[2:3], s[10:11], 2
	s_waitcnt lgkmcnt(0)
	s_add_u32 s0, s0, s2
	s_addc_u32 s1, s1, s3
	s_abs_i32 s2, s28
	s_abs_i32 s11, s9
	v_cvt_f32_u32_e32 v1, s2
	s_sub_i32 s7, 0, s2
	v_rcp_iflag_f32_e32 v1, v1
	v_mul_f32_e32 v1, 0x4f7ffffe, v1
	v_cvt_u32_f32_e32 v1, v1
	v_readfirstlane_b32 s3, v1
	s_mul_i32 s7, s7, s3
	s_mul_hi_u32 s7, s3, s7
	s_add_i32 s3, s3, s7
	s_xor_b32 s7, s9, s28
	s_mul_hi_u32 s3, s11, s3
	s_ashr_i32 s7, s7, 31
	s_mul_i32 s12, s3, s2
	s_sub_i32 s11, s11, s12
	s_add_i32 s12, s3, 1
	s_sub_i32 s13, s11, s2
	s_cmp_ge_u32 s11, s2
	s_cselect_b32 s3, s12, s3
	s_cselect_b32 s11, s13, s11
	s_add_i32 s12, s3, 1
	s_cmp_ge_u32 s11, s2
	s_cselect_b32 s2, s12, s3
	s_abs_i32 s22, s6
	s_xor_b32 s2, s2, s7
	s_sub_i32 s16, s2, s7
	s_load_dwordx2 s[2:3], s[4:5], 0x40
	s_abs_i32 s11, s16
	v_cvt_f32_u32_e32 v1, s11
	s_sub_i32 s12, 0, s11
	v_rcp_iflag_f32_e32 v1, v1
	v_mul_f32_e32 v1, 0x4f7ffffe, v1
	v_cvt_u32_f32_e32 v1, v1
	v_readfirstlane_b32 s7, v1
	s_mul_i32 s12, s12, s7
	s_mul_hi_u32 s12, s7, s12
	s_add_i32 s7, s7, s12
	s_waitcnt lgkmcnt(0)
	s_cmp_eq_u64 s[2:3], 0
	s_mul_hi_u32 s23, s22, s7
	s_cbranch_scc1 .LBB72_2
; %bb.1:
	s_ashr_i32 s7, s6, 31
	s_lshl_b64 s[12:13], s[6:7], 2
	s_add_u32 s2, s2, s12
	s_addc_u32 s3, s3, s13
	s_load_dword s33, s[2:3], 0x0
.LBB72_2:
	s_load_dword s30, s[0:1], 0x0
	s_load_dwordx4 s[12:15], s[4:5], 0x48
	v_lshrrev_b32_e32 v9, 1, v0
	v_and_b32_e32 v10, 1, v0
	v_lshlrev_b32_e32 v3, 3, v0
	s_ashr_i32 s0, s6, 31
	s_ashr_i32 s1, s16, 31
	s_lshl_b32 s20, s6, 5
	s_mov_b32 s2, exec_lo
	v_cmpx_gt_u32_e32 8, v0
	s_cbranch_execz .LBB72_4
; %bb.3:
	s_load_dwordx2 s[16:17], s[4:5], 0x8
	s_waitcnt lgkmcnt(0)
	s_mul_i32 s18, s12, s10
	v_lshlrev_b32_e32 v4, 3, v9
	s_ashr_i32 s19, s18, 31
	s_lshl_b64 s[18:19], s[18:19], 1
	v_lshl_add_u32 v4, v10, 5, v4
	s_add_u32 s3, s16, s18
	s_addc_u32 s7, s17, s19
	s_ashr_i32 s21, s20, 31
	s_lshl_b64 s[16:17], s[20:21], 1
	s_add_u32 s16, s3, s16
	s_addc_u32 s17, s7, s17
	global_load_dwordx2 v[1:2], v3, s[16:17]
	s_waitcnt vmcnt(0)
	ds_write_b64 v4, v[1:2]
.LBB72_4:
	s_or_b32 exec_lo, exec_lo, s2
	s_load_dwordx4 s[16:19], s[4:5], 0x68
	s_mul_i32 s2, s23, s11
	s_xor_b32 s1, s0, s1
	s_sub_i32 s0, s22, s2
	s_add_i32 s2, s23, 1
	s_sub_i32 s3, s0, s11
	s_cmp_ge_u32 s0, s11
	s_waitcnt lgkmcnt(0)
	s_cselect_b32 s2, s2, s23
	s_cselect_b32 s0, s3, s0
	s_add_i32 s3, s2, 1
	s_cmp_ge_u32 s0, s11
	s_load_dword s0, s[4:5], 0x78
	s_cselect_b32 s2, s3, s2
	s_add_i32 s7, s30, -1
	s_xor_b32 s2, s2, s1
	s_abs_i32 s3, s7
	s_sub_i32 s1, s2, s1
	s_mov_b32 s11, -1
	s_barrier
	s_abs_i32 s12, s19
	s_waitcnt lgkmcnt(0)
	buffer_gl0_inv
	v_cvt_f32_u32_e32 v1, s12
	s_sub_i32 s2, 0, s12
                                        ; implicit-def: $sgpr31
	v_rcp_iflag_f32_e32 v1, v1
	v_mul_f32_e32 v1, 0x4f7ffffe, v1
	v_cvt_u32_f32_e32 v1, v1
	v_readfirstlane_b32 s21, v1
	s_mul_i32 s2, s2, s21
	s_mul_hi_u32 s2, s21, s2
	s_add_i32 s21, s21, s2
	s_cmp_lt_i32 s0, 0
	s_mul_hi_u32 s2, s3, s21
	s_cbranch_scc0 .LBB72_6
; %bb.5:
	s_mul_i32 s11, s16, s28
	s_add_i32 s11, s1, s11
	s_mul_i32 s11, s11, s0
	s_sub_i32 s31, 1, s11
	s_mov_b32 s11, 0
.LBB72_6:
	s_load_dwordx2 s[22:23], s[4:5], 0x28
	s_ashr_i32 s7, s7, 31
	s_andn2_b32 vcc_lo, exec_lo, s11
	s_ashr_i32 s19, s19, 31
	s_cbranch_vccnz .LBB72_8
; %bb.7:
	s_mul_i32 s11, s9, s16
	s_add_i32 s6, s11, s6
	s_mul_i32 s0, s6, s0
	s_add_i32 s31, s0, 1
.LBB72_8:
	s_load_dword s0, s[4:5], 0x38
	s_mul_i32 s6, s2, s12
	s_xor_b32 s15, s7, s19
	s_sub_i32 s3, s3, s6
	s_add_i32 s16, s2, 1
	s_clause 0x2
	s_load_dwordx2 s[6:7], s[4:5], 0x0
	s_load_dwordx2 s[26:27], s[4:5], 0x18
	s_load_dword s11, s[4:5], 0x88
	v_lshrrev_b32_e32 v11, 5, v0
	v_mov_b32_e32 v6, 0xff7fffff
	v_lshrrev_b32_e32 v4, 3, v0
	v_mbcnt_lo_u32_b32 v5, -1, 0
	s_mul_i32 s14, s1, s14
	v_lshlrev_b32_e32 v12, 4, v11
	s_waitcnt lgkmcnt(0)
	s_mul_i32 s24, s0, s10
	s_sub_i32 s0, s3, s12
	s_ashr_i32 s25, s24, 31
	s_cmp_ge_u32 s3, s12
	s_cselect_b32 s2, s16, s2
	s_cselect_b32 s0, s0, s3
	s_add_i32 s3, s2, 1
	s_cmp_ge_u32 s0, s12
	s_cselect_b32 s0, s3, s2
	s_add_i32 s2, s30, 15
	s_ashr_i32 s3, s2, 31
	s_lshr_b32 s3, s3, 28
	s_add_i32 s2, s2, s3
	s_ashr_i32 s16, s2, 4
	s_xor_b32 s2, s0, s15
	v_cmp_gt_i32_e64 s0, s16, v11
	s_sub_i32 s28, s2, s15
	s_and_saveexec_b32 s34, s0
	s_cbranch_execz .LBB72_20
; %bb.9:
	s_load_dwordx2 s[2:3], s[4:5], 0x10
	s_ashr_i32 s15, s14, 31
	s_sub_i32 s4, s28, s17
	s_lshl_b64 s[36:37], s[14:15], 1
	v_bfe_u32 v7, v0, 1, 4
	v_and_b32_e32 v2, 0x7c, v4
	v_and_b32_e32 v18, 8, v3
	v_lshlrev_b32_e32 v8, 5, v10
	v_cmp_neq_f32_e64 s1, s33, 0
	v_lshlrev_b32_e32 v16, 2, v7
	v_subrev_nc_u32_e32 v17, s30, v7
	v_lshlrev_b32_e32 v13, 4, v11
	v_mov_b32_e32 v14, 0xff7fffff
	v_xor_b32_e32 v15, 1, v5
	v_lshl_or_b32 v19, v11, 6, v16
	v_add_nc_u32_e32 v16, 1, v17
	v_mov_b32_e32 v6, 0xff7fffff
	v_cmp_eq_u32_e32 vcc_lo, 0, v10
	v_add_nc_u32_e32 v17, 0x60, v19
	s_waitcnt lgkmcnt(0)
	s_add_u32 s15, s2, s36
	s_addc_u32 s35, s3, s37
	s_abs_i32 s5, s18
	v_cvt_f32_u32_e32 v1, s5
	s_sub_i32 s2, 0, s5
	v_rcp_iflag_f32_e32 v1, v1
	v_mul_f32_e32 v1, 0x4f7ffffe, v1
	v_cvt_u32_f32_e32 v20, v1
	v_lshlrev_b32_e32 v1, 4, v7
	v_mul_lo_u32 v19, s2, v20
	s_lshl_b64 s[2:3], s[24:25], 2
	v_add_co_u32 v21, s15, s15, v1
	s_add_u32 s2, s22, s2
	v_add_co_ci_u32_e64 v22, null, s35, 0, s15
	s_addc_u32 s3, s23, s3
	v_mul_hi_u32 v23, v20, v19
	v_add_co_u32 v1, s2, s2, v2
	v_add_co_ci_u32_e64 v2, null, s3, 0, s2
	v_add_co_u32 v18, s2, v21, v18
	v_add_co_ci_u32_e64 v19, null, 0, v22, s2
	v_add_nc_u32_e32 v20, v20, v23
	v_mov_b32_e32 v21, v11
	s_mov_b32 s15, 0
	s_mov_b32 s35, s13
	s_branch .LBB72_12
.LBB72_10:                              ;   in Loop: Header=BB72_12 Depth=1
	s_or_b32 exec_lo, exec_lo, s36
.LBB72_11:                              ;   in Loop: Header=BB72_12 Depth=1
	s_or_b32 exec_lo, exec_lo, s3
	v_add_nc_u32_e32 v21, 4, v21
	v_add_co_u32 v1, s3, v1, 16
	v_add_co_ci_u32_e64 v2, null, 0, v2, s3
	v_cmp_le_i32_e64 s2, s16, v21
	v_add_nc_u32_e32 v13, 64, v13
	v_add_nc_u32_e32 v17, 0x100, v17
	s_or_b32 s15, s2, s15
	s_andn2_b32 exec_lo, exec_lo, s15
	s_cbranch_execz .LBB72_19
.LBB72_12:                              ; =>This Inner Loop Header: Depth=1
	v_mul_hi_u32 v22, v13, s21
	s_waitcnt lgkmcnt(0)
	v_mul_lo_u32 v23, v22, s12
	v_add_nc_u32_e32 v24, 1, v22
	v_sub_nc_u32_e32 v23, v13, v23
	v_subrev_nc_u32_e32 v25, s12, v23
	v_cmp_le_u32_e64 s2, s12, v23
	v_cndmask_b32_e64 v22, v22, v24, s2
	v_cndmask_b32_e64 v23, v23, v25, s2
	v_add_nc_u32_e32 v24, 1, v22
	v_cmp_le_u32_e64 s2, s12, v23
	v_cndmask_b32_e64 v22, v22, v24, s2
	v_xor_b32_e32 v22, s19, v22
	v_subrev_nc_u32_e32 v22, s19, v22
	v_add_nc_u32_e32 v23, s31, v22
	v_cmp_ge_i32_e64 s3, s4, v22
	v_sub_nc_u32_e32 v24, 0, v23
	v_max_i32_e32 v24, v23, v24
	v_ashrrev_i32_e32 v23, 31, v23
	v_mul_hi_u32 v25, v24, v20
	v_mul_lo_u32 v25, v25, s5
	v_sub_nc_u32_e32 v24, v24, v25
	v_subrev_nc_u32_e32 v25, s5, v24
	v_cmp_le_u32_e64 s2, s5, v24
	v_cndmask_b32_e64 v24, v24, v25, s2
	v_subrev_nc_u32_e32 v25, s5, v24
	v_cmp_le_u32_e64 s2, s5, v24
	v_cndmask_b32_e64 v24, v24, v25, s2
	v_xor_b32_e32 v24, v24, v23
	v_sub_nc_u32_e32 v23, v24, v23
	v_cmp_ne_u32_e64 s2, 0, v23
	s_and_b32 s2, s2, s3
	s_and_saveexec_b32 s3, s2
	s_xor_b32 s2, exec_lo, s3
	s_cbranch_execz .LBB72_16
; %bb.13:                               ;   in Loop: Header=BB72_12 Depth=1
	s_and_saveexec_b32 s3, vcc_lo
; %bb.14:                               ;   in Loop: Header=BB72_12 Depth=1
	ds_write_b32 v17, v14
; %bb.15:                               ;   in Loop: Header=BB72_12 Depth=1
	s_or_b32 exec_lo, exec_lo, s3
.LBB72_16:                              ;   in Loop: Header=BB72_12 Depth=1
	s_andn2_saveexec_b32 s3, s2
	s_cbranch_execz .LBB72_11
; %bb.17:                               ;   in Loop: Header=BB72_12 Depth=1
	global_load_dword v22, v[1:2], off
	s_waitcnt vmcnt(0)
	v_mad_i64_i32 v[22:23], null, v22, s35, 0
	v_lshlrev_b64 v[22:23], 1, v[22:23]
	v_add_co_u32 v22, s2, v18, v22
	v_add_co_ci_u32_e64 v23, null, v19, v23, s2
	v_cmp_gt_i32_e64 s2, 32, v15
	s_clause 0x3
	global_load_dwordx2 v[24:25], v[22:23], off
	global_load_dwordx2 v[26:27], v[22:23], off offset:256
	global_load_dwordx2 v[28:29], v[22:23], off offset:512
	;; [unrolled: 1-line block ×3, first 2 shown]
	ds_read_b64 v[30:31], v8
	s_waitcnt lgkmcnt(0)
	v_and_b32_e32 v32, 0xffff, v30
	v_lshrrev_b32_e32 v33, 16, v30
	v_lshrrev_b32_e32 v35, 16, v31
	v_and_b32_e32 v34, 0xffff, v31
	;;#ASMSTART
	v_cvt_f32_f16 v30, v32;
	;;#ASMEND
	;;#ASMSTART
	v_cvt_f32_f16 v31, v33;
	;;#ASMEND
	s_waitcnt vmcnt(3)
	v_and_b32_e32 v32, 0xffff, v24
	v_lshrrev_b32_e32 v24, 16, v24
	v_lshrrev_b32_e32 v37, 16, v25
	v_and_b32_e32 v25, 0xffff, v25
	;;#ASMSTART
	v_cvt_f32_f16 v32, v32;
	;;#ASMEND
	;;#ASMSTART
	v_cvt_f32_f16 v33, v24;
	;;#ASMEND
	;; [unrolled: 3-line block ×6, first 2 shown]
	ds_read_b64 v[24:25], v8 offset:8
	s_waitcnt vmcnt(2)
	v_lshrrev_b32_e32 v39, 16, v26
	v_and_b32_e32 v38, 0xffff, v26
	v_lshrrev_b32_e32 v43, 16, v27
	v_and_b32_e32 v42, 0xffff, v27
	s_waitcnt vmcnt(1)
	v_lshrrev_b32_e32 v45, 16, v28
	v_and_b32_e32 v44, 0xffff, v28
	v_lshrrev_b32_e32 v49, 16, v29
	v_and_b32_e32 v48, 0xffff, v29
	s_waitcnt vmcnt(0)
	v_lshrrev_b32_e32 v50, 16, v22
	v_and_b32_e32 v51, 0xffff, v22
	s_waitcnt lgkmcnt(0)
	v_and_b32_e32 v26, 0xffff, v24
	v_lshrrev_b32_e32 v24, 16, v24
	v_lshrrev_b32_e32 v41, 16, v25
	v_and_b32_e32 v25, 0xffff, v25
	;;#ASMSTART
	v_cvt_f32_f16 v26, v26;
	;;#ASMEND
	;;#ASMSTART
	v_cvt_f32_f16 v27, v24;
	;;#ASMEND
	;; [unrolled: 3-line block ×8, first 2 shown]
	ds_read_b64 v[24:25], v8 offset:16
	v_mul_f32_e32 v22, v26, v38
	v_mul_f32_e32 v26, v27, v39
	;; [unrolled: 1-line block ×4, first 2 shown]
	v_lshrrev_b32_e32 v39, 16, v23
	v_fmac_f32_e32 v22, v30, v32
	v_fmac_f32_e32 v26, v31, v33
	v_fmac_f32_e32 v27, v34, v36
	v_and_b32_e32 v30, 0xffff, v23
	v_fmac_f32_e32 v38, v35, v37
	s_waitcnt lgkmcnt(0)
	v_and_b32_e32 v28, 0xffff, v24
	v_lshrrev_b32_e32 v24, 16, v24
	v_lshrrev_b32_e32 v47, 16, v25
	v_and_b32_e32 v25, 0xffff, v25
	;;#ASMSTART
	v_cvt_f32_f16 v28, v28;
	;;#ASMEND
	;;#ASMSTART
	v_cvt_f32_f16 v29, v24;
	;;#ASMEND
	;; [unrolled: 3-line block ×8, first 2 shown]
	ds_read_b64 v[24:25], v8 offset:24
	v_fmac_f32_e32 v22, v28, v44
	v_fmac_f32_e32 v26, v29, v45
	;; [unrolled: 1-line block ×4, first 2 shown]
	s_waitcnt lgkmcnt(0)
	v_and_b32_e32 v23, 0xffff, v24
	v_lshrrev_b32_e32 v24, 16, v24
	v_lshrrev_b32_e32 v29, 16, v25
	v_and_b32_e32 v31, 0xffff, v25
	;;#ASMSTART
	v_cvt_f32_f16 v23, v23;
	;;#ASMEND
	;;#ASMSTART
	v_cvt_f32_f16 v24, v24;
	;;#ASMEND
	;; [unrolled: 3-line block ×4, first 2 shown]
	v_fmac_f32_e32 v22, v23, v25
	v_fmac_f32_e32 v26, v24, v28
	;;#ASMSTART
	v_cvt_f32_f16 v23, v31;
	;;#ASMEND
	;;#ASMSTART
	v_cvt_f32_f16 v24, v29;
	;;#ASMEND
	;; [unrolled: 3-line block ×3, first 2 shown]
	v_fmac_f32_e32 v27, v23, v25
	v_add_f32_e32 v22, v22, v26
	;;#ASMSTART
	v_cvt_f32_f16 v23, v39;
	;;#ASMEND
	v_fmac_f32_e32 v38, v24, v23
	v_cndmask_b32_e64 v23, v5, v15, s2
	v_add_f32_e32 v22, v22, v27
	v_lshlrev_b32_e32 v23, 2, v23
	v_add_f32_e32 v22, v38, v22
	ds_bpermute_b32 v23, v23, v22
	s_and_saveexec_b32 s36, vcc_lo
	s_cbranch_execz .LBB72_10
; %bb.18:                               ;   in Loop: Header=BB72_12 Depth=1
	v_add_nc_u32_e32 v24, v16, v13
	s_waitcnt lgkmcnt(0)
	v_add_f32_e32 v22, v22, v23
	v_cvt_f32_i32_e32 v24, v24
	v_mul_f32_e32 v24, s33, v24
	v_cndmask_b32_e64 v23, 0, v24, s1
	v_max_f32_e32 v24, v6, v6
	v_fmac_f32_e32 v23, s29, v22
	v_add_nc_u32_e32 v22, v7, v13
	v_max_f32_e32 v24, v24, v23
	v_cmp_gt_i32_e64 s2, s30, v22
	v_cndmask_b32_e64 v22, 0, v23, s2
	v_cndmask_b32_e64 v6, v6, v24, s2
	ds_write_b32 v17, v22
	s_branch .LBB72_10
.LBB72_19:
	s_or_b32 exec_lo, exec_lo, s15
.LBB72_20:
	s_or_b32 exec_lo, exec_lo, s34
	v_xor_b32_e32 v1, 16, v5
	v_xor_b32_e32 v7, 8, v5
	v_max_f32_e32 v8, v6, v6
	v_cmp_gt_i32_e32 vcc_lo, 32, v1
	v_cndmask_b32_e32 v1, v5, v1, vcc_lo
	v_cmp_gt_i32_e32 vcc_lo, 32, v7
	v_lshlrev_b32_e32 v2, 2, v1
	ds_bpermute_b32 v1, v2, v6
	v_cndmask_b32_e32 v6, v5, v7, vcc_lo
	v_lshlrev_b32_e32 v6, 2, v6
	s_waitcnt lgkmcnt(0)
	v_max_f32_e32 v1, v1, v1
	v_max_f32_e32 v1, v8, v1
	v_xor_b32_e32 v8, 4, v5
	ds_bpermute_b32 v7, v6, v1
	v_cmp_gt_i32_e32 vcc_lo, 32, v8
	v_cndmask_b32_e32 v8, v5, v8, vcc_lo
	s_waitcnt lgkmcnt(0)
	v_max_f32_e32 v13, v7, v7
	v_lshlrev_b32_e32 v7, 2, v8
	v_max_f32_e32 v1, v1, v13
	v_xor_b32_e32 v13, 2, v5
	ds_bpermute_b32 v8, v7, v1
	v_cmp_gt_i32_e32 vcc_lo, 32, v13
	v_cndmask_b32_e32 v13, v5, v13, vcc_lo
	s_waitcnt lgkmcnt(0)
	v_max_f32_e32 v8, v8, v8
	v_max_f32_e32 v14, v1, v8
	v_lshlrev_b32_e32 v1, 2, v13
	v_and_b32_e32 v13, 31, v0
	v_lshlrev_b32_e32 v8, 2, v11
	ds_bpermute_b32 v15, v1, v14
	v_cmp_eq_u32_e32 vcc_lo, 0, v13
	s_and_saveexec_b32 s1, vcc_lo
	s_cbranch_execz .LBB72_22
; %bb.21:
	s_waitcnt lgkmcnt(0)
	v_max_f32_e32 v15, v15, v15
	v_max_f32_e32 v14, v14, v14
	;; [unrolled: 1-line block ×3, first 2 shown]
	ds_write_b32 v8, v14 offset:64
.LBB72_22:
	s_or_b32 exec_lo, exec_lo, s1
	v_cmp_gt_u32_e64 s1, 4, v13
	v_mov_b32_e32 v14, 0xff7fffff
	s_waitcnt lgkmcnt(0)
	v_lshlrev_b32_e32 v15, 2, v13
	s_barrier
	buffer_gl0_inv
	s_and_saveexec_b32 s2, s1
; %bb.23:
	ds_read_b32 v14, v15 offset:64
; %bb.24:
	s_or_b32 exec_lo, exec_lo, s2
	s_waitcnt lgkmcnt(0)
	ds_bpermute_b32 v16, v1, v14
	v_xor_b32_e32 v17, 1, v5
	v_max_f32_e32 v18, v14, v14
	v_cmp_gt_i32_e64 s2, 32, v17
	v_cndmask_b32_e64 v5, v5, v17, s2
	s_lshl_b32 s2, s16, 4
	s_min_i32 s4, s2, s30
	v_lshlrev_b32_e32 v14, 2, v5
	v_cmp_gt_i32_e64 s2, s4, v0
	s_waitcnt lgkmcnt(0)
	v_max_f32_e32 v16, v16, v16
	v_max_f32_e32 v5, v18, v16
	ds_bpermute_b32 v16, v14, v5
	s_waitcnt lgkmcnt(0)
	v_max_f32_e32 v16, v16, v16
	v_max_f32_e32 v5, v5, v16
	v_mov_b32_e32 v16, 0
	ds_bpermute_b32 v17, v16, v5
	v_lshl_add_u32 v5, v0, 2, 0x60
	s_and_saveexec_b32 s5, s2
	s_cbranch_execz .LBB72_28
; %bb.25:
	v_lshl_add_u32 v18, v0, 2, 0x60
	v_mov_b32_e32 v16, 0
	v_mov_b32_e32 v19, v0
	s_mov_b32 s15, 0
	.p2align	6
.LBB72_26:                              ; =>This Inner Loop Header: Depth=1
	ds_read_b32 v20, v18
	v_add_nc_u32_e32 v19, 0x80, v19
	v_cmp_le_i32_e64 s3, s4, v19
	s_or_b32 s15, s3, s15
	s_waitcnt lgkmcnt(0)
	v_sub_f32_e32 v20, v20, v17
	v_mul_f32_e32 v20, 0x3fb8aa3b, v20
	v_exp_f32_e32 v20, v20
	ds_write_b32 v18, v20
	v_add_f32_e32 v16, v16, v20
	v_add_nc_u32_e32 v18, 0x200, v18
	s_andn2_b32 exec_lo, exec_lo, s15
	s_cbranch_execnz .LBB72_26
; %bb.27:
	s_or_b32 exec_lo, exec_lo, s15
.LBB72_28:
	s_or_b32 exec_lo, exec_lo, s5
	ds_bpermute_b32 v2, v2, v16
	s_waitcnt lgkmcnt(0)
	v_add_f32_e32 v2, v16, v2
	ds_bpermute_b32 v6, v6, v2
	s_waitcnt lgkmcnt(0)
	v_add_f32_e32 v2, v2, v6
	;; [unrolled: 3-line block ×5, first 2 shown]
	s_and_saveexec_b32 s3, vcc_lo
; %bb.29:
	ds_write_b32 v8, v2 offset:80
; %bb.30:
	s_or_b32 exec_lo, exec_lo, s3
	s_waitcnt lgkmcnt(0)
	s_barrier
	buffer_gl0_inv
	s_and_saveexec_b32 s3, s1
; %bb.31:
	ds_read_b32 v2, v15 offset:80
; %bb.32:
	s_or_b32 exec_lo, exec_lo, s3
	s_waitcnt lgkmcnt(0)
	ds_bpermute_b32 v1, v1, v2
	s_waitcnt lgkmcnt(0)
	v_add_f32_e32 v1, v2, v1
	ds_bpermute_b32 v2, v14, v1
	s_waitcnt lgkmcnt(0)
	v_add_f32_e32 v1, v1, v2
	v_mov_b32_e32 v2, 0
	ds_bpermute_b32 v1, v2, v1
	s_and_saveexec_b32 s1, s2
	s_cbranch_execz .LBB72_35
; %bb.33:
	s_waitcnt lgkmcnt(0)
	v_add_f32_e32 v1, 0x358637bd, v1
	s_mov_b32 s2, 0
	v_div_scale_f32 v2, null, v1, v1, 1.0
	v_div_scale_f32 v8, vcc_lo, 1.0, v1, 1.0
	v_rcp_f32_e32 v6, v2
	v_fma_f32 v7, -v2, v6, 1.0
	v_fmac_f32_e32 v6, v7, v6
	v_mul_f32_e32 v7, v8, v6
	v_fma_f32 v15, -v2, v7, v8
	v_fmac_f32_e32 v7, v15, v6
	v_fma_f32 v2, -v2, v7, v8
	v_div_fmas_f32 v2, v2, v6, v7
	v_div_fixup_f32 v1, v2, v1, 1.0
	v_mov_b32_e32 v2, v0
.LBB72_34:                              ; =>This Inner Loop Header: Depth=1
	ds_read_b32 v6, v5
	v_add_nc_u32_e32 v2, 0x80, v2
	v_cmp_le_i32_e32 vcc_lo, s4, v2
	s_or_b32 s2, vcc_lo, s2
	s_waitcnt lgkmcnt(0)
	v_mul_f32_e32 v6, v1, v6
	ds_write_b32 v5, v6
	v_add_nc_u32_e32 v5, 0x200, v5
	s_andn2_b32 exec_lo, exec_lo, s2
	s_cbranch_execnz .LBB72_34
.LBB72_35:
	s_or_b32 exec_lo, exec_lo, s1
	v_mov_b32_e32 v18, 0
	v_mov_b32_e32 v15, 0
	s_waitcnt lgkmcnt(0)
	s_barrier
	buffer_gl0_inv
	s_and_saveexec_b32 s2, s0
	s_cbranch_execz .LBB72_45
; %bb.36:
	s_ashr_i32 s15, s14, 31
	s_sub_i32 s3, s28, s17
	s_lshl_b64 s[0:1], s[14:15], 1
	v_lshlrev_b32_e32 v2, 4, v0
	s_add_u32 s14, s26, s0
	s_addc_u32 s15, s27, s1
	s_abs_i32 s4, s18
	v_and_b32_e32 v16, 8, v3
	v_cvt_f32_u32_e32 v1, s4
	s_sub_i32 s0, 0, s4
	v_and_b32_e32 v3, 0x7c, v4
	v_lshlrev_b32_e32 v4, 5, v10
	v_and_b32_e32 v2, 0x1f0, v2
	v_rcp_iflag_f32_e32 v1, v1
	s_add_i32 s5, s16, -1
	v_mov_b32_e32 v17, 0
	v_lshl_or_b32 v4, v11, 6, v4
	v_add_co_u32 v20, s14, s14, v2
	v_mov_b32_e32 v19, v11
	v_mov_b32_e32 v15, 0
	v_add_co_ci_u32_e64 v21, null, s15, 0, s14
	v_mul_f32_e32 v1, 0x4f7ffffe, v1
	v_add_nc_u32_e32 v22, 0x60, v4
	v_mov_b32_e32 v18, 0
	s_mov_b32 s14, s13
	s_mov_b32 s13, 0
	v_cvt_u32_f32_e32 v1, v1
	v_mul_lo_u32 v5, s0, v1
	s_lshl_b64 s[0:1], s[24:25], 2
	s_add_u32 s0, s22, s0
	s_addc_u32 s1, s23, s1
	v_mul_hi_u32 v7, v1, v5
	v_add_co_u32 v5, s0, s0, v3
	v_add_co_ci_u32_e64 v6, null, s1, 0, s0
	v_add_nc_u32_e32 v23, v1, v7
	s_branch .LBB72_39
.LBB72_37:                              ;   in Loop: Header=BB72_39 Depth=1
	s_or_b32 exec_lo, exec_lo, s1
	v_lshlrev_b32_e32 v24, 16, v38
	v_lshlrev_b32_e32 v8, 16, v8
	;; [unrolled: 1-line block ×3, first 2 shown]
	v_and_or_b32 v1, 0xffff, v1, v24
	v_and_or_b32 v2, 0xffff, v2, v8
	v_and_or_b32 v3, 0xffff, v3, v7
	;;#ASMSTART
	v_pk_mul_f16 v1, v33, v1;

	;;#ASMEND
	;;#ASMSTART
	v_pk_mul_f16 v2, v32, v2;

	;;#ASMEND
	;; [unrolled: 4-line block ×4, first 2 shown]
	;;#ASMSTART
	v_pk_add_f16 v1, v1, v2;

	;;#ASMEND
	;;#ASMSTART
	v_pk_add_f16 v1, v1, v3;

	;;#ASMEND
	;; [unrolled: 4-line block ×3, first 2 shown]
	v_and_b32_e32 v2, 0xffff, v1
	v_lshrrev_b32_e32 v3, 16, v1
	;;#ASMSTART
	v_cvt_f32_f16 v2, v2;
	;;#ASMEND
	v_add_f32_e32 v1, v34, v37
	;;#ASMSTART
	v_cvt_f32_f16 v3, v3;
	;;#ASMEND
	v_add_f32_e32 v2, v2, v3
	v_add_f32_e32 v15, v15, v1
	;; [unrolled: 1-line block ×3, first 2 shown]
.LBB72_38:                              ;   in Loop: Header=BB72_39 Depth=1
	s_or_b32 exec_lo, exec_lo, s15
	v_add_nc_u32_e32 v19, 4, v19
	v_add_co_u32 v5, s0, v5, 16
	v_add_co_ci_u32_e64 v6, null, 0, v6, s0
	v_cmp_le_i32_e32 vcc_lo, s16, v19
	v_add_nc_u32_e32 v12, 64, v12
	v_add_nc_u32_e32 v22, 0x100, v22
	s_or_b32 s13, vcc_lo, s13
	s_andn2_b32 exec_lo, exec_lo, s13
	s_cbranch_execz .LBB72_44
.LBB72_39:                              ; =>This Inner Loop Header: Depth=1
	v_mul_hi_u32 v1, v12, s21
	v_mul_lo_u32 v2, v1, s12
	v_add_nc_u32_e32 v3, 1, v1
	v_sub_nc_u32_e32 v2, v12, v2
	v_subrev_nc_u32_e32 v4, s12, v2
	v_cmp_le_u32_e32 vcc_lo, s12, v2
	v_cndmask_b32_e32 v1, v1, v3, vcc_lo
	v_cndmask_b32_e32 v2, v2, v4, vcc_lo
	v_add_nc_u32_e32 v3, 1, v1
	v_cmp_le_u32_e32 vcc_lo, s12, v2
	v_cndmask_b32_e32 v1, v1, v3, vcc_lo
	v_xor_b32_e32 v1, s19, v1
	v_subrev_nc_u32_e32 v1, s19, v1
	v_add_nc_u32_e32 v2, s31, v1
	v_cmp_lt_i32_e64 s0, s3, v1
	v_sub_nc_u32_e32 v3, 0, v2
	v_max_i32_e32 v3, v2, v3
	v_ashrrev_i32_e32 v2, 31, v2
	v_mul_hi_u32 v4, v3, v23
	v_mul_lo_u32 v4, v4, s4
	v_sub_nc_u32_e32 v3, v3, v4
	v_subrev_nc_u32_e32 v4, s4, v3
	v_cmp_le_u32_e32 vcc_lo, s4, v3
	v_cndmask_b32_e32 v3, v3, v4, vcc_lo
	v_subrev_nc_u32_e32 v4, s4, v3
	v_cmp_le_u32_e32 vcc_lo, s4, v3
	v_cndmask_b32_e32 v3, v3, v4, vcc_lo
	v_xor_b32_e32 v3, v3, v2
	v_sub_nc_u32_e32 v2, v3, v2
	v_cmp_eq_u32_e32 vcc_lo, 0, v2
	s_or_b32 s0, vcc_lo, s0
	s_and_saveexec_b32 s15, s0
	s_cbranch_execz .LBB72_38
; %bb.40:                               ;   in Loop: Header=BB72_39 Depth=1
	global_load_dword v7, v[5:6], off
	ds_read2_b64 v[1:4], v22 offset1:1
	ds_read2_b64 v[24:27], v22 offset0:2 offset1:3
	v_add_nc_u32_e32 v29, v16, v12
	v_cmp_eq_u32_e64 s0, s5, v19
	s_waitcnt lgkmcnt(1)
	;;#ASMSTART
	v_cvt_f16_f32 v33, v1;

	;;#ASMEND
	;;#ASMSTART
	v_cvt_f16_f32 v32, v2;

	;;#ASMEND
	;; [unrolled: 4-line block ×4, first 2 shown]
	s_waitcnt lgkmcnt(0)
	;;#ASMSTART
	v_cvt_f16_f32 v39, v24;

	;;#ASMEND
	;;#ASMSTART
	v_cvt_f16_f32 v35, v25;

	;;#ASMEND
	;; [unrolled: 4-line block ×4, first 2 shown]
	v_add_nc_u32_e32 v31, 1, v29
	v_add_nc_u32_e32 v28, 2, v29
	;; [unrolled: 1-line block ×7, first 2 shown]
	s_waitcnt vmcnt(0)
	v_mad_i64_i32 v[7:8], null, v7, s14, 0
	v_lshlrev_b64 v[7:8], 1, v[7:8]
	v_add_co_u32 v7, vcc_lo, v20, v7
	v_add_co_ci_u32_e64 v8, null, v21, v8, vcc_lo
	global_load_dwordx4 v[1:4], v[7:8], off
	s_waitcnt vmcnt(0)
	v_lshrrev_b32_e32 v42, 16, v1
	v_lshrrev_b32_e32 v41, 16, v2
	;; [unrolled: 1-line block ×3, first 2 shown]
	s_and_saveexec_b32 s17, s0
	s_cbranch_execz .LBB72_42
; %bb.41:                               ;   in Loop: Header=BB72_39 Depth=1
	v_cmp_gt_i32_e32 vcc_lo, s30, v29
	v_and_b32_e32 v43, 0xffff0000, v4
	v_cmp_gt_i32_e64 s1, s30, v28
	v_cndmask_b32_e32 v1, 0, v1, vcc_lo
	v_cmp_gt_i32_e32 vcc_lo, s30, v31
	v_cndmask_b32_e64 v2, 0, v2, s1
	v_cmp_gt_i32_e64 s1, s30, v27
	v_cndmask_b32_e32 v42, 0, v42, vcc_lo
	v_cmp_gt_i32_e32 vcc_lo, s30, v30
	v_cndmask_b32_e64 v41, 0, v41, s1
	v_cndmask_b32_sdwa v4, v17, v4, vcc_lo dst_sel:DWORD dst_unused:UNUSED_PAD src0_sel:DWORD src1_sel:WORD_0
	v_cmp_gt_i32_e32 vcc_lo, s30, v26
	v_cndmask_b32_e32 v43, 0, v43, vcc_lo
	v_cmp_gt_i32_e32 vcc_lo, s30, v25
	v_or_b32_e32 v4, v4, v43
	v_cndmask_b32_e32 v3, 0, v3, vcc_lo
	v_cmp_gt_i32_e32 vcc_lo, s30, v24
	v_cndmask_b32_e32 v40, 0, v40, vcc_lo
.LBB72_42:                              ;   in Loop: Header=BB72_39 Depth=1
	s_or_b32 exec_lo, exec_lo, s17
	v_and_b32_e32 v33, 0xffff, v33
	v_and_b32_e32 v38, 0xffff, v38
	v_lshlrev_b32_e32 v42, 16, v42
	v_and_b32_e32 v39, 0xffff, v39
	v_and_b32_e32 v37, 0xffff, v37
	v_lshl_or_b32 v33, v32, 16, v33
	v_lshl_or_b32 v32, v36, 16, v38
	v_lshlrev_b32_e32 v36, 16, v41
	v_lshlrev_b32_e32 v38, 16, v40
	v_and_or_b32 v1, 0xffff, v1, v42
	;;#ASMSTART
	v_pk_mul_f16 v1, v33, v1;

	;;#ASMEND
	v_lshl_or_b32 v35, v35, 16, v39
	v_and_or_b32 v2, 0xffff, v2, v36
	v_and_or_b32 v3, 0xffff, v3, v38
	v_lshl_or_b32 v36, v34, 16, v37
	;;#ASMSTART
	v_pk_mul_f16 v2, v32, v2;

	;;#ASMEND
	;;#ASMSTART
	v_pk_mul_f16 v3, v35, v3;

	;;#ASMEND
	;; [unrolled: 4-line block ×3, first 2 shown]
	;;#ASMSTART
	v_pk_add_f16 v1, v1, v2;

	;;#ASMEND
	;;#ASMSTART
	v_pk_add_f16 v1, v1, v3;

	;;#ASMEND
	;; [unrolled: 4-line block ×3, first 2 shown]
	v_and_b32_e32 v2, 0xffff, v1
	v_lshrrev_b32_e32 v1, 16, v1
	;;#ASMSTART
	v_cvt_f32_f16 v34, v2;
	;;#ASMEND
	;;#ASMSTART
	v_cvt_f32_f16 v37, v1;
	;;#ASMEND
	global_load_dwordx4 v[1:4], v[7:8], off offset:512
	s_waitcnt vmcnt(0)
	v_lshrrev_b32_e32 v38, 16, v1
	v_lshrrev_b32_e32 v8, 16, v2
	v_lshrrev_b32_e32 v7, 16, v3
	s_and_saveexec_b32 s1, s0
	s_cbranch_execz .LBB72_37
; %bb.43:                               ;   in Loop: Header=BB72_39 Depth=1
	v_cmp_gt_i32_e32 vcc_lo, s30, v29
	v_cmp_gt_i32_e64 s0, s30, v28
	v_cndmask_b32_e32 v1, 0, v1, vcc_lo
	v_cmp_gt_i32_e32 vcc_lo, s30, v31
	v_cndmask_b32_e64 v2, 0, v2, s0
	v_cmp_gt_i32_e64 s0, s30, v27
	v_and_b32_e32 v27, 0xffff0000, v4
	v_cndmask_b32_e32 v38, 0, v38, vcc_lo
	v_cmp_gt_i32_e32 vcc_lo, s30, v30
	v_cndmask_b32_e64 v8, 0, v8, s0
	v_cndmask_b32_sdwa v4, v17, v4, vcc_lo dst_sel:DWORD dst_unused:UNUSED_PAD src0_sel:DWORD src1_sel:WORD_0
	v_cmp_gt_i32_e32 vcc_lo, s30, v26
	v_cndmask_b32_e32 v26, 0, v27, vcc_lo
	v_cmp_gt_i32_e32 vcc_lo, s30, v25
	v_or_b32_e32 v4, v4, v26
	v_cndmask_b32_e32 v3, 0, v3, vcc_lo
	v_cmp_gt_i32_e32 vcc_lo, s30, v24
	v_cndmask_b32_e32 v7, 0, v7, vcc_lo
	s_branch .LBB72_37
.LBB72_44:
	s_or_b32 exec_lo, exec_lo, s13
.LBB72_45:
	s_or_b32 exec_lo, exec_lo, s2
	ds_bpermute_b32 v1, v14, v15
	ds_bpermute_b32 v5, v14, v18
	v_lshrrev_b32_e32 v3, 1, v13
	v_and_b32_e32 v6, 0x3c1, v0
	s_mov_b32 s0, exec_lo
	s_waitcnt lgkmcnt(0)
	s_barrier
	v_lshl_add_u32 v4, v3, 2, 0x60
	buffer_gl0_inv
	v_add_f32_e32 v2, v15, v1
	v_add_f32_e32 v1, v18, v5
	v_cmpx_eq_u32_e32 64, v6
	s_cbranch_execz .LBB72_47
; %bb.46:
	v_lshl_add_u32 v5, v11, 7, v4
	v_add_nc_u32_e32 v6, 0xffffff00, v5
	v_add_nc_u32_e32 v5, 0xffffff40, v5
	ds_write_b32 v6, v2
	ds_write_b32 v5, v1
.LBB72_47:
	s_or_b32 exec_lo, exec_lo, s0
	v_and_b32_e32 v5, 0x3e0, v0
	v_lshlrev_b32_e32 v3, 2, v3
	s_mov_b32 s1, exec_lo
	v_cmp_eq_u32_e32 vcc_lo, 0, v10
	s_waitcnt lgkmcnt(0)
	v_lshlrev_b32_e32 v5, 2, v5
	s_barrier
	buffer_gl0_inv
	v_add3_u32 v3, 0x60, v5, v3
	v_cmpx_gt_u32_e32 64, v0
	s_cbranch_execz .LBB72_53
; %bb.48:
	s_and_saveexec_b32 s0, vcc_lo
	s_cbranch_execz .LBB72_50
; %bb.49:
	ds_read_b32 v5, v3
	s_waitcnt lgkmcnt(0)
	v_add_f32_e32 v2, v2, v5
.LBB72_50:
	s_or_b32 exec_lo, exec_lo, s0
	s_and_saveexec_b32 s0, vcc_lo
	s_cbranch_execz .LBB72_52
; %bb.51:
	ds_read_b32 v5, v3 offset:64
	s_waitcnt lgkmcnt(0)
	v_add_f32_e32 v1, v1, v5
.LBB72_52:
	s_or_b32 exec_lo, exec_lo, s0
.LBB72_53:
	s_or_b32 exec_lo, exec_lo, s1
	v_and_b32_e32 v5, 0x3e1, v0
	s_mov_b32 s1, exec_lo
	s_barrier
	buffer_gl0_inv
	v_cmpx_eq_u32_e32 32, v5
; %bb.54:
	ds_write2_b32 v4, v2, v1 offset1:16
; %bb.55:
	s_or_b32 exec_lo, exec_lo, s1
	s_mov_b32 s1, exec_lo
	s_waitcnt lgkmcnt(0)
	s_barrier
	buffer_gl0_inv
	v_cmpx_gt_u32_e32 32, v0
	s_cbranch_execz .LBB72_61
; %bb.56:
	s_and_saveexec_b32 s0, vcc_lo
	s_cbranch_execz .LBB72_58
; %bb.57:
	ds_read_b32 v0, v3
	s_waitcnt lgkmcnt(0)
	v_add_f32_e32 v2, v2, v0
.LBB72_58:
	s_or_b32 exec_lo, exec_lo, s0
	s_and_saveexec_b32 s0, vcc_lo
	s_cbranch_execz .LBB72_60
; %bb.59:
	ds_read_b32 v0, v3 offset:64
	s_waitcnt lgkmcnt(0)
	v_add_f32_e32 v1, v1, v0
.LBB72_60:
	s_or_b32 exec_lo, exec_lo, s0
.LBB72_61:
	s_or_b32 exec_lo, exec_lo, s1
	s_barrier
	buffer_gl0_inv
	s_mov_b32 s0, exec_lo
	v_cmpx_eq_u32_e32 0, v5
	s_cbranch_execz .LBB72_63
; %bb.62:
	s_mul_i32 s0, s10, s11
	s_mul_i32 s2, s11, s20
	;; [unrolled: 1-line block ×3, first 2 shown]
	v_lshlrev_b32_e32 v0, 1, v9
	s_lshl_b32 s0, s0, 5
	;;#ASMSTART
	v_cvt_f16_f32 v2, v2;

	;;#ASMEND
	s_ashr_i32 s1, s0, 31
	s_lshl_b64 s[0:1], s[0:1], 1
	s_add_u32 s4, s6, s0
	s_addc_u32 s5, s7, s1
	s_ashr_i32 s3, s2, 31
	s_lshl_b64 s[0:1], s[2:3], 1
	s_add_u32 s2, s4, s0
	s_addc_u32 s3, s5, s1
	s_lshl_b32 s0, s8, 5
	s_ashr_i32 s1, s0, 31
	s_lshl_b64 s[0:1], s[0:1], 1
	s_add_u32 s0, s2, s0
	s_addc_u32 s1, s3, s1
	global_store_short v0, v2, s[0:1]
	;;#ASMSTART
	v_cvt_f16_f32 v1, v1;

	;;#ASMEND
	global_store_short v0, v1, s[0:1] offset:32
.LBB72_63:
	s_endpgm
	.section	.rodata,"a",@progbits
	.p2align	6, 0x0
	.amdhsa_kernel _ZN4vllm25paged_attention_v1_kernelIttLi32ELi16ELi128ELNS_18Fp8KVCacheDataTypeE0ELb1EEEvPT_PKS2_PKT0_S8_ifPKiSA_iPKfiiiSC_SC_iiiii
		.amdhsa_group_segment_fixed_size 96
		.amdhsa_private_segment_fixed_size 0
		.amdhsa_kernarg_size 384
		.amdhsa_user_sgpr_count 6
		.amdhsa_user_sgpr_private_segment_buffer 1
		.amdhsa_user_sgpr_dispatch_ptr 0
		.amdhsa_user_sgpr_queue_ptr 0
		.amdhsa_user_sgpr_kernarg_segment_ptr 1
		.amdhsa_user_sgpr_dispatch_id 0
		.amdhsa_user_sgpr_flat_scratch_init 0
		.amdhsa_user_sgpr_private_segment_size 0
		.amdhsa_wavefront_size32 1
		.amdhsa_uses_dynamic_stack 0
		.amdhsa_system_sgpr_private_segment_wavefront_offset 0
		.amdhsa_system_sgpr_workgroup_id_x 1
		.amdhsa_system_sgpr_workgroup_id_y 1
		.amdhsa_system_sgpr_workgroup_id_z 1
		.amdhsa_system_sgpr_workgroup_info 0
		.amdhsa_system_vgpr_workitem_id 0
		.amdhsa_next_free_vgpr 52
		.amdhsa_next_free_sgpr 38
		.amdhsa_reserve_vcc 1
		.amdhsa_reserve_flat_scratch 0
		.amdhsa_float_round_mode_32 0
		.amdhsa_float_round_mode_16_64 0
		.amdhsa_float_denorm_mode_32 3
		.amdhsa_float_denorm_mode_16_64 3
		.amdhsa_dx10_clamp 1
		.amdhsa_ieee_mode 1
		.amdhsa_fp16_overflow 0
		.amdhsa_workgroup_processor_mode 1
		.amdhsa_memory_ordered 1
		.amdhsa_forward_progress 1
		.amdhsa_shared_vgpr_count 0
		.amdhsa_exception_fp_ieee_invalid_op 0
		.amdhsa_exception_fp_denorm_src 0
		.amdhsa_exception_fp_ieee_div_zero 0
		.amdhsa_exception_fp_ieee_overflow 0
		.amdhsa_exception_fp_ieee_underflow 0
		.amdhsa_exception_fp_ieee_inexact 0
		.amdhsa_exception_int_div_zero 0
	.end_amdhsa_kernel
	.section	.text._ZN4vllm25paged_attention_v1_kernelIttLi32ELi16ELi128ELNS_18Fp8KVCacheDataTypeE0ELb1EEEvPT_PKS2_PKT0_S8_ifPKiSA_iPKfiiiSC_SC_iiiii,"axG",@progbits,_ZN4vllm25paged_attention_v1_kernelIttLi32ELi16ELi128ELNS_18Fp8KVCacheDataTypeE0ELb1EEEvPT_PKS2_PKT0_S8_ifPKiSA_iPKfiiiSC_SC_iiiii,comdat
.Lfunc_end72:
	.size	_ZN4vllm25paged_attention_v1_kernelIttLi32ELi16ELi128ELNS_18Fp8KVCacheDataTypeE0ELb1EEEvPT_PKS2_PKT0_S8_ifPKiSA_iPKfiiiSC_SC_iiiii, .Lfunc_end72-_ZN4vllm25paged_attention_v1_kernelIttLi32ELi16ELi128ELNS_18Fp8KVCacheDataTypeE0ELb1EEEvPT_PKS2_PKT0_S8_ifPKiSA_iPKfiiiSC_SC_iiiii
                                        ; -- End function
	.set _ZN4vllm25paged_attention_v1_kernelIttLi32ELi16ELi128ELNS_18Fp8KVCacheDataTypeE0ELb1EEEvPT_PKS2_PKT0_S8_ifPKiSA_iPKfiiiSC_SC_iiiii.num_vgpr, 52
	.set _ZN4vllm25paged_attention_v1_kernelIttLi32ELi16ELi128ELNS_18Fp8KVCacheDataTypeE0ELb1EEEvPT_PKS2_PKT0_S8_ifPKiSA_iPKfiiiSC_SC_iiiii.num_agpr, 0
	.set _ZN4vllm25paged_attention_v1_kernelIttLi32ELi16ELi128ELNS_18Fp8KVCacheDataTypeE0ELb1EEEvPT_PKS2_PKT0_S8_ifPKiSA_iPKfiiiSC_SC_iiiii.numbered_sgpr, 38
	.set _ZN4vllm25paged_attention_v1_kernelIttLi32ELi16ELi128ELNS_18Fp8KVCacheDataTypeE0ELb1EEEvPT_PKS2_PKT0_S8_ifPKiSA_iPKfiiiSC_SC_iiiii.num_named_barrier, 0
	.set _ZN4vllm25paged_attention_v1_kernelIttLi32ELi16ELi128ELNS_18Fp8KVCacheDataTypeE0ELb1EEEvPT_PKS2_PKT0_S8_ifPKiSA_iPKfiiiSC_SC_iiiii.private_seg_size, 0
	.set _ZN4vllm25paged_attention_v1_kernelIttLi32ELi16ELi128ELNS_18Fp8KVCacheDataTypeE0ELb1EEEvPT_PKS2_PKT0_S8_ifPKiSA_iPKfiiiSC_SC_iiiii.uses_vcc, 1
	.set _ZN4vllm25paged_attention_v1_kernelIttLi32ELi16ELi128ELNS_18Fp8KVCacheDataTypeE0ELb1EEEvPT_PKS2_PKT0_S8_ifPKiSA_iPKfiiiSC_SC_iiiii.uses_flat_scratch, 0
	.set _ZN4vllm25paged_attention_v1_kernelIttLi32ELi16ELi128ELNS_18Fp8KVCacheDataTypeE0ELb1EEEvPT_PKS2_PKT0_S8_ifPKiSA_iPKfiiiSC_SC_iiiii.has_dyn_sized_stack, 0
	.set _ZN4vllm25paged_attention_v1_kernelIttLi32ELi16ELi128ELNS_18Fp8KVCacheDataTypeE0ELb1EEEvPT_PKS2_PKT0_S8_ifPKiSA_iPKfiiiSC_SC_iiiii.has_recursion, 0
	.set _ZN4vllm25paged_attention_v1_kernelIttLi32ELi16ELi128ELNS_18Fp8KVCacheDataTypeE0ELb1EEEvPT_PKS2_PKT0_S8_ifPKiSA_iPKfiiiSC_SC_iiiii.has_indirect_call, 0
	.section	.AMDGPU.csdata,"",@progbits
; Kernel info:
; codeLenInByte = 5352
; TotalNumSgprs: 40
; NumVgprs: 52
; ScratchSize: 0
; MemoryBound: 0
; FloatMode: 240
; IeeeMode: 1
; LDSByteSize: 96 bytes/workgroup (compile time only)
; SGPRBlocks: 0
; VGPRBlocks: 6
; NumSGPRsForWavesPerEU: 40
; NumVGPRsForWavesPerEU: 52
; Occupancy: 16
; WaveLimiterHint : 1
; COMPUTE_PGM_RSRC2:SCRATCH_EN: 0
; COMPUTE_PGM_RSRC2:USER_SGPR: 6
; COMPUTE_PGM_RSRC2:TRAP_HANDLER: 0
; COMPUTE_PGM_RSRC2:TGID_X_EN: 1
; COMPUTE_PGM_RSRC2:TGID_Y_EN: 1
; COMPUTE_PGM_RSRC2:TGID_Z_EN: 1
; COMPUTE_PGM_RSRC2:TIDIG_COMP_CNT: 0
	.section	.text._ZN4vllm25paged_attention_v1_kernelIttLi64ELi16ELi128ELNS_18Fp8KVCacheDataTypeE0ELb1EEEvPT_PKS2_PKT0_S8_ifPKiSA_iPKfiiiSC_SC_iiiii,"axG",@progbits,_ZN4vllm25paged_attention_v1_kernelIttLi64ELi16ELi128ELNS_18Fp8KVCacheDataTypeE0ELb1EEEvPT_PKS2_PKT0_S8_ifPKiSA_iPKfiiiSC_SC_iiiii,comdat
	.protected	_ZN4vllm25paged_attention_v1_kernelIttLi64ELi16ELi128ELNS_18Fp8KVCacheDataTypeE0ELb1EEEvPT_PKS2_PKT0_S8_ifPKiSA_iPKfiiiSC_SC_iiiii ; -- Begin function _ZN4vllm25paged_attention_v1_kernelIttLi64ELi16ELi128ELNS_18Fp8KVCacheDataTypeE0ELb1EEEvPT_PKS2_PKT0_S8_ifPKiSA_iPKfiiiSC_SC_iiiii
	.globl	_ZN4vllm25paged_attention_v1_kernelIttLi64ELi16ELi128ELNS_18Fp8KVCacheDataTypeE0ELb1EEEvPT_PKS2_PKT0_S8_ifPKiSA_iPKfiiiSC_SC_iiiii
	.p2align	8
	.type	_ZN4vllm25paged_attention_v1_kernelIttLi64ELi16ELi128ELNS_18Fp8KVCacheDataTypeE0ELb1EEEvPT_PKS2_PKT0_S8_ifPKiSA_iPKfiiiSC_SC_iiiii,@function
_ZN4vllm25paged_attention_v1_kernelIttLi64ELi16ELi128ELNS_18Fp8KVCacheDataTypeE0ELb1EEEvPT_PKS2_PKT0_S8_ifPKiSA_iPKfiiiSC_SC_iiiii: ; @_ZN4vllm25paged_attention_v1_kernelIttLi64ELi16ELi128ELNS_18Fp8KVCacheDataTypeE0ELb1EEEvPT_PKS2_PKT0_S8_ifPKiSA_iPKfiiiSC_SC_iiiii
; %bb.0:
	s_clause 0x2
	s_load_dword s9, s[4:5], 0x80
	s_load_dwordx2 s[0:1], s[4:5], 0x30
	s_load_dwordx2 s[28:29], s[4:5], 0x20
	s_mov_b32 s10, s7
	s_ashr_i32 s11, s7, 31
	s_mov_b32 s33, 0
	s_lshl_b64 s[2:3], s[10:11], 2
	s_waitcnt lgkmcnt(0)
	s_add_u32 s0, s0, s2
	s_addc_u32 s1, s1, s3
	s_abs_i32 s2, s28
	s_abs_i32 s11, s9
	v_cvt_f32_u32_e32 v1, s2
	s_sub_i32 s7, 0, s2
	v_rcp_iflag_f32_e32 v1, v1
	v_mul_f32_e32 v1, 0x4f7ffffe, v1
	v_cvt_u32_f32_e32 v1, v1
	v_readfirstlane_b32 s3, v1
	s_mul_i32 s7, s7, s3
	s_mul_hi_u32 s7, s3, s7
	s_add_i32 s3, s3, s7
	s_xor_b32 s7, s9, s28
	s_mul_hi_u32 s3, s11, s3
	s_ashr_i32 s7, s7, 31
	s_mul_i32 s12, s3, s2
	s_sub_i32 s11, s11, s12
	s_add_i32 s12, s3, 1
	s_sub_i32 s13, s11, s2
	s_cmp_ge_u32 s11, s2
	s_cselect_b32 s3, s12, s3
	s_cselect_b32 s11, s13, s11
	s_add_i32 s12, s3, 1
	s_cmp_ge_u32 s11, s2
	s_cselect_b32 s2, s12, s3
	s_abs_i32 s22, s6
	s_xor_b32 s2, s2, s7
	s_sub_i32 s16, s2, s7
	s_load_dwordx2 s[2:3], s[4:5], 0x40
	s_abs_i32 s11, s16
	v_cvt_f32_u32_e32 v1, s11
	s_sub_i32 s12, 0, s11
	v_rcp_iflag_f32_e32 v1, v1
	v_mul_f32_e32 v1, 0x4f7ffffe, v1
	v_cvt_u32_f32_e32 v1, v1
	v_readfirstlane_b32 s7, v1
	s_mul_i32 s12, s12, s7
	s_mul_hi_u32 s12, s7, s12
	s_add_i32 s7, s7, s12
	s_waitcnt lgkmcnt(0)
	s_cmp_eq_u64 s[2:3], 0
	s_mul_hi_u32 s23, s22, s7
	s_cbranch_scc1 .LBB73_2
; %bb.1:
	s_ashr_i32 s7, s6, 31
	s_lshl_b64 s[12:13], s[6:7], 2
	s_add_u32 s2, s2, s12
	s_addc_u32 s3, s3, s13
	s_load_dword s33, s[2:3], 0x0
.LBB73_2:
	s_load_dword s30, s[0:1], 0x0
	s_load_dwordx4 s[12:15], s[4:5], 0x48
	v_lshrrev_b32_e32 v13, 1, v0
	v_and_b32_e32 v14, 1, v0
	v_lshlrev_b32_e32 v17, 3, v0
	s_ashr_i32 s0, s6, 31
	s_ashr_i32 s1, s16, 31
	s_lshl_b32 s20, s6, 6
	s_mov_b32 s2, exec_lo
	v_cmpx_gt_u32_e32 16, v0
	s_cbranch_execz .LBB73_4
; %bb.3:
	s_load_dwordx2 s[16:17], s[4:5], 0x8
	s_waitcnt lgkmcnt(0)
	s_mul_i32 s18, s12, s10
	v_lshlrev_b32_e32 v3, 3, v13
	s_ashr_i32 s19, s18, 31
	s_lshl_b64 s[18:19], s[18:19], 1
	v_lshl_add_u32 v3, v14, 6, v3
	s_add_u32 s3, s16, s18
	s_addc_u32 s7, s17, s19
	s_ashr_i32 s21, s20, 31
	s_lshl_b64 s[16:17], s[20:21], 1
	s_add_u32 s16, s3, s16
	s_addc_u32 s17, s7, s17
	global_load_dwordx2 v[1:2], v17, s[16:17]
	s_waitcnt vmcnt(0)
	ds_write_b64 v3, v[1:2]
.LBB73_4:
	s_or_b32 exec_lo, exec_lo, s2
	s_load_dwordx4 s[16:19], s[4:5], 0x68
	s_mul_i32 s2, s23, s11
	s_xor_b32 s1, s0, s1
	s_sub_i32 s0, s22, s2
	s_add_i32 s2, s23, 1
	s_sub_i32 s3, s0, s11
	s_cmp_ge_u32 s0, s11
	s_waitcnt lgkmcnt(0)
	s_cselect_b32 s2, s2, s23
	s_cselect_b32 s0, s3, s0
	s_add_i32 s3, s2, 1
	s_cmp_ge_u32 s0, s11
	s_load_dword s0, s[4:5], 0x78
	s_cselect_b32 s2, s3, s2
	s_add_i32 s7, s30, -1
	s_xor_b32 s2, s2, s1
	s_abs_i32 s3, s7
	s_sub_i32 s1, s2, s1
	s_mov_b32 s11, -1
	s_barrier
	s_abs_i32 s12, s19
	s_waitcnt lgkmcnt(0)
	buffer_gl0_inv
	v_cvt_f32_u32_e32 v1, s12
	s_sub_i32 s2, 0, s12
                                        ; implicit-def: $sgpr31
	v_rcp_iflag_f32_e32 v1, v1
	v_mul_f32_e32 v1, 0x4f7ffffe, v1
	v_cvt_u32_f32_e32 v1, v1
	v_readfirstlane_b32 s21, v1
	s_mul_i32 s2, s2, s21
	s_mul_hi_u32 s2, s21, s2
	s_add_i32 s21, s21, s2
	s_cmp_lt_i32 s0, 0
	s_mul_hi_u32 s2, s3, s21
	s_cbranch_scc0 .LBB73_6
; %bb.5:
	s_mul_i32 s11, s16, s28
	s_add_i32 s11, s1, s11
	s_mul_i32 s11, s11, s0
	s_sub_i32 s31, 1, s11
	s_mov_b32 s11, 0
.LBB73_6:
	s_load_dwordx2 s[22:23], s[4:5], 0x28
	s_ashr_i32 s7, s7, 31
	s_andn2_b32 vcc_lo, exec_lo, s11
	s_ashr_i32 s19, s19, 31
	s_cbranch_vccnz .LBB73_8
; %bb.7:
	s_mul_i32 s11, s9, s16
	s_add_i32 s6, s11, s6
	s_mul_i32 s0, s6, s0
	s_add_i32 s31, s0, 1
.LBB73_8:
	s_load_dword s0, s[4:5], 0x38
	s_mul_i32 s6, s2, s12
	s_xor_b32 s15, s7, s19
	s_sub_i32 s3, s3, s6
	s_add_i32 s16, s2, 1
	s_clause 0x2
	s_load_dwordx2 s[6:7], s[4:5], 0x0
	s_load_dwordx2 s[26:27], s[4:5], 0x18
	s_load_dword s11, s[4:5], 0x88
	v_lshrrev_b32_e32 v15, 5, v0
	v_mov_b32_e32 v20, 0xff7fffff
	v_lshrrev_b32_e32 v18, 3, v0
	v_mbcnt_lo_u32_b32 v19, -1, 0
	s_mul_i32 s14, s1, s14
	v_lshlrev_b32_e32 v16, 4, v15
	s_waitcnt lgkmcnt(0)
	s_mul_i32 s24, s0, s10
	s_sub_i32 s0, s3, s12
	s_ashr_i32 s25, s24, 31
	s_cmp_ge_u32 s3, s12
	s_cselect_b32 s2, s16, s2
	s_cselect_b32 s0, s0, s3
	s_add_i32 s3, s2, 1
	s_cmp_ge_u32 s0, s12
	s_cselect_b32 s0, s3, s2
	s_add_i32 s2, s30, 15
	s_ashr_i32 s3, s2, 31
	s_lshr_b32 s3, s3, 28
	s_add_i32 s2, s2, s3
	s_ashr_i32 s16, s2, 4
	s_xor_b32 s2, s0, s15
	v_cmp_gt_i32_e64 s0, s16, v15
	s_sub_i32 s28, s2, s15
	s_and_saveexec_b32 s34, s0
	s_cbranch_execz .LBB73_20
; %bb.9:
	s_load_dwordx2 s[2:3], s[4:5], 0x10
	s_ashr_i32 s15, s14, 31
	s_sub_i32 s4, s28, s17
	s_lshl_b64 s[36:37], s[14:15], 1
	v_bfe_u32 v21, v0, 1, 4
	v_and_b32_e32 v2, 0x7c, v18
	v_and_b32_e32 v3, 8, v17
	v_lshlrev_b32_e32 v22, 6, v14
	v_cmp_neq_f32_e64 s1, s33, 0
	v_lshlrev_b32_e32 v4, 2, v21
	v_subrev_nc_u32_e32 v5, s30, v21
	v_lshlrev_b32_e32 v23, 4, v15
	v_mov_b32_e32 v24, 0xff7fffff
	v_xor_b32_e32 v25, 1, v19
	v_lshl_or_b32 v4, v15, 6, v4
	v_add_nc_u32_e32 v26, 1, v5
	v_mov_b32_e32 v20, 0xff7fffff
	v_mov_b32_e32 v31, v15
	v_cmp_eq_u32_e32 vcc_lo, 0, v14
	v_add_nc_u32_e32 v27, 0xa0, v4
	s_waitcnt lgkmcnt(0)
	s_add_u32 s15, s2, s36
	s_addc_u32 s35, s3, s37
	s_abs_i32 s5, s18
	v_cvt_f32_u32_e32 v1, s5
	s_sub_i32 s2, 0, s5
	v_rcp_iflag_f32_e32 v1, v1
	v_mul_f32_e32 v1, 0x4f7ffffe, v1
	v_cvt_u32_f32_e32 v6, v1
	v_lshlrev_b32_e32 v1, 4, v21
	v_mul_lo_u32 v4, s2, v6
	s_lshl_b64 s[2:3], s[24:25], 2
	v_add_co_u32 v5, s15, s15, v1
	s_add_u32 s2, s22, s2
	v_add_co_ci_u32_e64 v7, null, s35, 0, s15
	s_addc_u32 s3, s23, s3
	v_mul_hi_u32 v4, v6, v4
	v_add_co_u32 v1, s2, s2, v2
	v_add_co_ci_u32_e64 v2, null, s3, 0, s2
	v_add_co_u32 v28, s2, v5, v3
	v_add_co_ci_u32_e64 v29, null, 0, v7, s2
	v_add_nc_u32_e32 v30, v6, v4
	s_mov_b32 s15, 0
	s_mov_b32 s35, s13
	s_branch .LBB73_12
.LBB73_10:                              ;   in Loop: Header=BB73_12 Depth=1
	s_or_b32 exec_lo, exec_lo, s36
.LBB73_11:                              ;   in Loop: Header=BB73_12 Depth=1
	s_or_b32 exec_lo, exec_lo, s3
	v_add_nc_u32_e32 v31, 4, v31
	v_add_co_u32 v1, s3, v1, 16
	v_add_co_ci_u32_e64 v2, null, 0, v2, s3
	v_cmp_le_i32_e64 s2, s16, v31
	v_add_nc_u32_e32 v23, 64, v23
	v_add_nc_u32_e32 v27, 0x100, v27
	s_or_b32 s15, s2, s15
	s_andn2_b32 exec_lo, exec_lo, s15
	s_cbranch_execz .LBB73_19
.LBB73_12:                              ; =>This Inner Loop Header: Depth=1
	v_mul_hi_u32 v3, v23, s21
	s_waitcnt lgkmcnt(0)
	v_mul_lo_u32 v4, v3, s12
	v_add_nc_u32_e32 v5, 1, v3
	v_sub_nc_u32_e32 v4, v23, v4
	v_subrev_nc_u32_e32 v6, s12, v4
	v_cmp_le_u32_e64 s2, s12, v4
	v_cndmask_b32_e64 v3, v3, v5, s2
	v_cndmask_b32_e64 v4, v4, v6, s2
	v_add_nc_u32_e32 v5, 1, v3
	v_cmp_le_u32_e64 s2, s12, v4
	v_cndmask_b32_e64 v3, v3, v5, s2
	v_xor_b32_e32 v3, s19, v3
	v_subrev_nc_u32_e32 v3, s19, v3
	v_add_nc_u32_e32 v4, s31, v3
	v_cmp_ge_i32_e64 s3, s4, v3
	v_sub_nc_u32_e32 v5, 0, v4
	v_max_i32_e32 v5, v4, v5
	v_ashrrev_i32_e32 v4, 31, v4
	v_mul_hi_u32 v6, v5, v30
	v_mul_lo_u32 v6, v6, s5
	v_sub_nc_u32_e32 v5, v5, v6
	v_subrev_nc_u32_e32 v6, s5, v5
	v_cmp_le_u32_e64 s2, s5, v5
	v_cndmask_b32_e64 v5, v5, v6, s2
	v_subrev_nc_u32_e32 v6, s5, v5
	v_cmp_le_u32_e64 s2, s5, v5
	v_cndmask_b32_e64 v5, v5, v6, s2
	v_xor_b32_e32 v5, v5, v4
	v_sub_nc_u32_e32 v4, v5, v4
	v_cmp_ne_u32_e64 s2, 0, v4
	s_and_b32 s2, s2, s3
	s_and_saveexec_b32 s3, s2
	s_xor_b32 s2, exec_lo, s3
	s_cbranch_execz .LBB73_16
; %bb.13:                               ;   in Loop: Header=BB73_12 Depth=1
	s_and_saveexec_b32 s3, vcc_lo
; %bb.14:                               ;   in Loop: Header=BB73_12 Depth=1
	ds_write_b32 v27, v24
; %bb.15:                               ;   in Loop: Header=BB73_12 Depth=1
	s_or_b32 exec_lo, exec_lo, s3
.LBB73_16:                              ;   in Loop: Header=BB73_12 Depth=1
	s_andn2_saveexec_b32 s3, s2
	s_cbranch_execz .LBB73_11
; %bb.17:                               ;   in Loop: Header=BB73_12 Depth=1
	global_load_dword v3, v[1:2], off
	s_waitcnt vmcnt(0)
	v_mad_i64_i32 v[3:4], null, v3, s35, 0
	v_lshlrev_b64 v[3:4], 1, v[3:4]
	v_add_co_u32 v3, s2, v28, v3
	v_add_co_ci_u32_e64 v4, null, v29, v4, s2
	v_cmp_gt_i32_e64 s2, 32, v25
	s_clause 0x7
	global_load_dwordx2 v[33:34], v[3:4], off
	global_load_dwordx2 v[40:41], v[3:4], off offset:256
	global_load_dwordx2 v[48:49], v[3:4], off offset:512
	;; [unrolled: 1-line block ×7, first 2 shown]
	ds_read_b64 v[35:36], v22
	s_waitcnt lgkmcnt(0)
	v_and_b32_e32 v32, 0xffff, v35
	v_lshrrev_b32_e32 v35, 16, v35
	v_lshrrev_b32_e32 v38, 16, v36
	v_and_b32_e32 v39, 0xffff, v36
	;;#ASMSTART
	v_cvt_f32_f16 v32, v32;
	;;#ASMEND
	s_waitcnt vmcnt(7)
	v_and_b32_e32 v36, 0xffff, v33
	v_lshrrev_b32_e32 v37, 16, v33
	v_lshrrev_b32_e32 v42, 16, v34
	v_and_b32_e32 v43, 0xffff, v34
	;;#ASMSTART
	v_cvt_f32_f16 v33, v35;
	;;#ASMEND
	;;#ASMSTART
	v_cvt_f32_f16 v36, v36;
	;;#ASMEND
	;; [unrolled: 3-line block ×7, first 2 shown]
	ds_read_b64 v[42:43], v22 offset:8
	s_waitcnt vmcnt(6)
	v_lshrrev_b32_e32 v45, 16, v40
	v_and_b32_e32 v44, 0xffff, v40
	v_lshrrev_b32_e32 v47, 16, v41
	v_and_b32_e32 v46, 0xffff, v41
	s_waitcnt vmcnt(5)
	v_lshrrev_b32_e32 v55, 16, v48
	v_and_b32_e32 v48, 0xffff, v48
	v_lshrrev_b32_e32 v58, 16, v49
	v_and_b32_e32 v49, 0xffff, v49
	;; [unrolled: 5-line block ×4, first 2 shown]
	s_waitcnt vmcnt(2)
	v_lshrrev_b32_e32 v71, 16, v7
	v_and_b32_e32 v7, 0xffff, v7
	v_lshrrev_b32_e32 v75, 16, v8
	s_waitcnt lgkmcnt(0)
	v_and_b32_e32 v40, 0xffff, v42
	v_lshrrev_b32_e32 v42, 16, v42
	v_lshrrev_b32_e32 v50, 16, v43
	v_and_b32_e32 v43, 0xffff, v43
	;;#ASMSTART
	v_cvt_f32_f16 v40, v40;
	;;#ASMEND
	;;#ASMSTART
	v_cvt_f32_f16 v41, v42;
	;;#ASMEND
	;;#ASMSTART
	v_cvt_f32_f16 v44, v44;
	;;#ASMEND
	;;#ASMSTART
	v_cvt_f32_f16 v45, v45;
	;;#ASMEND
	;;#ASMSTART
	v_cvt_f32_f16 v42, v43;
	;;#ASMEND
	;;#ASMSTART
	v_cvt_f32_f16 v43, v50;
	;;#ASMEND
	;;#ASMSTART
	v_cvt_f32_f16 v46, v46;
	;;#ASMEND
	;;#ASMSTART
	v_cvt_f32_f16 v47, v47;
	;;#ASMEND
	ds_read_b64 v[50:51], v22 offset:16
	v_and_b32_e32 v8, 0xffff, v8
	v_mul_f32_e32 v40, v40, v44
	v_mul_f32_e32 v41, v41, v45
	v_mul_f32_e32 v42, v42, v46
	v_mul_f32_e32 v43, v43, v47
	s_waitcnt vmcnt(1)
	v_lshrrev_b32_e32 v76, 16, v5
	v_fmac_f32_e32 v40, v32, v36
	v_fmac_f32_e32 v41, v33, v37
	;; [unrolled: 1-line block ×3, first 2 shown]
	v_and_b32_e32 v5, 0xffff, v5
	v_lshrrev_b32_e32 v77, 16, v6
	v_and_b32_e32 v6, 0xffff, v6
	v_fmac_f32_e32 v43, v35, v39
	s_waitcnt vmcnt(0)
	v_lshrrev_b32_e32 v44, 16, v3
	v_and_b32_e32 v38, 0xffff, v3
	s_waitcnt lgkmcnt(0)
	v_and_b32_e32 v52, 0xffff, v50
	v_lshrrev_b32_e32 v50, 16, v50
	v_lshrrev_b32_e32 v57, 16, v51
	v_and_b32_e32 v51, 0xffff, v51
	;;#ASMSTART
	v_cvt_f32_f16 v52, v52;
	;;#ASMEND
	;;#ASMSTART
	v_cvt_f32_f16 v53, v50;
	;;#ASMEND
	;;#ASMSTART
	v_cvt_f32_f16 v54, v48;
	;;#ASMEND
	;;#ASMSTART
	v_cvt_f32_f16 v55, v55;
	;;#ASMEND
	;;#ASMSTART
	v_cvt_f32_f16 v56, v51;
	;;#ASMEND
	;;#ASMSTART
	v_cvt_f32_f16 v48, v57;
	;;#ASMEND
	;;#ASMSTART
	v_cvt_f32_f16 v57, v49;
	;;#ASMEND
	;;#ASMSTART
	v_cvt_f32_f16 v49, v58;
	;;#ASMEND
	ds_read_b64 v[50:51], v22 offset:24
	v_fmac_f32_e32 v40, v52, v54
	v_fmac_f32_e32 v41, v53, v55
	v_fmac_f32_e32 v42, v56, v57
	v_fmac_f32_e32 v43, v48, v49
	s_waitcnt lgkmcnt(0)
	v_and_b32_e32 v58, 0xffff, v50
	v_lshrrev_b32_e32 v60, 16, v50
	v_lshrrev_b32_e32 v61, 16, v51
	v_and_b32_e32 v62, 0xffff, v51
	;;#ASMSTART
	v_cvt_f32_f16 v50, v58;
	;;#ASMEND
	;;#ASMSTART
	v_cvt_f32_f16 v51, v60;
	;;#ASMEND
	;;#ASMSTART
	v_cvt_f32_f16 v58, v11;
	;;#ASMEND
	;;#ASMSTART
	v_cvt_f32_f16 v59, v59;
	;;#ASMEND
	;;#ASMSTART
	v_cvt_f32_f16 v60, v62;
	;;#ASMEND
	;;#ASMSTART
	v_cvt_f32_f16 v61, v61;
	;;#ASMEND
	;;#ASMSTART
	v_cvt_f32_f16 v62, v12;
	;;#ASMEND
	;;#ASMSTART
	v_cvt_f32_f16 v63, v63;
	;;#ASMEND
	ds_read_b64 v[11:12], v22 offset:32
	v_fmac_f32_e32 v40, v50, v58
	v_fmac_f32_e32 v41, v51, v59
	v_fmac_f32_e32 v42, v60, v62
	v_fmac_f32_e32 v43, v61, v63
	;; [unrolled: 34-line block ×3, first 2 shown]
	v_lshrrev_b32_e32 v11, 16, v4
	s_waitcnt lgkmcnt(0)
	v_and_b32_e32 v70, 0xffff, v9
	v_lshrrev_b32_e32 v72, 16, v9
	v_lshrrev_b32_e32 v73, 16, v10
	v_and_b32_e32 v74, 0xffff, v10
	;;#ASMSTART
	v_cvt_f32_f16 v9, v70;
	;;#ASMEND
	;;#ASMSTART
	v_cvt_f32_f16 v10, v72;
	;;#ASMEND
	;; [unrolled: 3-line block ×8, first 2 shown]
	ds_read_b64 v[7:8], v22 offset:48
	v_fmac_f32_e32 v40, v9, v70
	v_fmac_f32_e32 v41, v10, v71
	v_fmac_f32_e32 v42, v72, v74
	v_and_b32_e32 v9, 0xffff, v4
	v_fmac_f32_e32 v43, v73, v75
	s_waitcnt lgkmcnt(0)
	v_and_b32_e32 v32, 0xffff, v7
	v_lshrrev_b32_e32 v33, 16, v7
	v_lshrrev_b32_e32 v35, 16, v8
	v_and_b32_e32 v34, 0xffff, v8
	;;#ASMSTART
	v_cvt_f32_f16 v7, v32;
	;;#ASMEND
	;;#ASMSTART
	v_cvt_f32_f16 v8, v33;
	;;#ASMEND
	;; [unrolled: 3-line block ×8, first 2 shown]
	ds_read_b64 v[5:6], v22 offset:56
	v_fmac_f32_e32 v40, v7, v32
	v_fmac_f32_e32 v41, v8, v33
	;; [unrolled: 1-line block ×4, first 2 shown]
	s_waitcnt lgkmcnt(0)
	v_and_b32_e32 v3, 0xffff, v5
	v_lshrrev_b32_e32 v4, 16, v5
	v_lshrrev_b32_e32 v7, 16, v6
	v_and_b32_e32 v8, 0xffff, v6
	;;#ASMSTART
	v_cvt_f32_f16 v3, v3;
	;;#ASMEND
	;;#ASMSTART
	v_cvt_f32_f16 v4, v4;
	;;#ASMEND
	;; [unrolled: 3-line block ×4, first 2 shown]
	v_fmac_f32_e32 v40, v3, v5
	v_fmac_f32_e32 v41, v4, v6
	;;#ASMSTART
	v_cvt_f32_f16 v3, v8;
	;;#ASMEND
	;;#ASMSTART
	v_cvt_f32_f16 v4, v7;
	;;#ASMEND
	;; [unrolled: 3-line block ×3, first 2 shown]
	v_fmac_f32_e32 v42, v3, v5
	v_add_f32_e32 v3, v40, v41
	;;#ASMSTART
	v_cvt_f32_f16 v5, v11;
	;;#ASMEND
	v_fmac_f32_e32 v43, v4, v5
	v_cndmask_b32_e64 v4, v19, v25, s2
	v_add_f32_e32 v3, v3, v42
	v_lshlrev_b32_e32 v4, 2, v4
	v_add_f32_e32 v3, v43, v3
	ds_bpermute_b32 v4, v4, v3
	s_and_saveexec_b32 s36, vcc_lo
	s_cbranch_execz .LBB73_10
; %bb.18:                               ;   in Loop: Header=BB73_12 Depth=1
	v_add_nc_u32_e32 v5, v26, v23
	s_waitcnt lgkmcnt(0)
	v_add_f32_e32 v3, v3, v4
	v_cvt_f32_i32_e32 v5, v5
	v_mul_f32_e32 v5, s33, v5
	v_cndmask_b32_e64 v4, 0, v5, s1
	v_max_f32_e32 v5, v20, v20
	v_fmac_f32_e32 v4, s29, v3
	v_add_nc_u32_e32 v3, v21, v23
	v_max_f32_e32 v5, v5, v4
	v_cmp_gt_i32_e64 s2, s30, v3
	v_cndmask_b32_e64 v3, 0, v4, s2
	v_cndmask_b32_e64 v20, v20, v5, s2
	ds_write_b32 v27, v3
	s_branch .LBB73_10
.LBB73_19:
	s_or_b32 exec_lo, exec_lo, s15
.LBB73_20:
	s_or_b32 exec_lo, exec_lo, s34
	v_xor_b32_e32 v1, 16, v19
	v_xor_b32_e32 v3, 8, v19
	v_max_f32_e32 v5, v20, v20
	v_xor_b32_e32 v6, 2, v19
	v_and_b32_e32 v9, 31, v0
	v_cmp_gt_i32_e32 vcc_lo, 32, v1
	v_cndmask_b32_e32 v1, v19, v1, vcc_lo
	v_cmp_gt_i32_e32 vcc_lo, 32, v3
	v_lshlrev_b32_e32 v2, 2, v1
	v_cndmask_b32_e32 v3, v19, v3, vcc_lo
	ds_bpermute_b32 v1, v2, v20
	s_waitcnt lgkmcnt(1)
	v_lshlrev_b32_e32 v4, 2, v3
	s_waitcnt lgkmcnt(0)
	v_max_f32_e32 v1, v1, v1
	v_max_f32_e32 v1, v5, v1
	v_xor_b32_e32 v5, 4, v19
	ds_bpermute_b32 v3, v4, v1
	v_cmp_gt_i32_e32 vcc_lo, 32, v5
	v_cndmask_b32_e32 v5, v19, v5, vcc_lo
	v_cmp_gt_i32_e32 vcc_lo, 32, v6
	v_lshlrev_b32_e32 v5, 2, v5
	v_cndmask_b32_e32 v6, v19, v6, vcc_lo
	v_cmp_eq_u32_e32 vcc_lo, 0, v9
	s_waitcnt lgkmcnt(0)
	v_max_f32_e32 v3, v3, v3
	v_max_f32_e32 v1, v1, v3
	ds_bpermute_b32 v3, v5, v1
	s_waitcnt lgkmcnt(0)
	v_max_f32_e32 v3, v3, v3
	v_max_f32_e32 v3, v1, v3
	v_lshlrev_b32_e32 v1, 2, v6
	v_lshlrev_b32_e32 v6, 2, v15
	ds_bpermute_b32 v7, v1, v3
	s_and_saveexec_b32 s1, vcc_lo
	s_cbranch_execz .LBB73_22
; %bb.21:
	s_waitcnt lgkmcnt(0)
	v_max_f32_e32 v7, v7, v7
	v_max_f32_e32 v3, v3, v3
	;; [unrolled: 1-line block ×3, first 2 shown]
	ds_write_b32 v6, v3 offset:128
.LBB73_22:
	s_or_b32 exec_lo, exec_lo, s1
	v_cmp_gt_u32_e64 s1, 4, v9
	v_mov_b32_e32 v3, 0xff7fffff
	s_waitcnt lgkmcnt(0)
	v_lshlrev_b32_e32 v7, 2, v9
	s_barrier
	buffer_gl0_inv
	s_and_saveexec_b32 s2, s1
; %bb.23:
	ds_read_b32 v3, v7 offset:128
; %bb.24:
	s_or_b32 exec_lo, exec_lo, s2
	s_waitcnt lgkmcnt(0)
	ds_bpermute_b32 v8, v1, v3
	v_xor_b32_e32 v10, 1, v19
	v_max_f32_e32 v3, v3, v3
	v_cmp_gt_i32_e64 s2, 32, v10
	v_cndmask_b32_e64 v10, v19, v10, s2
	s_lshl_b32 s2, s16, 4
	s_min_i32 s4, s2, s30
	v_lshlrev_b32_e32 v10, 2, v10
	v_cmp_gt_i32_e64 s2, s4, v0
	s_waitcnt lgkmcnt(0)
	v_max_f32_e32 v8, v8, v8
	v_max_f32_e32 v3, v3, v8
	ds_bpermute_b32 v8, v10, v3
	s_waitcnt lgkmcnt(0)
	v_max_f32_e32 v8, v8, v8
	v_max_f32_e32 v3, v3, v8
	v_mov_b32_e32 v8, 0
	ds_bpermute_b32 v11, v8, v3
	v_lshl_add_u32 v3, v0, 2, 0xa0
	s_and_saveexec_b32 s5, s2
	s_cbranch_execz .LBB73_28
; %bb.25:
	v_lshl_add_u32 v12, v0, 2, 0xa0
	v_mov_b32_e32 v8, 0
	v_mov_b32_e32 v19, v0
	s_mov_b32 s15, 0
	.p2align	6
.LBB73_26:                              ; =>This Inner Loop Header: Depth=1
	ds_read_b32 v20, v12
	v_add_nc_u32_e32 v19, 0x80, v19
	v_cmp_le_i32_e64 s3, s4, v19
	s_or_b32 s15, s3, s15
	s_waitcnt lgkmcnt(0)
	v_sub_f32_e32 v20, v20, v11
	v_mul_f32_e32 v20, 0x3fb8aa3b, v20
	v_exp_f32_e32 v20, v20
	ds_write_b32 v12, v20
	v_add_f32_e32 v8, v8, v20
	v_add_nc_u32_e32 v12, 0x200, v12
	s_andn2_b32 exec_lo, exec_lo, s15
	s_cbranch_execnz .LBB73_26
; %bb.27:
	s_or_b32 exec_lo, exec_lo, s15
.LBB73_28:
	s_or_b32 exec_lo, exec_lo, s5
	ds_bpermute_b32 v2, v2, v8
	s_waitcnt lgkmcnt(0)
	v_add_f32_e32 v2, v8, v2
	ds_bpermute_b32 v4, v4, v2
	s_waitcnt lgkmcnt(0)
	v_add_f32_e32 v2, v2, v4
	;; [unrolled: 3-line block ×5, first 2 shown]
	s_and_saveexec_b32 s3, vcc_lo
; %bb.29:
	ds_write_b32 v6, v2 offset:144
; %bb.30:
	s_or_b32 exec_lo, exec_lo, s3
	s_waitcnt lgkmcnt(0)
	s_barrier
	buffer_gl0_inv
	s_and_saveexec_b32 s3, s1
; %bb.31:
	ds_read_b32 v2, v7 offset:144
; %bb.32:
	s_or_b32 exec_lo, exec_lo, s3
	s_waitcnt lgkmcnt(0)
	ds_bpermute_b32 v1, v1, v2
	s_waitcnt lgkmcnt(0)
	v_add_f32_e32 v1, v2, v1
	ds_bpermute_b32 v2, v10, v1
	s_waitcnt lgkmcnt(0)
	v_add_f32_e32 v1, v1, v2
	v_mov_b32_e32 v2, 0
	ds_bpermute_b32 v1, v2, v1
	s_and_saveexec_b32 s1, s2
	s_cbranch_execz .LBB73_35
; %bb.33:
	s_waitcnt lgkmcnt(0)
	v_add_f32_e32 v1, 0x358637bd, v1
	s_mov_b32 s2, 0
	v_div_scale_f32 v2, null, v1, v1, 1.0
	v_div_scale_f32 v6, vcc_lo, 1.0, v1, 1.0
	v_rcp_f32_e32 v4, v2
	v_fma_f32 v5, -v2, v4, 1.0
	v_fmac_f32_e32 v4, v5, v4
	v_mul_f32_e32 v5, v6, v4
	v_fma_f32 v7, -v2, v5, v6
	v_fmac_f32_e32 v5, v7, v4
	v_fma_f32 v2, -v2, v5, v6
	v_div_fmas_f32 v2, v2, v4, v5
	v_div_fixup_f32 v1, v2, v1, 1.0
	v_mov_b32_e32 v2, v0
.LBB73_34:                              ; =>This Inner Loop Header: Depth=1
	ds_read_b32 v4, v3
	v_add_nc_u32_e32 v2, 0x80, v2
	v_cmp_le_i32_e32 vcc_lo, s4, v2
	s_or_b32 s2, vcc_lo, s2
	s_waitcnt lgkmcnt(0)
	v_mul_f32_e32 v4, v1, v4
	ds_write_b32 v3, v4
	v_add_nc_u32_e32 v3, 0x200, v3
	s_andn2_b32 exec_lo, exec_lo, s2
	s_cbranch_execnz .LBB73_34
.LBB73_35:
	s_or_b32 exec_lo, exec_lo, s1
	v_mov_b32_e32 v20, 0
	v_mov_b32_e32 v19, 0
	;; [unrolled: 1-line block ×4, first 2 shown]
	s_waitcnt lgkmcnt(0)
	s_barrier
	buffer_gl0_inv
	s_and_saveexec_b32 s2, s0
	s_cbranch_execz .LBB73_49
; %bb.36:
	s_ashr_i32 s15, s14, 31
	s_sub_i32 s3, s28, s17
	s_lshl_b64 s[0:1], s[14:15], 1
	v_lshlrev_b32_e32 v2, 4, v0
	s_add_u32 s14, s26, s0
	s_addc_u32 s15, s27, s1
	s_abs_i32 s4, s18
	v_lshlrev_b32_e32 v4, 5, v14
	v_cvt_f32_u32_e32 v1, s4
	s_sub_i32 s0, 0, s4
	v_and_b32_e32 v3, 0x7c, v18
	v_and_b32_e32 v2, 0x1f0, v2
	s_add_i32 s5, s16, -1
	v_rcp_iflag_f32_e32 v1, v1
	v_lshl_or_b32 v4, v15, 6, v4
	v_and_b32_e32 v17, 8, v17
	v_add_co_u32 v18, s14, s14, v2
	v_mov_b32_e32 v21, 0
	v_mov_b32_e32 v11, 0
	;; [unrolled: 1-line block ×5, first 2 shown]
	v_mul_f32_e32 v1, 0x4f7ffffe, v1
	v_add_co_ci_u32_e64 v22, null, s15, 0, s14
	v_add_nc_u32_e32 v23, 0xa0, v4
	v_mov_b32_e32 v25, v15
	v_cvt_u32_f32_e32 v1, v1
	s_mov_b32 s14, s13
	s_mov_b32 s13, 0
	v_mul_lo_u32 v5, s0, v1
	s_lshl_b64 s[0:1], s[24:25], 2
	s_add_u32 s0, s22, s0
	s_addc_u32 s1, s23, s1
	v_mul_hi_u32 v7, v1, v5
	v_add_co_u32 v5, s0, s0, v3
	v_add_co_ci_u32_e64 v6, null, s1, 0, s0
	v_add_nc_u32_e32 v24, v1, v7
	s_branch .LBB73_39
.LBB73_37:                              ;   in Loop: Header=BB73_39 Depth=1
	s_or_b32 exec_lo, exec_lo, s1
	v_lshlrev_b32_e32 v26, 16, v44
	v_lshlrev_b32_e32 v8, 16, v8
	;; [unrolled: 1-line block ×3, first 2 shown]
	v_and_or_b32 v1, 0xffff, v1, v26
	v_and_or_b32 v2, 0xffff, v2, v8
	;; [unrolled: 1-line block ×3, first 2 shown]
	;;#ASMSTART
	v_pk_mul_f16 v1, v35, v1;

	;;#ASMEND
	;;#ASMSTART
	v_pk_mul_f16 v2, v34, v2;

	;;#ASMEND
	;; [unrolled: 4-line block ×4, first 2 shown]
	;;#ASMSTART
	v_pk_add_f16 v1, v1, v2;

	;;#ASMEND
	;;#ASMSTART
	v_pk_add_f16 v1, v1, v3;

	;;#ASMEND
	;; [unrolled: 4-line block ×3, first 2 shown]
	v_and_b32_e32 v4, 0xffff, v1
	v_lshrrev_b32_e32 v7, 16, v1
	;;#ASMSTART
	v_cvt_f32_f16 v4, v4;
	;;#ASMEND
	v_add_f32_e32 v1, v42, v43
	v_add_f32_e32 v2, v40, v41
	;; [unrolled: 1-line block ×3, first 2 shown]
	;;#ASMSTART
	v_cvt_f32_f16 v7, v7;
	;;#ASMEND
	v_add_f32_e32 v4, v4, v7
	v_add_f32_e32 v12, v12, v1
	;; [unrolled: 1-line block ×5, first 2 shown]
.LBB73_38:                              ;   in Loop: Header=BB73_39 Depth=1
	s_or_b32 exec_lo, exec_lo, s15
	v_add_nc_u32_e32 v25, 4, v25
	v_add_co_u32 v5, s0, v5, 16
	v_add_co_ci_u32_e64 v6, null, 0, v6, s0
	v_cmp_le_i32_e32 vcc_lo, s16, v25
	v_add_nc_u32_e32 v16, 64, v16
	v_add_nc_u32_e32 v23, 0x100, v23
	s_or_b32 s13, vcc_lo, s13
	s_andn2_b32 exec_lo, exec_lo, s13
	s_cbranch_execz .LBB73_48
.LBB73_39:                              ; =>This Inner Loop Header: Depth=1
	v_mul_hi_u32 v1, v16, s21
	v_mul_lo_u32 v2, v1, s12
	v_add_nc_u32_e32 v3, 1, v1
	v_sub_nc_u32_e32 v2, v16, v2
	v_subrev_nc_u32_e32 v4, s12, v2
	v_cmp_le_u32_e32 vcc_lo, s12, v2
	v_cndmask_b32_e32 v1, v1, v3, vcc_lo
	v_cndmask_b32_e32 v2, v2, v4, vcc_lo
	v_add_nc_u32_e32 v3, 1, v1
	v_cmp_le_u32_e32 vcc_lo, s12, v2
	v_cndmask_b32_e32 v1, v1, v3, vcc_lo
	v_xor_b32_e32 v1, s19, v1
	v_subrev_nc_u32_e32 v1, s19, v1
	v_add_nc_u32_e32 v2, s31, v1
	v_cmp_lt_i32_e64 s0, s3, v1
	v_sub_nc_u32_e32 v3, 0, v2
	v_max_i32_e32 v3, v2, v3
	v_ashrrev_i32_e32 v2, 31, v2
	v_mul_hi_u32 v4, v3, v24
	v_mul_lo_u32 v4, v4, s4
	v_sub_nc_u32_e32 v3, v3, v4
	v_subrev_nc_u32_e32 v4, s4, v3
	v_cmp_le_u32_e32 vcc_lo, s4, v3
	v_cndmask_b32_e32 v3, v3, v4, vcc_lo
	v_subrev_nc_u32_e32 v4, s4, v3
	v_cmp_le_u32_e32 vcc_lo, s4, v3
	v_cndmask_b32_e32 v3, v3, v4, vcc_lo
	v_xor_b32_e32 v3, v3, v2
	v_sub_nc_u32_e32 v2, v3, v2
	v_cmp_eq_u32_e32 vcc_lo, 0, v2
	s_or_b32 s0, vcc_lo, s0
	s_and_saveexec_b32 s15, s0
	s_cbranch_execz .LBB73_38
; %bb.40:                               ;   in Loop: Header=BB73_39 Depth=1
	global_load_dword v7, v[5:6], off
	ds_read2_b64 v[1:4], v23 offset1:1
	ds_read2_b64 v[26:29], v23 offset0:2 offset1:3
	v_add_nc_u32_e32 v31, v17, v16
	v_cmp_eq_u32_e64 s0, s5, v25
	s_waitcnt lgkmcnt(1)
	;;#ASMSTART
	v_cvt_f16_f32 v35, v1;

	;;#ASMEND
	;;#ASMSTART
	v_cvt_f16_f32 v34, v2;

	;;#ASMEND
	;; [unrolled: 4-line block ×4, first 2 shown]
	s_waitcnt lgkmcnt(0)
	;;#ASMSTART
	v_cvt_f16_f32 v41, v26;

	;;#ASMEND
	;;#ASMSTART
	v_cvt_f16_f32 v37, v27;

	;;#ASMEND
	;; [unrolled: 4-line block ×4, first 2 shown]
	v_add_nc_u32_e32 v33, 1, v31
	v_add_nc_u32_e32 v30, 2, v31
	;; [unrolled: 1-line block ×7, first 2 shown]
	s_waitcnt vmcnt(0)
	v_mad_i64_i32 v[7:8], null, v7, s14, 0
	v_lshlrev_b64 v[7:8], 1, v[7:8]
	v_add_co_u32 v7, vcc_lo, v18, v7
	v_add_co_ci_u32_e64 v8, null, v22, v8, vcc_lo
	global_load_dwordx4 v[1:4], v[7:8], off
	s_waitcnt vmcnt(0)
	v_lshrrev_b32_e32 v44, 16, v1
	v_lshrrev_b32_e32 v43, 16, v2
	;; [unrolled: 1-line block ×3, first 2 shown]
	s_and_saveexec_b32 s17, s0
	s_cbranch_execz .LBB73_42
; %bb.41:                               ;   in Loop: Header=BB73_39 Depth=1
	v_cmp_gt_i32_e32 vcc_lo, s30, v31
	v_and_b32_e32 v45, 0xffff0000, v4
	v_cmp_gt_i32_e64 s1, s30, v30
	v_cndmask_b32_e32 v1, 0, v1, vcc_lo
	v_cmp_gt_i32_e32 vcc_lo, s30, v33
	v_cndmask_b32_e64 v2, 0, v2, s1
	v_cmp_gt_i32_e64 s1, s30, v29
	v_cndmask_b32_e32 v44, 0, v44, vcc_lo
	v_cmp_gt_i32_e32 vcc_lo, s30, v32
	v_cndmask_b32_e64 v43, 0, v43, s1
	v_cndmask_b32_sdwa v4, v21, v4, vcc_lo dst_sel:DWORD dst_unused:UNUSED_PAD src0_sel:DWORD src1_sel:WORD_0
	v_cmp_gt_i32_e32 vcc_lo, s30, v28
	v_cndmask_b32_e32 v45, 0, v45, vcc_lo
	v_cmp_gt_i32_e32 vcc_lo, s30, v27
	v_or_b32_e32 v4, v4, v45
	v_cndmask_b32_e32 v3, 0, v3, vcc_lo
	v_cmp_gt_i32_e32 vcc_lo, s30, v26
	v_cndmask_b32_e32 v42, 0, v42, vcc_lo
.LBB73_42:                              ;   in Loop: Header=BB73_39 Depth=1
	s_or_b32 exec_lo, exec_lo, s17
	v_and_b32_e32 v35, 0xffff, v35
	v_and_b32_e32 v40, 0xffff, v40
	v_lshlrev_b32_e32 v44, 16, v44
	v_lshlrev_b32_e32 v42, 16, v42
	v_and_b32_e32 v41, 0xffff, v41
	v_lshl_or_b32 v35, v34, 16, v35
	v_lshl_or_b32 v34, v38, 16, v40
	v_lshlrev_b32_e32 v40, 16, v43
	v_and_b32_e32 v39, 0xffff, v39
	v_and_or_b32 v1, 0xffff, v1, v44
	v_and_or_b32 v3, 0xffff, v3, v42
	;;#ASMSTART
	v_pk_mul_f16 v1, v35, v1;

	;;#ASMEND
	v_and_or_b32 v2, 0xffff, v2, v40
	v_lshl_or_b32 v38, v37, 16, v41
	v_lshl_or_b32 v39, v36, 16, v39
	;;#ASMSTART
	v_pk_mul_f16 v2, v34, v2;

	;;#ASMEND
	;;#ASMSTART
	v_pk_mul_f16 v3, v38, v3;

	;;#ASMEND
	;; [unrolled: 4-line block ×3, first 2 shown]
	;;#ASMSTART
	v_pk_add_f16 v1, v1, v2;

	;;#ASMEND
	;;#ASMSTART
	v_pk_add_f16 v1, v1, v3;

	;;#ASMEND
	;; [unrolled: 4-line block ×3, first 2 shown]
	v_and_b32_e32 v2, 0xffff, v1
	v_lshrrev_b32_e32 v1, 16, v1
	;;#ASMSTART
	v_cvt_f32_f16 v36, v2;
	;;#ASMEND
	;;#ASMSTART
	v_cvt_f32_f16 v37, v1;
	;;#ASMEND
	global_load_dwordx4 v[1:4], v[7:8], off offset:512
	s_waitcnt vmcnt(0)
	v_lshrrev_b32_e32 v42, 16, v1
	v_lshrrev_b32_e32 v41, 16, v2
	;; [unrolled: 1-line block ×3, first 2 shown]
	s_and_saveexec_b32 s17, s0
	s_cbranch_execz .LBB73_44
; %bb.43:                               ;   in Loop: Header=BB73_39 Depth=1
	v_cmp_gt_i32_e32 vcc_lo, s30, v31
	v_and_b32_e32 v43, 0xffff0000, v4
	v_cmp_gt_i32_e64 s1, s30, v30
	v_cndmask_b32_e32 v1, 0, v1, vcc_lo
	v_cmp_gt_i32_e32 vcc_lo, s30, v33
	v_cndmask_b32_e64 v2, 0, v2, s1
	v_cmp_gt_i32_e64 s1, s30, v29
	v_cndmask_b32_e32 v42, 0, v42, vcc_lo
	v_cmp_gt_i32_e32 vcc_lo, s30, v32
	v_cndmask_b32_e64 v41, 0, v41, s1
	v_cndmask_b32_sdwa v4, v21, v4, vcc_lo dst_sel:DWORD dst_unused:UNUSED_PAD src0_sel:DWORD src1_sel:WORD_0
	v_cmp_gt_i32_e32 vcc_lo, s30, v28
	v_cndmask_b32_e32 v43, 0, v43, vcc_lo
	v_cmp_gt_i32_e32 vcc_lo, s30, v27
	v_or_b32_e32 v4, v4, v43
	v_cndmask_b32_e32 v3, 0, v3, vcc_lo
	v_cmp_gt_i32_e32 vcc_lo, s30, v26
	v_cndmask_b32_e32 v40, 0, v40, vcc_lo
.LBB73_44:                              ;   in Loop: Header=BB73_39 Depth=1
	s_or_b32 exec_lo, exec_lo, s17
	v_lshlrev_b32_e32 v42, 16, v42
	v_lshlrev_b32_e32 v41, 16, v41
	;; [unrolled: 1-line block ×3, first 2 shown]
	v_and_or_b32 v1, 0xffff, v1, v42
	v_and_or_b32 v2, 0xffff, v2, v41
	;; [unrolled: 1-line block ×3, first 2 shown]
	;;#ASMSTART
	v_pk_mul_f16 v1, v35, v1;

	;;#ASMEND
	;;#ASMSTART
	v_pk_mul_f16 v2, v34, v2;

	;;#ASMEND
	;; [unrolled: 4-line block ×4, first 2 shown]
	;;#ASMSTART
	v_pk_add_f16 v1, v1, v2;

	;;#ASMEND
	;;#ASMSTART
	v_pk_add_f16 v1, v1, v3;

	;;#ASMEND
	;; [unrolled: 4-line block ×3, first 2 shown]
	v_and_b32_e32 v2, 0xffff, v1
	v_lshrrev_b32_e32 v1, 16, v1
	;;#ASMSTART
	v_cvt_f32_f16 v40, v2;
	;;#ASMEND
	;;#ASMSTART
	v_cvt_f32_f16 v41, v1;
	;;#ASMEND
	global_load_dwordx4 v[1:4], v[7:8], off offset:1024
	s_waitcnt vmcnt(0)
	v_lshrrev_b32_e32 v44, 16, v1
	v_lshrrev_b32_e32 v43, 16, v2
	v_lshrrev_b32_e32 v42, 16, v3
	s_and_saveexec_b32 s17, s0
	s_cbranch_execz .LBB73_46
; %bb.45:                               ;   in Loop: Header=BB73_39 Depth=1
	v_cmp_gt_i32_e32 vcc_lo, s30, v31
	v_and_b32_e32 v45, 0xffff0000, v4
	v_cmp_gt_i32_e64 s1, s30, v30
	v_cndmask_b32_e32 v1, 0, v1, vcc_lo
	v_cmp_gt_i32_e32 vcc_lo, s30, v33
	v_cndmask_b32_e64 v2, 0, v2, s1
	v_cmp_gt_i32_e64 s1, s30, v29
	v_cndmask_b32_e32 v44, 0, v44, vcc_lo
	v_cmp_gt_i32_e32 vcc_lo, s30, v32
	v_cndmask_b32_e64 v43, 0, v43, s1
	v_cndmask_b32_sdwa v4, v21, v4, vcc_lo dst_sel:DWORD dst_unused:UNUSED_PAD src0_sel:DWORD src1_sel:WORD_0
	v_cmp_gt_i32_e32 vcc_lo, s30, v28
	v_cndmask_b32_e32 v45, 0, v45, vcc_lo
	v_cmp_gt_i32_e32 vcc_lo, s30, v27
	v_or_b32_e32 v4, v4, v45
	v_cndmask_b32_e32 v3, 0, v3, vcc_lo
	v_cmp_gt_i32_e32 vcc_lo, s30, v26
	v_cndmask_b32_e32 v42, 0, v42, vcc_lo
.LBB73_46:                              ;   in Loop: Header=BB73_39 Depth=1
	s_or_b32 exec_lo, exec_lo, s17
	v_lshlrev_b32_e32 v44, 16, v44
	v_lshlrev_b32_e32 v43, 16, v43
	;; [unrolled: 1-line block ×3, first 2 shown]
	v_and_or_b32 v1, 0xffff, v1, v44
	v_and_or_b32 v2, 0xffff, v2, v43
	;; [unrolled: 1-line block ×3, first 2 shown]
	;;#ASMSTART
	v_pk_mul_f16 v1, v35, v1;

	;;#ASMEND
	;;#ASMSTART
	v_pk_mul_f16 v2, v34, v2;

	;;#ASMEND
	;; [unrolled: 4-line block ×4, first 2 shown]
	;;#ASMSTART
	v_pk_add_f16 v1, v1, v2;

	;;#ASMEND
	;;#ASMSTART
	v_pk_add_f16 v1, v1, v3;

	;;#ASMEND
	;; [unrolled: 4-line block ×3, first 2 shown]
	v_and_b32_e32 v2, 0xffff, v1
	v_lshrrev_b32_e32 v1, 16, v1
	;;#ASMSTART
	v_cvt_f32_f16 v42, v2;
	;;#ASMEND
	;;#ASMSTART
	v_cvt_f32_f16 v43, v1;
	;;#ASMEND
	global_load_dwordx4 v[1:4], v[7:8], off offset:1536
	s_waitcnt vmcnt(0)
	v_lshrrev_b32_e32 v44, 16, v1
	v_lshrrev_b32_e32 v8, 16, v2
	;; [unrolled: 1-line block ×3, first 2 shown]
	s_and_saveexec_b32 s1, s0
	s_cbranch_execz .LBB73_37
; %bb.47:                               ;   in Loop: Header=BB73_39 Depth=1
	v_cmp_gt_i32_e32 vcc_lo, s30, v31
	v_cmp_gt_i32_e64 s0, s30, v30
	v_cndmask_b32_e32 v1, 0, v1, vcc_lo
	v_cmp_gt_i32_e32 vcc_lo, s30, v33
	v_cndmask_b32_e64 v2, 0, v2, s0
	v_cmp_gt_i32_e64 s0, s30, v29
	v_and_b32_e32 v29, 0xffff0000, v4
	v_cndmask_b32_e32 v44, 0, v44, vcc_lo
	v_cmp_gt_i32_e32 vcc_lo, s30, v32
	v_cndmask_b32_e64 v8, 0, v8, s0
	v_cndmask_b32_sdwa v4, v21, v4, vcc_lo dst_sel:DWORD dst_unused:UNUSED_PAD src0_sel:DWORD src1_sel:WORD_0
	v_cmp_gt_i32_e32 vcc_lo, s30, v28
	v_cndmask_b32_e32 v28, 0, v29, vcc_lo
	v_cmp_gt_i32_e32 vcc_lo, s30, v27
	v_or_b32_e32 v4, v4, v28
	v_cndmask_b32_e32 v3, 0, v3, vcc_lo
	v_cmp_gt_i32_e32 vcc_lo, s30, v26
	v_cndmask_b32_e32 v7, 0, v7, vcc_lo
	s_branch .LBB73_37
.LBB73_48:
	s_or_b32 exec_lo, exec_lo, s13
.LBB73_49:
	s_or_b32 exec_lo, exec_lo, s2
	ds_bpermute_b32 v1, v10, v20
	ds_bpermute_b32 v2, v10, v19
	ds_bpermute_b32 v8, v10, v12
	ds_bpermute_b32 v10, v10, v11
	v_lshrrev_b32_e32 v5, 1, v9
	v_lshlrev_b32_e32 v7, 8, v15
	v_and_b32_e32 v9, 0x3c1, v0
	s_mov_b32 s0, exec_lo
	s_waitcnt lgkmcnt(0)
	v_lshl_add_u32 v6, v5, 2, 0xa0
	s_barrier
	buffer_gl0_inv
	v_add_f32_e32 v4, v20, v1
	v_add_f32_e32 v3, v19, v2
	;; [unrolled: 1-line block ×4, first 2 shown]
	v_cmpx_eq_u32_e32 64, v9
	s_cbranch_execz .LBB73_51
; %bb.50:
	v_add_nc_u32_e32 v8, v6, v7
	v_add_nc_u32_e32 v9, 0xfffffe00, v8
	;; [unrolled: 1-line block ×5, first 2 shown]
	ds_write_b32 v9, v4
	ds_write_b32 v10, v3
	;; [unrolled: 1-line block ×4, first 2 shown]
.LBB73_51:
	s_or_b32 exec_lo, exec_lo, s0
	v_lshlrev_b32_e32 v5, 2, v5
	s_mov_b32 s1, exec_lo
	v_cmp_eq_u32_e32 vcc_lo, 0, v14
	s_waitcnt lgkmcnt(0)
	s_barrier
	v_add3_u32 v5, 0xa0, v7, v5
	buffer_gl0_inv
	v_cmpx_gt_u32_e32 64, v0
	s_cbranch_execz .LBB73_58
; %bb.52:
	s_and_saveexec_b32 s0, vcc_lo
	s_cbranch_execnz .LBB73_70
; %bb.53:
	s_or_b32 exec_lo, exec_lo, s0
	s_and_saveexec_b32 s0, vcc_lo
	s_cbranch_execnz .LBB73_71
.LBB73_54:
	s_or_b32 exec_lo, exec_lo, s0
	s_and_saveexec_b32 s0, vcc_lo
	s_cbranch_execnz .LBB73_72
.LBB73_55:
	s_or_b32 exec_lo, exec_lo, s0
	s_and_saveexec_b32 s0, vcc_lo
	s_cbranch_execz .LBB73_57
.LBB73_56:
	ds_read_b32 v7, v5 offset:192
	s_waitcnt lgkmcnt(0)
	v_add_f32_e32 v1, v1, v7
.LBB73_57:
	s_or_b32 exec_lo, exec_lo, s0
.LBB73_58:
	s_or_b32 exec_lo, exec_lo, s1
	v_and_b32_e32 v7, 0x3e1, v0
	s_mov_b32 s1, exec_lo
	s_barrier
	buffer_gl0_inv
	v_cmpx_eq_u32_e32 32, v7
	s_cbranch_execz .LBB73_60
; %bb.59:
	ds_write2_b32 v6, v4, v3 offset1:16
	ds_write2_b32 v6, v2, v1 offset0:32 offset1:48
.LBB73_60:
	s_or_b32 exec_lo, exec_lo, s1
	s_mov_b32 s1, exec_lo
	s_waitcnt lgkmcnt(0)
	s_barrier
	buffer_gl0_inv
	v_cmpx_gt_u32_e32 32, v0
	s_cbranch_execz .LBB73_67
; %bb.61:
	s_and_saveexec_b32 s0, vcc_lo
	s_cbranch_execnz .LBB73_73
; %bb.62:
	s_or_b32 exec_lo, exec_lo, s0
	s_and_saveexec_b32 s0, vcc_lo
	s_cbranch_execnz .LBB73_74
.LBB73_63:
	s_or_b32 exec_lo, exec_lo, s0
	s_and_saveexec_b32 s0, vcc_lo
	s_cbranch_execnz .LBB73_75
.LBB73_64:
	s_or_b32 exec_lo, exec_lo, s0
	s_and_saveexec_b32 s0, vcc_lo
	s_cbranch_execz .LBB73_66
.LBB73_65:
	ds_read_b32 v0, v5 offset:192
	s_waitcnt lgkmcnt(0)
	v_add_f32_e32 v1, v1, v0
.LBB73_66:
	s_or_b32 exec_lo, exec_lo, s0
.LBB73_67:
	s_or_b32 exec_lo, exec_lo, s1
	s_barrier
	buffer_gl0_inv
	s_mov_b32 s0, exec_lo
	v_cmpx_eq_u32_e32 0, v7
	s_cbranch_execz .LBB73_69
; %bb.68:
	s_mul_i32 s0, s10, s11
	s_mul_i32 s2, s11, s20
	;; [unrolled: 1-line block ×3, first 2 shown]
	v_lshlrev_b32_e32 v0, 1, v13
	s_lshl_b32 s0, s0, 6
	;;#ASMSTART
	v_cvt_f16_f32 v4, v4;

	;;#ASMEND
	s_ashr_i32 s1, s0, 31
	s_lshl_b64 s[0:1], s[0:1], 1
	s_add_u32 s4, s6, s0
	s_addc_u32 s5, s7, s1
	s_ashr_i32 s3, s2, 31
	s_lshl_b64 s[0:1], s[2:3], 1
	s_add_u32 s2, s4, s0
	s_addc_u32 s3, s5, s1
	s_lshl_b32 s0, s8, 6
	s_ashr_i32 s1, s0, 31
	s_lshl_b64 s[0:1], s[0:1], 1
	s_add_u32 s0, s2, s0
	s_addc_u32 s1, s3, s1
	global_store_short v0, v4, s[0:1]
	;;#ASMSTART
	v_cvt_f16_f32 v3, v3;

	;;#ASMEND
	global_store_short v0, v3, s[0:1] offset:32
	;;#ASMSTART
	v_cvt_f16_f32 v2, v2;

	;;#ASMEND
	global_store_short v0, v2, s[0:1] offset:64
	;;#ASMSTART
	v_cvt_f16_f32 v1, v1;

	;;#ASMEND
	global_store_short v0, v1, s[0:1] offset:96
.LBB73_69:
	s_endpgm
.LBB73_70:
	ds_read_b32 v7, v5
	s_waitcnt lgkmcnt(0)
	v_add_f32_e32 v4, v4, v7
	s_or_b32 exec_lo, exec_lo, s0
	s_and_saveexec_b32 s0, vcc_lo
	s_cbranch_execz .LBB73_54
.LBB73_71:
	ds_read_b32 v7, v5 offset:64
	s_waitcnt lgkmcnt(0)
	v_add_f32_e32 v3, v3, v7
	s_or_b32 exec_lo, exec_lo, s0
	s_and_saveexec_b32 s0, vcc_lo
	s_cbranch_execz .LBB73_55
.LBB73_72:
	ds_read_b32 v7, v5 offset:128
	s_waitcnt lgkmcnt(0)
	v_add_f32_e32 v2, v2, v7
	s_or_b32 exec_lo, exec_lo, s0
	s_and_saveexec_b32 s0, vcc_lo
	s_cbranch_execnz .LBB73_56
	s_branch .LBB73_57
.LBB73_73:
	ds_read_b32 v0, v5
	s_waitcnt lgkmcnt(0)
	v_add_f32_e32 v4, v4, v0
	s_or_b32 exec_lo, exec_lo, s0
	s_and_saveexec_b32 s0, vcc_lo
	s_cbranch_execz .LBB73_63
.LBB73_74:
	ds_read_b32 v0, v5 offset:64
	s_waitcnt lgkmcnt(0)
	v_add_f32_e32 v3, v3, v0
	s_or_b32 exec_lo, exec_lo, s0
	s_and_saveexec_b32 s0, vcc_lo
	s_cbranch_execz .LBB73_64
.LBB73_75:
	ds_read_b32 v0, v5 offset:128
	s_waitcnt lgkmcnt(0)
	v_add_f32_e32 v2, v2, v0
	s_or_b32 exec_lo, exec_lo, s0
	s_and_saveexec_b32 s0, vcc_lo
	s_cbranch_execnz .LBB73_65
	s_branch .LBB73_66
	.section	.rodata,"a",@progbits
	.p2align	6, 0x0
	.amdhsa_kernel _ZN4vllm25paged_attention_v1_kernelIttLi64ELi16ELi128ELNS_18Fp8KVCacheDataTypeE0ELb1EEEvPT_PKS2_PKT0_S8_ifPKiSA_iPKfiiiSC_SC_iiiii
		.amdhsa_group_segment_fixed_size 160
		.amdhsa_private_segment_fixed_size 0
		.amdhsa_kernarg_size 384
		.amdhsa_user_sgpr_count 6
		.amdhsa_user_sgpr_private_segment_buffer 1
		.amdhsa_user_sgpr_dispatch_ptr 0
		.amdhsa_user_sgpr_queue_ptr 0
		.amdhsa_user_sgpr_kernarg_segment_ptr 1
		.amdhsa_user_sgpr_dispatch_id 0
		.amdhsa_user_sgpr_flat_scratch_init 0
		.amdhsa_user_sgpr_private_segment_size 0
		.amdhsa_wavefront_size32 1
		.amdhsa_uses_dynamic_stack 0
		.amdhsa_system_sgpr_private_segment_wavefront_offset 0
		.amdhsa_system_sgpr_workgroup_id_x 1
		.amdhsa_system_sgpr_workgroup_id_y 1
		.amdhsa_system_sgpr_workgroup_id_z 1
		.amdhsa_system_sgpr_workgroup_info 0
		.amdhsa_system_vgpr_workitem_id 0
		.amdhsa_next_free_vgpr 78
		.amdhsa_next_free_sgpr 38
		.amdhsa_reserve_vcc 1
		.amdhsa_reserve_flat_scratch 0
		.amdhsa_float_round_mode_32 0
		.amdhsa_float_round_mode_16_64 0
		.amdhsa_float_denorm_mode_32 3
		.amdhsa_float_denorm_mode_16_64 3
		.amdhsa_dx10_clamp 1
		.amdhsa_ieee_mode 1
		.amdhsa_fp16_overflow 0
		.amdhsa_workgroup_processor_mode 1
		.amdhsa_memory_ordered 1
		.amdhsa_forward_progress 1
		.amdhsa_shared_vgpr_count 0
		.amdhsa_exception_fp_ieee_invalid_op 0
		.amdhsa_exception_fp_denorm_src 0
		.amdhsa_exception_fp_ieee_div_zero 0
		.amdhsa_exception_fp_ieee_overflow 0
		.amdhsa_exception_fp_ieee_underflow 0
		.amdhsa_exception_fp_ieee_inexact 0
		.amdhsa_exception_int_div_zero 0
	.end_amdhsa_kernel
	.section	.text._ZN4vllm25paged_attention_v1_kernelIttLi64ELi16ELi128ELNS_18Fp8KVCacheDataTypeE0ELb1EEEvPT_PKS2_PKT0_S8_ifPKiSA_iPKfiiiSC_SC_iiiii,"axG",@progbits,_ZN4vllm25paged_attention_v1_kernelIttLi64ELi16ELi128ELNS_18Fp8KVCacheDataTypeE0ELb1EEEvPT_PKS2_PKT0_S8_ifPKiSA_iPKfiiiSC_SC_iiiii,comdat
.Lfunc_end73:
	.size	_ZN4vllm25paged_attention_v1_kernelIttLi64ELi16ELi128ELNS_18Fp8KVCacheDataTypeE0ELb1EEEvPT_PKS2_PKT0_S8_ifPKiSA_iPKfiiiSC_SC_iiiii, .Lfunc_end73-_ZN4vllm25paged_attention_v1_kernelIttLi64ELi16ELi128ELNS_18Fp8KVCacheDataTypeE0ELb1EEEvPT_PKS2_PKT0_S8_ifPKiSA_iPKfiiiSC_SC_iiiii
                                        ; -- End function
	.set _ZN4vllm25paged_attention_v1_kernelIttLi64ELi16ELi128ELNS_18Fp8KVCacheDataTypeE0ELb1EEEvPT_PKS2_PKT0_S8_ifPKiSA_iPKfiiiSC_SC_iiiii.num_vgpr, 78
	.set _ZN4vllm25paged_attention_v1_kernelIttLi64ELi16ELi128ELNS_18Fp8KVCacheDataTypeE0ELb1EEEvPT_PKS2_PKT0_S8_ifPKiSA_iPKfiiiSC_SC_iiiii.num_agpr, 0
	.set _ZN4vllm25paged_attention_v1_kernelIttLi64ELi16ELi128ELNS_18Fp8KVCacheDataTypeE0ELb1EEEvPT_PKS2_PKT0_S8_ifPKiSA_iPKfiiiSC_SC_iiiii.numbered_sgpr, 38
	.set _ZN4vllm25paged_attention_v1_kernelIttLi64ELi16ELi128ELNS_18Fp8KVCacheDataTypeE0ELb1EEEvPT_PKS2_PKT0_S8_ifPKiSA_iPKfiiiSC_SC_iiiii.num_named_barrier, 0
	.set _ZN4vllm25paged_attention_v1_kernelIttLi64ELi16ELi128ELNS_18Fp8KVCacheDataTypeE0ELb1EEEvPT_PKS2_PKT0_S8_ifPKiSA_iPKfiiiSC_SC_iiiii.private_seg_size, 0
	.set _ZN4vllm25paged_attention_v1_kernelIttLi64ELi16ELi128ELNS_18Fp8KVCacheDataTypeE0ELb1EEEvPT_PKS2_PKT0_S8_ifPKiSA_iPKfiiiSC_SC_iiiii.uses_vcc, 1
	.set _ZN4vllm25paged_attention_v1_kernelIttLi64ELi16ELi128ELNS_18Fp8KVCacheDataTypeE0ELb1EEEvPT_PKS2_PKT0_S8_ifPKiSA_iPKfiiiSC_SC_iiiii.uses_flat_scratch, 0
	.set _ZN4vllm25paged_attention_v1_kernelIttLi64ELi16ELi128ELNS_18Fp8KVCacheDataTypeE0ELb1EEEvPT_PKS2_PKT0_S8_ifPKiSA_iPKfiiiSC_SC_iiiii.has_dyn_sized_stack, 0
	.set _ZN4vllm25paged_attention_v1_kernelIttLi64ELi16ELi128ELNS_18Fp8KVCacheDataTypeE0ELb1EEEvPT_PKS2_PKT0_S8_ifPKiSA_iPKfiiiSC_SC_iiiii.has_recursion, 0
	.set _ZN4vllm25paged_attention_v1_kernelIttLi64ELi16ELi128ELNS_18Fp8KVCacheDataTypeE0ELb1EEEvPT_PKS2_PKT0_S8_ifPKiSA_iPKfiiiSC_SC_iiiii.has_indirect_call, 0
	.section	.AMDGPU.csdata,"",@progbits
; Kernel info:
; codeLenInByte = 7456
; TotalNumSgprs: 40
; NumVgprs: 78
; ScratchSize: 0
; MemoryBound: 0
; FloatMode: 240
; IeeeMode: 1
; LDSByteSize: 160 bytes/workgroup (compile time only)
; SGPRBlocks: 0
; VGPRBlocks: 9
; NumSGPRsForWavesPerEU: 40
; NumVGPRsForWavesPerEU: 78
; Occupancy: 12
; WaveLimiterHint : 1
; COMPUTE_PGM_RSRC2:SCRATCH_EN: 0
; COMPUTE_PGM_RSRC2:USER_SGPR: 6
; COMPUTE_PGM_RSRC2:TRAP_HANDLER: 0
; COMPUTE_PGM_RSRC2:TGID_X_EN: 1
; COMPUTE_PGM_RSRC2:TGID_Y_EN: 1
; COMPUTE_PGM_RSRC2:TGID_Z_EN: 1
; COMPUTE_PGM_RSRC2:TIDIG_COMP_CNT: 0
	.section	.text._ZN4vllm25paged_attention_v1_kernelIttLi80ELi16ELi128ELNS_18Fp8KVCacheDataTypeE0ELb1EEEvPT_PKS2_PKT0_S8_ifPKiSA_iPKfiiiSC_SC_iiiii,"axG",@progbits,_ZN4vllm25paged_attention_v1_kernelIttLi80ELi16ELi128ELNS_18Fp8KVCacheDataTypeE0ELb1EEEvPT_PKS2_PKT0_S8_ifPKiSA_iPKfiiiSC_SC_iiiii,comdat
	.protected	_ZN4vllm25paged_attention_v1_kernelIttLi80ELi16ELi128ELNS_18Fp8KVCacheDataTypeE0ELb1EEEvPT_PKS2_PKT0_S8_ifPKiSA_iPKfiiiSC_SC_iiiii ; -- Begin function _ZN4vllm25paged_attention_v1_kernelIttLi80ELi16ELi128ELNS_18Fp8KVCacheDataTypeE0ELb1EEEvPT_PKS2_PKT0_S8_ifPKiSA_iPKfiiiSC_SC_iiiii
	.globl	_ZN4vllm25paged_attention_v1_kernelIttLi80ELi16ELi128ELNS_18Fp8KVCacheDataTypeE0ELb1EEEvPT_PKS2_PKT0_S8_ifPKiSA_iPKfiiiSC_SC_iiiii
	.p2align	8
	.type	_ZN4vllm25paged_attention_v1_kernelIttLi80ELi16ELi128ELNS_18Fp8KVCacheDataTypeE0ELb1EEEvPT_PKS2_PKT0_S8_ifPKiSA_iPKfiiiSC_SC_iiiii,@function
_ZN4vllm25paged_attention_v1_kernelIttLi80ELi16ELi128ELNS_18Fp8KVCacheDataTypeE0ELb1EEEvPT_PKS2_PKT0_S8_ifPKiSA_iPKfiiiSC_SC_iiiii: ; @_ZN4vllm25paged_attention_v1_kernelIttLi80ELi16ELi128ELNS_18Fp8KVCacheDataTypeE0ELb1EEEvPT_PKS2_PKT0_S8_ifPKiSA_iPKfiiiSC_SC_iiiii
; %bb.0:
	s_clause 0x2
	s_load_dword s9, s[4:5], 0x80
	s_load_dwordx2 s[0:1], s[4:5], 0x30
	s_load_dwordx2 s[28:29], s[4:5], 0x20
	s_mov_b32 s10, s7
	s_ashr_i32 s11, s7, 31
	s_mov_b32 s33, 0
	s_lshl_b64 s[2:3], s[10:11], 2
	s_waitcnt lgkmcnt(0)
	s_add_u32 s0, s0, s2
	s_addc_u32 s1, s1, s3
	s_abs_i32 s2, s28
	s_abs_i32 s11, s9
	v_cvt_f32_u32_e32 v1, s2
	s_sub_i32 s7, 0, s2
	v_rcp_iflag_f32_e32 v1, v1
	v_mul_f32_e32 v1, 0x4f7ffffe, v1
	v_cvt_u32_f32_e32 v1, v1
	v_readfirstlane_b32 s3, v1
	s_mul_i32 s7, s7, s3
	s_mul_hi_u32 s7, s3, s7
	s_add_i32 s3, s3, s7
	s_xor_b32 s7, s9, s28
	s_mul_hi_u32 s3, s11, s3
	s_ashr_i32 s7, s7, 31
	s_mul_i32 s12, s3, s2
	s_sub_i32 s11, s11, s12
	s_add_i32 s12, s3, 1
	s_sub_i32 s13, s11, s2
	s_cmp_ge_u32 s11, s2
	s_cselect_b32 s3, s12, s3
	s_cselect_b32 s11, s13, s11
	s_add_i32 s12, s3, 1
	s_cmp_ge_u32 s11, s2
	s_cselect_b32 s2, s12, s3
	s_abs_i32 s22, s6
	s_xor_b32 s2, s2, s7
	s_sub_i32 s16, s2, s7
	s_load_dwordx2 s[2:3], s[4:5], 0x40
	s_abs_i32 s11, s16
	v_cvt_f32_u32_e32 v1, s11
	s_sub_i32 s12, 0, s11
	v_rcp_iflag_f32_e32 v1, v1
	v_mul_f32_e32 v1, 0x4f7ffffe, v1
	v_cvt_u32_f32_e32 v1, v1
	v_readfirstlane_b32 s7, v1
	s_mul_i32 s12, s12, s7
	s_mul_hi_u32 s12, s7, s12
	s_add_i32 s7, s7, s12
	s_waitcnt lgkmcnt(0)
	s_cmp_eq_u64 s[2:3], 0
	s_mul_hi_u32 s23, s22, s7
	s_cbranch_scc1 .LBB74_2
; %bb.1:
	s_ashr_i32 s7, s6, 31
	s_lshl_b64 s[12:13], s[6:7], 2
	s_add_u32 s2, s2, s12
	s_addc_u32 s3, s3, s13
	s_load_dword s33, s[2:3], 0x0
.LBB74_2:
	s_load_dword s30, s[0:1], 0x0
	s_load_dwordx4 s[12:15], s[4:5], 0x48
	v_lshrrev_b32_e32 v21, 1, v0
	v_and_b32_e32 v22, 1, v0
	v_lshlrev_b32_e32 v25, 3, v0
	s_ashr_i32 s0, s6, 31
	s_ashr_i32 s1, s16, 31
	s_mul_i32 s20, s6, 0x50
	s_mov_b32 s2, exec_lo
	v_cmpx_gt_u32_e32 20, v0
	s_cbranch_execz .LBB74_4
; %bb.3:
	s_load_dwordx2 s[16:17], s[4:5], 0x8
	s_waitcnt lgkmcnt(0)
	s_mul_i32 s18, s12, s10
	v_lshlrev_b32_e32 v3, 3, v21
	s_ashr_i32 s19, s18, 31
	s_lshl_b64 s[18:19], s[18:19], 1
	v_mad_u32_u24 v3, 0x50, v22, v3
	s_add_u32 s3, s16, s18
	s_addc_u32 s7, s17, s19
	s_ashr_i32 s21, s20, 31
	s_lshl_b64 s[16:17], s[20:21], 1
	s_add_u32 s16, s3, s16
	s_addc_u32 s17, s7, s17
	global_load_dwordx2 v[1:2], v25, s[16:17]
	s_waitcnt vmcnt(0)
	ds_write_b64 v3, v[1:2]
.LBB74_4:
	s_or_b32 exec_lo, exec_lo, s2
	s_load_dwordx4 s[16:19], s[4:5], 0x68
	s_mul_i32 s2, s23, s11
	s_xor_b32 s1, s0, s1
	s_sub_i32 s0, s22, s2
	s_add_i32 s2, s23, 1
	s_sub_i32 s3, s0, s11
	s_cmp_ge_u32 s0, s11
	s_waitcnt lgkmcnt(0)
	s_cselect_b32 s2, s2, s23
	s_cselect_b32 s0, s3, s0
	s_add_i32 s3, s2, 1
	s_cmp_ge_u32 s0, s11
	s_load_dword s0, s[4:5], 0x78
	s_cselect_b32 s2, s3, s2
	s_add_i32 s7, s30, -1
	s_xor_b32 s2, s2, s1
	s_abs_i32 s3, s7
	s_sub_i32 s1, s2, s1
	s_mov_b32 s11, -1
	s_barrier
	s_abs_i32 s12, s19
	s_waitcnt lgkmcnt(0)
	buffer_gl0_inv
	v_cvt_f32_u32_e32 v1, s12
	s_sub_i32 s2, 0, s12
                                        ; implicit-def: $sgpr31
	v_rcp_iflag_f32_e32 v1, v1
	v_mul_f32_e32 v1, 0x4f7ffffe, v1
	v_cvt_u32_f32_e32 v1, v1
	v_readfirstlane_b32 s21, v1
	s_mul_i32 s2, s2, s21
	s_mul_hi_u32 s2, s21, s2
	s_add_i32 s21, s21, s2
	s_cmp_lt_i32 s0, 0
	s_mul_hi_u32 s2, s3, s21
	s_cbranch_scc0 .LBB74_6
; %bb.5:
	s_mul_i32 s11, s16, s28
	s_add_i32 s11, s1, s11
	s_mul_i32 s11, s11, s0
	s_sub_i32 s31, 1, s11
	s_mov_b32 s11, 0
.LBB74_6:
	s_load_dwordx2 s[22:23], s[4:5], 0x28
	s_ashr_i32 s7, s7, 31
	s_andn2_b32 vcc_lo, exec_lo, s11
	s_ashr_i32 s19, s19, 31
	s_cbranch_vccnz .LBB74_8
; %bb.7:
	s_mul_i32 s11, s9, s16
	s_add_i32 s6, s11, s6
	s_mul_i32 s0, s6, s0
	s_add_i32 s31, s0, 1
.LBB74_8:
	s_load_dword s0, s[4:5], 0x38
	s_mul_i32 s6, s2, s12
	s_xor_b32 s15, s7, s19
	s_sub_i32 s3, s3, s6
	s_add_i32 s16, s2, 1
	s_clause 0x2
	s_load_dwordx2 s[6:7], s[4:5], 0x0
	s_load_dwordx2 s[26:27], s[4:5], 0x18
	s_load_dword s11, s[4:5], 0x88
	v_lshrrev_b32_e32 v23, 5, v0
	v_mov_b32_e32 v28, 0xff7fffff
	v_lshrrev_b32_e32 v26, 3, v0
	v_mbcnt_lo_u32_b32 v27, -1, 0
	s_mul_i32 s14, s1, s14
	v_lshlrev_b32_e32 v24, 4, v23
	s_waitcnt lgkmcnt(0)
	s_mul_i32 s24, s0, s10
	s_sub_i32 s0, s3, s12
	s_ashr_i32 s25, s24, 31
	s_cmp_ge_u32 s3, s12
	s_cselect_b32 s2, s16, s2
	s_cselect_b32 s0, s0, s3
	s_add_i32 s3, s2, 1
	s_cmp_ge_u32 s0, s12
	s_cselect_b32 s0, s3, s2
	s_add_i32 s2, s30, 15
	s_ashr_i32 s3, s2, 31
	s_lshr_b32 s3, s3, 28
	s_add_i32 s2, s2, s3
	s_ashr_i32 s16, s2, 4
	s_xor_b32 s2, s0, s15
	v_cmp_gt_i32_e64 s0, s16, v23
	s_sub_i32 s28, s2, s15
	s_and_saveexec_b32 s34, s0
	s_cbranch_execz .LBB74_20
; %bb.9:
	s_load_dwordx2 s[2:3], s[4:5], 0x10
	s_ashr_i32 s15, s14, 31
	s_sub_i32 s4, s28, s17
	s_lshl_b64 s[36:37], s[14:15], 1
	v_bfe_u32 v29, v0, 1, 4
	v_and_b32_e32 v2, 0x7c, v26
	v_and_b32_e32 v3, 8, v25
	v_mul_u32_u24_e32 v30, 0x50, v22
	v_cmp_neq_f32_e64 s1, s33, 0
	v_lshlrev_b32_e32 v4, 2, v29
	v_subrev_nc_u32_e32 v5, s30, v29
	v_lshlrev_b32_e32 v31, 4, v23
	v_mov_b32_e32 v32, 0xff7fffff
	v_xor_b32_e32 v33, 1, v27
	v_lshl_or_b32 v4, v23, 6, v4
	v_add_nc_u32_e32 v34, 1, v5
	v_mov_b32_e32 v28, 0xff7fffff
	v_mov_b32_e32 v39, v23
	v_cmp_eq_u32_e32 vcc_lo, 0, v22
	v_add_nc_u32_e32 v35, 0xc0, v4
	s_waitcnt lgkmcnt(0)
	s_add_u32 s15, s2, s36
	s_addc_u32 s35, s3, s37
	s_abs_i32 s5, s18
	v_cvt_f32_u32_e32 v1, s5
	s_sub_i32 s2, 0, s5
	v_rcp_iflag_f32_e32 v1, v1
	v_mul_f32_e32 v1, 0x4f7ffffe, v1
	v_cvt_u32_f32_e32 v6, v1
	v_lshlrev_b32_e32 v1, 4, v29
	v_mul_lo_u32 v4, s2, v6
	s_lshl_b64 s[2:3], s[24:25], 2
	v_add_co_u32 v5, s15, s15, v1
	s_add_u32 s2, s22, s2
	v_add_co_ci_u32_e64 v7, null, s35, 0, s15
	s_addc_u32 s3, s23, s3
	v_mul_hi_u32 v4, v6, v4
	v_add_co_u32 v1, s2, s2, v2
	v_add_co_ci_u32_e64 v2, null, s3, 0, s2
	v_add_co_u32 v36, s2, v5, v3
	v_add_co_ci_u32_e64 v37, null, 0, v7, s2
	v_add_nc_u32_e32 v38, v6, v4
	s_mov_b32 s15, 0
	s_mov_b32 s35, s13
	s_branch .LBB74_12
.LBB74_10:                              ;   in Loop: Header=BB74_12 Depth=1
	s_or_b32 exec_lo, exec_lo, s36
.LBB74_11:                              ;   in Loop: Header=BB74_12 Depth=1
	s_or_b32 exec_lo, exec_lo, s3
	v_add_nc_u32_e32 v39, 4, v39
	v_add_co_u32 v1, s3, v1, 16
	v_add_co_ci_u32_e64 v2, null, 0, v2, s3
	v_cmp_le_i32_e64 s2, s16, v39
	v_add_nc_u32_e32 v31, 64, v31
	v_add_nc_u32_e32 v35, 0x100, v35
	s_or_b32 s15, s2, s15
	s_andn2_b32 exec_lo, exec_lo, s15
	s_cbranch_execz .LBB74_19
.LBB74_12:                              ; =>This Inner Loop Header: Depth=1
	v_mul_hi_u32 v3, v31, s21
	s_waitcnt lgkmcnt(0)
	v_mul_lo_u32 v4, v3, s12
	v_add_nc_u32_e32 v5, 1, v3
	v_sub_nc_u32_e32 v4, v31, v4
	v_subrev_nc_u32_e32 v6, s12, v4
	v_cmp_le_u32_e64 s2, s12, v4
	v_cndmask_b32_e64 v3, v3, v5, s2
	v_cndmask_b32_e64 v4, v4, v6, s2
	v_add_nc_u32_e32 v5, 1, v3
	v_cmp_le_u32_e64 s2, s12, v4
	v_cndmask_b32_e64 v3, v3, v5, s2
	v_xor_b32_e32 v3, s19, v3
	v_subrev_nc_u32_e32 v3, s19, v3
	v_add_nc_u32_e32 v4, s31, v3
	v_cmp_ge_i32_e64 s3, s4, v3
	v_sub_nc_u32_e32 v5, 0, v4
	v_max_i32_e32 v5, v4, v5
	v_ashrrev_i32_e32 v4, 31, v4
	v_mul_hi_u32 v6, v5, v38
	v_mul_lo_u32 v6, v6, s5
	v_sub_nc_u32_e32 v5, v5, v6
	v_subrev_nc_u32_e32 v6, s5, v5
	v_cmp_le_u32_e64 s2, s5, v5
	v_cndmask_b32_e64 v5, v5, v6, s2
	v_subrev_nc_u32_e32 v6, s5, v5
	v_cmp_le_u32_e64 s2, s5, v5
	v_cndmask_b32_e64 v5, v5, v6, s2
	v_xor_b32_e32 v5, v5, v4
	v_sub_nc_u32_e32 v4, v5, v4
	v_cmp_ne_u32_e64 s2, 0, v4
	s_and_b32 s2, s2, s3
	s_and_saveexec_b32 s3, s2
	s_xor_b32 s2, exec_lo, s3
	s_cbranch_execz .LBB74_16
; %bb.13:                               ;   in Loop: Header=BB74_12 Depth=1
	s_and_saveexec_b32 s3, vcc_lo
; %bb.14:                               ;   in Loop: Header=BB74_12 Depth=1
	ds_write_b32 v35, v32
; %bb.15:                               ;   in Loop: Header=BB74_12 Depth=1
	s_or_b32 exec_lo, exec_lo, s3
.LBB74_16:                              ;   in Loop: Header=BB74_12 Depth=1
	s_andn2_saveexec_b32 s3, s2
	s_cbranch_execz .LBB74_11
; %bb.17:                               ;   in Loop: Header=BB74_12 Depth=1
	global_load_dword v3, v[1:2], off
	s_waitcnt vmcnt(0)
	v_mad_i64_i32 v[3:4], null, v3, s35, 0
	v_lshlrev_b64 v[3:4], 1, v[3:4]
	v_add_co_u32 v3, s2, v36, v3
	v_add_co_ci_u32_e64 v4, null, v37, v4, s2
	s_clause 0x6
	global_load_dwordx2 v[41:42], v[3:4], off
	global_load_dwordx2 v[19:20], v[3:4], off offset:256
	global_load_dwordx2 v[17:18], v[3:4], off offset:512
	;; [unrolled: 1-line block ×6, first 2 shown]
	v_add_co_u32 v43, s2, 0x800, v3
	v_add_co_ci_u32_e64 v44, null, 0, v4, s2
	s_clause 0x2
	global_load_dwordx2 v[7:8], v[3:4], off offset:1792
	global_load_dwordx2 v[5:6], v[43:44], off
	global_load_dwordx2 v[3:4], v[43:44], off offset:256
	ds_read_b64 v[43:44], v30
	v_cmp_gt_i32_e64 s2, 32, v33
	s_waitcnt lgkmcnt(0)
	v_and_b32_e32 v40, 0xffff, v43
	v_lshrrev_b32_e32 v43, 16, v43
	v_lshrrev_b32_e32 v46, 16, v44
	v_and_b32_e32 v47, 0xffff, v44
	;;#ASMSTART
	v_cvt_f32_f16 v40, v40;
	;;#ASMEND
	s_waitcnt vmcnt(9)
	v_and_b32_e32 v44, 0xffff, v41
	v_lshrrev_b32_e32 v45, 16, v41
	v_lshrrev_b32_e32 v48, 16, v42
	v_and_b32_e32 v49, 0xffff, v42
	;;#ASMSTART
	v_cvt_f32_f16 v41, v43;
	;;#ASMEND
	;;#ASMSTART
	v_cvt_f32_f16 v44, v44;
	;;#ASMEND
	;; [unrolled: 3-line block ×7, first 2 shown]
	ds_read_b64 v[48:49], v30 offset:8
	s_waitcnt vmcnt(8)
	v_lshrrev_b32_e32 v51, 16, v19
	v_and_b32_e32 v19, 0xffff, v19
	v_lshrrev_b32_e32 v55, 16, v20
	v_and_b32_e32 v20, 0xffff, v20
	s_waitcnt vmcnt(7)
	v_lshrrev_b32_e32 v57, 16, v17
	v_and_b32_e32 v17, 0xffff, v17
	v_lshrrev_b32_e32 v61, 16, v18
	v_and_b32_e32 v18, 0xffff, v18
	;; [unrolled: 5-line block ×4, first 2 shown]
	s_waitcnt vmcnt(4)
	v_lshrrev_b32_e32 v75, 16, v11
	v_and_b32_e32 v11, 0xffff, v11
	v_lshrrev_b32_e32 v79, 16, v12
	s_waitcnt lgkmcnt(0)
	v_and_b32_e32 v50, 0xffff, v48
	v_lshrrev_b32_e32 v52, 16, v48
	v_lshrrev_b32_e32 v53, 16, v49
	v_and_b32_e32 v54, 0xffff, v49
	;;#ASMSTART
	v_cvt_f32_f16 v48, v50;
	;;#ASMEND
	;;#ASMSTART
	v_cvt_f32_f16 v49, v52;
	;;#ASMEND
	;; [unrolled: 3-line block ×8, first 2 shown]
	ds_read_b64 v[19:20], v30 offset:16
	v_and_b32_e32 v12, 0xffff, v12
	s_waitcnt vmcnt(3)
	v_lshrrev_b32_e32 v81, 16, v9
	v_and_b32_e32 v9, 0xffff, v9
	v_lshrrev_b32_e32 v85, 16, v10
	v_and_b32_e32 v10, 0xffff, v10
	v_mul_f32_e32 v48, v48, v50
	v_mul_f32_e32 v49, v49, v51
	s_waitcnt vmcnt(2)
	v_lshrrev_b32_e32 v86, 16, v7
	v_and_b32_e32 v7, 0xffff, v7
	v_lshrrev_b32_e32 v88, 16, v8
	v_and_b32_e32 v8, 0xffff, v8
	v_fmac_f32_e32 v48, v40, v44
	v_fmac_f32_e32 v49, v41, v45
	v_mul_f32_e32 v53, v53, v55
	s_waitcnt vmcnt(1)
	v_lshrrev_b32_e32 v89, 16, v5
	v_and_b32_e32 v5, 0xffff, v5
	v_lshrrev_b32_e32 v40, 16, v6
	v_and_b32_e32 v6, 0xffff, v6
	v_fmac_f32_e32 v53, v43, v47
	s_waitcnt lgkmcnt(0)
	v_and_b32_e32 v56, 0xffff, v19
	v_lshrrev_b32_e32 v58, 16, v19
	v_lshrrev_b32_e32 v59, 16, v20
	v_and_b32_e32 v60, 0xffff, v20
	;;#ASMSTART
	v_cvt_f32_f16 v19, v56;
	;;#ASMEND
	;;#ASMSTART
	v_cvt_f32_f16 v20, v58;
	;;#ASMEND
	;; [unrolled: 3-line block ×8, first 2 shown]
	ds_read_b64 v[17:18], v30 offset:24
	v_fmac_f32_e32 v48, v19, v56
	v_fmac_f32_e32 v49, v20, v57
	;; [unrolled: 1-line block ×3, first 2 shown]
	s_waitcnt vmcnt(0)
	v_lshrrev_b32_e32 v41, 16, v3
	s_waitcnt lgkmcnt(0)
	v_and_b32_e32 v62, 0xffff, v17
	v_lshrrev_b32_e32 v64, 16, v17
	v_lshrrev_b32_e32 v65, 16, v18
	v_and_b32_e32 v66, 0xffff, v18
	;;#ASMSTART
	v_cvt_f32_f16 v17, v62;
	;;#ASMEND
	;;#ASMSTART
	v_cvt_f32_f16 v18, v64;
	;;#ASMEND
	;;#ASMSTART
	v_cvt_f32_f16 v62, v15;
	;;#ASMEND
	;;#ASMSTART
	v_cvt_f32_f16 v63, v63;
	;;#ASMEND
	;;#ASMSTART
	v_cvt_f32_f16 v64, v66;
	;;#ASMEND
	;;#ASMSTART
	v_cvt_f32_f16 v65, v65;
	;;#ASMEND
	;;#ASMSTART
	v_cvt_f32_f16 v66, v16;
	;;#ASMEND
	;;#ASMSTART
	v_cvt_f32_f16 v67, v67;
	;;#ASMEND
	ds_read_b64 v[15:16], v30 offset:32
	v_fmac_f32_e32 v48, v17, v62
	v_fmac_f32_e32 v49, v18, v63
	v_fmac_f32_e32 v53, v65, v67
	s_waitcnt lgkmcnt(0)
	v_and_b32_e32 v68, 0xffff, v15
	v_lshrrev_b32_e32 v70, 16, v15
	v_lshrrev_b32_e32 v71, 16, v16
	v_and_b32_e32 v72, 0xffff, v16
	;;#ASMSTART
	v_cvt_f32_f16 v15, v68;
	;;#ASMEND
	;;#ASMSTART
	v_cvt_f32_f16 v16, v70;
	;;#ASMEND
	;;#ASMSTART
	v_cvt_f32_f16 v68, v13;
	;;#ASMEND
	;;#ASMSTART
	v_cvt_f32_f16 v69, v69;
	;;#ASMEND
	;;#ASMSTART
	v_cvt_f32_f16 v70, v72;
	;;#ASMEND
	;;#ASMSTART
	v_cvt_f32_f16 v71, v71;
	;;#ASMEND
	;;#ASMSTART
	v_cvt_f32_f16 v72, v14;
	;;#ASMEND
	;;#ASMSTART
	v_cvt_f32_f16 v73, v73;
	;;#ASMEND
	ds_read_b64 v[13:14], v30 offset:40
	v_fmac_f32_e32 v48, v15, v68
	v_fmac_f32_e32 v49, v16, v69
	v_fmac_f32_e32 v53, v71, v73
	;; [unrolled: 33-line block ×3, first 2 shown]
	v_and_b32_e32 v13, 0xffff, v3
	s_waitcnt lgkmcnt(0)
	v_and_b32_e32 v80, 0xffff, v11
	v_lshrrev_b32_e32 v82, 16, v11
	v_lshrrev_b32_e32 v83, 16, v12
	v_and_b32_e32 v84, 0xffff, v12
	;;#ASMSTART
	v_cvt_f32_f16 v11, v80;
	;;#ASMEND
	;;#ASMSTART
	v_cvt_f32_f16 v12, v82;
	;;#ASMEND
	;; [unrolled: 3-line block ×8, first 2 shown]
	ds_read_b64 v[9:10], v30 offset:56
	v_fmac_f32_e32 v48, v11, v80
	v_fmac_f32_e32 v49, v12, v81
	;; [unrolled: 1-line block ×3, first 2 shown]
	v_lshrrev_b32_e32 v11, 16, v4
	s_waitcnt lgkmcnt(0)
	v_and_b32_e32 v50, 0xffff, v9
	v_lshrrev_b32_e32 v51, 16, v9
	v_mul_f32_e32 v9, v52, v54
	v_lshrrev_b32_e32 v87, 16, v10
	v_and_b32_e32 v54, 0xffff, v10
	;;#ASMSTART
	v_cvt_f32_f16 v10, v50;
	;;#ASMEND
	;;#ASMSTART
	v_cvt_f32_f16 v50, v51;
	;;#ASMEND
	;; [unrolled: 3-line block ×8, first 2 shown]
	ds_read_b64 v[7:8], v30 offset:64
	v_fmac_f32_e32 v9, v42, v46
	v_fmac_f32_e32 v48, v10, v51
	;; [unrolled: 1-line block ×3, first 2 shown]
	v_and_b32_e32 v10, 0xffff, v4
	v_fmac_f32_e32 v53, v86, v88
	v_fmac_f32_e32 v9, v58, v60
	;; [unrolled: 1-line block ×4, first 2 shown]
	s_waitcnt lgkmcnt(0)
	v_and_b32_e32 v15, 0xffff, v7
	v_lshrrev_b32_e32 v16, 16, v7
	v_lshrrev_b32_e32 v18, 16, v8
	v_and_b32_e32 v17, 0xffff, v8
	;;#ASMSTART
	v_cvt_f32_f16 v7, v15;
	;;#ASMEND
	;;#ASMSTART
	v_cvt_f32_f16 v8, v16;
	;;#ASMEND
	;; [unrolled: 3-line block ×8, first 2 shown]
	ds_read_b64 v[5:6], v30 offset:72
	v_fmac_f32_e32 v9, v76, v78
	v_fmac_f32_e32 v48, v7, v15
	;; [unrolled: 1-line block ×7, first 2 shown]
	s_waitcnt lgkmcnt(0)
	v_and_b32_e32 v3, 0xffff, v5
	v_lshrrev_b32_e32 v4, 16, v5
	v_lshrrev_b32_e32 v7, 16, v6
	v_and_b32_e32 v8, 0xffff, v6
	;;#ASMSTART
	v_cvt_f32_f16 v3, v3;
	;;#ASMEND
	;;#ASMSTART
	v_cvt_f32_f16 v4, v4;
	;;#ASMEND
	;; [unrolled: 3-line block ×4, first 2 shown]
	v_fmac_f32_e32 v48, v3, v5
	v_fmac_f32_e32 v49, v4, v6
	;;#ASMSTART
	v_cvt_f32_f16 v3, v8;
	;;#ASMEND
	;;#ASMSTART
	v_cvt_f32_f16 v4, v7;
	;;#ASMEND
	;; [unrolled: 3-line block ×3, first 2 shown]
	v_fmac_f32_e32 v9, v3, v5
	v_add_f32_e32 v3, v48, v49
	;;#ASMSTART
	v_cvt_f32_f16 v5, v11;
	;;#ASMEND
	v_fmac_f32_e32 v53, v4, v5
	v_cndmask_b32_e64 v4, v27, v33, s2
	v_add_f32_e32 v3, v3, v9
	v_lshlrev_b32_e32 v4, 2, v4
	v_add_f32_e32 v3, v53, v3
	ds_bpermute_b32 v4, v4, v3
	s_and_saveexec_b32 s36, vcc_lo
	s_cbranch_execz .LBB74_10
; %bb.18:                               ;   in Loop: Header=BB74_12 Depth=1
	v_add_nc_u32_e32 v5, v34, v31
	s_waitcnt lgkmcnt(0)
	v_add_f32_e32 v3, v3, v4
	v_cvt_f32_i32_e32 v5, v5
	v_mul_f32_e32 v5, s33, v5
	v_cndmask_b32_e64 v4, 0, v5, s1
	v_max_f32_e32 v5, v28, v28
	v_fmac_f32_e32 v4, s29, v3
	v_add_nc_u32_e32 v3, v29, v31
	v_max_f32_e32 v5, v5, v4
	v_cmp_gt_i32_e64 s2, s30, v3
	v_cndmask_b32_e64 v3, 0, v4, s2
	v_cndmask_b32_e64 v28, v28, v5, s2
	ds_write_b32 v35, v3
	s_branch .LBB74_10
.LBB74_19:
	s_or_b32 exec_lo, exec_lo, s15
.LBB74_20:
	s_or_b32 exec_lo, exec_lo, s34
	v_xor_b32_e32 v1, 16, v27
	v_xor_b32_e32 v3, 8, v27
	v_max_f32_e32 v5, v28, v28
	v_xor_b32_e32 v6, 2, v27
	v_and_b32_e32 v9, 31, v0
	v_cmp_gt_i32_e32 vcc_lo, 32, v1
	v_cndmask_b32_e32 v1, v27, v1, vcc_lo
	v_cmp_gt_i32_e32 vcc_lo, 32, v3
	v_lshlrev_b32_e32 v2, 2, v1
	v_cndmask_b32_e32 v3, v27, v3, vcc_lo
	ds_bpermute_b32 v1, v2, v28
	s_waitcnt lgkmcnt(1)
	v_lshlrev_b32_e32 v4, 2, v3
	s_waitcnt lgkmcnt(0)
	v_max_f32_e32 v1, v1, v1
	v_max_f32_e32 v1, v5, v1
	v_xor_b32_e32 v5, 4, v27
	ds_bpermute_b32 v3, v4, v1
	v_cmp_gt_i32_e32 vcc_lo, 32, v5
	v_cndmask_b32_e32 v5, v27, v5, vcc_lo
	v_cmp_gt_i32_e32 vcc_lo, 32, v6
	v_lshlrev_b32_e32 v5, 2, v5
	v_cndmask_b32_e32 v6, v27, v6, vcc_lo
	v_cmp_eq_u32_e32 vcc_lo, 0, v9
	s_waitcnt lgkmcnt(0)
	v_max_f32_e32 v3, v3, v3
	v_max_f32_e32 v1, v1, v3
	ds_bpermute_b32 v3, v5, v1
	s_waitcnt lgkmcnt(0)
	v_max_f32_e32 v3, v3, v3
	v_max_f32_e32 v3, v1, v3
	v_lshlrev_b32_e32 v1, 2, v6
	v_lshlrev_b32_e32 v6, 2, v23
	ds_bpermute_b32 v7, v1, v3
	s_and_saveexec_b32 s1, vcc_lo
	s_cbranch_execz .LBB74_22
; %bb.21:
	s_waitcnt lgkmcnt(0)
	v_max_f32_e32 v7, v7, v7
	v_max_f32_e32 v3, v3, v3
	;; [unrolled: 1-line block ×3, first 2 shown]
	ds_write_b32 v6, v3 offset:160
.LBB74_22:
	s_or_b32 exec_lo, exec_lo, s1
	v_cmp_gt_u32_e64 s1, 4, v9
	v_mov_b32_e32 v3, 0xff7fffff
	s_waitcnt lgkmcnt(0)
	v_lshlrev_b32_e32 v7, 2, v9
	s_barrier
	buffer_gl0_inv
	s_and_saveexec_b32 s2, s1
; %bb.23:
	ds_read_b32 v3, v7 offset:160
; %bb.24:
	s_or_b32 exec_lo, exec_lo, s2
	s_waitcnt lgkmcnt(0)
	ds_bpermute_b32 v8, v1, v3
	v_xor_b32_e32 v10, 1, v27
	v_max_f32_e32 v3, v3, v3
	v_cmp_gt_i32_e64 s2, 32, v10
	v_cndmask_b32_e64 v10, v27, v10, s2
	s_lshl_b32 s2, s16, 4
	s_min_i32 s4, s2, s30
	v_lshlrev_b32_e32 v10, 2, v10
	v_cmp_gt_i32_e64 s2, s4, v0
	s_waitcnt lgkmcnt(0)
	v_max_f32_e32 v8, v8, v8
	v_max_f32_e32 v3, v3, v8
	ds_bpermute_b32 v8, v10, v3
	s_waitcnt lgkmcnt(0)
	v_max_f32_e32 v8, v8, v8
	v_max_f32_e32 v3, v3, v8
	v_mov_b32_e32 v8, 0
	ds_bpermute_b32 v11, v8, v3
	v_lshl_add_u32 v3, v0, 2, 0xc0
	s_and_saveexec_b32 s5, s2
	s_cbranch_execz .LBB74_28
; %bb.25:
	v_lshl_add_u32 v12, v0, 2, 0xc0
	v_mov_b32_e32 v8, 0
	v_mov_b32_e32 v13, v0
	s_mov_b32 s15, 0
	.p2align	6
.LBB74_26:                              ; =>This Inner Loop Header: Depth=1
	ds_read_b32 v14, v12
	v_add_nc_u32_e32 v13, 0x80, v13
	v_cmp_le_i32_e64 s3, s4, v13
	s_or_b32 s15, s3, s15
	s_waitcnt lgkmcnt(0)
	v_sub_f32_e32 v14, v14, v11
	v_mul_f32_e32 v14, 0x3fb8aa3b, v14
	v_exp_f32_e32 v14, v14
	ds_write_b32 v12, v14
	v_add_f32_e32 v8, v8, v14
	v_add_nc_u32_e32 v12, 0x200, v12
	s_andn2_b32 exec_lo, exec_lo, s15
	s_cbranch_execnz .LBB74_26
; %bb.27:
	s_or_b32 exec_lo, exec_lo, s15
.LBB74_28:
	s_or_b32 exec_lo, exec_lo, s5
	ds_bpermute_b32 v2, v2, v8
	s_waitcnt lgkmcnt(0)
	v_add_f32_e32 v2, v8, v2
	ds_bpermute_b32 v4, v4, v2
	s_waitcnt lgkmcnt(0)
	v_add_f32_e32 v2, v2, v4
	ds_bpermute_b32 v4, v5, v2
	s_waitcnt lgkmcnt(0)
	v_add_f32_e32 v2, v2, v4
	ds_bpermute_b32 v4, v1, v2
	s_waitcnt lgkmcnt(0)
	v_add_f32_e32 v2, v2, v4
	ds_bpermute_b32 v4, v10, v2
	s_waitcnt lgkmcnt(0)
	v_add_f32_e32 v2, v2, v4
	s_and_saveexec_b32 s3, vcc_lo
; %bb.29:
	ds_write_b32 v6, v2 offset:176
; %bb.30:
	s_or_b32 exec_lo, exec_lo, s3
	s_waitcnt lgkmcnt(0)
	s_barrier
	buffer_gl0_inv
	s_and_saveexec_b32 s3, s1
; %bb.31:
	ds_read_b32 v2, v7 offset:176
; %bb.32:
	s_or_b32 exec_lo, exec_lo, s3
	s_waitcnt lgkmcnt(0)
	ds_bpermute_b32 v1, v1, v2
	s_waitcnt lgkmcnt(0)
	v_add_f32_e32 v1, v2, v1
	ds_bpermute_b32 v2, v10, v1
	s_waitcnt lgkmcnt(0)
	v_add_f32_e32 v1, v1, v2
	v_mov_b32_e32 v2, 0
	ds_bpermute_b32 v1, v2, v1
	s_and_saveexec_b32 s1, s2
	s_cbranch_execz .LBB74_35
; %bb.33:
	s_waitcnt lgkmcnt(0)
	v_add_f32_e32 v1, 0x358637bd, v1
	s_mov_b32 s2, 0
	v_div_scale_f32 v2, null, v1, v1, 1.0
	v_div_scale_f32 v6, vcc_lo, 1.0, v1, 1.0
	v_rcp_f32_e32 v4, v2
	v_fma_f32 v5, -v2, v4, 1.0
	v_fmac_f32_e32 v4, v5, v4
	v_mul_f32_e32 v5, v6, v4
	v_fma_f32 v7, -v2, v5, v6
	v_fmac_f32_e32 v5, v7, v4
	v_fma_f32 v2, -v2, v5, v6
	v_div_fmas_f32 v2, v2, v4, v5
	v_div_fixup_f32 v1, v2, v1, 1.0
	v_mov_b32_e32 v2, v0
.LBB74_34:                              ; =>This Inner Loop Header: Depth=1
	ds_read_b32 v4, v3
	v_add_nc_u32_e32 v2, 0x80, v2
	v_cmp_le_i32_e32 vcc_lo, s4, v2
	s_or_b32 s2, vcc_lo, s2
	s_waitcnt lgkmcnt(0)
	v_mul_f32_e32 v4, v1, v4
	ds_write_b32 v3, v4
	v_add_nc_u32_e32 v3, 0x200, v3
	s_andn2_b32 exec_lo, exec_lo, s2
	s_cbranch_execnz .LBB74_34
.LBB74_35:
	s_or_b32 exec_lo, exec_lo, s1
	v_mov_b32_e32 v15, 0
	v_mov_b32_e32 v14, 0
	v_mov_b32_e32 v13, 0
	v_mov_b32_e32 v12, 0
	v_mov_b32_e32 v11, 0
	s_waitcnt lgkmcnt(0)
	s_barrier
	buffer_gl0_inv
	s_and_saveexec_b32 s2, s0
	s_cbranch_execz .LBB74_51
; %bb.36:
	s_ashr_i32 s15, s14, 31
	s_sub_i32 s3, s28, s17
	s_lshl_b64 s[0:1], s[14:15], 1
	v_lshlrev_b32_e32 v2, 4, v0
	s_add_u32 s14, s26, s0
	s_addc_u32 s15, s27, s1
	s_abs_i32 s4, s18
	v_lshlrev_b32_e32 v4, 5, v22
	v_cvt_f32_u32_e32 v1, s4
	s_sub_i32 s0, 0, s4
	v_and_b32_e32 v3, 0x7c, v26
	v_and_b32_e32 v2, 0x1f0, v2
	s_add_i32 s5, s16, -1
	v_rcp_iflag_f32_e32 v1, v1
	v_lshl_or_b32 v4, v23, 6, v4
	v_and_b32_e32 v16, 8, v25
	v_add_co_u32 v18, s14, s14, v2
	v_mov_b32_e32 v17, 0
	v_mov_b32_e32 v11, 0
	;; [unrolled: 1-line block ×5, first 2 shown]
	v_mul_f32_e32 v1, 0x4f7ffffe, v1
	v_mov_b32_e32 v15, 0
	v_add_co_ci_u32_e64 v19, null, s15, 0, s14
	v_add_nc_u32_e32 v20, 0xc0, v4
	v_cvt_u32_f32_e32 v1, v1
	v_mov_b32_e32 v26, v23
	s_mov_b32 s14, s13
	s_mov_b32 s13, 0
	v_mul_lo_u32 v5, s0, v1
	s_lshl_b64 s[0:1], s[24:25], 2
	s_add_u32 s0, s22, s0
	s_addc_u32 s1, s23, s1
	v_mul_hi_u32 v7, v1, v5
	v_add_co_u32 v5, s0, s0, v3
	v_add_co_ci_u32_e64 v6, null, s1, 0, s0
	v_add_nc_u32_e32 v25, v1, v7
	s_branch .LBB74_39
.LBB74_37:                              ;   in Loop: Header=BB74_39 Depth=1
	s_or_b32 exec_lo, exec_lo, s1
	v_lshlrev_b32_e32 v27, 16, v47
	v_lshlrev_b32_e32 v28, 16, v46
	;; [unrolled: 1-line block ×3, first 2 shown]
	v_add_f32_e32 v7, v7, v8
	v_and_or_b32 v1, 0xffff, v1, v27
	v_and_or_b32 v2, 0xffff, v2, v28
	;; [unrolled: 1-line block ×3, first 2 shown]
	;;#ASMSTART
	v_pk_mul_f16 v1, v36, v1;

	;;#ASMEND
	;;#ASMSTART
	v_pk_mul_f16 v2, v35, v2;

	;;#ASMEND
	;; [unrolled: 4-line block ×4, first 2 shown]
	;;#ASMSTART
	v_pk_add_f16 v1, v1, v2;

	;;#ASMEND
	;;#ASMSTART
	v_pk_add_f16 v1, v1, v3;

	;;#ASMEND
	;; [unrolled: 4-line block ×3, first 2 shown]
	v_and_b32_e32 v4, 0xffff, v1
	v_lshrrev_b32_e32 v8, 16, v1
	;;#ASMSTART
	v_cvt_f32_f16 v4, v4;
	;;#ASMEND
	v_add_f32_e32 v1, v43, v44
	v_add_f32_e32 v2, v41, v42
	;; [unrolled: 1-line block ×3, first 2 shown]
	;;#ASMSTART
	v_cvt_f32_f16 v8, v8;
	;;#ASMEND
	v_add_f32_e32 v4, v4, v8
	v_add_f32_e32 v12, v12, v7
	;; [unrolled: 1-line block ×6, first 2 shown]
.LBB74_38:                              ;   in Loop: Header=BB74_39 Depth=1
	s_or_b32 exec_lo, exec_lo, s15
	v_add_nc_u32_e32 v26, 4, v26
	v_add_co_u32 v5, s0, v5, 16
	v_add_co_ci_u32_e64 v6, null, 0, v6, s0
	v_cmp_le_i32_e32 vcc_lo, s16, v26
	v_add_nc_u32_e32 v24, 64, v24
	v_add_nc_u32_e32 v20, 0x100, v20
	s_or_b32 s13, vcc_lo, s13
	s_andn2_b32 exec_lo, exec_lo, s13
	s_cbranch_execz .LBB74_50
.LBB74_39:                              ; =>This Inner Loop Header: Depth=1
	v_mul_hi_u32 v1, v24, s21
	v_mul_lo_u32 v2, v1, s12
	v_add_nc_u32_e32 v3, 1, v1
	v_sub_nc_u32_e32 v2, v24, v2
	v_subrev_nc_u32_e32 v4, s12, v2
	v_cmp_le_u32_e32 vcc_lo, s12, v2
	v_cndmask_b32_e32 v1, v1, v3, vcc_lo
	v_cndmask_b32_e32 v2, v2, v4, vcc_lo
	v_add_nc_u32_e32 v3, 1, v1
	v_cmp_le_u32_e32 vcc_lo, s12, v2
	v_cndmask_b32_e32 v1, v1, v3, vcc_lo
	v_xor_b32_e32 v1, s19, v1
	v_subrev_nc_u32_e32 v1, s19, v1
	v_add_nc_u32_e32 v2, s31, v1
	v_cmp_lt_i32_e64 s0, s3, v1
	v_sub_nc_u32_e32 v3, 0, v2
	v_max_i32_e32 v3, v2, v3
	v_ashrrev_i32_e32 v2, 31, v2
	v_mul_hi_u32 v4, v3, v25
	v_mul_lo_u32 v4, v4, s4
	v_sub_nc_u32_e32 v3, v3, v4
	v_subrev_nc_u32_e32 v4, s4, v3
	v_cmp_le_u32_e32 vcc_lo, s4, v3
	v_cndmask_b32_e32 v3, v3, v4, vcc_lo
	v_subrev_nc_u32_e32 v4, s4, v3
	v_cmp_le_u32_e32 vcc_lo, s4, v3
	v_cndmask_b32_e32 v3, v3, v4, vcc_lo
	v_xor_b32_e32 v3, v3, v2
	v_sub_nc_u32_e32 v2, v3, v2
	v_cmp_eq_u32_e32 vcc_lo, 0, v2
	s_or_b32 s0, vcc_lo, s0
	s_and_saveexec_b32 s15, s0
	s_cbranch_execz .LBB74_38
; %bb.40:                               ;   in Loop: Header=BB74_39 Depth=1
	global_load_dword v7, v[5:6], off
	ds_read2_b64 v[1:4], v20 offset1:1
	ds_read2_b64 v[27:30], v20 offset0:2 offset1:3
	v_add_nc_u32_e32 v32, v16, v24
	v_cmp_eq_u32_e64 s0, s5, v26
	s_waitcnt lgkmcnt(1)
	;;#ASMSTART
	v_cvt_f16_f32 v36, v1;

	;;#ASMEND
	;;#ASMSTART
	v_cvt_f16_f32 v35, v2;

	;;#ASMEND
	;; [unrolled: 4-line block ×4, first 2 shown]
	s_waitcnt lgkmcnt(0)
	;;#ASMSTART
	v_cvt_f16_f32 v42, v27;

	;;#ASMEND
	;;#ASMSTART
	v_cvt_f16_f32 v38, v28;

	;;#ASMEND
	;; [unrolled: 4-line block ×4, first 2 shown]
	v_add_nc_u32_e32 v34, 1, v32
	v_add_nc_u32_e32 v31, 2, v32
	;; [unrolled: 1-line block ×7, first 2 shown]
	s_waitcnt vmcnt(0)
	v_mad_i64_i32 v[7:8], null, v7, s14, 0
	v_lshlrev_b64 v[7:8], 1, v[7:8]
	v_add_co_u32 v7, vcc_lo, v18, v7
	v_add_co_ci_u32_e64 v8, null, v19, v8, vcc_lo
	global_load_dwordx4 v[1:4], v[7:8], off
	s_waitcnt vmcnt(0)
	v_lshrrev_b32_e32 v45, 16, v1
	v_lshrrev_b32_e32 v44, 16, v2
	;; [unrolled: 1-line block ×3, first 2 shown]
	s_and_saveexec_b32 s17, s0
	s_cbranch_execz .LBB74_42
; %bb.41:                               ;   in Loop: Header=BB74_39 Depth=1
	v_cmp_gt_i32_e32 vcc_lo, s30, v32
	v_and_b32_e32 v46, 0xffff0000, v4
	v_cmp_gt_i32_e64 s1, s30, v31
	v_cndmask_b32_e32 v1, 0, v1, vcc_lo
	v_cmp_gt_i32_e32 vcc_lo, s30, v34
	v_cndmask_b32_e64 v2, 0, v2, s1
	v_cmp_gt_i32_e64 s1, s30, v30
	v_cndmask_b32_e32 v45, 0, v45, vcc_lo
	v_cmp_gt_i32_e32 vcc_lo, s30, v33
	v_cndmask_b32_e64 v44, 0, v44, s1
	v_cndmask_b32_sdwa v4, v17, v4, vcc_lo dst_sel:DWORD dst_unused:UNUSED_PAD src0_sel:DWORD src1_sel:WORD_0
	v_cmp_gt_i32_e32 vcc_lo, s30, v29
	v_cndmask_b32_e32 v46, 0, v46, vcc_lo
	v_cmp_gt_i32_e32 vcc_lo, s30, v28
	v_or_b32_e32 v4, v4, v46
	v_cndmask_b32_e32 v3, 0, v3, vcc_lo
	v_cmp_gt_i32_e32 vcc_lo, s30, v27
	v_cndmask_b32_e32 v43, 0, v43, vcc_lo
.LBB74_42:                              ;   in Loop: Header=BB74_39 Depth=1
	s_or_b32 exec_lo, exec_lo, s17
	v_and_b32_e32 v36, 0xffff, v36
	v_and_b32_e32 v41, 0xffff, v41
	v_lshlrev_b32_e32 v45, 16, v45
	v_lshlrev_b32_e32 v43, 16, v43
	v_and_b32_e32 v42, 0xffff, v42
	v_lshl_or_b32 v36, v35, 16, v36
	v_lshl_or_b32 v35, v39, 16, v41
	v_lshlrev_b32_e32 v41, 16, v44
	v_and_b32_e32 v40, 0xffff, v40
	v_and_or_b32 v1, 0xffff, v1, v45
	v_and_or_b32 v3, 0xffff, v3, v43
	;;#ASMSTART
	v_pk_mul_f16 v1, v36, v1;

	;;#ASMEND
	v_and_or_b32 v2, 0xffff, v2, v41
	v_lshl_or_b32 v39, v38, 16, v42
	v_lshl_or_b32 v40, v37, 16, v40
	;;#ASMSTART
	v_pk_mul_f16 v2, v35, v2;

	;;#ASMEND
	;;#ASMSTART
	v_pk_mul_f16 v3, v39, v3;

	;;#ASMEND
	;; [unrolled: 4-line block ×3, first 2 shown]
	;;#ASMSTART
	v_pk_add_f16 v1, v1, v2;

	;;#ASMEND
	;;#ASMSTART
	v_pk_add_f16 v1, v1, v3;

	;;#ASMEND
	;;#ASMSTART
	v_pk_add_f16 v1, v1, v4;

	;;#ASMEND
	v_and_b32_e32 v2, 0xffff, v1
	v_lshrrev_b32_e32 v1, 16, v1
	;;#ASMSTART
	v_cvt_f32_f16 v37, v2;
	;;#ASMEND
	;;#ASMSTART
	v_cvt_f32_f16 v38, v1;
	;;#ASMEND
	global_load_dwordx4 v[1:4], v[7:8], off offset:512
	s_waitcnt vmcnt(0)
	v_lshrrev_b32_e32 v43, 16, v1
	v_lshrrev_b32_e32 v42, 16, v2
	;; [unrolled: 1-line block ×3, first 2 shown]
	s_and_saveexec_b32 s17, s0
	s_cbranch_execz .LBB74_44
; %bb.43:                               ;   in Loop: Header=BB74_39 Depth=1
	v_cmp_gt_i32_e32 vcc_lo, s30, v32
	v_and_b32_e32 v44, 0xffff0000, v4
	v_cmp_gt_i32_e64 s1, s30, v31
	v_cndmask_b32_e32 v1, 0, v1, vcc_lo
	v_cmp_gt_i32_e32 vcc_lo, s30, v34
	v_cndmask_b32_e64 v2, 0, v2, s1
	v_cmp_gt_i32_e64 s1, s30, v30
	v_cndmask_b32_e32 v43, 0, v43, vcc_lo
	v_cmp_gt_i32_e32 vcc_lo, s30, v33
	v_cndmask_b32_e64 v42, 0, v42, s1
	v_cndmask_b32_sdwa v4, v17, v4, vcc_lo dst_sel:DWORD dst_unused:UNUSED_PAD src0_sel:DWORD src1_sel:WORD_0
	v_cmp_gt_i32_e32 vcc_lo, s30, v29
	v_cndmask_b32_e32 v44, 0, v44, vcc_lo
	v_cmp_gt_i32_e32 vcc_lo, s30, v28
	v_or_b32_e32 v4, v4, v44
	v_cndmask_b32_e32 v3, 0, v3, vcc_lo
	v_cmp_gt_i32_e32 vcc_lo, s30, v27
	v_cndmask_b32_e32 v41, 0, v41, vcc_lo
.LBB74_44:                              ;   in Loop: Header=BB74_39 Depth=1
	s_or_b32 exec_lo, exec_lo, s17
	v_lshlrev_b32_e32 v43, 16, v43
	v_lshlrev_b32_e32 v42, 16, v42
	;; [unrolled: 1-line block ×3, first 2 shown]
	v_and_or_b32 v1, 0xffff, v1, v43
	v_and_or_b32 v2, 0xffff, v2, v42
	;; [unrolled: 1-line block ×3, first 2 shown]
	;;#ASMSTART
	v_pk_mul_f16 v1, v36, v1;

	;;#ASMEND
	;;#ASMSTART
	v_pk_mul_f16 v2, v35, v2;

	;;#ASMEND
	;; [unrolled: 4-line block ×4, first 2 shown]
	;;#ASMSTART
	v_pk_add_f16 v1, v1, v2;

	;;#ASMEND
	;;#ASMSTART
	v_pk_add_f16 v1, v1, v3;

	;;#ASMEND
	;; [unrolled: 4-line block ×3, first 2 shown]
	v_and_b32_e32 v2, 0xffff, v1
	v_lshrrev_b32_e32 v1, 16, v1
	;;#ASMSTART
	v_cvt_f32_f16 v41, v2;
	;;#ASMEND
	;;#ASMSTART
	v_cvt_f32_f16 v42, v1;
	;;#ASMEND
	global_load_dwordx4 v[1:4], v[7:8], off offset:1024
	s_waitcnt vmcnt(0)
	v_lshrrev_b32_e32 v45, 16, v1
	v_lshrrev_b32_e32 v44, 16, v2
	;; [unrolled: 1-line block ×3, first 2 shown]
	s_and_saveexec_b32 s17, s0
	s_cbranch_execz .LBB74_46
; %bb.45:                               ;   in Loop: Header=BB74_39 Depth=1
	v_cmp_gt_i32_e32 vcc_lo, s30, v32
	v_and_b32_e32 v46, 0xffff0000, v4
	v_cmp_gt_i32_e64 s1, s30, v31
	v_cndmask_b32_e32 v1, 0, v1, vcc_lo
	v_cmp_gt_i32_e32 vcc_lo, s30, v34
	v_cndmask_b32_e64 v2, 0, v2, s1
	v_cmp_gt_i32_e64 s1, s30, v30
	v_cndmask_b32_e32 v45, 0, v45, vcc_lo
	v_cmp_gt_i32_e32 vcc_lo, s30, v33
	v_cndmask_b32_e64 v44, 0, v44, s1
	v_cndmask_b32_sdwa v4, v17, v4, vcc_lo dst_sel:DWORD dst_unused:UNUSED_PAD src0_sel:DWORD src1_sel:WORD_0
	v_cmp_gt_i32_e32 vcc_lo, s30, v29
	v_cndmask_b32_e32 v46, 0, v46, vcc_lo
	v_cmp_gt_i32_e32 vcc_lo, s30, v28
	v_or_b32_e32 v4, v4, v46
	v_cndmask_b32_e32 v3, 0, v3, vcc_lo
	v_cmp_gt_i32_e32 vcc_lo, s30, v27
	v_cndmask_b32_e32 v43, 0, v43, vcc_lo
.LBB74_46:                              ;   in Loop: Header=BB74_39 Depth=1
	s_or_b32 exec_lo, exec_lo, s17
	v_lshlrev_b32_e32 v45, 16, v45
	v_lshlrev_b32_e32 v44, 16, v44
	;; [unrolled: 1-line block ×3, first 2 shown]
	v_and_or_b32 v1, 0xffff, v1, v45
	v_and_or_b32 v2, 0xffff, v2, v44
	;; [unrolled: 1-line block ×3, first 2 shown]
	;;#ASMSTART
	v_pk_mul_f16 v1, v36, v1;

	;;#ASMEND
	;;#ASMSTART
	v_pk_mul_f16 v2, v35, v2;

	;;#ASMEND
	;; [unrolled: 4-line block ×4, first 2 shown]
	;;#ASMSTART
	v_pk_add_f16 v1, v1, v2;

	;;#ASMEND
	;;#ASMSTART
	v_pk_add_f16 v1, v1, v3;

	;;#ASMEND
	;; [unrolled: 4-line block ×3, first 2 shown]
	v_and_b32_e32 v2, 0xffff, v1
	v_lshrrev_b32_e32 v1, 16, v1
	;;#ASMSTART
	v_cvt_f32_f16 v43, v2;
	;;#ASMEND
	;;#ASMSTART
	v_cvt_f32_f16 v44, v1;
	;;#ASMEND
	global_load_dwordx4 v[1:4], v[7:8], off offset:1536
	s_waitcnt vmcnt(0)
	v_lshrrev_b32_e32 v47, 16, v1
	v_lshrrev_b32_e32 v46, 16, v2
	;; [unrolled: 1-line block ×3, first 2 shown]
	s_and_saveexec_b32 s17, s0
	s_cbranch_execz .LBB74_48
; %bb.47:                               ;   in Loop: Header=BB74_39 Depth=1
	v_cmp_gt_i32_e32 vcc_lo, s30, v32
	v_and_b32_e32 v48, 0xffff0000, v4
	v_cmp_gt_i32_e64 s1, s30, v31
	v_cndmask_b32_e32 v1, 0, v1, vcc_lo
	v_cmp_gt_i32_e32 vcc_lo, s30, v34
	v_cndmask_b32_e64 v2, 0, v2, s1
	v_cmp_gt_i32_e64 s1, s30, v30
	v_cndmask_b32_e32 v47, 0, v47, vcc_lo
	v_cmp_gt_i32_e32 vcc_lo, s30, v33
	v_cndmask_b32_e64 v46, 0, v46, s1
	v_cndmask_b32_sdwa v4, v17, v4, vcc_lo dst_sel:DWORD dst_unused:UNUSED_PAD src0_sel:DWORD src1_sel:WORD_0
	v_cmp_gt_i32_e32 vcc_lo, s30, v29
	v_cndmask_b32_e32 v48, 0, v48, vcc_lo
	v_cmp_gt_i32_e32 vcc_lo, s30, v28
	v_or_b32_e32 v4, v4, v48
	v_cndmask_b32_e32 v3, 0, v3, vcc_lo
	v_cmp_gt_i32_e32 vcc_lo, s30, v27
	v_cndmask_b32_e32 v45, 0, v45, vcc_lo
.LBB74_48:                              ;   in Loop: Header=BB74_39 Depth=1
	s_or_b32 exec_lo, exec_lo, s17
	v_lshlrev_b32_e32 v47, 16, v47
	v_lshlrev_b32_e32 v46, 16, v46
	;; [unrolled: 1-line block ×3, first 2 shown]
	v_and_or_b32 v1, 0xffff, v1, v47
	v_and_or_b32 v2, 0xffff, v2, v46
	;; [unrolled: 1-line block ×3, first 2 shown]
	;;#ASMSTART
	v_pk_mul_f16 v1, v36, v1;

	;;#ASMEND
	;;#ASMSTART
	v_pk_mul_f16 v2, v35, v2;

	;;#ASMEND
	;; [unrolled: 4-line block ×4, first 2 shown]
	;;#ASMSTART
	v_pk_add_f16 v1, v1, v2;

	;;#ASMEND
	;;#ASMSTART
	v_pk_add_f16 v1, v1, v3;

	;;#ASMEND
	;; [unrolled: 4-line block ×3, first 2 shown]
	v_lshrrev_b32_e32 v3, 16, v1
	v_and_b32_e32 v4, 0xffff, v1
	v_add_co_u32 v1, vcc_lo, 0x800, v7
	v_add_co_ci_u32_e64 v2, null, 0, v8, vcc_lo
	;;#ASMSTART
	v_cvt_f32_f16 v7, v4;
	;;#ASMEND
	;;#ASMSTART
	v_cvt_f32_f16 v8, v3;
	;;#ASMEND
	global_load_dwordx4 v[1:4], v[1:2], off
	s_waitcnt vmcnt(0)
	v_lshrrev_b32_e32 v47, 16, v1
	v_lshrrev_b32_e32 v46, 16, v2
	;; [unrolled: 1-line block ×3, first 2 shown]
	s_and_saveexec_b32 s1, s0
	s_cbranch_execz .LBB74_37
; %bb.49:                               ;   in Loop: Header=BB74_39 Depth=1
	v_cmp_gt_i32_e32 vcc_lo, s30, v32
	v_cmp_gt_i32_e64 s0, s30, v31
	v_cndmask_b32_e32 v1, 0, v1, vcc_lo
	v_cmp_gt_i32_e32 vcc_lo, s30, v34
	v_cndmask_b32_e64 v2, 0, v2, s0
	v_cmp_gt_i32_e64 s0, s30, v30
	v_and_b32_e32 v30, 0xffff0000, v4
	v_cndmask_b32_e32 v47, 0, v47, vcc_lo
	v_cmp_gt_i32_e32 vcc_lo, s30, v33
	v_cndmask_b32_e64 v46, 0, v46, s0
	v_cndmask_b32_sdwa v4, v17, v4, vcc_lo dst_sel:DWORD dst_unused:UNUSED_PAD src0_sel:DWORD src1_sel:WORD_0
	v_cmp_gt_i32_e32 vcc_lo, s30, v29
	v_cndmask_b32_e32 v29, 0, v30, vcc_lo
	v_cmp_gt_i32_e32 vcc_lo, s30, v28
	v_or_b32_e32 v4, v4, v29
	v_cndmask_b32_e32 v3, 0, v3, vcc_lo
	v_cmp_gt_i32_e32 vcc_lo, s30, v27
	v_cndmask_b32_e32 v45, 0, v45, vcc_lo
	s_branch .LBB74_37
.LBB74_50:
	s_or_b32 exec_lo, exec_lo, s13
.LBB74_51:
	s_or_b32 exec_lo, exec_lo, s2
	ds_bpermute_b32 v1, v10, v15
	ds_bpermute_b32 v2, v10, v14
	;; [unrolled: 1-line block ×5, first 2 shown]
	v_lshrrev_b32_e32 v6, 1, v9
	v_mul_u32_u24_e32 v8, 0x140, v23
	v_and_b32_e32 v9, 0x3c1, v0
	s_mov_b32 s0, exec_lo
	s_waitcnt lgkmcnt(0)
	v_lshl_add_u32 v7, v6, 2, 0xc0
	s_barrier
	buffer_gl0_inv
	v_add_f32_e32 v5, v15, v1
	v_add_f32_e32 v4, v14, v2
	;; [unrolled: 1-line block ×5, first 2 shown]
	v_cmpx_eq_u32_e32 64, v9
	s_cbranch_execz .LBB74_53
; %bb.52:
	v_add_nc_u32_e32 v9, v7, v8
	v_add_nc_u32_e32 v10, 0xfffffd80, v9
	;; [unrolled: 1-line block ×6, first 2 shown]
	ds_write_b32 v10, v5
	ds_write_b32 v11, v4
	;; [unrolled: 1-line block ×5, first 2 shown]
.LBB74_53:
	s_or_b32 exec_lo, exec_lo, s0
	v_lshlrev_b32_e32 v6, 2, v6
	s_mov_b32 s1, exec_lo
	v_cmp_eq_u32_e32 vcc_lo, 0, v22
	s_waitcnt lgkmcnt(0)
	s_barrier
	v_add3_u32 v6, 0xc0, v8, v6
	buffer_gl0_inv
	v_cmpx_gt_u32_e32 64, v0
	s_cbranch_execz .LBB74_61
; %bb.54:
	s_and_saveexec_b32 s0, vcc_lo
	s_cbranch_execnz .LBB74_74
; %bb.55:
	s_or_b32 exec_lo, exec_lo, s0
	s_and_saveexec_b32 s0, vcc_lo
	s_cbranch_execnz .LBB74_75
.LBB74_56:
	s_or_b32 exec_lo, exec_lo, s0
	s_and_saveexec_b32 s0, vcc_lo
	s_cbranch_execnz .LBB74_76
.LBB74_57:
	s_or_b32 exec_lo, exec_lo, s0
	s_and_saveexec_b32 s0, vcc_lo
	s_cbranch_execnz .LBB74_77
.LBB74_58:
	s_or_b32 exec_lo, exec_lo, s0
	s_and_saveexec_b32 s0, vcc_lo
	s_cbranch_execz .LBB74_60
.LBB74_59:
	ds_read_b32 v8, v6 offset:256
	s_waitcnt lgkmcnt(0)
	v_add_f32_e32 v1, v1, v8
.LBB74_60:
	s_or_b32 exec_lo, exec_lo, s0
.LBB74_61:
	s_or_b32 exec_lo, exec_lo, s1
	v_and_b32_e32 v8, 0x3e1, v0
	s_mov_b32 s1, exec_lo
	s_barrier
	buffer_gl0_inv
	v_cmpx_eq_u32_e32 32, v8
	s_cbranch_execz .LBB74_63
; %bb.62:
	ds_write2_b32 v7, v5, v4 offset1:16
	ds_write2_b32 v7, v3, v2 offset0:32 offset1:48
	ds_write_b32 v7, v1 offset:256
.LBB74_63:
	s_or_b32 exec_lo, exec_lo, s1
	s_mov_b32 s1, exec_lo
	s_waitcnt lgkmcnt(0)
	s_barrier
	buffer_gl0_inv
	v_cmpx_gt_u32_e32 32, v0
	s_cbranch_execz .LBB74_71
; %bb.64:
	s_and_saveexec_b32 s0, vcc_lo
	s_cbranch_execnz .LBB74_78
; %bb.65:
	s_or_b32 exec_lo, exec_lo, s0
	s_and_saveexec_b32 s0, vcc_lo
	s_cbranch_execnz .LBB74_79
.LBB74_66:
	s_or_b32 exec_lo, exec_lo, s0
	s_and_saveexec_b32 s0, vcc_lo
	s_cbranch_execnz .LBB74_80
.LBB74_67:
	s_or_b32 exec_lo, exec_lo, s0
	s_and_saveexec_b32 s0, vcc_lo
	s_cbranch_execnz .LBB74_81
.LBB74_68:
	s_or_b32 exec_lo, exec_lo, s0
	s_and_saveexec_b32 s0, vcc_lo
	s_cbranch_execz .LBB74_70
.LBB74_69:
	ds_read_b32 v0, v6 offset:256
	s_waitcnt lgkmcnt(0)
	v_add_f32_e32 v1, v1, v0
.LBB74_70:
	s_or_b32 exec_lo, exec_lo, s0
.LBB74_71:
	s_or_b32 exec_lo, exec_lo, s1
	s_barrier
	buffer_gl0_inv
	s_mov_b32 s0, exec_lo
	v_cmpx_eq_u32_e32 0, v8
	s_cbranch_execz .LBB74_73
; %bb.72:
	s_mul_i32 s0, s10, s11
	s_mul_i32 s2, s11, s20
	;; [unrolled: 1-line block ×3, first 2 shown]
	v_lshlrev_b32_e32 v0, 1, v21
	s_mulk_i32 s0, 0x50
	;;#ASMSTART
	v_cvt_f16_f32 v5, v5;

	;;#ASMEND
	s_ashr_i32 s1, s0, 31
	s_lshl_b64 s[0:1], s[0:1], 1
	s_add_u32 s4, s6, s0
	s_addc_u32 s5, s7, s1
	s_ashr_i32 s3, s2, 31
	s_lshl_b64 s[0:1], s[2:3], 1
	s_mul_i32 s2, s8, 0x50
	s_add_u32 s4, s4, s0
	s_addc_u32 s5, s5, s1
	s_ashr_i32 s3, s2, 31
	s_lshl_b64 s[0:1], s[2:3], 1
	s_add_u32 s0, s4, s0
	s_addc_u32 s1, s5, s1
	global_store_short v0, v5, s[0:1]
	;;#ASMSTART
	v_cvt_f16_f32 v4, v4;

	;;#ASMEND
	global_store_short v0, v4, s[0:1] offset:32
	;;#ASMSTART
	v_cvt_f16_f32 v3, v3;

	;;#ASMEND
	global_store_short v0, v3, s[0:1] offset:64
	;; [unrolled: 5-line block ×4, first 2 shown]
.LBB74_73:
	s_endpgm
.LBB74_74:
	ds_read_b32 v8, v6
	s_waitcnt lgkmcnt(0)
	v_add_f32_e32 v5, v5, v8
	s_or_b32 exec_lo, exec_lo, s0
	s_and_saveexec_b32 s0, vcc_lo
	s_cbranch_execz .LBB74_56
.LBB74_75:
	ds_read_b32 v8, v6 offset:64
	s_waitcnt lgkmcnt(0)
	v_add_f32_e32 v4, v4, v8
	s_or_b32 exec_lo, exec_lo, s0
	s_and_saveexec_b32 s0, vcc_lo
	s_cbranch_execz .LBB74_57
.LBB74_76:
	ds_read_b32 v8, v6 offset:128
	s_waitcnt lgkmcnt(0)
	v_add_f32_e32 v3, v3, v8
	s_or_b32 exec_lo, exec_lo, s0
	s_and_saveexec_b32 s0, vcc_lo
	s_cbranch_execz .LBB74_58
.LBB74_77:
	ds_read_b32 v8, v6 offset:192
	s_waitcnt lgkmcnt(0)
	v_add_f32_e32 v2, v2, v8
	s_or_b32 exec_lo, exec_lo, s0
	s_and_saveexec_b32 s0, vcc_lo
	s_cbranch_execnz .LBB74_59
	s_branch .LBB74_60
.LBB74_78:
	ds_read_b32 v0, v6
	s_waitcnt lgkmcnt(0)
	v_add_f32_e32 v5, v5, v0
	s_or_b32 exec_lo, exec_lo, s0
	s_and_saveexec_b32 s0, vcc_lo
	s_cbranch_execz .LBB74_66
.LBB74_79:
	ds_read_b32 v0, v6 offset:64
	s_waitcnt lgkmcnt(0)
	v_add_f32_e32 v4, v4, v0
	s_or_b32 exec_lo, exec_lo, s0
	s_and_saveexec_b32 s0, vcc_lo
	s_cbranch_execz .LBB74_67
.LBB74_80:
	ds_read_b32 v0, v6 offset:128
	s_waitcnt lgkmcnt(0)
	v_add_f32_e32 v3, v3, v0
	s_or_b32 exec_lo, exec_lo, s0
	s_and_saveexec_b32 s0, vcc_lo
	s_cbranch_execz .LBB74_68
.LBB74_81:
	ds_read_b32 v0, v6 offset:192
	s_waitcnt lgkmcnt(0)
	v_add_f32_e32 v2, v2, v0
	s_or_b32 exec_lo, exec_lo, s0
	s_and_saveexec_b32 s0, vcc_lo
	s_cbranch_execnz .LBB74_69
	s_branch .LBB74_70
	.section	.rodata,"a",@progbits
	.p2align	6, 0x0
	.amdhsa_kernel _ZN4vllm25paged_attention_v1_kernelIttLi80ELi16ELi128ELNS_18Fp8KVCacheDataTypeE0ELb1EEEvPT_PKS2_PKT0_S8_ifPKiSA_iPKfiiiSC_SC_iiiii
		.amdhsa_group_segment_fixed_size 192
		.amdhsa_private_segment_fixed_size 0
		.amdhsa_kernarg_size 384
		.amdhsa_user_sgpr_count 6
		.amdhsa_user_sgpr_private_segment_buffer 1
		.amdhsa_user_sgpr_dispatch_ptr 0
		.amdhsa_user_sgpr_queue_ptr 0
		.amdhsa_user_sgpr_kernarg_segment_ptr 1
		.amdhsa_user_sgpr_dispatch_id 0
		.amdhsa_user_sgpr_flat_scratch_init 0
		.amdhsa_user_sgpr_private_segment_size 0
		.amdhsa_wavefront_size32 1
		.amdhsa_uses_dynamic_stack 0
		.amdhsa_system_sgpr_private_segment_wavefront_offset 0
		.amdhsa_system_sgpr_workgroup_id_x 1
		.amdhsa_system_sgpr_workgroup_id_y 1
		.amdhsa_system_sgpr_workgroup_id_z 1
		.amdhsa_system_sgpr_workgroup_info 0
		.amdhsa_system_vgpr_workitem_id 0
		.amdhsa_next_free_vgpr 90
		.amdhsa_next_free_sgpr 38
		.amdhsa_reserve_vcc 1
		.amdhsa_reserve_flat_scratch 0
		.amdhsa_float_round_mode_32 0
		.amdhsa_float_round_mode_16_64 0
		.amdhsa_float_denorm_mode_32 3
		.amdhsa_float_denorm_mode_16_64 3
		.amdhsa_dx10_clamp 1
		.amdhsa_ieee_mode 1
		.amdhsa_fp16_overflow 0
		.amdhsa_workgroup_processor_mode 1
		.amdhsa_memory_ordered 1
		.amdhsa_forward_progress 1
		.amdhsa_shared_vgpr_count 0
		.amdhsa_exception_fp_ieee_invalid_op 0
		.amdhsa_exception_fp_denorm_src 0
		.amdhsa_exception_fp_ieee_div_zero 0
		.amdhsa_exception_fp_ieee_overflow 0
		.amdhsa_exception_fp_ieee_underflow 0
		.amdhsa_exception_fp_ieee_inexact 0
		.amdhsa_exception_int_div_zero 0
	.end_amdhsa_kernel
	.section	.text._ZN4vllm25paged_attention_v1_kernelIttLi80ELi16ELi128ELNS_18Fp8KVCacheDataTypeE0ELb1EEEvPT_PKS2_PKT0_S8_ifPKiSA_iPKfiiiSC_SC_iiiii,"axG",@progbits,_ZN4vllm25paged_attention_v1_kernelIttLi80ELi16ELi128ELNS_18Fp8KVCacheDataTypeE0ELb1EEEvPT_PKS2_PKT0_S8_ifPKiSA_iPKfiiiSC_SC_iiiii,comdat
.Lfunc_end74:
	.size	_ZN4vllm25paged_attention_v1_kernelIttLi80ELi16ELi128ELNS_18Fp8KVCacheDataTypeE0ELb1EEEvPT_PKS2_PKT0_S8_ifPKiSA_iPKfiiiSC_SC_iiiii, .Lfunc_end74-_ZN4vllm25paged_attention_v1_kernelIttLi80ELi16ELi128ELNS_18Fp8KVCacheDataTypeE0ELb1EEEvPT_PKS2_PKT0_S8_ifPKiSA_iPKfiiiSC_SC_iiiii
                                        ; -- End function
	.set _ZN4vllm25paged_attention_v1_kernelIttLi80ELi16ELi128ELNS_18Fp8KVCacheDataTypeE0ELb1EEEvPT_PKS2_PKT0_S8_ifPKiSA_iPKfiiiSC_SC_iiiii.num_vgpr, 90
	.set _ZN4vllm25paged_attention_v1_kernelIttLi80ELi16ELi128ELNS_18Fp8KVCacheDataTypeE0ELb1EEEvPT_PKS2_PKT0_S8_ifPKiSA_iPKfiiiSC_SC_iiiii.num_agpr, 0
	.set _ZN4vllm25paged_attention_v1_kernelIttLi80ELi16ELi128ELNS_18Fp8KVCacheDataTypeE0ELb1EEEvPT_PKS2_PKT0_S8_ifPKiSA_iPKfiiiSC_SC_iiiii.numbered_sgpr, 38
	.set _ZN4vllm25paged_attention_v1_kernelIttLi80ELi16ELi128ELNS_18Fp8KVCacheDataTypeE0ELb1EEEvPT_PKS2_PKT0_S8_ifPKiSA_iPKfiiiSC_SC_iiiii.num_named_barrier, 0
	.set _ZN4vllm25paged_attention_v1_kernelIttLi80ELi16ELi128ELNS_18Fp8KVCacheDataTypeE0ELb1EEEvPT_PKS2_PKT0_S8_ifPKiSA_iPKfiiiSC_SC_iiiii.private_seg_size, 0
	.set _ZN4vllm25paged_attention_v1_kernelIttLi80ELi16ELi128ELNS_18Fp8KVCacheDataTypeE0ELb1EEEvPT_PKS2_PKT0_S8_ifPKiSA_iPKfiiiSC_SC_iiiii.uses_vcc, 1
	.set _ZN4vllm25paged_attention_v1_kernelIttLi80ELi16ELi128ELNS_18Fp8KVCacheDataTypeE0ELb1EEEvPT_PKS2_PKT0_S8_ifPKiSA_iPKfiiiSC_SC_iiiii.uses_flat_scratch, 0
	.set _ZN4vllm25paged_attention_v1_kernelIttLi80ELi16ELi128ELNS_18Fp8KVCacheDataTypeE0ELb1EEEvPT_PKS2_PKT0_S8_ifPKiSA_iPKfiiiSC_SC_iiiii.has_dyn_sized_stack, 0
	.set _ZN4vllm25paged_attention_v1_kernelIttLi80ELi16ELi128ELNS_18Fp8KVCacheDataTypeE0ELb1EEEvPT_PKS2_PKT0_S8_ifPKiSA_iPKfiiiSC_SC_iiiii.has_recursion, 0
	.set _ZN4vllm25paged_attention_v1_kernelIttLi80ELi16ELi128ELNS_18Fp8KVCacheDataTypeE0ELb1EEEvPT_PKS2_PKT0_S8_ifPKiSA_iPKfiiiSC_SC_iiiii.has_indirect_call, 0
	.section	.AMDGPU.csdata,"",@progbits
; Kernel info:
; codeLenInByte = 8528
; TotalNumSgprs: 40
; NumVgprs: 90
; ScratchSize: 0
; MemoryBound: 0
; FloatMode: 240
; IeeeMode: 1
; LDSByteSize: 192 bytes/workgroup (compile time only)
; SGPRBlocks: 0
; VGPRBlocks: 11
; NumSGPRsForWavesPerEU: 40
; NumVGPRsForWavesPerEU: 90
; Occupancy: 10
; WaveLimiterHint : 1
; COMPUTE_PGM_RSRC2:SCRATCH_EN: 0
; COMPUTE_PGM_RSRC2:USER_SGPR: 6
; COMPUTE_PGM_RSRC2:TRAP_HANDLER: 0
; COMPUTE_PGM_RSRC2:TGID_X_EN: 1
; COMPUTE_PGM_RSRC2:TGID_Y_EN: 1
; COMPUTE_PGM_RSRC2:TGID_Z_EN: 1
; COMPUTE_PGM_RSRC2:TIDIG_COMP_CNT: 0
	.section	.text._ZN4vllm25paged_attention_v1_kernelIttLi96ELi16ELi128ELNS_18Fp8KVCacheDataTypeE0ELb1EEEvPT_PKS2_PKT0_S8_ifPKiSA_iPKfiiiSC_SC_iiiii,"axG",@progbits,_ZN4vllm25paged_attention_v1_kernelIttLi96ELi16ELi128ELNS_18Fp8KVCacheDataTypeE0ELb1EEEvPT_PKS2_PKT0_S8_ifPKiSA_iPKfiiiSC_SC_iiiii,comdat
	.protected	_ZN4vllm25paged_attention_v1_kernelIttLi96ELi16ELi128ELNS_18Fp8KVCacheDataTypeE0ELb1EEEvPT_PKS2_PKT0_S8_ifPKiSA_iPKfiiiSC_SC_iiiii ; -- Begin function _ZN4vllm25paged_attention_v1_kernelIttLi96ELi16ELi128ELNS_18Fp8KVCacheDataTypeE0ELb1EEEvPT_PKS2_PKT0_S8_ifPKiSA_iPKfiiiSC_SC_iiiii
	.globl	_ZN4vllm25paged_attention_v1_kernelIttLi96ELi16ELi128ELNS_18Fp8KVCacheDataTypeE0ELb1EEEvPT_PKS2_PKT0_S8_ifPKiSA_iPKfiiiSC_SC_iiiii
	.p2align	8
	.type	_ZN4vllm25paged_attention_v1_kernelIttLi96ELi16ELi128ELNS_18Fp8KVCacheDataTypeE0ELb1EEEvPT_PKS2_PKT0_S8_ifPKiSA_iPKfiiiSC_SC_iiiii,@function
_ZN4vllm25paged_attention_v1_kernelIttLi96ELi16ELi128ELNS_18Fp8KVCacheDataTypeE0ELb1EEEvPT_PKS2_PKT0_S8_ifPKiSA_iPKfiiiSC_SC_iiiii: ; @_ZN4vllm25paged_attention_v1_kernelIttLi96ELi16ELi128ELNS_18Fp8KVCacheDataTypeE0ELb1EEEvPT_PKS2_PKT0_S8_ifPKiSA_iPKfiiiSC_SC_iiiii
; %bb.0:
	s_clause 0x2
	s_load_dword s9, s[4:5], 0x80
	s_load_dwordx2 s[0:1], s[4:5], 0x30
	s_load_dwordx2 s[28:29], s[4:5], 0x20
	s_mov_b32 s10, s7
	s_ashr_i32 s11, s7, 31
	s_mov_b32 s33, 0
	s_lshl_b64 s[2:3], s[10:11], 2
	s_waitcnt lgkmcnt(0)
	s_add_u32 s0, s0, s2
	s_addc_u32 s1, s1, s3
	s_abs_i32 s2, s28
	s_abs_i32 s11, s9
	v_cvt_f32_u32_e32 v1, s2
	s_sub_i32 s7, 0, s2
	v_rcp_iflag_f32_e32 v1, v1
	v_mul_f32_e32 v1, 0x4f7ffffe, v1
	v_cvt_u32_f32_e32 v1, v1
	v_readfirstlane_b32 s3, v1
	s_mul_i32 s7, s7, s3
	s_mul_hi_u32 s7, s3, s7
	s_add_i32 s3, s3, s7
	s_xor_b32 s7, s9, s28
	s_mul_hi_u32 s3, s11, s3
	s_ashr_i32 s7, s7, 31
	s_mul_i32 s12, s3, s2
	s_sub_i32 s11, s11, s12
	s_add_i32 s12, s3, 1
	s_sub_i32 s13, s11, s2
	s_cmp_ge_u32 s11, s2
	s_cselect_b32 s3, s12, s3
	s_cselect_b32 s11, s13, s11
	s_add_i32 s12, s3, 1
	s_cmp_ge_u32 s11, s2
	s_cselect_b32 s2, s12, s3
	s_abs_i32 s22, s6
	s_xor_b32 s2, s2, s7
	s_sub_i32 s16, s2, s7
	s_load_dwordx2 s[2:3], s[4:5], 0x40
	s_abs_i32 s11, s16
	v_cvt_f32_u32_e32 v1, s11
	s_sub_i32 s12, 0, s11
	v_rcp_iflag_f32_e32 v1, v1
	v_mul_f32_e32 v1, 0x4f7ffffe, v1
	v_cvt_u32_f32_e32 v1, v1
	v_readfirstlane_b32 s7, v1
	s_mul_i32 s12, s12, s7
	s_mul_hi_u32 s12, s7, s12
	s_add_i32 s7, s7, s12
	s_waitcnt lgkmcnt(0)
	s_cmp_eq_u64 s[2:3], 0
	s_mul_hi_u32 s23, s22, s7
	s_cbranch_scc1 .LBB75_2
; %bb.1:
	s_ashr_i32 s7, s6, 31
	s_lshl_b64 s[12:13], s[6:7], 2
	s_add_u32 s2, s2, s12
	s_addc_u32 s3, s3, s13
	s_load_dword s33, s[2:3], 0x0
.LBB75_2:
	s_load_dword s30, s[0:1], 0x0
	s_load_dwordx4 s[12:15], s[4:5], 0x48
	v_lshrrev_b32_e32 v27, 1, v0
	v_and_b32_e32 v28, 1, v0
	v_lshlrev_b32_e32 v31, 3, v0
	s_ashr_i32 s0, s6, 31
	s_ashr_i32 s1, s16, 31
	s_mul_i32 s20, s6, 0x60
	s_mov_b32 s2, exec_lo
	v_cmpx_gt_u32_e32 24, v0
	s_cbranch_execz .LBB75_4
; %bb.3:
	s_load_dwordx2 s[16:17], s[4:5], 0x8
	s_waitcnt lgkmcnt(0)
	s_mul_i32 s18, s12, s10
	v_lshlrev_b32_e32 v3, 3, v27
	s_ashr_i32 s19, s18, 31
	s_lshl_b64 s[18:19], s[18:19], 1
	v_mad_u32_u24 v3, 0x60, v28, v3
	s_add_u32 s3, s16, s18
	s_addc_u32 s7, s17, s19
	s_ashr_i32 s21, s20, 31
	s_lshl_b64 s[16:17], s[20:21], 1
	s_add_u32 s16, s3, s16
	s_addc_u32 s17, s7, s17
	global_load_dwordx2 v[1:2], v31, s[16:17]
	s_waitcnt vmcnt(0)
	ds_write_b64 v3, v[1:2]
.LBB75_4:
	s_or_b32 exec_lo, exec_lo, s2
	s_load_dwordx4 s[16:19], s[4:5], 0x68
	s_mul_i32 s2, s23, s11
	s_xor_b32 s1, s0, s1
	s_sub_i32 s0, s22, s2
	s_add_i32 s2, s23, 1
	s_sub_i32 s3, s0, s11
	s_cmp_ge_u32 s0, s11
	s_waitcnt lgkmcnt(0)
	s_cselect_b32 s2, s2, s23
	s_cselect_b32 s0, s3, s0
	s_add_i32 s3, s2, 1
	s_cmp_ge_u32 s0, s11
	s_load_dword s0, s[4:5], 0x78
	s_cselect_b32 s2, s3, s2
	s_add_i32 s7, s30, -1
	s_xor_b32 s2, s2, s1
	s_abs_i32 s3, s7
	s_sub_i32 s1, s2, s1
	s_mov_b32 s11, -1
	s_barrier
	s_abs_i32 s12, s19
	s_waitcnt lgkmcnt(0)
	buffer_gl0_inv
	v_cvt_f32_u32_e32 v1, s12
	s_sub_i32 s2, 0, s12
                                        ; implicit-def: $sgpr31
	v_rcp_iflag_f32_e32 v1, v1
	v_mul_f32_e32 v1, 0x4f7ffffe, v1
	v_cvt_u32_f32_e32 v1, v1
	v_readfirstlane_b32 s21, v1
	s_mul_i32 s2, s2, s21
	s_mul_hi_u32 s2, s21, s2
	s_add_i32 s21, s21, s2
	s_cmp_lt_i32 s0, 0
	s_mul_hi_u32 s2, s3, s21
	s_cbranch_scc0 .LBB75_6
; %bb.5:
	s_mul_i32 s11, s16, s28
	s_add_i32 s11, s1, s11
	s_mul_i32 s11, s11, s0
	s_sub_i32 s31, 1, s11
	s_mov_b32 s11, 0
.LBB75_6:
	s_load_dwordx2 s[22:23], s[4:5], 0x28
	s_ashr_i32 s7, s7, 31
	s_andn2_b32 vcc_lo, exec_lo, s11
	s_ashr_i32 s19, s19, 31
	s_cbranch_vccnz .LBB75_8
; %bb.7:
	s_mul_i32 s11, s9, s16
	s_add_i32 s6, s11, s6
	s_mul_i32 s0, s6, s0
	s_add_i32 s31, s0, 1
.LBB75_8:
	s_load_dword s0, s[4:5], 0x38
	s_mul_i32 s6, s2, s12
	s_xor_b32 s15, s7, s19
	s_sub_i32 s3, s3, s6
	s_add_i32 s16, s2, 1
	s_clause 0x2
	s_load_dwordx2 s[6:7], s[4:5], 0x0
	s_load_dwordx2 s[26:27], s[4:5], 0x18
	s_load_dword s11, s[4:5], 0x88
	v_lshrrev_b32_e32 v29, 5, v0
	v_mov_b32_e32 v34, 0xff7fffff
	v_lshrrev_b32_e32 v32, 3, v0
	v_mbcnt_lo_u32_b32 v33, -1, 0
	s_mul_i32 s14, s1, s14
	v_lshlrev_b32_e32 v30, 4, v29
	s_waitcnt lgkmcnt(0)
	s_mul_i32 s24, s0, s10
	s_sub_i32 s0, s3, s12
	s_ashr_i32 s25, s24, 31
	s_cmp_ge_u32 s3, s12
	s_cselect_b32 s2, s16, s2
	s_cselect_b32 s0, s0, s3
	s_add_i32 s3, s2, 1
	s_cmp_ge_u32 s0, s12
	s_cselect_b32 s0, s3, s2
	s_add_i32 s2, s30, 15
	s_ashr_i32 s3, s2, 31
	s_lshr_b32 s3, s3, 28
	s_add_i32 s2, s2, s3
	s_ashr_i32 s16, s2, 4
	s_xor_b32 s2, s0, s15
	v_cmp_gt_i32_e64 s0, s16, v29
	s_sub_i32 s28, s2, s15
	s_and_saveexec_b32 s34, s0
	s_cbranch_execz .LBB75_20
; %bb.9:
	s_load_dwordx2 s[2:3], s[4:5], 0x10
	s_ashr_i32 s15, s14, 31
	s_sub_i32 s4, s28, s17
	s_lshl_b64 s[36:37], s[14:15], 1
	v_bfe_u32 v35, v0, 1, 4
	v_and_b32_e32 v2, 0x7c, v32
	v_and_b32_e32 v3, 8, v31
	v_mul_u32_u24_e32 v36, 0x60, v28
	v_cmp_neq_f32_e64 s1, s33, 0
	v_lshlrev_b32_e32 v4, 2, v35
	v_subrev_nc_u32_e32 v5, s30, v35
	v_lshlrev_b32_e32 v37, 4, v29
	v_mov_b32_e32 v38, 0xff7fffff
	v_xor_b32_e32 v39, 1, v33
	v_lshl_or_b32 v4, v29, 6, v4
	v_add_nc_u32_e32 v40, 1, v5
	v_mov_b32_e32 v34, 0xff7fffff
	v_mov_b32_e32 v45, v29
	v_cmp_eq_u32_e32 vcc_lo, 0, v28
	v_add_nc_u32_e32 v41, 0xe0, v4
	s_waitcnt lgkmcnt(0)
	s_add_u32 s15, s2, s36
	s_addc_u32 s35, s3, s37
	s_abs_i32 s5, s18
	v_cvt_f32_u32_e32 v1, s5
	s_sub_i32 s2, 0, s5
	v_rcp_iflag_f32_e32 v1, v1
	v_mul_f32_e32 v1, 0x4f7ffffe, v1
	v_cvt_u32_f32_e32 v6, v1
	v_lshlrev_b32_e32 v1, 4, v35
	v_mul_lo_u32 v4, s2, v6
	s_lshl_b64 s[2:3], s[24:25], 2
	v_add_co_u32 v5, s15, s15, v1
	s_add_u32 s2, s22, s2
	v_add_co_ci_u32_e64 v7, null, s35, 0, s15
	s_addc_u32 s3, s23, s3
	v_mul_hi_u32 v4, v6, v4
	v_add_co_u32 v1, s2, s2, v2
	v_add_co_ci_u32_e64 v2, null, s3, 0, s2
	v_add_co_u32 v42, s2, v5, v3
	v_add_co_ci_u32_e64 v43, null, 0, v7, s2
	v_add_nc_u32_e32 v44, v6, v4
	s_mov_b32 s15, 0
	s_mov_b32 s35, s13
	s_branch .LBB75_12
.LBB75_10:                              ;   in Loop: Header=BB75_12 Depth=1
	s_or_b32 exec_lo, exec_lo, s36
.LBB75_11:                              ;   in Loop: Header=BB75_12 Depth=1
	s_or_b32 exec_lo, exec_lo, s3
	v_add_nc_u32_e32 v45, 4, v45
	v_add_co_u32 v1, s3, v1, 16
	v_add_co_ci_u32_e64 v2, null, 0, v2, s3
	v_cmp_le_i32_e64 s2, s16, v45
	v_add_nc_u32_e32 v37, 64, v37
	v_add_nc_u32_e32 v41, 0x100, v41
	s_or_b32 s15, s2, s15
	s_andn2_b32 exec_lo, exec_lo, s15
	s_cbranch_execz .LBB75_19
.LBB75_12:                              ; =>This Inner Loop Header: Depth=1
	v_mul_hi_u32 v3, v37, s21
	s_waitcnt lgkmcnt(0)
	v_mul_lo_u32 v4, v3, s12
	v_add_nc_u32_e32 v5, 1, v3
	v_sub_nc_u32_e32 v4, v37, v4
	v_subrev_nc_u32_e32 v6, s12, v4
	v_cmp_le_u32_e64 s2, s12, v4
	v_cndmask_b32_e64 v3, v3, v5, s2
	v_cndmask_b32_e64 v4, v4, v6, s2
	v_add_nc_u32_e32 v5, 1, v3
	v_cmp_le_u32_e64 s2, s12, v4
	v_cndmask_b32_e64 v3, v3, v5, s2
	v_xor_b32_e32 v3, s19, v3
	v_subrev_nc_u32_e32 v3, s19, v3
	v_add_nc_u32_e32 v4, s31, v3
	v_cmp_ge_i32_e64 s3, s4, v3
	v_sub_nc_u32_e32 v5, 0, v4
	v_max_i32_e32 v5, v4, v5
	v_ashrrev_i32_e32 v4, 31, v4
	v_mul_hi_u32 v6, v5, v44
	v_mul_lo_u32 v6, v6, s5
	v_sub_nc_u32_e32 v5, v5, v6
	v_subrev_nc_u32_e32 v6, s5, v5
	v_cmp_le_u32_e64 s2, s5, v5
	v_cndmask_b32_e64 v5, v5, v6, s2
	v_subrev_nc_u32_e32 v6, s5, v5
	v_cmp_le_u32_e64 s2, s5, v5
	v_cndmask_b32_e64 v5, v5, v6, s2
	v_xor_b32_e32 v5, v5, v4
	v_sub_nc_u32_e32 v4, v5, v4
	v_cmp_ne_u32_e64 s2, 0, v4
	s_and_b32 s2, s2, s3
	s_and_saveexec_b32 s3, s2
	s_xor_b32 s2, exec_lo, s3
	s_cbranch_execz .LBB75_16
; %bb.13:                               ;   in Loop: Header=BB75_12 Depth=1
	s_and_saveexec_b32 s3, vcc_lo
; %bb.14:                               ;   in Loop: Header=BB75_12 Depth=1
	ds_write_b32 v41, v38
; %bb.15:                               ;   in Loop: Header=BB75_12 Depth=1
	s_or_b32 exec_lo, exec_lo, s3
.LBB75_16:                              ;   in Loop: Header=BB75_12 Depth=1
	s_andn2_saveexec_b32 s3, s2
	s_cbranch_execz .LBB75_11
; %bb.17:                               ;   in Loop: Header=BB75_12 Depth=1
	global_load_dword v3, v[1:2], off
	s_waitcnt vmcnt(0)
	v_mad_i64_i32 v[3:4], null, v3, s35, 0
	v_lshlrev_b64 v[3:4], 1, v[3:4]
	v_add_co_u32 v3, s2, v42, v3
	v_add_co_ci_u32_e64 v4, null, v43, v4, s2
	s_clause 0x7
	global_load_dwordx2 v[23:24], v[3:4], off
	global_load_dwordx2 v[25:26], v[3:4], off offset:256
	global_load_dwordx2 v[21:22], v[3:4], off offset:512
	global_load_dwordx2 v[19:20], v[3:4], off offset:768
	global_load_dwordx2 v[17:18], v[3:4], off offset:1024
	global_load_dwordx2 v[15:16], v[3:4], off offset:1280
	global_load_dwordx2 v[13:14], v[3:4], off offset:1536
	global_load_dwordx2 v[11:12], v[3:4], off offset:1792
	v_add_co_u32 v3, s2, 0x800, v3
	v_add_co_ci_u32_e64 v4, null, 0, v4, s2
	v_cmp_gt_i32_e64 s2, 32, v39
	s_clause 0x3
	global_load_dwordx2 v[9:10], v[3:4], off
	global_load_dwordx2 v[7:8], v[3:4], off offset:256
	global_load_dwordx2 v[5:6], v[3:4], off offset:512
	;; [unrolled: 1-line block ×3, first 2 shown]
	ds_read_b64 v[46:47], v36
	s_waitcnt lgkmcnt(0)
	v_and_b32_e32 v48, 0xffff, v46
	v_lshrrev_b32_e32 v49, 16, v46
	v_lshrrev_b32_e32 v51, 16, v47
	v_and_b32_e32 v50, 0xffff, v47
	;;#ASMSTART
	v_cvt_f32_f16 v46, v48;
	;;#ASMEND
	;;#ASMSTART
	v_cvt_f32_f16 v47, v49;
	;;#ASMEND
	s_waitcnt vmcnt(11)
	v_and_b32_e32 v48, 0xffff, v23
	v_lshrrev_b32_e32 v23, 16, v23
	v_lshrrev_b32_e32 v49, 16, v24
	v_and_b32_e32 v24, 0xffff, v24
	;;#ASMSTART
	v_cvt_f32_f16 v53, v48;
	;;#ASMEND
	;;#ASMSTART
	v_cvt_f32_f16 v52, v23;
	;;#ASMEND
	;; [unrolled: 3-line block ×6, first 2 shown]
	ds_read_b64 v[23:24], v36 offset:8
	s_waitcnt vmcnt(10)
	v_lshrrev_b32_e32 v54, 16, v25
	v_and_b32_e32 v55, 0xffff, v25
	v_lshrrev_b32_e32 v25, 16, v26
	v_and_b32_e32 v59, 0xffff, v26
	s_waitcnt vmcnt(9)
	v_lshrrev_b32_e32 v61, 16, v21
	v_and_b32_e32 v21, 0xffff, v21
	v_lshrrev_b32_e32 v65, 16, v22
	v_and_b32_e32 v22, 0xffff, v22
	;; [unrolled: 5-line block ×4, first 2 shown]
	s_waitcnt vmcnt(6)
	v_lshrrev_b32_e32 v79, 16, v15
	v_and_b32_e32 v15, 0xffff, v15
	v_lshrrev_b32_e32 v83, 16, v16
	s_waitcnt lgkmcnt(0)
	v_and_b32_e32 v56, 0xffff, v23
	v_lshrrev_b32_e32 v23, 16, v23
	v_and_b32_e32 v57, 0xffff, v24
	v_lshrrev_b32_e32 v24, 16, v24
	;;#ASMSTART
	v_cvt_f32_f16 v26, v56;
	;;#ASMEND
	;;#ASMSTART
	v_cvt_f32_f16 v56, v23;
	;;#ASMEND
	;;#ASMSTART
	v_cvt_f32_f16 v55, v55;
	;;#ASMEND
	;;#ASMSTART
	v_cvt_f32_f16 v54, v54;
	;;#ASMEND
	;;#ASMSTART
	v_cvt_f32_f16 v57, v57;
	;;#ASMEND
	;;#ASMSTART
	v_cvt_f32_f16 v58, v24;
	;;#ASMEND
	;;#ASMSTART
	v_cvt_f32_f16 v59, v59;
	;;#ASMEND
	;;#ASMSTART
	v_cvt_f32_f16 v25, v25;
	;;#ASMEND
	ds_read_b64 v[23:24], v36 offset:16
	v_and_b32_e32 v16, 0xffff, v16
	s_waitcnt vmcnt(5)
	v_lshrrev_b32_e32 v85, 16, v13
	v_and_b32_e32 v13, 0xffff, v13
	v_lshrrev_b32_e32 v89, 16, v14
	v_and_b32_e32 v14, 0xffff, v14
	v_mul_f32_e32 v26, v26, v55
	v_mul_f32_e32 v54, v56, v54
	s_waitcnt vmcnt(4)
	v_lshrrev_b32_e32 v90, 16, v11
	v_and_b32_e32 v11, 0xffff, v11
	v_lshrrev_b32_e32 v56, 16, v12
	v_and_b32_e32 v12, 0xffff, v12
	v_fmac_f32_e32 v26, v46, v53
	v_fmac_f32_e32 v54, v47, v52
	v_mul_f32_e32 v57, v57, v59
	v_mul_f32_e32 v25, v58, v25
	s_waitcnt vmcnt(3)
	v_lshrrev_b32_e32 v59, 16, v10
	v_and_b32_e32 v10, 0xffff, v10
	s_waitcnt vmcnt(1)
	v_lshrrev_b32_e32 v92, 16, v5
	v_fmac_f32_e32 v57, v50, v51
	s_waitcnt lgkmcnt(0)
	v_and_b32_e32 v60, 0xffff, v23
	v_lshrrev_b32_e32 v62, 16, v23
	v_lshrrev_b32_e32 v63, 16, v24
	v_and_b32_e32 v64, 0xffff, v24
	;;#ASMSTART
	v_cvt_f32_f16 v23, v60;
	;;#ASMEND
	;;#ASMSTART
	v_cvt_f32_f16 v24, v62;
	;;#ASMEND
	;; [unrolled: 3-line block ×8, first 2 shown]
	ds_read_b64 v[21:22], v36 offset:24
	v_fmac_f32_e32 v25, v48, v49
	v_fmac_f32_e32 v26, v23, v60
	;; [unrolled: 1-line block ×4, first 2 shown]
	v_and_b32_e32 v5, 0xffff, v5
	v_fmac_f32_e32 v25, v63, v65
	s_waitcnt lgkmcnt(0)
	v_and_b32_e32 v66, 0xffff, v21
	v_lshrrev_b32_e32 v68, 16, v21
	v_lshrrev_b32_e32 v69, 16, v22
	v_and_b32_e32 v70, 0xffff, v22
	;;#ASMSTART
	v_cvt_f32_f16 v21, v66;
	;;#ASMEND
	;;#ASMSTART
	v_cvt_f32_f16 v22, v68;
	;;#ASMEND
	;; [unrolled: 3-line block ×8, first 2 shown]
	ds_read_b64 v[19:20], v36 offset:32
	v_fmac_f32_e32 v26, v21, v66
	v_fmac_f32_e32 v54, v22, v67
	;; [unrolled: 1-line block ×4, first 2 shown]
	v_lshrrev_b32_e32 v21, 16, v6
	v_and_b32_e32 v6, 0xffff, v6
	s_waitcnt vmcnt(0)
	v_lshrrev_b32_e32 v22, 16, v3
	s_waitcnt lgkmcnt(0)
	v_and_b32_e32 v72, 0xffff, v19
	v_lshrrev_b32_e32 v74, 16, v19
	v_lshrrev_b32_e32 v75, 16, v20
	v_and_b32_e32 v76, 0xffff, v20
	;;#ASMSTART
	v_cvt_f32_f16 v19, v72;
	;;#ASMEND
	;;#ASMSTART
	v_cvt_f32_f16 v20, v74;
	;;#ASMEND
	;;#ASMSTART
	v_cvt_f32_f16 v72, v17;
	;;#ASMEND
	;;#ASMSTART
	v_cvt_f32_f16 v73, v73;
	;;#ASMEND
	;;#ASMSTART
	v_cvt_f32_f16 v74, v76;
	;;#ASMEND
	;;#ASMSTART
	v_cvt_f32_f16 v75, v75;
	;;#ASMEND
	;;#ASMSTART
	v_cvt_f32_f16 v76, v18;
	;;#ASMEND
	;;#ASMSTART
	v_cvt_f32_f16 v77, v77;
	;;#ASMEND
	ds_read_b64 v[17:18], v36 offset:40
	v_fmac_f32_e32 v26, v19, v72
	v_fmac_f32_e32 v54, v20, v73
	v_fmac_f32_e32 v57, v74, v76
	v_fmac_f32_e32 v25, v75, v77
	s_waitcnt lgkmcnt(0)
	v_and_b32_e32 v78, 0xffff, v17
	v_lshrrev_b32_e32 v80, 16, v17
	v_lshrrev_b32_e32 v81, 16, v18
	v_and_b32_e32 v82, 0xffff, v18
	;;#ASMSTART
	v_cvt_f32_f16 v17, v78;
	;;#ASMEND
	;;#ASMSTART
	v_cvt_f32_f16 v18, v80;
	;;#ASMEND
	;;#ASMSTART
	v_cvt_f32_f16 v78, v15;
	;;#ASMEND
	;;#ASMSTART
	v_cvt_f32_f16 v79, v79;
	;;#ASMEND
	;;#ASMSTART
	v_cvt_f32_f16 v80, v82;
	;;#ASMEND
	;;#ASMSTART
	v_cvt_f32_f16 v81, v81;
	;;#ASMEND
	;;#ASMSTART
	v_cvt_f32_f16 v82, v16;
	;;#ASMEND
	;;#ASMSTART
	v_cvt_f32_f16 v83, v83;
	;;#ASMEND
	ds_read_b64 v[15:16], v36 offset:48
	v_fmac_f32_e32 v26, v17, v78
	v_fmac_f32_e32 v54, v18, v79
	v_fmac_f32_e32 v57, v80, v82
	v_fmac_f32_e32 v25, v81, v83
	;; [unrolled: 34-line block ×3, first 2 shown]
	s_waitcnt lgkmcnt(0)
	v_and_b32_e32 v46, 0xffff, v13
	v_lshrrev_b32_e32 v53, 16, v13
	v_lshrrev_b32_e32 v55, 16, v14
	v_and_b32_e32 v52, 0xffff, v14
	;;#ASMSTART
	v_cvt_f32_f16 v13, v46;
	;;#ASMEND
	;;#ASMSTART
	v_cvt_f32_f16 v14, v53;
	;;#ASMEND
	;; [unrolled: 3-line block ×8, first 2 shown]
	ds_read_b64 v[11:12], v36 offset:64
	v_lshrrev_b32_e32 v90, 16, v9
	v_and_b32_e32 v9, 0xffff, v9
	v_fmac_f32_e32 v26, v13, v46
	v_fmac_f32_e32 v54, v14, v47
	;; [unrolled: 1-line block ×4, first 2 shown]
	v_and_b32_e32 v13, 0xffff, v3
	s_waitcnt lgkmcnt(0)
	v_and_b32_e32 v50, 0xffff, v11
	v_lshrrev_b32_e32 v51, 16, v11
	v_lshrrev_b32_e32 v58, 16, v12
	v_and_b32_e32 v91, 0xffff, v12
	;;#ASMSTART
	v_cvt_f32_f16 v11, v50;
	;;#ASMEND
	;;#ASMSTART
	v_cvt_f32_f16 v12, v51;
	;;#ASMEND
	;; [unrolled: 3-line block ×8, first 2 shown]
	ds_read_b64 v[9:10], v36 offset:72
	v_lshrrev_b32_e32 v90, 16, v7
	v_and_b32_e32 v7, 0xffff, v7
	v_lshrrev_b32_e32 v91, 16, v8
	v_and_b32_e32 v8, 0xffff, v8
	v_fmac_f32_e32 v26, v11, v48
	v_fmac_f32_e32 v54, v12, v49
	;; [unrolled: 1-line block ×4, first 2 shown]
	v_lshrrev_b32_e32 v11, 16, v4
	s_waitcnt lgkmcnt(0)
	v_and_b32_e32 v23, 0xffff, v9
	v_lshrrev_b32_e32 v24, 16, v9
	v_lshrrev_b32_e32 v61, 16, v10
	v_and_b32_e32 v60, 0xffff, v10
	;;#ASMSTART
	v_cvt_f32_f16 v9, v23;
	;;#ASMEND
	;;#ASMSTART
	v_cvt_f32_f16 v10, v24;
	;;#ASMEND
	;; [unrolled: 3-line block ×8, first 2 shown]
	ds_read_b64 v[7:8], v36 offset:80
	v_fmac_f32_e32 v26, v9, v23
	v_fmac_f32_e32 v54, v10, v24
	;; [unrolled: 1-line block ×3, first 2 shown]
	v_and_b32_e32 v9, 0xffff, v4
	v_fmac_f32_e32 v25, v61, v64
	s_waitcnt lgkmcnt(0)
	v_and_b32_e32 v15, 0xffff, v7
	v_lshrrev_b32_e32 v16, 16, v7
	v_lshrrev_b32_e32 v18, 16, v8
	v_and_b32_e32 v17, 0xffff, v8
	;;#ASMSTART
	v_cvt_f32_f16 v7, v15;
	;;#ASMEND
	;;#ASMSTART
	v_cvt_f32_f16 v8, v16;
	;;#ASMEND
	;;#ASMSTART
	v_cvt_f32_f16 v15, v5;
	;;#ASMEND
	;;#ASMSTART
	v_cvt_f32_f16 v16, v92;
	;;#ASMEND
	;;#ASMSTART
	v_cvt_f32_f16 v17, v17;
	;;#ASMEND
	;;#ASMSTART
	v_cvt_f32_f16 v18, v18;
	;;#ASMEND
	;;#ASMSTART
	v_cvt_f32_f16 v19, v6;
	;;#ASMEND
	;;#ASMSTART
	v_cvt_f32_f16 v20, v21;
	;;#ASMEND
	ds_read_b64 v[5:6], v36 offset:88
	v_fmac_f32_e32 v26, v7, v15
	v_fmac_f32_e32 v54, v8, v16
	;; [unrolled: 1-line block ×4, first 2 shown]
	s_waitcnt lgkmcnt(0)
	v_and_b32_e32 v3, 0xffff, v5
	v_lshrrev_b32_e32 v4, 16, v5
	v_lshrrev_b32_e32 v7, 16, v6
	v_and_b32_e32 v8, 0xffff, v6
	;;#ASMSTART
	v_cvt_f32_f16 v3, v3;
	;;#ASMEND
	;;#ASMSTART
	v_cvt_f32_f16 v4, v4;
	;;#ASMEND
	;; [unrolled: 3-line block ×4, first 2 shown]
	v_fmac_f32_e32 v26, v3, v5
	v_fmac_f32_e32 v54, v4, v6
	;;#ASMSTART
	v_cvt_f32_f16 v3, v8;
	;;#ASMEND
	;;#ASMSTART
	v_cvt_f32_f16 v4, v7;
	;;#ASMEND
	;; [unrolled: 3-line block ×3, first 2 shown]
	v_fmac_f32_e32 v57, v3, v5
	v_add_f32_e32 v3, v26, v54
	;;#ASMSTART
	v_cvt_f32_f16 v5, v11;
	;;#ASMEND
	v_fmac_f32_e32 v25, v4, v5
	v_cndmask_b32_e64 v4, v33, v39, s2
	v_add_f32_e32 v3, v3, v57
	v_lshlrev_b32_e32 v4, 2, v4
	v_add_f32_e32 v3, v25, v3
	ds_bpermute_b32 v4, v4, v3
	s_and_saveexec_b32 s36, vcc_lo
	s_cbranch_execz .LBB75_10
; %bb.18:                               ;   in Loop: Header=BB75_12 Depth=1
	v_add_nc_u32_e32 v5, v40, v37
	s_waitcnt lgkmcnt(0)
	v_add_f32_e32 v3, v3, v4
	v_cvt_f32_i32_e32 v5, v5
	v_mul_f32_e32 v5, s33, v5
	v_cndmask_b32_e64 v4, 0, v5, s1
	v_max_f32_e32 v5, v34, v34
	v_fmac_f32_e32 v4, s29, v3
	v_add_nc_u32_e32 v3, v35, v37
	v_max_f32_e32 v5, v5, v4
	v_cmp_gt_i32_e64 s2, s30, v3
	v_cndmask_b32_e64 v3, 0, v4, s2
	v_cndmask_b32_e64 v34, v34, v5, s2
	ds_write_b32 v41, v3
	s_branch .LBB75_10
.LBB75_19:
	s_or_b32 exec_lo, exec_lo, s15
.LBB75_20:
	s_or_b32 exec_lo, exec_lo, s34
	v_xor_b32_e32 v1, 16, v33
	v_xor_b32_e32 v3, 8, v33
	v_max_f32_e32 v5, v34, v34
	v_xor_b32_e32 v6, 2, v33
	v_and_b32_e32 v9, 31, v0
	v_cmp_gt_i32_e32 vcc_lo, 32, v1
	v_cndmask_b32_e32 v1, v33, v1, vcc_lo
	v_cmp_gt_i32_e32 vcc_lo, 32, v3
	v_lshlrev_b32_e32 v2, 2, v1
	v_cndmask_b32_e32 v3, v33, v3, vcc_lo
	ds_bpermute_b32 v1, v2, v34
	s_waitcnt lgkmcnt(1)
	v_lshlrev_b32_e32 v4, 2, v3
	s_waitcnt lgkmcnt(0)
	v_max_f32_e32 v1, v1, v1
	v_max_f32_e32 v1, v5, v1
	v_xor_b32_e32 v5, 4, v33
	ds_bpermute_b32 v3, v4, v1
	v_cmp_gt_i32_e32 vcc_lo, 32, v5
	v_cndmask_b32_e32 v5, v33, v5, vcc_lo
	v_cmp_gt_i32_e32 vcc_lo, 32, v6
	v_lshlrev_b32_e32 v5, 2, v5
	v_cndmask_b32_e32 v6, v33, v6, vcc_lo
	v_cmp_eq_u32_e32 vcc_lo, 0, v9
	s_waitcnt lgkmcnt(0)
	v_max_f32_e32 v3, v3, v3
	v_max_f32_e32 v1, v1, v3
	ds_bpermute_b32 v3, v5, v1
	s_waitcnt lgkmcnt(0)
	v_max_f32_e32 v3, v3, v3
	v_max_f32_e32 v3, v1, v3
	v_lshlrev_b32_e32 v1, 2, v6
	v_lshlrev_b32_e32 v6, 2, v29
	ds_bpermute_b32 v7, v1, v3
	s_and_saveexec_b32 s1, vcc_lo
	s_cbranch_execz .LBB75_22
; %bb.21:
	s_waitcnt lgkmcnt(0)
	v_max_f32_e32 v7, v7, v7
	v_max_f32_e32 v3, v3, v3
	;; [unrolled: 1-line block ×3, first 2 shown]
	ds_write_b32 v6, v3 offset:192
.LBB75_22:
	s_or_b32 exec_lo, exec_lo, s1
	v_cmp_gt_u32_e64 s1, 4, v9
	v_mov_b32_e32 v3, 0xff7fffff
	s_waitcnt lgkmcnt(0)
	v_lshlrev_b32_e32 v7, 2, v9
	s_barrier
	buffer_gl0_inv
	s_and_saveexec_b32 s2, s1
; %bb.23:
	ds_read_b32 v3, v7 offset:192
; %bb.24:
	s_or_b32 exec_lo, exec_lo, s2
	s_waitcnt lgkmcnt(0)
	ds_bpermute_b32 v8, v1, v3
	v_xor_b32_e32 v10, 1, v33
	v_max_f32_e32 v3, v3, v3
	v_cmp_gt_i32_e64 s2, 32, v10
	v_cndmask_b32_e64 v10, v33, v10, s2
	s_lshl_b32 s2, s16, 4
	s_min_i32 s4, s2, s30
	v_lshlrev_b32_e32 v10, 2, v10
	v_cmp_gt_i32_e64 s2, s4, v0
	s_waitcnt lgkmcnt(0)
	v_max_f32_e32 v8, v8, v8
	v_max_f32_e32 v3, v3, v8
	ds_bpermute_b32 v8, v10, v3
	s_waitcnt lgkmcnt(0)
	v_max_f32_e32 v8, v8, v8
	v_max_f32_e32 v3, v3, v8
	v_mov_b32_e32 v8, 0
	ds_bpermute_b32 v11, v8, v3
	v_lshl_add_u32 v3, v0, 2, 0xe0
	s_and_saveexec_b32 s5, s2
	s_cbranch_execz .LBB75_28
; %bb.25:
	v_lshl_add_u32 v12, v0, 2, 0xe0
	v_mov_b32_e32 v8, 0
	v_mov_b32_e32 v13, v0
	s_mov_b32 s15, 0
	.p2align	6
.LBB75_26:                              ; =>This Inner Loop Header: Depth=1
	ds_read_b32 v14, v12
	v_add_nc_u32_e32 v13, 0x80, v13
	v_cmp_le_i32_e64 s3, s4, v13
	s_or_b32 s15, s3, s15
	s_waitcnt lgkmcnt(0)
	v_sub_f32_e32 v14, v14, v11
	v_mul_f32_e32 v14, 0x3fb8aa3b, v14
	v_exp_f32_e32 v14, v14
	ds_write_b32 v12, v14
	v_add_f32_e32 v8, v8, v14
	v_add_nc_u32_e32 v12, 0x200, v12
	s_andn2_b32 exec_lo, exec_lo, s15
	s_cbranch_execnz .LBB75_26
; %bb.27:
	s_or_b32 exec_lo, exec_lo, s15
.LBB75_28:
	s_or_b32 exec_lo, exec_lo, s5
	ds_bpermute_b32 v2, v2, v8
	s_waitcnt lgkmcnt(0)
	v_add_f32_e32 v2, v8, v2
	ds_bpermute_b32 v4, v4, v2
	s_waitcnt lgkmcnt(0)
	v_add_f32_e32 v2, v2, v4
	;; [unrolled: 3-line block ×5, first 2 shown]
	s_and_saveexec_b32 s3, vcc_lo
; %bb.29:
	ds_write_b32 v6, v2 offset:208
; %bb.30:
	s_or_b32 exec_lo, exec_lo, s3
	s_waitcnt lgkmcnt(0)
	s_barrier
	buffer_gl0_inv
	s_and_saveexec_b32 s3, s1
; %bb.31:
	ds_read_b32 v2, v7 offset:208
; %bb.32:
	s_or_b32 exec_lo, exec_lo, s3
	s_waitcnt lgkmcnt(0)
	ds_bpermute_b32 v1, v1, v2
	s_waitcnt lgkmcnt(0)
	v_add_f32_e32 v1, v2, v1
	ds_bpermute_b32 v2, v10, v1
	s_waitcnt lgkmcnt(0)
	v_add_f32_e32 v1, v1, v2
	v_mov_b32_e32 v2, 0
	ds_bpermute_b32 v1, v2, v1
	s_and_saveexec_b32 s1, s2
	s_cbranch_execz .LBB75_35
; %bb.33:
	s_waitcnt lgkmcnt(0)
	v_add_f32_e32 v1, 0x358637bd, v1
	s_mov_b32 s2, 0
	v_div_scale_f32 v2, null, v1, v1, 1.0
	v_div_scale_f32 v6, vcc_lo, 1.0, v1, 1.0
	v_rcp_f32_e32 v4, v2
	v_fma_f32 v5, -v2, v4, 1.0
	v_fmac_f32_e32 v4, v5, v4
	v_mul_f32_e32 v5, v6, v4
	v_fma_f32 v7, -v2, v5, v6
	v_fmac_f32_e32 v5, v7, v4
	v_fma_f32 v2, -v2, v5, v6
	v_div_fmas_f32 v2, v2, v4, v5
	v_div_fixup_f32 v1, v2, v1, 1.0
	v_mov_b32_e32 v2, v0
.LBB75_34:                              ; =>This Inner Loop Header: Depth=1
	ds_read_b32 v4, v3
	v_add_nc_u32_e32 v2, 0x80, v2
	v_cmp_le_i32_e32 vcc_lo, s4, v2
	s_or_b32 s2, vcc_lo, s2
	s_waitcnt lgkmcnt(0)
	v_mul_f32_e32 v4, v1, v4
	ds_write_b32 v3, v4
	v_add_nc_u32_e32 v3, 0x200, v3
	s_andn2_b32 exec_lo, exec_lo, s2
	s_cbranch_execnz .LBB75_34
.LBB75_35:
	s_or_b32 exec_lo, exec_lo, s1
	v_mov_b32_e32 v16, 0
	v_mov_b32_e32 v15, 0
	;; [unrolled: 1-line block ×6, first 2 shown]
	s_waitcnt lgkmcnt(0)
	s_barrier
	buffer_gl0_inv
	s_and_saveexec_b32 s2, s0
	s_cbranch_execz .LBB75_53
; %bb.36:
	s_ashr_i32 s15, s14, 31
	s_sub_i32 s3, s28, s17
	s_lshl_b64 s[0:1], s[14:15], 1
	v_lshlrev_b32_e32 v2, 4, v0
	s_add_u32 s14, s26, s0
	s_addc_u32 s15, s27, s1
	s_abs_i32 s4, s18
	v_lshlrev_b32_e32 v4, 5, v28
	v_cvt_f32_u32_e32 v1, s4
	s_sub_i32 s0, 0, s4
	v_and_b32_e32 v3, 0x7c, v32
	v_and_b32_e32 v2, 0x1f0, v2
	s_add_i32 s5, s16, -1
	v_rcp_iflag_f32_e32 v1, v1
	v_lshl_or_b32 v4, v29, 6, v4
	v_and_b32_e32 v17, 8, v31
	v_add_co_u32 v19, s14, s14, v2
	v_mov_b32_e32 v18, 0
	v_mov_b32_e32 v11, 0
	;; [unrolled: 1-line block ×5, first 2 shown]
	v_mul_f32_e32 v1, 0x4f7ffffe, v1
	v_mov_b32_e32 v15, 0
	v_mov_b32_e32 v16, 0
	v_add_co_ci_u32_e64 v20, null, s15, 0, s14
	v_cvt_u32_f32_e32 v1, v1
	v_add_nc_u32_e32 v21, 0xe0, v4
	v_mov_b32_e32 v23, v29
	s_mov_b32 s14, s13
	s_mov_b32 s13, 0
	v_mul_lo_u32 v5, s0, v1
	s_lshl_b64 s[0:1], s[24:25], 2
	s_add_u32 s0, s22, s0
	s_addc_u32 s1, s23, s1
	v_mul_hi_u32 v7, v1, v5
	v_add_co_u32 v5, s0, s0, v3
	v_add_co_ci_u32_e64 v6, null, s1, 0, s0
	v_add_nc_u32_e32 v22, v1, v7
	s_branch .LBB75_39
.LBB75_37:                              ;   in Loop: Header=BB75_39 Depth=1
	s_or_b32 exec_lo, exec_lo, s1
	v_lshlrev_b32_e32 v24, 16, v50
	v_lshlrev_b32_e32 v8, 16, v8
	;; [unrolled: 1-line block ×3, first 2 shown]
	v_add_f32_e32 v25, v48, v49
	v_and_or_b32 v1, 0xffff, v1, v24
	v_and_or_b32 v2, 0xffff, v2, v8
	;; [unrolled: 1-line block ×3, first 2 shown]
	;;#ASMSTART
	v_pk_mul_f16 v1, v37, v1;

	;;#ASMEND
	;;#ASMSTART
	v_pk_mul_f16 v2, v36, v2;

	;;#ASMEND
	;; [unrolled: 4-line block ×4, first 2 shown]
	;;#ASMSTART
	v_pk_add_f16 v1, v1, v2;

	;;#ASMEND
	;;#ASMSTART
	v_pk_add_f16 v1, v1, v3;

	;;#ASMEND
	;;#ASMSTART
	v_pk_add_f16 v1, v1, v4;

	;;#ASMEND
	v_and_b32_e32 v4, 0xffff, v1
	v_lshrrev_b32_e32 v8, 16, v1
	;;#ASMSTART
	v_cvt_f32_f16 v4, v4;
	;;#ASMEND
	v_add_f32_e32 v7, v46, v47
	v_add_f32_e32 v1, v44, v45
	;; [unrolled: 1-line block ×4, first 2 shown]
	;;#ASMSTART
	v_cvt_f32_f16 v8, v8;
	;;#ASMEND
	v_add_f32_e32 v4, v4, v8
	v_add_f32_e32 v12, v12, v25
	;; [unrolled: 1-line block ×7, first 2 shown]
.LBB75_38:                              ;   in Loop: Header=BB75_39 Depth=1
	s_or_b32 exec_lo, exec_lo, s15
	v_add_nc_u32_e32 v23, 4, v23
	v_add_co_u32 v5, s0, v5, 16
	v_add_co_ci_u32_e64 v6, null, 0, v6, s0
	v_cmp_le_i32_e32 vcc_lo, s16, v23
	v_add_nc_u32_e32 v30, 64, v30
	v_add_nc_u32_e32 v21, 0x100, v21
	s_or_b32 s13, vcc_lo, s13
	s_andn2_b32 exec_lo, exec_lo, s13
	s_cbranch_execz .LBB75_52
.LBB75_39:                              ; =>This Inner Loop Header: Depth=1
	v_mul_hi_u32 v1, v30, s21
	v_mul_lo_u32 v2, v1, s12
	v_add_nc_u32_e32 v3, 1, v1
	v_sub_nc_u32_e32 v2, v30, v2
	v_subrev_nc_u32_e32 v4, s12, v2
	v_cmp_le_u32_e32 vcc_lo, s12, v2
	v_cndmask_b32_e32 v1, v1, v3, vcc_lo
	v_cndmask_b32_e32 v2, v2, v4, vcc_lo
	v_add_nc_u32_e32 v3, 1, v1
	v_cmp_le_u32_e32 vcc_lo, s12, v2
	v_cndmask_b32_e32 v1, v1, v3, vcc_lo
	v_xor_b32_e32 v1, s19, v1
	v_subrev_nc_u32_e32 v1, s19, v1
	v_add_nc_u32_e32 v2, s31, v1
	v_cmp_lt_i32_e64 s0, s3, v1
	v_sub_nc_u32_e32 v3, 0, v2
	v_max_i32_e32 v3, v2, v3
	v_ashrrev_i32_e32 v2, 31, v2
	v_mul_hi_u32 v4, v3, v22
	v_mul_lo_u32 v4, v4, s4
	v_sub_nc_u32_e32 v3, v3, v4
	v_subrev_nc_u32_e32 v4, s4, v3
	v_cmp_le_u32_e32 vcc_lo, s4, v3
	v_cndmask_b32_e32 v3, v3, v4, vcc_lo
	v_subrev_nc_u32_e32 v4, s4, v3
	v_cmp_le_u32_e32 vcc_lo, s4, v3
	v_cndmask_b32_e32 v3, v3, v4, vcc_lo
	v_xor_b32_e32 v3, v3, v2
	v_sub_nc_u32_e32 v2, v3, v2
	v_cmp_eq_u32_e32 vcc_lo, 0, v2
	s_or_b32 s0, vcc_lo, s0
	s_and_saveexec_b32 s15, s0
	s_cbranch_execz .LBB75_38
; %bb.40:                               ;   in Loop: Header=BB75_39 Depth=1
	global_load_dword v7, v[5:6], off
	ds_read2_b64 v[1:4], v21 offset1:1
	ds_read2_b64 v[31:34], v21 offset0:2 offset1:3
	v_cmp_eq_u32_e64 s0, s5, v23
	s_waitcnt lgkmcnt(1)
	;;#ASMSTART
	v_cvt_f16_f32 v37, v1;

	;;#ASMEND
	;;#ASMSTART
	v_cvt_f16_f32 v36, v2;

	;;#ASMEND
	;; [unrolled: 4-line block ×4, first 2 shown]
	s_waitcnt lgkmcnt(0)
	;;#ASMSTART
	v_cvt_f16_f32 v43, v31;

	;;#ASMEND
	;;#ASMSTART
	v_cvt_f16_f32 v39, v32;

	;;#ASMEND
	;; [unrolled: 4-line block ×4, first 2 shown]
	v_add_nc_u32_e32 v33, v17, v30
	v_add_nc_u32_e32 v35, 1, v33
	;; [unrolled: 1-line block ×8, first 2 shown]
	s_waitcnt vmcnt(0)
	v_mad_i64_i32 v[7:8], null, v7, s14, 0
	v_lshlrev_b64 v[7:8], 1, v[7:8]
	v_add_co_u32 v7, vcc_lo, v19, v7
	v_add_co_ci_u32_e64 v8, null, v20, v8, vcc_lo
	global_load_dwordx4 v[1:4], v[7:8], off
	s_waitcnt vmcnt(0)
	v_lshrrev_b32_e32 v46, 16, v1
	v_lshrrev_b32_e32 v45, 16, v2
	;; [unrolled: 1-line block ×3, first 2 shown]
	s_and_saveexec_b32 s17, s0
	s_cbranch_execz .LBB75_42
; %bb.41:                               ;   in Loop: Header=BB75_39 Depth=1
	v_cmp_gt_i32_e32 vcc_lo, s30, v33
	v_and_b32_e32 v47, 0xffff0000, v4
	v_cmp_gt_i32_e64 s1, s30, v32
	v_cndmask_b32_e32 v1, 0, v1, vcc_lo
	v_cmp_gt_i32_e32 vcc_lo, s30, v35
	v_cndmask_b32_e64 v2, 0, v2, s1
	v_cmp_gt_i32_e64 s1, s30, v31
	v_cndmask_b32_e32 v46, 0, v46, vcc_lo
	v_cmp_gt_i32_e32 vcc_lo, s30, v34
	v_cndmask_b32_e64 v45, 0, v45, s1
	v_cndmask_b32_sdwa v4, v18, v4, vcc_lo dst_sel:DWORD dst_unused:UNUSED_PAD src0_sel:DWORD src1_sel:WORD_0
	v_cmp_gt_i32_e32 vcc_lo, s30, v26
	v_cndmask_b32_e32 v47, 0, v47, vcc_lo
	v_cmp_gt_i32_e32 vcc_lo, s30, v25
	v_or_b32_e32 v4, v4, v47
	v_cndmask_b32_e32 v3, 0, v3, vcc_lo
	v_cmp_gt_i32_e32 vcc_lo, s30, v24
	v_cndmask_b32_e32 v44, 0, v44, vcc_lo
.LBB75_42:                              ;   in Loop: Header=BB75_39 Depth=1
	s_or_b32 exec_lo, exec_lo, s17
	v_and_b32_e32 v37, 0xffff, v37
	v_and_b32_e32 v42, 0xffff, v42
	v_lshlrev_b32_e32 v46, 16, v46
	v_lshlrev_b32_e32 v44, 16, v44
	v_and_b32_e32 v43, 0xffff, v43
	v_lshl_or_b32 v37, v36, 16, v37
	v_lshl_or_b32 v36, v40, 16, v42
	v_lshlrev_b32_e32 v42, 16, v45
	v_and_b32_e32 v41, 0xffff, v41
	v_and_or_b32 v1, 0xffff, v1, v46
	v_and_or_b32 v3, 0xffff, v3, v44
	;;#ASMSTART
	v_pk_mul_f16 v1, v37, v1;

	;;#ASMEND
	v_and_or_b32 v2, 0xffff, v2, v42
	v_lshl_or_b32 v40, v39, 16, v43
	v_lshl_or_b32 v41, v38, 16, v41
	;;#ASMSTART
	v_pk_mul_f16 v2, v36, v2;

	;;#ASMEND
	;;#ASMSTART
	v_pk_mul_f16 v3, v40, v3;

	;;#ASMEND
	;; [unrolled: 4-line block ×3, first 2 shown]
	;;#ASMSTART
	v_pk_add_f16 v1, v1, v2;

	;;#ASMEND
	;;#ASMSTART
	v_pk_add_f16 v1, v1, v3;

	;;#ASMEND
	;; [unrolled: 4-line block ×3, first 2 shown]
	v_and_b32_e32 v2, 0xffff, v1
	v_lshrrev_b32_e32 v1, 16, v1
	;;#ASMSTART
	v_cvt_f32_f16 v38, v2;
	;;#ASMEND
	;;#ASMSTART
	v_cvt_f32_f16 v39, v1;
	;;#ASMEND
	global_load_dwordx4 v[1:4], v[7:8], off offset:512
	s_waitcnt vmcnt(0)
	v_lshrrev_b32_e32 v44, 16, v1
	v_lshrrev_b32_e32 v43, 16, v2
	;; [unrolled: 1-line block ×3, first 2 shown]
	s_and_saveexec_b32 s17, s0
	s_cbranch_execz .LBB75_44
; %bb.43:                               ;   in Loop: Header=BB75_39 Depth=1
	v_cmp_gt_i32_e32 vcc_lo, s30, v33
	v_and_b32_e32 v45, 0xffff0000, v4
	v_cmp_gt_i32_e64 s1, s30, v32
	v_cndmask_b32_e32 v1, 0, v1, vcc_lo
	v_cmp_gt_i32_e32 vcc_lo, s30, v35
	v_cndmask_b32_e64 v2, 0, v2, s1
	v_cmp_gt_i32_e64 s1, s30, v31
	v_cndmask_b32_e32 v44, 0, v44, vcc_lo
	v_cmp_gt_i32_e32 vcc_lo, s30, v34
	v_cndmask_b32_e64 v43, 0, v43, s1
	v_cndmask_b32_sdwa v4, v18, v4, vcc_lo dst_sel:DWORD dst_unused:UNUSED_PAD src0_sel:DWORD src1_sel:WORD_0
	v_cmp_gt_i32_e32 vcc_lo, s30, v26
	v_cndmask_b32_e32 v45, 0, v45, vcc_lo
	v_cmp_gt_i32_e32 vcc_lo, s30, v25
	v_or_b32_e32 v4, v4, v45
	v_cndmask_b32_e32 v3, 0, v3, vcc_lo
	v_cmp_gt_i32_e32 vcc_lo, s30, v24
	v_cndmask_b32_e32 v42, 0, v42, vcc_lo
.LBB75_44:                              ;   in Loop: Header=BB75_39 Depth=1
	s_or_b32 exec_lo, exec_lo, s17
	v_lshlrev_b32_e32 v44, 16, v44
	v_lshlrev_b32_e32 v43, 16, v43
	;; [unrolled: 1-line block ×3, first 2 shown]
	v_and_or_b32 v1, 0xffff, v1, v44
	v_and_or_b32 v2, 0xffff, v2, v43
	;; [unrolled: 1-line block ×3, first 2 shown]
	;;#ASMSTART
	v_pk_mul_f16 v1, v37, v1;

	;;#ASMEND
	;;#ASMSTART
	v_pk_mul_f16 v2, v36, v2;

	;;#ASMEND
	;; [unrolled: 4-line block ×4, first 2 shown]
	;;#ASMSTART
	v_pk_add_f16 v1, v1, v2;

	;;#ASMEND
	;;#ASMSTART
	v_pk_add_f16 v1, v1, v3;

	;;#ASMEND
	;; [unrolled: 4-line block ×3, first 2 shown]
	v_and_b32_e32 v2, 0xffff, v1
	v_lshrrev_b32_e32 v1, 16, v1
	;;#ASMSTART
	v_cvt_f32_f16 v42, v2;
	;;#ASMEND
	;;#ASMSTART
	v_cvt_f32_f16 v43, v1;
	;;#ASMEND
	global_load_dwordx4 v[1:4], v[7:8], off offset:1024
	s_waitcnt vmcnt(0)
	v_lshrrev_b32_e32 v46, 16, v1
	v_lshrrev_b32_e32 v45, 16, v2
	;; [unrolled: 1-line block ×3, first 2 shown]
	s_and_saveexec_b32 s17, s0
	s_cbranch_execz .LBB75_46
; %bb.45:                               ;   in Loop: Header=BB75_39 Depth=1
	v_cmp_gt_i32_e32 vcc_lo, s30, v33
	v_and_b32_e32 v47, 0xffff0000, v4
	v_cmp_gt_i32_e64 s1, s30, v32
	v_cndmask_b32_e32 v1, 0, v1, vcc_lo
	v_cmp_gt_i32_e32 vcc_lo, s30, v35
	v_cndmask_b32_e64 v2, 0, v2, s1
	v_cmp_gt_i32_e64 s1, s30, v31
	v_cndmask_b32_e32 v46, 0, v46, vcc_lo
	v_cmp_gt_i32_e32 vcc_lo, s30, v34
	v_cndmask_b32_e64 v45, 0, v45, s1
	v_cndmask_b32_sdwa v4, v18, v4, vcc_lo dst_sel:DWORD dst_unused:UNUSED_PAD src0_sel:DWORD src1_sel:WORD_0
	v_cmp_gt_i32_e32 vcc_lo, s30, v26
	v_cndmask_b32_e32 v47, 0, v47, vcc_lo
	v_cmp_gt_i32_e32 vcc_lo, s30, v25
	v_or_b32_e32 v4, v4, v47
	v_cndmask_b32_e32 v3, 0, v3, vcc_lo
	v_cmp_gt_i32_e32 vcc_lo, s30, v24
	v_cndmask_b32_e32 v44, 0, v44, vcc_lo
.LBB75_46:                              ;   in Loop: Header=BB75_39 Depth=1
	s_or_b32 exec_lo, exec_lo, s17
	v_lshlrev_b32_e32 v46, 16, v46
	v_lshlrev_b32_e32 v45, 16, v45
	;; [unrolled: 1-line block ×3, first 2 shown]
	v_and_or_b32 v1, 0xffff, v1, v46
	v_and_or_b32 v2, 0xffff, v2, v45
	;; [unrolled: 1-line block ×3, first 2 shown]
	;;#ASMSTART
	v_pk_mul_f16 v1, v37, v1;

	;;#ASMEND
	;;#ASMSTART
	v_pk_mul_f16 v2, v36, v2;

	;;#ASMEND
	;; [unrolled: 4-line block ×4, first 2 shown]
	;;#ASMSTART
	v_pk_add_f16 v1, v1, v2;

	;;#ASMEND
	;;#ASMSTART
	v_pk_add_f16 v1, v1, v3;

	;;#ASMEND
	;; [unrolled: 4-line block ×3, first 2 shown]
	v_and_b32_e32 v2, 0xffff, v1
	v_lshrrev_b32_e32 v1, 16, v1
	;;#ASMSTART
	v_cvt_f32_f16 v44, v2;
	;;#ASMEND
	;;#ASMSTART
	v_cvt_f32_f16 v45, v1;
	;;#ASMEND
	global_load_dwordx4 v[1:4], v[7:8], off offset:1536
	s_waitcnt vmcnt(0)
	v_lshrrev_b32_e32 v48, 16, v1
	v_lshrrev_b32_e32 v47, 16, v2
	;; [unrolled: 1-line block ×3, first 2 shown]
	s_and_saveexec_b32 s17, s0
	s_cbranch_execz .LBB75_48
; %bb.47:                               ;   in Loop: Header=BB75_39 Depth=1
	v_cmp_gt_i32_e32 vcc_lo, s30, v33
	v_and_b32_e32 v49, 0xffff0000, v4
	v_cmp_gt_i32_e64 s1, s30, v32
	v_cndmask_b32_e32 v1, 0, v1, vcc_lo
	v_cmp_gt_i32_e32 vcc_lo, s30, v35
	v_cndmask_b32_e64 v2, 0, v2, s1
	v_cmp_gt_i32_e64 s1, s30, v31
	v_cndmask_b32_e32 v48, 0, v48, vcc_lo
	v_cmp_gt_i32_e32 vcc_lo, s30, v34
	v_cndmask_b32_e64 v47, 0, v47, s1
	v_cndmask_b32_sdwa v4, v18, v4, vcc_lo dst_sel:DWORD dst_unused:UNUSED_PAD src0_sel:DWORD src1_sel:WORD_0
	v_cmp_gt_i32_e32 vcc_lo, s30, v26
	v_cndmask_b32_e32 v49, 0, v49, vcc_lo
	v_cmp_gt_i32_e32 vcc_lo, s30, v25
	v_or_b32_e32 v4, v4, v49
	v_cndmask_b32_e32 v3, 0, v3, vcc_lo
	v_cmp_gt_i32_e32 vcc_lo, s30, v24
	v_cndmask_b32_e32 v46, 0, v46, vcc_lo
.LBB75_48:                              ;   in Loop: Header=BB75_39 Depth=1
	s_or_b32 exec_lo, exec_lo, s17
	v_lshlrev_b32_e32 v48, 16, v48
	v_lshlrev_b32_e32 v47, 16, v47
	;; [unrolled: 1-line block ×3, first 2 shown]
	v_add_co_u32 v7, vcc_lo, 0x800, v7
	v_and_or_b32 v1, 0xffff, v1, v48
	v_and_or_b32 v2, 0xffff, v2, v47
	;; [unrolled: 1-line block ×3, first 2 shown]
	;;#ASMSTART
	v_pk_mul_f16 v1, v37, v1;

	;;#ASMEND
	v_add_co_ci_u32_e64 v8, null, 0, v8, vcc_lo
	;;#ASMSTART
	v_pk_mul_f16 v2, v36, v2;

	;;#ASMEND
	;;#ASMSTART
	v_pk_mul_f16 v3, v40, v3;

	;;#ASMEND
	;; [unrolled: 4-line block ×3, first 2 shown]
	;;#ASMSTART
	v_pk_add_f16 v1, v1, v2;

	;;#ASMEND
	;;#ASMSTART
	v_pk_add_f16 v1, v1, v3;

	;;#ASMEND
	;; [unrolled: 4-line block ×3, first 2 shown]
	v_lshrrev_b32_e32 v2, 16, v1
	v_and_b32_e32 v1, 0xffff, v1
	;;#ASMSTART
	v_cvt_f32_f16 v46, v1;
	;;#ASMEND
	;;#ASMSTART
	v_cvt_f32_f16 v47, v2;
	;;#ASMEND
	global_load_dwordx4 v[1:4], v[7:8], off
	s_waitcnt vmcnt(0)
	v_lshrrev_b32_e32 v50, 16, v1
	v_lshrrev_b32_e32 v49, 16, v2
	;; [unrolled: 1-line block ×3, first 2 shown]
	s_and_saveexec_b32 s17, s0
	s_cbranch_execz .LBB75_50
; %bb.49:                               ;   in Loop: Header=BB75_39 Depth=1
	v_cmp_gt_i32_e32 vcc_lo, s30, v33
	v_and_b32_e32 v51, 0xffff0000, v4
	v_cmp_gt_i32_e64 s1, s30, v32
	v_cndmask_b32_e32 v1, 0, v1, vcc_lo
	v_cmp_gt_i32_e32 vcc_lo, s30, v35
	v_cndmask_b32_e64 v2, 0, v2, s1
	v_cmp_gt_i32_e64 s1, s30, v31
	v_cndmask_b32_e32 v50, 0, v50, vcc_lo
	v_cmp_gt_i32_e32 vcc_lo, s30, v34
	v_cndmask_b32_e64 v49, 0, v49, s1
	v_cndmask_b32_sdwa v4, v18, v4, vcc_lo dst_sel:DWORD dst_unused:UNUSED_PAD src0_sel:DWORD src1_sel:WORD_0
	v_cmp_gt_i32_e32 vcc_lo, s30, v26
	v_cndmask_b32_e32 v51, 0, v51, vcc_lo
	v_cmp_gt_i32_e32 vcc_lo, s30, v25
	v_or_b32_e32 v4, v4, v51
	v_cndmask_b32_e32 v3, 0, v3, vcc_lo
	v_cmp_gt_i32_e32 vcc_lo, s30, v24
	v_cndmask_b32_e32 v48, 0, v48, vcc_lo
.LBB75_50:                              ;   in Loop: Header=BB75_39 Depth=1
	s_or_b32 exec_lo, exec_lo, s17
	v_lshlrev_b32_e32 v50, 16, v50
	v_lshlrev_b32_e32 v49, 16, v49
	;; [unrolled: 1-line block ×3, first 2 shown]
	v_and_or_b32 v1, 0xffff, v1, v50
	v_and_or_b32 v2, 0xffff, v2, v49
	;; [unrolled: 1-line block ×3, first 2 shown]
	;;#ASMSTART
	v_pk_mul_f16 v1, v37, v1;

	;;#ASMEND
	;;#ASMSTART
	v_pk_mul_f16 v2, v36, v2;

	;;#ASMEND
	;; [unrolled: 4-line block ×4, first 2 shown]
	;;#ASMSTART
	v_pk_add_f16 v1, v1, v2;

	;;#ASMEND
	;;#ASMSTART
	v_pk_add_f16 v1, v1, v3;

	;;#ASMEND
	;; [unrolled: 4-line block ×3, first 2 shown]
	v_and_b32_e32 v2, 0xffff, v1
	v_lshrrev_b32_e32 v1, 16, v1
	;;#ASMSTART
	v_cvt_f32_f16 v48, v2;
	;;#ASMEND
	;;#ASMSTART
	v_cvt_f32_f16 v49, v1;
	;;#ASMEND
	global_load_dwordx4 v[1:4], v[7:8], off offset:512
	s_waitcnt vmcnt(0)
	v_lshrrev_b32_e32 v50, 16, v1
	v_lshrrev_b32_e32 v8, 16, v2
	;; [unrolled: 1-line block ×3, first 2 shown]
	s_and_saveexec_b32 s1, s0
	s_cbranch_execz .LBB75_37
; %bb.51:                               ;   in Loop: Header=BB75_39 Depth=1
	v_cmp_gt_i32_e32 vcc_lo, s30, v33
	v_cmp_gt_i32_e64 s0, s30, v32
	v_cndmask_b32_e32 v1, 0, v1, vcc_lo
	v_cmp_gt_i32_e32 vcc_lo, s30, v35
	v_cndmask_b32_e64 v2, 0, v2, s0
	v_cmp_gt_i32_e64 s0, s30, v31
	v_and_b32_e32 v31, 0xffff0000, v4
	v_cndmask_b32_e32 v50, 0, v50, vcc_lo
	v_cmp_gt_i32_e32 vcc_lo, s30, v34
	v_cndmask_b32_e64 v8, 0, v8, s0
	v_cndmask_b32_sdwa v4, v18, v4, vcc_lo dst_sel:DWORD dst_unused:UNUSED_PAD src0_sel:DWORD src1_sel:WORD_0
	v_cmp_gt_i32_e32 vcc_lo, s30, v26
	v_cndmask_b32_e32 v26, 0, v31, vcc_lo
	v_cmp_gt_i32_e32 vcc_lo, s30, v25
	v_or_b32_e32 v4, v4, v26
	v_cndmask_b32_e32 v3, 0, v3, vcc_lo
	v_cmp_gt_i32_e32 vcc_lo, s30, v24
	v_cndmask_b32_e32 v7, 0, v7, vcc_lo
	s_branch .LBB75_37
.LBB75_52:
	s_or_b32 exec_lo, exec_lo, s13
.LBB75_53:
	s_or_b32 exec_lo, exec_lo, s2
	ds_bpermute_b32 v1, v10, v16
	ds_bpermute_b32 v2, v10, v15
	;; [unrolled: 1-line block ×6, first 2 shown]
	v_lshrrev_b32_e32 v7, 1, v9
	v_mul_u32_u24_e32 v9, 0x180, v29
	v_and_b32_e32 v19, 0x3c1, v0
	s_mov_b32 s0, exec_lo
	s_waitcnt lgkmcnt(0)
	v_lshl_add_u32 v8, v7, 2, 0xe0
	s_barrier
	buffer_gl0_inv
	v_add_f32_e32 v6, v16, v1
	v_add_f32_e32 v5, v15, v2
	;; [unrolled: 1-line block ×6, first 2 shown]
	v_cmpx_eq_u32_e32 64, v19
	s_cbranch_execz .LBB75_55
; %bb.54:
	v_add_nc_u32_e32 v10, v8, v9
	v_add_nc_u32_e32 v11, 0xfffffd00, v10
	;; [unrolled: 1-line block ×7, first 2 shown]
	ds_write_b32 v11, v6
	ds_write_b32 v12, v5
	;; [unrolled: 1-line block ×6, first 2 shown]
.LBB75_55:
	s_or_b32 exec_lo, exec_lo, s0
	v_lshlrev_b32_e32 v7, 2, v7
	s_mov_b32 s1, exec_lo
	v_cmp_eq_u32_e32 vcc_lo, 0, v28
	s_waitcnt lgkmcnt(0)
	s_barrier
	v_add3_u32 v7, 0xe0, v9, v7
	buffer_gl0_inv
	v_cmpx_gt_u32_e32 64, v0
	s_cbranch_execz .LBB75_64
; %bb.56:
	s_and_saveexec_b32 s0, vcc_lo
	s_cbranch_execnz .LBB75_78
; %bb.57:
	s_or_b32 exec_lo, exec_lo, s0
	s_and_saveexec_b32 s0, vcc_lo
	s_cbranch_execnz .LBB75_79
.LBB75_58:
	s_or_b32 exec_lo, exec_lo, s0
	s_and_saveexec_b32 s0, vcc_lo
	s_cbranch_execnz .LBB75_80
.LBB75_59:
	s_or_b32 exec_lo, exec_lo, s0
	s_and_saveexec_b32 s0, vcc_lo
	s_cbranch_execnz .LBB75_81
.LBB75_60:
	s_or_b32 exec_lo, exec_lo, s0
	s_and_saveexec_b32 s0, vcc_lo
	s_cbranch_execnz .LBB75_82
.LBB75_61:
	s_or_b32 exec_lo, exec_lo, s0
	s_and_saveexec_b32 s0, vcc_lo
	s_cbranch_execz .LBB75_63
.LBB75_62:
	ds_read_b32 v9, v7 offset:320
	s_waitcnt lgkmcnt(0)
	v_add_f32_e32 v1, v1, v9
.LBB75_63:
	s_or_b32 exec_lo, exec_lo, s0
.LBB75_64:
	s_or_b32 exec_lo, exec_lo, s1
	v_and_b32_e32 v9, 0x3e1, v0
	s_mov_b32 s1, exec_lo
	s_barrier
	buffer_gl0_inv
	v_cmpx_eq_u32_e32 32, v9
	s_cbranch_execz .LBB75_66
; %bb.65:
	ds_write2_b32 v8, v6, v5 offset1:16
	ds_write2_b32 v8, v4, v3 offset0:32 offset1:48
	ds_write2_b32 v8, v2, v1 offset0:64 offset1:80
.LBB75_66:
	s_or_b32 exec_lo, exec_lo, s1
	s_mov_b32 s1, exec_lo
	s_waitcnt lgkmcnt(0)
	s_barrier
	buffer_gl0_inv
	v_cmpx_gt_u32_e32 32, v0
	s_cbranch_execz .LBB75_75
; %bb.67:
	s_and_saveexec_b32 s0, vcc_lo
	s_cbranch_execnz .LBB75_83
; %bb.68:
	s_or_b32 exec_lo, exec_lo, s0
	s_and_saveexec_b32 s0, vcc_lo
	s_cbranch_execnz .LBB75_84
.LBB75_69:
	s_or_b32 exec_lo, exec_lo, s0
	s_and_saveexec_b32 s0, vcc_lo
	s_cbranch_execnz .LBB75_85
.LBB75_70:
	s_or_b32 exec_lo, exec_lo, s0
	s_and_saveexec_b32 s0, vcc_lo
	s_cbranch_execnz .LBB75_86
.LBB75_71:
	s_or_b32 exec_lo, exec_lo, s0
	s_and_saveexec_b32 s0, vcc_lo
	s_cbranch_execnz .LBB75_87
.LBB75_72:
	s_or_b32 exec_lo, exec_lo, s0
	s_and_saveexec_b32 s0, vcc_lo
	s_cbranch_execz .LBB75_74
.LBB75_73:
	ds_read_b32 v0, v7 offset:320
	s_waitcnt lgkmcnt(0)
	v_add_f32_e32 v1, v1, v0
.LBB75_74:
	s_or_b32 exec_lo, exec_lo, s0
.LBB75_75:
	s_or_b32 exec_lo, exec_lo, s1
	s_barrier
	buffer_gl0_inv
	s_mov_b32 s0, exec_lo
	v_cmpx_eq_u32_e32 0, v9
	s_cbranch_execz .LBB75_77
; %bb.76:
	s_mul_i32 s0, s10, s11
	s_mul_i32 s2, s11, s20
	;; [unrolled: 1-line block ×3, first 2 shown]
	v_lshlrev_b32_e32 v0, 1, v27
	s_mulk_i32 s0, 0x60
	;;#ASMSTART
	v_cvt_f16_f32 v6, v6;

	;;#ASMEND
	s_ashr_i32 s1, s0, 31
	s_lshl_b64 s[0:1], s[0:1], 1
	s_add_u32 s4, s6, s0
	s_addc_u32 s5, s7, s1
	s_ashr_i32 s3, s2, 31
	s_lshl_b64 s[0:1], s[2:3], 1
	s_mul_i32 s2, s8, 0x60
	s_add_u32 s4, s4, s0
	s_addc_u32 s5, s5, s1
	s_ashr_i32 s3, s2, 31
	s_lshl_b64 s[0:1], s[2:3], 1
	s_add_u32 s0, s4, s0
	s_addc_u32 s1, s5, s1
	global_store_short v0, v6, s[0:1]
	;;#ASMSTART
	v_cvt_f16_f32 v5, v5;

	;;#ASMEND
	global_store_short v0, v5, s[0:1] offset:32
	;;#ASMSTART
	v_cvt_f16_f32 v4, v4;

	;;#ASMEND
	global_store_short v0, v4, s[0:1] offset:64
	;; [unrolled: 5-line block ×5, first 2 shown]
.LBB75_77:
	s_endpgm
.LBB75_78:
	ds_read_b32 v9, v7
	s_waitcnt lgkmcnt(0)
	v_add_f32_e32 v6, v6, v9
	s_or_b32 exec_lo, exec_lo, s0
	s_and_saveexec_b32 s0, vcc_lo
	s_cbranch_execz .LBB75_58
.LBB75_79:
	ds_read_b32 v9, v7 offset:64
	s_waitcnt lgkmcnt(0)
	v_add_f32_e32 v5, v5, v9
	s_or_b32 exec_lo, exec_lo, s0
	s_and_saveexec_b32 s0, vcc_lo
	s_cbranch_execz .LBB75_59
.LBB75_80:
	ds_read_b32 v9, v7 offset:128
	s_waitcnt lgkmcnt(0)
	v_add_f32_e32 v4, v4, v9
	s_or_b32 exec_lo, exec_lo, s0
	s_and_saveexec_b32 s0, vcc_lo
	s_cbranch_execz .LBB75_60
.LBB75_81:
	ds_read_b32 v9, v7 offset:192
	s_waitcnt lgkmcnt(0)
	v_add_f32_e32 v3, v3, v9
	s_or_b32 exec_lo, exec_lo, s0
	s_and_saveexec_b32 s0, vcc_lo
	s_cbranch_execz .LBB75_61
.LBB75_82:
	ds_read_b32 v9, v7 offset:256
	s_waitcnt lgkmcnt(0)
	v_add_f32_e32 v2, v2, v9
	s_or_b32 exec_lo, exec_lo, s0
	s_and_saveexec_b32 s0, vcc_lo
	s_cbranch_execnz .LBB75_62
	s_branch .LBB75_63
.LBB75_83:
	ds_read_b32 v0, v7
	s_waitcnt lgkmcnt(0)
	v_add_f32_e32 v6, v6, v0
	s_or_b32 exec_lo, exec_lo, s0
	s_and_saveexec_b32 s0, vcc_lo
	s_cbranch_execz .LBB75_69
.LBB75_84:
	ds_read_b32 v0, v7 offset:64
	s_waitcnt lgkmcnt(0)
	v_add_f32_e32 v5, v5, v0
	s_or_b32 exec_lo, exec_lo, s0
	s_and_saveexec_b32 s0, vcc_lo
	s_cbranch_execz .LBB75_70
.LBB75_85:
	ds_read_b32 v0, v7 offset:128
	s_waitcnt lgkmcnt(0)
	v_add_f32_e32 v4, v4, v0
	s_or_b32 exec_lo, exec_lo, s0
	s_and_saveexec_b32 s0, vcc_lo
	s_cbranch_execz .LBB75_71
.LBB75_86:
	ds_read_b32 v0, v7 offset:192
	s_waitcnt lgkmcnt(0)
	v_add_f32_e32 v3, v3, v0
	s_or_b32 exec_lo, exec_lo, s0
	s_and_saveexec_b32 s0, vcc_lo
	s_cbranch_execz .LBB75_72
.LBB75_87:
	ds_read_b32 v0, v7 offset:256
	s_waitcnt lgkmcnt(0)
	v_add_f32_e32 v2, v2, v0
	s_or_b32 exec_lo, exec_lo, s0
	s_and_saveexec_b32 s0, vcc_lo
	s_cbranch_execnz .LBB75_73
	s_branch .LBB75_74
	.section	.rodata,"a",@progbits
	.p2align	6, 0x0
	.amdhsa_kernel _ZN4vllm25paged_attention_v1_kernelIttLi96ELi16ELi128ELNS_18Fp8KVCacheDataTypeE0ELb1EEEvPT_PKS2_PKT0_S8_ifPKiSA_iPKfiiiSC_SC_iiiii
		.amdhsa_group_segment_fixed_size 224
		.amdhsa_private_segment_fixed_size 0
		.amdhsa_kernarg_size 384
		.amdhsa_user_sgpr_count 6
		.amdhsa_user_sgpr_private_segment_buffer 1
		.amdhsa_user_sgpr_dispatch_ptr 0
		.amdhsa_user_sgpr_queue_ptr 0
		.amdhsa_user_sgpr_kernarg_segment_ptr 1
		.amdhsa_user_sgpr_dispatch_id 0
		.amdhsa_user_sgpr_flat_scratch_init 0
		.amdhsa_user_sgpr_private_segment_size 0
		.amdhsa_wavefront_size32 1
		.amdhsa_uses_dynamic_stack 0
		.amdhsa_system_sgpr_private_segment_wavefront_offset 0
		.amdhsa_system_sgpr_workgroup_id_x 1
		.amdhsa_system_sgpr_workgroup_id_y 1
		.amdhsa_system_sgpr_workgroup_id_z 1
		.amdhsa_system_sgpr_workgroup_info 0
		.amdhsa_system_vgpr_workitem_id 0
		.amdhsa_next_free_vgpr 93
		.amdhsa_next_free_sgpr 38
		.amdhsa_reserve_vcc 1
		.amdhsa_reserve_flat_scratch 0
		.amdhsa_float_round_mode_32 0
		.amdhsa_float_round_mode_16_64 0
		.amdhsa_float_denorm_mode_32 3
		.amdhsa_float_denorm_mode_16_64 3
		.amdhsa_dx10_clamp 1
		.amdhsa_ieee_mode 1
		.amdhsa_fp16_overflow 0
		.amdhsa_workgroup_processor_mode 1
		.amdhsa_memory_ordered 1
		.amdhsa_forward_progress 1
		.amdhsa_shared_vgpr_count 0
		.amdhsa_exception_fp_ieee_invalid_op 0
		.amdhsa_exception_fp_denorm_src 0
		.amdhsa_exception_fp_ieee_div_zero 0
		.amdhsa_exception_fp_ieee_overflow 0
		.amdhsa_exception_fp_ieee_underflow 0
		.amdhsa_exception_fp_ieee_inexact 0
		.amdhsa_exception_int_div_zero 0
	.end_amdhsa_kernel
	.section	.text._ZN4vllm25paged_attention_v1_kernelIttLi96ELi16ELi128ELNS_18Fp8KVCacheDataTypeE0ELb1EEEvPT_PKS2_PKT0_S8_ifPKiSA_iPKfiiiSC_SC_iiiii,"axG",@progbits,_ZN4vllm25paged_attention_v1_kernelIttLi96ELi16ELi128ELNS_18Fp8KVCacheDataTypeE0ELb1EEEvPT_PKS2_PKT0_S8_ifPKiSA_iPKfiiiSC_SC_iiiii,comdat
.Lfunc_end75:
	.size	_ZN4vllm25paged_attention_v1_kernelIttLi96ELi16ELi128ELNS_18Fp8KVCacheDataTypeE0ELb1EEEvPT_PKS2_PKT0_S8_ifPKiSA_iPKfiiiSC_SC_iiiii, .Lfunc_end75-_ZN4vllm25paged_attention_v1_kernelIttLi96ELi16ELi128ELNS_18Fp8KVCacheDataTypeE0ELb1EEEvPT_PKS2_PKT0_S8_ifPKiSA_iPKfiiiSC_SC_iiiii
                                        ; -- End function
	.set _ZN4vllm25paged_attention_v1_kernelIttLi96ELi16ELi128ELNS_18Fp8KVCacheDataTypeE0ELb1EEEvPT_PKS2_PKT0_S8_ifPKiSA_iPKfiiiSC_SC_iiiii.num_vgpr, 93
	.set _ZN4vllm25paged_attention_v1_kernelIttLi96ELi16ELi128ELNS_18Fp8KVCacheDataTypeE0ELb1EEEvPT_PKS2_PKT0_S8_ifPKiSA_iPKfiiiSC_SC_iiiii.num_agpr, 0
	.set _ZN4vllm25paged_attention_v1_kernelIttLi96ELi16ELi128ELNS_18Fp8KVCacheDataTypeE0ELb1EEEvPT_PKS2_PKT0_S8_ifPKiSA_iPKfiiiSC_SC_iiiii.numbered_sgpr, 38
	.set _ZN4vllm25paged_attention_v1_kernelIttLi96ELi16ELi128ELNS_18Fp8KVCacheDataTypeE0ELb1EEEvPT_PKS2_PKT0_S8_ifPKiSA_iPKfiiiSC_SC_iiiii.num_named_barrier, 0
	.set _ZN4vllm25paged_attention_v1_kernelIttLi96ELi16ELi128ELNS_18Fp8KVCacheDataTypeE0ELb1EEEvPT_PKS2_PKT0_S8_ifPKiSA_iPKfiiiSC_SC_iiiii.private_seg_size, 0
	.set _ZN4vllm25paged_attention_v1_kernelIttLi96ELi16ELi128ELNS_18Fp8KVCacheDataTypeE0ELb1EEEvPT_PKS2_PKT0_S8_ifPKiSA_iPKfiiiSC_SC_iiiii.uses_vcc, 1
	.set _ZN4vllm25paged_attention_v1_kernelIttLi96ELi16ELi128ELNS_18Fp8KVCacheDataTypeE0ELb1EEEvPT_PKS2_PKT0_S8_ifPKiSA_iPKfiiiSC_SC_iiiii.uses_flat_scratch, 0
	.set _ZN4vllm25paged_attention_v1_kernelIttLi96ELi16ELi128ELNS_18Fp8KVCacheDataTypeE0ELb1EEEvPT_PKS2_PKT0_S8_ifPKiSA_iPKfiiiSC_SC_iiiii.has_dyn_sized_stack, 0
	.set _ZN4vllm25paged_attention_v1_kernelIttLi96ELi16ELi128ELNS_18Fp8KVCacheDataTypeE0ELb1EEEvPT_PKS2_PKT0_S8_ifPKiSA_iPKfiiiSC_SC_iiiii.has_recursion, 0
	.set _ZN4vllm25paged_attention_v1_kernelIttLi96ELi16ELi128ELNS_18Fp8KVCacheDataTypeE0ELb1EEEvPT_PKS2_PKT0_S8_ifPKiSA_iPKfiiiSC_SC_iiiii.has_indirect_call, 0
	.section	.AMDGPU.csdata,"",@progbits
; Kernel info:
; codeLenInByte = 9564
; TotalNumSgprs: 40
; NumVgprs: 93
; ScratchSize: 0
; MemoryBound: 0
; FloatMode: 240
; IeeeMode: 1
; LDSByteSize: 224 bytes/workgroup (compile time only)
; SGPRBlocks: 0
; VGPRBlocks: 11
; NumSGPRsForWavesPerEU: 40
; NumVGPRsForWavesPerEU: 93
; Occupancy: 10
; WaveLimiterHint : 1
; COMPUTE_PGM_RSRC2:SCRATCH_EN: 0
; COMPUTE_PGM_RSRC2:USER_SGPR: 6
; COMPUTE_PGM_RSRC2:TRAP_HANDLER: 0
; COMPUTE_PGM_RSRC2:TGID_X_EN: 1
; COMPUTE_PGM_RSRC2:TGID_Y_EN: 1
; COMPUTE_PGM_RSRC2:TGID_Z_EN: 1
; COMPUTE_PGM_RSRC2:TIDIG_COMP_CNT: 0
	.section	.text._ZN4vllm25paged_attention_v1_kernelIttLi112ELi16ELi128ELNS_18Fp8KVCacheDataTypeE0ELb1EEEvPT_PKS2_PKT0_S8_ifPKiSA_iPKfiiiSC_SC_iiiii,"axG",@progbits,_ZN4vllm25paged_attention_v1_kernelIttLi112ELi16ELi128ELNS_18Fp8KVCacheDataTypeE0ELb1EEEvPT_PKS2_PKT0_S8_ifPKiSA_iPKfiiiSC_SC_iiiii,comdat
	.protected	_ZN4vllm25paged_attention_v1_kernelIttLi112ELi16ELi128ELNS_18Fp8KVCacheDataTypeE0ELb1EEEvPT_PKS2_PKT0_S8_ifPKiSA_iPKfiiiSC_SC_iiiii ; -- Begin function _ZN4vllm25paged_attention_v1_kernelIttLi112ELi16ELi128ELNS_18Fp8KVCacheDataTypeE0ELb1EEEvPT_PKS2_PKT0_S8_ifPKiSA_iPKfiiiSC_SC_iiiii
	.globl	_ZN4vllm25paged_attention_v1_kernelIttLi112ELi16ELi128ELNS_18Fp8KVCacheDataTypeE0ELb1EEEvPT_PKS2_PKT0_S8_ifPKiSA_iPKfiiiSC_SC_iiiii
	.p2align	8
	.type	_ZN4vllm25paged_attention_v1_kernelIttLi112ELi16ELi128ELNS_18Fp8KVCacheDataTypeE0ELb1EEEvPT_PKS2_PKT0_S8_ifPKiSA_iPKfiiiSC_SC_iiiii,@function
_ZN4vllm25paged_attention_v1_kernelIttLi112ELi16ELi128ELNS_18Fp8KVCacheDataTypeE0ELb1EEEvPT_PKS2_PKT0_S8_ifPKiSA_iPKfiiiSC_SC_iiiii: ; @_ZN4vllm25paged_attention_v1_kernelIttLi112ELi16ELi128ELNS_18Fp8KVCacheDataTypeE0ELb1EEEvPT_PKS2_PKT0_S8_ifPKiSA_iPKfiiiSC_SC_iiiii
; %bb.0:
	s_clause 0x2
	s_load_dword s9, s[4:5], 0x80
	s_load_dwordx2 s[0:1], s[4:5], 0x30
	s_load_dwordx2 s[28:29], s[4:5], 0x20
	s_mov_b32 s10, s7
	s_ashr_i32 s11, s7, 31
	s_mov_b32 s33, 0
	s_lshl_b64 s[2:3], s[10:11], 2
	s_waitcnt lgkmcnt(0)
	s_add_u32 s0, s0, s2
	s_addc_u32 s1, s1, s3
	s_abs_i32 s2, s28
	s_abs_i32 s11, s9
	v_cvt_f32_u32_e32 v1, s2
	s_sub_i32 s7, 0, s2
	v_rcp_iflag_f32_e32 v1, v1
	v_mul_f32_e32 v1, 0x4f7ffffe, v1
	v_cvt_u32_f32_e32 v1, v1
	v_readfirstlane_b32 s3, v1
	s_mul_i32 s7, s7, s3
	s_mul_hi_u32 s7, s3, s7
	s_add_i32 s3, s3, s7
	s_xor_b32 s7, s9, s28
	s_mul_hi_u32 s3, s11, s3
	s_ashr_i32 s7, s7, 31
	s_mul_i32 s12, s3, s2
	s_sub_i32 s11, s11, s12
	s_add_i32 s12, s3, 1
	s_sub_i32 s13, s11, s2
	s_cmp_ge_u32 s11, s2
	s_cselect_b32 s3, s12, s3
	s_cselect_b32 s11, s13, s11
	s_add_i32 s12, s3, 1
	s_cmp_ge_u32 s11, s2
	s_cselect_b32 s2, s12, s3
	s_abs_i32 s22, s6
	s_xor_b32 s2, s2, s7
	s_sub_i32 s16, s2, s7
	s_load_dwordx2 s[2:3], s[4:5], 0x40
	s_abs_i32 s11, s16
	v_cvt_f32_u32_e32 v1, s11
	s_sub_i32 s12, 0, s11
	v_rcp_iflag_f32_e32 v1, v1
	v_mul_f32_e32 v1, 0x4f7ffffe, v1
	v_cvt_u32_f32_e32 v1, v1
	v_readfirstlane_b32 s7, v1
	s_mul_i32 s12, s12, s7
	s_mul_hi_u32 s12, s7, s12
	s_add_i32 s7, s7, s12
	s_waitcnt lgkmcnt(0)
	s_cmp_eq_u64 s[2:3], 0
	s_mul_hi_u32 s23, s22, s7
	s_cbranch_scc1 .LBB76_2
; %bb.1:
	s_ashr_i32 s7, s6, 31
	s_lshl_b64 s[12:13], s[6:7], 2
	s_add_u32 s2, s2, s12
	s_addc_u32 s3, s3, s13
	s_load_dword s33, s[2:3], 0x0
.LBB76_2:
	s_load_dword s30, s[0:1], 0x0
	s_load_dwordx4 s[12:15], s[4:5], 0x48
	v_lshrrev_b32_e32 v29, 1, v0
	v_and_b32_e32 v30, 1, v0
	v_lshlrev_b32_e32 v33, 3, v0
	s_ashr_i32 s0, s6, 31
	s_ashr_i32 s1, s16, 31
	s_mul_i32 s20, s6, 0x70
	s_mov_b32 s2, exec_lo
	v_cmpx_gt_u32_e32 28, v0
	s_cbranch_execz .LBB76_4
; %bb.3:
	s_load_dwordx2 s[16:17], s[4:5], 0x8
	s_waitcnt lgkmcnt(0)
	s_mul_i32 s18, s12, s10
	v_lshlrev_b32_e32 v3, 3, v29
	s_ashr_i32 s19, s18, 31
	s_lshl_b64 s[18:19], s[18:19], 1
	v_mad_u32_u24 v3, 0x70, v30, v3
	s_add_u32 s3, s16, s18
	s_addc_u32 s7, s17, s19
	s_ashr_i32 s21, s20, 31
	s_lshl_b64 s[16:17], s[20:21], 1
	s_add_u32 s16, s3, s16
	s_addc_u32 s17, s7, s17
	global_load_dwordx2 v[1:2], v33, s[16:17]
	s_waitcnt vmcnt(0)
	ds_write_b64 v3, v[1:2]
.LBB76_4:
	s_or_b32 exec_lo, exec_lo, s2
	s_load_dwordx4 s[16:19], s[4:5], 0x68
	s_mul_i32 s2, s23, s11
	s_xor_b32 s1, s0, s1
	s_sub_i32 s0, s22, s2
	s_add_i32 s2, s23, 1
	s_sub_i32 s3, s0, s11
	s_cmp_ge_u32 s0, s11
	s_waitcnt lgkmcnt(0)
	s_cselect_b32 s2, s2, s23
	s_cselect_b32 s0, s3, s0
	s_add_i32 s3, s2, 1
	s_cmp_ge_u32 s0, s11
	s_load_dword s0, s[4:5], 0x78
	s_cselect_b32 s2, s3, s2
	s_add_i32 s7, s30, -1
	s_xor_b32 s2, s2, s1
	s_abs_i32 s3, s7
	s_sub_i32 s1, s2, s1
	s_mov_b32 s11, -1
	s_barrier
	s_abs_i32 s12, s19
	s_waitcnt lgkmcnt(0)
	buffer_gl0_inv
	v_cvt_f32_u32_e32 v1, s12
	s_sub_i32 s2, 0, s12
                                        ; implicit-def: $sgpr31
	v_rcp_iflag_f32_e32 v1, v1
	v_mul_f32_e32 v1, 0x4f7ffffe, v1
	v_cvt_u32_f32_e32 v1, v1
	v_readfirstlane_b32 s21, v1
	s_mul_i32 s2, s2, s21
	s_mul_hi_u32 s2, s21, s2
	s_add_i32 s21, s21, s2
	s_cmp_lt_i32 s0, 0
	s_mul_hi_u32 s2, s3, s21
	s_cbranch_scc0 .LBB76_6
; %bb.5:
	s_mul_i32 s11, s16, s28
	s_add_i32 s11, s1, s11
	s_mul_i32 s11, s11, s0
	s_sub_i32 s31, 1, s11
	s_mov_b32 s11, 0
.LBB76_6:
	s_load_dwordx2 s[22:23], s[4:5], 0x28
	s_ashr_i32 s7, s7, 31
	s_andn2_b32 vcc_lo, exec_lo, s11
	s_ashr_i32 s19, s19, 31
	s_cbranch_vccnz .LBB76_8
; %bb.7:
	s_mul_i32 s11, s9, s16
	s_add_i32 s6, s11, s6
	s_mul_i32 s0, s6, s0
	s_add_i32 s31, s0, 1
.LBB76_8:
	s_load_dword s0, s[4:5], 0x38
	s_mul_i32 s6, s2, s12
	s_xor_b32 s15, s7, s19
	s_sub_i32 s3, s3, s6
	s_add_i32 s16, s2, 1
	s_clause 0x2
	s_load_dwordx2 s[6:7], s[4:5], 0x0
	s_load_dwordx2 s[26:27], s[4:5], 0x18
	s_load_dword s11, s[4:5], 0x88
	v_lshrrev_b32_e32 v31, 5, v0
	v_mov_b32_e32 v36, 0xff7fffff
	v_lshrrev_b32_e32 v34, 3, v0
	v_mbcnt_lo_u32_b32 v35, -1, 0
	s_mul_i32 s14, s1, s14
	v_lshlrev_b32_e32 v32, 4, v31
	s_waitcnt lgkmcnt(0)
	s_mul_i32 s24, s0, s10
	s_sub_i32 s0, s3, s12
	s_ashr_i32 s25, s24, 31
	s_cmp_ge_u32 s3, s12
	s_cselect_b32 s2, s16, s2
	s_cselect_b32 s0, s0, s3
	s_add_i32 s3, s2, 1
	s_cmp_ge_u32 s0, s12
	s_cselect_b32 s0, s3, s2
	s_add_i32 s2, s30, 15
	s_ashr_i32 s3, s2, 31
	s_lshr_b32 s3, s3, 28
	s_add_i32 s2, s2, s3
	s_ashr_i32 s16, s2, 4
	s_xor_b32 s2, s0, s15
	v_cmp_gt_i32_e64 s0, s16, v31
	s_sub_i32 s28, s2, s15
	s_and_saveexec_b32 s34, s0
	s_cbranch_execz .LBB76_20
; %bb.9:
	s_load_dwordx2 s[2:3], s[4:5], 0x10
	s_ashr_i32 s15, s14, 31
	s_sub_i32 s4, s28, s17
	s_lshl_b64 s[36:37], s[14:15], 1
	v_bfe_u32 v37, v0, 1, 4
	v_and_b32_e32 v2, 0x7c, v34
	v_and_b32_e32 v3, 8, v33
	v_mul_u32_u24_e32 v38, 0x70, v30
	v_cmp_neq_f32_e64 s1, s33, 0
	v_lshlrev_b32_e32 v4, 2, v37
	v_subrev_nc_u32_e32 v5, s30, v37
	v_lshlrev_b32_e32 v39, 4, v31
	v_mov_b32_e32 v40, 0xff7fffff
	v_xor_b32_e32 v41, 1, v35
	v_lshl_or_b32 v4, v31, 6, v4
	v_add_nc_u32_e32 v42, 1, v5
	v_mov_b32_e32 v36, 0xff7fffff
	v_mov_b32_e32 v47, v31
	v_cmp_eq_u32_e32 vcc_lo, 0, v30
	v_add_nc_u32_e32 v43, 0x100, v4
	s_waitcnt lgkmcnt(0)
	s_add_u32 s15, s2, s36
	s_addc_u32 s35, s3, s37
	s_abs_i32 s5, s18
	v_cvt_f32_u32_e32 v1, s5
	s_sub_i32 s2, 0, s5
	v_rcp_iflag_f32_e32 v1, v1
	v_mul_f32_e32 v1, 0x4f7ffffe, v1
	v_cvt_u32_f32_e32 v6, v1
	v_lshlrev_b32_e32 v1, 4, v37
	v_mul_lo_u32 v4, s2, v6
	s_lshl_b64 s[2:3], s[24:25], 2
	v_add_co_u32 v5, s15, s15, v1
	s_add_u32 s2, s22, s2
	v_add_co_ci_u32_e64 v7, null, s35, 0, s15
	s_addc_u32 s3, s23, s3
	v_mul_hi_u32 v4, v6, v4
	v_add_co_u32 v1, s2, s2, v2
	v_add_co_ci_u32_e64 v2, null, s3, 0, s2
	v_add_co_u32 v44, s2, v5, v3
	v_add_co_ci_u32_e64 v45, null, 0, v7, s2
	v_add_nc_u32_e32 v46, v6, v4
	s_mov_b32 s15, 0
	s_mov_b32 s35, s13
	s_branch .LBB76_12
.LBB76_10:                              ;   in Loop: Header=BB76_12 Depth=1
	s_or_b32 exec_lo, exec_lo, s36
.LBB76_11:                              ;   in Loop: Header=BB76_12 Depth=1
	s_or_b32 exec_lo, exec_lo, s3
	v_add_nc_u32_e32 v47, 4, v47
	v_add_co_u32 v1, s3, v1, 16
	v_add_co_ci_u32_e64 v2, null, 0, v2, s3
	v_cmp_le_i32_e64 s2, s16, v47
	v_add_nc_u32_e32 v39, 64, v39
	v_add_nc_u32_e32 v43, 0x100, v43
	s_or_b32 s15, s2, s15
	s_andn2_b32 exec_lo, exec_lo, s15
	s_cbranch_execz .LBB76_19
.LBB76_12:                              ; =>This Inner Loop Header: Depth=1
	v_mul_hi_u32 v3, v39, s21
	s_waitcnt lgkmcnt(0)
	v_mul_lo_u32 v4, v3, s12
	v_add_nc_u32_e32 v5, 1, v3
	v_sub_nc_u32_e32 v4, v39, v4
	v_subrev_nc_u32_e32 v6, s12, v4
	v_cmp_le_u32_e64 s2, s12, v4
	v_cndmask_b32_e64 v3, v3, v5, s2
	v_cndmask_b32_e64 v4, v4, v6, s2
	v_add_nc_u32_e32 v5, 1, v3
	v_cmp_le_u32_e64 s2, s12, v4
	v_cndmask_b32_e64 v3, v3, v5, s2
	v_xor_b32_e32 v3, s19, v3
	v_subrev_nc_u32_e32 v3, s19, v3
	v_add_nc_u32_e32 v4, s31, v3
	v_cmp_ge_i32_e64 s3, s4, v3
	v_sub_nc_u32_e32 v5, 0, v4
	v_max_i32_e32 v5, v4, v5
	v_ashrrev_i32_e32 v4, 31, v4
	v_mul_hi_u32 v6, v5, v46
	v_mul_lo_u32 v6, v6, s5
	v_sub_nc_u32_e32 v5, v5, v6
	v_subrev_nc_u32_e32 v6, s5, v5
	v_cmp_le_u32_e64 s2, s5, v5
	v_cndmask_b32_e64 v5, v5, v6, s2
	v_subrev_nc_u32_e32 v6, s5, v5
	v_cmp_le_u32_e64 s2, s5, v5
	v_cndmask_b32_e64 v5, v5, v6, s2
	v_xor_b32_e32 v5, v5, v4
	v_sub_nc_u32_e32 v4, v5, v4
	v_cmp_ne_u32_e64 s2, 0, v4
	s_and_b32 s2, s2, s3
	s_and_saveexec_b32 s3, s2
	s_xor_b32 s2, exec_lo, s3
	s_cbranch_execz .LBB76_16
; %bb.13:                               ;   in Loop: Header=BB76_12 Depth=1
	s_and_saveexec_b32 s3, vcc_lo
; %bb.14:                               ;   in Loop: Header=BB76_12 Depth=1
	ds_write_b32 v43, v40
; %bb.15:                               ;   in Loop: Header=BB76_12 Depth=1
	s_or_b32 exec_lo, exec_lo, s3
.LBB76_16:                              ;   in Loop: Header=BB76_12 Depth=1
	s_andn2_saveexec_b32 s3, s2
	s_cbranch_execz .LBB76_11
; %bb.17:                               ;   in Loop: Header=BB76_12 Depth=1
	global_load_dword v3, v[1:2], off
	s_waitcnt vmcnt(0)
	v_mad_i64_i32 v[3:4], null, v3, s35, 0
	v_lshlrev_b64 v[3:4], 1, v[3:4]
	v_add_co_u32 v3, s2, v44, v3
	v_add_co_ci_u32_e64 v4, null, v45, v4, s2
	s_clause 0x7
	global_load_dwordx2 v[27:28], v[3:4], off
	global_load_dwordx2 v[58:59], v[3:4], off offset:256
	global_load_dwordx2 v[25:26], v[3:4], off offset:512
	;; [unrolled: 1-line block ×7, first 2 shown]
	v_add_co_u32 v3, s2, 0x800, v3
	v_add_co_ci_u32_e64 v4, null, 0, v4, s2
	v_cmp_gt_i32_e64 s2, 32, v41
	s_clause 0x1
	global_load_dwordx2 v[13:14], v[3:4], off
	global_load_dwordx2 v[9:10], v[3:4], off offset:256
	ds_read_b64 v[5:6], v38
	s_waitcnt lgkmcnt(0)
	v_and_b32_e32 v48, 0xffff, v5
	v_lshrrev_b32_e32 v49, 16, v5
	v_lshrrev_b32_e32 v53, 16, v6
	v_and_b32_e32 v51, 0xffff, v6
	s_clause 0x3
	global_load_dwordx2 v[11:12], v[3:4], off offset:512
	global_load_dwordx2 v[7:8], v[3:4], off offset:768
	;; [unrolled: 1-line block ×4, first 2 shown]
	;;#ASMSTART
	v_cvt_f32_f16 v54, v48;
	;;#ASMEND
	;;#ASMSTART
	v_cvt_f32_f16 v50, v49;
	;;#ASMEND
	s_waitcnt vmcnt(13)
	v_and_b32_e32 v48, 0xffff, v27
	v_lshrrev_b32_e32 v27, 16, v27
	v_lshrrev_b32_e32 v49, 16, v28
	v_and_b32_e32 v28, 0xffff, v28
	;;#ASMSTART
	v_cvt_f32_f16 v55, v48;
	;;#ASMEND
	;;#ASMSTART
	v_cvt_f32_f16 v52, v27;
	;;#ASMEND
	;; [unrolled: 3-line block ×6, first 2 shown]
	ds_read_b64 v[27:28], v38 offset:8
	s_waitcnt vmcnt(12)
	v_lshrrev_b32_e32 v56, 16, v58
	v_and_b32_e32 v58, 0xffff, v58
	v_lshrrev_b32_e32 v61, 16, v59
	v_and_b32_e32 v60, 0xffff, v59
	s_waitcnt vmcnt(11)
	v_lshrrev_b32_e32 v65, 16, v25
	v_and_b32_e32 v25, 0xffff, v25
	v_lshrrev_b32_e32 v69, 16, v26
	v_and_b32_e32 v26, 0xffff, v26
	;; [unrolled: 5-line block ×4, first 2 shown]
	s_waitcnt vmcnt(8)
	v_lshrrev_b32_e32 v82, 16, v19
	s_waitcnt vmcnt(7)
	v_lshrrev_b32_e32 v86, 16, v17
	v_and_b32_e32 v87, 0xffff, v17
	s_waitcnt lgkmcnt(0)
	v_and_b32_e32 v57, 0xffff, v27
	v_lshrrev_b32_e32 v27, 16, v27
	v_and_b32_e32 v59, 0xffff, v28
	v_lshrrev_b32_e32 v62, 16, v28
	;;#ASMSTART
	v_cvt_f32_f16 v57, v57;
	;;#ASMEND
	;;#ASMSTART
	v_cvt_f32_f16 v28, v27;
	;;#ASMEND
	;;#ASMSTART
	v_cvt_f32_f16 v58, v58;
	;;#ASMEND
	;;#ASMSTART
	v_cvt_f32_f16 v56, v56;
	;;#ASMEND
	;;#ASMSTART
	v_cvt_f32_f16 v59, v59;
	;;#ASMEND
	;;#ASMSTART
	v_cvt_f32_f16 v27, v62;
	;;#ASMEND
	;;#ASMSTART
	v_cvt_f32_f16 v60, v60;
	;;#ASMEND
	;;#ASMSTART
	v_cvt_f32_f16 v61, v61;
	;;#ASMEND
	ds_read_b64 v[62:63], v38 offset:16
	s_waitcnt vmcnt(6)
	v_lshrrev_b32_e32 v90, 16, v15
	v_and_b32_e32 v91, 0xffff, v15
	v_lshrrev_b32_e32 v92, 16, v16
	v_and_b32_e32 v93, 0xffff, v16
	v_mul_f32_e32 v17, v57, v58
	v_and_b32_e32 v83, 0xffff, v19
	v_lshrrev_b32_e32 v84, 16, v20
	v_and_b32_e32 v85, 0xffff, v20
	v_lshrrev_b32_e32 v88, 16, v18
	v_and_b32_e32 v89, 0xffff, v18
	v_mul_f32_e32 v28, v28, v56
	v_mul_f32_e32 v56, v59, v60
	v_fmac_f32_e32 v17, v54, v55
	v_mul_f32_e32 v27, v27, v61
	s_waitcnt vmcnt(5)
	v_lshrrev_b32_e32 v61, 16, v13
	v_fmac_f32_e32 v28, v50, v52
	v_fmac_f32_e32 v56, v51, v53
	v_and_b32_e32 v13, 0xffff, v13
	v_fmac_f32_e32 v27, v48, v49
	s_waitcnt lgkmcnt(0)
	v_and_b32_e32 v64, 0xffff, v62
	v_lshrrev_b32_e32 v66, 16, v62
	v_and_b32_e32 v67, 0xffff, v63
	v_lshrrev_b32_e32 v68, 16, v63
	;;#ASMSTART
	v_cvt_f32_f16 v62, v64;
	;;#ASMEND
	;;#ASMSTART
	v_cvt_f32_f16 v63, v66;
	;;#ASMEND
	;; [unrolled: 3-line block ×8, first 2 shown]
	ds_read_b64 v[25:26], v38 offset:24
	v_fmac_f32_e32 v17, v62, v64
	v_fmac_f32_e32 v28, v63, v65
	s_waitcnt vmcnt(4)
	v_lshrrev_b32_e32 v65, 16, v9
	v_fmac_f32_e32 v56, v66, v68
	v_and_b32_e32 v9, 0xffff, v9
	v_fmac_f32_e32 v27, v67, v69
	s_waitcnt lgkmcnt(0)
	v_and_b32_e32 v70, 0xffff, v25
	v_lshrrev_b32_e32 v72, 16, v25
	v_and_b32_e32 v73, 0xffff, v26
	v_lshrrev_b32_e32 v74, 16, v26
	;;#ASMSTART
	v_cvt_f32_f16 v25, v70;
	;;#ASMEND
	;;#ASMSTART
	v_cvt_f32_f16 v26, v72;
	;;#ASMEND
	;;#ASMSTART
	v_cvt_f32_f16 v70, v23;
	;;#ASMEND
	;;#ASMSTART
	v_cvt_f32_f16 v71, v71;
	;;#ASMEND
	;;#ASMSTART
	v_cvt_f32_f16 v72, v73;
	;;#ASMEND
	;;#ASMSTART
	v_cvt_f32_f16 v73, v74;
	;;#ASMEND
	;;#ASMSTART
	v_cvt_f32_f16 v74, v24;
	;;#ASMEND
	;;#ASMSTART
	v_cvt_f32_f16 v75, v75;
	;;#ASMEND
	ds_read_b64 v[23:24], v38 offset:32
	v_fmac_f32_e32 v17, v25, v70
	s_waitcnt vmcnt(3)
	v_lshrrev_b32_e32 v70, 16, v11
	v_fmac_f32_e32 v28, v26, v71
	v_and_b32_e32 v26, 0xffff, v11
	v_fmac_f32_e32 v56, v72, v74
	v_fmac_f32_e32 v27, v73, v75
	s_waitcnt vmcnt(2)
	v_lshrrev_b32_e32 v75, 16, v7
	v_and_b32_e32 v7, 0xffff, v7
	s_waitcnt lgkmcnt(0)
	v_and_b32_e32 v76, 0xffff, v23
	v_lshrrev_b32_e32 v78, 16, v23
	v_lshrrev_b32_e32 v79, 16, v24
	v_and_b32_e32 v80, 0xffff, v24
	;;#ASMSTART
	v_cvt_f32_f16 v23, v76;
	;;#ASMEND
	;;#ASMSTART
	v_cvt_f32_f16 v24, v78;
	;;#ASMEND
	;;#ASMSTART
	v_cvt_f32_f16 v76, v21;
	;;#ASMEND
	;;#ASMSTART
	v_cvt_f32_f16 v77, v77;
	;;#ASMEND
	;;#ASMSTART
	v_cvt_f32_f16 v78, v80;
	;;#ASMEND
	;;#ASMSTART
	v_cvt_f32_f16 v79, v79;
	;;#ASMEND
	;;#ASMSTART
	v_cvt_f32_f16 v80, v22;
	;;#ASMEND
	;;#ASMSTART
	v_cvt_f32_f16 v81, v81;
	;;#ASMEND
	ds_read_b64 v[21:22], v38 offset:40
	v_fmac_f32_e32 v17, v23, v76
	v_fmac_f32_e32 v28, v24, v77
	;; [unrolled: 1-line block ×4, first 2 shown]
	s_waitcnt lgkmcnt(0)
	v_and_b32_e32 v15, 0xffff, v21
	v_lshrrev_b32_e32 v16, 16, v21
	v_lshrrev_b32_e32 v57, 16, v22
	v_and_b32_e32 v22, 0xffff, v22
	;;#ASMSTART
	v_cvt_f32_f16 v18, v15;
	;;#ASMEND
	;;#ASMSTART
	v_cvt_f32_f16 v19, v16;
	;;#ASMEND
	;; [unrolled: 3-line block ×8, first 2 shown]
	ds_read_b64 v[15:16], v38 offset:48
	v_fmac_f32_e32 v17, v18, v20
	v_fmac_f32_e32 v28, v19, v21
	;; [unrolled: 1-line block ×4, first 2 shown]
	s_waitcnt vmcnt(1)
	v_lshrrev_b32_e32 v21, 16, v6
	v_and_b32_e32 v6, 0xffff, v6
	s_waitcnt vmcnt(0)
	v_lshrrev_b32_e32 v22, 16, v3
	s_waitcnt lgkmcnt(0)
	v_and_b32_e32 v59, 0xffff, v15
	v_lshrrev_b32_e32 v15, 16, v15
	v_lshrrev_b32_e32 v84, 16, v16
	v_and_b32_e32 v16, 0xffff, v16
	;;#ASMSTART
	v_cvt_f32_f16 v54, v59;
	;;#ASMEND
	;;#ASMSTART
	v_cvt_f32_f16 v55, v15;
	;;#ASMEND
	;; [unrolled: 3-line block ×8, first 2 shown]
	ds_read_b64 v[15:16], v38 offset:56
	v_fmac_f32_e32 v17, v54, v59
	v_fmac_f32_e32 v28, v55, v60
	;; [unrolled: 1-line block ×4, first 2 shown]
	s_waitcnt lgkmcnt(0)
	v_and_b32_e32 v50, 0xffff, v15
	v_lshrrev_b32_e32 v15, 16, v15
	v_lshrrev_b32_e32 v88, 16, v16
	v_and_b32_e32 v16, 0xffff, v16
	;;#ASMSTART
	v_cvt_f32_f16 v50, v50;
	;;#ASMEND
	;;#ASMSTART
	v_cvt_f32_f16 v51, v15;
	;;#ASMEND
	;; [unrolled: 3-line block ×8, first 2 shown]
	ds_read_b64 v[15:16], v38 offset:64
	v_lshrrev_b32_e32 v91, 16, v14
	v_and_b32_e32 v14, 0xffff, v14
	v_and_b32_e32 v92, 0xffff, v12
	v_fmac_f32_e32 v17, v50, v52
	v_fmac_f32_e32 v28, v51, v53
	;; [unrolled: 1-line block ×4, first 2 shown]
	s_waitcnt lgkmcnt(0)
	v_and_b32_e32 v48, 0xffff, v15
	v_lshrrev_b32_e32 v49, 16, v15
	v_lshrrev_b32_e32 v62, 16, v16
	v_and_b32_e32 v63, 0xffff, v16
	;;#ASMSTART
	v_cvt_f32_f16 v15, v48;
	;;#ASMEND
	;;#ASMSTART
	v_cvt_f32_f16 v16, v49;
	;;#ASMEND
	;; [unrolled: 3-line block ×8, first 2 shown]
	ds_read_b64 v[13:14], v38 offset:72
	v_lshrrev_b32_e32 v91, 16, v10
	v_and_b32_e32 v10, 0xffff, v10
	v_fmac_f32_e32 v17, v15, v48
	v_fmac_f32_e32 v28, v16, v49
	;; [unrolled: 1-line block ×4, first 2 shown]
	s_waitcnt lgkmcnt(0)
	v_and_b32_e32 v66, 0xffff, v13
	v_lshrrev_b32_e32 v67, 16, v13
	v_lshrrev_b32_e32 v68, 16, v14
	v_and_b32_e32 v69, 0xffff, v14
	;;#ASMSTART
	v_cvt_f32_f16 v13, v66;
	;;#ASMEND
	;;#ASMSTART
	v_cvt_f32_f16 v14, v67;
	;;#ASMEND
	;;#ASMSTART
	v_cvt_f32_f16 v25, v9;
	;;#ASMEND
	;;#ASMSTART
	v_cvt_f32_f16 v65, v65;
	;;#ASMEND
	;;#ASMSTART
	v_cvt_f32_f16 v66, v69;
	;;#ASMEND
	;;#ASMSTART
	v_cvt_f32_f16 v67, v68;
	;;#ASMEND
	;;#ASMSTART
	v_cvt_f32_f16 v68, v10;
	;;#ASMEND
	;;#ASMSTART
	v_cvt_f32_f16 v69, v91;
	;;#ASMEND
	ds_read_b64 v[9:10], v38 offset:80
	v_lshrrev_b32_e32 v91, 16, v12
	v_fmac_f32_e32 v17, v13, v25
	v_fmac_f32_e32 v28, v14, v65
	;; [unrolled: 1-line block ×4, first 2 shown]
	v_and_b32_e32 v13, 0xffff, v3
	s_waitcnt lgkmcnt(0)
	v_and_b32_e32 v11, 0xffff, v9
	v_lshrrev_b32_e32 v9, 16, v9
	v_lshrrev_b32_e32 v72, 16, v10
	v_and_b32_e32 v10, 0xffff, v10
	;;#ASMSTART
	v_cvt_f32_f16 v11, v11;
	;;#ASMEND
	;;#ASMSTART
	v_cvt_f32_f16 v12, v9;
	;;#ASMEND
	;; [unrolled: 3-line block ×8, first 2 shown]
	ds_read_b64 v[9:10], v38 offset:88
	v_lshrrev_b32_e32 v91, 16, v8
	v_and_b32_e32 v8, 0xffff, v8
	v_lshrrev_b32_e32 v92, 16, v5
	v_and_b32_e32 v5, 0xffff, v5
	v_fmac_f32_e32 v17, v11, v26
	v_fmac_f32_e32 v28, v12, v70
	;; [unrolled: 1-line block ×4, first 2 shown]
	v_lshrrev_b32_e32 v11, 16, v4
	s_waitcnt lgkmcnt(0)
	v_and_b32_e32 v23, 0xffff, v9
	v_lshrrev_b32_e32 v24, 16, v9
	v_lshrrev_b32_e32 v76, 16, v10
	v_and_b32_e32 v77, 0xffff, v10
	;;#ASMSTART
	v_cvt_f32_f16 v9, v23;
	;;#ASMEND
	;;#ASMSTART
	v_cvt_f32_f16 v10, v24;
	;;#ASMEND
	;; [unrolled: 3-line block ×8, first 2 shown]
	ds_read_b64 v[7:8], v38 offset:96
	v_fmac_f32_e32 v17, v9, v23
	v_fmac_f32_e32 v28, v10, v24
	;; [unrolled: 1-line block ×3, first 2 shown]
	v_and_b32_e32 v9, 0xffff, v4
	v_fmac_f32_e32 v27, v76, v78
	s_waitcnt lgkmcnt(0)
	v_and_b32_e32 v15, 0xffff, v7
	v_lshrrev_b32_e32 v16, 16, v7
	v_lshrrev_b32_e32 v19, 16, v8
	v_and_b32_e32 v18, 0xffff, v8
	;;#ASMSTART
	v_cvt_f32_f16 v7, v15;
	;;#ASMEND
	;;#ASMSTART
	v_cvt_f32_f16 v8, v16;
	;;#ASMEND
	;; [unrolled: 3-line block ×8, first 2 shown]
	ds_read_b64 v[5:6], v38 offset:104
	v_fmac_f32_e32 v17, v7, v15
	v_fmac_f32_e32 v28, v8, v16
	;; [unrolled: 1-line block ×4, first 2 shown]
	s_waitcnt lgkmcnt(0)
	v_and_b32_e32 v3, 0xffff, v5
	v_lshrrev_b32_e32 v4, 16, v5
	v_lshrrev_b32_e32 v7, 16, v6
	v_and_b32_e32 v8, 0xffff, v6
	;;#ASMSTART
	v_cvt_f32_f16 v3, v3;
	;;#ASMEND
	;;#ASMSTART
	v_cvt_f32_f16 v4, v4;
	;;#ASMEND
	;; [unrolled: 3-line block ×4, first 2 shown]
	v_fmac_f32_e32 v17, v3, v5
	v_fmac_f32_e32 v28, v4, v6
	;;#ASMSTART
	v_cvt_f32_f16 v3, v8;
	;;#ASMEND
	;;#ASMSTART
	v_cvt_f32_f16 v4, v7;
	;;#ASMEND
	;; [unrolled: 3-line block ×3, first 2 shown]
	v_fmac_f32_e32 v56, v3, v5
	v_add_f32_e32 v3, v17, v28
	;;#ASMSTART
	v_cvt_f32_f16 v5, v11;
	;;#ASMEND
	v_fmac_f32_e32 v27, v4, v5
	v_cndmask_b32_e64 v4, v35, v41, s2
	v_add_f32_e32 v3, v3, v56
	v_lshlrev_b32_e32 v4, 2, v4
	v_add_f32_e32 v3, v27, v3
	ds_bpermute_b32 v4, v4, v3
	s_and_saveexec_b32 s36, vcc_lo
	s_cbranch_execz .LBB76_10
; %bb.18:                               ;   in Loop: Header=BB76_12 Depth=1
	v_add_nc_u32_e32 v5, v42, v39
	s_waitcnt lgkmcnt(0)
	v_add_f32_e32 v3, v3, v4
	v_cvt_f32_i32_e32 v5, v5
	v_mul_f32_e32 v5, s33, v5
	v_cndmask_b32_e64 v4, 0, v5, s1
	v_max_f32_e32 v5, v36, v36
	v_fmac_f32_e32 v4, s29, v3
	v_add_nc_u32_e32 v3, v37, v39
	v_max_f32_e32 v5, v5, v4
	v_cmp_gt_i32_e64 s2, s30, v3
	v_cndmask_b32_e64 v3, 0, v4, s2
	v_cndmask_b32_e64 v36, v36, v5, s2
	ds_write_b32 v43, v3
	s_branch .LBB76_10
.LBB76_19:
	s_or_b32 exec_lo, exec_lo, s15
.LBB76_20:
	s_or_b32 exec_lo, exec_lo, s34
	v_xor_b32_e32 v1, 16, v35
	v_xor_b32_e32 v3, 8, v35
	v_max_f32_e32 v5, v36, v36
	v_xor_b32_e32 v6, 2, v35
	v_and_b32_e32 v9, 31, v0
	v_cmp_gt_i32_e32 vcc_lo, 32, v1
	v_cndmask_b32_e32 v1, v35, v1, vcc_lo
	v_cmp_gt_i32_e32 vcc_lo, 32, v3
	v_lshlrev_b32_e32 v2, 2, v1
	v_cndmask_b32_e32 v3, v35, v3, vcc_lo
	ds_bpermute_b32 v1, v2, v36
	s_waitcnt lgkmcnt(1)
	v_lshlrev_b32_e32 v4, 2, v3
	s_waitcnt lgkmcnt(0)
	v_max_f32_e32 v1, v1, v1
	v_max_f32_e32 v1, v5, v1
	v_xor_b32_e32 v5, 4, v35
	ds_bpermute_b32 v3, v4, v1
	v_cmp_gt_i32_e32 vcc_lo, 32, v5
	v_cndmask_b32_e32 v5, v35, v5, vcc_lo
	v_cmp_gt_i32_e32 vcc_lo, 32, v6
	v_lshlrev_b32_e32 v5, 2, v5
	v_cndmask_b32_e32 v6, v35, v6, vcc_lo
	v_cmp_eq_u32_e32 vcc_lo, 0, v9
	s_waitcnt lgkmcnt(0)
	v_max_f32_e32 v3, v3, v3
	v_max_f32_e32 v1, v1, v3
	ds_bpermute_b32 v3, v5, v1
	s_waitcnt lgkmcnt(0)
	v_max_f32_e32 v3, v3, v3
	v_max_f32_e32 v3, v1, v3
	v_lshlrev_b32_e32 v1, 2, v6
	v_lshlrev_b32_e32 v6, 2, v31
	ds_bpermute_b32 v7, v1, v3
	s_and_saveexec_b32 s1, vcc_lo
	s_cbranch_execz .LBB76_22
; %bb.21:
	s_waitcnt lgkmcnt(0)
	v_max_f32_e32 v7, v7, v7
	v_max_f32_e32 v3, v3, v3
	;; [unrolled: 1-line block ×3, first 2 shown]
	ds_write_b32 v6, v3 offset:224
.LBB76_22:
	s_or_b32 exec_lo, exec_lo, s1
	v_cmp_gt_u32_e64 s1, 4, v9
	v_mov_b32_e32 v3, 0xff7fffff
	s_waitcnt lgkmcnt(0)
	v_lshlrev_b32_e32 v7, 2, v9
	s_barrier
	buffer_gl0_inv
	s_and_saveexec_b32 s2, s1
; %bb.23:
	ds_read_b32 v3, v7 offset:224
; %bb.24:
	s_or_b32 exec_lo, exec_lo, s2
	s_waitcnt lgkmcnt(0)
	ds_bpermute_b32 v8, v1, v3
	v_xor_b32_e32 v10, 1, v35
	v_max_f32_e32 v3, v3, v3
	v_cmp_gt_i32_e64 s2, 32, v10
	v_cndmask_b32_e64 v10, v35, v10, s2
	s_lshl_b32 s2, s16, 4
	s_min_i32 s4, s2, s30
	v_lshlrev_b32_e32 v10, 2, v10
	v_cmp_gt_i32_e64 s2, s4, v0
	s_waitcnt lgkmcnt(0)
	v_max_f32_e32 v8, v8, v8
	v_max_f32_e32 v3, v3, v8
	ds_bpermute_b32 v8, v10, v3
	s_waitcnt lgkmcnt(0)
	v_max_f32_e32 v8, v8, v8
	v_max_f32_e32 v3, v3, v8
	v_mov_b32_e32 v8, 0
	ds_bpermute_b32 v11, v8, v3
	v_lshl_add_u32 v3, v0, 2, 0x100
	s_and_saveexec_b32 s5, s2
	s_cbranch_execz .LBB76_28
; %bb.25:
	v_lshl_add_u32 v12, v0, 2, 0x100
	v_mov_b32_e32 v8, 0
	v_mov_b32_e32 v13, v0
	s_mov_b32 s15, 0
	.p2align	6
.LBB76_26:                              ; =>This Inner Loop Header: Depth=1
	ds_read_b32 v14, v12
	v_add_nc_u32_e32 v13, 0x80, v13
	v_cmp_le_i32_e64 s3, s4, v13
	s_or_b32 s15, s3, s15
	s_waitcnt lgkmcnt(0)
	v_sub_f32_e32 v14, v14, v11
	v_mul_f32_e32 v14, 0x3fb8aa3b, v14
	v_exp_f32_e32 v14, v14
	ds_write_b32 v12, v14
	v_add_f32_e32 v8, v8, v14
	v_add_nc_u32_e32 v12, 0x200, v12
	s_andn2_b32 exec_lo, exec_lo, s15
	s_cbranch_execnz .LBB76_26
; %bb.27:
	s_or_b32 exec_lo, exec_lo, s15
.LBB76_28:
	s_or_b32 exec_lo, exec_lo, s5
	ds_bpermute_b32 v2, v2, v8
	s_waitcnt lgkmcnt(0)
	v_add_f32_e32 v2, v8, v2
	ds_bpermute_b32 v4, v4, v2
	s_waitcnt lgkmcnt(0)
	v_add_f32_e32 v2, v2, v4
	;; [unrolled: 3-line block ×5, first 2 shown]
	s_and_saveexec_b32 s3, vcc_lo
; %bb.29:
	ds_write_b32 v6, v2 offset:240
; %bb.30:
	s_or_b32 exec_lo, exec_lo, s3
	s_waitcnt lgkmcnt(0)
	s_barrier
	buffer_gl0_inv
	s_and_saveexec_b32 s3, s1
; %bb.31:
	ds_read_b32 v2, v7 offset:240
; %bb.32:
	s_or_b32 exec_lo, exec_lo, s3
	s_waitcnt lgkmcnt(0)
	ds_bpermute_b32 v1, v1, v2
	s_waitcnt lgkmcnt(0)
	v_add_f32_e32 v1, v2, v1
	ds_bpermute_b32 v2, v10, v1
	s_waitcnt lgkmcnt(0)
	v_add_f32_e32 v1, v1, v2
	v_mov_b32_e32 v2, 0
	ds_bpermute_b32 v1, v2, v1
	s_and_saveexec_b32 s1, s2
	s_cbranch_execz .LBB76_35
; %bb.33:
	s_waitcnt lgkmcnt(0)
	v_add_f32_e32 v1, 0x358637bd, v1
	s_mov_b32 s2, 0
	v_div_scale_f32 v2, null, v1, v1, 1.0
	v_div_scale_f32 v6, vcc_lo, 1.0, v1, 1.0
	v_rcp_f32_e32 v4, v2
	v_fma_f32 v5, -v2, v4, 1.0
	v_fmac_f32_e32 v4, v5, v4
	v_mul_f32_e32 v5, v6, v4
	v_fma_f32 v7, -v2, v5, v6
	v_fmac_f32_e32 v5, v7, v4
	v_fma_f32 v2, -v2, v5, v6
	v_div_fmas_f32 v2, v2, v4, v5
	v_div_fixup_f32 v1, v2, v1, 1.0
	v_mov_b32_e32 v2, v0
.LBB76_34:                              ; =>This Inner Loop Header: Depth=1
	ds_read_b32 v4, v3
	v_add_nc_u32_e32 v2, 0x80, v2
	v_cmp_le_i32_e32 vcc_lo, s4, v2
	s_or_b32 s2, vcc_lo, s2
	s_waitcnt lgkmcnt(0)
	v_mul_f32_e32 v4, v1, v4
	ds_write_b32 v3, v4
	v_add_nc_u32_e32 v3, 0x200, v3
	s_andn2_b32 exec_lo, exec_lo, s2
	s_cbranch_execnz .LBB76_34
.LBB76_35:
	s_or_b32 exec_lo, exec_lo, s1
	v_mov_b32_e32 v17, 0
	v_mov_b32_e32 v16, 0
	;; [unrolled: 1-line block ×7, first 2 shown]
	s_waitcnt lgkmcnt(0)
	s_barrier
	buffer_gl0_inv
	s_and_saveexec_b32 s2, s0
	s_cbranch_execz .LBB76_55
; %bb.36:
	s_ashr_i32 s15, s14, 31
	s_sub_i32 s3, s28, s17
	s_lshl_b64 s[0:1], s[14:15], 1
	v_lshlrev_b32_e32 v2, 4, v0
	s_add_u32 s14, s26, s0
	s_addc_u32 s15, s27, s1
	s_abs_i32 s4, s18
	v_lshlrev_b32_e32 v4, 5, v30
	v_cvt_f32_u32_e32 v1, s4
	s_sub_i32 s0, 0, s4
	v_and_b32_e32 v3, 0x7c, v34
	v_and_b32_e32 v2, 0x1f0, v2
	s_add_i32 s5, s16, -1
	v_rcp_iflag_f32_e32 v1, v1
	v_lshl_or_b32 v4, v31, 6, v4
	v_and_b32_e32 v18, 8, v33
	v_add_co_u32 v20, s14, s14, v2
	v_mov_b32_e32 v19, 0
	v_mov_b32_e32 v11, 0
	;; [unrolled: 1-line block ×5, first 2 shown]
	v_mul_f32_e32 v1, 0x4f7ffffe, v1
	v_mov_b32_e32 v15, 0
	v_mov_b32_e32 v16, 0
	;; [unrolled: 1-line block ×3, first 2 shown]
	v_add_co_ci_u32_e64 v21, null, s15, 0, s14
	v_cvt_u32_f32_e32 v1, v1
	v_add_nc_u32_e32 v22, 0x100, v4
	v_mov_b32_e32 v24, v31
	s_mov_b32 s14, s13
	s_mov_b32 s13, 0
	v_mul_lo_u32 v5, s0, v1
	s_lshl_b64 s[0:1], s[24:25], 2
	s_add_u32 s0, s22, s0
	s_addc_u32 s1, s23, s1
	v_mul_hi_u32 v7, v1, v5
	v_add_co_u32 v5, s0, s0, v3
	v_add_co_ci_u32_e64 v6, null, s1, 0, s0
	v_add_nc_u32_e32 v23, v1, v7
	s_branch .LBB76_39
.LBB76_37:                              ;   in Loop: Header=BB76_39 Depth=1
	s_or_b32 exec_lo, exec_lo, s1
	v_lshlrev_b32_e32 v26, 16, v51
	v_lshlrev_b32_e32 v8, 16, v8
	;; [unrolled: 1-line block ×3, first 2 shown]
	v_add_f32_e32 v25, v52, v53
	v_add_f32_e32 v27, v49, v50
	v_and_or_b32 v1, 0xffff, v1, v26
	v_and_or_b32 v2, 0xffff, v2, v8
	v_and_or_b32 v3, 0xffff, v3, v7
	;;#ASMSTART
	v_pk_mul_f16 v1, v38, v1;

	;;#ASMEND
	;;#ASMSTART
	v_pk_mul_f16 v2, v37, v2;

	;;#ASMEND
	;;#ASMSTART
	v_pk_mul_f16 v3, v41, v3;

	;;#ASMEND
	;;#ASMSTART
	v_pk_mul_f16 v4, v42, v4;

	;;#ASMEND
	;;#ASMSTART
	v_pk_add_f16 v1, v1, v2;

	;;#ASMEND
	;;#ASMSTART
	v_pk_add_f16 v1, v1, v3;

	;;#ASMEND
	;; [unrolled: 4-line block ×3, first 2 shown]
	v_and_b32_e32 v4, 0xffff, v1
	v_lshrrev_b32_e32 v8, 16, v1
	;;#ASMSTART
	v_cvt_f32_f16 v4, v4;
	;;#ASMEND
	v_add_f32_e32 v7, v47, v48
	v_add_f32_e32 v1, v45, v46
	;; [unrolled: 1-line block ×4, first 2 shown]
	;;#ASMSTART
	v_cvt_f32_f16 v8, v8;
	;;#ASMEND
	v_add_f32_e32 v4, v4, v8
	v_add_f32_e32 v12, v12, v25
	;; [unrolled: 1-line block ×8, first 2 shown]
.LBB76_38:                              ;   in Loop: Header=BB76_39 Depth=1
	s_or_b32 exec_lo, exec_lo, s15
	v_add_nc_u32_e32 v24, 4, v24
	v_add_co_u32 v5, s0, v5, 16
	v_add_co_ci_u32_e64 v6, null, 0, v6, s0
	v_cmp_le_i32_e32 vcc_lo, s16, v24
	v_add_nc_u32_e32 v32, 64, v32
	v_add_nc_u32_e32 v22, 0x100, v22
	s_or_b32 s13, vcc_lo, s13
	s_andn2_b32 exec_lo, exec_lo, s13
	s_cbranch_execz .LBB76_54
.LBB76_39:                              ; =>This Inner Loop Header: Depth=1
	v_mul_hi_u32 v1, v32, s21
	v_mul_lo_u32 v2, v1, s12
	v_add_nc_u32_e32 v3, 1, v1
	v_sub_nc_u32_e32 v2, v32, v2
	v_subrev_nc_u32_e32 v4, s12, v2
	v_cmp_le_u32_e32 vcc_lo, s12, v2
	v_cndmask_b32_e32 v1, v1, v3, vcc_lo
	v_cndmask_b32_e32 v2, v2, v4, vcc_lo
	v_add_nc_u32_e32 v3, 1, v1
	v_cmp_le_u32_e32 vcc_lo, s12, v2
	v_cndmask_b32_e32 v1, v1, v3, vcc_lo
	v_xor_b32_e32 v1, s19, v1
	v_subrev_nc_u32_e32 v1, s19, v1
	v_add_nc_u32_e32 v2, s31, v1
	v_cmp_lt_i32_e64 s0, s3, v1
	v_sub_nc_u32_e32 v3, 0, v2
	v_max_i32_e32 v3, v2, v3
	v_ashrrev_i32_e32 v2, 31, v2
	v_mul_hi_u32 v4, v3, v23
	v_mul_lo_u32 v4, v4, s4
	v_sub_nc_u32_e32 v3, v3, v4
	v_subrev_nc_u32_e32 v4, s4, v3
	v_cmp_le_u32_e32 vcc_lo, s4, v3
	v_cndmask_b32_e32 v3, v3, v4, vcc_lo
	v_subrev_nc_u32_e32 v4, s4, v3
	v_cmp_le_u32_e32 vcc_lo, s4, v3
	v_cndmask_b32_e32 v3, v3, v4, vcc_lo
	v_xor_b32_e32 v3, v3, v2
	v_sub_nc_u32_e32 v2, v3, v2
	v_cmp_eq_u32_e32 vcc_lo, 0, v2
	s_or_b32 s0, vcc_lo, s0
	s_and_saveexec_b32 s15, s0
	s_cbranch_execz .LBB76_38
; %bb.40:                               ;   in Loop: Header=BB76_39 Depth=1
	global_load_dword v7, v[5:6], off
	ds_read2_b64 v[1:4], v22 offset1:1
	ds_read2_b64 v[25:28], v22 offset0:2 offset1:3
	v_add_nc_u32_e32 v34, v18, v32
	v_cmp_eq_u32_e64 s0, s5, v24
	s_waitcnt lgkmcnt(1)
	;;#ASMSTART
	v_cvt_f16_f32 v38, v1;

	;;#ASMEND
	;;#ASMSTART
	v_cvt_f16_f32 v37, v2;

	;;#ASMEND
	;; [unrolled: 4-line block ×4, first 2 shown]
	s_waitcnt lgkmcnt(0)
	;;#ASMSTART
	v_cvt_f16_f32 v44, v25;

	;;#ASMEND
	;;#ASMSTART
	v_cvt_f16_f32 v40, v26;

	;;#ASMEND
	;;#ASMSTART
	v_cvt_f16_f32 v42, v27;

	;;#ASMEND
	;;#ASMSTART
	v_cvt_f16_f32 v39, v28;

	;;#ASMEND
	v_add_nc_u32_e32 v36, 1, v34
	v_add_nc_u32_e32 v33, 2, v34
	;; [unrolled: 1-line block ×7, first 2 shown]
	s_waitcnt vmcnt(0)
	v_mad_i64_i32 v[7:8], null, v7, s14, 0
	v_lshlrev_b64 v[7:8], 1, v[7:8]
	v_add_co_u32 v7, vcc_lo, v20, v7
	v_add_co_ci_u32_e64 v8, null, v21, v8, vcc_lo
	global_load_dwordx4 v[1:4], v[7:8], off
	s_waitcnt vmcnt(0)
	v_lshrrev_b32_e32 v47, 16, v1
	v_lshrrev_b32_e32 v46, 16, v2
	;; [unrolled: 1-line block ×3, first 2 shown]
	s_and_saveexec_b32 s17, s0
	s_cbranch_execz .LBB76_42
; %bb.41:                               ;   in Loop: Header=BB76_39 Depth=1
	v_cmp_gt_i32_e32 vcc_lo, s30, v34
	v_and_b32_e32 v48, 0xffff0000, v4
	v_cmp_gt_i32_e64 s1, s30, v33
	v_cndmask_b32_e32 v1, 0, v1, vcc_lo
	v_cmp_gt_i32_e32 vcc_lo, s30, v36
	v_cndmask_b32_e64 v2, 0, v2, s1
	v_cmp_gt_i32_e64 s1, s30, v28
	v_cndmask_b32_e32 v47, 0, v47, vcc_lo
	v_cmp_gt_i32_e32 vcc_lo, s30, v35
	v_cndmask_b32_e64 v46, 0, v46, s1
	v_cndmask_b32_sdwa v4, v19, v4, vcc_lo dst_sel:DWORD dst_unused:UNUSED_PAD src0_sel:DWORD src1_sel:WORD_0
	v_cmp_gt_i32_e32 vcc_lo, s30, v27
	v_cndmask_b32_e32 v48, 0, v48, vcc_lo
	v_cmp_gt_i32_e32 vcc_lo, s30, v26
	v_or_b32_e32 v4, v4, v48
	v_cndmask_b32_e32 v3, 0, v3, vcc_lo
	v_cmp_gt_i32_e32 vcc_lo, s30, v25
	v_cndmask_b32_e32 v45, 0, v45, vcc_lo
.LBB76_42:                              ;   in Loop: Header=BB76_39 Depth=1
	s_or_b32 exec_lo, exec_lo, s17
	v_and_b32_e32 v38, 0xffff, v38
	v_and_b32_e32 v43, 0xffff, v43
	v_lshlrev_b32_e32 v47, 16, v47
	v_lshlrev_b32_e32 v45, 16, v45
	v_and_b32_e32 v44, 0xffff, v44
	v_lshl_or_b32 v38, v37, 16, v38
	v_lshl_or_b32 v37, v41, 16, v43
	v_lshlrev_b32_e32 v43, 16, v46
	v_and_b32_e32 v42, 0xffff, v42
	v_and_or_b32 v1, 0xffff, v1, v47
	v_and_or_b32 v3, 0xffff, v3, v45
	;;#ASMSTART
	v_pk_mul_f16 v1, v38, v1;

	;;#ASMEND
	v_and_or_b32 v2, 0xffff, v2, v43
	v_lshl_or_b32 v41, v40, 16, v44
	v_lshl_or_b32 v42, v39, 16, v42
	;;#ASMSTART
	v_pk_mul_f16 v2, v37, v2;

	;;#ASMEND
	;;#ASMSTART
	v_pk_mul_f16 v3, v41, v3;

	;;#ASMEND
	;; [unrolled: 4-line block ×3, first 2 shown]
	;;#ASMSTART
	v_pk_add_f16 v1, v1, v2;

	;;#ASMEND
	;;#ASMSTART
	v_pk_add_f16 v1, v1, v3;

	;;#ASMEND
	;;#ASMSTART
	v_pk_add_f16 v1, v1, v4;

	;;#ASMEND
	v_and_b32_e32 v2, 0xffff, v1
	v_lshrrev_b32_e32 v1, 16, v1
	;;#ASMSTART
	v_cvt_f32_f16 v39, v2;
	;;#ASMEND
	;;#ASMSTART
	v_cvt_f32_f16 v40, v1;
	;;#ASMEND
	global_load_dwordx4 v[1:4], v[7:8], off offset:512
	s_waitcnt vmcnt(0)
	v_lshrrev_b32_e32 v45, 16, v1
	v_lshrrev_b32_e32 v44, 16, v2
	;; [unrolled: 1-line block ×3, first 2 shown]
	s_and_saveexec_b32 s17, s0
	s_cbranch_execz .LBB76_44
; %bb.43:                               ;   in Loop: Header=BB76_39 Depth=1
	v_cmp_gt_i32_e32 vcc_lo, s30, v34
	v_and_b32_e32 v46, 0xffff0000, v4
	v_cmp_gt_i32_e64 s1, s30, v33
	v_cndmask_b32_e32 v1, 0, v1, vcc_lo
	v_cmp_gt_i32_e32 vcc_lo, s30, v36
	v_cndmask_b32_e64 v2, 0, v2, s1
	v_cmp_gt_i32_e64 s1, s30, v28
	v_cndmask_b32_e32 v45, 0, v45, vcc_lo
	v_cmp_gt_i32_e32 vcc_lo, s30, v35
	v_cndmask_b32_e64 v44, 0, v44, s1
	v_cndmask_b32_sdwa v4, v19, v4, vcc_lo dst_sel:DWORD dst_unused:UNUSED_PAD src0_sel:DWORD src1_sel:WORD_0
	v_cmp_gt_i32_e32 vcc_lo, s30, v27
	v_cndmask_b32_e32 v46, 0, v46, vcc_lo
	v_cmp_gt_i32_e32 vcc_lo, s30, v26
	v_or_b32_e32 v4, v4, v46
	v_cndmask_b32_e32 v3, 0, v3, vcc_lo
	v_cmp_gt_i32_e32 vcc_lo, s30, v25
	v_cndmask_b32_e32 v43, 0, v43, vcc_lo
.LBB76_44:                              ;   in Loop: Header=BB76_39 Depth=1
	s_or_b32 exec_lo, exec_lo, s17
	v_lshlrev_b32_e32 v45, 16, v45
	v_lshlrev_b32_e32 v44, 16, v44
	;; [unrolled: 1-line block ×3, first 2 shown]
	v_and_or_b32 v1, 0xffff, v1, v45
	v_and_or_b32 v2, 0xffff, v2, v44
	;; [unrolled: 1-line block ×3, first 2 shown]
	;;#ASMSTART
	v_pk_mul_f16 v1, v38, v1;

	;;#ASMEND
	;;#ASMSTART
	v_pk_mul_f16 v2, v37, v2;

	;;#ASMEND
	;; [unrolled: 4-line block ×4, first 2 shown]
	;;#ASMSTART
	v_pk_add_f16 v1, v1, v2;

	;;#ASMEND
	;;#ASMSTART
	v_pk_add_f16 v1, v1, v3;

	;;#ASMEND
	;; [unrolled: 4-line block ×3, first 2 shown]
	v_and_b32_e32 v2, 0xffff, v1
	v_lshrrev_b32_e32 v1, 16, v1
	;;#ASMSTART
	v_cvt_f32_f16 v43, v2;
	;;#ASMEND
	;;#ASMSTART
	v_cvt_f32_f16 v44, v1;
	;;#ASMEND
	global_load_dwordx4 v[1:4], v[7:8], off offset:1024
	s_waitcnt vmcnt(0)
	v_lshrrev_b32_e32 v47, 16, v1
	v_lshrrev_b32_e32 v46, 16, v2
	;; [unrolled: 1-line block ×3, first 2 shown]
	s_and_saveexec_b32 s17, s0
	s_cbranch_execz .LBB76_46
; %bb.45:                               ;   in Loop: Header=BB76_39 Depth=1
	v_cmp_gt_i32_e32 vcc_lo, s30, v34
	v_and_b32_e32 v48, 0xffff0000, v4
	v_cmp_gt_i32_e64 s1, s30, v33
	v_cndmask_b32_e32 v1, 0, v1, vcc_lo
	v_cmp_gt_i32_e32 vcc_lo, s30, v36
	v_cndmask_b32_e64 v2, 0, v2, s1
	v_cmp_gt_i32_e64 s1, s30, v28
	v_cndmask_b32_e32 v47, 0, v47, vcc_lo
	v_cmp_gt_i32_e32 vcc_lo, s30, v35
	v_cndmask_b32_e64 v46, 0, v46, s1
	v_cndmask_b32_sdwa v4, v19, v4, vcc_lo dst_sel:DWORD dst_unused:UNUSED_PAD src0_sel:DWORD src1_sel:WORD_0
	v_cmp_gt_i32_e32 vcc_lo, s30, v27
	v_cndmask_b32_e32 v48, 0, v48, vcc_lo
	v_cmp_gt_i32_e32 vcc_lo, s30, v26
	v_or_b32_e32 v4, v4, v48
	v_cndmask_b32_e32 v3, 0, v3, vcc_lo
	v_cmp_gt_i32_e32 vcc_lo, s30, v25
	v_cndmask_b32_e32 v45, 0, v45, vcc_lo
.LBB76_46:                              ;   in Loop: Header=BB76_39 Depth=1
	s_or_b32 exec_lo, exec_lo, s17
	v_lshlrev_b32_e32 v47, 16, v47
	v_lshlrev_b32_e32 v46, 16, v46
	;; [unrolled: 1-line block ×3, first 2 shown]
	v_and_or_b32 v1, 0xffff, v1, v47
	v_and_or_b32 v2, 0xffff, v2, v46
	;; [unrolled: 1-line block ×3, first 2 shown]
	;;#ASMSTART
	v_pk_mul_f16 v1, v38, v1;

	;;#ASMEND
	;;#ASMSTART
	v_pk_mul_f16 v2, v37, v2;

	;;#ASMEND
	;; [unrolled: 4-line block ×4, first 2 shown]
	;;#ASMSTART
	v_pk_add_f16 v1, v1, v2;

	;;#ASMEND
	;;#ASMSTART
	v_pk_add_f16 v1, v1, v3;

	;;#ASMEND
	;; [unrolled: 4-line block ×3, first 2 shown]
	v_and_b32_e32 v2, 0xffff, v1
	v_lshrrev_b32_e32 v1, 16, v1
	;;#ASMSTART
	v_cvt_f32_f16 v45, v2;
	;;#ASMEND
	;;#ASMSTART
	v_cvt_f32_f16 v46, v1;
	;;#ASMEND
	global_load_dwordx4 v[1:4], v[7:8], off offset:1536
	s_waitcnt vmcnt(0)
	v_lshrrev_b32_e32 v49, 16, v1
	v_lshrrev_b32_e32 v48, 16, v2
	;; [unrolled: 1-line block ×3, first 2 shown]
	s_and_saveexec_b32 s17, s0
	s_cbranch_execz .LBB76_48
; %bb.47:                               ;   in Loop: Header=BB76_39 Depth=1
	v_cmp_gt_i32_e32 vcc_lo, s30, v34
	v_and_b32_e32 v50, 0xffff0000, v4
	v_cmp_gt_i32_e64 s1, s30, v33
	v_cndmask_b32_e32 v1, 0, v1, vcc_lo
	v_cmp_gt_i32_e32 vcc_lo, s30, v36
	v_cndmask_b32_e64 v2, 0, v2, s1
	v_cmp_gt_i32_e64 s1, s30, v28
	v_cndmask_b32_e32 v49, 0, v49, vcc_lo
	v_cmp_gt_i32_e32 vcc_lo, s30, v35
	v_cndmask_b32_e64 v48, 0, v48, s1
	v_cndmask_b32_sdwa v4, v19, v4, vcc_lo dst_sel:DWORD dst_unused:UNUSED_PAD src0_sel:DWORD src1_sel:WORD_0
	v_cmp_gt_i32_e32 vcc_lo, s30, v27
	v_cndmask_b32_e32 v50, 0, v50, vcc_lo
	v_cmp_gt_i32_e32 vcc_lo, s30, v26
	v_or_b32_e32 v4, v4, v50
	v_cndmask_b32_e32 v3, 0, v3, vcc_lo
	v_cmp_gt_i32_e32 vcc_lo, s30, v25
	v_cndmask_b32_e32 v47, 0, v47, vcc_lo
.LBB76_48:                              ;   in Loop: Header=BB76_39 Depth=1
	s_or_b32 exec_lo, exec_lo, s17
	v_lshlrev_b32_e32 v49, 16, v49
	v_lshlrev_b32_e32 v48, 16, v48
	;; [unrolled: 1-line block ×3, first 2 shown]
	v_add_co_u32 v7, vcc_lo, 0x800, v7
	v_and_or_b32 v1, 0xffff, v1, v49
	v_and_or_b32 v2, 0xffff, v2, v48
	;; [unrolled: 1-line block ×3, first 2 shown]
	;;#ASMSTART
	v_pk_mul_f16 v1, v38, v1;

	;;#ASMEND
	v_add_co_ci_u32_e64 v8, null, 0, v8, vcc_lo
	;;#ASMSTART
	v_pk_mul_f16 v2, v37, v2;

	;;#ASMEND
	;;#ASMSTART
	v_pk_mul_f16 v3, v41, v3;

	;;#ASMEND
	;; [unrolled: 4-line block ×3, first 2 shown]
	;;#ASMSTART
	v_pk_add_f16 v1, v1, v2;

	;;#ASMEND
	;;#ASMSTART
	v_pk_add_f16 v1, v1, v3;

	;;#ASMEND
	;; [unrolled: 4-line block ×3, first 2 shown]
	v_lshrrev_b32_e32 v2, 16, v1
	v_and_b32_e32 v1, 0xffff, v1
	;;#ASMSTART
	v_cvt_f32_f16 v47, v1;
	;;#ASMEND
	;;#ASMSTART
	v_cvt_f32_f16 v48, v2;
	;;#ASMEND
	global_load_dwordx4 v[1:4], v[7:8], off
	s_waitcnt vmcnt(0)
	v_lshrrev_b32_e32 v51, 16, v1
	v_lshrrev_b32_e32 v50, 16, v2
	;; [unrolled: 1-line block ×3, first 2 shown]
	s_and_saveexec_b32 s17, s0
	s_cbranch_execz .LBB76_50
; %bb.49:                               ;   in Loop: Header=BB76_39 Depth=1
	v_cmp_gt_i32_e32 vcc_lo, s30, v34
	v_and_b32_e32 v52, 0xffff0000, v4
	v_cmp_gt_i32_e64 s1, s30, v33
	v_cndmask_b32_e32 v1, 0, v1, vcc_lo
	v_cmp_gt_i32_e32 vcc_lo, s30, v36
	v_cndmask_b32_e64 v2, 0, v2, s1
	v_cmp_gt_i32_e64 s1, s30, v28
	v_cndmask_b32_e32 v51, 0, v51, vcc_lo
	v_cmp_gt_i32_e32 vcc_lo, s30, v35
	v_cndmask_b32_e64 v50, 0, v50, s1
	v_cndmask_b32_sdwa v4, v19, v4, vcc_lo dst_sel:DWORD dst_unused:UNUSED_PAD src0_sel:DWORD src1_sel:WORD_0
	v_cmp_gt_i32_e32 vcc_lo, s30, v27
	v_cndmask_b32_e32 v52, 0, v52, vcc_lo
	v_cmp_gt_i32_e32 vcc_lo, s30, v26
	v_or_b32_e32 v4, v4, v52
	v_cndmask_b32_e32 v3, 0, v3, vcc_lo
	v_cmp_gt_i32_e32 vcc_lo, s30, v25
	v_cndmask_b32_e32 v49, 0, v49, vcc_lo
.LBB76_50:                              ;   in Loop: Header=BB76_39 Depth=1
	s_or_b32 exec_lo, exec_lo, s17
	v_lshlrev_b32_e32 v51, 16, v51
	v_lshlrev_b32_e32 v50, 16, v50
	;; [unrolled: 1-line block ×3, first 2 shown]
	v_and_or_b32 v1, 0xffff, v1, v51
	v_and_or_b32 v2, 0xffff, v2, v50
	;; [unrolled: 1-line block ×3, first 2 shown]
	;;#ASMSTART
	v_pk_mul_f16 v1, v38, v1;

	;;#ASMEND
	;;#ASMSTART
	v_pk_mul_f16 v2, v37, v2;

	;;#ASMEND
	;; [unrolled: 4-line block ×4, first 2 shown]
	;;#ASMSTART
	v_pk_add_f16 v1, v1, v2;

	;;#ASMEND
	;;#ASMSTART
	v_pk_add_f16 v1, v1, v3;

	;;#ASMEND
	;; [unrolled: 4-line block ×3, first 2 shown]
	v_and_b32_e32 v2, 0xffff, v1
	v_lshrrev_b32_e32 v1, 16, v1
	;;#ASMSTART
	v_cvt_f32_f16 v49, v2;
	;;#ASMEND
	;;#ASMSTART
	v_cvt_f32_f16 v50, v1;
	;;#ASMEND
	global_load_dwordx4 v[1:4], v[7:8], off offset:512
	s_waitcnt vmcnt(0)
	v_lshrrev_b32_e32 v53, 16, v1
	v_lshrrev_b32_e32 v52, 16, v2
	;; [unrolled: 1-line block ×3, first 2 shown]
	s_and_saveexec_b32 s17, s0
	s_cbranch_execz .LBB76_52
; %bb.51:                               ;   in Loop: Header=BB76_39 Depth=1
	v_cmp_gt_i32_e32 vcc_lo, s30, v34
	v_and_b32_e32 v54, 0xffff0000, v4
	v_cmp_gt_i32_e64 s1, s30, v33
	v_cndmask_b32_e32 v1, 0, v1, vcc_lo
	v_cmp_gt_i32_e32 vcc_lo, s30, v36
	v_cndmask_b32_e64 v2, 0, v2, s1
	v_cmp_gt_i32_e64 s1, s30, v28
	v_cndmask_b32_e32 v53, 0, v53, vcc_lo
	v_cmp_gt_i32_e32 vcc_lo, s30, v35
	v_cndmask_b32_e64 v52, 0, v52, s1
	v_cndmask_b32_sdwa v4, v19, v4, vcc_lo dst_sel:DWORD dst_unused:UNUSED_PAD src0_sel:DWORD src1_sel:WORD_0
	v_cmp_gt_i32_e32 vcc_lo, s30, v27
	v_cndmask_b32_e32 v54, 0, v54, vcc_lo
	v_cmp_gt_i32_e32 vcc_lo, s30, v26
	v_or_b32_e32 v4, v4, v54
	v_cndmask_b32_e32 v3, 0, v3, vcc_lo
	v_cmp_gt_i32_e32 vcc_lo, s30, v25
	v_cndmask_b32_e32 v51, 0, v51, vcc_lo
.LBB76_52:                              ;   in Loop: Header=BB76_39 Depth=1
	s_or_b32 exec_lo, exec_lo, s17
	v_lshlrev_b32_e32 v53, 16, v53
	v_lshlrev_b32_e32 v52, 16, v52
	;; [unrolled: 1-line block ×3, first 2 shown]
	v_and_or_b32 v1, 0xffff, v1, v53
	v_and_or_b32 v2, 0xffff, v2, v52
	;; [unrolled: 1-line block ×3, first 2 shown]
	;;#ASMSTART
	v_pk_mul_f16 v1, v38, v1;

	;;#ASMEND
	;;#ASMSTART
	v_pk_mul_f16 v2, v37, v2;

	;;#ASMEND
	;; [unrolled: 4-line block ×4, first 2 shown]
	;;#ASMSTART
	v_pk_add_f16 v1, v1, v2;

	;;#ASMEND
	;;#ASMSTART
	v_pk_add_f16 v1, v1, v3;

	;;#ASMEND
	;;#ASMSTART
	v_pk_add_f16 v1, v1, v4;

	;;#ASMEND
	v_and_b32_e32 v2, 0xffff, v1
	v_lshrrev_b32_e32 v1, 16, v1
	;;#ASMSTART
	v_cvt_f32_f16 v52, v2;
	;;#ASMEND
	;;#ASMSTART
	v_cvt_f32_f16 v53, v1;
	;;#ASMEND
	global_load_dwordx4 v[1:4], v[7:8], off offset:1024
	s_waitcnt vmcnt(0)
	v_lshrrev_b32_e32 v51, 16, v1
	v_lshrrev_b32_e32 v8, 16, v2
	;; [unrolled: 1-line block ×3, first 2 shown]
	s_and_saveexec_b32 s1, s0
	s_cbranch_execz .LBB76_37
; %bb.53:                               ;   in Loop: Header=BB76_39 Depth=1
	v_cmp_gt_i32_e32 vcc_lo, s30, v34
	v_cmp_gt_i32_e64 s0, s30, v33
	v_cndmask_b32_e32 v1, 0, v1, vcc_lo
	v_cmp_gt_i32_e32 vcc_lo, s30, v36
	v_cndmask_b32_e64 v2, 0, v2, s0
	v_cmp_gt_i32_e64 s0, s30, v28
	v_and_b32_e32 v28, 0xffff0000, v4
	v_cndmask_b32_e32 v51, 0, v51, vcc_lo
	v_cmp_gt_i32_e32 vcc_lo, s30, v35
	v_cndmask_b32_e64 v8, 0, v8, s0
	v_cndmask_b32_sdwa v4, v19, v4, vcc_lo dst_sel:DWORD dst_unused:UNUSED_PAD src0_sel:DWORD src1_sel:WORD_0
	v_cmp_gt_i32_e32 vcc_lo, s30, v27
	v_cndmask_b32_e32 v27, 0, v28, vcc_lo
	v_cmp_gt_i32_e32 vcc_lo, s30, v26
	v_or_b32_e32 v4, v4, v27
	v_cndmask_b32_e32 v3, 0, v3, vcc_lo
	v_cmp_gt_i32_e32 vcc_lo, s30, v25
	v_cndmask_b32_e32 v7, 0, v7, vcc_lo
	s_branch .LBB76_37
.LBB76_54:
	s_or_b32 exec_lo, exec_lo, s13
.LBB76_55:
	s_or_b32 exec_lo, exec_lo, s2
	ds_bpermute_b32 v1, v10, v17
	ds_bpermute_b32 v2, v10, v16
	;; [unrolled: 1-line block ×7, first 2 shown]
	v_lshrrev_b32_e32 v8, 1, v9
	v_mul_u32_u24_e32 v10, 0x1c0, v31
	v_and_b32_e32 v21, 0x3c1, v0
	s_mov_b32 s0, exec_lo
	s_waitcnt lgkmcnt(0)
	v_lshl_add_u32 v9, v8, 2, 0x100
	s_barrier
	buffer_gl0_inv
	v_add_f32_e32 v7, v17, v1
	v_add_f32_e32 v6, v16, v2
	;; [unrolled: 1-line block ×7, first 2 shown]
	v_cmpx_eq_u32_e32 64, v21
	s_cbranch_execz .LBB76_57
; %bb.56:
	v_add_nc_u32_e32 v11, v9, v10
	v_add_nc_u32_e32 v12, 0xfffffc80, v11
	;; [unrolled: 1-line block ×8, first 2 shown]
	ds_write_b32 v12, v7
	ds_write_b32 v13, v6
	;; [unrolled: 1-line block ×7, first 2 shown]
.LBB76_57:
	s_or_b32 exec_lo, exec_lo, s0
	v_lshlrev_b32_e32 v8, 2, v8
	s_mov_b32 s1, exec_lo
	v_cmp_eq_u32_e32 vcc_lo, 0, v30
	s_waitcnt lgkmcnt(0)
	s_barrier
	v_add3_u32 v8, 0x100, v10, v8
	buffer_gl0_inv
	v_cmpx_gt_u32_e32 64, v0
	s_cbranch_execz .LBB76_67
; %bb.58:
	s_and_saveexec_b32 s0, vcc_lo
	s_cbranch_execnz .LBB76_82
; %bb.59:
	s_or_b32 exec_lo, exec_lo, s0
	s_and_saveexec_b32 s0, vcc_lo
	s_cbranch_execnz .LBB76_83
.LBB76_60:
	s_or_b32 exec_lo, exec_lo, s0
	s_and_saveexec_b32 s0, vcc_lo
	s_cbranch_execnz .LBB76_84
.LBB76_61:
	s_or_b32 exec_lo, exec_lo, s0
	s_and_saveexec_b32 s0, vcc_lo
	s_cbranch_execnz .LBB76_85
.LBB76_62:
	s_or_b32 exec_lo, exec_lo, s0
	s_and_saveexec_b32 s0, vcc_lo
	s_cbranch_execnz .LBB76_86
.LBB76_63:
	s_or_b32 exec_lo, exec_lo, s0
	s_and_saveexec_b32 s0, vcc_lo
	s_cbranch_execnz .LBB76_87
.LBB76_64:
	s_or_b32 exec_lo, exec_lo, s0
	s_and_saveexec_b32 s0, vcc_lo
	s_cbranch_execz .LBB76_66
.LBB76_65:
	ds_read_b32 v10, v8 offset:384
	s_waitcnt lgkmcnt(0)
	v_add_f32_e32 v1, v1, v10
.LBB76_66:
	s_or_b32 exec_lo, exec_lo, s0
.LBB76_67:
	s_or_b32 exec_lo, exec_lo, s1
	v_and_b32_e32 v10, 0x3e1, v0
	s_mov_b32 s1, exec_lo
	s_barrier
	buffer_gl0_inv
	v_cmpx_eq_u32_e32 32, v10
	s_cbranch_execz .LBB76_69
; %bb.68:
	ds_write2_b32 v9, v7, v6 offset1:16
	ds_write2_b32 v9, v5, v4 offset0:32 offset1:48
	ds_write2_b32 v9, v3, v2 offset0:64 offset1:80
	ds_write_b32 v9, v1 offset:384
.LBB76_69:
	s_or_b32 exec_lo, exec_lo, s1
	s_mov_b32 s1, exec_lo
	s_waitcnt lgkmcnt(0)
	s_barrier
	buffer_gl0_inv
	v_cmpx_gt_u32_e32 32, v0
	s_cbranch_execz .LBB76_79
; %bb.70:
	s_and_saveexec_b32 s0, vcc_lo
	s_cbranch_execnz .LBB76_88
; %bb.71:
	s_or_b32 exec_lo, exec_lo, s0
	s_and_saveexec_b32 s0, vcc_lo
	s_cbranch_execnz .LBB76_89
.LBB76_72:
	s_or_b32 exec_lo, exec_lo, s0
	s_and_saveexec_b32 s0, vcc_lo
	s_cbranch_execnz .LBB76_90
.LBB76_73:
	s_or_b32 exec_lo, exec_lo, s0
	s_and_saveexec_b32 s0, vcc_lo
	s_cbranch_execnz .LBB76_91
.LBB76_74:
	s_or_b32 exec_lo, exec_lo, s0
	s_and_saveexec_b32 s0, vcc_lo
	s_cbranch_execnz .LBB76_92
.LBB76_75:
	s_or_b32 exec_lo, exec_lo, s0
	s_and_saveexec_b32 s0, vcc_lo
	s_cbranch_execnz .LBB76_93
.LBB76_76:
	s_or_b32 exec_lo, exec_lo, s0
	s_and_saveexec_b32 s0, vcc_lo
	s_cbranch_execz .LBB76_78
.LBB76_77:
	ds_read_b32 v0, v8 offset:384
	s_waitcnt lgkmcnt(0)
	v_add_f32_e32 v1, v1, v0
.LBB76_78:
	s_or_b32 exec_lo, exec_lo, s0
.LBB76_79:
	s_or_b32 exec_lo, exec_lo, s1
	s_barrier
	buffer_gl0_inv
	s_mov_b32 s0, exec_lo
	v_cmpx_eq_u32_e32 0, v10
	s_cbranch_execz .LBB76_81
; %bb.80:
	s_mul_i32 s0, s10, s11
	s_mul_i32 s2, s11, s20
	;; [unrolled: 1-line block ×3, first 2 shown]
	v_lshlrev_b32_e32 v0, 1, v29
	s_mulk_i32 s0, 0x70
	;;#ASMSTART
	v_cvt_f16_f32 v7, v7;

	;;#ASMEND
	s_ashr_i32 s1, s0, 31
	s_lshl_b64 s[0:1], s[0:1], 1
	s_add_u32 s4, s6, s0
	s_addc_u32 s5, s7, s1
	s_ashr_i32 s3, s2, 31
	s_lshl_b64 s[0:1], s[2:3], 1
	s_mul_i32 s2, s8, 0x70
	s_add_u32 s4, s4, s0
	s_addc_u32 s5, s5, s1
	s_ashr_i32 s3, s2, 31
	s_lshl_b64 s[0:1], s[2:3], 1
	s_add_u32 s0, s4, s0
	s_addc_u32 s1, s5, s1
	global_store_short v0, v7, s[0:1]
	;;#ASMSTART
	v_cvt_f16_f32 v6, v6;

	;;#ASMEND
	global_store_short v0, v6, s[0:1] offset:32
	;;#ASMSTART
	v_cvt_f16_f32 v5, v5;

	;;#ASMEND
	global_store_short v0, v5, s[0:1] offset:64
	;; [unrolled: 5-line block ×6, first 2 shown]
.LBB76_81:
	s_endpgm
.LBB76_82:
	ds_read_b32 v10, v8
	s_waitcnt lgkmcnt(0)
	v_add_f32_e32 v7, v7, v10
	s_or_b32 exec_lo, exec_lo, s0
	s_and_saveexec_b32 s0, vcc_lo
	s_cbranch_execz .LBB76_60
.LBB76_83:
	ds_read_b32 v10, v8 offset:64
	s_waitcnt lgkmcnt(0)
	v_add_f32_e32 v6, v6, v10
	s_or_b32 exec_lo, exec_lo, s0
	s_and_saveexec_b32 s0, vcc_lo
	s_cbranch_execz .LBB76_61
.LBB76_84:
	ds_read_b32 v10, v8 offset:128
	s_waitcnt lgkmcnt(0)
	v_add_f32_e32 v5, v5, v10
	s_or_b32 exec_lo, exec_lo, s0
	s_and_saveexec_b32 s0, vcc_lo
	s_cbranch_execz .LBB76_62
.LBB76_85:
	ds_read_b32 v10, v8 offset:192
	s_waitcnt lgkmcnt(0)
	v_add_f32_e32 v4, v4, v10
	s_or_b32 exec_lo, exec_lo, s0
	s_and_saveexec_b32 s0, vcc_lo
	s_cbranch_execz .LBB76_63
.LBB76_86:
	ds_read_b32 v10, v8 offset:256
	s_waitcnt lgkmcnt(0)
	v_add_f32_e32 v3, v3, v10
	s_or_b32 exec_lo, exec_lo, s0
	s_and_saveexec_b32 s0, vcc_lo
	s_cbranch_execz .LBB76_64
.LBB76_87:
	ds_read_b32 v10, v8 offset:320
	s_waitcnt lgkmcnt(0)
	v_add_f32_e32 v2, v2, v10
	s_or_b32 exec_lo, exec_lo, s0
	s_and_saveexec_b32 s0, vcc_lo
	s_cbranch_execnz .LBB76_65
	s_branch .LBB76_66
.LBB76_88:
	ds_read_b32 v0, v8
	s_waitcnt lgkmcnt(0)
	v_add_f32_e32 v7, v7, v0
	s_or_b32 exec_lo, exec_lo, s0
	s_and_saveexec_b32 s0, vcc_lo
	s_cbranch_execz .LBB76_72
.LBB76_89:
	ds_read_b32 v0, v8 offset:64
	s_waitcnt lgkmcnt(0)
	v_add_f32_e32 v6, v6, v0
	s_or_b32 exec_lo, exec_lo, s0
	s_and_saveexec_b32 s0, vcc_lo
	s_cbranch_execz .LBB76_73
.LBB76_90:
	ds_read_b32 v0, v8 offset:128
	s_waitcnt lgkmcnt(0)
	v_add_f32_e32 v5, v5, v0
	s_or_b32 exec_lo, exec_lo, s0
	s_and_saveexec_b32 s0, vcc_lo
	s_cbranch_execz .LBB76_74
.LBB76_91:
	ds_read_b32 v0, v8 offset:192
	s_waitcnt lgkmcnt(0)
	v_add_f32_e32 v4, v4, v0
	s_or_b32 exec_lo, exec_lo, s0
	s_and_saveexec_b32 s0, vcc_lo
	s_cbranch_execz .LBB76_75
.LBB76_92:
	ds_read_b32 v0, v8 offset:256
	s_waitcnt lgkmcnt(0)
	v_add_f32_e32 v3, v3, v0
	s_or_b32 exec_lo, exec_lo, s0
	s_and_saveexec_b32 s0, vcc_lo
	s_cbranch_execz .LBB76_76
.LBB76_93:
	ds_read_b32 v0, v8 offset:320
	s_waitcnt lgkmcnt(0)
	v_add_f32_e32 v2, v2, v0
	s_or_b32 exec_lo, exec_lo, s0
	s_and_saveexec_b32 s0, vcc_lo
	s_cbranch_execnz .LBB76_77
	s_branch .LBB76_78
	.section	.rodata,"a",@progbits
	.p2align	6, 0x0
	.amdhsa_kernel _ZN4vllm25paged_attention_v1_kernelIttLi112ELi16ELi128ELNS_18Fp8KVCacheDataTypeE0ELb1EEEvPT_PKS2_PKT0_S8_ifPKiSA_iPKfiiiSC_SC_iiiii
		.amdhsa_group_segment_fixed_size 256
		.amdhsa_private_segment_fixed_size 0
		.amdhsa_kernarg_size 384
		.amdhsa_user_sgpr_count 6
		.amdhsa_user_sgpr_private_segment_buffer 1
		.amdhsa_user_sgpr_dispatch_ptr 0
		.amdhsa_user_sgpr_queue_ptr 0
		.amdhsa_user_sgpr_kernarg_segment_ptr 1
		.amdhsa_user_sgpr_dispatch_id 0
		.amdhsa_user_sgpr_flat_scratch_init 0
		.amdhsa_user_sgpr_private_segment_size 0
		.amdhsa_wavefront_size32 1
		.amdhsa_uses_dynamic_stack 0
		.amdhsa_system_sgpr_private_segment_wavefront_offset 0
		.amdhsa_system_sgpr_workgroup_id_x 1
		.amdhsa_system_sgpr_workgroup_id_y 1
		.amdhsa_system_sgpr_workgroup_id_z 1
		.amdhsa_system_sgpr_workgroup_info 0
		.amdhsa_system_vgpr_workitem_id 0
		.amdhsa_next_free_vgpr 94
		.amdhsa_next_free_sgpr 38
		.amdhsa_reserve_vcc 1
		.amdhsa_reserve_flat_scratch 0
		.amdhsa_float_round_mode_32 0
		.amdhsa_float_round_mode_16_64 0
		.amdhsa_float_denorm_mode_32 3
		.amdhsa_float_denorm_mode_16_64 3
		.amdhsa_dx10_clamp 1
		.amdhsa_ieee_mode 1
		.amdhsa_fp16_overflow 0
		.amdhsa_workgroup_processor_mode 1
		.amdhsa_memory_ordered 1
		.amdhsa_forward_progress 1
		.amdhsa_shared_vgpr_count 0
		.amdhsa_exception_fp_ieee_invalid_op 0
		.amdhsa_exception_fp_denorm_src 0
		.amdhsa_exception_fp_ieee_div_zero 0
		.amdhsa_exception_fp_ieee_overflow 0
		.amdhsa_exception_fp_ieee_underflow 0
		.amdhsa_exception_fp_ieee_inexact 0
		.amdhsa_exception_int_div_zero 0
	.end_amdhsa_kernel
	.section	.text._ZN4vllm25paged_attention_v1_kernelIttLi112ELi16ELi128ELNS_18Fp8KVCacheDataTypeE0ELb1EEEvPT_PKS2_PKT0_S8_ifPKiSA_iPKfiiiSC_SC_iiiii,"axG",@progbits,_ZN4vllm25paged_attention_v1_kernelIttLi112ELi16ELi128ELNS_18Fp8KVCacheDataTypeE0ELb1EEEvPT_PKS2_PKT0_S8_ifPKiSA_iPKfiiiSC_SC_iiiii,comdat
.Lfunc_end76:
	.size	_ZN4vllm25paged_attention_v1_kernelIttLi112ELi16ELi128ELNS_18Fp8KVCacheDataTypeE0ELb1EEEvPT_PKS2_PKT0_S8_ifPKiSA_iPKfiiiSC_SC_iiiii, .Lfunc_end76-_ZN4vllm25paged_attention_v1_kernelIttLi112ELi16ELi128ELNS_18Fp8KVCacheDataTypeE0ELb1EEEvPT_PKS2_PKT0_S8_ifPKiSA_iPKfiiiSC_SC_iiiii
                                        ; -- End function
	.set _ZN4vllm25paged_attention_v1_kernelIttLi112ELi16ELi128ELNS_18Fp8KVCacheDataTypeE0ELb1EEEvPT_PKS2_PKT0_S8_ifPKiSA_iPKfiiiSC_SC_iiiii.num_vgpr, 94
	.set _ZN4vllm25paged_attention_v1_kernelIttLi112ELi16ELi128ELNS_18Fp8KVCacheDataTypeE0ELb1EEEvPT_PKS2_PKT0_S8_ifPKiSA_iPKfiiiSC_SC_iiiii.num_agpr, 0
	.set _ZN4vllm25paged_attention_v1_kernelIttLi112ELi16ELi128ELNS_18Fp8KVCacheDataTypeE0ELb1EEEvPT_PKS2_PKT0_S8_ifPKiSA_iPKfiiiSC_SC_iiiii.numbered_sgpr, 38
	.set _ZN4vllm25paged_attention_v1_kernelIttLi112ELi16ELi128ELNS_18Fp8KVCacheDataTypeE0ELb1EEEvPT_PKS2_PKT0_S8_ifPKiSA_iPKfiiiSC_SC_iiiii.num_named_barrier, 0
	.set _ZN4vllm25paged_attention_v1_kernelIttLi112ELi16ELi128ELNS_18Fp8KVCacheDataTypeE0ELb1EEEvPT_PKS2_PKT0_S8_ifPKiSA_iPKfiiiSC_SC_iiiii.private_seg_size, 0
	.set _ZN4vllm25paged_attention_v1_kernelIttLi112ELi16ELi128ELNS_18Fp8KVCacheDataTypeE0ELb1EEEvPT_PKS2_PKT0_S8_ifPKiSA_iPKfiiiSC_SC_iiiii.uses_vcc, 1
	.set _ZN4vllm25paged_attention_v1_kernelIttLi112ELi16ELi128ELNS_18Fp8KVCacheDataTypeE0ELb1EEEvPT_PKS2_PKT0_S8_ifPKiSA_iPKfiiiSC_SC_iiiii.uses_flat_scratch, 0
	.set _ZN4vllm25paged_attention_v1_kernelIttLi112ELi16ELi128ELNS_18Fp8KVCacheDataTypeE0ELb1EEEvPT_PKS2_PKT0_S8_ifPKiSA_iPKfiiiSC_SC_iiiii.has_dyn_sized_stack, 0
	.set _ZN4vllm25paged_attention_v1_kernelIttLi112ELi16ELi128ELNS_18Fp8KVCacheDataTypeE0ELb1EEEvPT_PKS2_PKT0_S8_ifPKiSA_iPKfiiiSC_SC_iiiii.has_recursion, 0
	.set _ZN4vllm25paged_attention_v1_kernelIttLi112ELi16ELi128ELNS_18Fp8KVCacheDataTypeE0ELb1EEEvPT_PKS2_PKT0_S8_ifPKiSA_iPKfiiiSC_SC_iiiii.has_indirect_call, 0
	.section	.AMDGPU.csdata,"",@progbits
; Kernel info:
; codeLenInByte = 10608
; TotalNumSgprs: 40
; NumVgprs: 94
; ScratchSize: 0
; MemoryBound: 0
; FloatMode: 240
; IeeeMode: 1
; LDSByteSize: 256 bytes/workgroup (compile time only)
; SGPRBlocks: 0
; VGPRBlocks: 11
; NumSGPRsForWavesPerEU: 40
; NumVGPRsForWavesPerEU: 94
; Occupancy: 10
; WaveLimiterHint : 1
; COMPUTE_PGM_RSRC2:SCRATCH_EN: 0
; COMPUTE_PGM_RSRC2:USER_SGPR: 6
; COMPUTE_PGM_RSRC2:TRAP_HANDLER: 0
; COMPUTE_PGM_RSRC2:TGID_X_EN: 1
; COMPUTE_PGM_RSRC2:TGID_Y_EN: 1
; COMPUTE_PGM_RSRC2:TGID_Z_EN: 1
; COMPUTE_PGM_RSRC2:TIDIG_COMP_CNT: 0
	.section	.text._ZN4vllm25paged_attention_v1_kernelIttLi120ELi16ELi128ELNS_18Fp8KVCacheDataTypeE0ELb1EEEvPT_PKS2_PKT0_S8_ifPKiSA_iPKfiiiSC_SC_iiiii,"axG",@progbits,_ZN4vllm25paged_attention_v1_kernelIttLi120ELi16ELi128ELNS_18Fp8KVCacheDataTypeE0ELb1EEEvPT_PKS2_PKT0_S8_ifPKiSA_iPKfiiiSC_SC_iiiii,comdat
	.protected	_ZN4vllm25paged_attention_v1_kernelIttLi120ELi16ELi128ELNS_18Fp8KVCacheDataTypeE0ELb1EEEvPT_PKS2_PKT0_S8_ifPKiSA_iPKfiiiSC_SC_iiiii ; -- Begin function _ZN4vllm25paged_attention_v1_kernelIttLi120ELi16ELi128ELNS_18Fp8KVCacheDataTypeE0ELb1EEEvPT_PKS2_PKT0_S8_ifPKiSA_iPKfiiiSC_SC_iiiii
	.globl	_ZN4vllm25paged_attention_v1_kernelIttLi120ELi16ELi128ELNS_18Fp8KVCacheDataTypeE0ELb1EEEvPT_PKS2_PKT0_S8_ifPKiSA_iPKfiiiSC_SC_iiiii
	.p2align	8
	.type	_ZN4vllm25paged_attention_v1_kernelIttLi120ELi16ELi128ELNS_18Fp8KVCacheDataTypeE0ELb1EEEvPT_PKS2_PKT0_S8_ifPKiSA_iPKfiiiSC_SC_iiiii,@function
_ZN4vllm25paged_attention_v1_kernelIttLi120ELi16ELi128ELNS_18Fp8KVCacheDataTypeE0ELb1EEEvPT_PKS2_PKT0_S8_ifPKiSA_iPKfiiiSC_SC_iiiii: ; @_ZN4vllm25paged_attention_v1_kernelIttLi120ELi16ELi128ELNS_18Fp8KVCacheDataTypeE0ELb1EEEvPT_PKS2_PKT0_S8_ifPKiSA_iPKfiiiSC_SC_iiiii
; %bb.0:
	s_clause 0x2
	s_load_dword s9, s[4:5], 0x80
	s_load_dwordx2 s[0:1], s[4:5], 0x30
	s_load_dwordx2 s[28:29], s[4:5], 0x20
	s_mov_b32 s10, s7
	s_ashr_i32 s11, s7, 31
	s_mov_b32 s33, 0
	s_lshl_b64 s[2:3], s[10:11], 2
	s_waitcnt lgkmcnt(0)
	s_add_u32 s0, s0, s2
	s_addc_u32 s1, s1, s3
	s_abs_i32 s2, s28
	s_abs_i32 s11, s9
	v_cvt_f32_u32_e32 v1, s2
	s_sub_i32 s7, 0, s2
	v_rcp_iflag_f32_e32 v1, v1
	v_mul_f32_e32 v1, 0x4f7ffffe, v1
	v_cvt_u32_f32_e32 v1, v1
	v_readfirstlane_b32 s3, v1
	s_mul_i32 s7, s7, s3
	s_mul_hi_u32 s7, s3, s7
	s_add_i32 s3, s3, s7
	s_xor_b32 s7, s9, s28
	s_mul_hi_u32 s3, s11, s3
	s_ashr_i32 s7, s7, 31
	s_mul_i32 s12, s3, s2
	s_sub_i32 s11, s11, s12
	s_add_i32 s12, s3, 1
	s_sub_i32 s13, s11, s2
	s_cmp_ge_u32 s11, s2
	s_cselect_b32 s3, s12, s3
	s_cselect_b32 s11, s13, s11
	s_add_i32 s12, s3, 1
	s_cmp_ge_u32 s11, s2
	s_cselect_b32 s2, s12, s3
	s_abs_i32 s22, s6
	s_xor_b32 s2, s2, s7
	s_sub_i32 s16, s2, s7
	s_load_dwordx2 s[2:3], s[4:5], 0x40
	s_abs_i32 s11, s16
	v_cvt_f32_u32_e32 v1, s11
	s_sub_i32 s12, 0, s11
	v_rcp_iflag_f32_e32 v1, v1
	v_mul_f32_e32 v1, 0x4f7ffffe, v1
	v_cvt_u32_f32_e32 v1, v1
	v_readfirstlane_b32 s7, v1
	s_mul_i32 s12, s12, s7
	s_mul_hi_u32 s12, s7, s12
	s_add_i32 s7, s7, s12
	s_waitcnt lgkmcnt(0)
	s_cmp_eq_u64 s[2:3], 0
	s_mul_hi_u32 s23, s22, s7
	s_cbranch_scc1 .LBB77_2
; %bb.1:
	s_ashr_i32 s7, s6, 31
	s_lshl_b64 s[12:13], s[6:7], 2
	s_add_u32 s2, s2, s12
	s_addc_u32 s3, s3, s13
	s_load_dword s33, s[2:3], 0x0
.LBB77_2:
	s_load_dword s30, s[0:1], 0x0
	s_load_dwordx4 s[12:15], s[4:5], 0x48
	v_lshrrev_b32_e32 v31, 1, v0
	v_and_b32_e32 v32, 1, v0
	v_lshlrev_b32_e32 v35, 3, v0
	s_ashr_i32 s0, s6, 31
	s_ashr_i32 s1, s16, 31
	s_mul_i32 s20, s6, 0x78
	s_mov_b32 s2, exec_lo
	v_cmpx_gt_u32_e32 30, v0
	s_cbranch_execz .LBB77_4
; %bb.3:
	s_load_dwordx2 s[16:17], s[4:5], 0x8
	s_waitcnt lgkmcnt(0)
	s_mul_i32 s18, s12, s10
	v_lshlrev_b32_e32 v3, 3, v31
	s_ashr_i32 s19, s18, 31
	s_lshl_b64 s[18:19], s[18:19], 1
	v_mad_u32_u24 v3, 0x78, v32, v3
	s_add_u32 s3, s16, s18
	s_addc_u32 s7, s17, s19
	s_ashr_i32 s21, s20, 31
	s_lshl_b64 s[16:17], s[20:21], 1
	s_add_u32 s16, s3, s16
	s_addc_u32 s17, s7, s17
	global_load_dwordx2 v[1:2], v35, s[16:17]
	s_waitcnt vmcnt(0)
	ds_write_b64 v3, v[1:2]
.LBB77_4:
	s_or_b32 exec_lo, exec_lo, s2
	s_load_dwordx4 s[16:19], s[4:5], 0x68
	s_mul_i32 s2, s23, s11
	s_xor_b32 s1, s0, s1
	s_sub_i32 s0, s22, s2
	s_add_i32 s2, s23, 1
	s_sub_i32 s3, s0, s11
	s_cmp_ge_u32 s0, s11
	s_waitcnt lgkmcnt(0)
	s_cselect_b32 s2, s2, s23
	s_cselect_b32 s0, s3, s0
	s_add_i32 s3, s2, 1
	s_cmp_ge_u32 s0, s11
	s_load_dword s0, s[4:5], 0x78
	s_cselect_b32 s2, s3, s2
	s_add_i32 s7, s30, -1
	s_xor_b32 s2, s2, s1
	s_abs_i32 s3, s7
	s_sub_i32 s1, s2, s1
	s_mov_b32 s11, -1
	s_barrier
	s_abs_i32 s12, s19
	s_waitcnt lgkmcnt(0)
	buffer_gl0_inv
	v_cvt_f32_u32_e32 v1, s12
	s_sub_i32 s2, 0, s12
                                        ; implicit-def: $sgpr31
	v_rcp_iflag_f32_e32 v1, v1
	v_mul_f32_e32 v1, 0x4f7ffffe, v1
	v_cvt_u32_f32_e32 v1, v1
	v_readfirstlane_b32 s21, v1
	s_mul_i32 s2, s2, s21
	s_mul_hi_u32 s2, s21, s2
	s_add_i32 s21, s21, s2
	s_cmp_lt_i32 s0, 0
	s_mul_hi_u32 s2, s3, s21
	s_cbranch_scc0 .LBB77_6
; %bb.5:
	s_mul_i32 s11, s16, s28
	s_add_i32 s11, s1, s11
	s_mul_i32 s11, s11, s0
	s_sub_i32 s31, 1, s11
	s_mov_b32 s11, 0
.LBB77_6:
	s_load_dwordx2 s[22:23], s[4:5], 0x28
	s_ashr_i32 s7, s7, 31
	s_andn2_b32 vcc_lo, exec_lo, s11
	s_ashr_i32 s19, s19, 31
	s_cbranch_vccnz .LBB77_8
; %bb.7:
	s_mul_i32 s11, s9, s16
	s_add_i32 s6, s11, s6
	s_mul_i32 s0, s6, s0
	s_add_i32 s31, s0, 1
.LBB77_8:
	s_load_dword s0, s[4:5], 0x38
	s_mul_i32 s6, s2, s12
	s_xor_b32 s15, s7, s19
	s_sub_i32 s3, s3, s6
	s_add_i32 s16, s2, 1
	s_clause 0x2
	s_load_dwordx2 s[6:7], s[4:5], 0x0
	s_load_dwordx2 s[26:27], s[4:5], 0x18
	s_load_dword s11, s[4:5], 0x88
	v_lshrrev_b32_e32 v33, 5, v0
	v_mov_b32_e32 v38, 0xff7fffff
	v_lshrrev_b32_e32 v36, 3, v0
	v_mbcnt_lo_u32_b32 v37, -1, 0
	s_mul_i32 s14, s1, s14
	v_lshlrev_b32_e32 v34, 4, v33
	s_mov_b32 s34, exec_lo
	s_waitcnt lgkmcnt(0)
	s_mul_i32 s24, s0, s10
	s_sub_i32 s0, s3, s12
	s_ashr_i32 s25, s24, 31
	s_cmp_ge_u32 s3, s12
	s_cselect_b32 s2, s16, s2
	s_cselect_b32 s0, s0, s3
	s_add_i32 s3, s2, 1
	s_cmp_ge_u32 s0, s12
	s_cselect_b32 s0, s3, s2
	s_add_i32 s2, s30, 15
	s_ashr_i32 s3, s2, 31
	s_lshr_b32 s3, s3, 28
	s_add_i32 s2, s2, s3
	s_ashr_i32 s16, s2, 4
	s_xor_b32 s2, s0, s15
	v_cmp_le_i32_e64 s0, s16, v33
	s_sub_i32 s28, s2, s15
	v_cmpx_gt_i32_e64 s16, v33
	s_cbranch_execz .LBB77_20
; %bb.9:
	s_load_dwordx2 s[2:3], s[4:5], 0x10
	s_ashr_i32 s15, s14, 31
	s_sub_i32 s4, s28, s17
	s_lshl_b64 s[36:37], s[14:15], 1
	v_bfe_u32 v39, v0, 1, 4
	v_and_b32_e32 v2, 0x7c, v36
	v_and_b32_e32 v3, 8, v35
	v_mul_u32_u24_e32 v40, 0x78, v32
	v_cmp_neq_f32_e64 s1, s33, 0
	v_lshlrev_b32_e32 v4, 2, v39
	v_subrev_nc_u32_e32 v5, s30, v39
	v_lshlrev_b32_e32 v41, 4, v33
	v_mov_b32_e32 v42, 0xff7fffff
	v_xor_b32_e32 v43, 1, v37
	v_lshl_or_b32 v4, v33, 6, v4
	v_add_nc_u32_e32 v44, 1, v5
	v_mov_b32_e32 v38, 0xff7fffff
	v_mov_b32_e32 v49, v33
	v_cmp_eq_u32_e32 vcc_lo, 0, v32
	v_add_nc_u32_e32 v45, 0x110, v4
	s_waitcnt lgkmcnt(0)
	s_add_u32 s15, s2, s36
	s_addc_u32 s35, s3, s37
	s_abs_i32 s5, s18
	v_cvt_f32_u32_e32 v1, s5
	s_sub_i32 s2, 0, s5
	v_rcp_iflag_f32_e32 v1, v1
	v_mul_f32_e32 v1, 0x4f7ffffe, v1
	v_cvt_u32_f32_e32 v6, v1
	v_lshlrev_b32_e32 v1, 4, v39
	v_mul_lo_u32 v4, s2, v6
	s_lshl_b64 s[2:3], s[24:25], 2
	v_add_co_u32 v5, s15, s15, v1
	s_add_u32 s2, s22, s2
	v_add_co_ci_u32_e64 v7, null, s35, 0, s15
	s_addc_u32 s3, s23, s3
	v_mul_hi_u32 v4, v6, v4
	v_add_co_u32 v1, s2, s2, v2
	v_add_co_ci_u32_e64 v2, null, s3, 0, s2
	v_add_co_u32 v46, s2, v5, v3
	v_add_co_ci_u32_e64 v47, null, 0, v7, s2
	v_add_nc_u32_e32 v48, v6, v4
	s_mov_b32 s15, 0
	s_mov_b32 s35, s13
	s_branch .LBB77_12
.LBB77_10:                              ;   in Loop: Header=BB77_12 Depth=1
	s_or_b32 exec_lo, exec_lo, s36
.LBB77_11:                              ;   in Loop: Header=BB77_12 Depth=1
	s_or_b32 exec_lo, exec_lo, s3
	v_add_nc_u32_e32 v49, 4, v49
	v_add_co_u32 v1, s3, v1, 16
	v_add_co_ci_u32_e64 v2, null, 0, v2, s3
	v_cmp_le_i32_e64 s2, s16, v49
	v_add_nc_u32_e32 v41, 64, v41
	v_add_nc_u32_e32 v45, 0x100, v45
	s_or_b32 s15, s2, s15
	s_andn2_b32 exec_lo, exec_lo, s15
	s_cbranch_execz .LBB77_19
.LBB77_12:                              ; =>This Inner Loop Header: Depth=1
	v_mul_hi_u32 v3, v41, s21
	s_waitcnt lgkmcnt(0)
	v_mul_lo_u32 v4, v3, s12
	v_add_nc_u32_e32 v5, 1, v3
	v_sub_nc_u32_e32 v4, v41, v4
	v_subrev_nc_u32_e32 v6, s12, v4
	v_cmp_le_u32_e64 s2, s12, v4
	v_cndmask_b32_e64 v3, v3, v5, s2
	v_cndmask_b32_e64 v4, v4, v6, s2
	v_add_nc_u32_e32 v5, 1, v3
	v_cmp_le_u32_e64 s2, s12, v4
	v_cndmask_b32_e64 v3, v3, v5, s2
	v_xor_b32_e32 v3, s19, v3
	v_subrev_nc_u32_e32 v3, s19, v3
	v_add_nc_u32_e32 v4, s31, v3
	v_cmp_ge_i32_e64 s3, s4, v3
	v_sub_nc_u32_e32 v5, 0, v4
	v_max_i32_e32 v5, v4, v5
	v_ashrrev_i32_e32 v4, 31, v4
	v_mul_hi_u32 v6, v5, v48
	v_mul_lo_u32 v6, v6, s5
	v_sub_nc_u32_e32 v5, v5, v6
	v_subrev_nc_u32_e32 v6, s5, v5
	v_cmp_le_u32_e64 s2, s5, v5
	v_cndmask_b32_e64 v5, v5, v6, s2
	v_subrev_nc_u32_e32 v6, s5, v5
	v_cmp_le_u32_e64 s2, s5, v5
	v_cndmask_b32_e64 v5, v5, v6, s2
	v_xor_b32_e32 v5, v5, v4
	v_sub_nc_u32_e32 v4, v5, v4
	v_cmp_ne_u32_e64 s2, 0, v4
	s_and_b32 s2, s2, s3
	s_and_saveexec_b32 s3, s2
	s_xor_b32 s2, exec_lo, s3
	s_cbranch_execz .LBB77_16
; %bb.13:                               ;   in Loop: Header=BB77_12 Depth=1
	s_and_saveexec_b32 s3, vcc_lo
; %bb.14:                               ;   in Loop: Header=BB77_12 Depth=1
	ds_write_b32 v45, v42
; %bb.15:                               ;   in Loop: Header=BB77_12 Depth=1
	s_or_b32 exec_lo, exec_lo, s3
.LBB77_16:                              ;   in Loop: Header=BB77_12 Depth=1
	s_andn2_saveexec_b32 s3, s2
	s_cbranch_execz .LBB77_11
; %bb.17:                               ;   in Loop: Header=BB77_12 Depth=1
	global_load_dword v3, v[1:2], off
	s_waitcnt vmcnt(0)
	v_mad_i64_i32 v[3:4], null, v3, s35, 0
	v_lshlrev_b64 v[3:4], 1, v[3:4]
	v_add_co_u32 v3, s2, v46, v3
	v_add_co_ci_u32_e64 v4, null, v47, v4, s2
	s_clause 0x7
	global_load_dwordx2 v[29:30], v[3:4], off
	global_load_dwordx2 v[58:59], v[3:4], off offset:256
	global_load_dwordx2 v[27:28], v[3:4], off offset:512
	;; [unrolled: 1-line block ×7, first 2 shown]
	v_add_co_u32 v3, s2, 0x800, v3
	v_add_co_ci_u32_e64 v4, null, 0, v4, s2
	v_cmp_gt_i32_e64 s2, 32, v43
	s_clause 0x1
	global_load_dwordx2 v[15:16], v[3:4], off
	global_load_dwordx2 v[11:12], v[3:4], off offset:256
	ds_read_b64 v[5:6], v40
	s_waitcnt lgkmcnt(0)
	v_and_b32_e32 v50, 0xffff, v5
	v_lshrrev_b32_e32 v51, 16, v5
	v_lshrrev_b32_e32 v52, 16, v6
	v_and_b32_e32 v53, 0xffff, v6
	s_clause 0x4
	global_load_dwordx2 v[13:14], v[3:4], off offset:512
	global_load_dwordx2 v[9:10], v[3:4], off offset:768
	;; [unrolled: 1-line block ×5, first 2 shown]
	;;#ASMSTART
	v_cvt_f32_f16 v55, v50;
	;;#ASMEND
	;;#ASMSTART
	v_cvt_f32_f16 v54, v51;
	;;#ASMEND
	s_waitcnt vmcnt(14)
	v_and_b32_e32 v50, 0xffff, v29
	v_lshrrev_b32_e32 v29, 16, v29
	v_lshrrev_b32_e32 v60, 16, v30
	v_and_b32_e32 v30, 0xffff, v30
	;;#ASMSTART
	v_cvt_f32_f16 v57, v50;
	;;#ASMEND
	;;#ASMSTART
	v_cvt_f32_f16 v56, v29;
	;;#ASMEND
	;;#ASMSTART
	v_cvt_f32_f16 v51, v53;
	;;#ASMEND
	;;#ASMSTART
	v_cvt_f32_f16 v50, v52;
	;;#ASMEND
	;;#ASMSTART
	v_cvt_f32_f16 v53, v30;
	;;#ASMEND
	;;#ASMSTART
	v_cvt_f32_f16 v52, v60;
	;;#ASMEND
	ds_read_b64 v[29:30], v40 offset:8
	s_waitcnt vmcnt(13)
	v_lshrrev_b32_e32 v60, 16, v58
	v_and_b32_e32 v58, 0xffff, v58
	v_lshrrev_b32_e32 v63, 16, v59
	v_and_b32_e32 v64, 0xffff, v59
	s_waitcnt vmcnt(12)
	v_lshrrev_b32_e32 v67, 16, v27
	v_lshrrev_b32_e32 v70, 16, v28
	v_and_b32_e32 v69, 0xffff, v28
	s_waitcnt vmcnt(11)
	v_lshrrev_b32_e32 v73, 16, v25
	v_and_b32_e32 v25, 0xffff, v25
	v_lshrrev_b32_e32 v77, 16, v26
	v_and_b32_e32 v26, 0xffff, v26
	s_waitcnt vmcnt(10)
	v_lshrrev_b32_e32 v79, 16, v23
	v_and_b32_e32 v23, 0xffff, v23
	v_lshrrev_b32_e32 v83, 16, v24
	v_and_b32_e32 v24, 0xffff, v24
	s_waitcnt vmcnt(9)
	v_lshrrev_b32_e32 v86, 16, v21
	v_lshrrev_b32_e32 v90, 16, v22
	v_and_b32_e32 v22, 0xffff, v22
	v_and_b32_e32 v21, 0xffff, v21
	s_waitcnt lgkmcnt(0)
	v_and_b32_e32 v61, 0xffff, v29
	v_lshrrev_b32_e32 v29, 16, v29
	v_and_b32_e32 v65, 0xffff, v30
	v_lshrrev_b32_e32 v66, 16, v30
	;;#ASMSTART
	v_cvt_f32_f16 v59, v61;
	;;#ASMEND
	;;#ASMSTART
	v_cvt_f32_f16 v30, v29;
	;;#ASMEND
	;; [unrolled: 3-line block ×8, first 2 shown]
	ds_read_b64 v[64:65], v40 offset:16
	v_and_b32_e32 v66, 0xffff, v27
	s_waitcnt vmcnt(8)
	v_lshrrev_b32_e32 v91, 16, v19
	v_mul_f32_e32 v58, v58, v61
	v_mul_f32_e32 v29, v29, v63
	s_waitcnt vmcnt(7)
	v_lshrrev_b32_e32 v63, 16, v18
	v_and_b32_e32 v18, 0xffff, v18
	s_waitcnt vmcnt(1)
	v_lshrrev_b32_e32 v92, 16, v5
	v_fmac_f32_e32 v58, v51, v53
	v_fmac_f32_e32 v29, v50, v52
	v_and_b32_e32 v5, 0xffff, v5
	s_waitcnt lgkmcnt(0)
	v_and_b32_e32 v27, 0xffff, v64
	v_lshrrev_b32_e32 v68, 16, v64
	v_and_b32_e32 v71, 0xffff, v65
	v_lshrrev_b32_e32 v65, 16, v65
	;;#ASMSTART
	v_cvt_f32_f16 v64, v27;
	;;#ASMEND
	;;#ASMSTART
	v_cvt_f32_f16 v27, v68;
	;;#ASMEND
	;; [unrolled: 3-line block ×8, first 2 shown]
	ds_read_b64 v[70:71], v40 offset:24
	v_fmac_f32_e32 v58, v68, v69
	v_lshrrev_b32_e32 v69, 16, v11
	v_fmac_f32_e32 v29, v65, v67
	v_and_b32_e32 v11, 0xffff, v11
	s_waitcnt lgkmcnt(0)
	v_and_b32_e32 v72, 0xffff, v70
	v_lshrrev_b32_e32 v74, 16, v70
	v_and_b32_e32 v75, 0xffff, v71
	v_lshrrev_b32_e32 v76, 16, v71
	;;#ASMSTART
	v_cvt_f32_f16 v70, v72;
	;;#ASMEND
	;;#ASMSTART
	v_cvt_f32_f16 v71, v74;
	;;#ASMEND
	;; [unrolled: 3-line block ×8, first 2 shown]
	ds_read_b64 v[25:26], v40 offset:32
	v_fmac_f32_e32 v58, v74, v76
	v_and_b32_e32 v74, 0xffff, v13
	v_and_b32_e32 v76, 0xffff, v14
	v_fmac_f32_e32 v29, v75, v77
	s_waitcnt lgkmcnt(0)
	v_and_b32_e32 v78, 0xffff, v25
	v_lshrrev_b32_e32 v80, 16, v25
	v_and_b32_e32 v81, 0xffff, v26
	v_lshrrev_b32_e32 v82, 16, v26
	;;#ASMSTART
	v_cvt_f32_f16 v25, v78;
	;;#ASMEND
	;;#ASMSTART
	v_cvt_f32_f16 v26, v80;
	;;#ASMEND
	;; [unrolled: 3-line block ×8, first 2 shown]
	ds_read_b64 v[23:24], v40 offset:40
	v_fmac_f32_e32 v58, v80, v82
	v_fmac_f32_e32 v29, v81, v83
	v_lshrrev_b32_e32 v83, 16, v7
	v_and_b32_e32 v7, 0xffff, v7
	s_waitcnt lgkmcnt(0)
	v_and_b32_e32 v84, 0xffff, v23
	v_lshrrev_b32_e32 v23, 16, v23
	v_lshrrev_b32_e32 v88, 16, v24
	v_and_b32_e32 v87, 0xffff, v24
	;;#ASMSTART
	v_cvt_f32_f16 v24, v84;
	;;#ASMEND
	;;#ASMSTART
	v_cvt_f32_f16 v84, v23;
	;;#ASMEND
	;; [unrolled: 3-line block ×8, first 2 shown]
	ds_read_b64 v[22:23], v40 offset:48
	v_mul_f32_e32 v21, v59, v62
	v_and_b32_e32 v59, 0xffff, v19
	v_mul_f32_e32 v19, v30, v60
	v_lshrrev_b32_e32 v60, 16, v20
	v_and_b32_e32 v62, 0xffff, v20
	v_fmac_f32_e32 v21, v55, v57
	v_fmac_f32_e32 v58, v87, v89
	;; [unrolled: 1-line block ×8, first 2 shown]
	v_lshrrev_b32_e32 v73, 16, v13
	s_waitcnt lgkmcnt(0)
	v_and_b32_e32 v20, 0xffff, v22
	v_lshrrev_b32_e32 v22, 16, v22
	v_lshrrev_b32_e32 v57, 16, v23
	v_and_b32_e32 v23, 0xffff, v23
	;;#ASMSTART
	v_cvt_f32_f16 v20, v20;
	;;#ASMEND
	;;#ASMSTART
	v_cvt_f32_f16 v30, v22;
	;;#ASMEND
	;;#ASMSTART
	v_cvt_f32_f16 v54, v59;
	;;#ASMEND
	;;#ASMSTART
	v_cvt_f32_f16 v55, v91;
	;;#ASMEND
	;;#ASMSTART
	v_cvt_f32_f16 v56, v23;
	;;#ASMEND
	;;#ASMSTART
	v_cvt_f32_f16 v57, v57;
	;;#ASMEND
	;;#ASMSTART
	v_cvt_f32_f16 v59, v62;
	;;#ASMEND
	;;#ASMSTART
	v_cvt_f32_f16 v60, v60;
	;;#ASMEND
	ds_read_b64 v[22:23], v40 offset:56
	v_lshrrev_b32_e32 v62, 16, v17
	v_and_b32_e32 v17, 0xffff, v17
	v_lshrrev_b32_e32 v91, 16, v16
	v_and_b32_e32 v16, 0xffff, v16
	v_fmac_f32_e32 v21, v25, v78
	v_lshrrev_b32_e32 v78, 16, v9
	v_fmac_f32_e32 v19, v26, v79
	v_and_b32_e32 v9, 0xffff, v9
	v_fmac_f32_e32 v58, v56, v59
	v_fmac_f32_e32 v21, v24, v85
	;; [unrolled: 1-line block ×6, first 2 shown]
	v_lshrrev_b32_e32 v30, 16, v6
	v_and_b32_e32 v6, 0xffff, v6
	s_waitcnt lgkmcnt(0)
	v_and_b32_e32 v51, 0xffff, v22
	v_lshrrev_b32_e32 v53, 16, v22
	v_lshrrev_b32_e32 v61, 16, v23
	v_and_b32_e32 v52, 0xffff, v23
	;;#ASMSTART
	v_cvt_f32_f16 v22, v51;
	;;#ASMEND
	;;#ASMSTART
	v_cvt_f32_f16 v23, v53;
	;;#ASMEND
	;; [unrolled: 3-line block ×8, first 2 shown]
	ds_read_b64 v[17:18], v40 offset:64
	v_lshrrev_b32_e32 v63, 16, v15
	v_and_b32_e32 v15, 0xffff, v15
	v_fmac_f32_e32 v21, v22, v50
	v_fmac_f32_e32 v19, v23, v51
	;; [unrolled: 1-line block ×4, first 2 shown]
	s_waitcnt vmcnt(0)
	v_lshrrev_b32_e32 v23, 16, v3
	s_waitcnt lgkmcnt(0)
	v_and_b32_e32 v27, 0xffff, v17
	v_lshrrev_b32_e32 v28, 16, v17
	v_lshrrev_b32_e32 v64, 16, v18
	v_and_b32_e32 v66, 0xffff, v18
	;;#ASMSTART
	v_cvt_f32_f16 v17, v27;
	;;#ASMEND
	;;#ASMSTART
	v_cvt_f32_f16 v18, v28;
	;;#ASMEND
	;;#ASMSTART
	v_cvt_f32_f16 v27, v15;
	;;#ASMEND
	;;#ASMSTART
	v_cvt_f32_f16 v28, v63;
	;;#ASMEND
	;;#ASMSTART
	v_cvt_f32_f16 v63, v66;
	;;#ASMEND
	;;#ASMSTART
	v_cvt_f32_f16 v64, v64;
	;;#ASMEND
	;;#ASMSTART
	v_cvt_f32_f16 v66, v16;
	;;#ASMEND
	;;#ASMSTART
	v_cvt_f32_f16 v68, v91;
	;;#ASMEND
	ds_read_b64 v[15:16], v40 offset:72
	v_lshrrev_b32_e32 v91, 16, v12
	v_and_b32_e32 v12, 0xffff, v12
	v_fmac_f32_e32 v21, v17, v27
	v_fmac_f32_e32 v19, v18, v28
	;; [unrolled: 1-line block ×4, first 2 shown]
	s_waitcnt lgkmcnt(0)
	v_and_b32_e32 v65, 0xffff, v15
	v_lshrrev_b32_e32 v67, 16, v15
	v_lshrrev_b32_e32 v70, 16, v16
	v_and_b32_e32 v71, 0xffff, v16
	;;#ASMSTART
	v_cvt_f32_f16 v15, v65;
	;;#ASMEND
	;;#ASMSTART
	v_cvt_f32_f16 v16, v67;
	;;#ASMEND
	;; [unrolled: 3-line block ×8, first 2 shown]
	ds_read_b64 v[11:12], v40 offset:80
	v_lshrrev_b32_e32 v91, 16, v14
	v_fmac_f32_e32 v21, v15, v65
	v_fmac_f32_e32 v19, v16, v67
	;; [unrolled: 1-line block ×4, first 2 shown]
	s_waitcnt lgkmcnt(0)
	v_and_b32_e32 v13, 0xffff, v11
	v_lshrrev_b32_e32 v11, 16, v11
	v_lshrrev_b32_e32 v75, 16, v12
	v_and_b32_e32 v12, 0xffff, v12
	;;#ASMSTART
	v_cvt_f32_f16 v13, v13;
	;;#ASMEND
	;;#ASMSTART
	v_cvt_f32_f16 v14, v11;
	;;#ASMEND
	;; [unrolled: 3-line block ×8, first 2 shown]
	ds_read_b64 v[11:12], v40 offset:88
	v_lshrrev_b32_e32 v91, 16, v10
	v_and_b32_e32 v10, 0xffff, v10
	v_fmac_f32_e32 v21, v13, v25
	v_fmac_f32_e32 v19, v14, v73
	;; [unrolled: 1-line block ×4, first 2 shown]
	v_and_b32_e32 v13, 0xffff, v3
	s_waitcnt lgkmcnt(0)
	v_and_b32_e32 v26, 0xffff, v11
	v_lshrrev_b32_e32 v79, 16, v11
	v_lshrrev_b32_e32 v80, 16, v12
	v_and_b32_e32 v81, 0xffff, v12
	;;#ASMSTART
	v_cvt_f32_f16 v11, v26;
	;;#ASMEND
	;;#ASMSTART
	v_cvt_f32_f16 v12, v79;
	;;#ASMEND
	;; [unrolled: 3-line block ×8, first 2 shown]
	ds_read_b64 v[9:10], v40 offset:96
	v_lshrrev_b32_e32 v91, 16, v8
	v_and_b32_e32 v8, 0xffff, v8
	v_fmac_f32_e32 v21, v11, v26
	v_fmac_f32_e32 v19, v12, v78
	;; [unrolled: 1-line block ×4, first 2 shown]
	v_lshrrev_b32_e32 v11, 16, v4
	s_waitcnt lgkmcnt(0)
	v_and_b32_e32 v24, 0xffff, v9
	v_lshrrev_b32_e32 v84, 16, v9
	v_lshrrev_b32_e32 v85, 16, v10
	v_and_b32_e32 v86, 0xffff, v10
	;;#ASMSTART
	v_cvt_f32_f16 v9, v24;
	;;#ASMEND
	;;#ASMSTART
	v_cvt_f32_f16 v10, v84;
	;;#ASMEND
	;; [unrolled: 3-line block ×8, first 2 shown]
	ds_read_b64 v[7:8], v40 offset:104
	v_fmac_f32_e32 v21, v9, v24
	v_fmac_f32_e32 v19, v10, v83
	;; [unrolled: 1-line block ×3, first 2 shown]
	v_and_b32_e32 v9, 0xffff, v4
	v_fmac_f32_e32 v29, v85, v87
	s_waitcnt lgkmcnt(0)
	v_and_b32_e32 v15, 0xffff, v7
	v_lshrrev_b32_e32 v16, 16, v7
	v_lshrrev_b32_e32 v18, 16, v8
	v_and_b32_e32 v17, 0xffff, v8
	;;#ASMSTART
	v_cvt_f32_f16 v7, v15;
	;;#ASMEND
	;;#ASMSTART
	v_cvt_f32_f16 v8, v16;
	;;#ASMEND
	;; [unrolled: 3-line block ×8, first 2 shown]
	ds_read_b64 v[5:6], v40 offset:112
	v_fmac_f32_e32 v21, v7, v15
	v_fmac_f32_e32 v19, v8, v16
	;; [unrolled: 1-line block ×4, first 2 shown]
	s_waitcnt lgkmcnt(0)
	v_and_b32_e32 v3, 0xffff, v5
	v_lshrrev_b32_e32 v4, 16, v5
	v_lshrrev_b32_e32 v7, 16, v6
	v_and_b32_e32 v8, 0xffff, v6
	;;#ASMSTART
	v_cvt_f32_f16 v3, v3;
	;;#ASMEND
	;;#ASMSTART
	v_cvt_f32_f16 v4, v4;
	;;#ASMEND
	;; [unrolled: 3-line block ×4, first 2 shown]
	v_fmac_f32_e32 v21, v3, v5
	v_fmac_f32_e32 v19, v4, v6
	;;#ASMSTART
	v_cvt_f32_f16 v3, v8;
	;;#ASMEND
	;;#ASMSTART
	v_cvt_f32_f16 v4, v7;
	;;#ASMEND
	;; [unrolled: 3-line block ×3, first 2 shown]
	v_fmac_f32_e32 v58, v3, v5
	v_add_f32_e32 v3, v21, v19
	;;#ASMSTART
	v_cvt_f32_f16 v5, v11;
	;;#ASMEND
	v_fmac_f32_e32 v29, v4, v5
	v_cndmask_b32_e64 v4, v37, v43, s2
	v_add_f32_e32 v3, v3, v58
	v_lshlrev_b32_e32 v4, 2, v4
	v_add_f32_e32 v3, v29, v3
	ds_bpermute_b32 v4, v4, v3
	s_and_saveexec_b32 s36, vcc_lo
	s_cbranch_execz .LBB77_10
; %bb.18:                               ;   in Loop: Header=BB77_12 Depth=1
	v_add_nc_u32_e32 v5, v44, v41
	s_waitcnt lgkmcnt(0)
	v_add_f32_e32 v3, v3, v4
	v_cvt_f32_i32_e32 v5, v5
	v_mul_f32_e32 v5, s33, v5
	v_cndmask_b32_e64 v4, 0, v5, s1
	v_max_f32_e32 v5, v38, v38
	v_fmac_f32_e32 v4, s29, v3
	v_add_nc_u32_e32 v3, v39, v41
	v_max_f32_e32 v5, v5, v4
	v_cmp_gt_i32_e64 s2, s30, v3
	v_cndmask_b32_e64 v3, 0, v4, s2
	v_cndmask_b32_e64 v38, v38, v5, s2
	ds_write_b32 v45, v3
	s_branch .LBB77_10
.LBB77_19:
	s_or_b32 exec_lo, exec_lo, s15
.LBB77_20:
	s_or_b32 exec_lo, exec_lo, s34
	v_xor_b32_e32 v1, 16, v37
	v_xor_b32_e32 v2, 8, v37
	s_waitcnt lgkmcnt(0)
	v_max_f32_e32 v4, v38, v38
	v_cmp_gt_i32_e32 vcc_lo, 32, v1
	v_cndmask_b32_e32 v1, v37, v1, vcc_lo
	v_cmp_gt_i32_e32 vcc_lo, 32, v2
	v_lshlrev_b32_e32 v3, 2, v1
	v_cndmask_b32_e32 v2, v37, v2, vcc_lo
	ds_bpermute_b32 v1, v3, v38
	v_lshlrev_b32_e32 v5, 2, v2
	s_waitcnt lgkmcnt(0)
	v_max_f32_e32 v1, v1, v1
	v_max_f32_e32 v1, v4, v1
	v_xor_b32_e32 v4, 4, v37
	ds_bpermute_b32 v2, v5, v1
	v_cmp_gt_i32_e32 vcc_lo, 32, v4
	v_cndmask_b32_e32 v4, v37, v4, vcc_lo
	v_lshlrev_b32_e32 v6, 2, v4
	v_xor_b32_e32 v4, 2, v37
	v_cmp_gt_i32_e32 vcc_lo, 32, v4
	s_waitcnt lgkmcnt(0)
	v_max_f32_e32 v2, v2, v2
	v_cndmask_b32_e32 v7, v37, v4, vcc_lo
	v_max_f32_e32 v1, v1, v2
	ds_bpermute_b32 v2, v6, v1
	s_waitcnt lgkmcnt(0)
	v_max_f32_e32 v2, v2, v2
	v_max_f32_e32 v4, v1, v2
	v_lshlrev_b32_e32 v2, 2, v7
	v_and_b32_e32 v1, 31, v0
	v_lshlrev_b32_e32 v7, 2, v33
	ds_bpermute_b32 v8, v2, v4
	v_cmp_eq_u32_e32 vcc_lo, 0, v1
	s_and_saveexec_b32 s1, vcc_lo
	s_cbranch_execz .LBB77_22
; %bb.21:
	s_waitcnt lgkmcnt(0)
	v_max_f32_e32 v8, v8, v8
	v_max_f32_e32 v4, v4, v4
	;; [unrolled: 1-line block ×3, first 2 shown]
	ds_write_b32 v7, v4 offset:240
.LBB77_22:
	s_or_b32 exec_lo, exec_lo, s1
	v_cmp_gt_u32_e64 s1, 4, v1
	v_mov_b32_e32 v4, 0xff7fffff
	s_waitcnt lgkmcnt(0)
	v_lshlrev_b32_e32 v8, 2, v1
	s_barrier
	buffer_gl0_inv
	s_and_saveexec_b32 s2, s1
; %bb.23:
	ds_read_b32 v4, v8 offset:240
; %bb.24:
	s_or_b32 exec_lo, exec_lo, s2
	s_waitcnt lgkmcnt(0)
	ds_bpermute_b32 v9, v2, v4
	v_xor_b32_e32 v10, 1, v37
	v_max_f32_e32 v4, v4, v4
	v_cmp_gt_i32_e64 s2, 32, v10
	v_cndmask_b32_e64 v10, v37, v10, s2
	s_lshl_b32 s2, s16, 4
	s_min_i32 s4, s2, s30
	v_lshlrev_b32_e32 v10, 2, v10
	v_cmp_gt_i32_e64 s2, s4, v0
	s_waitcnt lgkmcnt(0)
	v_max_f32_e32 v9, v9, v9
	v_max_f32_e32 v4, v4, v9
	ds_bpermute_b32 v9, v10, v4
	s_waitcnt lgkmcnt(0)
	v_max_f32_e32 v9, v9, v9
	v_max_f32_e32 v4, v4, v9
	v_mov_b32_e32 v9, 0
	ds_bpermute_b32 v11, v9, v4
	v_lshl_add_u32 v4, v0, 2, 0x110
	s_and_saveexec_b32 s5, s2
	s_cbranch_execz .LBB77_28
; %bb.25:
	v_lshl_add_u32 v12, v0, 2, 0x110
	v_mov_b32_e32 v9, 0
	v_mov_b32_e32 v13, v0
	s_mov_b32 s15, 0
	.p2align	6
.LBB77_26:                              ; =>This Inner Loop Header: Depth=1
	ds_read_b32 v14, v12
	v_add_nc_u32_e32 v13, 0x80, v13
	v_cmp_le_i32_e64 s3, s4, v13
	s_or_b32 s15, s3, s15
	s_waitcnt lgkmcnt(0)
	v_sub_f32_e32 v14, v14, v11
	v_mul_f32_e32 v14, 0x3fb8aa3b, v14
	v_exp_f32_e32 v14, v14
	ds_write_b32 v12, v14
	v_add_f32_e32 v9, v9, v14
	v_add_nc_u32_e32 v12, 0x200, v12
	s_andn2_b32 exec_lo, exec_lo, s15
	s_cbranch_execnz .LBB77_26
; %bb.27:
	s_or_b32 exec_lo, exec_lo, s15
.LBB77_28:
	s_or_b32 exec_lo, exec_lo, s5
	ds_bpermute_b32 v3, v3, v9
	s_waitcnt lgkmcnt(0)
	v_add_f32_e32 v3, v9, v3
	ds_bpermute_b32 v5, v5, v3
	s_waitcnt lgkmcnt(0)
	v_add_f32_e32 v3, v3, v5
	;; [unrolled: 3-line block ×5, first 2 shown]
	s_and_saveexec_b32 s3, vcc_lo
; %bb.29:
	ds_write_b32 v7, v3 offset:256
; %bb.30:
	s_or_b32 exec_lo, exec_lo, s3
	s_waitcnt lgkmcnt(0)
	s_barrier
	buffer_gl0_inv
	s_and_saveexec_b32 s3, s1
; %bb.31:
	ds_read_b32 v3, v8 offset:256
; %bb.32:
	s_or_b32 exec_lo, exec_lo, s3
	s_waitcnt lgkmcnt(0)
	ds_bpermute_b32 v2, v2, v3
	s_waitcnt lgkmcnt(0)
	v_add_f32_e32 v2, v3, v2
	ds_bpermute_b32 v3, v10, v2
	s_waitcnt lgkmcnt(0)
	v_add_f32_e32 v2, v2, v3
	v_mov_b32_e32 v3, 0
	ds_bpermute_b32 v2, v3, v2
	s_and_saveexec_b32 s1, s2
	s_cbranch_execz .LBB77_35
; %bb.33:
	s_waitcnt lgkmcnt(0)
	v_add_f32_e32 v2, 0x358637bd, v2
	s_mov_b32 s2, 0
	v_div_scale_f32 v3, null, v2, v2, 1.0
	v_div_scale_f32 v7, vcc_lo, 1.0, v2, 1.0
	v_rcp_f32_e32 v5, v3
	v_fma_f32 v6, -v3, v5, 1.0
	v_fmac_f32_e32 v5, v6, v5
	v_mul_f32_e32 v6, v7, v5
	v_fma_f32 v8, -v3, v6, v7
	v_fmac_f32_e32 v6, v8, v5
	v_fma_f32 v3, -v3, v6, v7
	v_div_fmas_f32 v3, v3, v5, v6
	v_div_fixup_f32 v2, v3, v2, 1.0
	v_mov_b32_e32 v3, v0
.LBB77_34:                              ; =>This Inner Loop Header: Depth=1
	ds_read_b32 v5, v4
	v_add_nc_u32_e32 v3, 0x80, v3
	v_cmp_le_i32_e32 vcc_lo, s4, v3
	s_or_b32 s2, vcc_lo, s2
	s_waitcnt lgkmcnt(0)
	v_mul_f32_e32 v5, v2, v5
	ds_write_b32 v4, v5
	v_add_nc_u32_e32 v4, 0x200, v4
	s_andn2_b32 exec_lo, exec_lo, s2
	s_cbranch_execnz .LBB77_34
.LBB77_35:
	s_or_b32 exec_lo, exec_lo, s1
	v_lshrrev_b32_e32 v9, 1, v1
	s_waitcnt lgkmcnt(0)
	s_barrier
	buffer_gl0_inv
	s_and_saveexec_b32 s1, s0
	s_xor_b32 s0, exec_lo, s1
; %bb.36:
	v_lshrrev_b32_e32 v9, 1, v1
                                        ; implicit-def: $vgpr34
                                        ; implicit-def: $vgpr35
                                        ; implicit-def: $vgpr36
; %bb.37:
	s_or_saveexec_b32 s2, s0
	v_mov_b32_e32 v18, 0
	v_mov_b32_e32 v17, 0
	;; [unrolled: 1-line block ×8, first 2 shown]
	s_xor_b32 exec_lo, exec_lo, s2
	s_cbranch_execz .LBB77_61
; %bb.38:
	s_ashr_i32 s15, s14, 31
	s_sub_i32 s3, s28, s17
	s_lshl_b64 s[0:1], s[14:15], 1
	v_and_b32_e32 v19, 8, v35
	s_add_u32 s4, s26, s0
	s_addc_u32 s5, s27, s1
	s_abs_i32 s14, s18
	v_or_b32_e32 v2, 0x70, v9
	v_cvt_f32_u32_e32 v1, s14
	s_sub_i32 s0, 0, s14
	v_lshlrev_b32_e32 v4, 5, v32
	v_and_b32_e32 v3, 0x7c, v36
	s_lshl_b64 s[24:25], s[24:25], 2
	v_rcp_iflag_f32_e32 v1, v1
	s_add_i32 s15, s16, -1
	v_lshl_or_b32 v6, v9, 4, v19
	v_lshl_or_b32 v4, v33, 6, v4
	s_add_u32 s1, s22, s24
	s_addc_u32 s17, s23, s25
	v_mov_b32_e32 v20, 0
	v_mov_b32_e32 v11, 0
	;; [unrolled: 1-line block ×4, first 2 shown]
	v_mul_f32_e32 v1, 0x4f7ffffe, v1
	v_mov_b32_e32 v14, 0
	v_mov_b32_e32 v15, 0
	;; [unrolled: 1-line block ×4, first 2 shown]
	v_cvt_u32_f32_e32 v1, v1
	v_mov_b32_e32 v18, 0
	v_add_nc_u32_e32 v21, 0x110, v4
	v_lshlrev_b32_e32 v22, 1, v6
	v_mov_b32_e32 v25, v33
	v_mul_lo_u32 v5, s0, v1
	v_cmp_gt_u32_e64 s0, 0x78, v2
	v_lshl_or_b32 v2, v2, 4, v19
	v_lshlrev_b32_e32 v23, 1, v2
	v_mul_hi_u32 v7, v1, v5
	v_add_co_u32 v5, s1, s1, v3
	v_add_co_ci_u32_e64 v6, null, s17, 0, s1
	s_mov_b32 s17, s13
	s_mov_b32 s13, 0
	v_add_nc_u32_e32 v24, v1, v7
	s_branch .LBB77_42
.LBB77_39:                              ;   in Loop: Header=BB77_42 Depth=1
	s_or_b32 exec_lo, exec_lo, s23
	v_lshlrev_b32_e32 v26, 16, v49
	v_lshlrev_b32_e32 v30, 16, v30
	;; [unrolled: 1-line block ×3, first 2 shown]
	v_and_or_b32 v1, 0xffff, v1, v26
	v_and_or_b32 v2, 0xffff, v2, v30
	;; [unrolled: 1-line block ×3, first 2 shown]
	;;#ASMSTART
	v_pk_mul_f16 v1, v36, v1;

	;;#ASMEND
	;;#ASMSTART
	v_pk_mul_f16 v2, v35, v2;

	;;#ASMEND
	;; [unrolled: 4-line block ×4, first 2 shown]
	;;#ASMSTART
	v_pk_add_f16 v1, v1, v2;

	;;#ASMEND
	;;#ASMSTART
	v_pk_add_f16 v1, v1, v3;

	;;#ASMEND
	;; [unrolled: 4-line block ×3, first 2 shown]
	v_and_b32_e32 v2, 0xffff, v1
	v_lshrrev_b32_e32 v3, 16, v1
	;;#ASMSTART
	v_cvt_f32_f16 v1, v2;
	;;#ASMEND
	;;#ASMSTART
	v_cvt_f32_f16 v2, v3;
	;;#ASMEND
	v_add_f32_e32 v1, v1, v2
	v_add_f32_e32 v11, v11, v1
.LBB77_40:                              ;   in Loop: Header=BB77_42 Depth=1
	s_or_b32 exec_lo, exec_lo, s22
	v_add_f32_e32 v1, v47, v48
	v_add_f32_e32 v2, v45, v46
	;; [unrolled: 1-line block ×14, first 2 shown]
.LBB77_41:                              ;   in Loop: Header=BB77_42 Depth=1
	s_or_b32 exec_lo, exec_lo, s18
	v_add_nc_u32_e32 v25, 4, v25
	v_add_co_u32 v5, s1, v5, 16
	v_add_co_ci_u32_e64 v6, null, 0, v6, s1
	v_cmp_le_i32_e32 vcc_lo, s16, v25
	v_add_nc_u32_e32 v34, 64, v34
	v_add_nc_u32_e32 v21, 0x100, v21
	s_or_b32 s13, vcc_lo, s13
	s_andn2_b32 exec_lo, exec_lo, s13
	s_cbranch_execz .LBB77_60
.LBB77_42:                              ; =>This Inner Loop Header: Depth=1
	v_mul_hi_u32 v1, v34, s21
	v_mul_lo_u32 v2, v1, s12
	v_add_nc_u32_e32 v3, 1, v1
	v_sub_nc_u32_e32 v2, v34, v2
	v_subrev_nc_u32_e32 v4, s12, v2
	v_cmp_le_u32_e32 vcc_lo, s12, v2
	v_cndmask_b32_e32 v1, v1, v3, vcc_lo
	v_cndmask_b32_e32 v2, v2, v4, vcc_lo
	v_add_nc_u32_e32 v3, 1, v1
	v_cmp_le_u32_e32 vcc_lo, s12, v2
	v_cndmask_b32_e32 v1, v1, v3, vcc_lo
	v_xor_b32_e32 v1, s19, v1
	v_subrev_nc_u32_e32 v1, s19, v1
	v_add_nc_u32_e32 v2, s31, v1
	v_cmp_lt_i32_e64 s1, s3, v1
	v_sub_nc_u32_e32 v3, 0, v2
	v_max_i32_e32 v3, v2, v3
	v_ashrrev_i32_e32 v2, 31, v2
	v_mul_hi_u32 v4, v3, v24
	v_mul_lo_u32 v4, v4, s14
	v_sub_nc_u32_e32 v3, v3, v4
	v_subrev_nc_u32_e32 v4, s14, v3
	v_cmp_le_u32_e32 vcc_lo, s14, v3
	v_cndmask_b32_e32 v3, v3, v4, vcc_lo
	v_subrev_nc_u32_e32 v4, s14, v3
	v_cmp_le_u32_e32 vcc_lo, s14, v3
	v_cndmask_b32_e32 v3, v3, v4, vcc_lo
	v_xor_b32_e32 v3, v3, v2
	v_sub_nc_u32_e32 v2, v3, v2
	v_cmp_eq_u32_e32 vcc_lo, 0, v2
	s_or_b32 s1, vcc_lo, s1
	s_and_saveexec_b32 s18, s1
	s_cbranch_execz .LBB77_41
; %bb.43:                               ;   in Loop: Header=BB77_42 Depth=1
	global_load_dword v7, v[5:6], off
	ds_read2_b64 v[1:4], v21 offset1:1
	ds_read2_b64 v[40:43], v21 offset0:2 offset1:3
	s_waitcnt lgkmcnt(1)
	;;#ASMSTART
	v_cvt_f16_f32 v36, v1;

	;;#ASMEND
	;;#ASMSTART
	v_cvt_f16_f32 v27, v2;

	;;#ASMEND
	;; [unrolled: 4-line block ×4, first 2 shown]
	s_waitcnt lgkmcnt(0)
	;;#ASMSTART
	v_cvt_f16_f32 v40, v40;

	;;#ASMEND
	;;#ASMSTART
	v_cvt_f16_f32 v37, v41;

	;;#ASMEND
	;; [unrolled: 4-line block ×4, first 2 shown]
	v_add_nc_u32_e32 v26, v19, v34
	v_cmp_eq_u32_e64 s1, s15, v25
	s_waitcnt vmcnt(0)
	v_mad_i64_i32 v[7:8], null, v7, s17, 0
	v_lshlrev_b64 v[7:8], 1, v[7:8]
	v_add_co_u32 v29, vcc_lo, s4, v7
	v_add_co_ci_u32_e64 v30, null, s5, v8, vcc_lo
	v_add_co_u32 v7, vcc_lo, v29, v22
	v_add_co_ci_u32_e64 v8, null, 0, v30, vcc_lo
	global_load_dwordx4 v[1:4], v[7:8], off
	s_waitcnt vmcnt(0)
	v_lshrrev_b32_e32 v43, 16, v1
	v_lshrrev_b32_e32 v42, 16, v2
	;; [unrolled: 1-line block ×3, first 2 shown]
	s_and_saveexec_b32 s22, s1
	s_cbranch_execz .LBB77_45
; %bb.44:                               ;   in Loop: Header=BB77_42 Depth=1
	v_add_nc_u32_e32 v44, 1, v26
	v_cmp_gt_i32_e32 vcc_lo, s30, v26
	v_add_nc_u32_e32 v45, 2, v26
	v_add_nc_u32_e32 v46, 3, v26
	v_and_b32_e32 v47, 0xffff0000, v4
	v_cndmask_b32_e32 v1, 0, v1, vcc_lo
	v_cmp_gt_i32_e32 vcc_lo, s30, v44
	v_add_nc_u32_e32 v44, 6, v26
	v_cndmask_b32_e32 v43, 0, v43, vcc_lo
	v_cmp_gt_i32_e32 vcc_lo, s30, v45
	v_add_nc_u32_e32 v45, 5, v26
	;; [unrolled: 3-line block ×4, first 2 shown]
	v_cndmask_b32_sdwa v4, v20, v4, vcc_lo dst_sel:DWORD dst_unused:UNUSED_PAD src0_sel:DWORD src1_sel:WORD_0
	v_cmp_gt_i32_e32 vcc_lo, s30, v46
	v_cndmask_b32_e32 v46, 0, v47, vcc_lo
	v_cmp_gt_i32_e32 vcc_lo, s30, v44
	v_or_b32_e32 v4, v4, v46
	v_cndmask_b32_e32 v3, 0, v3, vcc_lo
	v_cmp_gt_i32_e32 vcc_lo, s30, v45
	v_cndmask_b32_e32 v41, 0, v41, vcc_lo
.LBB77_45:                              ;   in Loop: Header=BB77_42 Depth=1
	s_or_b32 exec_lo, exec_lo, s22
	v_and_b32_e32 v36, 0xffff, v36
	v_and_b32_e32 v39, 0xffff, v39
	v_lshlrev_b32_e32 v43, 16, v43
	v_and_b32_e32 v40, 0xffff, v40
	v_and_b32_e32 v38, 0xffff, v38
	v_lshl_or_b32 v36, v27, 16, v36
	v_lshl_or_b32 v35, v35, 16, v39
	v_lshlrev_b32_e32 v27, 16, v42
	v_lshlrev_b32_e32 v39, 16, v41
	v_and_or_b32 v1, 0xffff, v1, v43
	;;#ASMSTART
	v_pk_mul_f16 v1, v36, v1;

	;;#ASMEND
	v_lshl_or_b32 v37, v37, 16, v40
	v_and_or_b32 v2, 0xffff, v2, v27
	v_and_or_b32 v3, 0xffff, v3, v39
	v_lshl_or_b32 v38, v28, 16, v38
	;;#ASMSTART
	v_pk_mul_f16 v2, v35, v2;

	;;#ASMEND
	;;#ASMSTART
	v_pk_mul_f16 v3, v37, v3;

	;;#ASMEND
	;; [unrolled: 4-line block ×3, first 2 shown]
	;;#ASMSTART
	v_pk_add_f16 v1, v1, v2;

	;;#ASMEND
	;;#ASMSTART
	v_pk_add_f16 v1, v1, v3;

	;;#ASMEND
	;; [unrolled: 4-line block ×3, first 2 shown]
	v_and_b32_e32 v2, 0xffff, v1
	v_lshrrev_b32_e32 v1, 16, v1
	;;#ASMSTART
	v_cvt_f32_f16 v27, v2;
	;;#ASMEND
	;;#ASMSTART
	v_cvt_f32_f16 v28, v1;
	;;#ASMEND
	global_load_dwordx4 v[1:4], v[7:8], off offset:512
	s_waitcnt vmcnt(0)
	v_lshrrev_b32_e32 v41, 16, v1
	v_lshrrev_b32_e32 v40, 16, v2
	;; [unrolled: 1-line block ×3, first 2 shown]
	s_and_saveexec_b32 s22, s1
	s_cbranch_execz .LBB77_47
; %bb.46:                               ;   in Loop: Header=BB77_42 Depth=1
	v_add_nc_u32_e32 v42, 1, v26
	v_cmp_gt_i32_e32 vcc_lo, s30, v26
	v_add_nc_u32_e32 v43, 2, v26
	v_add_nc_u32_e32 v44, 3, v26
	v_and_b32_e32 v45, 0xffff0000, v4
	v_cndmask_b32_e32 v1, 0, v1, vcc_lo
	v_cmp_gt_i32_e32 vcc_lo, s30, v42
	v_add_nc_u32_e32 v42, 6, v26
	v_cndmask_b32_e32 v41, 0, v41, vcc_lo
	v_cmp_gt_i32_e32 vcc_lo, s30, v43
	v_add_nc_u32_e32 v43, 5, v26
	;; [unrolled: 3-line block ×4, first 2 shown]
	v_cndmask_b32_sdwa v4, v20, v4, vcc_lo dst_sel:DWORD dst_unused:UNUSED_PAD src0_sel:DWORD src1_sel:WORD_0
	v_cmp_gt_i32_e32 vcc_lo, s30, v44
	v_cndmask_b32_e32 v44, 0, v45, vcc_lo
	v_cmp_gt_i32_e32 vcc_lo, s30, v42
	v_or_b32_e32 v4, v4, v44
	v_cndmask_b32_e32 v3, 0, v3, vcc_lo
	v_cmp_gt_i32_e32 vcc_lo, s30, v43
	v_cndmask_b32_e32 v39, 0, v39, vcc_lo
.LBB77_47:                              ;   in Loop: Header=BB77_42 Depth=1
	s_or_b32 exec_lo, exec_lo, s22
	v_lshlrev_b32_e32 v41, 16, v41
	v_lshlrev_b32_e32 v40, 16, v40
	;; [unrolled: 1-line block ×3, first 2 shown]
	v_and_or_b32 v1, 0xffff, v1, v41
	v_and_or_b32 v2, 0xffff, v2, v40
	;; [unrolled: 1-line block ×3, first 2 shown]
	;;#ASMSTART
	v_pk_mul_f16 v1, v36, v1;

	;;#ASMEND
	;;#ASMSTART
	v_pk_mul_f16 v2, v35, v2;

	;;#ASMEND
	;; [unrolled: 4-line block ×4, first 2 shown]
	;;#ASMSTART
	v_pk_add_f16 v1, v1, v2;

	;;#ASMEND
	;;#ASMSTART
	v_pk_add_f16 v1, v1, v3;

	;;#ASMEND
	;; [unrolled: 4-line block ×3, first 2 shown]
	v_and_b32_e32 v2, 0xffff, v1
	v_lshrrev_b32_e32 v1, 16, v1
	;;#ASMSTART
	v_cvt_f32_f16 v39, v2;
	;;#ASMEND
	;;#ASMSTART
	v_cvt_f32_f16 v40, v1;
	;;#ASMEND
	global_load_dwordx4 v[1:4], v[7:8], off offset:1024
	s_waitcnt vmcnt(0)
	v_lshrrev_b32_e32 v43, 16, v1
	v_lshrrev_b32_e32 v42, 16, v2
	;; [unrolled: 1-line block ×3, first 2 shown]
	s_and_saveexec_b32 s22, s1
	s_cbranch_execz .LBB77_49
; %bb.48:                               ;   in Loop: Header=BB77_42 Depth=1
	v_add_nc_u32_e32 v44, 1, v26
	v_cmp_gt_i32_e32 vcc_lo, s30, v26
	v_add_nc_u32_e32 v45, 2, v26
	v_add_nc_u32_e32 v46, 3, v26
	v_and_b32_e32 v47, 0xffff0000, v4
	v_cndmask_b32_e32 v1, 0, v1, vcc_lo
	v_cmp_gt_i32_e32 vcc_lo, s30, v44
	v_add_nc_u32_e32 v44, 6, v26
	v_cndmask_b32_e32 v43, 0, v43, vcc_lo
	v_cmp_gt_i32_e32 vcc_lo, s30, v45
	v_add_nc_u32_e32 v45, 5, v26
	;; [unrolled: 3-line block ×4, first 2 shown]
	v_cndmask_b32_sdwa v4, v20, v4, vcc_lo dst_sel:DWORD dst_unused:UNUSED_PAD src0_sel:DWORD src1_sel:WORD_0
	v_cmp_gt_i32_e32 vcc_lo, s30, v46
	v_cndmask_b32_e32 v46, 0, v47, vcc_lo
	v_cmp_gt_i32_e32 vcc_lo, s30, v44
	v_or_b32_e32 v4, v4, v46
	v_cndmask_b32_e32 v3, 0, v3, vcc_lo
	v_cmp_gt_i32_e32 vcc_lo, s30, v45
	v_cndmask_b32_e32 v41, 0, v41, vcc_lo
.LBB77_49:                              ;   in Loop: Header=BB77_42 Depth=1
	s_or_b32 exec_lo, exec_lo, s22
	v_lshlrev_b32_e32 v43, 16, v43
	v_lshlrev_b32_e32 v42, 16, v42
	;; [unrolled: 1-line block ×3, first 2 shown]
	v_and_or_b32 v1, 0xffff, v1, v43
	v_and_or_b32 v2, 0xffff, v2, v42
	;; [unrolled: 1-line block ×3, first 2 shown]
	;;#ASMSTART
	v_pk_mul_f16 v1, v36, v1;

	;;#ASMEND
	;;#ASMSTART
	v_pk_mul_f16 v2, v35, v2;

	;;#ASMEND
	;; [unrolled: 4-line block ×4, first 2 shown]
	;;#ASMSTART
	v_pk_add_f16 v1, v1, v2;

	;;#ASMEND
	;;#ASMSTART
	v_pk_add_f16 v1, v1, v3;

	;;#ASMEND
	;; [unrolled: 4-line block ×3, first 2 shown]
	v_and_b32_e32 v2, 0xffff, v1
	v_lshrrev_b32_e32 v1, 16, v1
	;;#ASMSTART
	v_cvt_f32_f16 v41, v2;
	;;#ASMEND
	;;#ASMSTART
	v_cvt_f32_f16 v42, v1;
	;;#ASMEND
	global_load_dwordx4 v[1:4], v[7:8], off offset:1536
	s_waitcnt vmcnt(0)
	v_lshrrev_b32_e32 v45, 16, v1
	v_lshrrev_b32_e32 v44, 16, v2
	v_lshrrev_b32_e32 v43, 16, v3
	s_and_saveexec_b32 s22, s1
	s_cbranch_execz .LBB77_51
; %bb.50:                               ;   in Loop: Header=BB77_42 Depth=1
	v_add_nc_u32_e32 v46, 1, v26
	v_cmp_gt_i32_e32 vcc_lo, s30, v26
	v_add_nc_u32_e32 v47, 2, v26
	v_add_nc_u32_e32 v48, 3, v26
	v_and_b32_e32 v49, 0xffff0000, v4
	v_cndmask_b32_e32 v1, 0, v1, vcc_lo
	v_cmp_gt_i32_e32 vcc_lo, s30, v46
	v_add_nc_u32_e32 v46, 6, v26
	v_cndmask_b32_e32 v45, 0, v45, vcc_lo
	v_cmp_gt_i32_e32 vcc_lo, s30, v47
	v_add_nc_u32_e32 v47, 5, v26
	;; [unrolled: 3-line block ×4, first 2 shown]
	v_cndmask_b32_sdwa v4, v20, v4, vcc_lo dst_sel:DWORD dst_unused:UNUSED_PAD src0_sel:DWORD src1_sel:WORD_0
	v_cmp_gt_i32_e32 vcc_lo, s30, v48
	v_cndmask_b32_e32 v48, 0, v49, vcc_lo
	v_cmp_gt_i32_e32 vcc_lo, s30, v46
	v_or_b32_e32 v4, v4, v48
	v_cndmask_b32_e32 v3, 0, v3, vcc_lo
	v_cmp_gt_i32_e32 vcc_lo, s30, v47
	v_cndmask_b32_e32 v43, 0, v43, vcc_lo
.LBB77_51:                              ;   in Loop: Header=BB77_42 Depth=1
	s_or_b32 exec_lo, exec_lo, s22
	v_lshlrev_b32_e32 v45, 16, v45
	v_lshlrev_b32_e32 v44, 16, v44
	v_lshlrev_b32_e32 v43, 16, v43
	v_add_co_u32 v7, vcc_lo, 0x800, v7
	v_and_or_b32 v1, 0xffff, v1, v45
	v_and_or_b32 v2, 0xffff, v2, v44
	;; [unrolled: 1-line block ×3, first 2 shown]
	;;#ASMSTART
	v_pk_mul_f16 v1, v36, v1;

	;;#ASMEND
	v_add_co_ci_u32_e64 v8, null, 0, v8, vcc_lo
	;;#ASMSTART
	v_pk_mul_f16 v2, v35, v2;

	;;#ASMEND
	;;#ASMSTART
	v_pk_mul_f16 v3, v37, v3;

	;;#ASMEND
	;; [unrolled: 4-line block ×3, first 2 shown]
	;;#ASMSTART
	v_pk_add_f16 v1, v1, v2;

	;;#ASMEND
	;;#ASMSTART
	v_pk_add_f16 v1, v1, v3;

	;;#ASMEND
	;; [unrolled: 4-line block ×3, first 2 shown]
	v_lshrrev_b32_e32 v2, 16, v1
	v_and_b32_e32 v1, 0xffff, v1
	;;#ASMSTART
	v_cvt_f32_f16 v43, v1;
	;;#ASMEND
	;;#ASMSTART
	v_cvt_f32_f16 v44, v2;
	;;#ASMEND
	global_load_dwordx4 v[1:4], v[7:8], off
	s_waitcnt vmcnt(0)
	v_lshrrev_b32_e32 v47, 16, v1
	v_lshrrev_b32_e32 v46, 16, v2
	;; [unrolled: 1-line block ×3, first 2 shown]
	s_and_saveexec_b32 s22, s1
	s_cbranch_execz .LBB77_53
; %bb.52:                               ;   in Loop: Header=BB77_42 Depth=1
	v_add_nc_u32_e32 v48, 1, v26
	v_cmp_gt_i32_e32 vcc_lo, s30, v26
	v_add_nc_u32_e32 v49, 2, v26
	v_add_nc_u32_e32 v50, 3, v26
	v_and_b32_e32 v51, 0xffff0000, v4
	v_cndmask_b32_e32 v1, 0, v1, vcc_lo
	v_cmp_gt_i32_e32 vcc_lo, s30, v48
	v_add_nc_u32_e32 v48, 6, v26
	v_cndmask_b32_e32 v47, 0, v47, vcc_lo
	v_cmp_gt_i32_e32 vcc_lo, s30, v49
	v_add_nc_u32_e32 v49, 5, v26
	;; [unrolled: 3-line block ×4, first 2 shown]
	v_cndmask_b32_sdwa v4, v20, v4, vcc_lo dst_sel:DWORD dst_unused:UNUSED_PAD src0_sel:DWORD src1_sel:WORD_0
	v_cmp_gt_i32_e32 vcc_lo, s30, v50
	v_cndmask_b32_e32 v50, 0, v51, vcc_lo
	v_cmp_gt_i32_e32 vcc_lo, s30, v48
	v_or_b32_e32 v4, v4, v50
	v_cndmask_b32_e32 v3, 0, v3, vcc_lo
	v_cmp_gt_i32_e32 vcc_lo, s30, v49
	v_cndmask_b32_e32 v45, 0, v45, vcc_lo
.LBB77_53:                              ;   in Loop: Header=BB77_42 Depth=1
	s_or_b32 exec_lo, exec_lo, s22
	v_lshlrev_b32_e32 v47, 16, v47
	v_lshlrev_b32_e32 v46, 16, v46
	;; [unrolled: 1-line block ×3, first 2 shown]
	v_and_or_b32 v1, 0xffff, v1, v47
	v_and_or_b32 v2, 0xffff, v2, v46
	;; [unrolled: 1-line block ×3, first 2 shown]
	;;#ASMSTART
	v_pk_mul_f16 v1, v36, v1;

	;;#ASMEND
	;;#ASMSTART
	v_pk_mul_f16 v2, v35, v2;

	;;#ASMEND
	;; [unrolled: 4-line block ×4, first 2 shown]
	;;#ASMSTART
	v_pk_add_f16 v1, v1, v2;

	;;#ASMEND
	;;#ASMSTART
	v_pk_add_f16 v1, v1, v3;

	;;#ASMEND
	;; [unrolled: 4-line block ×3, first 2 shown]
	v_and_b32_e32 v2, 0xffff, v1
	v_lshrrev_b32_e32 v1, 16, v1
	;;#ASMSTART
	v_cvt_f32_f16 v45, v2;
	;;#ASMEND
	;;#ASMSTART
	v_cvt_f32_f16 v46, v1;
	;;#ASMEND
	global_load_dwordx4 v[1:4], v[7:8], off offset:512
	s_waitcnt vmcnt(0)
	v_lshrrev_b32_e32 v49, 16, v1
	v_lshrrev_b32_e32 v48, 16, v2
	;; [unrolled: 1-line block ×3, first 2 shown]
	s_and_saveexec_b32 s22, s1
	s_cbranch_execz .LBB77_55
; %bb.54:                               ;   in Loop: Header=BB77_42 Depth=1
	v_add_nc_u32_e32 v50, 1, v26
	v_cmp_gt_i32_e32 vcc_lo, s30, v26
	v_add_nc_u32_e32 v51, 2, v26
	v_add_nc_u32_e32 v52, 3, v26
	v_and_b32_e32 v53, 0xffff0000, v4
	v_cndmask_b32_e32 v1, 0, v1, vcc_lo
	v_cmp_gt_i32_e32 vcc_lo, s30, v50
	v_add_nc_u32_e32 v50, 6, v26
	v_cndmask_b32_e32 v49, 0, v49, vcc_lo
	v_cmp_gt_i32_e32 vcc_lo, s30, v51
	v_add_nc_u32_e32 v51, 5, v26
	;; [unrolled: 3-line block ×4, first 2 shown]
	v_cndmask_b32_sdwa v4, v20, v4, vcc_lo dst_sel:DWORD dst_unused:UNUSED_PAD src0_sel:DWORD src1_sel:WORD_0
	v_cmp_gt_i32_e32 vcc_lo, s30, v52
	v_cndmask_b32_e32 v52, 0, v53, vcc_lo
	v_cmp_gt_i32_e32 vcc_lo, s30, v50
	v_or_b32_e32 v4, v4, v52
	v_cndmask_b32_e32 v3, 0, v3, vcc_lo
	v_cmp_gt_i32_e32 vcc_lo, s30, v51
	v_cndmask_b32_e32 v47, 0, v47, vcc_lo
.LBB77_55:                              ;   in Loop: Header=BB77_42 Depth=1
	s_or_b32 exec_lo, exec_lo, s22
	v_lshlrev_b32_e32 v49, 16, v49
	v_lshlrev_b32_e32 v48, 16, v48
	;; [unrolled: 1-line block ×3, first 2 shown]
	v_and_or_b32 v1, 0xffff, v1, v49
	v_and_or_b32 v2, 0xffff, v2, v48
	;; [unrolled: 1-line block ×3, first 2 shown]
	;;#ASMSTART
	v_pk_mul_f16 v1, v36, v1;

	;;#ASMEND
	;;#ASMSTART
	v_pk_mul_f16 v2, v35, v2;

	;;#ASMEND
	;;#ASMSTART
	v_pk_mul_f16 v3, v37, v3;

	;;#ASMEND
	;;#ASMSTART
	v_pk_mul_f16 v4, v38, v4;

	;;#ASMEND
	;;#ASMSTART
	v_pk_add_f16 v1, v1, v2;

	;;#ASMEND
	;;#ASMSTART
	v_pk_add_f16 v1, v1, v3;

	;;#ASMEND
	;; [unrolled: 4-line block ×3, first 2 shown]
	v_and_b32_e32 v2, 0xffff, v1
	v_lshrrev_b32_e32 v1, 16, v1
	;;#ASMSTART
	v_cvt_f32_f16 v47, v2;
	;;#ASMEND
	;;#ASMSTART
	v_cvt_f32_f16 v48, v1;
	;;#ASMEND
	global_load_dwordx4 v[1:4], v[7:8], off offset:1024
	s_waitcnt vmcnt(0)
	v_lshrrev_b32_e32 v49, 16, v1
	v_lshrrev_b32_e32 v8, 16, v2
	;; [unrolled: 1-line block ×3, first 2 shown]
	s_and_saveexec_b32 s22, s1
	s_cbranch_execz .LBB77_57
; %bb.56:                               ;   in Loop: Header=BB77_42 Depth=1
	v_add_nc_u32_e32 v50, 1, v26
	v_cmp_gt_i32_e32 vcc_lo, s30, v26
	v_add_nc_u32_e32 v51, 2, v26
	v_add_nc_u32_e32 v52, 3, v26
	v_and_b32_e32 v53, 0xffff0000, v4
	v_cndmask_b32_e32 v1, 0, v1, vcc_lo
	v_cmp_gt_i32_e32 vcc_lo, s30, v50
	v_add_nc_u32_e32 v50, 6, v26
	v_cndmask_b32_e32 v49, 0, v49, vcc_lo
	v_cmp_gt_i32_e32 vcc_lo, s30, v51
	v_add_nc_u32_e32 v51, 5, v26
	;; [unrolled: 3-line block ×4, first 2 shown]
	v_cndmask_b32_sdwa v4, v20, v4, vcc_lo dst_sel:DWORD dst_unused:UNUSED_PAD src0_sel:DWORD src1_sel:WORD_0
	v_cmp_gt_i32_e32 vcc_lo, s30, v52
	v_cndmask_b32_e32 v52, 0, v53, vcc_lo
	v_cmp_gt_i32_e32 vcc_lo, s30, v50
	v_or_b32_e32 v4, v4, v52
	v_cndmask_b32_e32 v3, 0, v3, vcc_lo
	v_cmp_gt_i32_e32 vcc_lo, s30, v51
	v_cndmask_b32_e32 v7, 0, v7, vcc_lo
.LBB77_57:                              ;   in Loop: Header=BB77_42 Depth=1
	s_or_b32 exec_lo, exec_lo, s22
	v_lshlrev_b32_e32 v49, 16, v49
	v_lshlrev_b32_e32 v8, 16, v8
	;; [unrolled: 1-line block ×3, first 2 shown]
	v_and_or_b32 v1, 0xffff, v1, v49
	v_and_or_b32 v2, 0xffff, v2, v8
	v_and_or_b32 v3, 0xffff, v3, v7
	;;#ASMSTART
	v_pk_mul_f16 v1, v36, v1;

	;;#ASMEND
	;;#ASMSTART
	v_pk_mul_f16 v2, v35, v2;

	;;#ASMEND
	;; [unrolled: 4-line block ×4, first 2 shown]
	;;#ASMSTART
	v_pk_add_f16 v1, v1, v2;

	;;#ASMEND
	;;#ASMSTART
	v_pk_add_f16 v1, v1, v3;

	;;#ASMEND
	;; [unrolled: 4-line block ×3, first 2 shown]
	v_and_b32_e32 v2, 0xffff, v1
	v_lshrrev_b32_e32 v1, 16, v1
	;;#ASMSTART
	v_cvt_f32_f16 v7, v2;
	;;#ASMEND
	;;#ASMSTART
	v_cvt_f32_f16 v8, v1;
	;;#ASMEND
	s_and_saveexec_b32 s22, s0
	s_cbranch_execz .LBB77_40
; %bb.58:                               ;   in Loop: Header=BB77_42 Depth=1
	v_add_co_u32 v1, vcc_lo, v29, v23
	v_add_co_ci_u32_e64 v2, null, 0, v30, vcc_lo
	global_load_dwordx4 v[1:4], v[1:2], off
	s_waitcnt vmcnt(0)
	v_lshrrev_b32_e32 v49, 16, v1
	v_lshrrev_b32_e32 v30, 16, v2
	;; [unrolled: 1-line block ×3, first 2 shown]
	s_and_saveexec_b32 s23, s1
	s_cbranch_execz .LBB77_39
; %bb.59:                               ;   in Loop: Header=BB77_42 Depth=1
	v_add_nc_u32_e32 v50, 1, v26
	v_cmp_gt_i32_e32 vcc_lo, s30, v26
	v_add_nc_u32_e32 v51, 2, v26
	v_add_nc_u32_e32 v52, 3, v26
	v_cndmask_b32_e32 v1, 0, v1, vcc_lo
	v_cmp_gt_i32_e32 vcc_lo, s30, v50
	v_add_nc_u32_e32 v50, 6, v26
	v_cndmask_b32_e32 v49, 0, v49, vcc_lo
	v_cmp_gt_i32_e32 vcc_lo, s30, v51
	;; [unrolled: 3-line block ×3, first 2 shown]
	v_and_b32_e32 v52, 0xffff0000, v4
	v_cndmask_b32_e32 v30, 0, v30, vcc_lo
	v_cmp_gt_i32_e32 vcc_lo, s30, v50
	v_add_nc_u32_e32 v50, 4, v26
	v_add_nc_u32_e32 v26, 7, v26
	v_cndmask_b32_sdwa v4, v20, v4, vcc_lo dst_sel:DWORD dst_unused:UNUSED_PAD src0_sel:DWORD src1_sel:WORD_0
	v_cmp_gt_i32_e32 vcc_lo, s30, v26
	v_cndmask_b32_e32 v26, 0, v52, vcc_lo
	v_cmp_gt_i32_e32 vcc_lo, s30, v50
	v_or_b32_e32 v4, v4, v26
	v_cndmask_b32_e32 v3, 0, v3, vcc_lo
	v_cmp_gt_i32_e32 vcc_lo, s30, v51
	v_cndmask_b32_e32 v29, 0, v29, vcc_lo
	s_branch .LBB77_39
.LBB77_60:
	s_or_b32 exec_lo, exec_lo, s13
.LBB77_61:
	s_or_b32 exec_lo, exec_lo, s2
	ds_bpermute_b32 v1, v10, v18
	ds_bpermute_b32 v2, v10, v17
	;; [unrolled: 1-line block ×8, first 2 shown]
	s_movk_i32 s0, 0x1e0
	v_and_b32_e32 v23, 0x3c0, v0
	v_mad_u32_u24 v10, v33, s0, 0x110
	s_mov_b32 s1, exec_lo
	v_cmp_eq_u32_e32 vcc_lo, 0, v32
	s_waitcnt lgkmcnt(0)
	s_barrier
	buffer_gl0_inv
	v_add_f32_e32 v8, v18, v1
	v_add_f32_e32 v7, v17, v2
	;; [unrolled: 1-line block ×8, first 2 shown]
	v_cmpx_eq_u32_e32 64, v23
	s_cbranch_execz .LBB77_66
; %bb.62:
	v_add_nc_u32_e32 v11, 0xfffffc40, v10
	s_and_saveexec_b32 s0, vcc_lo
	s_cbranch_execz .LBB77_64
; %bb.63:
	v_lshl_add_u32 v12, v9, 2, v11
	ds_write2_b32 v12, v8, v7 offset1:16
	ds_write2_b32 v12, v6, v5 offset0:32 offset1:48
	ds_write2_b32 v12, v4, v3 offset0:64 offset1:80
	ds_write_b32 v12, v2 offset:384
.LBB77_64:
	s_or_b32 exec_lo, exec_lo, s0
	v_or_b32_e32 v12, 0x70, v9
	v_cmp_gt_u32_e64 s0, 0x78, v12
	s_and_b32 s0, vcc_lo, s0
	s_and_b32 exec_lo, exec_lo, s0
; %bb.65:
	v_lshl_add_u32 v11, v12, 2, v11
	ds_write_b32 v11, v1
.LBB77_66:
	s_or_b32 exec_lo, exec_lo, s1
	s_mov_b32 s1, exec_lo
	s_waitcnt lgkmcnt(0)
	s_barrier
	buffer_gl0_inv
	v_cmpx_gt_u32_e32 64, v0
	s_cbranch_execz .LBB77_78
; %bb.67:
	s_and_saveexec_b32 s0, vcc_lo
	s_cbranch_execnz .LBB77_113
; %bb.68:
	s_or_b32 exec_lo, exec_lo, s0
	s_and_saveexec_b32 s0, vcc_lo
	s_cbranch_execnz .LBB77_114
.LBB77_69:
	s_or_b32 exec_lo, exec_lo, s0
	s_and_saveexec_b32 s0, vcc_lo
	s_cbranch_execnz .LBB77_115
.LBB77_70:
	s_or_b32 exec_lo, exec_lo, s0
	s_and_saveexec_b32 s0, vcc_lo
	s_cbranch_execnz .LBB77_116
.LBB77_71:
	s_or_b32 exec_lo, exec_lo, s0
	s_and_saveexec_b32 s0, vcc_lo
	s_cbranch_execnz .LBB77_117
.LBB77_72:
	s_or_b32 exec_lo, exec_lo, s0
	s_and_saveexec_b32 s0, vcc_lo
	s_cbranch_execnz .LBB77_118
.LBB77_73:
	s_or_b32 exec_lo, exec_lo, s0
	s_and_saveexec_b32 s0, vcc_lo
	s_cbranch_execz .LBB77_75
.LBB77_74:
	v_lshl_add_u32 v11, v9, 2, v10
	ds_read_b32 v11, v11 offset:384
	s_waitcnt lgkmcnt(0)
	v_add_f32_e32 v2, v2, v11
.LBB77_75:
	s_or_b32 exec_lo, exec_lo, s0
	v_or_b32_e32 v11, 0x70, v9
	v_cmp_gt_u32_e64 s0, 0x78, v11
	s_and_b32 s2, vcc_lo, s0
	s_and_saveexec_b32 s0, s2
	s_cbranch_execz .LBB77_77
; %bb.76:
	v_lshl_add_u32 v11, v9, 2, v10
	ds_read_b32 v11, v11 offset:448
	s_waitcnt lgkmcnt(0)
	v_add_f32_e32 v1, v1, v11
.LBB77_77:
	s_or_b32 exec_lo, exec_lo, s0
.LBB77_78:
	s_or_b32 exec_lo, exec_lo, s1
	v_and_b32_e32 v11, 0x3e0, v0
	s_mov_b32 s1, exec_lo
	s_barrier
	buffer_gl0_inv
	v_cmpx_eq_u32_e32 32, v11
	s_cbranch_execz .LBB77_83
; %bb.79:
	v_lshl_add_u32 v11, v9, 2, 0x110
	s_and_saveexec_b32 s0, vcc_lo
	s_cbranch_execz .LBB77_81
; %bb.80:
	ds_write2_b32 v11, v8, v7 offset1:16
	ds_write2_b32 v11, v6, v5 offset0:32 offset1:48
	ds_write2_b32 v11, v4, v3 offset0:64 offset1:80
	ds_write_b32 v11, v2 offset:384
.LBB77_81:
	s_or_b32 exec_lo, exec_lo, s0
	v_or_b32_e32 v12, 0x70, v9
	v_cmp_gt_u32_e64 s0, 0x78, v12
	s_and_b32 s0, vcc_lo, s0
	s_and_b32 exec_lo, exec_lo, s0
; %bb.82:
	ds_write_b32 v11, v1 offset:448
.LBB77_83:
	s_or_b32 exec_lo, exec_lo, s1
	v_cmp_gt_u32_e64 s0, 32, v0
	s_waitcnt lgkmcnt(0)
	s_barrier
	buffer_gl0_inv
	s_and_saveexec_b32 s2, s0
	s_cbranch_execz .LBB77_95
; %bb.84:
	v_lshl_add_u32 v0, v9, 2, v10
	s_and_saveexec_b32 s1, vcc_lo
	s_cbranch_execnz .LBB77_119
; %bb.85:
	s_or_b32 exec_lo, exec_lo, s1
	s_and_saveexec_b32 s1, vcc_lo
	s_cbranch_execnz .LBB77_120
.LBB77_86:
	s_or_b32 exec_lo, exec_lo, s1
	s_and_saveexec_b32 s1, vcc_lo
	s_cbranch_execnz .LBB77_121
.LBB77_87:
	s_or_b32 exec_lo, exec_lo, s1
	s_and_saveexec_b32 s1, vcc_lo
	s_cbranch_execnz .LBB77_122
.LBB77_88:
	s_or_b32 exec_lo, exec_lo, s1
	s_and_saveexec_b32 s1, vcc_lo
	s_cbranch_execnz .LBB77_123
.LBB77_89:
	s_or_b32 exec_lo, exec_lo, s1
	s_and_saveexec_b32 s1, vcc_lo
	s_cbranch_execnz .LBB77_124
.LBB77_90:
	s_or_b32 exec_lo, exec_lo, s1
	s_and_saveexec_b32 s1, vcc_lo
	s_cbranch_execz .LBB77_92
.LBB77_91:
	ds_read_b32 v10, v0 offset:384
	s_waitcnt lgkmcnt(0)
	v_add_f32_e32 v2, v2, v10
.LBB77_92:
	s_or_b32 exec_lo, exec_lo, s1
	v_or_b32_e32 v9, 0x70, v9
	v_cmp_gt_u32_e64 s1, 0x78, v9
	s_and_b32 s3, vcc_lo, s1
	s_and_saveexec_b32 s1, s3
	s_cbranch_execz .LBB77_94
; %bb.93:
	ds_read_b32 v0, v0 offset:448
	s_waitcnt lgkmcnt(0)
	v_add_f32_e32 v1, v1, v0
.LBB77_94:
	s_or_b32 exec_lo, exec_lo, s1
.LBB77_95:
	s_or_b32 exec_lo, exec_lo, s2
	s_barrier
	buffer_gl0_inv
	s_and_saveexec_b32 s1, s0
	s_cbranch_execz .LBB77_112
; %bb.96:
	s_mul_i32 s0, s10, s11
	s_mul_i32 s2, s11, s20
	;; [unrolled: 1-line block ×3, first 2 shown]
	v_lshlrev_b32_e32 v0, 1, v31
	s_mulk_i32 s0, 0x78
	s_ashr_i32 s1, s0, 31
	s_lshl_b64 s[0:1], s[0:1], 1
	s_add_u32 s4, s6, s0
	s_addc_u32 s5, s7, s1
	s_ashr_i32 s3, s2, 31
	s_lshl_b64 s[0:1], s[2:3], 1
	s_mul_i32 s2, s8, 0x78
	s_add_u32 s4, s4, s0
	s_addc_u32 s5, s5, s1
	s_ashr_i32 s3, s2, 31
	s_lshl_b64 s[0:1], s[2:3], 1
	s_add_u32 s2, s4, s0
	s_addc_u32 s3, s5, s1
	s_and_saveexec_b32 s0, vcc_lo
	s_cbranch_execz .LBB77_98
; %bb.97:
	;;#ASMSTART
	v_cvt_f16_f32 v8, v8;

	;;#ASMEND
	global_store_short v0, v8, s[2:3]
.LBB77_98:
	s_or_b32 exec_lo, exec_lo, s0
	v_or_b32_e32 v8, 16, v31
	v_cmp_gt_u32_e64 s0, 0x78, v8
	s_and_b32 s1, vcc_lo, s0
	s_and_saveexec_b32 s0, s1
	s_cbranch_execz .LBB77_100
; %bb.99:
	;;#ASMSTART
	v_cvt_f16_f32 v7, v7;

	;;#ASMEND
	global_store_short v0, v7, s[2:3] offset:32
.LBB77_100:
	s_or_b32 exec_lo, exec_lo, s0
	v_or_b32_e32 v7, 32, v31
	v_cmp_gt_u32_e64 s0, 0x78, v7
	s_and_b32 s1, vcc_lo, s0
	s_and_saveexec_b32 s0, s1
	s_cbranch_execz .LBB77_102
; %bb.101:
	;;#ASMSTART
	v_cvt_f16_f32 v6, v6;

	;;#ASMEND
	global_store_short v0, v6, s[2:3] offset:64
.LBB77_102:
	;; [unrolled: 13-line block ×6, first 2 shown]
	s_or_b32 exec_lo, exec_lo, s0
	v_or_b32_e32 v2, 0x70, v31
	v_cmp_gt_u32_e64 s0, 0x78, v2
	s_and_b32 s0, vcc_lo, s0
	s_and_b32 exec_lo, exec_lo, s0
	s_cbranch_execz .LBB77_112
; %bb.111:
	;;#ASMSTART
	v_cvt_f16_f32 v1, v1;

	;;#ASMEND
	global_store_short v0, v1, s[2:3] offset:224
.LBB77_112:
	s_endpgm
.LBB77_113:
	v_lshl_add_u32 v11, v9, 2, v10
	ds_read_b32 v11, v11
	s_waitcnt lgkmcnt(0)
	v_add_f32_e32 v8, v8, v11
	s_or_b32 exec_lo, exec_lo, s0
	s_and_saveexec_b32 s0, vcc_lo
	s_cbranch_execz .LBB77_69
.LBB77_114:
	v_lshl_add_u32 v11, v9, 2, v10
	ds_read_b32 v11, v11 offset:64
	s_waitcnt lgkmcnt(0)
	v_add_f32_e32 v7, v7, v11
	s_or_b32 exec_lo, exec_lo, s0
	s_and_saveexec_b32 s0, vcc_lo
	s_cbranch_execz .LBB77_70
.LBB77_115:
	v_lshl_add_u32 v11, v9, 2, v10
	ds_read_b32 v11, v11 offset:128
	s_waitcnt lgkmcnt(0)
	v_add_f32_e32 v6, v6, v11
	s_or_b32 exec_lo, exec_lo, s0
	s_and_saveexec_b32 s0, vcc_lo
	s_cbranch_execz .LBB77_71
.LBB77_116:
	v_lshl_add_u32 v11, v9, 2, v10
	ds_read_b32 v11, v11 offset:192
	s_waitcnt lgkmcnt(0)
	v_add_f32_e32 v5, v5, v11
	s_or_b32 exec_lo, exec_lo, s0
	s_and_saveexec_b32 s0, vcc_lo
	s_cbranch_execz .LBB77_72
.LBB77_117:
	v_lshl_add_u32 v11, v9, 2, v10
	ds_read_b32 v11, v11 offset:256
	s_waitcnt lgkmcnt(0)
	v_add_f32_e32 v4, v4, v11
	s_or_b32 exec_lo, exec_lo, s0
	s_and_saveexec_b32 s0, vcc_lo
	s_cbranch_execz .LBB77_73
.LBB77_118:
	v_lshl_add_u32 v11, v9, 2, v10
	ds_read_b32 v11, v11 offset:320
	s_waitcnt lgkmcnt(0)
	v_add_f32_e32 v3, v3, v11
	s_or_b32 exec_lo, exec_lo, s0
	s_and_saveexec_b32 s0, vcc_lo
	s_cbranch_execnz .LBB77_74
	s_branch .LBB77_75
.LBB77_119:
	ds_read_b32 v10, v0
	s_waitcnt lgkmcnt(0)
	v_add_f32_e32 v8, v8, v10
	s_or_b32 exec_lo, exec_lo, s1
	s_and_saveexec_b32 s1, vcc_lo
	s_cbranch_execz .LBB77_86
.LBB77_120:
	ds_read_b32 v10, v0 offset:64
	s_waitcnt lgkmcnt(0)
	v_add_f32_e32 v7, v7, v10
	s_or_b32 exec_lo, exec_lo, s1
	s_and_saveexec_b32 s1, vcc_lo
	s_cbranch_execz .LBB77_87
.LBB77_121:
	ds_read_b32 v10, v0 offset:128
	s_waitcnt lgkmcnt(0)
	v_add_f32_e32 v6, v6, v10
	s_or_b32 exec_lo, exec_lo, s1
	s_and_saveexec_b32 s1, vcc_lo
	s_cbranch_execz .LBB77_88
.LBB77_122:
	ds_read_b32 v10, v0 offset:192
	s_waitcnt lgkmcnt(0)
	v_add_f32_e32 v5, v5, v10
	s_or_b32 exec_lo, exec_lo, s1
	s_and_saveexec_b32 s1, vcc_lo
	s_cbranch_execz .LBB77_89
.LBB77_123:
	ds_read_b32 v10, v0 offset:256
	s_waitcnt lgkmcnt(0)
	v_add_f32_e32 v4, v4, v10
	s_or_b32 exec_lo, exec_lo, s1
	s_and_saveexec_b32 s1, vcc_lo
	s_cbranch_execz .LBB77_90
.LBB77_124:
	ds_read_b32 v10, v0 offset:320
	s_waitcnt lgkmcnt(0)
	v_add_f32_e32 v3, v3, v10
	s_or_b32 exec_lo, exec_lo, s1
	s_and_saveexec_b32 s1, vcc_lo
	s_cbranch_execnz .LBB77_91
	s_branch .LBB77_92
	.section	.rodata,"a",@progbits
	.p2align	6, 0x0
	.amdhsa_kernel _ZN4vllm25paged_attention_v1_kernelIttLi120ELi16ELi128ELNS_18Fp8KVCacheDataTypeE0ELb1EEEvPT_PKS2_PKT0_S8_ifPKiSA_iPKfiiiSC_SC_iiiii
		.amdhsa_group_segment_fixed_size 272
		.amdhsa_private_segment_fixed_size 0
		.amdhsa_kernarg_size 384
		.amdhsa_user_sgpr_count 6
		.amdhsa_user_sgpr_private_segment_buffer 1
		.amdhsa_user_sgpr_dispatch_ptr 0
		.amdhsa_user_sgpr_queue_ptr 0
		.amdhsa_user_sgpr_kernarg_segment_ptr 1
		.amdhsa_user_sgpr_dispatch_id 0
		.amdhsa_user_sgpr_flat_scratch_init 0
		.amdhsa_user_sgpr_private_segment_size 0
		.amdhsa_wavefront_size32 1
		.amdhsa_uses_dynamic_stack 0
		.amdhsa_system_sgpr_private_segment_wavefront_offset 0
		.amdhsa_system_sgpr_workgroup_id_x 1
		.amdhsa_system_sgpr_workgroup_id_y 1
		.amdhsa_system_sgpr_workgroup_id_z 1
		.amdhsa_system_sgpr_workgroup_info 0
		.amdhsa_system_vgpr_workitem_id 0
		.amdhsa_next_free_vgpr 93
		.amdhsa_next_free_sgpr 38
		.amdhsa_reserve_vcc 1
		.amdhsa_reserve_flat_scratch 0
		.amdhsa_float_round_mode_32 0
		.amdhsa_float_round_mode_16_64 0
		.amdhsa_float_denorm_mode_32 3
		.amdhsa_float_denorm_mode_16_64 3
		.amdhsa_dx10_clamp 1
		.amdhsa_ieee_mode 1
		.amdhsa_fp16_overflow 0
		.amdhsa_workgroup_processor_mode 1
		.amdhsa_memory_ordered 1
		.amdhsa_forward_progress 1
		.amdhsa_shared_vgpr_count 0
		.amdhsa_exception_fp_ieee_invalid_op 0
		.amdhsa_exception_fp_denorm_src 0
		.amdhsa_exception_fp_ieee_div_zero 0
		.amdhsa_exception_fp_ieee_overflow 0
		.amdhsa_exception_fp_ieee_underflow 0
		.amdhsa_exception_fp_ieee_inexact 0
		.amdhsa_exception_int_div_zero 0
	.end_amdhsa_kernel
	.section	.text._ZN4vllm25paged_attention_v1_kernelIttLi120ELi16ELi128ELNS_18Fp8KVCacheDataTypeE0ELb1EEEvPT_PKS2_PKT0_S8_ifPKiSA_iPKfiiiSC_SC_iiiii,"axG",@progbits,_ZN4vllm25paged_attention_v1_kernelIttLi120ELi16ELi128ELNS_18Fp8KVCacheDataTypeE0ELb1EEEvPT_PKS2_PKT0_S8_ifPKiSA_iPKfiiiSC_SC_iiiii,comdat
.Lfunc_end77:
	.size	_ZN4vllm25paged_attention_v1_kernelIttLi120ELi16ELi128ELNS_18Fp8KVCacheDataTypeE0ELb1EEEvPT_PKS2_PKT0_S8_ifPKiSA_iPKfiiiSC_SC_iiiii, .Lfunc_end77-_ZN4vllm25paged_attention_v1_kernelIttLi120ELi16ELi128ELNS_18Fp8KVCacheDataTypeE0ELb1EEEvPT_PKS2_PKT0_S8_ifPKiSA_iPKfiiiSC_SC_iiiii
                                        ; -- End function
	.set _ZN4vllm25paged_attention_v1_kernelIttLi120ELi16ELi128ELNS_18Fp8KVCacheDataTypeE0ELb1EEEvPT_PKS2_PKT0_S8_ifPKiSA_iPKfiiiSC_SC_iiiii.num_vgpr, 93
	.set _ZN4vllm25paged_attention_v1_kernelIttLi120ELi16ELi128ELNS_18Fp8KVCacheDataTypeE0ELb1EEEvPT_PKS2_PKT0_S8_ifPKiSA_iPKfiiiSC_SC_iiiii.num_agpr, 0
	.set _ZN4vllm25paged_attention_v1_kernelIttLi120ELi16ELi128ELNS_18Fp8KVCacheDataTypeE0ELb1EEEvPT_PKS2_PKT0_S8_ifPKiSA_iPKfiiiSC_SC_iiiii.numbered_sgpr, 38
	.set _ZN4vllm25paged_attention_v1_kernelIttLi120ELi16ELi128ELNS_18Fp8KVCacheDataTypeE0ELb1EEEvPT_PKS2_PKT0_S8_ifPKiSA_iPKfiiiSC_SC_iiiii.num_named_barrier, 0
	.set _ZN4vllm25paged_attention_v1_kernelIttLi120ELi16ELi128ELNS_18Fp8KVCacheDataTypeE0ELb1EEEvPT_PKS2_PKT0_S8_ifPKiSA_iPKfiiiSC_SC_iiiii.private_seg_size, 0
	.set _ZN4vllm25paged_attention_v1_kernelIttLi120ELi16ELi128ELNS_18Fp8KVCacheDataTypeE0ELb1EEEvPT_PKS2_PKT0_S8_ifPKiSA_iPKfiiiSC_SC_iiiii.uses_vcc, 1
	.set _ZN4vllm25paged_attention_v1_kernelIttLi120ELi16ELi128ELNS_18Fp8KVCacheDataTypeE0ELb1EEEvPT_PKS2_PKT0_S8_ifPKiSA_iPKfiiiSC_SC_iiiii.uses_flat_scratch, 0
	.set _ZN4vllm25paged_attention_v1_kernelIttLi120ELi16ELi128ELNS_18Fp8KVCacheDataTypeE0ELb1EEEvPT_PKS2_PKT0_S8_ifPKiSA_iPKfiiiSC_SC_iiiii.has_dyn_sized_stack, 0
	.set _ZN4vllm25paged_attention_v1_kernelIttLi120ELi16ELi128ELNS_18Fp8KVCacheDataTypeE0ELb1EEEvPT_PKS2_PKT0_S8_ifPKiSA_iPKfiiiSC_SC_iiiii.has_recursion, 0
	.set _ZN4vllm25paged_attention_v1_kernelIttLi120ELi16ELi128ELNS_18Fp8KVCacheDataTypeE0ELb1EEEvPT_PKS2_PKT0_S8_ifPKiSA_iPKfiiiSC_SC_iiiii.has_indirect_call, 0
	.section	.AMDGPU.csdata,"",@progbits
; Kernel info:
; codeLenInByte = 11820
; TotalNumSgprs: 40
; NumVgprs: 93
; ScratchSize: 0
; MemoryBound: 0
; FloatMode: 240
; IeeeMode: 1
; LDSByteSize: 272 bytes/workgroup (compile time only)
; SGPRBlocks: 0
; VGPRBlocks: 11
; NumSGPRsForWavesPerEU: 40
; NumVGPRsForWavesPerEU: 93
; Occupancy: 10
; WaveLimiterHint : 1
; COMPUTE_PGM_RSRC2:SCRATCH_EN: 0
; COMPUTE_PGM_RSRC2:USER_SGPR: 6
; COMPUTE_PGM_RSRC2:TRAP_HANDLER: 0
; COMPUTE_PGM_RSRC2:TGID_X_EN: 1
; COMPUTE_PGM_RSRC2:TGID_Y_EN: 1
; COMPUTE_PGM_RSRC2:TGID_Z_EN: 1
; COMPUTE_PGM_RSRC2:TIDIG_COMP_CNT: 0
	.section	.text._ZN4vllm25paged_attention_v1_kernelIttLi128ELi16ELi128ELNS_18Fp8KVCacheDataTypeE0ELb1EEEvPT_PKS2_PKT0_S8_ifPKiSA_iPKfiiiSC_SC_iiiii,"axG",@progbits,_ZN4vllm25paged_attention_v1_kernelIttLi128ELi16ELi128ELNS_18Fp8KVCacheDataTypeE0ELb1EEEvPT_PKS2_PKT0_S8_ifPKiSA_iPKfiiiSC_SC_iiiii,comdat
	.protected	_ZN4vllm25paged_attention_v1_kernelIttLi128ELi16ELi128ELNS_18Fp8KVCacheDataTypeE0ELb1EEEvPT_PKS2_PKT0_S8_ifPKiSA_iPKfiiiSC_SC_iiiii ; -- Begin function _ZN4vllm25paged_attention_v1_kernelIttLi128ELi16ELi128ELNS_18Fp8KVCacheDataTypeE0ELb1EEEvPT_PKS2_PKT0_S8_ifPKiSA_iPKfiiiSC_SC_iiiii
	.globl	_ZN4vllm25paged_attention_v1_kernelIttLi128ELi16ELi128ELNS_18Fp8KVCacheDataTypeE0ELb1EEEvPT_PKS2_PKT0_S8_ifPKiSA_iPKfiiiSC_SC_iiiii
	.p2align	8
	.type	_ZN4vllm25paged_attention_v1_kernelIttLi128ELi16ELi128ELNS_18Fp8KVCacheDataTypeE0ELb1EEEvPT_PKS2_PKT0_S8_ifPKiSA_iPKfiiiSC_SC_iiiii,@function
_ZN4vllm25paged_attention_v1_kernelIttLi128ELi16ELi128ELNS_18Fp8KVCacheDataTypeE0ELb1EEEvPT_PKS2_PKT0_S8_ifPKiSA_iPKfiiiSC_SC_iiiii: ; @_ZN4vllm25paged_attention_v1_kernelIttLi128ELi16ELi128ELNS_18Fp8KVCacheDataTypeE0ELb1EEEvPT_PKS2_PKT0_S8_ifPKiSA_iPKfiiiSC_SC_iiiii
; %bb.0:
	s_clause 0x2
	s_load_dword s9, s[4:5], 0x80
	s_load_dwordx2 s[0:1], s[4:5], 0x30
	s_load_dwordx2 s[28:29], s[4:5], 0x20
	s_mov_b32 s10, s7
	s_ashr_i32 s11, s7, 31
	s_mov_b32 s33, 0
	s_lshl_b64 s[2:3], s[10:11], 2
	s_waitcnt lgkmcnt(0)
	s_add_u32 s0, s0, s2
	s_addc_u32 s1, s1, s3
	s_abs_i32 s2, s28
	s_abs_i32 s11, s9
	v_cvt_f32_u32_e32 v1, s2
	s_sub_i32 s7, 0, s2
	v_rcp_iflag_f32_e32 v1, v1
	v_mul_f32_e32 v1, 0x4f7ffffe, v1
	v_cvt_u32_f32_e32 v1, v1
	v_readfirstlane_b32 s3, v1
	s_mul_i32 s7, s7, s3
	s_mul_hi_u32 s7, s3, s7
	s_add_i32 s3, s3, s7
	s_xor_b32 s7, s9, s28
	s_mul_hi_u32 s3, s11, s3
	s_ashr_i32 s7, s7, 31
	s_mul_i32 s12, s3, s2
	s_sub_i32 s11, s11, s12
	s_add_i32 s12, s3, 1
	s_sub_i32 s13, s11, s2
	s_cmp_ge_u32 s11, s2
	s_cselect_b32 s3, s12, s3
	s_cselect_b32 s11, s13, s11
	s_add_i32 s12, s3, 1
	s_cmp_ge_u32 s11, s2
	s_cselect_b32 s2, s12, s3
	s_abs_i32 s22, s6
	s_xor_b32 s2, s2, s7
	s_sub_i32 s16, s2, s7
	s_load_dwordx2 s[2:3], s[4:5], 0x40
	s_abs_i32 s11, s16
	v_cvt_f32_u32_e32 v1, s11
	s_sub_i32 s12, 0, s11
	v_rcp_iflag_f32_e32 v1, v1
	v_mul_f32_e32 v1, 0x4f7ffffe, v1
	v_cvt_u32_f32_e32 v1, v1
	v_readfirstlane_b32 s7, v1
	s_mul_i32 s12, s12, s7
	s_mul_hi_u32 s12, s7, s12
	s_add_i32 s7, s7, s12
	s_waitcnt lgkmcnt(0)
	s_cmp_eq_u64 s[2:3], 0
	s_mul_hi_u32 s23, s22, s7
	s_cbranch_scc1 .LBB78_2
; %bb.1:
	s_ashr_i32 s7, s6, 31
	s_lshl_b64 s[12:13], s[6:7], 2
	s_add_u32 s2, s2, s12
	s_addc_u32 s3, s3, s13
	s_load_dword s33, s[2:3], 0x0
.LBB78_2:
	s_load_dword s30, s[0:1], 0x0
	s_load_dwordx4 s[12:15], s[4:5], 0x48
	v_lshrrev_b32_e32 v31, 1, v0
	v_and_b32_e32 v32, 1, v0
	v_cmp_gt_u32_e64 s0, 32, v0
	v_lshlrev_b32_e32 v35, 3, v0
	s_ashr_i32 s1, s6, 31
	s_ashr_i32 s2, s16, 31
	s_lshl_b32 s20, s6, 7
	s_and_saveexec_b32 s3, s0
	s_cbranch_execz .LBB78_4
; %bb.3:
	s_load_dwordx2 s[16:17], s[4:5], 0x8
	s_waitcnt lgkmcnt(0)
	s_mul_i32 s18, s12, s10
	v_lshlrev_b32_e32 v3, 3, v31
	s_ashr_i32 s19, s18, 31
	s_lshl_b64 s[18:19], s[18:19], 1
	v_lshl_add_u32 v3, v32, 7, v3
	s_add_u32 s7, s16, s18
	s_addc_u32 s12, s17, s19
	s_ashr_i32 s21, s20, 31
	s_lshl_b64 s[16:17], s[20:21], 1
	s_add_u32 s16, s7, s16
	s_addc_u32 s17, s12, s17
	global_load_dwordx2 v[1:2], v35, s[16:17]
	s_waitcnt vmcnt(0)
	ds_write_b64 v3, v[1:2]
.LBB78_4:
	s_or_b32 exec_lo, exec_lo, s3
	s_load_dwordx4 s[16:19], s[4:5], 0x68
	s_mul_i32 s3, s23, s11
	s_xor_b32 s2, s1, s2
	s_sub_i32 s1, s22, s3
	s_add_i32 s3, s23, 1
	s_sub_i32 s7, s1, s11
	s_cmp_ge_u32 s1, s11
	s_waitcnt lgkmcnt(0)
	s_mov_b32 s15, -1
	s_cselect_b32 s3, s3, s23
	s_cselect_b32 s1, s7, s1
	s_add_i32 s7, s3, 1
	s_cmp_ge_u32 s1, s11
	s_load_dword s1, s[4:5], 0x78
	s_cselect_b32 s3, s7, s3
	s_add_i32 s11, s30, -1
	s_xor_b32 s3, s3, s2
	s_abs_i32 s7, s11
	s_sub_i32 s2, s3, s2
	s_waitcnt lgkmcnt(0)
	s_barrier
	s_abs_i32 s12, s19
	buffer_gl0_inv
	v_cvt_f32_u32_e32 v1, s12
	s_sub_i32 s3, 0, s12
                                        ; implicit-def: $sgpr31
	v_rcp_iflag_f32_e32 v1, v1
	v_mul_f32_e32 v1, 0x4f7ffffe, v1
	v_cvt_u32_f32_e32 v1, v1
	v_readfirstlane_b32 s21, v1
	s_mul_i32 s3, s3, s21
	s_mul_hi_u32 s3, s21, s3
	s_add_i32 s21, s21, s3
	s_cmp_lt_i32 s1, 0
	s_mul_hi_u32 s3, s7, s21
	s_cbranch_scc0 .LBB78_6
; %bb.5:
	s_mul_i32 s15, s16, s28
	s_add_i32 s15, s2, s15
	s_mul_i32 s15, s15, s1
	s_sub_i32 s31, 1, s15
	s_mov_b32 s15, 0
.LBB78_6:
	s_load_dwordx2 s[22:23], s[4:5], 0x28
	s_ashr_i32 s11, s11, 31
	s_andn2_b32 vcc_lo, exec_lo, s15
	s_ashr_i32 s19, s19, 31
	s_cbranch_vccnz .LBB78_8
; %bb.7:
	s_mul_i32 s15, s9, s16
	s_add_i32 s6, s15, s6
	s_mul_i32 s1, s6, s1
	s_add_i32 s31, s1, 1
.LBB78_8:
	s_load_dword s1, s[4:5], 0x38
	s_mul_i32 s6, s3, s12
	s_xor_b32 s15, s11, s19
	s_sub_i32 s28, s7, s6
	s_add_i32 s16, s3, 1
	s_clause 0x2
	s_load_dwordx2 s[6:7], s[4:5], 0x0
	s_load_dwordx2 s[26:27], s[4:5], 0x18
	s_load_dword s11, s[4:5], 0x88
	v_lshrrev_b32_e32 v33, 5, v0
	v_mov_b32_e32 v38, 0xff7fffff
	v_lshrrev_b32_e32 v36, 3, v0
	v_mbcnt_lo_u32_b32 v37, -1, 0
	s_mul_i32 s14, s2, s14
	v_lshlrev_b32_e32 v34, 4, v33
	s_waitcnt lgkmcnt(0)
	s_mul_i32 s24, s1, s10
	s_sub_i32 s1, s28, s12
	s_ashr_i32 s25, s24, 31
	s_cmp_ge_u32 s28, s12
	s_cselect_b32 s3, s16, s3
	s_cselect_b32 s1, s1, s28
	s_add_i32 s16, s3, 1
	s_cmp_ge_u32 s1, s12
	s_cselect_b32 s1, s16, s3
	s_add_i32 s3, s30, 15
	s_ashr_i32 s16, s3, 31
	s_lshr_b32 s16, s16, 28
	s_add_i32 s3, s3, s16
	s_ashr_i32 s16, s3, 4
	s_xor_b32 s3, s1, s15
	v_cmp_gt_i32_e64 s1, s16, v33
	s_sub_i32 s28, s3, s15
	s_and_saveexec_b32 s34, s1
	s_cbranch_execz .LBB78_20
; %bb.9:
	s_load_dwordx2 s[2:3], s[4:5], 0x10
	s_ashr_i32 s15, s14, 31
	s_sub_i32 s5, s28, s17
	s_lshl_b64 s[36:37], s[14:15], 1
	v_bfe_u32 v39, v0, 1, 4
	v_and_b32_e32 v2, 0x7c, v36
	v_and_b32_e32 v3, 8, v35
	v_lshlrev_b32_e32 v40, 7, v32
	v_lshlrev_b32_e32 v41, 4, v33
	;; [unrolled: 1-line block ×3, first 2 shown]
	v_subrev_nc_u32_e32 v5, s30, v39
	v_mov_b32_e32 v42, 0xff7fffff
	v_xor_b32_e32 v43, 1, v37
	v_mov_b32_e32 v38, 0xff7fffff
	v_lshl_or_b32 v4, v33, 6, v4
	v_add_nc_u32_e32 v44, 1, v5
	v_mov_b32_e32 v49, v33
	v_cmp_eq_u32_e32 vcc_lo, 0, v32
	v_add_nc_u32_e32 v45, 0x120, v4
	s_waitcnt lgkmcnt(0)
	s_add_u32 s4, s2, s36
	s_addc_u32 s3, s3, s37
	s_abs_i32 s15, s18
	s_lshl_b64 s[36:37], s[24:25], 2
	v_cvt_f32_u32_e32 v1, s15
	s_sub_i32 s35, 0, s15
	v_cmp_neq_f32_e64 s2, s33, 0
	v_rcp_iflag_f32_e32 v1, v1
	v_mul_f32_e32 v1, 0x4f7ffffe, v1
	v_cvt_u32_f32_e32 v6, v1
	v_lshlrev_b32_e32 v1, 4, v39
	v_mul_lo_u32 v4, s35, v6
	v_add_co_u32 v5, s4, s4, v1
	v_add_co_ci_u32_e64 v7, null, s3, 0, s4
	s_add_u32 s3, s22, s36
	s_addc_u32 s4, s23, s37
	v_add_co_u32 v1, s3, s3, v2
	v_mul_hi_u32 v4, v6, v4
	v_add_co_ci_u32_e64 v2, null, s4, 0, s3
	v_add_co_u32 v46, s3, v5, v3
	v_add_co_ci_u32_e64 v47, null, 0, v7, s3
	s_mov_b32 s35, 0
	v_add_nc_u32_e32 v48, v6, v4
	s_mov_b32 s36, s13
	s_branch .LBB78_12
.LBB78_10:                              ;   in Loop: Header=BB78_12 Depth=1
	s_or_b32 exec_lo, exec_lo, s37
.LBB78_11:                              ;   in Loop: Header=BB78_12 Depth=1
	s_or_b32 exec_lo, exec_lo, s4
	v_add_nc_u32_e32 v49, 4, v49
	v_add_co_u32 v1, s4, v1, 16
	v_add_co_ci_u32_e64 v2, null, 0, v2, s4
	v_cmp_le_i32_e64 s3, s16, v49
	v_add_nc_u32_e32 v41, 64, v41
	v_add_nc_u32_e32 v45, 0x100, v45
	s_or_b32 s35, s3, s35
	s_andn2_b32 exec_lo, exec_lo, s35
	s_cbranch_execz .LBB78_19
.LBB78_12:                              ; =>This Inner Loop Header: Depth=1
	v_mul_hi_u32 v3, v41, s21
	s_waitcnt lgkmcnt(0)
	v_mul_lo_u32 v4, v3, s12
	v_add_nc_u32_e32 v5, 1, v3
	v_sub_nc_u32_e32 v4, v41, v4
	v_subrev_nc_u32_e32 v6, s12, v4
	v_cmp_le_u32_e64 s3, s12, v4
	v_cndmask_b32_e64 v3, v3, v5, s3
	v_cndmask_b32_e64 v4, v4, v6, s3
	v_add_nc_u32_e32 v5, 1, v3
	v_cmp_le_u32_e64 s3, s12, v4
	v_cndmask_b32_e64 v3, v3, v5, s3
	v_xor_b32_e32 v3, s19, v3
	v_subrev_nc_u32_e32 v3, s19, v3
	v_add_nc_u32_e32 v4, s31, v3
	v_cmp_ge_i32_e64 s4, s5, v3
	v_sub_nc_u32_e32 v5, 0, v4
	v_max_i32_e32 v5, v4, v5
	v_ashrrev_i32_e32 v4, 31, v4
	v_mul_hi_u32 v6, v5, v48
	v_mul_lo_u32 v6, v6, s15
	v_sub_nc_u32_e32 v5, v5, v6
	v_subrev_nc_u32_e32 v6, s15, v5
	v_cmp_le_u32_e64 s3, s15, v5
	v_cndmask_b32_e64 v5, v5, v6, s3
	v_subrev_nc_u32_e32 v6, s15, v5
	v_cmp_le_u32_e64 s3, s15, v5
	v_cndmask_b32_e64 v5, v5, v6, s3
	v_xor_b32_e32 v5, v5, v4
	v_sub_nc_u32_e32 v4, v5, v4
	v_cmp_ne_u32_e64 s3, 0, v4
	s_and_b32 s3, s3, s4
	s_and_saveexec_b32 s4, s3
	s_xor_b32 s3, exec_lo, s4
	s_cbranch_execz .LBB78_16
; %bb.13:                               ;   in Loop: Header=BB78_12 Depth=1
	s_and_saveexec_b32 s4, vcc_lo
; %bb.14:                               ;   in Loop: Header=BB78_12 Depth=1
	ds_write_b32 v45, v42
; %bb.15:                               ;   in Loop: Header=BB78_12 Depth=1
	s_or_b32 exec_lo, exec_lo, s4
.LBB78_16:                              ;   in Loop: Header=BB78_12 Depth=1
	s_andn2_saveexec_b32 s4, s3
	s_cbranch_execz .LBB78_11
; %bb.17:                               ;   in Loop: Header=BB78_12 Depth=1
	global_load_dword v3, v[1:2], off
	s_waitcnt vmcnt(0)
	v_mad_i64_i32 v[3:4], null, v3, s36, 0
	v_lshlrev_b64 v[3:4], 1, v[3:4]
	v_add_co_u32 v3, s3, v46, v3
	v_add_co_ci_u32_e64 v4, null, v47, v4, s3
	s_clause 0x7
	global_load_dwordx2 v[50:51], v[3:4], off
	global_load_dwordx2 v[58:59], v[3:4], off offset:256
	global_load_dwordx2 v[29:30], v[3:4], off offset:512
	;; [unrolled: 1-line block ×7, first 2 shown]
	v_add_co_u32 v3, s3, 0x800, v3
	v_add_co_ci_u32_e64 v4, null, 0, v4, s3
	ds_read_b64 v[5:6], v40
	v_cmp_gt_i32_e64 s3, 32, v43
	s_clause 0x1
	global_load_dwordx2 v[15:16], v[3:4], off
	global_load_dwordx2 v[17:18], v[3:4], off offset:256
	s_waitcnt lgkmcnt(0)
	v_and_b32_e32 v52, 0xffff, v5
	v_lshrrev_b32_e32 v53, 16, v5
	v_lshrrev_b32_e32 v60, 16, v6
	v_and_b32_e32 v61, 0xffff, v6
	s_clause 0x5
	global_load_dwordx2 v[13:14], v[3:4], off offset:512
	global_load_dwordx2 v[11:12], v[3:4], off offset:768
	;; [unrolled: 1-line block ×6, first 2 shown]
	;;#ASMSTART
	v_cvt_f32_f16 v55, v52;
	;;#ASMEND
	;;#ASMSTART
	v_cvt_f32_f16 v54, v53;
	;;#ASMEND
	s_waitcnt vmcnt(15)
	v_and_b32_e32 v52, 0xffff, v50
	v_lshrrev_b32_e32 v50, 16, v50
	v_and_b32_e32 v53, 0xffff, v51
	v_lshrrev_b32_e32 v62, 16, v51
	;;#ASMSTART
	v_cvt_f32_f16 v57, v52;
	;;#ASMEND
	;;#ASMSTART
	v_cvt_f32_f16 v56, v50;
	;;#ASMEND
	;; [unrolled: 3-line block ×6, first 2 shown]
	ds_read_b64 v[60:61], v40 offset:8
	s_waitcnt vmcnt(14)
	v_lshrrev_b32_e32 v63, 16, v58
	v_and_b32_e32 v58, 0xffff, v58
	v_lshrrev_b32_e32 v66, 16, v59
	v_and_b32_e32 v59, 0xffff, v59
	s_waitcnt vmcnt(13)
	v_lshrrev_b32_e32 v69, 16, v29
	v_and_b32_e32 v68, 0xffff, v29
	v_lshrrev_b32_e32 v72, 16, v30
	v_and_b32_e32 v71, 0xffff, v30
	;; [unrolled: 5-line block ×4, first 2 shown]
	s_waitcnt vmcnt(10)
	v_lshrrev_b32_e32 v86, 16, v23
	v_and_b32_e32 v87, 0xffff, v23
	v_lshrrev_b32_e32 v88, 16, v24
	s_waitcnt lgkmcnt(0)
	v_and_b32_e32 v62, 0xffff, v60
	v_lshrrev_b32_e32 v64, 16, v60
	v_and_b32_e32 v65, 0xffff, v61
	v_lshrrev_b32_e32 v67, 16, v61
	;;#ASMSTART
	v_cvt_f32_f16 v60, v62;
	;;#ASMEND
	;;#ASMSTART
	v_cvt_f32_f16 v61, v64;
	;;#ASMEND
	;; [unrolled: 3-line block ×8, first 2 shown]
	ds_read_b64 v[66:67], v40 offset:16
	v_and_b32_e32 v24, 0xffff, v24
	s_waitcnt vmcnt(9)
	v_lshrrev_b32_e32 v89, 16, v21
	v_and_b32_e32 v90, 0xffff, v21
	v_lshrrev_b32_e32 v91, 16, v22
	v_and_b32_e32 v92, 0xffff, v22
	v_mul_f32_e32 v22, v60, v62
	v_mul_f32_e32 v21, v64, v65
	;; [unrolled: 1-line block ×3, first 2 shown]
	v_fmac_f32_e32 v22, v55, v57
	v_fmac_f32_e32 v21, v51, v53
	;; [unrolled: 1-line block ×3, first 2 shown]
	s_waitcnt lgkmcnt(0)
	v_and_b32_e32 v29, 0xffff, v66
	v_lshrrev_b32_e32 v70, 16, v66
	v_and_b32_e32 v73, 0xffff, v67
	v_lshrrev_b32_e32 v67, 16, v67
	;;#ASMSTART
	v_cvt_f32_f16 v66, v29;
	;;#ASMEND
	;;#ASMSTART
	v_cvt_f32_f16 v29, v70;
	;;#ASMEND
	;; [unrolled: 3-line block ×8, first 2 shown]
	ds_read_b64 v[72:73], v40 offset:24
	v_fmac_f32_e32 v22, v66, v68
	s_waitcnt vmcnt(7)
	v_lshrrev_b32_e32 v66, 16, v15
	v_fmac_f32_e32 v23, v29, v30
	v_and_b32_e32 v15, 0xffff, v15
	v_fmac_f32_e32 v21, v70, v71
	s_waitcnt vmcnt(6)
	v_lshrrev_b32_e32 v70, 16, v17
	v_and_b32_e32 v71, 0xffff, v17
	s_waitcnt lgkmcnt(0)
	v_and_b32_e32 v27, 0xffff, v72
	v_lshrrev_b32_e32 v76, 16, v72
	v_and_b32_e32 v79, 0xffff, v73
	v_lshrrev_b32_e32 v73, 16, v73
	;;#ASMSTART
	v_cvt_f32_f16 v72, v27;
	;;#ASMEND
	;;#ASMSTART
	v_cvt_f32_f16 v27, v76;
	;;#ASMEND
	;;#ASMSTART
	v_cvt_f32_f16 v74, v74;
	;;#ASMEND
	;;#ASMSTART
	v_cvt_f32_f16 v28, v75;
	;;#ASMEND
	;;#ASMSTART
	v_cvt_f32_f16 v76, v79;
	;;#ASMEND
	;;#ASMSTART
	v_cvt_f32_f16 v73, v73;
	;;#ASMEND
	;;#ASMSTART
	v_cvt_f32_f16 v77, v77;
	;;#ASMEND
	;;#ASMSTART
	v_cvt_f32_f16 v75, v78;
	;;#ASMEND
	ds_read_b64 v[78:79], v40 offset:32
	v_fmac_f32_e32 v22, v72, v74
	v_lshrrev_b32_e32 v74, 16, v18
	v_and_b32_e32 v72, 0xffff, v18
	v_fmac_f32_e32 v21, v76, v77
	v_fmac_f32_e32 v23, v27, v28
	s_waitcnt lgkmcnt(0)
	v_and_b32_e32 v80, 0xffff, v78
	v_lshrrev_b32_e32 v82, 16, v78
	v_and_b32_e32 v83, 0xffff, v79
	v_lshrrev_b32_e32 v84, 16, v79
	;;#ASMSTART
	v_cvt_f32_f16 v78, v80;
	;;#ASMEND
	;;#ASMSTART
	v_cvt_f32_f16 v79, v82;
	;;#ASMEND
	;; [unrolled: 3-line block ×8, first 2 shown]
	ds_read_b64 v[25:26], v40 offset:40
	v_fmac_f32_e32 v22, v78, v80
	v_fmac_f32_e32 v23, v79, v81
	s_waitcnt vmcnt(4)
	v_lshrrev_b32_e32 v80, 16, v11
	v_fmac_f32_e32 v21, v82, v84
	v_and_b32_e32 v11, 0xffff, v11
	v_lshrrev_b32_e32 v84, 16, v12
	v_and_b32_e32 v12, 0xffff, v12
	s_waitcnt lgkmcnt(0)
	v_and_b32_e32 v60, 0xffff, v25
	v_lshrrev_b32_e32 v25, 16, v25
	v_and_b32_e32 v64, 0xffff, v26
	v_lshrrev_b32_e32 v26, 16, v26
	;;#ASMSTART
	v_cvt_f32_f16 v60, v60;
	;;#ASMEND
	;;#ASMSTART
	v_cvt_f32_f16 v61, v25;
	;;#ASMEND
	;; [unrolled: 3-line block ×8, first 2 shown]
	ds_read_b64 v[24:25], v40 offset:48
	v_fmac_f32_e32 v22, v60, v62
	v_fmac_f32_e32 v23, v61, v63
	;; [unrolled: 1-line block ×3, first 2 shown]
	s_waitcnt vmcnt(2)
	v_lshrrev_b32_e32 v86, 16, v7
	v_and_b32_e32 v7, 0xffff, v7
	s_waitcnt lgkmcnt(0)
	v_and_b32_e32 v26, 0xffff, v24
	v_lshrrev_b32_e32 v93, 16, v25
	v_and_b32_e32 v25, 0xffff, v25
	v_lshrrev_b32_e32 v24, 16, v24
	;;#ASMSTART
	v_cvt_f32_f16 v54, v26;
	;;#ASMEND
	;;#ASMSTART
	v_cvt_f32_f16 v55, v24;
	;;#ASMEND
	;; [unrolled: 3-line block ×8, first 2 shown]
	ds_read_b64 v[25:26], v40 offset:56
	v_mul_f32_e32 v24, v58, v59
	v_lshrrev_b32_e32 v58, 16, v19
	v_and_b32_e32 v19, 0xffff, v19
	v_lshrrev_b32_e32 v59, 16, v20
	v_and_b32_e32 v20, 0xffff, v20
	v_fmac_f32_e32 v24, v50, v52
	v_lshrrev_b32_e32 v92, 16, v16
	v_and_b32_e32 v16, 0xffff, v16
	v_fmac_f32_e32 v22, v54, v56
	v_fmac_f32_e32 v23, v55, v57
	;; [unrolled: 1-line block ×5, first 2 shown]
	s_waitcnt lgkmcnt(0)
	v_and_b32_e32 v50, 0xffff, v25
	v_lshrrev_b32_e32 v51, 16, v25
	v_lshrrev_b32_e32 v53, 16, v26
	v_and_b32_e32 v52, 0xffff, v26
	;;#ASMSTART
	v_cvt_f32_f16 v25, v50;
	;;#ASMEND
	;;#ASMSTART
	v_cvt_f32_f16 v26, v51;
	;;#ASMEND
	;;#ASMSTART
	v_cvt_f32_f16 v50, v19;
	;;#ASMEND
	;;#ASMSTART
	v_cvt_f32_f16 v51, v58;
	;;#ASMEND
	;;#ASMSTART
	v_cvt_f32_f16 v52, v52;
	;;#ASMEND
	;;#ASMSTART
	v_cvt_f32_f16 v53, v53;
	;;#ASMEND
	;;#ASMSTART
	v_cvt_f32_f16 v58, v20;
	;;#ASMEND
	;;#ASMSTART
	v_cvt_f32_f16 v59, v59;
	;;#ASMEND
	ds_read_b64 v[19:20], v40 offset:64
	v_fmac_f32_e32 v24, v83, v85
	v_fmac_f32_e32 v22, v25, v50
	;; [unrolled: 1-line block ×4, first 2 shown]
	s_waitcnt vmcnt(1)
	v_lshrrev_b32_e32 v25, 16, v6
	v_fmac_f32_e32 v24, v65, v87
	v_lshrrev_b32_e32 v87, 16, v8
	v_and_b32_e32 v8, 0xffff, v8
	v_and_b32_e32 v6, 0xffff, v6
	s_waitcnt vmcnt(0)
	v_lshrrev_b32_e32 v26, 16, v3
	v_fmac_f32_e32 v24, v89, v91
	v_fmac_f32_e32 v24, v53, v59
	s_waitcnt lgkmcnt(0)
	v_and_b32_e32 v29, 0xffff, v19
	v_lshrrev_b32_e32 v30, 16, v19
	v_lshrrev_b32_e32 v67, 16, v20
	v_and_b32_e32 v68, 0xffff, v20
	;;#ASMSTART
	v_cvt_f32_f16 v19, v29;
	;;#ASMEND
	;;#ASMSTART
	v_cvt_f32_f16 v20, v30;
	;;#ASMEND
	;; [unrolled: 3-line block ×8, first 2 shown]
	ds_read_b64 v[15:16], v40 offset:72
	v_lshrrev_b32_e32 v92, 16, v14
	v_and_b32_e32 v14, 0xffff, v14
	v_fmac_f32_e32 v22, v19, v29
	v_fmac_f32_e32 v23, v20, v30
	;; [unrolled: 1-line block ×4, first 2 shown]
	s_waitcnt lgkmcnt(0)
	v_and_b32_e32 v17, 0xffff, v15
	v_lshrrev_b32_e32 v15, 16, v15
	v_lshrrev_b32_e32 v76, 16, v16
	v_and_b32_e32 v16, 0xffff, v16
	;;#ASMSTART
	v_cvt_f32_f16 v17, v17;
	;;#ASMEND
	;;#ASMSTART
	v_cvt_f32_f16 v18, v15;
	;;#ASMEND
	;;#ASMSTART
	v_cvt_f32_f16 v27, v71;
	;;#ASMEND
	;;#ASMSTART
	v_cvt_f32_f16 v28, v70;
	;;#ASMEND
	;;#ASMSTART
	v_cvt_f32_f16 v70, v16;
	;;#ASMEND
	;;#ASMSTART
	v_cvt_f32_f16 v71, v76;
	;;#ASMEND
	;;#ASMSTART
	v_cvt_f32_f16 v72, v72;
	;;#ASMEND
	;;#ASMSTART
	v_cvt_f32_f16 v74, v74;
	;;#ASMEND
	ds_read_b64 v[15:16], v40 offset:80
	v_lshrrev_b32_e32 v76, 16, v13
	v_and_b32_e32 v13, 0xffff, v13
	v_fmac_f32_e32 v22, v17, v27
	v_fmac_f32_e32 v23, v18, v28
	;; [unrolled: 1-line block ×4, first 2 shown]
	s_waitcnt lgkmcnt(0)
	v_and_b32_e32 v73, 0xffff, v15
	v_lshrrev_b32_e32 v75, 16, v15
	v_lshrrev_b32_e32 v77, 16, v16
	v_and_b32_e32 v78, 0xffff, v16
	;;#ASMSTART
	v_cvt_f32_f16 v15, v73;
	;;#ASMEND
	;;#ASMSTART
	v_cvt_f32_f16 v16, v75;
	;;#ASMEND
	;; [unrolled: 3-line block ×8, first 2 shown]
	ds_read_b64 v[13:14], v40 offset:88
	v_fmac_f32_e32 v22, v15, v73
	v_fmac_f32_e32 v23, v16, v75
	v_lshrrev_b32_e32 v92, 16, v5
	v_and_b32_e32 v5, 0xffff, v5
	v_fmac_f32_e32 v21, v76, v78
	v_fmac_f32_e32 v24, v77, v79
	s_waitcnt lgkmcnt(0)
	v_and_b32_e32 v81, 0xffff, v13
	v_lshrrev_b32_e32 v82, 16, v13
	v_lshrrev_b32_e32 v83, 16, v14
	v_and_b32_e32 v85, 0xffff, v14
	;;#ASMSTART
	v_cvt_f32_f16 v13, v81;
	;;#ASMEND
	;;#ASMSTART
	v_cvt_f32_f16 v14, v82;
	;;#ASMEND
	;; [unrolled: 3-line block ×8, first 2 shown]
	ds_read_b64 v[11:12], v40 offset:96
	v_lshrrev_b32_e32 v84, 16, v9
	v_and_b32_e32 v9, 0xffff, v9
	v_lshrrev_b32_e32 v85, 16, v10
	v_and_b32_e32 v10, 0xffff, v10
	v_fmac_f32_e32 v22, v13, v60
	v_fmac_f32_e32 v23, v14, v62
	;; [unrolled: 1-line block ×4, first 2 shown]
	v_and_b32_e32 v13, 0xffff, v3
	s_waitcnt lgkmcnt(0)
	v_and_b32_e32 v61, 0xffff, v11
	v_lshrrev_b32_e32 v63, 16, v11
	v_lshrrev_b32_e32 v65, 16, v12
	v_and_b32_e32 v64, 0xffff, v12
	;;#ASMSTART
	v_cvt_f32_f16 v11, v61;
	;;#ASMEND
	;;#ASMSTART
	v_cvt_f32_f16 v12, v63;
	;;#ASMEND
	;; [unrolled: 3-line block ×8, first 2 shown]
	ds_read_b64 v[9:10], v40 offset:104
	v_fmac_f32_e32 v22, v11, v61
	v_fmac_f32_e32 v23, v12, v63
	;; [unrolled: 1-line block ×4, first 2 shown]
	v_lshrrev_b32_e32 v11, 16, v4
	s_waitcnt lgkmcnt(0)
	v_and_b32_e32 v54, 0xffff, v9
	v_lshrrev_b32_e32 v55, 16, v9
	v_lshrrev_b32_e32 v57, 16, v10
	v_and_b32_e32 v56, 0xffff, v10
	;;#ASMSTART
	v_cvt_f32_f16 v9, v54;
	;;#ASMEND
	;;#ASMSTART
	v_cvt_f32_f16 v10, v55;
	;;#ASMEND
	;; [unrolled: 3-line block ×8, first 2 shown]
	ds_read_b64 v[7:8], v40 offset:112
	v_fmac_f32_e32 v22, v9, v54
	v_fmac_f32_e32 v23, v10, v55
	;; [unrolled: 1-line block ×3, first 2 shown]
	v_and_b32_e32 v9, 0xffff, v4
	v_fmac_f32_e32 v24, v57, v87
	s_waitcnt lgkmcnt(0)
	v_and_b32_e32 v15, 0xffff, v7
	v_lshrrev_b32_e32 v16, 16, v7
	v_lshrrev_b32_e32 v18, 16, v8
	v_and_b32_e32 v17, 0xffff, v8
	;;#ASMSTART
	v_cvt_f32_f16 v7, v15;
	;;#ASMEND
	;;#ASMSTART
	v_cvt_f32_f16 v8, v16;
	;;#ASMEND
	;; [unrolled: 3-line block ×8, first 2 shown]
	ds_read_b64 v[5:6], v40 offset:120
	v_fmac_f32_e32 v22, v7, v15
	v_fmac_f32_e32 v23, v8, v16
	;; [unrolled: 1-line block ×4, first 2 shown]
	s_waitcnt lgkmcnt(0)
	v_and_b32_e32 v3, 0xffff, v5
	v_lshrrev_b32_e32 v4, 16, v5
	v_lshrrev_b32_e32 v7, 16, v6
	v_and_b32_e32 v8, 0xffff, v6
	;;#ASMSTART
	v_cvt_f32_f16 v3, v3;
	;;#ASMEND
	;;#ASMSTART
	v_cvt_f32_f16 v4, v4;
	;;#ASMEND
	;; [unrolled: 3-line block ×4, first 2 shown]
	v_fmac_f32_e32 v22, v3, v5
	v_fmac_f32_e32 v23, v4, v6
	;;#ASMSTART
	v_cvt_f32_f16 v3, v8;
	;;#ASMEND
	;;#ASMSTART
	v_cvt_f32_f16 v4, v7;
	;;#ASMEND
	;; [unrolled: 3-line block ×3, first 2 shown]
	v_fmac_f32_e32 v21, v3, v5
	v_add_f32_e32 v3, v22, v23
	;;#ASMSTART
	v_cvt_f32_f16 v5, v11;
	;;#ASMEND
	v_fmac_f32_e32 v24, v4, v5
	v_cndmask_b32_e64 v4, v37, v43, s3
	v_add_f32_e32 v3, v3, v21
	v_lshlrev_b32_e32 v4, 2, v4
	v_add_f32_e32 v3, v24, v3
	ds_bpermute_b32 v4, v4, v3
	s_and_saveexec_b32 s37, vcc_lo
	s_cbranch_execz .LBB78_10
; %bb.18:                               ;   in Loop: Header=BB78_12 Depth=1
	v_add_nc_u32_e32 v5, v44, v41
	s_waitcnt lgkmcnt(0)
	v_add_f32_e32 v3, v3, v4
	v_cvt_f32_i32_e32 v5, v5
	v_mul_f32_e32 v5, s33, v5
	v_cndmask_b32_e64 v4, 0, v5, s2
	v_max_f32_e32 v5, v38, v38
	v_fmac_f32_e32 v4, s29, v3
	v_add_nc_u32_e32 v3, v39, v41
	v_max_f32_e32 v5, v5, v4
	v_cmp_gt_i32_e64 s3, s30, v3
	v_cndmask_b32_e64 v3, 0, v4, s3
	v_cndmask_b32_e64 v38, v38, v5, s3
	ds_write_b32 v45, v3
	s_branch .LBB78_10
.LBB78_19:
	s_or_b32 exec_lo, exec_lo, s35
.LBB78_20:
	s_or_b32 exec_lo, exec_lo, s34
	v_xor_b32_e32 v1, 16, v37
	v_xor_b32_e32 v3, 8, v37
	v_max_f32_e32 v5, v38, v38
	v_xor_b32_e32 v6, 2, v37
	v_and_b32_e32 v9, 31, v0
	v_cmp_gt_i32_e32 vcc_lo, 32, v1
	v_cndmask_b32_e32 v1, v37, v1, vcc_lo
	v_cmp_gt_i32_e32 vcc_lo, 32, v3
	v_lshlrev_b32_e32 v2, 2, v1
	v_cndmask_b32_e32 v3, v37, v3, vcc_lo
	ds_bpermute_b32 v1, v2, v38
	s_waitcnt lgkmcnt(1)
	v_lshlrev_b32_e32 v4, 2, v3
	s_waitcnt lgkmcnt(0)
	v_max_f32_e32 v1, v1, v1
	v_max_f32_e32 v1, v5, v1
	v_xor_b32_e32 v5, 4, v37
	ds_bpermute_b32 v3, v4, v1
	v_cmp_gt_i32_e32 vcc_lo, 32, v5
	v_cndmask_b32_e32 v5, v37, v5, vcc_lo
	v_cmp_gt_i32_e32 vcc_lo, 32, v6
	v_lshlrev_b32_e32 v5, 2, v5
	v_cndmask_b32_e32 v6, v37, v6, vcc_lo
	v_cmp_eq_u32_e32 vcc_lo, 0, v9
	s_waitcnt lgkmcnt(0)
	v_max_f32_e32 v3, v3, v3
	v_max_f32_e32 v1, v1, v3
	ds_bpermute_b32 v3, v5, v1
	s_waitcnt lgkmcnt(0)
	v_max_f32_e32 v3, v3, v3
	v_max_f32_e32 v3, v1, v3
	v_lshlrev_b32_e32 v1, 2, v6
	v_lshlrev_b32_e32 v6, 2, v33
	ds_bpermute_b32 v7, v1, v3
	s_and_saveexec_b32 s2, vcc_lo
	s_cbranch_execz .LBB78_22
; %bb.21:
	s_waitcnt lgkmcnt(0)
	v_max_f32_e32 v7, v7, v7
	v_max_f32_e32 v3, v3, v3
	;; [unrolled: 1-line block ×3, first 2 shown]
	ds_write_b32 v6, v3 offset:256
.LBB78_22:
	s_or_b32 exec_lo, exec_lo, s2
	v_cmp_gt_u32_e64 s2, 4, v9
	v_mov_b32_e32 v3, 0xff7fffff
	s_waitcnt lgkmcnt(0)
	v_lshlrev_b32_e32 v7, 2, v9
	s_barrier
	buffer_gl0_inv
	s_and_saveexec_b32 s3, s2
; %bb.23:
	ds_read_b32 v3, v7 offset:256
; %bb.24:
	s_or_b32 exec_lo, exec_lo, s3
	s_waitcnt lgkmcnt(0)
	ds_bpermute_b32 v8, v1, v3
	v_xor_b32_e32 v10, 1, v37
	v_max_f32_e32 v3, v3, v3
	v_cmp_gt_i32_e64 s3, 32, v10
	v_cndmask_b32_e64 v10, v37, v10, s3
	s_lshl_b32 s3, s16, 4
	s_min_i32 s5, s3, s30
	v_lshlrev_b32_e32 v10, 2, v10
	v_cmp_gt_i32_e64 s3, s5, v0
	s_waitcnt lgkmcnt(0)
	v_max_f32_e32 v8, v8, v8
	v_max_f32_e32 v3, v3, v8
	ds_bpermute_b32 v8, v10, v3
	s_waitcnt lgkmcnt(0)
	v_max_f32_e32 v8, v8, v8
	v_max_f32_e32 v3, v3, v8
	v_mov_b32_e32 v8, 0
	ds_bpermute_b32 v11, v8, v3
	v_lshl_add_u32 v3, v0, 2, 0x120
	s_and_saveexec_b32 s15, s3
	s_cbranch_execz .LBB78_28
; %bb.25:
	v_lshl_add_u32 v12, v0, 2, 0x120
	v_mov_b32_e32 v8, 0
	v_mov_b32_e32 v13, v0
	s_mov_b32 s29, 0
	.p2align	6
.LBB78_26:                              ; =>This Inner Loop Header: Depth=1
	ds_read_b32 v14, v12
	v_add_nc_u32_e32 v13, 0x80, v13
	v_cmp_le_i32_e64 s4, s5, v13
	s_or_b32 s29, s4, s29
	s_waitcnt lgkmcnt(0)
	v_sub_f32_e32 v14, v14, v11
	v_mul_f32_e32 v14, 0x3fb8aa3b, v14
	v_exp_f32_e32 v14, v14
	ds_write_b32 v12, v14
	v_add_f32_e32 v8, v8, v14
	v_add_nc_u32_e32 v12, 0x200, v12
	s_andn2_b32 exec_lo, exec_lo, s29
	s_cbranch_execnz .LBB78_26
; %bb.27:
	s_or_b32 exec_lo, exec_lo, s29
.LBB78_28:
	s_or_b32 exec_lo, exec_lo, s15
	ds_bpermute_b32 v2, v2, v8
	s_waitcnt lgkmcnt(0)
	v_add_f32_e32 v2, v8, v2
	ds_bpermute_b32 v4, v4, v2
	s_waitcnt lgkmcnt(0)
	v_add_f32_e32 v2, v2, v4
	;; [unrolled: 3-line block ×5, first 2 shown]
	s_and_saveexec_b32 s4, vcc_lo
; %bb.29:
	ds_write_b32 v6, v2 offset:272
; %bb.30:
	s_or_b32 exec_lo, exec_lo, s4
	s_waitcnt lgkmcnt(0)
	s_barrier
	buffer_gl0_inv
	s_and_saveexec_b32 s4, s2
; %bb.31:
	ds_read_b32 v2, v7 offset:272
; %bb.32:
	s_or_b32 exec_lo, exec_lo, s4
	s_waitcnt lgkmcnt(0)
	ds_bpermute_b32 v1, v1, v2
	s_waitcnt lgkmcnt(0)
	v_add_f32_e32 v1, v2, v1
	ds_bpermute_b32 v2, v10, v1
	s_waitcnt lgkmcnt(0)
	v_add_f32_e32 v1, v1, v2
	v_mov_b32_e32 v2, 0
	ds_bpermute_b32 v1, v2, v1
	s_and_saveexec_b32 s2, s3
	s_cbranch_execz .LBB78_35
; %bb.33:
	s_waitcnt lgkmcnt(0)
	v_add_f32_e32 v1, 0x358637bd, v1
	s_mov_b32 s3, 0
	v_div_scale_f32 v2, null, v1, v1, 1.0
	v_div_scale_f32 v6, vcc_lo, 1.0, v1, 1.0
	v_rcp_f32_e32 v4, v2
	v_fma_f32 v5, -v2, v4, 1.0
	v_fmac_f32_e32 v4, v5, v4
	v_mul_f32_e32 v5, v6, v4
	v_fma_f32 v7, -v2, v5, v6
	v_fmac_f32_e32 v5, v7, v4
	v_fma_f32 v2, -v2, v5, v6
	v_div_fmas_f32 v2, v2, v4, v5
	v_div_fixup_f32 v1, v2, v1, 1.0
	v_mov_b32_e32 v2, v0
.LBB78_34:                              ; =>This Inner Loop Header: Depth=1
	ds_read_b32 v4, v3
	v_add_nc_u32_e32 v2, 0x80, v2
	v_cmp_le_i32_e32 vcc_lo, s5, v2
	s_or_b32 s3, vcc_lo, s3
	s_waitcnt lgkmcnt(0)
	v_mul_f32_e32 v4, v1, v4
	ds_write_b32 v3, v4
	v_add_nc_u32_e32 v3, 0x200, v3
	s_andn2_b32 exec_lo, exec_lo, s3
	s_cbranch_execnz .LBB78_34
.LBB78_35:
	s_or_b32 exec_lo, exec_lo, s2
	v_mov_b32_e32 v18, 0
	v_mov_b32_e32 v17, 0
	;; [unrolled: 1-line block ×8, first 2 shown]
	s_waitcnt lgkmcnt(0)
	s_barrier
	buffer_gl0_inv
	s_and_saveexec_b32 s3, s1
	s_cbranch_execz .LBB78_57
; %bb.36:
	s_ashr_i32 s15, s14, 31
	s_sub_i32 s4, s28, s17
	s_lshl_b64 s[14:15], s[14:15], 1
	v_lshlrev_b32_e32 v2, 4, v0
	s_add_u32 s1, s26, s14
	s_addc_u32 s2, s27, s15
	s_abs_i32 s5, s18
	v_lshlrev_b32_e32 v4, 5, v32
	v_cvt_f32_u32_e32 v1, s5
	s_sub_i32 s14, 0, s5
	v_and_b32_e32 v2, 0x1f0, v2
	v_and_b32_e32 v3, 0x7c, v36
	s_lshl_b64 s[24:25], s[24:25], 2
	v_rcp_iflag_f32_e32 v1, v1
	v_lshl_or_b32 v4, v33, 6, v4
	v_add_co_u32 v21, s1, s1, v2
	v_add_co_ci_u32_e64 v22, null, s2, 0, s1
	v_and_b32_e32 v19, 8, v35
	v_mov_b32_e32 v20, 0
	v_mov_b32_e32 v11, 0
	;; [unrolled: 1-line block ×3, first 2 shown]
	v_mul_f32_e32 v1, 0x4f7ffffe, v1
	v_mov_b32_e32 v13, 0
	v_mov_b32_e32 v14, 0
	;; [unrolled: 1-line block ×4, first 2 shown]
	v_cvt_u32_f32_e32 v1, v1
	v_mov_b32_e32 v17, 0
	v_mov_b32_e32 v18, 0
	v_add_nc_u32_e32 v23, 0x120, v4
	v_mov_b32_e32 v25, v33
	v_mul_lo_u32 v5, s14, v1
	s_add_i32 s14, s16, -1
	s_add_u32 s15, s22, s24
	s_addc_u32 s17, s23, s25
	v_mul_hi_u32 v7, v1, v5
	v_add_co_u32 v5, s1, s15, v3
	v_add_co_ci_u32_e64 v6, null, s17, 0, s1
	s_mov_b32 s15, s13
	s_mov_b32 s13, 0
	v_add_nc_u32_e32 v24, v1, v7
	s_branch .LBB78_39
.LBB78_37:                              ;   in Loop: Header=BB78_39 Depth=1
	s_or_b32 exec_lo, exec_lo, s2
	v_lshlrev_b32_e32 v28, 16, v54
	v_lshlrev_b32_e32 v8, 16, v8
	;; [unrolled: 1-line block ×3, first 2 shown]
	v_add_f32_e32 v26, v55, v56
	v_add_f32_e32 v27, v52, v53
	v_and_or_b32 v1, 0xffff, v1, v28
	v_and_or_b32 v2, 0xffff, v2, v8
	;; [unrolled: 1-line block ×3, first 2 shown]
	;;#ASMSTART
	v_pk_mul_f16 v1, v39, v1;

	;;#ASMEND
	;;#ASMSTART
	v_pk_mul_f16 v2, v38, v2;

	;;#ASMEND
	;; [unrolled: 4-line block ×4, first 2 shown]
	;;#ASMSTART
	v_pk_add_f16 v1, v1, v2;

	;;#ASMEND
	;;#ASMSTART
	v_pk_add_f16 v1, v1, v3;

	;;#ASMEND
	;; [unrolled: 4-line block ×3, first 2 shown]
	v_and_b32_e32 v4, 0xffff, v1
	v_lshrrev_b32_e32 v8, 16, v1
	;;#ASMSTART
	v_cvt_f32_f16 v4, v4;
	;;#ASMEND
	v_add_f32_e32 v12, v12, v26
	v_add_f32_e32 v26, v50, v51
	;; [unrolled: 1-line block ×6, first 2 shown]
	;;#ASMSTART
	v_cvt_f32_f16 v8, v8;
	;;#ASMEND
	v_add_f32_e32 v4, v4, v8
	v_add_f32_e32 v13, v13, v27
	;; [unrolled: 1-line block ×8, first 2 shown]
.LBB78_38:                              ;   in Loop: Header=BB78_39 Depth=1
	s_or_b32 exec_lo, exec_lo, s17
	v_add_nc_u32_e32 v25, 4, v25
	v_add_co_u32 v5, s1, v5, 16
	v_add_co_ci_u32_e64 v6, null, 0, v6, s1
	v_cmp_le_i32_e32 vcc_lo, s16, v25
	v_add_nc_u32_e32 v34, 64, v34
	v_add_nc_u32_e32 v23, 0x100, v23
	s_or_b32 s13, vcc_lo, s13
	s_andn2_b32 exec_lo, exec_lo, s13
	s_cbranch_execz .LBB78_56
.LBB78_39:                              ; =>This Inner Loop Header: Depth=1
	v_mul_hi_u32 v1, v34, s21
	v_mul_lo_u32 v2, v1, s12
	v_add_nc_u32_e32 v3, 1, v1
	v_sub_nc_u32_e32 v2, v34, v2
	v_subrev_nc_u32_e32 v4, s12, v2
	v_cmp_le_u32_e32 vcc_lo, s12, v2
	v_cndmask_b32_e32 v1, v1, v3, vcc_lo
	v_cndmask_b32_e32 v2, v2, v4, vcc_lo
	v_add_nc_u32_e32 v3, 1, v1
	v_cmp_le_u32_e32 vcc_lo, s12, v2
	v_cndmask_b32_e32 v1, v1, v3, vcc_lo
	v_xor_b32_e32 v1, s19, v1
	v_subrev_nc_u32_e32 v1, s19, v1
	v_add_nc_u32_e32 v2, s31, v1
	v_cmp_lt_i32_e64 s1, s4, v1
	v_sub_nc_u32_e32 v3, 0, v2
	v_max_i32_e32 v3, v2, v3
	v_ashrrev_i32_e32 v2, 31, v2
	v_mul_hi_u32 v4, v3, v24
	v_mul_lo_u32 v4, v4, s5
	v_sub_nc_u32_e32 v3, v3, v4
	v_subrev_nc_u32_e32 v4, s5, v3
	v_cmp_le_u32_e32 vcc_lo, s5, v3
	v_cndmask_b32_e32 v3, v3, v4, vcc_lo
	v_subrev_nc_u32_e32 v4, s5, v3
	v_cmp_le_u32_e32 vcc_lo, s5, v3
	v_cndmask_b32_e32 v3, v3, v4, vcc_lo
	v_xor_b32_e32 v3, v3, v2
	v_sub_nc_u32_e32 v2, v3, v2
	v_cmp_eq_u32_e32 vcc_lo, 0, v2
	s_or_b32 s1, vcc_lo, s1
	s_and_saveexec_b32 s17, s1
	s_cbranch_execz .LBB78_38
; %bb.40:                               ;   in Loop: Header=BB78_39 Depth=1
	global_load_dword v7, v[5:6], off
	ds_read2_b64 v[1:4], v23 offset1:1
	ds_read2_b64 v[26:29], v23 offset0:2 offset1:3
	v_add_nc_u32_e32 v35, v19, v34
	v_cmp_eq_u32_e64 s1, s14, v25
	s_waitcnt lgkmcnt(1)
	;;#ASMSTART
	v_cvt_f16_f32 v39, v1;

	;;#ASMEND
	;;#ASMSTART
	v_cvt_f16_f32 v38, v2;

	;;#ASMEND
	;;#ASMSTART
	v_cvt_f16_f32 v44, v3;

	;;#ASMEND
	;;#ASMSTART
	v_cvt_f16_f32 v42, v4;

	;;#ASMEND
	s_waitcnt lgkmcnt(0)
	;;#ASMSTART
	v_cvt_f16_f32 v45, v26;

	;;#ASMEND
	;;#ASMSTART
	v_cvt_f16_f32 v41, v27;

	;;#ASMEND
	;; [unrolled: 4-line block ×4, first 2 shown]
	v_add_nc_u32_e32 v37, 1, v35
	v_add_nc_u32_e32 v30, 2, v35
	;; [unrolled: 1-line block ×7, first 2 shown]
	s_waitcnt vmcnt(0)
	v_mad_i64_i32 v[7:8], null, v7, s15, 0
	v_lshlrev_b64 v[7:8], 1, v[7:8]
	v_add_co_u32 v7, vcc_lo, v21, v7
	v_add_co_ci_u32_e64 v8, null, v22, v8, vcc_lo
	global_load_dwordx4 v[1:4], v[7:8], off
	s_waitcnt vmcnt(0)
	v_lshrrev_b32_e32 v48, 16, v1
	v_lshrrev_b32_e32 v47, 16, v2
	;; [unrolled: 1-line block ×3, first 2 shown]
	s_and_saveexec_b32 s18, s1
	s_cbranch_execz .LBB78_42
; %bb.41:                               ;   in Loop: Header=BB78_39 Depth=1
	v_cmp_gt_i32_e32 vcc_lo, s30, v35
	v_and_b32_e32 v49, 0xffff0000, v4
	v_cmp_gt_i32_e64 s2, s30, v30
	v_cndmask_b32_e32 v1, 0, v1, vcc_lo
	v_cmp_gt_i32_e32 vcc_lo, s30, v37
	v_cndmask_b32_e64 v2, 0, v2, s2
	v_cmp_gt_i32_e64 s2, s30, v29
	v_cndmask_b32_e32 v48, 0, v48, vcc_lo
	v_cmp_gt_i32_e32 vcc_lo, s30, v36
	v_cndmask_b32_e64 v47, 0, v47, s2
	v_cndmask_b32_sdwa v4, v20, v4, vcc_lo dst_sel:DWORD dst_unused:UNUSED_PAD src0_sel:DWORD src1_sel:WORD_0
	v_cmp_gt_i32_e32 vcc_lo, s30, v28
	v_cndmask_b32_e32 v49, 0, v49, vcc_lo
	v_cmp_gt_i32_e32 vcc_lo, s30, v27
	v_or_b32_e32 v4, v4, v49
	v_cndmask_b32_e32 v3, 0, v3, vcc_lo
	v_cmp_gt_i32_e32 vcc_lo, s30, v26
	v_cndmask_b32_e32 v46, 0, v46, vcc_lo
.LBB78_42:                              ;   in Loop: Header=BB78_39 Depth=1
	s_or_b32 exec_lo, exec_lo, s18
	v_and_b32_e32 v39, 0xffff, v39
	v_and_b32_e32 v44, 0xffff, v44
	v_lshlrev_b32_e32 v48, 16, v48
	v_lshlrev_b32_e32 v46, 16, v46
	v_and_b32_e32 v45, 0xffff, v45
	v_lshl_or_b32 v39, v38, 16, v39
	v_lshl_or_b32 v38, v42, 16, v44
	v_lshlrev_b32_e32 v44, 16, v47
	v_and_b32_e32 v43, 0xffff, v43
	v_and_or_b32 v1, 0xffff, v1, v48
	v_and_or_b32 v3, 0xffff, v3, v46
	;;#ASMSTART
	v_pk_mul_f16 v1, v39, v1;

	;;#ASMEND
	v_and_or_b32 v2, 0xffff, v2, v44
	v_lshl_or_b32 v42, v41, 16, v45
	v_lshl_or_b32 v43, v40, 16, v43
	;;#ASMSTART
	v_pk_mul_f16 v2, v38, v2;

	;;#ASMEND
	;;#ASMSTART
	v_pk_mul_f16 v3, v42, v3;

	;;#ASMEND
	;; [unrolled: 4-line block ×3, first 2 shown]
	;;#ASMSTART
	v_pk_add_f16 v1, v1, v2;

	;;#ASMEND
	;;#ASMSTART
	v_pk_add_f16 v1, v1, v3;

	;;#ASMEND
	;; [unrolled: 4-line block ×3, first 2 shown]
	v_and_b32_e32 v2, 0xffff, v1
	v_lshrrev_b32_e32 v1, 16, v1
	;;#ASMSTART
	v_cvt_f32_f16 v40, v2;
	;;#ASMEND
	;;#ASMSTART
	v_cvt_f32_f16 v41, v1;
	;;#ASMEND
	global_load_dwordx4 v[1:4], v[7:8], off offset:512
	s_waitcnt vmcnt(0)
	v_lshrrev_b32_e32 v46, 16, v1
	v_lshrrev_b32_e32 v45, 16, v2
	;; [unrolled: 1-line block ×3, first 2 shown]
	s_and_saveexec_b32 s18, s1
	s_cbranch_execz .LBB78_44
; %bb.43:                               ;   in Loop: Header=BB78_39 Depth=1
	v_cmp_gt_i32_e32 vcc_lo, s30, v35
	v_and_b32_e32 v47, 0xffff0000, v4
	v_cmp_gt_i32_e64 s2, s30, v30
	v_cndmask_b32_e32 v1, 0, v1, vcc_lo
	v_cmp_gt_i32_e32 vcc_lo, s30, v37
	v_cndmask_b32_e64 v2, 0, v2, s2
	v_cmp_gt_i32_e64 s2, s30, v29
	v_cndmask_b32_e32 v46, 0, v46, vcc_lo
	v_cmp_gt_i32_e32 vcc_lo, s30, v36
	v_cndmask_b32_e64 v45, 0, v45, s2
	v_cndmask_b32_sdwa v4, v20, v4, vcc_lo dst_sel:DWORD dst_unused:UNUSED_PAD src0_sel:DWORD src1_sel:WORD_0
	v_cmp_gt_i32_e32 vcc_lo, s30, v28
	v_cndmask_b32_e32 v47, 0, v47, vcc_lo
	v_cmp_gt_i32_e32 vcc_lo, s30, v27
	v_or_b32_e32 v4, v4, v47
	v_cndmask_b32_e32 v3, 0, v3, vcc_lo
	v_cmp_gt_i32_e32 vcc_lo, s30, v26
	v_cndmask_b32_e32 v44, 0, v44, vcc_lo
.LBB78_44:                              ;   in Loop: Header=BB78_39 Depth=1
	s_or_b32 exec_lo, exec_lo, s18
	v_lshlrev_b32_e32 v46, 16, v46
	v_lshlrev_b32_e32 v45, 16, v45
	;; [unrolled: 1-line block ×3, first 2 shown]
	v_and_or_b32 v1, 0xffff, v1, v46
	v_and_or_b32 v2, 0xffff, v2, v45
	;; [unrolled: 1-line block ×3, first 2 shown]
	;;#ASMSTART
	v_pk_mul_f16 v1, v39, v1;

	;;#ASMEND
	;;#ASMSTART
	v_pk_mul_f16 v2, v38, v2;

	;;#ASMEND
	;; [unrolled: 4-line block ×4, first 2 shown]
	;;#ASMSTART
	v_pk_add_f16 v1, v1, v2;

	;;#ASMEND
	;;#ASMSTART
	v_pk_add_f16 v1, v1, v3;

	;;#ASMEND
	;;#ASMSTART
	v_pk_add_f16 v1, v1, v4;

	;;#ASMEND
	v_and_b32_e32 v2, 0xffff, v1
	v_lshrrev_b32_e32 v1, 16, v1
	;;#ASMSTART
	v_cvt_f32_f16 v44, v2;
	;;#ASMEND
	;;#ASMSTART
	v_cvt_f32_f16 v45, v1;
	;;#ASMEND
	global_load_dwordx4 v[1:4], v[7:8], off offset:1024
	s_waitcnt vmcnt(0)
	v_lshrrev_b32_e32 v48, 16, v1
	v_lshrrev_b32_e32 v47, 16, v2
	;; [unrolled: 1-line block ×3, first 2 shown]
	s_and_saveexec_b32 s18, s1
	s_cbranch_execz .LBB78_46
; %bb.45:                               ;   in Loop: Header=BB78_39 Depth=1
	v_cmp_gt_i32_e32 vcc_lo, s30, v35
	v_and_b32_e32 v49, 0xffff0000, v4
	v_cmp_gt_i32_e64 s2, s30, v30
	v_cndmask_b32_e32 v1, 0, v1, vcc_lo
	v_cmp_gt_i32_e32 vcc_lo, s30, v37
	v_cndmask_b32_e64 v2, 0, v2, s2
	v_cmp_gt_i32_e64 s2, s30, v29
	v_cndmask_b32_e32 v48, 0, v48, vcc_lo
	v_cmp_gt_i32_e32 vcc_lo, s30, v36
	v_cndmask_b32_e64 v47, 0, v47, s2
	v_cndmask_b32_sdwa v4, v20, v4, vcc_lo dst_sel:DWORD dst_unused:UNUSED_PAD src0_sel:DWORD src1_sel:WORD_0
	v_cmp_gt_i32_e32 vcc_lo, s30, v28
	v_cndmask_b32_e32 v49, 0, v49, vcc_lo
	v_cmp_gt_i32_e32 vcc_lo, s30, v27
	v_or_b32_e32 v4, v4, v49
	v_cndmask_b32_e32 v3, 0, v3, vcc_lo
	v_cmp_gt_i32_e32 vcc_lo, s30, v26
	v_cndmask_b32_e32 v46, 0, v46, vcc_lo
.LBB78_46:                              ;   in Loop: Header=BB78_39 Depth=1
	s_or_b32 exec_lo, exec_lo, s18
	v_lshlrev_b32_e32 v48, 16, v48
	v_lshlrev_b32_e32 v47, 16, v47
	;; [unrolled: 1-line block ×3, first 2 shown]
	v_and_or_b32 v1, 0xffff, v1, v48
	v_and_or_b32 v2, 0xffff, v2, v47
	;; [unrolled: 1-line block ×3, first 2 shown]
	;;#ASMSTART
	v_pk_mul_f16 v1, v39, v1;

	;;#ASMEND
	;;#ASMSTART
	v_pk_mul_f16 v2, v38, v2;

	;;#ASMEND
	;; [unrolled: 4-line block ×4, first 2 shown]
	;;#ASMSTART
	v_pk_add_f16 v1, v1, v2;

	;;#ASMEND
	;;#ASMSTART
	v_pk_add_f16 v1, v1, v3;

	;;#ASMEND
	;; [unrolled: 4-line block ×3, first 2 shown]
	v_and_b32_e32 v2, 0xffff, v1
	v_lshrrev_b32_e32 v1, 16, v1
	;;#ASMSTART
	v_cvt_f32_f16 v46, v2;
	;;#ASMEND
	;;#ASMSTART
	v_cvt_f32_f16 v47, v1;
	;;#ASMEND
	global_load_dwordx4 v[1:4], v[7:8], off offset:1536
	s_waitcnt vmcnt(0)
	v_lshrrev_b32_e32 v50, 16, v1
	v_lshrrev_b32_e32 v49, 16, v2
	;; [unrolled: 1-line block ×3, first 2 shown]
	s_and_saveexec_b32 s18, s1
	s_cbranch_execz .LBB78_48
; %bb.47:                               ;   in Loop: Header=BB78_39 Depth=1
	v_cmp_gt_i32_e32 vcc_lo, s30, v35
	v_and_b32_e32 v51, 0xffff0000, v4
	v_cmp_gt_i32_e64 s2, s30, v30
	v_cndmask_b32_e32 v1, 0, v1, vcc_lo
	v_cmp_gt_i32_e32 vcc_lo, s30, v37
	v_cndmask_b32_e64 v2, 0, v2, s2
	v_cmp_gt_i32_e64 s2, s30, v29
	v_cndmask_b32_e32 v50, 0, v50, vcc_lo
	v_cmp_gt_i32_e32 vcc_lo, s30, v36
	v_cndmask_b32_e64 v49, 0, v49, s2
	v_cndmask_b32_sdwa v4, v20, v4, vcc_lo dst_sel:DWORD dst_unused:UNUSED_PAD src0_sel:DWORD src1_sel:WORD_0
	v_cmp_gt_i32_e32 vcc_lo, s30, v28
	v_cndmask_b32_e32 v51, 0, v51, vcc_lo
	v_cmp_gt_i32_e32 vcc_lo, s30, v27
	v_or_b32_e32 v4, v4, v51
	v_cndmask_b32_e32 v3, 0, v3, vcc_lo
	v_cmp_gt_i32_e32 vcc_lo, s30, v26
	v_cndmask_b32_e32 v48, 0, v48, vcc_lo
.LBB78_48:                              ;   in Loop: Header=BB78_39 Depth=1
	s_or_b32 exec_lo, exec_lo, s18
	v_lshlrev_b32_e32 v50, 16, v50
	v_lshlrev_b32_e32 v49, 16, v49
	;; [unrolled: 1-line block ×3, first 2 shown]
	v_add_co_u32 v7, vcc_lo, 0x800, v7
	v_and_or_b32 v1, 0xffff, v1, v50
	v_and_or_b32 v2, 0xffff, v2, v49
	;; [unrolled: 1-line block ×3, first 2 shown]
	;;#ASMSTART
	v_pk_mul_f16 v1, v39, v1;

	;;#ASMEND
	v_add_co_ci_u32_e64 v8, null, 0, v8, vcc_lo
	;;#ASMSTART
	v_pk_mul_f16 v2, v38, v2;

	;;#ASMEND
	;;#ASMSTART
	v_pk_mul_f16 v3, v42, v3;

	;;#ASMEND
	;; [unrolled: 4-line block ×3, first 2 shown]
	;;#ASMSTART
	v_pk_add_f16 v1, v1, v2;

	;;#ASMEND
	;;#ASMSTART
	v_pk_add_f16 v1, v1, v3;

	;;#ASMEND
	;; [unrolled: 4-line block ×3, first 2 shown]
	v_lshrrev_b32_e32 v2, 16, v1
	v_and_b32_e32 v1, 0xffff, v1
	;;#ASMSTART
	v_cvt_f32_f16 v48, v1;
	;;#ASMEND
	;;#ASMSTART
	v_cvt_f32_f16 v49, v2;
	;;#ASMEND
	global_load_dwordx4 v[1:4], v[7:8], off
	s_waitcnt vmcnt(0)
	v_lshrrev_b32_e32 v52, 16, v1
	v_lshrrev_b32_e32 v51, 16, v2
	;; [unrolled: 1-line block ×3, first 2 shown]
	s_and_saveexec_b32 s18, s1
	s_cbranch_execz .LBB78_50
; %bb.49:                               ;   in Loop: Header=BB78_39 Depth=1
	v_cmp_gt_i32_e32 vcc_lo, s30, v35
	v_and_b32_e32 v53, 0xffff0000, v4
	v_cmp_gt_i32_e64 s2, s30, v30
	v_cndmask_b32_e32 v1, 0, v1, vcc_lo
	v_cmp_gt_i32_e32 vcc_lo, s30, v37
	v_cndmask_b32_e64 v2, 0, v2, s2
	v_cmp_gt_i32_e64 s2, s30, v29
	v_cndmask_b32_e32 v52, 0, v52, vcc_lo
	v_cmp_gt_i32_e32 vcc_lo, s30, v36
	v_cndmask_b32_e64 v51, 0, v51, s2
	v_cndmask_b32_sdwa v4, v20, v4, vcc_lo dst_sel:DWORD dst_unused:UNUSED_PAD src0_sel:DWORD src1_sel:WORD_0
	v_cmp_gt_i32_e32 vcc_lo, s30, v28
	v_cndmask_b32_e32 v53, 0, v53, vcc_lo
	v_cmp_gt_i32_e32 vcc_lo, s30, v27
	v_or_b32_e32 v4, v4, v53
	v_cndmask_b32_e32 v3, 0, v3, vcc_lo
	v_cmp_gt_i32_e32 vcc_lo, s30, v26
	v_cndmask_b32_e32 v50, 0, v50, vcc_lo
.LBB78_50:                              ;   in Loop: Header=BB78_39 Depth=1
	s_or_b32 exec_lo, exec_lo, s18
	v_lshlrev_b32_e32 v52, 16, v52
	v_lshlrev_b32_e32 v51, 16, v51
	v_lshlrev_b32_e32 v50, 16, v50
	v_and_or_b32 v1, 0xffff, v1, v52
	v_and_or_b32 v2, 0xffff, v2, v51
	;; [unrolled: 1-line block ×3, first 2 shown]
	;;#ASMSTART
	v_pk_mul_f16 v1, v39, v1;

	;;#ASMEND
	;;#ASMSTART
	v_pk_mul_f16 v2, v38, v2;

	;;#ASMEND
	;; [unrolled: 4-line block ×4, first 2 shown]
	;;#ASMSTART
	v_pk_add_f16 v1, v1, v2;

	;;#ASMEND
	;;#ASMSTART
	v_pk_add_f16 v1, v1, v3;

	;;#ASMEND
	;; [unrolled: 4-line block ×3, first 2 shown]
	v_and_b32_e32 v2, 0xffff, v1
	v_lshrrev_b32_e32 v1, 16, v1
	;;#ASMSTART
	v_cvt_f32_f16 v50, v2;
	;;#ASMEND
	;;#ASMSTART
	v_cvt_f32_f16 v51, v1;
	;;#ASMEND
	global_load_dwordx4 v[1:4], v[7:8], off offset:512
	s_waitcnt vmcnt(0)
	v_lshrrev_b32_e32 v54, 16, v1
	v_lshrrev_b32_e32 v53, 16, v2
	v_lshrrev_b32_e32 v52, 16, v3
	s_and_saveexec_b32 s18, s1
	s_cbranch_execz .LBB78_52
; %bb.51:                               ;   in Loop: Header=BB78_39 Depth=1
	v_cmp_gt_i32_e32 vcc_lo, s30, v35
	v_and_b32_e32 v55, 0xffff0000, v4
	v_cmp_gt_i32_e64 s2, s30, v30
	v_cndmask_b32_e32 v1, 0, v1, vcc_lo
	v_cmp_gt_i32_e32 vcc_lo, s30, v37
	v_cndmask_b32_e64 v2, 0, v2, s2
	v_cmp_gt_i32_e64 s2, s30, v29
	v_cndmask_b32_e32 v54, 0, v54, vcc_lo
	v_cmp_gt_i32_e32 vcc_lo, s30, v36
	v_cndmask_b32_e64 v53, 0, v53, s2
	v_cndmask_b32_sdwa v4, v20, v4, vcc_lo dst_sel:DWORD dst_unused:UNUSED_PAD src0_sel:DWORD src1_sel:WORD_0
	v_cmp_gt_i32_e32 vcc_lo, s30, v28
	v_cndmask_b32_e32 v55, 0, v55, vcc_lo
	v_cmp_gt_i32_e32 vcc_lo, s30, v27
	v_or_b32_e32 v4, v4, v55
	v_cndmask_b32_e32 v3, 0, v3, vcc_lo
	v_cmp_gt_i32_e32 vcc_lo, s30, v26
	v_cndmask_b32_e32 v52, 0, v52, vcc_lo
.LBB78_52:                              ;   in Loop: Header=BB78_39 Depth=1
	s_or_b32 exec_lo, exec_lo, s18
	v_lshlrev_b32_e32 v54, 16, v54
	v_lshlrev_b32_e32 v53, 16, v53
	;; [unrolled: 1-line block ×3, first 2 shown]
	v_and_or_b32 v1, 0xffff, v1, v54
	v_and_or_b32 v2, 0xffff, v2, v53
	;; [unrolled: 1-line block ×3, first 2 shown]
	;;#ASMSTART
	v_pk_mul_f16 v1, v39, v1;

	;;#ASMEND
	;;#ASMSTART
	v_pk_mul_f16 v2, v38, v2;

	;;#ASMEND
	;; [unrolled: 4-line block ×4, first 2 shown]
	;;#ASMSTART
	v_pk_add_f16 v1, v1, v2;

	;;#ASMEND
	;;#ASMSTART
	v_pk_add_f16 v1, v1, v3;

	;;#ASMEND
	;; [unrolled: 4-line block ×3, first 2 shown]
	v_and_b32_e32 v2, 0xffff, v1
	v_lshrrev_b32_e32 v1, 16, v1
	;;#ASMSTART
	v_cvt_f32_f16 v52, v2;
	;;#ASMEND
	;;#ASMSTART
	v_cvt_f32_f16 v53, v1;
	;;#ASMEND
	global_load_dwordx4 v[1:4], v[7:8], off offset:1024
	s_waitcnt vmcnt(0)
	v_lshrrev_b32_e32 v56, 16, v1
	v_lshrrev_b32_e32 v55, 16, v2
	;; [unrolled: 1-line block ×3, first 2 shown]
	s_and_saveexec_b32 s18, s1
	s_cbranch_execz .LBB78_54
; %bb.53:                               ;   in Loop: Header=BB78_39 Depth=1
	v_cmp_gt_i32_e32 vcc_lo, s30, v35
	v_and_b32_e32 v57, 0xffff0000, v4
	v_cmp_gt_i32_e64 s2, s30, v30
	v_cndmask_b32_e32 v1, 0, v1, vcc_lo
	v_cmp_gt_i32_e32 vcc_lo, s30, v37
	v_cndmask_b32_e64 v2, 0, v2, s2
	v_cmp_gt_i32_e64 s2, s30, v29
	v_cndmask_b32_e32 v56, 0, v56, vcc_lo
	v_cmp_gt_i32_e32 vcc_lo, s30, v36
	v_cndmask_b32_e64 v55, 0, v55, s2
	v_cndmask_b32_sdwa v4, v20, v4, vcc_lo dst_sel:DWORD dst_unused:UNUSED_PAD src0_sel:DWORD src1_sel:WORD_0
	v_cmp_gt_i32_e32 vcc_lo, s30, v28
	v_cndmask_b32_e32 v57, 0, v57, vcc_lo
	v_cmp_gt_i32_e32 vcc_lo, s30, v27
	v_or_b32_e32 v4, v4, v57
	v_cndmask_b32_e32 v3, 0, v3, vcc_lo
	v_cmp_gt_i32_e32 vcc_lo, s30, v26
	v_cndmask_b32_e32 v54, 0, v54, vcc_lo
.LBB78_54:                              ;   in Loop: Header=BB78_39 Depth=1
	s_or_b32 exec_lo, exec_lo, s18
	v_lshlrev_b32_e32 v56, 16, v56
	v_lshlrev_b32_e32 v55, 16, v55
	;; [unrolled: 1-line block ×3, first 2 shown]
	v_and_or_b32 v1, 0xffff, v1, v56
	v_and_or_b32 v2, 0xffff, v2, v55
	;; [unrolled: 1-line block ×3, first 2 shown]
	;;#ASMSTART
	v_pk_mul_f16 v1, v39, v1;

	;;#ASMEND
	;;#ASMSTART
	v_pk_mul_f16 v2, v38, v2;

	;;#ASMEND
	;; [unrolled: 4-line block ×4, first 2 shown]
	;;#ASMSTART
	v_pk_add_f16 v1, v1, v2;

	;;#ASMEND
	;;#ASMSTART
	v_pk_add_f16 v1, v1, v3;

	;;#ASMEND
	;; [unrolled: 4-line block ×3, first 2 shown]
	v_and_b32_e32 v2, 0xffff, v1
	v_lshrrev_b32_e32 v1, 16, v1
	;;#ASMSTART
	v_cvt_f32_f16 v55, v2;
	;;#ASMEND
	;;#ASMSTART
	v_cvt_f32_f16 v56, v1;
	;;#ASMEND
	global_load_dwordx4 v[1:4], v[7:8], off offset:1536
	s_waitcnt vmcnt(0)
	v_lshrrev_b32_e32 v54, 16, v1
	v_lshrrev_b32_e32 v8, 16, v2
	;; [unrolled: 1-line block ×3, first 2 shown]
	s_and_saveexec_b32 s2, s1
	s_cbranch_execz .LBB78_37
; %bb.55:                               ;   in Loop: Header=BB78_39 Depth=1
	v_cmp_gt_i32_e32 vcc_lo, s30, v35
	v_cmp_gt_i32_e64 s1, s30, v30
	v_cndmask_b32_e32 v1, 0, v1, vcc_lo
	v_cmp_gt_i32_e32 vcc_lo, s30, v37
	v_cndmask_b32_e64 v2, 0, v2, s1
	v_cmp_gt_i32_e64 s1, s30, v29
	v_and_b32_e32 v29, 0xffff0000, v4
	v_cndmask_b32_e32 v54, 0, v54, vcc_lo
	v_cmp_gt_i32_e32 vcc_lo, s30, v36
	v_cndmask_b32_e64 v8, 0, v8, s1
	v_cndmask_b32_sdwa v4, v20, v4, vcc_lo dst_sel:DWORD dst_unused:UNUSED_PAD src0_sel:DWORD src1_sel:WORD_0
	v_cmp_gt_i32_e32 vcc_lo, s30, v28
	v_cndmask_b32_e32 v28, 0, v29, vcc_lo
	v_cmp_gt_i32_e32 vcc_lo, s30, v27
	v_or_b32_e32 v4, v4, v28
	v_cndmask_b32_e32 v3, 0, v3, vcc_lo
	v_cmp_gt_i32_e32 vcc_lo, s30, v26
	v_cndmask_b32_e32 v7, 0, v7, vcc_lo
	s_branch .LBB78_37
.LBB78_56:
	s_or_b32 exec_lo, exec_lo, s13
.LBB78_57:
	s_or_b32 exec_lo, exec_lo, s3
	ds_bpermute_b32 v1, v10, v18
	ds_bpermute_b32 v2, v10, v17
	;; [unrolled: 1-line block ×8, first 2 shown]
	v_lshrrev_b32_e32 v9, 1, v9
	v_lshlrev_b32_e32 v19, 9, v33
	v_and_b32_e32 v24, 0x3c1, v0
	s_mov_b32 s1, exec_lo
	s_waitcnt lgkmcnt(0)
	v_lshl_add_u32 v10, v9, 2, 0x120
	s_barrier
	buffer_gl0_inv
	v_add_f32_e32 v8, v18, v1
	v_add_f32_e32 v7, v17, v2
	v_add_f32_e32 v6, v16, v3
	v_add_f32_e32 v5, v15, v4
	v_add_f32_e32 v4, v14, v20
	v_add_f32_e32 v3, v13, v21
	v_add_f32_e32 v2, v12, v22
	v_add_f32_e32 v1, v11, v23
	v_cmpx_eq_u32_e32 64, v24
	s_cbranch_execz .LBB78_59
; %bb.58:
	v_add_nc_u32_e32 v11, v10, v19
	v_add_nc_u32_e32 v12, 0xfffffc00, v11
	v_add_nc_u32_e32 v15, 0xfffffcc0, v11
	v_add_nc_u32_e32 v13, 0xfffffc40, v11
	v_add_nc_u32_e32 v16, 0xfffffd00, v11
	v_add_nc_u32_e32 v14, 0xfffffc80, v11
	v_add_nc_u32_e32 v17, 0xfffffd40, v11
	v_add_nc_u32_e32 v18, 0xfffffd80, v11
	v_add_nc_u32_e32 v11, 0xfffffdc0, v11
	ds_write_b32 v12, v8
	ds_write_b32 v13, v7
	;; [unrolled: 1-line block ×8, first 2 shown]
.LBB78_59:
	s_or_b32 exec_lo, exec_lo, s1
	v_lshlrev_b32_e32 v9, 2, v9
	s_mov_b32 s2, exec_lo
	v_cmp_eq_u32_e32 vcc_lo, 0, v32
	s_waitcnt lgkmcnt(0)
	s_barrier
	v_add3_u32 v9, 0x120, v19, v9
	buffer_gl0_inv
	v_cmpx_gt_u32_e32 64, v0
	s_cbranch_execz .LBB78_70
; %bb.60:
	s_and_saveexec_b32 s1, vcc_lo
	s_cbranch_execnz .LBB78_86
; %bb.61:
	s_or_b32 exec_lo, exec_lo, s1
	s_and_saveexec_b32 s1, vcc_lo
	s_cbranch_execnz .LBB78_87
.LBB78_62:
	s_or_b32 exec_lo, exec_lo, s1
	s_and_saveexec_b32 s1, vcc_lo
	s_cbranch_execnz .LBB78_88
.LBB78_63:
	s_or_b32 exec_lo, exec_lo, s1
	s_and_saveexec_b32 s1, vcc_lo
	s_cbranch_execnz .LBB78_89
.LBB78_64:
	s_or_b32 exec_lo, exec_lo, s1
	s_and_saveexec_b32 s1, vcc_lo
	s_cbranch_execnz .LBB78_90
.LBB78_65:
	s_or_b32 exec_lo, exec_lo, s1
	s_and_saveexec_b32 s1, vcc_lo
	s_cbranch_execnz .LBB78_91
.LBB78_66:
	s_or_b32 exec_lo, exec_lo, s1
	s_and_saveexec_b32 s1, vcc_lo
	s_cbranch_execnz .LBB78_92
.LBB78_67:
	s_or_b32 exec_lo, exec_lo, s1
	s_and_saveexec_b32 s1, vcc_lo
	s_cbranch_execz .LBB78_69
.LBB78_68:
	ds_read_b32 v11, v9 offset:448
	s_waitcnt lgkmcnt(0)
	v_add_f32_e32 v1, v1, v11
.LBB78_69:
	s_or_b32 exec_lo, exec_lo, s1
.LBB78_70:
	s_or_b32 exec_lo, exec_lo, s2
	v_and_b32_e32 v0, 0x3e1, v0
	s_mov_b32 s2, exec_lo
	s_barrier
	buffer_gl0_inv
	v_cmpx_eq_u32_e32 32, v0
	s_cbranch_execz .LBB78_72
; %bb.71:
	ds_write2_b32 v10, v8, v7 offset1:16
	ds_write2_b32 v10, v6, v5 offset0:32 offset1:48
	ds_write2_b32 v10, v4, v3 offset0:64 offset1:80
	;; [unrolled: 1-line block ×3, first 2 shown]
.LBB78_72:
	s_or_b32 exec_lo, exec_lo, s2
	s_waitcnt lgkmcnt(0)
	s_barrier
	buffer_gl0_inv
	s_and_saveexec_b32 s1, s0
	s_cbranch_execz .LBB78_83
; %bb.73:
	s_and_saveexec_b32 s0, vcc_lo
	s_cbranch_execnz .LBB78_93
; %bb.74:
	s_or_b32 exec_lo, exec_lo, s0
	s_and_saveexec_b32 s0, vcc_lo
	s_cbranch_execnz .LBB78_94
.LBB78_75:
	s_or_b32 exec_lo, exec_lo, s0
	s_and_saveexec_b32 s0, vcc_lo
	s_cbranch_execnz .LBB78_95
.LBB78_76:
	s_or_b32 exec_lo, exec_lo, s0
	s_and_saveexec_b32 s0, vcc_lo
	s_cbranch_execnz .LBB78_96
.LBB78_77:
	s_or_b32 exec_lo, exec_lo, s0
	s_and_saveexec_b32 s0, vcc_lo
	s_cbranch_execnz .LBB78_97
.LBB78_78:
	s_or_b32 exec_lo, exec_lo, s0
	s_and_saveexec_b32 s0, vcc_lo
	s_cbranch_execnz .LBB78_98
.LBB78_79:
	s_or_b32 exec_lo, exec_lo, s0
	s_and_saveexec_b32 s0, vcc_lo
	s_cbranch_execnz .LBB78_99
.LBB78_80:
	s_or_b32 exec_lo, exec_lo, s0
	s_and_saveexec_b32 s0, vcc_lo
	s_cbranch_execz .LBB78_82
.LBB78_81:
	ds_read_b32 v9, v9 offset:448
	s_waitcnt lgkmcnt(0)
	v_add_f32_e32 v1, v1, v9
.LBB78_82:
	s_or_b32 exec_lo, exec_lo, s0
.LBB78_83:
	s_or_b32 exec_lo, exec_lo, s1
	s_barrier
	buffer_gl0_inv
	s_mov_b32 s0, exec_lo
	v_cmpx_eq_u32_e32 0, v0
	s_cbranch_execz .LBB78_85
; %bb.84:
	s_mul_i32 s0, s10, s11
	s_mul_i32 s2, s11, s20
	;; [unrolled: 1-line block ×3, first 2 shown]
	v_lshlrev_b32_e32 v0, 1, v31
	s_lshl_b32 s0, s0, 7
	;;#ASMSTART
	v_cvt_f16_f32 v8, v8;

	;;#ASMEND
	s_ashr_i32 s1, s0, 31
	s_lshl_b64 s[0:1], s[0:1], 1
	s_add_u32 s4, s6, s0
	s_addc_u32 s5, s7, s1
	s_ashr_i32 s3, s2, 31
	s_lshl_b64 s[0:1], s[2:3], 1
	s_add_u32 s2, s4, s0
	s_addc_u32 s3, s5, s1
	s_lshl_b32 s0, s8, 7
	s_ashr_i32 s1, s0, 31
	s_lshl_b64 s[0:1], s[0:1], 1
	s_add_u32 s0, s2, s0
	s_addc_u32 s1, s3, s1
	global_store_short v0, v8, s[0:1]
	;;#ASMSTART
	v_cvt_f16_f32 v7, v7;

	;;#ASMEND
	global_store_short v0, v7, s[0:1] offset:32
	;;#ASMSTART
	v_cvt_f16_f32 v6, v6;

	;;#ASMEND
	global_store_short v0, v6, s[0:1] offset:64
	;; [unrolled: 5-line block ×7, first 2 shown]
.LBB78_85:
	s_endpgm
.LBB78_86:
	ds_read_b32 v11, v9
	s_waitcnt lgkmcnt(0)
	v_add_f32_e32 v8, v8, v11
	s_or_b32 exec_lo, exec_lo, s1
	s_and_saveexec_b32 s1, vcc_lo
	s_cbranch_execz .LBB78_62
.LBB78_87:
	ds_read_b32 v11, v9 offset:64
	s_waitcnt lgkmcnt(0)
	v_add_f32_e32 v7, v7, v11
	s_or_b32 exec_lo, exec_lo, s1
	s_and_saveexec_b32 s1, vcc_lo
	s_cbranch_execz .LBB78_63
.LBB78_88:
	ds_read_b32 v11, v9 offset:128
	s_waitcnt lgkmcnt(0)
	v_add_f32_e32 v6, v6, v11
	s_or_b32 exec_lo, exec_lo, s1
	s_and_saveexec_b32 s1, vcc_lo
	s_cbranch_execz .LBB78_64
.LBB78_89:
	ds_read_b32 v11, v9 offset:192
	s_waitcnt lgkmcnt(0)
	v_add_f32_e32 v5, v5, v11
	s_or_b32 exec_lo, exec_lo, s1
	s_and_saveexec_b32 s1, vcc_lo
	s_cbranch_execz .LBB78_65
.LBB78_90:
	ds_read_b32 v11, v9 offset:256
	s_waitcnt lgkmcnt(0)
	v_add_f32_e32 v4, v4, v11
	s_or_b32 exec_lo, exec_lo, s1
	s_and_saveexec_b32 s1, vcc_lo
	s_cbranch_execz .LBB78_66
.LBB78_91:
	ds_read_b32 v11, v9 offset:320
	s_waitcnt lgkmcnt(0)
	v_add_f32_e32 v3, v3, v11
	s_or_b32 exec_lo, exec_lo, s1
	s_and_saveexec_b32 s1, vcc_lo
	s_cbranch_execz .LBB78_67
.LBB78_92:
	ds_read_b32 v11, v9 offset:384
	s_waitcnt lgkmcnt(0)
	v_add_f32_e32 v2, v2, v11
	s_or_b32 exec_lo, exec_lo, s1
	s_and_saveexec_b32 s1, vcc_lo
	s_cbranch_execnz .LBB78_68
	s_branch .LBB78_69
.LBB78_93:
	ds_read_b32 v10, v9
	s_waitcnt lgkmcnt(0)
	v_add_f32_e32 v8, v8, v10
	s_or_b32 exec_lo, exec_lo, s0
	s_and_saveexec_b32 s0, vcc_lo
	s_cbranch_execz .LBB78_75
.LBB78_94:
	ds_read_b32 v10, v9 offset:64
	s_waitcnt lgkmcnt(0)
	v_add_f32_e32 v7, v7, v10
	s_or_b32 exec_lo, exec_lo, s0
	s_and_saveexec_b32 s0, vcc_lo
	s_cbranch_execz .LBB78_76
.LBB78_95:
	ds_read_b32 v10, v9 offset:128
	s_waitcnt lgkmcnt(0)
	v_add_f32_e32 v6, v6, v10
	s_or_b32 exec_lo, exec_lo, s0
	s_and_saveexec_b32 s0, vcc_lo
	s_cbranch_execz .LBB78_77
.LBB78_96:
	ds_read_b32 v10, v9 offset:192
	s_waitcnt lgkmcnt(0)
	v_add_f32_e32 v5, v5, v10
	s_or_b32 exec_lo, exec_lo, s0
	s_and_saveexec_b32 s0, vcc_lo
	s_cbranch_execz .LBB78_78
.LBB78_97:
	ds_read_b32 v10, v9 offset:256
	s_waitcnt lgkmcnt(0)
	v_add_f32_e32 v4, v4, v10
	s_or_b32 exec_lo, exec_lo, s0
	s_and_saveexec_b32 s0, vcc_lo
	s_cbranch_execz .LBB78_79
.LBB78_98:
	ds_read_b32 v10, v9 offset:320
	s_waitcnt lgkmcnt(0)
	v_add_f32_e32 v3, v3, v10
	s_or_b32 exec_lo, exec_lo, s0
	s_and_saveexec_b32 s0, vcc_lo
	s_cbranch_execz .LBB78_80
.LBB78_99:
	ds_read_b32 v10, v9 offset:384
	s_waitcnt lgkmcnt(0)
	v_add_f32_e32 v2, v2, v10
	s_or_b32 exec_lo, exec_lo, s0
	s_and_saveexec_b32 s0, vcc_lo
	s_cbranch_execnz .LBB78_81
	s_branch .LBB78_82
	.section	.rodata,"a",@progbits
	.p2align	6, 0x0
	.amdhsa_kernel _ZN4vllm25paged_attention_v1_kernelIttLi128ELi16ELi128ELNS_18Fp8KVCacheDataTypeE0ELb1EEEvPT_PKS2_PKT0_S8_ifPKiSA_iPKfiiiSC_SC_iiiii
		.amdhsa_group_segment_fixed_size 288
		.amdhsa_private_segment_fixed_size 0
		.amdhsa_kernarg_size 384
		.amdhsa_user_sgpr_count 6
		.amdhsa_user_sgpr_private_segment_buffer 1
		.amdhsa_user_sgpr_dispatch_ptr 0
		.amdhsa_user_sgpr_queue_ptr 0
		.amdhsa_user_sgpr_kernarg_segment_ptr 1
		.amdhsa_user_sgpr_dispatch_id 0
		.amdhsa_user_sgpr_flat_scratch_init 0
		.amdhsa_user_sgpr_private_segment_size 0
		.amdhsa_wavefront_size32 1
		.amdhsa_uses_dynamic_stack 0
		.amdhsa_system_sgpr_private_segment_wavefront_offset 0
		.amdhsa_system_sgpr_workgroup_id_x 1
		.amdhsa_system_sgpr_workgroup_id_y 1
		.amdhsa_system_sgpr_workgroup_id_z 1
		.amdhsa_system_sgpr_workgroup_info 0
		.amdhsa_system_vgpr_workitem_id 0
		.amdhsa_next_free_vgpr 94
		.amdhsa_next_free_sgpr 38
		.amdhsa_reserve_vcc 1
		.amdhsa_reserve_flat_scratch 0
		.amdhsa_float_round_mode_32 0
		.amdhsa_float_round_mode_16_64 0
		.amdhsa_float_denorm_mode_32 3
		.amdhsa_float_denorm_mode_16_64 3
		.amdhsa_dx10_clamp 1
		.amdhsa_ieee_mode 1
		.amdhsa_fp16_overflow 0
		.amdhsa_workgroup_processor_mode 1
		.amdhsa_memory_ordered 1
		.amdhsa_forward_progress 1
		.amdhsa_shared_vgpr_count 0
		.amdhsa_exception_fp_ieee_invalid_op 0
		.amdhsa_exception_fp_denorm_src 0
		.amdhsa_exception_fp_ieee_div_zero 0
		.amdhsa_exception_fp_ieee_overflow 0
		.amdhsa_exception_fp_ieee_underflow 0
		.amdhsa_exception_fp_ieee_inexact 0
		.amdhsa_exception_int_div_zero 0
	.end_amdhsa_kernel
	.section	.text._ZN4vllm25paged_attention_v1_kernelIttLi128ELi16ELi128ELNS_18Fp8KVCacheDataTypeE0ELb1EEEvPT_PKS2_PKT0_S8_ifPKiSA_iPKfiiiSC_SC_iiiii,"axG",@progbits,_ZN4vllm25paged_attention_v1_kernelIttLi128ELi16ELi128ELNS_18Fp8KVCacheDataTypeE0ELb1EEEvPT_PKS2_PKT0_S8_ifPKiSA_iPKfiiiSC_SC_iiiii,comdat
.Lfunc_end78:
	.size	_ZN4vllm25paged_attention_v1_kernelIttLi128ELi16ELi128ELNS_18Fp8KVCacheDataTypeE0ELb1EEEvPT_PKS2_PKT0_S8_ifPKiSA_iPKfiiiSC_SC_iiiii, .Lfunc_end78-_ZN4vllm25paged_attention_v1_kernelIttLi128ELi16ELi128ELNS_18Fp8KVCacheDataTypeE0ELb1EEEvPT_PKS2_PKT0_S8_ifPKiSA_iPKfiiiSC_SC_iiiii
                                        ; -- End function
	.set _ZN4vllm25paged_attention_v1_kernelIttLi128ELi16ELi128ELNS_18Fp8KVCacheDataTypeE0ELb1EEEvPT_PKS2_PKT0_S8_ifPKiSA_iPKfiiiSC_SC_iiiii.num_vgpr, 94
	.set _ZN4vllm25paged_attention_v1_kernelIttLi128ELi16ELi128ELNS_18Fp8KVCacheDataTypeE0ELb1EEEvPT_PKS2_PKT0_S8_ifPKiSA_iPKfiiiSC_SC_iiiii.num_agpr, 0
	.set _ZN4vllm25paged_attention_v1_kernelIttLi128ELi16ELi128ELNS_18Fp8KVCacheDataTypeE0ELb1EEEvPT_PKS2_PKT0_S8_ifPKiSA_iPKfiiiSC_SC_iiiii.numbered_sgpr, 38
	.set _ZN4vllm25paged_attention_v1_kernelIttLi128ELi16ELi128ELNS_18Fp8KVCacheDataTypeE0ELb1EEEvPT_PKS2_PKT0_S8_ifPKiSA_iPKfiiiSC_SC_iiiii.num_named_barrier, 0
	.set _ZN4vllm25paged_attention_v1_kernelIttLi128ELi16ELi128ELNS_18Fp8KVCacheDataTypeE0ELb1EEEvPT_PKS2_PKT0_S8_ifPKiSA_iPKfiiiSC_SC_iiiii.private_seg_size, 0
	.set _ZN4vllm25paged_attention_v1_kernelIttLi128ELi16ELi128ELNS_18Fp8KVCacheDataTypeE0ELb1EEEvPT_PKS2_PKT0_S8_ifPKiSA_iPKfiiiSC_SC_iiiii.uses_vcc, 1
	.set _ZN4vllm25paged_attention_v1_kernelIttLi128ELi16ELi128ELNS_18Fp8KVCacheDataTypeE0ELb1EEEvPT_PKS2_PKT0_S8_ifPKiSA_iPKfiiiSC_SC_iiiii.uses_flat_scratch, 0
	.set _ZN4vllm25paged_attention_v1_kernelIttLi128ELi16ELi128ELNS_18Fp8KVCacheDataTypeE0ELb1EEEvPT_PKS2_PKT0_S8_ifPKiSA_iPKfiiiSC_SC_iiiii.has_dyn_sized_stack, 0
	.set _ZN4vllm25paged_attention_v1_kernelIttLi128ELi16ELi128ELNS_18Fp8KVCacheDataTypeE0ELb1EEEvPT_PKS2_PKT0_S8_ifPKiSA_iPKfiiiSC_SC_iiiii.has_recursion, 0
	.set _ZN4vllm25paged_attention_v1_kernelIttLi128ELi16ELi128ELNS_18Fp8KVCacheDataTypeE0ELb1EEEvPT_PKS2_PKT0_S8_ifPKiSA_iPKfiiiSC_SC_iiiii.has_indirect_call, 0
	.section	.AMDGPU.csdata,"",@progbits
; Kernel info:
; codeLenInByte = 11568
; TotalNumSgprs: 40
; NumVgprs: 94
; ScratchSize: 0
; MemoryBound: 0
; FloatMode: 240
; IeeeMode: 1
; LDSByteSize: 288 bytes/workgroup (compile time only)
; SGPRBlocks: 0
; VGPRBlocks: 11
; NumSGPRsForWavesPerEU: 40
; NumVGPRsForWavesPerEU: 94
; Occupancy: 10
; WaveLimiterHint : 1
; COMPUTE_PGM_RSRC2:SCRATCH_EN: 0
; COMPUTE_PGM_RSRC2:USER_SGPR: 6
; COMPUTE_PGM_RSRC2:TRAP_HANDLER: 0
; COMPUTE_PGM_RSRC2:TGID_X_EN: 1
; COMPUTE_PGM_RSRC2:TGID_Y_EN: 1
; COMPUTE_PGM_RSRC2:TGID_Z_EN: 1
; COMPUTE_PGM_RSRC2:TIDIG_COMP_CNT: 0
	.section	.text._ZN4vllm25paged_attention_v1_kernelIttLi192ELi16ELi128ELNS_18Fp8KVCacheDataTypeE0ELb1EEEvPT_PKS2_PKT0_S8_ifPKiSA_iPKfiiiSC_SC_iiiii,"axG",@progbits,_ZN4vllm25paged_attention_v1_kernelIttLi192ELi16ELi128ELNS_18Fp8KVCacheDataTypeE0ELb1EEEvPT_PKS2_PKT0_S8_ifPKiSA_iPKfiiiSC_SC_iiiii,comdat
	.protected	_ZN4vllm25paged_attention_v1_kernelIttLi192ELi16ELi128ELNS_18Fp8KVCacheDataTypeE0ELb1EEEvPT_PKS2_PKT0_S8_ifPKiSA_iPKfiiiSC_SC_iiiii ; -- Begin function _ZN4vllm25paged_attention_v1_kernelIttLi192ELi16ELi128ELNS_18Fp8KVCacheDataTypeE0ELb1EEEvPT_PKS2_PKT0_S8_ifPKiSA_iPKfiiiSC_SC_iiiii
	.globl	_ZN4vllm25paged_attention_v1_kernelIttLi192ELi16ELi128ELNS_18Fp8KVCacheDataTypeE0ELb1EEEvPT_PKS2_PKT0_S8_ifPKiSA_iPKfiiiSC_SC_iiiii
	.p2align	8
	.type	_ZN4vllm25paged_attention_v1_kernelIttLi192ELi16ELi128ELNS_18Fp8KVCacheDataTypeE0ELb1EEEvPT_PKS2_PKT0_S8_ifPKiSA_iPKfiiiSC_SC_iiiii,@function
_ZN4vllm25paged_attention_v1_kernelIttLi192ELi16ELi128ELNS_18Fp8KVCacheDataTypeE0ELb1EEEvPT_PKS2_PKT0_S8_ifPKiSA_iPKfiiiSC_SC_iiiii: ; @_ZN4vllm25paged_attention_v1_kernelIttLi192ELi16ELi128ELNS_18Fp8KVCacheDataTypeE0ELb1EEEvPT_PKS2_PKT0_S8_ifPKiSA_iPKfiiiSC_SC_iiiii
; %bb.0:
	s_clause 0x2
	s_load_dword s9, s[4:5], 0x80
	s_load_dwordx2 s[0:1], s[4:5], 0x30
	s_load_dwordx2 s[28:29], s[4:5], 0x20
	s_mov_b32 s10, s7
	s_ashr_i32 s11, s7, 31
	s_mov_b32 s33, 0
	s_lshl_b64 s[2:3], s[10:11], 2
	s_waitcnt lgkmcnt(0)
	s_add_u32 s0, s0, s2
	s_addc_u32 s1, s1, s3
	s_abs_i32 s2, s28
	s_abs_i32 s11, s9
	v_cvt_f32_u32_e32 v1, s2
	s_sub_i32 s7, 0, s2
	v_rcp_iflag_f32_e32 v1, v1
	v_mul_f32_e32 v1, 0x4f7ffffe, v1
	v_cvt_u32_f32_e32 v1, v1
	v_readfirstlane_b32 s3, v1
	s_mul_i32 s7, s7, s3
	s_mul_hi_u32 s7, s3, s7
	s_add_i32 s3, s3, s7
	s_xor_b32 s7, s9, s28
	s_mul_hi_u32 s3, s11, s3
	s_ashr_i32 s7, s7, 31
	s_mul_i32 s12, s3, s2
	s_sub_i32 s11, s11, s12
	s_add_i32 s12, s3, 1
	s_sub_i32 s13, s11, s2
	s_cmp_ge_u32 s11, s2
	s_cselect_b32 s3, s12, s3
	s_cselect_b32 s11, s13, s11
	s_add_i32 s12, s3, 1
	s_cmp_ge_u32 s11, s2
	s_cselect_b32 s2, s12, s3
	s_abs_i32 s22, s6
	s_xor_b32 s2, s2, s7
	s_sub_i32 s16, s2, s7
	s_load_dwordx2 s[2:3], s[4:5], 0x40
	s_abs_i32 s11, s16
	v_cvt_f32_u32_e32 v1, s11
	s_sub_i32 s12, 0, s11
	v_rcp_iflag_f32_e32 v1, v1
	v_mul_f32_e32 v1, 0x4f7ffffe, v1
	v_cvt_u32_f32_e32 v1, v1
	v_readfirstlane_b32 s7, v1
	s_mul_i32 s12, s12, s7
	s_mul_hi_u32 s12, s7, s12
	s_add_i32 s7, s7, s12
	s_waitcnt lgkmcnt(0)
	s_cmp_eq_u64 s[2:3], 0
	s_mul_hi_u32 s23, s22, s7
	s_cbranch_scc1 .LBB79_2
; %bb.1:
	s_ashr_i32 s7, s6, 31
	s_lshl_b64 s[12:13], s[6:7], 2
	s_add_u32 s2, s2, s12
	s_addc_u32 s3, s3, s13
	s_load_dword s33, s[2:3], 0x0
.LBB79_2:
	s_load_dword s30, s[0:1], 0x0
	s_load_dwordx4 s[12:15], s[4:5], 0x48
	v_lshrrev_b32_e32 v47, 1, v0
	v_and_b32_e32 v48, 1, v0
	v_lshlrev_b32_e32 v51, 3, v0
	s_ashr_i32 s0, s6, 31
	s_ashr_i32 s1, s16, 31
	s_mul_i32 s20, s6, 0xc0
	s_mov_b32 s2, exec_lo
	v_cmpx_gt_u32_e32 48, v0
	s_cbranch_execz .LBB79_4
; %bb.3:
	s_load_dwordx2 s[16:17], s[4:5], 0x8
	s_waitcnt lgkmcnt(0)
	s_mul_i32 s18, s12, s10
	v_lshlrev_b32_e32 v3, 3, v47
	s_ashr_i32 s19, s18, 31
	s_lshl_b64 s[18:19], s[18:19], 1
	v_mad_u32_u24 v3, 0xc0, v48, v3
	s_add_u32 s3, s16, s18
	s_addc_u32 s7, s17, s19
	s_ashr_i32 s21, s20, 31
	s_lshl_b64 s[16:17], s[20:21], 1
	s_add_u32 s16, s3, s16
	s_addc_u32 s17, s7, s17
	global_load_dwordx2 v[1:2], v51, s[16:17]
	s_waitcnt vmcnt(0)
	ds_write_b64 v3, v[1:2]
.LBB79_4:
	s_or_b32 exec_lo, exec_lo, s2
	s_load_dwordx4 s[16:19], s[4:5], 0x68
	s_mul_i32 s2, s23, s11
	s_xor_b32 s1, s0, s1
	s_sub_i32 s0, s22, s2
	s_add_i32 s2, s23, 1
	s_sub_i32 s3, s0, s11
	s_cmp_ge_u32 s0, s11
	s_waitcnt lgkmcnt(0)
	s_cselect_b32 s2, s2, s23
	s_cselect_b32 s0, s3, s0
	s_add_i32 s3, s2, 1
	s_cmp_ge_u32 s0, s11
	s_load_dword s0, s[4:5], 0x78
	s_cselect_b32 s2, s3, s2
	s_add_i32 s7, s30, -1
	s_xor_b32 s2, s2, s1
	s_abs_i32 s3, s7
	s_sub_i32 s1, s2, s1
	s_mov_b32 s11, -1
	s_barrier
	s_abs_i32 s12, s19
	s_waitcnt lgkmcnt(0)
	buffer_gl0_inv
	v_cvt_f32_u32_e32 v1, s12
	s_sub_i32 s2, 0, s12
                                        ; implicit-def: $sgpr31
	v_rcp_iflag_f32_e32 v1, v1
	v_mul_f32_e32 v1, 0x4f7ffffe, v1
	v_cvt_u32_f32_e32 v1, v1
	v_readfirstlane_b32 s21, v1
	s_mul_i32 s2, s2, s21
	s_mul_hi_u32 s2, s21, s2
	s_add_i32 s21, s21, s2
	s_cmp_lt_i32 s0, 0
	s_mul_hi_u32 s2, s3, s21
	s_cbranch_scc0 .LBB79_6
; %bb.5:
	s_mul_i32 s11, s16, s28
	s_add_i32 s11, s1, s11
	s_mul_i32 s11, s11, s0
	s_sub_i32 s31, 1, s11
	s_mov_b32 s11, 0
.LBB79_6:
	s_load_dwordx2 s[22:23], s[4:5], 0x28
	s_ashr_i32 s7, s7, 31
	s_andn2_b32 vcc_lo, exec_lo, s11
	s_ashr_i32 s19, s19, 31
	s_cbranch_vccnz .LBB79_8
; %bb.7:
	s_mul_i32 s11, s9, s16
	s_add_i32 s6, s11, s6
	s_mul_i32 s0, s6, s0
	s_add_i32 s31, s0, 1
.LBB79_8:
	s_load_dword s0, s[4:5], 0x38
	s_mul_i32 s6, s2, s12
	s_xor_b32 s15, s7, s19
	s_sub_i32 s3, s3, s6
	s_add_i32 s16, s2, 1
	s_clause 0x2
	s_load_dwordx2 s[6:7], s[4:5], 0x0
	s_load_dwordx2 s[26:27], s[4:5], 0x18
	s_load_dword s11, s[4:5], 0x88
	v_lshrrev_b32_e32 v49, 5, v0
	v_mov_b32_e32 v54, 0xff7fffff
	v_lshrrev_b32_e32 v52, 3, v0
	v_mbcnt_lo_u32_b32 v53, -1, 0
	s_mul_i32 s14, s1, s14
	v_lshlrev_b32_e32 v50, 4, v49
	s_waitcnt lgkmcnt(0)
	s_mul_i32 s24, s0, s10
	s_sub_i32 s0, s3, s12
	s_ashr_i32 s25, s24, 31
	s_cmp_ge_u32 s3, s12
	s_cselect_b32 s2, s16, s2
	s_cselect_b32 s0, s0, s3
	s_add_i32 s3, s2, 1
	s_cmp_ge_u32 s0, s12
	s_cselect_b32 s0, s3, s2
	s_add_i32 s2, s30, 15
	s_ashr_i32 s3, s2, 31
	s_lshr_b32 s3, s3, 28
	s_add_i32 s2, s2, s3
	s_ashr_i32 s16, s2, 4
	s_xor_b32 s2, s0, s15
	v_cmp_gt_i32_e64 s0, s16, v49
	s_sub_i32 s28, s2, s15
	s_and_saveexec_b32 s34, s0
	s_cbranch_execz .LBB79_20
; %bb.9:
	s_load_dwordx2 s[2:3], s[4:5], 0x10
	s_ashr_i32 s15, s14, 31
	s_sub_i32 s4, s28, s17
	s_lshl_b64 s[36:37], s[14:15], 1
	v_bfe_u32 v55, v0, 1, 4
	v_and_b32_e32 v2, 0x7c, v52
	v_and_b32_e32 v3, 8, v51
	v_mul_u32_u24_e32 v56, 0xc0, v48
	v_cmp_neq_f32_e64 s1, s33, 0
	v_lshlrev_b32_e32 v4, 2, v55
	v_subrev_nc_u32_e32 v5, s30, v55
	v_lshlrev_b32_e32 v57, 4, v49
	v_mov_b32_e32 v58, 0xff7fffff
	v_xor_b32_e32 v59, 1, v53
	v_lshl_or_b32 v4, v49, 6, v4
	v_add_nc_u32_e32 v60, 1, v5
	v_mov_b32_e32 v54, 0xff7fffff
	v_mov_b32_e32 v65, v49
	v_cmp_eq_u32_e32 vcc_lo, 0, v48
	v_add_nc_u32_e32 v61, 0x1a0, v4
	s_waitcnt lgkmcnt(0)
	s_add_u32 s15, s2, s36
	s_addc_u32 s35, s3, s37
	s_abs_i32 s5, s18
	v_cvt_f32_u32_e32 v1, s5
	s_sub_i32 s2, 0, s5
	v_rcp_iflag_f32_e32 v1, v1
	v_mul_f32_e32 v1, 0x4f7ffffe, v1
	v_cvt_u32_f32_e32 v6, v1
	v_lshlrev_b32_e32 v1, 4, v55
	v_mul_lo_u32 v4, s2, v6
	s_lshl_b64 s[2:3], s[24:25], 2
	v_add_co_u32 v5, s15, s15, v1
	s_add_u32 s2, s22, s2
	v_add_co_ci_u32_e64 v7, null, s35, 0, s15
	s_addc_u32 s3, s23, s3
	v_mul_hi_u32 v4, v6, v4
	v_add_co_u32 v1, s2, s2, v2
	v_add_co_ci_u32_e64 v2, null, s3, 0, s2
	v_add_co_u32 v62, s2, v5, v3
	v_add_co_ci_u32_e64 v63, null, 0, v7, s2
	v_add_nc_u32_e32 v64, v6, v4
	s_mov_b32 s15, 0
	s_mov_b32 s35, s13
	s_branch .LBB79_12
.LBB79_10:                              ;   in Loop: Header=BB79_12 Depth=1
	s_or_b32 exec_lo, exec_lo, s36
.LBB79_11:                              ;   in Loop: Header=BB79_12 Depth=1
	s_or_b32 exec_lo, exec_lo, s3
	v_add_nc_u32_e32 v65, 4, v65
	v_add_co_u32 v1, s3, v1, 16
	v_add_co_ci_u32_e64 v2, null, 0, v2, s3
	v_cmp_le_i32_e64 s2, s16, v65
	v_add_nc_u32_e32 v57, 64, v57
	v_add_nc_u32_e32 v61, 0x100, v61
	s_or_b32 s15, s2, s15
	s_andn2_b32 exec_lo, exec_lo, s15
	s_cbranch_execz .LBB79_19
.LBB79_12:                              ; =>This Inner Loop Header: Depth=1
	v_mul_hi_u32 v3, v57, s21
	s_waitcnt lgkmcnt(0)
	v_mul_lo_u32 v4, v3, s12
	v_add_nc_u32_e32 v5, 1, v3
	v_sub_nc_u32_e32 v4, v57, v4
	v_subrev_nc_u32_e32 v6, s12, v4
	v_cmp_le_u32_e64 s2, s12, v4
	v_cndmask_b32_e64 v3, v3, v5, s2
	v_cndmask_b32_e64 v4, v4, v6, s2
	v_add_nc_u32_e32 v5, 1, v3
	v_cmp_le_u32_e64 s2, s12, v4
	v_cndmask_b32_e64 v3, v3, v5, s2
	v_xor_b32_e32 v3, s19, v3
	v_subrev_nc_u32_e32 v3, s19, v3
	v_add_nc_u32_e32 v4, s31, v3
	v_cmp_ge_i32_e64 s3, s4, v3
	v_sub_nc_u32_e32 v5, 0, v4
	v_max_i32_e32 v5, v4, v5
	v_ashrrev_i32_e32 v4, 31, v4
	v_mul_hi_u32 v6, v5, v64
	v_mul_lo_u32 v6, v6, s5
	v_sub_nc_u32_e32 v5, v5, v6
	v_subrev_nc_u32_e32 v6, s5, v5
	v_cmp_le_u32_e64 s2, s5, v5
	v_cndmask_b32_e64 v5, v5, v6, s2
	v_subrev_nc_u32_e32 v6, s5, v5
	v_cmp_le_u32_e64 s2, s5, v5
	v_cndmask_b32_e64 v5, v5, v6, s2
	v_xor_b32_e32 v5, v5, v4
	v_sub_nc_u32_e32 v4, v5, v4
	v_cmp_ne_u32_e64 s2, 0, v4
	s_and_b32 s2, s2, s3
	s_and_saveexec_b32 s3, s2
	s_xor_b32 s2, exec_lo, s3
	s_cbranch_execz .LBB79_16
; %bb.13:                               ;   in Loop: Header=BB79_12 Depth=1
	s_and_saveexec_b32 s3, vcc_lo
; %bb.14:                               ;   in Loop: Header=BB79_12 Depth=1
	ds_write_b32 v61, v58
; %bb.15:                               ;   in Loop: Header=BB79_12 Depth=1
	s_or_b32 exec_lo, exec_lo, s3
.LBB79_16:                              ;   in Loop: Header=BB79_12 Depth=1
	s_andn2_saveexec_b32 s3, s2
	s_cbranch_execz .LBB79_11
; %bb.17:                               ;   in Loop: Header=BB79_12 Depth=1
	global_load_dword v3, v[1:2], off
	s_waitcnt vmcnt(0)
	v_mad_i64_i32 v[3:4], null, v3, s35, 0
	v_lshlrev_b64 v[3:4], 1, v[3:4]
	v_add_co_u32 v3, s2, v62, v3
	v_add_co_ci_u32_e64 v4, null, v63, v4, s2
	s_clause 0x7
	global_load_dwordx2 v[66:67], v[3:4], off
	global_load_dwordx2 v[74:75], v[3:4], off offset:256
	global_load_dwordx2 v[45:46], v[3:4], off offset:512
	;; [unrolled: 1-line block ×7, first 2 shown]
	v_add_co_u32 v5, s2, v3, 0x1000
	v_add_co_ci_u32_e64 v6, null, 0, v4, s2
	v_add_co_u32 v9, s2, 0x800, v3
	v_add_co_ci_u32_e64 v10, null, 0, v4, s2
	global_load_dwordx2 v[33:34], v[5:6], off offset:-2048
	ds_read_b64 v[7:8], v56
	v_add_co_u32 v3, s2, 0x1000, v3
	global_load_dwordx2 v[31:32], v[9:10], off offset:256
	v_add_co_ci_u32_e64 v4, null, 0, v4, s2
	v_cmp_gt_i32_e64 s2, 32, v59
	s_waitcnt lgkmcnt(0)
	v_lshrrev_b32_e32 v68, 16, v7
	v_and_b32_e32 v69, 0xffff, v7
	v_lshrrev_b32_e32 v76, 16, v8
	v_and_b32_e32 v77, 0xffff, v8
	s_clause 0xd
	global_load_dwordx2 v[29:30], v[9:10], off offset:512
	global_load_dwordx2 v[27:28], v[9:10], off offset:768
	;; [unrolled: 1-line block ×11, first 2 shown]
	global_load_dwordx2 v[17:18], v[5:6], off
	global_load_dwordx2 v[5:6], v[3:4], off offset:1536
	global_load_dwordx2 v[3:4], v[3:4], off offset:1792
	;;#ASMSTART
	v_cvt_f32_f16 v71, v69;
	;;#ASMEND
	;;#ASMSTART
	v_cvt_f32_f16 v70, v68;
	;;#ASMEND
	s_waitcnt vmcnt(23)
	v_and_b32_e32 v69, 0xffff, v66
	v_lshrrev_b32_e32 v66, 16, v66
	v_lshrrev_b32_e32 v68, 16, v67
	v_and_b32_e32 v78, 0xffff, v67
	;;#ASMSTART
	v_cvt_f32_f16 v73, v69;
	;;#ASMEND
	;;#ASMSTART
	v_cvt_f32_f16 v72, v66;
	;;#ASMEND
	;; [unrolled: 3-line block ×6, first 2 shown]
	ds_read_b64 v[76:77], v56 offset:8
	s_waitcnt vmcnt(22)
	v_and_b32_e32 v78, 0xffff, v74
	v_lshrrev_b32_e32 v74, 16, v74
	v_and_b32_e32 v79, 0xffff, v75
	v_lshrrev_b32_e32 v75, 16, v75
	s_waitcnt vmcnt(20)
	v_lshrrev_b32_e32 v86, 16, v44
	v_and_b32_e32 v44, 0xffff, v44
	s_waitcnt vmcnt(19)
	v_lshrrev_b32_e32 v89, 16, v41
	v_and_b32_e32 v88, 0xffff, v41
	v_lshrrev_b32_e32 v100, 16, v42
	v_and_b32_e32 v91, 0xffff, v42
	s_waitcnt vmcnt(18)
	v_lshrrev_b32_e32 v102, 16, v39
	v_and_b32_e32 v103, 0xffff, v39
	s_waitcnt vmcnt(17)
	v_lshrrev_b32_e32 v105, 16, v37
	v_and_b32_e32 v106, 0xffff, v37
	v_lshrrev_b32_e32 v107, 16, v38
	v_and_b32_e32 v108, 0xffff, v38
	;; [unrolled: 2-line block ×3, first 2 shown]
	s_waitcnt lgkmcnt(0)
	v_and_b32_e32 v80, 0xffff, v76
	v_lshrrev_b32_e32 v76, 16, v76
	v_and_b32_e32 v81, 0xffff, v77
	v_lshrrev_b32_e32 v77, 16, v77
	;;#ASMSTART
	v_cvt_f32_f16 v94, v80;
	;;#ASMEND
	;;#ASMSTART
	v_cvt_f32_f16 v95, v76;
	;;#ASMEND
	;; [unrolled: 3-line block ×8, first 2 shown]
	ds_read_b64 v[75:76], v56 offset:16
	v_and_b32_e32 v78, 0xffff, v45
	v_lshrrev_b32_e32 v45, 16, v45
	v_and_b32_e32 v79, 0xffff, v46
	v_lshrrev_b32_e32 v46, 16, v46
	v_mul_f32_e32 v38, v94, v96
	v_mul_f32_e32 v39, v95, v97
	;; [unrolled: 1-line block ×3, first 2 shown]
	v_fmac_f32_e32 v38, v71, v73
	v_fmac_f32_e32 v39, v70, v72
	;; [unrolled: 1-line block ×3, first 2 shown]
	s_waitcnt vmcnt(16)
	v_and_b32_e32 v67, 0xffff, v35
	v_lshrrev_b32_e32 v69, 16, v36
	s_waitcnt lgkmcnt(0)
	v_and_b32_e32 v77, 0xffff, v75
	v_lshrrev_b32_e32 v75, 16, v75
	v_and_b32_e32 v80, 0xffff, v76
	v_lshrrev_b32_e32 v76, 16, v76
	;;#ASMSTART
	v_cvt_f32_f16 v92, v77;
	;;#ASMEND
	;;#ASMSTART
	v_cvt_f32_f16 v77, v75;
	;;#ASMEND
	;; [unrolled: 3-line block ×8, first 2 shown]
	ds_read_b64 v[45:46], v56 offset:24
	v_lshrrev_b32_e32 v79, 16, v43
	v_and_b32_e32 v43, 0xffff, v43
	v_fmac_f32_e32 v38, v92, v93
	v_fmac_f32_e32 v39, v77, v78
	v_fmac_f32_e32 v37, v83, v84
	s_waitcnt lgkmcnt(0)
	v_and_b32_e32 v75, 0xffff, v45
	v_lshrrev_b32_e32 v45, 16, v45
	v_and_b32_e32 v80, 0xffff, v46
	v_lshrrev_b32_e32 v87, 16, v46
	;;#ASMSTART
	v_cvt_f32_f16 v75, v75;
	;;#ASMEND
	;;#ASMSTART
	v_cvt_f32_f16 v45, v45;
	;;#ASMEND
	;;#ASMSTART
	v_cvt_f32_f16 v76, v43;
	;;#ASMEND
	;;#ASMSTART
	v_cvt_f32_f16 v46, v79;
	;;#ASMEND
	;;#ASMSTART
	v_cvt_f32_f16 v79, v80;
	;;#ASMEND
	;;#ASMSTART
	v_cvt_f32_f16 v43, v87;
	;;#ASMEND
	;;#ASMSTART
	v_cvt_f32_f16 v80, v44;
	;;#ASMEND
	;;#ASMSTART
	v_cvt_f32_f16 v44, v86;
	;;#ASMEND
	ds_read_b64 v[86:87], v56 offset:32
	v_fmac_f32_e32 v38, v75, v76
	v_fmac_f32_e32 v39, v45, v46
	v_fmac_f32_e32 v37, v79, v80
	s_waitcnt lgkmcnt(0)
	v_and_b32_e32 v41, 0xffff, v86
	v_lshrrev_b32_e32 v90, 16, v86
	v_and_b32_e32 v101, 0xffff, v87
	v_lshrrev_b32_e32 v87, 16, v87
	;;#ASMSTART
	v_cvt_f32_f16 v86, v41;
	;;#ASMEND
	;;#ASMSTART
	v_cvt_f32_f16 v41, v90;
	;;#ASMEND
	;;#ASMSTART
	v_cvt_f32_f16 v88, v88;
	;;#ASMEND
	;;#ASMSTART
	v_cvt_f32_f16 v42, v89;
	;;#ASMEND
	;;#ASMSTART
	v_cvt_f32_f16 v90, v101;
	;;#ASMEND
	;;#ASMSTART
	v_cvt_f32_f16 v87, v87;
	;;#ASMEND
	;;#ASMSTART
	v_cvt_f32_f16 v91, v91;
	;;#ASMEND
	;;#ASMSTART
	v_cvt_f32_f16 v89, v100;
	;;#ASMEND
	ds_read_b64 v[100:101], v56 offset:40
	;; [unrolled: 33-line block ×3, first 2 shown]
	v_fmac_f32_e32 v38, v96, v98
	v_fmac_f32_e32 v39, v94, v95
	;; [unrolled: 1-line block ×3, first 2 shown]
	s_waitcnt lgkmcnt(0)
	v_lshrrev_b32_e32 v71, 16, v102
	v_and_b32_e32 v73, 0xffff, v103
	v_lshrrev_b32_e32 v103, 16, v103
	v_and_b32_e32 v40, 0xffff, v102
	;;#ASMSTART
	v_cvt_f32_f16 v72, v40;
	;;#ASMEND
	;;#ASMSTART
	v_cvt_f32_f16 v70, v71;
	;;#ASMEND
	;; [unrolled: 3-line block ×8, first 2 shown]
	ds_read_b64 v[106:107], v56 offset:56
	v_mul_f32_e32 v40, v74, v85
	v_lshrrev_b32_e32 v74, 16, v35
	v_and_b32_e32 v85, 0xffff, v36
	v_fmac_f32_e32 v38, v72, v102
	v_fmac_f32_e32 v39, v70, v71
	;; [unrolled: 1-line block ×6, first 2 shown]
	s_waitcnt lgkmcnt(0)
	v_and_b32_e32 v35, 0xffff, v106
	v_lshrrev_b32_e32 v36, 16, v106
	v_and_b32_e32 v92, 0xffff, v107
	v_lshrrev_b32_e32 v93, 16, v107
	;;#ASMSTART
	v_cvt_f32_f16 v66, v35;
	;;#ASMEND
	;;#ASMSTART
	v_cvt_f32_f16 v35, v36;
	;;#ASMEND
	;; [unrolled: 3-line block ×8, first 2 shown]
	ds_read_b64 v[92:93], v56 offset:64
	s_waitcnt vmcnt(15)
	v_lshrrev_b32_e32 v106, 16, v33
	v_and_b32_e32 v33, 0xffff, v33
	v_lshrrev_b32_e32 v107, 16, v34
	v_and_b32_e32 v34, 0xffff, v34
	v_fmac_f32_e32 v40, v87, v89
	v_fmac_f32_e32 v38, v66, v68
	;; [unrolled: 1-line block ×4, first 2 shown]
	s_waitcnt vmcnt(8)
	v_lshrrev_b32_e32 v85, 16, v20
	v_fmac_f32_e32 v40, v97, v99
	v_and_b32_e32 v20, 0xffff, v20
	v_fmac_f32_e32 v40, v73, v103
	v_lshrrev_b32_e32 v103, 16, v22
	v_and_b32_e32 v22, 0xffff, v22
	s_waitcnt lgkmcnt(0)
	v_and_b32_e32 v77, 0xffff, v92
	v_lshrrev_b32_e32 v78, 16, v92
	v_and_b32_e32 v83, 0xffff, v93
	v_lshrrev_b32_e32 v84, 16, v93
	;;#ASMSTART
	v_cvt_f32_f16 v77, v77;
	;;#ASMEND
	;;#ASMSTART
	v_cvt_f32_f16 v78, v78;
	;;#ASMEND
	;; [unrolled: 3-line block ×8, first 2 shown]
	ds_read_b64 v[33:34], v56 offset:72
	v_lshrrev_b32_e32 v106, 16, v31
	v_and_b32_e32 v31, 0xffff, v31
	v_lshrrev_b32_e32 v107, 16, v32
	v_and_b32_e32 v32, 0xffff, v32
	v_fmac_f32_e32 v40, v67, v69
	v_fmac_f32_e32 v38, v77, v81
	;; [unrolled: 1-line block ×5, first 2 shown]
	s_waitcnt lgkmcnt(0)
	v_and_b32_e32 v45, 0xffff, v33
	v_lshrrev_b32_e32 v46, 16, v33
	v_lshrrev_b32_e32 v76, 16, v34
	v_and_b32_e32 v75, 0xffff, v34
	;;#ASMSTART
	v_cvt_f32_f16 v33, v45;
	;;#ASMEND
	;;#ASMSTART
	v_cvt_f32_f16 v34, v46;
	;;#ASMEND
	;; [unrolled: 3-line block ×8, first 2 shown]
	ds_read_b64 v[31:32], v56 offset:80
	v_lshrrev_b32_e32 v106, 16, v29
	v_and_b32_e32 v29, 0xffff, v29
	v_lshrrev_b32_e32 v107, 16, v30
	v_and_b32_e32 v30, 0xffff, v30
	v_fmac_f32_e32 v38, v33, v45
	v_fmac_f32_e32 v39, v34, v46
	;; [unrolled: 1-line block ×4, first 2 shown]
	s_waitcnt vmcnt(6)
	v_lshrrev_b32_e32 v80, 16, v14
	v_and_b32_e32 v14, 0xffff, v14
	s_waitcnt lgkmcnt(0)
	v_and_b32_e32 v43, 0xffff, v31
	v_lshrrev_b32_e32 v44, 16, v31
	v_lshrrev_b32_e32 v86, 16, v32
	v_and_b32_e32 v88, 0xffff, v32
	;;#ASMSTART
	v_cvt_f32_f16 v31, v43;
	;;#ASMEND
	;;#ASMSTART
	v_cvt_f32_f16 v32, v44;
	;;#ASMEND
	;;#ASMSTART
	v_cvt_f32_f16 v41, v29;
	;;#ASMEND
	;;#ASMSTART
	v_cvt_f32_f16 v42, v106;
	;;#ASMEND
	;;#ASMSTART
	v_cvt_f32_f16 v43, v88;
	;;#ASMEND
	;;#ASMSTART
	v_cvt_f32_f16 v44, v86;
	;;#ASMEND
	;;#ASMSTART
	v_cvt_f32_f16 v86, v30;
	;;#ASMEND
	;;#ASMSTART
	v_cvt_f32_f16 v88, v107;
	;;#ASMEND
	ds_read_b64 v[29:30], v56 offset:88
	v_lshrrev_b32_e32 v106, 16, v27
	v_and_b32_e32 v27, 0xffff, v27
	v_lshrrev_b32_e32 v107, 16, v28
	v_and_b32_e32 v28, 0xffff, v28
	v_fmac_f32_e32 v38, v31, v41
	v_fmac_f32_e32 v39, v32, v42
	v_fmac_f32_e32 v37, v43, v86
	v_fmac_f32_e32 v40, v44, v88
	s_waitcnt lgkmcnt(0)
	v_and_b32_e32 v87, 0xffff, v29
	v_lshrrev_b32_e32 v89, 16, v29
	v_lshrrev_b32_e32 v91, 16, v30
	v_and_b32_e32 v90, 0xffff, v30
	;;#ASMSTART
	v_cvt_f32_f16 v29, v87;
	;;#ASMEND
	;;#ASMSTART
	v_cvt_f32_f16 v30, v89;
	;;#ASMEND
	;;#ASMSTART
	v_cvt_f32_f16 v87, v27;
	;;#ASMEND
	;;#ASMSTART
	v_cvt_f32_f16 v89, v106;
	;;#ASMEND
	;;#ASMSTART
	v_cvt_f32_f16 v90, v90;
	;;#ASMEND
	;;#ASMSTART
	v_cvt_f32_f16 v91, v91;
	;;#ASMEND
	;;#ASMSTART
	v_cvt_f32_f16 v96, v28;
	;;#ASMEND
	;;#ASMSTART
	v_cvt_f32_f16 v98, v107;
	;;#ASMEND
	ds_read_b64 v[27:28], v56 offset:96
	v_lshrrev_b32_e32 v106, 16, v25
	v_and_b32_e32 v25, 0xffff, v25
	v_lshrrev_b32_e32 v107, 16, v26
	v_and_b32_e32 v26, 0xffff, v26
	v_fmac_f32_e32 v38, v29, v87
	v_fmac_f32_e32 v39, v30, v89
	v_fmac_f32_e32 v37, v90, v96
	v_fmac_f32_e32 v40, v91, v98
	;; [unrolled: 38-line block ×3, first 2 shown]
	s_waitcnt vmcnt(3)
	v_lshrrev_b32_e32 v94, 16, v8
	v_and_b32_e32 v8, 0xffff, v8
	s_waitcnt lgkmcnt(0)
	v_and_b32_e32 v70, 0xffff, v25
	v_lshrrev_b32_e32 v71, 16, v25
	v_lshrrev_b32_e32 v102, 16, v26
	v_and_b32_e32 v72, 0xffff, v26
	;;#ASMSTART
	v_cvt_f32_f16 v25, v70;
	;;#ASMEND
	;;#ASMSTART
	v_cvt_f32_f16 v26, v71;
	;;#ASMEND
	;;#ASMSTART
	v_cvt_f32_f16 v70, v23;
	;;#ASMEND
	;;#ASMSTART
	v_cvt_f32_f16 v71, v106;
	;;#ASMEND
	;;#ASMSTART
	v_cvt_f32_f16 v72, v72;
	;;#ASMEND
	;;#ASMSTART
	v_cvt_f32_f16 v102, v102;
	;;#ASMEND
	;;#ASMSTART
	v_cvt_f32_f16 v104, v24;
	;;#ASMEND
	;;#ASMSTART
	v_cvt_f32_f16 v105, v107;
	;;#ASMEND
	ds_read_b64 v[23:24], v56 offset:112
	v_lshrrev_b32_e32 v106, 16, v21
	v_and_b32_e32 v21, 0xffff, v21
	v_fmac_f32_e32 v38, v25, v70
	v_fmac_f32_e32 v39, v26, v71
	v_fmac_f32_e32 v37, v72, v104
	v_fmac_f32_e32 v40, v102, v105
	s_waitcnt lgkmcnt(0)
	v_and_b32_e32 v66, 0xffff, v23
	v_lshrrev_b32_e32 v68, 16, v23
	v_lshrrev_b32_e32 v73, 16, v24
	v_and_b32_e32 v107, 0xffff, v24
	;;#ASMSTART
	v_cvt_f32_f16 v23, v66;
	;;#ASMEND
	;;#ASMSTART
	v_cvt_f32_f16 v24, v68;
	;;#ASMEND
	;; [unrolled: 3-line block ×8, first 2 shown]
	ds_read_b64 v[21:22], v56 offset:120
	v_lshrrev_b32_e32 v106, 16, v19
	v_and_b32_e32 v19, 0xffff, v19
	s_waitcnt vmcnt(2)
	v_lshrrev_b32_e32 v107, 16, v18
	v_and_b32_e32 v18, 0xffff, v18
	v_fmac_f32_e32 v38, v23, v35
	v_fmac_f32_e32 v39, v24, v36
	;; [unrolled: 1-line block ×4, first 2 shown]
	s_waitcnt lgkmcnt(0)
	v_and_b32_e32 v67, 0xffff, v21
	v_lshrrev_b32_e32 v69, 16, v21
	v_lshrrev_b32_e32 v77, 16, v22
	v_and_b32_e32 v74, 0xffff, v22
	;;#ASMSTART
	v_cvt_f32_f16 v21, v67;
	;;#ASMEND
	;;#ASMSTART
	v_cvt_f32_f16 v22, v69;
	;;#ASMEND
	;; [unrolled: 3-line block ×8, first 2 shown]
	ds_read_b64 v[19:20], v56 offset:128
	v_lshrrev_b32_e32 v106, 16, v17
	v_and_b32_e32 v17, 0xffff, v17
	v_fmac_f32_e32 v38, v21, v67
	v_fmac_f32_e32 v39, v22, v69
	;; [unrolled: 1-line block ×4, first 2 shown]
	s_waitcnt vmcnt(1)
	v_lshrrev_b32_e32 v21, 16, v6
	v_and_b32_e32 v6, 0xffff, v6
	s_waitcnt vmcnt(0)
	v_lshrrev_b32_e32 v22, 16, v3
	s_waitcnt lgkmcnt(0)
	v_and_b32_e32 v78, 0xffff, v19
	v_lshrrev_b32_e32 v82, 16, v19
	v_lshrrev_b32_e32 v84, 16, v20
	v_and_b32_e32 v83, 0xffff, v20
	;;#ASMSTART
	v_cvt_f32_f16 v19, v78;
	;;#ASMEND
	;;#ASMSTART
	v_cvt_f32_f16 v20, v82;
	;;#ASMEND
	;; [unrolled: 3-line block ×8, first 2 shown]
	ds_read_b64 v[17:18], v56 offset:136
	v_lshrrev_b32_e32 v106, 16, v15
	v_and_b32_e32 v15, 0xffff, v15
	v_lshrrev_b32_e32 v107, 16, v16
	v_and_b32_e32 v16, 0xffff, v16
	v_fmac_f32_e32 v38, v19, v78
	v_fmac_f32_e32 v39, v20, v82
	;; [unrolled: 1-line block ×4, first 2 shown]
	s_waitcnt lgkmcnt(0)
	v_and_b32_e32 v33, 0xffff, v17
	v_lshrrev_b32_e32 v34, 16, v17
	v_lshrrev_b32_e32 v46, 16, v18
	v_and_b32_e32 v45, 0xffff, v18
	;;#ASMSTART
	v_cvt_f32_f16 v17, v33;
	;;#ASMEND
	;;#ASMSTART
	v_cvt_f32_f16 v18, v34;
	;;#ASMEND
	;; [unrolled: 3-line block ×8, first 2 shown]
	ds_read_b64 v[15:16], v56 offset:144
	v_lshrrev_b32_e32 v106, 16, v13
	v_and_b32_e32 v13, 0xffff, v13
	v_lshrrev_b32_e32 v107, 16, v12
	v_and_b32_e32 v12, 0xffff, v12
	v_fmac_f32_e32 v38, v17, v33
	v_fmac_f32_e32 v39, v18, v34
	;; [unrolled: 1-line block ×4, first 2 shown]
	s_waitcnt lgkmcnt(0)
	v_and_b32_e32 v31, 0xffff, v15
	v_lshrrev_b32_e32 v41, 16, v15
	v_lshrrev_b32_e32 v42, 16, v16
	v_and_b32_e32 v76, 0xffff, v16
	;;#ASMSTART
	v_cvt_f32_f16 v15, v31;
	;;#ASMEND
	;;#ASMSTART
	v_cvt_f32_f16 v16, v41;
	;;#ASMEND
	;;#ASMSTART
	v_cvt_f32_f16 v31, v13;
	;;#ASMEND
	;;#ASMSTART
	v_cvt_f32_f16 v32, v106;
	;;#ASMEND
	;;#ASMSTART
	v_cvt_f32_f16 v41, v76;
	;;#ASMEND
	;;#ASMSTART
	v_cvt_f32_f16 v42, v42;
	;;#ASMEND
	;;#ASMSTART
	v_cvt_f32_f16 v76, v14;
	;;#ASMEND
	;;#ASMSTART
	v_cvt_f32_f16 v80, v80;
	;;#ASMEND
	ds_read_b64 v[13:14], v56 offset:152
	v_lshrrev_b32_e32 v106, 16, v11
	v_and_b32_e32 v11, 0xffff, v11
	v_fmac_f32_e32 v38, v15, v31
	v_fmac_f32_e32 v39, v16, v32
	;; [unrolled: 1-line block ×4, first 2 shown]
	s_waitcnt lgkmcnt(0)
	v_and_b32_e32 v43, 0xffff, v13
	v_lshrrev_b32_e32 v44, 16, v13
	v_lshrrev_b32_e32 v86, 16, v14
	v_and_b32_e32 v87, 0xffff, v14
	;;#ASMSTART
	v_cvt_f32_f16 v13, v43;
	;;#ASMEND
	;;#ASMSTART
	v_cvt_f32_f16 v14, v44;
	;;#ASMEND
	;; [unrolled: 3-line block ×8, first 2 shown]
	ds_read_b64 v[11:12], v56 offset:160
	v_lshrrev_b32_e32 v106, 16, v9
	v_and_b32_e32 v9, 0xffff, v9
	v_lshrrev_b32_e32 v107, 16, v10
	v_and_b32_e32 v10, 0xffff, v10
	v_fmac_f32_e32 v38, v13, v29
	v_fmac_f32_e32 v39, v14, v43
	;; [unrolled: 1-line block ×4, first 2 shown]
	v_and_b32_e32 v13, 0xffff, v3
	s_waitcnt lgkmcnt(0)
	v_and_b32_e32 v30, 0xffff, v11
	v_lshrrev_b32_e32 v89, 16, v11
	v_lshrrev_b32_e32 v91, 16, v12
	v_and_b32_e32 v90, 0xffff, v12
	;;#ASMSTART
	v_cvt_f32_f16 v11, v30;
	;;#ASMEND
	;;#ASMSTART
	v_cvt_f32_f16 v12, v89;
	;;#ASMEND
	;; [unrolled: 3-line block ×8, first 2 shown]
	ds_read_b64 v[9:10], v56 offset:168
	v_lshrrev_b32_e32 v106, 16, v7
	v_and_b32_e32 v7, 0xffff, v7
	v_lshrrev_b32_e32 v107, 16, v5
	v_and_b32_e32 v5, 0xffff, v5
	v_fmac_f32_e32 v38, v11, v30
	v_fmac_f32_e32 v39, v12, v89
	;; [unrolled: 1-line block ×4, first 2 shown]
	v_lshrrev_b32_e32 v11, 16, v4
	s_waitcnt lgkmcnt(0)
	v_and_b32_e32 v23, 0xffff, v9
	v_lshrrev_b32_e32 v25, 16, v9
	v_lshrrev_b32_e32 v26, 16, v10
	v_and_b32_e32 v27, 0xffff, v10
	;;#ASMSTART
	v_cvt_f32_f16 v9, v23;
	;;#ASMEND
	;;#ASMSTART
	v_cvt_f32_f16 v10, v25;
	;;#ASMEND
	;; [unrolled: 3-line block ×8, first 2 shown]
	ds_read_b64 v[7:8], v56 offset:176
	v_fmac_f32_e32 v38, v9, v23
	v_fmac_f32_e32 v39, v10, v24
	v_fmac_f32_e32 v37, v25, v27
	v_and_b32_e32 v9, 0xffff, v4
	v_fmac_f32_e32 v40, v26, v28
	s_waitcnt lgkmcnt(0)
	v_and_b32_e32 v15, 0xffff, v7
	v_lshrrev_b32_e32 v16, 16, v7
	v_lshrrev_b32_e32 v18, 16, v8
	v_and_b32_e32 v17, 0xffff, v8
	;;#ASMSTART
	v_cvt_f32_f16 v7, v15;
	;;#ASMEND
	;;#ASMSTART
	v_cvt_f32_f16 v8, v16;
	;;#ASMEND
	;; [unrolled: 3-line block ×8, first 2 shown]
	ds_read_b64 v[5:6], v56 offset:184
	v_fmac_f32_e32 v38, v7, v15
	v_fmac_f32_e32 v39, v8, v16
	v_fmac_f32_e32 v37, v17, v19
	v_fmac_f32_e32 v40, v18, v20
	s_waitcnt lgkmcnt(0)
	v_and_b32_e32 v3, 0xffff, v5
	v_lshrrev_b32_e32 v4, 16, v5
	v_lshrrev_b32_e32 v7, 16, v6
	v_and_b32_e32 v8, 0xffff, v6
	;;#ASMSTART
	v_cvt_f32_f16 v3, v3;
	;;#ASMEND
	;;#ASMSTART
	v_cvt_f32_f16 v4, v4;
	;;#ASMEND
	;; [unrolled: 3-line block ×4, first 2 shown]
	v_fmac_f32_e32 v38, v3, v5
	v_fmac_f32_e32 v39, v4, v6
	;;#ASMSTART
	v_cvt_f32_f16 v3, v8;
	;;#ASMEND
	;;#ASMSTART
	v_cvt_f32_f16 v4, v7;
	;;#ASMEND
	;; [unrolled: 3-line block ×3, first 2 shown]
	v_fmac_f32_e32 v37, v3, v5
	v_add_f32_e32 v3, v38, v39
	;;#ASMSTART
	v_cvt_f32_f16 v5, v11;
	;;#ASMEND
	v_fmac_f32_e32 v40, v4, v5
	v_cndmask_b32_e64 v4, v53, v59, s2
	v_add_f32_e32 v3, v3, v37
	v_lshlrev_b32_e32 v4, 2, v4
	v_add_f32_e32 v3, v40, v3
	ds_bpermute_b32 v4, v4, v3
	s_and_saveexec_b32 s36, vcc_lo
	s_cbranch_execz .LBB79_10
; %bb.18:                               ;   in Loop: Header=BB79_12 Depth=1
	v_add_nc_u32_e32 v5, v60, v57
	s_waitcnt lgkmcnt(0)
	v_add_f32_e32 v3, v3, v4
	v_cvt_f32_i32_e32 v5, v5
	v_mul_f32_e32 v5, s33, v5
	v_cndmask_b32_e64 v4, 0, v5, s1
	v_max_f32_e32 v5, v54, v54
	v_fmac_f32_e32 v4, s29, v3
	v_add_nc_u32_e32 v3, v55, v57
	v_max_f32_e32 v5, v5, v4
	v_cmp_gt_i32_e64 s2, s30, v3
	v_cndmask_b32_e64 v3, 0, v4, s2
	v_cndmask_b32_e64 v54, v54, v5, s2
	ds_write_b32 v61, v3
	s_branch .LBB79_10
.LBB79_19:
	s_or_b32 exec_lo, exec_lo, s15
.LBB79_20:
	s_or_b32 exec_lo, exec_lo, s34
	v_xor_b32_e32 v1, 16, v53
	v_xor_b32_e32 v3, 8, v53
	v_max_f32_e32 v5, v54, v54
	v_xor_b32_e32 v6, 2, v53
	v_and_b32_e32 v11, 31, v0
	v_cmp_gt_i32_e32 vcc_lo, 32, v1
	v_cndmask_b32_e32 v1, v53, v1, vcc_lo
	v_cmp_gt_i32_e32 vcc_lo, 32, v3
	v_lshlrev_b32_e32 v2, 2, v1
	v_cndmask_b32_e32 v3, v53, v3, vcc_lo
	ds_bpermute_b32 v1, v2, v54
	s_waitcnt lgkmcnt(1)
	v_lshlrev_b32_e32 v4, 2, v3
	s_waitcnt lgkmcnt(0)
	v_max_f32_e32 v1, v1, v1
	v_max_f32_e32 v1, v5, v1
	v_xor_b32_e32 v5, 4, v53
	ds_bpermute_b32 v3, v4, v1
	v_cmp_gt_i32_e32 vcc_lo, 32, v5
	v_cndmask_b32_e32 v5, v53, v5, vcc_lo
	v_cmp_gt_i32_e32 vcc_lo, 32, v6
	v_lshlrev_b32_e32 v5, 2, v5
	v_cndmask_b32_e32 v6, v53, v6, vcc_lo
	v_cmp_eq_u32_e32 vcc_lo, 0, v11
	s_waitcnt lgkmcnt(0)
	v_max_f32_e32 v3, v3, v3
	v_max_f32_e32 v1, v1, v3
	ds_bpermute_b32 v3, v5, v1
	s_waitcnt lgkmcnt(0)
	v_max_f32_e32 v3, v3, v3
	v_max_f32_e32 v3, v1, v3
	v_lshlrev_b32_e32 v1, 2, v6
	v_lshlrev_b32_e32 v6, 2, v49
	ds_bpermute_b32 v7, v1, v3
	s_and_saveexec_b32 s1, vcc_lo
	s_cbranch_execz .LBB79_22
; %bb.21:
	s_waitcnt lgkmcnt(0)
	v_max_f32_e32 v7, v7, v7
	v_max_f32_e32 v3, v3, v3
	;; [unrolled: 1-line block ×3, first 2 shown]
	ds_write_b32 v6, v3 offset:384
.LBB79_22:
	s_or_b32 exec_lo, exec_lo, s1
	v_cmp_gt_u32_e64 s1, 4, v11
	v_mov_b32_e32 v3, 0xff7fffff
	s_waitcnt lgkmcnt(0)
	v_lshlrev_b32_e32 v7, 2, v11
	s_barrier
	buffer_gl0_inv
	s_and_saveexec_b32 s2, s1
; %bb.23:
	ds_read_b32 v3, v7 offset:384
; %bb.24:
	s_or_b32 exec_lo, exec_lo, s2
	s_waitcnt lgkmcnt(0)
	ds_bpermute_b32 v8, v1, v3
	v_xor_b32_e32 v9, 1, v53
	v_max_f32_e32 v3, v3, v3
	v_cmp_gt_i32_e64 s2, 32, v9
	v_cndmask_b32_e64 v9, v53, v9, s2
	s_lshl_b32 s2, s16, 4
	s_min_i32 s4, s2, s30
	v_lshlrev_b32_e32 v12, 2, v9
	v_cmp_gt_i32_e64 s2, s4, v0
	s_waitcnt lgkmcnt(0)
	v_max_f32_e32 v8, v8, v8
	v_max_f32_e32 v3, v3, v8
	ds_bpermute_b32 v8, v12, v3
	s_waitcnt lgkmcnt(0)
	v_max_f32_e32 v8, v8, v8
	v_max_f32_e32 v3, v3, v8
	v_mov_b32_e32 v8, 0
	ds_bpermute_b32 v9, v8, v3
	v_lshl_add_u32 v3, v0, 2, 0x1a0
	s_and_saveexec_b32 s5, s2
	s_cbranch_execz .LBB79_28
; %bb.25:
	v_lshl_add_u32 v10, v0, 2, 0x1a0
	v_mov_b32_e32 v8, 0
	v_mov_b32_e32 v13, v0
	s_mov_b32 s15, 0
	.p2align	6
.LBB79_26:                              ; =>This Inner Loop Header: Depth=1
	ds_read_b32 v14, v10
	v_add_nc_u32_e32 v13, 0x80, v13
	v_cmp_le_i32_e64 s3, s4, v13
	s_or_b32 s15, s3, s15
	s_waitcnt lgkmcnt(0)
	v_sub_f32_e32 v14, v14, v9
	v_mul_f32_e32 v14, 0x3fb8aa3b, v14
	v_exp_f32_e32 v14, v14
	ds_write_b32 v10, v14
	v_add_f32_e32 v8, v8, v14
	v_add_nc_u32_e32 v10, 0x200, v10
	s_andn2_b32 exec_lo, exec_lo, s15
	s_cbranch_execnz .LBB79_26
; %bb.27:
	s_or_b32 exec_lo, exec_lo, s15
.LBB79_28:
	s_or_b32 exec_lo, exec_lo, s5
	ds_bpermute_b32 v2, v2, v8
	s_waitcnt lgkmcnt(0)
	v_add_f32_e32 v2, v8, v2
	ds_bpermute_b32 v4, v4, v2
	s_waitcnt lgkmcnt(0)
	v_add_f32_e32 v2, v2, v4
	ds_bpermute_b32 v4, v5, v2
	s_waitcnt lgkmcnt(0)
	v_add_f32_e32 v2, v2, v4
	ds_bpermute_b32 v4, v1, v2
	s_waitcnt lgkmcnt(0)
	v_add_f32_e32 v2, v2, v4
	ds_bpermute_b32 v4, v12, v2
	s_waitcnt lgkmcnt(0)
	v_add_f32_e32 v2, v2, v4
	s_and_saveexec_b32 s3, vcc_lo
; %bb.29:
	ds_write_b32 v6, v2 offset:400
; %bb.30:
	s_or_b32 exec_lo, exec_lo, s3
	s_waitcnt lgkmcnt(0)
	s_barrier
	buffer_gl0_inv
	s_and_saveexec_b32 s3, s1
; %bb.31:
	ds_read_b32 v2, v7 offset:400
; %bb.32:
	s_or_b32 exec_lo, exec_lo, s3
	s_waitcnt lgkmcnt(0)
	ds_bpermute_b32 v1, v1, v2
	s_waitcnt lgkmcnt(0)
	v_add_f32_e32 v1, v2, v1
	ds_bpermute_b32 v2, v12, v1
	s_waitcnt lgkmcnt(0)
	v_add_f32_e32 v1, v1, v2
	v_mov_b32_e32 v2, 0
	ds_bpermute_b32 v1, v2, v1
	s_and_saveexec_b32 s1, s2
	s_cbranch_execz .LBB79_35
; %bb.33:
	s_waitcnt lgkmcnt(0)
	v_add_f32_e32 v1, 0x358637bd, v1
	s_mov_b32 s2, 0
	v_div_scale_f32 v2, null, v1, v1, 1.0
	v_div_scale_f32 v6, vcc_lo, 1.0, v1, 1.0
	v_rcp_f32_e32 v4, v2
	v_fma_f32 v5, -v2, v4, 1.0
	v_fmac_f32_e32 v4, v5, v4
	v_mul_f32_e32 v5, v6, v4
	v_fma_f32 v7, -v2, v5, v6
	v_fmac_f32_e32 v5, v7, v4
	v_fma_f32 v2, -v2, v5, v6
	v_div_fmas_f32 v2, v2, v4, v5
	v_div_fixup_f32 v1, v2, v1, 1.0
	v_mov_b32_e32 v2, v0
.LBB79_34:                              ; =>This Inner Loop Header: Depth=1
	ds_read_b32 v4, v3
	v_add_nc_u32_e32 v2, 0x80, v2
	v_cmp_le_i32_e32 vcc_lo, s4, v2
	s_or_b32 s2, vcc_lo, s2
	s_waitcnt lgkmcnt(0)
	v_mul_f32_e32 v4, v1, v4
	ds_write_b32 v3, v4
	v_add_nc_u32_e32 v3, 0x200, v3
	s_andn2_b32 exec_lo, exec_lo, s2
	s_cbranch_execnz .LBB79_34
.LBB79_35:
	s_or_b32 exec_lo, exec_lo, s1
	v_mov_b32_e32 v24, 0
	v_mov_b32_e32 v23, 0
	;; [unrolled: 1-line block ×12, first 2 shown]
	s_waitcnt lgkmcnt(0)
	s_barrier
	buffer_gl0_inv
	s_and_saveexec_b32 s2, s0
	s_cbranch_execz .LBB79_65
; %bb.36:
	s_ashr_i32 s15, s14, 31
	s_sub_i32 s3, s28, s17
	s_lshl_b64 s[0:1], s[14:15], 1
	v_lshlrev_b32_e32 v2, 4, v0
	s_add_u32 s14, s26, s0
	s_addc_u32 s15, s27, s1
	s_abs_i32 s4, s18
	v_lshlrev_b32_e32 v4, 5, v48
	v_cvt_f32_u32_e32 v1, s4
	s_sub_i32 s0, 0, s4
	v_and_b32_e32 v3, 0x7c, v52
	v_and_b32_e32 v2, 0x1f0, v2
	s_add_i32 s5, s16, -1
	v_rcp_iflag_f32_e32 v1, v1
	v_lshl_or_b32 v4, v49, 6, v4
	v_and_b32_e32 v25, 8, v51
	v_add_co_u32 v27, s14, s14, v2
	v_mov_b32_e32 v26, 0
	v_mov_b32_e32 v13, 0
	;; [unrolled: 1-line block ×5, first 2 shown]
	v_mul_f32_e32 v1, 0x4f7ffffe, v1
	v_mov_b32_e32 v17, 0
	v_mov_b32_e32 v18, 0
	;; [unrolled: 1-line block ×4, first 2 shown]
	v_cvt_u32_f32_e32 v1, v1
	v_mov_b32_e32 v21, 0
	v_mov_b32_e32 v22, 0
	;; [unrolled: 1-line block ×4, first 2 shown]
	v_mul_lo_u32 v5, s0, v1
	s_lshl_b64 s[0:1], s[24:25], 2
	v_add_co_ci_u32_e64 v28, null, s15, 0, s14
	s_add_u32 s0, s22, s0
	s_addc_u32 s1, s23, s1
	v_add_nc_u32_e32 v29, 0x1a0, v4
	v_mov_b32_e32 v31, v49
	v_mul_hi_u32 v7, v1, v5
	v_add_co_u32 v5, s0, s0, v3
	v_add_co_ci_u32_e64 v6, null, s1, 0, s0
	s_mov_b32 s14, s13
	s_mov_b32 s13, 0
	v_add_nc_u32_e32 v30, v1, v7
	s_branch .LBB79_39
.LBB79_37:                              ;   in Loop: Header=BB79_39 Depth=1
	s_or_b32 exec_lo, exec_lo, s1
	v_add_f32_e32 v9, v9, v10
	v_add_f32_e32 v10, v60, v61
	v_lshlrev_b32_e32 v8, 16, v8
	v_lshlrev_b32_e32 v7, 16, v7
	v_add_f32_e32 v32, v67, v68
	v_add_f32_e32 v33, v64, v65
	;; [unrolled: 1-line block ×3, first 2 shown]
	v_lshlrev_b32_e32 v10, 16, v66
	v_and_or_b32 v2, 0xffff, v2, v8
	v_and_or_b32 v3, 0xffff, v3, v7
	v_add_f32_e32 v34, v62, v63
	v_add_f32_e32 v14, v14, v32
	v_and_or_b32 v1, 0xffff, v1, v10
	;;#ASMSTART
	v_pk_mul_f16 v1, v40, v1;

	;;#ASMEND
	;;#ASMSTART
	v_pk_mul_f16 v2, v38, v2;

	;;#ASMEND
	;; [unrolled: 4-line block ×4, first 2 shown]
	;;#ASMSTART
	v_pk_add_f16 v1, v1, v2;

	;;#ASMEND
	;;#ASMSTART
	v_pk_add_f16 v1, v1, v3;

	;;#ASMEND
	;;#ASMSTART
	v_pk_add_f16 v1, v1, v4;

	;;#ASMEND
	v_and_b32_e32 v4, 0xffff, v1
	v_lshrrev_b32_e32 v8, 16, v1
	;;#ASMSTART
	v_cvt_f32_f16 v4, v4;
	;;#ASMEND
	v_add_f32_e32 v17, v17, v9
	v_add_f32_e32 v9, v58, v59
	;; [unrolled: 1-line block ×7, first 2 shown]
	;;#ASMSTART
	v_cvt_f32_f16 v8, v8;
	;;#ASMEND
	v_add_f32_e32 v4, v4, v8
	v_add_f32_e32 v15, v15, v33
	;; [unrolled: 1-line block ×10, first 2 shown]
.LBB79_38:                              ;   in Loop: Header=BB79_39 Depth=1
	s_or_b32 exec_lo, exec_lo, s15
	v_add_nc_u32_e32 v31, 4, v31
	v_add_co_u32 v5, s0, v5, 16
	v_add_co_ci_u32_e64 v6, null, 0, v6, s0
	v_cmp_le_i32_e32 vcc_lo, s16, v31
	v_add_nc_u32_e32 v50, 64, v50
	v_add_nc_u32_e32 v29, 0x100, v29
	s_or_b32 s13, vcc_lo, s13
	s_andn2_b32 exec_lo, exec_lo, s13
	s_cbranch_execz .LBB79_64
.LBB79_39:                              ; =>This Inner Loop Header: Depth=1
	v_mul_hi_u32 v1, v50, s21
	v_mul_lo_u32 v2, v1, s12
	v_add_nc_u32_e32 v3, 1, v1
	v_sub_nc_u32_e32 v2, v50, v2
	v_subrev_nc_u32_e32 v4, s12, v2
	v_cmp_le_u32_e32 vcc_lo, s12, v2
	v_cndmask_b32_e32 v1, v1, v3, vcc_lo
	v_cndmask_b32_e32 v2, v2, v4, vcc_lo
	v_add_nc_u32_e32 v3, 1, v1
	v_cmp_le_u32_e32 vcc_lo, s12, v2
	v_cndmask_b32_e32 v1, v1, v3, vcc_lo
	v_xor_b32_e32 v1, s19, v1
	v_subrev_nc_u32_e32 v1, s19, v1
	v_add_nc_u32_e32 v2, s31, v1
	v_cmp_lt_i32_e64 s0, s3, v1
	v_sub_nc_u32_e32 v3, 0, v2
	v_max_i32_e32 v3, v2, v3
	v_ashrrev_i32_e32 v2, 31, v2
	v_mul_hi_u32 v4, v3, v30
	v_mul_lo_u32 v4, v4, s4
	v_sub_nc_u32_e32 v3, v3, v4
	v_subrev_nc_u32_e32 v4, s4, v3
	v_cmp_le_u32_e32 vcc_lo, s4, v3
	v_cndmask_b32_e32 v3, v3, v4, vcc_lo
	v_subrev_nc_u32_e32 v4, s4, v3
	v_cmp_le_u32_e32 vcc_lo, s4, v3
	v_cndmask_b32_e32 v3, v3, v4, vcc_lo
	v_xor_b32_e32 v3, v3, v2
	v_sub_nc_u32_e32 v2, v3, v2
	v_cmp_eq_u32_e32 vcc_lo, 0, v2
	s_or_b32 s0, vcc_lo, s0
	s_and_saveexec_b32 s15, s0
	s_cbranch_execz .LBB79_38
; %bb.40:                               ;   in Loop: Header=BB79_39 Depth=1
	global_load_dword v7, v[5:6], off
	ds_read2_b64 v[1:4], v29 offset1:1
	ds_read2_b64 v[32:35], v29 offset0:2 offset1:3
	v_add_nc_u32_e32 v37, v25, v50
	v_cmp_eq_u32_e64 s0, s5, v31
	s_waitcnt lgkmcnt(1)
	;;#ASMSTART
	v_cvt_f16_f32 v40, v1;

	;;#ASMEND
	;;#ASMSTART
	v_cvt_f16_f32 v38, v2;

	;;#ASMEND
	;; [unrolled: 4-line block ×4, first 2 shown]
	s_waitcnt lgkmcnt(0)
	;;#ASMSTART
	v_cvt_f16_f32 v44, v32;

	;;#ASMEND
	;;#ASMSTART
	v_cvt_f16_f32 v10, v33;

	;;#ASMEND
	;; [unrolled: 4-line block ×4, first 2 shown]
	v_add_nc_u32_e32 v45, 1, v37
	v_add_nc_u32_e32 v36, 2, v37
	;; [unrolled: 1-line block ×7, first 2 shown]
	s_waitcnt vmcnt(0)
	v_mad_i64_i32 v[7:8], null, v7, s14, 0
	v_lshlrev_b64 v[7:8], 1, v[7:8]
	v_add_co_u32 v7, vcc_lo, v27, v7
	v_add_co_ci_u32_e64 v8, null, v28, v8, vcc_lo
	global_load_dwordx4 v[1:4], v[7:8], off
	s_waitcnt vmcnt(0)
	v_lshrrev_b32_e32 v52, 16, v1
	v_lshrrev_b32_e32 v51, 16, v2
	v_lshrrev_b32_e32 v46, 16, v3
	s_and_saveexec_b32 s17, s0
	s_cbranch_execz .LBB79_42
; %bb.41:                               ;   in Loop: Header=BB79_39 Depth=1
	v_cmp_gt_i32_e32 vcc_lo, s30, v37
	v_and_b32_e32 v53, 0xffff0000, v4
	v_cmp_gt_i32_e64 s1, s30, v36
	v_cndmask_b32_e32 v1, 0, v1, vcc_lo
	v_cmp_gt_i32_e32 vcc_lo, s30, v45
	v_cndmask_b32_e64 v2, 0, v2, s1
	v_cmp_gt_i32_e64 s1, s30, v35
	v_cndmask_b32_e32 v52, 0, v52, vcc_lo
	v_cmp_gt_i32_e32 vcc_lo, s30, v39
	v_cndmask_b32_e64 v51, 0, v51, s1
	v_cndmask_b32_sdwa v4, v26, v4, vcc_lo dst_sel:DWORD dst_unused:UNUSED_PAD src0_sel:DWORD src1_sel:WORD_0
	v_cmp_gt_i32_e32 vcc_lo, s30, v34
	v_cndmask_b32_e32 v53, 0, v53, vcc_lo
	v_cmp_gt_i32_e32 vcc_lo, s30, v33
	v_or_b32_e32 v4, v4, v53
	v_cndmask_b32_e32 v3, 0, v3, vcc_lo
	v_cmp_gt_i32_e32 vcc_lo, s30, v32
	v_cndmask_b32_e32 v46, 0, v46, vcc_lo
.LBB79_42:                              ;   in Loop: Header=BB79_39 Depth=1
	s_or_b32 exec_lo, exec_lo, s17
	v_and_b32_e32 v40, 0xffff, v40
	v_and_b32_e32 v43, 0xffff, v43
	v_lshlrev_b32_e32 v52, 16, v52
	v_lshlrev_b32_e32 v46, 16, v46
	v_and_b32_e32 v44, 0xffff, v44
	v_lshl_or_b32 v40, v38, 16, v40
	v_lshl_or_b32 v38, v41, 16, v43
	v_lshlrev_b32_e32 v41, 16, v51
	v_and_b32_e32 v42, 0xffff, v42
	v_and_or_b32 v1, 0xffff, v1, v52
	v_and_or_b32 v3, 0xffff, v3, v46
	;;#ASMSTART
	v_pk_mul_f16 v1, v40, v1;

	;;#ASMEND
	v_and_or_b32 v2, 0xffff, v2, v41
	v_lshl_or_b32 v43, v10, 16, v44
	v_lshl_or_b32 v44, v9, 16, v42
	;;#ASMSTART
	v_pk_mul_f16 v2, v38, v2;

	;;#ASMEND
	;;#ASMSTART
	v_pk_mul_f16 v3, v43, v3;

	;;#ASMEND
	;; [unrolled: 4-line block ×3, first 2 shown]
	;;#ASMSTART
	v_pk_add_f16 v1, v1, v2;

	;;#ASMEND
	;;#ASMSTART
	v_pk_add_f16 v1, v1, v3;

	;;#ASMEND
	;; [unrolled: 4-line block ×3, first 2 shown]
	v_and_b32_e32 v2, 0xffff, v1
	v_lshrrev_b32_e32 v1, 16, v1
	;;#ASMSTART
	v_cvt_f32_f16 v41, v2;
	;;#ASMEND
	;;#ASMSTART
	v_cvt_f32_f16 v42, v1;
	;;#ASMEND
	global_load_dwordx4 v[1:4], v[7:8], off offset:512
	s_waitcnt vmcnt(0)
	v_lshrrev_b32_e32 v46, 16, v1
	v_lshrrev_b32_e32 v10, 16, v2
	;; [unrolled: 1-line block ×3, first 2 shown]
	s_and_saveexec_b32 s17, s0
	s_cbranch_execz .LBB79_44
; %bb.43:                               ;   in Loop: Header=BB79_39 Depth=1
	v_cmp_gt_i32_e32 vcc_lo, s30, v37
	v_and_b32_e32 v51, 0xffff0000, v4
	v_cmp_gt_i32_e64 s1, s30, v36
	v_cndmask_b32_e32 v1, 0, v1, vcc_lo
	v_cmp_gt_i32_e32 vcc_lo, s30, v45
	v_cndmask_b32_e64 v2, 0, v2, s1
	v_cmp_gt_i32_e64 s1, s30, v35
	v_cndmask_b32_e32 v46, 0, v46, vcc_lo
	v_cmp_gt_i32_e32 vcc_lo, s30, v39
	v_cndmask_b32_e64 v10, 0, v10, s1
	v_cndmask_b32_sdwa v4, v26, v4, vcc_lo dst_sel:DWORD dst_unused:UNUSED_PAD src0_sel:DWORD src1_sel:WORD_0
	v_cmp_gt_i32_e32 vcc_lo, s30, v34
	v_cndmask_b32_e32 v51, 0, v51, vcc_lo
	v_cmp_gt_i32_e32 vcc_lo, s30, v33
	v_or_b32_e32 v4, v4, v51
	v_cndmask_b32_e32 v3, 0, v3, vcc_lo
	v_cmp_gt_i32_e32 vcc_lo, s30, v32
	v_cndmask_b32_e32 v9, 0, v9, vcc_lo
.LBB79_44:                              ;   in Loop: Header=BB79_39 Depth=1
	s_or_b32 exec_lo, exec_lo, s17
	v_lshlrev_b32_e32 v46, 16, v46
	v_lshlrev_b32_e32 v10, 16, v10
	;; [unrolled: 1-line block ×3, first 2 shown]
	v_and_or_b32 v1, 0xffff, v1, v46
	v_and_or_b32 v2, 0xffff, v2, v10
	;; [unrolled: 1-line block ×3, first 2 shown]
	;;#ASMSTART
	v_pk_mul_f16 v1, v40, v1;

	;;#ASMEND
	;;#ASMSTART
	v_pk_mul_f16 v2, v38, v2;

	;;#ASMEND
	;; [unrolled: 4-line block ×4, first 2 shown]
	;;#ASMSTART
	v_pk_add_f16 v1, v1, v2;

	;;#ASMEND
	;;#ASMSTART
	v_pk_add_f16 v1, v1, v3;

	;;#ASMEND
	;; [unrolled: 4-line block ×3, first 2 shown]
	v_and_b32_e32 v2, 0xffff, v1
	v_lshrrev_b32_e32 v1, 16, v1
	;;#ASMSTART
	v_cvt_f32_f16 v46, v2;
	;;#ASMEND
	;;#ASMSTART
	v_cvt_f32_f16 v51, v1;
	;;#ASMEND
	global_load_dwordx4 v[1:4], v[7:8], off offset:1024
	s_waitcnt vmcnt(0)
	v_lshrrev_b32_e32 v52, 16, v1
	v_lshrrev_b32_e32 v10, 16, v2
	;; [unrolled: 1-line block ×3, first 2 shown]
	s_and_saveexec_b32 s17, s0
	s_cbranch_execz .LBB79_46
; %bb.45:                               ;   in Loop: Header=BB79_39 Depth=1
	v_cmp_gt_i32_e32 vcc_lo, s30, v37
	v_and_b32_e32 v53, 0xffff0000, v4
	v_cmp_gt_i32_e64 s1, s30, v36
	v_cndmask_b32_e32 v1, 0, v1, vcc_lo
	v_cmp_gt_i32_e32 vcc_lo, s30, v45
	v_cndmask_b32_e64 v2, 0, v2, s1
	v_cmp_gt_i32_e64 s1, s30, v35
	v_cndmask_b32_e32 v52, 0, v52, vcc_lo
	v_cmp_gt_i32_e32 vcc_lo, s30, v39
	v_cndmask_b32_e64 v10, 0, v10, s1
	v_cndmask_b32_sdwa v4, v26, v4, vcc_lo dst_sel:DWORD dst_unused:UNUSED_PAD src0_sel:DWORD src1_sel:WORD_0
	v_cmp_gt_i32_e32 vcc_lo, s30, v34
	v_cndmask_b32_e32 v53, 0, v53, vcc_lo
	v_cmp_gt_i32_e32 vcc_lo, s30, v33
	v_or_b32_e32 v4, v4, v53
	v_cndmask_b32_e32 v3, 0, v3, vcc_lo
	v_cmp_gt_i32_e32 vcc_lo, s30, v32
	v_cndmask_b32_e32 v9, 0, v9, vcc_lo
.LBB79_46:                              ;   in Loop: Header=BB79_39 Depth=1
	s_or_b32 exec_lo, exec_lo, s17
	v_lshlrev_b32_e32 v52, 16, v52
	v_lshlrev_b32_e32 v10, 16, v10
	;; [unrolled: 1-line block ×3, first 2 shown]
	v_and_or_b32 v1, 0xffff, v1, v52
	v_and_or_b32 v2, 0xffff, v2, v10
	v_and_or_b32 v3, 0xffff, v3, v9
	;;#ASMSTART
	v_pk_mul_f16 v1, v40, v1;

	;;#ASMEND
	;;#ASMSTART
	v_pk_mul_f16 v2, v38, v2;

	;;#ASMEND
	;; [unrolled: 4-line block ×4, first 2 shown]
	;;#ASMSTART
	v_pk_add_f16 v1, v1, v2;

	;;#ASMEND
	;;#ASMSTART
	v_pk_add_f16 v1, v1, v3;

	;;#ASMEND
	;; [unrolled: 4-line block ×3, first 2 shown]
	v_and_b32_e32 v2, 0xffff, v1
	v_lshrrev_b32_e32 v1, 16, v1
	;;#ASMSTART
	v_cvt_f32_f16 v52, v2;
	;;#ASMEND
	;;#ASMSTART
	v_cvt_f32_f16 v53, v1;
	;;#ASMEND
	global_load_dwordx4 v[1:4], v[7:8], off offset:1536
	s_waitcnt vmcnt(0)
	v_lshrrev_b32_e32 v54, 16, v1
	v_lshrrev_b32_e32 v10, 16, v2
	;; [unrolled: 1-line block ×3, first 2 shown]
	s_and_saveexec_b32 s17, s0
	s_cbranch_execz .LBB79_48
; %bb.47:                               ;   in Loop: Header=BB79_39 Depth=1
	v_cmp_gt_i32_e32 vcc_lo, s30, v37
	v_and_b32_e32 v55, 0xffff0000, v4
	v_cmp_gt_i32_e64 s1, s30, v36
	v_cndmask_b32_e32 v1, 0, v1, vcc_lo
	v_cmp_gt_i32_e32 vcc_lo, s30, v45
	v_cndmask_b32_e64 v2, 0, v2, s1
	v_cmp_gt_i32_e64 s1, s30, v35
	v_cndmask_b32_e32 v54, 0, v54, vcc_lo
	v_cmp_gt_i32_e32 vcc_lo, s30, v39
	v_cndmask_b32_e64 v10, 0, v10, s1
	v_cndmask_b32_sdwa v4, v26, v4, vcc_lo dst_sel:DWORD dst_unused:UNUSED_PAD src0_sel:DWORD src1_sel:WORD_0
	v_cmp_gt_i32_e32 vcc_lo, s30, v34
	v_cndmask_b32_e32 v55, 0, v55, vcc_lo
	v_cmp_gt_i32_e32 vcc_lo, s30, v33
	v_or_b32_e32 v4, v4, v55
	v_cndmask_b32_e32 v3, 0, v3, vcc_lo
	v_cmp_gt_i32_e32 vcc_lo, s30, v32
	v_cndmask_b32_e32 v9, 0, v9, vcc_lo
.LBB79_48:                              ;   in Loop: Header=BB79_39 Depth=1
	s_or_b32 exec_lo, exec_lo, s17
	v_lshlrev_b32_e32 v9, 16, v9
	v_lshlrev_b32_e32 v54, 16, v54
	;; [unrolled: 1-line block ×3, first 2 shown]
	v_and_or_b32 v3, 0xffff, v3, v9
	v_add_co_u32 v9, vcc_lo, 0x800, v7
	v_and_or_b32 v1, 0xffff, v1, v54
	v_and_or_b32 v2, 0xffff, v2, v10
	;;#ASMSTART
	v_pk_mul_f16 v1, v40, v1;

	;;#ASMEND
	v_add_co_ci_u32_e64 v10, null, 0, v8, vcc_lo
	;;#ASMSTART
	v_pk_mul_f16 v2, v38, v2;

	;;#ASMEND
	;;#ASMSTART
	v_pk_mul_f16 v3, v43, v3;

	;;#ASMEND
	;; [unrolled: 4-line block ×3, first 2 shown]
	;;#ASMSTART
	v_pk_add_f16 v1, v1, v2;

	;;#ASMEND
	;;#ASMSTART
	v_pk_add_f16 v1, v1, v3;

	;;#ASMEND
	;; [unrolled: 4-line block ×3, first 2 shown]
	v_lshrrev_b32_e32 v2, 16, v1
	v_and_b32_e32 v1, 0xffff, v1
	;;#ASMSTART
	v_cvt_f32_f16 v54, v1;
	;;#ASMEND
	;;#ASMSTART
	v_cvt_f32_f16 v55, v2;
	;;#ASMEND
	global_load_dwordx4 v[1:4], v[9:10], off
	s_waitcnt vmcnt(0)
	v_lshrrev_b32_e32 v58, 16, v1
	v_lshrrev_b32_e32 v57, 16, v2
	;; [unrolled: 1-line block ×3, first 2 shown]
	s_and_saveexec_b32 s17, s0
	s_cbranch_execz .LBB79_50
; %bb.49:                               ;   in Loop: Header=BB79_39 Depth=1
	v_cmp_gt_i32_e32 vcc_lo, s30, v37
	v_and_b32_e32 v59, 0xffff0000, v4
	v_cmp_gt_i32_e64 s1, s30, v36
	v_cndmask_b32_e32 v1, 0, v1, vcc_lo
	v_cmp_gt_i32_e32 vcc_lo, s30, v45
	v_cndmask_b32_e64 v2, 0, v2, s1
	v_cmp_gt_i32_e64 s1, s30, v35
	v_cndmask_b32_e32 v58, 0, v58, vcc_lo
	v_cmp_gt_i32_e32 vcc_lo, s30, v39
	v_cndmask_b32_e64 v57, 0, v57, s1
	v_cndmask_b32_sdwa v4, v26, v4, vcc_lo dst_sel:DWORD dst_unused:UNUSED_PAD src0_sel:DWORD src1_sel:WORD_0
	v_cmp_gt_i32_e32 vcc_lo, s30, v34
	v_cndmask_b32_e32 v59, 0, v59, vcc_lo
	v_cmp_gt_i32_e32 vcc_lo, s30, v33
	v_or_b32_e32 v4, v4, v59
	v_cndmask_b32_e32 v3, 0, v3, vcc_lo
	v_cmp_gt_i32_e32 vcc_lo, s30, v32
	v_cndmask_b32_e32 v56, 0, v56, vcc_lo
.LBB79_50:                              ;   in Loop: Header=BB79_39 Depth=1
	s_or_b32 exec_lo, exec_lo, s17
	v_lshlrev_b32_e32 v58, 16, v58
	v_lshlrev_b32_e32 v57, 16, v57
	;; [unrolled: 1-line block ×3, first 2 shown]
	v_and_or_b32 v1, 0xffff, v1, v58
	v_and_or_b32 v2, 0xffff, v2, v57
	;; [unrolled: 1-line block ×3, first 2 shown]
	;;#ASMSTART
	v_pk_mul_f16 v1, v40, v1;

	;;#ASMEND
	;;#ASMSTART
	v_pk_mul_f16 v2, v38, v2;

	;;#ASMEND
	;; [unrolled: 4-line block ×4, first 2 shown]
	;;#ASMSTART
	v_pk_add_f16 v1, v1, v2;

	;;#ASMEND
	;;#ASMSTART
	v_pk_add_f16 v1, v1, v3;

	;;#ASMEND
	;; [unrolled: 4-line block ×3, first 2 shown]
	v_and_b32_e32 v2, 0xffff, v1
	v_lshrrev_b32_e32 v1, 16, v1
	;;#ASMSTART
	v_cvt_f32_f16 v56, v2;
	;;#ASMEND
	;;#ASMSTART
	v_cvt_f32_f16 v57, v1;
	;;#ASMEND
	global_load_dwordx4 v[1:4], v[9:10], off offset:512
	s_waitcnt vmcnt(0)
	v_lshrrev_b32_e32 v60, 16, v1
	v_lshrrev_b32_e32 v59, 16, v2
	;; [unrolled: 1-line block ×3, first 2 shown]
	s_and_saveexec_b32 s17, s0
	s_cbranch_execz .LBB79_52
; %bb.51:                               ;   in Loop: Header=BB79_39 Depth=1
	v_cmp_gt_i32_e32 vcc_lo, s30, v37
	v_and_b32_e32 v61, 0xffff0000, v4
	v_cmp_gt_i32_e64 s1, s30, v36
	v_cndmask_b32_e32 v1, 0, v1, vcc_lo
	v_cmp_gt_i32_e32 vcc_lo, s30, v45
	v_cndmask_b32_e64 v2, 0, v2, s1
	v_cmp_gt_i32_e64 s1, s30, v35
	v_cndmask_b32_e32 v60, 0, v60, vcc_lo
	v_cmp_gt_i32_e32 vcc_lo, s30, v39
	v_cndmask_b32_e64 v59, 0, v59, s1
	v_cndmask_b32_sdwa v4, v26, v4, vcc_lo dst_sel:DWORD dst_unused:UNUSED_PAD src0_sel:DWORD src1_sel:WORD_0
	v_cmp_gt_i32_e32 vcc_lo, s30, v34
	v_cndmask_b32_e32 v61, 0, v61, vcc_lo
	v_cmp_gt_i32_e32 vcc_lo, s30, v33
	v_or_b32_e32 v4, v4, v61
	v_cndmask_b32_e32 v3, 0, v3, vcc_lo
	v_cmp_gt_i32_e32 vcc_lo, s30, v32
	v_cndmask_b32_e32 v58, 0, v58, vcc_lo
.LBB79_52:                              ;   in Loop: Header=BB79_39 Depth=1
	s_or_b32 exec_lo, exec_lo, s17
	v_lshlrev_b32_e32 v60, 16, v60
	v_lshlrev_b32_e32 v59, 16, v59
	;; [unrolled: 1-line block ×3, first 2 shown]
	v_and_or_b32 v1, 0xffff, v1, v60
	v_and_or_b32 v2, 0xffff, v2, v59
	;; [unrolled: 1-line block ×3, first 2 shown]
	;;#ASMSTART
	v_pk_mul_f16 v1, v40, v1;

	;;#ASMEND
	;;#ASMSTART
	v_pk_mul_f16 v2, v38, v2;

	;;#ASMEND
	;; [unrolled: 4-line block ×4, first 2 shown]
	;;#ASMSTART
	v_pk_add_f16 v1, v1, v2;

	;;#ASMEND
	;;#ASMSTART
	v_pk_add_f16 v1, v1, v3;

	;;#ASMEND
	;;#ASMSTART
	v_pk_add_f16 v1, v1, v4;

	;;#ASMEND
	v_and_b32_e32 v2, 0xffff, v1
	v_lshrrev_b32_e32 v1, 16, v1
	;;#ASMSTART
	v_cvt_f32_f16 v58, v2;
	;;#ASMEND
	;;#ASMSTART
	v_cvt_f32_f16 v59, v1;
	;;#ASMEND
	global_load_dwordx4 v[1:4], v[9:10], off offset:1024
	s_waitcnt vmcnt(0)
	v_lshrrev_b32_e32 v62, 16, v1
	v_lshrrev_b32_e32 v61, 16, v2
	;; [unrolled: 1-line block ×3, first 2 shown]
	s_and_saveexec_b32 s17, s0
	s_cbranch_execz .LBB79_54
; %bb.53:                               ;   in Loop: Header=BB79_39 Depth=1
	v_cmp_gt_i32_e32 vcc_lo, s30, v37
	v_and_b32_e32 v63, 0xffff0000, v4
	v_cmp_gt_i32_e64 s1, s30, v36
	v_cndmask_b32_e32 v1, 0, v1, vcc_lo
	v_cmp_gt_i32_e32 vcc_lo, s30, v45
	v_cndmask_b32_e64 v2, 0, v2, s1
	v_cmp_gt_i32_e64 s1, s30, v35
	v_cndmask_b32_e32 v62, 0, v62, vcc_lo
	v_cmp_gt_i32_e32 vcc_lo, s30, v39
	v_cndmask_b32_e64 v61, 0, v61, s1
	v_cndmask_b32_sdwa v4, v26, v4, vcc_lo dst_sel:DWORD dst_unused:UNUSED_PAD src0_sel:DWORD src1_sel:WORD_0
	v_cmp_gt_i32_e32 vcc_lo, s30, v34
	v_cndmask_b32_e32 v63, 0, v63, vcc_lo
	v_cmp_gt_i32_e32 vcc_lo, s30, v33
	v_or_b32_e32 v4, v4, v63
	v_cndmask_b32_e32 v3, 0, v3, vcc_lo
	v_cmp_gt_i32_e32 vcc_lo, s30, v32
	v_cndmask_b32_e32 v60, 0, v60, vcc_lo
.LBB79_54:                              ;   in Loop: Header=BB79_39 Depth=1
	s_or_b32 exec_lo, exec_lo, s17
	v_lshlrev_b32_e32 v62, 16, v62
	v_lshlrev_b32_e32 v61, 16, v61
	;; [unrolled: 1-line block ×3, first 2 shown]
	v_and_or_b32 v1, 0xffff, v1, v62
	v_and_or_b32 v2, 0xffff, v2, v61
	;; [unrolled: 1-line block ×3, first 2 shown]
	;;#ASMSTART
	v_pk_mul_f16 v1, v40, v1;

	;;#ASMEND
	;;#ASMSTART
	v_pk_mul_f16 v2, v38, v2;

	;;#ASMEND
	;; [unrolled: 4-line block ×4, first 2 shown]
	;;#ASMSTART
	v_pk_add_f16 v1, v1, v2;

	;;#ASMEND
	;;#ASMSTART
	v_pk_add_f16 v1, v1, v3;

	;;#ASMEND
	;; [unrolled: 4-line block ×3, first 2 shown]
	v_and_b32_e32 v2, 0xffff, v1
	v_lshrrev_b32_e32 v1, 16, v1
	;;#ASMSTART
	v_cvt_f32_f16 v60, v2;
	;;#ASMEND
	;;#ASMSTART
	v_cvt_f32_f16 v61, v1;
	;;#ASMEND
	global_load_dwordx4 v[1:4], v[9:10], off offset:1536
	s_waitcnt vmcnt(0)
	v_lshrrev_b32_e32 v62, 16, v1
	v_lshrrev_b32_e32 v10, 16, v2
	;; [unrolled: 1-line block ×3, first 2 shown]
	s_and_saveexec_b32 s17, s0
	s_cbranch_execz .LBB79_56
; %bb.55:                               ;   in Loop: Header=BB79_39 Depth=1
	v_cmp_gt_i32_e32 vcc_lo, s30, v37
	v_and_b32_e32 v63, 0xffff0000, v4
	v_cmp_gt_i32_e64 s1, s30, v36
	v_cndmask_b32_e32 v1, 0, v1, vcc_lo
	v_cmp_gt_i32_e32 vcc_lo, s30, v45
	v_cndmask_b32_e64 v2, 0, v2, s1
	v_cmp_gt_i32_e64 s1, s30, v35
	v_cndmask_b32_e32 v62, 0, v62, vcc_lo
	v_cmp_gt_i32_e32 vcc_lo, s30, v39
	v_cndmask_b32_e64 v10, 0, v10, s1
	v_cndmask_b32_sdwa v4, v26, v4, vcc_lo dst_sel:DWORD dst_unused:UNUSED_PAD src0_sel:DWORD src1_sel:WORD_0
	v_cmp_gt_i32_e32 vcc_lo, s30, v34
	v_cndmask_b32_e32 v63, 0, v63, vcc_lo
	v_cmp_gt_i32_e32 vcc_lo, s30, v33
	v_or_b32_e32 v4, v4, v63
	v_cndmask_b32_e32 v3, 0, v3, vcc_lo
	v_cmp_gt_i32_e32 vcc_lo, s30, v32
	v_cndmask_b32_e32 v9, 0, v9, vcc_lo
.LBB79_56:                              ;   in Loop: Header=BB79_39 Depth=1
	s_or_b32 exec_lo, exec_lo, s17
	v_lshlrev_b32_e32 v62, 16, v62
	v_lshlrev_b32_e32 v10, 16, v10
	;; [unrolled: 1-line block ×3, first 2 shown]
	v_add_co_u32 v7, vcc_lo, 0x1000, v7
	v_and_or_b32 v1, 0xffff, v1, v62
	v_and_or_b32 v2, 0xffff, v2, v10
	;; [unrolled: 1-line block ×3, first 2 shown]
	;;#ASMSTART
	v_pk_mul_f16 v1, v40, v1;

	;;#ASMEND
	v_add_co_ci_u32_e64 v8, null, 0, v8, vcc_lo
	;;#ASMSTART
	v_pk_mul_f16 v2, v38, v2;

	;;#ASMEND
	;;#ASMSTART
	v_pk_mul_f16 v3, v43, v3;

	;;#ASMEND
	;; [unrolled: 4-line block ×3, first 2 shown]
	;;#ASMSTART
	v_pk_add_f16 v1, v1, v2;

	;;#ASMEND
	;;#ASMSTART
	v_pk_add_f16 v1, v1, v3;

	;;#ASMEND
	;; [unrolled: 4-line block ×3, first 2 shown]
	v_lshrrev_b32_e32 v2, 16, v1
	v_and_b32_e32 v1, 0xffff, v1
	;;#ASMSTART
	v_cvt_f32_f16 v9, v1;
	;;#ASMEND
	;;#ASMSTART
	v_cvt_f32_f16 v10, v2;
	;;#ASMEND
	global_load_dwordx4 v[1:4], v[7:8], off
	s_waitcnt vmcnt(0)
	v_lshrrev_b32_e32 v64, 16, v1
	v_lshrrev_b32_e32 v63, 16, v2
	;; [unrolled: 1-line block ×3, first 2 shown]
	s_and_saveexec_b32 s17, s0
	s_cbranch_execz .LBB79_58
; %bb.57:                               ;   in Loop: Header=BB79_39 Depth=1
	v_cmp_gt_i32_e32 vcc_lo, s30, v37
	v_and_b32_e32 v65, 0xffff0000, v4
	v_cmp_gt_i32_e64 s1, s30, v36
	v_cndmask_b32_e32 v1, 0, v1, vcc_lo
	v_cmp_gt_i32_e32 vcc_lo, s30, v45
	v_cndmask_b32_e64 v2, 0, v2, s1
	v_cmp_gt_i32_e64 s1, s30, v35
	v_cndmask_b32_e32 v64, 0, v64, vcc_lo
	v_cmp_gt_i32_e32 vcc_lo, s30, v39
	v_cndmask_b32_e64 v63, 0, v63, s1
	v_cndmask_b32_sdwa v4, v26, v4, vcc_lo dst_sel:DWORD dst_unused:UNUSED_PAD src0_sel:DWORD src1_sel:WORD_0
	v_cmp_gt_i32_e32 vcc_lo, s30, v34
	v_cndmask_b32_e32 v65, 0, v65, vcc_lo
	v_cmp_gt_i32_e32 vcc_lo, s30, v33
	v_or_b32_e32 v4, v4, v65
	v_cndmask_b32_e32 v3, 0, v3, vcc_lo
	v_cmp_gt_i32_e32 vcc_lo, s30, v32
	v_cndmask_b32_e32 v62, 0, v62, vcc_lo
.LBB79_58:                              ;   in Loop: Header=BB79_39 Depth=1
	s_or_b32 exec_lo, exec_lo, s17
	v_lshlrev_b32_e32 v64, 16, v64
	v_lshlrev_b32_e32 v63, 16, v63
	;; [unrolled: 1-line block ×3, first 2 shown]
	v_and_or_b32 v1, 0xffff, v1, v64
	v_and_or_b32 v2, 0xffff, v2, v63
	v_and_or_b32 v3, 0xffff, v3, v62
	;;#ASMSTART
	v_pk_mul_f16 v1, v40, v1;

	;;#ASMEND
	;;#ASMSTART
	v_pk_mul_f16 v2, v38, v2;

	;;#ASMEND
	;;#ASMSTART
	v_pk_mul_f16 v3, v43, v3;

	;;#ASMEND
	;;#ASMSTART
	v_pk_mul_f16 v4, v44, v4;

	;;#ASMEND
	;;#ASMSTART
	v_pk_add_f16 v1, v1, v2;

	;;#ASMEND
	;;#ASMSTART
	v_pk_add_f16 v1, v1, v3;

	;;#ASMEND
	;; [unrolled: 4-line block ×3, first 2 shown]
	v_and_b32_e32 v2, 0xffff, v1
	v_lshrrev_b32_e32 v1, 16, v1
	;;#ASMSTART
	v_cvt_f32_f16 v62, v2;
	;;#ASMEND
	;;#ASMSTART
	v_cvt_f32_f16 v63, v1;
	;;#ASMEND
	global_load_dwordx4 v[1:4], v[7:8], off offset:512
	s_waitcnt vmcnt(0)
	v_lshrrev_b32_e32 v66, 16, v1
	v_lshrrev_b32_e32 v65, 16, v2
	;; [unrolled: 1-line block ×3, first 2 shown]
	s_and_saveexec_b32 s17, s0
	s_cbranch_execz .LBB79_60
; %bb.59:                               ;   in Loop: Header=BB79_39 Depth=1
	v_cmp_gt_i32_e32 vcc_lo, s30, v37
	v_and_b32_e32 v67, 0xffff0000, v4
	v_cmp_gt_i32_e64 s1, s30, v36
	v_cndmask_b32_e32 v1, 0, v1, vcc_lo
	v_cmp_gt_i32_e32 vcc_lo, s30, v45
	v_cndmask_b32_e64 v2, 0, v2, s1
	v_cmp_gt_i32_e64 s1, s30, v35
	v_cndmask_b32_e32 v66, 0, v66, vcc_lo
	v_cmp_gt_i32_e32 vcc_lo, s30, v39
	v_cndmask_b32_e64 v65, 0, v65, s1
	v_cndmask_b32_sdwa v4, v26, v4, vcc_lo dst_sel:DWORD dst_unused:UNUSED_PAD src0_sel:DWORD src1_sel:WORD_0
	v_cmp_gt_i32_e32 vcc_lo, s30, v34
	v_cndmask_b32_e32 v67, 0, v67, vcc_lo
	v_cmp_gt_i32_e32 vcc_lo, s30, v33
	v_or_b32_e32 v4, v4, v67
	v_cndmask_b32_e32 v3, 0, v3, vcc_lo
	v_cmp_gt_i32_e32 vcc_lo, s30, v32
	v_cndmask_b32_e32 v64, 0, v64, vcc_lo
.LBB79_60:                              ;   in Loop: Header=BB79_39 Depth=1
	s_or_b32 exec_lo, exec_lo, s17
	v_lshlrev_b32_e32 v66, 16, v66
	v_lshlrev_b32_e32 v65, 16, v65
	;; [unrolled: 1-line block ×3, first 2 shown]
	v_and_or_b32 v1, 0xffff, v1, v66
	v_and_or_b32 v2, 0xffff, v2, v65
	;; [unrolled: 1-line block ×3, first 2 shown]
	;;#ASMSTART
	v_pk_mul_f16 v1, v40, v1;

	;;#ASMEND
	;;#ASMSTART
	v_pk_mul_f16 v2, v38, v2;

	;;#ASMEND
	;; [unrolled: 4-line block ×4, first 2 shown]
	;;#ASMSTART
	v_pk_add_f16 v1, v1, v2;

	;;#ASMEND
	;;#ASMSTART
	v_pk_add_f16 v1, v1, v3;

	;;#ASMEND
	;;#ASMSTART
	v_pk_add_f16 v1, v1, v4;

	;;#ASMEND
	v_and_b32_e32 v2, 0xffff, v1
	v_lshrrev_b32_e32 v1, 16, v1
	;;#ASMSTART
	v_cvt_f32_f16 v64, v2;
	;;#ASMEND
	;;#ASMSTART
	v_cvt_f32_f16 v65, v1;
	;;#ASMEND
	global_load_dwordx4 v[1:4], v[7:8], off offset:1024
	s_waitcnt vmcnt(0)
	v_lshrrev_b32_e32 v68, 16, v1
	v_lshrrev_b32_e32 v67, 16, v2
	;; [unrolled: 1-line block ×3, first 2 shown]
	s_and_saveexec_b32 s17, s0
	s_cbranch_execz .LBB79_62
; %bb.61:                               ;   in Loop: Header=BB79_39 Depth=1
	v_cmp_gt_i32_e32 vcc_lo, s30, v37
	v_and_b32_e32 v69, 0xffff0000, v4
	v_cmp_gt_i32_e64 s1, s30, v36
	v_cndmask_b32_e32 v1, 0, v1, vcc_lo
	v_cmp_gt_i32_e32 vcc_lo, s30, v45
	v_cndmask_b32_e64 v2, 0, v2, s1
	v_cmp_gt_i32_e64 s1, s30, v35
	v_cndmask_b32_e32 v68, 0, v68, vcc_lo
	v_cmp_gt_i32_e32 vcc_lo, s30, v39
	v_cndmask_b32_e64 v67, 0, v67, s1
	v_cndmask_b32_sdwa v4, v26, v4, vcc_lo dst_sel:DWORD dst_unused:UNUSED_PAD src0_sel:DWORD src1_sel:WORD_0
	v_cmp_gt_i32_e32 vcc_lo, s30, v34
	v_cndmask_b32_e32 v69, 0, v69, vcc_lo
	v_cmp_gt_i32_e32 vcc_lo, s30, v33
	v_or_b32_e32 v4, v4, v69
	v_cndmask_b32_e32 v3, 0, v3, vcc_lo
	v_cmp_gt_i32_e32 vcc_lo, s30, v32
	v_cndmask_b32_e32 v66, 0, v66, vcc_lo
.LBB79_62:                              ;   in Loop: Header=BB79_39 Depth=1
	s_or_b32 exec_lo, exec_lo, s17
	v_lshlrev_b32_e32 v68, 16, v68
	v_lshlrev_b32_e32 v67, 16, v67
	;; [unrolled: 1-line block ×3, first 2 shown]
	v_and_or_b32 v1, 0xffff, v1, v68
	v_and_or_b32 v2, 0xffff, v2, v67
	;; [unrolled: 1-line block ×3, first 2 shown]
	;;#ASMSTART
	v_pk_mul_f16 v1, v40, v1;

	;;#ASMEND
	;;#ASMSTART
	v_pk_mul_f16 v2, v38, v2;

	;;#ASMEND
	;; [unrolled: 4-line block ×4, first 2 shown]
	;;#ASMSTART
	v_pk_add_f16 v1, v1, v2;

	;;#ASMEND
	;;#ASMSTART
	v_pk_add_f16 v1, v1, v3;

	;;#ASMEND
	;; [unrolled: 4-line block ×3, first 2 shown]
	v_and_b32_e32 v2, 0xffff, v1
	v_lshrrev_b32_e32 v1, 16, v1
	;;#ASMSTART
	v_cvt_f32_f16 v67, v2;
	;;#ASMEND
	;;#ASMSTART
	v_cvt_f32_f16 v68, v1;
	;;#ASMEND
	global_load_dwordx4 v[1:4], v[7:8], off offset:1536
	s_waitcnt vmcnt(0)
	v_lshrrev_b32_e32 v66, 16, v1
	v_lshrrev_b32_e32 v8, 16, v2
	;; [unrolled: 1-line block ×3, first 2 shown]
	s_and_saveexec_b32 s1, s0
	s_cbranch_execz .LBB79_37
; %bb.63:                               ;   in Loop: Header=BB79_39 Depth=1
	v_cmp_gt_i32_e32 vcc_lo, s30, v37
	v_cmp_gt_i32_e64 s0, s30, v36
	v_cndmask_b32_e32 v1, 0, v1, vcc_lo
	v_cmp_gt_i32_e32 vcc_lo, s30, v45
	v_cndmask_b32_e64 v2, 0, v2, s0
	v_cmp_gt_i32_e64 s0, s30, v35
	v_and_b32_e32 v35, 0xffff0000, v4
	v_cndmask_b32_e32 v66, 0, v66, vcc_lo
	v_cmp_gt_i32_e32 vcc_lo, s30, v39
	v_cndmask_b32_e64 v8, 0, v8, s0
	v_cndmask_b32_sdwa v4, v26, v4, vcc_lo dst_sel:DWORD dst_unused:UNUSED_PAD src0_sel:DWORD src1_sel:WORD_0
	v_cmp_gt_i32_e32 vcc_lo, s30, v34
	v_cndmask_b32_e32 v34, 0, v35, vcc_lo
	v_cmp_gt_i32_e32 vcc_lo, s30, v33
	v_or_b32_e32 v4, v4, v34
	v_cndmask_b32_e32 v3, 0, v3, vcc_lo
	v_cmp_gt_i32_e32 vcc_lo, s30, v32
	v_cndmask_b32_e32 v7, 0, v7, vcc_lo
	s_branch .LBB79_37
.LBB79_64:
	s_or_b32 exec_lo, exec_lo, s13
.LBB79_65:
	s_or_b32 exec_lo, exec_lo, s2
	ds_bpermute_b32 v1, v12, v24
	ds_bpermute_b32 v2, v12, v23
	;; [unrolled: 1-line block ×12, first 2 shown]
	v_lshrrev_b32_e32 v11, 1, v11
	s_mov_b32 s0, exec_lo
	s_waitcnt lgkmcnt(0)
	s_barrier
	buffer_gl0_inv
	v_add_f32_e32 v24, v24, v1
	v_add_f32_e32 v12, v23, v2
	;; [unrolled: 1-line block ×10, first 2 shown]
	v_and_b32_e32 v15, 0x3c1, v0
	v_add_f32_e32 v6, v14, v29
	v_add_f32_e32 v3, v13, v30
	v_lshl_add_u32 v13, v11, 2, 0x1a0
	v_mul_u32_u24_e32 v14, 0x300, v49
	v_cmpx_eq_u32_e32 64, v15
	s_cbranch_execz .LBB79_67
; %bb.66:
	v_add_nc_u32_e32 v15, v13, v14
	v_add_nc_u32_e32 v16, 0xfffffa00, v15
	;; [unrolled: 1-line block ×8, first 2 shown]
	ds_write_b32 v16, v24
	ds_write_b32 v17, v12
	ds_write_b32 v18, v10
	ds_write_b32 v19, v9
	ds_write_b32 v20, v8
	ds_write_b32 v21, v7
	ds_write_b32 v22, v5
	v_add_nc_u32_e32 v16, 0xfffffbc0, v15
	v_add_nc_u32_e32 v17, 0xfffffc00, v15
	;; [unrolled: 1-line block ×5, first 2 shown]
	ds_write_b32 v16, v2
	ds_write_b32 v17, v1
	;; [unrolled: 1-line block ×5, first 2 shown]
.LBB79_67:
	s_or_b32 exec_lo, exec_lo, s0
	v_lshlrev_b32_e32 v11, 2, v11
	s_mov_b32 s1, exec_lo
	v_cmp_eq_u32_e32 vcc_lo, 0, v48
	s_waitcnt lgkmcnt(0)
	s_barrier
	v_add3_u32 v11, 0x1a0, v14, v11
	buffer_gl0_inv
	v_cmpx_gt_u32_e32 64, v0
	s_cbranch_execz .LBB79_82
; %bb.68:
	s_and_saveexec_b32 s0, vcc_lo
	s_cbranch_execnz .LBB79_102
; %bb.69:
	s_or_b32 exec_lo, exec_lo, s0
	s_and_saveexec_b32 s0, vcc_lo
	s_cbranch_execnz .LBB79_103
.LBB79_70:
	s_or_b32 exec_lo, exec_lo, s0
	s_and_saveexec_b32 s0, vcc_lo
	s_cbranch_execnz .LBB79_104
.LBB79_71:
	s_or_b32 exec_lo, exec_lo, s0
	s_and_saveexec_b32 s0, vcc_lo
	s_cbranch_execnz .LBB79_105
.LBB79_72:
	s_or_b32 exec_lo, exec_lo, s0
	s_and_saveexec_b32 s0, vcc_lo
	s_cbranch_execnz .LBB79_106
.LBB79_73:
	s_or_b32 exec_lo, exec_lo, s0
	s_and_saveexec_b32 s0, vcc_lo
	s_cbranch_execnz .LBB79_107
.LBB79_74:
	s_or_b32 exec_lo, exec_lo, s0
	s_and_saveexec_b32 s0, vcc_lo
	s_cbranch_execnz .LBB79_108
.LBB79_75:
	s_or_b32 exec_lo, exec_lo, s0
	s_and_saveexec_b32 s0, vcc_lo
	s_cbranch_execnz .LBB79_109
.LBB79_76:
	s_or_b32 exec_lo, exec_lo, s0
	s_and_saveexec_b32 s0, vcc_lo
	s_cbranch_execnz .LBB79_110
.LBB79_77:
	s_or_b32 exec_lo, exec_lo, s0
	s_and_saveexec_b32 s0, vcc_lo
	s_cbranch_execnz .LBB79_111
.LBB79_78:
	s_or_b32 exec_lo, exec_lo, s0
	s_and_saveexec_b32 s0, vcc_lo
	s_cbranch_execnz .LBB79_112
.LBB79_79:
	s_or_b32 exec_lo, exec_lo, s0
	s_and_saveexec_b32 s0, vcc_lo
	s_cbranch_execz .LBB79_81
.LBB79_80:
	ds_read_b32 v14, v11 offset:704
	s_waitcnt lgkmcnt(0)
	v_add_f32_e32 v3, v3, v14
.LBB79_81:
	s_or_b32 exec_lo, exec_lo, s0
.LBB79_82:
	s_or_b32 exec_lo, exec_lo, s1
	v_and_b32_e32 v14, 0x3e1, v0
	s_mov_b32 s1, exec_lo
	s_barrier
	buffer_gl0_inv
	v_cmpx_eq_u32_e32 32, v14
	s_cbranch_execz .LBB79_84
; %bb.83:
	ds_write2_b32 v13, v24, v12 offset1:16
	ds_write2_b32 v13, v10, v9 offset0:32 offset1:48
	ds_write2_b32 v13, v8, v7 offset0:64 offset1:80
	;; [unrolled: 1-line block ×5, first 2 shown]
.LBB79_84:
	s_or_b32 exec_lo, exec_lo, s1
	s_mov_b32 s1, exec_lo
	s_waitcnt lgkmcnt(0)
	s_barrier
	buffer_gl0_inv
	v_cmpx_gt_u32_e32 32, v0
	s_cbranch_execz .LBB79_99
; %bb.85:
	s_and_saveexec_b32 s0, vcc_lo
	s_cbranch_execnz .LBB79_113
; %bb.86:
	s_or_b32 exec_lo, exec_lo, s0
	s_and_saveexec_b32 s0, vcc_lo
	s_cbranch_execnz .LBB79_114
.LBB79_87:
	s_or_b32 exec_lo, exec_lo, s0
	s_and_saveexec_b32 s0, vcc_lo
	s_cbranch_execnz .LBB79_115
.LBB79_88:
	s_or_b32 exec_lo, exec_lo, s0
	s_and_saveexec_b32 s0, vcc_lo
	s_cbranch_execnz .LBB79_116
.LBB79_89:
	s_or_b32 exec_lo, exec_lo, s0
	s_and_saveexec_b32 s0, vcc_lo
	s_cbranch_execnz .LBB79_117
.LBB79_90:
	s_or_b32 exec_lo, exec_lo, s0
	s_and_saveexec_b32 s0, vcc_lo
	s_cbranch_execnz .LBB79_118
.LBB79_91:
	s_or_b32 exec_lo, exec_lo, s0
	s_and_saveexec_b32 s0, vcc_lo
	s_cbranch_execnz .LBB79_119
.LBB79_92:
	s_or_b32 exec_lo, exec_lo, s0
	s_and_saveexec_b32 s0, vcc_lo
	s_cbranch_execnz .LBB79_120
.LBB79_93:
	s_or_b32 exec_lo, exec_lo, s0
	s_and_saveexec_b32 s0, vcc_lo
	s_cbranch_execnz .LBB79_121
.LBB79_94:
	s_or_b32 exec_lo, exec_lo, s0
	s_and_saveexec_b32 s0, vcc_lo
	s_cbranch_execnz .LBB79_122
.LBB79_95:
	s_or_b32 exec_lo, exec_lo, s0
	s_and_saveexec_b32 s0, vcc_lo
	s_cbranch_execnz .LBB79_123
.LBB79_96:
	s_or_b32 exec_lo, exec_lo, s0
	s_and_saveexec_b32 s0, vcc_lo
	s_cbranch_execz .LBB79_98
.LBB79_97:
	ds_read_b32 v0, v11 offset:704
	s_waitcnt lgkmcnt(0)
	v_add_f32_e32 v3, v3, v0
.LBB79_98:
	s_or_b32 exec_lo, exec_lo, s0
.LBB79_99:
	s_or_b32 exec_lo, exec_lo, s1
	s_barrier
	buffer_gl0_inv
	s_mov_b32 s0, exec_lo
	v_cmpx_eq_u32_e32 0, v14
	s_cbranch_execz .LBB79_101
; %bb.100:
	s_mul_i32 s0, s10, s11
	s_mul_i32 s2, s11, s20
	s_mul_i32 s0, s0, s9
	v_lshlrev_b32_e32 v0, 1, v47
	s_mulk_i32 s0, 0xc0
	;;#ASMSTART
	v_cvt_f16_f32 v11, v24;

	;;#ASMEND
	s_ashr_i32 s1, s0, 31
	s_lshl_b64 s[0:1], s[0:1], 1
	s_add_u32 s4, s6, s0
	s_addc_u32 s5, s7, s1
	s_ashr_i32 s3, s2, 31
	s_lshl_b64 s[0:1], s[2:3], 1
	s_mul_i32 s2, s8, 0xc0
	s_add_u32 s4, s4, s0
	s_addc_u32 s5, s5, s1
	s_ashr_i32 s3, s2, 31
	s_lshl_b64 s[0:1], s[2:3], 1
	s_add_u32 s0, s4, s0
	s_addc_u32 s1, s5, s1
	global_store_short v0, v11, s[0:1]
	;;#ASMSTART
	v_cvt_f16_f32 v11, v12;

	;;#ASMEND
	global_store_short v0, v11, s[0:1] offset:32
	;;#ASMSTART
	v_cvt_f16_f32 v10, v10;

	;;#ASMEND
	global_store_short v0, v10, s[0:1] offset:64
	;; [unrolled: 5-line block ×11, first 2 shown]
.LBB79_101:
	s_endpgm
.LBB79_102:
	ds_read_b32 v14, v11
	s_waitcnt lgkmcnt(0)
	v_add_f32_e32 v24, v24, v14
	s_or_b32 exec_lo, exec_lo, s0
	s_and_saveexec_b32 s0, vcc_lo
	s_cbranch_execz .LBB79_70
.LBB79_103:
	ds_read_b32 v14, v11 offset:64
	s_waitcnt lgkmcnt(0)
	v_add_f32_e32 v12, v12, v14
	s_or_b32 exec_lo, exec_lo, s0
	s_and_saveexec_b32 s0, vcc_lo
	s_cbranch_execz .LBB79_71
.LBB79_104:
	ds_read_b32 v14, v11 offset:128
	s_waitcnt lgkmcnt(0)
	v_add_f32_e32 v10, v10, v14
	s_or_b32 exec_lo, exec_lo, s0
	s_and_saveexec_b32 s0, vcc_lo
	s_cbranch_execz .LBB79_72
.LBB79_105:
	ds_read_b32 v14, v11 offset:192
	s_waitcnt lgkmcnt(0)
	v_add_f32_e32 v9, v9, v14
	s_or_b32 exec_lo, exec_lo, s0
	s_and_saveexec_b32 s0, vcc_lo
	s_cbranch_execz .LBB79_73
.LBB79_106:
	ds_read_b32 v14, v11 offset:256
	s_waitcnt lgkmcnt(0)
	v_add_f32_e32 v8, v8, v14
	s_or_b32 exec_lo, exec_lo, s0
	s_and_saveexec_b32 s0, vcc_lo
	s_cbranch_execz .LBB79_74
.LBB79_107:
	ds_read_b32 v14, v11 offset:320
	s_waitcnt lgkmcnt(0)
	v_add_f32_e32 v7, v7, v14
	s_or_b32 exec_lo, exec_lo, s0
	s_and_saveexec_b32 s0, vcc_lo
	s_cbranch_execz .LBB79_75
.LBB79_108:
	ds_read_b32 v14, v11 offset:384
	s_waitcnt lgkmcnt(0)
	v_add_f32_e32 v5, v5, v14
	s_or_b32 exec_lo, exec_lo, s0
	s_and_saveexec_b32 s0, vcc_lo
	s_cbranch_execz .LBB79_76
.LBB79_109:
	ds_read_b32 v14, v11 offset:448
	s_waitcnt lgkmcnt(0)
	v_add_f32_e32 v2, v2, v14
	s_or_b32 exec_lo, exec_lo, s0
	s_and_saveexec_b32 s0, vcc_lo
	s_cbranch_execz .LBB79_77
.LBB79_110:
	ds_read_b32 v14, v11 offset:512
	s_waitcnt lgkmcnt(0)
	v_add_f32_e32 v1, v1, v14
	s_or_b32 exec_lo, exec_lo, s0
	s_and_saveexec_b32 s0, vcc_lo
	s_cbranch_execz .LBB79_78
.LBB79_111:
	ds_read_b32 v14, v11 offset:576
	s_waitcnt lgkmcnt(0)
	v_add_f32_e32 v4, v4, v14
	s_or_b32 exec_lo, exec_lo, s0
	s_and_saveexec_b32 s0, vcc_lo
	s_cbranch_execz .LBB79_79
.LBB79_112:
	ds_read_b32 v14, v11 offset:640
	s_waitcnt lgkmcnt(0)
	v_add_f32_e32 v6, v6, v14
	s_or_b32 exec_lo, exec_lo, s0
	s_and_saveexec_b32 s0, vcc_lo
	s_cbranch_execnz .LBB79_80
	s_branch .LBB79_81
.LBB79_113:
	ds_read_b32 v0, v11
	s_waitcnt lgkmcnt(0)
	v_add_f32_e32 v24, v24, v0
	s_or_b32 exec_lo, exec_lo, s0
	s_and_saveexec_b32 s0, vcc_lo
	s_cbranch_execz .LBB79_87
.LBB79_114:
	ds_read_b32 v0, v11 offset:64
	s_waitcnt lgkmcnt(0)
	v_add_f32_e32 v12, v12, v0
	s_or_b32 exec_lo, exec_lo, s0
	s_and_saveexec_b32 s0, vcc_lo
	s_cbranch_execz .LBB79_88
.LBB79_115:
	ds_read_b32 v0, v11 offset:128
	s_waitcnt lgkmcnt(0)
	v_add_f32_e32 v10, v10, v0
	s_or_b32 exec_lo, exec_lo, s0
	s_and_saveexec_b32 s0, vcc_lo
	s_cbranch_execz .LBB79_89
.LBB79_116:
	ds_read_b32 v0, v11 offset:192
	s_waitcnt lgkmcnt(0)
	v_add_f32_e32 v9, v9, v0
	s_or_b32 exec_lo, exec_lo, s0
	s_and_saveexec_b32 s0, vcc_lo
	s_cbranch_execz .LBB79_90
.LBB79_117:
	ds_read_b32 v0, v11 offset:256
	s_waitcnt lgkmcnt(0)
	v_add_f32_e32 v8, v8, v0
	s_or_b32 exec_lo, exec_lo, s0
	s_and_saveexec_b32 s0, vcc_lo
	s_cbranch_execz .LBB79_91
.LBB79_118:
	ds_read_b32 v0, v11 offset:320
	s_waitcnt lgkmcnt(0)
	v_add_f32_e32 v7, v7, v0
	s_or_b32 exec_lo, exec_lo, s0
	s_and_saveexec_b32 s0, vcc_lo
	s_cbranch_execz .LBB79_92
.LBB79_119:
	ds_read_b32 v0, v11 offset:384
	s_waitcnt lgkmcnt(0)
	v_add_f32_e32 v5, v5, v0
	s_or_b32 exec_lo, exec_lo, s0
	s_and_saveexec_b32 s0, vcc_lo
	s_cbranch_execz .LBB79_93
.LBB79_120:
	ds_read_b32 v0, v11 offset:448
	s_waitcnt lgkmcnt(0)
	v_add_f32_e32 v2, v2, v0
	s_or_b32 exec_lo, exec_lo, s0
	s_and_saveexec_b32 s0, vcc_lo
	s_cbranch_execz .LBB79_94
.LBB79_121:
	ds_read_b32 v0, v11 offset:512
	s_waitcnt lgkmcnt(0)
	v_add_f32_e32 v1, v1, v0
	s_or_b32 exec_lo, exec_lo, s0
	s_and_saveexec_b32 s0, vcc_lo
	s_cbranch_execz .LBB79_95
.LBB79_122:
	ds_read_b32 v0, v11 offset:576
	s_waitcnt lgkmcnt(0)
	v_add_f32_e32 v4, v4, v0
	s_or_b32 exec_lo, exec_lo, s0
	s_and_saveexec_b32 s0, vcc_lo
	s_cbranch_execz .LBB79_96
.LBB79_123:
	ds_read_b32 v0, v11 offset:640
	s_waitcnt lgkmcnt(0)
	v_add_f32_e32 v6, v6, v0
	s_or_b32 exec_lo, exec_lo, s0
	s_and_saveexec_b32 s0, vcc_lo
	s_cbranch_execnz .LBB79_97
	s_branch .LBB79_98
	.section	.rodata,"a",@progbits
	.p2align	6, 0x0
	.amdhsa_kernel _ZN4vllm25paged_attention_v1_kernelIttLi192ELi16ELi128ELNS_18Fp8KVCacheDataTypeE0ELb1EEEvPT_PKS2_PKT0_S8_ifPKiSA_iPKfiiiSC_SC_iiiii
		.amdhsa_group_segment_fixed_size 416
		.amdhsa_private_segment_fixed_size 0
		.amdhsa_kernarg_size 384
		.amdhsa_user_sgpr_count 6
		.amdhsa_user_sgpr_private_segment_buffer 1
		.amdhsa_user_sgpr_dispatch_ptr 0
		.amdhsa_user_sgpr_queue_ptr 0
		.amdhsa_user_sgpr_kernarg_segment_ptr 1
		.amdhsa_user_sgpr_dispatch_id 0
		.amdhsa_user_sgpr_flat_scratch_init 0
		.amdhsa_user_sgpr_private_segment_size 0
		.amdhsa_wavefront_size32 1
		.amdhsa_uses_dynamic_stack 0
		.amdhsa_system_sgpr_private_segment_wavefront_offset 0
		.amdhsa_system_sgpr_workgroup_id_x 1
		.amdhsa_system_sgpr_workgroup_id_y 1
		.amdhsa_system_sgpr_workgroup_id_z 1
		.amdhsa_system_sgpr_workgroup_info 0
		.amdhsa_system_vgpr_workitem_id 0
		.amdhsa_next_free_vgpr 109
		.amdhsa_next_free_sgpr 38
		.amdhsa_reserve_vcc 1
		.amdhsa_reserve_flat_scratch 0
		.amdhsa_float_round_mode_32 0
		.amdhsa_float_round_mode_16_64 0
		.amdhsa_float_denorm_mode_32 3
		.amdhsa_float_denorm_mode_16_64 3
		.amdhsa_dx10_clamp 1
		.amdhsa_ieee_mode 1
		.amdhsa_fp16_overflow 0
		.amdhsa_workgroup_processor_mode 1
		.amdhsa_memory_ordered 1
		.amdhsa_forward_progress 1
		.amdhsa_shared_vgpr_count 0
		.amdhsa_exception_fp_ieee_invalid_op 0
		.amdhsa_exception_fp_denorm_src 0
		.amdhsa_exception_fp_ieee_div_zero 0
		.amdhsa_exception_fp_ieee_overflow 0
		.amdhsa_exception_fp_ieee_underflow 0
		.amdhsa_exception_fp_ieee_inexact 0
		.amdhsa_exception_int_div_zero 0
	.end_amdhsa_kernel
	.section	.text._ZN4vllm25paged_attention_v1_kernelIttLi192ELi16ELi128ELNS_18Fp8KVCacheDataTypeE0ELb1EEEvPT_PKS2_PKT0_S8_ifPKiSA_iPKfiiiSC_SC_iiiii,"axG",@progbits,_ZN4vllm25paged_attention_v1_kernelIttLi192ELi16ELi128ELNS_18Fp8KVCacheDataTypeE0ELb1EEEvPT_PKS2_PKT0_S8_ifPKiSA_iPKfiiiSC_SC_iiiii,comdat
.Lfunc_end79:
	.size	_ZN4vllm25paged_attention_v1_kernelIttLi192ELi16ELi128ELNS_18Fp8KVCacheDataTypeE0ELb1EEEvPT_PKS2_PKT0_S8_ifPKiSA_iPKfiiiSC_SC_iiiii, .Lfunc_end79-_ZN4vllm25paged_attention_v1_kernelIttLi192ELi16ELi128ELNS_18Fp8KVCacheDataTypeE0ELb1EEEvPT_PKS2_PKT0_S8_ifPKiSA_iPKfiiiSC_SC_iiiii
                                        ; -- End function
	.set _ZN4vllm25paged_attention_v1_kernelIttLi192ELi16ELi128ELNS_18Fp8KVCacheDataTypeE0ELb1EEEvPT_PKS2_PKT0_S8_ifPKiSA_iPKfiiiSC_SC_iiiii.num_vgpr, 109
	.set _ZN4vllm25paged_attention_v1_kernelIttLi192ELi16ELi128ELNS_18Fp8KVCacheDataTypeE0ELb1EEEvPT_PKS2_PKT0_S8_ifPKiSA_iPKfiiiSC_SC_iiiii.num_agpr, 0
	.set _ZN4vllm25paged_attention_v1_kernelIttLi192ELi16ELi128ELNS_18Fp8KVCacheDataTypeE0ELb1EEEvPT_PKS2_PKT0_S8_ifPKiSA_iPKfiiiSC_SC_iiiii.numbered_sgpr, 38
	.set _ZN4vllm25paged_attention_v1_kernelIttLi192ELi16ELi128ELNS_18Fp8KVCacheDataTypeE0ELb1EEEvPT_PKS2_PKT0_S8_ifPKiSA_iPKfiiiSC_SC_iiiii.num_named_barrier, 0
	.set _ZN4vllm25paged_attention_v1_kernelIttLi192ELi16ELi128ELNS_18Fp8KVCacheDataTypeE0ELb1EEEvPT_PKS2_PKT0_S8_ifPKiSA_iPKfiiiSC_SC_iiiii.private_seg_size, 0
	.set _ZN4vllm25paged_attention_v1_kernelIttLi192ELi16ELi128ELNS_18Fp8KVCacheDataTypeE0ELb1EEEvPT_PKS2_PKT0_S8_ifPKiSA_iPKfiiiSC_SC_iiiii.uses_vcc, 1
	.set _ZN4vllm25paged_attention_v1_kernelIttLi192ELi16ELi128ELNS_18Fp8KVCacheDataTypeE0ELb1EEEvPT_PKS2_PKT0_S8_ifPKiSA_iPKfiiiSC_SC_iiiii.uses_flat_scratch, 0
	.set _ZN4vllm25paged_attention_v1_kernelIttLi192ELi16ELi128ELNS_18Fp8KVCacheDataTypeE0ELb1EEEvPT_PKS2_PKT0_S8_ifPKiSA_iPKfiiiSC_SC_iiiii.has_dyn_sized_stack, 0
	.set _ZN4vllm25paged_attention_v1_kernelIttLi192ELi16ELi128ELNS_18Fp8KVCacheDataTypeE0ELb1EEEvPT_PKS2_PKT0_S8_ifPKiSA_iPKfiiiSC_SC_iiiii.has_recursion, 0
	.set _ZN4vllm25paged_attention_v1_kernelIttLi192ELi16ELi128ELNS_18Fp8KVCacheDataTypeE0ELb1EEEvPT_PKS2_PKT0_S8_ifPKiSA_iPKfiiiSC_SC_iiiii.has_indirect_call, 0
	.section	.AMDGPU.csdata,"",@progbits
; Kernel info:
; codeLenInByte = 15696
; TotalNumSgprs: 40
; NumVgprs: 109
; ScratchSize: 0
; MemoryBound: 0
; FloatMode: 240
; IeeeMode: 1
; LDSByteSize: 416 bytes/workgroup (compile time only)
; SGPRBlocks: 0
; VGPRBlocks: 13
; NumSGPRsForWavesPerEU: 40
; NumVGPRsForWavesPerEU: 109
; Occupancy: 9
; WaveLimiterHint : 1
; COMPUTE_PGM_RSRC2:SCRATCH_EN: 0
; COMPUTE_PGM_RSRC2:USER_SGPR: 6
; COMPUTE_PGM_RSRC2:TRAP_HANDLER: 0
; COMPUTE_PGM_RSRC2:TGID_X_EN: 1
; COMPUTE_PGM_RSRC2:TGID_Y_EN: 1
; COMPUTE_PGM_RSRC2:TGID_Z_EN: 1
; COMPUTE_PGM_RSRC2:TIDIG_COMP_CNT: 0
	.section	.text._ZN4vllm25paged_attention_v1_kernelIttLi256ELi16ELi128ELNS_18Fp8KVCacheDataTypeE0ELb1EEEvPT_PKS2_PKT0_S8_ifPKiSA_iPKfiiiSC_SC_iiiii,"axG",@progbits,_ZN4vllm25paged_attention_v1_kernelIttLi256ELi16ELi128ELNS_18Fp8KVCacheDataTypeE0ELb1EEEvPT_PKS2_PKT0_S8_ifPKiSA_iPKfiiiSC_SC_iiiii,comdat
	.protected	_ZN4vllm25paged_attention_v1_kernelIttLi256ELi16ELi128ELNS_18Fp8KVCacheDataTypeE0ELb1EEEvPT_PKS2_PKT0_S8_ifPKiSA_iPKfiiiSC_SC_iiiii ; -- Begin function _ZN4vllm25paged_attention_v1_kernelIttLi256ELi16ELi128ELNS_18Fp8KVCacheDataTypeE0ELb1EEEvPT_PKS2_PKT0_S8_ifPKiSA_iPKfiiiSC_SC_iiiii
	.globl	_ZN4vllm25paged_attention_v1_kernelIttLi256ELi16ELi128ELNS_18Fp8KVCacheDataTypeE0ELb1EEEvPT_PKS2_PKT0_S8_ifPKiSA_iPKfiiiSC_SC_iiiii
	.p2align	8
	.type	_ZN4vllm25paged_attention_v1_kernelIttLi256ELi16ELi128ELNS_18Fp8KVCacheDataTypeE0ELb1EEEvPT_PKS2_PKT0_S8_ifPKiSA_iPKfiiiSC_SC_iiiii,@function
_ZN4vllm25paged_attention_v1_kernelIttLi256ELi16ELi128ELNS_18Fp8KVCacheDataTypeE0ELb1EEEvPT_PKS2_PKT0_S8_ifPKiSA_iPKfiiiSC_SC_iiiii: ; @_ZN4vllm25paged_attention_v1_kernelIttLi256ELi16ELi128ELNS_18Fp8KVCacheDataTypeE0ELb1EEEvPT_PKS2_PKT0_S8_ifPKiSA_iPKfiiiSC_SC_iiiii
; %bb.0:
	s_clause 0x2
	s_load_dword s9, s[4:5], 0x80
	s_load_dwordx2 s[0:1], s[4:5], 0x30
	s_load_dwordx2 s[28:29], s[4:5], 0x20
	s_mov_b32 s10, s7
	s_ashr_i32 s11, s7, 31
	s_mov_b32 s33, 0
	s_lshl_b64 s[2:3], s[10:11], 2
	s_waitcnt lgkmcnt(0)
	s_add_u32 s0, s0, s2
	s_addc_u32 s1, s1, s3
	s_abs_i32 s2, s28
	s_abs_i32 s11, s9
	v_cvt_f32_u32_e32 v1, s2
	s_sub_i32 s7, 0, s2
	v_rcp_iflag_f32_e32 v1, v1
	v_mul_f32_e32 v1, 0x4f7ffffe, v1
	v_cvt_u32_f32_e32 v1, v1
	v_readfirstlane_b32 s3, v1
	s_mul_i32 s7, s7, s3
	s_mul_hi_u32 s7, s3, s7
	s_add_i32 s3, s3, s7
	s_xor_b32 s7, s9, s28
	s_mul_hi_u32 s3, s11, s3
	s_ashr_i32 s7, s7, 31
	s_mul_i32 s12, s3, s2
	s_sub_i32 s11, s11, s12
	s_add_i32 s12, s3, 1
	s_sub_i32 s13, s11, s2
	s_cmp_ge_u32 s11, s2
	s_cselect_b32 s3, s12, s3
	s_cselect_b32 s11, s13, s11
	s_add_i32 s12, s3, 1
	s_cmp_ge_u32 s11, s2
	s_cselect_b32 s2, s12, s3
	s_abs_i32 s22, s6
	s_xor_b32 s2, s2, s7
	s_sub_i32 s16, s2, s7
	s_load_dwordx2 s[2:3], s[4:5], 0x40
	s_abs_i32 s11, s16
	v_cvt_f32_u32_e32 v1, s11
	s_sub_i32 s12, 0, s11
	v_rcp_iflag_f32_e32 v1, v1
	v_mul_f32_e32 v1, 0x4f7ffffe, v1
	v_cvt_u32_f32_e32 v1, v1
	v_readfirstlane_b32 s7, v1
	s_mul_i32 s12, s12, s7
	s_mul_hi_u32 s12, s7, s12
	s_add_i32 s7, s7, s12
	s_waitcnt lgkmcnt(0)
	s_cmp_eq_u64 s[2:3], 0
	s_mul_hi_u32 s23, s22, s7
	s_cbranch_scc1 .LBB80_2
; %bb.1:
	s_ashr_i32 s7, s6, 31
	s_lshl_b64 s[12:13], s[6:7], 2
	s_add_u32 s2, s2, s12
	s_addc_u32 s3, s3, s13
	s_load_dword s33, s[2:3], 0x0
.LBB80_2:
	s_load_dword s30, s[0:1], 0x0
	s_load_dwordx4 s[12:15], s[4:5], 0x48
	v_lshrrev_b32_e32 v63, 1, v0
	v_and_b32_e32 v64, 1, v0
	v_cmp_gt_u32_e64 s0, 64, v0
	v_lshlrev_b32_e32 v67, 3, v0
	s_ashr_i32 s1, s6, 31
	s_ashr_i32 s2, s16, 31
	s_lshl_b32 s20, s6, 8
	s_and_saveexec_b32 s3, s0
	s_cbranch_execz .LBB80_4
; %bb.3:
	s_load_dwordx2 s[16:17], s[4:5], 0x8
	s_waitcnt lgkmcnt(0)
	s_mul_i32 s18, s12, s10
	v_lshlrev_b32_e32 v3, 3, v63
	s_ashr_i32 s19, s18, 31
	s_lshl_b64 s[18:19], s[18:19], 1
	v_lshl_add_u32 v3, v64, 8, v3
	s_add_u32 s7, s16, s18
	s_addc_u32 s12, s17, s19
	s_ashr_i32 s21, s20, 31
	s_lshl_b64 s[16:17], s[20:21], 1
	s_add_u32 s16, s7, s16
	s_addc_u32 s17, s12, s17
	global_load_dwordx2 v[1:2], v67, s[16:17]
	s_waitcnt vmcnt(0)
	ds_write_b64 v3, v[1:2]
.LBB80_4:
	s_or_b32 exec_lo, exec_lo, s3
	s_load_dwordx4 s[16:19], s[4:5], 0x68
	s_mul_i32 s3, s23, s11
	s_xor_b32 s2, s1, s2
	s_sub_i32 s1, s22, s3
	s_add_i32 s3, s23, 1
	s_sub_i32 s7, s1, s11
	s_cmp_ge_u32 s1, s11
	s_waitcnt lgkmcnt(0)
	s_mov_b32 s15, -1
	s_cselect_b32 s3, s3, s23
	s_cselect_b32 s1, s7, s1
	s_add_i32 s7, s3, 1
	s_cmp_ge_u32 s1, s11
	s_load_dword s1, s[4:5], 0x78
	s_cselect_b32 s3, s7, s3
	s_add_i32 s11, s30, -1
	s_xor_b32 s3, s3, s2
	s_abs_i32 s7, s11
	s_sub_i32 s2, s3, s2
	s_waitcnt lgkmcnt(0)
	s_barrier
	s_abs_i32 s12, s19
	buffer_gl0_inv
	v_cvt_f32_u32_e32 v1, s12
	s_sub_i32 s3, 0, s12
                                        ; implicit-def: $sgpr31
	v_rcp_iflag_f32_e32 v1, v1
	v_mul_f32_e32 v1, 0x4f7ffffe, v1
	v_cvt_u32_f32_e32 v1, v1
	v_readfirstlane_b32 s21, v1
	s_mul_i32 s3, s3, s21
	s_mul_hi_u32 s3, s21, s3
	s_add_i32 s21, s21, s3
	s_cmp_lt_i32 s1, 0
	s_mul_hi_u32 s3, s7, s21
	s_cbranch_scc0 .LBB80_6
; %bb.5:
	s_mul_i32 s15, s16, s28
	s_add_i32 s15, s2, s15
	s_mul_i32 s15, s15, s1
	s_sub_i32 s31, 1, s15
	s_mov_b32 s15, 0
.LBB80_6:
	s_load_dwordx2 s[22:23], s[4:5], 0x28
	s_ashr_i32 s11, s11, 31
	s_andn2_b32 vcc_lo, exec_lo, s15
	s_ashr_i32 s19, s19, 31
	s_cbranch_vccnz .LBB80_8
; %bb.7:
	s_mul_i32 s15, s9, s16
	s_add_i32 s6, s15, s6
	s_mul_i32 s1, s6, s1
	s_add_i32 s31, s1, 1
.LBB80_8:
	s_load_dword s1, s[4:5], 0x38
	s_mul_i32 s6, s3, s12
	s_xor_b32 s15, s11, s19
	s_sub_i32 s28, s7, s6
	s_add_i32 s16, s3, 1
	s_clause 0x2
	s_load_dwordx2 s[6:7], s[4:5], 0x0
	s_load_dwordx2 s[26:27], s[4:5], 0x18
	s_load_dword s11, s[4:5], 0x88
	v_lshrrev_b32_e32 v65, 5, v0
	v_mov_b32_e32 v70, 0xff7fffff
	v_lshrrev_b32_e32 v68, 3, v0
	v_mbcnt_lo_u32_b32 v69, -1, 0
	s_mul_i32 s14, s2, s14
	v_lshlrev_b32_e32 v66, 4, v65
	s_waitcnt lgkmcnt(0)
	s_mul_i32 s24, s1, s10
	s_sub_i32 s1, s28, s12
	s_ashr_i32 s25, s24, 31
	s_cmp_ge_u32 s28, s12
	s_cselect_b32 s3, s16, s3
	s_cselect_b32 s1, s1, s28
	s_add_i32 s16, s3, 1
	s_cmp_ge_u32 s1, s12
	s_cselect_b32 s1, s16, s3
	s_add_i32 s3, s30, 15
	s_ashr_i32 s16, s3, 31
	s_lshr_b32 s16, s16, 28
	s_add_i32 s3, s3, s16
	s_ashr_i32 s16, s3, 4
	s_xor_b32 s3, s1, s15
	v_cmp_gt_i32_e64 s1, s16, v65
	s_sub_i32 s28, s3, s15
	s_and_saveexec_b32 s34, s1
	s_cbranch_execz .LBB80_20
; %bb.9:
	s_load_dwordx2 s[2:3], s[4:5], 0x10
	s_ashr_i32 s15, s14, 31
	s_sub_i32 s5, s28, s17
	s_lshl_b64 s[36:37], s[14:15], 1
	v_bfe_u32 v71, v0, 1, 4
	v_and_b32_e32 v2, 0x7c, v68
	v_and_b32_e32 v3, 8, v67
	v_lshlrev_b32_e32 v72, 8, v64
	v_lshlrev_b32_e32 v73, 4, v65
	;; [unrolled: 1-line block ×3, first 2 shown]
	v_subrev_nc_u32_e32 v5, s30, v71
	v_mov_b32_e32 v74, 0xff7fffff
	v_xor_b32_e32 v75, 1, v69
	v_mov_b32_e32 v70, 0xff7fffff
	v_lshl_or_b32 v4, v65, 6, v4
	v_add_nc_u32_e32 v76, 1, v5
	v_mov_b32_e32 v81, v65
	v_cmp_eq_u32_e32 vcc_lo, 0, v64
	v_add_nc_u32_e32 v77, 0x220, v4
	s_waitcnt lgkmcnt(0)
	s_add_u32 s4, s2, s36
	s_addc_u32 s3, s3, s37
	s_abs_i32 s15, s18
	s_lshl_b64 s[36:37], s[24:25], 2
	v_cvt_f32_u32_e32 v1, s15
	s_sub_i32 s35, 0, s15
	v_cmp_neq_f32_e64 s2, s33, 0
	v_rcp_iflag_f32_e32 v1, v1
	v_mul_f32_e32 v1, 0x4f7ffffe, v1
	v_cvt_u32_f32_e32 v6, v1
	v_lshlrev_b32_e32 v1, 4, v71
	v_mul_lo_u32 v4, s35, v6
	v_add_co_u32 v5, s4, s4, v1
	v_add_co_ci_u32_e64 v7, null, s3, 0, s4
	s_add_u32 s3, s22, s36
	s_addc_u32 s4, s23, s37
	v_add_co_u32 v1, s3, s3, v2
	v_mul_hi_u32 v4, v6, v4
	v_add_co_ci_u32_e64 v2, null, s4, 0, s3
	v_add_co_u32 v78, s3, v5, v3
	v_add_co_ci_u32_e64 v79, null, 0, v7, s3
	s_mov_b32 s35, 0
	v_add_nc_u32_e32 v80, v6, v4
	s_mov_b32 s36, s13
	s_branch .LBB80_12
.LBB80_10:                              ;   in Loop: Header=BB80_12 Depth=1
	s_or_b32 exec_lo, exec_lo, s37
.LBB80_11:                              ;   in Loop: Header=BB80_12 Depth=1
	s_or_b32 exec_lo, exec_lo, s4
	v_add_nc_u32_e32 v81, 4, v81
	v_add_co_u32 v1, s4, v1, 16
	v_add_co_ci_u32_e64 v2, null, 0, v2, s4
	v_cmp_le_i32_e64 s3, s16, v81
	v_add_nc_u32_e32 v73, 64, v73
	v_add_nc_u32_e32 v77, 0x100, v77
	s_or_b32 s35, s3, s35
	s_andn2_b32 exec_lo, exec_lo, s35
	s_cbranch_execz .LBB80_19
.LBB80_12:                              ; =>This Inner Loop Header: Depth=1
	v_mul_hi_u32 v3, v73, s21
	s_waitcnt lgkmcnt(0)
	v_mul_lo_u32 v4, v3, s12
	v_add_nc_u32_e32 v5, 1, v3
	v_sub_nc_u32_e32 v4, v73, v4
	v_subrev_nc_u32_e32 v6, s12, v4
	v_cmp_le_u32_e64 s3, s12, v4
	v_cndmask_b32_e64 v3, v3, v5, s3
	v_cndmask_b32_e64 v4, v4, v6, s3
	v_add_nc_u32_e32 v5, 1, v3
	v_cmp_le_u32_e64 s3, s12, v4
	v_cndmask_b32_e64 v3, v3, v5, s3
	v_xor_b32_e32 v3, s19, v3
	v_subrev_nc_u32_e32 v3, s19, v3
	v_add_nc_u32_e32 v4, s31, v3
	v_cmp_ge_i32_e64 s4, s5, v3
	v_sub_nc_u32_e32 v5, 0, v4
	v_max_i32_e32 v5, v4, v5
	v_ashrrev_i32_e32 v4, 31, v4
	v_mul_hi_u32 v6, v5, v80
	v_mul_lo_u32 v6, v6, s15
	v_sub_nc_u32_e32 v5, v5, v6
	v_subrev_nc_u32_e32 v6, s15, v5
	v_cmp_le_u32_e64 s3, s15, v5
	v_cndmask_b32_e64 v5, v5, v6, s3
	v_subrev_nc_u32_e32 v6, s15, v5
	v_cmp_le_u32_e64 s3, s15, v5
	v_cndmask_b32_e64 v5, v5, v6, s3
	v_xor_b32_e32 v5, v5, v4
	v_sub_nc_u32_e32 v4, v5, v4
	v_cmp_ne_u32_e64 s3, 0, v4
	s_and_b32 s3, s3, s4
	s_and_saveexec_b32 s4, s3
	s_xor_b32 s3, exec_lo, s4
	s_cbranch_execz .LBB80_16
; %bb.13:                               ;   in Loop: Header=BB80_12 Depth=1
	s_and_saveexec_b32 s4, vcc_lo
; %bb.14:                               ;   in Loop: Header=BB80_12 Depth=1
	ds_write_b32 v77, v74
; %bb.15:                               ;   in Loop: Header=BB80_12 Depth=1
	s_or_b32 exec_lo, exec_lo, s4
.LBB80_16:                              ;   in Loop: Header=BB80_12 Depth=1
	s_andn2_saveexec_b32 s4, s3
	s_cbranch_execz .LBB80_11
; %bb.17:                               ;   in Loop: Header=BB80_12 Depth=1
	global_load_dword v3, v[1:2], off
	s_waitcnt vmcnt(0)
	v_mad_i64_i32 v[3:4], null, v3, s36, 0
	v_lshlrev_b64 v[3:4], 1, v[3:4]
	v_add_co_u32 v3, s3, v78, v3
	v_add_co_ci_u32_e64 v4, null, v79, v4, s3
	s_clause 0x7
	global_load_dwordx2 v[82:83], v[3:4], off
	global_load_dwordx2 v[86:87], v[3:4], off offset:256
	global_load_dwordx2 v[61:62], v[3:4], off offset:512
	;; [unrolled: 1-line block ×7, first 2 shown]
	v_add_co_u32 v5, s3, v3, 0x1000
	v_add_co_ci_u32_e64 v6, null, 0, v4, s3
	v_add_co_u32 v9, s3, 0x800, v3
	v_add_co_ci_u32_e64 v10, null, 0, v4, s3
	global_load_dwordx2 v[49:50], v[5:6], off offset:-2048
	ds_read_b64 v[7:8], v72
	global_load_dwordx2 v[47:48], v[9:10], off offset:256
	s_waitcnt lgkmcnt(0)
	v_lshrrev_b32_e32 v84, 16, v7
	v_and_b32_e32 v85, 0xffff, v7
	v_add_co_u32 v7, s3, 0x1000, v3
	v_lshrrev_b32_e32 v90, 16, v8
	v_and_b32_e32 v91, 0xffff, v8
	v_add_co_ci_u32_e64 v8, null, 0, v4, s3
	v_add_co_u32 v3, s3, 0x1800, v3
	v_add_co_ci_u32_e64 v4, null, 0, v4, s3
	s_clause 0x15
	global_load_dwordx2 v[45:46], v[9:10], off offset:512
	global_load_dwordx2 v[43:44], v[9:10], off offset:768
	;; [unrolled: 1-line block ×13, first 2 shown]
	global_load_dwordx2 v[17:18], v[3:4], off
	global_load_dwordx2 v[15:16], v[3:4], off offset:256
	global_load_dwordx2 v[13:14], v[3:4], off offset:512
	;; [unrolled: 1-line block ×5, first 2 shown]
	global_load_dwordx2 v[35:36], v[5:6], off
	global_load_dwordx2 v[5:6], v[3:4], off offset:1536
	global_load_dwordx2 v[3:4], v[3:4], off offset:1792
	;;#ASMSTART
	v_cvt_f32_f16 v89, v85;
	;;#ASMEND
	;;#ASMSTART
	v_cvt_f32_f16 v88, v84;
	;;#ASMEND
	v_cmp_gt_i32_e64 s3, 32, v75
	s_waitcnt vmcnt(31)
	v_and_b32_e32 v85, 0xffff, v82
	v_lshrrev_b32_e32 v82, 16, v82
	v_lshrrev_b32_e32 v84, 16, v83
	v_and_b32_e32 v92, 0xffff, v83
	;;#ASMSTART
	v_cvt_f32_f16 v101, v85;
	;;#ASMEND
	;;#ASMSTART
	v_cvt_f32_f16 v100, v82;
	;;#ASMEND
	;; [unrolled: 3-line block ×6, first 2 shown]
	ds_read_b64 v[90:91], v72 offset:8
	s_waitcnt vmcnt(30)
	v_and_b32_e32 v92, 0xffff, v86
	v_lshrrev_b32_e32 v93, 16, v86
	v_and_b32_e32 v94, 0xffff, v87
	v_lshrrev_b32_e32 v96, 16, v87
	s_waitcnt vmcnt(25)
	v_and_b32_e32 v125, 0xffff, v54
	v_lshrrev_b32_e32 v126, 16, v54
	v_lshrrev_b32_e32 v124, 16, v53
	s_waitcnt lgkmcnt(0)
	v_and_b32_e32 v86, 0xffff, v90
	v_and_b32_e32 v95, 0xffff, v91
	v_lshrrev_b32_e32 v97, 16, v91
	v_lshrrev_b32_e32 v90, 16, v90
	;;#ASMSTART
	v_cvt_f32_f16 v86, v86;
	;;#ASMEND
	;;#ASMSTART
	v_cvt_f32_f16 v87, v90;
	;;#ASMEND
	;; [unrolled: 3-line block ×8, first 2 shown]
	ds_read_b64 v[98:99], v72 offset:16
	v_and_b32_e32 v90, 0xffff, v61
	v_lshrrev_b32_e32 v61, 16, v61
	v_and_b32_e32 v92, 0xffff, v62
	v_lshrrev_b32_e32 v62, 16, v62
	v_mul_f32_e32 v54, v86, v91
	v_fmac_f32_e32 v54, v89, v101
	s_waitcnt lgkmcnt(0)
	v_and_b32_e32 v94, 0xffff, v98
	v_lshrrev_b32_e32 v96, 16, v98
	v_and_b32_e32 v98, 0xffff, v99
	v_lshrrev_b32_e32 v99, 16, v99
	;;#ASMSTART
	v_cvt_f32_f16 v122, v94;
	;;#ASMEND
	;;#ASMSTART
	v_cvt_f32_f16 v112, v96;
	;;#ASMEND
	;; [unrolled: 3-line block ×8, first 2 shown]
	ds_read_b64 v[61:62], v72 offset:24
	v_and_b32_e32 v90, 0xffff, v59
	v_lshrrev_b32_e32 v59, 16, v59
	v_and_b32_e32 v92, 0xffff, v60
	v_lshrrev_b32_e32 v60, 16, v60
	v_fmac_f32_e32 v54, v122, v123
	s_waitcnt vmcnt(23)
	v_and_b32_e32 v123, 0xffff, v50
	s_waitcnt lgkmcnt(0)
	v_and_b32_e32 v94, 0xffff, v61
	v_lshrrev_b32_e32 v61, 16, v61
	v_and_b32_e32 v96, 0xffff, v62
	v_lshrrev_b32_e32 v62, 16, v62
	;;#ASMSTART
	v_cvt_f32_f16 v110, v94;
	;;#ASMEND
	;;#ASMSTART
	v_cvt_f32_f16 v108, v61;
	;;#ASMEND
	;; [unrolled: 3-line block ×8, first 2 shown]
	ds_read_b64 v[59:60], v72 offset:32
	v_and_b32_e32 v61, 0xffff, v57
	v_lshrrev_b32_e32 v57, 16, v57
	v_and_b32_e32 v62, 0xffff, v58
	v_lshrrev_b32_e32 v58, 16, v58
	v_fmac_f32_e32 v54, v110, v111
	s_waitcnt vmcnt(22)
	v_lshrrev_b32_e32 v111, 16, v47
	s_waitcnt lgkmcnt(0)
	v_and_b32_e32 v90, 0xffff, v59
	v_and_b32_e32 v92, 0xffff, v60
	v_lshrrev_b32_e32 v59, 16, v59
	v_lshrrev_b32_e32 v60, 16, v60
	;;#ASMSTART
	v_cvt_f32_f16 v104, v90;
	;;#ASMEND
	;;#ASMSTART
	v_cvt_f32_f16 v102, v59;
	;;#ASMEND
	;; [unrolled: 3-line block ×8, first 2 shown]
	ds_read_b64 v[57:58], v72 offset:40
	v_and_b32_e32 v61, 0xffff, v56
	v_lshrrev_b32_e32 v56, 16, v56
	v_and_b32_e32 v59, 0xffff, v55
	v_lshrrev_b32_e32 v60, 16, v55
	v_and_b32_e32 v62, 0xffff, v53
	v_mul_f32_e32 v55, v87, v93
	v_mul_f32_e32 v53, v95, v97
	v_fmac_f32_e32 v54, v104, v106
	v_fmac_f32_e32 v55, v88, v100
	v_fmac_f32_e32 v53, v83, v85
	v_lshrrev_b32_e32 v83, 16, v51
	v_and_b32_e32 v85, 0xffff, v52
	v_fmac_f32_e32 v55, v112, v113
	v_lshrrev_b32_e32 v113, 16, v49
	v_fmac_f32_e32 v53, v117, v120
	s_waitcnt lgkmcnt(0)
	v_and_b32_e32 v86, 0xffff, v57
	v_lshrrev_b32_e32 v57, 16, v57
	v_and_b32_e32 v91, 0xffff, v58
	v_lshrrev_b32_e32 v58, 16, v58
	;;#ASMSTART
	v_cvt_f32_f16 v105, v86;
	;;#ASMEND
	;;#ASMSTART
	v_cvt_f32_f16 v86, v57;
	;;#ASMEND
	;; [unrolled: 3-line block ×8, first 2 shown]
	ds_read_b64 v[56:57], v72 offset:48
	v_fmac_f32_e32 v55, v108, v109
	v_fmac_f32_e32 v53, v118, v119
	;; [unrolled: 1-line block ×5, first 2 shown]
	s_waitcnt vmcnt(20)
	v_and_b32_e32 v94, 0xffff, v43
	v_lshrrev_b32_e32 v96, 16, v44
	v_fmac_f32_e32 v55, v86, v87
	s_waitcnt vmcnt(19)
	v_and_b32_e32 v86, 0xffff, v41
	v_lshrrev_b32_e32 v87, 16, v42
	v_fmac_f32_e32 v53, v95, v97
	s_waitcnt lgkmcnt(0)
	v_and_b32_e32 v58, 0xffff, v56
	v_and_b32_e32 v88, 0xffff, v57
	v_lshrrev_b32_e32 v57, 16, v57
	v_lshrrev_b32_e32 v56, 16, v56
	;;#ASMSTART
	v_cvt_f32_f16 v61, v58;
	;;#ASMEND
	;;#ASMSTART
	v_cvt_f32_f16 v59, v56;
	;;#ASMEND
	;; [unrolled: 3-line block ×8, first 2 shown]
	ds_read_b64 v[100:101], v72 offset:56
	v_mul_f32_e32 v56, v114, v121
	v_and_b32_e32 v114, 0xffff, v51
	v_lshrrev_b32_e32 v121, 16, v52
	v_lshrrev_b32_e32 v124, 16, v50
	v_fmac_f32_e32 v55, v59, v60
	v_fmac_f32_e32 v56, v82, v84
	v_fmac_f32_e32 v53, v88, v89
	v_fmac_f32_e32 v54, v61, v62
	v_fmac_f32_e32 v56, v115, v116
	v_fmac_f32_e32 v56, v98, v99
	v_lshrrev_b32_e32 v99, 16, v45
	s_waitcnt lgkmcnt(0)
	v_and_b32_e32 v51, 0xffff, v100
	v_lshrrev_b32_e32 v52, 16, v100
	v_and_b32_e32 v100, 0xffff, v101
	v_lshrrev_b32_e32 v101, 16, v101
	;;#ASMSTART
	v_cvt_f32_f16 v82, v51;
	;;#ASMEND
	;;#ASMSTART
	v_cvt_f32_f16 v51, v52;
	;;#ASMEND
	;; [unrolled: 3-line block ×8, first 2 shown]
	ds_read_b64 v[121:122], v72 offset:64
	v_and_b32_e32 v114, 0xffff, v49
	v_fmac_f32_e32 v56, v90, v92
	v_fmac_f32_e32 v54, v82, v84
	;; [unrolled: 1-line block ×7, first 2 shown]
	s_waitcnt lgkmcnt(0)
	v_and_b32_e32 v49, 0xffff, v121
	v_lshrrev_b32_e32 v50, 16, v121
	v_and_b32_e32 v115, 0xffff, v122
	v_lshrrev_b32_e32 v117, 16, v122
	;;#ASMSTART
	v_cvt_f32_f16 v112, v49;
	;;#ASMEND
	;;#ASMSTART
	v_cvt_f32_f16 v49, v50;
	;;#ASMEND
	;; [unrolled: 3-line block ×8, first 2 shown]
	ds_read_b64 v[120:121], v72 offset:72
	v_and_b32_e32 v122, 0xffff, v47
	v_and_b32_e32 v123, 0xffff, v48
	v_lshrrev_b32_e32 v124, 16, v48
	v_fmac_f32_e32 v54, v112, v114
	v_fmac_f32_e32 v55, v49, v50
	s_waitcnt vmcnt(2)
	v_and_b32_e32 v49, 0xffff, v35
	v_fmac_f32_e32 v56, v113, v115
	v_fmac_f32_e32 v53, v116, v117
	s_waitcnt lgkmcnt(0)
	v_and_b32_e32 v47, 0xffff, v120
	v_lshrrev_b32_e32 v48, 16, v120
	v_and_b32_e32 v109, 0xffff, v121
	v_lshrrev_b32_e32 v119, 16, v121
	;;#ASMSTART
	v_cvt_f32_f16 v108, v47;
	;;#ASMEND
	;;#ASMSTART
	v_cvt_f32_f16 v47, v48;
	;;#ASMEND
	;; [unrolled: 3-line block ×8, first 2 shown]
	ds_read_b64 v[120:121], v72 offset:80
	v_and_b32_e32 v122, 0xffff, v45
	v_and_b32_e32 v123, 0xffff, v46
	v_lshrrev_b32_e32 v124, 16, v46
	v_fmac_f32_e32 v54, v108, v110
	v_fmac_f32_e32 v55, v47, v48
	;; [unrolled: 1-line block ×4, first 2 shown]
	v_lshrrev_b32_e32 v111, 16, v30
	v_and_b32_e32 v30, 0xffff, v30
	s_waitcnt lgkmcnt(0)
	v_and_b32_e32 v45, 0xffff, v120
	v_lshrrev_b32_e32 v46, 16, v120
	v_and_b32_e32 v103, 0xffff, v121
	v_lshrrev_b32_e32 v106, 16, v121
	;;#ASMSTART
	v_cvt_f32_f16 v98, v45;
	;;#ASMEND
	;;#ASMSTART
	v_cvt_f32_f16 v45, v46;
	;;#ASMEND
	;; [unrolled: 3-line block ×8, first 2 shown]
	ds_read_b64 v[120:121], v72 offset:88
	v_lshrrev_b32_e32 v122, 16, v43
	v_and_b32_e32 v123, 0xffff, v44
	v_and_b32_e32 v124, 0xffff, v36
	v_fmac_f32_e32 v54, v98, v102
	v_fmac_f32_e32 v55, v45, v46
	;; [unrolled: 1-line block ×3, first 2 shown]
	v_lshrrev_b32_e32 v106, 16, v28
	v_and_b32_e32 v28, 0xffff, v28
	v_fmac_f32_e32 v56, v99, v103
	s_waitcnt lgkmcnt(0)
	v_and_b32_e32 v43, 0xffff, v120
	v_lshrrev_b32_e32 v44, 16, v120
	v_and_b32_e32 v92, 0xffff, v121
	v_lshrrev_b32_e32 v107, 16, v121
	;;#ASMSTART
	v_cvt_f32_f16 v90, v43;
	;;#ASMEND
	;;#ASMSTART
	v_cvt_f32_f16 v43, v44;
	;;#ASMEND
	;; [unrolled: 3-line block ×8, first 2 shown]
	ds_read_b64 v[120:121], v72 offset:96
	v_lshrrev_b32_e32 v122, 16, v41
	v_and_b32_e32 v123, 0xffff, v42
	v_fmac_f32_e32 v54, v90, v94
	v_fmac_f32_e32 v55, v43, v44
	;; [unrolled: 1-line block ×4, first 2 shown]
	s_waitcnt lgkmcnt(0)
	v_and_b32_e32 v41, 0xffff, v120
	v_lshrrev_b32_e32 v95, 16, v120
	v_and_b32_e32 v97, 0xffff, v121
	v_lshrrev_b32_e32 v120, 16, v121
	;;#ASMSTART
	v_cvt_f32_f16 v42, v41;
	;;#ASMEND
	;;#ASMSTART
	v_cvt_f32_f16 v41, v95;
	;;#ASMEND
	;; [unrolled: 3-line block ×8, first 2 shown]
	ds_read_b64 v[86:87], v72 offset:104
	v_lshrrev_b32_e32 v122, 16, v39
	v_and_b32_e32 v39, 0xffff, v39
	v_lshrrev_b32_e32 v123, 16, v40
	v_and_b32_e32 v40, 0xffff, v40
	v_fmac_f32_e32 v54, v42, v91
	v_fmac_f32_e32 v55, v41, v93
	;; [unrolled: 1-line block ×4, first 2 shown]
	v_lshrrev_b32_e32 v121, 16, v22
	v_and_b32_e32 v22, 0xffff, v22
	s_waitcnt lgkmcnt(0)
	v_and_b32_e32 v59, 0xffff, v86
	v_lshrrev_b32_e32 v60, 16, v86
	v_lshrrev_b32_e32 v88, 16, v87
	v_and_b32_e32 v86, 0xffff, v87
	;;#ASMSTART
	v_cvt_f32_f16 v59, v59;
	;;#ASMEND
	;;#ASMSTART
	v_cvt_f32_f16 v60, v60;
	;;#ASMEND
	;; [unrolled: 3-line block ×8, first 2 shown]
	ds_read_b64 v[39:40], v72 offset:112
	v_lshrrev_b32_e32 v122, 16, v37
	v_and_b32_e32 v37, 0xffff, v37
	v_lshrrev_b32_e32 v123, 16, v38
	v_and_b32_e32 v38, 0xffff, v38
	v_fmac_f32_e32 v54, v59, v61
	v_fmac_f32_e32 v55, v60, v62
	;; [unrolled: 1-line block ×4, first 2 shown]
	s_waitcnt lgkmcnt(0)
	v_and_b32_e32 v57, 0xffff, v39
	v_lshrrev_b32_e32 v58, 16, v39
	v_lshrrev_b32_e32 v82, 16, v40
	v_and_b32_e32 v84, 0xffff, v40
	;;#ASMSTART
	v_cvt_f32_f16 v39, v57;
	;;#ASMEND
	;;#ASMSTART
	v_cvt_f32_f16 v40, v58;
	;;#ASMEND
	;; [unrolled: 3-line block ×8, first 2 shown]
	ds_read_b64 v[37:38], v72 offset:120
	v_lshrrev_b32_e32 v122, 16, v33
	v_and_b32_e32 v33, 0xffff, v33
	v_lshrrev_b32_e32 v123, 16, v34
	v_and_b32_e32 v34, 0xffff, v34
	v_fmac_f32_e32 v54, v39, v51
	v_fmac_f32_e32 v55, v40, v52
	;; [unrolled: 1-line block ×4, first 2 shown]
	s_waitcnt lgkmcnt(0)
	v_and_b32_e32 v83, 0xffff, v37
	v_lshrrev_b32_e32 v85, 16, v37
	v_lshrrev_b32_e32 v101, 16, v38
	v_and_b32_e32 v100, 0xffff, v38
	;;#ASMSTART
	v_cvt_f32_f16 v37, v83;
	;;#ASMEND
	;;#ASMSTART
	v_cvt_f32_f16 v38, v85;
	;;#ASMEND
	;; [unrolled: 3-line block ×8, first 2 shown]
	ds_read_b64 v[33:34], v72 offset:128
	v_lshrrev_b32_e32 v122, 16, v35
	v_lshrrev_b32_e32 v123, 16, v36
	v_fmac_f32_e32 v54, v37, v83
	v_fmac_f32_e32 v55, v38, v85
	;; [unrolled: 1-line block ×4, first 2 shown]
	v_lshrrev_b32_e32 v114, 16, v14
	v_and_b32_e32 v14, 0xffff, v14
	s_waitcnt lgkmcnt(0)
	v_and_b32_e32 v35, 0xffff, v33
	v_lshrrev_b32_e32 v33, 16, v33
	v_lshrrev_b32_e32 v115, 16, v34
	v_and_b32_e32 v34, 0xffff, v34
	;;#ASMSTART
	v_cvt_f32_f16 v35, v35;
	;;#ASMEND
	;;#ASMSTART
	v_cvt_f32_f16 v36, v33;
	;;#ASMEND
	;; [unrolled: 3-line block ×8, first 2 shown]
	ds_read_b64 v[33:34], v72 offset:136
	v_lshrrev_b32_e32 v122, 16, v31
	v_and_b32_e32 v31, 0xffff, v31
	v_lshrrev_b32_e32 v123, 16, v32
	v_and_b32_e32 v32, 0xffff, v32
	v_fmac_f32_e32 v54, v35, v49
	v_fmac_f32_e32 v55, v36, v50
	;; [unrolled: 1-line block ×4, first 2 shown]
	v_lshrrev_b32_e32 v124, 16, v7
	v_and_b32_e32 v7, 0xffff, v7
	s_waitcnt lgkmcnt(0)
	v_and_b32_e32 v47, 0xffff, v33
	v_lshrrev_b32_e32 v48, 16, v33
	v_lshrrev_b32_e32 v110, 16, v34
	v_and_b32_e32 v108, 0xffff, v34
	;;#ASMSTART
	v_cvt_f32_f16 v33, v47;
	;;#ASMEND
	;;#ASMSTART
	v_cvt_f32_f16 v34, v48;
	;;#ASMEND
	;; [unrolled: 3-line block ×8, first 2 shown]
	ds_read_b64 v[31:32], v72 offset:144
	v_lshrrev_b32_e32 v122, 16, v29
	v_and_b32_e32 v29, 0xffff, v29
	v_fmac_f32_e32 v54, v33, v47
	v_fmac_f32_e32 v55, v34, v48
	;; [unrolled: 1-line block ×4, first 2 shown]
	v_lshrrev_b32_e32 v118, 16, v8
	v_and_b32_e32 v8, 0xffff, v8
	s_waitcnt lgkmcnt(0)
	v_and_b32_e32 v98, 0xffff, v31
	v_lshrrev_b32_e32 v102, 16, v31
	v_lshrrev_b32_e32 v109, 16, v32
	v_and_b32_e32 v123, 0xffff, v32
	;;#ASMSTART
	v_cvt_f32_f16 v31, v98;
	;;#ASMEND
	;;#ASMSTART
	v_cvt_f32_f16 v32, v102;
	;;#ASMEND
	;; [unrolled: 3-line block ×8, first 2 shown]
	ds_read_b64 v[29:30], v72 offset:152
	v_lshrrev_b32_e32 v122, 16, v27
	v_and_b32_e32 v27, 0xffff, v27
	v_fmac_f32_e32 v54, v31, v45
	v_fmac_f32_e32 v55, v32, v46
	;; [unrolled: 1-line block ×4, first 2 shown]
	s_waitcnt lgkmcnt(0)
	v_and_b32_e32 v99, 0xffff, v29
	v_lshrrev_b32_e32 v103, 16, v29
	v_lshrrev_b32_e32 v104, 16, v30
	v_and_b32_e32 v123, 0xffff, v30
	;;#ASMSTART
	v_cvt_f32_f16 v29, v99;
	;;#ASMEND
	;;#ASMSTART
	v_cvt_f32_f16 v30, v103;
	;;#ASMEND
	;; [unrolled: 3-line block ×8, first 2 shown]
	ds_read_b64 v[27:28], v72 offset:160
	v_lshrrev_b32_e32 v122, 16, v25
	v_and_b32_e32 v25, 0xffff, v25
	v_lshrrev_b32_e32 v123, 16, v26
	v_and_b32_e32 v26, 0xffff, v26
	v_fmac_f32_e32 v54, v29, v90
	v_fmac_f32_e32 v55, v30, v94
	;; [unrolled: 1-line block ×4, first 2 shown]
	s_waitcnt vmcnt(1)
	v_lshrrev_b32_e32 v29, 16, v5
	v_and_b32_e32 v5, 0xffff, v5
	s_waitcnt lgkmcnt(0)
	v_and_b32_e32 v43, 0xffff, v27
	v_lshrrev_b32_e32 v44, 16, v27
	v_lshrrev_b32_e32 v96, 16, v28
	v_and_b32_e32 v92, 0xffff, v28
	;;#ASMSTART
	v_cvt_f32_f16 v27, v43;
	;;#ASMEND
	;;#ASMSTART
	v_cvt_f32_f16 v28, v44;
	;;#ASMEND
	;; [unrolled: 3-line block ×8, first 2 shown]
	ds_read_b64 v[25:26], v72 offset:168
	v_lshrrev_b32_e32 v122, 16, v23
	v_and_b32_e32 v23, 0xffff, v23
	v_lshrrev_b32_e32 v123, 16, v24
	v_and_b32_e32 v24, 0xffff, v24
	v_fmac_f32_e32 v54, v27, v43
	v_fmac_f32_e32 v55, v28, v44
	;; [unrolled: 1-line block ×4, first 2 shown]
	s_waitcnt lgkmcnt(0)
	v_and_b32_e32 v41, 0xffff, v25
	v_lshrrev_b32_e32 v42, 16, v25
	v_lshrrev_b32_e32 v93, 16, v26
	v_and_b32_e32 v91, 0xffff, v26
	;;#ASMSTART
	v_cvt_f32_f16 v25, v41;
	;;#ASMEND
	;;#ASMSTART
	v_cvt_f32_f16 v26, v42;
	;;#ASMEND
	;; [unrolled: 3-line block ×8, first 2 shown]
	ds_read_b64 v[23:24], v72 offset:176
	v_lshrrev_b32_e32 v122, 16, v21
	v_and_b32_e32 v21, 0xffff, v21
	v_lshrrev_b32_e32 v123, 16, v20
	v_and_b32_e32 v20, 0xffff, v20
	v_fmac_f32_e32 v54, v25, v41
	v_fmac_f32_e32 v55, v26, v42
	;; [unrolled: 1-line block ×4, first 2 shown]
	s_waitcnt lgkmcnt(0)
	v_and_b32_e32 v59, 0xffff, v23
	v_lshrrev_b32_e32 v61, 16, v23
	v_lshrrev_b32_e32 v62, 16, v24
	v_and_b32_e32 v97, 0xffff, v24
	;;#ASMSTART
	v_cvt_f32_f16 v23, v59;
	;;#ASMEND
	;;#ASMSTART
	v_cvt_f32_f16 v24, v61;
	;;#ASMEND
	;; [unrolled: 3-line block ×8, first 2 shown]
	ds_read_b64 v[21:22], v72 offset:184
	v_lshrrev_b32_e32 v122, 16, v19
	v_and_b32_e32 v19, 0xffff, v19
	v_fmac_f32_e32 v54, v23, v59
	v_fmac_f32_e32 v55, v24, v60
	;; [unrolled: 1-line block ×4, first 2 shown]
	s_waitcnt lgkmcnt(0)
	v_and_b32_e32 v86, 0xffff, v21
	v_lshrrev_b32_e32 v87, 16, v21
	v_lshrrev_b32_e32 v88, 16, v22
	v_and_b32_e32 v89, 0xffff, v22
	;;#ASMSTART
	v_cvt_f32_f16 v21, v86;
	;;#ASMEND
	;;#ASMSTART
	v_cvt_f32_f16 v22, v87;
	;;#ASMEND
	;; [unrolled: 3-line block ×8, first 2 shown]
	ds_read_b64 v[19:20], v72 offset:192
	v_lshrrev_b32_e32 v122, 16, v17
	v_and_b32_e32 v17, 0xffff, v17
	v_lshrrev_b32_e32 v123, 16, v18
	v_and_b32_e32 v18, 0xffff, v18
	v_fmac_f32_e32 v54, v21, v39
	v_fmac_f32_e32 v55, v22, v51
	;; [unrolled: 1-line block ×4, first 2 shown]
	v_lshrrev_b32_e32 v21, 16, v6
	v_and_b32_e32 v6, 0xffff, v6
	s_waitcnt vmcnt(0)
	v_lshrrev_b32_e32 v22, 16, v3
	s_waitcnt lgkmcnt(0)
	v_and_b32_e32 v40, 0xffff, v19
	v_lshrrev_b32_e32 v52, 16, v19
	v_lshrrev_b32_e32 v58, 16, v20
	v_and_b32_e32 v57, 0xffff, v20
	;;#ASMSTART
	v_cvt_f32_f16 v19, v40;
	;;#ASMEND
	;;#ASMSTART
	v_cvt_f32_f16 v20, v52;
	;;#ASMEND
	;; [unrolled: 3-line block ×8, first 2 shown]
	ds_read_b64 v[17:18], v72 offset:200
	v_lshrrev_b32_e32 v122, 16, v15
	v_and_b32_e32 v15, 0xffff, v15
	v_lshrrev_b32_e32 v123, 16, v16
	v_and_b32_e32 v16, 0xffff, v16
	v_fmac_f32_e32 v54, v19, v40
	v_fmac_f32_e32 v55, v20, v52
	;; [unrolled: 1-line block ×4, first 2 shown]
	s_waitcnt lgkmcnt(0)
	v_and_b32_e32 v37, 0xffff, v17
	v_lshrrev_b32_e32 v38, 16, v17
	v_lshrrev_b32_e32 v85, 16, v18
	v_and_b32_e32 v83, 0xffff, v18
	;;#ASMSTART
	v_cvt_f32_f16 v17, v37;
	;;#ASMEND
	;;#ASMSTART
	v_cvt_f32_f16 v18, v38;
	;;#ASMEND
	;; [unrolled: 3-line block ×8, first 2 shown]
	ds_read_b64 v[15:16], v72 offset:208
	v_lshrrev_b32_e32 v122, 16, v13
	v_and_b32_e32 v13, 0xffff, v13
	v_lshrrev_b32_e32 v123, 16, v12
	v_and_b32_e32 v12, 0xffff, v12
	v_fmac_f32_e32 v54, v17, v37
	v_fmac_f32_e32 v55, v18, v38
	;; [unrolled: 1-line block ×4, first 2 shown]
	s_waitcnt lgkmcnt(0)
	v_and_b32_e32 v35, 0xffff, v15
	v_lshrrev_b32_e32 v49, 16, v15
	v_lshrrev_b32_e32 v50, 16, v16
	v_and_b32_e32 v101, 0xffff, v16
	;;#ASMSTART
	v_cvt_f32_f16 v15, v35;
	;;#ASMEND
	;;#ASMSTART
	v_cvt_f32_f16 v16, v49;
	;;#ASMEND
	;; [unrolled: 3-line block ×8, first 2 shown]
	ds_read_b64 v[13:14], v72 offset:216
	v_lshrrev_b32_e32 v122, 16, v11
	v_and_b32_e32 v11, 0xffff, v11
	v_fmac_f32_e32 v54, v15, v35
	v_fmac_f32_e32 v55, v16, v36
	;; [unrolled: 1-line block ×4, first 2 shown]
	s_waitcnt lgkmcnt(0)
	v_and_b32_e32 v113, 0xffff, v13
	v_lshrrev_b32_e32 v115, 16, v13
	v_lshrrev_b32_e32 v116, 16, v14
	v_and_b32_e32 v117, 0xffff, v14
	;;#ASMSTART
	v_cvt_f32_f16 v13, v113;
	;;#ASMEND
	;;#ASMSTART
	v_cvt_f32_f16 v14, v115;
	;;#ASMEND
	;;#ASMSTART
	v_cvt_f32_f16 v33, v11;
	;;#ASMEND
	;;#ASMSTART
	v_cvt_f32_f16 v47, v122;
	;;#ASMEND
	;;#ASMSTART
	v_cvt_f32_f16 v113, v117;
	;;#ASMEND
	;;#ASMSTART
	v_cvt_f32_f16 v115, v116;
	;;#ASMEND
	;;#ASMSTART
	v_cvt_f32_f16 v116, v12;
	;;#ASMEND
	;;#ASMSTART
	v_cvt_f32_f16 v117, v123;
	;;#ASMEND
	ds_read_b64 v[11:12], v72 offset:224
	v_lshrrev_b32_e32 v122, 16, v9
	v_and_b32_e32 v9, 0xffff, v9
	v_lshrrev_b32_e32 v123, 16, v10
	v_and_b32_e32 v10, 0xffff, v10
	v_fmac_f32_e32 v54, v13, v33
	v_fmac_f32_e32 v55, v14, v47
	;; [unrolled: 1-line block ×4, first 2 shown]
	v_and_b32_e32 v13, 0xffff, v3
	s_waitcnt lgkmcnt(0)
	v_and_b32_e32 v34, 0xffff, v11
	v_lshrrev_b32_e32 v48, 16, v11
	v_lshrrev_b32_e32 v108, 16, v12
	v_and_b32_e32 v45, 0xffff, v12
	;;#ASMSTART
	v_cvt_f32_f16 v11, v34;
	;;#ASMEND
	;;#ASMSTART
	v_cvt_f32_f16 v12, v48;
	;;#ASMEND
	;; [unrolled: 3-line block ×8, first 2 shown]
	ds_read_b64 v[9:10], v72 offset:232
	v_fmac_f32_e32 v54, v11, v31
	v_fmac_f32_e32 v55, v12, v34
	;; [unrolled: 1-line block ×4, first 2 shown]
	v_lshrrev_b32_e32 v11, 16, v4
	s_waitcnt lgkmcnt(0)
	v_and_b32_e32 v23, 0xffff, v9
	v_lshrrev_b32_e32 v25, 16, v9
	v_lshrrev_b32_e32 v26, 16, v10
	v_and_b32_e32 v27, 0xffff, v10
	;;#ASMSTART
	v_cvt_f32_f16 v9, v23;
	;;#ASMEND
	;;#ASMSTART
	v_cvt_f32_f16 v10, v25;
	;;#ASMEND
	;; [unrolled: 3-line block ×8, first 2 shown]
	ds_read_b64 v[7:8], v72 offset:240
	v_fmac_f32_e32 v54, v9, v23
	v_fmac_f32_e32 v55, v10, v24
	;; [unrolled: 1-line block ×3, first 2 shown]
	v_and_b32_e32 v9, 0xffff, v4
	v_fmac_f32_e32 v56, v26, v28
	s_waitcnt lgkmcnt(0)
	v_and_b32_e32 v15, 0xffff, v7
	v_lshrrev_b32_e32 v16, 16, v7
	v_lshrrev_b32_e32 v18, 16, v8
	v_and_b32_e32 v17, 0xffff, v8
	;;#ASMSTART
	v_cvt_f32_f16 v7, v15;
	;;#ASMEND
	;;#ASMSTART
	v_cvt_f32_f16 v8, v16;
	;;#ASMEND
	;; [unrolled: 3-line block ×8, first 2 shown]
	ds_read_b64 v[5:6], v72 offset:248
	v_fmac_f32_e32 v54, v7, v15
	v_fmac_f32_e32 v55, v8, v16
	;; [unrolled: 1-line block ×4, first 2 shown]
	s_waitcnt lgkmcnt(0)
	v_and_b32_e32 v3, 0xffff, v5
	v_lshrrev_b32_e32 v4, 16, v5
	v_lshrrev_b32_e32 v7, 16, v6
	v_and_b32_e32 v8, 0xffff, v6
	;;#ASMSTART
	v_cvt_f32_f16 v3, v3;
	;;#ASMEND
	;;#ASMSTART
	v_cvt_f32_f16 v4, v4;
	;;#ASMEND
	;; [unrolled: 3-line block ×4, first 2 shown]
	v_fmac_f32_e32 v54, v3, v5
	v_fmac_f32_e32 v55, v4, v6
	;;#ASMSTART
	v_cvt_f32_f16 v3, v8;
	;;#ASMEND
	;;#ASMSTART
	v_cvt_f32_f16 v4, v7;
	;;#ASMEND
	;; [unrolled: 3-line block ×3, first 2 shown]
	v_fmac_f32_e32 v53, v3, v5
	v_add_f32_e32 v3, v54, v55
	;;#ASMSTART
	v_cvt_f32_f16 v5, v11;
	;;#ASMEND
	v_fmac_f32_e32 v56, v4, v5
	v_cndmask_b32_e64 v4, v69, v75, s3
	v_add_f32_e32 v3, v3, v53
	v_lshlrev_b32_e32 v4, 2, v4
	v_add_f32_e32 v3, v56, v3
	ds_bpermute_b32 v4, v4, v3
	s_and_saveexec_b32 s37, vcc_lo
	s_cbranch_execz .LBB80_10
; %bb.18:                               ;   in Loop: Header=BB80_12 Depth=1
	v_add_nc_u32_e32 v5, v76, v73
	s_waitcnt lgkmcnt(0)
	v_add_f32_e32 v3, v3, v4
	v_cvt_f32_i32_e32 v5, v5
	v_mul_f32_e32 v5, s33, v5
	v_cndmask_b32_e64 v4, 0, v5, s2
	v_max_f32_e32 v5, v70, v70
	v_fmac_f32_e32 v4, s29, v3
	v_add_nc_u32_e32 v3, v71, v73
	v_max_f32_e32 v5, v5, v4
	v_cmp_gt_i32_e64 s3, s30, v3
	v_cndmask_b32_e64 v3, 0, v4, s3
	v_cndmask_b32_e64 v70, v70, v5, s3
	ds_write_b32 v77, v3
	s_branch .LBB80_10
.LBB80_19:
	s_or_b32 exec_lo, exec_lo, s35
.LBB80_20:
	s_or_b32 exec_lo, exec_lo, s34
	v_xor_b32_e32 v1, 16, v69
	v_xor_b32_e32 v3, 8, v69
	v_max_f32_e32 v5, v70, v70
	v_xor_b32_e32 v6, 2, v69
	v_and_b32_e32 v11, 31, v0
	v_cmp_gt_i32_e32 vcc_lo, 32, v1
	v_cndmask_b32_e32 v1, v69, v1, vcc_lo
	v_cmp_gt_i32_e32 vcc_lo, 32, v3
	v_lshlrev_b32_e32 v2, 2, v1
	v_cndmask_b32_e32 v3, v69, v3, vcc_lo
	ds_bpermute_b32 v1, v2, v70
	s_waitcnt lgkmcnt(1)
	v_lshlrev_b32_e32 v4, 2, v3
	s_waitcnt lgkmcnt(0)
	v_max_f32_e32 v1, v1, v1
	v_max_f32_e32 v1, v5, v1
	v_xor_b32_e32 v5, 4, v69
	ds_bpermute_b32 v3, v4, v1
	v_cmp_gt_i32_e32 vcc_lo, 32, v5
	v_cndmask_b32_e32 v5, v69, v5, vcc_lo
	v_cmp_gt_i32_e32 vcc_lo, 32, v6
	v_lshlrev_b32_e32 v5, 2, v5
	v_cndmask_b32_e32 v6, v69, v6, vcc_lo
	v_cmp_eq_u32_e32 vcc_lo, 0, v11
	s_waitcnt lgkmcnt(0)
	v_max_f32_e32 v3, v3, v3
	v_max_f32_e32 v1, v1, v3
	ds_bpermute_b32 v3, v5, v1
	s_waitcnt lgkmcnt(0)
	v_max_f32_e32 v3, v3, v3
	v_max_f32_e32 v3, v1, v3
	v_lshlrev_b32_e32 v1, 2, v6
	v_lshlrev_b32_e32 v6, 2, v65
	ds_bpermute_b32 v7, v1, v3
	s_and_saveexec_b32 s2, vcc_lo
	s_cbranch_execz .LBB80_22
; %bb.21:
	s_waitcnt lgkmcnt(0)
	v_max_f32_e32 v7, v7, v7
	v_max_f32_e32 v3, v3, v3
	;; [unrolled: 1-line block ×3, first 2 shown]
	ds_write_b32 v6, v3 offset:512
.LBB80_22:
	s_or_b32 exec_lo, exec_lo, s2
	v_cmp_gt_u32_e64 s2, 4, v11
	v_mov_b32_e32 v3, 0xff7fffff
	s_waitcnt lgkmcnt(0)
	v_lshlrev_b32_e32 v7, 2, v11
	s_barrier
	buffer_gl0_inv
	s_and_saveexec_b32 s3, s2
; %bb.23:
	ds_read_b32 v3, v7 offset:512
; %bb.24:
	s_or_b32 exec_lo, exec_lo, s3
	s_waitcnt lgkmcnt(0)
	ds_bpermute_b32 v8, v1, v3
	v_xor_b32_e32 v9, 1, v69
	v_max_f32_e32 v3, v3, v3
	v_cmp_gt_i32_e64 s3, 32, v9
	v_cndmask_b32_e64 v9, v69, v9, s3
	s_lshl_b32 s3, s16, 4
	s_min_i32 s5, s3, s30
	v_lshlrev_b32_e32 v12, 2, v9
	v_cmp_gt_i32_e64 s3, s5, v0
	s_waitcnt lgkmcnt(0)
	v_max_f32_e32 v8, v8, v8
	v_max_f32_e32 v3, v3, v8
	ds_bpermute_b32 v8, v12, v3
	s_waitcnt lgkmcnt(0)
	v_max_f32_e32 v8, v8, v8
	v_max_f32_e32 v3, v3, v8
	v_mov_b32_e32 v8, 0
	ds_bpermute_b32 v9, v8, v3
	v_lshl_add_u32 v3, v0, 2, 0x220
	s_and_saveexec_b32 s15, s3
	s_cbranch_execz .LBB80_28
; %bb.25:
	v_lshl_add_u32 v10, v0, 2, 0x220
	v_mov_b32_e32 v8, 0
	v_mov_b32_e32 v13, v0
	s_mov_b32 s29, 0
	.p2align	6
.LBB80_26:                              ; =>This Inner Loop Header: Depth=1
	ds_read_b32 v14, v10
	v_add_nc_u32_e32 v13, 0x80, v13
	v_cmp_le_i32_e64 s4, s5, v13
	s_or_b32 s29, s4, s29
	s_waitcnt lgkmcnt(0)
	v_sub_f32_e32 v14, v14, v9
	v_mul_f32_e32 v14, 0x3fb8aa3b, v14
	v_exp_f32_e32 v14, v14
	ds_write_b32 v10, v14
	v_add_f32_e32 v8, v8, v14
	v_add_nc_u32_e32 v10, 0x200, v10
	s_andn2_b32 exec_lo, exec_lo, s29
	s_cbranch_execnz .LBB80_26
; %bb.27:
	s_or_b32 exec_lo, exec_lo, s29
.LBB80_28:
	s_or_b32 exec_lo, exec_lo, s15
	ds_bpermute_b32 v2, v2, v8
	s_waitcnt lgkmcnt(0)
	v_add_f32_e32 v2, v8, v2
	ds_bpermute_b32 v4, v4, v2
	s_waitcnt lgkmcnt(0)
	v_add_f32_e32 v2, v2, v4
	;; [unrolled: 3-line block ×5, first 2 shown]
	s_and_saveexec_b32 s4, vcc_lo
; %bb.29:
	ds_write_b32 v6, v2 offset:528
; %bb.30:
	s_or_b32 exec_lo, exec_lo, s4
	s_waitcnt lgkmcnt(0)
	s_barrier
	buffer_gl0_inv
	s_and_saveexec_b32 s4, s2
; %bb.31:
	ds_read_b32 v2, v7 offset:528
; %bb.32:
	s_or_b32 exec_lo, exec_lo, s4
	s_waitcnt lgkmcnt(0)
	ds_bpermute_b32 v1, v1, v2
	s_waitcnt lgkmcnt(0)
	v_add_f32_e32 v1, v2, v1
	ds_bpermute_b32 v2, v12, v1
	s_waitcnt lgkmcnt(0)
	v_add_f32_e32 v1, v1, v2
	v_mov_b32_e32 v2, 0
	ds_bpermute_b32 v1, v2, v1
	s_and_saveexec_b32 s2, s3
	s_cbranch_execz .LBB80_35
; %bb.33:
	s_waitcnt lgkmcnt(0)
	v_add_f32_e32 v1, 0x358637bd, v1
	s_mov_b32 s3, 0
	v_div_scale_f32 v2, null, v1, v1, 1.0
	v_div_scale_f32 v6, vcc_lo, 1.0, v1, 1.0
	v_rcp_f32_e32 v4, v2
	v_fma_f32 v5, -v2, v4, 1.0
	v_fmac_f32_e32 v4, v5, v4
	v_mul_f32_e32 v5, v6, v4
	v_fma_f32 v7, -v2, v5, v6
	v_fmac_f32_e32 v5, v7, v4
	v_fma_f32 v2, -v2, v5, v6
	v_div_fmas_f32 v2, v2, v4, v5
	v_div_fixup_f32 v1, v2, v1, 1.0
	v_mov_b32_e32 v2, v0
.LBB80_34:                              ; =>This Inner Loop Header: Depth=1
	ds_read_b32 v4, v3
	v_add_nc_u32_e32 v2, 0x80, v2
	v_cmp_le_i32_e32 vcc_lo, s5, v2
	s_or_b32 s3, vcc_lo, s3
	s_waitcnt lgkmcnt(0)
	v_mul_f32_e32 v4, v1, v4
	ds_write_b32 v3, v4
	v_add_nc_u32_e32 v3, 0x200, v3
	s_andn2_b32 exec_lo, exec_lo, s3
	s_cbranch_execnz .LBB80_34
.LBB80_35:
	s_or_b32 exec_lo, exec_lo, s2
	v_mov_b32_e32 v28, 0
	v_mov_b32_e32 v27, 0
	;; [unrolled: 1-line block ×16, first 2 shown]
	s_waitcnt lgkmcnt(0)
	s_barrier
	buffer_gl0_inv
	s_and_saveexec_b32 s3, s1
	s_cbranch_execz .LBB80_73
; %bb.36:
	s_ashr_i32 s15, s14, 31
	s_sub_i32 s4, s28, s17
	s_lshl_b64 s[14:15], s[14:15], 1
	v_lshlrev_b32_e32 v2, 4, v0
	s_add_u32 s1, s26, s14
	s_addc_u32 s2, s27, s15
	s_abs_i32 s5, s18
	v_lshlrev_b32_e32 v4, 5, v64
	v_cvt_f32_u32_e32 v1, s5
	s_sub_i32 s14, 0, s5
	v_and_b32_e32 v2, 0x1f0, v2
	v_and_b32_e32 v3, 0x7c, v68
	s_lshl_b64 s[24:25], s[24:25], 2
	v_rcp_iflag_f32_e32 v1, v1
	v_lshl_or_b32 v4, v65, 6, v4
	v_add_co_u32 v31, s1, s1, v2
	v_add_co_ci_u32_e64 v32, null, s2, 0, s1
	v_and_b32_e32 v29, 8, v67
	v_mov_b32_e32 v30, 0
	v_mov_b32_e32 v13, 0
	;; [unrolled: 1-line block ×3, first 2 shown]
	v_mul_f32_e32 v1, 0x4f7ffffe, v1
	v_mov_b32_e32 v15, 0
	v_mov_b32_e32 v16, 0
	;; [unrolled: 1-line block ×4, first 2 shown]
	v_cvt_u32_f32_e32 v1, v1
	v_mov_b32_e32 v19, 0
	v_mov_b32_e32 v20, 0
	;; [unrolled: 1-line block ×4, first 2 shown]
	v_mul_lo_u32 v5, s14, v1
	s_add_i32 s14, s16, -1
	s_add_u32 s15, s22, s24
	s_addc_u32 s17, s23, s25
	v_mov_b32_e32 v23, 0
	v_mov_b32_e32 v24, 0
	;; [unrolled: 1-line block ×4, first 2 shown]
	v_mul_hi_u32 v7, v1, v5
	v_add_co_u32 v5, s1, s15, v3
	v_mov_b32_e32 v27, 0
	v_add_nc_u32_e32 v33, 0x220, v4
	v_add_co_ci_u32_e64 v6, null, s17, 0, s1
	v_mov_b32_e32 v28, 0
	v_add_nc_u32_e32 v34, v1, v7
	v_mov_b32_e32 v35, v65
	s_mov_b32 s15, s13
	s_mov_b32 s13, 0
	s_branch .LBB80_39
.LBB80_37:                              ;   in Loop: Header=BB80_39 Depth=1
	s_or_b32 exec_lo, exec_lo, s2
	v_add_f32_e32 v9, v9, v10
	v_add_f32_e32 v10, v70, v71
	;; [unrolled: 1-line block ×3, first 2 shown]
	v_lshlrev_b32_e32 v8, 16, v8
	v_lshlrev_b32_e32 v7, 16, v7
	v_add_f32_e32 v37, v76, v77
	v_add_f32_e32 v19, v19, v10
	v_lshlrev_b32_e32 v10, 16, v78
	v_add_f32_e32 v43, v74, v75
	v_add_f32_e32 v14, v14, v36
	;; [unrolled: 1-line block ×4, first 2 shown]
	v_and_or_b32 v1, 0xffff, v1, v10
	v_add_f32_e32 v36, v68, v69
	v_and_or_b32 v2, 0xffff, v2, v8
	v_and_or_b32 v3, 0xffff, v3, v7
	;;#ASMSTART
	v_pk_mul_f16 v1, v39, v1;

	;;#ASMEND
	;;#ASMSTART
	v_pk_mul_f16 v2, v38, v2;

	;;#ASMEND
	;; [unrolled: 4-line block ×4, first 2 shown]
	;;#ASMSTART
	v_pk_add_f16 v1, v1, v2;

	;;#ASMEND
	;;#ASMSTART
	v_pk_add_f16 v1, v1, v3;

	;;#ASMEND
	;; [unrolled: 4-line block ×3, first 2 shown]
	v_and_b32_e32 v4, 0xffff, v1
	v_lshrrev_b32_e32 v8, 16, v1
	;;#ASMSTART
	v_cvt_f32_f16 v4, v4;
	;;#ASMEND
	v_add_f32_e32 v15, v15, v37
	v_add_f32_e32 v16, v16, v43
	;; [unrolled: 1-line block ×12, first 2 shown]
	;;#ASMSTART
	v_cvt_f32_f16 v8, v8;
	;;#ASMEND
	v_add_f32_e32 v4, v4, v8
	v_add_f32_e32 v21, v21, v37
	;; [unrolled: 1-line block ×10, first 2 shown]
.LBB80_38:                              ;   in Loop: Header=BB80_39 Depth=1
	s_or_b32 exec_lo, exec_lo, s17
	v_add_nc_u32_e32 v35, 4, v35
	v_add_co_u32 v5, s1, v5, 16
	v_add_co_ci_u32_e64 v6, null, 0, v6, s1
	v_cmp_le_i32_e32 vcc_lo, s16, v35
	v_add_nc_u32_e32 v66, 64, v66
	v_add_nc_u32_e32 v33, 0x100, v33
	s_or_b32 s13, vcc_lo, s13
	s_andn2_b32 exec_lo, exec_lo, s13
	s_cbranch_execz .LBB80_72
.LBB80_39:                              ; =>This Inner Loop Header: Depth=1
	v_mul_hi_u32 v1, v66, s21
	v_mul_lo_u32 v2, v1, s12
	v_add_nc_u32_e32 v3, 1, v1
	v_sub_nc_u32_e32 v2, v66, v2
	v_subrev_nc_u32_e32 v4, s12, v2
	v_cmp_le_u32_e32 vcc_lo, s12, v2
	v_cndmask_b32_e32 v1, v1, v3, vcc_lo
	v_cndmask_b32_e32 v2, v2, v4, vcc_lo
	v_add_nc_u32_e32 v3, 1, v1
	v_cmp_le_u32_e32 vcc_lo, s12, v2
	v_cndmask_b32_e32 v1, v1, v3, vcc_lo
	v_xor_b32_e32 v1, s19, v1
	v_subrev_nc_u32_e32 v1, s19, v1
	v_add_nc_u32_e32 v2, s31, v1
	v_cmp_lt_i32_e64 s1, s4, v1
	v_sub_nc_u32_e32 v3, 0, v2
	v_max_i32_e32 v3, v2, v3
	v_ashrrev_i32_e32 v2, 31, v2
	v_mul_hi_u32 v4, v3, v34
	v_mul_lo_u32 v4, v4, s5
	v_sub_nc_u32_e32 v3, v3, v4
	v_subrev_nc_u32_e32 v4, s5, v3
	v_cmp_le_u32_e32 vcc_lo, s5, v3
	v_cndmask_b32_e32 v3, v3, v4, vcc_lo
	v_subrev_nc_u32_e32 v4, s5, v3
	v_cmp_le_u32_e32 vcc_lo, s5, v3
	v_cndmask_b32_e32 v3, v3, v4, vcc_lo
	v_xor_b32_e32 v3, v3, v2
	v_sub_nc_u32_e32 v2, v3, v2
	v_cmp_eq_u32_e32 vcc_lo, 0, v2
	s_or_b32 s1, vcc_lo, s1
	s_and_saveexec_b32 s17, s1
	s_cbranch_execz .LBB80_38
; %bb.40:                               ;   in Loop: Header=BB80_39 Depth=1
	global_load_dword v7, v[5:6], off
	ds_read2_b64 v[1:4], v33 offset1:1
	ds_read2_b64 v[44:47], v33 offset0:2 offset1:3
	v_cmp_eq_u32_e64 s1, s14, v35
	s_waitcnt lgkmcnt(1)
	;;#ASMSTART
	v_cvt_f16_f32 v39, v1;

	;;#ASMEND
	;;#ASMSTART
	v_cvt_f16_f32 v38, v2;

	;;#ASMEND
	;; [unrolled: 4-line block ×4, first 2 shown]
	s_waitcnt lgkmcnt(0)
	;;#ASMSTART
	v_cvt_f16_f32 v44, v44;

	;;#ASMEND
	;;#ASMSTART
	v_cvt_f16_f32 v10, v45;

	;;#ASMEND
	;; [unrolled: 4-line block ×4, first 2 shown]
	v_add_nc_u32_e32 v47, v29, v66
	v_add_nc_u32_e32 v49, 1, v47
	;; [unrolled: 1-line block ×8, first 2 shown]
	s_waitcnt vmcnt(0)
	v_mad_i64_i32 v[7:8], null, v7, s15, 0
	v_lshlrev_b64 v[7:8], 1, v[7:8]
	v_add_co_u32 v7, vcc_lo, v31, v7
	v_add_co_ci_u32_e64 v8, null, v32, v8, vcc_lo
	global_load_dwordx4 v[1:4], v[7:8], off
	s_waitcnt vmcnt(0)
	v_lshrrev_b32_e32 v52, 16, v1
	v_lshrrev_b32_e32 v51, 16, v2
	;; [unrolled: 1-line block ×3, first 2 shown]
	s_and_saveexec_b32 s18, s1
	s_cbranch_execz .LBB80_42
; %bb.41:                               ;   in Loop: Header=BB80_39 Depth=1
	v_cmp_gt_i32_e32 vcc_lo, s30, v47
	v_and_b32_e32 v53, 0xffff0000, v4
	v_cmp_gt_i32_e64 s2, s30, v46
	v_cndmask_b32_e32 v1, 0, v1, vcc_lo
	v_cmp_gt_i32_e32 vcc_lo, s30, v49
	v_cndmask_b32_e64 v2, 0, v2, s2
	v_cmp_gt_i32_e64 s2, s30, v45
	v_cndmask_b32_e32 v52, 0, v52, vcc_lo
	v_cmp_gt_i32_e32 vcc_lo, s30, v48
	v_cndmask_b32_e64 v51, 0, v51, s2
	v_cndmask_b32_sdwa v4, v30, v4, vcc_lo dst_sel:DWORD dst_unused:UNUSED_PAD src0_sel:DWORD src1_sel:WORD_0
	v_cmp_gt_i32_e32 vcc_lo, s30, v43
	v_cndmask_b32_e32 v53, 0, v53, vcc_lo
	v_cmp_gt_i32_e32 vcc_lo, s30, v37
	v_or_b32_e32 v4, v4, v53
	v_cndmask_b32_e32 v3, 0, v3, vcc_lo
	v_cmp_gt_i32_e32 vcc_lo, s30, v36
	v_cndmask_b32_e32 v50, 0, v50, vcc_lo
.LBB80_42:                              ;   in Loop: Header=BB80_39 Depth=1
	s_or_b32 exec_lo, exec_lo, s18
	v_and_b32_e32 v39, 0xffff, v39
	v_and_b32_e32 v42, 0xffff, v42
	v_lshlrev_b32_e32 v52, 16, v52
	v_lshlrev_b32_e32 v50, 16, v50
	v_and_b32_e32 v44, 0xffff, v44
	v_lshl_or_b32 v39, v38, 16, v39
	v_lshl_or_b32 v38, v40, 16, v42
	v_lshlrev_b32_e32 v40, 16, v51
	v_and_b32_e32 v41, 0xffff, v41
	v_and_or_b32 v1, 0xffff, v1, v52
	v_and_or_b32 v3, 0xffff, v3, v50
	;;#ASMSTART
	v_pk_mul_f16 v1, v39, v1;

	;;#ASMEND
	v_and_or_b32 v2, 0xffff, v2, v40
	v_lshl_or_b32 v42, v10, 16, v44
	v_lshl_or_b32 v44, v9, 16, v41
	;;#ASMSTART
	v_pk_mul_f16 v2, v38, v2;

	;;#ASMEND
	;;#ASMSTART
	v_pk_mul_f16 v3, v42, v3;

	;;#ASMEND
	;; [unrolled: 4-line block ×3, first 2 shown]
	;;#ASMSTART
	v_pk_add_f16 v1, v1, v2;

	;;#ASMEND
	;;#ASMSTART
	v_pk_add_f16 v1, v1, v3;

	;;#ASMEND
	;; [unrolled: 4-line block ×3, first 2 shown]
	v_and_b32_e32 v2, 0xffff, v1
	v_lshrrev_b32_e32 v1, 16, v1
	;;#ASMSTART
	v_cvt_f32_f16 v40, v2;
	;;#ASMEND
	;;#ASMSTART
	v_cvt_f32_f16 v41, v1;
	;;#ASMEND
	global_load_dwordx4 v[1:4], v[7:8], off offset:512
	s_waitcnt vmcnt(0)
	v_lshrrev_b32_e32 v50, 16, v1
	v_lshrrev_b32_e32 v10, 16, v2
	;; [unrolled: 1-line block ×3, first 2 shown]
	s_and_saveexec_b32 s18, s1
	s_cbranch_execz .LBB80_44
; %bb.43:                               ;   in Loop: Header=BB80_39 Depth=1
	v_cmp_gt_i32_e32 vcc_lo, s30, v47
	v_and_b32_e32 v51, 0xffff0000, v4
	v_cmp_gt_i32_e64 s2, s30, v46
	v_cndmask_b32_e32 v1, 0, v1, vcc_lo
	v_cmp_gt_i32_e32 vcc_lo, s30, v49
	v_cndmask_b32_e64 v2, 0, v2, s2
	v_cmp_gt_i32_e64 s2, s30, v45
	v_cndmask_b32_e32 v50, 0, v50, vcc_lo
	v_cmp_gt_i32_e32 vcc_lo, s30, v48
	v_cndmask_b32_e64 v10, 0, v10, s2
	v_cndmask_b32_sdwa v4, v30, v4, vcc_lo dst_sel:DWORD dst_unused:UNUSED_PAD src0_sel:DWORD src1_sel:WORD_0
	v_cmp_gt_i32_e32 vcc_lo, s30, v43
	v_cndmask_b32_e32 v51, 0, v51, vcc_lo
	v_cmp_gt_i32_e32 vcc_lo, s30, v37
	v_or_b32_e32 v4, v4, v51
	v_cndmask_b32_e32 v3, 0, v3, vcc_lo
	v_cmp_gt_i32_e32 vcc_lo, s30, v36
	v_cndmask_b32_e32 v9, 0, v9, vcc_lo
.LBB80_44:                              ;   in Loop: Header=BB80_39 Depth=1
	s_or_b32 exec_lo, exec_lo, s18
	v_lshlrev_b32_e32 v50, 16, v50
	v_lshlrev_b32_e32 v10, 16, v10
	v_lshlrev_b32_e32 v9, 16, v9
	v_and_or_b32 v1, 0xffff, v1, v50
	v_and_or_b32 v2, 0xffff, v2, v10
	;; [unrolled: 1-line block ×3, first 2 shown]
	;;#ASMSTART
	v_pk_mul_f16 v1, v39, v1;

	;;#ASMEND
	;;#ASMSTART
	v_pk_mul_f16 v2, v38, v2;

	;;#ASMEND
	;; [unrolled: 4-line block ×4, first 2 shown]
	;;#ASMSTART
	v_pk_add_f16 v1, v1, v2;

	;;#ASMEND
	;;#ASMSTART
	v_pk_add_f16 v1, v1, v3;

	;;#ASMEND
	;; [unrolled: 4-line block ×3, first 2 shown]
	v_and_b32_e32 v2, 0xffff, v1
	v_lshrrev_b32_e32 v1, 16, v1
	;;#ASMSTART
	v_cvt_f32_f16 v50, v2;
	;;#ASMEND
	;;#ASMSTART
	v_cvt_f32_f16 v51, v1;
	;;#ASMEND
	global_load_dwordx4 v[1:4], v[7:8], off offset:1024
	s_waitcnt vmcnt(0)
	v_lshrrev_b32_e32 v52, 16, v1
	v_lshrrev_b32_e32 v10, 16, v2
	;; [unrolled: 1-line block ×3, first 2 shown]
	s_and_saveexec_b32 s18, s1
	s_cbranch_execz .LBB80_46
; %bb.45:                               ;   in Loop: Header=BB80_39 Depth=1
	v_cmp_gt_i32_e32 vcc_lo, s30, v47
	v_and_b32_e32 v53, 0xffff0000, v4
	v_cmp_gt_i32_e64 s2, s30, v46
	v_cndmask_b32_e32 v1, 0, v1, vcc_lo
	v_cmp_gt_i32_e32 vcc_lo, s30, v49
	v_cndmask_b32_e64 v2, 0, v2, s2
	v_cmp_gt_i32_e64 s2, s30, v45
	v_cndmask_b32_e32 v52, 0, v52, vcc_lo
	v_cmp_gt_i32_e32 vcc_lo, s30, v48
	v_cndmask_b32_e64 v10, 0, v10, s2
	v_cndmask_b32_sdwa v4, v30, v4, vcc_lo dst_sel:DWORD dst_unused:UNUSED_PAD src0_sel:DWORD src1_sel:WORD_0
	v_cmp_gt_i32_e32 vcc_lo, s30, v43
	v_cndmask_b32_e32 v53, 0, v53, vcc_lo
	v_cmp_gt_i32_e32 vcc_lo, s30, v37
	v_or_b32_e32 v4, v4, v53
	v_cndmask_b32_e32 v3, 0, v3, vcc_lo
	v_cmp_gt_i32_e32 vcc_lo, s30, v36
	v_cndmask_b32_e32 v9, 0, v9, vcc_lo
.LBB80_46:                              ;   in Loop: Header=BB80_39 Depth=1
	s_or_b32 exec_lo, exec_lo, s18
	v_lshlrev_b32_e32 v52, 16, v52
	v_lshlrev_b32_e32 v10, 16, v10
	v_lshlrev_b32_e32 v9, 16, v9
	v_and_or_b32 v1, 0xffff, v1, v52
	v_and_or_b32 v2, 0xffff, v2, v10
	;; [unrolled: 1-line block ×3, first 2 shown]
	;;#ASMSTART
	v_pk_mul_f16 v1, v39, v1;

	;;#ASMEND
	;;#ASMSTART
	v_pk_mul_f16 v2, v38, v2;

	;;#ASMEND
	;; [unrolled: 4-line block ×4, first 2 shown]
	;;#ASMSTART
	v_pk_add_f16 v1, v1, v2;

	;;#ASMEND
	;;#ASMSTART
	v_pk_add_f16 v1, v1, v3;

	;;#ASMEND
	;; [unrolled: 4-line block ×3, first 2 shown]
	v_and_b32_e32 v2, 0xffff, v1
	v_lshrrev_b32_e32 v1, 16, v1
	;;#ASMSTART
	v_cvt_f32_f16 v52, v2;
	;;#ASMEND
	;;#ASMSTART
	v_cvt_f32_f16 v53, v1;
	;;#ASMEND
	global_load_dwordx4 v[1:4], v[7:8], off offset:1536
	s_waitcnt vmcnt(0)
	v_lshrrev_b32_e32 v54, 16, v1
	v_lshrrev_b32_e32 v10, 16, v2
	;; [unrolled: 1-line block ×3, first 2 shown]
	s_and_saveexec_b32 s18, s1
	s_cbranch_execz .LBB80_48
; %bb.47:                               ;   in Loop: Header=BB80_39 Depth=1
	v_cmp_gt_i32_e32 vcc_lo, s30, v47
	v_and_b32_e32 v55, 0xffff0000, v4
	v_cmp_gt_i32_e64 s2, s30, v46
	v_cndmask_b32_e32 v1, 0, v1, vcc_lo
	v_cmp_gt_i32_e32 vcc_lo, s30, v49
	v_cndmask_b32_e64 v2, 0, v2, s2
	v_cmp_gt_i32_e64 s2, s30, v45
	v_cndmask_b32_e32 v54, 0, v54, vcc_lo
	v_cmp_gt_i32_e32 vcc_lo, s30, v48
	v_cndmask_b32_e64 v10, 0, v10, s2
	v_cndmask_b32_sdwa v4, v30, v4, vcc_lo dst_sel:DWORD dst_unused:UNUSED_PAD src0_sel:DWORD src1_sel:WORD_0
	v_cmp_gt_i32_e32 vcc_lo, s30, v43
	v_cndmask_b32_e32 v55, 0, v55, vcc_lo
	v_cmp_gt_i32_e32 vcc_lo, s30, v37
	v_or_b32_e32 v4, v4, v55
	v_cndmask_b32_e32 v3, 0, v3, vcc_lo
	v_cmp_gt_i32_e32 vcc_lo, s30, v36
	v_cndmask_b32_e32 v9, 0, v9, vcc_lo
.LBB80_48:                              ;   in Loop: Header=BB80_39 Depth=1
	s_or_b32 exec_lo, exec_lo, s18
	v_lshlrev_b32_e32 v9, 16, v9
	v_lshlrev_b32_e32 v54, 16, v54
	;; [unrolled: 1-line block ×3, first 2 shown]
	v_and_or_b32 v3, 0xffff, v3, v9
	v_add_co_u32 v9, vcc_lo, 0x800, v7
	v_and_or_b32 v1, 0xffff, v1, v54
	v_and_or_b32 v2, 0xffff, v2, v10
	;;#ASMSTART
	v_pk_mul_f16 v1, v39, v1;

	;;#ASMEND
	v_add_co_ci_u32_e64 v10, null, 0, v8, vcc_lo
	;;#ASMSTART
	v_pk_mul_f16 v2, v38, v2;

	;;#ASMEND
	;;#ASMSTART
	v_pk_mul_f16 v3, v42, v3;

	;;#ASMEND
	;; [unrolled: 4-line block ×3, first 2 shown]
	;;#ASMSTART
	v_pk_add_f16 v1, v1, v2;

	;;#ASMEND
	;;#ASMSTART
	v_pk_add_f16 v1, v1, v3;

	;;#ASMEND
	;;#ASMSTART
	v_pk_add_f16 v1, v1, v4;

	;;#ASMEND
	v_lshrrev_b32_e32 v2, 16, v1
	v_and_b32_e32 v1, 0xffff, v1
	;;#ASMSTART
	v_cvt_f32_f16 v54, v1;
	;;#ASMEND
	;;#ASMSTART
	v_cvt_f32_f16 v55, v2;
	;;#ASMEND
	global_load_dwordx4 v[1:4], v[9:10], off
	s_waitcnt vmcnt(0)
	v_lshrrev_b32_e32 v58, 16, v1
	v_lshrrev_b32_e32 v57, 16, v2
	;; [unrolled: 1-line block ×3, first 2 shown]
	s_and_saveexec_b32 s18, s1
	s_cbranch_execz .LBB80_50
; %bb.49:                               ;   in Loop: Header=BB80_39 Depth=1
	v_cmp_gt_i32_e32 vcc_lo, s30, v47
	v_and_b32_e32 v59, 0xffff0000, v4
	v_cmp_gt_i32_e64 s2, s30, v46
	v_cndmask_b32_e32 v1, 0, v1, vcc_lo
	v_cmp_gt_i32_e32 vcc_lo, s30, v49
	v_cndmask_b32_e64 v2, 0, v2, s2
	v_cmp_gt_i32_e64 s2, s30, v45
	v_cndmask_b32_e32 v58, 0, v58, vcc_lo
	v_cmp_gt_i32_e32 vcc_lo, s30, v48
	v_cndmask_b32_e64 v57, 0, v57, s2
	v_cndmask_b32_sdwa v4, v30, v4, vcc_lo dst_sel:DWORD dst_unused:UNUSED_PAD src0_sel:DWORD src1_sel:WORD_0
	v_cmp_gt_i32_e32 vcc_lo, s30, v43
	v_cndmask_b32_e32 v59, 0, v59, vcc_lo
	v_cmp_gt_i32_e32 vcc_lo, s30, v37
	v_or_b32_e32 v4, v4, v59
	v_cndmask_b32_e32 v3, 0, v3, vcc_lo
	v_cmp_gt_i32_e32 vcc_lo, s30, v36
	v_cndmask_b32_e32 v56, 0, v56, vcc_lo
.LBB80_50:                              ;   in Loop: Header=BB80_39 Depth=1
	s_or_b32 exec_lo, exec_lo, s18
	v_lshlrev_b32_e32 v58, 16, v58
	v_lshlrev_b32_e32 v57, 16, v57
	;; [unrolled: 1-line block ×3, first 2 shown]
	v_and_or_b32 v1, 0xffff, v1, v58
	v_and_or_b32 v2, 0xffff, v2, v57
	;; [unrolled: 1-line block ×3, first 2 shown]
	;;#ASMSTART
	v_pk_mul_f16 v1, v39, v1;

	;;#ASMEND
	;;#ASMSTART
	v_pk_mul_f16 v2, v38, v2;

	;;#ASMEND
	;; [unrolled: 4-line block ×4, first 2 shown]
	;;#ASMSTART
	v_pk_add_f16 v1, v1, v2;

	;;#ASMEND
	;;#ASMSTART
	v_pk_add_f16 v1, v1, v3;

	;;#ASMEND
	;; [unrolled: 4-line block ×3, first 2 shown]
	v_and_b32_e32 v2, 0xffff, v1
	v_lshrrev_b32_e32 v1, 16, v1
	;;#ASMSTART
	v_cvt_f32_f16 v56, v2;
	;;#ASMEND
	;;#ASMSTART
	v_cvt_f32_f16 v57, v1;
	;;#ASMEND
	global_load_dwordx4 v[1:4], v[9:10], off offset:512
	s_waitcnt vmcnt(0)
	v_lshrrev_b32_e32 v60, 16, v1
	v_lshrrev_b32_e32 v59, 16, v2
	;; [unrolled: 1-line block ×3, first 2 shown]
	s_and_saveexec_b32 s18, s1
	s_cbranch_execz .LBB80_52
; %bb.51:                               ;   in Loop: Header=BB80_39 Depth=1
	v_cmp_gt_i32_e32 vcc_lo, s30, v47
	v_and_b32_e32 v61, 0xffff0000, v4
	v_cmp_gt_i32_e64 s2, s30, v46
	v_cndmask_b32_e32 v1, 0, v1, vcc_lo
	v_cmp_gt_i32_e32 vcc_lo, s30, v49
	v_cndmask_b32_e64 v2, 0, v2, s2
	v_cmp_gt_i32_e64 s2, s30, v45
	v_cndmask_b32_e32 v60, 0, v60, vcc_lo
	v_cmp_gt_i32_e32 vcc_lo, s30, v48
	v_cndmask_b32_e64 v59, 0, v59, s2
	v_cndmask_b32_sdwa v4, v30, v4, vcc_lo dst_sel:DWORD dst_unused:UNUSED_PAD src0_sel:DWORD src1_sel:WORD_0
	v_cmp_gt_i32_e32 vcc_lo, s30, v43
	v_cndmask_b32_e32 v61, 0, v61, vcc_lo
	v_cmp_gt_i32_e32 vcc_lo, s30, v37
	v_or_b32_e32 v4, v4, v61
	v_cndmask_b32_e32 v3, 0, v3, vcc_lo
	v_cmp_gt_i32_e32 vcc_lo, s30, v36
	v_cndmask_b32_e32 v58, 0, v58, vcc_lo
.LBB80_52:                              ;   in Loop: Header=BB80_39 Depth=1
	s_or_b32 exec_lo, exec_lo, s18
	v_lshlrev_b32_e32 v60, 16, v60
	v_lshlrev_b32_e32 v59, 16, v59
	;; [unrolled: 1-line block ×3, first 2 shown]
	v_and_or_b32 v1, 0xffff, v1, v60
	v_and_or_b32 v2, 0xffff, v2, v59
	;; [unrolled: 1-line block ×3, first 2 shown]
	;;#ASMSTART
	v_pk_mul_f16 v1, v39, v1;

	;;#ASMEND
	;;#ASMSTART
	v_pk_mul_f16 v2, v38, v2;

	;;#ASMEND
	;; [unrolled: 4-line block ×4, first 2 shown]
	;;#ASMSTART
	v_pk_add_f16 v1, v1, v2;

	;;#ASMEND
	;;#ASMSTART
	v_pk_add_f16 v1, v1, v3;

	;;#ASMEND
	;; [unrolled: 4-line block ×3, first 2 shown]
	v_and_b32_e32 v2, 0xffff, v1
	v_lshrrev_b32_e32 v1, 16, v1
	;;#ASMSTART
	v_cvt_f32_f16 v58, v2;
	;;#ASMEND
	;;#ASMSTART
	v_cvt_f32_f16 v59, v1;
	;;#ASMEND
	global_load_dwordx4 v[1:4], v[9:10], off offset:1024
	s_waitcnt vmcnt(0)
	v_lshrrev_b32_e32 v62, 16, v1
	v_lshrrev_b32_e32 v61, 16, v2
	;; [unrolled: 1-line block ×3, first 2 shown]
	s_and_saveexec_b32 s18, s1
	s_cbranch_execz .LBB80_54
; %bb.53:                               ;   in Loop: Header=BB80_39 Depth=1
	v_cmp_gt_i32_e32 vcc_lo, s30, v47
	v_and_b32_e32 v67, 0xffff0000, v4
	v_cmp_gt_i32_e64 s2, s30, v46
	v_cndmask_b32_e32 v1, 0, v1, vcc_lo
	v_cmp_gt_i32_e32 vcc_lo, s30, v49
	v_cndmask_b32_e64 v2, 0, v2, s2
	v_cmp_gt_i32_e64 s2, s30, v45
	v_cndmask_b32_e32 v62, 0, v62, vcc_lo
	v_cmp_gt_i32_e32 vcc_lo, s30, v48
	v_cndmask_b32_e64 v61, 0, v61, s2
	v_cndmask_b32_sdwa v4, v30, v4, vcc_lo dst_sel:DWORD dst_unused:UNUSED_PAD src0_sel:DWORD src1_sel:WORD_0
	v_cmp_gt_i32_e32 vcc_lo, s30, v43
	v_cndmask_b32_e32 v67, 0, v67, vcc_lo
	v_cmp_gt_i32_e32 vcc_lo, s30, v37
	v_or_b32_e32 v4, v4, v67
	v_cndmask_b32_e32 v3, 0, v3, vcc_lo
	v_cmp_gt_i32_e32 vcc_lo, s30, v36
	v_cndmask_b32_e32 v60, 0, v60, vcc_lo
.LBB80_54:                              ;   in Loop: Header=BB80_39 Depth=1
	s_or_b32 exec_lo, exec_lo, s18
	v_lshlrev_b32_e32 v62, 16, v62
	v_lshlrev_b32_e32 v61, 16, v61
	v_lshlrev_b32_e32 v60, 16, v60
	v_and_or_b32 v1, 0xffff, v1, v62
	v_and_or_b32 v2, 0xffff, v2, v61
	;; [unrolled: 1-line block ×3, first 2 shown]
	;;#ASMSTART
	v_pk_mul_f16 v1, v39, v1;

	;;#ASMEND
	;;#ASMSTART
	v_pk_mul_f16 v2, v38, v2;

	;;#ASMEND
	;; [unrolled: 4-line block ×4, first 2 shown]
	;;#ASMSTART
	v_pk_add_f16 v1, v1, v2;

	;;#ASMEND
	;;#ASMSTART
	v_pk_add_f16 v1, v1, v3;

	;;#ASMEND
	;;#ASMSTART
	v_pk_add_f16 v1, v1, v4;

	;;#ASMEND
	v_and_b32_e32 v2, 0xffff, v1
	v_lshrrev_b32_e32 v1, 16, v1
	;;#ASMSTART
	v_cvt_f32_f16 v60, v2;
	;;#ASMEND
	;;#ASMSTART
	v_cvt_f32_f16 v61, v1;
	;;#ASMEND
	global_load_dwordx4 v[1:4], v[9:10], off offset:1536
	s_waitcnt vmcnt(0)
	v_lshrrev_b32_e32 v62, 16, v1
	v_lshrrev_b32_e32 v10, 16, v2
	;; [unrolled: 1-line block ×3, first 2 shown]
	s_and_saveexec_b32 s18, s1
	s_cbranch_execz .LBB80_56
; %bb.55:                               ;   in Loop: Header=BB80_39 Depth=1
	v_cmp_gt_i32_e32 vcc_lo, s30, v47
	v_and_b32_e32 v67, 0xffff0000, v4
	v_cmp_gt_i32_e64 s2, s30, v46
	v_cndmask_b32_e32 v1, 0, v1, vcc_lo
	v_cmp_gt_i32_e32 vcc_lo, s30, v49
	v_cndmask_b32_e64 v2, 0, v2, s2
	v_cmp_gt_i32_e64 s2, s30, v45
	v_cndmask_b32_e32 v62, 0, v62, vcc_lo
	v_cmp_gt_i32_e32 vcc_lo, s30, v48
	v_cndmask_b32_e64 v10, 0, v10, s2
	v_cndmask_b32_sdwa v4, v30, v4, vcc_lo dst_sel:DWORD dst_unused:UNUSED_PAD src0_sel:DWORD src1_sel:WORD_0
	v_cmp_gt_i32_e32 vcc_lo, s30, v43
	v_cndmask_b32_e32 v67, 0, v67, vcc_lo
	v_cmp_gt_i32_e32 vcc_lo, s30, v37
	v_or_b32_e32 v4, v4, v67
	v_cndmask_b32_e32 v3, 0, v3, vcc_lo
	v_cmp_gt_i32_e32 vcc_lo, s30, v36
	v_cndmask_b32_e32 v9, 0, v9, vcc_lo
.LBB80_56:                              ;   in Loop: Header=BB80_39 Depth=1
	s_or_b32 exec_lo, exec_lo, s18
	v_lshlrev_b32_e32 v9, 16, v9
	v_lshlrev_b32_e32 v62, 16, v62
	;; [unrolled: 1-line block ×3, first 2 shown]
	v_and_or_b32 v3, 0xffff, v3, v9
	v_add_co_u32 v9, vcc_lo, 0x1000, v7
	v_and_or_b32 v1, 0xffff, v1, v62
	v_and_or_b32 v2, 0xffff, v2, v10
	;;#ASMSTART
	v_pk_mul_f16 v1, v39, v1;

	;;#ASMEND
	v_add_co_ci_u32_e64 v10, null, 0, v8, vcc_lo
	;;#ASMSTART
	v_pk_mul_f16 v2, v38, v2;

	;;#ASMEND
	;;#ASMSTART
	v_pk_mul_f16 v3, v42, v3;

	;;#ASMEND
	;; [unrolled: 4-line block ×3, first 2 shown]
	;;#ASMSTART
	v_pk_add_f16 v1, v1, v2;

	;;#ASMEND
	;;#ASMSTART
	v_pk_add_f16 v1, v1, v3;

	;;#ASMEND
	;; [unrolled: 4-line block ×3, first 2 shown]
	v_lshrrev_b32_e32 v2, 16, v1
	v_and_b32_e32 v1, 0xffff, v1
	;;#ASMSTART
	v_cvt_f32_f16 v62, v1;
	;;#ASMEND
	;;#ASMSTART
	v_cvt_f32_f16 v67, v2;
	;;#ASMEND
	global_load_dwordx4 v[1:4], v[9:10], off
	s_waitcnt vmcnt(0)
	v_lshrrev_b32_e32 v70, 16, v1
	v_lshrrev_b32_e32 v69, 16, v2
	;; [unrolled: 1-line block ×3, first 2 shown]
	s_and_saveexec_b32 s18, s1
	s_cbranch_execz .LBB80_58
; %bb.57:                               ;   in Loop: Header=BB80_39 Depth=1
	v_cmp_gt_i32_e32 vcc_lo, s30, v47
	v_and_b32_e32 v71, 0xffff0000, v4
	v_cmp_gt_i32_e64 s2, s30, v46
	v_cndmask_b32_e32 v1, 0, v1, vcc_lo
	v_cmp_gt_i32_e32 vcc_lo, s30, v49
	v_cndmask_b32_e64 v2, 0, v2, s2
	v_cmp_gt_i32_e64 s2, s30, v45
	v_cndmask_b32_e32 v70, 0, v70, vcc_lo
	v_cmp_gt_i32_e32 vcc_lo, s30, v48
	v_cndmask_b32_e64 v69, 0, v69, s2
	v_cndmask_b32_sdwa v4, v30, v4, vcc_lo dst_sel:DWORD dst_unused:UNUSED_PAD src0_sel:DWORD src1_sel:WORD_0
	v_cmp_gt_i32_e32 vcc_lo, s30, v43
	v_cndmask_b32_e32 v71, 0, v71, vcc_lo
	v_cmp_gt_i32_e32 vcc_lo, s30, v37
	v_or_b32_e32 v4, v4, v71
	v_cndmask_b32_e32 v3, 0, v3, vcc_lo
	v_cmp_gt_i32_e32 vcc_lo, s30, v36
	v_cndmask_b32_e32 v68, 0, v68, vcc_lo
.LBB80_58:                              ;   in Loop: Header=BB80_39 Depth=1
	s_or_b32 exec_lo, exec_lo, s18
	v_lshlrev_b32_e32 v70, 16, v70
	v_lshlrev_b32_e32 v69, 16, v69
	;; [unrolled: 1-line block ×3, first 2 shown]
	v_and_or_b32 v1, 0xffff, v1, v70
	v_and_or_b32 v2, 0xffff, v2, v69
	;; [unrolled: 1-line block ×3, first 2 shown]
	;;#ASMSTART
	v_pk_mul_f16 v1, v39, v1;

	;;#ASMEND
	;;#ASMSTART
	v_pk_mul_f16 v2, v38, v2;

	;;#ASMEND
	;; [unrolled: 4-line block ×4, first 2 shown]
	;;#ASMSTART
	v_pk_add_f16 v1, v1, v2;

	;;#ASMEND
	;;#ASMSTART
	v_pk_add_f16 v1, v1, v3;

	;;#ASMEND
	;; [unrolled: 4-line block ×3, first 2 shown]
	v_and_b32_e32 v2, 0xffff, v1
	v_lshrrev_b32_e32 v1, 16, v1
	;;#ASMSTART
	v_cvt_f32_f16 v68, v2;
	;;#ASMEND
	;;#ASMSTART
	v_cvt_f32_f16 v69, v1;
	;;#ASMEND
	global_load_dwordx4 v[1:4], v[9:10], off offset:512
	s_waitcnt vmcnt(0)
	v_lshrrev_b32_e32 v72, 16, v1
	v_lshrrev_b32_e32 v71, 16, v2
	;; [unrolled: 1-line block ×3, first 2 shown]
	s_and_saveexec_b32 s18, s1
	s_cbranch_execz .LBB80_60
; %bb.59:                               ;   in Loop: Header=BB80_39 Depth=1
	v_cmp_gt_i32_e32 vcc_lo, s30, v47
	v_and_b32_e32 v73, 0xffff0000, v4
	v_cmp_gt_i32_e64 s2, s30, v46
	v_cndmask_b32_e32 v1, 0, v1, vcc_lo
	v_cmp_gt_i32_e32 vcc_lo, s30, v49
	v_cndmask_b32_e64 v2, 0, v2, s2
	v_cmp_gt_i32_e64 s2, s30, v45
	v_cndmask_b32_e32 v72, 0, v72, vcc_lo
	v_cmp_gt_i32_e32 vcc_lo, s30, v48
	v_cndmask_b32_e64 v71, 0, v71, s2
	v_cndmask_b32_sdwa v4, v30, v4, vcc_lo dst_sel:DWORD dst_unused:UNUSED_PAD src0_sel:DWORD src1_sel:WORD_0
	v_cmp_gt_i32_e32 vcc_lo, s30, v43
	v_cndmask_b32_e32 v73, 0, v73, vcc_lo
	v_cmp_gt_i32_e32 vcc_lo, s30, v37
	v_or_b32_e32 v4, v4, v73
	v_cndmask_b32_e32 v3, 0, v3, vcc_lo
	v_cmp_gt_i32_e32 vcc_lo, s30, v36
	v_cndmask_b32_e32 v70, 0, v70, vcc_lo
.LBB80_60:                              ;   in Loop: Header=BB80_39 Depth=1
	s_or_b32 exec_lo, exec_lo, s18
	v_lshlrev_b32_e32 v72, 16, v72
	v_lshlrev_b32_e32 v71, 16, v71
	;; [unrolled: 1-line block ×3, first 2 shown]
	v_and_or_b32 v1, 0xffff, v1, v72
	v_and_or_b32 v2, 0xffff, v2, v71
	;; [unrolled: 1-line block ×3, first 2 shown]
	;;#ASMSTART
	v_pk_mul_f16 v1, v39, v1;

	;;#ASMEND
	;;#ASMSTART
	v_pk_mul_f16 v2, v38, v2;

	;;#ASMEND
	;; [unrolled: 4-line block ×4, first 2 shown]
	;;#ASMSTART
	v_pk_add_f16 v1, v1, v2;

	;;#ASMEND
	;;#ASMSTART
	v_pk_add_f16 v1, v1, v3;

	;;#ASMEND
	;; [unrolled: 4-line block ×3, first 2 shown]
	v_and_b32_e32 v2, 0xffff, v1
	v_lshrrev_b32_e32 v1, 16, v1
	;;#ASMSTART
	v_cvt_f32_f16 v70, v2;
	;;#ASMEND
	;;#ASMSTART
	v_cvt_f32_f16 v71, v1;
	;;#ASMEND
	global_load_dwordx4 v[1:4], v[9:10], off offset:1024
	s_waitcnt vmcnt(0)
	v_lshrrev_b32_e32 v74, 16, v1
	v_lshrrev_b32_e32 v73, 16, v2
	v_lshrrev_b32_e32 v72, 16, v3
	s_and_saveexec_b32 s18, s1
	s_cbranch_execz .LBB80_62
; %bb.61:                               ;   in Loop: Header=BB80_39 Depth=1
	v_cmp_gt_i32_e32 vcc_lo, s30, v47
	v_and_b32_e32 v75, 0xffff0000, v4
	v_cmp_gt_i32_e64 s2, s30, v46
	v_cndmask_b32_e32 v1, 0, v1, vcc_lo
	v_cmp_gt_i32_e32 vcc_lo, s30, v49
	v_cndmask_b32_e64 v2, 0, v2, s2
	v_cmp_gt_i32_e64 s2, s30, v45
	v_cndmask_b32_e32 v74, 0, v74, vcc_lo
	v_cmp_gt_i32_e32 vcc_lo, s30, v48
	v_cndmask_b32_e64 v73, 0, v73, s2
	v_cndmask_b32_sdwa v4, v30, v4, vcc_lo dst_sel:DWORD dst_unused:UNUSED_PAD src0_sel:DWORD src1_sel:WORD_0
	v_cmp_gt_i32_e32 vcc_lo, s30, v43
	v_cndmask_b32_e32 v75, 0, v75, vcc_lo
	v_cmp_gt_i32_e32 vcc_lo, s30, v37
	v_or_b32_e32 v4, v4, v75
	v_cndmask_b32_e32 v3, 0, v3, vcc_lo
	v_cmp_gt_i32_e32 vcc_lo, s30, v36
	v_cndmask_b32_e32 v72, 0, v72, vcc_lo
.LBB80_62:                              ;   in Loop: Header=BB80_39 Depth=1
	s_or_b32 exec_lo, exec_lo, s18
	v_lshlrev_b32_e32 v74, 16, v74
	v_lshlrev_b32_e32 v73, 16, v73
	;; [unrolled: 1-line block ×3, first 2 shown]
	v_and_or_b32 v1, 0xffff, v1, v74
	v_and_or_b32 v2, 0xffff, v2, v73
	;; [unrolled: 1-line block ×3, first 2 shown]
	;;#ASMSTART
	v_pk_mul_f16 v1, v39, v1;

	;;#ASMEND
	;;#ASMSTART
	v_pk_mul_f16 v2, v38, v2;

	;;#ASMEND
	;; [unrolled: 4-line block ×4, first 2 shown]
	;;#ASMSTART
	v_pk_add_f16 v1, v1, v2;

	;;#ASMEND
	;;#ASMSTART
	v_pk_add_f16 v1, v1, v3;

	;;#ASMEND
	;;#ASMSTART
	v_pk_add_f16 v1, v1, v4;

	;;#ASMEND
	v_and_b32_e32 v2, 0xffff, v1
	v_lshrrev_b32_e32 v1, 16, v1
	;;#ASMSTART
	v_cvt_f32_f16 v72, v2;
	;;#ASMEND
	;;#ASMSTART
	v_cvt_f32_f16 v73, v1;
	;;#ASMEND
	global_load_dwordx4 v[1:4], v[9:10], off offset:1536
	s_waitcnt vmcnt(0)
	v_lshrrev_b32_e32 v74, 16, v1
	v_lshrrev_b32_e32 v10, 16, v2
	;; [unrolled: 1-line block ×3, first 2 shown]
	s_and_saveexec_b32 s18, s1
	s_cbranch_execz .LBB80_64
; %bb.63:                               ;   in Loop: Header=BB80_39 Depth=1
	v_cmp_gt_i32_e32 vcc_lo, s30, v47
	v_and_b32_e32 v75, 0xffff0000, v4
	v_cmp_gt_i32_e64 s2, s30, v46
	v_cndmask_b32_e32 v1, 0, v1, vcc_lo
	v_cmp_gt_i32_e32 vcc_lo, s30, v49
	v_cndmask_b32_e64 v2, 0, v2, s2
	v_cmp_gt_i32_e64 s2, s30, v45
	v_cndmask_b32_e32 v74, 0, v74, vcc_lo
	v_cmp_gt_i32_e32 vcc_lo, s30, v48
	v_cndmask_b32_e64 v10, 0, v10, s2
	v_cndmask_b32_sdwa v4, v30, v4, vcc_lo dst_sel:DWORD dst_unused:UNUSED_PAD src0_sel:DWORD src1_sel:WORD_0
	v_cmp_gt_i32_e32 vcc_lo, s30, v43
	v_cndmask_b32_e32 v75, 0, v75, vcc_lo
	v_cmp_gt_i32_e32 vcc_lo, s30, v37
	v_or_b32_e32 v4, v4, v75
	v_cndmask_b32_e32 v3, 0, v3, vcc_lo
	v_cmp_gt_i32_e32 vcc_lo, s30, v36
	v_cndmask_b32_e32 v9, 0, v9, vcc_lo
.LBB80_64:                              ;   in Loop: Header=BB80_39 Depth=1
	s_or_b32 exec_lo, exec_lo, s18
	v_lshlrev_b32_e32 v74, 16, v74
	v_lshlrev_b32_e32 v10, 16, v10
	;; [unrolled: 1-line block ×3, first 2 shown]
	v_add_co_u32 v7, vcc_lo, 0x1800, v7
	v_and_or_b32 v1, 0xffff, v1, v74
	v_and_or_b32 v2, 0xffff, v2, v10
	;; [unrolled: 1-line block ×3, first 2 shown]
	;;#ASMSTART
	v_pk_mul_f16 v1, v39, v1;

	;;#ASMEND
	v_add_co_ci_u32_e64 v8, null, 0, v8, vcc_lo
	;;#ASMSTART
	v_pk_mul_f16 v2, v38, v2;

	;;#ASMEND
	;;#ASMSTART
	v_pk_mul_f16 v3, v42, v3;

	;;#ASMEND
	;; [unrolled: 4-line block ×3, first 2 shown]
	;;#ASMSTART
	v_pk_add_f16 v1, v1, v2;

	;;#ASMEND
	;;#ASMSTART
	v_pk_add_f16 v1, v1, v3;

	;;#ASMEND
	;; [unrolled: 4-line block ×3, first 2 shown]
	v_lshrrev_b32_e32 v2, 16, v1
	v_and_b32_e32 v1, 0xffff, v1
	;;#ASMSTART
	v_cvt_f32_f16 v9, v1;
	;;#ASMEND
	;;#ASMSTART
	v_cvt_f32_f16 v10, v2;
	;;#ASMEND
	global_load_dwordx4 v[1:4], v[7:8], off
	s_waitcnt vmcnt(0)
	v_lshrrev_b32_e32 v76, 16, v1
	v_lshrrev_b32_e32 v75, 16, v2
	;; [unrolled: 1-line block ×3, first 2 shown]
	s_and_saveexec_b32 s18, s1
	s_cbranch_execz .LBB80_66
; %bb.65:                               ;   in Loop: Header=BB80_39 Depth=1
	v_cmp_gt_i32_e32 vcc_lo, s30, v47
	v_and_b32_e32 v77, 0xffff0000, v4
	v_cmp_gt_i32_e64 s2, s30, v46
	v_cndmask_b32_e32 v1, 0, v1, vcc_lo
	v_cmp_gt_i32_e32 vcc_lo, s30, v49
	v_cndmask_b32_e64 v2, 0, v2, s2
	v_cmp_gt_i32_e64 s2, s30, v45
	v_cndmask_b32_e32 v76, 0, v76, vcc_lo
	v_cmp_gt_i32_e32 vcc_lo, s30, v48
	v_cndmask_b32_e64 v75, 0, v75, s2
	v_cndmask_b32_sdwa v4, v30, v4, vcc_lo dst_sel:DWORD dst_unused:UNUSED_PAD src0_sel:DWORD src1_sel:WORD_0
	v_cmp_gt_i32_e32 vcc_lo, s30, v43
	v_cndmask_b32_e32 v77, 0, v77, vcc_lo
	v_cmp_gt_i32_e32 vcc_lo, s30, v37
	v_or_b32_e32 v4, v4, v77
	v_cndmask_b32_e32 v3, 0, v3, vcc_lo
	v_cmp_gt_i32_e32 vcc_lo, s30, v36
	v_cndmask_b32_e32 v74, 0, v74, vcc_lo
.LBB80_66:                              ;   in Loop: Header=BB80_39 Depth=1
	s_or_b32 exec_lo, exec_lo, s18
	v_lshlrev_b32_e32 v76, 16, v76
	v_lshlrev_b32_e32 v75, 16, v75
	;; [unrolled: 1-line block ×3, first 2 shown]
	v_and_or_b32 v1, 0xffff, v1, v76
	v_and_or_b32 v2, 0xffff, v2, v75
	;; [unrolled: 1-line block ×3, first 2 shown]
	;;#ASMSTART
	v_pk_mul_f16 v1, v39, v1;

	;;#ASMEND
	;;#ASMSTART
	v_pk_mul_f16 v2, v38, v2;

	;;#ASMEND
	;; [unrolled: 4-line block ×4, first 2 shown]
	;;#ASMSTART
	v_pk_add_f16 v1, v1, v2;

	;;#ASMEND
	;;#ASMSTART
	v_pk_add_f16 v1, v1, v3;

	;;#ASMEND
	;;#ASMSTART
	v_pk_add_f16 v1, v1, v4;

	;;#ASMEND
	v_and_b32_e32 v2, 0xffff, v1
	v_lshrrev_b32_e32 v1, 16, v1
	;;#ASMSTART
	v_cvt_f32_f16 v74, v2;
	;;#ASMEND
	;;#ASMSTART
	v_cvt_f32_f16 v75, v1;
	;;#ASMEND
	global_load_dwordx4 v[1:4], v[7:8], off offset:512
	s_waitcnt vmcnt(0)
	v_lshrrev_b32_e32 v78, 16, v1
	v_lshrrev_b32_e32 v77, 16, v2
	;; [unrolled: 1-line block ×3, first 2 shown]
	s_and_saveexec_b32 s18, s1
	s_cbranch_execz .LBB80_68
; %bb.67:                               ;   in Loop: Header=BB80_39 Depth=1
	v_cmp_gt_i32_e32 vcc_lo, s30, v47
	v_and_b32_e32 v79, 0xffff0000, v4
	v_cmp_gt_i32_e64 s2, s30, v46
	v_cndmask_b32_e32 v1, 0, v1, vcc_lo
	v_cmp_gt_i32_e32 vcc_lo, s30, v49
	v_cndmask_b32_e64 v2, 0, v2, s2
	v_cmp_gt_i32_e64 s2, s30, v45
	v_cndmask_b32_e32 v78, 0, v78, vcc_lo
	v_cmp_gt_i32_e32 vcc_lo, s30, v48
	v_cndmask_b32_e64 v77, 0, v77, s2
	v_cndmask_b32_sdwa v4, v30, v4, vcc_lo dst_sel:DWORD dst_unused:UNUSED_PAD src0_sel:DWORD src1_sel:WORD_0
	v_cmp_gt_i32_e32 vcc_lo, s30, v43
	v_cndmask_b32_e32 v79, 0, v79, vcc_lo
	v_cmp_gt_i32_e32 vcc_lo, s30, v37
	v_or_b32_e32 v4, v4, v79
	v_cndmask_b32_e32 v3, 0, v3, vcc_lo
	v_cmp_gt_i32_e32 vcc_lo, s30, v36
	v_cndmask_b32_e32 v76, 0, v76, vcc_lo
.LBB80_68:                              ;   in Loop: Header=BB80_39 Depth=1
	s_or_b32 exec_lo, exec_lo, s18
	v_lshlrev_b32_e32 v78, 16, v78
	v_lshlrev_b32_e32 v77, 16, v77
	;; [unrolled: 1-line block ×3, first 2 shown]
	v_and_or_b32 v1, 0xffff, v1, v78
	v_and_or_b32 v2, 0xffff, v2, v77
	;; [unrolled: 1-line block ×3, first 2 shown]
	;;#ASMSTART
	v_pk_mul_f16 v1, v39, v1;

	;;#ASMEND
	;;#ASMSTART
	v_pk_mul_f16 v2, v38, v2;

	;;#ASMEND
	;; [unrolled: 4-line block ×4, first 2 shown]
	;;#ASMSTART
	v_pk_add_f16 v1, v1, v2;

	;;#ASMEND
	;;#ASMSTART
	v_pk_add_f16 v1, v1, v3;

	;;#ASMEND
	;; [unrolled: 4-line block ×3, first 2 shown]
	v_and_b32_e32 v2, 0xffff, v1
	v_lshrrev_b32_e32 v1, 16, v1
	;;#ASMSTART
	v_cvt_f32_f16 v76, v2;
	;;#ASMEND
	;;#ASMSTART
	v_cvt_f32_f16 v77, v1;
	;;#ASMEND
	global_load_dwordx4 v[1:4], v[7:8], off offset:1024
	s_waitcnt vmcnt(0)
	v_lshrrev_b32_e32 v80, 16, v1
	v_lshrrev_b32_e32 v79, 16, v2
	v_lshrrev_b32_e32 v78, 16, v3
	s_and_saveexec_b32 s18, s1
	s_cbranch_execz .LBB80_70
; %bb.69:                               ;   in Loop: Header=BB80_39 Depth=1
	v_cmp_gt_i32_e32 vcc_lo, s30, v47
	v_and_b32_e32 v81, 0xffff0000, v4
	v_cmp_gt_i32_e64 s2, s30, v46
	v_cndmask_b32_e32 v1, 0, v1, vcc_lo
	v_cmp_gt_i32_e32 vcc_lo, s30, v49
	v_cndmask_b32_e64 v2, 0, v2, s2
	v_cmp_gt_i32_e64 s2, s30, v45
	v_cndmask_b32_e32 v80, 0, v80, vcc_lo
	v_cmp_gt_i32_e32 vcc_lo, s30, v48
	v_cndmask_b32_e64 v79, 0, v79, s2
	v_cndmask_b32_sdwa v4, v30, v4, vcc_lo dst_sel:DWORD dst_unused:UNUSED_PAD src0_sel:DWORD src1_sel:WORD_0
	v_cmp_gt_i32_e32 vcc_lo, s30, v43
	v_cndmask_b32_e32 v81, 0, v81, vcc_lo
	v_cmp_gt_i32_e32 vcc_lo, s30, v37
	v_or_b32_e32 v4, v4, v81
	v_cndmask_b32_e32 v3, 0, v3, vcc_lo
	v_cmp_gt_i32_e32 vcc_lo, s30, v36
	v_cndmask_b32_e32 v78, 0, v78, vcc_lo
.LBB80_70:                              ;   in Loop: Header=BB80_39 Depth=1
	s_or_b32 exec_lo, exec_lo, s18
	v_lshlrev_b32_e32 v80, 16, v80
	v_lshlrev_b32_e32 v79, 16, v79
	;; [unrolled: 1-line block ×3, first 2 shown]
	v_and_or_b32 v1, 0xffff, v1, v80
	v_and_or_b32 v2, 0xffff, v2, v79
	;; [unrolled: 1-line block ×3, first 2 shown]
	;;#ASMSTART
	v_pk_mul_f16 v1, v39, v1;

	;;#ASMEND
	;;#ASMSTART
	v_pk_mul_f16 v2, v38, v2;

	;;#ASMEND
	;; [unrolled: 4-line block ×4, first 2 shown]
	;;#ASMSTART
	v_pk_add_f16 v1, v1, v2;

	;;#ASMEND
	;;#ASMSTART
	v_pk_add_f16 v1, v1, v3;

	;;#ASMEND
	;; [unrolled: 4-line block ×3, first 2 shown]
	v_and_b32_e32 v2, 0xffff, v1
	v_lshrrev_b32_e32 v1, 16, v1
	;;#ASMSTART
	v_cvt_f32_f16 v79, v2;
	;;#ASMEND
	;;#ASMSTART
	v_cvt_f32_f16 v80, v1;
	;;#ASMEND
	global_load_dwordx4 v[1:4], v[7:8], off offset:1536
	s_waitcnt vmcnt(0)
	v_lshrrev_b32_e32 v78, 16, v1
	v_lshrrev_b32_e32 v8, 16, v2
	;; [unrolled: 1-line block ×3, first 2 shown]
	s_and_saveexec_b32 s2, s1
	s_cbranch_execz .LBB80_37
; %bb.71:                               ;   in Loop: Header=BB80_39 Depth=1
	v_cmp_gt_i32_e32 vcc_lo, s30, v47
	v_cmp_gt_i32_e64 s1, s30, v46
	v_cndmask_b32_e32 v1, 0, v1, vcc_lo
	v_cmp_gt_i32_e32 vcc_lo, s30, v49
	v_cndmask_b32_e64 v2, 0, v2, s1
	v_cmp_gt_i32_e64 s1, s30, v45
	v_and_b32_e32 v45, 0xffff0000, v4
	v_cndmask_b32_e32 v78, 0, v78, vcc_lo
	v_cmp_gt_i32_e32 vcc_lo, s30, v48
	v_cndmask_b32_e64 v8, 0, v8, s1
	v_cndmask_b32_sdwa v4, v30, v4, vcc_lo dst_sel:DWORD dst_unused:UNUSED_PAD src0_sel:DWORD src1_sel:WORD_0
	v_cmp_gt_i32_e32 vcc_lo, s30, v43
	v_cndmask_b32_e32 v43, 0, v45, vcc_lo
	v_cmp_gt_i32_e32 vcc_lo, s30, v37
	v_or_b32_e32 v4, v4, v43
	v_cndmask_b32_e32 v3, 0, v3, vcc_lo
	v_cmp_gt_i32_e32 vcc_lo, s30, v36
	v_cndmask_b32_e32 v7, 0, v7, vcc_lo
	s_branch .LBB80_37
.LBB80_72:
	s_or_b32 exec_lo, exec_lo, s13
.LBB80_73:
	s_or_b32 exec_lo, exec_lo, s3
	ds_bpermute_b32 v1, v12, v28
	ds_bpermute_b32 v2, v12, v27
	;; [unrolled: 1-line block ×16, first 2 shown]
	v_lshrrev_b32_e32 v11, 1, v11
	s_mov_b32 s1, exec_lo
	s_waitcnt lgkmcnt(0)
	s_barrier
	v_add_f32_e32 v28, v28, v1
	v_add_f32_e32 v27, v27, v2
	;; [unrolled: 1-line block ×14, first 2 shown]
	v_and_b32_e32 v15, 0x3c1, v0
	v_add_f32_e32 v6, v14, v35
	v_add_f32_e32 v3, v13, v36
	v_lshl_add_u32 v13, v11, 2, 0x220
	v_lshlrev_b32_e32 v14, 10, v65
	buffer_gl0_inv
	v_cmpx_eq_u32_e32 64, v15
	s_cbranch_execz .LBB80_75
; %bb.74:
	v_add_nc_u32_e32 v15, v13, v14
	v_add_nc_u32_e32 v16, 0xfffff800, v15
	;; [unrolled: 1-line block ×7, first 2 shown]
	ds_write_b32 v16, v28
	ds_write_b32 v17, v27
	;; [unrolled: 1-line block ×6, first 2 shown]
	v_add_nc_u32_e32 v16, 0xfffff980, v15
	v_add_nc_u32_e32 v17, 0xfffff9c0, v15
	;; [unrolled: 1-line block ×5, first 2 shown]
	ds_write_b32 v16, v10
	ds_write_b32 v17, v9
	;; [unrolled: 1-line block ×5, first 2 shown]
	v_add_nc_u32_e32 v16, 0xfffffac0, v15
	v_add_nc_u32_e32 v17, 0xfffffb00, v15
	;; [unrolled: 1-line block ×5, first 2 shown]
	ds_write_b32 v16, v2
	ds_write_b32 v17, v1
	;; [unrolled: 1-line block ×5, first 2 shown]
.LBB80_75:
	s_or_b32 exec_lo, exec_lo, s1
	v_lshlrev_b32_e32 v11, 2, v11
	v_cmp_eq_u32_e32 vcc_lo, 0, v64
	s_waitcnt lgkmcnt(0)
	s_barrier
	buffer_gl0_inv
	v_add3_u32 v11, 0x220, v14, v11
	s_and_saveexec_b32 s1, s0
	s_cbranch_execz .LBB80_94
; %bb.76:
	s_and_saveexec_b32 s0, vcc_lo
	s_cbranch_execnz .LBB80_118
; %bb.77:
	s_or_b32 exec_lo, exec_lo, s0
	s_and_saveexec_b32 s0, vcc_lo
	s_cbranch_execnz .LBB80_119
.LBB80_78:
	s_or_b32 exec_lo, exec_lo, s0
	s_and_saveexec_b32 s0, vcc_lo
	s_cbranch_execnz .LBB80_120
.LBB80_79:
	s_or_b32 exec_lo, exec_lo, s0
	s_and_saveexec_b32 s0, vcc_lo
	s_cbranch_execnz .LBB80_121
.LBB80_80:
	s_or_b32 exec_lo, exec_lo, s0
	s_and_saveexec_b32 s0, vcc_lo
	s_cbranch_execnz .LBB80_122
.LBB80_81:
	s_or_b32 exec_lo, exec_lo, s0
	s_and_saveexec_b32 s0, vcc_lo
	s_cbranch_execnz .LBB80_123
.LBB80_82:
	s_or_b32 exec_lo, exec_lo, s0
	s_and_saveexec_b32 s0, vcc_lo
	s_cbranch_execnz .LBB80_124
.LBB80_83:
	s_or_b32 exec_lo, exec_lo, s0
	s_and_saveexec_b32 s0, vcc_lo
	s_cbranch_execnz .LBB80_125
.LBB80_84:
	s_or_b32 exec_lo, exec_lo, s0
	s_and_saveexec_b32 s0, vcc_lo
	s_cbranch_execnz .LBB80_126
.LBB80_85:
	s_or_b32 exec_lo, exec_lo, s0
	s_and_saveexec_b32 s0, vcc_lo
	s_cbranch_execnz .LBB80_127
.LBB80_86:
	s_or_b32 exec_lo, exec_lo, s0
	s_and_saveexec_b32 s0, vcc_lo
	s_cbranch_execnz .LBB80_128
.LBB80_87:
	s_or_b32 exec_lo, exec_lo, s0
	s_and_saveexec_b32 s0, vcc_lo
	s_cbranch_execnz .LBB80_129
.LBB80_88:
	s_or_b32 exec_lo, exec_lo, s0
	s_and_saveexec_b32 s0, vcc_lo
	s_cbranch_execnz .LBB80_130
.LBB80_89:
	s_or_b32 exec_lo, exec_lo, s0
	s_and_saveexec_b32 s0, vcc_lo
	s_cbranch_execnz .LBB80_131
.LBB80_90:
	s_or_b32 exec_lo, exec_lo, s0
	s_and_saveexec_b32 s0, vcc_lo
	s_cbranch_execnz .LBB80_132
.LBB80_91:
	s_or_b32 exec_lo, exec_lo, s0
	s_and_saveexec_b32 s0, vcc_lo
	s_cbranch_execz .LBB80_93
.LBB80_92:
	ds_read_b32 v14, v11 offset:960
	s_waitcnt lgkmcnt(0)
	v_add_f32_e32 v3, v3, v14
.LBB80_93:
	s_or_b32 exec_lo, exec_lo, s0
.LBB80_94:
	s_or_b32 exec_lo, exec_lo, s1
	v_and_b32_e32 v14, 0x3e1, v0
	s_mov_b32 s1, exec_lo
	s_barrier
	buffer_gl0_inv
	v_cmpx_eq_u32_e32 32, v14
	s_cbranch_execz .LBB80_96
; %bb.95:
	ds_write2_b32 v13, v28, v27 offset1:16
	ds_write2_b32 v13, v26, v25 offset0:32 offset1:48
	ds_write2_b32 v13, v24, v12 offset0:64 offset1:80
	;; [unrolled: 1-line block ×7, first 2 shown]
.LBB80_96:
	s_or_b32 exec_lo, exec_lo, s1
	s_mov_b32 s1, exec_lo
	s_waitcnt lgkmcnt(0)
	s_barrier
	buffer_gl0_inv
	v_cmpx_gt_u32_e32 32, v0
	s_cbranch_execz .LBB80_115
; %bb.97:
	s_and_saveexec_b32 s0, vcc_lo
	s_cbranch_execnz .LBB80_133
; %bb.98:
	s_or_b32 exec_lo, exec_lo, s0
	s_and_saveexec_b32 s0, vcc_lo
	s_cbranch_execnz .LBB80_134
.LBB80_99:
	s_or_b32 exec_lo, exec_lo, s0
	s_and_saveexec_b32 s0, vcc_lo
	s_cbranch_execnz .LBB80_135
.LBB80_100:
	s_or_b32 exec_lo, exec_lo, s0
	s_and_saveexec_b32 s0, vcc_lo
	s_cbranch_execnz .LBB80_136
.LBB80_101:
	s_or_b32 exec_lo, exec_lo, s0
	s_and_saveexec_b32 s0, vcc_lo
	s_cbranch_execnz .LBB80_137
.LBB80_102:
	s_or_b32 exec_lo, exec_lo, s0
	s_and_saveexec_b32 s0, vcc_lo
	s_cbranch_execnz .LBB80_138
.LBB80_103:
	s_or_b32 exec_lo, exec_lo, s0
	s_and_saveexec_b32 s0, vcc_lo
	s_cbranch_execnz .LBB80_139
.LBB80_104:
	s_or_b32 exec_lo, exec_lo, s0
	s_and_saveexec_b32 s0, vcc_lo
	s_cbranch_execnz .LBB80_140
.LBB80_105:
	s_or_b32 exec_lo, exec_lo, s0
	s_and_saveexec_b32 s0, vcc_lo
	s_cbranch_execnz .LBB80_141
.LBB80_106:
	s_or_b32 exec_lo, exec_lo, s0
	s_and_saveexec_b32 s0, vcc_lo
	s_cbranch_execnz .LBB80_142
.LBB80_107:
	s_or_b32 exec_lo, exec_lo, s0
	s_and_saveexec_b32 s0, vcc_lo
	s_cbranch_execnz .LBB80_143
.LBB80_108:
	s_or_b32 exec_lo, exec_lo, s0
	s_and_saveexec_b32 s0, vcc_lo
	s_cbranch_execnz .LBB80_144
.LBB80_109:
	s_or_b32 exec_lo, exec_lo, s0
	s_and_saveexec_b32 s0, vcc_lo
	s_cbranch_execnz .LBB80_145
.LBB80_110:
	s_or_b32 exec_lo, exec_lo, s0
	s_and_saveexec_b32 s0, vcc_lo
	s_cbranch_execnz .LBB80_146
.LBB80_111:
	s_or_b32 exec_lo, exec_lo, s0
	s_and_saveexec_b32 s0, vcc_lo
	s_cbranch_execnz .LBB80_147
.LBB80_112:
	s_or_b32 exec_lo, exec_lo, s0
	s_and_saveexec_b32 s0, vcc_lo
	s_cbranch_execz .LBB80_114
.LBB80_113:
	ds_read_b32 v0, v11 offset:960
	s_waitcnt lgkmcnt(0)
	v_add_f32_e32 v3, v3, v0
.LBB80_114:
	s_or_b32 exec_lo, exec_lo, s0
.LBB80_115:
	s_or_b32 exec_lo, exec_lo, s1
	s_barrier
	buffer_gl0_inv
	s_mov_b32 s0, exec_lo
	v_cmpx_eq_u32_e32 0, v14
	s_cbranch_execz .LBB80_117
; %bb.116:
	s_mul_i32 s0, s10, s11
	s_mul_i32 s2, s11, s20
	;; [unrolled: 1-line block ×3, first 2 shown]
	v_lshlrev_b32_e32 v0, 1, v63
	s_lshl_b32 s0, s0, 8
	;;#ASMSTART
	v_cvt_f16_f32 v11, v28;

	;;#ASMEND
	s_ashr_i32 s1, s0, 31
	s_lshl_b64 s[0:1], s[0:1], 1
	s_add_u32 s4, s6, s0
	s_addc_u32 s5, s7, s1
	s_ashr_i32 s3, s2, 31
	s_lshl_b64 s[0:1], s[2:3], 1
	s_add_u32 s2, s4, s0
	s_addc_u32 s3, s5, s1
	s_lshl_b32 s0, s8, 8
	s_ashr_i32 s1, s0, 31
	s_lshl_b64 s[0:1], s[0:1], 1
	s_add_u32 s0, s2, s0
	s_addc_u32 s1, s3, s1
	global_store_short v0, v11, s[0:1]
	;;#ASMSTART
	v_cvt_f16_f32 v11, v27;

	;;#ASMEND
	global_store_short v0, v11, s[0:1] offset:32
	;;#ASMSTART
	v_cvt_f16_f32 v11, v26;

	;;#ASMEND
	global_store_short v0, v11, s[0:1] offset:64
	;; [unrolled: 5-line block ×15, first 2 shown]
.LBB80_117:
	s_endpgm
.LBB80_118:
	ds_read_b32 v14, v11
	s_waitcnt lgkmcnt(0)
	v_add_f32_e32 v28, v28, v14
	s_or_b32 exec_lo, exec_lo, s0
	s_and_saveexec_b32 s0, vcc_lo
	s_cbranch_execz .LBB80_78
.LBB80_119:
	ds_read_b32 v14, v11 offset:64
	s_waitcnt lgkmcnt(0)
	v_add_f32_e32 v27, v27, v14
	s_or_b32 exec_lo, exec_lo, s0
	s_and_saveexec_b32 s0, vcc_lo
	s_cbranch_execz .LBB80_79
.LBB80_120:
	ds_read_b32 v14, v11 offset:128
	s_waitcnt lgkmcnt(0)
	v_add_f32_e32 v26, v26, v14
	s_or_b32 exec_lo, exec_lo, s0
	s_and_saveexec_b32 s0, vcc_lo
	s_cbranch_execz .LBB80_80
.LBB80_121:
	ds_read_b32 v14, v11 offset:192
	s_waitcnt lgkmcnt(0)
	v_add_f32_e32 v25, v25, v14
	s_or_b32 exec_lo, exec_lo, s0
	s_and_saveexec_b32 s0, vcc_lo
	s_cbranch_execz .LBB80_81
.LBB80_122:
	ds_read_b32 v14, v11 offset:256
	s_waitcnt lgkmcnt(0)
	v_add_f32_e32 v24, v24, v14
	s_or_b32 exec_lo, exec_lo, s0
	s_and_saveexec_b32 s0, vcc_lo
	s_cbranch_execz .LBB80_82
.LBB80_123:
	ds_read_b32 v14, v11 offset:320
	s_waitcnt lgkmcnt(0)
	v_add_f32_e32 v12, v12, v14
	s_or_b32 exec_lo, exec_lo, s0
	s_and_saveexec_b32 s0, vcc_lo
	s_cbranch_execz .LBB80_83
.LBB80_124:
	ds_read_b32 v14, v11 offset:384
	s_waitcnt lgkmcnt(0)
	v_add_f32_e32 v10, v10, v14
	s_or_b32 exec_lo, exec_lo, s0
	s_and_saveexec_b32 s0, vcc_lo
	s_cbranch_execz .LBB80_84
.LBB80_125:
	ds_read_b32 v14, v11 offset:448
	s_waitcnt lgkmcnt(0)
	v_add_f32_e32 v9, v9, v14
	s_or_b32 exec_lo, exec_lo, s0
	s_and_saveexec_b32 s0, vcc_lo
	s_cbranch_execz .LBB80_85
.LBB80_126:
	ds_read_b32 v14, v11 offset:512
	s_waitcnt lgkmcnt(0)
	v_add_f32_e32 v8, v8, v14
	s_or_b32 exec_lo, exec_lo, s0
	s_and_saveexec_b32 s0, vcc_lo
	s_cbranch_execz .LBB80_86
.LBB80_127:
	ds_read_b32 v14, v11 offset:576
	s_waitcnt lgkmcnt(0)
	v_add_f32_e32 v7, v7, v14
	s_or_b32 exec_lo, exec_lo, s0
	s_and_saveexec_b32 s0, vcc_lo
	s_cbranch_execz .LBB80_87
.LBB80_128:
	ds_read_b32 v14, v11 offset:640
	s_waitcnt lgkmcnt(0)
	v_add_f32_e32 v5, v5, v14
	s_or_b32 exec_lo, exec_lo, s0
	s_and_saveexec_b32 s0, vcc_lo
	s_cbranch_execz .LBB80_88
.LBB80_129:
	ds_read_b32 v14, v11 offset:704
	s_waitcnt lgkmcnt(0)
	v_add_f32_e32 v2, v2, v14
	s_or_b32 exec_lo, exec_lo, s0
	s_and_saveexec_b32 s0, vcc_lo
	s_cbranch_execz .LBB80_89
.LBB80_130:
	ds_read_b32 v14, v11 offset:768
	s_waitcnt lgkmcnt(0)
	v_add_f32_e32 v1, v1, v14
	s_or_b32 exec_lo, exec_lo, s0
	s_and_saveexec_b32 s0, vcc_lo
	s_cbranch_execz .LBB80_90
.LBB80_131:
	ds_read_b32 v14, v11 offset:832
	s_waitcnt lgkmcnt(0)
	v_add_f32_e32 v4, v4, v14
	s_or_b32 exec_lo, exec_lo, s0
	s_and_saveexec_b32 s0, vcc_lo
	s_cbranch_execz .LBB80_91
.LBB80_132:
	ds_read_b32 v14, v11 offset:896
	s_waitcnt lgkmcnt(0)
	v_add_f32_e32 v6, v6, v14
	s_or_b32 exec_lo, exec_lo, s0
	s_and_saveexec_b32 s0, vcc_lo
	s_cbranch_execnz .LBB80_92
	s_branch .LBB80_93
.LBB80_133:
	ds_read_b32 v0, v11
	s_waitcnt lgkmcnt(0)
	v_add_f32_e32 v28, v28, v0
	s_or_b32 exec_lo, exec_lo, s0
	s_and_saveexec_b32 s0, vcc_lo
	s_cbranch_execz .LBB80_99
.LBB80_134:
	ds_read_b32 v0, v11 offset:64
	s_waitcnt lgkmcnt(0)
	v_add_f32_e32 v27, v27, v0
	s_or_b32 exec_lo, exec_lo, s0
	s_and_saveexec_b32 s0, vcc_lo
	s_cbranch_execz .LBB80_100
.LBB80_135:
	ds_read_b32 v0, v11 offset:128
	s_waitcnt lgkmcnt(0)
	v_add_f32_e32 v26, v26, v0
	s_or_b32 exec_lo, exec_lo, s0
	s_and_saveexec_b32 s0, vcc_lo
	s_cbranch_execz .LBB80_101
.LBB80_136:
	ds_read_b32 v0, v11 offset:192
	s_waitcnt lgkmcnt(0)
	v_add_f32_e32 v25, v25, v0
	s_or_b32 exec_lo, exec_lo, s0
	s_and_saveexec_b32 s0, vcc_lo
	s_cbranch_execz .LBB80_102
.LBB80_137:
	ds_read_b32 v0, v11 offset:256
	s_waitcnt lgkmcnt(0)
	v_add_f32_e32 v24, v24, v0
	s_or_b32 exec_lo, exec_lo, s0
	s_and_saveexec_b32 s0, vcc_lo
	s_cbranch_execz .LBB80_103
.LBB80_138:
	ds_read_b32 v0, v11 offset:320
	s_waitcnt lgkmcnt(0)
	v_add_f32_e32 v12, v12, v0
	s_or_b32 exec_lo, exec_lo, s0
	s_and_saveexec_b32 s0, vcc_lo
	s_cbranch_execz .LBB80_104
.LBB80_139:
	ds_read_b32 v0, v11 offset:384
	s_waitcnt lgkmcnt(0)
	v_add_f32_e32 v10, v10, v0
	s_or_b32 exec_lo, exec_lo, s0
	s_and_saveexec_b32 s0, vcc_lo
	s_cbranch_execz .LBB80_105
.LBB80_140:
	ds_read_b32 v0, v11 offset:448
	s_waitcnt lgkmcnt(0)
	v_add_f32_e32 v9, v9, v0
	s_or_b32 exec_lo, exec_lo, s0
	s_and_saveexec_b32 s0, vcc_lo
	s_cbranch_execz .LBB80_106
.LBB80_141:
	ds_read_b32 v0, v11 offset:512
	s_waitcnt lgkmcnt(0)
	v_add_f32_e32 v8, v8, v0
	s_or_b32 exec_lo, exec_lo, s0
	s_and_saveexec_b32 s0, vcc_lo
	s_cbranch_execz .LBB80_107
.LBB80_142:
	ds_read_b32 v0, v11 offset:576
	s_waitcnt lgkmcnt(0)
	v_add_f32_e32 v7, v7, v0
	s_or_b32 exec_lo, exec_lo, s0
	s_and_saveexec_b32 s0, vcc_lo
	s_cbranch_execz .LBB80_108
.LBB80_143:
	ds_read_b32 v0, v11 offset:640
	s_waitcnt lgkmcnt(0)
	v_add_f32_e32 v5, v5, v0
	s_or_b32 exec_lo, exec_lo, s0
	s_and_saveexec_b32 s0, vcc_lo
	s_cbranch_execz .LBB80_109
.LBB80_144:
	ds_read_b32 v0, v11 offset:704
	s_waitcnt lgkmcnt(0)
	v_add_f32_e32 v2, v2, v0
	s_or_b32 exec_lo, exec_lo, s0
	s_and_saveexec_b32 s0, vcc_lo
	s_cbranch_execz .LBB80_110
.LBB80_145:
	ds_read_b32 v0, v11 offset:768
	s_waitcnt lgkmcnt(0)
	v_add_f32_e32 v1, v1, v0
	s_or_b32 exec_lo, exec_lo, s0
	s_and_saveexec_b32 s0, vcc_lo
	s_cbranch_execz .LBB80_111
.LBB80_146:
	ds_read_b32 v0, v11 offset:832
	s_waitcnt lgkmcnt(0)
	v_add_f32_e32 v4, v4, v0
	s_or_b32 exec_lo, exec_lo, s0
	s_and_saveexec_b32 s0, vcc_lo
	s_cbranch_execz .LBB80_112
.LBB80_147:
	ds_read_b32 v0, v11 offset:896
	s_waitcnt lgkmcnt(0)
	v_add_f32_e32 v6, v6, v0
	s_or_b32 exec_lo, exec_lo, s0
	s_and_saveexec_b32 s0, vcc_lo
	s_cbranch_execnz .LBB80_113
	s_branch .LBB80_114
	.section	.rodata,"a",@progbits
	.p2align	6, 0x0
	.amdhsa_kernel _ZN4vllm25paged_attention_v1_kernelIttLi256ELi16ELi128ELNS_18Fp8KVCacheDataTypeE0ELb1EEEvPT_PKS2_PKT0_S8_ifPKiSA_iPKfiiiSC_SC_iiiii
		.amdhsa_group_segment_fixed_size 544
		.amdhsa_private_segment_fixed_size 0
		.amdhsa_kernarg_size 384
		.amdhsa_user_sgpr_count 6
		.amdhsa_user_sgpr_private_segment_buffer 1
		.amdhsa_user_sgpr_dispatch_ptr 0
		.amdhsa_user_sgpr_queue_ptr 0
		.amdhsa_user_sgpr_kernarg_segment_ptr 1
		.amdhsa_user_sgpr_dispatch_id 0
		.amdhsa_user_sgpr_flat_scratch_init 0
		.amdhsa_user_sgpr_private_segment_size 0
		.amdhsa_wavefront_size32 1
		.amdhsa_uses_dynamic_stack 0
		.amdhsa_system_sgpr_private_segment_wavefront_offset 0
		.amdhsa_system_sgpr_workgroup_id_x 1
		.amdhsa_system_sgpr_workgroup_id_y 1
		.amdhsa_system_sgpr_workgroup_id_z 1
		.amdhsa_system_sgpr_workgroup_info 0
		.amdhsa_system_vgpr_workitem_id 0
		.amdhsa_next_free_vgpr 127
		.amdhsa_next_free_sgpr 38
		.amdhsa_reserve_vcc 1
		.amdhsa_reserve_flat_scratch 0
		.amdhsa_float_round_mode_32 0
		.amdhsa_float_round_mode_16_64 0
		.amdhsa_float_denorm_mode_32 3
		.amdhsa_float_denorm_mode_16_64 3
		.amdhsa_dx10_clamp 1
		.amdhsa_ieee_mode 1
		.amdhsa_fp16_overflow 0
		.amdhsa_workgroup_processor_mode 1
		.amdhsa_memory_ordered 1
		.amdhsa_forward_progress 1
		.amdhsa_shared_vgpr_count 0
		.amdhsa_exception_fp_ieee_invalid_op 0
		.amdhsa_exception_fp_denorm_src 0
		.amdhsa_exception_fp_ieee_div_zero 0
		.amdhsa_exception_fp_ieee_overflow 0
		.amdhsa_exception_fp_ieee_underflow 0
		.amdhsa_exception_fp_ieee_inexact 0
		.amdhsa_exception_int_div_zero 0
	.end_amdhsa_kernel
	.section	.text._ZN4vllm25paged_attention_v1_kernelIttLi256ELi16ELi128ELNS_18Fp8KVCacheDataTypeE0ELb1EEEvPT_PKS2_PKT0_S8_ifPKiSA_iPKfiiiSC_SC_iiiii,"axG",@progbits,_ZN4vllm25paged_attention_v1_kernelIttLi256ELi16ELi128ELNS_18Fp8KVCacheDataTypeE0ELb1EEEvPT_PKS2_PKT0_S8_ifPKiSA_iPKfiiiSC_SC_iiiii,comdat
.Lfunc_end80:
	.size	_ZN4vllm25paged_attention_v1_kernelIttLi256ELi16ELi128ELNS_18Fp8KVCacheDataTypeE0ELb1EEEvPT_PKS2_PKT0_S8_ifPKiSA_iPKfiiiSC_SC_iiiii, .Lfunc_end80-_ZN4vllm25paged_attention_v1_kernelIttLi256ELi16ELi128ELNS_18Fp8KVCacheDataTypeE0ELb1EEEvPT_PKS2_PKT0_S8_ifPKiSA_iPKfiiiSC_SC_iiiii
                                        ; -- End function
	.set _ZN4vllm25paged_attention_v1_kernelIttLi256ELi16ELi128ELNS_18Fp8KVCacheDataTypeE0ELb1EEEvPT_PKS2_PKT0_S8_ifPKiSA_iPKfiiiSC_SC_iiiii.num_vgpr, 127
	.set _ZN4vllm25paged_attention_v1_kernelIttLi256ELi16ELi128ELNS_18Fp8KVCacheDataTypeE0ELb1EEEvPT_PKS2_PKT0_S8_ifPKiSA_iPKfiiiSC_SC_iiiii.num_agpr, 0
	.set _ZN4vllm25paged_attention_v1_kernelIttLi256ELi16ELi128ELNS_18Fp8KVCacheDataTypeE0ELb1EEEvPT_PKS2_PKT0_S8_ifPKiSA_iPKfiiiSC_SC_iiiii.numbered_sgpr, 38
	.set _ZN4vllm25paged_attention_v1_kernelIttLi256ELi16ELi128ELNS_18Fp8KVCacheDataTypeE0ELb1EEEvPT_PKS2_PKT0_S8_ifPKiSA_iPKfiiiSC_SC_iiiii.num_named_barrier, 0
	.set _ZN4vllm25paged_attention_v1_kernelIttLi256ELi16ELi128ELNS_18Fp8KVCacheDataTypeE0ELb1EEEvPT_PKS2_PKT0_S8_ifPKiSA_iPKfiiiSC_SC_iiiii.private_seg_size, 0
	.set _ZN4vllm25paged_attention_v1_kernelIttLi256ELi16ELi128ELNS_18Fp8KVCacheDataTypeE0ELb1EEEvPT_PKS2_PKT0_S8_ifPKiSA_iPKfiiiSC_SC_iiiii.uses_vcc, 1
	.set _ZN4vllm25paged_attention_v1_kernelIttLi256ELi16ELi128ELNS_18Fp8KVCacheDataTypeE0ELb1EEEvPT_PKS2_PKT0_S8_ifPKiSA_iPKfiiiSC_SC_iiiii.uses_flat_scratch, 0
	.set _ZN4vllm25paged_attention_v1_kernelIttLi256ELi16ELi128ELNS_18Fp8KVCacheDataTypeE0ELb1EEEvPT_PKS2_PKT0_S8_ifPKiSA_iPKfiiiSC_SC_iiiii.has_dyn_sized_stack, 0
	.set _ZN4vllm25paged_attention_v1_kernelIttLi256ELi16ELi128ELNS_18Fp8KVCacheDataTypeE0ELb1EEEvPT_PKS2_PKT0_S8_ifPKiSA_iPKfiiiSC_SC_iiiii.has_recursion, 0
	.set _ZN4vllm25paged_attention_v1_kernelIttLi256ELi16ELi128ELNS_18Fp8KVCacheDataTypeE0ELb1EEEvPT_PKS2_PKT0_S8_ifPKiSA_iPKfiiiSC_SC_iiiii.has_indirect_call, 0
	.section	.AMDGPU.csdata,"",@progbits
; Kernel info:
; codeLenInByte = 19800
; TotalNumSgprs: 40
; NumVgprs: 127
; ScratchSize: 0
; MemoryBound: 0
; FloatMode: 240
; IeeeMode: 1
; LDSByteSize: 544 bytes/workgroup (compile time only)
; SGPRBlocks: 0
; VGPRBlocks: 15
; NumSGPRsForWavesPerEU: 40
; NumVGPRsForWavesPerEU: 127
; Occupancy: 8
; WaveLimiterHint : 1
; COMPUTE_PGM_RSRC2:SCRATCH_EN: 0
; COMPUTE_PGM_RSRC2:USER_SGPR: 6
; COMPUTE_PGM_RSRC2:TRAP_HANDLER: 0
; COMPUTE_PGM_RSRC2:TGID_X_EN: 1
; COMPUTE_PGM_RSRC2:TGID_Y_EN: 1
; COMPUTE_PGM_RSRC2:TGID_Z_EN: 1
; COMPUTE_PGM_RSRC2:TIDIG_COMP_CNT: 0
	.section	.text._ZN4vllm25paged_attention_v1_kernelIttLi32ELi16ELi128ELNS_18Fp8KVCacheDataTypeE0ELb0EEEvPT_PKS2_PKT0_S8_ifPKiSA_iPKfiiiSC_SC_iiiii,"axG",@progbits,_ZN4vllm25paged_attention_v1_kernelIttLi32ELi16ELi128ELNS_18Fp8KVCacheDataTypeE0ELb0EEEvPT_PKS2_PKT0_S8_ifPKiSA_iPKfiiiSC_SC_iiiii,comdat
	.protected	_ZN4vllm25paged_attention_v1_kernelIttLi32ELi16ELi128ELNS_18Fp8KVCacheDataTypeE0ELb0EEEvPT_PKS2_PKT0_S8_ifPKiSA_iPKfiiiSC_SC_iiiii ; -- Begin function _ZN4vllm25paged_attention_v1_kernelIttLi32ELi16ELi128ELNS_18Fp8KVCacheDataTypeE0ELb0EEEvPT_PKS2_PKT0_S8_ifPKiSA_iPKfiiiSC_SC_iiiii
	.globl	_ZN4vllm25paged_attention_v1_kernelIttLi32ELi16ELi128ELNS_18Fp8KVCacheDataTypeE0ELb0EEEvPT_PKS2_PKT0_S8_ifPKiSA_iPKfiiiSC_SC_iiiii
	.p2align	8
	.type	_ZN4vllm25paged_attention_v1_kernelIttLi32ELi16ELi128ELNS_18Fp8KVCacheDataTypeE0ELb0EEEvPT_PKS2_PKT0_S8_ifPKiSA_iPKfiiiSC_SC_iiiii,@function
_ZN4vllm25paged_attention_v1_kernelIttLi32ELi16ELi128ELNS_18Fp8KVCacheDataTypeE0ELb0EEEvPT_PKS2_PKT0_S8_ifPKiSA_iPKfiiiSC_SC_iiiii: ; @_ZN4vllm25paged_attention_v1_kernelIttLi32ELi16ELi128ELNS_18Fp8KVCacheDataTypeE0ELb0EEEvPT_PKS2_PKT0_S8_ifPKiSA_iPKfiiiSC_SC_iiiii
; %bb.0:
	s_clause 0x2
	s_load_dword s9, s[4:5], 0x80
	s_load_dwordx2 s[0:1], s[4:5], 0x30
	s_load_dwordx2 s[24:25], s[4:5], 0x20
	s_mov_b32 s10, s7
	s_ashr_i32 s11, s7, 31
	s_lshl_b64 s[2:3], s[10:11], 2
	s_waitcnt lgkmcnt(0)
	s_add_u32 s0, s0, s2
	s_addc_u32 s1, s1, s3
	s_abs_i32 s2, s24
	s_abs_i32 s11, s9
	v_cvt_f32_u32_e32 v1, s2
	s_sub_i32 s7, 0, s2
	v_rcp_iflag_f32_e32 v1, v1
	v_mul_f32_e32 v1, 0x4f7ffffe, v1
	v_cvt_u32_f32_e32 v1, v1
	v_readfirstlane_b32 s3, v1
	s_mul_i32 s7, s7, s3
	s_mul_hi_u32 s7, s3, s7
	s_add_i32 s3, s3, s7
	s_xor_b32 s7, s9, s24
	s_mul_hi_u32 s3, s11, s3
	s_ashr_i32 s7, s7, 31
	s_mul_i32 s12, s3, s2
	s_mov_b32 s24, 0
	s_sub_i32 s11, s11, s12
	s_add_i32 s12, s3, 1
	s_sub_i32 s13, s11, s2
	s_cmp_ge_u32 s11, s2
	s_cselect_b32 s3, s12, s3
	s_cselect_b32 s11, s13, s11
	s_add_i32 s12, s3, 1
	s_cmp_ge_u32 s11, s2
	s_cselect_b32 s2, s12, s3
	s_abs_i32 s17, s6
	s_xor_b32 s2, s2, s7
	s_sub_i32 s18, s2, s7
	s_load_dwordx2 s[2:3], s[4:5], 0x40
	s_abs_i32 s16, s18
	v_cvt_f32_u32_e32 v1, s16
	s_sub_i32 s11, 0, s16
	v_rcp_iflag_f32_e32 v1, v1
	v_mul_f32_e32 v1, 0x4f7ffffe, v1
	v_cvt_u32_f32_e32 v1, v1
	v_readfirstlane_b32 s7, v1
	s_mul_i32 s11, s11, s7
	s_mul_hi_u32 s11, s7, s11
	s_add_i32 s7, s7, s11
	s_waitcnt lgkmcnt(0)
	s_cmp_eq_u64 s[2:3], 0
	s_mul_hi_u32 s20, s17, s7
	s_cbranch_scc1 .LBB81_2
; %bb.1:
	s_ashr_i32 s7, s6, 31
	s_lshl_b64 s[12:13], s[6:7], 2
	s_add_u32 s2, s2, s12
	s_addc_u32 s3, s3, s13
	s_load_dword s24, s[2:3], 0x0
.LBB81_2:
	s_load_dword s11, s[0:1], 0x0
	s_load_dwordx4 s[12:15], s[4:5], 0x48
	v_lshrrev_b32_e32 v9, 1, v0
	v_and_b32_e32 v10, 1, v0
	v_lshlrev_b32_e32 v3, 3, v0
	s_ashr_i32 s0, s6, 31
	s_ashr_i32 s1, s18, 31
	s_lshl_b32 s6, s6, 5
	s_mov_b32 s2, exec_lo
	v_cmpx_gt_u32_e32 8, v0
	s_cbranch_execz .LBB81_4
; %bb.3:
	s_load_dwordx2 s[18:19], s[4:5], 0x8
	s_waitcnt lgkmcnt(0)
	s_mul_i32 s22, s12, s10
	v_lshlrev_b32_e32 v4, 3, v9
	s_ashr_i32 s23, s22, 31
	s_lshl_b64 s[22:23], s[22:23], 1
	v_lshl_add_u32 v4, v10, 5, v4
	s_add_u32 s3, s18, s22
	s_addc_u32 s12, s19, s23
	s_ashr_i32 s7, s6, 31
	s_lshl_b64 s[18:19], s[6:7], 1
	s_add_u32 s18, s3, s18
	s_addc_u32 s19, s12, s19
	global_load_dwordx2 v[1:2], v3, s[18:19]
	s_waitcnt vmcnt(0)
	ds_write_b64 v4, v[1:2]
.LBB81_4:
	s_or_b32 exec_lo, exec_lo, s2
	s_waitcnt lgkmcnt(0)
	s_add_i32 s2, s11, 15
	s_clause 0x1
	s_load_dwordx2 s[18:19], s[4:5], 0x28
	s_load_dword s7, s[4:5], 0x38
	s_ashr_i32 s3, s2, 31
	s_xor_b32 s0, s0, s1
	s_lshr_b32 s3, s3, 28
	s_mul_i32 s1, s20, s16
	s_add_i32 s2, s2, s3
	s_sub_i32 s1, s17, s1
	s_ashr_i32 s12, s2, 4
	s_add_i32 s2, s20, 1
	s_sub_i32 s3, s1, s16
	s_cmp_ge_u32 s1, s16
	v_lshrrev_b32_e32 v11, 5, v0
	s_cselect_b32 s2, s2, s20
	s_cselect_b32 s1, s3, s1
	s_add_i32 s3, s2, 1
	s_cmp_ge_u32 s1, s16
	v_mbcnt_lo_u32_b32 v5, -1, 0
	s_cselect_b32 s1, s3, s2
	s_mov_b32 s2, exec_lo
	s_xor_b32 s1, s1, s0
	s_waitcnt lgkmcnt(0)
	s_mul_i32 s20, s7, s10
	s_sub_i32 s1, s1, s0
	v_cmp_gt_i32_e64 s0, s12, v11
	s_ashr_i32 s21, s20, 31
	s_barrier
	buffer_gl0_inv
                                        ; implicit-def: $vgpr6
                                        ; implicit-def: $vgpr7
	v_cmpx_le_i32_e64 s12, v11
	s_xor_b32 s2, exec_lo, s2
; %bb.5:
	v_mov_b32_e32 v6, 0
	v_mbcnt_lo_u32_b32 v5, -1, 0
	v_mov_b32_e32 v7, 32
; %bb.6:
	s_or_saveexec_b32 s26, s2
	s_clause 0x2
	s_load_dwordx2 s[16:17], s[4:5], 0x0
	s_load_dwordx2 s[22:23], s[4:5], 0x18
	s_load_dword s7, s[4:5], 0x88
	v_mov_b32_e32 v8, 0xff7fffff
	v_lshrrev_b32_e32 v4, 3, v0
	s_mul_i32 s14, s1, s14
	s_xor_b32 exec_lo, exec_lo, s26
	s_cbranch_execz .LBB81_12
; %bb.7:
	s_load_dwordx2 s[2:3], s[4:5], 0x10
	v_bfe_u32 v1, v0, 1, 4
	s_ashr_i32 s15, s14, 31
	v_and_b32_e32 v7, 8, v3
	s_lshl_b64 s[4:5], s[14:15], 1
	v_and_b32_e32 v8, 0x7c, v4
	v_lshlrev_b32_e32 v2, 2, v1
	v_lshlrev_b32_e32 v15, 4, v1
	v_lshl_or_b32 v13, v11, 4, v1
	v_mov_b32_e32 v6, 0
	v_lshlrev_b32_e32 v12, 5, v10
	v_lshl_or_b32 v2, v11, 6, v2
	v_cmp_neq_f32_e64 s1, s24, 0
	v_xor_b32_e32 v17, 1, v5
	v_mov_b32_e32 v18, v11
	v_cmp_eq_u32_e32 vcc_lo, 0, v10
	v_add_nc_u32_e32 v14, 0x60, v2
	s_waitcnt lgkmcnt(0)
	s_add_u32 s15, s2, s4
	s_addc_u32 s5, s3, s5
	v_add_co_u32 v1, s15, s15, v15
	v_add_co_ci_u32_e64 v2, null, s5, 0, s15
	s_lshl_b64 s[2:3], s[20:21], 2
	s_sub_i32 s4, 1, s11
	s_add_u32 s5, s18, s2
	v_add_co_u32 v15, s2, v1, v7
	s_addc_u32 s3, s19, s3
	v_add_co_ci_u32_e64 v16, null, 0, v2, s2
	v_add_co_u32 v1, s2, s5, v8
	v_add_co_ci_u32_e64 v2, null, s3, 0, s2
	v_mov_b32_e32 v8, 0xff7fffff
	v_mov_b32_e32 v7, 32
	s_mov_b32 s15, s13
	s_mov_b32 s5, 0
	s_branch .LBB81_9
.LBB81_8:                               ;   in Loop: Header=BB81_9 Depth=1
	s_or_b32 exec_lo, exec_lo, s3
	v_add_nc_u32_e32 v18, 4, v18
	v_add_co_u32 v1, s3, v1, 16
	v_add_nc_u32_e32 v13, 64, v13
	v_add_nc_u32_e32 v14, 0x100, v14
	v_cmp_le_i32_e64 s2, s12, v18
	v_add_co_ci_u32_e64 v2, null, 0, v2, s3
	s_or_b32 s5, s2, s5
	s_andn2_b32 exec_lo, exec_lo, s5
	s_cbranch_execz .LBB81_11
.LBB81_9:                               ; =>This Inner Loop Header: Depth=1
	global_load_dword v19, v[1:2], off
	s_waitcnt vmcnt(0) lgkmcnt(0)
	v_mad_i64_i32 v[19:20], null, v19, s15, 0
	v_lshlrev_b64 v[19:20], 1, v[19:20]
	v_add_co_u32 v19, s2, v15, v19
	v_add_co_ci_u32_e64 v20, null, v16, v20, s2
	v_cmp_gt_i32_e64 s2, 32, v17
	s_clause 0x3
	global_load_dwordx2 v[21:22], v[19:20], off
	global_load_dwordx2 v[23:24], v[19:20], off offset:256
	global_load_dwordx2 v[25:26], v[19:20], off offset:512
	;; [unrolled: 1-line block ×3, first 2 shown]
	ds_read_b64 v[27:28], v12
	s_waitcnt lgkmcnt(0)
	v_and_b32_e32 v29, 0xffff, v27
	v_lshrrev_b32_e32 v30, 16, v27
	v_lshrrev_b32_e32 v32, 16, v28
	v_and_b32_e32 v31, 0xffff, v28
	;;#ASMSTART
	v_cvt_f32_f16 v27, v29;
	;;#ASMEND
	;;#ASMSTART
	v_cvt_f32_f16 v28, v30;
	;;#ASMEND
	s_waitcnt vmcnt(3)
	v_and_b32_e32 v29, 0xffff, v21
	v_lshrrev_b32_e32 v21, 16, v21
	v_lshrrev_b32_e32 v34, 16, v22
	v_and_b32_e32 v22, 0xffff, v22
	;;#ASMSTART
	v_cvt_f32_f16 v29, v29;
	;;#ASMEND
	;;#ASMSTART
	v_cvt_f32_f16 v30, v21;
	;;#ASMEND
	;; [unrolled: 3-line block ×6, first 2 shown]
	ds_read_b64 v[21:22], v12 offset:8
	s_waitcnt vmcnt(2)
	v_lshrrev_b32_e32 v36, 16, v23
	v_and_b32_e32 v35, 0xffff, v23
	v_lshrrev_b32_e32 v40, 16, v24
	v_and_b32_e32 v39, 0xffff, v24
	s_waitcnt vmcnt(1)
	v_lshrrev_b32_e32 v42, 16, v25
	v_and_b32_e32 v41, 0xffff, v25
	v_lshrrev_b32_e32 v46, 16, v26
	v_and_b32_e32 v45, 0xffff, v26
	s_waitcnt vmcnt(0)
	v_lshrrev_b32_e32 v47, 16, v19
	v_and_b32_e32 v48, 0xffff, v19
	s_waitcnt lgkmcnt(0)
	v_and_b32_e32 v23, 0xffff, v21
	v_lshrrev_b32_e32 v21, 16, v21
	v_lshrrev_b32_e32 v38, 16, v22
	v_and_b32_e32 v22, 0xffff, v22
	;;#ASMSTART
	v_cvt_f32_f16 v23, v23;
	;;#ASMEND
	;;#ASMSTART
	v_cvt_f32_f16 v24, v21;
	;;#ASMEND
	;; [unrolled: 3-line block ×8, first 2 shown]
	ds_read_b64 v[21:22], v12 offset:16
	v_mul_f32_e32 v19, v23, v35
	v_mul_f32_e32 v23, v24, v36
	;; [unrolled: 1-line block ×4, first 2 shown]
	v_lshrrev_b32_e32 v36, 16, v20
	v_fmac_f32_e32 v19, v27, v29
	v_fmac_f32_e32 v23, v28, v30
	;; [unrolled: 1-line block ×3, first 2 shown]
	v_and_b32_e32 v27, 0xffff, v20
	v_fmac_f32_e32 v35, v32, v34
	s_waitcnt lgkmcnt(0)
	v_and_b32_e32 v25, 0xffff, v21
	v_lshrrev_b32_e32 v21, 16, v21
	v_lshrrev_b32_e32 v44, 16, v22
	v_and_b32_e32 v22, 0xffff, v22
	;;#ASMSTART
	v_cvt_f32_f16 v25, v25;
	;;#ASMEND
	;;#ASMSTART
	v_cvt_f32_f16 v26, v21;
	;;#ASMEND
	;; [unrolled: 3-line block ×8, first 2 shown]
	ds_read_b64 v[21:22], v12 offset:24
	v_fmac_f32_e32 v19, v25, v41
	v_fmac_f32_e32 v23, v26, v42
	;; [unrolled: 1-line block ×4, first 2 shown]
	s_waitcnt lgkmcnt(0)
	v_and_b32_e32 v20, 0xffff, v21
	v_lshrrev_b32_e32 v21, 16, v21
	v_lshrrev_b32_e32 v26, 16, v22
	v_and_b32_e32 v28, 0xffff, v22
	;;#ASMSTART
	v_cvt_f32_f16 v20, v20;
	;;#ASMEND
	;;#ASMSTART
	v_cvt_f32_f16 v21, v21;
	;;#ASMEND
	;; [unrolled: 3-line block ×4, first 2 shown]
	v_fmac_f32_e32 v19, v20, v22
	v_fmac_f32_e32 v23, v21, v25
	;;#ASMSTART
	v_cvt_f32_f16 v20, v28;
	;;#ASMEND
	;;#ASMSTART
	v_cvt_f32_f16 v21, v26;
	;;#ASMEND
	;; [unrolled: 3-line block ×3, first 2 shown]
	v_fmac_f32_e32 v24, v20, v22
	v_add_f32_e32 v19, v19, v23
	;;#ASMSTART
	v_cvt_f32_f16 v20, v36;
	;;#ASMEND
	v_fmac_f32_e32 v35, v21, v20
	v_cndmask_b32_e64 v20, v5, v17, s2
	v_add_f32_e32 v19, v19, v24
	v_lshlrev_b32_e32 v20, 2, v20
	v_add_f32_e32 v19, v35, v19
	ds_bpermute_b32 v20, v20, v19
	s_and_saveexec_b32 s3, vcc_lo
	s_cbranch_execz .LBB81_8
; %bb.10:                               ;   in Loop: Header=BB81_9 Depth=1
	v_add_nc_u32_e32 v21, s4, v13
	s_waitcnt lgkmcnt(0)
	v_add_f32_e32 v19, v19, v20
	v_cmp_gt_i32_e64 s2, s11, v13
	v_cvt_f32_i32_e32 v21, v21
	v_mul_f32_e32 v21, s24, v21
	v_cndmask_b32_e64 v20, 0, v21, s1
	v_max_f32_e32 v21, v8, v8
	v_fmac_f32_e32 v20, s25, v19
	v_max_f32_e32 v19, v21, v20
	v_cndmask_b32_e64 v20, 0, v20, s2
	v_cndmask_b32_e64 v8, v8, v19, s2
	ds_write_b32 v14, v20
	s_branch .LBB81_8
.LBB81_11:
	s_or_b32 exec_lo, exec_lo, s5
.LBB81_12:
	s_or_b32 exec_lo, exec_lo, s26
	v_xor_b32_e32 v1, 16, v5
	v_xor_b32_e32 v12, 8, v5
	v_max_f32_e32 v13, v8, v8
	v_cmp_lt_i32_e32 vcc_lo, v1, v7
	v_cndmask_b32_e32 v1, v5, v1, vcc_lo
	v_cmp_lt_i32_e32 vcc_lo, v12, v7
	v_lshlrev_b32_e32 v2, 2, v1
	ds_bpermute_b32 v1, v2, v8
	v_cndmask_b32_e32 v8, v5, v12, vcc_lo
	v_lshlrev_b32_e32 v8, 2, v8
	s_waitcnt lgkmcnt(0)
	v_max_f32_e32 v1, v1, v1
	v_max_f32_e32 v1, v13, v1
	v_xor_b32_e32 v13, 4, v5
	ds_bpermute_b32 v12, v8, v1
	v_cmp_lt_i32_e32 vcc_lo, v13, v7
	v_cndmask_b32_e32 v13, v5, v13, vcc_lo
	v_lshlrev_b32_e32 v14, 2, v13
	v_xor_b32_e32 v13, 2, v5
	v_cmp_lt_i32_e32 vcc_lo, v13, v7
	s_waitcnt lgkmcnt(0)
	v_max_f32_e32 v12, v12, v12
	v_cndmask_b32_e32 v15, v5, v13, vcc_lo
	v_max_f32_e32 v1, v1, v12
	ds_bpermute_b32 v12, v14, v1
	s_waitcnt lgkmcnt(0)
	v_max_f32_e32 v12, v12, v12
	v_max_f32_e32 v13, v1, v12
	v_lshlrev_b32_e32 v1, 2, v15
	v_and_b32_e32 v12, 31, v0
	v_lshlrev_b32_e32 v15, 2, v11
	ds_bpermute_b32 v16, v1, v13
	v_cmp_eq_u32_e32 vcc_lo, 0, v12
	s_and_saveexec_b32 s1, vcc_lo
	s_cbranch_execz .LBB81_14
; %bb.13:
	s_waitcnt lgkmcnt(0)
	v_max_f32_e32 v16, v16, v16
	v_max_f32_e32 v13, v13, v13
	;; [unrolled: 1-line block ×3, first 2 shown]
	ds_write_b32 v15, v13 offset:64
.LBB81_14:
	s_or_b32 exec_lo, exec_lo, s1
	v_cmp_gt_u32_e64 s1, 4, v12
	v_mov_b32_e32 v13, 0xff7fffff
	s_waitcnt lgkmcnt(0)
	v_lshlrev_b32_e32 v16, 2, v12
	s_barrier
	buffer_gl0_inv
	s_and_saveexec_b32 s2, s1
; %bb.15:
	ds_read_b32 v13, v16 offset:64
; %bb.16:
	s_or_b32 exec_lo, exec_lo, s2
	s_waitcnt lgkmcnt(0)
	ds_bpermute_b32 v17, v1, v13
	v_xor_b32_e32 v18, 1, v5
	v_max_f32_e32 v19, v13, v13
	v_lshlrev_b32_e32 v6, 2, v6
	v_cmp_lt_i32_e64 s2, v18, v7
	v_cndmask_b32_e64 v7, v5, v18, s2
	s_lshl_b32 s2, s12, 4
	s_min_i32 s4, s2, s11
	v_lshlrev_b32_e32 v13, 2, v7
	v_cmp_gt_i32_e64 s2, s4, v0
	s_waitcnt lgkmcnt(0)
	v_max_f32_e32 v17, v17, v17
	v_max_f32_e32 v7, v19, v17
	ds_bpermute_b32 v17, v13, v7
	s_waitcnt lgkmcnt(0)
	v_max_f32_e32 v17, v17, v17
	v_max_f32_e32 v7, v7, v17
	ds_bpermute_b32 v17, v6, v7
	v_mov_b32_e32 v7, 0
	v_lshl_add_u32 v6, v0, 2, 0x60
	s_and_saveexec_b32 s5, s2
	s_cbranch_execz .LBB81_20
; %bb.17:
	v_lshl_add_u32 v18, v0, 2, 0x60
	v_mov_b32_e32 v7, 0
	v_mov_b32_e32 v19, v0
	s_mov_b32 s15, 0
	.p2align	6
.LBB81_18:                              ; =>This Inner Loop Header: Depth=1
	ds_read_b32 v20, v18
	v_add_nc_u32_e32 v19, 0x80, v19
	v_cmp_le_i32_e64 s3, s4, v19
	s_or_b32 s15, s3, s15
	s_waitcnt lgkmcnt(0)
	v_sub_f32_e32 v20, v20, v17
	v_mul_f32_e32 v20, 0x3fb8aa3b, v20
	v_exp_f32_e32 v20, v20
	ds_write_b32 v18, v20
	v_add_f32_e32 v7, v7, v20
	v_add_nc_u32_e32 v18, 0x200, v18
	s_andn2_b32 exec_lo, exec_lo, s15
	s_cbranch_execnz .LBB81_18
; %bb.19:
	s_or_b32 exec_lo, exec_lo, s15
.LBB81_20:
	s_or_b32 exec_lo, exec_lo, s5
	ds_bpermute_b32 v2, v2, v7
	s_waitcnt lgkmcnt(0)
	v_add_f32_e32 v2, v7, v2
	ds_bpermute_b32 v7, v8, v2
	s_waitcnt lgkmcnt(0)
	v_add_f32_e32 v2, v2, v7
	;; [unrolled: 3-line block ×5, first 2 shown]
	s_and_saveexec_b32 s3, vcc_lo
; %bb.21:
	ds_write_b32 v15, v2 offset:80
; %bb.22:
	s_or_b32 exec_lo, exec_lo, s3
	s_waitcnt lgkmcnt(0)
	s_barrier
	buffer_gl0_inv
	s_and_saveexec_b32 s3, s1
; %bb.23:
	ds_read_b32 v2, v16 offset:80
; %bb.24:
	s_or_b32 exec_lo, exec_lo, s3
	s_waitcnt lgkmcnt(0)
	ds_bpermute_b32 v1, v1, v2
	v_lshlrev_b32_e32 v5, 2, v5
	s_waitcnt lgkmcnt(0)
	v_add_f32_e32 v1, v2, v1
	ds_bpermute_b32 v2, v13, v1
	s_waitcnt lgkmcnt(0)
	v_add_f32_e32 v1, v1, v2
	v_and_b32_e32 v2, 0xffffff80, v5
	ds_bpermute_b32 v1, v2, v1
	s_and_saveexec_b32 s1, s2
	s_cbranch_execz .LBB81_27
; %bb.25:
	s_waitcnt lgkmcnt(0)
	v_add_f32_e32 v1, 0x358637bd, v1
	s_mov_b32 s2, 0
	v_div_scale_f32 v2, null, v1, v1, 1.0
	v_div_scale_f32 v8, vcc_lo, 1.0, v1, 1.0
	v_rcp_f32_e32 v5, v2
	v_fma_f32 v7, -v2, v5, 1.0
	v_fmac_f32_e32 v5, v7, v5
	v_mul_f32_e32 v7, v8, v5
	v_fma_f32 v14, -v2, v7, v8
	v_fmac_f32_e32 v7, v14, v5
	v_fma_f32 v2, -v2, v7, v8
	v_div_fmas_f32 v2, v2, v5, v7
	v_div_fixup_f32 v1, v2, v1, 1.0
	v_mov_b32_e32 v2, v0
.LBB81_26:                              ; =>This Inner Loop Header: Depth=1
	ds_read_b32 v5, v6
	v_add_nc_u32_e32 v2, 0x80, v2
	v_cmp_le_i32_e32 vcc_lo, s4, v2
	s_or_b32 s2, vcc_lo, s2
	s_waitcnt lgkmcnt(0)
	v_mul_f32_e32 v5, v1, v5
	ds_write_b32 v6, v5
	v_add_nc_u32_e32 v6, 0x200, v6
	s_andn2_b32 exec_lo, exec_lo, s2
	s_cbranch_execnz .LBB81_26
.LBB81_27:
	s_or_b32 exec_lo, exec_lo, s1
	v_mov_b32_e32 v14, 0
	v_mov_b32_e32 v15, 0
	s_waitcnt lgkmcnt(0)
	s_barrier
	buffer_gl0_inv
	s_and_saveexec_b32 s2, s0
	s_cbranch_execz .LBB81_35
; %bb.28:
	v_lshlrev_b32_e32 v2, 4, v0
	s_ashr_i32 s15, s14, 31
	v_and_b32_e32 v1, 8, v3
	s_lshl_b64 s[0:1], s[14:15], 1
	v_lshlrev_b32_e32 v5, 4, v11
	v_and_b32_e32 v2, 0x1f0, v2
	s_add_u32 s0, s22, s0
	v_lshlrev_b32_e32 v3, 5, v10
	s_addc_u32 s1, s23, s1
	v_or3_b32 v19, v5, v1, 7
	v_add_co_u32 v17, s0, s0, v2
	v_and_b32_e32 v1, 0x7c, v4
	v_add_co_ci_u32_e64 v18, null, s1, 0, s0
	s_lshl_b64 s[0:1], s[20:21], 2
	s_add_i32 s3, s12, -1
	v_lshl_or_b32 v3, v11, 6, v3
	s_add_u32 s0, s18, s0
	s_addc_u32 s1, s19, s1
	v_add_co_u32 v5, s0, s0, v1
	v_mov_b32_e32 v16, 0
	v_add_nc_u32_e32 v20, 0x60, v3
	v_add_co_ci_u32_e64 v6, null, s1, 0, s0
	v_mov_b32_e32 v21, v11
	v_mov_b32_e32 v15, 0
	;; [unrolled: 1-line block ×3, first 2 shown]
	s_mov_b32 s5, s13
	s_mov_b32 s4, 0
	s_branch .LBB81_30
.LBB81_29:                              ;   in Loop: Header=BB81_30 Depth=1
	s_or_b32 exec_lo, exec_lo, s1
	v_lshlrev_b32_e32 v22, 16, v35
	v_lshlrev_b32_e32 v8, 16, v8
	;; [unrolled: 1-line block ×3, first 2 shown]
	v_add_nc_u32_e32 v21, 4, v21
	v_add_co_u32 v5, s0, v5, 16
	v_and_or_b32 v1, 0xffff, v1, v22
	v_and_or_b32 v2, 0xffff, v2, v8
	;; [unrolled: 1-line block ×3, first 2 shown]
	;;#ASMSTART
	v_pk_mul_f16 v1, v30, v1;

	;;#ASMEND
	;;#ASMSTART
	v_pk_mul_f16 v2, v29, v2;

	;;#ASMEND
	;; [unrolled: 4-line block ×4, first 2 shown]
	;;#ASMSTART
	v_pk_add_f16 v1, v1, v2;

	;;#ASMEND
	;;#ASMSTART
	v_pk_add_f16 v1, v1, v3;

	;;#ASMEND
	;; [unrolled: 4-line block ×3, first 2 shown]
	v_and_b32_e32 v2, 0xffff, v1
	v_lshrrev_b32_e32 v3, 16, v1
	;;#ASMSTART
	v_cvt_f32_f16 v2, v2;
	;;#ASMEND
	v_add_f32_e32 v1, v33, v34
	;;#ASMSTART
	v_cvt_f32_f16 v3, v3;
	;;#ASMEND
	v_add_f32_e32 v2, v2, v3
	v_cmp_le_i32_e32 vcc_lo, s12, v21
	v_add_nc_u32_e32 v19, 64, v19
	v_add_nc_u32_e32 v20, 0x100, v20
	v_add_f32_e32 v15, v15, v1
	v_add_f32_e32 v14, v14, v2
	v_add_co_ci_u32_e64 v6, null, 0, v6, s0
	s_or_b32 s4, vcc_lo, s4
	s_andn2_b32 exec_lo, exec_lo, s4
	s_cbranch_execz .LBB81_34
.LBB81_30:                              ; =>This Inner Loop Header: Depth=1
	global_load_dword v7, v[5:6], off
	ds_read2_b64 v[1:4], v20 offset1:1
	ds_read2_b64 v[22:25], v20 offset0:2 offset1:3
	v_add_nc_u32_e32 v26, -7, v19
	v_cmp_eq_u32_e64 s0, s3, v21
	v_add_nc_u32_e32 v28, -6, v19
	v_add_nc_u32_e32 v27, -1, v19
	s_waitcnt lgkmcnt(1)
	;;#ASMSTART
	v_cvt_f16_f32 v30, v1;

	;;#ASMEND
	;;#ASMSTART
	v_cvt_f16_f32 v29, v2;

	;;#ASMEND
	;; [unrolled: 4-line block ×4, first 2 shown]
	s_waitcnt lgkmcnt(0)
	;;#ASMSTART
	v_cvt_f16_f32 v36, v22;

	;;#ASMEND
	;;#ASMSTART
	v_cvt_f16_f32 v32, v23;

	;;#ASMEND
	;; [unrolled: 4-line block ×4, first 2 shown]
	v_add_nc_u32_e32 v25, -5, v19
	v_add_nc_u32_e32 v24, -4, v19
	;; [unrolled: 1-line block ×4, first 2 shown]
	s_waitcnt vmcnt(0)
	v_mad_i64_i32 v[7:8], null, v7, s5, 0
	v_lshlrev_b64 v[7:8], 1, v[7:8]
	v_add_co_u32 v7, vcc_lo, v17, v7
	v_add_co_ci_u32_e64 v8, null, v18, v8, vcc_lo
	global_load_dwordx4 v[1:4], v[7:8], off
	s_waitcnt vmcnt(0)
	v_lshrrev_b32_e32 v39, 16, v1
	v_lshrrev_b32_e32 v38, 16, v2
	;; [unrolled: 1-line block ×3, first 2 shown]
	s_and_saveexec_b32 s13, s0
	s_cbranch_execz .LBB81_32
; %bb.31:                               ;   in Loop: Header=BB81_30 Depth=1
	v_cmp_gt_i32_e32 vcc_lo, s11, v26
	v_and_b32_e32 v40, 0xffff0000, v4
	v_cmp_gt_i32_e64 s1, s11, v25
	v_cndmask_b32_e32 v1, 0, v1, vcc_lo
	v_cmp_gt_i32_e32 vcc_lo, s11, v28
	v_cndmask_b32_e64 v2, 0, v2, s1
	v_cmp_gt_i32_e64 s1, s11, v24
	v_cndmask_b32_e32 v39, 0, v39, vcc_lo
	v_cmp_gt_i32_e32 vcc_lo, s11, v27
	v_cndmask_b32_e64 v38, 0, v38, s1
	v_cndmask_b32_sdwa v4, v16, v4, vcc_lo dst_sel:DWORD dst_unused:UNUSED_PAD src0_sel:DWORD src1_sel:WORD_0
	v_cmp_gt_i32_e32 vcc_lo, s11, v19
	v_cndmask_b32_e32 v40, 0, v40, vcc_lo
	v_cmp_gt_i32_e32 vcc_lo, s11, v23
	v_or_b32_e32 v4, v4, v40
	v_cndmask_b32_e32 v3, 0, v3, vcc_lo
	v_cmp_gt_i32_e32 vcc_lo, s11, v22
	v_cndmask_b32_e32 v37, 0, v37, vcc_lo
.LBB81_32:                              ;   in Loop: Header=BB81_30 Depth=1
	s_or_b32 exec_lo, exec_lo, s13
	v_and_b32_e32 v30, 0xffff, v30
	v_and_b32_e32 v35, 0xffff, v35
	v_lshlrev_b32_e32 v39, 16, v39
	v_and_b32_e32 v36, 0xffff, v36
	v_and_b32_e32 v34, 0xffff, v34
	v_lshl_or_b32 v30, v29, 16, v30
	v_lshl_or_b32 v29, v33, 16, v35
	v_lshlrev_b32_e32 v33, 16, v38
	v_lshlrev_b32_e32 v35, 16, v37
	v_and_or_b32 v1, 0xffff, v1, v39
	;;#ASMSTART
	v_pk_mul_f16 v1, v30, v1;

	;;#ASMEND
	v_lshl_or_b32 v32, v32, 16, v36
	v_and_or_b32 v2, 0xffff, v2, v33
	v_and_or_b32 v3, 0xffff, v3, v35
	v_lshl_or_b32 v31, v31, 16, v34
	;;#ASMSTART
	v_pk_mul_f16 v2, v29, v2;

	;;#ASMEND
	;;#ASMSTART
	v_pk_mul_f16 v3, v32, v3;

	;;#ASMEND
	;;#ASMSTART
	v_pk_mul_f16 v4, v31, v4;

	;;#ASMEND
	;;#ASMSTART
	v_pk_add_f16 v1, v1, v2;

	;;#ASMEND
	;;#ASMSTART
	v_pk_add_f16 v1, v1, v3;

	;;#ASMEND
	;;#ASMSTART
	v_pk_add_f16 v1, v1, v4;

	;;#ASMEND
	v_and_b32_e32 v2, 0xffff, v1
	v_lshrrev_b32_e32 v1, 16, v1
	;;#ASMSTART
	v_cvt_f32_f16 v33, v2;
	;;#ASMEND
	;;#ASMSTART
	v_cvt_f32_f16 v34, v1;
	;;#ASMEND
	global_load_dwordx4 v[1:4], v[7:8], off offset:512
	s_waitcnt vmcnt(0)
	v_lshrrev_b32_e32 v35, 16, v1
	v_lshrrev_b32_e32 v8, 16, v2
	;; [unrolled: 1-line block ×3, first 2 shown]
	s_and_saveexec_b32 s1, s0
	s_cbranch_execz .LBB81_29
; %bb.33:                               ;   in Loop: Header=BB81_30 Depth=1
	v_cmp_gt_i32_e32 vcc_lo, s11, v26
	v_cmp_gt_i32_e64 s0, s11, v25
	v_cndmask_b32_e32 v1, 0, v1, vcc_lo
	v_cmp_gt_i32_e32 vcc_lo, s11, v28
	v_cndmask_b32_e64 v2, 0, v2, s0
	v_cmp_gt_i32_e64 s0, s11, v24
	v_and_b32_e32 v24, 0xffff0000, v4
	v_cndmask_b32_e32 v35, 0, v35, vcc_lo
	v_cmp_gt_i32_e32 vcc_lo, s11, v27
	v_cndmask_b32_e64 v8, 0, v8, s0
	v_cndmask_b32_sdwa v4, v16, v4, vcc_lo dst_sel:DWORD dst_unused:UNUSED_PAD src0_sel:DWORD src1_sel:WORD_0
	v_cmp_gt_i32_e32 vcc_lo, s11, v19
	v_cndmask_b32_e32 v24, 0, v24, vcc_lo
	v_cmp_gt_i32_e32 vcc_lo, s11, v23
	v_or_b32_e32 v4, v4, v24
	v_cndmask_b32_e32 v3, 0, v3, vcc_lo
	v_cmp_gt_i32_e32 vcc_lo, s11, v22
	v_cndmask_b32_e32 v7, 0, v7, vcc_lo
	s_branch .LBB81_29
.LBB81_34:
	s_or_b32 exec_lo, exec_lo, s4
.LBB81_35:
	s_or_b32 exec_lo, exec_lo, s2
	ds_bpermute_b32 v1, v13, v15
	ds_bpermute_b32 v5, v13, v14
	v_lshrrev_b32_e32 v3, 1, v12
	v_and_b32_e32 v6, 0x3c1, v0
	s_mov_b32 s0, exec_lo
	s_waitcnt lgkmcnt(0)
	s_barrier
	v_lshl_add_u32 v4, v3, 2, 0x60
	buffer_gl0_inv
	v_add_f32_e32 v2, v15, v1
	v_add_f32_e32 v1, v14, v5
	v_cmpx_eq_u32_e32 64, v6
	s_cbranch_execz .LBB81_37
; %bb.36:
	v_lshl_add_u32 v5, v11, 7, v4
	v_add_nc_u32_e32 v6, 0xffffff00, v5
	v_add_nc_u32_e32 v5, 0xffffff40, v5
	ds_write_b32 v6, v2
	ds_write_b32 v5, v1
.LBB81_37:
	s_or_b32 exec_lo, exec_lo, s0
	v_and_b32_e32 v5, 0x3e0, v0
	v_lshlrev_b32_e32 v3, 2, v3
	s_mov_b32 s1, exec_lo
	v_cmp_eq_u32_e32 vcc_lo, 0, v10
	s_waitcnt lgkmcnt(0)
	v_lshlrev_b32_e32 v5, 2, v5
	s_barrier
	buffer_gl0_inv
	v_add3_u32 v3, 0x60, v5, v3
	v_cmpx_gt_u32_e32 64, v0
	s_cbranch_execz .LBB81_43
; %bb.38:
	s_and_saveexec_b32 s0, vcc_lo
	s_cbranch_execz .LBB81_40
; %bb.39:
	ds_read_b32 v5, v3
	s_waitcnt lgkmcnt(0)
	v_add_f32_e32 v2, v2, v5
.LBB81_40:
	s_or_b32 exec_lo, exec_lo, s0
	s_and_saveexec_b32 s0, vcc_lo
	s_cbranch_execz .LBB81_42
; %bb.41:
	ds_read_b32 v5, v3 offset:64
	s_waitcnt lgkmcnt(0)
	v_add_f32_e32 v1, v1, v5
.LBB81_42:
	s_or_b32 exec_lo, exec_lo, s0
.LBB81_43:
	s_or_b32 exec_lo, exec_lo, s1
	v_and_b32_e32 v5, 0x3e1, v0
	s_mov_b32 s1, exec_lo
	s_barrier
	buffer_gl0_inv
	v_cmpx_eq_u32_e32 32, v5
; %bb.44:
	ds_write2_b32 v4, v2, v1 offset1:16
; %bb.45:
	s_or_b32 exec_lo, exec_lo, s1
	s_mov_b32 s1, exec_lo
	s_waitcnt lgkmcnt(0)
	s_barrier
	buffer_gl0_inv
	v_cmpx_gt_u32_e32 32, v0
	s_cbranch_execz .LBB81_51
; %bb.46:
	s_and_saveexec_b32 s0, vcc_lo
	s_cbranch_execz .LBB81_48
; %bb.47:
	ds_read_b32 v0, v3
	s_waitcnt lgkmcnt(0)
	v_add_f32_e32 v2, v2, v0
.LBB81_48:
	s_or_b32 exec_lo, exec_lo, s0
	s_and_saveexec_b32 s0, vcc_lo
	s_cbranch_execz .LBB81_50
; %bb.49:
	ds_read_b32 v0, v3 offset:64
	s_waitcnt lgkmcnt(0)
	v_add_f32_e32 v1, v1, v0
.LBB81_50:
	s_or_b32 exec_lo, exec_lo, s0
.LBB81_51:
	s_or_b32 exec_lo, exec_lo, s1
	s_barrier
	buffer_gl0_inv
	s_mov_b32 s0, exec_lo
	v_cmpx_eq_u32_e32 0, v5
	s_cbranch_execz .LBB81_53
; %bb.52:
	s_mul_i32 s0, s10, s7
	s_mul_i32 s2, s7, s6
	;; [unrolled: 1-line block ×3, first 2 shown]
	v_lshlrev_b32_e32 v0, 1, v9
	s_lshl_b32 s0, s0, 5
	;;#ASMSTART
	v_cvt_f16_f32 v2, v2;

	;;#ASMEND
	s_ashr_i32 s1, s0, 31
	s_lshl_b64 s[0:1], s[0:1], 1
	s_add_u32 s4, s16, s0
	s_addc_u32 s5, s17, s1
	s_ashr_i32 s3, s2, 31
	s_lshl_b64 s[0:1], s[2:3], 1
	s_add_u32 s2, s4, s0
	s_addc_u32 s3, s5, s1
	s_lshl_b32 s0, s8, 5
	s_ashr_i32 s1, s0, 31
	s_lshl_b64 s[0:1], s[0:1], 1
	s_add_u32 s0, s2, s0
	s_addc_u32 s1, s3, s1
	global_store_short v0, v2, s[0:1]
	;;#ASMSTART
	v_cvt_f16_f32 v1, v1;

	;;#ASMEND
	global_store_short v0, v1, s[0:1] offset:32
.LBB81_53:
	s_endpgm
	.section	.rodata,"a",@progbits
	.p2align	6, 0x0
	.amdhsa_kernel _ZN4vllm25paged_attention_v1_kernelIttLi32ELi16ELi128ELNS_18Fp8KVCacheDataTypeE0ELb0EEEvPT_PKS2_PKT0_S8_ifPKiSA_iPKfiiiSC_SC_iiiii
		.amdhsa_group_segment_fixed_size 96
		.amdhsa_private_segment_fixed_size 0
		.amdhsa_kernarg_size 384
		.amdhsa_user_sgpr_count 6
		.amdhsa_user_sgpr_private_segment_buffer 1
		.amdhsa_user_sgpr_dispatch_ptr 0
		.amdhsa_user_sgpr_queue_ptr 0
		.amdhsa_user_sgpr_kernarg_segment_ptr 1
		.amdhsa_user_sgpr_dispatch_id 0
		.amdhsa_user_sgpr_flat_scratch_init 0
		.amdhsa_user_sgpr_private_segment_size 0
		.amdhsa_wavefront_size32 1
		.amdhsa_uses_dynamic_stack 0
		.amdhsa_system_sgpr_private_segment_wavefront_offset 0
		.amdhsa_system_sgpr_workgroup_id_x 1
		.amdhsa_system_sgpr_workgroup_id_y 1
		.amdhsa_system_sgpr_workgroup_id_z 1
		.amdhsa_system_sgpr_workgroup_info 0
		.amdhsa_system_vgpr_workitem_id 0
		.amdhsa_next_free_vgpr 49
		.amdhsa_next_free_sgpr 27
		.amdhsa_reserve_vcc 1
		.amdhsa_reserve_flat_scratch 0
		.amdhsa_float_round_mode_32 0
		.amdhsa_float_round_mode_16_64 0
		.amdhsa_float_denorm_mode_32 3
		.amdhsa_float_denorm_mode_16_64 3
		.amdhsa_dx10_clamp 1
		.amdhsa_ieee_mode 1
		.amdhsa_fp16_overflow 0
		.amdhsa_workgroup_processor_mode 1
		.amdhsa_memory_ordered 1
		.amdhsa_forward_progress 1
		.amdhsa_shared_vgpr_count 0
		.amdhsa_exception_fp_ieee_invalid_op 0
		.amdhsa_exception_fp_denorm_src 0
		.amdhsa_exception_fp_ieee_div_zero 0
		.amdhsa_exception_fp_ieee_overflow 0
		.amdhsa_exception_fp_ieee_underflow 0
		.amdhsa_exception_fp_ieee_inexact 0
		.amdhsa_exception_int_div_zero 0
	.end_amdhsa_kernel
	.section	.text._ZN4vllm25paged_attention_v1_kernelIttLi32ELi16ELi128ELNS_18Fp8KVCacheDataTypeE0ELb0EEEvPT_PKS2_PKT0_S8_ifPKiSA_iPKfiiiSC_SC_iiiii,"axG",@progbits,_ZN4vllm25paged_attention_v1_kernelIttLi32ELi16ELi128ELNS_18Fp8KVCacheDataTypeE0ELb0EEEvPT_PKS2_PKT0_S8_ifPKiSA_iPKfiiiSC_SC_iiiii,comdat
.Lfunc_end81:
	.size	_ZN4vllm25paged_attention_v1_kernelIttLi32ELi16ELi128ELNS_18Fp8KVCacheDataTypeE0ELb0EEEvPT_PKS2_PKT0_S8_ifPKiSA_iPKfiiiSC_SC_iiiii, .Lfunc_end81-_ZN4vllm25paged_attention_v1_kernelIttLi32ELi16ELi128ELNS_18Fp8KVCacheDataTypeE0ELb0EEEvPT_PKS2_PKT0_S8_ifPKiSA_iPKfiiiSC_SC_iiiii
                                        ; -- End function
	.set _ZN4vllm25paged_attention_v1_kernelIttLi32ELi16ELi128ELNS_18Fp8KVCacheDataTypeE0ELb0EEEvPT_PKS2_PKT0_S8_ifPKiSA_iPKfiiiSC_SC_iiiii.num_vgpr, 49
	.set _ZN4vllm25paged_attention_v1_kernelIttLi32ELi16ELi128ELNS_18Fp8KVCacheDataTypeE0ELb0EEEvPT_PKS2_PKT0_S8_ifPKiSA_iPKfiiiSC_SC_iiiii.num_agpr, 0
	.set _ZN4vllm25paged_attention_v1_kernelIttLi32ELi16ELi128ELNS_18Fp8KVCacheDataTypeE0ELb0EEEvPT_PKS2_PKT0_S8_ifPKiSA_iPKfiiiSC_SC_iiiii.numbered_sgpr, 27
	.set _ZN4vllm25paged_attention_v1_kernelIttLi32ELi16ELi128ELNS_18Fp8KVCacheDataTypeE0ELb0EEEvPT_PKS2_PKT0_S8_ifPKiSA_iPKfiiiSC_SC_iiiii.num_named_barrier, 0
	.set _ZN4vllm25paged_attention_v1_kernelIttLi32ELi16ELi128ELNS_18Fp8KVCacheDataTypeE0ELb0EEEvPT_PKS2_PKT0_S8_ifPKiSA_iPKfiiiSC_SC_iiiii.private_seg_size, 0
	.set _ZN4vllm25paged_attention_v1_kernelIttLi32ELi16ELi128ELNS_18Fp8KVCacheDataTypeE0ELb0EEEvPT_PKS2_PKT0_S8_ifPKiSA_iPKfiiiSC_SC_iiiii.uses_vcc, 1
	.set _ZN4vllm25paged_attention_v1_kernelIttLi32ELi16ELi128ELNS_18Fp8KVCacheDataTypeE0ELb0EEEvPT_PKS2_PKT0_S8_ifPKiSA_iPKfiiiSC_SC_iiiii.uses_flat_scratch, 0
	.set _ZN4vllm25paged_attention_v1_kernelIttLi32ELi16ELi128ELNS_18Fp8KVCacheDataTypeE0ELb0EEEvPT_PKS2_PKT0_S8_ifPKiSA_iPKfiiiSC_SC_iiiii.has_dyn_sized_stack, 0
	.set _ZN4vllm25paged_attention_v1_kernelIttLi32ELi16ELi128ELNS_18Fp8KVCacheDataTypeE0ELb0EEEvPT_PKS2_PKT0_S8_ifPKiSA_iPKfiiiSC_SC_iiiii.has_recursion, 0
	.set _ZN4vllm25paged_attention_v1_kernelIttLi32ELi16ELi128ELNS_18Fp8KVCacheDataTypeE0ELb0EEEvPT_PKS2_PKT0_S8_ifPKiSA_iPKfiiiSC_SC_iiiii.has_indirect_call, 0
	.section	.AMDGPU.csdata,"",@progbits
; Kernel info:
; codeLenInByte = 4712
; TotalNumSgprs: 29
; NumVgprs: 49
; ScratchSize: 0
; MemoryBound: 0
; FloatMode: 240
; IeeeMode: 1
; LDSByteSize: 96 bytes/workgroup (compile time only)
; SGPRBlocks: 0
; VGPRBlocks: 6
; NumSGPRsForWavesPerEU: 29
; NumVGPRsForWavesPerEU: 49
; Occupancy: 16
; WaveLimiterHint : 1
; COMPUTE_PGM_RSRC2:SCRATCH_EN: 0
; COMPUTE_PGM_RSRC2:USER_SGPR: 6
; COMPUTE_PGM_RSRC2:TRAP_HANDLER: 0
; COMPUTE_PGM_RSRC2:TGID_X_EN: 1
; COMPUTE_PGM_RSRC2:TGID_Y_EN: 1
; COMPUTE_PGM_RSRC2:TGID_Z_EN: 1
; COMPUTE_PGM_RSRC2:TIDIG_COMP_CNT: 0
	.section	.text._ZN4vllm25paged_attention_v1_kernelIttLi64ELi16ELi128ELNS_18Fp8KVCacheDataTypeE0ELb0EEEvPT_PKS2_PKT0_S8_ifPKiSA_iPKfiiiSC_SC_iiiii,"axG",@progbits,_ZN4vllm25paged_attention_v1_kernelIttLi64ELi16ELi128ELNS_18Fp8KVCacheDataTypeE0ELb0EEEvPT_PKS2_PKT0_S8_ifPKiSA_iPKfiiiSC_SC_iiiii,comdat
	.protected	_ZN4vllm25paged_attention_v1_kernelIttLi64ELi16ELi128ELNS_18Fp8KVCacheDataTypeE0ELb0EEEvPT_PKS2_PKT0_S8_ifPKiSA_iPKfiiiSC_SC_iiiii ; -- Begin function _ZN4vllm25paged_attention_v1_kernelIttLi64ELi16ELi128ELNS_18Fp8KVCacheDataTypeE0ELb0EEEvPT_PKS2_PKT0_S8_ifPKiSA_iPKfiiiSC_SC_iiiii
	.globl	_ZN4vllm25paged_attention_v1_kernelIttLi64ELi16ELi128ELNS_18Fp8KVCacheDataTypeE0ELb0EEEvPT_PKS2_PKT0_S8_ifPKiSA_iPKfiiiSC_SC_iiiii
	.p2align	8
	.type	_ZN4vllm25paged_attention_v1_kernelIttLi64ELi16ELi128ELNS_18Fp8KVCacheDataTypeE0ELb0EEEvPT_PKS2_PKT0_S8_ifPKiSA_iPKfiiiSC_SC_iiiii,@function
_ZN4vllm25paged_attention_v1_kernelIttLi64ELi16ELi128ELNS_18Fp8KVCacheDataTypeE0ELb0EEEvPT_PKS2_PKT0_S8_ifPKiSA_iPKfiiiSC_SC_iiiii: ; @_ZN4vllm25paged_attention_v1_kernelIttLi64ELi16ELi128ELNS_18Fp8KVCacheDataTypeE0ELb0EEEvPT_PKS2_PKT0_S8_ifPKiSA_iPKfiiiSC_SC_iiiii
; %bb.0:
	s_clause 0x2
	s_load_dword s9, s[4:5], 0x80
	s_load_dwordx2 s[0:1], s[4:5], 0x30
	s_load_dwordx2 s[24:25], s[4:5], 0x20
	s_mov_b32 s10, s7
	s_ashr_i32 s11, s7, 31
	s_lshl_b64 s[2:3], s[10:11], 2
	s_waitcnt lgkmcnt(0)
	s_add_u32 s0, s0, s2
	s_addc_u32 s1, s1, s3
	s_abs_i32 s2, s24
	s_abs_i32 s11, s9
	v_cvt_f32_u32_e32 v1, s2
	s_sub_i32 s7, 0, s2
	v_rcp_iflag_f32_e32 v1, v1
	v_mul_f32_e32 v1, 0x4f7ffffe, v1
	v_cvt_u32_f32_e32 v1, v1
	v_readfirstlane_b32 s3, v1
	s_mul_i32 s7, s7, s3
	s_mul_hi_u32 s7, s3, s7
	s_add_i32 s3, s3, s7
	s_xor_b32 s7, s9, s24
	s_mul_hi_u32 s3, s11, s3
	s_ashr_i32 s7, s7, 31
	s_mul_i32 s12, s3, s2
	s_mov_b32 s24, 0
	s_sub_i32 s11, s11, s12
	s_add_i32 s12, s3, 1
	s_sub_i32 s13, s11, s2
	s_cmp_ge_u32 s11, s2
	s_cselect_b32 s3, s12, s3
	s_cselect_b32 s11, s13, s11
	s_add_i32 s12, s3, 1
	s_cmp_ge_u32 s11, s2
	s_cselect_b32 s2, s12, s3
	s_abs_i32 s17, s6
	s_xor_b32 s2, s2, s7
	s_sub_i32 s18, s2, s7
	s_load_dwordx2 s[2:3], s[4:5], 0x40
	s_abs_i32 s16, s18
	v_cvt_f32_u32_e32 v1, s16
	s_sub_i32 s11, 0, s16
	v_rcp_iflag_f32_e32 v1, v1
	v_mul_f32_e32 v1, 0x4f7ffffe, v1
	v_cvt_u32_f32_e32 v1, v1
	v_readfirstlane_b32 s7, v1
	s_mul_i32 s11, s11, s7
	s_mul_hi_u32 s11, s7, s11
	s_add_i32 s7, s7, s11
	s_waitcnt lgkmcnt(0)
	s_cmp_eq_u64 s[2:3], 0
	s_mul_hi_u32 s20, s17, s7
	s_cbranch_scc1 .LBB82_2
; %bb.1:
	s_ashr_i32 s7, s6, 31
	s_lshl_b64 s[12:13], s[6:7], 2
	s_add_u32 s2, s2, s12
	s_addc_u32 s3, s3, s13
	s_load_dword s24, s[2:3], 0x0
.LBB82_2:
	s_load_dword s11, s[0:1], 0x0
	s_load_dwordx4 s[12:15], s[4:5], 0x48
	v_lshrrev_b32_e32 v13, 1, v0
	v_and_b32_e32 v14, 1, v0
	v_lshlrev_b32_e32 v16, 3, v0
	s_ashr_i32 s0, s6, 31
	s_ashr_i32 s1, s18, 31
	s_lshl_b32 s6, s6, 6
	s_mov_b32 s2, exec_lo
	v_cmpx_gt_u32_e32 16, v0
	s_cbranch_execz .LBB82_4
; %bb.3:
	s_load_dwordx2 s[18:19], s[4:5], 0x8
	s_waitcnt lgkmcnt(0)
	s_mul_i32 s22, s12, s10
	v_lshlrev_b32_e32 v3, 3, v13
	s_ashr_i32 s23, s22, 31
	s_lshl_b64 s[22:23], s[22:23], 1
	v_lshl_add_u32 v3, v14, 6, v3
	s_add_u32 s3, s18, s22
	s_addc_u32 s12, s19, s23
	s_ashr_i32 s7, s6, 31
	s_lshl_b64 s[18:19], s[6:7], 1
	s_add_u32 s18, s3, s18
	s_addc_u32 s19, s12, s19
	global_load_dwordx2 v[1:2], v16, s[18:19]
	s_waitcnt vmcnt(0)
	ds_write_b64 v3, v[1:2]
.LBB82_4:
	s_or_b32 exec_lo, exec_lo, s2
	s_waitcnt lgkmcnt(0)
	s_add_i32 s2, s11, 15
	s_clause 0x1
	s_load_dwordx2 s[18:19], s[4:5], 0x28
	s_load_dword s7, s[4:5], 0x38
	s_ashr_i32 s3, s2, 31
	s_xor_b32 s0, s0, s1
	s_lshr_b32 s3, s3, 28
	s_mul_i32 s1, s20, s16
	s_add_i32 s2, s2, s3
	s_sub_i32 s1, s17, s1
	s_ashr_i32 s12, s2, 4
	s_add_i32 s2, s20, 1
	s_sub_i32 s3, s1, s16
	s_cmp_ge_u32 s1, s16
	v_lshrrev_b32_e32 v15, 5, v0
	s_cselect_b32 s2, s2, s20
	s_cselect_b32 s1, s3, s1
	s_add_i32 s3, s2, 1
	s_cmp_ge_u32 s1, s16
	v_mbcnt_lo_u32_b32 v18, -1, 0
	s_cselect_b32 s1, s3, s2
	s_mov_b32 s2, exec_lo
	s_xor_b32 s1, s1, s0
	s_waitcnt lgkmcnt(0)
	s_mul_i32 s20, s7, s10
	s_sub_i32 s1, s1, s0
	v_cmp_gt_i32_e64 s0, s12, v15
	s_ashr_i32 s21, s20, 31
	s_barrier
	buffer_gl0_inv
                                        ; implicit-def: $vgpr19
                                        ; implicit-def: $vgpr20
	v_cmpx_le_i32_e64 s12, v15
	s_xor_b32 s2, exec_lo, s2
; %bb.5:
	v_mov_b32_e32 v19, 0
	v_mbcnt_lo_u32_b32 v18, -1, 0
	v_mov_b32_e32 v20, 32
; %bb.6:
	s_or_saveexec_b32 s26, s2
	s_clause 0x2
	s_load_dwordx2 s[16:17], s[4:5], 0x0
	s_load_dwordx2 s[22:23], s[4:5], 0x18
	s_load_dword s7, s[4:5], 0x88
	v_mov_b32_e32 v21, 0xff7fffff
	v_lshrrev_b32_e32 v17, 3, v0
	s_mul_i32 s14, s1, s14
	s_xor_b32 exec_lo, exec_lo, s26
	s_cbranch_execz .LBB82_12
; %bb.7:
	s_load_dwordx2 s[2:3], s[4:5], 0x10
	v_bfe_u32 v1, v0, 1, 4
	s_ashr_i32 s15, s14, 31
	v_and_b32_e32 v3, 8, v16
	s_lshl_b64 s[4:5], s[14:15], 1
	v_and_b32_e32 v4, 0x7c, v17
	v_lshlrev_b32_e32 v2, 2, v1
	v_lshlrev_b32_e32 v5, 4, v1
	v_lshl_or_b32 v23, v15, 4, v1
	v_mov_b32_e32 v19, 0
	v_lshlrev_b32_e32 v22, 6, v14
	v_lshl_or_b32 v2, v15, 6, v2
	v_cmp_neq_f32_e64 s1, s24, 0
	v_mov_b32_e32 v21, 0xff7fffff
	v_xor_b32_e32 v27, 1, v18
	v_mov_b32_e32 v20, 32
	v_add_nc_u32_e32 v24, 0xa0, v2
	v_mov_b32_e32 v28, v15
	v_cmp_eq_u32_e32 vcc_lo, 0, v14
	s_waitcnt lgkmcnt(0)
	s_add_u32 s15, s2, s4
	s_addc_u32 s5, s3, s5
	v_add_co_u32 v1, s15, s15, v5
	v_add_co_ci_u32_e64 v2, null, s5, 0, s15
	s_lshl_b64 s[2:3], s[20:21], 2
	s_sub_i32 s4, 1, s11
	s_add_u32 s5, s18, s2
	v_add_co_u32 v25, s2, v1, v3
	s_addc_u32 s3, s19, s3
	v_add_co_ci_u32_e64 v26, null, 0, v2, s2
	v_add_co_u32 v1, s2, s5, v4
	v_add_co_ci_u32_e64 v2, null, s3, 0, s2
	s_mov_b32 s15, s13
	s_mov_b32 s5, 0
	s_branch .LBB82_9
.LBB82_8:                               ;   in Loop: Header=BB82_9 Depth=1
	s_or_b32 exec_lo, exec_lo, s3
	v_add_nc_u32_e32 v28, 4, v28
	v_add_co_u32 v1, s3, v1, 16
	v_add_nc_u32_e32 v23, 64, v23
	v_add_nc_u32_e32 v24, 0x100, v24
	v_cmp_le_i32_e64 s2, s12, v28
	v_add_co_ci_u32_e64 v2, null, 0, v2, s3
	s_or_b32 s5, s2, s5
	s_andn2_b32 exec_lo, exec_lo, s5
	s_cbranch_execz .LBB82_11
.LBB82_9:                               ; =>This Inner Loop Header: Depth=1
	global_load_dword v3, v[1:2], off
	s_waitcnt vmcnt(0) lgkmcnt(0)
	v_mad_i64_i32 v[3:4], null, v3, s15, 0
	v_lshlrev_b64 v[3:4], 1, v[3:4]
	v_add_co_u32 v3, s2, v25, v3
	v_add_co_ci_u32_e64 v4, null, v26, v4, s2
	v_cmp_gt_i32_e64 s2, 32, v27
	s_clause 0x7
	global_load_dwordx2 v[30:31], v[3:4], off
	global_load_dwordx2 v[37:38], v[3:4], off offset:256
	global_load_dwordx2 v[45:46], v[3:4], off offset:512
	;; [unrolled: 1-line block ×7, first 2 shown]
	ds_read_b64 v[32:33], v22
	s_waitcnt lgkmcnt(0)
	v_and_b32_e32 v29, 0xffff, v32
	v_lshrrev_b32_e32 v32, 16, v32
	v_lshrrev_b32_e32 v35, 16, v33
	v_and_b32_e32 v36, 0xffff, v33
	;;#ASMSTART
	v_cvt_f32_f16 v29, v29;
	;;#ASMEND
	s_waitcnt vmcnt(7)
	v_and_b32_e32 v33, 0xffff, v30
	v_lshrrev_b32_e32 v34, 16, v30
	v_lshrrev_b32_e32 v39, 16, v31
	v_and_b32_e32 v40, 0xffff, v31
	;;#ASMSTART
	v_cvt_f32_f16 v30, v32;
	;;#ASMEND
	;;#ASMSTART
	v_cvt_f32_f16 v33, v33;
	;;#ASMEND
	;; [unrolled: 3-line block ×7, first 2 shown]
	ds_read_b64 v[39:40], v22 offset:8
	s_waitcnt vmcnt(6)
	v_lshrrev_b32_e32 v42, 16, v37
	v_and_b32_e32 v41, 0xffff, v37
	v_lshrrev_b32_e32 v44, 16, v38
	v_and_b32_e32 v43, 0xffff, v38
	s_waitcnt vmcnt(5)
	v_lshrrev_b32_e32 v52, 16, v45
	v_and_b32_e32 v45, 0xffff, v45
	v_lshrrev_b32_e32 v55, 16, v46
	v_and_b32_e32 v46, 0xffff, v46
	;; [unrolled: 5-line block ×4, first 2 shown]
	s_waitcnt vmcnt(2)
	v_lshrrev_b32_e32 v68, 16, v7
	v_and_b32_e32 v7, 0xffff, v7
	v_lshrrev_b32_e32 v72, 16, v8
	s_waitcnt lgkmcnt(0)
	v_and_b32_e32 v37, 0xffff, v39
	v_lshrrev_b32_e32 v39, 16, v39
	v_lshrrev_b32_e32 v47, 16, v40
	v_and_b32_e32 v40, 0xffff, v40
	;;#ASMSTART
	v_cvt_f32_f16 v37, v37;
	;;#ASMEND
	;;#ASMSTART
	v_cvt_f32_f16 v38, v39;
	;;#ASMEND
	;; [unrolled: 3-line block ×8, first 2 shown]
	ds_read_b64 v[47:48], v22 offset:16
	v_and_b32_e32 v8, 0xffff, v8
	v_mul_f32_e32 v37, v37, v41
	v_mul_f32_e32 v38, v38, v42
	;; [unrolled: 1-line block ×4, first 2 shown]
	s_waitcnt vmcnt(1)
	v_lshrrev_b32_e32 v73, 16, v5
	v_fmac_f32_e32 v37, v29, v33
	v_fmac_f32_e32 v38, v30, v34
	;; [unrolled: 1-line block ×3, first 2 shown]
	v_and_b32_e32 v5, 0xffff, v5
	v_lshrrev_b32_e32 v74, 16, v6
	v_and_b32_e32 v6, 0xffff, v6
	v_fmac_f32_e32 v40, v32, v36
	s_waitcnt vmcnt(0)
	v_lshrrev_b32_e32 v41, 16, v3
	v_and_b32_e32 v35, 0xffff, v3
	s_waitcnt lgkmcnt(0)
	v_and_b32_e32 v49, 0xffff, v47
	v_lshrrev_b32_e32 v47, 16, v47
	v_lshrrev_b32_e32 v54, 16, v48
	v_and_b32_e32 v48, 0xffff, v48
	;;#ASMSTART
	v_cvt_f32_f16 v49, v49;
	;;#ASMEND
	;;#ASMSTART
	v_cvt_f32_f16 v50, v47;
	;;#ASMEND
	;;#ASMSTART
	v_cvt_f32_f16 v51, v45;
	;;#ASMEND
	;;#ASMSTART
	v_cvt_f32_f16 v52, v52;
	;;#ASMEND
	;;#ASMSTART
	v_cvt_f32_f16 v53, v48;
	;;#ASMEND
	;;#ASMSTART
	v_cvt_f32_f16 v45, v54;
	;;#ASMEND
	;;#ASMSTART
	v_cvt_f32_f16 v54, v46;
	;;#ASMEND
	;;#ASMSTART
	v_cvt_f32_f16 v46, v55;
	;;#ASMEND
	ds_read_b64 v[47:48], v22 offset:24
	v_fmac_f32_e32 v37, v49, v51
	v_fmac_f32_e32 v38, v50, v52
	v_fmac_f32_e32 v39, v53, v54
	v_fmac_f32_e32 v40, v45, v46
	s_waitcnt lgkmcnt(0)
	v_and_b32_e32 v55, 0xffff, v47
	v_lshrrev_b32_e32 v57, 16, v47
	v_lshrrev_b32_e32 v58, 16, v48
	v_and_b32_e32 v59, 0xffff, v48
	;;#ASMSTART
	v_cvt_f32_f16 v47, v55;
	;;#ASMEND
	;;#ASMSTART
	v_cvt_f32_f16 v48, v57;
	;;#ASMEND
	;;#ASMSTART
	v_cvt_f32_f16 v55, v11;
	;;#ASMEND
	;;#ASMSTART
	v_cvt_f32_f16 v56, v56;
	;;#ASMEND
	;;#ASMSTART
	v_cvt_f32_f16 v57, v59;
	;;#ASMEND
	;;#ASMSTART
	v_cvt_f32_f16 v58, v58;
	;;#ASMEND
	;;#ASMSTART
	v_cvt_f32_f16 v59, v12;
	;;#ASMEND
	;;#ASMSTART
	v_cvt_f32_f16 v60, v60;
	;;#ASMEND
	ds_read_b64 v[11:12], v22 offset:32
	v_fmac_f32_e32 v37, v47, v55
	v_fmac_f32_e32 v38, v48, v56
	v_fmac_f32_e32 v39, v57, v59
	v_fmac_f32_e32 v40, v58, v60
	;; [unrolled: 34-line block ×3, first 2 shown]
	v_lshrrev_b32_e32 v11, 16, v4
	s_waitcnt lgkmcnt(0)
	v_and_b32_e32 v67, 0xffff, v9
	v_lshrrev_b32_e32 v69, 16, v9
	v_lshrrev_b32_e32 v70, 16, v10
	v_and_b32_e32 v71, 0xffff, v10
	;;#ASMSTART
	v_cvt_f32_f16 v9, v67;
	;;#ASMEND
	;;#ASMSTART
	v_cvt_f32_f16 v10, v69;
	;;#ASMEND
	;; [unrolled: 3-line block ×8, first 2 shown]
	ds_read_b64 v[7:8], v22 offset:48
	v_fmac_f32_e32 v37, v9, v67
	v_fmac_f32_e32 v38, v10, v68
	v_fmac_f32_e32 v39, v69, v71
	v_and_b32_e32 v9, 0xffff, v4
	v_fmac_f32_e32 v40, v70, v72
	s_waitcnt lgkmcnt(0)
	v_and_b32_e32 v29, 0xffff, v7
	v_lshrrev_b32_e32 v30, 16, v7
	v_lshrrev_b32_e32 v32, 16, v8
	v_and_b32_e32 v31, 0xffff, v8
	;;#ASMSTART
	v_cvt_f32_f16 v7, v29;
	;;#ASMEND
	;;#ASMSTART
	v_cvt_f32_f16 v8, v30;
	;;#ASMEND
	;; [unrolled: 3-line block ×8, first 2 shown]
	ds_read_b64 v[5:6], v22 offset:56
	v_fmac_f32_e32 v37, v7, v29
	v_fmac_f32_e32 v38, v8, v30
	;; [unrolled: 1-line block ×4, first 2 shown]
	s_waitcnt lgkmcnt(0)
	v_and_b32_e32 v3, 0xffff, v5
	v_lshrrev_b32_e32 v4, 16, v5
	v_lshrrev_b32_e32 v7, 16, v6
	v_and_b32_e32 v8, 0xffff, v6
	;;#ASMSTART
	v_cvt_f32_f16 v3, v3;
	;;#ASMEND
	;;#ASMSTART
	v_cvt_f32_f16 v4, v4;
	;;#ASMEND
	;; [unrolled: 3-line block ×4, first 2 shown]
	v_fmac_f32_e32 v37, v3, v5
	v_fmac_f32_e32 v38, v4, v6
	;;#ASMSTART
	v_cvt_f32_f16 v3, v8;
	;;#ASMEND
	;;#ASMSTART
	v_cvt_f32_f16 v4, v7;
	;;#ASMEND
	;; [unrolled: 3-line block ×3, first 2 shown]
	v_fmac_f32_e32 v39, v3, v5
	v_add_f32_e32 v3, v37, v38
	;;#ASMSTART
	v_cvt_f32_f16 v5, v11;
	;;#ASMEND
	v_fmac_f32_e32 v40, v4, v5
	v_cndmask_b32_e64 v4, v18, v27, s2
	v_add_f32_e32 v3, v3, v39
	v_lshlrev_b32_e32 v4, 2, v4
	v_add_f32_e32 v3, v40, v3
	ds_bpermute_b32 v4, v4, v3
	s_and_saveexec_b32 s3, vcc_lo
	s_cbranch_execz .LBB82_8
; %bb.10:                               ;   in Loop: Header=BB82_9 Depth=1
	v_add_nc_u32_e32 v5, s4, v23
	s_waitcnt lgkmcnt(0)
	v_add_f32_e32 v3, v3, v4
	v_cmp_gt_i32_e64 s2, s11, v23
	v_cvt_f32_i32_e32 v5, v5
	v_mul_f32_e32 v5, s24, v5
	v_cndmask_b32_e64 v4, 0, v5, s1
	v_max_f32_e32 v5, v21, v21
	v_fmac_f32_e32 v4, s25, v3
	v_max_f32_e32 v3, v5, v4
	v_cndmask_b32_e64 v4, 0, v4, s2
	v_cndmask_b32_e64 v21, v21, v3, s2
	ds_write_b32 v24, v4
	s_branch .LBB82_8
.LBB82_11:
	s_or_b32 exec_lo, exec_lo, s5
.LBB82_12:
	s_or_b32 exec_lo, exec_lo, s26
	v_xor_b32_e32 v1, 16, v18
	v_xor_b32_e32 v3, 8, v18
	v_max_f32_e32 v5, v21, v21
	v_xor_b32_e32 v6, 2, v18
	v_and_b32_e32 v9, 31, v0
	v_cmp_lt_i32_e32 vcc_lo, v1, v20
	v_cndmask_b32_e32 v1, v18, v1, vcc_lo
	v_cmp_lt_i32_e32 vcc_lo, v3, v20
	v_lshlrev_b32_e32 v2, 2, v1
	v_cndmask_b32_e32 v3, v18, v3, vcc_lo
	ds_bpermute_b32 v1, v2, v21
	s_waitcnt lgkmcnt(0)
	v_lshlrev_b32_e32 v4, 2, v3
	v_max_f32_e32 v1, v1, v1
	v_max_f32_e32 v1, v5, v1
	v_xor_b32_e32 v5, 4, v18
	ds_bpermute_b32 v3, v4, v1
	v_cmp_lt_i32_e32 vcc_lo, v5, v20
	v_cndmask_b32_e32 v5, v18, v5, vcc_lo
	v_cmp_lt_i32_e32 vcc_lo, v6, v20
	v_lshlrev_b32_e32 v5, 2, v5
	v_cndmask_b32_e32 v6, v18, v6, vcc_lo
	v_cmp_eq_u32_e32 vcc_lo, 0, v9
	s_waitcnt lgkmcnt(0)
	v_max_f32_e32 v3, v3, v3
	v_max_f32_e32 v1, v1, v3
	ds_bpermute_b32 v3, v5, v1
	s_waitcnt lgkmcnt(0)
	v_max_f32_e32 v3, v3, v3
	v_max_f32_e32 v3, v1, v3
	v_lshlrev_b32_e32 v1, 2, v6
	v_lshlrev_b32_e32 v6, 2, v15
	ds_bpermute_b32 v7, v1, v3
	s_and_saveexec_b32 s1, vcc_lo
	s_cbranch_execz .LBB82_14
; %bb.13:
	s_waitcnt lgkmcnt(0)
	v_max_f32_e32 v7, v7, v7
	v_max_f32_e32 v3, v3, v3
	v_max_f32_e32 v3, v3, v7
	ds_write_b32 v6, v3 offset:128
.LBB82_14:
	s_or_b32 exec_lo, exec_lo, s1
	v_cmp_gt_u32_e64 s1, 4, v9
	v_mov_b32_e32 v3, 0xff7fffff
	s_waitcnt lgkmcnt(0)
	v_lshlrev_b32_e32 v7, 2, v9
	s_barrier
	buffer_gl0_inv
	s_and_saveexec_b32 s2, s1
; %bb.15:
	ds_read_b32 v3, v7 offset:128
; %bb.16:
	s_or_b32 exec_lo, exec_lo, s2
	s_waitcnt lgkmcnt(0)
	ds_bpermute_b32 v8, v1, v3
	v_xor_b32_e32 v10, 1, v18
	v_max_f32_e32 v3, v3, v3
	v_cmp_lt_i32_e64 s2, v10, v20
	v_cndmask_b32_e64 v10, v18, v10, s2
	s_lshl_b32 s2, s12, 4
	s_min_i32 s4, s2, s11
	v_lshlrev_b32_e32 v10, 2, v10
	v_cmp_gt_i32_e64 s2, s4, v0
	s_waitcnt lgkmcnt(0)
	v_max_f32_e32 v8, v8, v8
	v_max_f32_e32 v3, v3, v8
	ds_bpermute_b32 v8, v10, v3
	s_waitcnt lgkmcnt(0)
	v_max_f32_e32 v8, v8, v8
	v_max_f32_e32 v3, v3, v8
	v_lshlrev_b32_e32 v8, 2, v19
	ds_bpermute_b32 v11, v8, v3
	v_mov_b32_e32 v8, 0
	v_lshl_add_u32 v3, v0, 2, 0xa0
	s_and_saveexec_b32 s5, s2
	s_cbranch_execz .LBB82_20
; %bb.17:
	v_lshl_add_u32 v12, v0, 2, 0xa0
	v_mov_b32_e32 v8, 0
	v_mov_b32_e32 v19, v0
	s_mov_b32 s15, 0
	.p2align	6
.LBB82_18:                              ; =>This Inner Loop Header: Depth=1
	ds_read_b32 v20, v12
	v_add_nc_u32_e32 v19, 0x80, v19
	v_cmp_le_i32_e64 s3, s4, v19
	s_or_b32 s15, s3, s15
	s_waitcnt lgkmcnt(0)
	v_sub_f32_e32 v20, v20, v11
	v_mul_f32_e32 v20, 0x3fb8aa3b, v20
	v_exp_f32_e32 v20, v20
	ds_write_b32 v12, v20
	v_add_f32_e32 v8, v8, v20
	v_add_nc_u32_e32 v12, 0x200, v12
	s_andn2_b32 exec_lo, exec_lo, s15
	s_cbranch_execnz .LBB82_18
; %bb.19:
	s_or_b32 exec_lo, exec_lo, s15
.LBB82_20:
	s_or_b32 exec_lo, exec_lo, s5
	ds_bpermute_b32 v2, v2, v8
	s_waitcnt lgkmcnt(0)
	v_add_f32_e32 v2, v8, v2
	ds_bpermute_b32 v4, v4, v2
	s_waitcnt lgkmcnt(0)
	v_add_f32_e32 v2, v2, v4
	;; [unrolled: 3-line block ×5, first 2 shown]
	s_and_saveexec_b32 s3, vcc_lo
; %bb.21:
	ds_write_b32 v6, v2 offset:144
; %bb.22:
	s_or_b32 exec_lo, exec_lo, s3
	s_waitcnt lgkmcnt(0)
	s_barrier
	buffer_gl0_inv
	s_and_saveexec_b32 s3, s1
; %bb.23:
	ds_read_b32 v2, v7 offset:144
; %bb.24:
	s_or_b32 exec_lo, exec_lo, s3
	s_waitcnt lgkmcnt(0)
	ds_bpermute_b32 v1, v1, v2
	v_lshlrev_b32_e32 v4, 2, v18
	s_waitcnt lgkmcnt(0)
	v_add_f32_e32 v1, v2, v1
	ds_bpermute_b32 v2, v10, v1
	s_waitcnt lgkmcnt(0)
	v_add_f32_e32 v1, v1, v2
	v_and_b32_e32 v2, 0xffffff80, v4
	ds_bpermute_b32 v1, v2, v1
	s_and_saveexec_b32 s1, s2
	s_cbranch_execz .LBB82_27
; %bb.25:
	s_waitcnt lgkmcnt(0)
	v_add_f32_e32 v1, 0x358637bd, v1
	s_mov_b32 s2, 0
	v_div_scale_f32 v2, null, v1, v1, 1.0
	v_div_scale_f32 v6, vcc_lo, 1.0, v1, 1.0
	v_rcp_f32_e32 v4, v2
	v_fma_f32 v5, -v2, v4, 1.0
	v_fmac_f32_e32 v4, v5, v4
	v_mul_f32_e32 v5, v6, v4
	v_fma_f32 v7, -v2, v5, v6
	v_fmac_f32_e32 v5, v7, v4
	v_fma_f32 v2, -v2, v5, v6
	v_div_fmas_f32 v2, v2, v4, v5
	v_div_fixup_f32 v1, v2, v1, 1.0
	v_mov_b32_e32 v2, v0
.LBB82_26:                              ; =>This Inner Loop Header: Depth=1
	ds_read_b32 v4, v3
	v_add_nc_u32_e32 v2, 0x80, v2
	v_cmp_le_i32_e32 vcc_lo, s4, v2
	s_or_b32 s2, vcc_lo, s2
	s_waitcnt lgkmcnt(0)
	v_mul_f32_e32 v4, v1, v4
	ds_write_b32 v3, v4
	v_add_nc_u32_e32 v3, 0x200, v3
	s_andn2_b32 exec_lo, exec_lo, s2
	s_cbranch_execnz .LBB82_26
.LBB82_27:
	s_or_b32 exec_lo, exec_lo, s1
	v_mov_b32_e32 v18, 0
	v_mov_b32_e32 v19, 0
	v_mov_b32_e32 v12, 0
	v_mov_b32_e32 v11, 0
	s_waitcnt lgkmcnt(0)
	s_barrier
	buffer_gl0_inv
	s_and_saveexec_b32 s2, s0
	s_cbranch_execz .LBB82_39
; %bb.28:
	v_lshlrev_b32_e32 v2, 4, v0
	s_ashr_i32 s15, s14, 31
	v_and_b32_e32 v1, 8, v16
	s_lshl_b64 s[0:1], s[14:15], 1
	v_lshlrev_b32_e32 v4, 4, v15
	v_and_b32_e32 v2, 0x1f0, v2
	s_add_u32 s0, s22, s0
	v_lshlrev_b32_e32 v3, 5, v14
	s_addc_u32 s1, s23, s1
	v_or3_b32 v22, v4, v1, 7
	v_add_co_u32 v20, s0, s0, v2
	v_and_b32_e32 v1, 0x7c, v17
	v_add_co_ci_u32_e64 v21, null, s1, 0, s0
	s_lshl_b64 s[0:1], s[20:21], 2
	s_add_i32 s3, s12, -1
	v_lshl_or_b32 v3, v15, 6, v3
	s_add_u32 s0, s18, s0
	s_addc_u32 s1, s19, s1
	v_add_co_u32 v5, s0, s0, v1
	v_mov_b32_e32 v16, 0
	v_add_nc_u32_e32 v17, 0xa0, v3
	v_add_co_ci_u32_e64 v6, null, s1, 0, s0
	v_mov_b32_e32 v11, 0
	v_mov_b32_e32 v12, 0
	;; [unrolled: 1-line block ×5, first 2 shown]
	s_mov_b32 s5, s13
	s_mov_b32 s4, 0
	s_branch .LBB82_30
.LBB82_29:                              ;   in Loop: Header=BB82_30 Depth=1
	s_or_b32 exec_lo, exec_lo, s1
	v_lshlrev_b32_e32 v24, 16, v41
	v_lshlrev_b32_e32 v8, 16, v8
	;; [unrolled: 1-line block ×3, first 2 shown]
	v_add_nc_u32_e32 v23, 4, v23
	v_add_co_u32 v5, s0, v5, 16
	v_and_or_b32 v1, 0xffff, v1, v24
	v_and_or_b32 v2, 0xffff, v2, v8
	;; [unrolled: 1-line block ×3, first 2 shown]
	;;#ASMSTART
	v_pk_mul_f16 v1, v32, v1;

	;;#ASMEND
	;;#ASMSTART
	v_pk_mul_f16 v2, v31, v2;

	;;#ASMEND
	;; [unrolled: 4-line block ×4, first 2 shown]
	;;#ASMSTART
	v_pk_add_f16 v1, v1, v2;

	;;#ASMEND
	;;#ASMSTART
	v_pk_add_f16 v1, v1, v3;

	;;#ASMEND
	;; [unrolled: 4-line block ×3, first 2 shown]
	v_and_b32_e32 v4, 0xffff, v1
	v_lshrrev_b32_e32 v7, 16, v1
	;;#ASMSTART
	v_cvt_f32_f16 v4, v4;
	;;#ASMEND
	v_add_f32_e32 v1, v39, v40
	v_add_f32_e32 v2, v37, v38
	;; [unrolled: 1-line block ×3, first 2 shown]
	;;#ASMSTART
	v_cvt_f32_f16 v7, v7;
	;;#ASMEND
	v_add_f32_e32 v4, v4, v7
	v_cmp_le_i32_e32 vcc_lo, s12, v23
	v_add_f32_e32 v12, v12, v1
	v_add_f32_e32 v19, v19, v2
	;; [unrolled: 1-line block ×4, first 2 shown]
	v_add_nc_u32_e32 v22, 64, v22
	v_add_nc_u32_e32 v17, 0x100, v17
	v_add_co_ci_u32_e64 v6, null, 0, v6, s0
	s_or_b32 s4, vcc_lo, s4
	s_andn2_b32 exec_lo, exec_lo, s4
	s_cbranch_execz .LBB82_38
.LBB82_30:                              ; =>This Inner Loop Header: Depth=1
	global_load_dword v7, v[5:6], off
	ds_read2_b64 v[1:4], v17 offset1:1
	ds_read2_b64 v[24:27], v17 offset0:2 offset1:3
	v_add_nc_u32_e32 v28, -7, v22
	v_cmp_eq_u32_e64 s0, s3, v23
	v_add_nc_u32_e32 v30, -6, v22
	v_add_nc_u32_e32 v29, -1, v22
	s_waitcnt lgkmcnt(1)
	;;#ASMSTART
	v_cvt_f16_f32 v32, v1;

	;;#ASMEND
	;;#ASMSTART
	v_cvt_f16_f32 v31, v2;

	;;#ASMEND
	;;#ASMSTART
	v_cvt_f16_f32 v37, v3;

	;;#ASMEND
	;;#ASMSTART
	v_cvt_f16_f32 v35, v4;

	;;#ASMEND
	s_waitcnt lgkmcnt(0)
	;;#ASMSTART
	v_cvt_f16_f32 v38, v24;

	;;#ASMEND
	;;#ASMSTART
	v_cvt_f16_f32 v33, v25;

	;;#ASMEND
	;; [unrolled: 4-line block ×4, first 2 shown]
	v_add_nc_u32_e32 v27, -5, v22
	v_add_nc_u32_e32 v26, -4, v22
	;; [unrolled: 1-line block ×4, first 2 shown]
	s_waitcnt vmcnt(0)
	v_mad_i64_i32 v[7:8], null, v7, s5, 0
	v_lshlrev_b64 v[7:8], 1, v[7:8]
	v_add_co_u32 v7, vcc_lo, v20, v7
	v_add_co_ci_u32_e64 v8, null, v21, v8, vcc_lo
	global_load_dwordx4 v[1:4], v[7:8], off
	s_waitcnt vmcnt(0)
	v_lshrrev_b32_e32 v41, 16, v1
	v_lshrrev_b32_e32 v40, 16, v2
	;; [unrolled: 1-line block ×3, first 2 shown]
	s_and_saveexec_b32 s13, s0
	s_cbranch_execz .LBB82_32
; %bb.31:                               ;   in Loop: Header=BB82_30 Depth=1
	v_cmp_gt_i32_e32 vcc_lo, s11, v28
	v_and_b32_e32 v42, 0xffff0000, v4
	v_cmp_gt_i32_e64 s1, s11, v27
	v_cndmask_b32_e32 v1, 0, v1, vcc_lo
	v_cmp_gt_i32_e32 vcc_lo, s11, v30
	v_cndmask_b32_e64 v2, 0, v2, s1
	v_cmp_gt_i32_e64 s1, s11, v26
	v_cndmask_b32_e32 v41, 0, v41, vcc_lo
	v_cmp_gt_i32_e32 vcc_lo, s11, v29
	v_cndmask_b32_e64 v40, 0, v40, s1
	v_cndmask_b32_sdwa v4, v16, v4, vcc_lo dst_sel:DWORD dst_unused:UNUSED_PAD src0_sel:DWORD src1_sel:WORD_0
	v_cmp_gt_i32_e32 vcc_lo, s11, v22
	v_cndmask_b32_e32 v42, 0, v42, vcc_lo
	v_cmp_gt_i32_e32 vcc_lo, s11, v25
	v_or_b32_e32 v4, v4, v42
	v_cndmask_b32_e32 v3, 0, v3, vcc_lo
	v_cmp_gt_i32_e32 vcc_lo, s11, v24
	v_cndmask_b32_e32 v39, 0, v39, vcc_lo
.LBB82_32:                              ;   in Loop: Header=BB82_30 Depth=1
	s_or_b32 exec_lo, exec_lo, s13
	v_and_b32_e32 v32, 0xffff, v32
	v_and_b32_e32 v37, 0xffff, v37
	v_lshlrev_b32_e32 v41, 16, v41
	v_and_b32_e32 v38, 0xffff, v38
	v_and_b32_e32 v36, 0xffff, v36
	v_lshl_or_b32 v32, v31, 16, v32
	v_lshl_or_b32 v31, v35, 16, v37
	v_lshlrev_b32_e32 v35, 16, v40
	v_lshlrev_b32_e32 v37, 16, v39
	v_and_or_b32 v1, 0xffff, v1, v41
	;;#ASMSTART
	v_pk_mul_f16 v1, v32, v1;

	;;#ASMEND
	v_lshl_or_b32 v33, v33, 16, v38
	v_and_or_b32 v2, 0xffff, v2, v35
	v_and_or_b32 v3, 0xffff, v3, v37
	v_lshl_or_b32 v34, v34, 16, v36
	;;#ASMSTART
	v_pk_mul_f16 v2, v31, v2;

	;;#ASMEND
	;;#ASMSTART
	v_pk_mul_f16 v3, v33, v3;

	;;#ASMEND
	;; [unrolled: 4-line block ×3, first 2 shown]
	;;#ASMSTART
	v_pk_add_f16 v1, v1, v2;

	;;#ASMEND
	;;#ASMSTART
	v_pk_add_f16 v1, v1, v3;

	;;#ASMEND
	;;#ASMSTART
	v_pk_add_f16 v1, v1, v4;

	;;#ASMEND
	v_and_b32_e32 v2, 0xffff, v1
	v_lshrrev_b32_e32 v1, 16, v1
	;;#ASMSTART
	v_cvt_f32_f16 v35, v2;
	;;#ASMEND
	;;#ASMSTART
	v_cvt_f32_f16 v36, v1;
	;;#ASMEND
	global_load_dwordx4 v[1:4], v[7:8], off offset:512
	s_waitcnt vmcnt(0)
	v_lshrrev_b32_e32 v39, 16, v1
	v_lshrrev_b32_e32 v38, 16, v2
	;; [unrolled: 1-line block ×3, first 2 shown]
	s_and_saveexec_b32 s13, s0
	s_cbranch_execz .LBB82_34
; %bb.33:                               ;   in Loop: Header=BB82_30 Depth=1
	v_cmp_gt_i32_e32 vcc_lo, s11, v28
	v_and_b32_e32 v40, 0xffff0000, v4
	v_cmp_gt_i32_e64 s1, s11, v27
	v_cndmask_b32_e32 v1, 0, v1, vcc_lo
	v_cmp_gt_i32_e32 vcc_lo, s11, v30
	v_cndmask_b32_e64 v2, 0, v2, s1
	v_cmp_gt_i32_e64 s1, s11, v26
	v_cndmask_b32_e32 v39, 0, v39, vcc_lo
	v_cmp_gt_i32_e32 vcc_lo, s11, v29
	v_cndmask_b32_e64 v38, 0, v38, s1
	v_cndmask_b32_sdwa v4, v16, v4, vcc_lo dst_sel:DWORD dst_unused:UNUSED_PAD src0_sel:DWORD src1_sel:WORD_0
	v_cmp_gt_i32_e32 vcc_lo, s11, v22
	v_cndmask_b32_e32 v40, 0, v40, vcc_lo
	v_cmp_gt_i32_e32 vcc_lo, s11, v25
	v_or_b32_e32 v4, v4, v40
	v_cndmask_b32_e32 v3, 0, v3, vcc_lo
	v_cmp_gt_i32_e32 vcc_lo, s11, v24
	v_cndmask_b32_e32 v37, 0, v37, vcc_lo
.LBB82_34:                              ;   in Loop: Header=BB82_30 Depth=1
	s_or_b32 exec_lo, exec_lo, s13
	v_lshlrev_b32_e32 v39, 16, v39
	v_lshlrev_b32_e32 v38, 16, v38
	;; [unrolled: 1-line block ×3, first 2 shown]
	v_and_or_b32 v1, 0xffff, v1, v39
	v_and_or_b32 v2, 0xffff, v2, v38
	;; [unrolled: 1-line block ×3, first 2 shown]
	;;#ASMSTART
	v_pk_mul_f16 v1, v32, v1;

	;;#ASMEND
	;;#ASMSTART
	v_pk_mul_f16 v2, v31, v2;

	;;#ASMEND
	;;#ASMSTART
	v_pk_mul_f16 v3, v33, v3;

	;;#ASMEND
	;;#ASMSTART
	v_pk_mul_f16 v4, v34, v4;

	;;#ASMEND
	;;#ASMSTART
	v_pk_add_f16 v1, v1, v2;

	;;#ASMEND
	;;#ASMSTART
	v_pk_add_f16 v1, v1, v3;

	;;#ASMEND
	;; [unrolled: 4-line block ×3, first 2 shown]
	v_and_b32_e32 v2, 0xffff, v1
	v_lshrrev_b32_e32 v1, 16, v1
	;;#ASMSTART
	v_cvt_f32_f16 v37, v2;
	;;#ASMEND
	;;#ASMSTART
	v_cvt_f32_f16 v38, v1;
	;;#ASMEND
	global_load_dwordx4 v[1:4], v[7:8], off offset:1024
	s_waitcnt vmcnt(0)
	v_lshrrev_b32_e32 v41, 16, v1
	v_lshrrev_b32_e32 v40, 16, v2
	;; [unrolled: 1-line block ×3, first 2 shown]
	s_and_saveexec_b32 s13, s0
	s_cbranch_execz .LBB82_36
; %bb.35:                               ;   in Loop: Header=BB82_30 Depth=1
	v_cmp_gt_i32_e32 vcc_lo, s11, v28
	v_and_b32_e32 v42, 0xffff0000, v4
	v_cmp_gt_i32_e64 s1, s11, v27
	v_cndmask_b32_e32 v1, 0, v1, vcc_lo
	v_cmp_gt_i32_e32 vcc_lo, s11, v30
	v_cndmask_b32_e64 v2, 0, v2, s1
	v_cmp_gt_i32_e64 s1, s11, v26
	v_cndmask_b32_e32 v41, 0, v41, vcc_lo
	v_cmp_gt_i32_e32 vcc_lo, s11, v29
	v_cndmask_b32_e64 v40, 0, v40, s1
	v_cndmask_b32_sdwa v4, v16, v4, vcc_lo dst_sel:DWORD dst_unused:UNUSED_PAD src0_sel:DWORD src1_sel:WORD_0
	v_cmp_gt_i32_e32 vcc_lo, s11, v22
	v_cndmask_b32_e32 v42, 0, v42, vcc_lo
	v_cmp_gt_i32_e32 vcc_lo, s11, v25
	v_or_b32_e32 v4, v4, v42
	v_cndmask_b32_e32 v3, 0, v3, vcc_lo
	v_cmp_gt_i32_e32 vcc_lo, s11, v24
	v_cndmask_b32_e32 v39, 0, v39, vcc_lo
.LBB82_36:                              ;   in Loop: Header=BB82_30 Depth=1
	s_or_b32 exec_lo, exec_lo, s13
	v_lshlrev_b32_e32 v41, 16, v41
	v_lshlrev_b32_e32 v40, 16, v40
	v_lshlrev_b32_e32 v39, 16, v39
	v_and_or_b32 v1, 0xffff, v1, v41
	v_and_or_b32 v2, 0xffff, v2, v40
	;; [unrolled: 1-line block ×3, first 2 shown]
	;;#ASMSTART
	v_pk_mul_f16 v1, v32, v1;

	;;#ASMEND
	;;#ASMSTART
	v_pk_mul_f16 v2, v31, v2;

	;;#ASMEND
	;; [unrolled: 4-line block ×4, first 2 shown]
	;;#ASMSTART
	v_pk_add_f16 v1, v1, v2;

	;;#ASMEND
	;;#ASMSTART
	v_pk_add_f16 v1, v1, v3;

	;;#ASMEND
	;; [unrolled: 4-line block ×3, first 2 shown]
	v_and_b32_e32 v2, 0xffff, v1
	v_lshrrev_b32_e32 v1, 16, v1
	;;#ASMSTART
	v_cvt_f32_f16 v39, v2;
	;;#ASMEND
	;;#ASMSTART
	v_cvt_f32_f16 v40, v1;
	;;#ASMEND
	global_load_dwordx4 v[1:4], v[7:8], off offset:1536
	s_waitcnt vmcnt(0)
	v_lshrrev_b32_e32 v41, 16, v1
	v_lshrrev_b32_e32 v8, 16, v2
	;; [unrolled: 1-line block ×3, first 2 shown]
	s_and_saveexec_b32 s1, s0
	s_cbranch_execz .LBB82_29
; %bb.37:                               ;   in Loop: Header=BB82_30 Depth=1
	v_cmp_gt_i32_e32 vcc_lo, s11, v28
	v_cmp_gt_i32_e64 s0, s11, v27
	v_cndmask_b32_e32 v1, 0, v1, vcc_lo
	v_cmp_gt_i32_e32 vcc_lo, s11, v30
	v_cndmask_b32_e64 v2, 0, v2, s0
	v_cmp_gt_i32_e64 s0, s11, v26
	v_and_b32_e32 v26, 0xffff0000, v4
	v_cndmask_b32_e32 v41, 0, v41, vcc_lo
	v_cmp_gt_i32_e32 vcc_lo, s11, v29
	v_cndmask_b32_e64 v8, 0, v8, s0
	v_cndmask_b32_sdwa v4, v16, v4, vcc_lo dst_sel:DWORD dst_unused:UNUSED_PAD src0_sel:DWORD src1_sel:WORD_0
	v_cmp_gt_i32_e32 vcc_lo, s11, v22
	v_cndmask_b32_e32 v26, 0, v26, vcc_lo
	v_cmp_gt_i32_e32 vcc_lo, s11, v25
	v_or_b32_e32 v4, v4, v26
	v_cndmask_b32_e32 v3, 0, v3, vcc_lo
	v_cmp_gt_i32_e32 vcc_lo, s11, v24
	v_cndmask_b32_e32 v7, 0, v7, vcc_lo
	s_branch .LBB82_29
.LBB82_38:
	s_or_b32 exec_lo, exec_lo, s4
.LBB82_39:
	s_or_b32 exec_lo, exec_lo, s2
	ds_bpermute_b32 v1, v10, v18
	ds_bpermute_b32 v2, v10, v19
	;; [unrolled: 1-line block ×4, first 2 shown]
	v_lshrrev_b32_e32 v5, 1, v9
	v_lshlrev_b32_e32 v7, 8, v15
	v_and_b32_e32 v9, 0x3c1, v0
	s_mov_b32 s0, exec_lo
	s_waitcnt lgkmcnt(0)
	v_lshl_add_u32 v6, v5, 2, 0xa0
	s_barrier
	buffer_gl0_inv
	v_add_f32_e32 v4, v18, v1
	v_add_f32_e32 v3, v19, v2
	;; [unrolled: 1-line block ×4, first 2 shown]
	v_cmpx_eq_u32_e32 64, v9
	s_cbranch_execz .LBB82_41
; %bb.40:
	v_add_nc_u32_e32 v8, v6, v7
	v_add_nc_u32_e32 v9, 0xfffffe00, v8
	;; [unrolled: 1-line block ×5, first 2 shown]
	ds_write_b32 v9, v4
	ds_write_b32 v10, v3
	ds_write_b32 v11, v2
	ds_write_b32 v8, v1
.LBB82_41:
	s_or_b32 exec_lo, exec_lo, s0
	v_lshlrev_b32_e32 v5, 2, v5
	s_mov_b32 s1, exec_lo
	v_cmp_eq_u32_e32 vcc_lo, 0, v14
	s_waitcnt lgkmcnt(0)
	s_barrier
	v_add3_u32 v5, 0xa0, v7, v5
	buffer_gl0_inv
	v_cmpx_gt_u32_e32 64, v0
	s_cbranch_execz .LBB82_48
; %bb.42:
	s_and_saveexec_b32 s0, vcc_lo
	s_cbranch_execnz .LBB82_60
; %bb.43:
	s_or_b32 exec_lo, exec_lo, s0
	s_and_saveexec_b32 s0, vcc_lo
	s_cbranch_execnz .LBB82_61
.LBB82_44:
	s_or_b32 exec_lo, exec_lo, s0
	s_and_saveexec_b32 s0, vcc_lo
	s_cbranch_execnz .LBB82_62
.LBB82_45:
	s_or_b32 exec_lo, exec_lo, s0
	s_and_saveexec_b32 s0, vcc_lo
	s_cbranch_execz .LBB82_47
.LBB82_46:
	ds_read_b32 v7, v5 offset:192
	s_waitcnt lgkmcnt(0)
	v_add_f32_e32 v1, v1, v7
.LBB82_47:
	s_or_b32 exec_lo, exec_lo, s0
.LBB82_48:
	s_or_b32 exec_lo, exec_lo, s1
	v_and_b32_e32 v7, 0x3e1, v0
	s_mov_b32 s1, exec_lo
	s_barrier
	buffer_gl0_inv
	v_cmpx_eq_u32_e32 32, v7
	s_cbranch_execz .LBB82_50
; %bb.49:
	ds_write2_b32 v6, v4, v3 offset1:16
	ds_write2_b32 v6, v2, v1 offset0:32 offset1:48
.LBB82_50:
	s_or_b32 exec_lo, exec_lo, s1
	s_mov_b32 s1, exec_lo
	s_waitcnt lgkmcnt(0)
	s_barrier
	buffer_gl0_inv
	v_cmpx_gt_u32_e32 32, v0
	s_cbranch_execz .LBB82_57
; %bb.51:
	s_and_saveexec_b32 s0, vcc_lo
	s_cbranch_execnz .LBB82_63
; %bb.52:
	s_or_b32 exec_lo, exec_lo, s0
	s_and_saveexec_b32 s0, vcc_lo
	s_cbranch_execnz .LBB82_64
.LBB82_53:
	s_or_b32 exec_lo, exec_lo, s0
	s_and_saveexec_b32 s0, vcc_lo
	s_cbranch_execnz .LBB82_65
.LBB82_54:
	s_or_b32 exec_lo, exec_lo, s0
	s_and_saveexec_b32 s0, vcc_lo
	s_cbranch_execz .LBB82_56
.LBB82_55:
	ds_read_b32 v0, v5 offset:192
	s_waitcnt lgkmcnt(0)
	v_add_f32_e32 v1, v1, v0
.LBB82_56:
	s_or_b32 exec_lo, exec_lo, s0
.LBB82_57:
	s_or_b32 exec_lo, exec_lo, s1
	s_barrier
	buffer_gl0_inv
	s_mov_b32 s0, exec_lo
	v_cmpx_eq_u32_e32 0, v7
	s_cbranch_execz .LBB82_59
; %bb.58:
	s_mul_i32 s0, s10, s7
	s_mul_i32 s2, s7, s6
	;; [unrolled: 1-line block ×3, first 2 shown]
	v_lshlrev_b32_e32 v0, 1, v13
	s_lshl_b32 s0, s0, 6
	;;#ASMSTART
	v_cvt_f16_f32 v4, v4;

	;;#ASMEND
	s_ashr_i32 s1, s0, 31
	s_lshl_b64 s[0:1], s[0:1], 1
	s_add_u32 s4, s16, s0
	s_addc_u32 s5, s17, s1
	s_ashr_i32 s3, s2, 31
	s_lshl_b64 s[0:1], s[2:3], 1
	s_add_u32 s2, s4, s0
	s_addc_u32 s3, s5, s1
	s_lshl_b32 s0, s8, 6
	s_ashr_i32 s1, s0, 31
	s_lshl_b64 s[0:1], s[0:1], 1
	s_add_u32 s0, s2, s0
	s_addc_u32 s1, s3, s1
	global_store_short v0, v4, s[0:1]
	;;#ASMSTART
	v_cvt_f16_f32 v3, v3;

	;;#ASMEND
	global_store_short v0, v3, s[0:1] offset:32
	;;#ASMSTART
	v_cvt_f16_f32 v2, v2;

	;;#ASMEND
	global_store_short v0, v2, s[0:1] offset:64
	;; [unrolled: 5-line block ×3, first 2 shown]
.LBB82_59:
	s_endpgm
.LBB82_60:
	ds_read_b32 v7, v5
	s_waitcnt lgkmcnt(0)
	v_add_f32_e32 v4, v4, v7
	s_or_b32 exec_lo, exec_lo, s0
	s_and_saveexec_b32 s0, vcc_lo
	s_cbranch_execz .LBB82_44
.LBB82_61:
	ds_read_b32 v7, v5 offset:64
	s_waitcnt lgkmcnt(0)
	v_add_f32_e32 v3, v3, v7
	s_or_b32 exec_lo, exec_lo, s0
	s_and_saveexec_b32 s0, vcc_lo
	s_cbranch_execz .LBB82_45
.LBB82_62:
	ds_read_b32 v7, v5 offset:128
	s_waitcnt lgkmcnt(0)
	v_add_f32_e32 v2, v2, v7
	s_or_b32 exec_lo, exec_lo, s0
	s_and_saveexec_b32 s0, vcc_lo
	s_cbranch_execnz .LBB82_46
	s_branch .LBB82_47
.LBB82_63:
	ds_read_b32 v0, v5
	s_waitcnt lgkmcnt(0)
	v_add_f32_e32 v4, v4, v0
	s_or_b32 exec_lo, exec_lo, s0
	s_and_saveexec_b32 s0, vcc_lo
	s_cbranch_execz .LBB82_53
.LBB82_64:
	ds_read_b32 v0, v5 offset:64
	s_waitcnt lgkmcnt(0)
	v_add_f32_e32 v3, v3, v0
	s_or_b32 exec_lo, exec_lo, s0
	s_and_saveexec_b32 s0, vcc_lo
	s_cbranch_execz .LBB82_54
.LBB82_65:
	ds_read_b32 v0, v5 offset:128
	s_waitcnt lgkmcnt(0)
	v_add_f32_e32 v2, v2, v0
	s_or_b32 exec_lo, exec_lo, s0
	s_and_saveexec_b32 s0, vcc_lo
	s_cbranch_execnz .LBB82_55
	s_branch .LBB82_56
	.section	.rodata,"a",@progbits
	.p2align	6, 0x0
	.amdhsa_kernel _ZN4vllm25paged_attention_v1_kernelIttLi64ELi16ELi128ELNS_18Fp8KVCacheDataTypeE0ELb0EEEvPT_PKS2_PKT0_S8_ifPKiSA_iPKfiiiSC_SC_iiiii
		.amdhsa_group_segment_fixed_size 160
		.amdhsa_private_segment_fixed_size 0
		.amdhsa_kernarg_size 384
		.amdhsa_user_sgpr_count 6
		.amdhsa_user_sgpr_private_segment_buffer 1
		.amdhsa_user_sgpr_dispatch_ptr 0
		.amdhsa_user_sgpr_queue_ptr 0
		.amdhsa_user_sgpr_kernarg_segment_ptr 1
		.amdhsa_user_sgpr_dispatch_id 0
		.amdhsa_user_sgpr_flat_scratch_init 0
		.amdhsa_user_sgpr_private_segment_size 0
		.amdhsa_wavefront_size32 1
		.amdhsa_uses_dynamic_stack 0
		.amdhsa_system_sgpr_private_segment_wavefront_offset 0
		.amdhsa_system_sgpr_workgroup_id_x 1
		.amdhsa_system_sgpr_workgroup_id_y 1
		.amdhsa_system_sgpr_workgroup_id_z 1
		.amdhsa_system_sgpr_workgroup_info 0
		.amdhsa_system_vgpr_workitem_id 0
		.amdhsa_next_free_vgpr 75
		.amdhsa_next_free_sgpr 27
		.amdhsa_reserve_vcc 1
		.amdhsa_reserve_flat_scratch 0
		.amdhsa_float_round_mode_32 0
		.amdhsa_float_round_mode_16_64 0
		.amdhsa_float_denorm_mode_32 3
		.amdhsa_float_denorm_mode_16_64 3
		.amdhsa_dx10_clamp 1
		.amdhsa_ieee_mode 1
		.amdhsa_fp16_overflow 0
		.amdhsa_workgroup_processor_mode 1
		.amdhsa_memory_ordered 1
		.amdhsa_forward_progress 1
		.amdhsa_shared_vgpr_count 0
		.amdhsa_exception_fp_ieee_invalid_op 0
		.amdhsa_exception_fp_denorm_src 0
		.amdhsa_exception_fp_ieee_div_zero 0
		.amdhsa_exception_fp_ieee_overflow 0
		.amdhsa_exception_fp_ieee_underflow 0
		.amdhsa_exception_fp_ieee_inexact 0
		.amdhsa_exception_int_div_zero 0
	.end_amdhsa_kernel
	.section	.text._ZN4vllm25paged_attention_v1_kernelIttLi64ELi16ELi128ELNS_18Fp8KVCacheDataTypeE0ELb0EEEvPT_PKS2_PKT0_S8_ifPKiSA_iPKfiiiSC_SC_iiiii,"axG",@progbits,_ZN4vllm25paged_attention_v1_kernelIttLi64ELi16ELi128ELNS_18Fp8KVCacheDataTypeE0ELb0EEEvPT_PKS2_PKT0_S8_ifPKiSA_iPKfiiiSC_SC_iiiii,comdat
.Lfunc_end82:
	.size	_ZN4vllm25paged_attention_v1_kernelIttLi64ELi16ELi128ELNS_18Fp8KVCacheDataTypeE0ELb0EEEvPT_PKS2_PKT0_S8_ifPKiSA_iPKfiiiSC_SC_iiiii, .Lfunc_end82-_ZN4vllm25paged_attention_v1_kernelIttLi64ELi16ELi128ELNS_18Fp8KVCacheDataTypeE0ELb0EEEvPT_PKS2_PKT0_S8_ifPKiSA_iPKfiiiSC_SC_iiiii
                                        ; -- End function
	.set _ZN4vllm25paged_attention_v1_kernelIttLi64ELi16ELi128ELNS_18Fp8KVCacheDataTypeE0ELb0EEEvPT_PKS2_PKT0_S8_ifPKiSA_iPKfiiiSC_SC_iiiii.num_vgpr, 75
	.set _ZN4vllm25paged_attention_v1_kernelIttLi64ELi16ELi128ELNS_18Fp8KVCacheDataTypeE0ELb0EEEvPT_PKS2_PKT0_S8_ifPKiSA_iPKfiiiSC_SC_iiiii.num_agpr, 0
	.set _ZN4vllm25paged_attention_v1_kernelIttLi64ELi16ELi128ELNS_18Fp8KVCacheDataTypeE0ELb0EEEvPT_PKS2_PKT0_S8_ifPKiSA_iPKfiiiSC_SC_iiiii.numbered_sgpr, 27
	.set _ZN4vllm25paged_attention_v1_kernelIttLi64ELi16ELi128ELNS_18Fp8KVCacheDataTypeE0ELb0EEEvPT_PKS2_PKT0_S8_ifPKiSA_iPKfiiiSC_SC_iiiii.num_named_barrier, 0
	.set _ZN4vllm25paged_attention_v1_kernelIttLi64ELi16ELi128ELNS_18Fp8KVCacheDataTypeE0ELb0EEEvPT_PKS2_PKT0_S8_ifPKiSA_iPKfiiiSC_SC_iiiii.private_seg_size, 0
	.set _ZN4vllm25paged_attention_v1_kernelIttLi64ELi16ELi128ELNS_18Fp8KVCacheDataTypeE0ELb0EEEvPT_PKS2_PKT0_S8_ifPKiSA_iPKfiiiSC_SC_iiiii.uses_vcc, 1
	.set _ZN4vllm25paged_attention_v1_kernelIttLi64ELi16ELi128ELNS_18Fp8KVCacheDataTypeE0ELb0EEEvPT_PKS2_PKT0_S8_ifPKiSA_iPKfiiiSC_SC_iiiii.uses_flat_scratch, 0
	.set _ZN4vllm25paged_attention_v1_kernelIttLi64ELi16ELi128ELNS_18Fp8KVCacheDataTypeE0ELb0EEEvPT_PKS2_PKT0_S8_ifPKiSA_iPKfiiiSC_SC_iiiii.has_dyn_sized_stack, 0
	.set _ZN4vllm25paged_attention_v1_kernelIttLi64ELi16ELi128ELNS_18Fp8KVCacheDataTypeE0ELb0EEEvPT_PKS2_PKT0_S8_ifPKiSA_iPKfiiiSC_SC_iiiii.has_recursion, 0
	.set _ZN4vllm25paged_attention_v1_kernelIttLi64ELi16ELi128ELNS_18Fp8KVCacheDataTypeE0ELb0EEEvPT_PKS2_PKT0_S8_ifPKiSA_iPKfiiiSC_SC_iiiii.has_indirect_call, 0
	.section	.AMDGPU.csdata,"",@progbits
; Kernel info:
; codeLenInByte = 6816
; TotalNumSgprs: 29
; NumVgprs: 75
; ScratchSize: 0
; MemoryBound: 0
; FloatMode: 240
; IeeeMode: 1
; LDSByteSize: 160 bytes/workgroup (compile time only)
; SGPRBlocks: 0
; VGPRBlocks: 9
; NumSGPRsForWavesPerEU: 29
; NumVGPRsForWavesPerEU: 75
; Occupancy: 12
; WaveLimiterHint : 1
; COMPUTE_PGM_RSRC2:SCRATCH_EN: 0
; COMPUTE_PGM_RSRC2:USER_SGPR: 6
; COMPUTE_PGM_RSRC2:TRAP_HANDLER: 0
; COMPUTE_PGM_RSRC2:TGID_X_EN: 1
; COMPUTE_PGM_RSRC2:TGID_Y_EN: 1
; COMPUTE_PGM_RSRC2:TGID_Z_EN: 1
; COMPUTE_PGM_RSRC2:TIDIG_COMP_CNT: 0
	.section	.text._ZN4vllm25paged_attention_v1_kernelIttLi80ELi16ELi128ELNS_18Fp8KVCacheDataTypeE0ELb0EEEvPT_PKS2_PKT0_S8_ifPKiSA_iPKfiiiSC_SC_iiiii,"axG",@progbits,_ZN4vllm25paged_attention_v1_kernelIttLi80ELi16ELi128ELNS_18Fp8KVCacheDataTypeE0ELb0EEEvPT_PKS2_PKT0_S8_ifPKiSA_iPKfiiiSC_SC_iiiii,comdat
	.protected	_ZN4vllm25paged_attention_v1_kernelIttLi80ELi16ELi128ELNS_18Fp8KVCacheDataTypeE0ELb0EEEvPT_PKS2_PKT0_S8_ifPKiSA_iPKfiiiSC_SC_iiiii ; -- Begin function _ZN4vllm25paged_attention_v1_kernelIttLi80ELi16ELi128ELNS_18Fp8KVCacheDataTypeE0ELb0EEEvPT_PKS2_PKT0_S8_ifPKiSA_iPKfiiiSC_SC_iiiii
	.globl	_ZN4vllm25paged_attention_v1_kernelIttLi80ELi16ELi128ELNS_18Fp8KVCacheDataTypeE0ELb0EEEvPT_PKS2_PKT0_S8_ifPKiSA_iPKfiiiSC_SC_iiiii
	.p2align	8
	.type	_ZN4vllm25paged_attention_v1_kernelIttLi80ELi16ELi128ELNS_18Fp8KVCacheDataTypeE0ELb0EEEvPT_PKS2_PKT0_S8_ifPKiSA_iPKfiiiSC_SC_iiiii,@function
_ZN4vllm25paged_attention_v1_kernelIttLi80ELi16ELi128ELNS_18Fp8KVCacheDataTypeE0ELb0EEEvPT_PKS2_PKT0_S8_ifPKiSA_iPKfiiiSC_SC_iiiii: ; @_ZN4vllm25paged_attention_v1_kernelIttLi80ELi16ELi128ELNS_18Fp8KVCacheDataTypeE0ELb0EEEvPT_PKS2_PKT0_S8_ifPKiSA_iPKfiiiSC_SC_iiiii
; %bb.0:
	s_clause 0x2
	s_load_dword s9, s[4:5], 0x80
	s_load_dwordx2 s[0:1], s[4:5], 0x30
	s_load_dwordx2 s[24:25], s[4:5], 0x20
	s_mov_b32 s10, s7
	s_ashr_i32 s11, s7, 31
	s_lshl_b64 s[2:3], s[10:11], 2
	s_waitcnt lgkmcnt(0)
	s_add_u32 s0, s0, s2
	s_addc_u32 s1, s1, s3
	s_abs_i32 s2, s24
	s_abs_i32 s11, s9
	v_cvt_f32_u32_e32 v1, s2
	s_sub_i32 s7, 0, s2
	v_rcp_iflag_f32_e32 v1, v1
	v_mul_f32_e32 v1, 0x4f7ffffe, v1
	v_cvt_u32_f32_e32 v1, v1
	v_readfirstlane_b32 s3, v1
	s_mul_i32 s7, s7, s3
	s_mul_hi_u32 s7, s3, s7
	s_add_i32 s3, s3, s7
	s_xor_b32 s7, s9, s24
	s_mul_hi_u32 s3, s11, s3
	s_ashr_i32 s7, s7, 31
	s_mul_i32 s12, s3, s2
	s_mov_b32 s24, 0
	s_sub_i32 s11, s11, s12
	s_add_i32 s12, s3, 1
	s_sub_i32 s13, s11, s2
	s_cmp_ge_u32 s11, s2
	s_cselect_b32 s3, s12, s3
	s_cselect_b32 s11, s13, s11
	s_add_i32 s12, s3, 1
	s_cmp_ge_u32 s11, s2
	s_cselect_b32 s2, s12, s3
	s_abs_i32 s17, s6
	s_xor_b32 s2, s2, s7
	s_sub_i32 s18, s2, s7
	s_load_dwordx2 s[2:3], s[4:5], 0x40
	s_abs_i32 s16, s18
	v_cvt_f32_u32_e32 v1, s16
	s_sub_i32 s11, 0, s16
	v_rcp_iflag_f32_e32 v1, v1
	v_mul_f32_e32 v1, 0x4f7ffffe, v1
	v_cvt_u32_f32_e32 v1, v1
	v_readfirstlane_b32 s7, v1
	s_mul_i32 s11, s11, s7
	s_mul_hi_u32 s11, s7, s11
	s_add_i32 s7, s7, s11
	s_waitcnt lgkmcnt(0)
	s_cmp_eq_u64 s[2:3], 0
	s_mul_hi_u32 s20, s17, s7
	s_cbranch_scc1 .LBB83_2
; %bb.1:
	s_ashr_i32 s7, s6, 31
	s_lshl_b64 s[12:13], s[6:7], 2
	s_add_u32 s2, s2, s12
	s_addc_u32 s3, s3, s13
	s_load_dword s24, s[2:3], 0x0
.LBB83_2:
	s_load_dword s11, s[0:1], 0x0
	s_load_dwordx4 s[12:15], s[4:5], 0x48
	v_lshrrev_b32_e32 v21, 1, v0
	v_and_b32_e32 v22, 1, v0
	v_lshlrev_b32_e32 v24, 3, v0
	s_ashr_i32 s0, s6, 31
	s_ashr_i32 s1, s18, 31
	s_mulk_i32 s6, 0x50
	s_mov_b32 s2, exec_lo
	v_cmpx_gt_u32_e32 20, v0
	s_cbranch_execz .LBB83_4
; %bb.3:
	s_load_dwordx2 s[18:19], s[4:5], 0x8
	s_waitcnt lgkmcnt(0)
	s_mul_i32 s22, s12, s10
	v_lshlrev_b32_e32 v3, 3, v21
	s_ashr_i32 s23, s22, 31
	s_lshl_b64 s[22:23], s[22:23], 1
	v_mad_u32_u24 v3, 0x50, v22, v3
	s_add_u32 s3, s18, s22
	s_addc_u32 s12, s19, s23
	s_ashr_i32 s7, s6, 31
	s_lshl_b64 s[18:19], s[6:7], 1
	s_add_u32 s18, s3, s18
	s_addc_u32 s19, s12, s19
	global_load_dwordx2 v[1:2], v24, s[18:19]
	s_waitcnt vmcnt(0)
	ds_write_b64 v3, v[1:2]
.LBB83_4:
	s_or_b32 exec_lo, exec_lo, s2
	s_waitcnt lgkmcnt(0)
	s_add_i32 s2, s11, 15
	s_clause 0x1
	s_load_dwordx2 s[18:19], s[4:5], 0x28
	s_load_dword s7, s[4:5], 0x38
	s_ashr_i32 s3, s2, 31
	s_xor_b32 s0, s0, s1
	s_lshr_b32 s3, s3, 28
	s_mul_i32 s1, s20, s16
	s_add_i32 s2, s2, s3
	s_sub_i32 s1, s17, s1
	s_ashr_i32 s12, s2, 4
	s_add_i32 s2, s20, 1
	s_sub_i32 s3, s1, s16
	s_cmp_ge_u32 s1, s16
	v_lshrrev_b32_e32 v23, 5, v0
	s_cselect_b32 s2, s2, s20
	s_cselect_b32 s1, s3, s1
	s_add_i32 s3, s2, 1
	s_cmp_ge_u32 s1, s16
	v_mbcnt_lo_u32_b32 v26, -1, 0
	s_cselect_b32 s1, s3, s2
	s_mov_b32 s2, exec_lo
	s_xor_b32 s1, s1, s0
	s_waitcnt lgkmcnt(0)
	s_mul_i32 s20, s7, s10
	s_sub_i32 s1, s1, s0
	v_cmp_gt_i32_e64 s0, s12, v23
	s_ashr_i32 s21, s20, 31
	s_barrier
	buffer_gl0_inv
                                        ; implicit-def: $vgpr27
                                        ; implicit-def: $vgpr28
	v_cmpx_le_i32_e64 s12, v23
	s_xor_b32 s2, exec_lo, s2
; %bb.5:
	v_mov_b32_e32 v27, 0
	v_mbcnt_lo_u32_b32 v26, -1, 0
	v_mov_b32_e32 v28, 32
; %bb.6:
	s_or_saveexec_b32 s26, s2
	s_clause 0x2
	s_load_dwordx2 s[16:17], s[4:5], 0x0
	s_load_dwordx2 s[22:23], s[4:5], 0x18
	s_load_dword s7, s[4:5], 0x88
	v_mov_b32_e32 v29, 0xff7fffff
	v_lshrrev_b32_e32 v25, 3, v0
	s_mul_i32 s14, s1, s14
	s_xor_b32 exec_lo, exec_lo, s26
	s_cbranch_execz .LBB83_12
; %bb.7:
	s_load_dwordx2 s[2:3], s[4:5], 0x10
	v_bfe_u32 v1, v0, 1, 4
	s_ashr_i32 s15, s14, 31
	v_and_b32_e32 v3, 8, v24
	s_lshl_b64 s[4:5], s[14:15], 1
	v_and_b32_e32 v4, 0x7c, v25
	v_lshlrev_b32_e32 v2, 2, v1
	v_lshlrev_b32_e32 v5, 4, v1
	v_lshl_or_b32 v31, v23, 4, v1
	v_mov_b32_e32 v27, 0
	v_mul_u32_u24_e32 v30, 0x50, v22
	v_lshl_or_b32 v2, v23, 6, v2
	v_cmp_neq_f32_e64 s1, s24, 0
	v_mov_b32_e32 v29, 0xff7fffff
	v_xor_b32_e32 v35, 1, v26
	v_mov_b32_e32 v28, 32
	v_add_nc_u32_e32 v32, 0xc0, v2
	v_mov_b32_e32 v36, v23
	v_cmp_eq_u32_e32 vcc_lo, 0, v22
	s_waitcnt lgkmcnt(0)
	s_add_u32 s15, s2, s4
	s_addc_u32 s5, s3, s5
	v_add_co_u32 v1, s15, s15, v5
	v_add_co_ci_u32_e64 v2, null, s5, 0, s15
	s_lshl_b64 s[2:3], s[20:21], 2
	s_sub_i32 s4, 1, s11
	s_add_u32 s5, s18, s2
	v_add_co_u32 v33, s2, v1, v3
	s_addc_u32 s3, s19, s3
	v_add_co_ci_u32_e64 v34, null, 0, v2, s2
	v_add_co_u32 v1, s2, s5, v4
	v_add_co_ci_u32_e64 v2, null, s3, 0, s2
	s_mov_b32 s15, s13
	s_mov_b32 s5, 0
	s_branch .LBB83_9
.LBB83_8:                               ;   in Loop: Header=BB83_9 Depth=1
	s_or_b32 exec_lo, exec_lo, s3
	v_add_nc_u32_e32 v36, 4, v36
	v_add_co_u32 v1, s3, v1, 16
	v_add_nc_u32_e32 v31, 64, v31
	v_add_nc_u32_e32 v32, 0x100, v32
	v_cmp_le_i32_e64 s2, s12, v36
	v_add_co_ci_u32_e64 v2, null, 0, v2, s3
	s_or_b32 s5, s2, s5
	s_andn2_b32 exec_lo, exec_lo, s5
	s_cbranch_execz .LBB83_11
.LBB83_9:                               ; =>This Inner Loop Header: Depth=1
	global_load_dword v3, v[1:2], off
	s_waitcnt vmcnt(0) lgkmcnt(0)
	v_mad_i64_i32 v[3:4], null, v3, s15, 0
	v_lshlrev_b64 v[3:4], 1, v[3:4]
	v_add_co_u32 v3, s2, v33, v3
	v_add_co_ci_u32_e64 v4, null, v34, v4, s2
	s_clause 0x6
	global_load_dwordx2 v[38:39], v[3:4], off
	global_load_dwordx2 v[19:20], v[3:4], off offset:256
	global_load_dwordx2 v[17:18], v[3:4], off offset:512
	global_load_dwordx2 v[15:16], v[3:4], off offset:768
	global_load_dwordx2 v[13:14], v[3:4], off offset:1024
	global_load_dwordx2 v[11:12], v[3:4], off offset:1280
	global_load_dwordx2 v[9:10], v[3:4], off offset:1536
	v_add_co_u32 v40, s2, 0x800, v3
	v_add_co_ci_u32_e64 v41, null, 0, v4, s2
	s_clause 0x2
	global_load_dwordx2 v[7:8], v[3:4], off offset:1792
	global_load_dwordx2 v[5:6], v[40:41], off
	global_load_dwordx2 v[3:4], v[40:41], off offset:256
	ds_read_b64 v[40:41], v30
	v_cmp_gt_i32_e64 s2, 32, v35
	s_waitcnt lgkmcnt(0)
	v_and_b32_e32 v37, 0xffff, v40
	v_lshrrev_b32_e32 v40, 16, v40
	v_lshrrev_b32_e32 v43, 16, v41
	v_and_b32_e32 v44, 0xffff, v41
	;;#ASMSTART
	v_cvt_f32_f16 v37, v37;
	;;#ASMEND
	s_waitcnt vmcnt(9)
	v_and_b32_e32 v41, 0xffff, v38
	v_lshrrev_b32_e32 v42, 16, v38
	v_lshrrev_b32_e32 v45, 16, v39
	v_and_b32_e32 v46, 0xffff, v39
	;;#ASMSTART
	v_cvt_f32_f16 v38, v40;
	;;#ASMEND
	;;#ASMSTART
	v_cvt_f32_f16 v41, v41;
	;;#ASMEND
	;; [unrolled: 3-line block ×7, first 2 shown]
	ds_read_b64 v[45:46], v30 offset:8
	s_waitcnt vmcnt(8)
	v_lshrrev_b32_e32 v48, 16, v19
	v_and_b32_e32 v19, 0xffff, v19
	v_lshrrev_b32_e32 v52, 16, v20
	v_and_b32_e32 v20, 0xffff, v20
	s_waitcnt vmcnt(7)
	v_lshrrev_b32_e32 v54, 16, v17
	v_and_b32_e32 v17, 0xffff, v17
	v_lshrrev_b32_e32 v58, 16, v18
	v_and_b32_e32 v18, 0xffff, v18
	;; [unrolled: 5-line block ×4, first 2 shown]
	s_waitcnt vmcnt(4)
	v_lshrrev_b32_e32 v72, 16, v11
	v_and_b32_e32 v11, 0xffff, v11
	v_lshrrev_b32_e32 v76, 16, v12
	s_waitcnt lgkmcnt(0)
	v_and_b32_e32 v47, 0xffff, v45
	v_lshrrev_b32_e32 v49, 16, v45
	v_lshrrev_b32_e32 v50, 16, v46
	v_and_b32_e32 v51, 0xffff, v46
	;;#ASMSTART
	v_cvt_f32_f16 v45, v47;
	;;#ASMEND
	;;#ASMSTART
	v_cvt_f32_f16 v46, v49;
	;;#ASMEND
	;; [unrolled: 3-line block ×8, first 2 shown]
	ds_read_b64 v[19:20], v30 offset:16
	v_and_b32_e32 v12, 0xffff, v12
	s_waitcnt vmcnt(3)
	v_lshrrev_b32_e32 v78, 16, v9
	v_and_b32_e32 v9, 0xffff, v9
	v_lshrrev_b32_e32 v82, 16, v10
	v_and_b32_e32 v10, 0xffff, v10
	v_mul_f32_e32 v45, v45, v47
	v_mul_f32_e32 v46, v46, v48
	s_waitcnt vmcnt(2)
	v_lshrrev_b32_e32 v83, 16, v7
	v_and_b32_e32 v7, 0xffff, v7
	v_lshrrev_b32_e32 v85, 16, v8
	v_and_b32_e32 v8, 0xffff, v8
	v_fmac_f32_e32 v45, v37, v41
	v_fmac_f32_e32 v46, v38, v42
	v_mul_f32_e32 v50, v50, v52
	s_waitcnt vmcnt(1)
	v_lshrrev_b32_e32 v86, 16, v5
	v_and_b32_e32 v5, 0xffff, v5
	v_lshrrev_b32_e32 v37, 16, v6
	v_and_b32_e32 v6, 0xffff, v6
	v_fmac_f32_e32 v50, v40, v44
	s_waitcnt lgkmcnt(0)
	v_and_b32_e32 v53, 0xffff, v19
	v_lshrrev_b32_e32 v55, 16, v19
	v_lshrrev_b32_e32 v56, 16, v20
	v_and_b32_e32 v57, 0xffff, v20
	;;#ASMSTART
	v_cvt_f32_f16 v19, v53;
	;;#ASMEND
	;;#ASMSTART
	v_cvt_f32_f16 v20, v55;
	;;#ASMEND
	;; [unrolled: 3-line block ×8, first 2 shown]
	ds_read_b64 v[17:18], v30 offset:24
	v_fmac_f32_e32 v45, v19, v53
	v_fmac_f32_e32 v46, v20, v54
	;; [unrolled: 1-line block ×3, first 2 shown]
	s_waitcnt vmcnt(0)
	v_lshrrev_b32_e32 v38, 16, v3
	s_waitcnt lgkmcnt(0)
	v_and_b32_e32 v59, 0xffff, v17
	v_lshrrev_b32_e32 v61, 16, v17
	v_lshrrev_b32_e32 v62, 16, v18
	v_and_b32_e32 v63, 0xffff, v18
	;;#ASMSTART
	v_cvt_f32_f16 v17, v59;
	;;#ASMEND
	;;#ASMSTART
	v_cvt_f32_f16 v18, v61;
	;;#ASMEND
	;;#ASMSTART
	v_cvt_f32_f16 v59, v15;
	;;#ASMEND
	;;#ASMSTART
	v_cvt_f32_f16 v60, v60;
	;;#ASMEND
	;;#ASMSTART
	v_cvt_f32_f16 v61, v63;
	;;#ASMEND
	;;#ASMSTART
	v_cvt_f32_f16 v62, v62;
	;;#ASMEND
	;;#ASMSTART
	v_cvt_f32_f16 v63, v16;
	;;#ASMEND
	;;#ASMSTART
	v_cvt_f32_f16 v64, v64;
	;;#ASMEND
	ds_read_b64 v[15:16], v30 offset:32
	v_fmac_f32_e32 v45, v17, v59
	v_fmac_f32_e32 v46, v18, v60
	v_fmac_f32_e32 v50, v62, v64
	s_waitcnt lgkmcnt(0)
	v_and_b32_e32 v65, 0xffff, v15
	v_lshrrev_b32_e32 v67, 16, v15
	v_lshrrev_b32_e32 v68, 16, v16
	v_and_b32_e32 v69, 0xffff, v16
	;;#ASMSTART
	v_cvt_f32_f16 v15, v65;
	;;#ASMEND
	;;#ASMSTART
	v_cvt_f32_f16 v16, v67;
	;;#ASMEND
	;;#ASMSTART
	v_cvt_f32_f16 v65, v13;
	;;#ASMEND
	;;#ASMSTART
	v_cvt_f32_f16 v66, v66;
	;;#ASMEND
	;;#ASMSTART
	v_cvt_f32_f16 v67, v69;
	;;#ASMEND
	;;#ASMSTART
	v_cvt_f32_f16 v68, v68;
	;;#ASMEND
	;;#ASMSTART
	v_cvt_f32_f16 v69, v14;
	;;#ASMEND
	;;#ASMSTART
	v_cvt_f32_f16 v70, v70;
	;;#ASMEND
	ds_read_b64 v[13:14], v30 offset:40
	v_fmac_f32_e32 v45, v15, v65
	v_fmac_f32_e32 v46, v16, v66
	v_fmac_f32_e32 v50, v68, v70
	;; [unrolled: 33-line block ×3, first 2 shown]
	v_and_b32_e32 v13, 0xffff, v3
	s_waitcnt lgkmcnt(0)
	v_and_b32_e32 v77, 0xffff, v11
	v_lshrrev_b32_e32 v79, 16, v11
	v_lshrrev_b32_e32 v80, 16, v12
	v_and_b32_e32 v81, 0xffff, v12
	;;#ASMSTART
	v_cvt_f32_f16 v11, v77;
	;;#ASMEND
	;;#ASMSTART
	v_cvt_f32_f16 v12, v79;
	;;#ASMEND
	;; [unrolled: 3-line block ×8, first 2 shown]
	ds_read_b64 v[9:10], v30 offset:56
	v_fmac_f32_e32 v45, v11, v77
	v_fmac_f32_e32 v46, v12, v78
	v_fmac_f32_e32 v50, v80, v82
	v_lshrrev_b32_e32 v11, 16, v4
	s_waitcnt lgkmcnt(0)
	v_and_b32_e32 v47, 0xffff, v9
	v_lshrrev_b32_e32 v48, 16, v9
	v_mul_f32_e32 v9, v49, v51
	v_lshrrev_b32_e32 v84, 16, v10
	v_and_b32_e32 v51, 0xffff, v10
	;;#ASMSTART
	v_cvt_f32_f16 v10, v47;
	;;#ASMEND
	;;#ASMSTART
	v_cvt_f32_f16 v47, v48;
	;;#ASMEND
	;; [unrolled: 3-line block ×8, first 2 shown]
	ds_read_b64 v[7:8], v30 offset:64
	v_fmac_f32_e32 v9, v39, v43
	v_fmac_f32_e32 v45, v10, v48
	;; [unrolled: 1-line block ×3, first 2 shown]
	v_and_b32_e32 v10, 0xffff, v4
	v_fmac_f32_e32 v50, v83, v85
	v_fmac_f32_e32 v9, v55, v57
	v_fmac_f32_e32 v9, v61, v63
	v_fmac_f32_e32 v9, v67, v69
	s_waitcnt lgkmcnt(0)
	v_and_b32_e32 v15, 0xffff, v7
	v_lshrrev_b32_e32 v16, 16, v7
	v_lshrrev_b32_e32 v18, 16, v8
	v_and_b32_e32 v17, 0xffff, v8
	;;#ASMSTART
	v_cvt_f32_f16 v7, v15;
	;;#ASMEND
	;;#ASMSTART
	v_cvt_f32_f16 v8, v16;
	;;#ASMEND
	;; [unrolled: 3-line block ×8, first 2 shown]
	ds_read_b64 v[5:6], v30 offset:72
	v_fmac_f32_e32 v9, v73, v75
	v_fmac_f32_e32 v45, v7, v15
	;; [unrolled: 1-line block ×7, first 2 shown]
	s_waitcnt lgkmcnt(0)
	v_and_b32_e32 v3, 0xffff, v5
	v_lshrrev_b32_e32 v4, 16, v5
	v_lshrrev_b32_e32 v7, 16, v6
	v_and_b32_e32 v8, 0xffff, v6
	;;#ASMSTART
	v_cvt_f32_f16 v3, v3;
	;;#ASMEND
	;;#ASMSTART
	v_cvt_f32_f16 v4, v4;
	;;#ASMEND
	;; [unrolled: 3-line block ×4, first 2 shown]
	v_fmac_f32_e32 v45, v3, v5
	v_fmac_f32_e32 v46, v4, v6
	;;#ASMSTART
	v_cvt_f32_f16 v3, v8;
	;;#ASMEND
	;;#ASMSTART
	v_cvt_f32_f16 v4, v7;
	;;#ASMEND
	;; [unrolled: 3-line block ×3, first 2 shown]
	v_fmac_f32_e32 v9, v3, v5
	v_add_f32_e32 v3, v45, v46
	;;#ASMSTART
	v_cvt_f32_f16 v5, v11;
	;;#ASMEND
	v_fmac_f32_e32 v50, v4, v5
	v_cndmask_b32_e64 v4, v26, v35, s2
	v_add_f32_e32 v3, v3, v9
	v_lshlrev_b32_e32 v4, 2, v4
	v_add_f32_e32 v3, v50, v3
	ds_bpermute_b32 v4, v4, v3
	s_and_saveexec_b32 s3, vcc_lo
	s_cbranch_execz .LBB83_8
; %bb.10:                               ;   in Loop: Header=BB83_9 Depth=1
	v_add_nc_u32_e32 v5, s4, v31
	s_waitcnt lgkmcnt(0)
	v_add_f32_e32 v3, v3, v4
	v_cmp_gt_i32_e64 s2, s11, v31
	v_cvt_f32_i32_e32 v5, v5
	v_mul_f32_e32 v5, s24, v5
	v_cndmask_b32_e64 v4, 0, v5, s1
	v_max_f32_e32 v5, v29, v29
	v_fmac_f32_e32 v4, s25, v3
	v_max_f32_e32 v3, v5, v4
	v_cndmask_b32_e64 v4, 0, v4, s2
	v_cndmask_b32_e64 v29, v29, v3, s2
	ds_write_b32 v32, v4
	s_branch .LBB83_8
.LBB83_11:
	s_or_b32 exec_lo, exec_lo, s5
.LBB83_12:
	s_or_b32 exec_lo, exec_lo, s26
	v_xor_b32_e32 v1, 16, v26
	v_xor_b32_e32 v3, 8, v26
	v_max_f32_e32 v5, v29, v29
	v_xor_b32_e32 v6, 2, v26
	v_and_b32_e32 v9, 31, v0
	v_cmp_lt_i32_e32 vcc_lo, v1, v28
	v_cndmask_b32_e32 v1, v26, v1, vcc_lo
	v_cmp_lt_i32_e32 vcc_lo, v3, v28
	v_lshlrev_b32_e32 v2, 2, v1
	v_cndmask_b32_e32 v3, v26, v3, vcc_lo
	ds_bpermute_b32 v1, v2, v29
	s_waitcnt lgkmcnt(0)
	v_lshlrev_b32_e32 v4, 2, v3
	v_max_f32_e32 v1, v1, v1
	v_max_f32_e32 v1, v5, v1
	v_xor_b32_e32 v5, 4, v26
	ds_bpermute_b32 v3, v4, v1
	v_cmp_lt_i32_e32 vcc_lo, v5, v28
	v_cndmask_b32_e32 v5, v26, v5, vcc_lo
	v_cmp_lt_i32_e32 vcc_lo, v6, v28
	v_lshlrev_b32_e32 v5, 2, v5
	v_cndmask_b32_e32 v6, v26, v6, vcc_lo
	v_cmp_eq_u32_e32 vcc_lo, 0, v9
	s_waitcnt lgkmcnt(0)
	v_max_f32_e32 v3, v3, v3
	v_max_f32_e32 v1, v1, v3
	ds_bpermute_b32 v3, v5, v1
	s_waitcnt lgkmcnt(0)
	v_max_f32_e32 v3, v3, v3
	v_max_f32_e32 v3, v1, v3
	v_lshlrev_b32_e32 v1, 2, v6
	v_lshlrev_b32_e32 v6, 2, v23
	ds_bpermute_b32 v7, v1, v3
	s_and_saveexec_b32 s1, vcc_lo
	s_cbranch_execz .LBB83_14
; %bb.13:
	s_waitcnt lgkmcnt(0)
	v_max_f32_e32 v7, v7, v7
	v_max_f32_e32 v3, v3, v3
	;; [unrolled: 1-line block ×3, first 2 shown]
	ds_write_b32 v6, v3 offset:160
.LBB83_14:
	s_or_b32 exec_lo, exec_lo, s1
	v_cmp_gt_u32_e64 s1, 4, v9
	v_mov_b32_e32 v3, 0xff7fffff
	s_waitcnt lgkmcnt(0)
	v_lshlrev_b32_e32 v7, 2, v9
	s_barrier
	buffer_gl0_inv
	s_and_saveexec_b32 s2, s1
; %bb.15:
	ds_read_b32 v3, v7 offset:160
; %bb.16:
	s_or_b32 exec_lo, exec_lo, s2
	s_waitcnt lgkmcnt(0)
	ds_bpermute_b32 v8, v1, v3
	v_xor_b32_e32 v10, 1, v26
	v_max_f32_e32 v3, v3, v3
	v_cmp_lt_i32_e64 s2, v10, v28
	v_cndmask_b32_e64 v10, v26, v10, s2
	s_lshl_b32 s2, s12, 4
	s_min_i32 s4, s2, s11
	v_lshlrev_b32_e32 v10, 2, v10
	v_cmp_gt_i32_e64 s2, s4, v0
	s_waitcnt lgkmcnt(0)
	v_max_f32_e32 v8, v8, v8
	v_max_f32_e32 v3, v3, v8
	ds_bpermute_b32 v8, v10, v3
	s_waitcnt lgkmcnt(0)
	v_max_f32_e32 v8, v8, v8
	v_max_f32_e32 v3, v3, v8
	v_lshlrev_b32_e32 v8, 2, v27
	ds_bpermute_b32 v11, v8, v3
	v_mov_b32_e32 v8, 0
	v_lshl_add_u32 v3, v0, 2, 0xc0
	s_and_saveexec_b32 s5, s2
	s_cbranch_execz .LBB83_20
; %bb.17:
	v_lshl_add_u32 v12, v0, 2, 0xc0
	v_mov_b32_e32 v8, 0
	v_mov_b32_e32 v13, v0
	s_mov_b32 s15, 0
	.p2align	6
.LBB83_18:                              ; =>This Inner Loop Header: Depth=1
	ds_read_b32 v14, v12
	v_add_nc_u32_e32 v13, 0x80, v13
	v_cmp_le_i32_e64 s3, s4, v13
	s_or_b32 s15, s3, s15
	s_waitcnt lgkmcnt(0)
	v_sub_f32_e32 v14, v14, v11
	v_mul_f32_e32 v14, 0x3fb8aa3b, v14
	v_exp_f32_e32 v14, v14
	ds_write_b32 v12, v14
	v_add_f32_e32 v8, v8, v14
	v_add_nc_u32_e32 v12, 0x200, v12
	s_andn2_b32 exec_lo, exec_lo, s15
	s_cbranch_execnz .LBB83_18
; %bb.19:
	s_or_b32 exec_lo, exec_lo, s15
.LBB83_20:
	s_or_b32 exec_lo, exec_lo, s5
	ds_bpermute_b32 v2, v2, v8
	s_waitcnt lgkmcnt(0)
	v_add_f32_e32 v2, v8, v2
	ds_bpermute_b32 v4, v4, v2
	s_waitcnt lgkmcnt(0)
	v_add_f32_e32 v2, v2, v4
	;; [unrolled: 3-line block ×5, first 2 shown]
	s_and_saveexec_b32 s3, vcc_lo
; %bb.21:
	ds_write_b32 v6, v2 offset:176
; %bb.22:
	s_or_b32 exec_lo, exec_lo, s3
	s_waitcnt lgkmcnt(0)
	s_barrier
	buffer_gl0_inv
	s_and_saveexec_b32 s3, s1
; %bb.23:
	ds_read_b32 v2, v7 offset:176
; %bb.24:
	s_or_b32 exec_lo, exec_lo, s3
	s_waitcnt lgkmcnt(0)
	ds_bpermute_b32 v1, v1, v2
	v_lshlrev_b32_e32 v4, 2, v26
	s_waitcnt lgkmcnt(0)
	v_add_f32_e32 v1, v2, v1
	ds_bpermute_b32 v2, v10, v1
	s_waitcnt lgkmcnt(0)
	v_add_f32_e32 v1, v1, v2
	v_and_b32_e32 v2, 0xffffff80, v4
	ds_bpermute_b32 v1, v2, v1
	s_and_saveexec_b32 s1, s2
	s_cbranch_execz .LBB83_27
; %bb.25:
	s_waitcnt lgkmcnt(0)
	v_add_f32_e32 v1, 0x358637bd, v1
	s_mov_b32 s2, 0
	v_div_scale_f32 v2, null, v1, v1, 1.0
	v_div_scale_f32 v6, vcc_lo, 1.0, v1, 1.0
	v_rcp_f32_e32 v4, v2
	v_fma_f32 v5, -v2, v4, 1.0
	v_fmac_f32_e32 v4, v5, v4
	v_mul_f32_e32 v5, v6, v4
	v_fma_f32 v7, -v2, v5, v6
	v_fmac_f32_e32 v5, v7, v4
	v_fma_f32 v2, -v2, v5, v6
	v_div_fmas_f32 v2, v2, v4, v5
	v_div_fixup_f32 v1, v2, v1, 1.0
	v_mov_b32_e32 v2, v0
.LBB83_26:                              ; =>This Inner Loop Header: Depth=1
	ds_read_b32 v4, v3
	v_add_nc_u32_e32 v2, 0x80, v2
	v_cmp_le_i32_e32 vcc_lo, s4, v2
	s_or_b32 s2, vcc_lo, s2
	s_waitcnt lgkmcnt(0)
	v_mul_f32_e32 v4, v1, v4
	ds_write_b32 v3, v4
	v_add_nc_u32_e32 v3, 0x200, v3
	s_andn2_b32 exec_lo, exec_lo, s2
	s_cbranch_execnz .LBB83_26
.LBB83_27:
	s_or_b32 exec_lo, exec_lo, s1
	v_mov_b32_e32 v14, 0
	v_mov_b32_e32 v15, 0
	;; [unrolled: 1-line block ×5, first 2 shown]
	s_waitcnt lgkmcnt(0)
	s_barrier
	buffer_gl0_inv
	s_and_saveexec_b32 s2, s0
	s_cbranch_execz .LBB83_41
; %bb.28:
	v_lshlrev_b32_e32 v2, 4, v0
	s_ashr_i32 s15, s14, 31
	v_and_b32_e32 v1, 8, v24
	s_lshl_b64 s[0:1], s[14:15], 1
	v_lshlrev_b32_e32 v4, 4, v23
	v_and_b32_e32 v2, 0x1f0, v2
	s_add_u32 s0, s22, s0
	v_lshlrev_b32_e32 v3, 5, v22
	s_addc_u32 s1, s23, s1
	v_or3_b32 v19, v4, v1, 7
	v_add_co_u32 v17, s0, s0, v2
	v_and_b32_e32 v1, 0x7c, v25
	v_add_co_ci_u32_e64 v18, null, s1, 0, s0
	s_lshl_b64 s[0:1], s[20:21], 2
	s_add_i32 s3, s12, -1
	v_lshl_or_b32 v3, v23, 6, v3
	s_add_u32 s0, s18, s0
	s_addc_u32 s1, s19, s1
	v_add_co_u32 v5, s0, s0, v1
	v_mov_b32_e32 v16, 0
	v_add_nc_u32_e32 v20, 0xc0, v3
	v_add_co_ci_u32_e64 v6, null, s1, 0, s0
	v_mov_b32_e32 v11, 0
	v_mov_b32_e32 v12, 0
	v_mov_b32_e32 v13, 0
	v_mov_b32_e32 v15, 0
	v_mov_b32_e32 v14, 0
	v_mov_b32_e32 v24, v23
	s_mov_b32 s5, s13
	s_mov_b32 s4, 0
	s_branch .LBB83_30
.LBB83_29:                              ;   in Loop: Header=BB83_30 Depth=1
	s_or_b32 exec_lo, exec_lo, s1
	v_lshlrev_b32_e32 v25, 16, v44
	v_lshlrev_b32_e32 v26, 16, v43
	;; [unrolled: 1-line block ×3, first 2 shown]
	v_add_f32_e32 v7, v7, v8
	v_add_nc_u32_e32 v24, 4, v24
	v_and_or_b32 v1, 0xffff, v1, v25
	v_and_or_b32 v2, 0xffff, v2, v26
	;; [unrolled: 1-line block ×3, first 2 shown]
	;;#ASMSTART
	v_pk_mul_f16 v1, v33, v1;

	;;#ASMEND
	;;#ASMSTART
	v_pk_mul_f16 v2, v32, v2;

	;;#ASMEND
	;; [unrolled: 4-line block ×4, first 2 shown]
	;;#ASMSTART
	v_pk_add_f16 v1, v1, v2;

	;;#ASMEND
	;;#ASMSTART
	v_pk_add_f16 v1, v1, v3;

	;;#ASMEND
	;; [unrolled: 4-line block ×3, first 2 shown]
	v_and_b32_e32 v4, 0xffff, v1
	v_add_f32_e32 v12, v12, v7
	v_lshrrev_b32_e32 v7, 16, v1
	;;#ASMSTART
	v_cvt_f32_f16 v4, v4;
	;;#ASMEND
	v_add_f32_e32 v1, v40, v41
	v_add_f32_e32 v2, v38, v39
	;; [unrolled: 1-line block ×3, first 2 shown]
	;;#ASMSTART
	v_cvt_f32_f16 v7, v7;
	;;#ASMEND
	v_add_f32_e32 v4, v4, v7
	v_cmp_le_i32_e32 vcc_lo, s12, v24
	v_add_co_u32 v5, s0, v5, 16
	v_add_f32_e32 v13, v13, v1
	v_add_f32_e32 v15, v15, v2
	;; [unrolled: 1-line block ×4, first 2 shown]
	v_add_nc_u32_e32 v19, 64, v19
	v_add_nc_u32_e32 v20, 0x100, v20
	v_add_co_ci_u32_e64 v6, null, 0, v6, s0
	s_or_b32 s4, vcc_lo, s4
	s_andn2_b32 exec_lo, exec_lo, s4
	s_cbranch_execz .LBB83_40
.LBB83_30:                              ; =>This Inner Loop Header: Depth=1
	global_load_dword v7, v[5:6], off
	ds_read2_b64 v[1:4], v20 offset1:1
	ds_read2_b64 v[25:28], v20 offset0:2 offset1:3
	v_add_nc_u32_e32 v29, -7, v19
	v_cmp_eq_u32_e64 s0, s3, v24
	v_add_nc_u32_e32 v31, -6, v19
	v_add_nc_u32_e32 v30, -1, v19
	s_waitcnt lgkmcnt(1)
	;;#ASMSTART
	v_cvt_f16_f32 v33, v1;

	;;#ASMEND
	;;#ASMSTART
	v_cvt_f16_f32 v32, v2;

	;;#ASMEND
	;; [unrolled: 4-line block ×4, first 2 shown]
	s_waitcnt lgkmcnt(0)
	;;#ASMSTART
	v_cvt_f16_f32 v39, v25;

	;;#ASMEND
	;;#ASMSTART
	v_cvt_f16_f32 v34, v26;

	;;#ASMEND
	;; [unrolled: 4-line block ×4, first 2 shown]
	v_add_nc_u32_e32 v28, -5, v19
	v_add_nc_u32_e32 v27, -4, v19
	;; [unrolled: 1-line block ×4, first 2 shown]
	s_waitcnt vmcnt(0)
	v_mad_i64_i32 v[7:8], null, v7, s5, 0
	v_lshlrev_b64 v[7:8], 1, v[7:8]
	v_add_co_u32 v7, vcc_lo, v17, v7
	v_add_co_ci_u32_e64 v8, null, v18, v8, vcc_lo
	global_load_dwordx4 v[1:4], v[7:8], off
	s_waitcnt vmcnt(0)
	v_lshrrev_b32_e32 v42, 16, v1
	v_lshrrev_b32_e32 v41, 16, v2
	;; [unrolled: 1-line block ×3, first 2 shown]
	s_and_saveexec_b32 s13, s0
	s_cbranch_execz .LBB83_32
; %bb.31:                               ;   in Loop: Header=BB83_30 Depth=1
	v_cmp_gt_i32_e32 vcc_lo, s11, v29
	v_and_b32_e32 v43, 0xffff0000, v4
	v_cmp_gt_i32_e64 s1, s11, v28
	v_cndmask_b32_e32 v1, 0, v1, vcc_lo
	v_cmp_gt_i32_e32 vcc_lo, s11, v31
	v_cndmask_b32_e64 v2, 0, v2, s1
	v_cmp_gt_i32_e64 s1, s11, v27
	v_cndmask_b32_e32 v42, 0, v42, vcc_lo
	v_cmp_gt_i32_e32 vcc_lo, s11, v30
	v_cndmask_b32_e64 v41, 0, v41, s1
	v_cndmask_b32_sdwa v4, v16, v4, vcc_lo dst_sel:DWORD dst_unused:UNUSED_PAD src0_sel:DWORD src1_sel:WORD_0
	v_cmp_gt_i32_e32 vcc_lo, s11, v19
	v_cndmask_b32_e32 v43, 0, v43, vcc_lo
	v_cmp_gt_i32_e32 vcc_lo, s11, v26
	v_or_b32_e32 v4, v4, v43
	v_cndmask_b32_e32 v3, 0, v3, vcc_lo
	v_cmp_gt_i32_e32 vcc_lo, s11, v25
	v_cndmask_b32_e32 v40, 0, v40, vcc_lo
.LBB83_32:                              ;   in Loop: Header=BB83_30 Depth=1
	s_or_b32 exec_lo, exec_lo, s13
	v_and_b32_e32 v33, 0xffff, v33
	v_and_b32_e32 v38, 0xffff, v38
	v_lshlrev_b32_e32 v42, 16, v42
	v_and_b32_e32 v39, 0xffff, v39
	v_and_b32_e32 v37, 0xffff, v37
	v_lshl_or_b32 v33, v32, 16, v33
	v_lshl_or_b32 v32, v36, 16, v38
	v_lshlrev_b32_e32 v36, 16, v41
	v_lshlrev_b32_e32 v38, 16, v40
	v_and_or_b32 v1, 0xffff, v1, v42
	;;#ASMSTART
	v_pk_mul_f16 v1, v33, v1;

	;;#ASMEND
	v_lshl_or_b32 v34, v34, 16, v39
	v_and_or_b32 v2, 0xffff, v2, v36
	v_and_or_b32 v3, 0xffff, v3, v38
	v_lshl_or_b32 v35, v35, 16, v37
	;;#ASMSTART
	v_pk_mul_f16 v2, v32, v2;

	;;#ASMEND
	;;#ASMSTART
	v_pk_mul_f16 v3, v34, v3;

	;;#ASMEND
	;; [unrolled: 4-line block ×3, first 2 shown]
	;;#ASMSTART
	v_pk_add_f16 v1, v1, v2;

	;;#ASMEND
	;;#ASMSTART
	v_pk_add_f16 v1, v1, v3;

	;;#ASMEND
	;;#ASMSTART
	v_pk_add_f16 v1, v1, v4;

	;;#ASMEND
	v_and_b32_e32 v2, 0xffff, v1
	v_lshrrev_b32_e32 v1, 16, v1
	;;#ASMSTART
	v_cvt_f32_f16 v36, v2;
	;;#ASMEND
	;;#ASMSTART
	v_cvt_f32_f16 v37, v1;
	;;#ASMEND
	global_load_dwordx4 v[1:4], v[7:8], off offset:512
	s_waitcnt vmcnt(0)
	v_lshrrev_b32_e32 v40, 16, v1
	v_lshrrev_b32_e32 v39, 16, v2
	;; [unrolled: 1-line block ×3, first 2 shown]
	s_and_saveexec_b32 s13, s0
	s_cbranch_execz .LBB83_34
; %bb.33:                               ;   in Loop: Header=BB83_30 Depth=1
	v_cmp_gt_i32_e32 vcc_lo, s11, v29
	v_and_b32_e32 v41, 0xffff0000, v4
	v_cmp_gt_i32_e64 s1, s11, v28
	v_cndmask_b32_e32 v1, 0, v1, vcc_lo
	v_cmp_gt_i32_e32 vcc_lo, s11, v31
	v_cndmask_b32_e64 v2, 0, v2, s1
	v_cmp_gt_i32_e64 s1, s11, v27
	v_cndmask_b32_e32 v40, 0, v40, vcc_lo
	v_cmp_gt_i32_e32 vcc_lo, s11, v30
	v_cndmask_b32_e64 v39, 0, v39, s1
	v_cndmask_b32_sdwa v4, v16, v4, vcc_lo dst_sel:DWORD dst_unused:UNUSED_PAD src0_sel:DWORD src1_sel:WORD_0
	v_cmp_gt_i32_e32 vcc_lo, s11, v19
	v_cndmask_b32_e32 v41, 0, v41, vcc_lo
	v_cmp_gt_i32_e32 vcc_lo, s11, v26
	v_or_b32_e32 v4, v4, v41
	v_cndmask_b32_e32 v3, 0, v3, vcc_lo
	v_cmp_gt_i32_e32 vcc_lo, s11, v25
	v_cndmask_b32_e32 v38, 0, v38, vcc_lo
.LBB83_34:                              ;   in Loop: Header=BB83_30 Depth=1
	s_or_b32 exec_lo, exec_lo, s13
	v_lshlrev_b32_e32 v40, 16, v40
	v_lshlrev_b32_e32 v39, 16, v39
	;; [unrolled: 1-line block ×3, first 2 shown]
	v_and_or_b32 v1, 0xffff, v1, v40
	v_and_or_b32 v2, 0xffff, v2, v39
	;; [unrolled: 1-line block ×3, first 2 shown]
	;;#ASMSTART
	v_pk_mul_f16 v1, v33, v1;

	;;#ASMEND
	;;#ASMSTART
	v_pk_mul_f16 v2, v32, v2;

	;;#ASMEND
	;; [unrolled: 4-line block ×4, first 2 shown]
	;;#ASMSTART
	v_pk_add_f16 v1, v1, v2;

	;;#ASMEND
	;;#ASMSTART
	v_pk_add_f16 v1, v1, v3;

	;;#ASMEND
	;; [unrolled: 4-line block ×3, first 2 shown]
	v_and_b32_e32 v2, 0xffff, v1
	v_lshrrev_b32_e32 v1, 16, v1
	;;#ASMSTART
	v_cvt_f32_f16 v38, v2;
	;;#ASMEND
	;;#ASMSTART
	v_cvt_f32_f16 v39, v1;
	;;#ASMEND
	global_load_dwordx4 v[1:4], v[7:8], off offset:1024
	s_waitcnt vmcnt(0)
	v_lshrrev_b32_e32 v42, 16, v1
	v_lshrrev_b32_e32 v41, 16, v2
	;; [unrolled: 1-line block ×3, first 2 shown]
	s_and_saveexec_b32 s13, s0
	s_cbranch_execz .LBB83_36
; %bb.35:                               ;   in Loop: Header=BB83_30 Depth=1
	v_cmp_gt_i32_e32 vcc_lo, s11, v29
	v_and_b32_e32 v43, 0xffff0000, v4
	v_cmp_gt_i32_e64 s1, s11, v28
	v_cndmask_b32_e32 v1, 0, v1, vcc_lo
	v_cmp_gt_i32_e32 vcc_lo, s11, v31
	v_cndmask_b32_e64 v2, 0, v2, s1
	v_cmp_gt_i32_e64 s1, s11, v27
	v_cndmask_b32_e32 v42, 0, v42, vcc_lo
	v_cmp_gt_i32_e32 vcc_lo, s11, v30
	v_cndmask_b32_e64 v41, 0, v41, s1
	v_cndmask_b32_sdwa v4, v16, v4, vcc_lo dst_sel:DWORD dst_unused:UNUSED_PAD src0_sel:DWORD src1_sel:WORD_0
	v_cmp_gt_i32_e32 vcc_lo, s11, v19
	v_cndmask_b32_e32 v43, 0, v43, vcc_lo
	v_cmp_gt_i32_e32 vcc_lo, s11, v26
	v_or_b32_e32 v4, v4, v43
	v_cndmask_b32_e32 v3, 0, v3, vcc_lo
	v_cmp_gt_i32_e32 vcc_lo, s11, v25
	v_cndmask_b32_e32 v40, 0, v40, vcc_lo
.LBB83_36:                              ;   in Loop: Header=BB83_30 Depth=1
	s_or_b32 exec_lo, exec_lo, s13
	v_lshlrev_b32_e32 v42, 16, v42
	v_lshlrev_b32_e32 v41, 16, v41
	;; [unrolled: 1-line block ×3, first 2 shown]
	v_and_or_b32 v1, 0xffff, v1, v42
	v_and_or_b32 v2, 0xffff, v2, v41
	;; [unrolled: 1-line block ×3, first 2 shown]
	;;#ASMSTART
	v_pk_mul_f16 v1, v33, v1;

	;;#ASMEND
	;;#ASMSTART
	v_pk_mul_f16 v2, v32, v2;

	;;#ASMEND
	;;#ASMSTART
	v_pk_mul_f16 v3, v34, v3;

	;;#ASMEND
	;;#ASMSTART
	v_pk_mul_f16 v4, v35, v4;

	;;#ASMEND
	;;#ASMSTART
	v_pk_add_f16 v1, v1, v2;

	;;#ASMEND
	;;#ASMSTART
	v_pk_add_f16 v1, v1, v3;

	;;#ASMEND
	;; [unrolled: 4-line block ×3, first 2 shown]
	v_and_b32_e32 v2, 0xffff, v1
	v_lshrrev_b32_e32 v1, 16, v1
	;;#ASMSTART
	v_cvt_f32_f16 v40, v2;
	;;#ASMEND
	;;#ASMSTART
	v_cvt_f32_f16 v41, v1;
	;;#ASMEND
	global_load_dwordx4 v[1:4], v[7:8], off offset:1536
	s_waitcnt vmcnt(0)
	v_lshrrev_b32_e32 v44, 16, v1
	v_lshrrev_b32_e32 v43, 16, v2
	;; [unrolled: 1-line block ×3, first 2 shown]
	s_and_saveexec_b32 s13, s0
	s_cbranch_execz .LBB83_38
; %bb.37:                               ;   in Loop: Header=BB83_30 Depth=1
	v_cmp_gt_i32_e32 vcc_lo, s11, v29
	v_and_b32_e32 v45, 0xffff0000, v4
	v_cmp_gt_i32_e64 s1, s11, v28
	v_cndmask_b32_e32 v1, 0, v1, vcc_lo
	v_cmp_gt_i32_e32 vcc_lo, s11, v31
	v_cndmask_b32_e64 v2, 0, v2, s1
	v_cmp_gt_i32_e64 s1, s11, v27
	v_cndmask_b32_e32 v44, 0, v44, vcc_lo
	v_cmp_gt_i32_e32 vcc_lo, s11, v30
	v_cndmask_b32_e64 v43, 0, v43, s1
	v_cndmask_b32_sdwa v4, v16, v4, vcc_lo dst_sel:DWORD dst_unused:UNUSED_PAD src0_sel:DWORD src1_sel:WORD_0
	v_cmp_gt_i32_e32 vcc_lo, s11, v19
	v_cndmask_b32_e32 v45, 0, v45, vcc_lo
	v_cmp_gt_i32_e32 vcc_lo, s11, v26
	v_or_b32_e32 v4, v4, v45
	v_cndmask_b32_e32 v3, 0, v3, vcc_lo
	v_cmp_gt_i32_e32 vcc_lo, s11, v25
	v_cndmask_b32_e32 v42, 0, v42, vcc_lo
.LBB83_38:                              ;   in Loop: Header=BB83_30 Depth=1
	s_or_b32 exec_lo, exec_lo, s13
	v_lshlrev_b32_e32 v44, 16, v44
	v_lshlrev_b32_e32 v43, 16, v43
	;; [unrolled: 1-line block ×3, first 2 shown]
	v_and_or_b32 v1, 0xffff, v1, v44
	v_and_or_b32 v2, 0xffff, v2, v43
	;; [unrolled: 1-line block ×3, first 2 shown]
	;;#ASMSTART
	v_pk_mul_f16 v1, v33, v1;

	;;#ASMEND
	;;#ASMSTART
	v_pk_mul_f16 v2, v32, v2;

	;;#ASMEND
	;; [unrolled: 4-line block ×4, first 2 shown]
	;;#ASMSTART
	v_pk_add_f16 v1, v1, v2;

	;;#ASMEND
	;;#ASMSTART
	v_pk_add_f16 v1, v1, v3;

	;;#ASMEND
	;; [unrolled: 4-line block ×3, first 2 shown]
	v_lshrrev_b32_e32 v3, 16, v1
	v_and_b32_e32 v4, 0xffff, v1
	v_add_co_u32 v1, vcc_lo, 0x800, v7
	v_add_co_ci_u32_e64 v2, null, 0, v8, vcc_lo
	;;#ASMSTART
	v_cvt_f32_f16 v7, v4;
	;;#ASMEND
	;;#ASMSTART
	v_cvt_f32_f16 v8, v3;
	;;#ASMEND
	global_load_dwordx4 v[1:4], v[1:2], off
	s_waitcnt vmcnt(0)
	v_lshrrev_b32_e32 v44, 16, v1
	v_lshrrev_b32_e32 v43, 16, v2
	;; [unrolled: 1-line block ×3, first 2 shown]
	s_and_saveexec_b32 s1, s0
	s_cbranch_execz .LBB83_29
; %bb.39:                               ;   in Loop: Header=BB83_30 Depth=1
	v_cmp_gt_i32_e32 vcc_lo, s11, v29
	v_cmp_gt_i32_e64 s0, s11, v28
	v_cndmask_b32_e32 v1, 0, v1, vcc_lo
	v_cmp_gt_i32_e32 vcc_lo, s11, v31
	v_cndmask_b32_e64 v2, 0, v2, s0
	v_cmp_gt_i32_e64 s0, s11, v27
	v_and_b32_e32 v27, 0xffff0000, v4
	v_cndmask_b32_e32 v44, 0, v44, vcc_lo
	v_cmp_gt_i32_e32 vcc_lo, s11, v30
	v_cndmask_b32_e64 v43, 0, v43, s0
	v_cndmask_b32_sdwa v4, v16, v4, vcc_lo dst_sel:DWORD dst_unused:UNUSED_PAD src0_sel:DWORD src1_sel:WORD_0
	v_cmp_gt_i32_e32 vcc_lo, s11, v19
	v_cndmask_b32_e32 v27, 0, v27, vcc_lo
	v_cmp_gt_i32_e32 vcc_lo, s11, v26
	v_or_b32_e32 v4, v4, v27
	v_cndmask_b32_e32 v3, 0, v3, vcc_lo
	v_cmp_gt_i32_e32 vcc_lo, s11, v25
	v_cndmask_b32_e32 v42, 0, v42, vcc_lo
	s_branch .LBB83_29
.LBB83_40:
	s_or_b32 exec_lo, exec_lo, s4
.LBB83_41:
	s_or_b32 exec_lo, exec_lo, s2
	ds_bpermute_b32 v1, v10, v14
	ds_bpermute_b32 v2, v10, v15
	;; [unrolled: 1-line block ×5, first 2 shown]
	v_lshrrev_b32_e32 v6, 1, v9
	v_mul_u32_u24_e32 v8, 0x140, v23
	v_and_b32_e32 v9, 0x3c1, v0
	s_mov_b32 s0, exec_lo
	s_waitcnt lgkmcnt(0)
	v_lshl_add_u32 v7, v6, 2, 0xc0
	s_barrier
	buffer_gl0_inv
	v_add_f32_e32 v5, v14, v1
	v_add_f32_e32 v4, v15, v2
	;; [unrolled: 1-line block ×5, first 2 shown]
	v_cmpx_eq_u32_e32 64, v9
	s_cbranch_execz .LBB83_43
; %bb.42:
	v_add_nc_u32_e32 v9, v7, v8
	v_add_nc_u32_e32 v10, 0xfffffd80, v9
	v_add_nc_u32_e32 v11, 0xfffffdc0, v9
	v_add_nc_u32_e32 v12, 0xfffffe00, v9
	v_add_nc_u32_e32 v13, 0xfffffe40, v9
	v_add_nc_u32_e32 v9, 0xfffffe80, v9
	ds_write_b32 v10, v5
	ds_write_b32 v11, v4
	ds_write_b32 v12, v3
	ds_write_b32 v13, v2
	ds_write_b32 v9, v1
.LBB83_43:
	s_or_b32 exec_lo, exec_lo, s0
	v_lshlrev_b32_e32 v6, 2, v6
	s_mov_b32 s1, exec_lo
	v_cmp_eq_u32_e32 vcc_lo, 0, v22
	s_waitcnt lgkmcnt(0)
	s_barrier
	v_add3_u32 v6, 0xc0, v8, v6
	buffer_gl0_inv
	v_cmpx_gt_u32_e32 64, v0
	s_cbranch_execz .LBB83_51
; %bb.44:
	s_and_saveexec_b32 s0, vcc_lo
	s_cbranch_execnz .LBB83_64
; %bb.45:
	s_or_b32 exec_lo, exec_lo, s0
	s_and_saveexec_b32 s0, vcc_lo
	s_cbranch_execnz .LBB83_65
.LBB83_46:
	s_or_b32 exec_lo, exec_lo, s0
	s_and_saveexec_b32 s0, vcc_lo
	s_cbranch_execnz .LBB83_66
.LBB83_47:
	s_or_b32 exec_lo, exec_lo, s0
	s_and_saveexec_b32 s0, vcc_lo
	s_cbranch_execnz .LBB83_67
.LBB83_48:
	s_or_b32 exec_lo, exec_lo, s0
	s_and_saveexec_b32 s0, vcc_lo
	s_cbranch_execz .LBB83_50
.LBB83_49:
	ds_read_b32 v8, v6 offset:256
	s_waitcnt lgkmcnt(0)
	v_add_f32_e32 v1, v1, v8
.LBB83_50:
	s_or_b32 exec_lo, exec_lo, s0
.LBB83_51:
	s_or_b32 exec_lo, exec_lo, s1
	v_and_b32_e32 v8, 0x3e1, v0
	s_mov_b32 s1, exec_lo
	s_barrier
	buffer_gl0_inv
	v_cmpx_eq_u32_e32 32, v8
	s_cbranch_execz .LBB83_53
; %bb.52:
	ds_write2_b32 v7, v5, v4 offset1:16
	ds_write2_b32 v7, v3, v2 offset0:32 offset1:48
	ds_write_b32 v7, v1 offset:256
.LBB83_53:
	s_or_b32 exec_lo, exec_lo, s1
	s_mov_b32 s1, exec_lo
	s_waitcnt lgkmcnt(0)
	s_barrier
	buffer_gl0_inv
	v_cmpx_gt_u32_e32 32, v0
	s_cbranch_execz .LBB83_61
; %bb.54:
	s_and_saveexec_b32 s0, vcc_lo
	s_cbranch_execnz .LBB83_68
; %bb.55:
	s_or_b32 exec_lo, exec_lo, s0
	s_and_saveexec_b32 s0, vcc_lo
	s_cbranch_execnz .LBB83_69
.LBB83_56:
	s_or_b32 exec_lo, exec_lo, s0
	s_and_saveexec_b32 s0, vcc_lo
	s_cbranch_execnz .LBB83_70
.LBB83_57:
	s_or_b32 exec_lo, exec_lo, s0
	s_and_saveexec_b32 s0, vcc_lo
	s_cbranch_execnz .LBB83_71
.LBB83_58:
	s_or_b32 exec_lo, exec_lo, s0
	s_and_saveexec_b32 s0, vcc_lo
	s_cbranch_execz .LBB83_60
.LBB83_59:
	ds_read_b32 v0, v6 offset:256
	s_waitcnt lgkmcnt(0)
	v_add_f32_e32 v1, v1, v0
.LBB83_60:
	s_or_b32 exec_lo, exec_lo, s0
.LBB83_61:
	s_or_b32 exec_lo, exec_lo, s1
	s_barrier
	buffer_gl0_inv
	s_mov_b32 s0, exec_lo
	v_cmpx_eq_u32_e32 0, v8
	s_cbranch_execz .LBB83_63
; %bb.62:
	s_mul_i32 s0, s10, s7
	s_mul_i32 s2, s7, s6
	;; [unrolled: 1-line block ×3, first 2 shown]
	v_lshlrev_b32_e32 v0, 1, v21
	s_mulk_i32 s0, 0x50
	;;#ASMSTART
	v_cvt_f16_f32 v5, v5;

	;;#ASMEND
	s_ashr_i32 s1, s0, 31
	s_lshl_b64 s[0:1], s[0:1], 1
	s_add_u32 s4, s16, s0
	s_addc_u32 s5, s17, s1
	s_ashr_i32 s3, s2, 31
	s_lshl_b64 s[0:1], s[2:3], 1
	s_mul_i32 s2, s8, 0x50
	s_add_u32 s4, s4, s0
	s_addc_u32 s5, s5, s1
	s_ashr_i32 s3, s2, 31
	s_lshl_b64 s[0:1], s[2:3], 1
	s_add_u32 s0, s4, s0
	s_addc_u32 s1, s5, s1
	global_store_short v0, v5, s[0:1]
	;;#ASMSTART
	v_cvt_f16_f32 v4, v4;

	;;#ASMEND
	global_store_short v0, v4, s[0:1] offset:32
	;;#ASMSTART
	v_cvt_f16_f32 v3, v3;

	;;#ASMEND
	global_store_short v0, v3, s[0:1] offset:64
	;; [unrolled: 5-line block ×4, first 2 shown]
.LBB83_63:
	s_endpgm
.LBB83_64:
	ds_read_b32 v8, v6
	s_waitcnt lgkmcnt(0)
	v_add_f32_e32 v5, v5, v8
	s_or_b32 exec_lo, exec_lo, s0
	s_and_saveexec_b32 s0, vcc_lo
	s_cbranch_execz .LBB83_46
.LBB83_65:
	ds_read_b32 v8, v6 offset:64
	s_waitcnt lgkmcnt(0)
	v_add_f32_e32 v4, v4, v8
	s_or_b32 exec_lo, exec_lo, s0
	s_and_saveexec_b32 s0, vcc_lo
	s_cbranch_execz .LBB83_47
.LBB83_66:
	ds_read_b32 v8, v6 offset:128
	s_waitcnt lgkmcnt(0)
	v_add_f32_e32 v3, v3, v8
	s_or_b32 exec_lo, exec_lo, s0
	s_and_saveexec_b32 s0, vcc_lo
	s_cbranch_execz .LBB83_48
.LBB83_67:
	ds_read_b32 v8, v6 offset:192
	s_waitcnt lgkmcnt(0)
	v_add_f32_e32 v2, v2, v8
	s_or_b32 exec_lo, exec_lo, s0
	s_and_saveexec_b32 s0, vcc_lo
	s_cbranch_execnz .LBB83_49
	s_branch .LBB83_50
.LBB83_68:
	ds_read_b32 v0, v6
	s_waitcnt lgkmcnt(0)
	v_add_f32_e32 v5, v5, v0
	s_or_b32 exec_lo, exec_lo, s0
	s_and_saveexec_b32 s0, vcc_lo
	s_cbranch_execz .LBB83_56
.LBB83_69:
	ds_read_b32 v0, v6 offset:64
	s_waitcnt lgkmcnt(0)
	v_add_f32_e32 v4, v4, v0
	s_or_b32 exec_lo, exec_lo, s0
	s_and_saveexec_b32 s0, vcc_lo
	s_cbranch_execz .LBB83_57
.LBB83_70:
	ds_read_b32 v0, v6 offset:128
	s_waitcnt lgkmcnt(0)
	v_add_f32_e32 v3, v3, v0
	s_or_b32 exec_lo, exec_lo, s0
	s_and_saveexec_b32 s0, vcc_lo
	s_cbranch_execz .LBB83_58
.LBB83_71:
	ds_read_b32 v0, v6 offset:192
	s_waitcnt lgkmcnt(0)
	v_add_f32_e32 v2, v2, v0
	s_or_b32 exec_lo, exec_lo, s0
	s_and_saveexec_b32 s0, vcc_lo
	s_cbranch_execnz .LBB83_59
	s_branch .LBB83_60
	.section	.rodata,"a",@progbits
	.p2align	6, 0x0
	.amdhsa_kernel _ZN4vllm25paged_attention_v1_kernelIttLi80ELi16ELi128ELNS_18Fp8KVCacheDataTypeE0ELb0EEEvPT_PKS2_PKT0_S8_ifPKiSA_iPKfiiiSC_SC_iiiii
		.amdhsa_group_segment_fixed_size 192
		.amdhsa_private_segment_fixed_size 0
		.amdhsa_kernarg_size 384
		.amdhsa_user_sgpr_count 6
		.amdhsa_user_sgpr_private_segment_buffer 1
		.amdhsa_user_sgpr_dispatch_ptr 0
		.amdhsa_user_sgpr_queue_ptr 0
		.amdhsa_user_sgpr_kernarg_segment_ptr 1
		.amdhsa_user_sgpr_dispatch_id 0
		.amdhsa_user_sgpr_flat_scratch_init 0
		.amdhsa_user_sgpr_private_segment_size 0
		.amdhsa_wavefront_size32 1
		.amdhsa_uses_dynamic_stack 0
		.amdhsa_system_sgpr_private_segment_wavefront_offset 0
		.amdhsa_system_sgpr_workgroup_id_x 1
		.amdhsa_system_sgpr_workgroup_id_y 1
		.amdhsa_system_sgpr_workgroup_id_z 1
		.amdhsa_system_sgpr_workgroup_info 0
		.amdhsa_system_vgpr_workitem_id 0
		.amdhsa_next_free_vgpr 87
		.amdhsa_next_free_sgpr 27
		.amdhsa_reserve_vcc 1
		.amdhsa_reserve_flat_scratch 0
		.amdhsa_float_round_mode_32 0
		.amdhsa_float_round_mode_16_64 0
		.amdhsa_float_denorm_mode_32 3
		.amdhsa_float_denorm_mode_16_64 3
		.amdhsa_dx10_clamp 1
		.amdhsa_ieee_mode 1
		.amdhsa_fp16_overflow 0
		.amdhsa_workgroup_processor_mode 1
		.amdhsa_memory_ordered 1
		.amdhsa_forward_progress 1
		.amdhsa_shared_vgpr_count 0
		.amdhsa_exception_fp_ieee_invalid_op 0
		.amdhsa_exception_fp_denorm_src 0
		.amdhsa_exception_fp_ieee_div_zero 0
		.amdhsa_exception_fp_ieee_overflow 0
		.amdhsa_exception_fp_ieee_underflow 0
		.amdhsa_exception_fp_ieee_inexact 0
		.amdhsa_exception_int_div_zero 0
	.end_amdhsa_kernel
	.section	.text._ZN4vllm25paged_attention_v1_kernelIttLi80ELi16ELi128ELNS_18Fp8KVCacheDataTypeE0ELb0EEEvPT_PKS2_PKT0_S8_ifPKiSA_iPKfiiiSC_SC_iiiii,"axG",@progbits,_ZN4vllm25paged_attention_v1_kernelIttLi80ELi16ELi128ELNS_18Fp8KVCacheDataTypeE0ELb0EEEvPT_PKS2_PKT0_S8_ifPKiSA_iPKfiiiSC_SC_iiiii,comdat
.Lfunc_end83:
	.size	_ZN4vllm25paged_attention_v1_kernelIttLi80ELi16ELi128ELNS_18Fp8KVCacheDataTypeE0ELb0EEEvPT_PKS2_PKT0_S8_ifPKiSA_iPKfiiiSC_SC_iiiii, .Lfunc_end83-_ZN4vllm25paged_attention_v1_kernelIttLi80ELi16ELi128ELNS_18Fp8KVCacheDataTypeE0ELb0EEEvPT_PKS2_PKT0_S8_ifPKiSA_iPKfiiiSC_SC_iiiii
                                        ; -- End function
	.set _ZN4vllm25paged_attention_v1_kernelIttLi80ELi16ELi128ELNS_18Fp8KVCacheDataTypeE0ELb0EEEvPT_PKS2_PKT0_S8_ifPKiSA_iPKfiiiSC_SC_iiiii.num_vgpr, 87
	.set _ZN4vllm25paged_attention_v1_kernelIttLi80ELi16ELi128ELNS_18Fp8KVCacheDataTypeE0ELb0EEEvPT_PKS2_PKT0_S8_ifPKiSA_iPKfiiiSC_SC_iiiii.num_agpr, 0
	.set _ZN4vllm25paged_attention_v1_kernelIttLi80ELi16ELi128ELNS_18Fp8KVCacheDataTypeE0ELb0EEEvPT_PKS2_PKT0_S8_ifPKiSA_iPKfiiiSC_SC_iiiii.numbered_sgpr, 27
	.set _ZN4vllm25paged_attention_v1_kernelIttLi80ELi16ELi128ELNS_18Fp8KVCacheDataTypeE0ELb0EEEvPT_PKS2_PKT0_S8_ifPKiSA_iPKfiiiSC_SC_iiiii.num_named_barrier, 0
	.set _ZN4vllm25paged_attention_v1_kernelIttLi80ELi16ELi128ELNS_18Fp8KVCacheDataTypeE0ELb0EEEvPT_PKS2_PKT0_S8_ifPKiSA_iPKfiiiSC_SC_iiiii.private_seg_size, 0
	.set _ZN4vllm25paged_attention_v1_kernelIttLi80ELi16ELi128ELNS_18Fp8KVCacheDataTypeE0ELb0EEEvPT_PKS2_PKT0_S8_ifPKiSA_iPKfiiiSC_SC_iiiii.uses_vcc, 1
	.set _ZN4vllm25paged_attention_v1_kernelIttLi80ELi16ELi128ELNS_18Fp8KVCacheDataTypeE0ELb0EEEvPT_PKS2_PKT0_S8_ifPKiSA_iPKfiiiSC_SC_iiiii.uses_flat_scratch, 0
	.set _ZN4vllm25paged_attention_v1_kernelIttLi80ELi16ELi128ELNS_18Fp8KVCacheDataTypeE0ELb0EEEvPT_PKS2_PKT0_S8_ifPKiSA_iPKfiiiSC_SC_iiiii.has_dyn_sized_stack, 0
	.set _ZN4vllm25paged_attention_v1_kernelIttLi80ELi16ELi128ELNS_18Fp8KVCacheDataTypeE0ELb0EEEvPT_PKS2_PKT0_S8_ifPKiSA_iPKfiiiSC_SC_iiiii.has_recursion, 0
	.set _ZN4vllm25paged_attention_v1_kernelIttLi80ELi16ELi128ELNS_18Fp8KVCacheDataTypeE0ELb0EEEvPT_PKS2_PKT0_S8_ifPKiSA_iPKfiiiSC_SC_iiiii.has_indirect_call, 0
	.section	.AMDGPU.csdata,"",@progbits
; Kernel info:
; codeLenInByte = 7888
; TotalNumSgprs: 29
; NumVgprs: 87
; ScratchSize: 0
; MemoryBound: 0
; FloatMode: 240
; IeeeMode: 1
; LDSByteSize: 192 bytes/workgroup (compile time only)
; SGPRBlocks: 0
; VGPRBlocks: 10
; NumSGPRsForWavesPerEU: 29
; NumVGPRsForWavesPerEU: 87
; Occupancy: 10
; WaveLimiterHint : 1
; COMPUTE_PGM_RSRC2:SCRATCH_EN: 0
; COMPUTE_PGM_RSRC2:USER_SGPR: 6
; COMPUTE_PGM_RSRC2:TRAP_HANDLER: 0
; COMPUTE_PGM_RSRC2:TGID_X_EN: 1
; COMPUTE_PGM_RSRC2:TGID_Y_EN: 1
; COMPUTE_PGM_RSRC2:TGID_Z_EN: 1
; COMPUTE_PGM_RSRC2:TIDIG_COMP_CNT: 0
	.section	.text._ZN4vllm25paged_attention_v1_kernelIttLi96ELi16ELi128ELNS_18Fp8KVCacheDataTypeE0ELb0EEEvPT_PKS2_PKT0_S8_ifPKiSA_iPKfiiiSC_SC_iiiii,"axG",@progbits,_ZN4vllm25paged_attention_v1_kernelIttLi96ELi16ELi128ELNS_18Fp8KVCacheDataTypeE0ELb0EEEvPT_PKS2_PKT0_S8_ifPKiSA_iPKfiiiSC_SC_iiiii,comdat
	.protected	_ZN4vllm25paged_attention_v1_kernelIttLi96ELi16ELi128ELNS_18Fp8KVCacheDataTypeE0ELb0EEEvPT_PKS2_PKT0_S8_ifPKiSA_iPKfiiiSC_SC_iiiii ; -- Begin function _ZN4vllm25paged_attention_v1_kernelIttLi96ELi16ELi128ELNS_18Fp8KVCacheDataTypeE0ELb0EEEvPT_PKS2_PKT0_S8_ifPKiSA_iPKfiiiSC_SC_iiiii
	.globl	_ZN4vllm25paged_attention_v1_kernelIttLi96ELi16ELi128ELNS_18Fp8KVCacheDataTypeE0ELb0EEEvPT_PKS2_PKT0_S8_ifPKiSA_iPKfiiiSC_SC_iiiii
	.p2align	8
	.type	_ZN4vllm25paged_attention_v1_kernelIttLi96ELi16ELi128ELNS_18Fp8KVCacheDataTypeE0ELb0EEEvPT_PKS2_PKT0_S8_ifPKiSA_iPKfiiiSC_SC_iiiii,@function
_ZN4vllm25paged_attention_v1_kernelIttLi96ELi16ELi128ELNS_18Fp8KVCacheDataTypeE0ELb0EEEvPT_PKS2_PKT0_S8_ifPKiSA_iPKfiiiSC_SC_iiiii: ; @_ZN4vllm25paged_attention_v1_kernelIttLi96ELi16ELi128ELNS_18Fp8KVCacheDataTypeE0ELb0EEEvPT_PKS2_PKT0_S8_ifPKiSA_iPKfiiiSC_SC_iiiii
; %bb.0:
	s_clause 0x2
	s_load_dword s9, s[4:5], 0x80
	s_load_dwordx2 s[0:1], s[4:5], 0x30
	s_load_dwordx2 s[24:25], s[4:5], 0x20
	s_mov_b32 s10, s7
	s_ashr_i32 s11, s7, 31
	s_lshl_b64 s[2:3], s[10:11], 2
	s_waitcnt lgkmcnt(0)
	s_add_u32 s0, s0, s2
	s_addc_u32 s1, s1, s3
	s_abs_i32 s2, s24
	s_abs_i32 s11, s9
	v_cvt_f32_u32_e32 v1, s2
	s_sub_i32 s7, 0, s2
	v_rcp_iflag_f32_e32 v1, v1
	v_mul_f32_e32 v1, 0x4f7ffffe, v1
	v_cvt_u32_f32_e32 v1, v1
	v_readfirstlane_b32 s3, v1
	s_mul_i32 s7, s7, s3
	s_mul_hi_u32 s7, s3, s7
	s_add_i32 s3, s3, s7
	s_xor_b32 s7, s9, s24
	s_mul_hi_u32 s3, s11, s3
	s_ashr_i32 s7, s7, 31
	s_mul_i32 s12, s3, s2
	s_mov_b32 s24, 0
	s_sub_i32 s11, s11, s12
	s_add_i32 s12, s3, 1
	s_sub_i32 s13, s11, s2
	s_cmp_ge_u32 s11, s2
	s_cselect_b32 s3, s12, s3
	s_cselect_b32 s11, s13, s11
	s_add_i32 s12, s3, 1
	s_cmp_ge_u32 s11, s2
	s_cselect_b32 s2, s12, s3
	s_abs_i32 s17, s6
	s_xor_b32 s2, s2, s7
	s_sub_i32 s18, s2, s7
	s_load_dwordx2 s[2:3], s[4:5], 0x40
	s_abs_i32 s16, s18
	v_cvt_f32_u32_e32 v1, s16
	s_sub_i32 s11, 0, s16
	v_rcp_iflag_f32_e32 v1, v1
	v_mul_f32_e32 v1, 0x4f7ffffe, v1
	v_cvt_u32_f32_e32 v1, v1
	v_readfirstlane_b32 s7, v1
	s_mul_i32 s11, s11, s7
	s_mul_hi_u32 s11, s7, s11
	s_add_i32 s7, s7, s11
	s_waitcnt lgkmcnt(0)
	s_cmp_eq_u64 s[2:3], 0
	s_mul_hi_u32 s20, s17, s7
	s_cbranch_scc1 .LBB84_2
; %bb.1:
	s_ashr_i32 s7, s6, 31
	s_lshl_b64 s[12:13], s[6:7], 2
	s_add_u32 s2, s2, s12
	s_addc_u32 s3, s3, s13
	s_load_dword s24, s[2:3], 0x0
.LBB84_2:
	s_load_dword s11, s[0:1], 0x0
	s_load_dwordx4 s[12:15], s[4:5], 0x48
	v_lshrrev_b32_e32 v27, 1, v0
	v_and_b32_e32 v28, 1, v0
	v_lshlrev_b32_e32 v30, 3, v0
	s_ashr_i32 s0, s6, 31
	s_ashr_i32 s1, s18, 31
	s_mulk_i32 s6, 0x60
	s_mov_b32 s2, exec_lo
	v_cmpx_gt_u32_e32 24, v0
	s_cbranch_execz .LBB84_4
; %bb.3:
	s_load_dwordx2 s[18:19], s[4:5], 0x8
	s_waitcnt lgkmcnt(0)
	s_mul_i32 s22, s12, s10
	v_lshlrev_b32_e32 v3, 3, v27
	s_ashr_i32 s23, s22, 31
	s_lshl_b64 s[22:23], s[22:23], 1
	v_mad_u32_u24 v3, 0x60, v28, v3
	s_add_u32 s3, s18, s22
	s_addc_u32 s12, s19, s23
	s_ashr_i32 s7, s6, 31
	s_lshl_b64 s[18:19], s[6:7], 1
	s_add_u32 s18, s3, s18
	s_addc_u32 s19, s12, s19
	global_load_dwordx2 v[1:2], v30, s[18:19]
	s_waitcnt vmcnt(0)
	ds_write_b64 v3, v[1:2]
.LBB84_4:
	s_or_b32 exec_lo, exec_lo, s2
	s_waitcnt lgkmcnt(0)
	s_add_i32 s2, s11, 15
	s_clause 0x1
	s_load_dwordx2 s[18:19], s[4:5], 0x28
	s_load_dword s7, s[4:5], 0x38
	s_ashr_i32 s3, s2, 31
	s_xor_b32 s0, s0, s1
	s_lshr_b32 s3, s3, 28
	s_mul_i32 s1, s20, s16
	s_add_i32 s2, s2, s3
	s_sub_i32 s1, s17, s1
	s_ashr_i32 s12, s2, 4
	s_add_i32 s2, s20, 1
	s_sub_i32 s3, s1, s16
	s_cmp_ge_u32 s1, s16
	v_lshrrev_b32_e32 v29, 5, v0
	s_cselect_b32 s2, s2, s20
	s_cselect_b32 s1, s3, s1
	s_add_i32 s3, s2, 1
	s_cmp_ge_u32 s1, s16
	v_mbcnt_lo_u32_b32 v32, -1, 0
	s_cselect_b32 s1, s3, s2
	s_mov_b32 s2, exec_lo
	s_xor_b32 s1, s1, s0
	s_waitcnt lgkmcnt(0)
	s_mul_i32 s20, s7, s10
	s_sub_i32 s1, s1, s0
	v_cmp_gt_i32_e64 s0, s12, v29
	s_ashr_i32 s21, s20, 31
	s_barrier
	buffer_gl0_inv
                                        ; implicit-def: $vgpr33
                                        ; implicit-def: $vgpr34
	v_cmpx_le_i32_e64 s12, v29
	s_xor_b32 s2, exec_lo, s2
; %bb.5:
	v_mov_b32_e32 v33, 0
	v_mbcnt_lo_u32_b32 v32, -1, 0
	v_mov_b32_e32 v34, 32
; %bb.6:
	s_or_saveexec_b32 s26, s2
	s_clause 0x2
	s_load_dwordx2 s[16:17], s[4:5], 0x0
	s_load_dwordx2 s[22:23], s[4:5], 0x18
	s_load_dword s7, s[4:5], 0x88
	v_mov_b32_e32 v35, 0xff7fffff
	v_lshrrev_b32_e32 v31, 3, v0
	s_mul_i32 s14, s1, s14
	s_xor_b32 exec_lo, exec_lo, s26
	s_cbranch_execz .LBB84_12
; %bb.7:
	s_load_dwordx2 s[2:3], s[4:5], 0x10
	v_bfe_u32 v1, v0, 1, 4
	s_ashr_i32 s15, s14, 31
	v_and_b32_e32 v3, 8, v30
	s_lshl_b64 s[4:5], s[14:15], 1
	v_and_b32_e32 v4, 0x7c, v31
	v_lshlrev_b32_e32 v2, 2, v1
	v_lshlrev_b32_e32 v5, 4, v1
	v_lshl_or_b32 v37, v29, 4, v1
	v_mov_b32_e32 v33, 0
	v_mul_u32_u24_e32 v36, 0x60, v28
	v_lshl_or_b32 v2, v29, 6, v2
	v_cmp_neq_f32_e64 s1, s24, 0
	v_mov_b32_e32 v35, 0xff7fffff
	v_xor_b32_e32 v41, 1, v32
	v_mov_b32_e32 v34, 32
	v_add_nc_u32_e32 v38, 0xe0, v2
	v_mov_b32_e32 v42, v29
	v_cmp_eq_u32_e32 vcc_lo, 0, v28
	s_waitcnt lgkmcnt(0)
	s_add_u32 s15, s2, s4
	s_addc_u32 s5, s3, s5
	v_add_co_u32 v1, s15, s15, v5
	v_add_co_ci_u32_e64 v2, null, s5, 0, s15
	s_lshl_b64 s[2:3], s[20:21], 2
	s_sub_i32 s4, 1, s11
	s_add_u32 s5, s18, s2
	v_add_co_u32 v39, s2, v1, v3
	s_addc_u32 s3, s19, s3
	v_add_co_ci_u32_e64 v40, null, 0, v2, s2
	v_add_co_u32 v1, s2, s5, v4
	v_add_co_ci_u32_e64 v2, null, s3, 0, s2
	s_mov_b32 s15, s13
	s_mov_b32 s5, 0
	s_branch .LBB84_9
.LBB84_8:                               ;   in Loop: Header=BB84_9 Depth=1
	s_or_b32 exec_lo, exec_lo, s3
	v_add_nc_u32_e32 v42, 4, v42
	v_add_co_u32 v1, s3, v1, 16
	v_add_nc_u32_e32 v37, 64, v37
	v_add_nc_u32_e32 v38, 0x100, v38
	v_cmp_le_i32_e64 s2, s12, v42
	v_add_co_ci_u32_e64 v2, null, 0, v2, s3
	s_or_b32 s5, s2, s5
	s_andn2_b32 exec_lo, exec_lo, s5
	s_cbranch_execz .LBB84_11
.LBB84_9:                               ; =>This Inner Loop Header: Depth=1
	global_load_dword v3, v[1:2], off
	s_waitcnt vmcnt(0) lgkmcnt(0)
	v_mad_i64_i32 v[3:4], null, v3, s15, 0
	v_lshlrev_b64 v[3:4], 1, v[3:4]
	v_add_co_u32 v3, s2, v39, v3
	v_add_co_ci_u32_e64 v4, null, v40, v4, s2
	s_clause 0x7
	global_load_dwordx2 v[23:24], v[3:4], off
	global_load_dwordx2 v[25:26], v[3:4], off offset:256
	global_load_dwordx2 v[21:22], v[3:4], off offset:512
	;; [unrolled: 1-line block ×7, first 2 shown]
	v_add_co_u32 v3, s2, 0x800, v3
	v_add_co_ci_u32_e64 v4, null, 0, v4, s2
	v_cmp_gt_i32_e64 s2, 32, v41
	s_clause 0x3
	global_load_dwordx2 v[9:10], v[3:4], off
	global_load_dwordx2 v[7:8], v[3:4], off offset:256
	global_load_dwordx2 v[5:6], v[3:4], off offset:512
	;; [unrolled: 1-line block ×3, first 2 shown]
	ds_read_b64 v[43:44], v36
	s_waitcnt lgkmcnt(0)
	v_and_b32_e32 v45, 0xffff, v43
	v_lshrrev_b32_e32 v46, 16, v43
	v_lshrrev_b32_e32 v48, 16, v44
	v_and_b32_e32 v47, 0xffff, v44
	;;#ASMSTART
	v_cvt_f32_f16 v43, v45;
	;;#ASMEND
	;;#ASMSTART
	v_cvt_f32_f16 v44, v46;
	;;#ASMEND
	s_waitcnt vmcnt(11)
	v_and_b32_e32 v45, 0xffff, v23
	v_lshrrev_b32_e32 v23, 16, v23
	v_lshrrev_b32_e32 v46, 16, v24
	v_and_b32_e32 v24, 0xffff, v24
	;;#ASMSTART
	v_cvt_f32_f16 v50, v45;
	;;#ASMEND
	;;#ASMSTART
	v_cvt_f32_f16 v49, v23;
	;;#ASMEND
	;; [unrolled: 3-line block ×6, first 2 shown]
	ds_read_b64 v[23:24], v36 offset:8
	s_waitcnt vmcnt(10)
	v_lshrrev_b32_e32 v51, 16, v25
	v_and_b32_e32 v52, 0xffff, v25
	v_lshrrev_b32_e32 v25, 16, v26
	v_and_b32_e32 v56, 0xffff, v26
	s_waitcnt vmcnt(9)
	v_lshrrev_b32_e32 v58, 16, v21
	v_and_b32_e32 v21, 0xffff, v21
	v_lshrrev_b32_e32 v62, 16, v22
	v_and_b32_e32 v22, 0xffff, v22
	;; [unrolled: 5-line block ×4, first 2 shown]
	s_waitcnt vmcnt(6)
	v_lshrrev_b32_e32 v76, 16, v15
	v_and_b32_e32 v15, 0xffff, v15
	v_lshrrev_b32_e32 v80, 16, v16
	s_waitcnt lgkmcnt(0)
	v_and_b32_e32 v53, 0xffff, v23
	v_lshrrev_b32_e32 v23, 16, v23
	v_and_b32_e32 v54, 0xffff, v24
	v_lshrrev_b32_e32 v24, 16, v24
	;;#ASMSTART
	v_cvt_f32_f16 v26, v53;
	;;#ASMEND
	;;#ASMSTART
	v_cvt_f32_f16 v53, v23;
	;;#ASMEND
	;; [unrolled: 3-line block ×8, first 2 shown]
	ds_read_b64 v[23:24], v36 offset:16
	v_and_b32_e32 v16, 0xffff, v16
	s_waitcnt vmcnt(5)
	v_lshrrev_b32_e32 v82, 16, v13
	v_and_b32_e32 v13, 0xffff, v13
	v_lshrrev_b32_e32 v86, 16, v14
	v_and_b32_e32 v14, 0xffff, v14
	v_mul_f32_e32 v26, v26, v52
	v_mul_f32_e32 v51, v53, v51
	s_waitcnt vmcnt(4)
	v_lshrrev_b32_e32 v87, 16, v11
	v_and_b32_e32 v11, 0xffff, v11
	v_lshrrev_b32_e32 v53, 16, v12
	v_and_b32_e32 v12, 0xffff, v12
	v_fmac_f32_e32 v26, v43, v50
	v_fmac_f32_e32 v51, v44, v49
	v_mul_f32_e32 v54, v54, v56
	v_mul_f32_e32 v25, v55, v25
	s_waitcnt vmcnt(3)
	v_lshrrev_b32_e32 v56, 16, v10
	v_and_b32_e32 v10, 0xffff, v10
	s_waitcnt vmcnt(1)
	v_lshrrev_b32_e32 v89, 16, v5
	v_fmac_f32_e32 v54, v47, v48
	s_waitcnt lgkmcnt(0)
	v_and_b32_e32 v57, 0xffff, v23
	v_lshrrev_b32_e32 v59, 16, v23
	v_lshrrev_b32_e32 v60, 16, v24
	v_and_b32_e32 v61, 0xffff, v24
	;;#ASMSTART
	v_cvt_f32_f16 v23, v57;
	;;#ASMEND
	;;#ASMSTART
	v_cvt_f32_f16 v24, v59;
	;;#ASMEND
	;; [unrolled: 3-line block ×8, first 2 shown]
	ds_read_b64 v[21:22], v36 offset:24
	v_fmac_f32_e32 v25, v45, v46
	v_fmac_f32_e32 v26, v23, v57
	;; [unrolled: 1-line block ×4, first 2 shown]
	v_and_b32_e32 v5, 0xffff, v5
	v_fmac_f32_e32 v25, v60, v62
	s_waitcnt lgkmcnt(0)
	v_and_b32_e32 v63, 0xffff, v21
	v_lshrrev_b32_e32 v65, 16, v21
	v_lshrrev_b32_e32 v66, 16, v22
	v_and_b32_e32 v67, 0xffff, v22
	;;#ASMSTART
	v_cvt_f32_f16 v21, v63;
	;;#ASMEND
	;;#ASMSTART
	v_cvt_f32_f16 v22, v65;
	;;#ASMEND
	;; [unrolled: 3-line block ×8, first 2 shown]
	ds_read_b64 v[19:20], v36 offset:32
	v_fmac_f32_e32 v26, v21, v63
	v_fmac_f32_e32 v51, v22, v64
	;; [unrolled: 1-line block ×4, first 2 shown]
	v_lshrrev_b32_e32 v21, 16, v6
	v_and_b32_e32 v6, 0xffff, v6
	s_waitcnt vmcnt(0)
	v_lshrrev_b32_e32 v22, 16, v3
	s_waitcnt lgkmcnt(0)
	v_and_b32_e32 v69, 0xffff, v19
	v_lshrrev_b32_e32 v71, 16, v19
	v_lshrrev_b32_e32 v72, 16, v20
	v_and_b32_e32 v73, 0xffff, v20
	;;#ASMSTART
	v_cvt_f32_f16 v19, v69;
	;;#ASMEND
	;;#ASMSTART
	v_cvt_f32_f16 v20, v71;
	;;#ASMEND
	;;#ASMSTART
	v_cvt_f32_f16 v69, v17;
	;;#ASMEND
	;;#ASMSTART
	v_cvt_f32_f16 v70, v70;
	;;#ASMEND
	;;#ASMSTART
	v_cvt_f32_f16 v71, v73;
	;;#ASMEND
	;;#ASMSTART
	v_cvt_f32_f16 v72, v72;
	;;#ASMEND
	;;#ASMSTART
	v_cvt_f32_f16 v73, v18;
	;;#ASMEND
	;;#ASMSTART
	v_cvt_f32_f16 v74, v74;
	;;#ASMEND
	ds_read_b64 v[17:18], v36 offset:40
	v_fmac_f32_e32 v26, v19, v69
	v_fmac_f32_e32 v51, v20, v70
	v_fmac_f32_e32 v54, v71, v73
	v_fmac_f32_e32 v25, v72, v74
	s_waitcnt lgkmcnt(0)
	v_and_b32_e32 v75, 0xffff, v17
	v_lshrrev_b32_e32 v77, 16, v17
	v_lshrrev_b32_e32 v78, 16, v18
	v_and_b32_e32 v79, 0xffff, v18
	;;#ASMSTART
	v_cvt_f32_f16 v17, v75;
	;;#ASMEND
	;;#ASMSTART
	v_cvt_f32_f16 v18, v77;
	;;#ASMEND
	;;#ASMSTART
	v_cvt_f32_f16 v75, v15;
	;;#ASMEND
	;;#ASMSTART
	v_cvt_f32_f16 v76, v76;
	;;#ASMEND
	;;#ASMSTART
	v_cvt_f32_f16 v77, v79;
	;;#ASMEND
	;;#ASMSTART
	v_cvt_f32_f16 v78, v78;
	;;#ASMEND
	;;#ASMSTART
	v_cvt_f32_f16 v79, v16;
	;;#ASMEND
	;;#ASMSTART
	v_cvt_f32_f16 v80, v80;
	;;#ASMEND
	ds_read_b64 v[15:16], v36 offset:48
	v_fmac_f32_e32 v26, v17, v75
	v_fmac_f32_e32 v51, v18, v76
	v_fmac_f32_e32 v54, v77, v79
	v_fmac_f32_e32 v25, v78, v80
	;; [unrolled: 34-line block ×3, first 2 shown]
	s_waitcnt lgkmcnt(0)
	v_and_b32_e32 v43, 0xffff, v13
	v_lshrrev_b32_e32 v50, 16, v13
	v_lshrrev_b32_e32 v52, 16, v14
	v_and_b32_e32 v49, 0xffff, v14
	;;#ASMSTART
	v_cvt_f32_f16 v13, v43;
	;;#ASMEND
	;;#ASMSTART
	v_cvt_f32_f16 v14, v50;
	;;#ASMEND
	;; [unrolled: 3-line block ×8, first 2 shown]
	ds_read_b64 v[11:12], v36 offset:64
	v_lshrrev_b32_e32 v87, 16, v9
	v_and_b32_e32 v9, 0xffff, v9
	v_fmac_f32_e32 v26, v13, v43
	v_fmac_f32_e32 v51, v14, v44
	;; [unrolled: 1-line block ×4, first 2 shown]
	v_and_b32_e32 v13, 0xffff, v3
	s_waitcnt lgkmcnt(0)
	v_and_b32_e32 v47, 0xffff, v11
	v_lshrrev_b32_e32 v48, 16, v11
	v_lshrrev_b32_e32 v55, 16, v12
	v_and_b32_e32 v88, 0xffff, v12
	;;#ASMSTART
	v_cvt_f32_f16 v11, v47;
	;;#ASMEND
	;;#ASMSTART
	v_cvt_f32_f16 v12, v48;
	;;#ASMEND
	;; [unrolled: 3-line block ×8, first 2 shown]
	ds_read_b64 v[9:10], v36 offset:72
	v_lshrrev_b32_e32 v87, 16, v7
	v_and_b32_e32 v7, 0xffff, v7
	v_lshrrev_b32_e32 v88, 16, v8
	v_and_b32_e32 v8, 0xffff, v8
	v_fmac_f32_e32 v26, v11, v45
	v_fmac_f32_e32 v51, v12, v46
	;; [unrolled: 1-line block ×4, first 2 shown]
	v_lshrrev_b32_e32 v11, 16, v4
	s_waitcnt lgkmcnt(0)
	v_and_b32_e32 v23, 0xffff, v9
	v_lshrrev_b32_e32 v24, 16, v9
	v_lshrrev_b32_e32 v58, 16, v10
	v_and_b32_e32 v57, 0xffff, v10
	;;#ASMSTART
	v_cvt_f32_f16 v9, v23;
	;;#ASMEND
	;;#ASMSTART
	v_cvt_f32_f16 v10, v24;
	;;#ASMEND
	;; [unrolled: 3-line block ×8, first 2 shown]
	ds_read_b64 v[7:8], v36 offset:80
	v_fmac_f32_e32 v26, v9, v23
	v_fmac_f32_e32 v51, v10, v24
	;; [unrolled: 1-line block ×3, first 2 shown]
	v_and_b32_e32 v9, 0xffff, v4
	v_fmac_f32_e32 v25, v58, v61
	s_waitcnt lgkmcnt(0)
	v_and_b32_e32 v15, 0xffff, v7
	v_lshrrev_b32_e32 v16, 16, v7
	v_lshrrev_b32_e32 v18, 16, v8
	v_and_b32_e32 v17, 0xffff, v8
	;;#ASMSTART
	v_cvt_f32_f16 v7, v15;
	;;#ASMEND
	;;#ASMSTART
	v_cvt_f32_f16 v8, v16;
	;;#ASMEND
	;; [unrolled: 3-line block ×8, first 2 shown]
	ds_read_b64 v[5:6], v36 offset:88
	v_fmac_f32_e32 v26, v7, v15
	v_fmac_f32_e32 v51, v8, v16
	;; [unrolled: 1-line block ×4, first 2 shown]
	s_waitcnt lgkmcnt(0)
	v_and_b32_e32 v3, 0xffff, v5
	v_lshrrev_b32_e32 v4, 16, v5
	v_lshrrev_b32_e32 v7, 16, v6
	v_and_b32_e32 v8, 0xffff, v6
	;;#ASMSTART
	v_cvt_f32_f16 v3, v3;
	;;#ASMEND
	;;#ASMSTART
	v_cvt_f32_f16 v4, v4;
	;;#ASMEND
	;; [unrolled: 3-line block ×4, first 2 shown]
	v_fmac_f32_e32 v26, v3, v5
	v_fmac_f32_e32 v51, v4, v6
	;;#ASMSTART
	v_cvt_f32_f16 v3, v8;
	;;#ASMEND
	;;#ASMSTART
	v_cvt_f32_f16 v4, v7;
	;;#ASMEND
	;; [unrolled: 3-line block ×3, first 2 shown]
	v_fmac_f32_e32 v54, v3, v5
	v_add_f32_e32 v3, v26, v51
	;;#ASMSTART
	v_cvt_f32_f16 v5, v11;
	;;#ASMEND
	v_fmac_f32_e32 v25, v4, v5
	v_cndmask_b32_e64 v4, v32, v41, s2
	v_add_f32_e32 v3, v3, v54
	v_lshlrev_b32_e32 v4, 2, v4
	v_add_f32_e32 v3, v25, v3
	ds_bpermute_b32 v4, v4, v3
	s_and_saveexec_b32 s3, vcc_lo
	s_cbranch_execz .LBB84_8
; %bb.10:                               ;   in Loop: Header=BB84_9 Depth=1
	v_add_nc_u32_e32 v5, s4, v37
	s_waitcnt lgkmcnt(0)
	v_add_f32_e32 v3, v3, v4
	v_cmp_gt_i32_e64 s2, s11, v37
	v_cvt_f32_i32_e32 v5, v5
	v_mul_f32_e32 v5, s24, v5
	v_cndmask_b32_e64 v4, 0, v5, s1
	v_max_f32_e32 v5, v35, v35
	v_fmac_f32_e32 v4, s25, v3
	v_max_f32_e32 v3, v5, v4
	v_cndmask_b32_e64 v4, 0, v4, s2
	v_cndmask_b32_e64 v35, v35, v3, s2
	ds_write_b32 v38, v4
	s_branch .LBB84_8
.LBB84_11:
	s_or_b32 exec_lo, exec_lo, s5
.LBB84_12:
	s_or_b32 exec_lo, exec_lo, s26
	v_xor_b32_e32 v1, 16, v32
	v_xor_b32_e32 v3, 8, v32
	v_max_f32_e32 v5, v35, v35
	v_xor_b32_e32 v6, 2, v32
	v_and_b32_e32 v9, 31, v0
	v_cmp_lt_i32_e32 vcc_lo, v1, v34
	v_cndmask_b32_e32 v1, v32, v1, vcc_lo
	v_cmp_lt_i32_e32 vcc_lo, v3, v34
	v_lshlrev_b32_e32 v2, 2, v1
	v_cndmask_b32_e32 v3, v32, v3, vcc_lo
	ds_bpermute_b32 v1, v2, v35
	s_waitcnt lgkmcnt(0)
	v_lshlrev_b32_e32 v4, 2, v3
	v_max_f32_e32 v1, v1, v1
	v_max_f32_e32 v1, v5, v1
	v_xor_b32_e32 v5, 4, v32
	ds_bpermute_b32 v3, v4, v1
	v_cmp_lt_i32_e32 vcc_lo, v5, v34
	v_cndmask_b32_e32 v5, v32, v5, vcc_lo
	v_cmp_lt_i32_e32 vcc_lo, v6, v34
	v_lshlrev_b32_e32 v5, 2, v5
	v_cndmask_b32_e32 v6, v32, v6, vcc_lo
	v_cmp_eq_u32_e32 vcc_lo, 0, v9
	s_waitcnt lgkmcnt(0)
	v_max_f32_e32 v3, v3, v3
	v_max_f32_e32 v1, v1, v3
	ds_bpermute_b32 v3, v5, v1
	s_waitcnt lgkmcnt(0)
	v_max_f32_e32 v3, v3, v3
	v_max_f32_e32 v3, v1, v3
	v_lshlrev_b32_e32 v1, 2, v6
	v_lshlrev_b32_e32 v6, 2, v29
	ds_bpermute_b32 v7, v1, v3
	s_and_saveexec_b32 s1, vcc_lo
	s_cbranch_execz .LBB84_14
; %bb.13:
	s_waitcnt lgkmcnt(0)
	v_max_f32_e32 v7, v7, v7
	v_max_f32_e32 v3, v3, v3
	;; [unrolled: 1-line block ×3, first 2 shown]
	ds_write_b32 v6, v3 offset:192
.LBB84_14:
	s_or_b32 exec_lo, exec_lo, s1
	v_cmp_gt_u32_e64 s1, 4, v9
	v_mov_b32_e32 v3, 0xff7fffff
	s_waitcnt lgkmcnt(0)
	v_lshlrev_b32_e32 v7, 2, v9
	s_barrier
	buffer_gl0_inv
	s_and_saveexec_b32 s2, s1
; %bb.15:
	ds_read_b32 v3, v7 offset:192
; %bb.16:
	s_or_b32 exec_lo, exec_lo, s2
	s_waitcnt lgkmcnt(0)
	ds_bpermute_b32 v8, v1, v3
	v_xor_b32_e32 v10, 1, v32
	v_max_f32_e32 v3, v3, v3
	v_cmp_lt_i32_e64 s2, v10, v34
	v_cndmask_b32_e64 v10, v32, v10, s2
	s_lshl_b32 s2, s12, 4
	s_min_i32 s4, s2, s11
	v_lshlrev_b32_e32 v10, 2, v10
	v_cmp_gt_i32_e64 s2, s4, v0
	s_waitcnt lgkmcnt(0)
	v_max_f32_e32 v8, v8, v8
	v_max_f32_e32 v3, v3, v8
	ds_bpermute_b32 v8, v10, v3
	s_waitcnt lgkmcnt(0)
	v_max_f32_e32 v8, v8, v8
	v_max_f32_e32 v3, v3, v8
	v_lshlrev_b32_e32 v8, 2, v33
	ds_bpermute_b32 v11, v8, v3
	v_mov_b32_e32 v8, 0
	v_lshl_add_u32 v3, v0, 2, 0xe0
	s_and_saveexec_b32 s5, s2
	s_cbranch_execz .LBB84_20
; %bb.17:
	v_lshl_add_u32 v12, v0, 2, 0xe0
	v_mov_b32_e32 v8, 0
	v_mov_b32_e32 v13, v0
	s_mov_b32 s15, 0
	.p2align	6
.LBB84_18:                              ; =>This Inner Loop Header: Depth=1
	ds_read_b32 v14, v12
	v_add_nc_u32_e32 v13, 0x80, v13
	v_cmp_le_i32_e64 s3, s4, v13
	s_or_b32 s15, s3, s15
	s_waitcnt lgkmcnt(0)
	v_sub_f32_e32 v14, v14, v11
	v_mul_f32_e32 v14, 0x3fb8aa3b, v14
	v_exp_f32_e32 v14, v14
	ds_write_b32 v12, v14
	v_add_f32_e32 v8, v8, v14
	v_add_nc_u32_e32 v12, 0x200, v12
	s_andn2_b32 exec_lo, exec_lo, s15
	s_cbranch_execnz .LBB84_18
; %bb.19:
	s_or_b32 exec_lo, exec_lo, s15
.LBB84_20:
	s_or_b32 exec_lo, exec_lo, s5
	ds_bpermute_b32 v2, v2, v8
	s_waitcnt lgkmcnt(0)
	v_add_f32_e32 v2, v8, v2
	ds_bpermute_b32 v4, v4, v2
	s_waitcnt lgkmcnt(0)
	v_add_f32_e32 v2, v2, v4
	ds_bpermute_b32 v4, v5, v2
	s_waitcnt lgkmcnt(0)
	v_add_f32_e32 v2, v2, v4
	ds_bpermute_b32 v4, v1, v2
	s_waitcnt lgkmcnt(0)
	v_add_f32_e32 v2, v2, v4
	ds_bpermute_b32 v4, v10, v2
	s_waitcnt lgkmcnt(0)
	v_add_f32_e32 v2, v2, v4
	s_and_saveexec_b32 s3, vcc_lo
; %bb.21:
	ds_write_b32 v6, v2 offset:208
; %bb.22:
	s_or_b32 exec_lo, exec_lo, s3
	s_waitcnt lgkmcnt(0)
	s_barrier
	buffer_gl0_inv
	s_and_saveexec_b32 s3, s1
; %bb.23:
	ds_read_b32 v2, v7 offset:208
; %bb.24:
	s_or_b32 exec_lo, exec_lo, s3
	s_waitcnt lgkmcnt(0)
	ds_bpermute_b32 v1, v1, v2
	v_lshlrev_b32_e32 v4, 2, v32
	s_waitcnt lgkmcnt(0)
	v_add_f32_e32 v1, v2, v1
	ds_bpermute_b32 v2, v10, v1
	s_waitcnt lgkmcnt(0)
	v_add_f32_e32 v1, v1, v2
	v_and_b32_e32 v2, 0xffffff80, v4
	ds_bpermute_b32 v1, v2, v1
	s_and_saveexec_b32 s1, s2
	s_cbranch_execz .LBB84_27
; %bb.25:
	s_waitcnt lgkmcnt(0)
	v_add_f32_e32 v1, 0x358637bd, v1
	s_mov_b32 s2, 0
	v_div_scale_f32 v2, null, v1, v1, 1.0
	v_div_scale_f32 v6, vcc_lo, 1.0, v1, 1.0
	v_rcp_f32_e32 v4, v2
	v_fma_f32 v5, -v2, v4, 1.0
	v_fmac_f32_e32 v4, v5, v4
	v_mul_f32_e32 v5, v6, v4
	v_fma_f32 v7, -v2, v5, v6
	v_fmac_f32_e32 v5, v7, v4
	v_fma_f32 v2, -v2, v5, v6
	v_div_fmas_f32 v2, v2, v4, v5
	v_div_fixup_f32 v1, v2, v1, 1.0
	v_mov_b32_e32 v2, v0
.LBB84_26:                              ; =>This Inner Loop Header: Depth=1
	ds_read_b32 v4, v3
	v_add_nc_u32_e32 v2, 0x80, v2
	v_cmp_le_i32_e32 vcc_lo, s4, v2
	s_or_b32 s2, vcc_lo, s2
	s_waitcnt lgkmcnt(0)
	v_mul_f32_e32 v4, v1, v4
	ds_write_b32 v3, v4
	v_add_nc_u32_e32 v3, 0x200, v3
	s_andn2_b32 exec_lo, exec_lo, s2
	s_cbranch_execnz .LBB84_26
.LBB84_27:
	s_or_b32 exec_lo, exec_lo, s1
	v_mov_b32_e32 v15, 0
	v_mov_b32_e32 v16, 0
	;; [unrolled: 1-line block ×6, first 2 shown]
	s_waitcnt lgkmcnt(0)
	s_barrier
	buffer_gl0_inv
	s_and_saveexec_b32 s2, s0
	s_cbranch_execz .LBB84_43
; %bb.28:
	v_lshlrev_b32_e32 v2, 4, v0
	s_ashr_i32 s15, s14, 31
	v_and_b32_e32 v1, 8, v30
	s_lshl_b64 s[0:1], s[14:15], 1
	v_lshlrev_b32_e32 v4, 4, v29
	v_and_b32_e32 v2, 0x1f0, v2
	s_add_u32 s0, s22, s0
	v_lshlrev_b32_e32 v3, 5, v28
	s_addc_u32 s1, s23, s1
	v_or3_b32 v20, v4, v1, 7
	v_add_co_u32 v18, s0, s0, v2
	v_and_b32_e32 v1, 0x7c, v31
	v_add_co_ci_u32_e64 v19, null, s1, 0, s0
	s_lshl_b64 s[0:1], s[20:21], 2
	s_add_i32 s3, s12, -1
	v_lshl_or_b32 v3, v29, 6, v3
	s_add_u32 s0, s18, s0
	s_addc_u32 s1, s19, s1
	v_add_co_u32 v5, s0, s0, v1
	v_mov_b32_e32 v17, 0
	v_add_nc_u32_e32 v21, 0xe0, v3
	v_add_co_ci_u32_e64 v6, null, s1, 0, s0
	v_mov_b32_e32 v11, 0
	v_mov_b32_e32 v12, 0
	;; [unrolled: 1-line block ×7, first 2 shown]
	s_mov_b32 s5, s13
	s_mov_b32 s4, 0
	s_branch .LBB84_30
.LBB84_29:                              ;   in Loop: Header=BB84_30 Depth=1
	s_or_b32 exec_lo, exec_lo, s1
	v_lshlrev_b32_e32 v23, 16, v47
	v_lshlrev_b32_e32 v8, 16, v8
	;; [unrolled: 1-line block ×3, first 2 shown]
	v_add_nc_u32_e32 v22, 4, v22
	v_add_f32_e32 v24, v45, v46
	v_and_or_b32 v1, 0xffff, v1, v23
	v_and_or_b32 v2, 0xffff, v2, v8
	;; [unrolled: 1-line block ×3, first 2 shown]
	;;#ASMSTART
	v_pk_mul_f16 v1, v34, v1;

	;;#ASMEND
	;;#ASMSTART
	v_pk_mul_f16 v2, v33, v2;

	;;#ASMEND
	;; [unrolled: 4-line block ×4, first 2 shown]
	;;#ASMSTART
	v_pk_add_f16 v1, v1, v2;

	;;#ASMEND
	;;#ASMSTART
	v_pk_add_f16 v1, v1, v3;

	;;#ASMEND
	;; [unrolled: 4-line block ×3, first 2 shown]
	v_and_b32_e32 v4, 0xffff, v1
	v_lshrrev_b32_e32 v7, 16, v1
	;;#ASMSTART
	v_cvt_f32_f16 v4, v4;
	;;#ASMEND
	v_add_f32_e32 v25, v43, v44
	v_add_f32_e32 v1, v41, v42
	;; [unrolled: 1-line block ×4, first 2 shown]
	;;#ASMSTART
	v_cvt_f32_f16 v7, v7;
	;;#ASMEND
	v_add_f32_e32 v4, v4, v7
	v_cmp_le_i32_e32 vcc_lo, s12, v22
	v_add_co_u32 v5, s0, v5, 16
	v_add_f32_e32 v12, v12, v24
	v_add_f32_e32 v13, v13, v25
	;; [unrolled: 1-line block ×6, first 2 shown]
	v_add_nc_u32_e32 v20, 64, v20
	v_add_nc_u32_e32 v21, 0x100, v21
	v_add_co_ci_u32_e64 v6, null, 0, v6, s0
	s_or_b32 s4, vcc_lo, s4
	s_andn2_b32 exec_lo, exec_lo, s4
	s_cbranch_execz .LBB84_42
.LBB84_30:                              ; =>This Inner Loop Header: Depth=1
	global_load_dword v7, v[5:6], off
	ds_read2_b64 v[1:4], v21 offset1:1
	ds_read2_b64 v[23:26], v21 offset0:2 offset1:3
	v_add_nc_u32_e32 v30, -7, v20
	v_cmp_eq_u32_e64 s0, s3, v22
	v_add_nc_u32_e32 v32, -6, v20
	v_add_nc_u32_e32 v31, -1, v20
	s_waitcnt lgkmcnt(1)
	;;#ASMSTART
	v_cvt_f16_f32 v34, v1;

	;;#ASMEND
	;;#ASMSTART
	v_cvt_f16_f32 v33, v2;

	;;#ASMEND
	;; [unrolled: 4-line block ×4, first 2 shown]
	s_waitcnt lgkmcnt(0)
	;;#ASMSTART
	v_cvt_f16_f32 v40, v23;

	;;#ASMEND
	;;#ASMSTART
	v_cvt_f16_f32 v35, v24;

	;;#ASMEND
	;; [unrolled: 4-line block ×4, first 2 shown]
	v_add_nc_u32_e32 v26, -5, v20
	v_add_nc_u32_e32 v25, -4, v20
	;; [unrolled: 1-line block ×4, first 2 shown]
	s_waitcnt vmcnt(0)
	v_mad_i64_i32 v[7:8], null, v7, s5, 0
	v_lshlrev_b64 v[7:8], 1, v[7:8]
	v_add_co_u32 v7, vcc_lo, v18, v7
	v_add_co_ci_u32_e64 v8, null, v19, v8, vcc_lo
	global_load_dwordx4 v[1:4], v[7:8], off
	s_waitcnt vmcnt(0)
	v_lshrrev_b32_e32 v43, 16, v1
	v_lshrrev_b32_e32 v42, 16, v2
	;; [unrolled: 1-line block ×3, first 2 shown]
	s_and_saveexec_b32 s13, s0
	s_cbranch_execz .LBB84_32
; %bb.31:                               ;   in Loop: Header=BB84_30 Depth=1
	v_cmp_gt_i32_e32 vcc_lo, s11, v30
	v_and_b32_e32 v44, 0xffff0000, v4
	v_cmp_gt_i32_e64 s1, s11, v26
	v_cndmask_b32_e32 v1, 0, v1, vcc_lo
	v_cmp_gt_i32_e32 vcc_lo, s11, v32
	v_cndmask_b32_e64 v2, 0, v2, s1
	v_cmp_gt_i32_e64 s1, s11, v25
	v_cndmask_b32_e32 v43, 0, v43, vcc_lo
	v_cmp_gt_i32_e32 vcc_lo, s11, v31
	v_cndmask_b32_e64 v42, 0, v42, s1
	v_cndmask_b32_sdwa v4, v17, v4, vcc_lo dst_sel:DWORD dst_unused:UNUSED_PAD src0_sel:DWORD src1_sel:WORD_0
	v_cmp_gt_i32_e32 vcc_lo, s11, v20
	v_cndmask_b32_e32 v44, 0, v44, vcc_lo
	v_cmp_gt_i32_e32 vcc_lo, s11, v24
	v_or_b32_e32 v4, v4, v44
	v_cndmask_b32_e32 v3, 0, v3, vcc_lo
	v_cmp_gt_i32_e32 vcc_lo, s11, v23
	v_cndmask_b32_e32 v41, 0, v41, vcc_lo
.LBB84_32:                              ;   in Loop: Header=BB84_30 Depth=1
	s_or_b32 exec_lo, exec_lo, s13
	v_and_b32_e32 v34, 0xffff, v34
	v_and_b32_e32 v39, 0xffff, v39
	v_lshlrev_b32_e32 v43, 16, v43
	v_and_b32_e32 v40, 0xffff, v40
	v_and_b32_e32 v38, 0xffff, v38
	v_lshl_or_b32 v34, v33, 16, v34
	v_lshl_or_b32 v33, v37, 16, v39
	v_lshlrev_b32_e32 v37, 16, v42
	v_lshlrev_b32_e32 v39, 16, v41
	v_and_or_b32 v1, 0xffff, v1, v43
	;;#ASMSTART
	v_pk_mul_f16 v1, v34, v1;

	;;#ASMEND
	v_lshl_or_b32 v35, v35, 16, v40
	v_and_or_b32 v2, 0xffff, v2, v37
	v_and_or_b32 v3, 0xffff, v3, v39
	v_lshl_or_b32 v36, v36, 16, v38
	;;#ASMSTART
	v_pk_mul_f16 v2, v33, v2;

	;;#ASMEND
	;;#ASMSTART
	v_pk_mul_f16 v3, v35, v3;

	;;#ASMEND
	;; [unrolled: 4-line block ×3, first 2 shown]
	;;#ASMSTART
	v_pk_add_f16 v1, v1, v2;

	;;#ASMEND
	;;#ASMSTART
	v_pk_add_f16 v1, v1, v3;

	;;#ASMEND
	;; [unrolled: 4-line block ×3, first 2 shown]
	v_and_b32_e32 v2, 0xffff, v1
	v_lshrrev_b32_e32 v1, 16, v1
	;;#ASMSTART
	v_cvt_f32_f16 v37, v2;
	;;#ASMEND
	;;#ASMSTART
	v_cvt_f32_f16 v38, v1;
	;;#ASMEND
	global_load_dwordx4 v[1:4], v[7:8], off offset:512
	s_waitcnt vmcnt(0)
	v_lshrrev_b32_e32 v41, 16, v1
	v_lshrrev_b32_e32 v40, 16, v2
	;; [unrolled: 1-line block ×3, first 2 shown]
	s_and_saveexec_b32 s13, s0
	s_cbranch_execz .LBB84_34
; %bb.33:                               ;   in Loop: Header=BB84_30 Depth=1
	v_cmp_gt_i32_e32 vcc_lo, s11, v30
	v_and_b32_e32 v42, 0xffff0000, v4
	v_cmp_gt_i32_e64 s1, s11, v26
	v_cndmask_b32_e32 v1, 0, v1, vcc_lo
	v_cmp_gt_i32_e32 vcc_lo, s11, v32
	v_cndmask_b32_e64 v2, 0, v2, s1
	v_cmp_gt_i32_e64 s1, s11, v25
	v_cndmask_b32_e32 v41, 0, v41, vcc_lo
	v_cmp_gt_i32_e32 vcc_lo, s11, v31
	v_cndmask_b32_e64 v40, 0, v40, s1
	v_cndmask_b32_sdwa v4, v17, v4, vcc_lo dst_sel:DWORD dst_unused:UNUSED_PAD src0_sel:DWORD src1_sel:WORD_0
	v_cmp_gt_i32_e32 vcc_lo, s11, v20
	v_cndmask_b32_e32 v42, 0, v42, vcc_lo
	v_cmp_gt_i32_e32 vcc_lo, s11, v24
	v_or_b32_e32 v4, v4, v42
	v_cndmask_b32_e32 v3, 0, v3, vcc_lo
	v_cmp_gt_i32_e32 vcc_lo, s11, v23
	v_cndmask_b32_e32 v39, 0, v39, vcc_lo
.LBB84_34:                              ;   in Loop: Header=BB84_30 Depth=1
	s_or_b32 exec_lo, exec_lo, s13
	v_lshlrev_b32_e32 v41, 16, v41
	v_lshlrev_b32_e32 v40, 16, v40
	;; [unrolled: 1-line block ×3, first 2 shown]
	v_and_or_b32 v1, 0xffff, v1, v41
	v_and_or_b32 v2, 0xffff, v2, v40
	;; [unrolled: 1-line block ×3, first 2 shown]
	;;#ASMSTART
	v_pk_mul_f16 v1, v34, v1;

	;;#ASMEND
	;;#ASMSTART
	v_pk_mul_f16 v2, v33, v2;

	;;#ASMEND
	;; [unrolled: 4-line block ×4, first 2 shown]
	;;#ASMSTART
	v_pk_add_f16 v1, v1, v2;

	;;#ASMEND
	;;#ASMSTART
	v_pk_add_f16 v1, v1, v3;

	;;#ASMEND
	;; [unrolled: 4-line block ×3, first 2 shown]
	v_and_b32_e32 v2, 0xffff, v1
	v_lshrrev_b32_e32 v1, 16, v1
	;;#ASMSTART
	v_cvt_f32_f16 v39, v2;
	;;#ASMEND
	;;#ASMSTART
	v_cvt_f32_f16 v40, v1;
	;;#ASMEND
	global_load_dwordx4 v[1:4], v[7:8], off offset:1024
	s_waitcnt vmcnt(0)
	v_lshrrev_b32_e32 v43, 16, v1
	v_lshrrev_b32_e32 v42, 16, v2
	;; [unrolled: 1-line block ×3, first 2 shown]
	s_and_saveexec_b32 s13, s0
	s_cbranch_execz .LBB84_36
; %bb.35:                               ;   in Loop: Header=BB84_30 Depth=1
	v_cmp_gt_i32_e32 vcc_lo, s11, v30
	v_and_b32_e32 v44, 0xffff0000, v4
	v_cmp_gt_i32_e64 s1, s11, v26
	v_cndmask_b32_e32 v1, 0, v1, vcc_lo
	v_cmp_gt_i32_e32 vcc_lo, s11, v32
	v_cndmask_b32_e64 v2, 0, v2, s1
	v_cmp_gt_i32_e64 s1, s11, v25
	v_cndmask_b32_e32 v43, 0, v43, vcc_lo
	v_cmp_gt_i32_e32 vcc_lo, s11, v31
	v_cndmask_b32_e64 v42, 0, v42, s1
	v_cndmask_b32_sdwa v4, v17, v4, vcc_lo dst_sel:DWORD dst_unused:UNUSED_PAD src0_sel:DWORD src1_sel:WORD_0
	v_cmp_gt_i32_e32 vcc_lo, s11, v20
	v_cndmask_b32_e32 v44, 0, v44, vcc_lo
	v_cmp_gt_i32_e32 vcc_lo, s11, v24
	v_or_b32_e32 v4, v4, v44
	v_cndmask_b32_e32 v3, 0, v3, vcc_lo
	v_cmp_gt_i32_e32 vcc_lo, s11, v23
	v_cndmask_b32_e32 v41, 0, v41, vcc_lo
.LBB84_36:                              ;   in Loop: Header=BB84_30 Depth=1
	s_or_b32 exec_lo, exec_lo, s13
	v_lshlrev_b32_e32 v43, 16, v43
	v_lshlrev_b32_e32 v42, 16, v42
	;; [unrolled: 1-line block ×3, first 2 shown]
	v_and_or_b32 v1, 0xffff, v1, v43
	v_and_or_b32 v2, 0xffff, v2, v42
	;; [unrolled: 1-line block ×3, first 2 shown]
	;;#ASMSTART
	v_pk_mul_f16 v1, v34, v1;

	;;#ASMEND
	;;#ASMSTART
	v_pk_mul_f16 v2, v33, v2;

	;;#ASMEND
	;; [unrolled: 4-line block ×4, first 2 shown]
	;;#ASMSTART
	v_pk_add_f16 v1, v1, v2;

	;;#ASMEND
	;;#ASMSTART
	v_pk_add_f16 v1, v1, v3;

	;;#ASMEND
	;; [unrolled: 4-line block ×3, first 2 shown]
	v_and_b32_e32 v2, 0xffff, v1
	v_lshrrev_b32_e32 v1, 16, v1
	;;#ASMSTART
	v_cvt_f32_f16 v41, v2;
	;;#ASMEND
	;;#ASMSTART
	v_cvt_f32_f16 v42, v1;
	;;#ASMEND
	global_load_dwordx4 v[1:4], v[7:8], off offset:1536
	s_waitcnt vmcnt(0)
	v_lshrrev_b32_e32 v45, 16, v1
	v_lshrrev_b32_e32 v44, 16, v2
	;; [unrolled: 1-line block ×3, first 2 shown]
	s_and_saveexec_b32 s13, s0
	s_cbranch_execz .LBB84_38
; %bb.37:                               ;   in Loop: Header=BB84_30 Depth=1
	v_cmp_gt_i32_e32 vcc_lo, s11, v30
	v_and_b32_e32 v46, 0xffff0000, v4
	v_cmp_gt_i32_e64 s1, s11, v26
	v_cndmask_b32_e32 v1, 0, v1, vcc_lo
	v_cmp_gt_i32_e32 vcc_lo, s11, v32
	v_cndmask_b32_e64 v2, 0, v2, s1
	v_cmp_gt_i32_e64 s1, s11, v25
	v_cndmask_b32_e32 v45, 0, v45, vcc_lo
	v_cmp_gt_i32_e32 vcc_lo, s11, v31
	v_cndmask_b32_e64 v44, 0, v44, s1
	v_cndmask_b32_sdwa v4, v17, v4, vcc_lo dst_sel:DWORD dst_unused:UNUSED_PAD src0_sel:DWORD src1_sel:WORD_0
	v_cmp_gt_i32_e32 vcc_lo, s11, v20
	v_cndmask_b32_e32 v46, 0, v46, vcc_lo
	v_cmp_gt_i32_e32 vcc_lo, s11, v24
	v_or_b32_e32 v4, v4, v46
	v_cndmask_b32_e32 v3, 0, v3, vcc_lo
	v_cmp_gt_i32_e32 vcc_lo, s11, v23
	v_cndmask_b32_e32 v43, 0, v43, vcc_lo
.LBB84_38:                              ;   in Loop: Header=BB84_30 Depth=1
	s_or_b32 exec_lo, exec_lo, s13
	v_lshlrev_b32_e32 v45, 16, v45
	v_lshlrev_b32_e32 v44, 16, v44
	;; [unrolled: 1-line block ×3, first 2 shown]
	v_add_co_u32 v7, vcc_lo, 0x800, v7
	v_and_or_b32 v1, 0xffff, v1, v45
	v_and_or_b32 v2, 0xffff, v2, v44
	;; [unrolled: 1-line block ×3, first 2 shown]
	;;#ASMSTART
	v_pk_mul_f16 v1, v34, v1;

	;;#ASMEND
	v_add_co_ci_u32_e64 v8, null, 0, v8, vcc_lo
	;;#ASMSTART
	v_pk_mul_f16 v2, v33, v2;

	;;#ASMEND
	;;#ASMSTART
	v_pk_mul_f16 v3, v35, v3;

	;;#ASMEND
	;; [unrolled: 4-line block ×3, first 2 shown]
	;;#ASMSTART
	v_pk_add_f16 v1, v1, v2;

	;;#ASMEND
	;;#ASMSTART
	v_pk_add_f16 v1, v1, v3;

	;;#ASMEND
	;;#ASMSTART
	v_pk_add_f16 v1, v1, v4;

	;;#ASMEND
	v_lshrrev_b32_e32 v2, 16, v1
	v_and_b32_e32 v1, 0xffff, v1
	;;#ASMSTART
	v_cvt_f32_f16 v43, v1;
	;;#ASMEND
	;;#ASMSTART
	v_cvt_f32_f16 v44, v2;
	;;#ASMEND
	global_load_dwordx4 v[1:4], v[7:8], off
	s_waitcnt vmcnt(0)
	v_lshrrev_b32_e32 v47, 16, v1
	v_lshrrev_b32_e32 v46, 16, v2
	;; [unrolled: 1-line block ×3, first 2 shown]
	s_and_saveexec_b32 s13, s0
	s_cbranch_execz .LBB84_40
; %bb.39:                               ;   in Loop: Header=BB84_30 Depth=1
	v_cmp_gt_i32_e32 vcc_lo, s11, v30
	v_and_b32_e32 v48, 0xffff0000, v4
	v_cmp_gt_i32_e64 s1, s11, v26
	v_cndmask_b32_e32 v1, 0, v1, vcc_lo
	v_cmp_gt_i32_e32 vcc_lo, s11, v32
	v_cndmask_b32_e64 v2, 0, v2, s1
	v_cmp_gt_i32_e64 s1, s11, v25
	v_cndmask_b32_e32 v47, 0, v47, vcc_lo
	v_cmp_gt_i32_e32 vcc_lo, s11, v31
	v_cndmask_b32_e64 v46, 0, v46, s1
	v_cndmask_b32_sdwa v4, v17, v4, vcc_lo dst_sel:DWORD dst_unused:UNUSED_PAD src0_sel:DWORD src1_sel:WORD_0
	v_cmp_gt_i32_e32 vcc_lo, s11, v20
	v_cndmask_b32_e32 v48, 0, v48, vcc_lo
	v_cmp_gt_i32_e32 vcc_lo, s11, v24
	v_or_b32_e32 v4, v4, v48
	v_cndmask_b32_e32 v3, 0, v3, vcc_lo
	v_cmp_gt_i32_e32 vcc_lo, s11, v23
	v_cndmask_b32_e32 v45, 0, v45, vcc_lo
.LBB84_40:                              ;   in Loop: Header=BB84_30 Depth=1
	s_or_b32 exec_lo, exec_lo, s13
	v_lshlrev_b32_e32 v47, 16, v47
	v_lshlrev_b32_e32 v46, 16, v46
	;; [unrolled: 1-line block ×3, first 2 shown]
	v_and_or_b32 v1, 0xffff, v1, v47
	v_and_or_b32 v2, 0xffff, v2, v46
	;; [unrolled: 1-line block ×3, first 2 shown]
	;;#ASMSTART
	v_pk_mul_f16 v1, v34, v1;

	;;#ASMEND
	;;#ASMSTART
	v_pk_mul_f16 v2, v33, v2;

	;;#ASMEND
	;; [unrolled: 4-line block ×4, first 2 shown]
	;;#ASMSTART
	v_pk_add_f16 v1, v1, v2;

	;;#ASMEND
	;;#ASMSTART
	v_pk_add_f16 v1, v1, v3;

	;;#ASMEND
	;; [unrolled: 4-line block ×3, first 2 shown]
	v_and_b32_e32 v2, 0xffff, v1
	v_lshrrev_b32_e32 v1, 16, v1
	;;#ASMSTART
	v_cvt_f32_f16 v45, v2;
	;;#ASMEND
	;;#ASMSTART
	v_cvt_f32_f16 v46, v1;
	;;#ASMEND
	global_load_dwordx4 v[1:4], v[7:8], off offset:512
	s_waitcnt vmcnt(0)
	v_lshrrev_b32_e32 v47, 16, v1
	v_lshrrev_b32_e32 v8, 16, v2
	v_lshrrev_b32_e32 v7, 16, v3
	s_and_saveexec_b32 s1, s0
	s_cbranch_execz .LBB84_29
; %bb.41:                               ;   in Loop: Header=BB84_30 Depth=1
	v_cmp_gt_i32_e32 vcc_lo, s11, v30
	v_cmp_gt_i32_e64 s0, s11, v26
	v_cndmask_b32_e32 v1, 0, v1, vcc_lo
	v_cmp_gt_i32_e32 vcc_lo, s11, v32
	v_cndmask_b32_e64 v2, 0, v2, s0
	v_cmp_gt_i32_e64 s0, s11, v25
	v_and_b32_e32 v25, 0xffff0000, v4
	v_cndmask_b32_e32 v47, 0, v47, vcc_lo
	v_cmp_gt_i32_e32 vcc_lo, s11, v31
	v_cndmask_b32_e64 v8, 0, v8, s0
	v_cndmask_b32_sdwa v4, v17, v4, vcc_lo dst_sel:DWORD dst_unused:UNUSED_PAD src0_sel:DWORD src1_sel:WORD_0
	v_cmp_gt_i32_e32 vcc_lo, s11, v20
	v_cndmask_b32_e32 v25, 0, v25, vcc_lo
	v_cmp_gt_i32_e32 vcc_lo, s11, v24
	v_or_b32_e32 v4, v4, v25
	v_cndmask_b32_e32 v3, 0, v3, vcc_lo
	v_cmp_gt_i32_e32 vcc_lo, s11, v23
	v_cndmask_b32_e32 v7, 0, v7, vcc_lo
	s_branch .LBB84_29
.LBB84_42:
	s_or_b32 exec_lo, exec_lo, s4
.LBB84_43:
	s_or_b32 exec_lo, exec_lo, s2
	ds_bpermute_b32 v1, v10, v15
	ds_bpermute_b32 v2, v10, v16
	;; [unrolled: 1-line block ×6, first 2 shown]
	v_lshrrev_b32_e32 v7, 1, v9
	v_mul_u32_u24_e32 v9, 0x180, v29
	v_and_b32_e32 v19, 0x3c1, v0
	s_mov_b32 s0, exec_lo
	s_waitcnt lgkmcnt(0)
	v_lshl_add_u32 v8, v7, 2, 0xe0
	s_barrier
	buffer_gl0_inv
	v_add_f32_e32 v6, v15, v1
	v_add_f32_e32 v5, v16, v2
	;; [unrolled: 1-line block ×6, first 2 shown]
	v_cmpx_eq_u32_e32 64, v19
	s_cbranch_execz .LBB84_45
; %bb.44:
	v_add_nc_u32_e32 v10, v8, v9
	v_add_nc_u32_e32 v11, 0xfffffd00, v10
	;; [unrolled: 1-line block ×7, first 2 shown]
	ds_write_b32 v11, v6
	ds_write_b32 v12, v5
	;; [unrolled: 1-line block ×6, first 2 shown]
.LBB84_45:
	s_or_b32 exec_lo, exec_lo, s0
	v_lshlrev_b32_e32 v7, 2, v7
	s_mov_b32 s1, exec_lo
	v_cmp_eq_u32_e32 vcc_lo, 0, v28
	s_waitcnt lgkmcnt(0)
	s_barrier
	v_add3_u32 v7, 0xe0, v9, v7
	buffer_gl0_inv
	v_cmpx_gt_u32_e32 64, v0
	s_cbranch_execz .LBB84_54
; %bb.46:
	s_and_saveexec_b32 s0, vcc_lo
	s_cbranch_execnz .LBB84_68
; %bb.47:
	s_or_b32 exec_lo, exec_lo, s0
	s_and_saveexec_b32 s0, vcc_lo
	s_cbranch_execnz .LBB84_69
.LBB84_48:
	s_or_b32 exec_lo, exec_lo, s0
	s_and_saveexec_b32 s0, vcc_lo
	s_cbranch_execnz .LBB84_70
.LBB84_49:
	s_or_b32 exec_lo, exec_lo, s0
	s_and_saveexec_b32 s0, vcc_lo
	s_cbranch_execnz .LBB84_71
.LBB84_50:
	s_or_b32 exec_lo, exec_lo, s0
	s_and_saveexec_b32 s0, vcc_lo
	s_cbranch_execnz .LBB84_72
.LBB84_51:
	s_or_b32 exec_lo, exec_lo, s0
	s_and_saveexec_b32 s0, vcc_lo
	s_cbranch_execz .LBB84_53
.LBB84_52:
	ds_read_b32 v9, v7 offset:320
	s_waitcnt lgkmcnt(0)
	v_add_f32_e32 v1, v1, v9
.LBB84_53:
	s_or_b32 exec_lo, exec_lo, s0
.LBB84_54:
	s_or_b32 exec_lo, exec_lo, s1
	v_and_b32_e32 v9, 0x3e1, v0
	s_mov_b32 s1, exec_lo
	s_barrier
	buffer_gl0_inv
	v_cmpx_eq_u32_e32 32, v9
	s_cbranch_execz .LBB84_56
; %bb.55:
	ds_write2_b32 v8, v6, v5 offset1:16
	ds_write2_b32 v8, v4, v3 offset0:32 offset1:48
	ds_write2_b32 v8, v2, v1 offset0:64 offset1:80
.LBB84_56:
	s_or_b32 exec_lo, exec_lo, s1
	s_mov_b32 s1, exec_lo
	s_waitcnt lgkmcnt(0)
	s_barrier
	buffer_gl0_inv
	v_cmpx_gt_u32_e32 32, v0
	s_cbranch_execz .LBB84_65
; %bb.57:
	s_and_saveexec_b32 s0, vcc_lo
	s_cbranch_execnz .LBB84_73
; %bb.58:
	s_or_b32 exec_lo, exec_lo, s0
	s_and_saveexec_b32 s0, vcc_lo
	s_cbranch_execnz .LBB84_74
.LBB84_59:
	s_or_b32 exec_lo, exec_lo, s0
	s_and_saveexec_b32 s0, vcc_lo
	s_cbranch_execnz .LBB84_75
.LBB84_60:
	s_or_b32 exec_lo, exec_lo, s0
	s_and_saveexec_b32 s0, vcc_lo
	s_cbranch_execnz .LBB84_76
.LBB84_61:
	s_or_b32 exec_lo, exec_lo, s0
	s_and_saveexec_b32 s0, vcc_lo
	s_cbranch_execnz .LBB84_77
.LBB84_62:
	s_or_b32 exec_lo, exec_lo, s0
	s_and_saveexec_b32 s0, vcc_lo
	s_cbranch_execz .LBB84_64
.LBB84_63:
	ds_read_b32 v0, v7 offset:320
	s_waitcnt lgkmcnt(0)
	v_add_f32_e32 v1, v1, v0
.LBB84_64:
	s_or_b32 exec_lo, exec_lo, s0
.LBB84_65:
	s_or_b32 exec_lo, exec_lo, s1
	s_barrier
	buffer_gl0_inv
	s_mov_b32 s0, exec_lo
	v_cmpx_eq_u32_e32 0, v9
	s_cbranch_execz .LBB84_67
; %bb.66:
	s_mul_i32 s0, s10, s7
	s_mul_i32 s2, s7, s6
	;; [unrolled: 1-line block ×3, first 2 shown]
	v_lshlrev_b32_e32 v0, 1, v27
	s_mulk_i32 s0, 0x60
	;;#ASMSTART
	v_cvt_f16_f32 v6, v6;

	;;#ASMEND
	s_ashr_i32 s1, s0, 31
	s_lshl_b64 s[0:1], s[0:1], 1
	s_add_u32 s4, s16, s0
	s_addc_u32 s5, s17, s1
	s_ashr_i32 s3, s2, 31
	s_lshl_b64 s[0:1], s[2:3], 1
	s_mul_i32 s2, s8, 0x60
	s_add_u32 s4, s4, s0
	s_addc_u32 s5, s5, s1
	s_ashr_i32 s3, s2, 31
	s_lshl_b64 s[0:1], s[2:3], 1
	s_add_u32 s0, s4, s0
	s_addc_u32 s1, s5, s1
	global_store_short v0, v6, s[0:1]
	;;#ASMSTART
	v_cvt_f16_f32 v5, v5;

	;;#ASMEND
	global_store_short v0, v5, s[0:1] offset:32
	;;#ASMSTART
	v_cvt_f16_f32 v4, v4;

	;;#ASMEND
	global_store_short v0, v4, s[0:1] offset:64
	;; [unrolled: 5-line block ×5, first 2 shown]
.LBB84_67:
	s_endpgm
.LBB84_68:
	ds_read_b32 v9, v7
	s_waitcnt lgkmcnt(0)
	v_add_f32_e32 v6, v6, v9
	s_or_b32 exec_lo, exec_lo, s0
	s_and_saveexec_b32 s0, vcc_lo
	s_cbranch_execz .LBB84_48
.LBB84_69:
	ds_read_b32 v9, v7 offset:64
	s_waitcnt lgkmcnt(0)
	v_add_f32_e32 v5, v5, v9
	s_or_b32 exec_lo, exec_lo, s0
	s_and_saveexec_b32 s0, vcc_lo
	s_cbranch_execz .LBB84_49
.LBB84_70:
	ds_read_b32 v9, v7 offset:128
	s_waitcnt lgkmcnt(0)
	v_add_f32_e32 v4, v4, v9
	s_or_b32 exec_lo, exec_lo, s0
	s_and_saveexec_b32 s0, vcc_lo
	s_cbranch_execz .LBB84_50
.LBB84_71:
	ds_read_b32 v9, v7 offset:192
	s_waitcnt lgkmcnt(0)
	v_add_f32_e32 v3, v3, v9
	s_or_b32 exec_lo, exec_lo, s0
	s_and_saveexec_b32 s0, vcc_lo
	s_cbranch_execz .LBB84_51
.LBB84_72:
	ds_read_b32 v9, v7 offset:256
	s_waitcnt lgkmcnt(0)
	v_add_f32_e32 v2, v2, v9
	s_or_b32 exec_lo, exec_lo, s0
	s_and_saveexec_b32 s0, vcc_lo
	s_cbranch_execnz .LBB84_52
	s_branch .LBB84_53
.LBB84_73:
	ds_read_b32 v0, v7
	s_waitcnt lgkmcnt(0)
	v_add_f32_e32 v6, v6, v0
	s_or_b32 exec_lo, exec_lo, s0
	s_and_saveexec_b32 s0, vcc_lo
	s_cbranch_execz .LBB84_59
.LBB84_74:
	ds_read_b32 v0, v7 offset:64
	s_waitcnt lgkmcnt(0)
	v_add_f32_e32 v5, v5, v0
	s_or_b32 exec_lo, exec_lo, s0
	s_and_saveexec_b32 s0, vcc_lo
	s_cbranch_execz .LBB84_60
.LBB84_75:
	ds_read_b32 v0, v7 offset:128
	s_waitcnt lgkmcnt(0)
	v_add_f32_e32 v4, v4, v0
	s_or_b32 exec_lo, exec_lo, s0
	s_and_saveexec_b32 s0, vcc_lo
	s_cbranch_execz .LBB84_61
.LBB84_76:
	ds_read_b32 v0, v7 offset:192
	s_waitcnt lgkmcnt(0)
	v_add_f32_e32 v3, v3, v0
	s_or_b32 exec_lo, exec_lo, s0
	s_and_saveexec_b32 s0, vcc_lo
	s_cbranch_execz .LBB84_62
.LBB84_77:
	ds_read_b32 v0, v7 offset:256
	s_waitcnt lgkmcnt(0)
	v_add_f32_e32 v2, v2, v0
	s_or_b32 exec_lo, exec_lo, s0
	s_and_saveexec_b32 s0, vcc_lo
	s_cbranch_execnz .LBB84_63
	s_branch .LBB84_64
	.section	.rodata,"a",@progbits
	.p2align	6, 0x0
	.amdhsa_kernel _ZN4vllm25paged_attention_v1_kernelIttLi96ELi16ELi128ELNS_18Fp8KVCacheDataTypeE0ELb0EEEvPT_PKS2_PKT0_S8_ifPKiSA_iPKfiiiSC_SC_iiiii
		.amdhsa_group_segment_fixed_size 224
		.amdhsa_private_segment_fixed_size 0
		.amdhsa_kernarg_size 384
		.amdhsa_user_sgpr_count 6
		.amdhsa_user_sgpr_private_segment_buffer 1
		.amdhsa_user_sgpr_dispatch_ptr 0
		.amdhsa_user_sgpr_queue_ptr 0
		.amdhsa_user_sgpr_kernarg_segment_ptr 1
		.amdhsa_user_sgpr_dispatch_id 0
		.amdhsa_user_sgpr_flat_scratch_init 0
		.amdhsa_user_sgpr_private_segment_size 0
		.amdhsa_wavefront_size32 1
		.amdhsa_uses_dynamic_stack 0
		.amdhsa_system_sgpr_private_segment_wavefront_offset 0
		.amdhsa_system_sgpr_workgroup_id_x 1
		.amdhsa_system_sgpr_workgroup_id_y 1
		.amdhsa_system_sgpr_workgroup_id_z 1
		.amdhsa_system_sgpr_workgroup_info 0
		.amdhsa_system_vgpr_workitem_id 0
		.amdhsa_next_free_vgpr 90
		.amdhsa_next_free_sgpr 27
		.amdhsa_reserve_vcc 1
		.amdhsa_reserve_flat_scratch 0
		.amdhsa_float_round_mode_32 0
		.amdhsa_float_round_mode_16_64 0
		.amdhsa_float_denorm_mode_32 3
		.amdhsa_float_denorm_mode_16_64 3
		.amdhsa_dx10_clamp 1
		.amdhsa_ieee_mode 1
		.amdhsa_fp16_overflow 0
		.amdhsa_workgroup_processor_mode 1
		.amdhsa_memory_ordered 1
		.amdhsa_forward_progress 1
		.amdhsa_shared_vgpr_count 0
		.amdhsa_exception_fp_ieee_invalid_op 0
		.amdhsa_exception_fp_denorm_src 0
		.amdhsa_exception_fp_ieee_div_zero 0
		.amdhsa_exception_fp_ieee_overflow 0
		.amdhsa_exception_fp_ieee_underflow 0
		.amdhsa_exception_fp_ieee_inexact 0
		.amdhsa_exception_int_div_zero 0
	.end_amdhsa_kernel
	.section	.text._ZN4vllm25paged_attention_v1_kernelIttLi96ELi16ELi128ELNS_18Fp8KVCacheDataTypeE0ELb0EEEvPT_PKS2_PKT0_S8_ifPKiSA_iPKfiiiSC_SC_iiiii,"axG",@progbits,_ZN4vllm25paged_attention_v1_kernelIttLi96ELi16ELi128ELNS_18Fp8KVCacheDataTypeE0ELb0EEEvPT_PKS2_PKT0_S8_ifPKiSA_iPKfiiiSC_SC_iiiii,comdat
.Lfunc_end84:
	.size	_ZN4vllm25paged_attention_v1_kernelIttLi96ELi16ELi128ELNS_18Fp8KVCacheDataTypeE0ELb0EEEvPT_PKS2_PKT0_S8_ifPKiSA_iPKfiiiSC_SC_iiiii, .Lfunc_end84-_ZN4vllm25paged_attention_v1_kernelIttLi96ELi16ELi128ELNS_18Fp8KVCacheDataTypeE0ELb0EEEvPT_PKS2_PKT0_S8_ifPKiSA_iPKfiiiSC_SC_iiiii
                                        ; -- End function
	.set _ZN4vllm25paged_attention_v1_kernelIttLi96ELi16ELi128ELNS_18Fp8KVCacheDataTypeE0ELb0EEEvPT_PKS2_PKT0_S8_ifPKiSA_iPKfiiiSC_SC_iiiii.num_vgpr, 90
	.set _ZN4vllm25paged_attention_v1_kernelIttLi96ELi16ELi128ELNS_18Fp8KVCacheDataTypeE0ELb0EEEvPT_PKS2_PKT0_S8_ifPKiSA_iPKfiiiSC_SC_iiiii.num_agpr, 0
	.set _ZN4vllm25paged_attention_v1_kernelIttLi96ELi16ELi128ELNS_18Fp8KVCacheDataTypeE0ELb0EEEvPT_PKS2_PKT0_S8_ifPKiSA_iPKfiiiSC_SC_iiiii.numbered_sgpr, 27
	.set _ZN4vllm25paged_attention_v1_kernelIttLi96ELi16ELi128ELNS_18Fp8KVCacheDataTypeE0ELb0EEEvPT_PKS2_PKT0_S8_ifPKiSA_iPKfiiiSC_SC_iiiii.num_named_barrier, 0
	.set _ZN4vllm25paged_attention_v1_kernelIttLi96ELi16ELi128ELNS_18Fp8KVCacheDataTypeE0ELb0EEEvPT_PKS2_PKT0_S8_ifPKiSA_iPKfiiiSC_SC_iiiii.private_seg_size, 0
	.set _ZN4vllm25paged_attention_v1_kernelIttLi96ELi16ELi128ELNS_18Fp8KVCacheDataTypeE0ELb0EEEvPT_PKS2_PKT0_S8_ifPKiSA_iPKfiiiSC_SC_iiiii.uses_vcc, 1
	.set _ZN4vllm25paged_attention_v1_kernelIttLi96ELi16ELi128ELNS_18Fp8KVCacheDataTypeE0ELb0EEEvPT_PKS2_PKT0_S8_ifPKiSA_iPKfiiiSC_SC_iiiii.uses_flat_scratch, 0
	.set _ZN4vllm25paged_attention_v1_kernelIttLi96ELi16ELi128ELNS_18Fp8KVCacheDataTypeE0ELb0EEEvPT_PKS2_PKT0_S8_ifPKiSA_iPKfiiiSC_SC_iiiii.has_dyn_sized_stack, 0
	.set _ZN4vllm25paged_attention_v1_kernelIttLi96ELi16ELi128ELNS_18Fp8KVCacheDataTypeE0ELb0EEEvPT_PKS2_PKT0_S8_ifPKiSA_iPKfiiiSC_SC_iiiii.has_recursion, 0
	.set _ZN4vllm25paged_attention_v1_kernelIttLi96ELi16ELi128ELNS_18Fp8KVCacheDataTypeE0ELb0EEEvPT_PKS2_PKT0_S8_ifPKiSA_iPKfiiiSC_SC_iiiii.has_indirect_call, 0
	.section	.AMDGPU.csdata,"",@progbits
; Kernel info:
; codeLenInByte = 8924
; TotalNumSgprs: 29
; NumVgprs: 90
; ScratchSize: 0
; MemoryBound: 0
; FloatMode: 240
; IeeeMode: 1
; LDSByteSize: 224 bytes/workgroup (compile time only)
; SGPRBlocks: 0
; VGPRBlocks: 11
; NumSGPRsForWavesPerEU: 29
; NumVGPRsForWavesPerEU: 90
; Occupancy: 10
; WaveLimiterHint : 1
; COMPUTE_PGM_RSRC2:SCRATCH_EN: 0
; COMPUTE_PGM_RSRC2:USER_SGPR: 6
; COMPUTE_PGM_RSRC2:TRAP_HANDLER: 0
; COMPUTE_PGM_RSRC2:TGID_X_EN: 1
; COMPUTE_PGM_RSRC2:TGID_Y_EN: 1
; COMPUTE_PGM_RSRC2:TGID_Z_EN: 1
; COMPUTE_PGM_RSRC2:TIDIG_COMP_CNT: 0
	.section	.text._ZN4vllm25paged_attention_v1_kernelIttLi112ELi16ELi128ELNS_18Fp8KVCacheDataTypeE0ELb0EEEvPT_PKS2_PKT0_S8_ifPKiSA_iPKfiiiSC_SC_iiiii,"axG",@progbits,_ZN4vllm25paged_attention_v1_kernelIttLi112ELi16ELi128ELNS_18Fp8KVCacheDataTypeE0ELb0EEEvPT_PKS2_PKT0_S8_ifPKiSA_iPKfiiiSC_SC_iiiii,comdat
	.protected	_ZN4vllm25paged_attention_v1_kernelIttLi112ELi16ELi128ELNS_18Fp8KVCacheDataTypeE0ELb0EEEvPT_PKS2_PKT0_S8_ifPKiSA_iPKfiiiSC_SC_iiiii ; -- Begin function _ZN4vllm25paged_attention_v1_kernelIttLi112ELi16ELi128ELNS_18Fp8KVCacheDataTypeE0ELb0EEEvPT_PKS2_PKT0_S8_ifPKiSA_iPKfiiiSC_SC_iiiii
	.globl	_ZN4vllm25paged_attention_v1_kernelIttLi112ELi16ELi128ELNS_18Fp8KVCacheDataTypeE0ELb0EEEvPT_PKS2_PKT0_S8_ifPKiSA_iPKfiiiSC_SC_iiiii
	.p2align	8
	.type	_ZN4vllm25paged_attention_v1_kernelIttLi112ELi16ELi128ELNS_18Fp8KVCacheDataTypeE0ELb0EEEvPT_PKS2_PKT0_S8_ifPKiSA_iPKfiiiSC_SC_iiiii,@function
_ZN4vllm25paged_attention_v1_kernelIttLi112ELi16ELi128ELNS_18Fp8KVCacheDataTypeE0ELb0EEEvPT_PKS2_PKT0_S8_ifPKiSA_iPKfiiiSC_SC_iiiii: ; @_ZN4vllm25paged_attention_v1_kernelIttLi112ELi16ELi128ELNS_18Fp8KVCacheDataTypeE0ELb0EEEvPT_PKS2_PKT0_S8_ifPKiSA_iPKfiiiSC_SC_iiiii
; %bb.0:
	s_clause 0x2
	s_load_dword s9, s[4:5], 0x80
	s_load_dwordx2 s[0:1], s[4:5], 0x30
	s_load_dwordx2 s[24:25], s[4:5], 0x20
	s_mov_b32 s10, s7
	s_ashr_i32 s11, s7, 31
	s_lshl_b64 s[2:3], s[10:11], 2
	s_waitcnt lgkmcnt(0)
	s_add_u32 s0, s0, s2
	s_addc_u32 s1, s1, s3
	s_abs_i32 s2, s24
	s_abs_i32 s11, s9
	v_cvt_f32_u32_e32 v1, s2
	s_sub_i32 s7, 0, s2
	v_rcp_iflag_f32_e32 v1, v1
	v_mul_f32_e32 v1, 0x4f7ffffe, v1
	v_cvt_u32_f32_e32 v1, v1
	v_readfirstlane_b32 s3, v1
	s_mul_i32 s7, s7, s3
	s_mul_hi_u32 s7, s3, s7
	s_add_i32 s3, s3, s7
	s_xor_b32 s7, s9, s24
	s_mul_hi_u32 s3, s11, s3
	s_ashr_i32 s7, s7, 31
	s_mul_i32 s12, s3, s2
	s_mov_b32 s24, 0
	s_sub_i32 s11, s11, s12
	s_add_i32 s12, s3, 1
	s_sub_i32 s13, s11, s2
	s_cmp_ge_u32 s11, s2
	s_cselect_b32 s3, s12, s3
	s_cselect_b32 s11, s13, s11
	s_add_i32 s12, s3, 1
	s_cmp_ge_u32 s11, s2
	s_cselect_b32 s2, s12, s3
	s_abs_i32 s17, s6
	s_xor_b32 s2, s2, s7
	s_sub_i32 s18, s2, s7
	s_load_dwordx2 s[2:3], s[4:5], 0x40
	s_abs_i32 s16, s18
	v_cvt_f32_u32_e32 v1, s16
	s_sub_i32 s11, 0, s16
	v_rcp_iflag_f32_e32 v1, v1
	v_mul_f32_e32 v1, 0x4f7ffffe, v1
	v_cvt_u32_f32_e32 v1, v1
	v_readfirstlane_b32 s7, v1
	s_mul_i32 s11, s11, s7
	s_mul_hi_u32 s11, s7, s11
	s_add_i32 s7, s7, s11
	s_waitcnt lgkmcnt(0)
	s_cmp_eq_u64 s[2:3], 0
	s_mul_hi_u32 s20, s17, s7
	s_cbranch_scc1 .LBB85_2
; %bb.1:
	s_ashr_i32 s7, s6, 31
	s_lshl_b64 s[12:13], s[6:7], 2
	s_add_u32 s2, s2, s12
	s_addc_u32 s3, s3, s13
	s_load_dword s24, s[2:3], 0x0
.LBB85_2:
	s_load_dword s11, s[0:1], 0x0
	s_load_dwordx4 s[12:15], s[4:5], 0x48
	v_lshrrev_b32_e32 v29, 1, v0
	v_and_b32_e32 v30, 1, v0
	v_lshlrev_b32_e32 v32, 3, v0
	s_ashr_i32 s0, s6, 31
	s_ashr_i32 s1, s18, 31
	s_mulk_i32 s6, 0x70
	s_mov_b32 s2, exec_lo
	v_cmpx_gt_u32_e32 28, v0
	s_cbranch_execz .LBB85_4
; %bb.3:
	s_load_dwordx2 s[18:19], s[4:5], 0x8
	s_waitcnt lgkmcnt(0)
	s_mul_i32 s22, s12, s10
	v_lshlrev_b32_e32 v3, 3, v29
	s_ashr_i32 s23, s22, 31
	s_lshl_b64 s[22:23], s[22:23], 1
	v_mad_u32_u24 v3, 0x70, v30, v3
	s_add_u32 s3, s18, s22
	s_addc_u32 s12, s19, s23
	s_ashr_i32 s7, s6, 31
	s_lshl_b64 s[18:19], s[6:7], 1
	s_add_u32 s18, s3, s18
	s_addc_u32 s19, s12, s19
	global_load_dwordx2 v[1:2], v32, s[18:19]
	s_waitcnt vmcnt(0)
	ds_write_b64 v3, v[1:2]
.LBB85_4:
	s_or_b32 exec_lo, exec_lo, s2
	s_waitcnt lgkmcnt(0)
	s_add_i32 s2, s11, 15
	s_clause 0x1
	s_load_dwordx2 s[18:19], s[4:5], 0x28
	s_load_dword s7, s[4:5], 0x38
	s_ashr_i32 s3, s2, 31
	s_xor_b32 s0, s0, s1
	s_lshr_b32 s3, s3, 28
	s_mul_i32 s1, s20, s16
	s_add_i32 s2, s2, s3
	s_sub_i32 s1, s17, s1
	s_ashr_i32 s12, s2, 4
	s_add_i32 s2, s20, 1
	s_sub_i32 s3, s1, s16
	s_cmp_ge_u32 s1, s16
	v_lshrrev_b32_e32 v31, 5, v0
	s_cselect_b32 s2, s2, s20
	s_cselect_b32 s1, s3, s1
	s_add_i32 s3, s2, 1
	s_cmp_ge_u32 s1, s16
	v_mbcnt_lo_u32_b32 v34, -1, 0
	s_cselect_b32 s1, s3, s2
	s_mov_b32 s2, exec_lo
	s_xor_b32 s1, s1, s0
	s_waitcnt lgkmcnt(0)
	s_mul_i32 s20, s7, s10
	s_sub_i32 s1, s1, s0
	v_cmp_gt_i32_e64 s0, s12, v31
	s_ashr_i32 s21, s20, 31
	s_barrier
	buffer_gl0_inv
                                        ; implicit-def: $vgpr35
                                        ; implicit-def: $vgpr36
	v_cmpx_le_i32_e64 s12, v31
	s_xor_b32 s2, exec_lo, s2
; %bb.5:
	v_mov_b32_e32 v35, 0
	v_mbcnt_lo_u32_b32 v34, -1, 0
	v_mov_b32_e32 v36, 32
; %bb.6:
	s_or_saveexec_b32 s26, s2
	s_clause 0x2
	s_load_dwordx2 s[16:17], s[4:5], 0x0
	s_load_dwordx2 s[22:23], s[4:5], 0x18
	s_load_dword s7, s[4:5], 0x88
	v_mov_b32_e32 v37, 0xff7fffff
	v_lshrrev_b32_e32 v33, 3, v0
	s_mul_i32 s14, s1, s14
	s_xor_b32 exec_lo, exec_lo, s26
	s_cbranch_execz .LBB85_12
; %bb.7:
	s_load_dwordx2 s[2:3], s[4:5], 0x10
	v_bfe_u32 v1, v0, 1, 4
	s_ashr_i32 s15, s14, 31
	v_and_b32_e32 v3, 8, v32
	s_lshl_b64 s[4:5], s[14:15], 1
	v_and_b32_e32 v4, 0x7c, v33
	v_lshlrev_b32_e32 v2, 2, v1
	v_lshlrev_b32_e32 v5, 4, v1
	v_lshl_or_b32 v39, v31, 4, v1
	v_mov_b32_e32 v35, 0
	v_mul_u32_u24_e32 v38, 0x70, v30
	v_lshl_or_b32 v2, v31, 6, v2
	v_cmp_neq_f32_e64 s1, s24, 0
	v_mov_b32_e32 v37, 0xff7fffff
	v_xor_b32_e32 v43, 1, v34
	v_mov_b32_e32 v36, 32
	v_add_nc_u32_e32 v40, 0x100, v2
	v_mov_b32_e32 v44, v31
	v_cmp_eq_u32_e32 vcc_lo, 0, v30
	s_waitcnt lgkmcnt(0)
	s_add_u32 s15, s2, s4
	s_addc_u32 s5, s3, s5
	v_add_co_u32 v1, s15, s15, v5
	v_add_co_ci_u32_e64 v2, null, s5, 0, s15
	s_lshl_b64 s[2:3], s[20:21], 2
	s_sub_i32 s4, 1, s11
	s_add_u32 s5, s18, s2
	v_add_co_u32 v41, s2, v1, v3
	s_addc_u32 s3, s19, s3
	v_add_co_ci_u32_e64 v42, null, 0, v2, s2
	v_add_co_u32 v1, s2, s5, v4
	v_add_co_ci_u32_e64 v2, null, s3, 0, s2
	s_mov_b32 s15, s13
	s_mov_b32 s5, 0
	s_branch .LBB85_9
.LBB85_8:                               ;   in Loop: Header=BB85_9 Depth=1
	s_or_b32 exec_lo, exec_lo, s3
	v_add_nc_u32_e32 v44, 4, v44
	v_add_co_u32 v1, s3, v1, 16
	v_add_nc_u32_e32 v39, 64, v39
	v_add_nc_u32_e32 v40, 0x100, v40
	v_cmp_le_i32_e64 s2, s12, v44
	v_add_co_ci_u32_e64 v2, null, 0, v2, s3
	s_or_b32 s5, s2, s5
	s_andn2_b32 exec_lo, exec_lo, s5
	s_cbranch_execz .LBB85_11
.LBB85_9:                               ; =>This Inner Loop Header: Depth=1
	global_load_dword v3, v[1:2], off
	s_waitcnt vmcnt(0) lgkmcnt(0)
	v_mad_i64_i32 v[3:4], null, v3, s15, 0
	v_lshlrev_b64 v[3:4], 1, v[3:4]
	v_add_co_u32 v3, s2, v41, v3
	v_add_co_ci_u32_e64 v4, null, v42, v4, s2
	s_clause 0x7
	global_load_dwordx2 v[27:28], v[3:4], off
	global_load_dwordx2 v[55:56], v[3:4], off offset:256
	global_load_dwordx2 v[25:26], v[3:4], off offset:512
	;; [unrolled: 1-line block ×7, first 2 shown]
	v_add_co_u32 v3, s2, 0x800, v3
	v_add_co_ci_u32_e64 v4, null, 0, v4, s2
	v_cmp_gt_i32_e64 s2, 32, v43
	s_clause 0x1
	global_load_dwordx2 v[13:14], v[3:4], off
	global_load_dwordx2 v[9:10], v[3:4], off offset:256
	ds_read_b64 v[5:6], v38
	s_waitcnt lgkmcnt(0)
	v_and_b32_e32 v45, 0xffff, v5
	v_lshrrev_b32_e32 v46, 16, v5
	v_lshrrev_b32_e32 v50, 16, v6
	v_and_b32_e32 v48, 0xffff, v6
	s_clause 0x3
	global_load_dwordx2 v[11:12], v[3:4], off offset:512
	global_load_dwordx2 v[7:8], v[3:4], off offset:768
	;; [unrolled: 1-line block ×4, first 2 shown]
	;;#ASMSTART
	v_cvt_f32_f16 v51, v45;
	;;#ASMEND
	;;#ASMSTART
	v_cvt_f32_f16 v47, v46;
	;;#ASMEND
	s_waitcnt vmcnt(13)
	v_and_b32_e32 v45, 0xffff, v27
	v_lshrrev_b32_e32 v27, 16, v27
	v_lshrrev_b32_e32 v46, 16, v28
	v_and_b32_e32 v28, 0xffff, v28
	;;#ASMSTART
	v_cvt_f32_f16 v52, v45;
	;;#ASMEND
	;;#ASMSTART
	v_cvt_f32_f16 v49, v27;
	;;#ASMEND
	;; [unrolled: 3-line block ×6, first 2 shown]
	ds_read_b64 v[27:28], v38 offset:8
	s_waitcnt vmcnt(12)
	v_lshrrev_b32_e32 v53, 16, v55
	v_and_b32_e32 v55, 0xffff, v55
	v_lshrrev_b32_e32 v58, 16, v56
	v_and_b32_e32 v57, 0xffff, v56
	s_waitcnt vmcnt(11)
	v_lshrrev_b32_e32 v62, 16, v25
	v_and_b32_e32 v25, 0xffff, v25
	v_lshrrev_b32_e32 v66, 16, v26
	v_and_b32_e32 v26, 0xffff, v26
	;; [unrolled: 5-line block ×4, first 2 shown]
	s_waitcnt vmcnt(8)
	v_lshrrev_b32_e32 v79, 16, v19
	s_waitcnt vmcnt(7)
	v_lshrrev_b32_e32 v83, 16, v17
	v_and_b32_e32 v84, 0xffff, v17
	s_waitcnt lgkmcnt(0)
	v_and_b32_e32 v54, 0xffff, v27
	v_lshrrev_b32_e32 v27, 16, v27
	v_and_b32_e32 v56, 0xffff, v28
	v_lshrrev_b32_e32 v59, 16, v28
	;;#ASMSTART
	v_cvt_f32_f16 v54, v54;
	;;#ASMEND
	;;#ASMSTART
	v_cvt_f32_f16 v28, v27;
	;;#ASMEND
	;; [unrolled: 3-line block ×8, first 2 shown]
	ds_read_b64 v[59:60], v38 offset:16
	s_waitcnt vmcnt(6)
	v_lshrrev_b32_e32 v87, 16, v15
	v_and_b32_e32 v88, 0xffff, v15
	v_lshrrev_b32_e32 v89, 16, v16
	v_and_b32_e32 v90, 0xffff, v16
	v_mul_f32_e32 v17, v54, v55
	v_and_b32_e32 v80, 0xffff, v19
	v_lshrrev_b32_e32 v81, 16, v20
	v_and_b32_e32 v82, 0xffff, v20
	v_lshrrev_b32_e32 v85, 16, v18
	v_and_b32_e32 v86, 0xffff, v18
	v_mul_f32_e32 v28, v28, v53
	v_mul_f32_e32 v53, v56, v57
	v_fmac_f32_e32 v17, v51, v52
	v_mul_f32_e32 v27, v27, v58
	s_waitcnt vmcnt(5)
	v_lshrrev_b32_e32 v58, 16, v13
	v_fmac_f32_e32 v28, v47, v49
	v_fmac_f32_e32 v53, v48, v50
	v_and_b32_e32 v13, 0xffff, v13
	v_fmac_f32_e32 v27, v45, v46
	s_waitcnt lgkmcnt(0)
	v_and_b32_e32 v61, 0xffff, v59
	v_lshrrev_b32_e32 v63, 16, v59
	v_and_b32_e32 v64, 0xffff, v60
	v_lshrrev_b32_e32 v65, 16, v60
	;;#ASMSTART
	v_cvt_f32_f16 v59, v61;
	;;#ASMEND
	;;#ASMSTART
	v_cvt_f32_f16 v60, v63;
	;;#ASMEND
	;; [unrolled: 3-line block ×8, first 2 shown]
	ds_read_b64 v[25:26], v38 offset:24
	v_fmac_f32_e32 v17, v59, v61
	v_fmac_f32_e32 v28, v60, v62
	s_waitcnt vmcnt(4)
	v_lshrrev_b32_e32 v62, 16, v9
	v_fmac_f32_e32 v53, v63, v65
	v_and_b32_e32 v9, 0xffff, v9
	v_fmac_f32_e32 v27, v64, v66
	s_waitcnt lgkmcnt(0)
	v_and_b32_e32 v67, 0xffff, v25
	v_lshrrev_b32_e32 v69, 16, v25
	v_and_b32_e32 v70, 0xffff, v26
	v_lshrrev_b32_e32 v71, 16, v26
	;;#ASMSTART
	v_cvt_f32_f16 v25, v67;
	;;#ASMEND
	;;#ASMSTART
	v_cvt_f32_f16 v26, v69;
	;;#ASMEND
	;; [unrolled: 3-line block ×8, first 2 shown]
	ds_read_b64 v[23:24], v38 offset:32
	v_fmac_f32_e32 v17, v25, v67
	s_waitcnt vmcnt(3)
	v_lshrrev_b32_e32 v67, 16, v11
	v_fmac_f32_e32 v28, v26, v68
	v_and_b32_e32 v26, 0xffff, v11
	v_fmac_f32_e32 v53, v69, v71
	v_fmac_f32_e32 v27, v70, v72
	s_waitcnt vmcnt(2)
	v_lshrrev_b32_e32 v72, 16, v7
	v_and_b32_e32 v7, 0xffff, v7
	s_waitcnt lgkmcnt(0)
	v_and_b32_e32 v73, 0xffff, v23
	v_lshrrev_b32_e32 v75, 16, v23
	v_lshrrev_b32_e32 v76, 16, v24
	v_and_b32_e32 v77, 0xffff, v24
	;;#ASMSTART
	v_cvt_f32_f16 v23, v73;
	;;#ASMEND
	;;#ASMSTART
	v_cvt_f32_f16 v24, v75;
	;;#ASMEND
	;; [unrolled: 3-line block ×8, first 2 shown]
	ds_read_b64 v[21:22], v38 offset:40
	v_fmac_f32_e32 v17, v23, v73
	v_fmac_f32_e32 v28, v24, v74
	;; [unrolled: 1-line block ×4, first 2 shown]
	s_waitcnt lgkmcnt(0)
	v_and_b32_e32 v15, 0xffff, v21
	v_lshrrev_b32_e32 v16, 16, v21
	v_lshrrev_b32_e32 v54, 16, v22
	v_and_b32_e32 v22, 0xffff, v22
	;;#ASMSTART
	v_cvt_f32_f16 v18, v15;
	;;#ASMEND
	;;#ASMSTART
	v_cvt_f32_f16 v19, v16;
	;;#ASMEND
	;; [unrolled: 3-line block ×8, first 2 shown]
	ds_read_b64 v[15:16], v38 offset:48
	v_fmac_f32_e32 v17, v18, v20
	v_fmac_f32_e32 v28, v19, v21
	;; [unrolled: 1-line block ×4, first 2 shown]
	s_waitcnt vmcnt(1)
	v_lshrrev_b32_e32 v21, 16, v6
	v_and_b32_e32 v6, 0xffff, v6
	s_waitcnt vmcnt(0)
	v_lshrrev_b32_e32 v22, 16, v3
	s_waitcnt lgkmcnt(0)
	v_and_b32_e32 v56, 0xffff, v15
	v_lshrrev_b32_e32 v15, 16, v15
	v_lshrrev_b32_e32 v81, 16, v16
	v_and_b32_e32 v16, 0xffff, v16
	;;#ASMSTART
	v_cvt_f32_f16 v51, v56;
	;;#ASMEND
	;;#ASMSTART
	v_cvt_f32_f16 v52, v15;
	;;#ASMEND
	;; [unrolled: 3-line block ×8, first 2 shown]
	ds_read_b64 v[15:16], v38 offset:56
	v_fmac_f32_e32 v17, v51, v56
	v_fmac_f32_e32 v28, v52, v57
	;; [unrolled: 1-line block ×4, first 2 shown]
	s_waitcnt lgkmcnt(0)
	v_and_b32_e32 v47, 0xffff, v15
	v_lshrrev_b32_e32 v15, 16, v15
	v_lshrrev_b32_e32 v85, 16, v16
	v_and_b32_e32 v16, 0xffff, v16
	;;#ASMSTART
	v_cvt_f32_f16 v47, v47;
	;;#ASMEND
	;;#ASMSTART
	v_cvt_f32_f16 v48, v15;
	;;#ASMEND
	;; [unrolled: 3-line block ×8, first 2 shown]
	ds_read_b64 v[15:16], v38 offset:64
	v_lshrrev_b32_e32 v88, 16, v14
	v_and_b32_e32 v14, 0xffff, v14
	v_and_b32_e32 v89, 0xffff, v12
	v_fmac_f32_e32 v17, v47, v49
	v_fmac_f32_e32 v28, v48, v50
	;; [unrolled: 1-line block ×4, first 2 shown]
	s_waitcnt lgkmcnt(0)
	v_and_b32_e32 v45, 0xffff, v15
	v_lshrrev_b32_e32 v46, 16, v15
	v_lshrrev_b32_e32 v59, 16, v16
	v_and_b32_e32 v60, 0xffff, v16
	;;#ASMSTART
	v_cvt_f32_f16 v15, v45;
	;;#ASMEND
	;;#ASMSTART
	v_cvt_f32_f16 v16, v46;
	;;#ASMEND
	;; [unrolled: 3-line block ×8, first 2 shown]
	ds_read_b64 v[13:14], v38 offset:72
	v_lshrrev_b32_e32 v88, 16, v10
	v_and_b32_e32 v10, 0xffff, v10
	v_fmac_f32_e32 v17, v15, v45
	v_fmac_f32_e32 v28, v16, v46
	v_fmac_f32_e32 v53, v58, v60
	v_fmac_f32_e32 v27, v59, v61
	s_waitcnt lgkmcnt(0)
	v_and_b32_e32 v63, 0xffff, v13
	v_lshrrev_b32_e32 v64, 16, v13
	v_lshrrev_b32_e32 v65, 16, v14
	v_and_b32_e32 v66, 0xffff, v14
	;;#ASMSTART
	v_cvt_f32_f16 v13, v63;
	;;#ASMEND
	;;#ASMSTART
	v_cvt_f32_f16 v14, v64;
	;;#ASMEND
	;; [unrolled: 3-line block ×8, first 2 shown]
	ds_read_b64 v[9:10], v38 offset:80
	v_lshrrev_b32_e32 v88, 16, v12
	v_fmac_f32_e32 v17, v13, v25
	v_fmac_f32_e32 v28, v14, v62
	;; [unrolled: 1-line block ×4, first 2 shown]
	v_and_b32_e32 v13, 0xffff, v3
	s_waitcnt lgkmcnt(0)
	v_and_b32_e32 v11, 0xffff, v9
	v_lshrrev_b32_e32 v9, 16, v9
	v_lshrrev_b32_e32 v69, 16, v10
	v_and_b32_e32 v10, 0xffff, v10
	;;#ASMSTART
	v_cvt_f32_f16 v11, v11;
	;;#ASMEND
	;;#ASMSTART
	v_cvt_f32_f16 v12, v9;
	;;#ASMEND
	;; [unrolled: 3-line block ×8, first 2 shown]
	ds_read_b64 v[9:10], v38 offset:88
	v_lshrrev_b32_e32 v88, 16, v8
	v_and_b32_e32 v8, 0xffff, v8
	v_lshrrev_b32_e32 v89, 16, v5
	v_and_b32_e32 v5, 0xffff, v5
	v_fmac_f32_e32 v17, v11, v26
	v_fmac_f32_e32 v28, v12, v67
	;; [unrolled: 1-line block ×4, first 2 shown]
	v_lshrrev_b32_e32 v11, 16, v4
	s_waitcnt lgkmcnt(0)
	v_and_b32_e32 v23, 0xffff, v9
	v_lshrrev_b32_e32 v24, 16, v9
	v_lshrrev_b32_e32 v73, 16, v10
	v_and_b32_e32 v74, 0xffff, v10
	;;#ASMSTART
	v_cvt_f32_f16 v9, v23;
	;;#ASMEND
	;;#ASMSTART
	v_cvt_f32_f16 v10, v24;
	;;#ASMEND
	;; [unrolled: 3-line block ×8, first 2 shown]
	ds_read_b64 v[7:8], v38 offset:96
	v_fmac_f32_e32 v17, v9, v23
	v_fmac_f32_e32 v28, v10, v24
	v_fmac_f32_e32 v53, v72, v74
	v_and_b32_e32 v9, 0xffff, v4
	v_fmac_f32_e32 v27, v73, v75
	s_waitcnt lgkmcnt(0)
	v_and_b32_e32 v15, 0xffff, v7
	v_lshrrev_b32_e32 v16, 16, v7
	v_lshrrev_b32_e32 v19, 16, v8
	v_and_b32_e32 v18, 0xffff, v8
	;;#ASMSTART
	v_cvt_f32_f16 v7, v15;
	;;#ASMEND
	;;#ASMSTART
	v_cvt_f32_f16 v8, v16;
	;;#ASMEND
	;; [unrolled: 3-line block ×8, first 2 shown]
	ds_read_b64 v[5:6], v38 offset:104
	v_fmac_f32_e32 v17, v7, v15
	v_fmac_f32_e32 v28, v8, v16
	;; [unrolled: 1-line block ×4, first 2 shown]
	s_waitcnt lgkmcnt(0)
	v_and_b32_e32 v3, 0xffff, v5
	v_lshrrev_b32_e32 v4, 16, v5
	v_lshrrev_b32_e32 v7, 16, v6
	v_and_b32_e32 v8, 0xffff, v6
	;;#ASMSTART
	v_cvt_f32_f16 v3, v3;
	;;#ASMEND
	;;#ASMSTART
	v_cvt_f32_f16 v4, v4;
	;;#ASMEND
	;; [unrolled: 3-line block ×4, first 2 shown]
	v_fmac_f32_e32 v17, v3, v5
	v_fmac_f32_e32 v28, v4, v6
	;;#ASMSTART
	v_cvt_f32_f16 v3, v8;
	;;#ASMEND
	;;#ASMSTART
	v_cvt_f32_f16 v4, v7;
	;;#ASMEND
	;; [unrolled: 3-line block ×3, first 2 shown]
	v_fmac_f32_e32 v53, v3, v5
	v_add_f32_e32 v3, v17, v28
	;;#ASMSTART
	v_cvt_f32_f16 v5, v11;
	;;#ASMEND
	v_fmac_f32_e32 v27, v4, v5
	v_cndmask_b32_e64 v4, v34, v43, s2
	v_add_f32_e32 v3, v3, v53
	v_lshlrev_b32_e32 v4, 2, v4
	v_add_f32_e32 v3, v27, v3
	ds_bpermute_b32 v4, v4, v3
	s_and_saveexec_b32 s3, vcc_lo
	s_cbranch_execz .LBB85_8
; %bb.10:                               ;   in Loop: Header=BB85_9 Depth=1
	v_add_nc_u32_e32 v5, s4, v39
	s_waitcnt lgkmcnt(0)
	v_add_f32_e32 v3, v3, v4
	v_cmp_gt_i32_e64 s2, s11, v39
	v_cvt_f32_i32_e32 v5, v5
	v_mul_f32_e32 v5, s24, v5
	v_cndmask_b32_e64 v4, 0, v5, s1
	v_max_f32_e32 v5, v37, v37
	v_fmac_f32_e32 v4, s25, v3
	v_max_f32_e32 v3, v5, v4
	v_cndmask_b32_e64 v4, 0, v4, s2
	v_cndmask_b32_e64 v37, v37, v3, s2
	ds_write_b32 v40, v4
	s_branch .LBB85_8
.LBB85_11:
	s_or_b32 exec_lo, exec_lo, s5
.LBB85_12:
	s_or_b32 exec_lo, exec_lo, s26
	v_xor_b32_e32 v1, 16, v34
	v_xor_b32_e32 v3, 8, v34
	v_max_f32_e32 v5, v37, v37
	v_xor_b32_e32 v6, 2, v34
	v_and_b32_e32 v9, 31, v0
	v_cmp_lt_i32_e32 vcc_lo, v1, v36
	v_cndmask_b32_e32 v1, v34, v1, vcc_lo
	v_cmp_lt_i32_e32 vcc_lo, v3, v36
	v_lshlrev_b32_e32 v2, 2, v1
	v_cndmask_b32_e32 v3, v34, v3, vcc_lo
	ds_bpermute_b32 v1, v2, v37
	s_waitcnt lgkmcnt(0)
	v_lshlrev_b32_e32 v4, 2, v3
	v_max_f32_e32 v1, v1, v1
	v_max_f32_e32 v1, v5, v1
	v_xor_b32_e32 v5, 4, v34
	ds_bpermute_b32 v3, v4, v1
	v_cmp_lt_i32_e32 vcc_lo, v5, v36
	v_cndmask_b32_e32 v5, v34, v5, vcc_lo
	v_cmp_lt_i32_e32 vcc_lo, v6, v36
	v_lshlrev_b32_e32 v5, 2, v5
	v_cndmask_b32_e32 v6, v34, v6, vcc_lo
	v_cmp_eq_u32_e32 vcc_lo, 0, v9
	s_waitcnt lgkmcnt(0)
	v_max_f32_e32 v3, v3, v3
	v_max_f32_e32 v1, v1, v3
	ds_bpermute_b32 v3, v5, v1
	s_waitcnt lgkmcnt(0)
	v_max_f32_e32 v3, v3, v3
	v_max_f32_e32 v3, v1, v3
	v_lshlrev_b32_e32 v1, 2, v6
	v_lshlrev_b32_e32 v6, 2, v31
	ds_bpermute_b32 v7, v1, v3
	s_and_saveexec_b32 s1, vcc_lo
	s_cbranch_execz .LBB85_14
; %bb.13:
	s_waitcnt lgkmcnt(0)
	v_max_f32_e32 v7, v7, v7
	v_max_f32_e32 v3, v3, v3
	v_max_f32_e32 v3, v3, v7
	ds_write_b32 v6, v3 offset:224
.LBB85_14:
	s_or_b32 exec_lo, exec_lo, s1
	v_cmp_gt_u32_e64 s1, 4, v9
	v_mov_b32_e32 v3, 0xff7fffff
	s_waitcnt lgkmcnt(0)
	v_lshlrev_b32_e32 v7, 2, v9
	s_barrier
	buffer_gl0_inv
	s_and_saveexec_b32 s2, s1
; %bb.15:
	ds_read_b32 v3, v7 offset:224
; %bb.16:
	s_or_b32 exec_lo, exec_lo, s2
	s_waitcnt lgkmcnt(0)
	ds_bpermute_b32 v8, v1, v3
	v_xor_b32_e32 v10, 1, v34
	v_max_f32_e32 v3, v3, v3
	v_cmp_lt_i32_e64 s2, v10, v36
	v_cndmask_b32_e64 v10, v34, v10, s2
	s_lshl_b32 s2, s12, 4
	s_min_i32 s4, s2, s11
	v_lshlrev_b32_e32 v10, 2, v10
	v_cmp_gt_i32_e64 s2, s4, v0
	s_waitcnt lgkmcnt(0)
	v_max_f32_e32 v8, v8, v8
	v_max_f32_e32 v3, v3, v8
	ds_bpermute_b32 v8, v10, v3
	s_waitcnt lgkmcnt(0)
	v_max_f32_e32 v8, v8, v8
	v_max_f32_e32 v3, v3, v8
	v_lshlrev_b32_e32 v8, 2, v35
	ds_bpermute_b32 v11, v8, v3
	v_mov_b32_e32 v8, 0
	v_lshl_add_u32 v3, v0, 2, 0x100
	s_and_saveexec_b32 s5, s2
	s_cbranch_execz .LBB85_20
; %bb.17:
	v_lshl_add_u32 v12, v0, 2, 0x100
	v_mov_b32_e32 v8, 0
	v_mov_b32_e32 v13, v0
	s_mov_b32 s15, 0
	.p2align	6
.LBB85_18:                              ; =>This Inner Loop Header: Depth=1
	ds_read_b32 v14, v12
	v_add_nc_u32_e32 v13, 0x80, v13
	v_cmp_le_i32_e64 s3, s4, v13
	s_or_b32 s15, s3, s15
	s_waitcnt lgkmcnt(0)
	v_sub_f32_e32 v14, v14, v11
	v_mul_f32_e32 v14, 0x3fb8aa3b, v14
	v_exp_f32_e32 v14, v14
	ds_write_b32 v12, v14
	v_add_f32_e32 v8, v8, v14
	v_add_nc_u32_e32 v12, 0x200, v12
	s_andn2_b32 exec_lo, exec_lo, s15
	s_cbranch_execnz .LBB85_18
; %bb.19:
	s_or_b32 exec_lo, exec_lo, s15
.LBB85_20:
	s_or_b32 exec_lo, exec_lo, s5
	ds_bpermute_b32 v2, v2, v8
	s_waitcnt lgkmcnt(0)
	v_add_f32_e32 v2, v8, v2
	ds_bpermute_b32 v4, v4, v2
	s_waitcnt lgkmcnt(0)
	v_add_f32_e32 v2, v2, v4
	;; [unrolled: 3-line block ×5, first 2 shown]
	s_and_saveexec_b32 s3, vcc_lo
; %bb.21:
	ds_write_b32 v6, v2 offset:240
; %bb.22:
	s_or_b32 exec_lo, exec_lo, s3
	s_waitcnt lgkmcnt(0)
	s_barrier
	buffer_gl0_inv
	s_and_saveexec_b32 s3, s1
; %bb.23:
	ds_read_b32 v2, v7 offset:240
; %bb.24:
	s_or_b32 exec_lo, exec_lo, s3
	s_waitcnt lgkmcnt(0)
	ds_bpermute_b32 v1, v1, v2
	v_lshlrev_b32_e32 v4, 2, v34
	s_waitcnt lgkmcnt(0)
	v_add_f32_e32 v1, v2, v1
	ds_bpermute_b32 v2, v10, v1
	s_waitcnt lgkmcnt(0)
	v_add_f32_e32 v1, v1, v2
	v_and_b32_e32 v2, 0xffffff80, v4
	ds_bpermute_b32 v1, v2, v1
	s_and_saveexec_b32 s1, s2
	s_cbranch_execz .LBB85_27
; %bb.25:
	s_waitcnt lgkmcnt(0)
	v_add_f32_e32 v1, 0x358637bd, v1
	s_mov_b32 s2, 0
	v_div_scale_f32 v2, null, v1, v1, 1.0
	v_div_scale_f32 v6, vcc_lo, 1.0, v1, 1.0
	v_rcp_f32_e32 v4, v2
	v_fma_f32 v5, -v2, v4, 1.0
	v_fmac_f32_e32 v4, v5, v4
	v_mul_f32_e32 v5, v6, v4
	v_fma_f32 v7, -v2, v5, v6
	v_fmac_f32_e32 v5, v7, v4
	v_fma_f32 v2, -v2, v5, v6
	v_div_fmas_f32 v2, v2, v4, v5
	v_div_fixup_f32 v1, v2, v1, 1.0
	v_mov_b32_e32 v2, v0
.LBB85_26:                              ; =>This Inner Loop Header: Depth=1
	ds_read_b32 v4, v3
	v_add_nc_u32_e32 v2, 0x80, v2
	v_cmp_le_i32_e32 vcc_lo, s4, v2
	s_or_b32 s2, vcc_lo, s2
	s_waitcnt lgkmcnt(0)
	v_mul_f32_e32 v4, v1, v4
	ds_write_b32 v3, v4
	v_add_nc_u32_e32 v3, 0x200, v3
	s_andn2_b32 exec_lo, exec_lo, s2
	s_cbranch_execnz .LBB85_26
.LBB85_27:
	s_or_b32 exec_lo, exec_lo, s1
	v_mov_b32_e32 v16, 0
	v_mov_b32_e32 v17, 0
	;; [unrolled: 1-line block ×7, first 2 shown]
	s_waitcnt lgkmcnt(0)
	s_barrier
	buffer_gl0_inv
	s_and_saveexec_b32 s2, s0
	s_cbranch_execz .LBB85_45
; %bb.28:
	v_lshlrev_b32_e32 v2, 4, v0
	s_ashr_i32 s15, s14, 31
	v_and_b32_e32 v1, 8, v32
	s_lshl_b64 s[0:1], s[14:15], 1
	v_lshlrev_b32_e32 v4, 4, v31
	v_and_b32_e32 v2, 0x1f0, v2
	s_add_u32 s0, s22, s0
	v_lshlrev_b32_e32 v3, 5, v30
	s_addc_u32 s1, s23, s1
	v_or3_b32 v21, v4, v1, 7
	v_add_co_u32 v19, s0, s0, v2
	v_and_b32_e32 v1, 0x7c, v33
	v_add_co_ci_u32_e64 v20, null, s1, 0, s0
	s_lshl_b64 s[0:1], s[20:21], 2
	s_add_i32 s3, s12, -1
	v_lshl_or_b32 v3, v31, 6, v3
	s_add_u32 s0, s18, s0
	s_addc_u32 s1, s19, s1
	v_add_co_u32 v5, s0, s0, v1
	v_mov_b32_e32 v18, 0
	v_add_nc_u32_e32 v22, 0x100, v3
	v_add_co_ci_u32_e64 v6, null, s1, 0, s0
	v_mov_b32_e32 v11, 0
	v_mov_b32_e32 v12, 0
	;; [unrolled: 1-line block ×8, first 2 shown]
	s_mov_b32 s5, s13
	s_mov_b32 s4, 0
	s_branch .LBB85_30
.LBB85_29:                              ;   in Loop: Header=BB85_30 Depth=1
	s_or_b32 exec_lo, exec_lo, s1
	v_lshlrev_b32_e32 v26, 16, v48
	v_lshlrev_b32_e32 v8, 16, v8
	;; [unrolled: 1-line block ×3, first 2 shown]
	v_add_f32_e32 v24, v49, v50
	v_add_nc_u32_e32 v23, 4, v23
	v_and_or_b32 v1, 0xffff, v1, v26
	v_and_or_b32 v2, 0xffff, v2, v8
	;; [unrolled: 1-line block ×3, first 2 shown]
	;;#ASMSTART
	v_pk_mul_f16 v1, v35, v1;

	;;#ASMEND
	;;#ASMSTART
	v_pk_mul_f16 v2, v34, v2;

	;;#ASMEND
	;; [unrolled: 4-line block ×4, first 2 shown]
	;;#ASMSTART
	v_pk_add_f16 v1, v1, v2;

	;;#ASMEND
	;;#ASMSTART
	v_pk_add_f16 v1, v1, v3;

	;;#ASMEND
	;; [unrolled: 4-line block ×3, first 2 shown]
	v_and_b32_e32 v4, 0xffff, v1
	v_lshrrev_b32_e32 v7, 16, v1
	;;#ASMSTART
	v_cvt_f32_f16 v4, v4;
	;;#ASMEND
	v_add_f32_e32 v25, v46, v47
	v_add_f32_e32 v12, v12, v24
	;; [unrolled: 1-line block ×6, first 2 shown]
	;;#ASMSTART
	v_cvt_f32_f16 v7, v7;
	;;#ASMEND
	v_add_f32_e32 v4, v4, v7
	v_cmp_le_i32_e32 vcc_lo, s12, v23
	v_add_co_u32 v5, s0, v5, 16
	v_add_f32_e32 v13, v13, v25
	v_add_f32_e32 v14, v14, v24
	;; [unrolled: 1-line block ×6, first 2 shown]
	v_add_nc_u32_e32 v21, 64, v21
	v_add_nc_u32_e32 v22, 0x100, v22
	v_add_co_ci_u32_e64 v6, null, 0, v6, s0
	s_or_b32 s4, vcc_lo, s4
	s_andn2_b32 exec_lo, exec_lo, s4
	s_cbranch_execz .LBB85_44
.LBB85_30:                              ; =>This Inner Loop Header: Depth=1
	global_load_dword v7, v[5:6], off
	ds_read2_b64 v[1:4], v22 offset1:1
	ds_read2_b64 v[24:27], v22 offset0:2 offset1:3
	v_add_nc_u32_e32 v28, -7, v21
	v_cmp_eq_u32_e64 s0, s3, v23
	v_add_nc_u32_e32 v33, -6, v21
	v_add_nc_u32_e32 v32, -1, v21
	s_waitcnt lgkmcnt(1)
	;;#ASMSTART
	v_cvt_f16_f32 v35, v1;

	;;#ASMEND
	;;#ASMSTART
	v_cvt_f16_f32 v34, v2;

	;;#ASMEND
	;; [unrolled: 4-line block ×4, first 2 shown]
	s_waitcnt lgkmcnt(0)
	;;#ASMSTART
	v_cvt_f16_f32 v41, v24;

	;;#ASMEND
	;;#ASMSTART
	v_cvt_f16_f32 v36, v25;

	;;#ASMEND
	;; [unrolled: 4-line block ×4, first 2 shown]
	v_add_nc_u32_e32 v27, -5, v21
	v_add_nc_u32_e32 v26, -4, v21
	;; [unrolled: 1-line block ×4, first 2 shown]
	s_waitcnt vmcnt(0)
	v_mad_i64_i32 v[7:8], null, v7, s5, 0
	v_lshlrev_b64 v[7:8], 1, v[7:8]
	v_add_co_u32 v7, vcc_lo, v19, v7
	v_add_co_ci_u32_e64 v8, null, v20, v8, vcc_lo
	global_load_dwordx4 v[1:4], v[7:8], off
	s_waitcnt vmcnt(0)
	v_lshrrev_b32_e32 v44, 16, v1
	v_lshrrev_b32_e32 v43, 16, v2
	;; [unrolled: 1-line block ×3, first 2 shown]
	s_and_saveexec_b32 s13, s0
	s_cbranch_execz .LBB85_32
; %bb.31:                               ;   in Loop: Header=BB85_30 Depth=1
	v_cmp_gt_i32_e32 vcc_lo, s11, v28
	v_and_b32_e32 v45, 0xffff0000, v4
	v_cmp_gt_i32_e64 s1, s11, v27
	v_cndmask_b32_e32 v1, 0, v1, vcc_lo
	v_cmp_gt_i32_e32 vcc_lo, s11, v33
	v_cndmask_b32_e64 v2, 0, v2, s1
	v_cmp_gt_i32_e64 s1, s11, v26
	v_cndmask_b32_e32 v44, 0, v44, vcc_lo
	v_cmp_gt_i32_e32 vcc_lo, s11, v32
	v_cndmask_b32_e64 v43, 0, v43, s1
	v_cndmask_b32_sdwa v4, v18, v4, vcc_lo dst_sel:DWORD dst_unused:UNUSED_PAD src0_sel:DWORD src1_sel:WORD_0
	v_cmp_gt_i32_e32 vcc_lo, s11, v21
	v_cndmask_b32_e32 v45, 0, v45, vcc_lo
	v_cmp_gt_i32_e32 vcc_lo, s11, v25
	v_or_b32_e32 v4, v4, v45
	v_cndmask_b32_e32 v3, 0, v3, vcc_lo
	v_cmp_gt_i32_e32 vcc_lo, s11, v24
	v_cndmask_b32_e32 v42, 0, v42, vcc_lo
.LBB85_32:                              ;   in Loop: Header=BB85_30 Depth=1
	s_or_b32 exec_lo, exec_lo, s13
	v_and_b32_e32 v35, 0xffff, v35
	v_and_b32_e32 v40, 0xffff, v40
	v_lshlrev_b32_e32 v44, 16, v44
	v_and_b32_e32 v41, 0xffff, v41
	v_and_b32_e32 v39, 0xffff, v39
	v_lshl_or_b32 v35, v34, 16, v35
	v_lshl_or_b32 v34, v38, 16, v40
	v_lshlrev_b32_e32 v38, 16, v43
	v_lshlrev_b32_e32 v40, 16, v42
	v_and_or_b32 v1, 0xffff, v1, v44
	;;#ASMSTART
	v_pk_mul_f16 v1, v35, v1;

	;;#ASMEND
	v_lshl_or_b32 v36, v36, 16, v41
	v_and_or_b32 v2, 0xffff, v2, v38
	v_and_or_b32 v3, 0xffff, v3, v40
	v_lshl_or_b32 v37, v37, 16, v39
	;;#ASMSTART
	v_pk_mul_f16 v2, v34, v2;

	;;#ASMEND
	;;#ASMSTART
	v_pk_mul_f16 v3, v36, v3;

	;;#ASMEND
	;; [unrolled: 4-line block ×3, first 2 shown]
	;;#ASMSTART
	v_pk_add_f16 v1, v1, v2;

	;;#ASMEND
	;;#ASMSTART
	v_pk_add_f16 v1, v1, v3;

	;;#ASMEND
	;; [unrolled: 4-line block ×3, first 2 shown]
	v_and_b32_e32 v2, 0xffff, v1
	v_lshrrev_b32_e32 v1, 16, v1
	;;#ASMSTART
	v_cvt_f32_f16 v38, v2;
	;;#ASMEND
	;;#ASMSTART
	v_cvt_f32_f16 v39, v1;
	;;#ASMEND
	global_load_dwordx4 v[1:4], v[7:8], off offset:512
	s_waitcnt vmcnt(0)
	v_lshrrev_b32_e32 v42, 16, v1
	v_lshrrev_b32_e32 v41, 16, v2
	;; [unrolled: 1-line block ×3, first 2 shown]
	s_and_saveexec_b32 s13, s0
	s_cbranch_execz .LBB85_34
; %bb.33:                               ;   in Loop: Header=BB85_30 Depth=1
	v_cmp_gt_i32_e32 vcc_lo, s11, v28
	v_and_b32_e32 v43, 0xffff0000, v4
	v_cmp_gt_i32_e64 s1, s11, v27
	v_cndmask_b32_e32 v1, 0, v1, vcc_lo
	v_cmp_gt_i32_e32 vcc_lo, s11, v33
	v_cndmask_b32_e64 v2, 0, v2, s1
	v_cmp_gt_i32_e64 s1, s11, v26
	v_cndmask_b32_e32 v42, 0, v42, vcc_lo
	v_cmp_gt_i32_e32 vcc_lo, s11, v32
	v_cndmask_b32_e64 v41, 0, v41, s1
	v_cndmask_b32_sdwa v4, v18, v4, vcc_lo dst_sel:DWORD dst_unused:UNUSED_PAD src0_sel:DWORD src1_sel:WORD_0
	v_cmp_gt_i32_e32 vcc_lo, s11, v21
	v_cndmask_b32_e32 v43, 0, v43, vcc_lo
	v_cmp_gt_i32_e32 vcc_lo, s11, v25
	v_or_b32_e32 v4, v4, v43
	v_cndmask_b32_e32 v3, 0, v3, vcc_lo
	v_cmp_gt_i32_e32 vcc_lo, s11, v24
	v_cndmask_b32_e32 v40, 0, v40, vcc_lo
.LBB85_34:                              ;   in Loop: Header=BB85_30 Depth=1
	s_or_b32 exec_lo, exec_lo, s13
	v_lshlrev_b32_e32 v42, 16, v42
	v_lshlrev_b32_e32 v41, 16, v41
	;; [unrolled: 1-line block ×3, first 2 shown]
	v_and_or_b32 v1, 0xffff, v1, v42
	v_and_or_b32 v2, 0xffff, v2, v41
	;; [unrolled: 1-line block ×3, first 2 shown]
	;;#ASMSTART
	v_pk_mul_f16 v1, v35, v1;

	;;#ASMEND
	;;#ASMSTART
	v_pk_mul_f16 v2, v34, v2;

	;;#ASMEND
	;;#ASMSTART
	v_pk_mul_f16 v3, v36, v3;

	;;#ASMEND
	;;#ASMSTART
	v_pk_mul_f16 v4, v37, v4;

	;;#ASMEND
	;;#ASMSTART
	v_pk_add_f16 v1, v1, v2;

	;;#ASMEND
	;;#ASMSTART
	v_pk_add_f16 v1, v1, v3;

	;;#ASMEND
	;; [unrolled: 4-line block ×3, first 2 shown]
	v_and_b32_e32 v2, 0xffff, v1
	v_lshrrev_b32_e32 v1, 16, v1
	;;#ASMSTART
	v_cvt_f32_f16 v40, v2;
	;;#ASMEND
	;;#ASMSTART
	v_cvt_f32_f16 v41, v1;
	;;#ASMEND
	global_load_dwordx4 v[1:4], v[7:8], off offset:1024
	s_waitcnt vmcnt(0)
	v_lshrrev_b32_e32 v44, 16, v1
	v_lshrrev_b32_e32 v43, 16, v2
	v_lshrrev_b32_e32 v42, 16, v3
	s_and_saveexec_b32 s13, s0
	s_cbranch_execz .LBB85_36
; %bb.35:                               ;   in Loop: Header=BB85_30 Depth=1
	v_cmp_gt_i32_e32 vcc_lo, s11, v28
	v_and_b32_e32 v45, 0xffff0000, v4
	v_cmp_gt_i32_e64 s1, s11, v27
	v_cndmask_b32_e32 v1, 0, v1, vcc_lo
	v_cmp_gt_i32_e32 vcc_lo, s11, v33
	v_cndmask_b32_e64 v2, 0, v2, s1
	v_cmp_gt_i32_e64 s1, s11, v26
	v_cndmask_b32_e32 v44, 0, v44, vcc_lo
	v_cmp_gt_i32_e32 vcc_lo, s11, v32
	v_cndmask_b32_e64 v43, 0, v43, s1
	v_cndmask_b32_sdwa v4, v18, v4, vcc_lo dst_sel:DWORD dst_unused:UNUSED_PAD src0_sel:DWORD src1_sel:WORD_0
	v_cmp_gt_i32_e32 vcc_lo, s11, v21
	v_cndmask_b32_e32 v45, 0, v45, vcc_lo
	v_cmp_gt_i32_e32 vcc_lo, s11, v25
	v_or_b32_e32 v4, v4, v45
	v_cndmask_b32_e32 v3, 0, v3, vcc_lo
	v_cmp_gt_i32_e32 vcc_lo, s11, v24
	v_cndmask_b32_e32 v42, 0, v42, vcc_lo
.LBB85_36:                              ;   in Loop: Header=BB85_30 Depth=1
	s_or_b32 exec_lo, exec_lo, s13
	v_lshlrev_b32_e32 v44, 16, v44
	v_lshlrev_b32_e32 v43, 16, v43
	;; [unrolled: 1-line block ×3, first 2 shown]
	v_and_or_b32 v1, 0xffff, v1, v44
	v_and_or_b32 v2, 0xffff, v2, v43
	;; [unrolled: 1-line block ×3, first 2 shown]
	;;#ASMSTART
	v_pk_mul_f16 v1, v35, v1;

	;;#ASMEND
	;;#ASMSTART
	v_pk_mul_f16 v2, v34, v2;

	;;#ASMEND
	;; [unrolled: 4-line block ×4, first 2 shown]
	;;#ASMSTART
	v_pk_add_f16 v1, v1, v2;

	;;#ASMEND
	;;#ASMSTART
	v_pk_add_f16 v1, v1, v3;

	;;#ASMEND
	;;#ASMSTART
	v_pk_add_f16 v1, v1, v4;

	;;#ASMEND
	v_and_b32_e32 v2, 0xffff, v1
	v_lshrrev_b32_e32 v1, 16, v1
	;;#ASMSTART
	v_cvt_f32_f16 v42, v2;
	;;#ASMEND
	;;#ASMSTART
	v_cvt_f32_f16 v43, v1;
	;;#ASMEND
	global_load_dwordx4 v[1:4], v[7:8], off offset:1536
	s_waitcnt vmcnt(0)
	v_lshrrev_b32_e32 v46, 16, v1
	v_lshrrev_b32_e32 v45, 16, v2
	;; [unrolled: 1-line block ×3, first 2 shown]
	s_and_saveexec_b32 s13, s0
	s_cbranch_execz .LBB85_38
; %bb.37:                               ;   in Loop: Header=BB85_30 Depth=1
	v_cmp_gt_i32_e32 vcc_lo, s11, v28
	v_and_b32_e32 v47, 0xffff0000, v4
	v_cmp_gt_i32_e64 s1, s11, v27
	v_cndmask_b32_e32 v1, 0, v1, vcc_lo
	v_cmp_gt_i32_e32 vcc_lo, s11, v33
	v_cndmask_b32_e64 v2, 0, v2, s1
	v_cmp_gt_i32_e64 s1, s11, v26
	v_cndmask_b32_e32 v46, 0, v46, vcc_lo
	v_cmp_gt_i32_e32 vcc_lo, s11, v32
	v_cndmask_b32_e64 v45, 0, v45, s1
	v_cndmask_b32_sdwa v4, v18, v4, vcc_lo dst_sel:DWORD dst_unused:UNUSED_PAD src0_sel:DWORD src1_sel:WORD_0
	v_cmp_gt_i32_e32 vcc_lo, s11, v21
	v_cndmask_b32_e32 v47, 0, v47, vcc_lo
	v_cmp_gt_i32_e32 vcc_lo, s11, v25
	v_or_b32_e32 v4, v4, v47
	v_cndmask_b32_e32 v3, 0, v3, vcc_lo
	v_cmp_gt_i32_e32 vcc_lo, s11, v24
	v_cndmask_b32_e32 v44, 0, v44, vcc_lo
.LBB85_38:                              ;   in Loop: Header=BB85_30 Depth=1
	s_or_b32 exec_lo, exec_lo, s13
	v_lshlrev_b32_e32 v46, 16, v46
	v_lshlrev_b32_e32 v45, 16, v45
	;; [unrolled: 1-line block ×3, first 2 shown]
	v_add_co_u32 v7, vcc_lo, 0x800, v7
	v_and_or_b32 v1, 0xffff, v1, v46
	v_and_or_b32 v2, 0xffff, v2, v45
	v_and_or_b32 v3, 0xffff, v3, v44
	;;#ASMSTART
	v_pk_mul_f16 v1, v35, v1;

	;;#ASMEND
	v_add_co_ci_u32_e64 v8, null, 0, v8, vcc_lo
	;;#ASMSTART
	v_pk_mul_f16 v2, v34, v2;

	;;#ASMEND
	;;#ASMSTART
	v_pk_mul_f16 v3, v36, v3;

	;;#ASMEND
	;; [unrolled: 4-line block ×3, first 2 shown]
	;;#ASMSTART
	v_pk_add_f16 v1, v1, v2;

	;;#ASMEND
	;;#ASMSTART
	v_pk_add_f16 v1, v1, v3;

	;;#ASMEND
	;; [unrolled: 4-line block ×3, first 2 shown]
	v_lshrrev_b32_e32 v2, 16, v1
	v_and_b32_e32 v1, 0xffff, v1
	;;#ASMSTART
	v_cvt_f32_f16 v44, v1;
	;;#ASMEND
	;;#ASMSTART
	v_cvt_f32_f16 v45, v2;
	;;#ASMEND
	global_load_dwordx4 v[1:4], v[7:8], off
	s_waitcnt vmcnt(0)
	v_lshrrev_b32_e32 v48, 16, v1
	v_lshrrev_b32_e32 v47, 16, v2
	;; [unrolled: 1-line block ×3, first 2 shown]
	s_and_saveexec_b32 s13, s0
	s_cbranch_execz .LBB85_40
; %bb.39:                               ;   in Loop: Header=BB85_30 Depth=1
	v_cmp_gt_i32_e32 vcc_lo, s11, v28
	v_and_b32_e32 v49, 0xffff0000, v4
	v_cmp_gt_i32_e64 s1, s11, v27
	v_cndmask_b32_e32 v1, 0, v1, vcc_lo
	v_cmp_gt_i32_e32 vcc_lo, s11, v33
	v_cndmask_b32_e64 v2, 0, v2, s1
	v_cmp_gt_i32_e64 s1, s11, v26
	v_cndmask_b32_e32 v48, 0, v48, vcc_lo
	v_cmp_gt_i32_e32 vcc_lo, s11, v32
	v_cndmask_b32_e64 v47, 0, v47, s1
	v_cndmask_b32_sdwa v4, v18, v4, vcc_lo dst_sel:DWORD dst_unused:UNUSED_PAD src0_sel:DWORD src1_sel:WORD_0
	v_cmp_gt_i32_e32 vcc_lo, s11, v21
	v_cndmask_b32_e32 v49, 0, v49, vcc_lo
	v_cmp_gt_i32_e32 vcc_lo, s11, v25
	v_or_b32_e32 v4, v4, v49
	v_cndmask_b32_e32 v3, 0, v3, vcc_lo
	v_cmp_gt_i32_e32 vcc_lo, s11, v24
	v_cndmask_b32_e32 v46, 0, v46, vcc_lo
.LBB85_40:                              ;   in Loop: Header=BB85_30 Depth=1
	s_or_b32 exec_lo, exec_lo, s13
	v_lshlrev_b32_e32 v48, 16, v48
	v_lshlrev_b32_e32 v47, 16, v47
	;; [unrolled: 1-line block ×3, first 2 shown]
	v_and_or_b32 v1, 0xffff, v1, v48
	v_and_or_b32 v2, 0xffff, v2, v47
	;; [unrolled: 1-line block ×3, first 2 shown]
	;;#ASMSTART
	v_pk_mul_f16 v1, v35, v1;

	;;#ASMEND
	;;#ASMSTART
	v_pk_mul_f16 v2, v34, v2;

	;;#ASMEND
	;; [unrolled: 4-line block ×4, first 2 shown]
	;;#ASMSTART
	v_pk_add_f16 v1, v1, v2;

	;;#ASMEND
	;;#ASMSTART
	v_pk_add_f16 v1, v1, v3;

	;;#ASMEND
	;; [unrolled: 4-line block ×3, first 2 shown]
	v_and_b32_e32 v2, 0xffff, v1
	v_lshrrev_b32_e32 v1, 16, v1
	;;#ASMSTART
	v_cvt_f32_f16 v46, v2;
	;;#ASMEND
	;;#ASMSTART
	v_cvt_f32_f16 v47, v1;
	;;#ASMEND
	global_load_dwordx4 v[1:4], v[7:8], off offset:512
	s_waitcnt vmcnt(0)
	v_lshrrev_b32_e32 v50, 16, v1
	v_lshrrev_b32_e32 v49, 16, v2
	;; [unrolled: 1-line block ×3, first 2 shown]
	s_and_saveexec_b32 s13, s0
	s_cbranch_execz .LBB85_42
; %bb.41:                               ;   in Loop: Header=BB85_30 Depth=1
	v_cmp_gt_i32_e32 vcc_lo, s11, v28
	v_and_b32_e32 v51, 0xffff0000, v4
	v_cmp_gt_i32_e64 s1, s11, v27
	v_cndmask_b32_e32 v1, 0, v1, vcc_lo
	v_cmp_gt_i32_e32 vcc_lo, s11, v33
	v_cndmask_b32_e64 v2, 0, v2, s1
	v_cmp_gt_i32_e64 s1, s11, v26
	v_cndmask_b32_e32 v50, 0, v50, vcc_lo
	v_cmp_gt_i32_e32 vcc_lo, s11, v32
	v_cndmask_b32_e64 v49, 0, v49, s1
	v_cndmask_b32_sdwa v4, v18, v4, vcc_lo dst_sel:DWORD dst_unused:UNUSED_PAD src0_sel:DWORD src1_sel:WORD_0
	v_cmp_gt_i32_e32 vcc_lo, s11, v21
	v_cndmask_b32_e32 v51, 0, v51, vcc_lo
	v_cmp_gt_i32_e32 vcc_lo, s11, v25
	v_or_b32_e32 v4, v4, v51
	v_cndmask_b32_e32 v3, 0, v3, vcc_lo
	v_cmp_gt_i32_e32 vcc_lo, s11, v24
	v_cndmask_b32_e32 v48, 0, v48, vcc_lo
.LBB85_42:                              ;   in Loop: Header=BB85_30 Depth=1
	s_or_b32 exec_lo, exec_lo, s13
	v_lshlrev_b32_e32 v50, 16, v50
	v_lshlrev_b32_e32 v49, 16, v49
	;; [unrolled: 1-line block ×3, first 2 shown]
	v_and_or_b32 v1, 0xffff, v1, v50
	v_and_or_b32 v2, 0xffff, v2, v49
	;; [unrolled: 1-line block ×3, first 2 shown]
	;;#ASMSTART
	v_pk_mul_f16 v1, v35, v1;

	;;#ASMEND
	;;#ASMSTART
	v_pk_mul_f16 v2, v34, v2;

	;;#ASMEND
	;; [unrolled: 4-line block ×4, first 2 shown]
	;;#ASMSTART
	v_pk_add_f16 v1, v1, v2;

	;;#ASMEND
	;;#ASMSTART
	v_pk_add_f16 v1, v1, v3;

	;;#ASMEND
	;;#ASMSTART
	v_pk_add_f16 v1, v1, v4;

	;;#ASMEND
	v_and_b32_e32 v2, 0xffff, v1
	v_lshrrev_b32_e32 v1, 16, v1
	;;#ASMSTART
	v_cvt_f32_f16 v49, v2;
	;;#ASMEND
	;;#ASMSTART
	v_cvt_f32_f16 v50, v1;
	;;#ASMEND
	global_load_dwordx4 v[1:4], v[7:8], off offset:1024
	s_waitcnt vmcnt(0)
	v_lshrrev_b32_e32 v48, 16, v1
	v_lshrrev_b32_e32 v8, 16, v2
	;; [unrolled: 1-line block ×3, first 2 shown]
	s_and_saveexec_b32 s1, s0
	s_cbranch_execz .LBB85_29
; %bb.43:                               ;   in Loop: Header=BB85_30 Depth=1
	v_cmp_gt_i32_e32 vcc_lo, s11, v28
	v_cmp_gt_i32_e64 s0, s11, v27
	v_cndmask_b32_e32 v1, 0, v1, vcc_lo
	v_cmp_gt_i32_e32 vcc_lo, s11, v33
	v_cndmask_b32_e64 v2, 0, v2, s0
	v_cmp_gt_i32_e64 s0, s11, v26
	v_and_b32_e32 v26, 0xffff0000, v4
	v_cndmask_b32_e32 v48, 0, v48, vcc_lo
	v_cmp_gt_i32_e32 vcc_lo, s11, v32
	v_cndmask_b32_e64 v8, 0, v8, s0
	v_cndmask_b32_sdwa v4, v18, v4, vcc_lo dst_sel:DWORD dst_unused:UNUSED_PAD src0_sel:DWORD src1_sel:WORD_0
	v_cmp_gt_i32_e32 vcc_lo, s11, v21
	v_cndmask_b32_e32 v26, 0, v26, vcc_lo
	v_cmp_gt_i32_e32 vcc_lo, s11, v25
	v_or_b32_e32 v4, v4, v26
	v_cndmask_b32_e32 v3, 0, v3, vcc_lo
	v_cmp_gt_i32_e32 vcc_lo, s11, v24
	v_cndmask_b32_e32 v7, 0, v7, vcc_lo
	s_branch .LBB85_29
.LBB85_44:
	s_or_b32 exec_lo, exec_lo, s4
.LBB85_45:
	s_or_b32 exec_lo, exec_lo, s2
	ds_bpermute_b32 v1, v10, v16
	ds_bpermute_b32 v2, v10, v17
	;; [unrolled: 1-line block ×7, first 2 shown]
	v_lshrrev_b32_e32 v8, 1, v9
	v_mul_u32_u24_e32 v10, 0x1c0, v31
	v_and_b32_e32 v21, 0x3c1, v0
	s_mov_b32 s0, exec_lo
	s_waitcnt lgkmcnt(0)
	v_lshl_add_u32 v9, v8, 2, 0x100
	s_barrier
	buffer_gl0_inv
	v_add_f32_e32 v7, v16, v1
	v_add_f32_e32 v6, v17, v2
	;; [unrolled: 1-line block ×7, first 2 shown]
	v_cmpx_eq_u32_e32 64, v21
	s_cbranch_execz .LBB85_47
; %bb.46:
	v_add_nc_u32_e32 v11, v9, v10
	v_add_nc_u32_e32 v12, 0xfffffc80, v11
	;; [unrolled: 1-line block ×8, first 2 shown]
	ds_write_b32 v12, v7
	ds_write_b32 v13, v6
	;; [unrolled: 1-line block ×7, first 2 shown]
.LBB85_47:
	s_or_b32 exec_lo, exec_lo, s0
	v_lshlrev_b32_e32 v8, 2, v8
	s_mov_b32 s1, exec_lo
	v_cmp_eq_u32_e32 vcc_lo, 0, v30
	s_waitcnt lgkmcnt(0)
	s_barrier
	v_add3_u32 v8, 0x100, v10, v8
	buffer_gl0_inv
	v_cmpx_gt_u32_e32 64, v0
	s_cbranch_execz .LBB85_57
; %bb.48:
	s_and_saveexec_b32 s0, vcc_lo
	s_cbranch_execnz .LBB85_72
; %bb.49:
	s_or_b32 exec_lo, exec_lo, s0
	s_and_saveexec_b32 s0, vcc_lo
	s_cbranch_execnz .LBB85_73
.LBB85_50:
	s_or_b32 exec_lo, exec_lo, s0
	s_and_saveexec_b32 s0, vcc_lo
	s_cbranch_execnz .LBB85_74
.LBB85_51:
	s_or_b32 exec_lo, exec_lo, s0
	s_and_saveexec_b32 s0, vcc_lo
	s_cbranch_execnz .LBB85_75
.LBB85_52:
	s_or_b32 exec_lo, exec_lo, s0
	s_and_saveexec_b32 s0, vcc_lo
	s_cbranch_execnz .LBB85_76
.LBB85_53:
	s_or_b32 exec_lo, exec_lo, s0
	s_and_saveexec_b32 s0, vcc_lo
	s_cbranch_execnz .LBB85_77
.LBB85_54:
	s_or_b32 exec_lo, exec_lo, s0
	s_and_saveexec_b32 s0, vcc_lo
	s_cbranch_execz .LBB85_56
.LBB85_55:
	ds_read_b32 v10, v8 offset:384
	s_waitcnt lgkmcnt(0)
	v_add_f32_e32 v1, v1, v10
.LBB85_56:
	s_or_b32 exec_lo, exec_lo, s0
.LBB85_57:
	s_or_b32 exec_lo, exec_lo, s1
	v_and_b32_e32 v10, 0x3e1, v0
	s_mov_b32 s1, exec_lo
	s_barrier
	buffer_gl0_inv
	v_cmpx_eq_u32_e32 32, v10
	s_cbranch_execz .LBB85_59
; %bb.58:
	ds_write2_b32 v9, v7, v6 offset1:16
	ds_write2_b32 v9, v5, v4 offset0:32 offset1:48
	ds_write2_b32 v9, v3, v2 offset0:64 offset1:80
	ds_write_b32 v9, v1 offset:384
.LBB85_59:
	s_or_b32 exec_lo, exec_lo, s1
	s_mov_b32 s1, exec_lo
	s_waitcnt lgkmcnt(0)
	s_barrier
	buffer_gl0_inv
	v_cmpx_gt_u32_e32 32, v0
	s_cbranch_execz .LBB85_69
; %bb.60:
	s_and_saveexec_b32 s0, vcc_lo
	s_cbranch_execnz .LBB85_78
; %bb.61:
	s_or_b32 exec_lo, exec_lo, s0
	s_and_saveexec_b32 s0, vcc_lo
	s_cbranch_execnz .LBB85_79
.LBB85_62:
	s_or_b32 exec_lo, exec_lo, s0
	s_and_saveexec_b32 s0, vcc_lo
	s_cbranch_execnz .LBB85_80
.LBB85_63:
	s_or_b32 exec_lo, exec_lo, s0
	s_and_saveexec_b32 s0, vcc_lo
	s_cbranch_execnz .LBB85_81
.LBB85_64:
	s_or_b32 exec_lo, exec_lo, s0
	s_and_saveexec_b32 s0, vcc_lo
	s_cbranch_execnz .LBB85_82
.LBB85_65:
	s_or_b32 exec_lo, exec_lo, s0
	s_and_saveexec_b32 s0, vcc_lo
	s_cbranch_execnz .LBB85_83
.LBB85_66:
	s_or_b32 exec_lo, exec_lo, s0
	s_and_saveexec_b32 s0, vcc_lo
	s_cbranch_execz .LBB85_68
.LBB85_67:
	ds_read_b32 v0, v8 offset:384
	s_waitcnt lgkmcnt(0)
	v_add_f32_e32 v1, v1, v0
.LBB85_68:
	s_or_b32 exec_lo, exec_lo, s0
.LBB85_69:
	s_or_b32 exec_lo, exec_lo, s1
	s_barrier
	buffer_gl0_inv
	s_mov_b32 s0, exec_lo
	v_cmpx_eq_u32_e32 0, v10
	s_cbranch_execz .LBB85_71
; %bb.70:
	s_mul_i32 s0, s10, s7
	s_mul_i32 s2, s7, s6
	;; [unrolled: 1-line block ×3, first 2 shown]
	v_lshlrev_b32_e32 v0, 1, v29
	s_mulk_i32 s0, 0x70
	;;#ASMSTART
	v_cvt_f16_f32 v7, v7;

	;;#ASMEND
	s_ashr_i32 s1, s0, 31
	s_lshl_b64 s[0:1], s[0:1], 1
	s_add_u32 s4, s16, s0
	s_addc_u32 s5, s17, s1
	s_ashr_i32 s3, s2, 31
	s_lshl_b64 s[0:1], s[2:3], 1
	s_mul_i32 s2, s8, 0x70
	s_add_u32 s4, s4, s0
	s_addc_u32 s5, s5, s1
	s_ashr_i32 s3, s2, 31
	s_lshl_b64 s[0:1], s[2:3], 1
	s_add_u32 s0, s4, s0
	s_addc_u32 s1, s5, s1
	global_store_short v0, v7, s[0:1]
	;;#ASMSTART
	v_cvt_f16_f32 v6, v6;

	;;#ASMEND
	global_store_short v0, v6, s[0:1] offset:32
	;;#ASMSTART
	v_cvt_f16_f32 v5, v5;

	;;#ASMEND
	global_store_short v0, v5, s[0:1] offset:64
	;; [unrolled: 5-line block ×6, first 2 shown]
.LBB85_71:
	s_endpgm
.LBB85_72:
	ds_read_b32 v10, v8
	s_waitcnt lgkmcnt(0)
	v_add_f32_e32 v7, v7, v10
	s_or_b32 exec_lo, exec_lo, s0
	s_and_saveexec_b32 s0, vcc_lo
	s_cbranch_execz .LBB85_50
.LBB85_73:
	ds_read_b32 v10, v8 offset:64
	s_waitcnt lgkmcnt(0)
	v_add_f32_e32 v6, v6, v10
	s_or_b32 exec_lo, exec_lo, s0
	s_and_saveexec_b32 s0, vcc_lo
	s_cbranch_execz .LBB85_51
.LBB85_74:
	ds_read_b32 v10, v8 offset:128
	s_waitcnt lgkmcnt(0)
	v_add_f32_e32 v5, v5, v10
	s_or_b32 exec_lo, exec_lo, s0
	s_and_saveexec_b32 s0, vcc_lo
	s_cbranch_execz .LBB85_52
.LBB85_75:
	ds_read_b32 v10, v8 offset:192
	s_waitcnt lgkmcnt(0)
	v_add_f32_e32 v4, v4, v10
	s_or_b32 exec_lo, exec_lo, s0
	s_and_saveexec_b32 s0, vcc_lo
	s_cbranch_execz .LBB85_53
.LBB85_76:
	ds_read_b32 v10, v8 offset:256
	s_waitcnt lgkmcnt(0)
	v_add_f32_e32 v3, v3, v10
	s_or_b32 exec_lo, exec_lo, s0
	s_and_saveexec_b32 s0, vcc_lo
	s_cbranch_execz .LBB85_54
.LBB85_77:
	ds_read_b32 v10, v8 offset:320
	s_waitcnt lgkmcnt(0)
	v_add_f32_e32 v2, v2, v10
	s_or_b32 exec_lo, exec_lo, s0
	s_and_saveexec_b32 s0, vcc_lo
	s_cbranch_execnz .LBB85_55
	s_branch .LBB85_56
.LBB85_78:
	ds_read_b32 v0, v8
	s_waitcnt lgkmcnt(0)
	v_add_f32_e32 v7, v7, v0
	s_or_b32 exec_lo, exec_lo, s0
	s_and_saveexec_b32 s0, vcc_lo
	s_cbranch_execz .LBB85_62
.LBB85_79:
	ds_read_b32 v0, v8 offset:64
	s_waitcnt lgkmcnt(0)
	v_add_f32_e32 v6, v6, v0
	s_or_b32 exec_lo, exec_lo, s0
	s_and_saveexec_b32 s0, vcc_lo
	s_cbranch_execz .LBB85_63
.LBB85_80:
	ds_read_b32 v0, v8 offset:128
	s_waitcnt lgkmcnt(0)
	v_add_f32_e32 v5, v5, v0
	s_or_b32 exec_lo, exec_lo, s0
	s_and_saveexec_b32 s0, vcc_lo
	s_cbranch_execz .LBB85_64
.LBB85_81:
	ds_read_b32 v0, v8 offset:192
	s_waitcnt lgkmcnt(0)
	v_add_f32_e32 v4, v4, v0
	s_or_b32 exec_lo, exec_lo, s0
	s_and_saveexec_b32 s0, vcc_lo
	s_cbranch_execz .LBB85_65
.LBB85_82:
	ds_read_b32 v0, v8 offset:256
	s_waitcnt lgkmcnt(0)
	v_add_f32_e32 v3, v3, v0
	s_or_b32 exec_lo, exec_lo, s0
	s_and_saveexec_b32 s0, vcc_lo
	s_cbranch_execz .LBB85_66
.LBB85_83:
	ds_read_b32 v0, v8 offset:320
	s_waitcnt lgkmcnt(0)
	v_add_f32_e32 v2, v2, v0
	s_or_b32 exec_lo, exec_lo, s0
	s_and_saveexec_b32 s0, vcc_lo
	s_cbranch_execnz .LBB85_67
	s_branch .LBB85_68
	.section	.rodata,"a",@progbits
	.p2align	6, 0x0
	.amdhsa_kernel _ZN4vllm25paged_attention_v1_kernelIttLi112ELi16ELi128ELNS_18Fp8KVCacheDataTypeE0ELb0EEEvPT_PKS2_PKT0_S8_ifPKiSA_iPKfiiiSC_SC_iiiii
		.amdhsa_group_segment_fixed_size 256
		.amdhsa_private_segment_fixed_size 0
		.amdhsa_kernarg_size 384
		.amdhsa_user_sgpr_count 6
		.amdhsa_user_sgpr_private_segment_buffer 1
		.amdhsa_user_sgpr_dispatch_ptr 0
		.amdhsa_user_sgpr_queue_ptr 0
		.amdhsa_user_sgpr_kernarg_segment_ptr 1
		.amdhsa_user_sgpr_dispatch_id 0
		.amdhsa_user_sgpr_flat_scratch_init 0
		.amdhsa_user_sgpr_private_segment_size 0
		.amdhsa_wavefront_size32 1
		.amdhsa_uses_dynamic_stack 0
		.amdhsa_system_sgpr_private_segment_wavefront_offset 0
		.amdhsa_system_sgpr_workgroup_id_x 1
		.amdhsa_system_sgpr_workgroup_id_y 1
		.amdhsa_system_sgpr_workgroup_id_z 1
		.amdhsa_system_sgpr_workgroup_info 0
		.amdhsa_system_vgpr_workitem_id 0
		.amdhsa_next_free_vgpr 91
		.amdhsa_next_free_sgpr 27
		.amdhsa_reserve_vcc 1
		.amdhsa_reserve_flat_scratch 0
		.amdhsa_float_round_mode_32 0
		.amdhsa_float_round_mode_16_64 0
		.amdhsa_float_denorm_mode_32 3
		.amdhsa_float_denorm_mode_16_64 3
		.amdhsa_dx10_clamp 1
		.amdhsa_ieee_mode 1
		.amdhsa_fp16_overflow 0
		.amdhsa_workgroup_processor_mode 1
		.amdhsa_memory_ordered 1
		.amdhsa_forward_progress 1
		.amdhsa_shared_vgpr_count 0
		.amdhsa_exception_fp_ieee_invalid_op 0
		.amdhsa_exception_fp_denorm_src 0
		.amdhsa_exception_fp_ieee_div_zero 0
		.amdhsa_exception_fp_ieee_overflow 0
		.amdhsa_exception_fp_ieee_underflow 0
		.amdhsa_exception_fp_ieee_inexact 0
		.amdhsa_exception_int_div_zero 0
	.end_amdhsa_kernel
	.section	.text._ZN4vllm25paged_attention_v1_kernelIttLi112ELi16ELi128ELNS_18Fp8KVCacheDataTypeE0ELb0EEEvPT_PKS2_PKT0_S8_ifPKiSA_iPKfiiiSC_SC_iiiii,"axG",@progbits,_ZN4vllm25paged_attention_v1_kernelIttLi112ELi16ELi128ELNS_18Fp8KVCacheDataTypeE0ELb0EEEvPT_PKS2_PKT0_S8_ifPKiSA_iPKfiiiSC_SC_iiiii,comdat
.Lfunc_end85:
	.size	_ZN4vllm25paged_attention_v1_kernelIttLi112ELi16ELi128ELNS_18Fp8KVCacheDataTypeE0ELb0EEEvPT_PKS2_PKT0_S8_ifPKiSA_iPKfiiiSC_SC_iiiii, .Lfunc_end85-_ZN4vllm25paged_attention_v1_kernelIttLi112ELi16ELi128ELNS_18Fp8KVCacheDataTypeE0ELb0EEEvPT_PKS2_PKT0_S8_ifPKiSA_iPKfiiiSC_SC_iiiii
                                        ; -- End function
	.set _ZN4vllm25paged_attention_v1_kernelIttLi112ELi16ELi128ELNS_18Fp8KVCacheDataTypeE0ELb0EEEvPT_PKS2_PKT0_S8_ifPKiSA_iPKfiiiSC_SC_iiiii.num_vgpr, 91
	.set _ZN4vllm25paged_attention_v1_kernelIttLi112ELi16ELi128ELNS_18Fp8KVCacheDataTypeE0ELb0EEEvPT_PKS2_PKT0_S8_ifPKiSA_iPKfiiiSC_SC_iiiii.num_agpr, 0
	.set _ZN4vllm25paged_attention_v1_kernelIttLi112ELi16ELi128ELNS_18Fp8KVCacheDataTypeE0ELb0EEEvPT_PKS2_PKT0_S8_ifPKiSA_iPKfiiiSC_SC_iiiii.numbered_sgpr, 27
	.set _ZN4vllm25paged_attention_v1_kernelIttLi112ELi16ELi128ELNS_18Fp8KVCacheDataTypeE0ELb0EEEvPT_PKS2_PKT0_S8_ifPKiSA_iPKfiiiSC_SC_iiiii.num_named_barrier, 0
	.set _ZN4vllm25paged_attention_v1_kernelIttLi112ELi16ELi128ELNS_18Fp8KVCacheDataTypeE0ELb0EEEvPT_PKS2_PKT0_S8_ifPKiSA_iPKfiiiSC_SC_iiiii.private_seg_size, 0
	.set _ZN4vllm25paged_attention_v1_kernelIttLi112ELi16ELi128ELNS_18Fp8KVCacheDataTypeE0ELb0EEEvPT_PKS2_PKT0_S8_ifPKiSA_iPKfiiiSC_SC_iiiii.uses_vcc, 1
	.set _ZN4vllm25paged_attention_v1_kernelIttLi112ELi16ELi128ELNS_18Fp8KVCacheDataTypeE0ELb0EEEvPT_PKS2_PKT0_S8_ifPKiSA_iPKfiiiSC_SC_iiiii.uses_flat_scratch, 0
	.set _ZN4vllm25paged_attention_v1_kernelIttLi112ELi16ELi128ELNS_18Fp8KVCacheDataTypeE0ELb0EEEvPT_PKS2_PKT0_S8_ifPKiSA_iPKfiiiSC_SC_iiiii.has_dyn_sized_stack, 0
	.set _ZN4vllm25paged_attention_v1_kernelIttLi112ELi16ELi128ELNS_18Fp8KVCacheDataTypeE0ELb0EEEvPT_PKS2_PKT0_S8_ifPKiSA_iPKfiiiSC_SC_iiiii.has_recursion, 0
	.set _ZN4vllm25paged_attention_v1_kernelIttLi112ELi16ELi128ELNS_18Fp8KVCacheDataTypeE0ELb0EEEvPT_PKS2_PKT0_S8_ifPKiSA_iPKfiiiSC_SC_iiiii.has_indirect_call, 0
	.section	.AMDGPU.csdata,"",@progbits
; Kernel info:
; codeLenInByte = 9968
; TotalNumSgprs: 29
; NumVgprs: 91
; ScratchSize: 0
; MemoryBound: 0
; FloatMode: 240
; IeeeMode: 1
; LDSByteSize: 256 bytes/workgroup (compile time only)
; SGPRBlocks: 0
; VGPRBlocks: 11
; NumSGPRsForWavesPerEU: 29
; NumVGPRsForWavesPerEU: 91
; Occupancy: 10
; WaveLimiterHint : 1
; COMPUTE_PGM_RSRC2:SCRATCH_EN: 0
; COMPUTE_PGM_RSRC2:USER_SGPR: 6
; COMPUTE_PGM_RSRC2:TRAP_HANDLER: 0
; COMPUTE_PGM_RSRC2:TGID_X_EN: 1
; COMPUTE_PGM_RSRC2:TGID_Y_EN: 1
; COMPUTE_PGM_RSRC2:TGID_Z_EN: 1
; COMPUTE_PGM_RSRC2:TIDIG_COMP_CNT: 0
	.section	.text._ZN4vllm25paged_attention_v1_kernelIttLi120ELi16ELi128ELNS_18Fp8KVCacheDataTypeE0ELb0EEEvPT_PKS2_PKT0_S8_ifPKiSA_iPKfiiiSC_SC_iiiii,"axG",@progbits,_ZN4vllm25paged_attention_v1_kernelIttLi120ELi16ELi128ELNS_18Fp8KVCacheDataTypeE0ELb0EEEvPT_PKS2_PKT0_S8_ifPKiSA_iPKfiiiSC_SC_iiiii,comdat
	.protected	_ZN4vllm25paged_attention_v1_kernelIttLi120ELi16ELi128ELNS_18Fp8KVCacheDataTypeE0ELb0EEEvPT_PKS2_PKT0_S8_ifPKiSA_iPKfiiiSC_SC_iiiii ; -- Begin function _ZN4vllm25paged_attention_v1_kernelIttLi120ELi16ELi128ELNS_18Fp8KVCacheDataTypeE0ELb0EEEvPT_PKS2_PKT0_S8_ifPKiSA_iPKfiiiSC_SC_iiiii
	.globl	_ZN4vllm25paged_attention_v1_kernelIttLi120ELi16ELi128ELNS_18Fp8KVCacheDataTypeE0ELb0EEEvPT_PKS2_PKT0_S8_ifPKiSA_iPKfiiiSC_SC_iiiii
	.p2align	8
	.type	_ZN4vllm25paged_attention_v1_kernelIttLi120ELi16ELi128ELNS_18Fp8KVCacheDataTypeE0ELb0EEEvPT_PKS2_PKT0_S8_ifPKiSA_iPKfiiiSC_SC_iiiii,@function
_ZN4vllm25paged_attention_v1_kernelIttLi120ELi16ELi128ELNS_18Fp8KVCacheDataTypeE0ELb0EEEvPT_PKS2_PKT0_S8_ifPKiSA_iPKfiiiSC_SC_iiiii: ; @_ZN4vllm25paged_attention_v1_kernelIttLi120ELi16ELi128ELNS_18Fp8KVCacheDataTypeE0ELb0EEEvPT_PKS2_PKT0_S8_ifPKiSA_iPKfiiiSC_SC_iiiii
; %bb.0:
	s_clause 0x2
	s_load_dword s9, s[4:5], 0x80
	s_load_dwordx2 s[0:1], s[4:5], 0x30
	s_load_dwordx2 s[24:25], s[4:5], 0x20
	s_mov_b32 s10, s7
	s_ashr_i32 s11, s7, 31
	s_lshl_b64 s[2:3], s[10:11], 2
	s_waitcnt lgkmcnt(0)
	s_add_u32 s0, s0, s2
	s_addc_u32 s1, s1, s3
	s_abs_i32 s2, s24
	s_abs_i32 s11, s9
	v_cvt_f32_u32_e32 v1, s2
	s_sub_i32 s7, 0, s2
	v_rcp_iflag_f32_e32 v1, v1
	v_mul_f32_e32 v1, 0x4f7ffffe, v1
	v_cvt_u32_f32_e32 v1, v1
	v_readfirstlane_b32 s3, v1
	s_mul_i32 s7, s7, s3
	s_mul_hi_u32 s7, s3, s7
	s_add_i32 s3, s3, s7
	s_xor_b32 s7, s9, s24
	s_mul_hi_u32 s3, s11, s3
	s_ashr_i32 s7, s7, 31
	s_mul_i32 s12, s3, s2
	s_mov_b32 s24, 0
	s_sub_i32 s11, s11, s12
	s_add_i32 s12, s3, 1
	s_sub_i32 s13, s11, s2
	s_cmp_ge_u32 s11, s2
	s_cselect_b32 s3, s12, s3
	s_cselect_b32 s11, s13, s11
	s_add_i32 s12, s3, 1
	s_cmp_ge_u32 s11, s2
	s_cselect_b32 s2, s12, s3
	s_abs_i32 s17, s6
	s_xor_b32 s2, s2, s7
	s_sub_i32 s18, s2, s7
	s_load_dwordx2 s[2:3], s[4:5], 0x40
	s_abs_i32 s16, s18
	v_cvt_f32_u32_e32 v1, s16
	s_sub_i32 s11, 0, s16
	v_rcp_iflag_f32_e32 v1, v1
	v_mul_f32_e32 v1, 0x4f7ffffe, v1
	v_cvt_u32_f32_e32 v1, v1
	v_readfirstlane_b32 s7, v1
	s_mul_i32 s11, s11, s7
	s_mul_hi_u32 s11, s7, s11
	s_add_i32 s7, s7, s11
	s_waitcnt lgkmcnt(0)
	s_cmp_eq_u64 s[2:3], 0
	s_mul_hi_u32 s20, s17, s7
	s_cbranch_scc1 .LBB86_2
; %bb.1:
	s_ashr_i32 s7, s6, 31
	s_lshl_b64 s[12:13], s[6:7], 2
	s_add_u32 s2, s2, s12
	s_addc_u32 s3, s3, s13
	s_load_dword s24, s[2:3], 0x0
.LBB86_2:
	s_load_dword s11, s[0:1], 0x0
	s_load_dwordx4 s[12:15], s[4:5], 0x48
	v_lshrrev_b32_e32 v31, 1, v0
	v_and_b32_e32 v32, 1, v0
	v_lshlrev_b32_e32 v34, 3, v0
	s_ashr_i32 s0, s6, 31
	s_ashr_i32 s1, s18, 31
	s_mulk_i32 s6, 0x78
	s_mov_b32 s2, exec_lo
	v_cmpx_gt_u32_e32 30, v0
	s_cbranch_execz .LBB86_4
; %bb.3:
	s_load_dwordx2 s[18:19], s[4:5], 0x8
	s_waitcnt lgkmcnt(0)
	s_mul_i32 s22, s12, s10
	v_lshlrev_b32_e32 v3, 3, v31
	s_ashr_i32 s23, s22, 31
	s_lshl_b64 s[22:23], s[22:23], 1
	v_mad_u32_u24 v3, 0x78, v32, v3
	s_add_u32 s3, s18, s22
	s_addc_u32 s12, s19, s23
	s_ashr_i32 s7, s6, 31
	s_lshl_b64 s[18:19], s[6:7], 1
	s_add_u32 s18, s3, s18
	s_addc_u32 s19, s12, s19
	global_load_dwordx2 v[1:2], v34, s[18:19]
	s_waitcnt vmcnt(0)
	ds_write_b64 v3, v[1:2]
.LBB86_4:
	s_or_b32 exec_lo, exec_lo, s2
	s_waitcnt lgkmcnt(0)
	s_add_i32 s2, s11, 15
	s_clause 0x1
	s_load_dwordx2 s[18:19], s[4:5], 0x28
	s_load_dword s7, s[4:5], 0x38
	s_ashr_i32 s3, s2, 31
	s_xor_b32 s0, s0, s1
	s_lshr_b32 s3, s3, 28
	s_mul_i32 s1, s20, s16
	s_add_i32 s2, s2, s3
	s_sub_i32 s1, s17, s1
	s_ashr_i32 s12, s2, 4
	s_add_i32 s2, s20, 1
	s_sub_i32 s3, s1, s16
	s_cmp_ge_u32 s1, s16
	v_lshrrev_b32_e32 v33, 5, v0
	s_cselect_b32 s2, s2, s20
	s_cselect_b32 s1, s3, s1
	s_add_i32 s3, s2, 1
	s_cmp_ge_u32 s1, s16
	v_mbcnt_lo_u32_b32 v36, -1, 0
	s_cselect_b32 s1, s3, s2
	s_waitcnt lgkmcnt(0)
	s_xor_b32 s1, s1, s0
	s_mul_i32 s20, s7, s10
	s_sub_i32 s1, s1, s0
	v_cmp_le_i32_e64 s0, s12, v33
	s_ashr_i32 s21, s20, 31
	s_barrier
	buffer_gl0_inv
                                        ; implicit-def: $vgpr37
                                        ; implicit-def: $vgpr38
	s_and_saveexec_b32 s2, s0
	s_xor_b32 s2, exec_lo, s2
; %bb.5:
	v_mov_b32_e32 v37, 0
	v_mbcnt_lo_u32_b32 v36, -1, 0
	v_mov_b32_e32 v38, 32
; %bb.6:
	s_or_saveexec_b32 s26, s2
	s_clause 0x2
	s_load_dwordx2 s[16:17], s[4:5], 0x0
	s_load_dwordx2 s[22:23], s[4:5], 0x18
	s_load_dword s7, s[4:5], 0x88
	v_mov_b32_e32 v39, 0xff7fffff
	v_lshrrev_b32_e32 v35, 3, v0
	s_mul_i32 s14, s1, s14
	s_xor_b32 exec_lo, exec_lo, s26
	s_cbranch_execz .LBB86_12
; %bb.7:
	s_load_dwordx2 s[2:3], s[4:5], 0x10
	v_bfe_u32 v1, v0, 1, 4
	s_ashr_i32 s15, s14, 31
	v_and_b32_e32 v3, 8, v34
	s_lshl_b64 s[4:5], s[14:15], 1
	v_and_b32_e32 v4, 0x7c, v35
	v_lshlrev_b32_e32 v2, 2, v1
	v_lshlrev_b32_e32 v5, 4, v1
	v_lshl_or_b32 v41, v33, 4, v1
	v_mov_b32_e32 v37, 0
	v_mul_u32_u24_e32 v40, 0x78, v32
	v_lshl_or_b32 v2, v33, 6, v2
	v_cmp_neq_f32_e64 s1, s24, 0
	v_mov_b32_e32 v39, 0xff7fffff
	v_xor_b32_e32 v45, 1, v36
	v_mov_b32_e32 v38, 32
	v_add_nc_u32_e32 v42, 0x110, v2
	v_mov_b32_e32 v46, v33
	v_cmp_eq_u32_e32 vcc_lo, 0, v32
	s_waitcnt lgkmcnt(0)
	s_add_u32 s15, s2, s4
	s_addc_u32 s5, s3, s5
	v_add_co_u32 v1, s15, s15, v5
	v_add_co_ci_u32_e64 v2, null, s5, 0, s15
	s_lshl_b64 s[2:3], s[20:21], 2
	s_sub_i32 s4, 1, s11
	s_add_u32 s5, s18, s2
	v_add_co_u32 v43, s2, v1, v3
	s_addc_u32 s3, s19, s3
	v_add_co_ci_u32_e64 v44, null, 0, v2, s2
	v_add_co_u32 v1, s2, s5, v4
	v_add_co_ci_u32_e64 v2, null, s3, 0, s2
	s_mov_b32 s15, s13
	s_mov_b32 s5, 0
	s_branch .LBB86_9
.LBB86_8:                               ;   in Loop: Header=BB86_9 Depth=1
	s_or_b32 exec_lo, exec_lo, s3
	v_add_nc_u32_e32 v46, 4, v46
	v_add_co_u32 v1, s3, v1, 16
	v_add_nc_u32_e32 v41, 64, v41
	v_add_nc_u32_e32 v42, 0x100, v42
	v_cmp_le_i32_e64 s2, s12, v46
	v_add_co_ci_u32_e64 v2, null, 0, v2, s3
	s_or_b32 s5, s2, s5
	s_andn2_b32 exec_lo, exec_lo, s5
	s_cbranch_execz .LBB86_11
.LBB86_9:                               ; =>This Inner Loop Header: Depth=1
	global_load_dword v3, v[1:2], off
	s_waitcnt vmcnt(0) lgkmcnt(0)
	v_mad_i64_i32 v[3:4], null, v3, s15, 0
	v_lshlrev_b64 v[3:4], 1, v[3:4]
	v_add_co_u32 v3, s2, v43, v3
	v_add_co_ci_u32_e64 v4, null, v44, v4, s2
	s_clause 0x7
	global_load_dwordx2 v[29:30], v[3:4], off
	global_load_dwordx2 v[55:56], v[3:4], off offset:256
	global_load_dwordx2 v[27:28], v[3:4], off offset:512
	;; [unrolled: 1-line block ×7, first 2 shown]
	v_add_co_u32 v3, s2, 0x800, v3
	v_add_co_ci_u32_e64 v4, null, 0, v4, s2
	v_cmp_gt_i32_e64 s2, 32, v45
	s_clause 0x1
	global_load_dwordx2 v[15:16], v[3:4], off
	global_load_dwordx2 v[11:12], v[3:4], off offset:256
	ds_read_b64 v[5:6], v40
	s_waitcnt lgkmcnt(0)
	v_and_b32_e32 v47, 0xffff, v5
	v_lshrrev_b32_e32 v48, 16, v5
	v_lshrrev_b32_e32 v49, 16, v6
	v_and_b32_e32 v50, 0xffff, v6
	s_clause 0x4
	global_load_dwordx2 v[13:14], v[3:4], off offset:512
	global_load_dwordx2 v[9:10], v[3:4], off offset:768
	;; [unrolled: 1-line block ×5, first 2 shown]
	;;#ASMSTART
	v_cvt_f32_f16 v52, v47;
	;;#ASMEND
	;;#ASMSTART
	v_cvt_f32_f16 v51, v48;
	;;#ASMEND
	s_waitcnt vmcnt(14)
	v_and_b32_e32 v47, 0xffff, v29
	v_lshrrev_b32_e32 v29, 16, v29
	v_lshrrev_b32_e32 v57, 16, v30
	v_and_b32_e32 v30, 0xffff, v30
	;;#ASMSTART
	v_cvt_f32_f16 v54, v47;
	;;#ASMEND
	;;#ASMSTART
	v_cvt_f32_f16 v53, v29;
	;;#ASMEND
	;;#ASMSTART
	v_cvt_f32_f16 v48, v50;
	;;#ASMEND
	;;#ASMSTART
	v_cvt_f32_f16 v47, v49;
	;;#ASMEND
	;;#ASMSTART
	v_cvt_f32_f16 v50, v30;
	;;#ASMEND
	;;#ASMSTART
	v_cvt_f32_f16 v49, v57;
	;;#ASMEND
	ds_read_b64 v[29:30], v40 offset:8
	s_waitcnt vmcnt(13)
	v_lshrrev_b32_e32 v57, 16, v55
	v_and_b32_e32 v55, 0xffff, v55
	v_lshrrev_b32_e32 v60, 16, v56
	v_and_b32_e32 v61, 0xffff, v56
	s_waitcnt vmcnt(12)
	v_lshrrev_b32_e32 v64, 16, v27
	v_lshrrev_b32_e32 v67, 16, v28
	v_and_b32_e32 v66, 0xffff, v28
	s_waitcnt vmcnt(11)
	v_lshrrev_b32_e32 v70, 16, v25
	v_and_b32_e32 v25, 0xffff, v25
	v_lshrrev_b32_e32 v74, 16, v26
	v_and_b32_e32 v26, 0xffff, v26
	s_waitcnt vmcnt(10)
	v_lshrrev_b32_e32 v76, 16, v23
	v_and_b32_e32 v23, 0xffff, v23
	v_lshrrev_b32_e32 v80, 16, v24
	v_and_b32_e32 v24, 0xffff, v24
	s_waitcnt vmcnt(9)
	v_lshrrev_b32_e32 v83, 16, v21
	v_lshrrev_b32_e32 v87, 16, v22
	v_and_b32_e32 v22, 0xffff, v22
	v_and_b32_e32 v21, 0xffff, v21
	s_waitcnt lgkmcnt(0)
	v_and_b32_e32 v58, 0xffff, v29
	v_lshrrev_b32_e32 v29, 16, v29
	v_and_b32_e32 v62, 0xffff, v30
	v_lshrrev_b32_e32 v63, 16, v30
	;;#ASMSTART
	v_cvt_f32_f16 v56, v58;
	;;#ASMEND
	;;#ASMSTART
	v_cvt_f32_f16 v30, v29;
	;;#ASMEND
	;;#ASMSTART
	v_cvt_f32_f16 v59, v55;
	;;#ASMEND
	;;#ASMSTART
	v_cvt_f32_f16 v57, v57;
	;;#ASMEND
	;;#ASMSTART
	v_cvt_f32_f16 v55, v62;
	;;#ASMEND
	;;#ASMSTART
	v_cvt_f32_f16 v29, v63;
	;;#ASMEND
	;;#ASMSTART
	v_cvt_f32_f16 v58, v61;
	;;#ASMEND
	;;#ASMSTART
	v_cvt_f32_f16 v60, v60;
	;;#ASMEND
	ds_read_b64 v[61:62], v40 offset:16
	v_and_b32_e32 v63, 0xffff, v27
	s_waitcnt vmcnt(8)
	v_lshrrev_b32_e32 v88, 16, v19
	v_mul_f32_e32 v55, v55, v58
	v_mul_f32_e32 v29, v29, v60
	s_waitcnt vmcnt(7)
	v_lshrrev_b32_e32 v60, 16, v18
	v_and_b32_e32 v18, 0xffff, v18
	s_waitcnt vmcnt(1)
	v_lshrrev_b32_e32 v89, 16, v5
	v_fmac_f32_e32 v55, v48, v50
	v_fmac_f32_e32 v29, v47, v49
	v_and_b32_e32 v5, 0xffff, v5
	s_waitcnt lgkmcnt(0)
	v_and_b32_e32 v27, 0xffff, v61
	v_lshrrev_b32_e32 v65, 16, v61
	v_and_b32_e32 v68, 0xffff, v62
	v_lshrrev_b32_e32 v62, 16, v62
	;;#ASMSTART
	v_cvt_f32_f16 v61, v27;
	;;#ASMEND
	;;#ASMSTART
	v_cvt_f32_f16 v27, v65;
	;;#ASMEND
	;; [unrolled: 3-line block ×8, first 2 shown]
	ds_read_b64 v[67:68], v40 offset:24
	v_fmac_f32_e32 v55, v65, v66
	v_lshrrev_b32_e32 v66, 16, v11
	v_fmac_f32_e32 v29, v62, v64
	v_and_b32_e32 v11, 0xffff, v11
	s_waitcnt lgkmcnt(0)
	v_and_b32_e32 v69, 0xffff, v67
	v_lshrrev_b32_e32 v71, 16, v67
	v_and_b32_e32 v72, 0xffff, v68
	v_lshrrev_b32_e32 v73, 16, v68
	;;#ASMSTART
	v_cvt_f32_f16 v67, v69;
	;;#ASMEND
	;;#ASMSTART
	v_cvt_f32_f16 v68, v71;
	;;#ASMEND
	;; [unrolled: 3-line block ×8, first 2 shown]
	ds_read_b64 v[25:26], v40 offset:32
	v_fmac_f32_e32 v55, v71, v73
	v_and_b32_e32 v71, 0xffff, v13
	v_and_b32_e32 v73, 0xffff, v14
	v_fmac_f32_e32 v29, v72, v74
	s_waitcnt lgkmcnt(0)
	v_and_b32_e32 v75, 0xffff, v25
	v_lshrrev_b32_e32 v77, 16, v25
	v_and_b32_e32 v78, 0xffff, v26
	v_lshrrev_b32_e32 v79, 16, v26
	;;#ASMSTART
	v_cvt_f32_f16 v25, v75;
	;;#ASMEND
	;;#ASMSTART
	v_cvt_f32_f16 v26, v77;
	;;#ASMEND
	;; [unrolled: 3-line block ×8, first 2 shown]
	ds_read_b64 v[23:24], v40 offset:40
	v_fmac_f32_e32 v55, v77, v79
	v_fmac_f32_e32 v29, v78, v80
	v_lshrrev_b32_e32 v80, 16, v7
	v_and_b32_e32 v7, 0xffff, v7
	s_waitcnt lgkmcnt(0)
	v_and_b32_e32 v81, 0xffff, v23
	v_lshrrev_b32_e32 v23, 16, v23
	v_lshrrev_b32_e32 v85, 16, v24
	v_and_b32_e32 v84, 0xffff, v24
	;;#ASMSTART
	v_cvt_f32_f16 v24, v81;
	;;#ASMEND
	;;#ASMSTART
	v_cvt_f32_f16 v81, v23;
	;;#ASMEND
	;; [unrolled: 3-line block ×8, first 2 shown]
	ds_read_b64 v[22:23], v40 offset:48
	v_mul_f32_e32 v21, v56, v59
	v_and_b32_e32 v56, 0xffff, v19
	v_mul_f32_e32 v19, v30, v57
	v_lshrrev_b32_e32 v57, 16, v20
	v_and_b32_e32 v59, 0xffff, v20
	v_fmac_f32_e32 v21, v52, v54
	v_fmac_f32_e32 v55, v84, v86
	v_fmac_f32_e32 v19, v51, v53
	v_fmac_f32_e32 v29, v85, v87
	v_fmac_f32_e32 v21, v61, v63
	v_fmac_f32_e32 v19, v27, v28
	v_fmac_f32_e32 v21, v67, v69
	v_fmac_f32_e32 v19, v68, v70
	v_lshrrev_b32_e32 v70, 16, v13
	s_waitcnt lgkmcnt(0)
	v_and_b32_e32 v20, 0xffff, v22
	v_lshrrev_b32_e32 v22, 16, v22
	v_lshrrev_b32_e32 v54, 16, v23
	v_and_b32_e32 v23, 0xffff, v23
	;;#ASMSTART
	v_cvt_f32_f16 v20, v20;
	;;#ASMEND
	;;#ASMSTART
	v_cvt_f32_f16 v30, v22;
	;;#ASMEND
	;; [unrolled: 3-line block ×8, first 2 shown]
	ds_read_b64 v[22:23], v40 offset:56
	v_lshrrev_b32_e32 v59, 16, v17
	v_and_b32_e32 v17, 0xffff, v17
	v_lshrrev_b32_e32 v88, 16, v16
	v_and_b32_e32 v16, 0xffff, v16
	v_fmac_f32_e32 v21, v25, v75
	v_lshrrev_b32_e32 v75, 16, v9
	v_fmac_f32_e32 v19, v26, v76
	v_and_b32_e32 v9, 0xffff, v9
	v_fmac_f32_e32 v55, v53, v56
	v_fmac_f32_e32 v21, v24, v82
	;; [unrolled: 1-line block ×6, first 2 shown]
	v_lshrrev_b32_e32 v30, 16, v6
	v_and_b32_e32 v6, 0xffff, v6
	s_waitcnt lgkmcnt(0)
	v_and_b32_e32 v48, 0xffff, v22
	v_lshrrev_b32_e32 v50, 16, v22
	v_lshrrev_b32_e32 v58, 16, v23
	v_and_b32_e32 v49, 0xffff, v23
	;;#ASMSTART
	v_cvt_f32_f16 v22, v48;
	;;#ASMEND
	;;#ASMSTART
	v_cvt_f32_f16 v23, v50;
	;;#ASMEND
	;; [unrolled: 3-line block ×8, first 2 shown]
	ds_read_b64 v[17:18], v40 offset:64
	v_lshrrev_b32_e32 v60, 16, v15
	v_and_b32_e32 v15, 0xffff, v15
	v_fmac_f32_e32 v21, v22, v47
	v_fmac_f32_e32 v19, v23, v48
	;; [unrolled: 1-line block ×4, first 2 shown]
	s_waitcnt vmcnt(0)
	v_lshrrev_b32_e32 v23, 16, v3
	s_waitcnt lgkmcnt(0)
	v_and_b32_e32 v27, 0xffff, v17
	v_lshrrev_b32_e32 v28, 16, v17
	v_lshrrev_b32_e32 v61, 16, v18
	v_and_b32_e32 v63, 0xffff, v18
	;;#ASMSTART
	v_cvt_f32_f16 v17, v27;
	;;#ASMEND
	;;#ASMSTART
	v_cvt_f32_f16 v18, v28;
	;;#ASMEND
	;; [unrolled: 3-line block ×8, first 2 shown]
	ds_read_b64 v[15:16], v40 offset:72
	v_lshrrev_b32_e32 v88, 16, v12
	v_and_b32_e32 v12, 0xffff, v12
	v_fmac_f32_e32 v21, v17, v27
	v_fmac_f32_e32 v19, v18, v28
	;; [unrolled: 1-line block ×4, first 2 shown]
	s_waitcnt lgkmcnt(0)
	v_and_b32_e32 v62, 0xffff, v15
	v_lshrrev_b32_e32 v64, 16, v15
	v_lshrrev_b32_e32 v67, 16, v16
	v_and_b32_e32 v68, 0xffff, v16
	;;#ASMSTART
	v_cvt_f32_f16 v15, v62;
	;;#ASMEND
	;;#ASMSTART
	v_cvt_f32_f16 v16, v64;
	;;#ASMEND
	;; [unrolled: 3-line block ×8, first 2 shown]
	ds_read_b64 v[11:12], v40 offset:80
	v_lshrrev_b32_e32 v88, 16, v14
	v_fmac_f32_e32 v21, v15, v62
	v_fmac_f32_e32 v19, v16, v64
	v_fmac_f32_e32 v55, v66, v68
	v_fmac_f32_e32 v29, v67, v69
	s_waitcnt lgkmcnt(0)
	v_and_b32_e32 v13, 0xffff, v11
	v_lshrrev_b32_e32 v11, 16, v11
	v_lshrrev_b32_e32 v72, 16, v12
	v_and_b32_e32 v12, 0xffff, v12
	;;#ASMSTART
	v_cvt_f32_f16 v13, v13;
	;;#ASMEND
	;;#ASMSTART
	v_cvt_f32_f16 v14, v11;
	;;#ASMEND
	;;#ASMSTART
	v_cvt_f32_f16 v25, v71;
	;;#ASMEND
	;;#ASMSTART
	v_cvt_f32_f16 v70, v70;
	;;#ASMEND
	;;#ASMSTART
	v_cvt_f32_f16 v71, v12;
	;;#ASMEND
	;;#ASMSTART
	v_cvt_f32_f16 v72, v72;
	;;#ASMEND
	;;#ASMSTART
	v_cvt_f32_f16 v73, v73;
	;;#ASMEND
	;;#ASMSTART
	v_cvt_f32_f16 v74, v88;
	;;#ASMEND
	ds_read_b64 v[11:12], v40 offset:88
	v_lshrrev_b32_e32 v88, 16, v10
	v_and_b32_e32 v10, 0xffff, v10
	v_fmac_f32_e32 v21, v13, v25
	v_fmac_f32_e32 v19, v14, v70
	;; [unrolled: 1-line block ×4, first 2 shown]
	v_and_b32_e32 v13, 0xffff, v3
	s_waitcnt lgkmcnt(0)
	v_and_b32_e32 v26, 0xffff, v11
	v_lshrrev_b32_e32 v76, 16, v11
	v_lshrrev_b32_e32 v77, 16, v12
	v_and_b32_e32 v78, 0xffff, v12
	;;#ASMSTART
	v_cvt_f32_f16 v11, v26;
	;;#ASMEND
	;;#ASMSTART
	v_cvt_f32_f16 v12, v76;
	;;#ASMEND
	;; [unrolled: 3-line block ×8, first 2 shown]
	ds_read_b64 v[9:10], v40 offset:96
	v_lshrrev_b32_e32 v88, 16, v8
	v_and_b32_e32 v8, 0xffff, v8
	v_fmac_f32_e32 v21, v11, v26
	v_fmac_f32_e32 v19, v12, v75
	;; [unrolled: 1-line block ×4, first 2 shown]
	v_lshrrev_b32_e32 v11, 16, v4
	s_waitcnt lgkmcnt(0)
	v_and_b32_e32 v24, 0xffff, v9
	v_lshrrev_b32_e32 v81, 16, v9
	v_lshrrev_b32_e32 v82, 16, v10
	v_and_b32_e32 v83, 0xffff, v10
	;;#ASMSTART
	v_cvt_f32_f16 v9, v24;
	;;#ASMEND
	;;#ASMSTART
	v_cvt_f32_f16 v10, v81;
	;;#ASMEND
	;; [unrolled: 3-line block ×8, first 2 shown]
	ds_read_b64 v[7:8], v40 offset:104
	v_fmac_f32_e32 v21, v9, v24
	v_fmac_f32_e32 v19, v10, v80
	;; [unrolled: 1-line block ×3, first 2 shown]
	v_and_b32_e32 v9, 0xffff, v4
	v_fmac_f32_e32 v29, v82, v84
	s_waitcnt lgkmcnt(0)
	v_and_b32_e32 v15, 0xffff, v7
	v_lshrrev_b32_e32 v16, 16, v7
	v_lshrrev_b32_e32 v18, 16, v8
	v_and_b32_e32 v17, 0xffff, v8
	;;#ASMSTART
	v_cvt_f32_f16 v7, v15;
	;;#ASMEND
	;;#ASMSTART
	v_cvt_f32_f16 v8, v16;
	;;#ASMEND
	;; [unrolled: 3-line block ×8, first 2 shown]
	ds_read_b64 v[5:6], v40 offset:112
	v_fmac_f32_e32 v21, v7, v15
	v_fmac_f32_e32 v19, v8, v16
	;; [unrolled: 1-line block ×4, first 2 shown]
	s_waitcnt lgkmcnt(0)
	v_and_b32_e32 v3, 0xffff, v5
	v_lshrrev_b32_e32 v4, 16, v5
	v_lshrrev_b32_e32 v7, 16, v6
	v_and_b32_e32 v8, 0xffff, v6
	;;#ASMSTART
	v_cvt_f32_f16 v3, v3;
	;;#ASMEND
	;;#ASMSTART
	v_cvt_f32_f16 v4, v4;
	;;#ASMEND
	;; [unrolled: 3-line block ×4, first 2 shown]
	v_fmac_f32_e32 v21, v3, v5
	v_fmac_f32_e32 v19, v4, v6
	;;#ASMSTART
	v_cvt_f32_f16 v3, v8;
	;;#ASMEND
	;;#ASMSTART
	v_cvt_f32_f16 v4, v7;
	;;#ASMEND
	;; [unrolled: 3-line block ×3, first 2 shown]
	v_fmac_f32_e32 v55, v3, v5
	v_add_f32_e32 v3, v21, v19
	;;#ASMSTART
	v_cvt_f32_f16 v5, v11;
	;;#ASMEND
	v_fmac_f32_e32 v29, v4, v5
	v_cndmask_b32_e64 v4, v36, v45, s2
	v_add_f32_e32 v3, v3, v55
	v_lshlrev_b32_e32 v4, 2, v4
	v_add_f32_e32 v3, v29, v3
	ds_bpermute_b32 v4, v4, v3
	s_and_saveexec_b32 s3, vcc_lo
	s_cbranch_execz .LBB86_8
; %bb.10:                               ;   in Loop: Header=BB86_9 Depth=1
	v_add_nc_u32_e32 v5, s4, v41
	s_waitcnt lgkmcnt(0)
	v_add_f32_e32 v3, v3, v4
	v_cmp_gt_i32_e64 s2, s11, v41
	v_cvt_f32_i32_e32 v5, v5
	v_mul_f32_e32 v5, s24, v5
	v_cndmask_b32_e64 v4, 0, v5, s1
	v_max_f32_e32 v5, v39, v39
	v_fmac_f32_e32 v4, s25, v3
	v_max_f32_e32 v3, v5, v4
	v_cndmask_b32_e64 v4, 0, v4, s2
	v_cndmask_b32_e64 v39, v39, v3, s2
	ds_write_b32 v42, v4
	s_branch .LBB86_8
.LBB86_11:
	s_or_b32 exec_lo, exec_lo, s5
.LBB86_12:
	s_or_b32 exec_lo, exec_lo, s26
	v_xor_b32_e32 v1, 16, v36
	v_xor_b32_e32 v2, 8, v36
	s_waitcnt lgkmcnt(0)
	v_max_f32_e32 v4, v39, v39
	v_cmp_lt_i32_e32 vcc_lo, v1, v38
	v_cndmask_b32_e32 v1, v36, v1, vcc_lo
	v_cmp_lt_i32_e32 vcc_lo, v2, v38
	v_lshlrev_b32_e32 v3, 2, v1
	v_cndmask_b32_e32 v2, v36, v2, vcc_lo
	ds_bpermute_b32 v1, v3, v39
	v_lshlrev_b32_e32 v5, 2, v2
	s_waitcnt lgkmcnt(0)
	v_max_f32_e32 v1, v1, v1
	v_max_f32_e32 v1, v4, v1
	v_xor_b32_e32 v4, 4, v36
	ds_bpermute_b32 v2, v5, v1
	v_cmp_lt_i32_e32 vcc_lo, v4, v38
	v_cndmask_b32_e32 v4, v36, v4, vcc_lo
	v_lshlrev_b32_e32 v6, 2, v4
	v_xor_b32_e32 v4, 2, v36
	v_cmp_lt_i32_e32 vcc_lo, v4, v38
	s_waitcnt lgkmcnt(0)
	v_max_f32_e32 v2, v2, v2
	v_cndmask_b32_e32 v7, v36, v4, vcc_lo
	v_max_f32_e32 v1, v1, v2
	ds_bpermute_b32 v2, v6, v1
	s_waitcnt lgkmcnt(0)
	v_max_f32_e32 v2, v2, v2
	v_max_f32_e32 v4, v1, v2
	v_lshlrev_b32_e32 v2, 2, v7
	v_and_b32_e32 v1, 31, v0
	v_lshlrev_b32_e32 v7, 2, v33
	ds_bpermute_b32 v8, v2, v4
	v_cmp_eq_u32_e32 vcc_lo, 0, v1
	s_and_saveexec_b32 s1, vcc_lo
	s_cbranch_execz .LBB86_14
; %bb.13:
	s_waitcnt lgkmcnt(0)
	v_max_f32_e32 v8, v8, v8
	v_max_f32_e32 v4, v4, v4
	;; [unrolled: 1-line block ×3, first 2 shown]
	ds_write_b32 v7, v4 offset:240
.LBB86_14:
	s_or_b32 exec_lo, exec_lo, s1
	v_cmp_gt_u32_e64 s1, 4, v1
	v_mov_b32_e32 v4, 0xff7fffff
	s_waitcnt lgkmcnt(0)
	v_lshlrev_b32_e32 v8, 2, v1
	s_barrier
	buffer_gl0_inv
	s_and_saveexec_b32 s2, s1
; %bb.15:
	ds_read_b32 v4, v8 offset:240
; %bb.16:
	s_or_b32 exec_lo, exec_lo, s2
	s_waitcnt lgkmcnt(0)
	ds_bpermute_b32 v9, v2, v4
	v_xor_b32_e32 v10, 1, v36
	v_max_f32_e32 v4, v4, v4
	v_cmp_lt_i32_e64 s2, v10, v38
	v_cndmask_b32_e64 v10, v36, v10, s2
	s_lshl_b32 s2, s12, 4
	s_min_i32 s4, s2, s11
	v_lshlrev_b32_e32 v10, 2, v10
	v_cmp_gt_i32_e64 s2, s4, v0
	s_waitcnt lgkmcnt(0)
	v_max_f32_e32 v9, v9, v9
	v_max_f32_e32 v4, v4, v9
	ds_bpermute_b32 v9, v10, v4
	s_waitcnt lgkmcnt(0)
	v_max_f32_e32 v9, v9, v9
	v_max_f32_e32 v4, v4, v9
	v_lshlrev_b32_e32 v9, 2, v37
	ds_bpermute_b32 v11, v9, v4
	v_mov_b32_e32 v9, 0
	v_lshl_add_u32 v4, v0, 2, 0x110
	s_and_saveexec_b32 s5, s2
	s_cbranch_execz .LBB86_20
; %bb.17:
	v_lshl_add_u32 v12, v0, 2, 0x110
	v_mov_b32_e32 v9, 0
	v_mov_b32_e32 v13, v0
	s_mov_b32 s15, 0
	.p2align	6
.LBB86_18:                              ; =>This Inner Loop Header: Depth=1
	ds_read_b32 v14, v12
	v_add_nc_u32_e32 v13, 0x80, v13
	v_cmp_le_i32_e64 s3, s4, v13
	s_or_b32 s15, s3, s15
	s_waitcnt lgkmcnt(0)
	v_sub_f32_e32 v14, v14, v11
	v_mul_f32_e32 v14, 0x3fb8aa3b, v14
	v_exp_f32_e32 v14, v14
	ds_write_b32 v12, v14
	v_add_f32_e32 v9, v9, v14
	v_add_nc_u32_e32 v12, 0x200, v12
	s_andn2_b32 exec_lo, exec_lo, s15
	s_cbranch_execnz .LBB86_18
; %bb.19:
	s_or_b32 exec_lo, exec_lo, s15
.LBB86_20:
	s_or_b32 exec_lo, exec_lo, s5
	ds_bpermute_b32 v3, v3, v9
	s_waitcnt lgkmcnt(0)
	v_add_f32_e32 v3, v9, v3
	ds_bpermute_b32 v5, v5, v3
	s_waitcnt lgkmcnt(0)
	v_add_f32_e32 v3, v3, v5
	;; [unrolled: 3-line block ×5, first 2 shown]
	s_and_saveexec_b32 s3, vcc_lo
; %bb.21:
	ds_write_b32 v7, v3 offset:256
; %bb.22:
	s_or_b32 exec_lo, exec_lo, s3
	s_waitcnt lgkmcnt(0)
	s_barrier
	buffer_gl0_inv
	s_and_saveexec_b32 s3, s1
; %bb.23:
	ds_read_b32 v3, v8 offset:256
; %bb.24:
	s_or_b32 exec_lo, exec_lo, s3
	s_waitcnt lgkmcnt(0)
	ds_bpermute_b32 v2, v2, v3
	v_lshlrev_b32_e32 v5, 2, v36
	s_waitcnt lgkmcnt(0)
	v_add_f32_e32 v2, v3, v2
	ds_bpermute_b32 v3, v10, v2
	s_waitcnt lgkmcnt(0)
	v_add_f32_e32 v2, v2, v3
	v_and_b32_e32 v3, 0xffffff80, v5
	ds_bpermute_b32 v2, v3, v2
	s_and_saveexec_b32 s1, s2
	s_cbranch_execz .LBB86_27
; %bb.25:
	s_waitcnt lgkmcnt(0)
	v_add_f32_e32 v2, 0x358637bd, v2
	s_mov_b32 s2, 0
	v_div_scale_f32 v3, null, v2, v2, 1.0
	v_div_scale_f32 v7, vcc_lo, 1.0, v2, 1.0
	v_rcp_f32_e32 v5, v3
	v_fma_f32 v6, -v3, v5, 1.0
	v_fmac_f32_e32 v5, v6, v5
	v_mul_f32_e32 v6, v7, v5
	v_fma_f32 v8, -v3, v6, v7
	v_fmac_f32_e32 v6, v8, v5
	v_fma_f32 v3, -v3, v6, v7
	v_div_fmas_f32 v3, v3, v5, v6
	v_div_fixup_f32 v2, v3, v2, 1.0
	v_mov_b32_e32 v3, v0
.LBB86_26:                              ; =>This Inner Loop Header: Depth=1
	ds_read_b32 v5, v4
	v_add_nc_u32_e32 v3, 0x80, v3
	v_cmp_le_i32_e32 vcc_lo, s4, v3
	s_or_b32 s2, vcc_lo, s2
	s_waitcnt lgkmcnt(0)
	v_mul_f32_e32 v5, v2, v5
	ds_write_b32 v4, v5
	v_add_nc_u32_e32 v4, 0x200, v4
	s_andn2_b32 exec_lo, exec_lo, s2
	s_cbranch_execnz .LBB86_26
.LBB86_27:
	s_or_b32 exec_lo, exec_lo, s1
	v_lshrrev_b32_e32 v9, 1, v1
	s_waitcnt lgkmcnt(0)
	s_barrier
	buffer_gl0_inv
	s_and_saveexec_b32 s1, s0
	s_xor_b32 s0, exec_lo, s1
; %bb.28:
	v_lshrrev_b32_e32 v9, 1, v1
                                        ; implicit-def: $vgpr34
                                        ; implicit-def: $vgpr35
; %bb.29:
	s_or_saveexec_b32 s3, s0
	v_mov_b32_e32 v17, 0
	v_mov_b32_e32 v18, 0
	;; [unrolled: 1-line block ×8, first 2 shown]
	s_xor_b32 exec_lo, exec_lo, s3
	s_cbranch_execz .LBB86_51
; %bb.30:
	v_and_b32_e32 v1, 8, v34
	v_or_b32_e32 v2, 0x70, v9
	v_lshlrev_b32_e32 v5, 4, v33
	s_ashr_i32 s15, s14, 31
	v_lshlrev_b32_e32 v3, 5, v32
	s_lshl_b64 s[0:1], s[14:15], 1
	v_lshl_or_b32 v4, v9, 4, v1
	s_add_u32 s4, s22, s0
	v_cmp_gt_u32_e64 s0, 0x78, v2
	v_lshl_or_b32 v2, v2, 4, v1
	v_or3_b32 v20, v5, v1, 7
	v_and_b32_e32 v1, 0x7c, v35
	s_addc_u32 s5, s23, s1
	s_lshl_b64 s[20:21], s[20:21], 2
	s_add_i32 s14, s12, -1
	v_lshl_or_b32 v3, v33, 6, v3
	s_add_u32 s1, s18, s20
	s_addc_u32 s2, s19, s21
	v_add_co_u32 v5, s1, s1, v1
	v_mov_b32_e32 v19, 0
	v_add_nc_u32_e32 v21, 0x110, v3
	v_add_co_ci_u32_e64 v6, null, s2, 0, s1
	v_lshlrev_b32_e32 v22, 1, v4
	v_lshlrev_b32_e32 v23, 1, v2
	v_mov_b32_e32 v11, 0
	v_mov_b32_e32 v12, 0
	;; [unrolled: 1-line block ×9, first 2 shown]
	s_mov_b32 s15, s13
	s_mov_b32 s13, 0
	s_branch .LBB86_33
.LBB86_31:                              ;   in Loop: Header=BB86_33 Depth=1
	s_or_b32 exec_lo, exec_lo, s18
	v_lshlrev_b32_e32 v26, 16, v47
	v_lshlrev_b32_e32 v29, 16, v29
	;; [unrolled: 1-line block ×3, first 2 shown]
	v_and_or_b32 v1, 0xffff, v1, v26
	v_and_or_b32 v2, 0xffff, v2, v29
	v_and_or_b32 v3, 0xffff, v3, v28
	;;#ASMSTART
	v_pk_mul_f16 v1, v34, v1;

	;;#ASMEND
	;;#ASMSTART
	v_pk_mul_f16 v2, v30, v2;

	;;#ASMEND
	;; [unrolled: 4-line block ×4, first 2 shown]
	;;#ASMSTART
	v_pk_add_f16 v1, v1, v2;

	;;#ASMEND
	;;#ASMSTART
	v_pk_add_f16 v1, v1, v3;

	;;#ASMEND
	;; [unrolled: 4-line block ×3, first 2 shown]
	v_and_b32_e32 v2, 0xffff, v1
	v_lshrrev_b32_e32 v3, 16, v1
	;;#ASMSTART
	v_cvt_f32_f16 v1, v2;
	;;#ASMEND
	;;#ASMSTART
	v_cvt_f32_f16 v2, v3;
	;;#ASMEND
	v_add_f32_e32 v1, v1, v2
	v_add_f32_e32 v11, v11, v1
.LBB86_32:                              ;   in Loop: Header=BB86_33 Depth=1
	s_or_b32 exec_lo, exec_lo, s2
	v_add_f32_e32 v1, v7, v8
	v_add_f32_e32 v2, v45, v46
	;; [unrolled: 1-line block ×3, first 2 shown]
	v_add_nc_u32_e32 v24, 4, v24
	v_add_f32_e32 v4, v41, v42
	v_add_f32_e32 v12, v12, v1
	;; [unrolled: 1-line block ×7, first 2 shown]
	v_cmp_le_i32_e32 vcc_lo, s12, v24
	v_add_co_u32 v5, s1, v5, 16
	v_add_f32_e32 v15, v15, v4
	v_add_f32_e32 v16, v16, v1
	v_add_f32_e32 v18, v18, v2
	v_add_f32_e32 v17, v17, v3
	v_add_nc_u32_e32 v20, 64, v20
	v_add_nc_u32_e32 v21, 0x100, v21
	v_add_co_ci_u32_e64 v6, null, 0, v6, s1
	s_or_b32 s13, vcc_lo, s13
	s_andn2_b32 exec_lo, exec_lo, s13
	s_cbranch_execz .LBB86_50
.LBB86_33:                              ; =>This Inner Loop Header: Depth=1
	global_load_dword v7, v[5:6], off
	ds_read2_b64 v[1:4], v21 offset1:1
	ds_read2_b64 v[38:41], v21 offset0:2 offset1:3
	s_waitcnt lgkmcnt(1)
	;;#ASMSTART
	v_cvt_f16_f32 v34, v1;

	;;#ASMEND
	;;#ASMSTART
	v_cvt_f16_f32 v25, v2;

	;;#ASMEND
	;; [unrolled: 4-line block ×4, first 2 shown]
	s_waitcnt lgkmcnt(0)
	;;#ASMSTART
	v_cvt_f16_f32 v38, v38;

	;;#ASMEND
	;;#ASMSTART
	v_cvt_f16_f32 v35, v39;

	;;#ASMEND
	;; [unrolled: 4-line block ×4, first 2 shown]
	v_add_nc_u32_e32 v26, -7, v20
	v_cmp_eq_u32_e64 s1, s14, v24
	s_waitcnt vmcnt(0)
	v_mad_i64_i32 v[7:8], null, v7, s15, 0
	v_lshlrev_b64 v[7:8], 1, v[7:8]
	v_add_co_u32 v28, vcc_lo, s4, v7
	v_add_co_ci_u32_e64 v29, null, s5, v8, vcc_lo
	v_add_co_u32 v7, vcc_lo, v28, v22
	v_add_co_ci_u32_e64 v8, null, 0, v29, vcc_lo
	global_load_dwordx4 v[1:4], v[7:8], off
	s_waitcnt vmcnt(0)
	v_lshrrev_b32_e32 v41, 16, v1
	v_lshrrev_b32_e32 v40, 16, v2
	;; [unrolled: 1-line block ×3, first 2 shown]
	s_and_saveexec_b32 s18, s1
	s_cbranch_execz .LBB86_35
; %bb.34:                               ;   in Loop: Header=BB86_33 Depth=1
	v_add_nc_u32_e32 v42, -6, v20
	v_cmp_gt_i32_e32 vcc_lo, s11, v26
	v_add_nc_u32_e32 v43, -5, v20
	v_add_nc_u32_e32 v45, -1, v20
	;; [unrolled: 1-line block ×3, first 2 shown]
	v_cndmask_b32_e32 v1, 0, v1, vcc_lo
	v_cmp_gt_i32_e32 vcc_lo, s11, v42
	v_add_nc_u32_e32 v42, -3, v20
	v_cmp_gt_i32_e64 s2, s11, v44
	v_and_b32_e32 v44, 0xffff0000, v4
	v_cndmask_b32_e32 v41, 0, v41, vcc_lo
	v_cmp_gt_i32_e32 vcc_lo, s11, v43
	v_add_nc_u32_e32 v43, -2, v20
	v_cndmask_b32_e64 v40, 0, v40, s2
	v_cndmask_b32_e32 v2, 0, v2, vcc_lo
	v_cmp_gt_i32_e32 vcc_lo, s11, v45
	v_cndmask_b32_sdwa v4, v19, v4, vcc_lo dst_sel:DWORD dst_unused:UNUSED_PAD src0_sel:DWORD src1_sel:WORD_0
	v_cmp_gt_i32_e32 vcc_lo, s11, v20
	v_cndmask_b32_e32 v44, 0, v44, vcc_lo
	v_cmp_gt_i32_e32 vcc_lo, s11, v42
	v_or_b32_e32 v4, v4, v44
	v_cndmask_b32_e32 v3, 0, v3, vcc_lo
	v_cmp_gt_i32_e32 vcc_lo, s11, v43
	v_cndmask_b32_e32 v39, 0, v39, vcc_lo
.LBB86_35:                              ;   in Loop: Header=BB86_33 Depth=1
	s_or_b32 exec_lo, exec_lo, s18
	v_and_b32_e32 v34, 0xffff, v34
	v_and_b32_e32 v37, 0xffff, v37
	v_lshlrev_b32_e32 v41, 16, v41
	v_and_b32_e32 v38, 0xffff, v38
	v_and_b32_e32 v36, 0xffff, v36
	v_lshl_or_b32 v34, v25, 16, v34
	v_lshl_or_b32 v30, v30, 16, v37
	v_lshlrev_b32_e32 v25, 16, v40
	v_lshlrev_b32_e32 v37, 16, v39
	v_and_or_b32 v1, 0xffff, v1, v41
	;;#ASMSTART
	v_pk_mul_f16 v1, v34, v1;

	;;#ASMEND
	v_lshl_or_b32 v35, v35, 16, v38
	v_and_or_b32 v2, 0xffff, v2, v25
	v_and_or_b32 v3, 0xffff, v3, v37
	v_lshl_or_b32 v36, v27, 16, v36
	;;#ASMSTART
	v_pk_mul_f16 v2, v30, v2;

	;;#ASMEND
	;;#ASMSTART
	v_pk_mul_f16 v3, v35, v3;

	;;#ASMEND
	;; [unrolled: 4-line block ×3, first 2 shown]
	;;#ASMSTART
	v_pk_add_f16 v1, v1, v2;

	;;#ASMEND
	;;#ASMSTART
	v_pk_add_f16 v1, v1, v3;

	;;#ASMEND
	;; [unrolled: 4-line block ×3, first 2 shown]
	v_and_b32_e32 v2, 0xffff, v1
	v_lshrrev_b32_e32 v1, 16, v1
	;;#ASMSTART
	v_cvt_f32_f16 v25, v2;
	;;#ASMEND
	;;#ASMSTART
	v_cvt_f32_f16 v27, v1;
	;;#ASMEND
	global_load_dwordx4 v[1:4], v[7:8], off offset:512
	s_waitcnt vmcnt(0)
	v_lshrrev_b32_e32 v39, 16, v1
	v_lshrrev_b32_e32 v38, 16, v2
	;; [unrolled: 1-line block ×3, first 2 shown]
	s_and_saveexec_b32 s18, s1
	s_cbranch_execz .LBB86_37
; %bb.36:                               ;   in Loop: Header=BB86_33 Depth=1
	v_add_nc_u32_e32 v40, -6, v20
	v_cmp_gt_i32_e32 vcc_lo, s11, v26
	v_add_nc_u32_e32 v41, -5, v20
	v_add_nc_u32_e32 v43, -1, v20
	;; [unrolled: 1-line block ×3, first 2 shown]
	v_cndmask_b32_e32 v1, 0, v1, vcc_lo
	v_cmp_gt_i32_e32 vcc_lo, s11, v40
	v_add_nc_u32_e32 v40, -3, v20
	v_cmp_gt_i32_e64 s2, s11, v42
	v_and_b32_e32 v42, 0xffff0000, v4
	v_cndmask_b32_e32 v39, 0, v39, vcc_lo
	v_cmp_gt_i32_e32 vcc_lo, s11, v41
	v_add_nc_u32_e32 v41, -2, v20
	v_cndmask_b32_e64 v38, 0, v38, s2
	v_cndmask_b32_e32 v2, 0, v2, vcc_lo
	v_cmp_gt_i32_e32 vcc_lo, s11, v43
	v_cndmask_b32_sdwa v4, v19, v4, vcc_lo dst_sel:DWORD dst_unused:UNUSED_PAD src0_sel:DWORD src1_sel:WORD_0
	v_cmp_gt_i32_e32 vcc_lo, s11, v20
	v_cndmask_b32_e32 v42, 0, v42, vcc_lo
	v_cmp_gt_i32_e32 vcc_lo, s11, v40
	v_or_b32_e32 v4, v4, v42
	v_cndmask_b32_e32 v3, 0, v3, vcc_lo
	v_cmp_gt_i32_e32 vcc_lo, s11, v41
	v_cndmask_b32_e32 v37, 0, v37, vcc_lo
.LBB86_37:                              ;   in Loop: Header=BB86_33 Depth=1
	s_or_b32 exec_lo, exec_lo, s18
	v_lshlrev_b32_e32 v39, 16, v39
	v_lshlrev_b32_e32 v38, 16, v38
	v_lshlrev_b32_e32 v37, 16, v37
	v_and_or_b32 v1, 0xffff, v1, v39
	v_and_or_b32 v2, 0xffff, v2, v38
	;; [unrolled: 1-line block ×3, first 2 shown]
	;;#ASMSTART
	v_pk_mul_f16 v1, v34, v1;

	;;#ASMEND
	;;#ASMSTART
	v_pk_mul_f16 v2, v30, v2;

	;;#ASMEND
	;; [unrolled: 4-line block ×4, first 2 shown]
	;;#ASMSTART
	v_pk_add_f16 v1, v1, v2;

	;;#ASMEND
	;;#ASMSTART
	v_pk_add_f16 v1, v1, v3;

	;;#ASMEND
	;; [unrolled: 4-line block ×3, first 2 shown]
	v_and_b32_e32 v2, 0xffff, v1
	v_lshrrev_b32_e32 v1, 16, v1
	;;#ASMSTART
	v_cvt_f32_f16 v37, v2;
	;;#ASMEND
	;;#ASMSTART
	v_cvt_f32_f16 v38, v1;
	;;#ASMEND
	global_load_dwordx4 v[1:4], v[7:8], off offset:1024
	s_waitcnt vmcnt(0)
	v_lshrrev_b32_e32 v41, 16, v1
	v_lshrrev_b32_e32 v40, 16, v2
	;; [unrolled: 1-line block ×3, first 2 shown]
	s_and_saveexec_b32 s18, s1
	s_cbranch_execz .LBB86_39
; %bb.38:                               ;   in Loop: Header=BB86_33 Depth=1
	v_add_nc_u32_e32 v42, -6, v20
	v_cmp_gt_i32_e32 vcc_lo, s11, v26
	v_add_nc_u32_e32 v43, -5, v20
	v_add_nc_u32_e32 v45, -1, v20
	;; [unrolled: 1-line block ×3, first 2 shown]
	v_cndmask_b32_e32 v1, 0, v1, vcc_lo
	v_cmp_gt_i32_e32 vcc_lo, s11, v42
	v_add_nc_u32_e32 v42, -3, v20
	v_cmp_gt_i32_e64 s2, s11, v44
	v_and_b32_e32 v44, 0xffff0000, v4
	v_cndmask_b32_e32 v41, 0, v41, vcc_lo
	v_cmp_gt_i32_e32 vcc_lo, s11, v43
	v_add_nc_u32_e32 v43, -2, v20
	v_cndmask_b32_e64 v40, 0, v40, s2
	v_cndmask_b32_e32 v2, 0, v2, vcc_lo
	v_cmp_gt_i32_e32 vcc_lo, s11, v45
	v_cndmask_b32_sdwa v4, v19, v4, vcc_lo dst_sel:DWORD dst_unused:UNUSED_PAD src0_sel:DWORD src1_sel:WORD_0
	v_cmp_gt_i32_e32 vcc_lo, s11, v20
	v_cndmask_b32_e32 v44, 0, v44, vcc_lo
	v_cmp_gt_i32_e32 vcc_lo, s11, v42
	v_or_b32_e32 v4, v4, v44
	v_cndmask_b32_e32 v3, 0, v3, vcc_lo
	v_cmp_gt_i32_e32 vcc_lo, s11, v43
	v_cndmask_b32_e32 v39, 0, v39, vcc_lo
.LBB86_39:                              ;   in Loop: Header=BB86_33 Depth=1
	s_or_b32 exec_lo, exec_lo, s18
	v_lshlrev_b32_e32 v41, 16, v41
	v_lshlrev_b32_e32 v40, 16, v40
	;; [unrolled: 1-line block ×3, first 2 shown]
	v_and_or_b32 v1, 0xffff, v1, v41
	v_and_or_b32 v2, 0xffff, v2, v40
	;; [unrolled: 1-line block ×3, first 2 shown]
	;;#ASMSTART
	v_pk_mul_f16 v1, v34, v1;

	;;#ASMEND
	;;#ASMSTART
	v_pk_mul_f16 v2, v30, v2;

	;;#ASMEND
	;; [unrolled: 4-line block ×4, first 2 shown]
	;;#ASMSTART
	v_pk_add_f16 v1, v1, v2;

	;;#ASMEND
	;;#ASMSTART
	v_pk_add_f16 v1, v1, v3;

	;;#ASMEND
	;; [unrolled: 4-line block ×3, first 2 shown]
	v_and_b32_e32 v2, 0xffff, v1
	v_lshrrev_b32_e32 v1, 16, v1
	;;#ASMSTART
	v_cvt_f32_f16 v39, v2;
	;;#ASMEND
	;;#ASMSTART
	v_cvt_f32_f16 v40, v1;
	;;#ASMEND
	global_load_dwordx4 v[1:4], v[7:8], off offset:1536
	s_waitcnt vmcnt(0)
	v_lshrrev_b32_e32 v43, 16, v1
	v_lshrrev_b32_e32 v42, 16, v2
	;; [unrolled: 1-line block ×3, first 2 shown]
	s_and_saveexec_b32 s18, s1
	s_cbranch_execz .LBB86_41
; %bb.40:                               ;   in Loop: Header=BB86_33 Depth=1
	v_add_nc_u32_e32 v44, -6, v20
	v_cmp_gt_i32_e32 vcc_lo, s11, v26
	v_add_nc_u32_e32 v45, -5, v20
	v_add_nc_u32_e32 v47, -1, v20
	;; [unrolled: 1-line block ×3, first 2 shown]
	v_cndmask_b32_e32 v1, 0, v1, vcc_lo
	v_cmp_gt_i32_e32 vcc_lo, s11, v44
	v_add_nc_u32_e32 v44, -3, v20
	v_cmp_gt_i32_e64 s2, s11, v46
	v_and_b32_e32 v46, 0xffff0000, v4
	v_cndmask_b32_e32 v43, 0, v43, vcc_lo
	v_cmp_gt_i32_e32 vcc_lo, s11, v45
	v_add_nc_u32_e32 v45, -2, v20
	v_cndmask_b32_e64 v42, 0, v42, s2
	v_cndmask_b32_e32 v2, 0, v2, vcc_lo
	v_cmp_gt_i32_e32 vcc_lo, s11, v47
	v_cndmask_b32_sdwa v4, v19, v4, vcc_lo dst_sel:DWORD dst_unused:UNUSED_PAD src0_sel:DWORD src1_sel:WORD_0
	v_cmp_gt_i32_e32 vcc_lo, s11, v20
	v_cndmask_b32_e32 v46, 0, v46, vcc_lo
	v_cmp_gt_i32_e32 vcc_lo, s11, v44
	v_or_b32_e32 v4, v4, v46
	v_cndmask_b32_e32 v3, 0, v3, vcc_lo
	v_cmp_gt_i32_e32 vcc_lo, s11, v45
	v_cndmask_b32_e32 v41, 0, v41, vcc_lo
.LBB86_41:                              ;   in Loop: Header=BB86_33 Depth=1
	s_or_b32 exec_lo, exec_lo, s18
	v_lshlrev_b32_e32 v43, 16, v43
	v_lshlrev_b32_e32 v42, 16, v42
	;; [unrolled: 1-line block ×3, first 2 shown]
	v_add_co_u32 v7, vcc_lo, 0x800, v7
	v_and_or_b32 v1, 0xffff, v1, v43
	v_and_or_b32 v2, 0xffff, v2, v42
	;; [unrolled: 1-line block ×3, first 2 shown]
	;;#ASMSTART
	v_pk_mul_f16 v1, v34, v1;

	;;#ASMEND
	v_add_co_ci_u32_e64 v8, null, 0, v8, vcc_lo
	;;#ASMSTART
	v_pk_mul_f16 v2, v30, v2;

	;;#ASMEND
	;;#ASMSTART
	v_pk_mul_f16 v3, v35, v3;

	;;#ASMEND
	;; [unrolled: 4-line block ×3, first 2 shown]
	;;#ASMSTART
	v_pk_add_f16 v1, v1, v2;

	;;#ASMEND
	;;#ASMSTART
	v_pk_add_f16 v1, v1, v3;

	;;#ASMEND
	;; [unrolled: 4-line block ×3, first 2 shown]
	v_lshrrev_b32_e32 v2, 16, v1
	v_and_b32_e32 v1, 0xffff, v1
	;;#ASMSTART
	v_cvt_f32_f16 v41, v1;
	;;#ASMEND
	;;#ASMSTART
	v_cvt_f32_f16 v42, v2;
	;;#ASMEND
	global_load_dwordx4 v[1:4], v[7:8], off
	s_waitcnt vmcnt(0)
	v_lshrrev_b32_e32 v45, 16, v1
	v_lshrrev_b32_e32 v44, 16, v2
	;; [unrolled: 1-line block ×3, first 2 shown]
	s_and_saveexec_b32 s18, s1
	s_cbranch_execz .LBB86_43
; %bb.42:                               ;   in Loop: Header=BB86_33 Depth=1
	v_add_nc_u32_e32 v46, -6, v20
	v_cmp_gt_i32_e32 vcc_lo, s11, v26
	v_add_nc_u32_e32 v47, -5, v20
	v_add_nc_u32_e32 v49, -1, v20
	;; [unrolled: 1-line block ×3, first 2 shown]
	v_cndmask_b32_e32 v1, 0, v1, vcc_lo
	v_cmp_gt_i32_e32 vcc_lo, s11, v46
	v_add_nc_u32_e32 v46, -3, v20
	v_cmp_gt_i32_e64 s2, s11, v48
	v_and_b32_e32 v48, 0xffff0000, v4
	v_cndmask_b32_e32 v45, 0, v45, vcc_lo
	v_cmp_gt_i32_e32 vcc_lo, s11, v47
	v_add_nc_u32_e32 v47, -2, v20
	v_cndmask_b32_e64 v44, 0, v44, s2
	v_cndmask_b32_e32 v2, 0, v2, vcc_lo
	v_cmp_gt_i32_e32 vcc_lo, s11, v49
	v_cndmask_b32_sdwa v4, v19, v4, vcc_lo dst_sel:DWORD dst_unused:UNUSED_PAD src0_sel:DWORD src1_sel:WORD_0
	v_cmp_gt_i32_e32 vcc_lo, s11, v20
	v_cndmask_b32_e32 v48, 0, v48, vcc_lo
	v_cmp_gt_i32_e32 vcc_lo, s11, v46
	v_or_b32_e32 v4, v4, v48
	v_cndmask_b32_e32 v3, 0, v3, vcc_lo
	v_cmp_gt_i32_e32 vcc_lo, s11, v47
	v_cndmask_b32_e32 v43, 0, v43, vcc_lo
.LBB86_43:                              ;   in Loop: Header=BB86_33 Depth=1
	s_or_b32 exec_lo, exec_lo, s18
	v_lshlrev_b32_e32 v45, 16, v45
	v_lshlrev_b32_e32 v44, 16, v44
	;; [unrolled: 1-line block ×3, first 2 shown]
	v_and_or_b32 v1, 0xffff, v1, v45
	v_and_or_b32 v2, 0xffff, v2, v44
	;; [unrolled: 1-line block ×3, first 2 shown]
	;;#ASMSTART
	v_pk_mul_f16 v1, v34, v1;

	;;#ASMEND
	;;#ASMSTART
	v_pk_mul_f16 v2, v30, v2;

	;;#ASMEND
	;; [unrolled: 4-line block ×4, first 2 shown]
	;;#ASMSTART
	v_pk_add_f16 v1, v1, v2;

	;;#ASMEND
	;;#ASMSTART
	v_pk_add_f16 v1, v1, v3;

	;;#ASMEND
	;; [unrolled: 4-line block ×3, first 2 shown]
	v_and_b32_e32 v2, 0xffff, v1
	v_lshrrev_b32_e32 v1, 16, v1
	;;#ASMSTART
	v_cvt_f32_f16 v43, v2;
	;;#ASMEND
	;;#ASMSTART
	v_cvt_f32_f16 v44, v1;
	;;#ASMEND
	global_load_dwordx4 v[1:4], v[7:8], off offset:512
	s_waitcnt vmcnt(0)
	v_lshrrev_b32_e32 v47, 16, v1
	v_lshrrev_b32_e32 v46, 16, v2
	;; [unrolled: 1-line block ×3, first 2 shown]
	s_and_saveexec_b32 s18, s1
	s_cbranch_execz .LBB86_45
; %bb.44:                               ;   in Loop: Header=BB86_33 Depth=1
	v_add_nc_u32_e32 v48, -6, v20
	v_cmp_gt_i32_e32 vcc_lo, s11, v26
	v_add_nc_u32_e32 v49, -5, v20
	v_add_nc_u32_e32 v51, -1, v20
	;; [unrolled: 1-line block ×3, first 2 shown]
	v_cndmask_b32_e32 v1, 0, v1, vcc_lo
	v_cmp_gt_i32_e32 vcc_lo, s11, v48
	v_add_nc_u32_e32 v48, -3, v20
	v_cmp_gt_i32_e64 s2, s11, v50
	v_and_b32_e32 v50, 0xffff0000, v4
	v_cndmask_b32_e32 v47, 0, v47, vcc_lo
	v_cmp_gt_i32_e32 vcc_lo, s11, v49
	v_add_nc_u32_e32 v49, -2, v20
	v_cndmask_b32_e64 v46, 0, v46, s2
	v_cndmask_b32_e32 v2, 0, v2, vcc_lo
	v_cmp_gt_i32_e32 vcc_lo, s11, v51
	v_cndmask_b32_sdwa v4, v19, v4, vcc_lo dst_sel:DWORD dst_unused:UNUSED_PAD src0_sel:DWORD src1_sel:WORD_0
	v_cmp_gt_i32_e32 vcc_lo, s11, v20
	v_cndmask_b32_e32 v50, 0, v50, vcc_lo
	v_cmp_gt_i32_e32 vcc_lo, s11, v48
	v_or_b32_e32 v4, v4, v50
	v_cndmask_b32_e32 v3, 0, v3, vcc_lo
	v_cmp_gt_i32_e32 vcc_lo, s11, v49
	v_cndmask_b32_e32 v45, 0, v45, vcc_lo
.LBB86_45:                              ;   in Loop: Header=BB86_33 Depth=1
	s_or_b32 exec_lo, exec_lo, s18
	v_lshlrev_b32_e32 v47, 16, v47
	v_lshlrev_b32_e32 v46, 16, v46
	;; [unrolled: 1-line block ×3, first 2 shown]
	v_and_or_b32 v1, 0xffff, v1, v47
	v_and_or_b32 v2, 0xffff, v2, v46
	;; [unrolled: 1-line block ×3, first 2 shown]
	;;#ASMSTART
	v_pk_mul_f16 v1, v34, v1;

	;;#ASMEND
	;;#ASMSTART
	v_pk_mul_f16 v2, v30, v2;

	;;#ASMEND
	;; [unrolled: 4-line block ×4, first 2 shown]
	;;#ASMSTART
	v_pk_add_f16 v1, v1, v2;

	;;#ASMEND
	;;#ASMSTART
	v_pk_add_f16 v1, v1, v3;

	;;#ASMEND
	;;#ASMSTART
	v_pk_add_f16 v1, v1, v4;

	;;#ASMEND
	v_and_b32_e32 v2, 0xffff, v1
	v_lshrrev_b32_e32 v1, 16, v1
	;;#ASMSTART
	v_cvt_f32_f16 v45, v2;
	;;#ASMEND
	;;#ASMSTART
	v_cvt_f32_f16 v46, v1;
	;;#ASMEND
	global_load_dwordx4 v[1:4], v[7:8], off offset:1024
	s_waitcnt vmcnt(0)
	v_lshrrev_b32_e32 v47, 16, v1
	v_lshrrev_b32_e32 v8, 16, v2
	;; [unrolled: 1-line block ×3, first 2 shown]
	s_and_saveexec_b32 s18, s1
	s_cbranch_execz .LBB86_47
; %bb.46:                               ;   in Loop: Header=BB86_33 Depth=1
	v_add_nc_u32_e32 v48, -6, v20
	v_cmp_gt_i32_e32 vcc_lo, s11, v26
	v_add_nc_u32_e32 v49, -5, v20
	v_add_nc_u32_e32 v51, -1, v20
	;; [unrolled: 1-line block ×3, first 2 shown]
	v_cndmask_b32_e32 v1, 0, v1, vcc_lo
	v_cmp_gt_i32_e32 vcc_lo, s11, v48
	v_add_nc_u32_e32 v48, -3, v20
	v_cmp_gt_i32_e64 s2, s11, v50
	v_and_b32_e32 v50, 0xffff0000, v4
	v_cndmask_b32_e32 v47, 0, v47, vcc_lo
	v_cmp_gt_i32_e32 vcc_lo, s11, v49
	v_add_nc_u32_e32 v49, -2, v20
	v_cndmask_b32_e64 v8, 0, v8, s2
	v_cndmask_b32_e32 v2, 0, v2, vcc_lo
	v_cmp_gt_i32_e32 vcc_lo, s11, v51
	v_cndmask_b32_sdwa v4, v19, v4, vcc_lo dst_sel:DWORD dst_unused:UNUSED_PAD src0_sel:DWORD src1_sel:WORD_0
	v_cmp_gt_i32_e32 vcc_lo, s11, v20
	v_cndmask_b32_e32 v50, 0, v50, vcc_lo
	v_cmp_gt_i32_e32 vcc_lo, s11, v48
	v_or_b32_e32 v4, v4, v50
	v_cndmask_b32_e32 v3, 0, v3, vcc_lo
	v_cmp_gt_i32_e32 vcc_lo, s11, v49
	v_cndmask_b32_e32 v7, 0, v7, vcc_lo
.LBB86_47:                              ;   in Loop: Header=BB86_33 Depth=1
	s_or_b32 exec_lo, exec_lo, s18
	v_lshlrev_b32_e32 v47, 16, v47
	v_lshlrev_b32_e32 v8, 16, v8
	;; [unrolled: 1-line block ×3, first 2 shown]
	v_and_or_b32 v1, 0xffff, v1, v47
	v_and_or_b32 v2, 0xffff, v2, v8
	;; [unrolled: 1-line block ×3, first 2 shown]
	;;#ASMSTART
	v_pk_mul_f16 v1, v34, v1;

	;;#ASMEND
	;;#ASMSTART
	v_pk_mul_f16 v2, v30, v2;

	;;#ASMEND
	;; [unrolled: 4-line block ×4, first 2 shown]
	;;#ASMSTART
	v_pk_add_f16 v1, v1, v2;

	;;#ASMEND
	;;#ASMSTART
	v_pk_add_f16 v1, v1, v3;

	;;#ASMEND
	;; [unrolled: 4-line block ×3, first 2 shown]
	v_and_b32_e32 v2, 0xffff, v1
	v_lshrrev_b32_e32 v1, 16, v1
	;;#ASMSTART
	v_cvt_f32_f16 v7, v2;
	;;#ASMEND
	;;#ASMSTART
	v_cvt_f32_f16 v8, v1;
	;;#ASMEND
	s_and_saveexec_b32 s2, s0
	s_cbranch_execz .LBB86_32
; %bb.48:                               ;   in Loop: Header=BB86_33 Depth=1
	v_add_co_u32 v1, vcc_lo, v28, v23
	v_add_co_ci_u32_e64 v2, null, 0, v29, vcc_lo
	global_load_dwordx4 v[1:4], v[1:2], off
	s_waitcnt vmcnt(0)
	v_lshrrev_b32_e32 v47, 16, v1
	v_lshrrev_b32_e32 v29, 16, v2
	;; [unrolled: 1-line block ×3, first 2 shown]
	s_and_saveexec_b32 s18, s1
	s_cbranch_execz .LBB86_31
; %bb.49:                               ;   in Loop: Header=BB86_33 Depth=1
	v_add_nc_u32_e32 v48, -6, v20
	v_cmp_gt_i32_e32 vcc_lo, s11, v26
	v_add_nc_u32_e32 v26, -5, v20
	v_add_nc_u32_e32 v50, -1, v20
	;; [unrolled: 1-line block ×3, first 2 shown]
	v_cndmask_b32_e32 v1, 0, v1, vcc_lo
	v_cmp_gt_i32_e32 vcc_lo, s11, v48
	v_add_nc_u32_e32 v48, -2, v20
	v_cmp_gt_i32_e64 s1, s11, v49
	v_and_b32_e32 v49, 0xffff0000, v4
	v_cndmask_b32_e32 v47, 0, v47, vcc_lo
	v_cmp_gt_i32_e32 vcc_lo, s11, v26
	v_add_nc_u32_e32 v26, -3, v20
	v_cndmask_b32_e64 v29, 0, v29, s1
	v_cndmask_b32_e32 v2, 0, v2, vcc_lo
	v_cmp_gt_i32_e32 vcc_lo, s11, v50
	v_cndmask_b32_sdwa v4, v19, v4, vcc_lo dst_sel:DWORD dst_unused:UNUSED_PAD src0_sel:DWORD src1_sel:WORD_0
	v_cmp_gt_i32_e32 vcc_lo, s11, v20
	v_cndmask_b32_e32 v49, 0, v49, vcc_lo
	v_cmp_gt_i32_e32 vcc_lo, s11, v26
	v_or_b32_e32 v4, v4, v49
	v_cndmask_b32_e32 v3, 0, v3, vcc_lo
	v_cmp_gt_i32_e32 vcc_lo, s11, v48
	v_cndmask_b32_e32 v28, 0, v28, vcc_lo
	s_branch .LBB86_31
.LBB86_50:
	s_or_b32 exec_lo, exec_lo, s13
.LBB86_51:
	s_or_b32 exec_lo, exec_lo, s3
	ds_bpermute_b32 v1, v10, v17
	ds_bpermute_b32 v2, v10, v18
	ds_bpermute_b32 v3, v10, v16
	ds_bpermute_b32 v4, v10, v15
	ds_bpermute_b32 v19, v10, v14
	ds_bpermute_b32 v20, v10, v13
	ds_bpermute_b32 v21, v10, v12
	ds_bpermute_b32 v22, v10, v11
	s_movk_i32 s0, 0x1e0
	v_and_b32_e32 v23, 0x3c0, v0
	v_mad_u32_u24 v10, v33, s0, 0x110
	s_mov_b32 s1, exec_lo
	v_cmp_eq_u32_e32 vcc_lo, 0, v32
	s_waitcnt lgkmcnt(0)
	s_barrier
	buffer_gl0_inv
	v_add_f32_e32 v8, v17, v1
	v_add_f32_e32 v7, v18, v2
	;; [unrolled: 1-line block ×8, first 2 shown]
	v_cmpx_eq_u32_e32 64, v23
	s_cbranch_execz .LBB86_56
; %bb.52:
	v_add_nc_u32_e32 v11, 0xfffffc40, v10
	s_and_saveexec_b32 s0, vcc_lo
	s_cbranch_execz .LBB86_54
; %bb.53:
	v_lshl_add_u32 v12, v9, 2, v11
	ds_write2_b32 v12, v8, v7 offset1:16
	ds_write2_b32 v12, v6, v5 offset0:32 offset1:48
	ds_write2_b32 v12, v4, v3 offset0:64 offset1:80
	ds_write_b32 v12, v2 offset:384
.LBB86_54:
	s_or_b32 exec_lo, exec_lo, s0
	v_or_b32_e32 v12, 0x70, v9
	v_cmp_gt_u32_e64 s0, 0x78, v12
	s_and_b32 s0, vcc_lo, s0
	s_and_b32 exec_lo, exec_lo, s0
; %bb.55:
	v_lshl_add_u32 v11, v12, 2, v11
	ds_write_b32 v11, v1
.LBB86_56:
	s_or_b32 exec_lo, exec_lo, s1
	s_mov_b32 s1, exec_lo
	s_waitcnt lgkmcnt(0)
	s_barrier
	buffer_gl0_inv
	v_cmpx_gt_u32_e32 64, v0
	s_cbranch_execz .LBB86_68
; %bb.57:
	s_and_saveexec_b32 s0, vcc_lo
	s_cbranch_execnz .LBB86_103
; %bb.58:
	s_or_b32 exec_lo, exec_lo, s0
	s_and_saveexec_b32 s0, vcc_lo
	s_cbranch_execnz .LBB86_104
.LBB86_59:
	s_or_b32 exec_lo, exec_lo, s0
	s_and_saveexec_b32 s0, vcc_lo
	s_cbranch_execnz .LBB86_105
.LBB86_60:
	s_or_b32 exec_lo, exec_lo, s0
	s_and_saveexec_b32 s0, vcc_lo
	s_cbranch_execnz .LBB86_106
.LBB86_61:
	s_or_b32 exec_lo, exec_lo, s0
	s_and_saveexec_b32 s0, vcc_lo
	s_cbranch_execnz .LBB86_107
.LBB86_62:
	s_or_b32 exec_lo, exec_lo, s0
	s_and_saveexec_b32 s0, vcc_lo
	s_cbranch_execnz .LBB86_108
.LBB86_63:
	s_or_b32 exec_lo, exec_lo, s0
	s_and_saveexec_b32 s0, vcc_lo
	s_cbranch_execz .LBB86_65
.LBB86_64:
	v_lshl_add_u32 v11, v9, 2, v10
	ds_read_b32 v11, v11 offset:384
	s_waitcnt lgkmcnt(0)
	v_add_f32_e32 v2, v2, v11
.LBB86_65:
	s_or_b32 exec_lo, exec_lo, s0
	v_or_b32_e32 v11, 0x70, v9
	v_cmp_gt_u32_e64 s0, 0x78, v11
	s_and_b32 s2, vcc_lo, s0
	s_and_saveexec_b32 s0, s2
	s_cbranch_execz .LBB86_67
; %bb.66:
	v_lshl_add_u32 v11, v9, 2, v10
	ds_read_b32 v11, v11 offset:448
	s_waitcnt lgkmcnt(0)
	v_add_f32_e32 v1, v1, v11
.LBB86_67:
	s_or_b32 exec_lo, exec_lo, s0
.LBB86_68:
	s_or_b32 exec_lo, exec_lo, s1
	v_and_b32_e32 v11, 0x3e0, v0
	s_mov_b32 s1, exec_lo
	s_barrier
	buffer_gl0_inv
	v_cmpx_eq_u32_e32 32, v11
	s_cbranch_execz .LBB86_73
; %bb.69:
	v_lshl_add_u32 v11, v9, 2, 0x110
	s_and_saveexec_b32 s0, vcc_lo
	s_cbranch_execz .LBB86_71
; %bb.70:
	ds_write2_b32 v11, v8, v7 offset1:16
	ds_write2_b32 v11, v6, v5 offset0:32 offset1:48
	ds_write2_b32 v11, v4, v3 offset0:64 offset1:80
	ds_write_b32 v11, v2 offset:384
.LBB86_71:
	s_or_b32 exec_lo, exec_lo, s0
	v_or_b32_e32 v12, 0x70, v9
	v_cmp_gt_u32_e64 s0, 0x78, v12
	s_and_b32 s0, vcc_lo, s0
	s_and_b32 exec_lo, exec_lo, s0
; %bb.72:
	ds_write_b32 v11, v1 offset:448
.LBB86_73:
	s_or_b32 exec_lo, exec_lo, s1
	v_cmp_gt_u32_e64 s0, 32, v0
	s_waitcnt lgkmcnt(0)
	s_barrier
	buffer_gl0_inv
	s_and_saveexec_b32 s2, s0
	s_cbranch_execz .LBB86_85
; %bb.74:
	v_lshl_add_u32 v0, v9, 2, v10
	s_and_saveexec_b32 s1, vcc_lo
	s_cbranch_execnz .LBB86_109
; %bb.75:
	s_or_b32 exec_lo, exec_lo, s1
	s_and_saveexec_b32 s1, vcc_lo
	s_cbranch_execnz .LBB86_110
.LBB86_76:
	s_or_b32 exec_lo, exec_lo, s1
	s_and_saveexec_b32 s1, vcc_lo
	s_cbranch_execnz .LBB86_111
.LBB86_77:
	s_or_b32 exec_lo, exec_lo, s1
	s_and_saveexec_b32 s1, vcc_lo
	s_cbranch_execnz .LBB86_112
.LBB86_78:
	s_or_b32 exec_lo, exec_lo, s1
	s_and_saveexec_b32 s1, vcc_lo
	s_cbranch_execnz .LBB86_113
.LBB86_79:
	s_or_b32 exec_lo, exec_lo, s1
	s_and_saveexec_b32 s1, vcc_lo
	s_cbranch_execnz .LBB86_114
.LBB86_80:
	s_or_b32 exec_lo, exec_lo, s1
	s_and_saveexec_b32 s1, vcc_lo
	s_cbranch_execz .LBB86_82
.LBB86_81:
	ds_read_b32 v10, v0 offset:384
	s_waitcnt lgkmcnt(0)
	v_add_f32_e32 v2, v2, v10
.LBB86_82:
	s_or_b32 exec_lo, exec_lo, s1
	v_or_b32_e32 v9, 0x70, v9
	v_cmp_gt_u32_e64 s1, 0x78, v9
	s_and_b32 s3, vcc_lo, s1
	s_and_saveexec_b32 s1, s3
	s_cbranch_execz .LBB86_84
; %bb.83:
	ds_read_b32 v0, v0 offset:448
	s_waitcnt lgkmcnt(0)
	v_add_f32_e32 v1, v1, v0
.LBB86_84:
	s_or_b32 exec_lo, exec_lo, s1
.LBB86_85:
	s_or_b32 exec_lo, exec_lo, s2
	s_barrier
	buffer_gl0_inv
	s_and_saveexec_b32 s1, s0
	s_cbranch_execz .LBB86_102
; %bb.86:
	s_mul_i32 s0, s10, s7
	s_mul_i32 s2, s7, s6
	s_mul_i32 s0, s0, s9
	v_lshlrev_b32_e32 v0, 1, v31
	s_mulk_i32 s0, 0x78
	s_ashr_i32 s1, s0, 31
	s_lshl_b64 s[0:1], s[0:1], 1
	s_add_u32 s4, s16, s0
	s_addc_u32 s5, s17, s1
	s_ashr_i32 s3, s2, 31
	s_lshl_b64 s[0:1], s[2:3], 1
	s_mul_i32 s2, s8, 0x78
	s_add_u32 s4, s4, s0
	s_addc_u32 s5, s5, s1
	s_ashr_i32 s3, s2, 31
	s_lshl_b64 s[0:1], s[2:3], 1
	s_add_u32 s2, s4, s0
	s_addc_u32 s3, s5, s1
	s_and_saveexec_b32 s0, vcc_lo
	s_cbranch_execz .LBB86_88
; %bb.87:
	;;#ASMSTART
	v_cvt_f16_f32 v8, v8;

	;;#ASMEND
	global_store_short v0, v8, s[2:3]
.LBB86_88:
	s_or_b32 exec_lo, exec_lo, s0
	v_or_b32_e32 v8, 16, v31
	v_cmp_gt_u32_e64 s0, 0x78, v8
	s_and_b32 s1, vcc_lo, s0
	s_and_saveexec_b32 s0, s1
	s_cbranch_execz .LBB86_90
; %bb.89:
	;;#ASMSTART
	v_cvt_f16_f32 v7, v7;

	;;#ASMEND
	global_store_short v0, v7, s[2:3] offset:32
.LBB86_90:
	s_or_b32 exec_lo, exec_lo, s0
	v_or_b32_e32 v7, 32, v31
	v_cmp_gt_u32_e64 s0, 0x78, v7
	s_and_b32 s1, vcc_lo, s0
	s_and_saveexec_b32 s0, s1
	s_cbranch_execz .LBB86_92
; %bb.91:
	;;#ASMSTART
	v_cvt_f16_f32 v6, v6;

	;;#ASMEND
	global_store_short v0, v6, s[2:3] offset:64
.LBB86_92:
	;; [unrolled: 13-line block ×6, first 2 shown]
	s_or_b32 exec_lo, exec_lo, s0
	v_or_b32_e32 v2, 0x70, v31
	v_cmp_gt_u32_e64 s0, 0x78, v2
	s_and_b32 s0, vcc_lo, s0
	s_and_b32 exec_lo, exec_lo, s0
	s_cbranch_execz .LBB86_102
; %bb.101:
	;;#ASMSTART
	v_cvt_f16_f32 v1, v1;

	;;#ASMEND
	global_store_short v0, v1, s[2:3] offset:224
.LBB86_102:
	s_endpgm
.LBB86_103:
	v_lshl_add_u32 v11, v9, 2, v10
	ds_read_b32 v11, v11
	s_waitcnt lgkmcnt(0)
	v_add_f32_e32 v8, v8, v11
	s_or_b32 exec_lo, exec_lo, s0
	s_and_saveexec_b32 s0, vcc_lo
	s_cbranch_execz .LBB86_59
.LBB86_104:
	v_lshl_add_u32 v11, v9, 2, v10
	ds_read_b32 v11, v11 offset:64
	s_waitcnt lgkmcnt(0)
	v_add_f32_e32 v7, v7, v11
	s_or_b32 exec_lo, exec_lo, s0
	s_and_saveexec_b32 s0, vcc_lo
	s_cbranch_execz .LBB86_60
.LBB86_105:
	v_lshl_add_u32 v11, v9, 2, v10
	ds_read_b32 v11, v11 offset:128
	s_waitcnt lgkmcnt(0)
	v_add_f32_e32 v6, v6, v11
	s_or_b32 exec_lo, exec_lo, s0
	s_and_saveexec_b32 s0, vcc_lo
	s_cbranch_execz .LBB86_61
.LBB86_106:
	v_lshl_add_u32 v11, v9, 2, v10
	ds_read_b32 v11, v11 offset:192
	s_waitcnt lgkmcnt(0)
	v_add_f32_e32 v5, v5, v11
	s_or_b32 exec_lo, exec_lo, s0
	s_and_saveexec_b32 s0, vcc_lo
	s_cbranch_execz .LBB86_62
.LBB86_107:
	v_lshl_add_u32 v11, v9, 2, v10
	ds_read_b32 v11, v11 offset:256
	s_waitcnt lgkmcnt(0)
	v_add_f32_e32 v4, v4, v11
	s_or_b32 exec_lo, exec_lo, s0
	s_and_saveexec_b32 s0, vcc_lo
	s_cbranch_execz .LBB86_63
.LBB86_108:
	v_lshl_add_u32 v11, v9, 2, v10
	ds_read_b32 v11, v11 offset:320
	s_waitcnt lgkmcnt(0)
	v_add_f32_e32 v3, v3, v11
	s_or_b32 exec_lo, exec_lo, s0
	s_and_saveexec_b32 s0, vcc_lo
	s_cbranch_execnz .LBB86_64
	s_branch .LBB86_65
.LBB86_109:
	ds_read_b32 v10, v0
	s_waitcnt lgkmcnt(0)
	v_add_f32_e32 v8, v8, v10
	s_or_b32 exec_lo, exec_lo, s1
	s_and_saveexec_b32 s1, vcc_lo
	s_cbranch_execz .LBB86_76
.LBB86_110:
	ds_read_b32 v10, v0 offset:64
	s_waitcnt lgkmcnt(0)
	v_add_f32_e32 v7, v7, v10
	s_or_b32 exec_lo, exec_lo, s1
	s_and_saveexec_b32 s1, vcc_lo
	s_cbranch_execz .LBB86_77
.LBB86_111:
	ds_read_b32 v10, v0 offset:128
	s_waitcnt lgkmcnt(0)
	v_add_f32_e32 v6, v6, v10
	s_or_b32 exec_lo, exec_lo, s1
	s_and_saveexec_b32 s1, vcc_lo
	s_cbranch_execz .LBB86_78
.LBB86_112:
	ds_read_b32 v10, v0 offset:192
	s_waitcnt lgkmcnt(0)
	v_add_f32_e32 v5, v5, v10
	s_or_b32 exec_lo, exec_lo, s1
	s_and_saveexec_b32 s1, vcc_lo
	s_cbranch_execz .LBB86_79
.LBB86_113:
	ds_read_b32 v10, v0 offset:256
	s_waitcnt lgkmcnt(0)
	v_add_f32_e32 v4, v4, v10
	s_or_b32 exec_lo, exec_lo, s1
	s_and_saveexec_b32 s1, vcc_lo
	s_cbranch_execz .LBB86_80
.LBB86_114:
	ds_read_b32 v10, v0 offset:320
	s_waitcnt lgkmcnt(0)
	v_add_f32_e32 v3, v3, v10
	s_or_b32 exec_lo, exec_lo, s1
	s_and_saveexec_b32 s1, vcc_lo
	s_cbranch_execnz .LBB86_81
	s_branch .LBB86_82
	.section	.rodata,"a",@progbits
	.p2align	6, 0x0
	.amdhsa_kernel _ZN4vllm25paged_attention_v1_kernelIttLi120ELi16ELi128ELNS_18Fp8KVCacheDataTypeE0ELb0EEEvPT_PKS2_PKT0_S8_ifPKiSA_iPKfiiiSC_SC_iiiii
		.amdhsa_group_segment_fixed_size 272
		.amdhsa_private_segment_fixed_size 0
		.amdhsa_kernarg_size 384
		.amdhsa_user_sgpr_count 6
		.amdhsa_user_sgpr_private_segment_buffer 1
		.amdhsa_user_sgpr_dispatch_ptr 0
		.amdhsa_user_sgpr_queue_ptr 0
		.amdhsa_user_sgpr_kernarg_segment_ptr 1
		.amdhsa_user_sgpr_dispatch_id 0
		.amdhsa_user_sgpr_flat_scratch_init 0
		.amdhsa_user_sgpr_private_segment_size 0
		.amdhsa_wavefront_size32 1
		.amdhsa_uses_dynamic_stack 0
		.amdhsa_system_sgpr_private_segment_wavefront_offset 0
		.amdhsa_system_sgpr_workgroup_id_x 1
		.amdhsa_system_sgpr_workgroup_id_y 1
		.amdhsa_system_sgpr_workgroup_id_z 1
		.amdhsa_system_sgpr_workgroup_info 0
		.amdhsa_system_vgpr_workitem_id 0
		.amdhsa_next_free_vgpr 90
		.amdhsa_next_free_sgpr 27
		.amdhsa_reserve_vcc 1
		.amdhsa_reserve_flat_scratch 0
		.amdhsa_float_round_mode_32 0
		.amdhsa_float_round_mode_16_64 0
		.amdhsa_float_denorm_mode_32 3
		.amdhsa_float_denorm_mode_16_64 3
		.amdhsa_dx10_clamp 1
		.amdhsa_ieee_mode 1
		.amdhsa_fp16_overflow 0
		.amdhsa_workgroup_processor_mode 1
		.amdhsa_memory_ordered 1
		.amdhsa_forward_progress 1
		.amdhsa_shared_vgpr_count 0
		.amdhsa_exception_fp_ieee_invalid_op 0
		.amdhsa_exception_fp_denorm_src 0
		.amdhsa_exception_fp_ieee_div_zero 0
		.amdhsa_exception_fp_ieee_overflow 0
		.amdhsa_exception_fp_ieee_underflow 0
		.amdhsa_exception_fp_ieee_inexact 0
		.amdhsa_exception_int_div_zero 0
	.end_amdhsa_kernel
	.section	.text._ZN4vllm25paged_attention_v1_kernelIttLi120ELi16ELi128ELNS_18Fp8KVCacheDataTypeE0ELb0EEEvPT_PKS2_PKT0_S8_ifPKiSA_iPKfiiiSC_SC_iiiii,"axG",@progbits,_ZN4vllm25paged_attention_v1_kernelIttLi120ELi16ELi128ELNS_18Fp8KVCacheDataTypeE0ELb0EEEvPT_PKS2_PKT0_S8_ifPKiSA_iPKfiiiSC_SC_iiiii,comdat
.Lfunc_end86:
	.size	_ZN4vllm25paged_attention_v1_kernelIttLi120ELi16ELi128ELNS_18Fp8KVCacheDataTypeE0ELb0EEEvPT_PKS2_PKT0_S8_ifPKiSA_iPKfiiiSC_SC_iiiii, .Lfunc_end86-_ZN4vllm25paged_attention_v1_kernelIttLi120ELi16ELi128ELNS_18Fp8KVCacheDataTypeE0ELb0EEEvPT_PKS2_PKT0_S8_ifPKiSA_iPKfiiiSC_SC_iiiii
                                        ; -- End function
	.set _ZN4vllm25paged_attention_v1_kernelIttLi120ELi16ELi128ELNS_18Fp8KVCacheDataTypeE0ELb0EEEvPT_PKS2_PKT0_S8_ifPKiSA_iPKfiiiSC_SC_iiiii.num_vgpr, 90
	.set _ZN4vllm25paged_attention_v1_kernelIttLi120ELi16ELi128ELNS_18Fp8KVCacheDataTypeE0ELb0EEEvPT_PKS2_PKT0_S8_ifPKiSA_iPKfiiiSC_SC_iiiii.num_agpr, 0
	.set _ZN4vllm25paged_attention_v1_kernelIttLi120ELi16ELi128ELNS_18Fp8KVCacheDataTypeE0ELb0EEEvPT_PKS2_PKT0_S8_ifPKiSA_iPKfiiiSC_SC_iiiii.numbered_sgpr, 27
	.set _ZN4vllm25paged_attention_v1_kernelIttLi120ELi16ELi128ELNS_18Fp8KVCacheDataTypeE0ELb0EEEvPT_PKS2_PKT0_S8_ifPKiSA_iPKfiiiSC_SC_iiiii.num_named_barrier, 0
	.set _ZN4vllm25paged_attention_v1_kernelIttLi120ELi16ELi128ELNS_18Fp8KVCacheDataTypeE0ELb0EEEvPT_PKS2_PKT0_S8_ifPKiSA_iPKfiiiSC_SC_iiiii.private_seg_size, 0
	.set _ZN4vllm25paged_attention_v1_kernelIttLi120ELi16ELi128ELNS_18Fp8KVCacheDataTypeE0ELb0EEEvPT_PKS2_PKT0_S8_ifPKiSA_iPKfiiiSC_SC_iiiii.uses_vcc, 1
	.set _ZN4vllm25paged_attention_v1_kernelIttLi120ELi16ELi128ELNS_18Fp8KVCacheDataTypeE0ELb0EEEvPT_PKS2_PKT0_S8_ifPKiSA_iPKfiiiSC_SC_iiiii.uses_flat_scratch, 0
	.set _ZN4vllm25paged_attention_v1_kernelIttLi120ELi16ELi128ELNS_18Fp8KVCacheDataTypeE0ELb0EEEvPT_PKS2_PKT0_S8_ifPKiSA_iPKfiiiSC_SC_iiiii.has_dyn_sized_stack, 0
	.set _ZN4vllm25paged_attention_v1_kernelIttLi120ELi16ELi128ELNS_18Fp8KVCacheDataTypeE0ELb0EEEvPT_PKS2_PKT0_S8_ifPKiSA_iPKfiiiSC_SC_iiiii.has_recursion, 0
	.set _ZN4vllm25paged_attention_v1_kernelIttLi120ELi16ELi128ELNS_18Fp8KVCacheDataTypeE0ELb0EEEvPT_PKS2_PKT0_S8_ifPKiSA_iPKfiiiSC_SC_iiiii.has_indirect_call, 0
	.section	.AMDGPU.csdata,"",@progbits
; Kernel info:
; codeLenInByte = 11216
; TotalNumSgprs: 29
; NumVgprs: 90
; ScratchSize: 0
; MemoryBound: 0
; FloatMode: 240
; IeeeMode: 1
; LDSByteSize: 272 bytes/workgroup (compile time only)
; SGPRBlocks: 0
; VGPRBlocks: 11
; NumSGPRsForWavesPerEU: 29
; NumVGPRsForWavesPerEU: 90
; Occupancy: 10
; WaveLimiterHint : 1
; COMPUTE_PGM_RSRC2:SCRATCH_EN: 0
; COMPUTE_PGM_RSRC2:USER_SGPR: 6
; COMPUTE_PGM_RSRC2:TRAP_HANDLER: 0
; COMPUTE_PGM_RSRC2:TGID_X_EN: 1
; COMPUTE_PGM_RSRC2:TGID_Y_EN: 1
; COMPUTE_PGM_RSRC2:TGID_Z_EN: 1
; COMPUTE_PGM_RSRC2:TIDIG_COMP_CNT: 0
	.section	.text._ZN4vllm25paged_attention_v1_kernelIttLi128ELi16ELi128ELNS_18Fp8KVCacheDataTypeE0ELb0EEEvPT_PKS2_PKT0_S8_ifPKiSA_iPKfiiiSC_SC_iiiii,"axG",@progbits,_ZN4vllm25paged_attention_v1_kernelIttLi128ELi16ELi128ELNS_18Fp8KVCacheDataTypeE0ELb0EEEvPT_PKS2_PKT0_S8_ifPKiSA_iPKfiiiSC_SC_iiiii,comdat
	.protected	_ZN4vllm25paged_attention_v1_kernelIttLi128ELi16ELi128ELNS_18Fp8KVCacheDataTypeE0ELb0EEEvPT_PKS2_PKT0_S8_ifPKiSA_iPKfiiiSC_SC_iiiii ; -- Begin function _ZN4vllm25paged_attention_v1_kernelIttLi128ELi16ELi128ELNS_18Fp8KVCacheDataTypeE0ELb0EEEvPT_PKS2_PKT0_S8_ifPKiSA_iPKfiiiSC_SC_iiiii
	.globl	_ZN4vllm25paged_attention_v1_kernelIttLi128ELi16ELi128ELNS_18Fp8KVCacheDataTypeE0ELb0EEEvPT_PKS2_PKT0_S8_ifPKiSA_iPKfiiiSC_SC_iiiii
	.p2align	8
	.type	_ZN4vllm25paged_attention_v1_kernelIttLi128ELi16ELi128ELNS_18Fp8KVCacheDataTypeE0ELb0EEEvPT_PKS2_PKT0_S8_ifPKiSA_iPKfiiiSC_SC_iiiii,@function
_ZN4vllm25paged_attention_v1_kernelIttLi128ELi16ELi128ELNS_18Fp8KVCacheDataTypeE0ELb0EEEvPT_PKS2_PKT0_S8_ifPKiSA_iPKfiiiSC_SC_iiiii: ; @_ZN4vllm25paged_attention_v1_kernelIttLi128ELi16ELi128ELNS_18Fp8KVCacheDataTypeE0ELb0EEEvPT_PKS2_PKT0_S8_ifPKiSA_iPKfiiiSC_SC_iiiii
; %bb.0:
	s_clause 0x2
	s_load_dword s9, s[4:5], 0x80
	s_load_dwordx2 s[0:1], s[4:5], 0x30
	s_load_dwordx2 s[24:25], s[4:5], 0x20
	s_mov_b32 s10, s7
	s_ashr_i32 s11, s7, 31
	s_lshl_b64 s[2:3], s[10:11], 2
	s_waitcnt lgkmcnt(0)
	s_add_u32 s0, s0, s2
	s_addc_u32 s1, s1, s3
	s_abs_i32 s2, s24
	s_abs_i32 s11, s9
	v_cvt_f32_u32_e32 v1, s2
	s_sub_i32 s7, 0, s2
	v_rcp_iflag_f32_e32 v1, v1
	v_mul_f32_e32 v1, 0x4f7ffffe, v1
	v_cvt_u32_f32_e32 v1, v1
	v_readfirstlane_b32 s3, v1
	s_mul_i32 s7, s7, s3
	s_mul_hi_u32 s7, s3, s7
	s_add_i32 s3, s3, s7
	s_xor_b32 s7, s9, s24
	s_mul_hi_u32 s3, s11, s3
	s_ashr_i32 s7, s7, 31
	s_mul_i32 s12, s3, s2
	s_mov_b32 s24, 0
	s_sub_i32 s11, s11, s12
	s_add_i32 s12, s3, 1
	s_sub_i32 s13, s11, s2
	s_cmp_ge_u32 s11, s2
	s_cselect_b32 s3, s12, s3
	s_cselect_b32 s11, s13, s11
	s_add_i32 s12, s3, 1
	s_cmp_ge_u32 s11, s2
	s_cselect_b32 s2, s12, s3
	s_abs_i32 s17, s6
	s_xor_b32 s2, s2, s7
	s_sub_i32 s18, s2, s7
	s_load_dwordx2 s[2:3], s[4:5], 0x40
	s_abs_i32 s16, s18
	v_cvt_f32_u32_e32 v1, s16
	s_sub_i32 s11, 0, s16
	v_rcp_iflag_f32_e32 v1, v1
	v_mul_f32_e32 v1, 0x4f7ffffe, v1
	v_cvt_u32_f32_e32 v1, v1
	v_readfirstlane_b32 s7, v1
	s_mul_i32 s11, s11, s7
	s_mul_hi_u32 s11, s7, s11
	s_add_i32 s7, s7, s11
	s_waitcnt lgkmcnt(0)
	s_cmp_eq_u64 s[2:3], 0
	s_mul_hi_u32 s20, s17, s7
	s_cbranch_scc1 .LBB87_2
; %bb.1:
	s_ashr_i32 s7, s6, 31
	s_lshl_b64 s[12:13], s[6:7], 2
	s_add_u32 s2, s2, s12
	s_addc_u32 s3, s3, s13
	s_load_dword s24, s[2:3], 0x0
.LBB87_2:
	s_load_dword s11, s[0:1], 0x0
	s_load_dwordx4 s[12:15], s[4:5], 0x48
	v_lshrrev_b32_e32 v31, 1, v0
	v_and_b32_e32 v32, 1, v0
	v_cmp_gt_u32_e64 s0, 32, v0
	v_lshlrev_b32_e32 v34, 3, v0
	s_ashr_i32 s1, s6, 31
	s_ashr_i32 s2, s18, 31
	s_lshl_b32 s6, s6, 7
	s_and_saveexec_b32 s3, s0
	s_cbranch_execz .LBB87_4
; %bb.3:
	s_load_dwordx2 s[18:19], s[4:5], 0x8
	s_waitcnt lgkmcnt(0)
	s_mul_i32 s22, s12, s10
	v_lshlrev_b32_e32 v3, 3, v31
	s_ashr_i32 s23, s22, 31
	s_lshl_b64 s[22:23], s[22:23], 1
	v_lshl_add_u32 v3, v32, 7, v3
	s_add_u32 s12, s18, s22
	s_addc_u32 s15, s19, s23
	s_ashr_i32 s7, s6, 31
	s_lshl_b64 s[18:19], s[6:7], 1
	s_add_u32 s18, s12, s18
	s_addc_u32 s19, s15, s19
	global_load_dwordx2 v[1:2], v34, s[18:19]
	s_waitcnt vmcnt(0)
	ds_write_b64 v3, v[1:2]
.LBB87_4:
	s_or_b32 exec_lo, exec_lo, s3
	s_waitcnt lgkmcnt(0)
	s_add_i32 s3, s11, 15
	s_clause 0x1
	s_load_dwordx2 s[18:19], s[4:5], 0x28
	s_load_dword s15, s[4:5], 0x38
	s_ashr_i32 s7, s3, 31
	s_xor_b32 s1, s1, s2
	s_lshr_b32 s7, s7, 28
	s_mul_i32 s2, s20, s16
	s_add_i32 s3, s3, s7
	s_sub_i32 s2, s17, s2
	s_ashr_i32 s12, s3, 4
	s_add_i32 s3, s20, 1
	s_sub_i32 s7, s2, s16
	s_cmp_ge_u32 s2, s16
	v_lshrrev_b32_e32 v33, 5, v0
	s_cselect_b32 s3, s3, s20
	s_cselect_b32 s2, s7, s2
	s_add_i32 s7, s3, 1
	s_cmp_ge_u32 s2, s16
	v_mbcnt_lo_u32_b32 v36, -1, 0
	s_cselect_b32 s2, s7, s3
	s_mov_b32 s3, exec_lo
	s_xor_b32 s2, s2, s1
	s_waitcnt lgkmcnt(0)
	s_mul_i32 s20, s15, s10
	s_sub_i32 s2, s2, s1
	v_cmp_gt_i32_e64 s1, s12, v33
	s_ashr_i32 s21, s20, 31
	s_barrier
	buffer_gl0_inv
                                        ; implicit-def: $vgpr37
                                        ; implicit-def: $vgpr38
	v_cmpx_le_i32_e64 s12, v33
	s_xor_b32 s3, exec_lo, s3
; %bb.5:
	v_mov_b32_e32 v37, 0
	v_mbcnt_lo_u32_b32 v36, -1, 0
	v_mov_b32_e32 v38, 32
; %bb.6:
	s_or_saveexec_b32 s26, s3
	s_clause 0x2
	s_load_dwordx2 s[16:17], s[4:5], 0x0
	s_load_dwordx2 s[22:23], s[4:5], 0x18
	s_load_dword s7, s[4:5], 0x88
	v_mov_b32_e32 v39, 0xff7fffff
	v_lshrrev_b32_e32 v35, 3, v0
	s_mul_i32 s14, s2, s14
	s_xor_b32 exec_lo, exec_lo, s26
	s_cbranch_execz .LBB87_12
; %bb.7:
	s_load_dwordx2 s[4:5], s[4:5], 0x10
	v_bfe_u32 v1, v0, 1, 4
	s_ashr_i32 s15, s14, 31
	v_and_b32_e32 v3, 8, v34
	s_lshl_b64 s[28:29], s[14:15], 1
	v_and_b32_e32 v4, 0x7c, v35
	v_lshlrev_b32_e32 v2, 2, v1
	v_lshlrev_b32_e32 v5, 4, v1
	v_lshl_or_b32 v41, v33, 4, v1
	v_mov_b32_e32 v37, 0
	v_lshlrev_b32_e32 v40, 7, v32
	v_lshl_or_b32 v2, v33, 6, v2
	v_cmp_neq_f32_e64 s2, s24, 0
	v_mov_b32_e32 v39, 0xff7fffff
	v_xor_b32_e32 v45, 1, v36
	v_mov_b32_e32 v38, 32
	v_add_nc_u32_e32 v42, 0x120, v2
	v_mov_b32_e32 v46, v33
	s_mov_b32 s27, s13
	v_cmp_eq_u32_e32 vcc_lo, 0, v32
	s_waitcnt lgkmcnt(0)
	s_add_u32 s3, s4, s28
	s_addc_u32 s4, s5, s29
	v_add_co_u32 v1, s3, s3, v5
	v_add_co_ci_u32_e64 v2, null, s4, 0, s3
	s_lshl_b64 s[28:29], s[20:21], 2
	s_sub_i32 s5, 1, s11
	s_add_u32 s4, s18, s28
	v_add_co_u32 v43, s3, v1, v3
	s_addc_u32 s15, s19, s29
	v_add_co_ci_u32_e64 v44, null, 0, v2, s3
	v_add_co_u32 v1, s3, s4, v4
	v_add_co_ci_u32_e64 v2, null, s15, 0, s3
	s_mov_b32 s15, 0
	s_branch .LBB87_9
.LBB87_8:                               ;   in Loop: Header=BB87_9 Depth=1
	s_or_b32 exec_lo, exec_lo, s4
	v_add_nc_u32_e32 v46, 4, v46
	v_add_co_u32 v1, s4, v1, 16
	v_add_nc_u32_e32 v41, 64, v41
	v_add_nc_u32_e32 v42, 0x100, v42
	v_cmp_le_i32_e64 s3, s12, v46
	v_add_co_ci_u32_e64 v2, null, 0, v2, s4
	s_or_b32 s15, s3, s15
	s_andn2_b32 exec_lo, exec_lo, s15
	s_cbranch_execz .LBB87_11
.LBB87_9:                               ; =>This Inner Loop Header: Depth=1
	global_load_dword v3, v[1:2], off
	s_waitcnt vmcnt(0) lgkmcnt(0)
	v_mad_i64_i32 v[3:4], null, v3, s27, 0
	v_lshlrev_b64 v[3:4], 1, v[3:4]
	v_add_co_u32 v3, s3, v43, v3
	v_add_co_ci_u32_e64 v4, null, v44, v4, s3
	s_clause 0x7
	global_load_dwordx2 v[47:48], v[3:4], off
	global_load_dwordx2 v[55:56], v[3:4], off offset:256
	global_load_dwordx2 v[29:30], v[3:4], off offset:512
	;; [unrolled: 1-line block ×7, first 2 shown]
	v_add_co_u32 v3, s3, 0x800, v3
	v_add_co_ci_u32_e64 v4, null, 0, v4, s3
	ds_read_b64 v[5:6], v40
	v_cmp_gt_i32_e64 s3, 32, v45
	s_clause 0x1
	global_load_dwordx2 v[15:16], v[3:4], off
	global_load_dwordx2 v[17:18], v[3:4], off offset:256
	s_waitcnt lgkmcnt(0)
	v_and_b32_e32 v49, 0xffff, v5
	v_lshrrev_b32_e32 v50, 16, v5
	v_lshrrev_b32_e32 v57, 16, v6
	v_and_b32_e32 v58, 0xffff, v6
	s_clause 0x5
	global_load_dwordx2 v[13:14], v[3:4], off offset:512
	global_load_dwordx2 v[11:12], v[3:4], off offset:768
	;; [unrolled: 1-line block ×6, first 2 shown]
	;;#ASMSTART
	v_cvt_f32_f16 v52, v49;
	;;#ASMEND
	;;#ASMSTART
	v_cvt_f32_f16 v51, v50;
	;;#ASMEND
	s_waitcnt vmcnt(15)
	v_and_b32_e32 v49, 0xffff, v47
	v_lshrrev_b32_e32 v47, 16, v47
	v_and_b32_e32 v50, 0xffff, v48
	v_lshrrev_b32_e32 v59, 16, v48
	;;#ASMSTART
	v_cvt_f32_f16 v54, v49;
	;;#ASMEND
	;;#ASMSTART
	v_cvt_f32_f16 v53, v47;
	;;#ASMEND
	;; [unrolled: 3-line block ×6, first 2 shown]
	ds_read_b64 v[57:58], v40 offset:8
	s_waitcnt vmcnt(14)
	v_lshrrev_b32_e32 v60, 16, v55
	v_and_b32_e32 v55, 0xffff, v55
	v_lshrrev_b32_e32 v63, 16, v56
	v_and_b32_e32 v56, 0xffff, v56
	s_waitcnt vmcnt(13)
	v_lshrrev_b32_e32 v66, 16, v29
	v_and_b32_e32 v65, 0xffff, v29
	v_lshrrev_b32_e32 v69, 16, v30
	v_and_b32_e32 v68, 0xffff, v30
	;; [unrolled: 5-line block ×4, first 2 shown]
	s_waitcnt vmcnt(10)
	v_lshrrev_b32_e32 v83, 16, v23
	v_and_b32_e32 v84, 0xffff, v23
	v_lshrrev_b32_e32 v85, 16, v24
	s_waitcnt lgkmcnt(0)
	v_and_b32_e32 v59, 0xffff, v57
	v_lshrrev_b32_e32 v61, 16, v57
	v_and_b32_e32 v62, 0xffff, v58
	v_lshrrev_b32_e32 v64, 16, v58
	;;#ASMSTART
	v_cvt_f32_f16 v57, v59;
	;;#ASMEND
	;;#ASMSTART
	v_cvt_f32_f16 v58, v61;
	;;#ASMEND
	;; [unrolled: 3-line block ×8, first 2 shown]
	ds_read_b64 v[63:64], v40 offset:16
	v_and_b32_e32 v24, 0xffff, v24
	s_waitcnt vmcnt(9)
	v_lshrrev_b32_e32 v86, 16, v21
	v_and_b32_e32 v87, 0xffff, v21
	v_lshrrev_b32_e32 v88, 16, v22
	v_and_b32_e32 v89, 0xffff, v22
	v_mul_f32_e32 v22, v57, v59
	v_mul_f32_e32 v21, v61, v62
	;; [unrolled: 1-line block ×3, first 2 shown]
	v_fmac_f32_e32 v22, v52, v54
	v_fmac_f32_e32 v21, v48, v50
	;; [unrolled: 1-line block ×3, first 2 shown]
	s_waitcnt lgkmcnt(0)
	v_and_b32_e32 v29, 0xffff, v63
	v_lshrrev_b32_e32 v67, 16, v63
	v_and_b32_e32 v70, 0xffff, v64
	v_lshrrev_b32_e32 v64, 16, v64
	;;#ASMSTART
	v_cvt_f32_f16 v63, v29;
	;;#ASMEND
	;;#ASMSTART
	v_cvt_f32_f16 v29, v67;
	;;#ASMEND
	;; [unrolled: 3-line block ×8, first 2 shown]
	ds_read_b64 v[69:70], v40 offset:24
	v_fmac_f32_e32 v22, v63, v65
	s_waitcnt vmcnt(7)
	v_lshrrev_b32_e32 v63, 16, v15
	v_fmac_f32_e32 v23, v29, v30
	v_and_b32_e32 v15, 0xffff, v15
	v_fmac_f32_e32 v21, v67, v68
	s_waitcnt vmcnt(6)
	v_lshrrev_b32_e32 v67, 16, v17
	v_and_b32_e32 v68, 0xffff, v17
	s_waitcnt lgkmcnt(0)
	v_and_b32_e32 v27, 0xffff, v69
	v_lshrrev_b32_e32 v73, 16, v69
	v_and_b32_e32 v76, 0xffff, v70
	v_lshrrev_b32_e32 v70, 16, v70
	;;#ASMSTART
	v_cvt_f32_f16 v69, v27;
	;;#ASMEND
	;;#ASMSTART
	v_cvt_f32_f16 v27, v73;
	;;#ASMEND
	;; [unrolled: 3-line block ×8, first 2 shown]
	ds_read_b64 v[75:76], v40 offset:32
	v_fmac_f32_e32 v22, v69, v71
	v_lshrrev_b32_e32 v71, 16, v18
	v_and_b32_e32 v69, 0xffff, v18
	v_fmac_f32_e32 v21, v73, v74
	v_fmac_f32_e32 v23, v27, v28
	s_waitcnt lgkmcnt(0)
	v_and_b32_e32 v77, 0xffff, v75
	v_lshrrev_b32_e32 v79, 16, v75
	v_and_b32_e32 v80, 0xffff, v76
	v_lshrrev_b32_e32 v81, 16, v76
	;;#ASMSTART
	v_cvt_f32_f16 v75, v77;
	;;#ASMEND
	;;#ASMSTART
	v_cvt_f32_f16 v76, v79;
	;;#ASMEND
	;; [unrolled: 3-line block ×8, first 2 shown]
	ds_read_b64 v[25:26], v40 offset:40
	v_fmac_f32_e32 v22, v75, v77
	v_fmac_f32_e32 v23, v76, v78
	s_waitcnt vmcnt(4)
	v_lshrrev_b32_e32 v77, 16, v11
	v_fmac_f32_e32 v21, v79, v81
	v_and_b32_e32 v11, 0xffff, v11
	v_lshrrev_b32_e32 v81, 16, v12
	v_and_b32_e32 v12, 0xffff, v12
	s_waitcnt lgkmcnt(0)
	v_and_b32_e32 v57, 0xffff, v25
	v_lshrrev_b32_e32 v25, 16, v25
	v_and_b32_e32 v61, 0xffff, v26
	v_lshrrev_b32_e32 v26, 16, v26
	;;#ASMSTART
	v_cvt_f32_f16 v57, v57;
	;;#ASMEND
	;;#ASMSTART
	v_cvt_f32_f16 v58, v25;
	;;#ASMEND
	;; [unrolled: 3-line block ×8, first 2 shown]
	ds_read_b64 v[24:25], v40 offset:48
	v_fmac_f32_e32 v22, v57, v59
	v_fmac_f32_e32 v23, v58, v60
	;; [unrolled: 1-line block ×3, first 2 shown]
	s_waitcnt vmcnt(2)
	v_lshrrev_b32_e32 v83, 16, v7
	v_and_b32_e32 v7, 0xffff, v7
	s_waitcnt lgkmcnt(0)
	v_and_b32_e32 v26, 0xffff, v24
	v_lshrrev_b32_e32 v90, 16, v25
	v_and_b32_e32 v25, 0xffff, v25
	v_lshrrev_b32_e32 v24, 16, v24
	;;#ASMSTART
	v_cvt_f32_f16 v51, v26;
	;;#ASMEND
	;;#ASMSTART
	v_cvt_f32_f16 v52, v24;
	;;#ASMEND
	;;#ASMSTART
	v_cvt_f32_f16 v53, v87;
	;;#ASMEND
	;;#ASMSTART
	v_cvt_f32_f16 v54, v86;
	;;#ASMEND
	;;#ASMSTART
	v_cvt_f32_f16 v85, v25;
	;;#ASMEND
	;;#ASMSTART
	v_cvt_f32_f16 v86, v90;
	;;#ASMEND
	;;#ASMSTART
	v_cvt_f32_f16 v87, v89;
	;;#ASMEND
	;;#ASMSTART
	v_cvt_f32_f16 v88, v88;
	;;#ASMEND
	ds_read_b64 v[25:26], v40 offset:56
	v_mul_f32_e32 v24, v55, v56
	v_lshrrev_b32_e32 v55, 16, v19
	v_and_b32_e32 v19, 0xffff, v19
	v_lshrrev_b32_e32 v56, 16, v20
	v_and_b32_e32 v20, 0xffff, v20
	v_fmac_f32_e32 v24, v47, v49
	v_lshrrev_b32_e32 v89, 16, v16
	v_and_b32_e32 v16, 0xffff, v16
	v_fmac_f32_e32 v22, v51, v53
	v_fmac_f32_e32 v23, v52, v54
	;; [unrolled: 1-line block ×5, first 2 shown]
	s_waitcnt lgkmcnt(0)
	v_and_b32_e32 v47, 0xffff, v25
	v_lshrrev_b32_e32 v48, 16, v25
	v_lshrrev_b32_e32 v50, 16, v26
	v_and_b32_e32 v49, 0xffff, v26
	;;#ASMSTART
	v_cvt_f32_f16 v25, v47;
	;;#ASMEND
	;;#ASMSTART
	v_cvt_f32_f16 v26, v48;
	;;#ASMEND
	;;#ASMSTART
	v_cvt_f32_f16 v47, v19;
	;;#ASMEND
	;;#ASMSTART
	v_cvt_f32_f16 v48, v55;
	;;#ASMEND
	;;#ASMSTART
	v_cvt_f32_f16 v49, v49;
	;;#ASMEND
	;;#ASMSTART
	v_cvt_f32_f16 v50, v50;
	;;#ASMEND
	;;#ASMSTART
	v_cvt_f32_f16 v55, v20;
	;;#ASMEND
	;;#ASMSTART
	v_cvt_f32_f16 v56, v56;
	;;#ASMEND
	ds_read_b64 v[19:20], v40 offset:64
	v_fmac_f32_e32 v24, v80, v82
	v_fmac_f32_e32 v22, v25, v47
	v_fmac_f32_e32 v23, v26, v48
	v_fmac_f32_e32 v21, v49, v55
	s_waitcnt vmcnt(1)
	v_lshrrev_b32_e32 v25, 16, v6
	v_fmac_f32_e32 v24, v62, v84
	v_lshrrev_b32_e32 v84, 16, v8
	v_and_b32_e32 v8, 0xffff, v8
	v_and_b32_e32 v6, 0xffff, v6
	s_waitcnt vmcnt(0)
	v_lshrrev_b32_e32 v26, 16, v3
	v_fmac_f32_e32 v24, v86, v88
	v_fmac_f32_e32 v24, v50, v56
	s_waitcnt lgkmcnt(0)
	v_and_b32_e32 v29, 0xffff, v19
	v_lshrrev_b32_e32 v30, 16, v19
	v_lshrrev_b32_e32 v64, 16, v20
	v_and_b32_e32 v65, 0xffff, v20
	;;#ASMSTART
	v_cvt_f32_f16 v19, v29;
	;;#ASMEND
	;;#ASMSTART
	v_cvt_f32_f16 v20, v30;
	;;#ASMEND
	;; [unrolled: 3-line block ×8, first 2 shown]
	ds_read_b64 v[15:16], v40 offset:72
	v_lshrrev_b32_e32 v89, 16, v14
	v_and_b32_e32 v14, 0xffff, v14
	v_fmac_f32_e32 v22, v19, v29
	v_fmac_f32_e32 v23, v20, v30
	;; [unrolled: 1-line block ×4, first 2 shown]
	s_waitcnt lgkmcnt(0)
	v_and_b32_e32 v17, 0xffff, v15
	v_lshrrev_b32_e32 v15, 16, v15
	v_lshrrev_b32_e32 v73, 16, v16
	v_and_b32_e32 v16, 0xffff, v16
	;;#ASMSTART
	v_cvt_f32_f16 v17, v17;
	;;#ASMEND
	;;#ASMSTART
	v_cvt_f32_f16 v18, v15;
	;;#ASMEND
	;;#ASMSTART
	v_cvt_f32_f16 v27, v68;
	;;#ASMEND
	;;#ASMSTART
	v_cvt_f32_f16 v28, v67;
	;;#ASMEND
	;;#ASMSTART
	v_cvt_f32_f16 v67, v16;
	;;#ASMEND
	;;#ASMSTART
	v_cvt_f32_f16 v68, v73;
	;;#ASMEND
	;;#ASMSTART
	v_cvt_f32_f16 v69, v69;
	;;#ASMEND
	;;#ASMSTART
	v_cvt_f32_f16 v71, v71;
	;;#ASMEND
	ds_read_b64 v[15:16], v40 offset:80
	v_lshrrev_b32_e32 v73, 16, v13
	v_and_b32_e32 v13, 0xffff, v13
	v_fmac_f32_e32 v22, v17, v27
	v_fmac_f32_e32 v23, v18, v28
	;; [unrolled: 1-line block ×4, first 2 shown]
	s_waitcnt lgkmcnt(0)
	v_and_b32_e32 v70, 0xffff, v15
	v_lshrrev_b32_e32 v72, 16, v15
	v_lshrrev_b32_e32 v74, 16, v16
	v_and_b32_e32 v75, 0xffff, v16
	;;#ASMSTART
	v_cvt_f32_f16 v15, v70;
	;;#ASMEND
	;;#ASMSTART
	v_cvt_f32_f16 v16, v72;
	;;#ASMEND
	;; [unrolled: 3-line block ×8, first 2 shown]
	ds_read_b64 v[13:14], v40 offset:88
	v_fmac_f32_e32 v22, v15, v70
	v_fmac_f32_e32 v23, v16, v72
	v_lshrrev_b32_e32 v89, 16, v5
	v_and_b32_e32 v5, 0xffff, v5
	v_fmac_f32_e32 v21, v73, v75
	v_fmac_f32_e32 v24, v74, v76
	s_waitcnt lgkmcnt(0)
	v_and_b32_e32 v78, 0xffff, v13
	v_lshrrev_b32_e32 v79, 16, v13
	v_lshrrev_b32_e32 v80, 16, v14
	v_and_b32_e32 v82, 0xffff, v14
	;;#ASMSTART
	v_cvt_f32_f16 v13, v78;
	;;#ASMEND
	;;#ASMSTART
	v_cvt_f32_f16 v14, v79;
	;;#ASMEND
	;; [unrolled: 3-line block ×8, first 2 shown]
	ds_read_b64 v[11:12], v40 offset:96
	v_lshrrev_b32_e32 v81, 16, v9
	v_and_b32_e32 v9, 0xffff, v9
	v_lshrrev_b32_e32 v82, 16, v10
	v_and_b32_e32 v10, 0xffff, v10
	v_fmac_f32_e32 v22, v13, v57
	v_fmac_f32_e32 v23, v14, v59
	;; [unrolled: 1-line block ×4, first 2 shown]
	v_and_b32_e32 v13, 0xffff, v3
	s_waitcnt lgkmcnt(0)
	v_and_b32_e32 v58, 0xffff, v11
	v_lshrrev_b32_e32 v60, 16, v11
	v_lshrrev_b32_e32 v62, 16, v12
	v_and_b32_e32 v61, 0xffff, v12
	;;#ASMSTART
	v_cvt_f32_f16 v11, v58;
	;;#ASMEND
	;;#ASMSTART
	v_cvt_f32_f16 v12, v60;
	;;#ASMEND
	;; [unrolled: 3-line block ×8, first 2 shown]
	ds_read_b64 v[9:10], v40 offset:104
	v_fmac_f32_e32 v22, v11, v58
	v_fmac_f32_e32 v23, v12, v60
	;; [unrolled: 1-line block ×4, first 2 shown]
	v_lshrrev_b32_e32 v11, 16, v4
	s_waitcnt lgkmcnt(0)
	v_and_b32_e32 v51, 0xffff, v9
	v_lshrrev_b32_e32 v52, 16, v9
	v_lshrrev_b32_e32 v54, 16, v10
	v_and_b32_e32 v53, 0xffff, v10
	;;#ASMSTART
	v_cvt_f32_f16 v9, v51;
	;;#ASMEND
	;;#ASMSTART
	v_cvt_f32_f16 v10, v52;
	;;#ASMEND
	;; [unrolled: 3-line block ×8, first 2 shown]
	ds_read_b64 v[7:8], v40 offset:112
	v_fmac_f32_e32 v22, v9, v51
	v_fmac_f32_e32 v23, v10, v52
	;; [unrolled: 1-line block ×3, first 2 shown]
	v_and_b32_e32 v9, 0xffff, v4
	v_fmac_f32_e32 v24, v54, v84
	s_waitcnt lgkmcnt(0)
	v_and_b32_e32 v15, 0xffff, v7
	v_lshrrev_b32_e32 v16, 16, v7
	v_lshrrev_b32_e32 v18, 16, v8
	v_and_b32_e32 v17, 0xffff, v8
	;;#ASMSTART
	v_cvt_f32_f16 v7, v15;
	;;#ASMEND
	;;#ASMSTART
	v_cvt_f32_f16 v8, v16;
	;;#ASMEND
	;; [unrolled: 3-line block ×8, first 2 shown]
	ds_read_b64 v[5:6], v40 offset:120
	v_fmac_f32_e32 v22, v7, v15
	v_fmac_f32_e32 v23, v8, v16
	;; [unrolled: 1-line block ×4, first 2 shown]
	s_waitcnt lgkmcnt(0)
	v_and_b32_e32 v3, 0xffff, v5
	v_lshrrev_b32_e32 v4, 16, v5
	v_lshrrev_b32_e32 v7, 16, v6
	v_and_b32_e32 v8, 0xffff, v6
	;;#ASMSTART
	v_cvt_f32_f16 v3, v3;
	;;#ASMEND
	;;#ASMSTART
	v_cvt_f32_f16 v4, v4;
	;;#ASMEND
	;;#ASMSTART
	v_cvt_f32_f16 v5, v13;
	;;#ASMEND
	;;#ASMSTART
	v_cvt_f32_f16 v6, v26;
	;;#ASMEND
	v_fmac_f32_e32 v22, v3, v5
	v_fmac_f32_e32 v23, v4, v6
	;;#ASMSTART
	v_cvt_f32_f16 v3, v8;
	;;#ASMEND
	;;#ASMSTART
	v_cvt_f32_f16 v4, v7;
	;;#ASMEND
	;; [unrolled: 3-line block ×3, first 2 shown]
	v_fmac_f32_e32 v21, v3, v5
	v_add_f32_e32 v3, v22, v23
	;;#ASMSTART
	v_cvt_f32_f16 v5, v11;
	;;#ASMEND
	v_fmac_f32_e32 v24, v4, v5
	v_cndmask_b32_e64 v4, v36, v45, s3
	v_add_f32_e32 v3, v3, v21
	v_lshlrev_b32_e32 v4, 2, v4
	v_add_f32_e32 v3, v24, v3
	ds_bpermute_b32 v4, v4, v3
	s_and_saveexec_b32 s4, vcc_lo
	s_cbranch_execz .LBB87_8
; %bb.10:                               ;   in Loop: Header=BB87_9 Depth=1
	v_add_nc_u32_e32 v5, s5, v41
	s_waitcnt lgkmcnt(0)
	v_add_f32_e32 v3, v3, v4
	v_cmp_gt_i32_e64 s3, s11, v41
	v_cvt_f32_i32_e32 v5, v5
	v_mul_f32_e32 v5, s24, v5
	v_cndmask_b32_e64 v4, 0, v5, s2
	v_max_f32_e32 v5, v39, v39
	v_fmac_f32_e32 v4, s25, v3
	v_max_f32_e32 v3, v5, v4
	v_cndmask_b32_e64 v4, 0, v4, s3
	v_cndmask_b32_e64 v39, v39, v3, s3
	ds_write_b32 v42, v4
	s_branch .LBB87_8
.LBB87_11:
	s_or_b32 exec_lo, exec_lo, s15
.LBB87_12:
	s_or_b32 exec_lo, exec_lo, s26
	v_xor_b32_e32 v1, 16, v36
	v_xor_b32_e32 v3, 8, v36
	v_max_f32_e32 v5, v39, v39
	v_xor_b32_e32 v6, 2, v36
	v_and_b32_e32 v9, 31, v0
	v_cmp_lt_i32_e32 vcc_lo, v1, v38
	v_cndmask_b32_e32 v1, v36, v1, vcc_lo
	v_cmp_lt_i32_e32 vcc_lo, v3, v38
	v_lshlrev_b32_e32 v2, 2, v1
	v_cndmask_b32_e32 v3, v36, v3, vcc_lo
	ds_bpermute_b32 v1, v2, v39
	s_waitcnt lgkmcnt(0)
	v_lshlrev_b32_e32 v4, 2, v3
	v_max_f32_e32 v1, v1, v1
	v_max_f32_e32 v1, v5, v1
	v_xor_b32_e32 v5, 4, v36
	ds_bpermute_b32 v3, v4, v1
	v_cmp_lt_i32_e32 vcc_lo, v5, v38
	v_cndmask_b32_e32 v5, v36, v5, vcc_lo
	v_cmp_lt_i32_e32 vcc_lo, v6, v38
	v_lshlrev_b32_e32 v5, 2, v5
	v_cndmask_b32_e32 v6, v36, v6, vcc_lo
	v_cmp_eq_u32_e32 vcc_lo, 0, v9
	s_waitcnt lgkmcnt(0)
	v_max_f32_e32 v3, v3, v3
	v_max_f32_e32 v1, v1, v3
	ds_bpermute_b32 v3, v5, v1
	s_waitcnt lgkmcnt(0)
	v_max_f32_e32 v3, v3, v3
	v_max_f32_e32 v3, v1, v3
	v_lshlrev_b32_e32 v1, 2, v6
	v_lshlrev_b32_e32 v6, 2, v33
	ds_bpermute_b32 v7, v1, v3
	s_and_saveexec_b32 s2, vcc_lo
	s_cbranch_execz .LBB87_14
; %bb.13:
	s_waitcnt lgkmcnt(0)
	v_max_f32_e32 v7, v7, v7
	v_max_f32_e32 v3, v3, v3
	;; [unrolled: 1-line block ×3, first 2 shown]
	ds_write_b32 v6, v3 offset:256
.LBB87_14:
	s_or_b32 exec_lo, exec_lo, s2
	v_cmp_gt_u32_e64 s2, 4, v9
	v_mov_b32_e32 v3, 0xff7fffff
	s_waitcnt lgkmcnt(0)
	v_lshlrev_b32_e32 v7, 2, v9
	s_barrier
	buffer_gl0_inv
	s_and_saveexec_b32 s3, s2
; %bb.15:
	ds_read_b32 v3, v7 offset:256
; %bb.16:
	s_or_b32 exec_lo, exec_lo, s3
	s_waitcnt lgkmcnt(0)
	ds_bpermute_b32 v8, v1, v3
	v_xor_b32_e32 v10, 1, v36
	v_max_f32_e32 v3, v3, v3
	v_cmp_lt_i32_e64 s3, v10, v38
	v_cndmask_b32_e64 v10, v36, v10, s3
	s_lshl_b32 s3, s12, 4
	s_min_i32 s5, s3, s11
	v_lshlrev_b32_e32 v10, 2, v10
	v_cmp_gt_i32_e64 s3, s5, v0
	s_waitcnt lgkmcnt(0)
	v_max_f32_e32 v8, v8, v8
	v_max_f32_e32 v3, v3, v8
	ds_bpermute_b32 v8, v10, v3
	s_waitcnt lgkmcnt(0)
	v_max_f32_e32 v8, v8, v8
	v_max_f32_e32 v3, v3, v8
	v_lshlrev_b32_e32 v8, 2, v37
	ds_bpermute_b32 v11, v8, v3
	v_mov_b32_e32 v8, 0
	v_lshl_add_u32 v3, v0, 2, 0x120
	s_and_saveexec_b32 s15, s3
	s_cbranch_execz .LBB87_20
; %bb.17:
	v_lshl_add_u32 v12, v0, 2, 0x120
	v_mov_b32_e32 v8, 0
	v_mov_b32_e32 v13, v0
	s_mov_b32 s24, 0
	.p2align	6
.LBB87_18:                              ; =>This Inner Loop Header: Depth=1
	ds_read_b32 v14, v12
	v_add_nc_u32_e32 v13, 0x80, v13
	v_cmp_le_i32_e64 s4, s5, v13
	s_or_b32 s24, s4, s24
	s_waitcnt lgkmcnt(0)
	v_sub_f32_e32 v14, v14, v11
	v_mul_f32_e32 v14, 0x3fb8aa3b, v14
	v_exp_f32_e32 v14, v14
	ds_write_b32 v12, v14
	v_add_f32_e32 v8, v8, v14
	v_add_nc_u32_e32 v12, 0x200, v12
	s_andn2_b32 exec_lo, exec_lo, s24
	s_cbranch_execnz .LBB87_18
; %bb.19:
	s_or_b32 exec_lo, exec_lo, s24
.LBB87_20:
	s_or_b32 exec_lo, exec_lo, s15
	ds_bpermute_b32 v2, v2, v8
	s_waitcnt lgkmcnt(0)
	v_add_f32_e32 v2, v8, v2
	ds_bpermute_b32 v4, v4, v2
	s_waitcnt lgkmcnt(0)
	v_add_f32_e32 v2, v2, v4
	;; [unrolled: 3-line block ×5, first 2 shown]
	s_and_saveexec_b32 s4, vcc_lo
; %bb.21:
	ds_write_b32 v6, v2 offset:272
; %bb.22:
	s_or_b32 exec_lo, exec_lo, s4
	s_waitcnt lgkmcnt(0)
	s_barrier
	buffer_gl0_inv
	s_and_saveexec_b32 s4, s2
; %bb.23:
	ds_read_b32 v2, v7 offset:272
; %bb.24:
	s_or_b32 exec_lo, exec_lo, s4
	s_waitcnt lgkmcnt(0)
	ds_bpermute_b32 v1, v1, v2
	v_lshlrev_b32_e32 v4, 2, v36
	s_waitcnt lgkmcnt(0)
	v_add_f32_e32 v1, v2, v1
	ds_bpermute_b32 v2, v10, v1
	s_waitcnt lgkmcnt(0)
	v_add_f32_e32 v1, v1, v2
	v_and_b32_e32 v2, 0xffffff80, v4
	ds_bpermute_b32 v1, v2, v1
	s_and_saveexec_b32 s2, s3
	s_cbranch_execz .LBB87_27
; %bb.25:
	s_waitcnt lgkmcnt(0)
	v_add_f32_e32 v1, 0x358637bd, v1
	s_mov_b32 s3, 0
	v_div_scale_f32 v2, null, v1, v1, 1.0
	v_div_scale_f32 v6, vcc_lo, 1.0, v1, 1.0
	v_rcp_f32_e32 v4, v2
	v_fma_f32 v5, -v2, v4, 1.0
	v_fmac_f32_e32 v4, v5, v4
	v_mul_f32_e32 v5, v6, v4
	v_fma_f32 v7, -v2, v5, v6
	v_fmac_f32_e32 v5, v7, v4
	v_fma_f32 v2, -v2, v5, v6
	v_div_fmas_f32 v2, v2, v4, v5
	v_div_fixup_f32 v1, v2, v1, 1.0
	v_mov_b32_e32 v2, v0
.LBB87_26:                              ; =>This Inner Loop Header: Depth=1
	ds_read_b32 v4, v3
	v_add_nc_u32_e32 v2, 0x80, v2
	v_cmp_le_i32_e32 vcc_lo, s5, v2
	s_or_b32 s3, vcc_lo, s3
	s_waitcnt lgkmcnt(0)
	v_mul_f32_e32 v4, v1, v4
	ds_write_b32 v3, v4
	v_add_nc_u32_e32 v3, 0x200, v3
	s_andn2_b32 exec_lo, exec_lo, s3
	s_cbranch_execnz .LBB87_26
.LBB87_27:
	s_or_b32 exec_lo, exec_lo, s2
	v_mov_b32_e32 v17, 0
	v_mov_b32_e32 v18, 0
	;; [unrolled: 1-line block ×8, first 2 shown]
	s_waitcnt lgkmcnt(0)
	s_barrier
	buffer_gl0_inv
	s_and_saveexec_b32 s3, s1
	s_cbranch_execz .LBB87_47
; %bb.28:
	v_lshlrev_b32_e32 v2, 4, v0
	s_ashr_i32 s15, s14, 31
	v_and_b32_e32 v1, 8, v34
	v_lshlrev_b32_e32 v4, 4, v33
	s_lshl_b64 s[4:5], s[14:15], 1
	v_and_b32_e32 v2, 0x1f0, v2
	v_lshlrev_b32_e32 v3, 5, v32
	s_add_u32 s1, s22, s4
	v_or3_b32 v22, v4, v1, 7
	v_and_b32_e32 v1, 0x7c, v35
	s_addc_u32 s2, s23, s5
	v_add_co_u32 v20, s1, s1, v2
	s_lshl_b64 s[14:15], s[20:21], 2
	s_add_i32 s4, s12, -1
	v_lshl_or_b32 v3, v33, 6, v3
	v_add_co_ci_u32_e64 v21, null, s2, 0, s1
	s_add_u32 s1, s18, s14
	s_addc_u32 s2, s19, s15
	v_add_co_u32 v5, s1, s1, v1
	v_mov_b32_e32 v19, 0
	v_add_nc_u32_e32 v23, 0x120, v3
	v_add_co_ci_u32_e64 v6, null, s2, 0, s1
	v_mov_b32_e32 v11, 0
	v_mov_b32_e32 v12, 0
	;; [unrolled: 1-line block ×9, first 2 shown]
	s_mov_b32 s5, 0
	s_branch .LBB87_30
.LBB87_29:                              ;   in Loop: Header=BB87_30 Depth=1
	s_or_b32 exec_lo, exec_lo, s2
	v_lshlrev_b32_e32 v27, 16, v51
	v_lshlrev_b32_e32 v8, 16, v8
	;; [unrolled: 1-line block ×3, first 2 shown]
	v_add_f32_e32 v25, v52, v53
	v_add_f32_e32 v26, v49, v50
	v_and_or_b32 v1, 0xffff, v1, v27
	v_and_or_b32 v2, 0xffff, v2, v8
	v_and_or_b32 v3, 0xffff, v3, v7
	;;#ASMSTART
	v_pk_mul_f16 v1, v36, v1;

	;;#ASMEND
	;;#ASMSTART
	v_pk_mul_f16 v2, v35, v2;

	;;#ASMEND
	;;#ASMSTART
	v_pk_mul_f16 v3, v37, v3;

	;;#ASMEND
	;;#ASMSTART
	v_pk_mul_f16 v4, v38, v4;

	;;#ASMEND
	;;#ASMSTART
	v_pk_add_f16 v1, v1, v2;

	;;#ASMEND
	;;#ASMSTART
	v_pk_add_f16 v1, v1, v3;

	;;#ASMEND
	;; [unrolled: 4-line block ×3, first 2 shown]
	v_and_b32_e32 v4, 0xffff, v1
	v_add_nc_u32_e32 v24, 4, v24
	v_lshrrev_b32_e32 v7, 16, v1
	;;#ASMSTART
	v_cvt_f32_f16 v4, v4;
	;;#ASMEND
	v_add_f32_e32 v12, v12, v25
	v_add_f32_e32 v13, v13, v26
	;; [unrolled: 1-line block ×7, first 2 shown]
	;;#ASMSTART
	v_cvt_f32_f16 v7, v7;
	;;#ASMEND
	v_add_f32_e32 v4, v4, v7
	v_cmp_le_i32_e32 vcc_lo, s12, v24
	v_add_co_u32 v5, s1, v5, 16
	v_add_f32_e32 v14, v14, v25
	v_add_f32_e32 v15, v15, v26
	;; [unrolled: 1-line block ×6, first 2 shown]
	v_add_nc_u32_e32 v22, 64, v22
	v_add_nc_u32_e32 v23, 0x100, v23
	v_add_co_ci_u32_e64 v6, null, 0, v6, s1
	s_or_b32 s5, vcc_lo, s5
	s_andn2_b32 exec_lo, exec_lo, s5
	s_cbranch_execz .LBB87_46
.LBB87_30:                              ; =>This Inner Loop Header: Depth=1
	global_load_dword v7, v[5:6], off
	ds_read2_b64 v[1:4], v23 offset1:1
	ds_read2_b64 v[25:28], v23 offset0:2 offset1:3
	v_add_nc_u32_e32 v29, -7, v22
	v_cmp_eq_u32_e64 s1, s4, v24
	v_add_nc_u32_e32 v34, -6, v22
	v_add_nc_u32_e32 v30, -1, v22
	s_waitcnt lgkmcnt(1)
	;;#ASMSTART
	v_cvt_f16_f32 v36, v1;

	;;#ASMEND
	;;#ASMSTART
	v_cvt_f16_f32 v35, v2;

	;;#ASMEND
	;; [unrolled: 4-line block ×4, first 2 shown]
	s_waitcnt lgkmcnt(0)
	;;#ASMSTART
	v_cvt_f16_f32 v42, v25;

	;;#ASMEND
	;;#ASMSTART
	v_cvt_f16_f32 v37, v26;

	;;#ASMEND
	;; [unrolled: 4-line block ×4, first 2 shown]
	v_add_nc_u32_e32 v28, -5, v22
	v_add_nc_u32_e32 v27, -4, v22
	;; [unrolled: 1-line block ×4, first 2 shown]
	s_waitcnt vmcnt(0)
	v_mad_i64_i32 v[7:8], null, v7, s13, 0
	v_lshlrev_b64 v[7:8], 1, v[7:8]
	v_add_co_u32 v7, vcc_lo, v20, v7
	v_add_co_ci_u32_e64 v8, null, v21, v8, vcc_lo
	global_load_dwordx4 v[1:4], v[7:8], off
	s_waitcnt vmcnt(0)
	v_lshrrev_b32_e32 v45, 16, v1
	v_lshrrev_b32_e32 v44, 16, v2
	;; [unrolled: 1-line block ×3, first 2 shown]
	s_and_saveexec_b32 s14, s1
	s_cbranch_execz .LBB87_32
; %bb.31:                               ;   in Loop: Header=BB87_30 Depth=1
	v_cmp_gt_i32_e32 vcc_lo, s11, v29
	v_and_b32_e32 v46, 0xffff0000, v4
	v_cmp_gt_i32_e64 s2, s11, v28
	v_cndmask_b32_e32 v1, 0, v1, vcc_lo
	v_cmp_gt_i32_e32 vcc_lo, s11, v34
	v_cndmask_b32_e64 v2, 0, v2, s2
	v_cmp_gt_i32_e64 s2, s11, v27
	v_cndmask_b32_e32 v45, 0, v45, vcc_lo
	v_cmp_gt_i32_e32 vcc_lo, s11, v30
	v_cndmask_b32_e64 v44, 0, v44, s2
	v_cndmask_b32_sdwa v4, v19, v4, vcc_lo dst_sel:DWORD dst_unused:UNUSED_PAD src0_sel:DWORD src1_sel:WORD_0
	v_cmp_gt_i32_e32 vcc_lo, s11, v22
	v_cndmask_b32_e32 v46, 0, v46, vcc_lo
	v_cmp_gt_i32_e32 vcc_lo, s11, v26
	v_or_b32_e32 v4, v4, v46
	v_cndmask_b32_e32 v3, 0, v3, vcc_lo
	v_cmp_gt_i32_e32 vcc_lo, s11, v25
	v_cndmask_b32_e32 v43, 0, v43, vcc_lo
.LBB87_32:                              ;   in Loop: Header=BB87_30 Depth=1
	s_or_b32 exec_lo, exec_lo, s14
	v_and_b32_e32 v36, 0xffff, v36
	v_and_b32_e32 v41, 0xffff, v41
	v_lshlrev_b32_e32 v45, 16, v45
	v_and_b32_e32 v42, 0xffff, v42
	v_and_b32_e32 v40, 0xffff, v40
	v_lshl_or_b32 v36, v35, 16, v36
	v_lshl_or_b32 v35, v39, 16, v41
	v_lshlrev_b32_e32 v39, 16, v44
	v_lshlrev_b32_e32 v41, 16, v43
	v_and_or_b32 v1, 0xffff, v1, v45
	;;#ASMSTART
	v_pk_mul_f16 v1, v36, v1;

	;;#ASMEND
	v_lshl_or_b32 v37, v37, 16, v42
	v_and_or_b32 v2, 0xffff, v2, v39
	v_and_or_b32 v3, 0xffff, v3, v41
	v_lshl_or_b32 v38, v38, 16, v40
	;;#ASMSTART
	v_pk_mul_f16 v2, v35, v2;

	;;#ASMEND
	;;#ASMSTART
	v_pk_mul_f16 v3, v37, v3;

	;;#ASMEND
	;; [unrolled: 4-line block ×3, first 2 shown]
	;;#ASMSTART
	v_pk_add_f16 v1, v1, v2;

	;;#ASMEND
	;;#ASMSTART
	v_pk_add_f16 v1, v1, v3;

	;;#ASMEND
	;; [unrolled: 4-line block ×3, first 2 shown]
	v_and_b32_e32 v2, 0xffff, v1
	v_lshrrev_b32_e32 v1, 16, v1
	;;#ASMSTART
	v_cvt_f32_f16 v39, v2;
	;;#ASMEND
	;;#ASMSTART
	v_cvt_f32_f16 v40, v1;
	;;#ASMEND
	global_load_dwordx4 v[1:4], v[7:8], off offset:512
	s_waitcnt vmcnt(0)
	v_lshrrev_b32_e32 v43, 16, v1
	v_lshrrev_b32_e32 v42, 16, v2
	;; [unrolled: 1-line block ×3, first 2 shown]
	s_and_saveexec_b32 s14, s1
	s_cbranch_execz .LBB87_34
; %bb.33:                               ;   in Loop: Header=BB87_30 Depth=1
	v_cmp_gt_i32_e32 vcc_lo, s11, v29
	v_and_b32_e32 v44, 0xffff0000, v4
	v_cmp_gt_i32_e64 s2, s11, v28
	v_cndmask_b32_e32 v1, 0, v1, vcc_lo
	v_cmp_gt_i32_e32 vcc_lo, s11, v34
	v_cndmask_b32_e64 v2, 0, v2, s2
	v_cmp_gt_i32_e64 s2, s11, v27
	v_cndmask_b32_e32 v43, 0, v43, vcc_lo
	v_cmp_gt_i32_e32 vcc_lo, s11, v30
	v_cndmask_b32_e64 v42, 0, v42, s2
	v_cndmask_b32_sdwa v4, v19, v4, vcc_lo dst_sel:DWORD dst_unused:UNUSED_PAD src0_sel:DWORD src1_sel:WORD_0
	v_cmp_gt_i32_e32 vcc_lo, s11, v22
	v_cndmask_b32_e32 v44, 0, v44, vcc_lo
	v_cmp_gt_i32_e32 vcc_lo, s11, v26
	v_or_b32_e32 v4, v4, v44
	v_cndmask_b32_e32 v3, 0, v3, vcc_lo
	v_cmp_gt_i32_e32 vcc_lo, s11, v25
	v_cndmask_b32_e32 v41, 0, v41, vcc_lo
.LBB87_34:                              ;   in Loop: Header=BB87_30 Depth=1
	s_or_b32 exec_lo, exec_lo, s14
	v_lshlrev_b32_e32 v43, 16, v43
	v_lshlrev_b32_e32 v42, 16, v42
	;; [unrolled: 1-line block ×3, first 2 shown]
	v_and_or_b32 v1, 0xffff, v1, v43
	v_and_or_b32 v2, 0xffff, v2, v42
	;; [unrolled: 1-line block ×3, first 2 shown]
	;;#ASMSTART
	v_pk_mul_f16 v1, v36, v1;

	;;#ASMEND
	;;#ASMSTART
	v_pk_mul_f16 v2, v35, v2;

	;;#ASMEND
	;; [unrolled: 4-line block ×4, first 2 shown]
	;;#ASMSTART
	v_pk_add_f16 v1, v1, v2;

	;;#ASMEND
	;;#ASMSTART
	v_pk_add_f16 v1, v1, v3;

	;;#ASMEND
	;;#ASMSTART
	v_pk_add_f16 v1, v1, v4;

	;;#ASMEND
	v_and_b32_e32 v2, 0xffff, v1
	v_lshrrev_b32_e32 v1, 16, v1
	;;#ASMSTART
	v_cvt_f32_f16 v41, v2;
	;;#ASMEND
	;;#ASMSTART
	v_cvt_f32_f16 v42, v1;
	;;#ASMEND
	global_load_dwordx4 v[1:4], v[7:8], off offset:1024
	s_waitcnt vmcnt(0)
	v_lshrrev_b32_e32 v45, 16, v1
	v_lshrrev_b32_e32 v44, 16, v2
	;; [unrolled: 1-line block ×3, first 2 shown]
	s_and_saveexec_b32 s14, s1
	s_cbranch_execz .LBB87_36
; %bb.35:                               ;   in Loop: Header=BB87_30 Depth=1
	v_cmp_gt_i32_e32 vcc_lo, s11, v29
	v_and_b32_e32 v46, 0xffff0000, v4
	v_cmp_gt_i32_e64 s2, s11, v28
	v_cndmask_b32_e32 v1, 0, v1, vcc_lo
	v_cmp_gt_i32_e32 vcc_lo, s11, v34
	v_cndmask_b32_e64 v2, 0, v2, s2
	v_cmp_gt_i32_e64 s2, s11, v27
	v_cndmask_b32_e32 v45, 0, v45, vcc_lo
	v_cmp_gt_i32_e32 vcc_lo, s11, v30
	v_cndmask_b32_e64 v44, 0, v44, s2
	v_cndmask_b32_sdwa v4, v19, v4, vcc_lo dst_sel:DWORD dst_unused:UNUSED_PAD src0_sel:DWORD src1_sel:WORD_0
	v_cmp_gt_i32_e32 vcc_lo, s11, v22
	v_cndmask_b32_e32 v46, 0, v46, vcc_lo
	v_cmp_gt_i32_e32 vcc_lo, s11, v26
	v_or_b32_e32 v4, v4, v46
	v_cndmask_b32_e32 v3, 0, v3, vcc_lo
	v_cmp_gt_i32_e32 vcc_lo, s11, v25
	v_cndmask_b32_e32 v43, 0, v43, vcc_lo
.LBB87_36:                              ;   in Loop: Header=BB87_30 Depth=1
	s_or_b32 exec_lo, exec_lo, s14
	v_lshlrev_b32_e32 v45, 16, v45
	v_lshlrev_b32_e32 v44, 16, v44
	v_lshlrev_b32_e32 v43, 16, v43
	v_and_or_b32 v1, 0xffff, v1, v45
	v_and_or_b32 v2, 0xffff, v2, v44
	;; [unrolled: 1-line block ×3, first 2 shown]
	;;#ASMSTART
	v_pk_mul_f16 v1, v36, v1;

	;;#ASMEND
	;;#ASMSTART
	v_pk_mul_f16 v2, v35, v2;

	;;#ASMEND
	;; [unrolled: 4-line block ×4, first 2 shown]
	;;#ASMSTART
	v_pk_add_f16 v1, v1, v2;

	;;#ASMEND
	;;#ASMSTART
	v_pk_add_f16 v1, v1, v3;

	;;#ASMEND
	;; [unrolled: 4-line block ×3, first 2 shown]
	v_and_b32_e32 v2, 0xffff, v1
	v_lshrrev_b32_e32 v1, 16, v1
	;;#ASMSTART
	v_cvt_f32_f16 v43, v2;
	;;#ASMEND
	;;#ASMSTART
	v_cvt_f32_f16 v44, v1;
	;;#ASMEND
	global_load_dwordx4 v[1:4], v[7:8], off offset:1536
	s_waitcnt vmcnt(0)
	v_lshrrev_b32_e32 v47, 16, v1
	v_lshrrev_b32_e32 v46, 16, v2
	;; [unrolled: 1-line block ×3, first 2 shown]
	s_and_saveexec_b32 s14, s1
	s_cbranch_execz .LBB87_38
; %bb.37:                               ;   in Loop: Header=BB87_30 Depth=1
	v_cmp_gt_i32_e32 vcc_lo, s11, v29
	v_and_b32_e32 v48, 0xffff0000, v4
	v_cmp_gt_i32_e64 s2, s11, v28
	v_cndmask_b32_e32 v1, 0, v1, vcc_lo
	v_cmp_gt_i32_e32 vcc_lo, s11, v34
	v_cndmask_b32_e64 v2, 0, v2, s2
	v_cmp_gt_i32_e64 s2, s11, v27
	v_cndmask_b32_e32 v47, 0, v47, vcc_lo
	v_cmp_gt_i32_e32 vcc_lo, s11, v30
	v_cndmask_b32_e64 v46, 0, v46, s2
	v_cndmask_b32_sdwa v4, v19, v4, vcc_lo dst_sel:DWORD dst_unused:UNUSED_PAD src0_sel:DWORD src1_sel:WORD_0
	v_cmp_gt_i32_e32 vcc_lo, s11, v22
	v_cndmask_b32_e32 v48, 0, v48, vcc_lo
	v_cmp_gt_i32_e32 vcc_lo, s11, v26
	v_or_b32_e32 v4, v4, v48
	v_cndmask_b32_e32 v3, 0, v3, vcc_lo
	v_cmp_gt_i32_e32 vcc_lo, s11, v25
	v_cndmask_b32_e32 v45, 0, v45, vcc_lo
.LBB87_38:                              ;   in Loop: Header=BB87_30 Depth=1
	s_or_b32 exec_lo, exec_lo, s14
	v_lshlrev_b32_e32 v47, 16, v47
	v_lshlrev_b32_e32 v46, 16, v46
	;; [unrolled: 1-line block ×3, first 2 shown]
	v_add_co_u32 v7, vcc_lo, 0x800, v7
	v_and_or_b32 v1, 0xffff, v1, v47
	v_and_or_b32 v2, 0xffff, v2, v46
	;; [unrolled: 1-line block ×3, first 2 shown]
	;;#ASMSTART
	v_pk_mul_f16 v1, v36, v1;

	;;#ASMEND
	v_add_co_ci_u32_e64 v8, null, 0, v8, vcc_lo
	;;#ASMSTART
	v_pk_mul_f16 v2, v35, v2;

	;;#ASMEND
	;;#ASMSTART
	v_pk_mul_f16 v3, v37, v3;

	;;#ASMEND
	;; [unrolled: 4-line block ×3, first 2 shown]
	;;#ASMSTART
	v_pk_add_f16 v1, v1, v2;

	;;#ASMEND
	;;#ASMSTART
	v_pk_add_f16 v1, v1, v3;

	;;#ASMEND
	;; [unrolled: 4-line block ×3, first 2 shown]
	v_lshrrev_b32_e32 v2, 16, v1
	v_and_b32_e32 v1, 0xffff, v1
	;;#ASMSTART
	v_cvt_f32_f16 v45, v1;
	;;#ASMEND
	;;#ASMSTART
	v_cvt_f32_f16 v46, v2;
	;;#ASMEND
	global_load_dwordx4 v[1:4], v[7:8], off
	s_waitcnt vmcnt(0)
	v_lshrrev_b32_e32 v49, 16, v1
	v_lshrrev_b32_e32 v48, 16, v2
	;; [unrolled: 1-line block ×3, first 2 shown]
	s_and_saveexec_b32 s14, s1
	s_cbranch_execz .LBB87_40
; %bb.39:                               ;   in Loop: Header=BB87_30 Depth=1
	v_cmp_gt_i32_e32 vcc_lo, s11, v29
	v_and_b32_e32 v50, 0xffff0000, v4
	v_cmp_gt_i32_e64 s2, s11, v28
	v_cndmask_b32_e32 v1, 0, v1, vcc_lo
	v_cmp_gt_i32_e32 vcc_lo, s11, v34
	v_cndmask_b32_e64 v2, 0, v2, s2
	v_cmp_gt_i32_e64 s2, s11, v27
	v_cndmask_b32_e32 v49, 0, v49, vcc_lo
	v_cmp_gt_i32_e32 vcc_lo, s11, v30
	v_cndmask_b32_e64 v48, 0, v48, s2
	v_cndmask_b32_sdwa v4, v19, v4, vcc_lo dst_sel:DWORD dst_unused:UNUSED_PAD src0_sel:DWORD src1_sel:WORD_0
	v_cmp_gt_i32_e32 vcc_lo, s11, v22
	v_cndmask_b32_e32 v50, 0, v50, vcc_lo
	v_cmp_gt_i32_e32 vcc_lo, s11, v26
	v_or_b32_e32 v4, v4, v50
	v_cndmask_b32_e32 v3, 0, v3, vcc_lo
	v_cmp_gt_i32_e32 vcc_lo, s11, v25
	v_cndmask_b32_e32 v47, 0, v47, vcc_lo
.LBB87_40:                              ;   in Loop: Header=BB87_30 Depth=1
	s_or_b32 exec_lo, exec_lo, s14
	v_lshlrev_b32_e32 v49, 16, v49
	v_lshlrev_b32_e32 v48, 16, v48
	;; [unrolled: 1-line block ×3, first 2 shown]
	v_and_or_b32 v1, 0xffff, v1, v49
	v_and_or_b32 v2, 0xffff, v2, v48
	;; [unrolled: 1-line block ×3, first 2 shown]
	;;#ASMSTART
	v_pk_mul_f16 v1, v36, v1;

	;;#ASMEND
	;;#ASMSTART
	v_pk_mul_f16 v2, v35, v2;

	;;#ASMEND
	;; [unrolled: 4-line block ×4, first 2 shown]
	;;#ASMSTART
	v_pk_add_f16 v1, v1, v2;

	;;#ASMEND
	;;#ASMSTART
	v_pk_add_f16 v1, v1, v3;

	;;#ASMEND
	;; [unrolled: 4-line block ×3, first 2 shown]
	v_and_b32_e32 v2, 0xffff, v1
	v_lshrrev_b32_e32 v1, 16, v1
	;;#ASMSTART
	v_cvt_f32_f16 v47, v2;
	;;#ASMEND
	;;#ASMSTART
	v_cvt_f32_f16 v48, v1;
	;;#ASMEND
	global_load_dwordx4 v[1:4], v[7:8], off offset:512
	s_waitcnt vmcnt(0)
	v_lshrrev_b32_e32 v51, 16, v1
	v_lshrrev_b32_e32 v50, 16, v2
	;; [unrolled: 1-line block ×3, first 2 shown]
	s_and_saveexec_b32 s14, s1
	s_cbranch_execz .LBB87_42
; %bb.41:                               ;   in Loop: Header=BB87_30 Depth=1
	v_cmp_gt_i32_e32 vcc_lo, s11, v29
	v_and_b32_e32 v52, 0xffff0000, v4
	v_cmp_gt_i32_e64 s2, s11, v28
	v_cndmask_b32_e32 v1, 0, v1, vcc_lo
	v_cmp_gt_i32_e32 vcc_lo, s11, v34
	v_cndmask_b32_e64 v2, 0, v2, s2
	v_cmp_gt_i32_e64 s2, s11, v27
	v_cndmask_b32_e32 v51, 0, v51, vcc_lo
	v_cmp_gt_i32_e32 vcc_lo, s11, v30
	v_cndmask_b32_e64 v50, 0, v50, s2
	v_cndmask_b32_sdwa v4, v19, v4, vcc_lo dst_sel:DWORD dst_unused:UNUSED_PAD src0_sel:DWORD src1_sel:WORD_0
	v_cmp_gt_i32_e32 vcc_lo, s11, v22
	v_cndmask_b32_e32 v52, 0, v52, vcc_lo
	v_cmp_gt_i32_e32 vcc_lo, s11, v26
	v_or_b32_e32 v4, v4, v52
	v_cndmask_b32_e32 v3, 0, v3, vcc_lo
	v_cmp_gt_i32_e32 vcc_lo, s11, v25
	v_cndmask_b32_e32 v49, 0, v49, vcc_lo
.LBB87_42:                              ;   in Loop: Header=BB87_30 Depth=1
	s_or_b32 exec_lo, exec_lo, s14
	v_lshlrev_b32_e32 v51, 16, v51
	v_lshlrev_b32_e32 v50, 16, v50
	;; [unrolled: 1-line block ×3, first 2 shown]
	v_and_or_b32 v1, 0xffff, v1, v51
	v_and_or_b32 v2, 0xffff, v2, v50
	;; [unrolled: 1-line block ×3, first 2 shown]
	;;#ASMSTART
	v_pk_mul_f16 v1, v36, v1;

	;;#ASMEND
	;;#ASMSTART
	v_pk_mul_f16 v2, v35, v2;

	;;#ASMEND
	;; [unrolled: 4-line block ×4, first 2 shown]
	;;#ASMSTART
	v_pk_add_f16 v1, v1, v2;

	;;#ASMEND
	;;#ASMSTART
	v_pk_add_f16 v1, v1, v3;

	;;#ASMEND
	;; [unrolled: 4-line block ×3, first 2 shown]
	v_and_b32_e32 v2, 0xffff, v1
	v_lshrrev_b32_e32 v1, 16, v1
	;;#ASMSTART
	v_cvt_f32_f16 v49, v2;
	;;#ASMEND
	;;#ASMSTART
	v_cvt_f32_f16 v50, v1;
	;;#ASMEND
	global_load_dwordx4 v[1:4], v[7:8], off offset:1024
	s_waitcnt vmcnt(0)
	v_lshrrev_b32_e32 v53, 16, v1
	v_lshrrev_b32_e32 v52, 16, v2
	;; [unrolled: 1-line block ×3, first 2 shown]
	s_and_saveexec_b32 s14, s1
	s_cbranch_execz .LBB87_44
; %bb.43:                               ;   in Loop: Header=BB87_30 Depth=1
	v_cmp_gt_i32_e32 vcc_lo, s11, v29
	v_and_b32_e32 v54, 0xffff0000, v4
	v_cmp_gt_i32_e64 s2, s11, v28
	v_cndmask_b32_e32 v1, 0, v1, vcc_lo
	v_cmp_gt_i32_e32 vcc_lo, s11, v34
	v_cndmask_b32_e64 v2, 0, v2, s2
	v_cmp_gt_i32_e64 s2, s11, v27
	v_cndmask_b32_e32 v53, 0, v53, vcc_lo
	v_cmp_gt_i32_e32 vcc_lo, s11, v30
	v_cndmask_b32_e64 v52, 0, v52, s2
	v_cndmask_b32_sdwa v4, v19, v4, vcc_lo dst_sel:DWORD dst_unused:UNUSED_PAD src0_sel:DWORD src1_sel:WORD_0
	v_cmp_gt_i32_e32 vcc_lo, s11, v22
	v_cndmask_b32_e32 v54, 0, v54, vcc_lo
	v_cmp_gt_i32_e32 vcc_lo, s11, v26
	v_or_b32_e32 v4, v4, v54
	v_cndmask_b32_e32 v3, 0, v3, vcc_lo
	v_cmp_gt_i32_e32 vcc_lo, s11, v25
	v_cndmask_b32_e32 v51, 0, v51, vcc_lo
.LBB87_44:                              ;   in Loop: Header=BB87_30 Depth=1
	s_or_b32 exec_lo, exec_lo, s14
	v_lshlrev_b32_e32 v53, 16, v53
	v_lshlrev_b32_e32 v52, 16, v52
	;; [unrolled: 1-line block ×3, first 2 shown]
	v_and_or_b32 v1, 0xffff, v1, v53
	v_and_or_b32 v2, 0xffff, v2, v52
	;; [unrolled: 1-line block ×3, first 2 shown]
	;;#ASMSTART
	v_pk_mul_f16 v1, v36, v1;

	;;#ASMEND
	;;#ASMSTART
	v_pk_mul_f16 v2, v35, v2;

	;;#ASMEND
	;; [unrolled: 4-line block ×4, first 2 shown]
	;;#ASMSTART
	v_pk_add_f16 v1, v1, v2;

	;;#ASMEND
	;;#ASMSTART
	v_pk_add_f16 v1, v1, v3;

	;;#ASMEND
	;; [unrolled: 4-line block ×3, first 2 shown]
	v_and_b32_e32 v2, 0xffff, v1
	v_lshrrev_b32_e32 v1, 16, v1
	;;#ASMSTART
	v_cvt_f32_f16 v52, v2;
	;;#ASMEND
	;;#ASMSTART
	v_cvt_f32_f16 v53, v1;
	;;#ASMEND
	global_load_dwordx4 v[1:4], v[7:8], off offset:1536
	s_waitcnt vmcnt(0)
	v_lshrrev_b32_e32 v51, 16, v1
	v_lshrrev_b32_e32 v8, 16, v2
	;; [unrolled: 1-line block ×3, first 2 shown]
	s_and_saveexec_b32 s2, s1
	s_cbranch_execz .LBB87_29
; %bb.45:                               ;   in Loop: Header=BB87_30 Depth=1
	v_cmp_gt_i32_e32 vcc_lo, s11, v29
	v_cmp_gt_i32_e64 s1, s11, v28
	v_cndmask_b32_e32 v1, 0, v1, vcc_lo
	v_cmp_gt_i32_e32 vcc_lo, s11, v34
	v_cndmask_b32_e64 v2, 0, v2, s1
	v_cmp_gt_i32_e64 s1, s11, v27
	v_and_b32_e32 v27, 0xffff0000, v4
	v_cndmask_b32_e32 v51, 0, v51, vcc_lo
	v_cmp_gt_i32_e32 vcc_lo, s11, v30
	v_cndmask_b32_e64 v8, 0, v8, s1
	v_cndmask_b32_sdwa v4, v19, v4, vcc_lo dst_sel:DWORD dst_unused:UNUSED_PAD src0_sel:DWORD src1_sel:WORD_0
	v_cmp_gt_i32_e32 vcc_lo, s11, v22
	v_cndmask_b32_e32 v27, 0, v27, vcc_lo
	v_cmp_gt_i32_e32 vcc_lo, s11, v26
	v_or_b32_e32 v4, v4, v27
	v_cndmask_b32_e32 v3, 0, v3, vcc_lo
	v_cmp_gt_i32_e32 vcc_lo, s11, v25
	v_cndmask_b32_e32 v7, 0, v7, vcc_lo
	s_branch .LBB87_29
.LBB87_46:
	s_or_b32 exec_lo, exec_lo, s5
.LBB87_47:
	s_or_b32 exec_lo, exec_lo, s3
	ds_bpermute_b32 v1, v10, v17
	ds_bpermute_b32 v2, v10, v18
	ds_bpermute_b32 v3, v10, v16
	ds_bpermute_b32 v4, v10, v15
	ds_bpermute_b32 v20, v10, v14
	ds_bpermute_b32 v21, v10, v13
	ds_bpermute_b32 v22, v10, v12
	ds_bpermute_b32 v23, v10, v11
	v_lshrrev_b32_e32 v9, 1, v9
	v_lshlrev_b32_e32 v19, 9, v33
	v_and_b32_e32 v24, 0x3c1, v0
	s_mov_b32 s1, exec_lo
	s_waitcnt lgkmcnt(0)
	v_lshl_add_u32 v10, v9, 2, 0x120
	s_barrier
	buffer_gl0_inv
	v_add_f32_e32 v8, v17, v1
	v_add_f32_e32 v7, v18, v2
	;; [unrolled: 1-line block ×8, first 2 shown]
	v_cmpx_eq_u32_e32 64, v24
	s_cbranch_execz .LBB87_49
; %bb.48:
	v_add_nc_u32_e32 v11, v10, v19
	v_add_nc_u32_e32 v12, 0xfffffc00, v11
	;; [unrolled: 1-line block ×9, first 2 shown]
	ds_write_b32 v12, v8
	ds_write_b32 v13, v7
	;; [unrolled: 1-line block ×8, first 2 shown]
.LBB87_49:
	s_or_b32 exec_lo, exec_lo, s1
	v_lshlrev_b32_e32 v9, 2, v9
	s_mov_b32 s2, exec_lo
	v_cmp_eq_u32_e32 vcc_lo, 0, v32
	s_waitcnt lgkmcnt(0)
	s_barrier
	v_add3_u32 v9, 0x120, v19, v9
	buffer_gl0_inv
	v_cmpx_gt_u32_e32 64, v0
	s_cbranch_execz .LBB87_60
; %bb.50:
	s_and_saveexec_b32 s1, vcc_lo
	s_cbranch_execnz .LBB87_76
; %bb.51:
	s_or_b32 exec_lo, exec_lo, s1
	s_and_saveexec_b32 s1, vcc_lo
	s_cbranch_execnz .LBB87_77
.LBB87_52:
	s_or_b32 exec_lo, exec_lo, s1
	s_and_saveexec_b32 s1, vcc_lo
	s_cbranch_execnz .LBB87_78
.LBB87_53:
	s_or_b32 exec_lo, exec_lo, s1
	s_and_saveexec_b32 s1, vcc_lo
	s_cbranch_execnz .LBB87_79
.LBB87_54:
	s_or_b32 exec_lo, exec_lo, s1
	s_and_saveexec_b32 s1, vcc_lo
	s_cbranch_execnz .LBB87_80
.LBB87_55:
	s_or_b32 exec_lo, exec_lo, s1
	s_and_saveexec_b32 s1, vcc_lo
	s_cbranch_execnz .LBB87_81
.LBB87_56:
	s_or_b32 exec_lo, exec_lo, s1
	s_and_saveexec_b32 s1, vcc_lo
	s_cbranch_execnz .LBB87_82
.LBB87_57:
	s_or_b32 exec_lo, exec_lo, s1
	s_and_saveexec_b32 s1, vcc_lo
	s_cbranch_execz .LBB87_59
.LBB87_58:
	ds_read_b32 v11, v9 offset:448
	s_waitcnt lgkmcnt(0)
	v_add_f32_e32 v1, v1, v11
.LBB87_59:
	s_or_b32 exec_lo, exec_lo, s1
.LBB87_60:
	s_or_b32 exec_lo, exec_lo, s2
	v_and_b32_e32 v0, 0x3e1, v0
	s_mov_b32 s2, exec_lo
	s_barrier
	buffer_gl0_inv
	v_cmpx_eq_u32_e32 32, v0
	s_cbranch_execz .LBB87_62
; %bb.61:
	ds_write2_b32 v10, v8, v7 offset1:16
	ds_write2_b32 v10, v6, v5 offset0:32 offset1:48
	ds_write2_b32 v10, v4, v3 offset0:64 offset1:80
	;; [unrolled: 1-line block ×3, first 2 shown]
.LBB87_62:
	s_or_b32 exec_lo, exec_lo, s2
	s_waitcnt lgkmcnt(0)
	s_barrier
	buffer_gl0_inv
	s_and_saveexec_b32 s1, s0
	s_cbranch_execz .LBB87_73
; %bb.63:
	s_and_saveexec_b32 s0, vcc_lo
	s_cbranch_execnz .LBB87_83
; %bb.64:
	s_or_b32 exec_lo, exec_lo, s0
	s_and_saveexec_b32 s0, vcc_lo
	s_cbranch_execnz .LBB87_84
.LBB87_65:
	s_or_b32 exec_lo, exec_lo, s0
	s_and_saveexec_b32 s0, vcc_lo
	s_cbranch_execnz .LBB87_85
.LBB87_66:
	s_or_b32 exec_lo, exec_lo, s0
	s_and_saveexec_b32 s0, vcc_lo
	s_cbranch_execnz .LBB87_86
.LBB87_67:
	s_or_b32 exec_lo, exec_lo, s0
	s_and_saveexec_b32 s0, vcc_lo
	s_cbranch_execnz .LBB87_87
.LBB87_68:
	s_or_b32 exec_lo, exec_lo, s0
	s_and_saveexec_b32 s0, vcc_lo
	s_cbranch_execnz .LBB87_88
.LBB87_69:
	s_or_b32 exec_lo, exec_lo, s0
	s_and_saveexec_b32 s0, vcc_lo
	s_cbranch_execnz .LBB87_89
.LBB87_70:
	s_or_b32 exec_lo, exec_lo, s0
	s_and_saveexec_b32 s0, vcc_lo
	s_cbranch_execz .LBB87_72
.LBB87_71:
	ds_read_b32 v9, v9 offset:448
	s_waitcnt lgkmcnt(0)
	v_add_f32_e32 v1, v1, v9
.LBB87_72:
	s_or_b32 exec_lo, exec_lo, s0
.LBB87_73:
	s_or_b32 exec_lo, exec_lo, s1
	s_barrier
	buffer_gl0_inv
	s_mov_b32 s0, exec_lo
	v_cmpx_eq_u32_e32 0, v0
	s_cbranch_execz .LBB87_75
; %bb.74:
	s_mul_i32 s0, s10, s7
	s_mul_i32 s2, s7, s6
	;; [unrolled: 1-line block ×3, first 2 shown]
	v_lshlrev_b32_e32 v0, 1, v31
	s_lshl_b32 s0, s0, 7
	;;#ASMSTART
	v_cvt_f16_f32 v8, v8;

	;;#ASMEND
	s_ashr_i32 s1, s0, 31
	s_lshl_b64 s[0:1], s[0:1], 1
	s_add_u32 s4, s16, s0
	s_addc_u32 s5, s17, s1
	s_ashr_i32 s3, s2, 31
	s_lshl_b64 s[0:1], s[2:3], 1
	s_add_u32 s2, s4, s0
	s_addc_u32 s3, s5, s1
	s_lshl_b32 s0, s8, 7
	s_ashr_i32 s1, s0, 31
	s_lshl_b64 s[0:1], s[0:1], 1
	s_add_u32 s0, s2, s0
	s_addc_u32 s1, s3, s1
	global_store_short v0, v8, s[0:1]
	;;#ASMSTART
	v_cvt_f16_f32 v7, v7;

	;;#ASMEND
	global_store_short v0, v7, s[0:1] offset:32
	;;#ASMSTART
	v_cvt_f16_f32 v6, v6;

	;;#ASMEND
	global_store_short v0, v6, s[0:1] offset:64
	;; [unrolled: 5-line block ×7, first 2 shown]
.LBB87_75:
	s_endpgm
.LBB87_76:
	ds_read_b32 v11, v9
	s_waitcnt lgkmcnt(0)
	v_add_f32_e32 v8, v8, v11
	s_or_b32 exec_lo, exec_lo, s1
	s_and_saveexec_b32 s1, vcc_lo
	s_cbranch_execz .LBB87_52
.LBB87_77:
	ds_read_b32 v11, v9 offset:64
	s_waitcnt lgkmcnt(0)
	v_add_f32_e32 v7, v7, v11
	s_or_b32 exec_lo, exec_lo, s1
	s_and_saveexec_b32 s1, vcc_lo
	s_cbranch_execz .LBB87_53
.LBB87_78:
	ds_read_b32 v11, v9 offset:128
	s_waitcnt lgkmcnt(0)
	v_add_f32_e32 v6, v6, v11
	s_or_b32 exec_lo, exec_lo, s1
	s_and_saveexec_b32 s1, vcc_lo
	s_cbranch_execz .LBB87_54
.LBB87_79:
	ds_read_b32 v11, v9 offset:192
	s_waitcnt lgkmcnt(0)
	v_add_f32_e32 v5, v5, v11
	s_or_b32 exec_lo, exec_lo, s1
	s_and_saveexec_b32 s1, vcc_lo
	s_cbranch_execz .LBB87_55
.LBB87_80:
	ds_read_b32 v11, v9 offset:256
	s_waitcnt lgkmcnt(0)
	v_add_f32_e32 v4, v4, v11
	s_or_b32 exec_lo, exec_lo, s1
	s_and_saveexec_b32 s1, vcc_lo
	s_cbranch_execz .LBB87_56
.LBB87_81:
	ds_read_b32 v11, v9 offset:320
	s_waitcnt lgkmcnt(0)
	v_add_f32_e32 v3, v3, v11
	s_or_b32 exec_lo, exec_lo, s1
	s_and_saveexec_b32 s1, vcc_lo
	s_cbranch_execz .LBB87_57
.LBB87_82:
	ds_read_b32 v11, v9 offset:384
	s_waitcnt lgkmcnt(0)
	v_add_f32_e32 v2, v2, v11
	s_or_b32 exec_lo, exec_lo, s1
	s_and_saveexec_b32 s1, vcc_lo
	s_cbranch_execnz .LBB87_58
	s_branch .LBB87_59
.LBB87_83:
	ds_read_b32 v10, v9
	s_waitcnt lgkmcnt(0)
	v_add_f32_e32 v8, v8, v10
	s_or_b32 exec_lo, exec_lo, s0
	s_and_saveexec_b32 s0, vcc_lo
	s_cbranch_execz .LBB87_65
.LBB87_84:
	ds_read_b32 v10, v9 offset:64
	s_waitcnt lgkmcnt(0)
	v_add_f32_e32 v7, v7, v10
	s_or_b32 exec_lo, exec_lo, s0
	s_and_saveexec_b32 s0, vcc_lo
	s_cbranch_execz .LBB87_66
.LBB87_85:
	ds_read_b32 v10, v9 offset:128
	s_waitcnt lgkmcnt(0)
	v_add_f32_e32 v6, v6, v10
	s_or_b32 exec_lo, exec_lo, s0
	s_and_saveexec_b32 s0, vcc_lo
	s_cbranch_execz .LBB87_67
.LBB87_86:
	ds_read_b32 v10, v9 offset:192
	s_waitcnt lgkmcnt(0)
	v_add_f32_e32 v5, v5, v10
	s_or_b32 exec_lo, exec_lo, s0
	s_and_saveexec_b32 s0, vcc_lo
	s_cbranch_execz .LBB87_68
.LBB87_87:
	ds_read_b32 v10, v9 offset:256
	s_waitcnt lgkmcnt(0)
	v_add_f32_e32 v4, v4, v10
	s_or_b32 exec_lo, exec_lo, s0
	s_and_saveexec_b32 s0, vcc_lo
	s_cbranch_execz .LBB87_69
.LBB87_88:
	ds_read_b32 v10, v9 offset:320
	s_waitcnt lgkmcnt(0)
	v_add_f32_e32 v3, v3, v10
	s_or_b32 exec_lo, exec_lo, s0
	s_and_saveexec_b32 s0, vcc_lo
	s_cbranch_execz .LBB87_70
.LBB87_89:
	ds_read_b32 v10, v9 offset:384
	s_waitcnt lgkmcnt(0)
	v_add_f32_e32 v2, v2, v10
	s_or_b32 exec_lo, exec_lo, s0
	s_and_saveexec_b32 s0, vcc_lo
	s_cbranch_execnz .LBB87_71
	s_branch .LBB87_72
	.section	.rodata,"a",@progbits
	.p2align	6, 0x0
	.amdhsa_kernel _ZN4vllm25paged_attention_v1_kernelIttLi128ELi16ELi128ELNS_18Fp8KVCacheDataTypeE0ELb0EEEvPT_PKS2_PKT0_S8_ifPKiSA_iPKfiiiSC_SC_iiiii
		.amdhsa_group_segment_fixed_size 288
		.amdhsa_private_segment_fixed_size 0
		.amdhsa_kernarg_size 384
		.amdhsa_user_sgpr_count 6
		.amdhsa_user_sgpr_private_segment_buffer 1
		.amdhsa_user_sgpr_dispatch_ptr 0
		.amdhsa_user_sgpr_queue_ptr 0
		.amdhsa_user_sgpr_kernarg_segment_ptr 1
		.amdhsa_user_sgpr_dispatch_id 0
		.amdhsa_user_sgpr_flat_scratch_init 0
		.amdhsa_user_sgpr_private_segment_size 0
		.amdhsa_wavefront_size32 1
		.amdhsa_uses_dynamic_stack 0
		.amdhsa_system_sgpr_private_segment_wavefront_offset 0
		.amdhsa_system_sgpr_workgroup_id_x 1
		.amdhsa_system_sgpr_workgroup_id_y 1
		.amdhsa_system_sgpr_workgroup_id_z 1
		.amdhsa_system_sgpr_workgroup_info 0
		.amdhsa_system_vgpr_workitem_id 0
		.amdhsa_next_free_vgpr 91
		.amdhsa_next_free_sgpr 30
		.amdhsa_reserve_vcc 1
		.amdhsa_reserve_flat_scratch 0
		.amdhsa_float_round_mode_32 0
		.amdhsa_float_round_mode_16_64 0
		.amdhsa_float_denorm_mode_32 3
		.amdhsa_float_denorm_mode_16_64 3
		.amdhsa_dx10_clamp 1
		.amdhsa_ieee_mode 1
		.amdhsa_fp16_overflow 0
		.amdhsa_workgroup_processor_mode 1
		.amdhsa_memory_ordered 1
		.amdhsa_forward_progress 1
		.amdhsa_shared_vgpr_count 0
		.amdhsa_exception_fp_ieee_invalid_op 0
		.amdhsa_exception_fp_denorm_src 0
		.amdhsa_exception_fp_ieee_div_zero 0
		.amdhsa_exception_fp_ieee_overflow 0
		.amdhsa_exception_fp_ieee_underflow 0
		.amdhsa_exception_fp_ieee_inexact 0
		.amdhsa_exception_int_div_zero 0
	.end_amdhsa_kernel
	.section	.text._ZN4vllm25paged_attention_v1_kernelIttLi128ELi16ELi128ELNS_18Fp8KVCacheDataTypeE0ELb0EEEvPT_PKS2_PKT0_S8_ifPKiSA_iPKfiiiSC_SC_iiiii,"axG",@progbits,_ZN4vllm25paged_attention_v1_kernelIttLi128ELi16ELi128ELNS_18Fp8KVCacheDataTypeE0ELb0EEEvPT_PKS2_PKT0_S8_ifPKiSA_iPKfiiiSC_SC_iiiii,comdat
.Lfunc_end87:
	.size	_ZN4vllm25paged_attention_v1_kernelIttLi128ELi16ELi128ELNS_18Fp8KVCacheDataTypeE0ELb0EEEvPT_PKS2_PKT0_S8_ifPKiSA_iPKfiiiSC_SC_iiiii, .Lfunc_end87-_ZN4vllm25paged_attention_v1_kernelIttLi128ELi16ELi128ELNS_18Fp8KVCacheDataTypeE0ELb0EEEvPT_PKS2_PKT0_S8_ifPKiSA_iPKfiiiSC_SC_iiiii
                                        ; -- End function
	.set _ZN4vllm25paged_attention_v1_kernelIttLi128ELi16ELi128ELNS_18Fp8KVCacheDataTypeE0ELb0EEEvPT_PKS2_PKT0_S8_ifPKiSA_iPKfiiiSC_SC_iiiii.num_vgpr, 91
	.set _ZN4vllm25paged_attention_v1_kernelIttLi128ELi16ELi128ELNS_18Fp8KVCacheDataTypeE0ELb0EEEvPT_PKS2_PKT0_S8_ifPKiSA_iPKfiiiSC_SC_iiiii.num_agpr, 0
	.set _ZN4vllm25paged_attention_v1_kernelIttLi128ELi16ELi128ELNS_18Fp8KVCacheDataTypeE0ELb0EEEvPT_PKS2_PKT0_S8_ifPKiSA_iPKfiiiSC_SC_iiiii.numbered_sgpr, 30
	.set _ZN4vllm25paged_attention_v1_kernelIttLi128ELi16ELi128ELNS_18Fp8KVCacheDataTypeE0ELb0EEEvPT_PKS2_PKT0_S8_ifPKiSA_iPKfiiiSC_SC_iiiii.num_named_barrier, 0
	.set _ZN4vllm25paged_attention_v1_kernelIttLi128ELi16ELi128ELNS_18Fp8KVCacheDataTypeE0ELb0EEEvPT_PKS2_PKT0_S8_ifPKiSA_iPKfiiiSC_SC_iiiii.private_seg_size, 0
	.set _ZN4vllm25paged_attention_v1_kernelIttLi128ELi16ELi128ELNS_18Fp8KVCacheDataTypeE0ELb0EEEvPT_PKS2_PKT0_S8_ifPKiSA_iPKfiiiSC_SC_iiiii.uses_vcc, 1
	.set _ZN4vllm25paged_attention_v1_kernelIttLi128ELi16ELi128ELNS_18Fp8KVCacheDataTypeE0ELb0EEEvPT_PKS2_PKT0_S8_ifPKiSA_iPKfiiiSC_SC_iiiii.uses_flat_scratch, 0
	.set _ZN4vllm25paged_attention_v1_kernelIttLi128ELi16ELi128ELNS_18Fp8KVCacheDataTypeE0ELb0EEEvPT_PKS2_PKT0_S8_ifPKiSA_iPKfiiiSC_SC_iiiii.has_dyn_sized_stack, 0
	.set _ZN4vllm25paged_attention_v1_kernelIttLi128ELi16ELi128ELNS_18Fp8KVCacheDataTypeE0ELb0EEEvPT_PKS2_PKT0_S8_ifPKiSA_iPKfiiiSC_SC_iiiii.has_recursion, 0
	.set _ZN4vllm25paged_attention_v1_kernelIttLi128ELi16ELi128ELNS_18Fp8KVCacheDataTypeE0ELb0EEEvPT_PKS2_PKT0_S8_ifPKiSA_iPKfiiiSC_SC_iiiii.has_indirect_call, 0
	.section	.AMDGPU.csdata,"",@progbits
; Kernel info:
; codeLenInByte = 10924
; TotalNumSgprs: 32
; NumVgprs: 91
; ScratchSize: 0
; MemoryBound: 0
; FloatMode: 240
; IeeeMode: 1
; LDSByteSize: 288 bytes/workgroup (compile time only)
; SGPRBlocks: 0
; VGPRBlocks: 11
; NumSGPRsForWavesPerEU: 32
; NumVGPRsForWavesPerEU: 91
; Occupancy: 10
; WaveLimiterHint : 1
; COMPUTE_PGM_RSRC2:SCRATCH_EN: 0
; COMPUTE_PGM_RSRC2:USER_SGPR: 6
; COMPUTE_PGM_RSRC2:TRAP_HANDLER: 0
; COMPUTE_PGM_RSRC2:TGID_X_EN: 1
; COMPUTE_PGM_RSRC2:TGID_Y_EN: 1
; COMPUTE_PGM_RSRC2:TGID_Z_EN: 1
; COMPUTE_PGM_RSRC2:TIDIG_COMP_CNT: 0
	.section	.text._ZN4vllm25paged_attention_v1_kernelIttLi192ELi16ELi128ELNS_18Fp8KVCacheDataTypeE0ELb0EEEvPT_PKS2_PKT0_S8_ifPKiSA_iPKfiiiSC_SC_iiiii,"axG",@progbits,_ZN4vllm25paged_attention_v1_kernelIttLi192ELi16ELi128ELNS_18Fp8KVCacheDataTypeE0ELb0EEEvPT_PKS2_PKT0_S8_ifPKiSA_iPKfiiiSC_SC_iiiii,comdat
	.protected	_ZN4vllm25paged_attention_v1_kernelIttLi192ELi16ELi128ELNS_18Fp8KVCacheDataTypeE0ELb0EEEvPT_PKS2_PKT0_S8_ifPKiSA_iPKfiiiSC_SC_iiiii ; -- Begin function _ZN4vllm25paged_attention_v1_kernelIttLi192ELi16ELi128ELNS_18Fp8KVCacheDataTypeE0ELb0EEEvPT_PKS2_PKT0_S8_ifPKiSA_iPKfiiiSC_SC_iiiii
	.globl	_ZN4vllm25paged_attention_v1_kernelIttLi192ELi16ELi128ELNS_18Fp8KVCacheDataTypeE0ELb0EEEvPT_PKS2_PKT0_S8_ifPKiSA_iPKfiiiSC_SC_iiiii
	.p2align	8
	.type	_ZN4vllm25paged_attention_v1_kernelIttLi192ELi16ELi128ELNS_18Fp8KVCacheDataTypeE0ELb0EEEvPT_PKS2_PKT0_S8_ifPKiSA_iPKfiiiSC_SC_iiiii,@function
_ZN4vllm25paged_attention_v1_kernelIttLi192ELi16ELi128ELNS_18Fp8KVCacheDataTypeE0ELb0EEEvPT_PKS2_PKT0_S8_ifPKiSA_iPKfiiiSC_SC_iiiii: ; @_ZN4vllm25paged_attention_v1_kernelIttLi192ELi16ELi128ELNS_18Fp8KVCacheDataTypeE0ELb0EEEvPT_PKS2_PKT0_S8_ifPKiSA_iPKfiiiSC_SC_iiiii
; %bb.0:
	s_clause 0x2
	s_load_dword s9, s[4:5], 0x80
	s_load_dwordx2 s[0:1], s[4:5], 0x30
	s_load_dwordx2 s[24:25], s[4:5], 0x20
	s_mov_b32 s10, s7
	s_ashr_i32 s11, s7, 31
	s_lshl_b64 s[2:3], s[10:11], 2
	s_waitcnt lgkmcnt(0)
	s_add_u32 s0, s0, s2
	s_addc_u32 s1, s1, s3
	s_abs_i32 s2, s24
	s_abs_i32 s11, s9
	v_cvt_f32_u32_e32 v1, s2
	s_sub_i32 s7, 0, s2
	v_rcp_iflag_f32_e32 v1, v1
	v_mul_f32_e32 v1, 0x4f7ffffe, v1
	v_cvt_u32_f32_e32 v1, v1
	v_readfirstlane_b32 s3, v1
	s_mul_i32 s7, s7, s3
	s_mul_hi_u32 s7, s3, s7
	s_add_i32 s3, s3, s7
	s_xor_b32 s7, s9, s24
	s_mul_hi_u32 s3, s11, s3
	s_ashr_i32 s7, s7, 31
	s_mul_i32 s12, s3, s2
	s_mov_b32 s24, 0
	s_sub_i32 s11, s11, s12
	s_add_i32 s12, s3, 1
	s_sub_i32 s13, s11, s2
	s_cmp_ge_u32 s11, s2
	s_cselect_b32 s3, s12, s3
	s_cselect_b32 s11, s13, s11
	s_add_i32 s12, s3, 1
	s_cmp_ge_u32 s11, s2
	s_cselect_b32 s2, s12, s3
	s_abs_i32 s17, s6
	s_xor_b32 s2, s2, s7
	s_sub_i32 s18, s2, s7
	s_load_dwordx2 s[2:3], s[4:5], 0x40
	s_abs_i32 s16, s18
	v_cvt_f32_u32_e32 v1, s16
	s_sub_i32 s11, 0, s16
	v_rcp_iflag_f32_e32 v1, v1
	v_mul_f32_e32 v1, 0x4f7ffffe, v1
	v_cvt_u32_f32_e32 v1, v1
	v_readfirstlane_b32 s7, v1
	s_mul_i32 s11, s11, s7
	s_mul_hi_u32 s11, s7, s11
	s_add_i32 s7, s7, s11
	s_waitcnt lgkmcnt(0)
	s_cmp_eq_u64 s[2:3], 0
	s_mul_hi_u32 s20, s17, s7
	s_cbranch_scc1 .LBB88_2
; %bb.1:
	s_ashr_i32 s7, s6, 31
	s_lshl_b64 s[12:13], s[6:7], 2
	s_add_u32 s2, s2, s12
	s_addc_u32 s3, s3, s13
	s_load_dword s24, s[2:3], 0x0
.LBB88_2:
	s_load_dword s11, s[0:1], 0x0
	s_load_dwordx4 s[12:15], s[4:5], 0x48
	v_lshrrev_b32_e32 v45, 1, v0
	v_and_b32_e32 v46, 1, v0
	v_lshlrev_b32_e32 v48, 3, v0
	s_ashr_i32 s0, s6, 31
	s_ashr_i32 s1, s18, 31
	s_mulk_i32 s6, 0xc0
	s_mov_b32 s2, exec_lo
	v_cmpx_gt_u32_e32 48, v0
	s_cbranch_execz .LBB88_4
; %bb.3:
	s_load_dwordx2 s[18:19], s[4:5], 0x8
	s_waitcnt lgkmcnt(0)
	s_mul_i32 s22, s12, s10
	v_lshlrev_b32_e32 v3, 3, v45
	s_ashr_i32 s23, s22, 31
	s_lshl_b64 s[22:23], s[22:23], 1
	v_mad_u32_u24 v3, 0xc0, v46, v3
	s_add_u32 s3, s18, s22
	s_addc_u32 s12, s19, s23
	s_ashr_i32 s7, s6, 31
	s_lshl_b64 s[18:19], s[6:7], 1
	s_add_u32 s18, s3, s18
	s_addc_u32 s19, s12, s19
	global_load_dwordx2 v[1:2], v48, s[18:19]
	s_waitcnt vmcnt(0)
	ds_write_b64 v3, v[1:2]
.LBB88_4:
	s_or_b32 exec_lo, exec_lo, s2
	s_waitcnt lgkmcnt(0)
	s_add_i32 s2, s11, 15
	s_clause 0x1
	s_load_dwordx2 s[18:19], s[4:5], 0x28
	s_load_dword s7, s[4:5], 0x38
	s_ashr_i32 s3, s2, 31
	s_xor_b32 s0, s0, s1
	s_lshr_b32 s3, s3, 28
	s_mul_i32 s1, s20, s16
	s_add_i32 s2, s2, s3
	s_sub_i32 s1, s17, s1
	s_ashr_i32 s12, s2, 4
	s_add_i32 s2, s20, 1
	s_sub_i32 s3, s1, s16
	s_cmp_ge_u32 s1, s16
	v_lshrrev_b32_e32 v47, 5, v0
	s_cselect_b32 s2, s2, s20
	s_cselect_b32 s1, s3, s1
	s_add_i32 s3, s2, 1
	s_cmp_ge_u32 s1, s16
	v_mbcnt_lo_u32_b32 v50, -1, 0
	s_cselect_b32 s1, s3, s2
	s_mov_b32 s2, exec_lo
	s_xor_b32 s1, s1, s0
	s_waitcnt lgkmcnt(0)
	s_mul_i32 s20, s7, s10
	s_sub_i32 s1, s1, s0
	v_cmp_gt_i32_e64 s0, s12, v47
	s_ashr_i32 s21, s20, 31
	s_barrier
	buffer_gl0_inv
                                        ; implicit-def: $vgpr51
                                        ; implicit-def: $vgpr52
	v_cmpx_le_i32_e64 s12, v47
	s_xor_b32 s2, exec_lo, s2
; %bb.5:
	v_mov_b32_e32 v51, 0
	v_mbcnt_lo_u32_b32 v50, -1, 0
	v_mov_b32_e32 v52, 32
; %bb.6:
	s_or_saveexec_b32 s26, s2
	s_clause 0x2
	s_load_dwordx2 s[16:17], s[4:5], 0x0
	s_load_dwordx2 s[22:23], s[4:5], 0x18
	s_load_dword s7, s[4:5], 0x88
	v_mov_b32_e32 v53, 0xff7fffff
	v_lshrrev_b32_e32 v49, 3, v0
	s_mul_i32 s14, s1, s14
	s_xor_b32 exec_lo, exec_lo, s26
	s_cbranch_execz .LBB88_12
; %bb.7:
	s_load_dwordx2 s[2:3], s[4:5], 0x10
	v_bfe_u32 v1, v0, 1, 4
	s_ashr_i32 s15, s14, 31
	v_and_b32_e32 v3, 8, v48
	s_lshl_b64 s[4:5], s[14:15], 1
	v_and_b32_e32 v4, 0x7c, v49
	v_lshlrev_b32_e32 v2, 2, v1
	v_lshlrev_b32_e32 v5, 4, v1
	v_lshl_or_b32 v55, v47, 4, v1
	v_mov_b32_e32 v51, 0
	v_mul_u32_u24_e32 v54, 0xc0, v46
	v_lshl_or_b32 v2, v47, 6, v2
	v_cmp_neq_f32_e64 s1, s24, 0
	v_mov_b32_e32 v53, 0xff7fffff
	v_xor_b32_e32 v59, 1, v50
	v_mov_b32_e32 v52, 32
	v_add_nc_u32_e32 v56, 0x1a0, v2
	v_mov_b32_e32 v60, v47
	v_cmp_eq_u32_e32 vcc_lo, 0, v46
	s_waitcnt lgkmcnt(0)
	s_add_u32 s15, s2, s4
	s_addc_u32 s5, s3, s5
	v_add_co_u32 v1, s15, s15, v5
	v_add_co_ci_u32_e64 v2, null, s5, 0, s15
	s_lshl_b64 s[2:3], s[20:21], 2
	s_sub_i32 s4, 1, s11
	s_add_u32 s5, s18, s2
	v_add_co_u32 v57, s2, v1, v3
	s_addc_u32 s3, s19, s3
	v_add_co_ci_u32_e64 v58, null, 0, v2, s2
	v_add_co_u32 v1, s2, s5, v4
	v_add_co_ci_u32_e64 v2, null, s3, 0, s2
	s_mov_b32 s15, s13
	s_mov_b32 s5, 0
	s_branch .LBB88_9
.LBB88_8:                               ;   in Loop: Header=BB88_9 Depth=1
	s_or_b32 exec_lo, exec_lo, s3
	v_add_nc_u32_e32 v60, 4, v60
	v_add_co_u32 v1, s3, v1, 16
	v_add_nc_u32_e32 v55, 64, v55
	v_add_nc_u32_e32 v56, 0x100, v56
	v_cmp_le_i32_e64 s2, s12, v60
	v_add_co_ci_u32_e64 v2, null, 0, v2, s3
	s_or_b32 s5, s2, s5
	s_andn2_b32 exec_lo, exec_lo, s5
	s_cbranch_execz .LBB88_11
.LBB88_9:                               ; =>This Inner Loop Header: Depth=1
	global_load_dword v3, v[1:2], off
	s_waitcnt vmcnt(0) lgkmcnt(0)
	v_mad_i64_i32 v[3:4], null, v3, s15, 0
	v_lshlrev_b64 v[3:4], 1, v[3:4]
	v_add_co_u32 v3, s2, v57, v3
	v_add_co_ci_u32_e64 v4, null, v58, v4, s2
	s_clause 0x7
	global_load_dwordx2 v[61:62], v[3:4], off
	global_load_dwordx2 v[66:67], v[3:4], off offset:256
	global_load_dwordx2 v[68:69], v[3:4], off offset:512
	global_load_dwordx2 v[43:44], v[3:4], off offset:768
	global_load_dwordx2 v[41:42], v[3:4], off offset:1024
	global_load_dwordx2 v[39:40], v[3:4], off offset:1280
	global_load_dwordx2 v[37:38], v[3:4], off offset:1536
	global_load_dwordx2 v[35:36], v[3:4], off offset:1792
	v_add_co_u32 v5, s2, v3, 0x1000
	v_add_co_ci_u32_e64 v6, null, 0, v4, s2
	v_add_co_u32 v9, s2, 0x800, v3
	v_add_co_ci_u32_e64 v10, null, 0, v4, s2
	global_load_dwordx2 v[33:34], v[5:6], off offset:-2048
	ds_read_b64 v[7:8], v54
	v_add_co_u32 v3, s2, 0x1000, v3
	global_load_dwordx2 v[31:32], v[9:10], off offset:256
	v_add_co_ci_u32_e64 v4, null, 0, v4, s2
	v_cmp_gt_i32_e64 s2, 32, v59
	s_waitcnt lgkmcnt(0)
	v_lshrrev_b32_e32 v63, 16, v7
	v_and_b32_e32 v64, 0xffff, v7
	v_lshrrev_b32_e32 v65, 16, v8
	v_and_b32_e32 v70, 0xffff, v8
	s_clause 0xd
	global_load_dwordx2 v[29:30], v[9:10], off offset:512
	global_load_dwordx2 v[27:28], v[9:10], off offset:768
	;; [unrolled: 1-line block ×11, first 2 shown]
	global_load_dwordx2 v[17:18], v[5:6], off
	global_load_dwordx2 v[5:6], v[3:4], off offset:1536
	global_load_dwordx2 v[3:4], v[3:4], off offset:1792
	;;#ASMSTART
	v_cvt_f32_f16 v72, v64;
	;;#ASMEND
	;;#ASMSTART
	v_cvt_f32_f16 v74, v63;
	;;#ASMEND
	s_waitcnt vmcnt(23)
	v_and_b32_e32 v64, 0xffff, v61
	v_lshrrev_b32_e32 v71, 16, v62
	v_lshrrev_b32_e32 v61, 16, v61
	v_and_b32_e32 v73, 0xffff, v62
	;;#ASMSTART
	v_cvt_f32_f16 v75, v64;
	;;#ASMEND
	;;#ASMSTART
	v_cvt_f32_f16 v76, v61;
	;;#ASMEND
	;; [unrolled: 3-line block ×6, first 2 shown]
	ds_read_b64 v[70:71], v54 offset:8
	s_waitcnt vmcnt(22)
	v_and_b32_e32 v73, 0xffff, v66
	v_lshrrev_b32_e32 v66, 16, v66
	v_and_b32_e32 v81, 0xffff, v67
	v_lshrrev_b32_e32 v67, 16, v67
	s_waitcnt lgkmcnt(0)
	v_and_b32_e32 v61, 0xffff, v70
	v_lshrrev_b32_e32 v70, 16, v70
	v_and_b32_e32 v79, 0xffff, v71
	v_lshrrev_b32_e32 v71, 16, v71
	;;#ASMSTART
	v_cvt_f32_f16 v61, v61;
	;;#ASMEND
	;;#ASMSTART
	v_cvt_f32_f16 v70, v70;
	;;#ASMEND
	;; [unrolled: 3-line block ×8, first 2 shown]
	ds_read_b64 v[66:67], v54 offset:16
	s_waitcnt vmcnt(21)
	v_and_b32_e32 v71, 0xffff, v68
	v_and_b32_e32 v73, 0xffff, v69
	v_lshrrev_b32_e32 v68, 16, v68
	v_lshrrev_b32_e32 v69, 16, v69
	v_mul_f32_e32 v61, v61, v77
	s_waitcnt vmcnt(20)
	v_and_b32_e32 v77, 0xffff, v44
	v_lshrrev_b32_e32 v44, 16, v44
	v_fmac_f32_e32 v61, v72, v75
	s_waitcnt lgkmcnt(0)
	v_and_b32_e32 v83, 0xffff, v66
	v_lshrrev_b32_e32 v66, 16, v66
	v_and_b32_e32 v87, 0xffff, v67
	v_lshrrev_b32_e32 v67, 16, v67
	;;#ASMSTART
	v_cvt_f32_f16 v83, v83;
	;;#ASMEND
	;;#ASMSTART
	v_cvt_f32_f16 v84, v66;
	;;#ASMEND
	;; [unrolled: 3-line block ×8, first 2 shown]
	ds_read_b64 v[66:67], v54 offset:24
	v_and_b32_e32 v68, 0xffff, v43
	v_lshrrev_b32_e32 v69, 16, v43
	v_mul_f32_e32 v43, v70, v78
	s_waitcnt vmcnt(19)
	v_and_b32_e32 v78, 0xffff, v42
	v_fmac_f32_e32 v61, v83, v85
	v_fmac_f32_e32 v43, v74, v76
	;; [unrolled: 1-line block ×3, first 2 shown]
	s_waitcnt lgkmcnt(0)
	v_and_b32_e32 v70, 0xffff, v66
	v_lshrrev_b32_e32 v66, 16, v66
	v_and_b32_e32 v72, 0xffff, v67
	v_lshrrev_b32_e32 v67, 16, v67
	;;#ASMSTART
	v_cvt_f32_f16 v76, v70;
	;;#ASMEND
	;;#ASMSTART
	v_cvt_f32_f16 v91, v66;
	;;#ASMEND
	;;#ASMSTART
	v_cvt_f32_f16 v92, v68;
	;;#ASMEND
	;;#ASMSTART
	v_cvt_f32_f16 v93, v69;
	;;#ASMEND
	;;#ASMSTART
	v_cvt_f32_f16 v70, v72;
	;;#ASMEND
	;;#ASMSTART
	v_cvt_f32_f16 v66, v67;
	;;#ASMEND
	;;#ASMSTART
	v_cvt_f32_f16 v72, v77;
	;;#ASMEND
	;;#ASMSTART
	v_cvt_f32_f16 v68, v44;
	;;#ASMEND
	ds_read_b64 v[74:75], v54 offset:32
	v_and_b32_e32 v67, 0xffff, v41
	v_mul_f32_e32 v44, v79, v81
	v_lshrrev_b32_e32 v77, 16, v41
	v_mul_f32_e32 v41, v80, v82
	v_lshrrev_b32_e32 v79, 16, v42
	v_fmac_f32_e32 v61, v76, v92
	v_fmac_f32_e32 v44, v63, v65
	s_waitcnt vmcnt(18)
	v_and_b32_e32 v65, 0xffff, v39
	v_fmac_f32_e32 v41, v62, v64
	v_lshrrev_b32_e32 v39, 16, v39
	v_fmac_f32_e32 v43, v91, v93
	v_fmac_f32_e32 v44, v87, v90
	v_fmac_f32_e32 v41, v71, v73
	v_fmac_f32_e32 v44, v70, v72
	s_waitcnt vmcnt(16)
	v_lshrrev_b32_e32 v70, 16, v36
	v_and_b32_e32 v36, 0xffff, v36
	s_waitcnt lgkmcnt(0)
	v_and_b32_e32 v42, 0xffff, v74
	v_lshrrev_b32_e32 v63, 16, v74
	v_and_b32_e32 v62, 0xffff, v75
	v_lshrrev_b32_e32 v64, 16, v75
	;;#ASMSTART
	v_cvt_f32_f16 v94, v42;
	;;#ASMEND
	;;#ASMSTART
	v_cvt_f32_f16 v69, v63;
	;;#ASMEND
	;; [unrolled: 3-line block ×8, first 2 shown]
	ds_read_b64 v[62:63], v54 offset:40
	v_lshrrev_b32_e32 v74, 16, v40
	v_and_b32_e32 v75, 0xffff, v40
	v_fmac_f32_e32 v41, v66, v68
	v_fmac_f32_e32 v43, v69, v89
	;; [unrolled: 1-line block ×4, first 2 shown]
	s_waitcnt vmcnt(14)
	v_lshrrev_b32_e32 v88, 16, v31
	v_fmac_f32_e32 v41, v42, v64
	v_and_b32_e32 v89, 0xffff, v32
	s_waitcnt lgkmcnt(0)
	v_and_b32_e32 v40, 0xffff, v62
	v_lshrrev_b32_e32 v62, 16, v62
	v_and_b32_e32 v77, 0xffff, v63
	v_lshrrev_b32_e32 v63, 16, v63
	;;#ASMSTART
	v_cvt_f32_f16 v85, v40;
	;;#ASMEND
	;;#ASMSTART
	v_cvt_f32_f16 v40, v62;
	;;#ASMEND
	;; [unrolled: 3-line block ×8, first 2 shown]
	ds_read_b64 v[74:75], v54 offset:48
	v_lshrrev_b32_e32 v39, 16, v37
	v_and_b32_e32 v37, 0xffff, v37
	v_lshrrev_b32_e32 v63, 16, v38
	v_and_b32_e32 v38, 0xffff, v38
	v_fmac_f32_e32 v61, v85, v87
	v_and_b32_e32 v85, 0xffff, v31
	v_lshrrev_b32_e32 v87, 16, v32
	v_fmac_f32_e32 v43, v40, v62
	v_fmac_f32_e32 v44, v65, v86
	;; [unrolled: 1-line block ×3, first 2 shown]
	s_waitcnt vmcnt(13)
	v_and_b32_e32 v78, 0xffff, v29
	s_waitcnt lgkmcnt(0)
	v_and_b32_e32 v71, 0xffff, v74
	v_lshrrev_b32_e32 v73, 16, v74
	v_and_b32_e32 v74, 0xffff, v75
	v_lshrrev_b32_e32 v76, 16, v75
	;;#ASMSTART
	v_cvt_f32_f16 v81, v71;
	;;#ASMEND
	;;#ASMSTART
	v_cvt_f32_f16 v79, v73;
	;;#ASMEND
	;; [unrolled: 3-line block ×8, first 2 shown]
	ds_read_b64 v[37:38], v54 offset:56
	v_lshrrev_b32_e32 v39, 16, v35
	v_and_b32_e32 v35, 0xffff, v35
	v_fmac_f32_e32 v61, v81, v82
	v_fmac_f32_e32 v43, v79, v80
	;; [unrolled: 1-line block ×3, first 2 shown]
	s_waitcnt vmcnt(12)
	v_and_b32_e32 v75, 0xffff, v27
	v_lshrrev_b32_e32 v76, 16, v28
	v_fmac_f32_e32 v41, v73, v74
	s_waitcnt lgkmcnt(0)
	v_and_b32_e32 v63, 0xffff, v37
	v_and_b32_e32 v68, 0xffff, v38
	v_lshrrev_b32_e32 v37, 16, v37
	v_lshrrev_b32_e32 v38, 16, v38
	;;#ASMSTART
	v_cvt_f32_f16 v83, v63;
	;;#ASMEND
	;;#ASMSTART
	v_cvt_f32_f16 v63, v37;
	;;#ASMEND
	;; [unrolled: 3-line block ×8, first 2 shown]
	ds_read_b64 v[35:36], v54 offset:64
	v_lshrrev_b32_e32 v37, 16, v33
	v_and_b32_e32 v33, 0xffff, v33
	v_lshrrev_b32_e32 v38, 16, v34
	v_and_b32_e32 v34, 0xffff, v34
	v_fmac_f32_e32 v61, v83, v84
	v_fmac_f32_e32 v43, v63, v66
	;; [unrolled: 1-line block ×4, first 2 shown]
	s_waitcnt lgkmcnt(0)
	v_and_b32_e32 v39, 0xffff, v35
	v_and_b32_e32 v67, 0xffff, v36
	v_lshrrev_b32_e32 v69, 16, v36
	v_lshrrev_b32_e32 v35, 16, v35
	;;#ASMSTART
	v_cvt_f32_f16 v42, v39;
	;;#ASMEND
	;;#ASMSTART
	v_cvt_f32_f16 v36, v35;
	;;#ASMEND
	;; [unrolled: 3-line block ×8, first 2 shown]
	ds_read_b64 v[37:38], v54 offset:72
	v_fmac_f32_e32 v61, v42, v64
	v_fmac_f32_e32 v43, v36, v39
	;; [unrolled: 1-line block ×4, first 2 shown]
	s_waitcnt lgkmcnt(0)
	v_and_b32_e32 v31, 0xffff, v37
	v_lshrrev_b32_e32 v32, 16, v37
	v_and_b32_e32 v37, 0xffff, v38
	v_lshrrev_b32_e32 v40, 16, v38
	;;#ASMSTART
	v_cvt_f32_f16 v35, v31;
	;;#ASMEND
	;;#ASMSTART
	v_cvt_f32_f16 v31, v32;
	;;#ASMEND
	;; [unrolled: 3-line block ×8, first 2 shown]
	ds_read_b64 v[85:86], v54 offset:80
	v_lshrrev_b32_e32 v87, 16, v29
	v_lshrrev_b32_e32 v88, 16, v30
	v_and_b32_e32 v89, 0xffff, v30
	v_fmac_f32_e32 v61, v35, v38
	v_fmac_f32_e32 v43, v31, v32
	;; [unrolled: 1-line block ×4, first 2 shown]
	s_waitcnt lgkmcnt(0)
	v_and_b32_e32 v29, 0xffff, v85
	v_lshrrev_b32_e32 v30, 16, v85
	v_and_b32_e32 v80, 0xffff, v86
	v_lshrrev_b32_e32 v82, 16, v86
	;;#ASMSTART
	v_cvt_f32_f16 v77, v29;
	;;#ASMEND
	;;#ASMSTART
	v_cvt_f32_f16 v29, v30;
	;;#ASMEND
	;; [unrolled: 3-line block ×8, first 2 shown]
	ds_read_b64 v[85:86], v54 offset:88
	v_lshrrev_b32_e32 v87, 16, v27
	v_and_b32_e32 v88, 0xffff, v28
	v_fmac_f32_e32 v61, v77, v79
	v_fmac_f32_e32 v43, v29, v30
	;; [unrolled: 1-line block ×4, first 2 shown]
	s_waitcnt vmcnt(1)
	v_lshrrev_b32_e32 v89, 16, v5
	v_and_b32_e32 v5, 0xffff, v5
	s_waitcnt lgkmcnt(0)
	v_and_b32_e32 v27, 0xffff, v85
	v_lshrrev_b32_e32 v28, 16, v85
	v_and_b32_e32 v74, 0xffff, v86
	v_lshrrev_b32_e32 v84, 16, v86
	;;#ASMSTART
	v_cvt_f32_f16 v73, v27;
	;;#ASMEND
	;;#ASMSTART
	v_cvt_f32_f16 v27, v28;
	;;#ASMEND
	;; [unrolled: 3-line block ×8, first 2 shown]
	ds_read_b64 v[85:86], v54 offset:96
	v_lshrrev_b32_e32 v87, 16, v25
	v_and_b32_e32 v25, 0xffff, v25
	v_lshrrev_b32_e32 v88, 16, v26
	v_and_b32_e32 v26, 0xffff, v26
	v_fmac_f32_e32 v61, v73, v75
	v_fmac_f32_e32 v43, v27, v28
	;; [unrolled: 1-line block ×4, first 2 shown]
	v_lshrrev_b32_e32 v76, 16, v14
	v_and_b32_e32 v14, 0xffff, v14
	s_waitcnt lgkmcnt(0)
	v_and_b32_e32 v63, 0xffff, v85
	v_lshrrev_b32_e32 v66, 16, v85
	v_and_b32_e32 v71, 0xffff, v86
	v_lshrrev_b32_e32 v72, 16, v86
	;;#ASMSTART
	v_cvt_f32_f16 v63, v63;
	;;#ASMEND
	;;#ASMSTART
	v_cvt_f32_f16 v66, v66;
	;;#ASMEND
	;; [unrolled: 3-line block ×8, first 2 shown]
	ds_read_b64 v[25:26], v54 offset:104
	v_lshrrev_b32_e32 v87, 16, v23
	v_and_b32_e32 v23, 0xffff, v23
	v_lshrrev_b32_e32 v88, 16, v24
	v_and_b32_e32 v24, 0xffff, v24
	v_fmac_f32_e32 v61, v63, v68
	v_fmac_f32_e32 v43, v66, v70
	;; [unrolled: 1-line block ×4, first 2 shown]
	s_waitcnt lgkmcnt(0)
	v_and_b32_e32 v36, 0xffff, v25
	v_lshrrev_b32_e32 v39, 16, v25
	v_and_b32_e32 v42, 0xffff, v26
	v_lshrrev_b32_e32 v64, 16, v26
	;;#ASMSTART
	v_cvt_f32_f16 v25, v36;
	;;#ASMEND
	;;#ASMSTART
	v_cvt_f32_f16 v26, v39;
	;;#ASMEND
	;; [unrolled: 3-line block ×8, first 2 shown]
	ds_read_b64 v[23:24], v54 offset:112
	v_lshrrev_b32_e32 v87, 16, v21
	v_and_b32_e32 v21, 0xffff, v21
	v_lshrrev_b32_e32 v88, 16, v22
	v_and_b32_e32 v22, 0xffff, v22
	v_fmac_f32_e32 v61, v25, v36
	v_fmac_f32_e32 v43, v26, v39
	v_fmac_f32_e32 v44, v42, v67
	v_fmac_f32_e32 v41, v64, v69
	s_waitcnt lgkmcnt(0)
	v_and_b32_e32 v33, 0xffff, v23
	v_lshrrev_b32_e32 v34, 16, v23
	v_lshrrev_b32_e32 v35, 16, v24
	v_and_b32_e32 v38, 0xffff, v24
	;;#ASMSTART
	v_cvt_f32_f16 v23, v33;
	;;#ASMEND
	;;#ASMSTART
	v_cvt_f32_f16 v24, v34;
	;;#ASMEND
	;; [unrolled: 3-line block ×8, first 2 shown]
	ds_read_b64 v[21:22], v54 offset:120
	v_lshrrev_b32_e32 v87, 16, v19
	v_and_b32_e32 v19, 0xffff, v19
	v_lshrrev_b32_e32 v88, 16, v20
	v_and_b32_e32 v20, 0xffff, v20
	v_fmac_f32_e32 v61, v23, v31
	v_fmac_f32_e32 v43, v24, v32
	;; [unrolled: 1-line block ×4, first 2 shown]
	s_waitcnt lgkmcnt(0)
	v_and_b32_e32 v37, 0xffff, v21
	v_lshrrev_b32_e32 v40, 16, v21
	v_lshrrev_b32_e32 v65, 16, v22
	v_and_b32_e32 v62, 0xffff, v22
	;;#ASMSTART
	v_cvt_f32_f16 v21, v37;
	;;#ASMEND
	;;#ASMSTART
	v_cvt_f32_f16 v22, v40;
	;;#ASMEND
	;; [unrolled: 3-line block ×8, first 2 shown]
	ds_read_b64 v[19:20], v54 offset:128
	v_lshrrev_b32_e32 v87, 16, v17
	v_and_b32_e32 v17, 0xffff, v17
	v_lshrrev_b32_e32 v88, 16, v18
	v_and_b32_e32 v18, 0xffff, v18
	v_fmac_f32_e32 v61, v21, v37
	v_fmac_f32_e32 v43, v22, v40
	;; [unrolled: 1-line block ×4, first 2 shown]
	v_lshrrev_b32_e32 v21, 16, v6
	v_and_b32_e32 v6, 0xffff, v6
	s_waitcnt vmcnt(0)
	v_lshrrev_b32_e32 v22, 16, v3
	s_waitcnt lgkmcnt(0)
	v_and_b32_e32 v29, 0xffff, v19
	v_lshrrev_b32_e32 v30, 16, v19
	v_lshrrev_b32_e32 v80, 16, v20
	v_and_b32_e32 v78, 0xffff, v20
	;;#ASMSTART
	v_cvt_f32_f16 v19, v29;
	;;#ASMEND
	;;#ASMSTART
	v_cvt_f32_f16 v20, v30;
	;;#ASMEND
	;; [unrolled: 3-line block ×8, first 2 shown]
	ds_read_b64 v[17:18], v54 offset:136
	v_lshrrev_b32_e32 v87, 16, v15
	v_and_b32_e32 v15, 0xffff, v15
	v_lshrrev_b32_e32 v88, 16, v16
	v_and_b32_e32 v16, 0xffff, v16
	v_fmac_f32_e32 v61, v19, v29
	v_fmac_f32_e32 v43, v20, v30
	;; [unrolled: 1-line block ×4, first 2 shown]
	s_waitcnt lgkmcnt(0)
	v_and_b32_e32 v27, 0xffff, v17
	v_lshrrev_b32_e32 v28, 16, v17
	v_lshrrev_b32_e32 v75, 16, v18
	v_and_b32_e32 v73, 0xffff, v18
	;;#ASMSTART
	v_cvt_f32_f16 v17, v27;
	;;#ASMEND
	;;#ASMSTART
	v_cvt_f32_f16 v18, v28;
	;;#ASMEND
	;; [unrolled: 3-line block ×8, first 2 shown]
	ds_read_b64 v[15:16], v54 offset:144
	v_lshrrev_b32_e32 v87, 16, v13
	v_and_b32_e32 v13, 0xffff, v13
	v_lshrrev_b32_e32 v88, 16, v12
	v_and_b32_e32 v12, 0xffff, v12
	v_fmac_f32_e32 v61, v17, v27
	v_fmac_f32_e32 v43, v18, v28
	;; [unrolled: 1-line block ×4, first 2 shown]
	s_waitcnt lgkmcnt(0)
	v_and_b32_e32 v63, 0xffff, v15
	v_lshrrev_b32_e32 v68, 16, v15
	v_lshrrev_b32_e32 v70, 16, v16
	v_and_b32_e32 v74, 0xffff, v16
	;;#ASMSTART
	v_cvt_f32_f16 v15, v63;
	;;#ASMEND
	;;#ASMSTART
	v_cvt_f32_f16 v16, v68;
	;;#ASMEND
	;; [unrolled: 3-line block ×8, first 2 shown]
	ds_read_b64 v[13:14], v54 offset:152
	v_lshrrev_b32_e32 v87, 16, v11
	v_and_b32_e32 v11, 0xffff, v11
	v_fmac_f32_e32 v61, v15, v63
	v_fmac_f32_e32 v43, v16, v66
	;; [unrolled: 1-line block ×4, first 2 shown]
	s_waitcnt lgkmcnt(0)
	v_and_b32_e32 v71, 0xffff, v13
	v_lshrrev_b32_e32 v72, 16, v13
	v_lshrrev_b32_e32 v85, 16, v14
	v_and_b32_e32 v86, 0xffff, v14
	;;#ASMSTART
	v_cvt_f32_f16 v13, v71;
	;;#ASMEND
	;;#ASMSTART
	v_cvt_f32_f16 v14, v72;
	;;#ASMEND
	;;#ASMSTART
	v_cvt_f32_f16 v25, v11;
	;;#ASMEND
	;;#ASMSTART
	v_cvt_f32_f16 v36, v87;
	;;#ASMEND
	;;#ASMSTART
	v_cvt_f32_f16 v71, v86;
	;;#ASMEND
	;;#ASMSTART
	v_cvt_f32_f16 v72, v85;
	;;#ASMEND
	;;#ASMSTART
	v_cvt_f32_f16 v85, v12;
	;;#ASMEND
	;;#ASMSTART
	v_cvt_f32_f16 v86, v88;
	;;#ASMEND
	ds_read_b64 v[11:12], v54 offset:160
	v_lshrrev_b32_e32 v87, 16, v9
	v_and_b32_e32 v9, 0xffff, v9
	v_lshrrev_b32_e32 v88, 16, v10
	v_and_b32_e32 v10, 0xffff, v10
	v_fmac_f32_e32 v61, v13, v25
	v_fmac_f32_e32 v43, v14, v36
	;; [unrolled: 1-line block ×4, first 2 shown]
	v_and_b32_e32 v13, 0xffff, v3
	s_waitcnt lgkmcnt(0)
	v_and_b32_e32 v26, 0xffff, v11
	v_lshrrev_b32_e32 v39, 16, v11
	v_lshrrev_b32_e32 v64, 16, v12
	v_and_b32_e32 v42, 0xffff, v12
	;;#ASMSTART
	v_cvt_f32_f16 v11, v26;
	;;#ASMEND
	;;#ASMSTART
	v_cvt_f32_f16 v12, v39;
	;;#ASMEND
	;; [unrolled: 3-line block ×8, first 2 shown]
	ds_read_b64 v[9:10], v54 offset:168
	v_lshrrev_b32_e32 v87, 16, v7
	v_and_b32_e32 v7, 0xffff, v7
	v_lshrrev_b32_e32 v88, 16, v8
	v_and_b32_e32 v8, 0xffff, v8
	v_fmac_f32_e32 v61, v11, v26
	v_fmac_f32_e32 v43, v12, v39
	;; [unrolled: 1-line block ×4, first 2 shown]
	v_lshrrev_b32_e32 v11, 16, v4
	s_waitcnt lgkmcnt(0)
	v_and_b32_e32 v23, 0xffff, v9
	v_lshrrev_b32_e32 v24, 16, v9
	v_lshrrev_b32_e32 v32, 16, v10
	v_and_b32_e32 v31, 0xffff, v10
	;;#ASMSTART
	v_cvt_f32_f16 v9, v23;
	;;#ASMEND
	;;#ASMSTART
	v_cvt_f32_f16 v10, v24;
	;;#ASMEND
	;; [unrolled: 3-line block ×8, first 2 shown]
	ds_read_b64 v[7:8], v54 offset:176
	v_fmac_f32_e32 v61, v9, v23
	v_fmac_f32_e32 v43, v10, v24
	;; [unrolled: 1-line block ×3, first 2 shown]
	v_and_b32_e32 v9, 0xffff, v4
	v_fmac_f32_e32 v41, v32, v35
	s_waitcnt lgkmcnt(0)
	v_and_b32_e32 v15, 0xffff, v7
	v_lshrrev_b32_e32 v16, 16, v7
	v_lshrrev_b32_e32 v18, 16, v8
	v_and_b32_e32 v17, 0xffff, v8
	;;#ASMSTART
	v_cvt_f32_f16 v7, v15;
	;;#ASMEND
	;;#ASMSTART
	v_cvt_f32_f16 v8, v16;
	;;#ASMEND
	;; [unrolled: 3-line block ×8, first 2 shown]
	ds_read_b64 v[5:6], v54 offset:184
	v_fmac_f32_e32 v61, v7, v15
	v_fmac_f32_e32 v43, v8, v16
	;; [unrolled: 1-line block ×4, first 2 shown]
	s_waitcnt lgkmcnt(0)
	v_and_b32_e32 v3, 0xffff, v5
	v_lshrrev_b32_e32 v4, 16, v5
	v_lshrrev_b32_e32 v7, 16, v6
	v_and_b32_e32 v8, 0xffff, v6
	;;#ASMSTART
	v_cvt_f32_f16 v3, v3;
	;;#ASMEND
	;;#ASMSTART
	v_cvt_f32_f16 v4, v4;
	;;#ASMEND
	;; [unrolled: 3-line block ×4, first 2 shown]
	v_fmac_f32_e32 v61, v3, v5
	v_fmac_f32_e32 v43, v4, v6
	;;#ASMSTART
	v_cvt_f32_f16 v3, v8;
	;;#ASMEND
	;;#ASMSTART
	v_cvt_f32_f16 v4, v7;
	;;#ASMEND
	;; [unrolled: 3-line block ×3, first 2 shown]
	v_fmac_f32_e32 v44, v3, v5
	v_add_f32_e32 v3, v61, v43
	;;#ASMSTART
	v_cvt_f32_f16 v5, v11;
	;;#ASMEND
	v_fmac_f32_e32 v41, v4, v5
	v_cndmask_b32_e64 v4, v50, v59, s2
	v_add_f32_e32 v3, v3, v44
	v_lshlrev_b32_e32 v4, 2, v4
	v_add_f32_e32 v3, v41, v3
	ds_bpermute_b32 v4, v4, v3
	s_and_saveexec_b32 s3, vcc_lo
	s_cbranch_execz .LBB88_8
; %bb.10:                               ;   in Loop: Header=BB88_9 Depth=1
	v_add_nc_u32_e32 v5, s4, v55
	s_waitcnt lgkmcnt(0)
	v_add_f32_e32 v3, v3, v4
	v_cmp_gt_i32_e64 s2, s11, v55
	v_cvt_f32_i32_e32 v5, v5
	v_mul_f32_e32 v5, s24, v5
	v_cndmask_b32_e64 v4, 0, v5, s1
	v_max_f32_e32 v5, v53, v53
	v_fmac_f32_e32 v4, s25, v3
	v_max_f32_e32 v3, v5, v4
	v_cndmask_b32_e64 v4, 0, v4, s2
	v_cndmask_b32_e64 v53, v53, v3, s2
	ds_write_b32 v56, v4
	s_branch .LBB88_8
.LBB88_11:
	s_or_b32 exec_lo, exec_lo, s5
.LBB88_12:
	s_or_b32 exec_lo, exec_lo, s26
	v_xor_b32_e32 v1, 16, v50
	v_xor_b32_e32 v3, 8, v50
	v_max_f32_e32 v5, v53, v53
	v_xor_b32_e32 v6, 2, v50
	v_and_b32_e32 v11, 31, v0
	v_cmp_lt_i32_e32 vcc_lo, v1, v52
	v_cndmask_b32_e32 v1, v50, v1, vcc_lo
	v_cmp_lt_i32_e32 vcc_lo, v3, v52
	v_lshlrev_b32_e32 v2, 2, v1
	v_cndmask_b32_e32 v3, v50, v3, vcc_lo
	ds_bpermute_b32 v1, v2, v53
	s_waitcnt lgkmcnt(0)
	v_lshlrev_b32_e32 v4, 2, v3
	v_max_f32_e32 v1, v1, v1
	v_max_f32_e32 v1, v5, v1
	v_xor_b32_e32 v5, 4, v50
	ds_bpermute_b32 v3, v4, v1
	v_cmp_lt_i32_e32 vcc_lo, v5, v52
	v_cndmask_b32_e32 v5, v50, v5, vcc_lo
	v_cmp_lt_i32_e32 vcc_lo, v6, v52
	v_lshlrev_b32_e32 v5, 2, v5
	v_cndmask_b32_e32 v6, v50, v6, vcc_lo
	v_cmp_eq_u32_e32 vcc_lo, 0, v11
	s_waitcnt lgkmcnt(0)
	v_max_f32_e32 v3, v3, v3
	v_max_f32_e32 v1, v1, v3
	ds_bpermute_b32 v3, v5, v1
	s_waitcnt lgkmcnt(0)
	v_max_f32_e32 v3, v3, v3
	v_max_f32_e32 v3, v1, v3
	v_lshlrev_b32_e32 v1, 2, v6
	v_lshlrev_b32_e32 v6, 2, v47
	ds_bpermute_b32 v7, v1, v3
	s_and_saveexec_b32 s1, vcc_lo
	s_cbranch_execz .LBB88_14
; %bb.13:
	s_waitcnt lgkmcnt(0)
	v_max_f32_e32 v7, v7, v7
	v_max_f32_e32 v3, v3, v3
	;; [unrolled: 1-line block ×3, first 2 shown]
	ds_write_b32 v6, v3 offset:384
.LBB88_14:
	s_or_b32 exec_lo, exec_lo, s1
	v_cmp_gt_u32_e64 s1, 4, v11
	v_mov_b32_e32 v3, 0xff7fffff
	s_waitcnt lgkmcnt(0)
	v_lshlrev_b32_e32 v7, 2, v11
	s_barrier
	buffer_gl0_inv
	s_and_saveexec_b32 s2, s1
; %bb.15:
	ds_read_b32 v3, v7 offset:384
; %bb.16:
	s_or_b32 exec_lo, exec_lo, s2
	s_waitcnt lgkmcnt(0)
	ds_bpermute_b32 v8, v1, v3
	v_xor_b32_e32 v9, 1, v50
	v_max_f32_e32 v3, v3, v3
	v_cmp_lt_i32_e64 s2, v9, v52
	v_cndmask_b32_e64 v9, v50, v9, s2
	s_lshl_b32 s2, s12, 4
	s_min_i32 s4, s2, s11
	v_lshlrev_b32_e32 v12, 2, v9
	v_cmp_gt_i32_e64 s2, s4, v0
	s_waitcnt lgkmcnt(0)
	v_max_f32_e32 v8, v8, v8
	v_max_f32_e32 v3, v3, v8
	ds_bpermute_b32 v8, v12, v3
	s_waitcnt lgkmcnt(0)
	v_max_f32_e32 v8, v8, v8
	v_max_f32_e32 v3, v3, v8
	v_lshlrev_b32_e32 v8, 2, v51
	ds_bpermute_b32 v9, v8, v3
	v_mov_b32_e32 v8, 0
	v_lshl_add_u32 v3, v0, 2, 0x1a0
	s_and_saveexec_b32 s5, s2
	s_cbranch_execz .LBB88_20
; %bb.17:
	v_lshl_add_u32 v10, v0, 2, 0x1a0
	v_mov_b32_e32 v8, 0
	v_mov_b32_e32 v13, v0
	s_mov_b32 s15, 0
	.p2align	6
.LBB88_18:                              ; =>This Inner Loop Header: Depth=1
	ds_read_b32 v14, v10
	v_add_nc_u32_e32 v13, 0x80, v13
	v_cmp_le_i32_e64 s3, s4, v13
	s_or_b32 s15, s3, s15
	s_waitcnt lgkmcnt(0)
	v_sub_f32_e32 v14, v14, v9
	v_mul_f32_e32 v14, 0x3fb8aa3b, v14
	v_exp_f32_e32 v14, v14
	ds_write_b32 v10, v14
	v_add_f32_e32 v8, v8, v14
	v_add_nc_u32_e32 v10, 0x200, v10
	s_andn2_b32 exec_lo, exec_lo, s15
	s_cbranch_execnz .LBB88_18
; %bb.19:
	s_or_b32 exec_lo, exec_lo, s15
.LBB88_20:
	s_or_b32 exec_lo, exec_lo, s5
	ds_bpermute_b32 v2, v2, v8
	s_waitcnt lgkmcnt(0)
	v_add_f32_e32 v2, v8, v2
	ds_bpermute_b32 v4, v4, v2
	s_waitcnt lgkmcnt(0)
	v_add_f32_e32 v2, v2, v4
	;; [unrolled: 3-line block ×5, first 2 shown]
	s_and_saveexec_b32 s3, vcc_lo
; %bb.21:
	ds_write_b32 v6, v2 offset:400
; %bb.22:
	s_or_b32 exec_lo, exec_lo, s3
	s_waitcnt lgkmcnt(0)
	s_barrier
	buffer_gl0_inv
	s_and_saveexec_b32 s3, s1
; %bb.23:
	ds_read_b32 v2, v7 offset:400
; %bb.24:
	s_or_b32 exec_lo, exec_lo, s3
	s_waitcnt lgkmcnt(0)
	ds_bpermute_b32 v1, v1, v2
	v_lshlrev_b32_e32 v4, 2, v50
	s_waitcnt lgkmcnt(0)
	v_add_f32_e32 v1, v2, v1
	ds_bpermute_b32 v2, v12, v1
	s_waitcnt lgkmcnt(0)
	v_add_f32_e32 v1, v1, v2
	v_and_b32_e32 v2, 0xffffff80, v4
	ds_bpermute_b32 v1, v2, v1
	s_and_saveexec_b32 s1, s2
	s_cbranch_execz .LBB88_27
; %bb.25:
	s_waitcnt lgkmcnt(0)
	v_add_f32_e32 v1, 0x358637bd, v1
	s_mov_b32 s2, 0
	v_div_scale_f32 v2, null, v1, v1, 1.0
	v_div_scale_f32 v6, vcc_lo, 1.0, v1, 1.0
	v_rcp_f32_e32 v4, v2
	v_fma_f32 v5, -v2, v4, 1.0
	v_fmac_f32_e32 v4, v5, v4
	v_mul_f32_e32 v5, v6, v4
	v_fma_f32 v7, -v2, v5, v6
	v_fmac_f32_e32 v5, v7, v4
	v_fma_f32 v2, -v2, v5, v6
	v_div_fmas_f32 v2, v2, v4, v5
	v_div_fixup_f32 v1, v2, v1, 1.0
	v_mov_b32_e32 v2, v0
.LBB88_26:                              ; =>This Inner Loop Header: Depth=1
	ds_read_b32 v4, v3
	v_add_nc_u32_e32 v2, 0x80, v2
	v_cmp_le_i32_e32 vcc_lo, s4, v2
	s_or_b32 s2, vcc_lo, s2
	s_waitcnt lgkmcnt(0)
	v_mul_f32_e32 v4, v1, v4
	ds_write_b32 v3, v4
	v_add_nc_u32_e32 v3, 0x200, v3
	s_andn2_b32 exec_lo, exec_lo, s2
	s_cbranch_execnz .LBB88_26
.LBB88_27:
	s_or_b32 exec_lo, exec_lo, s1
	v_mov_b32_e32 v23, 0
	v_mov_b32_e32 v24, 0
	;; [unrolled: 1-line block ×12, first 2 shown]
	s_waitcnt lgkmcnt(0)
	s_barrier
	buffer_gl0_inv
	s_and_saveexec_b32 s2, s0
	s_cbranch_execz .LBB88_55
; %bb.28:
	v_lshlrev_b32_e32 v2, 4, v0
	s_ashr_i32 s15, s14, 31
	v_and_b32_e32 v1, 8, v48
	s_lshl_b64 s[0:1], s[14:15], 1
	v_lshlrev_b32_e32 v4, 4, v47
	v_and_b32_e32 v2, 0x1f0, v2
	s_add_u32 s0, s22, s0
	v_lshlrev_b32_e32 v3, 5, v46
	s_addc_u32 s1, s23, s1
	v_or3_b32 v28, v4, v1, 7
	v_add_co_u32 v26, s0, s0, v2
	v_and_b32_e32 v1, 0x7c, v49
	v_add_co_ci_u32_e64 v27, null, s1, 0, s0
	s_lshl_b64 s[0:1], s[20:21], 2
	s_add_i32 s3, s12, -1
	v_lshl_or_b32 v3, v47, 6, v3
	s_add_u32 s0, s18, s0
	s_addc_u32 s1, s19, s1
	v_add_co_u32 v5, s0, s0, v1
	v_mov_b32_e32 v25, 0
	v_add_nc_u32_e32 v29, 0x1a0, v3
	v_add_co_ci_u32_e64 v6, null, s1, 0, s0
	v_mov_b32_e32 v13, 0
	v_mov_b32_e32 v14, 0
	;; [unrolled: 1-line block ×13, first 2 shown]
	s_mov_b32 s5, s13
	s_mov_b32 s4, 0
	s_branch .LBB88_30
.LBB88_29:                              ;   in Loop: Header=BB88_30 Depth=1
	s_or_b32 exec_lo, exec_lo, s1
	v_add_f32_e32 v9, v9, v10
	v_add_f32_e32 v31, v64, v65
	v_lshlrev_b32_e32 v8, 16, v8
	v_lshlrev_b32_e32 v7, 16, v7
	v_add_f32_e32 v10, v57, v58
	v_add_f32_e32 v17, v17, v9
	v_lshlrev_b32_e32 v9, 16, v63
	v_add_f32_e32 v14, v14, v31
	v_add_f32_e32 v31, v55, v56
	v_and_or_b32 v2, 0xffff, v2, v8
	v_and_or_b32 v3, 0xffff, v3, v7
	v_and_or_b32 v1, 0xffff, v1, v9
	;;#ASMSTART
	v_pk_mul_f16 v1, v37, v1;

	;;#ASMEND
	;;#ASMSTART
	v_pk_mul_f16 v2, v35, v2;

	;;#ASMEND
	;; [unrolled: 4-line block ×4, first 2 shown]
	;;#ASMSTART
	v_pk_add_f16 v1, v1, v2;

	;;#ASMEND
	;;#ASMSTART
	v_pk_add_f16 v1, v1, v3;

	;;#ASMEND
	;; [unrolled: 4-line block ×3, first 2 shown]
	v_and_b32_e32 v4, 0xffff, v1
	v_add_nc_u32_e32 v30, 4, v30
	v_lshrrev_b32_e32 v7, 16, v1
	;;#ASMSTART
	v_cvt_f32_f16 v4, v4;
	;;#ASMEND
	v_add_f32_e32 v32, v61, v62
	v_add_f32_e32 v33, v59, v60
	;; [unrolled: 1-line block ×9, first 2 shown]
	;;#ASMSTART
	v_cvt_f32_f16 v7, v7;
	;;#ASMEND
	v_add_f32_e32 v4, v4, v7
	v_cmp_le_i32_e32 vcc_lo, s12, v30
	v_add_co_u32 v5, s0, v5, 16
	v_add_f32_e32 v15, v15, v32
	v_add_f32_e32 v16, v16, v33
	;; [unrolled: 1-line block ×8, first 2 shown]
	v_add_nc_u32_e32 v28, 64, v28
	v_add_nc_u32_e32 v29, 0x100, v29
	v_add_co_ci_u32_e64 v6, null, 0, v6, s0
	s_or_b32 s4, vcc_lo, s4
	s_andn2_b32 exec_lo, exec_lo, s4
	s_cbranch_execz .LBB88_54
.LBB88_30:                              ; =>This Inner Loop Header: Depth=1
	global_load_dword v7, v[5:6], off
	ds_read2_b64 v[1:4], v29 offset1:1
	ds_read2_b64 v[31:34], v29 offset0:2 offset1:3
	v_add_nc_u32_e32 v36, -7, v28
	v_cmp_eq_u32_e64 s0, s3, v30
	v_add_nc_u32_e32 v41, -6, v28
	v_add_nc_u32_e32 v40, -1, v28
	s_waitcnt lgkmcnt(1)
	;;#ASMSTART
	v_cvt_f16_f32 v37, v1;

	;;#ASMEND
	;;#ASMSTART
	v_cvt_f16_f32 v35, v2;

	;;#ASMEND
	;; [unrolled: 4-line block ×4, first 2 shown]
	s_waitcnt lgkmcnt(0)
	;;#ASMSTART
	v_cvt_f16_f32 v43, v31;

	;;#ASMEND
	;;#ASMSTART
	v_cvt_f16_f32 v10, v32;

	;;#ASMEND
	;; [unrolled: 4-line block ×4, first 2 shown]
	v_add_nc_u32_e32 v34, -5, v28
	v_add_nc_u32_e32 v33, -4, v28
	;; [unrolled: 1-line block ×4, first 2 shown]
	s_waitcnt vmcnt(0)
	v_mad_i64_i32 v[7:8], null, v7, s5, 0
	v_lshlrev_b64 v[7:8], 1, v[7:8]
	v_add_co_u32 v7, vcc_lo, v26, v7
	v_add_co_ci_u32_e64 v8, null, v27, v8, vcc_lo
	global_load_dwordx4 v[1:4], v[7:8], off
	s_waitcnt vmcnt(0)
	v_lshrrev_b32_e32 v49, 16, v1
	v_lshrrev_b32_e32 v48, 16, v2
	;; [unrolled: 1-line block ×3, first 2 shown]
	s_and_saveexec_b32 s13, s0
	s_cbranch_execz .LBB88_32
; %bb.31:                               ;   in Loop: Header=BB88_30 Depth=1
	v_cmp_gt_i32_e32 vcc_lo, s11, v36
	v_and_b32_e32 v50, 0xffff0000, v4
	v_cmp_gt_i32_e64 s1, s11, v34
	v_cndmask_b32_e32 v1, 0, v1, vcc_lo
	v_cmp_gt_i32_e32 vcc_lo, s11, v41
	v_cndmask_b32_e64 v2, 0, v2, s1
	v_cmp_gt_i32_e64 s1, s11, v33
	v_cndmask_b32_e32 v49, 0, v49, vcc_lo
	v_cmp_gt_i32_e32 vcc_lo, s11, v40
	v_cndmask_b32_e64 v48, 0, v48, s1
	v_cndmask_b32_sdwa v4, v25, v4, vcc_lo dst_sel:DWORD dst_unused:UNUSED_PAD src0_sel:DWORD src1_sel:WORD_0
	v_cmp_gt_i32_e32 vcc_lo, s11, v28
	v_cndmask_b32_e32 v50, 0, v50, vcc_lo
	v_cmp_gt_i32_e32 vcc_lo, s11, v32
	v_or_b32_e32 v4, v4, v50
	v_cndmask_b32_e32 v3, 0, v3, vcc_lo
	v_cmp_gt_i32_e32 vcc_lo, s11, v31
	v_cndmask_b32_e32 v44, 0, v44, vcc_lo
.LBB88_32:                              ;   in Loop: Header=BB88_30 Depth=1
	s_or_b32 exec_lo, exec_lo, s13
	v_and_b32_e32 v37, 0xffff, v37
	v_and_b32_e32 v42, 0xffff, v42
	v_lshlrev_b32_e32 v49, 16, v49
	v_lshlrev_b32_e32 v44, 16, v44
	v_and_b32_e32 v43, 0xffff, v43
	v_lshl_or_b32 v37, v35, 16, v37
	v_lshl_or_b32 v35, v38, 16, v42
	v_lshlrev_b32_e32 v42, 16, v48
	v_and_b32_e32 v39, 0xffff, v39
	v_and_or_b32 v1, 0xffff, v1, v49
	v_and_or_b32 v3, 0xffff, v3, v44
	;;#ASMSTART
	v_pk_mul_f16 v1, v37, v1;

	;;#ASMEND
	v_and_or_b32 v2, 0xffff, v2, v42
	v_lshl_or_b32 v38, v10, 16, v43
	v_lshl_or_b32 v39, v9, 16, v39
	;;#ASMSTART
	v_pk_mul_f16 v2, v35, v2;

	;;#ASMEND
	;;#ASMSTART
	v_pk_mul_f16 v3, v38, v3;

	;;#ASMEND
	;; [unrolled: 4-line block ×3, first 2 shown]
	;;#ASMSTART
	v_pk_add_f16 v1, v1, v2;

	;;#ASMEND
	;;#ASMSTART
	v_pk_add_f16 v1, v1, v3;

	;;#ASMEND
	;; [unrolled: 4-line block ×3, first 2 shown]
	v_and_b32_e32 v2, 0xffff, v1
	v_lshrrev_b32_e32 v1, 16, v1
	;;#ASMSTART
	v_cvt_f32_f16 v42, v2;
	;;#ASMEND
	;;#ASMSTART
	v_cvt_f32_f16 v43, v1;
	;;#ASMEND
	global_load_dwordx4 v[1:4], v[7:8], off offset:512
	s_waitcnt vmcnt(0)
	v_lshrrev_b32_e32 v44, 16, v1
	v_lshrrev_b32_e32 v10, 16, v2
	;; [unrolled: 1-line block ×3, first 2 shown]
	s_and_saveexec_b32 s13, s0
	s_cbranch_execz .LBB88_34
; %bb.33:                               ;   in Loop: Header=BB88_30 Depth=1
	v_cmp_gt_i32_e32 vcc_lo, s11, v36
	v_and_b32_e32 v48, 0xffff0000, v4
	v_cmp_gt_i32_e64 s1, s11, v34
	v_cndmask_b32_e32 v1, 0, v1, vcc_lo
	v_cmp_gt_i32_e32 vcc_lo, s11, v41
	v_cndmask_b32_e64 v2, 0, v2, s1
	v_cmp_gt_i32_e64 s1, s11, v33
	v_cndmask_b32_e32 v44, 0, v44, vcc_lo
	v_cmp_gt_i32_e32 vcc_lo, s11, v40
	v_cndmask_b32_e64 v10, 0, v10, s1
	v_cndmask_b32_sdwa v4, v25, v4, vcc_lo dst_sel:DWORD dst_unused:UNUSED_PAD src0_sel:DWORD src1_sel:WORD_0
	v_cmp_gt_i32_e32 vcc_lo, s11, v28
	v_cndmask_b32_e32 v48, 0, v48, vcc_lo
	v_cmp_gt_i32_e32 vcc_lo, s11, v32
	v_or_b32_e32 v4, v4, v48
	v_cndmask_b32_e32 v3, 0, v3, vcc_lo
	v_cmp_gt_i32_e32 vcc_lo, s11, v31
	v_cndmask_b32_e32 v9, 0, v9, vcc_lo
.LBB88_34:                              ;   in Loop: Header=BB88_30 Depth=1
	s_or_b32 exec_lo, exec_lo, s13
	v_lshlrev_b32_e32 v44, 16, v44
	v_lshlrev_b32_e32 v10, 16, v10
	v_lshlrev_b32_e32 v9, 16, v9
	v_and_or_b32 v1, 0xffff, v1, v44
	v_and_or_b32 v2, 0xffff, v2, v10
	;; [unrolled: 1-line block ×3, first 2 shown]
	;;#ASMSTART
	v_pk_mul_f16 v1, v37, v1;

	;;#ASMEND
	;;#ASMSTART
	v_pk_mul_f16 v2, v35, v2;

	;;#ASMEND
	;; [unrolled: 4-line block ×4, first 2 shown]
	;;#ASMSTART
	v_pk_add_f16 v1, v1, v2;

	;;#ASMEND
	;;#ASMSTART
	v_pk_add_f16 v1, v1, v3;

	;;#ASMEND
	;; [unrolled: 4-line block ×3, first 2 shown]
	v_and_b32_e32 v2, 0xffff, v1
	v_lshrrev_b32_e32 v1, 16, v1
	;;#ASMSTART
	v_cvt_f32_f16 v44, v2;
	;;#ASMEND
	;;#ASMSTART
	v_cvt_f32_f16 v48, v1;
	;;#ASMEND
	global_load_dwordx4 v[1:4], v[7:8], off offset:1024
	s_waitcnt vmcnt(0)
	v_lshrrev_b32_e32 v49, 16, v1
	v_lshrrev_b32_e32 v10, 16, v2
	;; [unrolled: 1-line block ×3, first 2 shown]
	s_and_saveexec_b32 s13, s0
	s_cbranch_execz .LBB88_36
; %bb.35:                               ;   in Loop: Header=BB88_30 Depth=1
	v_cmp_gt_i32_e32 vcc_lo, s11, v36
	v_and_b32_e32 v50, 0xffff0000, v4
	v_cmp_gt_i32_e64 s1, s11, v34
	v_cndmask_b32_e32 v1, 0, v1, vcc_lo
	v_cmp_gt_i32_e32 vcc_lo, s11, v41
	v_cndmask_b32_e64 v2, 0, v2, s1
	v_cmp_gt_i32_e64 s1, s11, v33
	v_cndmask_b32_e32 v49, 0, v49, vcc_lo
	v_cmp_gt_i32_e32 vcc_lo, s11, v40
	v_cndmask_b32_e64 v10, 0, v10, s1
	v_cndmask_b32_sdwa v4, v25, v4, vcc_lo dst_sel:DWORD dst_unused:UNUSED_PAD src0_sel:DWORD src1_sel:WORD_0
	v_cmp_gt_i32_e32 vcc_lo, s11, v28
	v_cndmask_b32_e32 v50, 0, v50, vcc_lo
	v_cmp_gt_i32_e32 vcc_lo, s11, v32
	v_or_b32_e32 v4, v4, v50
	v_cndmask_b32_e32 v3, 0, v3, vcc_lo
	v_cmp_gt_i32_e32 vcc_lo, s11, v31
	v_cndmask_b32_e32 v9, 0, v9, vcc_lo
.LBB88_36:                              ;   in Loop: Header=BB88_30 Depth=1
	s_or_b32 exec_lo, exec_lo, s13
	v_lshlrev_b32_e32 v49, 16, v49
	v_lshlrev_b32_e32 v10, 16, v10
	v_lshlrev_b32_e32 v9, 16, v9
	v_and_or_b32 v1, 0xffff, v1, v49
	v_and_or_b32 v2, 0xffff, v2, v10
	;; [unrolled: 1-line block ×3, first 2 shown]
	;;#ASMSTART
	v_pk_mul_f16 v1, v37, v1;

	;;#ASMEND
	;;#ASMSTART
	v_pk_mul_f16 v2, v35, v2;

	;;#ASMEND
	;; [unrolled: 4-line block ×4, first 2 shown]
	;;#ASMSTART
	v_pk_add_f16 v1, v1, v2;

	;;#ASMEND
	;;#ASMSTART
	v_pk_add_f16 v1, v1, v3;

	;;#ASMEND
	;; [unrolled: 4-line block ×3, first 2 shown]
	v_and_b32_e32 v2, 0xffff, v1
	v_lshrrev_b32_e32 v1, 16, v1
	;;#ASMSTART
	v_cvt_f32_f16 v49, v2;
	;;#ASMEND
	;;#ASMSTART
	v_cvt_f32_f16 v50, v1;
	;;#ASMEND
	global_load_dwordx4 v[1:4], v[7:8], off offset:1536
	s_waitcnt vmcnt(0)
	v_lshrrev_b32_e32 v51, 16, v1
	v_lshrrev_b32_e32 v10, 16, v2
	;; [unrolled: 1-line block ×3, first 2 shown]
	s_and_saveexec_b32 s13, s0
	s_cbranch_execz .LBB88_38
; %bb.37:                               ;   in Loop: Header=BB88_30 Depth=1
	v_cmp_gt_i32_e32 vcc_lo, s11, v36
	v_and_b32_e32 v52, 0xffff0000, v4
	v_cmp_gt_i32_e64 s1, s11, v34
	v_cndmask_b32_e32 v1, 0, v1, vcc_lo
	v_cmp_gt_i32_e32 vcc_lo, s11, v41
	v_cndmask_b32_e64 v2, 0, v2, s1
	v_cmp_gt_i32_e64 s1, s11, v33
	v_cndmask_b32_e32 v51, 0, v51, vcc_lo
	v_cmp_gt_i32_e32 vcc_lo, s11, v40
	v_cndmask_b32_e64 v10, 0, v10, s1
	v_cndmask_b32_sdwa v4, v25, v4, vcc_lo dst_sel:DWORD dst_unused:UNUSED_PAD src0_sel:DWORD src1_sel:WORD_0
	v_cmp_gt_i32_e32 vcc_lo, s11, v28
	v_cndmask_b32_e32 v52, 0, v52, vcc_lo
	v_cmp_gt_i32_e32 vcc_lo, s11, v32
	v_or_b32_e32 v4, v4, v52
	v_cndmask_b32_e32 v3, 0, v3, vcc_lo
	v_cmp_gt_i32_e32 vcc_lo, s11, v31
	v_cndmask_b32_e32 v9, 0, v9, vcc_lo
.LBB88_38:                              ;   in Loop: Header=BB88_30 Depth=1
	s_or_b32 exec_lo, exec_lo, s13
	v_lshlrev_b32_e32 v9, 16, v9
	v_lshlrev_b32_e32 v51, 16, v51
	v_lshlrev_b32_e32 v10, 16, v10
	v_and_or_b32 v3, 0xffff, v3, v9
	v_add_co_u32 v9, vcc_lo, 0x800, v7
	v_and_or_b32 v1, 0xffff, v1, v51
	v_and_or_b32 v2, 0xffff, v2, v10
	;;#ASMSTART
	v_pk_mul_f16 v1, v37, v1;

	;;#ASMEND
	v_add_co_ci_u32_e64 v10, null, 0, v8, vcc_lo
	;;#ASMSTART
	v_pk_mul_f16 v2, v35, v2;

	;;#ASMEND
	;;#ASMSTART
	v_pk_mul_f16 v3, v38, v3;

	;;#ASMEND
	;; [unrolled: 4-line block ×3, first 2 shown]
	;;#ASMSTART
	v_pk_add_f16 v1, v1, v2;

	;;#ASMEND
	;;#ASMSTART
	v_pk_add_f16 v1, v1, v3;

	;;#ASMEND
	;; [unrolled: 4-line block ×3, first 2 shown]
	v_lshrrev_b32_e32 v2, 16, v1
	v_and_b32_e32 v1, 0xffff, v1
	;;#ASMSTART
	v_cvt_f32_f16 v51, v1;
	;;#ASMEND
	;;#ASMSTART
	v_cvt_f32_f16 v52, v2;
	;;#ASMEND
	global_load_dwordx4 v[1:4], v[9:10], off
	s_waitcnt vmcnt(0)
	v_lshrrev_b32_e32 v55, 16, v1
	v_lshrrev_b32_e32 v54, 16, v2
	;; [unrolled: 1-line block ×3, first 2 shown]
	s_and_saveexec_b32 s13, s0
	s_cbranch_execz .LBB88_40
; %bb.39:                               ;   in Loop: Header=BB88_30 Depth=1
	v_cmp_gt_i32_e32 vcc_lo, s11, v36
	v_and_b32_e32 v56, 0xffff0000, v4
	v_cmp_gt_i32_e64 s1, s11, v34
	v_cndmask_b32_e32 v1, 0, v1, vcc_lo
	v_cmp_gt_i32_e32 vcc_lo, s11, v41
	v_cndmask_b32_e64 v2, 0, v2, s1
	v_cmp_gt_i32_e64 s1, s11, v33
	v_cndmask_b32_e32 v55, 0, v55, vcc_lo
	v_cmp_gt_i32_e32 vcc_lo, s11, v40
	v_cndmask_b32_e64 v54, 0, v54, s1
	v_cndmask_b32_sdwa v4, v25, v4, vcc_lo dst_sel:DWORD dst_unused:UNUSED_PAD src0_sel:DWORD src1_sel:WORD_0
	v_cmp_gt_i32_e32 vcc_lo, s11, v28
	v_cndmask_b32_e32 v56, 0, v56, vcc_lo
	v_cmp_gt_i32_e32 vcc_lo, s11, v32
	v_or_b32_e32 v4, v4, v56
	v_cndmask_b32_e32 v3, 0, v3, vcc_lo
	v_cmp_gt_i32_e32 vcc_lo, s11, v31
	v_cndmask_b32_e32 v53, 0, v53, vcc_lo
.LBB88_40:                              ;   in Loop: Header=BB88_30 Depth=1
	s_or_b32 exec_lo, exec_lo, s13
	v_lshlrev_b32_e32 v55, 16, v55
	v_lshlrev_b32_e32 v54, 16, v54
	;; [unrolled: 1-line block ×3, first 2 shown]
	v_and_or_b32 v1, 0xffff, v1, v55
	v_and_or_b32 v2, 0xffff, v2, v54
	;; [unrolled: 1-line block ×3, first 2 shown]
	;;#ASMSTART
	v_pk_mul_f16 v1, v37, v1;

	;;#ASMEND
	;;#ASMSTART
	v_pk_mul_f16 v2, v35, v2;

	;;#ASMEND
	;; [unrolled: 4-line block ×4, first 2 shown]
	;;#ASMSTART
	v_pk_add_f16 v1, v1, v2;

	;;#ASMEND
	;;#ASMSTART
	v_pk_add_f16 v1, v1, v3;

	;;#ASMEND
	;; [unrolled: 4-line block ×3, first 2 shown]
	v_and_b32_e32 v2, 0xffff, v1
	v_lshrrev_b32_e32 v1, 16, v1
	;;#ASMSTART
	v_cvt_f32_f16 v53, v2;
	;;#ASMEND
	;;#ASMSTART
	v_cvt_f32_f16 v54, v1;
	;;#ASMEND
	global_load_dwordx4 v[1:4], v[9:10], off offset:512
	s_waitcnt vmcnt(0)
	v_lshrrev_b32_e32 v57, 16, v1
	v_lshrrev_b32_e32 v56, 16, v2
	;; [unrolled: 1-line block ×3, first 2 shown]
	s_and_saveexec_b32 s13, s0
	s_cbranch_execz .LBB88_42
; %bb.41:                               ;   in Loop: Header=BB88_30 Depth=1
	v_cmp_gt_i32_e32 vcc_lo, s11, v36
	v_and_b32_e32 v58, 0xffff0000, v4
	v_cmp_gt_i32_e64 s1, s11, v34
	v_cndmask_b32_e32 v1, 0, v1, vcc_lo
	v_cmp_gt_i32_e32 vcc_lo, s11, v41
	v_cndmask_b32_e64 v2, 0, v2, s1
	v_cmp_gt_i32_e64 s1, s11, v33
	v_cndmask_b32_e32 v57, 0, v57, vcc_lo
	v_cmp_gt_i32_e32 vcc_lo, s11, v40
	v_cndmask_b32_e64 v56, 0, v56, s1
	v_cndmask_b32_sdwa v4, v25, v4, vcc_lo dst_sel:DWORD dst_unused:UNUSED_PAD src0_sel:DWORD src1_sel:WORD_0
	v_cmp_gt_i32_e32 vcc_lo, s11, v28
	v_cndmask_b32_e32 v58, 0, v58, vcc_lo
	v_cmp_gt_i32_e32 vcc_lo, s11, v32
	v_or_b32_e32 v4, v4, v58
	v_cndmask_b32_e32 v3, 0, v3, vcc_lo
	v_cmp_gt_i32_e32 vcc_lo, s11, v31
	v_cndmask_b32_e32 v55, 0, v55, vcc_lo
.LBB88_42:                              ;   in Loop: Header=BB88_30 Depth=1
	s_or_b32 exec_lo, exec_lo, s13
	v_lshlrev_b32_e32 v57, 16, v57
	v_lshlrev_b32_e32 v56, 16, v56
	;; [unrolled: 1-line block ×3, first 2 shown]
	v_and_or_b32 v1, 0xffff, v1, v57
	v_and_or_b32 v2, 0xffff, v2, v56
	;; [unrolled: 1-line block ×3, first 2 shown]
	;;#ASMSTART
	v_pk_mul_f16 v1, v37, v1;

	;;#ASMEND
	;;#ASMSTART
	v_pk_mul_f16 v2, v35, v2;

	;;#ASMEND
	;; [unrolled: 4-line block ×4, first 2 shown]
	;;#ASMSTART
	v_pk_add_f16 v1, v1, v2;

	;;#ASMEND
	;;#ASMSTART
	v_pk_add_f16 v1, v1, v3;

	;;#ASMEND
	;; [unrolled: 4-line block ×3, first 2 shown]
	v_and_b32_e32 v2, 0xffff, v1
	v_lshrrev_b32_e32 v1, 16, v1
	;;#ASMSTART
	v_cvt_f32_f16 v55, v2;
	;;#ASMEND
	;;#ASMSTART
	v_cvt_f32_f16 v56, v1;
	;;#ASMEND
	global_load_dwordx4 v[1:4], v[9:10], off offset:1024
	s_waitcnt vmcnt(0)
	v_lshrrev_b32_e32 v59, 16, v1
	v_lshrrev_b32_e32 v58, 16, v2
	v_lshrrev_b32_e32 v57, 16, v3
	s_and_saveexec_b32 s13, s0
	s_cbranch_execz .LBB88_44
; %bb.43:                               ;   in Loop: Header=BB88_30 Depth=1
	v_cmp_gt_i32_e32 vcc_lo, s11, v36
	v_and_b32_e32 v60, 0xffff0000, v4
	v_cmp_gt_i32_e64 s1, s11, v34
	v_cndmask_b32_e32 v1, 0, v1, vcc_lo
	v_cmp_gt_i32_e32 vcc_lo, s11, v41
	v_cndmask_b32_e64 v2, 0, v2, s1
	v_cmp_gt_i32_e64 s1, s11, v33
	v_cndmask_b32_e32 v59, 0, v59, vcc_lo
	v_cmp_gt_i32_e32 vcc_lo, s11, v40
	v_cndmask_b32_e64 v58, 0, v58, s1
	v_cndmask_b32_sdwa v4, v25, v4, vcc_lo dst_sel:DWORD dst_unused:UNUSED_PAD src0_sel:DWORD src1_sel:WORD_0
	v_cmp_gt_i32_e32 vcc_lo, s11, v28
	v_cndmask_b32_e32 v60, 0, v60, vcc_lo
	v_cmp_gt_i32_e32 vcc_lo, s11, v32
	v_or_b32_e32 v4, v4, v60
	v_cndmask_b32_e32 v3, 0, v3, vcc_lo
	v_cmp_gt_i32_e32 vcc_lo, s11, v31
	v_cndmask_b32_e32 v57, 0, v57, vcc_lo
.LBB88_44:                              ;   in Loop: Header=BB88_30 Depth=1
	s_or_b32 exec_lo, exec_lo, s13
	v_lshlrev_b32_e32 v59, 16, v59
	v_lshlrev_b32_e32 v58, 16, v58
	;; [unrolled: 1-line block ×3, first 2 shown]
	v_and_or_b32 v1, 0xffff, v1, v59
	v_and_or_b32 v2, 0xffff, v2, v58
	;; [unrolled: 1-line block ×3, first 2 shown]
	;;#ASMSTART
	v_pk_mul_f16 v1, v37, v1;

	;;#ASMEND
	;;#ASMSTART
	v_pk_mul_f16 v2, v35, v2;

	;;#ASMEND
	;;#ASMSTART
	v_pk_mul_f16 v3, v38, v3;

	;;#ASMEND
	;;#ASMSTART
	v_pk_mul_f16 v4, v39, v4;

	;;#ASMEND
	;;#ASMSTART
	v_pk_add_f16 v1, v1, v2;

	;;#ASMEND
	;;#ASMSTART
	v_pk_add_f16 v1, v1, v3;

	;;#ASMEND
	;;#ASMSTART
	v_pk_add_f16 v1, v1, v4;

	;;#ASMEND
	v_and_b32_e32 v2, 0xffff, v1
	v_lshrrev_b32_e32 v1, 16, v1
	;;#ASMSTART
	v_cvt_f32_f16 v57, v2;
	;;#ASMEND
	;;#ASMSTART
	v_cvt_f32_f16 v58, v1;
	;;#ASMEND
	global_load_dwordx4 v[1:4], v[9:10], off offset:1536
	s_waitcnt vmcnt(0)
	v_lshrrev_b32_e32 v59, 16, v1
	v_lshrrev_b32_e32 v10, 16, v2
	;; [unrolled: 1-line block ×3, first 2 shown]
	s_and_saveexec_b32 s13, s0
	s_cbranch_execz .LBB88_46
; %bb.45:                               ;   in Loop: Header=BB88_30 Depth=1
	v_cmp_gt_i32_e32 vcc_lo, s11, v36
	v_and_b32_e32 v60, 0xffff0000, v4
	v_cmp_gt_i32_e64 s1, s11, v34
	v_cndmask_b32_e32 v1, 0, v1, vcc_lo
	v_cmp_gt_i32_e32 vcc_lo, s11, v41
	v_cndmask_b32_e64 v2, 0, v2, s1
	v_cmp_gt_i32_e64 s1, s11, v33
	v_cndmask_b32_e32 v59, 0, v59, vcc_lo
	v_cmp_gt_i32_e32 vcc_lo, s11, v40
	v_cndmask_b32_e64 v10, 0, v10, s1
	v_cndmask_b32_sdwa v4, v25, v4, vcc_lo dst_sel:DWORD dst_unused:UNUSED_PAD src0_sel:DWORD src1_sel:WORD_0
	v_cmp_gt_i32_e32 vcc_lo, s11, v28
	v_cndmask_b32_e32 v60, 0, v60, vcc_lo
	v_cmp_gt_i32_e32 vcc_lo, s11, v32
	v_or_b32_e32 v4, v4, v60
	v_cndmask_b32_e32 v3, 0, v3, vcc_lo
	v_cmp_gt_i32_e32 vcc_lo, s11, v31
	v_cndmask_b32_e32 v9, 0, v9, vcc_lo
.LBB88_46:                              ;   in Loop: Header=BB88_30 Depth=1
	s_or_b32 exec_lo, exec_lo, s13
	v_lshlrev_b32_e32 v59, 16, v59
	v_lshlrev_b32_e32 v10, 16, v10
	;; [unrolled: 1-line block ×3, first 2 shown]
	v_add_co_u32 v7, vcc_lo, 0x1000, v7
	v_and_or_b32 v1, 0xffff, v1, v59
	v_and_or_b32 v2, 0xffff, v2, v10
	;; [unrolled: 1-line block ×3, first 2 shown]
	;;#ASMSTART
	v_pk_mul_f16 v1, v37, v1;

	;;#ASMEND
	v_add_co_ci_u32_e64 v8, null, 0, v8, vcc_lo
	;;#ASMSTART
	v_pk_mul_f16 v2, v35, v2;

	;;#ASMEND
	;;#ASMSTART
	v_pk_mul_f16 v3, v38, v3;

	;;#ASMEND
	;; [unrolled: 4-line block ×3, first 2 shown]
	;;#ASMSTART
	v_pk_add_f16 v1, v1, v2;

	;;#ASMEND
	;;#ASMSTART
	v_pk_add_f16 v1, v1, v3;

	;;#ASMEND
	;; [unrolled: 4-line block ×3, first 2 shown]
	v_lshrrev_b32_e32 v2, 16, v1
	v_and_b32_e32 v1, 0xffff, v1
	;;#ASMSTART
	v_cvt_f32_f16 v9, v1;
	;;#ASMEND
	;;#ASMSTART
	v_cvt_f32_f16 v10, v2;
	;;#ASMEND
	global_load_dwordx4 v[1:4], v[7:8], off
	s_waitcnt vmcnt(0)
	v_lshrrev_b32_e32 v61, 16, v1
	v_lshrrev_b32_e32 v60, 16, v2
	;; [unrolled: 1-line block ×3, first 2 shown]
	s_and_saveexec_b32 s13, s0
	s_cbranch_execz .LBB88_48
; %bb.47:                               ;   in Loop: Header=BB88_30 Depth=1
	v_cmp_gt_i32_e32 vcc_lo, s11, v36
	v_and_b32_e32 v62, 0xffff0000, v4
	v_cmp_gt_i32_e64 s1, s11, v34
	v_cndmask_b32_e32 v1, 0, v1, vcc_lo
	v_cmp_gt_i32_e32 vcc_lo, s11, v41
	v_cndmask_b32_e64 v2, 0, v2, s1
	v_cmp_gt_i32_e64 s1, s11, v33
	v_cndmask_b32_e32 v61, 0, v61, vcc_lo
	v_cmp_gt_i32_e32 vcc_lo, s11, v40
	v_cndmask_b32_e64 v60, 0, v60, s1
	v_cndmask_b32_sdwa v4, v25, v4, vcc_lo dst_sel:DWORD dst_unused:UNUSED_PAD src0_sel:DWORD src1_sel:WORD_0
	v_cmp_gt_i32_e32 vcc_lo, s11, v28
	v_cndmask_b32_e32 v62, 0, v62, vcc_lo
	v_cmp_gt_i32_e32 vcc_lo, s11, v32
	v_or_b32_e32 v4, v4, v62
	v_cndmask_b32_e32 v3, 0, v3, vcc_lo
	v_cmp_gt_i32_e32 vcc_lo, s11, v31
	v_cndmask_b32_e32 v59, 0, v59, vcc_lo
.LBB88_48:                              ;   in Loop: Header=BB88_30 Depth=1
	s_or_b32 exec_lo, exec_lo, s13
	v_lshlrev_b32_e32 v61, 16, v61
	v_lshlrev_b32_e32 v60, 16, v60
	;; [unrolled: 1-line block ×3, first 2 shown]
	v_and_or_b32 v1, 0xffff, v1, v61
	v_and_or_b32 v2, 0xffff, v2, v60
	v_and_or_b32 v3, 0xffff, v3, v59
	;;#ASMSTART
	v_pk_mul_f16 v1, v37, v1;

	;;#ASMEND
	;;#ASMSTART
	v_pk_mul_f16 v2, v35, v2;

	;;#ASMEND
	;; [unrolled: 4-line block ×4, first 2 shown]
	;;#ASMSTART
	v_pk_add_f16 v1, v1, v2;

	;;#ASMEND
	;;#ASMSTART
	v_pk_add_f16 v1, v1, v3;

	;;#ASMEND
	;; [unrolled: 4-line block ×3, first 2 shown]
	v_and_b32_e32 v2, 0xffff, v1
	v_lshrrev_b32_e32 v1, 16, v1
	;;#ASMSTART
	v_cvt_f32_f16 v59, v2;
	;;#ASMEND
	;;#ASMSTART
	v_cvt_f32_f16 v60, v1;
	;;#ASMEND
	global_load_dwordx4 v[1:4], v[7:8], off offset:512
	s_waitcnt vmcnt(0)
	v_lshrrev_b32_e32 v63, 16, v1
	v_lshrrev_b32_e32 v62, 16, v2
	;; [unrolled: 1-line block ×3, first 2 shown]
	s_and_saveexec_b32 s13, s0
	s_cbranch_execz .LBB88_50
; %bb.49:                               ;   in Loop: Header=BB88_30 Depth=1
	v_cmp_gt_i32_e32 vcc_lo, s11, v36
	v_and_b32_e32 v64, 0xffff0000, v4
	v_cmp_gt_i32_e64 s1, s11, v34
	v_cndmask_b32_e32 v1, 0, v1, vcc_lo
	v_cmp_gt_i32_e32 vcc_lo, s11, v41
	v_cndmask_b32_e64 v2, 0, v2, s1
	v_cmp_gt_i32_e64 s1, s11, v33
	v_cndmask_b32_e32 v63, 0, v63, vcc_lo
	v_cmp_gt_i32_e32 vcc_lo, s11, v40
	v_cndmask_b32_e64 v62, 0, v62, s1
	v_cndmask_b32_sdwa v4, v25, v4, vcc_lo dst_sel:DWORD dst_unused:UNUSED_PAD src0_sel:DWORD src1_sel:WORD_0
	v_cmp_gt_i32_e32 vcc_lo, s11, v28
	v_cndmask_b32_e32 v64, 0, v64, vcc_lo
	v_cmp_gt_i32_e32 vcc_lo, s11, v32
	v_or_b32_e32 v4, v4, v64
	v_cndmask_b32_e32 v3, 0, v3, vcc_lo
	v_cmp_gt_i32_e32 vcc_lo, s11, v31
	v_cndmask_b32_e32 v61, 0, v61, vcc_lo
.LBB88_50:                              ;   in Loop: Header=BB88_30 Depth=1
	s_or_b32 exec_lo, exec_lo, s13
	v_lshlrev_b32_e32 v63, 16, v63
	v_lshlrev_b32_e32 v62, 16, v62
	;; [unrolled: 1-line block ×3, first 2 shown]
	v_and_or_b32 v1, 0xffff, v1, v63
	v_and_or_b32 v2, 0xffff, v2, v62
	v_and_or_b32 v3, 0xffff, v3, v61
	;;#ASMSTART
	v_pk_mul_f16 v1, v37, v1;

	;;#ASMEND
	;;#ASMSTART
	v_pk_mul_f16 v2, v35, v2;

	;;#ASMEND
	;; [unrolled: 4-line block ×4, first 2 shown]
	;;#ASMSTART
	v_pk_add_f16 v1, v1, v2;

	;;#ASMEND
	;;#ASMSTART
	v_pk_add_f16 v1, v1, v3;

	;;#ASMEND
	;; [unrolled: 4-line block ×3, first 2 shown]
	v_and_b32_e32 v2, 0xffff, v1
	v_lshrrev_b32_e32 v1, 16, v1
	;;#ASMSTART
	v_cvt_f32_f16 v61, v2;
	;;#ASMEND
	;;#ASMSTART
	v_cvt_f32_f16 v62, v1;
	;;#ASMEND
	global_load_dwordx4 v[1:4], v[7:8], off offset:1024
	s_waitcnt vmcnt(0)
	v_lshrrev_b32_e32 v65, 16, v1
	v_lshrrev_b32_e32 v64, 16, v2
	;; [unrolled: 1-line block ×3, first 2 shown]
	s_and_saveexec_b32 s13, s0
	s_cbranch_execz .LBB88_52
; %bb.51:                               ;   in Loop: Header=BB88_30 Depth=1
	v_cmp_gt_i32_e32 vcc_lo, s11, v36
	v_and_b32_e32 v66, 0xffff0000, v4
	v_cmp_gt_i32_e64 s1, s11, v34
	v_cndmask_b32_e32 v1, 0, v1, vcc_lo
	v_cmp_gt_i32_e32 vcc_lo, s11, v41
	v_cndmask_b32_e64 v2, 0, v2, s1
	v_cmp_gt_i32_e64 s1, s11, v33
	v_cndmask_b32_e32 v65, 0, v65, vcc_lo
	v_cmp_gt_i32_e32 vcc_lo, s11, v40
	v_cndmask_b32_e64 v64, 0, v64, s1
	v_cndmask_b32_sdwa v4, v25, v4, vcc_lo dst_sel:DWORD dst_unused:UNUSED_PAD src0_sel:DWORD src1_sel:WORD_0
	v_cmp_gt_i32_e32 vcc_lo, s11, v28
	v_cndmask_b32_e32 v66, 0, v66, vcc_lo
	v_cmp_gt_i32_e32 vcc_lo, s11, v32
	v_or_b32_e32 v4, v4, v66
	v_cndmask_b32_e32 v3, 0, v3, vcc_lo
	v_cmp_gt_i32_e32 vcc_lo, s11, v31
	v_cndmask_b32_e32 v63, 0, v63, vcc_lo
.LBB88_52:                              ;   in Loop: Header=BB88_30 Depth=1
	s_or_b32 exec_lo, exec_lo, s13
	v_lshlrev_b32_e32 v65, 16, v65
	v_lshlrev_b32_e32 v64, 16, v64
	;; [unrolled: 1-line block ×3, first 2 shown]
	v_and_or_b32 v1, 0xffff, v1, v65
	v_and_or_b32 v2, 0xffff, v2, v64
	v_and_or_b32 v3, 0xffff, v3, v63
	;;#ASMSTART
	v_pk_mul_f16 v1, v37, v1;

	;;#ASMEND
	;;#ASMSTART
	v_pk_mul_f16 v2, v35, v2;

	;;#ASMEND
	;; [unrolled: 4-line block ×4, first 2 shown]
	;;#ASMSTART
	v_pk_add_f16 v1, v1, v2;

	;;#ASMEND
	;;#ASMSTART
	v_pk_add_f16 v1, v1, v3;

	;;#ASMEND
	;; [unrolled: 4-line block ×3, first 2 shown]
	v_and_b32_e32 v2, 0xffff, v1
	v_lshrrev_b32_e32 v1, 16, v1
	;;#ASMSTART
	v_cvt_f32_f16 v64, v2;
	;;#ASMEND
	;;#ASMSTART
	v_cvt_f32_f16 v65, v1;
	;;#ASMEND
	global_load_dwordx4 v[1:4], v[7:8], off offset:1536
	s_waitcnt vmcnt(0)
	v_lshrrev_b32_e32 v63, 16, v1
	v_lshrrev_b32_e32 v8, 16, v2
	;; [unrolled: 1-line block ×3, first 2 shown]
	s_and_saveexec_b32 s1, s0
	s_cbranch_execz .LBB88_29
; %bb.53:                               ;   in Loop: Header=BB88_30 Depth=1
	v_cmp_gt_i32_e32 vcc_lo, s11, v36
	v_cmp_gt_i32_e64 s0, s11, v34
	v_cndmask_b32_e32 v1, 0, v1, vcc_lo
	v_cmp_gt_i32_e32 vcc_lo, s11, v41
	v_cndmask_b32_e64 v2, 0, v2, s0
	v_cmp_gt_i32_e64 s0, s11, v33
	v_and_b32_e32 v33, 0xffff0000, v4
	v_cndmask_b32_e32 v63, 0, v63, vcc_lo
	v_cmp_gt_i32_e32 vcc_lo, s11, v40
	v_cndmask_b32_e64 v8, 0, v8, s0
	v_cndmask_b32_sdwa v4, v25, v4, vcc_lo dst_sel:DWORD dst_unused:UNUSED_PAD src0_sel:DWORD src1_sel:WORD_0
	v_cmp_gt_i32_e32 vcc_lo, s11, v28
	v_cndmask_b32_e32 v33, 0, v33, vcc_lo
	v_cmp_gt_i32_e32 vcc_lo, s11, v32
	v_or_b32_e32 v4, v4, v33
	v_cndmask_b32_e32 v3, 0, v3, vcc_lo
	v_cmp_gt_i32_e32 vcc_lo, s11, v31
	v_cndmask_b32_e32 v7, 0, v7, vcc_lo
	s_branch .LBB88_29
.LBB88_54:
	s_or_b32 exec_lo, exec_lo, s4
.LBB88_55:
	s_or_b32 exec_lo, exec_lo, s2
	ds_bpermute_b32 v1, v12, v23
	ds_bpermute_b32 v2, v12, v24
	;; [unrolled: 1-line block ×12, first 2 shown]
	v_lshrrev_b32_e32 v11, 1, v11
	s_mov_b32 s0, exec_lo
	s_waitcnt lgkmcnt(0)
	s_barrier
	buffer_gl0_inv
	v_add_f32_e32 v23, v23, v1
	v_add_f32_e32 v12, v24, v2
	v_add_f32_e32 v10, v22, v3
	v_add_f32_e32 v9, v21, v4
	v_add_f32_e32 v8, v20, v5
	v_add_f32_e32 v7, v19, v6
	v_add_f32_e32 v5, v18, v25
	v_add_f32_e32 v2, v17, v26
	v_add_f32_e32 v1, v16, v27
	v_add_f32_e32 v4, v15, v28
	v_and_b32_e32 v15, 0x3c1, v0
	v_add_f32_e32 v6, v14, v29
	v_add_f32_e32 v3, v13, v30
	v_lshl_add_u32 v13, v11, 2, 0x1a0
	v_mul_u32_u24_e32 v14, 0x300, v47
	v_cmpx_eq_u32_e32 64, v15
	s_cbranch_execz .LBB88_57
; %bb.56:
	v_add_nc_u32_e32 v15, v13, v14
	v_add_nc_u32_e32 v16, 0xfffffa00, v15
	;; [unrolled: 1-line block ×8, first 2 shown]
	ds_write_b32 v16, v23
	ds_write_b32 v17, v12
	ds_write_b32 v18, v10
	ds_write_b32 v19, v9
	ds_write_b32 v20, v8
	ds_write_b32 v21, v7
	ds_write_b32 v22, v5
	v_add_nc_u32_e32 v16, 0xfffffbc0, v15
	v_add_nc_u32_e32 v17, 0xfffffc00, v15
	v_add_nc_u32_e32 v18, 0xfffffc40, v15
	v_add_nc_u32_e32 v19, 0xfffffc80, v15
	v_add_nc_u32_e32 v15, 0xfffffcc0, v15
	ds_write_b32 v16, v2
	ds_write_b32 v17, v1
	;; [unrolled: 1-line block ×5, first 2 shown]
.LBB88_57:
	s_or_b32 exec_lo, exec_lo, s0
	v_lshlrev_b32_e32 v11, 2, v11
	s_mov_b32 s1, exec_lo
	v_cmp_eq_u32_e32 vcc_lo, 0, v46
	s_waitcnt lgkmcnt(0)
	s_barrier
	v_add3_u32 v11, 0x1a0, v14, v11
	buffer_gl0_inv
	v_cmpx_gt_u32_e32 64, v0
	s_cbranch_execz .LBB88_72
; %bb.58:
	s_and_saveexec_b32 s0, vcc_lo
	s_cbranch_execnz .LBB88_92
; %bb.59:
	s_or_b32 exec_lo, exec_lo, s0
	s_and_saveexec_b32 s0, vcc_lo
	s_cbranch_execnz .LBB88_93
.LBB88_60:
	s_or_b32 exec_lo, exec_lo, s0
	s_and_saveexec_b32 s0, vcc_lo
	s_cbranch_execnz .LBB88_94
.LBB88_61:
	s_or_b32 exec_lo, exec_lo, s0
	s_and_saveexec_b32 s0, vcc_lo
	s_cbranch_execnz .LBB88_95
.LBB88_62:
	s_or_b32 exec_lo, exec_lo, s0
	s_and_saveexec_b32 s0, vcc_lo
	s_cbranch_execnz .LBB88_96
.LBB88_63:
	s_or_b32 exec_lo, exec_lo, s0
	s_and_saveexec_b32 s0, vcc_lo
	s_cbranch_execnz .LBB88_97
.LBB88_64:
	s_or_b32 exec_lo, exec_lo, s0
	s_and_saveexec_b32 s0, vcc_lo
	s_cbranch_execnz .LBB88_98
.LBB88_65:
	s_or_b32 exec_lo, exec_lo, s0
	s_and_saveexec_b32 s0, vcc_lo
	s_cbranch_execnz .LBB88_99
.LBB88_66:
	s_or_b32 exec_lo, exec_lo, s0
	s_and_saveexec_b32 s0, vcc_lo
	s_cbranch_execnz .LBB88_100
.LBB88_67:
	s_or_b32 exec_lo, exec_lo, s0
	s_and_saveexec_b32 s0, vcc_lo
	s_cbranch_execnz .LBB88_101
.LBB88_68:
	s_or_b32 exec_lo, exec_lo, s0
	s_and_saveexec_b32 s0, vcc_lo
	s_cbranch_execnz .LBB88_102
.LBB88_69:
	s_or_b32 exec_lo, exec_lo, s0
	s_and_saveexec_b32 s0, vcc_lo
	s_cbranch_execz .LBB88_71
.LBB88_70:
	ds_read_b32 v14, v11 offset:704
	s_waitcnt lgkmcnt(0)
	v_add_f32_e32 v3, v3, v14
.LBB88_71:
	s_or_b32 exec_lo, exec_lo, s0
.LBB88_72:
	s_or_b32 exec_lo, exec_lo, s1
	v_and_b32_e32 v14, 0x3e1, v0
	s_mov_b32 s1, exec_lo
	s_barrier
	buffer_gl0_inv
	v_cmpx_eq_u32_e32 32, v14
	s_cbranch_execz .LBB88_74
; %bb.73:
	ds_write2_b32 v13, v23, v12 offset1:16
	ds_write2_b32 v13, v10, v9 offset0:32 offset1:48
	ds_write2_b32 v13, v8, v7 offset0:64 offset1:80
	;; [unrolled: 1-line block ×5, first 2 shown]
.LBB88_74:
	s_or_b32 exec_lo, exec_lo, s1
	s_mov_b32 s1, exec_lo
	s_waitcnt lgkmcnt(0)
	s_barrier
	buffer_gl0_inv
	v_cmpx_gt_u32_e32 32, v0
	s_cbranch_execz .LBB88_89
; %bb.75:
	s_and_saveexec_b32 s0, vcc_lo
	s_cbranch_execnz .LBB88_103
; %bb.76:
	s_or_b32 exec_lo, exec_lo, s0
	s_and_saveexec_b32 s0, vcc_lo
	s_cbranch_execnz .LBB88_104
.LBB88_77:
	s_or_b32 exec_lo, exec_lo, s0
	s_and_saveexec_b32 s0, vcc_lo
	s_cbranch_execnz .LBB88_105
.LBB88_78:
	s_or_b32 exec_lo, exec_lo, s0
	s_and_saveexec_b32 s0, vcc_lo
	s_cbranch_execnz .LBB88_106
.LBB88_79:
	s_or_b32 exec_lo, exec_lo, s0
	s_and_saveexec_b32 s0, vcc_lo
	s_cbranch_execnz .LBB88_107
.LBB88_80:
	s_or_b32 exec_lo, exec_lo, s0
	s_and_saveexec_b32 s0, vcc_lo
	s_cbranch_execnz .LBB88_108
.LBB88_81:
	s_or_b32 exec_lo, exec_lo, s0
	s_and_saveexec_b32 s0, vcc_lo
	s_cbranch_execnz .LBB88_109
.LBB88_82:
	s_or_b32 exec_lo, exec_lo, s0
	s_and_saveexec_b32 s0, vcc_lo
	s_cbranch_execnz .LBB88_110
.LBB88_83:
	s_or_b32 exec_lo, exec_lo, s0
	s_and_saveexec_b32 s0, vcc_lo
	s_cbranch_execnz .LBB88_111
.LBB88_84:
	s_or_b32 exec_lo, exec_lo, s0
	s_and_saveexec_b32 s0, vcc_lo
	s_cbranch_execnz .LBB88_112
.LBB88_85:
	s_or_b32 exec_lo, exec_lo, s0
	s_and_saveexec_b32 s0, vcc_lo
	s_cbranch_execnz .LBB88_113
.LBB88_86:
	s_or_b32 exec_lo, exec_lo, s0
	s_and_saveexec_b32 s0, vcc_lo
	s_cbranch_execz .LBB88_88
.LBB88_87:
	ds_read_b32 v0, v11 offset:704
	s_waitcnt lgkmcnt(0)
	v_add_f32_e32 v3, v3, v0
.LBB88_88:
	s_or_b32 exec_lo, exec_lo, s0
.LBB88_89:
	s_or_b32 exec_lo, exec_lo, s1
	s_barrier
	buffer_gl0_inv
	s_mov_b32 s0, exec_lo
	v_cmpx_eq_u32_e32 0, v14
	s_cbranch_execz .LBB88_91
; %bb.90:
	s_mul_i32 s0, s10, s7
	s_mul_i32 s2, s7, s6
	;; [unrolled: 1-line block ×3, first 2 shown]
	v_lshlrev_b32_e32 v0, 1, v45
	s_mulk_i32 s0, 0xc0
	;;#ASMSTART
	v_cvt_f16_f32 v11, v23;

	;;#ASMEND
	s_ashr_i32 s1, s0, 31
	s_lshl_b64 s[0:1], s[0:1], 1
	s_add_u32 s4, s16, s0
	s_addc_u32 s5, s17, s1
	s_ashr_i32 s3, s2, 31
	s_lshl_b64 s[0:1], s[2:3], 1
	s_mul_i32 s2, s8, 0xc0
	s_add_u32 s4, s4, s0
	s_addc_u32 s5, s5, s1
	s_ashr_i32 s3, s2, 31
	s_lshl_b64 s[0:1], s[2:3], 1
	s_add_u32 s0, s4, s0
	s_addc_u32 s1, s5, s1
	global_store_short v0, v11, s[0:1]
	;;#ASMSTART
	v_cvt_f16_f32 v11, v12;

	;;#ASMEND
	global_store_short v0, v11, s[0:1] offset:32
	;;#ASMSTART
	v_cvt_f16_f32 v10, v10;

	;;#ASMEND
	global_store_short v0, v10, s[0:1] offset:64
	;; [unrolled: 5-line block ×11, first 2 shown]
.LBB88_91:
	s_endpgm
.LBB88_92:
	ds_read_b32 v14, v11
	s_waitcnt lgkmcnt(0)
	v_add_f32_e32 v23, v23, v14
	s_or_b32 exec_lo, exec_lo, s0
	s_and_saveexec_b32 s0, vcc_lo
	s_cbranch_execz .LBB88_60
.LBB88_93:
	ds_read_b32 v14, v11 offset:64
	s_waitcnt lgkmcnt(0)
	v_add_f32_e32 v12, v12, v14
	s_or_b32 exec_lo, exec_lo, s0
	s_and_saveexec_b32 s0, vcc_lo
	s_cbranch_execz .LBB88_61
.LBB88_94:
	ds_read_b32 v14, v11 offset:128
	s_waitcnt lgkmcnt(0)
	v_add_f32_e32 v10, v10, v14
	s_or_b32 exec_lo, exec_lo, s0
	s_and_saveexec_b32 s0, vcc_lo
	s_cbranch_execz .LBB88_62
.LBB88_95:
	ds_read_b32 v14, v11 offset:192
	s_waitcnt lgkmcnt(0)
	v_add_f32_e32 v9, v9, v14
	s_or_b32 exec_lo, exec_lo, s0
	s_and_saveexec_b32 s0, vcc_lo
	s_cbranch_execz .LBB88_63
.LBB88_96:
	ds_read_b32 v14, v11 offset:256
	s_waitcnt lgkmcnt(0)
	v_add_f32_e32 v8, v8, v14
	s_or_b32 exec_lo, exec_lo, s0
	s_and_saveexec_b32 s0, vcc_lo
	s_cbranch_execz .LBB88_64
.LBB88_97:
	ds_read_b32 v14, v11 offset:320
	s_waitcnt lgkmcnt(0)
	v_add_f32_e32 v7, v7, v14
	s_or_b32 exec_lo, exec_lo, s0
	s_and_saveexec_b32 s0, vcc_lo
	s_cbranch_execz .LBB88_65
.LBB88_98:
	ds_read_b32 v14, v11 offset:384
	s_waitcnt lgkmcnt(0)
	v_add_f32_e32 v5, v5, v14
	s_or_b32 exec_lo, exec_lo, s0
	s_and_saveexec_b32 s0, vcc_lo
	s_cbranch_execz .LBB88_66
.LBB88_99:
	ds_read_b32 v14, v11 offset:448
	s_waitcnt lgkmcnt(0)
	v_add_f32_e32 v2, v2, v14
	s_or_b32 exec_lo, exec_lo, s0
	s_and_saveexec_b32 s0, vcc_lo
	s_cbranch_execz .LBB88_67
.LBB88_100:
	ds_read_b32 v14, v11 offset:512
	s_waitcnt lgkmcnt(0)
	v_add_f32_e32 v1, v1, v14
	s_or_b32 exec_lo, exec_lo, s0
	s_and_saveexec_b32 s0, vcc_lo
	s_cbranch_execz .LBB88_68
.LBB88_101:
	ds_read_b32 v14, v11 offset:576
	s_waitcnt lgkmcnt(0)
	v_add_f32_e32 v4, v4, v14
	s_or_b32 exec_lo, exec_lo, s0
	s_and_saveexec_b32 s0, vcc_lo
	s_cbranch_execz .LBB88_69
.LBB88_102:
	ds_read_b32 v14, v11 offset:640
	s_waitcnt lgkmcnt(0)
	v_add_f32_e32 v6, v6, v14
	s_or_b32 exec_lo, exec_lo, s0
	s_and_saveexec_b32 s0, vcc_lo
	s_cbranch_execnz .LBB88_70
	s_branch .LBB88_71
.LBB88_103:
	ds_read_b32 v0, v11
	s_waitcnt lgkmcnt(0)
	v_add_f32_e32 v23, v23, v0
	s_or_b32 exec_lo, exec_lo, s0
	s_and_saveexec_b32 s0, vcc_lo
	s_cbranch_execz .LBB88_77
.LBB88_104:
	ds_read_b32 v0, v11 offset:64
	s_waitcnt lgkmcnt(0)
	v_add_f32_e32 v12, v12, v0
	s_or_b32 exec_lo, exec_lo, s0
	s_and_saveexec_b32 s0, vcc_lo
	s_cbranch_execz .LBB88_78
.LBB88_105:
	ds_read_b32 v0, v11 offset:128
	s_waitcnt lgkmcnt(0)
	v_add_f32_e32 v10, v10, v0
	s_or_b32 exec_lo, exec_lo, s0
	s_and_saveexec_b32 s0, vcc_lo
	s_cbranch_execz .LBB88_79
.LBB88_106:
	ds_read_b32 v0, v11 offset:192
	s_waitcnt lgkmcnt(0)
	v_add_f32_e32 v9, v9, v0
	s_or_b32 exec_lo, exec_lo, s0
	s_and_saveexec_b32 s0, vcc_lo
	s_cbranch_execz .LBB88_80
.LBB88_107:
	ds_read_b32 v0, v11 offset:256
	s_waitcnt lgkmcnt(0)
	v_add_f32_e32 v8, v8, v0
	s_or_b32 exec_lo, exec_lo, s0
	s_and_saveexec_b32 s0, vcc_lo
	s_cbranch_execz .LBB88_81
.LBB88_108:
	ds_read_b32 v0, v11 offset:320
	s_waitcnt lgkmcnt(0)
	v_add_f32_e32 v7, v7, v0
	s_or_b32 exec_lo, exec_lo, s0
	s_and_saveexec_b32 s0, vcc_lo
	s_cbranch_execz .LBB88_82
.LBB88_109:
	ds_read_b32 v0, v11 offset:384
	s_waitcnt lgkmcnt(0)
	v_add_f32_e32 v5, v5, v0
	s_or_b32 exec_lo, exec_lo, s0
	s_and_saveexec_b32 s0, vcc_lo
	s_cbranch_execz .LBB88_83
.LBB88_110:
	ds_read_b32 v0, v11 offset:448
	s_waitcnt lgkmcnt(0)
	v_add_f32_e32 v2, v2, v0
	s_or_b32 exec_lo, exec_lo, s0
	s_and_saveexec_b32 s0, vcc_lo
	s_cbranch_execz .LBB88_84
.LBB88_111:
	ds_read_b32 v0, v11 offset:512
	s_waitcnt lgkmcnt(0)
	v_add_f32_e32 v1, v1, v0
	s_or_b32 exec_lo, exec_lo, s0
	s_and_saveexec_b32 s0, vcc_lo
	s_cbranch_execz .LBB88_85
.LBB88_112:
	ds_read_b32 v0, v11 offset:576
	s_waitcnt lgkmcnt(0)
	v_add_f32_e32 v4, v4, v0
	s_or_b32 exec_lo, exec_lo, s0
	s_and_saveexec_b32 s0, vcc_lo
	s_cbranch_execz .LBB88_86
.LBB88_113:
	ds_read_b32 v0, v11 offset:640
	s_waitcnt lgkmcnt(0)
	v_add_f32_e32 v6, v6, v0
	s_or_b32 exec_lo, exec_lo, s0
	s_and_saveexec_b32 s0, vcc_lo
	s_cbranch_execnz .LBB88_87
	s_branch .LBB88_88
	.section	.rodata,"a",@progbits
	.p2align	6, 0x0
	.amdhsa_kernel _ZN4vllm25paged_attention_v1_kernelIttLi192ELi16ELi128ELNS_18Fp8KVCacheDataTypeE0ELb0EEEvPT_PKS2_PKT0_S8_ifPKiSA_iPKfiiiSC_SC_iiiii
		.amdhsa_group_segment_fixed_size 416
		.amdhsa_private_segment_fixed_size 0
		.amdhsa_kernarg_size 384
		.amdhsa_user_sgpr_count 6
		.amdhsa_user_sgpr_private_segment_buffer 1
		.amdhsa_user_sgpr_dispatch_ptr 0
		.amdhsa_user_sgpr_queue_ptr 0
		.amdhsa_user_sgpr_kernarg_segment_ptr 1
		.amdhsa_user_sgpr_dispatch_id 0
		.amdhsa_user_sgpr_flat_scratch_init 0
		.amdhsa_user_sgpr_private_segment_size 0
		.amdhsa_wavefront_size32 1
		.amdhsa_uses_dynamic_stack 0
		.amdhsa_system_sgpr_private_segment_wavefront_offset 0
		.amdhsa_system_sgpr_workgroup_id_x 1
		.amdhsa_system_sgpr_workgroup_id_y 1
		.amdhsa_system_sgpr_workgroup_id_z 1
		.amdhsa_system_sgpr_workgroup_info 0
		.amdhsa_system_vgpr_workitem_id 0
		.amdhsa_next_free_vgpr 96
		.amdhsa_next_free_sgpr 27
		.amdhsa_reserve_vcc 1
		.amdhsa_reserve_flat_scratch 0
		.amdhsa_float_round_mode_32 0
		.amdhsa_float_round_mode_16_64 0
		.amdhsa_float_denorm_mode_32 3
		.amdhsa_float_denorm_mode_16_64 3
		.amdhsa_dx10_clamp 1
		.amdhsa_ieee_mode 1
		.amdhsa_fp16_overflow 0
		.amdhsa_workgroup_processor_mode 1
		.amdhsa_memory_ordered 1
		.amdhsa_forward_progress 1
		.amdhsa_shared_vgpr_count 0
		.amdhsa_exception_fp_ieee_invalid_op 0
		.amdhsa_exception_fp_denorm_src 0
		.amdhsa_exception_fp_ieee_div_zero 0
		.amdhsa_exception_fp_ieee_overflow 0
		.amdhsa_exception_fp_ieee_underflow 0
		.amdhsa_exception_fp_ieee_inexact 0
		.amdhsa_exception_int_div_zero 0
	.end_amdhsa_kernel
	.section	.text._ZN4vllm25paged_attention_v1_kernelIttLi192ELi16ELi128ELNS_18Fp8KVCacheDataTypeE0ELb0EEEvPT_PKS2_PKT0_S8_ifPKiSA_iPKfiiiSC_SC_iiiii,"axG",@progbits,_ZN4vllm25paged_attention_v1_kernelIttLi192ELi16ELi128ELNS_18Fp8KVCacheDataTypeE0ELb0EEEvPT_PKS2_PKT0_S8_ifPKiSA_iPKfiiiSC_SC_iiiii,comdat
.Lfunc_end88:
	.size	_ZN4vllm25paged_attention_v1_kernelIttLi192ELi16ELi128ELNS_18Fp8KVCacheDataTypeE0ELb0EEEvPT_PKS2_PKT0_S8_ifPKiSA_iPKfiiiSC_SC_iiiii, .Lfunc_end88-_ZN4vllm25paged_attention_v1_kernelIttLi192ELi16ELi128ELNS_18Fp8KVCacheDataTypeE0ELb0EEEvPT_PKS2_PKT0_S8_ifPKiSA_iPKfiiiSC_SC_iiiii
                                        ; -- End function
	.set _ZN4vllm25paged_attention_v1_kernelIttLi192ELi16ELi128ELNS_18Fp8KVCacheDataTypeE0ELb0EEEvPT_PKS2_PKT0_S8_ifPKiSA_iPKfiiiSC_SC_iiiii.num_vgpr, 96
	.set _ZN4vllm25paged_attention_v1_kernelIttLi192ELi16ELi128ELNS_18Fp8KVCacheDataTypeE0ELb0EEEvPT_PKS2_PKT0_S8_ifPKiSA_iPKfiiiSC_SC_iiiii.num_agpr, 0
	.set _ZN4vllm25paged_attention_v1_kernelIttLi192ELi16ELi128ELNS_18Fp8KVCacheDataTypeE0ELb0EEEvPT_PKS2_PKT0_S8_ifPKiSA_iPKfiiiSC_SC_iiiii.numbered_sgpr, 27
	.set _ZN4vllm25paged_attention_v1_kernelIttLi192ELi16ELi128ELNS_18Fp8KVCacheDataTypeE0ELb0EEEvPT_PKS2_PKT0_S8_ifPKiSA_iPKfiiiSC_SC_iiiii.num_named_barrier, 0
	.set _ZN4vllm25paged_attention_v1_kernelIttLi192ELi16ELi128ELNS_18Fp8KVCacheDataTypeE0ELb0EEEvPT_PKS2_PKT0_S8_ifPKiSA_iPKfiiiSC_SC_iiiii.private_seg_size, 0
	.set _ZN4vllm25paged_attention_v1_kernelIttLi192ELi16ELi128ELNS_18Fp8KVCacheDataTypeE0ELb0EEEvPT_PKS2_PKT0_S8_ifPKiSA_iPKfiiiSC_SC_iiiii.uses_vcc, 1
	.set _ZN4vllm25paged_attention_v1_kernelIttLi192ELi16ELi128ELNS_18Fp8KVCacheDataTypeE0ELb0EEEvPT_PKS2_PKT0_S8_ifPKiSA_iPKfiiiSC_SC_iiiii.uses_flat_scratch, 0
	.set _ZN4vllm25paged_attention_v1_kernelIttLi192ELi16ELi128ELNS_18Fp8KVCacheDataTypeE0ELb0EEEvPT_PKS2_PKT0_S8_ifPKiSA_iPKfiiiSC_SC_iiiii.has_dyn_sized_stack, 0
	.set _ZN4vllm25paged_attention_v1_kernelIttLi192ELi16ELi128ELNS_18Fp8KVCacheDataTypeE0ELb0EEEvPT_PKS2_PKT0_S8_ifPKiSA_iPKfiiiSC_SC_iiiii.has_recursion, 0
	.set _ZN4vllm25paged_attention_v1_kernelIttLi192ELi16ELi128ELNS_18Fp8KVCacheDataTypeE0ELb0EEEvPT_PKS2_PKT0_S8_ifPKiSA_iPKfiiiSC_SC_iiiii.has_indirect_call, 0
	.section	.AMDGPU.csdata,"",@progbits
; Kernel info:
; codeLenInByte = 15056
; TotalNumSgprs: 29
; NumVgprs: 96
; ScratchSize: 0
; MemoryBound: 0
; FloatMode: 240
; IeeeMode: 1
; LDSByteSize: 416 bytes/workgroup (compile time only)
; SGPRBlocks: 0
; VGPRBlocks: 11
; NumSGPRsForWavesPerEU: 29
; NumVGPRsForWavesPerEU: 96
; Occupancy: 10
; WaveLimiterHint : 1
; COMPUTE_PGM_RSRC2:SCRATCH_EN: 0
; COMPUTE_PGM_RSRC2:USER_SGPR: 6
; COMPUTE_PGM_RSRC2:TRAP_HANDLER: 0
; COMPUTE_PGM_RSRC2:TGID_X_EN: 1
; COMPUTE_PGM_RSRC2:TGID_Y_EN: 1
; COMPUTE_PGM_RSRC2:TGID_Z_EN: 1
; COMPUTE_PGM_RSRC2:TIDIG_COMP_CNT: 0
	.section	.text._ZN4vllm25paged_attention_v1_kernelIttLi256ELi16ELi128ELNS_18Fp8KVCacheDataTypeE0ELb0EEEvPT_PKS2_PKT0_S8_ifPKiSA_iPKfiiiSC_SC_iiiii,"axG",@progbits,_ZN4vllm25paged_attention_v1_kernelIttLi256ELi16ELi128ELNS_18Fp8KVCacheDataTypeE0ELb0EEEvPT_PKS2_PKT0_S8_ifPKiSA_iPKfiiiSC_SC_iiiii,comdat
	.protected	_ZN4vllm25paged_attention_v1_kernelIttLi256ELi16ELi128ELNS_18Fp8KVCacheDataTypeE0ELb0EEEvPT_PKS2_PKT0_S8_ifPKiSA_iPKfiiiSC_SC_iiiii ; -- Begin function _ZN4vllm25paged_attention_v1_kernelIttLi256ELi16ELi128ELNS_18Fp8KVCacheDataTypeE0ELb0EEEvPT_PKS2_PKT0_S8_ifPKiSA_iPKfiiiSC_SC_iiiii
	.globl	_ZN4vllm25paged_attention_v1_kernelIttLi256ELi16ELi128ELNS_18Fp8KVCacheDataTypeE0ELb0EEEvPT_PKS2_PKT0_S8_ifPKiSA_iPKfiiiSC_SC_iiiii
	.p2align	8
	.type	_ZN4vllm25paged_attention_v1_kernelIttLi256ELi16ELi128ELNS_18Fp8KVCacheDataTypeE0ELb0EEEvPT_PKS2_PKT0_S8_ifPKiSA_iPKfiiiSC_SC_iiiii,@function
_ZN4vllm25paged_attention_v1_kernelIttLi256ELi16ELi128ELNS_18Fp8KVCacheDataTypeE0ELb0EEEvPT_PKS2_PKT0_S8_ifPKiSA_iPKfiiiSC_SC_iiiii: ; @_ZN4vllm25paged_attention_v1_kernelIttLi256ELi16ELi128ELNS_18Fp8KVCacheDataTypeE0ELb0EEEvPT_PKS2_PKT0_S8_ifPKiSA_iPKfiiiSC_SC_iiiii
; %bb.0:
	s_clause 0x2
	s_load_dword s9, s[4:5], 0x80
	s_load_dwordx2 s[0:1], s[4:5], 0x30
	s_load_dwordx2 s[24:25], s[4:5], 0x20
	s_mov_b32 s10, s7
	s_ashr_i32 s11, s7, 31
	s_lshl_b64 s[2:3], s[10:11], 2
	s_waitcnt lgkmcnt(0)
	s_add_u32 s0, s0, s2
	s_addc_u32 s1, s1, s3
	s_abs_i32 s2, s24
	s_abs_i32 s11, s9
	v_cvt_f32_u32_e32 v1, s2
	s_sub_i32 s7, 0, s2
	v_rcp_iflag_f32_e32 v1, v1
	v_mul_f32_e32 v1, 0x4f7ffffe, v1
	v_cvt_u32_f32_e32 v1, v1
	v_readfirstlane_b32 s3, v1
	s_mul_i32 s7, s7, s3
	s_mul_hi_u32 s7, s3, s7
	s_add_i32 s3, s3, s7
	s_xor_b32 s7, s9, s24
	s_mul_hi_u32 s3, s11, s3
	s_ashr_i32 s7, s7, 31
	s_mul_i32 s12, s3, s2
	s_mov_b32 s24, 0
	s_sub_i32 s11, s11, s12
	s_add_i32 s12, s3, 1
	s_sub_i32 s13, s11, s2
	s_cmp_ge_u32 s11, s2
	s_cselect_b32 s3, s12, s3
	s_cselect_b32 s11, s13, s11
	s_add_i32 s12, s3, 1
	s_cmp_ge_u32 s11, s2
	s_cselect_b32 s2, s12, s3
	s_abs_i32 s17, s6
	s_xor_b32 s2, s2, s7
	s_sub_i32 s18, s2, s7
	s_load_dwordx2 s[2:3], s[4:5], 0x40
	s_abs_i32 s16, s18
	v_cvt_f32_u32_e32 v1, s16
	s_sub_i32 s11, 0, s16
	v_rcp_iflag_f32_e32 v1, v1
	v_mul_f32_e32 v1, 0x4f7ffffe, v1
	v_cvt_u32_f32_e32 v1, v1
	v_readfirstlane_b32 s7, v1
	s_mul_i32 s11, s11, s7
	s_mul_hi_u32 s11, s7, s11
	s_add_i32 s7, s7, s11
	s_waitcnt lgkmcnt(0)
	s_cmp_eq_u64 s[2:3], 0
	s_mul_hi_u32 s20, s17, s7
	s_cbranch_scc1 .LBB89_2
; %bb.1:
	s_ashr_i32 s7, s6, 31
	s_lshl_b64 s[12:13], s[6:7], 2
	s_add_u32 s2, s2, s12
	s_addc_u32 s3, s3, s13
	s_load_dword s24, s[2:3], 0x0
.LBB89_2:
	s_load_dword s11, s[0:1], 0x0
	s_load_dwordx4 s[12:15], s[4:5], 0x48
	v_lshrrev_b32_e32 v61, 1, v0
	v_and_b32_e32 v62, 1, v0
	v_cmp_gt_u32_e64 s0, 64, v0
	v_lshlrev_b32_e32 v64, 3, v0
	s_ashr_i32 s1, s6, 31
	s_ashr_i32 s2, s18, 31
	s_lshl_b32 s6, s6, 8
	s_and_saveexec_b32 s3, s0
	s_cbranch_execz .LBB89_4
; %bb.3:
	s_load_dwordx2 s[18:19], s[4:5], 0x8
	s_waitcnt lgkmcnt(0)
	s_mul_i32 s22, s12, s10
	v_lshlrev_b32_e32 v3, 3, v61
	s_ashr_i32 s23, s22, 31
	s_lshl_b64 s[22:23], s[22:23], 1
	v_lshl_add_u32 v3, v62, 8, v3
	s_add_u32 s12, s18, s22
	s_addc_u32 s15, s19, s23
	s_ashr_i32 s7, s6, 31
	s_lshl_b64 s[18:19], s[6:7], 1
	s_add_u32 s18, s12, s18
	s_addc_u32 s19, s15, s19
	global_load_dwordx2 v[1:2], v64, s[18:19]
	s_waitcnt vmcnt(0)
	ds_write_b64 v3, v[1:2]
.LBB89_4:
	s_or_b32 exec_lo, exec_lo, s3
	s_waitcnt lgkmcnt(0)
	s_add_i32 s3, s11, 15
	s_clause 0x1
	s_load_dwordx2 s[18:19], s[4:5], 0x28
	s_load_dword s15, s[4:5], 0x38
	s_ashr_i32 s7, s3, 31
	s_xor_b32 s1, s1, s2
	s_lshr_b32 s7, s7, 28
	s_mul_i32 s2, s20, s16
	s_add_i32 s3, s3, s7
	s_sub_i32 s2, s17, s2
	s_ashr_i32 s12, s3, 4
	s_add_i32 s3, s20, 1
	s_sub_i32 s7, s2, s16
	s_cmp_ge_u32 s2, s16
	v_lshrrev_b32_e32 v63, 5, v0
	s_cselect_b32 s3, s3, s20
	s_cselect_b32 s2, s7, s2
	s_add_i32 s7, s3, 1
	s_cmp_ge_u32 s2, s16
	v_mbcnt_lo_u32_b32 v66, -1, 0
	s_cselect_b32 s2, s7, s3
	s_mov_b32 s3, exec_lo
	s_xor_b32 s2, s2, s1
	s_waitcnt lgkmcnt(0)
	s_mul_i32 s20, s15, s10
	s_sub_i32 s2, s2, s1
	v_cmp_gt_i32_e64 s1, s12, v63
	s_ashr_i32 s21, s20, 31
	s_barrier
	buffer_gl0_inv
                                        ; implicit-def: $vgpr67
                                        ; implicit-def: $vgpr68
	v_cmpx_le_i32_e64 s12, v63
	s_xor_b32 s3, exec_lo, s3
; %bb.5:
	v_mov_b32_e32 v67, 0
	v_mbcnt_lo_u32_b32 v66, -1, 0
	v_mov_b32_e32 v68, 32
; %bb.6:
	s_or_saveexec_b32 s26, s3
	s_clause 0x2
	s_load_dwordx2 s[16:17], s[4:5], 0x0
	s_load_dwordx2 s[22:23], s[4:5], 0x18
	s_load_dword s7, s[4:5], 0x88
	v_mov_b32_e32 v69, 0xff7fffff
	v_lshrrev_b32_e32 v65, 3, v0
	s_mul_i32 s14, s2, s14
	s_xor_b32 exec_lo, exec_lo, s26
	s_cbranch_execz .LBB89_12
; %bb.7:
	s_load_dwordx2 s[4:5], s[4:5], 0x10
	v_bfe_u32 v1, v0, 1, 4
	s_ashr_i32 s15, s14, 31
	v_and_b32_e32 v3, 8, v64
	s_lshl_b64 s[28:29], s[14:15], 1
	v_and_b32_e32 v4, 0x7c, v65
	v_lshlrev_b32_e32 v2, 2, v1
	v_lshlrev_b32_e32 v5, 4, v1
	v_lshl_or_b32 v71, v63, 4, v1
	v_mov_b32_e32 v67, 0
	v_lshlrev_b32_e32 v70, 8, v62
	v_lshl_or_b32 v2, v63, 6, v2
	v_cmp_neq_f32_e64 s2, s24, 0
	v_mov_b32_e32 v69, 0xff7fffff
	v_xor_b32_e32 v75, 1, v66
	v_mov_b32_e32 v68, 32
	v_add_nc_u32_e32 v72, 0x220, v2
	v_mov_b32_e32 v76, v63
	s_mov_b32 s27, s13
	v_cmp_eq_u32_e32 vcc_lo, 0, v62
	s_waitcnt lgkmcnt(0)
	s_add_u32 s3, s4, s28
	s_addc_u32 s4, s5, s29
	v_add_co_u32 v1, s3, s3, v5
	v_add_co_ci_u32_e64 v2, null, s4, 0, s3
	s_lshl_b64 s[28:29], s[20:21], 2
	s_sub_i32 s5, 1, s11
	s_add_u32 s4, s18, s28
	v_add_co_u32 v73, s3, v1, v3
	s_addc_u32 s15, s19, s29
	v_add_co_ci_u32_e64 v74, null, 0, v2, s3
	v_add_co_u32 v1, s3, s4, v4
	v_add_co_ci_u32_e64 v2, null, s15, 0, s3
	s_mov_b32 s15, 0
	s_branch .LBB89_9
.LBB89_8:                               ;   in Loop: Header=BB89_9 Depth=1
	s_or_b32 exec_lo, exec_lo, s4
	v_add_nc_u32_e32 v76, 4, v76
	v_add_co_u32 v1, s4, v1, 16
	v_add_nc_u32_e32 v71, 64, v71
	v_add_nc_u32_e32 v72, 0x100, v72
	v_cmp_le_i32_e64 s3, s12, v76
	v_add_co_ci_u32_e64 v2, null, 0, v2, s4
	s_or_b32 s15, s3, s15
	s_andn2_b32 exec_lo, exec_lo, s15
	s_cbranch_execz .LBB89_11
.LBB89_9:                               ; =>This Inner Loop Header: Depth=1
	global_load_dword v3, v[1:2], off
	s_waitcnt vmcnt(0) lgkmcnt(0)
	v_mad_i64_i32 v[3:4], null, v3, s27, 0
	v_lshlrev_b64 v[3:4], 1, v[3:4]
	v_add_co_u32 v3, s3, v73, v3
	v_add_co_ci_u32_e64 v4, null, v74, v4, s3
	s_clause 0x7
	global_load_dwordx2 v[77:78], v[3:4], off
	global_load_dwordx2 v[79:80], v[3:4], off offset:256
	global_load_dwordx2 v[81:82], v[3:4], off offset:512
	;; [unrolled: 1-line block ×7, first 2 shown]
	v_add_co_u32 v5, s3, v3, 0x1000
	v_add_co_ci_u32_e64 v6, null, 0, v4, s3
	v_add_co_u32 v9, s3, 0x800, v3
	v_add_co_ci_u32_e64 v10, null, 0, v4, s3
	global_load_dwordx2 v[49:50], v[5:6], off offset:-2048
	ds_read_b64 v[7:8], v70
	global_load_dwordx2 v[47:48], v[9:10], off offset:256
	s_waitcnt lgkmcnt(0)
	v_lshrrev_b32_e32 v84, 16, v7
	v_and_b32_e32 v83, 0xffff, v7
	v_add_co_u32 v7, s3, 0x1000, v3
	v_lshrrev_b32_e32 v88, 16, v8
	v_and_b32_e32 v87, 0xffff, v8
	v_add_co_ci_u32_e64 v8, null, 0, v4, s3
	v_add_co_u32 v3, s3, 0x1800, v3
	v_add_co_ci_u32_e64 v4, null, 0, v4, s3
	s_clause 0x15
	global_load_dwordx2 v[45:46], v[9:10], off offset:512
	global_load_dwordx2 v[43:44], v[9:10], off offset:768
	;; [unrolled: 1-line block ×13, first 2 shown]
	global_load_dwordx2 v[17:18], v[3:4], off
	global_load_dwordx2 v[15:16], v[3:4], off offset:256
	global_load_dwordx2 v[13:14], v[3:4], off offset:512
	;; [unrolled: 1-line block ×5, first 2 shown]
	global_load_dwordx2 v[33:34], v[5:6], off
	global_load_dwordx2 v[5:6], v[3:4], off offset:1536
	global_load_dwordx2 v[3:4], v[3:4], off offset:1792
	;;#ASMSTART
	v_cvt_f32_f16 v83, v83;
	;;#ASMEND
	;;#ASMSTART
	v_cvt_f32_f16 v84, v84;
	;;#ASMEND
	v_cmp_gt_i32_e64 s3, 32, v75
	s_waitcnt vmcnt(31)
	v_and_b32_e32 v85, 0xffff, v77
	v_lshrrev_b32_e32 v77, 16, v77
	v_lshrrev_b32_e32 v90, 16, v78
	v_and_b32_e32 v78, 0xffff, v78
	;;#ASMSTART
	v_cvt_f32_f16 v85, v85;
	;;#ASMEND
	;;#ASMSTART
	v_cvt_f32_f16 v86, v77;
	;;#ASMEND
	;; [unrolled: 3-line block ×6, first 2 shown]
	ds_read_b64 v[77:78], v70 offset:8
	s_waitcnt vmcnt(30)
	v_and_b32_e32 v92, 0xffff, v79
	v_and_b32_e32 v96, 0xffff, v80
	v_lshrrev_b32_e32 v97, 16, v80
	v_lshrrev_b32_e32 v79, 16, v79
	s_waitcnt vmcnt(29)
	v_lshrrev_b32_e32 v100, 16, v81
	v_and_b32_e32 v103, 0xffff, v82
	v_lshrrev_b32_e32 v82, 16, v82
	s_waitcnt lgkmcnt(0)
	v_and_b32_e32 v91, 0xffff, v77
	v_lshrrev_b32_e32 v77, 16, v77
	v_and_b32_e32 v94, 0xffff, v78
	v_lshrrev_b32_e32 v78, 16, v78
	;;#ASMSTART
	v_cvt_f32_f16 v80, v91;
	;;#ASMEND
	;;#ASMSTART
	v_cvt_f32_f16 v91, v77;
	;;#ASMEND
	;; [unrolled: 3-line block ×8, first 2 shown]
	ds_read_b64 v[77:78], v70 offset:16
	v_and_b32_e32 v79, 0xffff, v81
	s_waitcnt lgkmcnt(0)
	v_and_b32_e32 v81, 0xffff, v77
	v_and_b32_e32 v101, 0xffff, v78
	v_lshrrev_b32_e32 v78, 16, v78
	v_lshrrev_b32_e32 v77, 16, v77
	;;#ASMSTART
	v_cvt_f32_f16 v81, v81;
	;;#ASMEND
	;;#ASMSTART
	v_cvt_f32_f16 v98, v77;
	;;#ASMEND
	;; [unrolled: 3-line block ×8, first 2 shown]
	ds_read_b64 v[78:79], v70 offset:24
	s_waitcnt vmcnt(28)
	v_and_b32_e32 v82, 0xffff, v59
	v_mul_f32_e32 v77, v80, v92
	v_lshrrev_b32_e32 v80, 16, v59
	v_mul_f32_e32 v59, v91, v93
	v_and_b32_e32 v92, 0xffff, v60
	v_lshrrev_b32_e32 v60, 16, v60
	v_fmac_f32_e32 v77, v83, v85
	v_fmac_f32_e32 v59, v84, v86
	;; [unrolled: 1-line block ×3, first 2 shown]
	s_waitcnt vmcnt(25)
	v_lshrrev_b32_e32 v99, 16, v54
	v_fmac_f32_e32 v59, v98, v100
	v_and_b32_e32 v98, 0xffff, v54
	s_waitcnt lgkmcnt(0)
	v_and_b32_e32 v83, 0xffff, v78
	v_lshrrev_b32_e32 v78, 16, v78
	v_and_b32_e32 v84, 0xffff, v79
	v_lshrrev_b32_e32 v79, 16, v79
	;;#ASMSTART
	v_cvt_f32_f16 v91, v83;
	;;#ASMEND
	;;#ASMSTART
	v_cvt_f32_f16 v105, v78;
	;;#ASMEND
	;;#ASMSTART
	v_cvt_f32_f16 v106, v82;
	;;#ASMEND
	;;#ASMSTART
	v_cvt_f32_f16 v107, v80;
	;;#ASMEND
	;;#ASMSTART
	v_cvt_f32_f16 v85, v84;
	;;#ASMEND
	;;#ASMSTART
	v_cvt_f32_f16 v83, v79;
	;;#ASMEND
	;;#ASMSTART
	v_cvt_f32_f16 v86, v92;
	;;#ASMEND
	;;#ASMSTART
	v_cvt_f32_f16 v84, v60;
	;;#ASMEND
	ds_read_b64 v[78:79], v70 offset:32
	v_and_b32_e32 v80, 0xffff, v57
	v_mul_f32_e32 v60, v94, v96
	v_lshrrev_b32_e32 v82, 16, v57
	v_mul_f32_e32 v57, v95, v97
	v_and_b32_e32 v92, 0xffff, v58
	v_lshrrev_b32_e32 v58, 16, v58
	v_fmac_f32_e32 v60, v87, v89
	v_fmac_f32_e32 v77, v91, v106
	;; [unrolled: 1-line block ×7, first 2 shown]
	s_waitcnt vmcnt(24)
	v_lshrrev_b32_e32 v85, 16, v51
	v_and_b32_e32 v86, 0xffff, v52
	s_waitcnt lgkmcnt(0)
	v_and_b32_e32 v87, 0xffff, v78
	v_lshrrev_b32_e32 v78, 16, v78
	v_and_b32_e32 v88, 0xffff, v79
	v_lshrrev_b32_e32 v79, 16, v79
	;;#ASMSTART
	v_cvt_f32_f16 v97, v87;
	;;#ASMEND
	;;#ASMSTART
	v_cvt_f32_f16 v94, v78;
	;;#ASMEND
	;; [unrolled: 3-line block ×8, first 2 shown]
	ds_read_b64 v[78:79], v70 offset:40
	v_and_b32_e32 v58, 0xffff, v55
	v_lshrrev_b32_e32 v55, 16, v55
	v_and_b32_e32 v87, 0xffff, v56
	v_lshrrev_b32_e32 v88, 16, v56
	v_fmac_f32_e32 v57, v83, v84
	v_lshrrev_b32_e32 v52, 16, v52
	v_fmac_f32_e32 v77, v97, v108
	v_fmac_f32_e32 v59, v94, v96
	;; [unrolled: 1-line block ×4, first 2 shown]
	s_waitcnt lgkmcnt(0)
	v_and_b32_e32 v56, 0xffff, v78
	v_lshrrev_b32_e32 v78, 16, v78
	v_lshrrev_b32_e32 v92, 16, v79
	v_and_b32_e32 v89, 0xffff, v79
	;;#ASMSTART
	v_cvt_f32_f16 v79, v56;
	;;#ASMEND
	;;#ASMSTART
	v_cvt_f32_f16 v56, v78;
	;;#ASMEND
	;; [unrolled: 3-line block ×8, first 2 shown]
	ds_read_b64 v[87:88], v70 offset:48
	v_and_b32_e32 v89, 0xffff, v53
	v_lshrrev_b32_e32 v53, 16, v53
	v_fmac_f32_e32 v77, v79, v81
	s_waitcnt vmcnt(22)
	v_and_b32_e32 v81, 0xffff, v48
	v_lshrrev_b32_e32 v48, 16, v48
	v_fmac_f32_e32 v59, v56, v78
	v_fmac_f32_e32 v60, v90, v92
	;; [unrolled: 1-line block ×3, first 2 shown]
	s_waitcnt vmcnt(21)
	v_and_b32_e32 v58, 0xffff, v46
	v_lshrrev_b32_e32 v46, 16, v46
	s_waitcnt lgkmcnt(0)
	v_and_b32_e32 v54, 0xffff, v87
	v_lshrrev_b32_e32 v87, 16, v87
	v_and_b32_e32 v100, 0xffff, v88
	v_lshrrev_b32_e32 v88, 16, v88
	;;#ASMSTART
	v_cvt_f32_f16 v91, v54;
	;;#ASMEND
	;;#ASMSTART
	v_cvt_f32_f16 v54, v87;
	;;#ASMEND
	;; [unrolled: 3-line block ×8, first 2 shown]
	ds_read_b64 v[87:88], v70 offset:56
	v_and_b32_e32 v98, 0xffff, v51
	v_and_b32_e32 v100, 0xffff, v50
	v_lshrrev_b32_e32 v50, 16, v50
	v_fmac_f32_e32 v59, v54, v89
	v_fmac_f32_e32 v77, v91, v105
	s_waitcnt vmcnt(20)
	v_lshrrev_b32_e32 v105, 16, v43
	v_fmac_f32_e32 v60, v102, v103
	v_and_b32_e32 v43, 0xffff, v43
	v_lshrrev_b32_e32 v102, 16, v44
	v_and_b32_e32 v44, 0xffff, v44
	v_fmac_f32_e32 v57, v53, v101
	s_waitcnt vmcnt(19)
	v_lshrrev_b32_e32 v103, 16, v41
	s_waitcnt lgkmcnt(0)
	v_and_b32_e32 v51, 0xffff, v87
	v_lshrrev_b32_e32 v83, 16, v87
	v_and_b32_e32 v87, 0xffff, v88
	v_lshrrev_b32_e32 v88, 16, v88
	;;#ASMSTART
	v_cvt_f32_f16 v51, v51;
	;;#ASMEND
	;;#ASMSTART
	v_cvt_f32_f16 v83, v83;
	;;#ASMEND
	;; [unrolled: 3-line block ×8, first 2 shown]
	ds_read_b64 v[97:98], v70 offset:64
	v_and_b32_e32 v52, 0xffff, v49
	v_lshrrev_b32_e32 v49, 16, v49
	v_fmac_f32_e32 v77, v51, v104
	v_fmac_f32_e32 v59, v83, v84
	v_and_b32_e32 v84, 0xffff, v41
	v_lshrrev_b32_e32 v104, 16, v42
	v_fmac_f32_e32 v60, v87, v88
	v_fmac_f32_e32 v57, v85, v86
	s_waitcnt lgkmcnt(0)
	v_lshrrev_b32_e32 v94, 16, v97
	v_and_b32_e32 v80, 0xffff, v98
	v_lshrrev_b32_e32 v82, 16, v98
	v_and_b32_e32 v93, 0xffff, v97
	;;#ASMSTART
	v_cvt_f32_f16 v97, v93;
	;;#ASMEND
	;;#ASMSTART
	v_cvt_f32_f16 v94, v94;
	;;#ASMEND
	;; [unrolled: 3-line block ×8, first 2 shown]
	ds_read_b64 v[49:50], v70 offset:72
	v_and_b32_e32 v52, 0xffff, v47
	v_lshrrev_b32_e32 v47, 16, v47
	v_fmac_f32_e32 v77, v97, v98
	s_waitcnt vmcnt(18)
	v_and_b32_e32 v97, 0xffff, v39
	v_lshrrev_b32_e32 v98, 16, v40
	v_fmac_f32_e32 v59, v94, v96
	v_fmac_f32_e32 v60, v99, v100
	;; [unrolled: 1-line block ×3, first 2 shown]
	s_waitcnt vmcnt(17)
	v_and_b32_e32 v82, 0xffff, v37
	s_waitcnt lgkmcnt(0)
	v_and_b32_e32 v56, 0xffff, v49
	v_and_b32_e32 v78, 0xffff, v50
	v_lshrrev_b32_e32 v49, 16, v49
	v_lshrrev_b32_e32 v50, 16, v50
	;;#ASMSTART
	v_cvt_f32_f16 v93, v56;
	;;#ASMEND
	;;#ASMSTART
	v_cvt_f32_f16 v90, v49;
	;;#ASMEND
	;;#ASMSTART
	v_cvt_f32_f16 v95, v52;
	;;#ASMEND
	;;#ASMSTART
	v_cvt_f32_f16 v92, v47;
	;;#ASMEND
	;;#ASMSTART
	v_cvt_f32_f16 v79, v78;
	;;#ASMEND
	;;#ASMSTART
	v_cvt_f32_f16 v56, v50;
	;;#ASMEND
	;;#ASMSTART
	v_cvt_f32_f16 v81, v81;
	;;#ASMEND
	;;#ASMSTART
	v_cvt_f32_f16 v78, v48;
	;;#ASMEND
	ds_read_b64 v[47:48], v70 offset:80
	v_and_b32_e32 v49, 0xffff, v45
	v_lshrrev_b32_e32 v45, 16, v45
	v_fmac_f32_e32 v77, v93, v95
	v_fmac_f32_e32 v59, v90, v92
	;; [unrolled: 1-line block ×3, first 2 shown]
	s_waitcnt vmcnt(16)
	v_and_b32_e32 v79, 0xffff, v35
	v_lshrrev_b32_e32 v81, 16, v36
	v_fmac_f32_e32 v57, v56, v78
	s_waitcnt lgkmcnt(0)
	v_and_b32_e32 v50, 0xffff, v47
	v_and_b32_e32 v52, 0xffff, v48
	v_lshrrev_b32_e32 v54, 16, v48
	v_lshrrev_b32_e32 v47, 16, v47
	;;#ASMSTART
	v_cvt_f32_f16 v89, v50;
	;;#ASMEND
	;;#ASMSTART
	v_cvt_f32_f16 v48, v47;
	;;#ASMEND
	;; [unrolled: 3-line block ×8, first 2 shown]
	ds_read_b64 v[45:46], v70 offset:88
	v_fmac_f32_e32 v77, v89, v91
	v_fmac_f32_e32 v59, v48, v50
	;; [unrolled: 1-line block ×4, first 2 shown]
	s_waitcnt lgkmcnt(0)
	v_and_b32_e32 v47, 0xffff, v45
	v_lshrrev_b32_e32 v45, 16, v45
	v_and_b32_e32 v51, 0xffff, v46
	v_lshrrev_b32_e32 v53, 16, v46
	;;#ASMSTART
	v_cvt_f32_f16 v47, v47;
	;;#ASMEND
	;;#ASMSTART
	v_cvt_f32_f16 v45, v45;
	;;#ASMEND
	;;#ASMSTART
	v_cvt_f32_f16 v49, v43;
	;;#ASMEND
	;;#ASMSTART
	v_cvt_f32_f16 v46, v105;
	;;#ASMEND
	;;#ASMSTART
	v_cvt_f32_f16 v51, v51;
	;;#ASMEND
	;;#ASMSTART
	v_cvt_f32_f16 v43, v53;
	;;#ASMEND
	;;#ASMSTART
	v_cvt_f32_f16 v53, v44;
	;;#ASMEND
	;;#ASMSTART
	v_cvt_f32_f16 v44, v102;
	;;#ASMEND
	ds_read_b64 v[101:102], v70 offset:96
	v_and_b32_e32 v105, 0xffff, v42
	v_fmac_f32_e32 v77, v47, v49
	v_fmac_f32_e32 v59, v45, v46
	;; [unrolled: 1-line block ×4, first 2 shown]
	s_waitcnt lgkmcnt(0)
	v_and_b32_e32 v41, 0xffff, v101
	v_lshrrev_b32_e32 v42, 16, v101
	v_and_b32_e32 v86, 0xffff, v102
	v_lshrrev_b32_e32 v88, 16, v102
	;;#ASMSTART
	v_cvt_f32_f16 v83, v41;
	;;#ASMEND
	;;#ASMSTART
	v_cvt_f32_f16 v41, v42;
	;;#ASMEND
	;; [unrolled: 3-line block ×8, first 2 shown]
	ds_read_b64 v[101:102], v70 offset:104
	v_lshrrev_b32_e32 v103, 16, v39
	v_and_b32_e32 v104, 0xffff, v40
	v_and_b32_e32 v105, 0xffff, v38
	v_fmac_f32_e32 v77, v83, v85
	v_fmac_f32_e32 v59, v41, v42
	;; [unrolled: 1-line block ×4, first 2 shown]
	s_waitcnt lgkmcnt(0)
	v_and_b32_e32 v39, 0xffff, v101
	v_lshrrev_b32_e32 v40, 16, v101
	v_and_b32_e32 v96, 0xffff, v102
	v_lshrrev_b32_e32 v100, 16, v102
	;;#ASMSTART
	v_cvt_f32_f16 v94, v39;
	;;#ASMEND
	;;#ASMSTART
	v_cvt_f32_f16 v39, v40;
	;;#ASMEND
	;; [unrolled: 3-line block ×8, first 2 shown]
	ds_read_b64 v[101:102], v70 offset:112
	v_lshrrev_b32_e32 v103, 16, v37
	v_lshrrev_b32_e32 v104, 16, v38
	v_fmac_f32_e32 v77, v94, v97
	v_fmac_f32_e32 v59, v39, v40
	;; [unrolled: 1-line block ×4, first 2 shown]
	s_waitcnt lgkmcnt(0)
	v_and_b32_e32 v37, 0xffff, v101
	v_lshrrev_b32_e32 v38, 16, v101
	v_and_b32_e32 v92, 0xffff, v102
	v_lshrrev_b32_e32 v95, 16, v102
	;;#ASMSTART
	v_cvt_f32_f16 v80, v37;
	;;#ASMEND
	;;#ASMSTART
	v_cvt_f32_f16 v37, v38;
	;;#ASMEND
	;;#ASMSTART
	v_cvt_f32_f16 v90, v82;
	;;#ASMEND
	;;#ASMSTART
	v_cvt_f32_f16 v38, v103;
	;;#ASMEND
	;;#ASMSTART
	v_cvt_f32_f16 v93, v92;
	;;#ASMEND
	;;#ASMSTART
	v_cvt_f32_f16 v82, v95;
	;;#ASMEND
	;;#ASMSTART
	v_cvt_f32_f16 v95, v105;
	;;#ASMEND
	;;#ASMSTART
	v_cvt_f32_f16 v92, v104;
	;;#ASMEND
	ds_read_b64 v[101:102], v70 offset:120
	v_lshrrev_b32_e32 v103, 16, v35
	v_and_b32_e32 v104, 0xffff, v36
	v_fmac_f32_e32 v77, v80, v90
	v_fmac_f32_e32 v59, v37, v38
	;; [unrolled: 1-line block ×4, first 2 shown]
	s_waitcnt vmcnt(10)
	v_lshrrev_b32_e32 v92, 16, v22
	v_and_b32_e32 v22, 0xffff, v22
	s_waitcnt lgkmcnt(0)
	v_and_b32_e32 v35, 0xffff, v101
	v_lshrrev_b32_e32 v36, 16, v101
	v_and_b32_e32 v78, 0xffff, v102
	v_lshrrev_b32_e32 v91, 16, v102
	;;#ASMSTART
	v_cvt_f32_f16 v56, v35;
	;;#ASMEND
	;;#ASMSTART
	v_cvt_f32_f16 v35, v36;
	;;#ASMEND
	;; [unrolled: 3-line block ×8, first 2 shown]
	ds_read_b64 v[101:102], v70 offset:128
	s_waitcnt vmcnt(2)
	v_lshrrev_b32_e32 v103, 16, v33
	v_and_b32_e32 v33, 0xffff, v33
	v_lshrrev_b32_e32 v104, 16, v34
	v_and_b32_e32 v34, 0xffff, v34
	v_fmac_f32_e32 v77, v56, v79
	v_fmac_f32_e32 v59, v35, v36
	;; [unrolled: 1-line block ×3, first 2 shown]
	v_lshrrev_b32_e32 v91, 16, v20
	v_and_b32_e32 v20, 0xffff, v20
	v_fmac_f32_e32 v57, v78, v81
	s_waitcnt lgkmcnt(0)
	v_and_b32_e32 v48, 0xffff, v101
	v_lshrrev_b32_e32 v50, 16, v101
	v_and_b32_e32 v55, 0xffff, v102
	v_lshrrev_b32_e32 v58, 16, v102
	;;#ASMSTART
	v_cvt_f32_f16 v48, v48;
	;;#ASMEND
	;;#ASMSTART
	v_cvt_f32_f16 v50, v50;
	;;#ASMEND
	;;#ASMSTART
	v_cvt_f32_f16 v52, v33;
	;;#ASMEND
	;;#ASMSTART
	v_cvt_f32_f16 v54, v103;
	;;#ASMEND
	;;#ASMSTART
	v_cvt_f32_f16 v55, v55;
	;;#ASMEND
	;;#ASMSTART
	v_cvt_f32_f16 v58, v58;
	;;#ASMEND
	;;#ASMSTART
	v_cvt_f32_f16 v101, v34;
	;;#ASMEND
	;;#ASMSTART
	v_cvt_f32_f16 v102, v104;
	;;#ASMEND
	ds_read_b64 v[33:34], v70 offset:136
	v_lshrrev_b32_e32 v103, 16, v31
	v_and_b32_e32 v31, 0xffff, v31
	v_lshrrev_b32_e32 v104, 16, v32
	v_and_b32_e32 v32, 0xffff, v32
	v_fmac_f32_e32 v77, v48, v52
	v_fmac_f32_e32 v59, v50, v54
	;; [unrolled: 1-line block ×4, first 2 shown]
	s_waitcnt lgkmcnt(0)
	v_and_b32_e32 v45, 0xffff, v33
	v_lshrrev_b32_e32 v46, 16, v33
	v_lshrrev_b32_e32 v49, 16, v34
	v_and_b32_e32 v47, 0xffff, v34
	;;#ASMSTART
	v_cvt_f32_f16 v33, v45;
	;;#ASMEND
	;;#ASMSTART
	v_cvt_f32_f16 v34, v46;
	;;#ASMEND
	;; [unrolled: 3-line block ×8, first 2 shown]
	ds_read_b64 v[31:32], v70 offset:144
	v_lshrrev_b32_e32 v103, 16, v29
	v_and_b32_e32 v29, 0xffff, v29
	v_lshrrev_b32_e32 v104, 16, v30
	v_and_b32_e32 v30, 0xffff, v30
	v_fmac_f32_e32 v77, v33, v45
	v_fmac_f32_e32 v59, v34, v46
	;; [unrolled: 1-line block ×4, first 2 shown]
	v_lshrrev_b32_e32 v53, 16, v14
	v_and_b32_e32 v14, 0xffff, v14
	s_waitcnt lgkmcnt(0)
	v_and_b32_e32 v43, 0xffff, v31
	v_lshrrev_b32_e32 v44, 16, v31
	v_lshrrev_b32_e32 v83, 16, v32
	v_and_b32_e32 v85, 0xffff, v32
	;;#ASMSTART
	v_cvt_f32_f16 v31, v43;
	;;#ASMEND
	;;#ASMSTART
	v_cvt_f32_f16 v32, v44;
	;;#ASMEND
	;;#ASMSTART
	v_cvt_f32_f16 v41, v29;
	;;#ASMEND
	;;#ASMSTART
	v_cvt_f32_f16 v42, v103;
	;;#ASMEND
	;;#ASMSTART
	v_cvt_f32_f16 v43, v85;
	;;#ASMEND
	;;#ASMSTART
	v_cvt_f32_f16 v44, v83;
	;;#ASMEND
	;;#ASMSTART
	v_cvt_f32_f16 v83, v30;
	;;#ASMEND
	;;#ASMSTART
	v_cvt_f32_f16 v85, v104;
	;;#ASMEND
	ds_read_b64 v[29:30], v70 offset:152
	v_lshrrev_b32_e32 v103, 16, v27
	v_and_b32_e32 v27, 0xffff, v27
	v_lshrrev_b32_e32 v104, 16, v28
	v_and_b32_e32 v28, 0xffff, v28
	v_fmac_f32_e32 v77, v31, v41
	v_fmac_f32_e32 v59, v32, v42
	v_fmac_f32_e32 v60, v43, v83
	v_fmac_f32_e32 v57, v44, v85
	s_waitcnt lgkmcnt(0)
	v_and_b32_e32 v84, 0xffff, v29
	v_lshrrev_b32_e32 v86, 16, v29
	v_lshrrev_b32_e32 v88, 16, v30
	v_and_b32_e32 v87, 0xffff, v30
	;;#ASMSTART
	v_cvt_f32_f16 v29, v84;
	;;#ASMEND
	;;#ASMSTART
	v_cvt_f32_f16 v30, v86;
	;;#ASMEND
	;;#ASMSTART
	v_cvt_f32_f16 v84, v27;
	;;#ASMEND
	;;#ASMSTART
	v_cvt_f32_f16 v86, v103;
	;;#ASMEND
	;;#ASMSTART
	v_cvt_f32_f16 v87, v87;
	;;#ASMEND
	;;#ASMSTART
	v_cvt_f32_f16 v88, v88;
	;;#ASMEND
	;;#ASMSTART
	v_cvt_f32_f16 v94, v28;
	;;#ASMEND
	;;#ASMSTART
	v_cvt_f32_f16 v97, v104;
	;;#ASMEND
	ds_read_b64 v[27:28], v70 offset:160
	v_lshrrev_b32_e32 v103, 16, v25
	v_and_b32_e32 v25, 0xffff, v25
	v_lshrrev_b32_e32 v104, 16, v26
	v_and_b32_e32 v26, 0xffff, v26
	v_fmac_f32_e32 v77, v29, v84
	v_fmac_f32_e32 v59, v30, v86
	v_fmac_f32_e32 v60, v87, v94
	v_fmac_f32_e32 v57, v88, v97
	;; [unrolled: 38-line block ×3, first 2 shown]
	v_lshrrev_b32_e32 v39, 16, v8
	v_and_b32_e32 v8, 0xffff, v8
	s_waitcnt lgkmcnt(0)
	v_and_b32_e32 v37, 0xffff, v25
	v_lshrrev_b32_e32 v38, 16, v25
	v_lshrrev_b32_e32 v90, 16, v26
	v_and_b32_e32 v80, 0xffff, v26
	;;#ASMSTART
	v_cvt_f32_f16 v25, v37;
	;;#ASMEND
	;;#ASMSTART
	v_cvt_f32_f16 v26, v38;
	;;#ASMEND
	;; [unrolled: 3-line block ×8, first 2 shown]
	ds_read_b64 v[23:24], v70 offset:176
	v_lshrrev_b32_e32 v103, 16, v21
	v_and_b32_e32 v21, 0xffff, v21
	v_fmac_f32_e32 v77, v25, v37
	v_fmac_f32_e32 v59, v26, v38
	;; [unrolled: 1-line block ×4, first 2 shown]
	s_waitcnt lgkmcnt(0)
	v_and_b32_e32 v56, 0xffff, v23
	v_lshrrev_b32_e32 v79, 16, v23
	v_lshrrev_b32_e32 v82, 16, v24
	v_and_b32_e32 v104, 0xffff, v24
	;;#ASMSTART
	v_cvt_f32_f16 v23, v56;
	;;#ASMEND
	;;#ASMSTART
	v_cvt_f32_f16 v24, v79;
	;;#ASMEND
	;; [unrolled: 3-line block ×8, first 2 shown]
	ds_read_b64 v[21:22], v70 offset:184
	v_lshrrev_b32_e32 v103, 16, v19
	v_and_b32_e32 v19, 0xffff, v19
	v_fmac_f32_e32 v77, v23, v35
	v_fmac_f32_e32 v59, v24, v36
	;; [unrolled: 1-line block ×4, first 2 shown]
	s_waitcnt lgkmcnt(0)
	v_and_b32_e32 v78, 0xffff, v21
	v_lshrrev_b32_e32 v81, 16, v21
	v_lshrrev_b32_e32 v89, 16, v22
	v_and_b32_e32 v104, 0xffff, v22
	;;#ASMSTART
	v_cvt_f32_f16 v21, v78;
	;;#ASMEND
	;;#ASMSTART
	v_cvt_f32_f16 v22, v81;
	;;#ASMEND
	;; [unrolled: 3-line block ×8, first 2 shown]
	ds_read_b64 v[19:20], v70 offset:192
	v_lshrrev_b32_e32 v103, 16, v17
	v_and_b32_e32 v17, 0xffff, v17
	v_lshrrev_b32_e32 v104, 16, v18
	v_and_b32_e32 v18, 0xffff, v18
	v_fmac_f32_e32 v77, v21, v48
	v_fmac_f32_e32 v59, v22, v52
	;; [unrolled: 1-line block ×4, first 2 shown]
	s_waitcnt vmcnt(1)
	v_lshrrev_b32_e32 v21, 16, v6
	v_and_b32_e32 v6, 0xffff, v6
	s_waitcnt vmcnt(0)
	v_lshrrev_b32_e32 v22, 16, v3
	s_waitcnt lgkmcnt(0)
	v_and_b32_e32 v50, 0xffff, v19
	v_lshrrev_b32_e32 v54, 16, v19
	v_lshrrev_b32_e32 v58, 16, v20
	v_and_b32_e32 v55, 0xffff, v20
	;;#ASMSTART
	v_cvt_f32_f16 v19, v50;
	;;#ASMEND
	;;#ASMSTART
	v_cvt_f32_f16 v20, v54;
	;;#ASMEND
	;; [unrolled: 3-line block ×8, first 2 shown]
	ds_read_b64 v[17:18], v70 offset:200
	v_lshrrev_b32_e32 v103, 16, v15
	v_and_b32_e32 v15, 0xffff, v15
	v_lshrrev_b32_e32 v104, 16, v16
	v_and_b32_e32 v16, 0xffff, v16
	v_fmac_f32_e32 v77, v19, v50
	v_fmac_f32_e32 v59, v20, v54
	;; [unrolled: 1-line block ×4, first 2 shown]
	s_waitcnt lgkmcnt(0)
	v_and_b32_e32 v33, 0xffff, v17
	v_lshrrev_b32_e32 v34, 16, v17
	v_lshrrev_b32_e32 v46, 16, v18
	v_and_b32_e32 v45, 0xffff, v18
	;;#ASMSTART
	v_cvt_f32_f16 v17, v33;
	;;#ASMEND
	;;#ASMSTART
	v_cvt_f32_f16 v18, v34;
	;;#ASMEND
	;;#ASMSTART
	v_cvt_f32_f16 v33, v15;
	;;#ASMEND
	;;#ASMSTART
	v_cvt_f32_f16 v34, v103;
	;;#ASMEND
	;;#ASMSTART
	v_cvt_f32_f16 v45, v45;
	;;#ASMEND
	;;#ASMSTART
	v_cvt_f32_f16 v46, v46;
	;;#ASMEND
	;;#ASMSTART
	v_cvt_f32_f16 v47, v16;
	;;#ASMEND
	;;#ASMSTART
	v_cvt_f32_f16 v51, v104;
	;;#ASMEND
	ds_read_b64 v[15:16], v70 offset:208
	v_lshrrev_b32_e32 v103, 16, v13
	v_and_b32_e32 v13, 0xffff, v13
	v_lshrrev_b32_e32 v104, 16, v12
	v_and_b32_e32 v12, 0xffff, v12
	v_fmac_f32_e32 v77, v17, v33
	v_fmac_f32_e32 v59, v18, v34
	;; [unrolled: 1-line block ×4, first 2 shown]
	s_waitcnt lgkmcnt(0)
	v_and_b32_e32 v31, 0xffff, v15
	v_lshrrev_b32_e32 v41, 16, v15
	v_lshrrev_b32_e32 v42, 16, v16
	v_and_b32_e32 v49, 0xffff, v16
	;;#ASMSTART
	v_cvt_f32_f16 v15, v31;
	;;#ASMEND
	;;#ASMSTART
	v_cvt_f32_f16 v16, v41;
	;;#ASMEND
	;; [unrolled: 3-line block ×8, first 2 shown]
	ds_read_b64 v[13:14], v70 offset:216
	v_lshrrev_b32_e32 v103, 16, v11
	v_and_b32_e32 v11, 0xffff, v11
	v_fmac_f32_e32 v77, v15, v31
	v_fmac_f32_e32 v59, v16, v32
	;; [unrolled: 1-line block ×4, first 2 shown]
	s_waitcnt lgkmcnt(0)
	v_and_b32_e32 v43, 0xffff, v13
	v_lshrrev_b32_e32 v44, 16, v13
	v_lshrrev_b32_e32 v83, 16, v14
	v_and_b32_e32 v84, 0xffff, v14
	;;#ASMSTART
	v_cvt_f32_f16 v13, v43;
	;;#ASMEND
	;;#ASMSTART
	v_cvt_f32_f16 v14, v44;
	;;#ASMEND
	;; [unrolled: 3-line block ×8, first 2 shown]
	ds_read_b64 v[11:12], v70 offset:224
	v_lshrrev_b32_e32 v103, 16, v9
	v_and_b32_e32 v9, 0xffff, v9
	v_lshrrev_b32_e32 v104, 16, v10
	v_and_b32_e32 v10, 0xffff, v10
	v_fmac_f32_e32 v77, v13, v29
	v_fmac_f32_e32 v59, v14, v43
	;; [unrolled: 1-line block ×4, first 2 shown]
	v_and_b32_e32 v13, 0xffff, v3
	s_waitcnt lgkmcnt(0)
	v_and_b32_e32 v30, 0xffff, v11
	v_lshrrev_b32_e32 v86, 16, v11
	v_lshrrev_b32_e32 v88, 16, v12
	v_and_b32_e32 v87, 0xffff, v12
	;;#ASMSTART
	v_cvt_f32_f16 v11, v30;
	;;#ASMEND
	;;#ASMSTART
	v_cvt_f32_f16 v12, v86;
	;;#ASMEND
	;; [unrolled: 3-line block ×8, first 2 shown]
	ds_read_b64 v[9:10], v70 offset:232
	v_lshrrev_b32_e32 v103, 16, v7
	v_and_b32_e32 v7, 0xffff, v7
	v_lshrrev_b32_e32 v104, 16, v5
	v_and_b32_e32 v5, 0xffff, v5
	v_fmac_f32_e32 v77, v11, v30
	v_fmac_f32_e32 v59, v12, v86
	;; [unrolled: 1-line block ×4, first 2 shown]
	v_lshrrev_b32_e32 v11, 16, v4
	s_waitcnt lgkmcnt(0)
	v_and_b32_e32 v23, 0xffff, v9
	v_lshrrev_b32_e32 v25, 16, v9
	v_lshrrev_b32_e32 v26, 16, v10
	v_and_b32_e32 v27, 0xffff, v10
	;;#ASMSTART
	v_cvt_f32_f16 v9, v23;
	;;#ASMEND
	;;#ASMSTART
	v_cvt_f32_f16 v10, v25;
	;;#ASMEND
	;; [unrolled: 3-line block ×8, first 2 shown]
	ds_read_b64 v[7:8], v70 offset:240
	v_fmac_f32_e32 v77, v9, v23
	v_fmac_f32_e32 v59, v10, v24
	;; [unrolled: 1-line block ×3, first 2 shown]
	v_and_b32_e32 v9, 0xffff, v4
	v_fmac_f32_e32 v57, v26, v28
	s_waitcnt lgkmcnt(0)
	v_and_b32_e32 v15, 0xffff, v7
	v_lshrrev_b32_e32 v16, 16, v7
	v_lshrrev_b32_e32 v18, 16, v8
	v_and_b32_e32 v17, 0xffff, v8
	;;#ASMSTART
	v_cvt_f32_f16 v7, v15;
	;;#ASMEND
	;;#ASMSTART
	v_cvt_f32_f16 v8, v16;
	;;#ASMEND
	;; [unrolled: 3-line block ×8, first 2 shown]
	ds_read_b64 v[5:6], v70 offset:248
	v_fmac_f32_e32 v77, v7, v15
	v_fmac_f32_e32 v59, v8, v16
	;; [unrolled: 1-line block ×4, first 2 shown]
	s_waitcnt lgkmcnt(0)
	v_and_b32_e32 v3, 0xffff, v5
	v_lshrrev_b32_e32 v4, 16, v5
	v_lshrrev_b32_e32 v7, 16, v6
	v_and_b32_e32 v8, 0xffff, v6
	;;#ASMSTART
	v_cvt_f32_f16 v3, v3;
	;;#ASMEND
	;;#ASMSTART
	v_cvt_f32_f16 v4, v4;
	;;#ASMEND
	;;#ASMSTART
	v_cvt_f32_f16 v5, v13;
	;;#ASMEND
	;;#ASMSTART
	v_cvt_f32_f16 v6, v22;
	;;#ASMEND
	v_fmac_f32_e32 v77, v3, v5
	v_fmac_f32_e32 v59, v4, v6
	;;#ASMSTART
	v_cvt_f32_f16 v3, v8;
	;;#ASMEND
	;;#ASMSTART
	v_cvt_f32_f16 v4, v7;
	;;#ASMEND
	;; [unrolled: 3-line block ×3, first 2 shown]
	v_fmac_f32_e32 v60, v3, v5
	v_add_f32_e32 v3, v77, v59
	;;#ASMSTART
	v_cvt_f32_f16 v5, v11;
	;;#ASMEND
	v_fmac_f32_e32 v57, v4, v5
	v_cndmask_b32_e64 v4, v66, v75, s3
	v_add_f32_e32 v3, v3, v60
	v_lshlrev_b32_e32 v4, 2, v4
	v_add_f32_e32 v3, v57, v3
	ds_bpermute_b32 v4, v4, v3
	s_and_saveexec_b32 s4, vcc_lo
	s_cbranch_execz .LBB89_8
; %bb.10:                               ;   in Loop: Header=BB89_9 Depth=1
	v_add_nc_u32_e32 v5, s5, v71
	s_waitcnt lgkmcnt(0)
	v_add_f32_e32 v3, v3, v4
	v_cmp_gt_i32_e64 s3, s11, v71
	v_cvt_f32_i32_e32 v5, v5
	v_mul_f32_e32 v5, s24, v5
	v_cndmask_b32_e64 v4, 0, v5, s2
	v_max_f32_e32 v5, v69, v69
	v_fmac_f32_e32 v4, s25, v3
	v_max_f32_e32 v3, v5, v4
	v_cndmask_b32_e64 v4, 0, v4, s3
	v_cndmask_b32_e64 v69, v69, v3, s3
	ds_write_b32 v72, v4
	s_branch .LBB89_8
.LBB89_11:
	s_or_b32 exec_lo, exec_lo, s15
.LBB89_12:
	s_or_b32 exec_lo, exec_lo, s26
	v_xor_b32_e32 v1, 16, v66
	v_xor_b32_e32 v3, 8, v66
	v_max_f32_e32 v5, v69, v69
	v_xor_b32_e32 v6, 2, v66
	v_and_b32_e32 v11, 31, v0
	v_cmp_lt_i32_e32 vcc_lo, v1, v68
	v_cndmask_b32_e32 v1, v66, v1, vcc_lo
	v_cmp_lt_i32_e32 vcc_lo, v3, v68
	v_lshlrev_b32_e32 v2, 2, v1
	v_cndmask_b32_e32 v3, v66, v3, vcc_lo
	ds_bpermute_b32 v1, v2, v69
	s_waitcnt lgkmcnt(0)
	v_lshlrev_b32_e32 v4, 2, v3
	v_max_f32_e32 v1, v1, v1
	v_max_f32_e32 v1, v5, v1
	v_xor_b32_e32 v5, 4, v66
	ds_bpermute_b32 v3, v4, v1
	v_cmp_lt_i32_e32 vcc_lo, v5, v68
	v_cndmask_b32_e32 v5, v66, v5, vcc_lo
	v_cmp_lt_i32_e32 vcc_lo, v6, v68
	v_lshlrev_b32_e32 v5, 2, v5
	v_cndmask_b32_e32 v6, v66, v6, vcc_lo
	v_cmp_eq_u32_e32 vcc_lo, 0, v11
	s_waitcnt lgkmcnt(0)
	v_max_f32_e32 v3, v3, v3
	v_max_f32_e32 v1, v1, v3
	ds_bpermute_b32 v3, v5, v1
	s_waitcnt lgkmcnt(0)
	v_max_f32_e32 v3, v3, v3
	v_max_f32_e32 v3, v1, v3
	v_lshlrev_b32_e32 v1, 2, v6
	v_lshlrev_b32_e32 v6, 2, v63
	ds_bpermute_b32 v7, v1, v3
	s_and_saveexec_b32 s2, vcc_lo
	s_cbranch_execz .LBB89_14
; %bb.13:
	s_waitcnt lgkmcnt(0)
	v_max_f32_e32 v7, v7, v7
	v_max_f32_e32 v3, v3, v3
	;; [unrolled: 1-line block ×3, first 2 shown]
	ds_write_b32 v6, v3 offset:512
.LBB89_14:
	s_or_b32 exec_lo, exec_lo, s2
	v_cmp_gt_u32_e64 s2, 4, v11
	v_mov_b32_e32 v3, 0xff7fffff
	s_waitcnt lgkmcnt(0)
	v_lshlrev_b32_e32 v7, 2, v11
	s_barrier
	buffer_gl0_inv
	s_and_saveexec_b32 s3, s2
; %bb.15:
	ds_read_b32 v3, v7 offset:512
; %bb.16:
	s_or_b32 exec_lo, exec_lo, s3
	s_waitcnt lgkmcnt(0)
	ds_bpermute_b32 v8, v1, v3
	v_xor_b32_e32 v9, 1, v66
	v_max_f32_e32 v3, v3, v3
	v_cmp_lt_i32_e64 s3, v9, v68
	v_cndmask_b32_e64 v9, v66, v9, s3
	s_lshl_b32 s3, s12, 4
	s_min_i32 s5, s3, s11
	v_lshlrev_b32_e32 v12, 2, v9
	v_cmp_gt_i32_e64 s3, s5, v0
	s_waitcnt lgkmcnt(0)
	v_max_f32_e32 v8, v8, v8
	v_max_f32_e32 v3, v3, v8
	ds_bpermute_b32 v8, v12, v3
	s_waitcnt lgkmcnt(0)
	v_max_f32_e32 v8, v8, v8
	v_max_f32_e32 v3, v3, v8
	v_lshlrev_b32_e32 v8, 2, v67
	ds_bpermute_b32 v9, v8, v3
	v_mov_b32_e32 v8, 0
	v_lshl_add_u32 v3, v0, 2, 0x220
	s_and_saveexec_b32 s15, s3
	s_cbranch_execz .LBB89_20
; %bb.17:
	v_lshl_add_u32 v10, v0, 2, 0x220
	v_mov_b32_e32 v8, 0
	v_mov_b32_e32 v13, v0
	s_mov_b32 s24, 0
	.p2align	6
.LBB89_18:                              ; =>This Inner Loop Header: Depth=1
	ds_read_b32 v14, v10
	v_add_nc_u32_e32 v13, 0x80, v13
	v_cmp_le_i32_e64 s4, s5, v13
	s_or_b32 s24, s4, s24
	s_waitcnt lgkmcnt(0)
	v_sub_f32_e32 v14, v14, v9
	v_mul_f32_e32 v14, 0x3fb8aa3b, v14
	v_exp_f32_e32 v14, v14
	ds_write_b32 v10, v14
	v_add_f32_e32 v8, v8, v14
	v_add_nc_u32_e32 v10, 0x200, v10
	s_andn2_b32 exec_lo, exec_lo, s24
	s_cbranch_execnz .LBB89_18
; %bb.19:
	s_or_b32 exec_lo, exec_lo, s24
.LBB89_20:
	s_or_b32 exec_lo, exec_lo, s15
	ds_bpermute_b32 v2, v2, v8
	s_waitcnt lgkmcnt(0)
	v_add_f32_e32 v2, v8, v2
	ds_bpermute_b32 v4, v4, v2
	s_waitcnt lgkmcnt(0)
	v_add_f32_e32 v2, v2, v4
	;; [unrolled: 3-line block ×5, first 2 shown]
	s_and_saveexec_b32 s4, vcc_lo
; %bb.21:
	ds_write_b32 v6, v2 offset:528
; %bb.22:
	s_or_b32 exec_lo, exec_lo, s4
	s_waitcnt lgkmcnt(0)
	s_barrier
	buffer_gl0_inv
	s_and_saveexec_b32 s4, s2
; %bb.23:
	ds_read_b32 v2, v7 offset:528
; %bb.24:
	s_or_b32 exec_lo, exec_lo, s4
	s_waitcnt lgkmcnt(0)
	ds_bpermute_b32 v1, v1, v2
	v_lshlrev_b32_e32 v4, 2, v66
	s_waitcnt lgkmcnt(0)
	v_add_f32_e32 v1, v2, v1
	ds_bpermute_b32 v2, v12, v1
	s_waitcnt lgkmcnt(0)
	v_add_f32_e32 v1, v1, v2
	v_and_b32_e32 v2, 0xffffff80, v4
	ds_bpermute_b32 v1, v2, v1
	s_and_saveexec_b32 s2, s3
	s_cbranch_execz .LBB89_27
; %bb.25:
	s_waitcnt lgkmcnt(0)
	v_add_f32_e32 v1, 0x358637bd, v1
	s_mov_b32 s3, 0
	v_div_scale_f32 v2, null, v1, v1, 1.0
	v_div_scale_f32 v6, vcc_lo, 1.0, v1, 1.0
	v_rcp_f32_e32 v4, v2
	v_fma_f32 v5, -v2, v4, 1.0
	v_fmac_f32_e32 v4, v5, v4
	v_mul_f32_e32 v5, v6, v4
	v_fma_f32 v7, -v2, v5, v6
	v_fmac_f32_e32 v5, v7, v4
	v_fma_f32 v2, -v2, v5, v6
	v_div_fmas_f32 v2, v2, v4, v5
	v_div_fixup_f32 v1, v2, v1, 1.0
	v_mov_b32_e32 v2, v0
.LBB89_26:                              ; =>This Inner Loop Header: Depth=1
	ds_read_b32 v4, v3
	v_add_nc_u32_e32 v2, 0x80, v2
	v_cmp_le_i32_e32 vcc_lo, s5, v2
	s_or_b32 s3, vcc_lo, s3
	s_waitcnt lgkmcnt(0)
	v_mul_f32_e32 v4, v1, v4
	ds_write_b32 v3, v4
	v_add_nc_u32_e32 v3, 0x200, v3
	s_andn2_b32 exec_lo, exec_lo, s3
	s_cbranch_execnz .LBB89_26
.LBB89_27:
	s_or_b32 exec_lo, exec_lo, s2
	v_mov_b32_e32 v27, 0
	v_mov_b32_e32 v28, 0
	v_mov_b32_e32 v26, 0
	v_mov_b32_e32 v25, 0
	v_mov_b32_e32 v24, 0
	v_mov_b32_e32 v23, 0
	v_mov_b32_e32 v22, 0
	v_mov_b32_e32 v21, 0
	v_mov_b32_e32 v20, 0
	v_mov_b32_e32 v19, 0
	v_mov_b32_e32 v18, 0
	v_mov_b32_e32 v17, 0
	v_mov_b32_e32 v16, 0
	v_mov_b32_e32 v15, 0
	v_mov_b32_e32 v14, 0
	v_mov_b32_e32 v13, 0
	s_waitcnt lgkmcnt(0)
	s_barrier
	buffer_gl0_inv
	s_and_saveexec_b32 s3, s1
	s_cbranch_execz .LBB89_63
; %bb.28:
	v_lshlrev_b32_e32 v2, 4, v0
	s_ashr_i32 s15, s14, 31
	v_and_b32_e32 v1, 8, v64
	v_lshlrev_b32_e32 v4, 4, v63
	s_lshl_b64 s[4:5], s[14:15], 1
	v_and_b32_e32 v2, 0x1f0, v2
	v_lshlrev_b32_e32 v3, 5, v62
	s_add_u32 s1, s22, s4
	v_or3_b32 v32, v4, v1, 7
	v_and_b32_e32 v1, 0x7c, v65
	s_addc_u32 s2, s23, s5
	v_add_co_u32 v30, s1, s1, v2
	s_lshl_b64 s[14:15], s[20:21], 2
	s_add_i32 s4, s12, -1
	v_lshl_or_b32 v3, v63, 6, v3
	v_add_co_ci_u32_e64 v31, null, s2, 0, s1
	s_add_u32 s1, s18, s14
	s_addc_u32 s2, s19, s15
	v_add_co_u32 v5, s1, s1, v1
	v_mov_b32_e32 v29, 0
	v_add_nc_u32_e32 v33, 0x220, v3
	v_add_co_ci_u32_e64 v6, null, s2, 0, s1
	v_mov_b32_e32 v13, 0
	v_mov_b32_e32 v14, 0
	v_mov_b32_e32 v15, 0
	v_mov_b32_e32 v16, 0
	v_mov_b32_e32 v17, 0
	v_mov_b32_e32 v18, 0
	v_mov_b32_e32 v19, 0
	v_mov_b32_e32 v20, 0
	v_mov_b32_e32 v21, 0
	v_mov_b32_e32 v22, 0
	v_mov_b32_e32 v23, 0
	v_mov_b32_e32 v24, 0
	v_mov_b32_e32 v25, 0
	v_mov_b32_e32 v26, 0
	v_mov_b32_e32 v28, 0
	v_mov_b32_e32 v27, 0
	v_mov_b32_e32 v34, v63
	s_mov_b32 s5, 0
	s_branch .LBB89_30
.LBB89_29:                              ;   in Loop: Header=BB89_30 Depth=1
	s_or_b32 exec_lo, exec_lo, s2
	v_add_f32_e32 v9, v9, v10
	v_add_f32_e32 v35, v76, v77
	v_add_f32_e32 v10, v69, v70
	v_lshlrev_b32_e32 v8, 16, v8
	v_lshlrev_b32_e32 v7, 16, v7
	v_add_f32_e32 v17, v17, v9
	v_add_f32_e32 v9, v67, v68
	;; [unrolled: 1-line block ×7, first 2 shown]
	v_lshlrev_b32_e32 v9, 16, v75
	v_add_f32_e32 v10, v65, v66
	v_add_f32_e32 v35, v60, v64
	v_and_or_b32 v2, 0xffff, v2, v8
	v_and_or_b32 v3, 0xffff, v3, v7
	;; [unrolled: 1-line block ×3, first 2 shown]
	;;#ASMSTART
	v_pk_mul_f16 v1, v38, v1;

	;;#ASMEND
	;;#ASMSTART
	v_pk_mul_f16 v2, v37, v2;

	;;#ASMEND
	;; [unrolled: 4-line block ×4, first 2 shown]
	;;#ASMSTART
	v_pk_add_f16 v1, v1, v2;

	;;#ASMEND
	;;#ASMSTART
	v_pk_add_f16 v1, v1, v3;

	;;#ASMEND
	;; [unrolled: 4-line block ×3, first 2 shown]
	v_and_b32_e32 v4, 0xffff, v1
	v_add_nc_u32_e32 v34, 4, v34
	v_lshrrev_b32_e32 v7, 16, v1
	;;#ASMSTART
	v_cvt_f32_f16 v4, v4;
	;;#ASMEND
	v_add_f32_e32 v15, v15, v36
	v_add_f32_e32 v16, v16, v41
	;; [unrolled: 1-line block ×11, first 2 shown]
	;;#ASMSTART
	v_cvt_f32_f16 v7, v7;
	;;#ASMEND
	v_add_f32_e32 v4, v4, v7
	v_cmp_le_i32_e32 vcc_lo, s12, v34
	v_add_co_u32 v5, s1, v5, 16
	v_add_f32_e32 v22, v22, v36
	v_add_f32_e32 v23, v23, v41
	;; [unrolled: 1-line block ×8, first 2 shown]
	v_add_nc_u32_e32 v32, 64, v32
	v_add_nc_u32_e32 v33, 0x100, v33
	v_add_co_ci_u32_e64 v6, null, 0, v6, s1
	s_or_b32 s5, vcc_lo, s5
	s_andn2_b32 exec_lo, exec_lo, s5
	s_cbranch_execz .LBB89_62
.LBB89_30:                              ; =>This Inner Loop Header: Depth=1
	global_load_dword v7, v[5:6], off
	ds_read2_b64 v[1:4], v33 offset1:1
	ds_read2_b64 v[44:47], v33 offset0:2 offset1:3
	v_cmp_eq_u32_e64 s1, s4, v34
	v_add_nc_u32_e32 v43, -5, v32
	v_add_nc_u32_e32 v41, -4, v32
	;; [unrolled: 1-line block ×4, first 2 shown]
	s_waitcnt lgkmcnt(1)
	;;#ASMSTART
	v_cvt_f16_f32 v38, v1;

	;;#ASMEND
	;;#ASMSTART
	v_cvt_f16_f32 v37, v2;

	;;#ASMEND
	;; [unrolled: 4-line block ×4, first 2 shown]
	s_waitcnt lgkmcnt(0)
	;;#ASMSTART
	v_cvt_f16_f32 v44, v44;

	;;#ASMEND
	;;#ASMSTART
	v_cvt_f16_f32 v10, v45;

	;;#ASMEND
	;; [unrolled: 4-line block ×4, first 2 shown]
	v_add_nc_u32_e32 v45, -7, v32
	v_add_nc_u32_e32 v47, -6, v32
	;; [unrolled: 1-line block ×3, first 2 shown]
	s_waitcnt vmcnt(0)
	v_mad_i64_i32 v[7:8], null, v7, s13, 0
	v_lshlrev_b64 v[7:8], 1, v[7:8]
	v_add_co_u32 v7, vcc_lo, v30, v7
	v_add_co_ci_u32_e64 v8, null, v31, v8, vcc_lo
	global_load_dwordx4 v[1:4], v[7:8], off
	s_waitcnt vmcnt(0)
	v_lshrrev_b32_e32 v50, 16, v1
	v_lshrrev_b32_e32 v49, 16, v2
	;; [unrolled: 1-line block ×3, first 2 shown]
	s_and_saveexec_b32 s14, s1
	s_cbranch_execz .LBB89_32
; %bb.31:                               ;   in Loop: Header=BB89_30 Depth=1
	v_cmp_gt_i32_e32 vcc_lo, s11, v45
	v_and_b32_e32 v51, 0xffff0000, v4
	v_cmp_gt_i32_e64 s2, s11, v43
	v_cndmask_b32_e32 v1, 0, v1, vcc_lo
	v_cmp_gt_i32_e32 vcc_lo, s11, v47
	v_cndmask_b32_e64 v2, 0, v2, s2
	v_cmp_gt_i32_e64 s2, s11, v41
	v_cndmask_b32_e32 v50, 0, v50, vcc_lo
	v_cmp_gt_i32_e32 vcc_lo, s11, v46
	v_cndmask_b32_e64 v49, 0, v49, s2
	v_cndmask_b32_sdwa v4, v29, v4, vcc_lo dst_sel:DWORD dst_unused:UNUSED_PAD src0_sel:DWORD src1_sel:WORD_0
	v_cmp_gt_i32_e32 vcc_lo, s11, v32
	v_cndmask_b32_e32 v51, 0, v51, vcc_lo
	v_cmp_gt_i32_e32 vcc_lo, s11, v36
	v_or_b32_e32 v4, v4, v51
	v_cndmask_b32_e32 v3, 0, v3, vcc_lo
	v_cmp_gt_i32_e32 vcc_lo, s11, v35
	v_cndmask_b32_e32 v48, 0, v48, vcc_lo
.LBB89_32:                              ;   in Loop: Header=BB89_30 Depth=1
	s_or_b32 exec_lo, exec_lo, s14
	v_and_b32_e32 v38, 0xffff, v38
	v_and_b32_e32 v42, 0xffff, v42
	v_lshlrev_b32_e32 v50, 16, v50
	v_lshlrev_b32_e32 v48, 16, v48
	v_and_b32_e32 v44, 0xffff, v44
	v_lshl_or_b32 v38, v37, 16, v38
	v_lshl_or_b32 v37, v39, 16, v42
	v_lshlrev_b32_e32 v42, 16, v49
	v_and_b32_e32 v40, 0xffff, v40
	v_and_or_b32 v1, 0xffff, v1, v50
	v_and_or_b32 v3, 0xffff, v3, v48
	;;#ASMSTART
	v_pk_mul_f16 v1, v38, v1;

	;;#ASMEND
	v_and_or_b32 v2, 0xffff, v2, v42
	v_lshl_or_b32 v39, v10, 16, v44
	v_lshl_or_b32 v40, v9, 16, v40
	;;#ASMSTART
	v_pk_mul_f16 v2, v37, v2;

	;;#ASMEND
	;;#ASMSTART
	v_pk_mul_f16 v3, v39, v3;

	;;#ASMEND
	;; [unrolled: 4-line block ×3, first 2 shown]
	;;#ASMSTART
	v_pk_add_f16 v1, v1, v2;

	;;#ASMEND
	;;#ASMSTART
	v_pk_add_f16 v1, v1, v3;

	;;#ASMEND
	;; [unrolled: 4-line block ×3, first 2 shown]
	v_and_b32_e32 v2, 0xffff, v1
	v_lshrrev_b32_e32 v1, 16, v1
	;;#ASMSTART
	v_cvt_f32_f16 v42, v2;
	;;#ASMEND
	;;#ASMSTART
	v_cvt_f32_f16 v44, v1;
	;;#ASMEND
	global_load_dwordx4 v[1:4], v[7:8], off offset:512
	s_waitcnt vmcnt(0)
	v_lshrrev_b32_e32 v48, 16, v1
	v_lshrrev_b32_e32 v10, 16, v2
	;; [unrolled: 1-line block ×3, first 2 shown]
	s_and_saveexec_b32 s14, s1
	s_cbranch_execz .LBB89_34
; %bb.33:                               ;   in Loop: Header=BB89_30 Depth=1
	v_cmp_gt_i32_e32 vcc_lo, s11, v45
	v_and_b32_e32 v49, 0xffff0000, v4
	v_cmp_gt_i32_e64 s2, s11, v43
	v_cndmask_b32_e32 v1, 0, v1, vcc_lo
	v_cmp_gt_i32_e32 vcc_lo, s11, v47
	v_cndmask_b32_e64 v2, 0, v2, s2
	v_cmp_gt_i32_e64 s2, s11, v41
	v_cndmask_b32_e32 v48, 0, v48, vcc_lo
	v_cmp_gt_i32_e32 vcc_lo, s11, v46
	v_cndmask_b32_e64 v10, 0, v10, s2
	v_cndmask_b32_sdwa v4, v29, v4, vcc_lo dst_sel:DWORD dst_unused:UNUSED_PAD src0_sel:DWORD src1_sel:WORD_0
	v_cmp_gt_i32_e32 vcc_lo, s11, v32
	v_cndmask_b32_e32 v49, 0, v49, vcc_lo
	v_cmp_gt_i32_e32 vcc_lo, s11, v36
	v_or_b32_e32 v4, v4, v49
	v_cndmask_b32_e32 v3, 0, v3, vcc_lo
	v_cmp_gt_i32_e32 vcc_lo, s11, v35
	v_cndmask_b32_e32 v9, 0, v9, vcc_lo
.LBB89_34:                              ;   in Loop: Header=BB89_30 Depth=1
	s_or_b32 exec_lo, exec_lo, s14
	v_lshlrev_b32_e32 v48, 16, v48
	v_lshlrev_b32_e32 v10, 16, v10
	;; [unrolled: 1-line block ×3, first 2 shown]
	v_and_or_b32 v1, 0xffff, v1, v48
	v_and_or_b32 v2, 0xffff, v2, v10
	;; [unrolled: 1-line block ×3, first 2 shown]
	;;#ASMSTART
	v_pk_mul_f16 v1, v38, v1;

	;;#ASMEND
	;;#ASMSTART
	v_pk_mul_f16 v2, v37, v2;

	;;#ASMEND
	;; [unrolled: 4-line block ×4, first 2 shown]
	;;#ASMSTART
	v_pk_add_f16 v1, v1, v2;

	;;#ASMEND
	;;#ASMSTART
	v_pk_add_f16 v1, v1, v3;

	;;#ASMEND
	;; [unrolled: 4-line block ×3, first 2 shown]
	v_and_b32_e32 v2, 0xffff, v1
	v_lshrrev_b32_e32 v1, 16, v1
	;;#ASMSTART
	v_cvt_f32_f16 v48, v2;
	;;#ASMEND
	;;#ASMSTART
	v_cvt_f32_f16 v49, v1;
	;;#ASMEND
	global_load_dwordx4 v[1:4], v[7:8], off offset:1024
	s_waitcnt vmcnt(0)
	v_lshrrev_b32_e32 v50, 16, v1
	v_lshrrev_b32_e32 v10, 16, v2
	;; [unrolled: 1-line block ×3, first 2 shown]
	s_and_saveexec_b32 s14, s1
	s_cbranch_execz .LBB89_36
; %bb.35:                               ;   in Loop: Header=BB89_30 Depth=1
	v_cmp_gt_i32_e32 vcc_lo, s11, v45
	v_and_b32_e32 v51, 0xffff0000, v4
	v_cmp_gt_i32_e64 s2, s11, v43
	v_cndmask_b32_e32 v1, 0, v1, vcc_lo
	v_cmp_gt_i32_e32 vcc_lo, s11, v47
	v_cndmask_b32_e64 v2, 0, v2, s2
	v_cmp_gt_i32_e64 s2, s11, v41
	v_cndmask_b32_e32 v50, 0, v50, vcc_lo
	v_cmp_gt_i32_e32 vcc_lo, s11, v46
	v_cndmask_b32_e64 v10, 0, v10, s2
	v_cndmask_b32_sdwa v4, v29, v4, vcc_lo dst_sel:DWORD dst_unused:UNUSED_PAD src0_sel:DWORD src1_sel:WORD_0
	v_cmp_gt_i32_e32 vcc_lo, s11, v32
	v_cndmask_b32_e32 v51, 0, v51, vcc_lo
	v_cmp_gt_i32_e32 vcc_lo, s11, v36
	v_or_b32_e32 v4, v4, v51
	v_cndmask_b32_e32 v3, 0, v3, vcc_lo
	v_cmp_gt_i32_e32 vcc_lo, s11, v35
	v_cndmask_b32_e32 v9, 0, v9, vcc_lo
.LBB89_36:                              ;   in Loop: Header=BB89_30 Depth=1
	s_or_b32 exec_lo, exec_lo, s14
	v_lshlrev_b32_e32 v50, 16, v50
	v_lshlrev_b32_e32 v10, 16, v10
	;; [unrolled: 1-line block ×3, first 2 shown]
	v_and_or_b32 v1, 0xffff, v1, v50
	v_and_or_b32 v2, 0xffff, v2, v10
	;; [unrolled: 1-line block ×3, first 2 shown]
	;;#ASMSTART
	v_pk_mul_f16 v1, v38, v1;

	;;#ASMEND
	;;#ASMSTART
	v_pk_mul_f16 v2, v37, v2;

	;;#ASMEND
	;; [unrolled: 4-line block ×4, first 2 shown]
	;;#ASMSTART
	v_pk_add_f16 v1, v1, v2;

	;;#ASMEND
	;;#ASMSTART
	v_pk_add_f16 v1, v1, v3;

	;;#ASMEND
	;; [unrolled: 4-line block ×3, first 2 shown]
	v_and_b32_e32 v2, 0xffff, v1
	v_lshrrev_b32_e32 v1, 16, v1
	;;#ASMSTART
	v_cvt_f32_f16 v50, v2;
	;;#ASMEND
	;;#ASMSTART
	v_cvt_f32_f16 v51, v1;
	;;#ASMEND
	global_load_dwordx4 v[1:4], v[7:8], off offset:1536
	s_waitcnt vmcnt(0)
	v_lshrrev_b32_e32 v52, 16, v1
	v_lshrrev_b32_e32 v10, 16, v2
	v_lshrrev_b32_e32 v9, 16, v3
	s_and_saveexec_b32 s14, s1
	s_cbranch_execz .LBB89_38
; %bb.37:                               ;   in Loop: Header=BB89_30 Depth=1
	v_cmp_gt_i32_e32 vcc_lo, s11, v45
	v_and_b32_e32 v53, 0xffff0000, v4
	v_cmp_gt_i32_e64 s2, s11, v43
	v_cndmask_b32_e32 v1, 0, v1, vcc_lo
	v_cmp_gt_i32_e32 vcc_lo, s11, v47
	v_cndmask_b32_e64 v2, 0, v2, s2
	v_cmp_gt_i32_e64 s2, s11, v41
	v_cndmask_b32_e32 v52, 0, v52, vcc_lo
	v_cmp_gt_i32_e32 vcc_lo, s11, v46
	v_cndmask_b32_e64 v10, 0, v10, s2
	v_cndmask_b32_sdwa v4, v29, v4, vcc_lo dst_sel:DWORD dst_unused:UNUSED_PAD src0_sel:DWORD src1_sel:WORD_0
	v_cmp_gt_i32_e32 vcc_lo, s11, v32
	v_cndmask_b32_e32 v53, 0, v53, vcc_lo
	v_cmp_gt_i32_e32 vcc_lo, s11, v36
	v_or_b32_e32 v4, v4, v53
	v_cndmask_b32_e32 v3, 0, v3, vcc_lo
	v_cmp_gt_i32_e32 vcc_lo, s11, v35
	v_cndmask_b32_e32 v9, 0, v9, vcc_lo
.LBB89_38:                              ;   in Loop: Header=BB89_30 Depth=1
	s_or_b32 exec_lo, exec_lo, s14
	v_lshlrev_b32_e32 v9, 16, v9
	v_lshlrev_b32_e32 v52, 16, v52
	;; [unrolled: 1-line block ×3, first 2 shown]
	v_and_or_b32 v3, 0xffff, v3, v9
	v_add_co_u32 v9, vcc_lo, 0x800, v7
	v_and_or_b32 v1, 0xffff, v1, v52
	v_and_or_b32 v2, 0xffff, v2, v10
	;;#ASMSTART
	v_pk_mul_f16 v1, v38, v1;

	;;#ASMEND
	v_add_co_ci_u32_e64 v10, null, 0, v8, vcc_lo
	;;#ASMSTART
	v_pk_mul_f16 v2, v37, v2;

	;;#ASMEND
	;;#ASMSTART
	v_pk_mul_f16 v3, v39, v3;

	;;#ASMEND
	;; [unrolled: 4-line block ×3, first 2 shown]
	;;#ASMSTART
	v_pk_add_f16 v1, v1, v2;

	;;#ASMEND
	;;#ASMSTART
	v_pk_add_f16 v1, v1, v3;

	;;#ASMEND
	;; [unrolled: 4-line block ×3, first 2 shown]
	v_lshrrev_b32_e32 v2, 16, v1
	v_and_b32_e32 v1, 0xffff, v1
	;;#ASMSTART
	v_cvt_f32_f16 v52, v1;
	;;#ASMEND
	;;#ASMSTART
	v_cvt_f32_f16 v53, v2;
	;;#ASMEND
	global_load_dwordx4 v[1:4], v[9:10], off
	s_waitcnt vmcnt(0)
	v_lshrrev_b32_e32 v56, 16, v1
	v_lshrrev_b32_e32 v55, 16, v2
	;; [unrolled: 1-line block ×3, first 2 shown]
	s_and_saveexec_b32 s14, s1
	s_cbranch_execz .LBB89_40
; %bb.39:                               ;   in Loop: Header=BB89_30 Depth=1
	v_cmp_gt_i32_e32 vcc_lo, s11, v45
	v_and_b32_e32 v57, 0xffff0000, v4
	v_cmp_gt_i32_e64 s2, s11, v43
	v_cndmask_b32_e32 v1, 0, v1, vcc_lo
	v_cmp_gt_i32_e32 vcc_lo, s11, v47
	v_cndmask_b32_e64 v2, 0, v2, s2
	v_cmp_gt_i32_e64 s2, s11, v41
	v_cndmask_b32_e32 v56, 0, v56, vcc_lo
	v_cmp_gt_i32_e32 vcc_lo, s11, v46
	v_cndmask_b32_e64 v55, 0, v55, s2
	v_cndmask_b32_sdwa v4, v29, v4, vcc_lo dst_sel:DWORD dst_unused:UNUSED_PAD src0_sel:DWORD src1_sel:WORD_0
	v_cmp_gt_i32_e32 vcc_lo, s11, v32
	v_cndmask_b32_e32 v57, 0, v57, vcc_lo
	v_cmp_gt_i32_e32 vcc_lo, s11, v36
	v_or_b32_e32 v4, v4, v57
	v_cndmask_b32_e32 v3, 0, v3, vcc_lo
	v_cmp_gt_i32_e32 vcc_lo, s11, v35
	v_cndmask_b32_e32 v54, 0, v54, vcc_lo
.LBB89_40:                              ;   in Loop: Header=BB89_30 Depth=1
	s_or_b32 exec_lo, exec_lo, s14
	v_lshlrev_b32_e32 v56, 16, v56
	v_lshlrev_b32_e32 v55, 16, v55
	;; [unrolled: 1-line block ×3, first 2 shown]
	v_and_or_b32 v1, 0xffff, v1, v56
	v_and_or_b32 v2, 0xffff, v2, v55
	;; [unrolled: 1-line block ×3, first 2 shown]
	;;#ASMSTART
	v_pk_mul_f16 v1, v38, v1;

	;;#ASMEND
	;;#ASMSTART
	v_pk_mul_f16 v2, v37, v2;

	;;#ASMEND
	;; [unrolled: 4-line block ×4, first 2 shown]
	;;#ASMSTART
	v_pk_add_f16 v1, v1, v2;

	;;#ASMEND
	;;#ASMSTART
	v_pk_add_f16 v1, v1, v3;

	;;#ASMEND
	;;#ASMSTART
	v_pk_add_f16 v1, v1, v4;

	;;#ASMEND
	v_and_b32_e32 v2, 0xffff, v1
	v_lshrrev_b32_e32 v1, 16, v1
	;;#ASMSTART
	v_cvt_f32_f16 v54, v2;
	;;#ASMEND
	;;#ASMSTART
	v_cvt_f32_f16 v55, v1;
	;;#ASMEND
	global_load_dwordx4 v[1:4], v[9:10], off offset:512
	s_waitcnt vmcnt(0)
	v_lshrrev_b32_e32 v58, 16, v1
	v_lshrrev_b32_e32 v57, 16, v2
	;; [unrolled: 1-line block ×3, first 2 shown]
	s_and_saveexec_b32 s14, s1
	s_cbranch_execz .LBB89_42
; %bb.41:                               ;   in Loop: Header=BB89_30 Depth=1
	v_cmp_gt_i32_e32 vcc_lo, s11, v45
	v_and_b32_e32 v59, 0xffff0000, v4
	v_cmp_gt_i32_e64 s2, s11, v43
	v_cndmask_b32_e32 v1, 0, v1, vcc_lo
	v_cmp_gt_i32_e32 vcc_lo, s11, v47
	v_cndmask_b32_e64 v2, 0, v2, s2
	v_cmp_gt_i32_e64 s2, s11, v41
	v_cndmask_b32_e32 v58, 0, v58, vcc_lo
	v_cmp_gt_i32_e32 vcc_lo, s11, v46
	v_cndmask_b32_e64 v57, 0, v57, s2
	v_cndmask_b32_sdwa v4, v29, v4, vcc_lo dst_sel:DWORD dst_unused:UNUSED_PAD src0_sel:DWORD src1_sel:WORD_0
	v_cmp_gt_i32_e32 vcc_lo, s11, v32
	v_cndmask_b32_e32 v59, 0, v59, vcc_lo
	v_cmp_gt_i32_e32 vcc_lo, s11, v36
	v_or_b32_e32 v4, v4, v59
	v_cndmask_b32_e32 v3, 0, v3, vcc_lo
	v_cmp_gt_i32_e32 vcc_lo, s11, v35
	v_cndmask_b32_e32 v56, 0, v56, vcc_lo
.LBB89_42:                              ;   in Loop: Header=BB89_30 Depth=1
	s_or_b32 exec_lo, exec_lo, s14
	v_lshlrev_b32_e32 v58, 16, v58
	v_lshlrev_b32_e32 v57, 16, v57
	;; [unrolled: 1-line block ×3, first 2 shown]
	v_and_or_b32 v1, 0xffff, v1, v58
	v_and_or_b32 v2, 0xffff, v2, v57
	v_and_or_b32 v3, 0xffff, v3, v56
	;;#ASMSTART
	v_pk_mul_f16 v1, v38, v1;

	;;#ASMEND
	;;#ASMSTART
	v_pk_mul_f16 v2, v37, v2;

	;;#ASMEND
	;; [unrolled: 4-line block ×4, first 2 shown]
	;;#ASMSTART
	v_pk_add_f16 v1, v1, v2;

	;;#ASMEND
	;;#ASMSTART
	v_pk_add_f16 v1, v1, v3;

	;;#ASMEND
	;; [unrolled: 4-line block ×3, first 2 shown]
	v_and_b32_e32 v2, 0xffff, v1
	v_lshrrev_b32_e32 v1, 16, v1
	;;#ASMSTART
	v_cvt_f32_f16 v56, v2;
	;;#ASMEND
	;;#ASMSTART
	v_cvt_f32_f16 v57, v1;
	;;#ASMEND
	global_load_dwordx4 v[1:4], v[9:10], off offset:1024
	s_waitcnt vmcnt(0)
	v_lshrrev_b32_e32 v60, 16, v1
	v_lshrrev_b32_e32 v59, 16, v2
	;; [unrolled: 1-line block ×3, first 2 shown]
	s_and_saveexec_b32 s14, s1
	s_cbranch_execz .LBB89_44
; %bb.43:                               ;   in Loop: Header=BB89_30 Depth=1
	v_cmp_gt_i32_e32 vcc_lo, s11, v45
	v_and_b32_e32 v64, 0xffff0000, v4
	v_cmp_gt_i32_e64 s2, s11, v43
	v_cndmask_b32_e32 v1, 0, v1, vcc_lo
	v_cmp_gt_i32_e32 vcc_lo, s11, v47
	v_cndmask_b32_e64 v2, 0, v2, s2
	v_cmp_gt_i32_e64 s2, s11, v41
	v_cndmask_b32_e32 v60, 0, v60, vcc_lo
	v_cmp_gt_i32_e32 vcc_lo, s11, v46
	v_cndmask_b32_e64 v59, 0, v59, s2
	v_cndmask_b32_sdwa v4, v29, v4, vcc_lo dst_sel:DWORD dst_unused:UNUSED_PAD src0_sel:DWORD src1_sel:WORD_0
	v_cmp_gt_i32_e32 vcc_lo, s11, v32
	v_cndmask_b32_e32 v64, 0, v64, vcc_lo
	v_cmp_gt_i32_e32 vcc_lo, s11, v36
	v_or_b32_e32 v4, v4, v64
	v_cndmask_b32_e32 v3, 0, v3, vcc_lo
	v_cmp_gt_i32_e32 vcc_lo, s11, v35
	v_cndmask_b32_e32 v58, 0, v58, vcc_lo
.LBB89_44:                              ;   in Loop: Header=BB89_30 Depth=1
	s_or_b32 exec_lo, exec_lo, s14
	v_lshlrev_b32_e32 v60, 16, v60
	v_lshlrev_b32_e32 v59, 16, v59
	;; [unrolled: 1-line block ×3, first 2 shown]
	v_and_or_b32 v1, 0xffff, v1, v60
	v_and_or_b32 v2, 0xffff, v2, v59
	;; [unrolled: 1-line block ×3, first 2 shown]
	;;#ASMSTART
	v_pk_mul_f16 v1, v38, v1;

	;;#ASMEND
	;;#ASMSTART
	v_pk_mul_f16 v2, v37, v2;

	;;#ASMEND
	;; [unrolled: 4-line block ×4, first 2 shown]
	;;#ASMSTART
	v_pk_add_f16 v1, v1, v2;

	;;#ASMEND
	;;#ASMSTART
	v_pk_add_f16 v1, v1, v3;

	;;#ASMEND
	;;#ASMSTART
	v_pk_add_f16 v1, v1, v4;

	;;#ASMEND
	v_and_b32_e32 v2, 0xffff, v1
	v_lshrrev_b32_e32 v1, 16, v1
	;;#ASMSTART
	v_cvt_f32_f16 v58, v2;
	;;#ASMEND
	;;#ASMSTART
	v_cvt_f32_f16 v59, v1;
	;;#ASMEND
	global_load_dwordx4 v[1:4], v[9:10], off offset:1536
	s_waitcnt vmcnt(0)
	v_lshrrev_b32_e32 v60, 16, v1
	v_lshrrev_b32_e32 v10, 16, v2
	;; [unrolled: 1-line block ×3, first 2 shown]
	s_and_saveexec_b32 s14, s1
	s_cbranch_execz .LBB89_46
; %bb.45:                               ;   in Loop: Header=BB89_30 Depth=1
	v_cmp_gt_i32_e32 vcc_lo, s11, v45
	v_and_b32_e32 v64, 0xffff0000, v4
	v_cmp_gt_i32_e64 s2, s11, v43
	v_cndmask_b32_e32 v1, 0, v1, vcc_lo
	v_cmp_gt_i32_e32 vcc_lo, s11, v47
	v_cndmask_b32_e64 v2, 0, v2, s2
	v_cmp_gt_i32_e64 s2, s11, v41
	v_cndmask_b32_e32 v60, 0, v60, vcc_lo
	v_cmp_gt_i32_e32 vcc_lo, s11, v46
	v_cndmask_b32_e64 v10, 0, v10, s2
	v_cndmask_b32_sdwa v4, v29, v4, vcc_lo dst_sel:DWORD dst_unused:UNUSED_PAD src0_sel:DWORD src1_sel:WORD_0
	v_cmp_gt_i32_e32 vcc_lo, s11, v32
	v_cndmask_b32_e32 v64, 0, v64, vcc_lo
	v_cmp_gt_i32_e32 vcc_lo, s11, v36
	v_or_b32_e32 v4, v4, v64
	v_cndmask_b32_e32 v3, 0, v3, vcc_lo
	v_cmp_gt_i32_e32 vcc_lo, s11, v35
	v_cndmask_b32_e32 v9, 0, v9, vcc_lo
.LBB89_46:                              ;   in Loop: Header=BB89_30 Depth=1
	s_or_b32 exec_lo, exec_lo, s14
	v_lshlrev_b32_e32 v9, 16, v9
	v_lshlrev_b32_e32 v60, 16, v60
	;; [unrolled: 1-line block ×3, first 2 shown]
	v_and_or_b32 v3, 0xffff, v3, v9
	v_add_co_u32 v9, vcc_lo, 0x1000, v7
	v_and_or_b32 v1, 0xffff, v1, v60
	v_and_or_b32 v2, 0xffff, v2, v10
	;;#ASMSTART
	v_pk_mul_f16 v1, v38, v1;

	;;#ASMEND
	v_add_co_ci_u32_e64 v10, null, 0, v8, vcc_lo
	;;#ASMSTART
	v_pk_mul_f16 v2, v37, v2;

	;;#ASMEND
	;;#ASMSTART
	v_pk_mul_f16 v3, v39, v3;

	;;#ASMEND
	;; [unrolled: 4-line block ×3, first 2 shown]
	;;#ASMSTART
	v_pk_add_f16 v1, v1, v2;

	;;#ASMEND
	;;#ASMSTART
	v_pk_add_f16 v1, v1, v3;

	;;#ASMEND
	;;#ASMSTART
	v_pk_add_f16 v1, v1, v4;

	;;#ASMEND
	v_lshrrev_b32_e32 v2, 16, v1
	v_and_b32_e32 v1, 0xffff, v1
	;;#ASMSTART
	v_cvt_f32_f16 v60, v1;
	;;#ASMEND
	;;#ASMSTART
	v_cvt_f32_f16 v64, v2;
	;;#ASMEND
	global_load_dwordx4 v[1:4], v[9:10], off
	s_waitcnt vmcnt(0)
	v_lshrrev_b32_e32 v67, 16, v1
	v_lshrrev_b32_e32 v66, 16, v2
	;; [unrolled: 1-line block ×3, first 2 shown]
	s_and_saveexec_b32 s14, s1
	s_cbranch_execz .LBB89_48
; %bb.47:                               ;   in Loop: Header=BB89_30 Depth=1
	v_cmp_gt_i32_e32 vcc_lo, s11, v45
	v_and_b32_e32 v68, 0xffff0000, v4
	v_cmp_gt_i32_e64 s2, s11, v43
	v_cndmask_b32_e32 v1, 0, v1, vcc_lo
	v_cmp_gt_i32_e32 vcc_lo, s11, v47
	v_cndmask_b32_e64 v2, 0, v2, s2
	v_cmp_gt_i32_e64 s2, s11, v41
	v_cndmask_b32_e32 v67, 0, v67, vcc_lo
	v_cmp_gt_i32_e32 vcc_lo, s11, v46
	v_cndmask_b32_e64 v66, 0, v66, s2
	v_cndmask_b32_sdwa v4, v29, v4, vcc_lo dst_sel:DWORD dst_unused:UNUSED_PAD src0_sel:DWORD src1_sel:WORD_0
	v_cmp_gt_i32_e32 vcc_lo, s11, v32
	v_cndmask_b32_e32 v68, 0, v68, vcc_lo
	v_cmp_gt_i32_e32 vcc_lo, s11, v36
	v_or_b32_e32 v4, v4, v68
	v_cndmask_b32_e32 v3, 0, v3, vcc_lo
	v_cmp_gt_i32_e32 vcc_lo, s11, v35
	v_cndmask_b32_e32 v65, 0, v65, vcc_lo
.LBB89_48:                              ;   in Loop: Header=BB89_30 Depth=1
	s_or_b32 exec_lo, exec_lo, s14
	v_lshlrev_b32_e32 v67, 16, v67
	v_lshlrev_b32_e32 v66, 16, v66
	v_lshlrev_b32_e32 v65, 16, v65
	v_and_or_b32 v1, 0xffff, v1, v67
	v_and_or_b32 v2, 0xffff, v2, v66
	;; [unrolled: 1-line block ×3, first 2 shown]
	;;#ASMSTART
	v_pk_mul_f16 v1, v38, v1;

	;;#ASMEND
	;;#ASMSTART
	v_pk_mul_f16 v2, v37, v2;

	;;#ASMEND
	;; [unrolled: 4-line block ×4, first 2 shown]
	;;#ASMSTART
	v_pk_add_f16 v1, v1, v2;

	;;#ASMEND
	;;#ASMSTART
	v_pk_add_f16 v1, v1, v3;

	;;#ASMEND
	;; [unrolled: 4-line block ×3, first 2 shown]
	v_and_b32_e32 v2, 0xffff, v1
	v_lshrrev_b32_e32 v1, 16, v1
	;;#ASMSTART
	v_cvt_f32_f16 v65, v2;
	;;#ASMEND
	;;#ASMSTART
	v_cvt_f32_f16 v66, v1;
	;;#ASMEND
	global_load_dwordx4 v[1:4], v[9:10], off offset:512
	s_waitcnt vmcnt(0)
	v_lshrrev_b32_e32 v69, 16, v1
	v_lshrrev_b32_e32 v68, 16, v2
	;; [unrolled: 1-line block ×3, first 2 shown]
	s_and_saveexec_b32 s14, s1
	s_cbranch_execz .LBB89_50
; %bb.49:                               ;   in Loop: Header=BB89_30 Depth=1
	v_cmp_gt_i32_e32 vcc_lo, s11, v45
	v_and_b32_e32 v70, 0xffff0000, v4
	v_cmp_gt_i32_e64 s2, s11, v43
	v_cndmask_b32_e32 v1, 0, v1, vcc_lo
	v_cmp_gt_i32_e32 vcc_lo, s11, v47
	v_cndmask_b32_e64 v2, 0, v2, s2
	v_cmp_gt_i32_e64 s2, s11, v41
	v_cndmask_b32_e32 v69, 0, v69, vcc_lo
	v_cmp_gt_i32_e32 vcc_lo, s11, v46
	v_cndmask_b32_e64 v68, 0, v68, s2
	v_cndmask_b32_sdwa v4, v29, v4, vcc_lo dst_sel:DWORD dst_unused:UNUSED_PAD src0_sel:DWORD src1_sel:WORD_0
	v_cmp_gt_i32_e32 vcc_lo, s11, v32
	v_cndmask_b32_e32 v70, 0, v70, vcc_lo
	v_cmp_gt_i32_e32 vcc_lo, s11, v36
	v_or_b32_e32 v4, v4, v70
	v_cndmask_b32_e32 v3, 0, v3, vcc_lo
	v_cmp_gt_i32_e32 vcc_lo, s11, v35
	v_cndmask_b32_e32 v67, 0, v67, vcc_lo
.LBB89_50:                              ;   in Loop: Header=BB89_30 Depth=1
	s_or_b32 exec_lo, exec_lo, s14
	v_lshlrev_b32_e32 v69, 16, v69
	v_lshlrev_b32_e32 v68, 16, v68
	;; [unrolled: 1-line block ×3, first 2 shown]
	v_and_or_b32 v1, 0xffff, v1, v69
	v_and_or_b32 v2, 0xffff, v2, v68
	;; [unrolled: 1-line block ×3, first 2 shown]
	;;#ASMSTART
	v_pk_mul_f16 v1, v38, v1;

	;;#ASMEND
	;;#ASMSTART
	v_pk_mul_f16 v2, v37, v2;

	;;#ASMEND
	;; [unrolled: 4-line block ×4, first 2 shown]
	;;#ASMSTART
	v_pk_add_f16 v1, v1, v2;

	;;#ASMEND
	;;#ASMSTART
	v_pk_add_f16 v1, v1, v3;

	;;#ASMEND
	;; [unrolled: 4-line block ×3, first 2 shown]
	v_and_b32_e32 v2, 0xffff, v1
	v_lshrrev_b32_e32 v1, 16, v1
	;;#ASMSTART
	v_cvt_f32_f16 v67, v2;
	;;#ASMEND
	;;#ASMSTART
	v_cvt_f32_f16 v68, v1;
	;;#ASMEND
	global_load_dwordx4 v[1:4], v[9:10], off offset:1024
	s_waitcnt vmcnt(0)
	v_lshrrev_b32_e32 v71, 16, v1
	v_lshrrev_b32_e32 v70, 16, v2
	;; [unrolled: 1-line block ×3, first 2 shown]
	s_and_saveexec_b32 s14, s1
	s_cbranch_execz .LBB89_52
; %bb.51:                               ;   in Loop: Header=BB89_30 Depth=1
	v_cmp_gt_i32_e32 vcc_lo, s11, v45
	v_and_b32_e32 v72, 0xffff0000, v4
	v_cmp_gt_i32_e64 s2, s11, v43
	v_cndmask_b32_e32 v1, 0, v1, vcc_lo
	v_cmp_gt_i32_e32 vcc_lo, s11, v47
	v_cndmask_b32_e64 v2, 0, v2, s2
	v_cmp_gt_i32_e64 s2, s11, v41
	v_cndmask_b32_e32 v71, 0, v71, vcc_lo
	v_cmp_gt_i32_e32 vcc_lo, s11, v46
	v_cndmask_b32_e64 v70, 0, v70, s2
	v_cndmask_b32_sdwa v4, v29, v4, vcc_lo dst_sel:DWORD dst_unused:UNUSED_PAD src0_sel:DWORD src1_sel:WORD_0
	v_cmp_gt_i32_e32 vcc_lo, s11, v32
	v_cndmask_b32_e32 v72, 0, v72, vcc_lo
	v_cmp_gt_i32_e32 vcc_lo, s11, v36
	v_or_b32_e32 v4, v4, v72
	v_cndmask_b32_e32 v3, 0, v3, vcc_lo
	v_cmp_gt_i32_e32 vcc_lo, s11, v35
	v_cndmask_b32_e32 v69, 0, v69, vcc_lo
.LBB89_52:                              ;   in Loop: Header=BB89_30 Depth=1
	s_or_b32 exec_lo, exec_lo, s14
	v_lshlrev_b32_e32 v71, 16, v71
	v_lshlrev_b32_e32 v70, 16, v70
	;; [unrolled: 1-line block ×3, first 2 shown]
	v_and_or_b32 v1, 0xffff, v1, v71
	v_and_or_b32 v2, 0xffff, v2, v70
	;; [unrolled: 1-line block ×3, first 2 shown]
	;;#ASMSTART
	v_pk_mul_f16 v1, v38, v1;

	;;#ASMEND
	;;#ASMSTART
	v_pk_mul_f16 v2, v37, v2;

	;;#ASMEND
	;; [unrolled: 4-line block ×4, first 2 shown]
	;;#ASMSTART
	v_pk_add_f16 v1, v1, v2;

	;;#ASMEND
	;;#ASMSTART
	v_pk_add_f16 v1, v1, v3;

	;;#ASMEND
	;; [unrolled: 4-line block ×3, first 2 shown]
	v_and_b32_e32 v2, 0xffff, v1
	v_lshrrev_b32_e32 v1, 16, v1
	;;#ASMSTART
	v_cvt_f32_f16 v69, v2;
	;;#ASMEND
	;;#ASMSTART
	v_cvt_f32_f16 v70, v1;
	;;#ASMEND
	global_load_dwordx4 v[1:4], v[9:10], off offset:1536
	s_waitcnt vmcnt(0)
	v_lshrrev_b32_e32 v71, 16, v1
	v_lshrrev_b32_e32 v10, 16, v2
	;; [unrolled: 1-line block ×3, first 2 shown]
	s_and_saveexec_b32 s14, s1
	s_cbranch_execz .LBB89_54
; %bb.53:                               ;   in Loop: Header=BB89_30 Depth=1
	v_cmp_gt_i32_e32 vcc_lo, s11, v45
	v_and_b32_e32 v72, 0xffff0000, v4
	v_cmp_gt_i32_e64 s2, s11, v43
	v_cndmask_b32_e32 v1, 0, v1, vcc_lo
	v_cmp_gt_i32_e32 vcc_lo, s11, v47
	v_cndmask_b32_e64 v2, 0, v2, s2
	v_cmp_gt_i32_e64 s2, s11, v41
	v_cndmask_b32_e32 v71, 0, v71, vcc_lo
	v_cmp_gt_i32_e32 vcc_lo, s11, v46
	v_cndmask_b32_e64 v10, 0, v10, s2
	v_cndmask_b32_sdwa v4, v29, v4, vcc_lo dst_sel:DWORD dst_unused:UNUSED_PAD src0_sel:DWORD src1_sel:WORD_0
	v_cmp_gt_i32_e32 vcc_lo, s11, v32
	v_cndmask_b32_e32 v72, 0, v72, vcc_lo
	v_cmp_gt_i32_e32 vcc_lo, s11, v36
	v_or_b32_e32 v4, v4, v72
	v_cndmask_b32_e32 v3, 0, v3, vcc_lo
	v_cmp_gt_i32_e32 vcc_lo, s11, v35
	v_cndmask_b32_e32 v9, 0, v9, vcc_lo
.LBB89_54:                              ;   in Loop: Header=BB89_30 Depth=1
	s_or_b32 exec_lo, exec_lo, s14
	v_lshlrev_b32_e32 v71, 16, v71
	v_lshlrev_b32_e32 v10, 16, v10
	;; [unrolled: 1-line block ×3, first 2 shown]
	v_add_co_u32 v7, vcc_lo, 0x1800, v7
	v_and_or_b32 v1, 0xffff, v1, v71
	v_and_or_b32 v2, 0xffff, v2, v10
	;; [unrolled: 1-line block ×3, first 2 shown]
	;;#ASMSTART
	v_pk_mul_f16 v1, v38, v1;

	;;#ASMEND
	v_add_co_ci_u32_e64 v8, null, 0, v8, vcc_lo
	;;#ASMSTART
	v_pk_mul_f16 v2, v37, v2;

	;;#ASMEND
	;;#ASMSTART
	v_pk_mul_f16 v3, v39, v3;

	;;#ASMEND
	;; [unrolled: 4-line block ×3, first 2 shown]
	;;#ASMSTART
	v_pk_add_f16 v1, v1, v2;

	;;#ASMEND
	;;#ASMSTART
	v_pk_add_f16 v1, v1, v3;

	;;#ASMEND
	;; [unrolled: 4-line block ×3, first 2 shown]
	v_lshrrev_b32_e32 v2, 16, v1
	v_and_b32_e32 v1, 0xffff, v1
	;;#ASMSTART
	v_cvt_f32_f16 v9, v1;
	;;#ASMEND
	;;#ASMSTART
	v_cvt_f32_f16 v10, v2;
	;;#ASMEND
	global_load_dwordx4 v[1:4], v[7:8], off
	s_waitcnt vmcnt(0)
	v_lshrrev_b32_e32 v73, 16, v1
	v_lshrrev_b32_e32 v72, 16, v2
	;; [unrolled: 1-line block ×3, first 2 shown]
	s_and_saveexec_b32 s14, s1
	s_cbranch_execz .LBB89_56
; %bb.55:                               ;   in Loop: Header=BB89_30 Depth=1
	v_cmp_gt_i32_e32 vcc_lo, s11, v45
	v_and_b32_e32 v74, 0xffff0000, v4
	v_cmp_gt_i32_e64 s2, s11, v43
	v_cndmask_b32_e32 v1, 0, v1, vcc_lo
	v_cmp_gt_i32_e32 vcc_lo, s11, v47
	v_cndmask_b32_e64 v2, 0, v2, s2
	v_cmp_gt_i32_e64 s2, s11, v41
	v_cndmask_b32_e32 v73, 0, v73, vcc_lo
	v_cmp_gt_i32_e32 vcc_lo, s11, v46
	v_cndmask_b32_e64 v72, 0, v72, s2
	v_cndmask_b32_sdwa v4, v29, v4, vcc_lo dst_sel:DWORD dst_unused:UNUSED_PAD src0_sel:DWORD src1_sel:WORD_0
	v_cmp_gt_i32_e32 vcc_lo, s11, v32
	v_cndmask_b32_e32 v74, 0, v74, vcc_lo
	v_cmp_gt_i32_e32 vcc_lo, s11, v36
	v_or_b32_e32 v4, v4, v74
	v_cndmask_b32_e32 v3, 0, v3, vcc_lo
	v_cmp_gt_i32_e32 vcc_lo, s11, v35
	v_cndmask_b32_e32 v71, 0, v71, vcc_lo
.LBB89_56:                              ;   in Loop: Header=BB89_30 Depth=1
	s_or_b32 exec_lo, exec_lo, s14
	v_lshlrev_b32_e32 v73, 16, v73
	v_lshlrev_b32_e32 v72, 16, v72
	;; [unrolled: 1-line block ×3, first 2 shown]
	v_and_or_b32 v1, 0xffff, v1, v73
	v_and_or_b32 v2, 0xffff, v2, v72
	;; [unrolled: 1-line block ×3, first 2 shown]
	;;#ASMSTART
	v_pk_mul_f16 v1, v38, v1;

	;;#ASMEND
	;;#ASMSTART
	v_pk_mul_f16 v2, v37, v2;

	;;#ASMEND
	;; [unrolled: 4-line block ×4, first 2 shown]
	;;#ASMSTART
	v_pk_add_f16 v1, v1, v2;

	;;#ASMEND
	;;#ASMSTART
	v_pk_add_f16 v1, v1, v3;

	;;#ASMEND
	;; [unrolled: 4-line block ×3, first 2 shown]
	v_and_b32_e32 v2, 0xffff, v1
	v_lshrrev_b32_e32 v1, 16, v1
	;;#ASMSTART
	v_cvt_f32_f16 v71, v2;
	;;#ASMEND
	;;#ASMSTART
	v_cvt_f32_f16 v72, v1;
	;;#ASMEND
	global_load_dwordx4 v[1:4], v[7:8], off offset:512
	s_waitcnt vmcnt(0)
	v_lshrrev_b32_e32 v75, 16, v1
	v_lshrrev_b32_e32 v74, 16, v2
	;; [unrolled: 1-line block ×3, first 2 shown]
	s_and_saveexec_b32 s14, s1
	s_cbranch_execz .LBB89_58
; %bb.57:                               ;   in Loop: Header=BB89_30 Depth=1
	v_cmp_gt_i32_e32 vcc_lo, s11, v45
	v_and_b32_e32 v76, 0xffff0000, v4
	v_cmp_gt_i32_e64 s2, s11, v43
	v_cndmask_b32_e32 v1, 0, v1, vcc_lo
	v_cmp_gt_i32_e32 vcc_lo, s11, v47
	v_cndmask_b32_e64 v2, 0, v2, s2
	v_cmp_gt_i32_e64 s2, s11, v41
	v_cndmask_b32_e32 v75, 0, v75, vcc_lo
	v_cmp_gt_i32_e32 vcc_lo, s11, v46
	v_cndmask_b32_e64 v74, 0, v74, s2
	v_cndmask_b32_sdwa v4, v29, v4, vcc_lo dst_sel:DWORD dst_unused:UNUSED_PAD src0_sel:DWORD src1_sel:WORD_0
	v_cmp_gt_i32_e32 vcc_lo, s11, v32
	v_cndmask_b32_e32 v76, 0, v76, vcc_lo
	v_cmp_gt_i32_e32 vcc_lo, s11, v36
	v_or_b32_e32 v4, v4, v76
	v_cndmask_b32_e32 v3, 0, v3, vcc_lo
	v_cmp_gt_i32_e32 vcc_lo, s11, v35
	v_cndmask_b32_e32 v73, 0, v73, vcc_lo
.LBB89_58:                              ;   in Loop: Header=BB89_30 Depth=1
	s_or_b32 exec_lo, exec_lo, s14
	v_lshlrev_b32_e32 v75, 16, v75
	v_lshlrev_b32_e32 v74, 16, v74
	;; [unrolled: 1-line block ×3, first 2 shown]
	v_and_or_b32 v1, 0xffff, v1, v75
	v_and_or_b32 v2, 0xffff, v2, v74
	v_and_or_b32 v3, 0xffff, v3, v73
	;;#ASMSTART
	v_pk_mul_f16 v1, v38, v1;

	;;#ASMEND
	;;#ASMSTART
	v_pk_mul_f16 v2, v37, v2;

	;;#ASMEND
	;; [unrolled: 4-line block ×4, first 2 shown]
	;;#ASMSTART
	v_pk_add_f16 v1, v1, v2;

	;;#ASMEND
	;;#ASMSTART
	v_pk_add_f16 v1, v1, v3;

	;;#ASMEND
	;; [unrolled: 4-line block ×3, first 2 shown]
	v_and_b32_e32 v2, 0xffff, v1
	v_lshrrev_b32_e32 v1, 16, v1
	;;#ASMSTART
	v_cvt_f32_f16 v73, v2;
	;;#ASMEND
	;;#ASMSTART
	v_cvt_f32_f16 v74, v1;
	;;#ASMEND
	global_load_dwordx4 v[1:4], v[7:8], off offset:1024
	s_waitcnt vmcnt(0)
	v_lshrrev_b32_e32 v77, 16, v1
	v_lshrrev_b32_e32 v76, 16, v2
	;; [unrolled: 1-line block ×3, first 2 shown]
	s_and_saveexec_b32 s14, s1
	s_cbranch_execz .LBB89_60
; %bb.59:                               ;   in Loop: Header=BB89_30 Depth=1
	v_cmp_gt_i32_e32 vcc_lo, s11, v45
	v_and_b32_e32 v78, 0xffff0000, v4
	v_cmp_gt_i32_e64 s2, s11, v43
	v_cndmask_b32_e32 v1, 0, v1, vcc_lo
	v_cmp_gt_i32_e32 vcc_lo, s11, v47
	v_cndmask_b32_e64 v2, 0, v2, s2
	v_cmp_gt_i32_e64 s2, s11, v41
	v_cndmask_b32_e32 v77, 0, v77, vcc_lo
	v_cmp_gt_i32_e32 vcc_lo, s11, v46
	v_cndmask_b32_e64 v76, 0, v76, s2
	v_cndmask_b32_sdwa v4, v29, v4, vcc_lo dst_sel:DWORD dst_unused:UNUSED_PAD src0_sel:DWORD src1_sel:WORD_0
	v_cmp_gt_i32_e32 vcc_lo, s11, v32
	v_cndmask_b32_e32 v78, 0, v78, vcc_lo
	v_cmp_gt_i32_e32 vcc_lo, s11, v36
	v_or_b32_e32 v4, v4, v78
	v_cndmask_b32_e32 v3, 0, v3, vcc_lo
	v_cmp_gt_i32_e32 vcc_lo, s11, v35
	v_cndmask_b32_e32 v75, 0, v75, vcc_lo
.LBB89_60:                              ;   in Loop: Header=BB89_30 Depth=1
	s_or_b32 exec_lo, exec_lo, s14
	v_lshlrev_b32_e32 v77, 16, v77
	v_lshlrev_b32_e32 v76, 16, v76
	;; [unrolled: 1-line block ×3, first 2 shown]
	v_and_or_b32 v1, 0xffff, v1, v77
	v_and_or_b32 v2, 0xffff, v2, v76
	;; [unrolled: 1-line block ×3, first 2 shown]
	;;#ASMSTART
	v_pk_mul_f16 v1, v38, v1;

	;;#ASMEND
	;;#ASMSTART
	v_pk_mul_f16 v2, v37, v2;

	;;#ASMEND
	;; [unrolled: 4-line block ×4, first 2 shown]
	;;#ASMSTART
	v_pk_add_f16 v1, v1, v2;

	;;#ASMEND
	;;#ASMSTART
	v_pk_add_f16 v1, v1, v3;

	;;#ASMEND
	;; [unrolled: 4-line block ×3, first 2 shown]
	v_and_b32_e32 v2, 0xffff, v1
	v_lshrrev_b32_e32 v1, 16, v1
	;;#ASMSTART
	v_cvt_f32_f16 v76, v2;
	;;#ASMEND
	;;#ASMSTART
	v_cvt_f32_f16 v77, v1;
	;;#ASMEND
	global_load_dwordx4 v[1:4], v[7:8], off offset:1536
	s_waitcnt vmcnt(0)
	v_lshrrev_b32_e32 v75, 16, v1
	v_lshrrev_b32_e32 v8, 16, v2
	;; [unrolled: 1-line block ×3, first 2 shown]
	s_and_saveexec_b32 s2, s1
	s_cbranch_execz .LBB89_29
; %bb.61:                               ;   in Loop: Header=BB89_30 Depth=1
	v_cmp_gt_i32_e32 vcc_lo, s11, v45
	v_cmp_gt_i32_e64 s1, s11, v43
	v_cndmask_b32_e32 v1, 0, v1, vcc_lo
	v_cmp_gt_i32_e32 vcc_lo, s11, v47
	v_cndmask_b32_e64 v2, 0, v2, s1
	v_cmp_gt_i32_e64 s1, s11, v41
	v_and_b32_e32 v41, 0xffff0000, v4
	v_cndmask_b32_e32 v75, 0, v75, vcc_lo
	v_cmp_gt_i32_e32 vcc_lo, s11, v46
	v_cndmask_b32_e64 v8, 0, v8, s1
	v_cndmask_b32_sdwa v4, v29, v4, vcc_lo dst_sel:DWORD dst_unused:UNUSED_PAD src0_sel:DWORD src1_sel:WORD_0
	v_cmp_gt_i32_e32 vcc_lo, s11, v32
	v_cndmask_b32_e32 v41, 0, v41, vcc_lo
	v_cmp_gt_i32_e32 vcc_lo, s11, v36
	v_or_b32_e32 v4, v4, v41
	v_cndmask_b32_e32 v3, 0, v3, vcc_lo
	v_cmp_gt_i32_e32 vcc_lo, s11, v35
	v_cndmask_b32_e32 v7, 0, v7, vcc_lo
	s_branch .LBB89_29
.LBB89_62:
	s_or_b32 exec_lo, exec_lo, s5
.LBB89_63:
	s_or_b32 exec_lo, exec_lo, s3
	ds_bpermute_b32 v1, v12, v27
	ds_bpermute_b32 v2, v12, v28
	;; [unrolled: 1-line block ×16, first 2 shown]
	v_lshrrev_b32_e32 v11, 1, v11
	s_mov_b32 s1, exec_lo
	s_waitcnt lgkmcnt(0)
	s_barrier
	v_add_f32_e32 v29, v27, v1
	v_add_f32_e32 v27, v28, v2
	v_add_f32_e32 v26, v26, v3
	v_add_f32_e32 v25, v25, v4
	v_add_f32_e32 v24, v24, v5
	v_add_f32_e32 v12, v23, v6
	v_add_f32_e32 v10, v22, v7
	v_add_f32_e32 v9, v21, v8
	v_add_f32_e32 v8, v20, v30
	v_add_f32_e32 v7, v19, v31
	v_add_f32_e32 v5, v18, v32
	v_add_f32_e32 v2, v17, v33
	v_add_f32_e32 v1, v16, v34
	v_add_f32_e32 v4, v15, v35
	v_and_b32_e32 v15, 0x3c1, v0
	v_add_f32_e32 v6, v14, v36
	v_add_f32_e32 v3, v13, v37
	v_lshl_add_u32 v13, v11, 2, 0x220
	v_lshlrev_b32_e32 v14, 10, v63
	buffer_gl0_inv
	v_cmpx_eq_u32_e32 64, v15
	s_cbranch_execz .LBB89_65
; %bb.64:
	v_add_nc_u32_e32 v15, v13, v14
	v_add_nc_u32_e32 v16, 0xfffff800, v15
	;; [unrolled: 1-line block ×7, first 2 shown]
	ds_write_b32 v16, v29
	ds_write_b32 v17, v27
	;; [unrolled: 1-line block ×6, first 2 shown]
	v_add_nc_u32_e32 v16, 0xfffff980, v15
	v_add_nc_u32_e32 v17, 0xfffff9c0, v15
	v_add_nc_u32_e32 v18, 0xfffffa00, v15
	v_add_nc_u32_e32 v19, 0xfffffa40, v15
	v_add_nc_u32_e32 v20, 0xfffffa80, v15
	ds_write_b32 v16, v10
	ds_write_b32 v17, v9
	;; [unrolled: 1-line block ×5, first 2 shown]
	v_add_nc_u32_e32 v16, 0xfffffac0, v15
	v_add_nc_u32_e32 v17, 0xfffffb00, v15
	;; [unrolled: 1-line block ×5, first 2 shown]
	ds_write_b32 v16, v2
	ds_write_b32 v17, v1
	;; [unrolled: 1-line block ×5, first 2 shown]
.LBB89_65:
	s_or_b32 exec_lo, exec_lo, s1
	v_lshlrev_b32_e32 v11, 2, v11
	v_cmp_eq_u32_e32 vcc_lo, 0, v62
	s_waitcnt lgkmcnt(0)
	s_barrier
	buffer_gl0_inv
	v_add3_u32 v11, 0x220, v14, v11
	s_and_saveexec_b32 s1, s0
	s_cbranch_execz .LBB89_84
; %bb.66:
	s_and_saveexec_b32 s0, vcc_lo
	s_cbranch_execnz .LBB89_108
; %bb.67:
	s_or_b32 exec_lo, exec_lo, s0
	s_and_saveexec_b32 s0, vcc_lo
	s_cbranch_execnz .LBB89_109
.LBB89_68:
	s_or_b32 exec_lo, exec_lo, s0
	s_and_saveexec_b32 s0, vcc_lo
	s_cbranch_execnz .LBB89_110
.LBB89_69:
	s_or_b32 exec_lo, exec_lo, s0
	s_and_saveexec_b32 s0, vcc_lo
	s_cbranch_execnz .LBB89_111
.LBB89_70:
	s_or_b32 exec_lo, exec_lo, s0
	s_and_saveexec_b32 s0, vcc_lo
	s_cbranch_execnz .LBB89_112
.LBB89_71:
	s_or_b32 exec_lo, exec_lo, s0
	s_and_saveexec_b32 s0, vcc_lo
	s_cbranch_execnz .LBB89_113
.LBB89_72:
	s_or_b32 exec_lo, exec_lo, s0
	s_and_saveexec_b32 s0, vcc_lo
	s_cbranch_execnz .LBB89_114
.LBB89_73:
	s_or_b32 exec_lo, exec_lo, s0
	s_and_saveexec_b32 s0, vcc_lo
	s_cbranch_execnz .LBB89_115
.LBB89_74:
	s_or_b32 exec_lo, exec_lo, s0
	s_and_saveexec_b32 s0, vcc_lo
	s_cbranch_execnz .LBB89_116
.LBB89_75:
	s_or_b32 exec_lo, exec_lo, s0
	s_and_saveexec_b32 s0, vcc_lo
	s_cbranch_execnz .LBB89_117
.LBB89_76:
	s_or_b32 exec_lo, exec_lo, s0
	s_and_saveexec_b32 s0, vcc_lo
	s_cbranch_execnz .LBB89_118
.LBB89_77:
	s_or_b32 exec_lo, exec_lo, s0
	s_and_saveexec_b32 s0, vcc_lo
	s_cbranch_execnz .LBB89_119
.LBB89_78:
	s_or_b32 exec_lo, exec_lo, s0
	s_and_saveexec_b32 s0, vcc_lo
	s_cbranch_execnz .LBB89_120
.LBB89_79:
	s_or_b32 exec_lo, exec_lo, s0
	s_and_saveexec_b32 s0, vcc_lo
	s_cbranch_execnz .LBB89_121
.LBB89_80:
	s_or_b32 exec_lo, exec_lo, s0
	s_and_saveexec_b32 s0, vcc_lo
	s_cbranch_execnz .LBB89_122
.LBB89_81:
	s_or_b32 exec_lo, exec_lo, s0
	s_and_saveexec_b32 s0, vcc_lo
	s_cbranch_execz .LBB89_83
.LBB89_82:
	ds_read_b32 v14, v11 offset:960
	s_waitcnt lgkmcnt(0)
	v_add_f32_e32 v3, v3, v14
.LBB89_83:
	s_or_b32 exec_lo, exec_lo, s0
.LBB89_84:
	s_or_b32 exec_lo, exec_lo, s1
	v_and_b32_e32 v14, 0x3e1, v0
	s_mov_b32 s1, exec_lo
	s_barrier
	buffer_gl0_inv
	v_cmpx_eq_u32_e32 32, v14
	s_cbranch_execz .LBB89_86
; %bb.85:
	ds_write2_b32 v13, v29, v27 offset1:16
	ds_write2_b32 v13, v26, v25 offset0:32 offset1:48
	ds_write2_b32 v13, v24, v12 offset0:64 offset1:80
	;; [unrolled: 1-line block ×7, first 2 shown]
.LBB89_86:
	s_or_b32 exec_lo, exec_lo, s1
	s_mov_b32 s1, exec_lo
	s_waitcnt lgkmcnt(0)
	s_barrier
	buffer_gl0_inv
	v_cmpx_gt_u32_e32 32, v0
	s_cbranch_execz .LBB89_105
; %bb.87:
	s_and_saveexec_b32 s0, vcc_lo
	s_cbranch_execnz .LBB89_123
; %bb.88:
	s_or_b32 exec_lo, exec_lo, s0
	s_and_saveexec_b32 s0, vcc_lo
	s_cbranch_execnz .LBB89_124
.LBB89_89:
	s_or_b32 exec_lo, exec_lo, s0
	s_and_saveexec_b32 s0, vcc_lo
	s_cbranch_execnz .LBB89_125
.LBB89_90:
	s_or_b32 exec_lo, exec_lo, s0
	s_and_saveexec_b32 s0, vcc_lo
	s_cbranch_execnz .LBB89_126
.LBB89_91:
	s_or_b32 exec_lo, exec_lo, s0
	s_and_saveexec_b32 s0, vcc_lo
	s_cbranch_execnz .LBB89_127
.LBB89_92:
	s_or_b32 exec_lo, exec_lo, s0
	s_and_saveexec_b32 s0, vcc_lo
	s_cbranch_execnz .LBB89_128
.LBB89_93:
	s_or_b32 exec_lo, exec_lo, s0
	s_and_saveexec_b32 s0, vcc_lo
	s_cbranch_execnz .LBB89_129
.LBB89_94:
	s_or_b32 exec_lo, exec_lo, s0
	s_and_saveexec_b32 s0, vcc_lo
	s_cbranch_execnz .LBB89_130
.LBB89_95:
	s_or_b32 exec_lo, exec_lo, s0
	s_and_saveexec_b32 s0, vcc_lo
	s_cbranch_execnz .LBB89_131
.LBB89_96:
	s_or_b32 exec_lo, exec_lo, s0
	s_and_saveexec_b32 s0, vcc_lo
	s_cbranch_execnz .LBB89_132
.LBB89_97:
	s_or_b32 exec_lo, exec_lo, s0
	s_and_saveexec_b32 s0, vcc_lo
	s_cbranch_execnz .LBB89_133
.LBB89_98:
	s_or_b32 exec_lo, exec_lo, s0
	s_and_saveexec_b32 s0, vcc_lo
	s_cbranch_execnz .LBB89_134
.LBB89_99:
	s_or_b32 exec_lo, exec_lo, s0
	s_and_saveexec_b32 s0, vcc_lo
	s_cbranch_execnz .LBB89_135
.LBB89_100:
	s_or_b32 exec_lo, exec_lo, s0
	s_and_saveexec_b32 s0, vcc_lo
	s_cbranch_execnz .LBB89_136
.LBB89_101:
	s_or_b32 exec_lo, exec_lo, s0
	s_and_saveexec_b32 s0, vcc_lo
	s_cbranch_execnz .LBB89_137
.LBB89_102:
	s_or_b32 exec_lo, exec_lo, s0
	s_and_saveexec_b32 s0, vcc_lo
	s_cbranch_execz .LBB89_104
.LBB89_103:
	ds_read_b32 v0, v11 offset:960
	s_waitcnt lgkmcnt(0)
	v_add_f32_e32 v3, v3, v0
.LBB89_104:
	s_or_b32 exec_lo, exec_lo, s0
.LBB89_105:
	s_or_b32 exec_lo, exec_lo, s1
	s_barrier
	buffer_gl0_inv
	s_mov_b32 s0, exec_lo
	v_cmpx_eq_u32_e32 0, v14
	s_cbranch_execz .LBB89_107
; %bb.106:
	s_mul_i32 s0, s10, s7
	s_mul_i32 s2, s7, s6
	;; [unrolled: 1-line block ×3, first 2 shown]
	v_lshlrev_b32_e32 v0, 1, v61
	s_lshl_b32 s0, s0, 8
	;;#ASMSTART
	v_cvt_f16_f32 v11, v29;

	;;#ASMEND
	s_ashr_i32 s1, s0, 31
	s_lshl_b64 s[0:1], s[0:1], 1
	s_add_u32 s4, s16, s0
	s_addc_u32 s5, s17, s1
	s_ashr_i32 s3, s2, 31
	s_lshl_b64 s[0:1], s[2:3], 1
	s_add_u32 s2, s4, s0
	s_addc_u32 s3, s5, s1
	s_lshl_b32 s0, s8, 8
	s_ashr_i32 s1, s0, 31
	s_lshl_b64 s[0:1], s[0:1], 1
	s_add_u32 s0, s2, s0
	s_addc_u32 s1, s3, s1
	global_store_short v0, v11, s[0:1]
	;;#ASMSTART
	v_cvt_f16_f32 v11, v27;

	;;#ASMEND
	global_store_short v0, v11, s[0:1] offset:32
	;;#ASMSTART
	v_cvt_f16_f32 v11, v26;

	;;#ASMEND
	global_store_short v0, v11, s[0:1] offset:64
	;; [unrolled: 5-line block ×15, first 2 shown]
.LBB89_107:
	s_endpgm
.LBB89_108:
	ds_read_b32 v14, v11
	s_waitcnt lgkmcnt(0)
	v_add_f32_e32 v29, v29, v14
	s_or_b32 exec_lo, exec_lo, s0
	s_and_saveexec_b32 s0, vcc_lo
	s_cbranch_execz .LBB89_68
.LBB89_109:
	ds_read_b32 v14, v11 offset:64
	s_waitcnt lgkmcnt(0)
	v_add_f32_e32 v27, v27, v14
	s_or_b32 exec_lo, exec_lo, s0
	s_and_saveexec_b32 s0, vcc_lo
	s_cbranch_execz .LBB89_69
.LBB89_110:
	ds_read_b32 v14, v11 offset:128
	s_waitcnt lgkmcnt(0)
	v_add_f32_e32 v26, v26, v14
	s_or_b32 exec_lo, exec_lo, s0
	s_and_saveexec_b32 s0, vcc_lo
	s_cbranch_execz .LBB89_70
.LBB89_111:
	ds_read_b32 v14, v11 offset:192
	s_waitcnt lgkmcnt(0)
	v_add_f32_e32 v25, v25, v14
	s_or_b32 exec_lo, exec_lo, s0
	s_and_saveexec_b32 s0, vcc_lo
	s_cbranch_execz .LBB89_71
.LBB89_112:
	ds_read_b32 v14, v11 offset:256
	s_waitcnt lgkmcnt(0)
	v_add_f32_e32 v24, v24, v14
	s_or_b32 exec_lo, exec_lo, s0
	s_and_saveexec_b32 s0, vcc_lo
	s_cbranch_execz .LBB89_72
.LBB89_113:
	ds_read_b32 v14, v11 offset:320
	s_waitcnt lgkmcnt(0)
	v_add_f32_e32 v12, v12, v14
	s_or_b32 exec_lo, exec_lo, s0
	s_and_saveexec_b32 s0, vcc_lo
	s_cbranch_execz .LBB89_73
.LBB89_114:
	ds_read_b32 v14, v11 offset:384
	s_waitcnt lgkmcnt(0)
	v_add_f32_e32 v10, v10, v14
	s_or_b32 exec_lo, exec_lo, s0
	s_and_saveexec_b32 s0, vcc_lo
	s_cbranch_execz .LBB89_74
.LBB89_115:
	ds_read_b32 v14, v11 offset:448
	s_waitcnt lgkmcnt(0)
	v_add_f32_e32 v9, v9, v14
	s_or_b32 exec_lo, exec_lo, s0
	s_and_saveexec_b32 s0, vcc_lo
	s_cbranch_execz .LBB89_75
.LBB89_116:
	ds_read_b32 v14, v11 offset:512
	s_waitcnt lgkmcnt(0)
	v_add_f32_e32 v8, v8, v14
	s_or_b32 exec_lo, exec_lo, s0
	s_and_saveexec_b32 s0, vcc_lo
	s_cbranch_execz .LBB89_76
.LBB89_117:
	ds_read_b32 v14, v11 offset:576
	s_waitcnt lgkmcnt(0)
	v_add_f32_e32 v7, v7, v14
	s_or_b32 exec_lo, exec_lo, s0
	s_and_saveexec_b32 s0, vcc_lo
	s_cbranch_execz .LBB89_77
.LBB89_118:
	ds_read_b32 v14, v11 offset:640
	s_waitcnt lgkmcnt(0)
	v_add_f32_e32 v5, v5, v14
	s_or_b32 exec_lo, exec_lo, s0
	s_and_saveexec_b32 s0, vcc_lo
	s_cbranch_execz .LBB89_78
.LBB89_119:
	ds_read_b32 v14, v11 offset:704
	s_waitcnt lgkmcnt(0)
	v_add_f32_e32 v2, v2, v14
	s_or_b32 exec_lo, exec_lo, s0
	s_and_saveexec_b32 s0, vcc_lo
	s_cbranch_execz .LBB89_79
.LBB89_120:
	ds_read_b32 v14, v11 offset:768
	s_waitcnt lgkmcnt(0)
	v_add_f32_e32 v1, v1, v14
	s_or_b32 exec_lo, exec_lo, s0
	s_and_saveexec_b32 s0, vcc_lo
	s_cbranch_execz .LBB89_80
.LBB89_121:
	ds_read_b32 v14, v11 offset:832
	s_waitcnt lgkmcnt(0)
	v_add_f32_e32 v4, v4, v14
	s_or_b32 exec_lo, exec_lo, s0
	s_and_saveexec_b32 s0, vcc_lo
	s_cbranch_execz .LBB89_81
.LBB89_122:
	ds_read_b32 v14, v11 offset:896
	s_waitcnt lgkmcnt(0)
	v_add_f32_e32 v6, v6, v14
	s_or_b32 exec_lo, exec_lo, s0
	s_and_saveexec_b32 s0, vcc_lo
	s_cbranch_execnz .LBB89_82
	s_branch .LBB89_83
.LBB89_123:
	ds_read_b32 v0, v11
	s_waitcnt lgkmcnt(0)
	v_add_f32_e32 v29, v29, v0
	s_or_b32 exec_lo, exec_lo, s0
	s_and_saveexec_b32 s0, vcc_lo
	s_cbranch_execz .LBB89_89
.LBB89_124:
	ds_read_b32 v0, v11 offset:64
	s_waitcnt lgkmcnt(0)
	v_add_f32_e32 v27, v27, v0
	s_or_b32 exec_lo, exec_lo, s0
	s_and_saveexec_b32 s0, vcc_lo
	s_cbranch_execz .LBB89_90
.LBB89_125:
	ds_read_b32 v0, v11 offset:128
	s_waitcnt lgkmcnt(0)
	v_add_f32_e32 v26, v26, v0
	s_or_b32 exec_lo, exec_lo, s0
	s_and_saveexec_b32 s0, vcc_lo
	s_cbranch_execz .LBB89_91
.LBB89_126:
	ds_read_b32 v0, v11 offset:192
	s_waitcnt lgkmcnt(0)
	v_add_f32_e32 v25, v25, v0
	s_or_b32 exec_lo, exec_lo, s0
	s_and_saveexec_b32 s0, vcc_lo
	s_cbranch_execz .LBB89_92
.LBB89_127:
	ds_read_b32 v0, v11 offset:256
	s_waitcnt lgkmcnt(0)
	v_add_f32_e32 v24, v24, v0
	s_or_b32 exec_lo, exec_lo, s0
	s_and_saveexec_b32 s0, vcc_lo
	s_cbranch_execz .LBB89_93
.LBB89_128:
	ds_read_b32 v0, v11 offset:320
	s_waitcnt lgkmcnt(0)
	v_add_f32_e32 v12, v12, v0
	s_or_b32 exec_lo, exec_lo, s0
	s_and_saveexec_b32 s0, vcc_lo
	s_cbranch_execz .LBB89_94
.LBB89_129:
	ds_read_b32 v0, v11 offset:384
	s_waitcnt lgkmcnt(0)
	v_add_f32_e32 v10, v10, v0
	s_or_b32 exec_lo, exec_lo, s0
	s_and_saveexec_b32 s0, vcc_lo
	s_cbranch_execz .LBB89_95
.LBB89_130:
	ds_read_b32 v0, v11 offset:448
	s_waitcnt lgkmcnt(0)
	v_add_f32_e32 v9, v9, v0
	s_or_b32 exec_lo, exec_lo, s0
	s_and_saveexec_b32 s0, vcc_lo
	s_cbranch_execz .LBB89_96
.LBB89_131:
	ds_read_b32 v0, v11 offset:512
	s_waitcnt lgkmcnt(0)
	v_add_f32_e32 v8, v8, v0
	s_or_b32 exec_lo, exec_lo, s0
	s_and_saveexec_b32 s0, vcc_lo
	s_cbranch_execz .LBB89_97
.LBB89_132:
	ds_read_b32 v0, v11 offset:576
	s_waitcnt lgkmcnt(0)
	v_add_f32_e32 v7, v7, v0
	s_or_b32 exec_lo, exec_lo, s0
	s_and_saveexec_b32 s0, vcc_lo
	s_cbranch_execz .LBB89_98
.LBB89_133:
	ds_read_b32 v0, v11 offset:640
	s_waitcnt lgkmcnt(0)
	v_add_f32_e32 v5, v5, v0
	s_or_b32 exec_lo, exec_lo, s0
	s_and_saveexec_b32 s0, vcc_lo
	s_cbranch_execz .LBB89_99
.LBB89_134:
	ds_read_b32 v0, v11 offset:704
	s_waitcnt lgkmcnt(0)
	v_add_f32_e32 v2, v2, v0
	s_or_b32 exec_lo, exec_lo, s0
	s_and_saveexec_b32 s0, vcc_lo
	s_cbranch_execz .LBB89_100
.LBB89_135:
	ds_read_b32 v0, v11 offset:768
	s_waitcnt lgkmcnt(0)
	v_add_f32_e32 v1, v1, v0
	s_or_b32 exec_lo, exec_lo, s0
	s_and_saveexec_b32 s0, vcc_lo
	s_cbranch_execz .LBB89_101
.LBB89_136:
	ds_read_b32 v0, v11 offset:832
	s_waitcnt lgkmcnt(0)
	v_add_f32_e32 v4, v4, v0
	s_or_b32 exec_lo, exec_lo, s0
	s_and_saveexec_b32 s0, vcc_lo
	s_cbranch_execz .LBB89_102
.LBB89_137:
	ds_read_b32 v0, v11 offset:896
	s_waitcnt lgkmcnt(0)
	v_add_f32_e32 v6, v6, v0
	s_or_b32 exec_lo, exec_lo, s0
	s_and_saveexec_b32 s0, vcc_lo
	s_cbranch_execnz .LBB89_103
	s_branch .LBB89_104
	.section	.rodata,"a",@progbits
	.p2align	6, 0x0
	.amdhsa_kernel _ZN4vllm25paged_attention_v1_kernelIttLi256ELi16ELi128ELNS_18Fp8KVCacheDataTypeE0ELb0EEEvPT_PKS2_PKT0_S8_ifPKiSA_iPKfiiiSC_SC_iiiii
		.amdhsa_group_segment_fixed_size 544
		.amdhsa_private_segment_fixed_size 0
		.amdhsa_kernarg_size 384
		.amdhsa_user_sgpr_count 6
		.amdhsa_user_sgpr_private_segment_buffer 1
		.amdhsa_user_sgpr_dispatch_ptr 0
		.amdhsa_user_sgpr_queue_ptr 0
		.amdhsa_user_sgpr_kernarg_segment_ptr 1
		.amdhsa_user_sgpr_dispatch_id 0
		.amdhsa_user_sgpr_flat_scratch_init 0
		.amdhsa_user_sgpr_private_segment_size 0
		.amdhsa_wavefront_size32 1
		.amdhsa_uses_dynamic_stack 0
		.amdhsa_system_sgpr_private_segment_wavefront_offset 0
		.amdhsa_system_sgpr_workgroup_id_x 1
		.amdhsa_system_sgpr_workgroup_id_y 1
		.amdhsa_system_sgpr_workgroup_id_z 1
		.amdhsa_system_sgpr_workgroup_info 0
		.amdhsa_system_vgpr_workitem_id 0
		.amdhsa_next_free_vgpr 109
		.amdhsa_next_free_sgpr 30
		.amdhsa_reserve_vcc 1
		.amdhsa_reserve_flat_scratch 0
		.amdhsa_float_round_mode_32 0
		.amdhsa_float_round_mode_16_64 0
		.amdhsa_float_denorm_mode_32 3
		.amdhsa_float_denorm_mode_16_64 3
		.amdhsa_dx10_clamp 1
		.amdhsa_ieee_mode 1
		.amdhsa_fp16_overflow 0
		.amdhsa_workgroup_processor_mode 1
		.amdhsa_memory_ordered 1
		.amdhsa_forward_progress 1
		.amdhsa_shared_vgpr_count 0
		.amdhsa_exception_fp_ieee_invalid_op 0
		.amdhsa_exception_fp_denorm_src 0
		.amdhsa_exception_fp_ieee_div_zero 0
		.amdhsa_exception_fp_ieee_overflow 0
		.amdhsa_exception_fp_ieee_underflow 0
		.amdhsa_exception_fp_ieee_inexact 0
		.amdhsa_exception_int_div_zero 0
	.end_amdhsa_kernel
	.section	.text._ZN4vllm25paged_attention_v1_kernelIttLi256ELi16ELi128ELNS_18Fp8KVCacheDataTypeE0ELb0EEEvPT_PKS2_PKT0_S8_ifPKiSA_iPKfiiiSC_SC_iiiii,"axG",@progbits,_ZN4vllm25paged_attention_v1_kernelIttLi256ELi16ELi128ELNS_18Fp8KVCacheDataTypeE0ELb0EEEvPT_PKS2_PKT0_S8_ifPKiSA_iPKfiiiSC_SC_iiiii,comdat
.Lfunc_end89:
	.size	_ZN4vllm25paged_attention_v1_kernelIttLi256ELi16ELi128ELNS_18Fp8KVCacheDataTypeE0ELb0EEEvPT_PKS2_PKT0_S8_ifPKiSA_iPKfiiiSC_SC_iiiii, .Lfunc_end89-_ZN4vllm25paged_attention_v1_kernelIttLi256ELi16ELi128ELNS_18Fp8KVCacheDataTypeE0ELb0EEEvPT_PKS2_PKT0_S8_ifPKiSA_iPKfiiiSC_SC_iiiii
                                        ; -- End function
	.set _ZN4vllm25paged_attention_v1_kernelIttLi256ELi16ELi128ELNS_18Fp8KVCacheDataTypeE0ELb0EEEvPT_PKS2_PKT0_S8_ifPKiSA_iPKfiiiSC_SC_iiiii.num_vgpr, 109
	.set _ZN4vllm25paged_attention_v1_kernelIttLi256ELi16ELi128ELNS_18Fp8KVCacheDataTypeE0ELb0EEEvPT_PKS2_PKT0_S8_ifPKiSA_iPKfiiiSC_SC_iiiii.num_agpr, 0
	.set _ZN4vllm25paged_attention_v1_kernelIttLi256ELi16ELi128ELNS_18Fp8KVCacheDataTypeE0ELb0EEEvPT_PKS2_PKT0_S8_ifPKiSA_iPKfiiiSC_SC_iiiii.numbered_sgpr, 30
	.set _ZN4vllm25paged_attention_v1_kernelIttLi256ELi16ELi128ELNS_18Fp8KVCacheDataTypeE0ELb0EEEvPT_PKS2_PKT0_S8_ifPKiSA_iPKfiiiSC_SC_iiiii.num_named_barrier, 0
	.set _ZN4vllm25paged_attention_v1_kernelIttLi256ELi16ELi128ELNS_18Fp8KVCacheDataTypeE0ELb0EEEvPT_PKS2_PKT0_S8_ifPKiSA_iPKfiiiSC_SC_iiiii.private_seg_size, 0
	.set _ZN4vllm25paged_attention_v1_kernelIttLi256ELi16ELi128ELNS_18Fp8KVCacheDataTypeE0ELb0EEEvPT_PKS2_PKT0_S8_ifPKiSA_iPKfiiiSC_SC_iiiii.uses_vcc, 1
	.set _ZN4vllm25paged_attention_v1_kernelIttLi256ELi16ELi128ELNS_18Fp8KVCacheDataTypeE0ELb0EEEvPT_PKS2_PKT0_S8_ifPKiSA_iPKfiiiSC_SC_iiiii.uses_flat_scratch, 0
	.set _ZN4vllm25paged_attention_v1_kernelIttLi256ELi16ELi128ELNS_18Fp8KVCacheDataTypeE0ELb0EEEvPT_PKS2_PKT0_S8_ifPKiSA_iPKfiiiSC_SC_iiiii.has_dyn_sized_stack, 0
	.set _ZN4vllm25paged_attention_v1_kernelIttLi256ELi16ELi128ELNS_18Fp8KVCacheDataTypeE0ELb0EEEvPT_PKS2_PKT0_S8_ifPKiSA_iPKfiiiSC_SC_iiiii.has_recursion, 0
	.set _ZN4vllm25paged_attention_v1_kernelIttLi256ELi16ELi128ELNS_18Fp8KVCacheDataTypeE0ELb0EEEvPT_PKS2_PKT0_S8_ifPKiSA_iPKfiiiSC_SC_iiiii.has_indirect_call, 0
	.section	.AMDGPU.csdata,"",@progbits
; Kernel info:
; codeLenInByte = 19156
; TotalNumSgprs: 32
; NumVgprs: 109
; ScratchSize: 0
; MemoryBound: 0
; FloatMode: 240
; IeeeMode: 1
; LDSByteSize: 544 bytes/workgroup (compile time only)
; SGPRBlocks: 0
; VGPRBlocks: 13
; NumSGPRsForWavesPerEU: 32
; NumVGPRsForWavesPerEU: 109
; Occupancy: 9
; WaveLimiterHint : 1
; COMPUTE_PGM_RSRC2:SCRATCH_EN: 0
; COMPUTE_PGM_RSRC2:USER_SGPR: 6
; COMPUTE_PGM_RSRC2:TRAP_HANDLER: 0
; COMPUTE_PGM_RSRC2:TGID_X_EN: 1
; COMPUTE_PGM_RSRC2:TGID_Y_EN: 1
; COMPUTE_PGM_RSRC2:TGID_Z_EN: 1
; COMPUTE_PGM_RSRC2:TIDIG_COMP_CNT: 0
	.section	.text._ZN4vllm25paged_attention_v1_kernelIttLi32ELi32ELi128ELNS_18Fp8KVCacheDataTypeE0ELb1EEEvPT_PKS2_PKT0_S8_ifPKiSA_iPKfiiiSC_SC_iiiii,"axG",@progbits,_ZN4vllm25paged_attention_v1_kernelIttLi32ELi32ELi128ELNS_18Fp8KVCacheDataTypeE0ELb1EEEvPT_PKS2_PKT0_S8_ifPKiSA_iPKfiiiSC_SC_iiiii,comdat
	.protected	_ZN4vllm25paged_attention_v1_kernelIttLi32ELi32ELi128ELNS_18Fp8KVCacheDataTypeE0ELb1EEEvPT_PKS2_PKT0_S8_ifPKiSA_iPKfiiiSC_SC_iiiii ; -- Begin function _ZN4vllm25paged_attention_v1_kernelIttLi32ELi32ELi128ELNS_18Fp8KVCacheDataTypeE0ELb1EEEvPT_PKS2_PKT0_S8_ifPKiSA_iPKfiiiSC_SC_iiiii
	.globl	_ZN4vllm25paged_attention_v1_kernelIttLi32ELi32ELi128ELNS_18Fp8KVCacheDataTypeE0ELb1EEEvPT_PKS2_PKT0_S8_ifPKiSA_iPKfiiiSC_SC_iiiii
	.p2align	8
	.type	_ZN4vllm25paged_attention_v1_kernelIttLi32ELi32ELi128ELNS_18Fp8KVCacheDataTypeE0ELb1EEEvPT_PKS2_PKT0_S8_ifPKiSA_iPKfiiiSC_SC_iiiii,@function
_ZN4vllm25paged_attention_v1_kernelIttLi32ELi32ELi128ELNS_18Fp8KVCacheDataTypeE0ELb1EEEvPT_PKS2_PKT0_S8_ifPKiSA_iPKfiiiSC_SC_iiiii: ; @_ZN4vllm25paged_attention_v1_kernelIttLi32ELi32ELi128ELNS_18Fp8KVCacheDataTypeE0ELb1EEEvPT_PKS2_PKT0_S8_ifPKiSA_iPKfiiiSC_SC_iiiii
; %bb.0:
	s_clause 0x2
	s_load_dword s9, s[4:5], 0x80
	s_load_dwordx2 s[0:1], s[4:5], 0x30
	s_load_dwordx2 s[2:3], s[4:5], 0x20
	s_mov_b32 s10, s7
	s_ashr_i32 s11, s7, 31
	s_mov_b32 s31, 0
	s_lshl_b64 s[12:13], s[10:11], 2
	s_waitcnt lgkmcnt(0)
	s_add_u32 s0, s0, s12
	s_addc_u32 s1, s1, s13
	s_abs_i32 s7, s2
	s_abs_i32 s13, s9
	v_cvt_f32_u32_e32 v1, s7
	s_sub_i32 s12, 0, s7
	v_rcp_iflag_f32_e32 v1, v1
	v_mul_f32_e32 v1, 0x4f7ffffe, v1
	v_cvt_u32_f32_e32 v1, v1
	v_readfirstlane_b32 s11, v1
	s_mul_i32 s12, s12, s11
	s_mul_hi_u32 s12, s11, s12
	s_add_i32 s11, s11, s12
	s_xor_b32 s12, s9, s2
	s_mul_hi_u32 s11, s13, s11
	s_ashr_i32 s12, s12, 31
	s_mul_i32 s14, s11, s7
	s_sub_i32 s13, s13, s14
	s_add_i32 s14, s11, 1
	s_sub_i32 s15, s13, s7
	s_cmp_ge_u32 s13, s7
	s_cselect_b32 s11, s14, s11
	s_cselect_b32 s13, s15, s13
	s_add_i32 s14, s11, 1
	s_cmp_ge_u32 s13, s7
	s_cselect_b32 s7, s14, s11
	s_abs_i32 s22, s6
	s_xor_b32 s7, s7, s12
	s_sub_i32 s16, s7, s12
	s_load_dwordx2 s[12:13], s[4:5], 0x40
	s_abs_i32 s11, s16
	v_cvt_f32_u32_e32 v1, s11
	s_sub_i32 s14, 0, s11
	v_rcp_iflag_f32_e32 v1, v1
	v_mul_f32_e32 v1, 0x4f7ffffe, v1
	v_cvt_u32_f32_e32 v1, v1
	v_readfirstlane_b32 s7, v1
	s_mul_i32 s14, s14, s7
	s_mul_hi_u32 s14, s7, s14
	s_add_i32 s7, s7, s14
	s_waitcnt lgkmcnt(0)
	s_cmp_eq_u64 s[12:13], 0
	s_mul_hi_u32 s23, s22, s7
	s_cbranch_scc1 .LBB90_2
; %bb.1:
	s_ashr_i32 s7, s6, 31
	s_lshl_b64 s[14:15], s[6:7], 2
	s_add_u32 s12, s12, s14
	s_addc_u32 s13, s13, s15
	s_load_dword s31, s[12:13], 0x0
.LBB90_2:
	s_load_dword s28, s[0:1], 0x0
	s_load_dwordx4 s[12:15], s[4:5], 0x48
	v_lshlrev_b32_e32 v18, 4, v0
	s_ashr_i32 s0, s6, 31
	s_ashr_i32 s1, s16, 31
	s_lshl_b32 s20, s6, 5
	s_mov_b32 s7, exec_lo
	v_cmpx_gt_u32_e32 4, v0
	s_cbranch_execz .LBB90_4
; %bb.3:
	s_load_dwordx2 s[16:17], s[4:5], 0x8
	s_waitcnt lgkmcnt(0)
	s_mul_i32 s18, s12, s10
	s_ashr_i32 s19, s18, 31
	s_lshl_b64 s[18:19], s[18:19], 1
	s_add_u32 s12, s16, s18
	s_addc_u32 s15, s17, s19
	s_ashr_i32 s21, s20, 31
	s_lshl_b64 s[16:17], s[20:21], 1
	s_add_u32 s16, s12, s16
	s_addc_u32 s17, s15, s17
	global_load_dwordx4 v[1:4], v18, s[16:17]
	s_waitcnt vmcnt(0)
	ds_write_b128 v18, v[1:4]
.LBB90_4:
	s_or_b32 exec_lo, exec_lo, s7
	s_load_dwordx4 s[16:19], s[4:5], 0x68
	s_mul_i32 s7, s23, s11
	s_xor_b32 s1, s0, s1
	s_sub_i32 s0, s22, s7
	s_add_i32 s7, s23, 1
	s_waitcnt lgkmcnt(0)
	s_sub_i32 s12, s0, s11
	s_cmp_ge_u32 s0, s11
	s_mov_b32 s24, -1
	s_cselect_b32 s7, s7, s23
	s_cselect_b32 s0, s12, s0
	s_add_i32 s12, s7, 1
	s_cmp_ge_u32 s0, s11
	s_load_dword s0, s[4:5], 0x78
	s_cselect_b32 s7, s12, s7
	s_add_i32 s11, s28, -1
	s_xor_b32 s7, s7, s1
	s_waitcnt lgkmcnt(0)
	s_sub_i32 s1, s7, s1
	s_barrier
	buffer_gl0_inv
	s_abs_i32 s12, s19
                                        ; implicit-def: $sgpr29
	v_cvt_f32_u32_e32 v1, s12
	s_sub_i32 s7, 0, s12
	v_rcp_iflag_f32_e32 v1, v1
	v_mul_f32_e32 v1, 0x4f7ffffe, v1
	v_cvt_u32_f32_e32 v1, v1
	v_readfirstlane_b32 s21, v1
	s_mul_i32 s7, s7, s21
	s_mul_hi_u32 s15, s21, s7
	s_abs_i32 s7, s11
	s_add_i32 s21, s21, s15
	s_cmp_lt_i32 s0, 0
	s_mul_hi_u32 s15, s7, s21
	s_cbranch_scc0 .LBB90_6
; %bb.5:
	s_mul_i32 s2, s16, s2
	s_mov_b32 s24, 0
	s_add_i32 s2, s1, s2
	s_mul_i32 s2, s2, s0
	s_sub_i32 s29, 1, s2
.LBB90_6:
	s_load_dwordx2 s[22:23], s[4:5], 0x28
	s_ashr_i32 s2, s11, 31
	s_andn2_b32 vcc_lo, exec_lo, s24
	s_ashr_i32 s19, s19, 31
	s_cbranch_vccnz .LBB90_8
; %bb.7:
	s_mul_i32 s11, s9, s16
	s_add_i32 s6, s11, s6
	s_mul_i32 s0, s6, s0
	s_add_i32 s29, s0, 1
.LBB90_8:
	s_load_dword s0, s[4:5], 0x38
	s_mul_i32 s6, s15, s12
	s_xor_b32 s2, s2, s19
	s_sub_i32 s30, s7, s6
	s_add_i32 s16, s15, 1
	s_clause 0x2
	s_load_dwordx2 s[6:7], s[4:5], 0x0
	s_load_dwordx2 s[26:27], s[4:5], 0x18
	s_load_dword s11, s[4:5], 0x88
	v_lshrrev_b32_e32 v15, 5, v0
	v_and_b32_e32 v16, 31, v0
	v_mov_b32_e32 v21, 0xff7fffff
	v_lshrrev_b32_e32 v19, 3, v0
	s_mul_i32 s14, s1, s14
	v_lshlrev_b32_e32 v17, 5, v15
	v_lshlrev_b32_e32 v20, 2, v16
	s_waitcnt lgkmcnt(0)
	s_mul_i32 s24, s0, s10
	s_sub_i32 s0, s30, s12
	s_ashr_i32 s25, s24, 31
	s_cmp_ge_u32 s30, s12
	s_cselect_b32 s15, s16, s15
	s_cselect_b32 s0, s0, s30
	s_add_i32 s16, s15, 1
	s_cmp_ge_u32 s0, s12
	s_cselect_b32 s0, s16, s15
	s_add_i32 s15, s28, 31
	s_ashr_i32 s16, s15, 31
	s_lshr_b32 s16, s16, 27
	s_add_i32 s15, s15, s16
	s_ashr_i32 s16, s15, 5
	s_xor_b32 s15, s0, s2
	v_cmp_gt_i32_e64 s0, s16, v15
	s_sub_i32 s30, s15, s2
	s_and_saveexec_b32 s33, s0
	s_cbranch_execz .LBB90_16
; %bb.9:
	s_load_dwordx2 s[34:35], s[4:5], 0x10
	s_ashr_i32 s15, s14, 31
	s_sub_i32 s4, s30, s17
	s_lshl_b64 s[36:37], s[14:15], 1
	v_subrev_nc_u32_e32 v4, s28, v16
	v_lshlrev_b32_e32 v2, 4, v16
	v_and_b32_e32 v3, 0x7c, v19
	v_lshl_or_b32 v6, v15, 7, v20
	v_mov_b32_e32 v22, 0
	v_add_nc_u32_e32 v25, 1, v4
	v_cmp_neq_f32_e64 vcc_lo, s31, 0
	v_lshlrev_b32_e32 v23, 5, v15
	v_mov_b32_e32 v24, 0xff7fffff
	v_mov_b32_e32 v21, 0xff7fffff
	v_add_nc_u32_e32 v26, 0x60, v6
	v_mov_b32_e32 v30, v15
	s_waitcnt lgkmcnt(0)
	s_add_u32 s1, s34, s36
	s_addc_u32 s2, s35, s37
	s_abs_i32 s5, s18
	s_lshl_b64 s[34:35], s[24:25], 2
	v_cvt_f32_u32_e32 v1, s5
	s_sub_i32 s15, 0, s5
	v_add_co_u32 v27, s1, s1, v2
	v_add_co_ci_u32_e64 v28, null, s2, 0, s1
	v_rcp_iflag_f32_e32 v1, v1
	s_add_u32 s1, s22, s34
	s_addc_u32 s2, s23, s35
	v_add_co_u32 v13, s1, s1, v3
	v_add_co_ci_u32_e64 v14, null, s2, 0, s1
	s_mov_b32 s34, s13
	v_mul_f32_e32 v1, 0x4f7ffffe, v1
	v_cvt_u32_f32_e32 v1, v1
	v_mul_lo_u32 v5, s15, v1
	s_mov_b32 s15, 0
	v_mul_hi_u32 v4, v1, v5
	v_add_nc_u32_e32 v29, v1, v4
	s_branch .LBB90_11
.LBB90_10:                              ;   in Loop: Header=BB90_11 Depth=1
	s_or_b32 exec_lo, exec_lo, s2
	v_add_nc_u32_e32 v30, 4, v30
	v_add_co_u32 v13, s2, v13, 16
	v_add_co_ci_u32_e64 v14, null, 0, v14, s2
	v_cmp_le_i32_e64 s1, s16, v30
	v_add_nc_u32_e32 v23, 0x80, v23
	v_add_nc_u32_e32 v26, 0x200, v26
	s_or_b32 s15, s1, s15
	s_andn2_b32 exec_lo, exec_lo, s15
	s_cbranch_execz .LBB90_15
.LBB90_11:                              ; =>This Inner Loop Header: Depth=1
	v_mul_hi_u32 v1, v23, s21
	v_mul_lo_u32 v2, v1, s12
	v_add_nc_u32_e32 v3, 1, v1
	v_sub_nc_u32_e32 v2, v23, v2
	v_subrev_nc_u32_e32 v4, s12, v2
	v_cmp_le_u32_e64 s1, s12, v2
	v_cndmask_b32_e64 v1, v1, v3, s1
	v_cndmask_b32_e64 v2, v2, v4, s1
	v_add_nc_u32_e32 v3, 1, v1
	v_cmp_le_u32_e64 s1, s12, v2
	v_cndmask_b32_e64 v1, v1, v3, s1
	v_xor_b32_e32 v1, s19, v1
	v_subrev_nc_u32_e32 v1, s19, v1
	v_add_nc_u32_e32 v2, s29, v1
	v_cmp_ge_i32_e64 s2, s4, v1
	v_sub_nc_u32_e32 v3, 0, v2
	v_max_i32_e32 v3, v2, v3
	v_ashrrev_i32_e32 v2, 31, v2
	v_mul_hi_u32 v4, v3, v29
	v_mul_lo_u32 v4, v4, s5
	v_sub_nc_u32_e32 v3, v3, v4
	v_subrev_nc_u32_e32 v4, s5, v3
	v_cmp_le_u32_e64 s1, s5, v3
	v_cndmask_b32_e64 v3, v3, v4, s1
	v_subrev_nc_u32_e32 v4, s5, v3
	v_cmp_le_u32_e64 s1, s5, v3
	v_cndmask_b32_e64 v3, v3, v4, s1
	v_xor_b32_e32 v3, v3, v2
	v_sub_nc_u32_e32 v2, v3, v2
	v_cmp_ne_u32_e64 s1, 0, v2
	s_and_b32 s1, s1, s2
	s_and_saveexec_b32 s2, s1
	s_xor_b32 s1, exec_lo, s2
; %bb.12:                               ;   in Loop: Header=BB90_11 Depth=1
	ds_write_b32 v26, v24
; %bb.13:                               ;   in Loop: Header=BB90_11 Depth=1
	s_andn2_saveexec_b32 s2, s1
	s_cbranch_execz .LBB90_10
; %bb.14:                               ;   in Loop: Header=BB90_11 Depth=1
	global_load_dword v1, v[13:14], off
	v_add_nc_u32_e32 v51, v25, v23
	v_cvt_f32_i32_e32 v51, v51
	s_waitcnt vmcnt(0)
	v_mad_i64_i32 v[1:2], null, v1, s34, 0
	v_lshlrev_b64 v[1:2], 1, v[1:2]
	v_add_co_u32 v1, s1, v27, v1
	v_add_co_ci_u32_e64 v2, null, v28, v2, s1
	s_clause 0x3
	global_load_dwordx4 v[34:37], v[1:2], off
	global_load_dwordx4 v[9:12], v[1:2], off offset:512
	global_load_dwordx4 v[5:8], v[1:2], off offset:1024
	;; [unrolled: 1-line block ×3, first 2 shown]
	ds_read_b128 v[38:41], v22
	s_waitcnt lgkmcnt(0)
	v_lshrrev_b32_e32 v32, 16, v38
	v_and_b32_e32 v31, 0xffff, v38
	v_lshrrev_b32_e32 v33, 16, v39
	v_and_b32_e32 v39, 0xffff, v39
	;; [unrolled: 2-line block ×4, first 2 shown]
	;;#ASMSTART
	v_cvt_f32_f16 v31, v31;
	;;#ASMEND
	;;#ASMSTART
	v_cvt_f32_f16 v32, v32;
	;;#ASMEND
	s_waitcnt vmcnt(3)
	v_lshrrev_b32_e32 v38, 16, v34
	v_and_b32_e32 v34, 0xffff, v34
	v_lshrrev_b32_e32 v42, 16, v35
	v_and_b32_e32 v35, 0xffff, v35
	v_lshrrev_b32_e32 v46, 16, v36
	v_and_b32_e32 v36, 0xffff, v36
	v_lshrrev_b32_e32 v50, 16, v37
	v_and_b32_e32 v49, 0xffff, v37
	;;#ASMSTART
	v_cvt_f32_f16 v37, v34;
	;;#ASMEND
	;;#ASMSTART
	v_cvt_f32_f16 v38, v38;
	;;#ASMEND
	;; [unrolled: 3-line block ×14, first 2 shown]
	ds_read_b128 v[33:36], v22 offset:16
	s_waitcnt vmcnt(2)
	v_lshrrev_b32_e32 v52, 16, v9
	v_and_b32_e32 v9, 0xffff, v9
	v_lshrrev_b32_e32 v55, 16, v10
	v_and_b32_e32 v10, 0xffff, v10
	;; [unrolled: 2-line block ×4, first 2 shown]
	s_waitcnt vmcnt(1)
	v_lshrrev_b32_e32 v64, 16, v5
	v_and_b32_e32 v65, 0xffff, v5
	v_lshrrev_b32_e32 v66, 16, v6
	v_and_b32_e32 v67, 0xffff, v6
	;; [unrolled: 2-line block ×4, first 2 shown]
	s_waitcnt vmcnt(0)
	v_lshrrev_b32_e32 v72, 16, v1
	v_and_b32_e32 v73, 0xffff, v1
	v_lshrrev_b32_e32 v74, 16, v2
	s_waitcnt lgkmcnt(0)
	v_lshrrev_b32_e32 v53, 16, v33
	v_and_b32_e32 v33, 0xffff, v33
	v_lshrrev_b32_e32 v54, 16, v34
	v_and_b32_e32 v56, 0xffff, v34
	;; [unrolled: 2-line block ×4, first 2 shown]
	;;#ASMSTART
	v_cvt_f32_f16 v33, v33;
	;;#ASMEND
	;;#ASMSTART
	v_cvt_f32_f16 v34, v53;
	;;#ASMEND
	;; [unrolled: 3-line block ×16, first 2 shown]
	ds_read_b128 v[9:12], v22 offset:32
	v_and_b32_e32 v75, 0xffff, v2
	v_lshrrev_b32_e32 v76, 16, v3
	v_and_b32_e32 v77, 0xffff, v3
	v_lshrrev_b32_e32 v78, 16, v4
	v_and_b32_e32 v79, 0xffff, v4
	v_mul_f32_e32 v7, v52, v54
	v_mul_f32_e32 v8, v53, v55
	v_mul_f32_e32 v5, v33, v35
	v_mul_f32_e32 v6, v34, v36
	v_mul_f32_e32 v56, v56, v58
	v_fmac_f32_e32 v7, v39, v41
	v_fmac_f32_e32 v8, v40, v42
	;; [unrolled: 1-line block ×4, first 2 shown]
	v_mul_f32_e32 v57, v57, v59
	v_fmac_f32_e32 v56, v43, v45
	v_mul_f32_e32 v58, v60, v62
	v_mul_f32_e32 v59, v61, v63
	s_waitcnt lgkmcnt(0)
	v_lshrrev_b32_e32 v1, 16, v9
	v_and_b32_e32 v2, 0xffff, v9
	v_lshrrev_b32_e32 v3, 16, v10
	v_and_b32_e32 v4, 0xffff, v10
	;; [unrolled: 2-line block ×4, first 2 shown]
	;;#ASMSTART
	v_cvt_f32_f16 v9, v2;
	;;#ASMEND
	;;#ASMSTART
	v_cvt_f32_f16 v10, v1;
	;;#ASMEND
	;; [unrolled: 3-line block ×16, first 2 shown]
	ds_read_b128 v[1:4], v22 offset:48
	v_fmac_f32_e32 v5, v9, v11
	v_fmac_f32_e32 v6, v10, v12
	;; [unrolled: 1-line block ×11, first 2 shown]
	s_waitcnt lgkmcnt(0)
	v_and_b32_e32 v9, 0xffff, v1
	v_lshrrev_b32_e32 v10, 16, v1
	v_lshrrev_b32_e32 v11, 16, v2
	v_and_b32_e32 v12, 0xffff, v2
	;;#ASMSTART
	v_cvt_f32_f16 v1, v9;
	;;#ASMEND
	;;#ASMSTART
	v_cvt_f32_f16 v2, v10;
	;;#ASMEND
	;; [unrolled: 3-line block ×4, first 2 shown]
	v_fmac_f32_e32 v5, v1, v9
	v_fmac_f32_e32 v6, v2, v10
	;;#ASMSTART
	v_cvt_f32_f16 v1, v12;
	;;#ASMEND
	;;#ASMSTART
	v_cvt_f32_f16 v2, v11;
	;;#ASMEND
	;; [unrolled: 3-line block ×3, first 2 shown]
	v_fmac_f32_e32 v7, v1, v9
	v_add_f32_e32 v1, v5, v6
	v_and_b32_e32 v5, 0xffff, v3
	v_lshrrev_b32_e32 v6, 16, v3
	;;#ASMSTART
	v_cvt_f32_f16 v3, v74;
	;;#ASMEND
	v_fmac_f32_e32 v8, v2, v3
	v_add_f32_e32 v1, v1, v7
	;;#ASMSTART
	v_cvt_f32_f16 v2, v5;
	;;#ASMEND
	;;#ASMSTART
	v_cvt_f32_f16 v3, v6;
	;;#ASMEND
	;; [unrolled: 3-line block ×3, first 2 shown]
	v_fmac_f32_e32 v56, v2, v5
	v_add_f32_e32 v1, v8, v1
	;;#ASMSTART
	v_cvt_f32_f16 v2, v76;
	;;#ASMEND
	v_fmac_f32_e32 v57, v3, v2
	v_and_b32_e32 v5, 0xffff, v4
	v_lshrrev_b32_e32 v4, 16, v4
	v_add_f32_e32 v1, v1, v56
	;;#ASMSTART
	v_cvt_f32_f16 v2, v5;
	;;#ASMEND
	;;#ASMSTART
	v_cvt_f32_f16 v3, v4;
	;;#ASMEND
	;; [unrolled: 3-line block ×3, first 2 shown]
	v_fmac_f32_e32 v58, v2, v4
	v_add_f32_e32 v1, v57, v1
	v_mul_f32_e32 v2, s31, v51
	;;#ASMSTART
	v_cvt_f32_f16 v4, v78;
	;;#ASMEND
	v_fmac_f32_e32 v59, v3, v4
	v_max_f32_e32 v3, v21, v21
	v_add_f32_e32 v1, v1, v58
	v_cndmask_b32_e32 v2, 0, v2, vcc_lo
	v_add_f32_e32 v1, v59, v1
	v_fmac_f32_e32 v2, s3, v1
	v_add_nc_u32_e32 v1, v16, v23
	v_max_f32_e32 v3, v3, v2
	v_cmp_gt_i32_e64 s1, s28, v1
	v_cndmask_b32_e64 v1, 0, v2, s1
	v_cndmask_b32_e64 v21, v21, v3, s1
	ds_write_b32 v26, v1
	s_branch .LBB90_10
.LBB90_15:
	s_or_b32 exec_lo, exec_lo, s15
.LBB90_16:
	s_or_b32 exec_lo, exec_lo, s33
	v_mbcnt_lo_u32_b32 v2, -1, 0
	v_max_f32_e32 v5, v21, v21
	v_xor_b32_e32 v1, 16, v2
	v_xor_b32_e32 v4, 8, v2
	v_cmp_gt_i32_e32 vcc_lo, 32, v1
	v_cndmask_b32_e32 v1, v2, v1, vcc_lo
	v_cmp_gt_i32_e32 vcc_lo, 32, v4
	v_lshlrev_b32_e32 v1, 2, v1
	v_cndmask_b32_e32 v4, v2, v4, vcc_lo
	ds_bpermute_b32 v3, v1, v21
	s_waitcnt lgkmcnt(0)
	v_max_f32_e32 v6, v3, v3
	v_lshlrev_b32_e32 v3, 2, v4
	v_max_f32_e32 v5, v5, v6
	v_xor_b32_e32 v6, 4, v2
	ds_bpermute_b32 v4, v3, v5
	v_cmp_gt_i32_e32 vcc_lo, 32, v6
	v_cndmask_b32_e32 v6, v2, v6, vcc_lo
	s_waitcnt lgkmcnt(0)
	v_max_f32_e32 v7, v4, v4
	v_lshlrev_b32_e32 v4, 2, v6
	v_max_f32_e32 v5, v5, v7
	v_xor_b32_e32 v7, 2, v2
	ds_bpermute_b32 v6, v4, v5
	v_cmp_gt_i32_e32 vcc_lo, 32, v7
	v_cndmask_b32_e32 v7, v2, v7, vcc_lo
	v_lshlrev_b32_e32 v9, 2, v7
	v_xor_b32_e32 v7, 1, v2
	v_cmp_gt_i32_e32 vcc_lo, 32, v7
	s_waitcnt lgkmcnt(0)
	v_max_f32_e32 v6, v6, v6
	v_cndmask_b32_e32 v7, v2, v7, vcc_lo
	v_cmp_eq_u32_e32 vcc_lo, 0, v16
	v_max_f32_e32 v5, v5, v6
	v_lshlrev_b32_e32 v10, 2, v7
	ds_bpermute_b32 v6, v9, v5
	s_waitcnt lgkmcnt(0)
	v_max_f32_e32 v6, v6, v6
	v_max_f32_e32 v2, v5, v6
	v_lshlrev_b32_e32 v5, 2, v15
	ds_bpermute_b32 v6, v10, v2
	s_and_saveexec_b32 s1, vcc_lo
	s_cbranch_execz .LBB90_18
; %bb.17:
	s_waitcnt lgkmcnt(0)
	v_max_f32_e32 v6, v6, v6
	v_max_f32_e32 v2, v2, v2
	;; [unrolled: 1-line block ×3, first 2 shown]
	ds_write_b32 v5, v2 offset:64
.LBB90_18:
	s_or_b32 exec_lo, exec_lo, s1
	v_cmp_gt_u32_e64 s1, 4, v16
	v_mov_b32_e32 v2, 0xff7fffff
	s_waitcnt lgkmcnt(0)
	s_barrier
	buffer_gl0_inv
	s_and_saveexec_b32 s2, s1
; %bb.19:
	ds_read_b32 v2, v20 offset:64
; %bb.20:
	s_or_b32 exec_lo, exec_lo, s2
	s_waitcnt lgkmcnt(0)
	ds_bpermute_b32 v6, v9, v2
	v_max_f32_e32 v2, v2, v2
	s_lshl_b32 s2, s16, 5
	s_min_i32 s4, s2, s28
	v_cmp_gt_i32_e64 s2, s4, v0
	s_waitcnt lgkmcnt(0)
	v_max_f32_e32 v6, v6, v6
	v_max_f32_e32 v2, v2, v6
	ds_bpermute_b32 v6, v10, v2
	s_waitcnt lgkmcnt(0)
	v_max_f32_e32 v6, v6, v6
	v_max_f32_e32 v2, v2, v6
	v_mov_b32_e32 v6, 0
	ds_bpermute_b32 v7, v6, v2
	v_lshl_add_u32 v2, v0, 2, 0x60
	s_and_saveexec_b32 s5, s2
	s_cbranch_execz .LBB90_24
; %bb.21:
	v_lshl_add_u32 v8, v0, 2, 0x60
	v_mov_b32_e32 v6, 0
	v_mov_b32_e32 v11, v0
	s_mov_b32 s15, 0
	.p2align	6
.LBB90_22:                              ; =>This Inner Loop Header: Depth=1
	ds_read_b32 v12, v8
	v_add_nc_u32_e32 v11, 0x80, v11
	v_cmp_le_i32_e64 s3, s4, v11
	s_or_b32 s15, s3, s15
	s_waitcnt lgkmcnt(0)
	v_sub_f32_e32 v12, v12, v7
	v_mul_f32_e32 v12, 0x3fb8aa3b, v12
	v_exp_f32_e32 v12, v12
	ds_write_b32 v8, v12
	v_add_f32_e32 v6, v6, v12
	v_add_nc_u32_e32 v8, 0x200, v8
	s_andn2_b32 exec_lo, exec_lo, s15
	s_cbranch_execnz .LBB90_22
; %bb.23:
	s_or_b32 exec_lo, exec_lo, s15
.LBB90_24:
	s_or_b32 exec_lo, exec_lo, s5
	ds_bpermute_b32 v1, v1, v6
	s_waitcnt lgkmcnt(0)
	v_add_f32_e32 v1, v6, v1
	ds_bpermute_b32 v3, v3, v1
	s_waitcnt lgkmcnt(0)
	v_add_f32_e32 v1, v1, v3
	;; [unrolled: 3-line block ×5, first 2 shown]
	s_and_saveexec_b32 s3, vcc_lo
; %bb.25:
	ds_write_b32 v5, v1 offset:80
; %bb.26:
	s_or_b32 exec_lo, exec_lo, s3
	s_waitcnt lgkmcnt(0)
	s_barrier
	buffer_gl0_inv
	s_and_saveexec_b32 s3, s1
; %bb.27:
	ds_read_b32 v1, v20 offset:80
; %bb.28:
	s_or_b32 exec_lo, exec_lo, s3
	s_waitcnt lgkmcnt(0)
	ds_bpermute_b32 v3, v9, v1
	s_waitcnt lgkmcnt(0)
	v_add_f32_e32 v1, v1, v3
	ds_bpermute_b32 v3, v10, v1
	s_waitcnt lgkmcnt(0)
	v_add_f32_e32 v1, v1, v3
	v_mov_b32_e32 v3, 0
	ds_bpermute_b32 v1, v3, v1
	s_and_saveexec_b32 s1, s2
	s_cbranch_execz .LBB90_31
; %bb.29:
	s_waitcnt lgkmcnt(0)
	v_add_f32_e32 v1, 0x358637bd, v1
	s_mov_b32 s2, 0
	v_div_scale_f32 v3, null, v1, v1, 1.0
	v_div_scale_f32 v6, vcc_lo, 1.0, v1, 1.0
	v_rcp_f32_e32 v4, v3
	v_fma_f32 v5, -v3, v4, 1.0
	v_fmac_f32_e32 v4, v5, v4
	v_mul_f32_e32 v5, v6, v4
	v_fma_f32 v7, -v3, v5, v6
	v_fmac_f32_e32 v5, v7, v4
	v_fma_f32 v3, -v3, v5, v6
	v_div_fmas_f32 v3, v3, v4, v5
	v_div_fixup_f32 v1, v3, v1, 1.0
	v_mov_b32_e32 v3, v0
.LBB90_30:                              ; =>This Inner Loop Header: Depth=1
	ds_read_b32 v4, v2
	v_add_nc_u32_e32 v3, 0x80, v3
	v_cmp_le_i32_e32 vcc_lo, s4, v3
	s_or_b32 s2, vcc_lo, s2
	s_waitcnt lgkmcnt(0)
	v_mul_f32_e32 v4, v1, v4
	ds_write_b32 v2, v4
	v_add_nc_u32_e32 v2, 0x200, v2
	s_andn2_b32 exec_lo, exec_lo, s2
	s_cbranch_execnz .LBB90_30
.LBB90_31:
	s_or_b32 exec_lo, exec_lo, s1
	v_mov_b32_e32 v14, 0
	v_and_b32_e32 v11, 3, v0
	v_mov_b32_e32 v20, 0
	v_mov_b32_e32 v13, 0
	;; [unrolled: 1-line block ×3, first 2 shown]
	s_waitcnt lgkmcnt(0)
	s_barrier
	buffer_gl0_inv
	s_and_saveexec_b32 s2, s0
	s_cbranch_execz .LBB90_45
; %bb.32:
	s_ashr_i32 s15, s14, 31
	s_sub_i32 s3, s30, s17
	s_lshl_b64 s[0:1], s[14:15], 1
	v_lshlrev_b32_e32 v2, 3, v0
	s_add_u32 s14, s26, s0
	s_addc_u32 s15, s27, s1
	s_abs_i32 s4, s18
	v_and_b32_e32 v4, 0x7c, v19
	v_cvt_f32_u32_e32 v1, s4
	s_sub_i32 s0, 0, s4
	v_and_b32_e32 v19, 24, v2
	v_lshlrev_b32_e32 v5, 5, v11
	v_and_b32_e32 v3, 0x1f0, v18
	v_rcp_iflag_f32_e32 v1, v1
	s_add_i32 s5, s16, -1
	v_mov_b32_e32 v18, 0
	v_lshl_or_b32 v5, v15, 7, v5
	v_add_co_u32 v21, s14, s14, v3
	v_mov_b32_e32 v12, 0
	v_mov_b32_e32 v13, 0
	v_add_nc_u32_e32 v23, 0x60, v5
	v_mov_b32_e32 v20, 0
	v_mul_f32_e32 v1, 0x4f7ffffe, v1
	v_mov_b32_e32 v14, 0
	v_add_co_ci_u32_e64 v22, null, s15, 0, s14
	v_mov_b32_e32 v25, v15
	v_cvt_u32_f32_e32 v1, v1
	s_mov_b32 s14, s13
	s_mov_b32 s13, 0
	v_mul_lo_u32 v2, s0, v1
	s_lshl_b64 s[0:1], s[24:25], 2
	s_add_u32 s0, s22, s0
	s_addc_u32 s1, s23, s1
	v_add_co_u32 v5, s0, s0, v4
	v_add_co_ci_u32_e64 v6, null, s1, 0, s0
	v_mul_hi_u32 v2, v1, v2
	v_add_nc_u32_e32 v24, v1, v2
	s_branch .LBB90_35
.LBB90_33:                              ;   in Loop: Header=BB90_35 Depth=1
	s_or_b32 exec_lo, exec_lo, s1
	v_lshlrev_b32_e32 v26, 16, v44
	v_lshlrev_b32_e32 v8, 16, v8
	;; [unrolled: 1-line block ×3, first 2 shown]
	v_and_or_b32 v1, 0xffff, v1, v26
	v_and_or_b32 v2, 0xffff, v2, v8
	;; [unrolled: 1-line block ×3, first 2 shown]
	;;#ASMSTART
	v_pk_mul_f16 v1, v35, v1;

	;;#ASMEND
	;;#ASMSTART
	v_pk_mul_f16 v2, v34, v2;

	;;#ASMEND
	;; [unrolled: 4-line block ×4, first 2 shown]
	;;#ASMSTART
	v_pk_add_f16 v1, v1, v2;

	;;#ASMEND
	;;#ASMSTART
	v_pk_add_f16 v1, v1, v3;

	;;#ASMEND
	;; [unrolled: 4-line block ×3, first 2 shown]
	v_and_b32_e32 v4, 0xffff, v1
	v_lshrrev_b32_e32 v7, 16, v1
	;;#ASMSTART
	v_cvt_f32_f16 v4, v4;
	;;#ASMEND
	v_add_f32_e32 v1, v42, v43
	v_add_f32_e32 v2, v40, v41
	;; [unrolled: 1-line block ×3, first 2 shown]
	;;#ASMSTART
	v_cvt_f32_f16 v7, v7;
	;;#ASMEND
	v_add_f32_e32 v4, v4, v7
	v_add_f32_e32 v13, v13, v1
	;; [unrolled: 1-line block ×5, first 2 shown]
.LBB90_34:                              ;   in Loop: Header=BB90_35 Depth=1
	s_or_b32 exec_lo, exec_lo, s15
	v_add_nc_u32_e32 v25, 4, v25
	v_add_co_u32 v5, s0, v5, 16
	v_add_co_ci_u32_e64 v6, null, 0, v6, s0
	v_cmp_le_i32_e32 vcc_lo, s16, v25
	v_add_nc_u32_e32 v17, 0x80, v17
	v_add_nc_u32_e32 v23, 0x200, v23
	s_or_b32 s13, vcc_lo, s13
	s_andn2_b32 exec_lo, exec_lo, s13
	s_cbranch_execz .LBB90_44
.LBB90_35:                              ; =>This Inner Loop Header: Depth=1
	v_mul_hi_u32 v1, v17, s21
	v_mul_lo_u32 v2, v1, s12
	v_add_nc_u32_e32 v3, 1, v1
	v_sub_nc_u32_e32 v2, v17, v2
	v_subrev_nc_u32_e32 v4, s12, v2
	v_cmp_le_u32_e32 vcc_lo, s12, v2
	v_cndmask_b32_e32 v1, v1, v3, vcc_lo
	v_cndmask_b32_e32 v2, v2, v4, vcc_lo
	v_add_nc_u32_e32 v3, 1, v1
	v_cmp_le_u32_e32 vcc_lo, s12, v2
	v_cndmask_b32_e32 v1, v1, v3, vcc_lo
	v_xor_b32_e32 v1, s19, v1
	v_subrev_nc_u32_e32 v1, s19, v1
	v_add_nc_u32_e32 v2, s29, v1
	v_cmp_lt_i32_e64 s0, s3, v1
	v_sub_nc_u32_e32 v3, 0, v2
	v_max_i32_e32 v3, v2, v3
	v_ashrrev_i32_e32 v2, 31, v2
	v_mul_hi_u32 v4, v3, v24
	v_mul_lo_u32 v4, v4, s4
	v_sub_nc_u32_e32 v3, v3, v4
	v_subrev_nc_u32_e32 v4, s4, v3
	v_cmp_le_u32_e32 vcc_lo, s4, v3
	v_cndmask_b32_e32 v3, v3, v4, vcc_lo
	v_subrev_nc_u32_e32 v4, s4, v3
	v_cmp_le_u32_e32 vcc_lo, s4, v3
	v_cndmask_b32_e32 v3, v3, v4, vcc_lo
	v_xor_b32_e32 v3, v3, v2
	v_sub_nc_u32_e32 v2, v3, v2
	v_cmp_eq_u32_e32 vcc_lo, 0, v2
	s_or_b32 s0, vcc_lo, s0
	s_and_saveexec_b32 s15, s0
	s_cbranch_execz .LBB90_34
; %bb.36:                               ;   in Loop: Header=BB90_35 Depth=1
	global_load_dword v7, v[5:6], off
	ds_read2_b64 v[1:4], v23 offset1:1
	ds_read2_b64 v[26:29], v23 offset0:2 offset1:3
	v_add_nc_u32_e32 v31, v19, v17
	v_cmp_eq_u32_e64 s0, s5, v25
	s_waitcnt lgkmcnt(1)
	;;#ASMSTART
	v_cvt_f16_f32 v35, v1;

	;;#ASMEND
	;;#ASMSTART
	v_cvt_f16_f32 v34, v2;

	;;#ASMEND
	;;#ASMSTART
	v_cvt_f16_f32 v40, v3;

	;;#ASMEND
	;;#ASMSTART
	v_cvt_f16_f32 v38, v4;

	;;#ASMEND
	s_waitcnt lgkmcnt(0)
	;;#ASMSTART
	v_cvt_f16_f32 v41, v26;

	;;#ASMEND
	;;#ASMSTART
	v_cvt_f16_f32 v37, v27;

	;;#ASMEND
	;; [unrolled: 4-line block ×4, first 2 shown]
	v_add_nc_u32_e32 v33, 1, v31
	v_add_nc_u32_e32 v30, 2, v31
	;; [unrolled: 1-line block ×7, first 2 shown]
	s_waitcnt vmcnt(0)
	v_mad_i64_i32 v[7:8], null, v7, s14, 0
	v_lshlrev_b64 v[7:8], 1, v[7:8]
	v_add_co_u32 v7, vcc_lo, v21, v7
	v_add_co_ci_u32_e64 v8, null, v22, v8, vcc_lo
	global_load_dwordx4 v[1:4], v[7:8], off
	s_waitcnt vmcnt(0)
	v_lshrrev_b32_e32 v44, 16, v1
	v_lshrrev_b32_e32 v43, 16, v2
	;; [unrolled: 1-line block ×3, first 2 shown]
	s_and_saveexec_b32 s17, s0
	s_cbranch_execz .LBB90_38
; %bb.37:                               ;   in Loop: Header=BB90_35 Depth=1
	v_cmp_gt_i32_e32 vcc_lo, s28, v31
	v_and_b32_e32 v45, 0xffff0000, v4
	v_cmp_gt_i32_e64 s1, s28, v30
	v_cndmask_b32_e32 v1, 0, v1, vcc_lo
	v_cmp_gt_i32_e32 vcc_lo, s28, v33
	v_cndmask_b32_e64 v2, 0, v2, s1
	v_cmp_gt_i32_e64 s1, s28, v29
	v_cndmask_b32_e32 v44, 0, v44, vcc_lo
	v_cmp_gt_i32_e32 vcc_lo, s28, v32
	v_cndmask_b32_e64 v43, 0, v43, s1
	v_cndmask_b32_sdwa v4, v18, v4, vcc_lo dst_sel:DWORD dst_unused:UNUSED_PAD src0_sel:DWORD src1_sel:WORD_0
	v_cmp_gt_i32_e32 vcc_lo, s28, v28
	v_cndmask_b32_e32 v45, 0, v45, vcc_lo
	v_cmp_gt_i32_e32 vcc_lo, s28, v27
	v_or_b32_e32 v4, v4, v45
	v_cndmask_b32_e32 v3, 0, v3, vcc_lo
	v_cmp_gt_i32_e32 vcc_lo, s28, v26
	v_cndmask_b32_e32 v42, 0, v42, vcc_lo
.LBB90_38:                              ;   in Loop: Header=BB90_35 Depth=1
	s_or_b32 exec_lo, exec_lo, s17
	v_and_b32_e32 v35, 0xffff, v35
	v_and_b32_e32 v40, 0xffff, v40
	v_lshlrev_b32_e32 v44, 16, v44
	v_lshlrev_b32_e32 v42, 16, v42
	v_and_b32_e32 v41, 0xffff, v41
	v_lshl_or_b32 v35, v34, 16, v35
	v_lshl_or_b32 v34, v38, 16, v40
	v_lshlrev_b32_e32 v40, 16, v43
	v_and_b32_e32 v39, 0xffff, v39
	v_and_or_b32 v1, 0xffff, v1, v44
	v_and_or_b32 v3, 0xffff, v3, v42
	;;#ASMSTART
	v_pk_mul_f16 v1, v35, v1;

	;;#ASMEND
	v_and_or_b32 v2, 0xffff, v2, v40
	v_lshl_or_b32 v38, v37, 16, v41
	v_lshl_or_b32 v39, v36, 16, v39
	;;#ASMSTART
	v_pk_mul_f16 v2, v34, v2;

	;;#ASMEND
	;;#ASMSTART
	v_pk_mul_f16 v3, v38, v3;

	;;#ASMEND
	;; [unrolled: 4-line block ×3, first 2 shown]
	;;#ASMSTART
	v_pk_add_f16 v1, v1, v2;

	;;#ASMEND
	;;#ASMSTART
	v_pk_add_f16 v1, v1, v3;

	;;#ASMEND
	;;#ASMSTART
	v_pk_add_f16 v1, v1, v4;

	;;#ASMEND
	v_and_b32_e32 v2, 0xffff, v1
	v_lshrrev_b32_e32 v1, 16, v1
	;;#ASMSTART
	v_cvt_f32_f16 v36, v2;
	;;#ASMEND
	;;#ASMSTART
	v_cvt_f32_f16 v37, v1;
	;;#ASMEND
	global_load_dwordx4 v[1:4], v[7:8], off offset:512
	s_waitcnt vmcnt(0)
	v_lshrrev_b32_e32 v42, 16, v1
	v_lshrrev_b32_e32 v41, 16, v2
	;; [unrolled: 1-line block ×3, first 2 shown]
	s_and_saveexec_b32 s17, s0
	s_cbranch_execz .LBB90_40
; %bb.39:                               ;   in Loop: Header=BB90_35 Depth=1
	v_cmp_gt_i32_e32 vcc_lo, s28, v31
	v_and_b32_e32 v43, 0xffff0000, v4
	v_cmp_gt_i32_e64 s1, s28, v30
	v_cndmask_b32_e32 v1, 0, v1, vcc_lo
	v_cmp_gt_i32_e32 vcc_lo, s28, v33
	v_cndmask_b32_e64 v2, 0, v2, s1
	v_cmp_gt_i32_e64 s1, s28, v29
	v_cndmask_b32_e32 v42, 0, v42, vcc_lo
	v_cmp_gt_i32_e32 vcc_lo, s28, v32
	v_cndmask_b32_e64 v41, 0, v41, s1
	v_cndmask_b32_sdwa v4, v18, v4, vcc_lo dst_sel:DWORD dst_unused:UNUSED_PAD src0_sel:DWORD src1_sel:WORD_0
	v_cmp_gt_i32_e32 vcc_lo, s28, v28
	v_cndmask_b32_e32 v43, 0, v43, vcc_lo
	v_cmp_gt_i32_e32 vcc_lo, s28, v27
	v_or_b32_e32 v4, v4, v43
	v_cndmask_b32_e32 v3, 0, v3, vcc_lo
	v_cmp_gt_i32_e32 vcc_lo, s28, v26
	v_cndmask_b32_e32 v40, 0, v40, vcc_lo
.LBB90_40:                              ;   in Loop: Header=BB90_35 Depth=1
	s_or_b32 exec_lo, exec_lo, s17
	v_lshlrev_b32_e32 v42, 16, v42
	v_lshlrev_b32_e32 v41, 16, v41
	;; [unrolled: 1-line block ×3, first 2 shown]
	v_and_or_b32 v1, 0xffff, v1, v42
	v_and_or_b32 v2, 0xffff, v2, v41
	;; [unrolled: 1-line block ×3, first 2 shown]
	;;#ASMSTART
	v_pk_mul_f16 v1, v35, v1;

	;;#ASMEND
	;;#ASMSTART
	v_pk_mul_f16 v2, v34, v2;

	;;#ASMEND
	;; [unrolled: 4-line block ×4, first 2 shown]
	;;#ASMSTART
	v_pk_add_f16 v1, v1, v2;

	;;#ASMEND
	;;#ASMSTART
	v_pk_add_f16 v1, v1, v3;

	;;#ASMEND
	;;#ASMSTART
	v_pk_add_f16 v1, v1, v4;

	;;#ASMEND
	v_and_b32_e32 v2, 0xffff, v1
	v_lshrrev_b32_e32 v1, 16, v1
	;;#ASMSTART
	v_cvt_f32_f16 v40, v2;
	;;#ASMEND
	;;#ASMSTART
	v_cvt_f32_f16 v41, v1;
	;;#ASMEND
	global_load_dwordx4 v[1:4], v[7:8], off offset:1024
	s_waitcnt vmcnt(0)
	v_lshrrev_b32_e32 v44, 16, v1
	v_lshrrev_b32_e32 v43, 16, v2
	;; [unrolled: 1-line block ×3, first 2 shown]
	s_and_saveexec_b32 s17, s0
	s_cbranch_execz .LBB90_42
; %bb.41:                               ;   in Loop: Header=BB90_35 Depth=1
	v_cmp_gt_i32_e32 vcc_lo, s28, v31
	v_and_b32_e32 v45, 0xffff0000, v4
	v_cmp_gt_i32_e64 s1, s28, v30
	v_cndmask_b32_e32 v1, 0, v1, vcc_lo
	v_cmp_gt_i32_e32 vcc_lo, s28, v33
	v_cndmask_b32_e64 v2, 0, v2, s1
	v_cmp_gt_i32_e64 s1, s28, v29
	v_cndmask_b32_e32 v44, 0, v44, vcc_lo
	v_cmp_gt_i32_e32 vcc_lo, s28, v32
	v_cndmask_b32_e64 v43, 0, v43, s1
	v_cndmask_b32_sdwa v4, v18, v4, vcc_lo dst_sel:DWORD dst_unused:UNUSED_PAD src0_sel:DWORD src1_sel:WORD_0
	v_cmp_gt_i32_e32 vcc_lo, s28, v28
	v_cndmask_b32_e32 v45, 0, v45, vcc_lo
	v_cmp_gt_i32_e32 vcc_lo, s28, v27
	v_or_b32_e32 v4, v4, v45
	v_cndmask_b32_e32 v3, 0, v3, vcc_lo
	v_cmp_gt_i32_e32 vcc_lo, s28, v26
	v_cndmask_b32_e32 v42, 0, v42, vcc_lo
.LBB90_42:                              ;   in Loop: Header=BB90_35 Depth=1
	s_or_b32 exec_lo, exec_lo, s17
	v_lshlrev_b32_e32 v44, 16, v44
	v_lshlrev_b32_e32 v43, 16, v43
	;; [unrolled: 1-line block ×3, first 2 shown]
	v_and_or_b32 v1, 0xffff, v1, v44
	v_and_or_b32 v2, 0xffff, v2, v43
	;; [unrolled: 1-line block ×3, first 2 shown]
	;;#ASMSTART
	v_pk_mul_f16 v1, v35, v1;

	;;#ASMEND
	;;#ASMSTART
	v_pk_mul_f16 v2, v34, v2;

	;;#ASMEND
	;; [unrolled: 4-line block ×4, first 2 shown]
	;;#ASMSTART
	v_pk_add_f16 v1, v1, v2;

	;;#ASMEND
	;;#ASMSTART
	v_pk_add_f16 v1, v1, v3;

	;;#ASMEND
	;; [unrolled: 4-line block ×3, first 2 shown]
	v_and_b32_e32 v2, 0xffff, v1
	v_lshrrev_b32_e32 v1, 16, v1
	;;#ASMSTART
	v_cvt_f32_f16 v42, v2;
	;;#ASMEND
	;;#ASMSTART
	v_cvt_f32_f16 v43, v1;
	;;#ASMEND
	global_load_dwordx4 v[1:4], v[7:8], off offset:1536
	s_waitcnt vmcnt(0)
	v_lshrrev_b32_e32 v44, 16, v1
	v_lshrrev_b32_e32 v8, 16, v2
	;; [unrolled: 1-line block ×3, first 2 shown]
	s_and_saveexec_b32 s1, s0
	s_cbranch_execz .LBB90_33
; %bb.43:                               ;   in Loop: Header=BB90_35 Depth=1
	v_cmp_gt_i32_e32 vcc_lo, s28, v31
	v_cmp_gt_i32_e64 s0, s28, v30
	v_cndmask_b32_e32 v1, 0, v1, vcc_lo
	v_cmp_gt_i32_e32 vcc_lo, s28, v33
	v_cndmask_b32_e64 v2, 0, v2, s0
	v_cmp_gt_i32_e64 s0, s28, v29
	v_and_b32_e32 v29, 0xffff0000, v4
	v_cndmask_b32_e32 v44, 0, v44, vcc_lo
	v_cmp_gt_i32_e32 vcc_lo, s28, v32
	v_cndmask_b32_e64 v8, 0, v8, s0
	v_cndmask_b32_sdwa v4, v18, v4, vcc_lo dst_sel:DWORD dst_unused:UNUSED_PAD src0_sel:DWORD src1_sel:WORD_0
	v_cmp_gt_i32_e32 vcc_lo, s28, v28
	v_cndmask_b32_e32 v28, 0, v29, vcc_lo
	v_cmp_gt_i32_e32 vcc_lo, s28, v27
	v_or_b32_e32 v4, v4, v28
	v_cndmask_b32_e32 v3, 0, v3, vcc_lo
	v_cmp_gt_i32_e32 vcc_lo, s28, v26
	v_cndmask_b32_e32 v7, 0, v7, vcc_lo
	s_branch .LBB90_33
.LBB90_44:
	s_or_b32 exec_lo, exec_lo, s13
.LBB90_45:
	s_or_b32 exec_lo, exec_lo, s2
	ds_bpermute_b32 v1, v9, v14
	ds_bpermute_b32 v2, v9, v20
	ds_bpermute_b32 v3, v9, v13
	ds_bpermute_b32 v4, v9, v12
	v_lshrrev_b32_e32 v5, 2, v16
	s_mov_b32 s0, exec_lo
	s_waitcnt lgkmcnt(0)
	s_barrier
	buffer_gl0_inv
	v_add_f32_e32 v1, v14, v1
	v_add_f32_e32 v2, v20, v2
	;; [unrolled: 1-line block ×4, first 2 shown]
	v_and_b32_e32 v4, 28, v16
	ds_bpermute_b32 v3, v10, v1
	ds_bpermute_b32 v9, v10, v2
	;; [unrolled: 1-line block ×4, first 2 shown]
	v_and_b32_e32 v13, 0x3c3, v0
	v_add_nc_u32_e32 v6, 0x60, v4
	s_waitcnt lgkmcnt(3)
	v_add_f32_e32 v4, v1, v3
	s_waitcnt lgkmcnt(2)
	v_add_f32_e32 v3, v2, v9
	s_waitcnt lgkmcnt(1)
	v_add_f32_e32 v2, v7, v12
	s_waitcnt lgkmcnt(0)
	v_add_f32_e32 v1, v8, v10
	v_cmpx_eq_u32_e32 64, v13
	s_cbranch_execz .LBB90_47
; %bb.46:
	v_lshl_add_u32 v7, v15, 7, v6
	v_add_nc_u32_e32 v8, 0xffffff00, v7
	v_add_nc_u32_e32 v9, 0xffffff20, v7
	;; [unrolled: 1-line block ×4, first 2 shown]
	ds_write_b32 v8, v4
	ds_write_b32 v9, v3
	;; [unrolled: 1-line block ×4, first 2 shown]
.LBB90_47:
	s_or_b32 exec_lo, exec_lo, s0
	v_and_b32_e32 v7, 0x3e0, v0
	v_lshlrev_b32_e32 v5, 2, v5
	s_mov_b32 s1, exec_lo
	v_cmp_eq_u32_e32 vcc_lo, 0, v11
	s_waitcnt lgkmcnt(0)
	v_lshlrev_b32_e32 v7, 2, v7
	s_barrier
	buffer_gl0_inv
	v_add3_u32 v5, 0x60, v7, v5
	v_cmpx_gt_u32_e32 64, v0
	s_cbranch_execz .LBB90_54
; %bb.48:
	s_and_saveexec_b32 s0, vcc_lo
	s_cbranch_execnz .LBB90_66
; %bb.49:
	s_or_b32 exec_lo, exec_lo, s0
	s_and_saveexec_b32 s0, vcc_lo
	s_cbranch_execnz .LBB90_67
.LBB90_50:
	s_or_b32 exec_lo, exec_lo, s0
	s_and_saveexec_b32 s0, vcc_lo
	s_cbranch_execnz .LBB90_68
.LBB90_51:
	s_or_b32 exec_lo, exec_lo, s0
	s_and_saveexec_b32 s0, vcc_lo
	s_cbranch_execz .LBB90_53
.LBB90_52:
	ds_read_b32 v7, v5 offset:96
	s_waitcnt lgkmcnt(0)
	v_add_f32_e32 v1, v1, v7
.LBB90_53:
	s_or_b32 exec_lo, exec_lo, s0
.LBB90_54:
	s_or_b32 exec_lo, exec_lo, s1
	v_and_b32_e32 v7, 0x3e3, v0
	s_mov_b32 s1, exec_lo
	s_barrier
	buffer_gl0_inv
	v_cmpx_eq_u32_e32 32, v7
	s_cbranch_execz .LBB90_56
; %bb.55:
	ds_write2_b32 v6, v4, v3 offset1:8
	ds_write2_b32 v6, v2, v1 offset0:16 offset1:24
.LBB90_56:
	s_or_b32 exec_lo, exec_lo, s1
	s_mov_b32 s1, exec_lo
	s_waitcnt lgkmcnt(0)
	s_barrier
	buffer_gl0_inv
	v_cmpx_gt_u32_e32 32, v0
	s_cbranch_execz .LBB90_63
; %bb.57:
	s_and_saveexec_b32 s0, vcc_lo
	s_cbranch_execnz .LBB90_69
; %bb.58:
	s_or_b32 exec_lo, exec_lo, s0
	s_and_saveexec_b32 s0, vcc_lo
	s_cbranch_execnz .LBB90_70
.LBB90_59:
	s_or_b32 exec_lo, exec_lo, s0
	s_and_saveexec_b32 s0, vcc_lo
	s_cbranch_execnz .LBB90_71
.LBB90_60:
	s_or_b32 exec_lo, exec_lo, s0
	s_and_saveexec_b32 s0, vcc_lo
	s_cbranch_execz .LBB90_62
.LBB90_61:
	ds_read_b32 v5, v5 offset:96
	s_waitcnt lgkmcnt(0)
	v_add_f32_e32 v1, v1, v5
.LBB90_62:
	s_or_b32 exec_lo, exec_lo, s0
.LBB90_63:
	s_or_b32 exec_lo, exec_lo, s1
	s_barrier
	buffer_gl0_inv
	s_mov_b32 s0, exec_lo
	v_cmpx_eq_u32_e32 0, v7
	s_cbranch_execz .LBB90_65
; %bb.64:
	s_mul_i32 s0, s10, s11
	s_mul_i32 s2, s11, s20
	;; [unrolled: 1-line block ×3, first 2 shown]
	v_lshrrev_b32_e32 v0, 1, v0
	s_lshl_b32 s0, s0, 5
	;;#ASMSTART
	v_cvt_f16_f32 v4, v4;

	;;#ASMEND
	s_ashr_i32 s1, s0, 31
	s_lshl_b64 s[0:1], s[0:1], 1
	s_add_u32 s4, s6, s0
	s_addc_u32 s5, s7, s1
	s_ashr_i32 s3, s2, 31
	s_lshl_b64 s[0:1], s[2:3], 1
	s_add_u32 s2, s4, s0
	s_addc_u32 s3, s5, s1
	s_lshl_b32 s0, s8, 5
	s_ashr_i32 s1, s0, 31
	s_lshl_b64 s[0:1], s[0:1], 1
	s_add_u32 s0, s2, s0
	s_addc_u32 s1, s3, s1
	global_store_short v0, v4, s[0:1]
	;;#ASMSTART
	v_cvt_f16_f32 v3, v3;

	;;#ASMEND
	global_store_short v0, v3, s[0:1] offset:16
	;;#ASMSTART
	v_cvt_f16_f32 v2, v2;

	;;#ASMEND
	global_store_short v0, v2, s[0:1] offset:32
	;; [unrolled: 5-line block ×3, first 2 shown]
.LBB90_65:
	s_endpgm
.LBB90_66:
	ds_read_b32 v7, v5
	s_waitcnt lgkmcnt(0)
	v_add_f32_e32 v4, v4, v7
	s_or_b32 exec_lo, exec_lo, s0
	s_and_saveexec_b32 s0, vcc_lo
	s_cbranch_execz .LBB90_50
.LBB90_67:
	ds_read_b32 v7, v5 offset:32
	s_waitcnt lgkmcnt(0)
	v_add_f32_e32 v3, v3, v7
	s_or_b32 exec_lo, exec_lo, s0
	s_and_saveexec_b32 s0, vcc_lo
	s_cbranch_execz .LBB90_51
.LBB90_68:
	ds_read_b32 v7, v5 offset:64
	s_waitcnt lgkmcnt(0)
	v_add_f32_e32 v2, v2, v7
	s_or_b32 exec_lo, exec_lo, s0
	s_and_saveexec_b32 s0, vcc_lo
	s_cbranch_execnz .LBB90_52
	s_branch .LBB90_53
.LBB90_69:
	ds_read_b32 v6, v5
	s_waitcnt lgkmcnt(0)
	v_add_f32_e32 v4, v4, v6
	s_or_b32 exec_lo, exec_lo, s0
	s_and_saveexec_b32 s0, vcc_lo
	s_cbranch_execz .LBB90_59
.LBB90_70:
	ds_read_b32 v6, v5 offset:32
	s_waitcnt lgkmcnt(0)
	v_add_f32_e32 v3, v3, v6
	s_or_b32 exec_lo, exec_lo, s0
	s_and_saveexec_b32 s0, vcc_lo
	s_cbranch_execz .LBB90_60
.LBB90_71:
	ds_read_b32 v6, v5 offset:64
	s_waitcnt lgkmcnt(0)
	v_add_f32_e32 v2, v2, v6
	s_or_b32 exec_lo, exec_lo, s0
	s_and_saveexec_b32 s0, vcc_lo
	s_cbranch_execnz .LBB90_61
	s_branch .LBB90_62
	.section	.rodata,"a",@progbits
	.p2align	6, 0x0
	.amdhsa_kernel _ZN4vllm25paged_attention_v1_kernelIttLi32ELi32ELi128ELNS_18Fp8KVCacheDataTypeE0ELb1EEEvPT_PKS2_PKT0_S8_ifPKiSA_iPKfiiiSC_SC_iiiii
		.amdhsa_group_segment_fixed_size 96
		.amdhsa_private_segment_fixed_size 0
		.amdhsa_kernarg_size 384
		.amdhsa_user_sgpr_count 6
		.amdhsa_user_sgpr_private_segment_buffer 1
		.amdhsa_user_sgpr_dispatch_ptr 0
		.amdhsa_user_sgpr_queue_ptr 0
		.amdhsa_user_sgpr_kernarg_segment_ptr 1
		.amdhsa_user_sgpr_dispatch_id 0
		.amdhsa_user_sgpr_flat_scratch_init 0
		.amdhsa_user_sgpr_private_segment_size 0
		.amdhsa_wavefront_size32 1
		.amdhsa_uses_dynamic_stack 0
		.amdhsa_system_sgpr_private_segment_wavefront_offset 0
		.amdhsa_system_sgpr_workgroup_id_x 1
		.amdhsa_system_sgpr_workgroup_id_y 1
		.amdhsa_system_sgpr_workgroup_id_z 1
		.amdhsa_system_sgpr_workgroup_info 0
		.amdhsa_system_vgpr_workitem_id 0
		.amdhsa_next_free_vgpr 82
		.amdhsa_next_free_sgpr 38
		.amdhsa_reserve_vcc 1
		.amdhsa_reserve_flat_scratch 0
		.amdhsa_float_round_mode_32 0
		.amdhsa_float_round_mode_16_64 0
		.amdhsa_float_denorm_mode_32 3
		.amdhsa_float_denorm_mode_16_64 3
		.amdhsa_dx10_clamp 1
		.amdhsa_ieee_mode 1
		.amdhsa_fp16_overflow 0
		.amdhsa_workgroup_processor_mode 1
		.amdhsa_memory_ordered 1
		.amdhsa_forward_progress 1
		.amdhsa_shared_vgpr_count 0
		.amdhsa_exception_fp_ieee_invalid_op 0
		.amdhsa_exception_fp_denorm_src 0
		.amdhsa_exception_fp_ieee_div_zero 0
		.amdhsa_exception_fp_ieee_overflow 0
		.amdhsa_exception_fp_ieee_underflow 0
		.amdhsa_exception_fp_ieee_inexact 0
		.amdhsa_exception_int_div_zero 0
	.end_amdhsa_kernel
	.section	.text._ZN4vllm25paged_attention_v1_kernelIttLi32ELi32ELi128ELNS_18Fp8KVCacheDataTypeE0ELb1EEEvPT_PKS2_PKT0_S8_ifPKiSA_iPKfiiiSC_SC_iiiii,"axG",@progbits,_ZN4vllm25paged_attention_v1_kernelIttLi32ELi32ELi128ELNS_18Fp8KVCacheDataTypeE0ELb1EEEvPT_PKS2_PKT0_S8_ifPKiSA_iPKfiiiSC_SC_iiiii,comdat
.Lfunc_end90:
	.size	_ZN4vllm25paged_attention_v1_kernelIttLi32ELi32ELi128ELNS_18Fp8KVCacheDataTypeE0ELb1EEEvPT_PKS2_PKT0_S8_ifPKiSA_iPKfiiiSC_SC_iiiii, .Lfunc_end90-_ZN4vllm25paged_attention_v1_kernelIttLi32ELi32ELi128ELNS_18Fp8KVCacheDataTypeE0ELb1EEEvPT_PKS2_PKT0_S8_ifPKiSA_iPKfiiiSC_SC_iiiii
                                        ; -- End function
	.set _ZN4vllm25paged_attention_v1_kernelIttLi32ELi32ELi128ELNS_18Fp8KVCacheDataTypeE0ELb1EEEvPT_PKS2_PKT0_S8_ifPKiSA_iPKfiiiSC_SC_iiiii.num_vgpr, 82
	.set _ZN4vllm25paged_attention_v1_kernelIttLi32ELi32ELi128ELNS_18Fp8KVCacheDataTypeE0ELb1EEEvPT_PKS2_PKT0_S8_ifPKiSA_iPKfiiiSC_SC_iiiii.num_agpr, 0
	.set _ZN4vllm25paged_attention_v1_kernelIttLi32ELi32ELi128ELNS_18Fp8KVCacheDataTypeE0ELb1EEEvPT_PKS2_PKT0_S8_ifPKiSA_iPKfiiiSC_SC_iiiii.numbered_sgpr, 38
	.set _ZN4vllm25paged_attention_v1_kernelIttLi32ELi32ELi128ELNS_18Fp8KVCacheDataTypeE0ELb1EEEvPT_PKS2_PKT0_S8_ifPKiSA_iPKfiiiSC_SC_iiiii.num_named_barrier, 0
	.set _ZN4vllm25paged_attention_v1_kernelIttLi32ELi32ELi128ELNS_18Fp8KVCacheDataTypeE0ELb1EEEvPT_PKS2_PKT0_S8_ifPKiSA_iPKfiiiSC_SC_iiiii.private_seg_size, 0
	.set _ZN4vllm25paged_attention_v1_kernelIttLi32ELi32ELi128ELNS_18Fp8KVCacheDataTypeE0ELb1EEEvPT_PKS2_PKT0_S8_ifPKiSA_iPKfiiiSC_SC_iiiii.uses_vcc, 1
	.set _ZN4vllm25paged_attention_v1_kernelIttLi32ELi32ELi128ELNS_18Fp8KVCacheDataTypeE0ELb1EEEvPT_PKS2_PKT0_S8_ifPKiSA_iPKfiiiSC_SC_iiiii.uses_flat_scratch, 0
	.set _ZN4vllm25paged_attention_v1_kernelIttLi32ELi32ELi128ELNS_18Fp8KVCacheDataTypeE0ELb1EEEvPT_PKS2_PKT0_S8_ifPKiSA_iPKfiiiSC_SC_iiiii.has_dyn_sized_stack, 0
	.set _ZN4vllm25paged_attention_v1_kernelIttLi32ELi32ELi128ELNS_18Fp8KVCacheDataTypeE0ELb1EEEvPT_PKS2_PKT0_S8_ifPKiSA_iPKfiiiSC_SC_iiiii.has_recursion, 0
	.set _ZN4vllm25paged_attention_v1_kernelIttLi32ELi32ELi128ELNS_18Fp8KVCacheDataTypeE0ELb1EEEvPT_PKS2_PKT0_S8_ifPKiSA_iPKfiiiSC_SC_iiiii.has_indirect_call, 0
	.section	.AMDGPU.csdata,"",@progbits
; Kernel info:
; codeLenInByte = 7348
; TotalNumSgprs: 40
; NumVgprs: 82
; ScratchSize: 0
; MemoryBound: 0
; FloatMode: 240
; IeeeMode: 1
; LDSByteSize: 96 bytes/workgroup (compile time only)
; SGPRBlocks: 0
; VGPRBlocks: 10
; NumSGPRsForWavesPerEU: 40
; NumVGPRsForWavesPerEU: 82
; Occupancy: 10
; WaveLimiterHint : 1
; COMPUTE_PGM_RSRC2:SCRATCH_EN: 0
; COMPUTE_PGM_RSRC2:USER_SGPR: 6
; COMPUTE_PGM_RSRC2:TRAP_HANDLER: 0
; COMPUTE_PGM_RSRC2:TGID_X_EN: 1
; COMPUTE_PGM_RSRC2:TGID_Y_EN: 1
; COMPUTE_PGM_RSRC2:TGID_Z_EN: 1
; COMPUTE_PGM_RSRC2:TIDIG_COMP_CNT: 0
	.section	.text._ZN4vllm25paged_attention_v1_kernelIttLi64ELi32ELi128ELNS_18Fp8KVCacheDataTypeE0ELb1EEEvPT_PKS2_PKT0_S8_ifPKiSA_iPKfiiiSC_SC_iiiii,"axG",@progbits,_ZN4vllm25paged_attention_v1_kernelIttLi64ELi32ELi128ELNS_18Fp8KVCacheDataTypeE0ELb1EEEvPT_PKS2_PKT0_S8_ifPKiSA_iPKfiiiSC_SC_iiiii,comdat
	.protected	_ZN4vllm25paged_attention_v1_kernelIttLi64ELi32ELi128ELNS_18Fp8KVCacheDataTypeE0ELb1EEEvPT_PKS2_PKT0_S8_ifPKiSA_iPKfiiiSC_SC_iiiii ; -- Begin function _ZN4vllm25paged_attention_v1_kernelIttLi64ELi32ELi128ELNS_18Fp8KVCacheDataTypeE0ELb1EEEvPT_PKS2_PKT0_S8_ifPKiSA_iPKfiiiSC_SC_iiiii
	.globl	_ZN4vllm25paged_attention_v1_kernelIttLi64ELi32ELi128ELNS_18Fp8KVCacheDataTypeE0ELb1EEEvPT_PKS2_PKT0_S8_ifPKiSA_iPKfiiiSC_SC_iiiii
	.p2align	8
	.type	_ZN4vllm25paged_attention_v1_kernelIttLi64ELi32ELi128ELNS_18Fp8KVCacheDataTypeE0ELb1EEEvPT_PKS2_PKT0_S8_ifPKiSA_iPKfiiiSC_SC_iiiii,@function
_ZN4vllm25paged_attention_v1_kernelIttLi64ELi32ELi128ELNS_18Fp8KVCacheDataTypeE0ELb1EEEvPT_PKS2_PKT0_S8_ifPKiSA_iPKfiiiSC_SC_iiiii: ; @_ZN4vllm25paged_attention_v1_kernelIttLi64ELi32ELi128ELNS_18Fp8KVCacheDataTypeE0ELb1EEEvPT_PKS2_PKT0_S8_ifPKiSA_iPKfiiiSC_SC_iiiii
; %bb.0:
	s_clause 0x2
	s_load_dword s9, s[4:5], 0x80
	s_load_dwordx2 s[0:1], s[4:5], 0x30
	s_load_dwordx2 s[2:3], s[4:5], 0x20
	s_mov_b32 s10, s7
	s_ashr_i32 s11, s7, 31
	s_mov_b32 s31, 0
	s_lshl_b64 s[12:13], s[10:11], 2
	s_waitcnt lgkmcnt(0)
	s_add_u32 s0, s0, s12
	s_addc_u32 s1, s1, s13
	s_abs_i32 s7, s2
	s_abs_i32 s13, s9
	v_cvt_f32_u32_e32 v1, s7
	s_sub_i32 s12, 0, s7
	v_rcp_iflag_f32_e32 v1, v1
	v_mul_f32_e32 v1, 0x4f7ffffe, v1
	v_cvt_u32_f32_e32 v1, v1
	v_readfirstlane_b32 s11, v1
	s_mul_i32 s12, s12, s11
	s_mul_hi_u32 s12, s11, s12
	s_add_i32 s11, s11, s12
	s_xor_b32 s12, s9, s2
	s_mul_hi_u32 s11, s13, s11
	s_ashr_i32 s12, s12, 31
	s_mul_i32 s14, s11, s7
	s_sub_i32 s13, s13, s14
	s_add_i32 s14, s11, 1
	s_sub_i32 s15, s13, s7
	s_cmp_ge_u32 s13, s7
	s_cselect_b32 s11, s14, s11
	s_cselect_b32 s13, s15, s13
	s_add_i32 s14, s11, 1
	s_cmp_ge_u32 s13, s7
	s_cselect_b32 s7, s14, s11
	s_abs_i32 s22, s6
	s_xor_b32 s7, s7, s12
	s_sub_i32 s16, s7, s12
	s_load_dwordx2 s[12:13], s[4:5], 0x40
	s_abs_i32 s11, s16
	v_cvt_f32_u32_e32 v1, s11
	s_sub_i32 s14, 0, s11
	v_rcp_iflag_f32_e32 v1, v1
	v_mul_f32_e32 v1, 0x4f7ffffe, v1
	v_cvt_u32_f32_e32 v1, v1
	v_readfirstlane_b32 s7, v1
	s_mul_i32 s14, s14, s7
	s_mul_hi_u32 s14, s7, s14
	s_add_i32 s7, s7, s14
	s_waitcnt lgkmcnt(0)
	s_cmp_eq_u64 s[12:13], 0
	s_mul_hi_u32 s23, s22, s7
	s_cbranch_scc1 .LBB91_2
; %bb.1:
	s_ashr_i32 s7, s6, 31
	s_lshl_b64 s[14:15], s[6:7], 2
	s_add_u32 s12, s12, s14
	s_addc_u32 s13, s13, s15
	s_load_dword s31, s[12:13], 0x0
.LBB91_2:
	s_load_dword s28, s[0:1], 0x0
	s_load_dwordx4 s[12:15], s[4:5], 0x48
	v_lshlrev_b32_e32 v38, 4, v0
	s_ashr_i32 s0, s6, 31
	s_ashr_i32 s1, s16, 31
	s_lshl_b32 s20, s6, 6
	s_mov_b32 s7, exec_lo
	v_cmpx_gt_u32_e32 8, v0
	s_cbranch_execz .LBB91_4
; %bb.3:
	s_load_dwordx2 s[16:17], s[4:5], 0x8
	s_waitcnt lgkmcnt(0)
	s_mul_i32 s18, s12, s10
	s_ashr_i32 s19, s18, 31
	s_lshl_b64 s[18:19], s[18:19], 1
	s_add_u32 s12, s16, s18
	s_addc_u32 s15, s17, s19
	s_ashr_i32 s21, s20, 31
	s_lshl_b64 s[16:17], s[20:21], 1
	s_add_u32 s16, s12, s16
	s_addc_u32 s17, s15, s17
	global_load_dwordx4 v[1:4], v38, s[16:17]
	s_waitcnt vmcnt(0)
	ds_write_b128 v38, v[1:4]
.LBB91_4:
	s_or_b32 exec_lo, exec_lo, s7
	s_load_dwordx4 s[16:19], s[4:5], 0x68
	s_mul_i32 s7, s23, s11
	s_xor_b32 s1, s0, s1
	s_sub_i32 s0, s22, s7
	s_add_i32 s7, s23, 1
	s_waitcnt lgkmcnt(0)
	s_sub_i32 s12, s0, s11
	s_cmp_ge_u32 s0, s11
	s_mov_b32 s24, -1
	s_cselect_b32 s7, s7, s23
	s_cselect_b32 s0, s12, s0
	s_add_i32 s12, s7, 1
	s_cmp_ge_u32 s0, s11
	s_load_dword s0, s[4:5], 0x78
	s_cselect_b32 s7, s12, s7
	s_add_i32 s11, s28, -1
	s_xor_b32 s7, s7, s1
	s_waitcnt lgkmcnt(0)
	s_sub_i32 s1, s7, s1
	s_barrier
	buffer_gl0_inv
	s_abs_i32 s12, s19
                                        ; implicit-def: $sgpr29
	v_cvt_f32_u32_e32 v1, s12
	s_sub_i32 s7, 0, s12
	v_rcp_iflag_f32_e32 v1, v1
	v_mul_f32_e32 v1, 0x4f7ffffe, v1
	v_cvt_u32_f32_e32 v1, v1
	v_readfirstlane_b32 s21, v1
	s_mul_i32 s7, s7, s21
	s_mul_hi_u32 s15, s21, s7
	s_abs_i32 s7, s11
	s_add_i32 s21, s21, s15
	s_cmp_lt_i32 s0, 0
	s_mul_hi_u32 s15, s7, s21
	s_cbranch_scc0 .LBB91_6
; %bb.5:
	s_mul_i32 s2, s16, s2
	s_mov_b32 s24, 0
	s_add_i32 s2, s1, s2
	s_mul_i32 s2, s2, s0
	s_sub_i32 s29, 1, s2
.LBB91_6:
	s_load_dwordx2 s[22:23], s[4:5], 0x28
	s_ashr_i32 s2, s11, 31
	s_andn2_b32 vcc_lo, exec_lo, s24
	s_ashr_i32 s19, s19, 31
	s_cbranch_vccnz .LBB91_8
; %bb.7:
	s_mul_i32 s11, s9, s16
	s_add_i32 s6, s11, s6
	s_mul_i32 s0, s6, s0
	s_add_i32 s29, s0, 1
.LBB91_8:
	s_load_dword s0, s[4:5], 0x38
	s_mul_i32 s6, s15, s12
	s_xor_b32 s2, s2, s19
	s_sub_i32 s30, s7, s6
	s_add_i32 s16, s15, 1
	s_clause 0x2
	s_load_dwordx2 s[6:7], s[4:5], 0x0
	s_load_dwordx2 s[26:27], s[4:5], 0x18
	s_load_dword s11, s[4:5], 0x88
	v_lshrrev_b32_e32 v35, 5, v0
	v_and_b32_e32 v36, 31, v0
	v_mov_b32_e32 v41, 0xff7fffff
	v_lshrrev_b32_e32 v39, 3, v0
	s_mul_i32 s14, s1, s14
	v_lshlrev_b32_e32 v37, 5, v35
	v_lshlrev_b32_e32 v40, 2, v36
	s_waitcnt lgkmcnt(0)
	s_mul_i32 s24, s0, s10
	s_sub_i32 s0, s30, s12
	s_ashr_i32 s25, s24, 31
	s_cmp_ge_u32 s30, s12
	s_cselect_b32 s15, s16, s15
	s_cselect_b32 s0, s0, s30
	s_add_i32 s16, s15, 1
	s_cmp_ge_u32 s0, s12
	s_cselect_b32 s0, s16, s15
	s_add_i32 s15, s28, 31
	s_ashr_i32 s16, s15, 31
	s_lshr_b32 s16, s16, 27
	s_add_i32 s15, s15, s16
	s_ashr_i32 s16, s15, 5
	s_xor_b32 s15, s0, s2
	v_cmp_gt_i32_e64 s0, s16, v35
	s_sub_i32 s30, s15, s2
	s_and_saveexec_b32 s33, s0
	s_cbranch_execz .LBB91_16
; %bb.9:
	s_load_dwordx2 s[34:35], s[4:5], 0x10
	s_ashr_i32 s15, s14, 31
	s_sub_i32 s4, s30, s17
	s_lshl_b64 s[36:37], s[14:15], 1
	v_subrev_nc_u32_e32 v4, s28, v36
	v_lshlrev_b32_e32 v2, 4, v36
	v_and_b32_e32 v3, 0x7c, v39
	v_lshl_or_b32 v6, v35, 7, v40
	v_mov_b32_e32 v42, 0
	v_add_nc_u32_e32 v45, 1, v4
	v_cmp_neq_f32_e64 vcc_lo, s31, 0
	v_lshlrev_b32_e32 v43, 5, v35
	v_mov_b32_e32 v44, 0xff7fffff
	v_mov_b32_e32 v41, 0xff7fffff
	v_add_nc_u32_e32 v46, 0xa0, v6
	v_mov_b32_e32 v50, v35
	s_waitcnt lgkmcnt(0)
	s_add_u32 s1, s34, s36
	s_addc_u32 s2, s35, s37
	s_abs_i32 s5, s18
	s_lshl_b64 s[34:35], s[24:25], 2
	v_cvt_f32_u32_e32 v1, s5
	s_sub_i32 s15, 0, s5
	v_add_co_u32 v47, s1, s1, v2
	v_add_co_ci_u32_e64 v48, null, s2, 0, s1
	v_rcp_iflag_f32_e32 v1, v1
	s_add_u32 s1, s22, s34
	s_addc_u32 s2, s23, s35
	v_add_co_u32 v33, s1, s1, v3
	v_add_co_ci_u32_e64 v34, null, s2, 0, s1
	s_mov_b32 s34, s13
	v_mul_f32_e32 v1, 0x4f7ffffe, v1
	v_cvt_u32_f32_e32 v1, v1
	v_mul_lo_u32 v5, s15, v1
	s_mov_b32 s15, 0
	v_mul_hi_u32 v4, v1, v5
	v_add_nc_u32_e32 v49, v1, v4
	s_branch .LBB91_11
.LBB91_10:                              ;   in Loop: Header=BB91_11 Depth=1
	s_or_b32 exec_lo, exec_lo, s2
	v_add_nc_u32_e32 v50, 4, v50
	v_add_co_u32 v33, s2, v33, 16
	v_add_co_ci_u32_e64 v34, null, 0, v34, s2
	v_cmp_le_i32_e64 s1, s16, v50
	v_add_nc_u32_e32 v43, 0x80, v43
	v_add_nc_u32_e32 v46, 0x200, v46
	s_or_b32 s15, s1, s15
	s_andn2_b32 exec_lo, exec_lo, s15
	s_cbranch_execz .LBB91_15
.LBB91_11:                              ; =>This Inner Loop Header: Depth=1
	v_mul_hi_u32 v1, v43, s21
	v_mul_lo_u32 v2, v1, s12
	v_add_nc_u32_e32 v3, 1, v1
	v_sub_nc_u32_e32 v2, v43, v2
	v_subrev_nc_u32_e32 v4, s12, v2
	v_cmp_le_u32_e64 s1, s12, v2
	v_cndmask_b32_e64 v1, v1, v3, s1
	v_cndmask_b32_e64 v2, v2, v4, s1
	v_add_nc_u32_e32 v3, 1, v1
	v_cmp_le_u32_e64 s1, s12, v2
	v_cndmask_b32_e64 v1, v1, v3, s1
	v_xor_b32_e32 v1, s19, v1
	v_subrev_nc_u32_e32 v1, s19, v1
	v_add_nc_u32_e32 v2, s29, v1
	v_cmp_ge_i32_e64 s2, s4, v1
	v_sub_nc_u32_e32 v3, 0, v2
	v_max_i32_e32 v3, v2, v3
	v_ashrrev_i32_e32 v2, 31, v2
	v_mul_hi_u32 v4, v3, v49
	v_mul_lo_u32 v4, v4, s5
	v_sub_nc_u32_e32 v3, v3, v4
	v_subrev_nc_u32_e32 v4, s5, v3
	v_cmp_le_u32_e64 s1, s5, v3
	v_cndmask_b32_e64 v3, v3, v4, s1
	v_subrev_nc_u32_e32 v4, s5, v3
	v_cmp_le_u32_e64 s1, s5, v3
	v_cndmask_b32_e64 v3, v3, v4, s1
	v_xor_b32_e32 v3, v3, v2
	v_sub_nc_u32_e32 v2, v3, v2
	v_cmp_ne_u32_e64 s1, 0, v2
	s_and_b32 s1, s1, s2
	s_and_saveexec_b32 s2, s1
	s_xor_b32 s1, exec_lo, s2
; %bb.12:                               ;   in Loop: Header=BB91_11 Depth=1
	ds_write_b32 v46, v44
; %bb.13:                               ;   in Loop: Header=BB91_11 Depth=1
	s_andn2_saveexec_b32 s2, s1
	s_cbranch_execz .LBB91_10
; %bb.14:                               ;   in Loop: Header=BB91_11 Depth=1
	global_load_dword v1, v[33:34], off
	s_waitcnt vmcnt(0)
	v_mad_i64_i32 v[1:2], null, v1, s34, 0
	v_lshlrev_b64 v[1:2], 1, v[1:2]
	v_add_co_u32 v5, s1, v47, v1
	v_add_co_ci_u32_e64 v6, null, v48, v2, s1
	s_clause 0x3
	global_load_dwordx4 v[17:20], v[5:6], off
	global_load_dwordx4 v[13:16], v[5:6], off offset:512
	global_load_dwordx4 v[9:12], v[5:6], off offset:1024
	;; [unrolled: 1-line block ×3, first 2 shown]
	v_add_co_u32 v25, s1, 0x800, v5
	v_add_co_ci_u32_e64 v26, null, 0, v6, s1
	s_clause 0x3
	global_load_dwordx4 v[5:8], v[25:26], off
	global_load_dwordx4 v[21:24], v[25:26], off offset:512
	global_load_dwordx4 v[29:32], v[25:26], off offset:1024
	;; [unrolled: 1-line block ×3, first 2 shown]
	ds_read_b128 v[51:54], v42
	s_waitcnt lgkmcnt(0)
	v_lshrrev_b32_e32 v55, 16, v51
	v_and_b32_e32 v51, 0xffff, v51
	v_lshrrev_b32_e32 v56, 16, v52
	v_and_b32_e32 v52, 0xffff, v52
	;; [unrolled: 2-line block ×4, first 2 shown]
	;;#ASMSTART
	v_cvt_f32_f16 v59, v51;
	;;#ASMEND
	;;#ASMSTART
	v_cvt_f32_f16 v60, v55;
	;;#ASMEND
	s_waitcnt vmcnt(7)
	v_lshrrev_b32_e32 v51, 16, v17
	v_and_b32_e32 v17, 0xffff, v17
	v_lshrrev_b32_e32 v54, 16, v18
	v_and_b32_e32 v55, 0xffff, v18
	;; [unrolled: 2-line block ×4, first 2 shown]
	;;#ASMSTART
	v_cvt_f32_f16 v61, v17;
	;;#ASMEND
	;;#ASMSTART
	v_cvt_f32_f16 v62, v51;
	;;#ASMEND
	;; [unrolled: 3-line block ×14, first 2 shown]
	ds_read_b128 v[63:66], v42 offset:16
	s_waitcnt vmcnt(6)
	v_lshrrev_b32_e32 v70, 16, v13
	v_and_b32_e32 v13, 0xffff, v13
	v_lshrrev_b32_e32 v74, 16, v14
	v_and_b32_e32 v14, 0xffff, v14
	;; [unrolled: 2-line block ×4, first 2 shown]
	s_waitcnt vmcnt(4)
	v_lshrrev_b32_e32 v97, 16, v1
	v_and_b32_e32 v98, 0xffff, v1
	v_lshrrev_b32_e32 v99, 16, v2
	v_and_b32_e32 v100, 0xffff, v2
	v_lshrrev_b32_e32 v84, 16, v9
	v_and_b32_e32 v83, 0xffff, v9
	v_lshrrev_b32_e32 v88, 16, v10
	v_and_b32_e32 v87, 0xffff, v10
	v_lshrrev_b32_e32 v96, 16, v12
	v_and_b32_e32 v95, 0xffff, v12
	v_lshrrev_b32_e32 v92, 16, v11
	s_waitcnt lgkmcnt(0)
	v_lshrrev_b32_e32 v1, 16, v63
	v_and_b32_e32 v2, 0xffff, v63
	v_lshrrev_b32_e32 v9, 16, v64
	v_and_b32_e32 v10, 0xffff, v64
	;; [unrolled: 2-line block ×4, first 2 shown]
	;;#ASMSTART
	v_cvt_f32_f16 v67, v2;
	;;#ASMEND
	;;#ASMSTART
	v_cvt_f32_f16 v68, v1;
	;;#ASMEND
	;; [unrolled: 3-line block ×16, first 2 shown]
	ds_read_b128 v[13:16], v42 offset:32
	v_and_b32_e32 v11, 0xffff, v11
	v_lshrrev_b32_e32 v101, 16, v3
	v_and_b32_e32 v102, 0xffff, v3
	v_lshrrev_b32_e32 v103, 16, v4
	v_and_b32_e32 v104, 0xffff, v4
	s_waitcnt vmcnt(3)
	v_lshrrev_b32_e32 v109, 16, v7
	v_and_b32_e32 v110, 0xffff, v7
	s_waitcnt vmcnt(2)
	v_lshrrev_b32_e32 v9, 16, v21
	v_and_b32_e32 v12, 0xffff, v21
	v_lshrrev_b32_e32 v7, 16, v22
	v_and_b32_e32 v10, 0xffff, v22
	;; [unrolled: 2-line block ×6, first 2 shown]
	s_waitcnt lgkmcnt(0)
	v_lshrrev_b32_e32 v3, 16, v13
	v_and_b32_e32 v4, 0xffff, v13
	v_lshrrev_b32_e32 v13, 16, v14
	v_and_b32_e32 v14, 0xffff, v14
	;; [unrolled: 2-line block ×4, first 2 shown]
	;;#ASMSTART
	v_cvt_f32_f16 v81, v4;
	;;#ASMEND
	;;#ASMSTART
	v_cvt_f32_f16 v82, v3;
	;;#ASMEND
	;; [unrolled: 3-line block ×16, first 2 shown]
	ds_read_b128 v[63:66], v42 offset:48
	v_lshrrev_b32_e32 v5, 16, v24
	v_and_b32_e32 v113, 0xffff, v24
	s_waitcnt vmcnt(0)
	v_lshrrev_b32_e32 v22, 16, v25
	v_and_b32_e32 v23, 0xffff, v25
	v_lshrrev_b32_e32 v16, 16, v26
	v_and_b32_e32 v21, 0xffff, v26
	;; [unrolled: 2-line block ×3, first 2 shown]
	v_mul_f32_e32 v3, v67, v69
	v_mul_f32_e32 v4, v68, v70
	v_lshrrev_b32_e32 v114, 16, v29
	v_and_b32_e32 v115, 0xffff, v29
	v_lshrrev_b32_e32 v116, 16, v30
	v_and_b32_e32 v117, 0xffff, v30
	;; [unrolled: 2-line block ×4, first 2 shown]
	v_lshrrev_b32_e32 v11, 16, v28
	s_waitcnt lgkmcnt(0)
	v_lshrrev_b32_e32 v24, 16, v63
	v_and_b32_e32 v25, 0xffff, v63
	v_lshrrev_b32_e32 v26, 16, v64
	v_and_b32_e32 v27, 0xffff, v64
	;; [unrolled: 2-line block ×3, first 2 shown]
	v_and_b32_e32 v70, 0xffff, v66
	v_and_b32_e32 v13, 0xffff, v28
	v_lshrrev_b32_e32 v122, 16, v66
	;;#ASMSTART
	v_cvt_f32_f16 v28, v25;
	;;#ASMEND
	;;#ASMSTART
	v_cvt_f32_f16 v29, v24;
	;;#ASMEND
	;; [unrolled: 3-line block ×16, first 2 shown]
	ds_read_b128 v[24:27], v42 offset:64
	v_mul_f32_e32 v72, v72, v74
	v_mul_f32_e32 v74, v76, v78
	v_fmac_f32_e32 v4, v60, v62
	v_mul_f32_e32 v71, v71, v73
	v_mul_f32_e32 v73, v75, v77
	v_fmac_f32_e32 v3, v59, v61
	v_mul_f32_e32 v1, v1, v2
	v_fmac_f32_e32 v72, v18, v20
	v_fmac_f32_e32 v71, v17, v19
	;; [unrolled: 1-line block ×6, first 2 shown]
	v_mul_f32_e32 v79, v79, v80
	v_fmac_f32_e32 v72, v86, v88
	v_fmac_f32_e32 v71, v85, v87
	;; [unrolled: 1-line block ×5, first 2 shown]
	s_waitcnt lgkmcnt(0)
	v_lshrrev_b32_e32 v60, 16, v24
	v_and_b32_e32 v24, 0xffff, v24
	v_lshrrev_b32_e32 v76, 16, v25
	v_and_b32_e32 v25, 0xffff, v25
	;; [unrolled: 2-line block ×4, first 2 shown]
	;;#ASMSTART
	v_cvt_f32_f16 v59, v24;
	;;#ASMEND
	;;#ASMSTART
	v_cvt_f32_f16 v60, v60;
	;;#ASMEND
	;; [unrolled: 3-line block ×16, first 2 shown]
	ds_read_b128 v[24:27], v42 offset:80
	v_fmac_f32_e32 v72, v63, v65
	v_fmac_f32_e32 v3, v59, v61
	;; [unrolled: 1-line block ×13, first 2 shown]
	v_add_nc_u32_e32 v80, v45, v43
	v_fmac_f32_e32 v79, v70, v98
	v_fmac_f32_e32 v73, v100, v102
	;; [unrolled: 1-line block ×4, first 2 shown]
	v_cvt_f32_i32_e32 v80, v80
	s_waitcnt lgkmcnt(0)
	v_lshrrev_b32_e32 v17, 16, v24
	v_and_b32_e32 v2, 0xffff, v24
	v_lshrrev_b32_e32 v19, 16, v25
	v_and_b32_e32 v18, 0xffff, v25
	;; [unrolled: 2-line block ×4, first 2 shown]
	;;#ASMSTART
	v_cvt_f32_f16 v2, v2;
	;;#ASMEND
	;;#ASMSTART
	v_cvt_f32_f16 v17, v17;
	;;#ASMEND
	;; [unrolled: 3-line block ×16, first 2 shown]
	ds_read_b128 v[5:8], v42 offset:96
	v_fmac_f32_e32 v3, v2, v12
	v_fmac_f32_e32 v4, v17, v9
	;; [unrolled: 1-line block ×10, first 2 shown]
	s_waitcnt lgkmcnt(0)
	v_lshrrev_b32_e32 v29, 16, v5
	v_and_b32_e32 v5, 0xffff, v5
	v_lshrrev_b32_e32 v55, 16, v6
	v_and_b32_e32 v6, 0xffff, v6
	;; [unrolled: 2-line block ×4, first 2 shown]
	;;#ASMSTART
	v_cvt_f32_f16 v28, v5;
	;;#ASMEND
	;;#ASMSTART
	v_cvt_f32_f16 v29, v29;
	;;#ASMEND
	;; [unrolled: 3-line block ×16, first 2 shown]
	ds_read_b128 v[5:8], v42 offset:112
	v_fmac_f32_e32 v3, v28, v30
	v_fmac_f32_e32 v4, v29, v31
	;; [unrolled: 1-line block ×8, first 2 shown]
	s_waitcnt lgkmcnt(0)
	v_and_b32_e32 v2, 0xffff, v5
	v_lshrrev_b32_e32 v5, 16, v5
	v_lshrrev_b32_e32 v10, 16, v6
	v_and_b32_e32 v12, 0xffff, v6
	;;#ASMSTART
	v_cvt_f32_f16 v2, v2;
	;;#ASMEND
	;;#ASMSTART
	v_cvt_f32_f16 v5, v5;
	;;#ASMEND
	;; [unrolled: 3-line block ×4, first 2 shown]
	v_fmac_f32_e32 v3, v2, v6
	v_fmac_f32_e32 v4, v5, v9
	;;#ASMSTART
	v_cvt_f32_f16 v2, v12;
	;;#ASMEND
	;;#ASMSTART
	v_cvt_f32_f16 v5, v10;
	;;#ASMEND
	;; [unrolled: 3-line block ×3, first 2 shown]
	v_fmac_f32_e32 v71, v2, v6
	v_add_f32_e32 v2, v3, v4
	;;#ASMSTART
	v_cvt_f32_f16 v3, v16;
	;;#ASMEND
	v_fmac_f32_e32 v72, v5, v3
	v_and_b32_e32 v4, 0xffff, v7
	v_lshrrev_b32_e32 v6, 16, v7
	v_add_f32_e32 v2, v2, v71
	;;#ASMSTART
	v_cvt_f32_f16 v3, v4;
	;;#ASMEND
	;;#ASMSTART
	v_cvt_f32_f16 v4, v6;
	;;#ASMEND
	;; [unrolled: 3-line block ×3, first 2 shown]
	v_fmac_f32_e32 v73, v3, v5
	v_add_f32_e32 v2, v72, v2
	;;#ASMSTART
	v_cvt_f32_f16 v3, v14;
	;;#ASMEND
	v_fmac_f32_e32 v74, v4, v3
	v_and_b32_e32 v5, 0xffff, v8
	v_lshrrev_b32_e32 v6, 16, v8
	v_add_f32_e32 v2, v2, v73
	;;#ASMSTART
	v_cvt_f32_f16 v3, v5;
	;;#ASMEND
	;;#ASMSTART
	v_cvt_f32_f16 v4, v6;
	;;#ASMEND
	;; [unrolled: 3-line block ×3, first 2 shown]
	v_fmac_f32_e32 v79, v3, v5
	v_add_f32_e32 v2, v74, v2
	v_mul_f32_e32 v3, s31, v80
	;;#ASMSTART
	v_cvt_f32_f16 v5, v11;
	;;#ASMEND
	v_fmac_f32_e32 v1, v4, v5
	v_add_f32_e32 v2, v2, v79
	v_cndmask_b32_e32 v3, 0, v3, vcc_lo
	v_add_f32_e32 v1, v1, v2
	v_max_f32_e32 v2, v41, v41
	v_fmac_f32_e32 v3, s3, v1
	v_add_nc_u32_e32 v1, v36, v43
	v_max_f32_e32 v2, v2, v3
	v_cmp_gt_i32_e64 s1, s28, v1
	v_cndmask_b32_e64 v1, 0, v3, s1
	v_cndmask_b32_e64 v41, v41, v2, s1
	ds_write_b32 v46, v1
	s_branch .LBB91_10
.LBB91_15:
	s_or_b32 exec_lo, exec_lo, s15
.LBB91_16:
	s_or_b32 exec_lo, exec_lo, s33
	v_mbcnt_lo_u32_b32 v2, -1, 0
	v_max_f32_e32 v5, v41, v41
	v_xor_b32_e32 v1, 16, v2
	v_xor_b32_e32 v4, 8, v2
	v_cmp_gt_i32_e32 vcc_lo, 32, v1
	v_cndmask_b32_e32 v1, v2, v1, vcc_lo
	v_cmp_gt_i32_e32 vcc_lo, 32, v4
	v_lshlrev_b32_e32 v1, 2, v1
	v_cndmask_b32_e32 v4, v2, v4, vcc_lo
	ds_bpermute_b32 v3, v1, v41
	s_waitcnt lgkmcnt(0)
	v_max_f32_e32 v6, v3, v3
	v_lshlrev_b32_e32 v3, 2, v4
	v_max_f32_e32 v5, v5, v6
	v_xor_b32_e32 v6, 4, v2
	ds_bpermute_b32 v4, v3, v5
	v_cmp_gt_i32_e32 vcc_lo, 32, v6
	v_cndmask_b32_e32 v6, v2, v6, vcc_lo
	s_waitcnt lgkmcnt(0)
	v_max_f32_e32 v7, v4, v4
	v_lshlrev_b32_e32 v4, 2, v6
	v_max_f32_e32 v5, v5, v7
	v_xor_b32_e32 v7, 2, v2
	ds_bpermute_b32 v6, v4, v5
	v_cmp_gt_i32_e32 vcc_lo, 32, v7
	v_cndmask_b32_e32 v7, v2, v7, vcc_lo
	v_lshlrev_b32_e32 v10, 2, v7
	v_xor_b32_e32 v7, 1, v2
	v_cmp_gt_i32_e32 vcc_lo, 32, v7
	s_waitcnt lgkmcnt(0)
	v_max_f32_e32 v6, v6, v6
	v_cndmask_b32_e32 v7, v2, v7, vcc_lo
	v_cmp_eq_u32_e32 vcc_lo, 0, v36
	v_max_f32_e32 v5, v5, v6
	v_lshlrev_b32_e32 v9, 2, v7
	ds_bpermute_b32 v6, v10, v5
	s_waitcnt lgkmcnt(0)
	v_max_f32_e32 v6, v6, v6
	v_max_f32_e32 v2, v5, v6
	v_lshlrev_b32_e32 v5, 2, v35
	ds_bpermute_b32 v6, v9, v2
	s_and_saveexec_b32 s1, vcc_lo
	s_cbranch_execz .LBB91_18
; %bb.17:
	s_waitcnt lgkmcnt(0)
	v_max_f32_e32 v6, v6, v6
	v_max_f32_e32 v2, v2, v2
	;; [unrolled: 1-line block ×3, first 2 shown]
	ds_write_b32 v5, v2 offset:128
.LBB91_18:
	s_or_b32 exec_lo, exec_lo, s1
	v_cmp_gt_u32_e64 s1, 4, v36
	v_mov_b32_e32 v2, 0xff7fffff
	s_waitcnt lgkmcnt(0)
	s_barrier
	buffer_gl0_inv
	s_and_saveexec_b32 s2, s1
; %bb.19:
	ds_read_b32 v2, v40 offset:128
; %bb.20:
	s_or_b32 exec_lo, exec_lo, s2
	s_waitcnt lgkmcnt(0)
	ds_bpermute_b32 v6, v10, v2
	v_max_f32_e32 v2, v2, v2
	s_lshl_b32 s2, s16, 5
	s_min_i32 s4, s2, s28
	v_cmp_gt_i32_e64 s2, s4, v0
	s_waitcnt lgkmcnt(0)
	v_max_f32_e32 v6, v6, v6
	v_max_f32_e32 v2, v2, v6
	ds_bpermute_b32 v6, v9, v2
	s_waitcnt lgkmcnt(0)
	v_max_f32_e32 v6, v6, v6
	v_max_f32_e32 v2, v2, v6
	v_mov_b32_e32 v6, 0
	ds_bpermute_b32 v7, v6, v2
	v_lshl_add_u32 v2, v0, 2, 0xa0
	s_and_saveexec_b32 s5, s2
	s_cbranch_execz .LBB91_24
; %bb.21:
	v_lshl_add_u32 v8, v0, 2, 0xa0
	v_mov_b32_e32 v6, 0
	v_mov_b32_e32 v11, v0
	s_mov_b32 s15, 0
	.p2align	6
.LBB91_22:                              ; =>This Inner Loop Header: Depth=1
	ds_read_b32 v12, v8
	v_add_nc_u32_e32 v11, 0x80, v11
	v_cmp_le_i32_e64 s3, s4, v11
	s_or_b32 s15, s3, s15
	s_waitcnt lgkmcnt(0)
	v_sub_f32_e32 v12, v12, v7
	v_mul_f32_e32 v12, 0x3fb8aa3b, v12
	v_exp_f32_e32 v12, v12
	ds_write_b32 v8, v12
	v_add_f32_e32 v6, v6, v12
	v_add_nc_u32_e32 v8, 0x200, v8
	s_andn2_b32 exec_lo, exec_lo, s15
	s_cbranch_execnz .LBB91_22
; %bb.23:
	s_or_b32 exec_lo, exec_lo, s15
.LBB91_24:
	s_or_b32 exec_lo, exec_lo, s5
	ds_bpermute_b32 v1, v1, v6
	s_waitcnt lgkmcnt(0)
	v_add_f32_e32 v1, v6, v1
	ds_bpermute_b32 v3, v3, v1
	s_waitcnt lgkmcnt(0)
	v_add_f32_e32 v1, v1, v3
	;; [unrolled: 3-line block ×5, first 2 shown]
	s_and_saveexec_b32 s3, vcc_lo
; %bb.25:
	ds_write_b32 v5, v1 offset:144
; %bb.26:
	s_or_b32 exec_lo, exec_lo, s3
	s_waitcnt lgkmcnt(0)
	s_barrier
	buffer_gl0_inv
	s_and_saveexec_b32 s3, s1
; %bb.27:
	ds_read_b32 v1, v40 offset:144
; %bb.28:
	s_or_b32 exec_lo, exec_lo, s3
	s_waitcnt lgkmcnt(0)
	ds_bpermute_b32 v3, v10, v1
	s_waitcnt lgkmcnt(0)
	v_add_f32_e32 v1, v1, v3
	ds_bpermute_b32 v3, v9, v1
	s_waitcnt lgkmcnt(0)
	v_add_f32_e32 v1, v1, v3
	v_mov_b32_e32 v3, 0
	ds_bpermute_b32 v1, v3, v1
	s_and_saveexec_b32 s1, s2
	s_cbranch_execz .LBB91_31
; %bb.29:
	s_waitcnt lgkmcnt(0)
	v_add_f32_e32 v1, 0x358637bd, v1
	s_mov_b32 s2, 0
	v_div_scale_f32 v3, null, v1, v1, 1.0
	v_div_scale_f32 v6, vcc_lo, 1.0, v1, 1.0
	v_rcp_f32_e32 v4, v3
	v_fma_f32 v5, -v3, v4, 1.0
	v_fmac_f32_e32 v4, v5, v4
	v_mul_f32_e32 v5, v6, v4
	v_fma_f32 v7, -v3, v5, v6
	v_fmac_f32_e32 v5, v7, v4
	v_fma_f32 v3, -v3, v5, v6
	v_div_fmas_f32 v3, v3, v4, v5
	v_div_fixup_f32 v1, v3, v1, 1.0
	v_mov_b32_e32 v3, v0
.LBB91_30:                              ; =>This Inner Loop Header: Depth=1
	ds_read_b32 v4, v2
	v_add_nc_u32_e32 v3, 0x80, v3
	v_cmp_le_i32_e32 vcc_lo, s4, v3
	s_or_b32 s2, vcc_lo, s2
	s_waitcnt lgkmcnt(0)
	v_mul_f32_e32 v4, v1, v4
	ds_write_b32 v2, v4
	v_add_nc_u32_e32 v2, 0x200, v2
	s_andn2_b32 exec_lo, exec_lo, s2
	s_cbranch_execnz .LBB91_30
.LBB91_31:
	s_or_b32 exec_lo, exec_lo, s1
	v_mov_b32_e32 v18, 0
	v_and_b32_e32 v11, 3, v0
	v_mov_b32_e32 v19, 0
	v_mov_b32_e32 v17, 0
	;; [unrolled: 1-line block ×7, first 2 shown]
	s_waitcnt lgkmcnt(0)
	s_barrier
	buffer_gl0_inv
	s_and_saveexec_b32 s2, s0
	s_cbranch_execz .LBB91_53
; %bb.32:
	s_ashr_i32 s15, s14, 31
	s_sub_i32 s3, s30, s17
	s_lshl_b64 s[0:1], s[14:15], 1
	v_lshlrev_b32_e32 v2, 3, v0
	s_add_u32 s14, s26, s0
	s_addc_u32 s15, s27, s1
	s_abs_i32 s4, s18
	v_lshlrev_b32_e32 v5, 5, v11
	v_cvt_f32_u32_e32 v1, s4
	s_sub_i32 s0, 0, s4
	v_and_b32_e32 v21, 24, v2
	v_and_b32_e32 v3, 0x1f0, v38
	;; [unrolled: 1-line block ×3, first 2 shown]
	v_rcp_iflag_f32_e32 v1, v1
	v_lshl_or_b32 v5, v35, 7, v5
	s_add_i32 s5, s16, -1
	v_add_co_u32 v22, s14, s14, v3
	v_mov_b32_e32 v20, 0
	v_add_nc_u32_e32 v24, 0xa0, v5
	v_mov_b32_e32 v12, 0
	v_mov_b32_e32 v13, 0
	v_mov_b32_e32 v14, 0
	v_mul_f32_e32 v1, 0x4f7ffffe, v1
	v_mov_b32_e32 v15, 0
	v_mov_b32_e32 v16, 0
	;; [unrolled: 1-line block ×4, first 2 shown]
	v_cvt_u32_f32_e32 v1, v1
	v_mov_b32_e32 v18, 0
	v_add_co_ci_u32_e64 v23, null, s15, 0, s14
	v_mov_b32_e32 v26, v35
	v_mul_lo_u32 v2, s0, v1
	s_lshl_b64 s[0:1], s[24:25], 2
	s_mov_b32 s14, s13
	s_add_u32 s0, s22, s0
	s_addc_u32 s1, s23, s1
	v_add_co_u32 v5, s0, s0, v4
	v_add_co_ci_u32_e64 v6, null, s1, 0, s0
	v_mul_hi_u32 v2, v1, v2
	s_mov_b32 s13, 0
	v_add_nc_u32_e32 v25, v1, v2
	s_branch .LBB91_35
.LBB91_33:                              ;   in Loop: Header=BB91_35 Depth=1
	s_or_b32 exec_lo, exec_lo, s1
	v_lshlrev_b32_e32 v29, 16, v54
	v_lshlrev_b32_e32 v8, 16, v8
	;; [unrolled: 1-line block ×3, first 2 shown]
	v_add_f32_e32 v27, v55, v56
	v_add_f32_e32 v28, v52, v53
	v_and_or_b32 v1, 0xffff, v1, v29
	v_and_or_b32 v2, 0xffff, v2, v8
	v_and_or_b32 v3, 0xffff, v3, v7
	;;#ASMSTART
	v_pk_mul_f16 v1, v39, v1;

	;;#ASMEND
	;;#ASMSTART
	v_pk_mul_f16 v2, v38, v2;

	;;#ASMEND
	;; [unrolled: 4-line block ×4, first 2 shown]
	;;#ASMSTART
	v_pk_add_f16 v1, v1, v2;

	;;#ASMEND
	;;#ASMSTART
	v_pk_add_f16 v1, v1, v3;

	;;#ASMEND
	;; [unrolled: 4-line block ×3, first 2 shown]
	v_and_b32_e32 v4, 0xffff, v1
	v_lshrrev_b32_e32 v8, 16, v1
	;;#ASMSTART
	v_cvt_f32_f16 v4, v4;
	;;#ASMEND
	v_add_f32_e32 v13, v13, v27
	v_add_f32_e32 v27, v50, v51
	;; [unrolled: 1-line block ×6, first 2 shown]
	;;#ASMSTART
	v_cvt_f32_f16 v8, v8;
	;;#ASMEND
	v_add_f32_e32 v4, v4, v8
	v_add_f32_e32 v14, v14, v28
	;; [unrolled: 1-line block ×8, first 2 shown]
.LBB91_34:                              ;   in Loop: Header=BB91_35 Depth=1
	s_or_b32 exec_lo, exec_lo, s15
	v_add_nc_u32_e32 v26, 4, v26
	v_add_co_u32 v5, s0, v5, 16
	v_add_co_ci_u32_e64 v6, null, 0, v6, s0
	v_cmp_le_i32_e32 vcc_lo, s16, v26
	v_add_nc_u32_e32 v37, 0x80, v37
	v_add_nc_u32_e32 v24, 0x200, v24
	s_or_b32 s13, vcc_lo, s13
	s_andn2_b32 exec_lo, exec_lo, s13
	s_cbranch_execz .LBB91_52
.LBB91_35:                              ; =>This Inner Loop Header: Depth=1
	v_mul_hi_u32 v1, v37, s21
	v_mul_lo_u32 v2, v1, s12
	v_add_nc_u32_e32 v3, 1, v1
	v_sub_nc_u32_e32 v2, v37, v2
	v_subrev_nc_u32_e32 v4, s12, v2
	v_cmp_le_u32_e32 vcc_lo, s12, v2
	v_cndmask_b32_e32 v1, v1, v3, vcc_lo
	v_cndmask_b32_e32 v2, v2, v4, vcc_lo
	v_add_nc_u32_e32 v3, 1, v1
	v_cmp_le_u32_e32 vcc_lo, s12, v2
	v_cndmask_b32_e32 v1, v1, v3, vcc_lo
	v_xor_b32_e32 v1, s19, v1
	v_subrev_nc_u32_e32 v1, s19, v1
	v_add_nc_u32_e32 v2, s29, v1
	v_cmp_lt_i32_e64 s0, s3, v1
	v_sub_nc_u32_e32 v3, 0, v2
	v_max_i32_e32 v3, v2, v3
	v_ashrrev_i32_e32 v2, 31, v2
	v_mul_hi_u32 v4, v3, v25
	v_mul_lo_u32 v4, v4, s4
	v_sub_nc_u32_e32 v3, v3, v4
	v_subrev_nc_u32_e32 v4, s4, v3
	v_cmp_le_u32_e32 vcc_lo, s4, v3
	v_cndmask_b32_e32 v3, v3, v4, vcc_lo
	v_subrev_nc_u32_e32 v4, s4, v3
	v_cmp_le_u32_e32 vcc_lo, s4, v3
	v_cndmask_b32_e32 v3, v3, v4, vcc_lo
	v_xor_b32_e32 v3, v3, v2
	v_sub_nc_u32_e32 v2, v3, v2
	v_cmp_eq_u32_e32 vcc_lo, 0, v2
	s_or_b32 s0, vcc_lo, s0
	s_and_saveexec_b32 s15, s0
	s_cbranch_execz .LBB91_34
; %bb.36:                               ;   in Loop: Header=BB91_35 Depth=1
	global_load_dword v7, v[5:6], off
	ds_read2_b64 v[1:4], v24 offset1:1
	ds_read2_b64 v[27:30], v24 offset0:2 offset1:3
	v_add_nc_u32_e32 v32, v21, v37
	v_cmp_eq_u32_e64 s0, s5, v26
	s_waitcnt lgkmcnt(1)
	;;#ASMSTART
	v_cvt_f16_f32 v39, v1;

	;;#ASMEND
	;;#ASMSTART
	v_cvt_f16_f32 v38, v2;

	;;#ASMEND
	;; [unrolled: 4-line block ×4, first 2 shown]
	s_waitcnt lgkmcnt(0)
	;;#ASMSTART
	v_cvt_f16_f32 v45, v27;

	;;#ASMEND
	;;#ASMSTART
	v_cvt_f16_f32 v41, v28;

	;;#ASMEND
	;; [unrolled: 4-line block ×4, first 2 shown]
	v_add_nc_u32_e32 v34, 1, v32
	v_add_nc_u32_e32 v31, 2, v32
	;; [unrolled: 1-line block ×7, first 2 shown]
	s_waitcnt vmcnt(0)
	v_mad_i64_i32 v[7:8], null, v7, s14, 0
	v_lshlrev_b64 v[7:8], 1, v[7:8]
	v_add_co_u32 v7, vcc_lo, v22, v7
	v_add_co_ci_u32_e64 v8, null, v23, v8, vcc_lo
	global_load_dwordx4 v[1:4], v[7:8], off
	s_waitcnt vmcnt(0)
	v_lshrrev_b32_e32 v48, 16, v1
	v_lshrrev_b32_e32 v47, 16, v2
	;; [unrolled: 1-line block ×3, first 2 shown]
	s_and_saveexec_b32 s17, s0
	s_cbranch_execz .LBB91_38
; %bb.37:                               ;   in Loop: Header=BB91_35 Depth=1
	v_cmp_gt_i32_e32 vcc_lo, s28, v32
	v_and_b32_e32 v49, 0xffff0000, v4
	v_cmp_gt_i32_e64 s1, s28, v31
	v_cndmask_b32_e32 v1, 0, v1, vcc_lo
	v_cmp_gt_i32_e32 vcc_lo, s28, v34
	v_cndmask_b32_e64 v2, 0, v2, s1
	v_cmp_gt_i32_e64 s1, s28, v30
	v_cndmask_b32_e32 v48, 0, v48, vcc_lo
	v_cmp_gt_i32_e32 vcc_lo, s28, v33
	v_cndmask_b32_e64 v47, 0, v47, s1
	v_cndmask_b32_sdwa v4, v20, v4, vcc_lo dst_sel:DWORD dst_unused:UNUSED_PAD src0_sel:DWORD src1_sel:WORD_0
	v_cmp_gt_i32_e32 vcc_lo, s28, v29
	v_cndmask_b32_e32 v49, 0, v49, vcc_lo
	v_cmp_gt_i32_e32 vcc_lo, s28, v28
	v_or_b32_e32 v4, v4, v49
	v_cndmask_b32_e32 v3, 0, v3, vcc_lo
	v_cmp_gt_i32_e32 vcc_lo, s28, v27
	v_cndmask_b32_e32 v46, 0, v46, vcc_lo
.LBB91_38:                              ;   in Loop: Header=BB91_35 Depth=1
	s_or_b32 exec_lo, exec_lo, s17
	v_and_b32_e32 v39, 0xffff, v39
	v_and_b32_e32 v44, 0xffff, v44
	v_lshlrev_b32_e32 v48, 16, v48
	v_lshlrev_b32_e32 v46, 16, v46
	v_and_b32_e32 v45, 0xffff, v45
	v_lshl_or_b32 v39, v38, 16, v39
	v_lshl_or_b32 v38, v42, 16, v44
	v_lshlrev_b32_e32 v44, 16, v47
	v_and_b32_e32 v43, 0xffff, v43
	v_and_or_b32 v1, 0xffff, v1, v48
	v_and_or_b32 v3, 0xffff, v3, v46
	;;#ASMSTART
	v_pk_mul_f16 v1, v39, v1;

	;;#ASMEND
	v_and_or_b32 v2, 0xffff, v2, v44
	v_lshl_or_b32 v42, v41, 16, v45
	v_lshl_or_b32 v43, v40, 16, v43
	;;#ASMSTART
	v_pk_mul_f16 v2, v38, v2;

	;;#ASMEND
	;;#ASMSTART
	v_pk_mul_f16 v3, v42, v3;

	;;#ASMEND
	;; [unrolled: 4-line block ×3, first 2 shown]
	;;#ASMSTART
	v_pk_add_f16 v1, v1, v2;

	;;#ASMEND
	;;#ASMSTART
	v_pk_add_f16 v1, v1, v3;

	;;#ASMEND
	;; [unrolled: 4-line block ×3, first 2 shown]
	v_and_b32_e32 v2, 0xffff, v1
	v_lshrrev_b32_e32 v1, 16, v1
	;;#ASMSTART
	v_cvt_f32_f16 v40, v2;
	;;#ASMEND
	;;#ASMSTART
	v_cvt_f32_f16 v41, v1;
	;;#ASMEND
	global_load_dwordx4 v[1:4], v[7:8], off offset:512
	s_waitcnt vmcnt(0)
	v_lshrrev_b32_e32 v46, 16, v1
	v_lshrrev_b32_e32 v45, 16, v2
	;; [unrolled: 1-line block ×3, first 2 shown]
	s_and_saveexec_b32 s17, s0
	s_cbranch_execz .LBB91_40
; %bb.39:                               ;   in Loop: Header=BB91_35 Depth=1
	v_cmp_gt_i32_e32 vcc_lo, s28, v32
	v_and_b32_e32 v47, 0xffff0000, v4
	v_cmp_gt_i32_e64 s1, s28, v31
	v_cndmask_b32_e32 v1, 0, v1, vcc_lo
	v_cmp_gt_i32_e32 vcc_lo, s28, v34
	v_cndmask_b32_e64 v2, 0, v2, s1
	v_cmp_gt_i32_e64 s1, s28, v30
	v_cndmask_b32_e32 v46, 0, v46, vcc_lo
	v_cmp_gt_i32_e32 vcc_lo, s28, v33
	v_cndmask_b32_e64 v45, 0, v45, s1
	v_cndmask_b32_sdwa v4, v20, v4, vcc_lo dst_sel:DWORD dst_unused:UNUSED_PAD src0_sel:DWORD src1_sel:WORD_0
	v_cmp_gt_i32_e32 vcc_lo, s28, v29
	v_cndmask_b32_e32 v47, 0, v47, vcc_lo
	v_cmp_gt_i32_e32 vcc_lo, s28, v28
	v_or_b32_e32 v4, v4, v47
	v_cndmask_b32_e32 v3, 0, v3, vcc_lo
	v_cmp_gt_i32_e32 vcc_lo, s28, v27
	v_cndmask_b32_e32 v44, 0, v44, vcc_lo
.LBB91_40:                              ;   in Loop: Header=BB91_35 Depth=1
	s_or_b32 exec_lo, exec_lo, s17
	v_lshlrev_b32_e32 v46, 16, v46
	v_lshlrev_b32_e32 v45, 16, v45
	;; [unrolled: 1-line block ×3, first 2 shown]
	v_and_or_b32 v1, 0xffff, v1, v46
	v_and_or_b32 v2, 0xffff, v2, v45
	;; [unrolled: 1-line block ×3, first 2 shown]
	;;#ASMSTART
	v_pk_mul_f16 v1, v39, v1;

	;;#ASMEND
	;;#ASMSTART
	v_pk_mul_f16 v2, v38, v2;

	;;#ASMEND
	;; [unrolled: 4-line block ×4, first 2 shown]
	;;#ASMSTART
	v_pk_add_f16 v1, v1, v2;

	;;#ASMEND
	;;#ASMSTART
	v_pk_add_f16 v1, v1, v3;

	;;#ASMEND
	;; [unrolled: 4-line block ×3, first 2 shown]
	v_and_b32_e32 v2, 0xffff, v1
	v_lshrrev_b32_e32 v1, 16, v1
	;;#ASMSTART
	v_cvt_f32_f16 v44, v2;
	;;#ASMEND
	;;#ASMSTART
	v_cvt_f32_f16 v45, v1;
	;;#ASMEND
	global_load_dwordx4 v[1:4], v[7:8], off offset:1024
	s_waitcnt vmcnt(0)
	v_lshrrev_b32_e32 v48, 16, v1
	v_lshrrev_b32_e32 v47, 16, v2
	;; [unrolled: 1-line block ×3, first 2 shown]
	s_and_saveexec_b32 s17, s0
	s_cbranch_execz .LBB91_42
; %bb.41:                               ;   in Loop: Header=BB91_35 Depth=1
	v_cmp_gt_i32_e32 vcc_lo, s28, v32
	v_and_b32_e32 v49, 0xffff0000, v4
	v_cmp_gt_i32_e64 s1, s28, v31
	v_cndmask_b32_e32 v1, 0, v1, vcc_lo
	v_cmp_gt_i32_e32 vcc_lo, s28, v34
	v_cndmask_b32_e64 v2, 0, v2, s1
	v_cmp_gt_i32_e64 s1, s28, v30
	v_cndmask_b32_e32 v48, 0, v48, vcc_lo
	v_cmp_gt_i32_e32 vcc_lo, s28, v33
	v_cndmask_b32_e64 v47, 0, v47, s1
	v_cndmask_b32_sdwa v4, v20, v4, vcc_lo dst_sel:DWORD dst_unused:UNUSED_PAD src0_sel:DWORD src1_sel:WORD_0
	v_cmp_gt_i32_e32 vcc_lo, s28, v29
	v_cndmask_b32_e32 v49, 0, v49, vcc_lo
	v_cmp_gt_i32_e32 vcc_lo, s28, v28
	v_or_b32_e32 v4, v4, v49
	v_cndmask_b32_e32 v3, 0, v3, vcc_lo
	v_cmp_gt_i32_e32 vcc_lo, s28, v27
	v_cndmask_b32_e32 v46, 0, v46, vcc_lo
.LBB91_42:                              ;   in Loop: Header=BB91_35 Depth=1
	s_or_b32 exec_lo, exec_lo, s17
	v_lshlrev_b32_e32 v48, 16, v48
	v_lshlrev_b32_e32 v47, 16, v47
	;; [unrolled: 1-line block ×3, first 2 shown]
	v_and_or_b32 v1, 0xffff, v1, v48
	v_and_or_b32 v2, 0xffff, v2, v47
	;; [unrolled: 1-line block ×3, first 2 shown]
	;;#ASMSTART
	v_pk_mul_f16 v1, v39, v1;

	;;#ASMEND
	;;#ASMSTART
	v_pk_mul_f16 v2, v38, v2;

	;;#ASMEND
	;; [unrolled: 4-line block ×4, first 2 shown]
	;;#ASMSTART
	v_pk_add_f16 v1, v1, v2;

	;;#ASMEND
	;;#ASMSTART
	v_pk_add_f16 v1, v1, v3;

	;;#ASMEND
	;;#ASMSTART
	v_pk_add_f16 v1, v1, v4;

	;;#ASMEND
	v_and_b32_e32 v2, 0xffff, v1
	v_lshrrev_b32_e32 v1, 16, v1
	;;#ASMSTART
	v_cvt_f32_f16 v46, v2;
	;;#ASMEND
	;;#ASMSTART
	v_cvt_f32_f16 v47, v1;
	;;#ASMEND
	global_load_dwordx4 v[1:4], v[7:8], off offset:1536
	s_waitcnt vmcnt(0)
	v_lshrrev_b32_e32 v50, 16, v1
	v_lshrrev_b32_e32 v49, 16, v2
	;; [unrolled: 1-line block ×3, first 2 shown]
	s_and_saveexec_b32 s17, s0
	s_cbranch_execz .LBB91_44
; %bb.43:                               ;   in Loop: Header=BB91_35 Depth=1
	v_cmp_gt_i32_e32 vcc_lo, s28, v32
	v_and_b32_e32 v51, 0xffff0000, v4
	v_cmp_gt_i32_e64 s1, s28, v31
	v_cndmask_b32_e32 v1, 0, v1, vcc_lo
	v_cmp_gt_i32_e32 vcc_lo, s28, v34
	v_cndmask_b32_e64 v2, 0, v2, s1
	v_cmp_gt_i32_e64 s1, s28, v30
	v_cndmask_b32_e32 v50, 0, v50, vcc_lo
	v_cmp_gt_i32_e32 vcc_lo, s28, v33
	v_cndmask_b32_e64 v49, 0, v49, s1
	v_cndmask_b32_sdwa v4, v20, v4, vcc_lo dst_sel:DWORD dst_unused:UNUSED_PAD src0_sel:DWORD src1_sel:WORD_0
	v_cmp_gt_i32_e32 vcc_lo, s28, v29
	v_cndmask_b32_e32 v51, 0, v51, vcc_lo
	v_cmp_gt_i32_e32 vcc_lo, s28, v28
	v_or_b32_e32 v4, v4, v51
	v_cndmask_b32_e32 v3, 0, v3, vcc_lo
	v_cmp_gt_i32_e32 vcc_lo, s28, v27
	v_cndmask_b32_e32 v48, 0, v48, vcc_lo
.LBB91_44:                              ;   in Loop: Header=BB91_35 Depth=1
	s_or_b32 exec_lo, exec_lo, s17
	v_lshlrev_b32_e32 v50, 16, v50
	v_lshlrev_b32_e32 v49, 16, v49
	;; [unrolled: 1-line block ×3, first 2 shown]
	v_add_co_u32 v7, vcc_lo, 0x800, v7
	v_and_or_b32 v1, 0xffff, v1, v50
	v_and_or_b32 v2, 0xffff, v2, v49
	;; [unrolled: 1-line block ×3, first 2 shown]
	;;#ASMSTART
	v_pk_mul_f16 v1, v39, v1;

	;;#ASMEND
	v_add_co_ci_u32_e64 v8, null, 0, v8, vcc_lo
	;;#ASMSTART
	v_pk_mul_f16 v2, v38, v2;

	;;#ASMEND
	;;#ASMSTART
	v_pk_mul_f16 v3, v42, v3;

	;;#ASMEND
	;; [unrolled: 4-line block ×3, first 2 shown]
	;;#ASMSTART
	v_pk_add_f16 v1, v1, v2;

	;;#ASMEND
	;;#ASMSTART
	v_pk_add_f16 v1, v1, v3;

	;;#ASMEND
	;; [unrolled: 4-line block ×3, first 2 shown]
	v_lshrrev_b32_e32 v2, 16, v1
	v_and_b32_e32 v1, 0xffff, v1
	;;#ASMSTART
	v_cvt_f32_f16 v48, v1;
	;;#ASMEND
	;;#ASMSTART
	v_cvt_f32_f16 v49, v2;
	;;#ASMEND
	global_load_dwordx4 v[1:4], v[7:8], off
	s_waitcnt vmcnt(0)
	v_lshrrev_b32_e32 v52, 16, v1
	v_lshrrev_b32_e32 v51, 16, v2
	;; [unrolled: 1-line block ×3, first 2 shown]
	s_and_saveexec_b32 s17, s0
	s_cbranch_execz .LBB91_46
; %bb.45:                               ;   in Loop: Header=BB91_35 Depth=1
	v_cmp_gt_i32_e32 vcc_lo, s28, v32
	v_and_b32_e32 v53, 0xffff0000, v4
	v_cmp_gt_i32_e64 s1, s28, v31
	v_cndmask_b32_e32 v1, 0, v1, vcc_lo
	v_cmp_gt_i32_e32 vcc_lo, s28, v34
	v_cndmask_b32_e64 v2, 0, v2, s1
	v_cmp_gt_i32_e64 s1, s28, v30
	v_cndmask_b32_e32 v52, 0, v52, vcc_lo
	v_cmp_gt_i32_e32 vcc_lo, s28, v33
	v_cndmask_b32_e64 v51, 0, v51, s1
	v_cndmask_b32_sdwa v4, v20, v4, vcc_lo dst_sel:DWORD dst_unused:UNUSED_PAD src0_sel:DWORD src1_sel:WORD_0
	v_cmp_gt_i32_e32 vcc_lo, s28, v29
	v_cndmask_b32_e32 v53, 0, v53, vcc_lo
	v_cmp_gt_i32_e32 vcc_lo, s28, v28
	v_or_b32_e32 v4, v4, v53
	v_cndmask_b32_e32 v3, 0, v3, vcc_lo
	v_cmp_gt_i32_e32 vcc_lo, s28, v27
	v_cndmask_b32_e32 v50, 0, v50, vcc_lo
.LBB91_46:                              ;   in Loop: Header=BB91_35 Depth=1
	s_or_b32 exec_lo, exec_lo, s17
	v_lshlrev_b32_e32 v52, 16, v52
	v_lshlrev_b32_e32 v51, 16, v51
	;; [unrolled: 1-line block ×3, first 2 shown]
	v_and_or_b32 v1, 0xffff, v1, v52
	v_and_or_b32 v2, 0xffff, v2, v51
	;; [unrolled: 1-line block ×3, first 2 shown]
	;;#ASMSTART
	v_pk_mul_f16 v1, v39, v1;

	;;#ASMEND
	;;#ASMSTART
	v_pk_mul_f16 v2, v38, v2;

	;;#ASMEND
	;; [unrolled: 4-line block ×4, first 2 shown]
	;;#ASMSTART
	v_pk_add_f16 v1, v1, v2;

	;;#ASMEND
	;;#ASMSTART
	v_pk_add_f16 v1, v1, v3;

	;;#ASMEND
	;; [unrolled: 4-line block ×3, first 2 shown]
	v_and_b32_e32 v2, 0xffff, v1
	v_lshrrev_b32_e32 v1, 16, v1
	;;#ASMSTART
	v_cvt_f32_f16 v50, v2;
	;;#ASMEND
	;;#ASMSTART
	v_cvt_f32_f16 v51, v1;
	;;#ASMEND
	global_load_dwordx4 v[1:4], v[7:8], off offset:512
	s_waitcnt vmcnt(0)
	v_lshrrev_b32_e32 v54, 16, v1
	v_lshrrev_b32_e32 v53, 16, v2
	;; [unrolled: 1-line block ×3, first 2 shown]
	s_and_saveexec_b32 s17, s0
	s_cbranch_execz .LBB91_48
; %bb.47:                               ;   in Loop: Header=BB91_35 Depth=1
	v_cmp_gt_i32_e32 vcc_lo, s28, v32
	v_and_b32_e32 v55, 0xffff0000, v4
	v_cmp_gt_i32_e64 s1, s28, v31
	v_cndmask_b32_e32 v1, 0, v1, vcc_lo
	v_cmp_gt_i32_e32 vcc_lo, s28, v34
	v_cndmask_b32_e64 v2, 0, v2, s1
	v_cmp_gt_i32_e64 s1, s28, v30
	v_cndmask_b32_e32 v54, 0, v54, vcc_lo
	v_cmp_gt_i32_e32 vcc_lo, s28, v33
	v_cndmask_b32_e64 v53, 0, v53, s1
	v_cndmask_b32_sdwa v4, v20, v4, vcc_lo dst_sel:DWORD dst_unused:UNUSED_PAD src0_sel:DWORD src1_sel:WORD_0
	v_cmp_gt_i32_e32 vcc_lo, s28, v29
	v_cndmask_b32_e32 v55, 0, v55, vcc_lo
	v_cmp_gt_i32_e32 vcc_lo, s28, v28
	v_or_b32_e32 v4, v4, v55
	v_cndmask_b32_e32 v3, 0, v3, vcc_lo
	v_cmp_gt_i32_e32 vcc_lo, s28, v27
	v_cndmask_b32_e32 v52, 0, v52, vcc_lo
.LBB91_48:                              ;   in Loop: Header=BB91_35 Depth=1
	s_or_b32 exec_lo, exec_lo, s17
	v_lshlrev_b32_e32 v54, 16, v54
	v_lshlrev_b32_e32 v53, 16, v53
	v_lshlrev_b32_e32 v52, 16, v52
	v_and_or_b32 v1, 0xffff, v1, v54
	v_and_or_b32 v2, 0xffff, v2, v53
	;; [unrolled: 1-line block ×3, first 2 shown]
	;;#ASMSTART
	v_pk_mul_f16 v1, v39, v1;

	;;#ASMEND
	;;#ASMSTART
	v_pk_mul_f16 v2, v38, v2;

	;;#ASMEND
	;; [unrolled: 4-line block ×4, first 2 shown]
	;;#ASMSTART
	v_pk_add_f16 v1, v1, v2;

	;;#ASMEND
	;;#ASMSTART
	v_pk_add_f16 v1, v1, v3;

	;;#ASMEND
	;; [unrolled: 4-line block ×3, first 2 shown]
	v_and_b32_e32 v2, 0xffff, v1
	v_lshrrev_b32_e32 v1, 16, v1
	;;#ASMSTART
	v_cvt_f32_f16 v52, v2;
	;;#ASMEND
	;;#ASMSTART
	v_cvt_f32_f16 v53, v1;
	;;#ASMEND
	global_load_dwordx4 v[1:4], v[7:8], off offset:1024
	s_waitcnt vmcnt(0)
	v_lshrrev_b32_e32 v56, 16, v1
	v_lshrrev_b32_e32 v55, 16, v2
	;; [unrolled: 1-line block ×3, first 2 shown]
	s_and_saveexec_b32 s17, s0
	s_cbranch_execz .LBB91_50
; %bb.49:                               ;   in Loop: Header=BB91_35 Depth=1
	v_cmp_gt_i32_e32 vcc_lo, s28, v32
	v_and_b32_e32 v57, 0xffff0000, v4
	v_cmp_gt_i32_e64 s1, s28, v31
	v_cndmask_b32_e32 v1, 0, v1, vcc_lo
	v_cmp_gt_i32_e32 vcc_lo, s28, v34
	v_cndmask_b32_e64 v2, 0, v2, s1
	v_cmp_gt_i32_e64 s1, s28, v30
	v_cndmask_b32_e32 v56, 0, v56, vcc_lo
	v_cmp_gt_i32_e32 vcc_lo, s28, v33
	v_cndmask_b32_e64 v55, 0, v55, s1
	v_cndmask_b32_sdwa v4, v20, v4, vcc_lo dst_sel:DWORD dst_unused:UNUSED_PAD src0_sel:DWORD src1_sel:WORD_0
	v_cmp_gt_i32_e32 vcc_lo, s28, v29
	v_cndmask_b32_e32 v57, 0, v57, vcc_lo
	v_cmp_gt_i32_e32 vcc_lo, s28, v28
	v_or_b32_e32 v4, v4, v57
	v_cndmask_b32_e32 v3, 0, v3, vcc_lo
	v_cmp_gt_i32_e32 vcc_lo, s28, v27
	v_cndmask_b32_e32 v54, 0, v54, vcc_lo
.LBB91_50:                              ;   in Loop: Header=BB91_35 Depth=1
	s_or_b32 exec_lo, exec_lo, s17
	v_lshlrev_b32_e32 v56, 16, v56
	v_lshlrev_b32_e32 v55, 16, v55
	;; [unrolled: 1-line block ×3, first 2 shown]
	v_and_or_b32 v1, 0xffff, v1, v56
	v_and_or_b32 v2, 0xffff, v2, v55
	;; [unrolled: 1-line block ×3, first 2 shown]
	;;#ASMSTART
	v_pk_mul_f16 v1, v39, v1;

	;;#ASMEND
	;;#ASMSTART
	v_pk_mul_f16 v2, v38, v2;

	;;#ASMEND
	;;#ASMSTART
	v_pk_mul_f16 v3, v42, v3;

	;;#ASMEND
	;;#ASMSTART
	v_pk_mul_f16 v4, v43, v4;

	;;#ASMEND
	;;#ASMSTART
	v_pk_add_f16 v1, v1, v2;

	;;#ASMEND
	;;#ASMSTART
	v_pk_add_f16 v1, v1, v3;

	;;#ASMEND
	;; [unrolled: 4-line block ×3, first 2 shown]
	v_and_b32_e32 v2, 0xffff, v1
	v_lshrrev_b32_e32 v1, 16, v1
	;;#ASMSTART
	v_cvt_f32_f16 v55, v2;
	;;#ASMEND
	;;#ASMSTART
	v_cvt_f32_f16 v56, v1;
	;;#ASMEND
	global_load_dwordx4 v[1:4], v[7:8], off offset:1536
	s_waitcnt vmcnt(0)
	v_lshrrev_b32_e32 v54, 16, v1
	v_lshrrev_b32_e32 v8, 16, v2
	;; [unrolled: 1-line block ×3, first 2 shown]
	s_and_saveexec_b32 s1, s0
	s_cbranch_execz .LBB91_33
; %bb.51:                               ;   in Loop: Header=BB91_35 Depth=1
	v_cmp_gt_i32_e32 vcc_lo, s28, v32
	v_cmp_gt_i32_e64 s0, s28, v31
	v_cndmask_b32_e32 v1, 0, v1, vcc_lo
	v_cmp_gt_i32_e32 vcc_lo, s28, v34
	v_cndmask_b32_e64 v2, 0, v2, s0
	v_cmp_gt_i32_e64 s0, s28, v30
	v_and_b32_e32 v30, 0xffff0000, v4
	v_cndmask_b32_e32 v54, 0, v54, vcc_lo
	v_cmp_gt_i32_e32 vcc_lo, s28, v33
	v_cndmask_b32_e64 v8, 0, v8, s0
	v_cndmask_b32_sdwa v4, v20, v4, vcc_lo dst_sel:DWORD dst_unused:UNUSED_PAD src0_sel:DWORD src1_sel:WORD_0
	v_cmp_gt_i32_e32 vcc_lo, s28, v29
	v_cndmask_b32_e32 v29, 0, v30, vcc_lo
	v_cmp_gt_i32_e32 vcc_lo, s28, v28
	v_or_b32_e32 v4, v4, v29
	v_cndmask_b32_e32 v3, 0, v3, vcc_lo
	v_cmp_gt_i32_e32 vcc_lo, s28, v27
	v_cndmask_b32_e32 v7, 0, v7, vcc_lo
	s_branch .LBB91_33
.LBB91_52:
	s_or_b32 exec_lo, exec_lo, s13
.LBB91_53:
	s_or_b32 exec_lo, exec_lo, s2
	ds_bpermute_b32 v1, v10, v18
	ds_bpermute_b32 v2, v10, v19
	;; [unrolled: 1-line block ×8, first 2 shown]
	v_and_b32_e32 v23, 0x3c3, v0
	s_mov_b32 s0, exec_lo
	s_waitcnt lgkmcnt(0)
	s_barrier
	buffer_gl0_inv
	v_add_f32_e32 v1, v18, v1
	v_add_f32_e32 v2, v19, v2
	;; [unrolled: 1-line block ×8, first 2 shown]
	ds_bpermute_b32 v5, v9, v1
	ds_bpermute_b32 v6, v9, v2
	ds_bpermute_b32 v17, v9, v3
	ds_bpermute_b32 v18, v9, v4
	ds_bpermute_b32 v19, v9, v15
	ds_bpermute_b32 v20, v9, v14
	ds_bpermute_b32 v21, v9, v13
	ds_bpermute_b32 v22, v9, v16
	v_and_b32_e32 v7, 28, v36
	v_lshrrev_b32_e32 v9, 2, v36
	v_lshlrev_b32_e32 v12, 8, v35
	v_add_nc_u32_e32 v10, 0xa0, v7
	s_waitcnt lgkmcnt(7)
	v_add_f32_e32 v8, v1, v5
	s_waitcnt lgkmcnt(6)
	v_add_f32_e32 v7, v2, v6
	;; [unrolled: 2-line block ×8, first 2 shown]
	v_cmpx_eq_u32_e32 64, v23
	s_cbranch_execz .LBB91_55
; %bb.54:
	v_add_nc_u32_e32 v13, v10, v12
	v_add_nc_u32_e32 v14, 0xfffffe00, v13
	;; [unrolled: 1-line block ×9, first 2 shown]
	ds_write_b32 v14, v8
	ds_write_b32 v15, v7
	;; [unrolled: 1-line block ×8, first 2 shown]
.LBB91_55:
	s_or_b32 exec_lo, exec_lo, s0
	v_lshlrev_b32_e32 v9, 2, v9
	s_mov_b32 s1, exec_lo
	v_cmp_eq_u32_e32 vcc_lo, 0, v11
	s_waitcnt lgkmcnt(0)
	s_barrier
	v_add3_u32 v9, 0xa0, v12, v9
	buffer_gl0_inv
	v_cmpx_gt_u32_e32 64, v0
	s_cbranch_execz .LBB91_66
; %bb.56:
	s_and_saveexec_b32 s0, vcc_lo
	s_cbranch_execnz .LBB91_82
; %bb.57:
	s_or_b32 exec_lo, exec_lo, s0
	s_and_saveexec_b32 s0, vcc_lo
	s_cbranch_execnz .LBB91_83
.LBB91_58:
	s_or_b32 exec_lo, exec_lo, s0
	s_and_saveexec_b32 s0, vcc_lo
	s_cbranch_execnz .LBB91_84
.LBB91_59:
	s_or_b32 exec_lo, exec_lo, s0
	s_and_saveexec_b32 s0, vcc_lo
	s_cbranch_execnz .LBB91_85
.LBB91_60:
	s_or_b32 exec_lo, exec_lo, s0
	s_and_saveexec_b32 s0, vcc_lo
	s_cbranch_execnz .LBB91_86
.LBB91_61:
	s_or_b32 exec_lo, exec_lo, s0
	s_and_saveexec_b32 s0, vcc_lo
	s_cbranch_execnz .LBB91_87
.LBB91_62:
	s_or_b32 exec_lo, exec_lo, s0
	s_and_saveexec_b32 s0, vcc_lo
	s_cbranch_execnz .LBB91_88
.LBB91_63:
	s_or_b32 exec_lo, exec_lo, s0
	s_and_saveexec_b32 s0, vcc_lo
	s_cbranch_execz .LBB91_65
.LBB91_64:
	ds_read_b32 v11, v9 offset:224
	s_waitcnt lgkmcnt(0)
	v_add_f32_e32 v1, v1, v11
.LBB91_65:
	s_or_b32 exec_lo, exec_lo, s0
.LBB91_66:
	s_or_b32 exec_lo, exec_lo, s1
	v_and_b32_e32 v11, 0x3e3, v0
	s_mov_b32 s1, exec_lo
	s_barrier
	buffer_gl0_inv
	v_cmpx_eq_u32_e32 32, v11
	s_cbranch_execz .LBB91_68
; %bb.67:
	ds_write2_b32 v10, v8, v7 offset1:8
	ds_write2_b32 v10, v6, v5 offset0:16 offset1:24
	ds_write2_b32 v10, v4, v3 offset0:32 offset1:40
	;; [unrolled: 1-line block ×3, first 2 shown]
.LBB91_68:
	s_or_b32 exec_lo, exec_lo, s1
	s_mov_b32 s1, exec_lo
	s_waitcnt lgkmcnt(0)
	s_barrier
	buffer_gl0_inv
	v_cmpx_gt_u32_e32 32, v0
	s_cbranch_execz .LBB91_79
; %bb.69:
	s_and_saveexec_b32 s0, vcc_lo
	s_cbranch_execnz .LBB91_89
; %bb.70:
	s_or_b32 exec_lo, exec_lo, s0
	s_and_saveexec_b32 s0, vcc_lo
	s_cbranch_execnz .LBB91_90
.LBB91_71:
	s_or_b32 exec_lo, exec_lo, s0
	s_and_saveexec_b32 s0, vcc_lo
	s_cbranch_execnz .LBB91_91
.LBB91_72:
	s_or_b32 exec_lo, exec_lo, s0
	s_and_saveexec_b32 s0, vcc_lo
	s_cbranch_execnz .LBB91_92
.LBB91_73:
	s_or_b32 exec_lo, exec_lo, s0
	s_and_saveexec_b32 s0, vcc_lo
	s_cbranch_execnz .LBB91_93
.LBB91_74:
	s_or_b32 exec_lo, exec_lo, s0
	s_and_saveexec_b32 s0, vcc_lo
	s_cbranch_execnz .LBB91_94
.LBB91_75:
	s_or_b32 exec_lo, exec_lo, s0
	s_and_saveexec_b32 s0, vcc_lo
	s_cbranch_execnz .LBB91_95
.LBB91_76:
	s_or_b32 exec_lo, exec_lo, s0
	s_and_saveexec_b32 s0, vcc_lo
	s_cbranch_execz .LBB91_78
.LBB91_77:
	ds_read_b32 v9, v9 offset:224
	s_waitcnt lgkmcnt(0)
	v_add_f32_e32 v1, v1, v9
.LBB91_78:
	s_or_b32 exec_lo, exec_lo, s0
.LBB91_79:
	s_or_b32 exec_lo, exec_lo, s1
	s_barrier
	buffer_gl0_inv
	s_mov_b32 s0, exec_lo
	v_cmpx_eq_u32_e32 0, v11
	s_cbranch_execz .LBB91_81
; %bb.80:
	s_mul_i32 s0, s10, s11
	s_mul_i32 s2, s11, s20
	;; [unrolled: 1-line block ×3, first 2 shown]
	v_lshrrev_b32_e32 v0, 1, v0
	s_lshl_b32 s0, s0, 6
	;;#ASMSTART
	v_cvt_f16_f32 v8, v8;

	;;#ASMEND
	s_ashr_i32 s1, s0, 31
	s_lshl_b64 s[0:1], s[0:1], 1
	s_add_u32 s4, s6, s0
	s_addc_u32 s5, s7, s1
	s_ashr_i32 s3, s2, 31
	s_lshl_b64 s[0:1], s[2:3], 1
	s_add_u32 s2, s4, s0
	s_addc_u32 s3, s5, s1
	s_lshl_b32 s0, s8, 6
	s_ashr_i32 s1, s0, 31
	s_lshl_b64 s[0:1], s[0:1], 1
	s_add_u32 s0, s2, s0
	s_addc_u32 s1, s3, s1
	global_store_short v0, v8, s[0:1]
	;;#ASMSTART
	v_cvt_f16_f32 v7, v7;

	;;#ASMEND
	global_store_short v0, v7, s[0:1] offset:16
	;;#ASMSTART
	v_cvt_f16_f32 v6, v6;

	;;#ASMEND
	global_store_short v0, v6, s[0:1] offset:32
	;; [unrolled: 5-line block ×7, first 2 shown]
.LBB91_81:
	s_endpgm
.LBB91_82:
	ds_read_b32 v11, v9
	s_waitcnt lgkmcnt(0)
	v_add_f32_e32 v8, v8, v11
	s_or_b32 exec_lo, exec_lo, s0
	s_and_saveexec_b32 s0, vcc_lo
	s_cbranch_execz .LBB91_58
.LBB91_83:
	ds_read_b32 v11, v9 offset:32
	s_waitcnt lgkmcnt(0)
	v_add_f32_e32 v7, v7, v11
	s_or_b32 exec_lo, exec_lo, s0
	s_and_saveexec_b32 s0, vcc_lo
	s_cbranch_execz .LBB91_59
.LBB91_84:
	ds_read_b32 v11, v9 offset:64
	s_waitcnt lgkmcnt(0)
	v_add_f32_e32 v6, v6, v11
	s_or_b32 exec_lo, exec_lo, s0
	s_and_saveexec_b32 s0, vcc_lo
	s_cbranch_execz .LBB91_60
.LBB91_85:
	ds_read_b32 v11, v9 offset:96
	s_waitcnt lgkmcnt(0)
	v_add_f32_e32 v5, v5, v11
	s_or_b32 exec_lo, exec_lo, s0
	s_and_saveexec_b32 s0, vcc_lo
	s_cbranch_execz .LBB91_61
.LBB91_86:
	ds_read_b32 v11, v9 offset:128
	s_waitcnt lgkmcnt(0)
	v_add_f32_e32 v4, v4, v11
	s_or_b32 exec_lo, exec_lo, s0
	s_and_saveexec_b32 s0, vcc_lo
	s_cbranch_execz .LBB91_62
.LBB91_87:
	ds_read_b32 v11, v9 offset:160
	s_waitcnt lgkmcnt(0)
	v_add_f32_e32 v3, v3, v11
	s_or_b32 exec_lo, exec_lo, s0
	s_and_saveexec_b32 s0, vcc_lo
	s_cbranch_execz .LBB91_63
.LBB91_88:
	ds_read_b32 v11, v9 offset:192
	s_waitcnt lgkmcnt(0)
	v_add_f32_e32 v2, v2, v11
	s_or_b32 exec_lo, exec_lo, s0
	s_and_saveexec_b32 s0, vcc_lo
	s_cbranch_execnz .LBB91_64
	s_branch .LBB91_65
.LBB91_89:
	ds_read_b32 v10, v9
	s_waitcnt lgkmcnt(0)
	v_add_f32_e32 v8, v8, v10
	s_or_b32 exec_lo, exec_lo, s0
	s_and_saveexec_b32 s0, vcc_lo
	s_cbranch_execz .LBB91_71
.LBB91_90:
	ds_read_b32 v10, v9 offset:32
	s_waitcnt lgkmcnt(0)
	v_add_f32_e32 v7, v7, v10
	s_or_b32 exec_lo, exec_lo, s0
	s_and_saveexec_b32 s0, vcc_lo
	s_cbranch_execz .LBB91_72
.LBB91_91:
	ds_read_b32 v10, v9 offset:64
	s_waitcnt lgkmcnt(0)
	v_add_f32_e32 v6, v6, v10
	s_or_b32 exec_lo, exec_lo, s0
	s_and_saveexec_b32 s0, vcc_lo
	s_cbranch_execz .LBB91_73
.LBB91_92:
	ds_read_b32 v10, v9 offset:96
	s_waitcnt lgkmcnt(0)
	v_add_f32_e32 v5, v5, v10
	s_or_b32 exec_lo, exec_lo, s0
	s_and_saveexec_b32 s0, vcc_lo
	s_cbranch_execz .LBB91_74
.LBB91_93:
	ds_read_b32 v10, v9 offset:128
	s_waitcnt lgkmcnt(0)
	v_add_f32_e32 v4, v4, v10
	s_or_b32 exec_lo, exec_lo, s0
	s_and_saveexec_b32 s0, vcc_lo
	s_cbranch_execz .LBB91_75
.LBB91_94:
	ds_read_b32 v10, v9 offset:160
	s_waitcnt lgkmcnt(0)
	v_add_f32_e32 v3, v3, v10
	s_or_b32 exec_lo, exec_lo, s0
	s_and_saveexec_b32 s0, vcc_lo
	s_cbranch_execz .LBB91_76
.LBB91_95:
	ds_read_b32 v10, v9 offset:192
	s_waitcnt lgkmcnt(0)
	v_add_f32_e32 v2, v2, v10
	s_or_b32 exec_lo, exec_lo, s0
	s_and_saveexec_b32 s0, vcc_lo
	s_cbranch_execnz .LBB91_77
	s_branch .LBB91_78
	.section	.rodata,"a",@progbits
	.p2align	6, 0x0
	.amdhsa_kernel _ZN4vllm25paged_attention_v1_kernelIttLi64ELi32ELi128ELNS_18Fp8KVCacheDataTypeE0ELb1EEEvPT_PKS2_PKT0_S8_ifPKiSA_iPKfiiiSC_SC_iiiii
		.amdhsa_group_segment_fixed_size 160
		.amdhsa_private_segment_fixed_size 0
		.amdhsa_kernarg_size 384
		.amdhsa_user_sgpr_count 6
		.amdhsa_user_sgpr_private_segment_buffer 1
		.amdhsa_user_sgpr_dispatch_ptr 0
		.amdhsa_user_sgpr_queue_ptr 0
		.amdhsa_user_sgpr_kernarg_segment_ptr 1
		.amdhsa_user_sgpr_dispatch_id 0
		.amdhsa_user_sgpr_flat_scratch_init 0
		.amdhsa_user_sgpr_private_segment_size 0
		.amdhsa_wavefront_size32 1
		.amdhsa_uses_dynamic_stack 0
		.amdhsa_system_sgpr_private_segment_wavefront_offset 0
		.amdhsa_system_sgpr_workgroup_id_x 1
		.amdhsa_system_sgpr_workgroup_id_y 1
		.amdhsa_system_sgpr_workgroup_id_z 1
		.amdhsa_system_sgpr_workgroup_info 0
		.amdhsa_system_vgpr_workitem_id 0
		.amdhsa_next_free_vgpr 123
		.amdhsa_next_free_sgpr 38
		.amdhsa_reserve_vcc 1
		.amdhsa_reserve_flat_scratch 0
		.amdhsa_float_round_mode_32 0
		.amdhsa_float_round_mode_16_64 0
		.amdhsa_float_denorm_mode_32 3
		.amdhsa_float_denorm_mode_16_64 3
		.amdhsa_dx10_clamp 1
		.amdhsa_ieee_mode 1
		.amdhsa_fp16_overflow 0
		.amdhsa_workgroup_processor_mode 1
		.amdhsa_memory_ordered 1
		.amdhsa_forward_progress 1
		.amdhsa_shared_vgpr_count 0
		.amdhsa_exception_fp_ieee_invalid_op 0
		.amdhsa_exception_fp_denorm_src 0
		.amdhsa_exception_fp_ieee_div_zero 0
		.amdhsa_exception_fp_ieee_overflow 0
		.amdhsa_exception_fp_ieee_underflow 0
		.amdhsa_exception_fp_ieee_inexact 0
		.amdhsa_exception_int_div_zero 0
	.end_amdhsa_kernel
	.section	.text._ZN4vllm25paged_attention_v1_kernelIttLi64ELi32ELi128ELNS_18Fp8KVCacheDataTypeE0ELb1EEEvPT_PKS2_PKT0_S8_ifPKiSA_iPKfiiiSC_SC_iiiii,"axG",@progbits,_ZN4vllm25paged_attention_v1_kernelIttLi64ELi32ELi128ELNS_18Fp8KVCacheDataTypeE0ELb1EEEvPT_PKS2_PKT0_S8_ifPKiSA_iPKfiiiSC_SC_iiiii,comdat
.Lfunc_end91:
	.size	_ZN4vllm25paged_attention_v1_kernelIttLi64ELi32ELi128ELNS_18Fp8KVCacheDataTypeE0ELb1EEEvPT_PKS2_PKT0_S8_ifPKiSA_iPKfiiiSC_SC_iiiii, .Lfunc_end91-_ZN4vllm25paged_attention_v1_kernelIttLi64ELi32ELi128ELNS_18Fp8KVCacheDataTypeE0ELb1EEEvPT_PKS2_PKT0_S8_ifPKiSA_iPKfiiiSC_SC_iiiii
                                        ; -- End function
	.set _ZN4vllm25paged_attention_v1_kernelIttLi64ELi32ELi128ELNS_18Fp8KVCacheDataTypeE0ELb1EEEvPT_PKS2_PKT0_S8_ifPKiSA_iPKfiiiSC_SC_iiiii.num_vgpr, 123
	.set _ZN4vllm25paged_attention_v1_kernelIttLi64ELi32ELi128ELNS_18Fp8KVCacheDataTypeE0ELb1EEEvPT_PKS2_PKT0_S8_ifPKiSA_iPKfiiiSC_SC_iiiii.num_agpr, 0
	.set _ZN4vllm25paged_attention_v1_kernelIttLi64ELi32ELi128ELNS_18Fp8KVCacheDataTypeE0ELb1EEEvPT_PKS2_PKT0_S8_ifPKiSA_iPKfiiiSC_SC_iiiii.numbered_sgpr, 38
	.set _ZN4vllm25paged_attention_v1_kernelIttLi64ELi32ELi128ELNS_18Fp8KVCacheDataTypeE0ELb1EEEvPT_PKS2_PKT0_S8_ifPKiSA_iPKfiiiSC_SC_iiiii.num_named_barrier, 0
	.set _ZN4vllm25paged_attention_v1_kernelIttLi64ELi32ELi128ELNS_18Fp8KVCacheDataTypeE0ELb1EEEvPT_PKS2_PKT0_S8_ifPKiSA_iPKfiiiSC_SC_iiiii.private_seg_size, 0
	.set _ZN4vllm25paged_attention_v1_kernelIttLi64ELi32ELi128ELNS_18Fp8KVCacheDataTypeE0ELb1EEEvPT_PKS2_PKT0_S8_ifPKiSA_iPKfiiiSC_SC_iiiii.uses_vcc, 1
	.set _ZN4vllm25paged_attention_v1_kernelIttLi64ELi32ELi128ELNS_18Fp8KVCacheDataTypeE0ELb1EEEvPT_PKS2_PKT0_S8_ifPKiSA_iPKfiiiSC_SC_iiiii.uses_flat_scratch, 0
	.set _ZN4vllm25paged_attention_v1_kernelIttLi64ELi32ELi128ELNS_18Fp8KVCacheDataTypeE0ELb1EEEvPT_PKS2_PKT0_S8_ifPKiSA_iPKfiiiSC_SC_iiiii.has_dyn_sized_stack, 0
	.set _ZN4vllm25paged_attention_v1_kernelIttLi64ELi32ELi128ELNS_18Fp8KVCacheDataTypeE0ELb1EEEvPT_PKS2_PKT0_S8_ifPKiSA_iPKfiiiSC_SC_iiiii.has_recursion, 0
	.set _ZN4vllm25paged_attention_v1_kernelIttLi64ELi32ELi128ELNS_18Fp8KVCacheDataTypeE0ELb1EEEvPT_PKS2_PKT0_S8_ifPKiSA_iPKfiiiSC_SC_iiiii.has_indirect_call, 0
	.section	.AMDGPU.csdata,"",@progbits
; Kernel info:
; codeLenInByte = 11452
; TotalNumSgprs: 40
; NumVgprs: 123
; ScratchSize: 0
; MemoryBound: 0
; FloatMode: 240
; IeeeMode: 1
; LDSByteSize: 160 bytes/workgroup (compile time only)
; SGPRBlocks: 0
; VGPRBlocks: 15
; NumSGPRsForWavesPerEU: 40
; NumVGPRsForWavesPerEU: 123
; Occupancy: 8
; WaveLimiterHint : 1
; COMPUTE_PGM_RSRC2:SCRATCH_EN: 0
; COMPUTE_PGM_RSRC2:USER_SGPR: 6
; COMPUTE_PGM_RSRC2:TRAP_HANDLER: 0
; COMPUTE_PGM_RSRC2:TGID_X_EN: 1
; COMPUTE_PGM_RSRC2:TGID_Y_EN: 1
; COMPUTE_PGM_RSRC2:TGID_Z_EN: 1
; COMPUTE_PGM_RSRC2:TIDIG_COMP_CNT: 0
	.section	.text._ZN4vllm25paged_attention_v1_kernelIttLi80ELi32ELi128ELNS_18Fp8KVCacheDataTypeE0ELb1EEEvPT_PKS2_PKT0_S8_ifPKiSA_iPKfiiiSC_SC_iiiii,"axG",@progbits,_ZN4vllm25paged_attention_v1_kernelIttLi80ELi32ELi128ELNS_18Fp8KVCacheDataTypeE0ELb1EEEvPT_PKS2_PKT0_S8_ifPKiSA_iPKfiiiSC_SC_iiiii,comdat
	.protected	_ZN4vllm25paged_attention_v1_kernelIttLi80ELi32ELi128ELNS_18Fp8KVCacheDataTypeE0ELb1EEEvPT_PKS2_PKT0_S8_ifPKiSA_iPKfiiiSC_SC_iiiii ; -- Begin function _ZN4vllm25paged_attention_v1_kernelIttLi80ELi32ELi128ELNS_18Fp8KVCacheDataTypeE0ELb1EEEvPT_PKS2_PKT0_S8_ifPKiSA_iPKfiiiSC_SC_iiiii
	.globl	_ZN4vllm25paged_attention_v1_kernelIttLi80ELi32ELi128ELNS_18Fp8KVCacheDataTypeE0ELb1EEEvPT_PKS2_PKT0_S8_ifPKiSA_iPKfiiiSC_SC_iiiii
	.p2align	8
	.type	_ZN4vllm25paged_attention_v1_kernelIttLi80ELi32ELi128ELNS_18Fp8KVCacheDataTypeE0ELb1EEEvPT_PKS2_PKT0_S8_ifPKiSA_iPKfiiiSC_SC_iiiii,@function
_ZN4vllm25paged_attention_v1_kernelIttLi80ELi32ELi128ELNS_18Fp8KVCacheDataTypeE0ELb1EEEvPT_PKS2_PKT0_S8_ifPKiSA_iPKfiiiSC_SC_iiiii: ; @_ZN4vllm25paged_attention_v1_kernelIttLi80ELi32ELi128ELNS_18Fp8KVCacheDataTypeE0ELb1EEEvPT_PKS2_PKT0_S8_ifPKiSA_iPKfiiiSC_SC_iiiii
; %bb.0:
	s_clause 0x2
	s_load_dword s9, s[4:5], 0x80
	s_load_dwordx2 s[0:1], s[4:5], 0x30
	s_load_dwordx2 s[2:3], s[4:5], 0x20
	s_mov_b32 s10, s7
	s_ashr_i32 s11, s7, 31
	s_mov_b32 s31, 0
	s_lshl_b64 s[12:13], s[10:11], 2
	s_waitcnt lgkmcnt(0)
	s_add_u32 s0, s0, s12
	s_addc_u32 s1, s1, s13
	s_abs_i32 s7, s2
	s_abs_i32 s13, s9
	v_cvt_f32_u32_e32 v1, s7
	s_sub_i32 s12, 0, s7
	v_rcp_iflag_f32_e32 v1, v1
	v_mul_f32_e32 v1, 0x4f7ffffe, v1
	v_cvt_u32_f32_e32 v1, v1
	v_readfirstlane_b32 s11, v1
	s_mul_i32 s12, s12, s11
	s_mul_hi_u32 s12, s11, s12
	s_add_i32 s11, s11, s12
	s_xor_b32 s12, s9, s2
	s_mul_hi_u32 s11, s13, s11
	s_ashr_i32 s12, s12, 31
	s_mul_i32 s14, s11, s7
	s_sub_i32 s13, s13, s14
	s_add_i32 s14, s11, 1
	s_sub_i32 s15, s13, s7
	s_cmp_ge_u32 s13, s7
	s_cselect_b32 s11, s14, s11
	s_cselect_b32 s13, s15, s13
	s_add_i32 s14, s11, 1
	s_cmp_ge_u32 s13, s7
	s_cselect_b32 s7, s14, s11
	s_abs_i32 s22, s6
	s_xor_b32 s7, s7, s12
	s_sub_i32 s16, s7, s12
	s_load_dwordx2 s[12:13], s[4:5], 0x40
	s_abs_i32 s11, s16
	v_cvt_f32_u32_e32 v1, s11
	s_sub_i32 s14, 0, s11
	v_rcp_iflag_f32_e32 v1, v1
	v_mul_f32_e32 v1, 0x4f7ffffe, v1
	v_cvt_u32_f32_e32 v1, v1
	v_readfirstlane_b32 s7, v1
	s_mul_i32 s14, s14, s7
	s_mul_hi_u32 s14, s7, s14
	s_add_i32 s7, s7, s14
	s_waitcnt lgkmcnt(0)
	s_cmp_eq_u64 s[12:13], 0
	s_mul_hi_u32 s23, s22, s7
	s_cbranch_scc1 .LBB92_2
; %bb.1:
	s_ashr_i32 s7, s6, 31
	s_lshl_b64 s[14:15], s[6:7], 2
	s_add_u32 s12, s12, s14
	s_addc_u32 s13, s13, s15
	s_load_dword s31, s[12:13], 0x0
.LBB92_2:
	s_load_dword s28, s[0:1], 0x0
	s_load_dwordx4 s[12:15], s[4:5], 0x48
	v_lshlrev_b32_e32 v42, 4, v0
	s_ashr_i32 s0, s6, 31
	s_ashr_i32 s1, s16, 31
	s_mul_i32 s20, s6, 0x50
	s_mov_b32 s7, exec_lo
	v_cmpx_gt_u32_e32 10, v0
	s_cbranch_execz .LBB92_4
; %bb.3:
	s_load_dwordx2 s[16:17], s[4:5], 0x8
	s_waitcnt lgkmcnt(0)
	s_mul_i32 s18, s12, s10
	s_ashr_i32 s19, s18, 31
	s_lshl_b64 s[18:19], s[18:19], 1
	s_add_u32 s12, s16, s18
	s_addc_u32 s15, s17, s19
	s_ashr_i32 s21, s20, 31
	s_lshl_b64 s[16:17], s[20:21], 1
	s_add_u32 s16, s12, s16
	s_addc_u32 s17, s15, s17
	global_load_dwordx4 v[1:4], v42, s[16:17]
	s_waitcnt vmcnt(0)
	ds_write_b128 v42, v[1:4]
.LBB92_4:
	s_or_b32 exec_lo, exec_lo, s7
	s_load_dwordx4 s[16:19], s[4:5], 0x68
	s_mul_i32 s7, s23, s11
	s_xor_b32 s1, s0, s1
	s_sub_i32 s0, s22, s7
	s_add_i32 s7, s23, 1
	s_waitcnt lgkmcnt(0)
	s_sub_i32 s12, s0, s11
	s_cmp_ge_u32 s0, s11
	s_mov_b32 s24, -1
	s_cselect_b32 s7, s7, s23
	s_cselect_b32 s0, s12, s0
	s_add_i32 s12, s7, 1
	s_cmp_ge_u32 s0, s11
	s_load_dword s0, s[4:5], 0x78
	s_cselect_b32 s7, s12, s7
	s_add_i32 s11, s28, -1
	s_xor_b32 s7, s7, s1
	s_waitcnt lgkmcnt(0)
	s_sub_i32 s1, s7, s1
	s_barrier
	buffer_gl0_inv
	s_abs_i32 s12, s19
                                        ; implicit-def: $sgpr29
	v_cvt_f32_u32_e32 v1, s12
	s_sub_i32 s7, 0, s12
	v_rcp_iflag_f32_e32 v1, v1
	v_mul_f32_e32 v1, 0x4f7ffffe, v1
	v_cvt_u32_f32_e32 v1, v1
	v_readfirstlane_b32 s21, v1
	s_mul_i32 s7, s7, s21
	s_mul_hi_u32 s15, s21, s7
	s_abs_i32 s7, s11
	s_add_i32 s21, s21, s15
	s_cmp_lt_i32 s0, 0
	s_mul_hi_u32 s15, s7, s21
	s_cbranch_scc0 .LBB92_6
; %bb.5:
	s_mul_i32 s2, s16, s2
	s_mov_b32 s24, 0
	s_add_i32 s2, s1, s2
	s_mul_i32 s2, s2, s0
	s_sub_i32 s29, 1, s2
.LBB92_6:
	s_load_dwordx2 s[22:23], s[4:5], 0x28
	s_ashr_i32 s2, s11, 31
	s_andn2_b32 vcc_lo, exec_lo, s24
	s_ashr_i32 s19, s19, 31
	s_cbranch_vccnz .LBB92_8
; %bb.7:
	s_mul_i32 s11, s9, s16
	s_add_i32 s6, s11, s6
	s_mul_i32 s0, s6, s0
	s_add_i32 s29, s0, 1
.LBB92_8:
	s_load_dword s0, s[4:5], 0x38
	s_mul_i32 s6, s15, s12
	s_xor_b32 s2, s2, s19
	s_sub_i32 s30, s7, s6
	s_add_i32 s16, s15, 1
	s_clause 0x2
	s_load_dwordx2 s[6:7], s[4:5], 0x0
	s_load_dwordx2 s[26:27], s[4:5], 0x18
	s_load_dword s11, s[4:5], 0x88
	v_lshrrev_b32_e32 v39, 5, v0
	v_and_b32_e32 v40, 31, v0
	v_mov_b32_e32 v45, 0xff7fffff
	v_lshrrev_b32_e32 v43, 3, v0
	s_mul_i32 s14, s1, s14
	v_lshlrev_b32_e32 v41, 5, v39
	v_lshlrev_b32_e32 v44, 2, v40
	s_waitcnt lgkmcnt(0)
	s_mul_i32 s24, s0, s10
	s_sub_i32 s0, s30, s12
	s_ashr_i32 s25, s24, 31
	s_cmp_ge_u32 s30, s12
	s_cselect_b32 s15, s16, s15
	s_cselect_b32 s0, s0, s30
	s_add_i32 s16, s15, 1
	s_cmp_ge_u32 s0, s12
	s_cselect_b32 s0, s16, s15
	s_add_i32 s15, s28, 31
	s_ashr_i32 s16, s15, 31
	s_lshr_b32 s16, s16, 27
	s_add_i32 s15, s15, s16
	s_ashr_i32 s16, s15, 5
	s_xor_b32 s15, s0, s2
	v_cmp_gt_i32_e64 s0, s16, v39
	s_sub_i32 s30, s15, s2
	s_and_saveexec_b32 s33, s0
	s_cbranch_execz .LBB92_16
; %bb.9:
	s_load_dwordx2 s[34:35], s[4:5], 0x10
	s_ashr_i32 s15, s14, 31
	s_sub_i32 s4, s30, s17
	s_lshl_b64 s[36:37], s[14:15], 1
	v_subrev_nc_u32_e32 v4, s28, v40
	v_lshlrev_b32_e32 v2, 4, v40
	v_and_b32_e32 v3, 0x7c, v43
	v_lshl_or_b32 v6, v39, 7, v44
	v_mov_b32_e32 v46, 0
	v_add_nc_u32_e32 v49, 1, v4
	v_cmp_neq_f32_e64 vcc_lo, s31, 0
	v_lshlrev_b32_e32 v47, 5, v39
	v_mov_b32_e32 v48, 0xff7fffff
	v_mov_b32_e32 v45, 0xff7fffff
	v_add_nc_u32_e32 v50, 0xc0, v6
	v_mov_b32_e32 v54, v39
	s_waitcnt lgkmcnt(0)
	s_add_u32 s1, s34, s36
	s_addc_u32 s2, s35, s37
	s_abs_i32 s5, s18
	s_lshl_b64 s[34:35], s[24:25], 2
	v_cvt_f32_u32_e32 v1, s5
	s_sub_i32 s15, 0, s5
	v_add_co_u32 v51, s1, s1, v2
	v_add_co_ci_u32_e64 v52, null, s2, 0, s1
	v_rcp_iflag_f32_e32 v1, v1
	s_add_u32 s1, s22, s34
	s_addc_u32 s2, s23, s35
	v_add_co_u32 v37, s1, s1, v3
	v_add_co_ci_u32_e64 v38, null, s2, 0, s1
	s_mov_b32 s34, s13
	v_mul_f32_e32 v1, 0x4f7ffffe, v1
	v_cvt_u32_f32_e32 v1, v1
	v_mul_lo_u32 v5, s15, v1
	s_mov_b32 s15, 0
	v_mul_hi_u32 v4, v1, v5
	v_add_nc_u32_e32 v53, v1, v4
	s_branch .LBB92_11
.LBB92_10:                              ;   in Loop: Header=BB92_11 Depth=1
	s_or_b32 exec_lo, exec_lo, s35
	v_add_nc_u32_e32 v54, 4, v54
	v_add_co_u32 v37, s2, v37, 16
	v_add_co_ci_u32_e64 v38, null, 0, v38, s2
	v_cmp_le_i32_e64 s1, s16, v54
	v_add_nc_u32_e32 v47, 0x80, v47
	v_add_nc_u32_e32 v50, 0x200, v50
	s_or_b32 s15, s1, s15
	s_andn2_b32 exec_lo, exec_lo, s15
	s_cbranch_execz .LBB92_15
.LBB92_11:                              ; =>This Inner Loop Header: Depth=1
	v_mul_hi_u32 v1, v47, s21
	v_mul_lo_u32 v2, v1, s12
	v_add_nc_u32_e32 v3, 1, v1
	v_sub_nc_u32_e32 v2, v47, v2
	v_subrev_nc_u32_e32 v4, s12, v2
	v_cmp_le_u32_e64 s1, s12, v2
	v_cndmask_b32_e64 v1, v1, v3, s1
	v_cndmask_b32_e64 v2, v2, v4, s1
	v_add_nc_u32_e32 v3, 1, v1
	v_cmp_le_u32_e64 s1, s12, v2
	v_cndmask_b32_e64 v1, v1, v3, s1
	v_xor_b32_e32 v1, s19, v1
	v_subrev_nc_u32_e32 v1, s19, v1
	v_add_nc_u32_e32 v2, s29, v1
	v_cmp_ge_i32_e64 s2, s4, v1
	v_sub_nc_u32_e32 v3, 0, v2
	v_max_i32_e32 v3, v2, v3
	v_ashrrev_i32_e32 v2, 31, v2
	v_mul_hi_u32 v4, v3, v53
	v_mul_lo_u32 v4, v4, s5
	v_sub_nc_u32_e32 v3, v3, v4
	v_subrev_nc_u32_e32 v4, s5, v3
	v_cmp_le_u32_e64 s1, s5, v3
	v_cndmask_b32_e64 v3, v3, v4, s1
	v_subrev_nc_u32_e32 v4, s5, v3
	v_cmp_le_u32_e64 s1, s5, v3
	v_cndmask_b32_e64 v3, v3, v4, s1
	v_xor_b32_e32 v3, v3, v2
	v_sub_nc_u32_e32 v2, v3, v2
	v_cmp_ne_u32_e64 s1, 0, v2
	s_and_b32 s1, s1, s2
	s_and_saveexec_b32 s2, s1
	s_xor_b32 s1, exec_lo, s2
; %bb.12:                               ;   in Loop: Header=BB92_11 Depth=1
	ds_write_b32 v50, v48
; %bb.13:                               ;   in Loop: Header=BB92_11 Depth=1
	s_andn2_saveexec_b32 s35, s1
	s_cbranch_execz .LBB92_10
; %bb.14:                               ;   in Loop: Header=BB92_11 Depth=1
	global_load_dword v1, v[37:38], off
	v_add_nc_u32_e32 v4, v49, v47
	v_add_nc_u32_e32 v3, v40, v47
	v_cvt_f32_i32_e32 v4, v4
	v_mul_f32_e32 v55, s31, v4
	v_cndmask_b32_e32 v55, 0, v55, vcc_lo
	s_waitcnt vmcnt(0)
	v_mad_i64_i32 v[1:2], null, v1, s34, 0
	v_lshlrev_b64 v[1:2], 1, v[1:2]
	v_add_co_u32 v1, s1, v51, v1
	v_add_co_ci_u32_e64 v2, null, v52, v2, s1
	v_cmp_gt_i32_e64 s1, s28, v3
	v_add_co_u32 v3, s2, 0x800, v1
	s_clause 0x3
	global_load_dwordx4 v[56:59], v[1:2], off
	global_load_dwordx4 v[33:36], v[1:2], off offset:512
	global_load_dwordx4 v[29:32], v[1:2], off offset:1024
	;; [unrolled: 1-line block ×3, first 2 shown]
	v_add_co_ci_u32_e64 v4, null, 0, v2, s2
	v_add_co_u32 v5, s2, v1, 0x1000
	v_add_co_ci_u32_e64 v6, null, 0, v2, s2
	s_clause 0x3
	global_load_dwordx4 v[21:24], v[5:6], off offset:-2048
	global_load_dwordx4 v[17:20], v[3:4], off offset:512
	global_load_dwordx4 v[13:16], v[3:4], off offset:1024
	;; [unrolled: 1-line block ×3, first 2 shown]
	v_add_co_u32 v1, s2, 0x1000, v1
	v_add_co_ci_u32_e64 v2, null, 0, v2, s2
	s_clause 0x1
	global_load_dwordx4 v[5:8], v[5:6], off
	global_load_dwordx4 v[1:4], v[1:2], off offset:512
	ds_read_b128 v[60:63], v46
	s_waitcnt lgkmcnt(0)
	v_lshrrev_b32_e32 v64, 16, v60
	v_and_b32_e32 v60, 0xffff, v60
	;;#ASMSTART
	v_cvt_f32_f16 v60, v60;
	;;#ASMEND
	;;#ASMSTART
	v_cvt_f32_f16 v64, v64;
	;;#ASMEND
	s_waitcnt vmcnt(9)
	v_lshrrev_b32_e32 v66, 16, v56
	v_and_b32_e32 v56, 0xffff, v56
	;;#ASMSTART
	v_cvt_f32_f16 v65, v56;
	;;#ASMEND
	v_lshrrev_b32_e32 v56, 16, v61
	v_and_b32_e32 v61, 0xffff, v61
	;;#ASMSTART
	v_cvt_f32_f16 v66, v66;
	;;#ASMEND
	;;#ASMSTART
	v_cvt_f32_f16 v61, v61;
	;;#ASMEND
	;; [unrolled: 3-line block ×3, first 2 shown]
	v_lshrrev_b32_e32 v56, 16, v57
	v_and_b32_e32 v57, 0xffff, v57
	;;#ASMSTART
	v_cvt_f32_f16 v68, v57;
	;;#ASMEND
	;;#ASMSTART
	v_cvt_f32_f16 v69, v56;
	;;#ASMEND
	v_lshrrev_b32_e32 v56, 16, v62
	v_and_b32_e32 v57, 0xffff, v62
	;;#ASMSTART
	v_cvt_f32_f16 v62, v57;
	;;#ASMEND
	;;#ASMSTART
	v_cvt_f32_f16 v70, v56;
	;;#ASMEND
	;; [unrolled: 8-line block ×5, first 2 shown]
	ds_read_b128 v[56:59], v46 offset:16
	s_waitcnt vmcnt(8)
	v_lshrrev_b32_e32 v77, 16, v33
	v_and_b32_e32 v33, 0xffff, v33
	s_waitcnt lgkmcnt(0)
	v_lshrrev_b32_e32 v76, 16, v56
	v_and_b32_e32 v56, 0xffff, v56
	;;#ASMSTART
	v_cvt_f32_f16 v56, v56;
	;;#ASMEND
	;;#ASMSTART
	v_cvt_f32_f16 v76, v76;
	;;#ASMEND
	;; [unrolled: 3-line block ×3, first 2 shown]
	v_mul_f32_e32 v33, v56, v33
	;;#ASMSTART
	v_cvt_f32_f16 v77, v77;
	;;#ASMEND
	v_mul_f32_e32 v56, v76, v77
	v_fmac_f32_e32 v33, v60, v65
	v_lshrrev_b32_e32 v60, 16, v57
	v_and_b32_e32 v57, 0xffff, v57
	v_fmac_f32_e32 v56, v64, v66
	;;#ASMSTART
	v_cvt_f32_f16 v57, v57;
	;;#ASMEND
	v_lshrrev_b32_e32 v64, 16, v34
	v_and_b32_e32 v34, 0xffff, v34
	;;#ASMSTART
	v_cvt_f32_f16 v60, v60;
	;;#ASMEND
	;;#ASMSTART
	v_cvt_f32_f16 v34, v34;
	;;#ASMEND
	v_mul_f32_e32 v57, v57, v34
	;;#ASMSTART
	v_cvt_f32_f16 v64, v64;
	;;#ASMEND
	v_mul_f32_e32 v34, v60, v64
	v_lshrrev_b32_e32 v60, 16, v58
	v_and_b32_e32 v58, 0xffff, v58
	v_fmac_f32_e32 v57, v61, v68
	v_lshrrev_b32_e32 v61, 16, v35
	v_and_b32_e32 v35, 0xffff, v35
	;;#ASMSTART
	v_cvt_f32_f16 v58, v58;
	;;#ASMEND
	;;#ASMSTART
	v_cvt_f32_f16 v60, v60;
	;;#ASMEND
	;; [unrolled: 3-line block ×4, first 2 shown]
	v_mul_f32_e32 v58, v58, v35
	v_mul_f32_e32 v35, v60, v61
	v_lshrrev_b32_e32 v60, 16, v59
	v_and_b32_e32 v59, 0xffff, v59
	;;#ASMSTART
	v_cvt_f32_f16 v59, v59;
	;;#ASMEND
	v_lshrrev_b32_e32 v61, 16, v36
	v_and_b32_e32 v36, 0xffff, v36
	;;#ASMSTART
	v_cvt_f32_f16 v60, v60;
	;;#ASMEND
	;;#ASMSTART
	v_cvt_f32_f16 v36, v36;
	;;#ASMEND
	v_mul_f32_e32 v59, v59, v36
	;;#ASMSTART
	v_cvt_f32_f16 v61, v61;
	;;#ASMEND
	v_fmac_f32_e32 v58, v62, v71
	v_mul_f32_e32 v36, v60, v61
	v_fmac_f32_e32 v34, v67, v69
	v_fmac_f32_e32 v59, v63, v74
	ds_read_b128 v[60:63], v46 offset:32
	s_waitcnt vmcnt(7)
	v_lshrrev_b32_e32 v65, 16, v29
	v_and_b32_e32 v29, 0xffff, v29
	v_fmac_f32_e32 v35, v70, v72
	v_fmac_f32_e32 v36, v73, v75
	s_waitcnt lgkmcnt(0)
	v_lshrrev_b32_e32 v64, 16, v60
	v_and_b32_e32 v60, 0xffff, v60
	;;#ASMSTART
	v_cvt_f32_f16 v60, v60;
	;;#ASMEND
	;;#ASMSTART
	v_cvt_f32_f16 v64, v64;
	;;#ASMEND
	;;#ASMSTART
	v_cvt_f32_f16 v29, v29;
	;;#ASMEND
	v_fmac_f32_e32 v33, v60, v29
	v_lshrrev_b32_e32 v60, 16, v61
	v_and_b32_e32 v29, 0xffff, v61
	v_lshrrev_b32_e32 v61, 16, v30
	v_and_b32_e32 v30, 0xffff, v30
	;;#ASMSTART
	v_cvt_f32_f16 v65, v65;
	;;#ASMEND
	;;#ASMSTART
	v_cvt_f32_f16 v29, v29;
	;;#ASMEND
	;; [unrolled: 3-line block ×5, first 2 shown]
	v_fmac_f32_e32 v57, v29, v30
	v_fmac_f32_e32 v34, v60, v61
	v_lshrrev_b32_e32 v30, 16, v62
	v_and_b32_e32 v29, 0xffff, v62
	v_lshrrev_b32_e32 v60, 16, v31
	v_and_b32_e32 v31, 0xffff, v31
	;;#ASMSTART
	v_cvt_f32_f16 v29, v29;
	;;#ASMEND
	;;#ASMSTART
	v_cvt_f32_f16 v30, v30;
	;;#ASMEND
	;; [unrolled: 3-line block ×4, first 2 shown]
	v_fmac_f32_e32 v58, v29, v31
	v_fmac_f32_e32 v35, v30, v60
	v_lshrrev_b32_e32 v30, 16, v63
	v_and_b32_e32 v29, 0xffff, v63
	v_and_b32_e32 v31, 0xffff, v32
	;;#ASMSTART
	v_cvt_f32_f16 v29, v29;
	;;#ASMEND
	;;#ASMSTART
	v_cvt_f32_f16 v30, v30;
	;;#ASMEND
	v_lshrrev_b32_e32 v60, 16, v32
	;;#ASMSTART
	v_cvt_f32_f16 v31, v31;
	;;#ASMEND
	;;#ASMSTART
	v_cvt_f32_f16 v32, v60;
	;;#ASMEND
	v_fmac_f32_e32 v59, v29, v31
	v_fmac_f32_e32 v36, v30, v32
	ds_read_b128 v[29:32], v46 offset:48
	s_waitcnt vmcnt(6)
	v_lshrrev_b32_e32 v61, 16, v25
	v_and_b32_e32 v25, 0xffff, v25
	v_fmac_f32_e32 v56, v64, v65
	s_waitcnt lgkmcnt(0)
	v_lshrrev_b32_e32 v60, 16, v29
	v_and_b32_e32 v29, 0xffff, v29
	;;#ASMSTART
	v_cvt_f32_f16 v29, v29;
	;;#ASMEND
	;;#ASMSTART
	v_cvt_f32_f16 v60, v60;
	;;#ASMEND
	;;#ASMSTART
	v_cvt_f32_f16 v25, v25;
	;;#ASMEND
	v_fmac_f32_e32 v33, v29, v25
	v_lshrrev_b32_e32 v29, 16, v30
	v_and_b32_e32 v25, 0xffff, v30
	v_lshrrev_b32_e32 v30, 16, v26
	v_and_b32_e32 v26, 0xffff, v26
	;;#ASMSTART
	v_cvt_f32_f16 v61, v61;
	;;#ASMEND
	;;#ASMSTART
	v_cvt_f32_f16 v25, v25;
	;;#ASMEND
	;; [unrolled: 3-line block ×5, first 2 shown]
	v_fmac_f32_e32 v57, v25, v26
	v_fmac_f32_e32 v34, v29, v30
	v_lshrrev_b32_e32 v26, 16, v31
	v_and_b32_e32 v25, 0xffff, v31
	v_lshrrev_b32_e32 v29, 16, v27
	v_and_b32_e32 v27, 0xffff, v27
	;;#ASMSTART
	v_cvt_f32_f16 v25, v25;
	;;#ASMEND
	;;#ASMSTART
	v_cvt_f32_f16 v26, v26;
	;;#ASMEND
	;; [unrolled: 3-line block ×4, first 2 shown]
	v_fmac_f32_e32 v58, v25, v27
	v_fmac_f32_e32 v35, v26, v29
	v_lshrrev_b32_e32 v26, 16, v32
	v_and_b32_e32 v25, 0xffff, v32
	v_and_b32_e32 v27, 0xffff, v28
	;;#ASMSTART
	v_cvt_f32_f16 v25, v25;
	;;#ASMEND
	;;#ASMSTART
	v_cvt_f32_f16 v26, v26;
	;;#ASMEND
	v_lshrrev_b32_e32 v29, 16, v28
	;;#ASMSTART
	v_cvt_f32_f16 v27, v27;
	;;#ASMEND
	;;#ASMSTART
	v_cvt_f32_f16 v28, v29;
	;;#ASMEND
	v_fmac_f32_e32 v59, v25, v27
	v_fmac_f32_e32 v36, v26, v28
	ds_read_b128 v[25:28], v46 offset:64
	s_waitcnt vmcnt(5)
	v_lshrrev_b32_e32 v30, 16, v21
	v_and_b32_e32 v21, 0xffff, v21
	v_fmac_f32_e32 v56, v60, v61
	s_waitcnt lgkmcnt(0)
	v_lshrrev_b32_e32 v29, 16, v25
	v_and_b32_e32 v25, 0xffff, v25
	;;#ASMSTART
	v_cvt_f32_f16 v25, v25;
	;;#ASMEND
	;;#ASMSTART
	v_cvt_f32_f16 v29, v29;
	;;#ASMEND
	;; [unrolled: 3-line block ×3, first 2 shown]
	v_fmac_f32_e32 v33, v25, v21
	v_lshrrev_b32_e32 v25, 16, v26
	v_and_b32_e32 v21, 0xffff, v26
	v_lshrrev_b32_e32 v26, 16, v22
	v_and_b32_e32 v22, 0xffff, v22
	;;#ASMSTART
	v_cvt_f32_f16 v30, v30;
	;;#ASMEND
	;;#ASMSTART
	v_cvt_f32_f16 v21, v21;
	;;#ASMEND
	;; [unrolled: 3-line block ×5, first 2 shown]
	v_fmac_f32_e32 v57, v21, v22
	v_fmac_f32_e32 v34, v25, v26
	v_lshrrev_b32_e32 v22, 16, v27
	v_and_b32_e32 v21, 0xffff, v27
	v_lshrrev_b32_e32 v25, 16, v23
	v_and_b32_e32 v23, 0xffff, v23
	;;#ASMSTART
	v_cvt_f32_f16 v21, v21;
	;;#ASMEND
	;;#ASMSTART
	v_cvt_f32_f16 v22, v22;
	;;#ASMEND
	;; [unrolled: 3-line block ×4, first 2 shown]
	v_fmac_f32_e32 v58, v21, v23
	v_fmac_f32_e32 v35, v22, v25
	v_lshrrev_b32_e32 v22, 16, v28
	v_and_b32_e32 v21, 0xffff, v28
	v_and_b32_e32 v23, 0xffff, v24
	;;#ASMSTART
	v_cvt_f32_f16 v21, v21;
	;;#ASMEND
	;;#ASMSTART
	v_cvt_f32_f16 v22, v22;
	;;#ASMEND
	v_lshrrev_b32_e32 v25, 16, v24
	;;#ASMSTART
	v_cvt_f32_f16 v23, v23;
	;;#ASMEND
	;;#ASMSTART
	v_cvt_f32_f16 v24, v25;
	;;#ASMEND
	v_fmac_f32_e32 v59, v21, v23
	v_fmac_f32_e32 v36, v22, v24
	ds_read_b128 v[21:24], v46 offset:80
	s_waitcnt vmcnt(4)
	v_lshrrev_b32_e32 v26, 16, v17
	v_and_b32_e32 v17, 0xffff, v17
	v_fmac_f32_e32 v56, v29, v30
	s_waitcnt lgkmcnt(0)
	v_lshrrev_b32_e32 v25, 16, v21
	v_and_b32_e32 v21, 0xffff, v21
	;;#ASMSTART
	v_cvt_f32_f16 v21, v21;
	;;#ASMEND
	;;#ASMSTART
	v_cvt_f32_f16 v25, v25;
	;;#ASMEND
	;; [unrolled: 3-line block ×3, first 2 shown]
	v_fmac_f32_e32 v33, v21, v17
	v_lshrrev_b32_e32 v21, 16, v22
	v_and_b32_e32 v17, 0xffff, v22
	v_lshrrev_b32_e32 v22, 16, v18
	v_and_b32_e32 v18, 0xffff, v18
	;;#ASMSTART
	v_cvt_f32_f16 v26, v26;
	;;#ASMEND
	;;#ASMSTART
	v_cvt_f32_f16 v17, v17;
	;;#ASMEND
	;; [unrolled: 3-line block ×5, first 2 shown]
	v_fmac_f32_e32 v57, v17, v18
	v_fmac_f32_e32 v34, v21, v22
	v_lshrrev_b32_e32 v18, 16, v23
	v_and_b32_e32 v17, 0xffff, v23
	v_lshrrev_b32_e32 v21, 16, v19
	v_and_b32_e32 v19, 0xffff, v19
	;;#ASMSTART
	v_cvt_f32_f16 v17, v17;
	;;#ASMEND
	;;#ASMSTART
	v_cvt_f32_f16 v18, v18;
	;;#ASMEND
	;; [unrolled: 3-line block ×4, first 2 shown]
	v_fmac_f32_e32 v58, v17, v19
	v_fmac_f32_e32 v35, v18, v21
	v_lshrrev_b32_e32 v18, 16, v24
	v_and_b32_e32 v17, 0xffff, v24
	v_and_b32_e32 v19, 0xffff, v20
	;;#ASMSTART
	v_cvt_f32_f16 v17, v17;
	;;#ASMEND
	;;#ASMSTART
	v_cvt_f32_f16 v18, v18;
	;;#ASMEND
	v_lshrrev_b32_e32 v21, 16, v20
	;;#ASMSTART
	v_cvt_f32_f16 v19, v19;
	;;#ASMEND
	;;#ASMSTART
	v_cvt_f32_f16 v20, v21;
	;;#ASMEND
	v_fmac_f32_e32 v59, v17, v19
	v_fmac_f32_e32 v36, v18, v20
	ds_read_b128 v[17:20], v46 offset:96
	s_waitcnt vmcnt(3)
	v_lshrrev_b32_e32 v22, 16, v13
	v_and_b32_e32 v13, 0xffff, v13
	v_fmac_f32_e32 v56, v25, v26
	s_waitcnt lgkmcnt(0)
	v_lshrrev_b32_e32 v21, 16, v17
	v_and_b32_e32 v17, 0xffff, v17
	;;#ASMSTART
	v_cvt_f32_f16 v17, v17;
	;;#ASMEND
	;;#ASMSTART
	v_cvt_f32_f16 v21, v21;
	;;#ASMEND
	;; [unrolled: 3-line block ×3, first 2 shown]
	v_fmac_f32_e32 v33, v17, v13
	v_lshrrev_b32_e32 v17, 16, v18
	v_and_b32_e32 v13, 0xffff, v18
	v_lshrrev_b32_e32 v18, 16, v14
	v_and_b32_e32 v14, 0xffff, v14
	;;#ASMSTART
	v_cvt_f32_f16 v22, v22;
	;;#ASMEND
	;;#ASMSTART
	v_cvt_f32_f16 v13, v13;
	;;#ASMEND
	;; [unrolled: 3-line block ×5, first 2 shown]
	v_fmac_f32_e32 v57, v13, v14
	v_fmac_f32_e32 v34, v17, v18
	v_lshrrev_b32_e32 v14, 16, v19
	v_and_b32_e32 v13, 0xffff, v19
	v_lshrrev_b32_e32 v17, 16, v15
	v_and_b32_e32 v15, 0xffff, v15
	;;#ASMSTART
	v_cvt_f32_f16 v13, v13;
	;;#ASMEND
	;;#ASMSTART
	v_cvt_f32_f16 v14, v14;
	;;#ASMEND
	;; [unrolled: 3-line block ×4, first 2 shown]
	v_fmac_f32_e32 v58, v13, v15
	v_fmac_f32_e32 v35, v14, v17
	v_lshrrev_b32_e32 v14, 16, v20
	v_and_b32_e32 v13, 0xffff, v20
	v_and_b32_e32 v15, 0xffff, v16
	;;#ASMSTART
	v_cvt_f32_f16 v13, v13;
	;;#ASMEND
	;;#ASMSTART
	v_cvt_f32_f16 v14, v14;
	;;#ASMEND
	v_lshrrev_b32_e32 v17, 16, v16
	;;#ASMSTART
	v_cvt_f32_f16 v15, v15;
	;;#ASMEND
	;;#ASMSTART
	v_cvt_f32_f16 v16, v17;
	;;#ASMEND
	v_fmac_f32_e32 v59, v13, v15
	v_fmac_f32_e32 v36, v14, v16
	ds_read_b128 v[13:16], v46 offset:112
	s_waitcnt vmcnt(2)
	v_lshrrev_b32_e32 v18, 16, v9
	v_and_b32_e32 v9, 0xffff, v9
	v_fmac_f32_e32 v56, v21, v22
	s_waitcnt lgkmcnt(0)
	v_lshrrev_b32_e32 v17, 16, v13
	v_and_b32_e32 v13, 0xffff, v13
	;;#ASMSTART
	v_cvt_f32_f16 v13, v13;
	;;#ASMEND
	;;#ASMSTART
	v_cvt_f32_f16 v17, v17;
	;;#ASMEND
	;; [unrolled: 3-line block ×3, first 2 shown]
	v_fmac_f32_e32 v33, v13, v9
	v_lshrrev_b32_e32 v13, 16, v14
	v_and_b32_e32 v9, 0xffff, v14
	v_lshrrev_b32_e32 v14, 16, v10
	v_and_b32_e32 v10, 0xffff, v10
	;;#ASMSTART
	v_cvt_f32_f16 v18, v18;
	;;#ASMEND
	;;#ASMSTART
	v_cvt_f32_f16 v9, v9;
	;;#ASMEND
	;; [unrolled: 3-line block ×5, first 2 shown]
	v_fmac_f32_e32 v57, v9, v10
	v_fmac_f32_e32 v34, v13, v14
	v_lshrrev_b32_e32 v10, 16, v15
	v_and_b32_e32 v9, 0xffff, v15
	v_lshrrev_b32_e32 v13, 16, v11
	v_and_b32_e32 v11, 0xffff, v11
	;;#ASMSTART
	v_cvt_f32_f16 v9, v9;
	;;#ASMEND
	;;#ASMSTART
	v_cvt_f32_f16 v10, v10;
	;;#ASMEND
	;; [unrolled: 3-line block ×4, first 2 shown]
	v_fmac_f32_e32 v58, v9, v11
	v_fmac_f32_e32 v35, v10, v13
	v_lshrrev_b32_e32 v10, 16, v16
	v_and_b32_e32 v9, 0xffff, v16
	v_and_b32_e32 v11, 0xffff, v12
	;;#ASMSTART
	v_cvt_f32_f16 v9, v9;
	;;#ASMEND
	;;#ASMSTART
	v_cvt_f32_f16 v10, v10;
	;;#ASMEND
	v_lshrrev_b32_e32 v13, 16, v12
	;;#ASMSTART
	v_cvt_f32_f16 v11, v11;
	;;#ASMEND
	;;#ASMSTART
	v_cvt_f32_f16 v12, v13;
	;;#ASMEND
	v_fmac_f32_e32 v59, v9, v11
	v_fmac_f32_e32 v36, v10, v12
	ds_read_b128 v[9:12], v46 offset:128
	s_waitcnt vmcnt(1)
	v_lshrrev_b32_e32 v14, 16, v5
	v_and_b32_e32 v5, 0xffff, v5
	v_fmac_f32_e32 v56, v17, v18
	s_waitcnt lgkmcnt(0)
	v_lshrrev_b32_e32 v13, 16, v9
	v_and_b32_e32 v9, 0xffff, v9
	;;#ASMSTART
	v_cvt_f32_f16 v9, v9;
	;;#ASMEND
	;;#ASMSTART
	v_cvt_f32_f16 v13, v13;
	;;#ASMEND
	;; [unrolled: 3-line block ×3, first 2 shown]
	v_fmac_f32_e32 v33, v9, v5
	v_lshrrev_b32_e32 v9, 16, v10
	v_and_b32_e32 v5, 0xffff, v10
	v_lshrrev_b32_e32 v10, 16, v6
	v_and_b32_e32 v6, 0xffff, v6
	;;#ASMSTART
	v_cvt_f32_f16 v14, v14;
	;;#ASMEND
	;;#ASMSTART
	v_cvt_f32_f16 v5, v5;
	;;#ASMEND
	;;#ASMSTART
	v_cvt_f32_f16 v9, v9;
	;;#ASMEND
	;;#ASMSTART
	v_cvt_f32_f16 v6, v6;
	;;#ASMEND
	;;#ASMSTART
	v_cvt_f32_f16 v10, v10;
	;;#ASMEND
	v_fmac_f32_e32 v57, v5, v6
	v_fmac_f32_e32 v34, v9, v10
	v_lshrrev_b32_e32 v6, 16, v11
	v_and_b32_e32 v5, 0xffff, v11
	v_lshrrev_b32_e32 v9, 16, v7
	v_and_b32_e32 v7, 0xffff, v7
	;;#ASMSTART
	v_cvt_f32_f16 v5, v5;
	;;#ASMEND
	;;#ASMSTART
	v_cvt_f32_f16 v6, v6;
	;;#ASMEND
	;; [unrolled: 3-line block ×4, first 2 shown]
	v_fmac_f32_e32 v58, v5, v7
	v_fmac_f32_e32 v35, v6, v9
	v_lshrrev_b32_e32 v6, 16, v12
	v_and_b32_e32 v5, 0xffff, v12
	v_and_b32_e32 v7, 0xffff, v8
	;;#ASMSTART
	v_cvt_f32_f16 v5, v5;
	;;#ASMEND
	;;#ASMSTART
	v_cvt_f32_f16 v6, v6;
	;;#ASMEND
	v_lshrrev_b32_e32 v9, 16, v8
	;;#ASMSTART
	v_cvt_f32_f16 v7, v7;
	;;#ASMEND
	;;#ASMSTART
	v_cvt_f32_f16 v8, v9;
	;;#ASMEND
	v_fmac_f32_e32 v59, v5, v7
	v_fmac_f32_e32 v36, v6, v8
	ds_read_b128 v[5:8], v46 offset:144
	v_fmac_f32_e32 v56, v13, v14
	s_waitcnt vmcnt(0)
	v_lshrrev_b32_e32 v10, 16, v1
	v_and_b32_e32 v1, 0xffff, v1
	s_waitcnt lgkmcnt(0)
	v_lshrrev_b32_e32 v9, 16, v5
	v_and_b32_e32 v5, 0xffff, v5
	;;#ASMSTART
	v_cvt_f32_f16 v5, v5;
	;;#ASMEND
	;;#ASMSTART
	v_cvt_f32_f16 v9, v9;
	;;#ASMEND
	;; [unrolled: 3-line block ×3, first 2 shown]
	v_fmac_f32_e32 v33, v5, v1
	v_and_b32_e32 v1, 0xffff, v6
	;;#ASMSTART
	v_cvt_f32_f16 v10, v10;
	;;#ASMEND
	v_fmac_f32_e32 v56, v9, v10
	v_lshrrev_b32_e32 v5, 16, v6
	;;#ASMSTART
	v_cvt_f32_f16 v1, v1;
	;;#ASMEND
	v_lshrrev_b32_e32 v6, 16, v2
	v_and_b32_e32 v2, 0xffff, v2
	;;#ASMSTART
	v_cvt_f32_f16 v5, v5;
	;;#ASMEND
	;;#ASMSTART
	v_cvt_f32_f16 v2, v2;
	;;#ASMEND
	v_fmac_f32_e32 v57, v1, v2
	v_and_b32_e32 v1, 0xffff, v7
	;;#ASMSTART
	v_cvt_f32_f16 v6, v6;
	;;#ASMEND
	v_fmac_f32_e32 v34, v5, v6
	v_lshrrev_b32_e32 v2, 16, v7
	;;#ASMSTART
	v_cvt_f32_f16 v1, v1;
	;;#ASMEND
	v_lshrrev_b32_e32 v5, 16, v3
	v_and_b32_e32 v3, 0xffff, v3
	;;#ASMSTART
	v_cvt_f32_f16 v2, v2;
	;;#ASMEND
	;;#ASMSTART
	v_cvt_f32_f16 v3, v3;
	;;#ASMEND
	v_fmac_f32_e32 v58, v1, v3
	v_and_b32_e32 v1, 0xffff, v8
	;;#ASMSTART
	v_cvt_f32_f16 v5, v5;
	;;#ASMEND
	v_fmac_f32_e32 v35, v2, v5
	v_lshrrev_b32_e32 v2, 16, v8
	;;#ASMSTART
	v_cvt_f32_f16 v1, v1;
	;;#ASMEND
	v_and_b32_e32 v3, 0xffff, v4
	;;#ASMSTART
	v_cvt_f32_f16 v2, v2;
	;;#ASMEND
	;;#ASMSTART
	v_cvt_f32_f16 v3, v3;
	;;#ASMEND
	v_fmac_f32_e32 v59, v1, v3
	v_add_f32_e32 v1, v33, v56
	v_lshrrev_b32_e32 v5, 16, v4
	;;#ASMSTART
	v_cvt_f32_f16 v4, v5;
	;;#ASMEND
	v_fmac_f32_e32 v36, v2, v4
	v_add_f32_e32 v1, v1, v57
	v_add_f32_e32 v1, v34, v1
	;; [unrolled: 1-line block ×6, first 2 shown]
	v_fmac_f32_e32 v55, s3, v1
	v_cndmask_b32_e64 v1, 0, v55, s1
	ds_write_b32 v50, v1
	v_max_f32_e32 v1, v45, v45
	v_max_f32_e32 v1, v1, v55
	v_cndmask_b32_e64 v45, v45, v1, s1
	s_branch .LBB92_10
.LBB92_15:
	s_or_b32 exec_lo, exec_lo, s15
.LBB92_16:
	s_or_b32 exec_lo, exec_lo, s33
	v_mbcnt_lo_u32_b32 v2, -1, 0
	v_max_f32_e32 v5, v45, v45
	v_xor_b32_e32 v1, 16, v2
	v_xor_b32_e32 v4, 8, v2
	v_cmp_gt_i32_e32 vcc_lo, 32, v1
	v_cndmask_b32_e32 v1, v2, v1, vcc_lo
	v_cmp_gt_i32_e32 vcc_lo, 32, v4
	v_lshlrev_b32_e32 v1, 2, v1
	v_cndmask_b32_e32 v4, v2, v4, vcc_lo
	ds_bpermute_b32 v3, v1, v45
	s_waitcnt lgkmcnt(0)
	v_max_f32_e32 v6, v3, v3
	v_lshlrev_b32_e32 v3, 2, v4
	v_max_f32_e32 v5, v5, v6
	v_xor_b32_e32 v6, 4, v2
	ds_bpermute_b32 v4, v3, v5
	v_cmp_gt_i32_e32 vcc_lo, 32, v6
	v_cndmask_b32_e32 v6, v2, v6, vcc_lo
	s_waitcnt lgkmcnt(0)
	v_max_f32_e32 v7, v4, v4
	v_lshlrev_b32_e32 v4, 2, v6
	v_max_f32_e32 v5, v5, v7
	v_xor_b32_e32 v7, 2, v2
	ds_bpermute_b32 v6, v4, v5
	v_cmp_gt_i32_e32 vcc_lo, 32, v7
	v_cndmask_b32_e32 v7, v2, v7, vcc_lo
	v_lshlrev_b32_e32 v12, 2, v7
	v_xor_b32_e32 v7, 1, v2
	v_cmp_gt_i32_e32 vcc_lo, 32, v7
	s_waitcnt lgkmcnt(0)
	v_max_f32_e32 v6, v6, v6
	v_cndmask_b32_e32 v7, v2, v7, vcc_lo
	v_cmp_eq_u32_e32 vcc_lo, 0, v40
	v_max_f32_e32 v5, v5, v6
	v_lshlrev_b32_e32 v11, 2, v7
	ds_bpermute_b32 v6, v12, v5
	s_waitcnt lgkmcnt(0)
	v_max_f32_e32 v6, v6, v6
	v_max_f32_e32 v2, v5, v6
	v_lshlrev_b32_e32 v5, 2, v39
	ds_bpermute_b32 v6, v11, v2
	s_and_saveexec_b32 s1, vcc_lo
	s_cbranch_execz .LBB92_18
; %bb.17:
	s_waitcnt lgkmcnt(0)
	v_max_f32_e32 v6, v6, v6
	v_max_f32_e32 v2, v2, v2
	;; [unrolled: 1-line block ×3, first 2 shown]
	ds_write_b32 v5, v2 offset:160
.LBB92_18:
	s_or_b32 exec_lo, exec_lo, s1
	v_cmp_gt_u32_e64 s1, 4, v40
	v_mov_b32_e32 v2, 0xff7fffff
	s_waitcnt lgkmcnt(0)
	s_barrier
	buffer_gl0_inv
	s_and_saveexec_b32 s2, s1
; %bb.19:
	ds_read_b32 v2, v44 offset:160
; %bb.20:
	s_or_b32 exec_lo, exec_lo, s2
	s_waitcnt lgkmcnt(0)
	ds_bpermute_b32 v6, v12, v2
	v_max_f32_e32 v2, v2, v2
	s_lshl_b32 s2, s16, 5
	s_min_i32 s4, s2, s28
	v_cmp_gt_i32_e64 s2, s4, v0
	s_waitcnt lgkmcnt(0)
	v_max_f32_e32 v6, v6, v6
	v_max_f32_e32 v2, v2, v6
	ds_bpermute_b32 v6, v11, v2
	s_waitcnt lgkmcnt(0)
	v_max_f32_e32 v6, v6, v6
	v_max_f32_e32 v2, v2, v6
	v_mov_b32_e32 v6, 0
	ds_bpermute_b32 v7, v6, v2
	v_lshl_add_u32 v2, v0, 2, 0xc0
	s_and_saveexec_b32 s5, s2
	s_cbranch_execz .LBB92_24
; %bb.21:
	v_lshl_add_u32 v8, v0, 2, 0xc0
	v_mov_b32_e32 v6, 0
	v_mov_b32_e32 v9, v0
	s_mov_b32 s15, 0
	.p2align	6
.LBB92_22:                              ; =>This Inner Loop Header: Depth=1
	ds_read_b32 v10, v8
	v_add_nc_u32_e32 v9, 0x80, v9
	v_cmp_le_i32_e64 s3, s4, v9
	s_or_b32 s15, s3, s15
	s_waitcnt lgkmcnt(0)
	v_sub_f32_e32 v10, v10, v7
	v_mul_f32_e32 v10, 0x3fb8aa3b, v10
	v_exp_f32_e32 v10, v10
	ds_write_b32 v8, v10
	v_add_f32_e32 v6, v6, v10
	v_add_nc_u32_e32 v8, 0x200, v8
	s_andn2_b32 exec_lo, exec_lo, s15
	s_cbranch_execnz .LBB92_22
; %bb.23:
	s_or_b32 exec_lo, exec_lo, s15
.LBB92_24:
	s_or_b32 exec_lo, exec_lo, s5
	ds_bpermute_b32 v1, v1, v6
	s_waitcnt lgkmcnt(0)
	v_add_f32_e32 v1, v6, v1
	ds_bpermute_b32 v3, v3, v1
	s_waitcnt lgkmcnt(0)
	v_add_f32_e32 v1, v1, v3
	;; [unrolled: 3-line block ×5, first 2 shown]
	s_and_saveexec_b32 s3, vcc_lo
; %bb.25:
	ds_write_b32 v5, v1 offset:176
; %bb.26:
	s_or_b32 exec_lo, exec_lo, s3
	s_waitcnt lgkmcnt(0)
	s_barrier
	buffer_gl0_inv
	s_and_saveexec_b32 s3, s1
; %bb.27:
	ds_read_b32 v1, v44 offset:176
; %bb.28:
	s_or_b32 exec_lo, exec_lo, s3
	s_waitcnt lgkmcnt(0)
	ds_bpermute_b32 v3, v12, v1
	s_waitcnt lgkmcnt(0)
	v_add_f32_e32 v1, v1, v3
	ds_bpermute_b32 v3, v11, v1
	s_waitcnt lgkmcnt(0)
	v_add_f32_e32 v1, v1, v3
	v_mov_b32_e32 v3, 0
	ds_bpermute_b32 v1, v3, v1
	s_and_saveexec_b32 s1, s2
	s_cbranch_execz .LBB92_31
; %bb.29:
	s_waitcnt lgkmcnt(0)
	v_add_f32_e32 v1, 0x358637bd, v1
	s_mov_b32 s2, 0
	v_div_scale_f32 v3, null, v1, v1, 1.0
	v_div_scale_f32 v6, vcc_lo, 1.0, v1, 1.0
	v_rcp_f32_e32 v4, v3
	v_fma_f32 v5, -v3, v4, 1.0
	v_fmac_f32_e32 v4, v5, v4
	v_mul_f32_e32 v5, v6, v4
	v_fma_f32 v7, -v3, v5, v6
	v_fmac_f32_e32 v5, v7, v4
	v_fma_f32 v3, -v3, v5, v6
	v_div_fmas_f32 v3, v3, v4, v5
	v_div_fixup_f32 v1, v3, v1, 1.0
	v_mov_b32_e32 v3, v0
.LBB92_30:                              ; =>This Inner Loop Header: Depth=1
	ds_read_b32 v4, v2
	v_add_nc_u32_e32 v3, 0x80, v3
	v_cmp_le_i32_e32 vcc_lo, s4, v3
	s_or_b32 s2, vcc_lo, s2
	s_waitcnt lgkmcnt(0)
	v_mul_f32_e32 v4, v1, v4
	ds_write_b32 v2, v4
	v_add_nc_u32_e32 v2, 0x200, v2
	s_andn2_b32 exec_lo, exec_lo, s2
	s_cbranch_execnz .LBB92_30
.LBB92_31:
	s_or_b32 exec_lo, exec_lo, s1
	v_mov_b32_e32 v22, 0
	v_and_b32_e32 v13, 3, v0
	v_mov_b32_e32 v23, 0
	v_mov_b32_e32 v21, 0
	;; [unrolled: 1-line block ×9, first 2 shown]
	s_waitcnt lgkmcnt(0)
	s_barrier
	buffer_gl0_inv
	s_and_saveexec_b32 s2, s0
	s_cbranch_execz .LBB92_57
; %bb.32:
	s_ashr_i32 s15, s14, 31
	s_sub_i32 s3, s30, s17
	s_lshl_b64 s[0:1], s[14:15], 1
	v_lshlrev_b32_e32 v2, 3, v0
	s_add_u32 s14, s26, s0
	s_addc_u32 s15, s27, s1
	s_abs_i32 s4, s18
	v_lshlrev_b32_e32 v5, 5, v13
	v_cvt_f32_u32_e32 v1, s4
	s_sub_i32 s0, 0, s4
	v_and_b32_e32 v25, 24, v2
	v_and_b32_e32 v3, 0x1f0, v42
	;; [unrolled: 1-line block ×3, first 2 shown]
	v_rcp_iflag_f32_e32 v1, v1
	v_lshl_or_b32 v5, v39, 7, v5
	s_add_i32 s5, s16, -1
	v_add_co_u32 v26, s14, s14, v3
	v_mov_b32_e32 v24, 0
	v_add_nc_u32_e32 v28, 0xc0, v5
	v_mov_b32_e32 v14, 0
	v_mov_b32_e32 v15, 0
	;; [unrolled: 1-line block ×3, first 2 shown]
	v_mul_f32_e32 v1, 0x4f7ffffe, v1
	v_mov_b32_e32 v17, 0
	v_mov_b32_e32 v18, 0
	;; [unrolled: 1-line block ×4, first 2 shown]
	v_cvt_u32_f32_e32 v1, v1
	v_mov_b32_e32 v21, 0
	v_mov_b32_e32 v23, 0
	v_mov_b32_e32 v22, 0
	v_add_co_ci_u32_e64 v27, null, s15, 0, s14
	v_mul_lo_u32 v2, s0, v1
	s_lshl_b64 s[0:1], s[24:25], 2
	v_mov_b32_e32 v30, v39
	s_add_u32 s0, s22, s0
	s_addc_u32 s1, s23, s1
	v_add_co_u32 v5, s0, s0, v4
	v_add_co_ci_u32_e64 v6, null, s1, 0, s0
	v_mul_hi_u32 v2, v1, v2
	s_mov_b32 s14, s13
	s_mov_b32 s13, 0
	v_add_nc_u32_e32 v29, v1, v2
	s_branch .LBB92_35
.LBB92_33:                              ;   in Loop: Header=BB92_35 Depth=1
	s_or_b32 exec_lo, exec_lo, s1
	v_add_f32_e32 v9, v9, v10
	v_add_f32_e32 v10, v58, v59
	v_lshlrev_b32_e32 v8, 16, v8
	v_lshlrev_b32_e32 v7, 16, v7
	v_add_f32_e32 v31, v61, v62
	v_add_f32_e32 v16, v16, v9
	;; [unrolled: 1-line block ×3, first 2 shown]
	v_lshlrev_b32_e32 v10, 16, v60
	v_and_or_b32 v2, 0xffff, v2, v8
	v_and_or_b32 v3, 0xffff, v3, v7
	v_add_f32_e32 v15, v15, v31
	v_add_f32_e32 v9, v56, v57
	v_and_or_b32 v1, 0xffff, v1, v10
	;;#ASMSTART
	v_pk_mul_f16 v1, v43, v1;

	;;#ASMEND
	;;#ASMSTART
	v_pk_mul_f16 v2, v42, v2;

	;;#ASMEND
	;; [unrolled: 4-line block ×4, first 2 shown]
	;;#ASMSTART
	v_pk_add_f16 v1, v1, v2;

	;;#ASMEND
	;;#ASMSTART
	v_pk_add_f16 v1, v1, v3;

	;;#ASMEND
	;; [unrolled: 4-line block ×3, first 2 shown]
	v_and_b32_e32 v4, 0xffff, v1
	v_lshrrev_b32_e32 v8, 16, v1
	;;#ASMSTART
	v_cvt_f32_f16 v4, v4;
	;;#ASMEND
	v_add_f32_e32 v31, v54, v55
	v_add_f32_e32 v7, v52, v53
	;; [unrolled: 1-line block ×5, first 2 shown]
	;;#ASMSTART
	v_cvt_f32_f16 v8, v8;
	;;#ASMEND
	v_add_f32_e32 v4, v4, v8
	v_add_f32_e32 v18, v18, v9
	;; [unrolled: 1-line block ×8, first 2 shown]
.LBB92_34:                              ;   in Loop: Header=BB92_35 Depth=1
	s_or_b32 exec_lo, exec_lo, s15
	v_add_nc_u32_e32 v30, 4, v30
	v_add_co_u32 v5, s0, v5, 16
	v_add_co_ci_u32_e64 v6, null, 0, v6, s0
	v_cmp_le_i32_e32 vcc_lo, s16, v30
	v_add_nc_u32_e32 v41, 0x80, v41
	v_add_nc_u32_e32 v28, 0x200, v28
	s_or_b32 s13, vcc_lo, s13
	s_andn2_b32 exec_lo, exec_lo, s13
	s_cbranch_execz .LBB92_56
.LBB92_35:                              ; =>This Inner Loop Header: Depth=1
	v_mul_hi_u32 v1, v41, s21
	v_mul_lo_u32 v2, v1, s12
	v_add_nc_u32_e32 v3, 1, v1
	v_sub_nc_u32_e32 v2, v41, v2
	v_subrev_nc_u32_e32 v4, s12, v2
	v_cmp_le_u32_e32 vcc_lo, s12, v2
	v_cndmask_b32_e32 v1, v1, v3, vcc_lo
	v_cndmask_b32_e32 v2, v2, v4, vcc_lo
	v_add_nc_u32_e32 v3, 1, v1
	v_cmp_le_u32_e32 vcc_lo, s12, v2
	v_cndmask_b32_e32 v1, v1, v3, vcc_lo
	v_xor_b32_e32 v1, s19, v1
	v_subrev_nc_u32_e32 v1, s19, v1
	v_add_nc_u32_e32 v2, s29, v1
	v_cmp_lt_i32_e64 s0, s3, v1
	v_sub_nc_u32_e32 v3, 0, v2
	v_max_i32_e32 v3, v2, v3
	v_ashrrev_i32_e32 v2, 31, v2
	v_mul_hi_u32 v4, v3, v29
	v_mul_lo_u32 v4, v4, s4
	v_sub_nc_u32_e32 v3, v3, v4
	v_subrev_nc_u32_e32 v4, s4, v3
	v_cmp_le_u32_e32 vcc_lo, s4, v3
	v_cndmask_b32_e32 v3, v3, v4, vcc_lo
	v_subrev_nc_u32_e32 v4, s4, v3
	v_cmp_le_u32_e32 vcc_lo, s4, v3
	v_cndmask_b32_e32 v3, v3, v4, vcc_lo
	v_xor_b32_e32 v3, v3, v2
	v_sub_nc_u32_e32 v2, v3, v2
	v_cmp_eq_u32_e32 vcc_lo, 0, v2
	s_or_b32 s0, vcc_lo, s0
	s_and_saveexec_b32 s15, s0
	s_cbranch_execz .LBB92_34
; %bb.36:                               ;   in Loop: Header=BB92_35 Depth=1
	global_load_dword v7, v[5:6], off
	ds_read2_b64 v[1:4], v28 offset1:1
	ds_read2_b64 v[31:34], v28 offset0:2 offset1:3
	v_add_nc_u32_e32 v36, v25, v41
	v_cmp_eq_u32_e64 s0, s5, v30
	s_waitcnt lgkmcnt(1)
	;;#ASMSTART
	v_cvt_f16_f32 v43, v1;

	;;#ASMEND
	;;#ASMSTART
	v_cvt_f16_f32 v42, v2;

	;;#ASMEND
	;; [unrolled: 4-line block ×4, first 2 shown]
	s_waitcnt lgkmcnt(0)
	;;#ASMSTART
	v_cvt_f16_f32 v47, v31;

	;;#ASMEND
	;;#ASMSTART
	v_cvt_f16_f32 v10, v32;

	;;#ASMEND
	;; [unrolled: 4-line block ×4, first 2 shown]
	v_add_nc_u32_e32 v38, 1, v36
	v_add_nc_u32_e32 v35, 2, v36
	;; [unrolled: 1-line block ×7, first 2 shown]
	s_waitcnt vmcnt(0)
	v_mad_i64_i32 v[7:8], null, v7, s14, 0
	v_lshlrev_b64 v[7:8], 1, v[7:8]
	v_add_co_u32 v7, vcc_lo, v26, v7
	v_add_co_ci_u32_e64 v8, null, v27, v8, vcc_lo
	global_load_dwordx4 v[1:4], v[7:8], off
	s_waitcnt vmcnt(0)
	v_lshrrev_b32_e32 v50, 16, v1
	v_lshrrev_b32_e32 v49, 16, v2
	;; [unrolled: 1-line block ×3, first 2 shown]
	s_and_saveexec_b32 s17, s0
	s_cbranch_execz .LBB92_38
; %bb.37:                               ;   in Loop: Header=BB92_35 Depth=1
	v_cmp_gt_i32_e32 vcc_lo, s28, v36
	v_and_b32_e32 v51, 0xffff0000, v4
	v_cmp_gt_i32_e64 s1, s28, v35
	v_cndmask_b32_e32 v1, 0, v1, vcc_lo
	v_cmp_gt_i32_e32 vcc_lo, s28, v38
	v_cndmask_b32_e64 v2, 0, v2, s1
	v_cmp_gt_i32_e64 s1, s28, v34
	v_cndmask_b32_e32 v50, 0, v50, vcc_lo
	v_cmp_gt_i32_e32 vcc_lo, s28, v37
	v_cndmask_b32_e64 v49, 0, v49, s1
	v_cndmask_b32_sdwa v4, v24, v4, vcc_lo dst_sel:DWORD dst_unused:UNUSED_PAD src0_sel:DWORD src1_sel:WORD_0
	v_cmp_gt_i32_e32 vcc_lo, s28, v33
	v_cndmask_b32_e32 v51, 0, v51, vcc_lo
	v_cmp_gt_i32_e32 vcc_lo, s28, v32
	v_or_b32_e32 v4, v4, v51
	v_cndmask_b32_e32 v3, 0, v3, vcc_lo
	v_cmp_gt_i32_e32 vcc_lo, s28, v31
	v_cndmask_b32_e32 v48, 0, v48, vcc_lo
.LBB92_38:                              ;   in Loop: Header=BB92_35 Depth=1
	s_or_b32 exec_lo, exec_lo, s17
	v_and_b32_e32 v43, 0xffff, v43
	v_and_b32_e32 v46, 0xffff, v46
	v_lshlrev_b32_e32 v50, 16, v50
	v_lshlrev_b32_e32 v48, 16, v48
	v_and_b32_e32 v47, 0xffff, v47
	v_lshl_or_b32 v43, v42, 16, v43
	v_lshl_or_b32 v42, v44, 16, v46
	v_lshlrev_b32_e32 v44, 16, v49
	v_and_b32_e32 v45, 0xffff, v45
	v_and_or_b32 v1, 0xffff, v1, v50
	v_and_or_b32 v3, 0xffff, v3, v48
	;;#ASMSTART
	v_pk_mul_f16 v1, v43, v1;

	;;#ASMEND
	v_and_or_b32 v2, 0xffff, v2, v44
	v_lshl_or_b32 v46, v10, 16, v47
	v_lshl_or_b32 v47, v9, 16, v45
	;;#ASMSTART
	v_pk_mul_f16 v2, v42, v2;

	;;#ASMEND
	;;#ASMSTART
	v_pk_mul_f16 v3, v46, v3;

	;;#ASMEND
	;; [unrolled: 4-line block ×3, first 2 shown]
	;;#ASMSTART
	v_pk_add_f16 v1, v1, v2;

	;;#ASMEND
	;;#ASMSTART
	v_pk_add_f16 v1, v1, v3;

	;;#ASMEND
	;; [unrolled: 4-line block ×3, first 2 shown]
	v_and_b32_e32 v2, 0xffff, v1
	v_lshrrev_b32_e32 v1, 16, v1
	;;#ASMSTART
	v_cvt_f32_f16 v44, v2;
	;;#ASMEND
	;;#ASMSTART
	v_cvt_f32_f16 v45, v1;
	;;#ASMEND
	global_load_dwordx4 v[1:4], v[7:8], off offset:512
	s_waitcnt vmcnt(0)
	v_lshrrev_b32_e32 v48, 16, v1
	v_lshrrev_b32_e32 v10, 16, v2
	;; [unrolled: 1-line block ×3, first 2 shown]
	s_and_saveexec_b32 s17, s0
	s_cbranch_execz .LBB92_40
; %bb.39:                               ;   in Loop: Header=BB92_35 Depth=1
	v_cmp_gt_i32_e32 vcc_lo, s28, v36
	v_and_b32_e32 v49, 0xffff0000, v4
	v_cmp_gt_i32_e64 s1, s28, v35
	v_cndmask_b32_e32 v1, 0, v1, vcc_lo
	v_cmp_gt_i32_e32 vcc_lo, s28, v38
	v_cndmask_b32_e64 v2, 0, v2, s1
	v_cmp_gt_i32_e64 s1, s28, v34
	v_cndmask_b32_e32 v48, 0, v48, vcc_lo
	v_cmp_gt_i32_e32 vcc_lo, s28, v37
	v_cndmask_b32_e64 v10, 0, v10, s1
	v_cndmask_b32_sdwa v4, v24, v4, vcc_lo dst_sel:DWORD dst_unused:UNUSED_PAD src0_sel:DWORD src1_sel:WORD_0
	v_cmp_gt_i32_e32 vcc_lo, s28, v33
	v_cndmask_b32_e32 v49, 0, v49, vcc_lo
	v_cmp_gt_i32_e32 vcc_lo, s28, v32
	v_or_b32_e32 v4, v4, v49
	v_cndmask_b32_e32 v3, 0, v3, vcc_lo
	v_cmp_gt_i32_e32 vcc_lo, s28, v31
	v_cndmask_b32_e32 v9, 0, v9, vcc_lo
.LBB92_40:                              ;   in Loop: Header=BB92_35 Depth=1
	s_or_b32 exec_lo, exec_lo, s17
	v_lshlrev_b32_e32 v48, 16, v48
	v_lshlrev_b32_e32 v10, 16, v10
	;; [unrolled: 1-line block ×3, first 2 shown]
	v_and_or_b32 v1, 0xffff, v1, v48
	v_and_or_b32 v2, 0xffff, v2, v10
	;; [unrolled: 1-line block ×3, first 2 shown]
	;;#ASMSTART
	v_pk_mul_f16 v1, v43, v1;

	;;#ASMEND
	;;#ASMSTART
	v_pk_mul_f16 v2, v42, v2;

	;;#ASMEND
	;; [unrolled: 4-line block ×4, first 2 shown]
	;;#ASMSTART
	v_pk_add_f16 v1, v1, v2;

	;;#ASMEND
	;;#ASMSTART
	v_pk_add_f16 v1, v1, v3;

	;;#ASMEND
	;; [unrolled: 4-line block ×3, first 2 shown]
	v_and_b32_e32 v2, 0xffff, v1
	v_lshrrev_b32_e32 v1, 16, v1
	;;#ASMSTART
	v_cvt_f32_f16 v48, v2;
	;;#ASMEND
	;;#ASMSTART
	v_cvt_f32_f16 v49, v1;
	;;#ASMEND
	global_load_dwordx4 v[1:4], v[7:8], off offset:1024
	s_waitcnt vmcnt(0)
	v_lshrrev_b32_e32 v50, 16, v1
	v_lshrrev_b32_e32 v10, 16, v2
	;; [unrolled: 1-line block ×3, first 2 shown]
	s_and_saveexec_b32 s17, s0
	s_cbranch_execz .LBB92_42
; %bb.41:                               ;   in Loop: Header=BB92_35 Depth=1
	v_cmp_gt_i32_e32 vcc_lo, s28, v36
	v_and_b32_e32 v51, 0xffff0000, v4
	v_cmp_gt_i32_e64 s1, s28, v35
	v_cndmask_b32_e32 v1, 0, v1, vcc_lo
	v_cmp_gt_i32_e32 vcc_lo, s28, v38
	v_cndmask_b32_e64 v2, 0, v2, s1
	v_cmp_gt_i32_e64 s1, s28, v34
	v_cndmask_b32_e32 v50, 0, v50, vcc_lo
	v_cmp_gt_i32_e32 vcc_lo, s28, v37
	v_cndmask_b32_e64 v10, 0, v10, s1
	v_cndmask_b32_sdwa v4, v24, v4, vcc_lo dst_sel:DWORD dst_unused:UNUSED_PAD src0_sel:DWORD src1_sel:WORD_0
	v_cmp_gt_i32_e32 vcc_lo, s28, v33
	v_cndmask_b32_e32 v51, 0, v51, vcc_lo
	v_cmp_gt_i32_e32 vcc_lo, s28, v32
	v_or_b32_e32 v4, v4, v51
	v_cndmask_b32_e32 v3, 0, v3, vcc_lo
	v_cmp_gt_i32_e32 vcc_lo, s28, v31
	v_cndmask_b32_e32 v9, 0, v9, vcc_lo
.LBB92_42:                              ;   in Loop: Header=BB92_35 Depth=1
	s_or_b32 exec_lo, exec_lo, s17
	v_lshlrev_b32_e32 v50, 16, v50
	v_lshlrev_b32_e32 v10, 16, v10
	;; [unrolled: 1-line block ×3, first 2 shown]
	v_and_or_b32 v1, 0xffff, v1, v50
	v_and_or_b32 v2, 0xffff, v2, v10
	;; [unrolled: 1-line block ×3, first 2 shown]
	;;#ASMSTART
	v_pk_mul_f16 v1, v43, v1;

	;;#ASMEND
	;;#ASMSTART
	v_pk_mul_f16 v2, v42, v2;

	;;#ASMEND
	;; [unrolled: 4-line block ×4, first 2 shown]
	;;#ASMSTART
	v_pk_add_f16 v1, v1, v2;

	;;#ASMEND
	;;#ASMSTART
	v_pk_add_f16 v1, v1, v3;

	;;#ASMEND
	;; [unrolled: 4-line block ×3, first 2 shown]
	v_and_b32_e32 v2, 0xffff, v1
	v_lshrrev_b32_e32 v1, 16, v1
	;;#ASMSTART
	v_cvt_f32_f16 v50, v2;
	;;#ASMEND
	;;#ASMSTART
	v_cvt_f32_f16 v51, v1;
	;;#ASMEND
	global_load_dwordx4 v[1:4], v[7:8], off offset:1536
	s_waitcnt vmcnt(0)
	v_lshrrev_b32_e32 v52, 16, v1
	v_lshrrev_b32_e32 v10, 16, v2
	;; [unrolled: 1-line block ×3, first 2 shown]
	s_and_saveexec_b32 s17, s0
	s_cbranch_execz .LBB92_44
; %bb.43:                               ;   in Loop: Header=BB92_35 Depth=1
	v_cmp_gt_i32_e32 vcc_lo, s28, v36
	v_and_b32_e32 v53, 0xffff0000, v4
	v_cmp_gt_i32_e64 s1, s28, v35
	v_cndmask_b32_e32 v1, 0, v1, vcc_lo
	v_cmp_gt_i32_e32 vcc_lo, s28, v38
	v_cndmask_b32_e64 v2, 0, v2, s1
	v_cmp_gt_i32_e64 s1, s28, v34
	v_cndmask_b32_e32 v52, 0, v52, vcc_lo
	v_cmp_gt_i32_e32 vcc_lo, s28, v37
	v_cndmask_b32_e64 v10, 0, v10, s1
	v_cndmask_b32_sdwa v4, v24, v4, vcc_lo dst_sel:DWORD dst_unused:UNUSED_PAD src0_sel:DWORD src1_sel:WORD_0
	v_cmp_gt_i32_e32 vcc_lo, s28, v33
	v_cndmask_b32_e32 v53, 0, v53, vcc_lo
	v_cmp_gt_i32_e32 vcc_lo, s28, v32
	v_or_b32_e32 v4, v4, v53
	v_cndmask_b32_e32 v3, 0, v3, vcc_lo
	v_cmp_gt_i32_e32 vcc_lo, s28, v31
	v_cndmask_b32_e32 v9, 0, v9, vcc_lo
.LBB92_44:                              ;   in Loop: Header=BB92_35 Depth=1
	s_or_b32 exec_lo, exec_lo, s17
	v_lshlrev_b32_e32 v9, 16, v9
	v_lshlrev_b32_e32 v52, 16, v52
	;; [unrolled: 1-line block ×3, first 2 shown]
	v_and_or_b32 v3, 0xffff, v3, v9
	v_add_co_u32 v9, vcc_lo, 0x800, v7
	v_and_or_b32 v1, 0xffff, v1, v52
	v_and_or_b32 v2, 0xffff, v2, v10
	;;#ASMSTART
	v_pk_mul_f16 v1, v43, v1;

	;;#ASMEND
	v_add_co_ci_u32_e64 v10, null, 0, v8, vcc_lo
	;;#ASMSTART
	v_pk_mul_f16 v2, v42, v2;

	;;#ASMEND
	;;#ASMSTART
	v_pk_mul_f16 v3, v46, v3;

	;;#ASMEND
	;; [unrolled: 4-line block ×3, first 2 shown]
	;;#ASMSTART
	v_pk_add_f16 v1, v1, v2;

	;;#ASMEND
	;;#ASMSTART
	v_pk_add_f16 v1, v1, v3;

	;;#ASMEND
	;; [unrolled: 4-line block ×3, first 2 shown]
	v_lshrrev_b32_e32 v2, 16, v1
	v_and_b32_e32 v1, 0xffff, v1
	;;#ASMSTART
	v_cvt_f32_f16 v52, v1;
	;;#ASMEND
	;;#ASMSTART
	v_cvt_f32_f16 v53, v2;
	;;#ASMEND
	global_load_dwordx4 v[1:4], v[9:10], off
	s_waitcnt vmcnt(0)
	v_lshrrev_b32_e32 v56, 16, v1
	v_lshrrev_b32_e32 v55, 16, v2
	;; [unrolled: 1-line block ×3, first 2 shown]
	s_and_saveexec_b32 s17, s0
	s_cbranch_execz .LBB92_46
; %bb.45:                               ;   in Loop: Header=BB92_35 Depth=1
	v_cmp_gt_i32_e32 vcc_lo, s28, v36
	v_and_b32_e32 v57, 0xffff0000, v4
	v_cmp_gt_i32_e64 s1, s28, v35
	v_cndmask_b32_e32 v1, 0, v1, vcc_lo
	v_cmp_gt_i32_e32 vcc_lo, s28, v38
	v_cndmask_b32_e64 v2, 0, v2, s1
	v_cmp_gt_i32_e64 s1, s28, v34
	v_cndmask_b32_e32 v56, 0, v56, vcc_lo
	v_cmp_gt_i32_e32 vcc_lo, s28, v37
	v_cndmask_b32_e64 v55, 0, v55, s1
	v_cndmask_b32_sdwa v4, v24, v4, vcc_lo dst_sel:DWORD dst_unused:UNUSED_PAD src0_sel:DWORD src1_sel:WORD_0
	v_cmp_gt_i32_e32 vcc_lo, s28, v33
	v_cndmask_b32_e32 v57, 0, v57, vcc_lo
	v_cmp_gt_i32_e32 vcc_lo, s28, v32
	v_or_b32_e32 v4, v4, v57
	v_cndmask_b32_e32 v3, 0, v3, vcc_lo
	v_cmp_gt_i32_e32 vcc_lo, s28, v31
	v_cndmask_b32_e32 v54, 0, v54, vcc_lo
.LBB92_46:                              ;   in Loop: Header=BB92_35 Depth=1
	s_or_b32 exec_lo, exec_lo, s17
	v_lshlrev_b32_e32 v56, 16, v56
	v_lshlrev_b32_e32 v55, 16, v55
	;; [unrolled: 1-line block ×3, first 2 shown]
	v_and_or_b32 v1, 0xffff, v1, v56
	v_and_or_b32 v2, 0xffff, v2, v55
	;; [unrolled: 1-line block ×3, first 2 shown]
	;;#ASMSTART
	v_pk_mul_f16 v1, v43, v1;

	;;#ASMEND
	;;#ASMSTART
	v_pk_mul_f16 v2, v42, v2;

	;;#ASMEND
	;; [unrolled: 4-line block ×4, first 2 shown]
	;;#ASMSTART
	v_pk_add_f16 v1, v1, v2;

	;;#ASMEND
	;;#ASMSTART
	v_pk_add_f16 v1, v1, v3;

	;;#ASMEND
	;; [unrolled: 4-line block ×3, first 2 shown]
	v_and_b32_e32 v2, 0xffff, v1
	v_lshrrev_b32_e32 v1, 16, v1
	;;#ASMSTART
	v_cvt_f32_f16 v54, v2;
	;;#ASMEND
	;;#ASMSTART
	v_cvt_f32_f16 v55, v1;
	;;#ASMEND
	global_load_dwordx4 v[1:4], v[9:10], off offset:512
	s_waitcnt vmcnt(0)
	v_lshrrev_b32_e32 v58, 16, v1
	v_lshrrev_b32_e32 v57, 16, v2
	;; [unrolled: 1-line block ×3, first 2 shown]
	s_and_saveexec_b32 s17, s0
	s_cbranch_execz .LBB92_48
; %bb.47:                               ;   in Loop: Header=BB92_35 Depth=1
	v_cmp_gt_i32_e32 vcc_lo, s28, v36
	v_and_b32_e32 v59, 0xffff0000, v4
	v_cmp_gt_i32_e64 s1, s28, v35
	v_cndmask_b32_e32 v1, 0, v1, vcc_lo
	v_cmp_gt_i32_e32 vcc_lo, s28, v38
	v_cndmask_b32_e64 v2, 0, v2, s1
	v_cmp_gt_i32_e64 s1, s28, v34
	v_cndmask_b32_e32 v58, 0, v58, vcc_lo
	v_cmp_gt_i32_e32 vcc_lo, s28, v37
	v_cndmask_b32_e64 v57, 0, v57, s1
	v_cndmask_b32_sdwa v4, v24, v4, vcc_lo dst_sel:DWORD dst_unused:UNUSED_PAD src0_sel:DWORD src1_sel:WORD_0
	v_cmp_gt_i32_e32 vcc_lo, s28, v33
	v_cndmask_b32_e32 v59, 0, v59, vcc_lo
	v_cmp_gt_i32_e32 vcc_lo, s28, v32
	v_or_b32_e32 v4, v4, v59
	v_cndmask_b32_e32 v3, 0, v3, vcc_lo
	v_cmp_gt_i32_e32 vcc_lo, s28, v31
	v_cndmask_b32_e32 v56, 0, v56, vcc_lo
.LBB92_48:                              ;   in Loop: Header=BB92_35 Depth=1
	s_or_b32 exec_lo, exec_lo, s17
	v_lshlrev_b32_e32 v58, 16, v58
	v_lshlrev_b32_e32 v57, 16, v57
	;; [unrolled: 1-line block ×3, first 2 shown]
	v_and_or_b32 v1, 0xffff, v1, v58
	v_and_or_b32 v2, 0xffff, v2, v57
	;; [unrolled: 1-line block ×3, first 2 shown]
	;;#ASMSTART
	v_pk_mul_f16 v1, v43, v1;

	;;#ASMEND
	;;#ASMSTART
	v_pk_mul_f16 v2, v42, v2;

	;;#ASMEND
	;; [unrolled: 4-line block ×4, first 2 shown]
	;;#ASMSTART
	v_pk_add_f16 v1, v1, v2;

	;;#ASMEND
	;;#ASMSTART
	v_pk_add_f16 v1, v1, v3;

	;;#ASMEND
	;; [unrolled: 4-line block ×3, first 2 shown]
	v_and_b32_e32 v2, 0xffff, v1
	v_lshrrev_b32_e32 v1, 16, v1
	;;#ASMSTART
	v_cvt_f32_f16 v56, v2;
	;;#ASMEND
	;;#ASMSTART
	v_cvt_f32_f16 v57, v1;
	;;#ASMEND
	global_load_dwordx4 v[1:4], v[9:10], off offset:1024
	s_waitcnt vmcnt(0)
	v_lshrrev_b32_e32 v60, 16, v1
	v_lshrrev_b32_e32 v59, 16, v2
	;; [unrolled: 1-line block ×3, first 2 shown]
	s_and_saveexec_b32 s17, s0
	s_cbranch_execz .LBB92_50
; %bb.49:                               ;   in Loop: Header=BB92_35 Depth=1
	v_cmp_gt_i32_e32 vcc_lo, s28, v36
	v_and_b32_e32 v61, 0xffff0000, v4
	v_cmp_gt_i32_e64 s1, s28, v35
	v_cndmask_b32_e32 v1, 0, v1, vcc_lo
	v_cmp_gt_i32_e32 vcc_lo, s28, v38
	v_cndmask_b32_e64 v2, 0, v2, s1
	v_cmp_gt_i32_e64 s1, s28, v34
	v_cndmask_b32_e32 v60, 0, v60, vcc_lo
	v_cmp_gt_i32_e32 vcc_lo, s28, v37
	v_cndmask_b32_e64 v59, 0, v59, s1
	v_cndmask_b32_sdwa v4, v24, v4, vcc_lo dst_sel:DWORD dst_unused:UNUSED_PAD src0_sel:DWORD src1_sel:WORD_0
	v_cmp_gt_i32_e32 vcc_lo, s28, v33
	v_cndmask_b32_e32 v61, 0, v61, vcc_lo
	v_cmp_gt_i32_e32 vcc_lo, s28, v32
	v_or_b32_e32 v4, v4, v61
	v_cndmask_b32_e32 v3, 0, v3, vcc_lo
	v_cmp_gt_i32_e32 vcc_lo, s28, v31
	v_cndmask_b32_e32 v58, 0, v58, vcc_lo
.LBB92_50:                              ;   in Loop: Header=BB92_35 Depth=1
	s_or_b32 exec_lo, exec_lo, s17
	v_lshlrev_b32_e32 v60, 16, v60
	v_lshlrev_b32_e32 v59, 16, v59
	;; [unrolled: 1-line block ×3, first 2 shown]
	v_and_or_b32 v1, 0xffff, v1, v60
	v_and_or_b32 v2, 0xffff, v2, v59
	;; [unrolled: 1-line block ×3, first 2 shown]
	;;#ASMSTART
	v_pk_mul_f16 v1, v43, v1;

	;;#ASMEND
	;;#ASMSTART
	v_pk_mul_f16 v2, v42, v2;

	;;#ASMEND
	;; [unrolled: 4-line block ×4, first 2 shown]
	;;#ASMSTART
	v_pk_add_f16 v1, v1, v2;

	;;#ASMEND
	;;#ASMSTART
	v_pk_add_f16 v1, v1, v3;

	;;#ASMEND
	;; [unrolled: 4-line block ×3, first 2 shown]
	v_and_b32_e32 v2, 0xffff, v1
	v_lshrrev_b32_e32 v1, 16, v1
	;;#ASMSTART
	v_cvt_f32_f16 v58, v2;
	;;#ASMEND
	;;#ASMSTART
	v_cvt_f32_f16 v59, v1;
	;;#ASMEND
	global_load_dwordx4 v[1:4], v[9:10], off offset:1536
	s_waitcnt vmcnt(0)
	v_lshrrev_b32_e32 v60, 16, v1
	v_lshrrev_b32_e32 v10, 16, v2
	;; [unrolled: 1-line block ×3, first 2 shown]
	s_and_saveexec_b32 s17, s0
	s_cbranch_execz .LBB92_52
; %bb.51:                               ;   in Loop: Header=BB92_35 Depth=1
	v_cmp_gt_i32_e32 vcc_lo, s28, v36
	v_and_b32_e32 v61, 0xffff0000, v4
	v_cmp_gt_i32_e64 s1, s28, v35
	v_cndmask_b32_e32 v1, 0, v1, vcc_lo
	v_cmp_gt_i32_e32 vcc_lo, s28, v38
	v_cndmask_b32_e64 v2, 0, v2, s1
	v_cmp_gt_i32_e64 s1, s28, v34
	v_cndmask_b32_e32 v60, 0, v60, vcc_lo
	v_cmp_gt_i32_e32 vcc_lo, s28, v37
	v_cndmask_b32_e64 v10, 0, v10, s1
	v_cndmask_b32_sdwa v4, v24, v4, vcc_lo dst_sel:DWORD dst_unused:UNUSED_PAD src0_sel:DWORD src1_sel:WORD_0
	v_cmp_gt_i32_e32 vcc_lo, s28, v33
	v_cndmask_b32_e32 v61, 0, v61, vcc_lo
	v_cmp_gt_i32_e32 vcc_lo, s28, v32
	v_or_b32_e32 v4, v4, v61
	v_cndmask_b32_e32 v3, 0, v3, vcc_lo
	v_cmp_gt_i32_e32 vcc_lo, s28, v31
	v_cndmask_b32_e32 v9, 0, v9, vcc_lo
.LBB92_52:                              ;   in Loop: Header=BB92_35 Depth=1
	s_or_b32 exec_lo, exec_lo, s17
	v_lshlrev_b32_e32 v60, 16, v60
	v_lshlrev_b32_e32 v10, 16, v10
	;; [unrolled: 1-line block ×3, first 2 shown]
	v_add_co_u32 v7, vcc_lo, 0x1000, v7
	v_and_or_b32 v1, 0xffff, v1, v60
	v_and_or_b32 v2, 0xffff, v2, v10
	v_and_or_b32 v3, 0xffff, v3, v9
	;;#ASMSTART
	v_pk_mul_f16 v1, v43, v1;

	;;#ASMEND
	v_add_co_ci_u32_e64 v8, null, 0, v8, vcc_lo
	;;#ASMSTART
	v_pk_mul_f16 v2, v42, v2;

	;;#ASMEND
	;;#ASMSTART
	v_pk_mul_f16 v3, v46, v3;

	;;#ASMEND
	;; [unrolled: 4-line block ×3, first 2 shown]
	;;#ASMSTART
	v_pk_add_f16 v1, v1, v2;

	;;#ASMEND
	;;#ASMSTART
	v_pk_add_f16 v1, v1, v3;

	;;#ASMEND
	;; [unrolled: 4-line block ×3, first 2 shown]
	v_lshrrev_b32_e32 v2, 16, v1
	v_and_b32_e32 v1, 0xffff, v1
	;;#ASMSTART
	v_cvt_f32_f16 v9, v1;
	;;#ASMEND
	;;#ASMSTART
	v_cvt_f32_f16 v10, v2;
	;;#ASMEND
	global_load_dwordx4 v[1:4], v[7:8], off
	s_waitcnt vmcnt(0)
	v_lshrrev_b32_e32 v62, 16, v1
	v_lshrrev_b32_e32 v61, 16, v2
	;; [unrolled: 1-line block ×3, first 2 shown]
	s_and_saveexec_b32 s17, s0
	s_cbranch_execz .LBB92_54
; %bb.53:                               ;   in Loop: Header=BB92_35 Depth=1
	v_cmp_gt_i32_e32 vcc_lo, s28, v36
	v_and_b32_e32 v63, 0xffff0000, v4
	v_cmp_gt_i32_e64 s1, s28, v35
	v_cndmask_b32_e32 v1, 0, v1, vcc_lo
	v_cmp_gt_i32_e32 vcc_lo, s28, v38
	v_cndmask_b32_e64 v2, 0, v2, s1
	v_cmp_gt_i32_e64 s1, s28, v34
	v_cndmask_b32_e32 v62, 0, v62, vcc_lo
	v_cmp_gt_i32_e32 vcc_lo, s28, v37
	v_cndmask_b32_e64 v61, 0, v61, s1
	v_cndmask_b32_sdwa v4, v24, v4, vcc_lo dst_sel:DWORD dst_unused:UNUSED_PAD src0_sel:DWORD src1_sel:WORD_0
	v_cmp_gt_i32_e32 vcc_lo, s28, v33
	v_cndmask_b32_e32 v63, 0, v63, vcc_lo
	v_cmp_gt_i32_e32 vcc_lo, s28, v32
	v_or_b32_e32 v4, v4, v63
	v_cndmask_b32_e32 v3, 0, v3, vcc_lo
	v_cmp_gt_i32_e32 vcc_lo, s28, v31
	v_cndmask_b32_e32 v60, 0, v60, vcc_lo
.LBB92_54:                              ;   in Loop: Header=BB92_35 Depth=1
	s_or_b32 exec_lo, exec_lo, s17
	v_lshlrev_b32_e32 v62, 16, v62
	v_lshlrev_b32_e32 v61, 16, v61
	;; [unrolled: 1-line block ×3, first 2 shown]
	v_and_or_b32 v1, 0xffff, v1, v62
	v_and_or_b32 v2, 0xffff, v2, v61
	;; [unrolled: 1-line block ×3, first 2 shown]
	;;#ASMSTART
	v_pk_mul_f16 v1, v43, v1;

	;;#ASMEND
	;;#ASMSTART
	v_pk_mul_f16 v2, v42, v2;

	;;#ASMEND
	;; [unrolled: 4-line block ×4, first 2 shown]
	;;#ASMSTART
	v_pk_add_f16 v1, v1, v2;

	;;#ASMEND
	;;#ASMSTART
	v_pk_add_f16 v1, v1, v3;

	;;#ASMEND
	;; [unrolled: 4-line block ×3, first 2 shown]
	v_and_b32_e32 v2, 0xffff, v1
	v_lshrrev_b32_e32 v1, 16, v1
	;;#ASMSTART
	v_cvt_f32_f16 v61, v2;
	;;#ASMEND
	;;#ASMSTART
	v_cvt_f32_f16 v62, v1;
	;;#ASMEND
	global_load_dwordx4 v[1:4], v[7:8], off offset:512
	s_waitcnt vmcnt(0)
	v_lshrrev_b32_e32 v60, 16, v1
	v_lshrrev_b32_e32 v8, 16, v2
	;; [unrolled: 1-line block ×3, first 2 shown]
	s_and_saveexec_b32 s1, s0
	s_cbranch_execz .LBB92_33
; %bb.55:                               ;   in Loop: Header=BB92_35 Depth=1
	v_cmp_gt_i32_e32 vcc_lo, s28, v36
	v_cmp_gt_i32_e64 s0, s28, v35
	v_cndmask_b32_e32 v1, 0, v1, vcc_lo
	v_cmp_gt_i32_e32 vcc_lo, s28, v38
	v_cndmask_b32_e64 v2, 0, v2, s0
	v_cmp_gt_i32_e64 s0, s28, v34
	v_and_b32_e32 v34, 0xffff0000, v4
	v_cndmask_b32_e32 v60, 0, v60, vcc_lo
	v_cmp_gt_i32_e32 vcc_lo, s28, v37
	v_cndmask_b32_e64 v8, 0, v8, s0
	v_cndmask_b32_sdwa v4, v24, v4, vcc_lo dst_sel:DWORD dst_unused:UNUSED_PAD src0_sel:DWORD src1_sel:WORD_0
	v_cmp_gt_i32_e32 vcc_lo, s28, v33
	v_cndmask_b32_e32 v33, 0, v34, vcc_lo
	v_cmp_gt_i32_e32 vcc_lo, s28, v32
	v_or_b32_e32 v4, v4, v33
	v_cndmask_b32_e32 v3, 0, v3, vcc_lo
	v_cmp_gt_i32_e32 vcc_lo, s28, v31
	v_cndmask_b32_e32 v7, 0, v7, vcc_lo
	s_branch .LBB92_33
.LBB92_56:
	s_or_b32 exec_lo, exec_lo, s13
.LBB92_57:
	s_or_b32 exec_lo, exec_lo, s2
	ds_bpermute_b32 v1, v12, v22
	ds_bpermute_b32 v2, v12, v23
	;; [unrolled: 1-line block ×10, first 2 shown]
	v_and_b32_e32 v27, 0x3c3, v0
	s_mov_b32 s0, exec_lo
	s_waitcnt lgkmcnt(0)
	s_barrier
	buffer_gl0_inv
	v_add_f32_e32 v1, v22, v1
	v_add_f32_e32 v2, v23, v2
	v_add_f32_e32 v3, v21, v3
	v_add_f32_e32 v4, v20, v4
	v_add_f32_e32 v5, v19, v5
	v_add_f32_e32 v18, v18, v6
	v_add_f32_e32 v17, v17, v7
	v_add_f32_e32 v16, v16, v8
	v_add_f32_e32 v15, v15, v9
	v_add_f32_e32 v19, v14, v10
	ds_bpermute_b32 v6, v11, v1
	ds_bpermute_b32 v7, v11, v2
	;; [unrolled: 1-line block ×10, first 2 shown]
	v_and_b32_e32 v9, 28, v40
	v_lshrrev_b32_e32 v11, 2, v40
	v_mul_u32_u24_e32 v14, 0x140, v39
	v_add_nc_u32_e32 v12, 0xc0, v9
	s_waitcnt lgkmcnt(9)
	v_add_f32_e32 v10, v1, v6
	s_waitcnt lgkmcnt(8)
	v_add_f32_e32 v9, v2, v7
	;; [unrolled: 2-line block ×10, first 2 shown]
	v_cmpx_eq_u32_e32 64, v27
	s_cbranch_execz .LBB92_59
; %bb.58:
	v_add_nc_u32_e32 v15, v12, v14
	v_add_nc_u32_e32 v16, 0xfffffd80, v15
	v_add_nc_u32_e32 v17, 0xfffffda0, v15
	v_add_nc_u32_e32 v18, 0xfffffdc0, v15
	v_add_nc_u32_e32 v19, 0xfffffde0, v15
	v_add_nc_u32_e32 v20, 0xfffffe00, v15
	ds_write_b32 v16, v10
	ds_write_b32 v17, v9
	;; [unrolled: 1-line block ×5, first 2 shown]
	v_add_nc_u32_e32 v16, 0xfffffe20, v15
	v_add_nc_u32_e32 v17, 0xfffffe40, v15
	;; [unrolled: 1-line block ×5, first 2 shown]
	ds_write_b32 v16, v5
	ds_write_b32 v17, v4
	;; [unrolled: 1-line block ×5, first 2 shown]
.LBB92_59:
	s_or_b32 exec_lo, exec_lo, s0
	v_lshlrev_b32_e32 v11, 2, v11
	s_mov_b32 s1, exec_lo
	v_cmp_eq_u32_e32 vcc_lo, 0, v13
	s_waitcnt lgkmcnt(0)
	s_barrier
	v_add3_u32 v11, 0xc0, v14, v11
	buffer_gl0_inv
	v_cmpx_gt_u32_e32 64, v0
	s_cbranch_execz .LBB92_72
; %bb.60:
	s_and_saveexec_b32 s0, vcc_lo
	s_cbranch_execnz .LBB92_90
; %bb.61:
	s_or_b32 exec_lo, exec_lo, s0
	s_and_saveexec_b32 s0, vcc_lo
	s_cbranch_execnz .LBB92_91
.LBB92_62:
	s_or_b32 exec_lo, exec_lo, s0
	s_and_saveexec_b32 s0, vcc_lo
	s_cbranch_execnz .LBB92_92
.LBB92_63:
	s_or_b32 exec_lo, exec_lo, s0
	s_and_saveexec_b32 s0, vcc_lo
	s_cbranch_execnz .LBB92_93
.LBB92_64:
	s_or_b32 exec_lo, exec_lo, s0
	s_and_saveexec_b32 s0, vcc_lo
	s_cbranch_execnz .LBB92_94
.LBB92_65:
	s_or_b32 exec_lo, exec_lo, s0
	s_and_saveexec_b32 s0, vcc_lo
	s_cbranch_execnz .LBB92_95
.LBB92_66:
	s_or_b32 exec_lo, exec_lo, s0
	s_and_saveexec_b32 s0, vcc_lo
	s_cbranch_execnz .LBB92_96
.LBB92_67:
	s_or_b32 exec_lo, exec_lo, s0
	s_and_saveexec_b32 s0, vcc_lo
	s_cbranch_execnz .LBB92_97
.LBB92_68:
	s_or_b32 exec_lo, exec_lo, s0
	s_and_saveexec_b32 s0, vcc_lo
	s_cbranch_execnz .LBB92_98
.LBB92_69:
	s_or_b32 exec_lo, exec_lo, s0
	s_and_saveexec_b32 s0, vcc_lo
	s_cbranch_execz .LBB92_71
.LBB92_70:
	ds_read_b32 v13, v11 offset:288
	s_waitcnt lgkmcnt(0)
	v_add_f32_e32 v1, v1, v13
.LBB92_71:
	s_or_b32 exec_lo, exec_lo, s0
.LBB92_72:
	s_or_b32 exec_lo, exec_lo, s1
	v_and_b32_e32 v13, 0x3e3, v0
	s_mov_b32 s1, exec_lo
	s_barrier
	buffer_gl0_inv
	v_cmpx_eq_u32_e32 32, v13
	s_cbranch_execz .LBB92_74
; %bb.73:
	ds_write2_b32 v12, v10, v9 offset1:8
	ds_write2_b32 v12, v8, v7 offset0:16 offset1:24
	ds_write2_b32 v12, v6, v5 offset0:32 offset1:40
	;; [unrolled: 1-line block ×4, first 2 shown]
.LBB92_74:
	s_or_b32 exec_lo, exec_lo, s1
	s_mov_b32 s1, exec_lo
	s_waitcnt lgkmcnt(0)
	s_barrier
	buffer_gl0_inv
	v_cmpx_gt_u32_e32 32, v0
	s_cbranch_execz .LBB92_87
; %bb.75:
	s_and_saveexec_b32 s0, vcc_lo
	s_cbranch_execnz .LBB92_99
; %bb.76:
	s_or_b32 exec_lo, exec_lo, s0
	s_and_saveexec_b32 s0, vcc_lo
	s_cbranch_execnz .LBB92_100
.LBB92_77:
	s_or_b32 exec_lo, exec_lo, s0
	s_and_saveexec_b32 s0, vcc_lo
	s_cbranch_execnz .LBB92_101
.LBB92_78:
	s_or_b32 exec_lo, exec_lo, s0
	s_and_saveexec_b32 s0, vcc_lo
	s_cbranch_execnz .LBB92_102
.LBB92_79:
	s_or_b32 exec_lo, exec_lo, s0
	s_and_saveexec_b32 s0, vcc_lo
	s_cbranch_execnz .LBB92_103
.LBB92_80:
	s_or_b32 exec_lo, exec_lo, s0
	s_and_saveexec_b32 s0, vcc_lo
	s_cbranch_execnz .LBB92_104
.LBB92_81:
	s_or_b32 exec_lo, exec_lo, s0
	s_and_saveexec_b32 s0, vcc_lo
	s_cbranch_execnz .LBB92_105
.LBB92_82:
	s_or_b32 exec_lo, exec_lo, s0
	s_and_saveexec_b32 s0, vcc_lo
	s_cbranch_execnz .LBB92_106
.LBB92_83:
	s_or_b32 exec_lo, exec_lo, s0
	s_and_saveexec_b32 s0, vcc_lo
	s_cbranch_execnz .LBB92_107
.LBB92_84:
	s_or_b32 exec_lo, exec_lo, s0
	s_and_saveexec_b32 s0, vcc_lo
	s_cbranch_execz .LBB92_86
.LBB92_85:
	ds_read_b32 v11, v11 offset:288
	s_waitcnt lgkmcnt(0)
	v_add_f32_e32 v1, v1, v11
.LBB92_86:
	s_or_b32 exec_lo, exec_lo, s0
.LBB92_87:
	s_or_b32 exec_lo, exec_lo, s1
	s_barrier
	buffer_gl0_inv
	s_mov_b32 s0, exec_lo
	v_cmpx_eq_u32_e32 0, v13
	s_cbranch_execz .LBB92_89
; %bb.88:
	s_mul_i32 s0, s10, s11
	s_mul_i32 s2, s11, s20
	;; [unrolled: 1-line block ×3, first 2 shown]
	v_lshrrev_b32_e32 v0, 1, v0
	s_mulk_i32 s0, 0x50
	;;#ASMSTART
	v_cvt_f16_f32 v10, v10;

	;;#ASMEND
	s_ashr_i32 s1, s0, 31
	s_lshl_b64 s[0:1], s[0:1], 1
	s_add_u32 s4, s6, s0
	s_addc_u32 s5, s7, s1
	s_ashr_i32 s3, s2, 31
	s_lshl_b64 s[0:1], s[2:3], 1
	s_mul_i32 s2, s8, 0x50
	s_add_u32 s4, s4, s0
	s_addc_u32 s5, s5, s1
	s_ashr_i32 s3, s2, 31
	s_lshl_b64 s[0:1], s[2:3], 1
	s_add_u32 s0, s4, s0
	s_addc_u32 s1, s5, s1
	global_store_short v0, v10, s[0:1]
	;;#ASMSTART
	v_cvt_f16_f32 v9, v9;

	;;#ASMEND
	global_store_short v0, v9, s[0:1] offset:16
	;;#ASMSTART
	v_cvt_f16_f32 v8, v8;

	;;#ASMEND
	global_store_short v0, v8, s[0:1] offset:32
	;;#ASMSTART
	v_cvt_f16_f32 v7, v7;

	;;#ASMEND
	global_store_short v0, v7, s[0:1] offset:48
	;;#ASMSTART
	v_cvt_f16_f32 v6, v6;

	;;#ASMEND
	global_store_short v0, v6, s[0:1] offset:64
	;;#ASMSTART
	v_cvt_f16_f32 v5, v5;

	;;#ASMEND
	global_store_short v0, v5, s[0:1] offset:80
	;;#ASMSTART
	v_cvt_f16_f32 v4, v4;

	;;#ASMEND
	global_store_short v0, v4, s[0:1] offset:96
	;;#ASMSTART
	v_cvt_f16_f32 v3, v3;

	;;#ASMEND
	global_store_short v0, v3, s[0:1] offset:112
	;;#ASMSTART
	v_cvt_f16_f32 v2, v2;

	;;#ASMEND
	global_store_short v0, v2, s[0:1] offset:128
	;;#ASMSTART
	v_cvt_f16_f32 v1, v1;

	;;#ASMEND
	global_store_short v0, v1, s[0:1] offset:144
.LBB92_89:
	s_endpgm
.LBB92_90:
	ds_read_b32 v13, v11
	s_waitcnt lgkmcnt(0)
	v_add_f32_e32 v10, v10, v13
	s_or_b32 exec_lo, exec_lo, s0
	s_and_saveexec_b32 s0, vcc_lo
	s_cbranch_execz .LBB92_62
.LBB92_91:
	ds_read_b32 v13, v11 offset:32
	s_waitcnt lgkmcnt(0)
	v_add_f32_e32 v9, v9, v13
	s_or_b32 exec_lo, exec_lo, s0
	s_and_saveexec_b32 s0, vcc_lo
	s_cbranch_execz .LBB92_63
.LBB92_92:
	ds_read_b32 v13, v11 offset:64
	s_waitcnt lgkmcnt(0)
	v_add_f32_e32 v8, v8, v13
	s_or_b32 exec_lo, exec_lo, s0
	s_and_saveexec_b32 s0, vcc_lo
	s_cbranch_execz .LBB92_64
.LBB92_93:
	ds_read_b32 v13, v11 offset:96
	s_waitcnt lgkmcnt(0)
	v_add_f32_e32 v7, v7, v13
	s_or_b32 exec_lo, exec_lo, s0
	s_and_saveexec_b32 s0, vcc_lo
	s_cbranch_execz .LBB92_65
.LBB92_94:
	ds_read_b32 v13, v11 offset:128
	s_waitcnt lgkmcnt(0)
	v_add_f32_e32 v6, v6, v13
	s_or_b32 exec_lo, exec_lo, s0
	s_and_saveexec_b32 s0, vcc_lo
	s_cbranch_execz .LBB92_66
.LBB92_95:
	ds_read_b32 v13, v11 offset:160
	s_waitcnt lgkmcnt(0)
	v_add_f32_e32 v5, v5, v13
	s_or_b32 exec_lo, exec_lo, s0
	s_and_saveexec_b32 s0, vcc_lo
	s_cbranch_execz .LBB92_67
.LBB92_96:
	ds_read_b32 v13, v11 offset:192
	s_waitcnt lgkmcnt(0)
	v_add_f32_e32 v4, v4, v13
	s_or_b32 exec_lo, exec_lo, s0
	s_and_saveexec_b32 s0, vcc_lo
	s_cbranch_execz .LBB92_68
.LBB92_97:
	ds_read_b32 v13, v11 offset:224
	s_waitcnt lgkmcnt(0)
	v_add_f32_e32 v3, v3, v13
	s_or_b32 exec_lo, exec_lo, s0
	s_and_saveexec_b32 s0, vcc_lo
	s_cbranch_execz .LBB92_69
.LBB92_98:
	ds_read_b32 v13, v11 offset:256
	s_waitcnt lgkmcnt(0)
	v_add_f32_e32 v2, v2, v13
	s_or_b32 exec_lo, exec_lo, s0
	s_and_saveexec_b32 s0, vcc_lo
	s_cbranch_execnz .LBB92_70
	s_branch .LBB92_71
.LBB92_99:
	ds_read_b32 v12, v11
	s_waitcnt lgkmcnt(0)
	v_add_f32_e32 v10, v10, v12
	s_or_b32 exec_lo, exec_lo, s0
	s_and_saveexec_b32 s0, vcc_lo
	s_cbranch_execz .LBB92_77
.LBB92_100:
	ds_read_b32 v12, v11 offset:32
	s_waitcnt lgkmcnt(0)
	v_add_f32_e32 v9, v9, v12
	s_or_b32 exec_lo, exec_lo, s0
	s_and_saveexec_b32 s0, vcc_lo
	s_cbranch_execz .LBB92_78
.LBB92_101:
	ds_read_b32 v12, v11 offset:64
	s_waitcnt lgkmcnt(0)
	v_add_f32_e32 v8, v8, v12
	s_or_b32 exec_lo, exec_lo, s0
	s_and_saveexec_b32 s0, vcc_lo
	s_cbranch_execz .LBB92_79
.LBB92_102:
	ds_read_b32 v12, v11 offset:96
	s_waitcnt lgkmcnt(0)
	v_add_f32_e32 v7, v7, v12
	s_or_b32 exec_lo, exec_lo, s0
	s_and_saveexec_b32 s0, vcc_lo
	s_cbranch_execz .LBB92_80
.LBB92_103:
	ds_read_b32 v12, v11 offset:128
	s_waitcnt lgkmcnt(0)
	v_add_f32_e32 v6, v6, v12
	s_or_b32 exec_lo, exec_lo, s0
	s_and_saveexec_b32 s0, vcc_lo
	s_cbranch_execz .LBB92_81
.LBB92_104:
	ds_read_b32 v12, v11 offset:160
	s_waitcnt lgkmcnt(0)
	v_add_f32_e32 v5, v5, v12
	s_or_b32 exec_lo, exec_lo, s0
	s_and_saveexec_b32 s0, vcc_lo
	s_cbranch_execz .LBB92_82
.LBB92_105:
	ds_read_b32 v12, v11 offset:192
	s_waitcnt lgkmcnt(0)
	v_add_f32_e32 v4, v4, v12
	s_or_b32 exec_lo, exec_lo, s0
	s_and_saveexec_b32 s0, vcc_lo
	s_cbranch_execz .LBB92_83
.LBB92_106:
	ds_read_b32 v12, v11 offset:224
	s_waitcnt lgkmcnt(0)
	v_add_f32_e32 v3, v3, v12
	s_or_b32 exec_lo, exec_lo, s0
	s_and_saveexec_b32 s0, vcc_lo
	s_cbranch_execz .LBB92_84
.LBB92_107:
	ds_read_b32 v12, v11 offset:256
	s_waitcnt lgkmcnt(0)
	v_add_f32_e32 v2, v2, v12
	s_or_b32 exec_lo, exec_lo, s0
	s_and_saveexec_b32 s0, vcc_lo
	s_cbranch_execnz .LBB92_85
	s_branch .LBB92_86
	.section	.rodata,"a",@progbits
	.p2align	6, 0x0
	.amdhsa_kernel _ZN4vllm25paged_attention_v1_kernelIttLi80ELi32ELi128ELNS_18Fp8KVCacheDataTypeE0ELb1EEEvPT_PKS2_PKT0_S8_ifPKiSA_iPKfiiiSC_SC_iiiii
		.amdhsa_group_segment_fixed_size 192
		.amdhsa_private_segment_fixed_size 0
		.amdhsa_kernarg_size 384
		.amdhsa_user_sgpr_count 6
		.amdhsa_user_sgpr_private_segment_buffer 1
		.amdhsa_user_sgpr_dispatch_ptr 0
		.amdhsa_user_sgpr_queue_ptr 0
		.amdhsa_user_sgpr_kernarg_segment_ptr 1
		.amdhsa_user_sgpr_dispatch_id 0
		.amdhsa_user_sgpr_flat_scratch_init 0
		.amdhsa_user_sgpr_private_segment_size 0
		.amdhsa_wavefront_size32 1
		.amdhsa_uses_dynamic_stack 0
		.amdhsa_system_sgpr_private_segment_wavefront_offset 0
		.amdhsa_system_sgpr_workgroup_id_x 1
		.amdhsa_system_sgpr_workgroup_id_y 1
		.amdhsa_system_sgpr_workgroup_id_z 1
		.amdhsa_system_sgpr_workgroup_info 0
		.amdhsa_system_vgpr_workitem_id 0
		.amdhsa_next_free_vgpr 78
		.amdhsa_next_free_sgpr 38
		.amdhsa_reserve_vcc 1
		.amdhsa_reserve_flat_scratch 0
		.amdhsa_float_round_mode_32 0
		.amdhsa_float_round_mode_16_64 0
		.amdhsa_float_denorm_mode_32 3
		.amdhsa_float_denorm_mode_16_64 3
		.amdhsa_dx10_clamp 1
		.amdhsa_ieee_mode 1
		.amdhsa_fp16_overflow 0
		.amdhsa_workgroup_processor_mode 1
		.amdhsa_memory_ordered 1
		.amdhsa_forward_progress 1
		.amdhsa_shared_vgpr_count 0
		.amdhsa_exception_fp_ieee_invalid_op 0
		.amdhsa_exception_fp_denorm_src 0
		.amdhsa_exception_fp_ieee_div_zero 0
		.amdhsa_exception_fp_ieee_overflow 0
		.amdhsa_exception_fp_ieee_underflow 0
		.amdhsa_exception_fp_ieee_inexact 0
		.amdhsa_exception_int_div_zero 0
	.end_amdhsa_kernel
	.section	.text._ZN4vllm25paged_attention_v1_kernelIttLi80ELi32ELi128ELNS_18Fp8KVCacheDataTypeE0ELb1EEEvPT_PKS2_PKT0_S8_ifPKiSA_iPKfiiiSC_SC_iiiii,"axG",@progbits,_ZN4vllm25paged_attention_v1_kernelIttLi80ELi32ELi128ELNS_18Fp8KVCacheDataTypeE0ELb1EEEvPT_PKS2_PKT0_S8_ifPKiSA_iPKfiiiSC_SC_iiiii,comdat
.Lfunc_end92:
	.size	_ZN4vllm25paged_attention_v1_kernelIttLi80ELi32ELi128ELNS_18Fp8KVCacheDataTypeE0ELb1EEEvPT_PKS2_PKT0_S8_ifPKiSA_iPKfiiiSC_SC_iiiii, .Lfunc_end92-_ZN4vllm25paged_attention_v1_kernelIttLi80ELi32ELi128ELNS_18Fp8KVCacheDataTypeE0ELb1EEEvPT_PKS2_PKT0_S8_ifPKiSA_iPKfiiiSC_SC_iiiii
                                        ; -- End function
	.set _ZN4vllm25paged_attention_v1_kernelIttLi80ELi32ELi128ELNS_18Fp8KVCacheDataTypeE0ELb1EEEvPT_PKS2_PKT0_S8_ifPKiSA_iPKfiiiSC_SC_iiiii.num_vgpr, 78
	.set _ZN4vllm25paged_attention_v1_kernelIttLi80ELi32ELi128ELNS_18Fp8KVCacheDataTypeE0ELb1EEEvPT_PKS2_PKT0_S8_ifPKiSA_iPKfiiiSC_SC_iiiii.num_agpr, 0
	.set _ZN4vllm25paged_attention_v1_kernelIttLi80ELi32ELi128ELNS_18Fp8KVCacheDataTypeE0ELb1EEEvPT_PKS2_PKT0_S8_ifPKiSA_iPKfiiiSC_SC_iiiii.numbered_sgpr, 38
	.set _ZN4vllm25paged_attention_v1_kernelIttLi80ELi32ELi128ELNS_18Fp8KVCacheDataTypeE0ELb1EEEvPT_PKS2_PKT0_S8_ifPKiSA_iPKfiiiSC_SC_iiiii.num_named_barrier, 0
	.set _ZN4vllm25paged_attention_v1_kernelIttLi80ELi32ELi128ELNS_18Fp8KVCacheDataTypeE0ELb1EEEvPT_PKS2_PKT0_S8_ifPKiSA_iPKfiiiSC_SC_iiiii.private_seg_size, 0
	.set _ZN4vllm25paged_attention_v1_kernelIttLi80ELi32ELi128ELNS_18Fp8KVCacheDataTypeE0ELb1EEEvPT_PKS2_PKT0_S8_ifPKiSA_iPKfiiiSC_SC_iiiii.uses_vcc, 1
	.set _ZN4vllm25paged_attention_v1_kernelIttLi80ELi32ELi128ELNS_18Fp8KVCacheDataTypeE0ELb1EEEvPT_PKS2_PKT0_S8_ifPKiSA_iPKfiiiSC_SC_iiiii.uses_flat_scratch, 0
	.set _ZN4vllm25paged_attention_v1_kernelIttLi80ELi32ELi128ELNS_18Fp8KVCacheDataTypeE0ELb1EEEvPT_PKS2_PKT0_S8_ifPKiSA_iPKfiiiSC_SC_iiiii.has_dyn_sized_stack, 0
	.set _ZN4vllm25paged_attention_v1_kernelIttLi80ELi32ELi128ELNS_18Fp8KVCacheDataTypeE0ELb1EEEvPT_PKS2_PKT0_S8_ifPKiSA_iPKfiiiSC_SC_iiiii.has_recursion, 0
	.set _ZN4vllm25paged_attention_v1_kernelIttLi80ELi32ELi128ELNS_18Fp8KVCacheDataTypeE0ELb1EEEvPT_PKS2_PKT0_S8_ifPKiSA_iPKfiiiSC_SC_iiiii.has_indirect_call, 0
	.section	.AMDGPU.csdata,"",@progbits
; Kernel info:
; codeLenInByte = 13528
; TotalNumSgprs: 40
; NumVgprs: 78
; ScratchSize: 0
; MemoryBound: 0
; FloatMode: 240
; IeeeMode: 1
; LDSByteSize: 192 bytes/workgroup (compile time only)
; SGPRBlocks: 0
; VGPRBlocks: 9
; NumSGPRsForWavesPerEU: 40
; NumVGPRsForWavesPerEU: 78
; Occupancy: 12
; WaveLimiterHint : 1
; COMPUTE_PGM_RSRC2:SCRATCH_EN: 0
; COMPUTE_PGM_RSRC2:USER_SGPR: 6
; COMPUTE_PGM_RSRC2:TRAP_HANDLER: 0
; COMPUTE_PGM_RSRC2:TGID_X_EN: 1
; COMPUTE_PGM_RSRC2:TGID_Y_EN: 1
; COMPUTE_PGM_RSRC2:TGID_Z_EN: 1
; COMPUTE_PGM_RSRC2:TIDIG_COMP_CNT: 0
	.section	.text._ZN4vllm25paged_attention_v1_kernelIttLi96ELi32ELi128ELNS_18Fp8KVCacheDataTypeE0ELb1EEEvPT_PKS2_PKT0_S8_ifPKiSA_iPKfiiiSC_SC_iiiii,"axG",@progbits,_ZN4vllm25paged_attention_v1_kernelIttLi96ELi32ELi128ELNS_18Fp8KVCacheDataTypeE0ELb1EEEvPT_PKS2_PKT0_S8_ifPKiSA_iPKfiiiSC_SC_iiiii,comdat
	.protected	_ZN4vllm25paged_attention_v1_kernelIttLi96ELi32ELi128ELNS_18Fp8KVCacheDataTypeE0ELb1EEEvPT_PKS2_PKT0_S8_ifPKiSA_iPKfiiiSC_SC_iiiii ; -- Begin function _ZN4vllm25paged_attention_v1_kernelIttLi96ELi32ELi128ELNS_18Fp8KVCacheDataTypeE0ELb1EEEvPT_PKS2_PKT0_S8_ifPKiSA_iPKfiiiSC_SC_iiiii
	.globl	_ZN4vllm25paged_attention_v1_kernelIttLi96ELi32ELi128ELNS_18Fp8KVCacheDataTypeE0ELb1EEEvPT_PKS2_PKT0_S8_ifPKiSA_iPKfiiiSC_SC_iiiii
	.p2align	8
	.type	_ZN4vllm25paged_attention_v1_kernelIttLi96ELi32ELi128ELNS_18Fp8KVCacheDataTypeE0ELb1EEEvPT_PKS2_PKT0_S8_ifPKiSA_iPKfiiiSC_SC_iiiii,@function
_ZN4vllm25paged_attention_v1_kernelIttLi96ELi32ELi128ELNS_18Fp8KVCacheDataTypeE0ELb1EEEvPT_PKS2_PKT0_S8_ifPKiSA_iPKfiiiSC_SC_iiiii: ; @_ZN4vllm25paged_attention_v1_kernelIttLi96ELi32ELi128ELNS_18Fp8KVCacheDataTypeE0ELb1EEEvPT_PKS2_PKT0_S8_ifPKiSA_iPKfiiiSC_SC_iiiii
; %bb.0:
	s_clause 0x2
	s_load_dword s9, s[4:5], 0x80
	s_load_dwordx2 s[0:1], s[4:5], 0x30
	s_load_dwordx2 s[2:3], s[4:5], 0x20
	s_mov_b32 s10, s7
	s_ashr_i32 s11, s7, 31
	s_mov_b32 s31, 0
	s_lshl_b64 s[12:13], s[10:11], 2
	s_waitcnt lgkmcnt(0)
	s_add_u32 s0, s0, s12
	s_addc_u32 s1, s1, s13
	s_abs_i32 s7, s2
	s_abs_i32 s13, s9
	v_cvt_f32_u32_e32 v1, s7
	s_sub_i32 s12, 0, s7
	v_rcp_iflag_f32_e32 v1, v1
	v_mul_f32_e32 v1, 0x4f7ffffe, v1
	v_cvt_u32_f32_e32 v1, v1
	v_readfirstlane_b32 s11, v1
	s_mul_i32 s12, s12, s11
	s_mul_hi_u32 s12, s11, s12
	s_add_i32 s11, s11, s12
	s_xor_b32 s12, s9, s2
	s_mul_hi_u32 s11, s13, s11
	s_ashr_i32 s12, s12, 31
	s_mul_i32 s14, s11, s7
	s_sub_i32 s13, s13, s14
	s_add_i32 s14, s11, 1
	s_sub_i32 s15, s13, s7
	s_cmp_ge_u32 s13, s7
	s_cselect_b32 s11, s14, s11
	s_cselect_b32 s13, s15, s13
	s_add_i32 s14, s11, 1
	s_cmp_ge_u32 s13, s7
	s_cselect_b32 s7, s14, s11
	s_abs_i32 s22, s6
	s_xor_b32 s7, s7, s12
	s_sub_i32 s16, s7, s12
	s_load_dwordx2 s[12:13], s[4:5], 0x40
	s_abs_i32 s11, s16
	v_cvt_f32_u32_e32 v1, s11
	s_sub_i32 s14, 0, s11
	v_rcp_iflag_f32_e32 v1, v1
	v_mul_f32_e32 v1, 0x4f7ffffe, v1
	v_cvt_u32_f32_e32 v1, v1
	v_readfirstlane_b32 s7, v1
	s_mul_i32 s14, s14, s7
	s_mul_hi_u32 s14, s7, s14
	s_add_i32 s7, s7, s14
	s_waitcnt lgkmcnt(0)
	s_cmp_eq_u64 s[12:13], 0
	s_mul_hi_u32 s23, s22, s7
	s_cbranch_scc1 .LBB93_2
; %bb.1:
	s_ashr_i32 s7, s6, 31
	s_lshl_b64 s[14:15], s[6:7], 2
	s_add_u32 s12, s12, s14
	s_addc_u32 s13, s13, s15
	s_load_dword s31, s[12:13], 0x0
.LBB93_2:
	s_load_dword s28, s[0:1], 0x0
	s_load_dwordx4 s[12:15], s[4:5], 0x48
	v_lshlrev_b32_e32 v50, 4, v0
	s_ashr_i32 s0, s6, 31
	s_ashr_i32 s1, s16, 31
	s_mul_i32 s20, s6, 0x60
	s_mov_b32 s7, exec_lo
	v_cmpx_gt_u32_e32 12, v0
	s_cbranch_execz .LBB93_4
; %bb.3:
	s_load_dwordx2 s[16:17], s[4:5], 0x8
	s_waitcnt lgkmcnt(0)
	s_mul_i32 s18, s12, s10
	s_ashr_i32 s19, s18, 31
	s_lshl_b64 s[18:19], s[18:19], 1
	s_add_u32 s12, s16, s18
	s_addc_u32 s15, s17, s19
	s_ashr_i32 s21, s20, 31
	s_lshl_b64 s[16:17], s[20:21], 1
	s_add_u32 s16, s12, s16
	s_addc_u32 s17, s15, s17
	global_load_dwordx4 v[1:4], v50, s[16:17]
	s_waitcnt vmcnt(0)
	ds_write_b128 v50, v[1:4]
.LBB93_4:
	s_or_b32 exec_lo, exec_lo, s7
	s_load_dwordx4 s[16:19], s[4:5], 0x68
	s_mul_i32 s7, s23, s11
	s_xor_b32 s1, s0, s1
	s_sub_i32 s0, s22, s7
	s_add_i32 s7, s23, 1
	s_waitcnt lgkmcnt(0)
	s_sub_i32 s12, s0, s11
	s_cmp_ge_u32 s0, s11
	s_mov_b32 s24, -1
	s_cselect_b32 s7, s7, s23
	s_cselect_b32 s0, s12, s0
	s_add_i32 s12, s7, 1
	s_cmp_ge_u32 s0, s11
	s_load_dword s0, s[4:5], 0x78
	s_cselect_b32 s7, s12, s7
	s_add_i32 s11, s28, -1
	s_xor_b32 s7, s7, s1
	s_waitcnt lgkmcnt(0)
	s_sub_i32 s1, s7, s1
	s_barrier
	buffer_gl0_inv
	s_abs_i32 s12, s19
                                        ; implicit-def: $sgpr29
	v_cvt_f32_u32_e32 v1, s12
	s_sub_i32 s7, 0, s12
	v_rcp_iflag_f32_e32 v1, v1
	v_mul_f32_e32 v1, 0x4f7ffffe, v1
	v_cvt_u32_f32_e32 v1, v1
	v_readfirstlane_b32 s21, v1
	s_mul_i32 s7, s7, s21
	s_mul_hi_u32 s15, s21, s7
	s_abs_i32 s7, s11
	s_add_i32 s21, s21, s15
	s_cmp_lt_i32 s0, 0
	s_mul_hi_u32 s15, s7, s21
	s_cbranch_scc0 .LBB93_6
; %bb.5:
	s_mul_i32 s2, s16, s2
	s_mov_b32 s24, 0
	s_add_i32 s2, s1, s2
	s_mul_i32 s2, s2, s0
	s_sub_i32 s29, 1, s2
.LBB93_6:
	s_load_dwordx2 s[22:23], s[4:5], 0x28
	s_ashr_i32 s2, s11, 31
	s_andn2_b32 vcc_lo, exec_lo, s24
	s_ashr_i32 s19, s19, 31
	s_cbranch_vccnz .LBB93_8
; %bb.7:
	s_mul_i32 s11, s9, s16
	s_add_i32 s6, s11, s6
	s_mul_i32 s0, s6, s0
	s_add_i32 s29, s0, 1
.LBB93_8:
	s_load_dword s0, s[4:5], 0x38
	s_mul_i32 s6, s15, s12
	s_xor_b32 s2, s2, s19
	s_sub_i32 s30, s7, s6
	s_add_i32 s16, s15, 1
	s_clause 0x2
	s_load_dwordx2 s[6:7], s[4:5], 0x0
	s_load_dwordx2 s[26:27], s[4:5], 0x18
	s_load_dword s11, s[4:5], 0x88
	v_lshrrev_b32_e32 v47, 5, v0
	v_and_b32_e32 v48, 31, v0
	v_mov_b32_e32 v53, 0xff7fffff
	v_lshrrev_b32_e32 v51, 3, v0
	s_mul_i32 s14, s1, s14
	v_lshlrev_b32_e32 v49, 5, v47
	v_lshlrev_b32_e32 v52, 2, v48
	s_waitcnt lgkmcnt(0)
	s_mul_i32 s24, s0, s10
	s_sub_i32 s0, s30, s12
	s_ashr_i32 s25, s24, 31
	s_cmp_ge_u32 s30, s12
	s_cselect_b32 s15, s16, s15
	s_cselect_b32 s0, s0, s30
	s_add_i32 s16, s15, 1
	s_cmp_ge_u32 s0, s12
	s_cselect_b32 s0, s16, s15
	s_add_i32 s15, s28, 31
	s_ashr_i32 s16, s15, 31
	s_lshr_b32 s16, s16, 27
	s_add_i32 s15, s15, s16
	s_ashr_i32 s16, s15, 5
	s_xor_b32 s15, s0, s2
	v_cmp_gt_i32_e64 s0, s16, v47
	s_sub_i32 s30, s15, s2
	s_and_saveexec_b32 s33, s0
	s_cbranch_execz .LBB93_16
; %bb.9:
	s_load_dwordx2 s[34:35], s[4:5], 0x10
	s_ashr_i32 s15, s14, 31
	s_sub_i32 s4, s30, s17
	s_lshl_b64 s[36:37], s[14:15], 1
	v_subrev_nc_u32_e32 v4, s28, v48
	v_lshlrev_b32_e32 v2, 4, v48
	v_and_b32_e32 v3, 0x7c, v51
	v_lshl_or_b32 v6, v47, 7, v52
	v_mov_b32_e32 v54, 0
	v_add_nc_u32_e32 v57, 1, v4
	v_cmp_neq_f32_e64 vcc_lo, s31, 0
	v_lshlrev_b32_e32 v55, 5, v47
	v_mov_b32_e32 v56, 0xff7fffff
	v_mov_b32_e32 v53, 0xff7fffff
	v_add_nc_u32_e32 v58, 0xe0, v6
	v_mov_b32_e32 v62, v47
	s_waitcnt lgkmcnt(0)
	s_add_u32 s1, s34, s36
	s_addc_u32 s2, s35, s37
	s_abs_i32 s5, s18
	s_lshl_b64 s[34:35], s[24:25], 2
	v_cvt_f32_u32_e32 v1, s5
	s_sub_i32 s15, 0, s5
	v_add_co_u32 v59, s1, s1, v2
	v_add_co_ci_u32_e64 v60, null, s2, 0, s1
	v_rcp_iflag_f32_e32 v1, v1
	s_add_u32 s1, s22, s34
	s_addc_u32 s2, s23, s35
	v_add_co_u32 v45, s1, s1, v3
	v_add_co_ci_u32_e64 v46, null, s2, 0, s1
	s_mov_b32 s34, s13
	v_mul_f32_e32 v1, 0x4f7ffffe, v1
	v_cvt_u32_f32_e32 v1, v1
	v_mul_lo_u32 v5, s15, v1
	s_mov_b32 s15, 0
	v_mul_hi_u32 v4, v1, v5
	v_add_nc_u32_e32 v61, v1, v4
	s_branch .LBB93_11
.LBB93_10:                              ;   in Loop: Header=BB93_11 Depth=1
	s_or_b32 exec_lo, exec_lo, s35
	v_add_nc_u32_e32 v62, 4, v62
	v_add_co_u32 v45, s2, v45, 16
	v_add_co_ci_u32_e64 v46, null, 0, v46, s2
	v_cmp_le_i32_e64 s1, s16, v62
	v_add_nc_u32_e32 v55, 0x80, v55
	v_add_nc_u32_e32 v58, 0x200, v58
	s_or_b32 s15, s1, s15
	s_andn2_b32 exec_lo, exec_lo, s15
	s_cbranch_execz .LBB93_15
.LBB93_11:                              ; =>This Inner Loop Header: Depth=1
	v_mul_hi_u32 v1, v55, s21
	v_mul_lo_u32 v2, v1, s12
	v_add_nc_u32_e32 v3, 1, v1
	v_sub_nc_u32_e32 v2, v55, v2
	v_subrev_nc_u32_e32 v4, s12, v2
	v_cmp_le_u32_e64 s1, s12, v2
	v_cndmask_b32_e64 v1, v1, v3, s1
	v_cndmask_b32_e64 v2, v2, v4, s1
	v_add_nc_u32_e32 v3, 1, v1
	v_cmp_le_u32_e64 s1, s12, v2
	v_cndmask_b32_e64 v1, v1, v3, s1
	v_xor_b32_e32 v1, s19, v1
	v_subrev_nc_u32_e32 v1, s19, v1
	v_add_nc_u32_e32 v2, s29, v1
	v_cmp_ge_i32_e64 s2, s4, v1
	v_sub_nc_u32_e32 v3, 0, v2
	v_max_i32_e32 v3, v2, v3
	v_ashrrev_i32_e32 v2, 31, v2
	v_mul_hi_u32 v4, v3, v61
	v_mul_lo_u32 v4, v4, s5
	v_sub_nc_u32_e32 v3, v3, v4
	v_subrev_nc_u32_e32 v4, s5, v3
	v_cmp_le_u32_e64 s1, s5, v3
	v_cndmask_b32_e64 v3, v3, v4, s1
	v_subrev_nc_u32_e32 v4, s5, v3
	v_cmp_le_u32_e64 s1, s5, v3
	v_cndmask_b32_e64 v3, v3, v4, s1
	v_xor_b32_e32 v3, v3, v2
	v_sub_nc_u32_e32 v2, v3, v2
	v_cmp_ne_u32_e64 s1, 0, v2
	s_and_b32 s1, s1, s2
	s_and_saveexec_b32 s2, s1
	s_xor_b32 s1, exec_lo, s2
; %bb.12:                               ;   in Loop: Header=BB93_11 Depth=1
	ds_write_b32 v58, v56
; %bb.13:                               ;   in Loop: Header=BB93_11 Depth=1
	s_andn2_saveexec_b32 s35, s1
	s_cbranch_execz .LBB93_10
; %bb.14:                               ;   in Loop: Header=BB93_11 Depth=1
	global_load_dword v1, v[45:46], off
	v_add_nc_u32_e32 v4, v57, v55
	v_add_nc_u32_e32 v3, v48, v55
	v_cvt_f32_i32_e32 v4, v4
	v_mul_f32_e32 v63, s31, v4
	v_cndmask_b32_e32 v63, 0, v63, vcc_lo
	s_waitcnt vmcnt(0)
	v_mad_i64_i32 v[1:2], null, v1, s34, 0
	v_lshlrev_b64 v[1:2], 1, v[1:2]
	v_add_co_u32 v1, s1, v59, v1
	v_add_co_ci_u32_e64 v2, null, v60, v2, s1
	v_cmp_gt_i32_e64 s1, s28, v3
	v_add_co_u32 v3, s2, 0x800, v1
	s_clause 0x3
	global_load_dwordx4 v[64:67], v[1:2], off
	global_load_dwordx4 v[41:44], v[1:2], off offset:512
	global_load_dwordx4 v[37:40], v[1:2], off offset:1024
	;; [unrolled: 1-line block ×3, first 2 shown]
	v_add_co_ci_u32_e64 v4, null, 0, v2, s2
	v_add_co_u32 v5, s2, v1, 0x1000
	v_add_co_ci_u32_e64 v6, null, 0, v2, s2
	s_clause 0x3
	global_load_dwordx4 v[29:32], v[5:6], off offset:-2048
	global_load_dwordx4 v[25:28], v[3:4], off offset:512
	global_load_dwordx4 v[21:24], v[3:4], off offset:1024
	global_load_dwordx4 v[17:20], v[3:4], off offset:1536
	v_add_co_u32 v1, s2, 0x1000, v1
	v_add_co_ci_u32_e64 v2, null, 0, v2, s2
	s_clause 0x3
	global_load_dwordx4 v[13:16], v[5:6], off
	global_load_dwordx4 v[9:12], v[1:2], off offset:512
	global_load_dwordx4 v[5:8], v[1:2], off offset:1024
	;; [unrolled: 1-line block ×3, first 2 shown]
	ds_read_b128 v[68:71], v54
	s_waitcnt lgkmcnt(0)
	v_lshrrev_b32_e32 v72, 16, v68
	v_and_b32_e32 v68, 0xffff, v68
	;;#ASMSTART
	v_cvt_f32_f16 v68, v68;
	;;#ASMEND
	;;#ASMSTART
	v_cvt_f32_f16 v72, v72;
	;;#ASMEND
	s_waitcnt vmcnt(11)
	v_lshrrev_b32_e32 v74, 16, v64
	v_and_b32_e32 v64, 0xffff, v64
	;;#ASMSTART
	v_cvt_f32_f16 v73, v64;
	;;#ASMEND
	v_lshrrev_b32_e32 v64, 16, v69
	v_and_b32_e32 v69, 0xffff, v69
	;;#ASMSTART
	v_cvt_f32_f16 v74, v74;
	;;#ASMEND
	;;#ASMSTART
	v_cvt_f32_f16 v69, v69;
	;;#ASMEND
	;; [unrolled: 3-line block ×3, first 2 shown]
	v_lshrrev_b32_e32 v64, 16, v65
	v_and_b32_e32 v65, 0xffff, v65
	;;#ASMSTART
	v_cvt_f32_f16 v76, v65;
	;;#ASMEND
	;;#ASMSTART
	v_cvt_f32_f16 v77, v64;
	;;#ASMEND
	v_lshrrev_b32_e32 v64, 16, v70
	v_and_b32_e32 v65, 0xffff, v70
	;;#ASMSTART
	v_cvt_f32_f16 v70, v65;
	;;#ASMEND
	;;#ASMSTART
	v_cvt_f32_f16 v78, v64;
	;;#ASMEND
	;; [unrolled: 8-line block ×5, first 2 shown]
	ds_read_b128 v[64:67], v54 offset:16
	s_waitcnt vmcnt(10)
	v_lshrrev_b32_e32 v85, 16, v41
	v_and_b32_e32 v41, 0xffff, v41
	s_waitcnt lgkmcnt(0)
	v_lshrrev_b32_e32 v84, 16, v64
	v_and_b32_e32 v64, 0xffff, v64
	;;#ASMSTART
	v_cvt_f32_f16 v64, v64;
	;;#ASMEND
	;;#ASMSTART
	v_cvt_f32_f16 v84, v84;
	;;#ASMEND
	;; [unrolled: 3-line block ×3, first 2 shown]
	v_mul_f32_e32 v41, v64, v41
	;;#ASMSTART
	v_cvt_f32_f16 v85, v85;
	;;#ASMEND
	v_mul_f32_e32 v64, v84, v85
	v_fmac_f32_e32 v41, v68, v73
	v_lshrrev_b32_e32 v68, 16, v65
	v_and_b32_e32 v65, 0xffff, v65
	v_fmac_f32_e32 v64, v72, v74
	;;#ASMSTART
	v_cvt_f32_f16 v65, v65;
	;;#ASMEND
	v_lshrrev_b32_e32 v72, 16, v42
	v_and_b32_e32 v42, 0xffff, v42
	;;#ASMSTART
	v_cvt_f32_f16 v68, v68;
	;;#ASMEND
	;;#ASMSTART
	v_cvt_f32_f16 v42, v42;
	;;#ASMEND
	v_mul_f32_e32 v65, v65, v42
	;;#ASMSTART
	v_cvt_f32_f16 v72, v72;
	;;#ASMEND
	v_mul_f32_e32 v42, v68, v72
	v_lshrrev_b32_e32 v68, 16, v66
	v_and_b32_e32 v66, 0xffff, v66
	v_fmac_f32_e32 v65, v69, v76
	v_lshrrev_b32_e32 v69, 16, v43
	v_and_b32_e32 v43, 0xffff, v43
	;;#ASMSTART
	v_cvt_f32_f16 v66, v66;
	;;#ASMEND
	;;#ASMSTART
	v_cvt_f32_f16 v68, v68;
	;;#ASMEND
	;; [unrolled: 3-line block ×4, first 2 shown]
	v_mul_f32_e32 v66, v66, v43
	v_mul_f32_e32 v43, v68, v69
	v_lshrrev_b32_e32 v68, 16, v67
	v_and_b32_e32 v67, 0xffff, v67
	;;#ASMSTART
	v_cvt_f32_f16 v67, v67;
	;;#ASMEND
	v_lshrrev_b32_e32 v69, 16, v44
	v_and_b32_e32 v44, 0xffff, v44
	;;#ASMSTART
	v_cvt_f32_f16 v68, v68;
	;;#ASMEND
	;;#ASMSTART
	v_cvt_f32_f16 v44, v44;
	;;#ASMEND
	v_mul_f32_e32 v67, v67, v44
	;;#ASMSTART
	v_cvt_f32_f16 v69, v69;
	;;#ASMEND
	v_fmac_f32_e32 v66, v70, v79
	v_mul_f32_e32 v44, v68, v69
	v_fmac_f32_e32 v42, v75, v77
	v_fmac_f32_e32 v67, v71, v82
	ds_read_b128 v[68:71], v54 offset:32
	s_waitcnt vmcnt(9)
	v_lshrrev_b32_e32 v73, 16, v37
	v_and_b32_e32 v37, 0xffff, v37
	v_fmac_f32_e32 v43, v78, v80
	v_fmac_f32_e32 v44, v81, v83
	s_waitcnt lgkmcnt(0)
	v_lshrrev_b32_e32 v72, 16, v68
	v_and_b32_e32 v68, 0xffff, v68
	;;#ASMSTART
	v_cvt_f32_f16 v68, v68;
	;;#ASMEND
	;;#ASMSTART
	v_cvt_f32_f16 v72, v72;
	;;#ASMEND
	;; [unrolled: 3-line block ×3, first 2 shown]
	v_fmac_f32_e32 v41, v68, v37
	v_lshrrev_b32_e32 v68, 16, v69
	v_and_b32_e32 v37, 0xffff, v69
	v_lshrrev_b32_e32 v69, 16, v38
	v_and_b32_e32 v38, 0xffff, v38
	;;#ASMSTART
	v_cvt_f32_f16 v73, v73;
	;;#ASMEND
	;;#ASMSTART
	v_cvt_f32_f16 v37, v37;
	;;#ASMEND
	;; [unrolled: 3-line block ×5, first 2 shown]
	v_fmac_f32_e32 v65, v37, v38
	v_fmac_f32_e32 v42, v68, v69
	v_lshrrev_b32_e32 v38, 16, v70
	v_and_b32_e32 v37, 0xffff, v70
	v_lshrrev_b32_e32 v68, 16, v39
	v_and_b32_e32 v39, 0xffff, v39
	;;#ASMSTART
	v_cvt_f32_f16 v37, v37;
	;;#ASMEND
	;;#ASMSTART
	v_cvt_f32_f16 v38, v38;
	;;#ASMEND
	;;#ASMSTART
	v_cvt_f32_f16 v39, v39;
	;;#ASMEND
	;;#ASMSTART
	v_cvt_f32_f16 v68, v68;
	;;#ASMEND
	v_fmac_f32_e32 v66, v37, v39
	v_fmac_f32_e32 v43, v38, v68
	v_lshrrev_b32_e32 v38, 16, v71
	v_and_b32_e32 v37, 0xffff, v71
	v_and_b32_e32 v39, 0xffff, v40
	;;#ASMSTART
	v_cvt_f32_f16 v37, v37;
	;;#ASMEND
	;;#ASMSTART
	v_cvt_f32_f16 v38, v38;
	;;#ASMEND
	v_lshrrev_b32_e32 v68, 16, v40
	;;#ASMSTART
	v_cvt_f32_f16 v39, v39;
	;;#ASMEND
	;;#ASMSTART
	v_cvt_f32_f16 v40, v68;
	;;#ASMEND
	v_fmac_f32_e32 v67, v37, v39
	v_fmac_f32_e32 v44, v38, v40
	ds_read_b128 v[37:40], v54 offset:48
	s_waitcnt vmcnt(8)
	v_lshrrev_b32_e32 v69, 16, v33
	v_and_b32_e32 v33, 0xffff, v33
	v_fmac_f32_e32 v64, v72, v73
	s_waitcnt lgkmcnt(0)
	v_lshrrev_b32_e32 v68, 16, v37
	v_and_b32_e32 v37, 0xffff, v37
	;;#ASMSTART
	v_cvt_f32_f16 v37, v37;
	;;#ASMEND
	;;#ASMSTART
	v_cvt_f32_f16 v68, v68;
	;;#ASMEND
	;; [unrolled: 3-line block ×3, first 2 shown]
	v_fmac_f32_e32 v41, v37, v33
	v_lshrrev_b32_e32 v37, 16, v38
	v_and_b32_e32 v33, 0xffff, v38
	v_lshrrev_b32_e32 v38, 16, v34
	v_and_b32_e32 v34, 0xffff, v34
	;;#ASMSTART
	v_cvt_f32_f16 v69, v69;
	;;#ASMEND
	;;#ASMSTART
	v_cvt_f32_f16 v33, v33;
	;;#ASMEND
	;; [unrolled: 3-line block ×5, first 2 shown]
	v_fmac_f32_e32 v65, v33, v34
	v_fmac_f32_e32 v42, v37, v38
	v_lshrrev_b32_e32 v34, 16, v39
	v_and_b32_e32 v33, 0xffff, v39
	v_lshrrev_b32_e32 v37, 16, v35
	v_and_b32_e32 v35, 0xffff, v35
	;;#ASMSTART
	v_cvt_f32_f16 v33, v33;
	;;#ASMEND
	;;#ASMSTART
	v_cvt_f32_f16 v34, v34;
	;;#ASMEND
	;; [unrolled: 3-line block ×4, first 2 shown]
	v_fmac_f32_e32 v66, v33, v35
	v_fmac_f32_e32 v43, v34, v37
	v_lshrrev_b32_e32 v34, 16, v40
	v_and_b32_e32 v33, 0xffff, v40
	v_and_b32_e32 v35, 0xffff, v36
	;;#ASMSTART
	v_cvt_f32_f16 v33, v33;
	;;#ASMEND
	;;#ASMSTART
	v_cvt_f32_f16 v34, v34;
	;;#ASMEND
	v_lshrrev_b32_e32 v37, 16, v36
	;;#ASMSTART
	v_cvt_f32_f16 v35, v35;
	;;#ASMEND
	;;#ASMSTART
	v_cvt_f32_f16 v36, v37;
	;;#ASMEND
	v_fmac_f32_e32 v67, v33, v35
	v_fmac_f32_e32 v44, v34, v36
	ds_read_b128 v[33:36], v54 offset:64
	s_waitcnt vmcnt(7)
	v_lshrrev_b32_e32 v38, 16, v29
	v_and_b32_e32 v29, 0xffff, v29
	v_fmac_f32_e32 v64, v68, v69
	s_waitcnt lgkmcnt(0)
	v_lshrrev_b32_e32 v37, 16, v33
	v_and_b32_e32 v33, 0xffff, v33
	;;#ASMSTART
	v_cvt_f32_f16 v33, v33;
	;;#ASMEND
	;;#ASMSTART
	v_cvt_f32_f16 v37, v37;
	;;#ASMEND
	;; [unrolled: 3-line block ×3, first 2 shown]
	v_fmac_f32_e32 v41, v33, v29
	v_lshrrev_b32_e32 v33, 16, v34
	v_and_b32_e32 v29, 0xffff, v34
	v_lshrrev_b32_e32 v34, 16, v30
	v_and_b32_e32 v30, 0xffff, v30
	;;#ASMSTART
	v_cvt_f32_f16 v38, v38;
	;;#ASMEND
	;;#ASMSTART
	v_cvt_f32_f16 v29, v29;
	;;#ASMEND
	;; [unrolled: 3-line block ×5, first 2 shown]
	v_fmac_f32_e32 v65, v29, v30
	v_fmac_f32_e32 v42, v33, v34
	v_lshrrev_b32_e32 v30, 16, v35
	v_and_b32_e32 v29, 0xffff, v35
	v_lshrrev_b32_e32 v33, 16, v31
	v_and_b32_e32 v31, 0xffff, v31
	;;#ASMSTART
	v_cvt_f32_f16 v29, v29;
	;;#ASMEND
	;;#ASMSTART
	v_cvt_f32_f16 v30, v30;
	;;#ASMEND
	;;#ASMSTART
	v_cvt_f32_f16 v31, v31;
	;;#ASMEND
	;;#ASMSTART
	v_cvt_f32_f16 v33, v33;
	;;#ASMEND
	v_fmac_f32_e32 v66, v29, v31
	v_fmac_f32_e32 v43, v30, v33
	v_lshrrev_b32_e32 v30, 16, v36
	v_and_b32_e32 v29, 0xffff, v36
	v_and_b32_e32 v31, 0xffff, v32
	;;#ASMSTART
	v_cvt_f32_f16 v29, v29;
	;;#ASMEND
	;;#ASMSTART
	v_cvt_f32_f16 v30, v30;
	;;#ASMEND
	v_lshrrev_b32_e32 v33, 16, v32
	;;#ASMSTART
	v_cvt_f32_f16 v31, v31;
	;;#ASMEND
	;;#ASMSTART
	v_cvt_f32_f16 v32, v33;
	;;#ASMEND
	v_fmac_f32_e32 v67, v29, v31
	v_fmac_f32_e32 v44, v30, v32
	ds_read_b128 v[29:32], v54 offset:80
	s_waitcnt vmcnt(6)
	v_lshrrev_b32_e32 v34, 16, v25
	v_and_b32_e32 v25, 0xffff, v25
	v_fmac_f32_e32 v64, v37, v38
	s_waitcnt lgkmcnt(0)
	v_lshrrev_b32_e32 v33, 16, v29
	v_and_b32_e32 v29, 0xffff, v29
	;;#ASMSTART
	v_cvt_f32_f16 v29, v29;
	;;#ASMEND
	;;#ASMSTART
	v_cvt_f32_f16 v33, v33;
	;;#ASMEND
	;;#ASMSTART
	v_cvt_f32_f16 v25, v25;
	;;#ASMEND
	v_fmac_f32_e32 v41, v29, v25
	v_lshrrev_b32_e32 v29, 16, v30
	v_and_b32_e32 v25, 0xffff, v30
	v_lshrrev_b32_e32 v30, 16, v26
	v_and_b32_e32 v26, 0xffff, v26
	;;#ASMSTART
	v_cvt_f32_f16 v34, v34;
	;;#ASMEND
	;;#ASMSTART
	v_cvt_f32_f16 v25, v25;
	;;#ASMEND
	;; [unrolled: 3-line block ×5, first 2 shown]
	v_fmac_f32_e32 v65, v25, v26
	v_fmac_f32_e32 v42, v29, v30
	v_lshrrev_b32_e32 v26, 16, v31
	v_and_b32_e32 v25, 0xffff, v31
	v_lshrrev_b32_e32 v29, 16, v27
	v_and_b32_e32 v27, 0xffff, v27
	;;#ASMSTART
	v_cvt_f32_f16 v25, v25;
	;;#ASMEND
	;;#ASMSTART
	v_cvt_f32_f16 v26, v26;
	;;#ASMEND
	;; [unrolled: 3-line block ×4, first 2 shown]
	v_fmac_f32_e32 v66, v25, v27
	v_fmac_f32_e32 v43, v26, v29
	v_lshrrev_b32_e32 v26, 16, v32
	v_and_b32_e32 v25, 0xffff, v32
	v_and_b32_e32 v27, 0xffff, v28
	;;#ASMSTART
	v_cvt_f32_f16 v25, v25;
	;;#ASMEND
	;;#ASMSTART
	v_cvt_f32_f16 v26, v26;
	;;#ASMEND
	v_lshrrev_b32_e32 v29, 16, v28
	;;#ASMSTART
	v_cvt_f32_f16 v27, v27;
	;;#ASMEND
	;;#ASMSTART
	v_cvt_f32_f16 v28, v29;
	;;#ASMEND
	v_fmac_f32_e32 v67, v25, v27
	v_fmac_f32_e32 v44, v26, v28
	ds_read_b128 v[25:28], v54 offset:96
	s_waitcnt vmcnt(5)
	v_lshrrev_b32_e32 v30, 16, v21
	v_and_b32_e32 v21, 0xffff, v21
	v_fmac_f32_e32 v64, v33, v34
	s_waitcnt lgkmcnt(0)
	v_lshrrev_b32_e32 v29, 16, v25
	v_and_b32_e32 v25, 0xffff, v25
	;;#ASMSTART
	v_cvt_f32_f16 v25, v25;
	;;#ASMEND
	;;#ASMSTART
	v_cvt_f32_f16 v29, v29;
	;;#ASMEND
	;; [unrolled: 3-line block ×3, first 2 shown]
	v_fmac_f32_e32 v41, v25, v21
	v_lshrrev_b32_e32 v25, 16, v26
	v_and_b32_e32 v21, 0xffff, v26
	v_lshrrev_b32_e32 v26, 16, v22
	v_and_b32_e32 v22, 0xffff, v22
	;;#ASMSTART
	v_cvt_f32_f16 v30, v30;
	;;#ASMEND
	;;#ASMSTART
	v_cvt_f32_f16 v21, v21;
	;;#ASMEND
	;; [unrolled: 3-line block ×5, first 2 shown]
	v_fmac_f32_e32 v65, v21, v22
	v_fmac_f32_e32 v42, v25, v26
	v_lshrrev_b32_e32 v22, 16, v27
	v_and_b32_e32 v21, 0xffff, v27
	v_lshrrev_b32_e32 v25, 16, v23
	v_and_b32_e32 v23, 0xffff, v23
	;;#ASMSTART
	v_cvt_f32_f16 v21, v21;
	;;#ASMEND
	;;#ASMSTART
	v_cvt_f32_f16 v22, v22;
	;;#ASMEND
	;; [unrolled: 3-line block ×4, first 2 shown]
	v_fmac_f32_e32 v66, v21, v23
	v_fmac_f32_e32 v43, v22, v25
	v_lshrrev_b32_e32 v22, 16, v28
	v_and_b32_e32 v21, 0xffff, v28
	v_and_b32_e32 v23, 0xffff, v24
	;;#ASMSTART
	v_cvt_f32_f16 v21, v21;
	;;#ASMEND
	;;#ASMSTART
	v_cvt_f32_f16 v22, v22;
	;;#ASMEND
	v_lshrrev_b32_e32 v25, 16, v24
	;;#ASMSTART
	v_cvt_f32_f16 v23, v23;
	;;#ASMEND
	;;#ASMSTART
	v_cvt_f32_f16 v24, v25;
	;;#ASMEND
	v_fmac_f32_e32 v67, v21, v23
	v_fmac_f32_e32 v44, v22, v24
	ds_read_b128 v[21:24], v54 offset:112
	s_waitcnt vmcnt(4)
	v_lshrrev_b32_e32 v26, 16, v17
	v_and_b32_e32 v17, 0xffff, v17
	v_fmac_f32_e32 v64, v29, v30
	s_waitcnt lgkmcnt(0)
	v_lshrrev_b32_e32 v25, 16, v21
	v_and_b32_e32 v21, 0xffff, v21
	;;#ASMSTART
	v_cvt_f32_f16 v21, v21;
	;;#ASMEND
	;;#ASMSTART
	v_cvt_f32_f16 v25, v25;
	;;#ASMEND
	;; [unrolled: 3-line block ×3, first 2 shown]
	v_fmac_f32_e32 v41, v21, v17
	v_lshrrev_b32_e32 v21, 16, v22
	v_and_b32_e32 v17, 0xffff, v22
	v_lshrrev_b32_e32 v22, 16, v18
	v_and_b32_e32 v18, 0xffff, v18
	;;#ASMSTART
	v_cvt_f32_f16 v26, v26;
	;;#ASMEND
	;;#ASMSTART
	v_cvt_f32_f16 v17, v17;
	;;#ASMEND
	;; [unrolled: 3-line block ×5, first 2 shown]
	v_fmac_f32_e32 v65, v17, v18
	v_fmac_f32_e32 v42, v21, v22
	v_lshrrev_b32_e32 v18, 16, v23
	v_and_b32_e32 v17, 0xffff, v23
	v_lshrrev_b32_e32 v21, 16, v19
	v_and_b32_e32 v19, 0xffff, v19
	;;#ASMSTART
	v_cvt_f32_f16 v17, v17;
	;;#ASMEND
	;;#ASMSTART
	v_cvt_f32_f16 v18, v18;
	;;#ASMEND
	;; [unrolled: 3-line block ×4, first 2 shown]
	v_fmac_f32_e32 v66, v17, v19
	v_fmac_f32_e32 v43, v18, v21
	v_lshrrev_b32_e32 v18, 16, v24
	v_and_b32_e32 v17, 0xffff, v24
	v_and_b32_e32 v19, 0xffff, v20
	;;#ASMSTART
	v_cvt_f32_f16 v17, v17;
	;;#ASMEND
	;;#ASMSTART
	v_cvt_f32_f16 v18, v18;
	;;#ASMEND
	v_lshrrev_b32_e32 v21, 16, v20
	;;#ASMSTART
	v_cvt_f32_f16 v19, v19;
	;;#ASMEND
	;;#ASMSTART
	v_cvt_f32_f16 v20, v21;
	;;#ASMEND
	v_fmac_f32_e32 v67, v17, v19
	v_fmac_f32_e32 v44, v18, v20
	ds_read_b128 v[17:20], v54 offset:128
	s_waitcnt vmcnt(3)
	v_lshrrev_b32_e32 v22, 16, v13
	v_and_b32_e32 v13, 0xffff, v13
	v_fmac_f32_e32 v64, v25, v26
	s_waitcnt lgkmcnt(0)
	v_lshrrev_b32_e32 v21, 16, v17
	v_and_b32_e32 v17, 0xffff, v17
	;;#ASMSTART
	v_cvt_f32_f16 v17, v17;
	;;#ASMEND
	;;#ASMSTART
	v_cvt_f32_f16 v21, v21;
	;;#ASMEND
	;; [unrolled: 3-line block ×3, first 2 shown]
	v_fmac_f32_e32 v41, v17, v13
	v_lshrrev_b32_e32 v17, 16, v18
	v_and_b32_e32 v13, 0xffff, v18
	v_lshrrev_b32_e32 v18, 16, v14
	v_and_b32_e32 v14, 0xffff, v14
	;;#ASMSTART
	v_cvt_f32_f16 v22, v22;
	;;#ASMEND
	;;#ASMSTART
	v_cvt_f32_f16 v13, v13;
	;;#ASMEND
	;; [unrolled: 3-line block ×5, first 2 shown]
	v_fmac_f32_e32 v65, v13, v14
	v_fmac_f32_e32 v42, v17, v18
	v_lshrrev_b32_e32 v14, 16, v19
	v_and_b32_e32 v13, 0xffff, v19
	v_lshrrev_b32_e32 v17, 16, v15
	v_and_b32_e32 v15, 0xffff, v15
	;;#ASMSTART
	v_cvt_f32_f16 v13, v13;
	;;#ASMEND
	;;#ASMSTART
	v_cvt_f32_f16 v14, v14;
	;;#ASMEND
	;; [unrolled: 3-line block ×4, first 2 shown]
	v_fmac_f32_e32 v66, v13, v15
	v_fmac_f32_e32 v43, v14, v17
	v_lshrrev_b32_e32 v14, 16, v20
	v_and_b32_e32 v13, 0xffff, v20
	v_and_b32_e32 v15, 0xffff, v16
	;;#ASMSTART
	v_cvt_f32_f16 v13, v13;
	;;#ASMEND
	;;#ASMSTART
	v_cvt_f32_f16 v14, v14;
	;;#ASMEND
	v_lshrrev_b32_e32 v17, 16, v16
	;;#ASMSTART
	v_cvt_f32_f16 v15, v15;
	;;#ASMEND
	;;#ASMSTART
	v_cvt_f32_f16 v16, v17;
	;;#ASMEND
	v_fmac_f32_e32 v67, v13, v15
	v_fmac_f32_e32 v44, v14, v16
	ds_read_b128 v[13:16], v54 offset:144
	s_waitcnt vmcnt(2)
	v_lshrrev_b32_e32 v18, 16, v9
	v_and_b32_e32 v9, 0xffff, v9
	v_fmac_f32_e32 v64, v21, v22
	s_waitcnt lgkmcnt(0)
	v_lshrrev_b32_e32 v17, 16, v13
	v_and_b32_e32 v13, 0xffff, v13
	;;#ASMSTART
	v_cvt_f32_f16 v13, v13;
	;;#ASMEND
	;;#ASMSTART
	v_cvt_f32_f16 v17, v17;
	;;#ASMEND
	;; [unrolled: 3-line block ×3, first 2 shown]
	v_fmac_f32_e32 v41, v13, v9
	v_lshrrev_b32_e32 v13, 16, v14
	v_and_b32_e32 v9, 0xffff, v14
	v_lshrrev_b32_e32 v14, 16, v10
	v_and_b32_e32 v10, 0xffff, v10
	;;#ASMSTART
	v_cvt_f32_f16 v18, v18;
	;;#ASMEND
	;;#ASMSTART
	v_cvt_f32_f16 v9, v9;
	;;#ASMEND
	;; [unrolled: 3-line block ×5, first 2 shown]
	v_fmac_f32_e32 v65, v9, v10
	v_fmac_f32_e32 v42, v13, v14
	v_lshrrev_b32_e32 v10, 16, v15
	v_and_b32_e32 v9, 0xffff, v15
	v_lshrrev_b32_e32 v13, 16, v11
	v_and_b32_e32 v11, 0xffff, v11
	;;#ASMSTART
	v_cvt_f32_f16 v9, v9;
	;;#ASMEND
	;;#ASMSTART
	v_cvt_f32_f16 v10, v10;
	;;#ASMEND
	;; [unrolled: 3-line block ×4, first 2 shown]
	v_fmac_f32_e32 v66, v9, v11
	v_fmac_f32_e32 v43, v10, v13
	v_lshrrev_b32_e32 v10, 16, v16
	v_and_b32_e32 v9, 0xffff, v16
	v_and_b32_e32 v11, 0xffff, v12
	;;#ASMSTART
	v_cvt_f32_f16 v9, v9;
	;;#ASMEND
	;;#ASMSTART
	v_cvt_f32_f16 v10, v10;
	;;#ASMEND
	v_lshrrev_b32_e32 v13, 16, v12
	;;#ASMSTART
	v_cvt_f32_f16 v11, v11;
	;;#ASMEND
	;;#ASMSTART
	v_cvt_f32_f16 v12, v13;
	;;#ASMEND
	v_fmac_f32_e32 v67, v9, v11
	v_fmac_f32_e32 v44, v10, v12
	ds_read_b128 v[9:12], v54 offset:160
	s_waitcnt vmcnt(1)
	v_lshrrev_b32_e32 v14, 16, v5
	v_and_b32_e32 v5, 0xffff, v5
	v_fmac_f32_e32 v64, v17, v18
	s_waitcnt lgkmcnt(0)
	v_lshrrev_b32_e32 v13, 16, v9
	v_and_b32_e32 v9, 0xffff, v9
	;;#ASMSTART
	v_cvt_f32_f16 v9, v9;
	;;#ASMEND
	;;#ASMSTART
	v_cvt_f32_f16 v13, v13;
	;;#ASMEND
	;; [unrolled: 3-line block ×3, first 2 shown]
	v_fmac_f32_e32 v41, v9, v5
	v_lshrrev_b32_e32 v9, 16, v10
	v_and_b32_e32 v5, 0xffff, v10
	v_lshrrev_b32_e32 v10, 16, v6
	v_and_b32_e32 v6, 0xffff, v6
	;;#ASMSTART
	v_cvt_f32_f16 v14, v14;
	;;#ASMEND
	;;#ASMSTART
	v_cvt_f32_f16 v5, v5;
	;;#ASMEND
	;; [unrolled: 3-line block ×5, first 2 shown]
	v_fmac_f32_e32 v65, v5, v6
	v_fmac_f32_e32 v42, v9, v10
	v_lshrrev_b32_e32 v6, 16, v11
	v_and_b32_e32 v5, 0xffff, v11
	v_lshrrev_b32_e32 v9, 16, v7
	v_and_b32_e32 v7, 0xffff, v7
	;;#ASMSTART
	v_cvt_f32_f16 v5, v5;
	;;#ASMEND
	;;#ASMSTART
	v_cvt_f32_f16 v6, v6;
	;;#ASMEND
	;; [unrolled: 3-line block ×4, first 2 shown]
	v_fmac_f32_e32 v66, v5, v7
	v_fmac_f32_e32 v43, v6, v9
	v_lshrrev_b32_e32 v6, 16, v12
	v_and_b32_e32 v5, 0xffff, v12
	v_and_b32_e32 v7, 0xffff, v8
	;;#ASMSTART
	v_cvt_f32_f16 v5, v5;
	;;#ASMEND
	;;#ASMSTART
	v_cvt_f32_f16 v6, v6;
	;;#ASMEND
	v_lshrrev_b32_e32 v9, 16, v8
	;;#ASMSTART
	v_cvt_f32_f16 v7, v7;
	;;#ASMEND
	;;#ASMSTART
	v_cvt_f32_f16 v8, v9;
	;;#ASMEND
	v_fmac_f32_e32 v67, v5, v7
	v_fmac_f32_e32 v44, v6, v8
	ds_read_b128 v[5:8], v54 offset:176
	v_fmac_f32_e32 v64, v13, v14
	s_waitcnt vmcnt(0)
	v_lshrrev_b32_e32 v10, 16, v1
	v_and_b32_e32 v1, 0xffff, v1
	s_waitcnt lgkmcnt(0)
	v_lshrrev_b32_e32 v9, 16, v5
	v_and_b32_e32 v5, 0xffff, v5
	;;#ASMSTART
	v_cvt_f32_f16 v5, v5;
	;;#ASMEND
	;;#ASMSTART
	v_cvt_f32_f16 v9, v9;
	;;#ASMEND
	;;#ASMSTART
	v_cvt_f32_f16 v1, v1;
	;;#ASMEND
	v_fmac_f32_e32 v41, v5, v1
	v_and_b32_e32 v1, 0xffff, v6
	;;#ASMSTART
	v_cvt_f32_f16 v10, v10;
	;;#ASMEND
	v_fmac_f32_e32 v64, v9, v10
	v_lshrrev_b32_e32 v5, 16, v6
	;;#ASMSTART
	v_cvt_f32_f16 v1, v1;
	;;#ASMEND
	v_lshrrev_b32_e32 v6, 16, v2
	v_and_b32_e32 v2, 0xffff, v2
	;;#ASMSTART
	v_cvt_f32_f16 v5, v5;
	;;#ASMEND
	;;#ASMSTART
	v_cvt_f32_f16 v2, v2;
	;;#ASMEND
	v_fmac_f32_e32 v65, v1, v2
	v_and_b32_e32 v1, 0xffff, v7
	;;#ASMSTART
	v_cvt_f32_f16 v6, v6;
	;;#ASMEND
	v_fmac_f32_e32 v42, v5, v6
	v_lshrrev_b32_e32 v2, 16, v7
	;;#ASMSTART
	v_cvt_f32_f16 v1, v1;
	;;#ASMEND
	v_lshrrev_b32_e32 v5, 16, v3
	v_and_b32_e32 v3, 0xffff, v3
	;;#ASMSTART
	v_cvt_f32_f16 v2, v2;
	;;#ASMEND
	;;#ASMSTART
	v_cvt_f32_f16 v3, v3;
	;;#ASMEND
	v_fmac_f32_e32 v66, v1, v3
	v_and_b32_e32 v1, 0xffff, v8
	;;#ASMSTART
	v_cvt_f32_f16 v5, v5;
	;;#ASMEND
	v_fmac_f32_e32 v43, v2, v5
	v_lshrrev_b32_e32 v2, 16, v8
	;;#ASMSTART
	v_cvt_f32_f16 v1, v1;
	;;#ASMEND
	v_and_b32_e32 v3, 0xffff, v4
	;;#ASMSTART
	v_cvt_f32_f16 v2, v2;
	;;#ASMEND
	;;#ASMSTART
	v_cvt_f32_f16 v3, v3;
	;;#ASMEND
	v_fmac_f32_e32 v67, v1, v3
	v_add_f32_e32 v1, v41, v64
	v_lshrrev_b32_e32 v5, 16, v4
	;;#ASMSTART
	v_cvt_f32_f16 v4, v5;
	;;#ASMEND
	v_fmac_f32_e32 v44, v2, v4
	v_add_f32_e32 v1, v1, v65
	v_add_f32_e32 v1, v42, v1
	;; [unrolled: 1-line block ×6, first 2 shown]
	v_fmac_f32_e32 v63, s3, v1
	v_cndmask_b32_e64 v1, 0, v63, s1
	ds_write_b32 v58, v1
	v_max_f32_e32 v1, v53, v53
	v_max_f32_e32 v1, v1, v63
	v_cndmask_b32_e64 v53, v53, v1, s1
	s_branch .LBB93_10
.LBB93_15:
	s_or_b32 exec_lo, exec_lo, s15
.LBB93_16:
	s_or_b32 exec_lo, exec_lo, s33
	v_mbcnt_lo_u32_b32 v2, -1, 0
	v_max_f32_e32 v5, v53, v53
	v_xor_b32_e32 v1, 16, v2
	v_xor_b32_e32 v4, 8, v2
	v_cmp_gt_i32_e32 vcc_lo, 32, v1
	v_cndmask_b32_e32 v1, v2, v1, vcc_lo
	v_cmp_gt_i32_e32 vcc_lo, 32, v4
	v_lshlrev_b32_e32 v1, 2, v1
	v_cndmask_b32_e32 v4, v2, v4, vcc_lo
	ds_bpermute_b32 v3, v1, v53
	s_waitcnt lgkmcnt(0)
	v_max_f32_e32 v6, v3, v3
	v_lshlrev_b32_e32 v3, 2, v4
	v_max_f32_e32 v5, v5, v6
	v_xor_b32_e32 v6, 4, v2
	ds_bpermute_b32 v4, v3, v5
	v_cmp_gt_i32_e32 vcc_lo, 32, v6
	v_cndmask_b32_e32 v6, v2, v6, vcc_lo
	s_waitcnt lgkmcnt(0)
	v_max_f32_e32 v7, v4, v4
	v_lshlrev_b32_e32 v4, 2, v6
	v_max_f32_e32 v5, v5, v7
	v_xor_b32_e32 v7, 2, v2
	ds_bpermute_b32 v6, v4, v5
	v_cmp_gt_i32_e32 vcc_lo, 32, v7
	v_cndmask_b32_e32 v7, v2, v7, vcc_lo
	v_lshlrev_b32_e32 v12, 2, v7
	v_xor_b32_e32 v7, 1, v2
	v_cmp_gt_i32_e32 vcc_lo, 32, v7
	s_waitcnt lgkmcnt(0)
	v_max_f32_e32 v6, v6, v6
	v_cndmask_b32_e32 v7, v2, v7, vcc_lo
	v_cmp_eq_u32_e32 vcc_lo, 0, v48
	v_max_f32_e32 v5, v5, v6
	v_lshlrev_b32_e32 v11, 2, v7
	ds_bpermute_b32 v6, v12, v5
	s_waitcnt lgkmcnt(0)
	v_max_f32_e32 v6, v6, v6
	v_max_f32_e32 v2, v5, v6
	v_lshlrev_b32_e32 v5, 2, v47
	ds_bpermute_b32 v6, v11, v2
	s_and_saveexec_b32 s1, vcc_lo
	s_cbranch_execz .LBB93_18
; %bb.17:
	s_waitcnt lgkmcnt(0)
	v_max_f32_e32 v6, v6, v6
	v_max_f32_e32 v2, v2, v2
	;; [unrolled: 1-line block ×3, first 2 shown]
	ds_write_b32 v5, v2 offset:192
.LBB93_18:
	s_or_b32 exec_lo, exec_lo, s1
	v_cmp_gt_u32_e64 s1, 4, v48
	v_mov_b32_e32 v2, 0xff7fffff
	s_waitcnt lgkmcnt(0)
	s_barrier
	buffer_gl0_inv
	s_and_saveexec_b32 s2, s1
; %bb.19:
	ds_read_b32 v2, v52 offset:192
; %bb.20:
	s_or_b32 exec_lo, exec_lo, s2
	s_waitcnt lgkmcnt(0)
	ds_bpermute_b32 v6, v12, v2
	v_max_f32_e32 v2, v2, v2
	s_lshl_b32 s2, s16, 5
	s_min_i32 s4, s2, s28
	v_cmp_gt_i32_e64 s2, s4, v0
	s_waitcnt lgkmcnt(0)
	v_max_f32_e32 v6, v6, v6
	v_max_f32_e32 v2, v2, v6
	ds_bpermute_b32 v6, v11, v2
	s_waitcnt lgkmcnt(0)
	v_max_f32_e32 v6, v6, v6
	v_max_f32_e32 v2, v2, v6
	v_mov_b32_e32 v6, 0
	ds_bpermute_b32 v7, v6, v2
	v_lshl_add_u32 v2, v0, 2, 0xe0
	s_and_saveexec_b32 s5, s2
	s_cbranch_execz .LBB93_24
; %bb.21:
	v_lshl_add_u32 v8, v0, 2, 0xe0
	v_mov_b32_e32 v6, 0
	v_mov_b32_e32 v9, v0
	s_mov_b32 s15, 0
	.p2align	6
.LBB93_22:                              ; =>This Inner Loop Header: Depth=1
	ds_read_b32 v10, v8
	v_add_nc_u32_e32 v9, 0x80, v9
	v_cmp_le_i32_e64 s3, s4, v9
	s_or_b32 s15, s3, s15
	s_waitcnt lgkmcnt(0)
	v_sub_f32_e32 v10, v10, v7
	v_mul_f32_e32 v10, 0x3fb8aa3b, v10
	v_exp_f32_e32 v10, v10
	ds_write_b32 v8, v10
	v_add_f32_e32 v6, v6, v10
	v_add_nc_u32_e32 v8, 0x200, v8
	s_andn2_b32 exec_lo, exec_lo, s15
	s_cbranch_execnz .LBB93_22
; %bb.23:
	s_or_b32 exec_lo, exec_lo, s15
.LBB93_24:
	s_or_b32 exec_lo, exec_lo, s5
	ds_bpermute_b32 v1, v1, v6
	s_waitcnt lgkmcnt(0)
	v_add_f32_e32 v1, v6, v1
	ds_bpermute_b32 v3, v3, v1
	s_waitcnt lgkmcnt(0)
	v_add_f32_e32 v1, v1, v3
	;; [unrolled: 3-line block ×5, first 2 shown]
	s_and_saveexec_b32 s3, vcc_lo
; %bb.25:
	ds_write_b32 v5, v1 offset:208
; %bb.26:
	s_or_b32 exec_lo, exec_lo, s3
	s_waitcnt lgkmcnt(0)
	s_barrier
	buffer_gl0_inv
	s_and_saveexec_b32 s3, s1
; %bb.27:
	ds_read_b32 v1, v52 offset:208
; %bb.28:
	s_or_b32 exec_lo, exec_lo, s3
	s_waitcnt lgkmcnt(0)
	ds_bpermute_b32 v3, v12, v1
	s_waitcnt lgkmcnt(0)
	v_add_f32_e32 v1, v1, v3
	ds_bpermute_b32 v3, v11, v1
	s_waitcnt lgkmcnt(0)
	v_add_f32_e32 v1, v1, v3
	v_mov_b32_e32 v3, 0
	ds_bpermute_b32 v1, v3, v1
	s_and_saveexec_b32 s1, s2
	s_cbranch_execz .LBB93_31
; %bb.29:
	s_waitcnt lgkmcnt(0)
	v_add_f32_e32 v1, 0x358637bd, v1
	s_mov_b32 s2, 0
	v_div_scale_f32 v3, null, v1, v1, 1.0
	v_div_scale_f32 v6, vcc_lo, 1.0, v1, 1.0
	v_rcp_f32_e32 v4, v3
	v_fma_f32 v5, -v3, v4, 1.0
	v_fmac_f32_e32 v4, v5, v4
	v_mul_f32_e32 v5, v6, v4
	v_fma_f32 v7, -v3, v5, v6
	v_fmac_f32_e32 v5, v7, v4
	v_fma_f32 v3, -v3, v5, v6
	v_div_fmas_f32 v3, v3, v4, v5
	v_div_fixup_f32 v1, v3, v1, 1.0
	v_mov_b32_e32 v3, v0
.LBB93_30:                              ; =>This Inner Loop Header: Depth=1
	ds_read_b32 v4, v2
	v_add_nc_u32_e32 v3, 0x80, v3
	v_cmp_le_i32_e32 vcc_lo, s4, v3
	s_or_b32 s2, vcc_lo, s2
	s_waitcnt lgkmcnt(0)
	v_mul_f32_e32 v4, v1, v4
	ds_write_b32 v2, v4
	v_add_nc_u32_e32 v2, 0x200, v2
	s_andn2_b32 exec_lo, exec_lo, s2
	s_cbranch_execnz .LBB93_30
.LBB93_31:
	s_or_b32 exec_lo, exec_lo, s1
	v_mov_b32_e32 v24, 0
	v_and_b32_e32 v13, 3, v0
	v_mov_b32_e32 v25, 0
	v_mov_b32_e32 v23, 0
	;; [unrolled: 1-line block ×11, first 2 shown]
	s_waitcnt lgkmcnt(0)
	s_barrier
	buffer_gl0_inv
	s_and_saveexec_b32 s2, s0
	s_cbranch_execz .LBB93_61
; %bb.32:
	s_ashr_i32 s15, s14, 31
	s_sub_i32 s3, s30, s17
	s_lshl_b64 s[0:1], s[14:15], 1
	v_lshlrev_b32_e32 v2, 3, v0
	s_add_u32 s14, s26, s0
	s_addc_u32 s15, s27, s1
	s_abs_i32 s4, s18
	v_lshlrev_b32_e32 v5, 5, v13
	v_cvt_f32_u32_e32 v1, s4
	s_sub_i32 s0, 0, s4
	v_and_b32_e32 v27, 24, v2
	v_and_b32_e32 v3, 0x1f0, v50
	;; [unrolled: 1-line block ×3, first 2 shown]
	v_rcp_iflag_f32_e32 v1, v1
	v_lshl_or_b32 v5, v47, 7, v5
	s_add_i32 s5, s16, -1
	v_add_co_u32 v28, s14, s14, v3
	v_mov_b32_e32 v26, 0
	v_add_nc_u32_e32 v30, 0xe0, v5
	v_mov_b32_e32 v14, 0
	v_mov_b32_e32 v15, 0
	;; [unrolled: 1-line block ×3, first 2 shown]
	v_mul_f32_e32 v1, 0x4f7ffffe, v1
	v_mov_b32_e32 v17, 0
	v_mov_b32_e32 v18, 0
	;; [unrolled: 1-line block ×4, first 2 shown]
	v_cvt_u32_f32_e32 v1, v1
	v_mov_b32_e32 v21, 0
	v_mov_b32_e32 v22, 0
	;; [unrolled: 1-line block ×4, first 2 shown]
	v_mul_lo_u32 v2, s0, v1
	s_lshl_b64 s[0:1], s[24:25], 2
	v_mov_b32_e32 v24, 0
	s_add_u32 s0, s22, s0
	s_addc_u32 s1, s23, s1
	v_add_co_u32 v5, s0, s0, v4
	v_add_co_ci_u32_e64 v29, null, s15, 0, s14
	v_mul_hi_u32 v2, v1, v2
	v_add_co_ci_u32_e64 v6, null, s1, 0, s0
	v_mov_b32_e32 v32, v47
	s_mov_b32 s14, s13
	s_mov_b32 s13, 0
	v_add_nc_u32_e32 v31, v1, v2
	s_branch .LBB93_35
.LBB93_33:                              ;   in Loop: Header=BB93_35 Depth=1
	s_or_b32 exec_lo, exec_lo, s1
	v_add_f32_e32 v9, v9, v10
	v_add_f32_e32 v10, v60, v61
	v_lshlrev_b32_e32 v8, 16, v8
	v_lshlrev_b32_e32 v7, 16, v7
	v_add_f32_e32 v33, v67, v68
	v_add_f32_e32 v34, v64, v65
	;; [unrolled: 1-line block ×3, first 2 shown]
	v_lshlrev_b32_e32 v10, 16, v66
	v_and_or_b32 v2, 0xffff, v2, v8
	v_and_or_b32 v3, 0xffff, v3, v7
	v_add_f32_e32 v35, v62, v63
	v_add_f32_e32 v15, v15, v33
	v_and_or_b32 v1, 0xffff, v1, v10
	;;#ASMSTART
	v_pk_mul_f16 v1, v41, v1;

	;;#ASMEND
	;;#ASMSTART
	v_pk_mul_f16 v2, v39, v2;

	;;#ASMEND
	;; [unrolled: 4-line block ×4, first 2 shown]
	;;#ASMSTART
	v_pk_add_f16 v1, v1, v2;

	;;#ASMEND
	;;#ASMSTART
	v_pk_add_f16 v1, v1, v3;

	;;#ASMEND
	;; [unrolled: 4-line block ×3, first 2 shown]
	v_and_b32_e32 v4, 0xffff, v1
	v_lshrrev_b32_e32 v8, 16, v1
	;;#ASMSTART
	v_cvt_f32_f16 v4, v4;
	;;#ASMEND
	v_add_f32_e32 v18, v18, v9
	v_add_f32_e32 v9, v58, v59
	;; [unrolled: 1-line block ×7, first 2 shown]
	;;#ASMSTART
	v_cvt_f32_f16 v8, v8;
	;;#ASMEND
	v_add_f32_e32 v4, v4, v8
	v_add_f32_e32 v16, v16, v34
	;; [unrolled: 1-line block ×10, first 2 shown]
.LBB93_34:                              ;   in Loop: Header=BB93_35 Depth=1
	s_or_b32 exec_lo, exec_lo, s15
	v_add_nc_u32_e32 v32, 4, v32
	v_add_co_u32 v5, s0, v5, 16
	v_add_co_ci_u32_e64 v6, null, 0, v6, s0
	v_cmp_le_i32_e32 vcc_lo, s16, v32
	v_add_nc_u32_e32 v49, 0x80, v49
	v_add_nc_u32_e32 v30, 0x200, v30
	s_or_b32 s13, vcc_lo, s13
	s_andn2_b32 exec_lo, exec_lo, s13
	s_cbranch_execz .LBB93_60
.LBB93_35:                              ; =>This Inner Loop Header: Depth=1
	v_mul_hi_u32 v1, v49, s21
	v_mul_lo_u32 v2, v1, s12
	v_add_nc_u32_e32 v3, 1, v1
	v_sub_nc_u32_e32 v2, v49, v2
	v_subrev_nc_u32_e32 v4, s12, v2
	v_cmp_le_u32_e32 vcc_lo, s12, v2
	v_cndmask_b32_e32 v1, v1, v3, vcc_lo
	v_cndmask_b32_e32 v2, v2, v4, vcc_lo
	v_add_nc_u32_e32 v3, 1, v1
	v_cmp_le_u32_e32 vcc_lo, s12, v2
	v_cndmask_b32_e32 v1, v1, v3, vcc_lo
	v_xor_b32_e32 v1, s19, v1
	v_subrev_nc_u32_e32 v1, s19, v1
	v_add_nc_u32_e32 v2, s29, v1
	v_cmp_lt_i32_e64 s0, s3, v1
	v_sub_nc_u32_e32 v3, 0, v2
	v_max_i32_e32 v3, v2, v3
	v_ashrrev_i32_e32 v2, 31, v2
	v_mul_hi_u32 v4, v3, v31
	v_mul_lo_u32 v4, v4, s4
	v_sub_nc_u32_e32 v3, v3, v4
	v_subrev_nc_u32_e32 v4, s4, v3
	v_cmp_le_u32_e32 vcc_lo, s4, v3
	v_cndmask_b32_e32 v3, v3, v4, vcc_lo
	v_subrev_nc_u32_e32 v4, s4, v3
	v_cmp_le_u32_e32 vcc_lo, s4, v3
	v_cndmask_b32_e32 v3, v3, v4, vcc_lo
	v_xor_b32_e32 v3, v3, v2
	v_sub_nc_u32_e32 v2, v3, v2
	v_cmp_eq_u32_e32 vcc_lo, 0, v2
	s_or_b32 s0, vcc_lo, s0
	s_and_saveexec_b32 s15, s0
	s_cbranch_execz .LBB93_34
; %bb.36:                               ;   in Loop: Header=BB93_35 Depth=1
	global_load_dword v7, v[5:6], off
	ds_read2_b64 v[1:4], v30 offset1:1
	ds_read2_b64 v[33:36], v30 offset0:2 offset1:3
	v_add_nc_u32_e32 v38, v27, v49
	v_cmp_eq_u32_e64 s0, s5, v32
	s_waitcnt lgkmcnt(1)
	;;#ASMSTART
	v_cvt_f16_f32 v41, v1;

	;;#ASMEND
	;;#ASMSTART
	v_cvt_f16_f32 v39, v2;

	;;#ASMEND
	;; [unrolled: 4-line block ×4, first 2 shown]
	s_waitcnt lgkmcnt(0)
	;;#ASMSTART
	v_cvt_f16_f32 v45, v33;

	;;#ASMEND
	;;#ASMSTART
	v_cvt_f16_f32 v10, v34;

	;;#ASMEND
	;; [unrolled: 4-line block ×4, first 2 shown]
	v_add_nc_u32_e32 v46, 1, v38
	v_add_nc_u32_e32 v37, 2, v38
	;; [unrolled: 1-line block ×7, first 2 shown]
	s_waitcnt vmcnt(0)
	v_mad_i64_i32 v[7:8], null, v7, s14, 0
	v_lshlrev_b64 v[7:8], 1, v[7:8]
	v_add_co_u32 v7, vcc_lo, v28, v7
	v_add_co_ci_u32_e64 v8, null, v29, v8, vcc_lo
	global_load_dwordx4 v[1:4], v[7:8], off
	s_waitcnt vmcnt(0)
	v_lshrrev_b32_e32 v52, 16, v1
	v_lshrrev_b32_e32 v51, 16, v2
	;; [unrolled: 1-line block ×3, first 2 shown]
	s_and_saveexec_b32 s17, s0
	s_cbranch_execz .LBB93_38
; %bb.37:                               ;   in Loop: Header=BB93_35 Depth=1
	v_cmp_gt_i32_e32 vcc_lo, s28, v38
	v_and_b32_e32 v53, 0xffff0000, v4
	v_cmp_gt_i32_e64 s1, s28, v37
	v_cndmask_b32_e32 v1, 0, v1, vcc_lo
	v_cmp_gt_i32_e32 vcc_lo, s28, v46
	v_cndmask_b32_e64 v2, 0, v2, s1
	v_cmp_gt_i32_e64 s1, s28, v36
	v_cndmask_b32_e32 v52, 0, v52, vcc_lo
	v_cmp_gt_i32_e32 vcc_lo, s28, v40
	v_cndmask_b32_e64 v51, 0, v51, s1
	v_cndmask_b32_sdwa v4, v26, v4, vcc_lo dst_sel:DWORD dst_unused:UNUSED_PAD src0_sel:DWORD src1_sel:WORD_0
	v_cmp_gt_i32_e32 vcc_lo, s28, v35
	v_cndmask_b32_e32 v53, 0, v53, vcc_lo
	v_cmp_gt_i32_e32 vcc_lo, s28, v34
	v_or_b32_e32 v4, v4, v53
	v_cndmask_b32_e32 v3, 0, v3, vcc_lo
	v_cmp_gt_i32_e32 vcc_lo, s28, v33
	v_cndmask_b32_e32 v50, 0, v50, vcc_lo
.LBB93_38:                              ;   in Loop: Header=BB93_35 Depth=1
	s_or_b32 exec_lo, exec_lo, s17
	v_and_b32_e32 v41, 0xffff, v41
	v_and_b32_e32 v44, 0xffff, v44
	v_lshlrev_b32_e32 v52, 16, v52
	v_lshlrev_b32_e32 v50, 16, v50
	v_and_b32_e32 v45, 0xffff, v45
	v_lshl_or_b32 v41, v39, 16, v41
	v_lshl_or_b32 v39, v42, 16, v44
	v_lshlrev_b32_e32 v42, 16, v51
	v_and_b32_e32 v43, 0xffff, v43
	v_and_or_b32 v1, 0xffff, v1, v52
	v_and_or_b32 v3, 0xffff, v3, v50
	;;#ASMSTART
	v_pk_mul_f16 v1, v41, v1;

	;;#ASMEND
	v_and_or_b32 v2, 0xffff, v2, v42
	v_lshl_or_b32 v44, v10, 16, v45
	v_lshl_or_b32 v45, v9, 16, v43
	;;#ASMSTART
	v_pk_mul_f16 v2, v39, v2;

	;;#ASMEND
	;;#ASMSTART
	v_pk_mul_f16 v3, v44, v3;

	;;#ASMEND
	;; [unrolled: 4-line block ×3, first 2 shown]
	;;#ASMSTART
	v_pk_add_f16 v1, v1, v2;

	;;#ASMEND
	;;#ASMSTART
	v_pk_add_f16 v1, v1, v3;

	;;#ASMEND
	;; [unrolled: 4-line block ×3, first 2 shown]
	v_and_b32_e32 v2, 0xffff, v1
	v_lshrrev_b32_e32 v1, 16, v1
	;;#ASMSTART
	v_cvt_f32_f16 v42, v2;
	;;#ASMEND
	;;#ASMSTART
	v_cvt_f32_f16 v43, v1;
	;;#ASMEND
	global_load_dwordx4 v[1:4], v[7:8], off offset:512
	s_waitcnt vmcnt(0)
	v_lshrrev_b32_e32 v50, 16, v1
	v_lshrrev_b32_e32 v10, 16, v2
	;; [unrolled: 1-line block ×3, first 2 shown]
	s_and_saveexec_b32 s17, s0
	s_cbranch_execz .LBB93_40
; %bb.39:                               ;   in Loop: Header=BB93_35 Depth=1
	v_cmp_gt_i32_e32 vcc_lo, s28, v38
	v_and_b32_e32 v51, 0xffff0000, v4
	v_cmp_gt_i32_e64 s1, s28, v37
	v_cndmask_b32_e32 v1, 0, v1, vcc_lo
	v_cmp_gt_i32_e32 vcc_lo, s28, v46
	v_cndmask_b32_e64 v2, 0, v2, s1
	v_cmp_gt_i32_e64 s1, s28, v36
	v_cndmask_b32_e32 v50, 0, v50, vcc_lo
	v_cmp_gt_i32_e32 vcc_lo, s28, v40
	v_cndmask_b32_e64 v10, 0, v10, s1
	v_cndmask_b32_sdwa v4, v26, v4, vcc_lo dst_sel:DWORD dst_unused:UNUSED_PAD src0_sel:DWORD src1_sel:WORD_0
	v_cmp_gt_i32_e32 vcc_lo, s28, v35
	v_cndmask_b32_e32 v51, 0, v51, vcc_lo
	v_cmp_gt_i32_e32 vcc_lo, s28, v34
	v_or_b32_e32 v4, v4, v51
	v_cndmask_b32_e32 v3, 0, v3, vcc_lo
	v_cmp_gt_i32_e32 vcc_lo, s28, v33
	v_cndmask_b32_e32 v9, 0, v9, vcc_lo
.LBB93_40:                              ;   in Loop: Header=BB93_35 Depth=1
	s_or_b32 exec_lo, exec_lo, s17
	v_lshlrev_b32_e32 v50, 16, v50
	v_lshlrev_b32_e32 v10, 16, v10
	;; [unrolled: 1-line block ×3, first 2 shown]
	v_and_or_b32 v1, 0xffff, v1, v50
	v_and_or_b32 v2, 0xffff, v2, v10
	;; [unrolled: 1-line block ×3, first 2 shown]
	;;#ASMSTART
	v_pk_mul_f16 v1, v41, v1;

	;;#ASMEND
	;;#ASMSTART
	v_pk_mul_f16 v2, v39, v2;

	;;#ASMEND
	;; [unrolled: 4-line block ×4, first 2 shown]
	;;#ASMSTART
	v_pk_add_f16 v1, v1, v2;

	;;#ASMEND
	;;#ASMSTART
	v_pk_add_f16 v1, v1, v3;

	;;#ASMEND
	;; [unrolled: 4-line block ×3, first 2 shown]
	v_and_b32_e32 v2, 0xffff, v1
	v_lshrrev_b32_e32 v1, 16, v1
	;;#ASMSTART
	v_cvt_f32_f16 v50, v2;
	;;#ASMEND
	;;#ASMSTART
	v_cvt_f32_f16 v51, v1;
	;;#ASMEND
	global_load_dwordx4 v[1:4], v[7:8], off offset:1024
	s_waitcnt vmcnt(0)
	v_lshrrev_b32_e32 v52, 16, v1
	v_lshrrev_b32_e32 v10, 16, v2
	;; [unrolled: 1-line block ×3, first 2 shown]
	s_and_saveexec_b32 s17, s0
	s_cbranch_execz .LBB93_42
; %bb.41:                               ;   in Loop: Header=BB93_35 Depth=1
	v_cmp_gt_i32_e32 vcc_lo, s28, v38
	v_and_b32_e32 v53, 0xffff0000, v4
	v_cmp_gt_i32_e64 s1, s28, v37
	v_cndmask_b32_e32 v1, 0, v1, vcc_lo
	v_cmp_gt_i32_e32 vcc_lo, s28, v46
	v_cndmask_b32_e64 v2, 0, v2, s1
	v_cmp_gt_i32_e64 s1, s28, v36
	v_cndmask_b32_e32 v52, 0, v52, vcc_lo
	v_cmp_gt_i32_e32 vcc_lo, s28, v40
	v_cndmask_b32_e64 v10, 0, v10, s1
	v_cndmask_b32_sdwa v4, v26, v4, vcc_lo dst_sel:DWORD dst_unused:UNUSED_PAD src0_sel:DWORD src1_sel:WORD_0
	v_cmp_gt_i32_e32 vcc_lo, s28, v35
	v_cndmask_b32_e32 v53, 0, v53, vcc_lo
	v_cmp_gt_i32_e32 vcc_lo, s28, v34
	v_or_b32_e32 v4, v4, v53
	v_cndmask_b32_e32 v3, 0, v3, vcc_lo
	v_cmp_gt_i32_e32 vcc_lo, s28, v33
	v_cndmask_b32_e32 v9, 0, v9, vcc_lo
.LBB93_42:                              ;   in Loop: Header=BB93_35 Depth=1
	s_or_b32 exec_lo, exec_lo, s17
	v_lshlrev_b32_e32 v52, 16, v52
	v_lshlrev_b32_e32 v10, 16, v10
	v_lshlrev_b32_e32 v9, 16, v9
	v_and_or_b32 v1, 0xffff, v1, v52
	v_and_or_b32 v2, 0xffff, v2, v10
	;; [unrolled: 1-line block ×3, first 2 shown]
	;;#ASMSTART
	v_pk_mul_f16 v1, v41, v1;

	;;#ASMEND
	;;#ASMSTART
	v_pk_mul_f16 v2, v39, v2;

	;;#ASMEND
	;; [unrolled: 4-line block ×4, first 2 shown]
	;;#ASMSTART
	v_pk_add_f16 v1, v1, v2;

	;;#ASMEND
	;;#ASMSTART
	v_pk_add_f16 v1, v1, v3;

	;;#ASMEND
	;; [unrolled: 4-line block ×3, first 2 shown]
	v_and_b32_e32 v2, 0xffff, v1
	v_lshrrev_b32_e32 v1, 16, v1
	;;#ASMSTART
	v_cvt_f32_f16 v52, v2;
	;;#ASMEND
	;;#ASMSTART
	v_cvt_f32_f16 v53, v1;
	;;#ASMEND
	global_load_dwordx4 v[1:4], v[7:8], off offset:1536
	s_waitcnt vmcnt(0)
	v_lshrrev_b32_e32 v54, 16, v1
	v_lshrrev_b32_e32 v10, 16, v2
	;; [unrolled: 1-line block ×3, first 2 shown]
	s_and_saveexec_b32 s17, s0
	s_cbranch_execz .LBB93_44
; %bb.43:                               ;   in Loop: Header=BB93_35 Depth=1
	v_cmp_gt_i32_e32 vcc_lo, s28, v38
	v_and_b32_e32 v55, 0xffff0000, v4
	v_cmp_gt_i32_e64 s1, s28, v37
	v_cndmask_b32_e32 v1, 0, v1, vcc_lo
	v_cmp_gt_i32_e32 vcc_lo, s28, v46
	v_cndmask_b32_e64 v2, 0, v2, s1
	v_cmp_gt_i32_e64 s1, s28, v36
	v_cndmask_b32_e32 v54, 0, v54, vcc_lo
	v_cmp_gt_i32_e32 vcc_lo, s28, v40
	v_cndmask_b32_e64 v10, 0, v10, s1
	v_cndmask_b32_sdwa v4, v26, v4, vcc_lo dst_sel:DWORD dst_unused:UNUSED_PAD src0_sel:DWORD src1_sel:WORD_0
	v_cmp_gt_i32_e32 vcc_lo, s28, v35
	v_cndmask_b32_e32 v55, 0, v55, vcc_lo
	v_cmp_gt_i32_e32 vcc_lo, s28, v34
	v_or_b32_e32 v4, v4, v55
	v_cndmask_b32_e32 v3, 0, v3, vcc_lo
	v_cmp_gt_i32_e32 vcc_lo, s28, v33
	v_cndmask_b32_e32 v9, 0, v9, vcc_lo
.LBB93_44:                              ;   in Loop: Header=BB93_35 Depth=1
	s_or_b32 exec_lo, exec_lo, s17
	v_lshlrev_b32_e32 v9, 16, v9
	v_lshlrev_b32_e32 v54, 16, v54
	;; [unrolled: 1-line block ×3, first 2 shown]
	v_and_or_b32 v3, 0xffff, v3, v9
	v_add_co_u32 v9, vcc_lo, 0x800, v7
	v_and_or_b32 v1, 0xffff, v1, v54
	v_and_or_b32 v2, 0xffff, v2, v10
	;;#ASMSTART
	v_pk_mul_f16 v1, v41, v1;

	;;#ASMEND
	v_add_co_ci_u32_e64 v10, null, 0, v8, vcc_lo
	;;#ASMSTART
	v_pk_mul_f16 v2, v39, v2;

	;;#ASMEND
	;;#ASMSTART
	v_pk_mul_f16 v3, v44, v3;

	;;#ASMEND
	;; [unrolled: 4-line block ×3, first 2 shown]
	;;#ASMSTART
	v_pk_add_f16 v1, v1, v2;

	;;#ASMEND
	;;#ASMSTART
	v_pk_add_f16 v1, v1, v3;

	;;#ASMEND
	;; [unrolled: 4-line block ×3, first 2 shown]
	v_lshrrev_b32_e32 v2, 16, v1
	v_and_b32_e32 v1, 0xffff, v1
	;;#ASMSTART
	v_cvt_f32_f16 v54, v1;
	;;#ASMEND
	;;#ASMSTART
	v_cvt_f32_f16 v55, v2;
	;;#ASMEND
	global_load_dwordx4 v[1:4], v[9:10], off
	s_waitcnt vmcnt(0)
	v_lshrrev_b32_e32 v58, 16, v1
	v_lshrrev_b32_e32 v57, 16, v2
	;; [unrolled: 1-line block ×3, first 2 shown]
	s_and_saveexec_b32 s17, s0
	s_cbranch_execz .LBB93_46
; %bb.45:                               ;   in Loop: Header=BB93_35 Depth=1
	v_cmp_gt_i32_e32 vcc_lo, s28, v38
	v_and_b32_e32 v59, 0xffff0000, v4
	v_cmp_gt_i32_e64 s1, s28, v37
	v_cndmask_b32_e32 v1, 0, v1, vcc_lo
	v_cmp_gt_i32_e32 vcc_lo, s28, v46
	v_cndmask_b32_e64 v2, 0, v2, s1
	v_cmp_gt_i32_e64 s1, s28, v36
	v_cndmask_b32_e32 v58, 0, v58, vcc_lo
	v_cmp_gt_i32_e32 vcc_lo, s28, v40
	v_cndmask_b32_e64 v57, 0, v57, s1
	v_cndmask_b32_sdwa v4, v26, v4, vcc_lo dst_sel:DWORD dst_unused:UNUSED_PAD src0_sel:DWORD src1_sel:WORD_0
	v_cmp_gt_i32_e32 vcc_lo, s28, v35
	v_cndmask_b32_e32 v59, 0, v59, vcc_lo
	v_cmp_gt_i32_e32 vcc_lo, s28, v34
	v_or_b32_e32 v4, v4, v59
	v_cndmask_b32_e32 v3, 0, v3, vcc_lo
	v_cmp_gt_i32_e32 vcc_lo, s28, v33
	v_cndmask_b32_e32 v56, 0, v56, vcc_lo
.LBB93_46:                              ;   in Loop: Header=BB93_35 Depth=1
	s_or_b32 exec_lo, exec_lo, s17
	v_lshlrev_b32_e32 v58, 16, v58
	v_lshlrev_b32_e32 v57, 16, v57
	;; [unrolled: 1-line block ×3, first 2 shown]
	v_and_or_b32 v1, 0xffff, v1, v58
	v_and_or_b32 v2, 0xffff, v2, v57
	;; [unrolled: 1-line block ×3, first 2 shown]
	;;#ASMSTART
	v_pk_mul_f16 v1, v41, v1;

	;;#ASMEND
	;;#ASMSTART
	v_pk_mul_f16 v2, v39, v2;

	;;#ASMEND
	;; [unrolled: 4-line block ×4, first 2 shown]
	;;#ASMSTART
	v_pk_add_f16 v1, v1, v2;

	;;#ASMEND
	;;#ASMSTART
	v_pk_add_f16 v1, v1, v3;

	;;#ASMEND
	;; [unrolled: 4-line block ×3, first 2 shown]
	v_and_b32_e32 v2, 0xffff, v1
	v_lshrrev_b32_e32 v1, 16, v1
	;;#ASMSTART
	v_cvt_f32_f16 v56, v2;
	;;#ASMEND
	;;#ASMSTART
	v_cvt_f32_f16 v57, v1;
	;;#ASMEND
	global_load_dwordx4 v[1:4], v[9:10], off offset:512
	s_waitcnt vmcnt(0)
	v_lshrrev_b32_e32 v60, 16, v1
	v_lshrrev_b32_e32 v59, 16, v2
	;; [unrolled: 1-line block ×3, first 2 shown]
	s_and_saveexec_b32 s17, s0
	s_cbranch_execz .LBB93_48
; %bb.47:                               ;   in Loop: Header=BB93_35 Depth=1
	v_cmp_gt_i32_e32 vcc_lo, s28, v38
	v_and_b32_e32 v61, 0xffff0000, v4
	v_cmp_gt_i32_e64 s1, s28, v37
	v_cndmask_b32_e32 v1, 0, v1, vcc_lo
	v_cmp_gt_i32_e32 vcc_lo, s28, v46
	v_cndmask_b32_e64 v2, 0, v2, s1
	v_cmp_gt_i32_e64 s1, s28, v36
	v_cndmask_b32_e32 v60, 0, v60, vcc_lo
	v_cmp_gt_i32_e32 vcc_lo, s28, v40
	v_cndmask_b32_e64 v59, 0, v59, s1
	v_cndmask_b32_sdwa v4, v26, v4, vcc_lo dst_sel:DWORD dst_unused:UNUSED_PAD src0_sel:DWORD src1_sel:WORD_0
	v_cmp_gt_i32_e32 vcc_lo, s28, v35
	v_cndmask_b32_e32 v61, 0, v61, vcc_lo
	v_cmp_gt_i32_e32 vcc_lo, s28, v34
	v_or_b32_e32 v4, v4, v61
	v_cndmask_b32_e32 v3, 0, v3, vcc_lo
	v_cmp_gt_i32_e32 vcc_lo, s28, v33
	v_cndmask_b32_e32 v58, 0, v58, vcc_lo
.LBB93_48:                              ;   in Loop: Header=BB93_35 Depth=1
	s_or_b32 exec_lo, exec_lo, s17
	v_lshlrev_b32_e32 v60, 16, v60
	v_lshlrev_b32_e32 v59, 16, v59
	v_lshlrev_b32_e32 v58, 16, v58
	v_and_or_b32 v1, 0xffff, v1, v60
	v_and_or_b32 v2, 0xffff, v2, v59
	;; [unrolled: 1-line block ×3, first 2 shown]
	;;#ASMSTART
	v_pk_mul_f16 v1, v41, v1;

	;;#ASMEND
	;;#ASMSTART
	v_pk_mul_f16 v2, v39, v2;

	;;#ASMEND
	;; [unrolled: 4-line block ×4, first 2 shown]
	;;#ASMSTART
	v_pk_add_f16 v1, v1, v2;

	;;#ASMEND
	;;#ASMSTART
	v_pk_add_f16 v1, v1, v3;

	;;#ASMEND
	;; [unrolled: 4-line block ×3, first 2 shown]
	v_and_b32_e32 v2, 0xffff, v1
	v_lshrrev_b32_e32 v1, 16, v1
	;;#ASMSTART
	v_cvt_f32_f16 v58, v2;
	;;#ASMEND
	;;#ASMSTART
	v_cvt_f32_f16 v59, v1;
	;;#ASMEND
	global_load_dwordx4 v[1:4], v[9:10], off offset:1024
	s_waitcnt vmcnt(0)
	v_lshrrev_b32_e32 v62, 16, v1
	v_lshrrev_b32_e32 v61, 16, v2
	;; [unrolled: 1-line block ×3, first 2 shown]
	s_and_saveexec_b32 s17, s0
	s_cbranch_execz .LBB93_50
; %bb.49:                               ;   in Loop: Header=BB93_35 Depth=1
	v_cmp_gt_i32_e32 vcc_lo, s28, v38
	v_and_b32_e32 v63, 0xffff0000, v4
	v_cmp_gt_i32_e64 s1, s28, v37
	v_cndmask_b32_e32 v1, 0, v1, vcc_lo
	v_cmp_gt_i32_e32 vcc_lo, s28, v46
	v_cndmask_b32_e64 v2, 0, v2, s1
	v_cmp_gt_i32_e64 s1, s28, v36
	v_cndmask_b32_e32 v62, 0, v62, vcc_lo
	v_cmp_gt_i32_e32 vcc_lo, s28, v40
	v_cndmask_b32_e64 v61, 0, v61, s1
	v_cndmask_b32_sdwa v4, v26, v4, vcc_lo dst_sel:DWORD dst_unused:UNUSED_PAD src0_sel:DWORD src1_sel:WORD_0
	v_cmp_gt_i32_e32 vcc_lo, s28, v35
	v_cndmask_b32_e32 v63, 0, v63, vcc_lo
	v_cmp_gt_i32_e32 vcc_lo, s28, v34
	v_or_b32_e32 v4, v4, v63
	v_cndmask_b32_e32 v3, 0, v3, vcc_lo
	v_cmp_gt_i32_e32 vcc_lo, s28, v33
	v_cndmask_b32_e32 v60, 0, v60, vcc_lo
.LBB93_50:                              ;   in Loop: Header=BB93_35 Depth=1
	s_or_b32 exec_lo, exec_lo, s17
	v_lshlrev_b32_e32 v62, 16, v62
	v_lshlrev_b32_e32 v61, 16, v61
	;; [unrolled: 1-line block ×3, first 2 shown]
	v_and_or_b32 v1, 0xffff, v1, v62
	v_and_or_b32 v2, 0xffff, v2, v61
	;; [unrolled: 1-line block ×3, first 2 shown]
	;;#ASMSTART
	v_pk_mul_f16 v1, v41, v1;

	;;#ASMEND
	;;#ASMSTART
	v_pk_mul_f16 v2, v39, v2;

	;;#ASMEND
	;; [unrolled: 4-line block ×4, first 2 shown]
	;;#ASMSTART
	v_pk_add_f16 v1, v1, v2;

	;;#ASMEND
	;;#ASMSTART
	v_pk_add_f16 v1, v1, v3;

	;;#ASMEND
	;; [unrolled: 4-line block ×3, first 2 shown]
	v_and_b32_e32 v2, 0xffff, v1
	v_lshrrev_b32_e32 v1, 16, v1
	;;#ASMSTART
	v_cvt_f32_f16 v60, v2;
	;;#ASMEND
	;;#ASMSTART
	v_cvt_f32_f16 v61, v1;
	;;#ASMEND
	global_load_dwordx4 v[1:4], v[9:10], off offset:1536
	s_waitcnt vmcnt(0)
	v_lshrrev_b32_e32 v62, 16, v1
	v_lshrrev_b32_e32 v10, 16, v2
	;; [unrolled: 1-line block ×3, first 2 shown]
	s_and_saveexec_b32 s17, s0
	s_cbranch_execz .LBB93_52
; %bb.51:                               ;   in Loop: Header=BB93_35 Depth=1
	v_cmp_gt_i32_e32 vcc_lo, s28, v38
	v_and_b32_e32 v63, 0xffff0000, v4
	v_cmp_gt_i32_e64 s1, s28, v37
	v_cndmask_b32_e32 v1, 0, v1, vcc_lo
	v_cmp_gt_i32_e32 vcc_lo, s28, v46
	v_cndmask_b32_e64 v2, 0, v2, s1
	v_cmp_gt_i32_e64 s1, s28, v36
	v_cndmask_b32_e32 v62, 0, v62, vcc_lo
	v_cmp_gt_i32_e32 vcc_lo, s28, v40
	v_cndmask_b32_e64 v10, 0, v10, s1
	v_cndmask_b32_sdwa v4, v26, v4, vcc_lo dst_sel:DWORD dst_unused:UNUSED_PAD src0_sel:DWORD src1_sel:WORD_0
	v_cmp_gt_i32_e32 vcc_lo, s28, v35
	v_cndmask_b32_e32 v63, 0, v63, vcc_lo
	v_cmp_gt_i32_e32 vcc_lo, s28, v34
	v_or_b32_e32 v4, v4, v63
	v_cndmask_b32_e32 v3, 0, v3, vcc_lo
	v_cmp_gt_i32_e32 vcc_lo, s28, v33
	v_cndmask_b32_e32 v9, 0, v9, vcc_lo
.LBB93_52:                              ;   in Loop: Header=BB93_35 Depth=1
	s_or_b32 exec_lo, exec_lo, s17
	v_lshlrev_b32_e32 v62, 16, v62
	v_lshlrev_b32_e32 v10, 16, v10
	v_lshlrev_b32_e32 v9, 16, v9
	v_add_co_u32 v7, vcc_lo, 0x1000, v7
	v_and_or_b32 v1, 0xffff, v1, v62
	v_and_or_b32 v2, 0xffff, v2, v10
	;; [unrolled: 1-line block ×3, first 2 shown]
	;;#ASMSTART
	v_pk_mul_f16 v1, v41, v1;

	;;#ASMEND
	v_add_co_ci_u32_e64 v8, null, 0, v8, vcc_lo
	;;#ASMSTART
	v_pk_mul_f16 v2, v39, v2;

	;;#ASMEND
	;;#ASMSTART
	v_pk_mul_f16 v3, v44, v3;

	;;#ASMEND
	;; [unrolled: 4-line block ×3, first 2 shown]
	;;#ASMSTART
	v_pk_add_f16 v1, v1, v2;

	;;#ASMEND
	;;#ASMSTART
	v_pk_add_f16 v1, v1, v3;

	;;#ASMEND
	;; [unrolled: 4-line block ×3, first 2 shown]
	v_lshrrev_b32_e32 v2, 16, v1
	v_and_b32_e32 v1, 0xffff, v1
	;;#ASMSTART
	v_cvt_f32_f16 v9, v1;
	;;#ASMEND
	;;#ASMSTART
	v_cvt_f32_f16 v10, v2;
	;;#ASMEND
	global_load_dwordx4 v[1:4], v[7:8], off
	s_waitcnt vmcnt(0)
	v_lshrrev_b32_e32 v64, 16, v1
	v_lshrrev_b32_e32 v63, 16, v2
	;; [unrolled: 1-line block ×3, first 2 shown]
	s_and_saveexec_b32 s17, s0
	s_cbranch_execz .LBB93_54
; %bb.53:                               ;   in Loop: Header=BB93_35 Depth=1
	v_cmp_gt_i32_e32 vcc_lo, s28, v38
	v_and_b32_e32 v65, 0xffff0000, v4
	v_cmp_gt_i32_e64 s1, s28, v37
	v_cndmask_b32_e32 v1, 0, v1, vcc_lo
	v_cmp_gt_i32_e32 vcc_lo, s28, v46
	v_cndmask_b32_e64 v2, 0, v2, s1
	v_cmp_gt_i32_e64 s1, s28, v36
	v_cndmask_b32_e32 v64, 0, v64, vcc_lo
	v_cmp_gt_i32_e32 vcc_lo, s28, v40
	v_cndmask_b32_e64 v63, 0, v63, s1
	v_cndmask_b32_sdwa v4, v26, v4, vcc_lo dst_sel:DWORD dst_unused:UNUSED_PAD src0_sel:DWORD src1_sel:WORD_0
	v_cmp_gt_i32_e32 vcc_lo, s28, v35
	v_cndmask_b32_e32 v65, 0, v65, vcc_lo
	v_cmp_gt_i32_e32 vcc_lo, s28, v34
	v_or_b32_e32 v4, v4, v65
	v_cndmask_b32_e32 v3, 0, v3, vcc_lo
	v_cmp_gt_i32_e32 vcc_lo, s28, v33
	v_cndmask_b32_e32 v62, 0, v62, vcc_lo
.LBB93_54:                              ;   in Loop: Header=BB93_35 Depth=1
	s_or_b32 exec_lo, exec_lo, s17
	v_lshlrev_b32_e32 v64, 16, v64
	v_lshlrev_b32_e32 v63, 16, v63
	;; [unrolled: 1-line block ×3, first 2 shown]
	v_and_or_b32 v1, 0xffff, v1, v64
	v_and_or_b32 v2, 0xffff, v2, v63
	;; [unrolled: 1-line block ×3, first 2 shown]
	;;#ASMSTART
	v_pk_mul_f16 v1, v41, v1;

	;;#ASMEND
	;;#ASMSTART
	v_pk_mul_f16 v2, v39, v2;

	;;#ASMEND
	;; [unrolled: 4-line block ×4, first 2 shown]
	;;#ASMSTART
	v_pk_add_f16 v1, v1, v2;

	;;#ASMEND
	;;#ASMSTART
	v_pk_add_f16 v1, v1, v3;

	;;#ASMEND
	;; [unrolled: 4-line block ×3, first 2 shown]
	v_and_b32_e32 v2, 0xffff, v1
	v_lshrrev_b32_e32 v1, 16, v1
	;;#ASMSTART
	v_cvt_f32_f16 v62, v2;
	;;#ASMEND
	;;#ASMSTART
	v_cvt_f32_f16 v63, v1;
	;;#ASMEND
	global_load_dwordx4 v[1:4], v[7:8], off offset:512
	s_waitcnt vmcnt(0)
	v_lshrrev_b32_e32 v66, 16, v1
	v_lshrrev_b32_e32 v65, 16, v2
	;; [unrolled: 1-line block ×3, first 2 shown]
	s_and_saveexec_b32 s17, s0
	s_cbranch_execz .LBB93_56
; %bb.55:                               ;   in Loop: Header=BB93_35 Depth=1
	v_cmp_gt_i32_e32 vcc_lo, s28, v38
	v_and_b32_e32 v67, 0xffff0000, v4
	v_cmp_gt_i32_e64 s1, s28, v37
	v_cndmask_b32_e32 v1, 0, v1, vcc_lo
	v_cmp_gt_i32_e32 vcc_lo, s28, v46
	v_cndmask_b32_e64 v2, 0, v2, s1
	v_cmp_gt_i32_e64 s1, s28, v36
	v_cndmask_b32_e32 v66, 0, v66, vcc_lo
	v_cmp_gt_i32_e32 vcc_lo, s28, v40
	v_cndmask_b32_e64 v65, 0, v65, s1
	v_cndmask_b32_sdwa v4, v26, v4, vcc_lo dst_sel:DWORD dst_unused:UNUSED_PAD src0_sel:DWORD src1_sel:WORD_0
	v_cmp_gt_i32_e32 vcc_lo, s28, v35
	v_cndmask_b32_e32 v67, 0, v67, vcc_lo
	v_cmp_gt_i32_e32 vcc_lo, s28, v34
	v_or_b32_e32 v4, v4, v67
	v_cndmask_b32_e32 v3, 0, v3, vcc_lo
	v_cmp_gt_i32_e32 vcc_lo, s28, v33
	v_cndmask_b32_e32 v64, 0, v64, vcc_lo
.LBB93_56:                              ;   in Loop: Header=BB93_35 Depth=1
	s_or_b32 exec_lo, exec_lo, s17
	v_lshlrev_b32_e32 v66, 16, v66
	v_lshlrev_b32_e32 v65, 16, v65
	;; [unrolled: 1-line block ×3, first 2 shown]
	v_and_or_b32 v1, 0xffff, v1, v66
	v_and_or_b32 v2, 0xffff, v2, v65
	;; [unrolled: 1-line block ×3, first 2 shown]
	;;#ASMSTART
	v_pk_mul_f16 v1, v41, v1;

	;;#ASMEND
	;;#ASMSTART
	v_pk_mul_f16 v2, v39, v2;

	;;#ASMEND
	;; [unrolled: 4-line block ×4, first 2 shown]
	;;#ASMSTART
	v_pk_add_f16 v1, v1, v2;

	;;#ASMEND
	;;#ASMSTART
	v_pk_add_f16 v1, v1, v3;

	;;#ASMEND
	;;#ASMSTART
	v_pk_add_f16 v1, v1, v4;

	;;#ASMEND
	v_and_b32_e32 v2, 0xffff, v1
	v_lshrrev_b32_e32 v1, 16, v1
	;;#ASMSTART
	v_cvt_f32_f16 v64, v2;
	;;#ASMEND
	;;#ASMSTART
	v_cvt_f32_f16 v65, v1;
	;;#ASMEND
	global_load_dwordx4 v[1:4], v[7:8], off offset:1024
	s_waitcnt vmcnt(0)
	v_lshrrev_b32_e32 v68, 16, v1
	v_lshrrev_b32_e32 v67, 16, v2
	;; [unrolled: 1-line block ×3, first 2 shown]
	s_and_saveexec_b32 s17, s0
	s_cbranch_execz .LBB93_58
; %bb.57:                               ;   in Loop: Header=BB93_35 Depth=1
	v_cmp_gt_i32_e32 vcc_lo, s28, v38
	v_and_b32_e32 v69, 0xffff0000, v4
	v_cmp_gt_i32_e64 s1, s28, v37
	v_cndmask_b32_e32 v1, 0, v1, vcc_lo
	v_cmp_gt_i32_e32 vcc_lo, s28, v46
	v_cndmask_b32_e64 v2, 0, v2, s1
	v_cmp_gt_i32_e64 s1, s28, v36
	v_cndmask_b32_e32 v68, 0, v68, vcc_lo
	v_cmp_gt_i32_e32 vcc_lo, s28, v40
	v_cndmask_b32_e64 v67, 0, v67, s1
	v_cndmask_b32_sdwa v4, v26, v4, vcc_lo dst_sel:DWORD dst_unused:UNUSED_PAD src0_sel:DWORD src1_sel:WORD_0
	v_cmp_gt_i32_e32 vcc_lo, s28, v35
	v_cndmask_b32_e32 v69, 0, v69, vcc_lo
	v_cmp_gt_i32_e32 vcc_lo, s28, v34
	v_or_b32_e32 v4, v4, v69
	v_cndmask_b32_e32 v3, 0, v3, vcc_lo
	v_cmp_gt_i32_e32 vcc_lo, s28, v33
	v_cndmask_b32_e32 v66, 0, v66, vcc_lo
.LBB93_58:                              ;   in Loop: Header=BB93_35 Depth=1
	s_or_b32 exec_lo, exec_lo, s17
	v_lshlrev_b32_e32 v68, 16, v68
	v_lshlrev_b32_e32 v67, 16, v67
	;; [unrolled: 1-line block ×3, first 2 shown]
	v_and_or_b32 v1, 0xffff, v1, v68
	v_and_or_b32 v2, 0xffff, v2, v67
	;; [unrolled: 1-line block ×3, first 2 shown]
	;;#ASMSTART
	v_pk_mul_f16 v1, v41, v1;

	;;#ASMEND
	;;#ASMSTART
	v_pk_mul_f16 v2, v39, v2;

	;;#ASMEND
	;;#ASMSTART
	v_pk_mul_f16 v3, v44, v3;

	;;#ASMEND
	;;#ASMSTART
	v_pk_mul_f16 v4, v45, v4;

	;;#ASMEND
	;;#ASMSTART
	v_pk_add_f16 v1, v1, v2;

	;;#ASMEND
	;;#ASMSTART
	v_pk_add_f16 v1, v1, v3;

	;;#ASMEND
	;; [unrolled: 4-line block ×3, first 2 shown]
	v_and_b32_e32 v2, 0xffff, v1
	v_lshrrev_b32_e32 v1, 16, v1
	;;#ASMSTART
	v_cvt_f32_f16 v67, v2;
	;;#ASMEND
	;;#ASMSTART
	v_cvt_f32_f16 v68, v1;
	;;#ASMEND
	global_load_dwordx4 v[1:4], v[7:8], off offset:1536
	s_waitcnt vmcnt(0)
	v_lshrrev_b32_e32 v66, 16, v1
	v_lshrrev_b32_e32 v8, 16, v2
	;; [unrolled: 1-line block ×3, first 2 shown]
	s_and_saveexec_b32 s1, s0
	s_cbranch_execz .LBB93_33
; %bb.59:                               ;   in Loop: Header=BB93_35 Depth=1
	v_cmp_gt_i32_e32 vcc_lo, s28, v38
	v_cmp_gt_i32_e64 s0, s28, v37
	v_cndmask_b32_e32 v1, 0, v1, vcc_lo
	v_cmp_gt_i32_e32 vcc_lo, s28, v46
	v_cndmask_b32_e64 v2, 0, v2, s0
	v_cmp_gt_i32_e64 s0, s28, v36
	v_and_b32_e32 v36, 0xffff0000, v4
	v_cndmask_b32_e32 v66, 0, v66, vcc_lo
	v_cmp_gt_i32_e32 vcc_lo, s28, v40
	v_cndmask_b32_e64 v8, 0, v8, s0
	v_cndmask_b32_sdwa v4, v26, v4, vcc_lo dst_sel:DWORD dst_unused:UNUSED_PAD src0_sel:DWORD src1_sel:WORD_0
	v_cmp_gt_i32_e32 vcc_lo, s28, v35
	v_cndmask_b32_e32 v35, 0, v36, vcc_lo
	v_cmp_gt_i32_e32 vcc_lo, s28, v34
	v_or_b32_e32 v4, v4, v35
	v_cndmask_b32_e32 v3, 0, v3, vcc_lo
	v_cmp_gt_i32_e32 vcc_lo, s28, v33
	v_cndmask_b32_e32 v7, 0, v7, vcc_lo
	s_branch .LBB93_33
.LBB93_60:
	s_or_b32 exec_lo, exec_lo, s13
.LBB93_61:
	s_or_b32 exec_lo, exec_lo, s2
	ds_bpermute_b32 v1, v12, v24
	ds_bpermute_b32 v10, v12, v16
	;; [unrolled: 1-line block ×12, first 2 shown]
	s_mov_b32 s0, exec_lo
	s_waitcnt lgkmcnt(0)
	s_barrier
	buffer_gl0_inv
	v_add_f32_e32 v1, v24, v1
	v_add_f32_e32 v16, v16, v10
	;; [unrolled: 1-line block ×12, first 2 shown]
	ds_bpermute_b32 v7, v11, v1
	ds_bpermute_b32 v26, v11, v16
	;; [unrolled: 1-line block ×12, first 2 shown]
	s_waitcnt lgkmcnt(11)
	v_add_f32_e32 v12, v1, v7
	s_waitcnt lgkmcnt(10)
	v_add_f32_e32 v1, v16, v26
	v_and_b32_e32 v16, 28, v48
	s_waitcnt lgkmcnt(9)
	v_add_f32_e32 v11, v2, v8
	s_waitcnt lgkmcnt(8)
	v_add_f32_e32 v10, v3, v9
	;; [unrolled: 2-line block ×9, first 2 shown]
	v_and_b32_e32 v17, 0x3c3, v0
	s_waitcnt lgkmcnt(0)
	v_add_f32_e32 v5, v14, v28
	v_lshrrev_b32_e32 v15, 2, v48
	v_add_nc_u32_e32 v14, 0xe0, v16
	v_mul_u32_u24_e32 v16, 0x180, v47
	v_cmpx_eq_u32_e32 64, v17
	s_cbranch_execz .LBB93_63
; %bb.62:
	v_add_nc_u32_e32 v17, v14, v16
	v_add_nc_u32_e32 v18, 0xfffffd00, v17
	;; [unrolled: 1-line block ×8, first 2 shown]
	ds_write_b32 v18, v12
	ds_write_b32 v19, v11
	;; [unrolled: 1-line block ×7, first 2 shown]
	v_add_nc_u32_e32 v18, 0xfffffde0, v17
	v_add_nc_u32_e32 v19, 0xfffffe00, v17
	;; [unrolled: 1-line block ×5, first 2 shown]
	ds_write_b32 v18, v3
	ds_write_b32 v19, v2
	ds_write_b32 v20, v1
	ds_write_b32 v21, v4
	ds_write_b32 v17, v5
.LBB93_63:
	s_or_b32 exec_lo, exec_lo, s0
	v_lshlrev_b32_e32 v15, 2, v15
	v_cmp_eq_u32_e32 vcc_lo, 0, v13
	s_mov_b32 s1, exec_lo
	s_waitcnt lgkmcnt(0)
	s_barrier
	v_add3_u32 v13, 0xe0, v16, v15
	buffer_gl0_inv
	v_cmpx_gt_u32_e32 64, v0
	s_cbranch_execz .LBB93_78
; %bb.64:
	s_and_saveexec_b32 s0, vcc_lo
	s_cbranch_execnz .LBB93_98
; %bb.65:
	s_or_b32 exec_lo, exec_lo, s0
	s_and_saveexec_b32 s0, vcc_lo
	s_cbranch_execnz .LBB93_99
.LBB93_66:
	s_or_b32 exec_lo, exec_lo, s0
	s_and_saveexec_b32 s0, vcc_lo
	s_cbranch_execnz .LBB93_100
.LBB93_67:
	s_or_b32 exec_lo, exec_lo, s0
	s_and_saveexec_b32 s0, vcc_lo
	s_cbranch_execnz .LBB93_101
.LBB93_68:
	s_or_b32 exec_lo, exec_lo, s0
	s_and_saveexec_b32 s0, vcc_lo
	s_cbranch_execnz .LBB93_102
.LBB93_69:
	s_or_b32 exec_lo, exec_lo, s0
	s_and_saveexec_b32 s0, vcc_lo
	s_cbranch_execnz .LBB93_103
.LBB93_70:
	s_or_b32 exec_lo, exec_lo, s0
	s_and_saveexec_b32 s0, vcc_lo
	s_cbranch_execnz .LBB93_104
.LBB93_71:
	s_or_b32 exec_lo, exec_lo, s0
	s_and_saveexec_b32 s0, vcc_lo
	s_cbranch_execnz .LBB93_105
.LBB93_72:
	s_or_b32 exec_lo, exec_lo, s0
	s_and_saveexec_b32 s0, vcc_lo
	s_cbranch_execnz .LBB93_106
.LBB93_73:
	s_or_b32 exec_lo, exec_lo, s0
	s_and_saveexec_b32 s0, vcc_lo
	s_cbranch_execnz .LBB93_107
.LBB93_74:
	s_or_b32 exec_lo, exec_lo, s0
	s_and_saveexec_b32 s0, vcc_lo
	s_cbranch_execnz .LBB93_108
.LBB93_75:
	s_or_b32 exec_lo, exec_lo, s0
	s_and_saveexec_b32 s0, vcc_lo
	s_cbranch_execz .LBB93_77
.LBB93_76:
	ds_read_b32 v15, v13 offset:352
	s_waitcnt lgkmcnt(0)
	v_add_f32_e32 v5, v5, v15
.LBB93_77:
	s_or_b32 exec_lo, exec_lo, s0
.LBB93_78:
	s_or_b32 exec_lo, exec_lo, s1
	v_and_b32_e32 v15, 0x3e3, v0
	s_mov_b32 s1, exec_lo
	s_barrier
	buffer_gl0_inv
	v_cmpx_eq_u32_e32 32, v15
	s_cbranch_execz .LBB93_80
; %bb.79:
	ds_write2_b32 v14, v12, v11 offset1:8
	ds_write2_b32 v14, v10, v9 offset0:16 offset1:24
	ds_write2_b32 v14, v8, v7 offset0:32 offset1:40
	;; [unrolled: 1-line block ×5, first 2 shown]
.LBB93_80:
	s_or_b32 exec_lo, exec_lo, s1
	s_mov_b32 s1, exec_lo
	s_waitcnt lgkmcnt(0)
	s_barrier
	buffer_gl0_inv
	v_cmpx_gt_u32_e32 32, v0
	s_cbranch_execz .LBB93_95
; %bb.81:
	s_and_saveexec_b32 s0, vcc_lo
	s_cbranch_execnz .LBB93_109
; %bb.82:
	s_or_b32 exec_lo, exec_lo, s0
	s_and_saveexec_b32 s0, vcc_lo
	s_cbranch_execnz .LBB93_110
.LBB93_83:
	s_or_b32 exec_lo, exec_lo, s0
	s_and_saveexec_b32 s0, vcc_lo
	s_cbranch_execnz .LBB93_111
.LBB93_84:
	s_or_b32 exec_lo, exec_lo, s0
	s_and_saveexec_b32 s0, vcc_lo
	s_cbranch_execnz .LBB93_112
.LBB93_85:
	s_or_b32 exec_lo, exec_lo, s0
	s_and_saveexec_b32 s0, vcc_lo
	s_cbranch_execnz .LBB93_113
.LBB93_86:
	s_or_b32 exec_lo, exec_lo, s0
	s_and_saveexec_b32 s0, vcc_lo
	s_cbranch_execnz .LBB93_114
.LBB93_87:
	s_or_b32 exec_lo, exec_lo, s0
	s_and_saveexec_b32 s0, vcc_lo
	s_cbranch_execnz .LBB93_115
.LBB93_88:
	s_or_b32 exec_lo, exec_lo, s0
	s_and_saveexec_b32 s0, vcc_lo
	s_cbranch_execnz .LBB93_116
.LBB93_89:
	s_or_b32 exec_lo, exec_lo, s0
	s_and_saveexec_b32 s0, vcc_lo
	s_cbranch_execnz .LBB93_117
.LBB93_90:
	s_or_b32 exec_lo, exec_lo, s0
	s_and_saveexec_b32 s0, vcc_lo
	s_cbranch_execnz .LBB93_118
.LBB93_91:
	s_or_b32 exec_lo, exec_lo, s0
	s_and_saveexec_b32 s0, vcc_lo
	s_cbranch_execnz .LBB93_119
.LBB93_92:
	s_or_b32 exec_lo, exec_lo, s0
	s_and_saveexec_b32 s0, vcc_lo
	s_cbranch_execz .LBB93_94
.LBB93_93:
	ds_read_b32 v13, v13 offset:352
	s_waitcnt lgkmcnt(0)
	v_add_f32_e32 v5, v5, v13
.LBB93_94:
	s_or_b32 exec_lo, exec_lo, s0
.LBB93_95:
	s_or_b32 exec_lo, exec_lo, s1
	s_barrier
	buffer_gl0_inv
	s_mov_b32 s0, exec_lo
	v_cmpx_eq_u32_e32 0, v15
	s_cbranch_execz .LBB93_97
; %bb.96:
	s_mul_i32 s0, s10, s11
	s_mul_i32 s2, s11, s20
	s_mul_i32 s0, s0, s9
	v_lshrrev_b32_e32 v0, 1, v0
	s_mulk_i32 s0, 0x60
	;;#ASMSTART
	v_cvt_f16_f32 v12, v12;

	;;#ASMEND
	s_ashr_i32 s1, s0, 31
	s_lshl_b64 s[0:1], s[0:1], 1
	s_add_u32 s4, s6, s0
	s_addc_u32 s5, s7, s1
	s_ashr_i32 s3, s2, 31
	s_lshl_b64 s[0:1], s[2:3], 1
	s_mul_i32 s2, s8, 0x60
	s_add_u32 s4, s4, s0
	s_addc_u32 s5, s5, s1
	s_ashr_i32 s3, s2, 31
	s_lshl_b64 s[0:1], s[2:3], 1
	s_add_u32 s0, s4, s0
	s_addc_u32 s1, s5, s1
	global_store_short v0, v12, s[0:1]
	;;#ASMSTART
	v_cvt_f16_f32 v11, v11;

	;;#ASMEND
	global_store_short v0, v11, s[0:1] offset:16
	;;#ASMSTART
	v_cvt_f16_f32 v10, v10;

	;;#ASMEND
	global_store_short v0, v10, s[0:1] offset:32
	;; [unrolled: 5-line block ×11, first 2 shown]
.LBB93_97:
	s_endpgm
.LBB93_98:
	ds_read_b32 v15, v13
	s_waitcnt lgkmcnt(0)
	v_add_f32_e32 v12, v12, v15
	s_or_b32 exec_lo, exec_lo, s0
	s_and_saveexec_b32 s0, vcc_lo
	s_cbranch_execz .LBB93_66
.LBB93_99:
	ds_read_b32 v15, v13 offset:32
	s_waitcnt lgkmcnt(0)
	v_add_f32_e32 v11, v11, v15
	s_or_b32 exec_lo, exec_lo, s0
	s_and_saveexec_b32 s0, vcc_lo
	s_cbranch_execz .LBB93_67
.LBB93_100:
	ds_read_b32 v15, v13 offset:64
	s_waitcnt lgkmcnt(0)
	v_add_f32_e32 v10, v10, v15
	s_or_b32 exec_lo, exec_lo, s0
	s_and_saveexec_b32 s0, vcc_lo
	s_cbranch_execz .LBB93_68
.LBB93_101:
	ds_read_b32 v15, v13 offset:96
	s_waitcnt lgkmcnt(0)
	v_add_f32_e32 v9, v9, v15
	s_or_b32 exec_lo, exec_lo, s0
	s_and_saveexec_b32 s0, vcc_lo
	s_cbranch_execz .LBB93_69
.LBB93_102:
	ds_read_b32 v15, v13 offset:128
	s_waitcnt lgkmcnt(0)
	v_add_f32_e32 v8, v8, v15
	s_or_b32 exec_lo, exec_lo, s0
	s_and_saveexec_b32 s0, vcc_lo
	s_cbranch_execz .LBB93_70
.LBB93_103:
	ds_read_b32 v15, v13 offset:160
	s_waitcnt lgkmcnt(0)
	v_add_f32_e32 v7, v7, v15
	s_or_b32 exec_lo, exec_lo, s0
	s_and_saveexec_b32 s0, vcc_lo
	s_cbranch_execz .LBB93_71
.LBB93_104:
	ds_read_b32 v15, v13 offset:192
	s_waitcnt lgkmcnt(0)
	v_add_f32_e32 v6, v6, v15
	s_or_b32 exec_lo, exec_lo, s0
	s_and_saveexec_b32 s0, vcc_lo
	s_cbranch_execz .LBB93_72
.LBB93_105:
	ds_read_b32 v15, v13 offset:224
	s_waitcnt lgkmcnt(0)
	v_add_f32_e32 v3, v3, v15
	s_or_b32 exec_lo, exec_lo, s0
	s_and_saveexec_b32 s0, vcc_lo
	s_cbranch_execz .LBB93_73
.LBB93_106:
	ds_read_b32 v15, v13 offset:256
	s_waitcnt lgkmcnt(0)
	v_add_f32_e32 v2, v2, v15
	s_or_b32 exec_lo, exec_lo, s0
	s_and_saveexec_b32 s0, vcc_lo
	s_cbranch_execz .LBB93_74
.LBB93_107:
	ds_read_b32 v15, v13 offset:288
	s_waitcnt lgkmcnt(0)
	v_add_f32_e32 v1, v1, v15
	s_or_b32 exec_lo, exec_lo, s0
	s_and_saveexec_b32 s0, vcc_lo
	s_cbranch_execz .LBB93_75
.LBB93_108:
	ds_read_b32 v15, v13 offset:320
	s_waitcnt lgkmcnt(0)
	v_add_f32_e32 v4, v4, v15
	s_or_b32 exec_lo, exec_lo, s0
	s_and_saveexec_b32 s0, vcc_lo
	s_cbranch_execnz .LBB93_76
	s_branch .LBB93_77
.LBB93_109:
	ds_read_b32 v14, v13
	s_waitcnt lgkmcnt(0)
	v_add_f32_e32 v12, v12, v14
	s_or_b32 exec_lo, exec_lo, s0
	s_and_saveexec_b32 s0, vcc_lo
	s_cbranch_execz .LBB93_83
.LBB93_110:
	ds_read_b32 v14, v13 offset:32
	s_waitcnt lgkmcnt(0)
	v_add_f32_e32 v11, v11, v14
	s_or_b32 exec_lo, exec_lo, s0
	s_and_saveexec_b32 s0, vcc_lo
	s_cbranch_execz .LBB93_84
.LBB93_111:
	ds_read_b32 v14, v13 offset:64
	s_waitcnt lgkmcnt(0)
	v_add_f32_e32 v10, v10, v14
	s_or_b32 exec_lo, exec_lo, s0
	s_and_saveexec_b32 s0, vcc_lo
	s_cbranch_execz .LBB93_85
.LBB93_112:
	ds_read_b32 v14, v13 offset:96
	s_waitcnt lgkmcnt(0)
	v_add_f32_e32 v9, v9, v14
	s_or_b32 exec_lo, exec_lo, s0
	s_and_saveexec_b32 s0, vcc_lo
	s_cbranch_execz .LBB93_86
.LBB93_113:
	ds_read_b32 v14, v13 offset:128
	s_waitcnt lgkmcnt(0)
	v_add_f32_e32 v8, v8, v14
	s_or_b32 exec_lo, exec_lo, s0
	s_and_saveexec_b32 s0, vcc_lo
	s_cbranch_execz .LBB93_87
.LBB93_114:
	ds_read_b32 v14, v13 offset:160
	s_waitcnt lgkmcnt(0)
	v_add_f32_e32 v7, v7, v14
	s_or_b32 exec_lo, exec_lo, s0
	s_and_saveexec_b32 s0, vcc_lo
	s_cbranch_execz .LBB93_88
.LBB93_115:
	ds_read_b32 v14, v13 offset:192
	s_waitcnt lgkmcnt(0)
	v_add_f32_e32 v6, v6, v14
	s_or_b32 exec_lo, exec_lo, s0
	s_and_saveexec_b32 s0, vcc_lo
	s_cbranch_execz .LBB93_89
.LBB93_116:
	ds_read_b32 v14, v13 offset:224
	s_waitcnt lgkmcnt(0)
	v_add_f32_e32 v3, v3, v14
	s_or_b32 exec_lo, exec_lo, s0
	s_and_saveexec_b32 s0, vcc_lo
	s_cbranch_execz .LBB93_90
.LBB93_117:
	ds_read_b32 v14, v13 offset:256
	s_waitcnt lgkmcnt(0)
	v_add_f32_e32 v2, v2, v14
	s_or_b32 exec_lo, exec_lo, s0
	s_and_saveexec_b32 s0, vcc_lo
	s_cbranch_execz .LBB93_91
.LBB93_118:
	ds_read_b32 v14, v13 offset:288
	s_waitcnt lgkmcnt(0)
	v_add_f32_e32 v1, v1, v14
	s_or_b32 exec_lo, exec_lo, s0
	s_and_saveexec_b32 s0, vcc_lo
	s_cbranch_execz .LBB93_92
.LBB93_119:
	ds_read_b32 v14, v13 offset:320
	s_waitcnt lgkmcnt(0)
	v_add_f32_e32 v4, v4, v14
	s_or_b32 exec_lo, exec_lo, s0
	s_and_saveexec_b32 s0, vcc_lo
	s_cbranch_execnz .LBB93_93
	s_branch .LBB93_94
	.section	.rodata,"a",@progbits
	.p2align	6, 0x0
	.amdhsa_kernel _ZN4vllm25paged_attention_v1_kernelIttLi96ELi32ELi128ELNS_18Fp8KVCacheDataTypeE0ELb1EEEvPT_PKS2_PKT0_S8_ifPKiSA_iPKfiiiSC_SC_iiiii
		.amdhsa_group_segment_fixed_size 224
		.amdhsa_private_segment_fixed_size 0
		.amdhsa_kernarg_size 384
		.amdhsa_user_sgpr_count 6
		.amdhsa_user_sgpr_private_segment_buffer 1
		.amdhsa_user_sgpr_dispatch_ptr 0
		.amdhsa_user_sgpr_queue_ptr 0
		.amdhsa_user_sgpr_kernarg_segment_ptr 1
		.amdhsa_user_sgpr_dispatch_id 0
		.amdhsa_user_sgpr_flat_scratch_init 0
		.amdhsa_user_sgpr_private_segment_size 0
		.amdhsa_wavefront_size32 1
		.amdhsa_uses_dynamic_stack 0
		.amdhsa_system_sgpr_private_segment_wavefront_offset 0
		.amdhsa_system_sgpr_workgroup_id_x 1
		.amdhsa_system_sgpr_workgroup_id_y 1
		.amdhsa_system_sgpr_workgroup_id_z 1
		.amdhsa_system_sgpr_workgroup_info 0
		.amdhsa_system_vgpr_workitem_id 0
		.amdhsa_next_free_vgpr 86
		.amdhsa_next_free_sgpr 38
		.amdhsa_reserve_vcc 1
		.amdhsa_reserve_flat_scratch 0
		.amdhsa_float_round_mode_32 0
		.amdhsa_float_round_mode_16_64 0
		.amdhsa_float_denorm_mode_32 3
		.amdhsa_float_denorm_mode_16_64 3
		.amdhsa_dx10_clamp 1
		.amdhsa_ieee_mode 1
		.amdhsa_fp16_overflow 0
		.amdhsa_workgroup_processor_mode 1
		.amdhsa_memory_ordered 1
		.amdhsa_forward_progress 1
		.amdhsa_shared_vgpr_count 0
		.amdhsa_exception_fp_ieee_invalid_op 0
		.amdhsa_exception_fp_denorm_src 0
		.amdhsa_exception_fp_ieee_div_zero 0
		.amdhsa_exception_fp_ieee_overflow 0
		.amdhsa_exception_fp_ieee_underflow 0
		.amdhsa_exception_fp_ieee_inexact 0
		.amdhsa_exception_int_div_zero 0
	.end_amdhsa_kernel
	.section	.text._ZN4vllm25paged_attention_v1_kernelIttLi96ELi32ELi128ELNS_18Fp8KVCacheDataTypeE0ELb1EEEvPT_PKS2_PKT0_S8_ifPKiSA_iPKfiiiSC_SC_iiiii,"axG",@progbits,_ZN4vllm25paged_attention_v1_kernelIttLi96ELi32ELi128ELNS_18Fp8KVCacheDataTypeE0ELb1EEEvPT_PKS2_PKT0_S8_ifPKiSA_iPKfiiiSC_SC_iiiii,comdat
.Lfunc_end93:
	.size	_ZN4vllm25paged_attention_v1_kernelIttLi96ELi32ELi128ELNS_18Fp8KVCacheDataTypeE0ELb1EEEvPT_PKS2_PKT0_S8_ifPKiSA_iPKfiiiSC_SC_iiiii, .Lfunc_end93-_ZN4vllm25paged_attention_v1_kernelIttLi96ELi32ELi128ELNS_18Fp8KVCacheDataTypeE0ELb1EEEvPT_PKS2_PKT0_S8_ifPKiSA_iPKfiiiSC_SC_iiiii
                                        ; -- End function
	.set _ZN4vllm25paged_attention_v1_kernelIttLi96ELi32ELi128ELNS_18Fp8KVCacheDataTypeE0ELb1EEEvPT_PKS2_PKT0_S8_ifPKiSA_iPKfiiiSC_SC_iiiii.num_vgpr, 86
	.set _ZN4vllm25paged_attention_v1_kernelIttLi96ELi32ELi128ELNS_18Fp8KVCacheDataTypeE0ELb1EEEvPT_PKS2_PKT0_S8_ifPKiSA_iPKfiiiSC_SC_iiiii.num_agpr, 0
	.set _ZN4vllm25paged_attention_v1_kernelIttLi96ELi32ELi128ELNS_18Fp8KVCacheDataTypeE0ELb1EEEvPT_PKS2_PKT0_S8_ifPKiSA_iPKfiiiSC_SC_iiiii.numbered_sgpr, 38
	.set _ZN4vllm25paged_attention_v1_kernelIttLi96ELi32ELi128ELNS_18Fp8KVCacheDataTypeE0ELb1EEEvPT_PKS2_PKT0_S8_ifPKiSA_iPKfiiiSC_SC_iiiii.num_named_barrier, 0
	.set _ZN4vllm25paged_attention_v1_kernelIttLi96ELi32ELi128ELNS_18Fp8KVCacheDataTypeE0ELb1EEEvPT_PKS2_PKT0_S8_ifPKiSA_iPKfiiiSC_SC_iiiii.private_seg_size, 0
	.set _ZN4vllm25paged_attention_v1_kernelIttLi96ELi32ELi128ELNS_18Fp8KVCacheDataTypeE0ELb1EEEvPT_PKS2_PKT0_S8_ifPKiSA_iPKfiiiSC_SC_iiiii.uses_vcc, 1
	.set _ZN4vllm25paged_attention_v1_kernelIttLi96ELi32ELi128ELNS_18Fp8KVCacheDataTypeE0ELb1EEEvPT_PKS2_PKT0_S8_ifPKiSA_iPKfiiiSC_SC_iiiii.uses_flat_scratch, 0
	.set _ZN4vllm25paged_attention_v1_kernelIttLi96ELi32ELi128ELNS_18Fp8KVCacheDataTypeE0ELb1EEEvPT_PKS2_PKT0_S8_ifPKiSA_iPKfiiiSC_SC_iiiii.has_dyn_sized_stack, 0
	.set _ZN4vllm25paged_attention_v1_kernelIttLi96ELi32ELi128ELNS_18Fp8KVCacheDataTypeE0ELb1EEEvPT_PKS2_PKT0_S8_ifPKiSA_iPKfiiiSC_SC_iiiii.has_recursion, 0
	.set _ZN4vllm25paged_attention_v1_kernelIttLi96ELi32ELi128ELNS_18Fp8KVCacheDataTypeE0ELb1EEEvPT_PKS2_PKT0_S8_ifPKiSA_iPKfiiiSC_SC_iiiii.has_indirect_call, 0
	.section	.AMDGPU.csdata,"",@progbits
; Kernel info:
; codeLenInByte = 15576
; TotalNumSgprs: 40
; NumVgprs: 86
; ScratchSize: 0
; MemoryBound: 0
; FloatMode: 240
; IeeeMode: 1
; LDSByteSize: 224 bytes/workgroup (compile time only)
; SGPRBlocks: 0
; VGPRBlocks: 10
; NumSGPRsForWavesPerEU: 40
; NumVGPRsForWavesPerEU: 86
; Occupancy: 10
; WaveLimiterHint : 1
; COMPUTE_PGM_RSRC2:SCRATCH_EN: 0
; COMPUTE_PGM_RSRC2:USER_SGPR: 6
; COMPUTE_PGM_RSRC2:TRAP_HANDLER: 0
; COMPUTE_PGM_RSRC2:TGID_X_EN: 1
; COMPUTE_PGM_RSRC2:TGID_Y_EN: 1
; COMPUTE_PGM_RSRC2:TGID_Z_EN: 1
; COMPUTE_PGM_RSRC2:TIDIG_COMP_CNT: 0
	.section	.text._ZN4vllm25paged_attention_v1_kernelIttLi112ELi32ELi128ELNS_18Fp8KVCacheDataTypeE0ELb1EEEvPT_PKS2_PKT0_S8_ifPKiSA_iPKfiiiSC_SC_iiiii,"axG",@progbits,_ZN4vllm25paged_attention_v1_kernelIttLi112ELi32ELi128ELNS_18Fp8KVCacheDataTypeE0ELb1EEEvPT_PKS2_PKT0_S8_ifPKiSA_iPKfiiiSC_SC_iiiii,comdat
	.protected	_ZN4vllm25paged_attention_v1_kernelIttLi112ELi32ELi128ELNS_18Fp8KVCacheDataTypeE0ELb1EEEvPT_PKS2_PKT0_S8_ifPKiSA_iPKfiiiSC_SC_iiiii ; -- Begin function _ZN4vllm25paged_attention_v1_kernelIttLi112ELi32ELi128ELNS_18Fp8KVCacheDataTypeE0ELb1EEEvPT_PKS2_PKT0_S8_ifPKiSA_iPKfiiiSC_SC_iiiii
	.globl	_ZN4vllm25paged_attention_v1_kernelIttLi112ELi32ELi128ELNS_18Fp8KVCacheDataTypeE0ELb1EEEvPT_PKS2_PKT0_S8_ifPKiSA_iPKfiiiSC_SC_iiiii
	.p2align	8
	.type	_ZN4vllm25paged_attention_v1_kernelIttLi112ELi32ELi128ELNS_18Fp8KVCacheDataTypeE0ELb1EEEvPT_PKS2_PKT0_S8_ifPKiSA_iPKfiiiSC_SC_iiiii,@function
_ZN4vllm25paged_attention_v1_kernelIttLi112ELi32ELi128ELNS_18Fp8KVCacheDataTypeE0ELb1EEEvPT_PKS2_PKT0_S8_ifPKiSA_iPKfiiiSC_SC_iiiii: ; @_ZN4vllm25paged_attention_v1_kernelIttLi112ELi32ELi128ELNS_18Fp8KVCacheDataTypeE0ELb1EEEvPT_PKS2_PKT0_S8_ifPKiSA_iPKfiiiSC_SC_iiiii
; %bb.0:
	s_clause 0x2
	s_load_dword s9, s[4:5], 0x80
	s_load_dwordx2 s[0:1], s[4:5], 0x30
	s_load_dwordx2 s[2:3], s[4:5], 0x20
	s_mov_b32 s10, s7
	s_ashr_i32 s11, s7, 31
	s_mov_b32 s31, 0
	s_lshl_b64 s[12:13], s[10:11], 2
	s_waitcnt lgkmcnt(0)
	s_add_u32 s0, s0, s12
	s_addc_u32 s1, s1, s13
	s_abs_i32 s7, s2
	s_abs_i32 s13, s9
	v_cvt_f32_u32_e32 v1, s7
	s_sub_i32 s12, 0, s7
	v_rcp_iflag_f32_e32 v1, v1
	v_mul_f32_e32 v1, 0x4f7ffffe, v1
	v_cvt_u32_f32_e32 v1, v1
	v_readfirstlane_b32 s11, v1
	s_mul_i32 s12, s12, s11
	s_mul_hi_u32 s12, s11, s12
	s_add_i32 s11, s11, s12
	s_xor_b32 s12, s9, s2
	s_mul_hi_u32 s11, s13, s11
	s_ashr_i32 s12, s12, 31
	s_mul_i32 s14, s11, s7
	s_sub_i32 s13, s13, s14
	s_add_i32 s14, s11, 1
	s_sub_i32 s15, s13, s7
	s_cmp_ge_u32 s13, s7
	s_cselect_b32 s11, s14, s11
	s_cselect_b32 s13, s15, s13
	s_add_i32 s14, s11, 1
	s_cmp_ge_u32 s13, s7
	s_cselect_b32 s7, s14, s11
	s_abs_i32 s22, s6
	s_xor_b32 s7, s7, s12
	s_sub_i32 s16, s7, s12
	s_load_dwordx2 s[12:13], s[4:5], 0x40
	s_abs_i32 s11, s16
	v_cvt_f32_u32_e32 v1, s11
	s_sub_i32 s14, 0, s11
	v_rcp_iflag_f32_e32 v1, v1
	v_mul_f32_e32 v1, 0x4f7ffffe, v1
	v_cvt_u32_f32_e32 v1, v1
	v_readfirstlane_b32 s7, v1
	s_mul_i32 s14, s14, s7
	s_mul_hi_u32 s14, s7, s14
	s_add_i32 s7, s7, s14
	s_waitcnt lgkmcnt(0)
	s_cmp_eq_u64 s[12:13], 0
	s_mul_hi_u32 s23, s22, s7
	s_cbranch_scc1 .LBB94_2
; %bb.1:
	s_ashr_i32 s7, s6, 31
	s_lshl_b64 s[14:15], s[6:7], 2
	s_add_u32 s12, s12, s14
	s_addc_u32 s13, s13, s15
	s_load_dword s31, s[12:13], 0x0
.LBB94_2:
	s_load_dword s28, s[0:1], 0x0
	s_load_dwordx4 s[12:15], s[4:5], 0x48
	v_lshlrev_b32_e32 v58, 4, v0
	s_ashr_i32 s0, s6, 31
	s_ashr_i32 s1, s16, 31
	s_mul_i32 s20, s6, 0x70
	s_mov_b32 s7, exec_lo
	v_cmpx_gt_u32_e32 14, v0
	s_cbranch_execz .LBB94_4
; %bb.3:
	s_load_dwordx2 s[16:17], s[4:5], 0x8
	s_waitcnt lgkmcnt(0)
	s_mul_i32 s18, s12, s10
	s_ashr_i32 s19, s18, 31
	s_lshl_b64 s[18:19], s[18:19], 1
	s_add_u32 s12, s16, s18
	s_addc_u32 s15, s17, s19
	s_ashr_i32 s21, s20, 31
	s_lshl_b64 s[16:17], s[20:21], 1
	s_add_u32 s16, s12, s16
	s_addc_u32 s17, s15, s17
	global_load_dwordx4 v[1:4], v58, s[16:17]
	s_waitcnt vmcnt(0)
	ds_write_b128 v58, v[1:4]
.LBB94_4:
	s_or_b32 exec_lo, exec_lo, s7
	s_load_dwordx4 s[16:19], s[4:5], 0x68
	s_mul_i32 s7, s23, s11
	s_xor_b32 s1, s0, s1
	s_sub_i32 s0, s22, s7
	s_add_i32 s7, s23, 1
	s_waitcnt lgkmcnt(0)
	s_sub_i32 s12, s0, s11
	s_cmp_ge_u32 s0, s11
	s_mov_b32 s24, -1
	s_cselect_b32 s7, s7, s23
	s_cselect_b32 s0, s12, s0
	s_add_i32 s12, s7, 1
	s_cmp_ge_u32 s0, s11
	s_load_dword s0, s[4:5], 0x78
	s_cselect_b32 s7, s12, s7
	s_add_i32 s11, s28, -1
	s_xor_b32 s7, s7, s1
	s_waitcnt lgkmcnt(0)
	s_sub_i32 s1, s7, s1
	s_barrier
	buffer_gl0_inv
	s_abs_i32 s12, s19
                                        ; implicit-def: $sgpr29
	v_cvt_f32_u32_e32 v1, s12
	s_sub_i32 s7, 0, s12
	v_rcp_iflag_f32_e32 v1, v1
	v_mul_f32_e32 v1, 0x4f7ffffe, v1
	v_cvt_u32_f32_e32 v1, v1
	v_readfirstlane_b32 s21, v1
	s_mul_i32 s7, s7, s21
	s_mul_hi_u32 s15, s21, s7
	s_abs_i32 s7, s11
	s_add_i32 s21, s21, s15
	s_cmp_lt_i32 s0, 0
	s_mul_hi_u32 s15, s7, s21
	s_cbranch_scc0 .LBB94_6
; %bb.5:
	s_mul_i32 s2, s16, s2
	s_mov_b32 s24, 0
	s_add_i32 s2, s1, s2
	s_mul_i32 s2, s2, s0
	s_sub_i32 s29, 1, s2
.LBB94_6:
	s_load_dwordx2 s[22:23], s[4:5], 0x28
	s_ashr_i32 s2, s11, 31
	s_andn2_b32 vcc_lo, exec_lo, s24
	s_ashr_i32 s19, s19, 31
	s_cbranch_vccnz .LBB94_8
; %bb.7:
	s_mul_i32 s11, s9, s16
	s_add_i32 s6, s11, s6
	s_mul_i32 s0, s6, s0
	s_add_i32 s29, s0, 1
.LBB94_8:
	s_load_dword s0, s[4:5], 0x38
	s_mul_i32 s6, s15, s12
	s_xor_b32 s2, s2, s19
	s_sub_i32 s30, s7, s6
	s_add_i32 s16, s15, 1
	s_clause 0x2
	s_load_dwordx2 s[6:7], s[4:5], 0x0
	s_load_dwordx2 s[26:27], s[4:5], 0x18
	s_load_dword s11, s[4:5], 0x88
	v_lshrrev_b32_e32 v55, 5, v0
	v_and_b32_e32 v56, 31, v0
	v_mov_b32_e32 v61, 0xff7fffff
	v_lshrrev_b32_e32 v59, 3, v0
	s_mul_i32 s14, s1, s14
	v_lshlrev_b32_e32 v57, 5, v55
	v_lshlrev_b32_e32 v60, 2, v56
	s_waitcnt lgkmcnt(0)
	s_mul_i32 s24, s0, s10
	s_sub_i32 s0, s30, s12
	s_ashr_i32 s25, s24, 31
	s_cmp_ge_u32 s30, s12
	s_cselect_b32 s15, s16, s15
	s_cselect_b32 s0, s0, s30
	s_add_i32 s16, s15, 1
	s_cmp_ge_u32 s0, s12
	s_cselect_b32 s0, s16, s15
	s_add_i32 s15, s28, 31
	s_ashr_i32 s16, s15, 31
	s_lshr_b32 s16, s16, 27
	s_add_i32 s15, s15, s16
	s_ashr_i32 s16, s15, 5
	s_xor_b32 s15, s0, s2
	v_cmp_gt_i32_e64 s0, s16, v55
	s_sub_i32 s30, s15, s2
	s_and_saveexec_b32 s33, s0
	s_cbranch_execz .LBB94_16
; %bb.9:
	s_load_dwordx2 s[34:35], s[4:5], 0x10
	s_ashr_i32 s15, s14, 31
	s_sub_i32 s4, s30, s17
	s_lshl_b64 s[36:37], s[14:15], 1
	v_subrev_nc_u32_e32 v4, s28, v56
	v_lshlrev_b32_e32 v2, 4, v56
	v_and_b32_e32 v3, 0x7c, v59
	v_lshl_or_b32 v6, v55, 7, v60
	v_mov_b32_e32 v62, 0
	v_add_nc_u32_e32 v65, 1, v4
	v_cmp_neq_f32_e64 vcc_lo, s31, 0
	v_lshlrev_b32_e32 v63, 5, v55
	v_mov_b32_e32 v64, 0xff7fffff
	v_mov_b32_e32 v61, 0xff7fffff
	v_add_nc_u32_e32 v66, 0x100, v6
	v_mov_b32_e32 v70, v55
	s_waitcnt lgkmcnt(0)
	s_add_u32 s1, s34, s36
	s_addc_u32 s2, s35, s37
	s_abs_i32 s5, s18
	s_lshl_b64 s[34:35], s[24:25], 2
	v_cvt_f32_u32_e32 v1, s5
	s_sub_i32 s15, 0, s5
	v_add_co_u32 v67, s1, s1, v2
	v_add_co_ci_u32_e64 v68, null, s2, 0, s1
	v_rcp_iflag_f32_e32 v1, v1
	s_add_u32 s1, s22, s34
	s_addc_u32 s2, s23, s35
	v_add_co_u32 v53, s1, s1, v3
	v_add_co_ci_u32_e64 v54, null, s2, 0, s1
	s_mov_b32 s34, s13
	v_mul_f32_e32 v1, 0x4f7ffffe, v1
	v_cvt_u32_f32_e32 v1, v1
	v_mul_lo_u32 v5, s15, v1
	s_mov_b32 s15, 0
	v_mul_hi_u32 v4, v1, v5
	v_add_nc_u32_e32 v69, v1, v4
	s_branch .LBB94_11
.LBB94_10:                              ;   in Loop: Header=BB94_11 Depth=1
	s_or_b32 exec_lo, exec_lo, s35
	v_add_nc_u32_e32 v70, 4, v70
	v_add_co_u32 v53, s2, v53, 16
	v_add_co_ci_u32_e64 v54, null, 0, v54, s2
	v_cmp_le_i32_e64 s1, s16, v70
	v_add_nc_u32_e32 v63, 0x80, v63
	v_add_nc_u32_e32 v66, 0x200, v66
	s_or_b32 s15, s1, s15
	s_andn2_b32 exec_lo, exec_lo, s15
	s_cbranch_execz .LBB94_15
.LBB94_11:                              ; =>This Inner Loop Header: Depth=1
	v_mul_hi_u32 v1, v63, s21
	v_mul_lo_u32 v2, v1, s12
	v_add_nc_u32_e32 v3, 1, v1
	v_sub_nc_u32_e32 v2, v63, v2
	v_subrev_nc_u32_e32 v4, s12, v2
	v_cmp_le_u32_e64 s1, s12, v2
	v_cndmask_b32_e64 v1, v1, v3, s1
	v_cndmask_b32_e64 v2, v2, v4, s1
	v_add_nc_u32_e32 v3, 1, v1
	v_cmp_le_u32_e64 s1, s12, v2
	v_cndmask_b32_e64 v1, v1, v3, s1
	v_xor_b32_e32 v1, s19, v1
	v_subrev_nc_u32_e32 v1, s19, v1
	v_add_nc_u32_e32 v2, s29, v1
	v_cmp_ge_i32_e64 s2, s4, v1
	v_sub_nc_u32_e32 v3, 0, v2
	v_max_i32_e32 v3, v2, v3
	v_ashrrev_i32_e32 v2, 31, v2
	v_mul_hi_u32 v4, v3, v69
	v_mul_lo_u32 v4, v4, s5
	v_sub_nc_u32_e32 v3, v3, v4
	v_subrev_nc_u32_e32 v4, s5, v3
	v_cmp_le_u32_e64 s1, s5, v3
	v_cndmask_b32_e64 v3, v3, v4, s1
	v_subrev_nc_u32_e32 v4, s5, v3
	v_cmp_le_u32_e64 s1, s5, v3
	v_cndmask_b32_e64 v3, v3, v4, s1
	v_xor_b32_e32 v3, v3, v2
	v_sub_nc_u32_e32 v2, v3, v2
	v_cmp_ne_u32_e64 s1, 0, v2
	s_and_b32 s1, s1, s2
	s_and_saveexec_b32 s2, s1
	s_xor_b32 s1, exec_lo, s2
; %bb.12:                               ;   in Loop: Header=BB94_11 Depth=1
	ds_write_b32 v66, v64
; %bb.13:                               ;   in Loop: Header=BB94_11 Depth=1
	s_andn2_saveexec_b32 s35, s1
	s_cbranch_execz .LBB94_10
; %bb.14:                               ;   in Loop: Header=BB94_11 Depth=1
	global_load_dword v1, v[53:54], off
	v_add_nc_u32_e32 v4, v65, v63
	v_add_nc_u32_e32 v3, v56, v63
	v_cvt_f32_i32_e32 v4, v4
	v_mul_f32_e32 v71, s31, v4
	v_cndmask_b32_e32 v71, 0, v71, vcc_lo
	s_waitcnt vmcnt(0)
	v_mad_i64_i32 v[1:2], null, v1, s34, 0
	v_lshlrev_b64 v[1:2], 1, v[1:2]
	v_add_co_u32 v1, s1, v67, v1
	v_add_co_ci_u32_e64 v2, null, v68, v2, s1
	v_cmp_gt_i32_e64 s1, s28, v3
	v_add_co_u32 v3, s2, 0x800, v1
	s_clause 0x3
	global_load_dwordx4 v[72:75], v[1:2], off
	global_load_dwordx4 v[49:52], v[1:2], off offset:512
	global_load_dwordx4 v[45:48], v[1:2], off offset:1024
	;; [unrolled: 1-line block ×3, first 2 shown]
	v_add_co_ci_u32_e64 v4, null, 0, v2, s2
	v_add_co_u32 v5, s2, v1, 0x1000
	v_add_co_ci_u32_e64 v6, null, 0, v2, s2
	s_clause 0x3
	global_load_dwordx4 v[37:40], v[5:6], off offset:-2048
	global_load_dwordx4 v[33:36], v[3:4], off offset:512
	global_load_dwordx4 v[29:32], v[3:4], off offset:1024
	;; [unrolled: 1-line block ×3, first 2 shown]
	v_add_co_u32 v3, s2, 0x1000, v1
	v_add_co_ci_u32_e64 v4, null, 0, v2, s2
	s_clause 0x3
	global_load_dwordx4 v[21:24], v[5:6], off
	global_load_dwordx4 v[17:20], v[3:4], off offset:512
	global_load_dwordx4 v[13:16], v[3:4], off offset:1024
	;; [unrolled: 1-line block ×3, first 2 shown]
	v_add_co_u32 v1, s2, 0x1800, v1
	v_add_co_ci_u32_e64 v2, null, 0, v2, s2
	s_clause 0x1
	global_load_dwordx4 v[5:8], v[1:2], off
	global_load_dwordx4 v[1:4], v[1:2], off offset:512
	ds_read_b128 v[76:79], v62
	s_waitcnt lgkmcnt(0)
	v_lshrrev_b32_e32 v80, 16, v76
	v_and_b32_e32 v76, 0xffff, v76
	;;#ASMSTART
	v_cvt_f32_f16 v76, v76;
	;;#ASMEND
	;;#ASMSTART
	v_cvt_f32_f16 v80, v80;
	;;#ASMEND
	s_waitcnt vmcnt(13)
	v_lshrrev_b32_e32 v82, 16, v72
	v_and_b32_e32 v72, 0xffff, v72
	;;#ASMSTART
	v_cvt_f32_f16 v81, v72;
	;;#ASMEND
	v_lshrrev_b32_e32 v72, 16, v77
	v_and_b32_e32 v77, 0xffff, v77
	;;#ASMSTART
	v_cvt_f32_f16 v82, v82;
	;;#ASMEND
	;;#ASMSTART
	v_cvt_f32_f16 v77, v77;
	;;#ASMEND
	;; [unrolled: 3-line block ×3, first 2 shown]
	v_lshrrev_b32_e32 v72, 16, v73
	v_and_b32_e32 v73, 0xffff, v73
	;;#ASMSTART
	v_cvt_f32_f16 v84, v73;
	;;#ASMEND
	;;#ASMSTART
	v_cvt_f32_f16 v85, v72;
	;;#ASMEND
	v_lshrrev_b32_e32 v72, 16, v78
	v_and_b32_e32 v73, 0xffff, v78
	;;#ASMSTART
	v_cvt_f32_f16 v78, v73;
	;;#ASMEND
	;;#ASMSTART
	v_cvt_f32_f16 v86, v72;
	;;#ASMEND
	;; [unrolled: 8-line block ×5, first 2 shown]
	ds_read_b128 v[72:75], v62 offset:16
	s_waitcnt vmcnt(12)
	v_lshrrev_b32_e32 v93, 16, v49
	v_and_b32_e32 v49, 0xffff, v49
	s_waitcnt lgkmcnt(0)
	v_lshrrev_b32_e32 v92, 16, v72
	v_and_b32_e32 v72, 0xffff, v72
	;;#ASMSTART
	v_cvt_f32_f16 v72, v72;
	;;#ASMEND
	;;#ASMSTART
	v_cvt_f32_f16 v92, v92;
	;;#ASMEND
	;; [unrolled: 3-line block ×3, first 2 shown]
	v_mul_f32_e32 v49, v72, v49
	;;#ASMSTART
	v_cvt_f32_f16 v93, v93;
	;;#ASMEND
	v_mul_f32_e32 v72, v92, v93
	v_fmac_f32_e32 v49, v76, v81
	v_lshrrev_b32_e32 v76, 16, v73
	v_and_b32_e32 v73, 0xffff, v73
	v_fmac_f32_e32 v72, v80, v82
	;;#ASMSTART
	v_cvt_f32_f16 v73, v73;
	;;#ASMEND
	v_lshrrev_b32_e32 v80, 16, v50
	v_and_b32_e32 v50, 0xffff, v50
	;;#ASMSTART
	v_cvt_f32_f16 v76, v76;
	;;#ASMEND
	;;#ASMSTART
	v_cvt_f32_f16 v50, v50;
	;;#ASMEND
	v_mul_f32_e32 v73, v73, v50
	;;#ASMSTART
	v_cvt_f32_f16 v80, v80;
	;;#ASMEND
	v_mul_f32_e32 v50, v76, v80
	v_lshrrev_b32_e32 v76, 16, v74
	v_and_b32_e32 v74, 0xffff, v74
	v_fmac_f32_e32 v73, v77, v84
	v_lshrrev_b32_e32 v77, 16, v51
	v_and_b32_e32 v51, 0xffff, v51
	;;#ASMSTART
	v_cvt_f32_f16 v74, v74;
	;;#ASMEND
	;;#ASMSTART
	v_cvt_f32_f16 v76, v76;
	;;#ASMEND
	;; [unrolled: 3-line block ×4, first 2 shown]
	v_mul_f32_e32 v74, v74, v51
	v_mul_f32_e32 v51, v76, v77
	v_lshrrev_b32_e32 v76, 16, v75
	v_and_b32_e32 v75, 0xffff, v75
	;;#ASMSTART
	v_cvt_f32_f16 v75, v75;
	;;#ASMEND
	v_lshrrev_b32_e32 v77, 16, v52
	v_and_b32_e32 v52, 0xffff, v52
	;;#ASMSTART
	v_cvt_f32_f16 v76, v76;
	;;#ASMEND
	;;#ASMSTART
	v_cvt_f32_f16 v52, v52;
	;;#ASMEND
	v_mul_f32_e32 v75, v75, v52
	;;#ASMSTART
	v_cvt_f32_f16 v77, v77;
	;;#ASMEND
	v_fmac_f32_e32 v74, v78, v87
	v_mul_f32_e32 v52, v76, v77
	v_fmac_f32_e32 v50, v83, v85
	v_fmac_f32_e32 v75, v79, v90
	ds_read_b128 v[76:79], v62 offset:32
	s_waitcnt vmcnt(11)
	v_lshrrev_b32_e32 v81, 16, v45
	v_and_b32_e32 v45, 0xffff, v45
	v_fmac_f32_e32 v51, v86, v88
	v_fmac_f32_e32 v52, v89, v91
	s_waitcnt lgkmcnt(0)
	v_lshrrev_b32_e32 v80, 16, v76
	v_and_b32_e32 v76, 0xffff, v76
	;;#ASMSTART
	v_cvt_f32_f16 v76, v76;
	;;#ASMEND
	;;#ASMSTART
	v_cvt_f32_f16 v80, v80;
	;;#ASMEND
	;; [unrolled: 3-line block ×3, first 2 shown]
	v_fmac_f32_e32 v49, v76, v45
	v_lshrrev_b32_e32 v76, 16, v77
	v_and_b32_e32 v45, 0xffff, v77
	v_lshrrev_b32_e32 v77, 16, v46
	v_and_b32_e32 v46, 0xffff, v46
	;;#ASMSTART
	v_cvt_f32_f16 v81, v81;
	;;#ASMEND
	;;#ASMSTART
	v_cvt_f32_f16 v45, v45;
	;;#ASMEND
	;; [unrolled: 3-line block ×5, first 2 shown]
	v_fmac_f32_e32 v73, v45, v46
	v_fmac_f32_e32 v50, v76, v77
	v_lshrrev_b32_e32 v46, 16, v78
	v_and_b32_e32 v45, 0xffff, v78
	v_lshrrev_b32_e32 v76, 16, v47
	v_and_b32_e32 v47, 0xffff, v47
	;;#ASMSTART
	v_cvt_f32_f16 v45, v45;
	;;#ASMEND
	;;#ASMSTART
	v_cvt_f32_f16 v46, v46;
	;;#ASMEND
	;; [unrolled: 3-line block ×4, first 2 shown]
	v_fmac_f32_e32 v74, v45, v47
	v_fmac_f32_e32 v51, v46, v76
	v_lshrrev_b32_e32 v46, 16, v79
	v_and_b32_e32 v45, 0xffff, v79
	v_and_b32_e32 v47, 0xffff, v48
	;;#ASMSTART
	v_cvt_f32_f16 v45, v45;
	;;#ASMEND
	;;#ASMSTART
	v_cvt_f32_f16 v46, v46;
	;;#ASMEND
	v_lshrrev_b32_e32 v76, 16, v48
	;;#ASMSTART
	v_cvt_f32_f16 v47, v47;
	;;#ASMEND
	;;#ASMSTART
	v_cvt_f32_f16 v48, v76;
	;;#ASMEND
	v_fmac_f32_e32 v75, v45, v47
	v_fmac_f32_e32 v52, v46, v48
	ds_read_b128 v[45:48], v62 offset:48
	s_waitcnt vmcnt(10)
	v_lshrrev_b32_e32 v77, 16, v41
	v_and_b32_e32 v41, 0xffff, v41
	v_fmac_f32_e32 v72, v80, v81
	s_waitcnt lgkmcnt(0)
	v_lshrrev_b32_e32 v76, 16, v45
	v_and_b32_e32 v45, 0xffff, v45
	;;#ASMSTART
	v_cvt_f32_f16 v45, v45;
	;;#ASMEND
	;;#ASMSTART
	v_cvt_f32_f16 v76, v76;
	;;#ASMEND
	;; [unrolled: 3-line block ×3, first 2 shown]
	v_fmac_f32_e32 v49, v45, v41
	v_lshrrev_b32_e32 v45, 16, v46
	v_and_b32_e32 v41, 0xffff, v46
	v_lshrrev_b32_e32 v46, 16, v42
	v_and_b32_e32 v42, 0xffff, v42
	;;#ASMSTART
	v_cvt_f32_f16 v77, v77;
	;;#ASMEND
	;;#ASMSTART
	v_cvt_f32_f16 v41, v41;
	;;#ASMEND
	;; [unrolled: 3-line block ×5, first 2 shown]
	v_fmac_f32_e32 v73, v41, v42
	v_fmac_f32_e32 v50, v45, v46
	v_lshrrev_b32_e32 v42, 16, v47
	v_and_b32_e32 v41, 0xffff, v47
	v_lshrrev_b32_e32 v45, 16, v43
	v_and_b32_e32 v43, 0xffff, v43
	;;#ASMSTART
	v_cvt_f32_f16 v41, v41;
	;;#ASMEND
	;;#ASMSTART
	v_cvt_f32_f16 v42, v42;
	;;#ASMEND
	;; [unrolled: 3-line block ×4, first 2 shown]
	v_fmac_f32_e32 v74, v41, v43
	v_fmac_f32_e32 v51, v42, v45
	v_lshrrev_b32_e32 v42, 16, v48
	v_and_b32_e32 v41, 0xffff, v48
	v_and_b32_e32 v43, 0xffff, v44
	;;#ASMSTART
	v_cvt_f32_f16 v41, v41;
	;;#ASMEND
	;;#ASMSTART
	v_cvt_f32_f16 v42, v42;
	;;#ASMEND
	v_lshrrev_b32_e32 v45, 16, v44
	;;#ASMSTART
	v_cvt_f32_f16 v43, v43;
	;;#ASMEND
	;;#ASMSTART
	v_cvt_f32_f16 v44, v45;
	;;#ASMEND
	v_fmac_f32_e32 v75, v41, v43
	v_fmac_f32_e32 v52, v42, v44
	ds_read_b128 v[41:44], v62 offset:64
	s_waitcnt vmcnt(9)
	v_lshrrev_b32_e32 v46, 16, v37
	v_and_b32_e32 v37, 0xffff, v37
	v_fmac_f32_e32 v72, v76, v77
	s_waitcnt lgkmcnt(0)
	v_lshrrev_b32_e32 v45, 16, v41
	v_and_b32_e32 v41, 0xffff, v41
	;;#ASMSTART
	v_cvt_f32_f16 v41, v41;
	;;#ASMEND
	;;#ASMSTART
	v_cvt_f32_f16 v45, v45;
	;;#ASMEND
	;; [unrolled: 3-line block ×3, first 2 shown]
	v_fmac_f32_e32 v49, v41, v37
	v_lshrrev_b32_e32 v41, 16, v42
	v_and_b32_e32 v37, 0xffff, v42
	v_lshrrev_b32_e32 v42, 16, v38
	v_and_b32_e32 v38, 0xffff, v38
	;;#ASMSTART
	v_cvt_f32_f16 v46, v46;
	;;#ASMEND
	;;#ASMSTART
	v_cvt_f32_f16 v37, v37;
	;;#ASMEND
	;; [unrolled: 3-line block ×5, first 2 shown]
	v_fmac_f32_e32 v73, v37, v38
	v_fmac_f32_e32 v50, v41, v42
	v_lshrrev_b32_e32 v38, 16, v43
	v_and_b32_e32 v37, 0xffff, v43
	v_lshrrev_b32_e32 v41, 16, v39
	v_and_b32_e32 v39, 0xffff, v39
	;;#ASMSTART
	v_cvt_f32_f16 v37, v37;
	;;#ASMEND
	;;#ASMSTART
	v_cvt_f32_f16 v38, v38;
	;;#ASMEND
	;; [unrolled: 3-line block ×4, first 2 shown]
	v_fmac_f32_e32 v74, v37, v39
	v_fmac_f32_e32 v51, v38, v41
	v_lshrrev_b32_e32 v38, 16, v44
	v_and_b32_e32 v37, 0xffff, v44
	v_and_b32_e32 v39, 0xffff, v40
	;;#ASMSTART
	v_cvt_f32_f16 v37, v37;
	;;#ASMEND
	;;#ASMSTART
	v_cvt_f32_f16 v38, v38;
	;;#ASMEND
	v_lshrrev_b32_e32 v41, 16, v40
	;;#ASMSTART
	v_cvt_f32_f16 v39, v39;
	;;#ASMEND
	;;#ASMSTART
	v_cvt_f32_f16 v40, v41;
	;;#ASMEND
	v_fmac_f32_e32 v75, v37, v39
	v_fmac_f32_e32 v52, v38, v40
	ds_read_b128 v[37:40], v62 offset:80
	s_waitcnt vmcnt(8)
	v_lshrrev_b32_e32 v42, 16, v33
	v_and_b32_e32 v33, 0xffff, v33
	v_fmac_f32_e32 v72, v45, v46
	s_waitcnt lgkmcnt(0)
	v_lshrrev_b32_e32 v41, 16, v37
	v_and_b32_e32 v37, 0xffff, v37
	;;#ASMSTART
	v_cvt_f32_f16 v37, v37;
	;;#ASMEND
	;;#ASMSTART
	v_cvt_f32_f16 v41, v41;
	;;#ASMEND
	;;#ASMSTART
	v_cvt_f32_f16 v33, v33;
	;;#ASMEND
	v_fmac_f32_e32 v49, v37, v33
	v_lshrrev_b32_e32 v37, 16, v38
	v_and_b32_e32 v33, 0xffff, v38
	v_lshrrev_b32_e32 v38, 16, v34
	v_and_b32_e32 v34, 0xffff, v34
	;;#ASMSTART
	v_cvt_f32_f16 v42, v42;
	;;#ASMEND
	;;#ASMSTART
	v_cvt_f32_f16 v33, v33;
	;;#ASMEND
	;; [unrolled: 3-line block ×5, first 2 shown]
	v_fmac_f32_e32 v73, v33, v34
	v_fmac_f32_e32 v50, v37, v38
	v_lshrrev_b32_e32 v34, 16, v39
	v_and_b32_e32 v33, 0xffff, v39
	v_lshrrev_b32_e32 v37, 16, v35
	v_and_b32_e32 v35, 0xffff, v35
	;;#ASMSTART
	v_cvt_f32_f16 v33, v33;
	;;#ASMEND
	;;#ASMSTART
	v_cvt_f32_f16 v34, v34;
	;;#ASMEND
	;; [unrolled: 3-line block ×4, first 2 shown]
	v_fmac_f32_e32 v74, v33, v35
	v_fmac_f32_e32 v51, v34, v37
	v_lshrrev_b32_e32 v34, 16, v40
	v_and_b32_e32 v33, 0xffff, v40
	v_and_b32_e32 v35, 0xffff, v36
	;;#ASMSTART
	v_cvt_f32_f16 v33, v33;
	;;#ASMEND
	;;#ASMSTART
	v_cvt_f32_f16 v34, v34;
	;;#ASMEND
	v_lshrrev_b32_e32 v37, 16, v36
	;;#ASMSTART
	v_cvt_f32_f16 v35, v35;
	;;#ASMEND
	;;#ASMSTART
	v_cvt_f32_f16 v36, v37;
	;;#ASMEND
	v_fmac_f32_e32 v75, v33, v35
	v_fmac_f32_e32 v52, v34, v36
	ds_read_b128 v[33:36], v62 offset:96
	s_waitcnt vmcnt(7)
	v_lshrrev_b32_e32 v38, 16, v29
	v_and_b32_e32 v29, 0xffff, v29
	v_fmac_f32_e32 v72, v41, v42
	s_waitcnt lgkmcnt(0)
	v_lshrrev_b32_e32 v37, 16, v33
	v_and_b32_e32 v33, 0xffff, v33
	;;#ASMSTART
	v_cvt_f32_f16 v33, v33;
	;;#ASMEND
	;;#ASMSTART
	v_cvt_f32_f16 v37, v37;
	;;#ASMEND
	;; [unrolled: 3-line block ×3, first 2 shown]
	v_fmac_f32_e32 v49, v33, v29
	v_lshrrev_b32_e32 v33, 16, v34
	v_and_b32_e32 v29, 0xffff, v34
	v_lshrrev_b32_e32 v34, 16, v30
	v_and_b32_e32 v30, 0xffff, v30
	;;#ASMSTART
	v_cvt_f32_f16 v38, v38;
	;;#ASMEND
	;;#ASMSTART
	v_cvt_f32_f16 v29, v29;
	;;#ASMEND
	;; [unrolled: 3-line block ×5, first 2 shown]
	v_fmac_f32_e32 v73, v29, v30
	v_fmac_f32_e32 v50, v33, v34
	v_lshrrev_b32_e32 v30, 16, v35
	v_and_b32_e32 v29, 0xffff, v35
	v_lshrrev_b32_e32 v33, 16, v31
	v_and_b32_e32 v31, 0xffff, v31
	;;#ASMSTART
	v_cvt_f32_f16 v29, v29;
	;;#ASMEND
	;;#ASMSTART
	v_cvt_f32_f16 v30, v30;
	;;#ASMEND
	;; [unrolled: 3-line block ×4, first 2 shown]
	v_fmac_f32_e32 v74, v29, v31
	v_fmac_f32_e32 v51, v30, v33
	v_lshrrev_b32_e32 v30, 16, v36
	v_and_b32_e32 v29, 0xffff, v36
	v_and_b32_e32 v31, 0xffff, v32
	;;#ASMSTART
	v_cvt_f32_f16 v29, v29;
	;;#ASMEND
	;;#ASMSTART
	v_cvt_f32_f16 v30, v30;
	;;#ASMEND
	v_lshrrev_b32_e32 v33, 16, v32
	;;#ASMSTART
	v_cvt_f32_f16 v31, v31;
	;;#ASMEND
	;;#ASMSTART
	v_cvt_f32_f16 v32, v33;
	;;#ASMEND
	v_fmac_f32_e32 v75, v29, v31
	v_fmac_f32_e32 v52, v30, v32
	ds_read_b128 v[29:32], v62 offset:112
	s_waitcnt vmcnt(6)
	v_lshrrev_b32_e32 v34, 16, v25
	v_and_b32_e32 v25, 0xffff, v25
	v_fmac_f32_e32 v72, v37, v38
	s_waitcnt lgkmcnt(0)
	v_lshrrev_b32_e32 v33, 16, v29
	v_and_b32_e32 v29, 0xffff, v29
	;;#ASMSTART
	v_cvt_f32_f16 v29, v29;
	;;#ASMEND
	;;#ASMSTART
	v_cvt_f32_f16 v33, v33;
	;;#ASMEND
	;; [unrolled: 3-line block ×3, first 2 shown]
	v_fmac_f32_e32 v49, v29, v25
	v_lshrrev_b32_e32 v29, 16, v30
	v_and_b32_e32 v25, 0xffff, v30
	v_lshrrev_b32_e32 v30, 16, v26
	v_and_b32_e32 v26, 0xffff, v26
	;;#ASMSTART
	v_cvt_f32_f16 v34, v34;
	;;#ASMEND
	;;#ASMSTART
	v_cvt_f32_f16 v25, v25;
	;;#ASMEND
	;;#ASMSTART
	v_cvt_f32_f16 v29, v29;
	;;#ASMEND
	;;#ASMSTART
	v_cvt_f32_f16 v26, v26;
	;;#ASMEND
	;;#ASMSTART
	v_cvt_f32_f16 v30, v30;
	;;#ASMEND
	v_fmac_f32_e32 v73, v25, v26
	v_fmac_f32_e32 v50, v29, v30
	v_lshrrev_b32_e32 v26, 16, v31
	v_and_b32_e32 v25, 0xffff, v31
	v_lshrrev_b32_e32 v29, 16, v27
	v_and_b32_e32 v27, 0xffff, v27
	;;#ASMSTART
	v_cvt_f32_f16 v25, v25;
	;;#ASMEND
	;;#ASMSTART
	v_cvt_f32_f16 v26, v26;
	;;#ASMEND
	;; [unrolled: 3-line block ×4, first 2 shown]
	v_fmac_f32_e32 v74, v25, v27
	v_fmac_f32_e32 v51, v26, v29
	v_lshrrev_b32_e32 v26, 16, v32
	v_and_b32_e32 v25, 0xffff, v32
	v_and_b32_e32 v27, 0xffff, v28
	;;#ASMSTART
	v_cvt_f32_f16 v25, v25;
	;;#ASMEND
	;;#ASMSTART
	v_cvt_f32_f16 v26, v26;
	;;#ASMEND
	v_lshrrev_b32_e32 v29, 16, v28
	;;#ASMSTART
	v_cvt_f32_f16 v27, v27;
	;;#ASMEND
	;;#ASMSTART
	v_cvt_f32_f16 v28, v29;
	;;#ASMEND
	v_fmac_f32_e32 v75, v25, v27
	v_fmac_f32_e32 v52, v26, v28
	ds_read_b128 v[25:28], v62 offset:128
	s_waitcnt vmcnt(5)
	v_lshrrev_b32_e32 v30, 16, v21
	v_and_b32_e32 v21, 0xffff, v21
	v_fmac_f32_e32 v72, v33, v34
	s_waitcnt lgkmcnt(0)
	v_lshrrev_b32_e32 v29, 16, v25
	v_and_b32_e32 v25, 0xffff, v25
	;;#ASMSTART
	v_cvt_f32_f16 v25, v25;
	;;#ASMEND
	;;#ASMSTART
	v_cvt_f32_f16 v29, v29;
	;;#ASMEND
	;; [unrolled: 3-line block ×3, first 2 shown]
	v_fmac_f32_e32 v49, v25, v21
	v_lshrrev_b32_e32 v25, 16, v26
	v_and_b32_e32 v21, 0xffff, v26
	v_lshrrev_b32_e32 v26, 16, v22
	v_and_b32_e32 v22, 0xffff, v22
	;;#ASMSTART
	v_cvt_f32_f16 v30, v30;
	;;#ASMEND
	;;#ASMSTART
	v_cvt_f32_f16 v21, v21;
	;;#ASMEND
	;; [unrolled: 3-line block ×5, first 2 shown]
	v_fmac_f32_e32 v73, v21, v22
	v_fmac_f32_e32 v50, v25, v26
	v_lshrrev_b32_e32 v22, 16, v27
	v_and_b32_e32 v21, 0xffff, v27
	v_lshrrev_b32_e32 v25, 16, v23
	v_and_b32_e32 v23, 0xffff, v23
	;;#ASMSTART
	v_cvt_f32_f16 v21, v21;
	;;#ASMEND
	;;#ASMSTART
	v_cvt_f32_f16 v22, v22;
	;;#ASMEND
	;;#ASMSTART
	v_cvt_f32_f16 v23, v23;
	;;#ASMEND
	;;#ASMSTART
	v_cvt_f32_f16 v25, v25;
	;;#ASMEND
	v_fmac_f32_e32 v74, v21, v23
	v_fmac_f32_e32 v51, v22, v25
	v_lshrrev_b32_e32 v22, 16, v28
	v_and_b32_e32 v21, 0xffff, v28
	v_and_b32_e32 v23, 0xffff, v24
	;;#ASMSTART
	v_cvt_f32_f16 v21, v21;
	;;#ASMEND
	;;#ASMSTART
	v_cvt_f32_f16 v22, v22;
	;;#ASMEND
	v_lshrrev_b32_e32 v25, 16, v24
	;;#ASMSTART
	v_cvt_f32_f16 v23, v23;
	;;#ASMEND
	;;#ASMSTART
	v_cvt_f32_f16 v24, v25;
	;;#ASMEND
	v_fmac_f32_e32 v75, v21, v23
	v_fmac_f32_e32 v52, v22, v24
	ds_read_b128 v[21:24], v62 offset:144
	s_waitcnt vmcnt(4)
	v_lshrrev_b32_e32 v26, 16, v17
	v_and_b32_e32 v17, 0xffff, v17
	v_fmac_f32_e32 v72, v29, v30
	s_waitcnt lgkmcnt(0)
	v_lshrrev_b32_e32 v25, 16, v21
	v_and_b32_e32 v21, 0xffff, v21
	;;#ASMSTART
	v_cvt_f32_f16 v21, v21;
	;;#ASMEND
	;;#ASMSTART
	v_cvt_f32_f16 v25, v25;
	;;#ASMEND
	;; [unrolled: 3-line block ×3, first 2 shown]
	v_fmac_f32_e32 v49, v21, v17
	v_lshrrev_b32_e32 v21, 16, v22
	v_and_b32_e32 v17, 0xffff, v22
	v_lshrrev_b32_e32 v22, 16, v18
	v_and_b32_e32 v18, 0xffff, v18
	;;#ASMSTART
	v_cvt_f32_f16 v26, v26;
	;;#ASMEND
	;;#ASMSTART
	v_cvt_f32_f16 v17, v17;
	;;#ASMEND
	;; [unrolled: 3-line block ×5, first 2 shown]
	v_fmac_f32_e32 v73, v17, v18
	v_fmac_f32_e32 v50, v21, v22
	v_lshrrev_b32_e32 v18, 16, v23
	v_and_b32_e32 v17, 0xffff, v23
	v_lshrrev_b32_e32 v21, 16, v19
	v_and_b32_e32 v19, 0xffff, v19
	;;#ASMSTART
	v_cvt_f32_f16 v17, v17;
	;;#ASMEND
	;;#ASMSTART
	v_cvt_f32_f16 v18, v18;
	;;#ASMEND
	;;#ASMSTART
	v_cvt_f32_f16 v19, v19;
	;;#ASMEND
	;;#ASMSTART
	v_cvt_f32_f16 v21, v21;
	;;#ASMEND
	v_fmac_f32_e32 v74, v17, v19
	v_fmac_f32_e32 v51, v18, v21
	v_lshrrev_b32_e32 v18, 16, v24
	v_and_b32_e32 v17, 0xffff, v24
	v_and_b32_e32 v19, 0xffff, v20
	;;#ASMSTART
	v_cvt_f32_f16 v17, v17;
	;;#ASMEND
	;;#ASMSTART
	v_cvt_f32_f16 v18, v18;
	;;#ASMEND
	v_lshrrev_b32_e32 v21, 16, v20
	;;#ASMSTART
	v_cvt_f32_f16 v19, v19;
	;;#ASMEND
	;;#ASMSTART
	v_cvt_f32_f16 v20, v21;
	;;#ASMEND
	v_fmac_f32_e32 v75, v17, v19
	v_fmac_f32_e32 v52, v18, v20
	ds_read_b128 v[17:20], v62 offset:160
	s_waitcnt vmcnt(3)
	v_lshrrev_b32_e32 v22, 16, v13
	v_and_b32_e32 v13, 0xffff, v13
	v_fmac_f32_e32 v72, v25, v26
	s_waitcnt lgkmcnt(0)
	v_lshrrev_b32_e32 v21, 16, v17
	v_and_b32_e32 v17, 0xffff, v17
	;;#ASMSTART
	v_cvt_f32_f16 v17, v17;
	;;#ASMEND
	;;#ASMSTART
	v_cvt_f32_f16 v21, v21;
	;;#ASMEND
	;; [unrolled: 3-line block ×3, first 2 shown]
	v_fmac_f32_e32 v49, v17, v13
	v_lshrrev_b32_e32 v17, 16, v18
	v_and_b32_e32 v13, 0xffff, v18
	v_lshrrev_b32_e32 v18, 16, v14
	v_and_b32_e32 v14, 0xffff, v14
	;;#ASMSTART
	v_cvt_f32_f16 v22, v22;
	;;#ASMEND
	;;#ASMSTART
	v_cvt_f32_f16 v13, v13;
	;;#ASMEND
	;; [unrolled: 3-line block ×5, first 2 shown]
	v_fmac_f32_e32 v73, v13, v14
	v_fmac_f32_e32 v50, v17, v18
	v_lshrrev_b32_e32 v14, 16, v19
	v_and_b32_e32 v13, 0xffff, v19
	v_lshrrev_b32_e32 v17, 16, v15
	v_and_b32_e32 v15, 0xffff, v15
	;;#ASMSTART
	v_cvt_f32_f16 v13, v13;
	;;#ASMEND
	;;#ASMSTART
	v_cvt_f32_f16 v14, v14;
	;;#ASMEND
	;; [unrolled: 3-line block ×4, first 2 shown]
	v_fmac_f32_e32 v74, v13, v15
	v_fmac_f32_e32 v51, v14, v17
	v_lshrrev_b32_e32 v14, 16, v20
	v_and_b32_e32 v13, 0xffff, v20
	v_and_b32_e32 v15, 0xffff, v16
	;;#ASMSTART
	v_cvt_f32_f16 v13, v13;
	;;#ASMEND
	;;#ASMSTART
	v_cvt_f32_f16 v14, v14;
	;;#ASMEND
	v_lshrrev_b32_e32 v17, 16, v16
	;;#ASMSTART
	v_cvt_f32_f16 v15, v15;
	;;#ASMEND
	;;#ASMSTART
	v_cvt_f32_f16 v16, v17;
	;;#ASMEND
	v_fmac_f32_e32 v75, v13, v15
	v_fmac_f32_e32 v52, v14, v16
	ds_read_b128 v[13:16], v62 offset:176
	s_waitcnt vmcnt(2)
	v_lshrrev_b32_e32 v18, 16, v9
	v_and_b32_e32 v9, 0xffff, v9
	v_fmac_f32_e32 v72, v21, v22
	s_waitcnt lgkmcnt(0)
	v_lshrrev_b32_e32 v17, 16, v13
	v_and_b32_e32 v13, 0xffff, v13
	;;#ASMSTART
	v_cvt_f32_f16 v13, v13;
	;;#ASMEND
	;;#ASMSTART
	v_cvt_f32_f16 v17, v17;
	;;#ASMEND
	;; [unrolled: 3-line block ×3, first 2 shown]
	v_fmac_f32_e32 v49, v13, v9
	v_lshrrev_b32_e32 v13, 16, v14
	v_and_b32_e32 v9, 0xffff, v14
	v_lshrrev_b32_e32 v14, 16, v10
	v_and_b32_e32 v10, 0xffff, v10
	;;#ASMSTART
	v_cvt_f32_f16 v18, v18;
	;;#ASMEND
	;;#ASMSTART
	v_cvt_f32_f16 v9, v9;
	;;#ASMEND
	;; [unrolled: 3-line block ×5, first 2 shown]
	v_fmac_f32_e32 v73, v9, v10
	v_fmac_f32_e32 v50, v13, v14
	v_lshrrev_b32_e32 v10, 16, v15
	v_and_b32_e32 v9, 0xffff, v15
	v_lshrrev_b32_e32 v13, 16, v11
	v_and_b32_e32 v11, 0xffff, v11
	;;#ASMSTART
	v_cvt_f32_f16 v9, v9;
	;;#ASMEND
	;;#ASMSTART
	v_cvt_f32_f16 v10, v10;
	;;#ASMEND
	;; [unrolled: 3-line block ×4, first 2 shown]
	v_fmac_f32_e32 v74, v9, v11
	v_fmac_f32_e32 v51, v10, v13
	v_lshrrev_b32_e32 v10, 16, v16
	v_and_b32_e32 v9, 0xffff, v16
	v_and_b32_e32 v11, 0xffff, v12
	;;#ASMSTART
	v_cvt_f32_f16 v9, v9;
	;;#ASMEND
	;;#ASMSTART
	v_cvt_f32_f16 v10, v10;
	;;#ASMEND
	v_lshrrev_b32_e32 v13, 16, v12
	;;#ASMSTART
	v_cvt_f32_f16 v11, v11;
	;;#ASMEND
	;;#ASMSTART
	v_cvt_f32_f16 v12, v13;
	;;#ASMEND
	v_fmac_f32_e32 v75, v9, v11
	v_fmac_f32_e32 v52, v10, v12
	ds_read_b128 v[9:12], v62 offset:192
	s_waitcnt vmcnt(1)
	v_lshrrev_b32_e32 v14, 16, v5
	v_and_b32_e32 v5, 0xffff, v5
	v_fmac_f32_e32 v72, v17, v18
	s_waitcnt lgkmcnt(0)
	v_lshrrev_b32_e32 v13, 16, v9
	v_and_b32_e32 v9, 0xffff, v9
	;;#ASMSTART
	v_cvt_f32_f16 v9, v9;
	;;#ASMEND
	;;#ASMSTART
	v_cvt_f32_f16 v13, v13;
	;;#ASMEND
	;; [unrolled: 3-line block ×3, first 2 shown]
	v_fmac_f32_e32 v49, v9, v5
	v_lshrrev_b32_e32 v9, 16, v10
	v_and_b32_e32 v5, 0xffff, v10
	v_lshrrev_b32_e32 v10, 16, v6
	v_and_b32_e32 v6, 0xffff, v6
	;;#ASMSTART
	v_cvt_f32_f16 v14, v14;
	;;#ASMEND
	;;#ASMSTART
	v_cvt_f32_f16 v5, v5;
	;;#ASMEND
	;; [unrolled: 3-line block ×5, first 2 shown]
	v_fmac_f32_e32 v73, v5, v6
	v_fmac_f32_e32 v50, v9, v10
	v_lshrrev_b32_e32 v6, 16, v11
	v_and_b32_e32 v5, 0xffff, v11
	v_lshrrev_b32_e32 v9, 16, v7
	v_and_b32_e32 v7, 0xffff, v7
	;;#ASMSTART
	v_cvt_f32_f16 v5, v5;
	;;#ASMEND
	;;#ASMSTART
	v_cvt_f32_f16 v6, v6;
	;;#ASMEND
	;; [unrolled: 3-line block ×4, first 2 shown]
	v_fmac_f32_e32 v74, v5, v7
	v_fmac_f32_e32 v51, v6, v9
	v_lshrrev_b32_e32 v6, 16, v12
	v_and_b32_e32 v5, 0xffff, v12
	v_and_b32_e32 v7, 0xffff, v8
	;;#ASMSTART
	v_cvt_f32_f16 v5, v5;
	;;#ASMEND
	;;#ASMSTART
	v_cvt_f32_f16 v6, v6;
	;;#ASMEND
	v_lshrrev_b32_e32 v9, 16, v8
	;;#ASMSTART
	v_cvt_f32_f16 v7, v7;
	;;#ASMEND
	;;#ASMSTART
	v_cvt_f32_f16 v8, v9;
	;;#ASMEND
	v_fmac_f32_e32 v75, v5, v7
	v_fmac_f32_e32 v52, v6, v8
	ds_read_b128 v[5:8], v62 offset:208
	v_fmac_f32_e32 v72, v13, v14
	s_waitcnt vmcnt(0)
	v_lshrrev_b32_e32 v10, 16, v1
	v_and_b32_e32 v1, 0xffff, v1
	s_waitcnt lgkmcnt(0)
	v_lshrrev_b32_e32 v9, 16, v5
	v_and_b32_e32 v5, 0xffff, v5
	;;#ASMSTART
	v_cvt_f32_f16 v5, v5;
	;;#ASMEND
	;;#ASMSTART
	v_cvt_f32_f16 v9, v9;
	;;#ASMEND
	;; [unrolled: 3-line block ×3, first 2 shown]
	v_fmac_f32_e32 v49, v5, v1
	v_and_b32_e32 v1, 0xffff, v6
	;;#ASMSTART
	v_cvt_f32_f16 v10, v10;
	;;#ASMEND
	v_fmac_f32_e32 v72, v9, v10
	v_lshrrev_b32_e32 v5, 16, v6
	;;#ASMSTART
	v_cvt_f32_f16 v1, v1;
	;;#ASMEND
	v_lshrrev_b32_e32 v6, 16, v2
	v_and_b32_e32 v2, 0xffff, v2
	;;#ASMSTART
	v_cvt_f32_f16 v5, v5;
	;;#ASMEND
	;;#ASMSTART
	v_cvt_f32_f16 v2, v2;
	;;#ASMEND
	v_fmac_f32_e32 v73, v1, v2
	v_and_b32_e32 v1, 0xffff, v7
	;;#ASMSTART
	v_cvt_f32_f16 v6, v6;
	;;#ASMEND
	v_fmac_f32_e32 v50, v5, v6
	v_lshrrev_b32_e32 v2, 16, v7
	;;#ASMSTART
	v_cvt_f32_f16 v1, v1;
	;;#ASMEND
	v_lshrrev_b32_e32 v5, 16, v3
	v_and_b32_e32 v3, 0xffff, v3
	;;#ASMSTART
	v_cvt_f32_f16 v2, v2;
	;;#ASMEND
	;;#ASMSTART
	v_cvt_f32_f16 v3, v3;
	;;#ASMEND
	v_fmac_f32_e32 v74, v1, v3
	v_and_b32_e32 v1, 0xffff, v8
	;;#ASMSTART
	v_cvt_f32_f16 v5, v5;
	;;#ASMEND
	v_fmac_f32_e32 v51, v2, v5
	v_lshrrev_b32_e32 v2, 16, v8
	;;#ASMSTART
	v_cvt_f32_f16 v1, v1;
	;;#ASMEND
	v_and_b32_e32 v3, 0xffff, v4
	;;#ASMSTART
	v_cvt_f32_f16 v2, v2;
	;;#ASMEND
	;;#ASMSTART
	v_cvt_f32_f16 v3, v3;
	;;#ASMEND
	v_fmac_f32_e32 v75, v1, v3
	v_add_f32_e32 v1, v49, v72
	v_lshrrev_b32_e32 v5, 16, v4
	;;#ASMSTART
	v_cvt_f32_f16 v4, v5;
	;;#ASMEND
	v_fmac_f32_e32 v52, v2, v4
	v_add_f32_e32 v1, v1, v73
	v_add_f32_e32 v1, v50, v1
	;; [unrolled: 1-line block ×6, first 2 shown]
	v_fmac_f32_e32 v71, s3, v1
	v_cndmask_b32_e64 v1, 0, v71, s1
	ds_write_b32 v66, v1
	v_max_f32_e32 v1, v61, v61
	v_max_f32_e32 v1, v1, v71
	v_cndmask_b32_e64 v61, v61, v1, s1
	s_branch .LBB94_10
.LBB94_15:
	s_or_b32 exec_lo, exec_lo, s15
.LBB94_16:
	s_or_b32 exec_lo, exec_lo, s33
	v_mbcnt_lo_u32_b32 v2, -1, 0
	v_max_f32_e32 v5, v61, v61
	v_xor_b32_e32 v1, 16, v2
	v_xor_b32_e32 v4, 8, v2
	v_cmp_gt_i32_e32 vcc_lo, 32, v1
	v_cndmask_b32_e32 v1, v2, v1, vcc_lo
	v_cmp_gt_i32_e32 vcc_lo, 32, v4
	v_lshlrev_b32_e32 v1, 2, v1
	v_cndmask_b32_e32 v4, v2, v4, vcc_lo
	ds_bpermute_b32 v3, v1, v61
	s_waitcnt lgkmcnt(0)
	v_max_f32_e32 v6, v3, v3
	v_lshlrev_b32_e32 v3, 2, v4
	v_max_f32_e32 v5, v5, v6
	v_xor_b32_e32 v6, 4, v2
	ds_bpermute_b32 v4, v3, v5
	v_cmp_gt_i32_e32 vcc_lo, 32, v6
	v_cndmask_b32_e32 v6, v2, v6, vcc_lo
	s_waitcnt lgkmcnt(0)
	v_max_f32_e32 v7, v4, v4
	v_lshlrev_b32_e32 v4, 2, v6
	v_max_f32_e32 v5, v5, v7
	v_xor_b32_e32 v7, 2, v2
	ds_bpermute_b32 v6, v4, v5
	v_cmp_gt_i32_e32 vcc_lo, 32, v7
	v_cndmask_b32_e32 v7, v2, v7, vcc_lo
	v_lshlrev_b32_e32 v12, 2, v7
	v_xor_b32_e32 v7, 1, v2
	v_cmp_gt_i32_e32 vcc_lo, 32, v7
	s_waitcnt lgkmcnt(0)
	v_max_f32_e32 v6, v6, v6
	v_cndmask_b32_e32 v7, v2, v7, vcc_lo
	v_cmp_eq_u32_e32 vcc_lo, 0, v56
	v_max_f32_e32 v5, v5, v6
	v_lshlrev_b32_e32 v11, 2, v7
	ds_bpermute_b32 v6, v12, v5
	s_waitcnt lgkmcnt(0)
	v_max_f32_e32 v6, v6, v6
	v_max_f32_e32 v2, v5, v6
	v_lshlrev_b32_e32 v5, 2, v55
	ds_bpermute_b32 v6, v11, v2
	s_and_saveexec_b32 s1, vcc_lo
	s_cbranch_execz .LBB94_18
; %bb.17:
	s_waitcnt lgkmcnt(0)
	v_max_f32_e32 v6, v6, v6
	v_max_f32_e32 v2, v2, v2
	;; [unrolled: 1-line block ×3, first 2 shown]
	ds_write_b32 v5, v2 offset:224
.LBB94_18:
	s_or_b32 exec_lo, exec_lo, s1
	v_cmp_gt_u32_e64 s1, 4, v56
	v_mov_b32_e32 v2, 0xff7fffff
	s_waitcnt lgkmcnt(0)
	s_barrier
	buffer_gl0_inv
	s_and_saveexec_b32 s2, s1
; %bb.19:
	ds_read_b32 v2, v60 offset:224
; %bb.20:
	s_or_b32 exec_lo, exec_lo, s2
	s_waitcnt lgkmcnt(0)
	ds_bpermute_b32 v6, v12, v2
	v_max_f32_e32 v2, v2, v2
	s_lshl_b32 s2, s16, 5
	s_min_i32 s4, s2, s28
	v_cmp_gt_i32_e64 s2, s4, v0
	s_waitcnt lgkmcnt(0)
	v_max_f32_e32 v6, v6, v6
	v_max_f32_e32 v2, v2, v6
	ds_bpermute_b32 v6, v11, v2
	s_waitcnt lgkmcnt(0)
	v_max_f32_e32 v6, v6, v6
	v_max_f32_e32 v2, v2, v6
	v_mov_b32_e32 v6, 0
	ds_bpermute_b32 v7, v6, v2
	v_lshl_add_u32 v2, v0, 2, 0x100
	s_and_saveexec_b32 s5, s2
	s_cbranch_execz .LBB94_24
; %bb.21:
	v_lshl_add_u32 v8, v0, 2, 0x100
	v_mov_b32_e32 v6, 0
	v_mov_b32_e32 v9, v0
	s_mov_b32 s15, 0
	.p2align	6
.LBB94_22:                              ; =>This Inner Loop Header: Depth=1
	ds_read_b32 v10, v8
	v_add_nc_u32_e32 v9, 0x80, v9
	v_cmp_le_i32_e64 s3, s4, v9
	s_or_b32 s15, s3, s15
	s_waitcnt lgkmcnt(0)
	v_sub_f32_e32 v10, v10, v7
	v_mul_f32_e32 v10, 0x3fb8aa3b, v10
	v_exp_f32_e32 v10, v10
	ds_write_b32 v8, v10
	v_add_f32_e32 v6, v6, v10
	v_add_nc_u32_e32 v8, 0x200, v8
	s_andn2_b32 exec_lo, exec_lo, s15
	s_cbranch_execnz .LBB94_22
; %bb.23:
	s_or_b32 exec_lo, exec_lo, s15
.LBB94_24:
	s_or_b32 exec_lo, exec_lo, s5
	ds_bpermute_b32 v1, v1, v6
	s_waitcnt lgkmcnt(0)
	v_add_f32_e32 v1, v6, v1
	ds_bpermute_b32 v3, v3, v1
	s_waitcnt lgkmcnt(0)
	v_add_f32_e32 v1, v1, v3
	;; [unrolled: 3-line block ×5, first 2 shown]
	s_and_saveexec_b32 s3, vcc_lo
; %bb.25:
	ds_write_b32 v5, v1 offset:240
; %bb.26:
	s_or_b32 exec_lo, exec_lo, s3
	s_waitcnt lgkmcnt(0)
	s_barrier
	buffer_gl0_inv
	s_and_saveexec_b32 s3, s1
; %bb.27:
	ds_read_b32 v1, v60 offset:240
; %bb.28:
	s_or_b32 exec_lo, exec_lo, s3
	s_waitcnt lgkmcnt(0)
	ds_bpermute_b32 v3, v12, v1
	s_waitcnt lgkmcnt(0)
	v_add_f32_e32 v1, v1, v3
	ds_bpermute_b32 v3, v11, v1
	s_waitcnt lgkmcnt(0)
	v_add_f32_e32 v1, v1, v3
	v_mov_b32_e32 v3, 0
	ds_bpermute_b32 v1, v3, v1
	s_and_saveexec_b32 s1, s2
	s_cbranch_execz .LBB94_31
; %bb.29:
	s_waitcnt lgkmcnt(0)
	v_add_f32_e32 v1, 0x358637bd, v1
	s_mov_b32 s2, 0
	v_div_scale_f32 v3, null, v1, v1, 1.0
	v_div_scale_f32 v6, vcc_lo, 1.0, v1, 1.0
	v_rcp_f32_e32 v4, v3
	v_fma_f32 v5, -v3, v4, 1.0
	v_fmac_f32_e32 v4, v5, v4
	v_mul_f32_e32 v5, v6, v4
	v_fma_f32 v7, -v3, v5, v6
	v_fmac_f32_e32 v5, v7, v4
	v_fma_f32 v3, -v3, v5, v6
	v_div_fmas_f32 v3, v3, v4, v5
	v_div_fixup_f32 v1, v3, v1, 1.0
	v_mov_b32_e32 v3, v0
.LBB94_30:                              ; =>This Inner Loop Header: Depth=1
	ds_read_b32 v4, v2
	v_add_nc_u32_e32 v3, 0x80, v3
	v_cmp_le_i32_e32 vcc_lo, s4, v3
	s_or_b32 s2, vcc_lo, s2
	s_waitcnt lgkmcnt(0)
	v_mul_f32_e32 v4, v1, v4
	ds_write_b32 v2, v4
	v_add_nc_u32_e32 v2, 0x200, v2
	s_andn2_b32 exec_lo, exec_lo, s2
	s_cbranch_execnz .LBB94_30
.LBB94_31:
	s_or_b32 exec_lo, exec_lo, s1
	v_mov_b32_e32 v26, 0
	v_and_b32_e32 v13, 3, v0
	v_mov_b32_e32 v27, 0
	v_mov_b32_e32 v25, 0
	;; [unrolled: 1-line block ×13, first 2 shown]
	s_waitcnt lgkmcnt(0)
	s_barrier
	buffer_gl0_inv
	s_and_saveexec_b32 s2, s0
	s_cbranch_execz .LBB94_65
; %bb.32:
	s_ashr_i32 s15, s14, 31
	s_sub_i32 s3, s30, s17
	s_lshl_b64 s[0:1], s[14:15], 1
	v_lshlrev_b32_e32 v2, 3, v0
	s_add_u32 s14, s26, s0
	s_addc_u32 s15, s27, s1
	s_abs_i32 s4, s18
	v_lshlrev_b32_e32 v5, 5, v13
	v_cvt_f32_u32_e32 v1, s4
	s_sub_i32 s0, 0, s4
	v_and_b32_e32 v29, 24, v2
	v_and_b32_e32 v3, 0x1f0, v58
	;; [unrolled: 1-line block ×3, first 2 shown]
	v_rcp_iflag_f32_e32 v1, v1
	v_lshl_or_b32 v5, v55, 7, v5
	s_add_i32 s5, s16, -1
	v_add_co_u32 v30, s14, s14, v3
	v_mov_b32_e32 v28, 0
	v_add_nc_u32_e32 v32, 0x100, v5
	v_mov_b32_e32 v14, 0
	v_mov_b32_e32 v15, 0
	;; [unrolled: 1-line block ×3, first 2 shown]
	v_mul_f32_e32 v1, 0x4f7ffffe, v1
	v_mov_b32_e32 v17, 0
	v_mov_b32_e32 v18, 0
	;; [unrolled: 1-line block ×4, first 2 shown]
	v_cvt_u32_f32_e32 v1, v1
	v_mov_b32_e32 v21, 0
	v_mov_b32_e32 v22, 0
	;; [unrolled: 1-line block ×4, first 2 shown]
	v_mul_lo_u32 v2, s0, v1
	s_lshl_b64 s[0:1], s[24:25], 2
	v_mov_b32_e32 v25, 0
	s_add_u32 s0, s22, s0
	s_addc_u32 s1, s23, s1
	v_add_co_u32 v5, s0, s0, v4
	v_mov_b32_e32 v27, 0
	v_mul_hi_u32 v2, v1, v2
	v_mov_b32_e32 v26, 0
	v_add_co_ci_u32_e64 v31, null, s15, 0, s14
	v_add_co_ci_u32_e64 v6, null, s1, 0, s0
	v_mov_b32_e32 v34, v55
	s_mov_b32 s14, s13
	v_add_nc_u32_e32 v33, v1, v2
	s_mov_b32 s13, 0
	s_branch .LBB94_35
.LBB94_33:                              ;   in Loop: Header=BB94_35 Depth=1
	s_or_b32 exec_lo, exec_lo, s1
	v_add_f32_e32 v9, v9, v10
	v_add_f32_e32 v10, v70, v71
	;; [unrolled: 1-line block ×3, first 2 shown]
	v_lshlrev_b32_e32 v8, 16, v8
	v_lshlrev_b32_e32 v7, 16, v7
	v_add_f32_e32 v16, v16, v9
	v_add_f32_e32 v17, v17, v10
	v_lshlrev_b32_e32 v10, 16, v72
	v_add_f32_e32 v15, v15, v35
	v_add_f32_e32 v9, v66, v67
	;; [unrolled: 1-line block ×3, first 2 shown]
	v_and_or_b32 v2, 0xffff, v2, v8
	v_and_or_b32 v1, 0xffff, v1, v10
	;; [unrolled: 1-line block ×3, first 2 shown]
	;;#ASMSTART
	v_pk_mul_f16 v1, v40, v1;

	;;#ASMEND
	;;#ASMSTART
	v_pk_mul_f16 v2, v38, v2;

	;;#ASMEND
	;; [unrolled: 4-line block ×4, first 2 shown]
	;;#ASMSTART
	v_pk_add_f16 v1, v1, v2;

	;;#ASMEND
	;;#ASMSTART
	v_pk_add_f16 v1, v1, v3;

	;;#ASMEND
	;; [unrolled: 4-line block ×3, first 2 shown]
	v_and_b32_e32 v4, 0xffff, v1
	v_lshrrev_b32_e32 v8, 16, v1
	;;#ASMSTART
	v_cvt_f32_f16 v4, v4;
	;;#ASMEND
	v_add_f32_e32 v36, v68, v69
	v_add_f32_e32 v37, v62, v63
	;; [unrolled: 1-line block ×10, first 2 shown]
	;;#ASMSTART
	v_cvt_f32_f16 v8, v8;
	;;#ASMEND
	v_add_f32_e32 v4, v4, v8
	v_add_f32_e32 v18, v18, v36
	;; [unrolled: 1-line block ×10, first 2 shown]
.LBB94_34:                              ;   in Loop: Header=BB94_35 Depth=1
	s_or_b32 exec_lo, exec_lo, s15
	v_add_nc_u32_e32 v34, 4, v34
	v_add_co_u32 v5, s0, v5, 16
	v_add_co_ci_u32_e64 v6, null, 0, v6, s0
	v_cmp_le_i32_e32 vcc_lo, s16, v34
	v_add_nc_u32_e32 v57, 0x80, v57
	v_add_nc_u32_e32 v32, 0x200, v32
	s_or_b32 s13, vcc_lo, s13
	s_andn2_b32 exec_lo, exec_lo, s13
	s_cbranch_execz .LBB94_64
.LBB94_35:                              ; =>This Inner Loop Header: Depth=1
	v_mul_hi_u32 v1, v57, s21
	v_mul_lo_u32 v2, v1, s12
	v_add_nc_u32_e32 v3, 1, v1
	v_sub_nc_u32_e32 v2, v57, v2
	v_subrev_nc_u32_e32 v4, s12, v2
	v_cmp_le_u32_e32 vcc_lo, s12, v2
	v_cndmask_b32_e32 v1, v1, v3, vcc_lo
	v_cndmask_b32_e32 v2, v2, v4, vcc_lo
	v_add_nc_u32_e32 v3, 1, v1
	v_cmp_le_u32_e32 vcc_lo, s12, v2
	v_cndmask_b32_e32 v1, v1, v3, vcc_lo
	v_xor_b32_e32 v1, s19, v1
	v_subrev_nc_u32_e32 v1, s19, v1
	v_add_nc_u32_e32 v2, s29, v1
	v_cmp_lt_i32_e64 s0, s3, v1
	v_sub_nc_u32_e32 v3, 0, v2
	v_max_i32_e32 v3, v2, v3
	v_ashrrev_i32_e32 v2, 31, v2
	v_mul_hi_u32 v4, v3, v33
	v_mul_lo_u32 v4, v4, s4
	v_sub_nc_u32_e32 v3, v3, v4
	v_subrev_nc_u32_e32 v4, s4, v3
	v_cmp_le_u32_e32 vcc_lo, s4, v3
	v_cndmask_b32_e32 v3, v3, v4, vcc_lo
	v_subrev_nc_u32_e32 v4, s4, v3
	v_cmp_le_u32_e32 vcc_lo, s4, v3
	v_cndmask_b32_e32 v3, v3, v4, vcc_lo
	v_xor_b32_e32 v3, v3, v2
	v_sub_nc_u32_e32 v2, v3, v2
	v_cmp_eq_u32_e32 vcc_lo, 0, v2
	s_or_b32 s0, vcc_lo, s0
	s_and_saveexec_b32 s15, s0
	s_cbranch_execz .LBB94_34
; %bb.36:                               ;   in Loop: Header=BB94_35 Depth=1
	global_load_dword v7, v[5:6], off
	ds_read2_b64 v[1:4], v32 offset1:1
	ds_read2_b64 v[46:49], v32 offset0:2 offset1:3
	v_add_nc_u32_e32 v43, v29, v57
	v_cmp_eq_u32_e64 s0, s5, v34
	s_waitcnt lgkmcnt(1)
	;;#ASMSTART
	v_cvt_f16_f32 v40, v1;

	;;#ASMEND
	;;#ASMSTART
	v_cvt_f16_f32 v38, v2;

	;;#ASMEND
	;;#ASMSTART
	v_cvt_f16_f32 v45, v3;

	;;#ASMEND
	;;#ASMSTART
	v_cvt_f16_f32 v42, v4;

	;;#ASMEND
	s_waitcnt lgkmcnt(0)
	;;#ASMSTART
	v_cvt_f16_f32 v46, v46;

	;;#ASMEND
	;;#ASMSTART
	v_cvt_f16_f32 v10, v47;

	;;#ASMEND
	;;#ASMSTART
	v_cvt_f16_f32 v44, v48;

	;;#ASMEND
	;;#ASMSTART
	v_cvt_f16_f32 v9, v49;

	;;#ASMEND
	v_add_nc_u32_e32 v48, 1, v43
	v_add_nc_u32_e32 v41, 2, v43
	;; [unrolled: 1-line block ×7, first 2 shown]
	s_waitcnt vmcnt(0)
	v_mad_i64_i32 v[7:8], null, v7, s14, 0
	v_lshlrev_b64 v[7:8], 1, v[7:8]
	v_add_co_u32 v7, vcc_lo, v30, v7
	v_add_co_ci_u32_e64 v8, null, v31, v8, vcc_lo
	global_load_dwordx4 v[1:4], v[7:8], off
	s_waitcnt vmcnt(0)
	v_lshrrev_b32_e32 v51, 16, v1
	v_lshrrev_b32_e32 v50, 16, v2
	;; [unrolled: 1-line block ×3, first 2 shown]
	s_and_saveexec_b32 s17, s0
	s_cbranch_execz .LBB94_38
; %bb.37:                               ;   in Loop: Header=BB94_35 Depth=1
	v_cmp_gt_i32_e32 vcc_lo, s28, v43
	v_and_b32_e32 v52, 0xffff0000, v4
	v_cmp_gt_i32_e64 s1, s28, v41
	v_cndmask_b32_e32 v1, 0, v1, vcc_lo
	v_cmp_gt_i32_e32 vcc_lo, s28, v48
	v_cndmask_b32_e64 v2, 0, v2, s1
	v_cmp_gt_i32_e64 s1, s28, v39
	v_cndmask_b32_e32 v51, 0, v51, vcc_lo
	v_cmp_gt_i32_e32 vcc_lo, s28, v47
	v_cndmask_b32_e64 v50, 0, v50, s1
	v_cndmask_b32_sdwa v4, v28, v4, vcc_lo dst_sel:DWORD dst_unused:UNUSED_PAD src0_sel:DWORD src1_sel:WORD_0
	v_cmp_gt_i32_e32 vcc_lo, s28, v37
	v_cndmask_b32_e32 v52, 0, v52, vcc_lo
	v_cmp_gt_i32_e32 vcc_lo, s28, v36
	v_or_b32_e32 v4, v4, v52
	v_cndmask_b32_e32 v3, 0, v3, vcc_lo
	v_cmp_gt_i32_e32 vcc_lo, s28, v35
	v_cndmask_b32_e32 v49, 0, v49, vcc_lo
.LBB94_38:                              ;   in Loop: Header=BB94_35 Depth=1
	s_or_b32 exec_lo, exec_lo, s17
	v_and_b32_e32 v40, 0xffff, v40
	v_and_b32_e32 v45, 0xffff, v45
	v_lshlrev_b32_e32 v51, 16, v51
	v_lshlrev_b32_e32 v49, 16, v49
	v_and_b32_e32 v46, 0xffff, v46
	v_lshl_or_b32 v40, v38, 16, v40
	v_lshl_or_b32 v38, v42, 16, v45
	v_lshlrev_b32_e32 v42, 16, v50
	v_and_b32_e32 v44, 0xffff, v44
	v_and_or_b32 v1, 0xffff, v1, v51
	v_and_or_b32 v3, 0xffff, v3, v49
	;;#ASMSTART
	v_pk_mul_f16 v1, v40, v1;

	;;#ASMEND
	v_and_or_b32 v2, 0xffff, v2, v42
	v_lshl_or_b32 v45, v10, 16, v46
	v_lshl_or_b32 v46, v9, 16, v44
	;;#ASMSTART
	v_pk_mul_f16 v2, v38, v2;

	;;#ASMEND
	;;#ASMSTART
	v_pk_mul_f16 v3, v45, v3;

	;;#ASMEND
	;; [unrolled: 4-line block ×3, first 2 shown]
	;;#ASMSTART
	v_pk_add_f16 v1, v1, v2;

	;;#ASMEND
	;;#ASMSTART
	v_pk_add_f16 v1, v1, v3;

	;;#ASMEND
	;; [unrolled: 4-line block ×3, first 2 shown]
	v_and_b32_e32 v2, 0xffff, v1
	v_lshrrev_b32_e32 v1, 16, v1
	;;#ASMSTART
	v_cvt_f32_f16 v42, v2;
	;;#ASMEND
	;;#ASMSTART
	v_cvt_f32_f16 v44, v1;
	;;#ASMEND
	global_load_dwordx4 v[1:4], v[7:8], off offset:512
	s_waitcnt vmcnt(0)
	v_lshrrev_b32_e32 v49, 16, v1
	v_lshrrev_b32_e32 v10, 16, v2
	;; [unrolled: 1-line block ×3, first 2 shown]
	s_and_saveexec_b32 s17, s0
	s_cbranch_execz .LBB94_40
; %bb.39:                               ;   in Loop: Header=BB94_35 Depth=1
	v_cmp_gt_i32_e32 vcc_lo, s28, v43
	v_and_b32_e32 v50, 0xffff0000, v4
	v_cmp_gt_i32_e64 s1, s28, v41
	v_cndmask_b32_e32 v1, 0, v1, vcc_lo
	v_cmp_gt_i32_e32 vcc_lo, s28, v48
	v_cndmask_b32_e64 v2, 0, v2, s1
	v_cmp_gt_i32_e64 s1, s28, v39
	v_cndmask_b32_e32 v49, 0, v49, vcc_lo
	v_cmp_gt_i32_e32 vcc_lo, s28, v47
	v_cndmask_b32_e64 v10, 0, v10, s1
	v_cndmask_b32_sdwa v4, v28, v4, vcc_lo dst_sel:DWORD dst_unused:UNUSED_PAD src0_sel:DWORD src1_sel:WORD_0
	v_cmp_gt_i32_e32 vcc_lo, s28, v37
	v_cndmask_b32_e32 v50, 0, v50, vcc_lo
	v_cmp_gt_i32_e32 vcc_lo, s28, v36
	v_or_b32_e32 v4, v4, v50
	v_cndmask_b32_e32 v3, 0, v3, vcc_lo
	v_cmp_gt_i32_e32 vcc_lo, s28, v35
	v_cndmask_b32_e32 v9, 0, v9, vcc_lo
.LBB94_40:                              ;   in Loop: Header=BB94_35 Depth=1
	s_or_b32 exec_lo, exec_lo, s17
	v_lshlrev_b32_e32 v49, 16, v49
	v_lshlrev_b32_e32 v10, 16, v10
	;; [unrolled: 1-line block ×3, first 2 shown]
	v_and_or_b32 v1, 0xffff, v1, v49
	v_and_or_b32 v2, 0xffff, v2, v10
	;; [unrolled: 1-line block ×3, first 2 shown]
	;;#ASMSTART
	v_pk_mul_f16 v1, v40, v1;

	;;#ASMEND
	;;#ASMSTART
	v_pk_mul_f16 v2, v38, v2;

	;;#ASMEND
	;; [unrolled: 4-line block ×4, first 2 shown]
	;;#ASMSTART
	v_pk_add_f16 v1, v1, v2;

	;;#ASMEND
	;;#ASMSTART
	v_pk_add_f16 v1, v1, v3;

	;;#ASMEND
	;; [unrolled: 4-line block ×3, first 2 shown]
	v_and_b32_e32 v2, 0xffff, v1
	v_lshrrev_b32_e32 v1, 16, v1
	;;#ASMSTART
	v_cvt_f32_f16 v49, v2;
	;;#ASMEND
	;;#ASMSTART
	v_cvt_f32_f16 v50, v1;
	;;#ASMEND
	global_load_dwordx4 v[1:4], v[7:8], off offset:1024
	s_waitcnt vmcnt(0)
	v_lshrrev_b32_e32 v51, 16, v1
	v_lshrrev_b32_e32 v10, 16, v2
	v_lshrrev_b32_e32 v9, 16, v3
	s_and_saveexec_b32 s17, s0
	s_cbranch_execz .LBB94_42
; %bb.41:                               ;   in Loop: Header=BB94_35 Depth=1
	v_cmp_gt_i32_e32 vcc_lo, s28, v43
	v_and_b32_e32 v52, 0xffff0000, v4
	v_cmp_gt_i32_e64 s1, s28, v41
	v_cndmask_b32_e32 v1, 0, v1, vcc_lo
	v_cmp_gt_i32_e32 vcc_lo, s28, v48
	v_cndmask_b32_e64 v2, 0, v2, s1
	v_cmp_gt_i32_e64 s1, s28, v39
	v_cndmask_b32_e32 v51, 0, v51, vcc_lo
	v_cmp_gt_i32_e32 vcc_lo, s28, v47
	v_cndmask_b32_e64 v10, 0, v10, s1
	v_cndmask_b32_sdwa v4, v28, v4, vcc_lo dst_sel:DWORD dst_unused:UNUSED_PAD src0_sel:DWORD src1_sel:WORD_0
	v_cmp_gt_i32_e32 vcc_lo, s28, v37
	v_cndmask_b32_e32 v52, 0, v52, vcc_lo
	v_cmp_gt_i32_e32 vcc_lo, s28, v36
	v_or_b32_e32 v4, v4, v52
	v_cndmask_b32_e32 v3, 0, v3, vcc_lo
	v_cmp_gt_i32_e32 vcc_lo, s28, v35
	v_cndmask_b32_e32 v9, 0, v9, vcc_lo
.LBB94_42:                              ;   in Loop: Header=BB94_35 Depth=1
	s_or_b32 exec_lo, exec_lo, s17
	v_lshlrev_b32_e32 v51, 16, v51
	v_lshlrev_b32_e32 v10, 16, v10
	;; [unrolled: 1-line block ×3, first 2 shown]
	v_and_or_b32 v1, 0xffff, v1, v51
	v_and_or_b32 v2, 0xffff, v2, v10
	;; [unrolled: 1-line block ×3, first 2 shown]
	;;#ASMSTART
	v_pk_mul_f16 v1, v40, v1;

	;;#ASMEND
	;;#ASMSTART
	v_pk_mul_f16 v2, v38, v2;

	;;#ASMEND
	;; [unrolled: 4-line block ×4, first 2 shown]
	;;#ASMSTART
	v_pk_add_f16 v1, v1, v2;

	;;#ASMEND
	;;#ASMSTART
	v_pk_add_f16 v1, v1, v3;

	;;#ASMEND
	;; [unrolled: 4-line block ×3, first 2 shown]
	v_and_b32_e32 v2, 0xffff, v1
	v_lshrrev_b32_e32 v1, 16, v1
	;;#ASMSTART
	v_cvt_f32_f16 v51, v2;
	;;#ASMEND
	;;#ASMSTART
	v_cvt_f32_f16 v52, v1;
	;;#ASMEND
	global_load_dwordx4 v[1:4], v[7:8], off offset:1536
	s_waitcnt vmcnt(0)
	v_lshrrev_b32_e32 v53, 16, v1
	v_lshrrev_b32_e32 v10, 16, v2
	;; [unrolled: 1-line block ×3, first 2 shown]
	s_and_saveexec_b32 s17, s0
	s_cbranch_execz .LBB94_44
; %bb.43:                               ;   in Loop: Header=BB94_35 Depth=1
	v_cmp_gt_i32_e32 vcc_lo, s28, v43
	v_and_b32_e32 v54, 0xffff0000, v4
	v_cmp_gt_i32_e64 s1, s28, v41
	v_cndmask_b32_e32 v1, 0, v1, vcc_lo
	v_cmp_gt_i32_e32 vcc_lo, s28, v48
	v_cndmask_b32_e64 v2, 0, v2, s1
	v_cmp_gt_i32_e64 s1, s28, v39
	v_cndmask_b32_e32 v53, 0, v53, vcc_lo
	v_cmp_gt_i32_e32 vcc_lo, s28, v47
	v_cndmask_b32_e64 v10, 0, v10, s1
	v_cndmask_b32_sdwa v4, v28, v4, vcc_lo dst_sel:DWORD dst_unused:UNUSED_PAD src0_sel:DWORD src1_sel:WORD_0
	v_cmp_gt_i32_e32 vcc_lo, s28, v37
	v_cndmask_b32_e32 v54, 0, v54, vcc_lo
	v_cmp_gt_i32_e32 vcc_lo, s28, v36
	v_or_b32_e32 v4, v4, v54
	v_cndmask_b32_e32 v3, 0, v3, vcc_lo
	v_cmp_gt_i32_e32 vcc_lo, s28, v35
	v_cndmask_b32_e32 v9, 0, v9, vcc_lo
.LBB94_44:                              ;   in Loop: Header=BB94_35 Depth=1
	s_or_b32 exec_lo, exec_lo, s17
	v_lshlrev_b32_e32 v9, 16, v9
	v_lshlrev_b32_e32 v53, 16, v53
	;; [unrolled: 1-line block ×3, first 2 shown]
	v_and_or_b32 v3, 0xffff, v3, v9
	v_add_co_u32 v9, vcc_lo, 0x800, v7
	v_and_or_b32 v1, 0xffff, v1, v53
	v_and_or_b32 v2, 0xffff, v2, v10
	;;#ASMSTART
	v_pk_mul_f16 v1, v40, v1;

	;;#ASMEND
	v_add_co_ci_u32_e64 v10, null, 0, v8, vcc_lo
	;;#ASMSTART
	v_pk_mul_f16 v2, v38, v2;

	;;#ASMEND
	;;#ASMSTART
	v_pk_mul_f16 v3, v45, v3;

	;;#ASMEND
	;; [unrolled: 4-line block ×3, first 2 shown]
	;;#ASMSTART
	v_pk_add_f16 v1, v1, v2;

	;;#ASMEND
	;;#ASMSTART
	v_pk_add_f16 v1, v1, v3;

	;;#ASMEND
	;; [unrolled: 4-line block ×3, first 2 shown]
	v_lshrrev_b32_e32 v2, 16, v1
	v_and_b32_e32 v1, 0xffff, v1
	;;#ASMSTART
	v_cvt_f32_f16 v53, v1;
	;;#ASMEND
	;;#ASMSTART
	v_cvt_f32_f16 v54, v2;
	;;#ASMEND
	global_load_dwordx4 v[1:4], v[9:10], off
	s_waitcnt vmcnt(0)
	v_lshrrev_b32_e32 v60, 16, v1
	v_lshrrev_b32_e32 v59, 16, v2
	;; [unrolled: 1-line block ×3, first 2 shown]
	s_and_saveexec_b32 s17, s0
	s_cbranch_execz .LBB94_46
; %bb.45:                               ;   in Loop: Header=BB94_35 Depth=1
	v_cmp_gt_i32_e32 vcc_lo, s28, v43
	v_and_b32_e32 v61, 0xffff0000, v4
	v_cmp_gt_i32_e64 s1, s28, v41
	v_cndmask_b32_e32 v1, 0, v1, vcc_lo
	v_cmp_gt_i32_e32 vcc_lo, s28, v48
	v_cndmask_b32_e64 v2, 0, v2, s1
	v_cmp_gt_i32_e64 s1, s28, v39
	v_cndmask_b32_e32 v60, 0, v60, vcc_lo
	v_cmp_gt_i32_e32 vcc_lo, s28, v47
	v_cndmask_b32_e64 v59, 0, v59, s1
	v_cndmask_b32_sdwa v4, v28, v4, vcc_lo dst_sel:DWORD dst_unused:UNUSED_PAD src0_sel:DWORD src1_sel:WORD_0
	v_cmp_gt_i32_e32 vcc_lo, s28, v37
	v_cndmask_b32_e32 v61, 0, v61, vcc_lo
	v_cmp_gt_i32_e32 vcc_lo, s28, v36
	v_or_b32_e32 v4, v4, v61
	v_cndmask_b32_e32 v3, 0, v3, vcc_lo
	v_cmp_gt_i32_e32 vcc_lo, s28, v35
	v_cndmask_b32_e32 v58, 0, v58, vcc_lo
.LBB94_46:                              ;   in Loop: Header=BB94_35 Depth=1
	s_or_b32 exec_lo, exec_lo, s17
	v_lshlrev_b32_e32 v60, 16, v60
	v_lshlrev_b32_e32 v59, 16, v59
	;; [unrolled: 1-line block ×3, first 2 shown]
	v_and_or_b32 v1, 0xffff, v1, v60
	v_and_or_b32 v2, 0xffff, v2, v59
	;; [unrolled: 1-line block ×3, first 2 shown]
	;;#ASMSTART
	v_pk_mul_f16 v1, v40, v1;

	;;#ASMEND
	;;#ASMSTART
	v_pk_mul_f16 v2, v38, v2;

	;;#ASMEND
	;; [unrolled: 4-line block ×4, first 2 shown]
	;;#ASMSTART
	v_pk_add_f16 v1, v1, v2;

	;;#ASMEND
	;;#ASMSTART
	v_pk_add_f16 v1, v1, v3;

	;;#ASMEND
	;; [unrolled: 4-line block ×3, first 2 shown]
	v_and_b32_e32 v2, 0xffff, v1
	v_lshrrev_b32_e32 v1, 16, v1
	;;#ASMSTART
	v_cvt_f32_f16 v58, v2;
	;;#ASMEND
	;;#ASMSTART
	v_cvt_f32_f16 v59, v1;
	;;#ASMEND
	global_load_dwordx4 v[1:4], v[9:10], off offset:512
	s_waitcnt vmcnt(0)
	v_lshrrev_b32_e32 v62, 16, v1
	v_lshrrev_b32_e32 v61, 16, v2
	;; [unrolled: 1-line block ×3, first 2 shown]
	s_and_saveexec_b32 s17, s0
	s_cbranch_execz .LBB94_48
; %bb.47:                               ;   in Loop: Header=BB94_35 Depth=1
	v_cmp_gt_i32_e32 vcc_lo, s28, v43
	v_and_b32_e32 v63, 0xffff0000, v4
	v_cmp_gt_i32_e64 s1, s28, v41
	v_cndmask_b32_e32 v1, 0, v1, vcc_lo
	v_cmp_gt_i32_e32 vcc_lo, s28, v48
	v_cndmask_b32_e64 v2, 0, v2, s1
	v_cmp_gt_i32_e64 s1, s28, v39
	v_cndmask_b32_e32 v62, 0, v62, vcc_lo
	v_cmp_gt_i32_e32 vcc_lo, s28, v47
	v_cndmask_b32_e64 v61, 0, v61, s1
	v_cndmask_b32_sdwa v4, v28, v4, vcc_lo dst_sel:DWORD dst_unused:UNUSED_PAD src0_sel:DWORD src1_sel:WORD_0
	v_cmp_gt_i32_e32 vcc_lo, s28, v37
	v_cndmask_b32_e32 v63, 0, v63, vcc_lo
	v_cmp_gt_i32_e32 vcc_lo, s28, v36
	v_or_b32_e32 v4, v4, v63
	v_cndmask_b32_e32 v3, 0, v3, vcc_lo
	v_cmp_gt_i32_e32 vcc_lo, s28, v35
	v_cndmask_b32_e32 v60, 0, v60, vcc_lo
.LBB94_48:                              ;   in Loop: Header=BB94_35 Depth=1
	s_or_b32 exec_lo, exec_lo, s17
	v_lshlrev_b32_e32 v62, 16, v62
	v_lshlrev_b32_e32 v61, 16, v61
	;; [unrolled: 1-line block ×3, first 2 shown]
	v_and_or_b32 v1, 0xffff, v1, v62
	v_and_or_b32 v2, 0xffff, v2, v61
	;; [unrolled: 1-line block ×3, first 2 shown]
	;;#ASMSTART
	v_pk_mul_f16 v1, v40, v1;

	;;#ASMEND
	;;#ASMSTART
	v_pk_mul_f16 v2, v38, v2;

	;;#ASMEND
	;; [unrolled: 4-line block ×4, first 2 shown]
	;;#ASMSTART
	v_pk_add_f16 v1, v1, v2;

	;;#ASMEND
	;;#ASMSTART
	v_pk_add_f16 v1, v1, v3;

	;;#ASMEND
	;; [unrolled: 4-line block ×3, first 2 shown]
	v_and_b32_e32 v2, 0xffff, v1
	v_lshrrev_b32_e32 v1, 16, v1
	;;#ASMSTART
	v_cvt_f32_f16 v60, v2;
	;;#ASMEND
	;;#ASMSTART
	v_cvt_f32_f16 v61, v1;
	;;#ASMEND
	global_load_dwordx4 v[1:4], v[9:10], off offset:1024
	s_waitcnt vmcnt(0)
	v_lshrrev_b32_e32 v64, 16, v1
	v_lshrrev_b32_e32 v63, 16, v2
	;; [unrolled: 1-line block ×3, first 2 shown]
	s_and_saveexec_b32 s17, s0
	s_cbranch_execz .LBB94_50
; %bb.49:                               ;   in Loop: Header=BB94_35 Depth=1
	v_cmp_gt_i32_e32 vcc_lo, s28, v43
	v_and_b32_e32 v65, 0xffff0000, v4
	v_cmp_gt_i32_e64 s1, s28, v41
	v_cndmask_b32_e32 v1, 0, v1, vcc_lo
	v_cmp_gt_i32_e32 vcc_lo, s28, v48
	v_cndmask_b32_e64 v2, 0, v2, s1
	v_cmp_gt_i32_e64 s1, s28, v39
	v_cndmask_b32_e32 v64, 0, v64, vcc_lo
	v_cmp_gt_i32_e32 vcc_lo, s28, v47
	v_cndmask_b32_e64 v63, 0, v63, s1
	v_cndmask_b32_sdwa v4, v28, v4, vcc_lo dst_sel:DWORD dst_unused:UNUSED_PAD src0_sel:DWORD src1_sel:WORD_0
	v_cmp_gt_i32_e32 vcc_lo, s28, v37
	v_cndmask_b32_e32 v65, 0, v65, vcc_lo
	v_cmp_gt_i32_e32 vcc_lo, s28, v36
	v_or_b32_e32 v4, v4, v65
	v_cndmask_b32_e32 v3, 0, v3, vcc_lo
	v_cmp_gt_i32_e32 vcc_lo, s28, v35
	v_cndmask_b32_e32 v62, 0, v62, vcc_lo
.LBB94_50:                              ;   in Loop: Header=BB94_35 Depth=1
	s_or_b32 exec_lo, exec_lo, s17
	v_lshlrev_b32_e32 v64, 16, v64
	v_lshlrev_b32_e32 v63, 16, v63
	;; [unrolled: 1-line block ×3, first 2 shown]
	v_and_or_b32 v1, 0xffff, v1, v64
	v_and_or_b32 v2, 0xffff, v2, v63
	;; [unrolled: 1-line block ×3, first 2 shown]
	;;#ASMSTART
	v_pk_mul_f16 v1, v40, v1;

	;;#ASMEND
	;;#ASMSTART
	v_pk_mul_f16 v2, v38, v2;

	;;#ASMEND
	;; [unrolled: 4-line block ×4, first 2 shown]
	;;#ASMSTART
	v_pk_add_f16 v1, v1, v2;

	;;#ASMEND
	;;#ASMSTART
	v_pk_add_f16 v1, v1, v3;

	;;#ASMEND
	;; [unrolled: 4-line block ×3, first 2 shown]
	v_and_b32_e32 v2, 0xffff, v1
	v_lshrrev_b32_e32 v1, 16, v1
	;;#ASMSTART
	v_cvt_f32_f16 v62, v2;
	;;#ASMEND
	;;#ASMSTART
	v_cvt_f32_f16 v63, v1;
	;;#ASMEND
	global_load_dwordx4 v[1:4], v[9:10], off offset:1536
	s_waitcnt vmcnt(0)
	v_lshrrev_b32_e32 v64, 16, v1
	v_lshrrev_b32_e32 v10, 16, v2
	;; [unrolled: 1-line block ×3, first 2 shown]
	s_and_saveexec_b32 s17, s0
	s_cbranch_execz .LBB94_52
; %bb.51:                               ;   in Loop: Header=BB94_35 Depth=1
	v_cmp_gt_i32_e32 vcc_lo, s28, v43
	v_and_b32_e32 v65, 0xffff0000, v4
	v_cmp_gt_i32_e64 s1, s28, v41
	v_cndmask_b32_e32 v1, 0, v1, vcc_lo
	v_cmp_gt_i32_e32 vcc_lo, s28, v48
	v_cndmask_b32_e64 v2, 0, v2, s1
	v_cmp_gt_i32_e64 s1, s28, v39
	v_cndmask_b32_e32 v64, 0, v64, vcc_lo
	v_cmp_gt_i32_e32 vcc_lo, s28, v47
	v_cndmask_b32_e64 v10, 0, v10, s1
	v_cndmask_b32_sdwa v4, v28, v4, vcc_lo dst_sel:DWORD dst_unused:UNUSED_PAD src0_sel:DWORD src1_sel:WORD_0
	v_cmp_gt_i32_e32 vcc_lo, s28, v37
	v_cndmask_b32_e32 v65, 0, v65, vcc_lo
	v_cmp_gt_i32_e32 vcc_lo, s28, v36
	v_or_b32_e32 v4, v4, v65
	v_cndmask_b32_e32 v3, 0, v3, vcc_lo
	v_cmp_gt_i32_e32 vcc_lo, s28, v35
	v_cndmask_b32_e32 v9, 0, v9, vcc_lo
.LBB94_52:                              ;   in Loop: Header=BB94_35 Depth=1
	s_or_b32 exec_lo, exec_lo, s17
	v_lshlrev_b32_e32 v9, 16, v9
	v_lshlrev_b32_e32 v64, 16, v64
	;; [unrolled: 1-line block ×3, first 2 shown]
	v_and_or_b32 v3, 0xffff, v3, v9
	v_add_co_u32 v9, vcc_lo, 0x1000, v7
	v_and_or_b32 v1, 0xffff, v1, v64
	v_and_or_b32 v2, 0xffff, v2, v10
	;;#ASMSTART
	v_pk_mul_f16 v1, v40, v1;

	;;#ASMEND
	v_add_co_ci_u32_e64 v10, null, 0, v8, vcc_lo
	;;#ASMSTART
	v_pk_mul_f16 v2, v38, v2;

	;;#ASMEND
	;;#ASMSTART
	v_pk_mul_f16 v3, v45, v3;

	;;#ASMEND
	;; [unrolled: 4-line block ×3, first 2 shown]
	;;#ASMSTART
	v_pk_add_f16 v1, v1, v2;

	;;#ASMEND
	;;#ASMSTART
	v_pk_add_f16 v1, v1, v3;

	;;#ASMEND
	;; [unrolled: 4-line block ×3, first 2 shown]
	v_lshrrev_b32_e32 v2, 16, v1
	v_and_b32_e32 v1, 0xffff, v1
	;;#ASMSTART
	v_cvt_f32_f16 v64, v1;
	;;#ASMEND
	;;#ASMSTART
	v_cvt_f32_f16 v65, v2;
	;;#ASMEND
	global_load_dwordx4 v[1:4], v[9:10], off
	s_waitcnt vmcnt(0)
	v_lshrrev_b32_e32 v68, 16, v1
	v_lshrrev_b32_e32 v67, 16, v2
	;; [unrolled: 1-line block ×3, first 2 shown]
	s_and_saveexec_b32 s17, s0
	s_cbranch_execz .LBB94_54
; %bb.53:                               ;   in Loop: Header=BB94_35 Depth=1
	v_cmp_gt_i32_e32 vcc_lo, s28, v43
	v_and_b32_e32 v69, 0xffff0000, v4
	v_cmp_gt_i32_e64 s1, s28, v41
	v_cndmask_b32_e32 v1, 0, v1, vcc_lo
	v_cmp_gt_i32_e32 vcc_lo, s28, v48
	v_cndmask_b32_e64 v2, 0, v2, s1
	v_cmp_gt_i32_e64 s1, s28, v39
	v_cndmask_b32_e32 v68, 0, v68, vcc_lo
	v_cmp_gt_i32_e32 vcc_lo, s28, v47
	v_cndmask_b32_e64 v67, 0, v67, s1
	v_cndmask_b32_sdwa v4, v28, v4, vcc_lo dst_sel:DWORD dst_unused:UNUSED_PAD src0_sel:DWORD src1_sel:WORD_0
	v_cmp_gt_i32_e32 vcc_lo, s28, v37
	v_cndmask_b32_e32 v69, 0, v69, vcc_lo
	v_cmp_gt_i32_e32 vcc_lo, s28, v36
	v_or_b32_e32 v4, v4, v69
	v_cndmask_b32_e32 v3, 0, v3, vcc_lo
	v_cmp_gt_i32_e32 vcc_lo, s28, v35
	v_cndmask_b32_e32 v66, 0, v66, vcc_lo
.LBB94_54:                              ;   in Loop: Header=BB94_35 Depth=1
	s_or_b32 exec_lo, exec_lo, s17
	v_lshlrev_b32_e32 v68, 16, v68
	v_lshlrev_b32_e32 v67, 16, v67
	;; [unrolled: 1-line block ×3, first 2 shown]
	v_and_or_b32 v1, 0xffff, v1, v68
	v_and_or_b32 v2, 0xffff, v2, v67
	;; [unrolled: 1-line block ×3, first 2 shown]
	;;#ASMSTART
	v_pk_mul_f16 v1, v40, v1;

	;;#ASMEND
	;;#ASMSTART
	v_pk_mul_f16 v2, v38, v2;

	;;#ASMEND
	;;#ASMSTART
	v_pk_mul_f16 v3, v45, v3;

	;;#ASMEND
	;;#ASMSTART
	v_pk_mul_f16 v4, v46, v4;

	;;#ASMEND
	;;#ASMSTART
	v_pk_add_f16 v1, v1, v2;

	;;#ASMEND
	;;#ASMSTART
	v_pk_add_f16 v1, v1, v3;

	;;#ASMEND
	;; [unrolled: 4-line block ×3, first 2 shown]
	v_and_b32_e32 v2, 0xffff, v1
	v_lshrrev_b32_e32 v1, 16, v1
	;;#ASMSTART
	v_cvt_f32_f16 v66, v2;
	;;#ASMEND
	;;#ASMSTART
	v_cvt_f32_f16 v67, v1;
	;;#ASMEND
	global_load_dwordx4 v[1:4], v[9:10], off offset:512
	s_waitcnt vmcnt(0)
	v_lshrrev_b32_e32 v70, 16, v1
	v_lshrrev_b32_e32 v69, 16, v2
	;; [unrolled: 1-line block ×3, first 2 shown]
	s_and_saveexec_b32 s17, s0
	s_cbranch_execz .LBB94_56
; %bb.55:                               ;   in Loop: Header=BB94_35 Depth=1
	v_cmp_gt_i32_e32 vcc_lo, s28, v43
	v_and_b32_e32 v71, 0xffff0000, v4
	v_cmp_gt_i32_e64 s1, s28, v41
	v_cndmask_b32_e32 v1, 0, v1, vcc_lo
	v_cmp_gt_i32_e32 vcc_lo, s28, v48
	v_cndmask_b32_e64 v2, 0, v2, s1
	v_cmp_gt_i32_e64 s1, s28, v39
	v_cndmask_b32_e32 v70, 0, v70, vcc_lo
	v_cmp_gt_i32_e32 vcc_lo, s28, v47
	v_cndmask_b32_e64 v69, 0, v69, s1
	v_cndmask_b32_sdwa v4, v28, v4, vcc_lo dst_sel:DWORD dst_unused:UNUSED_PAD src0_sel:DWORD src1_sel:WORD_0
	v_cmp_gt_i32_e32 vcc_lo, s28, v37
	v_cndmask_b32_e32 v71, 0, v71, vcc_lo
	v_cmp_gt_i32_e32 vcc_lo, s28, v36
	v_or_b32_e32 v4, v4, v71
	v_cndmask_b32_e32 v3, 0, v3, vcc_lo
	v_cmp_gt_i32_e32 vcc_lo, s28, v35
	v_cndmask_b32_e32 v68, 0, v68, vcc_lo
.LBB94_56:                              ;   in Loop: Header=BB94_35 Depth=1
	s_or_b32 exec_lo, exec_lo, s17
	v_lshlrev_b32_e32 v70, 16, v70
	v_lshlrev_b32_e32 v69, 16, v69
	;; [unrolled: 1-line block ×3, first 2 shown]
	v_and_or_b32 v1, 0xffff, v1, v70
	v_and_or_b32 v2, 0xffff, v2, v69
	;; [unrolled: 1-line block ×3, first 2 shown]
	;;#ASMSTART
	v_pk_mul_f16 v1, v40, v1;

	;;#ASMEND
	;;#ASMSTART
	v_pk_mul_f16 v2, v38, v2;

	;;#ASMEND
	;; [unrolled: 4-line block ×4, first 2 shown]
	;;#ASMSTART
	v_pk_add_f16 v1, v1, v2;

	;;#ASMEND
	;;#ASMSTART
	v_pk_add_f16 v1, v1, v3;

	;;#ASMEND
	;; [unrolled: 4-line block ×3, first 2 shown]
	v_and_b32_e32 v2, 0xffff, v1
	v_lshrrev_b32_e32 v1, 16, v1
	;;#ASMSTART
	v_cvt_f32_f16 v68, v2;
	;;#ASMEND
	;;#ASMSTART
	v_cvt_f32_f16 v69, v1;
	;;#ASMEND
	global_load_dwordx4 v[1:4], v[9:10], off offset:1024
	s_waitcnt vmcnt(0)
	v_lshrrev_b32_e32 v72, 16, v1
	v_lshrrev_b32_e32 v71, 16, v2
	;; [unrolled: 1-line block ×3, first 2 shown]
	s_and_saveexec_b32 s17, s0
	s_cbranch_execz .LBB94_58
; %bb.57:                               ;   in Loop: Header=BB94_35 Depth=1
	v_cmp_gt_i32_e32 vcc_lo, s28, v43
	v_and_b32_e32 v73, 0xffff0000, v4
	v_cmp_gt_i32_e64 s1, s28, v41
	v_cndmask_b32_e32 v1, 0, v1, vcc_lo
	v_cmp_gt_i32_e32 vcc_lo, s28, v48
	v_cndmask_b32_e64 v2, 0, v2, s1
	v_cmp_gt_i32_e64 s1, s28, v39
	v_cndmask_b32_e32 v72, 0, v72, vcc_lo
	v_cmp_gt_i32_e32 vcc_lo, s28, v47
	v_cndmask_b32_e64 v71, 0, v71, s1
	v_cndmask_b32_sdwa v4, v28, v4, vcc_lo dst_sel:DWORD dst_unused:UNUSED_PAD src0_sel:DWORD src1_sel:WORD_0
	v_cmp_gt_i32_e32 vcc_lo, s28, v37
	v_cndmask_b32_e32 v73, 0, v73, vcc_lo
	v_cmp_gt_i32_e32 vcc_lo, s28, v36
	v_or_b32_e32 v4, v4, v73
	v_cndmask_b32_e32 v3, 0, v3, vcc_lo
	v_cmp_gt_i32_e32 vcc_lo, s28, v35
	v_cndmask_b32_e32 v70, 0, v70, vcc_lo
.LBB94_58:                              ;   in Loop: Header=BB94_35 Depth=1
	s_or_b32 exec_lo, exec_lo, s17
	v_lshlrev_b32_e32 v72, 16, v72
	v_lshlrev_b32_e32 v71, 16, v71
	;; [unrolled: 1-line block ×3, first 2 shown]
	v_and_or_b32 v1, 0xffff, v1, v72
	v_and_or_b32 v2, 0xffff, v2, v71
	;; [unrolled: 1-line block ×3, first 2 shown]
	;;#ASMSTART
	v_pk_mul_f16 v1, v40, v1;

	;;#ASMEND
	;;#ASMSTART
	v_pk_mul_f16 v2, v38, v2;

	;;#ASMEND
	;; [unrolled: 4-line block ×4, first 2 shown]
	;;#ASMSTART
	v_pk_add_f16 v1, v1, v2;

	;;#ASMEND
	;;#ASMSTART
	v_pk_add_f16 v1, v1, v3;

	;;#ASMEND
	;; [unrolled: 4-line block ×3, first 2 shown]
	v_and_b32_e32 v2, 0xffff, v1
	v_lshrrev_b32_e32 v1, 16, v1
	;;#ASMSTART
	v_cvt_f32_f16 v70, v2;
	;;#ASMEND
	;;#ASMSTART
	v_cvt_f32_f16 v71, v1;
	;;#ASMEND
	global_load_dwordx4 v[1:4], v[9:10], off offset:1536
	s_waitcnt vmcnt(0)
	v_lshrrev_b32_e32 v72, 16, v1
	v_lshrrev_b32_e32 v10, 16, v2
	;; [unrolled: 1-line block ×3, first 2 shown]
	s_and_saveexec_b32 s17, s0
	s_cbranch_execz .LBB94_60
; %bb.59:                               ;   in Loop: Header=BB94_35 Depth=1
	v_cmp_gt_i32_e32 vcc_lo, s28, v43
	v_and_b32_e32 v73, 0xffff0000, v4
	v_cmp_gt_i32_e64 s1, s28, v41
	v_cndmask_b32_e32 v1, 0, v1, vcc_lo
	v_cmp_gt_i32_e32 vcc_lo, s28, v48
	v_cndmask_b32_e64 v2, 0, v2, s1
	v_cmp_gt_i32_e64 s1, s28, v39
	v_cndmask_b32_e32 v72, 0, v72, vcc_lo
	v_cmp_gt_i32_e32 vcc_lo, s28, v47
	v_cndmask_b32_e64 v10, 0, v10, s1
	v_cndmask_b32_sdwa v4, v28, v4, vcc_lo dst_sel:DWORD dst_unused:UNUSED_PAD src0_sel:DWORD src1_sel:WORD_0
	v_cmp_gt_i32_e32 vcc_lo, s28, v37
	v_cndmask_b32_e32 v73, 0, v73, vcc_lo
	v_cmp_gt_i32_e32 vcc_lo, s28, v36
	v_or_b32_e32 v4, v4, v73
	v_cndmask_b32_e32 v3, 0, v3, vcc_lo
	v_cmp_gt_i32_e32 vcc_lo, s28, v35
	v_cndmask_b32_e32 v9, 0, v9, vcc_lo
.LBB94_60:                              ;   in Loop: Header=BB94_35 Depth=1
	s_or_b32 exec_lo, exec_lo, s17
	v_lshlrev_b32_e32 v72, 16, v72
	v_lshlrev_b32_e32 v10, 16, v10
	;; [unrolled: 1-line block ×3, first 2 shown]
	v_add_co_u32 v7, vcc_lo, 0x1800, v7
	v_and_or_b32 v1, 0xffff, v1, v72
	v_and_or_b32 v2, 0xffff, v2, v10
	;; [unrolled: 1-line block ×3, first 2 shown]
	;;#ASMSTART
	v_pk_mul_f16 v1, v40, v1;

	;;#ASMEND
	v_add_co_ci_u32_e64 v8, null, 0, v8, vcc_lo
	;;#ASMSTART
	v_pk_mul_f16 v2, v38, v2;

	;;#ASMEND
	;;#ASMSTART
	v_pk_mul_f16 v3, v45, v3;

	;;#ASMEND
	;; [unrolled: 4-line block ×3, first 2 shown]
	;;#ASMSTART
	v_pk_add_f16 v1, v1, v2;

	;;#ASMEND
	;;#ASMSTART
	v_pk_add_f16 v1, v1, v3;

	;;#ASMEND
	;; [unrolled: 4-line block ×3, first 2 shown]
	v_lshrrev_b32_e32 v2, 16, v1
	v_and_b32_e32 v1, 0xffff, v1
	;;#ASMSTART
	v_cvt_f32_f16 v9, v1;
	;;#ASMEND
	;;#ASMSTART
	v_cvt_f32_f16 v10, v2;
	;;#ASMEND
	global_load_dwordx4 v[1:4], v[7:8], off
	s_waitcnt vmcnt(0)
	v_lshrrev_b32_e32 v74, 16, v1
	v_lshrrev_b32_e32 v73, 16, v2
	;; [unrolled: 1-line block ×3, first 2 shown]
	s_and_saveexec_b32 s17, s0
	s_cbranch_execz .LBB94_62
; %bb.61:                               ;   in Loop: Header=BB94_35 Depth=1
	v_cmp_gt_i32_e32 vcc_lo, s28, v43
	v_and_b32_e32 v75, 0xffff0000, v4
	v_cmp_gt_i32_e64 s1, s28, v41
	v_cndmask_b32_e32 v1, 0, v1, vcc_lo
	v_cmp_gt_i32_e32 vcc_lo, s28, v48
	v_cndmask_b32_e64 v2, 0, v2, s1
	v_cmp_gt_i32_e64 s1, s28, v39
	v_cndmask_b32_e32 v74, 0, v74, vcc_lo
	v_cmp_gt_i32_e32 vcc_lo, s28, v47
	v_cndmask_b32_e64 v73, 0, v73, s1
	v_cndmask_b32_sdwa v4, v28, v4, vcc_lo dst_sel:DWORD dst_unused:UNUSED_PAD src0_sel:DWORD src1_sel:WORD_0
	v_cmp_gt_i32_e32 vcc_lo, s28, v37
	v_cndmask_b32_e32 v75, 0, v75, vcc_lo
	v_cmp_gt_i32_e32 vcc_lo, s28, v36
	v_or_b32_e32 v4, v4, v75
	v_cndmask_b32_e32 v3, 0, v3, vcc_lo
	v_cmp_gt_i32_e32 vcc_lo, s28, v35
	v_cndmask_b32_e32 v72, 0, v72, vcc_lo
.LBB94_62:                              ;   in Loop: Header=BB94_35 Depth=1
	s_or_b32 exec_lo, exec_lo, s17
	v_lshlrev_b32_e32 v74, 16, v74
	v_lshlrev_b32_e32 v73, 16, v73
	;; [unrolled: 1-line block ×3, first 2 shown]
	v_and_or_b32 v1, 0xffff, v1, v74
	v_and_or_b32 v2, 0xffff, v2, v73
	;; [unrolled: 1-line block ×3, first 2 shown]
	;;#ASMSTART
	v_pk_mul_f16 v1, v40, v1;

	;;#ASMEND
	;;#ASMSTART
	v_pk_mul_f16 v2, v38, v2;

	;;#ASMEND
	;; [unrolled: 4-line block ×4, first 2 shown]
	;;#ASMSTART
	v_pk_add_f16 v1, v1, v2;

	;;#ASMEND
	;;#ASMSTART
	v_pk_add_f16 v1, v1, v3;

	;;#ASMEND
	;; [unrolled: 4-line block ×3, first 2 shown]
	v_and_b32_e32 v2, 0xffff, v1
	v_lshrrev_b32_e32 v1, 16, v1
	;;#ASMSTART
	v_cvt_f32_f16 v73, v2;
	;;#ASMEND
	;;#ASMSTART
	v_cvt_f32_f16 v74, v1;
	;;#ASMEND
	global_load_dwordx4 v[1:4], v[7:8], off offset:512
	s_waitcnt vmcnt(0)
	v_lshrrev_b32_e32 v72, 16, v1
	v_lshrrev_b32_e32 v8, 16, v2
	;; [unrolled: 1-line block ×3, first 2 shown]
	s_and_saveexec_b32 s1, s0
	s_cbranch_execz .LBB94_33
; %bb.63:                               ;   in Loop: Header=BB94_35 Depth=1
	v_cmp_gt_i32_e32 vcc_lo, s28, v43
	v_cmp_gt_i32_e64 s0, s28, v41
	v_cndmask_b32_e32 v1, 0, v1, vcc_lo
	v_cmp_gt_i32_e32 vcc_lo, s28, v48
	v_cndmask_b32_e64 v2, 0, v2, s0
	v_cmp_gt_i32_e64 s0, s28, v39
	v_and_b32_e32 v39, 0xffff0000, v4
	v_cndmask_b32_e32 v72, 0, v72, vcc_lo
	v_cmp_gt_i32_e32 vcc_lo, s28, v47
	v_cndmask_b32_e64 v8, 0, v8, s0
	v_cndmask_b32_sdwa v4, v28, v4, vcc_lo dst_sel:DWORD dst_unused:UNUSED_PAD src0_sel:DWORD src1_sel:WORD_0
	v_cmp_gt_i32_e32 vcc_lo, s28, v37
	v_cndmask_b32_e32 v37, 0, v39, vcc_lo
	v_cmp_gt_i32_e32 vcc_lo, s28, v36
	v_or_b32_e32 v4, v4, v37
	v_cndmask_b32_e32 v3, 0, v3, vcc_lo
	v_cmp_gt_i32_e32 vcc_lo, s28, v35
	v_cndmask_b32_e32 v7, 0, v7, vcc_lo
	s_branch .LBB94_33
.LBB94_64:
	s_or_b32 exec_lo, exec_lo, s13
.LBB94_65:
	s_or_b32 exec_lo, exec_lo, s2
	ds_bpermute_b32 v1, v12, v26
	ds_bpermute_b32 v29, v12, v16
	;; [unrolled: 1-line block ×14, first 2 shown]
	s_mov_b32 s0, exec_lo
	s_waitcnt lgkmcnt(0)
	s_barrier
	buffer_gl0_inv
	v_add_f32_e32 v1, v26, v1
	v_add_f32_e32 v16, v16, v29
	;; [unrolled: 1-line block ×8, first 2 shown]
	ds_bpermute_b32 v21, v11, v1
	v_add_f32_e32 v20, v20, v8
	v_add_f32_e32 v19, v19, v9
	;; [unrolled: 1-line block ×6, first 2 shown]
	ds_bpermute_b32 v33, v11, v16
	ds_bpermute_b32 v22, v11, v2
	ds_bpermute_b32 v23, v11, v3
	ds_bpermute_b32 v24, v11, v4
	ds_bpermute_b32 v25, v11, v5
	ds_bpermute_b32 v8, v11, v6
	ds_bpermute_b32 v26, v11, v7
	ds_bpermute_b32 v27, v11, v20
	ds_bpermute_b32 v28, v11, v19
	ds_bpermute_b32 v29, v11, v18
	ds_bpermute_b32 v31, v11, v17
	ds_bpermute_b32 v34, v11, v30
	ds_bpermute_b32 v35, v11, v32
	s_waitcnt lgkmcnt(13)
	v_add_f32_e32 v15, v1, v21
	s_waitcnt lgkmcnt(12)
	v_add_f32_e32 v1, v16, v33
	v_and_b32_e32 v16, 28, v56
	s_waitcnt lgkmcnt(11)
	v_add_f32_e32 v14, v2, v22
	s_waitcnt lgkmcnt(10)
	v_add_f32_e32 v12, v3, v23
	;; [unrolled: 2-line block ×11, first 2 shown]
	v_and_b32_e32 v19, 0x3c3, v0
	s_waitcnt lgkmcnt(0)
	v_add_f32_e32 v5, v32, v35
	v_lshrrev_b32_e32 v17, 2, v56
	v_add_nc_u32_e32 v16, 0x100, v16
	v_mul_u32_u24_e32 v18, 0x1c0, v55
	v_cmpx_eq_u32_e32 64, v19
	s_cbranch_execz .LBB94_67
; %bb.66:
	v_add_nc_u32_e32 v19, v16, v18
	v_add_nc_u32_e32 v20, 0xfffffc80, v19
	;; [unrolled: 1-line block ×7, first 2 shown]
	ds_write_b32 v20, v15
	ds_write_b32 v21, v14
	;; [unrolled: 1-line block ×4, first 2 shown]
	v_add_nc_u32_e32 v20, 0xfffffd40, v19
	v_add_nc_u32_e32 v21, 0xfffffd60, v19
	v_add_nc_u32_e32 v22, 0xfffffd80, v19
	ds_write_b32 v24, v10
	ds_write_b32 v25, v9
	;; [unrolled: 1-line block ×5, first 2 shown]
	v_add_nc_u32_e32 v20, 0xfffffda0, v19
	v_add_nc_u32_e32 v21, 0xfffffdc0, v19
	v_add_nc_u32_e32 v22, 0xfffffde0, v19
	v_add_nc_u32_e32 v23, 0xfffffe00, v19
	v_add_nc_u32_e32 v19, 0xfffffe20, v19
	ds_write_b32 v20, v3
	ds_write_b32 v21, v2
	;; [unrolled: 1-line block ×5, first 2 shown]
.LBB94_67:
	s_or_b32 exec_lo, exec_lo, s0
	v_lshlrev_b32_e32 v17, 2, v17
	v_cmp_eq_u32_e32 vcc_lo, 0, v13
	s_mov_b32 s1, exec_lo
	s_waitcnt lgkmcnt(0)
	s_barrier
	v_add3_u32 v13, 0x100, v18, v17
	buffer_gl0_inv
	v_cmpx_gt_u32_e32 64, v0
	s_cbranch_execz .LBB94_84
; %bb.68:
	s_and_saveexec_b32 s0, vcc_lo
	s_cbranch_execnz .LBB94_106
; %bb.69:
	s_or_b32 exec_lo, exec_lo, s0
	s_and_saveexec_b32 s0, vcc_lo
	s_cbranch_execnz .LBB94_107
.LBB94_70:
	s_or_b32 exec_lo, exec_lo, s0
	s_and_saveexec_b32 s0, vcc_lo
	s_cbranch_execnz .LBB94_108
.LBB94_71:
	s_or_b32 exec_lo, exec_lo, s0
	s_and_saveexec_b32 s0, vcc_lo
	s_cbranch_execnz .LBB94_109
.LBB94_72:
	s_or_b32 exec_lo, exec_lo, s0
	s_and_saveexec_b32 s0, vcc_lo
	s_cbranch_execnz .LBB94_110
.LBB94_73:
	s_or_b32 exec_lo, exec_lo, s0
	s_and_saveexec_b32 s0, vcc_lo
	s_cbranch_execnz .LBB94_111
.LBB94_74:
	s_or_b32 exec_lo, exec_lo, s0
	s_and_saveexec_b32 s0, vcc_lo
	s_cbranch_execnz .LBB94_112
.LBB94_75:
	s_or_b32 exec_lo, exec_lo, s0
	s_and_saveexec_b32 s0, vcc_lo
	s_cbranch_execnz .LBB94_113
.LBB94_76:
	s_or_b32 exec_lo, exec_lo, s0
	s_and_saveexec_b32 s0, vcc_lo
	s_cbranch_execnz .LBB94_114
.LBB94_77:
	s_or_b32 exec_lo, exec_lo, s0
	s_and_saveexec_b32 s0, vcc_lo
	s_cbranch_execnz .LBB94_115
.LBB94_78:
	s_or_b32 exec_lo, exec_lo, s0
	s_and_saveexec_b32 s0, vcc_lo
	s_cbranch_execnz .LBB94_116
.LBB94_79:
	s_or_b32 exec_lo, exec_lo, s0
	s_and_saveexec_b32 s0, vcc_lo
	s_cbranch_execnz .LBB94_117
.LBB94_80:
	s_or_b32 exec_lo, exec_lo, s0
	s_and_saveexec_b32 s0, vcc_lo
	s_cbranch_execnz .LBB94_118
.LBB94_81:
	s_or_b32 exec_lo, exec_lo, s0
	s_and_saveexec_b32 s0, vcc_lo
	s_cbranch_execz .LBB94_83
.LBB94_82:
	ds_read_b32 v17, v13 offset:416
	s_waitcnt lgkmcnt(0)
	v_add_f32_e32 v5, v5, v17
.LBB94_83:
	s_or_b32 exec_lo, exec_lo, s0
.LBB94_84:
	s_or_b32 exec_lo, exec_lo, s1
	v_and_b32_e32 v17, 0x3e3, v0
	s_mov_b32 s1, exec_lo
	s_barrier
	buffer_gl0_inv
	v_cmpx_eq_u32_e32 32, v17
	s_cbranch_execz .LBB94_86
; %bb.85:
	ds_write2_b32 v16, v15, v14 offset1:8
	ds_write2_b32 v16, v12, v11 offset0:16 offset1:24
	ds_write2_b32 v16, v10, v9 offset0:32 offset1:40
	;; [unrolled: 1-line block ×6, first 2 shown]
.LBB94_86:
	s_or_b32 exec_lo, exec_lo, s1
	s_mov_b32 s1, exec_lo
	s_waitcnt lgkmcnt(0)
	s_barrier
	buffer_gl0_inv
	v_cmpx_gt_u32_e32 32, v0
	s_cbranch_execz .LBB94_103
; %bb.87:
	s_and_saveexec_b32 s0, vcc_lo
	s_cbranch_execnz .LBB94_119
; %bb.88:
	s_or_b32 exec_lo, exec_lo, s0
	s_and_saveexec_b32 s0, vcc_lo
	s_cbranch_execnz .LBB94_120
.LBB94_89:
	s_or_b32 exec_lo, exec_lo, s0
	s_and_saveexec_b32 s0, vcc_lo
	s_cbranch_execnz .LBB94_121
.LBB94_90:
	s_or_b32 exec_lo, exec_lo, s0
	s_and_saveexec_b32 s0, vcc_lo
	s_cbranch_execnz .LBB94_122
.LBB94_91:
	s_or_b32 exec_lo, exec_lo, s0
	s_and_saveexec_b32 s0, vcc_lo
	s_cbranch_execnz .LBB94_123
.LBB94_92:
	s_or_b32 exec_lo, exec_lo, s0
	s_and_saveexec_b32 s0, vcc_lo
	s_cbranch_execnz .LBB94_124
.LBB94_93:
	s_or_b32 exec_lo, exec_lo, s0
	s_and_saveexec_b32 s0, vcc_lo
	s_cbranch_execnz .LBB94_125
.LBB94_94:
	s_or_b32 exec_lo, exec_lo, s0
	s_and_saveexec_b32 s0, vcc_lo
	s_cbranch_execnz .LBB94_126
.LBB94_95:
	s_or_b32 exec_lo, exec_lo, s0
	s_and_saveexec_b32 s0, vcc_lo
	s_cbranch_execnz .LBB94_127
.LBB94_96:
	s_or_b32 exec_lo, exec_lo, s0
	s_and_saveexec_b32 s0, vcc_lo
	s_cbranch_execnz .LBB94_128
.LBB94_97:
	s_or_b32 exec_lo, exec_lo, s0
	s_and_saveexec_b32 s0, vcc_lo
	s_cbranch_execnz .LBB94_129
.LBB94_98:
	s_or_b32 exec_lo, exec_lo, s0
	s_and_saveexec_b32 s0, vcc_lo
	s_cbranch_execnz .LBB94_130
.LBB94_99:
	s_or_b32 exec_lo, exec_lo, s0
	s_and_saveexec_b32 s0, vcc_lo
	s_cbranch_execnz .LBB94_131
.LBB94_100:
	s_or_b32 exec_lo, exec_lo, s0
	s_and_saveexec_b32 s0, vcc_lo
	s_cbranch_execz .LBB94_102
.LBB94_101:
	ds_read_b32 v13, v13 offset:416
	s_waitcnt lgkmcnt(0)
	v_add_f32_e32 v5, v5, v13
.LBB94_102:
	s_or_b32 exec_lo, exec_lo, s0
.LBB94_103:
	s_or_b32 exec_lo, exec_lo, s1
	s_barrier
	buffer_gl0_inv
	s_mov_b32 s0, exec_lo
	v_cmpx_eq_u32_e32 0, v17
	s_cbranch_execz .LBB94_105
; %bb.104:
	s_mul_i32 s0, s10, s11
	s_mul_i32 s2, s11, s20
	s_mul_i32 s0, s0, s9
	v_lshrrev_b32_e32 v0, 1, v0
	s_mulk_i32 s0, 0x70
	;;#ASMSTART
	v_cvt_f16_f32 v13, v15;

	;;#ASMEND
	s_ashr_i32 s1, s0, 31
	s_lshl_b64 s[0:1], s[0:1], 1
	s_add_u32 s4, s6, s0
	s_addc_u32 s5, s7, s1
	s_ashr_i32 s3, s2, 31
	s_lshl_b64 s[0:1], s[2:3], 1
	s_mul_i32 s2, s8, 0x70
	s_add_u32 s4, s4, s0
	s_addc_u32 s5, s5, s1
	s_ashr_i32 s3, s2, 31
	s_lshl_b64 s[0:1], s[2:3], 1
	s_add_u32 s0, s4, s0
	s_addc_u32 s1, s5, s1
	global_store_short v0, v13, s[0:1]
	;;#ASMSTART
	v_cvt_f16_f32 v13, v14;

	;;#ASMEND
	global_store_short v0, v13, s[0:1] offset:16
	;;#ASMSTART
	v_cvt_f16_f32 v12, v12;

	;;#ASMEND
	global_store_short v0, v12, s[0:1] offset:32
	;; [unrolled: 5-line block ×13, first 2 shown]
.LBB94_105:
	s_endpgm
.LBB94_106:
	ds_read_b32 v17, v13
	s_waitcnt lgkmcnt(0)
	v_add_f32_e32 v15, v15, v17
	s_or_b32 exec_lo, exec_lo, s0
	s_and_saveexec_b32 s0, vcc_lo
	s_cbranch_execz .LBB94_70
.LBB94_107:
	ds_read_b32 v17, v13 offset:32
	s_waitcnt lgkmcnt(0)
	v_add_f32_e32 v14, v14, v17
	s_or_b32 exec_lo, exec_lo, s0
	s_and_saveexec_b32 s0, vcc_lo
	s_cbranch_execz .LBB94_71
.LBB94_108:
	ds_read_b32 v17, v13 offset:64
	s_waitcnt lgkmcnt(0)
	v_add_f32_e32 v12, v12, v17
	s_or_b32 exec_lo, exec_lo, s0
	s_and_saveexec_b32 s0, vcc_lo
	s_cbranch_execz .LBB94_72
.LBB94_109:
	ds_read_b32 v17, v13 offset:96
	s_waitcnt lgkmcnt(0)
	v_add_f32_e32 v11, v11, v17
	s_or_b32 exec_lo, exec_lo, s0
	s_and_saveexec_b32 s0, vcc_lo
	s_cbranch_execz .LBB94_73
.LBB94_110:
	ds_read_b32 v17, v13 offset:128
	s_waitcnt lgkmcnt(0)
	v_add_f32_e32 v10, v10, v17
	s_or_b32 exec_lo, exec_lo, s0
	s_and_saveexec_b32 s0, vcc_lo
	s_cbranch_execz .LBB94_74
.LBB94_111:
	ds_read_b32 v17, v13 offset:160
	s_waitcnt lgkmcnt(0)
	v_add_f32_e32 v9, v9, v17
	s_or_b32 exec_lo, exec_lo, s0
	s_and_saveexec_b32 s0, vcc_lo
	s_cbranch_execz .LBB94_75
.LBB94_112:
	ds_read_b32 v17, v13 offset:192
	s_waitcnt lgkmcnt(0)
	v_add_f32_e32 v8, v8, v17
	s_or_b32 exec_lo, exec_lo, s0
	s_and_saveexec_b32 s0, vcc_lo
	s_cbranch_execz .LBB94_76
.LBB94_113:
	ds_read_b32 v17, v13 offset:224
	s_waitcnt lgkmcnt(0)
	v_add_f32_e32 v7, v7, v17
	s_or_b32 exec_lo, exec_lo, s0
	s_and_saveexec_b32 s0, vcc_lo
	s_cbranch_execz .LBB94_77
.LBB94_114:
	ds_read_b32 v17, v13 offset:256
	s_waitcnt lgkmcnt(0)
	v_add_f32_e32 v6, v6, v17
	s_or_b32 exec_lo, exec_lo, s0
	s_and_saveexec_b32 s0, vcc_lo
	s_cbranch_execz .LBB94_78
.LBB94_115:
	ds_read_b32 v17, v13 offset:288
	s_waitcnt lgkmcnt(0)
	v_add_f32_e32 v3, v3, v17
	s_or_b32 exec_lo, exec_lo, s0
	s_and_saveexec_b32 s0, vcc_lo
	s_cbranch_execz .LBB94_79
.LBB94_116:
	ds_read_b32 v17, v13 offset:320
	s_waitcnt lgkmcnt(0)
	v_add_f32_e32 v2, v2, v17
	s_or_b32 exec_lo, exec_lo, s0
	s_and_saveexec_b32 s0, vcc_lo
	s_cbranch_execz .LBB94_80
.LBB94_117:
	ds_read_b32 v17, v13 offset:352
	s_waitcnt lgkmcnt(0)
	v_add_f32_e32 v1, v1, v17
	s_or_b32 exec_lo, exec_lo, s0
	s_and_saveexec_b32 s0, vcc_lo
	s_cbranch_execz .LBB94_81
.LBB94_118:
	ds_read_b32 v17, v13 offset:384
	s_waitcnt lgkmcnt(0)
	v_add_f32_e32 v4, v4, v17
	s_or_b32 exec_lo, exec_lo, s0
	s_and_saveexec_b32 s0, vcc_lo
	s_cbranch_execnz .LBB94_82
	s_branch .LBB94_83
.LBB94_119:
	ds_read_b32 v16, v13
	s_waitcnt lgkmcnt(0)
	v_add_f32_e32 v15, v15, v16
	s_or_b32 exec_lo, exec_lo, s0
	s_and_saveexec_b32 s0, vcc_lo
	s_cbranch_execz .LBB94_89
.LBB94_120:
	ds_read_b32 v16, v13 offset:32
	s_waitcnt lgkmcnt(0)
	v_add_f32_e32 v14, v14, v16
	s_or_b32 exec_lo, exec_lo, s0
	s_and_saveexec_b32 s0, vcc_lo
	s_cbranch_execz .LBB94_90
.LBB94_121:
	ds_read_b32 v16, v13 offset:64
	s_waitcnt lgkmcnt(0)
	v_add_f32_e32 v12, v12, v16
	s_or_b32 exec_lo, exec_lo, s0
	s_and_saveexec_b32 s0, vcc_lo
	s_cbranch_execz .LBB94_91
.LBB94_122:
	ds_read_b32 v16, v13 offset:96
	s_waitcnt lgkmcnt(0)
	v_add_f32_e32 v11, v11, v16
	s_or_b32 exec_lo, exec_lo, s0
	s_and_saveexec_b32 s0, vcc_lo
	s_cbranch_execz .LBB94_92
.LBB94_123:
	ds_read_b32 v16, v13 offset:128
	s_waitcnt lgkmcnt(0)
	v_add_f32_e32 v10, v10, v16
	s_or_b32 exec_lo, exec_lo, s0
	s_and_saveexec_b32 s0, vcc_lo
	s_cbranch_execz .LBB94_93
.LBB94_124:
	ds_read_b32 v16, v13 offset:160
	s_waitcnt lgkmcnt(0)
	v_add_f32_e32 v9, v9, v16
	s_or_b32 exec_lo, exec_lo, s0
	s_and_saveexec_b32 s0, vcc_lo
	s_cbranch_execz .LBB94_94
.LBB94_125:
	ds_read_b32 v16, v13 offset:192
	s_waitcnt lgkmcnt(0)
	v_add_f32_e32 v8, v8, v16
	s_or_b32 exec_lo, exec_lo, s0
	s_and_saveexec_b32 s0, vcc_lo
	s_cbranch_execz .LBB94_95
.LBB94_126:
	ds_read_b32 v16, v13 offset:224
	s_waitcnt lgkmcnt(0)
	v_add_f32_e32 v7, v7, v16
	s_or_b32 exec_lo, exec_lo, s0
	s_and_saveexec_b32 s0, vcc_lo
	s_cbranch_execz .LBB94_96
.LBB94_127:
	ds_read_b32 v16, v13 offset:256
	s_waitcnt lgkmcnt(0)
	v_add_f32_e32 v6, v6, v16
	s_or_b32 exec_lo, exec_lo, s0
	s_and_saveexec_b32 s0, vcc_lo
	s_cbranch_execz .LBB94_97
.LBB94_128:
	ds_read_b32 v16, v13 offset:288
	s_waitcnt lgkmcnt(0)
	v_add_f32_e32 v3, v3, v16
	s_or_b32 exec_lo, exec_lo, s0
	s_and_saveexec_b32 s0, vcc_lo
	s_cbranch_execz .LBB94_98
.LBB94_129:
	ds_read_b32 v16, v13 offset:320
	s_waitcnt lgkmcnt(0)
	v_add_f32_e32 v2, v2, v16
	s_or_b32 exec_lo, exec_lo, s0
	s_and_saveexec_b32 s0, vcc_lo
	s_cbranch_execz .LBB94_99
.LBB94_130:
	ds_read_b32 v16, v13 offset:352
	s_waitcnt lgkmcnt(0)
	v_add_f32_e32 v1, v1, v16
	s_or_b32 exec_lo, exec_lo, s0
	s_and_saveexec_b32 s0, vcc_lo
	s_cbranch_execz .LBB94_100
.LBB94_131:
	ds_read_b32 v16, v13 offset:384
	s_waitcnt lgkmcnt(0)
	v_add_f32_e32 v4, v4, v16
	s_or_b32 exec_lo, exec_lo, s0
	s_and_saveexec_b32 s0, vcc_lo
	s_cbranch_execnz .LBB94_101
	s_branch .LBB94_102
	.section	.rodata,"a",@progbits
	.p2align	6, 0x0
	.amdhsa_kernel _ZN4vllm25paged_attention_v1_kernelIttLi112ELi32ELi128ELNS_18Fp8KVCacheDataTypeE0ELb1EEEvPT_PKS2_PKT0_S8_ifPKiSA_iPKfiiiSC_SC_iiiii
		.amdhsa_group_segment_fixed_size 256
		.amdhsa_private_segment_fixed_size 0
		.amdhsa_kernarg_size 384
		.amdhsa_user_sgpr_count 6
		.amdhsa_user_sgpr_private_segment_buffer 1
		.amdhsa_user_sgpr_dispatch_ptr 0
		.amdhsa_user_sgpr_queue_ptr 0
		.amdhsa_user_sgpr_kernarg_segment_ptr 1
		.amdhsa_user_sgpr_dispatch_id 0
		.amdhsa_user_sgpr_flat_scratch_init 0
		.amdhsa_user_sgpr_private_segment_size 0
		.amdhsa_wavefront_size32 1
		.amdhsa_uses_dynamic_stack 0
		.amdhsa_system_sgpr_private_segment_wavefront_offset 0
		.amdhsa_system_sgpr_workgroup_id_x 1
		.amdhsa_system_sgpr_workgroup_id_y 1
		.amdhsa_system_sgpr_workgroup_id_z 1
		.amdhsa_system_sgpr_workgroup_info 0
		.amdhsa_system_vgpr_workitem_id 0
		.amdhsa_next_free_vgpr 94
		.amdhsa_next_free_sgpr 38
		.amdhsa_reserve_vcc 1
		.amdhsa_reserve_flat_scratch 0
		.amdhsa_float_round_mode_32 0
		.amdhsa_float_round_mode_16_64 0
		.amdhsa_float_denorm_mode_32 3
		.amdhsa_float_denorm_mode_16_64 3
		.amdhsa_dx10_clamp 1
		.amdhsa_ieee_mode 1
		.amdhsa_fp16_overflow 0
		.amdhsa_workgroup_processor_mode 1
		.amdhsa_memory_ordered 1
		.amdhsa_forward_progress 1
		.amdhsa_shared_vgpr_count 0
		.amdhsa_exception_fp_ieee_invalid_op 0
		.amdhsa_exception_fp_denorm_src 0
		.amdhsa_exception_fp_ieee_div_zero 0
		.amdhsa_exception_fp_ieee_overflow 0
		.amdhsa_exception_fp_ieee_underflow 0
		.amdhsa_exception_fp_ieee_inexact 0
		.amdhsa_exception_int_div_zero 0
	.end_amdhsa_kernel
	.section	.text._ZN4vllm25paged_attention_v1_kernelIttLi112ELi32ELi128ELNS_18Fp8KVCacheDataTypeE0ELb1EEEvPT_PKS2_PKT0_S8_ifPKiSA_iPKfiiiSC_SC_iiiii,"axG",@progbits,_ZN4vllm25paged_attention_v1_kernelIttLi112ELi32ELi128ELNS_18Fp8KVCacheDataTypeE0ELb1EEEvPT_PKS2_PKT0_S8_ifPKiSA_iPKfiiiSC_SC_iiiii,comdat
.Lfunc_end94:
	.size	_ZN4vllm25paged_attention_v1_kernelIttLi112ELi32ELi128ELNS_18Fp8KVCacheDataTypeE0ELb1EEEvPT_PKS2_PKT0_S8_ifPKiSA_iPKfiiiSC_SC_iiiii, .Lfunc_end94-_ZN4vllm25paged_attention_v1_kernelIttLi112ELi32ELi128ELNS_18Fp8KVCacheDataTypeE0ELb1EEEvPT_PKS2_PKT0_S8_ifPKiSA_iPKfiiiSC_SC_iiiii
                                        ; -- End function
	.set _ZN4vllm25paged_attention_v1_kernelIttLi112ELi32ELi128ELNS_18Fp8KVCacheDataTypeE0ELb1EEEvPT_PKS2_PKT0_S8_ifPKiSA_iPKfiiiSC_SC_iiiii.num_vgpr, 94
	.set _ZN4vllm25paged_attention_v1_kernelIttLi112ELi32ELi128ELNS_18Fp8KVCacheDataTypeE0ELb1EEEvPT_PKS2_PKT0_S8_ifPKiSA_iPKfiiiSC_SC_iiiii.num_agpr, 0
	.set _ZN4vllm25paged_attention_v1_kernelIttLi112ELi32ELi128ELNS_18Fp8KVCacheDataTypeE0ELb1EEEvPT_PKS2_PKT0_S8_ifPKiSA_iPKfiiiSC_SC_iiiii.numbered_sgpr, 38
	.set _ZN4vllm25paged_attention_v1_kernelIttLi112ELi32ELi128ELNS_18Fp8KVCacheDataTypeE0ELb1EEEvPT_PKS2_PKT0_S8_ifPKiSA_iPKfiiiSC_SC_iiiii.num_named_barrier, 0
	.set _ZN4vllm25paged_attention_v1_kernelIttLi112ELi32ELi128ELNS_18Fp8KVCacheDataTypeE0ELb1EEEvPT_PKS2_PKT0_S8_ifPKiSA_iPKfiiiSC_SC_iiiii.private_seg_size, 0
	.set _ZN4vllm25paged_attention_v1_kernelIttLi112ELi32ELi128ELNS_18Fp8KVCacheDataTypeE0ELb1EEEvPT_PKS2_PKT0_S8_ifPKiSA_iPKfiiiSC_SC_iiiii.uses_vcc, 1
	.set _ZN4vllm25paged_attention_v1_kernelIttLi112ELi32ELi128ELNS_18Fp8KVCacheDataTypeE0ELb1EEEvPT_PKS2_PKT0_S8_ifPKiSA_iPKfiiiSC_SC_iiiii.uses_flat_scratch, 0
	.set _ZN4vllm25paged_attention_v1_kernelIttLi112ELi32ELi128ELNS_18Fp8KVCacheDataTypeE0ELb1EEEvPT_PKS2_PKT0_S8_ifPKiSA_iPKfiiiSC_SC_iiiii.has_dyn_sized_stack, 0
	.set _ZN4vllm25paged_attention_v1_kernelIttLi112ELi32ELi128ELNS_18Fp8KVCacheDataTypeE0ELb1EEEvPT_PKS2_PKT0_S8_ifPKiSA_iPKfiiiSC_SC_iiiii.has_recursion, 0
	.set _ZN4vllm25paged_attention_v1_kernelIttLi112ELi32ELi128ELNS_18Fp8KVCacheDataTypeE0ELb1EEEvPT_PKS2_PKT0_S8_ifPKiSA_iPKfiiiSC_SC_iiiii.has_indirect_call, 0
	.section	.AMDGPU.csdata,"",@progbits
; Kernel info:
; codeLenInByte = 17644
; TotalNumSgprs: 40
; NumVgprs: 94
; ScratchSize: 0
; MemoryBound: 0
; FloatMode: 240
; IeeeMode: 1
; LDSByteSize: 256 bytes/workgroup (compile time only)
; SGPRBlocks: 0
; VGPRBlocks: 11
; NumSGPRsForWavesPerEU: 40
; NumVGPRsForWavesPerEU: 94
; Occupancy: 10
; WaveLimiterHint : 1
; COMPUTE_PGM_RSRC2:SCRATCH_EN: 0
; COMPUTE_PGM_RSRC2:USER_SGPR: 6
; COMPUTE_PGM_RSRC2:TRAP_HANDLER: 0
; COMPUTE_PGM_RSRC2:TGID_X_EN: 1
; COMPUTE_PGM_RSRC2:TGID_Y_EN: 1
; COMPUTE_PGM_RSRC2:TGID_Z_EN: 1
; COMPUTE_PGM_RSRC2:TIDIG_COMP_CNT: 0
	.section	.text._ZN4vllm25paged_attention_v1_kernelIttLi120ELi32ELi128ELNS_18Fp8KVCacheDataTypeE0ELb1EEEvPT_PKS2_PKT0_S8_ifPKiSA_iPKfiiiSC_SC_iiiii,"axG",@progbits,_ZN4vllm25paged_attention_v1_kernelIttLi120ELi32ELi128ELNS_18Fp8KVCacheDataTypeE0ELb1EEEvPT_PKS2_PKT0_S8_ifPKiSA_iPKfiiiSC_SC_iiiii,comdat
	.protected	_ZN4vllm25paged_attention_v1_kernelIttLi120ELi32ELi128ELNS_18Fp8KVCacheDataTypeE0ELb1EEEvPT_PKS2_PKT0_S8_ifPKiSA_iPKfiiiSC_SC_iiiii ; -- Begin function _ZN4vllm25paged_attention_v1_kernelIttLi120ELi32ELi128ELNS_18Fp8KVCacheDataTypeE0ELb1EEEvPT_PKS2_PKT0_S8_ifPKiSA_iPKfiiiSC_SC_iiiii
	.globl	_ZN4vllm25paged_attention_v1_kernelIttLi120ELi32ELi128ELNS_18Fp8KVCacheDataTypeE0ELb1EEEvPT_PKS2_PKT0_S8_ifPKiSA_iPKfiiiSC_SC_iiiii
	.p2align	8
	.type	_ZN4vllm25paged_attention_v1_kernelIttLi120ELi32ELi128ELNS_18Fp8KVCacheDataTypeE0ELb1EEEvPT_PKS2_PKT0_S8_ifPKiSA_iPKfiiiSC_SC_iiiii,@function
_ZN4vllm25paged_attention_v1_kernelIttLi120ELi32ELi128ELNS_18Fp8KVCacheDataTypeE0ELb1EEEvPT_PKS2_PKT0_S8_ifPKiSA_iPKfiiiSC_SC_iiiii: ; @_ZN4vllm25paged_attention_v1_kernelIttLi120ELi32ELi128ELNS_18Fp8KVCacheDataTypeE0ELb1EEEvPT_PKS2_PKT0_S8_ifPKiSA_iPKfiiiSC_SC_iiiii
; %bb.0:
	s_clause 0x2
	s_load_dword s9, s[4:5], 0x80
	s_load_dwordx2 s[0:1], s[4:5], 0x30
	s_load_dwordx2 s[2:3], s[4:5], 0x20
	s_mov_b32 s10, s7
	s_ashr_i32 s11, s7, 31
	s_mov_b32 s31, 0
	s_lshl_b64 s[12:13], s[10:11], 2
	s_waitcnt lgkmcnt(0)
	s_add_u32 s0, s0, s12
	s_addc_u32 s1, s1, s13
	s_abs_i32 s7, s2
	s_abs_i32 s13, s9
	v_cvt_f32_u32_e32 v1, s7
	s_sub_i32 s12, 0, s7
	v_rcp_iflag_f32_e32 v1, v1
	v_mul_f32_e32 v1, 0x4f7ffffe, v1
	v_cvt_u32_f32_e32 v1, v1
	v_readfirstlane_b32 s11, v1
	s_mul_i32 s12, s12, s11
	s_mul_hi_u32 s12, s11, s12
	s_add_i32 s11, s11, s12
	s_xor_b32 s12, s9, s2
	s_mul_hi_u32 s11, s13, s11
	s_ashr_i32 s12, s12, 31
	s_mul_i32 s14, s11, s7
	s_sub_i32 s13, s13, s14
	s_add_i32 s14, s11, 1
	s_sub_i32 s15, s13, s7
	s_cmp_ge_u32 s13, s7
	s_cselect_b32 s11, s14, s11
	s_cselect_b32 s13, s15, s13
	s_add_i32 s14, s11, 1
	s_cmp_ge_u32 s13, s7
	s_cselect_b32 s7, s14, s11
	s_abs_i32 s22, s6
	s_xor_b32 s7, s7, s12
	s_sub_i32 s16, s7, s12
	s_load_dwordx2 s[12:13], s[4:5], 0x40
	s_abs_i32 s11, s16
	v_cvt_f32_u32_e32 v1, s11
	s_sub_i32 s14, 0, s11
	v_rcp_iflag_f32_e32 v1, v1
	v_mul_f32_e32 v1, 0x4f7ffffe, v1
	v_cvt_u32_f32_e32 v1, v1
	v_readfirstlane_b32 s7, v1
	s_mul_i32 s14, s14, s7
	s_mul_hi_u32 s14, s7, s14
	s_add_i32 s7, s7, s14
	s_waitcnt lgkmcnt(0)
	s_cmp_eq_u64 s[12:13], 0
	s_mul_hi_u32 s23, s22, s7
	s_cbranch_scc1 .LBB95_2
; %bb.1:
	s_ashr_i32 s7, s6, 31
	s_lshl_b64 s[14:15], s[6:7], 2
	s_add_u32 s12, s12, s14
	s_addc_u32 s13, s13, s15
	s_load_dword s31, s[12:13], 0x0
.LBB95_2:
	s_load_dword s28, s[0:1], 0x0
	s_load_dwordx4 s[12:15], s[4:5], 0x48
	v_lshlrev_b32_e32 v62, 4, v0
	s_ashr_i32 s0, s6, 31
	s_ashr_i32 s1, s16, 31
	s_mul_i32 s20, s6, 0x78
	s_mov_b32 s7, exec_lo
	v_cmpx_gt_u32_e32 15, v0
	s_cbranch_execz .LBB95_4
; %bb.3:
	s_load_dwordx2 s[16:17], s[4:5], 0x8
	s_waitcnt lgkmcnt(0)
	s_mul_i32 s18, s12, s10
	s_ashr_i32 s19, s18, 31
	s_lshl_b64 s[18:19], s[18:19], 1
	s_add_u32 s12, s16, s18
	s_addc_u32 s15, s17, s19
	s_ashr_i32 s21, s20, 31
	s_lshl_b64 s[16:17], s[20:21], 1
	s_add_u32 s16, s12, s16
	s_addc_u32 s17, s15, s17
	global_load_dwordx4 v[1:4], v62, s[16:17]
	s_waitcnt vmcnt(0)
	ds_write_b128 v62, v[1:4]
.LBB95_4:
	s_or_b32 exec_lo, exec_lo, s7
	s_load_dwordx4 s[16:19], s[4:5], 0x68
	s_mul_i32 s7, s23, s11
	s_xor_b32 s1, s0, s1
	s_sub_i32 s0, s22, s7
	s_add_i32 s7, s23, 1
	s_waitcnt lgkmcnt(0)
	s_sub_i32 s12, s0, s11
	s_cmp_ge_u32 s0, s11
	s_mov_b32 s24, -1
	s_cselect_b32 s7, s7, s23
	s_cselect_b32 s0, s12, s0
	s_add_i32 s12, s7, 1
	s_cmp_ge_u32 s0, s11
	s_load_dword s0, s[4:5], 0x78
	s_cselect_b32 s7, s12, s7
	s_add_i32 s11, s28, -1
	s_xor_b32 s7, s7, s1
	s_waitcnt lgkmcnt(0)
	s_sub_i32 s1, s7, s1
	s_barrier
	buffer_gl0_inv
	s_abs_i32 s12, s19
                                        ; implicit-def: $sgpr29
	v_cvt_f32_u32_e32 v1, s12
	s_sub_i32 s7, 0, s12
	v_rcp_iflag_f32_e32 v1, v1
	v_mul_f32_e32 v1, 0x4f7ffffe, v1
	v_cvt_u32_f32_e32 v1, v1
	v_readfirstlane_b32 s21, v1
	s_mul_i32 s7, s7, s21
	s_mul_hi_u32 s15, s21, s7
	s_abs_i32 s7, s11
	s_add_i32 s21, s21, s15
	s_cmp_lt_i32 s0, 0
	s_mul_hi_u32 s15, s7, s21
	s_cbranch_scc0 .LBB95_6
; %bb.5:
	s_mul_i32 s2, s16, s2
	s_mov_b32 s24, 0
	s_add_i32 s2, s1, s2
	s_mul_i32 s2, s2, s0
	s_sub_i32 s29, 1, s2
.LBB95_6:
	s_load_dwordx2 s[22:23], s[4:5], 0x28
	s_ashr_i32 s2, s11, 31
	s_andn2_b32 vcc_lo, exec_lo, s24
	s_ashr_i32 s19, s19, 31
	s_cbranch_vccnz .LBB95_8
; %bb.7:
	s_mul_i32 s11, s9, s16
	s_add_i32 s6, s11, s6
	s_mul_i32 s0, s6, s0
	s_add_i32 s29, s0, 1
.LBB95_8:
	s_load_dword s0, s[4:5], 0x38
	s_mul_i32 s6, s15, s12
	s_xor_b32 s2, s2, s19
	s_sub_i32 s30, s7, s6
	s_add_i32 s16, s15, 1
	s_clause 0x2
	s_load_dwordx2 s[6:7], s[4:5], 0x0
	s_load_dwordx2 s[26:27], s[4:5], 0x18
	s_load_dword s11, s[4:5], 0x88
	v_lshrrev_b32_e32 v59, 5, v0
	v_and_b32_e32 v60, 31, v0
	v_mov_b32_e32 v65, 0xff7fffff
	v_lshrrev_b32_e32 v63, 3, v0
	s_mul_i32 s14, s1, s14
	v_lshlrev_b32_e32 v61, 5, v59
	v_lshlrev_b32_e32 v64, 2, v60
	s_waitcnt lgkmcnt(0)
	s_mul_i32 s24, s0, s10
	s_sub_i32 s0, s30, s12
	s_ashr_i32 s25, s24, 31
	s_cmp_ge_u32 s30, s12
	s_cselect_b32 s15, s16, s15
	s_cselect_b32 s0, s0, s30
	s_add_i32 s16, s15, 1
	s_cmp_ge_u32 s0, s12
	s_cselect_b32 s0, s16, s15
	s_add_i32 s15, s28, 31
	s_ashr_i32 s16, s15, 31
	s_lshr_b32 s16, s16, 27
	s_add_i32 s15, s15, s16
	s_ashr_i32 s16, s15, 5
	s_xor_b32 s15, s0, s2
	v_cmp_gt_i32_e64 s0, s16, v59
	s_sub_i32 s30, s15, s2
	s_and_saveexec_b32 s33, s0
	s_cbranch_execz .LBB95_16
; %bb.9:
	s_load_dwordx2 s[34:35], s[4:5], 0x10
	s_ashr_i32 s15, s14, 31
	s_sub_i32 s4, s30, s17
	s_lshl_b64 s[36:37], s[14:15], 1
	v_subrev_nc_u32_e32 v4, s28, v60
	v_lshlrev_b32_e32 v2, 4, v60
	v_and_b32_e32 v3, 0x7c, v63
	v_lshl_or_b32 v6, v59, 7, v64
	v_mov_b32_e32 v66, 0
	v_add_nc_u32_e32 v69, 1, v4
	v_cmp_neq_f32_e64 vcc_lo, s31, 0
	v_lshlrev_b32_e32 v67, 5, v59
	v_mov_b32_e32 v68, 0xff7fffff
	v_mov_b32_e32 v65, 0xff7fffff
	v_add_nc_u32_e32 v70, 0x110, v6
	v_mov_b32_e32 v74, v59
	s_waitcnt lgkmcnt(0)
	s_add_u32 s1, s34, s36
	s_addc_u32 s2, s35, s37
	s_abs_i32 s5, s18
	s_lshl_b64 s[34:35], s[24:25], 2
	v_cvt_f32_u32_e32 v1, s5
	s_sub_i32 s15, 0, s5
	v_add_co_u32 v71, s1, s1, v2
	v_add_co_ci_u32_e64 v72, null, s2, 0, s1
	v_rcp_iflag_f32_e32 v1, v1
	s_add_u32 s1, s22, s34
	s_addc_u32 s2, s23, s35
	v_add_co_u32 v57, s1, s1, v3
	v_add_co_ci_u32_e64 v58, null, s2, 0, s1
	s_mov_b32 s34, s13
	v_mul_f32_e32 v1, 0x4f7ffffe, v1
	v_cvt_u32_f32_e32 v1, v1
	v_mul_lo_u32 v5, s15, v1
	s_mov_b32 s15, 0
	v_mul_hi_u32 v4, v1, v5
	v_add_nc_u32_e32 v73, v1, v4
	s_branch .LBB95_11
.LBB95_10:                              ;   in Loop: Header=BB95_11 Depth=1
	s_or_b32 exec_lo, exec_lo, s35
	v_add_nc_u32_e32 v74, 4, v74
	v_add_co_u32 v57, s2, v57, 16
	v_add_co_ci_u32_e64 v58, null, 0, v58, s2
	v_cmp_le_i32_e64 s1, s16, v74
	v_add_nc_u32_e32 v67, 0x80, v67
	v_add_nc_u32_e32 v70, 0x200, v70
	s_or_b32 s15, s1, s15
	s_andn2_b32 exec_lo, exec_lo, s15
	s_cbranch_execz .LBB95_15
.LBB95_11:                              ; =>This Inner Loop Header: Depth=1
	v_mul_hi_u32 v1, v67, s21
	v_mul_lo_u32 v2, v1, s12
	v_add_nc_u32_e32 v3, 1, v1
	v_sub_nc_u32_e32 v2, v67, v2
	v_subrev_nc_u32_e32 v4, s12, v2
	v_cmp_le_u32_e64 s1, s12, v2
	v_cndmask_b32_e64 v1, v1, v3, s1
	v_cndmask_b32_e64 v2, v2, v4, s1
	v_add_nc_u32_e32 v3, 1, v1
	v_cmp_le_u32_e64 s1, s12, v2
	v_cndmask_b32_e64 v1, v1, v3, s1
	v_xor_b32_e32 v1, s19, v1
	v_subrev_nc_u32_e32 v1, s19, v1
	v_add_nc_u32_e32 v2, s29, v1
	v_cmp_ge_i32_e64 s2, s4, v1
	v_sub_nc_u32_e32 v3, 0, v2
	v_max_i32_e32 v3, v2, v3
	v_ashrrev_i32_e32 v2, 31, v2
	v_mul_hi_u32 v4, v3, v73
	v_mul_lo_u32 v4, v4, s5
	v_sub_nc_u32_e32 v3, v3, v4
	v_subrev_nc_u32_e32 v4, s5, v3
	v_cmp_le_u32_e64 s1, s5, v3
	v_cndmask_b32_e64 v3, v3, v4, s1
	v_subrev_nc_u32_e32 v4, s5, v3
	v_cmp_le_u32_e64 s1, s5, v3
	v_cndmask_b32_e64 v3, v3, v4, s1
	v_xor_b32_e32 v3, v3, v2
	v_sub_nc_u32_e32 v2, v3, v2
	v_cmp_ne_u32_e64 s1, 0, v2
	s_and_b32 s1, s1, s2
	s_and_saveexec_b32 s2, s1
	s_xor_b32 s1, exec_lo, s2
; %bb.12:                               ;   in Loop: Header=BB95_11 Depth=1
	ds_write_b32 v70, v68
; %bb.13:                               ;   in Loop: Header=BB95_11 Depth=1
	s_andn2_saveexec_b32 s35, s1
	s_cbranch_execz .LBB95_10
; %bb.14:                               ;   in Loop: Header=BB95_11 Depth=1
	global_load_dword v1, v[57:58], off
	v_add_nc_u32_e32 v4, v69, v67
	v_add_nc_u32_e32 v3, v60, v67
	v_cvt_f32_i32_e32 v4, v4
	v_mul_f32_e32 v75, s31, v4
	v_cndmask_b32_e32 v75, 0, v75, vcc_lo
	s_waitcnt vmcnt(0)
	v_mad_i64_i32 v[1:2], null, v1, s34, 0
	v_lshlrev_b64 v[1:2], 1, v[1:2]
	v_add_co_u32 v1, s1, v71, v1
	v_add_co_ci_u32_e64 v2, null, v72, v2, s1
	v_cmp_gt_i32_e64 s1, s28, v3
	v_add_co_u32 v3, s2, 0x800, v1
	s_clause 0x3
	global_load_dwordx4 v[76:79], v[1:2], off
	global_load_dwordx4 v[53:56], v[1:2], off offset:512
	global_load_dwordx4 v[49:52], v[1:2], off offset:1024
	;; [unrolled: 1-line block ×3, first 2 shown]
	v_add_co_ci_u32_e64 v4, null, 0, v2, s2
	v_add_co_u32 v5, s2, v1, 0x1000
	v_add_co_ci_u32_e64 v6, null, 0, v2, s2
	s_clause 0x3
	global_load_dwordx4 v[41:44], v[5:6], off offset:-2048
	global_load_dwordx4 v[37:40], v[3:4], off offset:512
	global_load_dwordx4 v[33:36], v[3:4], off offset:1024
	;; [unrolled: 1-line block ×3, first 2 shown]
	v_add_co_u32 v3, s2, 0x1000, v1
	v_add_co_ci_u32_e64 v4, null, 0, v2, s2
	s_clause 0x3
	global_load_dwordx4 v[25:28], v[5:6], off
	global_load_dwordx4 v[21:24], v[3:4], off offset:512
	global_load_dwordx4 v[17:20], v[3:4], off offset:1024
	;; [unrolled: 1-line block ×3, first 2 shown]
	v_add_co_u32 v1, s2, 0x1800, v1
	v_add_co_ci_u32_e64 v2, null, 0, v2, s2
	s_clause 0x2
	global_load_dwordx4 v[9:12], v[1:2], off
	global_load_dwordx4 v[5:8], v[1:2], off offset:512
	global_load_dwordx4 v[1:4], v[1:2], off offset:1024
	ds_read_b128 v[80:83], v66
	s_waitcnt lgkmcnt(0)
	v_lshrrev_b32_e32 v84, 16, v80
	v_and_b32_e32 v80, 0xffff, v80
	;;#ASMSTART
	v_cvt_f32_f16 v80, v80;
	;;#ASMEND
	;;#ASMSTART
	v_cvt_f32_f16 v84, v84;
	;;#ASMEND
	s_waitcnt vmcnt(14)
	v_lshrrev_b32_e32 v86, 16, v76
	v_and_b32_e32 v76, 0xffff, v76
	;;#ASMSTART
	v_cvt_f32_f16 v85, v76;
	;;#ASMEND
	v_lshrrev_b32_e32 v76, 16, v81
	v_and_b32_e32 v81, 0xffff, v81
	;;#ASMSTART
	v_cvt_f32_f16 v86, v86;
	;;#ASMEND
	;;#ASMSTART
	v_cvt_f32_f16 v81, v81;
	;;#ASMEND
	;; [unrolled: 3-line block ×3, first 2 shown]
	v_lshrrev_b32_e32 v76, 16, v77
	v_and_b32_e32 v77, 0xffff, v77
	;;#ASMSTART
	v_cvt_f32_f16 v88, v77;
	;;#ASMEND
	;;#ASMSTART
	v_cvt_f32_f16 v89, v76;
	;;#ASMEND
	v_lshrrev_b32_e32 v76, 16, v82
	v_and_b32_e32 v77, 0xffff, v82
	;;#ASMSTART
	v_cvt_f32_f16 v82, v77;
	;;#ASMEND
	;;#ASMSTART
	v_cvt_f32_f16 v90, v76;
	;;#ASMEND
	;; [unrolled: 8-line block ×5, first 2 shown]
	ds_read_b128 v[76:79], v66 offset:16
	s_waitcnt vmcnt(13)
	v_lshrrev_b32_e32 v97, 16, v53
	v_and_b32_e32 v53, 0xffff, v53
	s_waitcnt lgkmcnt(0)
	v_lshrrev_b32_e32 v96, 16, v76
	v_and_b32_e32 v76, 0xffff, v76
	;;#ASMSTART
	v_cvt_f32_f16 v76, v76;
	;;#ASMEND
	;;#ASMSTART
	v_cvt_f32_f16 v96, v96;
	;;#ASMEND
	;; [unrolled: 3-line block ×3, first 2 shown]
	v_mul_f32_e32 v53, v76, v53
	;;#ASMSTART
	v_cvt_f32_f16 v97, v97;
	;;#ASMEND
	v_mul_f32_e32 v76, v96, v97
	v_fmac_f32_e32 v53, v80, v85
	v_lshrrev_b32_e32 v80, 16, v77
	v_and_b32_e32 v77, 0xffff, v77
	v_fmac_f32_e32 v76, v84, v86
	;;#ASMSTART
	v_cvt_f32_f16 v77, v77;
	;;#ASMEND
	v_lshrrev_b32_e32 v84, 16, v54
	v_and_b32_e32 v54, 0xffff, v54
	;;#ASMSTART
	v_cvt_f32_f16 v80, v80;
	;;#ASMEND
	;;#ASMSTART
	v_cvt_f32_f16 v54, v54;
	;;#ASMEND
	v_mul_f32_e32 v77, v77, v54
	;;#ASMSTART
	v_cvt_f32_f16 v84, v84;
	;;#ASMEND
	v_mul_f32_e32 v54, v80, v84
	v_lshrrev_b32_e32 v80, 16, v78
	v_and_b32_e32 v78, 0xffff, v78
	v_fmac_f32_e32 v77, v81, v88
	v_lshrrev_b32_e32 v81, 16, v55
	v_and_b32_e32 v55, 0xffff, v55
	;;#ASMSTART
	v_cvt_f32_f16 v78, v78;
	;;#ASMEND
	;;#ASMSTART
	v_cvt_f32_f16 v80, v80;
	;;#ASMEND
	;; [unrolled: 3-line block ×4, first 2 shown]
	v_mul_f32_e32 v78, v78, v55
	v_mul_f32_e32 v55, v80, v81
	v_lshrrev_b32_e32 v80, 16, v79
	v_and_b32_e32 v79, 0xffff, v79
	;;#ASMSTART
	v_cvt_f32_f16 v79, v79;
	;;#ASMEND
	v_lshrrev_b32_e32 v81, 16, v56
	v_and_b32_e32 v56, 0xffff, v56
	;;#ASMSTART
	v_cvt_f32_f16 v80, v80;
	;;#ASMEND
	;;#ASMSTART
	v_cvt_f32_f16 v56, v56;
	;;#ASMEND
	v_mul_f32_e32 v79, v79, v56
	;;#ASMSTART
	v_cvt_f32_f16 v81, v81;
	;;#ASMEND
	v_fmac_f32_e32 v78, v82, v91
	v_mul_f32_e32 v56, v80, v81
	v_fmac_f32_e32 v54, v87, v89
	v_fmac_f32_e32 v79, v83, v94
	ds_read_b128 v[80:83], v66 offset:32
	s_waitcnt vmcnt(12)
	v_lshrrev_b32_e32 v85, 16, v49
	v_and_b32_e32 v49, 0xffff, v49
	v_fmac_f32_e32 v55, v90, v92
	v_fmac_f32_e32 v56, v93, v95
	s_waitcnt lgkmcnt(0)
	v_lshrrev_b32_e32 v84, 16, v80
	v_and_b32_e32 v80, 0xffff, v80
	;;#ASMSTART
	v_cvt_f32_f16 v80, v80;
	;;#ASMEND
	;;#ASMSTART
	v_cvt_f32_f16 v84, v84;
	;;#ASMEND
	;; [unrolled: 3-line block ×3, first 2 shown]
	v_fmac_f32_e32 v53, v80, v49
	v_lshrrev_b32_e32 v80, 16, v81
	v_and_b32_e32 v49, 0xffff, v81
	v_lshrrev_b32_e32 v81, 16, v50
	v_and_b32_e32 v50, 0xffff, v50
	;;#ASMSTART
	v_cvt_f32_f16 v85, v85;
	;;#ASMEND
	;;#ASMSTART
	v_cvt_f32_f16 v49, v49;
	;;#ASMEND
	;; [unrolled: 3-line block ×5, first 2 shown]
	v_fmac_f32_e32 v77, v49, v50
	v_fmac_f32_e32 v54, v80, v81
	v_lshrrev_b32_e32 v50, 16, v82
	v_and_b32_e32 v49, 0xffff, v82
	v_lshrrev_b32_e32 v80, 16, v51
	v_and_b32_e32 v51, 0xffff, v51
	;;#ASMSTART
	v_cvt_f32_f16 v49, v49;
	;;#ASMEND
	;;#ASMSTART
	v_cvt_f32_f16 v50, v50;
	;;#ASMEND
	;; [unrolled: 3-line block ×4, first 2 shown]
	v_fmac_f32_e32 v78, v49, v51
	v_fmac_f32_e32 v55, v50, v80
	v_lshrrev_b32_e32 v50, 16, v83
	v_and_b32_e32 v49, 0xffff, v83
	v_and_b32_e32 v51, 0xffff, v52
	;;#ASMSTART
	v_cvt_f32_f16 v49, v49;
	;;#ASMEND
	;;#ASMSTART
	v_cvt_f32_f16 v50, v50;
	;;#ASMEND
	v_lshrrev_b32_e32 v80, 16, v52
	;;#ASMSTART
	v_cvt_f32_f16 v51, v51;
	;;#ASMEND
	;;#ASMSTART
	v_cvt_f32_f16 v52, v80;
	;;#ASMEND
	v_fmac_f32_e32 v79, v49, v51
	v_fmac_f32_e32 v56, v50, v52
	ds_read_b128 v[49:52], v66 offset:48
	s_waitcnt vmcnt(11)
	v_lshrrev_b32_e32 v81, 16, v45
	v_and_b32_e32 v45, 0xffff, v45
	v_fmac_f32_e32 v76, v84, v85
	s_waitcnt lgkmcnt(0)
	v_lshrrev_b32_e32 v80, 16, v49
	v_and_b32_e32 v49, 0xffff, v49
	;;#ASMSTART
	v_cvt_f32_f16 v49, v49;
	;;#ASMEND
	;;#ASMSTART
	v_cvt_f32_f16 v80, v80;
	;;#ASMEND
	;; [unrolled: 3-line block ×3, first 2 shown]
	v_fmac_f32_e32 v53, v49, v45
	v_lshrrev_b32_e32 v49, 16, v50
	v_and_b32_e32 v45, 0xffff, v50
	v_lshrrev_b32_e32 v50, 16, v46
	v_and_b32_e32 v46, 0xffff, v46
	;;#ASMSTART
	v_cvt_f32_f16 v81, v81;
	;;#ASMEND
	;;#ASMSTART
	v_cvt_f32_f16 v45, v45;
	;;#ASMEND
	;; [unrolled: 3-line block ×5, first 2 shown]
	v_fmac_f32_e32 v77, v45, v46
	v_fmac_f32_e32 v54, v49, v50
	v_lshrrev_b32_e32 v46, 16, v51
	v_and_b32_e32 v45, 0xffff, v51
	v_lshrrev_b32_e32 v49, 16, v47
	v_and_b32_e32 v47, 0xffff, v47
	;;#ASMSTART
	v_cvt_f32_f16 v45, v45;
	;;#ASMEND
	;;#ASMSTART
	v_cvt_f32_f16 v46, v46;
	;;#ASMEND
	;; [unrolled: 3-line block ×4, first 2 shown]
	v_fmac_f32_e32 v78, v45, v47
	v_fmac_f32_e32 v55, v46, v49
	v_lshrrev_b32_e32 v46, 16, v52
	v_and_b32_e32 v45, 0xffff, v52
	v_and_b32_e32 v47, 0xffff, v48
	;;#ASMSTART
	v_cvt_f32_f16 v45, v45;
	;;#ASMEND
	;;#ASMSTART
	v_cvt_f32_f16 v46, v46;
	;;#ASMEND
	v_lshrrev_b32_e32 v49, 16, v48
	;;#ASMSTART
	v_cvt_f32_f16 v47, v47;
	;;#ASMEND
	;;#ASMSTART
	v_cvt_f32_f16 v48, v49;
	;;#ASMEND
	v_fmac_f32_e32 v79, v45, v47
	v_fmac_f32_e32 v56, v46, v48
	ds_read_b128 v[45:48], v66 offset:64
	s_waitcnt vmcnt(10)
	v_lshrrev_b32_e32 v50, 16, v41
	v_and_b32_e32 v41, 0xffff, v41
	v_fmac_f32_e32 v76, v80, v81
	s_waitcnt lgkmcnt(0)
	v_lshrrev_b32_e32 v49, 16, v45
	v_and_b32_e32 v45, 0xffff, v45
	;;#ASMSTART
	v_cvt_f32_f16 v45, v45;
	;;#ASMEND
	;;#ASMSTART
	v_cvt_f32_f16 v49, v49;
	;;#ASMEND
	;; [unrolled: 3-line block ×3, first 2 shown]
	v_fmac_f32_e32 v53, v45, v41
	v_lshrrev_b32_e32 v45, 16, v46
	v_and_b32_e32 v41, 0xffff, v46
	v_lshrrev_b32_e32 v46, 16, v42
	v_and_b32_e32 v42, 0xffff, v42
	;;#ASMSTART
	v_cvt_f32_f16 v50, v50;
	;;#ASMEND
	;;#ASMSTART
	v_cvt_f32_f16 v41, v41;
	;;#ASMEND
	;; [unrolled: 3-line block ×5, first 2 shown]
	v_fmac_f32_e32 v77, v41, v42
	v_fmac_f32_e32 v54, v45, v46
	v_lshrrev_b32_e32 v42, 16, v47
	v_and_b32_e32 v41, 0xffff, v47
	v_lshrrev_b32_e32 v45, 16, v43
	v_and_b32_e32 v43, 0xffff, v43
	;;#ASMSTART
	v_cvt_f32_f16 v41, v41;
	;;#ASMEND
	;;#ASMSTART
	v_cvt_f32_f16 v42, v42;
	;;#ASMEND
	;; [unrolled: 3-line block ×4, first 2 shown]
	v_fmac_f32_e32 v78, v41, v43
	v_fmac_f32_e32 v55, v42, v45
	v_lshrrev_b32_e32 v42, 16, v48
	v_and_b32_e32 v41, 0xffff, v48
	v_and_b32_e32 v43, 0xffff, v44
	;;#ASMSTART
	v_cvt_f32_f16 v41, v41;
	;;#ASMEND
	;;#ASMSTART
	v_cvt_f32_f16 v42, v42;
	;;#ASMEND
	v_lshrrev_b32_e32 v45, 16, v44
	;;#ASMSTART
	v_cvt_f32_f16 v43, v43;
	;;#ASMEND
	;;#ASMSTART
	v_cvt_f32_f16 v44, v45;
	;;#ASMEND
	v_fmac_f32_e32 v79, v41, v43
	v_fmac_f32_e32 v56, v42, v44
	ds_read_b128 v[41:44], v66 offset:80
	s_waitcnt vmcnt(9)
	v_lshrrev_b32_e32 v46, 16, v37
	v_and_b32_e32 v37, 0xffff, v37
	v_fmac_f32_e32 v76, v49, v50
	s_waitcnt lgkmcnt(0)
	v_lshrrev_b32_e32 v45, 16, v41
	v_and_b32_e32 v41, 0xffff, v41
	;;#ASMSTART
	v_cvt_f32_f16 v41, v41;
	;;#ASMEND
	;;#ASMSTART
	v_cvt_f32_f16 v45, v45;
	;;#ASMEND
	;; [unrolled: 3-line block ×3, first 2 shown]
	v_fmac_f32_e32 v53, v41, v37
	v_lshrrev_b32_e32 v41, 16, v42
	v_and_b32_e32 v37, 0xffff, v42
	v_lshrrev_b32_e32 v42, 16, v38
	v_and_b32_e32 v38, 0xffff, v38
	;;#ASMSTART
	v_cvt_f32_f16 v46, v46;
	;;#ASMEND
	;;#ASMSTART
	v_cvt_f32_f16 v37, v37;
	;;#ASMEND
	;; [unrolled: 3-line block ×5, first 2 shown]
	v_fmac_f32_e32 v77, v37, v38
	v_fmac_f32_e32 v54, v41, v42
	v_lshrrev_b32_e32 v38, 16, v43
	v_and_b32_e32 v37, 0xffff, v43
	v_lshrrev_b32_e32 v41, 16, v39
	v_and_b32_e32 v39, 0xffff, v39
	;;#ASMSTART
	v_cvt_f32_f16 v37, v37;
	;;#ASMEND
	;;#ASMSTART
	v_cvt_f32_f16 v38, v38;
	;;#ASMEND
	;; [unrolled: 3-line block ×4, first 2 shown]
	v_fmac_f32_e32 v78, v37, v39
	v_fmac_f32_e32 v55, v38, v41
	v_lshrrev_b32_e32 v38, 16, v44
	v_and_b32_e32 v37, 0xffff, v44
	v_and_b32_e32 v39, 0xffff, v40
	;;#ASMSTART
	v_cvt_f32_f16 v37, v37;
	;;#ASMEND
	;;#ASMSTART
	v_cvt_f32_f16 v38, v38;
	;;#ASMEND
	v_lshrrev_b32_e32 v41, 16, v40
	;;#ASMSTART
	v_cvt_f32_f16 v39, v39;
	;;#ASMEND
	;;#ASMSTART
	v_cvt_f32_f16 v40, v41;
	;;#ASMEND
	v_fmac_f32_e32 v79, v37, v39
	v_fmac_f32_e32 v56, v38, v40
	ds_read_b128 v[37:40], v66 offset:96
	s_waitcnt vmcnt(8)
	v_lshrrev_b32_e32 v42, 16, v33
	v_and_b32_e32 v33, 0xffff, v33
	v_fmac_f32_e32 v76, v45, v46
	s_waitcnt lgkmcnt(0)
	v_lshrrev_b32_e32 v41, 16, v37
	v_and_b32_e32 v37, 0xffff, v37
	;;#ASMSTART
	v_cvt_f32_f16 v37, v37;
	;;#ASMEND
	;;#ASMSTART
	v_cvt_f32_f16 v41, v41;
	;;#ASMEND
	;; [unrolled: 3-line block ×3, first 2 shown]
	v_fmac_f32_e32 v53, v37, v33
	v_lshrrev_b32_e32 v37, 16, v38
	v_and_b32_e32 v33, 0xffff, v38
	v_lshrrev_b32_e32 v38, 16, v34
	v_and_b32_e32 v34, 0xffff, v34
	;;#ASMSTART
	v_cvt_f32_f16 v42, v42;
	;;#ASMEND
	;;#ASMSTART
	v_cvt_f32_f16 v33, v33;
	;;#ASMEND
	;; [unrolled: 3-line block ×5, first 2 shown]
	v_fmac_f32_e32 v77, v33, v34
	v_fmac_f32_e32 v54, v37, v38
	v_lshrrev_b32_e32 v34, 16, v39
	v_and_b32_e32 v33, 0xffff, v39
	v_lshrrev_b32_e32 v37, 16, v35
	v_and_b32_e32 v35, 0xffff, v35
	;;#ASMSTART
	v_cvt_f32_f16 v33, v33;
	;;#ASMEND
	;;#ASMSTART
	v_cvt_f32_f16 v34, v34;
	;;#ASMEND
	;; [unrolled: 3-line block ×4, first 2 shown]
	v_fmac_f32_e32 v78, v33, v35
	v_fmac_f32_e32 v55, v34, v37
	v_lshrrev_b32_e32 v34, 16, v40
	v_and_b32_e32 v33, 0xffff, v40
	v_and_b32_e32 v35, 0xffff, v36
	;;#ASMSTART
	v_cvt_f32_f16 v33, v33;
	;;#ASMEND
	;;#ASMSTART
	v_cvt_f32_f16 v34, v34;
	;;#ASMEND
	v_lshrrev_b32_e32 v37, 16, v36
	;;#ASMSTART
	v_cvt_f32_f16 v35, v35;
	;;#ASMEND
	;;#ASMSTART
	v_cvt_f32_f16 v36, v37;
	;;#ASMEND
	v_fmac_f32_e32 v79, v33, v35
	v_fmac_f32_e32 v56, v34, v36
	ds_read_b128 v[33:36], v66 offset:112
	s_waitcnt vmcnt(7)
	v_lshrrev_b32_e32 v38, 16, v29
	v_and_b32_e32 v29, 0xffff, v29
	v_fmac_f32_e32 v76, v41, v42
	s_waitcnt lgkmcnt(0)
	v_lshrrev_b32_e32 v37, 16, v33
	v_and_b32_e32 v33, 0xffff, v33
	;;#ASMSTART
	v_cvt_f32_f16 v33, v33;
	;;#ASMEND
	;;#ASMSTART
	v_cvt_f32_f16 v37, v37;
	;;#ASMEND
	;; [unrolled: 3-line block ×3, first 2 shown]
	v_fmac_f32_e32 v53, v33, v29
	v_lshrrev_b32_e32 v33, 16, v34
	v_and_b32_e32 v29, 0xffff, v34
	v_lshrrev_b32_e32 v34, 16, v30
	v_and_b32_e32 v30, 0xffff, v30
	;;#ASMSTART
	v_cvt_f32_f16 v38, v38;
	;;#ASMEND
	;;#ASMSTART
	v_cvt_f32_f16 v29, v29;
	;;#ASMEND
	;; [unrolled: 3-line block ×5, first 2 shown]
	v_fmac_f32_e32 v77, v29, v30
	v_fmac_f32_e32 v54, v33, v34
	v_lshrrev_b32_e32 v30, 16, v35
	v_and_b32_e32 v29, 0xffff, v35
	v_lshrrev_b32_e32 v33, 16, v31
	v_and_b32_e32 v31, 0xffff, v31
	;;#ASMSTART
	v_cvt_f32_f16 v29, v29;
	;;#ASMEND
	;;#ASMSTART
	v_cvt_f32_f16 v30, v30;
	;;#ASMEND
	;; [unrolled: 3-line block ×4, first 2 shown]
	v_fmac_f32_e32 v78, v29, v31
	v_fmac_f32_e32 v55, v30, v33
	v_lshrrev_b32_e32 v30, 16, v36
	v_and_b32_e32 v29, 0xffff, v36
	v_and_b32_e32 v31, 0xffff, v32
	;;#ASMSTART
	v_cvt_f32_f16 v29, v29;
	;;#ASMEND
	;;#ASMSTART
	v_cvt_f32_f16 v30, v30;
	;;#ASMEND
	v_lshrrev_b32_e32 v33, 16, v32
	;;#ASMSTART
	v_cvt_f32_f16 v31, v31;
	;;#ASMEND
	;;#ASMSTART
	v_cvt_f32_f16 v32, v33;
	;;#ASMEND
	v_fmac_f32_e32 v79, v29, v31
	v_fmac_f32_e32 v56, v30, v32
	ds_read_b128 v[29:32], v66 offset:128
	s_waitcnt vmcnt(6)
	v_lshrrev_b32_e32 v34, 16, v25
	v_and_b32_e32 v25, 0xffff, v25
	v_fmac_f32_e32 v76, v37, v38
	s_waitcnt lgkmcnt(0)
	v_lshrrev_b32_e32 v33, 16, v29
	v_and_b32_e32 v29, 0xffff, v29
	;;#ASMSTART
	v_cvt_f32_f16 v29, v29;
	;;#ASMEND
	;;#ASMSTART
	v_cvt_f32_f16 v33, v33;
	;;#ASMEND
	;; [unrolled: 3-line block ×3, first 2 shown]
	v_fmac_f32_e32 v53, v29, v25
	v_lshrrev_b32_e32 v29, 16, v30
	v_and_b32_e32 v25, 0xffff, v30
	v_lshrrev_b32_e32 v30, 16, v26
	v_and_b32_e32 v26, 0xffff, v26
	;;#ASMSTART
	v_cvt_f32_f16 v34, v34;
	;;#ASMEND
	;;#ASMSTART
	v_cvt_f32_f16 v25, v25;
	;;#ASMEND
	;; [unrolled: 3-line block ×5, first 2 shown]
	v_fmac_f32_e32 v77, v25, v26
	v_fmac_f32_e32 v54, v29, v30
	v_lshrrev_b32_e32 v26, 16, v31
	v_and_b32_e32 v25, 0xffff, v31
	v_lshrrev_b32_e32 v29, 16, v27
	v_and_b32_e32 v27, 0xffff, v27
	;;#ASMSTART
	v_cvt_f32_f16 v25, v25;
	;;#ASMEND
	;;#ASMSTART
	v_cvt_f32_f16 v26, v26;
	;;#ASMEND
	;; [unrolled: 3-line block ×4, first 2 shown]
	v_fmac_f32_e32 v78, v25, v27
	v_fmac_f32_e32 v55, v26, v29
	v_lshrrev_b32_e32 v26, 16, v32
	v_and_b32_e32 v25, 0xffff, v32
	v_and_b32_e32 v27, 0xffff, v28
	;;#ASMSTART
	v_cvt_f32_f16 v25, v25;
	;;#ASMEND
	;;#ASMSTART
	v_cvt_f32_f16 v26, v26;
	;;#ASMEND
	v_lshrrev_b32_e32 v29, 16, v28
	;;#ASMSTART
	v_cvt_f32_f16 v27, v27;
	;;#ASMEND
	;;#ASMSTART
	v_cvt_f32_f16 v28, v29;
	;;#ASMEND
	v_fmac_f32_e32 v79, v25, v27
	v_fmac_f32_e32 v56, v26, v28
	ds_read_b128 v[25:28], v66 offset:144
	s_waitcnt vmcnt(5)
	v_lshrrev_b32_e32 v30, 16, v21
	v_and_b32_e32 v21, 0xffff, v21
	v_fmac_f32_e32 v76, v33, v34
	s_waitcnt lgkmcnt(0)
	v_lshrrev_b32_e32 v29, 16, v25
	v_and_b32_e32 v25, 0xffff, v25
	;;#ASMSTART
	v_cvt_f32_f16 v25, v25;
	;;#ASMEND
	;;#ASMSTART
	v_cvt_f32_f16 v29, v29;
	;;#ASMEND
	;; [unrolled: 3-line block ×3, first 2 shown]
	v_fmac_f32_e32 v53, v25, v21
	v_lshrrev_b32_e32 v25, 16, v26
	v_and_b32_e32 v21, 0xffff, v26
	v_lshrrev_b32_e32 v26, 16, v22
	v_and_b32_e32 v22, 0xffff, v22
	;;#ASMSTART
	v_cvt_f32_f16 v30, v30;
	;;#ASMEND
	;;#ASMSTART
	v_cvt_f32_f16 v21, v21;
	;;#ASMEND
	;; [unrolled: 3-line block ×5, first 2 shown]
	v_fmac_f32_e32 v77, v21, v22
	v_fmac_f32_e32 v54, v25, v26
	v_lshrrev_b32_e32 v22, 16, v27
	v_and_b32_e32 v21, 0xffff, v27
	v_lshrrev_b32_e32 v25, 16, v23
	v_and_b32_e32 v23, 0xffff, v23
	;;#ASMSTART
	v_cvt_f32_f16 v21, v21;
	;;#ASMEND
	;;#ASMSTART
	v_cvt_f32_f16 v22, v22;
	;;#ASMEND
	;; [unrolled: 3-line block ×4, first 2 shown]
	v_fmac_f32_e32 v78, v21, v23
	v_fmac_f32_e32 v55, v22, v25
	v_lshrrev_b32_e32 v22, 16, v28
	v_and_b32_e32 v21, 0xffff, v28
	v_and_b32_e32 v23, 0xffff, v24
	;;#ASMSTART
	v_cvt_f32_f16 v21, v21;
	;;#ASMEND
	;;#ASMSTART
	v_cvt_f32_f16 v22, v22;
	;;#ASMEND
	v_lshrrev_b32_e32 v25, 16, v24
	;;#ASMSTART
	v_cvt_f32_f16 v23, v23;
	;;#ASMEND
	;;#ASMSTART
	v_cvt_f32_f16 v24, v25;
	;;#ASMEND
	v_fmac_f32_e32 v79, v21, v23
	v_fmac_f32_e32 v56, v22, v24
	ds_read_b128 v[21:24], v66 offset:160
	s_waitcnt vmcnt(4)
	v_lshrrev_b32_e32 v26, 16, v17
	v_and_b32_e32 v17, 0xffff, v17
	v_fmac_f32_e32 v76, v29, v30
	s_waitcnt lgkmcnt(0)
	v_lshrrev_b32_e32 v25, 16, v21
	v_and_b32_e32 v21, 0xffff, v21
	;;#ASMSTART
	v_cvt_f32_f16 v21, v21;
	;;#ASMEND
	;;#ASMSTART
	v_cvt_f32_f16 v25, v25;
	;;#ASMEND
	;; [unrolled: 3-line block ×3, first 2 shown]
	v_fmac_f32_e32 v53, v21, v17
	v_lshrrev_b32_e32 v21, 16, v22
	v_and_b32_e32 v17, 0xffff, v22
	v_lshrrev_b32_e32 v22, 16, v18
	v_and_b32_e32 v18, 0xffff, v18
	;;#ASMSTART
	v_cvt_f32_f16 v26, v26;
	;;#ASMEND
	;;#ASMSTART
	v_cvt_f32_f16 v17, v17;
	;;#ASMEND
	;; [unrolled: 3-line block ×5, first 2 shown]
	v_fmac_f32_e32 v77, v17, v18
	v_fmac_f32_e32 v54, v21, v22
	v_lshrrev_b32_e32 v18, 16, v23
	v_and_b32_e32 v17, 0xffff, v23
	v_lshrrev_b32_e32 v21, 16, v19
	v_and_b32_e32 v19, 0xffff, v19
	;;#ASMSTART
	v_cvt_f32_f16 v17, v17;
	;;#ASMEND
	;;#ASMSTART
	v_cvt_f32_f16 v18, v18;
	;;#ASMEND
	;; [unrolled: 3-line block ×4, first 2 shown]
	v_fmac_f32_e32 v78, v17, v19
	v_fmac_f32_e32 v55, v18, v21
	v_lshrrev_b32_e32 v18, 16, v24
	v_and_b32_e32 v17, 0xffff, v24
	v_and_b32_e32 v19, 0xffff, v20
	;;#ASMSTART
	v_cvt_f32_f16 v17, v17;
	;;#ASMEND
	;;#ASMSTART
	v_cvt_f32_f16 v18, v18;
	;;#ASMEND
	v_lshrrev_b32_e32 v21, 16, v20
	;;#ASMSTART
	v_cvt_f32_f16 v19, v19;
	;;#ASMEND
	;;#ASMSTART
	v_cvt_f32_f16 v20, v21;
	;;#ASMEND
	v_fmac_f32_e32 v79, v17, v19
	v_fmac_f32_e32 v56, v18, v20
	ds_read_b128 v[17:20], v66 offset:176
	s_waitcnt vmcnt(3)
	v_lshrrev_b32_e32 v22, 16, v13
	v_and_b32_e32 v13, 0xffff, v13
	v_fmac_f32_e32 v76, v25, v26
	s_waitcnt lgkmcnt(0)
	v_lshrrev_b32_e32 v21, 16, v17
	v_and_b32_e32 v17, 0xffff, v17
	;;#ASMSTART
	v_cvt_f32_f16 v17, v17;
	;;#ASMEND
	;;#ASMSTART
	v_cvt_f32_f16 v21, v21;
	;;#ASMEND
	;; [unrolled: 3-line block ×3, first 2 shown]
	v_fmac_f32_e32 v53, v17, v13
	v_lshrrev_b32_e32 v17, 16, v18
	v_and_b32_e32 v13, 0xffff, v18
	v_lshrrev_b32_e32 v18, 16, v14
	v_and_b32_e32 v14, 0xffff, v14
	;;#ASMSTART
	v_cvt_f32_f16 v22, v22;
	;;#ASMEND
	;;#ASMSTART
	v_cvt_f32_f16 v13, v13;
	;;#ASMEND
	;; [unrolled: 3-line block ×5, first 2 shown]
	v_fmac_f32_e32 v77, v13, v14
	v_fmac_f32_e32 v54, v17, v18
	v_lshrrev_b32_e32 v14, 16, v19
	v_and_b32_e32 v13, 0xffff, v19
	v_lshrrev_b32_e32 v17, 16, v15
	v_and_b32_e32 v15, 0xffff, v15
	;;#ASMSTART
	v_cvt_f32_f16 v13, v13;
	;;#ASMEND
	;;#ASMSTART
	v_cvt_f32_f16 v14, v14;
	;;#ASMEND
	;; [unrolled: 3-line block ×4, first 2 shown]
	v_fmac_f32_e32 v78, v13, v15
	v_fmac_f32_e32 v55, v14, v17
	v_lshrrev_b32_e32 v14, 16, v20
	v_and_b32_e32 v13, 0xffff, v20
	v_and_b32_e32 v15, 0xffff, v16
	;;#ASMSTART
	v_cvt_f32_f16 v13, v13;
	;;#ASMEND
	;;#ASMSTART
	v_cvt_f32_f16 v14, v14;
	;;#ASMEND
	v_lshrrev_b32_e32 v17, 16, v16
	;;#ASMSTART
	v_cvt_f32_f16 v15, v15;
	;;#ASMEND
	;;#ASMSTART
	v_cvt_f32_f16 v16, v17;
	;;#ASMEND
	v_fmac_f32_e32 v79, v13, v15
	v_fmac_f32_e32 v56, v14, v16
	ds_read_b128 v[13:16], v66 offset:192
	s_waitcnt vmcnt(2)
	v_lshrrev_b32_e32 v18, 16, v9
	v_and_b32_e32 v9, 0xffff, v9
	v_fmac_f32_e32 v76, v21, v22
	s_waitcnt lgkmcnt(0)
	v_lshrrev_b32_e32 v17, 16, v13
	v_and_b32_e32 v13, 0xffff, v13
	;;#ASMSTART
	v_cvt_f32_f16 v13, v13;
	;;#ASMEND
	;;#ASMSTART
	v_cvt_f32_f16 v17, v17;
	;;#ASMEND
	;; [unrolled: 3-line block ×3, first 2 shown]
	v_fmac_f32_e32 v53, v13, v9
	v_lshrrev_b32_e32 v13, 16, v14
	v_and_b32_e32 v9, 0xffff, v14
	v_lshrrev_b32_e32 v14, 16, v10
	v_and_b32_e32 v10, 0xffff, v10
	;;#ASMSTART
	v_cvt_f32_f16 v18, v18;
	;;#ASMEND
	;;#ASMSTART
	v_cvt_f32_f16 v9, v9;
	;;#ASMEND
	;; [unrolled: 3-line block ×5, first 2 shown]
	v_fmac_f32_e32 v77, v9, v10
	v_fmac_f32_e32 v54, v13, v14
	v_lshrrev_b32_e32 v10, 16, v15
	v_and_b32_e32 v9, 0xffff, v15
	v_lshrrev_b32_e32 v13, 16, v11
	v_and_b32_e32 v11, 0xffff, v11
	;;#ASMSTART
	v_cvt_f32_f16 v9, v9;
	;;#ASMEND
	;;#ASMSTART
	v_cvt_f32_f16 v10, v10;
	;;#ASMEND
	;; [unrolled: 3-line block ×4, first 2 shown]
	v_fmac_f32_e32 v78, v9, v11
	v_fmac_f32_e32 v55, v10, v13
	v_lshrrev_b32_e32 v10, 16, v16
	v_and_b32_e32 v9, 0xffff, v16
	v_and_b32_e32 v11, 0xffff, v12
	;;#ASMSTART
	v_cvt_f32_f16 v9, v9;
	;;#ASMEND
	;;#ASMSTART
	v_cvt_f32_f16 v10, v10;
	;;#ASMEND
	v_lshrrev_b32_e32 v13, 16, v12
	;;#ASMSTART
	v_cvt_f32_f16 v11, v11;
	;;#ASMEND
	;;#ASMSTART
	v_cvt_f32_f16 v12, v13;
	;;#ASMEND
	v_fmac_f32_e32 v79, v9, v11
	v_fmac_f32_e32 v56, v10, v12
	ds_read_b128 v[9:12], v66 offset:208
	s_waitcnt vmcnt(1)
	v_lshrrev_b32_e32 v14, 16, v5
	v_and_b32_e32 v5, 0xffff, v5
	v_fmac_f32_e32 v76, v17, v18
	s_waitcnt lgkmcnt(0)
	v_lshrrev_b32_e32 v13, 16, v9
	v_and_b32_e32 v9, 0xffff, v9
	;;#ASMSTART
	v_cvt_f32_f16 v9, v9;
	;;#ASMEND
	;;#ASMSTART
	v_cvt_f32_f16 v13, v13;
	;;#ASMEND
	;; [unrolled: 3-line block ×3, first 2 shown]
	v_fmac_f32_e32 v53, v9, v5
	v_lshrrev_b32_e32 v9, 16, v10
	v_and_b32_e32 v5, 0xffff, v10
	v_lshrrev_b32_e32 v10, 16, v6
	v_and_b32_e32 v6, 0xffff, v6
	;;#ASMSTART
	v_cvt_f32_f16 v14, v14;
	;;#ASMEND
	;;#ASMSTART
	v_cvt_f32_f16 v5, v5;
	;;#ASMEND
	;; [unrolled: 3-line block ×5, first 2 shown]
	v_fmac_f32_e32 v77, v5, v6
	v_fmac_f32_e32 v54, v9, v10
	v_lshrrev_b32_e32 v6, 16, v11
	v_and_b32_e32 v5, 0xffff, v11
	v_lshrrev_b32_e32 v9, 16, v7
	v_and_b32_e32 v7, 0xffff, v7
	;;#ASMSTART
	v_cvt_f32_f16 v5, v5;
	;;#ASMEND
	;;#ASMSTART
	v_cvt_f32_f16 v6, v6;
	;;#ASMEND
	;; [unrolled: 3-line block ×4, first 2 shown]
	v_fmac_f32_e32 v78, v5, v7
	v_fmac_f32_e32 v55, v6, v9
	v_lshrrev_b32_e32 v6, 16, v12
	v_and_b32_e32 v5, 0xffff, v12
	v_and_b32_e32 v7, 0xffff, v8
	;;#ASMSTART
	v_cvt_f32_f16 v5, v5;
	;;#ASMEND
	;;#ASMSTART
	v_cvt_f32_f16 v6, v6;
	;;#ASMEND
	v_lshrrev_b32_e32 v9, 16, v8
	;;#ASMSTART
	v_cvt_f32_f16 v7, v7;
	;;#ASMEND
	;;#ASMSTART
	v_cvt_f32_f16 v8, v9;
	;;#ASMEND
	v_fmac_f32_e32 v79, v5, v7
	v_fmac_f32_e32 v56, v6, v8
	ds_read_b128 v[5:8], v66 offset:224
	v_fmac_f32_e32 v76, v13, v14
	s_waitcnt vmcnt(0)
	v_lshrrev_b32_e32 v10, 16, v1
	v_and_b32_e32 v1, 0xffff, v1
	s_waitcnt lgkmcnt(0)
	v_lshrrev_b32_e32 v9, 16, v5
	v_and_b32_e32 v5, 0xffff, v5
	;;#ASMSTART
	v_cvt_f32_f16 v5, v5;
	;;#ASMEND
	;;#ASMSTART
	v_cvt_f32_f16 v9, v9;
	;;#ASMEND
	;; [unrolled: 3-line block ×3, first 2 shown]
	v_fmac_f32_e32 v53, v5, v1
	v_and_b32_e32 v1, 0xffff, v6
	;;#ASMSTART
	v_cvt_f32_f16 v10, v10;
	;;#ASMEND
	v_fmac_f32_e32 v76, v9, v10
	v_lshrrev_b32_e32 v5, 16, v6
	;;#ASMSTART
	v_cvt_f32_f16 v1, v1;
	;;#ASMEND
	v_lshrrev_b32_e32 v6, 16, v2
	v_and_b32_e32 v2, 0xffff, v2
	;;#ASMSTART
	v_cvt_f32_f16 v5, v5;
	;;#ASMEND
	;;#ASMSTART
	v_cvt_f32_f16 v2, v2;
	;;#ASMEND
	v_fmac_f32_e32 v77, v1, v2
	v_and_b32_e32 v1, 0xffff, v7
	;;#ASMSTART
	v_cvt_f32_f16 v6, v6;
	;;#ASMEND
	v_fmac_f32_e32 v54, v5, v6
	v_lshrrev_b32_e32 v2, 16, v7
	;;#ASMSTART
	v_cvt_f32_f16 v1, v1;
	;;#ASMEND
	v_lshrrev_b32_e32 v5, 16, v3
	v_and_b32_e32 v3, 0xffff, v3
	;;#ASMSTART
	v_cvt_f32_f16 v2, v2;
	;;#ASMEND
	;;#ASMSTART
	v_cvt_f32_f16 v3, v3;
	;;#ASMEND
	v_fmac_f32_e32 v78, v1, v3
	v_and_b32_e32 v1, 0xffff, v8
	;;#ASMSTART
	v_cvt_f32_f16 v5, v5;
	;;#ASMEND
	v_fmac_f32_e32 v55, v2, v5
	v_lshrrev_b32_e32 v2, 16, v8
	;;#ASMSTART
	v_cvt_f32_f16 v1, v1;
	;;#ASMEND
	v_and_b32_e32 v3, 0xffff, v4
	;;#ASMSTART
	v_cvt_f32_f16 v2, v2;
	;;#ASMEND
	;;#ASMSTART
	v_cvt_f32_f16 v3, v3;
	;;#ASMEND
	v_fmac_f32_e32 v79, v1, v3
	v_add_f32_e32 v1, v53, v76
	v_lshrrev_b32_e32 v5, 16, v4
	;;#ASMSTART
	v_cvt_f32_f16 v4, v5;
	;;#ASMEND
	v_fmac_f32_e32 v56, v2, v4
	v_add_f32_e32 v1, v1, v77
	v_add_f32_e32 v1, v54, v1
	;; [unrolled: 1-line block ×6, first 2 shown]
	v_fmac_f32_e32 v75, s3, v1
	v_cndmask_b32_e64 v1, 0, v75, s1
	ds_write_b32 v70, v1
	v_max_f32_e32 v1, v65, v65
	v_max_f32_e32 v1, v1, v75
	v_cndmask_b32_e64 v65, v65, v1, s1
	s_branch .LBB95_10
.LBB95_15:
	s_or_b32 exec_lo, exec_lo, s15
.LBB95_16:
	s_or_b32 exec_lo, exec_lo, s33
	v_mbcnt_lo_u32_b32 v2, -1, 0
	v_max_f32_e32 v5, v65, v65
	v_xor_b32_e32 v1, 16, v2
	v_xor_b32_e32 v4, 8, v2
	v_cmp_gt_i32_e32 vcc_lo, 32, v1
	v_cndmask_b32_e32 v1, v2, v1, vcc_lo
	v_cmp_gt_i32_e32 vcc_lo, 32, v4
	v_lshlrev_b32_e32 v1, 2, v1
	v_cndmask_b32_e32 v4, v2, v4, vcc_lo
	ds_bpermute_b32 v3, v1, v65
	s_waitcnt lgkmcnt(0)
	v_max_f32_e32 v6, v3, v3
	v_lshlrev_b32_e32 v3, 2, v4
	v_max_f32_e32 v5, v5, v6
	v_xor_b32_e32 v6, 4, v2
	ds_bpermute_b32 v4, v3, v5
	v_cmp_gt_i32_e32 vcc_lo, 32, v6
	v_cndmask_b32_e32 v6, v2, v6, vcc_lo
	s_waitcnt lgkmcnt(0)
	v_max_f32_e32 v7, v4, v4
	v_lshlrev_b32_e32 v4, 2, v6
	v_max_f32_e32 v5, v5, v7
	v_xor_b32_e32 v7, 2, v2
	ds_bpermute_b32 v6, v4, v5
	v_cmp_gt_i32_e32 vcc_lo, 32, v7
	v_cndmask_b32_e32 v7, v2, v7, vcc_lo
	v_lshlrev_b32_e32 v12, 2, v7
	v_xor_b32_e32 v7, 1, v2
	v_cmp_gt_i32_e32 vcc_lo, 32, v7
	s_waitcnt lgkmcnt(0)
	v_max_f32_e32 v6, v6, v6
	v_cndmask_b32_e32 v7, v2, v7, vcc_lo
	v_cmp_eq_u32_e32 vcc_lo, 0, v60
	v_max_f32_e32 v5, v5, v6
	v_lshlrev_b32_e32 v11, 2, v7
	ds_bpermute_b32 v6, v12, v5
	s_waitcnt lgkmcnt(0)
	v_max_f32_e32 v6, v6, v6
	v_max_f32_e32 v2, v5, v6
	v_lshlrev_b32_e32 v5, 2, v59
	ds_bpermute_b32 v6, v11, v2
	s_and_saveexec_b32 s1, vcc_lo
	s_cbranch_execz .LBB95_18
; %bb.17:
	s_waitcnt lgkmcnt(0)
	v_max_f32_e32 v6, v6, v6
	v_max_f32_e32 v2, v2, v2
	v_max_f32_e32 v2, v2, v6
	ds_write_b32 v5, v2 offset:240
.LBB95_18:
	s_or_b32 exec_lo, exec_lo, s1
	v_cmp_gt_u32_e64 s1, 4, v60
	v_mov_b32_e32 v2, 0xff7fffff
	s_waitcnt lgkmcnt(0)
	s_barrier
	buffer_gl0_inv
	s_and_saveexec_b32 s2, s1
; %bb.19:
	ds_read_b32 v2, v64 offset:240
; %bb.20:
	s_or_b32 exec_lo, exec_lo, s2
	s_waitcnt lgkmcnt(0)
	ds_bpermute_b32 v6, v12, v2
	v_max_f32_e32 v2, v2, v2
	s_lshl_b32 s2, s16, 5
	s_min_i32 s4, s2, s28
	v_cmp_gt_i32_e64 s2, s4, v0
	s_waitcnt lgkmcnt(0)
	v_max_f32_e32 v6, v6, v6
	v_max_f32_e32 v2, v2, v6
	ds_bpermute_b32 v6, v11, v2
	s_waitcnt lgkmcnt(0)
	v_max_f32_e32 v6, v6, v6
	v_max_f32_e32 v2, v2, v6
	v_mov_b32_e32 v6, 0
	ds_bpermute_b32 v7, v6, v2
	v_lshl_add_u32 v2, v0, 2, 0x110
	s_and_saveexec_b32 s5, s2
	s_cbranch_execz .LBB95_24
; %bb.21:
	v_lshl_add_u32 v8, v0, 2, 0x110
	v_mov_b32_e32 v6, 0
	v_mov_b32_e32 v9, v0
	s_mov_b32 s15, 0
	.p2align	6
.LBB95_22:                              ; =>This Inner Loop Header: Depth=1
	ds_read_b32 v10, v8
	v_add_nc_u32_e32 v9, 0x80, v9
	v_cmp_le_i32_e64 s3, s4, v9
	s_or_b32 s15, s3, s15
	s_waitcnt lgkmcnt(0)
	v_sub_f32_e32 v10, v10, v7
	v_mul_f32_e32 v10, 0x3fb8aa3b, v10
	v_exp_f32_e32 v10, v10
	ds_write_b32 v8, v10
	v_add_f32_e32 v6, v6, v10
	v_add_nc_u32_e32 v8, 0x200, v8
	s_andn2_b32 exec_lo, exec_lo, s15
	s_cbranch_execnz .LBB95_22
; %bb.23:
	s_or_b32 exec_lo, exec_lo, s15
.LBB95_24:
	s_or_b32 exec_lo, exec_lo, s5
	ds_bpermute_b32 v1, v1, v6
	s_waitcnt lgkmcnt(0)
	v_add_f32_e32 v1, v6, v1
	ds_bpermute_b32 v3, v3, v1
	s_waitcnt lgkmcnt(0)
	v_add_f32_e32 v1, v1, v3
	;; [unrolled: 3-line block ×5, first 2 shown]
	s_and_saveexec_b32 s3, vcc_lo
; %bb.25:
	ds_write_b32 v5, v1 offset:256
; %bb.26:
	s_or_b32 exec_lo, exec_lo, s3
	s_waitcnt lgkmcnt(0)
	s_barrier
	buffer_gl0_inv
	s_and_saveexec_b32 s3, s1
; %bb.27:
	ds_read_b32 v1, v64 offset:256
; %bb.28:
	s_or_b32 exec_lo, exec_lo, s3
	s_waitcnt lgkmcnt(0)
	ds_bpermute_b32 v3, v12, v1
	s_waitcnt lgkmcnt(0)
	v_add_f32_e32 v1, v1, v3
	ds_bpermute_b32 v3, v11, v1
	s_waitcnt lgkmcnt(0)
	v_add_f32_e32 v1, v1, v3
	v_mov_b32_e32 v3, 0
	ds_bpermute_b32 v1, v3, v1
	s_and_saveexec_b32 s1, s2
	s_cbranch_execz .LBB95_31
; %bb.29:
	s_waitcnt lgkmcnt(0)
	v_add_f32_e32 v1, 0x358637bd, v1
	s_mov_b32 s2, 0
	v_div_scale_f32 v3, null, v1, v1, 1.0
	v_div_scale_f32 v6, vcc_lo, 1.0, v1, 1.0
	v_rcp_f32_e32 v4, v3
	v_fma_f32 v5, -v3, v4, 1.0
	v_fmac_f32_e32 v4, v5, v4
	v_mul_f32_e32 v5, v6, v4
	v_fma_f32 v7, -v3, v5, v6
	v_fmac_f32_e32 v5, v7, v4
	v_fma_f32 v3, -v3, v5, v6
	v_div_fmas_f32 v3, v3, v4, v5
	v_div_fixup_f32 v1, v3, v1, 1.0
	v_mov_b32_e32 v3, v0
.LBB95_30:                              ; =>This Inner Loop Header: Depth=1
	ds_read_b32 v4, v2
	v_add_nc_u32_e32 v3, 0x80, v3
	v_cmp_le_i32_e32 vcc_lo, s4, v3
	s_or_b32 s2, vcc_lo, s2
	s_waitcnt lgkmcnt(0)
	v_mul_f32_e32 v4, v1, v4
	ds_write_b32 v2, v4
	v_add_nc_u32_e32 v2, 0x200, v2
	s_andn2_b32 exec_lo, exec_lo, s2
	s_cbranch_execnz .LBB95_30
.LBB95_31:
	s_or_b32 exec_lo, exec_lo, s1
	v_mov_b32_e32 v27, 0
	v_and_b32_e32 v13, 3, v0
	v_mov_b32_e32 v28, 0
	v_mov_b32_e32 v26, 0
	;; [unrolled: 1-line block ×14, first 2 shown]
	s_waitcnt lgkmcnt(0)
	s_barrier
	buffer_gl0_inv
	s_and_saveexec_b32 s2, s0
	s_cbranch_execz .LBB95_67
; %bb.32:
	s_ashr_i32 s15, s14, 31
	s_sub_i32 s3, s30, s17
	s_lshl_b64 s[0:1], s[14:15], 1
	v_lshlrev_b32_e32 v1, 3, v0
	s_add_u32 s14, s26, s0
	s_addc_u32 s15, s27, s1
	s_abs_i32 s4, s18
	v_lshlrev_b32_e32 v5, 5, v13
	v_cvt_f32_u32_e32 v2, s4
	s_sub_i32 s0, 0, s4
	v_and_b32_e32 v30, 24, v1
	v_and_b32_e32 v3, 0x1f0, v62
	;; [unrolled: 1-line block ×3, first 2 shown]
	v_rcp_iflag_f32_e32 v2, v2
	v_lshl_or_b32 v5, v59, 7, v5
	s_add_i32 s5, s16, -1
	v_add_co_u32 v31, s14, s14, v3
	v_mov_b32_e32 v29, 0
	v_add_nc_u32_e32 v33, 0x110, v5
	v_mov_b32_e32 v14, 0
	v_mov_b32_e32 v15, 0
	;; [unrolled: 1-line block ×3, first 2 shown]
	v_mul_f32_e32 v2, 0x4f7ffffe, v2
	v_mov_b32_e32 v17, 0
	v_mov_b32_e32 v18, 0
	;; [unrolled: 1-line block ×4, first 2 shown]
	v_cvt_u32_f32_e32 v2, v2
	v_mov_b32_e32 v21, 0
	v_mov_b32_e32 v22, 0
	;; [unrolled: 1-line block ×4, first 2 shown]
	v_mul_lo_u32 v1, s0, v2
	s_lshl_b64 s[0:1], s[24:25], 2
	v_mov_b32_e32 v25, 0
	s_add_u32 s0, s22, s0
	s_addc_u32 s1, s23, s1
	v_add_co_u32 v5, s0, s0, v4
	v_mov_b32_e32 v26, 0
	v_mul_hi_u32 v1, v2, v1
	v_mov_b32_e32 v28, 0
	v_mov_b32_e32 v27, 0
	v_add_co_ci_u32_e64 v32, null, s15, 0, s14
	v_add_co_ci_u32_e64 v6, null, s1, 0, s0
	v_mov_b32_e32 v35, v59
	v_add_nc_u32_e32 v34, v2, v1
	s_mov_b32 s14, s13
	s_mov_b32 s13, 0
	s_branch .LBB95_35
.LBB95_33:                              ;   in Loop: Header=BB95_35 Depth=1
	s_or_b32 exec_lo, exec_lo, s1
	v_add_f32_e32 v9, v9, v10
	v_add_f32_e32 v10, v69, v70
	;; [unrolled: 1-line block ×3, first 2 shown]
	v_lshlrev_b32_e32 v8, 16, v8
	v_lshlrev_b32_e32 v7, 16, v7
	v_add_f32_e32 v37, v73, v74
	v_add_f32_e32 v19, v19, v10
	v_lshlrev_b32_e32 v10, 16, v75
	v_add_f32_e32 v15, v15, v36
	v_add_f32_e32 v17, v17, v9
	;; [unrolled: 1-line block ×4, first 2 shown]
	v_and_or_b32 v1, 0xffff, v1, v10
	v_and_or_b32 v2, 0xffff, v2, v8
	;; [unrolled: 1-line block ×3, first 2 shown]
	;;#ASMSTART
	v_pk_mul_f16 v1, v39, v1;

	;;#ASMEND
	;;#ASMSTART
	v_pk_mul_f16 v2, v38, v2;

	;;#ASMEND
	;; [unrolled: 4-line block ×4, first 2 shown]
	;;#ASMSTART
	v_pk_add_f16 v1, v1, v2;

	;;#ASMEND
	;;#ASMSTART
	v_pk_add_f16 v1, v1, v3;

	;;#ASMEND
	;; [unrolled: 4-line block ×3, first 2 shown]
	v_and_b32_e32 v4, 0xffff, v1
	v_lshrrev_b32_e32 v8, 16, v1
	;;#ASMSTART
	v_cvt_f32_f16 v4, v4;
	;;#ASMEND
	v_add_f32_e32 v16, v16, v37
	v_add_f32_e32 v37, v65, v66
	;; [unrolled: 1-line block ×11, first 2 shown]
	;;#ASMSTART
	v_cvt_f32_f16 v8, v8;
	;;#ASMEND
	v_add_f32_e32 v4, v4, v8
	v_add_f32_e32 v21, v21, v37
	v_add_f32_e32 v22, v22, v40
	v_add_f32_e32 v23, v23, v9
	v_add_f32_e32 v24, v24, v36
	v_add_f32_e32 v25, v25, v7
	v_add_f32_e32 v26, v26, v1
	v_add_f32_e32 v28, v28, v2
	v_add_f32_e32 v27, v27, v3
	v_add_f32_e32 v14, v14, v4
.LBB95_34:                              ;   in Loop: Header=BB95_35 Depth=1
	s_or_b32 exec_lo, exec_lo, s15
	v_add_nc_u32_e32 v35, 4, v35
	v_add_co_u32 v5, s0, v5, 16
	v_add_co_ci_u32_e64 v6, null, 0, v6, s0
	v_cmp_le_i32_e32 vcc_lo, s16, v35
	v_add_nc_u32_e32 v61, 0x80, v61
	v_add_nc_u32_e32 v33, 0x200, v33
	s_or_b32 s13, vcc_lo, s13
	s_andn2_b32 exec_lo, exec_lo, s13
	s_cbranch_execz .LBB95_66
.LBB95_35:                              ; =>This Inner Loop Header: Depth=1
	v_mul_hi_u32 v1, v61, s21
	v_mul_lo_u32 v2, v1, s12
	v_add_nc_u32_e32 v3, 1, v1
	v_sub_nc_u32_e32 v2, v61, v2
	v_subrev_nc_u32_e32 v4, s12, v2
	v_cmp_le_u32_e32 vcc_lo, s12, v2
	v_cndmask_b32_e32 v1, v1, v3, vcc_lo
	v_cndmask_b32_e32 v2, v2, v4, vcc_lo
	v_add_nc_u32_e32 v3, 1, v1
	v_cmp_le_u32_e32 vcc_lo, s12, v2
	v_cndmask_b32_e32 v1, v1, v3, vcc_lo
	v_xor_b32_e32 v1, s19, v1
	v_subrev_nc_u32_e32 v1, s19, v1
	v_add_nc_u32_e32 v2, s29, v1
	v_cmp_lt_i32_e64 s0, s3, v1
	v_sub_nc_u32_e32 v3, 0, v2
	v_max_i32_e32 v3, v2, v3
	v_ashrrev_i32_e32 v2, 31, v2
	v_mul_hi_u32 v4, v3, v34
	v_mul_lo_u32 v4, v4, s4
	v_sub_nc_u32_e32 v3, v3, v4
	v_subrev_nc_u32_e32 v4, s4, v3
	v_cmp_le_u32_e32 vcc_lo, s4, v3
	v_cndmask_b32_e32 v3, v3, v4, vcc_lo
	v_subrev_nc_u32_e32 v4, s4, v3
	v_cmp_le_u32_e32 vcc_lo, s4, v3
	v_cndmask_b32_e32 v3, v3, v4, vcc_lo
	v_xor_b32_e32 v3, v3, v2
	v_sub_nc_u32_e32 v2, v3, v2
	v_cmp_eq_u32_e32 vcc_lo, 0, v2
	s_or_b32 s0, vcc_lo, s0
	s_and_saveexec_b32 s15, s0
	s_cbranch_execz .LBB95_34
; %bb.36:                               ;   in Loop: Header=BB95_35 Depth=1
	global_load_dword v7, v[5:6], off
	ds_read2_b64 v[1:4], v33 offset1:1
	ds_read2_b64 v[46:49], v33 offset0:2 offset1:3
	v_cmp_eq_u32_e64 s0, s5, v35
	s_waitcnt lgkmcnt(1)
	;;#ASMSTART
	v_cvt_f16_f32 v39, v1;

	;;#ASMEND
	;;#ASMSTART
	v_cvt_f16_f32 v38, v2;

	;;#ASMEND
	;; [unrolled: 4-line block ×4, first 2 shown]
	s_waitcnt lgkmcnt(0)
	;;#ASMSTART
	v_cvt_f16_f32 v46, v46;

	;;#ASMEND
	;;#ASMSTART
	v_cvt_f16_f32 v10, v47;

	;;#ASMEND
	;; [unrolled: 4-line block ×4, first 2 shown]
	v_add_nc_u32_e32 v47, v30, v61
	v_add_nc_u32_e32 v49, 1, v47
	;; [unrolled: 1-line block ×8, first 2 shown]
	s_waitcnt vmcnt(0)
	v_mad_i64_i32 v[7:8], null, v7, s14, 0
	v_lshlrev_b64 v[7:8], 1, v[7:8]
	v_add_co_u32 v7, vcc_lo, v31, v7
	v_add_co_ci_u32_e64 v8, null, v32, v8, vcc_lo
	global_load_dwordx4 v[1:4], v[7:8], off
	s_waitcnt vmcnt(0)
	v_lshrrev_b32_e32 v52, 16, v1
	v_lshrrev_b32_e32 v51, 16, v2
	;; [unrolled: 1-line block ×3, first 2 shown]
	s_and_saveexec_b32 s17, s0
	s_cbranch_execz .LBB95_38
; %bb.37:                               ;   in Loop: Header=BB95_35 Depth=1
	v_cmp_gt_i32_e32 vcc_lo, s28, v47
	v_and_b32_e32 v53, 0xffff0000, v4
	v_cmp_gt_i32_e64 s1, s28, v43
	v_cndmask_b32_e32 v1, 0, v1, vcc_lo
	v_cmp_gt_i32_e32 vcc_lo, s28, v49
	v_cndmask_b32_e64 v2, 0, v2, s1
	v_cmp_gt_i32_e64 s1, s28, v42
	v_cndmask_b32_e32 v52, 0, v52, vcc_lo
	v_cmp_gt_i32_e32 vcc_lo, s28, v48
	v_cndmask_b32_e64 v51, 0, v51, s1
	v_cndmask_b32_sdwa v4, v29, v4, vcc_lo dst_sel:DWORD dst_unused:UNUSED_PAD src0_sel:DWORD src1_sel:WORD_0
	v_cmp_gt_i32_e32 vcc_lo, s28, v40
	v_cndmask_b32_e32 v53, 0, v53, vcc_lo
	v_cmp_gt_i32_e32 vcc_lo, s28, v37
	v_or_b32_e32 v4, v4, v53
	v_cndmask_b32_e32 v3, 0, v3, vcc_lo
	v_cmp_gt_i32_e32 vcc_lo, s28, v36
	v_cndmask_b32_e32 v50, 0, v50, vcc_lo
.LBB95_38:                              ;   in Loop: Header=BB95_35 Depth=1
	s_or_b32 exec_lo, exec_lo, s17
	v_and_b32_e32 v39, 0xffff, v39
	v_and_b32_e32 v45, 0xffff, v45
	v_lshlrev_b32_e32 v52, 16, v52
	v_lshlrev_b32_e32 v50, 16, v50
	v_and_b32_e32 v46, 0xffff, v46
	v_lshl_or_b32 v39, v38, 16, v39
	v_lshl_or_b32 v38, v41, 16, v45
	v_lshlrev_b32_e32 v41, 16, v51
	v_and_b32_e32 v44, 0xffff, v44
	v_and_or_b32 v1, 0xffff, v1, v52
	v_and_or_b32 v3, 0xffff, v3, v50
	;;#ASMSTART
	v_pk_mul_f16 v1, v39, v1;

	;;#ASMEND
	v_and_or_b32 v2, 0xffff, v2, v41
	v_lshl_or_b32 v45, v10, 16, v46
	v_lshl_or_b32 v46, v9, 16, v44
	;;#ASMSTART
	v_pk_mul_f16 v2, v38, v2;

	;;#ASMEND
	;;#ASMSTART
	v_pk_mul_f16 v3, v45, v3;

	;;#ASMEND
	;; [unrolled: 4-line block ×3, first 2 shown]
	;;#ASMSTART
	v_pk_add_f16 v1, v1, v2;

	;;#ASMEND
	;;#ASMSTART
	v_pk_add_f16 v1, v1, v3;

	;;#ASMEND
	;; [unrolled: 4-line block ×3, first 2 shown]
	v_and_b32_e32 v2, 0xffff, v1
	v_lshrrev_b32_e32 v1, 16, v1
	;;#ASMSTART
	v_cvt_f32_f16 v41, v2;
	;;#ASMEND
	;;#ASMSTART
	v_cvt_f32_f16 v44, v1;
	;;#ASMEND
	global_load_dwordx4 v[1:4], v[7:8], off offset:512
	s_waitcnt vmcnt(0)
	v_lshrrev_b32_e32 v50, 16, v1
	v_lshrrev_b32_e32 v10, 16, v2
	;; [unrolled: 1-line block ×3, first 2 shown]
	s_and_saveexec_b32 s17, s0
	s_cbranch_execz .LBB95_40
; %bb.39:                               ;   in Loop: Header=BB95_35 Depth=1
	v_cmp_gt_i32_e32 vcc_lo, s28, v47
	v_and_b32_e32 v51, 0xffff0000, v4
	v_cmp_gt_i32_e64 s1, s28, v43
	v_cndmask_b32_e32 v1, 0, v1, vcc_lo
	v_cmp_gt_i32_e32 vcc_lo, s28, v49
	v_cndmask_b32_e64 v2, 0, v2, s1
	v_cmp_gt_i32_e64 s1, s28, v42
	v_cndmask_b32_e32 v50, 0, v50, vcc_lo
	v_cmp_gt_i32_e32 vcc_lo, s28, v48
	v_cndmask_b32_e64 v10, 0, v10, s1
	v_cndmask_b32_sdwa v4, v29, v4, vcc_lo dst_sel:DWORD dst_unused:UNUSED_PAD src0_sel:DWORD src1_sel:WORD_0
	v_cmp_gt_i32_e32 vcc_lo, s28, v40
	v_cndmask_b32_e32 v51, 0, v51, vcc_lo
	v_cmp_gt_i32_e32 vcc_lo, s28, v37
	v_or_b32_e32 v4, v4, v51
	v_cndmask_b32_e32 v3, 0, v3, vcc_lo
	v_cmp_gt_i32_e32 vcc_lo, s28, v36
	v_cndmask_b32_e32 v9, 0, v9, vcc_lo
.LBB95_40:                              ;   in Loop: Header=BB95_35 Depth=1
	s_or_b32 exec_lo, exec_lo, s17
	v_lshlrev_b32_e32 v50, 16, v50
	v_lshlrev_b32_e32 v10, 16, v10
	;; [unrolled: 1-line block ×3, first 2 shown]
	v_and_or_b32 v1, 0xffff, v1, v50
	v_and_or_b32 v2, 0xffff, v2, v10
	;; [unrolled: 1-line block ×3, first 2 shown]
	;;#ASMSTART
	v_pk_mul_f16 v1, v39, v1;

	;;#ASMEND
	;;#ASMSTART
	v_pk_mul_f16 v2, v38, v2;

	;;#ASMEND
	;; [unrolled: 4-line block ×4, first 2 shown]
	;;#ASMSTART
	v_pk_add_f16 v1, v1, v2;

	;;#ASMEND
	;;#ASMSTART
	v_pk_add_f16 v1, v1, v3;

	;;#ASMEND
	;; [unrolled: 4-line block ×3, first 2 shown]
	v_and_b32_e32 v2, 0xffff, v1
	v_lshrrev_b32_e32 v1, 16, v1
	;;#ASMSTART
	v_cvt_f32_f16 v50, v2;
	;;#ASMEND
	;;#ASMSTART
	v_cvt_f32_f16 v51, v1;
	;;#ASMEND
	global_load_dwordx4 v[1:4], v[7:8], off offset:1024
	s_waitcnt vmcnt(0)
	v_lshrrev_b32_e32 v52, 16, v1
	v_lshrrev_b32_e32 v10, 16, v2
	;; [unrolled: 1-line block ×3, first 2 shown]
	s_and_saveexec_b32 s17, s0
	s_cbranch_execz .LBB95_42
; %bb.41:                               ;   in Loop: Header=BB95_35 Depth=1
	v_cmp_gt_i32_e32 vcc_lo, s28, v47
	v_and_b32_e32 v53, 0xffff0000, v4
	v_cmp_gt_i32_e64 s1, s28, v43
	v_cndmask_b32_e32 v1, 0, v1, vcc_lo
	v_cmp_gt_i32_e32 vcc_lo, s28, v49
	v_cndmask_b32_e64 v2, 0, v2, s1
	v_cmp_gt_i32_e64 s1, s28, v42
	v_cndmask_b32_e32 v52, 0, v52, vcc_lo
	v_cmp_gt_i32_e32 vcc_lo, s28, v48
	v_cndmask_b32_e64 v10, 0, v10, s1
	v_cndmask_b32_sdwa v4, v29, v4, vcc_lo dst_sel:DWORD dst_unused:UNUSED_PAD src0_sel:DWORD src1_sel:WORD_0
	v_cmp_gt_i32_e32 vcc_lo, s28, v40
	v_cndmask_b32_e32 v53, 0, v53, vcc_lo
	v_cmp_gt_i32_e32 vcc_lo, s28, v37
	v_or_b32_e32 v4, v4, v53
	v_cndmask_b32_e32 v3, 0, v3, vcc_lo
	v_cmp_gt_i32_e32 vcc_lo, s28, v36
	v_cndmask_b32_e32 v9, 0, v9, vcc_lo
.LBB95_42:                              ;   in Loop: Header=BB95_35 Depth=1
	s_or_b32 exec_lo, exec_lo, s17
	v_lshlrev_b32_e32 v52, 16, v52
	v_lshlrev_b32_e32 v10, 16, v10
	;; [unrolled: 1-line block ×3, first 2 shown]
	v_and_or_b32 v1, 0xffff, v1, v52
	v_and_or_b32 v2, 0xffff, v2, v10
	;; [unrolled: 1-line block ×3, first 2 shown]
	;;#ASMSTART
	v_pk_mul_f16 v1, v39, v1;

	;;#ASMEND
	;;#ASMSTART
	v_pk_mul_f16 v2, v38, v2;

	;;#ASMEND
	;; [unrolled: 4-line block ×4, first 2 shown]
	;;#ASMSTART
	v_pk_add_f16 v1, v1, v2;

	;;#ASMEND
	;;#ASMSTART
	v_pk_add_f16 v1, v1, v3;

	;;#ASMEND
	;; [unrolled: 4-line block ×3, first 2 shown]
	v_and_b32_e32 v2, 0xffff, v1
	v_lshrrev_b32_e32 v1, 16, v1
	;;#ASMSTART
	v_cvt_f32_f16 v52, v2;
	;;#ASMEND
	;;#ASMSTART
	v_cvt_f32_f16 v53, v1;
	;;#ASMEND
	global_load_dwordx4 v[1:4], v[7:8], off offset:1536
	s_waitcnt vmcnt(0)
	v_lshrrev_b32_e32 v54, 16, v1
	v_lshrrev_b32_e32 v10, 16, v2
	;; [unrolled: 1-line block ×3, first 2 shown]
	s_and_saveexec_b32 s17, s0
	s_cbranch_execz .LBB95_44
; %bb.43:                               ;   in Loop: Header=BB95_35 Depth=1
	v_cmp_gt_i32_e32 vcc_lo, s28, v47
	v_and_b32_e32 v55, 0xffff0000, v4
	v_cmp_gt_i32_e64 s1, s28, v43
	v_cndmask_b32_e32 v1, 0, v1, vcc_lo
	v_cmp_gt_i32_e32 vcc_lo, s28, v49
	v_cndmask_b32_e64 v2, 0, v2, s1
	v_cmp_gt_i32_e64 s1, s28, v42
	v_cndmask_b32_e32 v54, 0, v54, vcc_lo
	v_cmp_gt_i32_e32 vcc_lo, s28, v48
	v_cndmask_b32_e64 v10, 0, v10, s1
	v_cndmask_b32_sdwa v4, v29, v4, vcc_lo dst_sel:DWORD dst_unused:UNUSED_PAD src0_sel:DWORD src1_sel:WORD_0
	v_cmp_gt_i32_e32 vcc_lo, s28, v40
	v_cndmask_b32_e32 v55, 0, v55, vcc_lo
	v_cmp_gt_i32_e32 vcc_lo, s28, v37
	v_or_b32_e32 v4, v4, v55
	v_cndmask_b32_e32 v3, 0, v3, vcc_lo
	v_cmp_gt_i32_e32 vcc_lo, s28, v36
	v_cndmask_b32_e32 v9, 0, v9, vcc_lo
.LBB95_44:                              ;   in Loop: Header=BB95_35 Depth=1
	s_or_b32 exec_lo, exec_lo, s17
	v_lshlrev_b32_e32 v9, 16, v9
	v_lshlrev_b32_e32 v54, 16, v54
	;; [unrolled: 1-line block ×3, first 2 shown]
	v_and_or_b32 v3, 0xffff, v3, v9
	v_add_co_u32 v9, vcc_lo, 0x800, v7
	v_and_or_b32 v1, 0xffff, v1, v54
	v_and_or_b32 v2, 0xffff, v2, v10
	;;#ASMSTART
	v_pk_mul_f16 v1, v39, v1;

	;;#ASMEND
	v_add_co_ci_u32_e64 v10, null, 0, v8, vcc_lo
	;;#ASMSTART
	v_pk_mul_f16 v2, v38, v2;

	;;#ASMEND
	;;#ASMSTART
	v_pk_mul_f16 v3, v45, v3;

	;;#ASMEND
	;; [unrolled: 4-line block ×3, first 2 shown]
	;;#ASMSTART
	v_pk_add_f16 v1, v1, v2;

	;;#ASMEND
	;;#ASMSTART
	v_pk_add_f16 v1, v1, v3;

	;;#ASMEND
	;; [unrolled: 4-line block ×3, first 2 shown]
	v_lshrrev_b32_e32 v2, 16, v1
	v_and_b32_e32 v1, 0xffff, v1
	;;#ASMSTART
	v_cvt_f32_f16 v54, v1;
	;;#ASMEND
	;;#ASMSTART
	v_cvt_f32_f16 v55, v2;
	;;#ASMEND
	global_load_dwordx4 v[1:4], v[9:10], off
	s_waitcnt vmcnt(0)
	v_lshrrev_b32_e32 v58, 16, v1
	v_lshrrev_b32_e32 v57, 16, v2
	;; [unrolled: 1-line block ×3, first 2 shown]
	s_and_saveexec_b32 s17, s0
	s_cbranch_execz .LBB95_46
; %bb.45:                               ;   in Loop: Header=BB95_35 Depth=1
	v_cmp_gt_i32_e32 vcc_lo, s28, v47
	v_and_b32_e32 v62, 0xffff0000, v4
	v_cmp_gt_i32_e64 s1, s28, v43
	v_cndmask_b32_e32 v1, 0, v1, vcc_lo
	v_cmp_gt_i32_e32 vcc_lo, s28, v49
	v_cndmask_b32_e64 v2, 0, v2, s1
	v_cmp_gt_i32_e64 s1, s28, v42
	v_cndmask_b32_e32 v58, 0, v58, vcc_lo
	v_cmp_gt_i32_e32 vcc_lo, s28, v48
	v_cndmask_b32_e64 v57, 0, v57, s1
	v_cndmask_b32_sdwa v4, v29, v4, vcc_lo dst_sel:DWORD dst_unused:UNUSED_PAD src0_sel:DWORD src1_sel:WORD_0
	v_cmp_gt_i32_e32 vcc_lo, s28, v40
	v_cndmask_b32_e32 v62, 0, v62, vcc_lo
	v_cmp_gt_i32_e32 vcc_lo, s28, v37
	v_or_b32_e32 v4, v4, v62
	v_cndmask_b32_e32 v3, 0, v3, vcc_lo
	v_cmp_gt_i32_e32 vcc_lo, s28, v36
	v_cndmask_b32_e32 v56, 0, v56, vcc_lo
.LBB95_46:                              ;   in Loop: Header=BB95_35 Depth=1
	s_or_b32 exec_lo, exec_lo, s17
	v_lshlrev_b32_e32 v58, 16, v58
	v_lshlrev_b32_e32 v57, 16, v57
	v_lshlrev_b32_e32 v56, 16, v56
	v_and_or_b32 v1, 0xffff, v1, v58
	v_and_or_b32 v2, 0xffff, v2, v57
	;; [unrolled: 1-line block ×3, first 2 shown]
	;;#ASMSTART
	v_pk_mul_f16 v1, v39, v1;

	;;#ASMEND
	;;#ASMSTART
	v_pk_mul_f16 v2, v38, v2;

	;;#ASMEND
	;; [unrolled: 4-line block ×4, first 2 shown]
	;;#ASMSTART
	v_pk_add_f16 v1, v1, v2;

	;;#ASMEND
	;;#ASMSTART
	v_pk_add_f16 v1, v1, v3;

	;;#ASMEND
	;; [unrolled: 4-line block ×3, first 2 shown]
	v_and_b32_e32 v2, 0xffff, v1
	v_lshrrev_b32_e32 v1, 16, v1
	;;#ASMSTART
	v_cvt_f32_f16 v56, v2;
	;;#ASMEND
	;;#ASMSTART
	v_cvt_f32_f16 v57, v1;
	;;#ASMEND
	global_load_dwordx4 v[1:4], v[9:10], off offset:512
	s_waitcnt vmcnt(0)
	v_lshrrev_b32_e32 v63, 16, v1
	v_lshrrev_b32_e32 v62, 16, v2
	;; [unrolled: 1-line block ×3, first 2 shown]
	s_and_saveexec_b32 s17, s0
	s_cbranch_execz .LBB95_48
; %bb.47:                               ;   in Loop: Header=BB95_35 Depth=1
	v_cmp_gt_i32_e32 vcc_lo, s28, v47
	v_and_b32_e32 v64, 0xffff0000, v4
	v_cmp_gt_i32_e64 s1, s28, v43
	v_cndmask_b32_e32 v1, 0, v1, vcc_lo
	v_cmp_gt_i32_e32 vcc_lo, s28, v49
	v_cndmask_b32_e64 v2, 0, v2, s1
	v_cmp_gt_i32_e64 s1, s28, v42
	v_cndmask_b32_e32 v63, 0, v63, vcc_lo
	v_cmp_gt_i32_e32 vcc_lo, s28, v48
	v_cndmask_b32_e64 v62, 0, v62, s1
	v_cndmask_b32_sdwa v4, v29, v4, vcc_lo dst_sel:DWORD dst_unused:UNUSED_PAD src0_sel:DWORD src1_sel:WORD_0
	v_cmp_gt_i32_e32 vcc_lo, s28, v40
	v_cndmask_b32_e32 v64, 0, v64, vcc_lo
	v_cmp_gt_i32_e32 vcc_lo, s28, v37
	v_or_b32_e32 v4, v4, v64
	v_cndmask_b32_e32 v3, 0, v3, vcc_lo
	v_cmp_gt_i32_e32 vcc_lo, s28, v36
	v_cndmask_b32_e32 v58, 0, v58, vcc_lo
.LBB95_48:                              ;   in Loop: Header=BB95_35 Depth=1
	s_or_b32 exec_lo, exec_lo, s17
	v_lshlrev_b32_e32 v63, 16, v63
	v_lshlrev_b32_e32 v62, 16, v62
	v_lshlrev_b32_e32 v58, 16, v58
	v_and_or_b32 v1, 0xffff, v1, v63
	v_and_or_b32 v2, 0xffff, v2, v62
	;; [unrolled: 1-line block ×3, first 2 shown]
	;;#ASMSTART
	v_pk_mul_f16 v1, v39, v1;

	;;#ASMEND
	;;#ASMSTART
	v_pk_mul_f16 v2, v38, v2;

	;;#ASMEND
	;; [unrolled: 4-line block ×4, first 2 shown]
	;;#ASMSTART
	v_pk_add_f16 v1, v1, v2;

	;;#ASMEND
	;;#ASMSTART
	v_pk_add_f16 v1, v1, v3;

	;;#ASMEND
	;; [unrolled: 4-line block ×3, first 2 shown]
	v_and_b32_e32 v2, 0xffff, v1
	v_lshrrev_b32_e32 v1, 16, v1
	;;#ASMSTART
	v_cvt_f32_f16 v58, v2;
	;;#ASMEND
	;;#ASMSTART
	v_cvt_f32_f16 v62, v1;
	;;#ASMEND
	global_load_dwordx4 v[1:4], v[9:10], off offset:1024
	s_waitcnt vmcnt(0)
	v_lshrrev_b32_e32 v65, 16, v1
	v_lshrrev_b32_e32 v64, 16, v2
	;; [unrolled: 1-line block ×3, first 2 shown]
	s_and_saveexec_b32 s17, s0
	s_cbranch_execz .LBB95_50
; %bb.49:                               ;   in Loop: Header=BB95_35 Depth=1
	v_cmp_gt_i32_e32 vcc_lo, s28, v47
	v_and_b32_e32 v66, 0xffff0000, v4
	v_cmp_gt_i32_e64 s1, s28, v43
	v_cndmask_b32_e32 v1, 0, v1, vcc_lo
	v_cmp_gt_i32_e32 vcc_lo, s28, v49
	v_cndmask_b32_e64 v2, 0, v2, s1
	v_cmp_gt_i32_e64 s1, s28, v42
	v_cndmask_b32_e32 v65, 0, v65, vcc_lo
	v_cmp_gt_i32_e32 vcc_lo, s28, v48
	v_cndmask_b32_e64 v64, 0, v64, s1
	v_cndmask_b32_sdwa v4, v29, v4, vcc_lo dst_sel:DWORD dst_unused:UNUSED_PAD src0_sel:DWORD src1_sel:WORD_0
	v_cmp_gt_i32_e32 vcc_lo, s28, v40
	v_cndmask_b32_e32 v66, 0, v66, vcc_lo
	v_cmp_gt_i32_e32 vcc_lo, s28, v37
	v_or_b32_e32 v4, v4, v66
	v_cndmask_b32_e32 v3, 0, v3, vcc_lo
	v_cmp_gt_i32_e32 vcc_lo, s28, v36
	v_cndmask_b32_e32 v63, 0, v63, vcc_lo
.LBB95_50:                              ;   in Loop: Header=BB95_35 Depth=1
	s_or_b32 exec_lo, exec_lo, s17
	v_lshlrev_b32_e32 v65, 16, v65
	v_lshlrev_b32_e32 v64, 16, v64
	v_lshlrev_b32_e32 v63, 16, v63
	v_and_or_b32 v1, 0xffff, v1, v65
	v_and_or_b32 v2, 0xffff, v2, v64
	;; [unrolled: 1-line block ×3, first 2 shown]
	;;#ASMSTART
	v_pk_mul_f16 v1, v39, v1;

	;;#ASMEND
	;;#ASMSTART
	v_pk_mul_f16 v2, v38, v2;

	;;#ASMEND
	;; [unrolled: 4-line block ×4, first 2 shown]
	;;#ASMSTART
	v_pk_add_f16 v1, v1, v2;

	;;#ASMEND
	;;#ASMSTART
	v_pk_add_f16 v1, v1, v3;

	;;#ASMEND
	;;#ASMSTART
	v_pk_add_f16 v1, v1, v4;

	;;#ASMEND
	v_and_b32_e32 v2, 0xffff, v1
	v_lshrrev_b32_e32 v1, 16, v1
	;;#ASMSTART
	v_cvt_f32_f16 v63, v2;
	;;#ASMEND
	;;#ASMSTART
	v_cvt_f32_f16 v64, v1;
	;;#ASMEND
	global_load_dwordx4 v[1:4], v[9:10], off offset:1536
	s_waitcnt vmcnt(0)
	v_lshrrev_b32_e32 v65, 16, v1
	v_lshrrev_b32_e32 v10, 16, v2
	;; [unrolled: 1-line block ×3, first 2 shown]
	s_and_saveexec_b32 s17, s0
	s_cbranch_execz .LBB95_52
; %bb.51:                               ;   in Loop: Header=BB95_35 Depth=1
	v_cmp_gt_i32_e32 vcc_lo, s28, v47
	v_and_b32_e32 v66, 0xffff0000, v4
	v_cmp_gt_i32_e64 s1, s28, v43
	v_cndmask_b32_e32 v1, 0, v1, vcc_lo
	v_cmp_gt_i32_e32 vcc_lo, s28, v49
	v_cndmask_b32_e64 v2, 0, v2, s1
	v_cmp_gt_i32_e64 s1, s28, v42
	v_cndmask_b32_e32 v65, 0, v65, vcc_lo
	v_cmp_gt_i32_e32 vcc_lo, s28, v48
	v_cndmask_b32_e64 v10, 0, v10, s1
	v_cndmask_b32_sdwa v4, v29, v4, vcc_lo dst_sel:DWORD dst_unused:UNUSED_PAD src0_sel:DWORD src1_sel:WORD_0
	v_cmp_gt_i32_e32 vcc_lo, s28, v40
	v_cndmask_b32_e32 v66, 0, v66, vcc_lo
	v_cmp_gt_i32_e32 vcc_lo, s28, v37
	v_or_b32_e32 v4, v4, v66
	v_cndmask_b32_e32 v3, 0, v3, vcc_lo
	v_cmp_gt_i32_e32 vcc_lo, s28, v36
	v_cndmask_b32_e32 v9, 0, v9, vcc_lo
.LBB95_52:                              ;   in Loop: Header=BB95_35 Depth=1
	s_or_b32 exec_lo, exec_lo, s17
	v_lshlrev_b32_e32 v9, 16, v9
	v_lshlrev_b32_e32 v65, 16, v65
	v_lshlrev_b32_e32 v10, 16, v10
	v_and_or_b32 v3, 0xffff, v3, v9
	v_add_co_u32 v9, vcc_lo, 0x1000, v7
	v_and_or_b32 v1, 0xffff, v1, v65
	v_and_or_b32 v2, 0xffff, v2, v10
	;;#ASMSTART
	v_pk_mul_f16 v1, v39, v1;

	;;#ASMEND
	v_add_co_ci_u32_e64 v10, null, 0, v8, vcc_lo
	;;#ASMSTART
	v_pk_mul_f16 v2, v38, v2;

	;;#ASMEND
	;;#ASMSTART
	v_pk_mul_f16 v3, v45, v3;

	;;#ASMEND
	;; [unrolled: 4-line block ×3, first 2 shown]
	;;#ASMSTART
	v_pk_add_f16 v1, v1, v2;

	;;#ASMEND
	;;#ASMSTART
	v_pk_add_f16 v1, v1, v3;

	;;#ASMEND
	;; [unrolled: 4-line block ×3, first 2 shown]
	v_lshrrev_b32_e32 v2, 16, v1
	v_and_b32_e32 v1, 0xffff, v1
	;;#ASMSTART
	v_cvt_f32_f16 v65, v1;
	;;#ASMEND
	;;#ASMSTART
	v_cvt_f32_f16 v66, v2;
	;;#ASMEND
	global_load_dwordx4 v[1:4], v[9:10], off
	s_waitcnt vmcnt(0)
	v_lshrrev_b32_e32 v69, 16, v1
	v_lshrrev_b32_e32 v68, 16, v2
	;; [unrolled: 1-line block ×3, first 2 shown]
	s_and_saveexec_b32 s17, s0
	s_cbranch_execz .LBB95_54
; %bb.53:                               ;   in Loop: Header=BB95_35 Depth=1
	v_cmp_gt_i32_e32 vcc_lo, s28, v47
	v_and_b32_e32 v70, 0xffff0000, v4
	v_cmp_gt_i32_e64 s1, s28, v43
	v_cndmask_b32_e32 v1, 0, v1, vcc_lo
	v_cmp_gt_i32_e32 vcc_lo, s28, v49
	v_cndmask_b32_e64 v2, 0, v2, s1
	v_cmp_gt_i32_e64 s1, s28, v42
	v_cndmask_b32_e32 v69, 0, v69, vcc_lo
	v_cmp_gt_i32_e32 vcc_lo, s28, v48
	v_cndmask_b32_e64 v68, 0, v68, s1
	v_cndmask_b32_sdwa v4, v29, v4, vcc_lo dst_sel:DWORD dst_unused:UNUSED_PAD src0_sel:DWORD src1_sel:WORD_0
	v_cmp_gt_i32_e32 vcc_lo, s28, v40
	v_cndmask_b32_e32 v70, 0, v70, vcc_lo
	v_cmp_gt_i32_e32 vcc_lo, s28, v37
	v_or_b32_e32 v4, v4, v70
	v_cndmask_b32_e32 v3, 0, v3, vcc_lo
	v_cmp_gt_i32_e32 vcc_lo, s28, v36
	v_cndmask_b32_e32 v67, 0, v67, vcc_lo
.LBB95_54:                              ;   in Loop: Header=BB95_35 Depth=1
	s_or_b32 exec_lo, exec_lo, s17
	v_lshlrev_b32_e32 v69, 16, v69
	v_lshlrev_b32_e32 v68, 16, v68
	v_lshlrev_b32_e32 v67, 16, v67
	v_and_or_b32 v1, 0xffff, v1, v69
	v_and_or_b32 v2, 0xffff, v2, v68
	;; [unrolled: 1-line block ×3, first 2 shown]
	;;#ASMSTART
	v_pk_mul_f16 v1, v39, v1;

	;;#ASMEND
	;;#ASMSTART
	v_pk_mul_f16 v2, v38, v2;

	;;#ASMEND
	;; [unrolled: 4-line block ×4, first 2 shown]
	;;#ASMSTART
	v_pk_add_f16 v1, v1, v2;

	;;#ASMEND
	;;#ASMSTART
	v_pk_add_f16 v1, v1, v3;

	;;#ASMEND
	;; [unrolled: 4-line block ×3, first 2 shown]
	v_and_b32_e32 v2, 0xffff, v1
	v_lshrrev_b32_e32 v1, 16, v1
	;;#ASMSTART
	v_cvt_f32_f16 v67, v2;
	;;#ASMEND
	;;#ASMSTART
	v_cvt_f32_f16 v68, v1;
	;;#ASMEND
	global_load_dwordx4 v[1:4], v[9:10], off offset:512
	s_waitcnt vmcnt(0)
	v_lshrrev_b32_e32 v71, 16, v1
	v_lshrrev_b32_e32 v70, 16, v2
	;; [unrolled: 1-line block ×3, first 2 shown]
	s_and_saveexec_b32 s17, s0
	s_cbranch_execz .LBB95_56
; %bb.55:                               ;   in Loop: Header=BB95_35 Depth=1
	v_cmp_gt_i32_e32 vcc_lo, s28, v47
	v_and_b32_e32 v72, 0xffff0000, v4
	v_cmp_gt_i32_e64 s1, s28, v43
	v_cndmask_b32_e32 v1, 0, v1, vcc_lo
	v_cmp_gt_i32_e32 vcc_lo, s28, v49
	v_cndmask_b32_e64 v2, 0, v2, s1
	v_cmp_gt_i32_e64 s1, s28, v42
	v_cndmask_b32_e32 v71, 0, v71, vcc_lo
	v_cmp_gt_i32_e32 vcc_lo, s28, v48
	v_cndmask_b32_e64 v70, 0, v70, s1
	v_cndmask_b32_sdwa v4, v29, v4, vcc_lo dst_sel:DWORD dst_unused:UNUSED_PAD src0_sel:DWORD src1_sel:WORD_0
	v_cmp_gt_i32_e32 vcc_lo, s28, v40
	v_cndmask_b32_e32 v72, 0, v72, vcc_lo
	v_cmp_gt_i32_e32 vcc_lo, s28, v37
	v_or_b32_e32 v4, v4, v72
	v_cndmask_b32_e32 v3, 0, v3, vcc_lo
	v_cmp_gt_i32_e32 vcc_lo, s28, v36
	v_cndmask_b32_e32 v69, 0, v69, vcc_lo
.LBB95_56:                              ;   in Loop: Header=BB95_35 Depth=1
	s_or_b32 exec_lo, exec_lo, s17
	v_lshlrev_b32_e32 v71, 16, v71
	v_lshlrev_b32_e32 v70, 16, v70
	;; [unrolled: 1-line block ×3, first 2 shown]
	v_and_or_b32 v1, 0xffff, v1, v71
	v_and_or_b32 v2, 0xffff, v2, v70
	;; [unrolled: 1-line block ×3, first 2 shown]
	;;#ASMSTART
	v_pk_mul_f16 v1, v39, v1;

	;;#ASMEND
	;;#ASMSTART
	v_pk_mul_f16 v2, v38, v2;

	;;#ASMEND
	;; [unrolled: 4-line block ×4, first 2 shown]
	;;#ASMSTART
	v_pk_add_f16 v1, v1, v2;

	;;#ASMEND
	;;#ASMSTART
	v_pk_add_f16 v1, v1, v3;

	;;#ASMEND
	;; [unrolled: 4-line block ×3, first 2 shown]
	v_and_b32_e32 v2, 0xffff, v1
	v_lshrrev_b32_e32 v1, 16, v1
	;;#ASMSTART
	v_cvt_f32_f16 v69, v2;
	;;#ASMEND
	;;#ASMSTART
	v_cvt_f32_f16 v70, v1;
	;;#ASMEND
	global_load_dwordx4 v[1:4], v[9:10], off offset:1024
	s_waitcnt vmcnt(0)
	v_lshrrev_b32_e32 v73, 16, v1
	v_lshrrev_b32_e32 v72, 16, v2
	v_lshrrev_b32_e32 v71, 16, v3
	s_and_saveexec_b32 s17, s0
	s_cbranch_execz .LBB95_58
; %bb.57:                               ;   in Loop: Header=BB95_35 Depth=1
	v_cmp_gt_i32_e32 vcc_lo, s28, v47
	v_and_b32_e32 v74, 0xffff0000, v4
	v_cmp_gt_i32_e64 s1, s28, v43
	v_cndmask_b32_e32 v1, 0, v1, vcc_lo
	v_cmp_gt_i32_e32 vcc_lo, s28, v49
	v_cndmask_b32_e64 v2, 0, v2, s1
	v_cmp_gt_i32_e64 s1, s28, v42
	v_cndmask_b32_e32 v73, 0, v73, vcc_lo
	v_cmp_gt_i32_e32 vcc_lo, s28, v48
	v_cndmask_b32_e64 v72, 0, v72, s1
	v_cndmask_b32_sdwa v4, v29, v4, vcc_lo dst_sel:DWORD dst_unused:UNUSED_PAD src0_sel:DWORD src1_sel:WORD_0
	v_cmp_gt_i32_e32 vcc_lo, s28, v40
	v_cndmask_b32_e32 v74, 0, v74, vcc_lo
	v_cmp_gt_i32_e32 vcc_lo, s28, v37
	v_or_b32_e32 v4, v4, v74
	v_cndmask_b32_e32 v3, 0, v3, vcc_lo
	v_cmp_gt_i32_e32 vcc_lo, s28, v36
	v_cndmask_b32_e32 v71, 0, v71, vcc_lo
.LBB95_58:                              ;   in Loop: Header=BB95_35 Depth=1
	s_or_b32 exec_lo, exec_lo, s17
	v_lshlrev_b32_e32 v73, 16, v73
	v_lshlrev_b32_e32 v72, 16, v72
	;; [unrolled: 1-line block ×3, first 2 shown]
	v_and_or_b32 v1, 0xffff, v1, v73
	v_and_or_b32 v2, 0xffff, v2, v72
	;; [unrolled: 1-line block ×3, first 2 shown]
	;;#ASMSTART
	v_pk_mul_f16 v1, v39, v1;

	;;#ASMEND
	;;#ASMSTART
	v_pk_mul_f16 v2, v38, v2;

	;;#ASMEND
	;; [unrolled: 4-line block ×4, first 2 shown]
	;;#ASMSTART
	v_pk_add_f16 v1, v1, v2;

	;;#ASMEND
	;;#ASMSTART
	v_pk_add_f16 v1, v1, v3;

	;;#ASMEND
	;; [unrolled: 4-line block ×3, first 2 shown]
	v_and_b32_e32 v2, 0xffff, v1
	v_lshrrev_b32_e32 v1, 16, v1
	;;#ASMSTART
	v_cvt_f32_f16 v71, v2;
	;;#ASMEND
	;;#ASMSTART
	v_cvt_f32_f16 v72, v1;
	;;#ASMEND
	global_load_dwordx4 v[1:4], v[9:10], off offset:1536
	s_waitcnt vmcnt(0)
	v_lshrrev_b32_e32 v73, 16, v1
	v_lshrrev_b32_e32 v10, 16, v2
	v_lshrrev_b32_e32 v9, 16, v3
	s_and_saveexec_b32 s17, s0
	s_cbranch_execz .LBB95_60
; %bb.59:                               ;   in Loop: Header=BB95_35 Depth=1
	v_cmp_gt_i32_e32 vcc_lo, s28, v47
	v_and_b32_e32 v74, 0xffff0000, v4
	v_cmp_gt_i32_e64 s1, s28, v43
	v_cndmask_b32_e32 v1, 0, v1, vcc_lo
	v_cmp_gt_i32_e32 vcc_lo, s28, v49
	v_cndmask_b32_e64 v2, 0, v2, s1
	v_cmp_gt_i32_e64 s1, s28, v42
	v_cndmask_b32_e32 v73, 0, v73, vcc_lo
	v_cmp_gt_i32_e32 vcc_lo, s28, v48
	v_cndmask_b32_e64 v10, 0, v10, s1
	v_cndmask_b32_sdwa v4, v29, v4, vcc_lo dst_sel:DWORD dst_unused:UNUSED_PAD src0_sel:DWORD src1_sel:WORD_0
	v_cmp_gt_i32_e32 vcc_lo, s28, v40
	v_cndmask_b32_e32 v74, 0, v74, vcc_lo
	v_cmp_gt_i32_e32 vcc_lo, s28, v37
	v_or_b32_e32 v4, v4, v74
	v_cndmask_b32_e32 v3, 0, v3, vcc_lo
	v_cmp_gt_i32_e32 vcc_lo, s28, v36
	v_cndmask_b32_e32 v9, 0, v9, vcc_lo
.LBB95_60:                              ;   in Loop: Header=BB95_35 Depth=1
	s_or_b32 exec_lo, exec_lo, s17
	v_lshlrev_b32_e32 v73, 16, v73
	v_lshlrev_b32_e32 v10, 16, v10
	;; [unrolled: 1-line block ×3, first 2 shown]
	v_add_co_u32 v7, vcc_lo, 0x1800, v7
	v_and_or_b32 v1, 0xffff, v1, v73
	v_and_or_b32 v2, 0xffff, v2, v10
	;; [unrolled: 1-line block ×3, first 2 shown]
	;;#ASMSTART
	v_pk_mul_f16 v1, v39, v1;

	;;#ASMEND
	v_add_co_ci_u32_e64 v8, null, 0, v8, vcc_lo
	;;#ASMSTART
	v_pk_mul_f16 v2, v38, v2;

	;;#ASMEND
	;;#ASMSTART
	v_pk_mul_f16 v3, v45, v3;

	;;#ASMEND
	;; [unrolled: 4-line block ×3, first 2 shown]
	;;#ASMSTART
	v_pk_add_f16 v1, v1, v2;

	;;#ASMEND
	;;#ASMSTART
	v_pk_add_f16 v1, v1, v3;

	;;#ASMEND
	;; [unrolled: 4-line block ×3, first 2 shown]
	v_lshrrev_b32_e32 v2, 16, v1
	v_and_b32_e32 v1, 0xffff, v1
	;;#ASMSTART
	v_cvt_f32_f16 v9, v1;
	;;#ASMEND
	;;#ASMSTART
	v_cvt_f32_f16 v10, v2;
	;;#ASMEND
	global_load_dwordx4 v[1:4], v[7:8], off
	s_waitcnt vmcnt(0)
	v_lshrrev_b32_e32 v75, 16, v1
	v_lshrrev_b32_e32 v74, 16, v2
	;; [unrolled: 1-line block ×3, first 2 shown]
	s_and_saveexec_b32 s17, s0
	s_cbranch_execz .LBB95_62
; %bb.61:                               ;   in Loop: Header=BB95_35 Depth=1
	v_cmp_gt_i32_e32 vcc_lo, s28, v47
	v_and_b32_e32 v76, 0xffff0000, v4
	v_cmp_gt_i32_e64 s1, s28, v43
	v_cndmask_b32_e32 v1, 0, v1, vcc_lo
	v_cmp_gt_i32_e32 vcc_lo, s28, v49
	v_cndmask_b32_e64 v2, 0, v2, s1
	v_cmp_gt_i32_e64 s1, s28, v42
	v_cndmask_b32_e32 v75, 0, v75, vcc_lo
	v_cmp_gt_i32_e32 vcc_lo, s28, v48
	v_cndmask_b32_e64 v74, 0, v74, s1
	v_cndmask_b32_sdwa v4, v29, v4, vcc_lo dst_sel:DWORD dst_unused:UNUSED_PAD src0_sel:DWORD src1_sel:WORD_0
	v_cmp_gt_i32_e32 vcc_lo, s28, v40
	v_cndmask_b32_e32 v76, 0, v76, vcc_lo
	v_cmp_gt_i32_e32 vcc_lo, s28, v37
	v_or_b32_e32 v4, v4, v76
	v_cndmask_b32_e32 v3, 0, v3, vcc_lo
	v_cmp_gt_i32_e32 vcc_lo, s28, v36
	v_cndmask_b32_e32 v73, 0, v73, vcc_lo
.LBB95_62:                              ;   in Loop: Header=BB95_35 Depth=1
	s_or_b32 exec_lo, exec_lo, s17
	v_lshlrev_b32_e32 v75, 16, v75
	v_lshlrev_b32_e32 v74, 16, v74
	;; [unrolled: 1-line block ×3, first 2 shown]
	v_and_or_b32 v1, 0xffff, v1, v75
	v_and_or_b32 v2, 0xffff, v2, v74
	v_and_or_b32 v3, 0xffff, v3, v73
	;;#ASMSTART
	v_pk_mul_f16 v1, v39, v1;

	;;#ASMEND
	;;#ASMSTART
	v_pk_mul_f16 v2, v38, v2;

	;;#ASMEND
	;;#ASMSTART
	v_pk_mul_f16 v3, v45, v3;

	;;#ASMEND
	;;#ASMSTART
	v_pk_mul_f16 v4, v46, v4;

	;;#ASMEND
	;;#ASMSTART
	v_pk_add_f16 v1, v1, v2;

	;;#ASMEND
	;;#ASMSTART
	v_pk_add_f16 v1, v1, v3;

	;;#ASMEND
	;; [unrolled: 4-line block ×3, first 2 shown]
	v_and_b32_e32 v2, 0xffff, v1
	v_lshrrev_b32_e32 v1, 16, v1
	;;#ASMSTART
	v_cvt_f32_f16 v73, v2;
	;;#ASMEND
	;;#ASMSTART
	v_cvt_f32_f16 v74, v1;
	;;#ASMEND
	global_load_dwordx4 v[1:4], v[7:8], off offset:512
	s_waitcnt vmcnt(0)
	v_lshrrev_b32_e32 v77, 16, v1
	v_lshrrev_b32_e32 v76, 16, v2
	;; [unrolled: 1-line block ×3, first 2 shown]
	s_and_saveexec_b32 s17, s0
	s_cbranch_execz .LBB95_64
; %bb.63:                               ;   in Loop: Header=BB95_35 Depth=1
	v_cmp_gt_i32_e32 vcc_lo, s28, v47
	v_and_b32_e32 v78, 0xffff0000, v4
	v_cmp_gt_i32_e64 s1, s28, v43
	v_cndmask_b32_e32 v1, 0, v1, vcc_lo
	v_cmp_gt_i32_e32 vcc_lo, s28, v49
	v_cndmask_b32_e64 v2, 0, v2, s1
	v_cmp_gt_i32_e64 s1, s28, v42
	v_cndmask_b32_e32 v77, 0, v77, vcc_lo
	v_cmp_gt_i32_e32 vcc_lo, s28, v48
	v_cndmask_b32_e64 v76, 0, v76, s1
	v_cndmask_b32_sdwa v4, v29, v4, vcc_lo dst_sel:DWORD dst_unused:UNUSED_PAD src0_sel:DWORD src1_sel:WORD_0
	v_cmp_gt_i32_e32 vcc_lo, s28, v40
	v_cndmask_b32_e32 v78, 0, v78, vcc_lo
	v_cmp_gt_i32_e32 vcc_lo, s28, v37
	v_or_b32_e32 v4, v4, v78
	v_cndmask_b32_e32 v3, 0, v3, vcc_lo
	v_cmp_gt_i32_e32 vcc_lo, s28, v36
	v_cndmask_b32_e32 v75, 0, v75, vcc_lo
.LBB95_64:                              ;   in Loop: Header=BB95_35 Depth=1
	s_or_b32 exec_lo, exec_lo, s17
	v_lshlrev_b32_e32 v77, 16, v77
	v_lshlrev_b32_e32 v76, 16, v76
	;; [unrolled: 1-line block ×3, first 2 shown]
	v_and_or_b32 v1, 0xffff, v1, v77
	v_and_or_b32 v2, 0xffff, v2, v76
	;; [unrolled: 1-line block ×3, first 2 shown]
	;;#ASMSTART
	v_pk_mul_f16 v1, v39, v1;

	;;#ASMEND
	;;#ASMSTART
	v_pk_mul_f16 v2, v38, v2;

	;;#ASMEND
	;; [unrolled: 4-line block ×4, first 2 shown]
	;;#ASMSTART
	v_pk_add_f16 v1, v1, v2;

	;;#ASMEND
	;;#ASMSTART
	v_pk_add_f16 v1, v1, v3;

	;;#ASMEND
	;; [unrolled: 4-line block ×3, first 2 shown]
	v_and_b32_e32 v2, 0xffff, v1
	v_lshrrev_b32_e32 v1, 16, v1
	;;#ASMSTART
	v_cvt_f32_f16 v76, v2;
	;;#ASMEND
	;;#ASMSTART
	v_cvt_f32_f16 v77, v1;
	;;#ASMEND
	global_load_dwordx4 v[1:4], v[7:8], off offset:1024
	s_waitcnt vmcnt(0)
	v_lshrrev_b32_e32 v75, 16, v1
	v_lshrrev_b32_e32 v8, 16, v2
	;; [unrolled: 1-line block ×3, first 2 shown]
	s_and_saveexec_b32 s1, s0
	s_cbranch_execz .LBB95_33
; %bb.65:                               ;   in Loop: Header=BB95_35 Depth=1
	v_cmp_gt_i32_e32 vcc_lo, s28, v47
	v_cmp_gt_i32_e64 s0, s28, v43
	v_cndmask_b32_e32 v1, 0, v1, vcc_lo
	v_cmp_gt_i32_e32 vcc_lo, s28, v49
	v_cndmask_b32_e64 v2, 0, v2, s0
	v_cmp_gt_i32_e64 s0, s28, v42
	v_and_b32_e32 v42, 0xffff0000, v4
	v_cndmask_b32_e32 v75, 0, v75, vcc_lo
	v_cmp_gt_i32_e32 vcc_lo, s28, v48
	v_cndmask_b32_e64 v8, 0, v8, s0
	v_cndmask_b32_sdwa v4, v29, v4, vcc_lo dst_sel:DWORD dst_unused:UNUSED_PAD src0_sel:DWORD src1_sel:WORD_0
	v_cmp_gt_i32_e32 vcc_lo, s28, v40
	v_cndmask_b32_e32 v40, 0, v42, vcc_lo
	v_cmp_gt_i32_e32 vcc_lo, s28, v37
	v_or_b32_e32 v4, v4, v40
	v_cndmask_b32_e32 v3, 0, v3, vcc_lo
	v_cmp_gt_i32_e32 vcc_lo, s28, v36
	v_cndmask_b32_e32 v7, 0, v7, vcc_lo
	s_branch .LBB95_33
.LBB95_66:
	s_or_b32 exec_lo, exec_lo, s13
.LBB95_67:
	s_or_b32 exec_lo, exec_lo, s2
	ds_bpermute_b32 v2, v12, v28
	ds_bpermute_b32 v30, v12, v17
	ds_bpermute_b32 v1, v12, v27
	ds_bpermute_b32 v3, v12, v26
	ds_bpermute_b32 v4, v12, v25
	ds_bpermute_b32 v5, v12, v24
	ds_bpermute_b32 v6, v12, v23
	ds_bpermute_b32 v7, v12, v22
	ds_bpermute_b32 v8, v12, v21
	ds_bpermute_b32 v9, v12, v20
	ds_bpermute_b32 v10, v12, v19
	ds_bpermute_b32 v29, v12, v18
	ds_bpermute_b32 v31, v12, v16
	ds_bpermute_b32 v32, v12, v15
	ds_bpermute_b32 v12, v12, v14
	s_mov_b32 s0, exec_lo
	s_waitcnt lgkmcnt(0)
	s_barrier
	buffer_gl0_inv
	v_add_f32_e32 v2, v28, v2
	v_add_f32_e32 v17, v17, v30
	;; [unrolled: 1-line block ×8, first 2 shown]
	ds_bpermute_b32 v23, v11, v2
	v_add_f32_e32 v8, v21, v8
	v_add_f32_e32 v20, v20, v9
	;; [unrolled: 1-line block ×6, first 2 shown]
	ds_bpermute_b32 v33, v11, v17
	v_add_f32_e32 v34, v14, v12
	ds_bpermute_b32 v22, v11, v1
	ds_bpermute_b32 v24, v11, v3
	;; [unrolled: 1-line block ×13, first 2 shown]
	s_waitcnt lgkmcnt(14)
	v_add_f32_e32 v15, v2, v23
	s_waitcnt lgkmcnt(13)
	v_add_f32_e32 v2, v17, v33
	v_and_b32_e32 v17, 28, v60
	s_waitcnt lgkmcnt(12)
	v_add_f32_e32 v16, v1, v22
	s_waitcnt lgkmcnt(11)
	v_add_f32_e32 v14, v3, v24
	;; [unrolled: 2-line block ×12, first 2 shown]
	v_and_b32_e32 v20, 0x3c3, v0
	s_waitcnt lgkmcnt(0)
	v_add_f32_e32 v5, v34, v37
	v_lshrrev_b32_e32 v18, 2, v60
	v_add_nc_u32_e32 v17, 0x110, v17
	v_mul_u32_u24_e32 v19, 0x1e0, v59
	v_cmpx_eq_u32_e32 64, v20
	s_cbranch_execz .LBB95_69
; %bb.68:
	v_add_nc_u32_e32 v20, v17, v19
	v_add_nc_u32_e32 v21, 0xfffffc40, v20
	;; [unrolled: 1-line block ×6, first 2 shown]
	ds_write_b32 v21, v16
	ds_write_b32 v22, v15
	;; [unrolled: 1-line block ×5, first 2 shown]
	v_add_nc_u32_e32 v21, 0xfffffce0, v20
	v_add_nc_u32_e32 v22, 0xfffffd00, v20
	;; [unrolled: 1-line block ×5, first 2 shown]
	ds_write_b32 v21, v10
	ds_write_b32 v22, v9
	;; [unrolled: 1-line block ×5, first 2 shown]
	v_add_nc_u32_e32 v21, 0xfffffd80, v20
	v_add_nc_u32_e32 v22, 0xfffffda0, v20
	;; [unrolled: 1-line block ×5, first 2 shown]
	ds_write_b32 v21, v3
	ds_write_b32 v22, v2
	;; [unrolled: 1-line block ×5, first 2 shown]
.LBB95_69:
	s_or_b32 exec_lo, exec_lo, s0
	v_lshlrev_b32_e32 v18, 2, v18
	v_cmp_eq_u32_e32 vcc_lo, 0, v13
	s_mov_b32 s1, exec_lo
	s_waitcnt lgkmcnt(0)
	s_barrier
	v_add3_u32 v13, 0x110, v19, v18
	buffer_gl0_inv
	v_cmpx_gt_u32_e32 64, v0
	s_cbranch_execz .LBB95_87
; %bb.70:
	s_and_saveexec_b32 s0, vcc_lo
	s_cbranch_execnz .LBB95_110
; %bb.71:
	s_or_b32 exec_lo, exec_lo, s0
	s_and_saveexec_b32 s0, vcc_lo
	s_cbranch_execnz .LBB95_111
.LBB95_72:
	s_or_b32 exec_lo, exec_lo, s0
	s_and_saveexec_b32 s0, vcc_lo
	s_cbranch_execnz .LBB95_112
.LBB95_73:
	s_or_b32 exec_lo, exec_lo, s0
	s_and_saveexec_b32 s0, vcc_lo
	s_cbranch_execnz .LBB95_113
.LBB95_74:
	s_or_b32 exec_lo, exec_lo, s0
	s_and_saveexec_b32 s0, vcc_lo
	s_cbranch_execnz .LBB95_114
.LBB95_75:
	s_or_b32 exec_lo, exec_lo, s0
	s_and_saveexec_b32 s0, vcc_lo
	s_cbranch_execnz .LBB95_115
.LBB95_76:
	s_or_b32 exec_lo, exec_lo, s0
	s_and_saveexec_b32 s0, vcc_lo
	s_cbranch_execnz .LBB95_116
.LBB95_77:
	s_or_b32 exec_lo, exec_lo, s0
	s_and_saveexec_b32 s0, vcc_lo
	s_cbranch_execnz .LBB95_117
.LBB95_78:
	s_or_b32 exec_lo, exec_lo, s0
	s_and_saveexec_b32 s0, vcc_lo
	s_cbranch_execnz .LBB95_118
.LBB95_79:
	s_or_b32 exec_lo, exec_lo, s0
	s_and_saveexec_b32 s0, vcc_lo
	s_cbranch_execnz .LBB95_119
.LBB95_80:
	s_or_b32 exec_lo, exec_lo, s0
	s_and_saveexec_b32 s0, vcc_lo
	s_cbranch_execnz .LBB95_120
.LBB95_81:
	s_or_b32 exec_lo, exec_lo, s0
	s_and_saveexec_b32 s0, vcc_lo
	s_cbranch_execnz .LBB95_121
.LBB95_82:
	s_or_b32 exec_lo, exec_lo, s0
	s_and_saveexec_b32 s0, vcc_lo
	s_cbranch_execnz .LBB95_122
.LBB95_83:
	s_or_b32 exec_lo, exec_lo, s0
	s_and_saveexec_b32 s0, vcc_lo
	s_cbranch_execnz .LBB95_123
.LBB95_84:
	s_or_b32 exec_lo, exec_lo, s0
	s_and_saveexec_b32 s0, vcc_lo
	s_cbranch_execz .LBB95_86
.LBB95_85:
	ds_read_b32 v18, v13 offset:448
	s_waitcnt lgkmcnt(0)
	v_add_f32_e32 v5, v5, v18
.LBB95_86:
	s_or_b32 exec_lo, exec_lo, s0
.LBB95_87:
	s_or_b32 exec_lo, exec_lo, s1
	v_and_b32_e32 v18, 0x3e3, v0
	s_mov_b32 s1, exec_lo
	s_barrier
	buffer_gl0_inv
	v_cmpx_eq_u32_e32 32, v18
	s_cbranch_execz .LBB95_89
; %bb.88:
	ds_write2_b32 v17, v16, v15 offset1:8
	ds_write2_b32 v17, v14, v12 offset0:16 offset1:24
	ds_write2_b32 v17, v11, v10 offset0:32 offset1:40
	;; [unrolled: 1-line block ×6, first 2 shown]
	ds_write_b32 v17, v5 offset:448
.LBB95_89:
	s_or_b32 exec_lo, exec_lo, s1
	s_mov_b32 s1, exec_lo
	s_waitcnt lgkmcnt(0)
	s_barrier
	buffer_gl0_inv
	v_cmpx_gt_u32_e32 32, v0
	s_cbranch_execz .LBB95_107
; %bb.90:
	s_and_saveexec_b32 s0, vcc_lo
	s_cbranch_execnz .LBB95_124
; %bb.91:
	s_or_b32 exec_lo, exec_lo, s0
	s_and_saveexec_b32 s0, vcc_lo
	s_cbranch_execnz .LBB95_125
.LBB95_92:
	s_or_b32 exec_lo, exec_lo, s0
	s_and_saveexec_b32 s0, vcc_lo
	s_cbranch_execnz .LBB95_126
.LBB95_93:
	s_or_b32 exec_lo, exec_lo, s0
	s_and_saveexec_b32 s0, vcc_lo
	s_cbranch_execnz .LBB95_127
.LBB95_94:
	s_or_b32 exec_lo, exec_lo, s0
	s_and_saveexec_b32 s0, vcc_lo
	s_cbranch_execnz .LBB95_128
.LBB95_95:
	s_or_b32 exec_lo, exec_lo, s0
	s_and_saveexec_b32 s0, vcc_lo
	s_cbranch_execnz .LBB95_129
.LBB95_96:
	s_or_b32 exec_lo, exec_lo, s0
	s_and_saveexec_b32 s0, vcc_lo
	s_cbranch_execnz .LBB95_130
.LBB95_97:
	s_or_b32 exec_lo, exec_lo, s0
	s_and_saveexec_b32 s0, vcc_lo
	s_cbranch_execnz .LBB95_131
.LBB95_98:
	s_or_b32 exec_lo, exec_lo, s0
	s_and_saveexec_b32 s0, vcc_lo
	s_cbranch_execnz .LBB95_132
.LBB95_99:
	s_or_b32 exec_lo, exec_lo, s0
	s_and_saveexec_b32 s0, vcc_lo
	s_cbranch_execnz .LBB95_133
.LBB95_100:
	s_or_b32 exec_lo, exec_lo, s0
	s_and_saveexec_b32 s0, vcc_lo
	s_cbranch_execnz .LBB95_134
.LBB95_101:
	s_or_b32 exec_lo, exec_lo, s0
	s_and_saveexec_b32 s0, vcc_lo
	s_cbranch_execnz .LBB95_135
.LBB95_102:
	s_or_b32 exec_lo, exec_lo, s0
	s_and_saveexec_b32 s0, vcc_lo
	s_cbranch_execnz .LBB95_136
.LBB95_103:
	s_or_b32 exec_lo, exec_lo, s0
	s_and_saveexec_b32 s0, vcc_lo
	s_cbranch_execnz .LBB95_137
.LBB95_104:
	s_or_b32 exec_lo, exec_lo, s0
	s_and_saveexec_b32 s0, vcc_lo
	s_cbranch_execz .LBB95_106
.LBB95_105:
	ds_read_b32 v13, v13 offset:448
	s_waitcnt lgkmcnt(0)
	v_add_f32_e32 v5, v5, v13
.LBB95_106:
	s_or_b32 exec_lo, exec_lo, s0
.LBB95_107:
	s_or_b32 exec_lo, exec_lo, s1
	s_barrier
	buffer_gl0_inv
	s_mov_b32 s0, exec_lo
	v_cmpx_eq_u32_e32 0, v18
	s_cbranch_execz .LBB95_109
; %bb.108:
	s_mul_i32 s0, s10, s11
	s_mul_i32 s2, s11, s20
	s_mul_i32 s0, s0, s9
	v_lshrrev_b32_e32 v0, 1, v0
	s_mulk_i32 s0, 0x78
	;;#ASMSTART
	v_cvt_f16_f32 v13, v16;

	;;#ASMEND
	s_ashr_i32 s1, s0, 31
	s_lshl_b64 s[0:1], s[0:1], 1
	s_add_u32 s4, s6, s0
	s_addc_u32 s5, s7, s1
	s_ashr_i32 s3, s2, 31
	s_lshl_b64 s[0:1], s[2:3], 1
	s_mul_i32 s2, s8, 0x78
	s_add_u32 s4, s4, s0
	s_addc_u32 s5, s5, s1
	s_ashr_i32 s3, s2, 31
	s_lshl_b64 s[0:1], s[2:3], 1
	s_add_u32 s0, s4, s0
	s_addc_u32 s1, s5, s1
	global_store_short v0, v13, s[0:1]
	;;#ASMSTART
	v_cvt_f16_f32 v13, v15;

	;;#ASMEND
	global_store_short v0, v13, s[0:1] offset:16
	;;#ASMSTART
	v_cvt_f16_f32 v13, v14;

	;;#ASMEND
	global_store_short v0, v13, s[0:1] offset:32
	;; [unrolled: 5-line block ×14, first 2 shown]
.LBB95_109:
	s_endpgm
.LBB95_110:
	ds_read_b32 v18, v13
	s_waitcnt lgkmcnt(0)
	v_add_f32_e32 v16, v16, v18
	s_or_b32 exec_lo, exec_lo, s0
	s_and_saveexec_b32 s0, vcc_lo
	s_cbranch_execz .LBB95_72
.LBB95_111:
	ds_read_b32 v18, v13 offset:32
	s_waitcnt lgkmcnt(0)
	v_add_f32_e32 v15, v15, v18
	s_or_b32 exec_lo, exec_lo, s0
	s_and_saveexec_b32 s0, vcc_lo
	s_cbranch_execz .LBB95_73
.LBB95_112:
	ds_read_b32 v18, v13 offset:64
	s_waitcnt lgkmcnt(0)
	v_add_f32_e32 v14, v14, v18
	s_or_b32 exec_lo, exec_lo, s0
	s_and_saveexec_b32 s0, vcc_lo
	s_cbranch_execz .LBB95_74
.LBB95_113:
	ds_read_b32 v18, v13 offset:96
	s_waitcnt lgkmcnt(0)
	v_add_f32_e32 v12, v12, v18
	s_or_b32 exec_lo, exec_lo, s0
	s_and_saveexec_b32 s0, vcc_lo
	s_cbranch_execz .LBB95_75
.LBB95_114:
	ds_read_b32 v18, v13 offset:128
	s_waitcnt lgkmcnt(0)
	v_add_f32_e32 v11, v11, v18
	s_or_b32 exec_lo, exec_lo, s0
	s_and_saveexec_b32 s0, vcc_lo
	s_cbranch_execz .LBB95_76
.LBB95_115:
	ds_read_b32 v18, v13 offset:160
	s_waitcnt lgkmcnt(0)
	v_add_f32_e32 v10, v10, v18
	s_or_b32 exec_lo, exec_lo, s0
	s_and_saveexec_b32 s0, vcc_lo
	s_cbranch_execz .LBB95_77
.LBB95_116:
	ds_read_b32 v18, v13 offset:192
	s_waitcnt lgkmcnt(0)
	v_add_f32_e32 v9, v9, v18
	s_or_b32 exec_lo, exec_lo, s0
	s_and_saveexec_b32 s0, vcc_lo
	s_cbranch_execz .LBB95_78
.LBB95_117:
	ds_read_b32 v18, v13 offset:224
	s_waitcnt lgkmcnt(0)
	v_add_f32_e32 v8, v8, v18
	s_or_b32 exec_lo, exec_lo, s0
	s_and_saveexec_b32 s0, vcc_lo
	s_cbranch_execz .LBB95_79
.LBB95_118:
	ds_read_b32 v18, v13 offset:256
	s_waitcnt lgkmcnt(0)
	v_add_f32_e32 v7, v7, v18
	s_or_b32 exec_lo, exec_lo, s0
	s_and_saveexec_b32 s0, vcc_lo
	s_cbranch_execz .LBB95_80
.LBB95_119:
	ds_read_b32 v18, v13 offset:288
	s_waitcnt lgkmcnt(0)
	v_add_f32_e32 v6, v6, v18
	s_or_b32 exec_lo, exec_lo, s0
	s_and_saveexec_b32 s0, vcc_lo
	s_cbranch_execz .LBB95_81
.LBB95_120:
	ds_read_b32 v18, v13 offset:320
	s_waitcnt lgkmcnt(0)
	v_add_f32_e32 v3, v3, v18
	s_or_b32 exec_lo, exec_lo, s0
	s_and_saveexec_b32 s0, vcc_lo
	s_cbranch_execz .LBB95_82
.LBB95_121:
	ds_read_b32 v18, v13 offset:352
	s_waitcnt lgkmcnt(0)
	v_add_f32_e32 v2, v2, v18
	s_or_b32 exec_lo, exec_lo, s0
	s_and_saveexec_b32 s0, vcc_lo
	s_cbranch_execz .LBB95_83
.LBB95_122:
	ds_read_b32 v18, v13 offset:384
	s_waitcnt lgkmcnt(0)
	v_add_f32_e32 v1, v1, v18
	s_or_b32 exec_lo, exec_lo, s0
	s_and_saveexec_b32 s0, vcc_lo
	s_cbranch_execz .LBB95_84
.LBB95_123:
	ds_read_b32 v18, v13 offset:416
	s_waitcnt lgkmcnt(0)
	v_add_f32_e32 v4, v4, v18
	s_or_b32 exec_lo, exec_lo, s0
	s_and_saveexec_b32 s0, vcc_lo
	s_cbranch_execnz .LBB95_85
	s_branch .LBB95_86
.LBB95_124:
	ds_read_b32 v17, v13
	s_waitcnt lgkmcnt(0)
	v_add_f32_e32 v16, v16, v17
	s_or_b32 exec_lo, exec_lo, s0
	s_and_saveexec_b32 s0, vcc_lo
	s_cbranch_execz .LBB95_92
.LBB95_125:
	ds_read_b32 v17, v13 offset:32
	s_waitcnt lgkmcnt(0)
	v_add_f32_e32 v15, v15, v17
	s_or_b32 exec_lo, exec_lo, s0
	s_and_saveexec_b32 s0, vcc_lo
	s_cbranch_execz .LBB95_93
.LBB95_126:
	ds_read_b32 v17, v13 offset:64
	s_waitcnt lgkmcnt(0)
	v_add_f32_e32 v14, v14, v17
	s_or_b32 exec_lo, exec_lo, s0
	s_and_saveexec_b32 s0, vcc_lo
	s_cbranch_execz .LBB95_94
.LBB95_127:
	ds_read_b32 v17, v13 offset:96
	s_waitcnt lgkmcnt(0)
	v_add_f32_e32 v12, v12, v17
	s_or_b32 exec_lo, exec_lo, s0
	s_and_saveexec_b32 s0, vcc_lo
	s_cbranch_execz .LBB95_95
.LBB95_128:
	ds_read_b32 v17, v13 offset:128
	s_waitcnt lgkmcnt(0)
	v_add_f32_e32 v11, v11, v17
	s_or_b32 exec_lo, exec_lo, s0
	s_and_saveexec_b32 s0, vcc_lo
	s_cbranch_execz .LBB95_96
.LBB95_129:
	ds_read_b32 v17, v13 offset:160
	s_waitcnt lgkmcnt(0)
	v_add_f32_e32 v10, v10, v17
	s_or_b32 exec_lo, exec_lo, s0
	s_and_saveexec_b32 s0, vcc_lo
	s_cbranch_execz .LBB95_97
.LBB95_130:
	ds_read_b32 v17, v13 offset:192
	s_waitcnt lgkmcnt(0)
	v_add_f32_e32 v9, v9, v17
	s_or_b32 exec_lo, exec_lo, s0
	s_and_saveexec_b32 s0, vcc_lo
	s_cbranch_execz .LBB95_98
.LBB95_131:
	ds_read_b32 v17, v13 offset:224
	s_waitcnt lgkmcnt(0)
	v_add_f32_e32 v8, v8, v17
	s_or_b32 exec_lo, exec_lo, s0
	s_and_saveexec_b32 s0, vcc_lo
	s_cbranch_execz .LBB95_99
.LBB95_132:
	ds_read_b32 v17, v13 offset:256
	s_waitcnt lgkmcnt(0)
	v_add_f32_e32 v7, v7, v17
	s_or_b32 exec_lo, exec_lo, s0
	s_and_saveexec_b32 s0, vcc_lo
	s_cbranch_execz .LBB95_100
.LBB95_133:
	ds_read_b32 v17, v13 offset:288
	s_waitcnt lgkmcnt(0)
	v_add_f32_e32 v6, v6, v17
	s_or_b32 exec_lo, exec_lo, s0
	s_and_saveexec_b32 s0, vcc_lo
	s_cbranch_execz .LBB95_101
.LBB95_134:
	ds_read_b32 v17, v13 offset:320
	s_waitcnt lgkmcnt(0)
	v_add_f32_e32 v3, v3, v17
	s_or_b32 exec_lo, exec_lo, s0
	s_and_saveexec_b32 s0, vcc_lo
	s_cbranch_execz .LBB95_102
.LBB95_135:
	ds_read_b32 v17, v13 offset:352
	s_waitcnt lgkmcnt(0)
	v_add_f32_e32 v2, v2, v17
	s_or_b32 exec_lo, exec_lo, s0
	s_and_saveexec_b32 s0, vcc_lo
	s_cbranch_execz .LBB95_103
.LBB95_136:
	ds_read_b32 v17, v13 offset:384
	s_waitcnt lgkmcnt(0)
	v_add_f32_e32 v1, v1, v17
	s_or_b32 exec_lo, exec_lo, s0
	s_and_saveexec_b32 s0, vcc_lo
	s_cbranch_execz .LBB95_104
.LBB95_137:
	ds_read_b32 v17, v13 offset:416
	s_waitcnt lgkmcnt(0)
	v_add_f32_e32 v4, v4, v17
	s_or_b32 exec_lo, exec_lo, s0
	s_and_saveexec_b32 s0, vcc_lo
	s_cbranch_execnz .LBB95_105
	s_branch .LBB95_106
	.section	.rodata,"a",@progbits
	.p2align	6, 0x0
	.amdhsa_kernel _ZN4vllm25paged_attention_v1_kernelIttLi120ELi32ELi128ELNS_18Fp8KVCacheDataTypeE0ELb1EEEvPT_PKS2_PKT0_S8_ifPKiSA_iPKfiiiSC_SC_iiiii
		.amdhsa_group_segment_fixed_size 272
		.amdhsa_private_segment_fixed_size 0
		.amdhsa_kernarg_size 384
		.amdhsa_user_sgpr_count 6
		.amdhsa_user_sgpr_private_segment_buffer 1
		.amdhsa_user_sgpr_dispatch_ptr 0
		.amdhsa_user_sgpr_queue_ptr 0
		.amdhsa_user_sgpr_kernarg_segment_ptr 1
		.amdhsa_user_sgpr_dispatch_id 0
		.amdhsa_user_sgpr_flat_scratch_init 0
		.amdhsa_user_sgpr_private_segment_size 0
		.amdhsa_wavefront_size32 1
		.amdhsa_uses_dynamic_stack 0
		.amdhsa_system_sgpr_private_segment_wavefront_offset 0
		.amdhsa_system_sgpr_workgroup_id_x 1
		.amdhsa_system_sgpr_workgroup_id_y 1
		.amdhsa_system_sgpr_workgroup_id_z 1
		.amdhsa_system_sgpr_workgroup_info 0
		.amdhsa_system_vgpr_workitem_id 0
		.amdhsa_next_free_vgpr 98
		.amdhsa_next_free_sgpr 38
		.amdhsa_reserve_vcc 1
		.amdhsa_reserve_flat_scratch 0
		.amdhsa_float_round_mode_32 0
		.amdhsa_float_round_mode_16_64 0
		.amdhsa_float_denorm_mode_32 3
		.amdhsa_float_denorm_mode_16_64 3
		.amdhsa_dx10_clamp 1
		.amdhsa_ieee_mode 1
		.amdhsa_fp16_overflow 0
		.amdhsa_workgroup_processor_mode 1
		.amdhsa_memory_ordered 1
		.amdhsa_forward_progress 1
		.amdhsa_shared_vgpr_count 0
		.amdhsa_exception_fp_ieee_invalid_op 0
		.amdhsa_exception_fp_denorm_src 0
		.amdhsa_exception_fp_ieee_div_zero 0
		.amdhsa_exception_fp_ieee_overflow 0
		.amdhsa_exception_fp_ieee_underflow 0
		.amdhsa_exception_fp_ieee_inexact 0
		.amdhsa_exception_int_div_zero 0
	.end_amdhsa_kernel
	.section	.text._ZN4vllm25paged_attention_v1_kernelIttLi120ELi32ELi128ELNS_18Fp8KVCacheDataTypeE0ELb1EEEvPT_PKS2_PKT0_S8_ifPKiSA_iPKfiiiSC_SC_iiiii,"axG",@progbits,_ZN4vllm25paged_attention_v1_kernelIttLi120ELi32ELi128ELNS_18Fp8KVCacheDataTypeE0ELb1EEEvPT_PKS2_PKT0_S8_ifPKiSA_iPKfiiiSC_SC_iiiii,comdat
.Lfunc_end95:
	.size	_ZN4vllm25paged_attention_v1_kernelIttLi120ELi32ELi128ELNS_18Fp8KVCacheDataTypeE0ELb1EEEvPT_PKS2_PKT0_S8_ifPKiSA_iPKfiiiSC_SC_iiiii, .Lfunc_end95-_ZN4vllm25paged_attention_v1_kernelIttLi120ELi32ELi128ELNS_18Fp8KVCacheDataTypeE0ELb1EEEvPT_PKS2_PKT0_S8_ifPKiSA_iPKfiiiSC_SC_iiiii
                                        ; -- End function
	.set _ZN4vllm25paged_attention_v1_kernelIttLi120ELi32ELi128ELNS_18Fp8KVCacheDataTypeE0ELb1EEEvPT_PKS2_PKT0_S8_ifPKiSA_iPKfiiiSC_SC_iiiii.num_vgpr, 98
	.set _ZN4vllm25paged_attention_v1_kernelIttLi120ELi32ELi128ELNS_18Fp8KVCacheDataTypeE0ELb1EEEvPT_PKS2_PKT0_S8_ifPKiSA_iPKfiiiSC_SC_iiiii.num_agpr, 0
	.set _ZN4vllm25paged_attention_v1_kernelIttLi120ELi32ELi128ELNS_18Fp8KVCacheDataTypeE0ELb1EEEvPT_PKS2_PKT0_S8_ifPKiSA_iPKfiiiSC_SC_iiiii.numbered_sgpr, 38
	.set _ZN4vllm25paged_attention_v1_kernelIttLi120ELi32ELi128ELNS_18Fp8KVCacheDataTypeE0ELb1EEEvPT_PKS2_PKT0_S8_ifPKiSA_iPKfiiiSC_SC_iiiii.num_named_barrier, 0
	.set _ZN4vllm25paged_attention_v1_kernelIttLi120ELi32ELi128ELNS_18Fp8KVCacheDataTypeE0ELb1EEEvPT_PKS2_PKT0_S8_ifPKiSA_iPKfiiiSC_SC_iiiii.private_seg_size, 0
	.set _ZN4vllm25paged_attention_v1_kernelIttLi120ELi32ELi128ELNS_18Fp8KVCacheDataTypeE0ELb1EEEvPT_PKS2_PKT0_S8_ifPKiSA_iPKfiiiSC_SC_iiiii.uses_vcc, 1
	.set _ZN4vllm25paged_attention_v1_kernelIttLi120ELi32ELi128ELNS_18Fp8KVCacheDataTypeE0ELb1EEEvPT_PKS2_PKT0_S8_ifPKiSA_iPKfiiiSC_SC_iiiii.uses_flat_scratch, 0
	.set _ZN4vllm25paged_attention_v1_kernelIttLi120ELi32ELi128ELNS_18Fp8KVCacheDataTypeE0ELb1EEEvPT_PKS2_PKT0_S8_ifPKiSA_iPKfiiiSC_SC_iiiii.has_dyn_sized_stack, 0
	.set _ZN4vllm25paged_attention_v1_kernelIttLi120ELi32ELi128ELNS_18Fp8KVCacheDataTypeE0ELb1EEEvPT_PKS2_PKT0_S8_ifPKiSA_iPKfiiiSC_SC_iiiii.has_recursion, 0
	.set _ZN4vllm25paged_attention_v1_kernelIttLi120ELi32ELi128ELNS_18Fp8KVCacheDataTypeE0ELb1EEEvPT_PKS2_PKT0_S8_ifPKiSA_iPKfiiiSC_SC_iiiii.has_indirect_call, 0
	.section	.AMDGPU.csdata,"",@progbits
; Kernel info:
; codeLenInByte = 18640
; TotalNumSgprs: 40
; NumVgprs: 98
; ScratchSize: 0
; MemoryBound: 0
; FloatMode: 240
; IeeeMode: 1
; LDSByteSize: 272 bytes/workgroup (compile time only)
; SGPRBlocks: 0
; VGPRBlocks: 12
; NumSGPRsForWavesPerEU: 40
; NumVGPRsForWavesPerEU: 98
; Occupancy: 9
; WaveLimiterHint : 1
; COMPUTE_PGM_RSRC2:SCRATCH_EN: 0
; COMPUTE_PGM_RSRC2:USER_SGPR: 6
; COMPUTE_PGM_RSRC2:TRAP_HANDLER: 0
; COMPUTE_PGM_RSRC2:TGID_X_EN: 1
; COMPUTE_PGM_RSRC2:TGID_Y_EN: 1
; COMPUTE_PGM_RSRC2:TGID_Z_EN: 1
; COMPUTE_PGM_RSRC2:TIDIG_COMP_CNT: 0
	.section	.text._ZN4vllm25paged_attention_v1_kernelIttLi128ELi32ELi128ELNS_18Fp8KVCacheDataTypeE0ELb1EEEvPT_PKS2_PKT0_S8_ifPKiSA_iPKfiiiSC_SC_iiiii,"axG",@progbits,_ZN4vllm25paged_attention_v1_kernelIttLi128ELi32ELi128ELNS_18Fp8KVCacheDataTypeE0ELb1EEEvPT_PKS2_PKT0_S8_ifPKiSA_iPKfiiiSC_SC_iiiii,comdat
	.protected	_ZN4vllm25paged_attention_v1_kernelIttLi128ELi32ELi128ELNS_18Fp8KVCacheDataTypeE0ELb1EEEvPT_PKS2_PKT0_S8_ifPKiSA_iPKfiiiSC_SC_iiiii ; -- Begin function _ZN4vllm25paged_attention_v1_kernelIttLi128ELi32ELi128ELNS_18Fp8KVCacheDataTypeE0ELb1EEEvPT_PKS2_PKT0_S8_ifPKiSA_iPKfiiiSC_SC_iiiii
	.globl	_ZN4vllm25paged_attention_v1_kernelIttLi128ELi32ELi128ELNS_18Fp8KVCacheDataTypeE0ELb1EEEvPT_PKS2_PKT0_S8_ifPKiSA_iPKfiiiSC_SC_iiiii
	.p2align	8
	.type	_ZN4vllm25paged_attention_v1_kernelIttLi128ELi32ELi128ELNS_18Fp8KVCacheDataTypeE0ELb1EEEvPT_PKS2_PKT0_S8_ifPKiSA_iPKfiiiSC_SC_iiiii,@function
_ZN4vllm25paged_attention_v1_kernelIttLi128ELi32ELi128ELNS_18Fp8KVCacheDataTypeE0ELb1EEEvPT_PKS2_PKT0_S8_ifPKiSA_iPKfiiiSC_SC_iiiii: ; @_ZN4vllm25paged_attention_v1_kernelIttLi128ELi32ELi128ELNS_18Fp8KVCacheDataTypeE0ELb1EEEvPT_PKS2_PKT0_S8_ifPKiSA_iPKfiiiSC_SC_iiiii
; %bb.0:
	s_clause 0x2
	s_load_dword s9, s[4:5], 0x80
	s_load_dwordx2 s[0:1], s[4:5], 0x30
	s_load_dwordx2 s[2:3], s[4:5], 0x20
	s_mov_b32 s10, s7
	s_ashr_i32 s11, s7, 31
	s_mov_b32 s31, 0
	s_lshl_b64 s[12:13], s[10:11], 2
	s_waitcnt lgkmcnt(0)
	s_add_u32 s0, s0, s12
	s_addc_u32 s1, s1, s13
	s_abs_i32 s7, s2
	s_abs_i32 s13, s9
	v_cvt_f32_u32_e32 v1, s7
	s_sub_i32 s12, 0, s7
	v_rcp_iflag_f32_e32 v1, v1
	v_mul_f32_e32 v1, 0x4f7ffffe, v1
	v_cvt_u32_f32_e32 v1, v1
	v_readfirstlane_b32 s11, v1
	s_mul_i32 s12, s12, s11
	s_mul_hi_u32 s12, s11, s12
	s_add_i32 s11, s11, s12
	s_xor_b32 s12, s9, s2
	s_mul_hi_u32 s11, s13, s11
	s_ashr_i32 s12, s12, 31
	s_mul_i32 s14, s11, s7
	s_sub_i32 s13, s13, s14
	s_add_i32 s14, s11, 1
	s_sub_i32 s15, s13, s7
	s_cmp_ge_u32 s13, s7
	s_cselect_b32 s11, s14, s11
	s_cselect_b32 s13, s15, s13
	s_add_i32 s14, s11, 1
	s_cmp_ge_u32 s13, s7
	s_cselect_b32 s7, s14, s11
	s_abs_i32 s22, s6
	s_xor_b32 s7, s7, s12
	s_sub_i32 s16, s7, s12
	s_load_dwordx2 s[12:13], s[4:5], 0x40
	s_abs_i32 s11, s16
	v_cvt_f32_u32_e32 v1, s11
	s_sub_i32 s14, 0, s11
	v_rcp_iflag_f32_e32 v1, v1
	v_mul_f32_e32 v1, 0x4f7ffffe, v1
	v_cvt_u32_f32_e32 v1, v1
	v_readfirstlane_b32 s7, v1
	s_mul_i32 s14, s14, s7
	s_mul_hi_u32 s14, s7, s14
	s_add_i32 s7, s7, s14
	s_waitcnt lgkmcnt(0)
	s_cmp_eq_u64 s[12:13], 0
	s_mul_hi_u32 s23, s22, s7
	s_cbranch_scc1 .LBB96_2
; %bb.1:
	s_ashr_i32 s7, s6, 31
	s_lshl_b64 s[14:15], s[6:7], 2
	s_add_u32 s12, s12, s14
	s_addc_u32 s13, s13, s15
	s_load_dword s31, s[12:13], 0x0
.LBB96_2:
	s_load_dword s28, s[0:1], 0x0
	s_load_dwordx4 s[12:15], s[4:5], 0x48
	v_lshlrev_b32_e32 v66, 4, v0
	s_ashr_i32 s0, s6, 31
	s_ashr_i32 s1, s16, 31
	s_lshl_b32 s20, s6, 7
	s_mov_b32 s7, exec_lo
	v_cmpx_gt_u32_e32 16, v0
	s_cbranch_execz .LBB96_4
; %bb.3:
	s_load_dwordx2 s[16:17], s[4:5], 0x8
	s_waitcnt lgkmcnt(0)
	s_mul_i32 s18, s12, s10
	s_ashr_i32 s19, s18, 31
	s_lshl_b64 s[18:19], s[18:19], 1
	s_add_u32 s12, s16, s18
	s_addc_u32 s15, s17, s19
	s_ashr_i32 s21, s20, 31
	s_lshl_b64 s[16:17], s[20:21], 1
	s_add_u32 s16, s12, s16
	s_addc_u32 s17, s15, s17
	global_load_dwordx4 v[1:4], v66, s[16:17]
	s_waitcnt vmcnt(0)
	ds_write_b128 v66, v[1:4]
.LBB96_4:
	s_or_b32 exec_lo, exec_lo, s7
	s_load_dwordx4 s[16:19], s[4:5], 0x68
	s_mul_i32 s7, s23, s11
	s_xor_b32 s1, s0, s1
	s_sub_i32 s0, s22, s7
	s_add_i32 s7, s23, 1
	s_waitcnt lgkmcnt(0)
	s_sub_i32 s12, s0, s11
	s_cmp_ge_u32 s0, s11
	s_mov_b32 s24, -1
	s_cselect_b32 s7, s7, s23
	s_cselect_b32 s0, s12, s0
	s_add_i32 s12, s7, 1
	s_cmp_ge_u32 s0, s11
	s_load_dword s0, s[4:5], 0x78
	s_cselect_b32 s7, s12, s7
	s_add_i32 s11, s28, -1
	s_xor_b32 s7, s7, s1
	s_waitcnt lgkmcnt(0)
	s_sub_i32 s1, s7, s1
	s_barrier
	buffer_gl0_inv
	s_abs_i32 s12, s19
                                        ; implicit-def: $sgpr29
	v_cvt_f32_u32_e32 v1, s12
	s_sub_i32 s7, 0, s12
	v_rcp_iflag_f32_e32 v1, v1
	v_mul_f32_e32 v1, 0x4f7ffffe, v1
	v_cvt_u32_f32_e32 v1, v1
	v_readfirstlane_b32 s21, v1
	s_mul_i32 s7, s7, s21
	s_mul_hi_u32 s15, s21, s7
	s_abs_i32 s7, s11
	s_add_i32 s21, s21, s15
	s_cmp_lt_i32 s0, 0
	s_mul_hi_u32 s15, s7, s21
	s_cbranch_scc0 .LBB96_6
; %bb.5:
	s_mul_i32 s2, s16, s2
	s_mov_b32 s24, 0
	s_add_i32 s2, s1, s2
	s_mul_i32 s2, s2, s0
	s_sub_i32 s29, 1, s2
.LBB96_6:
	s_load_dwordx2 s[22:23], s[4:5], 0x28
	s_ashr_i32 s2, s11, 31
	s_andn2_b32 vcc_lo, exec_lo, s24
	s_ashr_i32 s19, s19, 31
	s_cbranch_vccnz .LBB96_8
; %bb.7:
	s_mul_i32 s11, s9, s16
	s_add_i32 s6, s11, s6
	s_mul_i32 s0, s6, s0
	s_add_i32 s29, s0, 1
.LBB96_8:
	s_load_dword s0, s[4:5], 0x38
	s_mul_i32 s6, s15, s12
	s_xor_b32 s2, s2, s19
	s_sub_i32 s30, s7, s6
	s_add_i32 s16, s15, 1
	s_clause 0x2
	s_load_dwordx2 s[6:7], s[4:5], 0x0
	s_load_dwordx2 s[26:27], s[4:5], 0x18
	s_load_dword s11, s[4:5], 0x88
	v_lshrrev_b32_e32 v63, 5, v0
	v_and_b32_e32 v64, 31, v0
	v_mov_b32_e32 v69, 0xff7fffff
	v_lshrrev_b32_e32 v67, 3, v0
	s_mul_i32 s14, s1, s14
	v_lshlrev_b32_e32 v65, 5, v63
	v_lshlrev_b32_e32 v68, 2, v64
	s_waitcnt lgkmcnt(0)
	s_mul_i32 s24, s0, s10
	s_sub_i32 s0, s30, s12
	s_ashr_i32 s25, s24, 31
	s_cmp_ge_u32 s30, s12
	s_cselect_b32 s15, s16, s15
	s_cselect_b32 s0, s0, s30
	s_add_i32 s16, s15, 1
	s_cmp_ge_u32 s0, s12
	s_cselect_b32 s0, s16, s15
	s_add_i32 s15, s28, 31
	s_ashr_i32 s16, s15, 31
	s_lshr_b32 s16, s16, 27
	s_add_i32 s15, s15, s16
	s_ashr_i32 s16, s15, 5
	s_xor_b32 s15, s0, s2
	v_cmp_gt_i32_e64 s0, s16, v63
	s_sub_i32 s30, s15, s2
	s_and_saveexec_b32 s33, s0
	s_cbranch_execz .LBB96_16
; %bb.9:
	s_load_dwordx2 s[34:35], s[4:5], 0x10
	s_ashr_i32 s15, s14, 31
	s_sub_i32 s4, s30, s17
	s_lshl_b64 s[36:37], s[14:15], 1
	v_subrev_nc_u32_e32 v4, s28, v64
	v_lshlrev_b32_e32 v2, 4, v64
	v_and_b32_e32 v3, 0x7c, v67
	v_lshl_or_b32 v6, v63, 7, v68
	v_mov_b32_e32 v70, 0
	v_add_nc_u32_e32 v73, 1, v4
	v_cmp_neq_f32_e64 vcc_lo, s31, 0
	v_lshlrev_b32_e32 v71, 5, v63
	v_mov_b32_e32 v72, 0xff7fffff
	v_mov_b32_e32 v69, 0xff7fffff
	v_add_nc_u32_e32 v74, 0x120, v6
	v_mov_b32_e32 v78, v63
	s_waitcnt lgkmcnt(0)
	s_add_u32 s1, s34, s36
	s_addc_u32 s2, s35, s37
	s_abs_i32 s5, s18
	s_lshl_b64 s[34:35], s[24:25], 2
	v_cvt_f32_u32_e32 v1, s5
	s_sub_i32 s15, 0, s5
	v_add_co_u32 v75, s1, s1, v2
	v_add_co_ci_u32_e64 v76, null, s2, 0, s1
	v_rcp_iflag_f32_e32 v1, v1
	s_add_u32 s1, s22, s34
	s_addc_u32 s2, s23, s35
	v_add_co_u32 v61, s1, s1, v3
	v_add_co_ci_u32_e64 v62, null, s2, 0, s1
	s_mov_b32 s34, s13
	v_mul_f32_e32 v1, 0x4f7ffffe, v1
	v_cvt_u32_f32_e32 v1, v1
	v_mul_lo_u32 v5, s15, v1
	s_mov_b32 s15, 0
	v_mul_hi_u32 v4, v1, v5
	v_add_nc_u32_e32 v77, v1, v4
	s_branch .LBB96_11
.LBB96_10:                              ;   in Loop: Header=BB96_11 Depth=1
	s_or_b32 exec_lo, exec_lo, s35
	v_add_nc_u32_e32 v78, 4, v78
	v_add_co_u32 v61, s2, v61, 16
	v_add_co_ci_u32_e64 v62, null, 0, v62, s2
	v_cmp_le_i32_e64 s1, s16, v78
	v_add_nc_u32_e32 v71, 0x80, v71
	v_add_nc_u32_e32 v74, 0x200, v74
	s_or_b32 s15, s1, s15
	s_andn2_b32 exec_lo, exec_lo, s15
	s_cbranch_execz .LBB96_15
.LBB96_11:                              ; =>This Inner Loop Header: Depth=1
	v_mul_hi_u32 v1, v71, s21
	v_mul_lo_u32 v2, v1, s12
	v_add_nc_u32_e32 v3, 1, v1
	v_sub_nc_u32_e32 v2, v71, v2
	v_subrev_nc_u32_e32 v4, s12, v2
	v_cmp_le_u32_e64 s1, s12, v2
	v_cndmask_b32_e64 v1, v1, v3, s1
	v_cndmask_b32_e64 v2, v2, v4, s1
	v_add_nc_u32_e32 v3, 1, v1
	v_cmp_le_u32_e64 s1, s12, v2
	v_cndmask_b32_e64 v1, v1, v3, s1
	v_xor_b32_e32 v1, s19, v1
	v_subrev_nc_u32_e32 v1, s19, v1
	v_add_nc_u32_e32 v2, s29, v1
	v_cmp_ge_i32_e64 s2, s4, v1
	v_sub_nc_u32_e32 v3, 0, v2
	v_max_i32_e32 v3, v2, v3
	v_ashrrev_i32_e32 v2, 31, v2
	v_mul_hi_u32 v4, v3, v77
	v_mul_lo_u32 v4, v4, s5
	v_sub_nc_u32_e32 v3, v3, v4
	v_subrev_nc_u32_e32 v4, s5, v3
	v_cmp_le_u32_e64 s1, s5, v3
	v_cndmask_b32_e64 v3, v3, v4, s1
	v_subrev_nc_u32_e32 v4, s5, v3
	v_cmp_le_u32_e64 s1, s5, v3
	v_cndmask_b32_e64 v3, v3, v4, s1
	v_xor_b32_e32 v3, v3, v2
	v_sub_nc_u32_e32 v2, v3, v2
	v_cmp_ne_u32_e64 s1, 0, v2
	s_and_b32 s1, s1, s2
	s_and_saveexec_b32 s2, s1
	s_xor_b32 s1, exec_lo, s2
; %bb.12:                               ;   in Loop: Header=BB96_11 Depth=1
	ds_write_b32 v74, v72
; %bb.13:                               ;   in Loop: Header=BB96_11 Depth=1
	s_andn2_saveexec_b32 s35, s1
	s_cbranch_execz .LBB96_10
; %bb.14:                               ;   in Loop: Header=BB96_11 Depth=1
	global_load_dword v1, v[61:62], off
	v_add_nc_u32_e32 v4, v73, v71
	v_add_nc_u32_e32 v3, v64, v71
	v_cvt_f32_i32_e32 v4, v4
	v_mul_f32_e32 v79, s31, v4
	v_cndmask_b32_e32 v79, 0, v79, vcc_lo
	s_waitcnt vmcnt(0)
	v_mad_i64_i32 v[1:2], null, v1, s34, 0
	v_lshlrev_b64 v[1:2], 1, v[1:2]
	v_add_co_u32 v1, s1, v75, v1
	v_add_co_ci_u32_e64 v2, null, v76, v2, s1
	v_cmp_gt_i32_e64 s1, s28, v3
	v_add_co_u32 v3, s2, 0x800, v1
	s_clause 0x3
	global_load_dwordx4 v[80:83], v[1:2], off
	global_load_dwordx4 v[57:60], v[1:2], off offset:512
	global_load_dwordx4 v[53:56], v[1:2], off offset:1024
	;; [unrolled: 1-line block ×3, first 2 shown]
	v_add_co_ci_u32_e64 v4, null, 0, v2, s2
	v_add_co_u32 v5, s2, v1, 0x1000
	v_add_co_ci_u32_e64 v6, null, 0, v2, s2
	s_clause 0x3
	global_load_dwordx4 v[45:48], v[5:6], off offset:-2048
	global_load_dwordx4 v[41:44], v[3:4], off offset:512
	global_load_dwordx4 v[37:40], v[3:4], off offset:1024
	;; [unrolled: 1-line block ×3, first 2 shown]
	v_add_co_u32 v3, s2, 0x1000, v1
	v_add_co_ci_u32_e64 v4, null, 0, v2, s2
	s_clause 0x3
	global_load_dwordx4 v[29:32], v[5:6], off
	global_load_dwordx4 v[25:28], v[3:4], off offset:512
	global_load_dwordx4 v[21:24], v[3:4], off offset:1024
	;; [unrolled: 1-line block ×3, first 2 shown]
	v_add_co_u32 v1, s2, 0x1800, v1
	v_add_co_ci_u32_e64 v2, null, 0, v2, s2
	s_clause 0x3
	global_load_dwordx4 v[13:16], v[1:2], off
	global_load_dwordx4 v[9:12], v[1:2], off offset:512
	global_load_dwordx4 v[5:8], v[1:2], off offset:1024
	global_load_dwordx4 v[1:4], v[1:2], off offset:1536
	ds_read_b128 v[84:87], v70
	s_waitcnt lgkmcnt(0)
	v_lshrrev_b32_e32 v88, 16, v84
	v_and_b32_e32 v84, 0xffff, v84
	;;#ASMSTART
	v_cvt_f32_f16 v84, v84;
	;;#ASMEND
	;;#ASMSTART
	v_cvt_f32_f16 v88, v88;
	;;#ASMEND
	s_waitcnt vmcnt(15)
	v_lshrrev_b32_e32 v90, 16, v80
	v_and_b32_e32 v80, 0xffff, v80
	;;#ASMSTART
	v_cvt_f32_f16 v89, v80;
	;;#ASMEND
	v_lshrrev_b32_e32 v80, 16, v85
	v_and_b32_e32 v85, 0xffff, v85
	;;#ASMSTART
	v_cvt_f32_f16 v90, v90;
	;;#ASMEND
	;;#ASMSTART
	v_cvt_f32_f16 v85, v85;
	;;#ASMEND
	;; [unrolled: 3-line block ×3, first 2 shown]
	v_lshrrev_b32_e32 v80, 16, v81
	v_and_b32_e32 v81, 0xffff, v81
	;;#ASMSTART
	v_cvt_f32_f16 v92, v81;
	;;#ASMEND
	;;#ASMSTART
	v_cvt_f32_f16 v93, v80;
	;;#ASMEND
	v_lshrrev_b32_e32 v80, 16, v86
	v_and_b32_e32 v81, 0xffff, v86
	;;#ASMSTART
	v_cvt_f32_f16 v86, v81;
	;;#ASMEND
	;;#ASMSTART
	v_cvt_f32_f16 v94, v80;
	;;#ASMEND
	;; [unrolled: 8-line block ×5, first 2 shown]
	ds_read_b128 v[80:83], v70 offset:16
	s_waitcnt vmcnt(14)
	v_lshrrev_b32_e32 v101, 16, v57
	v_and_b32_e32 v57, 0xffff, v57
	s_waitcnt lgkmcnt(0)
	v_lshrrev_b32_e32 v100, 16, v80
	v_and_b32_e32 v80, 0xffff, v80
	;;#ASMSTART
	v_cvt_f32_f16 v80, v80;
	;;#ASMEND
	;;#ASMSTART
	v_cvt_f32_f16 v100, v100;
	;;#ASMEND
	;; [unrolled: 3-line block ×3, first 2 shown]
	v_mul_f32_e32 v57, v80, v57
	;;#ASMSTART
	v_cvt_f32_f16 v101, v101;
	;;#ASMEND
	v_mul_f32_e32 v80, v100, v101
	v_fmac_f32_e32 v57, v84, v89
	v_lshrrev_b32_e32 v84, 16, v81
	v_and_b32_e32 v81, 0xffff, v81
	v_fmac_f32_e32 v80, v88, v90
	;;#ASMSTART
	v_cvt_f32_f16 v81, v81;
	;;#ASMEND
	v_lshrrev_b32_e32 v88, 16, v58
	v_and_b32_e32 v58, 0xffff, v58
	;;#ASMSTART
	v_cvt_f32_f16 v84, v84;
	;;#ASMEND
	;;#ASMSTART
	v_cvt_f32_f16 v58, v58;
	;;#ASMEND
	v_mul_f32_e32 v81, v81, v58
	;;#ASMSTART
	v_cvt_f32_f16 v88, v88;
	;;#ASMEND
	v_mul_f32_e32 v58, v84, v88
	v_lshrrev_b32_e32 v84, 16, v82
	v_and_b32_e32 v82, 0xffff, v82
	v_fmac_f32_e32 v81, v85, v92
	v_lshrrev_b32_e32 v85, 16, v59
	v_and_b32_e32 v59, 0xffff, v59
	;;#ASMSTART
	v_cvt_f32_f16 v82, v82;
	;;#ASMEND
	;;#ASMSTART
	v_cvt_f32_f16 v84, v84;
	;;#ASMEND
	;; [unrolled: 3-line block ×4, first 2 shown]
	v_mul_f32_e32 v82, v82, v59
	v_mul_f32_e32 v59, v84, v85
	v_lshrrev_b32_e32 v84, 16, v83
	v_and_b32_e32 v83, 0xffff, v83
	;;#ASMSTART
	v_cvt_f32_f16 v83, v83;
	;;#ASMEND
	v_lshrrev_b32_e32 v85, 16, v60
	v_and_b32_e32 v60, 0xffff, v60
	;;#ASMSTART
	v_cvt_f32_f16 v84, v84;
	;;#ASMEND
	;;#ASMSTART
	v_cvt_f32_f16 v60, v60;
	;;#ASMEND
	v_mul_f32_e32 v83, v83, v60
	;;#ASMSTART
	v_cvt_f32_f16 v85, v85;
	;;#ASMEND
	v_fmac_f32_e32 v82, v86, v95
	v_mul_f32_e32 v60, v84, v85
	v_fmac_f32_e32 v58, v91, v93
	v_fmac_f32_e32 v83, v87, v98
	ds_read_b128 v[84:87], v70 offset:32
	s_waitcnt vmcnt(13)
	v_lshrrev_b32_e32 v89, 16, v53
	v_and_b32_e32 v53, 0xffff, v53
	v_fmac_f32_e32 v59, v94, v96
	v_fmac_f32_e32 v60, v97, v99
	s_waitcnt lgkmcnt(0)
	v_lshrrev_b32_e32 v88, 16, v84
	v_and_b32_e32 v84, 0xffff, v84
	;;#ASMSTART
	v_cvt_f32_f16 v84, v84;
	;;#ASMEND
	;;#ASMSTART
	v_cvt_f32_f16 v88, v88;
	;;#ASMEND
	;; [unrolled: 3-line block ×3, first 2 shown]
	v_fmac_f32_e32 v57, v84, v53
	v_lshrrev_b32_e32 v84, 16, v85
	v_and_b32_e32 v53, 0xffff, v85
	v_lshrrev_b32_e32 v85, 16, v54
	v_and_b32_e32 v54, 0xffff, v54
	;;#ASMSTART
	v_cvt_f32_f16 v89, v89;
	;;#ASMEND
	;;#ASMSTART
	v_cvt_f32_f16 v53, v53;
	;;#ASMEND
	;; [unrolled: 3-line block ×5, first 2 shown]
	v_fmac_f32_e32 v81, v53, v54
	v_fmac_f32_e32 v58, v84, v85
	v_lshrrev_b32_e32 v54, 16, v86
	v_and_b32_e32 v53, 0xffff, v86
	v_lshrrev_b32_e32 v84, 16, v55
	v_and_b32_e32 v55, 0xffff, v55
	;;#ASMSTART
	v_cvt_f32_f16 v53, v53;
	;;#ASMEND
	;;#ASMSTART
	v_cvt_f32_f16 v54, v54;
	;;#ASMEND
	;; [unrolled: 3-line block ×4, first 2 shown]
	v_fmac_f32_e32 v82, v53, v55
	v_fmac_f32_e32 v59, v54, v84
	v_lshrrev_b32_e32 v54, 16, v87
	v_and_b32_e32 v53, 0xffff, v87
	v_and_b32_e32 v55, 0xffff, v56
	;;#ASMSTART
	v_cvt_f32_f16 v53, v53;
	;;#ASMEND
	;;#ASMSTART
	v_cvt_f32_f16 v54, v54;
	;;#ASMEND
	v_lshrrev_b32_e32 v84, 16, v56
	;;#ASMSTART
	v_cvt_f32_f16 v55, v55;
	;;#ASMEND
	;;#ASMSTART
	v_cvt_f32_f16 v56, v84;
	;;#ASMEND
	v_fmac_f32_e32 v83, v53, v55
	v_fmac_f32_e32 v60, v54, v56
	ds_read_b128 v[53:56], v70 offset:48
	s_waitcnt vmcnt(12)
	v_lshrrev_b32_e32 v85, 16, v49
	v_and_b32_e32 v49, 0xffff, v49
	v_fmac_f32_e32 v80, v88, v89
	s_waitcnt lgkmcnt(0)
	v_lshrrev_b32_e32 v84, 16, v53
	v_and_b32_e32 v53, 0xffff, v53
	;;#ASMSTART
	v_cvt_f32_f16 v53, v53;
	;;#ASMEND
	;;#ASMSTART
	v_cvt_f32_f16 v84, v84;
	;;#ASMEND
	;; [unrolled: 3-line block ×3, first 2 shown]
	v_fmac_f32_e32 v57, v53, v49
	v_lshrrev_b32_e32 v53, 16, v54
	v_and_b32_e32 v49, 0xffff, v54
	v_lshrrev_b32_e32 v54, 16, v50
	v_and_b32_e32 v50, 0xffff, v50
	;;#ASMSTART
	v_cvt_f32_f16 v85, v85;
	;;#ASMEND
	;;#ASMSTART
	v_cvt_f32_f16 v49, v49;
	;;#ASMEND
	;; [unrolled: 3-line block ×5, first 2 shown]
	v_fmac_f32_e32 v81, v49, v50
	v_fmac_f32_e32 v58, v53, v54
	v_lshrrev_b32_e32 v50, 16, v55
	v_and_b32_e32 v49, 0xffff, v55
	v_lshrrev_b32_e32 v53, 16, v51
	v_and_b32_e32 v51, 0xffff, v51
	;;#ASMSTART
	v_cvt_f32_f16 v49, v49;
	;;#ASMEND
	;;#ASMSTART
	v_cvt_f32_f16 v50, v50;
	;;#ASMEND
	;; [unrolled: 3-line block ×4, first 2 shown]
	v_fmac_f32_e32 v82, v49, v51
	v_fmac_f32_e32 v59, v50, v53
	v_lshrrev_b32_e32 v50, 16, v56
	v_and_b32_e32 v49, 0xffff, v56
	v_and_b32_e32 v51, 0xffff, v52
	;;#ASMSTART
	v_cvt_f32_f16 v49, v49;
	;;#ASMEND
	;;#ASMSTART
	v_cvt_f32_f16 v50, v50;
	;;#ASMEND
	v_lshrrev_b32_e32 v53, 16, v52
	;;#ASMSTART
	v_cvt_f32_f16 v51, v51;
	;;#ASMEND
	;;#ASMSTART
	v_cvt_f32_f16 v52, v53;
	;;#ASMEND
	v_fmac_f32_e32 v83, v49, v51
	v_fmac_f32_e32 v60, v50, v52
	ds_read_b128 v[49:52], v70 offset:64
	s_waitcnt vmcnt(11)
	v_lshrrev_b32_e32 v54, 16, v45
	v_and_b32_e32 v45, 0xffff, v45
	v_fmac_f32_e32 v80, v84, v85
	s_waitcnt lgkmcnt(0)
	v_lshrrev_b32_e32 v53, 16, v49
	v_and_b32_e32 v49, 0xffff, v49
	;;#ASMSTART
	v_cvt_f32_f16 v49, v49;
	;;#ASMEND
	;;#ASMSTART
	v_cvt_f32_f16 v53, v53;
	;;#ASMEND
	;; [unrolled: 3-line block ×3, first 2 shown]
	v_fmac_f32_e32 v57, v49, v45
	v_lshrrev_b32_e32 v49, 16, v50
	v_and_b32_e32 v45, 0xffff, v50
	v_lshrrev_b32_e32 v50, 16, v46
	v_and_b32_e32 v46, 0xffff, v46
	;;#ASMSTART
	v_cvt_f32_f16 v54, v54;
	;;#ASMEND
	;;#ASMSTART
	v_cvt_f32_f16 v45, v45;
	;;#ASMEND
	;; [unrolled: 3-line block ×5, first 2 shown]
	v_fmac_f32_e32 v81, v45, v46
	v_fmac_f32_e32 v58, v49, v50
	v_lshrrev_b32_e32 v46, 16, v51
	v_and_b32_e32 v45, 0xffff, v51
	v_lshrrev_b32_e32 v49, 16, v47
	v_and_b32_e32 v47, 0xffff, v47
	;;#ASMSTART
	v_cvt_f32_f16 v45, v45;
	;;#ASMEND
	;;#ASMSTART
	v_cvt_f32_f16 v46, v46;
	;;#ASMEND
	;; [unrolled: 3-line block ×4, first 2 shown]
	v_fmac_f32_e32 v82, v45, v47
	v_fmac_f32_e32 v59, v46, v49
	v_lshrrev_b32_e32 v46, 16, v52
	v_and_b32_e32 v45, 0xffff, v52
	v_and_b32_e32 v47, 0xffff, v48
	;;#ASMSTART
	v_cvt_f32_f16 v45, v45;
	;;#ASMEND
	;;#ASMSTART
	v_cvt_f32_f16 v46, v46;
	;;#ASMEND
	v_lshrrev_b32_e32 v49, 16, v48
	;;#ASMSTART
	v_cvt_f32_f16 v47, v47;
	;;#ASMEND
	;;#ASMSTART
	v_cvt_f32_f16 v48, v49;
	;;#ASMEND
	v_fmac_f32_e32 v83, v45, v47
	v_fmac_f32_e32 v60, v46, v48
	ds_read_b128 v[45:48], v70 offset:80
	s_waitcnt vmcnt(10)
	v_lshrrev_b32_e32 v50, 16, v41
	v_and_b32_e32 v41, 0xffff, v41
	v_fmac_f32_e32 v80, v53, v54
	s_waitcnt lgkmcnt(0)
	v_lshrrev_b32_e32 v49, 16, v45
	v_and_b32_e32 v45, 0xffff, v45
	;;#ASMSTART
	v_cvt_f32_f16 v45, v45;
	;;#ASMEND
	;;#ASMSTART
	v_cvt_f32_f16 v49, v49;
	;;#ASMEND
	;;#ASMSTART
	v_cvt_f32_f16 v41, v41;
	;;#ASMEND
	v_fmac_f32_e32 v57, v45, v41
	v_lshrrev_b32_e32 v45, 16, v46
	v_and_b32_e32 v41, 0xffff, v46
	v_lshrrev_b32_e32 v46, 16, v42
	v_and_b32_e32 v42, 0xffff, v42
	;;#ASMSTART
	v_cvt_f32_f16 v50, v50;
	;;#ASMEND
	;;#ASMSTART
	v_cvt_f32_f16 v41, v41;
	;;#ASMEND
	;; [unrolled: 3-line block ×5, first 2 shown]
	v_fmac_f32_e32 v81, v41, v42
	v_fmac_f32_e32 v58, v45, v46
	v_lshrrev_b32_e32 v42, 16, v47
	v_and_b32_e32 v41, 0xffff, v47
	v_lshrrev_b32_e32 v45, 16, v43
	v_and_b32_e32 v43, 0xffff, v43
	;;#ASMSTART
	v_cvt_f32_f16 v41, v41;
	;;#ASMEND
	;;#ASMSTART
	v_cvt_f32_f16 v42, v42;
	;;#ASMEND
	;; [unrolled: 3-line block ×4, first 2 shown]
	v_fmac_f32_e32 v82, v41, v43
	v_fmac_f32_e32 v59, v42, v45
	v_lshrrev_b32_e32 v42, 16, v48
	v_and_b32_e32 v41, 0xffff, v48
	v_and_b32_e32 v43, 0xffff, v44
	;;#ASMSTART
	v_cvt_f32_f16 v41, v41;
	;;#ASMEND
	;;#ASMSTART
	v_cvt_f32_f16 v42, v42;
	;;#ASMEND
	v_lshrrev_b32_e32 v45, 16, v44
	;;#ASMSTART
	v_cvt_f32_f16 v43, v43;
	;;#ASMEND
	;;#ASMSTART
	v_cvt_f32_f16 v44, v45;
	;;#ASMEND
	v_fmac_f32_e32 v83, v41, v43
	v_fmac_f32_e32 v60, v42, v44
	ds_read_b128 v[41:44], v70 offset:96
	s_waitcnt vmcnt(9)
	v_lshrrev_b32_e32 v46, 16, v37
	v_and_b32_e32 v37, 0xffff, v37
	v_fmac_f32_e32 v80, v49, v50
	s_waitcnt lgkmcnt(0)
	v_lshrrev_b32_e32 v45, 16, v41
	v_and_b32_e32 v41, 0xffff, v41
	;;#ASMSTART
	v_cvt_f32_f16 v41, v41;
	;;#ASMEND
	;;#ASMSTART
	v_cvt_f32_f16 v45, v45;
	;;#ASMEND
	;; [unrolled: 3-line block ×3, first 2 shown]
	v_fmac_f32_e32 v57, v41, v37
	v_lshrrev_b32_e32 v41, 16, v42
	v_and_b32_e32 v37, 0xffff, v42
	v_lshrrev_b32_e32 v42, 16, v38
	v_and_b32_e32 v38, 0xffff, v38
	;;#ASMSTART
	v_cvt_f32_f16 v46, v46;
	;;#ASMEND
	;;#ASMSTART
	v_cvt_f32_f16 v37, v37;
	;;#ASMEND
	;; [unrolled: 3-line block ×5, first 2 shown]
	v_fmac_f32_e32 v81, v37, v38
	v_fmac_f32_e32 v58, v41, v42
	v_lshrrev_b32_e32 v38, 16, v43
	v_and_b32_e32 v37, 0xffff, v43
	v_lshrrev_b32_e32 v41, 16, v39
	v_and_b32_e32 v39, 0xffff, v39
	;;#ASMSTART
	v_cvt_f32_f16 v37, v37;
	;;#ASMEND
	;;#ASMSTART
	v_cvt_f32_f16 v38, v38;
	;;#ASMEND
	;; [unrolled: 3-line block ×4, first 2 shown]
	v_fmac_f32_e32 v82, v37, v39
	v_fmac_f32_e32 v59, v38, v41
	v_lshrrev_b32_e32 v38, 16, v44
	v_and_b32_e32 v37, 0xffff, v44
	v_and_b32_e32 v39, 0xffff, v40
	;;#ASMSTART
	v_cvt_f32_f16 v37, v37;
	;;#ASMEND
	;;#ASMSTART
	v_cvt_f32_f16 v38, v38;
	;;#ASMEND
	v_lshrrev_b32_e32 v41, 16, v40
	;;#ASMSTART
	v_cvt_f32_f16 v39, v39;
	;;#ASMEND
	;;#ASMSTART
	v_cvt_f32_f16 v40, v41;
	;;#ASMEND
	v_fmac_f32_e32 v83, v37, v39
	v_fmac_f32_e32 v60, v38, v40
	ds_read_b128 v[37:40], v70 offset:112
	s_waitcnt vmcnt(8)
	v_lshrrev_b32_e32 v42, 16, v33
	v_and_b32_e32 v33, 0xffff, v33
	v_fmac_f32_e32 v80, v45, v46
	s_waitcnt lgkmcnt(0)
	v_lshrrev_b32_e32 v41, 16, v37
	v_and_b32_e32 v37, 0xffff, v37
	;;#ASMSTART
	v_cvt_f32_f16 v37, v37;
	;;#ASMEND
	;;#ASMSTART
	v_cvt_f32_f16 v41, v41;
	;;#ASMEND
	;; [unrolled: 3-line block ×3, first 2 shown]
	v_fmac_f32_e32 v57, v37, v33
	v_lshrrev_b32_e32 v37, 16, v38
	v_and_b32_e32 v33, 0xffff, v38
	v_lshrrev_b32_e32 v38, 16, v34
	v_and_b32_e32 v34, 0xffff, v34
	;;#ASMSTART
	v_cvt_f32_f16 v42, v42;
	;;#ASMEND
	;;#ASMSTART
	v_cvt_f32_f16 v33, v33;
	;;#ASMEND
	;; [unrolled: 3-line block ×5, first 2 shown]
	v_fmac_f32_e32 v81, v33, v34
	v_fmac_f32_e32 v58, v37, v38
	v_lshrrev_b32_e32 v34, 16, v39
	v_and_b32_e32 v33, 0xffff, v39
	v_lshrrev_b32_e32 v37, 16, v35
	v_and_b32_e32 v35, 0xffff, v35
	;;#ASMSTART
	v_cvt_f32_f16 v33, v33;
	;;#ASMEND
	;;#ASMSTART
	v_cvt_f32_f16 v34, v34;
	;;#ASMEND
	;; [unrolled: 3-line block ×4, first 2 shown]
	v_fmac_f32_e32 v82, v33, v35
	v_fmac_f32_e32 v59, v34, v37
	v_lshrrev_b32_e32 v34, 16, v40
	v_and_b32_e32 v33, 0xffff, v40
	v_and_b32_e32 v35, 0xffff, v36
	;;#ASMSTART
	v_cvt_f32_f16 v33, v33;
	;;#ASMEND
	;;#ASMSTART
	v_cvt_f32_f16 v34, v34;
	;;#ASMEND
	v_lshrrev_b32_e32 v37, 16, v36
	;;#ASMSTART
	v_cvt_f32_f16 v35, v35;
	;;#ASMEND
	;;#ASMSTART
	v_cvt_f32_f16 v36, v37;
	;;#ASMEND
	v_fmac_f32_e32 v83, v33, v35
	v_fmac_f32_e32 v60, v34, v36
	ds_read_b128 v[33:36], v70 offset:128
	s_waitcnt vmcnt(7)
	v_lshrrev_b32_e32 v38, 16, v29
	v_and_b32_e32 v29, 0xffff, v29
	v_fmac_f32_e32 v80, v41, v42
	s_waitcnt lgkmcnt(0)
	v_lshrrev_b32_e32 v37, 16, v33
	v_and_b32_e32 v33, 0xffff, v33
	;;#ASMSTART
	v_cvt_f32_f16 v33, v33;
	;;#ASMEND
	;;#ASMSTART
	v_cvt_f32_f16 v37, v37;
	;;#ASMEND
	;; [unrolled: 3-line block ×3, first 2 shown]
	v_fmac_f32_e32 v57, v33, v29
	v_lshrrev_b32_e32 v33, 16, v34
	v_and_b32_e32 v29, 0xffff, v34
	v_lshrrev_b32_e32 v34, 16, v30
	v_and_b32_e32 v30, 0xffff, v30
	;;#ASMSTART
	v_cvt_f32_f16 v38, v38;
	;;#ASMEND
	;;#ASMSTART
	v_cvt_f32_f16 v29, v29;
	;;#ASMEND
	;; [unrolled: 3-line block ×5, first 2 shown]
	v_fmac_f32_e32 v81, v29, v30
	v_fmac_f32_e32 v58, v33, v34
	v_lshrrev_b32_e32 v30, 16, v35
	v_and_b32_e32 v29, 0xffff, v35
	v_lshrrev_b32_e32 v33, 16, v31
	v_and_b32_e32 v31, 0xffff, v31
	;;#ASMSTART
	v_cvt_f32_f16 v29, v29;
	;;#ASMEND
	;;#ASMSTART
	v_cvt_f32_f16 v30, v30;
	;;#ASMEND
	;; [unrolled: 3-line block ×4, first 2 shown]
	v_fmac_f32_e32 v82, v29, v31
	v_fmac_f32_e32 v59, v30, v33
	v_lshrrev_b32_e32 v30, 16, v36
	v_and_b32_e32 v29, 0xffff, v36
	v_and_b32_e32 v31, 0xffff, v32
	;;#ASMSTART
	v_cvt_f32_f16 v29, v29;
	;;#ASMEND
	;;#ASMSTART
	v_cvt_f32_f16 v30, v30;
	;;#ASMEND
	v_lshrrev_b32_e32 v33, 16, v32
	;;#ASMSTART
	v_cvt_f32_f16 v31, v31;
	;;#ASMEND
	;;#ASMSTART
	v_cvt_f32_f16 v32, v33;
	;;#ASMEND
	v_fmac_f32_e32 v83, v29, v31
	v_fmac_f32_e32 v60, v30, v32
	ds_read_b128 v[29:32], v70 offset:144
	s_waitcnt vmcnt(6)
	v_lshrrev_b32_e32 v34, 16, v25
	v_and_b32_e32 v25, 0xffff, v25
	v_fmac_f32_e32 v80, v37, v38
	s_waitcnt lgkmcnt(0)
	v_lshrrev_b32_e32 v33, 16, v29
	v_and_b32_e32 v29, 0xffff, v29
	;;#ASMSTART
	v_cvt_f32_f16 v29, v29;
	;;#ASMEND
	;;#ASMSTART
	v_cvt_f32_f16 v33, v33;
	;;#ASMEND
	;; [unrolled: 3-line block ×3, first 2 shown]
	v_fmac_f32_e32 v57, v29, v25
	v_lshrrev_b32_e32 v29, 16, v30
	v_and_b32_e32 v25, 0xffff, v30
	v_lshrrev_b32_e32 v30, 16, v26
	v_and_b32_e32 v26, 0xffff, v26
	;;#ASMSTART
	v_cvt_f32_f16 v34, v34;
	;;#ASMEND
	;;#ASMSTART
	v_cvt_f32_f16 v25, v25;
	;;#ASMEND
	;; [unrolled: 3-line block ×5, first 2 shown]
	v_fmac_f32_e32 v81, v25, v26
	v_fmac_f32_e32 v58, v29, v30
	v_lshrrev_b32_e32 v26, 16, v31
	v_and_b32_e32 v25, 0xffff, v31
	v_lshrrev_b32_e32 v29, 16, v27
	v_and_b32_e32 v27, 0xffff, v27
	;;#ASMSTART
	v_cvt_f32_f16 v25, v25;
	;;#ASMEND
	;;#ASMSTART
	v_cvt_f32_f16 v26, v26;
	;;#ASMEND
	;; [unrolled: 3-line block ×4, first 2 shown]
	v_fmac_f32_e32 v82, v25, v27
	v_fmac_f32_e32 v59, v26, v29
	v_lshrrev_b32_e32 v26, 16, v32
	v_and_b32_e32 v25, 0xffff, v32
	v_and_b32_e32 v27, 0xffff, v28
	;;#ASMSTART
	v_cvt_f32_f16 v25, v25;
	;;#ASMEND
	;;#ASMSTART
	v_cvt_f32_f16 v26, v26;
	;;#ASMEND
	v_lshrrev_b32_e32 v29, 16, v28
	;;#ASMSTART
	v_cvt_f32_f16 v27, v27;
	;;#ASMEND
	;;#ASMSTART
	v_cvt_f32_f16 v28, v29;
	;;#ASMEND
	v_fmac_f32_e32 v83, v25, v27
	v_fmac_f32_e32 v60, v26, v28
	ds_read_b128 v[25:28], v70 offset:160
	s_waitcnt vmcnt(5)
	v_lshrrev_b32_e32 v30, 16, v21
	v_and_b32_e32 v21, 0xffff, v21
	v_fmac_f32_e32 v80, v33, v34
	s_waitcnt lgkmcnt(0)
	v_lshrrev_b32_e32 v29, 16, v25
	v_and_b32_e32 v25, 0xffff, v25
	;;#ASMSTART
	v_cvt_f32_f16 v25, v25;
	;;#ASMEND
	;;#ASMSTART
	v_cvt_f32_f16 v29, v29;
	;;#ASMEND
	;; [unrolled: 3-line block ×3, first 2 shown]
	v_fmac_f32_e32 v57, v25, v21
	v_lshrrev_b32_e32 v25, 16, v26
	v_and_b32_e32 v21, 0xffff, v26
	v_lshrrev_b32_e32 v26, 16, v22
	v_and_b32_e32 v22, 0xffff, v22
	;;#ASMSTART
	v_cvt_f32_f16 v30, v30;
	;;#ASMEND
	;;#ASMSTART
	v_cvt_f32_f16 v21, v21;
	;;#ASMEND
	;;#ASMSTART
	v_cvt_f32_f16 v25, v25;
	;;#ASMEND
	;;#ASMSTART
	v_cvt_f32_f16 v22, v22;
	;;#ASMEND
	;;#ASMSTART
	v_cvt_f32_f16 v26, v26;
	;;#ASMEND
	v_fmac_f32_e32 v81, v21, v22
	v_fmac_f32_e32 v58, v25, v26
	v_lshrrev_b32_e32 v22, 16, v27
	v_and_b32_e32 v21, 0xffff, v27
	v_lshrrev_b32_e32 v25, 16, v23
	v_and_b32_e32 v23, 0xffff, v23
	;;#ASMSTART
	v_cvt_f32_f16 v21, v21;
	;;#ASMEND
	;;#ASMSTART
	v_cvt_f32_f16 v22, v22;
	;;#ASMEND
	;; [unrolled: 3-line block ×4, first 2 shown]
	v_fmac_f32_e32 v82, v21, v23
	v_fmac_f32_e32 v59, v22, v25
	v_lshrrev_b32_e32 v22, 16, v28
	v_and_b32_e32 v21, 0xffff, v28
	v_and_b32_e32 v23, 0xffff, v24
	;;#ASMSTART
	v_cvt_f32_f16 v21, v21;
	;;#ASMEND
	;;#ASMSTART
	v_cvt_f32_f16 v22, v22;
	;;#ASMEND
	v_lshrrev_b32_e32 v25, 16, v24
	;;#ASMSTART
	v_cvt_f32_f16 v23, v23;
	;;#ASMEND
	;;#ASMSTART
	v_cvt_f32_f16 v24, v25;
	;;#ASMEND
	v_fmac_f32_e32 v83, v21, v23
	v_fmac_f32_e32 v60, v22, v24
	ds_read_b128 v[21:24], v70 offset:176
	s_waitcnt vmcnt(4)
	v_lshrrev_b32_e32 v26, 16, v17
	v_and_b32_e32 v17, 0xffff, v17
	v_fmac_f32_e32 v80, v29, v30
	s_waitcnt lgkmcnt(0)
	v_lshrrev_b32_e32 v25, 16, v21
	v_and_b32_e32 v21, 0xffff, v21
	;;#ASMSTART
	v_cvt_f32_f16 v21, v21;
	;;#ASMEND
	;;#ASMSTART
	v_cvt_f32_f16 v25, v25;
	;;#ASMEND
	;; [unrolled: 3-line block ×3, first 2 shown]
	v_fmac_f32_e32 v57, v21, v17
	v_lshrrev_b32_e32 v21, 16, v22
	v_and_b32_e32 v17, 0xffff, v22
	v_lshrrev_b32_e32 v22, 16, v18
	v_and_b32_e32 v18, 0xffff, v18
	;;#ASMSTART
	v_cvt_f32_f16 v26, v26;
	;;#ASMEND
	;;#ASMSTART
	v_cvt_f32_f16 v17, v17;
	;;#ASMEND
	;; [unrolled: 3-line block ×5, first 2 shown]
	v_fmac_f32_e32 v81, v17, v18
	v_fmac_f32_e32 v58, v21, v22
	v_lshrrev_b32_e32 v18, 16, v23
	v_and_b32_e32 v17, 0xffff, v23
	v_lshrrev_b32_e32 v21, 16, v19
	v_and_b32_e32 v19, 0xffff, v19
	;;#ASMSTART
	v_cvt_f32_f16 v17, v17;
	;;#ASMEND
	;;#ASMSTART
	v_cvt_f32_f16 v18, v18;
	;;#ASMEND
	;; [unrolled: 3-line block ×4, first 2 shown]
	v_fmac_f32_e32 v82, v17, v19
	v_fmac_f32_e32 v59, v18, v21
	v_lshrrev_b32_e32 v18, 16, v24
	v_and_b32_e32 v17, 0xffff, v24
	v_and_b32_e32 v19, 0xffff, v20
	;;#ASMSTART
	v_cvt_f32_f16 v17, v17;
	;;#ASMEND
	;;#ASMSTART
	v_cvt_f32_f16 v18, v18;
	;;#ASMEND
	v_lshrrev_b32_e32 v21, 16, v20
	;;#ASMSTART
	v_cvt_f32_f16 v19, v19;
	;;#ASMEND
	;;#ASMSTART
	v_cvt_f32_f16 v20, v21;
	;;#ASMEND
	v_fmac_f32_e32 v83, v17, v19
	v_fmac_f32_e32 v60, v18, v20
	ds_read_b128 v[17:20], v70 offset:192
	s_waitcnt vmcnt(3)
	v_lshrrev_b32_e32 v22, 16, v13
	v_and_b32_e32 v13, 0xffff, v13
	v_fmac_f32_e32 v80, v25, v26
	s_waitcnt lgkmcnt(0)
	v_lshrrev_b32_e32 v21, 16, v17
	v_and_b32_e32 v17, 0xffff, v17
	;;#ASMSTART
	v_cvt_f32_f16 v17, v17;
	;;#ASMEND
	;;#ASMSTART
	v_cvt_f32_f16 v21, v21;
	;;#ASMEND
	;; [unrolled: 3-line block ×3, first 2 shown]
	v_fmac_f32_e32 v57, v17, v13
	v_lshrrev_b32_e32 v17, 16, v18
	v_and_b32_e32 v13, 0xffff, v18
	v_lshrrev_b32_e32 v18, 16, v14
	v_and_b32_e32 v14, 0xffff, v14
	;;#ASMSTART
	v_cvt_f32_f16 v22, v22;
	;;#ASMEND
	;;#ASMSTART
	v_cvt_f32_f16 v13, v13;
	;;#ASMEND
	;; [unrolled: 3-line block ×5, first 2 shown]
	v_fmac_f32_e32 v81, v13, v14
	v_fmac_f32_e32 v58, v17, v18
	v_lshrrev_b32_e32 v14, 16, v19
	v_and_b32_e32 v13, 0xffff, v19
	v_lshrrev_b32_e32 v17, 16, v15
	v_and_b32_e32 v15, 0xffff, v15
	;;#ASMSTART
	v_cvt_f32_f16 v13, v13;
	;;#ASMEND
	;;#ASMSTART
	v_cvt_f32_f16 v14, v14;
	;;#ASMEND
	;; [unrolled: 3-line block ×4, first 2 shown]
	v_fmac_f32_e32 v82, v13, v15
	v_fmac_f32_e32 v59, v14, v17
	v_lshrrev_b32_e32 v14, 16, v20
	v_and_b32_e32 v13, 0xffff, v20
	v_and_b32_e32 v15, 0xffff, v16
	;;#ASMSTART
	v_cvt_f32_f16 v13, v13;
	;;#ASMEND
	;;#ASMSTART
	v_cvt_f32_f16 v14, v14;
	;;#ASMEND
	v_lshrrev_b32_e32 v17, 16, v16
	;;#ASMSTART
	v_cvt_f32_f16 v15, v15;
	;;#ASMEND
	;;#ASMSTART
	v_cvt_f32_f16 v16, v17;
	;;#ASMEND
	v_fmac_f32_e32 v83, v13, v15
	v_fmac_f32_e32 v60, v14, v16
	ds_read_b128 v[13:16], v70 offset:208
	s_waitcnt vmcnt(2)
	v_lshrrev_b32_e32 v18, 16, v9
	v_and_b32_e32 v9, 0xffff, v9
	v_fmac_f32_e32 v80, v21, v22
	s_waitcnt lgkmcnt(0)
	v_lshrrev_b32_e32 v17, 16, v13
	v_and_b32_e32 v13, 0xffff, v13
	;;#ASMSTART
	v_cvt_f32_f16 v13, v13;
	;;#ASMEND
	;;#ASMSTART
	v_cvt_f32_f16 v17, v17;
	;;#ASMEND
	;; [unrolled: 3-line block ×3, first 2 shown]
	v_fmac_f32_e32 v57, v13, v9
	v_lshrrev_b32_e32 v13, 16, v14
	v_and_b32_e32 v9, 0xffff, v14
	v_lshrrev_b32_e32 v14, 16, v10
	v_and_b32_e32 v10, 0xffff, v10
	;;#ASMSTART
	v_cvt_f32_f16 v18, v18;
	;;#ASMEND
	;;#ASMSTART
	v_cvt_f32_f16 v9, v9;
	;;#ASMEND
	;; [unrolled: 3-line block ×5, first 2 shown]
	v_fmac_f32_e32 v81, v9, v10
	v_fmac_f32_e32 v58, v13, v14
	v_lshrrev_b32_e32 v10, 16, v15
	v_and_b32_e32 v9, 0xffff, v15
	v_lshrrev_b32_e32 v13, 16, v11
	v_and_b32_e32 v11, 0xffff, v11
	;;#ASMSTART
	v_cvt_f32_f16 v9, v9;
	;;#ASMEND
	;;#ASMSTART
	v_cvt_f32_f16 v10, v10;
	;;#ASMEND
	;; [unrolled: 3-line block ×4, first 2 shown]
	v_fmac_f32_e32 v82, v9, v11
	v_fmac_f32_e32 v59, v10, v13
	v_lshrrev_b32_e32 v10, 16, v16
	v_and_b32_e32 v9, 0xffff, v16
	v_and_b32_e32 v11, 0xffff, v12
	;;#ASMSTART
	v_cvt_f32_f16 v9, v9;
	;;#ASMEND
	;;#ASMSTART
	v_cvt_f32_f16 v10, v10;
	;;#ASMEND
	v_lshrrev_b32_e32 v13, 16, v12
	;;#ASMSTART
	v_cvt_f32_f16 v11, v11;
	;;#ASMEND
	;;#ASMSTART
	v_cvt_f32_f16 v12, v13;
	;;#ASMEND
	v_fmac_f32_e32 v83, v9, v11
	v_fmac_f32_e32 v60, v10, v12
	ds_read_b128 v[9:12], v70 offset:224
	s_waitcnt vmcnt(1)
	v_lshrrev_b32_e32 v14, 16, v5
	v_and_b32_e32 v5, 0xffff, v5
	v_fmac_f32_e32 v80, v17, v18
	s_waitcnt lgkmcnt(0)
	v_lshrrev_b32_e32 v13, 16, v9
	v_and_b32_e32 v9, 0xffff, v9
	;;#ASMSTART
	v_cvt_f32_f16 v9, v9;
	;;#ASMEND
	;;#ASMSTART
	v_cvt_f32_f16 v13, v13;
	;;#ASMEND
	;; [unrolled: 3-line block ×3, first 2 shown]
	v_fmac_f32_e32 v57, v9, v5
	v_lshrrev_b32_e32 v9, 16, v10
	v_and_b32_e32 v5, 0xffff, v10
	v_lshrrev_b32_e32 v10, 16, v6
	v_and_b32_e32 v6, 0xffff, v6
	;;#ASMSTART
	v_cvt_f32_f16 v14, v14;
	;;#ASMEND
	;;#ASMSTART
	v_cvt_f32_f16 v5, v5;
	;;#ASMEND
	;;#ASMSTART
	v_cvt_f32_f16 v9, v9;
	;;#ASMEND
	;;#ASMSTART
	v_cvt_f32_f16 v6, v6;
	;;#ASMEND
	;;#ASMSTART
	v_cvt_f32_f16 v10, v10;
	;;#ASMEND
	v_fmac_f32_e32 v81, v5, v6
	v_fmac_f32_e32 v58, v9, v10
	v_lshrrev_b32_e32 v6, 16, v11
	v_and_b32_e32 v5, 0xffff, v11
	v_lshrrev_b32_e32 v9, 16, v7
	v_and_b32_e32 v7, 0xffff, v7
	;;#ASMSTART
	v_cvt_f32_f16 v5, v5;
	;;#ASMEND
	;;#ASMSTART
	v_cvt_f32_f16 v6, v6;
	;;#ASMEND
	;; [unrolled: 3-line block ×4, first 2 shown]
	v_fmac_f32_e32 v82, v5, v7
	v_fmac_f32_e32 v59, v6, v9
	v_lshrrev_b32_e32 v6, 16, v12
	v_and_b32_e32 v5, 0xffff, v12
	v_and_b32_e32 v7, 0xffff, v8
	;;#ASMSTART
	v_cvt_f32_f16 v5, v5;
	;;#ASMEND
	;;#ASMSTART
	v_cvt_f32_f16 v6, v6;
	;;#ASMEND
	v_lshrrev_b32_e32 v9, 16, v8
	;;#ASMSTART
	v_cvt_f32_f16 v7, v7;
	;;#ASMEND
	;;#ASMSTART
	v_cvt_f32_f16 v8, v9;
	;;#ASMEND
	v_fmac_f32_e32 v83, v5, v7
	v_fmac_f32_e32 v60, v6, v8
	ds_read_b128 v[5:8], v70 offset:240
	v_fmac_f32_e32 v80, v13, v14
	s_waitcnt vmcnt(0)
	v_lshrrev_b32_e32 v10, 16, v1
	v_and_b32_e32 v1, 0xffff, v1
	s_waitcnt lgkmcnt(0)
	v_lshrrev_b32_e32 v9, 16, v5
	v_and_b32_e32 v5, 0xffff, v5
	;;#ASMSTART
	v_cvt_f32_f16 v5, v5;
	;;#ASMEND
	;;#ASMSTART
	v_cvt_f32_f16 v9, v9;
	;;#ASMEND
	;; [unrolled: 3-line block ×3, first 2 shown]
	v_fmac_f32_e32 v57, v5, v1
	v_and_b32_e32 v1, 0xffff, v6
	;;#ASMSTART
	v_cvt_f32_f16 v10, v10;
	;;#ASMEND
	v_fmac_f32_e32 v80, v9, v10
	v_lshrrev_b32_e32 v5, 16, v6
	;;#ASMSTART
	v_cvt_f32_f16 v1, v1;
	;;#ASMEND
	v_lshrrev_b32_e32 v6, 16, v2
	v_and_b32_e32 v2, 0xffff, v2
	;;#ASMSTART
	v_cvt_f32_f16 v5, v5;
	;;#ASMEND
	;;#ASMSTART
	v_cvt_f32_f16 v2, v2;
	;;#ASMEND
	v_fmac_f32_e32 v81, v1, v2
	v_and_b32_e32 v1, 0xffff, v7
	;;#ASMSTART
	v_cvt_f32_f16 v6, v6;
	;;#ASMEND
	v_fmac_f32_e32 v58, v5, v6
	v_lshrrev_b32_e32 v2, 16, v7
	;;#ASMSTART
	v_cvt_f32_f16 v1, v1;
	;;#ASMEND
	v_lshrrev_b32_e32 v5, 16, v3
	v_and_b32_e32 v3, 0xffff, v3
	;;#ASMSTART
	v_cvt_f32_f16 v2, v2;
	;;#ASMEND
	;;#ASMSTART
	v_cvt_f32_f16 v3, v3;
	;;#ASMEND
	v_fmac_f32_e32 v82, v1, v3
	v_and_b32_e32 v1, 0xffff, v8
	;;#ASMSTART
	v_cvt_f32_f16 v5, v5;
	;;#ASMEND
	v_fmac_f32_e32 v59, v2, v5
	v_lshrrev_b32_e32 v2, 16, v8
	;;#ASMSTART
	v_cvt_f32_f16 v1, v1;
	;;#ASMEND
	v_and_b32_e32 v3, 0xffff, v4
	;;#ASMSTART
	v_cvt_f32_f16 v2, v2;
	;;#ASMEND
	;;#ASMSTART
	v_cvt_f32_f16 v3, v3;
	;;#ASMEND
	v_fmac_f32_e32 v83, v1, v3
	v_add_f32_e32 v1, v57, v80
	v_lshrrev_b32_e32 v5, 16, v4
	;;#ASMSTART
	v_cvt_f32_f16 v4, v5;
	;;#ASMEND
	v_fmac_f32_e32 v60, v2, v4
	v_add_f32_e32 v1, v1, v81
	v_add_f32_e32 v1, v58, v1
	;; [unrolled: 1-line block ×6, first 2 shown]
	v_fmac_f32_e32 v79, s3, v1
	v_cndmask_b32_e64 v1, 0, v79, s1
	ds_write_b32 v74, v1
	v_max_f32_e32 v1, v69, v69
	v_max_f32_e32 v1, v1, v79
	v_cndmask_b32_e64 v69, v69, v1, s1
	s_branch .LBB96_10
.LBB96_15:
	s_or_b32 exec_lo, exec_lo, s15
.LBB96_16:
	s_or_b32 exec_lo, exec_lo, s33
	v_mbcnt_lo_u32_b32 v2, -1, 0
	v_max_f32_e32 v5, v69, v69
	v_xor_b32_e32 v1, 16, v2
	v_xor_b32_e32 v4, 8, v2
	v_cmp_gt_i32_e32 vcc_lo, 32, v1
	v_cndmask_b32_e32 v1, v2, v1, vcc_lo
	v_cmp_gt_i32_e32 vcc_lo, 32, v4
	v_lshlrev_b32_e32 v1, 2, v1
	v_cndmask_b32_e32 v4, v2, v4, vcc_lo
	ds_bpermute_b32 v3, v1, v69
	s_waitcnt lgkmcnt(0)
	v_max_f32_e32 v6, v3, v3
	v_lshlrev_b32_e32 v3, 2, v4
	v_max_f32_e32 v5, v5, v6
	v_xor_b32_e32 v6, 4, v2
	ds_bpermute_b32 v4, v3, v5
	v_cmp_gt_i32_e32 vcc_lo, 32, v6
	v_cndmask_b32_e32 v6, v2, v6, vcc_lo
	s_waitcnt lgkmcnt(0)
	v_max_f32_e32 v7, v4, v4
	v_lshlrev_b32_e32 v4, 2, v6
	v_max_f32_e32 v5, v5, v7
	v_xor_b32_e32 v7, 2, v2
	ds_bpermute_b32 v6, v4, v5
	v_cmp_gt_i32_e32 vcc_lo, 32, v7
	v_cndmask_b32_e32 v7, v2, v7, vcc_lo
	v_lshlrev_b32_e32 v12, 2, v7
	v_xor_b32_e32 v7, 1, v2
	v_cmp_gt_i32_e32 vcc_lo, 32, v7
	s_waitcnt lgkmcnt(0)
	v_max_f32_e32 v6, v6, v6
	v_cndmask_b32_e32 v7, v2, v7, vcc_lo
	v_cmp_eq_u32_e32 vcc_lo, 0, v64
	v_max_f32_e32 v5, v5, v6
	v_lshlrev_b32_e32 v11, 2, v7
	ds_bpermute_b32 v6, v12, v5
	s_waitcnt lgkmcnt(0)
	v_max_f32_e32 v6, v6, v6
	v_max_f32_e32 v2, v5, v6
	v_lshlrev_b32_e32 v5, 2, v63
	ds_bpermute_b32 v6, v11, v2
	s_and_saveexec_b32 s1, vcc_lo
	s_cbranch_execz .LBB96_18
; %bb.17:
	s_waitcnt lgkmcnt(0)
	v_max_f32_e32 v6, v6, v6
	v_max_f32_e32 v2, v2, v2
	;; [unrolled: 1-line block ×3, first 2 shown]
	ds_write_b32 v5, v2 offset:256
.LBB96_18:
	s_or_b32 exec_lo, exec_lo, s1
	v_cmp_gt_u32_e64 s1, 4, v64
	v_mov_b32_e32 v2, 0xff7fffff
	s_waitcnt lgkmcnt(0)
	s_barrier
	buffer_gl0_inv
	s_and_saveexec_b32 s2, s1
; %bb.19:
	ds_read_b32 v2, v68 offset:256
; %bb.20:
	s_or_b32 exec_lo, exec_lo, s2
	s_waitcnt lgkmcnt(0)
	ds_bpermute_b32 v6, v12, v2
	v_max_f32_e32 v2, v2, v2
	s_lshl_b32 s2, s16, 5
	s_min_i32 s4, s2, s28
	v_cmp_gt_i32_e64 s2, s4, v0
	s_waitcnt lgkmcnt(0)
	v_max_f32_e32 v6, v6, v6
	v_max_f32_e32 v2, v2, v6
	ds_bpermute_b32 v6, v11, v2
	s_waitcnt lgkmcnt(0)
	v_max_f32_e32 v6, v6, v6
	v_max_f32_e32 v2, v2, v6
	v_mov_b32_e32 v6, 0
	ds_bpermute_b32 v7, v6, v2
	v_lshl_add_u32 v2, v0, 2, 0x120
	s_and_saveexec_b32 s5, s2
	s_cbranch_execz .LBB96_24
; %bb.21:
	v_lshl_add_u32 v8, v0, 2, 0x120
	v_mov_b32_e32 v6, 0
	v_mov_b32_e32 v9, v0
	s_mov_b32 s15, 0
	.p2align	6
.LBB96_22:                              ; =>This Inner Loop Header: Depth=1
	ds_read_b32 v10, v8
	v_add_nc_u32_e32 v9, 0x80, v9
	v_cmp_le_i32_e64 s3, s4, v9
	s_or_b32 s15, s3, s15
	s_waitcnt lgkmcnt(0)
	v_sub_f32_e32 v10, v10, v7
	v_mul_f32_e32 v10, 0x3fb8aa3b, v10
	v_exp_f32_e32 v10, v10
	ds_write_b32 v8, v10
	v_add_f32_e32 v6, v6, v10
	v_add_nc_u32_e32 v8, 0x200, v8
	s_andn2_b32 exec_lo, exec_lo, s15
	s_cbranch_execnz .LBB96_22
; %bb.23:
	s_or_b32 exec_lo, exec_lo, s15
.LBB96_24:
	s_or_b32 exec_lo, exec_lo, s5
	ds_bpermute_b32 v1, v1, v6
	s_waitcnt lgkmcnt(0)
	v_add_f32_e32 v1, v6, v1
	ds_bpermute_b32 v3, v3, v1
	s_waitcnt lgkmcnt(0)
	v_add_f32_e32 v1, v1, v3
	;; [unrolled: 3-line block ×5, first 2 shown]
	s_and_saveexec_b32 s3, vcc_lo
; %bb.25:
	ds_write_b32 v5, v1 offset:272
; %bb.26:
	s_or_b32 exec_lo, exec_lo, s3
	s_waitcnt lgkmcnt(0)
	s_barrier
	buffer_gl0_inv
	s_and_saveexec_b32 s3, s1
; %bb.27:
	ds_read_b32 v1, v68 offset:272
; %bb.28:
	s_or_b32 exec_lo, exec_lo, s3
	s_waitcnt lgkmcnt(0)
	ds_bpermute_b32 v3, v12, v1
	s_waitcnt lgkmcnt(0)
	v_add_f32_e32 v1, v1, v3
	ds_bpermute_b32 v3, v11, v1
	s_waitcnt lgkmcnt(0)
	v_add_f32_e32 v1, v1, v3
	v_mov_b32_e32 v3, 0
	ds_bpermute_b32 v1, v3, v1
	s_and_saveexec_b32 s1, s2
	s_cbranch_execz .LBB96_31
; %bb.29:
	s_waitcnt lgkmcnt(0)
	v_add_f32_e32 v1, 0x358637bd, v1
	s_mov_b32 s2, 0
	v_div_scale_f32 v3, null, v1, v1, 1.0
	v_div_scale_f32 v6, vcc_lo, 1.0, v1, 1.0
	v_rcp_f32_e32 v4, v3
	v_fma_f32 v5, -v3, v4, 1.0
	v_fmac_f32_e32 v4, v5, v4
	v_mul_f32_e32 v5, v6, v4
	v_fma_f32 v7, -v3, v5, v6
	v_fmac_f32_e32 v5, v7, v4
	v_fma_f32 v3, -v3, v5, v6
	v_div_fmas_f32 v3, v3, v4, v5
	v_div_fixup_f32 v1, v3, v1, 1.0
	v_mov_b32_e32 v3, v0
.LBB96_30:                              ; =>This Inner Loop Header: Depth=1
	ds_read_b32 v4, v2
	v_add_nc_u32_e32 v3, 0x80, v3
	v_cmp_le_i32_e32 vcc_lo, s4, v3
	s_or_b32 s2, vcc_lo, s2
	s_waitcnt lgkmcnt(0)
	v_mul_f32_e32 v4, v1, v4
	ds_write_b32 v2, v4
	v_add_nc_u32_e32 v2, 0x200, v2
	s_andn2_b32 exec_lo, exec_lo, s2
	s_cbranch_execnz .LBB96_30
.LBB96_31:
	s_or_b32 exec_lo, exec_lo, s1
	v_mov_b32_e32 v29, 0
	v_and_b32_e32 v13, 3, v0
	v_mov_b32_e32 v28, 0
	v_mov_b32_e32 v27, 0
	;; [unrolled: 1-line block ×15, first 2 shown]
	s_waitcnt lgkmcnt(0)
	s_barrier
	buffer_gl0_inv
	s_and_saveexec_b32 s2, s0
	s_cbranch_execz .LBB96_69
; %bb.32:
	s_ashr_i32 s15, s14, 31
	s_sub_i32 s3, s30, s17
	s_lshl_b64 s[0:1], s[14:15], 1
	v_lshlrev_b32_e32 v1, 3, v0
	s_add_u32 s14, s26, s0
	s_addc_u32 s15, s27, s1
	s_abs_i32 s4, s18
	v_lshlrev_b32_e32 v5, 5, v13
	v_cvt_f32_u32_e32 v2, s4
	s_sub_i32 s0, 0, s4
	v_and_b32_e32 v31, 24, v1
	v_and_b32_e32 v3, 0x1f0, v66
	;; [unrolled: 1-line block ×3, first 2 shown]
	v_rcp_iflag_f32_e32 v2, v2
	v_lshl_or_b32 v5, v63, 7, v5
	s_add_i32 s5, s16, -1
	v_add_co_u32 v32, s14, s14, v3
	v_mov_b32_e32 v30, 0
	v_add_nc_u32_e32 v34, 0x120, v5
	v_mov_b32_e32 v14, 0
	v_mov_b32_e32 v15, 0
	;; [unrolled: 1-line block ×3, first 2 shown]
	v_mul_f32_e32 v2, 0x4f7ffffe, v2
	v_mov_b32_e32 v17, 0
	v_mov_b32_e32 v18, 0
	;; [unrolled: 1-line block ×4, first 2 shown]
	v_cvt_u32_f32_e32 v2, v2
	v_mov_b32_e32 v21, 0
	v_mov_b32_e32 v22, 0
	;; [unrolled: 1-line block ×4, first 2 shown]
	v_mul_lo_u32 v1, s0, v2
	s_lshl_b64 s[0:1], s[24:25], 2
	v_mov_b32_e32 v25, 0
	s_add_u32 s0, s22, s0
	s_addc_u32 s1, s23, s1
	v_add_co_u32 v5, s0, s0, v4
	v_mov_b32_e32 v26, 0
	v_mul_hi_u32 v1, v2, v1
	v_mov_b32_e32 v27, 0
	v_mov_b32_e32 v28, 0
	v_add_co_ci_u32_e64 v33, null, s15, 0, s14
	v_add_co_ci_u32_e64 v6, null, s1, 0, s0
	v_mov_b32_e32 v29, 0
	v_add_nc_u32_e32 v35, v2, v1
	v_mov_b32_e32 v36, v63
	s_mov_b32 s14, s13
	s_mov_b32 s13, 0
	s_branch .LBB96_35
.LBB96_33:                              ;   in Loop: Header=BB96_35 Depth=1
	s_or_b32 exec_lo, exec_lo, s1
	v_add_f32_e32 v9, v9, v10
	v_add_f32_e32 v10, v70, v71
	;; [unrolled: 1-line block ×3, first 2 shown]
	v_lshlrev_b32_e32 v8, 16, v8
	v_lshlrev_b32_e32 v7, 16, v7
	v_add_f32_e32 v38, v76, v77
	v_add_f32_e32 v20, v20, v10
	v_lshlrev_b32_e32 v10, 16, v78
	v_add_f32_e32 v44, v74, v75
	v_add_f32_e32 v15, v15, v37
	;; [unrolled: 1-line block ×4, first 2 shown]
	v_and_or_b32 v1, 0xffff, v1, v10
	v_add_f32_e32 v37, v68, v69
	v_and_or_b32 v2, 0xffff, v2, v8
	v_and_or_b32 v3, 0xffff, v3, v7
	;;#ASMSTART
	v_pk_mul_f16 v1, v40, v1;

	;;#ASMEND
	;;#ASMSTART
	v_pk_mul_f16 v2, v39, v2;

	;;#ASMEND
	;; [unrolled: 4-line block ×4, first 2 shown]
	;;#ASMSTART
	v_pk_add_f16 v1, v1, v2;

	;;#ASMEND
	;;#ASMSTART
	v_pk_add_f16 v1, v1, v3;

	;;#ASMEND
	;; [unrolled: 4-line block ×3, first 2 shown]
	v_and_b32_e32 v4, 0xffff, v1
	v_lshrrev_b32_e32 v8, 16, v1
	;;#ASMSTART
	v_cvt_f32_f16 v4, v4;
	;;#ASMEND
	v_add_f32_e32 v16, v16, v38
	v_add_f32_e32 v17, v17, v44
	;; [unrolled: 1-line block ×12, first 2 shown]
	;;#ASMSTART
	v_cvt_f32_f16 v8, v8;
	;;#ASMEND
	v_add_f32_e32 v4, v4, v8
	v_add_f32_e32 v22, v22, v38
	;; [unrolled: 1-line block ×10, first 2 shown]
.LBB96_34:                              ;   in Loop: Header=BB96_35 Depth=1
	s_or_b32 exec_lo, exec_lo, s15
	v_add_nc_u32_e32 v36, 4, v36
	v_add_co_u32 v5, s0, v5, 16
	v_add_co_ci_u32_e64 v6, null, 0, v6, s0
	v_cmp_le_i32_e32 vcc_lo, s16, v36
	v_add_nc_u32_e32 v65, 0x80, v65
	v_add_nc_u32_e32 v34, 0x200, v34
	s_or_b32 s13, vcc_lo, s13
	s_andn2_b32 exec_lo, exec_lo, s13
	s_cbranch_execz .LBB96_68
.LBB96_35:                              ; =>This Inner Loop Header: Depth=1
	v_mul_hi_u32 v1, v65, s21
	v_mul_lo_u32 v2, v1, s12
	v_add_nc_u32_e32 v3, 1, v1
	v_sub_nc_u32_e32 v2, v65, v2
	v_subrev_nc_u32_e32 v4, s12, v2
	v_cmp_le_u32_e32 vcc_lo, s12, v2
	v_cndmask_b32_e32 v1, v1, v3, vcc_lo
	v_cndmask_b32_e32 v2, v2, v4, vcc_lo
	v_add_nc_u32_e32 v3, 1, v1
	v_cmp_le_u32_e32 vcc_lo, s12, v2
	v_cndmask_b32_e32 v1, v1, v3, vcc_lo
	v_xor_b32_e32 v1, s19, v1
	v_subrev_nc_u32_e32 v1, s19, v1
	v_add_nc_u32_e32 v2, s29, v1
	v_cmp_lt_i32_e64 s0, s3, v1
	v_sub_nc_u32_e32 v3, 0, v2
	v_max_i32_e32 v3, v2, v3
	v_ashrrev_i32_e32 v2, 31, v2
	v_mul_hi_u32 v4, v3, v35
	v_mul_lo_u32 v4, v4, s4
	v_sub_nc_u32_e32 v3, v3, v4
	v_subrev_nc_u32_e32 v4, s4, v3
	v_cmp_le_u32_e32 vcc_lo, s4, v3
	v_cndmask_b32_e32 v3, v3, v4, vcc_lo
	v_subrev_nc_u32_e32 v4, s4, v3
	v_cmp_le_u32_e32 vcc_lo, s4, v3
	v_cndmask_b32_e32 v3, v3, v4, vcc_lo
	v_xor_b32_e32 v3, v3, v2
	v_sub_nc_u32_e32 v2, v3, v2
	v_cmp_eq_u32_e32 vcc_lo, 0, v2
	s_or_b32 s0, vcc_lo, s0
	s_and_saveexec_b32 s15, s0
	s_cbranch_execz .LBB96_34
; %bb.36:                               ;   in Loop: Header=BB96_35 Depth=1
	global_load_dword v7, v[5:6], off
	ds_read2_b64 v[1:4], v34 offset1:1
	ds_read2_b64 v[45:48], v34 offset0:2 offset1:3
	v_cmp_eq_u32_e64 s0, s5, v36
	s_waitcnt lgkmcnt(1)
	;;#ASMSTART
	v_cvt_f16_f32 v40, v1;

	;;#ASMEND
	;;#ASMSTART
	v_cvt_f16_f32 v39, v2;

	;;#ASMEND
	;; [unrolled: 4-line block ×4, first 2 shown]
	s_waitcnt lgkmcnt(0)
	;;#ASMSTART
	v_cvt_f16_f32 v45, v45;

	;;#ASMEND
	;;#ASMSTART
	v_cvt_f16_f32 v10, v46;

	;;#ASMEND
	;; [unrolled: 4-line block ×4, first 2 shown]
	v_add_nc_u32_e32 v48, v31, v65
	v_add_nc_u32_e32 v50, 1, v48
	;; [unrolled: 1-line block ×8, first 2 shown]
	s_waitcnt vmcnt(0)
	v_mad_i64_i32 v[7:8], null, v7, s14, 0
	v_lshlrev_b64 v[7:8], 1, v[7:8]
	v_add_co_u32 v7, vcc_lo, v32, v7
	v_add_co_ci_u32_e64 v8, null, v33, v8, vcc_lo
	global_load_dwordx4 v[1:4], v[7:8], off
	s_waitcnt vmcnt(0)
	v_lshrrev_b32_e32 v53, 16, v1
	v_lshrrev_b32_e32 v52, 16, v2
	;; [unrolled: 1-line block ×3, first 2 shown]
	s_and_saveexec_b32 s17, s0
	s_cbranch_execz .LBB96_38
; %bb.37:                               ;   in Loop: Header=BB96_35 Depth=1
	v_cmp_gt_i32_e32 vcc_lo, s28, v48
	v_and_b32_e32 v54, 0xffff0000, v4
	v_cmp_gt_i32_e64 s1, s28, v47
	v_cndmask_b32_e32 v1, 0, v1, vcc_lo
	v_cmp_gt_i32_e32 vcc_lo, s28, v50
	v_cndmask_b32_e64 v2, 0, v2, s1
	v_cmp_gt_i32_e64 s1, s28, v46
	v_cndmask_b32_e32 v53, 0, v53, vcc_lo
	v_cmp_gt_i32_e32 vcc_lo, s28, v49
	v_cndmask_b32_e64 v52, 0, v52, s1
	v_cndmask_b32_sdwa v4, v30, v4, vcc_lo dst_sel:DWORD dst_unused:UNUSED_PAD src0_sel:DWORD src1_sel:WORD_0
	v_cmp_gt_i32_e32 vcc_lo, s28, v44
	v_cndmask_b32_e32 v54, 0, v54, vcc_lo
	v_cmp_gt_i32_e32 vcc_lo, s28, v38
	v_or_b32_e32 v4, v4, v54
	v_cndmask_b32_e32 v3, 0, v3, vcc_lo
	v_cmp_gt_i32_e32 vcc_lo, s28, v37
	v_cndmask_b32_e32 v51, 0, v51, vcc_lo
.LBB96_38:                              ;   in Loop: Header=BB96_35 Depth=1
	s_or_b32 exec_lo, exec_lo, s17
	v_and_b32_e32 v40, 0xffff, v40
	v_and_b32_e32 v43, 0xffff, v43
	v_lshlrev_b32_e32 v53, 16, v53
	v_lshlrev_b32_e32 v51, 16, v51
	v_and_b32_e32 v45, 0xffff, v45
	v_lshl_or_b32 v40, v39, 16, v40
	v_lshl_or_b32 v39, v41, 16, v43
	v_lshlrev_b32_e32 v41, 16, v52
	v_and_b32_e32 v42, 0xffff, v42
	v_and_or_b32 v1, 0xffff, v1, v53
	v_and_or_b32 v3, 0xffff, v3, v51
	;;#ASMSTART
	v_pk_mul_f16 v1, v40, v1;

	;;#ASMEND
	v_and_or_b32 v2, 0xffff, v2, v41
	v_lshl_or_b32 v43, v10, 16, v45
	v_lshl_or_b32 v45, v9, 16, v42
	;;#ASMSTART
	v_pk_mul_f16 v2, v39, v2;

	;;#ASMEND
	;;#ASMSTART
	v_pk_mul_f16 v3, v43, v3;

	;;#ASMEND
	;; [unrolled: 4-line block ×3, first 2 shown]
	;;#ASMSTART
	v_pk_add_f16 v1, v1, v2;

	;;#ASMEND
	;;#ASMSTART
	v_pk_add_f16 v1, v1, v3;

	;;#ASMEND
	;;#ASMSTART
	v_pk_add_f16 v1, v1, v4;

	;;#ASMEND
	v_and_b32_e32 v2, 0xffff, v1
	v_lshrrev_b32_e32 v1, 16, v1
	;;#ASMSTART
	v_cvt_f32_f16 v41, v2;
	;;#ASMEND
	;;#ASMSTART
	v_cvt_f32_f16 v42, v1;
	;;#ASMEND
	global_load_dwordx4 v[1:4], v[7:8], off offset:512
	s_waitcnt vmcnt(0)
	v_lshrrev_b32_e32 v51, 16, v1
	v_lshrrev_b32_e32 v10, 16, v2
	;; [unrolled: 1-line block ×3, first 2 shown]
	s_and_saveexec_b32 s17, s0
	s_cbranch_execz .LBB96_40
; %bb.39:                               ;   in Loop: Header=BB96_35 Depth=1
	v_cmp_gt_i32_e32 vcc_lo, s28, v48
	v_and_b32_e32 v52, 0xffff0000, v4
	v_cmp_gt_i32_e64 s1, s28, v47
	v_cndmask_b32_e32 v1, 0, v1, vcc_lo
	v_cmp_gt_i32_e32 vcc_lo, s28, v50
	v_cndmask_b32_e64 v2, 0, v2, s1
	v_cmp_gt_i32_e64 s1, s28, v46
	v_cndmask_b32_e32 v51, 0, v51, vcc_lo
	v_cmp_gt_i32_e32 vcc_lo, s28, v49
	v_cndmask_b32_e64 v10, 0, v10, s1
	v_cndmask_b32_sdwa v4, v30, v4, vcc_lo dst_sel:DWORD dst_unused:UNUSED_PAD src0_sel:DWORD src1_sel:WORD_0
	v_cmp_gt_i32_e32 vcc_lo, s28, v44
	v_cndmask_b32_e32 v52, 0, v52, vcc_lo
	v_cmp_gt_i32_e32 vcc_lo, s28, v38
	v_or_b32_e32 v4, v4, v52
	v_cndmask_b32_e32 v3, 0, v3, vcc_lo
	v_cmp_gt_i32_e32 vcc_lo, s28, v37
	v_cndmask_b32_e32 v9, 0, v9, vcc_lo
.LBB96_40:                              ;   in Loop: Header=BB96_35 Depth=1
	s_or_b32 exec_lo, exec_lo, s17
	v_lshlrev_b32_e32 v51, 16, v51
	v_lshlrev_b32_e32 v10, 16, v10
	;; [unrolled: 1-line block ×3, first 2 shown]
	v_and_or_b32 v1, 0xffff, v1, v51
	v_and_or_b32 v2, 0xffff, v2, v10
	;; [unrolled: 1-line block ×3, first 2 shown]
	;;#ASMSTART
	v_pk_mul_f16 v1, v40, v1;

	;;#ASMEND
	;;#ASMSTART
	v_pk_mul_f16 v2, v39, v2;

	;;#ASMEND
	;; [unrolled: 4-line block ×4, first 2 shown]
	;;#ASMSTART
	v_pk_add_f16 v1, v1, v2;

	;;#ASMEND
	;;#ASMSTART
	v_pk_add_f16 v1, v1, v3;

	;;#ASMEND
	;; [unrolled: 4-line block ×3, first 2 shown]
	v_and_b32_e32 v2, 0xffff, v1
	v_lshrrev_b32_e32 v1, 16, v1
	;;#ASMSTART
	v_cvt_f32_f16 v51, v2;
	;;#ASMEND
	;;#ASMSTART
	v_cvt_f32_f16 v52, v1;
	;;#ASMEND
	global_load_dwordx4 v[1:4], v[7:8], off offset:1024
	s_waitcnt vmcnt(0)
	v_lshrrev_b32_e32 v53, 16, v1
	v_lshrrev_b32_e32 v10, 16, v2
	;; [unrolled: 1-line block ×3, first 2 shown]
	s_and_saveexec_b32 s17, s0
	s_cbranch_execz .LBB96_42
; %bb.41:                               ;   in Loop: Header=BB96_35 Depth=1
	v_cmp_gt_i32_e32 vcc_lo, s28, v48
	v_and_b32_e32 v54, 0xffff0000, v4
	v_cmp_gt_i32_e64 s1, s28, v47
	v_cndmask_b32_e32 v1, 0, v1, vcc_lo
	v_cmp_gt_i32_e32 vcc_lo, s28, v50
	v_cndmask_b32_e64 v2, 0, v2, s1
	v_cmp_gt_i32_e64 s1, s28, v46
	v_cndmask_b32_e32 v53, 0, v53, vcc_lo
	v_cmp_gt_i32_e32 vcc_lo, s28, v49
	v_cndmask_b32_e64 v10, 0, v10, s1
	v_cndmask_b32_sdwa v4, v30, v4, vcc_lo dst_sel:DWORD dst_unused:UNUSED_PAD src0_sel:DWORD src1_sel:WORD_0
	v_cmp_gt_i32_e32 vcc_lo, s28, v44
	v_cndmask_b32_e32 v54, 0, v54, vcc_lo
	v_cmp_gt_i32_e32 vcc_lo, s28, v38
	v_or_b32_e32 v4, v4, v54
	v_cndmask_b32_e32 v3, 0, v3, vcc_lo
	v_cmp_gt_i32_e32 vcc_lo, s28, v37
	v_cndmask_b32_e32 v9, 0, v9, vcc_lo
.LBB96_42:                              ;   in Loop: Header=BB96_35 Depth=1
	s_or_b32 exec_lo, exec_lo, s17
	v_lshlrev_b32_e32 v53, 16, v53
	v_lshlrev_b32_e32 v10, 16, v10
	;; [unrolled: 1-line block ×3, first 2 shown]
	v_and_or_b32 v1, 0xffff, v1, v53
	v_and_or_b32 v2, 0xffff, v2, v10
	;; [unrolled: 1-line block ×3, first 2 shown]
	;;#ASMSTART
	v_pk_mul_f16 v1, v40, v1;

	;;#ASMEND
	;;#ASMSTART
	v_pk_mul_f16 v2, v39, v2;

	;;#ASMEND
	;; [unrolled: 4-line block ×4, first 2 shown]
	;;#ASMSTART
	v_pk_add_f16 v1, v1, v2;

	;;#ASMEND
	;;#ASMSTART
	v_pk_add_f16 v1, v1, v3;

	;;#ASMEND
	;; [unrolled: 4-line block ×3, first 2 shown]
	v_and_b32_e32 v2, 0xffff, v1
	v_lshrrev_b32_e32 v1, 16, v1
	;;#ASMSTART
	v_cvt_f32_f16 v53, v2;
	;;#ASMEND
	;;#ASMSTART
	v_cvt_f32_f16 v54, v1;
	;;#ASMEND
	global_load_dwordx4 v[1:4], v[7:8], off offset:1536
	s_waitcnt vmcnt(0)
	v_lshrrev_b32_e32 v55, 16, v1
	v_lshrrev_b32_e32 v10, 16, v2
	;; [unrolled: 1-line block ×3, first 2 shown]
	s_and_saveexec_b32 s17, s0
	s_cbranch_execz .LBB96_44
; %bb.43:                               ;   in Loop: Header=BB96_35 Depth=1
	v_cmp_gt_i32_e32 vcc_lo, s28, v48
	v_and_b32_e32 v56, 0xffff0000, v4
	v_cmp_gt_i32_e64 s1, s28, v47
	v_cndmask_b32_e32 v1, 0, v1, vcc_lo
	v_cmp_gt_i32_e32 vcc_lo, s28, v50
	v_cndmask_b32_e64 v2, 0, v2, s1
	v_cmp_gt_i32_e64 s1, s28, v46
	v_cndmask_b32_e32 v55, 0, v55, vcc_lo
	v_cmp_gt_i32_e32 vcc_lo, s28, v49
	v_cndmask_b32_e64 v10, 0, v10, s1
	v_cndmask_b32_sdwa v4, v30, v4, vcc_lo dst_sel:DWORD dst_unused:UNUSED_PAD src0_sel:DWORD src1_sel:WORD_0
	v_cmp_gt_i32_e32 vcc_lo, s28, v44
	v_cndmask_b32_e32 v56, 0, v56, vcc_lo
	v_cmp_gt_i32_e32 vcc_lo, s28, v38
	v_or_b32_e32 v4, v4, v56
	v_cndmask_b32_e32 v3, 0, v3, vcc_lo
	v_cmp_gt_i32_e32 vcc_lo, s28, v37
	v_cndmask_b32_e32 v9, 0, v9, vcc_lo
.LBB96_44:                              ;   in Loop: Header=BB96_35 Depth=1
	s_or_b32 exec_lo, exec_lo, s17
	v_lshlrev_b32_e32 v9, 16, v9
	v_lshlrev_b32_e32 v55, 16, v55
	;; [unrolled: 1-line block ×3, first 2 shown]
	v_and_or_b32 v3, 0xffff, v3, v9
	v_add_co_u32 v9, vcc_lo, 0x800, v7
	v_and_or_b32 v1, 0xffff, v1, v55
	v_and_or_b32 v2, 0xffff, v2, v10
	;;#ASMSTART
	v_pk_mul_f16 v1, v40, v1;

	;;#ASMEND
	v_add_co_ci_u32_e64 v10, null, 0, v8, vcc_lo
	;;#ASMSTART
	v_pk_mul_f16 v2, v39, v2;

	;;#ASMEND
	;;#ASMSTART
	v_pk_mul_f16 v3, v43, v3;

	;;#ASMEND
	;; [unrolled: 4-line block ×3, first 2 shown]
	;;#ASMSTART
	v_pk_add_f16 v1, v1, v2;

	;;#ASMEND
	;;#ASMSTART
	v_pk_add_f16 v1, v1, v3;

	;;#ASMEND
	;; [unrolled: 4-line block ×3, first 2 shown]
	v_lshrrev_b32_e32 v2, 16, v1
	v_and_b32_e32 v1, 0xffff, v1
	;;#ASMSTART
	v_cvt_f32_f16 v55, v1;
	;;#ASMEND
	;;#ASMSTART
	v_cvt_f32_f16 v56, v2;
	;;#ASMEND
	global_load_dwordx4 v[1:4], v[9:10], off
	s_waitcnt vmcnt(0)
	v_lshrrev_b32_e32 v59, 16, v1
	v_lshrrev_b32_e32 v58, 16, v2
	;; [unrolled: 1-line block ×3, first 2 shown]
	s_and_saveexec_b32 s17, s0
	s_cbranch_execz .LBB96_46
; %bb.45:                               ;   in Loop: Header=BB96_35 Depth=1
	v_cmp_gt_i32_e32 vcc_lo, s28, v48
	v_and_b32_e32 v60, 0xffff0000, v4
	v_cmp_gt_i32_e64 s1, s28, v47
	v_cndmask_b32_e32 v1, 0, v1, vcc_lo
	v_cmp_gt_i32_e32 vcc_lo, s28, v50
	v_cndmask_b32_e64 v2, 0, v2, s1
	v_cmp_gt_i32_e64 s1, s28, v46
	v_cndmask_b32_e32 v59, 0, v59, vcc_lo
	v_cmp_gt_i32_e32 vcc_lo, s28, v49
	v_cndmask_b32_e64 v58, 0, v58, s1
	v_cndmask_b32_sdwa v4, v30, v4, vcc_lo dst_sel:DWORD dst_unused:UNUSED_PAD src0_sel:DWORD src1_sel:WORD_0
	v_cmp_gt_i32_e32 vcc_lo, s28, v44
	v_cndmask_b32_e32 v60, 0, v60, vcc_lo
	v_cmp_gt_i32_e32 vcc_lo, s28, v38
	v_or_b32_e32 v4, v4, v60
	v_cndmask_b32_e32 v3, 0, v3, vcc_lo
	v_cmp_gt_i32_e32 vcc_lo, s28, v37
	v_cndmask_b32_e32 v57, 0, v57, vcc_lo
.LBB96_46:                              ;   in Loop: Header=BB96_35 Depth=1
	s_or_b32 exec_lo, exec_lo, s17
	v_lshlrev_b32_e32 v59, 16, v59
	v_lshlrev_b32_e32 v58, 16, v58
	;; [unrolled: 1-line block ×3, first 2 shown]
	v_and_or_b32 v1, 0xffff, v1, v59
	v_and_or_b32 v2, 0xffff, v2, v58
	;; [unrolled: 1-line block ×3, first 2 shown]
	;;#ASMSTART
	v_pk_mul_f16 v1, v40, v1;

	;;#ASMEND
	;;#ASMSTART
	v_pk_mul_f16 v2, v39, v2;

	;;#ASMEND
	;; [unrolled: 4-line block ×4, first 2 shown]
	;;#ASMSTART
	v_pk_add_f16 v1, v1, v2;

	;;#ASMEND
	;;#ASMSTART
	v_pk_add_f16 v1, v1, v3;

	;;#ASMEND
	;; [unrolled: 4-line block ×3, first 2 shown]
	v_and_b32_e32 v2, 0xffff, v1
	v_lshrrev_b32_e32 v1, 16, v1
	;;#ASMSTART
	v_cvt_f32_f16 v57, v2;
	;;#ASMEND
	;;#ASMSTART
	v_cvt_f32_f16 v58, v1;
	;;#ASMEND
	global_load_dwordx4 v[1:4], v[9:10], off offset:512
	s_waitcnt vmcnt(0)
	v_lshrrev_b32_e32 v61, 16, v1
	v_lshrrev_b32_e32 v60, 16, v2
	;; [unrolled: 1-line block ×3, first 2 shown]
	s_and_saveexec_b32 s17, s0
	s_cbranch_execz .LBB96_48
; %bb.47:                               ;   in Loop: Header=BB96_35 Depth=1
	v_cmp_gt_i32_e32 vcc_lo, s28, v48
	v_and_b32_e32 v62, 0xffff0000, v4
	v_cmp_gt_i32_e64 s1, s28, v47
	v_cndmask_b32_e32 v1, 0, v1, vcc_lo
	v_cmp_gt_i32_e32 vcc_lo, s28, v50
	v_cndmask_b32_e64 v2, 0, v2, s1
	v_cmp_gt_i32_e64 s1, s28, v46
	v_cndmask_b32_e32 v61, 0, v61, vcc_lo
	v_cmp_gt_i32_e32 vcc_lo, s28, v49
	v_cndmask_b32_e64 v60, 0, v60, s1
	v_cndmask_b32_sdwa v4, v30, v4, vcc_lo dst_sel:DWORD dst_unused:UNUSED_PAD src0_sel:DWORD src1_sel:WORD_0
	v_cmp_gt_i32_e32 vcc_lo, s28, v44
	v_cndmask_b32_e32 v62, 0, v62, vcc_lo
	v_cmp_gt_i32_e32 vcc_lo, s28, v38
	v_or_b32_e32 v4, v4, v62
	v_cndmask_b32_e32 v3, 0, v3, vcc_lo
	v_cmp_gt_i32_e32 vcc_lo, s28, v37
	v_cndmask_b32_e32 v59, 0, v59, vcc_lo
.LBB96_48:                              ;   in Loop: Header=BB96_35 Depth=1
	s_or_b32 exec_lo, exec_lo, s17
	v_lshlrev_b32_e32 v61, 16, v61
	v_lshlrev_b32_e32 v60, 16, v60
	;; [unrolled: 1-line block ×3, first 2 shown]
	v_and_or_b32 v1, 0xffff, v1, v61
	v_and_or_b32 v2, 0xffff, v2, v60
	;; [unrolled: 1-line block ×3, first 2 shown]
	;;#ASMSTART
	v_pk_mul_f16 v1, v40, v1;

	;;#ASMEND
	;;#ASMSTART
	v_pk_mul_f16 v2, v39, v2;

	;;#ASMEND
	;; [unrolled: 4-line block ×4, first 2 shown]
	;;#ASMSTART
	v_pk_add_f16 v1, v1, v2;

	;;#ASMEND
	;;#ASMSTART
	v_pk_add_f16 v1, v1, v3;

	;;#ASMEND
	;; [unrolled: 4-line block ×3, first 2 shown]
	v_and_b32_e32 v2, 0xffff, v1
	v_lshrrev_b32_e32 v1, 16, v1
	;;#ASMSTART
	v_cvt_f32_f16 v59, v2;
	;;#ASMEND
	;;#ASMSTART
	v_cvt_f32_f16 v60, v1;
	;;#ASMEND
	global_load_dwordx4 v[1:4], v[9:10], off offset:1024
	s_waitcnt vmcnt(0)
	v_lshrrev_b32_e32 v66, 16, v1
	v_lshrrev_b32_e32 v62, 16, v2
	;; [unrolled: 1-line block ×3, first 2 shown]
	s_and_saveexec_b32 s17, s0
	s_cbranch_execz .LBB96_50
; %bb.49:                               ;   in Loop: Header=BB96_35 Depth=1
	v_cmp_gt_i32_e32 vcc_lo, s28, v48
	v_and_b32_e32 v67, 0xffff0000, v4
	v_cmp_gt_i32_e64 s1, s28, v47
	v_cndmask_b32_e32 v1, 0, v1, vcc_lo
	v_cmp_gt_i32_e32 vcc_lo, s28, v50
	v_cndmask_b32_e64 v2, 0, v2, s1
	v_cmp_gt_i32_e64 s1, s28, v46
	v_cndmask_b32_e32 v66, 0, v66, vcc_lo
	v_cmp_gt_i32_e32 vcc_lo, s28, v49
	v_cndmask_b32_e64 v62, 0, v62, s1
	v_cndmask_b32_sdwa v4, v30, v4, vcc_lo dst_sel:DWORD dst_unused:UNUSED_PAD src0_sel:DWORD src1_sel:WORD_0
	v_cmp_gt_i32_e32 vcc_lo, s28, v44
	v_cndmask_b32_e32 v67, 0, v67, vcc_lo
	v_cmp_gt_i32_e32 vcc_lo, s28, v38
	v_or_b32_e32 v4, v4, v67
	v_cndmask_b32_e32 v3, 0, v3, vcc_lo
	v_cmp_gt_i32_e32 vcc_lo, s28, v37
	v_cndmask_b32_e32 v61, 0, v61, vcc_lo
.LBB96_50:                              ;   in Loop: Header=BB96_35 Depth=1
	s_or_b32 exec_lo, exec_lo, s17
	v_lshlrev_b32_e32 v66, 16, v66
	v_lshlrev_b32_e32 v62, 16, v62
	;; [unrolled: 1-line block ×3, first 2 shown]
	v_and_or_b32 v1, 0xffff, v1, v66
	v_and_or_b32 v2, 0xffff, v2, v62
	;; [unrolled: 1-line block ×3, first 2 shown]
	;;#ASMSTART
	v_pk_mul_f16 v1, v40, v1;

	;;#ASMEND
	;;#ASMSTART
	v_pk_mul_f16 v2, v39, v2;

	;;#ASMEND
	;; [unrolled: 4-line block ×4, first 2 shown]
	;;#ASMSTART
	v_pk_add_f16 v1, v1, v2;

	;;#ASMEND
	;;#ASMSTART
	v_pk_add_f16 v1, v1, v3;

	;;#ASMEND
	;; [unrolled: 4-line block ×3, first 2 shown]
	v_and_b32_e32 v2, 0xffff, v1
	v_lshrrev_b32_e32 v1, 16, v1
	;;#ASMSTART
	v_cvt_f32_f16 v61, v2;
	;;#ASMEND
	;;#ASMSTART
	v_cvt_f32_f16 v62, v1;
	;;#ASMEND
	global_load_dwordx4 v[1:4], v[9:10], off offset:1536
	s_waitcnt vmcnt(0)
	v_lshrrev_b32_e32 v66, 16, v1
	v_lshrrev_b32_e32 v10, 16, v2
	v_lshrrev_b32_e32 v9, 16, v3
	s_and_saveexec_b32 s17, s0
	s_cbranch_execz .LBB96_52
; %bb.51:                               ;   in Loop: Header=BB96_35 Depth=1
	v_cmp_gt_i32_e32 vcc_lo, s28, v48
	v_and_b32_e32 v67, 0xffff0000, v4
	v_cmp_gt_i32_e64 s1, s28, v47
	v_cndmask_b32_e32 v1, 0, v1, vcc_lo
	v_cmp_gt_i32_e32 vcc_lo, s28, v50
	v_cndmask_b32_e64 v2, 0, v2, s1
	v_cmp_gt_i32_e64 s1, s28, v46
	v_cndmask_b32_e32 v66, 0, v66, vcc_lo
	v_cmp_gt_i32_e32 vcc_lo, s28, v49
	v_cndmask_b32_e64 v10, 0, v10, s1
	v_cndmask_b32_sdwa v4, v30, v4, vcc_lo dst_sel:DWORD dst_unused:UNUSED_PAD src0_sel:DWORD src1_sel:WORD_0
	v_cmp_gt_i32_e32 vcc_lo, s28, v44
	v_cndmask_b32_e32 v67, 0, v67, vcc_lo
	v_cmp_gt_i32_e32 vcc_lo, s28, v38
	v_or_b32_e32 v4, v4, v67
	v_cndmask_b32_e32 v3, 0, v3, vcc_lo
	v_cmp_gt_i32_e32 vcc_lo, s28, v37
	v_cndmask_b32_e32 v9, 0, v9, vcc_lo
.LBB96_52:                              ;   in Loop: Header=BB96_35 Depth=1
	s_or_b32 exec_lo, exec_lo, s17
	v_lshlrev_b32_e32 v9, 16, v9
	v_lshlrev_b32_e32 v66, 16, v66
	;; [unrolled: 1-line block ×3, first 2 shown]
	v_and_or_b32 v3, 0xffff, v3, v9
	v_add_co_u32 v9, vcc_lo, 0x1000, v7
	v_and_or_b32 v1, 0xffff, v1, v66
	v_and_or_b32 v2, 0xffff, v2, v10
	;;#ASMSTART
	v_pk_mul_f16 v1, v40, v1;

	;;#ASMEND
	v_add_co_ci_u32_e64 v10, null, 0, v8, vcc_lo
	;;#ASMSTART
	v_pk_mul_f16 v2, v39, v2;

	;;#ASMEND
	;;#ASMSTART
	v_pk_mul_f16 v3, v43, v3;

	;;#ASMEND
	;; [unrolled: 4-line block ×3, first 2 shown]
	;;#ASMSTART
	v_pk_add_f16 v1, v1, v2;

	;;#ASMEND
	;;#ASMSTART
	v_pk_add_f16 v1, v1, v3;

	;;#ASMEND
	;; [unrolled: 4-line block ×3, first 2 shown]
	v_lshrrev_b32_e32 v2, 16, v1
	v_and_b32_e32 v1, 0xffff, v1
	;;#ASMSTART
	v_cvt_f32_f16 v66, v1;
	;;#ASMEND
	;;#ASMSTART
	v_cvt_f32_f16 v67, v2;
	;;#ASMEND
	global_load_dwordx4 v[1:4], v[9:10], off
	s_waitcnt vmcnt(0)
	v_lshrrev_b32_e32 v70, 16, v1
	v_lshrrev_b32_e32 v69, 16, v2
	;; [unrolled: 1-line block ×3, first 2 shown]
	s_and_saveexec_b32 s17, s0
	s_cbranch_execz .LBB96_54
; %bb.53:                               ;   in Loop: Header=BB96_35 Depth=1
	v_cmp_gt_i32_e32 vcc_lo, s28, v48
	v_and_b32_e32 v71, 0xffff0000, v4
	v_cmp_gt_i32_e64 s1, s28, v47
	v_cndmask_b32_e32 v1, 0, v1, vcc_lo
	v_cmp_gt_i32_e32 vcc_lo, s28, v50
	v_cndmask_b32_e64 v2, 0, v2, s1
	v_cmp_gt_i32_e64 s1, s28, v46
	v_cndmask_b32_e32 v70, 0, v70, vcc_lo
	v_cmp_gt_i32_e32 vcc_lo, s28, v49
	v_cndmask_b32_e64 v69, 0, v69, s1
	v_cndmask_b32_sdwa v4, v30, v4, vcc_lo dst_sel:DWORD dst_unused:UNUSED_PAD src0_sel:DWORD src1_sel:WORD_0
	v_cmp_gt_i32_e32 vcc_lo, s28, v44
	v_cndmask_b32_e32 v71, 0, v71, vcc_lo
	v_cmp_gt_i32_e32 vcc_lo, s28, v38
	v_or_b32_e32 v4, v4, v71
	v_cndmask_b32_e32 v3, 0, v3, vcc_lo
	v_cmp_gt_i32_e32 vcc_lo, s28, v37
	v_cndmask_b32_e32 v68, 0, v68, vcc_lo
.LBB96_54:                              ;   in Loop: Header=BB96_35 Depth=1
	s_or_b32 exec_lo, exec_lo, s17
	v_lshlrev_b32_e32 v70, 16, v70
	v_lshlrev_b32_e32 v69, 16, v69
	;; [unrolled: 1-line block ×3, first 2 shown]
	v_and_or_b32 v1, 0xffff, v1, v70
	v_and_or_b32 v2, 0xffff, v2, v69
	;; [unrolled: 1-line block ×3, first 2 shown]
	;;#ASMSTART
	v_pk_mul_f16 v1, v40, v1;

	;;#ASMEND
	;;#ASMSTART
	v_pk_mul_f16 v2, v39, v2;

	;;#ASMEND
	;; [unrolled: 4-line block ×4, first 2 shown]
	;;#ASMSTART
	v_pk_add_f16 v1, v1, v2;

	;;#ASMEND
	;;#ASMSTART
	v_pk_add_f16 v1, v1, v3;

	;;#ASMEND
	;; [unrolled: 4-line block ×3, first 2 shown]
	v_and_b32_e32 v2, 0xffff, v1
	v_lshrrev_b32_e32 v1, 16, v1
	;;#ASMSTART
	v_cvt_f32_f16 v68, v2;
	;;#ASMEND
	;;#ASMSTART
	v_cvt_f32_f16 v69, v1;
	;;#ASMEND
	global_load_dwordx4 v[1:4], v[9:10], off offset:512
	s_waitcnt vmcnt(0)
	v_lshrrev_b32_e32 v72, 16, v1
	v_lshrrev_b32_e32 v71, 16, v2
	;; [unrolled: 1-line block ×3, first 2 shown]
	s_and_saveexec_b32 s17, s0
	s_cbranch_execz .LBB96_56
; %bb.55:                               ;   in Loop: Header=BB96_35 Depth=1
	v_cmp_gt_i32_e32 vcc_lo, s28, v48
	v_and_b32_e32 v73, 0xffff0000, v4
	v_cmp_gt_i32_e64 s1, s28, v47
	v_cndmask_b32_e32 v1, 0, v1, vcc_lo
	v_cmp_gt_i32_e32 vcc_lo, s28, v50
	v_cndmask_b32_e64 v2, 0, v2, s1
	v_cmp_gt_i32_e64 s1, s28, v46
	v_cndmask_b32_e32 v72, 0, v72, vcc_lo
	v_cmp_gt_i32_e32 vcc_lo, s28, v49
	v_cndmask_b32_e64 v71, 0, v71, s1
	v_cndmask_b32_sdwa v4, v30, v4, vcc_lo dst_sel:DWORD dst_unused:UNUSED_PAD src0_sel:DWORD src1_sel:WORD_0
	v_cmp_gt_i32_e32 vcc_lo, s28, v44
	v_cndmask_b32_e32 v73, 0, v73, vcc_lo
	v_cmp_gt_i32_e32 vcc_lo, s28, v38
	v_or_b32_e32 v4, v4, v73
	v_cndmask_b32_e32 v3, 0, v3, vcc_lo
	v_cmp_gt_i32_e32 vcc_lo, s28, v37
	v_cndmask_b32_e32 v70, 0, v70, vcc_lo
.LBB96_56:                              ;   in Loop: Header=BB96_35 Depth=1
	s_or_b32 exec_lo, exec_lo, s17
	v_lshlrev_b32_e32 v72, 16, v72
	v_lshlrev_b32_e32 v71, 16, v71
	;; [unrolled: 1-line block ×3, first 2 shown]
	v_and_or_b32 v1, 0xffff, v1, v72
	v_and_or_b32 v2, 0xffff, v2, v71
	;; [unrolled: 1-line block ×3, first 2 shown]
	;;#ASMSTART
	v_pk_mul_f16 v1, v40, v1;

	;;#ASMEND
	;;#ASMSTART
	v_pk_mul_f16 v2, v39, v2;

	;;#ASMEND
	;; [unrolled: 4-line block ×4, first 2 shown]
	;;#ASMSTART
	v_pk_add_f16 v1, v1, v2;

	;;#ASMEND
	;;#ASMSTART
	v_pk_add_f16 v1, v1, v3;

	;;#ASMEND
	;; [unrolled: 4-line block ×3, first 2 shown]
	v_and_b32_e32 v2, 0xffff, v1
	v_lshrrev_b32_e32 v1, 16, v1
	;;#ASMSTART
	v_cvt_f32_f16 v70, v2;
	;;#ASMEND
	;;#ASMSTART
	v_cvt_f32_f16 v71, v1;
	;;#ASMEND
	global_load_dwordx4 v[1:4], v[9:10], off offset:1024
	s_waitcnt vmcnt(0)
	v_lshrrev_b32_e32 v74, 16, v1
	v_lshrrev_b32_e32 v73, 16, v2
	;; [unrolled: 1-line block ×3, first 2 shown]
	s_and_saveexec_b32 s17, s0
	s_cbranch_execz .LBB96_58
; %bb.57:                               ;   in Loop: Header=BB96_35 Depth=1
	v_cmp_gt_i32_e32 vcc_lo, s28, v48
	v_and_b32_e32 v75, 0xffff0000, v4
	v_cmp_gt_i32_e64 s1, s28, v47
	v_cndmask_b32_e32 v1, 0, v1, vcc_lo
	v_cmp_gt_i32_e32 vcc_lo, s28, v50
	v_cndmask_b32_e64 v2, 0, v2, s1
	v_cmp_gt_i32_e64 s1, s28, v46
	v_cndmask_b32_e32 v74, 0, v74, vcc_lo
	v_cmp_gt_i32_e32 vcc_lo, s28, v49
	v_cndmask_b32_e64 v73, 0, v73, s1
	v_cndmask_b32_sdwa v4, v30, v4, vcc_lo dst_sel:DWORD dst_unused:UNUSED_PAD src0_sel:DWORD src1_sel:WORD_0
	v_cmp_gt_i32_e32 vcc_lo, s28, v44
	v_cndmask_b32_e32 v75, 0, v75, vcc_lo
	v_cmp_gt_i32_e32 vcc_lo, s28, v38
	v_or_b32_e32 v4, v4, v75
	v_cndmask_b32_e32 v3, 0, v3, vcc_lo
	v_cmp_gt_i32_e32 vcc_lo, s28, v37
	v_cndmask_b32_e32 v72, 0, v72, vcc_lo
.LBB96_58:                              ;   in Loop: Header=BB96_35 Depth=1
	s_or_b32 exec_lo, exec_lo, s17
	v_lshlrev_b32_e32 v74, 16, v74
	v_lshlrev_b32_e32 v73, 16, v73
	;; [unrolled: 1-line block ×3, first 2 shown]
	v_and_or_b32 v1, 0xffff, v1, v74
	v_and_or_b32 v2, 0xffff, v2, v73
	;; [unrolled: 1-line block ×3, first 2 shown]
	;;#ASMSTART
	v_pk_mul_f16 v1, v40, v1;

	;;#ASMEND
	;;#ASMSTART
	v_pk_mul_f16 v2, v39, v2;

	;;#ASMEND
	;; [unrolled: 4-line block ×4, first 2 shown]
	;;#ASMSTART
	v_pk_add_f16 v1, v1, v2;

	;;#ASMEND
	;;#ASMSTART
	v_pk_add_f16 v1, v1, v3;

	;;#ASMEND
	;; [unrolled: 4-line block ×3, first 2 shown]
	v_and_b32_e32 v2, 0xffff, v1
	v_lshrrev_b32_e32 v1, 16, v1
	;;#ASMSTART
	v_cvt_f32_f16 v72, v2;
	;;#ASMEND
	;;#ASMSTART
	v_cvt_f32_f16 v73, v1;
	;;#ASMEND
	global_load_dwordx4 v[1:4], v[9:10], off offset:1536
	s_waitcnt vmcnt(0)
	v_lshrrev_b32_e32 v74, 16, v1
	v_lshrrev_b32_e32 v10, 16, v2
	;; [unrolled: 1-line block ×3, first 2 shown]
	s_and_saveexec_b32 s17, s0
	s_cbranch_execz .LBB96_60
; %bb.59:                               ;   in Loop: Header=BB96_35 Depth=1
	v_cmp_gt_i32_e32 vcc_lo, s28, v48
	v_and_b32_e32 v75, 0xffff0000, v4
	v_cmp_gt_i32_e64 s1, s28, v47
	v_cndmask_b32_e32 v1, 0, v1, vcc_lo
	v_cmp_gt_i32_e32 vcc_lo, s28, v50
	v_cndmask_b32_e64 v2, 0, v2, s1
	v_cmp_gt_i32_e64 s1, s28, v46
	v_cndmask_b32_e32 v74, 0, v74, vcc_lo
	v_cmp_gt_i32_e32 vcc_lo, s28, v49
	v_cndmask_b32_e64 v10, 0, v10, s1
	v_cndmask_b32_sdwa v4, v30, v4, vcc_lo dst_sel:DWORD dst_unused:UNUSED_PAD src0_sel:DWORD src1_sel:WORD_0
	v_cmp_gt_i32_e32 vcc_lo, s28, v44
	v_cndmask_b32_e32 v75, 0, v75, vcc_lo
	v_cmp_gt_i32_e32 vcc_lo, s28, v38
	v_or_b32_e32 v4, v4, v75
	v_cndmask_b32_e32 v3, 0, v3, vcc_lo
	v_cmp_gt_i32_e32 vcc_lo, s28, v37
	v_cndmask_b32_e32 v9, 0, v9, vcc_lo
.LBB96_60:                              ;   in Loop: Header=BB96_35 Depth=1
	s_or_b32 exec_lo, exec_lo, s17
	v_lshlrev_b32_e32 v74, 16, v74
	v_lshlrev_b32_e32 v10, 16, v10
	;; [unrolled: 1-line block ×3, first 2 shown]
	v_add_co_u32 v7, vcc_lo, 0x1800, v7
	v_and_or_b32 v1, 0xffff, v1, v74
	v_and_or_b32 v2, 0xffff, v2, v10
	;; [unrolled: 1-line block ×3, first 2 shown]
	;;#ASMSTART
	v_pk_mul_f16 v1, v40, v1;

	;;#ASMEND
	v_add_co_ci_u32_e64 v8, null, 0, v8, vcc_lo
	;;#ASMSTART
	v_pk_mul_f16 v2, v39, v2;

	;;#ASMEND
	;;#ASMSTART
	v_pk_mul_f16 v3, v43, v3;

	;;#ASMEND
	;; [unrolled: 4-line block ×3, first 2 shown]
	;;#ASMSTART
	v_pk_add_f16 v1, v1, v2;

	;;#ASMEND
	;;#ASMSTART
	v_pk_add_f16 v1, v1, v3;

	;;#ASMEND
	;; [unrolled: 4-line block ×3, first 2 shown]
	v_lshrrev_b32_e32 v2, 16, v1
	v_and_b32_e32 v1, 0xffff, v1
	;;#ASMSTART
	v_cvt_f32_f16 v9, v1;
	;;#ASMEND
	;;#ASMSTART
	v_cvt_f32_f16 v10, v2;
	;;#ASMEND
	global_load_dwordx4 v[1:4], v[7:8], off
	s_waitcnt vmcnt(0)
	v_lshrrev_b32_e32 v76, 16, v1
	v_lshrrev_b32_e32 v75, 16, v2
	;; [unrolled: 1-line block ×3, first 2 shown]
	s_and_saveexec_b32 s17, s0
	s_cbranch_execz .LBB96_62
; %bb.61:                               ;   in Loop: Header=BB96_35 Depth=1
	v_cmp_gt_i32_e32 vcc_lo, s28, v48
	v_and_b32_e32 v77, 0xffff0000, v4
	v_cmp_gt_i32_e64 s1, s28, v47
	v_cndmask_b32_e32 v1, 0, v1, vcc_lo
	v_cmp_gt_i32_e32 vcc_lo, s28, v50
	v_cndmask_b32_e64 v2, 0, v2, s1
	v_cmp_gt_i32_e64 s1, s28, v46
	v_cndmask_b32_e32 v76, 0, v76, vcc_lo
	v_cmp_gt_i32_e32 vcc_lo, s28, v49
	v_cndmask_b32_e64 v75, 0, v75, s1
	v_cndmask_b32_sdwa v4, v30, v4, vcc_lo dst_sel:DWORD dst_unused:UNUSED_PAD src0_sel:DWORD src1_sel:WORD_0
	v_cmp_gt_i32_e32 vcc_lo, s28, v44
	v_cndmask_b32_e32 v77, 0, v77, vcc_lo
	v_cmp_gt_i32_e32 vcc_lo, s28, v38
	v_or_b32_e32 v4, v4, v77
	v_cndmask_b32_e32 v3, 0, v3, vcc_lo
	v_cmp_gt_i32_e32 vcc_lo, s28, v37
	v_cndmask_b32_e32 v74, 0, v74, vcc_lo
.LBB96_62:                              ;   in Loop: Header=BB96_35 Depth=1
	s_or_b32 exec_lo, exec_lo, s17
	v_lshlrev_b32_e32 v76, 16, v76
	v_lshlrev_b32_e32 v75, 16, v75
	;; [unrolled: 1-line block ×3, first 2 shown]
	v_and_or_b32 v1, 0xffff, v1, v76
	v_and_or_b32 v2, 0xffff, v2, v75
	;; [unrolled: 1-line block ×3, first 2 shown]
	;;#ASMSTART
	v_pk_mul_f16 v1, v40, v1;

	;;#ASMEND
	;;#ASMSTART
	v_pk_mul_f16 v2, v39, v2;

	;;#ASMEND
	;; [unrolled: 4-line block ×4, first 2 shown]
	;;#ASMSTART
	v_pk_add_f16 v1, v1, v2;

	;;#ASMEND
	;;#ASMSTART
	v_pk_add_f16 v1, v1, v3;

	;;#ASMEND
	;; [unrolled: 4-line block ×3, first 2 shown]
	v_and_b32_e32 v2, 0xffff, v1
	v_lshrrev_b32_e32 v1, 16, v1
	;;#ASMSTART
	v_cvt_f32_f16 v74, v2;
	;;#ASMEND
	;;#ASMSTART
	v_cvt_f32_f16 v75, v1;
	;;#ASMEND
	global_load_dwordx4 v[1:4], v[7:8], off offset:512
	s_waitcnt vmcnt(0)
	v_lshrrev_b32_e32 v78, 16, v1
	v_lshrrev_b32_e32 v77, 16, v2
	;; [unrolled: 1-line block ×3, first 2 shown]
	s_and_saveexec_b32 s17, s0
	s_cbranch_execz .LBB96_64
; %bb.63:                               ;   in Loop: Header=BB96_35 Depth=1
	v_cmp_gt_i32_e32 vcc_lo, s28, v48
	v_and_b32_e32 v79, 0xffff0000, v4
	v_cmp_gt_i32_e64 s1, s28, v47
	v_cndmask_b32_e32 v1, 0, v1, vcc_lo
	v_cmp_gt_i32_e32 vcc_lo, s28, v50
	v_cndmask_b32_e64 v2, 0, v2, s1
	v_cmp_gt_i32_e64 s1, s28, v46
	v_cndmask_b32_e32 v78, 0, v78, vcc_lo
	v_cmp_gt_i32_e32 vcc_lo, s28, v49
	v_cndmask_b32_e64 v77, 0, v77, s1
	v_cndmask_b32_sdwa v4, v30, v4, vcc_lo dst_sel:DWORD dst_unused:UNUSED_PAD src0_sel:DWORD src1_sel:WORD_0
	v_cmp_gt_i32_e32 vcc_lo, s28, v44
	v_cndmask_b32_e32 v79, 0, v79, vcc_lo
	v_cmp_gt_i32_e32 vcc_lo, s28, v38
	v_or_b32_e32 v4, v4, v79
	v_cndmask_b32_e32 v3, 0, v3, vcc_lo
	v_cmp_gt_i32_e32 vcc_lo, s28, v37
	v_cndmask_b32_e32 v76, 0, v76, vcc_lo
.LBB96_64:                              ;   in Loop: Header=BB96_35 Depth=1
	s_or_b32 exec_lo, exec_lo, s17
	v_lshlrev_b32_e32 v78, 16, v78
	v_lshlrev_b32_e32 v77, 16, v77
	;; [unrolled: 1-line block ×3, first 2 shown]
	v_and_or_b32 v1, 0xffff, v1, v78
	v_and_or_b32 v2, 0xffff, v2, v77
	;; [unrolled: 1-line block ×3, first 2 shown]
	;;#ASMSTART
	v_pk_mul_f16 v1, v40, v1;

	;;#ASMEND
	;;#ASMSTART
	v_pk_mul_f16 v2, v39, v2;

	;;#ASMEND
	;; [unrolled: 4-line block ×4, first 2 shown]
	;;#ASMSTART
	v_pk_add_f16 v1, v1, v2;

	;;#ASMEND
	;;#ASMSTART
	v_pk_add_f16 v1, v1, v3;

	;;#ASMEND
	;;#ASMSTART
	v_pk_add_f16 v1, v1, v4;

	;;#ASMEND
	v_and_b32_e32 v2, 0xffff, v1
	v_lshrrev_b32_e32 v1, 16, v1
	;;#ASMSTART
	v_cvt_f32_f16 v76, v2;
	;;#ASMEND
	;;#ASMSTART
	v_cvt_f32_f16 v77, v1;
	;;#ASMEND
	global_load_dwordx4 v[1:4], v[7:8], off offset:1024
	s_waitcnt vmcnt(0)
	v_lshrrev_b32_e32 v80, 16, v1
	v_lshrrev_b32_e32 v79, 16, v2
	;; [unrolled: 1-line block ×3, first 2 shown]
	s_and_saveexec_b32 s17, s0
	s_cbranch_execz .LBB96_66
; %bb.65:                               ;   in Loop: Header=BB96_35 Depth=1
	v_cmp_gt_i32_e32 vcc_lo, s28, v48
	v_and_b32_e32 v81, 0xffff0000, v4
	v_cmp_gt_i32_e64 s1, s28, v47
	v_cndmask_b32_e32 v1, 0, v1, vcc_lo
	v_cmp_gt_i32_e32 vcc_lo, s28, v50
	v_cndmask_b32_e64 v2, 0, v2, s1
	v_cmp_gt_i32_e64 s1, s28, v46
	v_cndmask_b32_e32 v80, 0, v80, vcc_lo
	v_cmp_gt_i32_e32 vcc_lo, s28, v49
	v_cndmask_b32_e64 v79, 0, v79, s1
	v_cndmask_b32_sdwa v4, v30, v4, vcc_lo dst_sel:DWORD dst_unused:UNUSED_PAD src0_sel:DWORD src1_sel:WORD_0
	v_cmp_gt_i32_e32 vcc_lo, s28, v44
	v_cndmask_b32_e32 v81, 0, v81, vcc_lo
	v_cmp_gt_i32_e32 vcc_lo, s28, v38
	v_or_b32_e32 v4, v4, v81
	v_cndmask_b32_e32 v3, 0, v3, vcc_lo
	v_cmp_gt_i32_e32 vcc_lo, s28, v37
	v_cndmask_b32_e32 v78, 0, v78, vcc_lo
.LBB96_66:                              ;   in Loop: Header=BB96_35 Depth=1
	s_or_b32 exec_lo, exec_lo, s17
	v_lshlrev_b32_e32 v80, 16, v80
	v_lshlrev_b32_e32 v79, 16, v79
	;; [unrolled: 1-line block ×3, first 2 shown]
	v_and_or_b32 v1, 0xffff, v1, v80
	v_and_or_b32 v2, 0xffff, v2, v79
	v_and_or_b32 v3, 0xffff, v3, v78
	;;#ASMSTART
	v_pk_mul_f16 v1, v40, v1;

	;;#ASMEND
	;;#ASMSTART
	v_pk_mul_f16 v2, v39, v2;

	;;#ASMEND
	;; [unrolled: 4-line block ×4, first 2 shown]
	;;#ASMSTART
	v_pk_add_f16 v1, v1, v2;

	;;#ASMEND
	;;#ASMSTART
	v_pk_add_f16 v1, v1, v3;

	;;#ASMEND
	;; [unrolled: 4-line block ×3, first 2 shown]
	v_and_b32_e32 v2, 0xffff, v1
	v_lshrrev_b32_e32 v1, 16, v1
	;;#ASMSTART
	v_cvt_f32_f16 v79, v2;
	;;#ASMEND
	;;#ASMSTART
	v_cvt_f32_f16 v80, v1;
	;;#ASMEND
	global_load_dwordx4 v[1:4], v[7:8], off offset:1536
	s_waitcnt vmcnt(0)
	v_lshrrev_b32_e32 v78, 16, v1
	v_lshrrev_b32_e32 v8, 16, v2
	;; [unrolled: 1-line block ×3, first 2 shown]
	s_and_saveexec_b32 s1, s0
	s_cbranch_execz .LBB96_33
; %bb.67:                               ;   in Loop: Header=BB96_35 Depth=1
	v_cmp_gt_i32_e32 vcc_lo, s28, v48
	v_cmp_gt_i32_e64 s0, s28, v47
	v_cndmask_b32_e32 v1, 0, v1, vcc_lo
	v_cmp_gt_i32_e32 vcc_lo, s28, v50
	v_cndmask_b32_e64 v2, 0, v2, s0
	v_cmp_gt_i32_e64 s0, s28, v46
	v_and_b32_e32 v46, 0xffff0000, v4
	v_cndmask_b32_e32 v78, 0, v78, vcc_lo
	v_cmp_gt_i32_e32 vcc_lo, s28, v49
	v_cndmask_b32_e64 v8, 0, v8, s0
	v_cndmask_b32_sdwa v4, v30, v4, vcc_lo dst_sel:DWORD dst_unused:UNUSED_PAD src0_sel:DWORD src1_sel:WORD_0
	v_cmp_gt_i32_e32 vcc_lo, s28, v44
	v_cndmask_b32_e32 v44, 0, v46, vcc_lo
	v_cmp_gt_i32_e32 vcc_lo, s28, v38
	v_or_b32_e32 v4, v4, v44
	v_cndmask_b32_e32 v3, 0, v3, vcc_lo
	v_cmp_gt_i32_e32 vcc_lo, s28, v37
	v_cndmask_b32_e32 v7, 0, v7, vcc_lo
	s_branch .LBB96_33
.LBB96_68:
	s_or_b32 exec_lo, exec_lo, s13
.LBB96_69:
	s_or_b32 exec_lo, exec_lo, s2
	ds_bpermute_b32 v3, v12, v27
	ds_bpermute_b32 v31, v12, v18
	;; [unrolled: 1-line block ×16, first 2 shown]
	s_mov_b32 s0, exec_lo
	s_waitcnt lgkmcnt(0)
	s_barrier
	buffer_gl0_inv
	v_add_f32_e32 v3, v27, v3
	v_add_f32_e32 v18, v18, v31
	v_add_f32_e32 v1, v29, v1
	v_add_f32_e32 v2, v28, v2
	v_add_f32_e32 v4, v26, v4
	v_add_f32_e32 v5, v25, v5
	v_add_f32_e32 v6, v24, v6
	ds_bpermute_b32 v26, v11, v3
	v_add_f32_e32 v7, v23, v7
	v_add_f32_e32 v8, v22, v8
	;; [unrolled: 1-line block ×7, first 2 shown]
	ds_bpermute_b32 v35, v11, v18
	v_add_f32_e32 v34, v15, v34
	v_add_f32_e32 v37, v14, v12
	ds_bpermute_b32 v24, v11, v1
	ds_bpermute_b32 v25, v11, v2
	ds_bpermute_b32 v27, v11, v4
	ds_bpermute_b32 v23, v11, v5
	ds_bpermute_b32 v22, v11, v6
	ds_bpermute_b32 v9, v11, v7
	ds_bpermute_b32 v28, v11, v8
	ds_bpermute_b32 v29, v11, v21
	ds_bpermute_b32 v30, v11, v20
	ds_bpermute_b32 v32, v11, v19
	ds_bpermute_b32 v36, v11, v31
	ds_bpermute_b32 v38, v11, v33
	ds_bpermute_b32 v39, v11, v34
	ds_bpermute_b32 v40, v11, v37
	s_waitcnt lgkmcnt(15)
	v_add_f32_e32 v15, v3, v26
	s_waitcnt lgkmcnt(14)
	v_add_f32_e32 v3, v18, v35
	v_and_b32_e32 v18, 28, v64
	s_waitcnt lgkmcnt(13)
	v_add_f32_e32 v17, v1, v24
	s_waitcnt lgkmcnt(12)
	v_add_f32_e32 v16, v2, v25
	;; [unrolled: 2-line block ×13, first 2 shown]
	v_and_b32_e32 v21, 0x3c3, v0
	s_waitcnt lgkmcnt(0)
	v_add_f32_e32 v5, v37, v40
	v_lshrrev_b32_e32 v19, 2, v64
	v_add_nc_u32_e32 v18, 0x120, v18
	v_lshlrev_b32_e32 v20, 9, v63
	v_cmpx_eq_u32_e32 64, v21
	s_cbranch_execz .LBB96_71
; %bb.70:
	v_add_nc_u32_e32 v21, v18, v20
	v_add_nc_u32_e32 v22, 0xfffffc00, v21
	;; [unrolled: 1-line block ×7, first 2 shown]
	ds_write_b32 v22, v17
	ds_write_b32 v23, v16
	;; [unrolled: 1-line block ×6, first 2 shown]
	v_add_nc_u32_e32 v22, 0xfffffcc0, v21
	v_add_nc_u32_e32 v23, 0xfffffce0, v21
	;; [unrolled: 1-line block ×5, first 2 shown]
	ds_write_b32 v22, v10
	ds_write_b32 v23, v9
	;; [unrolled: 1-line block ×5, first 2 shown]
	v_add_nc_u32_e32 v22, 0xfffffd60, v21
	v_add_nc_u32_e32 v23, 0xfffffd80, v21
	;; [unrolled: 1-line block ×5, first 2 shown]
	ds_write_b32 v22, v3
	ds_write_b32 v23, v2
	;; [unrolled: 1-line block ×5, first 2 shown]
.LBB96_71:
	s_or_b32 exec_lo, exec_lo, s0
	v_lshlrev_b32_e32 v19, 2, v19
	v_cmp_eq_u32_e32 vcc_lo, 0, v13
	s_mov_b32 s1, exec_lo
	s_waitcnt lgkmcnt(0)
	s_barrier
	v_add3_u32 v13, 0x120, v20, v19
	buffer_gl0_inv
	v_cmpx_gt_u32_e32 64, v0
	s_cbranch_execz .LBB96_90
; %bb.72:
	s_and_saveexec_b32 s0, vcc_lo
	s_cbranch_execnz .LBB96_114
; %bb.73:
	s_or_b32 exec_lo, exec_lo, s0
	s_and_saveexec_b32 s0, vcc_lo
	s_cbranch_execnz .LBB96_115
.LBB96_74:
	s_or_b32 exec_lo, exec_lo, s0
	s_and_saveexec_b32 s0, vcc_lo
	s_cbranch_execnz .LBB96_116
.LBB96_75:
	s_or_b32 exec_lo, exec_lo, s0
	s_and_saveexec_b32 s0, vcc_lo
	s_cbranch_execnz .LBB96_117
.LBB96_76:
	s_or_b32 exec_lo, exec_lo, s0
	s_and_saveexec_b32 s0, vcc_lo
	s_cbranch_execnz .LBB96_118
.LBB96_77:
	s_or_b32 exec_lo, exec_lo, s0
	s_and_saveexec_b32 s0, vcc_lo
	s_cbranch_execnz .LBB96_119
.LBB96_78:
	s_or_b32 exec_lo, exec_lo, s0
	s_and_saveexec_b32 s0, vcc_lo
	s_cbranch_execnz .LBB96_120
.LBB96_79:
	s_or_b32 exec_lo, exec_lo, s0
	s_and_saveexec_b32 s0, vcc_lo
	s_cbranch_execnz .LBB96_121
.LBB96_80:
	s_or_b32 exec_lo, exec_lo, s0
	s_and_saveexec_b32 s0, vcc_lo
	s_cbranch_execnz .LBB96_122
.LBB96_81:
	s_or_b32 exec_lo, exec_lo, s0
	s_and_saveexec_b32 s0, vcc_lo
	s_cbranch_execnz .LBB96_123
.LBB96_82:
	s_or_b32 exec_lo, exec_lo, s0
	s_and_saveexec_b32 s0, vcc_lo
	s_cbranch_execnz .LBB96_124
.LBB96_83:
	s_or_b32 exec_lo, exec_lo, s0
	s_and_saveexec_b32 s0, vcc_lo
	s_cbranch_execnz .LBB96_125
.LBB96_84:
	s_or_b32 exec_lo, exec_lo, s0
	s_and_saveexec_b32 s0, vcc_lo
	s_cbranch_execnz .LBB96_126
.LBB96_85:
	s_or_b32 exec_lo, exec_lo, s0
	s_and_saveexec_b32 s0, vcc_lo
	s_cbranch_execnz .LBB96_127
.LBB96_86:
	s_or_b32 exec_lo, exec_lo, s0
	s_and_saveexec_b32 s0, vcc_lo
	s_cbranch_execnz .LBB96_128
.LBB96_87:
	s_or_b32 exec_lo, exec_lo, s0
	s_and_saveexec_b32 s0, vcc_lo
	s_cbranch_execz .LBB96_89
.LBB96_88:
	ds_read_b32 v19, v13 offset:480
	s_waitcnt lgkmcnt(0)
	v_add_f32_e32 v5, v5, v19
.LBB96_89:
	s_or_b32 exec_lo, exec_lo, s0
.LBB96_90:
	s_or_b32 exec_lo, exec_lo, s1
	v_and_b32_e32 v19, 0x3e3, v0
	s_mov_b32 s1, exec_lo
	s_barrier
	buffer_gl0_inv
	v_cmpx_eq_u32_e32 32, v19
	s_cbranch_execz .LBB96_92
; %bb.91:
	ds_write2_b32 v18, v17, v16 offset1:8
	ds_write2_b32 v18, v15, v14 offset0:16 offset1:24
	ds_write2_b32 v18, v12, v11 offset0:32 offset1:40
	;; [unrolled: 1-line block ×7, first 2 shown]
.LBB96_92:
	s_or_b32 exec_lo, exec_lo, s1
	s_mov_b32 s1, exec_lo
	s_waitcnt lgkmcnt(0)
	s_barrier
	buffer_gl0_inv
	v_cmpx_gt_u32_e32 32, v0
	s_cbranch_execz .LBB96_111
; %bb.93:
	s_and_saveexec_b32 s0, vcc_lo
	s_cbranch_execnz .LBB96_129
; %bb.94:
	s_or_b32 exec_lo, exec_lo, s0
	s_and_saveexec_b32 s0, vcc_lo
	s_cbranch_execnz .LBB96_130
.LBB96_95:
	s_or_b32 exec_lo, exec_lo, s0
	s_and_saveexec_b32 s0, vcc_lo
	s_cbranch_execnz .LBB96_131
.LBB96_96:
	s_or_b32 exec_lo, exec_lo, s0
	s_and_saveexec_b32 s0, vcc_lo
	s_cbranch_execnz .LBB96_132
.LBB96_97:
	s_or_b32 exec_lo, exec_lo, s0
	s_and_saveexec_b32 s0, vcc_lo
	s_cbranch_execnz .LBB96_133
.LBB96_98:
	s_or_b32 exec_lo, exec_lo, s0
	s_and_saveexec_b32 s0, vcc_lo
	s_cbranch_execnz .LBB96_134
.LBB96_99:
	s_or_b32 exec_lo, exec_lo, s0
	s_and_saveexec_b32 s0, vcc_lo
	s_cbranch_execnz .LBB96_135
.LBB96_100:
	s_or_b32 exec_lo, exec_lo, s0
	s_and_saveexec_b32 s0, vcc_lo
	s_cbranch_execnz .LBB96_136
.LBB96_101:
	s_or_b32 exec_lo, exec_lo, s0
	s_and_saveexec_b32 s0, vcc_lo
	s_cbranch_execnz .LBB96_137
.LBB96_102:
	s_or_b32 exec_lo, exec_lo, s0
	s_and_saveexec_b32 s0, vcc_lo
	s_cbranch_execnz .LBB96_138
.LBB96_103:
	s_or_b32 exec_lo, exec_lo, s0
	s_and_saveexec_b32 s0, vcc_lo
	s_cbranch_execnz .LBB96_139
.LBB96_104:
	s_or_b32 exec_lo, exec_lo, s0
	s_and_saveexec_b32 s0, vcc_lo
	s_cbranch_execnz .LBB96_140
.LBB96_105:
	s_or_b32 exec_lo, exec_lo, s0
	s_and_saveexec_b32 s0, vcc_lo
	s_cbranch_execnz .LBB96_141
.LBB96_106:
	s_or_b32 exec_lo, exec_lo, s0
	s_and_saveexec_b32 s0, vcc_lo
	s_cbranch_execnz .LBB96_142
.LBB96_107:
	s_or_b32 exec_lo, exec_lo, s0
	s_and_saveexec_b32 s0, vcc_lo
	s_cbranch_execnz .LBB96_143
.LBB96_108:
	s_or_b32 exec_lo, exec_lo, s0
	s_and_saveexec_b32 s0, vcc_lo
	s_cbranch_execz .LBB96_110
.LBB96_109:
	ds_read_b32 v13, v13 offset:480
	s_waitcnt lgkmcnt(0)
	v_add_f32_e32 v5, v5, v13
.LBB96_110:
	s_or_b32 exec_lo, exec_lo, s0
.LBB96_111:
	s_or_b32 exec_lo, exec_lo, s1
	s_barrier
	buffer_gl0_inv
	s_mov_b32 s0, exec_lo
	v_cmpx_eq_u32_e32 0, v19
	s_cbranch_execz .LBB96_113
; %bb.112:
	s_mul_i32 s0, s10, s11
	s_mul_i32 s2, s11, s20
	;; [unrolled: 1-line block ×3, first 2 shown]
	v_lshrrev_b32_e32 v0, 1, v0
	s_lshl_b32 s0, s0, 7
	;;#ASMSTART
	v_cvt_f16_f32 v13, v17;

	;;#ASMEND
	s_ashr_i32 s1, s0, 31
	s_lshl_b64 s[0:1], s[0:1], 1
	s_add_u32 s4, s6, s0
	s_addc_u32 s5, s7, s1
	s_ashr_i32 s3, s2, 31
	s_lshl_b64 s[0:1], s[2:3], 1
	s_add_u32 s2, s4, s0
	s_addc_u32 s3, s5, s1
	s_lshl_b32 s0, s8, 7
	s_ashr_i32 s1, s0, 31
	s_lshl_b64 s[0:1], s[0:1], 1
	s_add_u32 s0, s2, s0
	s_addc_u32 s1, s3, s1
	global_store_short v0, v13, s[0:1]
	;;#ASMSTART
	v_cvt_f16_f32 v13, v16;

	;;#ASMEND
	global_store_short v0, v13, s[0:1] offset:16
	;;#ASMSTART
	v_cvt_f16_f32 v13, v15;

	;;#ASMEND
	global_store_short v0, v13, s[0:1] offset:32
	;; [unrolled: 5-line block ×15, first 2 shown]
.LBB96_113:
	s_endpgm
.LBB96_114:
	ds_read_b32 v19, v13
	s_waitcnt lgkmcnt(0)
	v_add_f32_e32 v17, v17, v19
	s_or_b32 exec_lo, exec_lo, s0
	s_and_saveexec_b32 s0, vcc_lo
	s_cbranch_execz .LBB96_74
.LBB96_115:
	ds_read_b32 v19, v13 offset:32
	s_waitcnt lgkmcnt(0)
	v_add_f32_e32 v16, v16, v19
	s_or_b32 exec_lo, exec_lo, s0
	s_and_saveexec_b32 s0, vcc_lo
	s_cbranch_execz .LBB96_75
.LBB96_116:
	ds_read_b32 v19, v13 offset:64
	s_waitcnt lgkmcnt(0)
	v_add_f32_e32 v15, v15, v19
	s_or_b32 exec_lo, exec_lo, s0
	s_and_saveexec_b32 s0, vcc_lo
	s_cbranch_execz .LBB96_76
.LBB96_117:
	ds_read_b32 v19, v13 offset:96
	s_waitcnt lgkmcnt(0)
	v_add_f32_e32 v14, v14, v19
	s_or_b32 exec_lo, exec_lo, s0
	s_and_saveexec_b32 s0, vcc_lo
	s_cbranch_execz .LBB96_77
.LBB96_118:
	ds_read_b32 v19, v13 offset:128
	s_waitcnt lgkmcnt(0)
	v_add_f32_e32 v12, v12, v19
	s_or_b32 exec_lo, exec_lo, s0
	s_and_saveexec_b32 s0, vcc_lo
	s_cbranch_execz .LBB96_78
.LBB96_119:
	ds_read_b32 v19, v13 offset:160
	s_waitcnt lgkmcnt(0)
	v_add_f32_e32 v11, v11, v19
	s_or_b32 exec_lo, exec_lo, s0
	s_and_saveexec_b32 s0, vcc_lo
	s_cbranch_execz .LBB96_79
.LBB96_120:
	ds_read_b32 v19, v13 offset:192
	s_waitcnt lgkmcnt(0)
	v_add_f32_e32 v10, v10, v19
	s_or_b32 exec_lo, exec_lo, s0
	s_and_saveexec_b32 s0, vcc_lo
	s_cbranch_execz .LBB96_80
.LBB96_121:
	ds_read_b32 v19, v13 offset:224
	s_waitcnt lgkmcnt(0)
	v_add_f32_e32 v9, v9, v19
	s_or_b32 exec_lo, exec_lo, s0
	s_and_saveexec_b32 s0, vcc_lo
	s_cbranch_execz .LBB96_81
.LBB96_122:
	ds_read_b32 v19, v13 offset:256
	s_waitcnt lgkmcnt(0)
	v_add_f32_e32 v8, v8, v19
	s_or_b32 exec_lo, exec_lo, s0
	s_and_saveexec_b32 s0, vcc_lo
	s_cbranch_execz .LBB96_82
.LBB96_123:
	ds_read_b32 v19, v13 offset:288
	s_waitcnt lgkmcnt(0)
	v_add_f32_e32 v7, v7, v19
	s_or_b32 exec_lo, exec_lo, s0
	s_and_saveexec_b32 s0, vcc_lo
	s_cbranch_execz .LBB96_83
.LBB96_124:
	ds_read_b32 v19, v13 offset:320
	s_waitcnt lgkmcnt(0)
	v_add_f32_e32 v6, v6, v19
	s_or_b32 exec_lo, exec_lo, s0
	s_and_saveexec_b32 s0, vcc_lo
	s_cbranch_execz .LBB96_84
.LBB96_125:
	ds_read_b32 v19, v13 offset:352
	s_waitcnt lgkmcnt(0)
	v_add_f32_e32 v3, v3, v19
	s_or_b32 exec_lo, exec_lo, s0
	s_and_saveexec_b32 s0, vcc_lo
	s_cbranch_execz .LBB96_85
.LBB96_126:
	ds_read_b32 v19, v13 offset:384
	s_waitcnt lgkmcnt(0)
	v_add_f32_e32 v2, v2, v19
	s_or_b32 exec_lo, exec_lo, s0
	s_and_saveexec_b32 s0, vcc_lo
	s_cbranch_execz .LBB96_86
.LBB96_127:
	ds_read_b32 v19, v13 offset:416
	s_waitcnt lgkmcnt(0)
	v_add_f32_e32 v1, v1, v19
	s_or_b32 exec_lo, exec_lo, s0
	s_and_saveexec_b32 s0, vcc_lo
	s_cbranch_execz .LBB96_87
.LBB96_128:
	ds_read_b32 v19, v13 offset:448
	s_waitcnt lgkmcnt(0)
	v_add_f32_e32 v4, v4, v19
	s_or_b32 exec_lo, exec_lo, s0
	s_and_saveexec_b32 s0, vcc_lo
	s_cbranch_execnz .LBB96_88
	s_branch .LBB96_89
.LBB96_129:
	ds_read_b32 v18, v13
	s_waitcnt lgkmcnt(0)
	v_add_f32_e32 v17, v17, v18
	s_or_b32 exec_lo, exec_lo, s0
	s_and_saveexec_b32 s0, vcc_lo
	s_cbranch_execz .LBB96_95
.LBB96_130:
	ds_read_b32 v18, v13 offset:32
	s_waitcnt lgkmcnt(0)
	v_add_f32_e32 v16, v16, v18
	s_or_b32 exec_lo, exec_lo, s0
	s_and_saveexec_b32 s0, vcc_lo
	s_cbranch_execz .LBB96_96
.LBB96_131:
	ds_read_b32 v18, v13 offset:64
	s_waitcnt lgkmcnt(0)
	v_add_f32_e32 v15, v15, v18
	s_or_b32 exec_lo, exec_lo, s0
	s_and_saveexec_b32 s0, vcc_lo
	s_cbranch_execz .LBB96_97
.LBB96_132:
	ds_read_b32 v18, v13 offset:96
	s_waitcnt lgkmcnt(0)
	v_add_f32_e32 v14, v14, v18
	s_or_b32 exec_lo, exec_lo, s0
	s_and_saveexec_b32 s0, vcc_lo
	s_cbranch_execz .LBB96_98
.LBB96_133:
	ds_read_b32 v18, v13 offset:128
	s_waitcnt lgkmcnt(0)
	v_add_f32_e32 v12, v12, v18
	s_or_b32 exec_lo, exec_lo, s0
	s_and_saveexec_b32 s0, vcc_lo
	s_cbranch_execz .LBB96_99
.LBB96_134:
	ds_read_b32 v18, v13 offset:160
	s_waitcnt lgkmcnt(0)
	v_add_f32_e32 v11, v11, v18
	s_or_b32 exec_lo, exec_lo, s0
	s_and_saveexec_b32 s0, vcc_lo
	s_cbranch_execz .LBB96_100
.LBB96_135:
	ds_read_b32 v18, v13 offset:192
	s_waitcnt lgkmcnt(0)
	v_add_f32_e32 v10, v10, v18
	s_or_b32 exec_lo, exec_lo, s0
	s_and_saveexec_b32 s0, vcc_lo
	s_cbranch_execz .LBB96_101
.LBB96_136:
	ds_read_b32 v18, v13 offset:224
	s_waitcnt lgkmcnt(0)
	v_add_f32_e32 v9, v9, v18
	s_or_b32 exec_lo, exec_lo, s0
	s_and_saveexec_b32 s0, vcc_lo
	s_cbranch_execz .LBB96_102
.LBB96_137:
	ds_read_b32 v18, v13 offset:256
	s_waitcnt lgkmcnt(0)
	v_add_f32_e32 v8, v8, v18
	s_or_b32 exec_lo, exec_lo, s0
	s_and_saveexec_b32 s0, vcc_lo
	s_cbranch_execz .LBB96_103
.LBB96_138:
	ds_read_b32 v18, v13 offset:288
	s_waitcnt lgkmcnt(0)
	v_add_f32_e32 v7, v7, v18
	s_or_b32 exec_lo, exec_lo, s0
	s_and_saveexec_b32 s0, vcc_lo
	s_cbranch_execz .LBB96_104
.LBB96_139:
	ds_read_b32 v18, v13 offset:320
	s_waitcnt lgkmcnt(0)
	v_add_f32_e32 v6, v6, v18
	s_or_b32 exec_lo, exec_lo, s0
	s_and_saveexec_b32 s0, vcc_lo
	s_cbranch_execz .LBB96_105
.LBB96_140:
	ds_read_b32 v18, v13 offset:352
	s_waitcnt lgkmcnt(0)
	v_add_f32_e32 v3, v3, v18
	s_or_b32 exec_lo, exec_lo, s0
	s_and_saveexec_b32 s0, vcc_lo
	s_cbranch_execz .LBB96_106
.LBB96_141:
	ds_read_b32 v18, v13 offset:384
	s_waitcnt lgkmcnt(0)
	v_add_f32_e32 v2, v2, v18
	s_or_b32 exec_lo, exec_lo, s0
	s_and_saveexec_b32 s0, vcc_lo
	s_cbranch_execz .LBB96_107
.LBB96_142:
	ds_read_b32 v18, v13 offset:416
	s_waitcnt lgkmcnt(0)
	v_add_f32_e32 v1, v1, v18
	s_or_b32 exec_lo, exec_lo, s0
	s_and_saveexec_b32 s0, vcc_lo
	s_cbranch_execz .LBB96_108
.LBB96_143:
	ds_read_b32 v18, v13 offset:448
	s_waitcnt lgkmcnt(0)
	v_add_f32_e32 v4, v4, v18
	s_or_b32 exec_lo, exec_lo, s0
	s_and_saveexec_b32 s0, vcc_lo
	s_cbranch_execnz .LBB96_109
	s_branch .LBB96_110
	.section	.rodata,"a",@progbits
	.p2align	6, 0x0
	.amdhsa_kernel _ZN4vllm25paged_attention_v1_kernelIttLi128ELi32ELi128ELNS_18Fp8KVCacheDataTypeE0ELb1EEEvPT_PKS2_PKT0_S8_ifPKiSA_iPKfiiiSC_SC_iiiii
		.amdhsa_group_segment_fixed_size 288
		.amdhsa_private_segment_fixed_size 0
		.amdhsa_kernarg_size 384
		.amdhsa_user_sgpr_count 6
		.amdhsa_user_sgpr_private_segment_buffer 1
		.amdhsa_user_sgpr_dispatch_ptr 0
		.amdhsa_user_sgpr_queue_ptr 0
		.amdhsa_user_sgpr_kernarg_segment_ptr 1
		.amdhsa_user_sgpr_dispatch_id 0
		.amdhsa_user_sgpr_flat_scratch_init 0
		.amdhsa_user_sgpr_private_segment_size 0
		.amdhsa_wavefront_size32 1
		.amdhsa_uses_dynamic_stack 0
		.amdhsa_system_sgpr_private_segment_wavefront_offset 0
		.amdhsa_system_sgpr_workgroup_id_x 1
		.amdhsa_system_sgpr_workgroup_id_y 1
		.amdhsa_system_sgpr_workgroup_id_z 1
		.amdhsa_system_sgpr_workgroup_info 0
		.amdhsa_system_vgpr_workitem_id 0
		.amdhsa_next_free_vgpr 102
		.amdhsa_next_free_sgpr 38
		.amdhsa_reserve_vcc 1
		.amdhsa_reserve_flat_scratch 0
		.amdhsa_float_round_mode_32 0
		.amdhsa_float_round_mode_16_64 0
		.amdhsa_float_denorm_mode_32 3
		.amdhsa_float_denorm_mode_16_64 3
		.amdhsa_dx10_clamp 1
		.amdhsa_ieee_mode 1
		.amdhsa_fp16_overflow 0
		.amdhsa_workgroup_processor_mode 1
		.amdhsa_memory_ordered 1
		.amdhsa_forward_progress 1
		.amdhsa_shared_vgpr_count 0
		.amdhsa_exception_fp_ieee_invalid_op 0
		.amdhsa_exception_fp_denorm_src 0
		.amdhsa_exception_fp_ieee_div_zero 0
		.amdhsa_exception_fp_ieee_overflow 0
		.amdhsa_exception_fp_ieee_underflow 0
		.amdhsa_exception_fp_ieee_inexact 0
		.amdhsa_exception_int_div_zero 0
	.end_amdhsa_kernel
	.section	.text._ZN4vllm25paged_attention_v1_kernelIttLi128ELi32ELi128ELNS_18Fp8KVCacheDataTypeE0ELb1EEEvPT_PKS2_PKT0_S8_ifPKiSA_iPKfiiiSC_SC_iiiii,"axG",@progbits,_ZN4vllm25paged_attention_v1_kernelIttLi128ELi32ELi128ELNS_18Fp8KVCacheDataTypeE0ELb1EEEvPT_PKS2_PKT0_S8_ifPKiSA_iPKfiiiSC_SC_iiiii,comdat
.Lfunc_end96:
	.size	_ZN4vllm25paged_attention_v1_kernelIttLi128ELi32ELi128ELNS_18Fp8KVCacheDataTypeE0ELb1EEEvPT_PKS2_PKT0_S8_ifPKiSA_iPKfiiiSC_SC_iiiii, .Lfunc_end96-_ZN4vllm25paged_attention_v1_kernelIttLi128ELi32ELi128ELNS_18Fp8KVCacheDataTypeE0ELb1EEEvPT_PKS2_PKT0_S8_ifPKiSA_iPKfiiiSC_SC_iiiii
                                        ; -- End function
	.set _ZN4vllm25paged_attention_v1_kernelIttLi128ELi32ELi128ELNS_18Fp8KVCacheDataTypeE0ELb1EEEvPT_PKS2_PKT0_S8_ifPKiSA_iPKfiiiSC_SC_iiiii.num_vgpr, 102
	.set _ZN4vllm25paged_attention_v1_kernelIttLi128ELi32ELi128ELNS_18Fp8KVCacheDataTypeE0ELb1EEEvPT_PKS2_PKT0_S8_ifPKiSA_iPKfiiiSC_SC_iiiii.num_agpr, 0
	.set _ZN4vllm25paged_attention_v1_kernelIttLi128ELi32ELi128ELNS_18Fp8KVCacheDataTypeE0ELb1EEEvPT_PKS2_PKT0_S8_ifPKiSA_iPKfiiiSC_SC_iiiii.numbered_sgpr, 38
	.set _ZN4vllm25paged_attention_v1_kernelIttLi128ELi32ELi128ELNS_18Fp8KVCacheDataTypeE0ELb1EEEvPT_PKS2_PKT0_S8_ifPKiSA_iPKfiiiSC_SC_iiiii.num_named_barrier, 0
	.set _ZN4vllm25paged_attention_v1_kernelIttLi128ELi32ELi128ELNS_18Fp8KVCacheDataTypeE0ELb1EEEvPT_PKS2_PKT0_S8_ifPKiSA_iPKfiiiSC_SC_iiiii.private_seg_size, 0
	.set _ZN4vllm25paged_attention_v1_kernelIttLi128ELi32ELi128ELNS_18Fp8KVCacheDataTypeE0ELb1EEEvPT_PKS2_PKT0_S8_ifPKiSA_iPKfiiiSC_SC_iiiii.uses_vcc, 1
	.set _ZN4vllm25paged_attention_v1_kernelIttLi128ELi32ELi128ELNS_18Fp8KVCacheDataTypeE0ELb1EEEvPT_PKS2_PKT0_S8_ifPKiSA_iPKfiiiSC_SC_iiiii.uses_flat_scratch, 0
	.set _ZN4vllm25paged_attention_v1_kernelIttLi128ELi32ELi128ELNS_18Fp8KVCacheDataTypeE0ELb1EEEvPT_PKS2_PKT0_S8_ifPKiSA_iPKfiiiSC_SC_iiiii.has_dyn_sized_stack, 0
	.set _ZN4vllm25paged_attention_v1_kernelIttLi128ELi32ELi128ELNS_18Fp8KVCacheDataTypeE0ELb1EEEvPT_PKS2_PKT0_S8_ifPKiSA_iPKfiiiSC_SC_iiiii.has_recursion, 0
	.set _ZN4vllm25paged_attention_v1_kernelIttLi128ELi32ELi128ELNS_18Fp8KVCacheDataTypeE0ELb1EEEvPT_PKS2_PKT0_S8_ifPKiSA_iPKfiiiSC_SC_iiiii.has_indirect_call, 0
	.section	.AMDGPU.csdata,"",@progbits
; Kernel info:
; codeLenInByte = 19684
; TotalNumSgprs: 40
; NumVgprs: 102
; ScratchSize: 0
; MemoryBound: 0
; FloatMode: 240
; IeeeMode: 1
; LDSByteSize: 288 bytes/workgroup (compile time only)
; SGPRBlocks: 0
; VGPRBlocks: 12
; NumSGPRsForWavesPerEU: 40
; NumVGPRsForWavesPerEU: 102
; Occupancy: 9
; WaveLimiterHint : 1
; COMPUTE_PGM_RSRC2:SCRATCH_EN: 0
; COMPUTE_PGM_RSRC2:USER_SGPR: 6
; COMPUTE_PGM_RSRC2:TRAP_HANDLER: 0
; COMPUTE_PGM_RSRC2:TGID_X_EN: 1
; COMPUTE_PGM_RSRC2:TGID_Y_EN: 1
; COMPUTE_PGM_RSRC2:TGID_Z_EN: 1
; COMPUTE_PGM_RSRC2:TIDIG_COMP_CNT: 0
	.section	.text._ZN4vllm25paged_attention_v1_kernelIttLi192ELi32ELi128ELNS_18Fp8KVCacheDataTypeE0ELb1EEEvPT_PKS2_PKT0_S8_ifPKiSA_iPKfiiiSC_SC_iiiii,"axG",@progbits,_ZN4vllm25paged_attention_v1_kernelIttLi192ELi32ELi128ELNS_18Fp8KVCacheDataTypeE0ELb1EEEvPT_PKS2_PKT0_S8_ifPKiSA_iPKfiiiSC_SC_iiiii,comdat
	.protected	_ZN4vllm25paged_attention_v1_kernelIttLi192ELi32ELi128ELNS_18Fp8KVCacheDataTypeE0ELb1EEEvPT_PKS2_PKT0_S8_ifPKiSA_iPKfiiiSC_SC_iiiii ; -- Begin function _ZN4vllm25paged_attention_v1_kernelIttLi192ELi32ELi128ELNS_18Fp8KVCacheDataTypeE0ELb1EEEvPT_PKS2_PKT0_S8_ifPKiSA_iPKfiiiSC_SC_iiiii
	.globl	_ZN4vllm25paged_attention_v1_kernelIttLi192ELi32ELi128ELNS_18Fp8KVCacheDataTypeE0ELb1EEEvPT_PKS2_PKT0_S8_ifPKiSA_iPKfiiiSC_SC_iiiii
	.p2align	8
	.type	_ZN4vllm25paged_attention_v1_kernelIttLi192ELi32ELi128ELNS_18Fp8KVCacheDataTypeE0ELb1EEEvPT_PKS2_PKT0_S8_ifPKiSA_iPKfiiiSC_SC_iiiii,@function
_ZN4vllm25paged_attention_v1_kernelIttLi192ELi32ELi128ELNS_18Fp8KVCacheDataTypeE0ELb1EEEvPT_PKS2_PKT0_S8_ifPKiSA_iPKfiiiSC_SC_iiiii: ; @_ZN4vllm25paged_attention_v1_kernelIttLi192ELi32ELi128ELNS_18Fp8KVCacheDataTypeE0ELb1EEEvPT_PKS2_PKT0_S8_ifPKiSA_iPKfiiiSC_SC_iiiii
; %bb.0:
	s_clause 0x2
	s_load_dword s9, s[4:5], 0x80
	s_load_dwordx2 s[0:1], s[4:5], 0x30
	s_load_dwordx2 s[2:3], s[4:5], 0x20
	s_mov_b32 s10, s7
	s_ashr_i32 s11, s7, 31
	s_mov_b32 s31, 0
	s_lshl_b64 s[12:13], s[10:11], 2
	s_waitcnt lgkmcnt(0)
	s_add_u32 s0, s0, s12
	s_addc_u32 s1, s1, s13
	s_abs_i32 s7, s2
	s_abs_i32 s13, s9
	v_cvt_f32_u32_e32 v1, s7
	s_sub_i32 s12, 0, s7
	v_rcp_iflag_f32_e32 v1, v1
	v_mul_f32_e32 v1, 0x4f7ffffe, v1
	v_cvt_u32_f32_e32 v1, v1
	v_readfirstlane_b32 s11, v1
	s_mul_i32 s12, s12, s11
	s_mul_hi_u32 s12, s11, s12
	s_add_i32 s11, s11, s12
	s_xor_b32 s12, s9, s2
	s_mul_hi_u32 s11, s13, s11
	s_ashr_i32 s12, s12, 31
	s_mul_i32 s14, s11, s7
	s_sub_i32 s13, s13, s14
	s_add_i32 s14, s11, 1
	s_sub_i32 s15, s13, s7
	s_cmp_ge_u32 s13, s7
	s_cselect_b32 s11, s14, s11
	s_cselect_b32 s13, s15, s13
	s_add_i32 s14, s11, 1
	s_cmp_ge_u32 s13, s7
	s_cselect_b32 s7, s14, s11
	s_abs_i32 s22, s6
	s_xor_b32 s7, s7, s12
	s_sub_i32 s16, s7, s12
	s_load_dwordx2 s[12:13], s[4:5], 0x40
	s_abs_i32 s11, s16
	v_cvt_f32_u32_e32 v1, s11
	s_sub_i32 s14, 0, s11
	v_rcp_iflag_f32_e32 v1, v1
	v_mul_f32_e32 v1, 0x4f7ffffe, v1
	v_cvt_u32_f32_e32 v1, v1
	v_readfirstlane_b32 s7, v1
	s_mul_i32 s14, s14, s7
	s_mul_hi_u32 s14, s7, s14
	s_add_i32 s7, s7, s14
	s_waitcnt lgkmcnt(0)
	s_cmp_eq_u64 s[12:13], 0
	s_mul_hi_u32 s23, s22, s7
	s_cbranch_scc1 .LBB97_2
; %bb.1:
	s_ashr_i32 s7, s6, 31
	s_lshl_b64 s[14:15], s[6:7], 2
	s_add_u32 s12, s12, s14
	s_addc_u32 s13, s13, s15
	s_load_dword s31, s[12:13], 0x0
.LBB97_2:
	s_load_dword s28, s[0:1], 0x0
	s_load_dwordx4 s[12:15], s[4:5], 0x48
	v_lshlrev_b32_e32 v37, 4, v0
	s_ashr_i32 s0, s6, 31
	s_ashr_i32 s1, s16, 31
	s_mul_i32 s20, s6, 0xc0
	s_mov_b32 s7, exec_lo
	v_cmpx_gt_u32_e32 24, v0
	s_cbranch_execz .LBB97_4
; %bb.3:
	s_load_dwordx2 s[16:17], s[4:5], 0x8
	s_waitcnt lgkmcnt(0)
	s_mul_i32 s18, s12, s10
	s_ashr_i32 s19, s18, 31
	s_lshl_b64 s[18:19], s[18:19], 1
	s_add_u32 s12, s16, s18
	s_addc_u32 s15, s17, s19
	s_ashr_i32 s21, s20, 31
	s_lshl_b64 s[16:17], s[20:21], 1
	s_add_u32 s16, s12, s16
	s_addc_u32 s17, s15, s17
	global_load_dwordx4 v[1:4], v37, s[16:17]
	s_waitcnt vmcnt(0)
	ds_write_b128 v37, v[1:4]
.LBB97_4:
	s_or_b32 exec_lo, exec_lo, s7
	s_load_dwordx4 s[16:19], s[4:5], 0x68
	s_mul_i32 s7, s23, s11
	s_xor_b32 s1, s0, s1
	s_sub_i32 s0, s22, s7
	s_add_i32 s7, s23, 1
	s_waitcnt lgkmcnt(0)
	s_sub_i32 s12, s0, s11
	s_cmp_ge_u32 s0, s11
	s_mov_b32 s24, -1
	s_cselect_b32 s7, s7, s23
	s_cselect_b32 s0, s12, s0
	s_add_i32 s12, s7, 1
	s_cmp_ge_u32 s0, s11
	s_load_dword s0, s[4:5], 0x78
	s_cselect_b32 s7, s12, s7
	s_add_i32 s11, s28, -1
	s_xor_b32 s7, s7, s1
	s_waitcnt lgkmcnt(0)
	s_sub_i32 s1, s7, s1
	s_barrier
	buffer_gl0_inv
	s_abs_i32 s12, s19
                                        ; implicit-def: $sgpr29
	v_cvt_f32_u32_e32 v1, s12
	s_sub_i32 s7, 0, s12
	v_rcp_iflag_f32_e32 v1, v1
	v_mul_f32_e32 v1, 0x4f7ffffe, v1
	v_cvt_u32_f32_e32 v1, v1
	v_readfirstlane_b32 s21, v1
	s_mul_i32 s7, s7, s21
	s_mul_hi_u32 s15, s21, s7
	s_abs_i32 s7, s11
	s_add_i32 s21, s21, s15
	s_cmp_lt_i32 s0, 0
	s_mul_hi_u32 s15, s7, s21
	s_cbranch_scc0 .LBB97_6
; %bb.5:
	s_mul_i32 s2, s16, s2
	s_mov_b32 s24, 0
	s_add_i32 s2, s1, s2
	s_mul_i32 s2, s2, s0
	s_sub_i32 s29, 1, s2
.LBB97_6:
	s_load_dwordx2 s[22:23], s[4:5], 0x28
	s_ashr_i32 s2, s11, 31
	s_andn2_b32 vcc_lo, exec_lo, s24
	s_ashr_i32 s19, s19, 31
	s_cbranch_vccnz .LBB97_8
; %bb.7:
	s_mul_i32 s11, s9, s16
	s_add_i32 s6, s11, s6
	s_mul_i32 s0, s6, s0
	s_add_i32 s29, s0, 1
.LBB97_8:
	s_load_dword s0, s[4:5], 0x38
	s_mul_i32 s6, s15, s12
	s_xor_b32 s2, s2, s19
	s_sub_i32 s30, s7, s6
	s_add_i32 s16, s15, 1
	s_clause 0x2
	s_load_dwordx2 s[6:7], s[4:5], 0x0
	s_load_dwordx2 s[24:25], s[4:5], 0x18
	s_load_dword s11, s[4:5], 0x88
	v_lshrrev_b32_e32 v111, 5, v0
	v_and_b32_e32 v100, 31, v0
	v_mov_b32_e32 v103, 0xff7fffff
	s_mul_i32 s14, s1, s14
	v_lshlrev_b32_e32 v13, 2, v100
	s_waitcnt lgkmcnt(0)
	s_mul_i32 s26, s0, s10
	s_sub_i32 s0, s30, s12
	s_ashr_i32 s27, s26, 31
	s_cmp_ge_u32 s30, s12
	s_cselect_b32 s15, s16, s15
	s_cselect_b32 s0, s0, s30
	s_add_i32 s16, s15, 1
	s_cmp_ge_u32 s0, s12
	s_cselect_b32 s0, s16, s15
	s_add_i32 s15, s28, 31
	s_ashr_i32 s16, s15, 31
	s_lshr_b32 s16, s16, 27
	s_add_i32 s15, s15, s16
	s_ashr_i32 s16, s15, 5
	s_xor_b32 s15, s0, s2
	v_cmp_gt_i32_e64 s0, s16, v111
	s_sub_i32 s30, s15, s2
	s_and_saveexec_b32 s33, s0
	s_cbranch_execz .LBB97_16
; %bb.9:
	s_load_dwordx2 s[34:35], s[4:5], 0x10
	s_ashr_i32 s15, s14, 31
	s_sub_i32 s4, s30, s17
	s_lshl_b64 s[36:37], s[14:15], 1
	v_subrev_nc_u32_e32 v4, s28, v100
	v_lshrrev_b32_e32 v3, 3, v0
	v_lshlrev_b32_e32 v2, 4, v100
	v_lshl_or_b32 v6, v111, 7, v13
	v_mov_b32_e32 v104, 0
	v_add_nc_u32_e32 v106, 1, v4
	v_and_b32_e32 v3, 0x7c, v3
	v_cmp_neq_f32_e64 vcc_lo, s31, 0
	v_lshlrev_b32_e32 v105, 5, v111
	v_mov_b32_e32 v103, 0xff7fffff
	v_add_nc_u32_e32 v107, 0x1a0, v6
	s_waitcnt lgkmcnt(0)
	s_add_u32 s1, s34, s36
	s_addc_u32 s2, s35, s37
	s_abs_i32 s5, s18
	s_lshl_b64 s[34:35], s[26:27], 2
	v_cvt_f32_u32_e32 v1, s5
	s_sub_i32 s15, 0, s5
	v_add_co_u32 v108, s1, s1, v2
	v_add_co_ci_u32_e64 v109, null, s2, 0, s1
	v_rcp_iflag_f32_e32 v1, v1
	s_add_u32 s1, s22, s34
	s_addc_u32 s2, s23, s35
	v_add_co_u32 v97, s1, s1, v3
	v_add_co_ci_u32_e64 v98, null, s2, 0, s1
	s_mov_b32 s34, s13
	v_mul_f32_e32 v1, 0x4f7ffffe, v1
	v_cvt_u32_f32_e32 v1, v1
	v_mul_lo_u32 v5, s15, v1
	s_mov_b32 s15, 0
	v_mul_hi_u32 v4, v1, v5
	v_add_nc_u32_e32 v110, v1, v4
	s_branch .LBB97_11
.LBB97_10:                              ;   in Loop: Header=BB97_11 Depth=1
	s_or_b32 exec_lo, exec_lo, s35
	v_add_nc_u32_e32 v111, 4, v111
	v_add_co_u32 v97, s2, v97, 16
	v_add_co_ci_u32_e64 v98, null, 0, v98, s2
	v_cmp_le_i32_e64 s1, s16, v111
	v_add_nc_u32_e32 v105, 0x80, v105
	v_add_nc_u32_e32 v107, 0x200, v107
	s_or_b32 s15, s1, s15
	s_andn2_b32 exec_lo, exec_lo, s15
	s_cbranch_execz .LBB97_15
.LBB97_11:                              ; =>This Inner Loop Header: Depth=1
	v_mul_hi_u32 v1, v105, s21
	v_mul_lo_u32 v2, v1, s12
	v_add_nc_u32_e32 v3, 1, v1
	v_sub_nc_u32_e32 v2, v105, v2
	v_subrev_nc_u32_e32 v4, s12, v2
	v_cmp_le_u32_e64 s1, s12, v2
	v_cndmask_b32_e64 v1, v1, v3, s1
	v_cndmask_b32_e64 v2, v2, v4, s1
	v_add_nc_u32_e32 v3, 1, v1
	v_cmp_le_u32_e64 s1, s12, v2
	v_cndmask_b32_e64 v1, v1, v3, s1
	v_xor_b32_e32 v1, s19, v1
	v_subrev_nc_u32_e32 v1, s19, v1
	v_add_nc_u32_e32 v2, s29, v1
	v_cmp_ge_i32_e64 s2, s4, v1
	v_sub_nc_u32_e32 v3, 0, v2
	v_max_i32_e32 v3, v2, v3
	v_ashrrev_i32_e32 v2, 31, v2
	v_mul_hi_u32 v4, v3, v110
	v_mul_lo_u32 v4, v4, s5
	v_sub_nc_u32_e32 v3, v3, v4
	v_subrev_nc_u32_e32 v4, s5, v3
	v_cmp_le_u32_e64 s1, s5, v3
	v_cndmask_b32_e64 v3, v3, v4, s1
	v_subrev_nc_u32_e32 v4, s5, v3
	v_cmp_le_u32_e64 s1, s5, v3
	v_cndmask_b32_e64 v3, v3, v4, s1
	v_xor_b32_e32 v3, v3, v2
	v_sub_nc_u32_e32 v2, v3, v2
	v_cmp_ne_u32_e64 s1, 0, v2
	s_and_b32 s1, s1, s2
	s_and_saveexec_b32 s2, s1
	s_xor_b32 s1, exec_lo, s2
; %bb.12:                               ;   in Loop: Header=BB97_11 Depth=1
	v_mov_b32_e32 v1, 0xff7fffff
	ds_write_b32 v107, v1
; %bb.13:                               ;   in Loop: Header=BB97_11 Depth=1
	s_andn2_saveexec_b32 s35, s1
	s_cbranch_execz .LBB97_10
; %bb.14:                               ;   in Loop: Header=BB97_11 Depth=1
	global_load_dword v1, v[97:98], off
	v_add_nc_u32_e32 v4, v106, v105
	v_add_nc_u32_e32 v3, v100, v105
	v_cvt_f32_i32_e32 v4, v4
	v_mul_f32_e32 v112, s31, v4
	v_cndmask_b32_e32 v112, 0, v112, vcc_lo
	s_waitcnt vmcnt(0)
	v_mad_i64_i32 v[1:2], null, v1, s34, 0
	v_lshlrev_b64 v[1:2], 1, v[1:2]
	v_add_co_u32 v1, s1, v108, v1
	v_add_co_ci_u32_e64 v2, null, v109, v2, s1
	v_cmp_gt_i32_e64 s1, s28, v3
	v_add_co_u32 v3, s2, 0x800, v1
	s_clause 0x3
	global_load_dwordx4 v[93:96], v[1:2], off
	global_load_dwordx4 v[89:92], v[1:2], off offset:512
	global_load_dwordx4 v[85:88], v[1:2], off offset:1024
	global_load_dwordx4 v[81:84], v[1:2], off offset:1536
	v_add_co_ci_u32_e64 v4, null, 0, v2, s2
	v_add_co_u32 v5, s2, v1, 0x1000
	v_add_co_ci_u32_e64 v6, null, 0, v2, s2
	s_clause 0x3
	global_load_dwordx4 v[77:80], v[5:6], off offset:-2048
	global_load_dwordx4 v[73:76], v[3:4], off offset:512
	global_load_dwordx4 v[69:72], v[3:4], off offset:1024
	;; [unrolled: 1-line block ×3, first 2 shown]
	v_add_co_u32 v3, s2, 0x1000, v1
	v_add_co_ci_u32_e64 v4, null, 0, v2, s2
	s_clause 0x3
	global_load_dwordx4 v[61:64], v[5:6], off
	global_load_dwordx4 v[57:60], v[3:4], off offset:512
	global_load_dwordx4 v[53:56], v[3:4], off offset:1024
	;; [unrolled: 1-line block ×3, first 2 shown]
	v_add_co_u32 v3, s2, 0x1800, v1
	v_add_co_ci_u32_e64 v4, null, 0, v2, s2
	v_add_co_u32 v5, s2, v1, 0x2000
	v_add_co_ci_u32_e64 v6, null, 0, v2, s2
	s_clause 0x3
	global_load_dwordx4 v[45:48], v[5:6], off offset:-2048
	global_load_dwordx4 v[41:44], v[3:4], off offset:512
	global_load_dwordx4 v[37:40], v[3:4], off offset:1024
	;; [unrolled: 1-line block ×3, first 2 shown]
	v_add_co_u32 v3, s2, 0x2000, v1
	v_add_co_ci_u32_e64 v4, null, 0, v2, s2
	v_add_co_u32 v1, s2, 0x2800, v1
	v_add_co_ci_u32_e64 v2, null, 0, v2, s2
	s_clause 0x7
	global_load_dwordx4 v[29:32], v[5:6], off
	global_load_dwordx4 v[25:28], v[3:4], off offset:512
	global_load_dwordx4 v[21:24], v[3:4], off offset:1024
	;; [unrolled: 1-line block ×3, first 2 shown]
	global_load_dwordx4 v[13:16], v[1:2], off
	global_load_dwordx4 v[9:12], v[1:2], off offset:512
	global_load_dwordx4 v[5:8], v[1:2], off offset:1024
	;; [unrolled: 1-line block ×3, first 2 shown]
	ds_read_b128 v[113:116], v104
	s_waitcnt lgkmcnt(0)
	v_lshrrev_b32_e32 v99, 16, v113
	v_and_b32_e32 v101, 0xffff, v113
	;;#ASMSTART
	v_cvt_f32_f16 v117, v101;
	;;#ASMEND
	;;#ASMSTART
	v_cvt_f32_f16 v118, v99;
	;;#ASMEND
	s_waitcnt vmcnt(23)
	v_lshrrev_b32_e32 v99, 16, v93
	v_and_b32_e32 v93, 0xffff, v93
	;;#ASMSTART
	v_cvt_f32_f16 v119, v93;
	;;#ASMEND
	v_lshrrev_b32_e32 v93, 16, v114
	;;#ASMSTART
	v_cvt_f32_f16 v120, v99;
	;;#ASMEND
	v_and_b32_e32 v99, 0xffff, v114
	;;#ASMSTART
	v_cvt_f32_f16 v121, v99;
	;;#ASMEND
	;;#ASMSTART
	v_cvt_f32_f16 v122, v93;
	;;#ASMEND
	v_lshrrev_b32_e32 v93, 16, v94
	v_and_b32_e32 v94, 0xffff, v94
	;;#ASMSTART
	v_cvt_f32_f16 v123, v94;
	;;#ASMEND
	;;#ASMSTART
	v_cvt_f32_f16 v124, v93;
	;;#ASMEND
	v_lshrrev_b32_e32 v93, 16, v115
	;; [unrolled: 8-line block ×5, first 2 shown]
	v_and_b32_e32 v94, 0xffff, v96
	;;#ASMSTART
	v_cvt_f32_f16 v116, v94;
	;;#ASMEND
	;;#ASMSTART
	v_cvt_f32_f16 v101, v93;
	;;#ASMEND
	ds_read_b128 v[93:96], v104 offset:16
	s_waitcnt lgkmcnt(0)
	v_lshrrev_b32_e32 v99, 16, v93
	v_and_b32_e32 v93, 0xffff, v93
	;;#ASMSTART
	v_cvt_f32_f16 v93, v93;
	;;#ASMEND
	;;#ASMSTART
	v_cvt_f32_f16 v102, v99;
	;;#ASMEND
	s_waitcnt vmcnt(22)
	v_lshrrev_b32_e32 v99, 16, v89
	v_and_b32_e32 v89, 0xffff, v89
	;;#ASMSTART
	v_cvt_f32_f16 v89, v89;
	;;#ASMEND
	;;#ASMSTART
	v_cvt_f32_f16 v99, v99;
	;;#ASMEND
	v_mul_f32_e32 v89, v93, v89
	v_mul_f32_e32 v93, v102, v99
	v_lshrrev_b32_e32 v99, 16, v94
	v_and_b32_e32 v94, 0xffff, v94
	v_lshrrev_b32_e32 v102, 16, v90
	v_and_b32_e32 v90, 0xffff, v90
	;;#ASMSTART
	v_cvt_f32_f16 v94, v94;
	;;#ASMEND
	;;#ASMSTART
	v_cvt_f32_f16 v99, v99;
	;;#ASMEND
	;;#ASMSTART
	v_cvt_f32_f16 v90, v90;
	;;#ASMEND
	;;#ASMSTART
	v_cvt_f32_f16 v102, v102;
	;;#ASMEND
	v_mul_f32_e32 v94, v94, v90
	v_mul_f32_e32 v90, v99, v102
	v_lshrrev_b32_e32 v99, 16, v95
	v_and_b32_e32 v95, 0xffff, v95
	v_lshrrev_b32_e32 v102, 16, v91
	v_and_b32_e32 v91, 0xffff, v91
	;;#ASMSTART
	v_cvt_f32_f16 v95, v95;
	;;#ASMEND
	;;#ASMSTART
	v_cvt_f32_f16 v99, v99;
	;;#ASMEND
	;; [unrolled: 18-line block ×3, first 2 shown]
	;;#ASMSTART
	v_cvt_f32_f16 v92, v92;
	;;#ASMEND
	;;#ASMSTART
	v_cvt_f32_f16 v102, v102;
	;;#ASMEND
	v_mul_f32_e32 v96, v96, v92
	v_mul_f32_e32 v92, v99, v102
	v_fmac_f32_e32 v95, v115, v126
	v_fmac_f32_e32 v89, v117, v119
	v_fmac_f32_e32 v93, v118, v120
	v_fmac_f32_e32 v96, v114, v116
	v_fmac_f32_e32 v92, v113, v101
	ds_read_b128 v[113:116], v104 offset:32
	v_fmac_f32_e32 v94, v121, v123
	v_fmac_f32_e32 v90, v122, v124
	s_waitcnt vmcnt(21)
	v_lshrrev_b32_e32 v102, 16, v85
	v_and_b32_e32 v85, 0xffff, v85
	v_fmac_f32_e32 v91, v125, v127
	s_waitcnt lgkmcnt(0)
	v_lshrrev_b32_e32 v101, 16, v113
	v_and_b32_e32 v99, 0xffff, v113
	;;#ASMSTART
	v_cvt_f32_f16 v99, v99;
	;;#ASMEND
	;;#ASMSTART
	v_cvt_f32_f16 v101, v101;
	;;#ASMEND
	;;#ASMSTART
	v_cvt_f32_f16 v85, v85;
	;;#ASMEND
	;;#ASMSTART
	v_cvt_f32_f16 v102, v102;
	;;#ASMEND
	v_fmac_f32_e32 v89, v99, v85
	v_fmac_f32_e32 v93, v101, v102
	v_lshrrev_b32_e32 v99, 16, v114
	v_and_b32_e32 v85, 0xffff, v114
	v_lshrrev_b32_e32 v101, 16, v86
	v_and_b32_e32 v86, 0xffff, v86
	;;#ASMSTART
	v_cvt_f32_f16 v85, v85;
	;;#ASMEND
	;;#ASMSTART
	v_cvt_f32_f16 v99, v99;
	;;#ASMEND
	;;#ASMSTART
	v_cvt_f32_f16 v86, v86;
	;;#ASMEND
	;;#ASMSTART
	v_cvt_f32_f16 v101, v101;
	;;#ASMEND
	v_fmac_f32_e32 v94, v85, v86
	v_fmac_f32_e32 v90, v99, v101
	v_lshrrev_b32_e32 v86, 16, v115
	v_and_b32_e32 v85, 0xffff, v115
	;; [unrolled: 18-line block ×3, first 2 shown]
	v_and_b32_e32 v87, 0xffff, v88
	;;#ASMSTART
	v_cvt_f32_f16 v85, v85;
	;;#ASMEND
	;;#ASMSTART
	v_cvt_f32_f16 v86, v86;
	;;#ASMEND
	v_lshrrev_b32_e32 v99, 16, v88
	;;#ASMSTART
	v_cvt_f32_f16 v87, v87;
	;;#ASMEND
	;;#ASMSTART
	v_cvt_f32_f16 v88, v99;
	;;#ASMEND
	v_fmac_f32_e32 v96, v85, v87
	v_fmac_f32_e32 v92, v86, v88
	ds_read_b128 v[85:88], v104 offset:48
	s_waitcnt vmcnt(20)
	v_lshrrev_b32_e32 v101, 16, v81
	v_and_b32_e32 v81, 0xffff, v81
	s_waitcnt lgkmcnt(0)
	v_lshrrev_b32_e32 v99, 16, v85
	v_and_b32_e32 v85, 0xffff, v85
	;;#ASMSTART
	v_cvt_f32_f16 v85, v85;
	;;#ASMEND
	;;#ASMSTART
	v_cvt_f32_f16 v99, v99;
	;;#ASMEND
	;; [unrolled: 3-line block ×3, first 2 shown]
	v_fmac_f32_e32 v89, v85, v81
	v_lshrrev_b32_e32 v85, 16, v86
	v_and_b32_e32 v81, 0xffff, v86
	v_lshrrev_b32_e32 v86, 16, v82
	v_and_b32_e32 v82, 0xffff, v82
	;;#ASMSTART
	v_cvt_f32_f16 v101, v101;
	;;#ASMEND
	;;#ASMSTART
	v_cvt_f32_f16 v81, v81;
	;;#ASMEND
	;;#ASMSTART
	v_cvt_f32_f16 v85, v85;
	;;#ASMEND
	;;#ASMSTART
	v_cvt_f32_f16 v82, v82;
	;;#ASMEND
	;;#ASMSTART
	v_cvt_f32_f16 v86, v86;
	;;#ASMEND
	v_fmac_f32_e32 v94, v81, v82
	v_fmac_f32_e32 v90, v85, v86
	v_lshrrev_b32_e32 v82, 16, v87
	v_and_b32_e32 v81, 0xffff, v87
	v_lshrrev_b32_e32 v85, 16, v83
	v_and_b32_e32 v83, 0xffff, v83
	;;#ASMSTART
	v_cvt_f32_f16 v81, v81;
	;;#ASMEND
	;;#ASMSTART
	v_cvt_f32_f16 v82, v82;
	;;#ASMEND
	;; [unrolled: 3-line block ×4, first 2 shown]
	v_fmac_f32_e32 v95, v81, v83
	v_fmac_f32_e32 v91, v82, v85
	v_lshrrev_b32_e32 v82, 16, v88
	v_and_b32_e32 v81, 0xffff, v88
	v_and_b32_e32 v83, 0xffff, v84
	;;#ASMSTART
	v_cvt_f32_f16 v81, v81;
	;;#ASMEND
	;;#ASMSTART
	v_cvt_f32_f16 v82, v82;
	;;#ASMEND
	v_lshrrev_b32_e32 v85, 16, v84
	;;#ASMSTART
	v_cvt_f32_f16 v83, v83;
	;;#ASMEND
	;;#ASMSTART
	v_cvt_f32_f16 v84, v85;
	;;#ASMEND
	v_fmac_f32_e32 v96, v81, v83
	v_fmac_f32_e32 v92, v82, v84
	ds_read_b128 v[81:84], v104 offset:64
	s_waitcnt vmcnt(19)
	v_lshrrev_b32_e32 v86, 16, v77
	v_and_b32_e32 v77, 0xffff, v77
	v_fmac_f32_e32 v93, v99, v101
	s_waitcnt lgkmcnt(0)
	v_lshrrev_b32_e32 v85, 16, v81
	v_and_b32_e32 v81, 0xffff, v81
	;;#ASMSTART
	v_cvt_f32_f16 v81, v81;
	;;#ASMEND
	;;#ASMSTART
	v_cvt_f32_f16 v85, v85;
	;;#ASMEND
	;; [unrolled: 3-line block ×3, first 2 shown]
	v_fmac_f32_e32 v89, v81, v77
	v_lshrrev_b32_e32 v81, 16, v82
	v_and_b32_e32 v77, 0xffff, v82
	v_lshrrev_b32_e32 v82, 16, v78
	v_and_b32_e32 v78, 0xffff, v78
	;;#ASMSTART
	v_cvt_f32_f16 v86, v86;
	;;#ASMEND
	;;#ASMSTART
	v_cvt_f32_f16 v77, v77;
	;;#ASMEND
	;; [unrolled: 3-line block ×5, first 2 shown]
	v_fmac_f32_e32 v94, v77, v78
	v_fmac_f32_e32 v90, v81, v82
	v_lshrrev_b32_e32 v78, 16, v83
	v_and_b32_e32 v77, 0xffff, v83
	v_lshrrev_b32_e32 v81, 16, v79
	v_and_b32_e32 v79, 0xffff, v79
	;;#ASMSTART
	v_cvt_f32_f16 v77, v77;
	;;#ASMEND
	;;#ASMSTART
	v_cvt_f32_f16 v78, v78;
	;;#ASMEND
	;; [unrolled: 3-line block ×4, first 2 shown]
	v_fmac_f32_e32 v95, v77, v79
	v_fmac_f32_e32 v91, v78, v81
	v_lshrrev_b32_e32 v78, 16, v84
	v_and_b32_e32 v77, 0xffff, v84
	v_and_b32_e32 v79, 0xffff, v80
	;;#ASMSTART
	v_cvt_f32_f16 v77, v77;
	;;#ASMEND
	;;#ASMSTART
	v_cvt_f32_f16 v78, v78;
	;;#ASMEND
	v_lshrrev_b32_e32 v81, 16, v80
	;;#ASMSTART
	v_cvt_f32_f16 v79, v79;
	;;#ASMEND
	;;#ASMSTART
	v_cvt_f32_f16 v80, v81;
	;;#ASMEND
	v_fmac_f32_e32 v96, v77, v79
	v_fmac_f32_e32 v92, v78, v80
	ds_read_b128 v[77:80], v104 offset:80
	s_waitcnt vmcnt(18)
	v_lshrrev_b32_e32 v82, 16, v73
	v_and_b32_e32 v73, 0xffff, v73
	v_fmac_f32_e32 v93, v85, v86
	s_waitcnt lgkmcnt(0)
	v_lshrrev_b32_e32 v81, 16, v77
	v_and_b32_e32 v77, 0xffff, v77
	;;#ASMSTART
	v_cvt_f32_f16 v77, v77;
	;;#ASMEND
	;;#ASMSTART
	v_cvt_f32_f16 v81, v81;
	;;#ASMEND
	;; [unrolled: 3-line block ×3, first 2 shown]
	v_fmac_f32_e32 v89, v77, v73
	v_lshrrev_b32_e32 v77, 16, v78
	v_and_b32_e32 v73, 0xffff, v78
	v_lshrrev_b32_e32 v78, 16, v74
	v_and_b32_e32 v74, 0xffff, v74
	;;#ASMSTART
	v_cvt_f32_f16 v82, v82;
	;;#ASMEND
	;;#ASMSTART
	v_cvt_f32_f16 v73, v73;
	;;#ASMEND
	;; [unrolled: 3-line block ×5, first 2 shown]
	v_fmac_f32_e32 v94, v73, v74
	v_fmac_f32_e32 v90, v77, v78
	v_lshrrev_b32_e32 v74, 16, v79
	v_and_b32_e32 v73, 0xffff, v79
	v_lshrrev_b32_e32 v77, 16, v75
	v_and_b32_e32 v75, 0xffff, v75
	;;#ASMSTART
	v_cvt_f32_f16 v73, v73;
	;;#ASMEND
	;;#ASMSTART
	v_cvt_f32_f16 v74, v74;
	;;#ASMEND
	;; [unrolled: 3-line block ×4, first 2 shown]
	v_fmac_f32_e32 v95, v73, v75
	v_fmac_f32_e32 v91, v74, v77
	v_lshrrev_b32_e32 v74, 16, v80
	v_and_b32_e32 v73, 0xffff, v80
	v_and_b32_e32 v75, 0xffff, v76
	;;#ASMSTART
	v_cvt_f32_f16 v73, v73;
	;;#ASMEND
	;;#ASMSTART
	v_cvt_f32_f16 v74, v74;
	;;#ASMEND
	v_lshrrev_b32_e32 v77, 16, v76
	;;#ASMSTART
	v_cvt_f32_f16 v75, v75;
	;;#ASMEND
	;;#ASMSTART
	v_cvt_f32_f16 v76, v77;
	;;#ASMEND
	v_fmac_f32_e32 v96, v73, v75
	v_fmac_f32_e32 v92, v74, v76
	ds_read_b128 v[73:76], v104 offset:96
	s_waitcnt vmcnt(17)
	v_lshrrev_b32_e32 v78, 16, v69
	v_and_b32_e32 v69, 0xffff, v69
	v_fmac_f32_e32 v93, v81, v82
	s_waitcnt lgkmcnt(0)
	v_lshrrev_b32_e32 v77, 16, v73
	v_and_b32_e32 v73, 0xffff, v73
	;;#ASMSTART
	v_cvt_f32_f16 v73, v73;
	;;#ASMEND
	;;#ASMSTART
	v_cvt_f32_f16 v77, v77;
	;;#ASMEND
	;; [unrolled: 3-line block ×3, first 2 shown]
	v_fmac_f32_e32 v89, v73, v69
	v_lshrrev_b32_e32 v73, 16, v74
	v_and_b32_e32 v69, 0xffff, v74
	v_lshrrev_b32_e32 v74, 16, v70
	v_and_b32_e32 v70, 0xffff, v70
	;;#ASMSTART
	v_cvt_f32_f16 v78, v78;
	;;#ASMEND
	;;#ASMSTART
	v_cvt_f32_f16 v69, v69;
	;;#ASMEND
	;; [unrolled: 3-line block ×5, first 2 shown]
	v_fmac_f32_e32 v94, v69, v70
	v_fmac_f32_e32 v90, v73, v74
	v_lshrrev_b32_e32 v70, 16, v75
	v_and_b32_e32 v69, 0xffff, v75
	v_lshrrev_b32_e32 v73, 16, v71
	v_and_b32_e32 v71, 0xffff, v71
	;;#ASMSTART
	v_cvt_f32_f16 v69, v69;
	;;#ASMEND
	;;#ASMSTART
	v_cvt_f32_f16 v70, v70;
	;;#ASMEND
	;; [unrolled: 3-line block ×4, first 2 shown]
	v_fmac_f32_e32 v95, v69, v71
	v_fmac_f32_e32 v91, v70, v73
	v_lshrrev_b32_e32 v70, 16, v76
	v_and_b32_e32 v69, 0xffff, v76
	v_and_b32_e32 v71, 0xffff, v72
	;;#ASMSTART
	v_cvt_f32_f16 v69, v69;
	;;#ASMEND
	;;#ASMSTART
	v_cvt_f32_f16 v70, v70;
	;;#ASMEND
	v_lshrrev_b32_e32 v73, 16, v72
	;;#ASMSTART
	v_cvt_f32_f16 v71, v71;
	;;#ASMEND
	;;#ASMSTART
	v_cvt_f32_f16 v72, v73;
	;;#ASMEND
	v_fmac_f32_e32 v96, v69, v71
	v_fmac_f32_e32 v92, v70, v72
	ds_read_b128 v[69:72], v104 offset:112
	s_waitcnt vmcnt(16)
	v_lshrrev_b32_e32 v74, 16, v65
	v_and_b32_e32 v65, 0xffff, v65
	v_fmac_f32_e32 v93, v77, v78
	s_waitcnt lgkmcnt(0)
	v_lshrrev_b32_e32 v73, 16, v69
	v_and_b32_e32 v69, 0xffff, v69
	;;#ASMSTART
	v_cvt_f32_f16 v69, v69;
	;;#ASMEND
	;;#ASMSTART
	v_cvt_f32_f16 v73, v73;
	;;#ASMEND
	;; [unrolled: 3-line block ×3, first 2 shown]
	v_fmac_f32_e32 v89, v69, v65
	v_lshrrev_b32_e32 v69, 16, v70
	v_and_b32_e32 v65, 0xffff, v70
	v_lshrrev_b32_e32 v70, 16, v66
	v_and_b32_e32 v66, 0xffff, v66
	;;#ASMSTART
	v_cvt_f32_f16 v74, v74;
	;;#ASMEND
	;;#ASMSTART
	v_cvt_f32_f16 v65, v65;
	;;#ASMEND
	;; [unrolled: 3-line block ×5, first 2 shown]
	v_fmac_f32_e32 v94, v65, v66
	v_fmac_f32_e32 v90, v69, v70
	v_lshrrev_b32_e32 v66, 16, v71
	v_and_b32_e32 v65, 0xffff, v71
	v_lshrrev_b32_e32 v69, 16, v67
	v_and_b32_e32 v67, 0xffff, v67
	;;#ASMSTART
	v_cvt_f32_f16 v65, v65;
	;;#ASMEND
	;;#ASMSTART
	v_cvt_f32_f16 v66, v66;
	;;#ASMEND
	;; [unrolled: 3-line block ×4, first 2 shown]
	v_fmac_f32_e32 v95, v65, v67
	v_fmac_f32_e32 v91, v66, v69
	v_lshrrev_b32_e32 v66, 16, v72
	v_and_b32_e32 v65, 0xffff, v72
	v_and_b32_e32 v67, 0xffff, v68
	;;#ASMSTART
	v_cvt_f32_f16 v65, v65;
	;;#ASMEND
	;;#ASMSTART
	v_cvt_f32_f16 v66, v66;
	;;#ASMEND
	v_lshrrev_b32_e32 v69, 16, v68
	;;#ASMSTART
	v_cvt_f32_f16 v67, v67;
	;;#ASMEND
	;;#ASMSTART
	v_cvt_f32_f16 v68, v69;
	;;#ASMEND
	v_fmac_f32_e32 v96, v65, v67
	v_fmac_f32_e32 v92, v66, v68
	ds_read_b128 v[65:68], v104 offset:128
	s_waitcnt vmcnt(15)
	v_lshrrev_b32_e32 v70, 16, v61
	v_and_b32_e32 v61, 0xffff, v61
	v_fmac_f32_e32 v93, v73, v74
	s_waitcnt lgkmcnt(0)
	v_lshrrev_b32_e32 v69, 16, v65
	v_and_b32_e32 v65, 0xffff, v65
	;;#ASMSTART
	v_cvt_f32_f16 v65, v65;
	;;#ASMEND
	;;#ASMSTART
	v_cvt_f32_f16 v69, v69;
	;;#ASMEND
	;; [unrolled: 3-line block ×3, first 2 shown]
	v_fmac_f32_e32 v89, v65, v61
	v_lshrrev_b32_e32 v65, 16, v66
	v_and_b32_e32 v61, 0xffff, v66
	v_lshrrev_b32_e32 v66, 16, v62
	v_and_b32_e32 v62, 0xffff, v62
	;;#ASMSTART
	v_cvt_f32_f16 v70, v70;
	;;#ASMEND
	;;#ASMSTART
	v_cvt_f32_f16 v61, v61;
	;;#ASMEND
	;; [unrolled: 3-line block ×5, first 2 shown]
	v_fmac_f32_e32 v94, v61, v62
	v_fmac_f32_e32 v90, v65, v66
	v_lshrrev_b32_e32 v62, 16, v67
	v_and_b32_e32 v61, 0xffff, v67
	v_lshrrev_b32_e32 v65, 16, v63
	v_and_b32_e32 v63, 0xffff, v63
	;;#ASMSTART
	v_cvt_f32_f16 v61, v61;
	;;#ASMEND
	;;#ASMSTART
	v_cvt_f32_f16 v62, v62;
	;;#ASMEND
	;; [unrolled: 3-line block ×4, first 2 shown]
	v_fmac_f32_e32 v95, v61, v63
	v_fmac_f32_e32 v91, v62, v65
	v_lshrrev_b32_e32 v62, 16, v68
	v_and_b32_e32 v61, 0xffff, v68
	v_and_b32_e32 v63, 0xffff, v64
	;;#ASMSTART
	v_cvt_f32_f16 v61, v61;
	;;#ASMEND
	;;#ASMSTART
	v_cvt_f32_f16 v62, v62;
	;;#ASMEND
	v_lshrrev_b32_e32 v65, 16, v64
	;;#ASMSTART
	v_cvt_f32_f16 v63, v63;
	;;#ASMEND
	;;#ASMSTART
	v_cvt_f32_f16 v64, v65;
	;;#ASMEND
	v_fmac_f32_e32 v96, v61, v63
	v_fmac_f32_e32 v92, v62, v64
	ds_read_b128 v[61:64], v104 offset:144
	s_waitcnt vmcnt(14)
	v_lshrrev_b32_e32 v66, 16, v57
	v_and_b32_e32 v57, 0xffff, v57
	v_fmac_f32_e32 v93, v69, v70
	s_waitcnt lgkmcnt(0)
	v_lshrrev_b32_e32 v65, 16, v61
	v_and_b32_e32 v61, 0xffff, v61
	;;#ASMSTART
	v_cvt_f32_f16 v61, v61;
	;;#ASMEND
	;;#ASMSTART
	v_cvt_f32_f16 v65, v65;
	;;#ASMEND
	;; [unrolled: 3-line block ×3, first 2 shown]
	v_fmac_f32_e32 v89, v61, v57
	v_lshrrev_b32_e32 v61, 16, v62
	v_and_b32_e32 v57, 0xffff, v62
	v_lshrrev_b32_e32 v62, 16, v58
	v_and_b32_e32 v58, 0xffff, v58
	;;#ASMSTART
	v_cvt_f32_f16 v66, v66;
	;;#ASMEND
	;;#ASMSTART
	v_cvt_f32_f16 v57, v57;
	;;#ASMEND
	;; [unrolled: 3-line block ×5, first 2 shown]
	v_fmac_f32_e32 v94, v57, v58
	v_fmac_f32_e32 v90, v61, v62
	v_lshrrev_b32_e32 v58, 16, v63
	v_and_b32_e32 v57, 0xffff, v63
	v_lshrrev_b32_e32 v61, 16, v59
	v_and_b32_e32 v59, 0xffff, v59
	;;#ASMSTART
	v_cvt_f32_f16 v57, v57;
	;;#ASMEND
	;;#ASMSTART
	v_cvt_f32_f16 v58, v58;
	;;#ASMEND
	;; [unrolled: 3-line block ×4, first 2 shown]
	v_fmac_f32_e32 v95, v57, v59
	v_fmac_f32_e32 v91, v58, v61
	v_lshrrev_b32_e32 v58, 16, v64
	v_and_b32_e32 v57, 0xffff, v64
	v_and_b32_e32 v59, 0xffff, v60
	;;#ASMSTART
	v_cvt_f32_f16 v57, v57;
	;;#ASMEND
	;;#ASMSTART
	v_cvt_f32_f16 v58, v58;
	;;#ASMEND
	v_lshrrev_b32_e32 v61, 16, v60
	;;#ASMSTART
	v_cvt_f32_f16 v59, v59;
	;;#ASMEND
	;;#ASMSTART
	v_cvt_f32_f16 v60, v61;
	;;#ASMEND
	v_fmac_f32_e32 v96, v57, v59
	v_fmac_f32_e32 v92, v58, v60
	ds_read_b128 v[57:60], v104 offset:160
	s_waitcnt vmcnt(13)
	v_lshrrev_b32_e32 v62, 16, v53
	v_and_b32_e32 v53, 0xffff, v53
	v_fmac_f32_e32 v93, v65, v66
	s_waitcnt lgkmcnt(0)
	v_lshrrev_b32_e32 v61, 16, v57
	v_and_b32_e32 v57, 0xffff, v57
	;;#ASMSTART
	v_cvt_f32_f16 v57, v57;
	;;#ASMEND
	;;#ASMSTART
	v_cvt_f32_f16 v61, v61;
	;;#ASMEND
	;; [unrolled: 3-line block ×3, first 2 shown]
	v_fmac_f32_e32 v89, v57, v53
	v_lshrrev_b32_e32 v57, 16, v58
	v_and_b32_e32 v53, 0xffff, v58
	v_lshrrev_b32_e32 v58, 16, v54
	v_and_b32_e32 v54, 0xffff, v54
	;;#ASMSTART
	v_cvt_f32_f16 v62, v62;
	;;#ASMEND
	;;#ASMSTART
	v_cvt_f32_f16 v53, v53;
	;;#ASMEND
	;; [unrolled: 3-line block ×5, first 2 shown]
	v_fmac_f32_e32 v94, v53, v54
	v_fmac_f32_e32 v90, v57, v58
	v_lshrrev_b32_e32 v54, 16, v59
	v_and_b32_e32 v53, 0xffff, v59
	v_lshrrev_b32_e32 v57, 16, v55
	v_and_b32_e32 v55, 0xffff, v55
	;;#ASMSTART
	v_cvt_f32_f16 v53, v53;
	;;#ASMEND
	;;#ASMSTART
	v_cvt_f32_f16 v54, v54;
	;;#ASMEND
	;; [unrolled: 3-line block ×4, first 2 shown]
	v_fmac_f32_e32 v95, v53, v55
	v_fmac_f32_e32 v91, v54, v57
	v_lshrrev_b32_e32 v54, 16, v60
	v_and_b32_e32 v53, 0xffff, v60
	v_and_b32_e32 v55, 0xffff, v56
	;;#ASMSTART
	v_cvt_f32_f16 v53, v53;
	;;#ASMEND
	;;#ASMSTART
	v_cvt_f32_f16 v54, v54;
	;;#ASMEND
	v_lshrrev_b32_e32 v57, 16, v56
	;;#ASMSTART
	v_cvt_f32_f16 v55, v55;
	;;#ASMEND
	;;#ASMSTART
	v_cvt_f32_f16 v56, v57;
	;;#ASMEND
	v_fmac_f32_e32 v96, v53, v55
	v_fmac_f32_e32 v92, v54, v56
	ds_read_b128 v[53:56], v104 offset:176
	s_waitcnt vmcnt(12)
	v_lshrrev_b32_e32 v58, 16, v49
	v_and_b32_e32 v49, 0xffff, v49
	v_fmac_f32_e32 v93, v61, v62
	s_waitcnt lgkmcnt(0)
	v_lshrrev_b32_e32 v57, 16, v53
	v_and_b32_e32 v53, 0xffff, v53
	;;#ASMSTART
	v_cvt_f32_f16 v53, v53;
	;;#ASMEND
	;;#ASMSTART
	v_cvt_f32_f16 v57, v57;
	;;#ASMEND
	;; [unrolled: 3-line block ×3, first 2 shown]
	v_fmac_f32_e32 v89, v53, v49
	v_lshrrev_b32_e32 v53, 16, v54
	v_and_b32_e32 v49, 0xffff, v54
	v_lshrrev_b32_e32 v54, 16, v50
	v_and_b32_e32 v50, 0xffff, v50
	;;#ASMSTART
	v_cvt_f32_f16 v58, v58;
	;;#ASMEND
	;;#ASMSTART
	v_cvt_f32_f16 v49, v49;
	;;#ASMEND
	;; [unrolled: 3-line block ×5, first 2 shown]
	v_fmac_f32_e32 v94, v49, v50
	v_fmac_f32_e32 v90, v53, v54
	v_lshrrev_b32_e32 v50, 16, v55
	v_and_b32_e32 v49, 0xffff, v55
	v_lshrrev_b32_e32 v53, 16, v51
	v_and_b32_e32 v51, 0xffff, v51
	;;#ASMSTART
	v_cvt_f32_f16 v49, v49;
	;;#ASMEND
	;;#ASMSTART
	v_cvt_f32_f16 v50, v50;
	;;#ASMEND
	;; [unrolled: 3-line block ×4, first 2 shown]
	v_fmac_f32_e32 v95, v49, v51
	v_fmac_f32_e32 v91, v50, v53
	v_lshrrev_b32_e32 v50, 16, v56
	v_and_b32_e32 v49, 0xffff, v56
	v_and_b32_e32 v51, 0xffff, v52
	;;#ASMSTART
	v_cvt_f32_f16 v49, v49;
	;;#ASMEND
	;;#ASMSTART
	v_cvt_f32_f16 v50, v50;
	;;#ASMEND
	v_lshrrev_b32_e32 v53, 16, v52
	;;#ASMSTART
	v_cvt_f32_f16 v51, v51;
	;;#ASMEND
	;;#ASMSTART
	v_cvt_f32_f16 v52, v53;
	;;#ASMEND
	v_fmac_f32_e32 v96, v49, v51
	v_fmac_f32_e32 v92, v50, v52
	ds_read_b128 v[49:52], v104 offset:192
	s_waitcnt vmcnt(11)
	v_lshrrev_b32_e32 v54, 16, v45
	v_and_b32_e32 v45, 0xffff, v45
	v_fmac_f32_e32 v93, v57, v58
	s_waitcnt lgkmcnt(0)
	v_lshrrev_b32_e32 v53, 16, v49
	v_and_b32_e32 v49, 0xffff, v49
	;;#ASMSTART
	v_cvt_f32_f16 v49, v49;
	;;#ASMEND
	;;#ASMSTART
	v_cvt_f32_f16 v53, v53;
	;;#ASMEND
	;; [unrolled: 3-line block ×3, first 2 shown]
	v_fmac_f32_e32 v89, v49, v45
	v_lshrrev_b32_e32 v49, 16, v50
	v_and_b32_e32 v45, 0xffff, v50
	v_lshrrev_b32_e32 v50, 16, v46
	v_and_b32_e32 v46, 0xffff, v46
	;;#ASMSTART
	v_cvt_f32_f16 v54, v54;
	;;#ASMEND
	;;#ASMSTART
	v_cvt_f32_f16 v45, v45;
	;;#ASMEND
	;; [unrolled: 3-line block ×5, first 2 shown]
	v_fmac_f32_e32 v94, v45, v46
	v_fmac_f32_e32 v90, v49, v50
	v_lshrrev_b32_e32 v46, 16, v51
	v_and_b32_e32 v45, 0xffff, v51
	v_lshrrev_b32_e32 v49, 16, v47
	v_and_b32_e32 v47, 0xffff, v47
	;;#ASMSTART
	v_cvt_f32_f16 v45, v45;
	;;#ASMEND
	;;#ASMSTART
	v_cvt_f32_f16 v46, v46;
	;;#ASMEND
	;; [unrolled: 3-line block ×4, first 2 shown]
	v_fmac_f32_e32 v95, v45, v47
	v_fmac_f32_e32 v91, v46, v49
	v_lshrrev_b32_e32 v46, 16, v52
	v_and_b32_e32 v45, 0xffff, v52
	v_and_b32_e32 v47, 0xffff, v48
	;;#ASMSTART
	v_cvt_f32_f16 v45, v45;
	;;#ASMEND
	;;#ASMSTART
	v_cvt_f32_f16 v46, v46;
	;;#ASMEND
	v_lshrrev_b32_e32 v49, 16, v48
	;;#ASMSTART
	v_cvt_f32_f16 v47, v47;
	;;#ASMEND
	;;#ASMSTART
	v_cvt_f32_f16 v48, v49;
	;;#ASMEND
	v_fmac_f32_e32 v96, v45, v47
	v_fmac_f32_e32 v92, v46, v48
	ds_read_b128 v[45:48], v104 offset:208
	s_waitcnt vmcnt(10)
	v_lshrrev_b32_e32 v50, 16, v41
	v_and_b32_e32 v41, 0xffff, v41
	v_fmac_f32_e32 v93, v53, v54
	s_waitcnt lgkmcnt(0)
	v_lshrrev_b32_e32 v49, 16, v45
	v_and_b32_e32 v45, 0xffff, v45
	;;#ASMSTART
	v_cvt_f32_f16 v45, v45;
	;;#ASMEND
	;;#ASMSTART
	v_cvt_f32_f16 v49, v49;
	;;#ASMEND
	;; [unrolled: 3-line block ×3, first 2 shown]
	v_fmac_f32_e32 v89, v45, v41
	v_lshrrev_b32_e32 v45, 16, v46
	v_and_b32_e32 v41, 0xffff, v46
	v_lshrrev_b32_e32 v46, 16, v42
	v_and_b32_e32 v42, 0xffff, v42
	;;#ASMSTART
	v_cvt_f32_f16 v50, v50;
	;;#ASMEND
	;;#ASMSTART
	v_cvt_f32_f16 v41, v41;
	;;#ASMEND
	;; [unrolled: 3-line block ×5, first 2 shown]
	v_fmac_f32_e32 v94, v41, v42
	v_fmac_f32_e32 v90, v45, v46
	v_lshrrev_b32_e32 v42, 16, v47
	v_and_b32_e32 v41, 0xffff, v47
	v_lshrrev_b32_e32 v45, 16, v43
	v_and_b32_e32 v43, 0xffff, v43
	;;#ASMSTART
	v_cvt_f32_f16 v41, v41;
	;;#ASMEND
	;;#ASMSTART
	v_cvt_f32_f16 v42, v42;
	;;#ASMEND
	;; [unrolled: 3-line block ×4, first 2 shown]
	v_fmac_f32_e32 v95, v41, v43
	v_fmac_f32_e32 v91, v42, v45
	v_lshrrev_b32_e32 v42, 16, v48
	v_and_b32_e32 v41, 0xffff, v48
	v_and_b32_e32 v43, 0xffff, v44
	;;#ASMSTART
	v_cvt_f32_f16 v41, v41;
	;;#ASMEND
	;;#ASMSTART
	v_cvt_f32_f16 v42, v42;
	;;#ASMEND
	v_lshrrev_b32_e32 v45, 16, v44
	;;#ASMSTART
	v_cvt_f32_f16 v43, v43;
	;;#ASMEND
	;;#ASMSTART
	v_cvt_f32_f16 v44, v45;
	;;#ASMEND
	v_fmac_f32_e32 v96, v41, v43
	v_fmac_f32_e32 v92, v42, v44
	ds_read_b128 v[41:44], v104 offset:224
	s_waitcnt vmcnt(9)
	v_lshrrev_b32_e32 v46, 16, v37
	v_and_b32_e32 v37, 0xffff, v37
	v_fmac_f32_e32 v93, v49, v50
	s_waitcnt lgkmcnt(0)
	v_lshrrev_b32_e32 v45, 16, v41
	v_and_b32_e32 v41, 0xffff, v41
	;;#ASMSTART
	v_cvt_f32_f16 v41, v41;
	;;#ASMEND
	;;#ASMSTART
	v_cvt_f32_f16 v45, v45;
	;;#ASMEND
	;; [unrolled: 3-line block ×3, first 2 shown]
	v_fmac_f32_e32 v89, v41, v37
	v_lshrrev_b32_e32 v41, 16, v42
	v_and_b32_e32 v37, 0xffff, v42
	v_lshrrev_b32_e32 v42, 16, v38
	v_and_b32_e32 v38, 0xffff, v38
	;;#ASMSTART
	v_cvt_f32_f16 v46, v46;
	;;#ASMEND
	;;#ASMSTART
	v_cvt_f32_f16 v37, v37;
	;;#ASMEND
	;; [unrolled: 3-line block ×5, first 2 shown]
	v_fmac_f32_e32 v94, v37, v38
	v_fmac_f32_e32 v90, v41, v42
	v_lshrrev_b32_e32 v38, 16, v43
	v_and_b32_e32 v37, 0xffff, v43
	v_lshrrev_b32_e32 v41, 16, v39
	v_and_b32_e32 v39, 0xffff, v39
	;;#ASMSTART
	v_cvt_f32_f16 v37, v37;
	;;#ASMEND
	;;#ASMSTART
	v_cvt_f32_f16 v38, v38;
	;;#ASMEND
	;; [unrolled: 3-line block ×4, first 2 shown]
	v_fmac_f32_e32 v95, v37, v39
	v_fmac_f32_e32 v91, v38, v41
	v_lshrrev_b32_e32 v38, 16, v44
	v_and_b32_e32 v37, 0xffff, v44
	v_and_b32_e32 v39, 0xffff, v40
	;;#ASMSTART
	v_cvt_f32_f16 v37, v37;
	;;#ASMEND
	;;#ASMSTART
	v_cvt_f32_f16 v38, v38;
	;;#ASMEND
	v_lshrrev_b32_e32 v41, 16, v40
	;;#ASMSTART
	v_cvt_f32_f16 v39, v39;
	;;#ASMEND
	;;#ASMSTART
	v_cvt_f32_f16 v40, v41;
	;;#ASMEND
	v_fmac_f32_e32 v96, v37, v39
	v_fmac_f32_e32 v92, v38, v40
	ds_read_b128 v[37:40], v104 offset:240
	s_waitcnt vmcnt(8)
	v_lshrrev_b32_e32 v42, 16, v33
	v_and_b32_e32 v33, 0xffff, v33
	v_fmac_f32_e32 v93, v45, v46
	s_waitcnt lgkmcnt(0)
	v_lshrrev_b32_e32 v41, 16, v37
	v_and_b32_e32 v37, 0xffff, v37
	;;#ASMSTART
	v_cvt_f32_f16 v37, v37;
	;;#ASMEND
	;;#ASMSTART
	v_cvt_f32_f16 v41, v41;
	;;#ASMEND
	;; [unrolled: 3-line block ×3, first 2 shown]
	v_fmac_f32_e32 v89, v37, v33
	v_lshrrev_b32_e32 v37, 16, v38
	v_and_b32_e32 v33, 0xffff, v38
	v_lshrrev_b32_e32 v38, 16, v34
	v_and_b32_e32 v34, 0xffff, v34
	;;#ASMSTART
	v_cvt_f32_f16 v42, v42;
	;;#ASMEND
	;;#ASMSTART
	v_cvt_f32_f16 v33, v33;
	;;#ASMEND
	;;#ASMSTART
	v_cvt_f32_f16 v37, v37;
	;;#ASMEND
	;;#ASMSTART
	v_cvt_f32_f16 v34, v34;
	;;#ASMEND
	;;#ASMSTART
	v_cvt_f32_f16 v38, v38;
	;;#ASMEND
	v_fmac_f32_e32 v94, v33, v34
	v_fmac_f32_e32 v90, v37, v38
	v_lshrrev_b32_e32 v34, 16, v39
	v_and_b32_e32 v33, 0xffff, v39
	v_lshrrev_b32_e32 v37, 16, v35
	v_and_b32_e32 v35, 0xffff, v35
	;;#ASMSTART
	v_cvt_f32_f16 v33, v33;
	;;#ASMEND
	;;#ASMSTART
	v_cvt_f32_f16 v34, v34;
	;;#ASMEND
	;; [unrolled: 3-line block ×4, first 2 shown]
	v_fmac_f32_e32 v95, v33, v35
	v_fmac_f32_e32 v91, v34, v37
	v_lshrrev_b32_e32 v34, 16, v40
	v_and_b32_e32 v33, 0xffff, v40
	v_and_b32_e32 v35, 0xffff, v36
	;;#ASMSTART
	v_cvt_f32_f16 v33, v33;
	;;#ASMEND
	;;#ASMSTART
	v_cvt_f32_f16 v34, v34;
	;;#ASMEND
	v_lshrrev_b32_e32 v37, 16, v36
	;;#ASMSTART
	v_cvt_f32_f16 v35, v35;
	;;#ASMEND
	;;#ASMSTART
	v_cvt_f32_f16 v36, v37;
	;;#ASMEND
	v_fmac_f32_e32 v96, v33, v35
	v_fmac_f32_e32 v92, v34, v36
	ds_read_b128 v[33:36], v104 offset:256
	s_waitcnt vmcnt(7)
	v_lshrrev_b32_e32 v38, 16, v29
	v_and_b32_e32 v29, 0xffff, v29
	v_fmac_f32_e32 v93, v41, v42
	s_waitcnt lgkmcnt(0)
	v_lshrrev_b32_e32 v37, 16, v33
	v_and_b32_e32 v33, 0xffff, v33
	;;#ASMSTART
	v_cvt_f32_f16 v33, v33;
	;;#ASMEND
	;;#ASMSTART
	v_cvt_f32_f16 v37, v37;
	;;#ASMEND
	;; [unrolled: 3-line block ×3, first 2 shown]
	v_fmac_f32_e32 v89, v33, v29
	v_lshrrev_b32_e32 v33, 16, v34
	v_and_b32_e32 v29, 0xffff, v34
	v_lshrrev_b32_e32 v34, 16, v30
	v_and_b32_e32 v30, 0xffff, v30
	;;#ASMSTART
	v_cvt_f32_f16 v38, v38;
	;;#ASMEND
	;;#ASMSTART
	v_cvt_f32_f16 v29, v29;
	;;#ASMEND
	;; [unrolled: 3-line block ×5, first 2 shown]
	v_fmac_f32_e32 v94, v29, v30
	v_fmac_f32_e32 v90, v33, v34
	v_lshrrev_b32_e32 v30, 16, v35
	v_and_b32_e32 v29, 0xffff, v35
	v_lshrrev_b32_e32 v33, 16, v31
	v_and_b32_e32 v31, 0xffff, v31
	;;#ASMSTART
	v_cvt_f32_f16 v29, v29;
	;;#ASMEND
	;;#ASMSTART
	v_cvt_f32_f16 v30, v30;
	;;#ASMEND
	;; [unrolled: 3-line block ×4, first 2 shown]
	v_fmac_f32_e32 v95, v29, v31
	v_fmac_f32_e32 v91, v30, v33
	v_lshrrev_b32_e32 v30, 16, v36
	v_and_b32_e32 v29, 0xffff, v36
	v_and_b32_e32 v31, 0xffff, v32
	;;#ASMSTART
	v_cvt_f32_f16 v29, v29;
	;;#ASMEND
	;;#ASMSTART
	v_cvt_f32_f16 v30, v30;
	;;#ASMEND
	v_lshrrev_b32_e32 v33, 16, v32
	;;#ASMSTART
	v_cvt_f32_f16 v31, v31;
	;;#ASMEND
	;;#ASMSTART
	v_cvt_f32_f16 v32, v33;
	;;#ASMEND
	v_fmac_f32_e32 v96, v29, v31
	v_fmac_f32_e32 v92, v30, v32
	ds_read_b128 v[29:32], v104 offset:272
	s_waitcnt vmcnt(6)
	v_lshrrev_b32_e32 v34, 16, v25
	v_and_b32_e32 v25, 0xffff, v25
	v_fmac_f32_e32 v93, v37, v38
	s_waitcnt lgkmcnt(0)
	v_lshrrev_b32_e32 v33, 16, v29
	v_and_b32_e32 v29, 0xffff, v29
	;;#ASMSTART
	v_cvt_f32_f16 v29, v29;
	;;#ASMEND
	;;#ASMSTART
	v_cvt_f32_f16 v33, v33;
	;;#ASMEND
	;; [unrolled: 3-line block ×3, first 2 shown]
	v_fmac_f32_e32 v89, v29, v25
	v_lshrrev_b32_e32 v29, 16, v30
	v_and_b32_e32 v25, 0xffff, v30
	v_lshrrev_b32_e32 v30, 16, v26
	v_and_b32_e32 v26, 0xffff, v26
	;;#ASMSTART
	v_cvt_f32_f16 v34, v34;
	;;#ASMEND
	;;#ASMSTART
	v_cvt_f32_f16 v25, v25;
	;;#ASMEND
	;;#ASMSTART
	v_cvt_f32_f16 v29, v29;
	;;#ASMEND
	;;#ASMSTART
	v_cvt_f32_f16 v26, v26;
	;;#ASMEND
	;;#ASMSTART
	v_cvt_f32_f16 v30, v30;
	;;#ASMEND
	v_fmac_f32_e32 v94, v25, v26
	v_fmac_f32_e32 v90, v29, v30
	v_lshrrev_b32_e32 v26, 16, v31
	v_and_b32_e32 v25, 0xffff, v31
	v_lshrrev_b32_e32 v29, 16, v27
	v_and_b32_e32 v27, 0xffff, v27
	;;#ASMSTART
	v_cvt_f32_f16 v25, v25;
	;;#ASMEND
	;;#ASMSTART
	v_cvt_f32_f16 v26, v26;
	;;#ASMEND
	;; [unrolled: 3-line block ×4, first 2 shown]
	v_fmac_f32_e32 v95, v25, v27
	v_fmac_f32_e32 v91, v26, v29
	v_lshrrev_b32_e32 v26, 16, v32
	v_and_b32_e32 v25, 0xffff, v32
	v_and_b32_e32 v27, 0xffff, v28
	;;#ASMSTART
	v_cvt_f32_f16 v25, v25;
	;;#ASMEND
	;;#ASMSTART
	v_cvt_f32_f16 v26, v26;
	;;#ASMEND
	v_lshrrev_b32_e32 v29, 16, v28
	;;#ASMSTART
	v_cvt_f32_f16 v27, v27;
	;;#ASMEND
	;;#ASMSTART
	v_cvt_f32_f16 v28, v29;
	;;#ASMEND
	v_fmac_f32_e32 v96, v25, v27
	v_fmac_f32_e32 v92, v26, v28
	ds_read_b128 v[25:28], v104 offset:288
	s_waitcnt vmcnt(5)
	v_lshrrev_b32_e32 v30, 16, v21
	v_and_b32_e32 v21, 0xffff, v21
	v_fmac_f32_e32 v93, v33, v34
	s_waitcnt lgkmcnt(0)
	v_lshrrev_b32_e32 v29, 16, v25
	v_and_b32_e32 v25, 0xffff, v25
	;;#ASMSTART
	v_cvt_f32_f16 v25, v25;
	;;#ASMEND
	;;#ASMSTART
	v_cvt_f32_f16 v29, v29;
	;;#ASMEND
	;; [unrolled: 3-line block ×3, first 2 shown]
	v_fmac_f32_e32 v89, v25, v21
	v_lshrrev_b32_e32 v25, 16, v26
	v_and_b32_e32 v21, 0xffff, v26
	v_lshrrev_b32_e32 v26, 16, v22
	v_and_b32_e32 v22, 0xffff, v22
	;;#ASMSTART
	v_cvt_f32_f16 v30, v30;
	;;#ASMEND
	;;#ASMSTART
	v_cvt_f32_f16 v21, v21;
	;;#ASMEND
	;; [unrolled: 3-line block ×5, first 2 shown]
	v_fmac_f32_e32 v94, v21, v22
	v_fmac_f32_e32 v90, v25, v26
	v_lshrrev_b32_e32 v22, 16, v27
	v_and_b32_e32 v21, 0xffff, v27
	v_lshrrev_b32_e32 v25, 16, v23
	v_and_b32_e32 v23, 0xffff, v23
	;;#ASMSTART
	v_cvt_f32_f16 v21, v21;
	;;#ASMEND
	;;#ASMSTART
	v_cvt_f32_f16 v22, v22;
	;;#ASMEND
	;; [unrolled: 3-line block ×4, first 2 shown]
	v_fmac_f32_e32 v95, v21, v23
	v_fmac_f32_e32 v91, v22, v25
	v_lshrrev_b32_e32 v22, 16, v28
	v_and_b32_e32 v21, 0xffff, v28
	v_and_b32_e32 v23, 0xffff, v24
	;;#ASMSTART
	v_cvt_f32_f16 v21, v21;
	;;#ASMEND
	;;#ASMSTART
	v_cvt_f32_f16 v22, v22;
	;;#ASMEND
	v_lshrrev_b32_e32 v25, 16, v24
	;;#ASMSTART
	v_cvt_f32_f16 v23, v23;
	;;#ASMEND
	;;#ASMSTART
	v_cvt_f32_f16 v24, v25;
	;;#ASMEND
	v_fmac_f32_e32 v96, v21, v23
	v_fmac_f32_e32 v92, v22, v24
	ds_read_b128 v[21:24], v104 offset:304
	s_waitcnt vmcnt(4)
	v_lshrrev_b32_e32 v26, 16, v17
	v_and_b32_e32 v17, 0xffff, v17
	v_fmac_f32_e32 v93, v29, v30
	s_waitcnt lgkmcnt(0)
	v_lshrrev_b32_e32 v25, 16, v21
	v_and_b32_e32 v21, 0xffff, v21
	;;#ASMSTART
	v_cvt_f32_f16 v21, v21;
	;;#ASMEND
	;;#ASMSTART
	v_cvt_f32_f16 v25, v25;
	;;#ASMEND
	;; [unrolled: 3-line block ×3, first 2 shown]
	v_fmac_f32_e32 v89, v21, v17
	v_lshrrev_b32_e32 v21, 16, v22
	v_and_b32_e32 v17, 0xffff, v22
	v_lshrrev_b32_e32 v22, 16, v18
	v_and_b32_e32 v18, 0xffff, v18
	;;#ASMSTART
	v_cvt_f32_f16 v26, v26;
	;;#ASMEND
	;;#ASMSTART
	v_cvt_f32_f16 v17, v17;
	;;#ASMEND
	;; [unrolled: 3-line block ×5, first 2 shown]
	v_fmac_f32_e32 v94, v17, v18
	v_fmac_f32_e32 v90, v21, v22
	v_lshrrev_b32_e32 v18, 16, v23
	v_and_b32_e32 v17, 0xffff, v23
	v_lshrrev_b32_e32 v21, 16, v19
	v_and_b32_e32 v19, 0xffff, v19
	;;#ASMSTART
	v_cvt_f32_f16 v17, v17;
	;;#ASMEND
	;;#ASMSTART
	v_cvt_f32_f16 v18, v18;
	;;#ASMEND
	;; [unrolled: 3-line block ×4, first 2 shown]
	v_fmac_f32_e32 v95, v17, v19
	v_fmac_f32_e32 v91, v18, v21
	v_lshrrev_b32_e32 v18, 16, v24
	v_and_b32_e32 v17, 0xffff, v24
	v_and_b32_e32 v19, 0xffff, v20
	;;#ASMSTART
	v_cvt_f32_f16 v17, v17;
	;;#ASMEND
	;;#ASMSTART
	v_cvt_f32_f16 v18, v18;
	;;#ASMEND
	v_lshrrev_b32_e32 v21, 16, v20
	;;#ASMSTART
	v_cvt_f32_f16 v19, v19;
	;;#ASMEND
	;;#ASMSTART
	v_cvt_f32_f16 v20, v21;
	;;#ASMEND
	v_fmac_f32_e32 v96, v17, v19
	v_fmac_f32_e32 v92, v18, v20
	ds_read_b128 v[17:20], v104 offset:320
	s_waitcnt vmcnt(3)
	v_lshrrev_b32_e32 v22, 16, v13
	v_and_b32_e32 v13, 0xffff, v13
	v_fmac_f32_e32 v93, v25, v26
	s_waitcnt lgkmcnt(0)
	v_lshrrev_b32_e32 v21, 16, v17
	v_and_b32_e32 v17, 0xffff, v17
	;;#ASMSTART
	v_cvt_f32_f16 v17, v17;
	;;#ASMEND
	;;#ASMSTART
	v_cvt_f32_f16 v21, v21;
	;;#ASMEND
	;; [unrolled: 3-line block ×3, first 2 shown]
	v_fmac_f32_e32 v89, v17, v13
	v_lshrrev_b32_e32 v17, 16, v18
	v_and_b32_e32 v13, 0xffff, v18
	v_lshrrev_b32_e32 v18, 16, v14
	v_and_b32_e32 v14, 0xffff, v14
	;;#ASMSTART
	v_cvt_f32_f16 v22, v22;
	;;#ASMEND
	;;#ASMSTART
	v_cvt_f32_f16 v13, v13;
	;;#ASMEND
	;; [unrolled: 3-line block ×5, first 2 shown]
	v_fmac_f32_e32 v94, v13, v14
	v_fmac_f32_e32 v90, v17, v18
	v_lshrrev_b32_e32 v14, 16, v19
	v_and_b32_e32 v13, 0xffff, v19
	v_lshrrev_b32_e32 v17, 16, v15
	v_and_b32_e32 v15, 0xffff, v15
	;;#ASMSTART
	v_cvt_f32_f16 v13, v13;
	;;#ASMEND
	;;#ASMSTART
	v_cvt_f32_f16 v14, v14;
	;;#ASMEND
	;; [unrolled: 3-line block ×4, first 2 shown]
	v_fmac_f32_e32 v95, v13, v15
	v_fmac_f32_e32 v91, v14, v17
	v_lshrrev_b32_e32 v14, 16, v20
	v_and_b32_e32 v13, 0xffff, v20
	v_and_b32_e32 v15, 0xffff, v16
	;;#ASMSTART
	v_cvt_f32_f16 v13, v13;
	;;#ASMEND
	;;#ASMSTART
	v_cvt_f32_f16 v14, v14;
	;;#ASMEND
	v_lshrrev_b32_e32 v17, 16, v16
	;;#ASMSTART
	v_cvt_f32_f16 v15, v15;
	;;#ASMEND
	;;#ASMSTART
	v_cvt_f32_f16 v16, v17;
	;;#ASMEND
	v_fmac_f32_e32 v96, v13, v15
	v_fmac_f32_e32 v92, v14, v16
	ds_read_b128 v[13:16], v104 offset:336
	s_waitcnt vmcnt(2)
	v_lshrrev_b32_e32 v18, 16, v9
	v_and_b32_e32 v9, 0xffff, v9
	v_fmac_f32_e32 v93, v21, v22
	s_waitcnt lgkmcnt(0)
	v_lshrrev_b32_e32 v17, 16, v13
	v_and_b32_e32 v13, 0xffff, v13
	;;#ASMSTART
	v_cvt_f32_f16 v13, v13;
	;;#ASMEND
	;;#ASMSTART
	v_cvt_f32_f16 v17, v17;
	;;#ASMEND
	;; [unrolled: 3-line block ×3, first 2 shown]
	v_fmac_f32_e32 v89, v13, v9
	v_lshrrev_b32_e32 v13, 16, v14
	v_and_b32_e32 v9, 0xffff, v14
	v_lshrrev_b32_e32 v14, 16, v10
	v_and_b32_e32 v10, 0xffff, v10
	;;#ASMSTART
	v_cvt_f32_f16 v18, v18;
	;;#ASMEND
	;;#ASMSTART
	v_cvt_f32_f16 v9, v9;
	;;#ASMEND
	;; [unrolled: 3-line block ×5, first 2 shown]
	v_fmac_f32_e32 v94, v9, v10
	v_fmac_f32_e32 v90, v13, v14
	v_lshrrev_b32_e32 v10, 16, v15
	v_and_b32_e32 v9, 0xffff, v15
	v_lshrrev_b32_e32 v13, 16, v11
	v_and_b32_e32 v11, 0xffff, v11
	;;#ASMSTART
	v_cvt_f32_f16 v9, v9;
	;;#ASMEND
	;;#ASMSTART
	v_cvt_f32_f16 v10, v10;
	;;#ASMEND
	;;#ASMSTART
	v_cvt_f32_f16 v11, v11;
	;;#ASMEND
	;;#ASMSTART
	v_cvt_f32_f16 v13, v13;
	;;#ASMEND
	v_fmac_f32_e32 v95, v9, v11
	v_fmac_f32_e32 v91, v10, v13
	v_lshrrev_b32_e32 v10, 16, v16
	v_and_b32_e32 v9, 0xffff, v16
	v_and_b32_e32 v11, 0xffff, v12
	;;#ASMSTART
	v_cvt_f32_f16 v9, v9;
	;;#ASMEND
	;;#ASMSTART
	v_cvt_f32_f16 v10, v10;
	;;#ASMEND
	v_lshrrev_b32_e32 v13, 16, v12
	;;#ASMSTART
	v_cvt_f32_f16 v11, v11;
	;;#ASMEND
	;;#ASMSTART
	v_cvt_f32_f16 v12, v13;
	;;#ASMEND
	v_fmac_f32_e32 v96, v9, v11
	v_fmac_f32_e32 v92, v10, v12
	ds_read_b128 v[9:12], v104 offset:352
	s_waitcnt vmcnt(1)
	v_lshrrev_b32_e32 v14, 16, v5
	v_and_b32_e32 v5, 0xffff, v5
	v_fmac_f32_e32 v93, v17, v18
	s_waitcnt lgkmcnt(0)
	v_lshrrev_b32_e32 v13, 16, v9
	v_and_b32_e32 v9, 0xffff, v9
	;;#ASMSTART
	v_cvt_f32_f16 v9, v9;
	;;#ASMEND
	;;#ASMSTART
	v_cvt_f32_f16 v13, v13;
	;;#ASMEND
	;; [unrolled: 3-line block ×3, first 2 shown]
	v_fmac_f32_e32 v89, v9, v5
	v_lshrrev_b32_e32 v9, 16, v10
	v_and_b32_e32 v5, 0xffff, v10
	v_lshrrev_b32_e32 v10, 16, v6
	v_and_b32_e32 v6, 0xffff, v6
	;;#ASMSTART
	v_cvt_f32_f16 v14, v14;
	;;#ASMEND
	;;#ASMSTART
	v_cvt_f32_f16 v5, v5;
	;;#ASMEND
	;; [unrolled: 3-line block ×5, first 2 shown]
	v_fmac_f32_e32 v94, v5, v6
	v_fmac_f32_e32 v90, v9, v10
	v_lshrrev_b32_e32 v6, 16, v11
	v_and_b32_e32 v5, 0xffff, v11
	v_lshrrev_b32_e32 v9, 16, v7
	v_and_b32_e32 v7, 0xffff, v7
	;;#ASMSTART
	v_cvt_f32_f16 v5, v5;
	;;#ASMEND
	;;#ASMSTART
	v_cvt_f32_f16 v6, v6;
	;;#ASMEND
	;; [unrolled: 3-line block ×4, first 2 shown]
	v_fmac_f32_e32 v95, v5, v7
	v_fmac_f32_e32 v91, v6, v9
	v_lshrrev_b32_e32 v6, 16, v12
	v_and_b32_e32 v5, 0xffff, v12
	v_and_b32_e32 v7, 0xffff, v8
	;;#ASMSTART
	v_cvt_f32_f16 v5, v5;
	;;#ASMEND
	;;#ASMSTART
	v_cvt_f32_f16 v6, v6;
	;;#ASMEND
	v_lshrrev_b32_e32 v9, 16, v8
	;;#ASMSTART
	v_cvt_f32_f16 v7, v7;
	;;#ASMEND
	;;#ASMSTART
	v_cvt_f32_f16 v8, v9;
	;;#ASMEND
	v_fmac_f32_e32 v96, v5, v7
	v_fmac_f32_e32 v92, v6, v8
	ds_read_b128 v[5:8], v104 offset:368
	v_fmac_f32_e32 v93, v13, v14
	s_waitcnt vmcnt(0)
	v_lshrrev_b32_e32 v10, 16, v1
	v_and_b32_e32 v1, 0xffff, v1
	s_waitcnt lgkmcnt(0)
	v_lshrrev_b32_e32 v9, 16, v5
	v_and_b32_e32 v5, 0xffff, v5
	;;#ASMSTART
	v_cvt_f32_f16 v5, v5;
	;;#ASMEND
	;;#ASMSTART
	v_cvt_f32_f16 v9, v9;
	;;#ASMEND
	;; [unrolled: 3-line block ×3, first 2 shown]
	v_fmac_f32_e32 v89, v5, v1
	v_lshrrev_b32_e32 v5, 16, v6
	v_and_b32_e32 v1, 0xffff, v6
	v_lshrrev_b32_e32 v6, 16, v2
	v_and_b32_e32 v2, 0xffff, v2
	;;#ASMSTART
	v_cvt_f32_f16 v10, v10;
	;;#ASMEND
	v_fmac_f32_e32 v93, v9, v10
	;;#ASMSTART
	v_cvt_f32_f16 v1, v1;
	;;#ASMEND
	;;#ASMSTART
	v_cvt_f32_f16 v5, v5;
	;;#ASMEND
	;; [unrolled: 3-line block ×3, first 2 shown]
	v_fmac_f32_e32 v94, v1, v2
	v_lshrrev_b32_e32 v2, 16, v7
	v_and_b32_e32 v1, 0xffff, v7
	;;#ASMSTART
	v_cvt_f32_f16 v6, v6;
	;;#ASMEND
	v_fmac_f32_e32 v90, v5, v6
	;;#ASMSTART
	v_cvt_f32_f16 v1, v1;
	;;#ASMEND
	;;#ASMSTART
	v_cvt_f32_f16 v2, v2;
	;;#ASMEND
	v_lshrrev_b32_e32 v5, 16, v3
	v_and_b32_e32 v3, 0xffff, v3
	;;#ASMSTART
	v_cvt_f32_f16 v3, v3;
	;;#ASMEND
	;;#ASMSTART
	v_cvt_f32_f16 v5, v5;
	;;#ASMEND
	v_fmac_f32_e32 v95, v1, v3
	v_fmac_f32_e32 v91, v2, v5
	v_lshrrev_b32_e32 v1, 16, v8
	v_and_b32_e32 v2, 0xffff, v8
	;;#ASMSTART
	v_cvt_f32_f16 v2, v2;
	;;#ASMEND
	;;#ASMSTART
	v_cvt_f32_f16 v1, v1;
	;;#ASMEND
	v_lshrrev_b32_e32 v3, 16, v4
	v_and_b32_e32 v4, 0xffff, v4
	;;#ASMSTART
	v_cvt_f32_f16 v4, v4;
	;;#ASMEND
	;;#ASMSTART
	v_cvt_f32_f16 v3, v3;
	;;#ASMEND
	v_fmac_f32_e32 v92, v1, v3
	v_add_f32_e32 v1, v89, v93
	v_fmac_f32_e32 v96, v2, v4
	v_add_f32_e32 v1, v1, v94
	v_add_f32_e32 v1, v90, v1
	;; [unrolled: 1-line block ×6, first 2 shown]
	v_fmac_f32_e32 v112, s3, v1
	v_cndmask_b32_e64 v1, 0, v112, s1
	ds_write_b32 v107, v1
	v_max_f32_e32 v1, v103, v103
	v_max_f32_e32 v1, v1, v112
	v_cndmask_b32_e64 v103, v103, v1, s1
	s_branch .LBB97_10
.LBB97_15:
	s_or_b32 exec_lo, exec_lo, s15
	v_lshrrev_b32_e32 v111, 5, v0
	v_lshlrev_b32_e32 v37, 4, v0
	v_lshlrev_b32_e32 v13, 2, v100
.LBB97_16:
	s_or_b32 exec_lo, exec_lo, s33
	v_mbcnt_lo_u32_b32 v2, -1, 0
	v_max_f32_e32 v5, v103, v103
	v_xor_b32_e32 v1, 16, v2
	v_xor_b32_e32 v4, 8, v2
	v_cmp_gt_i32_e32 vcc_lo, 32, v1
	v_cndmask_b32_e32 v1, v2, v1, vcc_lo
	v_cmp_gt_i32_e32 vcc_lo, 32, v4
	v_lshlrev_b32_e32 v1, 2, v1
	v_cndmask_b32_e32 v4, v2, v4, vcc_lo
	ds_bpermute_b32 v3, v1, v103
	s_waitcnt lgkmcnt(0)
	v_max_f32_e32 v6, v3, v3
	v_lshlrev_b32_e32 v3, 2, v4
	v_max_f32_e32 v5, v5, v6
	v_xor_b32_e32 v6, 4, v2
	ds_bpermute_b32 v4, v3, v5
	v_cmp_gt_i32_e32 vcc_lo, 32, v6
	v_cndmask_b32_e32 v6, v2, v6, vcc_lo
	s_waitcnt lgkmcnt(0)
	v_max_f32_e32 v7, v4, v4
	v_lshlrev_b32_e32 v4, 2, v6
	v_max_f32_e32 v5, v5, v7
	v_xor_b32_e32 v7, 2, v2
	ds_bpermute_b32 v6, v4, v5
	v_cmp_gt_i32_e32 vcc_lo, 32, v7
	v_cndmask_b32_e32 v7, v2, v7, vcc_lo
	v_lshlrev_b32_e32 v12, 2, v7
	v_xor_b32_e32 v7, 1, v2
	v_cmp_gt_i32_e32 vcc_lo, 32, v7
	s_waitcnt lgkmcnt(0)
	v_max_f32_e32 v6, v6, v6
	v_cndmask_b32_e32 v7, v2, v7, vcc_lo
	v_cmp_eq_u32_e32 vcc_lo, 0, v100
	v_max_f32_e32 v5, v5, v6
	v_lshlrev_b32_e32 v11, 2, v7
	ds_bpermute_b32 v6, v12, v5
	s_waitcnt lgkmcnt(0)
	v_max_f32_e32 v6, v6, v6
	v_max_f32_e32 v2, v5, v6
	v_lshlrev_b32_e32 v5, 2, v111
	ds_bpermute_b32 v6, v11, v2
	s_and_saveexec_b32 s1, vcc_lo
	s_cbranch_execz .LBB97_18
; %bb.17:
	s_waitcnt lgkmcnt(0)
	v_max_f32_e32 v6, v6, v6
	v_max_f32_e32 v2, v2, v2
	;; [unrolled: 1-line block ×3, first 2 shown]
	ds_write_b32 v5, v2 offset:384
.LBB97_18:
	s_or_b32 exec_lo, exec_lo, s1
	v_cmp_gt_u32_e64 s1, 4, v100
	v_mov_b32_e32 v2, 0xff7fffff
	s_waitcnt lgkmcnt(0)
	s_barrier
	buffer_gl0_inv
	s_and_saveexec_b32 s2, s1
; %bb.19:
	ds_read_b32 v2, v13 offset:384
; %bb.20:
	s_or_b32 exec_lo, exec_lo, s2
	s_waitcnt lgkmcnt(0)
	ds_bpermute_b32 v6, v12, v2
	v_max_f32_e32 v2, v2, v2
	s_lshl_b32 s2, s16, 5
	s_min_i32 s4, s2, s28
	v_cmp_gt_i32_e64 s2, s4, v0
	s_waitcnt lgkmcnt(0)
	v_max_f32_e32 v6, v6, v6
	v_max_f32_e32 v2, v2, v6
	ds_bpermute_b32 v6, v11, v2
	s_waitcnt lgkmcnt(0)
	v_max_f32_e32 v6, v6, v6
	v_max_f32_e32 v2, v2, v6
	v_mov_b32_e32 v6, 0
	ds_bpermute_b32 v7, v6, v2
	v_lshl_add_u32 v2, v0, 2, 0x1a0
	s_and_saveexec_b32 s5, s2
	s_cbranch_execz .LBB97_24
; %bb.21:
	v_lshl_add_u32 v8, v0, 2, 0x1a0
	v_mov_b32_e32 v6, 0
	v_mov_b32_e32 v9, v0
	s_mov_b32 s15, 0
	.p2align	6
.LBB97_22:                              ; =>This Inner Loop Header: Depth=1
	ds_read_b32 v10, v8
	v_add_nc_u32_e32 v9, 0x80, v9
	v_cmp_le_i32_e64 s3, s4, v9
	s_or_b32 s15, s3, s15
	s_waitcnt lgkmcnt(0)
	v_sub_f32_e32 v10, v10, v7
	v_mul_f32_e32 v10, 0x3fb8aa3b, v10
	v_exp_f32_e32 v10, v10
	ds_write_b32 v8, v10
	v_add_f32_e32 v6, v6, v10
	v_add_nc_u32_e32 v8, 0x200, v8
	s_andn2_b32 exec_lo, exec_lo, s15
	s_cbranch_execnz .LBB97_22
; %bb.23:
	s_or_b32 exec_lo, exec_lo, s15
.LBB97_24:
	s_or_b32 exec_lo, exec_lo, s5
	ds_bpermute_b32 v1, v1, v6
	s_waitcnt lgkmcnt(0)
	v_add_f32_e32 v1, v6, v1
	ds_bpermute_b32 v3, v3, v1
	s_waitcnt lgkmcnt(0)
	v_add_f32_e32 v1, v1, v3
	;; [unrolled: 3-line block ×5, first 2 shown]
	s_and_saveexec_b32 s3, vcc_lo
; %bb.25:
	ds_write_b32 v5, v1 offset:400
; %bb.26:
	s_or_b32 exec_lo, exec_lo, s3
	s_waitcnt lgkmcnt(0)
	s_barrier
	buffer_gl0_inv
	s_and_saveexec_b32 s3, s1
; %bb.27:
	ds_read_b32 v1, v13 offset:400
; %bb.28:
	s_or_b32 exec_lo, exec_lo, s3
	s_waitcnt lgkmcnt(0)
	ds_bpermute_b32 v3, v12, v1
	s_waitcnt lgkmcnt(0)
	v_add_f32_e32 v1, v1, v3
	ds_bpermute_b32 v3, v11, v1
	s_waitcnt lgkmcnt(0)
	v_add_f32_e32 v1, v1, v3
	v_mov_b32_e32 v3, 0
	ds_bpermute_b32 v1, v3, v1
	s_and_saveexec_b32 s1, s2
	s_cbranch_execz .LBB97_31
; %bb.29:
	s_waitcnt lgkmcnt(0)
	v_add_f32_e32 v1, 0x358637bd, v1
	s_mov_b32 s2, 0
	v_div_scale_f32 v3, null, v1, v1, 1.0
	v_div_scale_f32 v6, vcc_lo, 1.0, v1, 1.0
	v_rcp_f32_e32 v4, v3
	v_fma_f32 v5, -v3, v4, 1.0
	v_fmac_f32_e32 v4, v5, v4
	v_mul_f32_e32 v5, v6, v4
	v_fma_f32 v7, -v3, v5, v6
	v_fmac_f32_e32 v5, v7, v4
	v_fma_f32 v3, -v3, v5, v6
	v_div_fmas_f32 v3, v3, v4, v5
	v_div_fixup_f32 v1, v3, v1, 1.0
	v_mov_b32_e32 v3, v0
.LBB97_30:                              ; =>This Inner Loop Header: Depth=1
	ds_read_b32 v4, v2
	v_add_nc_u32_e32 v3, 0x80, v3
	v_cmp_le_i32_e32 vcc_lo, s4, v3
	s_or_b32 s2, vcc_lo, s2
	s_waitcnt lgkmcnt(0)
	v_mul_f32_e32 v4, v1, v4
	ds_write_b32 v2, v4
	v_add_nc_u32_e32 v2, 0x200, v2
	s_andn2_b32 exec_lo, exec_lo, s2
	s_cbranch_execnz .LBB97_30
.LBB97_31:
	s_or_b32 exec_lo, exec_lo, s1
	v_mov_b32_e32 v36, 0
	v_mov_b32_e32 v35, 0
	;; [unrolled: 1-line block ×24, first 2 shown]
	s_waitcnt lgkmcnt(0)
	s_barrier
	buffer_gl0_inv
	s_and_saveexec_b32 s2, s0
	s_cbranch_execz .LBB97_85
; %bb.32:
	s_lshl_b64 s[0:1], s[26:27], 2
	v_and_b32_e32 v3, 0x1f0, v37
	s_add_u32 s3, s22, s0
	s_addc_u32 s4, s23, s1
	s_ashr_i32 s15, s14, 31
	s_sub_i32 s5, s30, s17
	s_lshl_b64 s[0:1], s[14:15], 1
	v_lshlrev_b32_e32 v2, 3, v0
	s_add_u32 s0, s24, s0
	s_addc_u32 s1, s25, s1
	s_abs_i32 s14, s18
	v_add_co_u32 v38, s0, s0, v3
	v_cvt_f32_u32_e32 v1, s14
	s_sub_i32 s15, 0, s14
	v_mov_b32_e32 v6, 0
	v_mov_b32_e32 v13, 0
	v_mov_b32_e32 v14, 0
	v_rcp_iflag_f32_e32 v1, v1
	v_mov_b32_e32 v15, 0
	v_mov_b32_e32 v16, 0
	;; [unrolled: 1-line block ×9, first 2 shown]
	v_mul_f32_e32 v1, 0x4f7ffffe, v1
	v_mov_b32_e32 v24, 0
	v_mov_b32_e32 v25, 0
	;; [unrolled: 1-line block ×4, first 2 shown]
	v_cvt_u32_f32_e32 v1, v1
	v_mov_b32_e32 v28, 0
	v_mov_b32_e32 v29, 0
	;; [unrolled: 1-line block ×4, first 2 shown]
	v_mul_lo_u32 v4, s15, v1
	v_mov_b32_e32 v32, 0
	v_mov_b32_e32 v33, 0
	;; [unrolled: 1-line block ×5, first 2 shown]
	v_and_b32_e32 v37, 24, v2
	v_add_co_ci_u32_e64 v39, null, s1, 0, s0
	v_mul_hi_u32 v4, v1, v4
	v_mov_b32_e32 v5, v111
	s_add_i32 s17, s16, -1
	s_mov_b32 s15, 0
	v_add_nc_u32_e32 v40, v1, v4
	s_branch .LBB97_35
.LBB97_33:                              ;   in Loop: Header=BB97_35 Depth=1
	s_or_b32 exec_lo, exec_lo, s1
	v_add_f32_e32 v9, v9, v10
	v_add_f32_e32 v10, v89, v90
	v_add_f32_e32 v41, v96, v97
	v_add_f32_e32 v48, v93, v94
	v_add_f32_e32 v49, v91, v92
	v_add_f32_e32 v17, v17, v9
	v_add_f32_e32 v18, v18, v10
	v_add_f32_e32 v10, v81, v82
	v_add_f32_e32 v14, v14, v41
	v_add_f32_e32 v41, v87, v88
	v_add_f32_e32 v15, v15, v48
	v_add_f32_e32 v48, v85, v86
	v_add_f32_e32 v22, v22, v10
	v_add_f32_e32 v10, v71, v72
	v_add_f32_e32 v19, v19, v41
	v_add_f32_e32 v9, v83, v84
	v_add_f32_e32 v41, v79, v80
	v_lshlrev_b32_e32 v8, 16, v8
	v_add_f32_e32 v27, v27, v10
	v_lshlrev_b32_e32 v10, 16, v95
	v_lshlrev_b32_e32 v7, 16, v7
	v_add_f32_e32 v16, v16, v49
	v_add_f32_e32 v20, v20, v48
	;; [unrolled: 1-line block ×3, first 2 shown]
	v_and_or_b32 v1, 0xffff, v1, v10
	v_add_f32_e32 v49, v75, v76
	v_add_f32_e32 v21, v21, v9
	;; [unrolled: 1-line block ×5, first 2 shown]
	v_and_or_b32 v2, 0xffff, v2, v8
	v_and_or_b32 v3, 0xffff, v3, v7
	;;#ASMSTART
	v_pk_mul_f16 v1, v43, v1;

	;;#ASMEND
	;;#ASMSTART
	v_pk_mul_f16 v2, v42, v2;

	;;#ASMEND
	;; [unrolled: 4-line block ×4, first 2 shown]
	;;#ASMSTART
	v_pk_add_f16 v1, v1, v2;

	;;#ASMEND
	;;#ASMSTART
	v_pk_add_f16 v1, v1, v3;

	;;#ASMEND
	;; [unrolled: 4-line block ×3, first 2 shown]
	v_and_b32_e32 v4, 0xffff, v1
	v_lshrrev_b32_e32 v8, 16, v1
	;;#ASMSTART
	v_cvt_f32_f16 v4, v4;
	;;#ASMEND
	v_add_f32_e32 v24, v24, v48
	v_add_f32_e32 v25, v25, v49
	v_add_f32_e32 v48, v67, v68
	v_add_f32_e32 v49, v65, v66
	v_add_f32_e32 v26, v26, v9
	v_add_f32_e32 v28, v28, v41
	v_add_f32_e32 v9, v63, v64
	v_add_f32_e32 v41, v61, v62
	v_add_f32_e32 v7, v59, v60
	v_add_f32_e32 v1, v57, v58
	v_add_f32_e32 v2, v55, v56
	v_add_f32_e32 v3, v44, v45
	;;#ASMSTART
	v_cvt_f32_f16 v8, v8;
	;;#ASMEND
	v_add_f32_e32 v4, v4, v8
	v_add_f32_e32 v29, v29, v48
	;; [unrolled: 1-line block ×10, first 2 shown]
.LBB97_34:                              ;   in Loop: Header=BB97_35 Depth=1
	s_or_b32 exec_lo, exec_lo, s18
	v_add_nc_u32_e32 v5, 4, v5
	v_cmp_le_i32_e32 vcc_lo, s16, v5
	s_or_b32 s15, vcc_lo, s15
	s_andn2_b32 exec_lo, exec_lo, s15
	s_cbranch_execz .LBB97_84
.LBB97_35:                              ; =>This Inner Loop Header: Depth=1
	v_lshlrev_b32_e32 v1, 5, v5
	v_mul_hi_u32 v2, v1, s21
	v_mul_lo_u32 v3, v2, s12
	v_add_nc_u32_e32 v4, 1, v2
	v_sub_nc_u32_e32 v3, v1, v3
	v_subrev_nc_u32_e32 v7, s12, v3
	v_cmp_le_u32_e32 vcc_lo, s12, v3
	v_cndmask_b32_e32 v2, v2, v4, vcc_lo
	v_cndmask_b32_e32 v3, v3, v7, vcc_lo
	v_add_nc_u32_e32 v4, 1, v2
	v_cmp_le_u32_e32 vcc_lo, s12, v3
	v_cndmask_b32_e32 v2, v2, v4, vcc_lo
	v_xor_b32_e32 v2, s19, v2
	v_subrev_nc_u32_e32 v2, s19, v2
	v_add_nc_u32_e32 v3, s29, v2
	v_cmp_lt_i32_e64 s0, s5, v2
	v_sub_nc_u32_e32 v4, 0, v3
	v_max_i32_e32 v4, v3, v4
	v_ashrrev_i32_e32 v3, 31, v3
	v_mul_hi_u32 v7, v4, v40
	v_mul_lo_u32 v7, v7, s14
	v_sub_nc_u32_e32 v4, v4, v7
	v_subrev_nc_u32_e32 v7, s14, v4
	v_cmp_le_u32_e32 vcc_lo, s14, v4
	v_cndmask_b32_e32 v4, v4, v7, vcc_lo
	v_subrev_nc_u32_e32 v7, s14, v4
	v_cmp_le_u32_e32 vcc_lo, s14, v4
	v_cndmask_b32_e32 v4, v4, v7, vcc_lo
	v_xor_b32_e32 v4, v4, v3
	v_sub_nc_u32_e32 v3, v4, v3
	v_cmp_eq_u32_e32 vcc_lo, 0, v3
	s_or_b32 s0, vcc_lo, s0
	s_and_saveexec_b32 s18, s0
	s_cbranch_execz .LBB97_34
; %bb.36:                               ;   in Loop: Header=BB97_35 Depth=1
	v_lshlrev_b64 v[2:3], 2, v[5:6]
	v_or_b32_e32 v41, v1, v37
	v_cmp_eq_u32_e64 s0, s17, v5
	v_lshl_add_u32 v8, v41, 2, 0x1a0
	v_add_co_u32 v2, vcc_lo, s3, v2
	v_add_co_ci_u32_e64 v3, null, s4, v3, vcc_lo
	v_or_b32_e32 v54, 1, v41
	v_or_b32_e32 v52, 2, v41
	;; [unrolled: 1-line block ×3, first 2 shown]
	global_load_dword v7, v[2:3], off
	ds_read2_b64 v[1:4], v8 offset1:1
	ds_read2_b64 v[47:50], v8 offset0:2 offset1:3
	v_or_b32_e32 v53, 6, v41
	s_waitcnt lgkmcnt(1)
	;;#ASMSTART
	v_cvt_f16_f32 v43, v1;

	;;#ASMEND
	;;#ASMSTART
	v_cvt_f16_f32 v42, v2;

	;;#ASMEND
	;; [unrolled: 4-line block ×4, first 2 shown]
	s_waitcnt lgkmcnt(0)
	;;#ASMSTART
	v_cvt_f16_f32 v47, v47;

	;;#ASMEND
	;;#ASMSTART
	v_cvt_f16_f32 v10, v48;

	;;#ASMEND
	;; [unrolled: 4-line block ×4, first 2 shown]
	v_or_b32_e32 v49, 4, v41
	v_or_b32_e32 v48, 5, v41
	;; [unrolled: 1-line block ×3, first 2 shown]
	s_waitcnt vmcnt(0)
	v_mad_i64_i32 v[7:8], null, v7, s13, 0
	v_lshlrev_b64 v[7:8], 1, v[7:8]
	v_add_co_u32 v7, vcc_lo, v38, v7
	v_add_co_ci_u32_e64 v8, null, v39, v8, vcc_lo
	global_load_dwordx4 v[1:4], v[7:8], off
	s_waitcnt vmcnt(0)
	v_lshrrev_b32_e32 v57, 16, v1
	v_lshrrev_b32_e32 v56, 16, v2
	v_lshrrev_b32_e32 v55, 16, v3
	s_and_saveexec_b32 s22, s0
	s_cbranch_execz .LBB97_38
; %bb.37:                               ;   in Loop: Header=BB97_35 Depth=1
	v_cmp_gt_i32_e32 vcc_lo, s28, v41
	v_and_b32_e32 v58, 0xffff0000, v4
	v_cmp_gt_i32_e64 s1, s28, v52
	v_cndmask_b32_e32 v1, 0, v1, vcc_lo
	v_cmp_gt_i32_e32 vcc_lo, s28, v54
	v_cndmask_b32_e64 v2, 0, v2, s1
	v_cmp_gt_i32_e64 s1, s28, v51
	v_cndmask_b32_e32 v57, 0, v57, vcc_lo
	v_cmp_gt_i32_e32 vcc_lo, s28, v53
	v_cndmask_b32_e64 v56, 0, v56, s1
	v_cndmask_b32_sdwa v4, v6, v4, vcc_lo dst_sel:DWORD dst_unused:UNUSED_PAD src0_sel:DWORD src1_sel:WORD_0
	v_cmp_gt_i32_e32 vcc_lo, s28, v50
	v_cndmask_b32_e32 v58, 0, v58, vcc_lo
	v_cmp_gt_i32_e32 vcc_lo, s28, v49
	v_or_b32_e32 v4, v4, v58
	v_cndmask_b32_e32 v3, 0, v3, vcc_lo
	v_cmp_gt_i32_e32 vcc_lo, s28, v48
	v_cndmask_b32_e32 v55, 0, v55, vcc_lo
.LBB97_38:                              ;   in Loop: Header=BB97_35 Depth=1
	s_or_b32 exec_lo, exec_lo, s22
	v_and_b32_e32 v43, 0xffff, v43
	v_and_b32_e32 v46, 0xffff, v46
	v_lshlrev_b32_e32 v57, 16, v57
	v_lshlrev_b32_e32 v55, 16, v55
	v_and_b32_e32 v47, 0xffff, v47
	v_lshl_or_b32 v43, v42, 16, v43
	v_lshl_or_b32 v42, v44, 16, v46
	v_lshlrev_b32_e32 v44, 16, v56
	v_and_b32_e32 v45, 0xffff, v45
	v_and_or_b32 v1, 0xffff, v1, v57
	v_and_or_b32 v3, 0xffff, v3, v55
	;;#ASMSTART
	v_pk_mul_f16 v1, v43, v1;

	;;#ASMEND
	v_and_or_b32 v2, 0xffff, v2, v44
	v_lshl_or_b32 v46, v10, 16, v47
	v_lshl_or_b32 v47, v9, 16, v45
	;;#ASMSTART
	v_pk_mul_f16 v2, v42, v2;

	;;#ASMEND
	;;#ASMSTART
	v_pk_mul_f16 v3, v46, v3;

	;;#ASMEND
	;; [unrolled: 4-line block ×3, first 2 shown]
	;;#ASMSTART
	v_pk_add_f16 v1, v1, v2;

	;;#ASMEND
	;;#ASMSTART
	v_pk_add_f16 v1, v1, v3;

	;;#ASMEND
	;; [unrolled: 4-line block ×3, first 2 shown]
	v_and_b32_e32 v2, 0xffff, v1
	v_lshrrev_b32_e32 v1, 16, v1
	;;#ASMSTART
	v_cvt_f32_f16 v44, v2;
	;;#ASMEND
	;;#ASMSTART
	v_cvt_f32_f16 v45, v1;
	;;#ASMEND
	global_load_dwordx4 v[1:4], v[7:8], off offset:512
	s_waitcnt vmcnt(0)
	v_lshrrev_b32_e32 v55, 16, v1
	v_lshrrev_b32_e32 v10, 16, v2
	;; [unrolled: 1-line block ×3, first 2 shown]
	s_and_saveexec_b32 s22, s0
	s_cbranch_execz .LBB97_40
; %bb.39:                               ;   in Loop: Header=BB97_35 Depth=1
	v_cmp_gt_i32_e32 vcc_lo, s28, v41
	v_and_b32_e32 v56, 0xffff0000, v4
	v_cmp_gt_i32_e64 s1, s28, v52
	v_cndmask_b32_e32 v1, 0, v1, vcc_lo
	v_cmp_gt_i32_e32 vcc_lo, s28, v54
	v_cndmask_b32_e64 v2, 0, v2, s1
	v_cmp_gt_i32_e64 s1, s28, v51
	v_cndmask_b32_e32 v55, 0, v55, vcc_lo
	v_cmp_gt_i32_e32 vcc_lo, s28, v53
	v_cndmask_b32_e64 v10, 0, v10, s1
	v_cndmask_b32_sdwa v4, v6, v4, vcc_lo dst_sel:DWORD dst_unused:UNUSED_PAD src0_sel:DWORD src1_sel:WORD_0
	v_cmp_gt_i32_e32 vcc_lo, s28, v50
	v_cndmask_b32_e32 v56, 0, v56, vcc_lo
	v_cmp_gt_i32_e32 vcc_lo, s28, v49
	v_or_b32_e32 v4, v4, v56
	v_cndmask_b32_e32 v3, 0, v3, vcc_lo
	v_cmp_gt_i32_e32 vcc_lo, s28, v48
	v_cndmask_b32_e32 v9, 0, v9, vcc_lo
.LBB97_40:                              ;   in Loop: Header=BB97_35 Depth=1
	s_or_b32 exec_lo, exec_lo, s22
	v_lshlrev_b32_e32 v55, 16, v55
	v_lshlrev_b32_e32 v10, 16, v10
	;; [unrolled: 1-line block ×3, first 2 shown]
	v_and_or_b32 v1, 0xffff, v1, v55
	v_and_or_b32 v2, 0xffff, v2, v10
	;; [unrolled: 1-line block ×3, first 2 shown]
	;;#ASMSTART
	v_pk_mul_f16 v1, v43, v1;

	;;#ASMEND
	;;#ASMSTART
	v_pk_mul_f16 v2, v42, v2;

	;;#ASMEND
	;; [unrolled: 4-line block ×4, first 2 shown]
	;;#ASMSTART
	v_pk_add_f16 v1, v1, v2;

	;;#ASMEND
	;;#ASMSTART
	v_pk_add_f16 v1, v1, v3;

	;;#ASMEND
	;; [unrolled: 4-line block ×3, first 2 shown]
	v_and_b32_e32 v2, 0xffff, v1
	v_lshrrev_b32_e32 v1, 16, v1
	;;#ASMSTART
	v_cvt_f32_f16 v55, v2;
	;;#ASMEND
	;;#ASMSTART
	v_cvt_f32_f16 v56, v1;
	;;#ASMEND
	global_load_dwordx4 v[1:4], v[7:8], off offset:1024
	s_waitcnt vmcnt(0)
	v_lshrrev_b32_e32 v57, 16, v1
	v_lshrrev_b32_e32 v10, 16, v2
	;; [unrolled: 1-line block ×3, first 2 shown]
	s_and_saveexec_b32 s22, s0
	s_cbranch_execz .LBB97_42
; %bb.41:                               ;   in Loop: Header=BB97_35 Depth=1
	v_cmp_gt_i32_e32 vcc_lo, s28, v41
	v_and_b32_e32 v58, 0xffff0000, v4
	v_cmp_gt_i32_e64 s1, s28, v52
	v_cndmask_b32_e32 v1, 0, v1, vcc_lo
	v_cmp_gt_i32_e32 vcc_lo, s28, v54
	v_cndmask_b32_e64 v2, 0, v2, s1
	v_cmp_gt_i32_e64 s1, s28, v51
	v_cndmask_b32_e32 v57, 0, v57, vcc_lo
	v_cmp_gt_i32_e32 vcc_lo, s28, v53
	v_cndmask_b32_e64 v10, 0, v10, s1
	v_cndmask_b32_sdwa v4, v6, v4, vcc_lo dst_sel:DWORD dst_unused:UNUSED_PAD src0_sel:DWORD src1_sel:WORD_0
	v_cmp_gt_i32_e32 vcc_lo, s28, v50
	v_cndmask_b32_e32 v58, 0, v58, vcc_lo
	v_cmp_gt_i32_e32 vcc_lo, s28, v49
	v_or_b32_e32 v4, v4, v58
	v_cndmask_b32_e32 v3, 0, v3, vcc_lo
	v_cmp_gt_i32_e32 vcc_lo, s28, v48
	v_cndmask_b32_e32 v9, 0, v9, vcc_lo
.LBB97_42:                              ;   in Loop: Header=BB97_35 Depth=1
	s_or_b32 exec_lo, exec_lo, s22
	v_lshlrev_b32_e32 v57, 16, v57
	v_lshlrev_b32_e32 v10, 16, v10
	;; [unrolled: 1-line block ×3, first 2 shown]
	v_and_or_b32 v1, 0xffff, v1, v57
	v_and_or_b32 v2, 0xffff, v2, v10
	;; [unrolled: 1-line block ×3, first 2 shown]
	;;#ASMSTART
	v_pk_mul_f16 v1, v43, v1;

	;;#ASMEND
	;;#ASMSTART
	v_pk_mul_f16 v2, v42, v2;

	;;#ASMEND
	;; [unrolled: 4-line block ×4, first 2 shown]
	;;#ASMSTART
	v_pk_add_f16 v1, v1, v2;

	;;#ASMEND
	;;#ASMSTART
	v_pk_add_f16 v1, v1, v3;

	;;#ASMEND
	;;#ASMSTART
	v_pk_add_f16 v1, v1, v4;

	;;#ASMEND
	v_and_b32_e32 v2, 0xffff, v1
	v_lshrrev_b32_e32 v1, 16, v1
	;;#ASMSTART
	v_cvt_f32_f16 v57, v2;
	;;#ASMEND
	;;#ASMSTART
	v_cvt_f32_f16 v58, v1;
	;;#ASMEND
	global_load_dwordx4 v[1:4], v[7:8], off offset:1536
	s_waitcnt vmcnt(0)
	v_lshrrev_b32_e32 v59, 16, v1
	v_lshrrev_b32_e32 v10, 16, v2
	;; [unrolled: 1-line block ×3, first 2 shown]
	s_and_saveexec_b32 s22, s0
	s_cbranch_execz .LBB97_44
; %bb.43:                               ;   in Loop: Header=BB97_35 Depth=1
	v_cmp_gt_i32_e32 vcc_lo, s28, v41
	v_and_b32_e32 v60, 0xffff0000, v4
	v_cmp_gt_i32_e64 s1, s28, v52
	v_cndmask_b32_e32 v1, 0, v1, vcc_lo
	v_cmp_gt_i32_e32 vcc_lo, s28, v54
	v_cndmask_b32_e64 v2, 0, v2, s1
	v_cmp_gt_i32_e64 s1, s28, v51
	v_cndmask_b32_e32 v59, 0, v59, vcc_lo
	v_cmp_gt_i32_e32 vcc_lo, s28, v53
	v_cndmask_b32_e64 v10, 0, v10, s1
	v_cndmask_b32_sdwa v4, v6, v4, vcc_lo dst_sel:DWORD dst_unused:UNUSED_PAD src0_sel:DWORD src1_sel:WORD_0
	v_cmp_gt_i32_e32 vcc_lo, s28, v50
	v_cndmask_b32_e32 v60, 0, v60, vcc_lo
	v_cmp_gt_i32_e32 vcc_lo, s28, v49
	v_or_b32_e32 v4, v4, v60
	v_cndmask_b32_e32 v3, 0, v3, vcc_lo
	v_cmp_gt_i32_e32 vcc_lo, s28, v48
	v_cndmask_b32_e32 v9, 0, v9, vcc_lo
.LBB97_44:                              ;   in Loop: Header=BB97_35 Depth=1
	s_or_b32 exec_lo, exec_lo, s22
	v_lshlrev_b32_e32 v9, 16, v9
	v_lshlrev_b32_e32 v59, 16, v59
	;; [unrolled: 1-line block ×3, first 2 shown]
	v_and_or_b32 v3, 0xffff, v3, v9
	v_add_co_u32 v9, vcc_lo, 0x800, v7
	v_and_or_b32 v1, 0xffff, v1, v59
	v_and_or_b32 v2, 0xffff, v2, v10
	;;#ASMSTART
	v_pk_mul_f16 v1, v43, v1;

	;;#ASMEND
	v_add_co_ci_u32_e64 v10, null, 0, v8, vcc_lo
	;;#ASMSTART
	v_pk_mul_f16 v2, v42, v2;

	;;#ASMEND
	;;#ASMSTART
	v_pk_mul_f16 v3, v46, v3;

	;;#ASMEND
	;; [unrolled: 4-line block ×3, first 2 shown]
	;;#ASMSTART
	v_pk_add_f16 v1, v1, v2;

	;;#ASMEND
	;;#ASMSTART
	v_pk_add_f16 v1, v1, v3;

	;;#ASMEND
	;;#ASMSTART
	v_pk_add_f16 v1, v1, v4;

	;;#ASMEND
	v_lshrrev_b32_e32 v2, 16, v1
	v_and_b32_e32 v1, 0xffff, v1
	;;#ASMSTART
	v_cvt_f32_f16 v59, v1;
	;;#ASMEND
	;;#ASMSTART
	v_cvt_f32_f16 v60, v2;
	;;#ASMEND
	global_load_dwordx4 v[1:4], v[9:10], off
	s_waitcnt vmcnt(0)
	v_lshrrev_b32_e32 v63, 16, v1
	v_lshrrev_b32_e32 v62, 16, v2
	;; [unrolled: 1-line block ×3, first 2 shown]
	s_and_saveexec_b32 s22, s0
	s_cbranch_execz .LBB97_46
; %bb.45:                               ;   in Loop: Header=BB97_35 Depth=1
	v_cmp_gt_i32_e32 vcc_lo, s28, v41
	v_and_b32_e32 v64, 0xffff0000, v4
	v_cmp_gt_i32_e64 s1, s28, v52
	v_cndmask_b32_e32 v1, 0, v1, vcc_lo
	v_cmp_gt_i32_e32 vcc_lo, s28, v54
	v_cndmask_b32_e64 v2, 0, v2, s1
	v_cmp_gt_i32_e64 s1, s28, v51
	v_cndmask_b32_e32 v63, 0, v63, vcc_lo
	v_cmp_gt_i32_e32 vcc_lo, s28, v53
	v_cndmask_b32_e64 v62, 0, v62, s1
	v_cndmask_b32_sdwa v4, v6, v4, vcc_lo dst_sel:DWORD dst_unused:UNUSED_PAD src0_sel:DWORD src1_sel:WORD_0
	v_cmp_gt_i32_e32 vcc_lo, s28, v50
	v_cndmask_b32_e32 v64, 0, v64, vcc_lo
	v_cmp_gt_i32_e32 vcc_lo, s28, v49
	v_or_b32_e32 v4, v4, v64
	v_cndmask_b32_e32 v3, 0, v3, vcc_lo
	v_cmp_gt_i32_e32 vcc_lo, s28, v48
	v_cndmask_b32_e32 v61, 0, v61, vcc_lo
.LBB97_46:                              ;   in Loop: Header=BB97_35 Depth=1
	s_or_b32 exec_lo, exec_lo, s22
	v_lshlrev_b32_e32 v63, 16, v63
	v_lshlrev_b32_e32 v62, 16, v62
	;; [unrolled: 1-line block ×3, first 2 shown]
	v_and_or_b32 v1, 0xffff, v1, v63
	v_and_or_b32 v2, 0xffff, v2, v62
	;; [unrolled: 1-line block ×3, first 2 shown]
	;;#ASMSTART
	v_pk_mul_f16 v1, v43, v1;

	;;#ASMEND
	;;#ASMSTART
	v_pk_mul_f16 v2, v42, v2;

	;;#ASMEND
	;; [unrolled: 4-line block ×4, first 2 shown]
	;;#ASMSTART
	v_pk_add_f16 v1, v1, v2;

	;;#ASMEND
	;;#ASMSTART
	v_pk_add_f16 v1, v1, v3;

	;;#ASMEND
	;; [unrolled: 4-line block ×3, first 2 shown]
	v_and_b32_e32 v2, 0xffff, v1
	v_lshrrev_b32_e32 v1, 16, v1
	;;#ASMSTART
	v_cvt_f32_f16 v61, v2;
	;;#ASMEND
	;;#ASMSTART
	v_cvt_f32_f16 v62, v1;
	;;#ASMEND
	global_load_dwordx4 v[1:4], v[9:10], off offset:512
	s_waitcnt vmcnt(0)
	v_lshrrev_b32_e32 v65, 16, v1
	v_lshrrev_b32_e32 v64, 16, v2
	;; [unrolled: 1-line block ×3, first 2 shown]
	s_and_saveexec_b32 s22, s0
	s_cbranch_execz .LBB97_48
; %bb.47:                               ;   in Loop: Header=BB97_35 Depth=1
	v_cmp_gt_i32_e32 vcc_lo, s28, v41
	v_and_b32_e32 v66, 0xffff0000, v4
	v_cmp_gt_i32_e64 s1, s28, v52
	v_cndmask_b32_e32 v1, 0, v1, vcc_lo
	v_cmp_gt_i32_e32 vcc_lo, s28, v54
	v_cndmask_b32_e64 v2, 0, v2, s1
	v_cmp_gt_i32_e64 s1, s28, v51
	v_cndmask_b32_e32 v65, 0, v65, vcc_lo
	v_cmp_gt_i32_e32 vcc_lo, s28, v53
	v_cndmask_b32_e64 v64, 0, v64, s1
	v_cndmask_b32_sdwa v4, v6, v4, vcc_lo dst_sel:DWORD dst_unused:UNUSED_PAD src0_sel:DWORD src1_sel:WORD_0
	v_cmp_gt_i32_e32 vcc_lo, s28, v50
	v_cndmask_b32_e32 v66, 0, v66, vcc_lo
	v_cmp_gt_i32_e32 vcc_lo, s28, v49
	v_or_b32_e32 v4, v4, v66
	v_cndmask_b32_e32 v3, 0, v3, vcc_lo
	v_cmp_gt_i32_e32 vcc_lo, s28, v48
	v_cndmask_b32_e32 v63, 0, v63, vcc_lo
.LBB97_48:                              ;   in Loop: Header=BB97_35 Depth=1
	s_or_b32 exec_lo, exec_lo, s22
	v_lshlrev_b32_e32 v65, 16, v65
	v_lshlrev_b32_e32 v64, 16, v64
	;; [unrolled: 1-line block ×3, first 2 shown]
	v_and_or_b32 v1, 0xffff, v1, v65
	v_and_or_b32 v2, 0xffff, v2, v64
	v_and_or_b32 v3, 0xffff, v3, v63
	;;#ASMSTART
	v_pk_mul_f16 v1, v43, v1;

	;;#ASMEND
	;;#ASMSTART
	v_pk_mul_f16 v2, v42, v2;

	;;#ASMEND
	;; [unrolled: 4-line block ×4, first 2 shown]
	;;#ASMSTART
	v_pk_add_f16 v1, v1, v2;

	;;#ASMEND
	;;#ASMSTART
	v_pk_add_f16 v1, v1, v3;

	;;#ASMEND
	;; [unrolled: 4-line block ×3, first 2 shown]
	v_and_b32_e32 v2, 0xffff, v1
	v_lshrrev_b32_e32 v1, 16, v1
	;;#ASMSTART
	v_cvt_f32_f16 v63, v2;
	;;#ASMEND
	;;#ASMSTART
	v_cvt_f32_f16 v64, v1;
	;;#ASMEND
	global_load_dwordx4 v[1:4], v[9:10], off offset:1024
	s_waitcnt vmcnt(0)
	v_lshrrev_b32_e32 v67, 16, v1
	v_lshrrev_b32_e32 v66, 16, v2
	;; [unrolled: 1-line block ×3, first 2 shown]
	s_and_saveexec_b32 s22, s0
	s_cbranch_execz .LBB97_50
; %bb.49:                               ;   in Loop: Header=BB97_35 Depth=1
	v_cmp_gt_i32_e32 vcc_lo, s28, v41
	v_and_b32_e32 v68, 0xffff0000, v4
	v_cmp_gt_i32_e64 s1, s28, v52
	v_cndmask_b32_e32 v1, 0, v1, vcc_lo
	v_cmp_gt_i32_e32 vcc_lo, s28, v54
	v_cndmask_b32_e64 v2, 0, v2, s1
	v_cmp_gt_i32_e64 s1, s28, v51
	v_cndmask_b32_e32 v67, 0, v67, vcc_lo
	v_cmp_gt_i32_e32 vcc_lo, s28, v53
	v_cndmask_b32_e64 v66, 0, v66, s1
	v_cndmask_b32_sdwa v4, v6, v4, vcc_lo dst_sel:DWORD dst_unused:UNUSED_PAD src0_sel:DWORD src1_sel:WORD_0
	v_cmp_gt_i32_e32 vcc_lo, s28, v50
	v_cndmask_b32_e32 v68, 0, v68, vcc_lo
	v_cmp_gt_i32_e32 vcc_lo, s28, v49
	v_or_b32_e32 v4, v4, v68
	v_cndmask_b32_e32 v3, 0, v3, vcc_lo
	v_cmp_gt_i32_e32 vcc_lo, s28, v48
	v_cndmask_b32_e32 v65, 0, v65, vcc_lo
.LBB97_50:                              ;   in Loop: Header=BB97_35 Depth=1
	s_or_b32 exec_lo, exec_lo, s22
	v_lshlrev_b32_e32 v67, 16, v67
	v_lshlrev_b32_e32 v66, 16, v66
	v_lshlrev_b32_e32 v65, 16, v65
	v_and_or_b32 v1, 0xffff, v1, v67
	v_and_or_b32 v2, 0xffff, v2, v66
	;; [unrolled: 1-line block ×3, first 2 shown]
	;;#ASMSTART
	v_pk_mul_f16 v1, v43, v1;

	;;#ASMEND
	;;#ASMSTART
	v_pk_mul_f16 v2, v42, v2;

	;;#ASMEND
	;; [unrolled: 4-line block ×4, first 2 shown]
	;;#ASMSTART
	v_pk_add_f16 v1, v1, v2;

	;;#ASMEND
	;;#ASMSTART
	v_pk_add_f16 v1, v1, v3;

	;;#ASMEND
	;; [unrolled: 4-line block ×3, first 2 shown]
	v_and_b32_e32 v2, 0xffff, v1
	v_lshrrev_b32_e32 v1, 16, v1
	;;#ASMSTART
	v_cvt_f32_f16 v65, v2;
	;;#ASMEND
	;;#ASMSTART
	v_cvt_f32_f16 v66, v1;
	;;#ASMEND
	global_load_dwordx4 v[1:4], v[9:10], off offset:1536
	s_waitcnt vmcnt(0)
	v_lshrrev_b32_e32 v67, 16, v1
	v_lshrrev_b32_e32 v10, 16, v2
	v_lshrrev_b32_e32 v9, 16, v3
	s_and_saveexec_b32 s22, s0
	s_cbranch_execz .LBB97_52
; %bb.51:                               ;   in Loop: Header=BB97_35 Depth=1
	v_cmp_gt_i32_e32 vcc_lo, s28, v41
	v_and_b32_e32 v68, 0xffff0000, v4
	v_cmp_gt_i32_e64 s1, s28, v52
	v_cndmask_b32_e32 v1, 0, v1, vcc_lo
	v_cmp_gt_i32_e32 vcc_lo, s28, v54
	v_cndmask_b32_e64 v2, 0, v2, s1
	v_cmp_gt_i32_e64 s1, s28, v51
	v_cndmask_b32_e32 v67, 0, v67, vcc_lo
	v_cmp_gt_i32_e32 vcc_lo, s28, v53
	v_cndmask_b32_e64 v10, 0, v10, s1
	v_cndmask_b32_sdwa v4, v6, v4, vcc_lo dst_sel:DWORD dst_unused:UNUSED_PAD src0_sel:DWORD src1_sel:WORD_0
	v_cmp_gt_i32_e32 vcc_lo, s28, v50
	v_cndmask_b32_e32 v68, 0, v68, vcc_lo
	v_cmp_gt_i32_e32 vcc_lo, s28, v49
	v_or_b32_e32 v4, v4, v68
	v_cndmask_b32_e32 v3, 0, v3, vcc_lo
	v_cmp_gt_i32_e32 vcc_lo, s28, v48
	v_cndmask_b32_e32 v9, 0, v9, vcc_lo
.LBB97_52:                              ;   in Loop: Header=BB97_35 Depth=1
	s_or_b32 exec_lo, exec_lo, s22
	v_lshlrev_b32_e32 v9, 16, v9
	v_lshlrev_b32_e32 v67, 16, v67
	;; [unrolled: 1-line block ×3, first 2 shown]
	v_and_or_b32 v3, 0xffff, v3, v9
	v_add_co_u32 v9, vcc_lo, 0x1000, v7
	v_and_or_b32 v1, 0xffff, v1, v67
	v_and_or_b32 v2, 0xffff, v2, v10
	;;#ASMSTART
	v_pk_mul_f16 v1, v43, v1;

	;;#ASMEND
	v_add_co_ci_u32_e64 v10, null, 0, v8, vcc_lo
	;;#ASMSTART
	v_pk_mul_f16 v2, v42, v2;

	;;#ASMEND
	;;#ASMSTART
	v_pk_mul_f16 v3, v46, v3;

	;;#ASMEND
	;; [unrolled: 4-line block ×3, first 2 shown]
	;;#ASMSTART
	v_pk_add_f16 v1, v1, v2;

	;;#ASMEND
	;;#ASMSTART
	v_pk_add_f16 v1, v1, v3;

	;;#ASMEND
	;; [unrolled: 4-line block ×3, first 2 shown]
	v_lshrrev_b32_e32 v2, 16, v1
	v_and_b32_e32 v1, 0xffff, v1
	;;#ASMSTART
	v_cvt_f32_f16 v67, v1;
	;;#ASMEND
	;;#ASMSTART
	v_cvt_f32_f16 v68, v2;
	;;#ASMEND
	global_load_dwordx4 v[1:4], v[9:10], off
	s_waitcnt vmcnt(0)
	v_lshrrev_b32_e32 v71, 16, v1
	v_lshrrev_b32_e32 v70, 16, v2
	;; [unrolled: 1-line block ×3, first 2 shown]
	s_and_saveexec_b32 s22, s0
	s_cbranch_execz .LBB97_54
; %bb.53:                               ;   in Loop: Header=BB97_35 Depth=1
	v_cmp_gt_i32_e32 vcc_lo, s28, v41
	v_and_b32_e32 v72, 0xffff0000, v4
	v_cmp_gt_i32_e64 s1, s28, v52
	v_cndmask_b32_e32 v1, 0, v1, vcc_lo
	v_cmp_gt_i32_e32 vcc_lo, s28, v54
	v_cndmask_b32_e64 v2, 0, v2, s1
	v_cmp_gt_i32_e64 s1, s28, v51
	v_cndmask_b32_e32 v71, 0, v71, vcc_lo
	v_cmp_gt_i32_e32 vcc_lo, s28, v53
	v_cndmask_b32_e64 v70, 0, v70, s1
	v_cndmask_b32_sdwa v4, v6, v4, vcc_lo dst_sel:DWORD dst_unused:UNUSED_PAD src0_sel:DWORD src1_sel:WORD_0
	v_cmp_gt_i32_e32 vcc_lo, s28, v50
	v_cndmask_b32_e32 v72, 0, v72, vcc_lo
	v_cmp_gt_i32_e32 vcc_lo, s28, v49
	v_or_b32_e32 v4, v4, v72
	v_cndmask_b32_e32 v3, 0, v3, vcc_lo
	v_cmp_gt_i32_e32 vcc_lo, s28, v48
	v_cndmask_b32_e32 v69, 0, v69, vcc_lo
.LBB97_54:                              ;   in Loop: Header=BB97_35 Depth=1
	s_or_b32 exec_lo, exec_lo, s22
	v_lshlrev_b32_e32 v71, 16, v71
	v_lshlrev_b32_e32 v70, 16, v70
	;; [unrolled: 1-line block ×3, first 2 shown]
	v_and_or_b32 v1, 0xffff, v1, v71
	v_and_or_b32 v2, 0xffff, v2, v70
	;; [unrolled: 1-line block ×3, first 2 shown]
	;;#ASMSTART
	v_pk_mul_f16 v1, v43, v1;

	;;#ASMEND
	;;#ASMSTART
	v_pk_mul_f16 v2, v42, v2;

	;;#ASMEND
	;; [unrolled: 4-line block ×4, first 2 shown]
	;;#ASMSTART
	v_pk_add_f16 v1, v1, v2;

	;;#ASMEND
	;;#ASMSTART
	v_pk_add_f16 v1, v1, v3;

	;;#ASMEND
	;; [unrolled: 4-line block ×3, first 2 shown]
	v_and_b32_e32 v2, 0xffff, v1
	v_lshrrev_b32_e32 v1, 16, v1
	;;#ASMSTART
	v_cvt_f32_f16 v69, v2;
	;;#ASMEND
	;;#ASMSTART
	v_cvt_f32_f16 v70, v1;
	;;#ASMEND
	global_load_dwordx4 v[1:4], v[9:10], off offset:512
	s_waitcnt vmcnt(0)
	v_lshrrev_b32_e32 v73, 16, v1
	v_lshrrev_b32_e32 v72, 16, v2
	v_lshrrev_b32_e32 v71, 16, v3
	s_and_saveexec_b32 s22, s0
	s_cbranch_execz .LBB97_56
; %bb.55:                               ;   in Loop: Header=BB97_35 Depth=1
	v_cmp_gt_i32_e32 vcc_lo, s28, v41
	v_and_b32_e32 v74, 0xffff0000, v4
	v_cmp_gt_i32_e64 s1, s28, v52
	v_cndmask_b32_e32 v1, 0, v1, vcc_lo
	v_cmp_gt_i32_e32 vcc_lo, s28, v54
	v_cndmask_b32_e64 v2, 0, v2, s1
	v_cmp_gt_i32_e64 s1, s28, v51
	v_cndmask_b32_e32 v73, 0, v73, vcc_lo
	v_cmp_gt_i32_e32 vcc_lo, s28, v53
	v_cndmask_b32_e64 v72, 0, v72, s1
	v_cndmask_b32_sdwa v4, v6, v4, vcc_lo dst_sel:DWORD dst_unused:UNUSED_PAD src0_sel:DWORD src1_sel:WORD_0
	v_cmp_gt_i32_e32 vcc_lo, s28, v50
	v_cndmask_b32_e32 v74, 0, v74, vcc_lo
	v_cmp_gt_i32_e32 vcc_lo, s28, v49
	v_or_b32_e32 v4, v4, v74
	v_cndmask_b32_e32 v3, 0, v3, vcc_lo
	v_cmp_gt_i32_e32 vcc_lo, s28, v48
	v_cndmask_b32_e32 v71, 0, v71, vcc_lo
.LBB97_56:                              ;   in Loop: Header=BB97_35 Depth=1
	s_or_b32 exec_lo, exec_lo, s22
	v_lshlrev_b32_e32 v73, 16, v73
	v_lshlrev_b32_e32 v72, 16, v72
	;; [unrolled: 1-line block ×3, first 2 shown]
	v_and_or_b32 v1, 0xffff, v1, v73
	v_and_or_b32 v2, 0xffff, v2, v72
	;; [unrolled: 1-line block ×3, first 2 shown]
	;;#ASMSTART
	v_pk_mul_f16 v1, v43, v1;

	;;#ASMEND
	;;#ASMSTART
	v_pk_mul_f16 v2, v42, v2;

	;;#ASMEND
	;; [unrolled: 4-line block ×4, first 2 shown]
	;;#ASMSTART
	v_pk_add_f16 v1, v1, v2;

	;;#ASMEND
	;;#ASMSTART
	v_pk_add_f16 v1, v1, v3;

	;;#ASMEND
	;; [unrolled: 4-line block ×3, first 2 shown]
	v_and_b32_e32 v2, 0xffff, v1
	v_lshrrev_b32_e32 v1, 16, v1
	;;#ASMSTART
	v_cvt_f32_f16 v71, v2;
	;;#ASMEND
	;;#ASMSTART
	v_cvt_f32_f16 v72, v1;
	;;#ASMEND
	global_load_dwordx4 v[1:4], v[9:10], off offset:1024
	s_waitcnt vmcnt(0)
	v_lshrrev_b32_e32 v75, 16, v1
	v_lshrrev_b32_e32 v74, 16, v2
	;; [unrolled: 1-line block ×3, first 2 shown]
	s_and_saveexec_b32 s22, s0
	s_cbranch_execz .LBB97_58
; %bb.57:                               ;   in Loop: Header=BB97_35 Depth=1
	v_cmp_gt_i32_e32 vcc_lo, s28, v41
	v_and_b32_e32 v76, 0xffff0000, v4
	v_cmp_gt_i32_e64 s1, s28, v52
	v_cndmask_b32_e32 v1, 0, v1, vcc_lo
	v_cmp_gt_i32_e32 vcc_lo, s28, v54
	v_cndmask_b32_e64 v2, 0, v2, s1
	v_cmp_gt_i32_e64 s1, s28, v51
	v_cndmask_b32_e32 v75, 0, v75, vcc_lo
	v_cmp_gt_i32_e32 vcc_lo, s28, v53
	v_cndmask_b32_e64 v74, 0, v74, s1
	v_cndmask_b32_sdwa v4, v6, v4, vcc_lo dst_sel:DWORD dst_unused:UNUSED_PAD src0_sel:DWORD src1_sel:WORD_0
	v_cmp_gt_i32_e32 vcc_lo, s28, v50
	v_cndmask_b32_e32 v76, 0, v76, vcc_lo
	v_cmp_gt_i32_e32 vcc_lo, s28, v49
	v_or_b32_e32 v4, v4, v76
	v_cndmask_b32_e32 v3, 0, v3, vcc_lo
	v_cmp_gt_i32_e32 vcc_lo, s28, v48
	v_cndmask_b32_e32 v73, 0, v73, vcc_lo
.LBB97_58:                              ;   in Loop: Header=BB97_35 Depth=1
	s_or_b32 exec_lo, exec_lo, s22
	v_lshlrev_b32_e32 v75, 16, v75
	v_lshlrev_b32_e32 v74, 16, v74
	;; [unrolled: 1-line block ×3, first 2 shown]
	v_and_or_b32 v1, 0xffff, v1, v75
	v_and_or_b32 v2, 0xffff, v2, v74
	;; [unrolled: 1-line block ×3, first 2 shown]
	;;#ASMSTART
	v_pk_mul_f16 v1, v43, v1;

	;;#ASMEND
	;;#ASMSTART
	v_pk_mul_f16 v2, v42, v2;

	;;#ASMEND
	;; [unrolled: 4-line block ×4, first 2 shown]
	;;#ASMSTART
	v_pk_add_f16 v1, v1, v2;

	;;#ASMEND
	;;#ASMSTART
	v_pk_add_f16 v1, v1, v3;

	;;#ASMEND
	;; [unrolled: 4-line block ×3, first 2 shown]
	v_and_b32_e32 v2, 0xffff, v1
	v_lshrrev_b32_e32 v1, 16, v1
	;;#ASMSTART
	v_cvt_f32_f16 v73, v2;
	;;#ASMEND
	;;#ASMSTART
	v_cvt_f32_f16 v74, v1;
	;;#ASMEND
	global_load_dwordx4 v[1:4], v[9:10], off offset:1536
	s_waitcnt vmcnt(0)
	v_lshrrev_b32_e32 v75, 16, v1
	v_lshrrev_b32_e32 v10, 16, v2
	;; [unrolled: 1-line block ×3, first 2 shown]
	s_and_saveexec_b32 s22, s0
	s_cbranch_execz .LBB97_60
; %bb.59:                               ;   in Loop: Header=BB97_35 Depth=1
	v_cmp_gt_i32_e32 vcc_lo, s28, v41
	v_and_b32_e32 v76, 0xffff0000, v4
	v_cmp_gt_i32_e64 s1, s28, v52
	v_cndmask_b32_e32 v1, 0, v1, vcc_lo
	v_cmp_gt_i32_e32 vcc_lo, s28, v54
	v_cndmask_b32_e64 v2, 0, v2, s1
	v_cmp_gt_i32_e64 s1, s28, v51
	v_cndmask_b32_e32 v75, 0, v75, vcc_lo
	v_cmp_gt_i32_e32 vcc_lo, s28, v53
	v_cndmask_b32_e64 v10, 0, v10, s1
	v_cndmask_b32_sdwa v4, v6, v4, vcc_lo dst_sel:DWORD dst_unused:UNUSED_PAD src0_sel:DWORD src1_sel:WORD_0
	v_cmp_gt_i32_e32 vcc_lo, s28, v50
	v_cndmask_b32_e32 v76, 0, v76, vcc_lo
	v_cmp_gt_i32_e32 vcc_lo, s28, v49
	v_or_b32_e32 v4, v4, v76
	v_cndmask_b32_e32 v3, 0, v3, vcc_lo
	v_cmp_gt_i32_e32 vcc_lo, s28, v48
	v_cndmask_b32_e32 v9, 0, v9, vcc_lo
.LBB97_60:                              ;   in Loop: Header=BB97_35 Depth=1
	s_or_b32 exec_lo, exec_lo, s22
	v_lshlrev_b32_e32 v9, 16, v9
	v_lshlrev_b32_e32 v75, 16, v75
	;; [unrolled: 1-line block ×3, first 2 shown]
	v_and_or_b32 v3, 0xffff, v3, v9
	v_add_co_u32 v9, vcc_lo, 0x1800, v7
	v_and_or_b32 v1, 0xffff, v1, v75
	v_and_or_b32 v2, 0xffff, v2, v10
	;;#ASMSTART
	v_pk_mul_f16 v1, v43, v1;

	;;#ASMEND
	v_add_co_ci_u32_e64 v10, null, 0, v8, vcc_lo
	;;#ASMSTART
	v_pk_mul_f16 v2, v42, v2;

	;;#ASMEND
	;;#ASMSTART
	v_pk_mul_f16 v3, v46, v3;

	;;#ASMEND
	;;#ASMSTART
	v_pk_mul_f16 v4, v47, v4;

	;;#ASMEND
	;;#ASMSTART
	v_pk_add_f16 v1, v1, v2;

	;;#ASMEND
	;;#ASMSTART
	v_pk_add_f16 v1, v1, v3;

	;;#ASMEND
	;; [unrolled: 4-line block ×3, first 2 shown]
	v_lshrrev_b32_e32 v2, 16, v1
	v_and_b32_e32 v1, 0xffff, v1
	;;#ASMSTART
	v_cvt_f32_f16 v75, v1;
	;;#ASMEND
	;;#ASMSTART
	v_cvt_f32_f16 v76, v2;
	;;#ASMEND
	global_load_dwordx4 v[1:4], v[9:10], off
	s_waitcnt vmcnt(0)
	v_lshrrev_b32_e32 v79, 16, v1
	v_lshrrev_b32_e32 v78, 16, v2
	;; [unrolled: 1-line block ×3, first 2 shown]
	s_and_saveexec_b32 s22, s0
	s_cbranch_execz .LBB97_62
; %bb.61:                               ;   in Loop: Header=BB97_35 Depth=1
	v_cmp_gt_i32_e32 vcc_lo, s28, v41
	v_and_b32_e32 v80, 0xffff0000, v4
	v_cmp_gt_i32_e64 s1, s28, v52
	v_cndmask_b32_e32 v1, 0, v1, vcc_lo
	v_cmp_gt_i32_e32 vcc_lo, s28, v54
	v_cndmask_b32_e64 v2, 0, v2, s1
	v_cmp_gt_i32_e64 s1, s28, v51
	v_cndmask_b32_e32 v79, 0, v79, vcc_lo
	v_cmp_gt_i32_e32 vcc_lo, s28, v53
	v_cndmask_b32_e64 v78, 0, v78, s1
	v_cndmask_b32_sdwa v4, v6, v4, vcc_lo dst_sel:DWORD dst_unused:UNUSED_PAD src0_sel:DWORD src1_sel:WORD_0
	v_cmp_gt_i32_e32 vcc_lo, s28, v50
	v_cndmask_b32_e32 v80, 0, v80, vcc_lo
	v_cmp_gt_i32_e32 vcc_lo, s28, v49
	v_or_b32_e32 v4, v4, v80
	v_cndmask_b32_e32 v3, 0, v3, vcc_lo
	v_cmp_gt_i32_e32 vcc_lo, s28, v48
	v_cndmask_b32_e32 v77, 0, v77, vcc_lo
.LBB97_62:                              ;   in Loop: Header=BB97_35 Depth=1
	s_or_b32 exec_lo, exec_lo, s22
	v_lshlrev_b32_e32 v79, 16, v79
	v_lshlrev_b32_e32 v78, 16, v78
	;; [unrolled: 1-line block ×3, first 2 shown]
	v_and_or_b32 v1, 0xffff, v1, v79
	v_and_or_b32 v2, 0xffff, v2, v78
	;; [unrolled: 1-line block ×3, first 2 shown]
	;;#ASMSTART
	v_pk_mul_f16 v1, v43, v1;

	;;#ASMEND
	;;#ASMSTART
	v_pk_mul_f16 v2, v42, v2;

	;;#ASMEND
	;;#ASMSTART
	v_pk_mul_f16 v3, v46, v3;

	;;#ASMEND
	;;#ASMSTART
	v_pk_mul_f16 v4, v47, v4;

	;;#ASMEND
	;;#ASMSTART
	v_pk_add_f16 v1, v1, v2;

	;;#ASMEND
	;;#ASMSTART
	v_pk_add_f16 v1, v1, v3;

	;;#ASMEND
	;; [unrolled: 4-line block ×3, first 2 shown]
	v_and_b32_e32 v2, 0xffff, v1
	v_lshrrev_b32_e32 v1, 16, v1
	;;#ASMSTART
	v_cvt_f32_f16 v77, v2;
	;;#ASMEND
	;;#ASMSTART
	v_cvt_f32_f16 v78, v1;
	;;#ASMEND
	global_load_dwordx4 v[1:4], v[9:10], off offset:512
	s_waitcnt vmcnt(0)
	v_lshrrev_b32_e32 v81, 16, v1
	v_lshrrev_b32_e32 v80, 16, v2
	;; [unrolled: 1-line block ×3, first 2 shown]
	s_and_saveexec_b32 s22, s0
	s_cbranch_execz .LBB97_64
; %bb.63:                               ;   in Loop: Header=BB97_35 Depth=1
	v_cmp_gt_i32_e32 vcc_lo, s28, v41
	v_and_b32_e32 v82, 0xffff0000, v4
	v_cmp_gt_i32_e64 s1, s28, v52
	v_cndmask_b32_e32 v1, 0, v1, vcc_lo
	v_cmp_gt_i32_e32 vcc_lo, s28, v54
	v_cndmask_b32_e64 v2, 0, v2, s1
	v_cmp_gt_i32_e64 s1, s28, v51
	v_cndmask_b32_e32 v81, 0, v81, vcc_lo
	v_cmp_gt_i32_e32 vcc_lo, s28, v53
	v_cndmask_b32_e64 v80, 0, v80, s1
	v_cndmask_b32_sdwa v4, v6, v4, vcc_lo dst_sel:DWORD dst_unused:UNUSED_PAD src0_sel:DWORD src1_sel:WORD_0
	v_cmp_gt_i32_e32 vcc_lo, s28, v50
	v_cndmask_b32_e32 v82, 0, v82, vcc_lo
	v_cmp_gt_i32_e32 vcc_lo, s28, v49
	v_or_b32_e32 v4, v4, v82
	v_cndmask_b32_e32 v3, 0, v3, vcc_lo
	v_cmp_gt_i32_e32 vcc_lo, s28, v48
	v_cndmask_b32_e32 v79, 0, v79, vcc_lo
.LBB97_64:                              ;   in Loop: Header=BB97_35 Depth=1
	s_or_b32 exec_lo, exec_lo, s22
	v_lshlrev_b32_e32 v81, 16, v81
	v_lshlrev_b32_e32 v80, 16, v80
	;; [unrolled: 1-line block ×3, first 2 shown]
	v_and_or_b32 v1, 0xffff, v1, v81
	v_and_or_b32 v2, 0xffff, v2, v80
	;; [unrolled: 1-line block ×3, first 2 shown]
	;;#ASMSTART
	v_pk_mul_f16 v1, v43, v1;

	;;#ASMEND
	;;#ASMSTART
	v_pk_mul_f16 v2, v42, v2;

	;;#ASMEND
	;; [unrolled: 4-line block ×4, first 2 shown]
	;;#ASMSTART
	v_pk_add_f16 v1, v1, v2;

	;;#ASMEND
	;;#ASMSTART
	v_pk_add_f16 v1, v1, v3;

	;;#ASMEND
	;; [unrolled: 4-line block ×3, first 2 shown]
	v_and_b32_e32 v2, 0xffff, v1
	v_lshrrev_b32_e32 v1, 16, v1
	;;#ASMSTART
	v_cvt_f32_f16 v79, v2;
	;;#ASMEND
	;;#ASMSTART
	v_cvt_f32_f16 v80, v1;
	;;#ASMEND
	global_load_dwordx4 v[1:4], v[9:10], off offset:1024
	s_waitcnt vmcnt(0)
	v_lshrrev_b32_e32 v83, 16, v1
	v_lshrrev_b32_e32 v82, 16, v2
	;; [unrolled: 1-line block ×3, first 2 shown]
	s_and_saveexec_b32 s22, s0
	s_cbranch_execz .LBB97_66
; %bb.65:                               ;   in Loop: Header=BB97_35 Depth=1
	v_cmp_gt_i32_e32 vcc_lo, s28, v41
	v_and_b32_e32 v84, 0xffff0000, v4
	v_cmp_gt_i32_e64 s1, s28, v52
	v_cndmask_b32_e32 v1, 0, v1, vcc_lo
	v_cmp_gt_i32_e32 vcc_lo, s28, v54
	v_cndmask_b32_e64 v2, 0, v2, s1
	v_cmp_gt_i32_e64 s1, s28, v51
	v_cndmask_b32_e32 v83, 0, v83, vcc_lo
	v_cmp_gt_i32_e32 vcc_lo, s28, v53
	v_cndmask_b32_e64 v82, 0, v82, s1
	v_cndmask_b32_sdwa v4, v6, v4, vcc_lo dst_sel:DWORD dst_unused:UNUSED_PAD src0_sel:DWORD src1_sel:WORD_0
	v_cmp_gt_i32_e32 vcc_lo, s28, v50
	v_cndmask_b32_e32 v84, 0, v84, vcc_lo
	v_cmp_gt_i32_e32 vcc_lo, s28, v49
	v_or_b32_e32 v4, v4, v84
	v_cndmask_b32_e32 v3, 0, v3, vcc_lo
	v_cmp_gt_i32_e32 vcc_lo, s28, v48
	v_cndmask_b32_e32 v81, 0, v81, vcc_lo
.LBB97_66:                              ;   in Loop: Header=BB97_35 Depth=1
	s_or_b32 exec_lo, exec_lo, s22
	v_lshlrev_b32_e32 v83, 16, v83
	v_lshlrev_b32_e32 v82, 16, v82
	;; [unrolled: 1-line block ×3, first 2 shown]
	v_and_or_b32 v1, 0xffff, v1, v83
	v_and_or_b32 v2, 0xffff, v2, v82
	;; [unrolled: 1-line block ×3, first 2 shown]
	;;#ASMSTART
	v_pk_mul_f16 v1, v43, v1;

	;;#ASMEND
	;;#ASMSTART
	v_pk_mul_f16 v2, v42, v2;

	;;#ASMEND
	;; [unrolled: 4-line block ×4, first 2 shown]
	;;#ASMSTART
	v_pk_add_f16 v1, v1, v2;

	;;#ASMEND
	;;#ASMSTART
	v_pk_add_f16 v1, v1, v3;

	;;#ASMEND
	;; [unrolled: 4-line block ×3, first 2 shown]
	v_and_b32_e32 v2, 0xffff, v1
	v_lshrrev_b32_e32 v1, 16, v1
	;;#ASMSTART
	v_cvt_f32_f16 v81, v2;
	;;#ASMEND
	;;#ASMSTART
	v_cvt_f32_f16 v82, v1;
	;;#ASMEND
	global_load_dwordx4 v[1:4], v[9:10], off offset:1536
	s_waitcnt vmcnt(0)
	v_lshrrev_b32_e32 v83, 16, v1
	v_lshrrev_b32_e32 v10, 16, v2
	;; [unrolled: 1-line block ×3, first 2 shown]
	s_and_saveexec_b32 s22, s0
	s_cbranch_execz .LBB97_68
; %bb.67:                               ;   in Loop: Header=BB97_35 Depth=1
	v_cmp_gt_i32_e32 vcc_lo, s28, v41
	v_and_b32_e32 v84, 0xffff0000, v4
	v_cmp_gt_i32_e64 s1, s28, v52
	v_cndmask_b32_e32 v1, 0, v1, vcc_lo
	v_cmp_gt_i32_e32 vcc_lo, s28, v54
	v_cndmask_b32_e64 v2, 0, v2, s1
	v_cmp_gt_i32_e64 s1, s28, v51
	v_cndmask_b32_e32 v83, 0, v83, vcc_lo
	v_cmp_gt_i32_e32 vcc_lo, s28, v53
	v_cndmask_b32_e64 v10, 0, v10, s1
	v_cndmask_b32_sdwa v4, v6, v4, vcc_lo dst_sel:DWORD dst_unused:UNUSED_PAD src0_sel:DWORD src1_sel:WORD_0
	v_cmp_gt_i32_e32 vcc_lo, s28, v50
	v_cndmask_b32_e32 v84, 0, v84, vcc_lo
	v_cmp_gt_i32_e32 vcc_lo, s28, v49
	v_or_b32_e32 v4, v4, v84
	v_cndmask_b32_e32 v3, 0, v3, vcc_lo
	v_cmp_gt_i32_e32 vcc_lo, s28, v48
	v_cndmask_b32_e32 v9, 0, v9, vcc_lo
.LBB97_68:                              ;   in Loop: Header=BB97_35 Depth=1
	s_or_b32 exec_lo, exec_lo, s22
	v_lshlrev_b32_e32 v9, 16, v9
	v_lshlrev_b32_e32 v83, 16, v83
	;; [unrolled: 1-line block ×3, first 2 shown]
	v_and_or_b32 v3, 0xffff, v3, v9
	v_add_co_u32 v9, vcc_lo, 0x2000, v7
	v_and_or_b32 v1, 0xffff, v1, v83
	v_and_or_b32 v2, 0xffff, v2, v10
	;;#ASMSTART
	v_pk_mul_f16 v1, v43, v1;

	;;#ASMEND
	v_add_co_ci_u32_e64 v10, null, 0, v8, vcc_lo
	;;#ASMSTART
	v_pk_mul_f16 v2, v42, v2;

	;;#ASMEND
	;;#ASMSTART
	v_pk_mul_f16 v3, v46, v3;

	;;#ASMEND
	;; [unrolled: 4-line block ×3, first 2 shown]
	;;#ASMSTART
	v_pk_add_f16 v1, v1, v2;

	;;#ASMEND
	;;#ASMSTART
	v_pk_add_f16 v1, v1, v3;

	;;#ASMEND
	;; [unrolled: 4-line block ×3, first 2 shown]
	v_lshrrev_b32_e32 v2, 16, v1
	v_and_b32_e32 v1, 0xffff, v1
	;;#ASMSTART
	v_cvt_f32_f16 v83, v1;
	;;#ASMEND
	;;#ASMSTART
	v_cvt_f32_f16 v84, v2;
	;;#ASMEND
	global_load_dwordx4 v[1:4], v[9:10], off
	s_waitcnt vmcnt(0)
	v_lshrrev_b32_e32 v87, 16, v1
	v_lshrrev_b32_e32 v86, 16, v2
	;; [unrolled: 1-line block ×3, first 2 shown]
	s_and_saveexec_b32 s22, s0
	s_cbranch_execz .LBB97_70
; %bb.69:                               ;   in Loop: Header=BB97_35 Depth=1
	v_cmp_gt_i32_e32 vcc_lo, s28, v41
	v_and_b32_e32 v88, 0xffff0000, v4
	v_cmp_gt_i32_e64 s1, s28, v52
	v_cndmask_b32_e32 v1, 0, v1, vcc_lo
	v_cmp_gt_i32_e32 vcc_lo, s28, v54
	v_cndmask_b32_e64 v2, 0, v2, s1
	v_cmp_gt_i32_e64 s1, s28, v51
	v_cndmask_b32_e32 v87, 0, v87, vcc_lo
	v_cmp_gt_i32_e32 vcc_lo, s28, v53
	v_cndmask_b32_e64 v86, 0, v86, s1
	v_cndmask_b32_sdwa v4, v6, v4, vcc_lo dst_sel:DWORD dst_unused:UNUSED_PAD src0_sel:DWORD src1_sel:WORD_0
	v_cmp_gt_i32_e32 vcc_lo, s28, v50
	v_cndmask_b32_e32 v88, 0, v88, vcc_lo
	v_cmp_gt_i32_e32 vcc_lo, s28, v49
	v_or_b32_e32 v4, v4, v88
	v_cndmask_b32_e32 v3, 0, v3, vcc_lo
	v_cmp_gt_i32_e32 vcc_lo, s28, v48
	v_cndmask_b32_e32 v85, 0, v85, vcc_lo
.LBB97_70:                              ;   in Loop: Header=BB97_35 Depth=1
	s_or_b32 exec_lo, exec_lo, s22
	v_lshlrev_b32_e32 v87, 16, v87
	v_lshlrev_b32_e32 v86, 16, v86
	;; [unrolled: 1-line block ×3, first 2 shown]
	v_and_or_b32 v1, 0xffff, v1, v87
	v_and_or_b32 v2, 0xffff, v2, v86
	;; [unrolled: 1-line block ×3, first 2 shown]
	;;#ASMSTART
	v_pk_mul_f16 v1, v43, v1;

	;;#ASMEND
	;;#ASMSTART
	v_pk_mul_f16 v2, v42, v2;

	;;#ASMEND
	;; [unrolled: 4-line block ×4, first 2 shown]
	;;#ASMSTART
	v_pk_add_f16 v1, v1, v2;

	;;#ASMEND
	;;#ASMSTART
	v_pk_add_f16 v1, v1, v3;

	;;#ASMEND
	;; [unrolled: 4-line block ×3, first 2 shown]
	v_and_b32_e32 v2, 0xffff, v1
	v_lshrrev_b32_e32 v1, 16, v1
	;;#ASMSTART
	v_cvt_f32_f16 v85, v2;
	;;#ASMEND
	;;#ASMSTART
	v_cvt_f32_f16 v86, v1;
	;;#ASMEND
	global_load_dwordx4 v[1:4], v[9:10], off offset:512
	s_waitcnt vmcnt(0)
	v_lshrrev_b32_e32 v89, 16, v1
	v_lshrrev_b32_e32 v88, 16, v2
	v_lshrrev_b32_e32 v87, 16, v3
	s_and_saveexec_b32 s22, s0
	s_cbranch_execz .LBB97_72
; %bb.71:                               ;   in Loop: Header=BB97_35 Depth=1
	v_cmp_gt_i32_e32 vcc_lo, s28, v41
	v_and_b32_e32 v90, 0xffff0000, v4
	v_cmp_gt_i32_e64 s1, s28, v52
	v_cndmask_b32_e32 v1, 0, v1, vcc_lo
	v_cmp_gt_i32_e32 vcc_lo, s28, v54
	v_cndmask_b32_e64 v2, 0, v2, s1
	v_cmp_gt_i32_e64 s1, s28, v51
	v_cndmask_b32_e32 v89, 0, v89, vcc_lo
	v_cmp_gt_i32_e32 vcc_lo, s28, v53
	v_cndmask_b32_e64 v88, 0, v88, s1
	v_cndmask_b32_sdwa v4, v6, v4, vcc_lo dst_sel:DWORD dst_unused:UNUSED_PAD src0_sel:DWORD src1_sel:WORD_0
	v_cmp_gt_i32_e32 vcc_lo, s28, v50
	v_cndmask_b32_e32 v90, 0, v90, vcc_lo
	v_cmp_gt_i32_e32 vcc_lo, s28, v49
	v_or_b32_e32 v4, v4, v90
	v_cndmask_b32_e32 v3, 0, v3, vcc_lo
	v_cmp_gt_i32_e32 vcc_lo, s28, v48
	v_cndmask_b32_e32 v87, 0, v87, vcc_lo
.LBB97_72:                              ;   in Loop: Header=BB97_35 Depth=1
	s_or_b32 exec_lo, exec_lo, s22
	v_lshlrev_b32_e32 v89, 16, v89
	v_lshlrev_b32_e32 v88, 16, v88
	v_lshlrev_b32_e32 v87, 16, v87
	v_and_or_b32 v1, 0xffff, v1, v89
	v_and_or_b32 v2, 0xffff, v2, v88
	;; [unrolled: 1-line block ×3, first 2 shown]
	;;#ASMSTART
	v_pk_mul_f16 v1, v43, v1;

	;;#ASMEND
	;;#ASMSTART
	v_pk_mul_f16 v2, v42, v2;

	;;#ASMEND
	;; [unrolled: 4-line block ×4, first 2 shown]
	;;#ASMSTART
	v_pk_add_f16 v1, v1, v2;

	;;#ASMEND
	;;#ASMSTART
	v_pk_add_f16 v1, v1, v3;

	;;#ASMEND
	;; [unrolled: 4-line block ×3, first 2 shown]
	v_and_b32_e32 v2, 0xffff, v1
	v_lshrrev_b32_e32 v1, 16, v1
	;;#ASMSTART
	v_cvt_f32_f16 v87, v2;
	;;#ASMEND
	;;#ASMSTART
	v_cvt_f32_f16 v88, v1;
	;;#ASMEND
	global_load_dwordx4 v[1:4], v[9:10], off offset:1024
	s_waitcnt vmcnt(0)
	v_lshrrev_b32_e32 v91, 16, v1
	v_lshrrev_b32_e32 v90, 16, v2
	;; [unrolled: 1-line block ×3, first 2 shown]
	s_and_saveexec_b32 s22, s0
	s_cbranch_execz .LBB97_74
; %bb.73:                               ;   in Loop: Header=BB97_35 Depth=1
	v_cmp_gt_i32_e32 vcc_lo, s28, v41
	v_and_b32_e32 v92, 0xffff0000, v4
	v_cmp_gt_i32_e64 s1, s28, v52
	v_cndmask_b32_e32 v1, 0, v1, vcc_lo
	v_cmp_gt_i32_e32 vcc_lo, s28, v54
	v_cndmask_b32_e64 v2, 0, v2, s1
	v_cmp_gt_i32_e64 s1, s28, v51
	v_cndmask_b32_e32 v91, 0, v91, vcc_lo
	v_cmp_gt_i32_e32 vcc_lo, s28, v53
	v_cndmask_b32_e64 v90, 0, v90, s1
	v_cndmask_b32_sdwa v4, v6, v4, vcc_lo dst_sel:DWORD dst_unused:UNUSED_PAD src0_sel:DWORD src1_sel:WORD_0
	v_cmp_gt_i32_e32 vcc_lo, s28, v50
	v_cndmask_b32_e32 v92, 0, v92, vcc_lo
	v_cmp_gt_i32_e32 vcc_lo, s28, v49
	v_or_b32_e32 v4, v4, v92
	v_cndmask_b32_e32 v3, 0, v3, vcc_lo
	v_cmp_gt_i32_e32 vcc_lo, s28, v48
	v_cndmask_b32_e32 v89, 0, v89, vcc_lo
.LBB97_74:                              ;   in Loop: Header=BB97_35 Depth=1
	s_or_b32 exec_lo, exec_lo, s22
	v_lshlrev_b32_e32 v91, 16, v91
	v_lshlrev_b32_e32 v90, 16, v90
	;; [unrolled: 1-line block ×3, first 2 shown]
	v_and_or_b32 v1, 0xffff, v1, v91
	v_and_or_b32 v2, 0xffff, v2, v90
	v_and_or_b32 v3, 0xffff, v3, v89
	;;#ASMSTART
	v_pk_mul_f16 v1, v43, v1;

	;;#ASMEND
	;;#ASMSTART
	v_pk_mul_f16 v2, v42, v2;

	;;#ASMEND
	;; [unrolled: 4-line block ×4, first 2 shown]
	;;#ASMSTART
	v_pk_add_f16 v1, v1, v2;

	;;#ASMEND
	;;#ASMSTART
	v_pk_add_f16 v1, v1, v3;

	;;#ASMEND
	;; [unrolled: 4-line block ×3, first 2 shown]
	v_and_b32_e32 v2, 0xffff, v1
	v_lshrrev_b32_e32 v1, 16, v1
	;;#ASMSTART
	v_cvt_f32_f16 v89, v2;
	;;#ASMEND
	;;#ASMSTART
	v_cvt_f32_f16 v90, v1;
	;;#ASMEND
	global_load_dwordx4 v[1:4], v[9:10], off offset:1536
	s_waitcnt vmcnt(0)
	v_lshrrev_b32_e32 v91, 16, v1
	v_lshrrev_b32_e32 v10, 16, v2
	;; [unrolled: 1-line block ×3, first 2 shown]
	s_and_saveexec_b32 s22, s0
	s_cbranch_execz .LBB97_76
; %bb.75:                               ;   in Loop: Header=BB97_35 Depth=1
	v_cmp_gt_i32_e32 vcc_lo, s28, v41
	v_and_b32_e32 v92, 0xffff0000, v4
	v_cmp_gt_i32_e64 s1, s28, v52
	v_cndmask_b32_e32 v1, 0, v1, vcc_lo
	v_cmp_gt_i32_e32 vcc_lo, s28, v54
	v_cndmask_b32_e64 v2, 0, v2, s1
	v_cmp_gt_i32_e64 s1, s28, v51
	v_cndmask_b32_e32 v91, 0, v91, vcc_lo
	v_cmp_gt_i32_e32 vcc_lo, s28, v53
	v_cndmask_b32_e64 v10, 0, v10, s1
	v_cndmask_b32_sdwa v4, v6, v4, vcc_lo dst_sel:DWORD dst_unused:UNUSED_PAD src0_sel:DWORD src1_sel:WORD_0
	v_cmp_gt_i32_e32 vcc_lo, s28, v50
	v_cndmask_b32_e32 v92, 0, v92, vcc_lo
	v_cmp_gt_i32_e32 vcc_lo, s28, v49
	v_or_b32_e32 v4, v4, v92
	v_cndmask_b32_e32 v3, 0, v3, vcc_lo
	v_cmp_gt_i32_e32 vcc_lo, s28, v48
	v_cndmask_b32_e32 v9, 0, v9, vcc_lo
.LBB97_76:                              ;   in Loop: Header=BB97_35 Depth=1
	s_or_b32 exec_lo, exec_lo, s22
	v_lshlrev_b32_e32 v91, 16, v91
	v_lshlrev_b32_e32 v10, 16, v10
	;; [unrolled: 1-line block ×3, first 2 shown]
	v_add_co_u32 v7, vcc_lo, 0x2800, v7
	v_and_or_b32 v1, 0xffff, v1, v91
	v_and_or_b32 v2, 0xffff, v2, v10
	;; [unrolled: 1-line block ×3, first 2 shown]
	;;#ASMSTART
	v_pk_mul_f16 v1, v43, v1;

	;;#ASMEND
	v_add_co_ci_u32_e64 v8, null, 0, v8, vcc_lo
	;;#ASMSTART
	v_pk_mul_f16 v2, v42, v2;

	;;#ASMEND
	;;#ASMSTART
	v_pk_mul_f16 v3, v46, v3;

	;;#ASMEND
	;; [unrolled: 4-line block ×3, first 2 shown]
	;;#ASMSTART
	v_pk_add_f16 v1, v1, v2;

	;;#ASMEND
	;;#ASMSTART
	v_pk_add_f16 v1, v1, v3;

	;;#ASMEND
	;; [unrolled: 4-line block ×3, first 2 shown]
	v_lshrrev_b32_e32 v2, 16, v1
	v_and_b32_e32 v1, 0xffff, v1
	;;#ASMSTART
	v_cvt_f32_f16 v9, v1;
	;;#ASMEND
	;;#ASMSTART
	v_cvt_f32_f16 v10, v2;
	;;#ASMEND
	global_load_dwordx4 v[1:4], v[7:8], off
	s_waitcnt vmcnt(0)
	v_lshrrev_b32_e32 v93, 16, v1
	v_lshrrev_b32_e32 v92, 16, v2
	;; [unrolled: 1-line block ×3, first 2 shown]
	s_and_saveexec_b32 s22, s0
	s_cbranch_execz .LBB97_78
; %bb.77:                               ;   in Loop: Header=BB97_35 Depth=1
	v_cmp_gt_i32_e32 vcc_lo, s28, v41
	v_and_b32_e32 v94, 0xffff0000, v4
	v_cmp_gt_i32_e64 s1, s28, v52
	v_cndmask_b32_e32 v1, 0, v1, vcc_lo
	v_cmp_gt_i32_e32 vcc_lo, s28, v54
	v_cndmask_b32_e64 v2, 0, v2, s1
	v_cmp_gt_i32_e64 s1, s28, v51
	v_cndmask_b32_e32 v93, 0, v93, vcc_lo
	v_cmp_gt_i32_e32 vcc_lo, s28, v53
	v_cndmask_b32_e64 v92, 0, v92, s1
	v_cndmask_b32_sdwa v4, v6, v4, vcc_lo dst_sel:DWORD dst_unused:UNUSED_PAD src0_sel:DWORD src1_sel:WORD_0
	v_cmp_gt_i32_e32 vcc_lo, s28, v50
	v_cndmask_b32_e32 v94, 0, v94, vcc_lo
	v_cmp_gt_i32_e32 vcc_lo, s28, v49
	v_or_b32_e32 v4, v4, v94
	v_cndmask_b32_e32 v3, 0, v3, vcc_lo
	v_cmp_gt_i32_e32 vcc_lo, s28, v48
	v_cndmask_b32_e32 v91, 0, v91, vcc_lo
.LBB97_78:                              ;   in Loop: Header=BB97_35 Depth=1
	s_or_b32 exec_lo, exec_lo, s22
	v_lshlrev_b32_e32 v93, 16, v93
	v_lshlrev_b32_e32 v92, 16, v92
	;; [unrolled: 1-line block ×3, first 2 shown]
	v_and_or_b32 v1, 0xffff, v1, v93
	v_and_or_b32 v2, 0xffff, v2, v92
	;; [unrolled: 1-line block ×3, first 2 shown]
	;;#ASMSTART
	v_pk_mul_f16 v1, v43, v1;

	;;#ASMEND
	;;#ASMSTART
	v_pk_mul_f16 v2, v42, v2;

	;;#ASMEND
	;; [unrolled: 4-line block ×4, first 2 shown]
	;;#ASMSTART
	v_pk_add_f16 v1, v1, v2;

	;;#ASMEND
	;;#ASMSTART
	v_pk_add_f16 v1, v1, v3;

	;;#ASMEND
	;;#ASMSTART
	v_pk_add_f16 v1, v1, v4;

	;;#ASMEND
	v_and_b32_e32 v2, 0xffff, v1
	v_lshrrev_b32_e32 v1, 16, v1
	;;#ASMSTART
	v_cvt_f32_f16 v91, v2;
	;;#ASMEND
	;;#ASMSTART
	v_cvt_f32_f16 v92, v1;
	;;#ASMEND
	global_load_dwordx4 v[1:4], v[7:8], off offset:512
	s_waitcnt vmcnt(0)
	v_lshrrev_b32_e32 v95, 16, v1
	v_lshrrev_b32_e32 v94, 16, v2
	;; [unrolled: 1-line block ×3, first 2 shown]
	s_and_saveexec_b32 s22, s0
	s_cbranch_execz .LBB97_80
; %bb.79:                               ;   in Loop: Header=BB97_35 Depth=1
	v_cmp_gt_i32_e32 vcc_lo, s28, v41
	v_and_b32_e32 v96, 0xffff0000, v4
	v_cmp_gt_i32_e64 s1, s28, v52
	v_cndmask_b32_e32 v1, 0, v1, vcc_lo
	v_cmp_gt_i32_e32 vcc_lo, s28, v54
	v_cndmask_b32_e64 v2, 0, v2, s1
	v_cmp_gt_i32_e64 s1, s28, v51
	v_cndmask_b32_e32 v95, 0, v95, vcc_lo
	v_cmp_gt_i32_e32 vcc_lo, s28, v53
	v_cndmask_b32_e64 v94, 0, v94, s1
	v_cndmask_b32_sdwa v4, v6, v4, vcc_lo dst_sel:DWORD dst_unused:UNUSED_PAD src0_sel:DWORD src1_sel:WORD_0
	v_cmp_gt_i32_e32 vcc_lo, s28, v50
	v_cndmask_b32_e32 v96, 0, v96, vcc_lo
	v_cmp_gt_i32_e32 vcc_lo, s28, v49
	v_or_b32_e32 v4, v4, v96
	v_cndmask_b32_e32 v3, 0, v3, vcc_lo
	v_cmp_gt_i32_e32 vcc_lo, s28, v48
	v_cndmask_b32_e32 v93, 0, v93, vcc_lo
.LBB97_80:                              ;   in Loop: Header=BB97_35 Depth=1
	s_or_b32 exec_lo, exec_lo, s22
	v_lshlrev_b32_e32 v95, 16, v95
	v_lshlrev_b32_e32 v94, 16, v94
	;; [unrolled: 1-line block ×3, first 2 shown]
	v_and_or_b32 v1, 0xffff, v1, v95
	v_and_or_b32 v2, 0xffff, v2, v94
	;; [unrolled: 1-line block ×3, first 2 shown]
	;;#ASMSTART
	v_pk_mul_f16 v1, v43, v1;

	;;#ASMEND
	;;#ASMSTART
	v_pk_mul_f16 v2, v42, v2;

	;;#ASMEND
	;; [unrolled: 4-line block ×4, first 2 shown]
	;;#ASMSTART
	v_pk_add_f16 v1, v1, v2;

	;;#ASMEND
	;;#ASMSTART
	v_pk_add_f16 v1, v1, v3;

	;;#ASMEND
	;; [unrolled: 4-line block ×3, first 2 shown]
	v_and_b32_e32 v2, 0xffff, v1
	v_lshrrev_b32_e32 v1, 16, v1
	;;#ASMSTART
	v_cvt_f32_f16 v93, v2;
	;;#ASMEND
	;;#ASMSTART
	v_cvt_f32_f16 v94, v1;
	;;#ASMEND
	global_load_dwordx4 v[1:4], v[7:8], off offset:1024
	s_waitcnt vmcnt(0)
	v_lshrrev_b32_e32 v97, 16, v1
	v_lshrrev_b32_e32 v96, 16, v2
	;; [unrolled: 1-line block ×3, first 2 shown]
	s_and_saveexec_b32 s22, s0
	s_cbranch_execz .LBB97_82
; %bb.81:                               ;   in Loop: Header=BB97_35 Depth=1
	v_cmp_gt_i32_e32 vcc_lo, s28, v41
	v_and_b32_e32 v98, 0xffff0000, v4
	v_cmp_gt_i32_e64 s1, s28, v52
	v_cndmask_b32_e32 v1, 0, v1, vcc_lo
	v_cmp_gt_i32_e32 vcc_lo, s28, v54
	v_cndmask_b32_e64 v2, 0, v2, s1
	v_cmp_gt_i32_e64 s1, s28, v51
	v_cndmask_b32_e32 v97, 0, v97, vcc_lo
	v_cmp_gt_i32_e32 vcc_lo, s28, v53
	v_cndmask_b32_e64 v96, 0, v96, s1
	v_cndmask_b32_sdwa v4, v6, v4, vcc_lo dst_sel:DWORD dst_unused:UNUSED_PAD src0_sel:DWORD src1_sel:WORD_0
	v_cmp_gt_i32_e32 vcc_lo, s28, v50
	v_cndmask_b32_e32 v98, 0, v98, vcc_lo
	v_cmp_gt_i32_e32 vcc_lo, s28, v49
	v_or_b32_e32 v4, v4, v98
	v_cndmask_b32_e32 v3, 0, v3, vcc_lo
	v_cmp_gt_i32_e32 vcc_lo, s28, v48
	v_cndmask_b32_e32 v95, 0, v95, vcc_lo
.LBB97_82:                              ;   in Loop: Header=BB97_35 Depth=1
	s_or_b32 exec_lo, exec_lo, s22
	v_lshlrev_b32_e32 v97, 16, v97
	v_lshlrev_b32_e32 v96, 16, v96
	;; [unrolled: 1-line block ×3, first 2 shown]
	v_and_or_b32 v1, 0xffff, v1, v97
	v_and_or_b32 v2, 0xffff, v2, v96
	;; [unrolled: 1-line block ×3, first 2 shown]
	;;#ASMSTART
	v_pk_mul_f16 v1, v43, v1;

	;;#ASMEND
	;;#ASMSTART
	v_pk_mul_f16 v2, v42, v2;

	;;#ASMEND
	;; [unrolled: 4-line block ×4, first 2 shown]
	;;#ASMSTART
	v_pk_add_f16 v1, v1, v2;

	;;#ASMEND
	;;#ASMSTART
	v_pk_add_f16 v1, v1, v3;

	;;#ASMEND
	;; [unrolled: 4-line block ×3, first 2 shown]
	v_and_b32_e32 v2, 0xffff, v1
	v_lshrrev_b32_e32 v1, 16, v1
	;;#ASMSTART
	v_cvt_f32_f16 v96, v2;
	;;#ASMEND
	;;#ASMSTART
	v_cvt_f32_f16 v97, v1;
	;;#ASMEND
	global_load_dwordx4 v[1:4], v[7:8], off offset:1536
	s_waitcnt vmcnt(0)
	v_lshrrev_b32_e32 v95, 16, v1
	v_lshrrev_b32_e32 v8, 16, v2
	;; [unrolled: 1-line block ×3, first 2 shown]
	s_and_saveexec_b32 s1, s0
	s_cbranch_execz .LBB97_33
; %bb.83:                               ;   in Loop: Header=BB97_35 Depth=1
	v_cmp_gt_i32_e32 vcc_lo, s28, v41
	v_and_b32_e32 v41, 0xffff0000, v4
	v_cmp_gt_i32_e64 s0, s28, v52
	v_cndmask_b32_e32 v1, 0, v1, vcc_lo
	v_cmp_gt_i32_e32 vcc_lo, s28, v54
	v_cndmask_b32_e64 v2, 0, v2, s0
	v_cmp_gt_i32_e64 s0, s28, v51
	v_cndmask_b32_e32 v95, 0, v95, vcc_lo
	v_cmp_gt_i32_e32 vcc_lo, s28, v53
	v_cndmask_b32_e64 v8, 0, v8, s0
	v_cndmask_b32_sdwa v4, v6, v4, vcc_lo dst_sel:DWORD dst_unused:UNUSED_PAD src0_sel:DWORD src1_sel:WORD_0
	v_cmp_gt_i32_e32 vcc_lo, s28, v50
	v_cndmask_b32_e32 v41, 0, v41, vcc_lo
	v_cmp_gt_i32_e32 vcc_lo, s28, v49
	v_or_b32_e32 v4, v4, v41
	v_cndmask_b32_e32 v3, 0, v3, vcc_lo
	v_cmp_gt_i32_e32 vcc_lo, s28, v48
	v_cndmask_b32_e32 v7, 0, v7, vcc_lo
	s_branch .LBB97_33
.LBB97_84:
	s_or_b32 exec_lo, exec_lo, s15
.LBB97_85:
	s_or_b32 exec_lo, exec_lo, s2
	ds_bpermute_b32 v1, v12, v36
	ds_bpermute_b32 v2, v12, v35
	;; [unrolled: 1-line block ×19, first 2 shown]
	s_mov_b32 s0, exec_lo
	s_waitcnt lgkmcnt(18)
	v_add_f32_e32 v1, v36, v1
	s_waitcnt lgkmcnt(17)
	v_add_f32_e32 v2, v35, v2
	;; [unrolled: 2-line block ×4, first 2 shown]
	ds_bpermute_b32 v35, v12, v19
	ds_bpermute_b32 v3, v11, v1
	;; [unrolled: 1-line block ×5, first 2 shown]
	s_waitcnt lgkmcnt(19)
	v_add_f32_e32 v5, v32, v5
	s_waitcnt lgkmcnt(18)
	v_add_f32_e32 v6, v31, v6
	;; [unrolled: 2-line block ×5, first 2 shown]
	ds_bpermute_b32 v27, v11, v5
	ds_bpermute_b32 v28, v11, v6
	s_waitcnt lgkmcnt(15)
	v_add_f32_e32 v7, v30, v7
	s_waitcnt lgkmcnt(14)
	v_add_f32_e32 v8, v29, v8
	ds_bpermute_b32 v37, v11, v26
	s_waitcnt lgkmcnt(14)
	v_add_f32_e32 v25, v25, v38
	s_waitcnt lgkmcnt(13)
	v_add_f32_e32 v38, v23, v40
	;; [unrolled: 2-line block ×10, first 2 shown]
	ds_bpermute_b32 v33, v12, v16
	ds_bpermute_b32 v34, v12, v15
	v_add_f32_e32 v36, v24, v39
	ds_bpermute_b32 v24, v12, v14
	ds_bpermute_b32 v12, v12, v13
	v_add_f32_e32 v46, v18, v46
	v_add_f32_e32 v47, v17, v47
	ds_bpermute_b32 v29, v11, v7
	ds_bpermute_b32 v30, v11, v8
	;; [unrolled: 1-line block ×13, first 2 shown]
	s_waitcnt lgkmcnt(16)
	v_add_f32_e32 v33, v16, v33
	s_waitcnt lgkmcnt(15)
	v_add_f32_e32 v34, v15, v34
	v_add_f32_e32 v23, v6, v28
	s_waitcnt lgkmcnt(14)
	v_add_f32_e32 v53, v14, v24
	s_waitcnt lgkmcnt(13)
	v_add_f32_e32 v55, v13, v12
	ds_bpermute_b32 v54, v11, v33
	ds_bpermute_b32 v56, v11, v34
	v_add_f32_e32 v24, v5, v27
	ds_bpermute_b32 v27, v11, v53
	ds_bpermute_b32 v28, v11, v55
	v_add_f32_e32 v18, v26, v37
	v_and_b32_e32 v26, 28, v100
	s_waitcnt lgkmcnt(16)
	v_add_f32_e32 v22, v7, v29
	s_waitcnt lgkmcnt(15)
	v_add_f32_e32 v21, v8, v30
	;; [unrolled: 2-line block ×15, first 2 shown]
	v_and_b32_e32 v29, 0x3c3, v0
	s_waitcnt lgkmcnt(1)
	v_add_f32_e32 v8, v53, v27
	s_waitcnt lgkmcnt(0)
	v_add_f32_e32 v9, v55, v28
	v_lshrrev_b32_e32 v25, 2, v100
	v_add_nc_u32_e32 v26, 0x1a0, v26
	v_mul_u32_u24_e32 v27, 0x300, v111
	s_barrier
	buffer_gl0_inv
	v_cmpx_eq_u32_e32 64, v29
	s_cbranch_execz .LBB97_87
; %bb.86:
	v_add_nc_u32_e32 v28, v26, v27
	v_add_nc_u32_e32 v29, 0xfffffa00, v28
	;; [unrolled: 1-line block ×7, first 2 shown]
	ds_write_b32 v29, v4
	ds_write_b32 v30, v3
	;; [unrolled: 1-line block ×4, first 2 shown]
	v_add_nc_u32_e32 v29, 0xfffffac0, v28
	v_add_nc_u32_e32 v30, 0xfffffae0, v28
	v_add_nc_u32_e32 v31, 0xfffffb00, v28
	ds_write_b32 v33, v24
	ds_write_b32 v34, v23
	ds_write_b32 v29, v22
	ds_write_b32 v30, v21
	ds_write_b32 v31, v20
	v_add_nc_u32_e32 v29, 0xfffffb20, v28
	v_add_nc_u32_e32 v30, 0xfffffb40, v28
	v_add_nc_u32_e32 v31, 0xfffffb60, v28
	v_add_nc_u32_e32 v32, 0xfffffb80, v28
	v_add_nc_u32_e32 v33, 0xfffffba0, v28
	ds_write_b32 v29, v19
	ds_write_b32 v30, v18
	ds_write_b32 v31, v17
	ds_write_b32 v32, v16
	ds_write_b32 v33, v15
	v_add_nc_u32_e32 v29, 0xfffffbc0, v28
	v_add_nc_u32_e32 v30, 0xfffffbe0, v28
	;; [unrolled: 10-line block ×3, first 2 shown]
	v_add_nc_u32_e32 v31, 0xfffffca0, v28
	v_add_nc_u32_e32 v32, 0xfffffcc0, v28
	;; [unrolled: 1-line block ×3, first 2 shown]
	ds_write_b32 v29, v7
	ds_write_b32 v30, v6
	;; [unrolled: 1-line block ×5, first 2 shown]
.LBB97_87:
	s_or_b32 exec_lo, exec_lo, s0
	v_lshlrev_b32_e32 v25, 2, v25
	v_and_b32_e32 v28, 3, v0
	s_mov_b32 s1, exec_lo
	s_waitcnt lgkmcnt(0)
	s_barrier
	v_add3_u32 v25, 0x1a0, v27, v25
	v_cmp_eq_u32_e32 vcc_lo, 0, v28
	buffer_gl0_inv
	v_cmpx_gt_u32_e32 64, v0
	s_cbranch_execz .LBB97_114
; %bb.88:
	s_and_saveexec_b32 s0, vcc_lo
	s_cbranch_execnz .LBB97_146
; %bb.89:
	s_or_b32 exec_lo, exec_lo, s0
	s_and_saveexec_b32 s0, vcc_lo
	s_cbranch_execnz .LBB97_147
.LBB97_90:
	s_or_b32 exec_lo, exec_lo, s0
	s_and_saveexec_b32 s0, vcc_lo
	s_cbranch_execnz .LBB97_148
.LBB97_91:
	s_or_b32 exec_lo, exec_lo, s0
	s_and_saveexec_b32 s0, vcc_lo
	s_cbranch_execnz .LBB97_149
.LBB97_92:
	s_or_b32 exec_lo, exec_lo, s0
	s_and_saveexec_b32 s0, vcc_lo
	s_cbranch_execnz .LBB97_150
.LBB97_93:
	s_or_b32 exec_lo, exec_lo, s0
	s_and_saveexec_b32 s0, vcc_lo
	s_cbranch_execnz .LBB97_151
.LBB97_94:
	s_or_b32 exec_lo, exec_lo, s0
	s_and_saveexec_b32 s0, vcc_lo
	s_cbranch_execnz .LBB97_152
.LBB97_95:
	s_or_b32 exec_lo, exec_lo, s0
	s_and_saveexec_b32 s0, vcc_lo
	s_cbranch_execnz .LBB97_153
.LBB97_96:
	s_or_b32 exec_lo, exec_lo, s0
	s_and_saveexec_b32 s0, vcc_lo
	s_cbranch_execnz .LBB97_154
.LBB97_97:
	s_or_b32 exec_lo, exec_lo, s0
	s_and_saveexec_b32 s0, vcc_lo
	s_cbranch_execnz .LBB97_155
.LBB97_98:
	s_or_b32 exec_lo, exec_lo, s0
	s_and_saveexec_b32 s0, vcc_lo
	s_cbranch_execnz .LBB97_156
.LBB97_99:
	s_or_b32 exec_lo, exec_lo, s0
	s_and_saveexec_b32 s0, vcc_lo
	s_cbranch_execnz .LBB97_157
.LBB97_100:
	s_or_b32 exec_lo, exec_lo, s0
	s_and_saveexec_b32 s0, vcc_lo
	s_cbranch_execnz .LBB97_158
.LBB97_101:
	s_or_b32 exec_lo, exec_lo, s0
	s_and_saveexec_b32 s0, vcc_lo
	s_cbranch_execnz .LBB97_159
.LBB97_102:
	s_or_b32 exec_lo, exec_lo, s0
	s_and_saveexec_b32 s0, vcc_lo
	s_cbranch_execnz .LBB97_160
.LBB97_103:
	s_or_b32 exec_lo, exec_lo, s0
	s_and_saveexec_b32 s0, vcc_lo
	s_cbranch_execnz .LBB97_161
.LBB97_104:
	s_or_b32 exec_lo, exec_lo, s0
	s_and_saveexec_b32 s0, vcc_lo
	s_cbranch_execnz .LBB97_162
.LBB97_105:
	s_or_b32 exec_lo, exec_lo, s0
	s_and_saveexec_b32 s0, vcc_lo
	s_cbranch_execnz .LBB97_163
.LBB97_106:
	s_or_b32 exec_lo, exec_lo, s0
	s_and_saveexec_b32 s0, vcc_lo
	s_cbranch_execnz .LBB97_164
.LBB97_107:
	s_or_b32 exec_lo, exec_lo, s0
	s_and_saveexec_b32 s0, vcc_lo
	s_cbranch_execnz .LBB97_165
.LBB97_108:
	s_or_b32 exec_lo, exec_lo, s0
	s_and_saveexec_b32 s0, vcc_lo
	s_cbranch_execnz .LBB97_166
.LBB97_109:
	s_or_b32 exec_lo, exec_lo, s0
	s_and_saveexec_b32 s0, vcc_lo
	s_cbranch_execnz .LBB97_167
.LBB97_110:
	s_or_b32 exec_lo, exec_lo, s0
	s_and_saveexec_b32 s0, vcc_lo
	s_cbranch_execnz .LBB97_168
.LBB97_111:
	s_or_b32 exec_lo, exec_lo, s0
	s_and_saveexec_b32 s0, vcc_lo
	s_cbranch_execz .LBB97_113
.LBB97_112:
	ds_read_b32 v27, v25 offset:736
	s_waitcnt lgkmcnt(0)
	v_add_f32_e32 v9, v9, v27
.LBB97_113:
	s_or_b32 exec_lo, exec_lo, s0
.LBB97_114:
	s_or_b32 exec_lo, exec_lo, s1
	v_and_b32_e32 v27, 0x3e3, v0
	s_mov_b32 s1, exec_lo
	s_barrier
	buffer_gl0_inv
	v_cmpx_eq_u32_e32 32, v27
	s_cbranch_execz .LBB97_116
; %bb.115:
	ds_write2_b32 v26, v4, v3 offset1:8
	ds_write2_b32 v26, v2, v1 offset0:16 offset1:24
	ds_write2_b32 v26, v24, v23 offset0:32 offset1:40
	;; [unrolled: 1-line block ×11, first 2 shown]
.LBB97_116:
	s_or_b32 exec_lo, exec_lo, s1
	s_mov_b32 s1, exec_lo
	s_waitcnt lgkmcnt(0)
	s_barrier
	buffer_gl0_inv
	v_cmpx_gt_u32_e32 32, v0
	s_cbranch_execz .LBB97_143
; %bb.117:
	s_and_saveexec_b32 s0, vcc_lo
	s_cbranch_execnz .LBB97_169
; %bb.118:
	s_or_b32 exec_lo, exec_lo, s0
	s_and_saveexec_b32 s0, vcc_lo
	s_cbranch_execnz .LBB97_170
.LBB97_119:
	s_or_b32 exec_lo, exec_lo, s0
	s_and_saveexec_b32 s0, vcc_lo
	s_cbranch_execnz .LBB97_171
.LBB97_120:
	s_or_b32 exec_lo, exec_lo, s0
	s_and_saveexec_b32 s0, vcc_lo
	s_cbranch_execnz .LBB97_172
.LBB97_121:
	s_or_b32 exec_lo, exec_lo, s0
	s_and_saveexec_b32 s0, vcc_lo
	s_cbranch_execnz .LBB97_173
.LBB97_122:
	s_or_b32 exec_lo, exec_lo, s0
	s_and_saveexec_b32 s0, vcc_lo
	s_cbranch_execnz .LBB97_174
.LBB97_123:
	s_or_b32 exec_lo, exec_lo, s0
	s_and_saveexec_b32 s0, vcc_lo
	s_cbranch_execnz .LBB97_175
.LBB97_124:
	s_or_b32 exec_lo, exec_lo, s0
	s_and_saveexec_b32 s0, vcc_lo
	s_cbranch_execnz .LBB97_176
.LBB97_125:
	s_or_b32 exec_lo, exec_lo, s0
	s_and_saveexec_b32 s0, vcc_lo
	s_cbranch_execnz .LBB97_177
.LBB97_126:
	s_or_b32 exec_lo, exec_lo, s0
	s_and_saveexec_b32 s0, vcc_lo
	s_cbranch_execnz .LBB97_178
.LBB97_127:
	s_or_b32 exec_lo, exec_lo, s0
	s_and_saveexec_b32 s0, vcc_lo
	s_cbranch_execnz .LBB97_179
.LBB97_128:
	s_or_b32 exec_lo, exec_lo, s0
	s_and_saveexec_b32 s0, vcc_lo
	s_cbranch_execnz .LBB97_180
.LBB97_129:
	s_or_b32 exec_lo, exec_lo, s0
	s_and_saveexec_b32 s0, vcc_lo
	s_cbranch_execnz .LBB97_181
.LBB97_130:
	s_or_b32 exec_lo, exec_lo, s0
	s_and_saveexec_b32 s0, vcc_lo
	s_cbranch_execnz .LBB97_182
.LBB97_131:
	s_or_b32 exec_lo, exec_lo, s0
	s_and_saveexec_b32 s0, vcc_lo
	s_cbranch_execnz .LBB97_183
.LBB97_132:
	s_or_b32 exec_lo, exec_lo, s0
	s_and_saveexec_b32 s0, vcc_lo
	s_cbranch_execnz .LBB97_184
.LBB97_133:
	s_or_b32 exec_lo, exec_lo, s0
	s_and_saveexec_b32 s0, vcc_lo
	s_cbranch_execnz .LBB97_185
.LBB97_134:
	s_or_b32 exec_lo, exec_lo, s0
	s_and_saveexec_b32 s0, vcc_lo
	s_cbranch_execnz .LBB97_186
.LBB97_135:
	s_or_b32 exec_lo, exec_lo, s0
	s_and_saveexec_b32 s0, vcc_lo
	s_cbranch_execnz .LBB97_187
.LBB97_136:
	s_or_b32 exec_lo, exec_lo, s0
	s_and_saveexec_b32 s0, vcc_lo
	s_cbranch_execnz .LBB97_188
.LBB97_137:
	s_or_b32 exec_lo, exec_lo, s0
	s_and_saveexec_b32 s0, vcc_lo
	s_cbranch_execnz .LBB97_189
.LBB97_138:
	s_or_b32 exec_lo, exec_lo, s0
	s_and_saveexec_b32 s0, vcc_lo
	s_cbranch_execnz .LBB97_190
.LBB97_139:
	s_or_b32 exec_lo, exec_lo, s0
	s_and_saveexec_b32 s0, vcc_lo
	s_cbranch_execnz .LBB97_191
.LBB97_140:
	s_or_b32 exec_lo, exec_lo, s0
	s_and_saveexec_b32 s0, vcc_lo
	s_cbranch_execz .LBB97_142
.LBB97_141:
	ds_read_b32 v25, v25 offset:736
	s_waitcnt lgkmcnt(0)
	v_add_f32_e32 v9, v9, v25
.LBB97_142:
	s_or_b32 exec_lo, exec_lo, s0
.LBB97_143:
	s_or_b32 exec_lo, exec_lo, s1
	s_barrier
	buffer_gl0_inv
	s_mov_b32 s0, exec_lo
	v_cmpx_eq_u32_e32 0, v27
	s_cbranch_execz .LBB97_145
; %bb.144:
	s_mul_i32 s0, s10, s11
	s_mul_i32 s2, s11, s20
	s_mul_i32 s0, s0, s9
	v_lshrrev_b32_e32 v0, 1, v0
	s_mulk_i32 s0, 0xc0
	;;#ASMSTART
	v_cvt_f16_f32 v4, v4;

	;;#ASMEND
	s_ashr_i32 s1, s0, 31
	s_lshl_b64 s[0:1], s[0:1], 1
	s_add_u32 s4, s6, s0
	s_addc_u32 s5, s7, s1
	s_ashr_i32 s3, s2, 31
	s_lshl_b64 s[0:1], s[2:3], 1
	s_mul_i32 s2, s8, 0xc0
	s_add_u32 s4, s4, s0
	s_addc_u32 s5, s5, s1
	s_ashr_i32 s3, s2, 31
	s_lshl_b64 s[0:1], s[2:3], 1
	s_add_u32 s0, s4, s0
	s_addc_u32 s1, s5, s1
	global_store_short v0, v4, s[0:1]
	;;#ASMSTART
	v_cvt_f16_f32 v3, v3;

	;;#ASMEND
	global_store_short v0, v3, s[0:1] offset:16
	;;#ASMSTART
	v_cvt_f16_f32 v2, v2;

	;;#ASMEND
	global_store_short v0, v2, s[0:1] offset:32
	;;#ASMSTART
	v_cvt_f16_f32 v1, v1;

	;;#ASMEND
	global_store_short v0, v1, s[0:1] offset:48
	;;#ASMSTART
	v_cvt_f16_f32 v1, v24;

	;;#ASMEND
	global_store_short v0, v1, s[0:1] offset:64
	;;#ASMSTART
	v_cvt_f16_f32 v1, v23;

	;;#ASMEND
	global_store_short v0, v1, s[0:1] offset:80
	;;#ASMSTART
	v_cvt_f16_f32 v1, v22;

	;;#ASMEND
	global_store_short v0, v1, s[0:1] offset:96
	;;#ASMSTART
	v_cvt_f16_f32 v1, v21;

	;;#ASMEND
	global_store_short v0, v1, s[0:1] offset:112
	;;#ASMSTART
	v_cvt_f16_f32 v1, v20;

	;;#ASMEND
	global_store_short v0, v1, s[0:1] offset:128
	;;#ASMSTART
	v_cvt_f16_f32 v1, v19;

	;;#ASMEND
	global_store_short v0, v1, s[0:1] offset:144
	;;#ASMSTART
	v_cvt_f16_f32 v1, v18;

	;;#ASMEND
	global_store_short v0, v1, s[0:1] offset:160
	;;#ASMSTART
	v_cvt_f16_f32 v1, v17;

	;;#ASMEND
	global_store_short v0, v1, s[0:1] offset:176
	;;#ASMSTART
	v_cvt_f16_f32 v1, v16;

	;;#ASMEND
	global_store_short v0, v1, s[0:1] offset:192
	;;#ASMSTART
	v_cvt_f16_f32 v1, v15;

	;;#ASMEND
	global_store_short v0, v1, s[0:1] offset:208
	;;#ASMSTART
	v_cvt_f16_f32 v1, v14;

	;;#ASMEND
	global_store_short v0, v1, s[0:1] offset:224
	;;#ASMSTART
	v_cvt_f16_f32 v1, v13;

	;;#ASMEND
	global_store_short v0, v1, s[0:1] offset:240
	;;#ASMSTART
	v_cvt_f16_f32 v1, v12;

	;;#ASMEND
	global_store_short v0, v1, s[0:1] offset:256
	;;#ASMSTART
	v_cvt_f16_f32 v1, v11;

	;;#ASMEND
	global_store_short v0, v1, s[0:1] offset:272
	;;#ASMSTART
	v_cvt_f16_f32 v1, v10;

	;;#ASMEND
	global_store_short v0, v1, s[0:1] offset:288
	;;#ASMSTART
	v_cvt_f16_f32 v1, v7;

	;;#ASMEND
	global_store_short v0, v1, s[0:1] offset:304
	;;#ASMSTART
	v_cvt_f16_f32 v1, v6;

	;;#ASMEND
	global_store_short v0, v1, s[0:1] offset:320
	;;#ASMSTART
	v_cvt_f16_f32 v1, v5;

	;;#ASMEND
	global_store_short v0, v1, s[0:1] offset:336
	;;#ASMSTART
	v_cvt_f16_f32 v1, v8;

	;;#ASMEND
	global_store_short v0, v1, s[0:1] offset:352
	;;#ASMSTART
	v_cvt_f16_f32 v1, v9;

	;;#ASMEND
	global_store_short v0, v1, s[0:1] offset:368
.LBB97_145:
	s_endpgm
.LBB97_146:
	ds_read_b32 v27, v25
	s_waitcnt lgkmcnt(0)
	v_add_f32_e32 v4, v4, v27
	s_or_b32 exec_lo, exec_lo, s0
	s_and_saveexec_b32 s0, vcc_lo
	s_cbranch_execz .LBB97_90
.LBB97_147:
	ds_read_b32 v27, v25 offset:32
	s_waitcnt lgkmcnt(0)
	v_add_f32_e32 v3, v3, v27
	s_or_b32 exec_lo, exec_lo, s0
	s_and_saveexec_b32 s0, vcc_lo
	s_cbranch_execz .LBB97_91
.LBB97_148:
	ds_read_b32 v27, v25 offset:64
	s_waitcnt lgkmcnt(0)
	v_add_f32_e32 v2, v2, v27
	s_or_b32 exec_lo, exec_lo, s0
	s_and_saveexec_b32 s0, vcc_lo
	s_cbranch_execz .LBB97_92
.LBB97_149:
	ds_read_b32 v27, v25 offset:96
	s_waitcnt lgkmcnt(0)
	v_add_f32_e32 v1, v1, v27
	s_or_b32 exec_lo, exec_lo, s0
	s_and_saveexec_b32 s0, vcc_lo
	s_cbranch_execz .LBB97_93
.LBB97_150:
	ds_read_b32 v27, v25 offset:128
	s_waitcnt lgkmcnt(0)
	v_add_f32_e32 v24, v24, v27
	s_or_b32 exec_lo, exec_lo, s0
	s_and_saveexec_b32 s0, vcc_lo
	s_cbranch_execz .LBB97_94
.LBB97_151:
	ds_read_b32 v27, v25 offset:160
	s_waitcnt lgkmcnt(0)
	v_add_f32_e32 v23, v23, v27
	s_or_b32 exec_lo, exec_lo, s0
	s_and_saveexec_b32 s0, vcc_lo
	s_cbranch_execz .LBB97_95
.LBB97_152:
	ds_read_b32 v27, v25 offset:192
	s_waitcnt lgkmcnt(0)
	v_add_f32_e32 v22, v22, v27
	s_or_b32 exec_lo, exec_lo, s0
	s_and_saveexec_b32 s0, vcc_lo
	s_cbranch_execz .LBB97_96
.LBB97_153:
	ds_read_b32 v27, v25 offset:224
	s_waitcnt lgkmcnt(0)
	v_add_f32_e32 v21, v21, v27
	s_or_b32 exec_lo, exec_lo, s0
	s_and_saveexec_b32 s0, vcc_lo
	s_cbranch_execz .LBB97_97
.LBB97_154:
	ds_read_b32 v27, v25 offset:256
	s_waitcnt lgkmcnt(0)
	v_add_f32_e32 v20, v20, v27
	s_or_b32 exec_lo, exec_lo, s0
	s_and_saveexec_b32 s0, vcc_lo
	s_cbranch_execz .LBB97_98
.LBB97_155:
	ds_read_b32 v27, v25 offset:288
	s_waitcnt lgkmcnt(0)
	v_add_f32_e32 v19, v19, v27
	s_or_b32 exec_lo, exec_lo, s0
	s_and_saveexec_b32 s0, vcc_lo
	s_cbranch_execz .LBB97_99
.LBB97_156:
	ds_read_b32 v27, v25 offset:320
	s_waitcnt lgkmcnt(0)
	v_add_f32_e32 v18, v18, v27
	s_or_b32 exec_lo, exec_lo, s0
	s_and_saveexec_b32 s0, vcc_lo
	s_cbranch_execz .LBB97_100
.LBB97_157:
	ds_read_b32 v27, v25 offset:352
	s_waitcnt lgkmcnt(0)
	v_add_f32_e32 v17, v17, v27
	s_or_b32 exec_lo, exec_lo, s0
	s_and_saveexec_b32 s0, vcc_lo
	s_cbranch_execz .LBB97_101
.LBB97_158:
	ds_read_b32 v27, v25 offset:384
	s_waitcnt lgkmcnt(0)
	v_add_f32_e32 v16, v16, v27
	s_or_b32 exec_lo, exec_lo, s0
	s_and_saveexec_b32 s0, vcc_lo
	s_cbranch_execz .LBB97_102
.LBB97_159:
	ds_read_b32 v27, v25 offset:416
	s_waitcnt lgkmcnt(0)
	v_add_f32_e32 v15, v15, v27
	s_or_b32 exec_lo, exec_lo, s0
	s_and_saveexec_b32 s0, vcc_lo
	s_cbranch_execz .LBB97_103
.LBB97_160:
	ds_read_b32 v27, v25 offset:448
	s_waitcnt lgkmcnt(0)
	v_add_f32_e32 v14, v14, v27
	s_or_b32 exec_lo, exec_lo, s0
	s_and_saveexec_b32 s0, vcc_lo
	s_cbranch_execz .LBB97_104
.LBB97_161:
	ds_read_b32 v27, v25 offset:480
	s_waitcnt lgkmcnt(0)
	v_add_f32_e32 v13, v13, v27
	s_or_b32 exec_lo, exec_lo, s0
	s_and_saveexec_b32 s0, vcc_lo
	s_cbranch_execz .LBB97_105
.LBB97_162:
	ds_read_b32 v27, v25 offset:512
	s_waitcnt lgkmcnt(0)
	v_add_f32_e32 v12, v12, v27
	s_or_b32 exec_lo, exec_lo, s0
	s_and_saveexec_b32 s0, vcc_lo
	s_cbranch_execz .LBB97_106
.LBB97_163:
	ds_read_b32 v27, v25 offset:544
	s_waitcnt lgkmcnt(0)
	v_add_f32_e32 v11, v11, v27
	s_or_b32 exec_lo, exec_lo, s0
	s_and_saveexec_b32 s0, vcc_lo
	s_cbranch_execz .LBB97_107
.LBB97_164:
	ds_read_b32 v27, v25 offset:576
	s_waitcnt lgkmcnt(0)
	v_add_f32_e32 v10, v10, v27
	s_or_b32 exec_lo, exec_lo, s0
	s_and_saveexec_b32 s0, vcc_lo
	s_cbranch_execz .LBB97_108
.LBB97_165:
	ds_read_b32 v27, v25 offset:608
	s_waitcnt lgkmcnt(0)
	v_add_f32_e32 v7, v7, v27
	s_or_b32 exec_lo, exec_lo, s0
	s_and_saveexec_b32 s0, vcc_lo
	s_cbranch_execz .LBB97_109
.LBB97_166:
	ds_read_b32 v27, v25 offset:640
	s_waitcnt lgkmcnt(0)
	v_add_f32_e32 v6, v6, v27
	s_or_b32 exec_lo, exec_lo, s0
	s_and_saveexec_b32 s0, vcc_lo
	s_cbranch_execz .LBB97_110
.LBB97_167:
	ds_read_b32 v27, v25 offset:672
	s_waitcnt lgkmcnt(0)
	v_add_f32_e32 v5, v5, v27
	s_or_b32 exec_lo, exec_lo, s0
	s_and_saveexec_b32 s0, vcc_lo
	s_cbranch_execz .LBB97_111
.LBB97_168:
	ds_read_b32 v27, v25 offset:704
	s_waitcnt lgkmcnt(0)
	v_add_f32_e32 v8, v8, v27
	s_or_b32 exec_lo, exec_lo, s0
	s_and_saveexec_b32 s0, vcc_lo
	s_cbranch_execnz .LBB97_112
	s_branch .LBB97_113
.LBB97_169:
	ds_read_b32 v26, v25
	s_waitcnt lgkmcnt(0)
	v_add_f32_e32 v4, v4, v26
	s_or_b32 exec_lo, exec_lo, s0
	s_and_saveexec_b32 s0, vcc_lo
	s_cbranch_execz .LBB97_119
.LBB97_170:
	ds_read_b32 v26, v25 offset:32
	s_waitcnt lgkmcnt(0)
	v_add_f32_e32 v3, v3, v26
	s_or_b32 exec_lo, exec_lo, s0
	s_and_saveexec_b32 s0, vcc_lo
	s_cbranch_execz .LBB97_120
.LBB97_171:
	ds_read_b32 v26, v25 offset:64
	s_waitcnt lgkmcnt(0)
	v_add_f32_e32 v2, v2, v26
	s_or_b32 exec_lo, exec_lo, s0
	s_and_saveexec_b32 s0, vcc_lo
	s_cbranch_execz .LBB97_121
.LBB97_172:
	ds_read_b32 v26, v25 offset:96
	s_waitcnt lgkmcnt(0)
	v_add_f32_e32 v1, v1, v26
	s_or_b32 exec_lo, exec_lo, s0
	s_and_saveexec_b32 s0, vcc_lo
	s_cbranch_execz .LBB97_122
.LBB97_173:
	ds_read_b32 v26, v25 offset:128
	s_waitcnt lgkmcnt(0)
	v_add_f32_e32 v24, v24, v26
	s_or_b32 exec_lo, exec_lo, s0
	s_and_saveexec_b32 s0, vcc_lo
	s_cbranch_execz .LBB97_123
.LBB97_174:
	ds_read_b32 v26, v25 offset:160
	s_waitcnt lgkmcnt(0)
	v_add_f32_e32 v23, v23, v26
	s_or_b32 exec_lo, exec_lo, s0
	s_and_saveexec_b32 s0, vcc_lo
	s_cbranch_execz .LBB97_124
.LBB97_175:
	ds_read_b32 v26, v25 offset:192
	s_waitcnt lgkmcnt(0)
	v_add_f32_e32 v22, v22, v26
	s_or_b32 exec_lo, exec_lo, s0
	s_and_saveexec_b32 s0, vcc_lo
	s_cbranch_execz .LBB97_125
.LBB97_176:
	ds_read_b32 v26, v25 offset:224
	s_waitcnt lgkmcnt(0)
	v_add_f32_e32 v21, v21, v26
	s_or_b32 exec_lo, exec_lo, s0
	s_and_saveexec_b32 s0, vcc_lo
	s_cbranch_execz .LBB97_126
.LBB97_177:
	ds_read_b32 v26, v25 offset:256
	s_waitcnt lgkmcnt(0)
	v_add_f32_e32 v20, v20, v26
	s_or_b32 exec_lo, exec_lo, s0
	s_and_saveexec_b32 s0, vcc_lo
	s_cbranch_execz .LBB97_127
.LBB97_178:
	ds_read_b32 v26, v25 offset:288
	s_waitcnt lgkmcnt(0)
	v_add_f32_e32 v19, v19, v26
	s_or_b32 exec_lo, exec_lo, s0
	s_and_saveexec_b32 s0, vcc_lo
	s_cbranch_execz .LBB97_128
.LBB97_179:
	ds_read_b32 v26, v25 offset:320
	s_waitcnt lgkmcnt(0)
	v_add_f32_e32 v18, v18, v26
	s_or_b32 exec_lo, exec_lo, s0
	s_and_saveexec_b32 s0, vcc_lo
	s_cbranch_execz .LBB97_129
.LBB97_180:
	ds_read_b32 v26, v25 offset:352
	s_waitcnt lgkmcnt(0)
	v_add_f32_e32 v17, v17, v26
	s_or_b32 exec_lo, exec_lo, s0
	s_and_saveexec_b32 s0, vcc_lo
	s_cbranch_execz .LBB97_130
.LBB97_181:
	ds_read_b32 v26, v25 offset:384
	s_waitcnt lgkmcnt(0)
	v_add_f32_e32 v16, v16, v26
	s_or_b32 exec_lo, exec_lo, s0
	s_and_saveexec_b32 s0, vcc_lo
	s_cbranch_execz .LBB97_131
.LBB97_182:
	ds_read_b32 v26, v25 offset:416
	s_waitcnt lgkmcnt(0)
	v_add_f32_e32 v15, v15, v26
	s_or_b32 exec_lo, exec_lo, s0
	s_and_saveexec_b32 s0, vcc_lo
	s_cbranch_execz .LBB97_132
.LBB97_183:
	ds_read_b32 v26, v25 offset:448
	s_waitcnt lgkmcnt(0)
	v_add_f32_e32 v14, v14, v26
	s_or_b32 exec_lo, exec_lo, s0
	s_and_saveexec_b32 s0, vcc_lo
	s_cbranch_execz .LBB97_133
.LBB97_184:
	ds_read_b32 v26, v25 offset:480
	s_waitcnt lgkmcnt(0)
	v_add_f32_e32 v13, v13, v26
	s_or_b32 exec_lo, exec_lo, s0
	s_and_saveexec_b32 s0, vcc_lo
	s_cbranch_execz .LBB97_134
.LBB97_185:
	ds_read_b32 v26, v25 offset:512
	s_waitcnt lgkmcnt(0)
	v_add_f32_e32 v12, v12, v26
	s_or_b32 exec_lo, exec_lo, s0
	s_and_saveexec_b32 s0, vcc_lo
	s_cbranch_execz .LBB97_135
.LBB97_186:
	ds_read_b32 v26, v25 offset:544
	s_waitcnt lgkmcnt(0)
	v_add_f32_e32 v11, v11, v26
	s_or_b32 exec_lo, exec_lo, s0
	s_and_saveexec_b32 s0, vcc_lo
	s_cbranch_execz .LBB97_136
.LBB97_187:
	ds_read_b32 v26, v25 offset:576
	s_waitcnt lgkmcnt(0)
	v_add_f32_e32 v10, v10, v26
	s_or_b32 exec_lo, exec_lo, s0
	s_and_saveexec_b32 s0, vcc_lo
	s_cbranch_execz .LBB97_137
.LBB97_188:
	ds_read_b32 v26, v25 offset:608
	s_waitcnt lgkmcnt(0)
	v_add_f32_e32 v7, v7, v26
	s_or_b32 exec_lo, exec_lo, s0
	s_and_saveexec_b32 s0, vcc_lo
	s_cbranch_execz .LBB97_138
.LBB97_189:
	ds_read_b32 v26, v25 offset:640
	s_waitcnt lgkmcnt(0)
	v_add_f32_e32 v6, v6, v26
	s_or_b32 exec_lo, exec_lo, s0
	s_and_saveexec_b32 s0, vcc_lo
	s_cbranch_execz .LBB97_139
.LBB97_190:
	ds_read_b32 v26, v25 offset:672
	s_waitcnt lgkmcnt(0)
	v_add_f32_e32 v5, v5, v26
	s_or_b32 exec_lo, exec_lo, s0
	s_and_saveexec_b32 s0, vcc_lo
	s_cbranch_execz .LBB97_140
.LBB97_191:
	ds_read_b32 v26, v25 offset:704
	s_waitcnt lgkmcnt(0)
	v_add_f32_e32 v8, v8, v26
	s_or_b32 exec_lo, exec_lo, s0
	s_and_saveexec_b32 s0, vcc_lo
	s_cbranch_execnz .LBB97_141
	s_branch .LBB97_142
	.section	.rodata,"a",@progbits
	.p2align	6, 0x0
	.amdhsa_kernel _ZN4vllm25paged_attention_v1_kernelIttLi192ELi32ELi128ELNS_18Fp8KVCacheDataTypeE0ELb1EEEvPT_PKS2_PKT0_S8_ifPKiSA_iPKfiiiSC_SC_iiiii
		.amdhsa_group_segment_fixed_size 416
		.amdhsa_private_segment_fixed_size 0
		.amdhsa_kernarg_size 384
		.amdhsa_user_sgpr_count 6
		.amdhsa_user_sgpr_private_segment_buffer 1
		.amdhsa_user_sgpr_dispatch_ptr 0
		.amdhsa_user_sgpr_queue_ptr 0
		.amdhsa_user_sgpr_kernarg_segment_ptr 1
		.amdhsa_user_sgpr_dispatch_id 0
		.amdhsa_user_sgpr_flat_scratch_init 0
		.amdhsa_user_sgpr_private_segment_size 0
		.amdhsa_wavefront_size32 1
		.amdhsa_uses_dynamic_stack 0
		.amdhsa_system_sgpr_private_segment_wavefront_offset 0
		.amdhsa_system_sgpr_workgroup_id_x 1
		.amdhsa_system_sgpr_workgroup_id_y 1
		.amdhsa_system_sgpr_workgroup_id_z 1
		.amdhsa_system_sgpr_workgroup_info 0
		.amdhsa_system_vgpr_workitem_id 0
		.amdhsa_next_free_vgpr 128
		.amdhsa_next_free_sgpr 38
		.amdhsa_reserve_vcc 1
		.amdhsa_reserve_flat_scratch 0
		.amdhsa_float_round_mode_32 0
		.amdhsa_float_round_mode_16_64 0
		.amdhsa_float_denorm_mode_32 3
		.amdhsa_float_denorm_mode_16_64 3
		.amdhsa_dx10_clamp 1
		.amdhsa_ieee_mode 1
		.amdhsa_fp16_overflow 0
		.amdhsa_workgroup_processor_mode 1
		.amdhsa_memory_ordered 1
		.amdhsa_forward_progress 1
		.amdhsa_shared_vgpr_count 0
		.amdhsa_exception_fp_ieee_invalid_op 0
		.amdhsa_exception_fp_denorm_src 0
		.amdhsa_exception_fp_ieee_div_zero 0
		.amdhsa_exception_fp_ieee_overflow 0
		.amdhsa_exception_fp_ieee_underflow 0
		.amdhsa_exception_fp_ieee_inexact 0
		.amdhsa_exception_int_div_zero 0
	.end_amdhsa_kernel
	.section	.text._ZN4vllm25paged_attention_v1_kernelIttLi192ELi32ELi128ELNS_18Fp8KVCacheDataTypeE0ELb1EEEvPT_PKS2_PKT0_S8_ifPKiSA_iPKfiiiSC_SC_iiiii,"axG",@progbits,_ZN4vllm25paged_attention_v1_kernelIttLi192ELi32ELi128ELNS_18Fp8KVCacheDataTypeE0ELb1EEEvPT_PKS2_PKT0_S8_ifPKiSA_iPKfiiiSC_SC_iiiii,comdat
.Lfunc_end97:
	.size	_ZN4vllm25paged_attention_v1_kernelIttLi192ELi32ELi128ELNS_18Fp8KVCacheDataTypeE0ELb1EEEvPT_PKS2_PKT0_S8_ifPKiSA_iPKfiiiSC_SC_iiiii, .Lfunc_end97-_ZN4vllm25paged_attention_v1_kernelIttLi192ELi32ELi128ELNS_18Fp8KVCacheDataTypeE0ELb1EEEvPT_PKS2_PKT0_S8_ifPKiSA_iPKfiiiSC_SC_iiiii
                                        ; -- End function
	.set _ZN4vllm25paged_attention_v1_kernelIttLi192ELi32ELi128ELNS_18Fp8KVCacheDataTypeE0ELb1EEEvPT_PKS2_PKT0_S8_ifPKiSA_iPKfiiiSC_SC_iiiii.num_vgpr, 128
	.set _ZN4vllm25paged_attention_v1_kernelIttLi192ELi32ELi128ELNS_18Fp8KVCacheDataTypeE0ELb1EEEvPT_PKS2_PKT0_S8_ifPKiSA_iPKfiiiSC_SC_iiiii.num_agpr, 0
	.set _ZN4vllm25paged_attention_v1_kernelIttLi192ELi32ELi128ELNS_18Fp8KVCacheDataTypeE0ELb1EEEvPT_PKS2_PKT0_S8_ifPKiSA_iPKfiiiSC_SC_iiiii.numbered_sgpr, 38
	.set _ZN4vllm25paged_attention_v1_kernelIttLi192ELi32ELi128ELNS_18Fp8KVCacheDataTypeE0ELb1EEEvPT_PKS2_PKT0_S8_ifPKiSA_iPKfiiiSC_SC_iiiii.num_named_barrier, 0
	.set _ZN4vllm25paged_attention_v1_kernelIttLi192ELi32ELi128ELNS_18Fp8KVCacheDataTypeE0ELb1EEEvPT_PKS2_PKT0_S8_ifPKiSA_iPKfiiiSC_SC_iiiii.private_seg_size, 0
	.set _ZN4vllm25paged_attention_v1_kernelIttLi192ELi32ELi128ELNS_18Fp8KVCacheDataTypeE0ELb1EEEvPT_PKS2_PKT0_S8_ifPKiSA_iPKfiiiSC_SC_iiiii.uses_vcc, 1
	.set _ZN4vllm25paged_attention_v1_kernelIttLi192ELi32ELi128ELNS_18Fp8KVCacheDataTypeE0ELb1EEEvPT_PKS2_PKT0_S8_ifPKiSA_iPKfiiiSC_SC_iiiii.uses_flat_scratch, 0
	.set _ZN4vllm25paged_attention_v1_kernelIttLi192ELi32ELi128ELNS_18Fp8KVCacheDataTypeE0ELb1EEEvPT_PKS2_PKT0_S8_ifPKiSA_iPKfiiiSC_SC_iiiii.has_dyn_sized_stack, 0
	.set _ZN4vllm25paged_attention_v1_kernelIttLi192ELi32ELi128ELNS_18Fp8KVCacheDataTypeE0ELb1EEEvPT_PKS2_PKT0_S8_ifPKiSA_iPKfiiiSC_SC_iiiii.has_recursion, 0
	.set _ZN4vllm25paged_attention_v1_kernelIttLi192ELi32ELi128ELNS_18Fp8KVCacheDataTypeE0ELb1EEEvPT_PKS2_PKT0_S8_ifPKiSA_iPKfiiiSC_SC_iiiii.has_indirect_call, 0
	.section	.AMDGPU.csdata,"",@progbits
; Kernel info:
; codeLenInByte = 27952
; TotalNumSgprs: 40
; NumVgprs: 128
; ScratchSize: 0
; MemoryBound: 0
; FloatMode: 240
; IeeeMode: 1
; LDSByteSize: 416 bytes/workgroup (compile time only)
; SGPRBlocks: 0
; VGPRBlocks: 15
; NumSGPRsForWavesPerEU: 40
; NumVGPRsForWavesPerEU: 128
; Occupancy: 8
; WaveLimiterHint : 1
; COMPUTE_PGM_RSRC2:SCRATCH_EN: 0
; COMPUTE_PGM_RSRC2:USER_SGPR: 6
; COMPUTE_PGM_RSRC2:TRAP_HANDLER: 0
; COMPUTE_PGM_RSRC2:TGID_X_EN: 1
; COMPUTE_PGM_RSRC2:TGID_Y_EN: 1
; COMPUTE_PGM_RSRC2:TGID_Z_EN: 1
; COMPUTE_PGM_RSRC2:TIDIG_COMP_CNT: 0
	.section	.text._ZN4vllm25paged_attention_v1_kernelIttLi256ELi32ELi128ELNS_18Fp8KVCacheDataTypeE0ELb1EEEvPT_PKS2_PKT0_S8_ifPKiSA_iPKfiiiSC_SC_iiiii,"axG",@progbits,_ZN4vllm25paged_attention_v1_kernelIttLi256ELi32ELi128ELNS_18Fp8KVCacheDataTypeE0ELb1EEEvPT_PKS2_PKT0_S8_ifPKiSA_iPKfiiiSC_SC_iiiii,comdat
	.protected	_ZN4vllm25paged_attention_v1_kernelIttLi256ELi32ELi128ELNS_18Fp8KVCacheDataTypeE0ELb1EEEvPT_PKS2_PKT0_S8_ifPKiSA_iPKfiiiSC_SC_iiiii ; -- Begin function _ZN4vllm25paged_attention_v1_kernelIttLi256ELi32ELi128ELNS_18Fp8KVCacheDataTypeE0ELb1EEEvPT_PKS2_PKT0_S8_ifPKiSA_iPKfiiiSC_SC_iiiii
	.globl	_ZN4vllm25paged_attention_v1_kernelIttLi256ELi32ELi128ELNS_18Fp8KVCacheDataTypeE0ELb1EEEvPT_PKS2_PKT0_S8_ifPKiSA_iPKfiiiSC_SC_iiiii
	.p2align	8
	.type	_ZN4vllm25paged_attention_v1_kernelIttLi256ELi32ELi128ELNS_18Fp8KVCacheDataTypeE0ELb1EEEvPT_PKS2_PKT0_S8_ifPKiSA_iPKfiiiSC_SC_iiiii,@function
_ZN4vllm25paged_attention_v1_kernelIttLi256ELi32ELi128ELNS_18Fp8KVCacheDataTypeE0ELb1EEEvPT_PKS2_PKT0_S8_ifPKiSA_iPKfiiiSC_SC_iiiii: ; @_ZN4vllm25paged_attention_v1_kernelIttLi256ELi32ELi128ELNS_18Fp8KVCacheDataTypeE0ELb1EEEvPT_PKS2_PKT0_S8_ifPKiSA_iPKfiiiSC_SC_iiiii
; %bb.0:
	s_mov_b64 s[42:43], s[2:3]
	s_mov_b64 s[40:41], s[0:1]
	s_mov_b32 s10, s7
	s_add_u32 s40, s40, s9
	s_clause 0x2
	s_load_dword s9, s[4:5], 0x80
	s_load_dwordx2 s[0:1], s[4:5], 0x30
	s_load_dwordx2 s[28:29], s[4:5], 0x20
	s_addc_u32 s41, s41, 0
	s_ashr_i32 s11, s7, 31
	v_mov_b32_e32 v122, v0
	s_lshl_b64 s[2:3], s[10:11], 2
	s_mov_b32 s33, 0
	s_waitcnt lgkmcnt(0)
	s_add_u32 s0, s0, s2
	s_addc_u32 s1, s1, s3
	s_abs_i32 s2, s28
	s_abs_i32 s11, s9
	v_cvt_f32_u32_e32 v0, s2
	s_sub_i32 s7, 0, s2
	v_rcp_iflag_f32_e32 v0, v0
	v_mul_f32_e32 v0, 0x4f7ffffe, v0
	v_cvt_u32_f32_e32 v0, v0
	v_readfirstlane_b32 s3, v0
	s_mul_i32 s7, s7, s3
	s_mul_hi_u32 s7, s3, s7
	s_add_i32 s3, s3, s7
	s_xor_b32 s7, s9, s28
	s_mul_hi_u32 s3, s11, s3
	s_ashr_i32 s7, s7, 31
	s_mul_i32 s12, s3, s2
	s_sub_i32 s11, s11, s12
	s_add_i32 s12, s3, 1
	s_sub_i32 s13, s11, s2
	s_cmp_ge_u32 s11, s2
	s_cselect_b32 s3, s12, s3
	s_cselect_b32 s11, s13, s11
	s_add_i32 s12, s3, 1
	s_cmp_ge_u32 s11, s2
	s_cselect_b32 s2, s12, s3
	s_abs_i32 s22, s6
	s_xor_b32 s2, s2, s7
	s_sub_i32 s16, s2, s7
	s_load_dwordx2 s[2:3], s[4:5], 0x40
	s_abs_i32 s11, s16
	v_cvt_f32_u32_e32 v0, s11
	s_sub_i32 s12, 0, s11
	v_rcp_iflag_f32_e32 v0, v0
	v_mul_f32_e32 v0, 0x4f7ffffe, v0
	v_cvt_u32_f32_e32 v0, v0
	v_readfirstlane_b32 s7, v0
	s_mul_i32 s12, s12, s7
	s_mul_hi_u32 s12, s7, s12
	s_add_i32 s7, s7, s12
	s_waitcnt lgkmcnt(0)
	s_cmp_eq_u64 s[2:3], 0
	s_mul_hi_u32 s23, s22, s7
	s_cbranch_scc1 .LBB98_2
; %bb.1:
	s_ashr_i32 s7, s6, 31
	s_lshl_b64 s[12:13], s[6:7], 2
	s_add_u32 s2, s2, s12
	s_addc_u32 s3, s3, s13
	s_load_dword s33, s[2:3], 0x0
.LBB98_2:
	s_load_dword s30, s[0:1], 0x0
	s_load_dwordx4 s[12:15], s[4:5], 0x48
	v_cmp_gt_u32_e64 s0, 32, v122
	s_ashr_i32 s1, s6, 31
	s_ashr_i32 s2, s16, 31
	s_lshl_b32 s20, s6, 8
	s_and_saveexec_b32 s3, s0
	s_cbranch_execz .LBB98_4
; %bb.3:
	s_load_dwordx2 s[16:17], s[4:5], 0x8
	s_waitcnt lgkmcnt(0)
	s_mul_i32 s18, s12, s10
	v_lshlrev_b32_e32 v4, 4, v122
	s_ashr_i32 s19, s18, 31
	s_lshl_b64 s[18:19], s[18:19], 1
	s_add_u32 s7, s16, s18
	s_addc_u32 s12, s17, s19
	s_ashr_i32 s21, s20, 31
	s_lshl_b64 s[16:17], s[20:21], 1
	s_add_u32 s16, s7, s16
	s_addc_u32 s17, s12, s17
	global_load_dwordx4 v[0:3], v4, s[16:17]
	s_waitcnt vmcnt(0)
	ds_write_b128 v4, v[0:3]
.LBB98_4:
	s_or_b32 exec_lo, exec_lo, s3
	s_load_dwordx4 s[16:19], s[4:5], 0x68
	s_mul_i32 s3, s23, s11
	s_xor_b32 s2, s1, s2
	s_sub_i32 s1, s22, s3
	s_add_i32 s3, s23, 1
	s_sub_i32 s7, s1, s11
	s_cmp_ge_u32 s1, s11
	s_waitcnt lgkmcnt(0)
	s_mov_b32 s15, -1
	s_cselect_b32 s3, s3, s23
	s_cselect_b32 s1, s7, s1
	s_add_i32 s7, s3, 1
	s_cmp_ge_u32 s1, s11
	s_load_dword s1, s[4:5], 0x78
	s_cselect_b32 s3, s7, s3
	s_add_i32 s11, s30, -1
	s_xor_b32 s3, s3, s2
	s_abs_i32 s7, s11
	s_sub_i32 s2, s3, s2
	s_waitcnt lgkmcnt(0)
	s_barrier
	s_abs_i32 s12, s19
	buffer_gl0_inv
	v_cvt_f32_u32_e32 v0, s12
	s_sub_i32 s3, 0, s12
                                        ; implicit-def: $sgpr31
	v_rcp_iflag_f32_e32 v0, v0
	v_mul_f32_e32 v0, 0x4f7ffffe, v0
	v_cvt_u32_f32_e32 v0, v0
	v_readfirstlane_b32 s21, v0
	s_mul_i32 s3, s3, s21
	s_mul_hi_u32 s3, s21, s3
	s_add_i32 s21, s21, s3
	s_cmp_lt_i32 s1, 0
	s_mul_hi_u32 s3, s7, s21
	s_cbranch_scc0 .LBB98_6
; %bb.5:
	s_mul_i32 s15, s16, s28
	s_add_i32 s15, s2, s15
	s_mul_i32 s15, s15, s1
	s_sub_i32 s31, 1, s15
	s_mov_b32 s15, 0
.LBB98_6:
	s_load_dwordx2 s[22:23], s[4:5], 0x28
	s_ashr_i32 s11, s11, 31
	s_andn2_b32 vcc_lo, exec_lo, s15
	s_ashr_i32 s19, s19, 31
	s_cbranch_vccnz .LBB98_8
; %bb.7:
	s_mul_i32 s15, s9, s16
	s_add_i32 s6, s15, s6
	s_mul_i32 s1, s6, s1
	s_add_i32 s31, s1, 1
.LBB98_8:
	s_load_dword s1, s[4:5], 0x38
	s_mul_i32 s6, s3, s12
	s_xor_b32 s15, s11, s19
	s_sub_i32 s28, s7, s6
	s_add_i32 s16, s3, 1
	s_clause 0x2
	s_load_dwordx2 s[6:7], s[4:5], 0x0
	s_load_dwordx2 s[24:25], s[4:5], 0x18
	s_load_dword s11, s[4:5], 0x88
	v_lshrrev_b32_e32 v123, 5, v122
	v_and_b32_e32 v0, 31, v122
	v_mov_b32_e32 v24, 0xff7fffff
	s_mul_i32 s14, s2, s14
	v_lshlrev_b32_e32 v12, 2, v0
	buffer_store_dword v0, off, s[40:43], 0 offset:112 ; 4-byte Folded Spill
	s_waitcnt lgkmcnt(0)
	s_mul_i32 s26, s1, s10
	s_sub_i32 s1, s28, s12
	s_ashr_i32 s27, s26, 31
	s_cmp_ge_u32 s28, s12
	s_cselect_b32 s3, s16, s3
	s_cselect_b32 s1, s1, s28
	s_add_i32 s16, s3, 1
	s_cmp_ge_u32 s1, s12
	s_cselect_b32 s1, s16, s3
	s_add_i32 s3, s30, 31
	s_ashr_i32 s16, s3, 31
	s_lshr_b32 s16, s16, 27
	s_add_i32 s3, s3, s16
	s_ashr_i32 s16, s3, 5
	s_xor_b32 s3, s1, s15
	v_cmp_gt_i32_e64 s1, s16, v123
	s_sub_i32 s28, s3, s15
	s_and_saveexec_b32 s34, s1
	s_cbranch_execz .LBB98_16
; %bb.9:
	s_load_dwordx2 s[2:3], s[4:5], 0x10
	s_ashr_i32 s15, s14, 31
	s_sub_i32 s4, s28, s17
	s_lshl_b64 s[36:37], s[14:15], 1
	v_and_b32_e32 v3, 31, v122
	v_lshrrev_b32_e32 v2, 3, v122
	v_lshl_or_b32 v5, v123, 7, v12
	v_cmp_neq_f32_e64 vcc_lo, s33, 0
	v_lshlrev_b32_e32 v6, 5, v123
	v_lshlrev_b32_e32 v1, 4, v3
	v_subrev_nc_u32_e32 v3, s30, v3
	v_and_b32_e32 v2, 0x7c, v2
	v_mov_b32_e32 v24, 0xff7fffff
	v_add_nc_u32_e32 v5, 0x220, v5
	v_mov_b32_e32 v7, v123
	v_add_nc_u32_e32 v3, 1, v3
	buffer_store_dword v122, off, s[40:43], 0 offset:132 ; 4-byte Folded Spill
	buffer_store_dword v12, off, s[40:43], 0 offset:136 ; 4-byte Folded Spill
	;; [unrolled: 1-line block ×4, first 2 shown]
	s_waitcnt lgkmcnt(0)
	s_add_u32 s15, s2, s36
	s_addc_u32 s35, s3, s37
	s_abs_i32 s5, s18
	v_add_co_u32 v1, s15, s15, v1
	v_cvt_f32_u32_e32 v0, s5
	s_sub_i32 s2, 0, s5
	buffer_store_dword v1, off, s[40:43], 0 offset:120 ; 4-byte Folded Spill
	v_add_co_ci_u32_e64 v1, null, s35, 0, s15
	v_rcp_iflag_f32_e32 v0, v0
	s_mov_b32 s35, s13
	s_mov_b32 s15, 0
	buffer_store_dword v1, off, s[40:43], 0 offset:124 ; 4-byte Folded Spill
	v_mul_f32_e32 v0, 0x4f7ffffe, v0
	v_cvt_u32_f32_e32 v0, v0
	v_mul_lo_u32 v4, s2, v0
	s_lshl_b64 s[2:3], s[26:27], 2
	s_add_u32 s2, s22, s2
	s_addc_u32 s3, s23, s3
	v_add_co_u32 v125, s2, s2, v2
	v_add_co_ci_u32_e64 v126, null, s3, 0, s2
	v_mul_hi_u32 v3, v0, v4
	v_add_nc_u32_e32 v4, v0, v3
	buffer_store_dword v4, off, s[40:43], 0 offset:128 ; 4-byte Folded Spill
	s_branch .LBB98_11
.LBB98_10:                              ;   in Loop: Header=BB98_11 Depth=1
	s_or_b32 exec_lo, exec_lo, s36
	v_add_nc_u32_e32 v7, 4, v7
	v_add_co_u32 v125, s3, v125, 16
	v_add_co_ci_u32_e64 v126, null, 0, v126, s3
	v_cmp_le_i32_e64 s2, s16, v7
	v_add_nc_u32_e32 v6, 0x80, v6
	v_add_nc_u32_e32 v5, 0x200, v5
	s_or_b32 s15, s2, s15
	s_andn2_b32 exec_lo, exec_lo, s15
	s_cbranch_execz .LBB98_15
.LBB98_11:                              ; =>This Inner Loop Header: Depth=1
	v_mul_hi_u32 v0, v6, s21
	v_mul_lo_u32 v1, v0, s12
	v_add_nc_u32_e32 v2, 1, v0
	v_sub_nc_u32_e32 v1, v6, v1
	v_subrev_nc_u32_e32 v3, s12, v1
	v_cmp_le_u32_e64 s2, s12, v1
	v_cndmask_b32_e64 v0, v0, v2, s2
	v_cndmask_b32_e64 v1, v1, v3, s2
	v_add_nc_u32_e32 v2, 1, v0
	v_cmp_le_u32_e64 s2, s12, v1
	v_cndmask_b32_e64 v0, v0, v2, s2
	v_xor_b32_e32 v0, s19, v0
	v_subrev_nc_u32_e32 v0, s19, v0
	v_add_nc_u32_e32 v1, s31, v0
	v_cmp_ge_i32_e64 s3, s4, v0
	v_sub_nc_u32_e32 v2, 0, v1
	v_max_i32_e32 v2, v1, v2
	v_ashrrev_i32_e32 v1, 31, v1
	v_mul_hi_u32 v3, v2, v4
	v_mul_lo_u32 v3, v3, s5
	v_sub_nc_u32_e32 v2, v2, v3
	v_subrev_nc_u32_e32 v3, s5, v2
	v_cmp_le_u32_e64 s2, s5, v2
	v_cndmask_b32_e64 v2, v2, v3, s2
	v_subrev_nc_u32_e32 v3, s5, v2
	v_cmp_le_u32_e64 s2, s5, v2
	v_cndmask_b32_e64 v2, v2, v3, s2
	v_xor_b32_e32 v2, v2, v1
	v_sub_nc_u32_e32 v1, v2, v1
	v_cmp_ne_u32_e64 s2, 0, v1
	s_and_b32 s2, s2, s3
	s_and_saveexec_b32 s3, s2
	s_xor_b32 s2, exec_lo, s3
; %bb.12:                               ;   in Loop: Header=BB98_11 Depth=1
	v_mov_b32_e32 v0, 0xff7fffff
	ds_write_b32 v5, v0
; %bb.13:                               ;   in Loop: Header=BB98_11 Depth=1
	s_andn2_saveexec_b32 s36, s2
	s_cbranch_execz .LBB98_10
; %bb.14:                               ;   in Loop: Header=BB98_11 Depth=1
	global_load_dword v0, v[125:126], off
	s_clause 0x1
	buffer_load_dword v1, off, s[40:43], 0 offset:112
	buffer_load_dword v3, off, s[40:43], 0 offset:120
	buffer_store_dword v5, off, s[40:43], 0 offset:4 ; 4-byte Folded Spill
	v_mov_b32_e32 v21, 0
	s_waitcnt vmcnt(1)
	v_add_nc_u32_e32 v2, v1, v6
	v_mad_i64_i32 v[0:1], null, v0, s35, 0
	v_lshlrev_b64 v[0:1], 1, v[0:1]
	s_waitcnt vmcnt(0)
	v_add_co_u32 v4, s2, v3, v0
	buffer_load_dword v0, off, s[40:43], 0 offset:124 ; 4-byte Folded Reload
	s_waitcnt vmcnt(0)
	v_add_co_ci_u32_e64 v5, null, v0, v1, s2
	buffer_load_dword v0, off, s[40:43], 0 offset:116 ; 4-byte Folded Reload
	v_cmp_gt_i32_e64 s2, s30, v2
	s_waitcnt vmcnt(0)
	v_add_nc_u32_e32 v0, v0, v6
	v_cvt_f32_i32_e32 v0, v0
	v_mul_f32_e32 v11, s33, v0
	s_clause 0x3
	global_load_dwordx4 v[0:3], v[4:5], off
	global_load_dwordx4 v[121:124], v[4:5], off offset:512
	global_load_dwordx4 v[117:120], v[4:5], off offset:1024
	;; [unrolled: 1-line block ×3, first 2 shown]
	buffer_store_dword v24, off, s[40:43], 0 ; 4-byte Folded Spill
	buffer_store_dword v6, off, s[40:43], 0 offset:8 ; 4-byte Folded Spill
	v_add_co_u32 v6, s3, 0x800, v4
	v_mov_b32_e32 v24, v7
	v_add_co_ci_u32_e64 v7, null, 0, v5, s3
	v_add_co_u32 v8, s3, v4, 0x1000
	v_add_co_ci_u32_e64 v9, null, 0, v5, s3
	s_clause 0x3
	global_load_dwordx4 v[109:112], v[8:9], off offset:-2048
	global_load_dwordx4 v[105:108], v[6:7], off offset:512
	global_load_dwordx4 v[101:104], v[6:7], off offset:1024
	;; [unrolled: 1-line block ×3, first 2 shown]
	v_add_co_u32 v6, s3, 0x1000, v4
	v_add_co_ci_u32_e64 v7, null, 0, v5, s3
	s_clause 0x3
	global_load_dwordx4 v[93:96], v[8:9], off
	global_load_dwordx4 v[89:92], v[6:7], off offset:512
	global_load_dwordx4 v[85:88], v[6:7], off offset:1024
	;; [unrolled: 1-line block ×3, first 2 shown]
	v_add_co_u32 v6, s3, 0x1800, v4
	v_add_co_ci_u32_e64 v7, null, 0, v5, s3
	v_add_co_u32 v8, s3, v4, 0x2000
	v_add_co_ci_u32_e64 v9, null, 0, v5, s3
	s_clause 0x3
	global_load_dwordx4 v[77:80], v[8:9], off offset:-2048
	global_load_dwordx4 v[73:76], v[6:7], off offset:512
	global_load_dwordx4 v[69:72], v[6:7], off offset:1024
	;; [unrolled: 1-line block ×3, first 2 shown]
	v_add_co_u32 v6, s3, 0x2000, v4
	v_add_co_ci_u32_e64 v7, null, 0, v5, s3
	s_clause 0x3
	global_load_dwordx4 v[61:64], v[8:9], off
	global_load_dwordx4 v[57:60], v[6:7], off offset:512
	global_load_dwordx4 v[53:56], v[6:7], off offset:1024
	;; [unrolled: 1-line block ×3, first 2 shown]
	v_add_co_u32 v6, s3, 0x2800, v4
	v_add_co_ci_u32_e64 v7, null, 0, v5, s3
	v_add_co_u32 v8, s3, v4, 0x3000
	v_add_co_ci_u32_e64 v9, null, 0, v5, s3
	s_clause 0x3
	global_load_dwordx4 v[45:48], v[8:9], off offset:-2048
	global_load_dwordx4 v[41:44], v[6:7], off offset:512
	global_load_dwordx4 v[37:40], v[6:7], off offset:1024
	;; [unrolled: 1-line block ×3, first 2 shown]
	v_add_co_u32 v6, s3, 0x3000, v4
	v_add_co_ci_u32_e64 v7, null, 0, v5, s3
	s_clause 0x2
	global_load_dwordx4 v[29:32], v[8:9], off
	global_load_dwordx4 v[25:28], v[6:7], off offset:512
	global_load_dwordx4 v[12:15], v[6:7], off offset:1024
	v_add_co_u32 v4, s3, 0x3800, v4
	v_add_co_ci_u32_e64 v5, null, 0, v5, s3
	s_waitcnt vmcnt(0)
	buffer_store_dword v12, off, s[40:43], 0 offset:96 ; 4-byte Folded Spill
	buffer_store_dword v13, off, s[40:43], 0 offset:100 ; 4-byte Folded Spill
	;; [unrolled: 1-line block ×4, first 2 shown]
	global_load_dwordx4 v[6:9], v[6:7], off offset:1536
	s_waitcnt vmcnt(0)
	buffer_store_dword v6, off, s[40:43], 0 offset:80 ; 4-byte Folded Spill
	buffer_store_dword v7, off, s[40:43], 0 offset:84 ; 4-byte Folded Spill
	;; [unrolled: 1-line block ×4, first 2 shown]
	global_load_dwordx4 v[6:9], v[4:5], off
	s_waitcnt vmcnt(0)
	buffer_store_dword v6, off, s[40:43], 0 offset:64 ; 4-byte Folded Spill
	buffer_store_dword v7, off, s[40:43], 0 offset:68 ; 4-byte Folded Spill
	buffer_store_dword v8, off, s[40:43], 0 offset:72 ; 4-byte Folded Spill
	buffer_store_dword v9, off, s[40:43], 0 offset:76 ; 4-byte Folded Spill
	global_load_dwordx4 v[6:9], v[4:5], off offset:512
	s_waitcnt vmcnt(0)
	buffer_store_dword v6, off, s[40:43], 0 offset:48 ; 4-byte Folded Spill
	buffer_store_dword v7, off, s[40:43], 0 offset:52 ; 4-byte Folded Spill
	buffer_store_dword v8, off, s[40:43], 0 offset:56 ; 4-byte Folded Spill
	buffer_store_dword v9, off, s[40:43], 0 offset:60 ; 4-byte Folded Spill
	global_load_dwordx4 v[6:9], v[4:5], off offset:1024
	s_waitcnt vmcnt(0)
	buffer_store_dword v6, off, s[40:43], 0 offset:32 ; 4-byte Folded Spill
	buffer_store_dword v7, off, s[40:43], 0 offset:36 ; 4-byte Folded Spill
	buffer_store_dword v8, off, s[40:43], 0 offset:40 ; 4-byte Folded Spill
	buffer_store_dword v9, off, s[40:43], 0 offset:44 ; 4-byte Folded Spill
	global_load_dwordx4 v[4:7], v[4:5], off offset:1536
	s_waitcnt vmcnt(0)
	buffer_store_dword v4, off, s[40:43], 0 offset:16 ; 4-byte Folded Spill
	buffer_store_dword v5, off, s[40:43], 0 offset:20 ; 4-byte Folded Spill
	;; [unrolled: 1-line block ×4, first 2 shown]
	v_cndmask_b32_e32 v4, 0, v11, vcc_lo
	buffer_store_dword v4, off, s[40:43], 0 offset:12 ; 4-byte Folded Spill
	ds_read_b128 v[4:7], v21
	s_waitcnt lgkmcnt(0)
	v_lshrrev_b32_e32 v8, 16, v4
	v_and_b32_e32 v4, 0xffff, v4
	;;#ASMSTART
	v_cvt_f32_f16 v11, v4;
	;;#ASMEND
	v_lshrrev_b32_e32 v4, 16, v0
	v_and_b32_e32 v0, 0xffff, v0
	;;#ASMSTART
	v_cvt_f32_f16 v12, v8;
	;;#ASMEND
	;;#ASMSTART
	v_cvt_f32_f16 v10, v0;
	;;#ASMEND
	v_lshrrev_b32_e32 v0, 16, v5
	;;#ASMSTART
	v_cvt_f32_f16 v127, v4;
	;;#ASMEND
	v_and_b32_e32 v4, 0xffff, v5
	;;#ASMSTART
	v_cvt_f32_f16 v14, v4;
	;;#ASMEND
	;;#ASMSTART
	v_cvt_f32_f16 v15, v0;
	;;#ASMEND
	v_lshrrev_b32_e32 v0, 16, v1
	v_and_b32_e32 v1, 0xffff, v1
	;;#ASMSTART
	v_cvt_f32_f16 v16, v1;
	;;#ASMEND
	;;#ASMSTART
	v_cvt_f32_f16 v13, v0;
	;;#ASMEND
	v_lshrrev_b32_e32 v0, 16, v6
	;; [unrolled: 8-line block ×5, first 2 shown]
	v_and_b32_e32 v1, 0xffff, v3
	;;#ASMSTART
	v_cvt_f32_f16 v22, v1;
	;;#ASMEND
	;;#ASMSTART
	v_cvt_f32_f16 v23, v0;
	;;#ASMEND
	ds_read_b128 v[6:9], v21 offset:16
	v_lshrrev_b32_e32 v3, 16, v121
	v_and_b32_e32 v2, 0xffff, v121
	s_waitcnt lgkmcnt(0)
	v_and_b32_e32 v0, 0xffff, v6
	v_lshrrev_b32_e32 v1, 16, v6
	;;#ASMSTART
	v_cvt_f32_f16 v0, v0;
	;;#ASMEND
	;;#ASMSTART
	v_cvt_f32_f16 v1, v1;
	;;#ASMEND
	;; [unrolled: 3-line block ×4, first 2 shown]
	v_mul_f32_e32 v0, v0, v2
	v_mul_f32_e32 v1, v1, v3
	v_lshrrev_b32_e32 v3, 16, v7
	v_and_b32_e32 v2, 0xffff, v7
	;;#ASMSTART
	v_cvt_f32_f16 v2, v2;
	;;#ASMEND
	;;#ASMSTART
	v_cvt_f32_f16 v6, v3;
	;;#ASMEND
	v_lshrrev_b32_e32 v7, 16, v122
	v_and_b32_e32 v3, 0xffff, v122
	;;#ASMSTART
	v_cvt_f32_f16 v3, v3;
	;;#ASMEND
	;;#ASMSTART
	v_cvt_f32_f16 v7, v7;
	;;#ASMEND
	v_mul_f32_e32 v3, v2, v3
	v_mul_f32_e32 v2, v6, v7
	v_lshrrev_b32_e32 v7, 16, v8
	v_and_b32_e32 v6, 0xffff, v8
	v_and_b32_e32 v8, 0xffff, v123
	v_fmac_f32_e32 v0, v11, v10
	;;#ASMSTART
	v_cvt_f32_f16 v6, v6;
	;;#ASMEND
	;;#ASMSTART
	v_cvt_f32_f16 v7, v7;
	;;#ASMEND
	v_lshrrev_b32_e32 v10, 16, v123
	;;#ASMSTART
	v_cvt_f32_f16 v8, v8;
	;;#ASMEND
	;;#ASMSTART
	v_cvt_f32_f16 v10, v10;
	;;#ASMEND
	v_mul_f32_e32 v122, v6, v8
	v_mul_f32_e32 v121, v7, v10
	v_lshrrev_b32_e32 v7, 16, v9
	v_and_b32_e32 v6, 0xffff, v9
	v_lshrrev_b32_e32 v9, 16, v124
	v_and_b32_e32 v8, 0xffff, v124
	;;#ASMSTART
	v_cvt_f32_f16 v6, v6;
	;;#ASMEND
	;;#ASMSTART
	v_cvt_f32_f16 v7, v7;
	;;#ASMEND
	;; [unrolled: 3-line block ×4, first 2 shown]
	v_mul_f32_e32 v124, v6, v8
	v_mul_f32_e32 v123, v7, v9
	v_fmac_f32_e32 v1, v12, v127
	v_fmac_f32_e32 v3, v14, v16
	;; [unrolled: 1-line block ×5, first 2 shown]
	ds_read_b128 v[4:7], v21 offset:32
	v_fmac_f32_e32 v122, v18, v20
	v_fmac_f32_e32 v121, v19, v17
	v_lshrrev_b32_e32 v10, 16, v117
	v_and_b32_e32 v9, 0xffff, v117
	s_waitcnt lgkmcnt(0)
	v_lshrrev_b32_e32 v8, 16, v4
	v_and_b32_e32 v4, 0xffff, v4
	;;#ASMSTART
	v_cvt_f32_f16 v4, v4;
	;;#ASMEND
	;;#ASMSTART
	v_cvt_f32_f16 v8, v8;
	;;#ASMEND
	;; [unrolled: 3-line block ×4, first 2 shown]
	v_fmac_f32_e32 v0, v4, v9
	v_fmac_f32_e32 v1, v8, v10
	v_lshrrev_b32_e32 v8, 16, v5
	v_and_b32_e32 v4, 0xffff, v5
	;;#ASMSTART
	v_cvt_f32_f16 v4, v4;
	;;#ASMEND
	;;#ASMSTART
	v_cvt_f32_f16 v5, v8;
	;;#ASMEND
	v_lshrrev_b32_e32 v9, 16, v118
	v_and_b32_e32 v8, 0xffff, v118
	;;#ASMSTART
	v_cvt_f32_f16 v8, v8;
	;;#ASMEND
	;;#ASMSTART
	v_cvt_f32_f16 v9, v9;
	;;#ASMEND
	v_fmac_f32_e32 v3, v4, v8
	v_fmac_f32_e32 v2, v5, v9
	v_lshrrev_b32_e32 v5, 16, v6
	v_and_b32_e32 v4, 0xffff, v6
	v_and_b32_e32 v6, 0xffff, v119
	;;#ASMSTART
	v_cvt_f32_f16 v4, v4;
	;;#ASMEND
	;;#ASMSTART
	v_cvt_f32_f16 v5, v5;
	;;#ASMEND
	v_lshrrev_b32_e32 v8, 16, v119
	;;#ASMSTART
	v_cvt_f32_f16 v6, v6;
	;;#ASMEND
	;;#ASMSTART
	v_cvt_f32_f16 v8, v8;
	;;#ASMEND
	v_fmac_f32_e32 v122, v4, v6
	v_fmac_f32_e32 v121, v5, v8
	v_lshrrev_b32_e32 v5, 16, v7
	v_and_b32_e32 v4, 0xffff, v7
	v_lshrrev_b32_e32 v7, 16, v120
	v_and_b32_e32 v6, 0xffff, v120
	;;#ASMSTART
	v_cvt_f32_f16 v4, v4;
	;;#ASMEND
	;;#ASMSTART
	v_cvt_f32_f16 v5, v5;
	;;#ASMEND
	;; [unrolled: 3-line block ×4, first 2 shown]
	v_fmac_f32_e32 v124, v4, v6
	v_fmac_f32_e32 v123, v5, v7
	ds_read_b128 v[4:7], v21 offset:48
	v_lshrrev_b32_e32 v10, 16, v113
	v_and_b32_e32 v9, 0xffff, v113
	s_waitcnt lgkmcnt(0)
	v_lshrrev_b32_e32 v8, 16, v4
	v_and_b32_e32 v4, 0xffff, v4
	;;#ASMSTART
	v_cvt_f32_f16 v4, v4;
	;;#ASMEND
	;;#ASMSTART
	v_cvt_f32_f16 v8, v8;
	;;#ASMEND
	;; [unrolled: 3-line block ×4, first 2 shown]
	v_fmac_f32_e32 v0, v4, v9
	v_fmac_f32_e32 v1, v8, v10
	v_lshrrev_b32_e32 v8, 16, v5
	v_and_b32_e32 v4, 0xffff, v5
	;;#ASMSTART
	v_cvt_f32_f16 v4, v4;
	;;#ASMEND
	;;#ASMSTART
	v_cvt_f32_f16 v5, v8;
	;;#ASMEND
	v_lshrrev_b32_e32 v9, 16, v114
	v_and_b32_e32 v8, 0xffff, v114
	;;#ASMSTART
	v_cvt_f32_f16 v8, v8;
	;;#ASMEND
	;;#ASMSTART
	v_cvt_f32_f16 v9, v9;
	;;#ASMEND
	v_fmac_f32_e32 v3, v4, v8
	v_fmac_f32_e32 v2, v5, v9
	v_lshrrev_b32_e32 v5, 16, v6
	v_and_b32_e32 v4, 0xffff, v6
	v_and_b32_e32 v6, 0xffff, v115
	;;#ASMSTART
	v_cvt_f32_f16 v4, v4;
	;;#ASMEND
	;;#ASMSTART
	v_cvt_f32_f16 v5, v5;
	;;#ASMEND
	v_lshrrev_b32_e32 v8, 16, v115
	;;#ASMSTART
	v_cvt_f32_f16 v6, v6;
	;;#ASMEND
	;;#ASMSTART
	v_cvt_f32_f16 v8, v8;
	;;#ASMEND
	v_fmac_f32_e32 v122, v4, v6
	v_fmac_f32_e32 v121, v5, v8
	v_lshrrev_b32_e32 v5, 16, v7
	v_and_b32_e32 v4, 0xffff, v7
	v_lshrrev_b32_e32 v7, 16, v116
	v_and_b32_e32 v6, 0xffff, v116
	;;#ASMSTART
	v_cvt_f32_f16 v4, v4;
	;;#ASMEND
	;;#ASMSTART
	v_cvt_f32_f16 v5, v5;
	;;#ASMEND
	;;#ASMSTART
	v_cvt_f32_f16 v6, v6;
	;;#ASMEND
	;;#ASMSTART
	v_cvt_f32_f16 v7, v7;
	;;#ASMEND
	v_fmac_f32_e32 v124, v4, v6
	v_fmac_f32_e32 v123, v5, v7
	ds_read_b128 v[4:7], v21 offset:64
	v_lshrrev_b32_e32 v10, 16, v109
	v_and_b32_e32 v9, 0xffff, v109
	s_waitcnt lgkmcnt(0)
	v_lshrrev_b32_e32 v8, 16, v4
	v_and_b32_e32 v4, 0xffff, v4
	;;#ASMSTART
	v_cvt_f32_f16 v4, v4;
	;;#ASMEND
	;;#ASMSTART
	v_cvt_f32_f16 v8, v8;
	;;#ASMEND
	;; [unrolled: 3-line block ×4, first 2 shown]
	v_fmac_f32_e32 v0, v4, v9
	v_fmac_f32_e32 v1, v8, v10
	v_lshrrev_b32_e32 v8, 16, v5
	v_and_b32_e32 v4, 0xffff, v5
	;;#ASMSTART
	v_cvt_f32_f16 v4, v4;
	;;#ASMEND
	;;#ASMSTART
	v_cvt_f32_f16 v5, v8;
	;;#ASMEND
	v_lshrrev_b32_e32 v9, 16, v110
	v_and_b32_e32 v8, 0xffff, v110
	;;#ASMSTART
	v_cvt_f32_f16 v8, v8;
	;;#ASMEND
	;;#ASMSTART
	v_cvt_f32_f16 v9, v9;
	;;#ASMEND
	v_fmac_f32_e32 v3, v4, v8
	v_fmac_f32_e32 v2, v5, v9
	v_lshrrev_b32_e32 v5, 16, v6
	v_and_b32_e32 v4, 0xffff, v6
	v_and_b32_e32 v6, 0xffff, v111
	;;#ASMSTART
	v_cvt_f32_f16 v4, v4;
	;;#ASMEND
	;;#ASMSTART
	v_cvt_f32_f16 v5, v5;
	;;#ASMEND
	v_lshrrev_b32_e32 v8, 16, v111
	;;#ASMSTART
	v_cvt_f32_f16 v6, v6;
	;;#ASMEND
	;;#ASMSTART
	v_cvt_f32_f16 v8, v8;
	;;#ASMEND
	v_fmac_f32_e32 v122, v4, v6
	v_fmac_f32_e32 v121, v5, v8
	v_lshrrev_b32_e32 v5, 16, v7
	v_and_b32_e32 v4, 0xffff, v7
	v_lshrrev_b32_e32 v7, 16, v112
	v_and_b32_e32 v6, 0xffff, v112
	;;#ASMSTART
	v_cvt_f32_f16 v4, v4;
	;;#ASMEND
	;;#ASMSTART
	v_cvt_f32_f16 v5, v5;
	;;#ASMEND
	;; [unrolled: 3-line block ×4, first 2 shown]
	v_fmac_f32_e32 v124, v4, v6
	v_fmac_f32_e32 v123, v5, v7
	ds_read_b128 v[4:7], v21 offset:80
	v_lshrrev_b32_e32 v10, 16, v105
	v_and_b32_e32 v9, 0xffff, v105
	s_waitcnt lgkmcnt(0)
	v_lshrrev_b32_e32 v8, 16, v4
	v_and_b32_e32 v4, 0xffff, v4
	;;#ASMSTART
	v_cvt_f32_f16 v4, v4;
	;;#ASMEND
	;;#ASMSTART
	v_cvt_f32_f16 v8, v8;
	;;#ASMEND
	;;#ASMSTART
	v_cvt_f32_f16 v9, v9;
	;;#ASMEND
	;;#ASMSTART
	v_cvt_f32_f16 v10, v10;
	;;#ASMEND
	v_fmac_f32_e32 v0, v4, v9
	v_fmac_f32_e32 v1, v8, v10
	v_lshrrev_b32_e32 v8, 16, v5
	v_and_b32_e32 v4, 0xffff, v5
	;;#ASMSTART
	v_cvt_f32_f16 v4, v4;
	;;#ASMEND
	;;#ASMSTART
	v_cvt_f32_f16 v5, v8;
	;;#ASMEND
	v_lshrrev_b32_e32 v9, 16, v106
	v_and_b32_e32 v8, 0xffff, v106
	;;#ASMSTART
	v_cvt_f32_f16 v8, v8;
	;;#ASMEND
	;;#ASMSTART
	v_cvt_f32_f16 v9, v9;
	;;#ASMEND
	v_fmac_f32_e32 v3, v4, v8
	v_fmac_f32_e32 v2, v5, v9
	v_lshrrev_b32_e32 v5, 16, v6
	v_and_b32_e32 v4, 0xffff, v6
	v_and_b32_e32 v6, 0xffff, v107
	;;#ASMSTART
	v_cvt_f32_f16 v4, v4;
	;;#ASMEND
	;;#ASMSTART
	v_cvt_f32_f16 v5, v5;
	;;#ASMEND
	v_lshrrev_b32_e32 v8, 16, v107
	;;#ASMSTART
	v_cvt_f32_f16 v6, v6;
	;;#ASMEND
	;;#ASMSTART
	v_cvt_f32_f16 v8, v8;
	;;#ASMEND
	v_fmac_f32_e32 v122, v4, v6
	v_fmac_f32_e32 v121, v5, v8
	v_lshrrev_b32_e32 v5, 16, v7
	v_and_b32_e32 v4, 0xffff, v7
	v_lshrrev_b32_e32 v7, 16, v108
	v_and_b32_e32 v6, 0xffff, v108
	;;#ASMSTART
	v_cvt_f32_f16 v4, v4;
	;;#ASMEND
	;;#ASMSTART
	v_cvt_f32_f16 v5, v5;
	;;#ASMEND
	;; [unrolled: 3-line block ×4, first 2 shown]
	v_fmac_f32_e32 v124, v4, v6
	v_fmac_f32_e32 v123, v5, v7
	ds_read_b128 v[4:7], v21 offset:96
	v_lshrrev_b32_e32 v10, 16, v101
	v_and_b32_e32 v9, 0xffff, v101
	s_waitcnt lgkmcnt(0)
	v_lshrrev_b32_e32 v8, 16, v4
	v_and_b32_e32 v4, 0xffff, v4
	;;#ASMSTART
	v_cvt_f32_f16 v4, v4;
	;;#ASMEND
	;;#ASMSTART
	v_cvt_f32_f16 v8, v8;
	;;#ASMEND
	;; [unrolled: 3-line block ×4, first 2 shown]
	v_fmac_f32_e32 v0, v4, v9
	v_fmac_f32_e32 v1, v8, v10
	v_lshrrev_b32_e32 v8, 16, v5
	v_and_b32_e32 v4, 0xffff, v5
	;;#ASMSTART
	v_cvt_f32_f16 v4, v4;
	;;#ASMEND
	;;#ASMSTART
	v_cvt_f32_f16 v5, v8;
	;;#ASMEND
	v_lshrrev_b32_e32 v9, 16, v102
	v_and_b32_e32 v8, 0xffff, v102
	;;#ASMSTART
	v_cvt_f32_f16 v8, v8;
	;;#ASMEND
	;;#ASMSTART
	v_cvt_f32_f16 v9, v9;
	;;#ASMEND
	v_fmac_f32_e32 v3, v4, v8
	v_fmac_f32_e32 v2, v5, v9
	v_lshrrev_b32_e32 v5, 16, v6
	v_and_b32_e32 v4, 0xffff, v6
	v_and_b32_e32 v6, 0xffff, v103
	;;#ASMSTART
	v_cvt_f32_f16 v4, v4;
	;;#ASMEND
	;;#ASMSTART
	v_cvt_f32_f16 v5, v5;
	;;#ASMEND
	v_lshrrev_b32_e32 v8, 16, v103
	;;#ASMSTART
	v_cvt_f32_f16 v6, v6;
	;;#ASMEND
	;;#ASMSTART
	v_cvt_f32_f16 v8, v8;
	;;#ASMEND
	v_fmac_f32_e32 v122, v4, v6
	v_fmac_f32_e32 v121, v5, v8
	v_lshrrev_b32_e32 v5, 16, v7
	v_and_b32_e32 v4, 0xffff, v7
	v_lshrrev_b32_e32 v7, 16, v104
	v_and_b32_e32 v6, 0xffff, v104
	;;#ASMSTART
	v_cvt_f32_f16 v4, v4;
	;;#ASMEND
	;;#ASMSTART
	v_cvt_f32_f16 v5, v5;
	;;#ASMEND
	;; [unrolled: 3-line block ×4, first 2 shown]
	v_fmac_f32_e32 v124, v4, v6
	v_fmac_f32_e32 v123, v5, v7
	ds_read_b128 v[4:7], v21 offset:112
	v_lshrrev_b32_e32 v10, 16, v97
	v_and_b32_e32 v9, 0xffff, v97
	s_waitcnt lgkmcnt(0)
	v_lshrrev_b32_e32 v8, 16, v4
	v_and_b32_e32 v4, 0xffff, v4
	;;#ASMSTART
	v_cvt_f32_f16 v4, v4;
	;;#ASMEND
	;;#ASMSTART
	v_cvt_f32_f16 v8, v8;
	;;#ASMEND
	;; [unrolled: 3-line block ×4, first 2 shown]
	v_fmac_f32_e32 v0, v4, v9
	v_fmac_f32_e32 v1, v8, v10
	v_lshrrev_b32_e32 v8, 16, v5
	v_and_b32_e32 v4, 0xffff, v5
	;;#ASMSTART
	v_cvt_f32_f16 v4, v4;
	;;#ASMEND
	;;#ASMSTART
	v_cvt_f32_f16 v5, v8;
	;;#ASMEND
	v_lshrrev_b32_e32 v9, 16, v98
	v_and_b32_e32 v8, 0xffff, v98
	;;#ASMSTART
	v_cvt_f32_f16 v8, v8;
	;;#ASMEND
	;;#ASMSTART
	v_cvt_f32_f16 v9, v9;
	;;#ASMEND
	v_fmac_f32_e32 v3, v4, v8
	v_fmac_f32_e32 v2, v5, v9
	v_lshrrev_b32_e32 v5, 16, v6
	v_and_b32_e32 v4, 0xffff, v6
	v_and_b32_e32 v6, 0xffff, v99
	;;#ASMSTART
	v_cvt_f32_f16 v4, v4;
	;;#ASMEND
	;;#ASMSTART
	v_cvt_f32_f16 v5, v5;
	;;#ASMEND
	v_lshrrev_b32_e32 v8, 16, v99
	;;#ASMSTART
	v_cvt_f32_f16 v6, v6;
	;;#ASMEND
	;;#ASMSTART
	v_cvt_f32_f16 v8, v8;
	;;#ASMEND
	v_fmac_f32_e32 v122, v4, v6
	v_fmac_f32_e32 v121, v5, v8
	v_lshrrev_b32_e32 v5, 16, v7
	v_and_b32_e32 v4, 0xffff, v7
	v_lshrrev_b32_e32 v7, 16, v100
	v_and_b32_e32 v6, 0xffff, v100
	;;#ASMSTART
	v_cvt_f32_f16 v4, v4;
	;;#ASMEND
	;;#ASMSTART
	v_cvt_f32_f16 v5, v5;
	;;#ASMEND
	;; [unrolled: 3-line block ×4, first 2 shown]
	v_fmac_f32_e32 v124, v4, v6
	v_fmac_f32_e32 v123, v5, v7
	ds_read_b128 v[4:7], v21 offset:128
	v_lshrrev_b32_e32 v10, 16, v93
	v_and_b32_e32 v9, 0xffff, v93
	s_waitcnt lgkmcnt(0)
	v_lshrrev_b32_e32 v8, 16, v4
	v_and_b32_e32 v4, 0xffff, v4
	;;#ASMSTART
	v_cvt_f32_f16 v4, v4;
	;;#ASMEND
	;;#ASMSTART
	v_cvt_f32_f16 v8, v8;
	;;#ASMEND
	;; [unrolled: 3-line block ×4, first 2 shown]
	v_fmac_f32_e32 v0, v4, v9
	v_fmac_f32_e32 v1, v8, v10
	v_lshrrev_b32_e32 v8, 16, v5
	v_and_b32_e32 v4, 0xffff, v5
	;;#ASMSTART
	v_cvt_f32_f16 v4, v4;
	;;#ASMEND
	;;#ASMSTART
	v_cvt_f32_f16 v5, v8;
	;;#ASMEND
	v_lshrrev_b32_e32 v9, 16, v94
	v_and_b32_e32 v8, 0xffff, v94
	;;#ASMSTART
	v_cvt_f32_f16 v8, v8;
	;;#ASMEND
	;;#ASMSTART
	v_cvt_f32_f16 v9, v9;
	;;#ASMEND
	v_fmac_f32_e32 v3, v4, v8
	v_fmac_f32_e32 v2, v5, v9
	v_lshrrev_b32_e32 v5, 16, v6
	v_and_b32_e32 v4, 0xffff, v6
	v_and_b32_e32 v6, 0xffff, v95
	;;#ASMSTART
	v_cvt_f32_f16 v4, v4;
	;;#ASMEND
	;;#ASMSTART
	v_cvt_f32_f16 v5, v5;
	;;#ASMEND
	v_lshrrev_b32_e32 v8, 16, v95
	;;#ASMSTART
	v_cvt_f32_f16 v6, v6;
	;;#ASMEND
	;;#ASMSTART
	v_cvt_f32_f16 v8, v8;
	;;#ASMEND
	v_fmac_f32_e32 v122, v4, v6
	v_fmac_f32_e32 v121, v5, v8
	v_lshrrev_b32_e32 v5, 16, v7
	v_and_b32_e32 v4, 0xffff, v7
	v_lshrrev_b32_e32 v7, 16, v96
	v_and_b32_e32 v6, 0xffff, v96
	;;#ASMSTART
	v_cvt_f32_f16 v4, v4;
	;;#ASMEND
	;;#ASMSTART
	v_cvt_f32_f16 v5, v5;
	;;#ASMEND
	;; [unrolled: 3-line block ×4, first 2 shown]
	v_fmac_f32_e32 v124, v4, v6
	v_fmac_f32_e32 v123, v5, v7
	ds_read_b128 v[4:7], v21 offset:144
	v_lshrrev_b32_e32 v10, 16, v89
	v_and_b32_e32 v9, 0xffff, v89
	s_waitcnt lgkmcnt(0)
	v_lshrrev_b32_e32 v8, 16, v4
	v_and_b32_e32 v4, 0xffff, v4
	;;#ASMSTART
	v_cvt_f32_f16 v4, v4;
	;;#ASMEND
	;;#ASMSTART
	v_cvt_f32_f16 v8, v8;
	;;#ASMEND
	;; [unrolled: 3-line block ×4, first 2 shown]
	v_fmac_f32_e32 v0, v4, v9
	v_fmac_f32_e32 v1, v8, v10
	v_lshrrev_b32_e32 v8, 16, v5
	v_and_b32_e32 v4, 0xffff, v5
	;;#ASMSTART
	v_cvt_f32_f16 v4, v4;
	;;#ASMEND
	;;#ASMSTART
	v_cvt_f32_f16 v5, v8;
	;;#ASMEND
	v_lshrrev_b32_e32 v9, 16, v90
	v_and_b32_e32 v8, 0xffff, v90
	;;#ASMSTART
	v_cvt_f32_f16 v8, v8;
	;;#ASMEND
	;;#ASMSTART
	v_cvt_f32_f16 v9, v9;
	;;#ASMEND
	v_fmac_f32_e32 v3, v4, v8
	v_fmac_f32_e32 v2, v5, v9
	v_lshrrev_b32_e32 v5, 16, v6
	v_and_b32_e32 v4, 0xffff, v6
	v_and_b32_e32 v6, 0xffff, v91
	;;#ASMSTART
	v_cvt_f32_f16 v4, v4;
	;;#ASMEND
	;;#ASMSTART
	v_cvt_f32_f16 v5, v5;
	;;#ASMEND
	v_lshrrev_b32_e32 v8, 16, v91
	;;#ASMSTART
	v_cvt_f32_f16 v6, v6;
	;;#ASMEND
	;;#ASMSTART
	v_cvt_f32_f16 v8, v8;
	;;#ASMEND
	v_fmac_f32_e32 v122, v4, v6
	v_fmac_f32_e32 v121, v5, v8
	v_lshrrev_b32_e32 v5, 16, v7
	v_and_b32_e32 v4, 0xffff, v7
	v_lshrrev_b32_e32 v7, 16, v92
	v_and_b32_e32 v6, 0xffff, v92
	;;#ASMSTART
	v_cvt_f32_f16 v4, v4;
	;;#ASMEND
	;;#ASMSTART
	v_cvt_f32_f16 v5, v5;
	;;#ASMEND
	;;#ASMSTART
	v_cvt_f32_f16 v6, v6;
	;;#ASMEND
	;;#ASMSTART
	v_cvt_f32_f16 v7, v7;
	;;#ASMEND
	v_fmac_f32_e32 v124, v4, v6
	v_fmac_f32_e32 v123, v5, v7
	ds_read_b128 v[4:7], v21 offset:160
	v_lshrrev_b32_e32 v10, 16, v85
	v_and_b32_e32 v9, 0xffff, v85
	s_waitcnt lgkmcnt(0)
	v_lshrrev_b32_e32 v8, 16, v4
	v_and_b32_e32 v4, 0xffff, v4
	;;#ASMSTART
	v_cvt_f32_f16 v4, v4;
	;;#ASMEND
	;;#ASMSTART
	v_cvt_f32_f16 v8, v8;
	;;#ASMEND
	;; [unrolled: 3-line block ×4, first 2 shown]
	v_fmac_f32_e32 v0, v4, v9
	v_fmac_f32_e32 v1, v8, v10
	v_lshrrev_b32_e32 v8, 16, v5
	v_and_b32_e32 v4, 0xffff, v5
	;;#ASMSTART
	v_cvt_f32_f16 v4, v4;
	;;#ASMEND
	;;#ASMSTART
	v_cvt_f32_f16 v5, v8;
	;;#ASMEND
	v_lshrrev_b32_e32 v9, 16, v86
	v_and_b32_e32 v8, 0xffff, v86
	;;#ASMSTART
	v_cvt_f32_f16 v8, v8;
	;;#ASMEND
	;;#ASMSTART
	v_cvt_f32_f16 v9, v9;
	;;#ASMEND
	v_fmac_f32_e32 v3, v4, v8
	v_fmac_f32_e32 v2, v5, v9
	v_lshrrev_b32_e32 v5, 16, v6
	v_and_b32_e32 v4, 0xffff, v6
	v_and_b32_e32 v6, 0xffff, v87
	;;#ASMSTART
	v_cvt_f32_f16 v4, v4;
	;;#ASMEND
	;;#ASMSTART
	v_cvt_f32_f16 v5, v5;
	;;#ASMEND
	v_lshrrev_b32_e32 v8, 16, v87
	;;#ASMSTART
	v_cvt_f32_f16 v6, v6;
	;;#ASMEND
	;;#ASMSTART
	v_cvt_f32_f16 v8, v8;
	;;#ASMEND
	v_fmac_f32_e32 v122, v4, v6
	v_fmac_f32_e32 v121, v5, v8
	v_lshrrev_b32_e32 v5, 16, v7
	v_and_b32_e32 v4, 0xffff, v7
	v_lshrrev_b32_e32 v7, 16, v88
	v_and_b32_e32 v6, 0xffff, v88
	;;#ASMSTART
	v_cvt_f32_f16 v4, v4;
	;;#ASMEND
	;;#ASMSTART
	v_cvt_f32_f16 v5, v5;
	;;#ASMEND
	;;#ASMSTART
	v_cvt_f32_f16 v6, v6;
	;;#ASMEND
	;;#ASMSTART
	v_cvt_f32_f16 v7, v7;
	;;#ASMEND
	v_fmac_f32_e32 v124, v4, v6
	v_fmac_f32_e32 v123, v5, v7
	ds_read_b128 v[4:7], v21 offset:176
	v_lshrrev_b32_e32 v10, 16, v81
	v_and_b32_e32 v9, 0xffff, v81
	s_waitcnt lgkmcnt(0)
	v_lshrrev_b32_e32 v8, 16, v4
	v_and_b32_e32 v4, 0xffff, v4
	;;#ASMSTART
	v_cvt_f32_f16 v4, v4;
	;;#ASMEND
	;;#ASMSTART
	v_cvt_f32_f16 v8, v8;
	;;#ASMEND
	;;#ASMSTART
	v_cvt_f32_f16 v9, v9;
	;;#ASMEND
	;;#ASMSTART
	v_cvt_f32_f16 v10, v10;
	;;#ASMEND
	v_fmac_f32_e32 v0, v4, v9
	v_fmac_f32_e32 v1, v8, v10
	v_lshrrev_b32_e32 v8, 16, v5
	v_and_b32_e32 v4, 0xffff, v5
	;;#ASMSTART
	v_cvt_f32_f16 v4, v4;
	;;#ASMEND
	;;#ASMSTART
	v_cvt_f32_f16 v5, v8;
	;;#ASMEND
	v_lshrrev_b32_e32 v9, 16, v82
	v_and_b32_e32 v8, 0xffff, v82
	;;#ASMSTART
	v_cvt_f32_f16 v8, v8;
	;;#ASMEND
	;;#ASMSTART
	v_cvt_f32_f16 v9, v9;
	;;#ASMEND
	v_fmac_f32_e32 v3, v4, v8
	v_fmac_f32_e32 v2, v5, v9
	v_lshrrev_b32_e32 v5, 16, v6
	v_and_b32_e32 v4, 0xffff, v6
	v_and_b32_e32 v6, 0xffff, v83
	;;#ASMSTART
	v_cvt_f32_f16 v4, v4;
	;;#ASMEND
	;;#ASMSTART
	v_cvt_f32_f16 v5, v5;
	;;#ASMEND
	v_lshrrev_b32_e32 v8, 16, v83
	;;#ASMSTART
	v_cvt_f32_f16 v6, v6;
	;;#ASMEND
	;;#ASMSTART
	v_cvt_f32_f16 v8, v8;
	;;#ASMEND
	v_fmac_f32_e32 v122, v4, v6
	v_fmac_f32_e32 v121, v5, v8
	v_lshrrev_b32_e32 v5, 16, v7
	v_and_b32_e32 v4, 0xffff, v7
	v_lshrrev_b32_e32 v7, 16, v84
	v_and_b32_e32 v6, 0xffff, v84
	;;#ASMSTART
	v_cvt_f32_f16 v4, v4;
	;;#ASMEND
	;;#ASMSTART
	v_cvt_f32_f16 v5, v5;
	;;#ASMEND
	;;#ASMSTART
	v_cvt_f32_f16 v6, v6;
	;;#ASMEND
	;;#ASMSTART
	v_cvt_f32_f16 v7, v7;
	;;#ASMEND
	v_fmac_f32_e32 v124, v4, v6
	v_fmac_f32_e32 v123, v5, v7
	ds_read_b128 v[4:7], v21 offset:192
	v_lshrrev_b32_e32 v10, 16, v77
	v_and_b32_e32 v9, 0xffff, v77
	s_waitcnt lgkmcnt(0)
	v_lshrrev_b32_e32 v8, 16, v4
	v_and_b32_e32 v4, 0xffff, v4
	;;#ASMSTART
	v_cvt_f32_f16 v4, v4;
	;;#ASMEND
	;;#ASMSTART
	v_cvt_f32_f16 v8, v8;
	;;#ASMEND
	;; [unrolled: 3-line block ×4, first 2 shown]
	v_fmac_f32_e32 v0, v4, v9
	v_fmac_f32_e32 v1, v8, v10
	v_lshrrev_b32_e32 v8, 16, v5
	v_and_b32_e32 v4, 0xffff, v5
	;;#ASMSTART
	v_cvt_f32_f16 v4, v4;
	;;#ASMEND
	;;#ASMSTART
	v_cvt_f32_f16 v5, v8;
	;;#ASMEND
	v_lshrrev_b32_e32 v9, 16, v78
	v_and_b32_e32 v8, 0xffff, v78
	;;#ASMSTART
	v_cvt_f32_f16 v8, v8;
	;;#ASMEND
	;;#ASMSTART
	v_cvt_f32_f16 v9, v9;
	;;#ASMEND
	v_fmac_f32_e32 v3, v4, v8
	v_fmac_f32_e32 v2, v5, v9
	v_lshrrev_b32_e32 v5, 16, v6
	v_and_b32_e32 v4, 0xffff, v6
	v_and_b32_e32 v6, 0xffff, v79
	;;#ASMSTART
	v_cvt_f32_f16 v4, v4;
	;;#ASMEND
	;;#ASMSTART
	v_cvt_f32_f16 v5, v5;
	;;#ASMEND
	v_lshrrev_b32_e32 v8, 16, v79
	;;#ASMSTART
	v_cvt_f32_f16 v6, v6;
	;;#ASMEND
	;;#ASMSTART
	v_cvt_f32_f16 v8, v8;
	;;#ASMEND
	v_fmac_f32_e32 v122, v4, v6
	v_fmac_f32_e32 v121, v5, v8
	v_lshrrev_b32_e32 v5, 16, v7
	v_and_b32_e32 v4, 0xffff, v7
	v_lshrrev_b32_e32 v7, 16, v80
	v_and_b32_e32 v6, 0xffff, v80
	;;#ASMSTART
	v_cvt_f32_f16 v4, v4;
	;;#ASMEND
	;;#ASMSTART
	v_cvt_f32_f16 v5, v5;
	;;#ASMEND
	;; [unrolled: 3-line block ×4, first 2 shown]
	v_fmac_f32_e32 v124, v4, v6
	v_fmac_f32_e32 v123, v5, v7
	ds_read_b128 v[4:7], v21 offset:208
	v_lshrrev_b32_e32 v10, 16, v73
	v_and_b32_e32 v9, 0xffff, v73
	s_waitcnt lgkmcnt(0)
	v_lshrrev_b32_e32 v8, 16, v4
	v_and_b32_e32 v4, 0xffff, v4
	;;#ASMSTART
	v_cvt_f32_f16 v4, v4;
	;;#ASMEND
	;;#ASMSTART
	v_cvt_f32_f16 v8, v8;
	;;#ASMEND
	;;#ASMSTART
	v_cvt_f32_f16 v9, v9;
	;;#ASMEND
	;;#ASMSTART
	v_cvt_f32_f16 v10, v10;
	;;#ASMEND
	v_fmac_f32_e32 v0, v4, v9
	v_fmac_f32_e32 v1, v8, v10
	v_lshrrev_b32_e32 v8, 16, v5
	v_and_b32_e32 v4, 0xffff, v5
	;;#ASMSTART
	v_cvt_f32_f16 v4, v4;
	;;#ASMEND
	;;#ASMSTART
	v_cvt_f32_f16 v5, v8;
	;;#ASMEND
	v_lshrrev_b32_e32 v9, 16, v74
	v_and_b32_e32 v8, 0xffff, v74
	;;#ASMSTART
	v_cvt_f32_f16 v8, v8;
	;;#ASMEND
	;;#ASMSTART
	v_cvt_f32_f16 v9, v9;
	;;#ASMEND
	v_fmac_f32_e32 v3, v4, v8
	v_fmac_f32_e32 v2, v5, v9
	v_lshrrev_b32_e32 v5, 16, v6
	v_and_b32_e32 v4, 0xffff, v6
	v_and_b32_e32 v6, 0xffff, v75
	;;#ASMSTART
	v_cvt_f32_f16 v4, v4;
	;;#ASMEND
	;;#ASMSTART
	v_cvt_f32_f16 v5, v5;
	;;#ASMEND
	v_lshrrev_b32_e32 v8, 16, v75
	;;#ASMSTART
	v_cvt_f32_f16 v6, v6;
	;;#ASMEND
	;;#ASMSTART
	v_cvt_f32_f16 v8, v8;
	;;#ASMEND
	v_fmac_f32_e32 v122, v4, v6
	v_fmac_f32_e32 v121, v5, v8
	v_lshrrev_b32_e32 v5, 16, v7
	v_and_b32_e32 v4, 0xffff, v7
	v_lshrrev_b32_e32 v7, 16, v76
	v_and_b32_e32 v6, 0xffff, v76
	;;#ASMSTART
	v_cvt_f32_f16 v4, v4;
	;;#ASMEND
	;;#ASMSTART
	v_cvt_f32_f16 v5, v5;
	;;#ASMEND
	;; [unrolled: 3-line block ×4, first 2 shown]
	v_fmac_f32_e32 v124, v4, v6
	v_fmac_f32_e32 v123, v5, v7
	ds_read_b128 v[4:7], v21 offset:224
	v_lshrrev_b32_e32 v10, 16, v69
	v_and_b32_e32 v9, 0xffff, v69
	s_waitcnt lgkmcnt(0)
	v_lshrrev_b32_e32 v8, 16, v4
	v_and_b32_e32 v4, 0xffff, v4
	;;#ASMSTART
	v_cvt_f32_f16 v4, v4;
	;;#ASMEND
	;;#ASMSTART
	v_cvt_f32_f16 v8, v8;
	;;#ASMEND
	;; [unrolled: 3-line block ×4, first 2 shown]
	v_fmac_f32_e32 v0, v4, v9
	v_fmac_f32_e32 v1, v8, v10
	v_lshrrev_b32_e32 v8, 16, v5
	v_and_b32_e32 v4, 0xffff, v5
	;;#ASMSTART
	v_cvt_f32_f16 v4, v4;
	;;#ASMEND
	;;#ASMSTART
	v_cvt_f32_f16 v5, v8;
	;;#ASMEND
	v_lshrrev_b32_e32 v9, 16, v70
	v_and_b32_e32 v8, 0xffff, v70
	;;#ASMSTART
	v_cvt_f32_f16 v8, v8;
	;;#ASMEND
	;;#ASMSTART
	v_cvt_f32_f16 v9, v9;
	;;#ASMEND
	v_fmac_f32_e32 v3, v4, v8
	v_fmac_f32_e32 v2, v5, v9
	v_lshrrev_b32_e32 v5, 16, v6
	v_and_b32_e32 v4, 0xffff, v6
	v_and_b32_e32 v6, 0xffff, v71
	;;#ASMSTART
	v_cvt_f32_f16 v4, v4;
	;;#ASMEND
	;;#ASMSTART
	v_cvt_f32_f16 v5, v5;
	;;#ASMEND
	v_lshrrev_b32_e32 v8, 16, v71
	;;#ASMSTART
	v_cvt_f32_f16 v6, v6;
	;;#ASMEND
	;;#ASMSTART
	v_cvt_f32_f16 v8, v8;
	;;#ASMEND
	v_fmac_f32_e32 v122, v4, v6
	v_fmac_f32_e32 v121, v5, v8
	v_lshrrev_b32_e32 v5, 16, v7
	v_and_b32_e32 v4, 0xffff, v7
	v_lshrrev_b32_e32 v7, 16, v72
	v_and_b32_e32 v6, 0xffff, v72
	;;#ASMSTART
	v_cvt_f32_f16 v4, v4;
	;;#ASMEND
	;;#ASMSTART
	v_cvt_f32_f16 v5, v5;
	;;#ASMEND
	;; [unrolled: 3-line block ×4, first 2 shown]
	v_fmac_f32_e32 v124, v4, v6
	v_fmac_f32_e32 v123, v5, v7
	ds_read_b128 v[4:7], v21 offset:240
	v_lshrrev_b32_e32 v10, 16, v65
	v_and_b32_e32 v9, 0xffff, v65
	s_waitcnt lgkmcnt(0)
	v_lshrrev_b32_e32 v8, 16, v4
	v_and_b32_e32 v4, 0xffff, v4
	;;#ASMSTART
	v_cvt_f32_f16 v4, v4;
	;;#ASMEND
	;;#ASMSTART
	v_cvt_f32_f16 v8, v8;
	;;#ASMEND
	;;#ASMSTART
	v_cvt_f32_f16 v9, v9;
	;;#ASMEND
	;;#ASMSTART
	v_cvt_f32_f16 v10, v10;
	;;#ASMEND
	v_fmac_f32_e32 v0, v4, v9
	v_fmac_f32_e32 v1, v8, v10
	v_lshrrev_b32_e32 v8, 16, v5
	v_and_b32_e32 v4, 0xffff, v5
	;;#ASMSTART
	v_cvt_f32_f16 v4, v4;
	;;#ASMEND
	;;#ASMSTART
	v_cvt_f32_f16 v5, v8;
	;;#ASMEND
	v_lshrrev_b32_e32 v9, 16, v66
	v_and_b32_e32 v8, 0xffff, v66
	;;#ASMSTART
	v_cvt_f32_f16 v8, v8;
	;;#ASMEND
	;;#ASMSTART
	v_cvt_f32_f16 v9, v9;
	;;#ASMEND
	v_fmac_f32_e32 v3, v4, v8
	v_fmac_f32_e32 v2, v5, v9
	v_lshrrev_b32_e32 v5, 16, v6
	v_and_b32_e32 v4, 0xffff, v6
	v_and_b32_e32 v6, 0xffff, v67
	;;#ASMSTART
	v_cvt_f32_f16 v4, v4;
	;;#ASMEND
	;;#ASMSTART
	v_cvt_f32_f16 v5, v5;
	;;#ASMEND
	v_lshrrev_b32_e32 v8, 16, v67
	;;#ASMSTART
	v_cvt_f32_f16 v6, v6;
	;;#ASMEND
	;;#ASMSTART
	v_cvt_f32_f16 v8, v8;
	;;#ASMEND
	v_fmac_f32_e32 v122, v4, v6
	v_fmac_f32_e32 v121, v5, v8
	v_lshrrev_b32_e32 v5, 16, v7
	v_and_b32_e32 v4, 0xffff, v7
	v_lshrrev_b32_e32 v7, 16, v68
	v_and_b32_e32 v6, 0xffff, v68
	;;#ASMSTART
	v_cvt_f32_f16 v4, v4;
	;;#ASMEND
	;;#ASMSTART
	v_cvt_f32_f16 v5, v5;
	;;#ASMEND
	;; [unrolled: 3-line block ×4, first 2 shown]
	v_fmac_f32_e32 v124, v4, v6
	v_fmac_f32_e32 v123, v5, v7
	ds_read_b128 v[4:7], v21 offset:256
	v_lshrrev_b32_e32 v10, 16, v61
	v_and_b32_e32 v9, 0xffff, v61
	s_waitcnt lgkmcnt(0)
	v_lshrrev_b32_e32 v8, 16, v4
	v_and_b32_e32 v4, 0xffff, v4
	;;#ASMSTART
	v_cvt_f32_f16 v4, v4;
	;;#ASMEND
	;;#ASMSTART
	v_cvt_f32_f16 v8, v8;
	;;#ASMEND
	;; [unrolled: 3-line block ×4, first 2 shown]
	v_fmac_f32_e32 v0, v4, v9
	v_fmac_f32_e32 v1, v8, v10
	v_lshrrev_b32_e32 v8, 16, v5
	v_and_b32_e32 v4, 0xffff, v5
	;;#ASMSTART
	v_cvt_f32_f16 v4, v4;
	;;#ASMEND
	;;#ASMSTART
	v_cvt_f32_f16 v5, v8;
	;;#ASMEND
	v_lshrrev_b32_e32 v9, 16, v62
	v_and_b32_e32 v8, 0xffff, v62
	;;#ASMSTART
	v_cvt_f32_f16 v8, v8;
	;;#ASMEND
	;;#ASMSTART
	v_cvt_f32_f16 v9, v9;
	;;#ASMEND
	v_fmac_f32_e32 v3, v4, v8
	v_fmac_f32_e32 v2, v5, v9
	v_lshrrev_b32_e32 v5, 16, v6
	v_and_b32_e32 v4, 0xffff, v6
	v_and_b32_e32 v6, 0xffff, v63
	;;#ASMSTART
	v_cvt_f32_f16 v4, v4;
	;;#ASMEND
	;;#ASMSTART
	v_cvt_f32_f16 v5, v5;
	;;#ASMEND
	v_lshrrev_b32_e32 v8, 16, v63
	;;#ASMSTART
	v_cvt_f32_f16 v6, v6;
	;;#ASMEND
	;;#ASMSTART
	v_cvt_f32_f16 v8, v8;
	;;#ASMEND
	v_fmac_f32_e32 v122, v4, v6
	v_fmac_f32_e32 v121, v5, v8
	v_lshrrev_b32_e32 v5, 16, v7
	v_and_b32_e32 v4, 0xffff, v7
	v_lshrrev_b32_e32 v7, 16, v64
	v_and_b32_e32 v6, 0xffff, v64
	;;#ASMSTART
	v_cvt_f32_f16 v4, v4;
	;;#ASMEND
	;;#ASMSTART
	v_cvt_f32_f16 v5, v5;
	;;#ASMEND
	;;#ASMSTART
	v_cvt_f32_f16 v6, v6;
	;;#ASMEND
	;;#ASMSTART
	v_cvt_f32_f16 v7, v7;
	;;#ASMEND
	v_fmac_f32_e32 v124, v4, v6
	v_fmac_f32_e32 v123, v5, v7
	ds_read_b128 v[4:7], v21 offset:272
	v_lshrrev_b32_e32 v10, 16, v57
	v_and_b32_e32 v9, 0xffff, v57
	s_waitcnt lgkmcnt(0)
	v_lshrrev_b32_e32 v8, 16, v4
	v_and_b32_e32 v4, 0xffff, v4
	;;#ASMSTART
	v_cvt_f32_f16 v4, v4;
	;;#ASMEND
	;;#ASMSTART
	v_cvt_f32_f16 v8, v8;
	;;#ASMEND
	;; [unrolled: 3-line block ×4, first 2 shown]
	v_fmac_f32_e32 v0, v4, v9
	v_fmac_f32_e32 v1, v8, v10
	v_lshrrev_b32_e32 v8, 16, v5
	v_and_b32_e32 v4, 0xffff, v5
	;;#ASMSTART
	v_cvt_f32_f16 v4, v4;
	;;#ASMEND
	;;#ASMSTART
	v_cvt_f32_f16 v5, v8;
	;;#ASMEND
	v_lshrrev_b32_e32 v9, 16, v58
	v_and_b32_e32 v8, 0xffff, v58
	;;#ASMSTART
	v_cvt_f32_f16 v8, v8;
	;;#ASMEND
	;;#ASMSTART
	v_cvt_f32_f16 v9, v9;
	;;#ASMEND
	v_fmac_f32_e32 v3, v4, v8
	v_fmac_f32_e32 v2, v5, v9
	v_lshrrev_b32_e32 v5, 16, v6
	v_and_b32_e32 v4, 0xffff, v6
	v_and_b32_e32 v6, 0xffff, v59
	;;#ASMSTART
	v_cvt_f32_f16 v4, v4;
	;;#ASMEND
	;;#ASMSTART
	v_cvt_f32_f16 v5, v5;
	;;#ASMEND
	v_lshrrev_b32_e32 v8, 16, v59
	;;#ASMSTART
	v_cvt_f32_f16 v6, v6;
	;;#ASMEND
	;;#ASMSTART
	v_cvt_f32_f16 v8, v8;
	;;#ASMEND
	v_fmac_f32_e32 v122, v4, v6
	v_fmac_f32_e32 v121, v5, v8
	v_lshrrev_b32_e32 v5, 16, v7
	v_and_b32_e32 v4, 0xffff, v7
	v_lshrrev_b32_e32 v7, 16, v60
	v_and_b32_e32 v6, 0xffff, v60
	;;#ASMSTART
	v_cvt_f32_f16 v4, v4;
	;;#ASMEND
	;;#ASMSTART
	v_cvt_f32_f16 v5, v5;
	;;#ASMEND
	;; [unrolled: 3-line block ×4, first 2 shown]
	v_fmac_f32_e32 v124, v4, v6
	v_fmac_f32_e32 v123, v5, v7
	ds_read_b128 v[4:7], v21 offset:288
	v_lshrrev_b32_e32 v10, 16, v53
	v_and_b32_e32 v9, 0xffff, v53
	s_waitcnt lgkmcnt(0)
	v_lshrrev_b32_e32 v8, 16, v4
	v_and_b32_e32 v4, 0xffff, v4
	;;#ASMSTART
	v_cvt_f32_f16 v4, v4;
	;;#ASMEND
	;;#ASMSTART
	v_cvt_f32_f16 v8, v8;
	;;#ASMEND
	;;#ASMSTART
	v_cvt_f32_f16 v9, v9;
	;;#ASMEND
	;;#ASMSTART
	v_cvt_f32_f16 v10, v10;
	;;#ASMEND
	v_fmac_f32_e32 v0, v4, v9
	v_fmac_f32_e32 v1, v8, v10
	v_lshrrev_b32_e32 v8, 16, v5
	v_and_b32_e32 v4, 0xffff, v5
	;;#ASMSTART
	v_cvt_f32_f16 v4, v4;
	;;#ASMEND
	;;#ASMSTART
	v_cvt_f32_f16 v5, v8;
	;;#ASMEND
	v_lshrrev_b32_e32 v9, 16, v54
	v_and_b32_e32 v8, 0xffff, v54
	;;#ASMSTART
	v_cvt_f32_f16 v8, v8;
	;;#ASMEND
	;;#ASMSTART
	v_cvt_f32_f16 v9, v9;
	;;#ASMEND
	v_fmac_f32_e32 v3, v4, v8
	v_fmac_f32_e32 v2, v5, v9
	v_lshrrev_b32_e32 v5, 16, v6
	v_and_b32_e32 v4, 0xffff, v6
	v_and_b32_e32 v6, 0xffff, v55
	;;#ASMSTART
	v_cvt_f32_f16 v4, v4;
	;;#ASMEND
	;;#ASMSTART
	v_cvt_f32_f16 v5, v5;
	;;#ASMEND
	v_lshrrev_b32_e32 v8, 16, v55
	;;#ASMSTART
	v_cvt_f32_f16 v6, v6;
	;;#ASMEND
	;;#ASMSTART
	v_cvt_f32_f16 v8, v8;
	;;#ASMEND
	v_fmac_f32_e32 v122, v4, v6
	v_fmac_f32_e32 v121, v5, v8
	v_lshrrev_b32_e32 v5, 16, v7
	v_and_b32_e32 v4, 0xffff, v7
	v_lshrrev_b32_e32 v7, 16, v56
	v_and_b32_e32 v6, 0xffff, v56
	;;#ASMSTART
	v_cvt_f32_f16 v4, v4;
	;;#ASMEND
	;;#ASMSTART
	v_cvt_f32_f16 v5, v5;
	;;#ASMEND
	;; [unrolled: 3-line block ×4, first 2 shown]
	v_fmac_f32_e32 v124, v4, v6
	v_fmac_f32_e32 v123, v5, v7
	ds_read_b128 v[4:7], v21 offset:304
	v_lshrrev_b32_e32 v10, 16, v49
	v_and_b32_e32 v9, 0xffff, v49
	s_waitcnt lgkmcnt(0)
	v_lshrrev_b32_e32 v8, 16, v4
	v_and_b32_e32 v4, 0xffff, v4
	;;#ASMSTART
	v_cvt_f32_f16 v4, v4;
	;;#ASMEND
	;;#ASMSTART
	v_cvt_f32_f16 v8, v8;
	;;#ASMEND
	;; [unrolled: 3-line block ×4, first 2 shown]
	v_fmac_f32_e32 v0, v4, v9
	v_fmac_f32_e32 v1, v8, v10
	v_lshrrev_b32_e32 v8, 16, v5
	v_and_b32_e32 v4, 0xffff, v5
	;;#ASMSTART
	v_cvt_f32_f16 v4, v4;
	;;#ASMEND
	;;#ASMSTART
	v_cvt_f32_f16 v5, v8;
	;;#ASMEND
	v_lshrrev_b32_e32 v9, 16, v50
	v_and_b32_e32 v8, 0xffff, v50
	;;#ASMSTART
	v_cvt_f32_f16 v8, v8;
	;;#ASMEND
	;;#ASMSTART
	v_cvt_f32_f16 v9, v9;
	;;#ASMEND
	v_fmac_f32_e32 v3, v4, v8
	v_fmac_f32_e32 v2, v5, v9
	v_lshrrev_b32_e32 v5, 16, v6
	v_and_b32_e32 v4, 0xffff, v6
	v_and_b32_e32 v6, 0xffff, v51
	;;#ASMSTART
	v_cvt_f32_f16 v4, v4;
	;;#ASMEND
	;;#ASMSTART
	v_cvt_f32_f16 v5, v5;
	;;#ASMEND
	v_lshrrev_b32_e32 v8, 16, v51
	;;#ASMSTART
	v_cvt_f32_f16 v6, v6;
	;;#ASMEND
	;;#ASMSTART
	v_cvt_f32_f16 v8, v8;
	;;#ASMEND
	v_fmac_f32_e32 v122, v4, v6
	v_fmac_f32_e32 v121, v5, v8
	v_lshrrev_b32_e32 v5, 16, v7
	v_and_b32_e32 v4, 0xffff, v7
	v_lshrrev_b32_e32 v7, 16, v52
	v_and_b32_e32 v6, 0xffff, v52
	;;#ASMSTART
	v_cvt_f32_f16 v4, v4;
	;;#ASMEND
	;;#ASMSTART
	v_cvt_f32_f16 v5, v5;
	;;#ASMEND
	;; [unrolled: 3-line block ×4, first 2 shown]
	v_fmac_f32_e32 v124, v4, v6
	v_fmac_f32_e32 v123, v5, v7
	ds_read_b128 v[4:7], v21 offset:320
	v_lshrrev_b32_e32 v10, 16, v45
	v_and_b32_e32 v9, 0xffff, v45
	s_waitcnt lgkmcnt(0)
	v_lshrrev_b32_e32 v8, 16, v4
	v_and_b32_e32 v4, 0xffff, v4
	;;#ASMSTART
	v_cvt_f32_f16 v4, v4;
	;;#ASMEND
	;;#ASMSTART
	v_cvt_f32_f16 v8, v8;
	;;#ASMEND
	;; [unrolled: 3-line block ×4, first 2 shown]
	v_fmac_f32_e32 v0, v4, v9
	v_fmac_f32_e32 v1, v8, v10
	v_lshrrev_b32_e32 v8, 16, v5
	v_and_b32_e32 v4, 0xffff, v5
	;;#ASMSTART
	v_cvt_f32_f16 v4, v4;
	;;#ASMEND
	;;#ASMSTART
	v_cvt_f32_f16 v5, v8;
	;;#ASMEND
	v_lshrrev_b32_e32 v9, 16, v46
	v_and_b32_e32 v8, 0xffff, v46
	;;#ASMSTART
	v_cvt_f32_f16 v8, v8;
	;;#ASMEND
	;;#ASMSTART
	v_cvt_f32_f16 v9, v9;
	;;#ASMEND
	v_fmac_f32_e32 v3, v4, v8
	v_fmac_f32_e32 v2, v5, v9
	v_lshrrev_b32_e32 v5, 16, v6
	v_and_b32_e32 v4, 0xffff, v6
	v_and_b32_e32 v6, 0xffff, v47
	;;#ASMSTART
	v_cvt_f32_f16 v4, v4;
	;;#ASMEND
	;;#ASMSTART
	v_cvt_f32_f16 v5, v5;
	;;#ASMEND
	v_lshrrev_b32_e32 v8, 16, v47
	;;#ASMSTART
	v_cvt_f32_f16 v6, v6;
	;;#ASMEND
	;;#ASMSTART
	v_cvt_f32_f16 v8, v8;
	;;#ASMEND
	v_fmac_f32_e32 v122, v4, v6
	v_fmac_f32_e32 v121, v5, v8
	v_lshrrev_b32_e32 v5, 16, v7
	v_and_b32_e32 v4, 0xffff, v7
	v_lshrrev_b32_e32 v7, 16, v48
	v_and_b32_e32 v6, 0xffff, v48
	;;#ASMSTART
	v_cvt_f32_f16 v4, v4;
	;;#ASMEND
	;;#ASMSTART
	v_cvt_f32_f16 v5, v5;
	;;#ASMEND
	;;#ASMSTART
	v_cvt_f32_f16 v6, v6;
	;;#ASMEND
	;;#ASMSTART
	v_cvt_f32_f16 v7, v7;
	;;#ASMEND
	v_fmac_f32_e32 v124, v4, v6
	v_fmac_f32_e32 v123, v5, v7
	ds_read_b128 v[4:7], v21 offset:336
	v_lshrrev_b32_e32 v10, 16, v41
	v_and_b32_e32 v9, 0xffff, v41
	s_waitcnt lgkmcnt(0)
	v_lshrrev_b32_e32 v8, 16, v4
	v_and_b32_e32 v4, 0xffff, v4
	;;#ASMSTART
	v_cvt_f32_f16 v4, v4;
	;;#ASMEND
	;;#ASMSTART
	v_cvt_f32_f16 v8, v8;
	;;#ASMEND
	;; [unrolled: 3-line block ×4, first 2 shown]
	v_fmac_f32_e32 v0, v4, v9
	v_fmac_f32_e32 v1, v8, v10
	v_lshrrev_b32_e32 v8, 16, v5
	v_and_b32_e32 v4, 0xffff, v5
	;;#ASMSTART
	v_cvt_f32_f16 v4, v4;
	;;#ASMEND
	;;#ASMSTART
	v_cvt_f32_f16 v5, v8;
	;;#ASMEND
	v_lshrrev_b32_e32 v9, 16, v42
	v_and_b32_e32 v8, 0xffff, v42
	;;#ASMSTART
	v_cvt_f32_f16 v8, v8;
	;;#ASMEND
	;;#ASMSTART
	v_cvt_f32_f16 v9, v9;
	;;#ASMEND
	v_fmac_f32_e32 v3, v4, v8
	v_fmac_f32_e32 v2, v5, v9
	v_lshrrev_b32_e32 v5, 16, v6
	v_and_b32_e32 v4, 0xffff, v6
	v_and_b32_e32 v6, 0xffff, v43
	;;#ASMSTART
	v_cvt_f32_f16 v4, v4;
	;;#ASMEND
	;;#ASMSTART
	v_cvt_f32_f16 v5, v5;
	;;#ASMEND
	v_lshrrev_b32_e32 v8, 16, v43
	;;#ASMSTART
	v_cvt_f32_f16 v6, v6;
	;;#ASMEND
	;;#ASMSTART
	v_cvt_f32_f16 v8, v8;
	;;#ASMEND
	v_fmac_f32_e32 v122, v4, v6
	v_fmac_f32_e32 v121, v5, v8
	v_lshrrev_b32_e32 v5, 16, v7
	v_and_b32_e32 v4, 0xffff, v7
	v_lshrrev_b32_e32 v7, 16, v44
	v_and_b32_e32 v6, 0xffff, v44
	;;#ASMSTART
	v_cvt_f32_f16 v4, v4;
	;;#ASMEND
	;;#ASMSTART
	v_cvt_f32_f16 v5, v5;
	;;#ASMEND
	;; [unrolled: 3-line block ×4, first 2 shown]
	v_fmac_f32_e32 v124, v4, v6
	v_fmac_f32_e32 v123, v5, v7
	ds_read_b128 v[4:7], v21 offset:352
	v_lshrrev_b32_e32 v10, 16, v37
	v_and_b32_e32 v9, 0xffff, v37
	s_waitcnt lgkmcnt(0)
	v_lshrrev_b32_e32 v8, 16, v4
	v_and_b32_e32 v4, 0xffff, v4
	;;#ASMSTART
	v_cvt_f32_f16 v4, v4;
	;;#ASMEND
	;;#ASMSTART
	v_cvt_f32_f16 v8, v8;
	;;#ASMEND
	;; [unrolled: 3-line block ×4, first 2 shown]
	v_fmac_f32_e32 v0, v4, v9
	v_fmac_f32_e32 v1, v8, v10
	v_lshrrev_b32_e32 v8, 16, v5
	v_and_b32_e32 v4, 0xffff, v5
	;;#ASMSTART
	v_cvt_f32_f16 v4, v4;
	;;#ASMEND
	;;#ASMSTART
	v_cvt_f32_f16 v5, v8;
	;;#ASMEND
	v_lshrrev_b32_e32 v9, 16, v38
	v_and_b32_e32 v8, 0xffff, v38
	;;#ASMSTART
	v_cvt_f32_f16 v8, v8;
	;;#ASMEND
	;;#ASMSTART
	v_cvt_f32_f16 v9, v9;
	;;#ASMEND
	v_fmac_f32_e32 v3, v4, v8
	v_fmac_f32_e32 v2, v5, v9
	v_lshrrev_b32_e32 v5, 16, v6
	v_and_b32_e32 v4, 0xffff, v6
	v_and_b32_e32 v6, 0xffff, v39
	;;#ASMSTART
	v_cvt_f32_f16 v4, v4;
	;;#ASMEND
	;;#ASMSTART
	v_cvt_f32_f16 v5, v5;
	;;#ASMEND
	v_lshrrev_b32_e32 v8, 16, v39
	;;#ASMSTART
	v_cvt_f32_f16 v6, v6;
	;;#ASMEND
	;;#ASMSTART
	v_cvt_f32_f16 v8, v8;
	;;#ASMEND
	v_fmac_f32_e32 v122, v4, v6
	v_fmac_f32_e32 v121, v5, v8
	v_lshrrev_b32_e32 v5, 16, v7
	v_and_b32_e32 v4, 0xffff, v7
	v_lshrrev_b32_e32 v7, 16, v40
	v_and_b32_e32 v6, 0xffff, v40
	;;#ASMSTART
	v_cvt_f32_f16 v4, v4;
	;;#ASMEND
	;;#ASMSTART
	v_cvt_f32_f16 v5, v5;
	;;#ASMEND
	;;#ASMSTART
	v_cvt_f32_f16 v6, v6;
	;;#ASMEND
	;;#ASMSTART
	v_cvt_f32_f16 v7, v7;
	;;#ASMEND
	v_fmac_f32_e32 v124, v4, v6
	v_fmac_f32_e32 v123, v5, v7
	ds_read_b128 v[4:7], v21 offset:368
	v_lshrrev_b32_e32 v10, 16, v33
	v_and_b32_e32 v9, 0xffff, v33
	s_waitcnt lgkmcnt(0)
	v_lshrrev_b32_e32 v8, 16, v4
	v_and_b32_e32 v4, 0xffff, v4
	;;#ASMSTART
	v_cvt_f32_f16 v4, v4;
	;;#ASMEND
	;;#ASMSTART
	v_cvt_f32_f16 v8, v8;
	;;#ASMEND
	;; [unrolled: 3-line block ×4, first 2 shown]
	v_fmac_f32_e32 v0, v4, v9
	v_fmac_f32_e32 v1, v8, v10
	v_lshrrev_b32_e32 v8, 16, v5
	v_and_b32_e32 v4, 0xffff, v5
	;;#ASMSTART
	v_cvt_f32_f16 v4, v4;
	;;#ASMEND
	;;#ASMSTART
	v_cvt_f32_f16 v5, v8;
	;;#ASMEND
	v_lshrrev_b32_e32 v9, 16, v34
	v_and_b32_e32 v8, 0xffff, v34
	;;#ASMSTART
	v_cvt_f32_f16 v8, v8;
	;;#ASMEND
	;;#ASMSTART
	v_cvt_f32_f16 v9, v9;
	;;#ASMEND
	v_fmac_f32_e32 v3, v4, v8
	v_fmac_f32_e32 v2, v5, v9
	v_lshrrev_b32_e32 v5, 16, v6
	v_and_b32_e32 v4, 0xffff, v6
	v_and_b32_e32 v6, 0xffff, v35
	;;#ASMSTART
	v_cvt_f32_f16 v4, v4;
	;;#ASMEND
	;;#ASMSTART
	v_cvt_f32_f16 v5, v5;
	;;#ASMEND
	v_lshrrev_b32_e32 v8, 16, v35
	;;#ASMSTART
	v_cvt_f32_f16 v6, v6;
	;;#ASMEND
	;;#ASMSTART
	v_cvt_f32_f16 v8, v8;
	;;#ASMEND
	v_fmac_f32_e32 v122, v4, v6
	v_fmac_f32_e32 v121, v5, v8
	v_lshrrev_b32_e32 v5, 16, v7
	v_and_b32_e32 v4, 0xffff, v7
	v_lshrrev_b32_e32 v7, 16, v36
	v_and_b32_e32 v6, 0xffff, v36
	;;#ASMSTART
	v_cvt_f32_f16 v4, v4;
	;;#ASMEND
	;;#ASMSTART
	v_cvt_f32_f16 v5, v5;
	;;#ASMEND
	;; [unrolled: 3-line block ×4, first 2 shown]
	v_fmac_f32_e32 v124, v4, v6
	v_fmac_f32_e32 v123, v5, v7
	ds_read_b128 v[4:7], v21 offset:384
	v_lshrrev_b32_e32 v10, 16, v29
	v_and_b32_e32 v9, 0xffff, v29
	s_waitcnt lgkmcnt(0)
	v_lshrrev_b32_e32 v8, 16, v4
	v_and_b32_e32 v4, 0xffff, v4
	;;#ASMSTART
	v_cvt_f32_f16 v4, v4;
	;;#ASMEND
	;;#ASMSTART
	v_cvt_f32_f16 v8, v8;
	;;#ASMEND
	;; [unrolled: 3-line block ×4, first 2 shown]
	v_fmac_f32_e32 v0, v4, v9
	v_fmac_f32_e32 v1, v8, v10
	v_lshrrev_b32_e32 v8, 16, v5
	v_and_b32_e32 v4, 0xffff, v5
	;;#ASMSTART
	v_cvt_f32_f16 v4, v4;
	;;#ASMEND
	;;#ASMSTART
	v_cvt_f32_f16 v5, v8;
	;;#ASMEND
	v_lshrrev_b32_e32 v9, 16, v30
	v_and_b32_e32 v8, 0xffff, v30
	;;#ASMSTART
	v_cvt_f32_f16 v8, v8;
	;;#ASMEND
	;;#ASMSTART
	v_cvt_f32_f16 v9, v9;
	;;#ASMEND
	v_fmac_f32_e32 v3, v4, v8
	v_fmac_f32_e32 v2, v5, v9
	v_lshrrev_b32_e32 v5, 16, v6
	v_and_b32_e32 v4, 0xffff, v6
	v_and_b32_e32 v6, 0xffff, v31
	;;#ASMSTART
	v_cvt_f32_f16 v4, v4;
	;;#ASMEND
	;;#ASMSTART
	v_cvt_f32_f16 v5, v5;
	;;#ASMEND
	v_lshrrev_b32_e32 v8, 16, v31
	;;#ASMSTART
	v_cvt_f32_f16 v6, v6;
	;;#ASMEND
	;;#ASMSTART
	v_cvt_f32_f16 v8, v8;
	;;#ASMEND
	v_fmac_f32_e32 v122, v4, v6
	v_fmac_f32_e32 v121, v5, v8
	v_lshrrev_b32_e32 v5, 16, v7
	v_and_b32_e32 v4, 0xffff, v7
	v_lshrrev_b32_e32 v7, 16, v32
	v_and_b32_e32 v6, 0xffff, v32
	;;#ASMSTART
	v_cvt_f32_f16 v4, v4;
	;;#ASMEND
	;;#ASMSTART
	v_cvt_f32_f16 v5, v5;
	;;#ASMEND
	;; [unrolled: 3-line block ×4, first 2 shown]
	v_fmac_f32_e32 v124, v4, v6
	v_fmac_f32_e32 v123, v5, v7
	ds_read_b128 v[4:7], v21 offset:400
	v_lshrrev_b32_e32 v10, 16, v25
	v_and_b32_e32 v9, 0xffff, v25
	s_waitcnt lgkmcnt(0)
	v_lshrrev_b32_e32 v8, 16, v4
	v_and_b32_e32 v4, 0xffff, v4
	;;#ASMSTART
	v_cvt_f32_f16 v4, v4;
	;;#ASMEND
	;;#ASMSTART
	v_cvt_f32_f16 v8, v8;
	;;#ASMEND
	;; [unrolled: 3-line block ×4, first 2 shown]
	v_fmac_f32_e32 v0, v4, v9
	v_fmac_f32_e32 v1, v8, v10
	v_lshrrev_b32_e32 v8, 16, v5
	v_and_b32_e32 v4, 0xffff, v5
	;;#ASMSTART
	v_cvt_f32_f16 v4, v4;
	;;#ASMEND
	;;#ASMSTART
	v_cvt_f32_f16 v5, v8;
	;;#ASMEND
	v_lshrrev_b32_e32 v9, 16, v26
	v_and_b32_e32 v8, 0xffff, v26
	;;#ASMSTART
	v_cvt_f32_f16 v8, v8;
	;;#ASMEND
	;;#ASMSTART
	v_cvt_f32_f16 v9, v9;
	;;#ASMEND
	v_fmac_f32_e32 v3, v4, v8
	v_fmac_f32_e32 v2, v5, v9
	v_lshrrev_b32_e32 v5, 16, v6
	v_and_b32_e32 v4, 0xffff, v6
	v_and_b32_e32 v6, 0xffff, v27
	;;#ASMSTART
	v_cvt_f32_f16 v4, v4;
	;;#ASMEND
	;;#ASMSTART
	v_cvt_f32_f16 v5, v5;
	;;#ASMEND
	v_lshrrev_b32_e32 v8, 16, v27
	;;#ASMSTART
	v_cvt_f32_f16 v6, v6;
	;;#ASMEND
	;;#ASMSTART
	v_cvt_f32_f16 v8, v8;
	;;#ASMEND
	v_fmac_f32_e32 v122, v4, v6
	v_fmac_f32_e32 v121, v5, v8
	v_lshrrev_b32_e32 v5, 16, v7
	v_and_b32_e32 v4, 0xffff, v7
	v_lshrrev_b32_e32 v7, 16, v28
	v_and_b32_e32 v6, 0xffff, v28
	;;#ASMSTART
	v_cvt_f32_f16 v4, v4;
	;;#ASMEND
	;;#ASMSTART
	v_cvt_f32_f16 v5, v5;
	;;#ASMEND
	;; [unrolled: 3-line block ×4, first 2 shown]
	v_fmac_f32_e32 v124, v4, v6
	v_fmac_f32_e32 v123, v5, v7
	ds_read_b128 v[4:7], v21 offset:416
	s_waitcnt lgkmcnt(0)
	v_lshrrev_b32_e32 v8, 16, v4
	v_and_b32_e32 v4, 0xffff, v4
	;;#ASMSTART
	v_cvt_f32_f16 v4, v4;
	;;#ASMEND
	;;#ASMSTART
	v_cvt_f32_f16 v8, v8;
	;;#ASMEND
	s_clause 0x3
	buffer_load_dword v11, off, s[40:43], 0 offset:96
	buffer_load_dword v12, off, s[40:43], 0 offset:100
	;; [unrolled: 1-line block ×4, first 2 shown]
	s_waitcnt vmcnt(3)
	v_lshrrev_b32_e32 v10, 16, v11
	v_and_b32_e32 v9, 0xffff, v11
	;;#ASMSTART
	v_cvt_f32_f16 v9, v9;
	;;#ASMEND
	;;#ASMSTART
	v_cvt_f32_f16 v10, v10;
	;;#ASMEND
	v_fmac_f32_e32 v0, v4, v9
	v_fmac_f32_e32 v1, v8, v10
	v_lshrrev_b32_e32 v8, 16, v5
	v_and_b32_e32 v4, 0xffff, v5
	;;#ASMSTART
	v_cvt_f32_f16 v4, v4;
	;;#ASMEND
	;;#ASMSTART
	v_cvt_f32_f16 v5, v8;
	;;#ASMEND
	s_waitcnt vmcnt(2)
	v_lshrrev_b32_e32 v9, 16, v12
	v_and_b32_e32 v8, 0xffff, v12
	;;#ASMSTART
	v_cvt_f32_f16 v8, v8;
	;;#ASMEND
	;;#ASMSTART
	v_cvt_f32_f16 v9, v9;
	;;#ASMEND
	v_fmac_f32_e32 v3, v4, v8
	v_fmac_f32_e32 v2, v5, v9
	v_lshrrev_b32_e32 v5, 16, v6
	v_and_b32_e32 v4, 0xffff, v6
	s_waitcnt vmcnt(1)
	v_and_b32_e32 v6, 0xffff, v13
	;;#ASMSTART
	v_cvt_f32_f16 v4, v4;
	;;#ASMEND
	;;#ASMSTART
	v_cvt_f32_f16 v5, v5;
	;;#ASMEND
	v_lshrrev_b32_e32 v8, 16, v13
	;;#ASMSTART
	v_cvt_f32_f16 v6, v6;
	;;#ASMEND
	;;#ASMSTART
	v_cvt_f32_f16 v8, v8;
	;;#ASMEND
	v_fmac_f32_e32 v122, v4, v6
	v_fmac_f32_e32 v121, v5, v8
	v_lshrrev_b32_e32 v5, 16, v7
	v_and_b32_e32 v4, 0xffff, v7
	s_waitcnt vmcnt(0)
	v_lshrrev_b32_e32 v7, 16, v14
	v_and_b32_e32 v6, 0xffff, v14
	;;#ASMSTART
	v_cvt_f32_f16 v4, v4;
	;;#ASMEND
	;;#ASMSTART
	v_cvt_f32_f16 v5, v5;
	;;#ASMEND
	;; [unrolled: 3-line block ×4, first 2 shown]
	v_fmac_f32_e32 v124, v4, v6
	v_fmac_f32_e32 v123, v5, v7
	ds_read_b128 v[4:7], v21 offset:432
	s_waitcnt lgkmcnt(0)
	v_lshrrev_b32_e32 v8, 16, v4
	v_and_b32_e32 v4, 0xffff, v4
	;;#ASMSTART
	v_cvt_f32_f16 v4, v4;
	;;#ASMEND
	;;#ASMSTART
	v_cvt_f32_f16 v8, v8;
	;;#ASMEND
	s_clause 0x3
	buffer_load_dword v11, off, s[40:43], 0 offset:80
	buffer_load_dword v12, off, s[40:43], 0 offset:84
	;; [unrolled: 1-line block ×4, first 2 shown]
	s_waitcnt vmcnt(3)
	v_lshrrev_b32_e32 v10, 16, v11
	v_and_b32_e32 v9, 0xffff, v11
	;;#ASMSTART
	v_cvt_f32_f16 v9, v9;
	;;#ASMEND
	;;#ASMSTART
	v_cvt_f32_f16 v10, v10;
	;;#ASMEND
	v_fmac_f32_e32 v0, v4, v9
	v_fmac_f32_e32 v1, v8, v10
	v_lshrrev_b32_e32 v8, 16, v5
	v_and_b32_e32 v4, 0xffff, v5
	;;#ASMSTART
	v_cvt_f32_f16 v4, v4;
	;;#ASMEND
	;;#ASMSTART
	v_cvt_f32_f16 v5, v8;
	;;#ASMEND
	s_waitcnt vmcnt(2)
	v_lshrrev_b32_e32 v9, 16, v12
	v_and_b32_e32 v8, 0xffff, v12
	;;#ASMSTART
	v_cvt_f32_f16 v8, v8;
	;;#ASMEND
	;;#ASMSTART
	v_cvt_f32_f16 v9, v9;
	;;#ASMEND
	v_fmac_f32_e32 v3, v4, v8
	v_fmac_f32_e32 v2, v5, v9
	v_lshrrev_b32_e32 v5, 16, v6
	v_and_b32_e32 v4, 0xffff, v6
	s_waitcnt vmcnt(1)
	v_and_b32_e32 v6, 0xffff, v13
	;;#ASMSTART
	v_cvt_f32_f16 v4, v4;
	;;#ASMEND
	;;#ASMSTART
	v_cvt_f32_f16 v5, v5;
	;;#ASMEND
	v_lshrrev_b32_e32 v8, 16, v13
	;;#ASMSTART
	v_cvt_f32_f16 v6, v6;
	;;#ASMEND
	;;#ASMSTART
	v_cvt_f32_f16 v8, v8;
	;;#ASMEND
	v_fmac_f32_e32 v122, v4, v6
	v_fmac_f32_e32 v121, v5, v8
	v_lshrrev_b32_e32 v5, 16, v7
	v_and_b32_e32 v4, 0xffff, v7
	s_waitcnt vmcnt(0)
	v_lshrrev_b32_e32 v7, 16, v14
	v_and_b32_e32 v6, 0xffff, v14
	;;#ASMSTART
	v_cvt_f32_f16 v4, v4;
	;;#ASMEND
	;;#ASMSTART
	v_cvt_f32_f16 v5, v5;
	;;#ASMEND
	;; [unrolled: 3-line block ×4, first 2 shown]
	v_fmac_f32_e32 v124, v4, v6
	v_fmac_f32_e32 v123, v5, v7
	ds_read_b128 v[4:7], v21 offset:448
	s_waitcnt lgkmcnt(0)
	v_lshrrev_b32_e32 v8, 16, v4
	v_and_b32_e32 v4, 0xffff, v4
	;;#ASMSTART
	v_cvt_f32_f16 v4, v4;
	;;#ASMEND
	;;#ASMSTART
	v_cvt_f32_f16 v8, v8;
	;;#ASMEND
	s_clause 0x3
	buffer_load_dword v11, off, s[40:43], 0 offset:64
	buffer_load_dword v12, off, s[40:43], 0 offset:68
	;; [unrolled: 1-line block ×4, first 2 shown]
	s_waitcnt vmcnt(3)
	v_lshrrev_b32_e32 v10, 16, v11
	v_and_b32_e32 v9, 0xffff, v11
	;;#ASMSTART
	v_cvt_f32_f16 v9, v9;
	;;#ASMEND
	;;#ASMSTART
	v_cvt_f32_f16 v10, v10;
	;;#ASMEND
	v_fmac_f32_e32 v0, v4, v9
	v_fmac_f32_e32 v1, v8, v10
	v_lshrrev_b32_e32 v8, 16, v5
	v_and_b32_e32 v4, 0xffff, v5
	;;#ASMSTART
	v_cvt_f32_f16 v4, v4;
	;;#ASMEND
	;;#ASMSTART
	v_cvt_f32_f16 v5, v8;
	;;#ASMEND
	s_waitcnt vmcnt(2)
	v_lshrrev_b32_e32 v9, 16, v12
	v_and_b32_e32 v8, 0xffff, v12
	;;#ASMSTART
	v_cvt_f32_f16 v8, v8;
	;;#ASMEND
	;;#ASMSTART
	v_cvt_f32_f16 v9, v9;
	;;#ASMEND
	v_fmac_f32_e32 v3, v4, v8
	v_fmac_f32_e32 v2, v5, v9
	v_lshrrev_b32_e32 v5, 16, v6
	v_and_b32_e32 v4, 0xffff, v6
	s_waitcnt vmcnt(1)
	v_and_b32_e32 v6, 0xffff, v13
	;;#ASMSTART
	v_cvt_f32_f16 v4, v4;
	;;#ASMEND
	;;#ASMSTART
	v_cvt_f32_f16 v5, v5;
	;;#ASMEND
	v_lshrrev_b32_e32 v8, 16, v13
	;;#ASMSTART
	v_cvt_f32_f16 v6, v6;
	;;#ASMEND
	;;#ASMSTART
	v_cvt_f32_f16 v8, v8;
	;;#ASMEND
	v_fmac_f32_e32 v122, v4, v6
	v_fmac_f32_e32 v121, v5, v8
	v_lshrrev_b32_e32 v5, 16, v7
	v_and_b32_e32 v4, 0xffff, v7
	s_waitcnt vmcnt(0)
	v_lshrrev_b32_e32 v7, 16, v14
	v_and_b32_e32 v6, 0xffff, v14
	;;#ASMSTART
	v_cvt_f32_f16 v4, v4;
	;;#ASMEND
	;;#ASMSTART
	v_cvt_f32_f16 v5, v5;
	;;#ASMEND
	;;#ASMSTART
	v_cvt_f32_f16 v6, v6;
	;;#ASMEND
	;;#ASMSTART
	v_cvt_f32_f16 v7, v7;
	;;#ASMEND
	v_fmac_f32_e32 v124, v4, v6
	v_fmac_f32_e32 v123, v5, v7
	ds_read_b128 v[4:7], v21 offset:464
	s_waitcnt lgkmcnt(0)
	v_lshrrev_b32_e32 v8, 16, v4
	v_and_b32_e32 v4, 0xffff, v4
	;;#ASMSTART
	v_cvt_f32_f16 v4, v4;
	;;#ASMEND
	;;#ASMSTART
	v_cvt_f32_f16 v8, v8;
	;;#ASMEND
	s_clause 0x3
	buffer_load_dword v11, off, s[40:43], 0 offset:48
	buffer_load_dword v12, off, s[40:43], 0 offset:52
	;; [unrolled: 1-line block ×4, first 2 shown]
	s_waitcnt vmcnt(3)
	v_lshrrev_b32_e32 v10, 16, v11
	v_and_b32_e32 v9, 0xffff, v11
	;;#ASMSTART
	v_cvt_f32_f16 v9, v9;
	;;#ASMEND
	;;#ASMSTART
	v_cvt_f32_f16 v10, v10;
	;;#ASMEND
	v_fmac_f32_e32 v0, v4, v9
	v_fmac_f32_e32 v1, v8, v10
	v_lshrrev_b32_e32 v8, 16, v5
	v_and_b32_e32 v4, 0xffff, v5
	;;#ASMSTART
	v_cvt_f32_f16 v4, v4;
	;;#ASMEND
	;;#ASMSTART
	v_cvt_f32_f16 v5, v8;
	;;#ASMEND
	s_waitcnt vmcnt(2)
	v_lshrrev_b32_e32 v9, 16, v12
	v_and_b32_e32 v8, 0xffff, v12
	;;#ASMSTART
	v_cvt_f32_f16 v8, v8;
	;;#ASMEND
	;;#ASMSTART
	v_cvt_f32_f16 v9, v9;
	;;#ASMEND
	v_fmac_f32_e32 v3, v4, v8
	v_fmac_f32_e32 v2, v5, v9
	v_lshrrev_b32_e32 v5, 16, v6
	v_and_b32_e32 v4, 0xffff, v6
	s_waitcnt vmcnt(1)
	v_and_b32_e32 v6, 0xffff, v13
	;;#ASMSTART
	v_cvt_f32_f16 v4, v4;
	;;#ASMEND
	;;#ASMSTART
	v_cvt_f32_f16 v5, v5;
	;;#ASMEND
	v_lshrrev_b32_e32 v8, 16, v13
	;;#ASMSTART
	v_cvt_f32_f16 v6, v6;
	;;#ASMEND
	;;#ASMSTART
	v_cvt_f32_f16 v8, v8;
	;;#ASMEND
	v_fmac_f32_e32 v122, v4, v6
	v_fmac_f32_e32 v121, v5, v8
	v_lshrrev_b32_e32 v5, 16, v7
	v_and_b32_e32 v4, 0xffff, v7
	s_waitcnt vmcnt(0)
	v_lshrrev_b32_e32 v7, 16, v14
	v_and_b32_e32 v6, 0xffff, v14
	;;#ASMSTART
	v_cvt_f32_f16 v4, v4;
	;;#ASMEND
	;;#ASMSTART
	v_cvt_f32_f16 v5, v5;
	;;#ASMEND
	;; [unrolled: 3-line block ×4, first 2 shown]
	v_fmac_f32_e32 v124, v4, v6
	v_fmac_f32_e32 v123, v5, v7
	ds_read_b128 v[4:7], v21 offset:480
	s_waitcnt lgkmcnt(0)
	v_lshrrev_b32_e32 v8, 16, v4
	v_and_b32_e32 v4, 0xffff, v4
	;;#ASMSTART
	v_cvt_f32_f16 v4, v4;
	;;#ASMEND
	;;#ASMSTART
	v_cvt_f32_f16 v8, v8;
	;;#ASMEND
	s_clause 0x3
	buffer_load_dword v11, off, s[40:43], 0 offset:32
	buffer_load_dword v12, off, s[40:43], 0 offset:36
	;; [unrolled: 1-line block ×4, first 2 shown]
	s_waitcnt vmcnt(3)
	v_lshrrev_b32_e32 v10, 16, v11
	v_and_b32_e32 v9, 0xffff, v11
	;;#ASMSTART
	v_cvt_f32_f16 v9, v9;
	;;#ASMEND
	;;#ASMSTART
	v_cvt_f32_f16 v10, v10;
	;;#ASMEND
	v_fmac_f32_e32 v0, v4, v9
	v_fmac_f32_e32 v1, v8, v10
	v_lshrrev_b32_e32 v8, 16, v5
	v_and_b32_e32 v4, 0xffff, v5
	;;#ASMSTART
	v_cvt_f32_f16 v4, v4;
	;;#ASMEND
	;;#ASMSTART
	v_cvt_f32_f16 v5, v8;
	;;#ASMEND
	s_waitcnt vmcnt(2)
	v_lshrrev_b32_e32 v9, 16, v12
	v_and_b32_e32 v8, 0xffff, v12
	;;#ASMSTART
	v_cvt_f32_f16 v8, v8;
	;;#ASMEND
	;;#ASMSTART
	v_cvt_f32_f16 v9, v9;
	;;#ASMEND
	v_fmac_f32_e32 v3, v4, v8
	v_fmac_f32_e32 v2, v5, v9
	v_lshrrev_b32_e32 v5, 16, v6
	v_and_b32_e32 v4, 0xffff, v6
	s_waitcnt vmcnt(1)
	v_and_b32_e32 v6, 0xffff, v13
	;;#ASMSTART
	v_cvt_f32_f16 v4, v4;
	;;#ASMEND
	;;#ASMSTART
	v_cvt_f32_f16 v5, v5;
	;;#ASMEND
	v_lshrrev_b32_e32 v8, 16, v13
	;;#ASMSTART
	v_cvt_f32_f16 v6, v6;
	;;#ASMEND
	;;#ASMSTART
	v_cvt_f32_f16 v8, v8;
	;;#ASMEND
	v_fmac_f32_e32 v122, v4, v6
	v_fmac_f32_e32 v121, v5, v8
	v_lshrrev_b32_e32 v5, 16, v7
	v_and_b32_e32 v4, 0xffff, v7
	s_waitcnt vmcnt(0)
	v_lshrrev_b32_e32 v7, 16, v14
	v_and_b32_e32 v6, 0xffff, v14
	;;#ASMSTART
	v_cvt_f32_f16 v4, v4;
	;;#ASMEND
	;;#ASMSTART
	v_cvt_f32_f16 v5, v5;
	;;#ASMEND
	;; [unrolled: 3-line block ×4, first 2 shown]
	v_fmac_f32_e32 v124, v4, v6
	v_fmac_f32_e32 v123, v5, v7
	ds_read_b128 v[4:7], v21 offset:496
	s_waitcnt lgkmcnt(0)
	v_lshrrev_b32_e32 v8, 16, v4
	v_and_b32_e32 v4, 0xffff, v4
	;;#ASMSTART
	v_cvt_f32_f16 v4, v4;
	;;#ASMEND
	;;#ASMSTART
	v_cvt_f32_f16 v8, v8;
	;;#ASMEND
	s_clause 0x3
	buffer_load_dword v11, off, s[40:43], 0 offset:16
	buffer_load_dword v12, off, s[40:43], 0 offset:20
	;; [unrolled: 1-line block ×4, first 2 shown]
	s_waitcnt vmcnt(3)
	v_lshrrev_b32_e32 v10, 16, v11
	v_and_b32_e32 v9, 0xffff, v11
	;;#ASMSTART
	v_cvt_f32_f16 v9, v9;
	;;#ASMEND
	;;#ASMSTART
	v_cvt_f32_f16 v10, v10;
	;;#ASMEND
	v_fmac_f32_e32 v0, v4, v9
	v_fmac_f32_e32 v1, v8, v10
	v_lshrrev_b32_e32 v8, 16, v5
	v_and_b32_e32 v4, 0xffff, v5
	;;#ASMSTART
	v_cvt_f32_f16 v4, v4;
	;;#ASMEND
	;;#ASMSTART
	v_cvt_f32_f16 v5, v8;
	;;#ASMEND
	s_waitcnt vmcnt(2)
	v_lshrrev_b32_e32 v9, 16, v12
	v_and_b32_e32 v8, 0xffff, v12
	;;#ASMSTART
	v_cvt_f32_f16 v8, v8;
	;;#ASMEND
	;;#ASMSTART
	v_cvt_f32_f16 v9, v9;
	;;#ASMEND
	v_fmac_f32_e32 v3, v4, v8
	v_fmac_f32_e32 v2, v5, v9
	v_lshrrev_b32_e32 v5, 16, v6
	v_and_b32_e32 v4, 0xffff, v6
	;;#ASMSTART
	v_cvt_f32_f16 v4, v4;
	;;#ASMEND
	;;#ASMSTART
	v_cvt_f32_f16 v5, v5;
	;;#ASMEND
	;; [unrolled: 19-line block ×3, first 2 shown]
	s_waitcnt vmcnt(0)
	v_lshrrev_b32_e32 v4, 16, v14
	v_and_b32_e32 v8, 0xffff, v14
	;;#ASMSTART
	v_cvt_f32_f16 v7, v8;
	;;#ASMEND
	;;#ASMSTART
	v_cvt_f32_f16 v4, v4;
	;;#ASMEND
	v_fmac_f32_e32 v124, v6, v7
	v_mov_b32_e32 v7, v24
	s_clause 0x1
	buffer_load_dword v6, off, s[40:43], 0 offset:8
	buffer_load_dword v24, off, s[40:43], 0
	v_fmac_f32_e32 v123, v5, v4
	s_clause 0x1
	buffer_load_dword v4, off, s[40:43], 0 offset:128
	buffer_load_dword v5, off, s[40:43], 0 offset:4
	v_add_f32_e32 v0, v0, v1
	buffer_load_dword v1, off, s[40:43], 0 offset:12 ; 4-byte Folded Reload
	v_add_f32_e32 v0, v0, v3
	v_add_f32_e32 v0, v2, v0
	;; [unrolled: 1-line block ×6, first 2 shown]
	s_waitcnt vmcnt(0)
	v_fmac_f32_e32 v1, s29, v0
	v_cndmask_b32_e64 v0, 0, v1, s2
	ds_write_b32 v5, v0
	v_max_f32_e32 v0, v24, v24
	v_max_f32_e32 v0, v0, v1
	v_cndmask_b32_e64 v24, v24, v0, s2
	s_branch .LBB98_10
.LBB98_15:
	s_or_b32 exec_lo, exec_lo, s15
	s_clause 0x2
	buffer_load_dword v122, off, s[40:43], 0 offset:132
	buffer_load_dword v123, off, s[40:43], 0 offset:140
	;; [unrolled: 1-line block ×3, first 2 shown]
.LBB98_16:
	s_or_b32 exec_lo, exec_lo, s34
	v_mbcnt_lo_u32_b32 v1, -1, 0
	v_max_f32_e32 v4, v24, v24
	v_xor_b32_e32 v0, 16, v1
	v_xor_b32_e32 v3, 8, v1
	v_cmp_gt_i32_e32 vcc_lo, 32, v0
	v_cndmask_b32_e32 v0, v1, v0, vcc_lo
	v_cmp_gt_i32_e32 vcc_lo, 32, v3
	v_lshlrev_b32_e32 v0, 2, v0
	v_cndmask_b32_e32 v3, v1, v3, vcc_lo
	ds_bpermute_b32 v2, v0, v24
	s_waitcnt lgkmcnt(0)
	v_max_f32_e32 v5, v2, v2
	v_lshlrev_b32_e32 v2, 2, v3
	v_max_f32_e32 v4, v4, v5
	v_xor_b32_e32 v5, 4, v1
	ds_bpermute_b32 v3, v2, v4
	v_cmp_gt_i32_e32 vcc_lo, 32, v5
	v_cndmask_b32_e32 v5, v1, v5, vcc_lo
	s_waitcnt lgkmcnt(0)
	v_max_f32_e32 v6, v3, v3
	v_lshlrev_b32_e32 v3, 2, v5
	v_max_f32_e32 v4, v4, v6
	v_xor_b32_e32 v6, 2, v1
	ds_bpermute_b32 v5, v3, v4
	v_cmp_gt_i32_e32 vcc_lo, 32, v6
	v_cndmask_b32_e32 v6, v1, v6, vcc_lo
	v_lshlrev_b32_e32 v11, 2, v6
	v_xor_b32_e32 v6, 1, v1
	v_cmp_gt_i32_e32 vcc_lo, 32, v6
	s_waitcnt lgkmcnt(0)
	v_max_f32_e32 v5, v5, v5
	v_cndmask_b32_e32 v6, v1, v6, vcc_lo
	v_max_f32_e32 v4, v4, v5
	ds_bpermute_b32 v5, v11, v4
	s_waitcnt lgkmcnt(0)
	v_max_f32_e32 v5, v5, v5
	v_max_f32_e32 v1, v4, v5
	buffer_load_dword v5, off, s[40:43], 0 offset:112 ; 4-byte Folded Reload
	v_lshlrev_b32_e32 v4, 2, v6
	ds_bpermute_b32 v6, v4, v1
	s_waitcnt vmcnt(0)
	v_cmp_eq_u32_e32 vcc_lo, 0, v5
	v_lshlrev_b32_e32 v5, 2, v123
	s_and_saveexec_b32 s2, vcc_lo
	s_cbranch_execz .LBB98_18
; %bb.17:
	s_waitcnt lgkmcnt(0)
	v_max_f32_e32 v6, v6, v6
	v_max_f32_e32 v1, v1, v1
	;; [unrolled: 1-line block ×3, first 2 shown]
	ds_write_b32 v5, v1 offset:512
.LBB98_18:
	s_or_b32 exec_lo, exec_lo, s2
	buffer_load_dword v1, off, s[40:43], 0 offset:112 ; 4-byte Folded Reload
	s_waitcnt vmcnt(0) lgkmcnt(0)
	s_waitcnt_vscnt null, 0x0
	s_barrier
	buffer_gl0_inv
	v_cmp_gt_u32_e64 s2, 4, v1
	v_mov_b32_e32 v1, 0xff7fffff
	s_and_saveexec_b32 s3, s2
; %bb.19:
	ds_read_b32 v1, v12 offset:512
; %bb.20:
	s_or_b32 exec_lo, exec_lo, s3
	s_waitcnt lgkmcnt(0)
	ds_bpermute_b32 v6, v11, v1
	v_max_f32_e32 v1, v1, v1
	s_lshl_b32 s3, s16, 5
	s_min_i32 s5, s3, s30
	v_cmp_gt_i32_e64 s3, s5, v122
	s_waitcnt lgkmcnt(0)
	v_max_f32_e32 v6, v6, v6
	v_max_f32_e32 v1, v1, v6
	ds_bpermute_b32 v6, v4, v1
	s_waitcnt lgkmcnt(0)
	v_max_f32_e32 v6, v6, v6
	v_max_f32_e32 v1, v1, v6
	v_mov_b32_e32 v6, 0
	ds_bpermute_b32 v7, v6, v1
	v_lshl_add_u32 v1, v122, 2, 0x220
	s_and_saveexec_b32 s15, s3
	s_cbranch_execz .LBB98_24
; %bb.21:
	v_lshl_add_u32 v8, v122, 2, 0x220
	v_mov_b32_e32 v6, 0
	v_mov_b32_e32 v9, v122
	s_mov_b32 s29, 0
	.p2align	6
.LBB98_22:                              ; =>This Inner Loop Header: Depth=1
	ds_read_b32 v10, v8
	v_add_nc_u32_e32 v9, 0x80, v9
	v_cmp_le_i32_e64 s4, s5, v9
	s_or_b32 s29, s4, s29
	s_waitcnt lgkmcnt(0)
	v_sub_f32_e32 v10, v10, v7
	v_mul_f32_e32 v10, 0x3fb8aa3b, v10
	v_exp_f32_e32 v10, v10
	ds_write_b32 v8, v10
	v_add_f32_e32 v6, v6, v10
	v_add_nc_u32_e32 v8, 0x200, v8
	s_andn2_b32 exec_lo, exec_lo, s29
	s_cbranch_execnz .LBB98_22
; %bb.23:
	s_or_b32 exec_lo, exec_lo, s29
.LBB98_24:
	s_or_b32 exec_lo, exec_lo, s15
	ds_bpermute_b32 v0, v0, v6
	s_waitcnt lgkmcnt(0)
	v_add_f32_e32 v0, v6, v0
	ds_bpermute_b32 v2, v2, v0
	s_waitcnt lgkmcnt(0)
	v_add_f32_e32 v0, v0, v2
	;; [unrolled: 3-line block ×5, first 2 shown]
	s_and_saveexec_b32 s4, vcc_lo
; %bb.25:
	ds_write_b32 v5, v0 offset:528
; %bb.26:
	s_or_b32 exec_lo, exec_lo, s4
	s_waitcnt lgkmcnt(0)
	s_barrier
	buffer_gl0_inv
	s_and_saveexec_b32 s4, s2
; %bb.27:
	ds_read_b32 v0, v12 offset:528
; %bb.28:
	s_or_b32 exec_lo, exec_lo, s4
	s_waitcnt lgkmcnt(0)
	ds_bpermute_b32 v2, v11, v0
	s_waitcnt lgkmcnt(0)
	v_add_f32_e32 v0, v0, v2
	ds_bpermute_b32 v2, v4, v0
	s_waitcnt lgkmcnt(0)
	v_add_f32_e32 v0, v0, v2
	v_mov_b32_e32 v2, 0
	ds_bpermute_b32 v0, v2, v0
	s_and_saveexec_b32 s2, s3
	s_cbranch_execz .LBB98_31
; %bb.29:
	s_waitcnt lgkmcnt(0)
	v_add_f32_e32 v0, 0x358637bd, v0
	s_mov_b32 s3, 0
	v_div_scale_f32 v2, null, v0, v0, 1.0
	v_div_scale_f32 v6, vcc_lo, 1.0, v0, 1.0
	v_rcp_f32_e32 v3, v2
	v_fma_f32 v5, -v2, v3, 1.0
	v_fmac_f32_e32 v3, v5, v3
	v_mul_f32_e32 v5, v6, v3
	v_fma_f32 v7, -v2, v5, v6
	v_fmac_f32_e32 v5, v7, v3
	v_fma_f32 v2, -v2, v5, v6
	v_div_fmas_f32 v2, v2, v3, v5
	v_div_fixup_f32 v0, v2, v0, 1.0
	v_mov_b32_e32 v2, v122
.LBB98_30:                              ; =>This Inner Loop Header: Depth=1
	ds_read_b32 v3, v1
	v_add_nc_u32_e32 v2, 0x80, v2
	v_cmp_le_i32_e32 vcc_lo, s5, v2
	s_or_b32 s3, vcc_lo, s3
	s_waitcnt lgkmcnt(0)
	v_mul_f32_e32 v3, v0, v3
	ds_write_b32 v1, v3
	v_add_nc_u32_e32 v1, 0x200, v1
	s_andn2_b32 exec_lo, exec_lo, s3
	s_cbranch_execnz .LBB98_30
.LBB98_31:
	s_or_b32 exec_lo, exec_lo, s2
	v_mov_b32_e32 v43, 0
	v_mov_b32_e32 v42, 0
	;; [unrolled: 1-line block ×32, first 2 shown]
	s_waitcnt lgkmcnt(0)
	s_barrier
	buffer_gl0_inv
	s_and_saveexec_b32 s3, s1
	s_cbranch_execz .LBB98_101
; %bb.32:
	s_lshl_b64 s[4:5], s[26:27], 2
	v_lshlrev_b32_e32 v0, 3, v122
	s_add_u32 s4, s22, s4
	s_addc_u32 s5, s23, s5
	s_ashr_i32 s15, s14, 31
	v_mov_b32_e32 v6, 0
	s_lshl_b64 s[22:23], s[14:15], 1
	s_sub_i32 s14, s28, s17
	s_add_u32 s15, s24, s22
	s_addc_u32 s17, s25, s23
	s_abs_i32 s18, s18
	v_and_b32_e32 v3, 0xf8, v0
	v_cvt_f32_u32_e32 v1, s18
	s_sub_i32 s1, 0, s18
	v_or_b32_e32 v5, 0x1f00, v0
	v_mov_b32_e32 v12, 0
	v_mov_b32_e32 v13, 0
	v_rcp_iflag_f32_e32 v1, v1
	v_mov_b32_e32 v14, 0
	v_mov_b32_e32 v15, 0
	;; [unrolled: 1-line block ×9, first 2 shown]
	v_mul_f32_e32 v1, 0x4f7ffffe, v1
	v_mov_b32_e32 v23, 0
	v_mov_b32_e32 v24, 0
	;; [unrolled: 1-line block ×4, first 2 shown]
	v_cvt_u32_f32_e32 v1, v1
	v_mov_b32_e32 v27, 0
	v_mov_b32_e32 v28, 0
	;; [unrolled: 1-line block ×4, first 2 shown]
	v_mul_lo_u32 v2, s1, v1
	v_mov_b32_e32 v31, 0
	v_mov_b32_e32 v32, 0
	;; [unrolled: 1-line block ×7, first 2 shown]
	v_mul_hi_u32 v2, v1, v2
	v_mov_b32_e32 v38, 0
	v_mov_b32_e32 v39, 0
	v_and_b32_e32 v44, 24, v0
	v_lshlrev_b32_e32 v45, 1, v3
	v_lshlrev_b32_e32 v46, 1, v5
	v_mov_b32_e32 v40, 0
	v_mov_b32_e32 v41, 0
	v_add_nc_u32_e32 v47, v1, v2
	v_mov_b32_e32 v42, 0
	v_mov_b32_e32 v43, 0
	;; [unrolled: 1-line block ×3, first 2 shown]
	s_add_i32 s23, s16, -1
	s_mov_b32 s22, 0
	s_branch .LBB98_35
.LBB98_33:                              ;   in Loop: Header=BB98_35 Depth=1
	s_or_b32 exec_lo, exec_lo, s2
	v_add_f32_e32 v9, v9, v10
	v_add_f32_e32 v10, v114, v115
	;; [unrolled: 1-line block ×31, first 2 shown]
	v_lshlrev_b32_e32 v10, 16, v62
	v_add_f32_e32 v25, v25, v54
	v_add_f32_e32 v9, v92, v93
	;; [unrolled: 1-line block ×3, first 2 shown]
	v_lshlrev_b32_e32 v8, 16, v8
	v_lshlrev_b32_e32 v7, 16, v7
	v_and_or_b32 v0, 0xffff, v0, v10
	v_add_f32_e32 v26, v26, v55
	v_add_f32_e32 v27, v27, v56
	;; [unrolled: 1-line block ×8, first 2 shown]
	v_and_or_b32 v1, 0xffff, v1, v8
	v_and_or_b32 v2, 0xffff, v2, v7
	;;#ASMSTART
	v_pk_mul_f16 v0, v49, v0;

	;;#ASMEND
	;;#ASMSTART
	v_pk_mul_f16 v1, v48, v1;

	;;#ASMEND
	;; [unrolled: 4-line block ×4, first 2 shown]
	;;#ASMSTART
	v_pk_add_f16 v0, v0, v1;

	;;#ASMEND
	;;#ASMSTART
	v_pk_add_f16 v0, v0, v2;

	;;#ASMEND
	;; [unrolled: 4-line block ×3, first 2 shown]
	v_and_b32_e32 v3, 0xffff, v0
	v_lshrrev_b32_e32 v8, 16, v0
	;;#ASMSTART
	v_cvt_f32_f16 v3, v3;
	;;#ASMEND
	v_add_f32_e32 v31, v31, v55
	v_add_f32_e32 v32, v32, v56
	;; [unrolled: 1-line block ×12, first 2 shown]
	;;#ASMSTART
	v_cvt_f32_f16 v8, v8;
	;;#ASMEND
	v_add_f32_e32 v3, v3, v8
	v_add_f32_e32 v36, v36, v55
	v_add_f32_e32 v37, v37, v56
	v_add_f32_e32 v38, v38, v9
	v_add_f32_e32 v39, v39, v54
	v_add_f32_e32 v40, v40, v7
	v_add_f32_e32 v41, v41, v0
	v_add_f32_e32 v42, v42, v1
	v_add_f32_e32 v43, v43, v2
	v_add_f32_e32 v12, v12, v3
.LBB98_34:                              ;   in Loop: Header=BB98_35 Depth=1
	s_or_b32 exec_lo, exec_lo, s24
	v_add_nc_u32_e32 v5, 4, v5
	v_cmp_le_i32_e32 vcc_lo, s16, v5
	s_or_b32 s22, vcc_lo, s22
	s_andn2_b32 exec_lo, exec_lo, s22
	s_cbranch_execz .LBB98_100
.LBB98_35:                              ; =>This Inner Loop Header: Depth=1
	v_lshlrev_b32_e32 v0, 5, v5
	v_mul_hi_u32 v1, v0, s21
	v_mul_lo_u32 v2, v1, s12
	v_add_nc_u32_e32 v3, 1, v1
	v_sub_nc_u32_e32 v2, v0, v2
	v_subrev_nc_u32_e32 v7, s12, v2
	v_cmp_le_u32_e32 vcc_lo, s12, v2
	v_cndmask_b32_e32 v1, v1, v3, vcc_lo
	v_cndmask_b32_e32 v2, v2, v7, vcc_lo
	v_add_nc_u32_e32 v3, 1, v1
	v_cmp_le_u32_e32 vcc_lo, s12, v2
	v_cndmask_b32_e32 v1, v1, v3, vcc_lo
	v_xor_b32_e32 v1, s19, v1
	v_subrev_nc_u32_e32 v1, s19, v1
	v_add_nc_u32_e32 v2, s31, v1
	v_cmp_lt_i32_e64 s1, s14, v1
	v_sub_nc_u32_e32 v3, 0, v2
	v_max_i32_e32 v3, v2, v3
	v_ashrrev_i32_e32 v2, 31, v2
	v_mul_hi_u32 v7, v3, v47
	v_mul_lo_u32 v7, v7, s18
	v_sub_nc_u32_e32 v3, v3, v7
	v_subrev_nc_u32_e32 v7, s18, v3
	v_cmp_le_u32_e32 vcc_lo, s18, v3
	v_cndmask_b32_e32 v3, v3, v7, vcc_lo
	v_subrev_nc_u32_e32 v7, s18, v3
	v_cmp_le_u32_e32 vcc_lo, s18, v3
	v_cndmask_b32_e32 v3, v3, v7, vcc_lo
	v_xor_b32_e32 v3, v3, v2
	v_sub_nc_u32_e32 v2, v3, v2
	v_cmp_eq_u32_e32 vcc_lo, 0, v2
	s_or_b32 s1, vcc_lo, s1
	s_and_saveexec_b32 s24, s1
	s_cbranch_execz .LBB98_34
; %bb.36:                               ;   in Loop: Header=BB98_35 Depth=1
	v_lshlrev_b64 v[1:2], 2, v[5:6]
	v_or_b32_e32 v54, v0, v44
	v_cmp_eq_u32_e64 s1, s23, v5
	v_lshl_add_u32 v9, v54, 2, 0x220
	v_add_co_u32 v1, vcc_lo, s4, v1
	v_add_co_ci_u32_e64 v2, null, s5, v2, vcc_lo
	v_or_b32_e32 v61, 1, v54
	v_or_b32_e32 v59, 2, v54
	ds_read2_b64 v[55:58], v9 offset0:2 offset1:3
	global_load_dword v7, v[1:2], off
	ds_read2_b64 v[0:3], v9 offset1:1
	s_waitcnt lgkmcnt(0)
	;;#ASMSTART
	v_cvt_f16_f32 v49, v0;

	;;#ASMEND
	;;#ASMSTART
	v_cvt_f16_f32 v9, v1;

	;;#ASMEND
	;;#ASMSTART
	v_cvt_f16_f32 v52, v2;

	;;#ASMEND
	;;#ASMSTART
	v_cvt_f16_f32 v48, v3;

	;;#ASMEND
	;;#ASMSTART
	v_cvt_f16_f32 v53, v55;

	;;#ASMEND
	;;#ASMSTART
	v_cvt_f16_f32 v50, v56;

	;;#ASMEND
	;;#ASMSTART
	v_cvt_f16_f32 v51, v57;

	;;#ASMEND
	;;#ASMSTART
	v_cvt_f16_f32 v10, v58;

	;;#ASMEND
	v_or_b32_e32 v58, 3, v54
	v_or_b32_e32 v56, 4, v54
	;; [unrolled: 1-line block ×5, first 2 shown]
	s_waitcnt vmcnt(0)
	v_mad_i64_i32 v[7:8], null, v7, s13, 0
	v_lshlrev_b64 v[7:8], 1, v[7:8]
	v_add_co_u32 v62, vcc_lo, s15, v7
	v_add_co_ci_u32_e64 v63, null, s17, v8, vcc_lo
	v_add_co_u32 v7, vcc_lo, v62, v45
	v_add_co_ci_u32_e64 v8, null, 0, v63, vcc_lo
	global_load_dwordx4 v[0:3], v[7:8], off
	s_waitcnt vmcnt(0)
	v_lshrrev_b32_e32 v66, 16, v0
	v_lshrrev_b32_e32 v65, 16, v1
	;; [unrolled: 1-line block ×3, first 2 shown]
	s_and_saveexec_b32 s25, s1
	s_cbranch_execz .LBB98_38
; %bb.37:                               ;   in Loop: Header=BB98_35 Depth=1
	v_cmp_gt_i32_e32 vcc_lo, s30, v54
	v_and_b32_e32 v67, 0xffff0000, v3
	v_cmp_gt_i32_e64 s2, s30, v59
	v_cndmask_b32_e32 v0, 0, v0, vcc_lo
	v_cmp_gt_i32_e32 vcc_lo, s30, v61
	v_cndmask_b32_e64 v1, 0, v1, s2
	v_cmp_gt_i32_e64 s2, s30, v58
	v_cndmask_b32_e32 v66, 0, v66, vcc_lo
	v_cmp_gt_i32_e32 vcc_lo, s30, v60
	v_cndmask_b32_e64 v65, 0, v65, s2
	v_cndmask_b32_sdwa v3, v6, v3, vcc_lo dst_sel:DWORD dst_unused:UNUSED_PAD src0_sel:DWORD src1_sel:WORD_0
	v_cmp_gt_i32_e32 vcc_lo, s30, v57
	v_cndmask_b32_e32 v67, 0, v67, vcc_lo
	v_cmp_gt_i32_e32 vcc_lo, s30, v56
	v_or_b32_e32 v3, v3, v67
	v_cndmask_b32_e32 v2, 0, v2, vcc_lo
	v_cmp_gt_i32_e32 vcc_lo, s30, v55
	v_cndmask_b32_e32 v64, 0, v64, vcc_lo
.LBB98_38:                              ;   in Loop: Header=BB98_35 Depth=1
	s_or_b32 exec_lo, exec_lo, s25
	v_and_b32_e32 v49, 0xffff, v49
	v_lshlrev_b32_e32 v66, 16, v66
	v_lshlrev_b32_e32 v64, 16, v64
	v_and_b32_e32 v52, 0xffff, v52
	v_and_b32_e32 v53, 0xffff, v53
	v_lshl_or_b32 v49, v9, 16, v49
	v_lshlrev_b32_e32 v9, 16, v65
	v_and_b32_e32 v51, 0xffff, v51
	v_and_or_b32 v0, 0xffff, v0, v66
	v_and_or_b32 v2, 0xffff, v2, v64
	;;#ASMSTART
	v_pk_mul_f16 v0, v49, v0;

	;;#ASMEND
	v_and_or_b32 v1, 0xffff, v1, v9
	v_lshl_or_b32 v48, v48, 16, v52
	v_lshl_or_b32 v52, v50, 16, v53
	;; [unrolled: 1-line block ×3, first 2 shown]
	;;#ASMSTART
	v_pk_mul_f16 v1, v48, v1;

	;;#ASMEND
	;;#ASMSTART
	v_pk_mul_f16 v2, v52, v2;

	;;#ASMEND
	;;#ASMSTART
	v_pk_mul_f16 v3, v53, v3;

	;;#ASMEND
	;;#ASMSTART
	v_pk_add_f16 v0, v0, v1;

	;;#ASMEND
	;;#ASMSTART
	v_pk_add_f16 v0, v0, v2;

	;;#ASMEND
	;; [unrolled: 4-line block ×3, first 2 shown]
	v_and_b32_e32 v1, 0xffff, v0
	v_lshrrev_b32_e32 v0, 16, v0
	;;#ASMSTART
	v_cvt_f32_f16 v50, v1;
	;;#ASMEND
	;;#ASMSTART
	v_cvt_f32_f16 v51, v0;
	;;#ASMEND
	global_load_dwordx4 v[0:3], v[7:8], off offset:512
	s_waitcnt vmcnt(0)
	v_lshrrev_b32_e32 v64, 16, v0
	v_lshrrev_b32_e32 v10, 16, v1
	;; [unrolled: 1-line block ×3, first 2 shown]
	s_and_saveexec_b32 s25, s1
	s_cbranch_execz .LBB98_40
; %bb.39:                               ;   in Loop: Header=BB98_35 Depth=1
	v_cmp_gt_i32_e32 vcc_lo, s30, v54
	v_and_b32_e32 v65, 0xffff0000, v3
	v_cmp_gt_i32_e64 s2, s30, v59
	v_cndmask_b32_e32 v0, 0, v0, vcc_lo
	v_cmp_gt_i32_e32 vcc_lo, s30, v61
	v_cndmask_b32_e64 v1, 0, v1, s2
	v_cmp_gt_i32_e64 s2, s30, v58
	v_cndmask_b32_e32 v64, 0, v64, vcc_lo
	v_cmp_gt_i32_e32 vcc_lo, s30, v60
	v_cndmask_b32_e64 v10, 0, v10, s2
	v_cndmask_b32_sdwa v3, v6, v3, vcc_lo dst_sel:DWORD dst_unused:UNUSED_PAD src0_sel:DWORD src1_sel:WORD_0
	v_cmp_gt_i32_e32 vcc_lo, s30, v57
	v_cndmask_b32_e32 v65, 0, v65, vcc_lo
	v_cmp_gt_i32_e32 vcc_lo, s30, v56
	v_or_b32_e32 v3, v3, v65
	v_cndmask_b32_e32 v2, 0, v2, vcc_lo
	v_cmp_gt_i32_e32 vcc_lo, s30, v55
	v_cndmask_b32_e32 v9, 0, v9, vcc_lo
.LBB98_40:                              ;   in Loop: Header=BB98_35 Depth=1
	s_or_b32 exec_lo, exec_lo, s25
	v_lshlrev_b32_e32 v64, 16, v64
	v_lshlrev_b32_e32 v10, 16, v10
	;; [unrolled: 1-line block ×3, first 2 shown]
	v_and_or_b32 v0, 0xffff, v0, v64
	v_and_or_b32 v1, 0xffff, v1, v10
	;; [unrolled: 1-line block ×3, first 2 shown]
	;;#ASMSTART
	v_pk_mul_f16 v0, v49, v0;

	;;#ASMEND
	;;#ASMSTART
	v_pk_mul_f16 v1, v48, v1;

	;;#ASMEND
	;; [unrolled: 4-line block ×4, first 2 shown]
	;;#ASMSTART
	v_pk_add_f16 v0, v0, v1;

	;;#ASMEND
	;;#ASMSTART
	v_pk_add_f16 v0, v0, v2;

	;;#ASMEND
	;;#ASMSTART
	v_pk_add_f16 v0, v0, v3;

	;;#ASMEND
	v_and_b32_e32 v1, 0xffff, v0
	v_lshrrev_b32_e32 v0, 16, v0
	;;#ASMSTART
	v_cvt_f32_f16 v64, v1;
	;;#ASMEND
	;;#ASMSTART
	v_cvt_f32_f16 v65, v0;
	;;#ASMEND
	global_load_dwordx4 v[0:3], v[7:8], off offset:1024
	s_waitcnt vmcnt(0)
	v_lshrrev_b32_e32 v66, 16, v0
	v_lshrrev_b32_e32 v10, 16, v1
	;; [unrolled: 1-line block ×3, first 2 shown]
	s_and_saveexec_b32 s25, s1
	s_cbranch_execz .LBB98_42
; %bb.41:                               ;   in Loop: Header=BB98_35 Depth=1
	v_cmp_gt_i32_e32 vcc_lo, s30, v54
	v_and_b32_e32 v67, 0xffff0000, v3
	v_cmp_gt_i32_e64 s2, s30, v59
	v_cndmask_b32_e32 v0, 0, v0, vcc_lo
	v_cmp_gt_i32_e32 vcc_lo, s30, v61
	v_cndmask_b32_e64 v1, 0, v1, s2
	v_cmp_gt_i32_e64 s2, s30, v58
	v_cndmask_b32_e32 v66, 0, v66, vcc_lo
	v_cmp_gt_i32_e32 vcc_lo, s30, v60
	v_cndmask_b32_e64 v10, 0, v10, s2
	v_cndmask_b32_sdwa v3, v6, v3, vcc_lo dst_sel:DWORD dst_unused:UNUSED_PAD src0_sel:DWORD src1_sel:WORD_0
	v_cmp_gt_i32_e32 vcc_lo, s30, v57
	v_cndmask_b32_e32 v67, 0, v67, vcc_lo
	v_cmp_gt_i32_e32 vcc_lo, s30, v56
	v_or_b32_e32 v3, v3, v67
	v_cndmask_b32_e32 v2, 0, v2, vcc_lo
	v_cmp_gt_i32_e32 vcc_lo, s30, v55
	v_cndmask_b32_e32 v9, 0, v9, vcc_lo
.LBB98_42:                              ;   in Loop: Header=BB98_35 Depth=1
	s_or_b32 exec_lo, exec_lo, s25
	v_lshlrev_b32_e32 v66, 16, v66
	v_lshlrev_b32_e32 v10, 16, v10
	;; [unrolled: 1-line block ×3, first 2 shown]
	v_and_or_b32 v0, 0xffff, v0, v66
	v_and_or_b32 v1, 0xffff, v1, v10
	;; [unrolled: 1-line block ×3, first 2 shown]
	;;#ASMSTART
	v_pk_mul_f16 v0, v49, v0;

	;;#ASMEND
	;;#ASMSTART
	v_pk_mul_f16 v1, v48, v1;

	;;#ASMEND
	;; [unrolled: 4-line block ×4, first 2 shown]
	;;#ASMSTART
	v_pk_add_f16 v0, v0, v1;

	;;#ASMEND
	;;#ASMSTART
	v_pk_add_f16 v0, v0, v2;

	;;#ASMEND
	;; [unrolled: 4-line block ×3, first 2 shown]
	v_and_b32_e32 v1, 0xffff, v0
	v_lshrrev_b32_e32 v0, 16, v0
	;;#ASMSTART
	v_cvt_f32_f16 v66, v1;
	;;#ASMEND
	;;#ASMSTART
	v_cvt_f32_f16 v67, v0;
	;;#ASMEND
	global_load_dwordx4 v[0:3], v[7:8], off offset:1536
	s_waitcnt vmcnt(0)
	v_lshrrev_b32_e32 v68, 16, v0
	v_lshrrev_b32_e32 v10, 16, v1
	;; [unrolled: 1-line block ×3, first 2 shown]
	s_and_saveexec_b32 s25, s1
	s_cbranch_execz .LBB98_44
; %bb.43:                               ;   in Loop: Header=BB98_35 Depth=1
	v_cmp_gt_i32_e32 vcc_lo, s30, v54
	v_and_b32_e32 v69, 0xffff0000, v3
	v_cmp_gt_i32_e64 s2, s30, v59
	v_cndmask_b32_e32 v0, 0, v0, vcc_lo
	v_cmp_gt_i32_e32 vcc_lo, s30, v61
	v_cndmask_b32_e64 v1, 0, v1, s2
	v_cmp_gt_i32_e64 s2, s30, v58
	v_cndmask_b32_e32 v68, 0, v68, vcc_lo
	v_cmp_gt_i32_e32 vcc_lo, s30, v60
	v_cndmask_b32_e64 v10, 0, v10, s2
	v_cndmask_b32_sdwa v3, v6, v3, vcc_lo dst_sel:DWORD dst_unused:UNUSED_PAD src0_sel:DWORD src1_sel:WORD_0
	v_cmp_gt_i32_e32 vcc_lo, s30, v57
	v_cndmask_b32_e32 v69, 0, v69, vcc_lo
	v_cmp_gt_i32_e32 vcc_lo, s30, v56
	v_or_b32_e32 v3, v3, v69
	v_cndmask_b32_e32 v2, 0, v2, vcc_lo
	v_cmp_gt_i32_e32 vcc_lo, s30, v55
	v_cndmask_b32_e32 v9, 0, v9, vcc_lo
.LBB98_44:                              ;   in Loop: Header=BB98_35 Depth=1
	s_or_b32 exec_lo, exec_lo, s25
	v_lshlrev_b32_e32 v9, 16, v9
	v_lshlrev_b32_e32 v68, 16, v68
	;; [unrolled: 1-line block ×3, first 2 shown]
	v_and_or_b32 v2, 0xffff, v2, v9
	v_add_co_u32 v9, vcc_lo, 0x800, v7
	v_and_or_b32 v0, 0xffff, v0, v68
	v_and_or_b32 v1, 0xffff, v1, v10
	;;#ASMSTART
	v_pk_mul_f16 v0, v49, v0;

	;;#ASMEND
	v_add_co_ci_u32_e64 v10, null, 0, v8, vcc_lo
	;;#ASMSTART
	v_pk_mul_f16 v1, v48, v1;

	;;#ASMEND
	;;#ASMSTART
	v_pk_mul_f16 v2, v52, v2;

	;;#ASMEND
	;; [unrolled: 4-line block ×3, first 2 shown]
	;;#ASMSTART
	v_pk_add_f16 v0, v0, v1;

	;;#ASMEND
	;;#ASMSTART
	v_pk_add_f16 v0, v0, v2;

	;;#ASMEND
	;; [unrolled: 4-line block ×3, first 2 shown]
	v_lshrrev_b32_e32 v1, 16, v0
	v_and_b32_e32 v0, 0xffff, v0
	;;#ASMSTART
	v_cvt_f32_f16 v68, v0;
	;;#ASMEND
	;;#ASMSTART
	v_cvt_f32_f16 v69, v1;
	;;#ASMEND
	global_load_dwordx4 v[0:3], v[9:10], off
	s_waitcnt vmcnt(0)
	v_lshrrev_b32_e32 v72, 16, v0
	v_lshrrev_b32_e32 v71, 16, v1
	;; [unrolled: 1-line block ×3, first 2 shown]
	s_and_saveexec_b32 s25, s1
	s_cbranch_execz .LBB98_46
; %bb.45:                               ;   in Loop: Header=BB98_35 Depth=1
	v_cmp_gt_i32_e32 vcc_lo, s30, v54
	v_and_b32_e32 v73, 0xffff0000, v3
	v_cmp_gt_i32_e64 s2, s30, v59
	v_cndmask_b32_e32 v0, 0, v0, vcc_lo
	v_cmp_gt_i32_e32 vcc_lo, s30, v61
	v_cndmask_b32_e64 v1, 0, v1, s2
	v_cmp_gt_i32_e64 s2, s30, v58
	v_cndmask_b32_e32 v72, 0, v72, vcc_lo
	v_cmp_gt_i32_e32 vcc_lo, s30, v60
	v_cndmask_b32_e64 v71, 0, v71, s2
	v_cndmask_b32_sdwa v3, v6, v3, vcc_lo dst_sel:DWORD dst_unused:UNUSED_PAD src0_sel:DWORD src1_sel:WORD_0
	v_cmp_gt_i32_e32 vcc_lo, s30, v57
	v_cndmask_b32_e32 v73, 0, v73, vcc_lo
	v_cmp_gt_i32_e32 vcc_lo, s30, v56
	v_or_b32_e32 v3, v3, v73
	v_cndmask_b32_e32 v2, 0, v2, vcc_lo
	v_cmp_gt_i32_e32 vcc_lo, s30, v55
	v_cndmask_b32_e32 v70, 0, v70, vcc_lo
.LBB98_46:                              ;   in Loop: Header=BB98_35 Depth=1
	s_or_b32 exec_lo, exec_lo, s25
	v_lshlrev_b32_e32 v72, 16, v72
	v_lshlrev_b32_e32 v71, 16, v71
	;; [unrolled: 1-line block ×3, first 2 shown]
	v_and_or_b32 v0, 0xffff, v0, v72
	v_and_or_b32 v1, 0xffff, v1, v71
	;; [unrolled: 1-line block ×3, first 2 shown]
	;;#ASMSTART
	v_pk_mul_f16 v0, v49, v0;

	;;#ASMEND
	;;#ASMSTART
	v_pk_mul_f16 v1, v48, v1;

	;;#ASMEND
	;; [unrolled: 4-line block ×4, first 2 shown]
	;;#ASMSTART
	v_pk_add_f16 v0, v0, v1;

	;;#ASMEND
	;;#ASMSTART
	v_pk_add_f16 v0, v0, v2;

	;;#ASMEND
	;; [unrolled: 4-line block ×3, first 2 shown]
	v_and_b32_e32 v1, 0xffff, v0
	v_lshrrev_b32_e32 v0, 16, v0
	;;#ASMSTART
	v_cvt_f32_f16 v70, v1;
	;;#ASMEND
	;;#ASMSTART
	v_cvt_f32_f16 v71, v0;
	;;#ASMEND
	global_load_dwordx4 v[0:3], v[9:10], off offset:512
	s_waitcnt vmcnt(0)
	v_lshrrev_b32_e32 v74, 16, v0
	v_lshrrev_b32_e32 v73, 16, v1
	;; [unrolled: 1-line block ×3, first 2 shown]
	s_and_saveexec_b32 s25, s1
	s_cbranch_execz .LBB98_48
; %bb.47:                               ;   in Loop: Header=BB98_35 Depth=1
	v_cmp_gt_i32_e32 vcc_lo, s30, v54
	v_and_b32_e32 v75, 0xffff0000, v3
	v_cmp_gt_i32_e64 s2, s30, v59
	v_cndmask_b32_e32 v0, 0, v0, vcc_lo
	v_cmp_gt_i32_e32 vcc_lo, s30, v61
	v_cndmask_b32_e64 v1, 0, v1, s2
	v_cmp_gt_i32_e64 s2, s30, v58
	v_cndmask_b32_e32 v74, 0, v74, vcc_lo
	v_cmp_gt_i32_e32 vcc_lo, s30, v60
	v_cndmask_b32_e64 v73, 0, v73, s2
	v_cndmask_b32_sdwa v3, v6, v3, vcc_lo dst_sel:DWORD dst_unused:UNUSED_PAD src0_sel:DWORD src1_sel:WORD_0
	v_cmp_gt_i32_e32 vcc_lo, s30, v57
	v_cndmask_b32_e32 v75, 0, v75, vcc_lo
	v_cmp_gt_i32_e32 vcc_lo, s30, v56
	v_or_b32_e32 v3, v3, v75
	v_cndmask_b32_e32 v2, 0, v2, vcc_lo
	v_cmp_gt_i32_e32 vcc_lo, s30, v55
	v_cndmask_b32_e32 v72, 0, v72, vcc_lo
.LBB98_48:                              ;   in Loop: Header=BB98_35 Depth=1
	s_or_b32 exec_lo, exec_lo, s25
	v_lshlrev_b32_e32 v74, 16, v74
	v_lshlrev_b32_e32 v73, 16, v73
	;; [unrolled: 1-line block ×3, first 2 shown]
	v_and_or_b32 v0, 0xffff, v0, v74
	v_and_or_b32 v1, 0xffff, v1, v73
	;; [unrolled: 1-line block ×3, first 2 shown]
	;;#ASMSTART
	v_pk_mul_f16 v0, v49, v0;

	;;#ASMEND
	;;#ASMSTART
	v_pk_mul_f16 v1, v48, v1;

	;;#ASMEND
	;; [unrolled: 4-line block ×4, first 2 shown]
	;;#ASMSTART
	v_pk_add_f16 v0, v0, v1;

	;;#ASMEND
	;;#ASMSTART
	v_pk_add_f16 v0, v0, v2;

	;;#ASMEND
	;; [unrolled: 4-line block ×3, first 2 shown]
	v_and_b32_e32 v1, 0xffff, v0
	v_lshrrev_b32_e32 v0, 16, v0
	;;#ASMSTART
	v_cvt_f32_f16 v72, v1;
	;;#ASMEND
	;;#ASMSTART
	v_cvt_f32_f16 v73, v0;
	;;#ASMEND
	global_load_dwordx4 v[0:3], v[9:10], off offset:1024
	s_waitcnt vmcnt(0)
	v_lshrrev_b32_e32 v76, 16, v0
	v_lshrrev_b32_e32 v75, 16, v1
	v_lshrrev_b32_e32 v74, 16, v2
	s_and_saveexec_b32 s25, s1
	s_cbranch_execz .LBB98_50
; %bb.49:                               ;   in Loop: Header=BB98_35 Depth=1
	v_cmp_gt_i32_e32 vcc_lo, s30, v54
	v_and_b32_e32 v77, 0xffff0000, v3
	v_cmp_gt_i32_e64 s2, s30, v59
	v_cndmask_b32_e32 v0, 0, v0, vcc_lo
	v_cmp_gt_i32_e32 vcc_lo, s30, v61
	v_cndmask_b32_e64 v1, 0, v1, s2
	v_cmp_gt_i32_e64 s2, s30, v58
	v_cndmask_b32_e32 v76, 0, v76, vcc_lo
	v_cmp_gt_i32_e32 vcc_lo, s30, v60
	v_cndmask_b32_e64 v75, 0, v75, s2
	v_cndmask_b32_sdwa v3, v6, v3, vcc_lo dst_sel:DWORD dst_unused:UNUSED_PAD src0_sel:DWORD src1_sel:WORD_0
	v_cmp_gt_i32_e32 vcc_lo, s30, v57
	v_cndmask_b32_e32 v77, 0, v77, vcc_lo
	v_cmp_gt_i32_e32 vcc_lo, s30, v56
	v_or_b32_e32 v3, v3, v77
	v_cndmask_b32_e32 v2, 0, v2, vcc_lo
	v_cmp_gt_i32_e32 vcc_lo, s30, v55
	v_cndmask_b32_e32 v74, 0, v74, vcc_lo
.LBB98_50:                              ;   in Loop: Header=BB98_35 Depth=1
	s_or_b32 exec_lo, exec_lo, s25
	v_lshlrev_b32_e32 v76, 16, v76
	v_lshlrev_b32_e32 v75, 16, v75
	;; [unrolled: 1-line block ×3, first 2 shown]
	v_and_or_b32 v0, 0xffff, v0, v76
	v_and_or_b32 v1, 0xffff, v1, v75
	;; [unrolled: 1-line block ×3, first 2 shown]
	;;#ASMSTART
	v_pk_mul_f16 v0, v49, v0;

	;;#ASMEND
	;;#ASMSTART
	v_pk_mul_f16 v1, v48, v1;

	;;#ASMEND
	;; [unrolled: 4-line block ×4, first 2 shown]
	;;#ASMSTART
	v_pk_add_f16 v0, v0, v1;

	;;#ASMEND
	;;#ASMSTART
	v_pk_add_f16 v0, v0, v2;

	;;#ASMEND
	;; [unrolled: 4-line block ×3, first 2 shown]
	v_and_b32_e32 v1, 0xffff, v0
	v_lshrrev_b32_e32 v0, 16, v0
	;;#ASMSTART
	v_cvt_f32_f16 v74, v1;
	;;#ASMEND
	;;#ASMSTART
	v_cvt_f32_f16 v75, v0;
	;;#ASMEND
	global_load_dwordx4 v[0:3], v[9:10], off offset:1536
	s_waitcnt vmcnt(0)
	v_lshrrev_b32_e32 v76, 16, v0
	v_lshrrev_b32_e32 v10, 16, v1
	;; [unrolled: 1-line block ×3, first 2 shown]
	s_and_saveexec_b32 s25, s1
	s_cbranch_execz .LBB98_52
; %bb.51:                               ;   in Loop: Header=BB98_35 Depth=1
	v_cmp_gt_i32_e32 vcc_lo, s30, v54
	v_and_b32_e32 v77, 0xffff0000, v3
	v_cmp_gt_i32_e64 s2, s30, v59
	v_cndmask_b32_e32 v0, 0, v0, vcc_lo
	v_cmp_gt_i32_e32 vcc_lo, s30, v61
	v_cndmask_b32_e64 v1, 0, v1, s2
	v_cmp_gt_i32_e64 s2, s30, v58
	v_cndmask_b32_e32 v76, 0, v76, vcc_lo
	v_cmp_gt_i32_e32 vcc_lo, s30, v60
	v_cndmask_b32_e64 v10, 0, v10, s2
	v_cndmask_b32_sdwa v3, v6, v3, vcc_lo dst_sel:DWORD dst_unused:UNUSED_PAD src0_sel:DWORD src1_sel:WORD_0
	v_cmp_gt_i32_e32 vcc_lo, s30, v57
	v_cndmask_b32_e32 v77, 0, v77, vcc_lo
	v_cmp_gt_i32_e32 vcc_lo, s30, v56
	v_or_b32_e32 v3, v3, v77
	v_cndmask_b32_e32 v2, 0, v2, vcc_lo
	v_cmp_gt_i32_e32 vcc_lo, s30, v55
	v_cndmask_b32_e32 v9, 0, v9, vcc_lo
.LBB98_52:                              ;   in Loop: Header=BB98_35 Depth=1
	s_or_b32 exec_lo, exec_lo, s25
	v_lshlrev_b32_e32 v9, 16, v9
	v_lshlrev_b32_e32 v76, 16, v76
	v_lshlrev_b32_e32 v10, 16, v10
	v_and_or_b32 v2, 0xffff, v2, v9
	v_add_co_u32 v9, vcc_lo, 0x1000, v7
	v_and_or_b32 v0, 0xffff, v0, v76
	v_and_or_b32 v1, 0xffff, v1, v10
	;;#ASMSTART
	v_pk_mul_f16 v0, v49, v0;

	;;#ASMEND
	v_add_co_ci_u32_e64 v10, null, 0, v8, vcc_lo
	;;#ASMSTART
	v_pk_mul_f16 v1, v48, v1;

	;;#ASMEND
	;;#ASMSTART
	v_pk_mul_f16 v2, v52, v2;

	;;#ASMEND
	;; [unrolled: 4-line block ×3, first 2 shown]
	;;#ASMSTART
	v_pk_add_f16 v0, v0, v1;

	;;#ASMEND
	;;#ASMSTART
	v_pk_add_f16 v0, v0, v2;

	;;#ASMEND
	;; [unrolled: 4-line block ×3, first 2 shown]
	v_lshrrev_b32_e32 v1, 16, v0
	v_and_b32_e32 v0, 0xffff, v0
	;;#ASMSTART
	v_cvt_f32_f16 v76, v0;
	;;#ASMEND
	;;#ASMSTART
	v_cvt_f32_f16 v77, v1;
	;;#ASMEND
	global_load_dwordx4 v[0:3], v[9:10], off
	s_waitcnt vmcnt(0)
	v_lshrrev_b32_e32 v80, 16, v0
	v_lshrrev_b32_e32 v79, 16, v1
	;; [unrolled: 1-line block ×3, first 2 shown]
	s_and_saveexec_b32 s25, s1
	s_cbranch_execz .LBB98_54
; %bb.53:                               ;   in Loop: Header=BB98_35 Depth=1
	v_cmp_gt_i32_e32 vcc_lo, s30, v54
	v_and_b32_e32 v81, 0xffff0000, v3
	v_cmp_gt_i32_e64 s2, s30, v59
	v_cndmask_b32_e32 v0, 0, v0, vcc_lo
	v_cmp_gt_i32_e32 vcc_lo, s30, v61
	v_cndmask_b32_e64 v1, 0, v1, s2
	v_cmp_gt_i32_e64 s2, s30, v58
	v_cndmask_b32_e32 v80, 0, v80, vcc_lo
	v_cmp_gt_i32_e32 vcc_lo, s30, v60
	v_cndmask_b32_e64 v79, 0, v79, s2
	v_cndmask_b32_sdwa v3, v6, v3, vcc_lo dst_sel:DWORD dst_unused:UNUSED_PAD src0_sel:DWORD src1_sel:WORD_0
	v_cmp_gt_i32_e32 vcc_lo, s30, v57
	v_cndmask_b32_e32 v81, 0, v81, vcc_lo
	v_cmp_gt_i32_e32 vcc_lo, s30, v56
	v_or_b32_e32 v3, v3, v81
	v_cndmask_b32_e32 v2, 0, v2, vcc_lo
	v_cmp_gt_i32_e32 vcc_lo, s30, v55
	v_cndmask_b32_e32 v78, 0, v78, vcc_lo
.LBB98_54:                              ;   in Loop: Header=BB98_35 Depth=1
	s_or_b32 exec_lo, exec_lo, s25
	v_lshlrev_b32_e32 v80, 16, v80
	v_lshlrev_b32_e32 v79, 16, v79
	v_lshlrev_b32_e32 v78, 16, v78
	v_and_or_b32 v0, 0xffff, v0, v80
	v_and_or_b32 v1, 0xffff, v1, v79
	;; [unrolled: 1-line block ×3, first 2 shown]
	;;#ASMSTART
	v_pk_mul_f16 v0, v49, v0;

	;;#ASMEND
	;;#ASMSTART
	v_pk_mul_f16 v1, v48, v1;

	;;#ASMEND
	;; [unrolled: 4-line block ×4, first 2 shown]
	;;#ASMSTART
	v_pk_add_f16 v0, v0, v1;

	;;#ASMEND
	;;#ASMSTART
	v_pk_add_f16 v0, v0, v2;

	;;#ASMEND
	;; [unrolled: 4-line block ×3, first 2 shown]
	v_and_b32_e32 v1, 0xffff, v0
	v_lshrrev_b32_e32 v0, 16, v0
	;;#ASMSTART
	v_cvt_f32_f16 v78, v1;
	;;#ASMEND
	;;#ASMSTART
	v_cvt_f32_f16 v79, v0;
	;;#ASMEND
	global_load_dwordx4 v[0:3], v[9:10], off offset:512
	s_waitcnt vmcnt(0)
	v_lshrrev_b32_e32 v82, 16, v0
	v_lshrrev_b32_e32 v81, 16, v1
	;; [unrolled: 1-line block ×3, first 2 shown]
	s_and_saveexec_b32 s25, s1
	s_cbranch_execz .LBB98_56
; %bb.55:                               ;   in Loop: Header=BB98_35 Depth=1
	v_cmp_gt_i32_e32 vcc_lo, s30, v54
	v_and_b32_e32 v83, 0xffff0000, v3
	v_cmp_gt_i32_e64 s2, s30, v59
	v_cndmask_b32_e32 v0, 0, v0, vcc_lo
	v_cmp_gt_i32_e32 vcc_lo, s30, v61
	v_cndmask_b32_e64 v1, 0, v1, s2
	v_cmp_gt_i32_e64 s2, s30, v58
	v_cndmask_b32_e32 v82, 0, v82, vcc_lo
	v_cmp_gt_i32_e32 vcc_lo, s30, v60
	v_cndmask_b32_e64 v81, 0, v81, s2
	v_cndmask_b32_sdwa v3, v6, v3, vcc_lo dst_sel:DWORD dst_unused:UNUSED_PAD src0_sel:DWORD src1_sel:WORD_0
	v_cmp_gt_i32_e32 vcc_lo, s30, v57
	v_cndmask_b32_e32 v83, 0, v83, vcc_lo
	v_cmp_gt_i32_e32 vcc_lo, s30, v56
	v_or_b32_e32 v3, v3, v83
	v_cndmask_b32_e32 v2, 0, v2, vcc_lo
	v_cmp_gt_i32_e32 vcc_lo, s30, v55
	v_cndmask_b32_e32 v80, 0, v80, vcc_lo
.LBB98_56:                              ;   in Loop: Header=BB98_35 Depth=1
	s_or_b32 exec_lo, exec_lo, s25
	v_lshlrev_b32_e32 v82, 16, v82
	v_lshlrev_b32_e32 v81, 16, v81
	;; [unrolled: 1-line block ×3, first 2 shown]
	v_and_or_b32 v0, 0xffff, v0, v82
	v_and_or_b32 v1, 0xffff, v1, v81
	;; [unrolled: 1-line block ×3, first 2 shown]
	;;#ASMSTART
	v_pk_mul_f16 v0, v49, v0;

	;;#ASMEND
	;;#ASMSTART
	v_pk_mul_f16 v1, v48, v1;

	;;#ASMEND
	;; [unrolled: 4-line block ×4, first 2 shown]
	;;#ASMSTART
	v_pk_add_f16 v0, v0, v1;

	;;#ASMEND
	;;#ASMSTART
	v_pk_add_f16 v0, v0, v2;

	;;#ASMEND
	;; [unrolled: 4-line block ×3, first 2 shown]
	v_and_b32_e32 v1, 0xffff, v0
	v_lshrrev_b32_e32 v0, 16, v0
	;;#ASMSTART
	v_cvt_f32_f16 v80, v1;
	;;#ASMEND
	;;#ASMSTART
	v_cvt_f32_f16 v81, v0;
	;;#ASMEND
	global_load_dwordx4 v[0:3], v[9:10], off offset:1024
	s_waitcnt vmcnt(0)
	v_lshrrev_b32_e32 v84, 16, v0
	v_lshrrev_b32_e32 v83, 16, v1
	;; [unrolled: 1-line block ×3, first 2 shown]
	s_and_saveexec_b32 s25, s1
	s_cbranch_execz .LBB98_58
; %bb.57:                               ;   in Loop: Header=BB98_35 Depth=1
	v_cmp_gt_i32_e32 vcc_lo, s30, v54
	v_and_b32_e32 v85, 0xffff0000, v3
	v_cmp_gt_i32_e64 s2, s30, v59
	v_cndmask_b32_e32 v0, 0, v0, vcc_lo
	v_cmp_gt_i32_e32 vcc_lo, s30, v61
	v_cndmask_b32_e64 v1, 0, v1, s2
	v_cmp_gt_i32_e64 s2, s30, v58
	v_cndmask_b32_e32 v84, 0, v84, vcc_lo
	v_cmp_gt_i32_e32 vcc_lo, s30, v60
	v_cndmask_b32_e64 v83, 0, v83, s2
	v_cndmask_b32_sdwa v3, v6, v3, vcc_lo dst_sel:DWORD dst_unused:UNUSED_PAD src0_sel:DWORD src1_sel:WORD_0
	v_cmp_gt_i32_e32 vcc_lo, s30, v57
	v_cndmask_b32_e32 v85, 0, v85, vcc_lo
	v_cmp_gt_i32_e32 vcc_lo, s30, v56
	v_or_b32_e32 v3, v3, v85
	v_cndmask_b32_e32 v2, 0, v2, vcc_lo
	v_cmp_gt_i32_e32 vcc_lo, s30, v55
	v_cndmask_b32_e32 v82, 0, v82, vcc_lo
.LBB98_58:                              ;   in Loop: Header=BB98_35 Depth=1
	s_or_b32 exec_lo, exec_lo, s25
	v_lshlrev_b32_e32 v84, 16, v84
	v_lshlrev_b32_e32 v83, 16, v83
	;; [unrolled: 1-line block ×3, first 2 shown]
	v_and_or_b32 v0, 0xffff, v0, v84
	v_and_or_b32 v1, 0xffff, v1, v83
	;; [unrolled: 1-line block ×3, first 2 shown]
	;;#ASMSTART
	v_pk_mul_f16 v0, v49, v0;

	;;#ASMEND
	;;#ASMSTART
	v_pk_mul_f16 v1, v48, v1;

	;;#ASMEND
	;; [unrolled: 4-line block ×4, first 2 shown]
	;;#ASMSTART
	v_pk_add_f16 v0, v0, v1;

	;;#ASMEND
	;;#ASMSTART
	v_pk_add_f16 v0, v0, v2;

	;;#ASMEND
	;;#ASMSTART
	v_pk_add_f16 v0, v0, v3;

	;;#ASMEND
	v_and_b32_e32 v1, 0xffff, v0
	v_lshrrev_b32_e32 v0, 16, v0
	;;#ASMSTART
	v_cvt_f32_f16 v82, v1;
	;;#ASMEND
	;;#ASMSTART
	v_cvt_f32_f16 v83, v0;
	;;#ASMEND
	global_load_dwordx4 v[0:3], v[9:10], off offset:1536
	s_waitcnt vmcnt(0)
	v_lshrrev_b32_e32 v84, 16, v0
	v_lshrrev_b32_e32 v10, 16, v1
	;; [unrolled: 1-line block ×3, first 2 shown]
	s_and_saveexec_b32 s25, s1
	s_cbranch_execz .LBB98_60
; %bb.59:                               ;   in Loop: Header=BB98_35 Depth=1
	v_cmp_gt_i32_e32 vcc_lo, s30, v54
	v_and_b32_e32 v85, 0xffff0000, v3
	v_cmp_gt_i32_e64 s2, s30, v59
	v_cndmask_b32_e32 v0, 0, v0, vcc_lo
	v_cmp_gt_i32_e32 vcc_lo, s30, v61
	v_cndmask_b32_e64 v1, 0, v1, s2
	v_cmp_gt_i32_e64 s2, s30, v58
	v_cndmask_b32_e32 v84, 0, v84, vcc_lo
	v_cmp_gt_i32_e32 vcc_lo, s30, v60
	v_cndmask_b32_e64 v10, 0, v10, s2
	v_cndmask_b32_sdwa v3, v6, v3, vcc_lo dst_sel:DWORD dst_unused:UNUSED_PAD src0_sel:DWORD src1_sel:WORD_0
	v_cmp_gt_i32_e32 vcc_lo, s30, v57
	v_cndmask_b32_e32 v85, 0, v85, vcc_lo
	v_cmp_gt_i32_e32 vcc_lo, s30, v56
	v_or_b32_e32 v3, v3, v85
	v_cndmask_b32_e32 v2, 0, v2, vcc_lo
	v_cmp_gt_i32_e32 vcc_lo, s30, v55
	v_cndmask_b32_e32 v9, 0, v9, vcc_lo
.LBB98_60:                              ;   in Loop: Header=BB98_35 Depth=1
	s_or_b32 exec_lo, exec_lo, s25
	v_lshlrev_b32_e32 v9, 16, v9
	v_lshlrev_b32_e32 v84, 16, v84
	;; [unrolled: 1-line block ×3, first 2 shown]
	v_and_or_b32 v2, 0xffff, v2, v9
	v_add_co_u32 v9, vcc_lo, 0x1800, v7
	v_and_or_b32 v0, 0xffff, v0, v84
	v_and_or_b32 v1, 0xffff, v1, v10
	;;#ASMSTART
	v_pk_mul_f16 v0, v49, v0;

	;;#ASMEND
	v_add_co_ci_u32_e64 v10, null, 0, v8, vcc_lo
	;;#ASMSTART
	v_pk_mul_f16 v1, v48, v1;

	;;#ASMEND
	;;#ASMSTART
	v_pk_mul_f16 v2, v52, v2;

	;;#ASMEND
	;;#ASMSTART
	v_pk_mul_f16 v3, v53, v3;

	;;#ASMEND
	;;#ASMSTART
	v_pk_add_f16 v0, v0, v1;

	;;#ASMEND
	;;#ASMSTART
	v_pk_add_f16 v0, v0, v2;

	;;#ASMEND
	;; [unrolled: 4-line block ×3, first 2 shown]
	v_lshrrev_b32_e32 v1, 16, v0
	v_and_b32_e32 v0, 0xffff, v0
	;;#ASMSTART
	v_cvt_f32_f16 v84, v0;
	;;#ASMEND
	;;#ASMSTART
	v_cvt_f32_f16 v85, v1;
	;;#ASMEND
	global_load_dwordx4 v[0:3], v[9:10], off
	s_waitcnt vmcnt(0)
	v_lshrrev_b32_e32 v88, 16, v0
	v_lshrrev_b32_e32 v87, 16, v1
	;; [unrolled: 1-line block ×3, first 2 shown]
	s_and_saveexec_b32 s25, s1
	s_cbranch_execz .LBB98_62
; %bb.61:                               ;   in Loop: Header=BB98_35 Depth=1
	v_cmp_gt_i32_e32 vcc_lo, s30, v54
	v_and_b32_e32 v89, 0xffff0000, v3
	v_cmp_gt_i32_e64 s2, s30, v59
	v_cndmask_b32_e32 v0, 0, v0, vcc_lo
	v_cmp_gt_i32_e32 vcc_lo, s30, v61
	v_cndmask_b32_e64 v1, 0, v1, s2
	v_cmp_gt_i32_e64 s2, s30, v58
	v_cndmask_b32_e32 v88, 0, v88, vcc_lo
	v_cmp_gt_i32_e32 vcc_lo, s30, v60
	v_cndmask_b32_e64 v87, 0, v87, s2
	v_cndmask_b32_sdwa v3, v6, v3, vcc_lo dst_sel:DWORD dst_unused:UNUSED_PAD src0_sel:DWORD src1_sel:WORD_0
	v_cmp_gt_i32_e32 vcc_lo, s30, v57
	v_cndmask_b32_e32 v89, 0, v89, vcc_lo
	v_cmp_gt_i32_e32 vcc_lo, s30, v56
	v_or_b32_e32 v3, v3, v89
	v_cndmask_b32_e32 v2, 0, v2, vcc_lo
	v_cmp_gt_i32_e32 vcc_lo, s30, v55
	v_cndmask_b32_e32 v86, 0, v86, vcc_lo
.LBB98_62:                              ;   in Loop: Header=BB98_35 Depth=1
	s_or_b32 exec_lo, exec_lo, s25
	v_lshlrev_b32_e32 v88, 16, v88
	v_lshlrev_b32_e32 v87, 16, v87
	;; [unrolled: 1-line block ×3, first 2 shown]
	v_and_or_b32 v0, 0xffff, v0, v88
	v_and_or_b32 v1, 0xffff, v1, v87
	;; [unrolled: 1-line block ×3, first 2 shown]
	;;#ASMSTART
	v_pk_mul_f16 v0, v49, v0;

	;;#ASMEND
	;;#ASMSTART
	v_pk_mul_f16 v1, v48, v1;

	;;#ASMEND
	;; [unrolled: 4-line block ×4, first 2 shown]
	;;#ASMSTART
	v_pk_add_f16 v0, v0, v1;

	;;#ASMEND
	;;#ASMSTART
	v_pk_add_f16 v0, v0, v2;

	;;#ASMEND
	;; [unrolled: 4-line block ×3, first 2 shown]
	v_and_b32_e32 v1, 0xffff, v0
	v_lshrrev_b32_e32 v0, 16, v0
	;;#ASMSTART
	v_cvt_f32_f16 v86, v1;
	;;#ASMEND
	;;#ASMSTART
	v_cvt_f32_f16 v87, v0;
	;;#ASMEND
	global_load_dwordx4 v[0:3], v[9:10], off offset:512
	s_waitcnt vmcnt(0)
	v_lshrrev_b32_e32 v90, 16, v0
	v_lshrrev_b32_e32 v89, 16, v1
	;; [unrolled: 1-line block ×3, first 2 shown]
	s_and_saveexec_b32 s25, s1
	s_cbranch_execz .LBB98_64
; %bb.63:                               ;   in Loop: Header=BB98_35 Depth=1
	v_cmp_gt_i32_e32 vcc_lo, s30, v54
	v_and_b32_e32 v91, 0xffff0000, v3
	v_cmp_gt_i32_e64 s2, s30, v59
	v_cndmask_b32_e32 v0, 0, v0, vcc_lo
	v_cmp_gt_i32_e32 vcc_lo, s30, v61
	v_cndmask_b32_e64 v1, 0, v1, s2
	v_cmp_gt_i32_e64 s2, s30, v58
	v_cndmask_b32_e32 v90, 0, v90, vcc_lo
	v_cmp_gt_i32_e32 vcc_lo, s30, v60
	v_cndmask_b32_e64 v89, 0, v89, s2
	v_cndmask_b32_sdwa v3, v6, v3, vcc_lo dst_sel:DWORD dst_unused:UNUSED_PAD src0_sel:DWORD src1_sel:WORD_0
	v_cmp_gt_i32_e32 vcc_lo, s30, v57
	v_cndmask_b32_e32 v91, 0, v91, vcc_lo
	v_cmp_gt_i32_e32 vcc_lo, s30, v56
	v_or_b32_e32 v3, v3, v91
	v_cndmask_b32_e32 v2, 0, v2, vcc_lo
	v_cmp_gt_i32_e32 vcc_lo, s30, v55
	v_cndmask_b32_e32 v88, 0, v88, vcc_lo
.LBB98_64:                              ;   in Loop: Header=BB98_35 Depth=1
	s_or_b32 exec_lo, exec_lo, s25
	v_lshlrev_b32_e32 v90, 16, v90
	v_lshlrev_b32_e32 v89, 16, v89
	;; [unrolled: 1-line block ×3, first 2 shown]
	v_and_or_b32 v0, 0xffff, v0, v90
	v_and_or_b32 v1, 0xffff, v1, v89
	;; [unrolled: 1-line block ×3, first 2 shown]
	;;#ASMSTART
	v_pk_mul_f16 v0, v49, v0;

	;;#ASMEND
	;;#ASMSTART
	v_pk_mul_f16 v1, v48, v1;

	;;#ASMEND
	;; [unrolled: 4-line block ×4, first 2 shown]
	;;#ASMSTART
	v_pk_add_f16 v0, v0, v1;

	;;#ASMEND
	;;#ASMSTART
	v_pk_add_f16 v0, v0, v2;

	;;#ASMEND
	;; [unrolled: 4-line block ×3, first 2 shown]
	v_and_b32_e32 v1, 0xffff, v0
	v_lshrrev_b32_e32 v0, 16, v0
	;;#ASMSTART
	v_cvt_f32_f16 v88, v1;
	;;#ASMEND
	;;#ASMSTART
	v_cvt_f32_f16 v89, v0;
	;;#ASMEND
	global_load_dwordx4 v[0:3], v[9:10], off offset:1024
	s_waitcnt vmcnt(0)
	v_lshrrev_b32_e32 v92, 16, v0
	v_lshrrev_b32_e32 v91, 16, v1
	;; [unrolled: 1-line block ×3, first 2 shown]
	s_and_saveexec_b32 s25, s1
	s_cbranch_execz .LBB98_66
; %bb.65:                               ;   in Loop: Header=BB98_35 Depth=1
	v_cmp_gt_i32_e32 vcc_lo, s30, v54
	v_and_b32_e32 v93, 0xffff0000, v3
	v_cmp_gt_i32_e64 s2, s30, v59
	v_cndmask_b32_e32 v0, 0, v0, vcc_lo
	v_cmp_gt_i32_e32 vcc_lo, s30, v61
	v_cndmask_b32_e64 v1, 0, v1, s2
	v_cmp_gt_i32_e64 s2, s30, v58
	v_cndmask_b32_e32 v92, 0, v92, vcc_lo
	v_cmp_gt_i32_e32 vcc_lo, s30, v60
	v_cndmask_b32_e64 v91, 0, v91, s2
	v_cndmask_b32_sdwa v3, v6, v3, vcc_lo dst_sel:DWORD dst_unused:UNUSED_PAD src0_sel:DWORD src1_sel:WORD_0
	v_cmp_gt_i32_e32 vcc_lo, s30, v57
	v_cndmask_b32_e32 v93, 0, v93, vcc_lo
	v_cmp_gt_i32_e32 vcc_lo, s30, v56
	v_or_b32_e32 v3, v3, v93
	v_cndmask_b32_e32 v2, 0, v2, vcc_lo
	v_cmp_gt_i32_e32 vcc_lo, s30, v55
	v_cndmask_b32_e32 v90, 0, v90, vcc_lo
.LBB98_66:                              ;   in Loop: Header=BB98_35 Depth=1
	s_or_b32 exec_lo, exec_lo, s25
	v_lshlrev_b32_e32 v92, 16, v92
	v_lshlrev_b32_e32 v91, 16, v91
	;; [unrolled: 1-line block ×3, first 2 shown]
	v_and_or_b32 v0, 0xffff, v0, v92
	v_and_or_b32 v1, 0xffff, v1, v91
	v_and_or_b32 v2, 0xffff, v2, v90
	;;#ASMSTART
	v_pk_mul_f16 v0, v49, v0;

	;;#ASMEND
	;;#ASMSTART
	v_pk_mul_f16 v1, v48, v1;

	;;#ASMEND
	;; [unrolled: 4-line block ×4, first 2 shown]
	;;#ASMSTART
	v_pk_add_f16 v0, v0, v1;

	;;#ASMEND
	;;#ASMSTART
	v_pk_add_f16 v0, v0, v2;

	;;#ASMEND
	;; [unrolled: 4-line block ×3, first 2 shown]
	v_and_b32_e32 v1, 0xffff, v0
	v_lshrrev_b32_e32 v0, 16, v0
	;;#ASMSTART
	v_cvt_f32_f16 v90, v1;
	;;#ASMEND
	;;#ASMSTART
	v_cvt_f32_f16 v91, v0;
	;;#ASMEND
	global_load_dwordx4 v[0:3], v[9:10], off offset:1536
	s_waitcnt vmcnt(0)
	v_lshrrev_b32_e32 v92, 16, v0
	v_lshrrev_b32_e32 v10, 16, v1
	;; [unrolled: 1-line block ×3, first 2 shown]
	s_and_saveexec_b32 s25, s1
	s_cbranch_execz .LBB98_68
; %bb.67:                               ;   in Loop: Header=BB98_35 Depth=1
	v_cmp_gt_i32_e32 vcc_lo, s30, v54
	v_and_b32_e32 v93, 0xffff0000, v3
	v_cmp_gt_i32_e64 s2, s30, v59
	v_cndmask_b32_e32 v0, 0, v0, vcc_lo
	v_cmp_gt_i32_e32 vcc_lo, s30, v61
	v_cndmask_b32_e64 v1, 0, v1, s2
	v_cmp_gt_i32_e64 s2, s30, v58
	v_cndmask_b32_e32 v92, 0, v92, vcc_lo
	v_cmp_gt_i32_e32 vcc_lo, s30, v60
	v_cndmask_b32_e64 v10, 0, v10, s2
	v_cndmask_b32_sdwa v3, v6, v3, vcc_lo dst_sel:DWORD dst_unused:UNUSED_PAD src0_sel:DWORD src1_sel:WORD_0
	v_cmp_gt_i32_e32 vcc_lo, s30, v57
	v_cndmask_b32_e32 v93, 0, v93, vcc_lo
	v_cmp_gt_i32_e32 vcc_lo, s30, v56
	v_or_b32_e32 v3, v3, v93
	v_cndmask_b32_e32 v2, 0, v2, vcc_lo
	v_cmp_gt_i32_e32 vcc_lo, s30, v55
	v_cndmask_b32_e32 v9, 0, v9, vcc_lo
.LBB98_68:                              ;   in Loop: Header=BB98_35 Depth=1
	s_or_b32 exec_lo, exec_lo, s25
	v_lshlrev_b32_e32 v9, 16, v9
	v_lshlrev_b32_e32 v92, 16, v92
	;; [unrolled: 1-line block ×3, first 2 shown]
	v_and_or_b32 v2, 0xffff, v2, v9
	v_add_co_u32 v9, vcc_lo, 0x2000, v7
	v_and_or_b32 v0, 0xffff, v0, v92
	v_and_or_b32 v1, 0xffff, v1, v10
	;;#ASMSTART
	v_pk_mul_f16 v0, v49, v0;

	;;#ASMEND
	v_add_co_ci_u32_e64 v10, null, 0, v8, vcc_lo
	;;#ASMSTART
	v_pk_mul_f16 v1, v48, v1;

	;;#ASMEND
	;;#ASMSTART
	v_pk_mul_f16 v2, v52, v2;

	;;#ASMEND
	;; [unrolled: 4-line block ×3, first 2 shown]
	;;#ASMSTART
	v_pk_add_f16 v0, v0, v1;

	;;#ASMEND
	;;#ASMSTART
	v_pk_add_f16 v0, v0, v2;

	;;#ASMEND
	;; [unrolled: 4-line block ×3, first 2 shown]
	v_lshrrev_b32_e32 v1, 16, v0
	v_and_b32_e32 v0, 0xffff, v0
	;;#ASMSTART
	v_cvt_f32_f16 v92, v0;
	;;#ASMEND
	;;#ASMSTART
	v_cvt_f32_f16 v93, v1;
	;;#ASMEND
	global_load_dwordx4 v[0:3], v[9:10], off
	s_waitcnt vmcnt(0)
	v_lshrrev_b32_e32 v96, 16, v0
	v_lshrrev_b32_e32 v95, 16, v1
	;; [unrolled: 1-line block ×3, first 2 shown]
	s_and_saveexec_b32 s25, s1
	s_cbranch_execz .LBB98_70
; %bb.69:                               ;   in Loop: Header=BB98_35 Depth=1
	v_cmp_gt_i32_e32 vcc_lo, s30, v54
	v_and_b32_e32 v97, 0xffff0000, v3
	v_cmp_gt_i32_e64 s2, s30, v59
	v_cndmask_b32_e32 v0, 0, v0, vcc_lo
	v_cmp_gt_i32_e32 vcc_lo, s30, v61
	v_cndmask_b32_e64 v1, 0, v1, s2
	v_cmp_gt_i32_e64 s2, s30, v58
	v_cndmask_b32_e32 v96, 0, v96, vcc_lo
	v_cmp_gt_i32_e32 vcc_lo, s30, v60
	v_cndmask_b32_e64 v95, 0, v95, s2
	v_cndmask_b32_sdwa v3, v6, v3, vcc_lo dst_sel:DWORD dst_unused:UNUSED_PAD src0_sel:DWORD src1_sel:WORD_0
	v_cmp_gt_i32_e32 vcc_lo, s30, v57
	v_cndmask_b32_e32 v97, 0, v97, vcc_lo
	v_cmp_gt_i32_e32 vcc_lo, s30, v56
	v_or_b32_e32 v3, v3, v97
	v_cndmask_b32_e32 v2, 0, v2, vcc_lo
	v_cmp_gt_i32_e32 vcc_lo, s30, v55
	v_cndmask_b32_e32 v94, 0, v94, vcc_lo
.LBB98_70:                              ;   in Loop: Header=BB98_35 Depth=1
	s_or_b32 exec_lo, exec_lo, s25
	v_lshlrev_b32_e32 v96, 16, v96
	v_lshlrev_b32_e32 v95, 16, v95
	;; [unrolled: 1-line block ×3, first 2 shown]
	v_and_or_b32 v0, 0xffff, v0, v96
	v_and_or_b32 v1, 0xffff, v1, v95
	;; [unrolled: 1-line block ×3, first 2 shown]
	;;#ASMSTART
	v_pk_mul_f16 v0, v49, v0;

	;;#ASMEND
	;;#ASMSTART
	v_pk_mul_f16 v1, v48, v1;

	;;#ASMEND
	;; [unrolled: 4-line block ×4, first 2 shown]
	;;#ASMSTART
	v_pk_add_f16 v0, v0, v1;

	;;#ASMEND
	;;#ASMSTART
	v_pk_add_f16 v0, v0, v2;

	;;#ASMEND
	;; [unrolled: 4-line block ×3, first 2 shown]
	v_and_b32_e32 v1, 0xffff, v0
	v_lshrrev_b32_e32 v0, 16, v0
	;;#ASMSTART
	v_cvt_f32_f16 v94, v1;
	;;#ASMEND
	;;#ASMSTART
	v_cvt_f32_f16 v95, v0;
	;;#ASMEND
	global_load_dwordx4 v[0:3], v[9:10], off offset:512
	s_waitcnt vmcnt(0)
	v_lshrrev_b32_e32 v98, 16, v0
	v_lshrrev_b32_e32 v97, 16, v1
	;; [unrolled: 1-line block ×3, first 2 shown]
	s_and_saveexec_b32 s25, s1
	s_cbranch_execz .LBB98_72
; %bb.71:                               ;   in Loop: Header=BB98_35 Depth=1
	v_cmp_gt_i32_e32 vcc_lo, s30, v54
	v_and_b32_e32 v99, 0xffff0000, v3
	v_cmp_gt_i32_e64 s2, s30, v59
	v_cndmask_b32_e32 v0, 0, v0, vcc_lo
	v_cmp_gt_i32_e32 vcc_lo, s30, v61
	v_cndmask_b32_e64 v1, 0, v1, s2
	v_cmp_gt_i32_e64 s2, s30, v58
	v_cndmask_b32_e32 v98, 0, v98, vcc_lo
	v_cmp_gt_i32_e32 vcc_lo, s30, v60
	v_cndmask_b32_e64 v97, 0, v97, s2
	v_cndmask_b32_sdwa v3, v6, v3, vcc_lo dst_sel:DWORD dst_unused:UNUSED_PAD src0_sel:DWORD src1_sel:WORD_0
	v_cmp_gt_i32_e32 vcc_lo, s30, v57
	v_cndmask_b32_e32 v99, 0, v99, vcc_lo
	v_cmp_gt_i32_e32 vcc_lo, s30, v56
	v_or_b32_e32 v3, v3, v99
	v_cndmask_b32_e32 v2, 0, v2, vcc_lo
	v_cmp_gt_i32_e32 vcc_lo, s30, v55
	v_cndmask_b32_e32 v96, 0, v96, vcc_lo
.LBB98_72:                              ;   in Loop: Header=BB98_35 Depth=1
	s_or_b32 exec_lo, exec_lo, s25
	v_lshlrev_b32_e32 v98, 16, v98
	v_lshlrev_b32_e32 v97, 16, v97
	;; [unrolled: 1-line block ×3, first 2 shown]
	v_and_or_b32 v0, 0xffff, v0, v98
	v_and_or_b32 v1, 0xffff, v1, v97
	;; [unrolled: 1-line block ×3, first 2 shown]
	;;#ASMSTART
	v_pk_mul_f16 v0, v49, v0;

	;;#ASMEND
	;;#ASMSTART
	v_pk_mul_f16 v1, v48, v1;

	;;#ASMEND
	;; [unrolled: 4-line block ×4, first 2 shown]
	;;#ASMSTART
	v_pk_add_f16 v0, v0, v1;

	;;#ASMEND
	;;#ASMSTART
	v_pk_add_f16 v0, v0, v2;

	;;#ASMEND
	;; [unrolled: 4-line block ×3, first 2 shown]
	v_and_b32_e32 v1, 0xffff, v0
	v_lshrrev_b32_e32 v0, 16, v0
	;;#ASMSTART
	v_cvt_f32_f16 v96, v1;
	;;#ASMEND
	;;#ASMSTART
	v_cvt_f32_f16 v97, v0;
	;;#ASMEND
	global_load_dwordx4 v[0:3], v[9:10], off offset:1024
	s_waitcnt vmcnt(0)
	v_lshrrev_b32_e32 v100, 16, v0
	v_lshrrev_b32_e32 v99, 16, v1
	;; [unrolled: 1-line block ×3, first 2 shown]
	s_and_saveexec_b32 s25, s1
	s_cbranch_execz .LBB98_74
; %bb.73:                               ;   in Loop: Header=BB98_35 Depth=1
	v_cmp_gt_i32_e32 vcc_lo, s30, v54
	v_and_b32_e32 v101, 0xffff0000, v3
	v_cmp_gt_i32_e64 s2, s30, v59
	v_cndmask_b32_e32 v0, 0, v0, vcc_lo
	v_cmp_gt_i32_e32 vcc_lo, s30, v61
	v_cndmask_b32_e64 v1, 0, v1, s2
	v_cmp_gt_i32_e64 s2, s30, v58
	v_cndmask_b32_e32 v100, 0, v100, vcc_lo
	v_cmp_gt_i32_e32 vcc_lo, s30, v60
	v_cndmask_b32_e64 v99, 0, v99, s2
	v_cndmask_b32_sdwa v3, v6, v3, vcc_lo dst_sel:DWORD dst_unused:UNUSED_PAD src0_sel:DWORD src1_sel:WORD_0
	v_cmp_gt_i32_e32 vcc_lo, s30, v57
	v_cndmask_b32_e32 v101, 0, v101, vcc_lo
	v_cmp_gt_i32_e32 vcc_lo, s30, v56
	v_or_b32_e32 v3, v3, v101
	v_cndmask_b32_e32 v2, 0, v2, vcc_lo
	v_cmp_gt_i32_e32 vcc_lo, s30, v55
	v_cndmask_b32_e32 v98, 0, v98, vcc_lo
.LBB98_74:                              ;   in Loop: Header=BB98_35 Depth=1
	s_or_b32 exec_lo, exec_lo, s25
	v_lshlrev_b32_e32 v100, 16, v100
	v_lshlrev_b32_e32 v99, 16, v99
	;; [unrolled: 1-line block ×3, first 2 shown]
	v_and_or_b32 v0, 0xffff, v0, v100
	v_and_or_b32 v1, 0xffff, v1, v99
	v_and_or_b32 v2, 0xffff, v2, v98
	;;#ASMSTART
	v_pk_mul_f16 v0, v49, v0;

	;;#ASMEND
	;;#ASMSTART
	v_pk_mul_f16 v1, v48, v1;

	;;#ASMEND
	;; [unrolled: 4-line block ×4, first 2 shown]
	;;#ASMSTART
	v_pk_add_f16 v0, v0, v1;

	;;#ASMEND
	;;#ASMSTART
	v_pk_add_f16 v0, v0, v2;

	;;#ASMEND
	;; [unrolled: 4-line block ×3, first 2 shown]
	v_and_b32_e32 v1, 0xffff, v0
	v_lshrrev_b32_e32 v0, 16, v0
	;;#ASMSTART
	v_cvt_f32_f16 v98, v1;
	;;#ASMEND
	;;#ASMSTART
	v_cvt_f32_f16 v99, v0;
	;;#ASMEND
	global_load_dwordx4 v[0:3], v[9:10], off offset:1536
	s_waitcnt vmcnt(0)
	v_lshrrev_b32_e32 v100, 16, v0
	v_lshrrev_b32_e32 v10, 16, v1
	;; [unrolled: 1-line block ×3, first 2 shown]
	s_and_saveexec_b32 s25, s1
	s_cbranch_execz .LBB98_76
; %bb.75:                               ;   in Loop: Header=BB98_35 Depth=1
	v_cmp_gt_i32_e32 vcc_lo, s30, v54
	v_and_b32_e32 v101, 0xffff0000, v3
	v_cmp_gt_i32_e64 s2, s30, v59
	v_cndmask_b32_e32 v0, 0, v0, vcc_lo
	v_cmp_gt_i32_e32 vcc_lo, s30, v61
	v_cndmask_b32_e64 v1, 0, v1, s2
	v_cmp_gt_i32_e64 s2, s30, v58
	v_cndmask_b32_e32 v100, 0, v100, vcc_lo
	v_cmp_gt_i32_e32 vcc_lo, s30, v60
	v_cndmask_b32_e64 v10, 0, v10, s2
	v_cndmask_b32_sdwa v3, v6, v3, vcc_lo dst_sel:DWORD dst_unused:UNUSED_PAD src0_sel:DWORD src1_sel:WORD_0
	v_cmp_gt_i32_e32 vcc_lo, s30, v57
	v_cndmask_b32_e32 v101, 0, v101, vcc_lo
	v_cmp_gt_i32_e32 vcc_lo, s30, v56
	v_or_b32_e32 v3, v3, v101
	v_cndmask_b32_e32 v2, 0, v2, vcc_lo
	v_cmp_gt_i32_e32 vcc_lo, s30, v55
	v_cndmask_b32_e32 v9, 0, v9, vcc_lo
.LBB98_76:                              ;   in Loop: Header=BB98_35 Depth=1
	s_or_b32 exec_lo, exec_lo, s25
	v_lshlrev_b32_e32 v9, 16, v9
	v_lshlrev_b32_e32 v100, 16, v100
	v_lshlrev_b32_e32 v10, 16, v10
	v_and_or_b32 v2, 0xffff, v2, v9
	v_add_co_u32 v9, vcc_lo, 0x2800, v7
	v_and_or_b32 v0, 0xffff, v0, v100
	v_and_or_b32 v1, 0xffff, v1, v10
	;;#ASMSTART
	v_pk_mul_f16 v0, v49, v0;

	;;#ASMEND
	v_add_co_ci_u32_e64 v10, null, 0, v8, vcc_lo
	;;#ASMSTART
	v_pk_mul_f16 v1, v48, v1;

	;;#ASMEND
	;;#ASMSTART
	v_pk_mul_f16 v2, v52, v2;

	;;#ASMEND
	;; [unrolled: 4-line block ×3, first 2 shown]
	;;#ASMSTART
	v_pk_add_f16 v0, v0, v1;

	;;#ASMEND
	;;#ASMSTART
	v_pk_add_f16 v0, v0, v2;

	;;#ASMEND
	;; [unrolled: 4-line block ×3, first 2 shown]
	v_lshrrev_b32_e32 v1, 16, v0
	v_and_b32_e32 v0, 0xffff, v0
	;;#ASMSTART
	v_cvt_f32_f16 v100, v0;
	;;#ASMEND
	;;#ASMSTART
	v_cvt_f32_f16 v101, v1;
	;;#ASMEND
	global_load_dwordx4 v[0:3], v[9:10], off
	s_waitcnt vmcnt(0)
	v_lshrrev_b32_e32 v104, 16, v0
	v_lshrrev_b32_e32 v103, 16, v1
	v_lshrrev_b32_e32 v102, 16, v2
	s_and_saveexec_b32 s25, s1
	s_cbranch_execz .LBB98_78
; %bb.77:                               ;   in Loop: Header=BB98_35 Depth=1
	v_cmp_gt_i32_e32 vcc_lo, s30, v54
	v_and_b32_e32 v105, 0xffff0000, v3
	v_cmp_gt_i32_e64 s2, s30, v59
	v_cndmask_b32_e32 v0, 0, v0, vcc_lo
	v_cmp_gt_i32_e32 vcc_lo, s30, v61
	v_cndmask_b32_e64 v1, 0, v1, s2
	v_cmp_gt_i32_e64 s2, s30, v58
	v_cndmask_b32_e32 v104, 0, v104, vcc_lo
	v_cmp_gt_i32_e32 vcc_lo, s30, v60
	v_cndmask_b32_e64 v103, 0, v103, s2
	v_cndmask_b32_sdwa v3, v6, v3, vcc_lo dst_sel:DWORD dst_unused:UNUSED_PAD src0_sel:DWORD src1_sel:WORD_0
	v_cmp_gt_i32_e32 vcc_lo, s30, v57
	v_cndmask_b32_e32 v105, 0, v105, vcc_lo
	v_cmp_gt_i32_e32 vcc_lo, s30, v56
	v_or_b32_e32 v3, v3, v105
	v_cndmask_b32_e32 v2, 0, v2, vcc_lo
	v_cmp_gt_i32_e32 vcc_lo, s30, v55
	v_cndmask_b32_e32 v102, 0, v102, vcc_lo
.LBB98_78:                              ;   in Loop: Header=BB98_35 Depth=1
	s_or_b32 exec_lo, exec_lo, s25
	v_lshlrev_b32_e32 v104, 16, v104
	v_lshlrev_b32_e32 v103, 16, v103
	v_lshlrev_b32_e32 v102, 16, v102
	v_and_or_b32 v0, 0xffff, v0, v104
	v_and_or_b32 v1, 0xffff, v1, v103
	;; [unrolled: 1-line block ×3, first 2 shown]
	;;#ASMSTART
	v_pk_mul_f16 v0, v49, v0;

	;;#ASMEND
	;;#ASMSTART
	v_pk_mul_f16 v1, v48, v1;

	;;#ASMEND
	;; [unrolled: 4-line block ×4, first 2 shown]
	;;#ASMSTART
	v_pk_add_f16 v0, v0, v1;

	;;#ASMEND
	;;#ASMSTART
	v_pk_add_f16 v0, v0, v2;

	;;#ASMEND
	;; [unrolled: 4-line block ×3, first 2 shown]
	v_and_b32_e32 v1, 0xffff, v0
	v_lshrrev_b32_e32 v0, 16, v0
	;;#ASMSTART
	v_cvt_f32_f16 v102, v1;
	;;#ASMEND
	;;#ASMSTART
	v_cvt_f32_f16 v103, v0;
	;;#ASMEND
	global_load_dwordx4 v[0:3], v[9:10], off offset:512
	s_waitcnt vmcnt(0)
	v_lshrrev_b32_e32 v106, 16, v0
	v_lshrrev_b32_e32 v105, 16, v1
	v_lshrrev_b32_e32 v104, 16, v2
	s_and_saveexec_b32 s25, s1
	s_cbranch_execz .LBB98_80
; %bb.79:                               ;   in Loop: Header=BB98_35 Depth=1
	v_cmp_gt_i32_e32 vcc_lo, s30, v54
	v_and_b32_e32 v107, 0xffff0000, v3
	v_cmp_gt_i32_e64 s2, s30, v59
	v_cndmask_b32_e32 v0, 0, v0, vcc_lo
	v_cmp_gt_i32_e32 vcc_lo, s30, v61
	v_cndmask_b32_e64 v1, 0, v1, s2
	v_cmp_gt_i32_e64 s2, s30, v58
	v_cndmask_b32_e32 v106, 0, v106, vcc_lo
	v_cmp_gt_i32_e32 vcc_lo, s30, v60
	v_cndmask_b32_e64 v105, 0, v105, s2
	v_cndmask_b32_sdwa v3, v6, v3, vcc_lo dst_sel:DWORD dst_unused:UNUSED_PAD src0_sel:DWORD src1_sel:WORD_0
	v_cmp_gt_i32_e32 vcc_lo, s30, v57
	v_cndmask_b32_e32 v107, 0, v107, vcc_lo
	v_cmp_gt_i32_e32 vcc_lo, s30, v56
	v_or_b32_e32 v3, v3, v107
	v_cndmask_b32_e32 v2, 0, v2, vcc_lo
	v_cmp_gt_i32_e32 vcc_lo, s30, v55
	v_cndmask_b32_e32 v104, 0, v104, vcc_lo
.LBB98_80:                              ;   in Loop: Header=BB98_35 Depth=1
	s_or_b32 exec_lo, exec_lo, s25
	v_lshlrev_b32_e32 v106, 16, v106
	v_lshlrev_b32_e32 v105, 16, v105
	;; [unrolled: 1-line block ×3, first 2 shown]
	v_and_or_b32 v0, 0xffff, v0, v106
	v_and_or_b32 v1, 0xffff, v1, v105
	;; [unrolled: 1-line block ×3, first 2 shown]
	;;#ASMSTART
	v_pk_mul_f16 v0, v49, v0;

	;;#ASMEND
	;;#ASMSTART
	v_pk_mul_f16 v1, v48, v1;

	;;#ASMEND
	;; [unrolled: 4-line block ×4, first 2 shown]
	;;#ASMSTART
	v_pk_add_f16 v0, v0, v1;

	;;#ASMEND
	;;#ASMSTART
	v_pk_add_f16 v0, v0, v2;

	;;#ASMEND
	;; [unrolled: 4-line block ×3, first 2 shown]
	v_and_b32_e32 v1, 0xffff, v0
	v_lshrrev_b32_e32 v0, 16, v0
	;;#ASMSTART
	v_cvt_f32_f16 v104, v1;
	;;#ASMEND
	;;#ASMSTART
	v_cvt_f32_f16 v105, v0;
	;;#ASMEND
	global_load_dwordx4 v[0:3], v[9:10], off offset:1024
	s_waitcnt vmcnt(0)
	v_lshrrev_b32_e32 v108, 16, v0
	v_lshrrev_b32_e32 v107, 16, v1
	;; [unrolled: 1-line block ×3, first 2 shown]
	s_and_saveexec_b32 s25, s1
	s_cbranch_execz .LBB98_82
; %bb.81:                               ;   in Loop: Header=BB98_35 Depth=1
	v_cmp_gt_i32_e32 vcc_lo, s30, v54
	v_and_b32_e32 v109, 0xffff0000, v3
	v_cmp_gt_i32_e64 s2, s30, v59
	v_cndmask_b32_e32 v0, 0, v0, vcc_lo
	v_cmp_gt_i32_e32 vcc_lo, s30, v61
	v_cndmask_b32_e64 v1, 0, v1, s2
	v_cmp_gt_i32_e64 s2, s30, v58
	v_cndmask_b32_e32 v108, 0, v108, vcc_lo
	v_cmp_gt_i32_e32 vcc_lo, s30, v60
	v_cndmask_b32_e64 v107, 0, v107, s2
	v_cndmask_b32_sdwa v3, v6, v3, vcc_lo dst_sel:DWORD dst_unused:UNUSED_PAD src0_sel:DWORD src1_sel:WORD_0
	v_cmp_gt_i32_e32 vcc_lo, s30, v57
	v_cndmask_b32_e32 v109, 0, v109, vcc_lo
	v_cmp_gt_i32_e32 vcc_lo, s30, v56
	v_or_b32_e32 v3, v3, v109
	v_cndmask_b32_e32 v2, 0, v2, vcc_lo
	v_cmp_gt_i32_e32 vcc_lo, s30, v55
	v_cndmask_b32_e32 v106, 0, v106, vcc_lo
.LBB98_82:                              ;   in Loop: Header=BB98_35 Depth=1
	s_or_b32 exec_lo, exec_lo, s25
	v_lshlrev_b32_e32 v108, 16, v108
	v_lshlrev_b32_e32 v107, 16, v107
	;; [unrolled: 1-line block ×3, first 2 shown]
	v_and_or_b32 v0, 0xffff, v0, v108
	v_and_or_b32 v1, 0xffff, v1, v107
	;; [unrolled: 1-line block ×3, first 2 shown]
	;;#ASMSTART
	v_pk_mul_f16 v0, v49, v0;

	;;#ASMEND
	;;#ASMSTART
	v_pk_mul_f16 v1, v48, v1;

	;;#ASMEND
	;; [unrolled: 4-line block ×4, first 2 shown]
	;;#ASMSTART
	v_pk_add_f16 v0, v0, v1;

	;;#ASMEND
	;;#ASMSTART
	v_pk_add_f16 v0, v0, v2;

	;;#ASMEND
	;; [unrolled: 4-line block ×3, first 2 shown]
	v_and_b32_e32 v1, 0xffff, v0
	v_lshrrev_b32_e32 v0, 16, v0
	;;#ASMSTART
	v_cvt_f32_f16 v106, v1;
	;;#ASMEND
	;;#ASMSTART
	v_cvt_f32_f16 v107, v0;
	;;#ASMEND
	global_load_dwordx4 v[0:3], v[9:10], off offset:1536
	s_waitcnt vmcnt(0)
	v_lshrrev_b32_e32 v108, 16, v0
	v_lshrrev_b32_e32 v10, 16, v1
	;; [unrolled: 1-line block ×3, first 2 shown]
	s_and_saveexec_b32 s25, s1
	s_cbranch_execz .LBB98_84
; %bb.83:                               ;   in Loop: Header=BB98_35 Depth=1
	v_cmp_gt_i32_e32 vcc_lo, s30, v54
	v_and_b32_e32 v109, 0xffff0000, v3
	v_cmp_gt_i32_e64 s2, s30, v59
	v_cndmask_b32_e32 v0, 0, v0, vcc_lo
	v_cmp_gt_i32_e32 vcc_lo, s30, v61
	v_cndmask_b32_e64 v1, 0, v1, s2
	v_cmp_gt_i32_e64 s2, s30, v58
	v_cndmask_b32_e32 v108, 0, v108, vcc_lo
	v_cmp_gt_i32_e32 vcc_lo, s30, v60
	v_cndmask_b32_e64 v10, 0, v10, s2
	v_cndmask_b32_sdwa v3, v6, v3, vcc_lo dst_sel:DWORD dst_unused:UNUSED_PAD src0_sel:DWORD src1_sel:WORD_0
	v_cmp_gt_i32_e32 vcc_lo, s30, v57
	v_cndmask_b32_e32 v109, 0, v109, vcc_lo
	v_cmp_gt_i32_e32 vcc_lo, s30, v56
	v_or_b32_e32 v3, v3, v109
	v_cndmask_b32_e32 v2, 0, v2, vcc_lo
	v_cmp_gt_i32_e32 vcc_lo, s30, v55
	v_cndmask_b32_e32 v9, 0, v9, vcc_lo
.LBB98_84:                              ;   in Loop: Header=BB98_35 Depth=1
	s_or_b32 exec_lo, exec_lo, s25
	v_lshlrev_b32_e32 v9, 16, v9
	v_lshlrev_b32_e32 v108, 16, v108
	;; [unrolled: 1-line block ×3, first 2 shown]
	v_and_or_b32 v2, 0xffff, v2, v9
	v_add_co_u32 v9, vcc_lo, 0x3000, v7
	v_and_or_b32 v0, 0xffff, v0, v108
	v_and_or_b32 v1, 0xffff, v1, v10
	;;#ASMSTART
	v_pk_mul_f16 v0, v49, v0;

	;;#ASMEND
	v_add_co_ci_u32_e64 v10, null, 0, v8, vcc_lo
	;;#ASMSTART
	v_pk_mul_f16 v1, v48, v1;

	;;#ASMEND
	;;#ASMSTART
	v_pk_mul_f16 v2, v52, v2;

	;;#ASMEND
	;; [unrolled: 4-line block ×3, first 2 shown]
	;;#ASMSTART
	v_pk_add_f16 v0, v0, v1;

	;;#ASMEND
	;;#ASMSTART
	v_pk_add_f16 v0, v0, v2;

	;;#ASMEND
	;; [unrolled: 4-line block ×3, first 2 shown]
	v_lshrrev_b32_e32 v1, 16, v0
	v_and_b32_e32 v0, 0xffff, v0
	;;#ASMSTART
	v_cvt_f32_f16 v108, v0;
	;;#ASMEND
	;;#ASMSTART
	v_cvt_f32_f16 v109, v1;
	;;#ASMEND
	global_load_dwordx4 v[0:3], v[9:10], off
	s_waitcnt vmcnt(0)
	v_lshrrev_b32_e32 v112, 16, v0
	v_lshrrev_b32_e32 v111, 16, v1
	;; [unrolled: 1-line block ×3, first 2 shown]
	s_and_saveexec_b32 s25, s1
	s_cbranch_execz .LBB98_86
; %bb.85:                               ;   in Loop: Header=BB98_35 Depth=1
	v_cmp_gt_i32_e32 vcc_lo, s30, v54
	v_and_b32_e32 v113, 0xffff0000, v3
	v_cmp_gt_i32_e64 s2, s30, v59
	v_cndmask_b32_e32 v0, 0, v0, vcc_lo
	v_cmp_gt_i32_e32 vcc_lo, s30, v61
	v_cndmask_b32_e64 v1, 0, v1, s2
	v_cmp_gt_i32_e64 s2, s30, v58
	v_cndmask_b32_e32 v112, 0, v112, vcc_lo
	v_cmp_gt_i32_e32 vcc_lo, s30, v60
	v_cndmask_b32_e64 v111, 0, v111, s2
	v_cndmask_b32_sdwa v3, v6, v3, vcc_lo dst_sel:DWORD dst_unused:UNUSED_PAD src0_sel:DWORD src1_sel:WORD_0
	v_cmp_gt_i32_e32 vcc_lo, s30, v57
	v_cndmask_b32_e32 v113, 0, v113, vcc_lo
	v_cmp_gt_i32_e32 vcc_lo, s30, v56
	v_or_b32_e32 v3, v3, v113
	v_cndmask_b32_e32 v2, 0, v2, vcc_lo
	v_cmp_gt_i32_e32 vcc_lo, s30, v55
	v_cndmask_b32_e32 v110, 0, v110, vcc_lo
.LBB98_86:                              ;   in Loop: Header=BB98_35 Depth=1
	s_or_b32 exec_lo, exec_lo, s25
	v_lshlrev_b32_e32 v112, 16, v112
	v_lshlrev_b32_e32 v111, 16, v111
	v_lshlrev_b32_e32 v110, 16, v110
	v_and_or_b32 v0, 0xffff, v0, v112
	v_and_or_b32 v1, 0xffff, v1, v111
	;; [unrolled: 1-line block ×3, first 2 shown]
	;;#ASMSTART
	v_pk_mul_f16 v0, v49, v0;

	;;#ASMEND
	;;#ASMSTART
	v_pk_mul_f16 v1, v48, v1;

	;;#ASMEND
	;;#ASMSTART
	v_pk_mul_f16 v2, v52, v2;

	;;#ASMEND
	;;#ASMSTART
	v_pk_mul_f16 v3, v53, v3;

	;;#ASMEND
	;;#ASMSTART
	v_pk_add_f16 v0, v0, v1;

	;;#ASMEND
	;;#ASMSTART
	v_pk_add_f16 v0, v0, v2;

	;;#ASMEND
	;; [unrolled: 4-line block ×3, first 2 shown]
	v_and_b32_e32 v1, 0xffff, v0
	v_lshrrev_b32_e32 v0, 16, v0
	;;#ASMSTART
	v_cvt_f32_f16 v110, v1;
	;;#ASMEND
	;;#ASMSTART
	v_cvt_f32_f16 v111, v0;
	;;#ASMEND
	global_load_dwordx4 v[0:3], v[9:10], off offset:512
	s_waitcnt vmcnt(0)
	v_lshrrev_b32_e32 v114, 16, v0
	v_lshrrev_b32_e32 v113, 16, v1
	;; [unrolled: 1-line block ×3, first 2 shown]
	s_and_saveexec_b32 s25, s1
	s_cbranch_execz .LBB98_88
; %bb.87:                               ;   in Loop: Header=BB98_35 Depth=1
	v_cmp_gt_i32_e32 vcc_lo, s30, v54
	v_and_b32_e32 v115, 0xffff0000, v3
	v_cmp_gt_i32_e64 s2, s30, v59
	v_cndmask_b32_e32 v0, 0, v0, vcc_lo
	v_cmp_gt_i32_e32 vcc_lo, s30, v61
	v_cndmask_b32_e64 v1, 0, v1, s2
	v_cmp_gt_i32_e64 s2, s30, v58
	v_cndmask_b32_e32 v114, 0, v114, vcc_lo
	v_cmp_gt_i32_e32 vcc_lo, s30, v60
	v_cndmask_b32_e64 v113, 0, v113, s2
	v_cndmask_b32_sdwa v3, v6, v3, vcc_lo dst_sel:DWORD dst_unused:UNUSED_PAD src0_sel:DWORD src1_sel:WORD_0
	v_cmp_gt_i32_e32 vcc_lo, s30, v57
	v_cndmask_b32_e32 v115, 0, v115, vcc_lo
	v_cmp_gt_i32_e32 vcc_lo, s30, v56
	v_or_b32_e32 v3, v3, v115
	v_cndmask_b32_e32 v2, 0, v2, vcc_lo
	v_cmp_gt_i32_e32 vcc_lo, s30, v55
	v_cndmask_b32_e32 v112, 0, v112, vcc_lo
.LBB98_88:                              ;   in Loop: Header=BB98_35 Depth=1
	s_or_b32 exec_lo, exec_lo, s25
	v_lshlrev_b32_e32 v114, 16, v114
	v_lshlrev_b32_e32 v113, 16, v113
	;; [unrolled: 1-line block ×3, first 2 shown]
	v_and_or_b32 v0, 0xffff, v0, v114
	v_and_or_b32 v1, 0xffff, v1, v113
	;; [unrolled: 1-line block ×3, first 2 shown]
	;;#ASMSTART
	v_pk_mul_f16 v0, v49, v0;

	;;#ASMEND
	;;#ASMSTART
	v_pk_mul_f16 v1, v48, v1;

	;;#ASMEND
	;; [unrolled: 4-line block ×4, first 2 shown]
	;;#ASMSTART
	v_pk_add_f16 v0, v0, v1;

	;;#ASMEND
	;;#ASMSTART
	v_pk_add_f16 v0, v0, v2;

	;;#ASMEND
	;; [unrolled: 4-line block ×3, first 2 shown]
	v_and_b32_e32 v1, 0xffff, v0
	v_lshrrev_b32_e32 v0, 16, v0
	;;#ASMSTART
	v_cvt_f32_f16 v112, v1;
	;;#ASMEND
	;;#ASMSTART
	v_cvt_f32_f16 v113, v0;
	;;#ASMEND
	global_load_dwordx4 v[0:3], v[9:10], off offset:1024
	s_waitcnt vmcnt(0)
	v_lshrrev_b32_e32 v116, 16, v0
	v_lshrrev_b32_e32 v115, 16, v1
	;; [unrolled: 1-line block ×3, first 2 shown]
	s_and_saveexec_b32 s25, s1
	s_cbranch_execz .LBB98_90
; %bb.89:                               ;   in Loop: Header=BB98_35 Depth=1
	v_cmp_gt_i32_e32 vcc_lo, s30, v54
	v_and_b32_e32 v117, 0xffff0000, v3
	v_cmp_gt_i32_e64 s2, s30, v59
	v_cndmask_b32_e32 v0, 0, v0, vcc_lo
	v_cmp_gt_i32_e32 vcc_lo, s30, v61
	v_cndmask_b32_e64 v1, 0, v1, s2
	v_cmp_gt_i32_e64 s2, s30, v58
	v_cndmask_b32_e32 v116, 0, v116, vcc_lo
	v_cmp_gt_i32_e32 vcc_lo, s30, v60
	v_cndmask_b32_e64 v115, 0, v115, s2
	v_cndmask_b32_sdwa v3, v6, v3, vcc_lo dst_sel:DWORD dst_unused:UNUSED_PAD src0_sel:DWORD src1_sel:WORD_0
	v_cmp_gt_i32_e32 vcc_lo, s30, v57
	v_cndmask_b32_e32 v117, 0, v117, vcc_lo
	v_cmp_gt_i32_e32 vcc_lo, s30, v56
	v_or_b32_e32 v3, v3, v117
	v_cndmask_b32_e32 v2, 0, v2, vcc_lo
	v_cmp_gt_i32_e32 vcc_lo, s30, v55
	v_cndmask_b32_e32 v114, 0, v114, vcc_lo
.LBB98_90:                              ;   in Loop: Header=BB98_35 Depth=1
	s_or_b32 exec_lo, exec_lo, s25
	v_lshlrev_b32_e32 v116, 16, v116
	v_lshlrev_b32_e32 v115, 16, v115
	;; [unrolled: 1-line block ×3, first 2 shown]
	v_and_or_b32 v0, 0xffff, v0, v116
	v_and_or_b32 v1, 0xffff, v1, v115
	;; [unrolled: 1-line block ×3, first 2 shown]
	;;#ASMSTART
	v_pk_mul_f16 v0, v49, v0;

	;;#ASMEND
	;;#ASMSTART
	v_pk_mul_f16 v1, v48, v1;

	;;#ASMEND
	;; [unrolled: 4-line block ×4, first 2 shown]
	;;#ASMSTART
	v_pk_add_f16 v0, v0, v1;

	;;#ASMEND
	;;#ASMSTART
	v_pk_add_f16 v0, v0, v2;

	;;#ASMEND
	;; [unrolled: 4-line block ×3, first 2 shown]
	v_and_b32_e32 v1, 0xffff, v0
	v_lshrrev_b32_e32 v0, 16, v0
	;;#ASMSTART
	v_cvt_f32_f16 v114, v1;
	;;#ASMEND
	;;#ASMSTART
	v_cvt_f32_f16 v115, v0;
	;;#ASMEND
	global_load_dwordx4 v[0:3], v[9:10], off offset:1536
	s_waitcnt vmcnt(0)
	v_lshrrev_b32_e32 v116, 16, v0
	v_lshrrev_b32_e32 v10, 16, v1
	;; [unrolled: 1-line block ×3, first 2 shown]
	s_and_saveexec_b32 s25, s1
	s_cbranch_execz .LBB98_92
; %bb.91:                               ;   in Loop: Header=BB98_35 Depth=1
	v_cmp_gt_i32_e32 vcc_lo, s30, v54
	v_and_b32_e32 v117, 0xffff0000, v3
	v_cmp_gt_i32_e64 s2, s30, v59
	v_cndmask_b32_e32 v0, 0, v0, vcc_lo
	v_cmp_gt_i32_e32 vcc_lo, s30, v61
	v_cndmask_b32_e64 v1, 0, v1, s2
	v_cmp_gt_i32_e64 s2, s30, v58
	v_cndmask_b32_e32 v116, 0, v116, vcc_lo
	v_cmp_gt_i32_e32 vcc_lo, s30, v60
	v_cndmask_b32_e64 v10, 0, v10, s2
	v_cndmask_b32_sdwa v3, v6, v3, vcc_lo dst_sel:DWORD dst_unused:UNUSED_PAD src0_sel:DWORD src1_sel:WORD_0
	v_cmp_gt_i32_e32 vcc_lo, s30, v57
	v_cndmask_b32_e32 v117, 0, v117, vcc_lo
	v_cmp_gt_i32_e32 vcc_lo, s30, v56
	v_or_b32_e32 v3, v3, v117
	v_cndmask_b32_e32 v2, 0, v2, vcc_lo
	v_cmp_gt_i32_e32 vcc_lo, s30, v55
	v_cndmask_b32_e32 v9, 0, v9, vcc_lo
.LBB98_92:                              ;   in Loop: Header=BB98_35 Depth=1
	s_or_b32 exec_lo, exec_lo, s25
	v_lshlrev_b32_e32 v116, 16, v116
	v_lshlrev_b32_e32 v10, 16, v10
	;; [unrolled: 1-line block ×3, first 2 shown]
	v_add_co_u32 v7, vcc_lo, 0x3800, v7
	v_and_or_b32 v0, 0xffff, v0, v116
	v_and_or_b32 v1, 0xffff, v1, v10
	;; [unrolled: 1-line block ×3, first 2 shown]
	;;#ASMSTART
	v_pk_mul_f16 v0, v49, v0;

	;;#ASMEND
	v_add_co_ci_u32_e64 v8, null, 0, v8, vcc_lo
	;;#ASMSTART
	v_pk_mul_f16 v1, v48, v1;

	;;#ASMEND
	;;#ASMSTART
	v_pk_mul_f16 v2, v52, v2;

	;;#ASMEND
	;; [unrolled: 4-line block ×3, first 2 shown]
	;;#ASMSTART
	v_pk_add_f16 v0, v0, v1;

	;;#ASMEND
	;;#ASMSTART
	v_pk_add_f16 v0, v0, v2;

	;;#ASMEND
	;; [unrolled: 4-line block ×3, first 2 shown]
	v_lshrrev_b32_e32 v1, 16, v0
	v_and_b32_e32 v0, 0xffff, v0
	;;#ASMSTART
	v_cvt_f32_f16 v9, v0;
	;;#ASMEND
	;;#ASMSTART
	v_cvt_f32_f16 v10, v1;
	;;#ASMEND
	global_load_dwordx4 v[0:3], v[7:8], off
	s_waitcnt vmcnt(0)
	v_lshrrev_b32_e32 v118, 16, v0
	v_lshrrev_b32_e32 v117, 16, v1
	;; [unrolled: 1-line block ×3, first 2 shown]
	s_and_saveexec_b32 s25, s1
	s_cbranch_execz .LBB98_94
; %bb.93:                               ;   in Loop: Header=BB98_35 Depth=1
	v_cmp_gt_i32_e32 vcc_lo, s30, v54
	v_and_b32_e32 v119, 0xffff0000, v3
	v_cmp_gt_i32_e64 s2, s30, v59
	v_cndmask_b32_e32 v0, 0, v0, vcc_lo
	v_cmp_gt_i32_e32 vcc_lo, s30, v61
	v_cndmask_b32_e64 v1, 0, v1, s2
	v_cmp_gt_i32_e64 s2, s30, v58
	v_cndmask_b32_e32 v118, 0, v118, vcc_lo
	v_cmp_gt_i32_e32 vcc_lo, s30, v60
	v_cndmask_b32_e64 v117, 0, v117, s2
	v_cndmask_b32_sdwa v3, v6, v3, vcc_lo dst_sel:DWORD dst_unused:UNUSED_PAD src0_sel:DWORD src1_sel:WORD_0
	v_cmp_gt_i32_e32 vcc_lo, s30, v57
	v_cndmask_b32_e32 v119, 0, v119, vcc_lo
	v_cmp_gt_i32_e32 vcc_lo, s30, v56
	v_or_b32_e32 v3, v3, v119
	v_cndmask_b32_e32 v2, 0, v2, vcc_lo
	v_cmp_gt_i32_e32 vcc_lo, s30, v55
	v_cndmask_b32_e32 v116, 0, v116, vcc_lo
.LBB98_94:                              ;   in Loop: Header=BB98_35 Depth=1
	s_or_b32 exec_lo, exec_lo, s25
	v_lshlrev_b32_e32 v118, 16, v118
	v_lshlrev_b32_e32 v117, 16, v117
	;; [unrolled: 1-line block ×3, first 2 shown]
	v_and_or_b32 v0, 0xffff, v0, v118
	v_and_or_b32 v1, 0xffff, v1, v117
	;; [unrolled: 1-line block ×3, first 2 shown]
	;;#ASMSTART
	v_pk_mul_f16 v0, v49, v0;

	;;#ASMEND
	;;#ASMSTART
	v_pk_mul_f16 v1, v48, v1;

	;;#ASMEND
	;;#ASMSTART
	v_pk_mul_f16 v2, v52, v2;

	;;#ASMEND
	;;#ASMSTART
	v_pk_mul_f16 v3, v53, v3;

	;;#ASMEND
	;;#ASMSTART
	v_pk_add_f16 v0, v0, v1;

	;;#ASMEND
	;;#ASMSTART
	v_pk_add_f16 v0, v0, v2;

	;;#ASMEND
	;; [unrolled: 4-line block ×3, first 2 shown]
	v_and_b32_e32 v1, 0xffff, v0
	v_lshrrev_b32_e32 v0, 16, v0
	;;#ASMSTART
	v_cvt_f32_f16 v116, v1;
	;;#ASMEND
	;;#ASMSTART
	v_cvt_f32_f16 v117, v0;
	;;#ASMEND
	global_load_dwordx4 v[0:3], v[7:8], off offset:512
	s_waitcnt vmcnt(0)
	v_lshrrev_b32_e32 v120, 16, v0
	v_lshrrev_b32_e32 v119, 16, v1
	v_lshrrev_b32_e32 v118, 16, v2
	s_and_saveexec_b32 s25, s1
	s_cbranch_execz .LBB98_96
; %bb.95:                               ;   in Loop: Header=BB98_35 Depth=1
	v_cmp_gt_i32_e32 vcc_lo, s30, v54
	v_and_b32_e32 v121, 0xffff0000, v3
	v_cmp_gt_i32_e64 s2, s30, v59
	v_cndmask_b32_e32 v0, 0, v0, vcc_lo
	v_cmp_gt_i32_e32 vcc_lo, s30, v61
	v_cndmask_b32_e64 v1, 0, v1, s2
	v_cmp_gt_i32_e64 s2, s30, v58
	v_cndmask_b32_e32 v120, 0, v120, vcc_lo
	v_cmp_gt_i32_e32 vcc_lo, s30, v60
	v_cndmask_b32_e64 v119, 0, v119, s2
	v_cndmask_b32_sdwa v3, v6, v3, vcc_lo dst_sel:DWORD dst_unused:UNUSED_PAD src0_sel:DWORD src1_sel:WORD_0
	v_cmp_gt_i32_e32 vcc_lo, s30, v57
	v_cndmask_b32_e32 v121, 0, v121, vcc_lo
	v_cmp_gt_i32_e32 vcc_lo, s30, v56
	v_or_b32_e32 v3, v3, v121
	v_cndmask_b32_e32 v2, 0, v2, vcc_lo
	v_cmp_gt_i32_e32 vcc_lo, s30, v55
	v_cndmask_b32_e32 v118, 0, v118, vcc_lo
.LBB98_96:                              ;   in Loop: Header=BB98_35 Depth=1
	s_or_b32 exec_lo, exec_lo, s25
	v_lshlrev_b32_e32 v120, 16, v120
	v_lshlrev_b32_e32 v119, 16, v119
	;; [unrolled: 1-line block ×3, first 2 shown]
	v_and_or_b32 v0, 0xffff, v0, v120
	v_and_or_b32 v1, 0xffff, v1, v119
	;; [unrolled: 1-line block ×3, first 2 shown]
	;;#ASMSTART
	v_pk_mul_f16 v0, v49, v0;

	;;#ASMEND
	;;#ASMSTART
	v_pk_mul_f16 v1, v48, v1;

	;;#ASMEND
	;; [unrolled: 4-line block ×4, first 2 shown]
	;;#ASMSTART
	v_pk_add_f16 v0, v0, v1;

	;;#ASMEND
	;;#ASMSTART
	v_pk_add_f16 v0, v0, v2;

	;;#ASMEND
	;; [unrolled: 4-line block ×3, first 2 shown]
	v_and_b32_e32 v1, 0xffff, v0
	v_lshrrev_b32_e32 v0, 16, v0
	;;#ASMSTART
	v_cvt_f32_f16 v118, v1;
	;;#ASMEND
	;;#ASMSTART
	v_cvt_f32_f16 v119, v0;
	;;#ASMEND
	global_load_dwordx4 v[0:3], v[7:8], off offset:1024
	s_waitcnt vmcnt(0)
	v_lshrrev_b32_e32 v120, 16, v0
	v_lshrrev_b32_e32 v8, 16, v1
	v_lshrrev_b32_e32 v7, 16, v2
	s_and_saveexec_b32 s25, s1
	s_cbranch_execz .LBB98_98
; %bb.97:                               ;   in Loop: Header=BB98_35 Depth=1
	v_cmp_gt_i32_e32 vcc_lo, s30, v54
	v_and_b32_e32 v121, 0xffff0000, v3
	v_cmp_gt_i32_e64 s2, s30, v59
	v_cndmask_b32_e32 v0, 0, v0, vcc_lo
	v_cmp_gt_i32_e32 vcc_lo, s30, v61
	v_cndmask_b32_e64 v1, 0, v1, s2
	v_cmp_gt_i32_e64 s2, s30, v58
	v_cndmask_b32_e32 v120, 0, v120, vcc_lo
	v_cmp_gt_i32_e32 vcc_lo, s30, v60
	v_cndmask_b32_e64 v8, 0, v8, s2
	v_cndmask_b32_sdwa v3, v6, v3, vcc_lo dst_sel:DWORD dst_unused:UNUSED_PAD src0_sel:DWORD src1_sel:WORD_0
	v_cmp_gt_i32_e32 vcc_lo, s30, v57
	v_cndmask_b32_e32 v121, 0, v121, vcc_lo
	v_cmp_gt_i32_e32 vcc_lo, s30, v56
	v_or_b32_e32 v3, v3, v121
	v_cndmask_b32_e32 v2, 0, v2, vcc_lo
	v_cmp_gt_i32_e32 vcc_lo, s30, v55
	v_cndmask_b32_e32 v7, 0, v7, vcc_lo
.LBB98_98:                              ;   in Loop: Header=BB98_35 Depth=1
	s_or_b32 exec_lo, exec_lo, s25
	v_lshlrev_b32_e32 v120, 16, v120
	v_lshlrev_b32_e32 v8, 16, v8
	;; [unrolled: 1-line block ×3, first 2 shown]
	v_and_or_b32 v0, 0xffff, v0, v120
	v_and_or_b32 v1, 0xffff, v1, v8
	;; [unrolled: 1-line block ×3, first 2 shown]
	;;#ASMSTART
	v_pk_mul_f16 v0, v49, v0;

	;;#ASMEND
	;;#ASMSTART
	v_pk_mul_f16 v1, v48, v1;

	;;#ASMEND
	;; [unrolled: 4-line block ×4, first 2 shown]
	;;#ASMSTART
	v_pk_add_f16 v0, v0, v1;

	;;#ASMEND
	;;#ASMSTART
	v_pk_add_f16 v0, v0, v2;

	;;#ASMEND
	;;#ASMSTART
	v_pk_add_f16 v0, v0, v3;

	;;#ASMEND
	v_lshrrev_b32_e32 v2, 16, v0
	v_and_b32_e32 v3, 0xffff, v0
	v_add_co_u32 v0, vcc_lo, v62, v46
	v_add_co_ci_u32_e64 v1, null, 0, v63, vcc_lo
	;;#ASMSTART
	v_cvt_f32_f16 v63, v3;
	;;#ASMEND
	;;#ASMSTART
	v_cvt_f32_f16 v120, v2;
	;;#ASMEND
	global_load_dwordx4 v[0:3], v[0:1], off
	s_waitcnt vmcnt(0)
	v_lshrrev_b32_e32 v62, 16, v0
	v_lshrrev_b32_e32 v8, 16, v1
	;; [unrolled: 1-line block ×3, first 2 shown]
	s_and_saveexec_b32 s2, s1
	s_cbranch_execz .LBB98_33
; %bb.99:                               ;   in Loop: Header=BB98_35 Depth=1
	v_cmp_gt_i32_e32 vcc_lo, s30, v54
	v_and_b32_e32 v54, 0xffff0000, v3
	v_cmp_gt_i32_e64 s1, s30, v59
	v_cndmask_b32_e32 v0, 0, v0, vcc_lo
	v_cmp_gt_i32_e32 vcc_lo, s30, v61
	v_cndmask_b32_e64 v1, 0, v1, s1
	v_cmp_gt_i32_e64 s1, s30, v58
	v_cndmask_b32_e32 v62, 0, v62, vcc_lo
	v_cmp_gt_i32_e32 vcc_lo, s30, v60
	v_cndmask_b32_e64 v8, 0, v8, s1
	v_cndmask_b32_sdwa v3, v6, v3, vcc_lo dst_sel:DWORD dst_unused:UNUSED_PAD src0_sel:DWORD src1_sel:WORD_0
	v_cmp_gt_i32_e32 vcc_lo, s30, v57
	v_cndmask_b32_e32 v54, 0, v54, vcc_lo
	v_cmp_gt_i32_e32 vcc_lo, s30, v56
	v_or_b32_e32 v3, v3, v54
	v_cndmask_b32_e32 v2, 0, v2, vcc_lo
	v_cmp_gt_i32_e32 vcc_lo, s30, v55
	v_cndmask_b32_e32 v7, 0, v7, vcc_lo
	s_branch .LBB98_33
.LBB98_100:
	s_or_b32 exec_lo, exec_lo, s22
.LBB98_101:
	s_or_b32 exec_lo, exec_lo, s3
	ds_bpermute_b32 v1, v11, v42
	ds_bpermute_b32 v2, v11, v41
	;; [unrolled: 1-line block ×16, first 2 shown]
	s_mov_b32 s1, exec_lo
	s_waitcnt lgkmcnt(15)
	v_add_f32_e32 v1, v42, v1
	s_waitcnt lgkmcnt(14)
	v_add_f32_e32 v2, v41, v2
	;; [unrolled: 2-line block ×6, first 2 shown]
	ds_bpermute_b32 v9, v4, v1
	ds_bpermute_b32 v36, v4, v2
	s_waitcnt lgkmcnt(11)
	v_add_f32_e32 v6, v38, v6
	s_waitcnt lgkmcnt(10)
	v_add_f32_e32 v37, v37, v7
	ds_bpermute_b32 v7, v4, v0
	ds_bpermute_b32 v38, v4, v3
	s_waitcnt lgkmcnt(11)
	v_add_f32_e32 v34, v34, v10
	s_waitcnt lgkmcnt(10)
	v_add_f32_e32 v43, v32, v45
	ds_bpermute_b32 v10, v4, v8
	s_waitcnt lgkmcnt(10)
	v_add_f32_e32 v42, v33, v44
	s_waitcnt lgkmcnt(9)
	v_add_f32_e32 v5, v39, v5
	ds_bpermute_b32 v45, v4, v34
	ds_bpermute_b32 v41, v4, v37
	;; [unrolled: 1-line block ×6, first 2 shown]
	s_waitcnt lgkmcnt(12)
	v_add_f32_e32 v31, v31, v46
	s_waitcnt lgkmcnt(11)
	v_add_f32_e32 v30, v30, v49
	ds_bpermute_b32 v46, v11, v17
	s_waitcnt lgkmcnt(11)
	v_add_f32_e32 v32, v1, v9
	s_waitcnt lgkmcnt(10)
	v_add_f32_e32 v9, v2, v36
	ds_bpermute_b32 v36, v11, v27
	ds_bpermute_b32 v47, v4, v42
	s_waitcnt lgkmcnt(11)
	v_add_f32_e32 v33, v0, v7
	s_waitcnt lgkmcnt(10)
	v_add_f32_e32 v7, v3, v38
	ds_bpermute_b32 v38, v11, v25
	s_waitcnt lgkmcnt(10)
	v_add_f32_e32 v2, v8, v10
	s_waitcnt lgkmcnt(9)
	v_add_f32_e32 v8, v34, v45
	;; [unrolled: 2-line block ×3, first 2 shown]
	ds_bpermute_b32 v37, v11, v26
	s_waitcnt lgkmcnt(8)
	v_add_f32_e32 v10, v35, v44
	s_waitcnt lgkmcnt(6)
	v_add_f32_e32 v5, v5, v39
	v_add_f32_e32 v35, v29, v50
	ds_bpermute_b32 v29, v11, v24
	v_add_f32_e32 v39, v28, v51
	ds_bpermute_b32 v28, v11, v23
	;; [unrolled: 2-line block ×3, first 2 shown]
	s_waitcnt lgkmcnt(6)
	v_add_f32_e32 v36, v27, v36
	ds_bpermute_b32 v44, v11, v21
	ds_bpermute_b32 v27, v11, v20
	;; [unrolled: 1-line block ×3, first 2 shown]
	s_waitcnt lgkmcnt(7)
	v_add_f32_e32 v38, v25, v38
	ds_bpermute_b32 v25, v11, v18
	ds_bpermute_b32 v45, v4, v36
	ds_bpermute_b32 v50, v11, v15
	v_add_f32_e32 v1, v6, v40
	ds_bpermute_b32 v34, v4, v31
	ds_bpermute_b32 v40, v4, v30
	s_waitcnt lgkmcnt(11)
	v_add_f32_e32 v37, v26, v37
	ds_bpermute_b32 v26, v11, v19
	v_add_f32_e32 v46, v17, v46
	v_add_f32_e32 v6, v42, v47
	s_waitcnt lgkmcnt(11)
	v_add_f32_e32 v51, v24, v29
	ds_bpermute_b32 v24, v11, v14
	s_waitcnt lgkmcnt(11)
	v_add_f32_e32 v52, v23, v28
	ds_bpermute_b32 v23, v11, v13
	ds_bpermute_b32 v11, v11, v12
	s_waitcnt lgkmcnt(12)
	v_add_f32_e32 v41, v22, v41
	s_waitcnt lgkmcnt(11)
	v_add_f32_e32 v44, v21, v44
	;; [unrolled: 2-line block ×4, first 2 shown]
	ds_bpermute_b32 v42, v4, v35
	s_waitcnt lgkmcnt(9)
	v_add_f32_e32 v55, v18, v25
	s_waitcnt lgkmcnt(8)
	v_add_f32_e32 v25, v36, v45
	buffer_load_dword v36, off, s[40:43], 0 offset:112 ; 4-byte Folded Reload
	s_waitcnt lgkmcnt(7)
	v_add_f32_e32 v50, v15, v50
	ds_bpermute_b32 v43, v4, v39
	ds_bpermute_b32 v47, v4, v37
	;; [unrolled: 1-line block ×3, first 2 shown]
	s_waitcnt lgkmcnt(7)
	v_add_f32_e32 v54, v19, v26
	ds_bpermute_b32 v22, v4, v51
	ds_bpermute_b32 v21, v4, v52
	;; [unrolled: 1-line block ×3, first 2 shown]
	s_waitcnt lgkmcnt(9)
	v_add_f32_e32 v14, v14, v24
	ds_bpermute_b32 v19, v4, v44
	s_waitcnt lgkmcnt(9)
	v_add_f32_e32 v13, v13, v23
	s_waitcnt lgkmcnt(8)
	v_add_f32_e32 v58, v12, v11
	ds_bpermute_b32 v18, v4, v53
	ds_bpermute_b32 v17, v4, v54
	;; [unrolled: 1-line block ×7, first 2 shown]
	v_add_f32_e32 v29, v31, v34
	ds_bpermute_b32 v31, v4, v13
	v_add_f32_e32 v28, v30, v40
	ds_bpermute_b32 v30, v4, v58
	s_waitcnt lgkmcnt(16)
	v_add_f32_e32 v27, v35, v42
	s_waitcnt lgkmcnt(15)
	v_add_f32_e32 v26, v39, v43
	;; [unrolled: 2-line block ×8, first 2 shown]
	v_and_b32_e32 v35, 0x3c3, v122
	s_waitcnt lgkmcnt(8)
	v_add_f32_e32 v18, v53, v18
	s_waitcnt lgkmcnt(7)
	v_add_f32_e32 v17, v54, v17
	;; [unrolled: 2-line block ×7, first 2 shown]
	s_waitcnt vmcnt(0) lgkmcnt(0)
	v_add_f32_e32 v13, v13, v31
	s_barrier
	v_add_f32_e32 v14, v58, v30
	buffer_gl0_inv
	v_and_b32_e32 v34, 28, v36
	v_lshrrev_b32_e32 v30, 2, v36
	v_add_nc_u32_e32 v31, 0x220, v34
	v_lshlrev_b32_e32 v34, 10, v123
	v_cmpx_eq_u32_e32 64, v35
	s_cbranch_execz .LBB98_103
; %bb.102:
	v_add_nc_u32_e32 v35, v31, v34
	v_add_nc_u32_e32 v36, 0xfffff800, v35
	;; [unrolled: 1-line block ×8, first 2 shown]
	ds_write_b32 v36, v33
	ds_write_b32 v37, v32
	;; [unrolled: 1-line block ×7, first 2 shown]
	v_add_nc_u32_e32 v36, 0xfffff8e0, v35
	v_add_nc_u32_e32 v37, 0xfffff900, v35
	v_add_nc_u32_e32 v38, 0xfffff920, v35
	v_add_nc_u32_e32 v39, 0xfffff940, v35
	v_add_nc_u32_e32 v40, 0xfffff960, v35
	ds_write_b32 v36, v2
	ds_write_b32 v37, v10
	ds_write_b32 v38, v8
	ds_write_b32 v39, v6
	ds_write_b32 v40, v3
	v_add_nc_u32_e32 v36, 0xfffff980, v35
	v_add_nc_u32_e32 v37, 0xfffff9a0, v35
	v_add_nc_u32_e32 v38, 0xfffff9c0, v35
	v_add_nc_u32_e32 v39, 0xfffff9e0, v35
	v_add_nc_u32_e32 v40, 0xfffffa00, v35
	ds_write_b32 v36, v29
	ds_write_b32 v37, v28
	ds_write_b32 v38, v27
	ds_write_b32 v39, v26
	ds_write_b32 v40, v25
	;; [unrolled: 10-line block ×5, first 2 shown]
.LBB98_103:
	s_or_b32 exec_lo, exec_lo, s1
	v_lshlrev_b32_e32 v30, 2, v30
	v_and_b32_e32 v35, 3, v122
	s_mov_b32 s2, exec_lo
	s_waitcnt lgkmcnt(0)
	s_barrier
	v_add3_u32 v30, 0x220, v34, v30
	v_cmp_eq_u32_e32 vcc_lo, 0, v35
	buffer_gl0_inv
	v_cmpx_gt_u32_e32 64, v122
	s_cbranch_execz .LBB98_138
; %bb.104:
	s_and_saveexec_b32 s1, vcc_lo
	s_cbranch_execnz .LBB98_178
; %bb.105:
	s_or_b32 exec_lo, exec_lo, s1
	s_and_saveexec_b32 s1, vcc_lo
	s_cbranch_execnz .LBB98_179
.LBB98_106:
	s_or_b32 exec_lo, exec_lo, s1
	s_and_saveexec_b32 s1, vcc_lo
	s_cbranch_execnz .LBB98_180
.LBB98_107:
	s_or_b32 exec_lo, exec_lo, s1
	s_and_saveexec_b32 s1, vcc_lo
	s_cbranch_execnz .LBB98_181
.LBB98_108:
	s_or_b32 exec_lo, exec_lo, s1
	s_and_saveexec_b32 s1, vcc_lo
	s_cbranch_execnz .LBB98_182
.LBB98_109:
	s_or_b32 exec_lo, exec_lo, s1
	s_and_saveexec_b32 s1, vcc_lo
	s_cbranch_execnz .LBB98_183
.LBB98_110:
	s_or_b32 exec_lo, exec_lo, s1
	s_and_saveexec_b32 s1, vcc_lo
	s_cbranch_execnz .LBB98_184
.LBB98_111:
	s_or_b32 exec_lo, exec_lo, s1
	s_and_saveexec_b32 s1, vcc_lo
	s_cbranch_execnz .LBB98_185
.LBB98_112:
	s_or_b32 exec_lo, exec_lo, s1
	s_and_saveexec_b32 s1, vcc_lo
	s_cbranch_execnz .LBB98_186
.LBB98_113:
	s_or_b32 exec_lo, exec_lo, s1
	s_and_saveexec_b32 s1, vcc_lo
	s_cbranch_execnz .LBB98_187
.LBB98_114:
	s_or_b32 exec_lo, exec_lo, s1
	s_and_saveexec_b32 s1, vcc_lo
	s_cbranch_execnz .LBB98_188
.LBB98_115:
	s_or_b32 exec_lo, exec_lo, s1
	s_and_saveexec_b32 s1, vcc_lo
	s_cbranch_execnz .LBB98_189
.LBB98_116:
	s_or_b32 exec_lo, exec_lo, s1
	s_and_saveexec_b32 s1, vcc_lo
	s_cbranch_execnz .LBB98_190
.LBB98_117:
	s_or_b32 exec_lo, exec_lo, s1
	s_and_saveexec_b32 s1, vcc_lo
	s_cbranch_execnz .LBB98_191
.LBB98_118:
	s_or_b32 exec_lo, exec_lo, s1
	s_and_saveexec_b32 s1, vcc_lo
	s_cbranch_execnz .LBB98_192
.LBB98_119:
	s_or_b32 exec_lo, exec_lo, s1
	s_and_saveexec_b32 s1, vcc_lo
	s_cbranch_execnz .LBB98_193
.LBB98_120:
	s_or_b32 exec_lo, exec_lo, s1
	s_and_saveexec_b32 s1, vcc_lo
	s_cbranch_execnz .LBB98_194
.LBB98_121:
	s_or_b32 exec_lo, exec_lo, s1
	s_and_saveexec_b32 s1, vcc_lo
	s_cbranch_execnz .LBB98_195
.LBB98_122:
	s_or_b32 exec_lo, exec_lo, s1
	s_and_saveexec_b32 s1, vcc_lo
	s_cbranch_execnz .LBB98_196
.LBB98_123:
	s_or_b32 exec_lo, exec_lo, s1
	s_and_saveexec_b32 s1, vcc_lo
	s_cbranch_execnz .LBB98_197
.LBB98_124:
	s_or_b32 exec_lo, exec_lo, s1
	s_and_saveexec_b32 s1, vcc_lo
	s_cbranch_execnz .LBB98_198
.LBB98_125:
	s_or_b32 exec_lo, exec_lo, s1
	s_and_saveexec_b32 s1, vcc_lo
	s_cbranch_execnz .LBB98_199
.LBB98_126:
	s_or_b32 exec_lo, exec_lo, s1
	s_and_saveexec_b32 s1, vcc_lo
	s_cbranch_execnz .LBB98_200
.LBB98_127:
	s_or_b32 exec_lo, exec_lo, s1
	s_and_saveexec_b32 s1, vcc_lo
	s_cbranch_execnz .LBB98_201
.LBB98_128:
	s_or_b32 exec_lo, exec_lo, s1
	s_and_saveexec_b32 s1, vcc_lo
	s_cbranch_execnz .LBB98_202
.LBB98_129:
	s_or_b32 exec_lo, exec_lo, s1
	s_and_saveexec_b32 s1, vcc_lo
	s_cbranch_execnz .LBB98_203
.LBB98_130:
	s_or_b32 exec_lo, exec_lo, s1
	s_and_saveexec_b32 s1, vcc_lo
	s_cbranch_execnz .LBB98_204
.LBB98_131:
	s_or_b32 exec_lo, exec_lo, s1
	s_and_saveexec_b32 s1, vcc_lo
	s_cbranch_execnz .LBB98_205
.LBB98_132:
	s_or_b32 exec_lo, exec_lo, s1
	s_and_saveexec_b32 s1, vcc_lo
	s_cbranch_execnz .LBB98_206
.LBB98_133:
	s_or_b32 exec_lo, exec_lo, s1
	s_and_saveexec_b32 s1, vcc_lo
	s_cbranch_execnz .LBB98_207
.LBB98_134:
	s_or_b32 exec_lo, exec_lo, s1
	s_and_saveexec_b32 s1, vcc_lo
	s_cbranch_execnz .LBB98_208
.LBB98_135:
	s_or_b32 exec_lo, exec_lo, s1
	s_and_saveexec_b32 s1, vcc_lo
	s_cbranch_execz .LBB98_137
.LBB98_136:
	ds_read_b32 v34, v30 offset:992
	s_waitcnt lgkmcnt(0)
	v_add_f32_e32 v14, v14, v34
.LBB98_137:
	s_or_b32 exec_lo, exec_lo, s1
.LBB98_138:
	s_or_b32 exec_lo, exec_lo, s2
	v_and_b32_e32 v34, 0x3e3, v122
	s_mov_b32 s2, exec_lo
	s_barrier
	buffer_gl0_inv
	v_cmpx_eq_u32_e32 32, v34
	s_cbranch_execz .LBB98_140
; %bb.139:
	ds_write2_b32 v31, v33, v32 offset1:8
	ds_write2_b32 v31, v9, v7 offset0:16 offset1:24
	ds_write2_b32 v31, v5, v1 offset0:32 offset1:40
	;; [unrolled: 1-line block ×15, first 2 shown]
.LBB98_140:
	s_or_b32 exec_lo, exec_lo, s2
	s_waitcnt lgkmcnt(0)
	s_barrier
	buffer_gl0_inv
	s_and_saveexec_b32 s1, s0
	s_cbranch_execz .LBB98_175
; %bb.141:
	s_and_saveexec_b32 s0, vcc_lo
	s_cbranch_execnz .LBB98_209
; %bb.142:
	s_or_b32 exec_lo, exec_lo, s0
	s_and_saveexec_b32 s0, vcc_lo
	s_cbranch_execnz .LBB98_210
.LBB98_143:
	s_or_b32 exec_lo, exec_lo, s0
	s_and_saveexec_b32 s0, vcc_lo
	s_cbranch_execnz .LBB98_211
.LBB98_144:
	s_or_b32 exec_lo, exec_lo, s0
	s_and_saveexec_b32 s0, vcc_lo
	s_cbranch_execnz .LBB98_212
.LBB98_145:
	s_or_b32 exec_lo, exec_lo, s0
	s_and_saveexec_b32 s0, vcc_lo
	s_cbranch_execnz .LBB98_213
.LBB98_146:
	s_or_b32 exec_lo, exec_lo, s0
	s_and_saveexec_b32 s0, vcc_lo
	s_cbranch_execnz .LBB98_214
.LBB98_147:
	s_or_b32 exec_lo, exec_lo, s0
	s_and_saveexec_b32 s0, vcc_lo
	s_cbranch_execnz .LBB98_215
.LBB98_148:
	s_or_b32 exec_lo, exec_lo, s0
	s_and_saveexec_b32 s0, vcc_lo
	s_cbranch_execnz .LBB98_216
.LBB98_149:
	s_or_b32 exec_lo, exec_lo, s0
	s_and_saveexec_b32 s0, vcc_lo
	s_cbranch_execnz .LBB98_217
.LBB98_150:
	s_or_b32 exec_lo, exec_lo, s0
	s_and_saveexec_b32 s0, vcc_lo
	s_cbranch_execnz .LBB98_218
.LBB98_151:
	s_or_b32 exec_lo, exec_lo, s0
	s_and_saveexec_b32 s0, vcc_lo
	s_cbranch_execnz .LBB98_219
.LBB98_152:
	s_or_b32 exec_lo, exec_lo, s0
	s_and_saveexec_b32 s0, vcc_lo
	s_cbranch_execnz .LBB98_220
.LBB98_153:
	s_or_b32 exec_lo, exec_lo, s0
	s_and_saveexec_b32 s0, vcc_lo
	s_cbranch_execnz .LBB98_221
.LBB98_154:
	s_or_b32 exec_lo, exec_lo, s0
	s_and_saveexec_b32 s0, vcc_lo
	s_cbranch_execnz .LBB98_222
.LBB98_155:
	s_or_b32 exec_lo, exec_lo, s0
	s_and_saveexec_b32 s0, vcc_lo
	s_cbranch_execnz .LBB98_223
.LBB98_156:
	s_or_b32 exec_lo, exec_lo, s0
	s_and_saveexec_b32 s0, vcc_lo
	s_cbranch_execnz .LBB98_224
.LBB98_157:
	s_or_b32 exec_lo, exec_lo, s0
	s_and_saveexec_b32 s0, vcc_lo
	s_cbranch_execnz .LBB98_225
.LBB98_158:
	s_or_b32 exec_lo, exec_lo, s0
	s_and_saveexec_b32 s0, vcc_lo
	s_cbranch_execnz .LBB98_226
.LBB98_159:
	s_or_b32 exec_lo, exec_lo, s0
	s_and_saveexec_b32 s0, vcc_lo
	s_cbranch_execnz .LBB98_227
.LBB98_160:
	s_or_b32 exec_lo, exec_lo, s0
	s_and_saveexec_b32 s0, vcc_lo
	s_cbranch_execnz .LBB98_228
.LBB98_161:
	s_or_b32 exec_lo, exec_lo, s0
	s_and_saveexec_b32 s0, vcc_lo
	s_cbranch_execnz .LBB98_229
.LBB98_162:
	s_or_b32 exec_lo, exec_lo, s0
	s_and_saveexec_b32 s0, vcc_lo
	s_cbranch_execnz .LBB98_230
.LBB98_163:
	s_or_b32 exec_lo, exec_lo, s0
	s_and_saveexec_b32 s0, vcc_lo
	s_cbranch_execnz .LBB98_231
.LBB98_164:
	s_or_b32 exec_lo, exec_lo, s0
	s_and_saveexec_b32 s0, vcc_lo
	s_cbranch_execnz .LBB98_232
.LBB98_165:
	s_or_b32 exec_lo, exec_lo, s0
	s_and_saveexec_b32 s0, vcc_lo
	s_cbranch_execnz .LBB98_233
.LBB98_166:
	s_or_b32 exec_lo, exec_lo, s0
	s_and_saveexec_b32 s0, vcc_lo
	s_cbranch_execnz .LBB98_234
.LBB98_167:
	s_or_b32 exec_lo, exec_lo, s0
	s_and_saveexec_b32 s0, vcc_lo
	s_cbranch_execnz .LBB98_235
.LBB98_168:
	s_or_b32 exec_lo, exec_lo, s0
	s_and_saveexec_b32 s0, vcc_lo
	s_cbranch_execnz .LBB98_236
.LBB98_169:
	s_or_b32 exec_lo, exec_lo, s0
	s_and_saveexec_b32 s0, vcc_lo
	s_cbranch_execnz .LBB98_237
.LBB98_170:
	s_or_b32 exec_lo, exec_lo, s0
	s_and_saveexec_b32 s0, vcc_lo
	s_cbranch_execnz .LBB98_238
.LBB98_171:
	s_or_b32 exec_lo, exec_lo, s0
	s_and_saveexec_b32 s0, vcc_lo
	s_cbranch_execnz .LBB98_239
.LBB98_172:
	s_or_b32 exec_lo, exec_lo, s0
	s_and_saveexec_b32 s0, vcc_lo
	s_cbranch_execz .LBB98_174
.LBB98_173:
	ds_read_b32 v30, v30 offset:992
	s_waitcnt lgkmcnt(0)
	v_add_f32_e32 v14, v14, v30
.LBB98_174:
	s_or_b32 exec_lo, exec_lo, s0
.LBB98_175:
	s_or_b32 exec_lo, exec_lo, s1
	s_barrier
	buffer_gl0_inv
	s_mov_b32 s0, exec_lo
	v_cmpx_eq_u32_e32 0, v34
	s_cbranch_execz .LBB98_177
; %bb.176:
	s_mul_i32 s0, s10, s11
	s_mul_i32 s2, s11, s20
	;; [unrolled: 1-line block ×3, first 2 shown]
	v_lshrrev_b32_e32 v30, 1, v122
	s_lshl_b32 s0, s0, 8
	;;#ASMSTART
	v_cvt_f16_f32 v31, v33;

	;;#ASMEND
	s_ashr_i32 s1, s0, 31
	s_lshl_b64 s[0:1], s[0:1], 1
	s_add_u32 s4, s6, s0
	s_addc_u32 s5, s7, s1
	s_ashr_i32 s3, s2, 31
	s_lshl_b64 s[0:1], s[2:3], 1
	s_add_u32 s2, s4, s0
	s_addc_u32 s3, s5, s1
	s_lshl_b32 s0, s8, 8
	s_ashr_i32 s1, s0, 31
	s_lshl_b64 s[0:1], s[0:1], 1
	s_add_u32 s0, s2, s0
	s_addc_u32 s1, s3, s1
	global_store_short v30, v31, s[0:1]
	;;#ASMSTART
	v_cvt_f16_f32 v31, v32;

	;;#ASMEND
	global_store_short v30, v31, s[0:1] offset:16
	;;#ASMSTART
	v_cvt_f16_f32 v9, v9;

	;;#ASMEND
	global_store_short v30, v9, s[0:1] offset:32
	;; [unrolled: 5-line block ×31, first 2 shown]
.LBB98_177:
	s_endpgm
.LBB98_178:
	ds_read_b32 v34, v30
	s_waitcnt lgkmcnt(0)
	v_add_f32_e32 v33, v33, v34
	s_or_b32 exec_lo, exec_lo, s1
	s_and_saveexec_b32 s1, vcc_lo
	s_cbranch_execz .LBB98_106
.LBB98_179:
	ds_read_b32 v34, v30 offset:32
	s_waitcnt lgkmcnt(0)
	v_add_f32_e32 v32, v32, v34
	s_or_b32 exec_lo, exec_lo, s1
	s_and_saveexec_b32 s1, vcc_lo
	s_cbranch_execz .LBB98_107
.LBB98_180:
	ds_read_b32 v34, v30 offset:64
	s_waitcnt lgkmcnt(0)
	v_add_f32_e32 v9, v9, v34
	s_or_b32 exec_lo, exec_lo, s1
	s_and_saveexec_b32 s1, vcc_lo
	s_cbranch_execz .LBB98_108
.LBB98_181:
	ds_read_b32 v34, v30 offset:96
	s_waitcnt lgkmcnt(0)
	v_add_f32_e32 v7, v7, v34
	s_or_b32 exec_lo, exec_lo, s1
	s_and_saveexec_b32 s1, vcc_lo
	s_cbranch_execz .LBB98_109
.LBB98_182:
	ds_read_b32 v34, v30 offset:128
	s_waitcnt lgkmcnt(0)
	v_add_f32_e32 v5, v5, v34
	s_or_b32 exec_lo, exec_lo, s1
	s_and_saveexec_b32 s1, vcc_lo
	s_cbranch_execz .LBB98_110
.LBB98_183:
	ds_read_b32 v34, v30 offset:160
	s_waitcnt lgkmcnt(0)
	v_add_f32_e32 v1, v1, v34
	s_or_b32 exec_lo, exec_lo, s1
	s_and_saveexec_b32 s1, vcc_lo
	s_cbranch_execz .LBB98_111
.LBB98_184:
	ds_read_b32 v34, v30 offset:192
	s_waitcnt lgkmcnt(0)
	v_add_f32_e32 v0, v0, v34
	s_or_b32 exec_lo, exec_lo, s1
	s_and_saveexec_b32 s1, vcc_lo
	s_cbranch_execz .LBB98_112
.LBB98_185:
	ds_read_b32 v34, v30 offset:224
	s_waitcnt lgkmcnt(0)
	v_add_f32_e32 v2, v2, v34
	s_or_b32 exec_lo, exec_lo, s1
	s_and_saveexec_b32 s1, vcc_lo
	s_cbranch_execz .LBB98_113
.LBB98_186:
	ds_read_b32 v34, v30 offset:256
	s_waitcnt lgkmcnt(0)
	v_add_f32_e32 v10, v10, v34
	s_or_b32 exec_lo, exec_lo, s1
	s_and_saveexec_b32 s1, vcc_lo
	s_cbranch_execz .LBB98_114
.LBB98_187:
	ds_read_b32 v34, v30 offset:288
	s_waitcnt lgkmcnt(0)
	v_add_f32_e32 v8, v8, v34
	s_or_b32 exec_lo, exec_lo, s1
	s_and_saveexec_b32 s1, vcc_lo
	s_cbranch_execz .LBB98_115
.LBB98_188:
	ds_read_b32 v34, v30 offset:320
	s_waitcnt lgkmcnt(0)
	v_add_f32_e32 v6, v6, v34
	s_or_b32 exec_lo, exec_lo, s1
	s_and_saveexec_b32 s1, vcc_lo
	s_cbranch_execz .LBB98_116
.LBB98_189:
	ds_read_b32 v34, v30 offset:352
	s_waitcnt lgkmcnt(0)
	v_add_f32_e32 v3, v3, v34
	s_or_b32 exec_lo, exec_lo, s1
	s_and_saveexec_b32 s1, vcc_lo
	s_cbranch_execz .LBB98_117
.LBB98_190:
	ds_read_b32 v34, v30 offset:384
	s_waitcnt lgkmcnt(0)
	v_add_f32_e32 v29, v29, v34
	s_or_b32 exec_lo, exec_lo, s1
	s_and_saveexec_b32 s1, vcc_lo
	s_cbranch_execz .LBB98_118
.LBB98_191:
	ds_read_b32 v34, v30 offset:416
	s_waitcnt lgkmcnt(0)
	v_add_f32_e32 v28, v28, v34
	s_or_b32 exec_lo, exec_lo, s1
	s_and_saveexec_b32 s1, vcc_lo
	s_cbranch_execz .LBB98_119
.LBB98_192:
	ds_read_b32 v34, v30 offset:448
	s_waitcnt lgkmcnt(0)
	v_add_f32_e32 v27, v27, v34
	s_or_b32 exec_lo, exec_lo, s1
	s_and_saveexec_b32 s1, vcc_lo
	s_cbranch_execz .LBB98_120
.LBB98_193:
	ds_read_b32 v34, v30 offset:480
	s_waitcnt lgkmcnt(0)
	v_add_f32_e32 v26, v26, v34
	s_or_b32 exec_lo, exec_lo, s1
	s_and_saveexec_b32 s1, vcc_lo
	s_cbranch_execz .LBB98_121
.LBB98_194:
	ds_read_b32 v34, v30 offset:512
	s_waitcnt lgkmcnt(0)
	v_add_f32_e32 v25, v25, v34
	s_or_b32 exec_lo, exec_lo, s1
	s_and_saveexec_b32 s1, vcc_lo
	s_cbranch_execz .LBB98_122
.LBB98_195:
	ds_read_b32 v34, v30 offset:544
	s_waitcnt lgkmcnt(0)
	v_add_f32_e32 v24, v24, v34
	s_or_b32 exec_lo, exec_lo, s1
	s_and_saveexec_b32 s1, vcc_lo
	s_cbranch_execz .LBB98_123
.LBB98_196:
	ds_read_b32 v34, v30 offset:576
	s_waitcnt lgkmcnt(0)
	v_add_f32_e32 v23, v23, v34
	s_or_b32 exec_lo, exec_lo, s1
	s_and_saveexec_b32 s1, vcc_lo
	s_cbranch_execz .LBB98_124
.LBB98_197:
	ds_read_b32 v34, v30 offset:608
	s_waitcnt lgkmcnt(0)
	v_add_f32_e32 v22, v22, v34
	s_or_b32 exec_lo, exec_lo, s1
	s_and_saveexec_b32 s1, vcc_lo
	s_cbranch_execz .LBB98_125
.LBB98_198:
	ds_read_b32 v34, v30 offset:640
	s_waitcnt lgkmcnt(0)
	v_add_f32_e32 v21, v21, v34
	s_or_b32 exec_lo, exec_lo, s1
	s_and_saveexec_b32 s1, vcc_lo
	s_cbranch_execz .LBB98_126
.LBB98_199:
	ds_read_b32 v34, v30 offset:672
	s_waitcnt lgkmcnt(0)
	v_add_f32_e32 v20, v20, v34
	s_or_b32 exec_lo, exec_lo, s1
	s_and_saveexec_b32 s1, vcc_lo
	s_cbranch_execz .LBB98_127
.LBB98_200:
	ds_read_b32 v34, v30 offset:704
	s_waitcnt lgkmcnt(0)
	v_add_f32_e32 v19, v19, v34
	s_or_b32 exec_lo, exec_lo, s1
	s_and_saveexec_b32 s1, vcc_lo
	s_cbranch_execz .LBB98_128
.LBB98_201:
	ds_read_b32 v34, v30 offset:736
	s_waitcnt lgkmcnt(0)
	v_add_f32_e32 v18, v18, v34
	s_or_b32 exec_lo, exec_lo, s1
	s_and_saveexec_b32 s1, vcc_lo
	s_cbranch_execz .LBB98_129
.LBB98_202:
	ds_read_b32 v34, v30 offset:768
	s_waitcnt lgkmcnt(0)
	v_add_f32_e32 v17, v17, v34
	s_or_b32 exec_lo, exec_lo, s1
	s_and_saveexec_b32 s1, vcc_lo
	s_cbranch_execz .LBB98_130
.LBB98_203:
	ds_read_b32 v34, v30 offset:800
	s_waitcnt lgkmcnt(0)
	v_add_f32_e32 v16, v16, v34
	s_or_b32 exec_lo, exec_lo, s1
	s_and_saveexec_b32 s1, vcc_lo
	s_cbranch_execz .LBB98_131
.LBB98_204:
	ds_read_b32 v34, v30 offset:832
	s_waitcnt lgkmcnt(0)
	v_add_f32_e32 v15, v15, v34
	s_or_b32 exec_lo, exec_lo, s1
	s_and_saveexec_b32 s1, vcc_lo
	s_cbranch_execz .LBB98_132
.LBB98_205:
	ds_read_b32 v34, v30 offset:864
	s_waitcnt lgkmcnt(0)
	v_add_f32_e32 v12, v12, v34
	s_or_b32 exec_lo, exec_lo, s1
	s_and_saveexec_b32 s1, vcc_lo
	s_cbranch_execz .LBB98_133
.LBB98_206:
	ds_read_b32 v34, v30 offset:896
	s_waitcnt lgkmcnt(0)
	v_add_f32_e32 v11, v11, v34
	s_or_b32 exec_lo, exec_lo, s1
	s_and_saveexec_b32 s1, vcc_lo
	s_cbranch_execz .LBB98_134
.LBB98_207:
	ds_read_b32 v34, v30 offset:928
	s_waitcnt lgkmcnt(0)
	v_add_f32_e32 v4, v4, v34
	s_or_b32 exec_lo, exec_lo, s1
	s_and_saveexec_b32 s1, vcc_lo
	s_cbranch_execz .LBB98_135
.LBB98_208:
	ds_read_b32 v34, v30 offset:960
	s_waitcnt lgkmcnt(0)
	v_add_f32_e32 v13, v13, v34
	s_or_b32 exec_lo, exec_lo, s1
	s_and_saveexec_b32 s1, vcc_lo
	s_cbranch_execnz .LBB98_136
	s_branch .LBB98_137
.LBB98_209:
	ds_read_b32 v31, v30
	s_waitcnt lgkmcnt(0)
	v_add_f32_e32 v33, v33, v31
	s_or_b32 exec_lo, exec_lo, s0
	s_and_saveexec_b32 s0, vcc_lo
	s_cbranch_execz .LBB98_143
.LBB98_210:
	ds_read_b32 v31, v30 offset:32
	s_waitcnt lgkmcnt(0)
	v_add_f32_e32 v32, v32, v31
	s_or_b32 exec_lo, exec_lo, s0
	s_and_saveexec_b32 s0, vcc_lo
	s_cbranch_execz .LBB98_144
.LBB98_211:
	ds_read_b32 v31, v30 offset:64
	s_waitcnt lgkmcnt(0)
	v_add_f32_e32 v9, v9, v31
	s_or_b32 exec_lo, exec_lo, s0
	s_and_saveexec_b32 s0, vcc_lo
	s_cbranch_execz .LBB98_145
.LBB98_212:
	ds_read_b32 v31, v30 offset:96
	s_waitcnt lgkmcnt(0)
	v_add_f32_e32 v7, v7, v31
	s_or_b32 exec_lo, exec_lo, s0
	s_and_saveexec_b32 s0, vcc_lo
	s_cbranch_execz .LBB98_146
.LBB98_213:
	ds_read_b32 v31, v30 offset:128
	s_waitcnt lgkmcnt(0)
	v_add_f32_e32 v5, v5, v31
	s_or_b32 exec_lo, exec_lo, s0
	s_and_saveexec_b32 s0, vcc_lo
	s_cbranch_execz .LBB98_147
.LBB98_214:
	ds_read_b32 v31, v30 offset:160
	s_waitcnt lgkmcnt(0)
	v_add_f32_e32 v1, v1, v31
	s_or_b32 exec_lo, exec_lo, s0
	s_and_saveexec_b32 s0, vcc_lo
	s_cbranch_execz .LBB98_148
.LBB98_215:
	ds_read_b32 v31, v30 offset:192
	s_waitcnt lgkmcnt(0)
	v_add_f32_e32 v0, v0, v31
	s_or_b32 exec_lo, exec_lo, s0
	s_and_saveexec_b32 s0, vcc_lo
	s_cbranch_execz .LBB98_149
.LBB98_216:
	ds_read_b32 v31, v30 offset:224
	s_waitcnt lgkmcnt(0)
	v_add_f32_e32 v2, v2, v31
	s_or_b32 exec_lo, exec_lo, s0
	s_and_saveexec_b32 s0, vcc_lo
	s_cbranch_execz .LBB98_150
.LBB98_217:
	ds_read_b32 v31, v30 offset:256
	s_waitcnt lgkmcnt(0)
	v_add_f32_e32 v10, v10, v31
	s_or_b32 exec_lo, exec_lo, s0
	s_and_saveexec_b32 s0, vcc_lo
	s_cbranch_execz .LBB98_151
.LBB98_218:
	ds_read_b32 v31, v30 offset:288
	s_waitcnt lgkmcnt(0)
	v_add_f32_e32 v8, v8, v31
	s_or_b32 exec_lo, exec_lo, s0
	s_and_saveexec_b32 s0, vcc_lo
	s_cbranch_execz .LBB98_152
.LBB98_219:
	ds_read_b32 v31, v30 offset:320
	s_waitcnt lgkmcnt(0)
	v_add_f32_e32 v6, v6, v31
	s_or_b32 exec_lo, exec_lo, s0
	s_and_saveexec_b32 s0, vcc_lo
	s_cbranch_execz .LBB98_153
.LBB98_220:
	ds_read_b32 v31, v30 offset:352
	s_waitcnt lgkmcnt(0)
	v_add_f32_e32 v3, v3, v31
	s_or_b32 exec_lo, exec_lo, s0
	s_and_saveexec_b32 s0, vcc_lo
	s_cbranch_execz .LBB98_154
.LBB98_221:
	ds_read_b32 v31, v30 offset:384
	s_waitcnt lgkmcnt(0)
	v_add_f32_e32 v29, v29, v31
	s_or_b32 exec_lo, exec_lo, s0
	s_and_saveexec_b32 s0, vcc_lo
	s_cbranch_execz .LBB98_155
.LBB98_222:
	ds_read_b32 v31, v30 offset:416
	s_waitcnt lgkmcnt(0)
	v_add_f32_e32 v28, v28, v31
	s_or_b32 exec_lo, exec_lo, s0
	s_and_saveexec_b32 s0, vcc_lo
	s_cbranch_execz .LBB98_156
.LBB98_223:
	ds_read_b32 v31, v30 offset:448
	s_waitcnt lgkmcnt(0)
	v_add_f32_e32 v27, v27, v31
	s_or_b32 exec_lo, exec_lo, s0
	s_and_saveexec_b32 s0, vcc_lo
	s_cbranch_execz .LBB98_157
.LBB98_224:
	ds_read_b32 v31, v30 offset:480
	s_waitcnt lgkmcnt(0)
	v_add_f32_e32 v26, v26, v31
	s_or_b32 exec_lo, exec_lo, s0
	s_and_saveexec_b32 s0, vcc_lo
	s_cbranch_execz .LBB98_158
.LBB98_225:
	ds_read_b32 v31, v30 offset:512
	s_waitcnt lgkmcnt(0)
	v_add_f32_e32 v25, v25, v31
	s_or_b32 exec_lo, exec_lo, s0
	s_and_saveexec_b32 s0, vcc_lo
	s_cbranch_execz .LBB98_159
.LBB98_226:
	ds_read_b32 v31, v30 offset:544
	s_waitcnt lgkmcnt(0)
	v_add_f32_e32 v24, v24, v31
	s_or_b32 exec_lo, exec_lo, s0
	s_and_saveexec_b32 s0, vcc_lo
	s_cbranch_execz .LBB98_160
.LBB98_227:
	ds_read_b32 v31, v30 offset:576
	s_waitcnt lgkmcnt(0)
	v_add_f32_e32 v23, v23, v31
	s_or_b32 exec_lo, exec_lo, s0
	s_and_saveexec_b32 s0, vcc_lo
	s_cbranch_execz .LBB98_161
.LBB98_228:
	ds_read_b32 v31, v30 offset:608
	s_waitcnt lgkmcnt(0)
	v_add_f32_e32 v22, v22, v31
	s_or_b32 exec_lo, exec_lo, s0
	s_and_saveexec_b32 s0, vcc_lo
	s_cbranch_execz .LBB98_162
.LBB98_229:
	ds_read_b32 v31, v30 offset:640
	s_waitcnt lgkmcnt(0)
	v_add_f32_e32 v21, v21, v31
	s_or_b32 exec_lo, exec_lo, s0
	s_and_saveexec_b32 s0, vcc_lo
	s_cbranch_execz .LBB98_163
.LBB98_230:
	ds_read_b32 v31, v30 offset:672
	s_waitcnt lgkmcnt(0)
	v_add_f32_e32 v20, v20, v31
	s_or_b32 exec_lo, exec_lo, s0
	s_and_saveexec_b32 s0, vcc_lo
	s_cbranch_execz .LBB98_164
.LBB98_231:
	ds_read_b32 v31, v30 offset:704
	s_waitcnt lgkmcnt(0)
	v_add_f32_e32 v19, v19, v31
	s_or_b32 exec_lo, exec_lo, s0
	s_and_saveexec_b32 s0, vcc_lo
	s_cbranch_execz .LBB98_165
.LBB98_232:
	ds_read_b32 v31, v30 offset:736
	s_waitcnt lgkmcnt(0)
	v_add_f32_e32 v18, v18, v31
	s_or_b32 exec_lo, exec_lo, s0
	s_and_saveexec_b32 s0, vcc_lo
	s_cbranch_execz .LBB98_166
.LBB98_233:
	ds_read_b32 v31, v30 offset:768
	s_waitcnt lgkmcnt(0)
	v_add_f32_e32 v17, v17, v31
	s_or_b32 exec_lo, exec_lo, s0
	s_and_saveexec_b32 s0, vcc_lo
	s_cbranch_execz .LBB98_167
.LBB98_234:
	ds_read_b32 v31, v30 offset:800
	s_waitcnt lgkmcnt(0)
	v_add_f32_e32 v16, v16, v31
	s_or_b32 exec_lo, exec_lo, s0
	s_and_saveexec_b32 s0, vcc_lo
	s_cbranch_execz .LBB98_168
.LBB98_235:
	ds_read_b32 v31, v30 offset:832
	s_waitcnt lgkmcnt(0)
	v_add_f32_e32 v15, v15, v31
	s_or_b32 exec_lo, exec_lo, s0
	s_and_saveexec_b32 s0, vcc_lo
	s_cbranch_execz .LBB98_169
.LBB98_236:
	ds_read_b32 v31, v30 offset:864
	s_waitcnt lgkmcnt(0)
	v_add_f32_e32 v12, v12, v31
	s_or_b32 exec_lo, exec_lo, s0
	s_and_saveexec_b32 s0, vcc_lo
	s_cbranch_execz .LBB98_170
.LBB98_237:
	ds_read_b32 v31, v30 offset:896
	s_waitcnt lgkmcnt(0)
	v_add_f32_e32 v11, v11, v31
	s_or_b32 exec_lo, exec_lo, s0
	s_and_saveexec_b32 s0, vcc_lo
	s_cbranch_execz .LBB98_171
.LBB98_238:
	ds_read_b32 v31, v30 offset:928
	s_waitcnt lgkmcnt(0)
	v_add_f32_e32 v4, v4, v31
	s_or_b32 exec_lo, exec_lo, s0
	s_and_saveexec_b32 s0, vcc_lo
	s_cbranch_execz .LBB98_172
.LBB98_239:
	ds_read_b32 v31, v30 offset:960
	s_waitcnt lgkmcnt(0)
	v_add_f32_e32 v13, v13, v31
	s_or_b32 exec_lo, exec_lo, s0
	s_and_saveexec_b32 s0, vcc_lo
	s_cbranch_execnz .LBB98_173
	s_branch .LBB98_174
	.section	.rodata,"a",@progbits
	.p2align	6, 0x0
	.amdhsa_kernel _ZN4vllm25paged_attention_v1_kernelIttLi256ELi32ELi128ELNS_18Fp8KVCacheDataTypeE0ELb1EEEvPT_PKS2_PKT0_S8_ifPKiSA_iPKfiiiSC_SC_iiiii
		.amdhsa_group_segment_fixed_size 544
		.amdhsa_private_segment_fixed_size 148
		.amdhsa_kernarg_size 384
		.amdhsa_user_sgpr_count 6
		.amdhsa_user_sgpr_private_segment_buffer 1
		.amdhsa_user_sgpr_dispatch_ptr 0
		.amdhsa_user_sgpr_queue_ptr 0
		.amdhsa_user_sgpr_kernarg_segment_ptr 1
		.amdhsa_user_sgpr_dispatch_id 0
		.amdhsa_user_sgpr_flat_scratch_init 0
		.amdhsa_user_sgpr_private_segment_size 0
		.amdhsa_wavefront_size32 1
		.amdhsa_uses_dynamic_stack 0
		.amdhsa_system_sgpr_private_segment_wavefront_offset 1
		.amdhsa_system_sgpr_workgroup_id_x 1
		.amdhsa_system_sgpr_workgroup_id_y 1
		.amdhsa_system_sgpr_workgroup_id_z 1
		.amdhsa_system_sgpr_workgroup_info 0
		.amdhsa_system_vgpr_workitem_id 0
		.amdhsa_next_free_vgpr 128
		.amdhsa_next_free_sgpr 44
		.amdhsa_reserve_vcc 1
		.amdhsa_reserve_flat_scratch 0
		.amdhsa_float_round_mode_32 0
		.amdhsa_float_round_mode_16_64 0
		.amdhsa_float_denorm_mode_32 3
		.amdhsa_float_denorm_mode_16_64 3
		.amdhsa_dx10_clamp 1
		.amdhsa_ieee_mode 1
		.amdhsa_fp16_overflow 0
		.amdhsa_workgroup_processor_mode 1
		.amdhsa_memory_ordered 1
		.amdhsa_forward_progress 1
		.amdhsa_shared_vgpr_count 0
		.amdhsa_exception_fp_ieee_invalid_op 0
		.amdhsa_exception_fp_denorm_src 0
		.amdhsa_exception_fp_ieee_div_zero 0
		.amdhsa_exception_fp_ieee_overflow 0
		.amdhsa_exception_fp_ieee_underflow 0
		.amdhsa_exception_fp_ieee_inexact 0
		.amdhsa_exception_int_div_zero 0
	.end_amdhsa_kernel
	.section	.text._ZN4vllm25paged_attention_v1_kernelIttLi256ELi32ELi128ELNS_18Fp8KVCacheDataTypeE0ELb1EEEvPT_PKS2_PKT0_S8_ifPKiSA_iPKfiiiSC_SC_iiiii,"axG",@progbits,_ZN4vllm25paged_attention_v1_kernelIttLi256ELi32ELi128ELNS_18Fp8KVCacheDataTypeE0ELb1EEEvPT_PKS2_PKT0_S8_ifPKiSA_iPKfiiiSC_SC_iiiii,comdat
.Lfunc_end98:
	.size	_ZN4vllm25paged_attention_v1_kernelIttLi256ELi32ELi128ELNS_18Fp8KVCacheDataTypeE0ELb1EEEvPT_PKS2_PKT0_S8_ifPKiSA_iPKfiiiSC_SC_iiiii, .Lfunc_end98-_ZN4vllm25paged_attention_v1_kernelIttLi256ELi32ELi128ELNS_18Fp8KVCacheDataTypeE0ELb1EEEvPT_PKS2_PKT0_S8_ifPKiSA_iPKfiiiSC_SC_iiiii
                                        ; -- End function
	.set _ZN4vllm25paged_attention_v1_kernelIttLi256ELi32ELi128ELNS_18Fp8KVCacheDataTypeE0ELb1EEEvPT_PKS2_PKT0_S8_ifPKiSA_iPKfiiiSC_SC_iiiii.num_vgpr, 128
	.set _ZN4vllm25paged_attention_v1_kernelIttLi256ELi32ELi128ELNS_18Fp8KVCacheDataTypeE0ELb1EEEvPT_PKS2_PKT0_S8_ifPKiSA_iPKfiiiSC_SC_iiiii.num_agpr, 0
	.set _ZN4vllm25paged_attention_v1_kernelIttLi256ELi32ELi128ELNS_18Fp8KVCacheDataTypeE0ELb1EEEvPT_PKS2_PKT0_S8_ifPKiSA_iPKfiiiSC_SC_iiiii.numbered_sgpr, 44
	.set _ZN4vllm25paged_attention_v1_kernelIttLi256ELi32ELi128ELNS_18Fp8KVCacheDataTypeE0ELb1EEEvPT_PKS2_PKT0_S8_ifPKiSA_iPKfiiiSC_SC_iiiii.num_named_barrier, 0
	.set _ZN4vllm25paged_attention_v1_kernelIttLi256ELi32ELi128ELNS_18Fp8KVCacheDataTypeE0ELb1EEEvPT_PKS2_PKT0_S8_ifPKiSA_iPKfiiiSC_SC_iiiii.private_seg_size, 148
	.set _ZN4vllm25paged_attention_v1_kernelIttLi256ELi32ELi128ELNS_18Fp8KVCacheDataTypeE0ELb1EEEvPT_PKS2_PKT0_S8_ifPKiSA_iPKfiiiSC_SC_iiiii.uses_vcc, 1
	.set _ZN4vllm25paged_attention_v1_kernelIttLi256ELi32ELi128ELNS_18Fp8KVCacheDataTypeE0ELb1EEEvPT_PKS2_PKT0_S8_ifPKiSA_iPKfiiiSC_SC_iiiii.uses_flat_scratch, 0
	.set _ZN4vllm25paged_attention_v1_kernelIttLi256ELi32ELi128ELNS_18Fp8KVCacheDataTypeE0ELb1EEEvPT_PKS2_PKT0_S8_ifPKiSA_iPKfiiiSC_SC_iiiii.has_dyn_sized_stack, 0
	.set _ZN4vllm25paged_attention_v1_kernelIttLi256ELi32ELi128ELNS_18Fp8KVCacheDataTypeE0ELb1EEEvPT_PKS2_PKT0_S8_ifPKiSA_iPKfiiiSC_SC_iiiii.has_recursion, 0
	.set _ZN4vllm25paged_attention_v1_kernelIttLi256ELi32ELi128ELNS_18Fp8KVCacheDataTypeE0ELb1EEEvPT_PKS2_PKT0_S8_ifPKiSA_iPKfiiiSC_SC_iiiii.has_indirect_call, 0
	.section	.AMDGPU.csdata,"",@progbits
; Kernel info:
; codeLenInByte = 36868
; TotalNumSgprs: 46
; NumVgprs: 128
; ScratchSize: 148
; MemoryBound: 0
; FloatMode: 240
; IeeeMode: 1
; LDSByteSize: 544 bytes/workgroup (compile time only)
; SGPRBlocks: 0
; VGPRBlocks: 15
; NumSGPRsForWavesPerEU: 46
; NumVGPRsForWavesPerEU: 128
; Occupancy: 8
; WaveLimiterHint : 1
; COMPUTE_PGM_RSRC2:SCRATCH_EN: 1
; COMPUTE_PGM_RSRC2:USER_SGPR: 6
; COMPUTE_PGM_RSRC2:TRAP_HANDLER: 0
; COMPUTE_PGM_RSRC2:TGID_X_EN: 1
; COMPUTE_PGM_RSRC2:TGID_Y_EN: 1
; COMPUTE_PGM_RSRC2:TGID_Z_EN: 1
; COMPUTE_PGM_RSRC2:TIDIG_COMP_CNT: 0
	.section	.text._ZN4vllm25paged_attention_v1_kernelIttLi32ELi32ELi128ELNS_18Fp8KVCacheDataTypeE0ELb0EEEvPT_PKS2_PKT0_S8_ifPKiSA_iPKfiiiSC_SC_iiiii,"axG",@progbits,_ZN4vllm25paged_attention_v1_kernelIttLi32ELi32ELi128ELNS_18Fp8KVCacheDataTypeE0ELb0EEEvPT_PKS2_PKT0_S8_ifPKiSA_iPKfiiiSC_SC_iiiii,comdat
	.protected	_ZN4vllm25paged_attention_v1_kernelIttLi32ELi32ELi128ELNS_18Fp8KVCacheDataTypeE0ELb0EEEvPT_PKS2_PKT0_S8_ifPKiSA_iPKfiiiSC_SC_iiiii ; -- Begin function _ZN4vllm25paged_attention_v1_kernelIttLi32ELi32ELi128ELNS_18Fp8KVCacheDataTypeE0ELb0EEEvPT_PKS2_PKT0_S8_ifPKiSA_iPKfiiiSC_SC_iiiii
	.globl	_ZN4vllm25paged_attention_v1_kernelIttLi32ELi32ELi128ELNS_18Fp8KVCacheDataTypeE0ELb0EEEvPT_PKS2_PKT0_S8_ifPKiSA_iPKfiiiSC_SC_iiiii
	.p2align	8
	.type	_ZN4vllm25paged_attention_v1_kernelIttLi32ELi32ELi128ELNS_18Fp8KVCacheDataTypeE0ELb0EEEvPT_PKS2_PKT0_S8_ifPKiSA_iPKfiiiSC_SC_iiiii,@function
_ZN4vllm25paged_attention_v1_kernelIttLi32ELi32ELi128ELNS_18Fp8KVCacheDataTypeE0ELb0EEEvPT_PKS2_PKT0_S8_ifPKiSA_iPKfiiiSC_SC_iiiii: ; @_ZN4vllm25paged_attention_v1_kernelIttLi32ELi32ELi128ELNS_18Fp8KVCacheDataTypeE0ELb0EEEvPT_PKS2_PKT0_S8_ifPKiSA_iPKfiiiSC_SC_iiiii
; %bb.0:
	s_clause 0x2
	s_load_dword s9, s[4:5], 0x80
	s_load_dwordx2 s[0:1], s[4:5], 0x30
	s_load_dwordx2 s[2:3], s[4:5], 0x20
	s_mov_b32 s10, s7
	s_ashr_i32 s11, s7, 31
	s_mov_b32 s24, 0
	s_lshl_b64 s[12:13], s[10:11], 2
	s_waitcnt lgkmcnt(0)
	s_add_u32 s0, s0, s12
	s_addc_u32 s1, s1, s13
	s_abs_i32 s7, s2
	s_abs_i32 s13, s9
	v_cvt_f32_u32_e32 v1, s7
	s_sub_i32 s12, 0, s7
	s_xor_b32 s2, s9, s2
	s_ashr_i32 s2, s2, 31
	v_rcp_iflag_f32_e32 v1, v1
	v_mul_f32_e32 v1, 0x4f7ffffe, v1
	v_cvt_u32_f32_e32 v1, v1
	v_readfirstlane_b32 s11, v1
	s_mul_i32 s12, s12, s11
	s_mul_hi_u32 s12, s11, s12
	s_add_i32 s11, s11, s12
	s_mul_hi_u32 s11, s13, s11
	s_mul_i32 s12, s11, s7
	s_sub_i32 s12, s13, s12
	s_add_i32 s13, s11, 1
	s_sub_i32 s14, s12, s7
	s_cmp_ge_u32 s12, s7
	s_cselect_b32 s11, s13, s11
	s_cselect_b32 s12, s14, s12
	s_add_i32 s13, s11, 1
	s_cmp_ge_u32 s12, s7
	s_cselect_b32 s7, s13, s11
	s_load_dwordx2 s[12:13], s[4:5], 0x40
	s_xor_b32 s7, s7, s2
	s_abs_i32 s16, s6
	s_sub_i32 s17, s7, s2
	s_abs_i32 s2, s17
	v_cvt_f32_u32_e32 v1, s2
	s_sub_i32 s11, 0, s2
	v_rcp_iflag_f32_e32 v1, v1
	v_mul_f32_e32 v1, 0x4f7ffffe, v1
	v_cvt_u32_f32_e32 v1, v1
	v_readfirstlane_b32 s7, v1
	s_mul_i32 s11, s11, s7
	s_mul_hi_u32 s11, s7, s11
	s_add_i32 s7, s7, s11
	s_waitcnt lgkmcnt(0)
	s_cmp_eq_u64 s[12:13], 0
	s_mul_hi_u32 s20, s16, s7
	s_cbranch_scc1 .LBB99_2
; %bb.1:
	s_ashr_i32 s7, s6, 31
	s_lshl_b64 s[14:15], s[6:7], 2
	s_add_u32 s12, s12, s14
	s_addc_u32 s13, s13, s15
	s_load_dword s24, s[12:13], 0x0
.LBB99_2:
	s_load_dword s11, s[0:1], 0x0
	s_clause 0x1
	s_load_dwordx2 s[18:19], s[4:5], 0x28
	s_load_dwordx4 s[12:15], s[4:5], 0x48
	v_lshlrev_b32_e32 v3, 4, v0
	s_ashr_i32 s0, s6, 31
	s_ashr_i32 s1, s17, 31
	s_lshl_b32 s6, s6, 5
	s_waitcnt lgkmcnt(0)
	s_mov_b32 s15, exec_lo
	v_cmpx_gt_u32_e32 4, v0
	s_cbranch_execz .LBB99_4
; %bb.3:
	s_load_dwordx2 s[22:23], s[4:5], 0x8
	s_mul_i32 s26, s12, s10
	s_ashr_i32 s27, s26, 31
	s_lshl_b64 s[26:27], s[26:27], 1
	s_waitcnt lgkmcnt(0)
	s_add_u32 s12, s22, s26
	s_addc_u32 s17, s23, s27
	s_ashr_i32 s7, s6, 31
	s_lshl_b64 s[22:23], s[6:7], 1
	s_add_u32 s22, s12, s22
	s_addc_u32 s23, s17, s23
	global_load_dwordx4 v[4:7], v3, s[22:23]
	s_waitcnt vmcnt(0)
	ds_write_b128 v3, v[4:7]
.LBB99_4:
	s_or_b32 exec_lo, exec_lo, s15
	s_add_i32 s7, s11, 31
	s_xor_b32 s0, s0, s1
	s_ashr_i32 s12, s7, 31
	s_load_dword s15, s[4:5], 0x38
	s_lshr_b32 s1, s12, 27
	s_mul_i32 s12, s20, s2
	s_add_i32 s7, s7, s1
	s_sub_i32 s1, s16, s12
	s_ashr_i32 s12, s7, 5
	s_clause 0x2
	s_load_dwordx2 s[16:17], s[4:5], 0x0
	s_load_dwordx2 s[22:23], s[4:5], 0x18
	s_load_dword s7, s[4:5], 0x88
	s_add_i32 s21, s20, 1
	s_sub_i32 s25, s1, s2
	s_cmp_ge_u32 s1, s2
	v_lshrrev_b32_e32 v9, 5, v0
	s_cselect_b32 s20, s21, s20
	s_cselect_b32 s1, s25, s1
	s_add_i32 s21, s20, 1
	s_cmp_ge_u32 s1, s2
	v_and_b32_e32 v10, 31, v0
	s_cselect_b32 s1, s21, s20
	v_mov_b32_e32 v6, 0xff7fffff
	s_xor_b32 s1, s1, s0
	v_lshrrev_b32_e32 v4, 3, v0
	s_sub_i32 s1, s1, s0
	v_cmp_gt_i32_e64 s0, s12, v9
	v_lshlrev_b32_e32 v5, 2, v10
	s_waitcnt lgkmcnt(0)
	s_mul_i32 s20, s15, s10
	s_mul_i32 s14, s1, s14
	s_ashr_i32 s21, s20, 31
	s_barrier
	buffer_gl0_inv
	s_and_saveexec_b32 s25, s0
	s_cbranch_execz .LBB99_8
; %bb.5:
	s_load_dwordx2 s[4:5], s[4:5], 0x10
	s_ashr_i32 s15, s14, 31
	v_lshlrev_b32_e32 v1, 4, v10
	s_lshl_b64 s[26:27], s[14:15], 1
	v_and_b32_e32 v14, 0x7c, v4
	v_lshl_or_b32 v2, v9, 7, v5
	v_mov_b32_e32 v7, 0
	v_cmp_neq_f32_e64 vcc_lo, s24, 0
	v_lshl_or_b32 v8, v9, 5, v10
	v_mov_b32_e32 v6, 0xff7fffff
	v_add_nc_u32_e32 v11, 0x60, v2
	s_mov_b32 s15, s13
	s_waitcnt lgkmcnt(0)
	s_add_u32 s1, s4, s26
	s_addc_u32 s2, s5, s27
	s_lshl_b64 s[26:27], s[20:21], 2
	v_add_co_u32 v12, s1, s1, v1
	s_sub_i32 s4, 1, s11
	v_add_co_ci_u32_e64 v13, null, s2, 0, s1
	s_add_u32 s1, s18, s26
	s_addc_u32 s2, s19, s27
	v_add_co_u32 v1, s1, s1, v14
	v_add_co_ci_u32_e64 v2, null, s2, 0, s1
	v_mov_b32_e32 v14, v9
	s_mov_b32 s5, 0
.LBB99_6:                               ; =>This Inner Loop Header: Depth=1
	global_load_dword v15, v[1:2], off
	v_add_nc_u32_e32 v14, 4, v14
	v_cmp_le_i32_e64 s2, s12, v14
	s_or_b32 s5, s2, s5
	s_waitcnt vmcnt(0)
	v_mad_i64_i32 v[15:16], null, v15, s15, 0
	v_lshlrev_b64 v[15:16], 1, v[15:16]
	v_add_co_u32 v15, s1, v12, v15
	v_add_co_ci_u32_e64 v16, null, v13, v16, s1
	v_add_co_u32 v1, s1, v1, 16
	v_add_co_ci_u32_e64 v2, null, 0, v2, s1
	s_clause 0x3
	global_load_dwordx4 v[17:20], v[15:16], off
	global_load_dwordx4 v[21:24], v[15:16], off offset:512
	global_load_dwordx4 v[29:32], v[15:16], off offset:1024
	;; [unrolled: 1-line block ×3, first 2 shown]
	ds_read_b128 v[25:28], v7
	v_cmp_gt_i32_e64 s1, s11, v8
	s_waitcnt lgkmcnt(0)
	v_lshrrev_b32_e32 v16, 16, v25
	v_and_b32_e32 v15, 0xffff, v25
	v_lshrrev_b32_e32 v41, 16, v26
	v_and_b32_e32 v42, 0xffff, v26
	;; [unrolled: 2-line block ×4, first 2 shown]
	;;#ASMSTART
	v_cvt_f32_f16 v15, v15;
	;;#ASMEND
	;;#ASMSTART
	v_cvt_f32_f16 v16, v16;
	;;#ASMEND
	s_waitcnt vmcnt(3)
	v_lshrrev_b32_e32 v46, 16, v17
	v_and_b32_e32 v45, 0xffff, v17
	v_lshrrev_b32_e32 v50, 16, v18
	v_and_b32_e32 v49, 0xffff, v18
	;; [unrolled: 2-line block ×4, first 2 shown]
	;;#ASMSTART
	v_cvt_f32_f16 v45, v45;
	;;#ASMEND
	;;#ASMSTART
	v_cvt_f32_f16 v46, v46;
	;;#ASMEND
	;;#ASMSTART
	v_cvt_f32_f16 v47, v42;
	;;#ASMEND
	;;#ASMSTART
	v_cvt_f32_f16 v48, v41;
	;;#ASMEND
	;;#ASMSTART
	v_cvt_f32_f16 v49, v49;
	;;#ASMEND
	;;#ASMSTART
	v_cvt_f32_f16 v50, v50;
	;;#ASMEND
	;;#ASMSTART
	v_cvt_f32_f16 v51, v44;
	;;#ASMEND
	;;#ASMSTART
	v_cvt_f32_f16 v52, v43;
	;;#ASMEND
	;;#ASMSTART
	v_cvt_f32_f16 v53, v53;
	;;#ASMEND
	;;#ASMSTART
	v_cvt_f32_f16 v54, v54;
	;;#ASMEND
	;;#ASMSTART
	v_cvt_f32_f16 v55, v55;
	;;#ASMEND
	;;#ASMSTART
	v_cvt_f32_f16 v56, v56;
	;;#ASMEND
	;;#ASMSTART
	v_cvt_f32_f16 v57, v57;
	;;#ASMEND
	;;#ASMSTART
	v_cvt_f32_f16 v58, v58;
	;;#ASMEND
	ds_read_b128 v[41:44], v7 offset:16
	s_waitcnt vmcnt(2)
	v_lshrrev_b32_e32 v17, 16, v21
	v_and_b32_e32 v18, 0xffff, v21
	v_and_b32_e32 v20, 0xffff, v22
	v_lshrrev_b32_e32 v19, 16, v22
	v_lshrrev_b32_e32 v21, 16, v23
	v_and_b32_e32 v23, 0xffff, v23
	v_lshrrev_b32_e32 v26, 16, v24
	v_and_b32_e32 v28, 0xffff, v24
	s_waitcnt vmcnt(1)
	v_lshrrev_b32_e32 v22, 16, v29
	v_and_b32_e32 v24, 0xffff, v29
	v_lshrrev_b32_e32 v25, 16, v30
	v_and_b32_e32 v27, 0xffff, v30
	;; [unrolled: 2-line block ×4, first 2 shown]
	s_waitcnt vmcnt(0)
	v_lshrrev_b32_e32 v31, 16, v37
	v_and_b32_e32 v32, 0xffff, v37
	v_and_b32_e32 v36, 0xffff, v38
	s_waitcnt lgkmcnt(0)
	v_lshrrev_b32_e32 v59, 16, v41
	v_and_b32_e32 v60, 0xffff, v41
	v_lshrrev_b32_e32 v61, 16, v42
	v_and_b32_e32 v62, 0xffff, v42
	;; [unrolled: 2-line block ×4, first 2 shown]
	;;#ASMSTART
	v_cvt_f32_f16 v43, v60;
	;;#ASMEND
	;;#ASMSTART
	v_cvt_f32_f16 v44, v59;
	;;#ASMEND
	;;#ASMSTART
	v_cvt_f32_f16 v18, v18;
	;;#ASMEND
	;;#ASMSTART
	v_cvt_f32_f16 v17, v17;
	;;#ASMEND
	;;#ASMSTART
	v_cvt_f32_f16 v59, v62;
	;;#ASMEND
	;;#ASMSTART
	v_cvt_f32_f16 v60, v61;
	;;#ASMEND
	;;#ASMSTART
	v_cvt_f32_f16 v20, v20;
	;;#ASMEND
	;;#ASMSTART
	v_cvt_f32_f16 v61, v19;
	;;#ASMEND
	;;#ASMSTART
	v_cvt_f32_f16 v62, v64;
	;;#ASMEND
	;;#ASMSTART
	v_cvt_f32_f16 v63, v63;
	;;#ASMEND
	;;#ASMSTART
	v_cvt_f32_f16 v23, v23;
	;;#ASMEND
	;;#ASMSTART
	v_cvt_f32_f16 v21, v21;
	;;#ASMEND
	;;#ASMSTART
	v_cvt_f32_f16 v64, v66;
	;;#ASMEND
	;;#ASMSTART
	v_cvt_f32_f16 v65, v65;
	;;#ASMEND
	;;#ASMSTART
	v_cvt_f32_f16 v28, v28;
	;;#ASMEND
	;;#ASMSTART
	v_cvt_f32_f16 v26, v26;
	;;#ASMEND
	v_mul_f32_e32 v43, v43, v18
	v_mul_f32_e32 v44, v44, v17
	;; [unrolled: 1-line block ×3, first 2 shown]
	ds_read_b128 v[17:20], v7 offset:32
	v_mul_f32_e32 v60, v60, v61
	v_fmac_f32_e32 v43, v15, v45
	v_fmac_f32_e32 v44, v16, v46
	;; [unrolled: 1-line block ×3, first 2 shown]
	v_mul_f32_e32 v23, v62, v23
	v_fmac_f32_e32 v60, v48, v50
	v_mul_f32_e32 v21, v63, v21
	v_lshrrev_b32_e32 v35, 16, v38
	v_mul_f32_e32 v28, v64, v28
	v_fmac_f32_e32 v23, v51, v53
	v_lshrrev_b32_e32 v37, 16, v39
	v_fmac_f32_e32 v21, v52, v54
	v_and_b32_e32 v39, 0xffff, v39
	v_mul_f32_e32 v26, v65, v26
	v_fmac_f32_e32 v28, v55, v57
	v_add_nc_u32_e32 v41, s4, v8
	v_lshrrev_b32_e32 v38, 16, v40
	v_and_b32_e32 v40, 0xffff, v40
	v_fmac_f32_e32 v26, v56, v58
	s_waitcnt lgkmcnt(0)
	v_lshrrev_b32_e32 v15, 16, v17
	v_and_b32_e32 v16, 0xffff, v17
	v_lshrrev_b32_e32 v17, 16, v18
	v_and_b32_e32 v18, 0xffff, v18
	;; [unrolled: 2-line block ×4, first 2 shown]
	;;#ASMSTART
	v_cvt_f32_f16 v19, v16;
	;;#ASMEND
	;;#ASMSTART
	v_cvt_f32_f16 v20, v15;
	;;#ASMEND
	;; [unrolled: 3-line block ×16, first 2 shown]
	ds_read_b128 v[15:18], v7 offset:48
	v_fmac_f32_e32 v43, v19, v24
	v_fmac_f32_e32 v44, v20, v22
	;; [unrolled: 1-line block ×7, first 2 shown]
	v_cvt_f32_i32_e32 v41, v41
	v_fmac_f32_e32 v26, v50, v33
	v_max_f32_e32 v42, v6, v6
	v_add_nc_u32_e32 v8, 0x80, v8
	v_mul_f32_e32 v41, s24, v41
	s_waitcnt lgkmcnt(0)
	v_lshrrev_b32_e32 v19, 16, v15
	v_and_b32_e32 v15, 0xffff, v15
	v_lshrrev_b32_e32 v20, 16, v16
	v_and_b32_e32 v22, 0xffff, v16
	;; [unrolled: 2-line block ×4, first 2 shown]
	;;#ASMSTART
	v_cvt_f32_f16 v15, v15;
	;;#ASMEND
	;;#ASMSTART
	v_cvt_f32_f16 v16, v19;
	;;#ASMEND
	;; [unrolled: 3-line block ×4, first 2 shown]
	v_fmac_f32_e32 v43, v15, v17
	v_fmac_f32_e32 v44, v16, v18
	;;#ASMSTART
	v_cvt_f32_f16 v19, v22;
	;;#ASMEND
	;;#ASMSTART
	v_cvt_f32_f16 v20, v20;
	;;#ASMEND
	;; [unrolled: 3-line block ×3, first 2 shown]
	v_fmac_f32_e32 v59, v19, v22
	v_add_f32_e32 v16, v43, v44
	;;#ASMSTART
	v_cvt_f32_f16 v24, v35;
	;;#ASMEND
	v_fmac_f32_e32 v60, v20, v24
	;;#ASMSTART
	v_cvt_f32_f16 v25, v25;
	;;#ASMEND
	;;#ASMSTART
	v_cvt_f32_f16 v27, v27;
	;;#ASMEND
	v_add_f32_e32 v16, v16, v59
	;;#ASMSTART
	v_cvt_f32_f16 v15, v39;
	;;#ASMEND
	v_fmac_f32_e32 v23, v25, v15
	;;#ASMSTART
	v_cvt_f32_f16 v17, v37;
	;;#ASMEND
	v_fmac_f32_e32 v21, v27, v17
	v_add_f32_e32 v15, v60, v16
	;;#ASMSTART
	v_cvt_f32_f16 v18, v30;
	;;#ASMEND
	;;#ASMSTART
	v_cvt_f32_f16 v16, v29;
	;;#ASMEND
	;; [unrolled: 3-line block ×3, first 2 shown]
	v_fmac_f32_e32 v28, v18, v17
	v_add_f32_e32 v15, v15, v23
	;;#ASMSTART
	v_cvt_f32_f16 v17, v38;
	;;#ASMEND
	v_fmac_f32_e32 v26, v16, v17
	v_cndmask_b32_e32 v16, 0, v41, vcc_lo
	v_add_f32_e32 v15, v21, v15
	v_add_f32_e32 v15, v15, v28
	;; [unrolled: 1-line block ×3, first 2 shown]
	v_fmac_f32_e32 v16, s3, v15
	v_cndmask_b32_e64 v15, 0, v16, s1
	v_max_f32_e32 v16, v42, v16
	ds_write_b32 v11, v15
	v_cndmask_b32_e64 v6, v6, v16, s1
	v_add_nc_u32_e32 v11, 0x200, v11
	s_andn2_b32 exec_lo, exec_lo, s5
	s_cbranch_execnz .LBB99_6
; %bb.7:
	s_or_b32 exec_lo, exec_lo, s5
.LBB99_8:
	s_or_b32 exec_lo, exec_lo, s25
	v_mbcnt_lo_u32_b32 v2, -1, 0
	v_max_f32_e32 v11, v6, v6
	v_xor_b32_e32 v1, 16, v2
	v_xor_b32_e32 v8, 8, v2
	v_cmp_gt_i32_e32 vcc_lo, 32, v1
	v_cndmask_b32_e32 v1, v2, v1, vcc_lo
	v_cmp_gt_i32_e32 vcc_lo, 32, v8
	v_lshlrev_b32_e32 v1, 2, v1
	ds_bpermute_b32 v7, v1, v6
	v_cndmask_b32_e32 v6, v2, v8, vcc_lo
	v_lshlrev_b32_e32 v6, 2, v6
	s_waitcnt lgkmcnt(0)
	v_max_f32_e32 v7, v7, v7
	v_max_f32_e32 v8, v11, v7
	v_xor_b32_e32 v11, 4, v2
	ds_bpermute_b32 v7, v6, v8
	v_cmp_gt_i32_e32 vcc_lo, 32, v11
	v_cndmask_b32_e32 v11, v2, v11, vcc_lo
	s_waitcnt lgkmcnt(0)
	v_max_f32_e32 v12, v7, v7
	v_lshlrev_b32_e32 v7, 2, v11
	v_max_f32_e32 v8, v8, v12
	v_xor_b32_e32 v12, 2, v2
	ds_bpermute_b32 v11, v7, v8
	v_cmp_gt_i32_e32 vcc_lo, 32, v12
	v_cndmask_b32_e32 v12, v2, v12, vcc_lo
	s_waitcnt lgkmcnt(0)
	v_max_f32_e32 v13, v11, v11
	v_lshlrev_b32_e32 v11, 2, v12
	v_max_f32_e32 v8, v8, v13
	v_xor_b32_e32 v13, 1, v2
	ds_bpermute_b32 v12, v11, v8
	v_cmp_gt_i32_e32 vcc_lo, 32, v13
	v_cndmask_b32_e32 v13, v2, v13, vcc_lo
	v_cmp_eq_u32_e32 vcc_lo, 0, v10
	s_waitcnt lgkmcnt(0)
	v_max_f32_e32 v12, v12, v12
	v_max_f32_e32 v2, v8, v12
	v_lshlrev_b32_e32 v12, 2, v13
	v_lshlrev_b32_e32 v8, 2, v9
	ds_bpermute_b32 v13, v12, v2
	s_and_saveexec_b32 s1, vcc_lo
	s_cbranch_execz .LBB99_10
; %bb.9:
	s_waitcnt lgkmcnt(0)
	v_max_f32_e32 v13, v13, v13
	v_max_f32_e32 v2, v2, v2
	;; [unrolled: 1-line block ×3, first 2 shown]
	ds_write_b32 v8, v2 offset:64
.LBB99_10:
	s_or_b32 exec_lo, exec_lo, s1
	v_cmp_gt_u32_e64 s1, 4, v10
	v_mov_b32_e32 v2, 0xff7fffff
	s_waitcnt lgkmcnt(0)
	s_barrier
	buffer_gl0_inv
	s_and_saveexec_b32 s2, s1
; %bb.11:
	ds_read_b32 v2, v5 offset:64
; %bb.12:
	s_or_b32 exec_lo, exec_lo, s2
	s_waitcnt lgkmcnt(0)
	ds_bpermute_b32 v13, v11, v2
	v_max_f32_e32 v2, v2, v2
	s_lshl_b32 s2, s12, 5
	s_min_i32 s4, s2, s11
	v_cmp_gt_i32_e64 s2, s4, v0
	s_waitcnt lgkmcnt(0)
	v_max_f32_e32 v13, v13, v13
	v_max_f32_e32 v2, v2, v13
	ds_bpermute_b32 v13, v12, v2
	s_waitcnt lgkmcnt(0)
	v_max_f32_e32 v13, v13, v13
	v_max_f32_e32 v2, v2, v13
	v_mov_b32_e32 v13, 0
	ds_bpermute_b32 v14, v13, v2
	v_lshl_add_u32 v2, v0, 2, 0x60
	s_and_saveexec_b32 s5, s2
	s_cbranch_execz .LBB99_16
; %bb.13:
	v_lshl_add_u32 v15, v0, 2, 0x60
	v_mov_b32_e32 v13, 0
	v_mov_b32_e32 v16, v0
	s_mov_b32 s15, 0
	.p2align	6
.LBB99_14:                              ; =>This Inner Loop Header: Depth=1
	ds_read_b32 v17, v15
	v_add_nc_u32_e32 v16, 0x80, v16
	v_cmp_le_i32_e64 s3, s4, v16
	s_or_b32 s15, s3, s15
	s_waitcnt lgkmcnt(0)
	v_sub_f32_e32 v17, v17, v14
	v_mul_f32_e32 v17, 0x3fb8aa3b, v17
	v_exp_f32_e32 v17, v17
	ds_write_b32 v15, v17
	v_add_f32_e32 v13, v13, v17
	v_add_nc_u32_e32 v15, 0x200, v15
	s_andn2_b32 exec_lo, exec_lo, s15
	s_cbranch_execnz .LBB99_14
; %bb.15:
	s_or_b32 exec_lo, exec_lo, s15
.LBB99_16:
	s_or_b32 exec_lo, exec_lo, s5
	ds_bpermute_b32 v1, v1, v13
	s_waitcnt lgkmcnt(0)
	v_add_f32_e32 v1, v13, v1
	ds_bpermute_b32 v6, v6, v1
	s_waitcnt lgkmcnt(0)
	v_add_f32_e32 v1, v1, v6
	;; [unrolled: 3-line block ×5, first 2 shown]
	s_and_saveexec_b32 s3, vcc_lo
; %bb.17:
	ds_write_b32 v8, v1 offset:80
; %bb.18:
	s_or_b32 exec_lo, exec_lo, s3
	s_waitcnt lgkmcnt(0)
	s_barrier
	buffer_gl0_inv
	s_and_saveexec_b32 s3, s1
; %bb.19:
	ds_read_b32 v1, v5 offset:80
; %bb.20:
	s_or_b32 exec_lo, exec_lo, s3
	s_waitcnt lgkmcnt(0)
	ds_bpermute_b32 v5, v11, v1
	s_waitcnt lgkmcnt(0)
	v_add_f32_e32 v1, v1, v5
	ds_bpermute_b32 v5, v12, v1
	s_waitcnt lgkmcnt(0)
	v_add_f32_e32 v1, v1, v5
	v_mov_b32_e32 v5, 0
	ds_bpermute_b32 v1, v5, v1
	s_and_saveexec_b32 s1, s2
	s_cbranch_execz .LBB99_23
; %bb.21:
	s_waitcnt lgkmcnt(0)
	v_add_f32_e32 v1, 0x358637bd, v1
	s_mov_b32 s2, 0
	v_div_scale_f32 v5, null, v1, v1, 1.0
	v_div_scale_f32 v8, vcc_lo, 1.0, v1, 1.0
	v_rcp_f32_e32 v6, v5
	v_fma_f32 v7, -v5, v6, 1.0
	v_fmac_f32_e32 v6, v7, v6
	v_mul_f32_e32 v7, v8, v6
	v_fma_f32 v13, -v5, v7, v8
	v_fmac_f32_e32 v7, v13, v6
	v_fma_f32 v5, -v5, v7, v8
	v_div_fmas_f32 v5, v5, v6, v7
	v_div_fixup_f32 v1, v5, v1, 1.0
	v_mov_b32_e32 v5, v0
.LBB99_22:                              ; =>This Inner Loop Header: Depth=1
	ds_read_b32 v6, v2
	v_add_nc_u32_e32 v5, 0x80, v5
	v_cmp_le_i32_e32 vcc_lo, s4, v5
	s_or_b32 s2, vcc_lo, s2
	s_waitcnt lgkmcnt(0)
	v_mul_f32_e32 v6, v1, v6
	ds_write_b32 v2, v6
	v_add_nc_u32_e32 v2, 0x200, v2
	s_andn2_b32 exec_lo, exec_lo, s2
	s_cbranch_execnz .LBB99_22
.LBB99_23:
	s_or_b32 exec_lo, exec_lo, s1
	v_mov_b32_e32 v15, 0
	v_and_b32_e32 v13, 3, v0
	v_mov_b32_e32 v17, 0
	v_mov_b32_e32 v16, 0
	;; [unrolled: 1-line block ×3, first 2 shown]
	s_waitcnt lgkmcnt(0)
	s_barrier
	buffer_gl0_inv
	s_and_saveexec_b32 s2, s0
	s_cbranch_execz .LBB99_35
; %bb.24:
	v_lshlrev_b32_e32 v1, 3, v0
	s_ashr_i32 s15, s14, 31
	v_and_b32_e32 v3, 0x1f0, v3
	s_lshl_b64 s[0:1], s[14:15], 1
	v_lshlrev_b32_e32 v5, 5, v9
	v_and_b32_e32 v1, 24, v1
	s_add_u32 s0, s22, s0
	v_lshlrev_b32_e32 v2, 5, v13
	s_addc_u32 s1, s23, s1
	v_add_co_u32 v19, s0, s0, v3
	v_or3_b32 v21, v5, v1, 7
	v_and_b32_e32 v1, 0x7c, v4
	v_add_co_ci_u32_e64 v20, null, s1, 0, s0
	s_lshl_b64 s[0:1], s[20:21], 2
	s_add_i32 s3, s12, -1
	v_lshl_or_b32 v2, v9, 7, v2
	s_add_u32 s0, s18, s0
	s_addc_u32 s1, s19, s1
	v_add_co_u32 v5, s0, s0, v1
	v_mov_b32_e32 v18, 0
	v_add_nc_u32_e32 v22, 0x60, v2
	v_add_co_ci_u32_e64 v6, null, s1, 0, s0
	v_mov_b32_e32 v14, 0
	v_mov_b32_e32 v16, 0
	;; [unrolled: 1-line block ×5, first 2 shown]
	s_mov_b32 s5, s13
	s_mov_b32 s4, 0
	s_branch .LBB99_26
.LBB99_25:                              ;   in Loop: Header=BB99_26 Depth=1
	s_or_b32 exec_lo, exec_lo, s1
	v_lshlrev_b32_e32 v24, 16, v41
	v_lshlrev_b32_e32 v8, 16, v8
	;; [unrolled: 1-line block ×3, first 2 shown]
	v_add_nc_u32_e32 v23, 4, v23
	v_add_co_u32 v5, s0, v5, 16
	v_and_or_b32 v1, 0xffff, v1, v24
	v_and_or_b32 v2, 0xffff, v2, v8
	;; [unrolled: 1-line block ×3, first 2 shown]
	;;#ASMSTART
	v_pk_mul_f16 v1, v32, v1;

	;;#ASMEND
	;;#ASMSTART
	v_pk_mul_f16 v2, v31, v2;

	;;#ASMEND
	;; [unrolled: 4-line block ×4, first 2 shown]
	;;#ASMSTART
	v_pk_add_f16 v1, v1, v2;

	;;#ASMEND
	;;#ASMSTART
	v_pk_add_f16 v1, v1, v3;

	;;#ASMEND
	;; [unrolled: 4-line block ×3, first 2 shown]
	v_and_b32_e32 v4, 0xffff, v1
	v_lshrrev_b32_e32 v7, 16, v1
	;;#ASMSTART
	v_cvt_f32_f16 v4, v4;
	;;#ASMEND
	v_add_f32_e32 v1, v39, v40
	v_add_f32_e32 v2, v37, v38
	;; [unrolled: 1-line block ×3, first 2 shown]
	;;#ASMSTART
	v_cvt_f32_f16 v7, v7;
	;;#ASMEND
	v_add_f32_e32 v4, v4, v7
	v_cmp_le_i32_e32 vcc_lo, s12, v23
	v_add_f32_e32 v16, v16, v1
	v_add_f32_e32 v17, v17, v2
	;; [unrolled: 1-line block ×4, first 2 shown]
	v_add_nc_u32_e32 v21, 0x80, v21
	v_add_nc_u32_e32 v22, 0x200, v22
	v_add_co_ci_u32_e64 v6, null, 0, v6, s0
	s_or_b32 s4, vcc_lo, s4
	s_andn2_b32 exec_lo, exec_lo, s4
	s_cbranch_execz .LBB99_34
.LBB99_26:                              ; =>This Inner Loop Header: Depth=1
	global_load_dword v7, v[5:6], off
	ds_read2_b64 v[1:4], v22 offset1:1
	ds_read2_b64 v[24:27], v22 offset0:2 offset1:3
	v_add_nc_u32_e32 v28, -7, v21
	v_cmp_eq_u32_e64 s0, s3, v23
	v_add_nc_u32_e32 v30, -6, v21
	v_add_nc_u32_e32 v29, -1, v21
	s_waitcnt lgkmcnt(1)
	;;#ASMSTART
	v_cvt_f16_f32 v32, v1;

	;;#ASMEND
	;;#ASMSTART
	v_cvt_f16_f32 v31, v2;

	;;#ASMEND
	;; [unrolled: 4-line block ×4, first 2 shown]
	s_waitcnt lgkmcnt(0)
	;;#ASMSTART
	v_cvt_f16_f32 v38, v24;

	;;#ASMEND
	;;#ASMSTART
	v_cvt_f16_f32 v33, v25;

	;;#ASMEND
	;; [unrolled: 4-line block ×4, first 2 shown]
	v_add_nc_u32_e32 v27, -5, v21
	v_add_nc_u32_e32 v26, -4, v21
	;; [unrolled: 1-line block ×4, first 2 shown]
	s_waitcnt vmcnt(0)
	v_mad_i64_i32 v[7:8], null, v7, s5, 0
	v_lshlrev_b64 v[7:8], 1, v[7:8]
	v_add_co_u32 v7, vcc_lo, v19, v7
	v_add_co_ci_u32_e64 v8, null, v20, v8, vcc_lo
	global_load_dwordx4 v[1:4], v[7:8], off
	s_waitcnt vmcnt(0)
	v_lshrrev_b32_e32 v41, 16, v1
	v_lshrrev_b32_e32 v40, 16, v2
	;; [unrolled: 1-line block ×3, first 2 shown]
	s_and_saveexec_b32 s13, s0
	s_cbranch_execz .LBB99_28
; %bb.27:                               ;   in Loop: Header=BB99_26 Depth=1
	v_cmp_gt_i32_e32 vcc_lo, s11, v28
	v_and_b32_e32 v42, 0xffff0000, v4
	v_cmp_gt_i32_e64 s1, s11, v27
	v_cndmask_b32_e32 v1, 0, v1, vcc_lo
	v_cmp_gt_i32_e32 vcc_lo, s11, v30
	v_cndmask_b32_e64 v2, 0, v2, s1
	v_cmp_gt_i32_e64 s1, s11, v26
	v_cndmask_b32_e32 v41, 0, v41, vcc_lo
	v_cmp_gt_i32_e32 vcc_lo, s11, v29
	v_cndmask_b32_e64 v40, 0, v40, s1
	v_cndmask_b32_sdwa v4, v18, v4, vcc_lo dst_sel:DWORD dst_unused:UNUSED_PAD src0_sel:DWORD src1_sel:WORD_0
	v_cmp_gt_i32_e32 vcc_lo, s11, v21
	v_cndmask_b32_e32 v42, 0, v42, vcc_lo
	v_cmp_gt_i32_e32 vcc_lo, s11, v25
	v_or_b32_e32 v4, v4, v42
	v_cndmask_b32_e32 v3, 0, v3, vcc_lo
	v_cmp_gt_i32_e32 vcc_lo, s11, v24
	v_cndmask_b32_e32 v39, 0, v39, vcc_lo
.LBB99_28:                              ;   in Loop: Header=BB99_26 Depth=1
	s_or_b32 exec_lo, exec_lo, s13
	v_and_b32_e32 v32, 0xffff, v32
	v_and_b32_e32 v37, 0xffff, v37
	v_lshlrev_b32_e32 v41, 16, v41
	v_and_b32_e32 v38, 0xffff, v38
	v_and_b32_e32 v36, 0xffff, v36
	v_lshl_or_b32 v32, v31, 16, v32
	v_lshl_or_b32 v31, v35, 16, v37
	v_lshlrev_b32_e32 v35, 16, v40
	v_lshlrev_b32_e32 v37, 16, v39
	v_and_or_b32 v1, 0xffff, v1, v41
	;;#ASMSTART
	v_pk_mul_f16 v1, v32, v1;

	;;#ASMEND
	v_lshl_or_b32 v33, v33, 16, v38
	v_and_or_b32 v2, 0xffff, v2, v35
	v_and_or_b32 v3, 0xffff, v3, v37
	v_lshl_or_b32 v34, v34, 16, v36
	;;#ASMSTART
	v_pk_mul_f16 v2, v31, v2;

	;;#ASMEND
	;;#ASMSTART
	v_pk_mul_f16 v3, v33, v3;

	;;#ASMEND
	;; [unrolled: 4-line block ×3, first 2 shown]
	;;#ASMSTART
	v_pk_add_f16 v1, v1, v2;

	;;#ASMEND
	;;#ASMSTART
	v_pk_add_f16 v1, v1, v3;

	;;#ASMEND
	;; [unrolled: 4-line block ×3, first 2 shown]
	v_and_b32_e32 v2, 0xffff, v1
	v_lshrrev_b32_e32 v1, 16, v1
	;;#ASMSTART
	v_cvt_f32_f16 v35, v2;
	;;#ASMEND
	;;#ASMSTART
	v_cvt_f32_f16 v36, v1;
	;;#ASMEND
	global_load_dwordx4 v[1:4], v[7:8], off offset:512
	s_waitcnt vmcnt(0)
	v_lshrrev_b32_e32 v39, 16, v1
	v_lshrrev_b32_e32 v38, 16, v2
	;; [unrolled: 1-line block ×3, first 2 shown]
	s_and_saveexec_b32 s13, s0
	s_cbranch_execz .LBB99_30
; %bb.29:                               ;   in Loop: Header=BB99_26 Depth=1
	v_cmp_gt_i32_e32 vcc_lo, s11, v28
	v_and_b32_e32 v40, 0xffff0000, v4
	v_cmp_gt_i32_e64 s1, s11, v27
	v_cndmask_b32_e32 v1, 0, v1, vcc_lo
	v_cmp_gt_i32_e32 vcc_lo, s11, v30
	v_cndmask_b32_e64 v2, 0, v2, s1
	v_cmp_gt_i32_e64 s1, s11, v26
	v_cndmask_b32_e32 v39, 0, v39, vcc_lo
	v_cmp_gt_i32_e32 vcc_lo, s11, v29
	v_cndmask_b32_e64 v38, 0, v38, s1
	v_cndmask_b32_sdwa v4, v18, v4, vcc_lo dst_sel:DWORD dst_unused:UNUSED_PAD src0_sel:DWORD src1_sel:WORD_0
	v_cmp_gt_i32_e32 vcc_lo, s11, v21
	v_cndmask_b32_e32 v40, 0, v40, vcc_lo
	v_cmp_gt_i32_e32 vcc_lo, s11, v25
	v_or_b32_e32 v4, v4, v40
	v_cndmask_b32_e32 v3, 0, v3, vcc_lo
	v_cmp_gt_i32_e32 vcc_lo, s11, v24
	v_cndmask_b32_e32 v37, 0, v37, vcc_lo
.LBB99_30:                              ;   in Loop: Header=BB99_26 Depth=1
	s_or_b32 exec_lo, exec_lo, s13
	v_lshlrev_b32_e32 v39, 16, v39
	v_lshlrev_b32_e32 v38, 16, v38
	;; [unrolled: 1-line block ×3, first 2 shown]
	v_and_or_b32 v1, 0xffff, v1, v39
	v_and_or_b32 v2, 0xffff, v2, v38
	;; [unrolled: 1-line block ×3, first 2 shown]
	;;#ASMSTART
	v_pk_mul_f16 v1, v32, v1;

	;;#ASMEND
	;;#ASMSTART
	v_pk_mul_f16 v2, v31, v2;

	;;#ASMEND
	;; [unrolled: 4-line block ×4, first 2 shown]
	;;#ASMSTART
	v_pk_add_f16 v1, v1, v2;

	;;#ASMEND
	;;#ASMSTART
	v_pk_add_f16 v1, v1, v3;

	;;#ASMEND
	;; [unrolled: 4-line block ×3, first 2 shown]
	v_and_b32_e32 v2, 0xffff, v1
	v_lshrrev_b32_e32 v1, 16, v1
	;;#ASMSTART
	v_cvt_f32_f16 v37, v2;
	;;#ASMEND
	;;#ASMSTART
	v_cvt_f32_f16 v38, v1;
	;;#ASMEND
	global_load_dwordx4 v[1:4], v[7:8], off offset:1024
	s_waitcnt vmcnt(0)
	v_lshrrev_b32_e32 v41, 16, v1
	v_lshrrev_b32_e32 v40, 16, v2
	;; [unrolled: 1-line block ×3, first 2 shown]
	s_and_saveexec_b32 s13, s0
	s_cbranch_execz .LBB99_32
; %bb.31:                               ;   in Loop: Header=BB99_26 Depth=1
	v_cmp_gt_i32_e32 vcc_lo, s11, v28
	v_and_b32_e32 v42, 0xffff0000, v4
	v_cmp_gt_i32_e64 s1, s11, v27
	v_cndmask_b32_e32 v1, 0, v1, vcc_lo
	v_cmp_gt_i32_e32 vcc_lo, s11, v30
	v_cndmask_b32_e64 v2, 0, v2, s1
	v_cmp_gt_i32_e64 s1, s11, v26
	v_cndmask_b32_e32 v41, 0, v41, vcc_lo
	v_cmp_gt_i32_e32 vcc_lo, s11, v29
	v_cndmask_b32_e64 v40, 0, v40, s1
	v_cndmask_b32_sdwa v4, v18, v4, vcc_lo dst_sel:DWORD dst_unused:UNUSED_PAD src0_sel:DWORD src1_sel:WORD_0
	v_cmp_gt_i32_e32 vcc_lo, s11, v21
	v_cndmask_b32_e32 v42, 0, v42, vcc_lo
	v_cmp_gt_i32_e32 vcc_lo, s11, v25
	v_or_b32_e32 v4, v4, v42
	v_cndmask_b32_e32 v3, 0, v3, vcc_lo
	v_cmp_gt_i32_e32 vcc_lo, s11, v24
	v_cndmask_b32_e32 v39, 0, v39, vcc_lo
.LBB99_32:                              ;   in Loop: Header=BB99_26 Depth=1
	s_or_b32 exec_lo, exec_lo, s13
	v_lshlrev_b32_e32 v41, 16, v41
	v_lshlrev_b32_e32 v40, 16, v40
	;; [unrolled: 1-line block ×3, first 2 shown]
	v_and_or_b32 v1, 0xffff, v1, v41
	v_and_or_b32 v2, 0xffff, v2, v40
	;; [unrolled: 1-line block ×3, first 2 shown]
	;;#ASMSTART
	v_pk_mul_f16 v1, v32, v1;

	;;#ASMEND
	;;#ASMSTART
	v_pk_mul_f16 v2, v31, v2;

	;;#ASMEND
	;; [unrolled: 4-line block ×4, first 2 shown]
	;;#ASMSTART
	v_pk_add_f16 v1, v1, v2;

	;;#ASMEND
	;;#ASMSTART
	v_pk_add_f16 v1, v1, v3;

	;;#ASMEND
	;; [unrolled: 4-line block ×3, first 2 shown]
	v_and_b32_e32 v2, 0xffff, v1
	v_lshrrev_b32_e32 v1, 16, v1
	;;#ASMSTART
	v_cvt_f32_f16 v39, v2;
	;;#ASMEND
	;;#ASMSTART
	v_cvt_f32_f16 v40, v1;
	;;#ASMEND
	global_load_dwordx4 v[1:4], v[7:8], off offset:1536
	s_waitcnt vmcnt(0)
	v_lshrrev_b32_e32 v41, 16, v1
	v_lshrrev_b32_e32 v8, 16, v2
	;; [unrolled: 1-line block ×3, first 2 shown]
	s_and_saveexec_b32 s1, s0
	s_cbranch_execz .LBB99_25
; %bb.33:                               ;   in Loop: Header=BB99_26 Depth=1
	v_cmp_gt_i32_e32 vcc_lo, s11, v28
	v_cmp_gt_i32_e64 s0, s11, v27
	v_cndmask_b32_e32 v1, 0, v1, vcc_lo
	v_cmp_gt_i32_e32 vcc_lo, s11, v30
	v_cndmask_b32_e64 v2, 0, v2, s0
	v_cmp_gt_i32_e64 s0, s11, v26
	v_and_b32_e32 v26, 0xffff0000, v4
	v_cndmask_b32_e32 v41, 0, v41, vcc_lo
	v_cmp_gt_i32_e32 vcc_lo, s11, v29
	v_cndmask_b32_e64 v8, 0, v8, s0
	v_cndmask_b32_sdwa v4, v18, v4, vcc_lo dst_sel:DWORD dst_unused:UNUSED_PAD src0_sel:DWORD src1_sel:WORD_0
	v_cmp_gt_i32_e32 vcc_lo, s11, v21
	v_cndmask_b32_e32 v26, 0, v26, vcc_lo
	v_cmp_gt_i32_e32 vcc_lo, s11, v25
	v_or_b32_e32 v4, v4, v26
	v_cndmask_b32_e32 v3, 0, v3, vcc_lo
	v_cmp_gt_i32_e32 vcc_lo, s11, v24
	v_cndmask_b32_e32 v7, 0, v7, vcc_lo
	s_branch .LBB99_25
.LBB99_34:
	s_or_b32 exec_lo, exec_lo, s4
.LBB99_35:
	s_or_b32 exec_lo, exec_lo, s2
	ds_bpermute_b32 v1, v11, v15
	ds_bpermute_b32 v2, v11, v17
	;; [unrolled: 1-line block ×4, first 2 shown]
	v_lshrrev_b32_e32 v5, 2, v10
	s_mov_b32 s0, exec_lo
	s_waitcnt lgkmcnt(0)
	s_barrier
	buffer_gl0_inv
	v_add_f32_e32 v1, v15, v1
	v_add_f32_e32 v2, v17, v2
	;; [unrolled: 1-line block ×4, first 2 shown]
	v_and_b32_e32 v4, 28, v10
	ds_bpermute_b32 v3, v12, v1
	ds_bpermute_b32 v11, v12, v2
	;; [unrolled: 1-line block ×4, first 2 shown]
	v_and_b32_e32 v10, 0x3c3, v0
	v_add_nc_u32_e32 v6, 0x60, v4
	s_waitcnt lgkmcnt(3)
	v_add_f32_e32 v4, v1, v3
	s_waitcnt lgkmcnt(2)
	v_add_f32_e32 v3, v2, v11
	;; [unrolled: 2-line block ×4, first 2 shown]
	v_cmpx_eq_u32_e32 64, v10
	s_cbranch_execz .LBB99_37
; %bb.36:
	v_lshl_add_u32 v7, v9, 7, v6
	v_add_nc_u32_e32 v8, 0xffffff00, v7
	v_add_nc_u32_e32 v9, 0xffffff20, v7
	;; [unrolled: 1-line block ×4, first 2 shown]
	ds_write_b32 v8, v4
	ds_write_b32 v9, v3
	;; [unrolled: 1-line block ×4, first 2 shown]
.LBB99_37:
	s_or_b32 exec_lo, exec_lo, s0
	v_and_b32_e32 v7, 0x3e0, v0
	v_lshlrev_b32_e32 v5, 2, v5
	s_mov_b32 s1, exec_lo
	v_cmp_eq_u32_e32 vcc_lo, 0, v13
	s_waitcnt lgkmcnt(0)
	v_lshlrev_b32_e32 v7, 2, v7
	s_barrier
	buffer_gl0_inv
	v_add3_u32 v5, 0x60, v7, v5
	v_cmpx_gt_u32_e32 64, v0
	s_cbranch_execz .LBB99_44
; %bb.38:
	s_and_saveexec_b32 s0, vcc_lo
	s_cbranch_execnz .LBB99_56
; %bb.39:
	s_or_b32 exec_lo, exec_lo, s0
	s_and_saveexec_b32 s0, vcc_lo
	s_cbranch_execnz .LBB99_57
.LBB99_40:
	s_or_b32 exec_lo, exec_lo, s0
	s_and_saveexec_b32 s0, vcc_lo
	s_cbranch_execnz .LBB99_58
.LBB99_41:
	s_or_b32 exec_lo, exec_lo, s0
	s_and_saveexec_b32 s0, vcc_lo
	s_cbranch_execz .LBB99_43
.LBB99_42:
	ds_read_b32 v7, v5 offset:96
	s_waitcnt lgkmcnt(0)
	v_add_f32_e32 v1, v1, v7
.LBB99_43:
	s_or_b32 exec_lo, exec_lo, s0
.LBB99_44:
	s_or_b32 exec_lo, exec_lo, s1
	v_and_b32_e32 v7, 0x3e3, v0
	s_mov_b32 s1, exec_lo
	s_barrier
	buffer_gl0_inv
	v_cmpx_eq_u32_e32 32, v7
	s_cbranch_execz .LBB99_46
; %bb.45:
	ds_write2_b32 v6, v4, v3 offset1:8
	ds_write2_b32 v6, v2, v1 offset0:16 offset1:24
.LBB99_46:
	s_or_b32 exec_lo, exec_lo, s1
	s_mov_b32 s1, exec_lo
	s_waitcnt lgkmcnt(0)
	s_barrier
	buffer_gl0_inv
	v_cmpx_gt_u32_e32 32, v0
	s_cbranch_execz .LBB99_53
; %bb.47:
	s_and_saveexec_b32 s0, vcc_lo
	s_cbranch_execnz .LBB99_59
; %bb.48:
	s_or_b32 exec_lo, exec_lo, s0
	s_and_saveexec_b32 s0, vcc_lo
	s_cbranch_execnz .LBB99_60
.LBB99_49:
	s_or_b32 exec_lo, exec_lo, s0
	s_and_saveexec_b32 s0, vcc_lo
	s_cbranch_execnz .LBB99_61
.LBB99_50:
	s_or_b32 exec_lo, exec_lo, s0
	s_and_saveexec_b32 s0, vcc_lo
	s_cbranch_execz .LBB99_52
.LBB99_51:
	ds_read_b32 v5, v5 offset:96
	s_waitcnt lgkmcnt(0)
	v_add_f32_e32 v1, v1, v5
.LBB99_52:
	s_or_b32 exec_lo, exec_lo, s0
.LBB99_53:
	s_or_b32 exec_lo, exec_lo, s1
	s_barrier
	buffer_gl0_inv
	s_mov_b32 s0, exec_lo
	v_cmpx_eq_u32_e32 0, v7
	s_cbranch_execz .LBB99_55
; %bb.54:
	s_mul_i32 s0, s10, s7
	s_mul_i32 s2, s7, s6
	;; [unrolled: 1-line block ×3, first 2 shown]
	v_lshrrev_b32_e32 v0, 1, v0
	s_lshl_b32 s0, s0, 5
	;;#ASMSTART
	v_cvt_f16_f32 v4, v4;

	;;#ASMEND
	s_ashr_i32 s1, s0, 31
	s_lshl_b64 s[0:1], s[0:1], 1
	s_add_u32 s4, s16, s0
	s_addc_u32 s5, s17, s1
	s_ashr_i32 s3, s2, 31
	s_lshl_b64 s[0:1], s[2:3], 1
	s_add_u32 s2, s4, s0
	s_addc_u32 s3, s5, s1
	s_lshl_b32 s0, s8, 5
	s_ashr_i32 s1, s0, 31
	s_lshl_b64 s[0:1], s[0:1], 1
	s_add_u32 s0, s2, s0
	s_addc_u32 s1, s3, s1
	global_store_short v0, v4, s[0:1]
	;;#ASMSTART
	v_cvt_f16_f32 v3, v3;

	;;#ASMEND
	global_store_short v0, v3, s[0:1] offset:16
	;;#ASMSTART
	v_cvt_f16_f32 v2, v2;

	;;#ASMEND
	global_store_short v0, v2, s[0:1] offset:32
	;; [unrolled: 5-line block ×3, first 2 shown]
.LBB99_55:
	s_endpgm
.LBB99_56:
	ds_read_b32 v7, v5
	s_waitcnt lgkmcnt(0)
	v_add_f32_e32 v4, v4, v7
	s_or_b32 exec_lo, exec_lo, s0
	s_and_saveexec_b32 s0, vcc_lo
	s_cbranch_execz .LBB99_40
.LBB99_57:
	ds_read_b32 v7, v5 offset:32
	s_waitcnt lgkmcnt(0)
	v_add_f32_e32 v3, v3, v7
	s_or_b32 exec_lo, exec_lo, s0
	s_and_saveexec_b32 s0, vcc_lo
	s_cbranch_execz .LBB99_41
.LBB99_58:
	ds_read_b32 v7, v5 offset:64
	s_waitcnt lgkmcnt(0)
	v_add_f32_e32 v2, v2, v7
	s_or_b32 exec_lo, exec_lo, s0
	s_and_saveexec_b32 s0, vcc_lo
	s_cbranch_execnz .LBB99_42
	s_branch .LBB99_43
.LBB99_59:
	ds_read_b32 v6, v5
	s_waitcnt lgkmcnt(0)
	v_add_f32_e32 v4, v4, v6
	s_or_b32 exec_lo, exec_lo, s0
	s_and_saveexec_b32 s0, vcc_lo
	s_cbranch_execz .LBB99_49
.LBB99_60:
	ds_read_b32 v6, v5 offset:32
	s_waitcnt lgkmcnt(0)
	v_add_f32_e32 v3, v3, v6
	s_or_b32 exec_lo, exec_lo, s0
	s_and_saveexec_b32 s0, vcc_lo
	s_cbranch_execz .LBB99_50
.LBB99_61:
	ds_read_b32 v6, v5 offset:64
	s_waitcnt lgkmcnt(0)
	v_add_f32_e32 v2, v2, v6
	s_or_b32 exec_lo, exec_lo, s0
	s_and_saveexec_b32 s0, vcc_lo
	s_cbranch_execnz .LBB99_51
	s_branch .LBB99_52
	.section	.rodata,"a",@progbits
	.p2align	6, 0x0
	.amdhsa_kernel _ZN4vllm25paged_attention_v1_kernelIttLi32ELi32ELi128ELNS_18Fp8KVCacheDataTypeE0ELb0EEEvPT_PKS2_PKT0_S8_ifPKiSA_iPKfiiiSC_SC_iiiii
		.amdhsa_group_segment_fixed_size 96
		.amdhsa_private_segment_fixed_size 0
		.amdhsa_kernarg_size 384
		.amdhsa_user_sgpr_count 6
		.amdhsa_user_sgpr_private_segment_buffer 1
		.amdhsa_user_sgpr_dispatch_ptr 0
		.amdhsa_user_sgpr_queue_ptr 0
		.amdhsa_user_sgpr_kernarg_segment_ptr 1
		.amdhsa_user_sgpr_dispatch_id 0
		.amdhsa_user_sgpr_flat_scratch_init 0
		.amdhsa_user_sgpr_private_segment_size 0
		.amdhsa_wavefront_size32 1
		.amdhsa_uses_dynamic_stack 0
		.amdhsa_system_sgpr_private_segment_wavefront_offset 0
		.amdhsa_system_sgpr_workgroup_id_x 1
		.amdhsa_system_sgpr_workgroup_id_y 1
		.amdhsa_system_sgpr_workgroup_id_z 1
		.amdhsa_system_sgpr_workgroup_info 0
		.amdhsa_system_vgpr_workitem_id 0
		.amdhsa_next_free_vgpr 67
		.amdhsa_next_free_sgpr 28
		.amdhsa_reserve_vcc 1
		.amdhsa_reserve_flat_scratch 0
		.amdhsa_float_round_mode_32 0
		.amdhsa_float_round_mode_16_64 0
		.amdhsa_float_denorm_mode_32 3
		.amdhsa_float_denorm_mode_16_64 3
		.amdhsa_dx10_clamp 1
		.amdhsa_ieee_mode 1
		.amdhsa_fp16_overflow 0
		.amdhsa_workgroup_processor_mode 1
		.amdhsa_memory_ordered 1
		.amdhsa_forward_progress 1
		.amdhsa_shared_vgpr_count 0
		.amdhsa_exception_fp_ieee_invalid_op 0
		.amdhsa_exception_fp_denorm_src 0
		.amdhsa_exception_fp_ieee_div_zero 0
		.amdhsa_exception_fp_ieee_overflow 0
		.amdhsa_exception_fp_ieee_underflow 0
		.amdhsa_exception_fp_ieee_inexact 0
		.amdhsa_exception_int_div_zero 0
	.end_amdhsa_kernel
	.section	.text._ZN4vllm25paged_attention_v1_kernelIttLi32ELi32ELi128ELNS_18Fp8KVCacheDataTypeE0ELb0EEEvPT_PKS2_PKT0_S8_ifPKiSA_iPKfiiiSC_SC_iiiii,"axG",@progbits,_ZN4vllm25paged_attention_v1_kernelIttLi32ELi32ELi128ELNS_18Fp8KVCacheDataTypeE0ELb0EEEvPT_PKS2_PKT0_S8_ifPKiSA_iPKfiiiSC_SC_iiiii,comdat
.Lfunc_end99:
	.size	_ZN4vllm25paged_attention_v1_kernelIttLi32ELi32ELi128ELNS_18Fp8KVCacheDataTypeE0ELb0EEEvPT_PKS2_PKT0_S8_ifPKiSA_iPKfiiiSC_SC_iiiii, .Lfunc_end99-_ZN4vllm25paged_attention_v1_kernelIttLi32ELi32ELi128ELNS_18Fp8KVCacheDataTypeE0ELb0EEEvPT_PKS2_PKT0_S8_ifPKiSA_iPKfiiiSC_SC_iiiii
                                        ; -- End function
	.set _ZN4vllm25paged_attention_v1_kernelIttLi32ELi32ELi128ELNS_18Fp8KVCacheDataTypeE0ELb0EEEvPT_PKS2_PKT0_S8_ifPKiSA_iPKfiiiSC_SC_iiiii.num_vgpr, 67
	.set _ZN4vllm25paged_attention_v1_kernelIttLi32ELi32ELi128ELNS_18Fp8KVCacheDataTypeE0ELb0EEEvPT_PKS2_PKT0_S8_ifPKiSA_iPKfiiiSC_SC_iiiii.num_agpr, 0
	.set _ZN4vllm25paged_attention_v1_kernelIttLi32ELi32ELi128ELNS_18Fp8KVCacheDataTypeE0ELb0EEEvPT_PKS2_PKT0_S8_ifPKiSA_iPKfiiiSC_SC_iiiii.numbered_sgpr, 28
	.set _ZN4vllm25paged_attention_v1_kernelIttLi32ELi32ELi128ELNS_18Fp8KVCacheDataTypeE0ELb0EEEvPT_PKS2_PKT0_S8_ifPKiSA_iPKfiiiSC_SC_iiiii.num_named_barrier, 0
	.set _ZN4vllm25paged_attention_v1_kernelIttLi32ELi32ELi128ELNS_18Fp8KVCacheDataTypeE0ELb0EEEvPT_PKS2_PKT0_S8_ifPKiSA_iPKfiiiSC_SC_iiiii.private_seg_size, 0
	.set _ZN4vllm25paged_attention_v1_kernelIttLi32ELi32ELi128ELNS_18Fp8KVCacheDataTypeE0ELb0EEEvPT_PKS2_PKT0_S8_ifPKiSA_iPKfiiiSC_SC_iiiii.uses_vcc, 1
	.set _ZN4vllm25paged_attention_v1_kernelIttLi32ELi32ELi128ELNS_18Fp8KVCacheDataTypeE0ELb0EEEvPT_PKS2_PKT0_S8_ifPKiSA_iPKfiiiSC_SC_iiiii.uses_flat_scratch, 0
	.set _ZN4vllm25paged_attention_v1_kernelIttLi32ELi32ELi128ELNS_18Fp8KVCacheDataTypeE0ELb0EEEvPT_PKS2_PKT0_S8_ifPKiSA_iPKfiiiSC_SC_iiiii.has_dyn_sized_stack, 0
	.set _ZN4vllm25paged_attention_v1_kernelIttLi32ELi32ELi128ELNS_18Fp8KVCacheDataTypeE0ELb0EEEvPT_PKS2_PKT0_S8_ifPKiSA_iPKfiiiSC_SC_iiiii.has_recursion, 0
	.set _ZN4vllm25paged_attention_v1_kernelIttLi32ELi32ELi128ELNS_18Fp8KVCacheDataTypeE0ELb0EEEvPT_PKS2_PKT0_S8_ifPKiSA_iPKfiiiSC_SC_iiiii.has_indirect_call, 0
	.section	.AMDGPU.csdata,"",@progbits
; Kernel info:
; codeLenInByte = 6636
; TotalNumSgprs: 30
; NumVgprs: 67
; ScratchSize: 0
; MemoryBound: 0
; FloatMode: 240
; IeeeMode: 1
; LDSByteSize: 96 bytes/workgroup (compile time only)
; SGPRBlocks: 0
; VGPRBlocks: 8
; NumSGPRsForWavesPerEU: 30
; NumVGPRsForWavesPerEU: 67
; Occupancy: 12
; WaveLimiterHint : 1
; COMPUTE_PGM_RSRC2:SCRATCH_EN: 0
; COMPUTE_PGM_RSRC2:USER_SGPR: 6
; COMPUTE_PGM_RSRC2:TRAP_HANDLER: 0
; COMPUTE_PGM_RSRC2:TGID_X_EN: 1
; COMPUTE_PGM_RSRC2:TGID_Y_EN: 1
; COMPUTE_PGM_RSRC2:TGID_Z_EN: 1
; COMPUTE_PGM_RSRC2:TIDIG_COMP_CNT: 0
	.section	.text._ZN4vllm25paged_attention_v1_kernelIttLi64ELi32ELi128ELNS_18Fp8KVCacheDataTypeE0ELb0EEEvPT_PKS2_PKT0_S8_ifPKiSA_iPKfiiiSC_SC_iiiii,"axG",@progbits,_ZN4vllm25paged_attention_v1_kernelIttLi64ELi32ELi128ELNS_18Fp8KVCacheDataTypeE0ELb0EEEvPT_PKS2_PKT0_S8_ifPKiSA_iPKfiiiSC_SC_iiiii,comdat
	.protected	_ZN4vllm25paged_attention_v1_kernelIttLi64ELi32ELi128ELNS_18Fp8KVCacheDataTypeE0ELb0EEEvPT_PKS2_PKT0_S8_ifPKiSA_iPKfiiiSC_SC_iiiii ; -- Begin function _ZN4vllm25paged_attention_v1_kernelIttLi64ELi32ELi128ELNS_18Fp8KVCacheDataTypeE0ELb0EEEvPT_PKS2_PKT0_S8_ifPKiSA_iPKfiiiSC_SC_iiiii
	.globl	_ZN4vllm25paged_attention_v1_kernelIttLi64ELi32ELi128ELNS_18Fp8KVCacheDataTypeE0ELb0EEEvPT_PKS2_PKT0_S8_ifPKiSA_iPKfiiiSC_SC_iiiii
	.p2align	8
	.type	_ZN4vllm25paged_attention_v1_kernelIttLi64ELi32ELi128ELNS_18Fp8KVCacheDataTypeE0ELb0EEEvPT_PKS2_PKT0_S8_ifPKiSA_iPKfiiiSC_SC_iiiii,@function
_ZN4vllm25paged_attention_v1_kernelIttLi64ELi32ELi128ELNS_18Fp8KVCacheDataTypeE0ELb0EEEvPT_PKS2_PKT0_S8_ifPKiSA_iPKfiiiSC_SC_iiiii: ; @_ZN4vllm25paged_attention_v1_kernelIttLi64ELi32ELi128ELNS_18Fp8KVCacheDataTypeE0ELb0EEEvPT_PKS2_PKT0_S8_ifPKiSA_iPKfiiiSC_SC_iiiii
; %bb.0:
	s_clause 0x2
	s_load_dword s9, s[4:5], 0x80
	s_load_dwordx2 s[0:1], s[4:5], 0x30
	s_load_dwordx2 s[2:3], s[4:5], 0x20
	s_mov_b32 s10, s7
	s_ashr_i32 s11, s7, 31
	s_mov_b32 s24, 0
	s_lshl_b64 s[12:13], s[10:11], 2
	s_waitcnt lgkmcnt(0)
	s_add_u32 s0, s0, s12
	s_addc_u32 s1, s1, s13
	s_abs_i32 s7, s2
	s_abs_i32 s13, s9
	v_cvt_f32_u32_e32 v1, s7
	s_sub_i32 s12, 0, s7
	s_xor_b32 s2, s9, s2
	s_ashr_i32 s2, s2, 31
	v_rcp_iflag_f32_e32 v1, v1
	v_mul_f32_e32 v1, 0x4f7ffffe, v1
	v_cvt_u32_f32_e32 v1, v1
	v_readfirstlane_b32 s11, v1
	s_mul_i32 s12, s12, s11
	s_mul_hi_u32 s12, s11, s12
	s_add_i32 s11, s11, s12
	s_mul_hi_u32 s11, s13, s11
	s_mul_i32 s12, s11, s7
	s_sub_i32 s12, s13, s12
	s_add_i32 s13, s11, 1
	s_sub_i32 s14, s12, s7
	s_cmp_ge_u32 s12, s7
	s_cselect_b32 s11, s13, s11
	s_cselect_b32 s12, s14, s12
	s_add_i32 s13, s11, 1
	s_cmp_ge_u32 s12, s7
	s_cselect_b32 s7, s13, s11
	s_load_dwordx2 s[12:13], s[4:5], 0x40
	s_xor_b32 s7, s7, s2
	s_abs_i32 s16, s6
	s_sub_i32 s17, s7, s2
	s_abs_i32 s2, s17
	v_cvt_f32_u32_e32 v1, s2
	s_sub_i32 s11, 0, s2
	v_rcp_iflag_f32_e32 v1, v1
	v_mul_f32_e32 v1, 0x4f7ffffe, v1
	v_cvt_u32_f32_e32 v1, v1
	v_readfirstlane_b32 s7, v1
	s_mul_i32 s11, s11, s7
	s_mul_hi_u32 s11, s7, s11
	s_add_i32 s7, s7, s11
	s_waitcnt lgkmcnt(0)
	s_cmp_eq_u64 s[12:13], 0
	s_mul_hi_u32 s20, s16, s7
	s_cbranch_scc1 .LBB100_2
; %bb.1:
	s_ashr_i32 s7, s6, 31
	s_lshl_b64 s[14:15], s[6:7], 2
	s_add_u32 s12, s12, s14
	s_addc_u32 s13, s13, s15
	s_load_dword s24, s[12:13], 0x0
.LBB100_2:
	s_load_dword s11, s[0:1], 0x0
	s_clause 0x1
	s_load_dwordx2 s[18:19], s[4:5], 0x28
	s_load_dwordx4 s[12:15], s[4:5], 0x48
	v_lshlrev_b32_e32 v7, 4, v0
	s_ashr_i32 s0, s6, 31
	s_ashr_i32 s1, s17, 31
	s_lshl_b32 s6, s6, 6
	s_waitcnt lgkmcnt(0)
	s_mov_b32 s15, exec_lo
	v_cmpx_gt_u32_e32 8, v0
	s_cbranch_execz .LBB100_4
; %bb.3:
	s_load_dwordx2 s[22:23], s[4:5], 0x8
	s_mul_i32 s26, s12, s10
	s_ashr_i32 s27, s26, 31
	s_lshl_b64 s[26:27], s[26:27], 1
	s_waitcnt lgkmcnt(0)
	s_add_u32 s12, s22, s26
	s_addc_u32 s17, s23, s27
	s_ashr_i32 s7, s6, 31
	s_lshl_b64 s[22:23], s[6:7], 1
	s_add_u32 s22, s12, s22
	s_addc_u32 s23, s17, s23
	global_load_dwordx4 v[1:4], v7, s[22:23]
	s_waitcnt vmcnt(0)
	ds_write_b128 v7, v[1:4]
.LBB100_4:
	s_or_b32 exec_lo, exec_lo, s15
	s_add_i32 s7, s11, 31
	s_xor_b32 s0, s0, s1
	s_ashr_i32 s12, s7, 31
	s_load_dword s15, s[4:5], 0x38
	s_lshr_b32 s1, s12, 27
	s_mul_i32 s12, s20, s2
	s_add_i32 s7, s7, s1
	s_sub_i32 s1, s16, s12
	s_ashr_i32 s12, s7, 5
	s_clause 0x2
	s_load_dwordx2 s[16:17], s[4:5], 0x0
	s_load_dwordx2 s[22:23], s[4:5], 0x18
	s_load_dword s7, s[4:5], 0x88
	s_add_i32 s21, s20, 1
	s_sub_i32 s25, s1, s2
	s_cmp_ge_u32 s1, s2
	v_lshrrev_b32_e32 v9, 5, v0
	s_cselect_b32 s20, s21, s20
	s_cselect_b32 s1, s25, s1
	s_add_i32 s21, s20, 1
	s_cmp_ge_u32 s1, s2
	v_and_b32_e32 v10, 31, v0
	s_cselect_b32 s1, s21, s20
	v_mov_b32_e32 v12, 0xff7fffff
	s_xor_b32 s1, s1, s0
	v_lshrrev_b32_e32 v8, 3, v0
	s_sub_i32 s1, s1, s0
	v_cmp_gt_i32_e64 s0, s12, v9
	v_lshlrev_b32_e32 v11, 2, v10
	s_waitcnt lgkmcnt(0)
	s_mul_i32 s20, s15, s10
	s_mul_i32 s14, s1, s14
	s_ashr_i32 s21, s20, 31
	s_barrier
	buffer_gl0_inv
	s_and_saveexec_b32 s25, s0
	s_cbranch_execz .LBB100_8
; %bb.5:
	s_load_dwordx2 s[4:5], s[4:5], 0x10
	s_ashr_i32 s15, s14, 31
	v_lshlrev_b32_e32 v1, 4, v10
	s_lshl_b64 s[26:27], s[14:15], 1
	v_and_b32_e32 v3, 0x7c, v8
	v_lshl_or_b32 v2, v9, 7, v11
	v_mov_b32_e32 v13, 0
	v_cmp_neq_f32_e64 vcc_lo, s24, 0
	v_lshl_or_b32 v14, v9, 5, v10
	v_mov_b32_e32 v12, 0xff7fffff
	v_add_nc_u32_e32 v15, 0xa0, v2
	v_mov_b32_e32 v18, v9
	s_mov_b32 s15, s13
	s_waitcnt lgkmcnt(0)
	s_add_u32 s1, s4, s26
	s_addc_u32 s2, s5, s27
	s_lshl_b64 s[26:27], s[20:21], 2
	v_add_co_u32 v16, s1, s1, v1
	s_sub_i32 s4, 1, s11
	v_add_co_ci_u32_e64 v17, null, s2, 0, s1
	s_add_u32 s1, s18, s26
	s_addc_u32 s2, s19, s27
	v_add_co_u32 v5, s1, s1, v3
	v_add_co_ci_u32_e64 v6, null, s2, 0, s1
	s_mov_b32 s5, 0
.LBB100_6:                              ; =>This Inner Loop Header: Depth=1
	global_load_dword v19, v[5:6], off
	ds_read_b128 v[1:4], v13
	v_add_nc_u32_e32 v21, s4, v14
	v_max_f32_e32 v20, v12, v12
	v_add_nc_u32_e32 v18, 4, v18
	v_cvt_f32_i32_e32 v21, v21
	v_cmp_le_i32_e64 s2, s12, v18
	v_mul_f32_e32 v21, s24, v21
	s_or_b32 s5, s2, s5
	s_waitcnt lgkmcnt(0)
	v_lshrrev_b32_e32 v50, 16, v1
	v_and_b32_e32 v51, 0xffff, v1
	v_lshrrev_b32_e32 v52, 16, v2
	v_and_b32_e32 v53, 0xffff, v2
	;; [unrolled: 2-line block ×4, first 2 shown]
	s_waitcnt vmcnt(0)
	v_mad_i64_i32 v[1:2], null, v19, s15, 0
	v_lshlrev_b64 v[1:2], 1, v[1:2]
	v_add_co_u32 v34, s1, v16, v1
	v_add_co_ci_u32_e64 v35, null, v17, v2, s1
	s_clause 0x3
	global_load_dwordx4 v[1:4], v[34:35], off
	global_load_dwordx4 v[22:25], v[34:35], off offset:512
	global_load_dwordx4 v[26:29], v[34:35], off offset:1024
	;; [unrolled: 1-line block ×3, first 2 shown]
	v_add_co_u32 v46, s1, 0x800, v34
	v_add_co_ci_u32_e64 v47, null, 0, v35, s1
	s_clause 0x3
	global_load_dwordx4 v[34:37], v[46:47], off
	global_load_dwordx4 v[38:41], v[46:47], off offset:512
	global_load_dwordx4 v[42:45], v[46:47], off offset:1024
	;; [unrolled: 1-line block ×3, first 2 shown]
	;;#ASMSTART
	v_cvt_f32_f16 v19, v51;
	;;#ASMEND
	;;#ASMSTART
	v_cvt_f32_f16 v50, v50;
	;;#ASMEND
	v_add_co_u32 v5, s1, v5, 16
	v_add_co_ci_u32_e64 v6, null, 0, v6, s1
	v_cmp_gt_i32_e64 s1, s11, v14
	v_add_nc_u32_e32 v14, 0x80, v14
	s_waitcnt vmcnt(7)
	v_lshrrev_b32_e32 v51, 16, v1
	v_and_b32_e32 v1, 0xffff, v1
	v_lshrrev_b32_e32 v58, 16, v2
	v_and_b32_e32 v2, 0xffff, v2
	v_lshrrev_b32_e32 v59, 16, v3
	v_and_b32_e32 v3, 0xffff, v3
	v_lshrrev_b32_e32 v60, 16, v4
	v_and_b32_e32 v4, 0xffff, v4
	s_waitcnt vmcnt(6)
	v_lshrrev_b32_e32 v61, 16, v22
	v_and_b32_e32 v62, 0xffff, v22
	v_lshrrev_b32_e32 v63, 16, v23
	v_and_b32_e32 v64, 0xffff, v23
	v_lshrrev_b32_e32 v65, 16, v24
	v_and_b32_e32 v66, 0xffff, v24
	v_lshrrev_b32_e32 v67, 16, v25
	v_and_b32_e32 v68, 0xffff, v25
	;; [unrolled: 9-line block ×4, first 2 shown]
	s_waitcnt vmcnt(3)
	v_lshrrev_b32_e32 v85, 16, v34
	v_and_b32_e32 v86, 0xffff, v34
	v_lshrrev_b32_e32 v87, 16, v35
	v_and_b32_e32 v88, 0xffff, v35
	;;#ASMSTART
	v_cvt_f32_f16 v22, v1;
	;;#ASMEND
	;;#ASMSTART
	v_cvt_f32_f16 v23, v51;
	;;#ASMEND
	;; [unrolled: 3-line block ×14, first 2 shown]
	ds_read_b128 v[1:4], v13 offset:16
	v_lshrrev_b32_e32 v91, 16, v37
	v_and_b32_e32 v92, 0xffff, v37
	s_waitcnt vmcnt(2)
	v_lshrrev_b32_e32 v54, 16, v41
	v_and_b32_e32 v55, 0xffff, v41
	s_waitcnt vmcnt(1)
	;; [unrolled: 3-line block ×3, first 2 shown]
	v_lshrrev_b32_e32 v107, 16, v49
	v_and_b32_e32 v108, 0xffff, v49
	v_lshrrev_b32_e32 v89, 16, v36
	v_and_b32_e32 v90, 0xffff, v36
	;; [unrolled: 2-line block ×6, first 2 shown]
	v_lshrrev_b32_e32 v58, 16, v43
	s_waitcnt lgkmcnt(0)
	v_lshrrev_b32_e32 v37, 16, v1
	v_and_b32_e32 v1, 0xffff, v1
	v_lshrrev_b32_e32 v41, 16, v2
	v_and_b32_e32 v2, 0xffff, v2
	;; [unrolled: 2-line block ×4, first 2 shown]
	v_and_b32_e32 v59, 0xffff, v43
	v_lshrrev_b32_e32 v60, 16, v44
	v_and_b32_e32 v98, 0xffff, v44
	v_lshrrev_b32_e32 v101, 16, v46
	;; [unrolled: 2-line block ×4, first 2 shown]
	v_and_b32_e32 v106, 0xffff, v48
	;;#ASMSTART
	v_cvt_f32_f16 v36, v1;
	;;#ASMEND
	;;#ASMSTART
	v_cvt_f32_f16 v37, v37;
	;;#ASMEND
	;; [unrolled: 3-line block ×16, first 2 shown]
	ds_read_b128 v[1:4], v13 offset:32
	v_mul_f32_e32 v36, v36, v38
	v_mul_f32_e32 v38, v40, v42
	;; [unrolled: 1-line block ×8, first 2 shown]
	v_fmac_f32_e32 v36, v19, v22
	v_fmac_f32_e32 v38, v24, v26
	;; [unrolled: 1-line block ×8, first 2 shown]
	s_waitcnt lgkmcnt(0)
	v_lshrrev_b32_e32 v22, 16, v1
	v_and_b32_e32 v1, 0xffff, v1
	v_lshrrev_b32_e32 v26, 16, v2
	v_and_b32_e32 v2, 0xffff, v2
	;; [unrolled: 2-line block ×4, first 2 shown]
	;;#ASMSTART
	v_cvt_f32_f16 v19, v1;
	;;#ASMEND
	;;#ASMSTART
	v_cvt_f32_f16 v22, v22;
	;;#ASMEND
	;; [unrolled: 3-line block ×16, first 2 shown]
	ds_read_b128 v[1:4], v13 offset:48
	v_fmac_f32_e32 v37, v22, v24
	v_fmac_f32_e32 v39, v26, v28
	v_fmac_f32_e32 v41, v30, v32
	v_fmac_f32_e32 v43, v34, v44
	v_fmac_f32_e32 v36, v19, v23
	v_fmac_f32_e32 v38, v25, v27
	v_fmac_f32_e32 v40, v29, v31
	v_fmac_f32_e32 v42, v33, v35
	s_waitcnt lgkmcnt(0)
	v_lshrrev_b32_e32 v22, 16, v1
	v_and_b32_e32 v1, 0xffff, v1
	v_lshrrev_b32_e32 v26, 16, v2
	v_and_b32_e32 v2, 0xffff, v2
	;; [unrolled: 2-line block ×4, first 2 shown]
	;;#ASMSTART
	v_cvt_f32_f16 v19, v1;
	;;#ASMEND
	;;#ASMSTART
	v_cvt_f32_f16 v22, v22;
	;;#ASMEND
	;; [unrolled: 3-line block ×16, first 2 shown]
	ds_read_b128 v[1:4], v13 offset:64
	v_fmac_f32_e32 v37, v22, v24
	v_fmac_f32_e32 v39, v26, v28
	;; [unrolled: 1-line block ×8, first 2 shown]
	s_waitcnt lgkmcnt(0)
	v_lshrrev_b32_e32 v22, 16, v1
	v_and_b32_e32 v1, 0xffff, v1
	v_lshrrev_b32_e32 v26, 16, v2
	v_and_b32_e32 v2, 0xffff, v2
	;; [unrolled: 2-line block ×4, first 2 shown]
	;;#ASMSTART
	v_cvt_f32_f16 v19, v1;
	;;#ASMEND
	;;#ASMSTART
	v_cvt_f32_f16 v22, v22;
	;;#ASMEND
	;; [unrolled: 3-line block ×16, first 2 shown]
	ds_read_b128 v[1:4], v13 offset:80
	v_fmac_f32_e32 v37, v22, v24
	v_fmac_f32_e32 v39, v26, v28
	;; [unrolled: 1-line block ×8, first 2 shown]
	s_waitcnt lgkmcnt(0)
	v_lshrrev_b32_e32 v22, 16, v1
	v_and_b32_e32 v1, 0xffff, v1
	v_lshrrev_b32_e32 v26, 16, v2
	v_and_b32_e32 v2, 0xffff, v2
	;; [unrolled: 2-line block ×4, first 2 shown]
	;;#ASMSTART
	v_cvt_f32_f16 v19, v1;
	;;#ASMEND
	;;#ASMSTART
	v_cvt_f32_f16 v22, v22;
	;;#ASMEND
	;; [unrolled: 3-line block ×16, first 2 shown]
	ds_read_b128 v[1:4], v13 offset:96
	v_fmac_f32_e32 v37, v22, v24
	v_fmac_f32_e32 v39, v26, v28
	;; [unrolled: 1-line block ×8, first 2 shown]
	s_waitcnt lgkmcnt(0)
	v_lshrrev_b32_e32 v22, 16, v1
	v_and_b32_e32 v1, 0xffff, v1
	v_lshrrev_b32_e32 v26, 16, v2
	v_and_b32_e32 v2, 0xffff, v2
	v_lshrrev_b32_e32 v30, 16, v3
	v_and_b32_e32 v3, 0xffff, v3
	v_lshrrev_b32_e32 v34, 16, v4
	v_and_b32_e32 v4, 0xffff, v4
	;;#ASMSTART
	v_cvt_f32_f16 v19, v1;
	;;#ASMEND
	;;#ASMSTART
	v_cvt_f32_f16 v22, v22;
	;;#ASMEND
	;; [unrolled: 3-line block ×16, first 2 shown]
	ds_read_b128 v[1:4], v13 offset:112
	v_fmac_f32_e32 v36, v19, v23
	v_fmac_f32_e32 v37, v22, v24
	;; [unrolled: 1-line block ×8, first 2 shown]
	s_waitcnt lgkmcnt(0)
	v_lshrrev_b32_e32 v19, 16, v1
	v_and_b32_e32 v1, 0xffff, v1
	v_lshrrev_b32_e32 v22, 16, v2
	v_and_b32_e32 v23, 0xffff, v2
	;; [unrolled: 2-line block ×4, first 2 shown]
	;;#ASMSTART
	v_cvt_f32_f16 v1, v1;
	;;#ASMEND
	;;#ASMSTART
	v_cvt_f32_f16 v2, v19;
	;;#ASMEND
	;; [unrolled: 3-line block ×4, first 2 shown]
	v_fmac_f32_e32 v36, v1, v3
	v_fmac_f32_e32 v37, v2, v4
	;;#ASMSTART
	v_cvt_f32_f16 v19, v23;
	;;#ASMEND
	;;#ASMSTART
	v_cvt_f32_f16 v22, v22;
	;;#ASMEND
	;; [unrolled: 3-line block ×3, first 2 shown]
	v_fmac_f32_e32 v38, v19, v23
	v_add_f32_e32 v2, v36, v37
	;;#ASMSTART
	v_cvt_f32_f16 v24, v103;
	;;#ASMEND
	v_fmac_f32_e32 v39, v22, v24
	;;#ASMSTART
	v_cvt_f32_f16 v25, v25;
	;;#ASMEND
	;;#ASMSTART
	v_cvt_f32_f16 v26, v26;
	;;#ASMEND
	v_add_f32_e32 v2, v2, v38
	;;#ASMSTART
	v_cvt_f32_f16 v1, v106;
	;;#ASMEND
	v_fmac_f32_e32 v40, v25, v1
	;;#ASMSTART
	v_cvt_f32_f16 v3, v105;
	;;#ASMEND
	v_fmac_f32_e32 v41, v26, v3
	v_add_f32_e32 v1, v39, v2
	;;#ASMSTART
	v_cvt_f32_f16 v4, v28;
	;;#ASMEND
	;;#ASMSTART
	v_cvt_f32_f16 v2, v27;
	;;#ASMEND
	;; [unrolled: 3-line block ×3, first 2 shown]
	v_fmac_f32_e32 v42, v4, v3
	v_add_f32_e32 v1, v1, v40
	;;#ASMSTART
	v_cvt_f32_f16 v3, v107;
	;;#ASMEND
	v_fmac_f32_e32 v43, v2, v3
	v_cndmask_b32_e32 v2, 0, v21, vcc_lo
	v_add_f32_e32 v1, v41, v1
	v_add_f32_e32 v1, v1, v42
	;; [unrolled: 1-line block ×3, first 2 shown]
	v_fmac_f32_e32 v2, s3, v1
	v_cndmask_b32_e64 v1, 0, v2, s1
	v_max_f32_e32 v2, v20, v2
	ds_write_b32 v15, v1
	v_cndmask_b32_e64 v12, v12, v2, s1
	v_add_nc_u32_e32 v15, 0x200, v15
	s_andn2_b32 exec_lo, exec_lo, s5
	s_cbranch_execnz .LBB100_6
; %bb.7:
	s_or_b32 exec_lo, exec_lo, s5
.LBB100_8:
	s_or_b32 exec_lo, exec_lo, s25
	v_mbcnt_lo_u32_b32 v2, -1, 0
	v_max_f32_e32 v5, v12, v12
	v_xor_b32_e32 v1, 16, v2
	v_xor_b32_e32 v4, 8, v2
	v_cmp_gt_i32_e32 vcc_lo, 32, v1
	v_cndmask_b32_e32 v1, v2, v1, vcc_lo
	v_cmp_gt_i32_e32 vcc_lo, 32, v4
	v_lshlrev_b32_e32 v1, 2, v1
	v_cndmask_b32_e32 v4, v2, v4, vcc_lo
	ds_bpermute_b32 v3, v1, v12
	s_waitcnt lgkmcnt(0)
	v_max_f32_e32 v6, v3, v3
	v_lshlrev_b32_e32 v3, 2, v4
	v_max_f32_e32 v5, v5, v6
	v_xor_b32_e32 v6, 4, v2
	ds_bpermute_b32 v4, v3, v5
	v_cmp_gt_i32_e32 vcc_lo, 32, v6
	v_cndmask_b32_e32 v6, v2, v6, vcc_lo
	s_waitcnt lgkmcnt(0)
	v_max_f32_e32 v12, v4, v4
	v_lshlrev_b32_e32 v4, 2, v6
	v_max_f32_e32 v5, v5, v12
	v_xor_b32_e32 v12, 2, v2
	ds_bpermute_b32 v6, v4, v5
	v_cmp_gt_i32_e32 vcc_lo, 32, v12
	v_cndmask_b32_e32 v12, v2, v12, vcc_lo
	v_lshlrev_b32_e32 v13, 2, v12
	v_xor_b32_e32 v12, 1, v2
	v_cmp_gt_i32_e32 vcc_lo, 32, v12
	s_waitcnt lgkmcnt(0)
	v_max_f32_e32 v6, v6, v6
	v_cndmask_b32_e32 v12, v2, v12, vcc_lo
	v_cmp_eq_u32_e32 vcc_lo, 0, v10
	v_max_f32_e32 v5, v5, v6
	v_lshlrev_b32_e32 v12, 2, v12
	ds_bpermute_b32 v6, v13, v5
	s_waitcnt lgkmcnt(0)
	v_max_f32_e32 v6, v6, v6
	v_max_f32_e32 v2, v5, v6
	v_lshlrev_b32_e32 v5, 2, v9
	ds_bpermute_b32 v6, v12, v2
	s_and_saveexec_b32 s1, vcc_lo
	s_cbranch_execz .LBB100_10
; %bb.9:
	s_waitcnt lgkmcnt(0)
	v_max_f32_e32 v6, v6, v6
	v_max_f32_e32 v2, v2, v2
	;; [unrolled: 1-line block ×3, first 2 shown]
	ds_write_b32 v5, v2 offset:128
.LBB100_10:
	s_or_b32 exec_lo, exec_lo, s1
	v_cmp_gt_u32_e64 s1, 4, v10
	v_mov_b32_e32 v2, 0xff7fffff
	s_waitcnt lgkmcnt(0)
	s_barrier
	buffer_gl0_inv
	s_and_saveexec_b32 s2, s1
; %bb.11:
	ds_read_b32 v2, v11 offset:128
; %bb.12:
	s_or_b32 exec_lo, exec_lo, s2
	s_waitcnt lgkmcnt(0)
	ds_bpermute_b32 v6, v13, v2
	v_max_f32_e32 v2, v2, v2
	s_lshl_b32 s2, s12, 5
	s_min_i32 s4, s2, s11
	v_cmp_gt_i32_e64 s2, s4, v0
	s_waitcnt lgkmcnt(0)
	v_max_f32_e32 v6, v6, v6
	v_max_f32_e32 v2, v2, v6
	ds_bpermute_b32 v6, v12, v2
	s_waitcnt lgkmcnt(0)
	v_max_f32_e32 v6, v6, v6
	v_max_f32_e32 v2, v2, v6
	v_mov_b32_e32 v6, 0
	ds_bpermute_b32 v14, v6, v2
	v_lshl_add_u32 v2, v0, 2, 0xa0
	s_and_saveexec_b32 s5, s2
	s_cbranch_execz .LBB100_16
; %bb.13:
	v_lshl_add_u32 v15, v0, 2, 0xa0
	v_mov_b32_e32 v6, 0
	v_mov_b32_e32 v16, v0
	s_mov_b32 s15, 0
	.p2align	6
.LBB100_14:                             ; =>This Inner Loop Header: Depth=1
	ds_read_b32 v17, v15
	v_add_nc_u32_e32 v16, 0x80, v16
	v_cmp_le_i32_e64 s3, s4, v16
	s_or_b32 s15, s3, s15
	s_waitcnt lgkmcnt(0)
	v_sub_f32_e32 v17, v17, v14
	v_mul_f32_e32 v17, 0x3fb8aa3b, v17
	v_exp_f32_e32 v17, v17
	ds_write_b32 v15, v17
	v_add_f32_e32 v6, v6, v17
	v_add_nc_u32_e32 v15, 0x200, v15
	s_andn2_b32 exec_lo, exec_lo, s15
	s_cbranch_execnz .LBB100_14
; %bb.15:
	s_or_b32 exec_lo, exec_lo, s15
.LBB100_16:
	s_or_b32 exec_lo, exec_lo, s5
	ds_bpermute_b32 v1, v1, v6
	s_waitcnt lgkmcnt(0)
	v_add_f32_e32 v1, v6, v1
	ds_bpermute_b32 v3, v3, v1
	s_waitcnt lgkmcnt(0)
	v_add_f32_e32 v1, v1, v3
	;; [unrolled: 3-line block ×5, first 2 shown]
	s_and_saveexec_b32 s3, vcc_lo
; %bb.17:
	ds_write_b32 v5, v1 offset:144
; %bb.18:
	s_or_b32 exec_lo, exec_lo, s3
	s_waitcnt lgkmcnt(0)
	s_barrier
	buffer_gl0_inv
	s_and_saveexec_b32 s3, s1
; %bb.19:
	ds_read_b32 v1, v11 offset:144
; %bb.20:
	s_or_b32 exec_lo, exec_lo, s3
	s_waitcnt lgkmcnt(0)
	ds_bpermute_b32 v3, v13, v1
	s_waitcnt lgkmcnt(0)
	v_add_f32_e32 v1, v1, v3
	ds_bpermute_b32 v3, v12, v1
	s_waitcnt lgkmcnt(0)
	v_add_f32_e32 v1, v1, v3
	v_mov_b32_e32 v3, 0
	ds_bpermute_b32 v1, v3, v1
	s_and_saveexec_b32 s1, s2
	s_cbranch_execz .LBB100_23
; %bb.21:
	s_waitcnt lgkmcnt(0)
	v_add_f32_e32 v1, 0x358637bd, v1
	s_mov_b32 s2, 0
	v_div_scale_f32 v3, null, v1, v1, 1.0
	v_div_scale_f32 v6, vcc_lo, 1.0, v1, 1.0
	v_rcp_f32_e32 v4, v3
	v_fma_f32 v5, -v3, v4, 1.0
	v_fmac_f32_e32 v4, v5, v4
	v_mul_f32_e32 v5, v6, v4
	v_fma_f32 v11, -v3, v5, v6
	v_fmac_f32_e32 v5, v11, v4
	v_fma_f32 v3, -v3, v5, v6
	v_div_fmas_f32 v3, v3, v4, v5
	v_div_fixup_f32 v1, v3, v1, 1.0
	v_mov_b32_e32 v3, v0
.LBB100_22:                             ; =>This Inner Loop Header: Depth=1
	ds_read_b32 v4, v2
	v_add_nc_u32_e32 v3, 0x80, v3
	v_cmp_le_i32_e32 vcc_lo, s4, v3
	s_or_b32 s2, vcc_lo, s2
	s_waitcnt lgkmcnt(0)
	v_mul_f32_e32 v4, v1, v4
	ds_write_b32 v2, v4
	v_add_nc_u32_e32 v2, 0x200, v2
	s_andn2_b32 exec_lo, exec_lo, s2
	s_cbranch_execnz .LBB100_22
.LBB100_23:
	s_or_b32 exec_lo, exec_lo, s1
	v_mov_b32_e32 v19, 0
	v_and_b32_e32 v11, 3, v0
	v_mov_b32_e32 v21, 0
	v_mov_b32_e32 v20, 0
	;; [unrolled: 1-line block ×7, first 2 shown]
	s_waitcnt lgkmcnt(0)
	s_barrier
	buffer_gl0_inv
	s_and_saveexec_b32 s2, s0
	s_cbranch_execz .LBB100_43
; %bb.24:
	v_lshlrev_b32_e32 v1, 3, v0
	s_ashr_i32 s15, s14, 31
	v_and_b32_e32 v3, 0x1f0, v7
	s_lshl_b64 s[0:1], s[14:15], 1
	v_lshlrev_b32_e32 v4, 5, v9
	v_and_b32_e32 v1, 24, v1
	s_add_u32 s0, s22, s0
	v_lshlrev_b32_e32 v2, 5, v11
	s_addc_u32 s1, s23, s1
	v_add_co_u32 v23, s0, s0, v3
	v_or3_b32 v25, v4, v1, 7
	v_and_b32_e32 v1, 0x7c, v8
	v_add_co_ci_u32_e64 v24, null, s1, 0, s0
	s_lshl_b64 s[0:1], s[20:21], 2
	s_add_i32 s3, s12, -1
	v_lshl_or_b32 v2, v9, 7, v2
	s_add_u32 s0, s18, s0
	s_addc_u32 s1, s19, s1
	v_add_co_u32 v5, s0, s0, v1
	v_mov_b32_e32 v22, 0
	v_add_nc_u32_e32 v26, 0xa0, v2
	v_add_co_ci_u32_e64 v6, null, s1, 0, s0
	v_mov_b32_e32 v14, 0
	v_mov_b32_e32 v15, 0
	;; [unrolled: 1-line block ×9, first 2 shown]
	s_mov_b32 s5, s13
	s_mov_b32 s4, 0
	s_branch .LBB100_26
.LBB100_25:                             ;   in Loop: Header=BB100_26 Depth=1
	s_or_b32 exec_lo, exec_lo, s1
	v_lshlrev_b32_e32 v30, 16, v51
	v_lshlrev_b32_e32 v8, 16, v8
	;; [unrolled: 1-line block ×3, first 2 shown]
	v_add_f32_e32 v28, v52, v53
	v_add_f32_e32 v29, v49, v50
	v_and_or_b32 v1, 0xffff, v1, v30
	v_and_or_b32 v2, 0xffff, v2, v8
	;; [unrolled: 1-line block ×3, first 2 shown]
	;;#ASMSTART
	v_pk_mul_f16 v1, v36, v1;

	;;#ASMEND
	;;#ASMSTART
	v_pk_mul_f16 v2, v35, v2;

	;;#ASMEND
	;; [unrolled: 4-line block ×4, first 2 shown]
	;;#ASMSTART
	v_pk_add_f16 v1, v1, v2;

	;;#ASMEND
	;;#ASMSTART
	v_pk_add_f16 v1, v1, v3;

	;;#ASMEND
	;; [unrolled: 4-line block ×3, first 2 shown]
	v_and_b32_e32 v4, 0xffff, v1
	v_add_nc_u32_e32 v27, 4, v27
	v_lshrrev_b32_e32 v7, 16, v1
	;;#ASMSTART
	v_cvt_f32_f16 v4, v4;
	;;#ASMEND
	v_add_f32_e32 v15, v15, v28
	v_add_f32_e32 v16, v16, v29
	;; [unrolled: 1-line block ×7, first 2 shown]
	;;#ASMSTART
	v_cvt_f32_f16 v7, v7;
	;;#ASMEND
	v_add_f32_e32 v4, v4, v7
	v_cmp_le_i32_e32 vcc_lo, s12, v27
	v_add_co_u32 v5, s0, v5, 16
	v_add_f32_e32 v17, v17, v28
	v_add_f32_e32 v18, v18, v29
	;; [unrolled: 1-line block ×6, first 2 shown]
	v_add_nc_u32_e32 v25, 0x80, v25
	v_add_nc_u32_e32 v26, 0x200, v26
	v_add_co_ci_u32_e64 v6, null, 0, v6, s0
	s_or_b32 s4, vcc_lo, s4
	s_andn2_b32 exec_lo, exec_lo, s4
	s_cbranch_execz .LBB100_42
.LBB100_26:                             ; =>This Inner Loop Header: Depth=1
	global_load_dword v7, v[5:6], off
	ds_read2_b64 v[1:4], v26 offset1:1
	ds_read2_b64 v[28:31], v26 offset0:2 offset1:3
	v_add_nc_u32_e32 v32, -7, v25
	v_cmp_eq_u32_e64 s0, s3, v27
	v_add_nc_u32_e32 v34, -6, v25
	v_add_nc_u32_e32 v33, -1, v25
	s_waitcnt lgkmcnt(1)
	;;#ASMSTART
	v_cvt_f16_f32 v36, v1;

	;;#ASMEND
	;;#ASMSTART
	v_cvt_f16_f32 v35, v2;

	;;#ASMEND
	;; [unrolled: 4-line block ×4, first 2 shown]
	s_waitcnt lgkmcnt(0)
	;;#ASMSTART
	v_cvt_f16_f32 v42, v28;

	;;#ASMEND
	;;#ASMSTART
	v_cvt_f16_f32 v37, v29;

	;;#ASMEND
	;; [unrolled: 4-line block ×4, first 2 shown]
	v_add_nc_u32_e32 v31, -5, v25
	v_add_nc_u32_e32 v30, -4, v25
	;; [unrolled: 1-line block ×4, first 2 shown]
	s_waitcnt vmcnt(0)
	v_mad_i64_i32 v[7:8], null, v7, s5, 0
	v_lshlrev_b64 v[7:8], 1, v[7:8]
	v_add_co_u32 v7, vcc_lo, v23, v7
	v_add_co_ci_u32_e64 v8, null, v24, v8, vcc_lo
	global_load_dwordx4 v[1:4], v[7:8], off
	s_waitcnt vmcnt(0)
	v_lshrrev_b32_e32 v45, 16, v1
	v_lshrrev_b32_e32 v44, 16, v2
	;; [unrolled: 1-line block ×3, first 2 shown]
	s_and_saveexec_b32 s13, s0
	s_cbranch_execz .LBB100_28
; %bb.27:                               ;   in Loop: Header=BB100_26 Depth=1
	v_cmp_gt_i32_e32 vcc_lo, s11, v32
	v_and_b32_e32 v46, 0xffff0000, v4
	v_cmp_gt_i32_e64 s1, s11, v31
	v_cndmask_b32_e32 v1, 0, v1, vcc_lo
	v_cmp_gt_i32_e32 vcc_lo, s11, v34
	v_cndmask_b32_e64 v2, 0, v2, s1
	v_cmp_gt_i32_e64 s1, s11, v30
	v_cndmask_b32_e32 v45, 0, v45, vcc_lo
	v_cmp_gt_i32_e32 vcc_lo, s11, v33
	v_cndmask_b32_e64 v44, 0, v44, s1
	v_cndmask_b32_sdwa v4, v22, v4, vcc_lo dst_sel:DWORD dst_unused:UNUSED_PAD src0_sel:DWORD src1_sel:WORD_0
	v_cmp_gt_i32_e32 vcc_lo, s11, v25
	v_cndmask_b32_e32 v46, 0, v46, vcc_lo
	v_cmp_gt_i32_e32 vcc_lo, s11, v29
	v_or_b32_e32 v4, v4, v46
	v_cndmask_b32_e32 v3, 0, v3, vcc_lo
	v_cmp_gt_i32_e32 vcc_lo, s11, v28
	v_cndmask_b32_e32 v43, 0, v43, vcc_lo
.LBB100_28:                             ;   in Loop: Header=BB100_26 Depth=1
	s_or_b32 exec_lo, exec_lo, s13
	v_and_b32_e32 v36, 0xffff, v36
	v_and_b32_e32 v41, 0xffff, v41
	v_lshlrev_b32_e32 v45, 16, v45
	v_and_b32_e32 v42, 0xffff, v42
	v_and_b32_e32 v40, 0xffff, v40
	v_lshl_or_b32 v36, v35, 16, v36
	v_lshl_or_b32 v35, v39, 16, v41
	v_lshlrev_b32_e32 v39, 16, v44
	v_lshlrev_b32_e32 v41, 16, v43
	v_and_or_b32 v1, 0xffff, v1, v45
	;;#ASMSTART
	v_pk_mul_f16 v1, v36, v1;

	;;#ASMEND
	v_lshl_or_b32 v37, v37, 16, v42
	v_and_or_b32 v2, 0xffff, v2, v39
	v_and_or_b32 v3, 0xffff, v3, v41
	v_lshl_or_b32 v38, v38, 16, v40
	;;#ASMSTART
	v_pk_mul_f16 v2, v35, v2;

	;;#ASMEND
	;;#ASMSTART
	v_pk_mul_f16 v3, v37, v3;

	;;#ASMEND
	;; [unrolled: 4-line block ×3, first 2 shown]
	;;#ASMSTART
	v_pk_add_f16 v1, v1, v2;

	;;#ASMEND
	;;#ASMSTART
	v_pk_add_f16 v1, v1, v3;

	;;#ASMEND
	;; [unrolled: 4-line block ×3, first 2 shown]
	v_and_b32_e32 v2, 0xffff, v1
	v_lshrrev_b32_e32 v1, 16, v1
	;;#ASMSTART
	v_cvt_f32_f16 v39, v2;
	;;#ASMEND
	;;#ASMSTART
	v_cvt_f32_f16 v40, v1;
	;;#ASMEND
	global_load_dwordx4 v[1:4], v[7:8], off offset:512
	s_waitcnt vmcnt(0)
	v_lshrrev_b32_e32 v43, 16, v1
	v_lshrrev_b32_e32 v42, 16, v2
	;; [unrolled: 1-line block ×3, first 2 shown]
	s_and_saveexec_b32 s13, s0
	s_cbranch_execz .LBB100_30
; %bb.29:                               ;   in Loop: Header=BB100_26 Depth=1
	v_cmp_gt_i32_e32 vcc_lo, s11, v32
	v_and_b32_e32 v44, 0xffff0000, v4
	v_cmp_gt_i32_e64 s1, s11, v31
	v_cndmask_b32_e32 v1, 0, v1, vcc_lo
	v_cmp_gt_i32_e32 vcc_lo, s11, v34
	v_cndmask_b32_e64 v2, 0, v2, s1
	v_cmp_gt_i32_e64 s1, s11, v30
	v_cndmask_b32_e32 v43, 0, v43, vcc_lo
	v_cmp_gt_i32_e32 vcc_lo, s11, v33
	v_cndmask_b32_e64 v42, 0, v42, s1
	v_cndmask_b32_sdwa v4, v22, v4, vcc_lo dst_sel:DWORD dst_unused:UNUSED_PAD src0_sel:DWORD src1_sel:WORD_0
	v_cmp_gt_i32_e32 vcc_lo, s11, v25
	v_cndmask_b32_e32 v44, 0, v44, vcc_lo
	v_cmp_gt_i32_e32 vcc_lo, s11, v29
	v_or_b32_e32 v4, v4, v44
	v_cndmask_b32_e32 v3, 0, v3, vcc_lo
	v_cmp_gt_i32_e32 vcc_lo, s11, v28
	v_cndmask_b32_e32 v41, 0, v41, vcc_lo
.LBB100_30:                             ;   in Loop: Header=BB100_26 Depth=1
	s_or_b32 exec_lo, exec_lo, s13
	v_lshlrev_b32_e32 v43, 16, v43
	v_lshlrev_b32_e32 v42, 16, v42
	;; [unrolled: 1-line block ×3, first 2 shown]
	v_and_or_b32 v1, 0xffff, v1, v43
	v_and_or_b32 v2, 0xffff, v2, v42
	v_and_or_b32 v3, 0xffff, v3, v41
	;;#ASMSTART
	v_pk_mul_f16 v1, v36, v1;

	;;#ASMEND
	;;#ASMSTART
	v_pk_mul_f16 v2, v35, v2;

	;;#ASMEND
	;; [unrolled: 4-line block ×4, first 2 shown]
	;;#ASMSTART
	v_pk_add_f16 v1, v1, v2;

	;;#ASMEND
	;;#ASMSTART
	v_pk_add_f16 v1, v1, v3;

	;;#ASMEND
	;; [unrolled: 4-line block ×3, first 2 shown]
	v_and_b32_e32 v2, 0xffff, v1
	v_lshrrev_b32_e32 v1, 16, v1
	;;#ASMSTART
	v_cvt_f32_f16 v41, v2;
	;;#ASMEND
	;;#ASMSTART
	v_cvt_f32_f16 v42, v1;
	;;#ASMEND
	global_load_dwordx4 v[1:4], v[7:8], off offset:1024
	s_waitcnt vmcnt(0)
	v_lshrrev_b32_e32 v45, 16, v1
	v_lshrrev_b32_e32 v44, 16, v2
	;; [unrolled: 1-line block ×3, first 2 shown]
	s_and_saveexec_b32 s13, s0
	s_cbranch_execz .LBB100_32
; %bb.31:                               ;   in Loop: Header=BB100_26 Depth=1
	v_cmp_gt_i32_e32 vcc_lo, s11, v32
	v_and_b32_e32 v46, 0xffff0000, v4
	v_cmp_gt_i32_e64 s1, s11, v31
	v_cndmask_b32_e32 v1, 0, v1, vcc_lo
	v_cmp_gt_i32_e32 vcc_lo, s11, v34
	v_cndmask_b32_e64 v2, 0, v2, s1
	v_cmp_gt_i32_e64 s1, s11, v30
	v_cndmask_b32_e32 v45, 0, v45, vcc_lo
	v_cmp_gt_i32_e32 vcc_lo, s11, v33
	v_cndmask_b32_e64 v44, 0, v44, s1
	v_cndmask_b32_sdwa v4, v22, v4, vcc_lo dst_sel:DWORD dst_unused:UNUSED_PAD src0_sel:DWORD src1_sel:WORD_0
	v_cmp_gt_i32_e32 vcc_lo, s11, v25
	v_cndmask_b32_e32 v46, 0, v46, vcc_lo
	v_cmp_gt_i32_e32 vcc_lo, s11, v29
	v_or_b32_e32 v4, v4, v46
	v_cndmask_b32_e32 v3, 0, v3, vcc_lo
	v_cmp_gt_i32_e32 vcc_lo, s11, v28
	v_cndmask_b32_e32 v43, 0, v43, vcc_lo
.LBB100_32:                             ;   in Loop: Header=BB100_26 Depth=1
	s_or_b32 exec_lo, exec_lo, s13
	v_lshlrev_b32_e32 v45, 16, v45
	v_lshlrev_b32_e32 v44, 16, v44
	;; [unrolled: 1-line block ×3, first 2 shown]
	v_and_or_b32 v1, 0xffff, v1, v45
	v_and_or_b32 v2, 0xffff, v2, v44
	;; [unrolled: 1-line block ×3, first 2 shown]
	;;#ASMSTART
	v_pk_mul_f16 v1, v36, v1;

	;;#ASMEND
	;;#ASMSTART
	v_pk_mul_f16 v2, v35, v2;

	;;#ASMEND
	;;#ASMSTART
	v_pk_mul_f16 v3, v37, v3;

	;;#ASMEND
	;;#ASMSTART
	v_pk_mul_f16 v4, v38, v4;

	;;#ASMEND
	;;#ASMSTART
	v_pk_add_f16 v1, v1, v2;

	;;#ASMEND
	;;#ASMSTART
	v_pk_add_f16 v1, v1, v3;

	;;#ASMEND
	;; [unrolled: 4-line block ×3, first 2 shown]
	v_and_b32_e32 v2, 0xffff, v1
	v_lshrrev_b32_e32 v1, 16, v1
	;;#ASMSTART
	v_cvt_f32_f16 v43, v2;
	;;#ASMEND
	;;#ASMSTART
	v_cvt_f32_f16 v44, v1;
	;;#ASMEND
	global_load_dwordx4 v[1:4], v[7:8], off offset:1536
	s_waitcnt vmcnt(0)
	v_lshrrev_b32_e32 v47, 16, v1
	v_lshrrev_b32_e32 v46, 16, v2
	;; [unrolled: 1-line block ×3, first 2 shown]
	s_and_saveexec_b32 s13, s0
	s_cbranch_execz .LBB100_34
; %bb.33:                               ;   in Loop: Header=BB100_26 Depth=1
	v_cmp_gt_i32_e32 vcc_lo, s11, v32
	v_and_b32_e32 v48, 0xffff0000, v4
	v_cmp_gt_i32_e64 s1, s11, v31
	v_cndmask_b32_e32 v1, 0, v1, vcc_lo
	v_cmp_gt_i32_e32 vcc_lo, s11, v34
	v_cndmask_b32_e64 v2, 0, v2, s1
	v_cmp_gt_i32_e64 s1, s11, v30
	v_cndmask_b32_e32 v47, 0, v47, vcc_lo
	v_cmp_gt_i32_e32 vcc_lo, s11, v33
	v_cndmask_b32_e64 v46, 0, v46, s1
	v_cndmask_b32_sdwa v4, v22, v4, vcc_lo dst_sel:DWORD dst_unused:UNUSED_PAD src0_sel:DWORD src1_sel:WORD_0
	v_cmp_gt_i32_e32 vcc_lo, s11, v25
	v_cndmask_b32_e32 v48, 0, v48, vcc_lo
	v_cmp_gt_i32_e32 vcc_lo, s11, v29
	v_or_b32_e32 v4, v4, v48
	v_cndmask_b32_e32 v3, 0, v3, vcc_lo
	v_cmp_gt_i32_e32 vcc_lo, s11, v28
	v_cndmask_b32_e32 v45, 0, v45, vcc_lo
.LBB100_34:                             ;   in Loop: Header=BB100_26 Depth=1
	s_or_b32 exec_lo, exec_lo, s13
	v_lshlrev_b32_e32 v47, 16, v47
	v_lshlrev_b32_e32 v46, 16, v46
	;; [unrolled: 1-line block ×3, first 2 shown]
	v_add_co_u32 v7, vcc_lo, 0x800, v7
	v_and_or_b32 v1, 0xffff, v1, v47
	v_and_or_b32 v2, 0xffff, v2, v46
	;; [unrolled: 1-line block ×3, first 2 shown]
	;;#ASMSTART
	v_pk_mul_f16 v1, v36, v1;

	;;#ASMEND
	v_add_co_ci_u32_e64 v8, null, 0, v8, vcc_lo
	;;#ASMSTART
	v_pk_mul_f16 v2, v35, v2;

	;;#ASMEND
	;;#ASMSTART
	v_pk_mul_f16 v3, v37, v3;

	;;#ASMEND
	;; [unrolled: 4-line block ×3, first 2 shown]
	;;#ASMSTART
	v_pk_add_f16 v1, v1, v2;

	;;#ASMEND
	;;#ASMSTART
	v_pk_add_f16 v1, v1, v3;

	;;#ASMEND
	;;#ASMSTART
	v_pk_add_f16 v1, v1, v4;

	;;#ASMEND
	v_lshrrev_b32_e32 v2, 16, v1
	v_and_b32_e32 v1, 0xffff, v1
	;;#ASMSTART
	v_cvt_f32_f16 v45, v1;
	;;#ASMEND
	;;#ASMSTART
	v_cvt_f32_f16 v46, v2;
	;;#ASMEND
	global_load_dwordx4 v[1:4], v[7:8], off
	s_waitcnt vmcnt(0)
	v_lshrrev_b32_e32 v49, 16, v1
	v_lshrrev_b32_e32 v48, 16, v2
	v_lshrrev_b32_e32 v47, 16, v3
	s_and_saveexec_b32 s13, s0
	s_cbranch_execz .LBB100_36
; %bb.35:                               ;   in Loop: Header=BB100_26 Depth=1
	v_cmp_gt_i32_e32 vcc_lo, s11, v32
	v_and_b32_e32 v50, 0xffff0000, v4
	v_cmp_gt_i32_e64 s1, s11, v31
	v_cndmask_b32_e32 v1, 0, v1, vcc_lo
	v_cmp_gt_i32_e32 vcc_lo, s11, v34
	v_cndmask_b32_e64 v2, 0, v2, s1
	v_cmp_gt_i32_e64 s1, s11, v30
	v_cndmask_b32_e32 v49, 0, v49, vcc_lo
	v_cmp_gt_i32_e32 vcc_lo, s11, v33
	v_cndmask_b32_e64 v48, 0, v48, s1
	v_cndmask_b32_sdwa v4, v22, v4, vcc_lo dst_sel:DWORD dst_unused:UNUSED_PAD src0_sel:DWORD src1_sel:WORD_0
	v_cmp_gt_i32_e32 vcc_lo, s11, v25
	v_cndmask_b32_e32 v50, 0, v50, vcc_lo
	v_cmp_gt_i32_e32 vcc_lo, s11, v29
	v_or_b32_e32 v4, v4, v50
	v_cndmask_b32_e32 v3, 0, v3, vcc_lo
	v_cmp_gt_i32_e32 vcc_lo, s11, v28
	v_cndmask_b32_e32 v47, 0, v47, vcc_lo
.LBB100_36:                             ;   in Loop: Header=BB100_26 Depth=1
	s_or_b32 exec_lo, exec_lo, s13
	v_lshlrev_b32_e32 v49, 16, v49
	v_lshlrev_b32_e32 v48, 16, v48
	;; [unrolled: 1-line block ×3, first 2 shown]
	v_and_or_b32 v1, 0xffff, v1, v49
	v_and_or_b32 v2, 0xffff, v2, v48
	;; [unrolled: 1-line block ×3, first 2 shown]
	;;#ASMSTART
	v_pk_mul_f16 v1, v36, v1;

	;;#ASMEND
	;;#ASMSTART
	v_pk_mul_f16 v2, v35, v2;

	;;#ASMEND
	;; [unrolled: 4-line block ×4, first 2 shown]
	;;#ASMSTART
	v_pk_add_f16 v1, v1, v2;

	;;#ASMEND
	;;#ASMSTART
	v_pk_add_f16 v1, v1, v3;

	;;#ASMEND
	;; [unrolled: 4-line block ×3, first 2 shown]
	v_and_b32_e32 v2, 0xffff, v1
	v_lshrrev_b32_e32 v1, 16, v1
	;;#ASMSTART
	v_cvt_f32_f16 v47, v2;
	;;#ASMEND
	;;#ASMSTART
	v_cvt_f32_f16 v48, v1;
	;;#ASMEND
	global_load_dwordx4 v[1:4], v[7:8], off offset:512
	s_waitcnt vmcnt(0)
	v_lshrrev_b32_e32 v51, 16, v1
	v_lshrrev_b32_e32 v50, 16, v2
	;; [unrolled: 1-line block ×3, first 2 shown]
	s_and_saveexec_b32 s13, s0
	s_cbranch_execz .LBB100_38
; %bb.37:                               ;   in Loop: Header=BB100_26 Depth=1
	v_cmp_gt_i32_e32 vcc_lo, s11, v32
	v_and_b32_e32 v52, 0xffff0000, v4
	v_cmp_gt_i32_e64 s1, s11, v31
	v_cndmask_b32_e32 v1, 0, v1, vcc_lo
	v_cmp_gt_i32_e32 vcc_lo, s11, v34
	v_cndmask_b32_e64 v2, 0, v2, s1
	v_cmp_gt_i32_e64 s1, s11, v30
	v_cndmask_b32_e32 v51, 0, v51, vcc_lo
	v_cmp_gt_i32_e32 vcc_lo, s11, v33
	v_cndmask_b32_e64 v50, 0, v50, s1
	v_cndmask_b32_sdwa v4, v22, v4, vcc_lo dst_sel:DWORD dst_unused:UNUSED_PAD src0_sel:DWORD src1_sel:WORD_0
	v_cmp_gt_i32_e32 vcc_lo, s11, v25
	v_cndmask_b32_e32 v52, 0, v52, vcc_lo
	v_cmp_gt_i32_e32 vcc_lo, s11, v29
	v_or_b32_e32 v4, v4, v52
	v_cndmask_b32_e32 v3, 0, v3, vcc_lo
	v_cmp_gt_i32_e32 vcc_lo, s11, v28
	v_cndmask_b32_e32 v49, 0, v49, vcc_lo
.LBB100_38:                             ;   in Loop: Header=BB100_26 Depth=1
	s_or_b32 exec_lo, exec_lo, s13
	v_lshlrev_b32_e32 v51, 16, v51
	v_lshlrev_b32_e32 v50, 16, v50
	v_lshlrev_b32_e32 v49, 16, v49
	v_and_or_b32 v1, 0xffff, v1, v51
	v_and_or_b32 v2, 0xffff, v2, v50
	;; [unrolled: 1-line block ×3, first 2 shown]
	;;#ASMSTART
	v_pk_mul_f16 v1, v36, v1;

	;;#ASMEND
	;;#ASMSTART
	v_pk_mul_f16 v2, v35, v2;

	;;#ASMEND
	;; [unrolled: 4-line block ×4, first 2 shown]
	;;#ASMSTART
	v_pk_add_f16 v1, v1, v2;

	;;#ASMEND
	;;#ASMSTART
	v_pk_add_f16 v1, v1, v3;

	;;#ASMEND
	;; [unrolled: 4-line block ×3, first 2 shown]
	v_and_b32_e32 v2, 0xffff, v1
	v_lshrrev_b32_e32 v1, 16, v1
	;;#ASMSTART
	v_cvt_f32_f16 v49, v2;
	;;#ASMEND
	;;#ASMSTART
	v_cvt_f32_f16 v50, v1;
	;;#ASMEND
	global_load_dwordx4 v[1:4], v[7:8], off offset:1024
	s_waitcnt vmcnt(0)
	v_lshrrev_b32_e32 v53, 16, v1
	v_lshrrev_b32_e32 v52, 16, v2
	;; [unrolled: 1-line block ×3, first 2 shown]
	s_and_saveexec_b32 s13, s0
	s_cbranch_execz .LBB100_40
; %bb.39:                               ;   in Loop: Header=BB100_26 Depth=1
	v_cmp_gt_i32_e32 vcc_lo, s11, v32
	v_and_b32_e32 v54, 0xffff0000, v4
	v_cmp_gt_i32_e64 s1, s11, v31
	v_cndmask_b32_e32 v1, 0, v1, vcc_lo
	v_cmp_gt_i32_e32 vcc_lo, s11, v34
	v_cndmask_b32_e64 v2, 0, v2, s1
	v_cmp_gt_i32_e64 s1, s11, v30
	v_cndmask_b32_e32 v53, 0, v53, vcc_lo
	v_cmp_gt_i32_e32 vcc_lo, s11, v33
	v_cndmask_b32_e64 v52, 0, v52, s1
	v_cndmask_b32_sdwa v4, v22, v4, vcc_lo dst_sel:DWORD dst_unused:UNUSED_PAD src0_sel:DWORD src1_sel:WORD_0
	v_cmp_gt_i32_e32 vcc_lo, s11, v25
	v_cndmask_b32_e32 v54, 0, v54, vcc_lo
	v_cmp_gt_i32_e32 vcc_lo, s11, v29
	v_or_b32_e32 v4, v4, v54
	v_cndmask_b32_e32 v3, 0, v3, vcc_lo
	v_cmp_gt_i32_e32 vcc_lo, s11, v28
	v_cndmask_b32_e32 v51, 0, v51, vcc_lo
.LBB100_40:                             ;   in Loop: Header=BB100_26 Depth=1
	s_or_b32 exec_lo, exec_lo, s13
	v_lshlrev_b32_e32 v53, 16, v53
	v_lshlrev_b32_e32 v52, 16, v52
	;; [unrolled: 1-line block ×3, first 2 shown]
	v_and_or_b32 v1, 0xffff, v1, v53
	v_and_or_b32 v2, 0xffff, v2, v52
	;; [unrolled: 1-line block ×3, first 2 shown]
	;;#ASMSTART
	v_pk_mul_f16 v1, v36, v1;

	;;#ASMEND
	;;#ASMSTART
	v_pk_mul_f16 v2, v35, v2;

	;;#ASMEND
	;; [unrolled: 4-line block ×4, first 2 shown]
	;;#ASMSTART
	v_pk_add_f16 v1, v1, v2;

	;;#ASMEND
	;;#ASMSTART
	v_pk_add_f16 v1, v1, v3;

	;;#ASMEND
	;; [unrolled: 4-line block ×3, first 2 shown]
	v_and_b32_e32 v2, 0xffff, v1
	v_lshrrev_b32_e32 v1, 16, v1
	;;#ASMSTART
	v_cvt_f32_f16 v52, v2;
	;;#ASMEND
	;;#ASMSTART
	v_cvt_f32_f16 v53, v1;
	;;#ASMEND
	global_load_dwordx4 v[1:4], v[7:8], off offset:1536
	s_waitcnt vmcnt(0)
	v_lshrrev_b32_e32 v51, 16, v1
	v_lshrrev_b32_e32 v8, 16, v2
	v_lshrrev_b32_e32 v7, 16, v3
	s_and_saveexec_b32 s1, s0
	s_cbranch_execz .LBB100_25
; %bb.41:                               ;   in Loop: Header=BB100_26 Depth=1
	v_cmp_gt_i32_e32 vcc_lo, s11, v32
	v_cmp_gt_i32_e64 s0, s11, v31
	v_cndmask_b32_e32 v1, 0, v1, vcc_lo
	v_cmp_gt_i32_e32 vcc_lo, s11, v34
	v_cndmask_b32_e64 v2, 0, v2, s0
	v_cmp_gt_i32_e64 s0, s11, v30
	v_and_b32_e32 v30, 0xffff0000, v4
	v_cndmask_b32_e32 v51, 0, v51, vcc_lo
	v_cmp_gt_i32_e32 vcc_lo, s11, v33
	v_cndmask_b32_e64 v8, 0, v8, s0
	v_cndmask_b32_sdwa v4, v22, v4, vcc_lo dst_sel:DWORD dst_unused:UNUSED_PAD src0_sel:DWORD src1_sel:WORD_0
	v_cmp_gt_i32_e32 vcc_lo, s11, v25
	v_cndmask_b32_e32 v30, 0, v30, vcc_lo
	v_cmp_gt_i32_e32 vcc_lo, s11, v29
	v_or_b32_e32 v4, v4, v30
	v_cndmask_b32_e32 v3, 0, v3, vcc_lo
	v_cmp_gt_i32_e32 vcc_lo, s11, v28
	v_cndmask_b32_e32 v7, 0, v7, vcc_lo
	s_branch .LBB100_25
.LBB100_42:
	s_or_b32 exec_lo, exec_lo, s4
.LBB100_43:
	s_or_b32 exec_lo, exec_lo, s2
	ds_bpermute_b32 v1, v13, v19
	ds_bpermute_b32 v2, v13, v21
	;; [unrolled: 1-line block ×8, first 2 shown]
	v_lshlrev_b32_e32 v9, 8, v9
	v_and_b32_e32 v23, 0x3c3, v0
	s_mov_b32 s0, exec_lo
	s_waitcnt lgkmcnt(0)
	s_barrier
	buffer_gl0_inv
	v_add_f32_e32 v1, v19, v1
	v_add_f32_e32 v2, v21, v2
	;; [unrolled: 1-line block ×8, first 2 shown]
	ds_bpermute_b32 v5, v12, v1
	ds_bpermute_b32 v6, v12, v2
	;; [unrolled: 1-line block ×8, first 2 shown]
	v_and_b32_e32 v7, 28, v10
	v_lshrrev_b32_e32 v12, 2, v10
	v_add_nc_u32_e32 v10, 0xa0, v7
	s_waitcnt lgkmcnt(7)
	v_add_f32_e32 v8, v1, v5
	s_waitcnt lgkmcnt(6)
	v_add_f32_e32 v7, v2, v6
	;; [unrolled: 2-line block ×8, first 2 shown]
	v_cmpx_eq_u32_e32 64, v23
	s_cbranch_execz .LBB100_45
; %bb.44:
	v_add_nc_u32_e32 v13, v10, v9
	v_add_nc_u32_e32 v14, 0xfffffe00, v13
	;; [unrolled: 1-line block ×9, first 2 shown]
	ds_write_b32 v14, v8
	ds_write_b32 v15, v7
	;; [unrolled: 1-line block ×8, first 2 shown]
.LBB100_45:
	s_or_b32 exec_lo, exec_lo, s0
	v_lshlrev_b32_e32 v12, 2, v12
	s_mov_b32 s1, exec_lo
	v_cmp_eq_u32_e32 vcc_lo, 0, v11
	s_waitcnt lgkmcnt(0)
	s_barrier
	v_add3_u32 v9, 0xa0, v9, v12
	buffer_gl0_inv
	v_cmpx_gt_u32_e32 64, v0
	s_cbranch_execz .LBB100_56
; %bb.46:
	s_and_saveexec_b32 s0, vcc_lo
	s_cbranch_execnz .LBB100_72
; %bb.47:
	s_or_b32 exec_lo, exec_lo, s0
	s_and_saveexec_b32 s0, vcc_lo
	s_cbranch_execnz .LBB100_73
.LBB100_48:
	s_or_b32 exec_lo, exec_lo, s0
	s_and_saveexec_b32 s0, vcc_lo
	s_cbranch_execnz .LBB100_74
.LBB100_49:
	s_or_b32 exec_lo, exec_lo, s0
	s_and_saveexec_b32 s0, vcc_lo
	s_cbranch_execnz .LBB100_75
.LBB100_50:
	s_or_b32 exec_lo, exec_lo, s0
	s_and_saveexec_b32 s0, vcc_lo
	s_cbranch_execnz .LBB100_76
.LBB100_51:
	s_or_b32 exec_lo, exec_lo, s0
	s_and_saveexec_b32 s0, vcc_lo
	s_cbranch_execnz .LBB100_77
.LBB100_52:
	s_or_b32 exec_lo, exec_lo, s0
	s_and_saveexec_b32 s0, vcc_lo
	s_cbranch_execnz .LBB100_78
.LBB100_53:
	s_or_b32 exec_lo, exec_lo, s0
	s_and_saveexec_b32 s0, vcc_lo
	s_cbranch_execz .LBB100_55
.LBB100_54:
	ds_read_b32 v11, v9 offset:224
	s_waitcnt lgkmcnt(0)
	v_add_f32_e32 v1, v1, v11
.LBB100_55:
	s_or_b32 exec_lo, exec_lo, s0
.LBB100_56:
	s_or_b32 exec_lo, exec_lo, s1
	v_and_b32_e32 v11, 0x3e3, v0
	s_mov_b32 s1, exec_lo
	s_barrier
	buffer_gl0_inv
	v_cmpx_eq_u32_e32 32, v11
	s_cbranch_execz .LBB100_58
; %bb.57:
	ds_write2_b32 v10, v8, v7 offset1:8
	ds_write2_b32 v10, v6, v5 offset0:16 offset1:24
	ds_write2_b32 v10, v4, v3 offset0:32 offset1:40
	;; [unrolled: 1-line block ×3, first 2 shown]
.LBB100_58:
	s_or_b32 exec_lo, exec_lo, s1
	s_mov_b32 s1, exec_lo
	s_waitcnt lgkmcnt(0)
	s_barrier
	buffer_gl0_inv
	v_cmpx_gt_u32_e32 32, v0
	s_cbranch_execz .LBB100_69
; %bb.59:
	s_and_saveexec_b32 s0, vcc_lo
	s_cbranch_execnz .LBB100_79
; %bb.60:
	s_or_b32 exec_lo, exec_lo, s0
	s_and_saveexec_b32 s0, vcc_lo
	s_cbranch_execnz .LBB100_80
.LBB100_61:
	s_or_b32 exec_lo, exec_lo, s0
	s_and_saveexec_b32 s0, vcc_lo
	s_cbranch_execnz .LBB100_81
.LBB100_62:
	s_or_b32 exec_lo, exec_lo, s0
	s_and_saveexec_b32 s0, vcc_lo
	s_cbranch_execnz .LBB100_82
.LBB100_63:
	s_or_b32 exec_lo, exec_lo, s0
	s_and_saveexec_b32 s0, vcc_lo
	s_cbranch_execnz .LBB100_83
.LBB100_64:
	s_or_b32 exec_lo, exec_lo, s0
	s_and_saveexec_b32 s0, vcc_lo
	s_cbranch_execnz .LBB100_84
.LBB100_65:
	s_or_b32 exec_lo, exec_lo, s0
	s_and_saveexec_b32 s0, vcc_lo
	s_cbranch_execnz .LBB100_85
.LBB100_66:
	s_or_b32 exec_lo, exec_lo, s0
	s_and_saveexec_b32 s0, vcc_lo
	s_cbranch_execz .LBB100_68
.LBB100_67:
	ds_read_b32 v9, v9 offset:224
	s_waitcnt lgkmcnt(0)
	v_add_f32_e32 v1, v1, v9
.LBB100_68:
	s_or_b32 exec_lo, exec_lo, s0
.LBB100_69:
	s_or_b32 exec_lo, exec_lo, s1
	s_barrier
	buffer_gl0_inv
	s_mov_b32 s0, exec_lo
	v_cmpx_eq_u32_e32 0, v11
	s_cbranch_execz .LBB100_71
; %bb.70:
	s_mul_i32 s0, s10, s7
	s_mul_i32 s2, s7, s6
	;; [unrolled: 1-line block ×3, first 2 shown]
	v_lshrrev_b32_e32 v0, 1, v0
	s_lshl_b32 s0, s0, 6
	;;#ASMSTART
	v_cvt_f16_f32 v8, v8;

	;;#ASMEND
	s_ashr_i32 s1, s0, 31
	s_lshl_b64 s[0:1], s[0:1], 1
	s_add_u32 s4, s16, s0
	s_addc_u32 s5, s17, s1
	s_ashr_i32 s3, s2, 31
	s_lshl_b64 s[0:1], s[2:3], 1
	s_add_u32 s2, s4, s0
	s_addc_u32 s3, s5, s1
	s_lshl_b32 s0, s8, 6
	s_ashr_i32 s1, s0, 31
	s_lshl_b64 s[0:1], s[0:1], 1
	s_add_u32 s0, s2, s0
	s_addc_u32 s1, s3, s1
	global_store_short v0, v8, s[0:1]
	;;#ASMSTART
	v_cvt_f16_f32 v7, v7;

	;;#ASMEND
	global_store_short v0, v7, s[0:1] offset:16
	;;#ASMSTART
	v_cvt_f16_f32 v6, v6;

	;;#ASMEND
	global_store_short v0, v6, s[0:1] offset:32
	;;#ASMSTART
	v_cvt_f16_f32 v5, v5;

	;;#ASMEND
	global_store_short v0, v5, s[0:1] offset:48
	;;#ASMSTART
	v_cvt_f16_f32 v4, v4;

	;;#ASMEND
	global_store_short v0, v4, s[0:1] offset:64
	;;#ASMSTART
	v_cvt_f16_f32 v3, v3;

	;;#ASMEND
	global_store_short v0, v3, s[0:1] offset:80
	;;#ASMSTART
	v_cvt_f16_f32 v2, v2;

	;;#ASMEND
	global_store_short v0, v2, s[0:1] offset:96
	;;#ASMSTART
	v_cvt_f16_f32 v1, v1;

	;;#ASMEND
	global_store_short v0, v1, s[0:1] offset:112
.LBB100_71:
	s_endpgm
.LBB100_72:
	ds_read_b32 v11, v9
	s_waitcnt lgkmcnt(0)
	v_add_f32_e32 v8, v8, v11
	s_or_b32 exec_lo, exec_lo, s0
	s_and_saveexec_b32 s0, vcc_lo
	s_cbranch_execz .LBB100_48
.LBB100_73:
	ds_read_b32 v11, v9 offset:32
	s_waitcnt lgkmcnt(0)
	v_add_f32_e32 v7, v7, v11
	s_or_b32 exec_lo, exec_lo, s0
	s_and_saveexec_b32 s0, vcc_lo
	s_cbranch_execz .LBB100_49
.LBB100_74:
	ds_read_b32 v11, v9 offset:64
	s_waitcnt lgkmcnt(0)
	v_add_f32_e32 v6, v6, v11
	s_or_b32 exec_lo, exec_lo, s0
	s_and_saveexec_b32 s0, vcc_lo
	s_cbranch_execz .LBB100_50
.LBB100_75:
	ds_read_b32 v11, v9 offset:96
	s_waitcnt lgkmcnt(0)
	v_add_f32_e32 v5, v5, v11
	s_or_b32 exec_lo, exec_lo, s0
	s_and_saveexec_b32 s0, vcc_lo
	s_cbranch_execz .LBB100_51
.LBB100_76:
	ds_read_b32 v11, v9 offset:128
	s_waitcnt lgkmcnt(0)
	v_add_f32_e32 v4, v4, v11
	s_or_b32 exec_lo, exec_lo, s0
	s_and_saveexec_b32 s0, vcc_lo
	s_cbranch_execz .LBB100_52
.LBB100_77:
	ds_read_b32 v11, v9 offset:160
	s_waitcnt lgkmcnt(0)
	v_add_f32_e32 v3, v3, v11
	s_or_b32 exec_lo, exec_lo, s0
	s_and_saveexec_b32 s0, vcc_lo
	s_cbranch_execz .LBB100_53
.LBB100_78:
	ds_read_b32 v11, v9 offset:192
	s_waitcnt lgkmcnt(0)
	v_add_f32_e32 v2, v2, v11
	s_or_b32 exec_lo, exec_lo, s0
	s_and_saveexec_b32 s0, vcc_lo
	s_cbranch_execnz .LBB100_54
	s_branch .LBB100_55
.LBB100_79:
	ds_read_b32 v10, v9
	s_waitcnt lgkmcnt(0)
	v_add_f32_e32 v8, v8, v10
	s_or_b32 exec_lo, exec_lo, s0
	s_and_saveexec_b32 s0, vcc_lo
	s_cbranch_execz .LBB100_61
.LBB100_80:
	ds_read_b32 v10, v9 offset:32
	s_waitcnt lgkmcnt(0)
	v_add_f32_e32 v7, v7, v10
	s_or_b32 exec_lo, exec_lo, s0
	s_and_saveexec_b32 s0, vcc_lo
	s_cbranch_execz .LBB100_62
.LBB100_81:
	ds_read_b32 v10, v9 offset:64
	s_waitcnt lgkmcnt(0)
	v_add_f32_e32 v6, v6, v10
	s_or_b32 exec_lo, exec_lo, s0
	s_and_saveexec_b32 s0, vcc_lo
	s_cbranch_execz .LBB100_63
.LBB100_82:
	ds_read_b32 v10, v9 offset:96
	s_waitcnt lgkmcnt(0)
	v_add_f32_e32 v5, v5, v10
	s_or_b32 exec_lo, exec_lo, s0
	s_and_saveexec_b32 s0, vcc_lo
	s_cbranch_execz .LBB100_64
.LBB100_83:
	ds_read_b32 v10, v9 offset:128
	s_waitcnt lgkmcnt(0)
	v_add_f32_e32 v4, v4, v10
	s_or_b32 exec_lo, exec_lo, s0
	s_and_saveexec_b32 s0, vcc_lo
	s_cbranch_execz .LBB100_65
.LBB100_84:
	ds_read_b32 v10, v9 offset:160
	s_waitcnt lgkmcnt(0)
	v_add_f32_e32 v3, v3, v10
	s_or_b32 exec_lo, exec_lo, s0
	s_and_saveexec_b32 s0, vcc_lo
	s_cbranch_execz .LBB100_66
.LBB100_85:
	ds_read_b32 v10, v9 offset:192
	s_waitcnt lgkmcnt(0)
	v_add_f32_e32 v2, v2, v10
	s_or_b32 exec_lo, exec_lo, s0
	s_and_saveexec_b32 s0, vcc_lo
	s_cbranch_execnz .LBB100_67
	s_branch .LBB100_68
	.section	.rodata,"a",@progbits
	.p2align	6, 0x0
	.amdhsa_kernel _ZN4vllm25paged_attention_v1_kernelIttLi64ELi32ELi128ELNS_18Fp8KVCacheDataTypeE0ELb0EEEvPT_PKS2_PKT0_S8_ifPKiSA_iPKfiiiSC_SC_iiiii
		.amdhsa_group_segment_fixed_size 160
		.amdhsa_private_segment_fixed_size 0
		.amdhsa_kernarg_size 384
		.amdhsa_user_sgpr_count 6
		.amdhsa_user_sgpr_private_segment_buffer 1
		.amdhsa_user_sgpr_dispatch_ptr 0
		.amdhsa_user_sgpr_queue_ptr 0
		.amdhsa_user_sgpr_kernarg_segment_ptr 1
		.amdhsa_user_sgpr_dispatch_id 0
		.amdhsa_user_sgpr_flat_scratch_init 0
		.amdhsa_user_sgpr_private_segment_size 0
		.amdhsa_wavefront_size32 1
		.amdhsa_uses_dynamic_stack 0
		.amdhsa_system_sgpr_private_segment_wavefront_offset 0
		.amdhsa_system_sgpr_workgroup_id_x 1
		.amdhsa_system_sgpr_workgroup_id_y 1
		.amdhsa_system_sgpr_workgroup_id_z 1
		.amdhsa_system_sgpr_workgroup_info 0
		.amdhsa_system_vgpr_workitem_id 0
		.amdhsa_next_free_vgpr 109
		.amdhsa_next_free_sgpr 28
		.amdhsa_reserve_vcc 1
		.amdhsa_reserve_flat_scratch 0
		.amdhsa_float_round_mode_32 0
		.amdhsa_float_round_mode_16_64 0
		.amdhsa_float_denorm_mode_32 3
		.amdhsa_float_denorm_mode_16_64 3
		.amdhsa_dx10_clamp 1
		.amdhsa_ieee_mode 1
		.amdhsa_fp16_overflow 0
		.amdhsa_workgroup_processor_mode 1
		.amdhsa_memory_ordered 1
		.amdhsa_forward_progress 1
		.amdhsa_shared_vgpr_count 0
		.amdhsa_exception_fp_ieee_invalid_op 0
		.amdhsa_exception_fp_denorm_src 0
		.amdhsa_exception_fp_ieee_div_zero 0
		.amdhsa_exception_fp_ieee_overflow 0
		.amdhsa_exception_fp_ieee_underflow 0
		.amdhsa_exception_fp_ieee_inexact 0
		.amdhsa_exception_int_div_zero 0
	.end_amdhsa_kernel
	.section	.text._ZN4vllm25paged_attention_v1_kernelIttLi64ELi32ELi128ELNS_18Fp8KVCacheDataTypeE0ELb0EEEvPT_PKS2_PKT0_S8_ifPKiSA_iPKfiiiSC_SC_iiiii,"axG",@progbits,_ZN4vllm25paged_attention_v1_kernelIttLi64ELi32ELi128ELNS_18Fp8KVCacheDataTypeE0ELb0EEEvPT_PKS2_PKT0_S8_ifPKiSA_iPKfiiiSC_SC_iiiii,comdat
.Lfunc_end100:
	.size	_ZN4vllm25paged_attention_v1_kernelIttLi64ELi32ELi128ELNS_18Fp8KVCacheDataTypeE0ELb0EEEvPT_PKS2_PKT0_S8_ifPKiSA_iPKfiiiSC_SC_iiiii, .Lfunc_end100-_ZN4vllm25paged_attention_v1_kernelIttLi64ELi32ELi128ELNS_18Fp8KVCacheDataTypeE0ELb0EEEvPT_PKS2_PKT0_S8_ifPKiSA_iPKfiiiSC_SC_iiiii
                                        ; -- End function
	.set _ZN4vllm25paged_attention_v1_kernelIttLi64ELi32ELi128ELNS_18Fp8KVCacheDataTypeE0ELb0EEEvPT_PKS2_PKT0_S8_ifPKiSA_iPKfiiiSC_SC_iiiii.num_vgpr, 109
	.set _ZN4vllm25paged_attention_v1_kernelIttLi64ELi32ELi128ELNS_18Fp8KVCacheDataTypeE0ELb0EEEvPT_PKS2_PKT0_S8_ifPKiSA_iPKfiiiSC_SC_iiiii.num_agpr, 0
	.set _ZN4vllm25paged_attention_v1_kernelIttLi64ELi32ELi128ELNS_18Fp8KVCacheDataTypeE0ELb0EEEvPT_PKS2_PKT0_S8_ifPKiSA_iPKfiiiSC_SC_iiiii.numbered_sgpr, 28
	.set _ZN4vllm25paged_attention_v1_kernelIttLi64ELi32ELi128ELNS_18Fp8KVCacheDataTypeE0ELb0EEEvPT_PKS2_PKT0_S8_ifPKiSA_iPKfiiiSC_SC_iiiii.num_named_barrier, 0
	.set _ZN4vllm25paged_attention_v1_kernelIttLi64ELi32ELi128ELNS_18Fp8KVCacheDataTypeE0ELb0EEEvPT_PKS2_PKT0_S8_ifPKiSA_iPKfiiiSC_SC_iiiii.private_seg_size, 0
	.set _ZN4vllm25paged_attention_v1_kernelIttLi64ELi32ELi128ELNS_18Fp8KVCacheDataTypeE0ELb0EEEvPT_PKS2_PKT0_S8_ifPKiSA_iPKfiiiSC_SC_iiiii.uses_vcc, 1
	.set _ZN4vllm25paged_attention_v1_kernelIttLi64ELi32ELi128ELNS_18Fp8KVCacheDataTypeE0ELb0EEEvPT_PKS2_PKT0_S8_ifPKiSA_iPKfiiiSC_SC_iiiii.uses_flat_scratch, 0
	.set _ZN4vllm25paged_attention_v1_kernelIttLi64ELi32ELi128ELNS_18Fp8KVCacheDataTypeE0ELb0EEEvPT_PKS2_PKT0_S8_ifPKiSA_iPKfiiiSC_SC_iiiii.has_dyn_sized_stack, 0
	.set _ZN4vllm25paged_attention_v1_kernelIttLi64ELi32ELi128ELNS_18Fp8KVCacheDataTypeE0ELb0EEEvPT_PKS2_PKT0_S8_ifPKiSA_iPKfiiiSC_SC_iiiii.has_recursion, 0
	.set _ZN4vllm25paged_attention_v1_kernelIttLi64ELi32ELi128ELNS_18Fp8KVCacheDataTypeE0ELb0EEEvPT_PKS2_PKT0_S8_ifPKiSA_iPKfiiiSC_SC_iiiii.has_indirect_call, 0
	.section	.AMDGPU.csdata,"",@progbits
; Kernel info:
; codeLenInByte = 10740
; TotalNumSgprs: 30
; NumVgprs: 109
; ScratchSize: 0
; MemoryBound: 0
; FloatMode: 240
; IeeeMode: 1
; LDSByteSize: 160 bytes/workgroup (compile time only)
; SGPRBlocks: 0
; VGPRBlocks: 13
; NumSGPRsForWavesPerEU: 30
; NumVGPRsForWavesPerEU: 109
; Occupancy: 9
; WaveLimiterHint : 1
; COMPUTE_PGM_RSRC2:SCRATCH_EN: 0
; COMPUTE_PGM_RSRC2:USER_SGPR: 6
; COMPUTE_PGM_RSRC2:TRAP_HANDLER: 0
; COMPUTE_PGM_RSRC2:TGID_X_EN: 1
; COMPUTE_PGM_RSRC2:TGID_Y_EN: 1
; COMPUTE_PGM_RSRC2:TGID_Z_EN: 1
; COMPUTE_PGM_RSRC2:TIDIG_COMP_CNT: 0
	.section	.text._ZN4vllm25paged_attention_v1_kernelIttLi80ELi32ELi128ELNS_18Fp8KVCacheDataTypeE0ELb0EEEvPT_PKS2_PKT0_S8_ifPKiSA_iPKfiiiSC_SC_iiiii,"axG",@progbits,_ZN4vllm25paged_attention_v1_kernelIttLi80ELi32ELi128ELNS_18Fp8KVCacheDataTypeE0ELb0EEEvPT_PKS2_PKT0_S8_ifPKiSA_iPKfiiiSC_SC_iiiii,comdat
	.protected	_ZN4vllm25paged_attention_v1_kernelIttLi80ELi32ELi128ELNS_18Fp8KVCacheDataTypeE0ELb0EEEvPT_PKS2_PKT0_S8_ifPKiSA_iPKfiiiSC_SC_iiiii ; -- Begin function _ZN4vllm25paged_attention_v1_kernelIttLi80ELi32ELi128ELNS_18Fp8KVCacheDataTypeE0ELb0EEEvPT_PKS2_PKT0_S8_ifPKiSA_iPKfiiiSC_SC_iiiii
	.globl	_ZN4vllm25paged_attention_v1_kernelIttLi80ELi32ELi128ELNS_18Fp8KVCacheDataTypeE0ELb0EEEvPT_PKS2_PKT0_S8_ifPKiSA_iPKfiiiSC_SC_iiiii
	.p2align	8
	.type	_ZN4vllm25paged_attention_v1_kernelIttLi80ELi32ELi128ELNS_18Fp8KVCacheDataTypeE0ELb0EEEvPT_PKS2_PKT0_S8_ifPKiSA_iPKfiiiSC_SC_iiiii,@function
_ZN4vllm25paged_attention_v1_kernelIttLi80ELi32ELi128ELNS_18Fp8KVCacheDataTypeE0ELb0EEEvPT_PKS2_PKT0_S8_ifPKiSA_iPKfiiiSC_SC_iiiii: ; @_ZN4vllm25paged_attention_v1_kernelIttLi80ELi32ELi128ELNS_18Fp8KVCacheDataTypeE0ELb0EEEvPT_PKS2_PKT0_S8_ifPKiSA_iPKfiiiSC_SC_iiiii
; %bb.0:
	s_clause 0x2
	s_load_dword s9, s[4:5], 0x80
	s_load_dwordx2 s[0:1], s[4:5], 0x30
	s_load_dwordx2 s[2:3], s[4:5], 0x20
	s_mov_b32 s10, s7
	s_ashr_i32 s11, s7, 31
	s_mov_b32 s24, 0
	s_lshl_b64 s[12:13], s[10:11], 2
	s_waitcnt lgkmcnt(0)
	s_add_u32 s0, s0, s12
	s_addc_u32 s1, s1, s13
	s_abs_i32 s7, s2
	s_abs_i32 s13, s9
	v_cvt_f32_u32_e32 v1, s7
	s_sub_i32 s12, 0, s7
	s_xor_b32 s2, s9, s2
	s_ashr_i32 s2, s2, 31
	v_rcp_iflag_f32_e32 v1, v1
	v_mul_f32_e32 v1, 0x4f7ffffe, v1
	v_cvt_u32_f32_e32 v1, v1
	v_readfirstlane_b32 s11, v1
	s_mul_i32 s12, s12, s11
	s_mul_hi_u32 s12, s11, s12
	s_add_i32 s11, s11, s12
	s_mul_hi_u32 s11, s13, s11
	s_mul_i32 s12, s11, s7
	s_sub_i32 s12, s13, s12
	s_add_i32 s13, s11, 1
	s_sub_i32 s14, s12, s7
	s_cmp_ge_u32 s12, s7
	s_cselect_b32 s11, s13, s11
	s_cselect_b32 s12, s14, s12
	s_add_i32 s13, s11, 1
	s_cmp_ge_u32 s12, s7
	s_cselect_b32 s7, s13, s11
	s_load_dwordx2 s[12:13], s[4:5], 0x40
	s_xor_b32 s7, s7, s2
	s_abs_i32 s16, s6
	s_sub_i32 s17, s7, s2
	s_abs_i32 s2, s17
	v_cvt_f32_u32_e32 v1, s2
	s_sub_i32 s11, 0, s2
	v_rcp_iflag_f32_e32 v1, v1
	v_mul_f32_e32 v1, 0x4f7ffffe, v1
	v_cvt_u32_f32_e32 v1, v1
	v_readfirstlane_b32 s7, v1
	s_mul_i32 s11, s11, s7
	s_mul_hi_u32 s11, s7, s11
	s_add_i32 s7, s7, s11
	s_waitcnt lgkmcnt(0)
	s_cmp_eq_u64 s[12:13], 0
	s_mul_hi_u32 s20, s16, s7
	s_cbranch_scc1 .LBB101_2
; %bb.1:
	s_ashr_i32 s7, s6, 31
	s_lshl_b64 s[14:15], s[6:7], 2
	s_add_u32 s12, s12, s14
	s_addc_u32 s13, s13, s15
	s_load_dword s24, s[12:13], 0x0
.LBB101_2:
	s_load_dword s11, s[0:1], 0x0
	s_clause 0x1
	s_load_dwordx2 s[18:19], s[4:5], 0x28
	s_load_dwordx4 s[12:15], s[4:5], 0x48
	v_lshlrev_b32_e32 v41, 4, v0
	s_ashr_i32 s0, s6, 31
	s_ashr_i32 s1, s17, 31
	s_mulk_i32 s6, 0x50
	s_waitcnt lgkmcnt(0)
	s_mov_b32 s15, exec_lo
	v_cmpx_gt_u32_e32 10, v0
	s_cbranch_execz .LBB101_4
; %bb.3:
	s_load_dwordx2 s[22:23], s[4:5], 0x8
	s_mul_i32 s26, s12, s10
	s_ashr_i32 s27, s26, 31
	s_lshl_b64 s[26:27], s[26:27], 1
	s_waitcnt lgkmcnt(0)
	s_add_u32 s12, s22, s26
	s_addc_u32 s17, s23, s27
	s_ashr_i32 s7, s6, 31
	s_lshl_b64 s[22:23], s[6:7], 1
	s_add_u32 s22, s12, s22
	s_addc_u32 s23, s17, s23
	global_load_dwordx4 v[1:4], v41, s[22:23]
	s_waitcnt vmcnt(0)
	ds_write_b128 v41, v[1:4]
.LBB101_4:
	s_or_b32 exec_lo, exec_lo, s15
	s_add_i32 s7, s11, 31
	s_xor_b32 s0, s0, s1
	s_ashr_i32 s12, s7, 31
	s_load_dword s15, s[4:5], 0x38
	s_lshr_b32 s1, s12, 27
	s_mul_i32 s12, s20, s2
	s_add_i32 s7, s7, s1
	s_sub_i32 s1, s16, s12
	s_ashr_i32 s12, s7, 5
	s_clause 0x2
	s_load_dwordx2 s[16:17], s[4:5], 0x0
	s_load_dwordx2 s[22:23], s[4:5], 0x18
	s_load_dword s7, s[4:5], 0x88
	s_add_i32 s21, s20, 1
	s_sub_i32 s25, s1, s2
	s_cmp_ge_u32 s1, s2
	v_lshrrev_b32_e32 v39, 5, v0
	s_cselect_b32 s20, s21, s20
	s_cselect_b32 s1, s25, s1
	s_add_i32 s21, s20, 1
	s_cmp_ge_u32 s1, s2
	v_and_b32_e32 v40, 31, v0
	s_cselect_b32 s1, s21, s20
	v_mov_b32_e32 v44, 0xff7fffff
	s_xor_b32 s1, s1, s0
	v_lshrrev_b32_e32 v42, 3, v0
	s_sub_i32 s1, s1, s0
	v_cmp_gt_i32_e64 s0, s12, v39
	v_lshlrev_b32_e32 v43, 2, v40
	s_waitcnt lgkmcnt(0)
	s_mul_i32 s20, s15, s10
	s_mul_i32 s14, s1, s14
	s_ashr_i32 s21, s20, 31
	s_barrier
	buffer_gl0_inv
	s_and_saveexec_b32 s25, s0
	s_cbranch_execz .LBB101_8
; %bb.5:
	s_load_dwordx2 s[4:5], s[4:5], 0x10
	s_ashr_i32 s15, s14, 31
	v_lshlrev_b32_e32 v1, 4, v40
	s_lshl_b64 s[26:27], s[14:15], 1
	v_and_b32_e32 v3, 0x7c, v42
	v_lshl_or_b32 v2, v39, 7, v43
	v_mov_b32_e32 v45, 0
	v_cmp_neq_f32_e64 vcc_lo, s24, 0
	v_lshl_or_b32 v46, v39, 5, v40
	v_mov_b32_e32 v44, 0xff7fffff
	v_add_nc_u32_e32 v47, 0xc0, v2
	v_mov_b32_e32 v50, v39
	s_mov_b32 s15, s13
	s_waitcnt lgkmcnt(0)
	s_add_u32 s1, s4, s26
	s_addc_u32 s2, s5, s27
	s_lshl_b64 s[26:27], s[20:21], 2
	v_add_co_u32 v48, s1, s1, v1
	s_sub_i32 s4, 1, s11
	v_add_co_ci_u32_e64 v49, null, s2, 0, s1
	s_add_u32 s1, s18, s26
	s_addc_u32 s2, s19, s27
	v_add_co_u32 v37, s1, s1, v3
	v_add_co_ci_u32_e64 v38, null, s2, 0, s1
	s_mov_b32 s5, 0
.LBB101_6:                              ; =>This Inner Loop Header: Depth=1
	global_load_dword v1, v[37:38], off
	v_add_nc_u32_e32 v3, s4, v46
	v_add_nc_u32_e32 v50, 4, v50
	v_cvt_f32_i32_e32 v3, v3
	v_mul_f32_e32 v51, s24, v3
	v_cndmask_b32_e32 v51, 0, v51, vcc_lo
	s_waitcnt vmcnt(0)
	v_mad_i64_i32 v[1:2], null, v1, s15, 0
	v_lshlrev_b64 v[1:2], 1, v[1:2]
	v_add_co_u32 v1, s1, v48, v1
	v_add_co_ci_u32_e64 v2, null, v49, v2, s1
	v_cmp_gt_i32_e64 s1, s11, v46
	v_add_co_u32 v3, s2, 0x800, v1
	s_clause 0x3
	global_load_dwordx4 v[52:55], v[1:2], off
	global_load_dwordx4 v[33:36], v[1:2], off offset:512
	global_load_dwordx4 v[29:32], v[1:2], off offset:1024
	;; [unrolled: 1-line block ×3, first 2 shown]
	v_add_co_ci_u32_e64 v4, null, 0, v2, s2
	v_add_co_u32 v5, s2, v1, 0x1000
	v_add_co_ci_u32_e64 v6, null, 0, v2, s2
	s_clause 0x3
	global_load_dwordx4 v[21:24], v[5:6], off offset:-2048
	global_load_dwordx4 v[17:20], v[3:4], off offset:512
	global_load_dwordx4 v[13:16], v[3:4], off offset:1024
	;; [unrolled: 1-line block ×3, first 2 shown]
	v_add_co_u32 v1, s2, 0x1000, v1
	v_add_co_ci_u32_e64 v2, null, 0, v2, s2
	s_clause 0x1
	global_load_dwordx4 v[5:8], v[5:6], off
	global_load_dwordx4 v[1:4], v[1:2], off offset:512
	ds_read_b128 v[56:59], v45
	v_add_nc_u32_e32 v46, 0x80, v46
	s_waitcnt lgkmcnt(0)
	v_lshrrev_b32_e32 v60, 16, v56
	v_and_b32_e32 v56, 0xffff, v56
	;;#ASMSTART
	v_cvt_f32_f16 v56, v56;
	;;#ASMEND
	;;#ASMSTART
	v_cvt_f32_f16 v60, v60;
	;;#ASMEND
	s_waitcnt vmcnt(9)
	v_lshrrev_b32_e32 v62, 16, v52
	v_and_b32_e32 v52, 0xffff, v52
	;;#ASMSTART
	v_cvt_f32_f16 v61, v52;
	;;#ASMEND
	v_lshrrev_b32_e32 v52, 16, v57
	v_and_b32_e32 v57, 0xffff, v57
	;;#ASMSTART
	v_cvt_f32_f16 v62, v62;
	;;#ASMEND
	;;#ASMSTART
	v_cvt_f32_f16 v57, v57;
	;;#ASMEND
	;; [unrolled: 3-line block ×3, first 2 shown]
	v_lshrrev_b32_e32 v52, 16, v53
	v_and_b32_e32 v53, 0xffff, v53
	;;#ASMSTART
	v_cvt_f32_f16 v64, v53;
	;;#ASMEND
	;;#ASMSTART
	v_cvt_f32_f16 v65, v52;
	;;#ASMEND
	v_lshrrev_b32_e32 v52, 16, v58
	v_and_b32_e32 v53, 0xffff, v58
	;;#ASMSTART
	v_cvt_f32_f16 v58, v53;
	;;#ASMEND
	;;#ASMSTART
	v_cvt_f32_f16 v66, v52;
	;;#ASMEND
	;; [unrolled: 8-line block ×5, first 2 shown]
	ds_read_b128 v[52:55], v45 offset:16
	s_waitcnt vmcnt(8)
	v_lshrrev_b32_e32 v73, 16, v33
	v_and_b32_e32 v33, 0xffff, v33
	s_waitcnt lgkmcnt(0)
	v_lshrrev_b32_e32 v72, 16, v52
	v_and_b32_e32 v52, 0xffff, v52
	;;#ASMSTART
	v_cvt_f32_f16 v52, v52;
	;;#ASMEND
	;;#ASMSTART
	v_cvt_f32_f16 v72, v72;
	;;#ASMEND
	;; [unrolled: 3-line block ×4, first 2 shown]
	v_mul_f32_e32 v33, v52, v33
	v_mul_f32_e32 v52, v72, v73
	v_fmac_f32_e32 v33, v56, v61
	v_fmac_f32_e32 v52, v60, v62
	v_lshrrev_b32_e32 v56, 16, v53
	v_and_b32_e32 v53, 0xffff, v53
	v_lshrrev_b32_e32 v60, 16, v34
	v_and_b32_e32 v34, 0xffff, v34
	;;#ASMSTART
	v_cvt_f32_f16 v53, v53;
	;;#ASMEND
	;;#ASMSTART
	v_cvt_f32_f16 v56, v56;
	;;#ASMEND
	;; [unrolled: 3-line block ×3, first 2 shown]
	v_mul_f32_e32 v34, v53, v34
	;;#ASMSTART
	v_cvt_f32_f16 v60, v60;
	;;#ASMEND
	v_mul_f32_e32 v53, v56, v60
	v_lshrrev_b32_e32 v56, 16, v54
	v_and_b32_e32 v54, 0xffff, v54
	v_fmac_f32_e32 v34, v57, v64
	v_lshrrev_b32_e32 v57, 16, v35
	v_and_b32_e32 v35, 0xffff, v35
	;;#ASMSTART
	v_cvt_f32_f16 v54, v54;
	;;#ASMEND
	;;#ASMSTART
	v_cvt_f32_f16 v56, v56;
	;;#ASMEND
	;; [unrolled: 3-line block ×4, first 2 shown]
	v_mul_f32_e32 v35, v54, v35
	v_mul_f32_e32 v54, v56, v57
	v_lshrrev_b32_e32 v56, 16, v55
	v_and_b32_e32 v55, 0xffff, v55
	v_lshrrev_b32_e32 v57, 16, v36
	v_and_b32_e32 v36, 0xffff, v36
	;;#ASMSTART
	v_cvt_f32_f16 v55, v55;
	;;#ASMEND
	;;#ASMSTART
	v_cvt_f32_f16 v56, v56;
	;;#ASMEND
	;; [unrolled: 3-line block ×3, first 2 shown]
	v_mul_f32_e32 v36, v55, v36
	;;#ASMSTART
	v_cvt_f32_f16 v57, v57;
	;;#ASMEND
	v_fmac_f32_e32 v35, v58, v67
	v_mul_f32_e32 v55, v56, v57
	v_fmac_f32_e32 v53, v63, v65
	v_fmac_f32_e32 v36, v59, v70
	ds_read_b128 v[56:59], v45 offset:32
	s_waitcnt vmcnt(7)
	v_lshrrev_b32_e32 v61, 16, v29
	v_and_b32_e32 v29, 0xffff, v29
	v_fmac_f32_e32 v54, v66, v68
	v_fmac_f32_e32 v55, v69, v71
	s_waitcnt lgkmcnt(0)
	v_lshrrev_b32_e32 v60, 16, v56
	v_and_b32_e32 v56, 0xffff, v56
	;;#ASMSTART
	v_cvt_f32_f16 v56, v56;
	;;#ASMEND
	;;#ASMSTART
	v_cvt_f32_f16 v60, v60;
	;;#ASMEND
	;; [unrolled: 3-line block ×3, first 2 shown]
	v_fmac_f32_e32 v33, v56, v29
	v_lshrrev_b32_e32 v56, 16, v57
	v_and_b32_e32 v29, 0xffff, v57
	v_lshrrev_b32_e32 v57, 16, v30
	v_and_b32_e32 v30, 0xffff, v30
	;;#ASMSTART
	v_cvt_f32_f16 v61, v61;
	;;#ASMEND
	;;#ASMSTART
	v_cvt_f32_f16 v29, v29;
	;;#ASMEND
	;; [unrolled: 3-line block ×5, first 2 shown]
	v_fmac_f32_e32 v34, v29, v30
	v_fmac_f32_e32 v53, v56, v57
	v_lshrrev_b32_e32 v30, 16, v58
	v_and_b32_e32 v29, 0xffff, v58
	v_lshrrev_b32_e32 v56, 16, v31
	v_and_b32_e32 v31, 0xffff, v31
	;;#ASMSTART
	v_cvt_f32_f16 v29, v29;
	;;#ASMEND
	;;#ASMSTART
	v_cvt_f32_f16 v30, v30;
	;;#ASMEND
	;;#ASMSTART
	v_cvt_f32_f16 v31, v31;
	;;#ASMEND
	;;#ASMSTART
	v_cvt_f32_f16 v56, v56;
	;;#ASMEND
	v_fmac_f32_e32 v35, v29, v31
	v_fmac_f32_e32 v54, v30, v56
	v_lshrrev_b32_e32 v30, 16, v59
	v_and_b32_e32 v29, 0xffff, v59
	v_and_b32_e32 v31, 0xffff, v32
	;;#ASMSTART
	v_cvt_f32_f16 v29, v29;
	;;#ASMEND
	;;#ASMSTART
	v_cvt_f32_f16 v30, v30;
	;;#ASMEND
	v_lshrrev_b32_e32 v56, 16, v32
	;;#ASMSTART
	v_cvt_f32_f16 v31, v31;
	;;#ASMEND
	;;#ASMSTART
	v_cvt_f32_f16 v32, v56;
	;;#ASMEND
	v_fmac_f32_e32 v36, v29, v31
	v_fmac_f32_e32 v55, v30, v32
	ds_read_b128 v[29:32], v45 offset:48
	s_waitcnt vmcnt(6)
	v_lshrrev_b32_e32 v57, 16, v25
	v_and_b32_e32 v25, 0xffff, v25
	v_fmac_f32_e32 v52, v60, v61
	s_waitcnt lgkmcnt(0)
	v_lshrrev_b32_e32 v56, 16, v29
	v_and_b32_e32 v29, 0xffff, v29
	;;#ASMSTART
	v_cvt_f32_f16 v29, v29;
	;;#ASMEND
	;;#ASMSTART
	v_cvt_f32_f16 v56, v56;
	;;#ASMEND
	;; [unrolled: 3-line block ×3, first 2 shown]
	v_fmac_f32_e32 v33, v29, v25
	v_lshrrev_b32_e32 v29, 16, v30
	v_and_b32_e32 v25, 0xffff, v30
	v_lshrrev_b32_e32 v30, 16, v26
	v_and_b32_e32 v26, 0xffff, v26
	;;#ASMSTART
	v_cvt_f32_f16 v57, v57;
	;;#ASMEND
	;;#ASMSTART
	v_cvt_f32_f16 v25, v25;
	;;#ASMEND
	;; [unrolled: 3-line block ×5, first 2 shown]
	v_fmac_f32_e32 v34, v25, v26
	v_fmac_f32_e32 v53, v29, v30
	v_lshrrev_b32_e32 v26, 16, v31
	v_and_b32_e32 v25, 0xffff, v31
	v_lshrrev_b32_e32 v29, 16, v27
	v_and_b32_e32 v27, 0xffff, v27
	;;#ASMSTART
	v_cvt_f32_f16 v25, v25;
	;;#ASMEND
	;;#ASMSTART
	v_cvt_f32_f16 v26, v26;
	;;#ASMEND
	;; [unrolled: 3-line block ×4, first 2 shown]
	v_fmac_f32_e32 v35, v25, v27
	v_fmac_f32_e32 v54, v26, v29
	v_lshrrev_b32_e32 v26, 16, v32
	v_and_b32_e32 v25, 0xffff, v32
	v_and_b32_e32 v27, 0xffff, v28
	;;#ASMSTART
	v_cvt_f32_f16 v25, v25;
	;;#ASMEND
	;;#ASMSTART
	v_cvt_f32_f16 v26, v26;
	;;#ASMEND
	v_lshrrev_b32_e32 v29, 16, v28
	;;#ASMSTART
	v_cvt_f32_f16 v27, v27;
	;;#ASMEND
	;;#ASMSTART
	v_cvt_f32_f16 v28, v29;
	;;#ASMEND
	v_fmac_f32_e32 v36, v25, v27
	v_fmac_f32_e32 v55, v26, v28
	ds_read_b128 v[25:28], v45 offset:64
	s_waitcnt vmcnt(5)
	v_lshrrev_b32_e32 v30, 16, v21
	v_and_b32_e32 v21, 0xffff, v21
	v_fmac_f32_e32 v52, v56, v57
	s_waitcnt lgkmcnt(0)
	v_lshrrev_b32_e32 v29, 16, v25
	v_and_b32_e32 v25, 0xffff, v25
	;;#ASMSTART
	v_cvt_f32_f16 v25, v25;
	;;#ASMEND
	;;#ASMSTART
	v_cvt_f32_f16 v29, v29;
	;;#ASMEND
	;; [unrolled: 3-line block ×3, first 2 shown]
	v_fmac_f32_e32 v33, v25, v21
	v_lshrrev_b32_e32 v25, 16, v26
	v_and_b32_e32 v21, 0xffff, v26
	v_lshrrev_b32_e32 v26, 16, v22
	v_and_b32_e32 v22, 0xffff, v22
	;;#ASMSTART
	v_cvt_f32_f16 v30, v30;
	;;#ASMEND
	;;#ASMSTART
	v_cvt_f32_f16 v21, v21;
	;;#ASMEND
	;; [unrolled: 3-line block ×5, first 2 shown]
	v_fmac_f32_e32 v34, v21, v22
	v_fmac_f32_e32 v53, v25, v26
	v_lshrrev_b32_e32 v22, 16, v27
	v_and_b32_e32 v21, 0xffff, v27
	v_lshrrev_b32_e32 v25, 16, v23
	v_and_b32_e32 v23, 0xffff, v23
	;;#ASMSTART
	v_cvt_f32_f16 v21, v21;
	;;#ASMEND
	;;#ASMSTART
	v_cvt_f32_f16 v22, v22;
	;;#ASMEND
	;; [unrolled: 3-line block ×4, first 2 shown]
	v_fmac_f32_e32 v35, v21, v23
	v_fmac_f32_e32 v54, v22, v25
	v_lshrrev_b32_e32 v22, 16, v28
	v_and_b32_e32 v21, 0xffff, v28
	v_and_b32_e32 v23, 0xffff, v24
	;;#ASMSTART
	v_cvt_f32_f16 v21, v21;
	;;#ASMEND
	;;#ASMSTART
	v_cvt_f32_f16 v22, v22;
	;;#ASMEND
	v_lshrrev_b32_e32 v25, 16, v24
	;;#ASMSTART
	v_cvt_f32_f16 v23, v23;
	;;#ASMEND
	;;#ASMSTART
	v_cvt_f32_f16 v24, v25;
	;;#ASMEND
	v_fmac_f32_e32 v36, v21, v23
	v_fmac_f32_e32 v55, v22, v24
	ds_read_b128 v[21:24], v45 offset:80
	s_waitcnt vmcnt(4)
	v_lshrrev_b32_e32 v26, 16, v17
	v_and_b32_e32 v17, 0xffff, v17
	v_fmac_f32_e32 v52, v29, v30
	s_waitcnt lgkmcnt(0)
	v_lshrrev_b32_e32 v25, 16, v21
	v_and_b32_e32 v21, 0xffff, v21
	;;#ASMSTART
	v_cvt_f32_f16 v21, v21;
	;;#ASMEND
	;;#ASMSTART
	v_cvt_f32_f16 v25, v25;
	;;#ASMEND
	;; [unrolled: 3-line block ×3, first 2 shown]
	v_fmac_f32_e32 v33, v21, v17
	v_lshrrev_b32_e32 v21, 16, v22
	v_and_b32_e32 v17, 0xffff, v22
	v_lshrrev_b32_e32 v22, 16, v18
	v_and_b32_e32 v18, 0xffff, v18
	;;#ASMSTART
	v_cvt_f32_f16 v26, v26;
	;;#ASMEND
	;;#ASMSTART
	v_cvt_f32_f16 v17, v17;
	;;#ASMEND
	;; [unrolled: 3-line block ×5, first 2 shown]
	v_fmac_f32_e32 v34, v17, v18
	v_fmac_f32_e32 v53, v21, v22
	v_lshrrev_b32_e32 v18, 16, v23
	v_and_b32_e32 v17, 0xffff, v23
	v_lshrrev_b32_e32 v21, 16, v19
	v_and_b32_e32 v19, 0xffff, v19
	;;#ASMSTART
	v_cvt_f32_f16 v17, v17;
	;;#ASMEND
	;;#ASMSTART
	v_cvt_f32_f16 v18, v18;
	;;#ASMEND
	;; [unrolled: 3-line block ×4, first 2 shown]
	v_fmac_f32_e32 v35, v17, v19
	v_fmac_f32_e32 v54, v18, v21
	v_lshrrev_b32_e32 v18, 16, v24
	v_and_b32_e32 v17, 0xffff, v24
	v_and_b32_e32 v19, 0xffff, v20
	;;#ASMSTART
	v_cvt_f32_f16 v17, v17;
	;;#ASMEND
	;;#ASMSTART
	v_cvt_f32_f16 v18, v18;
	;;#ASMEND
	v_lshrrev_b32_e32 v21, 16, v20
	;;#ASMSTART
	v_cvt_f32_f16 v19, v19;
	;;#ASMEND
	;;#ASMSTART
	v_cvt_f32_f16 v20, v21;
	;;#ASMEND
	v_fmac_f32_e32 v36, v17, v19
	v_fmac_f32_e32 v55, v18, v20
	ds_read_b128 v[17:20], v45 offset:96
	s_waitcnt vmcnt(3)
	v_lshrrev_b32_e32 v22, 16, v13
	v_and_b32_e32 v13, 0xffff, v13
	v_fmac_f32_e32 v52, v25, v26
	s_waitcnt lgkmcnt(0)
	v_lshrrev_b32_e32 v21, 16, v17
	v_and_b32_e32 v17, 0xffff, v17
	;;#ASMSTART
	v_cvt_f32_f16 v17, v17;
	;;#ASMEND
	;;#ASMSTART
	v_cvt_f32_f16 v21, v21;
	;;#ASMEND
	;; [unrolled: 3-line block ×3, first 2 shown]
	v_fmac_f32_e32 v33, v17, v13
	v_lshrrev_b32_e32 v17, 16, v18
	v_and_b32_e32 v13, 0xffff, v18
	v_lshrrev_b32_e32 v18, 16, v14
	v_and_b32_e32 v14, 0xffff, v14
	;;#ASMSTART
	v_cvt_f32_f16 v22, v22;
	;;#ASMEND
	;;#ASMSTART
	v_cvt_f32_f16 v13, v13;
	;;#ASMEND
	;; [unrolled: 3-line block ×5, first 2 shown]
	v_fmac_f32_e32 v34, v13, v14
	v_fmac_f32_e32 v53, v17, v18
	v_lshrrev_b32_e32 v14, 16, v19
	v_and_b32_e32 v13, 0xffff, v19
	v_lshrrev_b32_e32 v17, 16, v15
	v_and_b32_e32 v15, 0xffff, v15
	;;#ASMSTART
	v_cvt_f32_f16 v13, v13;
	;;#ASMEND
	;;#ASMSTART
	v_cvt_f32_f16 v14, v14;
	;;#ASMEND
	;;#ASMSTART
	v_cvt_f32_f16 v15, v15;
	;;#ASMEND
	;;#ASMSTART
	v_cvt_f32_f16 v17, v17;
	;;#ASMEND
	v_fmac_f32_e32 v35, v13, v15
	v_fmac_f32_e32 v54, v14, v17
	v_lshrrev_b32_e32 v14, 16, v20
	v_and_b32_e32 v13, 0xffff, v20
	v_and_b32_e32 v15, 0xffff, v16
	;;#ASMSTART
	v_cvt_f32_f16 v13, v13;
	;;#ASMEND
	;;#ASMSTART
	v_cvt_f32_f16 v14, v14;
	;;#ASMEND
	v_lshrrev_b32_e32 v17, 16, v16
	;;#ASMSTART
	v_cvt_f32_f16 v15, v15;
	;;#ASMEND
	;;#ASMSTART
	v_cvt_f32_f16 v16, v17;
	;;#ASMEND
	v_fmac_f32_e32 v36, v13, v15
	v_fmac_f32_e32 v55, v14, v16
	ds_read_b128 v[13:16], v45 offset:112
	s_waitcnt vmcnt(2)
	v_lshrrev_b32_e32 v18, 16, v9
	v_and_b32_e32 v9, 0xffff, v9
	v_fmac_f32_e32 v52, v21, v22
	s_waitcnt lgkmcnt(0)
	v_lshrrev_b32_e32 v17, 16, v13
	v_and_b32_e32 v13, 0xffff, v13
	;;#ASMSTART
	v_cvt_f32_f16 v13, v13;
	;;#ASMEND
	;;#ASMSTART
	v_cvt_f32_f16 v17, v17;
	;;#ASMEND
	;; [unrolled: 3-line block ×3, first 2 shown]
	v_fmac_f32_e32 v33, v13, v9
	v_lshrrev_b32_e32 v13, 16, v14
	v_and_b32_e32 v9, 0xffff, v14
	v_lshrrev_b32_e32 v14, 16, v10
	v_and_b32_e32 v10, 0xffff, v10
	;;#ASMSTART
	v_cvt_f32_f16 v18, v18;
	;;#ASMEND
	;;#ASMSTART
	v_cvt_f32_f16 v9, v9;
	;;#ASMEND
	;; [unrolled: 3-line block ×5, first 2 shown]
	v_fmac_f32_e32 v34, v9, v10
	v_fmac_f32_e32 v53, v13, v14
	v_lshrrev_b32_e32 v10, 16, v15
	v_and_b32_e32 v9, 0xffff, v15
	v_lshrrev_b32_e32 v13, 16, v11
	v_and_b32_e32 v11, 0xffff, v11
	;;#ASMSTART
	v_cvt_f32_f16 v9, v9;
	;;#ASMEND
	;;#ASMSTART
	v_cvt_f32_f16 v10, v10;
	;;#ASMEND
	;; [unrolled: 3-line block ×4, first 2 shown]
	v_fmac_f32_e32 v35, v9, v11
	v_fmac_f32_e32 v54, v10, v13
	v_lshrrev_b32_e32 v10, 16, v16
	v_and_b32_e32 v9, 0xffff, v16
	v_and_b32_e32 v11, 0xffff, v12
	;;#ASMSTART
	v_cvt_f32_f16 v9, v9;
	;;#ASMEND
	;;#ASMSTART
	v_cvt_f32_f16 v10, v10;
	;;#ASMEND
	v_lshrrev_b32_e32 v13, 16, v12
	;;#ASMSTART
	v_cvt_f32_f16 v11, v11;
	;;#ASMEND
	;;#ASMSTART
	v_cvt_f32_f16 v12, v13;
	;;#ASMEND
	v_fmac_f32_e32 v36, v9, v11
	v_fmac_f32_e32 v55, v10, v12
	ds_read_b128 v[9:12], v45 offset:128
	s_waitcnt vmcnt(1)
	v_lshrrev_b32_e32 v14, 16, v5
	v_and_b32_e32 v5, 0xffff, v5
	v_fmac_f32_e32 v52, v17, v18
	s_waitcnt lgkmcnt(0)
	v_lshrrev_b32_e32 v13, 16, v9
	v_and_b32_e32 v9, 0xffff, v9
	;;#ASMSTART
	v_cvt_f32_f16 v9, v9;
	;;#ASMEND
	;;#ASMSTART
	v_cvt_f32_f16 v13, v13;
	;;#ASMEND
	;; [unrolled: 3-line block ×3, first 2 shown]
	v_fmac_f32_e32 v33, v9, v5
	v_lshrrev_b32_e32 v9, 16, v10
	v_and_b32_e32 v5, 0xffff, v10
	v_lshrrev_b32_e32 v10, 16, v6
	v_and_b32_e32 v6, 0xffff, v6
	;;#ASMSTART
	v_cvt_f32_f16 v14, v14;
	;;#ASMEND
	;;#ASMSTART
	v_cvt_f32_f16 v5, v5;
	;;#ASMEND
	;; [unrolled: 3-line block ×5, first 2 shown]
	v_fmac_f32_e32 v34, v5, v6
	v_fmac_f32_e32 v53, v9, v10
	v_lshrrev_b32_e32 v6, 16, v11
	v_and_b32_e32 v5, 0xffff, v11
	v_lshrrev_b32_e32 v9, 16, v7
	v_and_b32_e32 v7, 0xffff, v7
	;;#ASMSTART
	v_cvt_f32_f16 v5, v5;
	;;#ASMEND
	;;#ASMSTART
	v_cvt_f32_f16 v6, v6;
	;;#ASMEND
	;;#ASMSTART
	v_cvt_f32_f16 v7, v7;
	;;#ASMEND
	;;#ASMSTART
	v_cvt_f32_f16 v9, v9;
	;;#ASMEND
	v_fmac_f32_e32 v35, v5, v7
	v_fmac_f32_e32 v54, v6, v9
	v_lshrrev_b32_e32 v6, 16, v12
	v_and_b32_e32 v5, 0xffff, v12
	v_and_b32_e32 v7, 0xffff, v8
	;;#ASMSTART
	v_cvt_f32_f16 v5, v5;
	;;#ASMEND
	;;#ASMSTART
	v_cvt_f32_f16 v6, v6;
	;;#ASMEND
	v_lshrrev_b32_e32 v9, 16, v8
	;;#ASMSTART
	v_cvt_f32_f16 v7, v7;
	;;#ASMEND
	;;#ASMSTART
	v_cvt_f32_f16 v8, v9;
	;;#ASMEND
	v_fmac_f32_e32 v36, v5, v7
	v_fmac_f32_e32 v55, v6, v8
	ds_read_b128 v[5:8], v45 offset:144
	v_fmac_f32_e32 v52, v13, v14
	s_waitcnt vmcnt(0)
	v_lshrrev_b32_e32 v10, 16, v1
	v_and_b32_e32 v1, 0xffff, v1
	s_waitcnt lgkmcnt(0)
	v_lshrrev_b32_e32 v9, 16, v5
	v_and_b32_e32 v5, 0xffff, v5
	;;#ASMSTART
	v_cvt_f32_f16 v5, v5;
	;;#ASMEND
	;;#ASMSTART
	v_cvt_f32_f16 v9, v9;
	;;#ASMEND
	;; [unrolled: 3-line block ×3, first 2 shown]
	v_fmac_f32_e32 v33, v5, v1
	v_and_b32_e32 v1, 0xffff, v6
	;;#ASMSTART
	v_cvt_f32_f16 v10, v10;
	;;#ASMEND
	v_fmac_f32_e32 v52, v9, v10
	v_lshrrev_b32_e32 v5, 16, v6
	;;#ASMSTART
	v_cvt_f32_f16 v1, v1;
	;;#ASMEND
	v_lshrrev_b32_e32 v6, 16, v2
	v_and_b32_e32 v2, 0xffff, v2
	;;#ASMSTART
	v_cvt_f32_f16 v5, v5;
	;;#ASMEND
	;;#ASMSTART
	v_cvt_f32_f16 v2, v2;
	;;#ASMEND
	v_fmac_f32_e32 v34, v1, v2
	v_and_b32_e32 v1, 0xffff, v7
	;;#ASMSTART
	v_cvt_f32_f16 v6, v6;
	;;#ASMEND
	v_fmac_f32_e32 v53, v5, v6
	v_lshrrev_b32_e32 v2, 16, v7
	;;#ASMSTART
	v_cvt_f32_f16 v1, v1;
	;;#ASMEND
	v_lshrrev_b32_e32 v5, 16, v3
	v_and_b32_e32 v3, 0xffff, v3
	;;#ASMSTART
	v_cvt_f32_f16 v2, v2;
	;;#ASMEND
	;;#ASMSTART
	v_cvt_f32_f16 v3, v3;
	;;#ASMEND
	v_fmac_f32_e32 v35, v1, v3
	v_and_b32_e32 v1, 0xffff, v8
	;;#ASMSTART
	v_cvt_f32_f16 v5, v5;
	;;#ASMEND
	v_fmac_f32_e32 v54, v2, v5
	v_lshrrev_b32_e32 v2, 16, v8
	;;#ASMSTART
	v_cvt_f32_f16 v1, v1;
	;;#ASMEND
	v_and_b32_e32 v3, 0xffff, v4
	;;#ASMSTART
	v_cvt_f32_f16 v2, v2;
	;;#ASMEND
	;;#ASMSTART
	v_cvt_f32_f16 v3, v3;
	;;#ASMEND
	v_fmac_f32_e32 v36, v1, v3
	v_add_f32_e32 v1, v33, v52
	v_lshrrev_b32_e32 v5, 16, v4
	;;#ASMSTART
	v_cvt_f32_f16 v4, v5;
	;;#ASMEND
	v_fmac_f32_e32 v55, v2, v4
	v_add_f32_e32 v1, v1, v34
	v_add_f32_e32 v1, v53, v1
	;; [unrolled: 1-line block ×6, first 2 shown]
	v_fmac_f32_e32 v51, s3, v1
	v_cndmask_b32_e64 v1, 0, v51, s1
	ds_write_b32 v47, v1
	v_max_f32_e32 v1, v44, v44
	v_add_nc_u32_e32 v47, 0x200, v47
	v_max_f32_e32 v1, v1, v51
	v_cndmask_b32_e64 v44, v44, v1, s1
	v_add_co_u32 v37, s1, v37, 16
	v_add_co_ci_u32_e64 v38, null, 0, v38, s1
	v_cmp_le_i32_e64 s1, s12, v50
	s_or_b32 s5, s1, s5
	s_andn2_b32 exec_lo, exec_lo, s5
	s_cbranch_execnz .LBB101_6
; %bb.7:
	s_or_b32 exec_lo, exec_lo, s5
.LBB101_8:
	s_or_b32 exec_lo, exec_lo, s25
	v_mbcnt_lo_u32_b32 v2, -1, 0
	v_max_f32_e32 v5, v44, v44
	v_xor_b32_e32 v1, 16, v2
	v_xor_b32_e32 v4, 8, v2
	v_cmp_gt_i32_e32 vcc_lo, 32, v1
	v_cndmask_b32_e32 v1, v2, v1, vcc_lo
	v_cmp_gt_i32_e32 vcc_lo, 32, v4
	v_lshlrev_b32_e32 v1, 2, v1
	v_cndmask_b32_e32 v4, v2, v4, vcc_lo
	ds_bpermute_b32 v3, v1, v44
	s_waitcnt lgkmcnt(0)
	v_max_f32_e32 v6, v3, v3
	v_lshlrev_b32_e32 v3, 2, v4
	v_max_f32_e32 v5, v5, v6
	v_xor_b32_e32 v6, 4, v2
	ds_bpermute_b32 v4, v3, v5
	v_cmp_gt_i32_e32 vcc_lo, 32, v6
	v_cndmask_b32_e32 v6, v2, v6, vcc_lo
	s_waitcnt lgkmcnt(0)
	v_max_f32_e32 v7, v4, v4
	v_lshlrev_b32_e32 v4, 2, v6
	v_max_f32_e32 v5, v5, v7
	v_xor_b32_e32 v7, 2, v2
	ds_bpermute_b32 v6, v4, v5
	v_cmp_gt_i32_e32 vcc_lo, 32, v7
	v_cndmask_b32_e32 v7, v2, v7, vcc_lo
	v_lshlrev_b32_e32 v12, 2, v7
	v_xor_b32_e32 v7, 1, v2
	v_cmp_gt_i32_e32 vcc_lo, 32, v7
	s_waitcnt lgkmcnt(0)
	v_max_f32_e32 v6, v6, v6
	v_cndmask_b32_e32 v7, v2, v7, vcc_lo
	v_cmp_eq_u32_e32 vcc_lo, 0, v40
	v_max_f32_e32 v5, v5, v6
	v_lshlrev_b32_e32 v11, 2, v7
	ds_bpermute_b32 v6, v12, v5
	s_waitcnt lgkmcnt(0)
	v_max_f32_e32 v6, v6, v6
	v_max_f32_e32 v2, v5, v6
	v_lshlrev_b32_e32 v5, 2, v39
	ds_bpermute_b32 v6, v11, v2
	s_and_saveexec_b32 s1, vcc_lo
	s_cbranch_execz .LBB101_10
; %bb.9:
	s_waitcnt lgkmcnt(0)
	v_max_f32_e32 v6, v6, v6
	v_max_f32_e32 v2, v2, v2
	;; [unrolled: 1-line block ×3, first 2 shown]
	ds_write_b32 v5, v2 offset:160
.LBB101_10:
	s_or_b32 exec_lo, exec_lo, s1
	v_cmp_gt_u32_e64 s1, 4, v40
	v_mov_b32_e32 v2, 0xff7fffff
	s_waitcnt lgkmcnt(0)
	s_barrier
	buffer_gl0_inv
	s_and_saveexec_b32 s2, s1
; %bb.11:
	ds_read_b32 v2, v43 offset:160
; %bb.12:
	s_or_b32 exec_lo, exec_lo, s2
	s_waitcnt lgkmcnt(0)
	ds_bpermute_b32 v6, v12, v2
	v_max_f32_e32 v2, v2, v2
	s_lshl_b32 s2, s12, 5
	s_min_i32 s4, s2, s11
	v_cmp_gt_i32_e64 s2, s4, v0
	s_waitcnt lgkmcnt(0)
	v_max_f32_e32 v6, v6, v6
	v_max_f32_e32 v2, v2, v6
	ds_bpermute_b32 v6, v11, v2
	s_waitcnt lgkmcnt(0)
	v_max_f32_e32 v6, v6, v6
	v_max_f32_e32 v2, v2, v6
	v_mov_b32_e32 v6, 0
	ds_bpermute_b32 v7, v6, v2
	v_lshl_add_u32 v2, v0, 2, 0xc0
	s_and_saveexec_b32 s5, s2
	s_cbranch_execz .LBB101_16
; %bb.13:
	v_lshl_add_u32 v8, v0, 2, 0xc0
	v_mov_b32_e32 v6, 0
	v_mov_b32_e32 v9, v0
	s_mov_b32 s15, 0
	.p2align	6
.LBB101_14:                             ; =>This Inner Loop Header: Depth=1
	ds_read_b32 v10, v8
	v_add_nc_u32_e32 v9, 0x80, v9
	v_cmp_le_i32_e64 s3, s4, v9
	s_or_b32 s15, s3, s15
	s_waitcnt lgkmcnt(0)
	v_sub_f32_e32 v10, v10, v7
	v_mul_f32_e32 v10, 0x3fb8aa3b, v10
	v_exp_f32_e32 v10, v10
	ds_write_b32 v8, v10
	v_add_f32_e32 v6, v6, v10
	v_add_nc_u32_e32 v8, 0x200, v8
	s_andn2_b32 exec_lo, exec_lo, s15
	s_cbranch_execnz .LBB101_14
; %bb.15:
	s_or_b32 exec_lo, exec_lo, s15
.LBB101_16:
	s_or_b32 exec_lo, exec_lo, s5
	ds_bpermute_b32 v1, v1, v6
	s_waitcnt lgkmcnt(0)
	v_add_f32_e32 v1, v6, v1
	ds_bpermute_b32 v3, v3, v1
	s_waitcnt lgkmcnt(0)
	v_add_f32_e32 v1, v1, v3
	;; [unrolled: 3-line block ×5, first 2 shown]
	s_and_saveexec_b32 s3, vcc_lo
; %bb.17:
	ds_write_b32 v5, v1 offset:176
; %bb.18:
	s_or_b32 exec_lo, exec_lo, s3
	s_waitcnt lgkmcnt(0)
	s_barrier
	buffer_gl0_inv
	s_and_saveexec_b32 s3, s1
; %bb.19:
	ds_read_b32 v1, v43 offset:176
; %bb.20:
	s_or_b32 exec_lo, exec_lo, s3
	s_waitcnt lgkmcnt(0)
	ds_bpermute_b32 v3, v12, v1
	s_waitcnt lgkmcnt(0)
	v_add_f32_e32 v1, v1, v3
	ds_bpermute_b32 v3, v11, v1
	s_waitcnt lgkmcnt(0)
	v_add_f32_e32 v1, v1, v3
	v_mov_b32_e32 v3, 0
	ds_bpermute_b32 v1, v3, v1
	s_and_saveexec_b32 s1, s2
	s_cbranch_execz .LBB101_23
; %bb.21:
	s_waitcnt lgkmcnt(0)
	v_add_f32_e32 v1, 0x358637bd, v1
	s_mov_b32 s2, 0
	v_div_scale_f32 v3, null, v1, v1, 1.0
	v_div_scale_f32 v6, vcc_lo, 1.0, v1, 1.0
	v_rcp_f32_e32 v4, v3
	v_fma_f32 v5, -v3, v4, 1.0
	v_fmac_f32_e32 v4, v5, v4
	v_mul_f32_e32 v5, v6, v4
	v_fma_f32 v7, -v3, v5, v6
	v_fmac_f32_e32 v5, v7, v4
	v_fma_f32 v3, -v3, v5, v6
	v_div_fmas_f32 v3, v3, v4, v5
	v_div_fixup_f32 v1, v3, v1, 1.0
	v_mov_b32_e32 v3, v0
.LBB101_22:                             ; =>This Inner Loop Header: Depth=1
	ds_read_b32 v4, v2
	v_add_nc_u32_e32 v3, 0x80, v3
	v_cmp_le_i32_e32 vcc_lo, s4, v3
	s_or_b32 s2, vcc_lo, s2
	s_waitcnt lgkmcnt(0)
	v_mul_f32_e32 v4, v1, v4
	ds_write_b32 v2, v4
	v_add_nc_u32_e32 v2, 0x200, v2
	s_andn2_b32 exec_lo, exec_lo, s2
	s_cbranch_execnz .LBB101_22
.LBB101_23:
	s_or_b32 exec_lo, exec_lo, s1
	v_mov_b32_e32 v21, 0
	v_and_b32_e32 v13, 3, v0
	v_mov_b32_e32 v23, 0
	v_mov_b32_e32 v22, 0
	;; [unrolled: 1-line block ×9, first 2 shown]
	s_waitcnt lgkmcnt(0)
	s_barrier
	buffer_gl0_inv
	s_and_saveexec_b32 s2, s0
	s_cbranch_execz .LBB101_47
; %bb.24:
	v_lshlrev_b32_e32 v1, 3, v0
	s_ashr_i32 s15, s14, 31
	v_and_b32_e32 v3, 0x1f0, v41
	s_lshl_b64 s[0:1], s[14:15], 1
	v_lshlrev_b32_e32 v4, 5, v39
	v_and_b32_e32 v1, 24, v1
	s_add_u32 s0, s22, s0
	v_lshlrev_b32_e32 v2, 5, v13
	s_addc_u32 s1, s23, s1
	v_add_co_u32 v25, s0, s0, v3
	v_or3_b32 v27, v4, v1, 7
	v_and_b32_e32 v1, 0x7c, v42
	v_add_co_ci_u32_e64 v26, null, s1, 0, s0
	s_lshl_b64 s[0:1], s[20:21], 2
	s_add_i32 s3, s12, -1
	v_lshl_or_b32 v2, v39, 7, v2
	s_add_u32 s0, s18, s0
	s_addc_u32 s1, s19, s1
	v_add_co_u32 v5, s0, s0, v1
	v_mov_b32_e32 v24, 0
	v_add_nc_u32_e32 v28, 0xc0, v2
	v_add_co_ci_u32_e64 v6, null, s1, 0, s0
	v_mov_b32_e32 v14, 0
	v_mov_b32_e32 v15, 0
	;; [unrolled: 1-line block ×11, first 2 shown]
	s_mov_b32 s5, s13
	s_mov_b32 s4, 0
	s_branch .LBB101_26
.LBB101_25:                             ;   in Loop: Header=BB101_26 Depth=1
	s_or_b32 exec_lo, exec_lo, s1
	v_add_f32_e32 v9, v9, v10
	v_lshlrev_b32_e32 v8, 16, v8
	v_lshlrev_b32_e32 v7, 16, v7
	v_add_f32_e32 v30, v58, v59
	v_add_f32_e32 v10, v55, v56
	;; [unrolled: 1-line block ×3, first 2 shown]
	v_lshlrev_b32_e32 v9, 16, v57
	v_and_or_b32 v2, 0xffff, v2, v8
	v_and_or_b32 v3, 0xffff, v3, v7
	v_add_nc_u32_e32 v29, 4, v29
	v_add_f32_e32 v31, v53, v54
	v_and_or_b32 v1, 0xffff, v1, v9
	;;#ASMSTART
	v_pk_mul_f16 v1, v37, v1;

	;;#ASMEND
	;;#ASMSTART
	v_pk_mul_f16 v2, v35, v2;

	;;#ASMEND
	;;#ASMSTART
	v_pk_mul_f16 v3, v41, v3;

	;;#ASMEND
	;;#ASMSTART
	v_pk_mul_f16 v4, v42, v4;

	;;#ASMEND
	;;#ASMSTART
	v_pk_add_f16 v1, v1, v2;

	;;#ASMEND
	;;#ASMSTART
	v_pk_add_f16 v1, v1, v3;

	;;#ASMEND
	;;#ASMSTART
	v_pk_add_f16 v1, v1, v4;

	;;#ASMEND
	v_and_b32_e32 v4, 0xffff, v1
	v_lshrrev_b32_e32 v7, 16, v1
	;;#ASMSTART
	v_cvt_f32_f16 v4, v4;
	;;#ASMEND
	v_add_f32_e32 v15, v15, v30
	v_add_f32_e32 v17, v17, v10
	;; [unrolled: 1-line block ×7, first 2 shown]
	;;#ASMSTART
	v_cvt_f32_f16 v7, v7;
	;;#ASMEND
	v_add_f32_e32 v4, v4, v7
	v_cmp_le_i32_e32 vcc_lo, s12, v29
	v_add_co_u32 v5, s0, v5, 16
	v_add_f32_e32 v18, v18, v31
	v_add_f32_e32 v19, v19, v10
	;; [unrolled: 1-line block ×7, first 2 shown]
	v_add_nc_u32_e32 v27, 0x80, v27
	v_add_nc_u32_e32 v28, 0x200, v28
	v_add_co_ci_u32_e64 v6, null, 0, v6, s0
	s_or_b32 s4, vcc_lo, s4
	s_andn2_b32 exec_lo, exec_lo, s4
	s_cbranch_execz .LBB101_46
.LBB101_26:                             ; =>This Inner Loop Header: Depth=1
	global_load_dword v7, v[5:6], off
	ds_read2_b64 v[1:4], v28 offset1:1
	ds_read2_b64 v[30:33], v28 offset0:2 offset1:3
	v_add_nc_u32_e32 v34, -7, v27
	v_cmp_eq_u32_e64 s0, s3, v29
	v_add_nc_u32_e32 v38, -6, v27
	v_add_nc_u32_e32 v36, -1, v27
	s_waitcnt lgkmcnt(1)
	;;#ASMSTART
	v_cvt_f16_f32 v37, v1;

	;;#ASMEND
	;;#ASMSTART
	v_cvt_f16_f32 v35, v2;

	;;#ASMEND
	;; [unrolled: 4-line block ×4, first 2 shown]
	s_waitcnt lgkmcnt(0)
	;;#ASMSTART
	v_cvt_f16_f32 v44, v30;

	;;#ASMEND
	;;#ASMSTART
	v_cvt_f16_f32 v10, v31;

	;;#ASMEND
	;; [unrolled: 4-line block ×4, first 2 shown]
	v_add_nc_u32_e32 v33, -5, v27
	v_add_nc_u32_e32 v32, -4, v27
	;; [unrolled: 1-line block ×4, first 2 shown]
	s_waitcnt vmcnt(0)
	v_mad_i64_i32 v[7:8], null, v7, s5, 0
	v_lshlrev_b64 v[7:8], 1, v[7:8]
	v_add_co_u32 v7, vcc_lo, v25, v7
	v_add_co_ci_u32_e64 v8, null, v26, v8, vcc_lo
	global_load_dwordx4 v[1:4], v[7:8], off
	s_waitcnt vmcnt(0)
	v_lshrrev_b32_e32 v47, 16, v1
	v_lshrrev_b32_e32 v46, 16, v2
	;; [unrolled: 1-line block ×3, first 2 shown]
	s_and_saveexec_b32 s13, s0
	s_cbranch_execz .LBB101_28
; %bb.27:                               ;   in Loop: Header=BB101_26 Depth=1
	v_cmp_gt_i32_e32 vcc_lo, s11, v34
	v_and_b32_e32 v48, 0xffff0000, v4
	v_cmp_gt_i32_e64 s1, s11, v33
	v_cndmask_b32_e32 v1, 0, v1, vcc_lo
	v_cmp_gt_i32_e32 vcc_lo, s11, v38
	v_cndmask_b32_e64 v2, 0, v2, s1
	v_cmp_gt_i32_e64 s1, s11, v32
	v_cndmask_b32_e32 v47, 0, v47, vcc_lo
	v_cmp_gt_i32_e32 vcc_lo, s11, v36
	v_cndmask_b32_e64 v46, 0, v46, s1
	v_cndmask_b32_sdwa v4, v24, v4, vcc_lo dst_sel:DWORD dst_unused:UNUSED_PAD src0_sel:DWORD src1_sel:WORD_0
	v_cmp_gt_i32_e32 vcc_lo, s11, v27
	v_cndmask_b32_e32 v48, 0, v48, vcc_lo
	v_cmp_gt_i32_e32 vcc_lo, s11, v31
	v_or_b32_e32 v4, v4, v48
	v_cndmask_b32_e32 v3, 0, v3, vcc_lo
	v_cmp_gt_i32_e32 vcc_lo, s11, v30
	v_cndmask_b32_e32 v45, 0, v45, vcc_lo
.LBB101_28:                             ;   in Loop: Header=BB101_26 Depth=1
	s_or_b32 exec_lo, exec_lo, s13
	v_and_b32_e32 v37, 0xffff, v37
	v_and_b32_e32 v43, 0xffff, v43
	v_lshlrev_b32_e32 v47, 16, v47
	v_lshlrev_b32_e32 v45, 16, v45
	v_and_b32_e32 v44, 0xffff, v44
	v_lshl_or_b32 v37, v35, 16, v37
	v_lshl_or_b32 v35, v41, 16, v43
	v_lshlrev_b32_e32 v43, 16, v46
	v_and_b32_e32 v42, 0xffff, v42
	v_and_or_b32 v1, 0xffff, v1, v47
	v_and_or_b32 v3, 0xffff, v3, v45
	;;#ASMSTART
	v_pk_mul_f16 v1, v37, v1;

	;;#ASMEND
	v_and_or_b32 v2, 0xffff, v2, v43
	v_lshl_or_b32 v41, v10, 16, v44
	v_lshl_or_b32 v42, v9, 16, v42
	;;#ASMSTART
	v_pk_mul_f16 v2, v35, v2;

	;;#ASMEND
	;;#ASMSTART
	v_pk_mul_f16 v3, v41, v3;

	;;#ASMEND
	;; [unrolled: 4-line block ×3, first 2 shown]
	;;#ASMSTART
	v_pk_add_f16 v1, v1, v2;

	;;#ASMEND
	;;#ASMSTART
	v_pk_add_f16 v1, v1, v3;

	;;#ASMEND
	;; [unrolled: 4-line block ×3, first 2 shown]
	v_and_b32_e32 v2, 0xffff, v1
	v_lshrrev_b32_e32 v1, 16, v1
	;;#ASMSTART
	v_cvt_f32_f16 v43, v2;
	;;#ASMEND
	;;#ASMSTART
	v_cvt_f32_f16 v44, v1;
	;;#ASMEND
	global_load_dwordx4 v[1:4], v[7:8], off offset:512
	s_waitcnt vmcnt(0)
	v_lshrrev_b32_e32 v45, 16, v1
	v_lshrrev_b32_e32 v10, 16, v2
	;; [unrolled: 1-line block ×3, first 2 shown]
	s_and_saveexec_b32 s13, s0
	s_cbranch_execz .LBB101_30
; %bb.29:                               ;   in Loop: Header=BB101_26 Depth=1
	v_cmp_gt_i32_e32 vcc_lo, s11, v34
	v_and_b32_e32 v46, 0xffff0000, v4
	v_cmp_gt_i32_e64 s1, s11, v33
	v_cndmask_b32_e32 v1, 0, v1, vcc_lo
	v_cmp_gt_i32_e32 vcc_lo, s11, v38
	v_cndmask_b32_e64 v2, 0, v2, s1
	v_cmp_gt_i32_e64 s1, s11, v32
	v_cndmask_b32_e32 v45, 0, v45, vcc_lo
	v_cmp_gt_i32_e32 vcc_lo, s11, v36
	v_cndmask_b32_e64 v10, 0, v10, s1
	v_cndmask_b32_sdwa v4, v24, v4, vcc_lo dst_sel:DWORD dst_unused:UNUSED_PAD src0_sel:DWORD src1_sel:WORD_0
	v_cmp_gt_i32_e32 vcc_lo, s11, v27
	v_cndmask_b32_e32 v46, 0, v46, vcc_lo
	v_cmp_gt_i32_e32 vcc_lo, s11, v31
	v_or_b32_e32 v4, v4, v46
	v_cndmask_b32_e32 v3, 0, v3, vcc_lo
	v_cmp_gt_i32_e32 vcc_lo, s11, v30
	v_cndmask_b32_e32 v9, 0, v9, vcc_lo
.LBB101_30:                             ;   in Loop: Header=BB101_26 Depth=1
	s_or_b32 exec_lo, exec_lo, s13
	v_lshlrev_b32_e32 v45, 16, v45
	v_lshlrev_b32_e32 v10, 16, v10
	;; [unrolled: 1-line block ×3, first 2 shown]
	v_and_or_b32 v1, 0xffff, v1, v45
	v_and_or_b32 v2, 0xffff, v2, v10
	;; [unrolled: 1-line block ×3, first 2 shown]
	;;#ASMSTART
	v_pk_mul_f16 v1, v37, v1;

	;;#ASMEND
	;;#ASMSTART
	v_pk_mul_f16 v2, v35, v2;

	;;#ASMEND
	;; [unrolled: 4-line block ×4, first 2 shown]
	;;#ASMSTART
	v_pk_add_f16 v1, v1, v2;

	;;#ASMEND
	;;#ASMSTART
	v_pk_add_f16 v1, v1, v3;

	;;#ASMEND
	;; [unrolled: 4-line block ×3, first 2 shown]
	v_and_b32_e32 v2, 0xffff, v1
	v_lshrrev_b32_e32 v1, 16, v1
	;;#ASMSTART
	v_cvt_f32_f16 v45, v2;
	;;#ASMEND
	;;#ASMSTART
	v_cvt_f32_f16 v46, v1;
	;;#ASMEND
	global_load_dwordx4 v[1:4], v[7:8], off offset:1024
	s_waitcnt vmcnt(0)
	v_lshrrev_b32_e32 v47, 16, v1
	v_lshrrev_b32_e32 v10, 16, v2
	;; [unrolled: 1-line block ×3, first 2 shown]
	s_and_saveexec_b32 s13, s0
	s_cbranch_execz .LBB101_32
; %bb.31:                               ;   in Loop: Header=BB101_26 Depth=1
	v_cmp_gt_i32_e32 vcc_lo, s11, v34
	v_and_b32_e32 v48, 0xffff0000, v4
	v_cmp_gt_i32_e64 s1, s11, v33
	v_cndmask_b32_e32 v1, 0, v1, vcc_lo
	v_cmp_gt_i32_e32 vcc_lo, s11, v38
	v_cndmask_b32_e64 v2, 0, v2, s1
	v_cmp_gt_i32_e64 s1, s11, v32
	v_cndmask_b32_e32 v47, 0, v47, vcc_lo
	v_cmp_gt_i32_e32 vcc_lo, s11, v36
	v_cndmask_b32_e64 v10, 0, v10, s1
	v_cndmask_b32_sdwa v4, v24, v4, vcc_lo dst_sel:DWORD dst_unused:UNUSED_PAD src0_sel:DWORD src1_sel:WORD_0
	v_cmp_gt_i32_e32 vcc_lo, s11, v27
	v_cndmask_b32_e32 v48, 0, v48, vcc_lo
	v_cmp_gt_i32_e32 vcc_lo, s11, v31
	v_or_b32_e32 v4, v4, v48
	v_cndmask_b32_e32 v3, 0, v3, vcc_lo
	v_cmp_gt_i32_e32 vcc_lo, s11, v30
	v_cndmask_b32_e32 v9, 0, v9, vcc_lo
.LBB101_32:                             ;   in Loop: Header=BB101_26 Depth=1
	s_or_b32 exec_lo, exec_lo, s13
	v_lshlrev_b32_e32 v47, 16, v47
	v_lshlrev_b32_e32 v10, 16, v10
	;; [unrolled: 1-line block ×3, first 2 shown]
	v_and_or_b32 v1, 0xffff, v1, v47
	v_and_or_b32 v2, 0xffff, v2, v10
	;; [unrolled: 1-line block ×3, first 2 shown]
	;;#ASMSTART
	v_pk_mul_f16 v1, v37, v1;

	;;#ASMEND
	;;#ASMSTART
	v_pk_mul_f16 v2, v35, v2;

	;;#ASMEND
	;; [unrolled: 4-line block ×4, first 2 shown]
	;;#ASMSTART
	v_pk_add_f16 v1, v1, v2;

	;;#ASMEND
	;;#ASMSTART
	v_pk_add_f16 v1, v1, v3;

	;;#ASMEND
	;; [unrolled: 4-line block ×3, first 2 shown]
	v_and_b32_e32 v2, 0xffff, v1
	v_lshrrev_b32_e32 v1, 16, v1
	;;#ASMSTART
	v_cvt_f32_f16 v47, v2;
	;;#ASMEND
	;;#ASMSTART
	v_cvt_f32_f16 v48, v1;
	;;#ASMEND
	global_load_dwordx4 v[1:4], v[7:8], off offset:1536
	s_waitcnt vmcnt(0)
	v_lshrrev_b32_e32 v49, 16, v1
	v_lshrrev_b32_e32 v10, 16, v2
	;; [unrolled: 1-line block ×3, first 2 shown]
	s_and_saveexec_b32 s13, s0
	s_cbranch_execz .LBB101_34
; %bb.33:                               ;   in Loop: Header=BB101_26 Depth=1
	v_cmp_gt_i32_e32 vcc_lo, s11, v34
	v_and_b32_e32 v50, 0xffff0000, v4
	v_cmp_gt_i32_e64 s1, s11, v33
	v_cndmask_b32_e32 v1, 0, v1, vcc_lo
	v_cmp_gt_i32_e32 vcc_lo, s11, v38
	v_cndmask_b32_e64 v2, 0, v2, s1
	v_cmp_gt_i32_e64 s1, s11, v32
	v_cndmask_b32_e32 v49, 0, v49, vcc_lo
	v_cmp_gt_i32_e32 vcc_lo, s11, v36
	v_cndmask_b32_e64 v10, 0, v10, s1
	v_cndmask_b32_sdwa v4, v24, v4, vcc_lo dst_sel:DWORD dst_unused:UNUSED_PAD src0_sel:DWORD src1_sel:WORD_0
	v_cmp_gt_i32_e32 vcc_lo, s11, v27
	v_cndmask_b32_e32 v50, 0, v50, vcc_lo
	v_cmp_gt_i32_e32 vcc_lo, s11, v31
	v_or_b32_e32 v4, v4, v50
	v_cndmask_b32_e32 v3, 0, v3, vcc_lo
	v_cmp_gt_i32_e32 vcc_lo, s11, v30
	v_cndmask_b32_e32 v9, 0, v9, vcc_lo
.LBB101_34:                             ;   in Loop: Header=BB101_26 Depth=1
	s_or_b32 exec_lo, exec_lo, s13
	v_lshlrev_b32_e32 v9, 16, v9
	v_lshlrev_b32_e32 v49, 16, v49
	;; [unrolled: 1-line block ×3, first 2 shown]
	v_and_or_b32 v3, 0xffff, v3, v9
	v_add_co_u32 v9, vcc_lo, 0x800, v7
	v_and_or_b32 v1, 0xffff, v1, v49
	v_and_or_b32 v2, 0xffff, v2, v10
	;;#ASMSTART
	v_pk_mul_f16 v1, v37, v1;

	;;#ASMEND
	v_add_co_ci_u32_e64 v10, null, 0, v8, vcc_lo
	;;#ASMSTART
	v_pk_mul_f16 v2, v35, v2;

	;;#ASMEND
	;;#ASMSTART
	v_pk_mul_f16 v3, v41, v3;

	;;#ASMEND
	;;#ASMSTART
	v_pk_mul_f16 v4, v42, v4;

	;;#ASMEND
	;;#ASMSTART
	v_pk_add_f16 v1, v1, v2;

	;;#ASMEND
	;;#ASMSTART
	v_pk_add_f16 v1, v1, v3;

	;;#ASMEND
	;; [unrolled: 4-line block ×3, first 2 shown]
	v_lshrrev_b32_e32 v2, 16, v1
	v_and_b32_e32 v1, 0xffff, v1
	;;#ASMSTART
	v_cvt_f32_f16 v49, v1;
	;;#ASMEND
	;;#ASMSTART
	v_cvt_f32_f16 v50, v2;
	;;#ASMEND
	global_load_dwordx4 v[1:4], v[9:10], off
	s_waitcnt vmcnt(0)
	v_lshrrev_b32_e32 v53, 16, v1
	v_lshrrev_b32_e32 v52, 16, v2
	;; [unrolled: 1-line block ×3, first 2 shown]
	s_and_saveexec_b32 s13, s0
	s_cbranch_execz .LBB101_36
; %bb.35:                               ;   in Loop: Header=BB101_26 Depth=1
	v_cmp_gt_i32_e32 vcc_lo, s11, v34
	v_and_b32_e32 v54, 0xffff0000, v4
	v_cmp_gt_i32_e64 s1, s11, v33
	v_cndmask_b32_e32 v1, 0, v1, vcc_lo
	v_cmp_gt_i32_e32 vcc_lo, s11, v38
	v_cndmask_b32_e64 v2, 0, v2, s1
	v_cmp_gt_i32_e64 s1, s11, v32
	v_cndmask_b32_e32 v53, 0, v53, vcc_lo
	v_cmp_gt_i32_e32 vcc_lo, s11, v36
	v_cndmask_b32_e64 v52, 0, v52, s1
	v_cndmask_b32_sdwa v4, v24, v4, vcc_lo dst_sel:DWORD dst_unused:UNUSED_PAD src0_sel:DWORD src1_sel:WORD_0
	v_cmp_gt_i32_e32 vcc_lo, s11, v27
	v_cndmask_b32_e32 v54, 0, v54, vcc_lo
	v_cmp_gt_i32_e32 vcc_lo, s11, v31
	v_or_b32_e32 v4, v4, v54
	v_cndmask_b32_e32 v3, 0, v3, vcc_lo
	v_cmp_gt_i32_e32 vcc_lo, s11, v30
	v_cndmask_b32_e32 v51, 0, v51, vcc_lo
.LBB101_36:                             ;   in Loop: Header=BB101_26 Depth=1
	s_or_b32 exec_lo, exec_lo, s13
	v_lshlrev_b32_e32 v53, 16, v53
	v_lshlrev_b32_e32 v52, 16, v52
	;; [unrolled: 1-line block ×3, first 2 shown]
	v_and_or_b32 v1, 0xffff, v1, v53
	v_and_or_b32 v2, 0xffff, v2, v52
	;; [unrolled: 1-line block ×3, first 2 shown]
	;;#ASMSTART
	v_pk_mul_f16 v1, v37, v1;

	;;#ASMEND
	;;#ASMSTART
	v_pk_mul_f16 v2, v35, v2;

	;;#ASMEND
	;; [unrolled: 4-line block ×4, first 2 shown]
	;;#ASMSTART
	v_pk_add_f16 v1, v1, v2;

	;;#ASMEND
	;;#ASMSTART
	v_pk_add_f16 v1, v1, v3;

	;;#ASMEND
	;; [unrolled: 4-line block ×3, first 2 shown]
	v_and_b32_e32 v2, 0xffff, v1
	v_lshrrev_b32_e32 v1, 16, v1
	;;#ASMSTART
	v_cvt_f32_f16 v51, v2;
	;;#ASMEND
	;;#ASMSTART
	v_cvt_f32_f16 v52, v1;
	;;#ASMEND
	global_load_dwordx4 v[1:4], v[9:10], off offset:512
	s_waitcnt vmcnt(0)
	v_lshrrev_b32_e32 v55, 16, v1
	v_lshrrev_b32_e32 v54, 16, v2
	;; [unrolled: 1-line block ×3, first 2 shown]
	s_and_saveexec_b32 s13, s0
	s_cbranch_execz .LBB101_38
; %bb.37:                               ;   in Loop: Header=BB101_26 Depth=1
	v_cmp_gt_i32_e32 vcc_lo, s11, v34
	v_and_b32_e32 v56, 0xffff0000, v4
	v_cmp_gt_i32_e64 s1, s11, v33
	v_cndmask_b32_e32 v1, 0, v1, vcc_lo
	v_cmp_gt_i32_e32 vcc_lo, s11, v38
	v_cndmask_b32_e64 v2, 0, v2, s1
	v_cmp_gt_i32_e64 s1, s11, v32
	v_cndmask_b32_e32 v55, 0, v55, vcc_lo
	v_cmp_gt_i32_e32 vcc_lo, s11, v36
	v_cndmask_b32_e64 v54, 0, v54, s1
	v_cndmask_b32_sdwa v4, v24, v4, vcc_lo dst_sel:DWORD dst_unused:UNUSED_PAD src0_sel:DWORD src1_sel:WORD_0
	v_cmp_gt_i32_e32 vcc_lo, s11, v27
	v_cndmask_b32_e32 v56, 0, v56, vcc_lo
	v_cmp_gt_i32_e32 vcc_lo, s11, v31
	v_or_b32_e32 v4, v4, v56
	v_cndmask_b32_e32 v3, 0, v3, vcc_lo
	v_cmp_gt_i32_e32 vcc_lo, s11, v30
	v_cndmask_b32_e32 v53, 0, v53, vcc_lo
.LBB101_38:                             ;   in Loop: Header=BB101_26 Depth=1
	s_or_b32 exec_lo, exec_lo, s13
	v_lshlrev_b32_e32 v55, 16, v55
	v_lshlrev_b32_e32 v54, 16, v54
	;; [unrolled: 1-line block ×3, first 2 shown]
	v_and_or_b32 v1, 0xffff, v1, v55
	v_and_or_b32 v2, 0xffff, v2, v54
	;; [unrolled: 1-line block ×3, first 2 shown]
	;;#ASMSTART
	v_pk_mul_f16 v1, v37, v1;

	;;#ASMEND
	;;#ASMSTART
	v_pk_mul_f16 v2, v35, v2;

	;;#ASMEND
	;; [unrolled: 4-line block ×4, first 2 shown]
	;;#ASMSTART
	v_pk_add_f16 v1, v1, v2;

	;;#ASMEND
	;;#ASMSTART
	v_pk_add_f16 v1, v1, v3;

	;;#ASMEND
	;; [unrolled: 4-line block ×3, first 2 shown]
	v_and_b32_e32 v2, 0xffff, v1
	v_lshrrev_b32_e32 v1, 16, v1
	;;#ASMSTART
	v_cvt_f32_f16 v53, v2;
	;;#ASMEND
	;;#ASMSTART
	v_cvt_f32_f16 v54, v1;
	;;#ASMEND
	global_load_dwordx4 v[1:4], v[9:10], off offset:1024
	s_waitcnt vmcnt(0)
	v_lshrrev_b32_e32 v57, 16, v1
	v_lshrrev_b32_e32 v56, 16, v2
	;; [unrolled: 1-line block ×3, first 2 shown]
	s_and_saveexec_b32 s13, s0
	s_cbranch_execz .LBB101_40
; %bb.39:                               ;   in Loop: Header=BB101_26 Depth=1
	v_cmp_gt_i32_e32 vcc_lo, s11, v34
	v_and_b32_e32 v58, 0xffff0000, v4
	v_cmp_gt_i32_e64 s1, s11, v33
	v_cndmask_b32_e32 v1, 0, v1, vcc_lo
	v_cmp_gt_i32_e32 vcc_lo, s11, v38
	v_cndmask_b32_e64 v2, 0, v2, s1
	v_cmp_gt_i32_e64 s1, s11, v32
	v_cndmask_b32_e32 v57, 0, v57, vcc_lo
	v_cmp_gt_i32_e32 vcc_lo, s11, v36
	v_cndmask_b32_e64 v56, 0, v56, s1
	v_cndmask_b32_sdwa v4, v24, v4, vcc_lo dst_sel:DWORD dst_unused:UNUSED_PAD src0_sel:DWORD src1_sel:WORD_0
	v_cmp_gt_i32_e32 vcc_lo, s11, v27
	v_cndmask_b32_e32 v58, 0, v58, vcc_lo
	v_cmp_gt_i32_e32 vcc_lo, s11, v31
	v_or_b32_e32 v4, v4, v58
	v_cndmask_b32_e32 v3, 0, v3, vcc_lo
	v_cmp_gt_i32_e32 vcc_lo, s11, v30
	v_cndmask_b32_e32 v55, 0, v55, vcc_lo
.LBB101_40:                             ;   in Loop: Header=BB101_26 Depth=1
	s_or_b32 exec_lo, exec_lo, s13
	v_lshlrev_b32_e32 v57, 16, v57
	v_lshlrev_b32_e32 v56, 16, v56
	;; [unrolled: 1-line block ×3, first 2 shown]
	v_and_or_b32 v1, 0xffff, v1, v57
	v_and_or_b32 v2, 0xffff, v2, v56
	;; [unrolled: 1-line block ×3, first 2 shown]
	;;#ASMSTART
	v_pk_mul_f16 v1, v37, v1;

	;;#ASMEND
	;;#ASMSTART
	v_pk_mul_f16 v2, v35, v2;

	;;#ASMEND
	;; [unrolled: 4-line block ×4, first 2 shown]
	;;#ASMSTART
	v_pk_add_f16 v1, v1, v2;

	;;#ASMEND
	;;#ASMSTART
	v_pk_add_f16 v1, v1, v3;

	;;#ASMEND
	;; [unrolled: 4-line block ×3, first 2 shown]
	v_and_b32_e32 v2, 0xffff, v1
	v_lshrrev_b32_e32 v1, 16, v1
	;;#ASMSTART
	v_cvt_f32_f16 v55, v2;
	;;#ASMEND
	;;#ASMSTART
	v_cvt_f32_f16 v56, v1;
	;;#ASMEND
	global_load_dwordx4 v[1:4], v[9:10], off offset:1536
	s_waitcnt vmcnt(0)
	v_lshrrev_b32_e32 v57, 16, v1
	v_lshrrev_b32_e32 v10, 16, v2
	v_lshrrev_b32_e32 v9, 16, v3
	s_and_saveexec_b32 s13, s0
	s_cbranch_execz .LBB101_42
; %bb.41:                               ;   in Loop: Header=BB101_26 Depth=1
	v_cmp_gt_i32_e32 vcc_lo, s11, v34
	v_and_b32_e32 v58, 0xffff0000, v4
	v_cmp_gt_i32_e64 s1, s11, v33
	v_cndmask_b32_e32 v1, 0, v1, vcc_lo
	v_cmp_gt_i32_e32 vcc_lo, s11, v38
	v_cndmask_b32_e64 v2, 0, v2, s1
	v_cmp_gt_i32_e64 s1, s11, v32
	v_cndmask_b32_e32 v57, 0, v57, vcc_lo
	v_cmp_gt_i32_e32 vcc_lo, s11, v36
	v_cndmask_b32_e64 v10, 0, v10, s1
	v_cndmask_b32_sdwa v4, v24, v4, vcc_lo dst_sel:DWORD dst_unused:UNUSED_PAD src0_sel:DWORD src1_sel:WORD_0
	v_cmp_gt_i32_e32 vcc_lo, s11, v27
	v_cndmask_b32_e32 v58, 0, v58, vcc_lo
	v_cmp_gt_i32_e32 vcc_lo, s11, v31
	v_or_b32_e32 v4, v4, v58
	v_cndmask_b32_e32 v3, 0, v3, vcc_lo
	v_cmp_gt_i32_e32 vcc_lo, s11, v30
	v_cndmask_b32_e32 v9, 0, v9, vcc_lo
.LBB101_42:                             ;   in Loop: Header=BB101_26 Depth=1
	s_or_b32 exec_lo, exec_lo, s13
	v_lshlrev_b32_e32 v57, 16, v57
	v_lshlrev_b32_e32 v10, 16, v10
	;; [unrolled: 1-line block ×3, first 2 shown]
	v_add_co_u32 v7, vcc_lo, 0x1000, v7
	v_and_or_b32 v1, 0xffff, v1, v57
	v_and_or_b32 v2, 0xffff, v2, v10
	;; [unrolled: 1-line block ×3, first 2 shown]
	;;#ASMSTART
	v_pk_mul_f16 v1, v37, v1;

	;;#ASMEND
	v_add_co_ci_u32_e64 v8, null, 0, v8, vcc_lo
	;;#ASMSTART
	v_pk_mul_f16 v2, v35, v2;

	;;#ASMEND
	;;#ASMSTART
	v_pk_mul_f16 v3, v41, v3;

	;;#ASMEND
	;; [unrolled: 4-line block ×3, first 2 shown]
	;;#ASMSTART
	v_pk_add_f16 v1, v1, v2;

	;;#ASMEND
	;;#ASMSTART
	v_pk_add_f16 v1, v1, v3;

	;;#ASMEND
	;; [unrolled: 4-line block ×3, first 2 shown]
	v_lshrrev_b32_e32 v2, 16, v1
	v_and_b32_e32 v1, 0xffff, v1
	;;#ASMSTART
	v_cvt_f32_f16 v9, v1;
	;;#ASMEND
	;;#ASMSTART
	v_cvt_f32_f16 v10, v2;
	;;#ASMEND
	global_load_dwordx4 v[1:4], v[7:8], off
	s_waitcnt vmcnt(0)
	v_lshrrev_b32_e32 v59, 16, v1
	v_lshrrev_b32_e32 v58, 16, v2
	v_lshrrev_b32_e32 v57, 16, v3
	s_and_saveexec_b32 s13, s0
	s_cbranch_execz .LBB101_44
; %bb.43:                               ;   in Loop: Header=BB101_26 Depth=1
	v_cmp_gt_i32_e32 vcc_lo, s11, v34
	v_and_b32_e32 v60, 0xffff0000, v4
	v_cmp_gt_i32_e64 s1, s11, v33
	v_cndmask_b32_e32 v1, 0, v1, vcc_lo
	v_cmp_gt_i32_e32 vcc_lo, s11, v38
	v_cndmask_b32_e64 v2, 0, v2, s1
	v_cmp_gt_i32_e64 s1, s11, v32
	v_cndmask_b32_e32 v59, 0, v59, vcc_lo
	v_cmp_gt_i32_e32 vcc_lo, s11, v36
	v_cndmask_b32_e64 v58, 0, v58, s1
	v_cndmask_b32_sdwa v4, v24, v4, vcc_lo dst_sel:DWORD dst_unused:UNUSED_PAD src0_sel:DWORD src1_sel:WORD_0
	v_cmp_gt_i32_e32 vcc_lo, s11, v27
	v_cndmask_b32_e32 v60, 0, v60, vcc_lo
	v_cmp_gt_i32_e32 vcc_lo, s11, v31
	v_or_b32_e32 v4, v4, v60
	v_cndmask_b32_e32 v3, 0, v3, vcc_lo
	v_cmp_gt_i32_e32 vcc_lo, s11, v30
	v_cndmask_b32_e32 v57, 0, v57, vcc_lo
.LBB101_44:                             ;   in Loop: Header=BB101_26 Depth=1
	s_or_b32 exec_lo, exec_lo, s13
	v_lshlrev_b32_e32 v59, 16, v59
	v_lshlrev_b32_e32 v58, 16, v58
	;; [unrolled: 1-line block ×3, first 2 shown]
	v_and_or_b32 v1, 0xffff, v1, v59
	v_and_or_b32 v2, 0xffff, v2, v58
	;; [unrolled: 1-line block ×3, first 2 shown]
	;;#ASMSTART
	v_pk_mul_f16 v1, v37, v1;

	;;#ASMEND
	;;#ASMSTART
	v_pk_mul_f16 v2, v35, v2;

	;;#ASMEND
	;; [unrolled: 4-line block ×4, first 2 shown]
	;;#ASMSTART
	v_pk_add_f16 v1, v1, v2;

	;;#ASMEND
	;;#ASMSTART
	v_pk_add_f16 v1, v1, v3;

	;;#ASMEND
	;; [unrolled: 4-line block ×3, first 2 shown]
	v_and_b32_e32 v2, 0xffff, v1
	v_lshrrev_b32_e32 v1, 16, v1
	;;#ASMSTART
	v_cvt_f32_f16 v58, v2;
	;;#ASMEND
	;;#ASMSTART
	v_cvt_f32_f16 v59, v1;
	;;#ASMEND
	global_load_dwordx4 v[1:4], v[7:8], off offset:512
	s_waitcnt vmcnt(0)
	v_lshrrev_b32_e32 v57, 16, v1
	v_lshrrev_b32_e32 v8, 16, v2
	;; [unrolled: 1-line block ×3, first 2 shown]
	s_and_saveexec_b32 s1, s0
	s_cbranch_execz .LBB101_25
; %bb.45:                               ;   in Loop: Header=BB101_26 Depth=1
	v_cmp_gt_i32_e32 vcc_lo, s11, v34
	v_cmp_gt_i32_e64 s0, s11, v33
	v_cndmask_b32_e32 v1, 0, v1, vcc_lo
	v_cmp_gt_i32_e32 vcc_lo, s11, v38
	v_cndmask_b32_e64 v2, 0, v2, s0
	v_cmp_gt_i32_e64 s0, s11, v32
	v_and_b32_e32 v32, 0xffff0000, v4
	v_cndmask_b32_e32 v57, 0, v57, vcc_lo
	v_cmp_gt_i32_e32 vcc_lo, s11, v36
	v_cndmask_b32_e64 v8, 0, v8, s0
	v_cndmask_b32_sdwa v4, v24, v4, vcc_lo dst_sel:DWORD dst_unused:UNUSED_PAD src0_sel:DWORD src1_sel:WORD_0
	v_cmp_gt_i32_e32 vcc_lo, s11, v27
	v_cndmask_b32_e32 v32, 0, v32, vcc_lo
	v_cmp_gt_i32_e32 vcc_lo, s11, v31
	v_or_b32_e32 v4, v4, v32
	v_cndmask_b32_e32 v3, 0, v3, vcc_lo
	v_cmp_gt_i32_e32 vcc_lo, s11, v30
	v_cndmask_b32_e32 v7, 0, v7, vcc_lo
	s_branch .LBB101_25
.LBB101_46:
	s_or_b32 exec_lo, exec_lo, s4
.LBB101_47:
	s_or_b32 exec_lo, exec_lo, s2
	ds_bpermute_b32 v1, v12, v21
	ds_bpermute_b32 v2, v12, v23
	;; [unrolled: 1-line block ×10, first 2 shown]
	v_and_b32_e32 v27, 0x3c3, v0
	s_mov_b32 s0, exec_lo
	s_waitcnt lgkmcnt(0)
	s_barrier
	buffer_gl0_inv
	v_add_f32_e32 v1, v21, v1
	v_add_f32_e32 v2, v23, v2
	;; [unrolled: 1-line block ×10, first 2 shown]
	ds_bpermute_b32 v6, v11, v1
	ds_bpermute_b32 v7, v11, v2
	;; [unrolled: 1-line block ×10, first 2 shown]
	v_and_b32_e32 v9, 28, v40
	v_lshrrev_b32_e32 v11, 2, v40
	v_mul_u32_u24_e32 v14, 0x140, v39
	v_add_nc_u32_e32 v12, 0xc0, v9
	s_waitcnt lgkmcnt(9)
	v_add_f32_e32 v10, v1, v6
	s_waitcnt lgkmcnt(8)
	v_add_f32_e32 v9, v2, v7
	;; [unrolled: 2-line block ×10, first 2 shown]
	v_cmpx_eq_u32_e32 64, v27
	s_cbranch_execz .LBB101_49
; %bb.48:
	v_add_nc_u32_e32 v15, v12, v14
	v_add_nc_u32_e32 v16, 0xfffffd80, v15
	;; [unrolled: 1-line block ×6, first 2 shown]
	ds_write_b32 v16, v10
	ds_write_b32 v17, v9
	;; [unrolled: 1-line block ×5, first 2 shown]
	v_add_nc_u32_e32 v16, 0xfffffe20, v15
	v_add_nc_u32_e32 v17, 0xfffffe40, v15
	;; [unrolled: 1-line block ×5, first 2 shown]
	ds_write_b32 v16, v5
	ds_write_b32 v17, v4
	;; [unrolled: 1-line block ×5, first 2 shown]
.LBB101_49:
	s_or_b32 exec_lo, exec_lo, s0
	v_lshlrev_b32_e32 v11, 2, v11
	s_mov_b32 s1, exec_lo
	v_cmp_eq_u32_e32 vcc_lo, 0, v13
	s_waitcnt lgkmcnt(0)
	s_barrier
	v_add3_u32 v11, 0xc0, v14, v11
	buffer_gl0_inv
	v_cmpx_gt_u32_e32 64, v0
	s_cbranch_execz .LBB101_62
; %bb.50:
	s_and_saveexec_b32 s0, vcc_lo
	s_cbranch_execnz .LBB101_80
; %bb.51:
	s_or_b32 exec_lo, exec_lo, s0
	s_and_saveexec_b32 s0, vcc_lo
	s_cbranch_execnz .LBB101_81
.LBB101_52:
	s_or_b32 exec_lo, exec_lo, s0
	s_and_saveexec_b32 s0, vcc_lo
	s_cbranch_execnz .LBB101_82
.LBB101_53:
	s_or_b32 exec_lo, exec_lo, s0
	s_and_saveexec_b32 s0, vcc_lo
	s_cbranch_execnz .LBB101_83
.LBB101_54:
	s_or_b32 exec_lo, exec_lo, s0
	s_and_saveexec_b32 s0, vcc_lo
	s_cbranch_execnz .LBB101_84
.LBB101_55:
	s_or_b32 exec_lo, exec_lo, s0
	s_and_saveexec_b32 s0, vcc_lo
	s_cbranch_execnz .LBB101_85
.LBB101_56:
	s_or_b32 exec_lo, exec_lo, s0
	s_and_saveexec_b32 s0, vcc_lo
	s_cbranch_execnz .LBB101_86
.LBB101_57:
	s_or_b32 exec_lo, exec_lo, s0
	s_and_saveexec_b32 s0, vcc_lo
	s_cbranch_execnz .LBB101_87
.LBB101_58:
	s_or_b32 exec_lo, exec_lo, s0
	s_and_saveexec_b32 s0, vcc_lo
	s_cbranch_execnz .LBB101_88
.LBB101_59:
	s_or_b32 exec_lo, exec_lo, s0
	s_and_saveexec_b32 s0, vcc_lo
	s_cbranch_execz .LBB101_61
.LBB101_60:
	ds_read_b32 v13, v11 offset:288
	s_waitcnt lgkmcnt(0)
	v_add_f32_e32 v1, v1, v13
.LBB101_61:
	s_or_b32 exec_lo, exec_lo, s0
.LBB101_62:
	s_or_b32 exec_lo, exec_lo, s1
	v_and_b32_e32 v13, 0x3e3, v0
	s_mov_b32 s1, exec_lo
	s_barrier
	buffer_gl0_inv
	v_cmpx_eq_u32_e32 32, v13
	s_cbranch_execz .LBB101_64
; %bb.63:
	ds_write2_b32 v12, v10, v9 offset1:8
	ds_write2_b32 v12, v8, v7 offset0:16 offset1:24
	ds_write2_b32 v12, v6, v5 offset0:32 offset1:40
	;; [unrolled: 1-line block ×4, first 2 shown]
.LBB101_64:
	s_or_b32 exec_lo, exec_lo, s1
	s_mov_b32 s1, exec_lo
	s_waitcnt lgkmcnt(0)
	s_barrier
	buffer_gl0_inv
	v_cmpx_gt_u32_e32 32, v0
	s_cbranch_execz .LBB101_77
; %bb.65:
	s_and_saveexec_b32 s0, vcc_lo
	s_cbranch_execnz .LBB101_89
; %bb.66:
	s_or_b32 exec_lo, exec_lo, s0
	s_and_saveexec_b32 s0, vcc_lo
	s_cbranch_execnz .LBB101_90
.LBB101_67:
	s_or_b32 exec_lo, exec_lo, s0
	s_and_saveexec_b32 s0, vcc_lo
	s_cbranch_execnz .LBB101_91
.LBB101_68:
	s_or_b32 exec_lo, exec_lo, s0
	s_and_saveexec_b32 s0, vcc_lo
	s_cbranch_execnz .LBB101_92
.LBB101_69:
	s_or_b32 exec_lo, exec_lo, s0
	s_and_saveexec_b32 s0, vcc_lo
	s_cbranch_execnz .LBB101_93
.LBB101_70:
	s_or_b32 exec_lo, exec_lo, s0
	s_and_saveexec_b32 s0, vcc_lo
	s_cbranch_execnz .LBB101_94
.LBB101_71:
	s_or_b32 exec_lo, exec_lo, s0
	s_and_saveexec_b32 s0, vcc_lo
	s_cbranch_execnz .LBB101_95
.LBB101_72:
	s_or_b32 exec_lo, exec_lo, s0
	s_and_saveexec_b32 s0, vcc_lo
	s_cbranch_execnz .LBB101_96
.LBB101_73:
	s_or_b32 exec_lo, exec_lo, s0
	s_and_saveexec_b32 s0, vcc_lo
	s_cbranch_execnz .LBB101_97
.LBB101_74:
	s_or_b32 exec_lo, exec_lo, s0
	s_and_saveexec_b32 s0, vcc_lo
	s_cbranch_execz .LBB101_76
.LBB101_75:
	ds_read_b32 v11, v11 offset:288
	s_waitcnt lgkmcnt(0)
	v_add_f32_e32 v1, v1, v11
.LBB101_76:
	s_or_b32 exec_lo, exec_lo, s0
.LBB101_77:
	s_or_b32 exec_lo, exec_lo, s1
	s_barrier
	buffer_gl0_inv
	s_mov_b32 s0, exec_lo
	v_cmpx_eq_u32_e32 0, v13
	s_cbranch_execz .LBB101_79
; %bb.78:
	s_mul_i32 s0, s10, s7
	s_mul_i32 s2, s7, s6
	;; [unrolled: 1-line block ×3, first 2 shown]
	v_lshrrev_b32_e32 v0, 1, v0
	s_mulk_i32 s0, 0x50
	;;#ASMSTART
	v_cvt_f16_f32 v10, v10;

	;;#ASMEND
	s_ashr_i32 s1, s0, 31
	s_lshl_b64 s[0:1], s[0:1], 1
	s_add_u32 s4, s16, s0
	s_addc_u32 s5, s17, s1
	s_ashr_i32 s3, s2, 31
	s_lshl_b64 s[0:1], s[2:3], 1
	s_mul_i32 s2, s8, 0x50
	s_add_u32 s4, s4, s0
	s_addc_u32 s5, s5, s1
	s_ashr_i32 s3, s2, 31
	s_lshl_b64 s[0:1], s[2:3], 1
	s_add_u32 s0, s4, s0
	s_addc_u32 s1, s5, s1
	global_store_short v0, v10, s[0:1]
	;;#ASMSTART
	v_cvt_f16_f32 v9, v9;

	;;#ASMEND
	global_store_short v0, v9, s[0:1] offset:16
	;;#ASMSTART
	v_cvt_f16_f32 v8, v8;

	;;#ASMEND
	global_store_short v0, v8, s[0:1] offset:32
	;; [unrolled: 5-line block ×9, first 2 shown]
.LBB101_79:
	s_endpgm
.LBB101_80:
	ds_read_b32 v13, v11
	s_waitcnt lgkmcnt(0)
	v_add_f32_e32 v10, v10, v13
	s_or_b32 exec_lo, exec_lo, s0
	s_and_saveexec_b32 s0, vcc_lo
	s_cbranch_execz .LBB101_52
.LBB101_81:
	ds_read_b32 v13, v11 offset:32
	s_waitcnt lgkmcnt(0)
	v_add_f32_e32 v9, v9, v13
	s_or_b32 exec_lo, exec_lo, s0
	s_and_saveexec_b32 s0, vcc_lo
	s_cbranch_execz .LBB101_53
.LBB101_82:
	ds_read_b32 v13, v11 offset:64
	s_waitcnt lgkmcnt(0)
	v_add_f32_e32 v8, v8, v13
	s_or_b32 exec_lo, exec_lo, s0
	s_and_saveexec_b32 s0, vcc_lo
	s_cbranch_execz .LBB101_54
.LBB101_83:
	ds_read_b32 v13, v11 offset:96
	s_waitcnt lgkmcnt(0)
	v_add_f32_e32 v7, v7, v13
	s_or_b32 exec_lo, exec_lo, s0
	s_and_saveexec_b32 s0, vcc_lo
	s_cbranch_execz .LBB101_55
.LBB101_84:
	ds_read_b32 v13, v11 offset:128
	s_waitcnt lgkmcnt(0)
	v_add_f32_e32 v6, v6, v13
	s_or_b32 exec_lo, exec_lo, s0
	s_and_saveexec_b32 s0, vcc_lo
	s_cbranch_execz .LBB101_56
.LBB101_85:
	ds_read_b32 v13, v11 offset:160
	s_waitcnt lgkmcnt(0)
	v_add_f32_e32 v5, v5, v13
	s_or_b32 exec_lo, exec_lo, s0
	s_and_saveexec_b32 s0, vcc_lo
	s_cbranch_execz .LBB101_57
.LBB101_86:
	ds_read_b32 v13, v11 offset:192
	s_waitcnt lgkmcnt(0)
	v_add_f32_e32 v4, v4, v13
	s_or_b32 exec_lo, exec_lo, s0
	s_and_saveexec_b32 s0, vcc_lo
	s_cbranch_execz .LBB101_58
.LBB101_87:
	ds_read_b32 v13, v11 offset:224
	s_waitcnt lgkmcnt(0)
	v_add_f32_e32 v3, v3, v13
	s_or_b32 exec_lo, exec_lo, s0
	s_and_saveexec_b32 s0, vcc_lo
	s_cbranch_execz .LBB101_59
.LBB101_88:
	ds_read_b32 v13, v11 offset:256
	s_waitcnt lgkmcnt(0)
	v_add_f32_e32 v2, v2, v13
	s_or_b32 exec_lo, exec_lo, s0
	s_and_saveexec_b32 s0, vcc_lo
	s_cbranch_execnz .LBB101_60
	s_branch .LBB101_61
.LBB101_89:
	ds_read_b32 v12, v11
	s_waitcnt lgkmcnt(0)
	v_add_f32_e32 v10, v10, v12
	s_or_b32 exec_lo, exec_lo, s0
	s_and_saveexec_b32 s0, vcc_lo
	s_cbranch_execz .LBB101_67
.LBB101_90:
	ds_read_b32 v12, v11 offset:32
	s_waitcnt lgkmcnt(0)
	v_add_f32_e32 v9, v9, v12
	s_or_b32 exec_lo, exec_lo, s0
	s_and_saveexec_b32 s0, vcc_lo
	s_cbranch_execz .LBB101_68
.LBB101_91:
	ds_read_b32 v12, v11 offset:64
	s_waitcnt lgkmcnt(0)
	v_add_f32_e32 v8, v8, v12
	s_or_b32 exec_lo, exec_lo, s0
	s_and_saveexec_b32 s0, vcc_lo
	s_cbranch_execz .LBB101_69
.LBB101_92:
	ds_read_b32 v12, v11 offset:96
	s_waitcnt lgkmcnt(0)
	v_add_f32_e32 v7, v7, v12
	s_or_b32 exec_lo, exec_lo, s0
	s_and_saveexec_b32 s0, vcc_lo
	s_cbranch_execz .LBB101_70
.LBB101_93:
	ds_read_b32 v12, v11 offset:128
	s_waitcnt lgkmcnt(0)
	v_add_f32_e32 v6, v6, v12
	s_or_b32 exec_lo, exec_lo, s0
	s_and_saveexec_b32 s0, vcc_lo
	s_cbranch_execz .LBB101_71
.LBB101_94:
	ds_read_b32 v12, v11 offset:160
	s_waitcnt lgkmcnt(0)
	v_add_f32_e32 v5, v5, v12
	s_or_b32 exec_lo, exec_lo, s0
	s_and_saveexec_b32 s0, vcc_lo
	s_cbranch_execz .LBB101_72
.LBB101_95:
	ds_read_b32 v12, v11 offset:192
	s_waitcnt lgkmcnt(0)
	v_add_f32_e32 v4, v4, v12
	s_or_b32 exec_lo, exec_lo, s0
	s_and_saveexec_b32 s0, vcc_lo
	s_cbranch_execz .LBB101_73
.LBB101_96:
	ds_read_b32 v12, v11 offset:224
	s_waitcnt lgkmcnt(0)
	v_add_f32_e32 v3, v3, v12
	s_or_b32 exec_lo, exec_lo, s0
	s_and_saveexec_b32 s0, vcc_lo
	s_cbranch_execz .LBB101_74
.LBB101_97:
	ds_read_b32 v12, v11 offset:256
	s_waitcnt lgkmcnt(0)
	v_add_f32_e32 v2, v2, v12
	s_or_b32 exec_lo, exec_lo, s0
	s_and_saveexec_b32 s0, vcc_lo
	s_cbranch_execnz .LBB101_75
	s_branch .LBB101_76
	.section	.rodata,"a",@progbits
	.p2align	6, 0x0
	.amdhsa_kernel _ZN4vllm25paged_attention_v1_kernelIttLi80ELi32ELi128ELNS_18Fp8KVCacheDataTypeE0ELb0EEEvPT_PKS2_PKT0_S8_ifPKiSA_iPKfiiiSC_SC_iiiii
		.amdhsa_group_segment_fixed_size 192
		.amdhsa_private_segment_fixed_size 0
		.amdhsa_kernarg_size 384
		.amdhsa_user_sgpr_count 6
		.amdhsa_user_sgpr_private_segment_buffer 1
		.amdhsa_user_sgpr_dispatch_ptr 0
		.amdhsa_user_sgpr_queue_ptr 0
		.amdhsa_user_sgpr_kernarg_segment_ptr 1
		.amdhsa_user_sgpr_dispatch_id 0
		.amdhsa_user_sgpr_flat_scratch_init 0
		.amdhsa_user_sgpr_private_segment_size 0
		.amdhsa_wavefront_size32 1
		.amdhsa_uses_dynamic_stack 0
		.amdhsa_system_sgpr_private_segment_wavefront_offset 0
		.amdhsa_system_sgpr_workgroup_id_x 1
		.amdhsa_system_sgpr_workgroup_id_y 1
		.amdhsa_system_sgpr_workgroup_id_z 1
		.amdhsa_system_sgpr_workgroup_info 0
		.amdhsa_system_vgpr_workitem_id 0
		.amdhsa_next_free_vgpr 74
		.amdhsa_next_free_sgpr 28
		.amdhsa_reserve_vcc 1
		.amdhsa_reserve_flat_scratch 0
		.amdhsa_float_round_mode_32 0
		.amdhsa_float_round_mode_16_64 0
		.amdhsa_float_denorm_mode_32 3
		.amdhsa_float_denorm_mode_16_64 3
		.amdhsa_dx10_clamp 1
		.amdhsa_ieee_mode 1
		.amdhsa_fp16_overflow 0
		.amdhsa_workgroup_processor_mode 1
		.amdhsa_memory_ordered 1
		.amdhsa_forward_progress 1
		.amdhsa_shared_vgpr_count 0
		.amdhsa_exception_fp_ieee_invalid_op 0
		.amdhsa_exception_fp_denorm_src 0
		.amdhsa_exception_fp_ieee_div_zero 0
		.amdhsa_exception_fp_ieee_overflow 0
		.amdhsa_exception_fp_ieee_underflow 0
		.amdhsa_exception_fp_ieee_inexact 0
		.amdhsa_exception_int_div_zero 0
	.end_amdhsa_kernel
	.section	.text._ZN4vllm25paged_attention_v1_kernelIttLi80ELi32ELi128ELNS_18Fp8KVCacheDataTypeE0ELb0EEEvPT_PKS2_PKT0_S8_ifPKiSA_iPKfiiiSC_SC_iiiii,"axG",@progbits,_ZN4vllm25paged_attention_v1_kernelIttLi80ELi32ELi128ELNS_18Fp8KVCacheDataTypeE0ELb0EEEvPT_PKS2_PKT0_S8_ifPKiSA_iPKfiiiSC_SC_iiiii,comdat
.Lfunc_end101:
	.size	_ZN4vllm25paged_attention_v1_kernelIttLi80ELi32ELi128ELNS_18Fp8KVCacheDataTypeE0ELb0EEEvPT_PKS2_PKT0_S8_ifPKiSA_iPKfiiiSC_SC_iiiii, .Lfunc_end101-_ZN4vllm25paged_attention_v1_kernelIttLi80ELi32ELi128ELNS_18Fp8KVCacheDataTypeE0ELb0EEEvPT_PKS2_PKT0_S8_ifPKiSA_iPKfiiiSC_SC_iiiii
                                        ; -- End function
	.set _ZN4vllm25paged_attention_v1_kernelIttLi80ELi32ELi128ELNS_18Fp8KVCacheDataTypeE0ELb0EEEvPT_PKS2_PKT0_S8_ifPKiSA_iPKfiiiSC_SC_iiiii.num_vgpr, 74
	.set _ZN4vllm25paged_attention_v1_kernelIttLi80ELi32ELi128ELNS_18Fp8KVCacheDataTypeE0ELb0EEEvPT_PKS2_PKT0_S8_ifPKiSA_iPKfiiiSC_SC_iiiii.num_agpr, 0
	.set _ZN4vllm25paged_attention_v1_kernelIttLi80ELi32ELi128ELNS_18Fp8KVCacheDataTypeE0ELb0EEEvPT_PKS2_PKT0_S8_ifPKiSA_iPKfiiiSC_SC_iiiii.numbered_sgpr, 28
	.set _ZN4vllm25paged_attention_v1_kernelIttLi80ELi32ELi128ELNS_18Fp8KVCacheDataTypeE0ELb0EEEvPT_PKS2_PKT0_S8_ifPKiSA_iPKfiiiSC_SC_iiiii.num_named_barrier, 0
	.set _ZN4vllm25paged_attention_v1_kernelIttLi80ELi32ELi128ELNS_18Fp8KVCacheDataTypeE0ELb0EEEvPT_PKS2_PKT0_S8_ifPKiSA_iPKfiiiSC_SC_iiiii.private_seg_size, 0
	.set _ZN4vllm25paged_attention_v1_kernelIttLi80ELi32ELi128ELNS_18Fp8KVCacheDataTypeE0ELb0EEEvPT_PKS2_PKT0_S8_ifPKiSA_iPKfiiiSC_SC_iiiii.uses_vcc, 1
	.set _ZN4vllm25paged_attention_v1_kernelIttLi80ELi32ELi128ELNS_18Fp8KVCacheDataTypeE0ELb0EEEvPT_PKS2_PKT0_S8_ifPKiSA_iPKfiiiSC_SC_iiiii.uses_flat_scratch, 0
	.set _ZN4vllm25paged_attention_v1_kernelIttLi80ELi32ELi128ELNS_18Fp8KVCacheDataTypeE0ELb0EEEvPT_PKS2_PKT0_S8_ifPKiSA_iPKfiiiSC_SC_iiiii.has_dyn_sized_stack, 0
	.set _ZN4vllm25paged_attention_v1_kernelIttLi80ELi32ELi128ELNS_18Fp8KVCacheDataTypeE0ELb0EEEvPT_PKS2_PKT0_S8_ifPKiSA_iPKfiiiSC_SC_iiiii.has_recursion, 0
	.set _ZN4vllm25paged_attention_v1_kernelIttLi80ELi32ELi128ELNS_18Fp8KVCacheDataTypeE0ELb0EEEvPT_PKS2_PKT0_S8_ifPKiSA_iPKfiiiSC_SC_iiiii.has_indirect_call, 0
	.section	.AMDGPU.csdata,"",@progbits
; Kernel info:
; codeLenInByte = 12880
; TotalNumSgprs: 30
; NumVgprs: 74
; ScratchSize: 0
; MemoryBound: 0
; FloatMode: 240
; IeeeMode: 1
; LDSByteSize: 192 bytes/workgroup (compile time only)
; SGPRBlocks: 0
; VGPRBlocks: 9
; NumSGPRsForWavesPerEU: 30
; NumVGPRsForWavesPerEU: 74
; Occupancy: 12
; WaveLimiterHint : 1
; COMPUTE_PGM_RSRC2:SCRATCH_EN: 0
; COMPUTE_PGM_RSRC2:USER_SGPR: 6
; COMPUTE_PGM_RSRC2:TRAP_HANDLER: 0
; COMPUTE_PGM_RSRC2:TGID_X_EN: 1
; COMPUTE_PGM_RSRC2:TGID_Y_EN: 1
; COMPUTE_PGM_RSRC2:TGID_Z_EN: 1
; COMPUTE_PGM_RSRC2:TIDIG_COMP_CNT: 0
	.section	.text._ZN4vllm25paged_attention_v1_kernelIttLi96ELi32ELi128ELNS_18Fp8KVCacheDataTypeE0ELb0EEEvPT_PKS2_PKT0_S8_ifPKiSA_iPKfiiiSC_SC_iiiii,"axG",@progbits,_ZN4vllm25paged_attention_v1_kernelIttLi96ELi32ELi128ELNS_18Fp8KVCacheDataTypeE0ELb0EEEvPT_PKS2_PKT0_S8_ifPKiSA_iPKfiiiSC_SC_iiiii,comdat
	.protected	_ZN4vllm25paged_attention_v1_kernelIttLi96ELi32ELi128ELNS_18Fp8KVCacheDataTypeE0ELb0EEEvPT_PKS2_PKT0_S8_ifPKiSA_iPKfiiiSC_SC_iiiii ; -- Begin function _ZN4vllm25paged_attention_v1_kernelIttLi96ELi32ELi128ELNS_18Fp8KVCacheDataTypeE0ELb0EEEvPT_PKS2_PKT0_S8_ifPKiSA_iPKfiiiSC_SC_iiiii
	.globl	_ZN4vllm25paged_attention_v1_kernelIttLi96ELi32ELi128ELNS_18Fp8KVCacheDataTypeE0ELb0EEEvPT_PKS2_PKT0_S8_ifPKiSA_iPKfiiiSC_SC_iiiii
	.p2align	8
	.type	_ZN4vllm25paged_attention_v1_kernelIttLi96ELi32ELi128ELNS_18Fp8KVCacheDataTypeE0ELb0EEEvPT_PKS2_PKT0_S8_ifPKiSA_iPKfiiiSC_SC_iiiii,@function
_ZN4vllm25paged_attention_v1_kernelIttLi96ELi32ELi128ELNS_18Fp8KVCacheDataTypeE0ELb0EEEvPT_PKS2_PKT0_S8_ifPKiSA_iPKfiiiSC_SC_iiiii: ; @_ZN4vllm25paged_attention_v1_kernelIttLi96ELi32ELi128ELNS_18Fp8KVCacheDataTypeE0ELb0EEEvPT_PKS2_PKT0_S8_ifPKiSA_iPKfiiiSC_SC_iiiii
; %bb.0:
	s_clause 0x2
	s_load_dword s9, s[4:5], 0x80
	s_load_dwordx2 s[0:1], s[4:5], 0x30
	s_load_dwordx2 s[2:3], s[4:5], 0x20
	s_mov_b32 s10, s7
	s_ashr_i32 s11, s7, 31
	s_mov_b32 s24, 0
	s_lshl_b64 s[12:13], s[10:11], 2
	s_waitcnt lgkmcnt(0)
	s_add_u32 s0, s0, s12
	s_addc_u32 s1, s1, s13
	s_abs_i32 s7, s2
	s_abs_i32 s13, s9
	v_cvt_f32_u32_e32 v1, s7
	s_sub_i32 s12, 0, s7
	s_xor_b32 s2, s9, s2
	s_ashr_i32 s2, s2, 31
	v_rcp_iflag_f32_e32 v1, v1
	v_mul_f32_e32 v1, 0x4f7ffffe, v1
	v_cvt_u32_f32_e32 v1, v1
	v_readfirstlane_b32 s11, v1
	s_mul_i32 s12, s12, s11
	s_mul_hi_u32 s12, s11, s12
	s_add_i32 s11, s11, s12
	s_mul_hi_u32 s11, s13, s11
	s_mul_i32 s12, s11, s7
	s_sub_i32 s12, s13, s12
	s_add_i32 s13, s11, 1
	s_sub_i32 s14, s12, s7
	s_cmp_ge_u32 s12, s7
	s_cselect_b32 s11, s13, s11
	s_cselect_b32 s12, s14, s12
	s_add_i32 s13, s11, 1
	s_cmp_ge_u32 s12, s7
	s_cselect_b32 s7, s13, s11
	s_load_dwordx2 s[12:13], s[4:5], 0x40
	s_xor_b32 s7, s7, s2
	s_abs_i32 s16, s6
	s_sub_i32 s17, s7, s2
	s_abs_i32 s2, s17
	v_cvt_f32_u32_e32 v1, s2
	s_sub_i32 s11, 0, s2
	v_rcp_iflag_f32_e32 v1, v1
	v_mul_f32_e32 v1, 0x4f7ffffe, v1
	v_cvt_u32_f32_e32 v1, v1
	v_readfirstlane_b32 s7, v1
	s_mul_i32 s11, s11, s7
	s_mul_hi_u32 s11, s7, s11
	s_add_i32 s7, s7, s11
	s_waitcnt lgkmcnt(0)
	s_cmp_eq_u64 s[12:13], 0
	s_mul_hi_u32 s20, s16, s7
	s_cbranch_scc1 .LBB102_2
; %bb.1:
	s_ashr_i32 s7, s6, 31
	s_lshl_b64 s[14:15], s[6:7], 2
	s_add_u32 s12, s12, s14
	s_addc_u32 s13, s13, s15
	s_load_dword s24, s[12:13], 0x0
.LBB102_2:
	s_load_dword s11, s[0:1], 0x0
	s_clause 0x1
	s_load_dwordx2 s[18:19], s[4:5], 0x28
	s_load_dwordx4 s[12:15], s[4:5], 0x48
	v_lshlrev_b32_e32 v53, 4, v0
	s_ashr_i32 s0, s6, 31
	s_ashr_i32 s1, s17, 31
	s_mulk_i32 s6, 0x60
	s_waitcnt lgkmcnt(0)
	s_mov_b32 s15, exec_lo
	v_cmpx_gt_u32_e32 12, v0
	s_cbranch_execz .LBB102_4
; %bb.3:
	s_load_dwordx2 s[22:23], s[4:5], 0x8
	s_mul_i32 s26, s12, s10
	s_ashr_i32 s27, s26, 31
	s_lshl_b64 s[26:27], s[26:27], 1
	s_waitcnt lgkmcnt(0)
	s_add_u32 s12, s22, s26
	s_addc_u32 s17, s23, s27
	s_ashr_i32 s7, s6, 31
	s_lshl_b64 s[22:23], s[6:7], 1
	s_add_u32 s22, s12, s22
	s_addc_u32 s23, s17, s23
	global_load_dwordx4 v[1:4], v53, s[22:23]
	s_waitcnt vmcnt(0)
	ds_write_b128 v53, v[1:4]
.LBB102_4:
	s_or_b32 exec_lo, exec_lo, s15
	s_add_i32 s7, s11, 31
	s_xor_b32 s0, s0, s1
	s_ashr_i32 s12, s7, 31
	s_load_dword s15, s[4:5], 0x38
	s_lshr_b32 s1, s12, 27
	s_mul_i32 s12, s20, s2
	s_add_i32 s7, s7, s1
	s_sub_i32 s1, s16, s12
	s_ashr_i32 s12, s7, 5
	s_clause 0x2
	s_load_dwordx2 s[16:17], s[4:5], 0x0
	s_load_dwordx2 s[22:23], s[4:5], 0x18
	s_load_dword s7, s[4:5], 0x88
	s_add_i32 s21, s20, 1
	s_sub_i32 s25, s1, s2
	s_cmp_ge_u32 s1, s2
	v_lshrrev_b32_e32 v51, 5, v0
	s_cselect_b32 s20, s21, s20
	s_cselect_b32 s1, s25, s1
	s_add_i32 s21, s20, 1
	s_cmp_ge_u32 s1, s2
	v_and_b32_e32 v52, 31, v0
	s_cselect_b32 s1, s21, s20
	v_mov_b32_e32 v56, 0xff7fffff
	s_xor_b32 s1, s1, s0
	v_lshrrev_b32_e32 v54, 3, v0
	s_sub_i32 s1, s1, s0
	v_cmp_gt_i32_e64 s0, s12, v51
	v_lshlrev_b32_e32 v55, 2, v52
	s_waitcnt lgkmcnt(0)
	s_mul_i32 s20, s15, s10
	s_mul_i32 s14, s1, s14
	s_ashr_i32 s21, s20, 31
	s_barrier
	buffer_gl0_inv
	s_and_saveexec_b32 s25, s0
	s_cbranch_execz .LBB102_8
; %bb.5:
	s_load_dwordx2 s[4:5], s[4:5], 0x10
	s_ashr_i32 s15, s14, 31
	v_lshlrev_b32_e32 v1, 4, v52
	s_lshl_b64 s[26:27], s[14:15], 1
	v_and_b32_e32 v3, 0x7c, v54
	v_lshl_or_b32 v2, v51, 7, v55
	v_mov_b32_e32 v57, 0
	v_cmp_neq_f32_e64 vcc_lo, s24, 0
	v_lshl_or_b32 v58, v51, 5, v52
	v_mov_b32_e32 v56, 0xff7fffff
	v_add_nc_u32_e32 v59, 0xe0, v2
	v_mov_b32_e32 v62, v51
	s_mov_b32 s15, s13
	s_waitcnt lgkmcnt(0)
	s_add_u32 s1, s4, s26
	s_addc_u32 s2, s5, s27
	s_lshl_b64 s[26:27], s[20:21], 2
	v_add_co_u32 v60, s1, s1, v1
	s_sub_i32 s4, 1, s11
	v_add_co_ci_u32_e64 v61, null, s2, 0, s1
	s_add_u32 s1, s18, s26
	s_addc_u32 s2, s19, s27
	v_add_co_u32 v49, s1, s1, v3
	v_add_co_ci_u32_e64 v50, null, s2, 0, s1
	s_mov_b32 s5, 0
.LBB102_6:                              ; =>This Inner Loop Header: Depth=1
	global_load_dword v1, v[49:50], off
	v_add_nc_u32_e32 v3, s4, v58
	v_add_nc_u32_e32 v62, 4, v62
	v_cvt_f32_i32_e32 v3, v3
	v_mul_f32_e32 v63, s24, v3
	v_cndmask_b32_e32 v63, 0, v63, vcc_lo
	s_waitcnt vmcnt(0)
	v_mad_i64_i32 v[1:2], null, v1, s15, 0
	v_lshlrev_b64 v[1:2], 1, v[1:2]
	v_add_co_u32 v1, s1, v60, v1
	v_add_co_ci_u32_e64 v2, null, v61, v2, s1
	v_cmp_gt_i32_e64 s1, s11, v58
	v_add_co_u32 v3, s2, 0x800, v1
	s_clause 0x3
	global_load_dwordx4 v[45:48], v[1:2], off
	global_load_dwordx4 v[41:44], v[1:2], off offset:512
	global_load_dwordx4 v[37:40], v[1:2], off offset:1024
	;; [unrolled: 1-line block ×3, first 2 shown]
	v_add_co_ci_u32_e64 v4, null, 0, v2, s2
	v_add_co_u32 v5, s2, v1, 0x1000
	v_add_co_ci_u32_e64 v6, null, 0, v2, s2
	s_clause 0x3
	global_load_dwordx4 v[29:32], v[5:6], off offset:-2048
	global_load_dwordx4 v[25:28], v[3:4], off offset:512
	global_load_dwordx4 v[21:24], v[3:4], off offset:1024
	;; [unrolled: 1-line block ×3, first 2 shown]
	v_add_co_u32 v1, s2, 0x1000, v1
	v_add_co_ci_u32_e64 v2, null, 0, v2, s2
	s_clause 0x3
	global_load_dwordx4 v[13:16], v[5:6], off
	global_load_dwordx4 v[9:12], v[1:2], off offset:512
	global_load_dwordx4 v[5:8], v[1:2], off offset:1024
	;; [unrolled: 1-line block ×3, first 2 shown]
	ds_read_b128 v[64:67], v57
	v_add_nc_u32_e32 v58, 0x80, v58
	s_waitcnt lgkmcnt(0)
	v_lshrrev_b32_e32 v68, 16, v64
	v_and_b32_e32 v64, 0xffff, v64
	;;#ASMSTART
	v_cvt_f32_f16 v64, v64;
	;;#ASMEND
	;;#ASMSTART
	v_cvt_f32_f16 v68, v68;
	;;#ASMEND
	s_waitcnt vmcnt(11)
	v_lshrrev_b32_e32 v70, 16, v45
	v_and_b32_e32 v45, 0xffff, v45
	;;#ASMSTART
	v_cvt_f32_f16 v69, v45;
	;;#ASMEND
	v_lshrrev_b32_e32 v45, 16, v65
	v_and_b32_e32 v65, 0xffff, v65
	;;#ASMSTART
	v_cvt_f32_f16 v70, v70;
	;;#ASMEND
	;;#ASMSTART
	v_cvt_f32_f16 v65, v65;
	;;#ASMEND
	;; [unrolled: 3-line block ×3, first 2 shown]
	v_lshrrev_b32_e32 v45, 16, v46
	v_and_b32_e32 v46, 0xffff, v46
	;;#ASMSTART
	v_cvt_f32_f16 v72, v46;
	;;#ASMEND
	;;#ASMSTART
	v_cvt_f32_f16 v73, v45;
	;;#ASMEND
	v_lshrrev_b32_e32 v45, 16, v66
	v_and_b32_e32 v46, 0xffff, v66
	;;#ASMSTART
	v_cvt_f32_f16 v66, v46;
	;;#ASMEND
	;;#ASMSTART
	v_cvt_f32_f16 v74, v45;
	;;#ASMEND
	;; [unrolled: 8-line block ×5, first 2 shown]
	ds_read_b128 v[45:48], v57 offset:16
	s_waitcnt vmcnt(10)
	v_lshrrev_b32_e32 v81, 16, v41
	v_and_b32_e32 v41, 0xffff, v41
	s_waitcnt lgkmcnt(0)
	v_lshrrev_b32_e32 v80, 16, v45
	v_and_b32_e32 v45, 0xffff, v45
	;;#ASMSTART
	v_cvt_f32_f16 v45, v45;
	;;#ASMEND
	;;#ASMSTART
	v_cvt_f32_f16 v80, v80;
	;;#ASMEND
	;; [unrolled: 3-line block ×4, first 2 shown]
	v_mul_f32_e32 v41, v45, v41
	v_mul_f32_e32 v45, v80, v81
	v_fmac_f32_e32 v41, v64, v69
	v_fmac_f32_e32 v45, v68, v70
	v_lshrrev_b32_e32 v64, 16, v46
	v_and_b32_e32 v46, 0xffff, v46
	v_lshrrev_b32_e32 v68, 16, v42
	v_and_b32_e32 v42, 0xffff, v42
	;;#ASMSTART
	v_cvt_f32_f16 v46, v46;
	;;#ASMEND
	;;#ASMSTART
	v_cvt_f32_f16 v64, v64;
	;;#ASMEND
	;; [unrolled: 3-line block ×3, first 2 shown]
	v_mul_f32_e32 v42, v46, v42
	;;#ASMSTART
	v_cvt_f32_f16 v68, v68;
	;;#ASMEND
	v_mul_f32_e32 v46, v64, v68
	v_lshrrev_b32_e32 v64, 16, v47
	v_and_b32_e32 v47, 0xffff, v47
	v_fmac_f32_e32 v42, v65, v72
	v_lshrrev_b32_e32 v65, 16, v43
	v_and_b32_e32 v43, 0xffff, v43
	;;#ASMSTART
	v_cvt_f32_f16 v47, v47;
	;;#ASMEND
	;;#ASMSTART
	v_cvt_f32_f16 v64, v64;
	;;#ASMEND
	;; [unrolled: 3-line block ×4, first 2 shown]
	v_mul_f32_e32 v43, v47, v43
	v_mul_f32_e32 v47, v64, v65
	v_lshrrev_b32_e32 v64, 16, v48
	v_and_b32_e32 v48, 0xffff, v48
	v_lshrrev_b32_e32 v65, 16, v44
	v_and_b32_e32 v44, 0xffff, v44
	;;#ASMSTART
	v_cvt_f32_f16 v48, v48;
	;;#ASMEND
	;;#ASMSTART
	v_cvt_f32_f16 v64, v64;
	;;#ASMEND
	;; [unrolled: 3-line block ×3, first 2 shown]
	v_mul_f32_e32 v44, v48, v44
	;;#ASMSTART
	v_cvt_f32_f16 v65, v65;
	;;#ASMEND
	v_fmac_f32_e32 v43, v66, v75
	v_mul_f32_e32 v48, v64, v65
	v_fmac_f32_e32 v46, v71, v73
	v_fmac_f32_e32 v44, v67, v78
	ds_read_b128 v[64:67], v57 offset:32
	s_waitcnt vmcnt(9)
	v_lshrrev_b32_e32 v69, 16, v37
	v_and_b32_e32 v37, 0xffff, v37
	v_fmac_f32_e32 v47, v74, v76
	v_fmac_f32_e32 v48, v77, v79
	s_waitcnt lgkmcnt(0)
	v_lshrrev_b32_e32 v68, 16, v64
	v_and_b32_e32 v64, 0xffff, v64
	;;#ASMSTART
	v_cvt_f32_f16 v64, v64;
	;;#ASMEND
	;;#ASMSTART
	v_cvt_f32_f16 v68, v68;
	;;#ASMEND
	;; [unrolled: 3-line block ×3, first 2 shown]
	v_fmac_f32_e32 v41, v64, v37
	v_lshrrev_b32_e32 v64, 16, v65
	v_and_b32_e32 v37, 0xffff, v65
	v_lshrrev_b32_e32 v65, 16, v38
	v_and_b32_e32 v38, 0xffff, v38
	;;#ASMSTART
	v_cvt_f32_f16 v69, v69;
	;;#ASMEND
	;;#ASMSTART
	v_cvt_f32_f16 v37, v37;
	;;#ASMEND
	;; [unrolled: 3-line block ×5, first 2 shown]
	v_fmac_f32_e32 v42, v37, v38
	v_fmac_f32_e32 v46, v64, v65
	v_lshrrev_b32_e32 v38, 16, v66
	v_and_b32_e32 v37, 0xffff, v66
	v_lshrrev_b32_e32 v64, 16, v39
	v_and_b32_e32 v39, 0xffff, v39
	;;#ASMSTART
	v_cvt_f32_f16 v37, v37;
	;;#ASMEND
	;;#ASMSTART
	v_cvt_f32_f16 v38, v38;
	;;#ASMEND
	;; [unrolled: 3-line block ×4, first 2 shown]
	v_fmac_f32_e32 v43, v37, v39
	v_fmac_f32_e32 v47, v38, v64
	v_lshrrev_b32_e32 v38, 16, v67
	v_and_b32_e32 v37, 0xffff, v67
	v_and_b32_e32 v39, 0xffff, v40
	;;#ASMSTART
	v_cvt_f32_f16 v37, v37;
	;;#ASMEND
	;;#ASMSTART
	v_cvt_f32_f16 v38, v38;
	;;#ASMEND
	v_lshrrev_b32_e32 v64, 16, v40
	;;#ASMSTART
	v_cvt_f32_f16 v39, v39;
	;;#ASMEND
	;;#ASMSTART
	v_cvt_f32_f16 v40, v64;
	;;#ASMEND
	v_fmac_f32_e32 v44, v37, v39
	v_fmac_f32_e32 v48, v38, v40
	ds_read_b128 v[37:40], v57 offset:48
	s_waitcnt vmcnt(8)
	v_lshrrev_b32_e32 v65, 16, v33
	v_and_b32_e32 v33, 0xffff, v33
	v_fmac_f32_e32 v45, v68, v69
	s_waitcnt lgkmcnt(0)
	v_lshrrev_b32_e32 v64, 16, v37
	v_and_b32_e32 v37, 0xffff, v37
	;;#ASMSTART
	v_cvt_f32_f16 v37, v37;
	;;#ASMEND
	;;#ASMSTART
	v_cvt_f32_f16 v64, v64;
	;;#ASMEND
	;; [unrolled: 3-line block ×3, first 2 shown]
	v_fmac_f32_e32 v41, v37, v33
	v_lshrrev_b32_e32 v37, 16, v38
	v_and_b32_e32 v33, 0xffff, v38
	v_lshrrev_b32_e32 v38, 16, v34
	v_and_b32_e32 v34, 0xffff, v34
	;;#ASMSTART
	v_cvt_f32_f16 v65, v65;
	;;#ASMEND
	;;#ASMSTART
	v_cvt_f32_f16 v33, v33;
	;;#ASMEND
	;;#ASMSTART
	v_cvt_f32_f16 v37, v37;
	;;#ASMEND
	;;#ASMSTART
	v_cvt_f32_f16 v34, v34;
	;;#ASMEND
	;;#ASMSTART
	v_cvt_f32_f16 v38, v38;
	;;#ASMEND
	v_fmac_f32_e32 v42, v33, v34
	v_fmac_f32_e32 v46, v37, v38
	v_lshrrev_b32_e32 v34, 16, v39
	v_and_b32_e32 v33, 0xffff, v39
	v_lshrrev_b32_e32 v37, 16, v35
	v_and_b32_e32 v35, 0xffff, v35
	;;#ASMSTART
	v_cvt_f32_f16 v33, v33;
	;;#ASMEND
	;;#ASMSTART
	v_cvt_f32_f16 v34, v34;
	;;#ASMEND
	;;#ASMSTART
	v_cvt_f32_f16 v35, v35;
	;;#ASMEND
	;;#ASMSTART
	v_cvt_f32_f16 v37, v37;
	;;#ASMEND
	v_fmac_f32_e32 v43, v33, v35
	v_fmac_f32_e32 v47, v34, v37
	v_lshrrev_b32_e32 v34, 16, v40
	v_and_b32_e32 v33, 0xffff, v40
	v_and_b32_e32 v35, 0xffff, v36
	;;#ASMSTART
	v_cvt_f32_f16 v33, v33;
	;;#ASMEND
	;;#ASMSTART
	v_cvt_f32_f16 v34, v34;
	;;#ASMEND
	v_lshrrev_b32_e32 v37, 16, v36
	;;#ASMSTART
	v_cvt_f32_f16 v35, v35;
	;;#ASMEND
	;;#ASMSTART
	v_cvt_f32_f16 v36, v37;
	;;#ASMEND
	v_fmac_f32_e32 v44, v33, v35
	v_fmac_f32_e32 v48, v34, v36
	ds_read_b128 v[33:36], v57 offset:64
	s_waitcnt vmcnt(7)
	v_lshrrev_b32_e32 v38, 16, v29
	v_and_b32_e32 v29, 0xffff, v29
	v_fmac_f32_e32 v45, v64, v65
	s_waitcnt lgkmcnt(0)
	v_lshrrev_b32_e32 v37, 16, v33
	v_and_b32_e32 v33, 0xffff, v33
	;;#ASMSTART
	v_cvt_f32_f16 v33, v33;
	;;#ASMEND
	;;#ASMSTART
	v_cvt_f32_f16 v37, v37;
	;;#ASMEND
	;; [unrolled: 3-line block ×3, first 2 shown]
	v_fmac_f32_e32 v41, v33, v29
	v_lshrrev_b32_e32 v33, 16, v34
	v_and_b32_e32 v29, 0xffff, v34
	v_lshrrev_b32_e32 v34, 16, v30
	v_and_b32_e32 v30, 0xffff, v30
	;;#ASMSTART
	v_cvt_f32_f16 v38, v38;
	;;#ASMEND
	;;#ASMSTART
	v_cvt_f32_f16 v29, v29;
	;;#ASMEND
	;; [unrolled: 3-line block ×5, first 2 shown]
	v_fmac_f32_e32 v42, v29, v30
	v_fmac_f32_e32 v46, v33, v34
	v_lshrrev_b32_e32 v30, 16, v35
	v_and_b32_e32 v29, 0xffff, v35
	v_lshrrev_b32_e32 v33, 16, v31
	v_and_b32_e32 v31, 0xffff, v31
	;;#ASMSTART
	v_cvt_f32_f16 v29, v29;
	;;#ASMEND
	;;#ASMSTART
	v_cvt_f32_f16 v30, v30;
	;;#ASMEND
	;; [unrolled: 3-line block ×4, first 2 shown]
	v_fmac_f32_e32 v43, v29, v31
	v_fmac_f32_e32 v47, v30, v33
	v_lshrrev_b32_e32 v30, 16, v36
	v_and_b32_e32 v29, 0xffff, v36
	v_and_b32_e32 v31, 0xffff, v32
	;;#ASMSTART
	v_cvt_f32_f16 v29, v29;
	;;#ASMEND
	;;#ASMSTART
	v_cvt_f32_f16 v30, v30;
	;;#ASMEND
	v_lshrrev_b32_e32 v33, 16, v32
	;;#ASMSTART
	v_cvt_f32_f16 v31, v31;
	;;#ASMEND
	;;#ASMSTART
	v_cvt_f32_f16 v32, v33;
	;;#ASMEND
	v_fmac_f32_e32 v44, v29, v31
	v_fmac_f32_e32 v48, v30, v32
	ds_read_b128 v[29:32], v57 offset:80
	s_waitcnt vmcnt(6)
	v_lshrrev_b32_e32 v34, 16, v25
	v_and_b32_e32 v25, 0xffff, v25
	v_fmac_f32_e32 v45, v37, v38
	s_waitcnt lgkmcnt(0)
	v_lshrrev_b32_e32 v33, 16, v29
	v_and_b32_e32 v29, 0xffff, v29
	;;#ASMSTART
	v_cvt_f32_f16 v29, v29;
	;;#ASMEND
	;;#ASMSTART
	v_cvt_f32_f16 v33, v33;
	;;#ASMEND
	;; [unrolled: 3-line block ×3, first 2 shown]
	v_fmac_f32_e32 v41, v29, v25
	v_lshrrev_b32_e32 v29, 16, v30
	v_and_b32_e32 v25, 0xffff, v30
	v_lshrrev_b32_e32 v30, 16, v26
	v_and_b32_e32 v26, 0xffff, v26
	;;#ASMSTART
	v_cvt_f32_f16 v34, v34;
	;;#ASMEND
	;;#ASMSTART
	v_cvt_f32_f16 v25, v25;
	;;#ASMEND
	;; [unrolled: 3-line block ×5, first 2 shown]
	v_fmac_f32_e32 v42, v25, v26
	v_fmac_f32_e32 v46, v29, v30
	v_lshrrev_b32_e32 v26, 16, v31
	v_and_b32_e32 v25, 0xffff, v31
	v_lshrrev_b32_e32 v29, 16, v27
	v_and_b32_e32 v27, 0xffff, v27
	;;#ASMSTART
	v_cvt_f32_f16 v25, v25;
	;;#ASMEND
	;;#ASMSTART
	v_cvt_f32_f16 v26, v26;
	;;#ASMEND
	;; [unrolled: 3-line block ×4, first 2 shown]
	v_fmac_f32_e32 v43, v25, v27
	v_fmac_f32_e32 v47, v26, v29
	v_lshrrev_b32_e32 v26, 16, v32
	v_and_b32_e32 v25, 0xffff, v32
	v_and_b32_e32 v27, 0xffff, v28
	;;#ASMSTART
	v_cvt_f32_f16 v25, v25;
	;;#ASMEND
	;;#ASMSTART
	v_cvt_f32_f16 v26, v26;
	;;#ASMEND
	v_lshrrev_b32_e32 v29, 16, v28
	;;#ASMSTART
	v_cvt_f32_f16 v27, v27;
	;;#ASMEND
	;;#ASMSTART
	v_cvt_f32_f16 v28, v29;
	;;#ASMEND
	v_fmac_f32_e32 v44, v25, v27
	v_fmac_f32_e32 v48, v26, v28
	ds_read_b128 v[25:28], v57 offset:96
	s_waitcnt vmcnt(5)
	v_lshrrev_b32_e32 v30, 16, v21
	v_and_b32_e32 v21, 0xffff, v21
	v_fmac_f32_e32 v45, v33, v34
	s_waitcnt lgkmcnt(0)
	v_lshrrev_b32_e32 v29, 16, v25
	v_and_b32_e32 v25, 0xffff, v25
	;;#ASMSTART
	v_cvt_f32_f16 v25, v25;
	;;#ASMEND
	;;#ASMSTART
	v_cvt_f32_f16 v29, v29;
	;;#ASMEND
	;; [unrolled: 3-line block ×3, first 2 shown]
	v_fmac_f32_e32 v41, v25, v21
	v_lshrrev_b32_e32 v25, 16, v26
	v_and_b32_e32 v21, 0xffff, v26
	v_lshrrev_b32_e32 v26, 16, v22
	v_and_b32_e32 v22, 0xffff, v22
	;;#ASMSTART
	v_cvt_f32_f16 v30, v30;
	;;#ASMEND
	;;#ASMSTART
	v_cvt_f32_f16 v21, v21;
	;;#ASMEND
	;; [unrolled: 3-line block ×5, first 2 shown]
	v_fmac_f32_e32 v42, v21, v22
	v_fmac_f32_e32 v46, v25, v26
	v_lshrrev_b32_e32 v22, 16, v27
	v_and_b32_e32 v21, 0xffff, v27
	v_lshrrev_b32_e32 v25, 16, v23
	v_and_b32_e32 v23, 0xffff, v23
	;;#ASMSTART
	v_cvt_f32_f16 v21, v21;
	;;#ASMEND
	;;#ASMSTART
	v_cvt_f32_f16 v22, v22;
	;;#ASMEND
	;; [unrolled: 3-line block ×4, first 2 shown]
	v_fmac_f32_e32 v43, v21, v23
	v_fmac_f32_e32 v47, v22, v25
	v_lshrrev_b32_e32 v22, 16, v28
	v_and_b32_e32 v21, 0xffff, v28
	v_and_b32_e32 v23, 0xffff, v24
	;;#ASMSTART
	v_cvt_f32_f16 v21, v21;
	;;#ASMEND
	;;#ASMSTART
	v_cvt_f32_f16 v22, v22;
	;;#ASMEND
	v_lshrrev_b32_e32 v25, 16, v24
	;;#ASMSTART
	v_cvt_f32_f16 v23, v23;
	;;#ASMEND
	;;#ASMSTART
	v_cvt_f32_f16 v24, v25;
	;;#ASMEND
	v_fmac_f32_e32 v44, v21, v23
	v_fmac_f32_e32 v48, v22, v24
	ds_read_b128 v[21:24], v57 offset:112
	s_waitcnt vmcnt(4)
	v_lshrrev_b32_e32 v26, 16, v17
	v_and_b32_e32 v17, 0xffff, v17
	v_fmac_f32_e32 v45, v29, v30
	s_waitcnt lgkmcnt(0)
	v_lshrrev_b32_e32 v25, 16, v21
	v_and_b32_e32 v21, 0xffff, v21
	;;#ASMSTART
	v_cvt_f32_f16 v21, v21;
	;;#ASMEND
	;;#ASMSTART
	v_cvt_f32_f16 v25, v25;
	;;#ASMEND
	;; [unrolled: 3-line block ×3, first 2 shown]
	v_fmac_f32_e32 v41, v21, v17
	v_lshrrev_b32_e32 v21, 16, v22
	v_and_b32_e32 v17, 0xffff, v22
	v_lshrrev_b32_e32 v22, 16, v18
	v_and_b32_e32 v18, 0xffff, v18
	;;#ASMSTART
	v_cvt_f32_f16 v26, v26;
	;;#ASMEND
	;;#ASMSTART
	v_cvt_f32_f16 v17, v17;
	;;#ASMEND
	;; [unrolled: 3-line block ×5, first 2 shown]
	v_fmac_f32_e32 v42, v17, v18
	v_fmac_f32_e32 v46, v21, v22
	v_lshrrev_b32_e32 v18, 16, v23
	v_and_b32_e32 v17, 0xffff, v23
	v_lshrrev_b32_e32 v21, 16, v19
	v_and_b32_e32 v19, 0xffff, v19
	;;#ASMSTART
	v_cvt_f32_f16 v17, v17;
	;;#ASMEND
	;;#ASMSTART
	v_cvt_f32_f16 v18, v18;
	;;#ASMEND
	;; [unrolled: 3-line block ×4, first 2 shown]
	v_fmac_f32_e32 v43, v17, v19
	v_fmac_f32_e32 v47, v18, v21
	v_lshrrev_b32_e32 v18, 16, v24
	v_and_b32_e32 v17, 0xffff, v24
	v_and_b32_e32 v19, 0xffff, v20
	;;#ASMSTART
	v_cvt_f32_f16 v17, v17;
	;;#ASMEND
	;;#ASMSTART
	v_cvt_f32_f16 v18, v18;
	;;#ASMEND
	v_lshrrev_b32_e32 v21, 16, v20
	;;#ASMSTART
	v_cvt_f32_f16 v19, v19;
	;;#ASMEND
	;;#ASMSTART
	v_cvt_f32_f16 v20, v21;
	;;#ASMEND
	v_fmac_f32_e32 v44, v17, v19
	v_fmac_f32_e32 v48, v18, v20
	ds_read_b128 v[17:20], v57 offset:128
	s_waitcnt vmcnt(3)
	v_lshrrev_b32_e32 v22, 16, v13
	v_and_b32_e32 v13, 0xffff, v13
	v_fmac_f32_e32 v45, v25, v26
	s_waitcnt lgkmcnt(0)
	v_lshrrev_b32_e32 v21, 16, v17
	v_and_b32_e32 v17, 0xffff, v17
	;;#ASMSTART
	v_cvt_f32_f16 v17, v17;
	;;#ASMEND
	;;#ASMSTART
	v_cvt_f32_f16 v21, v21;
	;;#ASMEND
	;; [unrolled: 3-line block ×3, first 2 shown]
	v_fmac_f32_e32 v41, v17, v13
	v_lshrrev_b32_e32 v17, 16, v18
	v_and_b32_e32 v13, 0xffff, v18
	v_lshrrev_b32_e32 v18, 16, v14
	v_and_b32_e32 v14, 0xffff, v14
	;;#ASMSTART
	v_cvt_f32_f16 v22, v22;
	;;#ASMEND
	;;#ASMSTART
	v_cvt_f32_f16 v13, v13;
	;;#ASMEND
	;; [unrolled: 3-line block ×5, first 2 shown]
	v_fmac_f32_e32 v42, v13, v14
	v_fmac_f32_e32 v46, v17, v18
	v_lshrrev_b32_e32 v14, 16, v19
	v_and_b32_e32 v13, 0xffff, v19
	v_lshrrev_b32_e32 v17, 16, v15
	v_and_b32_e32 v15, 0xffff, v15
	;;#ASMSTART
	v_cvt_f32_f16 v13, v13;
	;;#ASMEND
	;;#ASMSTART
	v_cvt_f32_f16 v14, v14;
	;;#ASMEND
	;; [unrolled: 3-line block ×4, first 2 shown]
	v_fmac_f32_e32 v43, v13, v15
	v_fmac_f32_e32 v47, v14, v17
	v_lshrrev_b32_e32 v14, 16, v20
	v_and_b32_e32 v13, 0xffff, v20
	v_and_b32_e32 v15, 0xffff, v16
	;;#ASMSTART
	v_cvt_f32_f16 v13, v13;
	;;#ASMEND
	;;#ASMSTART
	v_cvt_f32_f16 v14, v14;
	;;#ASMEND
	v_lshrrev_b32_e32 v17, 16, v16
	;;#ASMSTART
	v_cvt_f32_f16 v15, v15;
	;;#ASMEND
	;;#ASMSTART
	v_cvt_f32_f16 v16, v17;
	;;#ASMEND
	v_fmac_f32_e32 v44, v13, v15
	v_fmac_f32_e32 v48, v14, v16
	ds_read_b128 v[13:16], v57 offset:144
	s_waitcnt vmcnt(2)
	v_lshrrev_b32_e32 v18, 16, v9
	v_and_b32_e32 v9, 0xffff, v9
	v_fmac_f32_e32 v45, v21, v22
	s_waitcnt lgkmcnt(0)
	v_lshrrev_b32_e32 v17, 16, v13
	v_and_b32_e32 v13, 0xffff, v13
	;;#ASMSTART
	v_cvt_f32_f16 v13, v13;
	;;#ASMEND
	;;#ASMSTART
	v_cvt_f32_f16 v17, v17;
	;;#ASMEND
	;; [unrolled: 3-line block ×3, first 2 shown]
	v_fmac_f32_e32 v41, v13, v9
	v_lshrrev_b32_e32 v13, 16, v14
	v_and_b32_e32 v9, 0xffff, v14
	v_lshrrev_b32_e32 v14, 16, v10
	v_and_b32_e32 v10, 0xffff, v10
	;;#ASMSTART
	v_cvt_f32_f16 v18, v18;
	;;#ASMEND
	;;#ASMSTART
	v_cvt_f32_f16 v9, v9;
	;;#ASMEND
	;; [unrolled: 3-line block ×5, first 2 shown]
	v_fmac_f32_e32 v42, v9, v10
	v_fmac_f32_e32 v46, v13, v14
	v_lshrrev_b32_e32 v10, 16, v15
	v_and_b32_e32 v9, 0xffff, v15
	v_lshrrev_b32_e32 v13, 16, v11
	v_and_b32_e32 v11, 0xffff, v11
	;;#ASMSTART
	v_cvt_f32_f16 v9, v9;
	;;#ASMEND
	;;#ASMSTART
	v_cvt_f32_f16 v10, v10;
	;;#ASMEND
	;; [unrolled: 3-line block ×4, first 2 shown]
	v_fmac_f32_e32 v43, v9, v11
	v_fmac_f32_e32 v47, v10, v13
	v_lshrrev_b32_e32 v10, 16, v16
	v_and_b32_e32 v9, 0xffff, v16
	v_and_b32_e32 v11, 0xffff, v12
	;;#ASMSTART
	v_cvt_f32_f16 v9, v9;
	;;#ASMEND
	;;#ASMSTART
	v_cvt_f32_f16 v10, v10;
	;;#ASMEND
	v_lshrrev_b32_e32 v13, 16, v12
	;;#ASMSTART
	v_cvt_f32_f16 v11, v11;
	;;#ASMEND
	;;#ASMSTART
	v_cvt_f32_f16 v12, v13;
	;;#ASMEND
	v_fmac_f32_e32 v44, v9, v11
	v_fmac_f32_e32 v48, v10, v12
	ds_read_b128 v[9:12], v57 offset:160
	s_waitcnt vmcnt(1)
	v_lshrrev_b32_e32 v14, 16, v5
	v_and_b32_e32 v5, 0xffff, v5
	v_fmac_f32_e32 v45, v17, v18
	s_waitcnt lgkmcnt(0)
	v_lshrrev_b32_e32 v13, 16, v9
	v_and_b32_e32 v9, 0xffff, v9
	;;#ASMSTART
	v_cvt_f32_f16 v9, v9;
	;;#ASMEND
	;;#ASMSTART
	v_cvt_f32_f16 v13, v13;
	;;#ASMEND
	;; [unrolled: 3-line block ×3, first 2 shown]
	v_fmac_f32_e32 v41, v9, v5
	v_lshrrev_b32_e32 v9, 16, v10
	v_and_b32_e32 v5, 0xffff, v10
	v_lshrrev_b32_e32 v10, 16, v6
	v_and_b32_e32 v6, 0xffff, v6
	;;#ASMSTART
	v_cvt_f32_f16 v14, v14;
	;;#ASMEND
	;;#ASMSTART
	v_cvt_f32_f16 v5, v5;
	;;#ASMEND
	;; [unrolled: 3-line block ×5, first 2 shown]
	v_fmac_f32_e32 v42, v5, v6
	v_fmac_f32_e32 v46, v9, v10
	v_lshrrev_b32_e32 v6, 16, v11
	v_and_b32_e32 v5, 0xffff, v11
	v_lshrrev_b32_e32 v9, 16, v7
	v_and_b32_e32 v7, 0xffff, v7
	;;#ASMSTART
	v_cvt_f32_f16 v5, v5;
	;;#ASMEND
	;;#ASMSTART
	v_cvt_f32_f16 v6, v6;
	;;#ASMEND
	;; [unrolled: 3-line block ×4, first 2 shown]
	v_fmac_f32_e32 v43, v5, v7
	v_fmac_f32_e32 v47, v6, v9
	v_lshrrev_b32_e32 v6, 16, v12
	v_and_b32_e32 v5, 0xffff, v12
	v_and_b32_e32 v7, 0xffff, v8
	;;#ASMSTART
	v_cvt_f32_f16 v5, v5;
	;;#ASMEND
	;;#ASMSTART
	v_cvt_f32_f16 v6, v6;
	;;#ASMEND
	v_lshrrev_b32_e32 v9, 16, v8
	;;#ASMSTART
	v_cvt_f32_f16 v7, v7;
	;;#ASMEND
	;;#ASMSTART
	v_cvt_f32_f16 v8, v9;
	;;#ASMEND
	v_fmac_f32_e32 v44, v5, v7
	v_fmac_f32_e32 v48, v6, v8
	ds_read_b128 v[5:8], v57 offset:176
	v_fmac_f32_e32 v45, v13, v14
	s_waitcnt vmcnt(0)
	v_lshrrev_b32_e32 v10, 16, v1
	v_and_b32_e32 v1, 0xffff, v1
	s_waitcnt lgkmcnt(0)
	v_lshrrev_b32_e32 v9, 16, v5
	v_and_b32_e32 v5, 0xffff, v5
	;;#ASMSTART
	v_cvt_f32_f16 v5, v5;
	;;#ASMEND
	;;#ASMSTART
	v_cvt_f32_f16 v9, v9;
	;;#ASMEND
	;; [unrolled: 3-line block ×3, first 2 shown]
	v_fmac_f32_e32 v41, v5, v1
	v_and_b32_e32 v1, 0xffff, v6
	;;#ASMSTART
	v_cvt_f32_f16 v10, v10;
	;;#ASMEND
	v_fmac_f32_e32 v45, v9, v10
	v_lshrrev_b32_e32 v5, 16, v6
	;;#ASMSTART
	v_cvt_f32_f16 v1, v1;
	;;#ASMEND
	v_lshrrev_b32_e32 v6, 16, v2
	v_and_b32_e32 v2, 0xffff, v2
	;;#ASMSTART
	v_cvt_f32_f16 v5, v5;
	;;#ASMEND
	;;#ASMSTART
	v_cvt_f32_f16 v2, v2;
	;;#ASMEND
	v_fmac_f32_e32 v42, v1, v2
	v_and_b32_e32 v1, 0xffff, v7
	;;#ASMSTART
	v_cvt_f32_f16 v6, v6;
	;;#ASMEND
	v_fmac_f32_e32 v46, v5, v6
	v_lshrrev_b32_e32 v2, 16, v7
	;;#ASMSTART
	v_cvt_f32_f16 v1, v1;
	;;#ASMEND
	v_lshrrev_b32_e32 v5, 16, v3
	v_and_b32_e32 v3, 0xffff, v3
	;;#ASMSTART
	v_cvt_f32_f16 v2, v2;
	;;#ASMEND
	;;#ASMSTART
	v_cvt_f32_f16 v3, v3;
	;;#ASMEND
	v_fmac_f32_e32 v43, v1, v3
	v_and_b32_e32 v1, 0xffff, v8
	;;#ASMSTART
	v_cvt_f32_f16 v5, v5;
	;;#ASMEND
	v_fmac_f32_e32 v47, v2, v5
	v_lshrrev_b32_e32 v2, 16, v8
	;;#ASMSTART
	v_cvt_f32_f16 v1, v1;
	;;#ASMEND
	v_and_b32_e32 v3, 0xffff, v4
	;;#ASMSTART
	v_cvt_f32_f16 v2, v2;
	;;#ASMEND
	;;#ASMSTART
	v_cvt_f32_f16 v3, v3;
	;;#ASMEND
	v_fmac_f32_e32 v44, v1, v3
	v_add_f32_e32 v1, v41, v45
	v_lshrrev_b32_e32 v5, 16, v4
	;;#ASMSTART
	v_cvt_f32_f16 v4, v5;
	;;#ASMEND
	v_fmac_f32_e32 v48, v2, v4
	v_add_f32_e32 v1, v1, v42
	v_add_f32_e32 v1, v46, v1
	;; [unrolled: 1-line block ×6, first 2 shown]
	v_fmac_f32_e32 v63, s3, v1
	v_cndmask_b32_e64 v1, 0, v63, s1
	ds_write_b32 v59, v1
	v_max_f32_e32 v1, v56, v56
	v_add_nc_u32_e32 v59, 0x200, v59
	v_max_f32_e32 v1, v1, v63
	v_cndmask_b32_e64 v56, v56, v1, s1
	v_add_co_u32 v49, s1, v49, 16
	v_add_co_ci_u32_e64 v50, null, 0, v50, s1
	v_cmp_le_i32_e64 s1, s12, v62
	s_or_b32 s5, s1, s5
	s_andn2_b32 exec_lo, exec_lo, s5
	s_cbranch_execnz .LBB102_6
; %bb.7:
	s_or_b32 exec_lo, exec_lo, s5
.LBB102_8:
	s_or_b32 exec_lo, exec_lo, s25
	v_mbcnt_lo_u32_b32 v2, -1, 0
	v_max_f32_e32 v5, v56, v56
	v_xor_b32_e32 v1, 16, v2
	v_xor_b32_e32 v4, 8, v2
	v_cmp_gt_i32_e32 vcc_lo, 32, v1
	v_cndmask_b32_e32 v1, v2, v1, vcc_lo
	v_cmp_gt_i32_e32 vcc_lo, 32, v4
	v_lshlrev_b32_e32 v1, 2, v1
	v_cndmask_b32_e32 v4, v2, v4, vcc_lo
	ds_bpermute_b32 v3, v1, v56
	s_waitcnt lgkmcnt(0)
	v_max_f32_e32 v6, v3, v3
	v_lshlrev_b32_e32 v3, 2, v4
	v_max_f32_e32 v5, v5, v6
	v_xor_b32_e32 v6, 4, v2
	ds_bpermute_b32 v4, v3, v5
	v_cmp_gt_i32_e32 vcc_lo, 32, v6
	v_cndmask_b32_e32 v6, v2, v6, vcc_lo
	s_waitcnt lgkmcnt(0)
	v_max_f32_e32 v7, v4, v4
	v_lshlrev_b32_e32 v4, 2, v6
	v_max_f32_e32 v5, v5, v7
	v_xor_b32_e32 v7, 2, v2
	ds_bpermute_b32 v6, v4, v5
	v_cmp_gt_i32_e32 vcc_lo, 32, v7
	v_cndmask_b32_e32 v7, v2, v7, vcc_lo
	v_lshlrev_b32_e32 v12, 2, v7
	v_xor_b32_e32 v7, 1, v2
	v_cmp_gt_i32_e32 vcc_lo, 32, v7
	s_waitcnt lgkmcnt(0)
	v_max_f32_e32 v6, v6, v6
	v_cndmask_b32_e32 v7, v2, v7, vcc_lo
	v_cmp_eq_u32_e32 vcc_lo, 0, v52
	v_max_f32_e32 v5, v5, v6
	v_lshlrev_b32_e32 v11, 2, v7
	ds_bpermute_b32 v6, v12, v5
	s_waitcnt lgkmcnt(0)
	v_max_f32_e32 v6, v6, v6
	v_max_f32_e32 v2, v5, v6
	v_lshlrev_b32_e32 v5, 2, v51
	ds_bpermute_b32 v6, v11, v2
	s_and_saveexec_b32 s1, vcc_lo
	s_cbranch_execz .LBB102_10
; %bb.9:
	s_waitcnt lgkmcnt(0)
	v_max_f32_e32 v6, v6, v6
	v_max_f32_e32 v2, v2, v2
	;; [unrolled: 1-line block ×3, first 2 shown]
	ds_write_b32 v5, v2 offset:192
.LBB102_10:
	s_or_b32 exec_lo, exec_lo, s1
	v_cmp_gt_u32_e64 s1, 4, v52
	v_mov_b32_e32 v2, 0xff7fffff
	s_waitcnt lgkmcnt(0)
	s_barrier
	buffer_gl0_inv
	s_and_saveexec_b32 s2, s1
; %bb.11:
	ds_read_b32 v2, v55 offset:192
; %bb.12:
	s_or_b32 exec_lo, exec_lo, s2
	s_waitcnt lgkmcnt(0)
	ds_bpermute_b32 v6, v12, v2
	v_max_f32_e32 v2, v2, v2
	s_lshl_b32 s2, s12, 5
	s_min_i32 s4, s2, s11
	v_cmp_gt_i32_e64 s2, s4, v0
	s_waitcnt lgkmcnt(0)
	v_max_f32_e32 v6, v6, v6
	v_max_f32_e32 v2, v2, v6
	ds_bpermute_b32 v6, v11, v2
	s_waitcnt lgkmcnt(0)
	v_max_f32_e32 v6, v6, v6
	v_max_f32_e32 v2, v2, v6
	v_mov_b32_e32 v6, 0
	ds_bpermute_b32 v7, v6, v2
	v_lshl_add_u32 v2, v0, 2, 0xe0
	s_and_saveexec_b32 s5, s2
	s_cbranch_execz .LBB102_16
; %bb.13:
	v_lshl_add_u32 v8, v0, 2, 0xe0
	v_mov_b32_e32 v6, 0
	v_mov_b32_e32 v9, v0
	s_mov_b32 s15, 0
	.p2align	6
.LBB102_14:                             ; =>This Inner Loop Header: Depth=1
	ds_read_b32 v10, v8
	v_add_nc_u32_e32 v9, 0x80, v9
	v_cmp_le_i32_e64 s3, s4, v9
	s_or_b32 s15, s3, s15
	s_waitcnt lgkmcnt(0)
	v_sub_f32_e32 v10, v10, v7
	v_mul_f32_e32 v10, 0x3fb8aa3b, v10
	v_exp_f32_e32 v10, v10
	ds_write_b32 v8, v10
	v_add_f32_e32 v6, v6, v10
	v_add_nc_u32_e32 v8, 0x200, v8
	s_andn2_b32 exec_lo, exec_lo, s15
	s_cbranch_execnz .LBB102_14
; %bb.15:
	s_or_b32 exec_lo, exec_lo, s15
.LBB102_16:
	s_or_b32 exec_lo, exec_lo, s5
	ds_bpermute_b32 v1, v1, v6
	s_waitcnt lgkmcnt(0)
	v_add_f32_e32 v1, v6, v1
	ds_bpermute_b32 v3, v3, v1
	s_waitcnt lgkmcnt(0)
	v_add_f32_e32 v1, v1, v3
	ds_bpermute_b32 v3, v4, v1
	s_waitcnt lgkmcnt(0)
	v_add_f32_e32 v1, v1, v3
	ds_bpermute_b32 v3, v12, v1
	s_waitcnt lgkmcnt(0)
	v_add_f32_e32 v1, v1, v3
	ds_bpermute_b32 v3, v11, v1
	s_waitcnt lgkmcnt(0)
	v_add_f32_e32 v1, v1, v3
	s_and_saveexec_b32 s3, vcc_lo
; %bb.17:
	ds_write_b32 v5, v1 offset:208
; %bb.18:
	s_or_b32 exec_lo, exec_lo, s3
	s_waitcnt lgkmcnt(0)
	s_barrier
	buffer_gl0_inv
	s_and_saveexec_b32 s3, s1
; %bb.19:
	ds_read_b32 v1, v55 offset:208
; %bb.20:
	s_or_b32 exec_lo, exec_lo, s3
	s_waitcnt lgkmcnt(0)
	ds_bpermute_b32 v3, v12, v1
	s_waitcnt lgkmcnt(0)
	v_add_f32_e32 v1, v1, v3
	ds_bpermute_b32 v3, v11, v1
	s_waitcnt lgkmcnt(0)
	v_add_f32_e32 v1, v1, v3
	v_mov_b32_e32 v3, 0
	ds_bpermute_b32 v1, v3, v1
	s_and_saveexec_b32 s1, s2
	s_cbranch_execz .LBB102_23
; %bb.21:
	s_waitcnt lgkmcnt(0)
	v_add_f32_e32 v1, 0x358637bd, v1
	s_mov_b32 s2, 0
	v_div_scale_f32 v3, null, v1, v1, 1.0
	v_div_scale_f32 v6, vcc_lo, 1.0, v1, 1.0
	v_rcp_f32_e32 v4, v3
	v_fma_f32 v5, -v3, v4, 1.0
	v_fmac_f32_e32 v4, v5, v4
	v_mul_f32_e32 v5, v6, v4
	v_fma_f32 v7, -v3, v5, v6
	v_fmac_f32_e32 v5, v7, v4
	v_fma_f32 v3, -v3, v5, v6
	v_div_fmas_f32 v3, v3, v4, v5
	v_div_fixup_f32 v1, v3, v1, 1.0
	v_mov_b32_e32 v3, v0
.LBB102_22:                             ; =>This Inner Loop Header: Depth=1
	ds_read_b32 v4, v2
	v_add_nc_u32_e32 v3, 0x80, v3
	v_cmp_le_i32_e32 vcc_lo, s4, v3
	s_or_b32 s2, vcc_lo, s2
	s_waitcnt lgkmcnt(0)
	v_mul_f32_e32 v4, v1, v4
	ds_write_b32 v2, v4
	v_add_nc_u32_e32 v2, 0x200, v2
	s_andn2_b32 exec_lo, exec_lo, s2
	s_cbranch_execnz .LBB102_22
.LBB102_23:
	s_or_b32 exec_lo, exec_lo, s1
	v_mov_b32_e32 v23, 0
	v_and_b32_e32 v13, 3, v0
	v_mov_b32_e32 v25, 0
	v_mov_b32_e32 v24, 0
	;; [unrolled: 1-line block ×11, first 2 shown]
	s_waitcnt lgkmcnt(0)
	s_barrier
	buffer_gl0_inv
	s_and_saveexec_b32 s2, s0
	s_cbranch_execz .LBB102_51
; %bb.24:
	v_lshlrev_b32_e32 v1, 3, v0
	s_ashr_i32 s15, s14, 31
	v_and_b32_e32 v3, 0x1f0, v53
	s_lshl_b64 s[0:1], s[14:15], 1
	v_lshlrev_b32_e32 v4, 5, v51
	v_and_b32_e32 v1, 24, v1
	s_add_u32 s0, s22, s0
	v_lshlrev_b32_e32 v2, 5, v13
	s_addc_u32 s1, s23, s1
	v_add_co_u32 v27, s0, s0, v3
	v_or3_b32 v29, v4, v1, 7
	v_and_b32_e32 v1, 0x7c, v54
	v_add_co_ci_u32_e64 v28, null, s1, 0, s0
	s_lshl_b64 s[0:1], s[20:21], 2
	s_add_i32 s3, s12, -1
	v_lshl_or_b32 v2, v51, 7, v2
	s_add_u32 s0, s18, s0
	s_addc_u32 s1, s19, s1
	v_add_co_u32 v5, s0, s0, v1
	v_mov_b32_e32 v26, 0
	v_add_nc_u32_e32 v30, 0xe0, v2
	v_add_co_ci_u32_e64 v6, null, s1, 0, s0
	v_mov_b32_e32 v14, 0
	v_mov_b32_e32 v15, 0
	;; [unrolled: 1-line block ×13, first 2 shown]
	s_mov_b32 s5, s13
	s_mov_b32 s4, 0
	s_branch .LBB102_26
.LBB102_25:                             ;   in Loop: Header=BB102_26 Depth=1
	s_or_b32 exec_lo, exec_lo, s1
	v_add_f32_e32 v9, v9, v10
	v_add_f32_e32 v32, v64, v65
	v_lshlrev_b32_e32 v8, 16, v8
	v_lshlrev_b32_e32 v7, 16, v7
	v_add_f32_e32 v10, v57, v58
	v_add_f32_e32 v18, v18, v9
	v_lshlrev_b32_e32 v9, 16, v63
	v_add_f32_e32 v15, v15, v32
	v_add_f32_e32 v32, v55, v56
	v_and_or_b32 v2, 0xffff, v2, v8
	v_and_or_b32 v3, 0xffff, v3, v7
	;; [unrolled: 1-line block ×3, first 2 shown]
	;;#ASMSTART
	v_pk_mul_f16 v1, v38, v1;

	;;#ASMEND
	;;#ASMSTART
	v_pk_mul_f16 v2, v36, v2;

	;;#ASMEND
	;; [unrolled: 4-line block ×4, first 2 shown]
	;;#ASMSTART
	v_pk_add_f16 v1, v1, v2;

	;;#ASMEND
	;;#ASMSTART
	v_pk_add_f16 v1, v1, v3;

	;;#ASMEND
	;; [unrolled: 4-line block ×3, first 2 shown]
	v_and_b32_e32 v4, 0xffff, v1
	v_add_nc_u32_e32 v31, 4, v31
	v_lshrrev_b32_e32 v7, 16, v1
	;;#ASMSTART
	v_cvt_f32_f16 v4, v4;
	;;#ASMEND
	v_add_f32_e32 v33, v61, v62
	v_add_f32_e32 v34, v59, v60
	;; [unrolled: 1-line block ×9, first 2 shown]
	;;#ASMSTART
	v_cvt_f32_f16 v7, v7;
	;;#ASMEND
	v_add_f32_e32 v4, v4, v7
	v_cmp_le_i32_e32 vcc_lo, s12, v31
	v_add_co_u32 v5, s0, v5, 16
	v_add_f32_e32 v16, v16, v33
	v_add_f32_e32 v17, v17, v34
	;; [unrolled: 1-line block ×8, first 2 shown]
	v_add_nc_u32_e32 v29, 0x80, v29
	v_add_nc_u32_e32 v30, 0x200, v30
	v_add_co_ci_u32_e64 v6, null, 0, v6, s0
	s_or_b32 s4, vcc_lo, s4
	s_andn2_b32 exec_lo, exec_lo, s4
	s_cbranch_execz .LBB102_50
.LBB102_26:                             ; =>This Inner Loop Header: Depth=1
	global_load_dword v7, v[5:6], off
	ds_read2_b64 v[1:4], v30 offset1:1
	ds_read2_b64 v[32:35], v30 offset0:2 offset1:3
	v_add_nc_u32_e32 v37, -7, v29
	v_cmp_eq_u32_e64 s0, s3, v31
	v_add_nc_u32_e32 v42, -6, v29
	v_add_nc_u32_e32 v41, -1, v29
	s_waitcnt lgkmcnt(1)
	;;#ASMSTART
	v_cvt_f16_f32 v38, v1;

	;;#ASMEND
	;;#ASMSTART
	v_cvt_f16_f32 v36, v2;

	;;#ASMEND
	;; [unrolled: 4-line block ×4, first 2 shown]
	s_waitcnt lgkmcnt(0)
	;;#ASMSTART
	v_cvt_f16_f32 v44, v32;

	;;#ASMEND
	;;#ASMSTART
	v_cvt_f16_f32 v10, v33;

	;;#ASMEND
	;; [unrolled: 4-line block ×4, first 2 shown]
	v_add_nc_u32_e32 v35, -5, v29
	v_add_nc_u32_e32 v34, -4, v29
	;; [unrolled: 1-line block ×4, first 2 shown]
	s_waitcnt vmcnt(0)
	v_mad_i64_i32 v[7:8], null, v7, s5, 0
	v_lshlrev_b64 v[7:8], 1, v[7:8]
	v_add_co_u32 v7, vcc_lo, v27, v7
	v_add_co_ci_u32_e64 v8, null, v28, v8, vcc_lo
	global_load_dwordx4 v[1:4], v[7:8], off
	s_waitcnt vmcnt(0)
	v_lshrrev_b32_e32 v47, 16, v1
	v_lshrrev_b32_e32 v46, 16, v2
	;; [unrolled: 1-line block ×3, first 2 shown]
	s_and_saveexec_b32 s13, s0
	s_cbranch_execz .LBB102_28
; %bb.27:                               ;   in Loop: Header=BB102_26 Depth=1
	v_cmp_gt_i32_e32 vcc_lo, s11, v37
	v_and_b32_e32 v48, 0xffff0000, v4
	v_cmp_gt_i32_e64 s1, s11, v35
	v_cndmask_b32_e32 v1, 0, v1, vcc_lo
	v_cmp_gt_i32_e32 vcc_lo, s11, v42
	v_cndmask_b32_e64 v2, 0, v2, s1
	v_cmp_gt_i32_e64 s1, s11, v34
	v_cndmask_b32_e32 v47, 0, v47, vcc_lo
	v_cmp_gt_i32_e32 vcc_lo, s11, v41
	v_cndmask_b32_e64 v46, 0, v46, s1
	v_cndmask_b32_sdwa v4, v26, v4, vcc_lo dst_sel:DWORD dst_unused:UNUSED_PAD src0_sel:DWORD src1_sel:WORD_0
	v_cmp_gt_i32_e32 vcc_lo, s11, v29
	v_cndmask_b32_e32 v48, 0, v48, vcc_lo
	v_cmp_gt_i32_e32 vcc_lo, s11, v33
	v_or_b32_e32 v4, v4, v48
	v_cndmask_b32_e32 v3, 0, v3, vcc_lo
	v_cmp_gt_i32_e32 vcc_lo, s11, v32
	v_cndmask_b32_e32 v45, 0, v45, vcc_lo
.LBB102_28:                             ;   in Loop: Header=BB102_26 Depth=1
	s_or_b32 exec_lo, exec_lo, s13
	v_and_b32_e32 v38, 0xffff, v38
	v_and_b32_e32 v43, 0xffff, v43
	v_lshlrev_b32_e32 v47, 16, v47
	v_lshlrev_b32_e32 v45, 16, v45
	v_and_b32_e32 v44, 0xffff, v44
	v_lshl_or_b32 v38, v36, 16, v38
	v_lshl_or_b32 v36, v39, 16, v43
	v_lshlrev_b32_e32 v43, 16, v46
	v_and_b32_e32 v40, 0xffff, v40
	v_and_or_b32 v1, 0xffff, v1, v47
	v_and_or_b32 v3, 0xffff, v3, v45
	;;#ASMSTART
	v_pk_mul_f16 v1, v38, v1;

	;;#ASMEND
	v_and_or_b32 v2, 0xffff, v2, v43
	v_lshl_or_b32 v39, v10, 16, v44
	v_lshl_or_b32 v40, v9, 16, v40
	;;#ASMSTART
	v_pk_mul_f16 v2, v36, v2;

	;;#ASMEND
	;;#ASMSTART
	v_pk_mul_f16 v3, v39, v3;

	;;#ASMEND
	;; [unrolled: 4-line block ×3, first 2 shown]
	;;#ASMSTART
	v_pk_add_f16 v1, v1, v2;

	;;#ASMEND
	;;#ASMSTART
	v_pk_add_f16 v1, v1, v3;

	;;#ASMEND
	;; [unrolled: 4-line block ×3, first 2 shown]
	v_and_b32_e32 v2, 0xffff, v1
	v_lshrrev_b32_e32 v1, 16, v1
	;;#ASMSTART
	v_cvt_f32_f16 v43, v2;
	;;#ASMEND
	;;#ASMSTART
	v_cvt_f32_f16 v44, v1;
	;;#ASMEND
	global_load_dwordx4 v[1:4], v[7:8], off offset:512
	s_waitcnt vmcnt(0)
	v_lshrrev_b32_e32 v45, 16, v1
	v_lshrrev_b32_e32 v10, 16, v2
	;; [unrolled: 1-line block ×3, first 2 shown]
	s_and_saveexec_b32 s13, s0
	s_cbranch_execz .LBB102_30
; %bb.29:                               ;   in Loop: Header=BB102_26 Depth=1
	v_cmp_gt_i32_e32 vcc_lo, s11, v37
	v_and_b32_e32 v46, 0xffff0000, v4
	v_cmp_gt_i32_e64 s1, s11, v35
	v_cndmask_b32_e32 v1, 0, v1, vcc_lo
	v_cmp_gt_i32_e32 vcc_lo, s11, v42
	v_cndmask_b32_e64 v2, 0, v2, s1
	v_cmp_gt_i32_e64 s1, s11, v34
	v_cndmask_b32_e32 v45, 0, v45, vcc_lo
	v_cmp_gt_i32_e32 vcc_lo, s11, v41
	v_cndmask_b32_e64 v10, 0, v10, s1
	v_cndmask_b32_sdwa v4, v26, v4, vcc_lo dst_sel:DWORD dst_unused:UNUSED_PAD src0_sel:DWORD src1_sel:WORD_0
	v_cmp_gt_i32_e32 vcc_lo, s11, v29
	v_cndmask_b32_e32 v46, 0, v46, vcc_lo
	v_cmp_gt_i32_e32 vcc_lo, s11, v33
	v_or_b32_e32 v4, v4, v46
	v_cndmask_b32_e32 v3, 0, v3, vcc_lo
	v_cmp_gt_i32_e32 vcc_lo, s11, v32
	v_cndmask_b32_e32 v9, 0, v9, vcc_lo
.LBB102_30:                             ;   in Loop: Header=BB102_26 Depth=1
	s_or_b32 exec_lo, exec_lo, s13
	v_lshlrev_b32_e32 v45, 16, v45
	v_lshlrev_b32_e32 v10, 16, v10
	;; [unrolled: 1-line block ×3, first 2 shown]
	v_and_or_b32 v1, 0xffff, v1, v45
	v_and_or_b32 v2, 0xffff, v2, v10
	;; [unrolled: 1-line block ×3, first 2 shown]
	;;#ASMSTART
	v_pk_mul_f16 v1, v38, v1;

	;;#ASMEND
	;;#ASMSTART
	v_pk_mul_f16 v2, v36, v2;

	;;#ASMEND
	;; [unrolled: 4-line block ×4, first 2 shown]
	;;#ASMSTART
	v_pk_add_f16 v1, v1, v2;

	;;#ASMEND
	;;#ASMSTART
	v_pk_add_f16 v1, v1, v3;

	;;#ASMEND
	;; [unrolled: 4-line block ×3, first 2 shown]
	v_and_b32_e32 v2, 0xffff, v1
	v_lshrrev_b32_e32 v1, 16, v1
	;;#ASMSTART
	v_cvt_f32_f16 v45, v2;
	;;#ASMEND
	;;#ASMSTART
	v_cvt_f32_f16 v46, v1;
	;;#ASMEND
	global_load_dwordx4 v[1:4], v[7:8], off offset:1024
	s_waitcnt vmcnt(0)
	v_lshrrev_b32_e32 v47, 16, v1
	v_lshrrev_b32_e32 v10, 16, v2
	;; [unrolled: 1-line block ×3, first 2 shown]
	s_and_saveexec_b32 s13, s0
	s_cbranch_execz .LBB102_32
; %bb.31:                               ;   in Loop: Header=BB102_26 Depth=1
	v_cmp_gt_i32_e32 vcc_lo, s11, v37
	v_and_b32_e32 v48, 0xffff0000, v4
	v_cmp_gt_i32_e64 s1, s11, v35
	v_cndmask_b32_e32 v1, 0, v1, vcc_lo
	v_cmp_gt_i32_e32 vcc_lo, s11, v42
	v_cndmask_b32_e64 v2, 0, v2, s1
	v_cmp_gt_i32_e64 s1, s11, v34
	v_cndmask_b32_e32 v47, 0, v47, vcc_lo
	v_cmp_gt_i32_e32 vcc_lo, s11, v41
	v_cndmask_b32_e64 v10, 0, v10, s1
	v_cndmask_b32_sdwa v4, v26, v4, vcc_lo dst_sel:DWORD dst_unused:UNUSED_PAD src0_sel:DWORD src1_sel:WORD_0
	v_cmp_gt_i32_e32 vcc_lo, s11, v29
	v_cndmask_b32_e32 v48, 0, v48, vcc_lo
	v_cmp_gt_i32_e32 vcc_lo, s11, v33
	v_or_b32_e32 v4, v4, v48
	v_cndmask_b32_e32 v3, 0, v3, vcc_lo
	v_cmp_gt_i32_e32 vcc_lo, s11, v32
	v_cndmask_b32_e32 v9, 0, v9, vcc_lo
.LBB102_32:                             ;   in Loop: Header=BB102_26 Depth=1
	s_or_b32 exec_lo, exec_lo, s13
	v_lshlrev_b32_e32 v47, 16, v47
	v_lshlrev_b32_e32 v10, 16, v10
	;; [unrolled: 1-line block ×3, first 2 shown]
	v_and_or_b32 v1, 0xffff, v1, v47
	v_and_or_b32 v2, 0xffff, v2, v10
	;; [unrolled: 1-line block ×3, first 2 shown]
	;;#ASMSTART
	v_pk_mul_f16 v1, v38, v1;

	;;#ASMEND
	;;#ASMSTART
	v_pk_mul_f16 v2, v36, v2;

	;;#ASMEND
	;; [unrolled: 4-line block ×4, first 2 shown]
	;;#ASMSTART
	v_pk_add_f16 v1, v1, v2;

	;;#ASMEND
	;;#ASMSTART
	v_pk_add_f16 v1, v1, v3;

	;;#ASMEND
	;; [unrolled: 4-line block ×3, first 2 shown]
	v_and_b32_e32 v2, 0xffff, v1
	v_lshrrev_b32_e32 v1, 16, v1
	;;#ASMSTART
	v_cvt_f32_f16 v47, v2;
	;;#ASMEND
	;;#ASMSTART
	v_cvt_f32_f16 v48, v1;
	;;#ASMEND
	global_load_dwordx4 v[1:4], v[7:8], off offset:1536
	s_waitcnt vmcnt(0)
	v_lshrrev_b32_e32 v49, 16, v1
	v_lshrrev_b32_e32 v10, 16, v2
	;; [unrolled: 1-line block ×3, first 2 shown]
	s_and_saveexec_b32 s13, s0
	s_cbranch_execz .LBB102_34
; %bb.33:                               ;   in Loop: Header=BB102_26 Depth=1
	v_cmp_gt_i32_e32 vcc_lo, s11, v37
	v_and_b32_e32 v50, 0xffff0000, v4
	v_cmp_gt_i32_e64 s1, s11, v35
	v_cndmask_b32_e32 v1, 0, v1, vcc_lo
	v_cmp_gt_i32_e32 vcc_lo, s11, v42
	v_cndmask_b32_e64 v2, 0, v2, s1
	v_cmp_gt_i32_e64 s1, s11, v34
	v_cndmask_b32_e32 v49, 0, v49, vcc_lo
	v_cmp_gt_i32_e32 vcc_lo, s11, v41
	v_cndmask_b32_e64 v10, 0, v10, s1
	v_cndmask_b32_sdwa v4, v26, v4, vcc_lo dst_sel:DWORD dst_unused:UNUSED_PAD src0_sel:DWORD src1_sel:WORD_0
	v_cmp_gt_i32_e32 vcc_lo, s11, v29
	v_cndmask_b32_e32 v50, 0, v50, vcc_lo
	v_cmp_gt_i32_e32 vcc_lo, s11, v33
	v_or_b32_e32 v4, v4, v50
	v_cndmask_b32_e32 v3, 0, v3, vcc_lo
	v_cmp_gt_i32_e32 vcc_lo, s11, v32
	v_cndmask_b32_e32 v9, 0, v9, vcc_lo
.LBB102_34:                             ;   in Loop: Header=BB102_26 Depth=1
	s_or_b32 exec_lo, exec_lo, s13
	v_lshlrev_b32_e32 v9, 16, v9
	v_lshlrev_b32_e32 v49, 16, v49
	;; [unrolled: 1-line block ×3, first 2 shown]
	v_and_or_b32 v3, 0xffff, v3, v9
	v_add_co_u32 v9, vcc_lo, 0x800, v7
	v_and_or_b32 v1, 0xffff, v1, v49
	v_and_or_b32 v2, 0xffff, v2, v10
	;;#ASMSTART
	v_pk_mul_f16 v1, v38, v1;

	;;#ASMEND
	v_add_co_ci_u32_e64 v10, null, 0, v8, vcc_lo
	;;#ASMSTART
	v_pk_mul_f16 v2, v36, v2;

	;;#ASMEND
	;;#ASMSTART
	v_pk_mul_f16 v3, v39, v3;

	;;#ASMEND
	;; [unrolled: 4-line block ×3, first 2 shown]
	;;#ASMSTART
	v_pk_add_f16 v1, v1, v2;

	;;#ASMEND
	;;#ASMSTART
	v_pk_add_f16 v1, v1, v3;

	;;#ASMEND
	;; [unrolled: 4-line block ×3, first 2 shown]
	v_lshrrev_b32_e32 v2, 16, v1
	v_and_b32_e32 v1, 0xffff, v1
	;;#ASMSTART
	v_cvt_f32_f16 v49, v1;
	;;#ASMEND
	;;#ASMSTART
	v_cvt_f32_f16 v50, v2;
	;;#ASMEND
	global_load_dwordx4 v[1:4], v[9:10], off
	s_waitcnt vmcnt(0)
	v_lshrrev_b32_e32 v55, 16, v1
	v_lshrrev_b32_e32 v54, 16, v2
	;; [unrolled: 1-line block ×3, first 2 shown]
	s_and_saveexec_b32 s13, s0
	s_cbranch_execz .LBB102_36
; %bb.35:                               ;   in Loop: Header=BB102_26 Depth=1
	v_cmp_gt_i32_e32 vcc_lo, s11, v37
	v_and_b32_e32 v56, 0xffff0000, v4
	v_cmp_gt_i32_e64 s1, s11, v35
	v_cndmask_b32_e32 v1, 0, v1, vcc_lo
	v_cmp_gt_i32_e32 vcc_lo, s11, v42
	v_cndmask_b32_e64 v2, 0, v2, s1
	v_cmp_gt_i32_e64 s1, s11, v34
	v_cndmask_b32_e32 v55, 0, v55, vcc_lo
	v_cmp_gt_i32_e32 vcc_lo, s11, v41
	v_cndmask_b32_e64 v54, 0, v54, s1
	v_cndmask_b32_sdwa v4, v26, v4, vcc_lo dst_sel:DWORD dst_unused:UNUSED_PAD src0_sel:DWORD src1_sel:WORD_0
	v_cmp_gt_i32_e32 vcc_lo, s11, v29
	v_cndmask_b32_e32 v56, 0, v56, vcc_lo
	v_cmp_gt_i32_e32 vcc_lo, s11, v33
	v_or_b32_e32 v4, v4, v56
	v_cndmask_b32_e32 v3, 0, v3, vcc_lo
	v_cmp_gt_i32_e32 vcc_lo, s11, v32
	v_cndmask_b32_e32 v53, 0, v53, vcc_lo
.LBB102_36:                             ;   in Loop: Header=BB102_26 Depth=1
	s_or_b32 exec_lo, exec_lo, s13
	v_lshlrev_b32_e32 v55, 16, v55
	v_lshlrev_b32_e32 v54, 16, v54
	;; [unrolled: 1-line block ×3, first 2 shown]
	v_and_or_b32 v1, 0xffff, v1, v55
	v_and_or_b32 v2, 0xffff, v2, v54
	;; [unrolled: 1-line block ×3, first 2 shown]
	;;#ASMSTART
	v_pk_mul_f16 v1, v38, v1;

	;;#ASMEND
	;;#ASMSTART
	v_pk_mul_f16 v2, v36, v2;

	;;#ASMEND
	;; [unrolled: 4-line block ×4, first 2 shown]
	;;#ASMSTART
	v_pk_add_f16 v1, v1, v2;

	;;#ASMEND
	;;#ASMSTART
	v_pk_add_f16 v1, v1, v3;

	;;#ASMEND
	;;#ASMSTART
	v_pk_add_f16 v1, v1, v4;

	;;#ASMEND
	v_and_b32_e32 v2, 0xffff, v1
	v_lshrrev_b32_e32 v1, 16, v1
	;;#ASMSTART
	v_cvt_f32_f16 v53, v2;
	;;#ASMEND
	;;#ASMSTART
	v_cvt_f32_f16 v54, v1;
	;;#ASMEND
	global_load_dwordx4 v[1:4], v[9:10], off offset:512
	s_waitcnt vmcnt(0)
	v_lshrrev_b32_e32 v57, 16, v1
	v_lshrrev_b32_e32 v56, 16, v2
	;; [unrolled: 1-line block ×3, first 2 shown]
	s_and_saveexec_b32 s13, s0
	s_cbranch_execz .LBB102_38
; %bb.37:                               ;   in Loop: Header=BB102_26 Depth=1
	v_cmp_gt_i32_e32 vcc_lo, s11, v37
	v_and_b32_e32 v58, 0xffff0000, v4
	v_cmp_gt_i32_e64 s1, s11, v35
	v_cndmask_b32_e32 v1, 0, v1, vcc_lo
	v_cmp_gt_i32_e32 vcc_lo, s11, v42
	v_cndmask_b32_e64 v2, 0, v2, s1
	v_cmp_gt_i32_e64 s1, s11, v34
	v_cndmask_b32_e32 v57, 0, v57, vcc_lo
	v_cmp_gt_i32_e32 vcc_lo, s11, v41
	v_cndmask_b32_e64 v56, 0, v56, s1
	v_cndmask_b32_sdwa v4, v26, v4, vcc_lo dst_sel:DWORD dst_unused:UNUSED_PAD src0_sel:DWORD src1_sel:WORD_0
	v_cmp_gt_i32_e32 vcc_lo, s11, v29
	v_cndmask_b32_e32 v58, 0, v58, vcc_lo
	v_cmp_gt_i32_e32 vcc_lo, s11, v33
	v_or_b32_e32 v4, v4, v58
	v_cndmask_b32_e32 v3, 0, v3, vcc_lo
	v_cmp_gt_i32_e32 vcc_lo, s11, v32
	v_cndmask_b32_e32 v55, 0, v55, vcc_lo
.LBB102_38:                             ;   in Loop: Header=BB102_26 Depth=1
	s_or_b32 exec_lo, exec_lo, s13
	v_lshlrev_b32_e32 v57, 16, v57
	v_lshlrev_b32_e32 v56, 16, v56
	;; [unrolled: 1-line block ×3, first 2 shown]
	v_and_or_b32 v1, 0xffff, v1, v57
	v_and_or_b32 v2, 0xffff, v2, v56
	;; [unrolled: 1-line block ×3, first 2 shown]
	;;#ASMSTART
	v_pk_mul_f16 v1, v38, v1;

	;;#ASMEND
	;;#ASMSTART
	v_pk_mul_f16 v2, v36, v2;

	;;#ASMEND
	;; [unrolled: 4-line block ×4, first 2 shown]
	;;#ASMSTART
	v_pk_add_f16 v1, v1, v2;

	;;#ASMEND
	;;#ASMSTART
	v_pk_add_f16 v1, v1, v3;

	;;#ASMEND
	;; [unrolled: 4-line block ×3, first 2 shown]
	v_and_b32_e32 v2, 0xffff, v1
	v_lshrrev_b32_e32 v1, 16, v1
	;;#ASMSTART
	v_cvt_f32_f16 v55, v2;
	;;#ASMEND
	;;#ASMSTART
	v_cvt_f32_f16 v56, v1;
	;;#ASMEND
	global_load_dwordx4 v[1:4], v[9:10], off offset:1024
	s_waitcnt vmcnt(0)
	v_lshrrev_b32_e32 v59, 16, v1
	v_lshrrev_b32_e32 v58, 16, v2
	;; [unrolled: 1-line block ×3, first 2 shown]
	s_and_saveexec_b32 s13, s0
	s_cbranch_execz .LBB102_40
; %bb.39:                               ;   in Loop: Header=BB102_26 Depth=1
	v_cmp_gt_i32_e32 vcc_lo, s11, v37
	v_and_b32_e32 v60, 0xffff0000, v4
	v_cmp_gt_i32_e64 s1, s11, v35
	v_cndmask_b32_e32 v1, 0, v1, vcc_lo
	v_cmp_gt_i32_e32 vcc_lo, s11, v42
	v_cndmask_b32_e64 v2, 0, v2, s1
	v_cmp_gt_i32_e64 s1, s11, v34
	v_cndmask_b32_e32 v59, 0, v59, vcc_lo
	v_cmp_gt_i32_e32 vcc_lo, s11, v41
	v_cndmask_b32_e64 v58, 0, v58, s1
	v_cndmask_b32_sdwa v4, v26, v4, vcc_lo dst_sel:DWORD dst_unused:UNUSED_PAD src0_sel:DWORD src1_sel:WORD_0
	v_cmp_gt_i32_e32 vcc_lo, s11, v29
	v_cndmask_b32_e32 v60, 0, v60, vcc_lo
	v_cmp_gt_i32_e32 vcc_lo, s11, v33
	v_or_b32_e32 v4, v4, v60
	v_cndmask_b32_e32 v3, 0, v3, vcc_lo
	v_cmp_gt_i32_e32 vcc_lo, s11, v32
	v_cndmask_b32_e32 v57, 0, v57, vcc_lo
.LBB102_40:                             ;   in Loop: Header=BB102_26 Depth=1
	s_or_b32 exec_lo, exec_lo, s13
	v_lshlrev_b32_e32 v59, 16, v59
	v_lshlrev_b32_e32 v58, 16, v58
	;; [unrolled: 1-line block ×3, first 2 shown]
	v_and_or_b32 v1, 0xffff, v1, v59
	v_and_or_b32 v2, 0xffff, v2, v58
	;; [unrolled: 1-line block ×3, first 2 shown]
	;;#ASMSTART
	v_pk_mul_f16 v1, v38, v1;

	;;#ASMEND
	;;#ASMSTART
	v_pk_mul_f16 v2, v36, v2;

	;;#ASMEND
	;; [unrolled: 4-line block ×4, first 2 shown]
	;;#ASMSTART
	v_pk_add_f16 v1, v1, v2;

	;;#ASMEND
	;;#ASMSTART
	v_pk_add_f16 v1, v1, v3;

	;;#ASMEND
	;; [unrolled: 4-line block ×3, first 2 shown]
	v_and_b32_e32 v2, 0xffff, v1
	v_lshrrev_b32_e32 v1, 16, v1
	;;#ASMSTART
	v_cvt_f32_f16 v57, v2;
	;;#ASMEND
	;;#ASMSTART
	v_cvt_f32_f16 v58, v1;
	;;#ASMEND
	global_load_dwordx4 v[1:4], v[9:10], off offset:1536
	s_waitcnt vmcnt(0)
	v_lshrrev_b32_e32 v59, 16, v1
	v_lshrrev_b32_e32 v10, 16, v2
	;; [unrolled: 1-line block ×3, first 2 shown]
	s_and_saveexec_b32 s13, s0
	s_cbranch_execz .LBB102_42
; %bb.41:                               ;   in Loop: Header=BB102_26 Depth=1
	v_cmp_gt_i32_e32 vcc_lo, s11, v37
	v_and_b32_e32 v60, 0xffff0000, v4
	v_cmp_gt_i32_e64 s1, s11, v35
	v_cndmask_b32_e32 v1, 0, v1, vcc_lo
	v_cmp_gt_i32_e32 vcc_lo, s11, v42
	v_cndmask_b32_e64 v2, 0, v2, s1
	v_cmp_gt_i32_e64 s1, s11, v34
	v_cndmask_b32_e32 v59, 0, v59, vcc_lo
	v_cmp_gt_i32_e32 vcc_lo, s11, v41
	v_cndmask_b32_e64 v10, 0, v10, s1
	v_cndmask_b32_sdwa v4, v26, v4, vcc_lo dst_sel:DWORD dst_unused:UNUSED_PAD src0_sel:DWORD src1_sel:WORD_0
	v_cmp_gt_i32_e32 vcc_lo, s11, v29
	v_cndmask_b32_e32 v60, 0, v60, vcc_lo
	v_cmp_gt_i32_e32 vcc_lo, s11, v33
	v_or_b32_e32 v4, v4, v60
	v_cndmask_b32_e32 v3, 0, v3, vcc_lo
	v_cmp_gt_i32_e32 vcc_lo, s11, v32
	v_cndmask_b32_e32 v9, 0, v9, vcc_lo
.LBB102_42:                             ;   in Loop: Header=BB102_26 Depth=1
	s_or_b32 exec_lo, exec_lo, s13
	v_lshlrev_b32_e32 v59, 16, v59
	v_lshlrev_b32_e32 v10, 16, v10
	;; [unrolled: 1-line block ×3, first 2 shown]
	v_add_co_u32 v7, vcc_lo, 0x1000, v7
	v_and_or_b32 v1, 0xffff, v1, v59
	v_and_or_b32 v2, 0xffff, v2, v10
	;; [unrolled: 1-line block ×3, first 2 shown]
	;;#ASMSTART
	v_pk_mul_f16 v1, v38, v1;

	;;#ASMEND
	v_add_co_ci_u32_e64 v8, null, 0, v8, vcc_lo
	;;#ASMSTART
	v_pk_mul_f16 v2, v36, v2;

	;;#ASMEND
	;;#ASMSTART
	v_pk_mul_f16 v3, v39, v3;

	;;#ASMEND
	;; [unrolled: 4-line block ×3, first 2 shown]
	;;#ASMSTART
	v_pk_add_f16 v1, v1, v2;

	;;#ASMEND
	;;#ASMSTART
	v_pk_add_f16 v1, v1, v3;

	;;#ASMEND
	;; [unrolled: 4-line block ×3, first 2 shown]
	v_lshrrev_b32_e32 v2, 16, v1
	v_and_b32_e32 v1, 0xffff, v1
	;;#ASMSTART
	v_cvt_f32_f16 v9, v1;
	;;#ASMEND
	;;#ASMSTART
	v_cvt_f32_f16 v10, v2;
	;;#ASMEND
	global_load_dwordx4 v[1:4], v[7:8], off
	s_waitcnt vmcnt(0)
	v_lshrrev_b32_e32 v61, 16, v1
	v_lshrrev_b32_e32 v60, 16, v2
	;; [unrolled: 1-line block ×3, first 2 shown]
	s_and_saveexec_b32 s13, s0
	s_cbranch_execz .LBB102_44
; %bb.43:                               ;   in Loop: Header=BB102_26 Depth=1
	v_cmp_gt_i32_e32 vcc_lo, s11, v37
	v_and_b32_e32 v62, 0xffff0000, v4
	v_cmp_gt_i32_e64 s1, s11, v35
	v_cndmask_b32_e32 v1, 0, v1, vcc_lo
	v_cmp_gt_i32_e32 vcc_lo, s11, v42
	v_cndmask_b32_e64 v2, 0, v2, s1
	v_cmp_gt_i32_e64 s1, s11, v34
	v_cndmask_b32_e32 v61, 0, v61, vcc_lo
	v_cmp_gt_i32_e32 vcc_lo, s11, v41
	v_cndmask_b32_e64 v60, 0, v60, s1
	v_cndmask_b32_sdwa v4, v26, v4, vcc_lo dst_sel:DWORD dst_unused:UNUSED_PAD src0_sel:DWORD src1_sel:WORD_0
	v_cmp_gt_i32_e32 vcc_lo, s11, v29
	v_cndmask_b32_e32 v62, 0, v62, vcc_lo
	v_cmp_gt_i32_e32 vcc_lo, s11, v33
	v_or_b32_e32 v4, v4, v62
	v_cndmask_b32_e32 v3, 0, v3, vcc_lo
	v_cmp_gt_i32_e32 vcc_lo, s11, v32
	v_cndmask_b32_e32 v59, 0, v59, vcc_lo
.LBB102_44:                             ;   in Loop: Header=BB102_26 Depth=1
	s_or_b32 exec_lo, exec_lo, s13
	v_lshlrev_b32_e32 v61, 16, v61
	v_lshlrev_b32_e32 v60, 16, v60
	;; [unrolled: 1-line block ×3, first 2 shown]
	v_and_or_b32 v1, 0xffff, v1, v61
	v_and_or_b32 v2, 0xffff, v2, v60
	;; [unrolled: 1-line block ×3, first 2 shown]
	;;#ASMSTART
	v_pk_mul_f16 v1, v38, v1;

	;;#ASMEND
	;;#ASMSTART
	v_pk_mul_f16 v2, v36, v2;

	;;#ASMEND
	;; [unrolled: 4-line block ×4, first 2 shown]
	;;#ASMSTART
	v_pk_add_f16 v1, v1, v2;

	;;#ASMEND
	;;#ASMSTART
	v_pk_add_f16 v1, v1, v3;

	;;#ASMEND
	;; [unrolled: 4-line block ×3, first 2 shown]
	v_and_b32_e32 v2, 0xffff, v1
	v_lshrrev_b32_e32 v1, 16, v1
	;;#ASMSTART
	v_cvt_f32_f16 v59, v2;
	;;#ASMEND
	;;#ASMSTART
	v_cvt_f32_f16 v60, v1;
	;;#ASMEND
	global_load_dwordx4 v[1:4], v[7:8], off offset:512
	s_waitcnt vmcnt(0)
	v_lshrrev_b32_e32 v63, 16, v1
	v_lshrrev_b32_e32 v62, 16, v2
	;; [unrolled: 1-line block ×3, first 2 shown]
	s_and_saveexec_b32 s13, s0
	s_cbranch_execz .LBB102_46
; %bb.45:                               ;   in Loop: Header=BB102_26 Depth=1
	v_cmp_gt_i32_e32 vcc_lo, s11, v37
	v_and_b32_e32 v64, 0xffff0000, v4
	v_cmp_gt_i32_e64 s1, s11, v35
	v_cndmask_b32_e32 v1, 0, v1, vcc_lo
	v_cmp_gt_i32_e32 vcc_lo, s11, v42
	v_cndmask_b32_e64 v2, 0, v2, s1
	v_cmp_gt_i32_e64 s1, s11, v34
	v_cndmask_b32_e32 v63, 0, v63, vcc_lo
	v_cmp_gt_i32_e32 vcc_lo, s11, v41
	v_cndmask_b32_e64 v62, 0, v62, s1
	v_cndmask_b32_sdwa v4, v26, v4, vcc_lo dst_sel:DWORD dst_unused:UNUSED_PAD src0_sel:DWORD src1_sel:WORD_0
	v_cmp_gt_i32_e32 vcc_lo, s11, v29
	v_cndmask_b32_e32 v64, 0, v64, vcc_lo
	v_cmp_gt_i32_e32 vcc_lo, s11, v33
	v_or_b32_e32 v4, v4, v64
	v_cndmask_b32_e32 v3, 0, v3, vcc_lo
	v_cmp_gt_i32_e32 vcc_lo, s11, v32
	v_cndmask_b32_e32 v61, 0, v61, vcc_lo
.LBB102_46:                             ;   in Loop: Header=BB102_26 Depth=1
	s_or_b32 exec_lo, exec_lo, s13
	v_lshlrev_b32_e32 v63, 16, v63
	v_lshlrev_b32_e32 v62, 16, v62
	;; [unrolled: 1-line block ×3, first 2 shown]
	v_and_or_b32 v1, 0xffff, v1, v63
	v_and_or_b32 v2, 0xffff, v2, v62
	;; [unrolled: 1-line block ×3, first 2 shown]
	;;#ASMSTART
	v_pk_mul_f16 v1, v38, v1;

	;;#ASMEND
	;;#ASMSTART
	v_pk_mul_f16 v2, v36, v2;

	;;#ASMEND
	;; [unrolled: 4-line block ×4, first 2 shown]
	;;#ASMSTART
	v_pk_add_f16 v1, v1, v2;

	;;#ASMEND
	;;#ASMSTART
	v_pk_add_f16 v1, v1, v3;

	;;#ASMEND
	;; [unrolled: 4-line block ×3, first 2 shown]
	v_and_b32_e32 v2, 0xffff, v1
	v_lshrrev_b32_e32 v1, 16, v1
	;;#ASMSTART
	v_cvt_f32_f16 v61, v2;
	;;#ASMEND
	;;#ASMSTART
	v_cvt_f32_f16 v62, v1;
	;;#ASMEND
	global_load_dwordx4 v[1:4], v[7:8], off offset:1024
	s_waitcnt vmcnt(0)
	v_lshrrev_b32_e32 v65, 16, v1
	v_lshrrev_b32_e32 v64, 16, v2
	;; [unrolled: 1-line block ×3, first 2 shown]
	s_and_saveexec_b32 s13, s0
	s_cbranch_execz .LBB102_48
; %bb.47:                               ;   in Loop: Header=BB102_26 Depth=1
	v_cmp_gt_i32_e32 vcc_lo, s11, v37
	v_and_b32_e32 v66, 0xffff0000, v4
	v_cmp_gt_i32_e64 s1, s11, v35
	v_cndmask_b32_e32 v1, 0, v1, vcc_lo
	v_cmp_gt_i32_e32 vcc_lo, s11, v42
	v_cndmask_b32_e64 v2, 0, v2, s1
	v_cmp_gt_i32_e64 s1, s11, v34
	v_cndmask_b32_e32 v65, 0, v65, vcc_lo
	v_cmp_gt_i32_e32 vcc_lo, s11, v41
	v_cndmask_b32_e64 v64, 0, v64, s1
	v_cndmask_b32_sdwa v4, v26, v4, vcc_lo dst_sel:DWORD dst_unused:UNUSED_PAD src0_sel:DWORD src1_sel:WORD_0
	v_cmp_gt_i32_e32 vcc_lo, s11, v29
	v_cndmask_b32_e32 v66, 0, v66, vcc_lo
	v_cmp_gt_i32_e32 vcc_lo, s11, v33
	v_or_b32_e32 v4, v4, v66
	v_cndmask_b32_e32 v3, 0, v3, vcc_lo
	v_cmp_gt_i32_e32 vcc_lo, s11, v32
	v_cndmask_b32_e32 v63, 0, v63, vcc_lo
.LBB102_48:                             ;   in Loop: Header=BB102_26 Depth=1
	s_or_b32 exec_lo, exec_lo, s13
	v_lshlrev_b32_e32 v65, 16, v65
	v_lshlrev_b32_e32 v64, 16, v64
	;; [unrolled: 1-line block ×3, first 2 shown]
	v_and_or_b32 v1, 0xffff, v1, v65
	v_and_or_b32 v2, 0xffff, v2, v64
	;; [unrolled: 1-line block ×3, first 2 shown]
	;;#ASMSTART
	v_pk_mul_f16 v1, v38, v1;

	;;#ASMEND
	;;#ASMSTART
	v_pk_mul_f16 v2, v36, v2;

	;;#ASMEND
	;; [unrolled: 4-line block ×4, first 2 shown]
	;;#ASMSTART
	v_pk_add_f16 v1, v1, v2;

	;;#ASMEND
	;;#ASMSTART
	v_pk_add_f16 v1, v1, v3;

	;;#ASMEND
	;; [unrolled: 4-line block ×3, first 2 shown]
	v_and_b32_e32 v2, 0xffff, v1
	v_lshrrev_b32_e32 v1, 16, v1
	;;#ASMSTART
	v_cvt_f32_f16 v64, v2;
	;;#ASMEND
	;;#ASMSTART
	v_cvt_f32_f16 v65, v1;
	;;#ASMEND
	global_load_dwordx4 v[1:4], v[7:8], off offset:1536
	s_waitcnt vmcnt(0)
	v_lshrrev_b32_e32 v63, 16, v1
	v_lshrrev_b32_e32 v8, 16, v2
	;; [unrolled: 1-line block ×3, first 2 shown]
	s_and_saveexec_b32 s1, s0
	s_cbranch_execz .LBB102_25
; %bb.49:                               ;   in Loop: Header=BB102_26 Depth=1
	v_cmp_gt_i32_e32 vcc_lo, s11, v37
	v_cmp_gt_i32_e64 s0, s11, v35
	v_cndmask_b32_e32 v1, 0, v1, vcc_lo
	v_cmp_gt_i32_e32 vcc_lo, s11, v42
	v_cndmask_b32_e64 v2, 0, v2, s0
	v_cmp_gt_i32_e64 s0, s11, v34
	v_and_b32_e32 v34, 0xffff0000, v4
	v_cndmask_b32_e32 v63, 0, v63, vcc_lo
	v_cmp_gt_i32_e32 vcc_lo, s11, v41
	v_cndmask_b32_e64 v8, 0, v8, s0
	v_cndmask_b32_sdwa v4, v26, v4, vcc_lo dst_sel:DWORD dst_unused:UNUSED_PAD src0_sel:DWORD src1_sel:WORD_0
	v_cmp_gt_i32_e32 vcc_lo, s11, v29
	v_cndmask_b32_e32 v34, 0, v34, vcc_lo
	v_cmp_gt_i32_e32 vcc_lo, s11, v33
	v_or_b32_e32 v4, v4, v34
	v_cndmask_b32_e32 v3, 0, v3, vcc_lo
	v_cmp_gt_i32_e32 vcc_lo, s11, v32
	v_cndmask_b32_e32 v7, 0, v7, vcc_lo
	s_branch .LBB102_25
.LBB102_50:
	s_or_b32 exec_lo, exec_lo, s4
.LBB102_51:
	s_or_b32 exec_lo, exec_lo, s2
	ds_bpermute_b32 v1, v12, v23
	ds_bpermute_b32 v10, v12, v16
	;; [unrolled: 1-line block ×12, first 2 shown]
	s_mov_b32 s0, exec_lo
	s_waitcnt lgkmcnt(0)
	s_barrier
	buffer_gl0_inv
	v_add_f32_e32 v1, v23, v1
	v_add_f32_e32 v16, v16, v10
	;; [unrolled: 1-line block ×12, first 2 shown]
	ds_bpermute_b32 v7, v11, v1
	ds_bpermute_b32 v26, v11, v16
	;; [unrolled: 1-line block ×12, first 2 shown]
	s_waitcnt lgkmcnt(11)
	v_add_f32_e32 v12, v1, v7
	s_waitcnt lgkmcnt(10)
	v_add_f32_e32 v1, v16, v26
	v_and_b32_e32 v16, 28, v52
	s_waitcnt lgkmcnt(9)
	v_add_f32_e32 v11, v2, v8
	s_waitcnt lgkmcnt(8)
	v_add_f32_e32 v10, v3, v9
	;; [unrolled: 2-line block ×9, first 2 shown]
	v_and_b32_e32 v17, 0x3c3, v0
	s_waitcnt lgkmcnt(0)
	v_add_f32_e32 v5, v14, v28
	v_lshrrev_b32_e32 v15, 2, v52
	v_add_nc_u32_e32 v14, 0xe0, v16
	v_mul_u32_u24_e32 v16, 0x180, v51
	v_cmpx_eq_u32_e32 64, v17
	s_cbranch_execz .LBB102_53
; %bb.52:
	v_add_nc_u32_e32 v17, v14, v16
	v_add_nc_u32_e32 v18, 0xfffffd00, v17
	v_add_nc_u32_e32 v19, 0xfffffd20, v17
	v_add_nc_u32_e32 v20, 0xfffffd40, v17
	v_add_nc_u32_e32 v21, 0xfffffd60, v17
	v_add_nc_u32_e32 v22, 0xfffffd80, v17
	v_add_nc_u32_e32 v23, 0xfffffda0, v17
	v_add_nc_u32_e32 v24, 0xfffffdc0, v17
	ds_write_b32 v18, v12
	ds_write_b32 v19, v11
	;; [unrolled: 1-line block ×7, first 2 shown]
	v_add_nc_u32_e32 v18, 0xfffffde0, v17
	v_add_nc_u32_e32 v19, 0xfffffe00, v17
	;; [unrolled: 1-line block ×5, first 2 shown]
	ds_write_b32 v18, v3
	ds_write_b32 v19, v2
	;; [unrolled: 1-line block ×5, first 2 shown]
.LBB102_53:
	s_or_b32 exec_lo, exec_lo, s0
	v_lshlrev_b32_e32 v15, 2, v15
	v_cmp_eq_u32_e32 vcc_lo, 0, v13
	s_mov_b32 s1, exec_lo
	s_waitcnt lgkmcnt(0)
	s_barrier
	v_add3_u32 v13, 0xe0, v16, v15
	buffer_gl0_inv
	v_cmpx_gt_u32_e32 64, v0
	s_cbranch_execz .LBB102_68
; %bb.54:
	s_and_saveexec_b32 s0, vcc_lo
	s_cbranch_execnz .LBB102_88
; %bb.55:
	s_or_b32 exec_lo, exec_lo, s0
	s_and_saveexec_b32 s0, vcc_lo
	s_cbranch_execnz .LBB102_89
.LBB102_56:
	s_or_b32 exec_lo, exec_lo, s0
	s_and_saveexec_b32 s0, vcc_lo
	s_cbranch_execnz .LBB102_90
.LBB102_57:
	s_or_b32 exec_lo, exec_lo, s0
	s_and_saveexec_b32 s0, vcc_lo
	s_cbranch_execnz .LBB102_91
.LBB102_58:
	s_or_b32 exec_lo, exec_lo, s0
	s_and_saveexec_b32 s0, vcc_lo
	s_cbranch_execnz .LBB102_92
.LBB102_59:
	s_or_b32 exec_lo, exec_lo, s0
	s_and_saveexec_b32 s0, vcc_lo
	s_cbranch_execnz .LBB102_93
.LBB102_60:
	s_or_b32 exec_lo, exec_lo, s0
	s_and_saveexec_b32 s0, vcc_lo
	s_cbranch_execnz .LBB102_94
.LBB102_61:
	s_or_b32 exec_lo, exec_lo, s0
	s_and_saveexec_b32 s0, vcc_lo
	s_cbranch_execnz .LBB102_95
.LBB102_62:
	s_or_b32 exec_lo, exec_lo, s0
	s_and_saveexec_b32 s0, vcc_lo
	s_cbranch_execnz .LBB102_96
.LBB102_63:
	s_or_b32 exec_lo, exec_lo, s0
	s_and_saveexec_b32 s0, vcc_lo
	s_cbranch_execnz .LBB102_97
.LBB102_64:
	s_or_b32 exec_lo, exec_lo, s0
	s_and_saveexec_b32 s0, vcc_lo
	s_cbranch_execnz .LBB102_98
.LBB102_65:
	s_or_b32 exec_lo, exec_lo, s0
	s_and_saveexec_b32 s0, vcc_lo
	s_cbranch_execz .LBB102_67
.LBB102_66:
	ds_read_b32 v15, v13 offset:352
	s_waitcnt lgkmcnt(0)
	v_add_f32_e32 v5, v5, v15
.LBB102_67:
	s_or_b32 exec_lo, exec_lo, s0
.LBB102_68:
	s_or_b32 exec_lo, exec_lo, s1
	v_and_b32_e32 v15, 0x3e3, v0
	s_mov_b32 s1, exec_lo
	s_barrier
	buffer_gl0_inv
	v_cmpx_eq_u32_e32 32, v15
	s_cbranch_execz .LBB102_70
; %bb.69:
	ds_write2_b32 v14, v12, v11 offset1:8
	ds_write2_b32 v14, v10, v9 offset0:16 offset1:24
	ds_write2_b32 v14, v8, v7 offset0:32 offset1:40
	;; [unrolled: 1-line block ×5, first 2 shown]
.LBB102_70:
	s_or_b32 exec_lo, exec_lo, s1
	s_mov_b32 s1, exec_lo
	s_waitcnt lgkmcnt(0)
	s_barrier
	buffer_gl0_inv
	v_cmpx_gt_u32_e32 32, v0
	s_cbranch_execz .LBB102_85
; %bb.71:
	s_and_saveexec_b32 s0, vcc_lo
	s_cbranch_execnz .LBB102_99
; %bb.72:
	s_or_b32 exec_lo, exec_lo, s0
	s_and_saveexec_b32 s0, vcc_lo
	s_cbranch_execnz .LBB102_100
.LBB102_73:
	s_or_b32 exec_lo, exec_lo, s0
	s_and_saveexec_b32 s0, vcc_lo
	s_cbranch_execnz .LBB102_101
.LBB102_74:
	s_or_b32 exec_lo, exec_lo, s0
	s_and_saveexec_b32 s0, vcc_lo
	s_cbranch_execnz .LBB102_102
.LBB102_75:
	s_or_b32 exec_lo, exec_lo, s0
	s_and_saveexec_b32 s0, vcc_lo
	s_cbranch_execnz .LBB102_103
.LBB102_76:
	s_or_b32 exec_lo, exec_lo, s0
	s_and_saveexec_b32 s0, vcc_lo
	s_cbranch_execnz .LBB102_104
.LBB102_77:
	s_or_b32 exec_lo, exec_lo, s0
	s_and_saveexec_b32 s0, vcc_lo
	s_cbranch_execnz .LBB102_105
.LBB102_78:
	s_or_b32 exec_lo, exec_lo, s0
	s_and_saveexec_b32 s0, vcc_lo
	s_cbranch_execnz .LBB102_106
.LBB102_79:
	s_or_b32 exec_lo, exec_lo, s0
	s_and_saveexec_b32 s0, vcc_lo
	s_cbranch_execnz .LBB102_107
.LBB102_80:
	s_or_b32 exec_lo, exec_lo, s0
	s_and_saveexec_b32 s0, vcc_lo
	s_cbranch_execnz .LBB102_108
.LBB102_81:
	s_or_b32 exec_lo, exec_lo, s0
	s_and_saveexec_b32 s0, vcc_lo
	s_cbranch_execnz .LBB102_109
.LBB102_82:
	s_or_b32 exec_lo, exec_lo, s0
	s_and_saveexec_b32 s0, vcc_lo
	s_cbranch_execz .LBB102_84
.LBB102_83:
	ds_read_b32 v13, v13 offset:352
	s_waitcnt lgkmcnt(0)
	v_add_f32_e32 v5, v5, v13
.LBB102_84:
	s_or_b32 exec_lo, exec_lo, s0
.LBB102_85:
	s_or_b32 exec_lo, exec_lo, s1
	s_barrier
	buffer_gl0_inv
	s_mov_b32 s0, exec_lo
	v_cmpx_eq_u32_e32 0, v15
	s_cbranch_execz .LBB102_87
; %bb.86:
	s_mul_i32 s0, s10, s7
	s_mul_i32 s2, s7, s6
	;; [unrolled: 1-line block ×3, first 2 shown]
	v_lshrrev_b32_e32 v0, 1, v0
	s_mulk_i32 s0, 0x60
	;;#ASMSTART
	v_cvt_f16_f32 v12, v12;

	;;#ASMEND
	s_ashr_i32 s1, s0, 31
	s_lshl_b64 s[0:1], s[0:1], 1
	s_add_u32 s4, s16, s0
	s_addc_u32 s5, s17, s1
	s_ashr_i32 s3, s2, 31
	s_lshl_b64 s[0:1], s[2:3], 1
	s_mul_i32 s2, s8, 0x60
	s_add_u32 s4, s4, s0
	s_addc_u32 s5, s5, s1
	s_ashr_i32 s3, s2, 31
	s_lshl_b64 s[0:1], s[2:3], 1
	s_add_u32 s0, s4, s0
	s_addc_u32 s1, s5, s1
	global_store_short v0, v12, s[0:1]
	;;#ASMSTART
	v_cvt_f16_f32 v11, v11;

	;;#ASMEND
	global_store_short v0, v11, s[0:1] offset:16
	;;#ASMSTART
	v_cvt_f16_f32 v10, v10;

	;;#ASMEND
	global_store_short v0, v10, s[0:1] offset:32
	;; [unrolled: 5-line block ×11, first 2 shown]
.LBB102_87:
	s_endpgm
.LBB102_88:
	ds_read_b32 v15, v13
	s_waitcnt lgkmcnt(0)
	v_add_f32_e32 v12, v12, v15
	s_or_b32 exec_lo, exec_lo, s0
	s_and_saveexec_b32 s0, vcc_lo
	s_cbranch_execz .LBB102_56
.LBB102_89:
	ds_read_b32 v15, v13 offset:32
	s_waitcnt lgkmcnt(0)
	v_add_f32_e32 v11, v11, v15
	s_or_b32 exec_lo, exec_lo, s0
	s_and_saveexec_b32 s0, vcc_lo
	s_cbranch_execz .LBB102_57
.LBB102_90:
	ds_read_b32 v15, v13 offset:64
	s_waitcnt lgkmcnt(0)
	v_add_f32_e32 v10, v10, v15
	s_or_b32 exec_lo, exec_lo, s0
	s_and_saveexec_b32 s0, vcc_lo
	s_cbranch_execz .LBB102_58
.LBB102_91:
	ds_read_b32 v15, v13 offset:96
	s_waitcnt lgkmcnt(0)
	v_add_f32_e32 v9, v9, v15
	s_or_b32 exec_lo, exec_lo, s0
	s_and_saveexec_b32 s0, vcc_lo
	s_cbranch_execz .LBB102_59
.LBB102_92:
	ds_read_b32 v15, v13 offset:128
	s_waitcnt lgkmcnt(0)
	v_add_f32_e32 v8, v8, v15
	s_or_b32 exec_lo, exec_lo, s0
	s_and_saveexec_b32 s0, vcc_lo
	s_cbranch_execz .LBB102_60
.LBB102_93:
	ds_read_b32 v15, v13 offset:160
	s_waitcnt lgkmcnt(0)
	v_add_f32_e32 v7, v7, v15
	s_or_b32 exec_lo, exec_lo, s0
	s_and_saveexec_b32 s0, vcc_lo
	s_cbranch_execz .LBB102_61
.LBB102_94:
	ds_read_b32 v15, v13 offset:192
	s_waitcnt lgkmcnt(0)
	v_add_f32_e32 v6, v6, v15
	s_or_b32 exec_lo, exec_lo, s0
	s_and_saveexec_b32 s0, vcc_lo
	s_cbranch_execz .LBB102_62
.LBB102_95:
	ds_read_b32 v15, v13 offset:224
	s_waitcnt lgkmcnt(0)
	v_add_f32_e32 v3, v3, v15
	s_or_b32 exec_lo, exec_lo, s0
	s_and_saveexec_b32 s0, vcc_lo
	s_cbranch_execz .LBB102_63
.LBB102_96:
	ds_read_b32 v15, v13 offset:256
	s_waitcnt lgkmcnt(0)
	v_add_f32_e32 v2, v2, v15
	s_or_b32 exec_lo, exec_lo, s0
	s_and_saveexec_b32 s0, vcc_lo
	s_cbranch_execz .LBB102_64
.LBB102_97:
	ds_read_b32 v15, v13 offset:288
	s_waitcnt lgkmcnt(0)
	v_add_f32_e32 v1, v1, v15
	s_or_b32 exec_lo, exec_lo, s0
	s_and_saveexec_b32 s0, vcc_lo
	s_cbranch_execz .LBB102_65
.LBB102_98:
	ds_read_b32 v15, v13 offset:320
	s_waitcnt lgkmcnt(0)
	v_add_f32_e32 v4, v4, v15
	s_or_b32 exec_lo, exec_lo, s0
	s_and_saveexec_b32 s0, vcc_lo
	s_cbranch_execnz .LBB102_66
	s_branch .LBB102_67
.LBB102_99:
	ds_read_b32 v14, v13
	s_waitcnt lgkmcnt(0)
	v_add_f32_e32 v12, v12, v14
	s_or_b32 exec_lo, exec_lo, s0
	s_and_saveexec_b32 s0, vcc_lo
	s_cbranch_execz .LBB102_73
.LBB102_100:
	ds_read_b32 v14, v13 offset:32
	s_waitcnt lgkmcnt(0)
	v_add_f32_e32 v11, v11, v14
	s_or_b32 exec_lo, exec_lo, s0
	s_and_saveexec_b32 s0, vcc_lo
	s_cbranch_execz .LBB102_74
.LBB102_101:
	ds_read_b32 v14, v13 offset:64
	s_waitcnt lgkmcnt(0)
	v_add_f32_e32 v10, v10, v14
	s_or_b32 exec_lo, exec_lo, s0
	s_and_saveexec_b32 s0, vcc_lo
	s_cbranch_execz .LBB102_75
.LBB102_102:
	ds_read_b32 v14, v13 offset:96
	s_waitcnt lgkmcnt(0)
	v_add_f32_e32 v9, v9, v14
	s_or_b32 exec_lo, exec_lo, s0
	s_and_saveexec_b32 s0, vcc_lo
	s_cbranch_execz .LBB102_76
.LBB102_103:
	ds_read_b32 v14, v13 offset:128
	s_waitcnt lgkmcnt(0)
	v_add_f32_e32 v8, v8, v14
	s_or_b32 exec_lo, exec_lo, s0
	s_and_saveexec_b32 s0, vcc_lo
	s_cbranch_execz .LBB102_77
.LBB102_104:
	ds_read_b32 v14, v13 offset:160
	s_waitcnt lgkmcnt(0)
	v_add_f32_e32 v7, v7, v14
	s_or_b32 exec_lo, exec_lo, s0
	s_and_saveexec_b32 s0, vcc_lo
	s_cbranch_execz .LBB102_78
.LBB102_105:
	ds_read_b32 v14, v13 offset:192
	s_waitcnt lgkmcnt(0)
	v_add_f32_e32 v6, v6, v14
	s_or_b32 exec_lo, exec_lo, s0
	s_and_saveexec_b32 s0, vcc_lo
	s_cbranch_execz .LBB102_79
.LBB102_106:
	ds_read_b32 v14, v13 offset:224
	s_waitcnt lgkmcnt(0)
	v_add_f32_e32 v3, v3, v14
	s_or_b32 exec_lo, exec_lo, s0
	s_and_saveexec_b32 s0, vcc_lo
	s_cbranch_execz .LBB102_80
.LBB102_107:
	ds_read_b32 v14, v13 offset:256
	s_waitcnt lgkmcnt(0)
	v_add_f32_e32 v2, v2, v14
	s_or_b32 exec_lo, exec_lo, s0
	s_and_saveexec_b32 s0, vcc_lo
	s_cbranch_execz .LBB102_81
.LBB102_108:
	ds_read_b32 v14, v13 offset:288
	s_waitcnt lgkmcnt(0)
	v_add_f32_e32 v1, v1, v14
	s_or_b32 exec_lo, exec_lo, s0
	s_and_saveexec_b32 s0, vcc_lo
	s_cbranch_execz .LBB102_82
.LBB102_109:
	ds_read_b32 v14, v13 offset:320
	s_waitcnt lgkmcnt(0)
	v_add_f32_e32 v4, v4, v14
	s_or_b32 exec_lo, exec_lo, s0
	s_and_saveexec_b32 s0, vcc_lo
	s_cbranch_execnz .LBB102_83
	s_branch .LBB102_84
	.section	.rodata,"a",@progbits
	.p2align	6, 0x0
	.amdhsa_kernel _ZN4vllm25paged_attention_v1_kernelIttLi96ELi32ELi128ELNS_18Fp8KVCacheDataTypeE0ELb0EEEvPT_PKS2_PKT0_S8_ifPKiSA_iPKfiiiSC_SC_iiiii
		.amdhsa_group_segment_fixed_size 224
		.amdhsa_private_segment_fixed_size 0
		.amdhsa_kernarg_size 384
		.amdhsa_user_sgpr_count 6
		.amdhsa_user_sgpr_private_segment_buffer 1
		.amdhsa_user_sgpr_dispatch_ptr 0
		.amdhsa_user_sgpr_queue_ptr 0
		.amdhsa_user_sgpr_kernarg_segment_ptr 1
		.amdhsa_user_sgpr_dispatch_id 0
		.amdhsa_user_sgpr_flat_scratch_init 0
		.amdhsa_user_sgpr_private_segment_size 0
		.amdhsa_wavefront_size32 1
		.amdhsa_uses_dynamic_stack 0
		.amdhsa_system_sgpr_private_segment_wavefront_offset 0
		.amdhsa_system_sgpr_workgroup_id_x 1
		.amdhsa_system_sgpr_workgroup_id_y 1
		.amdhsa_system_sgpr_workgroup_id_z 1
		.amdhsa_system_sgpr_workgroup_info 0
		.amdhsa_system_vgpr_workitem_id 0
		.amdhsa_next_free_vgpr 82
		.amdhsa_next_free_sgpr 28
		.amdhsa_reserve_vcc 1
		.amdhsa_reserve_flat_scratch 0
		.amdhsa_float_round_mode_32 0
		.amdhsa_float_round_mode_16_64 0
		.amdhsa_float_denorm_mode_32 3
		.amdhsa_float_denorm_mode_16_64 3
		.amdhsa_dx10_clamp 1
		.amdhsa_ieee_mode 1
		.amdhsa_fp16_overflow 0
		.amdhsa_workgroup_processor_mode 1
		.amdhsa_memory_ordered 1
		.amdhsa_forward_progress 1
		.amdhsa_shared_vgpr_count 0
		.amdhsa_exception_fp_ieee_invalid_op 0
		.amdhsa_exception_fp_denorm_src 0
		.amdhsa_exception_fp_ieee_div_zero 0
		.amdhsa_exception_fp_ieee_overflow 0
		.amdhsa_exception_fp_ieee_underflow 0
		.amdhsa_exception_fp_ieee_inexact 0
		.amdhsa_exception_int_div_zero 0
	.end_amdhsa_kernel
	.section	.text._ZN4vllm25paged_attention_v1_kernelIttLi96ELi32ELi128ELNS_18Fp8KVCacheDataTypeE0ELb0EEEvPT_PKS2_PKT0_S8_ifPKiSA_iPKfiiiSC_SC_iiiii,"axG",@progbits,_ZN4vllm25paged_attention_v1_kernelIttLi96ELi32ELi128ELNS_18Fp8KVCacheDataTypeE0ELb0EEEvPT_PKS2_PKT0_S8_ifPKiSA_iPKfiiiSC_SC_iiiii,comdat
.Lfunc_end102:
	.size	_ZN4vllm25paged_attention_v1_kernelIttLi96ELi32ELi128ELNS_18Fp8KVCacheDataTypeE0ELb0EEEvPT_PKS2_PKT0_S8_ifPKiSA_iPKfiiiSC_SC_iiiii, .Lfunc_end102-_ZN4vllm25paged_attention_v1_kernelIttLi96ELi32ELi128ELNS_18Fp8KVCacheDataTypeE0ELb0EEEvPT_PKS2_PKT0_S8_ifPKiSA_iPKfiiiSC_SC_iiiii
                                        ; -- End function
	.set _ZN4vllm25paged_attention_v1_kernelIttLi96ELi32ELi128ELNS_18Fp8KVCacheDataTypeE0ELb0EEEvPT_PKS2_PKT0_S8_ifPKiSA_iPKfiiiSC_SC_iiiii.num_vgpr, 82
	.set _ZN4vllm25paged_attention_v1_kernelIttLi96ELi32ELi128ELNS_18Fp8KVCacheDataTypeE0ELb0EEEvPT_PKS2_PKT0_S8_ifPKiSA_iPKfiiiSC_SC_iiiii.num_agpr, 0
	.set _ZN4vllm25paged_attention_v1_kernelIttLi96ELi32ELi128ELNS_18Fp8KVCacheDataTypeE0ELb0EEEvPT_PKS2_PKT0_S8_ifPKiSA_iPKfiiiSC_SC_iiiii.numbered_sgpr, 28
	.set _ZN4vllm25paged_attention_v1_kernelIttLi96ELi32ELi128ELNS_18Fp8KVCacheDataTypeE0ELb0EEEvPT_PKS2_PKT0_S8_ifPKiSA_iPKfiiiSC_SC_iiiii.num_named_barrier, 0
	.set _ZN4vllm25paged_attention_v1_kernelIttLi96ELi32ELi128ELNS_18Fp8KVCacheDataTypeE0ELb0EEEvPT_PKS2_PKT0_S8_ifPKiSA_iPKfiiiSC_SC_iiiii.private_seg_size, 0
	.set _ZN4vllm25paged_attention_v1_kernelIttLi96ELi32ELi128ELNS_18Fp8KVCacheDataTypeE0ELb0EEEvPT_PKS2_PKT0_S8_ifPKiSA_iPKfiiiSC_SC_iiiii.uses_vcc, 1
	.set _ZN4vllm25paged_attention_v1_kernelIttLi96ELi32ELi128ELNS_18Fp8KVCacheDataTypeE0ELb0EEEvPT_PKS2_PKT0_S8_ifPKiSA_iPKfiiiSC_SC_iiiii.uses_flat_scratch, 0
	.set _ZN4vllm25paged_attention_v1_kernelIttLi96ELi32ELi128ELNS_18Fp8KVCacheDataTypeE0ELb0EEEvPT_PKS2_PKT0_S8_ifPKiSA_iPKfiiiSC_SC_iiiii.has_dyn_sized_stack, 0
	.set _ZN4vllm25paged_attention_v1_kernelIttLi96ELi32ELi128ELNS_18Fp8KVCacheDataTypeE0ELb0EEEvPT_PKS2_PKT0_S8_ifPKiSA_iPKfiiiSC_SC_iiiii.has_recursion, 0
	.set _ZN4vllm25paged_attention_v1_kernelIttLi96ELi32ELi128ELNS_18Fp8KVCacheDataTypeE0ELb0EEEvPT_PKS2_PKT0_S8_ifPKiSA_iPKfiiiSC_SC_iiiii.has_indirect_call, 0
	.section	.AMDGPU.csdata,"",@progbits
; Kernel info:
; codeLenInByte = 14864
; TotalNumSgprs: 30
; NumVgprs: 82
; ScratchSize: 0
; MemoryBound: 0
; FloatMode: 240
; IeeeMode: 1
; LDSByteSize: 224 bytes/workgroup (compile time only)
; SGPRBlocks: 0
; VGPRBlocks: 10
; NumSGPRsForWavesPerEU: 30
; NumVGPRsForWavesPerEU: 82
; Occupancy: 10
; WaveLimiterHint : 1
; COMPUTE_PGM_RSRC2:SCRATCH_EN: 0
; COMPUTE_PGM_RSRC2:USER_SGPR: 6
; COMPUTE_PGM_RSRC2:TRAP_HANDLER: 0
; COMPUTE_PGM_RSRC2:TGID_X_EN: 1
; COMPUTE_PGM_RSRC2:TGID_Y_EN: 1
; COMPUTE_PGM_RSRC2:TGID_Z_EN: 1
; COMPUTE_PGM_RSRC2:TIDIG_COMP_CNT: 0
	.section	.text._ZN4vllm25paged_attention_v1_kernelIttLi112ELi32ELi128ELNS_18Fp8KVCacheDataTypeE0ELb0EEEvPT_PKS2_PKT0_S8_ifPKiSA_iPKfiiiSC_SC_iiiii,"axG",@progbits,_ZN4vllm25paged_attention_v1_kernelIttLi112ELi32ELi128ELNS_18Fp8KVCacheDataTypeE0ELb0EEEvPT_PKS2_PKT0_S8_ifPKiSA_iPKfiiiSC_SC_iiiii,comdat
	.protected	_ZN4vllm25paged_attention_v1_kernelIttLi112ELi32ELi128ELNS_18Fp8KVCacheDataTypeE0ELb0EEEvPT_PKS2_PKT0_S8_ifPKiSA_iPKfiiiSC_SC_iiiii ; -- Begin function _ZN4vllm25paged_attention_v1_kernelIttLi112ELi32ELi128ELNS_18Fp8KVCacheDataTypeE0ELb0EEEvPT_PKS2_PKT0_S8_ifPKiSA_iPKfiiiSC_SC_iiiii
	.globl	_ZN4vllm25paged_attention_v1_kernelIttLi112ELi32ELi128ELNS_18Fp8KVCacheDataTypeE0ELb0EEEvPT_PKS2_PKT0_S8_ifPKiSA_iPKfiiiSC_SC_iiiii
	.p2align	8
	.type	_ZN4vllm25paged_attention_v1_kernelIttLi112ELi32ELi128ELNS_18Fp8KVCacheDataTypeE0ELb0EEEvPT_PKS2_PKT0_S8_ifPKiSA_iPKfiiiSC_SC_iiiii,@function
_ZN4vllm25paged_attention_v1_kernelIttLi112ELi32ELi128ELNS_18Fp8KVCacheDataTypeE0ELb0EEEvPT_PKS2_PKT0_S8_ifPKiSA_iPKfiiiSC_SC_iiiii: ; @_ZN4vllm25paged_attention_v1_kernelIttLi112ELi32ELi128ELNS_18Fp8KVCacheDataTypeE0ELb0EEEvPT_PKS2_PKT0_S8_ifPKiSA_iPKfiiiSC_SC_iiiii
; %bb.0:
	s_clause 0x2
	s_load_dword s9, s[4:5], 0x80
	s_load_dwordx2 s[0:1], s[4:5], 0x30
	s_load_dwordx2 s[2:3], s[4:5], 0x20
	s_mov_b32 s10, s7
	s_ashr_i32 s11, s7, 31
	s_mov_b32 s24, 0
	s_lshl_b64 s[12:13], s[10:11], 2
	s_waitcnt lgkmcnt(0)
	s_add_u32 s0, s0, s12
	s_addc_u32 s1, s1, s13
	s_abs_i32 s7, s2
	s_abs_i32 s13, s9
	v_cvt_f32_u32_e32 v1, s7
	s_sub_i32 s12, 0, s7
	s_xor_b32 s2, s9, s2
	s_ashr_i32 s2, s2, 31
	v_rcp_iflag_f32_e32 v1, v1
	v_mul_f32_e32 v1, 0x4f7ffffe, v1
	v_cvt_u32_f32_e32 v1, v1
	v_readfirstlane_b32 s11, v1
	s_mul_i32 s12, s12, s11
	s_mul_hi_u32 s12, s11, s12
	s_add_i32 s11, s11, s12
	s_mul_hi_u32 s11, s13, s11
	s_mul_i32 s12, s11, s7
	s_sub_i32 s12, s13, s12
	s_add_i32 s13, s11, 1
	s_sub_i32 s14, s12, s7
	s_cmp_ge_u32 s12, s7
	s_cselect_b32 s11, s13, s11
	s_cselect_b32 s12, s14, s12
	s_add_i32 s13, s11, 1
	s_cmp_ge_u32 s12, s7
	s_cselect_b32 s7, s13, s11
	s_load_dwordx2 s[12:13], s[4:5], 0x40
	s_xor_b32 s7, s7, s2
	s_abs_i32 s16, s6
	s_sub_i32 s17, s7, s2
	s_abs_i32 s2, s17
	v_cvt_f32_u32_e32 v1, s2
	s_sub_i32 s11, 0, s2
	v_rcp_iflag_f32_e32 v1, v1
	v_mul_f32_e32 v1, 0x4f7ffffe, v1
	v_cvt_u32_f32_e32 v1, v1
	v_readfirstlane_b32 s7, v1
	s_mul_i32 s11, s11, s7
	s_mul_hi_u32 s11, s7, s11
	s_add_i32 s7, s7, s11
	s_waitcnt lgkmcnt(0)
	s_cmp_eq_u64 s[12:13], 0
	s_mul_hi_u32 s20, s16, s7
	s_cbranch_scc1 .LBB103_2
; %bb.1:
	s_ashr_i32 s7, s6, 31
	s_lshl_b64 s[14:15], s[6:7], 2
	s_add_u32 s12, s12, s14
	s_addc_u32 s13, s13, s15
	s_load_dword s24, s[12:13], 0x0
.LBB103_2:
	s_load_dword s11, s[0:1], 0x0
	s_clause 0x1
	s_load_dwordx2 s[18:19], s[4:5], 0x28
	s_load_dwordx4 s[12:15], s[4:5], 0x48
	v_lshlrev_b32_e32 v61, 4, v0
	s_ashr_i32 s0, s6, 31
	s_ashr_i32 s1, s17, 31
	s_mulk_i32 s6, 0x70
	s_waitcnt lgkmcnt(0)
	s_mov_b32 s15, exec_lo
	v_cmpx_gt_u32_e32 14, v0
	s_cbranch_execz .LBB103_4
; %bb.3:
	s_load_dwordx2 s[22:23], s[4:5], 0x8
	s_mul_i32 s26, s12, s10
	s_ashr_i32 s27, s26, 31
	s_lshl_b64 s[26:27], s[26:27], 1
	s_waitcnt lgkmcnt(0)
	s_add_u32 s12, s22, s26
	s_addc_u32 s17, s23, s27
	s_ashr_i32 s7, s6, 31
	s_lshl_b64 s[22:23], s[6:7], 1
	s_add_u32 s22, s12, s22
	s_addc_u32 s23, s17, s23
	global_load_dwordx4 v[1:4], v61, s[22:23]
	s_waitcnt vmcnt(0)
	ds_write_b128 v61, v[1:4]
.LBB103_4:
	s_or_b32 exec_lo, exec_lo, s15
	s_add_i32 s7, s11, 31
	s_xor_b32 s0, s0, s1
	s_ashr_i32 s12, s7, 31
	s_load_dword s15, s[4:5], 0x38
	s_lshr_b32 s1, s12, 27
	s_mul_i32 s12, s20, s2
	s_add_i32 s7, s7, s1
	s_sub_i32 s1, s16, s12
	s_ashr_i32 s12, s7, 5
	s_clause 0x2
	s_load_dwordx2 s[16:17], s[4:5], 0x0
	s_load_dwordx2 s[22:23], s[4:5], 0x18
	s_load_dword s7, s[4:5], 0x88
	s_add_i32 s21, s20, 1
	s_sub_i32 s25, s1, s2
	s_cmp_ge_u32 s1, s2
	v_lshrrev_b32_e32 v59, 5, v0
	s_cselect_b32 s20, s21, s20
	s_cselect_b32 s1, s25, s1
	s_add_i32 s21, s20, 1
	s_cmp_ge_u32 s1, s2
	v_and_b32_e32 v60, 31, v0
	s_cselect_b32 s1, s21, s20
	v_mov_b32_e32 v64, 0xff7fffff
	s_xor_b32 s1, s1, s0
	v_lshrrev_b32_e32 v62, 3, v0
	s_sub_i32 s1, s1, s0
	v_cmp_gt_i32_e64 s0, s12, v59
	v_lshlrev_b32_e32 v63, 2, v60
	s_waitcnt lgkmcnt(0)
	s_mul_i32 s20, s15, s10
	s_mul_i32 s14, s1, s14
	s_ashr_i32 s21, s20, 31
	s_barrier
	buffer_gl0_inv
	s_and_saveexec_b32 s25, s0
	s_cbranch_execz .LBB103_8
; %bb.5:
	s_load_dwordx2 s[4:5], s[4:5], 0x10
	s_ashr_i32 s15, s14, 31
	v_lshlrev_b32_e32 v1, 4, v60
	s_lshl_b64 s[26:27], s[14:15], 1
	v_and_b32_e32 v3, 0x7c, v62
	v_lshl_or_b32 v2, v59, 7, v63
	v_mov_b32_e32 v65, 0
	v_cmp_neq_f32_e64 vcc_lo, s24, 0
	v_lshl_or_b32 v66, v59, 5, v60
	v_mov_b32_e32 v64, 0xff7fffff
	v_add_nc_u32_e32 v67, 0x100, v2
	v_mov_b32_e32 v70, v59
	s_mov_b32 s15, s13
	s_waitcnt lgkmcnt(0)
	s_add_u32 s1, s4, s26
	s_addc_u32 s2, s5, s27
	s_lshl_b64 s[26:27], s[20:21], 2
	v_add_co_u32 v68, s1, s1, v1
	s_sub_i32 s4, 1, s11
	v_add_co_ci_u32_e64 v69, null, s2, 0, s1
	s_add_u32 s1, s18, s26
	s_addc_u32 s2, s19, s27
	v_add_co_u32 v57, s1, s1, v3
	v_add_co_ci_u32_e64 v58, null, s2, 0, s1
	s_mov_b32 s5, 0
.LBB103_6:                              ; =>This Inner Loop Header: Depth=1
	global_load_dword v1, v[57:58], off
	v_add_nc_u32_e32 v3, s4, v66
	v_add_nc_u32_e32 v70, 4, v70
	v_cvt_f32_i32_e32 v3, v3
	v_mul_f32_e32 v71, s24, v3
	v_cndmask_b32_e32 v71, 0, v71, vcc_lo
	s_waitcnt vmcnt(0)
	v_mad_i64_i32 v[1:2], null, v1, s15, 0
	v_lshlrev_b64 v[1:2], 1, v[1:2]
	v_add_co_u32 v1, s1, v68, v1
	v_add_co_ci_u32_e64 v2, null, v69, v2, s1
	v_cmp_gt_i32_e64 s1, s11, v66
	v_add_co_u32 v3, s2, 0x800, v1
	s_clause 0x3
	global_load_dwordx4 v[53:56], v[1:2], off
	global_load_dwordx4 v[49:52], v[1:2], off offset:512
	global_load_dwordx4 v[45:48], v[1:2], off offset:1024
	;; [unrolled: 1-line block ×3, first 2 shown]
	v_add_co_ci_u32_e64 v4, null, 0, v2, s2
	v_add_co_u32 v5, s2, v1, 0x1000
	v_add_co_ci_u32_e64 v6, null, 0, v2, s2
	s_clause 0x3
	global_load_dwordx4 v[37:40], v[5:6], off offset:-2048
	global_load_dwordx4 v[33:36], v[3:4], off offset:512
	global_load_dwordx4 v[29:32], v[3:4], off offset:1024
	;; [unrolled: 1-line block ×3, first 2 shown]
	v_add_co_u32 v3, s2, 0x1000, v1
	v_add_co_ci_u32_e64 v4, null, 0, v2, s2
	s_clause 0x3
	global_load_dwordx4 v[21:24], v[5:6], off
	global_load_dwordx4 v[17:20], v[3:4], off offset:512
	global_load_dwordx4 v[13:16], v[3:4], off offset:1024
	;; [unrolled: 1-line block ×3, first 2 shown]
	v_add_co_u32 v1, s2, 0x1800, v1
	v_add_co_ci_u32_e64 v2, null, 0, v2, s2
	s_clause 0x1
	global_load_dwordx4 v[5:8], v[1:2], off
	global_load_dwordx4 v[1:4], v[1:2], off offset:512
	ds_read_b128 v[72:75], v65
	v_add_nc_u32_e32 v66, 0x80, v66
	s_waitcnt lgkmcnt(0)
	v_lshrrev_b32_e32 v76, 16, v72
	v_and_b32_e32 v72, 0xffff, v72
	;;#ASMSTART
	v_cvt_f32_f16 v72, v72;
	;;#ASMEND
	;;#ASMSTART
	v_cvt_f32_f16 v76, v76;
	;;#ASMEND
	s_waitcnt vmcnt(13)
	v_lshrrev_b32_e32 v78, 16, v53
	v_and_b32_e32 v53, 0xffff, v53
	;;#ASMSTART
	v_cvt_f32_f16 v77, v53;
	;;#ASMEND
	v_lshrrev_b32_e32 v53, 16, v73
	v_and_b32_e32 v73, 0xffff, v73
	;;#ASMSTART
	v_cvt_f32_f16 v78, v78;
	;;#ASMEND
	;;#ASMSTART
	v_cvt_f32_f16 v73, v73;
	;;#ASMEND
	;; [unrolled: 3-line block ×3, first 2 shown]
	v_lshrrev_b32_e32 v53, 16, v54
	v_and_b32_e32 v54, 0xffff, v54
	;;#ASMSTART
	v_cvt_f32_f16 v80, v54;
	;;#ASMEND
	;;#ASMSTART
	v_cvt_f32_f16 v81, v53;
	;;#ASMEND
	v_lshrrev_b32_e32 v53, 16, v74
	v_and_b32_e32 v54, 0xffff, v74
	;;#ASMSTART
	v_cvt_f32_f16 v74, v54;
	;;#ASMEND
	;;#ASMSTART
	v_cvt_f32_f16 v82, v53;
	;;#ASMEND
	;; [unrolled: 8-line block ×5, first 2 shown]
	ds_read_b128 v[53:56], v65 offset:16
	s_waitcnt vmcnt(12)
	v_lshrrev_b32_e32 v89, 16, v49
	v_and_b32_e32 v49, 0xffff, v49
	s_waitcnt lgkmcnt(0)
	v_lshrrev_b32_e32 v88, 16, v53
	v_and_b32_e32 v53, 0xffff, v53
	;;#ASMSTART
	v_cvt_f32_f16 v53, v53;
	;;#ASMEND
	;;#ASMSTART
	v_cvt_f32_f16 v88, v88;
	;;#ASMEND
	;;#ASMSTART
	v_cvt_f32_f16 v49, v49;
	;;#ASMEND
	;;#ASMSTART
	v_cvt_f32_f16 v89, v89;
	;;#ASMEND
	v_mul_f32_e32 v49, v53, v49
	v_mul_f32_e32 v53, v88, v89
	v_fmac_f32_e32 v49, v72, v77
	v_fmac_f32_e32 v53, v76, v78
	v_lshrrev_b32_e32 v72, 16, v54
	v_and_b32_e32 v54, 0xffff, v54
	v_lshrrev_b32_e32 v76, 16, v50
	v_and_b32_e32 v50, 0xffff, v50
	;;#ASMSTART
	v_cvt_f32_f16 v54, v54;
	;;#ASMEND
	;;#ASMSTART
	v_cvt_f32_f16 v72, v72;
	;;#ASMEND
	;; [unrolled: 3-line block ×3, first 2 shown]
	v_mul_f32_e32 v50, v54, v50
	;;#ASMSTART
	v_cvt_f32_f16 v76, v76;
	;;#ASMEND
	v_mul_f32_e32 v54, v72, v76
	v_lshrrev_b32_e32 v72, 16, v55
	v_and_b32_e32 v55, 0xffff, v55
	v_fmac_f32_e32 v50, v73, v80
	v_lshrrev_b32_e32 v73, 16, v51
	v_and_b32_e32 v51, 0xffff, v51
	;;#ASMSTART
	v_cvt_f32_f16 v55, v55;
	;;#ASMEND
	;;#ASMSTART
	v_cvt_f32_f16 v72, v72;
	;;#ASMEND
	;; [unrolled: 3-line block ×4, first 2 shown]
	v_mul_f32_e32 v51, v55, v51
	v_mul_f32_e32 v55, v72, v73
	v_lshrrev_b32_e32 v72, 16, v56
	v_and_b32_e32 v56, 0xffff, v56
	v_lshrrev_b32_e32 v73, 16, v52
	v_and_b32_e32 v52, 0xffff, v52
	;;#ASMSTART
	v_cvt_f32_f16 v56, v56;
	;;#ASMEND
	;;#ASMSTART
	v_cvt_f32_f16 v72, v72;
	;;#ASMEND
	;; [unrolled: 3-line block ×3, first 2 shown]
	v_mul_f32_e32 v52, v56, v52
	;;#ASMSTART
	v_cvt_f32_f16 v73, v73;
	;;#ASMEND
	v_fmac_f32_e32 v51, v74, v83
	v_mul_f32_e32 v56, v72, v73
	v_fmac_f32_e32 v54, v79, v81
	v_fmac_f32_e32 v52, v75, v86
	ds_read_b128 v[72:75], v65 offset:32
	s_waitcnt vmcnt(11)
	v_lshrrev_b32_e32 v77, 16, v45
	v_and_b32_e32 v45, 0xffff, v45
	v_fmac_f32_e32 v55, v82, v84
	v_fmac_f32_e32 v56, v85, v87
	s_waitcnt lgkmcnt(0)
	v_lshrrev_b32_e32 v76, 16, v72
	v_and_b32_e32 v72, 0xffff, v72
	;;#ASMSTART
	v_cvt_f32_f16 v72, v72;
	;;#ASMEND
	;;#ASMSTART
	v_cvt_f32_f16 v76, v76;
	;;#ASMEND
	;; [unrolled: 3-line block ×3, first 2 shown]
	v_fmac_f32_e32 v49, v72, v45
	v_lshrrev_b32_e32 v72, 16, v73
	v_and_b32_e32 v45, 0xffff, v73
	v_lshrrev_b32_e32 v73, 16, v46
	v_and_b32_e32 v46, 0xffff, v46
	;;#ASMSTART
	v_cvt_f32_f16 v77, v77;
	;;#ASMEND
	;;#ASMSTART
	v_cvt_f32_f16 v45, v45;
	;;#ASMEND
	;; [unrolled: 3-line block ×5, first 2 shown]
	v_fmac_f32_e32 v50, v45, v46
	v_fmac_f32_e32 v54, v72, v73
	v_lshrrev_b32_e32 v46, 16, v74
	v_and_b32_e32 v45, 0xffff, v74
	v_lshrrev_b32_e32 v72, 16, v47
	v_and_b32_e32 v47, 0xffff, v47
	;;#ASMSTART
	v_cvt_f32_f16 v45, v45;
	;;#ASMEND
	;;#ASMSTART
	v_cvt_f32_f16 v46, v46;
	;;#ASMEND
	;; [unrolled: 3-line block ×4, first 2 shown]
	v_fmac_f32_e32 v51, v45, v47
	v_fmac_f32_e32 v55, v46, v72
	v_lshrrev_b32_e32 v46, 16, v75
	v_and_b32_e32 v45, 0xffff, v75
	v_and_b32_e32 v47, 0xffff, v48
	;;#ASMSTART
	v_cvt_f32_f16 v45, v45;
	;;#ASMEND
	;;#ASMSTART
	v_cvt_f32_f16 v46, v46;
	;;#ASMEND
	v_lshrrev_b32_e32 v72, 16, v48
	;;#ASMSTART
	v_cvt_f32_f16 v47, v47;
	;;#ASMEND
	;;#ASMSTART
	v_cvt_f32_f16 v48, v72;
	;;#ASMEND
	v_fmac_f32_e32 v52, v45, v47
	v_fmac_f32_e32 v56, v46, v48
	ds_read_b128 v[45:48], v65 offset:48
	s_waitcnt vmcnt(10)
	v_lshrrev_b32_e32 v73, 16, v41
	v_and_b32_e32 v41, 0xffff, v41
	v_fmac_f32_e32 v53, v76, v77
	s_waitcnt lgkmcnt(0)
	v_lshrrev_b32_e32 v72, 16, v45
	v_and_b32_e32 v45, 0xffff, v45
	;;#ASMSTART
	v_cvt_f32_f16 v45, v45;
	;;#ASMEND
	;;#ASMSTART
	v_cvt_f32_f16 v72, v72;
	;;#ASMEND
	;; [unrolled: 3-line block ×3, first 2 shown]
	v_fmac_f32_e32 v49, v45, v41
	v_lshrrev_b32_e32 v45, 16, v46
	v_and_b32_e32 v41, 0xffff, v46
	v_lshrrev_b32_e32 v46, 16, v42
	v_and_b32_e32 v42, 0xffff, v42
	;;#ASMSTART
	v_cvt_f32_f16 v73, v73;
	;;#ASMEND
	;;#ASMSTART
	v_cvt_f32_f16 v41, v41;
	;;#ASMEND
	;; [unrolled: 3-line block ×5, first 2 shown]
	v_fmac_f32_e32 v50, v41, v42
	v_fmac_f32_e32 v54, v45, v46
	v_lshrrev_b32_e32 v42, 16, v47
	v_and_b32_e32 v41, 0xffff, v47
	v_lshrrev_b32_e32 v45, 16, v43
	v_and_b32_e32 v43, 0xffff, v43
	;;#ASMSTART
	v_cvt_f32_f16 v41, v41;
	;;#ASMEND
	;;#ASMSTART
	v_cvt_f32_f16 v42, v42;
	;;#ASMEND
	;; [unrolled: 3-line block ×4, first 2 shown]
	v_fmac_f32_e32 v51, v41, v43
	v_fmac_f32_e32 v55, v42, v45
	v_lshrrev_b32_e32 v42, 16, v48
	v_and_b32_e32 v41, 0xffff, v48
	v_and_b32_e32 v43, 0xffff, v44
	;;#ASMSTART
	v_cvt_f32_f16 v41, v41;
	;;#ASMEND
	;;#ASMSTART
	v_cvt_f32_f16 v42, v42;
	;;#ASMEND
	v_lshrrev_b32_e32 v45, 16, v44
	;;#ASMSTART
	v_cvt_f32_f16 v43, v43;
	;;#ASMEND
	;;#ASMSTART
	v_cvt_f32_f16 v44, v45;
	;;#ASMEND
	v_fmac_f32_e32 v52, v41, v43
	v_fmac_f32_e32 v56, v42, v44
	ds_read_b128 v[41:44], v65 offset:64
	s_waitcnt vmcnt(9)
	v_lshrrev_b32_e32 v46, 16, v37
	v_and_b32_e32 v37, 0xffff, v37
	v_fmac_f32_e32 v53, v72, v73
	s_waitcnt lgkmcnt(0)
	v_lshrrev_b32_e32 v45, 16, v41
	v_and_b32_e32 v41, 0xffff, v41
	;;#ASMSTART
	v_cvt_f32_f16 v41, v41;
	;;#ASMEND
	;;#ASMSTART
	v_cvt_f32_f16 v45, v45;
	;;#ASMEND
	;; [unrolled: 3-line block ×3, first 2 shown]
	v_fmac_f32_e32 v49, v41, v37
	v_lshrrev_b32_e32 v41, 16, v42
	v_and_b32_e32 v37, 0xffff, v42
	v_lshrrev_b32_e32 v42, 16, v38
	v_and_b32_e32 v38, 0xffff, v38
	;;#ASMSTART
	v_cvt_f32_f16 v46, v46;
	;;#ASMEND
	;;#ASMSTART
	v_cvt_f32_f16 v37, v37;
	;;#ASMEND
	;; [unrolled: 3-line block ×5, first 2 shown]
	v_fmac_f32_e32 v50, v37, v38
	v_fmac_f32_e32 v54, v41, v42
	v_lshrrev_b32_e32 v38, 16, v43
	v_and_b32_e32 v37, 0xffff, v43
	v_lshrrev_b32_e32 v41, 16, v39
	v_and_b32_e32 v39, 0xffff, v39
	;;#ASMSTART
	v_cvt_f32_f16 v37, v37;
	;;#ASMEND
	;;#ASMSTART
	v_cvt_f32_f16 v38, v38;
	;;#ASMEND
	;; [unrolled: 3-line block ×4, first 2 shown]
	v_fmac_f32_e32 v51, v37, v39
	v_fmac_f32_e32 v55, v38, v41
	v_lshrrev_b32_e32 v38, 16, v44
	v_and_b32_e32 v37, 0xffff, v44
	v_and_b32_e32 v39, 0xffff, v40
	;;#ASMSTART
	v_cvt_f32_f16 v37, v37;
	;;#ASMEND
	;;#ASMSTART
	v_cvt_f32_f16 v38, v38;
	;;#ASMEND
	v_lshrrev_b32_e32 v41, 16, v40
	;;#ASMSTART
	v_cvt_f32_f16 v39, v39;
	;;#ASMEND
	;;#ASMSTART
	v_cvt_f32_f16 v40, v41;
	;;#ASMEND
	v_fmac_f32_e32 v52, v37, v39
	v_fmac_f32_e32 v56, v38, v40
	ds_read_b128 v[37:40], v65 offset:80
	s_waitcnt vmcnt(8)
	v_lshrrev_b32_e32 v42, 16, v33
	v_and_b32_e32 v33, 0xffff, v33
	v_fmac_f32_e32 v53, v45, v46
	s_waitcnt lgkmcnt(0)
	v_lshrrev_b32_e32 v41, 16, v37
	v_and_b32_e32 v37, 0xffff, v37
	;;#ASMSTART
	v_cvt_f32_f16 v37, v37;
	;;#ASMEND
	;;#ASMSTART
	v_cvt_f32_f16 v41, v41;
	;;#ASMEND
	;; [unrolled: 3-line block ×3, first 2 shown]
	v_fmac_f32_e32 v49, v37, v33
	v_lshrrev_b32_e32 v37, 16, v38
	v_and_b32_e32 v33, 0xffff, v38
	v_lshrrev_b32_e32 v38, 16, v34
	v_and_b32_e32 v34, 0xffff, v34
	;;#ASMSTART
	v_cvt_f32_f16 v42, v42;
	;;#ASMEND
	;;#ASMSTART
	v_cvt_f32_f16 v33, v33;
	;;#ASMEND
	;; [unrolled: 3-line block ×5, first 2 shown]
	v_fmac_f32_e32 v50, v33, v34
	v_fmac_f32_e32 v54, v37, v38
	v_lshrrev_b32_e32 v34, 16, v39
	v_and_b32_e32 v33, 0xffff, v39
	v_lshrrev_b32_e32 v37, 16, v35
	v_and_b32_e32 v35, 0xffff, v35
	;;#ASMSTART
	v_cvt_f32_f16 v33, v33;
	;;#ASMEND
	;;#ASMSTART
	v_cvt_f32_f16 v34, v34;
	;;#ASMEND
	;; [unrolled: 3-line block ×4, first 2 shown]
	v_fmac_f32_e32 v51, v33, v35
	v_fmac_f32_e32 v55, v34, v37
	v_lshrrev_b32_e32 v34, 16, v40
	v_and_b32_e32 v33, 0xffff, v40
	v_and_b32_e32 v35, 0xffff, v36
	;;#ASMSTART
	v_cvt_f32_f16 v33, v33;
	;;#ASMEND
	;;#ASMSTART
	v_cvt_f32_f16 v34, v34;
	;;#ASMEND
	v_lshrrev_b32_e32 v37, 16, v36
	;;#ASMSTART
	v_cvt_f32_f16 v35, v35;
	;;#ASMEND
	;;#ASMSTART
	v_cvt_f32_f16 v36, v37;
	;;#ASMEND
	v_fmac_f32_e32 v52, v33, v35
	v_fmac_f32_e32 v56, v34, v36
	ds_read_b128 v[33:36], v65 offset:96
	s_waitcnt vmcnt(7)
	v_lshrrev_b32_e32 v38, 16, v29
	v_and_b32_e32 v29, 0xffff, v29
	v_fmac_f32_e32 v53, v41, v42
	s_waitcnt lgkmcnt(0)
	v_lshrrev_b32_e32 v37, 16, v33
	v_and_b32_e32 v33, 0xffff, v33
	;;#ASMSTART
	v_cvt_f32_f16 v33, v33;
	;;#ASMEND
	;;#ASMSTART
	v_cvt_f32_f16 v37, v37;
	;;#ASMEND
	;;#ASMSTART
	v_cvt_f32_f16 v29, v29;
	;;#ASMEND
	v_fmac_f32_e32 v49, v33, v29
	v_lshrrev_b32_e32 v33, 16, v34
	v_and_b32_e32 v29, 0xffff, v34
	v_lshrrev_b32_e32 v34, 16, v30
	v_and_b32_e32 v30, 0xffff, v30
	;;#ASMSTART
	v_cvt_f32_f16 v38, v38;
	;;#ASMEND
	;;#ASMSTART
	v_cvt_f32_f16 v29, v29;
	;;#ASMEND
	;; [unrolled: 3-line block ×5, first 2 shown]
	v_fmac_f32_e32 v50, v29, v30
	v_fmac_f32_e32 v54, v33, v34
	v_lshrrev_b32_e32 v30, 16, v35
	v_and_b32_e32 v29, 0xffff, v35
	v_lshrrev_b32_e32 v33, 16, v31
	v_and_b32_e32 v31, 0xffff, v31
	;;#ASMSTART
	v_cvt_f32_f16 v29, v29;
	;;#ASMEND
	;;#ASMSTART
	v_cvt_f32_f16 v30, v30;
	;;#ASMEND
	;; [unrolled: 3-line block ×4, first 2 shown]
	v_fmac_f32_e32 v51, v29, v31
	v_fmac_f32_e32 v55, v30, v33
	v_lshrrev_b32_e32 v30, 16, v36
	v_and_b32_e32 v29, 0xffff, v36
	v_and_b32_e32 v31, 0xffff, v32
	;;#ASMSTART
	v_cvt_f32_f16 v29, v29;
	;;#ASMEND
	;;#ASMSTART
	v_cvt_f32_f16 v30, v30;
	;;#ASMEND
	v_lshrrev_b32_e32 v33, 16, v32
	;;#ASMSTART
	v_cvt_f32_f16 v31, v31;
	;;#ASMEND
	;;#ASMSTART
	v_cvt_f32_f16 v32, v33;
	;;#ASMEND
	v_fmac_f32_e32 v52, v29, v31
	v_fmac_f32_e32 v56, v30, v32
	ds_read_b128 v[29:32], v65 offset:112
	s_waitcnt vmcnt(6)
	v_lshrrev_b32_e32 v34, 16, v25
	v_and_b32_e32 v25, 0xffff, v25
	v_fmac_f32_e32 v53, v37, v38
	s_waitcnt lgkmcnt(0)
	v_lshrrev_b32_e32 v33, 16, v29
	v_and_b32_e32 v29, 0xffff, v29
	;;#ASMSTART
	v_cvt_f32_f16 v29, v29;
	;;#ASMEND
	;;#ASMSTART
	v_cvt_f32_f16 v33, v33;
	;;#ASMEND
	;; [unrolled: 3-line block ×3, first 2 shown]
	v_fmac_f32_e32 v49, v29, v25
	v_lshrrev_b32_e32 v29, 16, v30
	v_and_b32_e32 v25, 0xffff, v30
	v_lshrrev_b32_e32 v30, 16, v26
	v_and_b32_e32 v26, 0xffff, v26
	;;#ASMSTART
	v_cvt_f32_f16 v34, v34;
	;;#ASMEND
	;;#ASMSTART
	v_cvt_f32_f16 v25, v25;
	;;#ASMEND
	;; [unrolled: 3-line block ×5, first 2 shown]
	v_fmac_f32_e32 v50, v25, v26
	v_fmac_f32_e32 v54, v29, v30
	v_lshrrev_b32_e32 v26, 16, v31
	v_and_b32_e32 v25, 0xffff, v31
	v_lshrrev_b32_e32 v29, 16, v27
	v_and_b32_e32 v27, 0xffff, v27
	;;#ASMSTART
	v_cvt_f32_f16 v25, v25;
	;;#ASMEND
	;;#ASMSTART
	v_cvt_f32_f16 v26, v26;
	;;#ASMEND
	;; [unrolled: 3-line block ×4, first 2 shown]
	v_fmac_f32_e32 v51, v25, v27
	v_fmac_f32_e32 v55, v26, v29
	v_lshrrev_b32_e32 v26, 16, v32
	v_and_b32_e32 v25, 0xffff, v32
	v_and_b32_e32 v27, 0xffff, v28
	;;#ASMSTART
	v_cvt_f32_f16 v25, v25;
	;;#ASMEND
	;;#ASMSTART
	v_cvt_f32_f16 v26, v26;
	;;#ASMEND
	v_lshrrev_b32_e32 v29, 16, v28
	;;#ASMSTART
	v_cvt_f32_f16 v27, v27;
	;;#ASMEND
	;;#ASMSTART
	v_cvt_f32_f16 v28, v29;
	;;#ASMEND
	v_fmac_f32_e32 v52, v25, v27
	v_fmac_f32_e32 v56, v26, v28
	ds_read_b128 v[25:28], v65 offset:128
	s_waitcnt vmcnt(5)
	v_lshrrev_b32_e32 v30, 16, v21
	v_and_b32_e32 v21, 0xffff, v21
	v_fmac_f32_e32 v53, v33, v34
	s_waitcnt lgkmcnt(0)
	v_lshrrev_b32_e32 v29, 16, v25
	v_and_b32_e32 v25, 0xffff, v25
	;;#ASMSTART
	v_cvt_f32_f16 v25, v25;
	;;#ASMEND
	;;#ASMSTART
	v_cvt_f32_f16 v29, v29;
	;;#ASMEND
	;; [unrolled: 3-line block ×3, first 2 shown]
	v_fmac_f32_e32 v49, v25, v21
	v_lshrrev_b32_e32 v25, 16, v26
	v_and_b32_e32 v21, 0xffff, v26
	v_lshrrev_b32_e32 v26, 16, v22
	v_and_b32_e32 v22, 0xffff, v22
	;;#ASMSTART
	v_cvt_f32_f16 v30, v30;
	;;#ASMEND
	;;#ASMSTART
	v_cvt_f32_f16 v21, v21;
	;;#ASMEND
	;; [unrolled: 3-line block ×5, first 2 shown]
	v_fmac_f32_e32 v50, v21, v22
	v_fmac_f32_e32 v54, v25, v26
	v_lshrrev_b32_e32 v22, 16, v27
	v_and_b32_e32 v21, 0xffff, v27
	v_lshrrev_b32_e32 v25, 16, v23
	v_and_b32_e32 v23, 0xffff, v23
	;;#ASMSTART
	v_cvt_f32_f16 v21, v21;
	;;#ASMEND
	;;#ASMSTART
	v_cvt_f32_f16 v22, v22;
	;;#ASMEND
	;; [unrolled: 3-line block ×4, first 2 shown]
	v_fmac_f32_e32 v51, v21, v23
	v_fmac_f32_e32 v55, v22, v25
	v_lshrrev_b32_e32 v22, 16, v28
	v_and_b32_e32 v21, 0xffff, v28
	v_and_b32_e32 v23, 0xffff, v24
	;;#ASMSTART
	v_cvt_f32_f16 v21, v21;
	;;#ASMEND
	;;#ASMSTART
	v_cvt_f32_f16 v22, v22;
	;;#ASMEND
	v_lshrrev_b32_e32 v25, 16, v24
	;;#ASMSTART
	v_cvt_f32_f16 v23, v23;
	;;#ASMEND
	;;#ASMSTART
	v_cvt_f32_f16 v24, v25;
	;;#ASMEND
	v_fmac_f32_e32 v52, v21, v23
	v_fmac_f32_e32 v56, v22, v24
	ds_read_b128 v[21:24], v65 offset:144
	s_waitcnt vmcnt(4)
	v_lshrrev_b32_e32 v26, 16, v17
	v_and_b32_e32 v17, 0xffff, v17
	v_fmac_f32_e32 v53, v29, v30
	s_waitcnt lgkmcnt(0)
	v_lshrrev_b32_e32 v25, 16, v21
	v_and_b32_e32 v21, 0xffff, v21
	;;#ASMSTART
	v_cvt_f32_f16 v21, v21;
	;;#ASMEND
	;;#ASMSTART
	v_cvt_f32_f16 v25, v25;
	;;#ASMEND
	;; [unrolled: 3-line block ×3, first 2 shown]
	v_fmac_f32_e32 v49, v21, v17
	v_lshrrev_b32_e32 v21, 16, v22
	v_and_b32_e32 v17, 0xffff, v22
	v_lshrrev_b32_e32 v22, 16, v18
	v_and_b32_e32 v18, 0xffff, v18
	;;#ASMSTART
	v_cvt_f32_f16 v26, v26;
	;;#ASMEND
	;;#ASMSTART
	v_cvt_f32_f16 v17, v17;
	;;#ASMEND
	;; [unrolled: 3-line block ×5, first 2 shown]
	v_fmac_f32_e32 v50, v17, v18
	v_fmac_f32_e32 v54, v21, v22
	v_lshrrev_b32_e32 v18, 16, v23
	v_and_b32_e32 v17, 0xffff, v23
	v_lshrrev_b32_e32 v21, 16, v19
	v_and_b32_e32 v19, 0xffff, v19
	;;#ASMSTART
	v_cvt_f32_f16 v17, v17;
	;;#ASMEND
	;;#ASMSTART
	v_cvt_f32_f16 v18, v18;
	;;#ASMEND
	;;#ASMSTART
	v_cvt_f32_f16 v19, v19;
	;;#ASMEND
	;;#ASMSTART
	v_cvt_f32_f16 v21, v21;
	;;#ASMEND
	v_fmac_f32_e32 v51, v17, v19
	v_fmac_f32_e32 v55, v18, v21
	v_lshrrev_b32_e32 v18, 16, v24
	v_and_b32_e32 v17, 0xffff, v24
	v_and_b32_e32 v19, 0xffff, v20
	;;#ASMSTART
	v_cvt_f32_f16 v17, v17;
	;;#ASMEND
	;;#ASMSTART
	v_cvt_f32_f16 v18, v18;
	;;#ASMEND
	v_lshrrev_b32_e32 v21, 16, v20
	;;#ASMSTART
	v_cvt_f32_f16 v19, v19;
	;;#ASMEND
	;;#ASMSTART
	v_cvt_f32_f16 v20, v21;
	;;#ASMEND
	v_fmac_f32_e32 v52, v17, v19
	v_fmac_f32_e32 v56, v18, v20
	ds_read_b128 v[17:20], v65 offset:160
	s_waitcnt vmcnt(3)
	v_lshrrev_b32_e32 v22, 16, v13
	v_and_b32_e32 v13, 0xffff, v13
	v_fmac_f32_e32 v53, v25, v26
	s_waitcnt lgkmcnt(0)
	v_lshrrev_b32_e32 v21, 16, v17
	v_and_b32_e32 v17, 0xffff, v17
	;;#ASMSTART
	v_cvt_f32_f16 v17, v17;
	;;#ASMEND
	;;#ASMSTART
	v_cvt_f32_f16 v21, v21;
	;;#ASMEND
	;; [unrolled: 3-line block ×3, first 2 shown]
	v_fmac_f32_e32 v49, v17, v13
	v_lshrrev_b32_e32 v17, 16, v18
	v_and_b32_e32 v13, 0xffff, v18
	v_lshrrev_b32_e32 v18, 16, v14
	v_and_b32_e32 v14, 0xffff, v14
	;;#ASMSTART
	v_cvt_f32_f16 v22, v22;
	;;#ASMEND
	;;#ASMSTART
	v_cvt_f32_f16 v13, v13;
	;;#ASMEND
	;; [unrolled: 3-line block ×5, first 2 shown]
	v_fmac_f32_e32 v50, v13, v14
	v_fmac_f32_e32 v54, v17, v18
	v_lshrrev_b32_e32 v14, 16, v19
	v_and_b32_e32 v13, 0xffff, v19
	v_lshrrev_b32_e32 v17, 16, v15
	v_and_b32_e32 v15, 0xffff, v15
	;;#ASMSTART
	v_cvt_f32_f16 v13, v13;
	;;#ASMEND
	;;#ASMSTART
	v_cvt_f32_f16 v14, v14;
	;;#ASMEND
	;; [unrolled: 3-line block ×4, first 2 shown]
	v_fmac_f32_e32 v51, v13, v15
	v_fmac_f32_e32 v55, v14, v17
	v_lshrrev_b32_e32 v14, 16, v20
	v_and_b32_e32 v13, 0xffff, v20
	v_and_b32_e32 v15, 0xffff, v16
	;;#ASMSTART
	v_cvt_f32_f16 v13, v13;
	;;#ASMEND
	;;#ASMSTART
	v_cvt_f32_f16 v14, v14;
	;;#ASMEND
	v_lshrrev_b32_e32 v17, 16, v16
	;;#ASMSTART
	v_cvt_f32_f16 v15, v15;
	;;#ASMEND
	;;#ASMSTART
	v_cvt_f32_f16 v16, v17;
	;;#ASMEND
	v_fmac_f32_e32 v52, v13, v15
	v_fmac_f32_e32 v56, v14, v16
	ds_read_b128 v[13:16], v65 offset:176
	s_waitcnt vmcnt(2)
	v_lshrrev_b32_e32 v18, 16, v9
	v_and_b32_e32 v9, 0xffff, v9
	v_fmac_f32_e32 v53, v21, v22
	s_waitcnt lgkmcnt(0)
	v_lshrrev_b32_e32 v17, 16, v13
	v_and_b32_e32 v13, 0xffff, v13
	;;#ASMSTART
	v_cvt_f32_f16 v13, v13;
	;;#ASMEND
	;;#ASMSTART
	v_cvt_f32_f16 v17, v17;
	;;#ASMEND
	;; [unrolled: 3-line block ×3, first 2 shown]
	v_fmac_f32_e32 v49, v13, v9
	v_lshrrev_b32_e32 v13, 16, v14
	v_and_b32_e32 v9, 0xffff, v14
	v_lshrrev_b32_e32 v14, 16, v10
	v_and_b32_e32 v10, 0xffff, v10
	;;#ASMSTART
	v_cvt_f32_f16 v18, v18;
	;;#ASMEND
	;;#ASMSTART
	v_cvt_f32_f16 v9, v9;
	;;#ASMEND
	;; [unrolled: 3-line block ×5, first 2 shown]
	v_fmac_f32_e32 v50, v9, v10
	v_fmac_f32_e32 v54, v13, v14
	v_lshrrev_b32_e32 v10, 16, v15
	v_and_b32_e32 v9, 0xffff, v15
	v_lshrrev_b32_e32 v13, 16, v11
	v_and_b32_e32 v11, 0xffff, v11
	;;#ASMSTART
	v_cvt_f32_f16 v9, v9;
	;;#ASMEND
	;;#ASMSTART
	v_cvt_f32_f16 v10, v10;
	;;#ASMEND
	;; [unrolled: 3-line block ×4, first 2 shown]
	v_fmac_f32_e32 v51, v9, v11
	v_fmac_f32_e32 v55, v10, v13
	v_lshrrev_b32_e32 v10, 16, v16
	v_and_b32_e32 v9, 0xffff, v16
	v_and_b32_e32 v11, 0xffff, v12
	;;#ASMSTART
	v_cvt_f32_f16 v9, v9;
	;;#ASMEND
	;;#ASMSTART
	v_cvt_f32_f16 v10, v10;
	;;#ASMEND
	v_lshrrev_b32_e32 v13, 16, v12
	;;#ASMSTART
	v_cvt_f32_f16 v11, v11;
	;;#ASMEND
	;;#ASMSTART
	v_cvt_f32_f16 v12, v13;
	;;#ASMEND
	v_fmac_f32_e32 v52, v9, v11
	v_fmac_f32_e32 v56, v10, v12
	ds_read_b128 v[9:12], v65 offset:192
	s_waitcnt vmcnt(1)
	v_lshrrev_b32_e32 v14, 16, v5
	v_and_b32_e32 v5, 0xffff, v5
	v_fmac_f32_e32 v53, v17, v18
	s_waitcnt lgkmcnt(0)
	v_lshrrev_b32_e32 v13, 16, v9
	v_and_b32_e32 v9, 0xffff, v9
	;;#ASMSTART
	v_cvt_f32_f16 v9, v9;
	;;#ASMEND
	;;#ASMSTART
	v_cvt_f32_f16 v13, v13;
	;;#ASMEND
	;; [unrolled: 3-line block ×3, first 2 shown]
	v_fmac_f32_e32 v49, v9, v5
	v_lshrrev_b32_e32 v9, 16, v10
	v_and_b32_e32 v5, 0xffff, v10
	v_lshrrev_b32_e32 v10, 16, v6
	v_and_b32_e32 v6, 0xffff, v6
	;;#ASMSTART
	v_cvt_f32_f16 v14, v14;
	;;#ASMEND
	;;#ASMSTART
	v_cvt_f32_f16 v5, v5;
	;;#ASMEND
	;; [unrolled: 3-line block ×5, first 2 shown]
	v_fmac_f32_e32 v50, v5, v6
	v_fmac_f32_e32 v54, v9, v10
	v_lshrrev_b32_e32 v6, 16, v11
	v_and_b32_e32 v5, 0xffff, v11
	v_lshrrev_b32_e32 v9, 16, v7
	v_and_b32_e32 v7, 0xffff, v7
	;;#ASMSTART
	v_cvt_f32_f16 v5, v5;
	;;#ASMEND
	;;#ASMSTART
	v_cvt_f32_f16 v6, v6;
	;;#ASMEND
	;;#ASMSTART
	v_cvt_f32_f16 v7, v7;
	;;#ASMEND
	;;#ASMSTART
	v_cvt_f32_f16 v9, v9;
	;;#ASMEND
	v_fmac_f32_e32 v51, v5, v7
	v_fmac_f32_e32 v55, v6, v9
	v_lshrrev_b32_e32 v6, 16, v12
	v_and_b32_e32 v5, 0xffff, v12
	v_and_b32_e32 v7, 0xffff, v8
	;;#ASMSTART
	v_cvt_f32_f16 v5, v5;
	;;#ASMEND
	;;#ASMSTART
	v_cvt_f32_f16 v6, v6;
	;;#ASMEND
	v_lshrrev_b32_e32 v9, 16, v8
	;;#ASMSTART
	v_cvt_f32_f16 v7, v7;
	;;#ASMEND
	;;#ASMSTART
	v_cvt_f32_f16 v8, v9;
	;;#ASMEND
	v_fmac_f32_e32 v52, v5, v7
	v_fmac_f32_e32 v56, v6, v8
	ds_read_b128 v[5:8], v65 offset:208
	v_fmac_f32_e32 v53, v13, v14
	s_waitcnt vmcnt(0)
	v_lshrrev_b32_e32 v10, 16, v1
	v_and_b32_e32 v1, 0xffff, v1
	s_waitcnt lgkmcnt(0)
	v_lshrrev_b32_e32 v9, 16, v5
	v_and_b32_e32 v5, 0xffff, v5
	;;#ASMSTART
	v_cvt_f32_f16 v5, v5;
	;;#ASMEND
	;;#ASMSTART
	v_cvt_f32_f16 v9, v9;
	;;#ASMEND
	;; [unrolled: 3-line block ×3, first 2 shown]
	v_fmac_f32_e32 v49, v5, v1
	v_and_b32_e32 v1, 0xffff, v6
	;;#ASMSTART
	v_cvt_f32_f16 v10, v10;
	;;#ASMEND
	v_fmac_f32_e32 v53, v9, v10
	v_lshrrev_b32_e32 v5, 16, v6
	;;#ASMSTART
	v_cvt_f32_f16 v1, v1;
	;;#ASMEND
	v_lshrrev_b32_e32 v6, 16, v2
	v_and_b32_e32 v2, 0xffff, v2
	;;#ASMSTART
	v_cvt_f32_f16 v5, v5;
	;;#ASMEND
	;;#ASMSTART
	v_cvt_f32_f16 v2, v2;
	;;#ASMEND
	v_fmac_f32_e32 v50, v1, v2
	v_and_b32_e32 v1, 0xffff, v7
	;;#ASMSTART
	v_cvt_f32_f16 v6, v6;
	;;#ASMEND
	v_fmac_f32_e32 v54, v5, v6
	v_lshrrev_b32_e32 v2, 16, v7
	;;#ASMSTART
	v_cvt_f32_f16 v1, v1;
	;;#ASMEND
	v_lshrrev_b32_e32 v5, 16, v3
	v_and_b32_e32 v3, 0xffff, v3
	;;#ASMSTART
	v_cvt_f32_f16 v2, v2;
	;;#ASMEND
	;;#ASMSTART
	v_cvt_f32_f16 v3, v3;
	;;#ASMEND
	v_fmac_f32_e32 v51, v1, v3
	v_and_b32_e32 v1, 0xffff, v8
	;;#ASMSTART
	v_cvt_f32_f16 v5, v5;
	;;#ASMEND
	v_fmac_f32_e32 v55, v2, v5
	v_lshrrev_b32_e32 v2, 16, v8
	;;#ASMSTART
	v_cvt_f32_f16 v1, v1;
	;;#ASMEND
	v_and_b32_e32 v3, 0xffff, v4
	;;#ASMSTART
	v_cvt_f32_f16 v2, v2;
	;;#ASMEND
	;;#ASMSTART
	v_cvt_f32_f16 v3, v3;
	;;#ASMEND
	v_fmac_f32_e32 v52, v1, v3
	v_add_f32_e32 v1, v49, v53
	v_lshrrev_b32_e32 v5, 16, v4
	;;#ASMSTART
	v_cvt_f32_f16 v4, v5;
	;;#ASMEND
	v_fmac_f32_e32 v56, v2, v4
	v_add_f32_e32 v1, v1, v50
	v_add_f32_e32 v1, v54, v1
	;; [unrolled: 1-line block ×6, first 2 shown]
	v_fmac_f32_e32 v71, s3, v1
	v_cndmask_b32_e64 v1, 0, v71, s1
	ds_write_b32 v67, v1
	v_max_f32_e32 v1, v64, v64
	v_add_nc_u32_e32 v67, 0x200, v67
	v_max_f32_e32 v1, v1, v71
	v_cndmask_b32_e64 v64, v64, v1, s1
	v_add_co_u32 v57, s1, v57, 16
	v_add_co_ci_u32_e64 v58, null, 0, v58, s1
	v_cmp_le_i32_e64 s1, s12, v70
	s_or_b32 s5, s1, s5
	s_andn2_b32 exec_lo, exec_lo, s5
	s_cbranch_execnz .LBB103_6
; %bb.7:
	s_or_b32 exec_lo, exec_lo, s5
.LBB103_8:
	s_or_b32 exec_lo, exec_lo, s25
	v_mbcnt_lo_u32_b32 v2, -1, 0
	v_max_f32_e32 v5, v64, v64
	v_xor_b32_e32 v1, 16, v2
	v_xor_b32_e32 v4, 8, v2
	v_cmp_gt_i32_e32 vcc_lo, 32, v1
	v_cndmask_b32_e32 v1, v2, v1, vcc_lo
	v_cmp_gt_i32_e32 vcc_lo, 32, v4
	v_lshlrev_b32_e32 v1, 2, v1
	v_cndmask_b32_e32 v4, v2, v4, vcc_lo
	ds_bpermute_b32 v3, v1, v64
	s_waitcnt lgkmcnt(0)
	v_max_f32_e32 v6, v3, v3
	v_lshlrev_b32_e32 v3, 2, v4
	v_max_f32_e32 v5, v5, v6
	v_xor_b32_e32 v6, 4, v2
	ds_bpermute_b32 v4, v3, v5
	v_cmp_gt_i32_e32 vcc_lo, 32, v6
	v_cndmask_b32_e32 v6, v2, v6, vcc_lo
	s_waitcnt lgkmcnt(0)
	v_max_f32_e32 v7, v4, v4
	v_lshlrev_b32_e32 v4, 2, v6
	v_max_f32_e32 v5, v5, v7
	v_xor_b32_e32 v7, 2, v2
	ds_bpermute_b32 v6, v4, v5
	v_cmp_gt_i32_e32 vcc_lo, 32, v7
	v_cndmask_b32_e32 v7, v2, v7, vcc_lo
	v_lshlrev_b32_e32 v12, 2, v7
	v_xor_b32_e32 v7, 1, v2
	v_cmp_gt_i32_e32 vcc_lo, 32, v7
	s_waitcnt lgkmcnt(0)
	v_max_f32_e32 v6, v6, v6
	v_cndmask_b32_e32 v7, v2, v7, vcc_lo
	v_cmp_eq_u32_e32 vcc_lo, 0, v60
	v_max_f32_e32 v5, v5, v6
	v_lshlrev_b32_e32 v11, 2, v7
	ds_bpermute_b32 v6, v12, v5
	s_waitcnt lgkmcnt(0)
	v_max_f32_e32 v6, v6, v6
	v_max_f32_e32 v2, v5, v6
	v_lshlrev_b32_e32 v5, 2, v59
	ds_bpermute_b32 v6, v11, v2
	s_and_saveexec_b32 s1, vcc_lo
	s_cbranch_execz .LBB103_10
; %bb.9:
	s_waitcnt lgkmcnt(0)
	v_max_f32_e32 v6, v6, v6
	v_max_f32_e32 v2, v2, v2
	;; [unrolled: 1-line block ×3, first 2 shown]
	ds_write_b32 v5, v2 offset:224
.LBB103_10:
	s_or_b32 exec_lo, exec_lo, s1
	v_cmp_gt_u32_e64 s1, 4, v60
	v_mov_b32_e32 v2, 0xff7fffff
	s_waitcnt lgkmcnt(0)
	s_barrier
	buffer_gl0_inv
	s_and_saveexec_b32 s2, s1
; %bb.11:
	ds_read_b32 v2, v63 offset:224
; %bb.12:
	s_or_b32 exec_lo, exec_lo, s2
	s_waitcnt lgkmcnt(0)
	ds_bpermute_b32 v6, v12, v2
	v_max_f32_e32 v2, v2, v2
	s_lshl_b32 s2, s12, 5
	s_min_i32 s4, s2, s11
	v_cmp_gt_i32_e64 s2, s4, v0
	s_waitcnt lgkmcnt(0)
	v_max_f32_e32 v6, v6, v6
	v_max_f32_e32 v2, v2, v6
	ds_bpermute_b32 v6, v11, v2
	s_waitcnt lgkmcnt(0)
	v_max_f32_e32 v6, v6, v6
	v_max_f32_e32 v2, v2, v6
	v_mov_b32_e32 v6, 0
	ds_bpermute_b32 v7, v6, v2
	v_lshl_add_u32 v2, v0, 2, 0x100
	s_and_saveexec_b32 s5, s2
	s_cbranch_execz .LBB103_16
; %bb.13:
	v_lshl_add_u32 v8, v0, 2, 0x100
	v_mov_b32_e32 v6, 0
	v_mov_b32_e32 v9, v0
	s_mov_b32 s15, 0
	.p2align	6
.LBB103_14:                             ; =>This Inner Loop Header: Depth=1
	ds_read_b32 v10, v8
	v_add_nc_u32_e32 v9, 0x80, v9
	v_cmp_le_i32_e64 s3, s4, v9
	s_or_b32 s15, s3, s15
	s_waitcnt lgkmcnt(0)
	v_sub_f32_e32 v10, v10, v7
	v_mul_f32_e32 v10, 0x3fb8aa3b, v10
	v_exp_f32_e32 v10, v10
	ds_write_b32 v8, v10
	v_add_f32_e32 v6, v6, v10
	v_add_nc_u32_e32 v8, 0x200, v8
	s_andn2_b32 exec_lo, exec_lo, s15
	s_cbranch_execnz .LBB103_14
; %bb.15:
	s_or_b32 exec_lo, exec_lo, s15
.LBB103_16:
	s_or_b32 exec_lo, exec_lo, s5
	ds_bpermute_b32 v1, v1, v6
	s_waitcnt lgkmcnt(0)
	v_add_f32_e32 v1, v6, v1
	ds_bpermute_b32 v3, v3, v1
	s_waitcnt lgkmcnt(0)
	v_add_f32_e32 v1, v1, v3
	;; [unrolled: 3-line block ×5, first 2 shown]
	s_and_saveexec_b32 s3, vcc_lo
; %bb.17:
	ds_write_b32 v5, v1 offset:240
; %bb.18:
	s_or_b32 exec_lo, exec_lo, s3
	s_waitcnt lgkmcnt(0)
	s_barrier
	buffer_gl0_inv
	s_and_saveexec_b32 s3, s1
; %bb.19:
	ds_read_b32 v1, v63 offset:240
; %bb.20:
	s_or_b32 exec_lo, exec_lo, s3
	s_waitcnt lgkmcnt(0)
	ds_bpermute_b32 v3, v12, v1
	s_waitcnt lgkmcnt(0)
	v_add_f32_e32 v1, v1, v3
	ds_bpermute_b32 v3, v11, v1
	s_waitcnt lgkmcnt(0)
	v_add_f32_e32 v1, v1, v3
	v_mov_b32_e32 v3, 0
	ds_bpermute_b32 v1, v3, v1
	s_and_saveexec_b32 s1, s2
	s_cbranch_execz .LBB103_23
; %bb.21:
	s_waitcnt lgkmcnt(0)
	v_add_f32_e32 v1, 0x358637bd, v1
	s_mov_b32 s2, 0
	v_div_scale_f32 v3, null, v1, v1, 1.0
	v_div_scale_f32 v6, vcc_lo, 1.0, v1, 1.0
	v_rcp_f32_e32 v4, v3
	v_fma_f32 v5, -v3, v4, 1.0
	v_fmac_f32_e32 v4, v5, v4
	v_mul_f32_e32 v5, v6, v4
	v_fma_f32 v7, -v3, v5, v6
	v_fmac_f32_e32 v5, v7, v4
	v_fma_f32 v3, -v3, v5, v6
	v_div_fmas_f32 v3, v3, v4, v5
	v_div_fixup_f32 v1, v3, v1, 1.0
	v_mov_b32_e32 v3, v0
.LBB103_22:                             ; =>This Inner Loop Header: Depth=1
	ds_read_b32 v4, v2
	v_add_nc_u32_e32 v3, 0x80, v3
	v_cmp_le_i32_e32 vcc_lo, s4, v3
	s_or_b32 s2, vcc_lo, s2
	s_waitcnt lgkmcnt(0)
	v_mul_f32_e32 v4, v1, v4
	ds_write_b32 v2, v4
	v_add_nc_u32_e32 v2, 0x200, v2
	s_andn2_b32 exec_lo, exec_lo, s2
	s_cbranch_execnz .LBB103_22
.LBB103_23:
	s_or_b32 exec_lo, exec_lo, s1
	v_mov_b32_e32 v25, 0
	v_and_b32_e32 v13, 3, v0
	v_mov_b32_e32 v27, 0
	v_mov_b32_e32 v26, 0
	;; [unrolled: 1-line block ×13, first 2 shown]
	s_waitcnt lgkmcnt(0)
	s_barrier
	buffer_gl0_inv
	s_and_saveexec_b32 s2, s0
	s_cbranch_execz .LBB103_55
; %bb.24:
	v_lshlrev_b32_e32 v1, 3, v0
	s_ashr_i32 s15, s14, 31
	v_and_b32_e32 v3, 0x1f0, v61
	s_lshl_b64 s[0:1], s[14:15], 1
	v_lshlrev_b32_e32 v4, 5, v59
	v_and_b32_e32 v1, 24, v1
	s_add_u32 s0, s22, s0
	v_lshlrev_b32_e32 v2, 5, v13
	s_addc_u32 s1, s23, s1
	v_add_co_u32 v29, s0, s0, v3
	v_or3_b32 v31, v4, v1, 7
	v_and_b32_e32 v1, 0x7c, v62
	v_add_co_ci_u32_e64 v30, null, s1, 0, s0
	s_lshl_b64 s[0:1], s[20:21], 2
	s_add_i32 s3, s12, -1
	v_lshl_or_b32 v2, v59, 7, v2
	s_add_u32 s0, s18, s0
	s_addc_u32 s1, s19, s1
	v_add_co_u32 v5, s0, s0, v1
	v_mov_b32_e32 v28, 0
	v_add_nc_u32_e32 v32, 0x100, v2
	v_add_co_ci_u32_e64 v6, null, s1, 0, s0
	v_mov_b32_e32 v14, 0
	v_mov_b32_e32 v15, 0
	v_mov_b32_e32 v16, 0
	v_mov_b32_e32 v17, 0
	v_mov_b32_e32 v18, 0
	v_mov_b32_e32 v19, 0
	v_mov_b32_e32 v20, 0
	v_mov_b32_e32 v21, 0
	v_mov_b32_e32 v22, 0
	v_mov_b32_e32 v23, 0
	v_mov_b32_e32 v24, 0
	v_mov_b32_e32 v26, 0
	v_mov_b32_e32 v27, 0
	v_mov_b32_e32 v25, 0
	v_mov_b32_e32 v33, v59
	s_mov_b32 s5, s13
	s_mov_b32 s4, 0
	s_branch .LBB103_26
.LBB103_25:                             ;   in Loop: Header=BB103_26 Depth=1
	s_or_b32 exec_lo, exec_lo, s1
	v_add_f32_e32 v9, v9, v10
	v_add_f32_e32 v34, v70, v71
	;; [unrolled: 1-line block ×3, first 2 shown]
	v_lshlrev_b32_e32 v8, 16, v8
	v_lshlrev_b32_e32 v7, 16, v7
	v_add_f32_e32 v16, v16, v9
	v_add_f32_e32 v9, v65, v66
	;; [unrolled: 1-line block ×7, first 2 shown]
	v_lshlrev_b32_e32 v9, 16, v69
	v_and_or_b32 v2, 0xffff, v2, v8
	v_and_or_b32 v3, 0xffff, v3, v7
	v_add_nc_u32_e32 v33, 4, v33
	v_add_f32_e32 v35, v57, v58
	v_and_or_b32 v1, 0xffff, v1, v9
	;;#ASMSTART
	v_pk_mul_f16 v1, v37, v1;

	;;#ASMEND
	;;#ASMSTART
	v_pk_mul_f16 v2, v36, v2;

	;;#ASMEND
	;; [unrolled: 4-line block ×4, first 2 shown]
	;;#ASMSTART
	v_pk_add_f16 v1, v1, v2;

	;;#ASMEND
	;;#ASMSTART
	v_pk_add_f16 v1, v1, v3;

	;;#ASMEND
	;; [unrolled: 4-line block ×3, first 2 shown]
	v_and_b32_e32 v4, 0xffff, v1
	v_lshrrev_b32_e32 v7, 16, v1
	;;#ASMSTART
	v_cvt_f32_f16 v4, v4;
	;;#ASMEND
	v_add_f32_e32 v38, v55, v56
	v_add_f32_e32 v19, v19, v10
	;; [unrolled: 1-line block ×8, first 2 shown]
	;;#ASMSTART
	v_cvt_f32_f16 v7, v7;
	;;#ASMEND
	v_add_f32_e32 v4, v4, v7
	v_cmp_le_i32_e32 vcc_lo, s12, v33
	v_add_co_u32 v5, s0, v5, 16
	v_add_f32_e32 v21, v21, v35
	v_add_f32_e32 v22, v22, v38
	;; [unrolled: 1-line block ×8, first 2 shown]
	v_add_nc_u32_e32 v31, 0x80, v31
	v_add_nc_u32_e32 v32, 0x200, v32
	v_add_co_ci_u32_e64 v6, null, 0, v6, s0
	s_or_b32 s4, vcc_lo, s4
	s_andn2_b32 exec_lo, exec_lo, s4
	s_cbranch_execz .LBB103_54
.LBB103_26:                             ; =>This Inner Loop Header: Depth=1
	global_load_dword v7, v[5:6], off
	ds_read2_b64 v[1:4], v32 offset1:1
	ds_read2_b64 v[44:47], v32 offset0:2 offset1:3
	v_add_nc_u32_e32 v41, -7, v31
	v_cmp_eq_u32_e64 s0, s3, v33
	v_add_nc_u32_e32 v39, -5, v31
	v_add_nc_u32_e32 v38, -4, v31
	;; [unrolled: 1-line block ×4, first 2 shown]
	s_waitcnt lgkmcnt(1)
	;;#ASMSTART
	v_cvt_f16_f32 v37, v1;

	;;#ASMEND
	;;#ASMSTART
	v_cvt_f16_f32 v36, v2;

	;;#ASMEND
	;; [unrolled: 4-line block ×4, first 2 shown]
	s_waitcnt lgkmcnt(0)
	;;#ASMSTART
	v_cvt_f16_f32 v44, v44;

	;;#ASMEND
	;;#ASMSTART
	v_cvt_f16_f32 v10, v45;

	;;#ASMEND
	;; [unrolled: 4-line block ×4, first 2 shown]
	v_add_nc_u32_e32 v46, -6, v31
	v_add_nc_u32_e32 v45, -1, v31
	s_waitcnt vmcnt(0)
	v_mad_i64_i32 v[7:8], null, v7, s5, 0
	v_lshlrev_b64 v[7:8], 1, v[7:8]
	v_add_co_u32 v7, vcc_lo, v29, v7
	v_add_co_ci_u32_e64 v8, null, v30, v8, vcc_lo
	global_load_dwordx4 v[1:4], v[7:8], off
	s_waitcnt vmcnt(0)
	v_lshrrev_b32_e32 v49, 16, v1
	v_lshrrev_b32_e32 v48, 16, v2
	;; [unrolled: 1-line block ×3, first 2 shown]
	s_and_saveexec_b32 s13, s0
	s_cbranch_execz .LBB103_28
; %bb.27:                               ;   in Loop: Header=BB103_26 Depth=1
	v_cmp_gt_i32_e32 vcc_lo, s11, v41
	v_and_b32_e32 v50, 0xffff0000, v4
	v_cmp_gt_i32_e64 s1, s11, v39
	v_cndmask_b32_e32 v1, 0, v1, vcc_lo
	v_cmp_gt_i32_e32 vcc_lo, s11, v46
	v_cndmask_b32_e64 v2, 0, v2, s1
	v_cmp_gt_i32_e64 s1, s11, v38
	v_cndmask_b32_e32 v49, 0, v49, vcc_lo
	v_cmp_gt_i32_e32 vcc_lo, s11, v45
	v_cndmask_b32_e64 v48, 0, v48, s1
	v_cndmask_b32_sdwa v4, v28, v4, vcc_lo dst_sel:DWORD dst_unused:UNUSED_PAD src0_sel:DWORD src1_sel:WORD_0
	v_cmp_gt_i32_e32 vcc_lo, s11, v31
	v_cndmask_b32_e32 v50, 0, v50, vcc_lo
	v_cmp_gt_i32_e32 vcc_lo, s11, v35
	v_or_b32_e32 v4, v4, v50
	v_cndmask_b32_e32 v3, 0, v3, vcc_lo
	v_cmp_gt_i32_e32 vcc_lo, s11, v34
	v_cndmask_b32_e32 v47, 0, v47, vcc_lo
.LBB103_28:                             ;   in Loop: Header=BB103_26 Depth=1
	s_or_b32 exec_lo, exec_lo, s13
	v_and_b32_e32 v37, 0xffff, v37
	v_and_b32_e32 v43, 0xffff, v43
	v_lshlrev_b32_e32 v49, 16, v49
	v_lshlrev_b32_e32 v47, 16, v47
	v_and_b32_e32 v44, 0xffff, v44
	v_lshl_or_b32 v37, v36, 16, v37
	v_lshl_or_b32 v36, v40, 16, v43
	v_lshlrev_b32_e32 v43, 16, v48
	v_and_b32_e32 v42, 0xffff, v42
	v_and_or_b32 v1, 0xffff, v1, v49
	v_and_or_b32 v3, 0xffff, v3, v47
	;;#ASMSTART
	v_pk_mul_f16 v1, v37, v1;

	;;#ASMEND
	v_and_or_b32 v2, 0xffff, v2, v43
	v_lshl_or_b32 v40, v10, 16, v44
	v_lshl_or_b32 v42, v9, 16, v42
	;;#ASMSTART
	v_pk_mul_f16 v2, v36, v2;

	;;#ASMEND
	;;#ASMSTART
	v_pk_mul_f16 v3, v40, v3;

	;;#ASMEND
	;; [unrolled: 4-line block ×3, first 2 shown]
	;;#ASMSTART
	v_pk_add_f16 v1, v1, v2;

	;;#ASMEND
	;;#ASMSTART
	v_pk_add_f16 v1, v1, v3;

	;;#ASMEND
	;; [unrolled: 4-line block ×3, first 2 shown]
	v_and_b32_e32 v2, 0xffff, v1
	v_lshrrev_b32_e32 v1, 16, v1
	;;#ASMSTART
	v_cvt_f32_f16 v43, v2;
	;;#ASMEND
	;;#ASMSTART
	v_cvt_f32_f16 v44, v1;
	;;#ASMEND
	global_load_dwordx4 v[1:4], v[7:8], off offset:512
	s_waitcnt vmcnt(0)
	v_lshrrev_b32_e32 v47, 16, v1
	v_lshrrev_b32_e32 v10, 16, v2
	;; [unrolled: 1-line block ×3, first 2 shown]
	s_and_saveexec_b32 s13, s0
	s_cbranch_execz .LBB103_30
; %bb.29:                               ;   in Loop: Header=BB103_26 Depth=1
	v_cmp_gt_i32_e32 vcc_lo, s11, v41
	v_and_b32_e32 v48, 0xffff0000, v4
	v_cmp_gt_i32_e64 s1, s11, v39
	v_cndmask_b32_e32 v1, 0, v1, vcc_lo
	v_cmp_gt_i32_e32 vcc_lo, s11, v46
	v_cndmask_b32_e64 v2, 0, v2, s1
	v_cmp_gt_i32_e64 s1, s11, v38
	v_cndmask_b32_e32 v47, 0, v47, vcc_lo
	v_cmp_gt_i32_e32 vcc_lo, s11, v45
	v_cndmask_b32_e64 v10, 0, v10, s1
	v_cndmask_b32_sdwa v4, v28, v4, vcc_lo dst_sel:DWORD dst_unused:UNUSED_PAD src0_sel:DWORD src1_sel:WORD_0
	v_cmp_gt_i32_e32 vcc_lo, s11, v31
	v_cndmask_b32_e32 v48, 0, v48, vcc_lo
	v_cmp_gt_i32_e32 vcc_lo, s11, v35
	v_or_b32_e32 v4, v4, v48
	v_cndmask_b32_e32 v3, 0, v3, vcc_lo
	v_cmp_gt_i32_e32 vcc_lo, s11, v34
	v_cndmask_b32_e32 v9, 0, v9, vcc_lo
.LBB103_30:                             ;   in Loop: Header=BB103_26 Depth=1
	s_or_b32 exec_lo, exec_lo, s13
	v_lshlrev_b32_e32 v47, 16, v47
	v_lshlrev_b32_e32 v10, 16, v10
	;; [unrolled: 1-line block ×3, first 2 shown]
	v_and_or_b32 v1, 0xffff, v1, v47
	v_and_or_b32 v2, 0xffff, v2, v10
	;; [unrolled: 1-line block ×3, first 2 shown]
	;;#ASMSTART
	v_pk_mul_f16 v1, v37, v1;

	;;#ASMEND
	;;#ASMSTART
	v_pk_mul_f16 v2, v36, v2;

	;;#ASMEND
	;; [unrolled: 4-line block ×4, first 2 shown]
	;;#ASMSTART
	v_pk_add_f16 v1, v1, v2;

	;;#ASMEND
	;;#ASMSTART
	v_pk_add_f16 v1, v1, v3;

	;;#ASMEND
	;; [unrolled: 4-line block ×3, first 2 shown]
	v_and_b32_e32 v2, 0xffff, v1
	v_lshrrev_b32_e32 v1, 16, v1
	;;#ASMSTART
	v_cvt_f32_f16 v47, v2;
	;;#ASMEND
	;;#ASMSTART
	v_cvt_f32_f16 v48, v1;
	;;#ASMEND
	global_load_dwordx4 v[1:4], v[7:8], off offset:1024
	s_waitcnt vmcnt(0)
	v_lshrrev_b32_e32 v49, 16, v1
	v_lshrrev_b32_e32 v10, 16, v2
	;; [unrolled: 1-line block ×3, first 2 shown]
	s_and_saveexec_b32 s13, s0
	s_cbranch_execz .LBB103_32
; %bb.31:                               ;   in Loop: Header=BB103_26 Depth=1
	v_cmp_gt_i32_e32 vcc_lo, s11, v41
	v_and_b32_e32 v50, 0xffff0000, v4
	v_cmp_gt_i32_e64 s1, s11, v39
	v_cndmask_b32_e32 v1, 0, v1, vcc_lo
	v_cmp_gt_i32_e32 vcc_lo, s11, v46
	v_cndmask_b32_e64 v2, 0, v2, s1
	v_cmp_gt_i32_e64 s1, s11, v38
	v_cndmask_b32_e32 v49, 0, v49, vcc_lo
	v_cmp_gt_i32_e32 vcc_lo, s11, v45
	v_cndmask_b32_e64 v10, 0, v10, s1
	v_cndmask_b32_sdwa v4, v28, v4, vcc_lo dst_sel:DWORD dst_unused:UNUSED_PAD src0_sel:DWORD src1_sel:WORD_0
	v_cmp_gt_i32_e32 vcc_lo, s11, v31
	v_cndmask_b32_e32 v50, 0, v50, vcc_lo
	v_cmp_gt_i32_e32 vcc_lo, s11, v35
	v_or_b32_e32 v4, v4, v50
	v_cndmask_b32_e32 v3, 0, v3, vcc_lo
	v_cmp_gt_i32_e32 vcc_lo, s11, v34
	v_cndmask_b32_e32 v9, 0, v9, vcc_lo
.LBB103_32:                             ;   in Loop: Header=BB103_26 Depth=1
	s_or_b32 exec_lo, exec_lo, s13
	v_lshlrev_b32_e32 v49, 16, v49
	v_lshlrev_b32_e32 v10, 16, v10
	v_lshlrev_b32_e32 v9, 16, v9
	v_and_or_b32 v1, 0xffff, v1, v49
	v_and_or_b32 v2, 0xffff, v2, v10
	;; [unrolled: 1-line block ×3, first 2 shown]
	;;#ASMSTART
	v_pk_mul_f16 v1, v37, v1;

	;;#ASMEND
	;;#ASMSTART
	v_pk_mul_f16 v2, v36, v2;

	;;#ASMEND
	;; [unrolled: 4-line block ×4, first 2 shown]
	;;#ASMSTART
	v_pk_add_f16 v1, v1, v2;

	;;#ASMEND
	;;#ASMSTART
	v_pk_add_f16 v1, v1, v3;

	;;#ASMEND
	;; [unrolled: 4-line block ×3, first 2 shown]
	v_and_b32_e32 v2, 0xffff, v1
	v_lshrrev_b32_e32 v1, 16, v1
	;;#ASMSTART
	v_cvt_f32_f16 v49, v2;
	;;#ASMEND
	;;#ASMSTART
	v_cvt_f32_f16 v50, v1;
	;;#ASMEND
	global_load_dwordx4 v[1:4], v[7:8], off offset:1536
	s_waitcnt vmcnt(0)
	v_lshrrev_b32_e32 v51, 16, v1
	v_lshrrev_b32_e32 v10, 16, v2
	;; [unrolled: 1-line block ×3, first 2 shown]
	s_and_saveexec_b32 s13, s0
	s_cbranch_execz .LBB103_34
; %bb.33:                               ;   in Loop: Header=BB103_26 Depth=1
	v_cmp_gt_i32_e32 vcc_lo, s11, v41
	v_and_b32_e32 v52, 0xffff0000, v4
	v_cmp_gt_i32_e64 s1, s11, v39
	v_cndmask_b32_e32 v1, 0, v1, vcc_lo
	v_cmp_gt_i32_e32 vcc_lo, s11, v46
	v_cndmask_b32_e64 v2, 0, v2, s1
	v_cmp_gt_i32_e64 s1, s11, v38
	v_cndmask_b32_e32 v51, 0, v51, vcc_lo
	v_cmp_gt_i32_e32 vcc_lo, s11, v45
	v_cndmask_b32_e64 v10, 0, v10, s1
	v_cndmask_b32_sdwa v4, v28, v4, vcc_lo dst_sel:DWORD dst_unused:UNUSED_PAD src0_sel:DWORD src1_sel:WORD_0
	v_cmp_gt_i32_e32 vcc_lo, s11, v31
	v_cndmask_b32_e32 v52, 0, v52, vcc_lo
	v_cmp_gt_i32_e32 vcc_lo, s11, v35
	v_or_b32_e32 v4, v4, v52
	v_cndmask_b32_e32 v3, 0, v3, vcc_lo
	v_cmp_gt_i32_e32 vcc_lo, s11, v34
	v_cndmask_b32_e32 v9, 0, v9, vcc_lo
.LBB103_34:                             ;   in Loop: Header=BB103_26 Depth=1
	s_or_b32 exec_lo, exec_lo, s13
	v_lshlrev_b32_e32 v9, 16, v9
	v_lshlrev_b32_e32 v51, 16, v51
	;; [unrolled: 1-line block ×3, first 2 shown]
	v_and_or_b32 v3, 0xffff, v3, v9
	v_add_co_u32 v9, vcc_lo, 0x800, v7
	v_and_or_b32 v1, 0xffff, v1, v51
	v_and_or_b32 v2, 0xffff, v2, v10
	;;#ASMSTART
	v_pk_mul_f16 v1, v37, v1;

	;;#ASMEND
	v_add_co_ci_u32_e64 v10, null, 0, v8, vcc_lo
	;;#ASMSTART
	v_pk_mul_f16 v2, v36, v2;

	;;#ASMEND
	;;#ASMSTART
	v_pk_mul_f16 v3, v40, v3;

	;;#ASMEND
	;; [unrolled: 4-line block ×3, first 2 shown]
	;;#ASMSTART
	v_pk_add_f16 v1, v1, v2;

	;;#ASMEND
	;;#ASMSTART
	v_pk_add_f16 v1, v1, v3;

	;;#ASMEND
	;; [unrolled: 4-line block ×3, first 2 shown]
	v_lshrrev_b32_e32 v2, 16, v1
	v_and_b32_e32 v1, 0xffff, v1
	;;#ASMSTART
	v_cvt_f32_f16 v51, v1;
	;;#ASMEND
	;;#ASMSTART
	v_cvt_f32_f16 v52, v2;
	;;#ASMEND
	global_load_dwordx4 v[1:4], v[9:10], off
	s_waitcnt vmcnt(0)
	v_lshrrev_b32_e32 v55, 16, v1
	v_lshrrev_b32_e32 v54, 16, v2
	v_lshrrev_b32_e32 v53, 16, v3
	s_and_saveexec_b32 s13, s0
	s_cbranch_execz .LBB103_36
; %bb.35:                               ;   in Loop: Header=BB103_26 Depth=1
	v_cmp_gt_i32_e32 vcc_lo, s11, v41
	v_and_b32_e32 v56, 0xffff0000, v4
	v_cmp_gt_i32_e64 s1, s11, v39
	v_cndmask_b32_e32 v1, 0, v1, vcc_lo
	v_cmp_gt_i32_e32 vcc_lo, s11, v46
	v_cndmask_b32_e64 v2, 0, v2, s1
	v_cmp_gt_i32_e64 s1, s11, v38
	v_cndmask_b32_e32 v55, 0, v55, vcc_lo
	v_cmp_gt_i32_e32 vcc_lo, s11, v45
	v_cndmask_b32_e64 v54, 0, v54, s1
	v_cndmask_b32_sdwa v4, v28, v4, vcc_lo dst_sel:DWORD dst_unused:UNUSED_PAD src0_sel:DWORD src1_sel:WORD_0
	v_cmp_gt_i32_e32 vcc_lo, s11, v31
	v_cndmask_b32_e32 v56, 0, v56, vcc_lo
	v_cmp_gt_i32_e32 vcc_lo, s11, v35
	v_or_b32_e32 v4, v4, v56
	v_cndmask_b32_e32 v3, 0, v3, vcc_lo
	v_cmp_gt_i32_e32 vcc_lo, s11, v34
	v_cndmask_b32_e32 v53, 0, v53, vcc_lo
.LBB103_36:                             ;   in Loop: Header=BB103_26 Depth=1
	s_or_b32 exec_lo, exec_lo, s13
	v_lshlrev_b32_e32 v55, 16, v55
	v_lshlrev_b32_e32 v54, 16, v54
	;; [unrolled: 1-line block ×3, first 2 shown]
	v_and_or_b32 v1, 0xffff, v1, v55
	v_and_or_b32 v2, 0xffff, v2, v54
	;; [unrolled: 1-line block ×3, first 2 shown]
	;;#ASMSTART
	v_pk_mul_f16 v1, v37, v1;

	;;#ASMEND
	;;#ASMSTART
	v_pk_mul_f16 v2, v36, v2;

	;;#ASMEND
	;; [unrolled: 4-line block ×4, first 2 shown]
	;;#ASMSTART
	v_pk_add_f16 v1, v1, v2;

	;;#ASMEND
	;;#ASMSTART
	v_pk_add_f16 v1, v1, v3;

	;;#ASMEND
	;; [unrolled: 4-line block ×3, first 2 shown]
	v_and_b32_e32 v2, 0xffff, v1
	v_lshrrev_b32_e32 v1, 16, v1
	;;#ASMSTART
	v_cvt_f32_f16 v53, v2;
	;;#ASMEND
	;;#ASMSTART
	v_cvt_f32_f16 v54, v1;
	;;#ASMEND
	global_load_dwordx4 v[1:4], v[9:10], off offset:512
	s_waitcnt vmcnt(0)
	v_lshrrev_b32_e32 v57, 16, v1
	v_lshrrev_b32_e32 v56, 16, v2
	;; [unrolled: 1-line block ×3, first 2 shown]
	s_and_saveexec_b32 s13, s0
	s_cbranch_execz .LBB103_38
; %bb.37:                               ;   in Loop: Header=BB103_26 Depth=1
	v_cmp_gt_i32_e32 vcc_lo, s11, v41
	v_and_b32_e32 v58, 0xffff0000, v4
	v_cmp_gt_i32_e64 s1, s11, v39
	v_cndmask_b32_e32 v1, 0, v1, vcc_lo
	v_cmp_gt_i32_e32 vcc_lo, s11, v46
	v_cndmask_b32_e64 v2, 0, v2, s1
	v_cmp_gt_i32_e64 s1, s11, v38
	v_cndmask_b32_e32 v57, 0, v57, vcc_lo
	v_cmp_gt_i32_e32 vcc_lo, s11, v45
	v_cndmask_b32_e64 v56, 0, v56, s1
	v_cndmask_b32_sdwa v4, v28, v4, vcc_lo dst_sel:DWORD dst_unused:UNUSED_PAD src0_sel:DWORD src1_sel:WORD_0
	v_cmp_gt_i32_e32 vcc_lo, s11, v31
	v_cndmask_b32_e32 v58, 0, v58, vcc_lo
	v_cmp_gt_i32_e32 vcc_lo, s11, v35
	v_or_b32_e32 v4, v4, v58
	v_cndmask_b32_e32 v3, 0, v3, vcc_lo
	v_cmp_gt_i32_e32 vcc_lo, s11, v34
	v_cndmask_b32_e32 v55, 0, v55, vcc_lo
.LBB103_38:                             ;   in Loop: Header=BB103_26 Depth=1
	s_or_b32 exec_lo, exec_lo, s13
	v_lshlrev_b32_e32 v57, 16, v57
	v_lshlrev_b32_e32 v56, 16, v56
	;; [unrolled: 1-line block ×3, first 2 shown]
	v_and_or_b32 v1, 0xffff, v1, v57
	v_and_or_b32 v2, 0xffff, v2, v56
	;; [unrolled: 1-line block ×3, first 2 shown]
	;;#ASMSTART
	v_pk_mul_f16 v1, v37, v1;

	;;#ASMEND
	;;#ASMSTART
	v_pk_mul_f16 v2, v36, v2;

	;;#ASMEND
	;; [unrolled: 4-line block ×4, first 2 shown]
	;;#ASMSTART
	v_pk_add_f16 v1, v1, v2;

	;;#ASMEND
	;;#ASMSTART
	v_pk_add_f16 v1, v1, v3;

	;;#ASMEND
	;; [unrolled: 4-line block ×3, first 2 shown]
	v_and_b32_e32 v2, 0xffff, v1
	v_lshrrev_b32_e32 v1, 16, v1
	;;#ASMSTART
	v_cvt_f32_f16 v55, v2;
	;;#ASMEND
	;;#ASMSTART
	v_cvt_f32_f16 v56, v1;
	;;#ASMEND
	global_load_dwordx4 v[1:4], v[9:10], off offset:1024
	s_waitcnt vmcnt(0)
	v_lshrrev_b32_e32 v61, 16, v1
	v_lshrrev_b32_e32 v58, 16, v2
	v_lshrrev_b32_e32 v57, 16, v3
	s_and_saveexec_b32 s13, s0
	s_cbranch_execz .LBB103_40
; %bb.39:                               ;   in Loop: Header=BB103_26 Depth=1
	v_cmp_gt_i32_e32 vcc_lo, s11, v41
	v_and_b32_e32 v62, 0xffff0000, v4
	v_cmp_gt_i32_e64 s1, s11, v39
	v_cndmask_b32_e32 v1, 0, v1, vcc_lo
	v_cmp_gt_i32_e32 vcc_lo, s11, v46
	v_cndmask_b32_e64 v2, 0, v2, s1
	v_cmp_gt_i32_e64 s1, s11, v38
	v_cndmask_b32_e32 v61, 0, v61, vcc_lo
	v_cmp_gt_i32_e32 vcc_lo, s11, v45
	v_cndmask_b32_e64 v58, 0, v58, s1
	v_cndmask_b32_sdwa v4, v28, v4, vcc_lo dst_sel:DWORD dst_unused:UNUSED_PAD src0_sel:DWORD src1_sel:WORD_0
	v_cmp_gt_i32_e32 vcc_lo, s11, v31
	v_cndmask_b32_e32 v62, 0, v62, vcc_lo
	v_cmp_gt_i32_e32 vcc_lo, s11, v35
	v_or_b32_e32 v4, v4, v62
	v_cndmask_b32_e32 v3, 0, v3, vcc_lo
	v_cmp_gt_i32_e32 vcc_lo, s11, v34
	v_cndmask_b32_e32 v57, 0, v57, vcc_lo
.LBB103_40:                             ;   in Loop: Header=BB103_26 Depth=1
	s_or_b32 exec_lo, exec_lo, s13
	v_lshlrev_b32_e32 v61, 16, v61
	v_lshlrev_b32_e32 v58, 16, v58
	;; [unrolled: 1-line block ×3, first 2 shown]
	v_and_or_b32 v1, 0xffff, v1, v61
	v_and_or_b32 v2, 0xffff, v2, v58
	;; [unrolled: 1-line block ×3, first 2 shown]
	;;#ASMSTART
	v_pk_mul_f16 v1, v37, v1;

	;;#ASMEND
	;;#ASMSTART
	v_pk_mul_f16 v2, v36, v2;

	;;#ASMEND
	;; [unrolled: 4-line block ×4, first 2 shown]
	;;#ASMSTART
	v_pk_add_f16 v1, v1, v2;

	;;#ASMEND
	;;#ASMSTART
	v_pk_add_f16 v1, v1, v3;

	;;#ASMEND
	;; [unrolled: 4-line block ×3, first 2 shown]
	v_and_b32_e32 v2, 0xffff, v1
	v_lshrrev_b32_e32 v1, 16, v1
	;;#ASMSTART
	v_cvt_f32_f16 v57, v2;
	;;#ASMEND
	;;#ASMSTART
	v_cvt_f32_f16 v58, v1;
	;;#ASMEND
	global_load_dwordx4 v[1:4], v[9:10], off offset:1536
	s_waitcnt vmcnt(0)
	v_lshrrev_b32_e32 v61, 16, v1
	v_lshrrev_b32_e32 v10, 16, v2
	;; [unrolled: 1-line block ×3, first 2 shown]
	s_and_saveexec_b32 s13, s0
	s_cbranch_execz .LBB103_42
; %bb.41:                               ;   in Loop: Header=BB103_26 Depth=1
	v_cmp_gt_i32_e32 vcc_lo, s11, v41
	v_and_b32_e32 v62, 0xffff0000, v4
	v_cmp_gt_i32_e64 s1, s11, v39
	v_cndmask_b32_e32 v1, 0, v1, vcc_lo
	v_cmp_gt_i32_e32 vcc_lo, s11, v46
	v_cndmask_b32_e64 v2, 0, v2, s1
	v_cmp_gt_i32_e64 s1, s11, v38
	v_cndmask_b32_e32 v61, 0, v61, vcc_lo
	v_cmp_gt_i32_e32 vcc_lo, s11, v45
	v_cndmask_b32_e64 v10, 0, v10, s1
	v_cndmask_b32_sdwa v4, v28, v4, vcc_lo dst_sel:DWORD dst_unused:UNUSED_PAD src0_sel:DWORD src1_sel:WORD_0
	v_cmp_gt_i32_e32 vcc_lo, s11, v31
	v_cndmask_b32_e32 v62, 0, v62, vcc_lo
	v_cmp_gt_i32_e32 vcc_lo, s11, v35
	v_or_b32_e32 v4, v4, v62
	v_cndmask_b32_e32 v3, 0, v3, vcc_lo
	v_cmp_gt_i32_e32 vcc_lo, s11, v34
	v_cndmask_b32_e32 v9, 0, v9, vcc_lo
.LBB103_42:                             ;   in Loop: Header=BB103_26 Depth=1
	s_or_b32 exec_lo, exec_lo, s13
	v_lshlrev_b32_e32 v9, 16, v9
	v_lshlrev_b32_e32 v61, 16, v61
	;; [unrolled: 1-line block ×3, first 2 shown]
	v_and_or_b32 v3, 0xffff, v3, v9
	v_add_co_u32 v9, vcc_lo, 0x1000, v7
	v_and_or_b32 v1, 0xffff, v1, v61
	v_and_or_b32 v2, 0xffff, v2, v10
	;;#ASMSTART
	v_pk_mul_f16 v1, v37, v1;

	;;#ASMEND
	v_add_co_ci_u32_e64 v10, null, 0, v8, vcc_lo
	;;#ASMSTART
	v_pk_mul_f16 v2, v36, v2;

	;;#ASMEND
	;;#ASMSTART
	v_pk_mul_f16 v3, v40, v3;

	;;#ASMEND
	;; [unrolled: 4-line block ×3, first 2 shown]
	;;#ASMSTART
	v_pk_add_f16 v1, v1, v2;

	;;#ASMEND
	;;#ASMSTART
	v_pk_add_f16 v1, v1, v3;

	;;#ASMEND
	;; [unrolled: 4-line block ×3, first 2 shown]
	v_lshrrev_b32_e32 v2, 16, v1
	v_and_b32_e32 v1, 0xffff, v1
	;;#ASMSTART
	v_cvt_f32_f16 v61, v1;
	;;#ASMEND
	;;#ASMSTART
	v_cvt_f32_f16 v62, v2;
	;;#ASMEND
	global_load_dwordx4 v[1:4], v[9:10], off
	s_waitcnt vmcnt(0)
	v_lshrrev_b32_e32 v65, 16, v1
	v_lshrrev_b32_e32 v64, 16, v2
	;; [unrolled: 1-line block ×3, first 2 shown]
	s_and_saveexec_b32 s13, s0
	s_cbranch_execz .LBB103_44
; %bb.43:                               ;   in Loop: Header=BB103_26 Depth=1
	v_cmp_gt_i32_e32 vcc_lo, s11, v41
	v_and_b32_e32 v66, 0xffff0000, v4
	v_cmp_gt_i32_e64 s1, s11, v39
	v_cndmask_b32_e32 v1, 0, v1, vcc_lo
	v_cmp_gt_i32_e32 vcc_lo, s11, v46
	v_cndmask_b32_e64 v2, 0, v2, s1
	v_cmp_gt_i32_e64 s1, s11, v38
	v_cndmask_b32_e32 v65, 0, v65, vcc_lo
	v_cmp_gt_i32_e32 vcc_lo, s11, v45
	v_cndmask_b32_e64 v64, 0, v64, s1
	v_cndmask_b32_sdwa v4, v28, v4, vcc_lo dst_sel:DWORD dst_unused:UNUSED_PAD src0_sel:DWORD src1_sel:WORD_0
	v_cmp_gt_i32_e32 vcc_lo, s11, v31
	v_cndmask_b32_e32 v66, 0, v66, vcc_lo
	v_cmp_gt_i32_e32 vcc_lo, s11, v35
	v_or_b32_e32 v4, v4, v66
	v_cndmask_b32_e32 v3, 0, v3, vcc_lo
	v_cmp_gt_i32_e32 vcc_lo, s11, v34
	v_cndmask_b32_e32 v63, 0, v63, vcc_lo
.LBB103_44:                             ;   in Loop: Header=BB103_26 Depth=1
	s_or_b32 exec_lo, exec_lo, s13
	v_lshlrev_b32_e32 v65, 16, v65
	v_lshlrev_b32_e32 v64, 16, v64
	;; [unrolled: 1-line block ×3, first 2 shown]
	v_and_or_b32 v1, 0xffff, v1, v65
	v_and_or_b32 v2, 0xffff, v2, v64
	;; [unrolled: 1-line block ×3, first 2 shown]
	;;#ASMSTART
	v_pk_mul_f16 v1, v37, v1;

	;;#ASMEND
	;;#ASMSTART
	v_pk_mul_f16 v2, v36, v2;

	;;#ASMEND
	;;#ASMSTART
	v_pk_mul_f16 v3, v40, v3;

	;;#ASMEND
	;;#ASMSTART
	v_pk_mul_f16 v4, v42, v4;

	;;#ASMEND
	;;#ASMSTART
	v_pk_add_f16 v1, v1, v2;

	;;#ASMEND
	;;#ASMSTART
	v_pk_add_f16 v1, v1, v3;

	;;#ASMEND
	;; [unrolled: 4-line block ×3, first 2 shown]
	v_and_b32_e32 v2, 0xffff, v1
	v_lshrrev_b32_e32 v1, 16, v1
	;;#ASMSTART
	v_cvt_f32_f16 v63, v2;
	;;#ASMEND
	;;#ASMSTART
	v_cvt_f32_f16 v64, v1;
	;;#ASMEND
	global_load_dwordx4 v[1:4], v[9:10], off offset:512
	s_waitcnt vmcnt(0)
	v_lshrrev_b32_e32 v67, 16, v1
	v_lshrrev_b32_e32 v66, 16, v2
	;; [unrolled: 1-line block ×3, first 2 shown]
	s_and_saveexec_b32 s13, s0
	s_cbranch_execz .LBB103_46
; %bb.45:                               ;   in Loop: Header=BB103_26 Depth=1
	v_cmp_gt_i32_e32 vcc_lo, s11, v41
	v_and_b32_e32 v68, 0xffff0000, v4
	v_cmp_gt_i32_e64 s1, s11, v39
	v_cndmask_b32_e32 v1, 0, v1, vcc_lo
	v_cmp_gt_i32_e32 vcc_lo, s11, v46
	v_cndmask_b32_e64 v2, 0, v2, s1
	v_cmp_gt_i32_e64 s1, s11, v38
	v_cndmask_b32_e32 v67, 0, v67, vcc_lo
	v_cmp_gt_i32_e32 vcc_lo, s11, v45
	v_cndmask_b32_e64 v66, 0, v66, s1
	v_cndmask_b32_sdwa v4, v28, v4, vcc_lo dst_sel:DWORD dst_unused:UNUSED_PAD src0_sel:DWORD src1_sel:WORD_0
	v_cmp_gt_i32_e32 vcc_lo, s11, v31
	v_cndmask_b32_e32 v68, 0, v68, vcc_lo
	v_cmp_gt_i32_e32 vcc_lo, s11, v35
	v_or_b32_e32 v4, v4, v68
	v_cndmask_b32_e32 v3, 0, v3, vcc_lo
	v_cmp_gt_i32_e32 vcc_lo, s11, v34
	v_cndmask_b32_e32 v65, 0, v65, vcc_lo
.LBB103_46:                             ;   in Loop: Header=BB103_26 Depth=1
	s_or_b32 exec_lo, exec_lo, s13
	v_lshlrev_b32_e32 v67, 16, v67
	v_lshlrev_b32_e32 v66, 16, v66
	;; [unrolled: 1-line block ×3, first 2 shown]
	v_and_or_b32 v1, 0xffff, v1, v67
	v_and_or_b32 v2, 0xffff, v2, v66
	;; [unrolled: 1-line block ×3, first 2 shown]
	;;#ASMSTART
	v_pk_mul_f16 v1, v37, v1;

	;;#ASMEND
	;;#ASMSTART
	v_pk_mul_f16 v2, v36, v2;

	;;#ASMEND
	;; [unrolled: 4-line block ×4, first 2 shown]
	;;#ASMSTART
	v_pk_add_f16 v1, v1, v2;

	;;#ASMEND
	;;#ASMSTART
	v_pk_add_f16 v1, v1, v3;

	;;#ASMEND
	;; [unrolled: 4-line block ×3, first 2 shown]
	v_and_b32_e32 v2, 0xffff, v1
	v_lshrrev_b32_e32 v1, 16, v1
	;;#ASMSTART
	v_cvt_f32_f16 v65, v2;
	;;#ASMEND
	;;#ASMSTART
	v_cvt_f32_f16 v66, v1;
	;;#ASMEND
	global_load_dwordx4 v[1:4], v[9:10], off offset:1024
	s_waitcnt vmcnt(0)
	v_lshrrev_b32_e32 v69, 16, v1
	v_lshrrev_b32_e32 v68, 16, v2
	;; [unrolled: 1-line block ×3, first 2 shown]
	s_and_saveexec_b32 s13, s0
	s_cbranch_execz .LBB103_48
; %bb.47:                               ;   in Loop: Header=BB103_26 Depth=1
	v_cmp_gt_i32_e32 vcc_lo, s11, v41
	v_and_b32_e32 v70, 0xffff0000, v4
	v_cmp_gt_i32_e64 s1, s11, v39
	v_cndmask_b32_e32 v1, 0, v1, vcc_lo
	v_cmp_gt_i32_e32 vcc_lo, s11, v46
	v_cndmask_b32_e64 v2, 0, v2, s1
	v_cmp_gt_i32_e64 s1, s11, v38
	v_cndmask_b32_e32 v69, 0, v69, vcc_lo
	v_cmp_gt_i32_e32 vcc_lo, s11, v45
	v_cndmask_b32_e64 v68, 0, v68, s1
	v_cndmask_b32_sdwa v4, v28, v4, vcc_lo dst_sel:DWORD dst_unused:UNUSED_PAD src0_sel:DWORD src1_sel:WORD_0
	v_cmp_gt_i32_e32 vcc_lo, s11, v31
	v_cndmask_b32_e32 v70, 0, v70, vcc_lo
	v_cmp_gt_i32_e32 vcc_lo, s11, v35
	v_or_b32_e32 v4, v4, v70
	v_cndmask_b32_e32 v3, 0, v3, vcc_lo
	v_cmp_gt_i32_e32 vcc_lo, s11, v34
	v_cndmask_b32_e32 v67, 0, v67, vcc_lo
.LBB103_48:                             ;   in Loop: Header=BB103_26 Depth=1
	s_or_b32 exec_lo, exec_lo, s13
	v_lshlrev_b32_e32 v69, 16, v69
	v_lshlrev_b32_e32 v68, 16, v68
	;; [unrolled: 1-line block ×3, first 2 shown]
	v_and_or_b32 v1, 0xffff, v1, v69
	v_and_or_b32 v2, 0xffff, v2, v68
	;; [unrolled: 1-line block ×3, first 2 shown]
	;;#ASMSTART
	v_pk_mul_f16 v1, v37, v1;

	;;#ASMEND
	;;#ASMSTART
	v_pk_mul_f16 v2, v36, v2;

	;;#ASMEND
	;; [unrolled: 4-line block ×4, first 2 shown]
	;;#ASMSTART
	v_pk_add_f16 v1, v1, v2;

	;;#ASMEND
	;;#ASMSTART
	v_pk_add_f16 v1, v1, v3;

	;;#ASMEND
	;; [unrolled: 4-line block ×3, first 2 shown]
	v_and_b32_e32 v2, 0xffff, v1
	v_lshrrev_b32_e32 v1, 16, v1
	;;#ASMSTART
	v_cvt_f32_f16 v67, v2;
	;;#ASMEND
	;;#ASMSTART
	v_cvt_f32_f16 v68, v1;
	;;#ASMEND
	global_load_dwordx4 v[1:4], v[9:10], off offset:1536
	s_waitcnt vmcnt(0)
	v_lshrrev_b32_e32 v69, 16, v1
	v_lshrrev_b32_e32 v10, 16, v2
	;; [unrolled: 1-line block ×3, first 2 shown]
	s_and_saveexec_b32 s13, s0
	s_cbranch_execz .LBB103_50
; %bb.49:                               ;   in Loop: Header=BB103_26 Depth=1
	v_cmp_gt_i32_e32 vcc_lo, s11, v41
	v_and_b32_e32 v70, 0xffff0000, v4
	v_cmp_gt_i32_e64 s1, s11, v39
	v_cndmask_b32_e32 v1, 0, v1, vcc_lo
	v_cmp_gt_i32_e32 vcc_lo, s11, v46
	v_cndmask_b32_e64 v2, 0, v2, s1
	v_cmp_gt_i32_e64 s1, s11, v38
	v_cndmask_b32_e32 v69, 0, v69, vcc_lo
	v_cmp_gt_i32_e32 vcc_lo, s11, v45
	v_cndmask_b32_e64 v10, 0, v10, s1
	v_cndmask_b32_sdwa v4, v28, v4, vcc_lo dst_sel:DWORD dst_unused:UNUSED_PAD src0_sel:DWORD src1_sel:WORD_0
	v_cmp_gt_i32_e32 vcc_lo, s11, v31
	v_cndmask_b32_e32 v70, 0, v70, vcc_lo
	v_cmp_gt_i32_e32 vcc_lo, s11, v35
	v_or_b32_e32 v4, v4, v70
	v_cndmask_b32_e32 v3, 0, v3, vcc_lo
	v_cmp_gt_i32_e32 vcc_lo, s11, v34
	v_cndmask_b32_e32 v9, 0, v9, vcc_lo
.LBB103_50:                             ;   in Loop: Header=BB103_26 Depth=1
	s_or_b32 exec_lo, exec_lo, s13
	v_lshlrev_b32_e32 v69, 16, v69
	v_lshlrev_b32_e32 v10, 16, v10
	;; [unrolled: 1-line block ×3, first 2 shown]
	v_add_co_u32 v7, vcc_lo, 0x1800, v7
	v_and_or_b32 v1, 0xffff, v1, v69
	v_and_or_b32 v2, 0xffff, v2, v10
	;; [unrolled: 1-line block ×3, first 2 shown]
	;;#ASMSTART
	v_pk_mul_f16 v1, v37, v1;

	;;#ASMEND
	v_add_co_ci_u32_e64 v8, null, 0, v8, vcc_lo
	;;#ASMSTART
	v_pk_mul_f16 v2, v36, v2;

	;;#ASMEND
	;;#ASMSTART
	v_pk_mul_f16 v3, v40, v3;

	;;#ASMEND
	;;#ASMSTART
	v_pk_mul_f16 v4, v42, v4;

	;;#ASMEND
	;;#ASMSTART
	v_pk_add_f16 v1, v1, v2;

	;;#ASMEND
	;;#ASMSTART
	v_pk_add_f16 v1, v1, v3;

	;;#ASMEND
	;; [unrolled: 4-line block ×3, first 2 shown]
	v_lshrrev_b32_e32 v2, 16, v1
	v_and_b32_e32 v1, 0xffff, v1
	;;#ASMSTART
	v_cvt_f32_f16 v9, v1;
	;;#ASMEND
	;;#ASMSTART
	v_cvt_f32_f16 v10, v2;
	;;#ASMEND
	global_load_dwordx4 v[1:4], v[7:8], off
	s_waitcnt vmcnt(0)
	v_lshrrev_b32_e32 v71, 16, v1
	v_lshrrev_b32_e32 v70, 16, v2
	;; [unrolled: 1-line block ×3, first 2 shown]
	s_and_saveexec_b32 s13, s0
	s_cbranch_execz .LBB103_52
; %bb.51:                               ;   in Loop: Header=BB103_26 Depth=1
	v_cmp_gt_i32_e32 vcc_lo, s11, v41
	v_and_b32_e32 v72, 0xffff0000, v4
	v_cmp_gt_i32_e64 s1, s11, v39
	v_cndmask_b32_e32 v1, 0, v1, vcc_lo
	v_cmp_gt_i32_e32 vcc_lo, s11, v46
	v_cndmask_b32_e64 v2, 0, v2, s1
	v_cmp_gt_i32_e64 s1, s11, v38
	v_cndmask_b32_e32 v71, 0, v71, vcc_lo
	v_cmp_gt_i32_e32 vcc_lo, s11, v45
	v_cndmask_b32_e64 v70, 0, v70, s1
	v_cndmask_b32_sdwa v4, v28, v4, vcc_lo dst_sel:DWORD dst_unused:UNUSED_PAD src0_sel:DWORD src1_sel:WORD_0
	v_cmp_gt_i32_e32 vcc_lo, s11, v31
	v_cndmask_b32_e32 v72, 0, v72, vcc_lo
	v_cmp_gt_i32_e32 vcc_lo, s11, v35
	v_or_b32_e32 v4, v4, v72
	v_cndmask_b32_e32 v3, 0, v3, vcc_lo
	v_cmp_gt_i32_e32 vcc_lo, s11, v34
	v_cndmask_b32_e32 v69, 0, v69, vcc_lo
.LBB103_52:                             ;   in Loop: Header=BB103_26 Depth=1
	s_or_b32 exec_lo, exec_lo, s13
	v_lshlrev_b32_e32 v71, 16, v71
	v_lshlrev_b32_e32 v70, 16, v70
	;; [unrolled: 1-line block ×3, first 2 shown]
	v_and_or_b32 v1, 0xffff, v1, v71
	v_and_or_b32 v2, 0xffff, v2, v70
	;; [unrolled: 1-line block ×3, first 2 shown]
	;;#ASMSTART
	v_pk_mul_f16 v1, v37, v1;

	;;#ASMEND
	;;#ASMSTART
	v_pk_mul_f16 v2, v36, v2;

	;;#ASMEND
	;; [unrolled: 4-line block ×4, first 2 shown]
	;;#ASMSTART
	v_pk_add_f16 v1, v1, v2;

	;;#ASMEND
	;;#ASMSTART
	v_pk_add_f16 v1, v1, v3;

	;;#ASMEND
	;; [unrolled: 4-line block ×3, first 2 shown]
	v_and_b32_e32 v2, 0xffff, v1
	v_lshrrev_b32_e32 v1, 16, v1
	;;#ASMSTART
	v_cvt_f32_f16 v70, v2;
	;;#ASMEND
	;;#ASMSTART
	v_cvt_f32_f16 v71, v1;
	;;#ASMEND
	global_load_dwordx4 v[1:4], v[7:8], off offset:512
	s_waitcnt vmcnt(0)
	v_lshrrev_b32_e32 v69, 16, v1
	v_lshrrev_b32_e32 v8, 16, v2
	;; [unrolled: 1-line block ×3, first 2 shown]
	s_and_saveexec_b32 s1, s0
	s_cbranch_execz .LBB103_25
; %bb.53:                               ;   in Loop: Header=BB103_26 Depth=1
	v_cmp_gt_i32_e32 vcc_lo, s11, v41
	v_cmp_gt_i32_e64 s0, s11, v39
	v_cndmask_b32_e32 v1, 0, v1, vcc_lo
	v_cmp_gt_i32_e32 vcc_lo, s11, v46
	v_cndmask_b32_e64 v2, 0, v2, s0
	v_cmp_gt_i32_e64 s0, s11, v38
	v_and_b32_e32 v38, 0xffff0000, v4
	v_cndmask_b32_e32 v69, 0, v69, vcc_lo
	v_cmp_gt_i32_e32 vcc_lo, s11, v45
	v_cndmask_b32_e64 v8, 0, v8, s0
	v_cndmask_b32_sdwa v4, v28, v4, vcc_lo dst_sel:DWORD dst_unused:UNUSED_PAD src0_sel:DWORD src1_sel:WORD_0
	v_cmp_gt_i32_e32 vcc_lo, s11, v31
	v_cndmask_b32_e32 v38, 0, v38, vcc_lo
	v_cmp_gt_i32_e32 vcc_lo, s11, v35
	v_or_b32_e32 v4, v4, v38
	v_cndmask_b32_e32 v3, 0, v3, vcc_lo
	v_cmp_gt_i32_e32 vcc_lo, s11, v34
	v_cndmask_b32_e32 v7, 0, v7, vcc_lo
	s_branch .LBB103_25
.LBB103_54:
	s_or_b32 exec_lo, exec_lo, s4
.LBB103_55:
	s_or_b32 exec_lo, exec_lo, s2
	ds_bpermute_b32 v1, v12, v25
	ds_bpermute_b32 v29, v12, v16
	ds_bpermute_b32 v2, v12, v27
	ds_bpermute_b32 v3, v12, v26
	ds_bpermute_b32 v4, v12, v24
	ds_bpermute_b32 v5, v12, v23
	ds_bpermute_b32 v6, v12, v22
	ds_bpermute_b32 v7, v12, v21
	ds_bpermute_b32 v8, v12, v20
	ds_bpermute_b32 v9, v12, v19
	ds_bpermute_b32 v10, v12, v18
	ds_bpermute_b32 v28, v12, v17
	ds_bpermute_b32 v30, v12, v15
	ds_bpermute_b32 v12, v12, v14
	s_mov_b32 s0, exec_lo
	s_waitcnt lgkmcnt(0)
	s_barrier
	buffer_gl0_inv
	v_add_f32_e32 v1, v25, v1
	v_add_f32_e32 v16, v16, v29
	;; [unrolled: 1-line block ×8, first 2 shown]
	ds_bpermute_b32 v21, v11, v1
	v_add_f32_e32 v20, v20, v8
	v_add_f32_e32 v19, v19, v9
	;; [unrolled: 1-line block ×6, first 2 shown]
	ds_bpermute_b32 v33, v11, v16
	ds_bpermute_b32 v22, v11, v2
	;; [unrolled: 1-line block ×13, first 2 shown]
	s_waitcnt lgkmcnt(13)
	v_add_f32_e32 v15, v1, v21
	s_waitcnt lgkmcnt(12)
	v_add_f32_e32 v1, v16, v33
	v_and_b32_e32 v16, 28, v60
	s_waitcnt lgkmcnt(11)
	v_add_f32_e32 v14, v2, v22
	s_waitcnt lgkmcnt(10)
	v_add_f32_e32 v12, v3, v23
	;; [unrolled: 2-line block ×11, first 2 shown]
	v_and_b32_e32 v19, 0x3c3, v0
	s_waitcnt lgkmcnt(0)
	v_add_f32_e32 v5, v32, v35
	v_lshrrev_b32_e32 v17, 2, v60
	v_add_nc_u32_e32 v16, 0x100, v16
	v_mul_u32_u24_e32 v18, 0x1c0, v59
	v_cmpx_eq_u32_e32 64, v19
	s_cbranch_execz .LBB103_57
; %bb.56:
	v_add_nc_u32_e32 v19, v16, v18
	v_add_nc_u32_e32 v20, 0xfffffc80, v19
	;; [unrolled: 1-line block ×7, first 2 shown]
	ds_write_b32 v20, v15
	ds_write_b32 v21, v14
	;; [unrolled: 1-line block ×4, first 2 shown]
	v_add_nc_u32_e32 v20, 0xfffffd40, v19
	v_add_nc_u32_e32 v21, 0xfffffd60, v19
	;; [unrolled: 1-line block ×3, first 2 shown]
	ds_write_b32 v24, v10
	ds_write_b32 v25, v9
	;; [unrolled: 1-line block ×5, first 2 shown]
	v_add_nc_u32_e32 v20, 0xfffffda0, v19
	v_add_nc_u32_e32 v21, 0xfffffdc0, v19
	;; [unrolled: 1-line block ×5, first 2 shown]
	ds_write_b32 v20, v3
	ds_write_b32 v21, v2
	;; [unrolled: 1-line block ×5, first 2 shown]
.LBB103_57:
	s_or_b32 exec_lo, exec_lo, s0
	v_lshlrev_b32_e32 v17, 2, v17
	v_cmp_eq_u32_e32 vcc_lo, 0, v13
	s_mov_b32 s1, exec_lo
	s_waitcnt lgkmcnt(0)
	s_barrier
	v_add3_u32 v13, 0x100, v18, v17
	buffer_gl0_inv
	v_cmpx_gt_u32_e32 64, v0
	s_cbranch_execz .LBB103_74
; %bb.58:
	s_and_saveexec_b32 s0, vcc_lo
	s_cbranch_execnz .LBB103_96
; %bb.59:
	s_or_b32 exec_lo, exec_lo, s0
	s_and_saveexec_b32 s0, vcc_lo
	s_cbranch_execnz .LBB103_97
.LBB103_60:
	s_or_b32 exec_lo, exec_lo, s0
	s_and_saveexec_b32 s0, vcc_lo
	s_cbranch_execnz .LBB103_98
.LBB103_61:
	s_or_b32 exec_lo, exec_lo, s0
	s_and_saveexec_b32 s0, vcc_lo
	s_cbranch_execnz .LBB103_99
.LBB103_62:
	s_or_b32 exec_lo, exec_lo, s0
	s_and_saveexec_b32 s0, vcc_lo
	s_cbranch_execnz .LBB103_100
.LBB103_63:
	s_or_b32 exec_lo, exec_lo, s0
	s_and_saveexec_b32 s0, vcc_lo
	s_cbranch_execnz .LBB103_101
.LBB103_64:
	s_or_b32 exec_lo, exec_lo, s0
	s_and_saveexec_b32 s0, vcc_lo
	s_cbranch_execnz .LBB103_102
.LBB103_65:
	s_or_b32 exec_lo, exec_lo, s0
	s_and_saveexec_b32 s0, vcc_lo
	s_cbranch_execnz .LBB103_103
.LBB103_66:
	s_or_b32 exec_lo, exec_lo, s0
	s_and_saveexec_b32 s0, vcc_lo
	s_cbranch_execnz .LBB103_104
.LBB103_67:
	s_or_b32 exec_lo, exec_lo, s0
	s_and_saveexec_b32 s0, vcc_lo
	s_cbranch_execnz .LBB103_105
.LBB103_68:
	s_or_b32 exec_lo, exec_lo, s0
	s_and_saveexec_b32 s0, vcc_lo
	s_cbranch_execnz .LBB103_106
.LBB103_69:
	s_or_b32 exec_lo, exec_lo, s0
	s_and_saveexec_b32 s0, vcc_lo
	s_cbranch_execnz .LBB103_107
.LBB103_70:
	s_or_b32 exec_lo, exec_lo, s0
	s_and_saveexec_b32 s0, vcc_lo
	s_cbranch_execnz .LBB103_108
.LBB103_71:
	s_or_b32 exec_lo, exec_lo, s0
	s_and_saveexec_b32 s0, vcc_lo
	s_cbranch_execz .LBB103_73
.LBB103_72:
	ds_read_b32 v17, v13 offset:416
	s_waitcnt lgkmcnt(0)
	v_add_f32_e32 v5, v5, v17
.LBB103_73:
	s_or_b32 exec_lo, exec_lo, s0
.LBB103_74:
	s_or_b32 exec_lo, exec_lo, s1
	v_and_b32_e32 v17, 0x3e3, v0
	s_mov_b32 s1, exec_lo
	s_barrier
	buffer_gl0_inv
	v_cmpx_eq_u32_e32 32, v17
	s_cbranch_execz .LBB103_76
; %bb.75:
	ds_write2_b32 v16, v15, v14 offset1:8
	ds_write2_b32 v16, v12, v11 offset0:16 offset1:24
	ds_write2_b32 v16, v10, v9 offset0:32 offset1:40
	;; [unrolled: 1-line block ×6, first 2 shown]
.LBB103_76:
	s_or_b32 exec_lo, exec_lo, s1
	s_mov_b32 s1, exec_lo
	s_waitcnt lgkmcnt(0)
	s_barrier
	buffer_gl0_inv
	v_cmpx_gt_u32_e32 32, v0
	s_cbranch_execz .LBB103_93
; %bb.77:
	s_and_saveexec_b32 s0, vcc_lo
	s_cbranch_execnz .LBB103_109
; %bb.78:
	s_or_b32 exec_lo, exec_lo, s0
	s_and_saveexec_b32 s0, vcc_lo
	s_cbranch_execnz .LBB103_110
.LBB103_79:
	s_or_b32 exec_lo, exec_lo, s0
	s_and_saveexec_b32 s0, vcc_lo
	s_cbranch_execnz .LBB103_111
.LBB103_80:
	s_or_b32 exec_lo, exec_lo, s0
	s_and_saveexec_b32 s0, vcc_lo
	s_cbranch_execnz .LBB103_112
.LBB103_81:
	s_or_b32 exec_lo, exec_lo, s0
	s_and_saveexec_b32 s0, vcc_lo
	s_cbranch_execnz .LBB103_113
.LBB103_82:
	s_or_b32 exec_lo, exec_lo, s0
	s_and_saveexec_b32 s0, vcc_lo
	s_cbranch_execnz .LBB103_114
.LBB103_83:
	s_or_b32 exec_lo, exec_lo, s0
	s_and_saveexec_b32 s0, vcc_lo
	s_cbranch_execnz .LBB103_115
.LBB103_84:
	s_or_b32 exec_lo, exec_lo, s0
	s_and_saveexec_b32 s0, vcc_lo
	s_cbranch_execnz .LBB103_116
.LBB103_85:
	s_or_b32 exec_lo, exec_lo, s0
	s_and_saveexec_b32 s0, vcc_lo
	s_cbranch_execnz .LBB103_117
.LBB103_86:
	s_or_b32 exec_lo, exec_lo, s0
	s_and_saveexec_b32 s0, vcc_lo
	s_cbranch_execnz .LBB103_118
.LBB103_87:
	s_or_b32 exec_lo, exec_lo, s0
	s_and_saveexec_b32 s0, vcc_lo
	s_cbranch_execnz .LBB103_119
.LBB103_88:
	s_or_b32 exec_lo, exec_lo, s0
	s_and_saveexec_b32 s0, vcc_lo
	s_cbranch_execnz .LBB103_120
.LBB103_89:
	s_or_b32 exec_lo, exec_lo, s0
	s_and_saveexec_b32 s0, vcc_lo
	s_cbranch_execnz .LBB103_121
.LBB103_90:
	s_or_b32 exec_lo, exec_lo, s0
	s_and_saveexec_b32 s0, vcc_lo
	s_cbranch_execz .LBB103_92
.LBB103_91:
	ds_read_b32 v13, v13 offset:416
	s_waitcnt lgkmcnt(0)
	v_add_f32_e32 v5, v5, v13
.LBB103_92:
	s_or_b32 exec_lo, exec_lo, s0
.LBB103_93:
	s_or_b32 exec_lo, exec_lo, s1
	s_barrier
	buffer_gl0_inv
	s_mov_b32 s0, exec_lo
	v_cmpx_eq_u32_e32 0, v17
	s_cbranch_execz .LBB103_95
; %bb.94:
	s_mul_i32 s0, s10, s7
	s_mul_i32 s2, s7, s6
	;; [unrolled: 1-line block ×3, first 2 shown]
	v_lshrrev_b32_e32 v0, 1, v0
	s_mulk_i32 s0, 0x70
	;;#ASMSTART
	v_cvt_f16_f32 v13, v15;

	;;#ASMEND
	s_ashr_i32 s1, s0, 31
	s_lshl_b64 s[0:1], s[0:1], 1
	s_add_u32 s4, s16, s0
	s_addc_u32 s5, s17, s1
	s_ashr_i32 s3, s2, 31
	s_lshl_b64 s[0:1], s[2:3], 1
	s_mul_i32 s2, s8, 0x70
	s_add_u32 s4, s4, s0
	s_addc_u32 s5, s5, s1
	s_ashr_i32 s3, s2, 31
	s_lshl_b64 s[0:1], s[2:3], 1
	s_add_u32 s0, s4, s0
	s_addc_u32 s1, s5, s1
	global_store_short v0, v13, s[0:1]
	;;#ASMSTART
	v_cvt_f16_f32 v13, v14;

	;;#ASMEND
	global_store_short v0, v13, s[0:1] offset:16
	;;#ASMSTART
	v_cvt_f16_f32 v12, v12;

	;;#ASMEND
	global_store_short v0, v12, s[0:1] offset:32
	;;#ASMSTART
	v_cvt_f16_f32 v11, v11;

	;;#ASMEND
	global_store_short v0, v11, s[0:1] offset:48
	;;#ASMSTART
	v_cvt_f16_f32 v10, v10;

	;;#ASMEND
	global_store_short v0, v10, s[0:1] offset:64
	;;#ASMSTART
	v_cvt_f16_f32 v9, v9;

	;;#ASMEND
	global_store_short v0, v9, s[0:1] offset:80
	;;#ASMSTART
	v_cvt_f16_f32 v8, v8;

	;;#ASMEND
	global_store_short v0, v8, s[0:1] offset:96
	;;#ASMSTART
	v_cvt_f16_f32 v7, v7;

	;;#ASMEND
	global_store_short v0, v7, s[0:1] offset:112
	;;#ASMSTART
	v_cvt_f16_f32 v6, v6;

	;;#ASMEND
	global_store_short v0, v6, s[0:1] offset:128
	;;#ASMSTART
	v_cvt_f16_f32 v3, v3;

	;;#ASMEND
	global_store_short v0, v3, s[0:1] offset:144
	;;#ASMSTART
	v_cvt_f16_f32 v2, v2;

	;;#ASMEND
	global_store_short v0, v2, s[0:1] offset:160
	;;#ASMSTART
	v_cvt_f16_f32 v1, v1;

	;;#ASMEND
	global_store_short v0, v1, s[0:1] offset:176
	;;#ASMSTART
	v_cvt_f16_f32 v1, v4;

	;;#ASMEND
	global_store_short v0, v1, s[0:1] offset:192
	;;#ASMSTART
	v_cvt_f16_f32 v1, v5;

	;;#ASMEND
	global_store_short v0, v1, s[0:1] offset:208
.LBB103_95:
	s_endpgm
.LBB103_96:
	ds_read_b32 v17, v13
	s_waitcnt lgkmcnt(0)
	v_add_f32_e32 v15, v15, v17
	s_or_b32 exec_lo, exec_lo, s0
	s_and_saveexec_b32 s0, vcc_lo
	s_cbranch_execz .LBB103_60
.LBB103_97:
	ds_read_b32 v17, v13 offset:32
	s_waitcnt lgkmcnt(0)
	v_add_f32_e32 v14, v14, v17
	s_or_b32 exec_lo, exec_lo, s0
	s_and_saveexec_b32 s0, vcc_lo
	s_cbranch_execz .LBB103_61
.LBB103_98:
	ds_read_b32 v17, v13 offset:64
	s_waitcnt lgkmcnt(0)
	v_add_f32_e32 v12, v12, v17
	s_or_b32 exec_lo, exec_lo, s0
	s_and_saveexec_b32 s0, vcc_lo
	s_cbranch_execz .LBB103_62
.LBB103_99:
	ds_read_b32 v17, v13 offset:96
	s_waitcnt lgkmcnt(0)
	v_add_f32_e32 v11, v11, v17
	s_or_b32 exec_lo, exec_lo, s0
	s_and_saveexec_b32 s0, vcc_lo
	s_cbranch_execz .LBB103_63
.LBB103_100:
	ds_read_b32 v17, v13 offset:128
	s_waitcnt lgkmcnt(0)
	v_add_f32_e32 v10, v10, v17
	s_or_b32 exec_lo, exec_lo, s0
	s_and_saveexec_b32 s0, vcc_lo
	s_cbranch_execz .LBB103_64
.LBB103_101:
	ds_read_b32 v17, v13 offset:160
	s_waitcnt lgkmcnt(0)
	v_add_f32_e32 v9, v9, v17
	s_or_b32 exec_lo, exec_lo, s0
	s_and_saveexec_b32 s0, vcc_lo
	s_cbranch_execz .LBB103_65
.LBB103_102:
	ds_read_b32 v17, v13 offset:192
	s_waitcnt lgkmcnt(0)
	v_add_f32_e32 v8, v8, v17
	s_or_b32 exec_lo, exec_lo, s0
	s_and_saveexec_b32 s0, vcc_lo
	s_cbranch_execz .LBB103_66
.LBB103_103:
	ds_read_b32 v17, v13 offset:224
	s_waitcnt lgkmcnt(0)
	v_add_f32_e32 v7, v7, v17
	s_or_b32 exec_lo, exec_lo, s0
	s_and_saveexec_b32 s0, vcc_lo
	s_cbranch_execz .LBB103_67
.LBB103_104:
	ds_read_b32 v17, v13 offset:256
	s_waitcnt lgkmcnt(0)
	v_add_f32_e32 v6, v6, v17
	s_or_b32 exec_lo, exec_lo, s0
	s_and_saveexec_b32 s0, vcc_lo
	s_cbranch_execz .LBB103_68
.LBB103_105:
	ds_read_b32 v17, v13 offset:288
	s_waitcnt lgkmcnt(0)
	v_add_f32_e32 v3, v3, v17
	s_or_b32 exec_lo, exec_lo, s0
	s_and_saveexec_b32 s0, vcc_lo
	s_cbranch_execz .LBB103_69
.LBB103_106:
	ds_read_b32 v17, v13 offset:320
	s_waitcnt lgkmcnt(0)
	v_add_f32_e32 v2, v2, v17
	s_or_b32 exec_lo, exec_lo, s0
	s_and_saveexec_b32 s0, vcc_lo
	s_cbranch_execz .LBB103_70
.LBB103_107:
	ds_read_b32 v17, v13 offset:352
	s_waitcnt lgkmcnt(0)
	v_add_f32_e32 v1, v1, v17
	s_or_b32 exec_lo, exec_lo, s0
	s_and_saveexec_b32 s0, vcc_lo
	s_cbranch_execz .LBB103_71
.LBB103_108:
	ds_read_b32 v17, v13 offset:384
	s_waitcnt lgkmcnt(0)
	v_add_f32_e32 v4, v4, v17
	s_or_b32 exec_lo, exec_lo, s0
	s_and_saveexec_b32 s0, vcc_lo
	s_cbranch_execnz .LBB103_72
	s_branch .LBB103_73
.LBB103_109:
	ds_read_b32 v16, v13
	s_waitcnt lgkmcnt(0)
	v_add_f32_e32 v15, v15, v16
	s_or_b32 exec_lo, exec_lo, s0
	s_and_saveexec_b32 s0, vcc_lo
	s_cbranch_execz .LBB103_79
.LBB103_110:
	ds_read_b32 v16, v13 offset:32
	s_waitcnt lgkmcnt(0)
	v_add_f32_e32 v14, v14, v16
	s_or_b32 exec_lo, exec_lo, s0
	s_and_saveexec_b32 s0, vcc_lo
	s_cbranch_execz .LBB103_80
.LBB103_111:
	ds_read_b32 v16, v13 offset:64
	s_waitcnt lgkmcnt(0)
	v_add_f32_e32 v12, v12, v16
	s_or_b32 exec_lo, exec_lo, s0
	s_and_saveexec_b32 s0, vcc_lo
	s_cbranch_execz .LBB103_81
.LBB103_112:
	ds_read_b32 v16, v13 offset:96
	s_waitcnt lgkmcnt(0)
	v_add_f32_e32 v11, v11, v16
	s_or_b32 exec_lo, exec_lo, s0
	s_and_saveexec_b32 s0, vcc_lo
	s_cbranch_execz .LBB103_82
.LBB103_113:
	ds_read_b32 v16, v13 offset:128
	s_waitcnt lgkmcnt(0)
	v_add_f32_e32 v10, v10, v16
	s_or_b32 exec_lo, exec_lo, s0
	s_and_saveexec_b32 s0, vcc_lo
	s_cbranch_execz .LBB103_83
.LBB103_114:
	ds_read_b32 v16, v13 offset:160
	s_waitcnt lgkmcnt(0)
	v_add_f32_e32 v9, v9, v16
	s_or_b32 exec_lo, exec_lo, s0
	s_and_saveexec_b32 s0, vcc_lo
	s_cbranch_execz .LBB103_84
.LBB103_115:
	ds_read_b32 v16, v13 offset:192
	s_waitcnt lgkmcnt(0)
	v_add_f32_e32 v8, v8, v16
	s_or_b32 exec_lo, exec_lo, s0
	s_and_saveexec_b32 s0, vcc_lo
	s_cbranch_execz .LBB103_85
.LBB103_116:
	ds_read_b32 v16, v13 offset:224
	s_waitcnt lgkmcnt(0)
	v_add_f32_e32 v7, v7, v16
	s_or_b32 exec_lo, exec_lo, s0
	s_and_saveexec_b32 s0, vcc_lo
	s_cbranch_execz .LBB103_86
.LBB103_117:
	ds_read_b32 v16, v13 offset:256
	s_waitcnt lgkmcnt(0)
	v_add_f32_e32 v6, v6, v16
	s_or_b32 exec_lo, exec_lo, s0
	s_and_saveexec_b32 s0, vcc_lo
	s_cbranch_execz .LBB103_87
.LBB103_118:
	ds_read_b32 v16, v13 offset:288
	s_waitcnt lgkmcnt(0)
	v_add_f32_e32 v3, v3, v16
	s_or_b32 exec_lo, exec_lo, s0
	s_and_saveexec_b32 s0, vcc_lo
	s_cbranch_execz .LBB103_88
.LBB103_119:
	ds_read_b32 v16, v13 offset:320
	s_waitcnt lgkmcnt(0)
	v_add_f32_e32 v2, v2, v16
	s_or_b32 exec_lo, exec_lo, s0
	s_and_saveexec_b32 s0, vcc_lo
	s_cbranch_execz .LBB103_89
.LBB103_120:
	ds_read_b32 v16, v13 offset:352
	s_waitcnt lgkmcnt(0)
	v_add_f32_e32 v1, v1, v16
	s_or_b32 exec_lo, exec_lo, s0
	s_and_saveexec_b32 s0, vcc_lo
	s_cbranch_execz .LBB103_90
.LBB103_121:
	ds_read_b32 v16, v13 offset:384
	s_waitcnt lgkmcnt(0)
	v_add_f32_e32 v4, v4, v16
	s_or_b32 exec_lo, exec_lo, s0
	s_and_saveexec_b32 s0, vcc_lo
	s_cbranch_execnz .LBB103_91
	s_branch .LBB103_92
	.section	.rodata,"a",@progbits
	.p2align	6, 0x0
	.amdhsa_kernel _ZN4vllm25paged_attention_v1_kernelIttLi112ELi32ELi128ELNS_18Fp8KVCacheDataTypeE0ELb0EEEvPT_PKS2_PKT0_S8_ifPKiSA_iPKfiiiSC_SC_iiiii
		.amdhsa_group_segment_fixed_size 256
		.amdhsa_private_segment_fixed_size 0
		.amdhsa_kernarg_size 384
		.amdhsa_user_sgpr_count 6
		.amdhsa_user_sgpr_private_segment_buffer 1
		.amdhsa_user_sgpr_dispatch_ptr 0
		.amdhsa_user_sgpr_queue_ptr 0
		.amdhsa_user_sgpr_kernarg_segment_ptr 1
		.amdhsa_user_sgpr_dispatch_id 0
		.amdhsa_user_sgpr_flat_scratch_init 0
		.amdhsa_user_sgpr_private_segment_size 0
		.amdhsa_wavefront_size32 1
		.amdhsa_uses_dynamic_stack 0
		.amdhsa_system_sgpr_private_segment_wavefront_offset 0
		.amdhsa_system_sgpr_workgroup_id_x 1
		.amdhsa_system_sgpr_workgroup_id_y 1
		.amdhsa_system_sgpr_workgroup_id_z 1
		.amdhsa_system_sgpr_workgroup_info 0
		.amdhsa_system_vgpr_workitem_id 0
		.amdhsa_next_free_vgpr 90
		.amdhsa_next_free_sgpr 28
		.amdhsa_reserve_vcc 1
		.amdhsa_reserve_flat_scratch 0
		.amdhsa_float_round_mode_32 0
		.amdhsa_float_round_mode_16_64 0
		.amdhsa_float_denorm_mode_32 3
		.amdhsa_float_denorm_mode_16_64 3
		.amdhsa_dx10_clamp 1
		.amdhsa_ieee_mode 1
		.amdhsa_fp16_overflow 0
		.amdhsa_workgroup_processor_mode 1
		.amdhsa_memory_ordered 1
		.amdhsa_forward_progress 1
		.amdhsa_shared_vgpr_count 0
		.amdhsa_exception_fp_ieee_invalid_op 0
		.amdhsa_exception_fp_denorm_src 0
		.amdhsa_exception_fp_ieee_div_zero 0
		.amdhsa_exception_fp_ieee_overflow 0
		.amdhsa_exception_fp_ieee_underflow 0
		.amdhsa_exception_fp_ieee_inexact 0
		.amdhsa_exception_int_div_zero 0
	.end_amdhsa_kernel
	.section	.text._ZN4vllm25paged_attention_v1_kernelIttLi112ELi32ELi128ELNS_18Fp8KVCacheDataTypeE0ELb0EEEvPT_PKS2_PKT0_S8_ifPKiSA_iPKfiiiSC_SC_iiiii,"axG",@progbits,_ZN4vllm25paged_attention_v1_kernelIttLi112ELi32ELi128ELNS_18Fp8KVCacheDataTypeE0ELb0EEEvPT_PKS2_PKT0_S8_ifPKiSA_iPKfiiiSC_SC_iiiii,comdat
.Lfunc_end103:
	.size	_ZN4vllm25paged_attention_v1_kernelIttLi112ELi32ELi128ELNS_18Fp8KVCacheDataTypeE0ELb0EEEvPT_PKS2_PKT0_S8_ifPKiSA_iPKfiiiSC_SC_iiiii, .Lfunc_end103-_ZN4vllm25paged_attention_v1_kernelIttLi112ELi32ELi128ELNS_18Fp8KVCacheDataTypeE0ELb0EEEvPT_PKS2_PKT0_S8_ifPKiSA_iPKfiiiSC_SC_iiiii
                                        ; -- End function
	.set _ZN4vllm25paged_attention_v1_kernelIttLi112ELi32ELi128ELNS_18Fp8KVCacheDataTypeE0ELb0EEEvPT_PKS2_PKT0_S8_ifPKiSA_iPKfiiiSC_SC_iiiii.num_vgpr, 90
	.set _ZN4vllm25paged_attention_v1_kernelIttLi112ELi32ELi128ELNS_18Fp8KVCacheDataTypeE0ELb0EEEvPT_PKS2_PKT0_S8_ifPKiSA_iPKfiiiSC_SC_iiiii.num_agpr, 0
	.set _ZN4vllm25paged_attention_v1_kernelIttLi112ELi32ELi128ELNS_18Fp8KVCacheDataTypeE0ELb0EEEvPT_PKS2_PKT0_S8_ifPKiSA_iPKfiiiSC_SC_iiiii.numbered_sgpr, 28
	.set _ZN4vllm25paged_attention_v1_kernelIttLi112ELi32ELi128ELNS_18Fp8KVCacheDataTypeE0ELb0EEEvPT_PKS2_PKT0_S8_ifPKiSA_iPKfiiiSC_SC_iiiii.num_named_barrier, 0
	.set _ZN4vllm25paged_attention_v1_kernelIttLi112ELi32ELi128ELNS_18Fp8KVCacheDataTypeE0ELb0EEEvPT_PKS2_PKT0_S8_ifPKiSA_iPKfiiiSC_SC_iiiii.private_seg_size, 0
	.set _ZN4vllm25paged_attention_v1_kernelIttLi112ELi32ELi128ELNS_18Fp8KVCacheDataTypeE0ELb0EEEvPT_PKS2_PKT0_S8_ifPKiSA_iPKfiiiSC_SC_iiiii.uses_vcc, 1
	.set _ZN4vllm25paged_attention_v1_kernelIttLi112ELi32ELi128ELNS_18Fp8KVCacheDataTypeE0ELb0EEEvPT_PKS2_PKT0_S8_ifPKiSA_iPKfiiiSC_SC_iiiii.uses_flat_scratch, 0
	.set _ZN4vllm25paged_attention_v1_kernelIttLi112ELi32ELi128ELNS_18Fp8KVCacheDataTypeE0ELb0EEEvPT_PKS2_PKT0_S8_ifPKiSA_iPKfiiiSC_SC_iiiii.has_dyn_sized_stack, 0
	.set _ZN4vllm25paged_attention_v1_kernelIttLi112ELi32ELi128ELNS_18Fp8KVCacheDataTypeE0ELb0EEEvPT_PKS2_PKT0_S8_ifPKiSA_iPKfiiiSC_SC_iiiii.has_recursion, 0
	.set _ZN4vllm25paged_attention_v1_kernelIttLi112ELi32ELi128ELNS_18Fp8KVCacheDataTypeE0ELb0EEEvPT_PKS2_PKT0_S8_ifPKiSA_iPKfiiiSC_SC_iiiii.has_indirect_call, 0
	.section	.AMDGPU.csdata,"",@progbits
; Kernel info:
; codeLenInByte = 16996
; TotalNumSgprs: 30
; NumVgprs: 90
; ScratchSize: 0
; MemoryBound: 0
; FloatMode: 240
; IeeeMode: 1
; LDSByteSize: 256 bytes/workgroup (compile time only)
; SGPRBlocks: 0
; VGPRBlocks: 11
; NumSGPRsForWavesPerEU: 30
; NumVGPRsForWavesPerEU: 90
; Occupancy: 10
; WaveLimiterHint : 1
; COMPUTE_PGM_RSRC2:SCRATCH_EN: 0
; COMPUTE_PGM_RSRC2:USER_SGPR: 6
; COMPUTE_PGM_RSRC2:TRAP_HANDLER: 0
; COMPUTE_PGM_RSRC2:TGID_X_EN: 1
; COMPUTE_PGM_RSRC2:TGID_Y_EN: 1
; COMPUTE_PGM_RSRC2:TGID_Z_EN: 1
; COMPUTE_PGM_RSRC2:TIDIG_COMP_CNT: 0
	.section	.text._ZN4vllm25paged_attention_v1_kernelIttLi120ELi32ELi128ELNS_18Fp8KVCacheDataTypeE0ELb0EEEvPT_PKS2_PKT0_S8_ifPKiSA_iPKfiiiSC_SC_iiiii,"axG",@progbits,_ZN4vllm25paged_attention_v1_kernelIttLi120ELi32ELi128ELNS_18Fp8KVCacheDataTypeE0ELb0EEEvPT_PKS2_PKT0_S8_ifPKiSA_iPKfiiiSC_SC_iiiii,comdat
	.protected	_ZN4vllm25paged_attention_v1_kernelIttLi120ELi32ELi128ELNS_18Fp8KVCacheDataTypeE0ELb0EEEvPT_PKS2_PKT0_S8_ifPKiSA_iPKfiiiSC_SC_iiiii ; -- Begin function _ZN4vllm25paged_attention_v1_kernelIttLi120ELi32ELi128ELNS_18Fp8KVCacheDataTypeE0ELb0EEEvPT_PKS2_PKT0_S8_ifPKiSA_iPKfiiiSC_SC_iiiii
	.globl	_ZN4vllm25paged_attention_v1_kernelIttLi120ELi32ELi128ELNS_18Fp8KVCacheDataTypeE0ELb0EEEvPT_PKS2_PKT0_S8_ifPKiSA_iPKfiiiSC_SC_iiiii
	.p2align	8
	.type	_ZN4vllm25paged_attention_v1_kernelIttLi120ELi32ELi128ELNS_18Fp8KVCacheDataTypeE0ELb0EEEvPT_PKS2_PKT0_S8_ifPKiSA_iPKfiiiSC_SC_iiiii,@function
_ZN4vllm25paged_attention_v1_kernelIttLi120ELi32ELi128ELNS_18Fp8KVCacheDataTypeE0ELb0EEEvPT_PKS2_PKT0_S8_ifPKiSA_iPKfiiiSC_SC_iiiii: ; @_ZN4vllm25paged_attention_v1_kernelIttLi120ELi32ELi128ELNS_18Fp8KVCacheDataTypeE0ELb0EEEvPT_PKS2_PKT0_S8_ifPKiSA_iPKfiiiSC_SC_iiiii
; %bb.0:
	s_clause 0x2
	s_load_dword s9, s[4:5], 0x80
	s_load_dwordx2 s[0:1], s[4:5], 0x30
	s_load_dwordx2 s[2:3], s[4:5], 0x20
	s_mov_b32 s10, s7
	s_ashr_i32 s11, s7, 31
	s_mov_b32 s24, 0
	s_lshl_b64 s[12:13], s[10:11], 2
	s_waitcnt lgkmcnt(0)
	s_add_u32 s0, s0, s12
	s_addc_u32 s1, s1, s13
	s_abs_i32 s7, s2
	s_abs_i32 s13, s9
	v_cvt_f32_u32_e32 v1, s7
	s_sub_i32 s12, 0, s7
	s_xor_b32 s2, s9, s2
	s_ashr_i32 s2, s2, 31
	v_rcp_iflag_f32_e32 v1, v1
	v_mul_f32_e32 v1, 0x4f7ffffe, v1
	v_cvt_u32_f32_e32 v1, v1
	v_readfirstlane_b32 s11, v1
	s_mul_i32 s12, s12, s11
	s_mul_hi_u32 s12, s11, s12
	s_add_i32 s11, s11, s12
	s_mul_hi_u32 s11, s13, s11
	s_mul_i32 s12, s11, s7
	s_sub_i32 s12, s13, s12
	s_add_i32 s13, s11, 1
	s_sub_i32 s14, s12, s7
	s_cmp_ge_u32 s12, s7
	s_cselect_b32 s11, s13, s11
	s_cselect_b32 s12, s14, s12
	s_add_i32 s13, s11, 1
	s_cmp_ge_u32 s12, s7
	s_cselect_b32 s7, s13, s11
	s_load_dwordx2 s[12:13], s[4:5], 0x40
	s_xor_b32 s7, s7, s2
	s_abs_i32 s16, s6
	s_sub_i32 s17, s7, s2
	s_abs_i32 s2, s17
	v_cvt_f32_u32_e32 v1, s2
	s_sub_i32 s11, 0, s2
	v_rcp_iflag_f32_e32 v1, v1
	v_mul_f32_e32 v1, 0x4f7ffffe, v1
	v_cvt_u32_f32_e32 v1, v1
	v_readfirstlane_b32 s7, v1
	s_mul_i32 s11, s11, s7
	s_mul_hi_u32 s11, s7, s11
	s_add_i32 s7, s7, s11
	s_waitcnt lgkmcnt(0)
	s_cmp_eq_u64 s[12:13], 0
	s_mul_hi_u32 s20, s16, s7
	s_cbranch_scc1 .LBB104_2
; %bb.1:
	s_ashr_i32 s7, s6, 31
	s_lshl_b64 s[14:15], s[6:7], 2
	s_add_u32 s12, s12, s14
	s_addc_u32 s13, s13, s15
	s_load_dword s24, s[12:13], 0x0
.LBB104_2:
	s_load_dword s11, s[0:1], 0x0
	s_clause 0x1
	s_load_dwordx2 s[18:19], s[4:5], 0x28
	s_load_dwordx4 s[12:15], s[4:5], 0x48
	v_lshlrev_b32_e32 v65, 4, v0
	s_ashr_i32 s0, s6, 31
	s_ashr_i32 s1, s17, 31
	s_mulk_i32 s6, 0x78
	s_waitcnt lgkmcnt(0)
	s_mov_b32 s15, exec_lo
	v_cmpx_gt_u32_e32 15, v0
	s_cbranch_execz .LBB104_4
; %bb.3:
	s_load_dwordx2 s[22:23], s[4:5], 0x8
	s_mul_i32 s26, s12, s10
	s_ashr_i32 s27, s26, 31
	s_lshl_b64 s[26:27], s[26:27], 1
	s_waitcnt lgkmcnt(0)
	s_add_u32 s12, s22, s26
	s_addc_u32 s17, s23, s27
	s_ashr_i32 s7, s6, 31
	s_lshl_b64 s[22:23], s[6:7], 1
	s_add_u32 s22, s12, s22
	s_addc_u32 s23, s17, s23
	global_load_dwordx4 v[1:4], v65, s[22:23]
	s_waitcnt vmcnt(0)
	ds_write_b128 v65, v[1:4]
.LBB104_4:
	s_or_b32 exec_lo, exec_lo, s15
	s_add_i32 s7, s11, 31
	s_xor_b32 s0, s0, s1
	s_ashr_i32 s12, s7, 31
	s_load_dword s15, s[4:5], 0x38
	s_lshr_b32 s1, s12, 27
	s_mul_i32 s12, s20, s2
	s_add_i32 s7, s7, s1
	s_sub_i32 s1, s16, s12
	s_ashr_i32 s12, s7, 5
	s_clause 0x2
	s_load_dwordx2 s[16:17], s[4:5], 0x0
	s_load_dwordx2 s[22:23], s[4:5], 0x18
	s_load_dword s7, s[4:5], 0x88
	s_add_i32 s21, s20, 1
	s_sub_i32 s25, s1, s2
	s_cmp_ge_u32 s1, s2
	v_lshrrev_b32_e32 v63, 5, v0
	s_cselect_b32 s20, s21, s20
	s_cselect_b32 s1, s25, s1
	s_add_i32 s21, s20, 1
	s_cmp_ge_u32 s1, s2
	v_and_b32_e32 v64, 31, v0
	s_cselect_b32 s1, s21, s20
	v_mov_b32_e32 v68, 0xff7fffff
	s_xor_b32 s1, s1, s0
	v_lshrrev_b32_e32 v66, 3, v0
	s_sub_i32 s1, s1, s0
	v_cmp_gt_i32_e64 s0, s12, v63
	v_lshlrev_b32_e32 v67, 2, v64
	s_waitcnt lgkmcnt(0)
	s_mul_i32 s20, s15, s10
	s_mul_i32 s14, s1, s14
	s_ashr_i32 s21, s20, 31
	s_barrier
	buffer_gl0_inv
	s_and_saveexec_b32 s25, s0
	s_cbranch_execz .LBB104_8
; %bb.5:
	s_load_dwordx2 s[4:5], s[4:5], 0x10
	s_ashr_i32 s15, s14, 31
	v_lshlrev_b32_e32 v1, 4, v64
	s_lshl_b64 s[26:27], s[14:15], 1
	v_and_b32_e32 v3, 0x7c, v66
	v_lshl_or_b32 v2, v63, 7, v67
	v_mov_b32_e32 v69, 0
	v_cmp_neq_f32_e64 vcc_lo, s24, 0
	v_lshl_or_b32 v70, v63, 5, v64
	v_mov_b32_e32 v68, 0xff7fffff
	v_add_nc_u32_e32 v71, 0x110, v2
	v_mov_b32_e32 v74, v63
	s_mov_b32 s15, s13
	s_waitcnt lgkmcnt(0)
	s_add_u32 s1, s4, s26
	s_addc_u32 s2, s5, s27
	s_lshl_b64 s[26:27], s[20:21], 2
	v_add_co_u32 v72, s1, s1, v1
	s_sub_i32 s4, 1, s11
	v_add_co_ci_u32_e64 v73, null, s2, 0, s1
	s_add_u32 s1, s18, s26
	s_addc_u32 s2, s19, s27
	v_add_co_u32 v61, s1, s1, v3
	v_add_co_ci_u32_e64 v62, null, s2, 0, s1
	s_mov_b32 s5, 0
.LBB104_6:                              ; =>This Inner Loop Header: Depth=1
	global_load_dword v1, v[61:62], off
	v_add_nc_u32_e32 v3, s4, v70
	v_add_nc_u32_e32 v74, 4, v74
	v_cvt_f32_i32_e32 v3, v3
	v_mul_f32_e32 v75, s24, v3
	v_cndmask_b32_e32 v75, 0, v75, vcc_lo
	s_waitcnt vmcnt(0)
	v_mad_i64_i32 v[1:2], null, v1, s15, 0
	v_lshlrev_b64 v[1:2], 1, v[1:2]
	v_add_co_u32 v1, s1, v72, v1
	v_add_co_ci_u32_e64 v2, null, v73, v2, s1
	v_cmp_gt_i32_e64 s1, s11, v70
	v_add_co_u32 v3, s2, 0x800, v1
	s_clause 0x3
	global_load_dwordx4 v[57:60], v[1:2], off
	global_load_dwordx4 v[53:56], v[1:2], off offset:512
	global_load_dwordx4 v[49:52], v[1:2], off offset:1024
	;; [unrolled: 1-line block ×3, first 2 shown]
	v_add_co_ci_u32_e64 v4, null, 0, v2, s2
	v_add_co_u32 v5, s2, v1, 0x1000
	v_add_co_ci_u32_e64 v6, null, 0, v2, s2
	s_clause 0x3
	global_load_dwordx4 v[41:44], v[5:6], off offset:-2048
	global_load_dwordx4 v[37:40], v[3:4], off offset:512
	global_load_dwordx4 v[33:36], v[3:4], off offset:1024
	;; [unrolled: 1-line block ×3, first 2 shown]
	v_add_co_u32 v3, s2, 0x1000, v1
	v_add_co_ci_u32_e64 v4, null, 0, v2, s2
	s_clause 0x3
	global_load_dwordx4 v[25:28], v[5:6], off
	global_load_dwordx4 v[21:24], v[3:4], off offset:512
	global_load_dwordx4 v[17:20], v[3:4], off offset:1024
	;; [unrolled: 1-line block ×3, first 2 shown]
	v_add_co_u32 v1, s2, 0x1800, v1
	v_add_co_ci_u32_e64 v2, null, 0, v2, s2
	s_clause 0x2
	global_load_dwordx4 v[9:12], v[1:2], off
	global_load_dwordx4 v[5:8], v[1:2], off offset:512
	global_load_dwordx4 v[1:4], v[1:2], off offset:1024
	ds_read_b128 v[76:79], v69
	v_add_nc_u32_e32 v70, 0x80, v70
	s_waitcnt lgkmcnt(0)
	v_lshrrev_b32_e32 v80, 16, v76
	v_and_b32_e32 v76, 0xffff, v76
	;;#ASMSTART
	v_cvt_f32_f16 v76, v76;
	;;#ASMEND
	;;#ASMSTART
	v_cvt_f32_f16 v80, v80;
	;;#ASMEND
	s_waitcnt vmcnt(14)
	v_lshrrev_b32_e32 v82, 16, v57
	v_and_b32_e32 v57, 0xffff, v57
	;;#ASMSTART
	v_cvt_f32_f16 v81, v57;
	;;#ASMEND
	v_lshrrev_b32_e32 v57, 16, v77
	v_and_b32_e32 v77, 0xffff, v77
	;;#ASMSTART
	v_cvt_f32_f16 v82, v82;
	;;#ASMEND
	;;#ASMSTART
	v_cvt_f32_f16 v77, v77;
	;;#ASMEND
	;; [unrolled: 3-line block ×3, first 2 shown]
	v_lshrrev_b32_e32 v57, 16, v58
	v_and_b32_e32 v58, 0xffff, v58
	;;#ASMSTART
	v_cvt_f32_f16 v84, v58;
	;;#ASMEND
	;;#ASMSTART
	v_cvt_f32_f16 v85, v57;
	;;#ASMEND
	v_lshrrev_b32_e32 v57, 16, v78
	v_and_b32_e32 v58, 0xffff, v78
	;;#ASMSTART
	v_cvt_f32_f16 v78, v58;
	;;#ASMEND
	;;#ASMSTART
	v_cvt_f32_f16 v86, v57;
	;;#ASMEND
	;; [unrolled: 8-line block ×5, first 2 shown]
	ds_read_b128 v[57:60], v69 offset:16
	s_waitcnt vmcnt(13)
	v_lshrrev_b32_e32 v93, 16, v53
	v_and_b32_e32 v53, 0xffff, v53
	s_waitcnt lgkmcnt(0)
	v_lshrrev_b32_e32 v92, 16, v57
	v_and_b32_e32 v57, 0xffff, v57
	;;#ASMSTART
	v_cvt_f32_f16 v57, v57;
	;;#ASMEND
	;;#ASMSTART
	v_cvt_f32_f16 v92, v92;
	;;#ASMEND
	;; [unrolled: 3-line block ×4, first 2 shown]
	v_mul_f32_e32 v53, v57, v53
	v_mul_f32_e32 v57, v92, v93
	v_fmac_f32_e32 v53, v76, v81
	v_fmac_f32_e32 v57, v80, v82
	v_lshrrev_b32_e32 v76, 16, v58
	v_and_b32_e32 v58, 0xffff, v58
	v_lshrrev_b32_e32 v80, 16, v54
	v_and_b32_e32 v54, 0xffff, v54
	;;#ASMSTART
	v_cvt_f32_f16 v58, v58;
	;;#ASMEND
	;;#ASMSTART
	v_cvt_f32_f16 v76, v76;
	;;#ASMEND
	;; [unrolled: 3-line block ×3, first 2 shown]
	v_mul_f32_e32 v54, v58, v54
	;;#ASMSTART
	v_cvt_f32_f16 v80, v80;
	;;#ASMEND
	v_mul_f32_e32 v58, v76, v80
	v_lshrrev_b32_e32 v76, 16, v59
	v_and_b32_e32 v59, 0xffff, v59
	v_fmac_f32_e32 v54, v77, v84
	v_lshrrev_b32_e32 v77, 16, v55
	v_and_b32_e32 v55, 0xffff, v55
	;;#ASMSTART
	v_cvt_f32_f16 v59, v59;
	;;#ASMEND
	;;#ASMSTART
	v_cvt_f32_f16 v76, v76;
	;;#ASMEND
	;; [unrolled: 3-line block ×4, first 2 shown]
	v_mul_f32_e32 v55, v59, v55
	v_mul_f32_e32 v59, v76, v77
	v_lshrrev_b32_e32 v76, 16, v60
	v_and_b32_e32 v60, 0xffff, v60
	v_lshrrev_b32_e32 v77, 16, v56
	v_and_b32_e32 v56, 0xffff, v56
	;;#ASMSTART
	v_cvt_f32_f16 v60, v60;
	;;#ASMEND
	;;#ASMSTART
	v_cvt_f32_f16 v76, v76;
	;;#ASMEND
	;; [unrolled: 3-line block ×3, first 2 shown]
	v_mul_f32_e32 v56, v60, v56
	;;#ASMSTART
	v_cvt_f32_f16 v77, v77;
	;;#ASMEND
	v_fmac_f32_e32 v55, v78, v87
	v_mul_f32_e32 v60, v76, v77
	v_fmac_f32_e32 v58, v83, v85
	v_fmac_f32_e32 v56, v79, v90
	ds_read_b128 v[76:79], v69 offset:32
	s_waitcnt vmcnt(12)
	v_lshrrev_b32_e32 v81, 16, v49
	v_and_b32_e32 v49, 0xffff, v49
	v_fmac_f32_e32 v59, v86, v88
	v_fmac_f32_e32 v60, v89, v91
	s_waitcnt lgkmcnt(0)
	v_lshrrev_b32_e32 v80, 16, v76
	v_and_b32_e32 v76, 0xffff, v76
	;;#ASMSTART
	v_cvt_f32_f16 v76, v76;
	;;#ASMEND
	;;#ASMSTART
	v_cvt_f32_f16 v80, v80;
	;;#ASMEND
	;; [unrolled: 3-line block ×3, first 2 shown]
	v_fmac_f32_e32 v53, v76, v49
	v_lshrrev_b32_e32 v76, 16, v77
	v_and_b32_e32 v49, 0xffff, v77
	v_lshrrev_b32_e32 v77, 16, v50
	v_and_b32_e32 v50, 0xffff, v50
	;;#ASMSTART
	v_cvt_f32_f16 v81, v81;
	;;#ASMEND
	;;#ASMSTART
	v_cvt_f32_f16 v49, v49;
	;;#ASMEND
	;; [unrolled: 3-line block ×5, first 2 shown]
	v_fmac_f32_e32 v54, v49, v50
	v_fmac_f32_e32 v58, v76, v77
	v_lshrrev_b32_e32 v50, 16, v78
	v_and_b32_e32 v49, 0xffff, v78
	v_lshrrev_b32_e32 v76, 16, v51
	v_and_b32_e32 v51, 0xffff, v51
	;;#ASMSTART
	v_cvt_f32_f16 v49, v49;
	;;#ASMEND
	;;#ASMSTART
	v_cvt_f32_f16 v50, v50;
	;;#ASMEND
	;; [unrolled: 3-line block ×4, first 2 shown]
	v_fmac_f32_e32 v55, v49, v51
	v_fmac_f32_e32 v59, v50, v76
	v_lshrrev_b32_e32 v50, 16, v79
	v_and_b32_e32 v49, 0xffff, v79
	v_and_b32_e32 v51, 0xffff, v52
	;;#ASMSTART
	v_cvt_f32_f16 v49, v49;
	;;#ASMEND
	;;#ASMSTART
	v_cvt_f32_f16 v50, v50;
	;;#ASMEND
	v_lshrrev_b32_e32 v76, 16, v52
	;;#ASMSTART
	v_cvt_f32_f16 v51, v51;
	;;#ASMEND
	;;#ASMSTART
	v_cvt_f32_f16 v52, v76;
	;;#ASMEND
	v_fmac_f32_e32 v56, v49, v51
	v_fmac_f32_e32 v60, v50, v52
	ds_read_b128 v[49:52], v69 offset:48
	s_waitcnt vmcnt(11)
	v_lshrrev_b32_e32 v77, 16, v45
	v_and_b32_e32 v45, 0xffff, v45
	v_fmac_f32_e32 v57, v80, v81
	s_waitcnt lgkmcnt(0)
	v_lshrrev_b32_e32 v76, 16, v49
	v_and_b32_e32 v49, 0xffff, v49
	;;#ASMSTART
	v_cvt_f32_f16 v49, v49;
	;;#ASMEND
	;;#ASMSTART
	v_cvt_f32_f16 v76, v76;
	;;#ASMEND
	;;#ASMSTART
	v_cvt_f32_f16 v45, v45;
	;;#ASMEND
	v_fmac_f32_e32 v53, v49, v45
	v_lshrrev_b32_e32 v49, 16, v50
	v_and_b32_e32 v45, 0xffff, v50
	v_lshrrev_b32_e32 v50, 16, v46
	v_and_b32_e32 v46, 0xffff, v46
	;;#ASMSTART
	v_cvt_f32_f16 v77, v77;
	;;#ASMEND
	;;#ASMSTART
	v_cvt_f32_f16 v45, v45;
	;;#ASMEND
	;; [unrolled: 3-line block ×5, first 2 shown]
	v_fmac_f32_e32 v54, v45, v46
	v_fmac_f32_e32 v58, v49, v50
	v_lshrrev_b32_e32 v46, 16, v51
	v_and_b32_e32 v45, 0xffff, v51
	v_lshrrev_b32_e32 v49, 16, v47
	v_and_b32_e32 v47, 0xffff, v47
	;;#ASMSTART
	v_cvt_f32_f16 v45, v45;
	;;#ASMEND
	;;#ASMSTART
	v_cvt_f32_f16 v46, v46;
	;;#ASMEND
	;; [unrolled: 3-line block ×4, first 2 shown]
	v_fmac_f32_e32 v55, v45, v47
	v_fmac_f32_e32 v59, v46, v49
	v_lshrrev_b32_e32 v46, 16, v52
	v_and_b32_e32 v45, 0xffff, v52
	v_and_b32_e32 v47, 0xffff, v48
	;;#ASMSTART
	v_cvt_f32_f16 v45, v45;
	;;#ASMEND
	;;#ASMSTART
	v_cvt_f32_f16 v46, v46;
	;;#ASMEND
	v_lshrrev_b32_e32 v49, 16, v48
	;;#ASMSTART
	v_cvt_f32_f16 v47, v47;
	;;#ASMEND
	;;#ASMSTART
	v_cvt_f32_f16 v48, v49;
	;;#ASMEND
	v_fmac_f32_e32 v56, v45, v47
	v_fmac_f32_e32 v60, v46, v48
	ds_read_b128 v[45:48], v69 offset:64
	s_waitcnt vmcnt(10)
	v_lshrrev_b32_e32 v50, 16, v41
	v_and_b32_e32 v41, 0xffff, v41
	v_fmac_f32_e32 v57, v76, v77
	s_waitcnt lgkmcnt(0)
	v_lshrrev_b32_e32 v49, 16, v45
	v_and_b32_e32 v45, 0xffff, v45
	;;#ASMSTART
	v_cvt_f32_f16 v45, v45;
	;;#ASMEND
	;;#ASMSTART
	v_cvt_f32_f16 v49, v49;
	;;#ASMEND
	;; [unrolled: 3-line block ×3, first 2 shown]
	v_fmac_f32_e32 v53, v45, v41
	v_lshrrev_b32_e32 v45, 16, v46
	v_and_b32_e32 v41, 0xffff, v46
	v_lshrrev_b32_e32 v46, 16, v42
	v_and_b32_e32 v42, 0xffff, v42
	;;#ASMSTART
	v_cvt_f32_f16 v50, v50;
	;;#ASMEND
	;;#ASMSTART
	v_cvt_f32_f16 v41, v41;
	;;#ASMEND
	;; [unrolled: 3-line block ×5, first 2 shown]
	v_fmac_f32_e32 v54, v41, v42
	v_fmac_f32_e32 v58, v45, v46
	v_lshrrev_b32_e32 v42, 16, v47
	v_and_b32_e32 v41, 0xffff, v47
	v_lshrrev_b32_e32 v45, 16, v43
	v_and_b32_e32 v43, 0xffff, v43
	;;#ASMSTART
	v_cvt_f32_f16 v41, v41;
	;;#ASMEND
	;;#ASMSTART
	v_cvt_f32_f16 v42, v42;
	;;#ASMEND
	;; [unrolled: 3-line block ×4, first 2 shown]
	v_fmac_f32_e32 v55, v41, v43
	v_fmac_f32_e32 v59, v42, v45
	v_lshrrev_b32_e32 v42, 16, v48
	v_and_b32_e32 v41, 0xffff, v48
	v_and_b32_e32 v43, 0xffff, v44
	;;#ASMSTART
	v_cvt_f32_f16 v41, v41;
	;;#ASMEND
	;;#ASMSTART
	v_cvt_f32_f16 v42, v42;
	;;#ASMEND
	v_lshrrev_b32_e32 v45, 16, v44
	;;#ASMSTART
	v_cvt_f32_f16 v43, v43;
	;;#ASMEND
	;;#ASMSTART
	v_cvt_f32_f16 v44, v45;
	;;#ASMEND
	v_fmac_f32_e32 v56, v41, v43
	v_fmac_f32_e32 v60, v42, v44
	ds_read_b128 v[41:44], v69 offset:80
	s_waitcnt vmcnt(9)
	v_lshrrev_b32_e32 v46, 16, v37
	v_and_b32_e32 v37, 0xffff, v37
	v_fmac_f32_e32 v57, v49, v50
	s_waitcnt lgkmcnt(0)
	v_lshrrev_b32_e32 v45, 16, v41
	v_and_b32_e32 v41, 0xffff, v41
	;;#ASMSTART
	v_cvt_f32_f16 v41, v41;
	;;#ASMEND
	;;#ASMSTART
	v_cvt_f32_f16 v45, v45;
	;;#ASMEND
	;; [unrolled: 3-line block ×3, first 2 shown]
	v_fmac_f32_e32 v53, v41, v37
	v_lshrrev_b32_e32 v41, 16, v42
	v_and_b32_e32 v37, 0xffff, v42
	v_lshrrev_b32_e32 v42, 16, v38
	v_and_b32_e32 v38, 0xffff, v38
	;;#ASMSTART
	v_cvt_f32_f16 v46, v46;
	;;#ASMEND
	;;#ASMSTART
	v_cvt_f32_f16 v37, v37;
	;;#ASMEND
	;; [unrolled: 3-line block ×5, first 2 shown]
	v_fmac_f32_e32 v54, v37, v38
	v_fmac_f32_e32 v58, v41, v42
	v_lshrrev_b32_e32 v38, 16, v43
	v_and_b32_e32 v37, 0xffff, v43
	v_lshrrev_b32_e32 v41, 16, v39
	v_and_b32_e32 v39, 0xffff, v39
	;;#ASMSTART
	v_cvt_f32_f16 v37, v37;
	;;#ASMEND
	;;#ASMSTART
	v_cvt_f32_f16 v38, v38;
	;;#ASMEND
	;; [unrolled: 3-line block ×4, first 2 shown]
	v_fmac_f32_e32 v55, v37, v39
	v_fmac_f32_e32 v59, v38, v41
	v_lshrrev_b32_e32 v38, 16, v44
	v_and_b32_e32 v37, 0xffff, v44
	v_and_b32_e32 v39, 0xffff, v40
	;;#ASMSTART
	v_cvt_f32_f16 v37, v37;
	;;#ASMEND
	;;#ASMSTART
	v_cvt_f32_f16 v38, v38;
	;;#ASMEND
	v_lshrrev_b32_e32 v41, 16, v40
	;;#ASMSTART
	v_cvt_f32_f16 v39, v39;
	;;#ASMEND
	;;#ASMSTART
	v_cvt_f32_f16 v40, v41;
	;;#ASMEND
	v_fmac_f32_e32 v56, v37, v39
	v_fmac_f32_e32 v60, v38, v40
	ds_read_b128 v[37:40], v69 offset:96
	s_waitcnt vmcnt(8)
	v_lshrrev_b32_e32 v42, 16, v33
	v_and_b32_e32 v33, 0xffff, v33
	v_fmac_f32_e32 v57, v45, v46
	s_waitcnt lgkmcnt(0)
	v_lshrrev_b32_e32 v41, 16, v37
	v_and_b32_e32 v37, 0xffff, v37
	;;#ASMSTART
	v_cvt_f32_f16 v37, v37;
	;;#ASMEND
	;;#ASMSTART
	v_cvt_f32_f16 v41, v41;
	;;#ASMEND
	;; [unrolled: 3-line block ×3, first 2 shown]
	v_fmac_f32_e32 v53, v37, v33
	v_lshrrev_b32_e32 v37, 16, v38
	v_and_b32_e32 v33, 0xffff, v38
	v_lshrrev_b32_e32 v38, 16, v34
	v_and_b32_e32 v34, 0xffff, v34
	;;#ASMSTART
	v_cvt_f32_f16 v42, v42;
	;;#ASMEND
	;;#ASMSTART
	v_cvt_f32_f16 v33, v33;
	;;#ASMEND
	;; [unrolled: 3-line block ×5, first 2 shown]
	v_fmac_f32_e32 v54, v33, v34
	v_fmac_f32_e32 v58, v37, v38
	v_lshrrev_b32_e32 v34, 16, v39
	v_and_b32_e32 v33, 0xffff, v39
	v_lshrrev_b32_e32 v37, 16, v35
	v_and_b32_e32 v35, 0xffff, v35
	;;#ASMSTART
	v_cvt_f32_f16 v33, v33;
	;;#ASMEND
	;;#ASMSTART
	v_cvt_f32_f16 v34, v34;
	;;#ASMEND
	;; [unrolled: 3-line block ×4, first 2 shown]
	v_fmac_f32_e32 v55, v33, v35
	v_fmac_f32_e32 v59, v34, v37
	v_lshrrev_b32_e32 v34, 16, v40
	v_and_b32_e32 v33, 0xffff, v40
	v_and_b32_e32 v35, 0xffff, v36
	;;#ASMSTART
	v_cvt_f32_f16 v33, v33;
	;;#ASMEND
	;;#ASMSTART
	v_cvt_f32_f16 v34, v34;
	;;#ASMEND
	v_lshrrev_b32_e32 v37, 16, v36
	;;#ASMSTART
	v_cvt_f32_f16 v35, v35;
	;;#ASMEND
	;;#ASMSTART
	v_cvt_f32_f16 v36, v37;
	;;#ASMEND
	v_fmac_f32_e32 v56, v33, v35
	v_fmac_f32_e32 v60, v34, v36
	ds_read_b128 v[33:36], v69 offset:112
	s_waitcnt vmcnt(7)
	v_lshrrev_b32_e32 v38, 16, v29
	v_and_b32_e32 v29, 0xffff, v29
	v_fmac_f32_e32 v57, v41, v42
	s_waitcnt lgkmcnt(0)
	v_lshrrev_b32_e32 v37, 16, v33
	v_and_b32_e32 v33, 0xffff, v33
	;;#ASMSTART
	v_cvt_f32_f16 v33, v33;
	;;#ASMEND
	;;#ASMSTART
	v_cvt_f32_f16 v37, v37;
	;;#ASMEND
	;;#ASMSTART
	v_cvt_f32_f16 v29, v29;
	;;#ASMEND
	v_fmac_f32_e32 v53, v33, v29
	v_lshrrev_b32_e32 v33, 16, v34
	v_and_b32_e32 v29, 0xffff, v34
	v_lshrrev_b32_e32 v34, 16, v30
	v_and_b32_e32 v30, 0xffff, v30
	;;#ASMSTART
	v_cvt_f32_f16 v38, v38;
	;;#ASMEND
	;;#ASMSTART
	v_cvt_f32_f16 v29, v29;
	;;#ASMEND
	;; [unrolled: 3-line block ×5, first 2 shown]
	v_fmac_f32_e32 v54, v29, v30
	v_fmac_f32_e32 v58, v33, v34
	v_lshrrev_b32_e32 v30, 16, v35
	v_and_b32_e32 v29, 0xffff, v35
	v_lshrrev_b32_e32 v33, 16, v31
	v_and_b32_e32 v31, 0xffff, v31
	;;#ASMSTART
	v_cvt_f32_f16 v29, v29;
	;;#ASMEND
	;;#ASMSTART
	v_cvt_f32_f16 v30, v30;
	;;#ASMEND
	;; [unrolled: 3-line block ×4, first 2 shown]
	v_fmac_f32_e32 v55, v29, v31
	v_fmac_f32_e32 v59, v30, v33
	v_lshrrev_b32_e32 v30, 16, v36
	v_and_b32_e32 v29, 0xffff, v36
	v_and_b32_e32 v31, 0xffff, v32
	;;#ASMSTART
	v_cvt_f32_f16 v29, v29;
	;;#ASMEND
	;;#ASMSTART
	v_cvt_f32_f16 v30, v30;
	;;#ASMEND
	v_lshrrev_b32_e32 v33, 16, v32
	;;#ASMSTART
	v_cvt_f32_f16 v31, v31;
	;;#ASMEND
	;;#ASMSTART
	v_cvt_f32_f16 v32, v33;
	;;#ASMEND
	v_fmac_f32_e32 v56, v29, v31
	v_fmac_f32_e32 v60, v30, v32
	ds_read_b128 v[29:32], v69 offset:128
	s_waitcnt vmcnt(6)
	v_lshrrev_b32_e32 v34, 16, v25
	v_and_b32_e32 v25, 0xffff, v25
	v_fmac_f32_e32 v57, v37, v38
	s_waitcnt lgkmcnt(0)
	v_lshrrev_b32_e32 v33, 16, v29
	v_and_b32_e32 v29, 0xffff, v29
	;;#ASMSTART
	v_cvt_f32_f16 v29, v29;
	;;#ASMEND
	;;#ASMSTART
	v_cvt_f32_f16 v33, v33;
	;;#ASMEND
	;; [unrolled: 3-line block ×3, first 2 shown]
	v_fmac_f32_e32 v53, v29, v25
	v_lshrrev_b32_e32 v29, 16, v30
	v_and_b32_e32 v25, 0xffff, v30
	v_lshrrev_b32_e32 v30, 16, v26
	v_and_b32_e32 v26, 0xffff, v26
	;;#ASMSTART
	v_cvt_f32_f16 v34, v34;
	;;#ASMEND
	;;#ASMSTART
	v_cvt_f32_f16 v25, v25;
	;;#ASMEND
	;; [unrolled: 3-line block ×5, first 2 shown]
	v_fmac_f32_e32 v54, v25, v26
	v_fmac_f32_e32 v58, v29, v30
	v_lshrrev_b32_e32 v26, 16, v31
	v_and_b32_e32 v25, 0xffff, v31
	v_lshrrev_b32_e32 v29, 16, v27
	v_and_b32_e32 v27, 0xffff, v27
	;;#ASMSTART
	v_cvt_f32_f16 v25, v25;
	;;#ASMEND
	;;#ASMSTART
	v_cvt_f32_f16 v26, v26;
	;;#ASMEND
	;; [unrolled: 3-line block ×4, first 2 shown]
	v_fmac_f32_e32 v55, v25, v27
	v_fmac_f32_e32 v59, v26, v29
	v_lshrrev_b32_e32 v26, 16, v32
	v_and_b32_e32 v25, 0xffff, v32
	v_and_b32_e32 v27, 0xffff, v28
	;;#ASMSTART
	v_cvt_f32_f16 v25, v25;
	;;#ASMEND
	;;#ASMSTART
	v_cvt_f32_f16 v26, v26;
	;;#ASMEND
	v_lshrrev_b32_e32 v29, 16, v28
	;;#ASMSTART
	v_cvt_f32_f16 v27, v27;
	;;#ASMEND
	;;#ASMSTART
	v_cvt_f32_f16 v28, v29;
	;;#ASMEND
	v_fmac_f32_e32 v56, v25, v27
	v_fmac_f32_e32 v60, v26, v28
	ds_read_b128 v[25:28], v69 offset:144
	s_waitcnt vmcnt(5)
	v_lshrrev_b32_e32 v30, 16, v21
	v_and_b32_e32 v21, 0xffff, v21
	v_fmac_f32_e32 v57, v33, v34
	s_waitcnt lgkmcnt(0)
	v_lshrrev_b32_e32 v29, 16, v25
	v_and_b32_e32 v25, 0xffff, v25
	;;#ASMSTART
	v_cvt_f32_f16 v25, v25;
	;;#ASMEND
	;;#ASMSTART
	v_cvt_f32_f16 v29, v29;
	;;#ASMEND
	;; [unrolled: 3-line block ×3, first 2 shown]
	v_fmac_f32_e32 v53, v25, v21
	v_lshrrev_b32_e32 v25, 16, v26
	v_and_b32_e32 v21, 0xffff, v26
	v_lshrrev_b32_e32 v26, 16, v22
	v_and_b32_e32 v22, 0xffff, v22
	;;#ASMSTART
	v_cvt_f32_f16 v30, v30;
	;;#ASMEND
	;;#ASMSTART
	v_cvt_f32_f16 v21, v21;
	;;#ASMEND
	;; [unrolled: 3-line block ×5, first 2 shown]
	v_fmac_f32_e32 v54, v21, v22
	v_fmac_f32_e32 v58, v25, v26
	v_lshrrev_b32_e32 v22, 16, v27
	v_and_b32_e32 v21, 0xffff, v27
	v_lshrrev_b32_e32 v25, 16, v23
	v_and_b32_e32 v23, 0xffff, v23
	;;#ASMSTART
	v_cvt_f32_f16 v21, v21;
	;;#ASMEND
	;;#ASMSTART
	v_cvt_f32_f16 v22, v22;
	;;#ASMEND
	;; [unrolled: 3-line block ×4, first 2 shown]
	v_fmac_f32_e32 v55, v21, v23
	v_fmac_f32_e32 v59, v22, v25
	v_lshrrev_b32_e32 v22, 16, v28
	v_and_b32_e32 v21, 0xffff, v28
	v_and_b32_e32 v23, 0xffff, v24
	;;#ASMSTART
	v_cvt_f32_f16 v21, v21;
	;;#ASMEND
	;;#ASMSTART
	v_cvt_f32_f16 v22, v22;
	;;#ASMEND
	v_lshrrev_b32_e32 v25, 16, v24
	;;#ASMSTART
	v_cvt_f32_f16 v23, v23;
	;;#ASMEND
	;;#ASMSTART
	v_cvt_f32_f16 v24, v25;
	;;#ASMEND
	v_fmac_f32_e32 v56, v21, v23
	v_fmac_f32_e32 v60, v22, v24
	ds_read_b128 v[21:24], v69 offset:160
	s_waitcnt vmcnt(4)
	v_lshrrev_b32_e32 v26, 16, v17
	v_and_b32_e32 v17, 0xffff, v17
	v_fmac_f32_e32 v57, v29, v30
	s_waitcnt lgkmcnt(0)
	v_lshrrev_b32_e32 v25, 16, v21
	v_and_b32_e32 v21, 0xffff, v21
	;;#ASMSTART
	v_cvt_f32_f16 v21, v21;
	;;#ASMEND
	;;#ASMSTART
	v_cvt_f32_f16 v25, v25;
	;;#ASMEND
	;; [unrolled: 3-line block ×3, first 2 shown]
	v_fmac_f32_e32 v53, v21, v17
	v_lshrrev_b32_e32 v21, 16, v22
	v_and_b32_e32 v17, 0xffff, v22
	v_lshrrev_b32_e32 v22, 16, v18
	v_and_b32_e32 v18, 0xffff, v18
	;;#ASMSTART
	v_cvt_f32_f16 v26, v26;
	;;#ASMEND
	;;#ASMSTART
	v_cvt_f32_f16 v17, v17;
	;;#ASMEND
	;; [unrolled: 3-line block ×5, first 2 shown]
	v_fmac_f32_e32 v54, v17, v18
	v_fmac_f32_e32 v58, v21, v22
	v_lshrrev_b32_e32 v18, 16, v23
	v_and_b32_e32 v17, 0xffff, v23
	v_lshrrev_b32_e32 v21, 16, v19
	v_and_b32_e32 v19, 0xffff, v19
	;;#ASMSTART
	v_cvt_f32_f16 v17, v17;
	;;#ASMEND
	;;#ASMSTART
	v_cvt_f32_f16 v18, v18;
	;;#ASMEND
	;; [unrolled: 3-line block ×4, first 2 shown]
	v_fmac_f32_e32 v55, v17, v19
	v_fmac_f32_e32 v59, v18, v21
	v_lshrrev_b32_e32 v18, 16, v24
	v_and_b32_e32 v17, 0xffff, v24
	v_and_b32_e32 v19, 0xffff, v20
	;;#ASMSTART
	v_cvt_f32_f16 v17, v17;
	;;#ASMEND
	;;#ASMSTART
	v_cvt_f32_f16 v18, v18;
	;;#ASMEND
	v_lshrrev_b32_e32 v21, 16, v20
	;;#ASMSTART
	v_cvt_f32_f16 v19, v19;
	;;#ASMEND
	;;#ASMSTART
	v_cvt_f32_f16 v20, v21;
	;;#ASMEND
	v_fmac_f32_e32 v56, v17, v19
	v_fmac_f32_e32 v60, v18, v20
	ds_read_b128 v[17:20], v69 offset:176
	s_waitcnt vmcnt(3)
	v_lshrrev_b32_e32 v22, 16, v13
	v_and_b32_e32 v13, 0xffff, v13
	v_fmac_f32_e32 v57, v25, v26
	s_waitcnt lgkmcnt(0)
	v_lshrrev_b32_e32 v21, 16, v17
	v_and_b32_e32 v17, 0xffff, v17
	;;#ASMSTART
	v_cvt_f32_f16 v17, v17;
	;;#ASMEND
	;;#ASMSTART
	v_cvt_f32_f16 v21, v21;
	;;#ASMEND
	;; [unrolled: 3-line block ×3, first 2 shown]
	v_fmac_f32_e32 v53, v17, v13
	v_lshrrev_b32_e32 v17, 16, v18
	v_and_b32_e32 v13, 0xffff, v18
	v_lshrrev_b32_e32 v18, 16, v14
	v_and_b32_e32 v14, 0xffff, v14
	;;#ASMSTART
	v_cvt_f32_f16 v22, v22;
	;;#ASMEND
	;;#ASMSTART
	v_cvt_f32_f16 v13, v13;
	;;#ASMEND
	;; [unrolled: 3-line block ×5, first 2 shown]
	v_fmac_f32_e32 v54, v13, v14
	v_fmac_f32_e32 v58, v17, v18
	v_lshrrev_b32_e32 v14, 16, v19
	v_and_b32_e32 v13, 0xffff, v19
	v_lshrrev_b32_e32 v17, 16, v15
	v_and_b32_e32 v15, 0xffff, v15
	;;#ASMSTART
	v_cvt_f32_f16 v13, v13;
	;;#ASMEND
	;;#ASMSTART
	v_cvt_f32_f16 v14, v14;
	;;#ASMEND
	;; [unrolled: 3-line block ×4, first 2 shown]
	v_fmac_f32_e32 v55, v13, v15
	v_fmac_f32_e32 v59, v14, v17
	v_lshrrev_b32_e32 v14, 16, v20
	v_and_b32_e32 v13, 0xffff, v20
	v_and_b32_e32 v15, 0xffff, v16
	;;#ASMSTART
	v_cvt_f32_f16 v13, v13;
	;;#ASMEND
	;;#ASMSTART
	v_cvt_f32_f16 v14, v14;
	;;#ASMEND
	v_lshrrev_b32_e32 v17, 16, v16
	;;#ASMSTART
	v_cvt_f32_f16 v15, v15;
	;;#ASMEND
	;;#ASMSTART
	v_cvt_f32_f16 v16, v17;
	;;#ASMEND
	v_fmac_f32_e32 v56, v13, v15
	v_fmac_f32_e32 v60, v14, v16
	ds_read_b128 v[13:16], v69 offset:192
	s_waitcnt vmcnt(2)
	v_lshrrev_b32_e32 v18, 16, v9
	v_and_b32_e32 v9, 0xffff, v9
	v_fmac_f32_e32 v57, v21, v22
	s_waitcnt lgkmcnt(0)
	v_lshrrev_b32_e32 v17, 16, v13
	v_and_b32_e32 v13, 0xffff, v13
	;;#ASMSTART
	v_cvt_f32_f16 v13, v13;
	;;#ASMEND
	;;#ASMSTART
	v_cvt_f32_f16 v17, v17;
	;;#ASMEND
	;; [unrolled: 3-line block ×3, first 2 shown]
	v_fmac_f32_e32 v53, v13, v9
	v_lshrrev_b32_e32 v13, 16, v14
	v_and_b32_e32 v9, 0xffff, v14
	v_lshrrev_b32_e32 v14, 16, v10
	v_and_b32_e32 v10, 0xffff, v10
	;;#ASMSTART
	v_cvt_f32_f16 v18, v18;
	;;#ASMEND
	;;#ASMSTART
	v_cvt_f32_f16 v9, v9;
	;;#ASMEND
	;; [unrolled: 3-line block ×5, first 2 shown]
	v_fmac_f32_e32 v54, v9, v10
	v_fmac_f32_e32 v58, v13, v14
	v_lshrrev_b32_e32 v10, 16, v15
	v_and_b32_e32 v9, 0xffff, v15
	v_lshrrev_b32_e32 v13, 16, v11
	v_and_b32_e32 v11, 0xffff, v11
	;;#ASMSTART
	v_cvt_f32_f16 v9, v9;
	;;#ASMEND
	;;#ASMSTART
	v_cvt_f32_f16 v10, v10;
	;;#ASMEND
	;; [unrolled: 3-line block ×4, first 2 shown]
	v_fmac_f32_e32 v55, v9, v11
	v_fmac_f32_e32 v59, v10, v13
	v_lshrrev_b32_e32 v10, 16, v16
	v_and_b32_e32 v9, 0xffff, v16
	v_and_b32_e32 v11, 0xffff, v12
	;;#ASMSTART
	v_cvt_f32_f16 v9, v9;
	;;#ASMEND
	;;#ASMSTART
	v_cvt_f32_f16 v10, v10;
	;;#ASMEND
	v_lshrrev_b32_e32 v13, 16, v12
	;;#ASMSTART
	v_cvt_f32_f16 v11, v11;
	;;#ASMEND
	;;#ASMSTART
	v_cvt_f32_f16 v12, v13;
	;;#ASMEND
	v_fmac_f32_e32 v56, v9, v11
	v_fmac_f32_e32 v60, v10, v12
	ds_read_b128 v[9:12], v69 offset:208
	s_waitcnt vmcnt(1)
	v_lshrrev_b32_e32 v14, 16, v5
	v_and_b32_e32 v5, 0xffff, v5
	v_fmac_f32_e32 v57, v17, v18
	s_waitcnt lgkmcnt(0)
	v_lshrrev_b32_e32 v13, 16, v9
	v_and_b32_e32 v9, 0xffff, v9
	;;#ASMSTART
	v_cvt_f32_f16 v9, v9;
	;;#ASMEND
	;;#ASMSTART
	v_cvt_f32_f16 v13, v13;
	;;#ASMEND
	;; [unrolled: 3-line block ×3, first 2 shown]
	v_fmac_f32_e32 v53, v9, v5
	v_lshrrev_b32_e32 v9, 16, v10
	v_and_b32_e32 v5, 0xffff, v10
	v_lshrrev_b32_e32 v10, 16, v6
	v_and_b32_e32 v6, 0xffff, v6
	;;#ASMSTART
	v_cvt_f32_f16 v14, v14;
	;;#ASMEND
	;;#ASMSTART
	v_cvt_f32_f16 v5, v5;
	;;#ASMEND
	;; [unrolled: 3-line block ×5, first 2 shown]
	v_fmac_f32_e32 v54, v5, v6
	v_fmac_f32_e32 v58, v9, v10
	v_lshrrev_b32_e32 v6, 16, v11
	v_and_b32_e32 v5, 0xffff, v11
	v_lshrrev_b32_e32 v9, 16, v7
	v_and_b32_e32 v7, 0xffff, v7
	;;#ASMSTART
	v_cvt_f32_f16 v5, v5;
	;;#ASMEND
	;;#ASMSTART
	v_cvt_f32_f16 v6, v6;
	;;#ASMEND
	;; [unrolled: 3-line block ×4, first 2 shown]
	v_fmac_f32_e32 v55, v5, v7
	v_fmac_f32_e32 v59, v6, v9
	v_lshrrev_b32_e32 v6, 16, v12
	v_and_b32_e32 v5, 0xffff, v12
	v_and_b32_e32 v7, 0xffff, v8
	;;#ASMSTART
	v_cvt_f32_f16 v5, v5;
	;;#ASMEND
	;;#ASMSTART
	v_cvt_f32_f16 v6, v6;
	;;#ASMEND
	v_lshrrev_b32_e32 v9, 16, v8
	;;#ASMSTART
	v_cvt_f32_f16 v7, v7;
	;;#ASMEND
	;;#ASMSTART
	v_cvt_f32_f16 v8, v9;
	;;#ASMEND
	v_fmac_f32_e32 v56, v5, v7
	v_fmac_f32_e32 v60, v6, v8
	ds_read_b128 v[5:8], v69 offset:224
	v_fmac_f32_e32 v57, v13, v14
	s_waitcnt vmcnt(0)
	v_lshrrev_b32_e32 v10, 16, v1
	v_and_b32_e32 v1, 0xffff, v1
	s_waitcnt lgkmcnt(0)
	v_lshrrev_b32_e32 v9, 16, v5
	v_and_b32_e32 v5, 0xffff, v5
	;;#ASMSTART
	v_cvt_f32_f16 v5, v5;
	;;#ASMEND
	;;#ASMSTART
	v_cvt_f32_f16 v9, v9;
	;;#ASMEND
	;; [unrolled: 3-line block ×3, first 2 shown]
	v_fmac_f32_e32 v53, v5, v1
	v_and_b32_e32 v1, 0xffff, v6
	;;#ASMSTART
	v_cvt_f32_f16 v10, v10;
	;;#ASMEND
	v_fmac_f32_e32 v57, v9, v10
	v_lshrrev_b32_e32 v5, 16, v6
	;;#ASMSTART
	v_cvt_f32_f16 v1, v1;
	;;#ASMEND
	v_lshrrev_b32_e32 v6, 16, v2
	v_and_b32_e32 v2, 0xffff, v2
	;;#ASMSTART
	v_cvt_f32_f16 v5, v5;
	;;#ASMEND
	;;#ASMSTART
	v_cvt_f32_f16 v2, v2;
	;;#ASMEND
	v_fmac_f32_e32 v54, v1, v2
	v_and_b32_e32 v1, 0xffff, v7
	;;#ASMSTART
	v_cvt_f32_f16 v6, v6;
	;;#ASMEND
	v_fmac_f32_e32 v58, v5, v6
	v_lshrrev_b32_e32 v2, 16, v7
	;;#ASMSTART
	v_cvt_f32_f16 v1, v1;
	;;#ASMEND
	v_lshrrev_b32_e32 v5, 16, v3
	v_and_b32_e32 v3, 0xffff, v3
	;;#ASMSTART
	v_cvt_f32_f16 v2, v2;
	;;#ASMEND
	;;#ASMSTART
	v_cvt_f32_f16 v3, v3;
	;;#ASMEND
	v_fmac_f32_e32 v55, v1, v3
	v_and_b32_e32 v1, 0xffff, v8
	;;#ASMSTART
	v_cvt_f32_f16 v5, v5;
	;;#ASMEND
	v_fmac_f32_e32 v59, v2, v5
	v_lshrrev_b32_e32 v2, 16, v8
	;;#ASMSTART
	v_cvt_f32_f16 v1, v1;
	;;#ASMEND
	v_and_b32_e32 v3, 0xffff, v4
	;;#ASMSTART
	v_cvt_f32_f16 v2, v2;
	;;#ASMEND
	;;#ASMSTART
	v_cvt_f32_f16 v3, v3;
	;;#ASMEND
	v_fmac_f32_e32 v56, v1, v3
	v_add_f32_e32 v1, v53, v57
	v_lshrrev_b32_e32 v5, 16, v4
	;;#ASMSTART
	v_cvt_f32_f16 v4, v5;
	;;#ASMEND
	v_fmac_f32_e32 v60, v2, v4
	v_add_f32_e32 v1, v1, v54
	v_add_f32_e32 v1, v58, v1
	;; [unrolled: 1-line block ×6, first 2 shown]
	v_fmac_f32_e32 v75, s3, v1
	v_cndmask_b32_e64 v1, 0, v75, s1
	ds_write_b32 v71, v1
	v_max_f32_e32 v1, v68, v68
	v_add_nc_u32_e32 v71, 0x200, v71
	v_max_f32_e32 v1, v1, v75
	v_cndmask_b32_e64 v68, v68, v1, s1
	v_add_co_u32 v61, s1, v61, 16
	v_add_co_ci_u32_e64 v62, null, 0, v62, s1
	v_cmp_le_i32_e64 s1, s12, v74
	s_or_b32 s5, s1, s5
	s_andn2_b32 exec_lo, exec_lo, s5
	s_cbranch_execnz .LBB104_6
; %bb.7:
	s_or_b32 exec_lo, exec_lo, s5
.LBB104_8:
	s_or_b32 exec_lo, exec_lo, s25
	v_mbcnt_lo_u32_b32 v2, -1, 0
	v_max_f32_e32 v5, v68, v68
	v_xor_b32_e32 v1, 16, v2
	v_xor_b32_e32 v4, 8, v2
	v_cmp_gt_i32_e32 vcc_lo, 32, v1
	v_cndmask_b32_e32 v1, v2, v1, vcc_lo
	v_cmp_gt_i32_e32 vcc_lo, 32, v4
	v_lshlrev_b32_e32 v1, 2, v1
	v_cndmask_b32_e32 v4, v2, v4, vcc_lo
	ds_bpermute_b32 v3, v1, v68
	s_waitcnt lgkmcnt(0)
	v_max_f32_e32 v6, v3, v3
	v_lshlrev_b32_e32 v3, 2, v4
	v_max_f32_e32 v5, v5, v6
	v_xor_b32_e32 v6, 4, v2
	ds_bpermute_b32 v4, v3, v5
	v_cmp_gt_i32_e32 vcc_lo, 32, v6
	v_cndmask_b32_e32 v6, v2, v6, vcc_lo
	s_waitcnt lgkmcnt(0)
	v_max_f32_e32 v7, v4, v4
	v_lshlrev_b32_e32 v4, 2, v6
	v_max_f32_e32 v5, v5, v7
	v_xor_b32_e32 v7, 2, v2
	ds_bpermute_b32 v6, v4, v5
	v_cmp_gt_i32_e32 vcc_lo, 32, v7
	v_cndmask_b32_e32 v7, v2, v7, vcc_lo
	v_lshlrev_b32_e32 v12, 2, v7
	v_xor_b32_e32 v7, 1, v2
	v_cmp_gt_i32_e32 vcc_lo, 32, v7
	s_waitcnt lgkmcnt(0)
	v_max_f32_e32 v6, v6, v6
	v_cndmask_b32_e32 v7, v2, v7, vcc_lo
	v_cmp_eq_u32_e32 vcc_lo, 0, v64
	v_max_f32_e32 v5, v5, v6
	v_lshlrev_b32_e32 v11, 2, v7
	ds_bpermute_b32 v6, v12, v5
	s_waitcnt lgkmcnt(0)
	v_max_f32_e32 v6, v6, v6
	v_max_f32_e32 v2, v5, v6
	v_lshlrev_b32_e32 v5, 2, v63
	ds_bpermute_b32 v6, v11, v2
	s_and_saveexec_b32 s1, vcc_lo
	s_cbranch_execz .LBB104_10
; %bb.9:
	s_waitcnt lgkmcnt(0)
	v_max_f32_e32 v6, v6, v6
	v_max_f32_e32 v2, v2, v2
	;; [unrolled: 1-line block ×3, first 2 shown]
	ds_write_b32 v5, v2 offset:240
.LBB104_10:
	s_or_b32 exec_lo, exec_lo, s1
	v_cmp_gt_u32_e64 s1, 4, v64
	v_mov_b32_e32 v2, 0xff7fffff
	s_waitcnt lgkmcnt(0)
	s_barrier
	buffer_gl0_inv
	s_and_saveexec_b32 s2, s1
; %bb.11:
	ds_read_b32 v2, v67 offset:240
; %bb.12:
	s_or_b32 exec_lo, exec_lo, s2
	s_waitcnt lgkmcnt(0)
	ds_bpermute_b32 v6, v12, v2
	v_max_f32_e32 v2, v2, v2
	s_lshl_b32 s2, s12, 5
	s_min_i32 s4, s2, s11
	v_cmp_gt_i32_e64 s2, s4, v0
	s_waitcnt lgkmcnt(0)
	v_max_f32_e32 v6, v6, v6
	v_max_f32_e32 v2, v2, v6
	ds_bpermute_b32 v6, v11, v2
	s_waitcnt lgkmcnt(0)
	v_max_f32_e32 v6, v6, v6
	v_max_f32_e32 v2, v2, v6
	v_mov_b32_e32 v6, 0
	ds_bpermute_b32 v7, v6, v2
	v_lshl_add_u32 v2, v0, 2, 0x110
	s_and_saveexec_b32 s5, s2
	s_cbranch_execz .LBB104_16
; %bb.13:
	v_lshl_add_u32 v8, v0, 2, 0x110
	v_mov_b32_e32 v6, 0
	v_mov_b32_e32 v9, v0
	s_mov_b32 s15, 0
	.p2align	6
.LBB104_14:                             ; =>This Inner Loop Header: Depth=1
	ds_read_b32 v10, v8
	v_add_nc_u32_e32 v9, 0x80, v9
	v_cmp_le_i32_e64 s3, s4, v9
	s_or_b32 s15, s3, s15
	s_waitcnt lgkmcnt(0)
	v_sub_f32_e32 v10, v10, v7
	v_mul_f32_e32 v10, 0x3fb8aa3b, v10
	v_exp_f32_e32 v10, v10
	ds_write_b32 v8, v10
	v_add_f32_e32 v6, v6, v10
	v_add_nc_u32_e32 v8, 0x200, v8
	s_andn2_b32 exec_lo, exec_lo, s15
	s_cbranch_execnz .LBB104_14
; %bb.15:
	s_or_b32 exec_lo, exec_lo, s15
.LBB104_16:
	s_or_b32 exec_lo, exec_lo, s5
	ds_bpermute_b32 v1, v1, v6
	s_waitcnt lgkmcnt(0)
	v_add_f32_e32 v1, v6, v1
	ds_bpermute_b32 v3, v3, v1
	s_waitcnt lgkmcnt(0)
	v_add_f32_e32 v1, v1, v3
	;; [unrolled: 3-line block ×5, first 2 shown]
	s_and_saveexec_b32 s3, vcc_lo
; %bb.17:
	ds_write_b32 v5, v1 offset:256
; %bb.18:
	s_or_b32 exec_lo, exec_lo, s3
	s_waitcnt lgkmcnt(0)
	s_barrier
	buffer_gl0_inv
	s_and_saveexec_b32 s3, s1
; %bb.19:
	ds_read_b32 v1, v67 offset:256
; %bb.20:
	s_or_b32 exec_lo, exec_lo, s3
	s_waitcnt lgkmcnt(0)
	ds_bpermute_b32 v3, v12, v1
	s_waitcnt lgkmcnt(0)
	v_add_f32_e32 v1, v1, v3
	ds_bpermute_b32 v3, v11, v1
	s_waitcnt lgkmcnt(0)
	v_add_f32_e32 v1, v1, v3
	v_mov_b32_e32 v3, 0
	ds_bpermute_b32 v1, v3, v1
	s_and_saveexec_b32 s1, s2
	s_cbranch_execz .LBB104_23
; %bb.21:
	s_waitcnt lgkmcnt(0)
	v_add_f32_e32 v1, 0x358637bd, v1
	s_mov_b32 s2, 0
	v_div_scale_f32 v3, null, v1, v1, 1.0
	v_div_scale_f32 v6, vcc_lo, 1.0, v1, 1.0
	v_rcp_f32_e32 v4, v3
	v_fma_f32 v5, -v3, v4, 1.0
	v_fmac_f32_e32 v4, v5, v4
	v_mul_f32_e32 v5, v6, v4
	v_fma_f32 v7, -v3, v5, v6
	v_fmac_f32_e32 v5, v7, v4
	v_fma_f32 v3, -v3, v5, v6
	v_div_fmas_f32 v3, v3, v4, v5
	v_div_fixup_f32 v1, v3, v1, 1.0
	v_mov_b32_e32 v3, v0
.LBB104_22:                             ; =>This Inner Loop Header: Depth=1
	ds_read_b32 v4, v2
	v_add_nc_u32_e32 v3, 0x80, v3
	v_cmp_le_i32_e32 vcc_lo, s4, v3
	s_or_b32 s2, vcc_lo, s2
	s_waitcnt lgkmcnt(0)
	v_mul_f32_e32 v4, v1, v4
	ds_write_b32 v2, v4
	v_add_nc_u32_e32 v2, 0x200, v2
	s_andn2_b32 exec_lo, exec_lo, s2
	s_cbranch_execnz .LBB104_22
.LBB104_23:
	s_or_b32 exec_lo, exec_lo, s1
	v_mov_b32_e32 v26, 0
	v_and_b32_e32 v13, 3, v0
	v_mov_b32_e32 v28, 0
	v_mov_b32_e32 v27, 0
	;; [unrolled: 1-line block ×14, first 2 shown]
	s_waitcnt lgkmcnt(0)
	s_barrier
	buffer_gl0_inv
	s_and_saveexec_b32 s2, s0
	s_cbranch_execz .LBB104_57
; %bb.24:
	v_lshlrev_b32_e32 v1, 3, v0
	s_ashr_i32 s15, s14, 31
	v_and_b32_e32 v3, 0x1f0, v65
	s_lshl_b64 s[0:1], s[14:15], 1
	v_lshlrev_b32_e32 v4, 5, v63
	v_and_b32_e32 v1, 24, v1
	s_add_u32 s0, s22, s0
	v_lshlrev_b32_e32 v2, 5, v13
	s_addc_u32 s1, s23, s1
	v_add_co_u32 v30, s0, s0, v3
	v_or3_b32 v32, v4, v1, 7
	v_and_b32_e32 v1, 0x7c, v66
	v_add_co_ci_u32_e64 v31, null, s1, 0, s0
	s_lshl_b64 s[0:1], s[20:21], 2
	s_add_i32 s3, s12, -1
	v_lshl_or_b32 v2, v63, 7, v2
	s_add_u32 s0, s18, s0
	s_addc_u32 s1, s19, s1
	v_add_co_u32 v5, s0, s0, v1
	v_mov_b32_e32 v29, 0
	v_add_nc_u32_e32 v33, 0x110, v2
	v_add_co_ci_u32_e64 v6, null, s1, 0, s0
	v_mov_b32_e32 v14, 0
	v_mov_b32_e32 v15, 0
	;; [unrolled: 1-line block ×16, first 2 shown]
	s_mov_b32 s5, s13
	s_mov_b32 s4, 0
	s_branch .LBB104_26
.LBB104_25:                             ;   in Loop: Header=BB104_26 Depth=1
	s_or_b32 exec_lo, exec_lo, s1
	v_add_f32_e32 v9, v9, v10
	v_add_f32_e32 v35, v73, v74
	;; [unrolled: 1-line block ×3, first 2 shown]
	v_lshlrev_b32_e32 v8, 16, v8
	v_lshlrev_b32_e32 v7, 16, v7
	v_add_f32_e32 v17, v17, v9
	v_add_f32_e32 v9, v66, v67
	;; [unrolled: 1-line block ×7, first 2 shown]
	v_lshlrev_b32_e32 v9, 16, v72
	v_add_f32_e32 v35, v60, v61
	v_and_or_b32 v2, 0xffff, v2, v8
	v_and_or_b32 v3, 0xffff, v3, v7
	v_add_nc_u32_e32 v34, 4, v34
	v_and_or_b32 v1, 0xffff, v1, v9
	;;#ASMSTART
	v_pk_mul_f16 v1, v38, v1;

	;;#ASMEND
	;;#ASMSTART
	v_pk_mul_f16 v2, v37, v2;

	;;#ASMEND
	;; [unrolled: 4-line block ×4, first 2 shown]
	;;#ASMSTART
	v_pk_add_f16 v1, v1, v2;

	;;#ASMEND
	;;#ASMSTART
	v_pk_add_f16 v1, v1, v3;

	;;#ASMEND
	;; [unrolled: 4-line block ×3, first 2 shown]
	v_and_b32_e32 v4, 0xffff, v1
	v_lshrrev_b32_e32 v7, 16, v1
	;;#ASMSTART
	v_cvt_f32_f16 v4, v4;
	;;#ASMEND
	v_add_f32_e32 v16, v16, v36
	v_add_f32_e32 v36, v58, v59
	;; [unrolled: 1-line block ×10, first 2 shown]
	;;#ASMSTART
	v_cvt_f32_f16 v7, v7;
	;;#ASMEND
	v_add_f32_e32 v4, v4, v7
	v_cmp_le_i32_e32 vcc_lo, s12, v34
	v_add_co_u32 v5, s0, v5, 16
	v_add_f32_e32 v22, v22, v36
	v_add_f32_e32 v23, v23, v40
	;; [unrolled: 1-line block ×8, first 2 shown]
	v_add_nc_u32_e32 v32, 0x80, v32
	v_add_nc_u32_e32 v33, 0x200, v33
	v_add_co_ci_u32_e64 v6, null, 0, v6, s0
	s_or_b32 s4, vcc_lo, s4
	s_andn2_b32 exec_lo, exec_lo, s4
	s_cbranch_execz .LBB104_56
.LBB104_26:                             ; =>This Inner Loop Header: Depth=1
	global_load_dword v7, v[5:6], off
	ds_read2_b64 v[1:4], v33 offset1:1
	ds_read2_b64 v[40:43], v33 offset0:2 offset1:3
	v_cmp_eq_u32_e64 s0, s3, v34
	v_add_nc_u32_e32 v47, -6, v32
	v_add_nc_u32_e32 v36, -3, v32
	;; [unrolled: 1-line block ×4, first 2 shown]
	s_waitcnt lgkmcnt(1)
	;;#ASMSTART
	v_cvt_f16_f32 v38, v1;

	;;#ASMEND
	;;#ASMSTART
	v_cvt_f16_f32 v37, v2;

	;;#ASMEND
	;; [unrolled: 4-line block ×4, first 2 shown]
	s_waitcnt lgkmcnt(0)
	;;#ASMSTART
	v_cvt_f16_f32 v45, v40;

	;;#ASMEND
	;;#ASMSTART
	v_cvt_f16_f32 v10, v41;

	;;#ASMEND
	;; [unrolled: 4-line block ×4, first 2 shown]
	v_add_nc_u32_e32 v43, -7, v32
	v_add_nc_u32_e32 v42, -5, v32
	;; [unrolled: 1-line block ×3, first 2 shown]
	s_waitcnt vmcnt(0)
	v_mad_i64_i32 v[7:8], null, v7, s5, 0
	v_lshlrev_b64 v[7:8], 1, v[7:8]
	v_add_co_u32 v7, vcc_lo, v30, v7
	v_add_co_ci_u32_e64 v8, null, v31, v8, vcc_lo
	global_load_dwordx4 v[1:4], v[7:8], off
	s_waitcnt vmcnt(0)
	v_lshrrev_b32_e32 v50, 16, v1
	v_lshrrev_b32_e32 v49, 16, v2
	;; [unrolled: 1-line block ×3, first 2 shown]
	s_and_saveexec_b32 s13, s0
	s_cbranch_execz .LBB104_28
; %bb.27:                               ;   in Loop: Header=BB104_26 Depth=1
	v_cmp_gt_i32_e32 vcc_lo, s11, v43
	v_and_b32_e32 v51, 0xffff0000, v4
	v_cmp_gt_i32_e64 s1, s11, v42
	v_cndmask_b32_e32 v1, 0, v1, vcc_lo
	v_cmp_gt_i32_e32 vcc_lo, s11, v47
	v_cndmask_b32_e64 v2, 0, v2, s1
	v_cmp_gt_i32_e64 s1, s11, v40
	v_cndmask_b32_e32 v50, 0, v50, vcc_lo
	v_cmp_gt_i32_e32 vcc_lo, s11, v46
	v_cndmask_b32_e64 v49, 0, v49, s1
	v_cndmask_b32_sdwa v4, v29, v4, vcc_lo dst_sel:DWORD dst_unused:UNUSED_PAD src0_sel:DWORD src1_sel:WORD_0
	v_cmp_gt_i32_e32 vcc_lo, s11, v32
	v_cndmask_b32_e32 v51, 0, v51, vcc_lo
	v_cmp_gt_i32_e32 vcc_lo, s11, v36
	v_or_b32_e32 v4, v4, v51
	v_cndmask_b32_e32 v3, 0, v3, vcc_lo
	v_cmp_gt_i32_e32 vcc_lo, s11, v35
	v_cndmask_b32_e32 v48, 0, v48, vcc_lo
.LBB104_28:                             ;   in Loop: Header=BB104_26 Depth=1
	s_or_b32 exec_lo, exec_lo, s13
	v_and_b32_e32 v38, 0xffff, v38
	v_and_b32_e32 v44, 0xffff, v44
	v_lshlrev_b32_e32 v50, 16, v50
	v_lshlrev_b32_e32 v48, 16, v48
	v_and_b32_e32 v45, 0xffff, v45
	v_lshl_or_b32 v38, v37, 16, v38
	v_lshl_or_b32 v37, v39, 16, v44
	v_lshlrev_b32_e32 v44, 16, v49
	v_and_b32_e32 v41, 0xffff, v41
	v_and_or_b32 v1, 0xffff, v1, v50
	v_and_or_b32 v3, 0xffff, v3, v48
	;;#ASMSTART
	v_pk_mul_f16 v1, v38, v1;

	;;#ASMEND
	v_and_or_b32 v2, 0xffff, v2, v44
	v_lshl_or_b32 v39, v10, 16, v45
	v_lshl_or_b32 v41, v9, 16, v41
	;;#ASMSTART
	v_pk_mul_f16 v2, v37, v2;

	;;#ASMEND
	;;#ASMSTART
	v_pk_mul_f16 v3, v39, v3;

	;;#ASMEND
	;; [unrolled: 4-line block ×3, first 2 shown]
	;;#ASMSTART
	v_pk_add_f16 v1, v1, v2;

	;;#ASMEND
	;;#ASMSTART
	v_pk_add_f16 v1, v1, v3;

	;;#ASMEND
	;;#ASMSTART
	v_pk_add_f16 v1, v1, v4;

	;;#ASMEND
	v_and_b32_e32 v2, 0xffff, v1
	v_lshrrev_b32_e32 v1, 16, v1
	;;#ASMSTART
	v_cvt_f32_f16 v44, v2;
	;;#ASMEND
	;;#ASMSTART
	v_cvt_f32_f16 v45, v1;
	;;#ASMEND
	global_load_dwordx4 v[1:4], v[7:8], off offset:512
	s_waitcnt vmcnt(0)
	v_lshrrev_b32_e32 v48, 16, v1
	v_lshrrev_b32_e32 v10, 16, v2
	;; [unrolled: 1-line block ×3, first 2 shown]
	s_and_saveexec_b32 s13, s0
	s_cbranch_execz .LBB104_30
; %bb.29:                               ;   in Loop: Header=BB104_26 Depth=1
	v_cmp_gt_i32_e32 vcc_lo, s11, v43
	v_and_b32_e32 v49, 0xffff0000, v4
	v_cmp_gt_i32_e64 s1, s11, v42
	v_cndmask_b32_e32 v1, 0, v1, vcc_lo
	v_cmp_gt_i32_e32 vcc_lo, s11, v47
	v_cndmask_b32_e64 v2, 0, v2, s1
	v_cmp_gt_i32_e64 s1, s11, v40
	v_cndmask_b32_e32 v48, 0, v48, vcc_lo
	v_cmp_gt_i32_e32 vcc_lo, s11, v46
	v_cndmask_b32_e64 v10, 0, v10, s1
	v_cndmask_b32_sdwa v4, v29, v4, vcc_lo dst_sel:DWORD dst_unused:UNUSED_PAD src0_sel:DWORD src1_sel:WORD_0
	v_cmp_gt_i32_e32 vcc_lo, s11, v32
	v_cndmask_b32_e32 v49, 0, v49, vcc_lo
	v_cmp_gt_i32_e32 vcc_lo, s11, v36
	v_or_b32_e32 v4, v4, v49
	v_cndmask_b32_e32 v3, 0, v3, vcc_lo
	v_cmp_gt_i32_e32 vcc_lo, s11, v35
	v_cndmask_b32_e32 v9, 0, v9, vcc_lo
.LBB104_30:                             ;   in Loop: Header=BB104_26 Depth=1
	s_or_b32 exec_lo, exec_lo, s13
	v_lshlrev_b32_e32 v48, 16, v48
	v_lshlrev_b32_e32 v10, 16, v10
	;; [unrolled: 1-line block ×3, first 2 shown]
	v_and_or_b32 v1, 0xffff, v1, v48
	v_and_or_b32 v2, 0xffff, v2, v10
	;; [unrolled: 1-line block ×3, first 2 shown]
	;;#ASMSTART
	v_pk_mul_f16 v1, v38, v1;

	;;#ASMEND
	;;#ASMSTART
	v_pk_mul_f16 v2, v37, v2;

	;;#ASMEND
	;; [unrolled: 4-line block ×4, first 2 shown]
	;;#ASMSTART
	v_pk_add_f16 v1, v1, v2;

	;;#ASMEND
	;;#ASMSTART
	v_pk_add_f16 v1, v1, v3;

	;;#ASMEND
	;; [unrolled: 4-line block ×3, first 2 shown]
	v_and_b32_e32 v2, 0xffff, v1
	v_lshrrev_b32_e32 v1, 16, v1
	;;#ASMSTART
	v_cvt_f32_f16 v48, v2;
	;;#ASMEND
	;;#ASMSTART
	v_cvt_f32_f16 v49, v1;
	;;#ASMEND
	global_load_dwordx4 v[1:4], v[7:8], off offset:1024
	s_waitcnt vmcnt(0)
	v_lshrrev_b32_e32 v50, 16, v1
	v_lshrrev_b32_e32 v10, 16, v2
	;; [unrolled: 1-line block ×3, first 2 shown]
	s_and_saveexec_b32 s13, s0
	s_cbranch_execz .LBB104_32
; %bb.31:                               ;   in Loop: Header=BB104_26 Depth=1
	v_cmp_gt_i32_e32 vcc_lo, s11, v43
	v_and_b32_e32 v51, 0xffff0000, v4
	v_cmp_gt_i32_e64 s1, s11, v42
	v_cndmask_b32_e32 v1, 0, v1, vcc_lo
	v_cmp_gt_i32_e32 vcc_lo, s11, v47
	v_cndmask_b32_e64 v2, 0, v2, s1
	v_cmp_gt_i32_e64 s1, s11, v40
	v_cndmask_b32_e32 v50, 0, v50, vcc_lo
	v_cmp_gt_i32_e32 vcc_lo, s11, v46
	v_cndmask_b32_e64 v10, 0, v10, s1
	v_cndmask_b32_sdwa v4, v29, v4, vcc_lo dst_sel:DWORD dst_unused:UNUSED_PAD src0_sel:DWORD src1_sel:WORD_0
	v_cmp_gt_i32_e32 vcc_lo, s11, v32
	v_cndmask_b32_e32 v51, 0, v51, vcc_lo
	v_cmp_gt_i32_e32 vcc_lo, s11, v36
	v_or_b32_e32 v4, v4, v51
	v_cndmask_b32_e32 v3, 0, v3, vcc_lo
	v_cmp_gt_i32_e32 vcc_lo, s11, v35
	v_cndmask_b32_e32 v9, 0, v9, vcc_lo
.LBB104_32:                             ;   in Loop: Header=BB104_26 Depth=1
	s_or_b32 exec_lo, exec_lo, s13
	v_lshlrev_b32_e32 v50, 16, v50
	v_lshlrev_b32_e32 v10, 16, v10
	;; [unrolled: 1-line block ×3, first 2 shown]
	v_and_or_b32 v1, 0xffff, v1, v50
	v_and_or_b32 v2, 0xffff, v2, v10
	;; [unrolled: 1-line block ×3, first 2 shown]
	;;#ASMSTART
	v_pk_mul_f16 v1, v38, v1;

	;;#ASMEND
	;;#ASMSTART
	v_pk_mul_f16 v2, v37, v2;

	;;#ASMEND
	;; [unrolled: 4-line block ×4, first 2 shown]
	;;#ASMSTART
	v_pk_add_f16 v1, v1, v2;

	;;#ASMEND
	;;#ASMSTART
	v_pk_add_f16 v1, v1, v3;

	;;#ASMEND
	;;#ASMSTART
	v_pk_add_f16 v1, v1, v4;

	;;#ASMEND
	v_and_b32_e32 v2, 0xffff, v1
	v_lshrrev_b32_e32 v1, 16, v1
	;;#ASMSTART
	v_cvt_f32_f16 v50, v2;
	;;#ASMEND
	;;#ASMSTART
	v_cvt_f32_f16 v51, v1;
	;;#ASMEND
	global_load_dwordx4 v[1:4], v[7:8], off offset:1536
	s_waitcnt vmcnt(0)
	v_lshrrev_b32_e32 v52, 16, v1
	v_lshrrev_b32_e32 v10, 16, v2
	v_lshrrev_b32_e32 v9, 16, v3
	s_and_saveexec_b32 s13, s0
	s_cbranch_execz .LBB104_34
; %bb.33:                               ;   in Loop: Header=BB104_26 Depth=1
	v_cmp_gt_i32_e32 vcc_lo, s11, v43
	v_and_b32_e32 v53, 0xffff0000, v4
	v_cmp_gt_i32_e64 s1, s11, v42
	v_cndmask_b32_e32 v1, 0, v1, vcc_lo
	v_cmp_gt_i32_e32 vcc_lo, s11, v47
	v_cndmask_b32_e64 v2, 0, v2, s1
	v_cmp_gt_i32_e64 s1, s11, v40
	v_cndmask_b32_e32 v52, 0, v52, vcc_lo
	v_cmp_gt_i32_e32 vcc_lo, s11, v46
	v_cndmask_b32_e64 v10, 0, v10, s1
	v_cndmask_b32_sdwa v4, v29, v4, vcc_lo dst_sel:DWORD dst_unused:UNUSED_PAD src0_sel:DWORD src1_sel:WORD_0
	v_cmp_gt_i32_e32 vcc_lo, s11, v32
	v_cndmask_b32_e32 v53, 0, v53, vcc_lo
	v_cmp_gt_i32_e32 vcc_lo, s11, v36
	v_or_b32_e32 v4, v4, v53
	v_cndmask_b32_e32 v3, 0, v3, vcc_lo
	v_cmp_gt_i32_e32 vcc_lo, s11, v35
	v_cndmask_b32_e32 v9, 0, v9, vcc_lo
.LBB104_34:                             ;   in Loop: Header=BB104_26 Depth=1
	s_or_b32 exec_lo, exec_lo, s13
	v_lshlrev_b32_e32 v9, 16, v9
	v_lshlrev_b32_e32 v52, 16, v52
	;; [unrolled: 1-line block ×3, first 2 shown]
	v_and_or_b32 v3, 0xffff, v3, v9
	v_add_co_u32 v9, vcc_lo, 0x800, v7
	v_and_or_b32 v1, 0xffff, v1, v52
	v_and_or_b32 v2, 0xffff, v2, v10
	;;#ASMSTART
	v_pk_mul_f16 v1, v38, v1;

	;;#ASMEND
	v_add_co_ci_u32_e64 v10, null, 0, v8, vcc_lo
	;;#ASMSTART
	v_pk_mul_f16 v2, v37, v2;

	;;#ASMEND
	;;#ASMSTART
	v_pk_mul_f16 v3, v39, v3;

	;;#ASMEND
	;; [unrolled: 4-line block ×3, first 2 shown]
	;;#ASMSTART
	v_pk_add_f16 v1, v1, v2;

	;;#ASMEND
	;;#ASMSTART
	v_pk_add_f16 v1, v1, v3;

	;;#ASMEND
	;; [unrolled: 4-line block ×3, first 2 shown]
	v_lshrrev_b32_e32 v2, 16, v1
	v_and_b32_e32 v1, 0xffff, v1
	;;#ASMSTART
	v_cvt_f32_f16 v52, v1;
	;;#ASMEND
	;;#ASMSTART
	v_cvt_f32_f16 v53, v2;
	;;#ASMEND
	global_load_dwordx4 v[1:4], v[9:10], off
	s_waitcnt vmcnt(0)
	v_lshrrev_b32_e32 v56, 16, v1
	v_lshrrev_b32_e32 v55, 16, v2
	;; [unrolled: 1-line block ×3, first 2 shown]
	s_and_saveexec_b32 s13, s0
	s_cbranch_execz .LBB104_36
; %bb.35:                               ;   in Loop: Header=BB104_26 Depth=1
	v_cmp_gt_i32_e32 vcc_lo, s11, v43
	v_and_b32_e32 v57, 0xffff0000, v4
	v_cmp_gt_i32_e64 s1, s11, v42
	v_cndmask_b32_e32 v1, 0, v1, vcc_lo
	v_cmp_gt_i32_e32 vcc_lo, s11, v47
	v_cndmask_b32_e64 v2, 0, v2, s1
	v_cmp_gt_i32_e64 s1, s11, v40
	v_cndmask_b32_e32 v56, 0, v56, vcc_lo
	v_cmp_gt_i32_e32 vcc_lo, s11, v46
	v_cndmask_b32_e64 v55, 0, v55, s1
	v_cndmask_b32_sdwa v4, v29, v4, vcc_lo dst_sel:DWORD dst_unused:UNUSED_PAD src0_sel:DWORD src1_sel:WORD_0
	v_cmp_gt_i32_e32 vcc_lo, s11, v32
	v_cndmask_b32_e32 v57, 0, v57, vcc_lo
	v_cmp_gt_i32_e32 vcc_lo, s11, v36
	v_or_b32_e32 v4, v4, v57
	v_cndmask_b32_e32 v3, 0, v3, vcc_lo
	v_cmp_gt_i32_e32 vcc_lo, s11, v35
	v_cndmask_b32_e32 v54, 0, v54, vcc_lo
.LBB104_36:                             ;   in Loop: Header=BB104_26 Depth=1
	s_or_b32 exec_lo, exec_lo, s13
	v_lshlrev_b32_e32 v56, 16, v56
	v_lshlrev_b32_e32 v55, 16, v55
	;; [unrolled: 1-line block ×3, first 2 shown]
	v_and_or_b32 v1, 0xffff, v1, v56
	v_and_or_b32 v2, 0xffff, v2, v55
	;; [unrolled: 1-line block ×3, first 2 shown]
	;;#ASMSTART
	v_pk_mul_f16 v1, v38, v1;

	;;#ASMEND
	;;#ASMSTART
	v_pk_mul_f16 v2, v37, v2;

	;;#ASMEND
	;; [unrolled: 4-line block ×4, first 2 shown]
	;;#ASMSTART
	v_pk_add_f16 v1, v1, v2;

	;;#ASMEND
	;;#ASMSTART
	v_pk_add_f16 v1, v1, v3;

	;;#ASMEND
	;;#ASMSTART
	v_pk_add_f16 v1, v1, v4;

	;;#ASMEND
	v_and_b32_e32 v2, 0xffff, v1
	v_lshrrev_b32_e32 v1, 16, v1
	;;#ASMSTART
	v_cvt_f32_f16 v54, v2;
	;;#ASMEND
	;;#ASMSTART
	v_cvt_f32_f16 v55, v1;
	;;#ASMEND
	global_load_dwordx4 v[1:4], v[9:10], off offset:512
	s_waitcnt vmcnt(0)
	v_lshrrev_b32_e32 v58, 16, v1
	v_lshrrev_b32_e32 v57, 16, v2
	;; [unrolled: 1-line block ×3, first 2 shown]
	s_and_saveexec_b32 s13, s0
	s_cbranch_execz .LBB104_38
; %bb.37:                               ;   in Loop: Header=BB104_26 Depth=1
	v_cmp_gt_i32_e32 vcc_lo, s11, v43
	v_and_b32_e32 v59, 0xffff0000, v4
	v_cmp_gt_i32_e64 s1, s11, v42
	v_cndmask_b32_e32 v1, 0, v1, vcc_lo
	v_cmp_gt_i32_e32 vcc_lo, s11, v47
	v_cndmask_b32_e64 v2, 0, v2, s1
	v_cmp_gt_i32_e64 s1, s11, v40
	v_cndmask_b32_e32 v58, 0, v58, vcc_lo
	v_cmp_gt_i32_e32 vcc_lo, s11, v46
	v_cndmask_b32_e64 v57, 0, v57, s1
	v_cndmask_b32_sdwa v4, v29, v4, vcc_lo dst_sel:DWORD dst_unused:UNUSED_PAD src0_sel:DWORD src1_sel:WORD_0
	v_cmp_gt_i32_e32 vcc_lo, s11, v32
	v_cndmask_b32_e32 v59, 0, v59, vcc_lo
	v_cmp_gt_i32_e32 vcc_lo, s11, v36
	v_or_b32_e32 v4, v4, v59
	v_cndmask_b32_e32 v3, 0, v3, vcc_lo
	v_cmp_gt_i32_e32 vcc_lo, s11, v35
	v_cndmask_b32_e32 v56, 0, v56, vcc_lo
.LBB104_38:                             ;   in Loop: Header=BB104_26 Depth=1
	s_or_b32 exec_lo, exec_lo, s13
	v_lshlrev_b32_e32 v58, 16, v58
	v_lshlrev_b32_e32 v57, 16, v57
	;; [unrolled: 1-line block ×3, first 2 shown]
	v_and_or_b32 v1, 0xffff, v1, v58
	v_and_or_b32 v2, 0xffff, v2, v57
	;; [unrolled: 1-line block ×3, first 2 shown]
	;;#ASMSTART
	v_pk_mul_f16 v1, v38, v1;

	;;#ASMEND
	;;#ASMSTART
	v_pk_mul_f16 v2, v37, v2;

	;;#ASMEND
	;; [unrolled: 4-line block ×4, first 2 shown]
	;;#ASMSTART
	v_pk_add_f16 v1, v1, v2;

	;;#ASMEND
	;;#ASMSTART
	v_pk_add_f16 v1, v1, v3;

	;;#ASMEND
	;; [unrolled: 4-line block ×3, first 2 shown]
	v_and_b32_e32 v2, 0xffff, v1
	v_lshrrev_b32_e32 v1, 16, v1
	;;#ASMSTART
	v_cvt_f32_f16 v56, v2;
	;;#ASMEND
	;;#ASMSTART
	v_cvt_f32_f16 v57, v1;
	;;#ASMEND
	global_load_dwordx4 v[1:4], v[9:10], off offset:1024
	s_waitcnt vmcnt(0)
	v_lshrrev_b32_e32 v60, 16, v1
	v_lshrrev_b32_e32 v59, 16, v2
	;; [unrolled: 1-line block ×3, first 2 shown]
	s_and_saveexec_b32 s13, s0
	s_cbranch_execz .LBB104_40
; %bb.39:                               ;   in Loop: Header=BB104_26 Depth=1
	v_cmp_gt_i32_e32 vcc_lo, s11, v43
	v_and_b32_e32 v61, 0xffff0000, v4
	v_cmp_gt_i32_e64 s1, s11, v42
	v_cndmask_b32_e32 v1, 0, v1, vcc_lo
	v_cmp_gt_i32_e32 vcc_lo, s11, v47
	v_cndmask_b32_e64 v2, 0, v2, s1
	v_cmp_gt_i32_e64 s1, s11, v40
	v_cndmask_b32_e32 v60, 0, v60, vcc_lo
	v_cmp_gt_i32_e32 vcc_lo, s11, v46
	v_cndmask_b32_e64 v59, 0, v59, s1
	v_cndmask_b32_sdwa v4, v29, v4, vcc_lo dst_sel:DWORD dst_unused:UNUSED_PAD src0_sel:DWORD src1_sel:WORD_0
	v_cmp_gt_i32_e32 vcc_lo, s11, v32
	v_cndmask_b32_e32 v61, 0, v61, vcc_lo
	v_cmp_gt_i32_e32 vcc_lo, s11, v36
	v_or_b32_e32 v4, v4, v61
	v_cndmask_b32_e32 v3, 0, v3, vcc_lo
	v_cmp_gt_i32_e32 vcc_lo, s11, v35
	v_cndmask_b32_e32 v58, 0, v58, vcc_lo
.LBB104_40:                             ;   in Loop: Header=BB104_26 Depth=1
	s_or_b32 exec_lo, exec_lo, s13
	v_lshlrev_b32_e32 v60, 16, v60
	v_lshlrev_b32_e32 v59, 16, v59
	;; [unrolled: 1-line block ×3, first 2 shown]
	v_and_or_b32 v1, 0xffff, v1, v60
	v_and_or_b32 v2, 0xffff, v2, v59
	;; [unrolled: 1-line block ×3, first 2 shown]
	;;#ASMSTART
	v_pk_mul_f16 v1, v38, v1;

	;;#ASMEND
	;;#ASMSTART
	v_pk_mul_f16 v2, v37, v2;

	;;#ASMEND
	;;#ASMSTART
	v_pk_mul_f16 v3, v39, v3;

	;;#ASMEND
	;;#ASMSTART
	v_pk_mul_f16 v4, v41, v4;

	;;#ASMEND
	;;#ASMSTART
	v_pk_add_f16 v1, v1, v2;

	;;#ASMEND
	;;#ASMSTART
	v_pk_add_f16 v1, v1, v3;

	;;#ASMEND
	;;#ASMSTART
	v_pk_add_f16 v1, v1, v4;

	;;#ASMEND
	v_and_b32_e32 v2, 0xffff, v1
	v_lshrrev_b32_e32 v1, 16, v1
	;;#ASMSTART
	v_cvt_f32_f16 v58, v2;
	;;#ASMEND
	;;#ASMSTART
	v_cvt_f32_f16 v59, v1;
	;;#ASMEND
	global_load_dwordx4 v[1:4], v[9:10], off offset:1536
	s_waitcnt vmcnt(0)
	v_lshrrev_b32_e32 v60, 16, v1
	v_lshrrev_b32_e32 v10, 16, v2
	;; [unrolled: 1-line block ×3, first 2 shown]
	s_and_saveexec_b32 s13, s0
	s_cbranch_execz .LBB104_42
; %bb.41:                               ;   in Loop: Header=BB104_26 Depth=1
	v_cmp_gt_i32_e32 vcc_lo, s11, v43
	v_and_b32_e32 v61, 0xffff0000, v4
	v_cmp_gt_i32_e64 s1, s11, v42
	v_cndmask_b32_e32 v1, 0, v1, vcc_lo
	v_cmp_gt_i32_e32 vcc_lo, s11, v47
	v_cndmask_b32_e64 v2, 0, v2, s1
	v_cmp_gt_i32_e64 s1, s11, v40
	v_cndmask_b32_e32 v60, 0, v60, vcc_lo
	v_cmp_gt_i32_e32 vcc_lo, s11, v46
	v_cndmask_b32_e64 v10, 0, v10, s1
	v_cndmask_b32_sdwa v4, v29, v4, vcc_lo dst_sel:DWORD dst_unused:UNUSED_PAD src0_sel:DWORD src1_sel:WORD_0
	v_cmp_gt_i32_e32 vcc_lo, s11, v32
	v_cndmask_b32_e32 v61, 0, v61, vcc_lo
	v_cmp_gt_i32_e32 vcc_lo, s11, v36
	v_or_b32_e32 v4, v4, v61
	v_cndmask_b32_e32 v3, 0, v3, vcc_lo
	v_cmp_gt_i32_e32 vcc_lo, s11, v35
	v_cndmask_b32_e32 v9, 0, v9, vcc_lo
.LBB104_42:                             ;   in Loop: Header=BB104_26 Depth=1
	s_or_b32 exec_lo, exec_lo, s13
	v_lshlrev_b32_e32 v9, 16, v9
	v_lshlrev_b32_e32 v60, 16, v60
	;; [unrolled: 1-line block ×3, first 2 shown]
	v_and_or_b32 v3, 0xffff, v3, v9
	v_add_co_u32 v9, vcc_lo, 0x1000, v7
	v_and_or_b32 v1, 0xffff, v1, v60
	v_and_or_b32 v2, 0xffff, v2, v10
	;;#ASMSTART
	v_pk_mul_f16 v1, v38, v1;

	;;#ASMEND
	v_add_co_ci_u32_e64 v10, null, 0, v8, vcc_lo
	;;#ASMSTART
	v_pk_mul_f16 v2, v37, v2;

	;;#ASMEND
	;;#ASMSTART
	v_pk_mul_f16 v3, v39, v3;

	;;#ASMEND
	;; [unrolled: 4-line block ×3, first 2 shown]
	;;#ASMSTART
	v_pk_add_f16 v1, v1, v2;

	;;#ASMEND
	;;#ASMSTART
	v_pk_add_f16 v1, v1, v3;

	;;#ASMEND
	;; [unrolled: 4-line block ×3, first 2 shown]
	v_lshrrev_b32_e32 v2, 16, v1
	v_and_b32_e32 v1, 0xffff, v1
	;;#ASMSTART
	v_cvt_f32_f16 v60, v1;
	;;#ASMEND
	;;#ASMSTART
	v_cvt_f32_f16 v61, v2;
	;;#ASMEND
	global_load_dwordx4 v[1:4], v[9:10], off
	s_waitcnt vmcnt(0)
	v_lshrrev_b32_e32 v66, 16, v1
	v_lshrrev_b32_e32 v65, 16, v2
	;; [unrolled: 1-line block ×3, first 2 shown]
	s_and_saveexec_b32 s13, s0
	s_cbranch_execz .LBB104_44
; %bb.43:                               ;   in Loop: Header=BB104_26 Depth=1
	v_cmp_gt_i32_e32 vcc_lo, s11, v43
	v_and_b32_e32 v67, 0xffff0000, v4
	v_cmp_gt_i32_e64 s1, s11, v42
	v_cndmask_b32_e32 v1, 0, v1, vcc_lo
	v_cmp_gt_i32_e32 vcc_lo, s11, v47
	v_cndmask_b32_e64 v2, 0, v2, s1
	v_cmp_gt_i32_e64 s1, s11, v40
	v_cndmask_b32_e32 v66, 0, v66, vcc_lo
	v_cmp_gt_i32_e32 vcc_lo, s11, v46
	v_cndmask_b32_e64 v65, 0, v65, s1
	v_cndmask_b32_sdwa v4, v29, v4, vcc_lo dst_sel:DWORD dst_unused:UNUSED_PAD src0_sel:DWORD src1_sel:WORD_0
	v_cmp_gt_i32_e32 vcc_lo, s11, v32
	v_cndmask_b32_e32 v67, 0, v67, vcc_lo
	v_cmp_gt_i32_e32 vcc_lo, s11, v36
	v_or_b32_e32 v4, v4, v67
	v_cndmask_b32_e32 v3, 0, v3, vcc_lo
	v_cmp_gt_i32_e32 vcc_lo, s11, v35
	v_cndmask_b32_e32 v62, 0, v62, vcc_lo
.LBB104_44:                             ;   in Loop: Header=BB104_26 Depth=1
	s_or_b32 exec_lo, exec_lo, s13
	v_lshlrev_b32_e32 v66, 16, v66
	v_lshlrev_b32_e32 v65, 16, v65
	;; [unrolled: 1-line block ×3, first 2 shown]
	v_and_or_b32 v1, 0xffff, v1, v66
	v_and_or_b32 v2, 0xffff, v2, v65
	v_and_or_b32 v3, 0xffff, v3, v62
	;;#ASMSTART
	v_pk_mul_f16 v1, v38, v1;

	;;#ASMEND
	;;#ASMSTART
	v_pk_mul_f16 v2, v37, v2;

	;;#ASMEND
	;; [unrolled: 4-line block ×4, first 2 shown]
	;;#ASMSTART
	v_pk_add_f16 v1, v1, v2;

	;;#ASMEND
	;;#ASMSTART
	v_pk_add_f16 v1, v1, v3;

	;;#ASMEND
	;; [unrolled: 4-line block ×3, first 2 shown]
	v_and_b32_e32 v2, 0xffff, v1
	v_lshrrev_b32_e32 v1, 16, v1
	;;#ASMSTART
	v_cvt_f32_f16 v62, v2;
	;;#ASMEND
	;;#ASMSTART
	v_cvt_f32_f16 v65, v1;
	;;#ASMEND
	global_load_dwordx4 v[1:4], v[9:10], off offset:512
	s_waitcnt vmcnt(0)
	v_lshrrev_b32_e32 v68, 16, v1
	v_lshrrev_b32_e32 v67, 16, v2
	v_lshrrev_b32_e32 v66, 16, v3
	s_and_saveexec_b32 s13, s0
	s_cbranch_execz .LBB104_46
; %bb.45:                               ;   in Loop: Header=BB104_26 Depth=1
	v_cmp_gt_i32_e32 vcc_lo, s11, v43
	v_and_b32_e32 v69, 0xffff0000, v4
	v_cmp_gt_i32_e64 s1, s11, v42
	v_cndmask_b32_e32 v1, 0, v1, vcc_lo
	v_cmp_gt_i32_e32 vcc_lo, s11, v47
	v_cndmask_b32_e64 v2, 0, v2, s1
	v_cmp_gt_i32_e64 s1, s11, v40
	v_cndmask_b32_e32 v68, 0, v68, vcc_lo
	v_cmp_gt_i32_e32 vcc_lo, s11, v46
	v_cndmask_b32_e64 v67, 0, v67, s1
	v_cndmask_b32_sdwa v4, v29, v4, vcc_lo dst_sel:DWORD dst_unused:UNUSED_PAD src0_sel:DWORD src1_sel:WORD_0
	v_cmp_gt_i32_e32 vcc_lo, s11, v32
	v_cndmask_b32_e32 v69, 0, v69, vcc_lo
	v_cmp_gt_i32_e32 vcc_lo, s11, v36
	v_or_b32_e32 v4, v4, v69
	v_cndmask_b32_e32 v3, 0, v3, vcc_lo
	v_cmp_gt_i32_e32 vcc_lo, s11, v35
	v_cndmask_b32_e32 v66, 0, v66, vcc_lo
.LBB104_46:                             ;   in Loop: Header=BB104_26 Depth=1
	s_or_b32 exec_lo, exec_lo, s13
	v_lshlrev_b32_e32 v68, 16, v68
	v_lshlrev_b32_e32 v67, 16, v67
	;; [unrolled: 1-line block ×3, first 2 shown]
	v_and_or_b32 v1, 0xffff, v1, v68
	v_and_or_b32 v2, 0xffff, v2, v67
	;; [unrolled: 1-line block ×3, first 2 shown]
	;;#ASMSTART
	v_pk_mul_f16 v1, v38, v1;

	;;#ASMEND
	;;#ASMSTART
	v_pk_mul_f16 v2, v37, v2;

	;;#ASMEND
	;; [unrolled: 4-line block ×4, first 2 shown]
	;;#ASMSTART
	v_pk_add_f16 v1, v1, v2;

	;;#ASMEND
	;;#ASMSTART
	v_pk_add_f16 v1, v1, v3;

	;;#ASMEND
	;; [unrolled: 4-line block ×3, first 2 shown]
	v_and_b32_e32 v2, 0xffff, v1
	v_lshrrev_b32_e32 v1, 16, v1
	;;#ASMSTART
	v_cvt_f32_f16 v66, v2;
	;;#ASMEND
	;;#ASMSTART
	v_cvt_f32_f16 v67, v1;
	;;#ASMEND
	global_load_dwordx4 v[1:4], v[9:10], off offset:1024
	s_waitcnt vmcnt(0)
	v_lshrrev_b32_e32 v70, 16, v1
	v_lshrrev_b32_e32 v69, 16, v2
	;; [unrolled: 1-line block ×3, first 2 shown]
	s_and_saveexec_b32 s13, s0
	s_cbranch_execz .LBB104_48
; %bb.47:                               ;   in Loop: Header=BB104_26 Depth=1
	v_cmp_gt_i32_e32 vcc_lo, s11, v43
	v_and_b32_e32 v71, 0xffff0000, v4
	v_cmp_gt_i32_e64 s1, s11, v42
	v_cndmask_b32_e32 v1, 0, v1, vcc_lo
	v_cmp_gt_i32_e32 vcc_lo, s11, v47
	v_cndmask_b32_e64 v2, 0, v2, s1
	v_cmp_gt_i32_e64 s1, s11, v40
	v_cndmask_b32_e32 v70, 0, v70, vcc_lo
	v_cmp_gt_i32_e32 vcc_lo, s11, v46
	v_cndmask_b32_e64 v69, 0, v69, s1
	v_cndmask_b32_sdwa v4, v29, v4, vcc_lo dst_sel:DWORD dst_unused:UNUSED_PAD src0_sel:DWORD src1_sel:WORD_0
	v_cmp_gt_i32_e32 vcc_lo, s11, v32
	v_cndmask_b32_e32 v71, 0, v71, vcc_lo
	v_cmp_gt_i32_e32 vcc_lo, s11, v36
	v_or_b32_e32 v4, v4, v71
	v_cndmask_b32_e32 v3, 0, v3, vcc_lo
	v_cmp_gt_i32_e32 vcc_lo, s11, v35
	v_cndmask_b32_e32 v68, 0, v68, vcc_lo
.LBB104_48:                             ;   in Loop: Header=BB104_26 Depth=1
	s_or_b32 exec_lo, exec_lo, s13
	v_lshlrev_b32_e32 v70, 16, v70
	v_lshlrev_b32_e32 v69, 16, v69
	;; [unrolled: 1-line block ×3, first 2 shown]
	v_and_or_b32 v1, 0xffff, v1, v70
	v_and_or_b32 v2, 0xffff, v2, v69
	v_and_or_b32 v3, 0xffff, v3, v68
	;;#ASMSTART
	v_pk_mul_f16 v1, v38, v1;

	;;#ASMEND
	;;#ASMSTART
	v_pk_mul_f16 v2, v37, v2;

	;;#ASMEND
	;; [unrolled: 4-line block ×4, first 2 shown]
	;;#ASMSTART
	v_pk_add_f16 v1, v1, v2;

	;;#ASMEND
	;;#ASMSTART
	v_pk_add_f16 v1, v1, v3;

	;;#ASMEND
	;;#ASMSTART
	v_pk_add_f16 v1, v1, v4;

	;;#ASMEND
	v_and_b32_e32 v2, 0xffff, v1
	v_lshrrev_b32_e32 v1, 16, v1
	;;#ASMSTART
	v_cvt_f32_f16 v68, v2;
	;;#ASMEND
	;;#ASMSTART
	v_cvt_f32_f16 v69, v1;
	;;#ASMEND
	global_load_dwordx4 v[1:4], v[9:10], off offset:1536
	s_waitcnt vmcnt(0)
	v_lshrrev_b32_e32 v70, 16, v1
	v_lshrrev_b32_e32 v10, 16, v2
	;; [unrolled: 1-line block ×3, first 2 shown]
	s_and_saveexec_b32 s13, s0
	s_cbranch_execz .LBB104_50
; %bb.49:                               ;   in Loop: Header=BB104_26 Depth=1
	v_cmp_gt_i32_e32 vcc_lo, s11, v43
	v_and_b32_e32 v71, 0xffff0000, v4
	v_cmp_gt_i32_e64 s1, s11, v42
	v_cndmask_b32_e32 v1, 0, v1, vcc_lo
	v_cmp_gt_i32_e32 vcc_lo, s11, v47
	v_cndmask_b32_e64 v2, 0, v2, s1
	v_cmp_gt_i32_e64 s1, s11, v40
	v_cndmask_b32_e32 v70, 0, v70, vcc_lo
	v_cmp_gt_i32_e32 vcc_lo, s11, v46
	v_cndmask_b32_e64 v10, 0, v10, s1
	v_cndmask_b32_sdwa v4, v29, v4, vcc_lo dst_sel:DWORD dst_unused:UNUSED_PAD src0_sel:DWORD src1_sel:WORD_0
	v_cmp_gt_i32_e32 vcc_lo, s11, v32
	v_cndmask_b32_e32 v71, 0, v71, vcc_lo
	v_cmp_gt_i32_e32 vcc_lo, s11, v36
	v_or_b32_e32 v4, v4, v71
	v_cndmask_b32_e32 v3, 0, v3, vcc_lo
	v_cmp_gt_i32_e32 vcc_lo, s11, v35
	v_cndmask_b32_e32 v9, 0, v9, vcc_lo
.LBB104_50:                             ;   in Loop: Header=BB104_26 Depth=1
	s_or_b32 exec_lo, exec_lo, s13
	v_lshlrev_b32_e32 v70, 16, v70
	v_lshlrev_b32_e32 v10, 16, v10
	;; [unrolled: 1-line block ×3, first 2 shown]
	v_add_co_u32 v7, vcc_lo, 0x1800, v7
	v_and_or_b32 v1, 0xffff, v1, v70
	v_and_or_b32 v2, 0xffff, v2, v10
	;; [unrolled: 1-line block ×3, first 2 shown]
	;;#ASMSTART
	v_pk_mul_f16 v1, v38, v1;

	;;#ASMEND
	v_add_co_ci_u32_e64 v8, null, 0, v8, vcc_lo
	;;#ASMSTART
	v_pk_mul_f16 v2, v37, v2;

	;;#ASMEND
	;;#ASMSTART
	v_pk_mul_f16 v3, v39, v3;

	;;#ASMEND
	;; [unrolled: 4-line block ×3, first 2 shown]
	;;#ASMSTART
	v_pk_add_f16 v1, v1, v2;

	;;#ASMEND
	;;#ASMSTART
	v_pk_add_f16 v1, v1, v3;

	;;#ASMEND
	;; [unrolled: 4-line block ×3, first 2 shown]
	v_lshrrev_b32_e32 v2, 16, v1
	v_and_b32_e32 v1, 0xffff, v1
	;;#ASMSTART
	v_cvt_f32_f16 v9, v1;
	;;#ASMEND
	;;#ASMSTART
	v_cvt_f32_f16 v10, v2;
	;;#ASMEND
	global_load_dwordx4 v[1:4], v[7:8], off
	s_waitcnt vmcnt(0)
	v_lshrrev_b32_e32 v72, 16, v1
	v_lshrrev_b32_e32 v71, 16, v2
	;; [unrolled: 1-line block ×3, first 2 shown]
	s_and_saveexec_b32 s13, s0
	s_cbranch_execz .LBB104_52
; %bb.51:                               ;   in Loop: Header=BB104_26 Depth=1
	v_cmp_gt_i32_e32 vcc_lo, s11, v43
	v_and_b32_e32 v73, 0xffff0000, v4
	v_cmp_gt_i32_e64 s1, s11, v42
	v_cndmask_b32_e32 v1, 0, v1, vcc_lo
	v_cmp_gt_i32_e32 vcc_lo, s11, v47
	v_cndmask_b32_e64 v2, 0, v2, s1
	v_cmp_gt_i32_e64 s1, s11, v40
	v_cndmask_b32_e32 v72, 0, v72, vcc_lo
	v_cmp_gt_i32_e32 vcc_lo, s11, v46
	v_cndmask_b32_e64 v71, 0, v71, s1
	v_cndmask_b32_sdwa v4, v29, v4, vcc_lo dst_sel:DWORD dst_unused:UNUSED_PAD src0_sel:DWORD src1_sel:WORD_0
	v_cmp_gt_i32_e32 vcc_lo, s11, v32
	v_cndmask_b32_e32 v73, 0, v73, vcc_lo
	v_cmp_gt_i32_e32 vcc_lo, s11, v36
	v_or_b32_e32 v4, v4, v73
	v_cndmask_b32_e32 v3, 0, v3, vcc_lo
	v_cmp_gt_i32_e32 vcc_lo, s11, v35
	v_cndmask_b32_e32 v70, 0, v70, vcc_lo
.LBB104_52:                             ;   in Loop: Header=BB104_26 Depth=1
	s_or_b32 exec_lo, exec_lo, s13
	v_lshlrev_b32_e32 v72, 16, v72
	v_lshlrev_b32_e32 v71, 16, v71
	;; [unrolled: 1-line block ×3, first 2 shown]
	v_and_or_b32 v1, 0xffff, v1, v72
	v_and_or_b32 v2, 0xffff, v2, v71
	v_and_or_b32 v3, 0xffff, v3, v70
	;;#ASMSTART
	v_pk_mul_f16 v1, v38, v1;

	;;#ASMEND
	;;#ASMSTART
	v_pk_mul_f16 v2, v37, v2;

	;;#ASMEND
	;; [unrolled: 4-line block ×4, first 2 shown]
	;;#ASMSTART
	v_pk_add_f16 v1, v1, v2;

	;;#ASMEND
	;;#ASMSTART
	v_pk_add_f16 v1, v1, v3;

	;;#ASMEND
	;; [unrolled: 4-line block ×3, first 2 shown]
	v_and_b32_e32 v2, 0xffff, v1
	v_lshrrev_b32_e32 v1, 16, v1
	;;#ASMSTART
	v_cvt_f32_f16 v70, v2;
	;;#ASMEND
	;;#ASMSTART
	v_cvt_f32_f16 v71, v1;
	;;#ASMEND
	global_load_dwordx4 v[1:4], v[7:8], off offset:512
	s_waitcnt vmcnt(0)
	v_lshrrev_b32_e32 v74, 16, v1
	v_lshrrev_b32_e32 v73, 16, v2
	;; [unrolled: 1-line block ×3, first 2 shown]
	s_and_saveexec_b32 s13, s0
	s_cbranch_execz .LBB104_54
; %bb.53:                               ;   in Loop: Header=BB104_26 Depth=1
	v_cmp_gt_i32_e32 vcc_lo, s11, v43
	v_and_b32_e32 v75, 0xffff0000, v4
	v_cmp_gt_i32_e64 s1, s11, v42
	v_cndmask_b32_e32 v1, 0, v1, vcc_lo
	v_cmp_gt_i32_e32 vcc_lo, s11, v47
	v_cndmask_b32_e64 v2, 0, v2, s1
	v_cmp_gt_i32_e64 s1, s11, v40
	v_cndmask_b32_e32 v74, 0, v74, vcc_lo
	v_cmp_gt_i32_e32 vcc_lo, s11, v46
	v_cndmask_b32_e64 v73, 0, v73, s1
	v_cndmask_b32_sdwa v4, v29, v4, vcc_lo dst_sel:DWORD dst_unused:UNUSED_PAD src0_sel:DWORD src1_sel:WORD_0
	v_cmp_gt_i32_e32 vcc_lo, s11, v32
	v_cndmask_b32_e32 v75, 0, v75, vcc_lo
	v_cmp_gt_i32_e32 vcc_lo, s11, v36
	v_or_b32_e32 v4, v4, v75
	v_cndmask_b32_e32 v3, 0, v3, vcc_lo
	v_cmp_gt_i32_e32 vcc_lo, s11, v35
	v_cndmask_b32_e32 v72, 0, v72, vcc_lo
.LBB104_54:                             ;   in Loop: Header=BB104_26 Depth=1
	s_or_b32 exec_lo, exec_lo, s13
	v_lshlrev_b32_e32 v74, 16, v74
	v_lshlrev_b32_e32 v73, 16, v73
	;; [unrolled: 1-line block ×3, first 2 shown]
	v_and_or_b32 v1, 0xffff, v1, v74
	v_and_or_b32 v2, 0xffff, v2, v73
	;; [unrolled: 1-line block ×3, first 2 shown]
	;;#ASMSTART
	v_pk_mul_f16 v1, v38, v1;

	;;#ASMEND
	;;#ASMSTART
	v_pk_mul_f16 v2, v37, v2;

	;;#ASMEND
	;; [unrolled: 4-line block ×4, first 2 shown]
	;;#ASMSTART
	v_pk_add_f16 v1, v1, v2;

	;;#ASMEND
	;;#ASMSTART
	v_pk_add_f16 v1, v1, v3;

	;;#ASMEND
	;; [unrolled: 4-line block ×3, first 2 shown]
	v_and_b32_e32 v2, 0xffff, v1
	v_lshrrev_b32_e32 v1, 16, v1
	;;#ASMSTART
	v_cvt_f32_f16 v73, v2;
	;;#ASMEND
	;;#ASMSTART
	v_cvt_f32_f16 v74, v1;
	;;#ASMEND
	global_load_dwordx4 v[1:4], v[7:8], off offset:1024
	s_waitcnt vmcnt(0)
	v_lshrrev_b32_e32 v72, 16, v1
	v_lshrrev_b32_e32 v8, 16, v2
	;; [unrolled: 1-line block ×3, first 2 shown]
	s_and_saveexec_b32 s1, s0
	s_cbranch_execz .LBB104_25
; %bb.55:                               ;   in Loop: Header=BB104_26 Depth=1
	v_cmp_gt_i32_e32 vcc_lo, s11, v43
	v_cmp_gt_i32_e64 s0, s11, v42
	v_cndmask_b32_e32 v1, 0, v1, vcc_lo
	v_cmp_gt_i32_e32 vcc_lo, s11, v47
	v_cndmask_b32_e64 v2, 0, v2, s0
	v_cmp_gt_i32_e64 s0, s11, v40
	v_and_b32_e32 v40, 0xffff0000, v4
	v_cndmask_b32_e32 v72, 0, v72, vcc_lo
	v_cmp_gt_i32_e32 vcc_lo, s11, v46
	v_cndmask_b32_e64 v8, 0, v8, s0
	v_cndmask_b32_sdwa v4, v29, v4, vcc_lo dst_sel:DWORD dst_unused:UNUSED_PAD src0_sel:DWORD src1_sel:WORD_0
	v_cmp_gt_i32_e32 vcc_lo, s11, v32
	v_cndmask_b32_e32 v40, 0, v40, vcc_lo
	v_cmp_gt_i32_e32 vcc_lo, s11, v36
	v_or_b32_e32 v4, v4, v40
	v_cndmask_b32_e32 v3, 0, v3, vcc_lo
	v_cmp_gt_i32_e32 vcc_lo, s11, v35
	v_cndmask_b32_e32 v7, 0, v7, vcc_lo
	s_branch .LBB104_25
.LBB104_56:
	s_or_b32 exec_lo, exec_lo, s4
.LBB104_57:
	s_or_b32 exec_lo, exec_lo, s2
	ds_bpermute_b32 v2, v12, v28
	ds_bpermute_b32 v30, v12, v17
	ds_bpermute_b32 v1, v12, v26
	ds_bpermute_b32 v3, v12, v27
	ds_bpermute_b32 v4, v12, v25
	ds_bpermute_b32 v5, v12, v24
	ds_bpermute_b32 v6, v12, v23
	ds_bpermute_b32 v7, v12, v22
	ds_bpermute_b32 v8, v12, v21
	ds_bpermute_b32 v9, v12, v20
	ds_bpermute_b32 v10, v12, v19
	ds_bpermute_b32 v29, v12, v18
	ds_bpermute_b32 v31, v12, v16
	ds_bpermute_b32 v32, v12, v15
	ds_bpermute_b32 v12, v12, v14
	s_mov_b32 s0, exec_lo
	s_waitcnt lgkmcnt(0)
	s_barrier
	buffer_gl0_inv
	v_add_f32_e32 v2, v28, v2
	v_add_f32_e32 v17, v17, v30
	;; [unrolled: 1-line block ×8, first 2 shown]
	ds_bpermute_b32 v23, v11, v2
	v_add_f32_e32 v8, v21, v8
	v_add_f32_e32 v20, v20, v9
	;; [unrolled: 1-line block ×6, first 2 shown]
	ds_bpermute_b32 v33, v11, v17
	v_add_f32_e32 v34, v14, v12
	ds_bpermute_b32 v22, v11, v1
	ds_bpermute_b32 v24, v11, v3
	;; [unrolled: 1-line block ×13, first 2 shown]
	s_waitcnt lgkmcnt(14)
	v_add_f32_e32 v15, v2, v23
	s_waitcnt lgkmcnt(13)
	v_add_f32_e32 v2, v17, v33
	v_and_b32_e32 v17, 28, v64
	s_waitcnt lgkmcnt(12)
	v_add_f32_e32 v16, v1, v22
	s_waitcnt lgkmcnt(11)
	v_add_f32_e32 v14, v3, v24
	;; [unrolled: 2-line block ×12, first 2 shown]
	v_and_b32_e32 v20, 0x3c3, v0
	s_waitcnt lgkmcnt(0)
	v_add_f32_e32 v5, v34, v37
	v_lshrrev_b32_e32 v18, 2, v64
	v_add_nc_u32_e32 v17, 0x110, v17
	v_mul_u32_u24_e32 v19, 0x1e0, v63
	v_cmpx_eq_u32_e32 64, v20
	s_cbranch_execz .LBB104_59
; %bb.58:
	v_add_nc_u32_e32 v20, v17, v19
	v_add_nc_u32_e32 v21, 0xfffffc40, v20
	;; [unrolled: 1-line block ×6, first 2 shown]
	ds_write_b32 v21, v16
	ds_write_b32 v22, v15
	;; [unrolled: 1-line block ×5, first 2 shown]
	v_add_nc_u32_e32 v21, 0xfffffce0, v20
	v_add_nc_u32_e32 v22, 0xfffffd00, v20
	;; [unrolled: 1-line block ×5, first 2 shown]
	ds_write_b32 v21, v10
	ds_write_b32 v22, v9
	ds_write_b32 v23, v8
	ds_write_b32 v24, v7
	ds_write_b32 v25, v6
	v_add_nc_u32_e32 v21, 0xfffffd80, v20
	v_add_nc_u32_e32 v22, 0xfffffda0, v20
	;; [unrolled: 1-line block ×5, first 2 shown]
	ds_write_b32 v21, v3
	ds_write_b32 v22, v2
	;; [unrolled: 1-line block ×5, first 2 shown]
.LBB104_59:
	s_or_b32 exec_lo, exec_lo, s0
	v_lshlrev_b32_e32 v18, 2, v18
	v_cmp_eq_u32_e32 vcc_lo, 0, v13
	s_mov_b32 s1, exec_lo
	s_waitcnt lgkmcnt(0)
	s_barrier
	v_add3_u32 v13, 0x110, v19, v18
	buffer_gl0_inv
	v_cmpx_gt_u32_e32 64, v0
	s_cbranch_execz .LBB104_77
; %bb.60:
	s_and_saveexec_b32 s0, vcc_lo
	s_cbranch_execnz .LBB104_100
; %bb.61:
	s_or_b32 exec_lo, exec_lo, s0
	s_and_saveexec_b32 s0, vcc_lo
	s_cbranch_execnz .LBB104_101
.LBB104_62:
	s_or_b32 exec_lo, exec_lo, s0
	s_and_saveexec_b32 s0, vcc_lo
	s_cbranch_execnz .LBB104_102
.LBB104_63:
	s_or_b32 exec_lo, exec_lo, s0
	s_and_saveexec_b32 s0, vcc_lo
	s_cbranch_execnz .LBB104_103
.LBB104_64:
	s_or_b32 exec_lo, exec_lo, s0
	s_and_saveexec_b32 s0, vcc_lo
	s_cbranch_execnz .LBB104_104
.LBB104_65:
	s_or_b32 exec_lo, exec_lo, s0
	s_and_saveexec_b32 s0, vcc_lo
	s_cbranch_execnz .LBB104_105
.LBB104_66:
	s_or_b32 exec_lo, exec_lo, s0
	s_and_saveexec_b32 s0, vcc_lo
	s_cbranch_execnz .LBB104_106
.LBB104_67:
	s_or_b32 exec_lo, exec_lo, s0
	s_and_saveexec_b32 s0, vcc_lo
	s_cbranch_execnz .LBB104_107
.LBB104_68:
	s_or_b32 exec_lo, exec_lo, s0
	s_and_saveexec_b32 s0, vcc_lo
	s_cbranch_execnz .LBB104_108
.LBB104_69:
	s_or_b32 exec_lo, exec_lo, s0
	s_and_saveexec_b32 s0, vcc_lo
	s_cbranch_execnz .LBB104_109
.LBB104_70:
	s_or_b32 exec_lo, exec_lo, s0
	s_and_saveexec_b32 s0, vcc_lo
	s_cbranch_execnz .LBB104_110
.LBB104_71:
	s_or_b32 exec_lo, exec_lo, s0
	s_and_saveexec_b32 s0, vcc_lo
	s_cbranch_execnz .LBB104_111
.LBB104_72:
	s_or_b32 exec_lo, exec_lo, s0
	s_and_saveexec_b32 s0, vcc_lo
	s_cbranch_execnz .LBB104_112
.LBB104_73:
	s_or_b32 exec_lo, exec_lo, s0
	s_and_saveexec_b32 s0, vcc_lo
	s_cbranch_execnz .LBB104_113
.LBB104_74:
	s_or_b32 exec_lo, exec_lo, s0
	s_and_saveexec_b32 s0, vcc_lo
	s_cbranch_execz .LBB104_76
.LBB104_75:
	ds_read_b32 v18, v13 offset:448
	s_waitcnt lgkmcnt(0)
	v_add_f32_e32 v5, v5, v18
.LBB104_76:
	s_or_b32 exec_lo, exec_lo, s0
.LBB104_77:
	s_or_b32 exec_lo, exec_lo, s1
	v_and_b32_e32 v18, 0x3e3, v0
	s_mov_b32 s1, exec_lo
	s_barrier
	buffer_gl0_inv
	v_cmpx_eq_u32_e32 32, v18
	s_cbranch_execz .LBB104_79
; %bb.78:
	ds_write2_b32 v17, v16, v15 offset1:8
	ds_write2_b32 v17, v14, v12 offset0:16 offset1:24
	ds_write2_b32 v17, v11, v10 offset0:32 offset1:40
	;; [unrolled: 1-line block ×6, first 2 shown]
	ds_write_b32 v17, v5 offset:448
.LBB104_79:
	s_or_b32 exec_lo, exec_lo, s1
	s_mov_b32 s1, exec_lo
	s_waitcnt lgkmcnt(0)
	s_barrier
	buffer_gl0_inv
	v_cmpx_gt_u32_e32 32, v0
	s_cbranch_execz .LBB104_97
; %bb.80:
	s_and_saveexec_b32 s0, vcc_lo
	s_cbranch_execnz .LBB104_114
; %bb.81:
	s_or_b32 exec_lo, exec_lo, s0
	s_and_saveexec_b32 s0, vcc_lo
	s_cbranch_execnz .LBB104_115
.LBB104_82:
	s_or_b32 exec_lo, exec_lo, s0
	s_and_saveexec_b32 s0, vcc_lo
	s_cbranch_execnz .LBB104_116
.LBB104_83:
	s_or_b32 exec_lo, exec_lo, s0
	s_and_saveexec_b32 s0, vcc_lo
	s_cbranch_execnz .LBB104_117
.LBB104_84:
	s_or_b32 exec_lo, exec_lo, s0
	s_and_saveexec_b32 s0, vcc_lo
	s_cbranch_execnz .LBB104_118
.LBB104_85:
	s_or_b32 exec_lo, exec_lo, s0
	s_and_saveexec_b32 s0, vcc_lo
	s_cbranch_execnz .LBB104_119
.LBB104_86:
	s_or_b32 exec_lo, exec_lo, s0
	s_and_saveexec_b32 s0, vcc_lo
	s_cbranch_execnz .LBB104_120
.LBB104_87:
	s_or_b32 exec_lo, exec_lo, s0
	s_and_saveexec_b32 s0, vcc_lo
	s_cbranch_execnz .LBB104_121
.LBB104_88:
	s_or_b32 exec_lo, exec_lo, s0
	s_and_saveexec_b32 s0, vcc_lo
	s_cbranch_execnz .LBB104_122
.LBB104_89:
	s_or_b32 exec_lo, exec_lo, s0
	s_and_saveexec_b32 s0, vcc_lo
	s_cbranch_execnz .LBB104_123
.LBB104_90:
	s_or_b32 exec_lo, exec_lo, s0
	s_and_saveexec_b32 s0, vcc_lo
	s_cbranch_execnz .LBB104_124
.LBB104_91:
	s_or_b32 exec_lo, exec_lo, s0
	s_and_saveexec_b32 s0, vcc_lo
	s_cbranch_execnz .LBB104_125
.LBB104_92:
	s_or_b32 exec_lo, exec_lo, s0
	s_and_saveexec_b32 s0, vcc_lo
	s_cbranch_execnz .LBB104_126
.LBB104_93:
	s_or_b32 exec_lo, exec_lo, s0
	s_and_saveexec_b32 s0, vcc_lo
	s_cbranch_execnz .LBB104_127
.LBB104_94:
	s_or_b32 exec_lo, exec_lo, s0
	s_and_saveexec_b32 s0, vcc_lo
	s_cbranch_execz .LBB104_96
.LBB104_95:
	ds_read_b32 v13, v13 offset:448
	s_waitcnt lgkmcnt(0)
	v_add_f32_e32 v5, v5, v13
.LBB104_96:
	s_or_b32 exec_lo, exec_lo, s0
.LBB104_97:
	s_or_b32 exec_lo, exec_lo, s1
	s_barrier
	buffer_gl0_inv
	s_mov_b32 s0, exec_lo
	v_cmpx_eq_u32_e32 0, v18
	s_cbranch_execz .LBB104_99
; %bb.98:
	s_mul_i32 s0, s10, s7
	s_mul_i32 s2, s7, s6
	;; [unrolled: 1-line block ×3, first 2 shown]
	v_lshrrev_b32_e32 v0, 1, v0
	s_mulk_i32 s0, 0x78
	;;#ASMSTART
	v_cvt_f16_f32 v13, v16;

	;;#ASMEND
	s_ashr_i32 s1, s0, 31
	s_lshl_b64 s[0:1], s[0:1], 1
	s_add_u32 s4, s16, s0
	s_addc_u32 s5, s17, s1
	s_ashr_i32 s3, s2, 31
	s_lshl_b64 s[0:1], s[2:3], 1
	s_mul_i32 s2, s8, 0x78
	s_add_u32 s4, s4, s0
	s_addc_u32 s5, s5, s1
	s_ashr_i32 s3, s2, 31
	s_lshl_b64 s[0:1], s[2:3], 1
	s_add_u32 s0, s4, s0
	s_addc_u32 s1, s5, s1
	global_store_short v0, v13, s[0:1]
	;;#ASMSTART
	v_cvt_f16_f32 v13, v15;

	;;#ASMEND
	global_store_short v0, v13, s[0:1] offset:16
	;;#ASMSTART
	v_cvt_f16_f32 v13, v14;

	;;#ASMEND
	global_store_short v0, v13, s[0:1] offset:32
	;; [unrolled: 5-line block ×14, first 2 shown]
.LBB104_99:
	s_endpgm
.LBB104_100:
	ds_read_b32 v18, v13
	s_waitcnt lgkmcnt(0)
	v_add_f32_e32 v16, v16, v18
	s_or_b32 exec_lo, exec_lo, s0
	s_and_saveexec_b32 s0, vcc_lo
	s_cbranch_execz .LBB104_62
.LBB104_101:
	ds_read_b32 v18, v13 offset:32
	s_waitcnt lgkmcnt(0)
	v_add_f32_e32 v15, v15, v18
	s_or_b32 exec_lo, exec_lo, s0
	s_and_saveexec_b32 s0, vcc_lo
	s_cbranch_execz .LBB104_63
.LBB104_102:
	ds_read_b32 v18, v13 offset:64
	s_waitcnt lgkmcnt(0)
	v_add_f32_e32 v14, v14, v18
	s_or_b32 exec_lo, exec_lo, s0
	s_and_saveexec_b32 s0, vcc_lo
	s_cbranch_execz .LBB104_64
.LBB104_103:
	ds_read_b32 v18, v13 offset:96
	s_waitcnt lgkmcnt(0)
	v_add_f32_e32 v12, v12, v18
	s_or_b32 exec_lo, exec_lo, s0
	s_and_saveexec_b32 s0, vcc_lo
	s_cbranch_execz .LBB104_65
.LBB104_104:
	ds_read_b32 v18, v13 offset:128
	s_waitcnt lgkmcnt(0)
	v_add_f32_e32 v11, v11, v18
	s_or_b32 exec_lo, exec_lo, s0
	s_and_saveexec_b32 s0, vcc_lo
	s_cbranch_execz .LBB104_66
.LBB104_105:
	ds_read_b32 v18, v13 offset:160
	s_waitcnt lgkmcnt(0)
	v_add_f32_e32 v10, v10, v18
	s_or_b32 exec_lo, exec_lo, s0
	s_and_saveexec_b32 s0, vcc_lo
	s_cbranch_execz .LBB104_67
.LBB104_106:
	ds_read_b32 v18, v13 offset:192
	s_waitcnt lgkmcnt(0)
	v_add_f32_e32 v9, v9, v18
	s_or_b32 exec_lo, exec_lo, s0
	s_and_saveexec_b32 s0, vcc_lo
	s_cbranch_execz .LBB104_68
.LBB104_107:
	ds_read_b32 v18, v13 offset:224
	s_waitcnt lgkmcnt(0)
	v_add_f32_e32 v8, v8, v18
	s_or_b32 exec_lo, exec_lo, s0
	s_and_saveexec_b32 s0, vcc_lo
	s_cbranch_execz .LBB104_69
.LBB104_108:
	ds_read_b32 v18, v13 offset:256
	s_waitcnt lgkmcnt(0)
	v_add_f32_e32 v7, v7, v18
	s_or_b32 exec_lo, exec_lo, s0
	s_and_saveexec_b32 s0, vcc_lo
	s_cbranch_execz .LBB104_70
.LBB104_109:
	ds_read_b32 v18, v13 offset:288
	s_waitcnt lgkmcnt(0)
	v_add_f32_e32 v6, v6, v18
	s_or_b32 exec_lo, exec_lo, s0
	s_and_saveexec_b32 s0, vcc_lo
	s_cbranch_execz .LBB104_71
.LBB104_110:
	ds_read_b32 v18, v13 offset:320
	s_waitcnt lgkmcnt(0)
	v_add_f32_e32 v3, v3, v18
	s_or_b32 exec_lo, exec_lo, s0
	s_and_saveexec_b32 s0, vcc_lo
	s_cbranch_execz .LBB104_72
.LBB104_111:
	ds_read_b32 v18, v13 offset:352
	s_waitcnt lgkmcnt(0)
	v_add_f32_e32 v2, v2, v18
	s_or_b32 exec_lo, exec_lo, s0
	s_and_saveexec_b32 s0, vcc_lo
	s_cbranch_execz .LBB104_73
.LBB104_112:
	ds_read_b32 v18, v13 offset:384
	s_waitcnt lgkmcnt(0)
	v_add_f32_e32 v1, v1, v18
	s_or_b32 exec_lo, exec_lo, s0
	s_and_saveexec_b32 s0, vcc_lo
	s_cbranch_execz .LBB104_74
.LBB104_113:
	ds_read_b32 v18, v13 offset:416
	s_waitcnt lgkmcnt(0)
	v_add_f32_e32 v4, v4, v18
	s_or_b32 exec_lo, exec_lo, s0
	s_and_saveexec_b32 s0, vcc_lo
	s_cbranch_execnz .LBB104_75
	s_branch .LBB104_76
.LBB104_114:
	ds_read_b32 v17, v13
	s_waitcnt lgkmcnt(0)
	v_add_f32_e32 v16, v16, v17
	s_or_b32 exec_lo, exec_lo, s0
	s_and_saveexec_b32 s0, vcc_lo
	s_cbranch_execz .LBB104_82
.LBB104_115:
	ds_read_b32 v17, v13 offset:32
	s_waitcnt lgkmcnt(0)
	v_add_f32_e32 v15, v15, v17
	s_or_b32 exec_lo, exec_lo, s0
	s_and_saveexec_b32 s0, vcc_lo
	s_cbranch_execz .LBB104_83
.LBB104_116:
	ds_read_b32 v17, v13 offset:64
	s_waitcnt lgkmcnt(0)
	v_add_f32_e32 v14, v14, v17
	s_or_b32 exec_lo, exec_lo, s0
	s_and_saveexec_b32 s0, vcc_lo
	s_cbranch_execz .LBB104_84
.LBB104_117:
	ds_read_b32 v17, v13 offset:96
	s_waitcnt lgkmcnt(0)
	v_add_f32_e32 v12, v12, v17
	s_or_b32 exec_lo, exec_lo, s0
	s_and_saveexec_b32 s0, vcc_lo
	s_cbranch_execz .LBB104_85
.LBB104_118:
	ds_read_b32 v17, v13 offset:128
	s_waitcnt lgkmcnt(0)
	v_add_f32_e32 v11, v11, v17
	s_or_b32 exec_lo, exec_lo, s0
	s_and_saveexec_b32 s0, vcc_lo
	s_cbranch_execz .LBB104_86
.LBB104_119:
	ds_read_b32 v17, v13 offset:160
	s_waitcnt lgkmcnt(0)
	v_add_f32_e32 v10, v10, v17
	s_or_b32 exec_lo, exec_lo, s0
	s_and_saveexec_b32 s0, vcc_lo
	s_cbranch_execz .LBB104_87
.LBB104_120:
	ds_read_b32 v17, v13 offset:192
	s_waitcnt lgkmcnt(0)
	v_add_f32_e32 v9, v9, v17
	s_or_b32 exec_lo, exec_lo, s0
	s_and_saveexec_b32 s0, vcc_lo
	s_cbranch_execz .LBB104_88
.LBB104_121:
	ds_read_b32 v17, v13 offset:224
	s_waitcnt lgkmcnt(0)
	v_add_f32_e32 v8, v8, v17
	s_or_b32 exec_lo, exec_lo, s0
	s_and_saveexec_b32 s0, vcc_lo
	s_cbranch_execz .LBB104_89
.LBB104_122:
	ds_read_b32 v17, v13 offset:256
	s_waitcnt lgkmcnt(0)
	v_add_f32_e32 v7, v7, v17
	s_or_b32 exec_lo, exec_lo, s0
	s_and_saveexec_b32 s0, vcc_lo
	s_cbranch_execz .LBB104_90
.LBB104_123:
	ds_read_b32 v17, v13 offset:288
	s_waitcnt lgkmcnt(0)
	v_add_f32_e32 v6, v6, v17
	s_or_b32 exec_lo, exec_lo, s0
	s_and_saveexec_b32 s0, vcc_lo
	s_cbranch_execz .LBB104_91
.LBB104_124:
	ds_read_b32 v17, v13 offset:320
	s_waitcnt lgkmcnt(0)
	v_add_f32_e32 v3, v3, v17
	s_or_b32 exec_lo, exec_lo, s0
	s_and_saveexec_b32 s0, vcc_lo
	s_cbranch_execz .LBB104_92
.LBB104_125:
	ds_read_b32 v17, v13 offset:352
	s_waitcnt lgkmcnt(0)
	v_add_f32_e32 v2, v2, v17
	s_or_b32 exec_lo, exec_lo, s0
	s_and_saveexec_b32 s0, vcc_lo
	s_cbranch_execz .LBB104_93
.LBB104_126:
	ds_read_b32 v17, v13 offset:384
	s_waitcnt lgkmcnt(0)
	v_add_f32_e32 v1, v1, v17
	s_or_b32 exec_lo, exec_lo, s0
	s_and_saveexec_b32 s0, vcc_lo
	s_cbranch_execz .LBB104_94
.LBB104_127:
	ds_read_b32 v17, v13 offset:416
	s_waitcnt lgkmcnt(0)
	v_add_f32_e32 v4, v4, v17
	s_or_b32 exec_lo, exec_lo, s0
	s_and_saveexec_b32 s0, vcc_lo
	s_cbranch_execnz .LBB104_95
	s_branch .LBB104_96
	.section	.rodata,"a",@progbits
	.p2align	6, 0x0
	.amdhsa_kernel _ZN4vllm25paged_attention_v1_kernelIttLi120ELi32ELi128ELNS_18Fp8KVCacheDataTypeE0ELb0EEEvPT_PKS2_PKT0_S8_ifPKiSA_iPKfiiiSC_SC_iiiii
		.amdhsa_group_segment_fixed_size 272
		.amdhsa_private_segment_fixed_size 0
		.amdhsa_kernarg_size 384
		.amdhsa_user_sgpr_count 6
		.amdhsa_user_sgpr_private_segment_buffer 1
		.amdhsa_user_sgpr_dispatch_ptr 0
		.amdhsa_user_sgpr_queue_ptr 0
		.amdhsa_user_sgpr_kernarg_segment_ptr 1
		.amdhsa_user_sgpr_dispatch_id 0
		.amdhsa_user_sgpr_flat_scratch_init 0
		.amdhsa_user_sgpr_private_segment_size 0
		.amdhsa_wavefront_size32 1
		.amdhsa_uses_dynamic_stack 0
		.amdhsa_system_sgpr_private_segment_wavefront_offset 0
		.amdhsa_system_sgpr_workgroup_id_x 1
		.amdhsa_system_sgpr_workgroup_id_y 1
		.amdhsa_system_sgpr_workgroup_id_z 1
		.amdhsa_system_sgpr_workgroup_info 0
		.amdhsa_system_vgpr_workitem_id 0
		.amdhsa_next_free_vgpr 94
		.amdhsa_next_free_sgpr 28
		.amdhsa_reserve_vcc 1
		.amdhsa_reserve_flat_scratch 0
		.amdhsa_float_round_mode_32 0
		.amdhsa_float_round_mode_16_64 0
		.amdhsa_float_denorm_mode_32 3
		.amdhsa_float_denorm_mode_16_64 3
		.amdhsa_dx10_clamp 1
		.amdhsa_ieee_mode 1
		.amdhsa_fp16_overflow 0
		.amdhsa_workgroup_processor_mode 1
		.amdhsa_memory_ordered 1
		.amdhsa_forward_progress 1
		.amdhsa_shared_vgpr_count 0
		.amdhsa_exception_fp_ieee_invalid_op 0
		.amdhsa_exception_fp_denorm_src 0
		.amdhsa_exception_fp_ieee_div_zero 0
		.amdhsa_exception_fp_ieee_overflow 0
		.amdhsa_exception_fp_ieee_underflow 0
		.amdhsa_exception_fp_ieee_inexact 0
		.amdhsa_exception_int_div_zero 0
	.end_amdhsa_kernel
	.section	.text._ZN4vllm25paged_attention_v1_kernelIttLi120ELi32ELi128ELNS_18Fp8KVCacheDataTypeE0ELb0EEEvPT_PKS2_PKT0_S8_ifPKiSA_iPKfiiiSC_SC_iiiii,"axG",@progbits,_ZN4vllm25paged_attention_v1_kernelIttLi120ELi32ELi128ELNS_18Fp8KVCacheDataTypeE0ELb0EEEvPT_PKS2_PKT0_S8_ifPKiSA_iPKfiiiSC_SC_iiiii,comdat
.Lfunc_end104:
	.size	_ZN4vllm25paged_attention_v1_kernelIttLi120ELi32ELi128ELNS_18Fp8KVCacheDataTypeE0ELb0EEEvPT_PKS2_PKT0_S8_ifPKiSA_iPKfiiiSC_SC_iiiii, .Lfunc_end104-_ZN4vllm25paged_attention_v1_kernelIttLi120ELi32ELi128ELNS_18Fp8KVCacheDataTypeE0ELb0EEEvPT_PKS2_PKT0_S8_ifPKiSA_iPKfiiiSC_SC_iiiii
                                        ; -- End function
	.set _ZN4vllm25paged_attention_v1_kernelIttLi120ELi32ELi128ELNS_18Fp8KVCacheDataTypeE0ELb0EEEvPT_PKS2_PKT0_S8_ifPKiSA_iPKfiiiSC_SC_iiiii.num_vgpr, 94
	.set _ZN4vllm25paged_attention_v1_kernelIttLi120ELi32ELi128ELNS_18Fp8KVCacheDataTypeE0ELb0EEEvPT_PKS2_PKT0_S8_ifPKiSA_iPKfiiiSC_SC_iiiii.num_agpr, 0
	.set _ZN4vllm25paged_attention_v1_kernelIttLi120ELi32ELi128ELNS_18Fp8KVCacheDataTypeE0ELb0EEEvPT_PKS2_PKT0_S8_ifPKiSA_iPKfiiiSC_SC_iiiii.numbered_sgpr, 28
	.set _ZN4vllm25paged_attention_v1_kernelIttLi120ELi32ELi128ELNS_18Fp8KVCacheDataTypeE0ELb0EEEvPT_PKS2_PKT0_S8_ifPKiSA_iPKfiiiSC_SC_iiiii.num_named_barrier, 0
	.set _ZN4vllm25paged_attention_v1_kernelIttLi120ELi32ELi128ELNS_18Fp8KVCacheDataTypeE0ELb0EEEvPT_PKS2_PKT0_S8_ifPKiSA_iPKfiiiSC_SC_iiiii.private_seg_size, 0
	.set _ZN4vllm25paged_attention_v1_kernelIttLi120ELi32ELi128ELNS_18Fp8KVCacheDataTypeE0ELb0EEEvPT_PKS2_PKT0_S8_ifPKiSA_iPKfiiiSC_SC_iiiii.uses_vcc, 1
	.set _ZN4vllm25paged_attention_v1_kernelIttLi120ELi32ELi128ELNS_18Fp8KVCacheDataTypeE0ELb0EEEvPT_PKS2_PKT0_S8_ifPKiSA_iPKfiiiSC_SC_iiiii.uses_flat_scratch, 0
	.set _ZN4vllm25paged_attention_v1_kernelIttLi120ELi32ELi128ELNS_18Fp8KVCacheDataTypeE0ELb0EEEvPT_PKS2_PKT0_S8_ifPKiSA_iPKfiiiSC_SC_iiiii.has_dyn_sized_stack, 0
	.set _ZN4vllm25paged_attention_v1_kernelIttLi120ELi32ELi128ELNS_18Fp8KVCacheDataTypeE0ELb0EEEvPT_PKS2_PKT0_S8_ifPKiSA_iPKfiiiSC_SC_iiiii.has_recursion, 0
	.set _ZN4vllm25paged_attention_v1_kernelIttLi120ELi32ELi128ELNS_18Fp8KVCacheDataTypeE0ELb0EEEvPT_PKS2_PKT0_S8_ifPKiSA_iPKfiiiSC_SC_iiiii.has_indirect_call, 0
	.section	.AMDGPU.csdata,"",@progbits
; Kernel info:
; codeLenInByte = 17992
; TotalNumSgprs: 30
; NumVgprs: 94
; ScratchSize: 0
; MemoryBound: 0
; FloatMode: 240
; IeeeMode: 1
; LDSByteSize: 272 bytes/workgroup (compile time only)
; SGPRBlocks: 0
; VGPRBlocks: 11
; NumSGPRsForWavesPerEU: 30
; NumVGPRsForWavesPerEU: 94
; Occupancy: 10
; WaveLimiterHint : 1
; COMPUTE_PGM_RSRC2:SCRATCH_EN: 0
; COMPUTE_PGM_RSRC2:USER_SGPR: 6
; COMPUTE_PGM_RSRC2:TRAP_HANDLER: 0
; COMPUTE_PGM_RSRC2:TGID_X_EN: 1
; COMPUTE_PGM_RSRC2:TGID_Y_EN: 1
; COMPUTE_PGM_RSRC2:TGID_Z_EN: 1
; COMPUTE_PGM_RSRC2:TIDIG_COMP_CNT: 0
	.section	.text._ZN4vllm25paged_attention_v1_kernelIttLi128ELi32ELi128ELNS_18Fp8KVCacheDataTypeE0ELb0EEEvPT_PKS2_PKT0_S8_ifPKiSA_iPKfiiiSC_SC_iiiii,"axG",@progbits,_ZN4vllm25paged_attention_v1_kernelIttLi128ELi32ELi128ELNS_18Fp8KVCacheDataTypeE0ELb0EEEvPT_PKS2_PKT0_S8_ifPKiSA_iPKfiiiSC_SC_iiiii,comdat
	.protected	_ZN4vllm25paged_attention_v1_kernelIttLi128ELi32ELi128ELNS_18Fp8KVCacheDataTypeE0ELb0EEEvPT_PKS2_PKT0_S8_ifPKiSA_iPKfiiiSC_SC_iiiii ; -- Begin function _ZN4vllm25paged_attention_v1_kernelIttLi128ELi32ELi128ELNS_18Fp8KVCacheDataTypeE0ELb0EEEvPT_PKS2_PKT0_S8_ifPKiSA_iPKfiiiSC_SC_iiiii
	.globl	_ZN4vllm25paged_attention_v1_kernelIttLi128ELi32ELi128ELNS_18Fp8KVCacheDataTypeE0ELb0EEEvPT_PKS2_PKT0_S8_ifPKiSA_iPKfiiiSC_SC_iiiii
	.p2align	8
	.type	_ZN4vllm25paged_attention_v1_kernelIttLi128ELi32ELi128ELNS_18Fp8KVCacheDataTypeE0ELb0EEEvPT_PKS2_PKT0_S8_ifPKiSA_iPKfiiiSC_SC_iiiii,@function
_ZN4vllm25paged_attention_v1_kernelIttLi128ELi32ELi128ELNS_18Fp8KVCacheDataTypeE0ELb0EEEvPT_PKS2_PKT0_S8_ifPKiSA_iPKfiiiSC_SC_iiiii: ; @_ZN4vllm25paged_attention_v1_kernelIttLi128ELi32ELi128ELNS_18Fp8KVCacheDataTypeE0ELb0EEEvPT_PKS2_PKT0_S8_ifPKiSA_iPKfiiiSC_SC_iiiii
; %bb.0:
	s_clause 0x2
	s_load_dword s9, s[4:5], 0x80
	s_load_dwordx2 s[0:1], s[4:5], 0x30
	s_load_dwordx2 s[2:3], s[4:5], 0x20
	s_mov_b32 s10, s7
	s_ashr_i32 s11, s7, 31
	s_mov_b32 s24, 0
	s_lshl_b64 s[12:13], s[10:11], 2
	s_waitcnt lgkmcnt(0)
	s_add_u32 s0, s0, s12
	s_addc_u32 s1, s1, s13
	s_abs_i32 s7, s2
	s_abs_i32 s13, s9
	v_cvt_f32_u32_e32 v1, s7
	s_sub_i32 s12, 0, s7
	s_xor_b32 s2, s9, s2
	s_ashr_i32 s2, s2, 31
	v_rcp_iflag_f32_e32 v1, v1
	v_mul_f32_e32 v1, 0x4f7ffffe, v1
	v_cvt_u32_f32_e32 v1, v1
	v_readfirstlane_b32 s11, v1
	s_mul_i32 s12, s12, s11
	s_mul_hi_u32 s12, s11, s12
	s_add_i32 s11, s11, s12
	s_mul_hi_u32 s11, s13, s11
	s_mul_i32 s12, s11, s7
	s_sub_i32 s12, s13, s12
	s_add_i32 s13, s11, 1
	s_sub_i32 s14, s12, s7
	s_cmp_ge_u32 s12, s7
	s_cselect_b32 s11, s13, s11
	s_cselect_b32 s12, s14, s12
	s_add_i32 s13, s11, 1
	s_cmp_ge_u32 s12, s7
	s_cselect_b32 s7, s13, s11
	s_load_dwordx2 s[12:13], s[4:5], 0x40
	s_xor_b32 s7, s7, s2
	s_abs_i32 s16, s6
	s_sub_i32 s17, s7, s2
	s_abs_i32 s2, s17
	v_cvt_f32_u32_e32 v1, s2
	s_sub_i32 s11, 0, s2
	v_rcp_iflag_f32_e32 v1, v1
	v_mul_f32_e32 v1, 0x4f7ffffe, v1
	v_cvt_u32_f32_e32 v1, v1
	v_readfirstlane_b32 s7, v1
	s_mul_i32 s11, s11, s7
	s_mul_hi_u32 s11, s7, s11
	s_add_i32 s7, s7, s11
	s_waitcnt lgkmcnt(0)
	s_cmp_eq_u64 s[12:13], 0
	s_mul_hi_u32 s20, s16, s7
	s_cbranch_scc1 .LBB105_2
; %bb.1:
	s_ashr_i32 s7, s6, 31
	s_lshl_b64 s[14:15], s[6:7], 2
	s_add_u32 s12, s12, s14
	s_addc_u32 s13, s13, s15
	s_load_dword s24, s[12:13], 0x0
.LBB105_2:
	s_load_dword s11, s[0:1], 0x0
	s_clause 0x1
	s_load_dwordx2 s[18:19], s[4:5], 0x28
	s_load_dwordx4 s[12:15], s[4:5], 0x48
	v_lshlrev_b32_e32 v69, 4, v0
	s_ashr_i32 s0, s6, 31
	s_ashr_i32 s1, s17, 31
	s_lshl_b32 s6, s6, 7
	s_waitcnt lgkmcnt(0)
	s_mov_b32 s15, exec_lo
	v_cmpx_gt_u32_e32 16, v0
	s_cbranch_execz .LBB105_4
; %bb.3:
	s_load_dwordx2 s[22:23], s[4:5], 0x8
	s_mul_i32 s26, s12, s10
	s_ashr_i32 s27, s26, 31
	s_lshl_b64 s[26:27], s[26:27], 1
	s_waitcnt lgkmcnt(0)
	s_add_u32 s12, s22, s26
	s_addc_u32 s17, s23, s27
	s_ashr_i32 s7, s6, 31
	s_lshl_b64 s[22:23], s[6:7], 1
	s_add_u32 s22, s12, s22
	s_addc_u32 s23, s17, s23
	global_load_dwordx4 v[1:4], v69, s[22:23]
	s_waitcnt vmcnt(0)
	ds_write_b128 v69, v[1:4]
.LBB105_4:
	s_or_b32 exec_lo, exec_lo, s15
	s_add_i32 s7, s11, 31
	s_xor_b32 s0, s0, s1
	s_ashr_i32 s12, s7, 31
	s_load_dword s15, s[4:5], 0x38
	s_lshr_b32 s1, s12, 27
	s_mul_i32 s12, s20, s2
	s_add_i32 s7, s7, s1
	s_sub_i32 s1, s16, s12
	s_ashr_i32 s12, s7, 5
	s_clause 0x2
	s_load_dwordx2 s[16:17], s[4:5], 0x0
	s_load_dwordx2 s[22:23], s[4:5], 0x18
	s_load_dword s7, s[4:5], 0x88
	s_add_i32 s21, s20, 1
	s_sub_i32 s25, s1, s2
	s_cmp_ge_u32 s1, s2
	v_lshrrev_b32_e32 v67, 5, v0
	s_cselect_b32 s20, s21, s20
	s_cselect_b32 s1, s25, s1
	s_add_i32 s21, s20, 1
	s_cmp_ge_u32 s1, s2
	v_and_b32_e32 v68, 31, v0
	s_cselect_b32 s1, s21, s20
	v_mov_b32_e32 v72, 0xff7fffff
	s_xor_b32 s1, s1, s0
	v_lshrrev_b32_e32 v70, 3, v0
	s_sub_i32 s1, s1, s0
	v_cmp_gt_i32_e64 s0, s12, v67
	v_lshlrev_b32_e32 v71, 2, v68
	s_waitcnt lgkmcnt(0)
	s_mul_i32 s20, s15, s10
	s_mul_i32 s14, s1, s14
	s_ashr_i32 s21, s20, 31
	s_barrier
	buffer_gl0_inv
	s_and_saveexec_b32 s25, s0
	s_cbranch_execz .LBB105_8
; %bb.5:
	s_load_dwordx2 s[4:5], s[4:5], 0x10
	s_ashr_i32 s15, s14, 31
	v_lshlrev_b32_e32 v1, 4, v68
	s_lshl_b64 s[26:27], s[14:15], 1
	v_and_b32_e32 v3, 0x7c, v70
	v_lshl_or_b32 v2, v67, 7, v71
	v_mov_b32_e32 v73, 0
	v_cmp_neq_f32_e64 vcc_lo, s24, 0
	v_lshl_or_b32 v74, v67, 5, v68
	v_mov_b32_e32 v72, 0xff7fffff
	v_add_nc_u32_e32 v75, 0x120, v2
	v_mov_b32_e32 v78, v67
	s_mov_b32 s15, s13
	s_waitcnt lgkmcnt(0)
	s_add_u32 s1, s4, s26
	s_addc_u32 s2, s5, s27
	s_lshl_b64 s[26:27], s[20:21], 2
	v_add_co_u32 v76, s1, s1, v1
	s_sub_i32 s4, 1, s11
	v_add_co_ci_u32_e64 v77, null, s2, 0, s1
	s_add_u32 s1, s18, s26
	s_addc_u32 s2, s19, s27
	v_add_co_u32 v65, s1, s1, v3
	v_add_co_ci_u32_e64 v66, null, s2, 0, s1
	s_mov_b32 s5, 0
.LBB105_6:                              ; =>This Inner Loop Header: Depth=1
	global_load_dword v1, v[65:66], off
	v_add_nc_u32_e32 v3, s4, v74
	v_add_nc_u32_e32 v78, 4, v78
	v_cvt_f32_i32_e32 v3, v3
	v_mul_f32_e32 v79, s24, v3
	v_cndmask_b32_e32 v79, 0, v79, vcc_lo
	s_waitcnt vmcnt(0)
	v_mad_i64_i32 v[1:2], null, v1, s15, 0
	v_lshlrev_b64 v[1:2], 1, v[1:2]
	v_add_co_u32 v1, s1, v76, v1
	v_add_co_ci_u32_e64 v2, null, v77, v2, s1
	v_cmp_gt_i32_e64 s1, s11, v74
	v_add_co_u32 v3, s2, 0x800, v1
	s_clause 0x3
	global_load_dwordx4 v[61:64], v[1:2], off
	global_load_dwordx4 v[57:60], v[1:2], off offset:512
	global_load_dwordx4 v[53:56], v[1:2], off offset:1024
	;; [unrolled: 1-line block ×3, first 2 shown]
	v_add_co_ci_u32_e64 v4, null, 0, v2, s2
	v_add_co_u32 v5, s2, v1, 0x1000
	v_add_co_ci_u32_e64 v6, null, 0, v2, s2
	s_clause 0x3
	global_load_dwordx4 v[45:48], v[5:6], off offset:-2048
	global_load_dwordx4 v[41:44], v[3:4], off offset:512
	global_load_dwordx4 v[37:40], v[3:4], off offset:1024
	;; [unrolled: 1-line block ×3, first 2 shown]
	v_add_co_u32 v3, s2, 0x1000, v1
	v_add_co_ci_u32_e64 v4, null, 0, v2, s2
	s_clause 0x3
	global_load_dwordx4 v[29:32], v[5:6], off
	global_load_dwordx4 v[25:28], v[3:4], off offset:512
	global_load_dwordx4 v[21:24], v[3:4], off offset:1024
	;; [unrolled: 1-line block ×3, first 2 shown]
	v_add_co_u32 v1, s2, 0x1800, v1
	v_add_co_ci_u32_e64 v2, null, 0, v2, s2
	s_clause 0x3
	global_load_dwordx4 v[13:16], v[1:2], off
	global_load_dwordx4 v[9:12], v[1:2], off offset:512
	global_load_dwordx4 v[5:8], v[1:2], off offset:1024
	;; [unrolled: 1-line block ×3, first 2 shown]
	ds_read_b128 v[80:83], v73
	v_add_nc_u32_e32 v74, 0x80, v74
	s_waitcnt lgkmcnt(0)
	v_lshrrev_b32_e32 v84, 16, v80
	v_and_b32_e32 v80, 0xffff, v80
	;;#ASMSTART
	v_cvt_f32_f16 v80, v80;
	;;#ASMEND
	;;#ASMSTART
	v_cvt_f32_f16 v84, v84;
	;;#ASMEND
	s_waitcnt vmcnt(15)
	v_lshrrev_b32_e32 v86, 16, v61
	v_and_b32_e32 v61, 0xffff, v61
	;;#ASMSTART
	v_cvt_f32_f16 v85, v61;
	;;#ASMEND
	v_lshrrev_b32_e32 v61, 16, v81
	v_and_b32_e32 v81, 0xffff, v81
	;;#ASMSTART
	v_cvt_f32_f16 v86, v86;
	;;#ASMEND
	;;#ASMSTART
	v_cvt_f32_f16 v81, v81;
	;;#ASMEND
	;; [unrolled: 3-line block ×3, first 2 shown]
	v_lshrrev_b32_e32 v61, 16, v62
	v_and_b32_e32 v62, 0xffff, v62
	;;#ASMSTART
	v_cvt_f32_f16 v88, v62;
	;;#ASMEND
	;;#ASMSTART
	v_cvt_f32_f16 v89, v61;
	;;#ASMEND
	v_lshrrev_b32_e32 v61, 16, v82
	v_and_b32_e32 v62, 0xffff, v82
	;;#ASMSTART
	v_cvt_f32_f16 v82, v62;
	;;#ASMEND
	;;#ASMSTART
	v_cvt_f32_f16 v90, v61;
	;;#ASMEND
	;; [unrolled: 8-line block ×5, first 2 shown]
	ds_read_b128 v[61:64], v73 offset:16
	s_waitcnt vmcnt(14)
	v_lshrrev_b32_e32 v97, 16, v57
	v_and_b32_e32 v57, 0xffff, v57
	s_waitcnt lgkmcnt(0)
	v_lshrrev_b32_e32 v96, 16, v61
	v_and_b32_e32 v61, 0xffff, v61
	;;#ASMSTART
	v_cvt_f32_f16 v61, v61;
	;;#ASMEND
	;;#ASMSTART
	v_cvt_f32_f16 v96, v96;
	;;#ASMEND
	;; [unrolled: 3-line block ×4, first 2 shown]
	v_mul_f32_e32 v57, v61, v57
	v_mul_f32_e32 v61, v96, v97
	v_fmac_f32_e32 v57, v80, v85
	v_fmac_f32_e32 v61, v84, v86
	v_lshrrev_b32_e32 v80, 16, v62
	v_and_b32_e32 v62, 0xffff, v62
	v_lshrrev_b32_e32 v84, 16, v58
	v_and_b32_e32 v58, 0xffff, v58
	;;#ASMSTART
	v_cvt_f32_f16 v62, v62;
	;;#ASMEND
	;;#ASMSTART
	v_cvt_f32_f16 v80, v80;
	;;#ASMEND
	;;#ASMSTART
	v_cvt_f32_f16 v58, v58;
	;;#ASMEND
	v_mul_f32_e32 v58, v62, v58
	;;#ASMSTART
	v_cvt_f32_f16 v84, v84;
	;;#ASMEND
	v_mul_f32_e32 v62, v80, v84
	v_lshrrev_b32_e32 v80, 16, v63
	v_and_b32_e32 v63, 0xffff, v63
	v_fmac_f32_e32 v58, v81, v88
	v_lshrrev_b32_e32 v81, 16, v59
	v_and_b32_e32 v59, 0xffff, v59
	;;#ASMSTART
	v_cvt_f32_f16 v63, v63;
	;;#ASMEND
	;;#ASMSTART
	v_cvt_f32_f16 v80, v80;
	;;#ASMEND
	;; [unrolled: 3-line block ×4, first 2 shown]
	v_mul_f32_e32 v59, v63, v59
	v_mul_f32_e32 v63, v80, v81
	v_lshrrev_b32_e32 v80, 16, v64
	v_and_b32_e32 v64, 0xffff, v64
	v_lshrrev_b32_e32 v81, 16, v60
	v_and_b32_e32 v60, 0xffff, v60
	;;#ASMSTART
	v_cvt_f32_f16 v64, v64;
	;;#ASMEND
	;;#ASMSTART
	v_cvt_f32_f16 v80, v80;
	;;#ASMEND
	;; [unrolled: 3-line block ×3, first 2 shown]
	v_mul_f32_e32 v60, v64, v60
	;;#ASMSTART
	v_cvt_f32_f16 v81, v81;
	;;#ASMEND
	v_fmac_f32_e32 v59, v82, v91
	v_mul_f32_e32 v64, v80, v81
	v_fmac_f32_e32 v62, v87, v89
	v_fmac_f32_e32 v60, v83, v94
	ds_read_b128 v[80:83], v73 offset:32
	s_waitcnt vmcnt(13)
	v_lshrrev_b32_e32 v85, 16, v53
	v_and_b32_e32 v53, 0xffff, v53
	v_fmac_f32_e32 v63, v90, v92
	v_fmac_f32_e32 v64, v93, v95
	s_waitcnt lgkmcnt(0)
	v_lshrrev_b32_e32 v84, 16, v80
	v_and_b32_e32 v80, 0xffff, v80
	;;#ASMSTART
	v_cvt_f32_f16 v80, v80;
	;;#ASMEND
	;;#ASMSTART
	v_cvt_f32_f16 v84, v84;
	;;#ASMEND
	;; [unrolled: 3-line block ×3, first 2 shown]
	v_fmac_f32_e32 v57, v80, v53
	v_lshrrev_b32_e32 v80, 16, v81
	v_and_b32_e32 v53, 0xffff, v81
	v_lshrrev_b32_e32 v81, 16, v54
	v_and_b32_e32 v54, 0xffff, v54
	;;#ASMSTART
	v_cvt_f32_f16 v85, v85;
	;;#ASMEND
	;;#ASMSTART
	v_cvt_f32_f16 v53, v53;
	;;#ASMEND
	;; [unrolled: 3-line block ×5, first 2 shown]
	v_fmac_f32_e32 v58, v53, v54
	v_fmac_f32_e32 v62, v80, v81
	v_lshrrev_b32_e32 v54, 16, v82
	v_and_b32_e32 v53, 0xffff, v82
	v_lshrrev_b32_e32 v80, 16, v55
	v_and_b32_e32 v55, 0xffff, v55
	;;#ASMSTART
	v_cvt_f32_f16 v53, v53;
	;;#ASMEND
	;;#ASMSTART
	v_cvt_f32_f16 v54, v54;
	;;#ASMEND
	;; [unrolled: 3-line block ×4, first 2 shown]
	v_fmac_f32_e32 v59, v53, v55
	v_fmac_f32_e32 v63, v54, v80
	v_lshrrev_b32_e32 v54, 16, v83
	v_and_b32_e32 v53, 0xffff, v83
	v_and_b32_e32 v55, 0xffff, v56
	;;#ASMSTART
	v_cvt_f32_f16 v53, v53;
	;;#ASMEND
	;;#ASMSTART
	v_cvt_f32_f16 v54, v54;
	;;#ASMEND
	v_lshrrev_b32_e32 v80, 16, v56
	;;#ASMSTART
	v_cvt_f32_f16 v55, v55;
	;;#ASMEND
	;;#ASMSTART
	v_cvt_f32_f16 v56, v80;
	;;#ASMEND
	v_fmac_f32_e32 v60, v53, v55
	v_fmac_f32_e32 v64, v54, v56
	ds_read_b128 v[53:56], v73 offset:48
	s_waitcnt vmcnt(12)
	v_lshrrev_b32_e32 v81, 16, v49
	v_and_b32_e32 v49, 0xffff, v49
	v_fmac_f32_e32 v61, v84, v85
	s_waitcnt lgkmcnt(0)
	v_lshrrev_b32_e32 v80, 16, v53
	v_and_b32_e32 v53, 0xffff, v53
	;;#ASMSTART
	v_cvt_f32_f16 v53, v53;
	;;#ASMEND
	;;#ASMSTART
	v_cvt_f32_f16 v80, v80;
	;;#ASMEND
	;; [unrolled: 3-line block ×3, first 2 shown]
	v_fmac_f32_e32 v57, v53, v49
	v_lshrrev_b32_e32 v53, 16, v54
	v_and_b32_e32 v49, 0xffff, v54
	v_lshrrev_b32_e32 v54, 16, v50
	v_and_b32_e32 v50, 0xffff, v50
	;;#ASMSTART
	v_cvt_f32_f16 v81, v81;
	;;#ASMEND
	;;#ASMSTART
	v_cvt_f32_f16 v49, v49;
	;;#ASMEND
	;; [unrolled: 3-line block ×5, first 2 shown]
	v_fmac_f32_e32 v58, v49, v50
	v_fmac_f32_e32 v62, v53, v54
	v_lshrrev_b32_e32 v50, 16, v55
	v_and_b32_e32 v49, 0xffff, v55
	v_lshrrev_b32_e32 v53, 16, v51
	v_and_b32_e32 v51, 0xffff, v51
	;;#ASMSTART
	v_cvt_f32_f16 v49, v49;
	;;#ASMEND
	;;#ASMSTART
	v_cvt_f32_f16 v50, v50;
	;;#ASMEND
	;; [unrolled: 3-line block ×4, first 2 shown]
	v_fmac_f32_e32 v59, v49, v51
	v_fmac_f32_e32 v63, v50, v53
	v_lshrrev_b32_e32 v50, 16, v56
	v_and_b32_e32 v49, 0xffff, v56
	v_and_b32_e32 v51, 0xffff, v52
	;;#ASMSTART
	v_cvt_f32_f16 v49, v49;
	;;#ASMEND
	;;#ASMSTART
	v_cvt_f32_f16 v50, v50;
	;;#ASMEND
	v_lshrrev_b32_e32 v53, 16, v52
	;;#ASMSTART
	v_cvt_f32_f16 v51, v51;
	;;#ASMEND
	;;#ASMSTART
	v_cvt_f32_f16 v52, v53;
	;;#ASMEND
	v_fmac_f32_e32 v60, v49, v51
	v_fmac_f32_e32 v64, v50, v52
	ds_read_b128 v[49:52], v73 offset:64
	s_waitcnt vmcnt(11)
	v_lshrrev_b32_e32 v54, 16, v45
	v_and_b32_e32 v45, 0xffff, v45
	v_fmac_f32_e32 v61, v80, v81
	s_waitcnt lgkmcnt(0)
	v_lshrrev_b32_e32 v53, 16, v49
	v_and_b32_e32 v49, 0xffff, v49
	;;#ASMSTART
	v_cvt_f32_f16 v49, v49;
	;;#ASMEND
	;;#ASMSTART
	v_cvt_f32_f16 v53, v53;
	;;#ASMEND
	;; [unrolled: 3-line block ×3, first 2 shown]
	v_fmac_f32_e32 v57, v49, v45
	v_lshrrev_b32_e32 v49, 16, v50
	v_and_b32_e32 v45, 0xffff, v50
	v_lshrrev_b32_e32 v50, 16, v46
	v_and_b32_e32 v46, 0xffff, v46
	;;#ASMSTART
	v_cvt_f32_f16 v54, v54;
	;;#ASMEND
	;;#ASMSTART
	v_cvt_f32_f16 v45, v45;
	;;#ASMEND
	;; [unrolled: 3-line block ×5, first 2 shown]
	v_fmac_f32_e32 v58, v45, v46
	v_fmac_f32_e32 v62, v49, v50
	v_lshrrev_b32_e32 v46, 16, v51
	v_and_b32_e32 v45, 0xffff, v51
	v_lshrrev_b32_e32 v49, 16, v47
	v_and_b32_e32 v47, 0xffff, v47
	;;#ASMSTART
	v_cvt_f32_f16 v45, v45;
	;;#ASMEND
	;;#ASMSTART
	v_cvt_f32_f16 v46, v46;
	;;#ASMEND
	;; [unrolled: 3-line block ×4, first 2 shown]
	v_fmac_f32_e32 v59, v45, v47
	v_fmac_f32_e32 v63, v46, v49
	v_lshrrev_b32_e32 v46, 16, v52
	v_and_b32_e32 v45, 0xffff, v52
	v_and_b32_e32 v47, 0xffff, v48
	;;#ASMSTART
	v_cvt_f32_f16 v45, v45;
	;;#ASMEND
	;;#ASMSTART
	v_cvt_f32_f16 v46, v46;
	;;#ASMEND
	v_lshrrev_b32_e32 v49, 16, v48
	;;#ASMSTART
	v_cvt_f32_f16 v47, v47;
	;;#ASMEND
	;;#ASMSTART
	v_cvt_f32_f16 v48, v49;
	;;#ASMEND
	v_fmac_f32_e32 v60, v45, v47
	v_fmac_f32_e32 v64, v46, v48
	ds_read_b128 v[45:48], v73 offset:80
	s_waitcnt vmcnt(10)
	v_lshrrev_b32_e32 v50, 16, v41
	v_and_b32_e32 v41, 0xffff, v41
	v_fmac_f32_e32 v61, v53, v54
	s_waitcnt lgkmcnt(0)
	v_lshrrev_b32_e32 v49, 16, v45
	v_and_b32_e32 v45, 0xffff, v45
	;;#ASMSTART
	v_cvt_f32_f16 v45, v45;
	;;#ASMEND
	;;#ASMSTART
	v_cvt_f32_f16 v49, v49;
	;;#ASMEND
	;; [unrolled: 3-line block ×3, first 2 shown]
	v_fmac_f32_e32 v57, v45, v41
	v_lshrrev_b32_e32 v45, 16, v46
	v_and_b32_e32 v41, 0xffff, v46
	v_lshrrev_b32_e32 v46, 16, v42
	v_and_b32_e32 v42, 0xffff, v42
	;;#ASMSTART
	v_cvt_f32_f16 v50, v50;
	;;#ASMEND
	;;#ASMSTART
	v_cvt_f32_f16 v41, v41;
	;;#ASMEND
	;; [unrolled: 3-line block ×5, first 2 shown]
	v_fmac_f32_e32 v58, v41, v42
	v_fmac_f32_e32 v62, v45, v46
	v_lshrrev_b32_e32 v42, 16, v47
	v_and_b32_e32 v41, 0xffff, v47
	v_lshrrev_b32_e32 v45, 16, v43
	v_and_b32_e32 v43, 0xffff, v43
	;;#ASMSTART
	v_cvt_f32_f16 v41, v41;
	;;#ASMEND
	;;#ASMSTART
	v_cvt_f32_f16 v42, v42;
	;;#ASMEND
	;; [unrolled: 3-line block ×4, first 2 shown]
	v_fmac_f32_e32 v59, v41, v43
	v_fmac_f32_e32 v63, v42, v45
	v_lshrrev_b32_e32 v42, 16, v48
	v_and_b32_e32 v41, 0xffff, v48
	v_and_b32_e32 v43, 0xffff, v44
	;;#ASMSTART
	v_cvt_f32_f16 v41, v41;
	;;#ASMEND
	;;#ASMSTART
	v_cvt_f32_f16 v42, v42;
	;;#ASMEND
	v_lshrrev_b32_e32 v45, 16, v44
	;;#ASMSTART
	v_cvt_f32_f16 v43, v43;
	;;#ASMEND
	;;#ASMSTART
	v_cvt_f32_f16 v44, v45;
	;;#ASMEND
	v_fmac_f32_e32 v60, v41, v43
	v_fmac_f32_e32 v64, v42, v44
	ds_read_b128 v[41:44], v73 offset:96
	s_waitcnt vmcnt(9)
	v_lshrrev_b32_e32 v46, 16, v37
	v_and_b32_e32 v37, 0xffff, v37
	v_fmac_f32_e32 v61, v49, v50
	s_waitcnt lgkmcnt(0)
	v_lshrrev_b32_e32 v45, 16, v41
	v_and_b32_e32 v41, 0xffff, v41
	;;#ASMSTART
	v_cvt_f32_f16 v41, v41;
	;;#ASMEND
	;;#ASMSTART
	v_cvt_f32_f16 v45, v45;
	;;#ASMEND
	;; [unrolled: 3-line block ×3, first 2 shown]
	v_fmac_f32_e32 v57, v41, v37
	v_lshrrev_b32_e32 v41, 16, v42
	v_and_b32_e32 v37, 0xffff, v42
	v_lshrrev_b32_e32 v42, 16, v38
	v_and_b32_e32 v38, 0xffff, v38
	;;#ASMSTART
	v_cvt_f32_f16 v46, v46;
	;;#ASMEND
	;;#ASMSTART
	v_cvt_f32_f16 v37, v37;
	;;#ASMEND
	;; [unrolled: 3-line block ×5, first 2 shown]
	v_fmac_f32_e32 v58, v37, v38
	v_fmac_f32_e32 v62, v41, v42
	v_lshrrev_b32_e32 v38, 16, v43
	v_and_b32_e32 v37, 0xffff, v43
	v_lshrrev_b32_e32 v41, 16, v39
	v_and_b32_e32 v39, 0xffff, v39
	;;#ASMSTART
	v_cvt_f32_f16 v37, v37;
	;;#ASMEND
	;;#ASMSTART
	v_cvt_f32_f16 v38, v38;
	;;#ASMEND
	;; [unrolled: 3-line block ×4, first 2 shown]
	v_fmac_f32_e32 v59, v37, v39
	v_fmac_f32_e32 v63, v38, v41
	v_lshrrev_b32_e32 v38, 16, v44
	v_and_b32_e32 v37, 0xffff, v44
	v_and_b32_e32 v39, 0xffff, v40
	;;#ASMSTART
	v_cvt_f32_f16 v37, v37;
	;;#ASMEND
	;;#ASMSTART
	v_cvt_f32_f16 v38, v38;
	;;#ASMEND
	v_lshrrev_b32_e32 v41, 16, v40
	;;#ASMSTART
	v_cvt_f32_f16 v39, v39;
	;;#ASMEND
	;;#ASMSTART
	v_cvt_f32_f16 v40, v41;
	;;#ASMEND
	v_fmac_f32_e32 v60, v37, v39
	v_fmac_f32_e32 v64, v38, v40
	ds_read_b128 v[37:40], v73 offset:112
	s_waitcnt vmcnt(8)
	v_lshrrev_b32_e32 v42, 16, v33
	v_and_b32_e32 v33, 0xffff, v33
	v_fmac_f32_e32 v61, v45, v46
	s_waitcnt lgkmcnt(0)
	v_lshrrev_b32_e32 v41, 16, v37
	v_and_b32_e32 v37, 0xffff, v37
	;;#ASMSTART
	v_cvt_f32_f16 v37, v37;
	;;#ASMEND
	;;#ASMSTART
	v_cvt_f32_f16 v41, v41;
	;;#ASMEND
	;; [unrolled: 3-line block ×3, first 2 shown]
	v_fmac_f32_e32 v57, v37, v33
	v_lshrrev_b32_e32 v37, 16, v38
	v_and_b32_e32 v33, 0xffff, v38
	v_lshrrev_b32_e32 v38, 16, v34
	v_and_b32_e32 v34, 0xffff, v34
	;;#ASMSTART
	v_cvt_f32_f16 v42, v42;
	;;#ASMEND
	;;#ASMSTART
	v_cvt_f32_f16 v33, v33;
	;;#ASMEND
	;; [unrolled: 3-line block ×5, first 2 shown]
	v_fmac_f32_e32 v58, v33, v34
	v_fmac_f32_e32 v62, v37, v38
	v_lshrrev_b32_e32 v34, 16, v39
	v_and_b32_e32 v33, 0xffff, v39
	v_lshrrev_b32_e32 v37, 16, v35
	v_and_b32_e32 v35, 0xffff, v35
	;;#ASMSTART
	v_cvt_f32_f16 v33, v33;
	;;#ASMEND
	;;#ASMSTART
	v_cvt_f32_f16 v34, v34;
	;;#ASMEND
	;; [unrolled: 3-line block ×4, first 2 shown]
	v_fmac_f32_e32 v59, v33, v35
	v_fmac_f32_e32 v63, v34, v37
	v_lshrrev_b32_e32 v34, 16, v40
	v_and_b32_e32 v33, 0xffff, v40
	v_and_b32_e32 v35, 0xffff, v36
	;;#ASMSTART
	v_cvt_f32_f16 v33, v33;
	;;#ASMEND
	;;#ASMSTART
	v_cvt_f32_f16 v34, v34;
	;;#ASMEND
	v_lshrrev_b32_e32 v37, 16, v36
	;;#ASMSTART
	v_cvt_f32_f16 v35, v35;
	;;#ASMEND
	;;#ASMSTART
	v_cvt_f32_f16 v36, v37;
	;;#ASMEND
	v_fmac_f32_e32 v60, v33, v35
	v_fmac_f32_e32 v64, v34, v36
	ds_read_b128 v[33:36], v73 offset:128
	s_waitcnt vmcnt(7)
	v_lshrrev_b32_e32 v38, 16, v29
	v_and_b32_e32 v29, 0xffff, v29
	v_fmac_f32_e32 v61, v41, v42
	s_waitcnt lgkmcnt(0)
	v_lshrrev_b32_e32 v37, 16, v33
	v_and_b32_e32 v33, 0xffff, v33
	;;#ASMSTART
	v_cvt_f32_f16 v33, v33;
	;;#ASMEND
	;;#ASMSTART
	v_cvt_f32_f16 v37, v37;
	;;#ASMEND
	;; [unrolled: 3-line block ×3, first 2 shown]
	v_fmac_f32_e32 v57, v33, v29
	v_lshrrev_b32_e32 v33, 16, v34
	v_and_b32_e32 v29, 0xffff, v34
	v_lshrrev_b32_e32 v34, 16, v30
	v_and_b32_e32 v30, 0xffff, v30
	;;#ASMSTART
	v_cvt_f32_f16 v38, v38;
	;;#ASMEND
	;;#ASMSTART
	v_cvt_f32_f16 v29, v29;
	;;#ASMEND
	;; [unrolled: 3-line block ×5, first 2 shown]
	v_fmac_f32_e32 v58, v29, v30
	v_fmac_f32_e32 v62, v33, v34
	v_lshrrev_b32_e32 v30, 16, v35
	v_and_b32_e32 v29, 0xffff, v35
	v_lshrrev_b32_e32 v33, 16, v31
	v_and_b32_e32 v31, 0xffff, v31
	;;#ASMSTART
	v_cvt_f32_f16 v29, v29;
	;;#ASMEND
	;;#ASMSTART
	v_cvt_f32_f16 v30, v30;
	;;#ASMEND
	;; [unrolled: 3-line block ×4, first 2 shown]
	v_fmac_f32_e32 v59, v29, v31
	v_fmac_f32_e32 v63, v30, v33
	v_lshrrev_b32_e32 v30, 16, v36
	v_and_b32_e32 v29, 0xffff, v36
	v_and_b32_e32 v31, 0xffff, v32
	;;#ASMSTART
	v_cvt_f32_f16 v29, v29;
	;;#ASMEND
	;;#ASMSTART
	v_cvt_f32_f16 v30, v30;
	;;#ASMEND
	v_lshrrev_b32_e32 v33, 16, v32
	;;#ASMSTART
	v_cvt_f32_f16 v31, v31;
	;;#ASMEND
	;;#ASMSTART
	v_cvt_f32_f16 v32, v33;
	;;#ASMEND
	v_fmac_f32_e32 v60, v29, v31
	v_fmac_f32_e32 v64, v30, v32
	ds_read_b128 v[29:32], v73 offset:144
	s_waitcnt vmcnt(6)
	v_lshrrev_b32_e32 v34, 16, v25
	v_and_b32_e32 v25, 0xffff, v25
	v_fmac_f32_e32 v61, v37, v38
	s_waitcnt lgkmcnt(0)
	v_lshrrev_b32_e32 v33, 16, v29
	v_and_b32_e32 v29, 0xffff, v29
	;;#ASMSTART
	v_cvt_f32_f16 v29, v29;
	;;#ASMEND
	;;#ASMSTART
	v_cvt_f32_f16 v33, v33;
	;;#ASMEND
	;;#ASMSTART
	v_cvt_f32_f16 v25, v25;
	;;#ASMEND
	v_fmac_f32_e32 v57, v29, v25
	v_lshrrev_b32_e32 v29, 16, v30
	v_and_b32_e32 v25, 0xffff, v30
	v_lshrrev_b32_e32 v30, 16, v26
	v_and_b32_e32 v26, 0xffff, v26
	;;#ASMSTART
	v_cvt_f32_f16 v34, v34;
	;;#ASMEND
	;;#ASMSTART
	v_cvt_f32_f16 v25, v25;
	;;#ASMEND
	;; [unrolled: 3-line block ×5, first 2 shown]
	v_fmac_f32_e32 v58, v25, v26
	v_fmac_f32_e32 v62, v29, v30
	v_lshrrev_b32_e32 v26, 16, v31
	v_and_b32_e32 v25, 0xffff, v31
	v_lshrrev_b32_e32 v29, 16, v27
	v_and_b32_e32 v27, 0xffff, v27
	;;#ASMSTART
	v_cvt_f32_f16 v25, v25;
	;;#ASMEND
	;;#ASMSTART
	v_cvt_f32_f16 v26, v26;
	;;#ASMEND
	;; [unrolled: 3-line block ×4, first 2 shown]
	v_fmac_f32_e32 v59, v25, v27
	v_fmac_f32_e32 v63, v26, v29
	v_lshrrev_b32_e32 v26, 16, v32
	v_and_b32_e32 v25, 0xffff, v32
	v_and_b32_e32 v27, 0xffff, v28
	;;#ASMSTART
	v_cvt_f32_f16 v25, v25;
	;;#ASMEND
	;;#ASMSTART
	v_cvt_f32_f16 v26, v26;
	;;#ASMEND
	v_lshrrev_b32_e32 v29, 16, v28
	;;#ASMSTART
	v_cvt_f32_f16 v27, v27;
	;;#ASMEND
	;;#ASMSTART
	v_cvt_f32_f16 v28, v29;
	;;#ASMEND
	v_fmac_f32_e32 v60, v25, v27
	v_fmac_f32_e32 v64, v26, v28
	ds_read_b128 v[25:28], v73 offset:160
	s_waitcnt vmcnt(5)
	v_lshrrev_b32_e32 v30, 16, v21
	v_and_b32_e32 v21, 0xffff, v21
	v_fmac_f32_e32 v61, v33, v34
	s_waitcnt lgkmcnt(0)
	v_lshrrev_b32_e32 v29, 16, v25
	v_and_b32_e32 v25, 0xffff, v25
	;;#ASMSTART
	v_cvt_f32_f16 v25, v25;
	;;#ASMEND
	;;#ASMSTART
	v_cvt_f32_f16 v29, v29;
	;;#ASMEND
	;; [unrolled: 3-line block ×3, first 2 shown]
	v_fmac_f32_e32 v57, v25, v21
	v_lshrrev_b32_e32 v25, 16, v26
	v_and_b32_e32 v21, 0xffff, v26
	v_lshrrev_b32_e32 v26, 16, v22
	v_and_b32_e32 v22, 0xffff, v22
	;;#ASMSTART
	v_cvt_f32_f16 v30, v30;
	;;#ASMEND
	;;#ASMSTART
	v_cvt_f32_f16 v21, v21;
	;;#ASMEND
	;; [unrolled: 3-line block ×5, first 2 shown]
	v_fmac_f32_e32 v58, v21, v22
	v_fmac_f32_e32 v62, v25, v26
	v_lshrrev_b32_e32 v22, 16, v27
	v_and_b32_e32 v21, 0xffff, v27
	v_lshrrev_b32_e32 v25, 16, v23
	v_and_b32_e32 v23, 0xffff, v23
	;;#ASMSTART
	v_cvt_f32_f16 v21, v21;
	;;#ASMEND
	;;#ASMSTART
	v_cvt_f32_f16 v22, v22;
	;;#ASMEND
	;; [unrolled: 3-line block ×4, first 2 shown]
	v_fmac_f32_e32 v59, v21, v23
	v_fmac_f32_e32 v63, v22, v25
	v_lshrrev_b32_e32 v22, 16, v28
	v_and_b32_e32 v21, 0xffff, v28
	v_and_b32_e32 v23, 0xffff, v24
	;;#ASMSTART
	v_cvt_f32_f16 v21, v21;
	;;#ASMEND
	;;#ASMSTART
	v_cvt_f32_f16 v22, v22;
	;;#ASMEND
	v_lshrrev_b32_e32 v25, 16, v24
	;;#ASMSTART
	v_cvt_f32_f16 v23, v23;
	;;#ASMEND
	;;#ASMSTART
	v_cvt_f32_f16 v24, v25;
	;;#ASMEND
	v_fmac_f32_e32 v60, v21, v23
	v_fmac_f32_e32 v64, v22, v24
	ds_read_b128 v[21:24], v73 offset:176
	s_waitcnt vmcnt(4)
	v_lshrrev_b32_e32 v26, 16, v17
	v_and_b32_e32 v17, 0xffff, v17
	v_fmac_f32_e32 v61, v29, v30
	s_waitcnt lgkmcnt(0)
	v_lshrrev_b32_e32 v25, 16, v21
	v_and_b32_e32 v21, 0xffff, v21
	;;#ASMSTART
	v_cvt_f32_f16 v21, v21;
	;;#ASMEND
	;;#ASMSTART
	v_cvt_f32_f16 v25, v25;
	;;#ASMEND
	;; [unrolled: 3-line block ×3, first 2 shown]
	v_fmac_f32_e32 v57, v21, v17
	v_lshrrev_b32_e32 v21, 16, v22
	v_and_b32_e32 v17, 0xffff, v22
	v_lshrrev_b32_e32 v22, 16, v18
	v_and_b32_e32 v18, 0xffff, v18
	;;#ASMSTART
	v_cvt_f32_f16 v26, v26;
	;;#ASMEND
	;;#ASMSTART
	v_cvt_f32_f16 v17, v17;
	;;#ASMEND
	;; [unrolled: 3-line block ×5, first 2 shown]
	v_fmac_f32_e32 v58, v17, v18
	v_fmac_f32_e32 v62, v21, v22
	v_lshrrev_b32_e32 v18, 16, v23
	v_and_b32_e32 v17, 0xffff, v23
	v_lshrrev_b32_e32 v21, 16, v19
	v_and_b32_e32 v19, 0xffff, v19
	;;#ASMSTART
	v_cvt_f32_f16 v17, v17;
	;;#ASMEND
	;;#ASMSTART
	v_cvt_f32_f16 v18, v18;
	;;#ASMEND
	;;#ASMSTART
	v_cvt_f32_f16 v19, v19;
	;;#ASMEND
	;;#ASMSTART
	v_cvt_f32_f16 v21, v21;
	;;#ASMEND
	v_fmac_f32_e32 v59, v17, v19
	v_fmac_f32_e32 v63, v18, v21
	v_lshrrev_b32_e32 v18, 16, v24
	v_and_b32_e32 v17, 0xffff, v24
	v_and_b32_e32 v19, 0xffff, v20
	;;#ASMSTART
	v_cvt_f32_f16 v17, v17;
	;;#ASMEND
	;;#ASMSTART
	v_cvt_f32_f16 v18, v18;
	;;#ASMEND
	v_lshrrev_b32_e32 v21, 16, v20
	;;#ASMSTART
	v_cvt_f32_f16 v19, v19;
	;;#ASMEND
	;;#ASMSTART
	v_cvt_f32_f16 v20, v21;
	;;#ASMEND
	v_fmac_f32_e32 v60, v17, v19
	v_fmac_f32_e32 v64, v18, v20
	ds_read_b128 v[17:20], v73 offset:192
	s_waitcnt vmcnt(3)
	v_lshrrev_b32_e32 v22, 16, v13
	v_and_b32_e32 v13, 0xffff, v13
	v_fmac_f32_e32 v61, v25, v26
	s_waitcnt lgkmcnt(0)
	v_lshrrev_b32_e32 v21, 16, v17
	v_and_b32_e32 v17, 0xffff, v17
	;;#ASMSTART
	v_cvt_f32_f16 v17, v17;
	;;#ASMEND
	;;#ASMSTART
	v_cvt_f32_f16 v21, v21;
	;;#ASMEND
	;; [unrolled: 3-line block ×3, first 2 shown]
	v_fmac_f32_e32 v57, v17, v13
	v_lshrrev_b32_e32 v17, 16, v18
	v_and_b32_e32 v13, 0xffff, v18
	v_lshrrev_b32_e32 v18, 16, v14
	v_and_b32_e32 v14, 0xffff, v14
	;;#ASMSTART
	v_cvt_f32_f16 v22, v22;
	;;#ASMEND
	;;#ASMSTART
	v_cvt_f32_f16 v13, v13;
	;;#ASMEND
	;; [unrolled: 3-line block ×5, first 2 shown]
	v_fmac_f32_e32 v58, v13, v14
	v_fmac_f32_e32 v62, v17, v18
	v_lshrrev_b32_e32 v14, 16, v19
	v_and_b32_e32 v13, 0xffff, v19
	v_lshrrev_b32_e32 v17, 16, v15
	v_and_b32_e32 v15, 0xffff, v15
	;;#ASMSTART
	v_cvt_f32_f16 v13, v13;
	;;#ASMEND
	;;#ASMSTART
	v_cvt_f32_f16 v14, v14;
	;;#ASMEND
	;;#ASMSTART
	v_cvt_f32_f16 v15, v15;
	;;#ASMEND
	;;#ASMSTART
	v_cvt_f32_f16 v17, v17;
	;;#ASMEND
	v_fmac_f32_e32 v59, v13, v15
	v_fmac_f32_e32 v63, v14, v17
	v_lshrrev_b32_e32 v14, 16, v20
	v_and_b32_e32 v13, 0xffff, v20
	v_and_b32_e32 v15, 0xffff, v16
	;;#ASMSTART
	v_cvt_f32_f16 v13, v13;
	;;#ASMEND
	;;#ASMSTART
	v_cvt_f32_f16 v14, v14;
	;;#ASMEND
	v_lshrrev_b32_e32 v17, 16, v16
	;;#ASMSTART
	v_cvt_f32_f16 v15, v15;
	;;#ASMEND
	;;#ASMSTART
	v_cvt_f32_f16 v16, v17;
	;;#ASMEND
	v_fmac_f32_e32 v60, v13, v15
	v_fmac_f32_e32 v64, v14, v16
	ds_read_b128 v[13:16], v73 offset:208
	s_waitcnt vmcnt(2)
	v_lshrrev_b32_e32 v18, 16, v9
	v_and_b32_e32 v9, 0xffff, v9
	v_fmac_f32_e32 v61, v21, v22
	s_waitcnt lgkmcnt(0)
	v_lshrrev_b32_e32 v17, 16, v13
	v_and_b32_e32 v13, 0xffff, v13
	;;#ASMSTART
	v_cvt_f32_f16 v13, v13;
	;;#ASMEND
	;;#ASMSTART
	v_cvt_f32_f16 v17, v17;
	;;#ASMEND
	;; [unrolled: 3-line block ×3, first 2 shown]
	v_fmac_f32_e32 v57, v13, v9
	v_lshrrev_b32_e32 v13, 16, v14
	v_and_b32_e32 v9, 0xffff, v14
	v_lshrrev_b32_e32 v14, 16, v10
	v_and_b32_e32 v10, 0xffff, v10
	;;#ASMSTART
	v_cvt_f32_f16 v18, v18;
	;;#ASMEND
	;;#ASMSTART
	v_cvt_f32_f16 v9, v9;
	;;#ASMEND
	;; [unrolled: 3-line block ×5, first 2 shown]
	v_fmac_f32_e32 v58, v9, v10
	v_fmac_f32_e32 v62, v13, v14
	v_lshrrev_b32_e32 v10, 16, v15
	v_and_b32_e32 v9, 0xffff, v15
	v_lshrrev_b32_e32 v13, 16, v11
	v_and_b32_e32 v11, 0xffff, v11
	;;#ASMSTART
	v_cvt_f32_f16 v9, v9;
	;;#ASMEND
	;;#ASMSTART
	v_cvt_f32_f16 v10, v10;
	;;#ASMEND
	;; [unrolled: 3-line block ×4, first 2 shown]
	v_fmac_f32_e32 v59, v9, v11
	v_fmac_f32_e32 v63, v10, v13
	v_lshrrev_b32_e32 v10, 16, v16
	v_and_b32_e32 v9, 0xffff, v16
	v_and_b32_e32 v11, 0xffff, v12
	;;#ASMSTART
	v_cvt_f32_f16 v9, v9;
	;;#ASMEND
	;;#ASMSTART
	v_cvt_f32_f16 v10, v10;
	;;#ASMEND
	v_lshrrev_b32_e32 v13, 16, v12
	;;#ASMSTART
	v_cvt_f32_f16 v11, v11;
	;;#ASMEND
	;;#ASMSTART
	v_cvt_f32_f16 v12, v13;
	;;#ASMEND
	v_fmac_f32_e32 v60, v9, v11
	v_fmac_f32_e32 v64, v10, v12
	ds_read_b128 v[9:12], v73 offset:224
	s_waitcnt vmcnt(1)
	v_lshrrev_b32_e32 v14, 16, v5
	v_and_b32_e32 v5, 0xffff, v5
	v_fmac_f32_e32 v61, v17, v18
	s_waitcnt lgkmcnt(0)
	v_lshrrev_b32_e32 v13, 16, v9
	v_and_b32_e32 v9, 0xffff, v9
	;;#ASMSTART
	v_cvt_f32_f16 v9, v9;
	;;#ASMEND
	;;#ASMSTART
	v_cvt_f32_f16 v13, v13;
	;;#ASMEND
	;;#ASMSTART
	v_cvt_f32_f16 v5, v5;
	;;#ASMEND
	v_fmac_f32_e32 v57, v9, v5
	v_lshrrev_b32_e32 v9, 16, v10
	v_and_b32_e32 v5, 0xffff, v10
	v_lshrrev_b32_e32 v10, 16, v6
	v_and_b32_e32 v6, 0xffff, v6
	;;#ASMSTART
	v_cvt_f32_f16 v14, v14;
	;;#ASMEND
	;;#ASMSTART
	v_cvt_f32_f16 v5, v5;
	;;#ASMEND
	;; [unrolled: 3-line block ×5, first 2 shown]
	v_fmac_f32_e32 v58, v5, v6
	v_fmac_f32_e32 v62, v9, v10
	v_lshrrev_b32_e32 v6, 16, v11
	v_and_b32_e32 v5, 0xffff, v11
	v_lshrrev_b32_e32 v9, 16, v7
	v_and_b32_e32 v7, 0xffff, v7
	;;#ASMSTART
	v_cvt_f32_f16 v5, v5;
	;;#ASMEND
	;;#ASMSTART
	v_cvt_f32_f16 v6, v6;
	;;#ASMEND
	;; [unrolled: 3-line block ×4, first 2 shown]
	v_fmac_f32_e32 v59, v5, v7
	v_fmac_f32_e32 v63, v6, v9
	v_lshrrev_b32_e32 v6, 16, v12
	v_and_b32_e32 v5, 0xffff, v12
	v_and_b32_e32 v7, 0xffff, v8
	;;#ASMSTART
	v_cvt_f32_f16 v5, v5;
	;;#ASMEND
	;;#ASMSTART
	v_cvt_f32_f16 v6, v6;
	;;#ASMEND
	v_lshrrev_b32_e32 v9, 16, v8
	;;#ASMSTART
	v_cvt_f32_f16 v7, v7;
	;;#ASMEND
	;;#ASMSTART
	v_cvt_f32_f16 v8, v9;
	;;#ASMEND
	v_fmac_f32_e32 v60, v5, v7
	v_fmac_f32_e32 v64, v6, v8
	ds_read_b128 v[5:8], v73 offset:240
	v_fmac_f32_e32 v61, v13, v14
	s_waitcnt vmcnt(0)
	v_lshrrev_b32_e32 v10, 16, v1
	v_and_b32_e32 v1, 0xffff, v1
	s_waitcnt lgkmcnt(0)
	v_lshrrev_b32_e32 v9, 16, v5
	v_and_b32_e32 v5, 0xffff, v5
	;;#ASMSTART
	v_cvt_f32_f16 v5, v5;
	;;#ASMEND
	;;#ASMSTART
	v_cvt_f32_f16 v9, v9;
	;;#ASMEND
	;; [unrolled: 3-line block ×3, first 2 shown]
	v_fmac_f32_e32 v57, v5, v1
	v_and_b32_e32 v1, 0xffff, v6
	;;#ASMSTART
	v_cvt_f32_f16 v10, v10;
	;;#ASMEND
	v_fmac_f32_e32 v61, v9, v10
	v_lshrrev_b32_e32 v5, 16, v6
	;;#ASMSTART
	v_cvt_f32_f16 v1, v1;
	;;#ASMEND
	v_lshrrev_b32_e32 v6, 16, v2
	v_and_b32_e32 v2, 0xffff, v2
	;;#ASMSTART
	v_cvt_f32_f16 v5, v5;
	;;#ASMEND
	;;#ASMSTART
	v_cvt_f32_f16 v2, v2;
	;;#ASMEND
	v_fmac_f32_e32 v58, v1, v2
	v_and_b32_e32 v1, 0xffff, v7
	;;#ASMSTART
	v_cvt_f32_f16 v6, v6;
	;;#ASMEND
	v_fmac_f32_e32 v62, v5, v6
	v_lshrrev_b32_e32 v2, 16, v7
	;;#ASMSTART
	v_cvt_f32_f16 v1, v1;
	;;#ASMEND
	v_lshrrev_b32_e32 v5, 16, v3
	v_and_b32_e32 v3, 0xffff, v3
	;;#ASMSTART
	v_cvt_f32_f16 v2, v2;
	;;#ASMEND
	;;#ASMSTART
	v_cvt_f32_f16 v3, v3;
	;;#ASMEND
	v_fmac_f32_e32 v59, v1, v3
	v_and_b32_e32 v1, 0xffff, v8
	;;#ASMSTART
	v_cvt_f32_f16 v5, v5;
	;;#ASMEND
	v_fmac_f32_e32 v63, v2, v5
	v_lshrrev_b32_e32 v2, 16, v8
	;;#ASMSTART
	v_cvt_f32_f16 v1, v1;
	;;#ASMEND
	v_and_b32_e32 v3, 0xffff, v4
	;;#ASMSTART
	v_cvt_f32_f16 v2, v2;
	;;#ASMEND
	;;#ASMSTART
	v_cvt_f32_f16 v3, v3;
	;;#ASMEND
	v_fmac_f32_e32 v60, v1, v3
	v_add_f32_e32 v1, v57, v61
	v_lshrrev_b32_e32 v5, 16, v4
	;;#ASMSTART
	v_cvt_f32_f16 v4, v5;
	;;#ASMEND
	v_fmac_f32_e32 v64, v2, v4
	v_add_f32_e32 v1, v1, v58
	v_add_f32_e32 v1, v62, v1
	;; [unrolled: 1-line block ×6, first 2 shown]
	v_fmac_f32_e32 v79, s3, v1
	v_cndmask_b32_e64 v1, 0, v79, s1
	ds_write_b32 v75, v1
	v_max_f32_e32 v1, v72, v72
	v_add_nc_u32_e32 v75, 0x200, v75
	v_max_f32_e32 v1, v1, v79
	v_cndmask_b32_e64 v72, v72, v1, s1
	v_add_co_u32 v65, s1, v65, 16
	v_add_co_ci_u32_e64 v66, null, 0, v66, s1
	v_cmp_le_i32_e64 s1, s12, v78
	s_or_b32 s5, s1, s5
	s_andn2_b32 exec_lo, exec_lo, s5
	s_cbranch_execnz .LBB105_6
; %bb.7:
	s_or_b32 exec_lo, exec_lo, s5
.LBB105_8:
	s_or_b32 exec_lo, exec_lo, s25
	v_mbcnt_lo_u32_b32 v2, -1, 0
	v_max_f32_e32 v5, v72, v72
	v_xor_b32_e32 v1, 16, v2
	v_xor_b32_e32 v4, 8, v2
	v_cmp_gt_i32_e32 vcc_lo, 32, v1
	v_cndmask_b32_e32 v1, v2, v1, vcc_lo
	v_cmp_gt_i32_e32 vcc_lo, 32, v4
	v_lshlrev_b32_e32 v1, 2, v1
	v_cndmask_b32_e32 v4, v2, v4, vcc_lo
	ds_bpermute_b32 v3, v1, v72
	s_waitcnt lgkmcnt(0)
	v_max_f32_e32 v6, v3, v3
	v_lshlrev_b32_e32 v3, 2, v4
	v_max_f32_e32 v5, v5, v6
	v_xor_b32_e32 v6, 4, v2
	ds_bpermute_b32 v4, v3, v5
	v_cmp_gt_i32_e32 vcc_lo, 32, v6
	v_cndmask_b32_e32 v6, v2, v6, vcc_lo
	s_waitcnt lgkmcnt(0)
	v_max_f32_e32 v7, v4, v4
	v_lshlrev_b32_e32 v4, 2, v6
	v_max_f32_e32 v5, v5, v7
	v_xor_b32_e32 v7, 2, v2
	ds_bpermute_b32 v6, v4, v5
	v_cmp_gt_i32_e32 vcc_lo, 32, v7
	v_cndmask_b32_e32 v7, v2, v7, vcc_lo
	v_lshlrev_b32_e32 v12, 2, v7
	v_xor_b32_e32 v7, 1, v2
	v_cmp_gt_i32_e32 vcc_lo, 32, v7
	s_waitcnt lgkmcnt(0)
	v_max_f32_e32 v6, v6, v6
	v_cndmask_b32_e32 v7, v2, v7, vcc_lo
	v_cmp_eq_u32_e32 vcc_lo, 0, v68
	v_max_f32_e32 v5, v5, v6
	v_lshlrev_b32_e32 v11, 2, v7
	ds_bpermute_b32 v6, v12, v5
	s_waitcnt lgkmcnt(0)
	v_max_f32_e32 v6, v6, v6
	v_max_f32_e32 v2, v5, v6
	v_lshlrev_b32_e32 v5, 2, v67
	ds_bpermute_b32 v6, v11, v2
	s_and_saveexec_b32 s1, vcc_lo
	s_cbranch_execz .LBB105_10
; %bb.9:
	s_waitcnt lgkmcnt(0)
	v_max_f32_e32 v6, v6, v6
	v_max_f32_e32 v2, v2, v2
	;; [unrolled: 1-line block ×3, first 2 shown]
	ds_write_b32 v5, v2 offset:256
.LBB105_10:
	s_or_b32 exec_lo, exec_lo, s1
	v_cmp_gt_u32_e64 s1, 4, v68
	v_mov_b32_e32 v2, 0xff7fffff
	s_waitcnt lgkmcnt(0)
	s_barrier
	buffer_gl0_inv
	s_and_saveexec_b32 s2, s1
; %bb.11:
	ds_read_b32 v2, v71 offset:256
; %bb.12:
	s_or_b32 exec_lo, exec_lo, s2
	s_waitcnt lgkmcnt(0)
	ds_bpermute_b32 v6, v12, v2
	v_max_f32_e32 v2, v2, v2
	s_lshl_b32 s2, s12, 5
	s_min_i32 s4, s2, s11
	v_cmp_gt_i32_e64 s2, s4, v0
	s_waitcnt lgkmcnt(0)
	v_max_f32_e32 v6, v6, v6
	v_max_f32_e32 v2, v2, v6
	ds_bpermute_b32 v6, v11, v2
	s_waitcnt lgkmcnt(0)
	v_max_f32_e32 v6, v6, v6
	v_max_f32_e32 v2, v2, v6
	v_mov_b32_e32 v6, 0
	ds_bpermute_b32 v7, v6, v2
	v_lshl_add_u32 v2, v0, 2, 0x120
	s_and_saveexec_b32 s5, s2
	s_cbranch_execz .LBB105_16
; %bb.13:
	v_lshl_add_u32 v8, v0, 2, 0x120
	v_mov_b32_e32 v6, 0
	v_mov_b32_e32 v9, v0
	s_mov_b32 s15, 0
	.p2align	6
.LBB105_14:                             ; =>This Inner Loop Header: Depth=1
	ds_read_b32 v10, v8
	v_add_nc_u32_e32 v9, 0x80, v9
	v_cmp_le_i32_e64 s3, s4, v9
	s_or_b32 s15, s3, s15
	s_waitcnt lgkmcnt(0)
	v_sub_f32_e32 v10, v10, v7
	v_mul_f32_e32 v10, 0x3fb8aa3b, v10
	v_exp_f32_e32 v10, v10
	ds_write_b32 v8, v10
	v_add_f32_e32 v6, v6, v10
	v_add_nc_u32_e32 v8, 0x200, v8
	s_andn2_b32 exec_lo, exec_lo, s15
	s_cbranch_execnz .LBB105_14
; %bb.15:
	s_or_b32 exec_lo, exec_lo, s15
.LBB105_16:
	s_or_b32 exec_lo, exec_lo, s5
	ds_bpermute_b32 v1, v1, v6
	s_waitcnt lgkmcnt(0)
	v_add_f32_e32 v1, v6, v1
	ds_bpermute_b32 v3, v3, v1
	s_waitcnt lgkmcnt(0)
	v_add_f32_e32 v1, v1, v3
	;; [unrolled: 3-line block ×5, first 2 shown]
	s_and_saveexec_b32 s3, vcc_lo
; %bb.17:
	ds_write_b32 v5, v1 offset:272
; %bb.18:
	s_or_b32 exec_lo, exec_lo, s3
	s_waitcnt lgkmcnt(0)
	s_barrier
	buffer_gl0_inv
	s_and_saveexec_b32 s3, s1
; %bb.19:
	ds_read_b32 v1, v71 offset:272
; %bb.20:
	s_or_b32 exec_lo, exec_lo, s3
	s_waitcnt lgkmcnt(0)
	ds_bpermute_b32 v3, v12, v1
	s_waitcnt lgkmcnt(0)
	v_add_f32_e32 v1, v1, v3
	ds_bpermute_b32 v3, v11, v1
	s_waitcnt lgkmcnt(0)
	v_add_f32_e32 v1, v1, v3
	v_mov_b32_e32 v3, 0
	ds_bpermute_b32 v1, v3, v1
	s_and_saveexec_b32 s1, s2
	s_cbranch_execz .LBB105_23
; %bb.21:
	s_waitcnt lgkmcnt(0)
	v_add_f32_e32 v1, 0x358637bd, v1
	s_mov_b32 s2, 0
	v_div_scale_f32 v3, null, v1, v1, 1.0
	v_div_scale_f32 v6, vcc_lo, 1.0, v1, 1.0
	v_rcp_f32_e32 v4, v3
	v_fma_f32 v5, -v3, v4, 1.0
	v_fmac_f32_e32 v4, v5, v4
	v_mul_f32_e32 v5, v6, v4
	v_fma_f32 v7, -v3, v5, v6
	v_fmac_f32_e32 v5, v7, v4
	v_fma_f32 v3, -v3, v5, v6
	v_div_fmas_f32 v3, v3, v4, v5
	v_div_fixup_f32 v1, v3, v1, 1.0
	v_mov_b32_e32 v3, v0
.LBB105_22:                             ; =>This Inner Loop Header: Depth=1
	ds_read_b32 v4, v2
	v_add_nc_u32_e32 v3, 0x80, v3
	v_cmp_le_i32_e32 vcc_lo, s4, v3
	s_or_b32 s2, vcc_lo, s2
	s_waitcnt lgkmcnt(0)
	v_mul_f32_e32 v4, v1, v4
	ds_write_b32 v2, v4
	v_add_nc_u32_e32 v2, 0x200, v2
	s_andn2_b32 exec_lo, exec_lo, s2
	s_cbranch_execnz .LBB105_22
.LBB105_23:
	s_or_b32 exec_lo, exec_lo, s1
	v_mov_b32_e32 v27, 0
	v_and_b32_e32 v13, 3, v0
	v_mov_b32_e32 v29, 0
	v_mov_b32_e32 v28, 0
	;; [unrolled: 1-line block ×15, first 2 shown]
	s_waitcnt lgkmcnt(0)
	s_barrier
	buffer_gl0_inv
	s_and_saveexec_b32 s2, s0
	s_cbranch_execz .LBB105_59
; %bb.24:
	v_lshlrev_b32_e32 v1, 3, v0
	s_ashr_i32 s15, s14, 31
	v_and_b32_e32 v3, 0x1f0, v69
	s_lshl_b64 s[0:1], s[14:15], 1
	v_lshlrev_b32_e32 v4, 5, v67
	v_and_b32_e32 v1, 24, v1
	s_add_u32 s0, s22, s0
	v_lshlrev_b32_e32 v2, 5, v13
	s_addc_u32 s1, s23, s1
	v_add_co_u32 v31, s0, s0, v3
	v_or3_b32 v33, v4, v1, 7
	v_and_b32_e32 v1, 0x7c, v70
	v_add_co_ci_u32_e64 v32, null, s1, 0, s0
	s_lshl_b64 s[0:1], s[20:21], 2
	s_add_i32 s3, s12, -1
	v_lshl_or_b32 v2, v67, 7, v2
	s_add_u32 s0, s18, s0
	s_addc_u32 s1, s19, s1
	v_add_co_u32 v5, s0, s0, v1
	v_mov_b32_e32 v30, 0
	v_add_nc_u32_e32 v34, 0x120, v2
	v_add_co_ci_u32_e64 v6, null, s1, 0, s0
	v_mov_b32_e32 v14, 0
	v_mov_b32_e32 v15, 0
	;; [unrolled: 1-line block ×17, first 2 shown]
	s_mov_b32 s5, s13
	s_mov_b32 s4, 0
	s_branch .LBB105_26
.LBB105_25:                             ;   in Loop: Header=BB105_26 Depth=1
	s_or_b32 exec_lo, exec_lo, s1
	v_add_f32_e32 v9, v9, v10
	v_add_f32_e32 v36, v76, v77
	;; [unrolled: 1-line block ×3, first 2 shown]
	v_lshlrev_b32_e32 v8, 16, v8
	v_lshlrev_b32_e32 v7, 16, v7
	v_add_f32_e32 v18, v18, v9
	v_add_f32_e32 v9, v65, v66
	;; [unrolled: 1-line block ×7, first 2 shown]
	v_lshlrev_b32_e32 v9, 16, v75
	v_add_f32_e32 v10, v63, v64
	v_add_f32_e32 v36, v61, v62
	v_and_or_b32 v2, 0xffff, v2, v8
	v_and_or_b32 v3, 0xffff, v3, v7
	v_and_or_b32 v1, 0xffff, v1, v9
	;;#ASMSTART
	v_pk_mul_f16 v1, v39, v1;

	;;#ASMEND
	;;#ASMSTART
	v_pk_mul_f16 v2, v38, v2;

	;;#ASMEND
	;;#ASMSTART
	v_pk_mul_f16 v3, v40, v3;

	;;#ASMEND
	;;#ASMSTART
	v_pk_mul_f16 v4, v41, v4;

	;;#ASMEND
	;;#ASMSTART
	v_pk_add_f16 v1, v1, v2;

	;;#ASMEND
	;;#ASMSTART
	v_pk_add_f16 v1, v1, v3;

	;;#ASMEND
	;; [unrolled: 4-line block ×3, first 2 shown]
	v_and_b32_e32 v4, 0xffff, v1
	v_add_nc_u32_e32 v35, 4, v35
	v_lshrrev_b32_e32 v7, 16, v1
	;;#ASMSTART
	v_cvt_f32_f16 v4, v4;
	;;#ASMEND
	v_add_f32_e32 v16, v16, v37
	v_add_f32_e32 v17, v17, v42
	v_add_f32_e32 v37, v59, v60
	v_add_f32_e32 v42, v57, v58
	v_add_f32_e32 v21, v21, v10
	v_add_f32_e32 v22, v22, v36
	v_add_f32_e32 v10, v55, v56
	v_add_f32_e32 v36, v53, v54
	v_add_f32_e32 v1, v51, v52
	v_add_f32_e32 v2, v49, v50
	v_add_f32_e32 v3, v43, v45
	;;#ASMSTART
	v_cvt_f32_f16 v7, v7;
	;;#ASMEND
	v_add_f32_e32 v4, v4, v7
	v_cmp_le_i32_e32 vcc_lo, s12, v35
	v_add_co_u32 v5, s0, v5, 16
	v_add_f32_e32 v23, v23, v37
	v_add_f32_e32 v24, v24, v42
	;; [unrolled: 1-line block ×8, first 2 shown]
	v_add_nc_u32_e32 v33, 0x80, v33
	v_add_nc_u32_e32 v34, 0x200, v34
	v_add_co_ci_u32_e64 v6, null, 0, v6, s0
	s_or_b32 s4, vcc_lo, s4
	s_andn2_b32 exec_lo, exec_lo, s4
	s_cbranch_execz .LBB105_58
.LBB105_26:                             ; =>This Inner Loop Header: Depth=1
	global_load_dword v7, v[5:6], off
	ds_read2_b64 v[1:4], v34 offset1:1
	ds_read2_b64 v[45:48], v34 offset0:2 offset1:3
	v_cmp_eq_u32_e64 s0, s3, v35
	v_add_nc_u32_e32 v44, -5, v33
	v_add_nc_u32_e32 v42, -4, v33
	;; [unrolled: 1-line block ×4, first 2 shown]
	s_waitcnt lgkmcnt(1)
	;;#ASMSTART
	v_cvt_f16_f32 v39, v1;

	;;#ASMEND
	;;#ASMSTART
	v_cvt_f16_f32 v38, v2;

	;;#ASMEND
	;; [unrolled: 4-line block ×4, first 2 shown]
	s_waitcnt lgkmcnt(0)
	;;#ASMSTART
	v_cvt_f16_f32 v45, v45;

	;;#ASMEND
	;;#ASMSTART
	v_cvt_f16_f32 v10, v46;

	;;#ASMEND
	;; [unrolled: 4-line block ×4, first 2 shown]
	v_add_nc_u32_e32 v46, -7, v33
	v_add_nc_u32_e32 v48, -6, v33
	;; [unrolled: 1-line block ×3, first 2 shown]
	s_waitcnt vmcnt(0)
	v_mad_i64_i32 v[7:8], null, v7, s5, 0
	v_lshlrev_b64 v[7:8], 1, v[7:8]
	v_add_co_u32 v7, vcc_lo, v31, v7
	v_add_co_ci_u32_e64 v8, null, v32, v8, vcc_lo
	global_load_dwordx4 v[1:4], v[7:8], off
	s_waitcnt vmcnt(0)
	v_lshrrev_b32_e32 v51, 16, v1
	v_lshrrev_b32_e32 v50, 16, v2
	;; [unrolled: 1-line block ×3, first 2 shown]
	s_and_saveexec_b32 s13, s0
	s_cbranch_execz .LBB105_28
; %bb.27:                               ;   in Loop: Header=BB105_26 Depth=1
	v_cmp_gt_i32_e32 vcc_lo, s11, v46
	v_and_b32_e32 v52, 0xffff0000, v4
	v_cmp_gt_i32_e64 s1, s11, v44
	v_cndmask_b32_e32 v1, 0, v1, vcc_lo
	v_cmp_gt_i32_e32 vcc_lo, s11, v48
	v_cndmask_b32_e64 v2, 0, v2, s1
	v_cmp_gt_i32_e64 s1, s11, v42
	v_cndmask_b32_e32 v51, 0, v51, vcc_lo
	v_cmp_gt_i32_e32 vcc_lo, s11, v47
	v_cndmask_b32_e64 v50, 0, v50, s1
	v_cndmask_b32_sdwa v4, v30, v4, vcc_lo dst_sel:DWORD dst_unused:UNUSED_PAD src0_sel:DWORD src1_sel:WORD_0
	v_cmp_gt_i32_e32 vcc_lo, s11, v33
	v_cndmask_b32_e32 v52, 0, v52, vcc_lo
	v_cmp_gt_i32_e32 vcc_lo, s11, v37
	v_or_b32_e32 v4, v4, v52
	v_cndmask_b32_e32 v3, 0, v3, vcc_lo
	v_cmp_gt_i32_e32 vcc_lo, s11, v36
	v_cndmask_b32_e32 v49, 0, v49, vcc_lo
.LBB105_28:                             ;   in Loop: Header=BB105_26 Depth=1
	s_or_b32 exec_lo, exec_lo, s13
	v_and_b32_e32 v39, 0xffff, v39
	v_and_b32_e32 v43, 0xffff, v43
	v_lshlrev_b32_e32 v51, 16, v51
	v_lshlrev_b32_e32 v49, 16, v49
	v_and_b32_e32 v45, 0xffff, v45
	v_lshl_or_b32 v39, v38, 16, v39
	v_lshl_or_b32 v38, v40, 16, v43
	v_lshlrev_b32_e32 v43, 16, v50
	v_and_b32_e32 v41, 0xffff, v41
	v_and_or_b32 v1, 0xffff, v1, v51
	v_and_or_b32 v3, 0xffff, v3, v49
	;;#ASMSTART
	v_pk_mul_f16 v1, v39, v1;

	;;#ASMEND
	v_and_or_b32 v2, 0xffff, v2, v43
	v_lshl_or_b32 v40, v10, 16, v45
	v_lshl_or_b32 v41, v9, 16, v41
	;;#ASMSTART
	v_pk_mul_f16 v2, v38, v2;

	;;#ASMEND
	;;#ASMSTART
	v_pk_mul_f16 v3, v40, v3;

	;;#ASMEND
	;; [unrolled: 4-line block ×3, first 2 shown]
	;;#ASMSTART
	v_pk_add_f16 v1, v1, v2;

	;;#ASMEND
	;;#ASMSTART
	v_pk_add_f16 v1, v1, v3;

	;;#ASMEND
	;; [unrolled: 4-line block ×3, first 2 shown]
	v_and_b32_e32 v2, 0xffff, v1
	v_lshrrev_b32_e32 v1, 16, v1
	;;#ASMSTART
	v_cvt_f32_f16 v43, v2;
	;;#ASMEND
	;;#ASMSTART
	v_cvt_f32_f16 v45, v1;
	;;#ASMEND
	global_load_dwordx4 v[1:4], v[7:8], off offset:512
	s_waitcnt vmcnt(0)
	v_lshrrev_b32_e32 v49, 16, v1
	v_lshrrev_b32_e32 v10, 16, v2
	;; [unrolled: 1-line block ×3, first 2 shown]
	s_and_saveexec_b32 s13, s0
	s_cbranch_execz .LBB105_30
; %bb.29:                               ;   in Loop: Header=BB105_26 Depth=1
	v_cmp_gt_i32_e32 vcc_lo, s11, v46
	v_and_b32_e32 v50, 0xffff0000, v4
	v_cmp_gt_i32_e64 s1, s11, v44
	v_cndmask_b32_e32 v1, 0, v1, vcc_lo
	v_cmp_gt_i32_e32 vcc_lo, s11, v48
	v_cndmask_b32_e64 v2, 0, v2, s1
	v_cmp_gt_i32_e64 s1, s11, v42
	v_cndmask_b32_e32 v49, 0, v49, vcc_lo
	v_cmp_gt_i32_e32 vcc_lo, s11, v47
	v_cndmask_b32_e64 v10, 0, v10, s1
	v_cndmask_b32_sdwa v4, v30, v4, vcc_lo dst_sel:DWORD dst_unused:UNUSED_PAD src0_sel:DWORD src1_sel:WORD_0
	v_cmp_gt_i32_e32 vcc_lo, s11, v33
	v_cndmask_b32_e32 v50, 0, v50, vcc_lo
	v_cmp_gt_i32_e32 vcc_lo, s11, v37
	v_or_b32_e32 v4, v4, v50
	v_cndmask_b32_e32 v3, 0, v3, vcc_lo
	v_cmp_gt_i32_e32 vcc_lo, s11, v36
	v_cndmask_b32_e32 v9, 0, v9, vcc_lo
.LBB105_30:                             ;   in Loop: Header=BB105_26 Depth=1
	s_or_b32 exec_lo, exec_lo, s13
	v_lshlrev_b32_e32 v49, 16, v49
	v_lshlrev_b32_e32 v10, 16, v10
	;; [unrolled: 1-line block ×3, first 2 shown]
	v_and_or_b32 v1, 0xffff, v1, v49
	v_and_or_b32 v2, 0xffff, v2, v10
	;; [unrolled: 1-line block ×3, first 2 shown]
	;;#ASMSTART
	v_pk_mul_f16 v1, v39, v1;

	;;#ASMEND
	;;#ASMSTART
	v_pk_mul_f16 v2, v38, v2;

	;;#ASMEND
	;; [unrolled: 4-line block ×4, first 2 shown]
	;;#ASMSTART
	v_pk_add_f16 v1, v1, v2;

	;;#ASMEND
	;;#ASMSTART
	v_pk_add_f16 v1, v1, v3;

	;;#ASMEND
	;;#ASMSTART
	v_pk_add_f16 v1, v1, v4;

	;;#ASMEND
	v_and_b32_e32 v2, 0xffff, v1
	v_lshrrev_b32_e32 v1, 16, v1
	;;#ASMSTART
	v_cvt_f32_f16 v49, v2;
	;;#ASMEND
	;;#ASMSTART
	v_cvt_f32_f16 v50, v1;
	;;#ASMEND
	global_load_dwordx4 v[1:4], v[7:8], off offset:1024
	s_waitcnt vmcnt(0)
	v_lshrrev_b32_e32 v51, 16, v1
	v_lshrrev_b32_e32 v10, 16, v2
	;; [unrolled: 1-line block ×3, first 2 shown]
	s_and_saveexec_b32 s13, s0
	s_cbranch_execz .LBB105_32
; %bb.31:                               ;   in Loop: Header=BB105_26 Depth=1
	v_cmp_gt_i32_e32 vcc_lo, s11, v46
	v_and_b32_e32 v52, 0xffff0000, v4
	v_cmp_gt_i32_e64 s1, s11, v44
	v_cndmask_b32_e32 v1, 0, v1, vcc_lo
	v_cmp_gt_i32_e32 vcc_lo, s11, v48
	v_cndmask_b32_e64 v2, 0, v2, s1
	v_cmp_gt_i32_e64 s1, s11, v42
	v_cndmask_b32_e32 v51, 0, v51, vcc_lo
	v_cmp_gt_i32_e32 vcc_lo, s11, v47
	v_cndmask_b32_e64 v10, 0, v10, s1
	v_cndmask_b32_sdwa v4, v30, v4, vcc_lo dst_sel:DWORD dst_unused:UNUSED_PAD src0_sel:DWORD src1_sel:WORD_0
	v_cmp_gt_i32_e32 vcc_lo, s11, v33
	v_cndmask_b32_e32 v52, 0, v52, vcc_lo
	v_cmp_gt_i32_e32 vcc_lo, s11, v37
	v_or_b32_e32 v4, v4, v52
	v_cndmask_b32_e32 v3, 0, v3, vcc_lo
	v_cmp_gt_i32_e32 vcc_lo, s11, v36
	v_cndmask_b32_e32 v9, 0, v9, vcc_lo
.LBB105_32:                             ;   in Loop: Header=BB105_26 Depth=1
	s_or_b32 exec_lo, exec_lo, s13
	v_lshlrev_b32_e32 v51, 16, v51
	v_lshlrev_b32_e32 v10, 16, v10
	;; [unrolled: 1-line block ×3, first 2 shown]
	v_and_or_b32 v1, 0xffff, v1, v51
	v_and_or_b32 v2, 0xffff, v2, v10
	;; [unrolled: 1-line block ×3, first 2 shown]
	;;#ASMSTART
	v_pk_mul_f16 v1, v39, v1;

	;;#ASMEND
	;;#ASMSTART
	v_pk_mul_f16 v2, v38, v2;

	;;#ASMEND
	;; [unrolled: 4-line block ×4, first 2 shown]
	;;#ASMSTART
	v_pk_add_f16 v1, v1, v2;

	;;#ASMEND
	;;#ASMSTART
	v_pk_add_f16 v1, v1, v3;

	;;#ASMEND
	;; [unrolled: 4-line block ×3, first 2 shown]
	v_and_b32_e32 v2, 0xffff, v1
	v_lshrrev_b32_e32 v1, 16, v1
	;;#ASMSTART
	v_cvt_f32_f16 v51, v2;
	;;#ASMEND
	;;#ASMSTART
	v_cvt_f32_f16 v52, v1;
	;;#ASMEND
	global_load_dwordx4 v[1:4], v[7:8], off offset:1536
	s_waitcnt vmcnt(0)
	v_lshrrev_b32_e32 v53, 16, v1
	v_lshrrev_b32_e32 v10, 16, v2
	;; [unrolled: 1-line block ×3, first 2 shown]
	s_and_saveexec_b32 s13, s0
	s_cbranch_execz .LBB105_34
; %bb.33:                               ;   in Loop: Header=BB105_26 Depth=1
	v_cmp_gt_i32_e32 vcc_lo, s11, v46
	v_and_b32_e32 v54, 0xffff0000, v4
	v_cmp_gt_i32_e64 s1, s11, v44
	v_cndmask_b32_e32 v1, 0, v1, vcc_lo
	v_cmp_gt_i32_e32 vcc_lo, s11, v48
	v_cndmask_b32_e64 v2, 0, v2, s1
	v_cmp_gt_i32_e64 s1, s11, v42
	v_cndmask_b32_e32 v53, 0, v53, vcc_lo
	v_cmp_gt_i32_e32 vcc_lo, s11, v47
	v_cndmask_b32_e64 v10, 0, v10, s1
	v_cndmask_b32_sdwa v4, v30, v4, vcc_lo dst_sel:DWORD dst_unused:UNUSED_PAD src0_sel:DWORD src1_sel:WORD_0
	v_cmp_gt_i32_e32 vcc_lo, s11, v33
	v_cndmask_b32_e32 v54, 0, v54, vcc_lo
	v_cmp_gt_i32_e32 vcc_lo, s11, v37
	v_or_b32_e32 v4, v4, v54
	v_cndmask_b32_e32 v3, 0, v3, vcc_lo
	v_cmp_gt_i32_e32 vcc_lo, s11, v36
	v_cndmask_b32_e32 v9, 0, v9, vcc_lo
.LBB105_34:                             ;   in Loop: Header=BB105_26 Depth=1
	s_or_b32 exec_lo, exec_lo, s13
	v_lshlrev_b32_e32 v9, 16, v9
	v_lshlrev_b32_e32 v53, 16, v53
	;; [unrolled: 1-line block ×3, first 2 shown]
	v_and_or_b32 v3, 0xffff, v3, v9
	v_add_co_u32 v9, vcc_lo, 0x800, v7
	v_and_or_b32 v1, 0xffff, v1, v53
	v_and_or_b32 v2, 0xffff, v2, v10
	;;#ASMSTART
	v_pk_mul_f16 v1, v39, v1;

	;;#ASMEND
	v_add_co_ci_u32_e64 v10, null, 0, v8, vcc_lo
	;;#ASMSTART
	v_pk_mul_f16 v2, v38, v2;

	;;#ASMEND
	;;#ASMSTART
	v_pk_mul_f16 v3, v40, v3;

	;;#ASMEND
	;; [unrolled: 4-line block ×3, first 2 shown]
	;;#ASMSTART
	v_pk_add_f16 v1, v1, v2;

	;;#ASMEND
	;;#ASMSTART
	v_pk_add_f16 v1, v1, v3;

	;;#ASMEND
	;;#ASMSTART
	v_pk_add_f16 v1, v1, v4;

	;;#ASMEND
	v_lshrrev_b32_e32 v2, 16, v1
	v_and_b32_e32 v1, 0xffff, v1
	;;#ASMSTART
	v_cvt_f32_f16 v53, v1;
	;;#ASMEND
	;;#ASMSTART
	v_cvt_f32_f16 v54, v2;
	;;#ASMEND
	global_load_dwordx4 v[1:4], v[9:10], off
	s_waitcnt vmcnt(0)
	v_lshrrev_b32_e32 v57, 16, v1
	v_lshrrev_b32_e32 v56, 16, v2
	;; [unrolled: 1-line block ×3, first 2 shown]
	s_and_saveexec_b32 s13, s0
	s_cbranch_execz .LBB105_36
; %bb.35:                               ;   in Loop: Header=BB105_26 Depth=1
	v_cmp_gt_i32_e32 vcc_lo, s11, v46
	v_and_b32_e32 v58, 0xffff0000, v4
	v_cmp_gt_i32_e64 s1, s11, v44
	v_cndmask_b32_e32 v1, 0, v1, vcc_lo
	v_cmp_gt_i32_e32 vcc_lo, s11, v48
	v_cndmask_b32_e64 v2, 0, v2, s1
	v_cmp_gt_i32_e64 s1, s11, v42
	v_cndmask_b32_e32 v57, 0, v57, vcc_lo
	v_cmp_gt_i32_e32 vcc_lo, s11, v47
	v_cndmask_b32_e64 v56, 0, v56, s1
	v_cndmask_b32_sdwa v4, v30, v4, vcc_lo dst_sel:DWORD dst_unused:UNUSED_PAD src0_sel:DWORD src1_sel:WORD_0
	v_cmp_gt_i32_e32 vcc_lo, s11, v33
	v_cndmask_b32_e32 v58, 0, v58, vcc_lo
	v_cmp_gt_i32_e32 vcc_lo, s11, v37
	v_or_b32_e32 v4, v4, v58
	v_cndmask_b32_e32 v3, 0, v3, vcc_lo
	v_cmp_gt_i32_e32 vcc_lo, s11, v36
	v_cndmask_b32_e32 v55, 0, v55, vcc_lo
.LBB105_36:                             ;   in Loop: Header=BB105_26 Depth=1
	s_or_b32 exec_lo, exec_lo, s13
	v_lshlrev_b32_e32 v57, 16, v57
	v_lshlrev_b32_e32 v56, 16, v56
	;; [unrolled: 1-line block ×3, first 2 shown]
	v_and_or_b32 v1, 0xffff, v1, v57
	v_and_or_b32 v2, 0xffff, v2, v56
	v_and_or_b32 v3, 0xffff, v3, v55
	;;#ASMSTART
	v_pk_mul_f16 v1, v39, v1;

	;;#ASMEND
	;;#ASMSTART
	v_pk_mul_f16 v2, v38, v2;

	;;#ASMEND
	;;#ASMSTART
	v_pk_mul_f16 v3, v40, v3;

	;;#ASMEND
	;;#ASMSTART
	v_pk_mul_f16 v4, v41, v4;

	;;#ASMEND
	;;#ASMSTART
	v_pk_add_f16 v1, v1, v2;

	;;#ASMEND
	;;#ASMSTART
	v_pk_add_f16 v1, v1, v3;

	;;#ASMEND
	;;#ASMSTART
	v_pk_add_f16 v1, v1, v4;

	;;#ASMEND
	v_and_b32_e32 v2, 0xffff, v1
	v_lshrrev_b32_e32 v1, 16, v1
	;;#ASMSTART
	v_cvt_f32_f16 v55, v2;
	;;#ASMEND
	;;#ASMSTART
	v_cvt_f32_f16 v56, v1;
	;;#ASMEND
	global_load_dwordx4 v[1:4], v[9:10], off offset:512
	s_waitcnt vmcnt(0)
	v_lshrrev_b32_e32 v59, 16, v1
	v_lshrrev_b32_e32 v58, 16, v2
	;; [unrolled: 1-line block ×3, first 2 shown]
	s_and_saveexec_b32 s13, s0
	s_cbranch_execz .LBB105_38
; %bb.37:                               ;   in Loop: Header=BB105_26 Depth=1
	v_cmp_gt_i32_e32 vcc_lo, s11, v46
	v_and_b32_e32 v60, 0xffff0000, v4
	v_cmp_gt_i32_e64 s1, s11, v44
	v_cndmask_b32_e32 v1, 0, v1, vcc_lo
	v_cmp_gt_i32_e32 vcc_lo, s11, v48
	v_cndmask_b32_e64 v2, 0, v2, s1
	v_cmp_gt_i32_e64 s1, s11, v42
	v_cndmask_b32_e32 v59, 0, v59, vcc_lo
	v_cmp_gt_i32_e32 vcc_lo, s11, v47
	v_cndmask_b32_e64 v58, 0, v58, s1
	v_cndmask_b32_sdwa v4, v30, v4, vcc_lo dst_sel:DWORD dst_unused:UNUSED_PAD src0_sel:DWORD src1_sel:WORD_0
	v_cmp_gt_i32_e32 vcc_lo, s11, v33
	v_cndmask_b32_e32 v60, 0, v60, vcc_lo
	v_cmp_gt_i32_e32 vcc_lo, s11, v37
	v_or_b32_e32 v4, v4, v60
	v_cndmask_b32_e32 v3, 0, v3, vcc_lo
	v_cmp_gt_i32_e32 vcc_lo, s11, v36
	v_cndmask_b32_e32 v57, 0, v57, vcc_lo
.LBB105_38:                             ;   in Loop: Header=BB105_26 Depth=1
	s_or_b32 exec_lo, exec_lo, s13
	v_lshlrev_b32_e32 v59, 16, v59
	v_lshlrev_b32_e32 v58, 16, v58
	;; [unrolled: 1-line block ×3, first 2 shown]
	v_and_or_b32 v1, 0xffff, v1, v59
	v_and_or_b32 v2, 0xffff, v2, v58
	;; [unrolled: 1-line block ×3, first 2 shown]
	;;#ASMSTART
	v_pk_mul_f16 v1, v39, v1;

	;;#ASMEND
	;;#ASMSTART
	v_pk_mul_f16 v2, v38, v2;

	;;#ASMEND
	;;#ASMSTART
	v_pk_mul_f16 v3, v40, v3;

	;;#ASMEND
	;;#ASMSTART
	v_pk_mul_f16 v4, v41, v4;

	;;#ASMEND
	;;#ASMSTART
	v_pk_add_f16 v1, v1, v2;

	;;#ASMEND
	;;#ASMSTART
	v_pk_add_f16 v1, v1, v3;

	;;#ASMEND
	;; [unrolled: 4-line block ×3, first 2 shown]
	v_and_b32_e32 v2, 0xffff, v1
	v_lshrrev_b32_e32 v1, 16, v1
	;;#ASMSTART
	v_cvt_f32_f16 v57, v2;
	;;#ASMEND
	;;#ASMSTART
	v_cvt_f32_f16 v58, v1;
	;;#ASMEND
	global_load_dwordx4 v[1:4], v[9:10], off offset:1024
	s_waitcnt vmcnt(0)
	v_lshrrev_b32_e32 v61, 16, v1
	v_lshrrev_b32_e32 v60, 16, v2
	v_lshrrev_b32_e32 v59, 16, v3
	s_and_saveexec_b32 s13, s0
	s_cbranch_execz .LBB105_40
; %bb.39:                               ;   in Loop: Header=BB105_26 Depth=1
	v_cmp_gt_i32_e32 vcc_lo, s11, v46
	v_and_b32_e32 v62, 0xffff0000, v4
	v_cmp_gt_i32_e64 s1, s11, v44
	v_cndmask_b32_e32 v1, 0, v1, vcc_lo
	v_cmp_gt_i32_e32 vcc_lo, s11, v48
	v_cndmask_b32_e64 v2, 0, v2, s1
	v_cmp_gt_i32_e64 s1, s11, v42
	v_cndmask_b32_e32 v61, 0, v61, vcc_lo
	v_cmp_gt_i32_e32 vcc_lo, s11, v47
	v_cndmask_b32_e64 v60, 0, v60, s1
	v_cndmask_b32_sdwa v4, v30, v4, vcc_lo dst_sel:DWORD dst_unused:UNUSED_PAD src0_sel:DWORD src1_sel:WORD_0
	v_cmp_gt_i32_e32 vcc_lo, s11, v33
	v_cndmask_b32_e32 v62, 0, v62, vcc_lo
	v_cmp_gt_i32_e32 vcc_lo, s11, v37
	v_or_b32_e32 v4, v4, v62
	v_cndmask_b32_e32 v3, 0, v3, vcc_lo
	v_cmp_gt_i32_e32 vcc_lo, s11, v36
	v_cndmask_b32_e32 v59, 0, v59, vcc_lo
.LBB105_40:                             ;   in Loop: Header=BB105_26 Depth=1
	s_or_b32 exec_lo, exec_lo, s13
	v_lshlrev_b32_e32 v61, 16, v61
	v_lshlrev_b32_e32 v60, 16, v60
	;; [unrolled: 1-line block ×3, first 2 shown]
	v_and_or_b32 v1, 0xffff, v1, v61
	v_and_or_b32 v2, 0xffff, v2, v60
	;; [unrolled: 1-line block ×3, first 2 shown]
	;;#ASMSTART
	v_pk_mul_f16 v1, v39, v1;

	;;#ASMEND
	;;#ASMSTART
	v_pk_mul_f16 v2, v38, v2;

	;;#ASMEND
	;; [unrolled: 4-line block ×4, first 2 shown]
	;;#ASMSTART
	v_pk_add_f16 v1, v1, v2;

	;;#ASMEND
	;;#ASMSTART
	v_pk_add_f16 v1, v1, v3;

	;;#ASMEND
	;; [unrolled: 4-line block ×3, first 2 shown]
	v_and_b32_e32 v2, 0xffff, v1
	v_lshrrev_b32_e32 v1, 16, v1
	;;#ASMSTART
	v_cvt_f32_f16 v59, v2;
	;;#ASMEND
	;;#ASMSTART
	v_cvt_f32_f16 v60, v1;
	;;#ASMEND
	global_load_dwordx4 v[1:4], v[9:10], off offset:1536
	s_waitcnt vmcnt(0)
	v_lshrrev_b32_e32 v61, 16, v1
	v_lshrrev_b32_e32 v10, 16, v2
	;; [unrolled: 1-line block ×3, first 2 shown]
	s_and_saveexec_b32 s13, s0
	s_cbranch_execz .LBB105_42
; %bb.41:                               ;   in Loop: Header=BB105_26 Depth=1
	v_cmp_gt_i32_e32 vcc_lo, s11, v46
	v_and_b32_e32 v62, 0xffff0000, v4
	v_cmp_gt_i32_e64 s1, s11, v44
	v_cndmask_b32_e32 v1, 0, v1, vcc_lo
	v_cmp_gt_i32_e32 vcc_lo, s11, v48
	v_cndmask_b32_e64 v2, 0, v2, s1
	v_cmp_gt_i32_e64 s1, s11, v42
	v_cndmask_b32_e32 v61, 0, v61, vcc_lo
	v_cmp_gt_i32_e32 vcc_lo, s11, v47
	v_cndmask_b32_e64 v10, 0, v10, s1
	v_cndmask_b32_sdwa v4, v30, v4, vcc_lo dst_sel:DWORD dst_unused:UNUSED_PAD src0_sel:DWORD src1_sel:WORD_0
	v_cmp_gt_i32_e32 vcc_lo, s11, v33
	v_cndmask_b32_e32 v62, 0, v62, vcc_lo
	v_cmp_gt_i32_e32 vcc_lo, s11, v37
	v_or_b32_e32 v4, v4, v62
	v_cndmask_b32_e32 v3, 0, v3, vcc_lo
	v_cmp_gt_i32_e32 vcc_lo, s11, v36
	v_cndmask_b32_e32 v9, 0, v9, vcc_lo
.LBB105_42:                             ;   in Loop: Header=BB105_26 Depth=1
	s_or_b32 exec_lo, exec_lo, s13
	v_lshlrev_b32_e32 v9, 16, v9
	v_lshlrev_b32_e32 v61, 16, v61
	;; [unrolled: 1-line block ×3, first 2 shown]
	v_and_or_b32 v3, 0xffff, v3, v9
	v_add_co_u32 v9, vcc_lo, 0x1000, v7
	v_and_or_b32 v1, 0xffff, v1, v61
	v_and_or_b32 v2, 0xffff, v2, v10
	;;#ASMSTART
	v_pk_mul_f16 v1, v39, v1;

	;;#ASMEND
	v_add_co_ci_u32_e64 v10, null, 0, v8, vcc_lo
	;;#ASMSTART
	v_pk_mul_f16 v2, v38, v2;

	;;#ASMEND
	;;#ASMSTART
	v_pk_mul_f16 v3, v40, v3;

	;;#ASMEND
	;; [unrolled: 4-line block ×3, first 2 shown]
	;;#ASMSTART
	v_pk_add_f16 v1, v1, v2;

	;;#ASMEND
	;;#ASMSTART
	v_pk_add_f16 v1, v1, v3;

	;;#ASMEND
	;; [unrolled: 4-line block ×3, first 2 shown]
	v_lshrrev_b32_e32 v2, 16, v1
	v_and_b32_e32 v1, 0xffff, v1
	;;#ASMSTART
	v_cvt_f32_f16 v61, v1;
	;;#ASMEND
	;;#ASMSTART
	v_cvt_f32_f16 v62, v2;
	;;#ASMEND
	global_load_dwordx4 v[1:4], v[9:10], off
	s_waitcnt vmcnt(0)
	v_lshrrev_b32_e32 v65, 16, v1
	v_lshrrev_b32_e32 v64, 16, v2
	;; [unrolled: 1-line block ×3, first 2 shown]
	s_and_saveexec_b32 s13, s0
	s_cbranch_execz .LBB105_44
; %bb.43:                               ;   in Loop: Header=BB105_26 Depth=1
	v_cmp_gt_i32_e32 vcc_lo, s11, v46
	v_and_b32_e32 v66, 0xffff0000, v4
	v_cmp_gt_i32_e64 s1, s11, v44
	v_cndmask_b32_e32 v1, 0, v1, vcc_lo
	v_cmp_gt_i32_e32 vcc_lo, s11, v48
	v_cndmask_b32_e64 v2, 0, v2, s1
	v_cmp_gt_i32_e64 s1, s11, v42
	v_cndmask_b32_e32 v65, 0, v65, vcc_lo
	v_cmp_gt_i32_e32 vcc_lo, s11, v47
	v_cndmask_b32_e64 v64, 0, v64, s1
	v_cndmask_b32_sdwa v4, v30, v4, vcc_lo dst_sel:DWORD dst_unused:UNUSED_PAD src0_sel:DWORD src1_sel:WORD_0
	v_cmp_gt_i32_e32 vcc_lo, s11, v33
	v_cndmask_b32_e32 v66, 0, v66, vcc_lo
	v_cmp_gt_i32_e32 vcc_lo, s11, v37
	v_or_b32_e32 v4, v4, v66
	v_cndmask_b32_e32 v3, 0, v3, vcc_lo
	v_cmp_gt_i32_e32 vcc_lo, s11, v36
	v_cndmask_b32_e32 v63, 0, v63, vcc_lo
.LBB105_44:                             ;   in Loop: Header=BB105_26 Depth=1
	s_or_b32 exec_lo, exec_lo, s13
	v_lshlrev_b32_e32 v65, 16, v65
	v_lshlrev_b32_e32 v64, 16, v64
	;; [unrolled: 1-line block ×3, first 2 shown]
	v_and_or_b32 v1, 0xffff, v1, v65
	v_and_or_b32 v2, 0xffff, v2, v64
	;; [unrolled: 1-line block ×3, first 2 shown]
	;;#ASMSTART
	v_pk_mul_f16 v1, v39, v1;

	;;#ASMEND
	;;#ASMSTART
	v_pk_mul_f16 v2, v38, v2;

	;;#ASMEND
	;; [unrolled: 4-line block ×4, first 2 shown]
	;;#ASMSTART
	v_pk_add_f16 v1, v1, v2;

	;;#ASMEND
	;;#ASMSTART
	v_pk_add_f16 v1, v1, v3;

	;;#ASMEND
	;; [unrolled: 4-line block ×3, first 2 shown]
	v_and_b32_e32 v2, 0xffff, v1
	v_lshrrev_b32_e32 v1, 16, v1
	;;#ASMSTART
	v_cvt_f32_f16 v63, v2;
	;;#ASMEND
	;;#ASMSTART
	v_cvt_f32_f16 v64, v1;
	;;#ASMEND
	global_load_dwordx4 v[1:4], v[9:10], off offset:512
	s_waitcnt vmcnt(0)
	v_lshrrev_b32_e32 v69, 16, v1
	v_lshrrev_b32_e32 v66, 16, v2
	;; [unrolled: 1-line block ×3, first 2 shown]
	s_and_saveexec_b32 s13, s0
	s_cbranch_execz .LBB105_46
; %bb.45:                               ;   in Loop: Header=BB105_26 Depth=1
	v_cmp_gt_i32_e32 vcc_lo, s11, v46
	v_and_b32_e32 v70, 0xffff0000, v4
	v_cmp_gt_i32_e64 s1, s11, v44
	v_cndmask_b32_e32 v1, 0, v1, vcc_lo
	v_cmp_gt_i32_e32 vcc_lo, s11, v48
	v_cndmask_b32_e64 v2, 0, v2, s1
	v_cmp_gt_i32_e64 s1, s11, v42
	v_cndmask_b32_e32 v69, 0, v69, vcc_lo
	v_cmp_gt_i32_e32 vcc_lo, s11, v47
	v_cndmask_b32_e64 v66, 0, v66, s1
	v_cndmask_b32_sdwa v4, v30, v4, vcc_lo dst_sel:DWORD dst_unused:UNUSED_PAD src0_sel:DWORD src1_sel:WORD_0
	v_cmp_gt_i32_e32 vcc_lo, s11, v33
	v_cndmask_b32_e32 v70, 0, v70, vcc_lo
	v_cmp_gt_i32_e32 vcc_lo, s11, v37
	v_or_b32_e32 v4, v4, v70
	v_cndmask_b32_e32 v3, 0, v3, vcc_lo
	v_cmp_gt_i32_e32 vcc_lo, s11, v36
	v_cndmask_b32_e32 v65, 0, v65, vcc_lo
.LBB105_46:                             ;   in Loop: Header=BB105_26 Depth=1
	s_or_b32 exec_lo, exec_lo, s13
	v_lshlrev_b32_e32 v69, 16, v69
	v_lshlrev_b32_e32 v66, 16, v66
	;; [unrolled: 1-line block ×3, first 2 shown]
	v_and_or_b32 v1, 0xffff, v1, v69
	v_and_or_b32 v2, 0xffff, v2, v66
	;; [unrolled: 1-line block ×3, first 2 shown]
	;;#ASMSTART
	v_pk_mul_f16 v1, v39, v1;

	;;#ASMEND
	;;#ASMSTART
	v_pk_mul_f16 v2, v38, v2;

	;;#ASMEND
	;; [unrolled: 4-line block ×4, first 2 shown]
	;;#ASMSTART
	v_pk_add_f16 v1, v1, v2;

	;;#ASMEND
	;;#ASMSTART
	v_pk_add_f16 v1, v1, v3;

	;;#ASMEND
	;; [unrolled: 4-line block ×3, first 2 shown]
	v_and_b32_e32 v2, 0xffff, v1
	v_lshrrev_b32_e32 v1, 16, v1
	;;#ASMSTART
	v_cvt_f32_f16 v65, v2;
	;;#ASMEND
	;;#ASMSTART
	v_cvt_f32_f16 v66, v1;
	;;#ASMEND
	global_load_dwordx4 v[1:4], v[9:10], off offset:1024
	s_waitcnt vmcnt(0)
	v_lshrrev_b32_e32 v71, 16, v1
	v_lshrrev_b32_e32 v70, 16, v2
	;; [unrolled: 1-line block ×3, first 2 shown]
	s_and_saveexec_b32 s13, s0
	s_cbranch_execz .LBB105_48
; %bb.47:                               ;   in Loop: Header=BB105_26 Depth=1
	v_cmp_gt_i32_e32 vcc_lo, s11, v46
	v_and_b32_e32 v72, 0xffff0000, v4
	v_cmp_gt_i32_e64 s1, s11, v44
	v_cndmask_b32_e32 v1, 0, v1, vcc_lo
	v_cmp_gt_i32_e32 vcc_lo, s11, v48
	v_cndmask_b32_e64 v2, 0, v2, s1
	v_cmp_gt_i32_e64 s1, s11, v42
	v_cndmask_b32_e32 v71, 0, v71, vcc_lo
	v_cmp_gt_i32_e32 vcc_lo, s11, v47
	v_cndmask_b32_e64 v70, 0, v70, s1
	v_cndmask_b32_sdwa v4, v30, v4, vcc_lo dst_sel:DWORD dst_unused:UNUSED_PAD src0_sel:DWORD src1_sel:WORD_0
	v_cmp_gt_i32_e32 vcc_lo, s11, v33
	v_cndmask_b32_e32 v72, 0, v72, vcc_lo
	v_cmp_gt_i32_e32 vcc_lo, s11, v37
	v_or_b32_e32 v4, v4, v72
	v_cndmask_b32_e32 v3, 0, v3, vcc_lo
	v_cmp_gt_i32_e32 vcc_lo, s11, v36
	v_cndmask_b32_e32 v69, 0, v69, vcc_lo
.LBB105_48:                             ;   in Loop: Header=BB105_26 Depth=1
	s_or_b32 exec_lo, exec_lo, s13
	v_lshlrev_b32_e32 v71, 16, v71
	v_lshlrev_b32_e32 v70, 16, v70
	;; [unrolled: 1-line block ×3, first 2 shown]
	v_and_or_b32 v1, 0xffff, v1, v71
	v_and_or_b32 v2, 0xffff, v2, v70
	;; [unrolled: 1-line block ×3, first 2 shown]
	;;#ASMSTART
	v_pk_mul_f16 v1, v39, v1;

	;;#ASMEND
	;;#ASMSTART
	v_pk_mul_f16 v2, v38, v2;

	;;#ASMEND
	;; [unrolled: 4-line block ×4, first 2 shown]
	;;#ASMSTART
	v_pk_add_f16 v1, v1, v2;

	;;#ASMEND
	;;#ASMSTART
	v_pk_add_f16 v1, v1, v3;

	;;#ASMEND
	;; [unrolled: 4-line block ×3, first 2 shown]
	v_and_b32_e32 v2, 0xffff, v1
	v_lshrrev_b32_e32 v1, 16, v1
	;;#ASMSTART
	v_cvt_f32_f16 v69, v2;
	;;#ASMEND
	;;#ASMSTART
	v_cvt_f32_f16 v70, v1;
	;;#ASMEND
	global_load_dwordx4 v[1:4], v[9:10], off offset:1536
	s_waitcnt vmcnt(0)
	v_lshrrev_b32_e32 v71, 16, v1
	v_lshrrev_b32_e32 v10, 16, v2
	;; [unrolled: 1-line block ×3, first 2 shown]
	s_and_saveexec_b32 s13, s0
	s_cbranch_execz .LBB105_50
; %bb.49:                               ;   in Loop: Header=BB105_26 Depth=1
	v_cmp_gt_i32_e32 vcc_lo, s11, v46
	v_and_b32_e32 v72, 0xffff0000, v4
	v_cmp_gt_i32_e64 s1, s11, v44
	v_cndmask_b32_e32 v1, 0, v1, vcc_lo
	v_cmp_gt_i32_e32 vcc_lo, s11, v48
	v_cndmask_b32_e64 v2, 0, v2, s1
	v_cmp_gt_i32_e64 s1, s11, v42
	v_cndmask_b32_e32 v71, 0, v71, vcc_lo
	v_cmp_gt_i32_e32 vcc_lo, s11, v47
	v_cndmask_b32_e64 v10, 0, v10, s1
	v_cndmask_b32_sdwa v4, v30, v4, vcc_lo dst_sel:DWORD dst_unused:UNUSED_PAD src0_sel:DWORD src1_sel:WORD_0
	v_cmp_gt_i32_e32 vcc_lo, s11, v33
	v_cndmask_b32_e32 v72, 0, v72, vcc_lo
	v_cmp_gt_i32_e32 vcc_lo, s11, v37
	v_or_b32_e32 v4, v4, v72
	v_cndmask_b32_e32 v3, 0, v3, vcc_lo
	v_cmp_gt_i32_e32 vcc_lo, s11, v36
	v_cndmask_b32_e32 v9, 0, v9, vcc_lo
.LBB105_50:                             ;   in Loop: Header=BB105_26 Depth=1
	s_or_b32 exec_lo, exec_lo, s13
	v_lshlrev_b32_e32 v71, 16, v71
	v_lshlrev_b32_e32 v10, 16, v10
	;; [unrolled: 1-line block ×3, first 2 shown]
	v_add_co_u32 v7, vcc_lo, 0x1800, v7
	v_and_or_b32 v1, 0xffff, v1, v71
	v_and_or_b32 v2, 0xffff, v2, v10
	;; [unrolled: 1-line block ×3, first 2 shown]
	;;#ASMSTART
	v_pk_mul_f16 v1, v39, v1;

	;;#ASMEND
	v_add_co_ci_u32_e64 v8, null, 0, v8, vcc_lo
	;;#ASMSTART
	v_pk_mul_f16 v2, v38, v2;

	;;#ASMEND
	;;#ASMSTART
	v_pk_mul_f16 v3, v40, v3;

	;;#ASMEND
	;; [unrolled: 4-line block ×3, first 2 shown]
	;;#ASMSTART
	v_pk_add_f16 v1, v1, v2;

	;;#ASMEND
	;;#ASMSTART
	v_pk_add_f16 v1, v1, v3;

	;;#ASMEND
	;; [unrolled: 4-line block ×3, first 2 shown]
	v_lshrrev_b32_e32 v2, 16, v1
	v_and_b32_e32 v1, 0xffff, v1
	;;#ASMSTART
	v_cvt_f32_f16 v9, v1;
	;;#ASMEND
	;;#ASMSTART
	v_cvt_f32_f16 v10, v2;
	;;#ASMEND
	global_load_dwordx4 v[1:4], v[7:8], off
	s_waitcnt vmcnt(0)
	v_lshrrev_b32_e32 v73, 16, v1
	v_lshrrev_b32_e32 v72, 16, v2
	v_lshrrev_b32_e32 v71, 16, v3
	s_and_saveexec_b32 s13, s0
	s_cbranch_execz .LBB105_52
; %bb.51:                               ;   in Loop: Header=BB105_26 Depth=1
	v_cmp_gt_i32_e32 vcc_lo, s11, v46
	v_and_b32_e32 v74, 0xffff0000, v4
	v_cmp_gt_i32_e64 s1, s11, v44
	v_cndmask_b32_e32 v1, 0, v1, vcc_lo
	v_cmp_gt_i32_e32 vcc_lo, s11, v48
	v_cndmask_b32_e64 v2, 0, v2, s1
	v_cmp_gt_i32_e64 s1, s11, v42
	v_cndmask_b32_e32 v73, 0, v73, vcc_lo
	v_cmp_gt_i32_e32 vcc_lo, s11, v47
	v_cndmask_b32_e64 v72, 0, v72, s1
	v_cndmask_b32_sdwa v4, v30, v4, vcc_lo dst_sel:DWORD dst_unused:UNUSED_PAD src0_sel:DWORD src1_sel:WORD_0
	v_cmp_gt_i32_e32 vcc_lo, s11, v33
	v_cndmask_b32_e32 v74, 0, v74, vcc_lo
	v_cmp_gt_i32_e32 vcc_lo, s11, v37
	v_or_b32_e32 v4, v4, v74
	v_cndmask_b32_e32 v3, 0, v3, vcc_lo
	v_cmp_gt_i32_e32 vcc_lo, s11, v36
	v_cndmask_b32_e32 v71, 0, v71, vcc_lo
.LBB105_52:                             ;   in Loop: Header=BB105_26 Depth=1
	s_or_b32 exec_lo, exec_lo, s13
	v_lshlrev_b32_e32 v73, 16, v73
	v_lshlrev_b32_e32 v72, 16, v72
	;; [unrolled: 1-line block ×3, first 2 shown]
	v_and_or_b32 v1, 0xffff, v1, v73
	v_and_or_b32 v2, 0xffff, v2, v72
	;; [unrolled: 1-line block ×3, first 2 shown]
	;;#ASMSTART
	v_pk_mul_f16 v1, v39, v1;

	;;#ASMEND
	;;#ASMSTART
	v_pk_mul_f16 v2, v38, v2;

	;;#ASMEND
	;; [unrolled: 4-line block ×4, first 2 shown]
	;;#ASMSTART
	v_pk_add_f16 v1, v1, v2;

	;;#ASMEND
	;;#ASMSTART
	v_pk_add_f16 v1, v1, v3;

	;;#ASMEND
	;; [unrolled: 4-line block ×3, first 2 shown]
	v_and_b32_e32 v2, 0xffff, v1
	v_lshrrev_b32_e32 v1, 16, v1
	;;#ASMSTART
	v_cvt_f32_f16 v71, v2;
	;;#ASMEND
	;;#ASMSTART
	v_cvt_f32_f16 v72, v1;
	;;#ASMEND
	global_load_dwordx4 v[1:4], v[7:8], off offset:512
	s_waitcnt vmcnt(0)
	v_lshrrev_b32_e32 v75, 16, v1
	v_lshrrev_b32_e32 v74, 16, v2
	;; [unrolled: 1-line block ×3, first 2 shown]
	s_and_saveexec_b32 s13, s0
	s_cbranch_execz .LBB105_54
; %bb.53:                               ;   in Loop: Header=BB105_26 Depth=1
	v_cmp_gt_i32_e32 vcc_lo, s11, v46
	v_and_b32_e32 v76, 0xffff0000, v4
	v_cmp_gt_i32_e64 s1, s11, v44
	v_cndmask_b32_e32 v1, 0, v1, vcc_lo
	v_cmp_gt_i32_e32 vcc_lo, s11, v48
	v_cndmask_b32_e64 v2, 0, v2, s1
	v_cmp_gt_i32_e64 s1, s11, v42
	v_cndmask_b32_e32 v75, 0, v75, vcc_lo
	v_cmp_gt_i32_e32 vcc_lo, s11, v47
	v_cndmask_b32_e64 v74, 0, v74, s1
	v_cndmask_b32_sdwa v4, v30, v4, vcc_lo dst_sel:DWORD dst_unused:UNUSED_PAD src0_sel:DWORD src1_sel:WORD_0
	v_cmp_gt_i32_e32 vcc_lo, s11, v33
	v_cndmask_b32_e32 v76, 0, v76, vcc_lo
	v_cmp_gt_i32_e32 vcc_lo, s11, v37
	v_or_b32_e32 v4, v4, v76
	v_cndmask_b32_e32 v3, 0, v3, vcc_lo
	v_cmp_gt_i32_e32 vcc_lo, s11, v36
	v_cndmask_b32_e32 v73, 0, v73, vcc_lo
.LBB105_54:                             ;   in Loop: Header=BB105_26 Depth=1
	s_or_b32 exec_lo, exec_lo, s13
	v_lshlrev_b32_e32 v75, 16, v75
	v_lshlrev_b32_e32 v74, 16, v74
	;; [unrolled: 1-line block ×3, first 2 shown]
	v_and_or_b32 v1, 0xffff, v1, v75
	v_and_or_b32 v2, 0xffff, v2, v74
	;; [unrolled: 1-line block ×3, first 2 shown]
	;;#ASMSTART
	v_pk_mul_f16 v1, v39, v1;

	;;#ASMEND
	;;#ASMSTART
	v_pk_mul_f16 v2, v38, v2;

	;;#ASMEND
	;;#ASMSTART
	v_pk_mul_f16 v3, v40, v3;

	;;#ASMEND
	;;#ASMSTART
	v_pk_mul_f16 v4, v41, v4;

	;;#ASMEND
	;;#ASMSTART
	v_pk_add_f16 v1, v1, v2;

	;;#ASMEND
	;;#ASMSTART
	v_pk_add_f16 v1, v1, v3;

	;;#ASMEND
	;; [unrolled: 4-line block ×3, first 2 shown]
	v_and_b32_e32 v2, 0xffff, v1
	v_lshrrev_b32_e32 v1, 16, v1
	;;#ASMSTART
	v_cvt_f32_f16 v73, v2;
	;;#ASMEND
	;;#ASMSTART
	v_cvt_f32_f16 v74, v1;
	;;#ASMEND
	global_load_dwordx4 v[1:4], v[7:8], off offset:1024
	s_waitcnt vmcnt(0)
	v_lshrrev_b32_e32 v77, 16, v1
	v_lshrrev_b32_e32 v76, 16, v2
	;; [unrolled: 1-line block ×3, first 2 shown]
	s_and_saveexec_b32 s13, s0
	s_cbranch_execz .LBB105_56
; %bb.55:                               ;   in Loop: Header=BB105_26 Depth=1
	v_cmp_gt_i32_e32 vcc_lo, s11, v46
	v_and_b32_e32 v78, 0xffff0000, v4
	v_cmp_gt_i32_e64 s1, s11, v44
	v_cndmask_b32_e32 v1, 0, v1, vcc_lo
	v_cmp_gt_i32_e32 vcc_lo, s11, v48
	v_cndmask_b32_e64 v2, 0, v2, s1
	v_cmp_gt_i32_e64 s1, s11, v42
	v_cndmask_b32_e32 v77, 0, v77, vcc_lo
	v_cmp_gt_i32_e32 vcc_lo, s11, v47
	v_cndmask_b32_e64 v76, 0, v76, s1
	v_cndmask_b32_sdwa v4, v30, v4, vcc_lo dst_sel:DWORD dst_unused:UNUSED_PAD src0_sel:DWORD src1_sel:WORD_0
	v_cmp_gt_i32_e32 vcc_lo, s11, v33
	v_cndmask_b32_e32 v78, 0, v78, vcc_lo
	v_cmp_gt_i32_e32 vcc_lo, s11, v37
	v_or_b32_e32 v4, v4, v78
	v_cndmask_b32_e32 v3, 0, v3, vcc_lo
	v_cmp_gt_i32_e32 vcc_lo, s11, v36
	v_cndmask_b32_e32 v75, 0, v75, vcc_lo
.LBB105_56:                             ;   in Loop: Header=BB105_26 Depth=1
	s_or_b32 exec_lo, exec_lo, s13
	v_lshlrev_b32_e32 v77, 16, v77
	v_lshlrev_b32_e32 v76, 16, v76
	v_lshlrev_b32_e32 v75, 16, v75
	v_and_or_b32 v1, 0xffff, v1, v77
	v_and_or_b32 v2, 0xffff, v2, v76
	;; [unrolled: 1-line block ×3, first 2 shown]
	;;#ASMSTART
	v_pk_mul_f16 v1, v39, v1;

	;;#ASMEND
	;;#ASMSTART
	v_pk_mul_f16 v2, v38, v2;

	;;#ASMEND
	;; [unrolled: 4-line block ×4, first 2 shown]
	;;#ASMSTART
	v_pk_add_f16 v1, v1, v2;

	;;#ASMEND
	;;#ASMSTART
	v_pk_add_f16 v1, v1, v3;

	;;#ASMEND
	;;#ASMSTART
	v_pk_add_f16 v1, v1, v4;

	;;#ASMEND
	v_and_b32_e32 v2, 0xffff, v1
	v_lshrrev_b32_e32 v1, 16, v1
	;;#ASMSTART
	v_cvt_f32_f16 v76, v2;
	;;#ASMEND
	;;#ASMSTART
	v_cvt_f32_f16 v77, v1;
	;;#ASMEND
	global_load_dwordx4 v[1:4], v[7:8], off offset:1536
	s_waitcnt vmcnt(0)
	v_lshrrev_b32_e32 v75, 16, v1
	v_lshrrev_b32_e32 v8, 16, v2
	;; [unrolled: 1-line block ×3, first 2 shown]
	s_and_saveexec_b32 s1, s0
	s_cbranch_execz .LBB105_25
; %bb.57:                               ;   in Loop: Header=BB105_26 Depth=1
	v_cmp_gt_i32_e32 vcc_lo, s11, v46
	v_cmp_gt_i32_e64 s0, s11, v44
	v_cndmask_b32_e32 v1, 0, v1, vcc_lo
	v_cmp_gt_i32_e32 vcc_lo, s11, v48
	v_cndmask_b32_e64 v2, 0, v2, s0
	v_cmp_gt_i32_e64 s0, s11, v42
	v_and_b32_e32 v42, 0xffff0000, v4
	v_cndmask_b32_e32 v75, 0, v75, vcc_lo
	v_cmp_gt_i32_e32 vcc_lo, s11, v47
	v_cndmask_b32_e64 v8, 0, v8, s0
	v_cndmask_b32_sdwa v4, v30, v4, vcc_lo dst_sel:DWORD dst_unused:UNUSED_PAD src0_sel:DWORD src1_sel:WORD_0
	v_cmp_gt_i32_e32 vcc_lo, s11, v33
	v_cndmask_b32_e32 v42, 0, v42, vcc_lo
	v_cmp_gt_i32_e32 vcc_lo, s11, v37
	v_or_b32_e32 v4, v4, v42
	v_cndmask_b32_e32 v3, 0, v3, vcc_lo
	v_cmp_gt_i32_e32 vcc_lo, s11, v36
	v_cndmask_b32_e32 v7, 0, v7, vcc_lo
	s_branch .LBB105_25
.LBB105_58:
	s_or_b32 exec_lo, exec_lo, s4
.LBB105_59:
	s_or_b32 exec_lo, exec_lo, s2
	ds_bpermute_b32 v3, v12, v28
	ds_bpermute_b32 v31, v12, v18
	;; [unrolled: 1-line block ×16, first 2 shown]
	s_mov_b32 s0, exec_lo
	s_waitcnt lgkmcnt(0)
	s_barrier
	buffer_gl0_inv
	v_add_f32_e32 v3, v28, v3
	v_add_f32_e32 v18, v18, v31
	;; [unrolled: 1-line block ×7, first 2 shown]
	ds_bpermute_b32 v26, v11, v3
	v_add_f32_e32 v7, v23, v7
	v_add_f32_e32 v8, v22, v8
	;; [unrolled: 1-line block ×7, first 2 shown]
	ds_bpermute_b32 v35, v11, v18
	v_add_f32_e32 v34, v15, v34
	v_add_f32_e32 v37, v14, v12
	ds_bpermute_b32 v24, v11, v1
	ds_bpermute_b32 v25, v11, v2
	;; [unrolled: 1-line block ×14, first 2 shown]
	s_waitcnt lgkmcnt(15)
	v_add_f32_e32 v15, v3, v26
	s_waitcnt lgkmcnt(14)
	v_add_f32_e32 v3, v18, v35
	v_and_b32_e32 v18, 28, v68
	s_waitcnt lgkmcnt(13)
	v_add_f32_e32 v17, v1, v24
	s_waitcnt lgkmcnt(12)
	v_add_f32_e32 v16, v2, v25
	;; [unrolled: 2-line block ×13, first 2 shown]
	v_and_b32_e32 v21, 0x3c3, v0
	s_waitcnt lgkmcnt(0)
	v_add_f32_e32 v5, v37, v40
	v_lshrrev_b32_e32 v19, 2, v68
	v_add_nc_u32_e32 v18, 0x120, v18
	v_lshlrev_b32_e32 v20, 9, v67
	v_cmpx_eq_u32_e32 64, v21
	s_cbranch_execz .LBB105_61
; %bb.60:
	v_add_nc_u32_e32 v21, v18, v20
	v_add_nc_u32_e32 v22, 0xfffffc00, v21
	;; [unrolled: 1-line block ×7, first 2 shown]
	ds_write_b32 v22, v17
	ds_write_b32 v23, v16
	;; [unrolled: 1-line block ×6, first 2 shown]
	v_add_nc_u32_e32 v22, 0xfffffcc0, v21
	v_add_nc_u32_e32 v23, 0xfffffce0, v21
	;; [unrolled: 1-line block ×5, first 2 shown]
	ds_write_b32 v22, v10
	ds_write_b32 v23, v9
	;; [unrolled: 1-line block ×5, first 2 shown]
	v_add_nc_u32_e32 v22, 0xfffffd60, v21
	v_add_nc_u32_e32 v23, 0xfffffd80, v21
	;; [unrolled: 1-line block ×5, first 2 shown]
	ds_write_b32 v22, v3
	ds_write_b32 v23, v2
	;; [unrolled: 1-line block ×5, first 2 shown]
.LBB105_61:
	s_or_b32 exec_lo, exec_lo, s0
	v_lshlrev_b32_e32 v19, 2, v19
	v_cmp_eq_u32_e32 vcc_lo, 0, v13
	s_mov_b32 s1, exec_lo
	s_waitcnt lgkmcnt(0)
	s_barrier
	v_add3_u32 v13, 0x120, v20, v19
	buffer_gl0_inv
	v_cmpx_gt_u32_e32 64, v0
	s_cbranch_execz .LBB105_80
; %bb.62:
	s_and_saveexec_b32 s0, vcc_lo
	s_cbranch_execnz .LBB105_104
; %bb.63:
	s_or_b32 exec_lo, exec_lo, s0
	s_and_saveexec_b32 s0, vcc_lo
	s_cbranch_execnz .LBB105_105
.LBB105_64:
	s_or_b32 exec_lo, exec_lo, s0
	s_and_saveexec_b32 s0, vcc_lo
	s_cbranch_execnz .LBB105_106
.LBB105_65:
	s_or_b32 exec_lo, exec_lo, s0
	s_and_saveexec_b32 s0, vcc_lo
	s_cbranch_execnz .LBB105_107
.LBB105_66:
	s_or_b32 exec_lo, exec_lo, s0
	s_and_saveexec_b32 s0, vcc_lo
	s_cbranch_execnz .LBB105_108
.LBB105_67:
	s_or_b32 exec_lo, exec_lo, s0
	s_and_saveexec_b32 s0, vcc_lo
	s_cbranch_execnz .LBB105_109
.LBB105_68:
	s_or_b32 exec_lo, exec_lo, s0
	s_and_saveexec_b32 s0, vcc_lo
	s_cbranch_execnz .LBB105_110
.LBB105_69:
	s_or_b32 exec_lo, exec_lo, s0
	s_and_saveexec_b32 s0, vcc_lo
	s_cbranch_execnz .LBB105_111
.LBB105_70:
	s_or_b32 exec_lo, exec_lo, s0
	s_and_saveexec_b32 s0, vcc_lo
	s_cbranch_execnz .LBB105_112
.LBB105_71:
	s_or_b32 exec_lo, exec_lo, s0
	s_and_saveexec_b32 s0, vcc_lo
	s_cbranch_execnz .LBB105_113
.LBB105_72:
	s_or_b32 exec_lo, exec_lo, s0
	s_and_saveexec_b32 s0, vcc_lo
	s_cbranch_execnz .LBB105_114
.LBB105_73:
	s_or_b32 exec_lo, exec_lo, s0
	s_and_saveexec_b32 s0, vcc_lo
	s_cbranch_execnz .LBB105_115
.LBB105_74:
	s_or_b32 exec_lo, exec_lo, s0
	s_and_saveexec_b32 s0, vcc_lo
	s_cbranch_execnz .LBB105_116
.LBB105_75:
	s_or_b32 exec_lo, exec_lo, s0
	s_and_saveexec_b32 s0, vcc_lo
	s_cbranch_execnz .LBB105_117
.LBB105_76:
	s_or_b32 exec_lo, exec_lo, s0
	s_and_saveexec_b32 s0, vcc_lo
	s_cbranch_execnz .LBB105_118
.LBB105_77:
	s_or_b32 exec_lo, exec_lo, s0
	s_and_saveexec_b32 s0, vcc_lo
	s_cbranch_execz .LBB105_79
.LBB105_78:
	ds_read_b32 v19, v13 offset:480
	s_waitcnt lgkmcnt(0)
	v_add_f32_e32 v5, v5, v19
.LBB105_79:
	s_or_b32 exec_lo, exec_lo, s0
.LBB105_80:
	s_or_b32 exec_lo, exec_lo, s1
	v_and_b32_e32 v19, 0x3e3, v0
	s_mov_b32 s1, exec_lo
	s_barrier
	buffer_gl0_inv
	v_cmpx_eq_u32_e32 32, v19
	s_cbranch_execz .LBB105_82
; %bb.81:
	ds_write2_b32 v18, v17, v16 offset1:8
	ds_write2_b32 v18, v15, v14 offset0:16 offset1:24
	ds_write2_b32 v18, v12, v11 offset0:32 offset1:40
	;; [unrolled: 1-line block ×7, first 2 shown]
.LBB105_82:
	s_or_b32 exec_lo, exec_lo, s1
	s_mov_b32 s1, exec_lo
	s_waitcnt lgkmcnt(0)
	s_barrier
	buffer_gl0_inv
	v_cmpx_gt_u32_e32 32, v0
	s_cbranch_execz .LBB105_101
; %bb.83:
	s_and_saveexec_b32 s0, vcc_lo
	s_cbranch_execnz .LBB105_119
; %bb.84:
	s_or_b32 exec_lo, exec_lo, s0
	s_and_saveexec_b32 s0, vcc_lo
	s_cbranch_execnz .LBB105_120
.LBB105_85:
	s_or_b32 exec_lo, exec_lo, s0
	s_and_saveexec_b32 s0, vcc_lo
	s_cbranch_execnz .LBB105_121
.LBB105_86:
	s_or_b32 exec_lo, exec_lo, s0
	s_and_saveexec_b32 s0, vcc_lo
	s_cbranch_execnz .LBB105_122
.LBB105_87:
	s_or_b32 exec_lo, exec_lo, s0
	s_and_saveexec_b32 s0, vcc_lo
	s_cbranch_execnz .LBB105_123
.LBB105_88:
	s_or_b32 exec_lo, exec_lo, s0
	s_and_saveexec_b32 s0, vcc_lo
	s_cbranch_execnz .LBB105_124
.LBB105_89:
	s_or_b32 exec_lo, exec_lo, s0
	s_and_saveexec_b32 s0, vcc_lo
	s_cbranch_execnz .LBB105_125
.LBB105_90:
	s_or_b32 exec_lo, exec_lo, s0
	s_and_saveexec_b32 s0, vcc_lo
	s_cbranch_execnz .LBB105_126
.LBB105_91:
	s_or_b32 exec_lo, exec_lo, s0
	s_and_saveexec_b32 s0, vcc_lo
	s_cbranch_execnz .LBB105_127
.LBB105_92:
	s_or_b32 exec_lo, exec_lo, s0
	s_and_saveexec_b32 s0, vcc_lo
	s_cbranch_execnz .LBB105_128
.LBB105_93:
	s_or_b32 exec_lo, exec_lo, s0
	s_and_saveexec_b32 s0, vcc_lo
	s_cbranch_execnz .LBB105_129
.LBB105_94:
	s_or_b32 exec_lo, exec_lo, s0
	s_and_saveexec_b32 s0, vcc_lo
	s_cbranch_execnz .LBB105_130
.LBB105_95:
	s_or_b32 exec_lo, exec_lo, s0
	s_and_saveexec_b32 s0, vcc_lo
	s_cbranch_execnz .LBB105_131
.LBB105_96:
	s_or_b32 exec_lo, exec_lo, s0
	s_and_saveexec_b32 s0, vcc_lo
	s_cbranch_execnz .LBB105_132
.LBB105_97:
	s_or_b32 exec_lo, exec_lo, s0
	s_and_saveexec_b32 s0, vcc_lo
	s_cbranch_execnz .LBB105_133
.LBB105_98:
	s_or_b32 exec_lo, exec_lo, s0
	s_and_saveexec_b32 s0, vcc_lo
	s_cbranch_execz .LBB105_100
.LBB105_99:
	ds_read_b32 v13, v13 offset:480
	s_waitcnt lgkmcnt(0)
	v_add_f32_e32 v5, v5, v13
.LBB105_100:
	s_or_b32 exec_lo, exec_lo, s0
.LBB105_101:
	s_or_b32 exec_lo, exec_lo, s1
	s_barrier
	buffer_gl0_inv
	s_mov_b32 s0, exec_lo
	v_cmpx_eq_u32_e32 0, v19
	s_cbranch_execz .LBB105_103
; %bb.102:
	s_mul_i32 s0, s10, s7
	s_mul_i32 s2, s7, s6
	;; [unrolled: 1-line block ×3, first 2 shown]
	v_lshrrev_b32_e32 v0, 1, v0
	s_lshl_b32 s0, s0, 7
	;;#ASMSTART
	v_cvt_f16_f32 v13, v17;

	;;#ASMEND
	s_ashr_i32 s1, s0, 31
	s_lshl_b64 s[0:1], s[0:1], 1
	s_add_u32 s4, s16, s0
	s_addc_u32 s5, s17, s1
	s_ashr_i32 s3, s2, 31
	s_lshl_b64 s[0:1], s[2:3], 1
	s_add_u32 s2, s4, s0
	s_addc_u32 s3, s5, s1
	s_lshl_b32 s0, s8, 7
	s_ashr_i32 s1, s0, 31
	s_lshl_b64 s[0:1], s[0:1], 1
	s_add_u32 s0, s2, s0
	s_addc_u32 s1, s3, s1
	global_store_short v0, v13, s[0:1]
	;;#ASMSTART
	v_cvt_f16_f32 v13, v16;

	;;#ASMEND
	global_store_short v0, v13, s[0:1] offset:16
	;;#ASMSTART
	v_cvt_f16_f32 v13, v15;

	;;#ASMEND
	global_store_short v0, v13, s[0:1] offset:32
	;; [unrolled: 5-line block ×15, first 2 shown]
.LBB105_103:
	s_endpgm
.LBB105_104:
	ds_read_b32 v19, v13
	s_waitcnt lgkmcnt(0)
	v_add_f32_e32 v17, v17, v19
	s_or_b32 exec_lo, exec_lo, s0
	s_and_saveexec_b32 s0, vcc_lo
	s_cbranch_execz .LBB105_64
.LBB105_105:
	ds_read_b32 v19, v13 offset:32
	s_waitcnt lgkmcnt(0)
	v_add_f32_e32 v16, v16, v19
	s_or_b32 exec_lo, exec_lo, s0
	s_and_saveexec_b32 s0, vcc_lo
	s_cbranch_execz .LBB105_65
.LBB105_106:
	ds_read_b32 v19, v13 offset:64
	s_waitcnt lgkmcnt(0)
	v_add_f32_e32 v15, v15, v19
	s_or_b32 exec_lo, exec_lo, s0
	s_and_saveexec_b32 s0, vcc_lo
	s_cbranch_execz .LBB105_66
.LBB105_107:
	ds_read_b32 v19, v13 offset:96
	s_waitcnt lgkmcnt(0)
	v_add_f32_e32 v14, v14, v19
	s_or_b32 exec_lo, exec_lo, s0
	s_and_saveexec_b32 s0, vcc_lo
	s_cbranch_execz .LBB105_67
.LBB105_108:
	ds_read_b32 v19, v13 offset:128
	s_waitcnt lgkmcnt(0)
	v_add_f32_e32 v12, v12, v19
	s_or_b32 exec_lo, exec_lo, s0
	s_and_saveexec_b32 s0, vcc_lo
	s_cbranch_execz .LBB105_68
.LBB105_109:
	ds_read_b32 v19, v13 offset:160
	s_waitcnt lgkmcnt(0)
	v_add_f32_e32 v11, v11, v19
	s_or_b32 exec_lo, exec_lo, s0
	s_and_saveexec_b32 s0, vcc_lo
	s_cbranch_execz .LBB105_69
.LBB105_110:
	ds_read_b32 v19, v13 offset:192
	s_waitcnt lgkmcnt(0)
	v_add_f32_e32 v10, v10, v19
	s_or_b32 exec_lo, exec_lo, s0
	s_and_saveexec_b32 s0, vcc_lo
	s_cbranch_execz .LBB105_70
.LBB105_111:
	ds_read_b32 v19, v13 offset:224
	s_waitcnt lgkmcnt(0)
	v_add_f32_e32 v9, v9, v19
	s_or_b32 exec_lo, exec_lo, s0
	s_and_saveexec_b32 s0, vcc_lo
	s_cbranch_execz .LBB105_71
.LBB105_112:
	ds_read_b32 v19, v13 offset:256
	s_waitcnt lgkmcnt(0)
	v_add_f32_e32 v8, v8, v19
	s_or_b32 exec_lo, exec_lo, s0
	s_and_saveexec_b32 s0, vcc_lo
	s_cbranch_execz .LBB105_72
.LBB105_113:
	ds_read_b32 v19, v13 offset:288
	s_waitcnt lgkmcnt(0)
	v_add_f32_e32 v7, v7, v19
	s_or_b32 exec_lo, exec_lo, s0
	s_and_saveexec_b32 s0, vcc_lo
	s_cbranch_execz .LBB105_73
.LBB105_114:
	ds_read_b32 v19, v13 offset:320
	s_waitcnt lgkmcnt(0)
	v_add_f32_e32 v6, v6, v19
	s_or_b32 exec_lo, exec_lo, s0
	s_and_saveexec_b32 s0, vcc_lo
	s_cbranch_execz .LBB105_74
.LBB105_115:
	ds_read_b32 v19, v13 offset:352
	s_waitcnt lgkmcnt(0)
	v_add_f32_e32 v3, v3, v19
	s_or_b32 exec_lo, exec_lo, s0
	s_and_saveexec_b32 s0, vcc_lo
	s_cbranch_execz .LBB105_75
.LBB105_116:
	ds_read_b32 v19, v13 offset:384
	s_waitcnt lgkmcnt(0)
	v_add_f32_e32 v2, v2, v19
	s_or_b32 exec_lo, exec_lo, s0
	s_and_saveexec_b32 s0, vcc_lo
	s_cbranch_execz .LBB105_76
.LBB105_117:
	ds_read_b32 v19, v13 offset:416
	s_waitcnt lgkmcnt(0)
	v_add_f32_e32 v1, v1, v19
	s_or_b32 exec_lo, exec_lo, s0
	s_and_saveexec_b32 s0, vcc_lo
	s_cbranch_execz .LBB105_77
.LBB105_118:
	ds_read_b32 v19, v13 offset:448
	s_waitcnt lgkmcnt(0)
	v_add_f32_e32 v4, v4, v19
	s_or_b32 exec_lo, exec_lo, s0
	s_and_saveexec_b32 s0, vcc_lo
	s_cbranch_execnz .LBB105_78
	s_branch .LBB105_79
.LBB105_119:
	ds_read_b32 v18, v13
	s_waitcnt lgkmcnt(0)
	v_add_f32_e32 v17, v17, v18
	s_or_b32 exec_lo, exec_lo, s0
	s_and_saveexec_b32 s0, vcc_lo
	s_cbranch_execz .LBB105_85
.LBB105_120:
	ds_read_b32 v18, v13 offset:32
	s_waitcnt lgkmcnt(0)
	v_add_f32_e32 v16, v16, v18
	s_or_b32 exec_lo, exec_lo, s0
	s_and_saveexec_b32 s0, vcc_lo
	s_cbranch_execz .LBB105_86
.LBB105_121:
	ds_read_b32 v18, v13 offset:64
	s_waitcnt lgkmcnt(0)
	v_add_f32_e32 v15, v15, v18
	s_or_b32 exec_lo, exec_lo, s0
	s_and_saveexec_b32 s0, vcc_lo
	s_cbranch_execz .LBB105_87
.LBB105_122:
	ds_read_b32 v18, v13 offset:96
	s_waitcnt lgkmcnt(0)
	v_add_f32_e32 v14, v14, v18
	s_or_b32 exec_lo, exec_lo, s0
	s_and_saveexec_b32 s0, vcc_lo
	s_cbranch_execz .LBB105_88
.LBB105_123:
	ds_read_b32 v18, v13 offset:128
	s_waitcnt lgkmcnt(0)
	v_add_f32_e32 v12, v12, v18
	s_or_b32 exec_lo, exec_lo, s0
	s_and_saveexec_b32 s0, vcc_lo
	s_cbranch_execz .LBB105_89
.LBB105_124:
	ds_read_b32 v18, v13 offset:160
	s_waitcnt lgkmcnt(0)
	v_add_f32_e32 v11, v11, v18
	s_or_b32 exec_lo, exec_lo, s0
	s_and_saveexec_b32 s0, vcc_lo
	s_cbranch_execz .LBB105_90
.LBB105_125:
	ds_read_b32 v18, v13 offset:192
	s_waitcnt lgkmcnt(0)
	v_add_f32_e32 v10, v10, v18
	s_or_b32 exec_lo, exec_lo, s0
	s_and_saveexec_b32 s0, vcc_lo
	s_cbranch_execz .LBB105_91
.LBB105_126:
	ds_read_b32 v18, v13 offset:224
	s_waitcnt lgkmcnt(0)
	v_add_f32_e32 v9, v9, v18
	s_or_b32 exec_lo, exec_lo, s0
	s_and_saveexec_b32 s0, vcc_lo
	s_cbranch_execz .LBB105_92
.LBB105_127:
	ds_read_b32 v18, v13 offset:256
	s_waitcnt lgkmcnt(0)
	v_add_f32_e32 v8, v8, v18
	s_or_b32 exec_lo, exec_lo, s0
	s_and_saveexec_b32 s0, vcc_lo
	s_cbranch_execz .LBB105_93
.LBB105_128:
	ds_read_b32 v18, v13 offset:288
	s_waitcnt lgkmcnt(0)
	v_add_f32_e32 v7, v7, v18
	s_or_b32 exec_lo, exec_lo, s0
	s_and_saveexec_b32 s0, vcc_lo
	s_cbranch_execz .LBB105_94
.LBB105_129:
	ds_read_b32 v18, v13 offset:320
	s_waitcnt lgkmcnt(0)
	v_add_f32_e32 v6, v6, v18
	s_or_b32 exec_lo, exec_lo, s0
	s_and_saveexec_b32 s0, vcc_lo
	s_cbranch_execz .LBB105_95
.LBB105_130:
	ds_read_b32 v18, v13 offset:352
	s_waitcnt lgkmcnt(0)
	v_add_f32_e32 v3, v3, v18
	s_or_b32 exec_lo, exec_lo, s0
	s_and_saveexec_b32 s0, vcc_lo
	s_cbranch_execz .LBB105_96
.LBB105_131:
	ds_read_b32 v18, v13 offset:384
	s_waitcnt lgkmcnt(0)
	v_add_f32_e32 v2, v2, v18
	s_or_b32 exec_lo, exec_lo, s0
	s_and_saveexec_b32 s0, vcc_lo
	s_cbranch_execz .LBB105_97
.LBB105_132:
	ds_read_b32 v18, v13 offset:416
	s_waitcnt lgkmcnt(0)
	v_add_f32_e32 v1, v1, v18
	s_or_b32 exec_lo, exec_lo, s0
	s_and_saveexec_b32 s0, vcc_lo
	s_cbranch_execz .LBB105_98
.LBB105_133:
	ds_read_b32 v18, v13 offset:448
	s_waitcnt lgkmcnt(0)
	v_add_f32_e32 v4, v4, v18
	s_or_b32 exec_lo, exec_lo, s0
	s_and_saveexec_b32 s0, vcc_lo
	s_cbranch_execnz .LBB105_99
	s_branch .LBB105_100
	.section	.rodata,"a",@progbits
	.p2align	6, 0x0
	.amdhsa_kernel _ZN4vllm25paged_attention_v1_kernelIttLi128ELi32ELi128ELNS_18Fp8KVCacheDataTypeE0ELb0EEEvPT_PKS2_PKT0_S8_ifPKiSA_iPKfiiiSC_SC_iiiii
		.amdhsa_group_segment_fixed_size 288
		.amdhsa_private_segment_fixed_size 0
		.amdhsa_kernarg_size 384
		.amdhsa_user_sgpr_count 6
		.amdhsa_user_sgpr_private_segment_buffer 1
		.amdhsa_user_sgpr_dispatch_ptr 0
		.amdhsa_user_sgpr_queue_ptr 0
		.amdhsa_user_sgpr_kernarg_segment_ptr 1
		.amdhsa_user_sgpr_dispatch_id 0
		.amdhsa_user_sgpr_flat_scratch_init 0
		.amdhsa_user_sgpr_private_segment_size 0
		.amdhsa_wavefront_size32 1
		.amdhsa_uses_dynamic_stack 0
		.amdhsa_system_sgpr_private_segment_wavefront_offset 0
		.amdhsa_system_sgpr_workgroup_id_x 1
		.amdhsa_system_sgpr_workgroup_id_y 1
		.amdhsa_system_sgpr_workgroup_id_z 1
		.amdhsa_system_sgpr_workgroup_info 0
		.amdhsa_system_vgpr_workitem_id 0
		.amdhsa_next_free_vgpr 98
		.amdhsa_next_free_sgpr 28
		.amdhsa_reserve_vcc 1
		.amdhsa_reserve_flat_scratch 0
		.amdhsa_float_round_mode_32 0
		.amdhsa_float_round_mode_16_64 0
		.amdhsa_float_denorm_mode_32 3
		.amdhsa_float_denorm_mode_16_64 3
		.amdhsa_dx10_clamp 1
		.amdhsa_ieee_mode 1
		.amdhsa_fp16_overflow 0
		.amdhsa_workgroup_processor_mode 1
		.amdhsa_memory_ordered 1
		.amdhsa_forward_progress 1
		.amdhsa_shared_vgpr_count 0
		.amdhsa_exception_fp_ieee_invalid_op 0
		.amdhsa_exception_fp_denorm_src 0
		.amdhsa_exception_fp_ieee_div_zero 0
		.amdhsa_exception_fp_ieee_overflow 0
		.amdhsa_exception_fp_ieee_underflow 0
		.amdhsa_exception_fp_ieee_inexact 0
		.amdhsa_exception_int_div_zero 0
	.end_amdhsa_kernel
	.section	.text._ZN4vllm25paged_attention_v1_kernelIttLi128ELi32ELi128ELNS_18Fp8KVCacheDataTypeE0ELb0EEEvPT_PKS2_PKT0_S8_ifPKiSA_iPKfiiiSC_SC_iiiii,"axG",@progbits,_ZN4vllm25paged_attention_v1_kernelIttLi128ELi32ELi128ELNS_18Fp8KVCacheDataTypeE0ELb0EEEvPT_PKS2_PKT0_S8_ifPKiSA_iPKfiiiSC_SC_iiiii,comdat
.Lfunc_end105:
	.size	_ZN4vllm25paged_attention_v1_kernelIttLi128ELi32ELi128ELNS_18Fp8KVCacheDataTypeE0ELb0EEEvPT_PKS2_PKT0_S8_ifPKiSA_iPKfiiiSC_SC_iiiii, .Lfunc_end105-_ZN4vllm25paged_attention_v1_kernelIttLi128ELi32ELi128ELNS_18Fp8KVCacheDataTypeE0ELb0EEEvPT_PKS2_PKT0_S8_ifPKiSA_iPKfiiiSC_SC_iiiii
                                        ; -- End function
	.set _ZN4vllm25paged_attention_v1_kernelIttLi128ELi32ELi128ELNS_18Fp8KVCacheDataTypeE0ELb0EEEvPT_PKS2_PKT0_S8_ifPKiSA_iPKfiiiSC_SC_iiiii.num_vgpr, 98
	.set _ZN4vllm25paged_attention_v1_kernelIttLi128ELi32ELi128ELNS_18Fp8KVCacheDataTypeE0ELb0EEEvPT_PKS2_PKT0_S8_ifPKiSA_iPKfiiiSC_SC_iiiii.num_agpr, 0
	.set _ZN4vllm25paged_attention_v1_kernelIttLi128ELi32ELi128ELNS_18Fp8KVCacheDataTypeE0ELb0EEEvPT_PKS2_PKT0_S8_ifPKiSA_iPKfiiiSC_SC_iiiii.numbered_sgpr, 28
	.set _ZN4vllm25paged_attention_v1_kernelIttLi128ELi32ELi128ELNS_18Fp8KVCacheDataTypeE0ELb0EEEvPT_PKS2_PKT0_S8_ifPKiSA_iPKfiiiSC_SC_iiiii.num_named_barrier, 0
	.set _ZN4vllm25paged_attention_v1_kernelIttLi128ELi32ELi128ELNS_18Fp8KVCacheDataTypeE0ELb0EEEvPT_PKS2_PKT0_S8_ifPKiSA_iPKfiiiSC_SC_iiiii.private_seg_size, 0
	.set _ZN4vllm25paged_attention_v1_kernelIttLi128ELi32ELi128ELNS_18Fp8KVCacheDataTypeE0ELb0EEEvPT_PKS2_PKT0_S8_ifPKiSA_iPKfiiiSC_SC_iiiii.uses_vcc, 1
	.set _ZN4vllm25paged_attention_v1_kernelIttLi128ELi32ELi128ELNS_18Fp8KVCacheDataTypeE0ELb0EEEvPT_PKS2_PKT0_S8_ifPKiSA_iPKfiiiSC_SC_iiiii.uses_flat_scratch, 0
	.set _ZN4vllm25paged_attention_v1_kernelIttLi128ELi32ELi128ELNS_18Fp8KVCacheDataTypeE0ELb0EEEvPT_PKS2_PKT0_S8_ifPKiSA_iPKfiiiSC_SC_iiiii.has_dyn_sized_stack, 0
	.set _ZN4vllm25paged_attention_v1_kernelIttLi128ELi32ELi128ELNS_18Fp8KVCacheDataTypeE0ELb0EEEvPT_PKS2_PKT0_S8_ifPKiSA_iPKfiiiSC_SC_iiiii.has_recursion, 0
	.set _ZN4vllm25paged_attention_v1_kernelIttLi128ELi32ELi128ELNS_18Fp8KVCacheDataTypeE0ELb0EEEvPT_PKS2_PKT0_S8_ifPKiSA_iPKfiiiSC_SC_iiiii.has_indirect_call, 0
	.section	.AMDGPU.csdata,"",@progbits
; Kernel info:
; codeLenInByte = 18972
; TotalNumSgprs: 30
; NumVgprs: 98
; ScratchSize: 0
; MemoryBound: 0
; FloatMode: 240
; IeeeMode: 1
; LDSByteSize: 288 bytes/workgroup (compile time only)
; SGPRBlocks: 0
; VGPRBlocks: 12
; NumSGPRsForWavesPerEU: 30
; NumVGPRsForWavesPerEU: 98
; Occupancy: 9
; WaveLimiterHint : 1
; COMPUTE_PGM_RSRC2:SCRATCH_EN: 0
; COMPUTE_PGM_RSRC2:USER_SGPR: 6
; COMPUTE_PGM_RSRC2:TRAP_HANDLER: 0
; COMPUTE_PGM_RSRC2:TGID_X_EN: 1
; COMPUTE_PGM_RSRC2:TGID_Y_EN: 1
; COMPUTE_PGM_RSRC2:TGID_Z_EN: 1
; COMPUTE_PGM_RSRC2:TIDIG_COMP_CNT: 0
	.section	.text._ZN4vllm25paged_attention_v1_kernelIttLi192ELi32ELi128ELNS_18Fp8KVCacheDataTypeE0ELb0EEEvPT_PKS2_PKT0_S8_ifPKiSA_iPKfiiiSC_SC_iiiii,"axG",@progbits,_ZN4vllm25paged_attention_v1_kernelIttLi192ELi32ELi128ELNS_18Fp8KVCacheDataTypeE0ELb0EEEvPT_PKS2_PKT0_S8_ifPKiSA_iPKfiiiSC_SC_iiiii,comdat
	.protected	_ZN4vllm25paged_attention_v1_kernelIttLi192ELi32ELi128ELNS_18Fp8KVCacheDataTypeE0ELb0EEEvPT_PKS2_PKT0_S8_ifPKiSA_iPKfiiiSC_SC_iiiii ; -- Begin function _ZN4vllm25paged_attention_v1_kernelIttLi192ELi32ELi128ELNS_18Fp8KVCacheDataTypeE0ELb0EEEvPT_PKS2_PKT0_S8_ifPKiSA_iPKfiiiSC_SC_iiiii
	.globl	_ZN4vllm25paged_attention_v1_kernelIttLi192ELi32ELi128ELNS_18Fp8KVCacheDataTypeE0ELb0EEEvPT_PKS2_PKT0_S8_ifPKiSA_iPKfiiiSC_SC_iiiii
	.p2align	8
	.type	_ZN4vllm25paged_attention_v1_kernelIttLi192ELi32ELi128ELNS_18Fp8KVCacheDataTypeE0ELb0EEEvPT_PKS2_PKT0_S8_ifPKiSA_iPKfiiiSC_SC_iiiii,@function
_ZN4vllm25paged_attention_v1_kernelIttLi192ELi32ELi128ELNS_18Fp8KVCacheDataTypeE0ELb0EEEvPT_PKS2_PKT0_S8_ifPKiSA_iPKfiiiSC_SC_iiiii: ; @_ZN4vllm25paged_attention_v1_kernelIttLi192ELi32ELi128ELNS_18Fp8KVCacheDataTypeE0ELb0EEEvPT_PKS2_PKT0_S8_ifPKiSA_iPKfiiiSC_SC_iiiii
; %bb.0:
	s_clause 0x2
	s_load_dword s9, s[4:5], 0x80
	s_load_dwordx2 s[0:1], s[4:5], 0x30
	s_load_dwordx2 s[2:3], s[4:5], 0x20
	s_mov_b32 s10, s7
	s_ashr_i32 s11, s7, 31
	s_mov_b32 s24, 0
	s_lshl_b64 s[12:13], s[10:11], 2
	s_waitcnt lgkmcnt(0)
	s_add_u32 s0, s0, s12
	s_addc_u32 s1, s1, s13
	s_abs_i32 s7, s2
	s_abs_i32 s13, s9
	v_cvt_f32_u32_e32 v1, s7
	s_sub_i32 s12, 0, s7
	s_xor_b32 s2, s9, s2
	s_ashr_i32 s2, s2, 31
	v_rcp_iflag_f32_e32 v1, v1
	v_mul_f32_e32 v1, 0x4f7ffffe, v1
	v_cvt_u32_f32_e32 v1, v1
	v_readfirstlane_b32 s11, v1
	s_mul_i32 s12, s12, s11
	s_mul_hi_u32 s12, s11, s12
	s_add_i32 s11, s11, s12
	s_mul_hi_u32 s11, s13, s11
	s_mul_i32 s12, s11, s7
	s_sub_i32 s12, s13, s12
	s_add_i32 s13, s11, 1
	s_sub_i32 s14, s12, s7
	s_cmp_ge_u32 s12, s7
	s_cselect_b32 s11, s13, s11
	s_cselect_b32 s12, s14, s12
	s_add_i32 s13, s11, 1
	s_cmp_ge_u32 s12, s7
	s_cselect_b32 s7, s13, s11
	s_load_dwordx2 s[12:13], s[4:5], 0x40
	s_xor_b32 s7, s7, s2
	s_abs_i32 s16, s6
	s_sub_i32 s17, s7, s2
	s_abs_i32 s2, s17
	v_cvt_f32_u32_e32 v1, s2
	s_sub_i32 s11, 0, s2
	v_rcp_iflag_f32_e32 v1, v1
	v_mul_f32_e32 v1, 0x4f7ffffe, v1
	v_cvt_u32_f32_e32 v1, v1
	v_readfirstlane_b32 s7, v1
	s_mul_i32 s11, s11, s7
	s_mul_hi_u32 s11, s7, s11
	s_add_i32 s7, s7, s11
	s_waitcnt lgkmcnt(0)
	s_cmp_eq_u64 s[12:13], 0
	s_mul_hi_u32 s22, s16, s7
	s_cbranch_scc1 .LBB106_2
; %bb.1:
	s_ashr_i32 s7, s6, 31
	s_lshl_b64 s[14:15], s[6:7], 2
	s_add_u32 s12, s12, s14
	s_addc_u32 s13, s13, s15
	s_load_dword s24, s[12:13], 0x0
.LBB106_2:
	s_load_dword s11, s[0:1], 0x0
	s_clause 0x1
	s_load_dwordx2 s[18:19], s[4:5], 0x28
	s_load_dwordx4 s[12:15], s[4:5], 0x48
	v_lshlrev_b32_e32 v38, 4, v0
	s_ashr_i32 s0, s6, 31
	s_ashr_i32 s1, s17, 31
	s_mulk_i32 s6, 0xc0
	s_waitcnt lgkmcnt(0)
	s_mov_b32 s15, exec_lo
	v_cmpx_gt_u32_e32 24, v0
	s_cbranch_execz .LBB106_4
; %bb.3:
	s_load_dwordx2 s[20:21], s[4:5], 0x8
	s_mul_i32 s26, s12, s10
	s_ashr_i32 s27, s26, 31
	s_lshl_b64 s[26:27], s[26:27], 1
	s_waitcnt lgkmcnt(0)
	s_add_u32 s12, s20, s26
	s_addc_u32 s17, s21, s27
	s_ashr_i32 s7, s6, 31
	s_lshl_b64 s[20:21], s[6:7], 1
	s_add_u32 s20, s12, s20
	s_addc_u32 s21, s17, s21
	global_load_dwordx4 v[1:4], v38, s[20:21]
	s_waitcnt vmcnt(0)
	ds_write_b128 v38, v[1:4]
.LBB106_4:
	s_or_b32 exec_lo, exec_lo, s15
	s_add_i32 s7, s11, 31
	s_xor_b32 s0, s0, s1
	s_ashr_i32 s12, s7, 31
	s_load_dword s15, s[4:5], 0x38
	s_lshr_b32 s1, s12, 27
	s_mul_i32 s12, s22, s2
	s_add_i32 s7, s7, s1
	s_sub_i32 s1, s16, s12
	s_ashr_i32 s12, s7, 5
	s_clause 0x2
	s_load_dwordx2 s[16:17], s[4:5], 0x0
	s_load_dwordx2 s[20:21], s[4:5], 0x18
	s_load_dword s7, s[4:5], 0x88
	s_add_i32 s23, s22, 1
	s_sub_i32 s25, s1, s2
	s_cmp_ge_u32 s1, s2
	v_lshrrev_b32_e32 v99, 5, v0
	s_cselect_b32 s22, s23, s22
	s_cselect_b32 s1, s25, s1
	s_add_i32 s23, s22, 1
	s_cmp_ge_u32 s1, s2
	v_and_b32_e32 v100, 31, v0
	s_cselect_b32 s1, s23, s22
	v_mov_b32_e32 v103, 0xff7fffff
	s_xor_b32 s1, s1, s0
	s_waitcnt lgkmcnt(0)
	s_sub_i32 s1, s1, s0
	v_cmp_gt_i32_e64 s0, s12, v99
	v_lshlrev_b32_e32 v102, 2, v100
	s_mul_i32 s22, s15, s10
	s_mul_i32 s14, s1, s14
	s_ashr_i32 s23, s22, 31
	s_barrier
	buffer_gl0_inv
	s_and_saveexec_b32 s25, s0
	s_cbranch_execz .LBB106_8
; %bb.5:
	s_load_dwordx2 s[4:5], s[4:5], 0x10
	s_ashr_i32 s15, s14, 31
	v_lshl_or_b32 v2, v99, 7, v102
	v_lshrrev_b32_e32 v3, 3, v0
	v_lshlrev_b32_e32 v1, 4, v100
	s_lshl_b64 s[26:27], s[14:15], 1
	v_mov_b32_e32 v104, 0
	v_add_nc_u32_e32 v106, 0x1a0, v2
	v_and_b32_e32 v2, 0x7c, v3
	v_cmp_neq_f32_e64 vcc_lo, s24, 0
	v_lshl_or_b32 v105, v99, 5, v100
	v_mov_b32_e32 v103, 0xff7fffff
	v_mov_b32_e32 v109, v99
	s_mov_b32 s15, s13
	s_waitcnt lgkmcnt(0)
	s_add_u32 s1, s4, s26
	s_addc_u32 s2, s5, s27
	s_lshl_b64 s[26:27], s[22:23], 2
	v_add_co_u32 v107, s1, s1, v1
	s_sub_i32 s4, 1, s11
	v_add_co_ci_u32_e64 v108, null, s2, 0, s1
	s_add_u32 s1, s18, s26
	s_addc_u32 s2, s19, s27
	v_add_co_u32 v97, s1, s1, v2
	v_add_co_ci_u32_e64 v98, null, s2, 0, s1
	s_mov_b32 s5, 0
.LBB106_6:                              ; =>This Inner Loop Header: Depth=1
	global_load_dword v1, v[97:98], off
	v_add_nc_u32_e32 v3, s4, v105
	v_add_nc_u32_e32 v109, 4, v109
	v_cvt_f32_i32_e32 v3, v3
	v_mul_f32_e32 v110, s24, v3
	v_cndmask_b32_e32 v110, 0, v110, vcc_lo
	s_waitcnt vmcnt(0)
	v_mad_i64_i32 v[1:2], null, v1, s15, 0
	v_lshlrev_b64 v[1:2], 1, v[1:2]
	v_add_co_u32 v1, s1, v107, v1
	v_add_co_ci_u32_e64 v2, null, v108, v2, s1
	v_cmp_gt_i32_e64 s1, s11, v105
	v_add_co_u32 v3, s2, 0x800, v1
	s_clause 0x3
	global_load_dwordx4 v[93:96], v[1:2], off
	global_load_dwordx4 v[89:92], v[1:2], off offset:512
	global_load_dwordx4 v[85:88], v[1:2], off offset:1024
	;; [unrolled: 1-line block ×3, first 2 shown]
	v_add_co_ci_u32_e64 v4, null, 0, v2, s2
	v_add_co_u32 v5, s2, v1, 0x1000
	v_add_co_ci_u32_e64 v6, null, 0, v2, s2
	s_clause 0x3
	global_load_dwordx4 v[77:80], v[5:6], off offset:-2048
	global_load_dwordx4 v[73:76], v[3:4], off offset:512
	global_load_dwordx4 v[69:72], v[3:4], off offset:1024
	;; [unrolled: 1-line block ×3, first 2 shown]
	v_add_co_u32 v3, s2, 0x1000, v1
	v_add_co_ci_u32_e64 v4, null, 0, v2, s2
	s_clause 0x3
	global_load_dwordx4 v[61:64], v[5:6], off
	global_load_dwordx4 v[57:60], v[3:4], off offset:512
	global_load_dwordx4 v[53:56], v[3:4], off offset:1024
	;; [unrolled: 1-line block ×3, first 2 shown]
	v_add_co_u32 v3, s2, 0x1800, v1
	v_add_co_ci_u32_e64 v4, null, 0, v2, s2
	v_add_co_u32 v5, s2, v1, 0x2000
	v_add_co_ci_u32_e64 v6, null, 0, v2, s2
	s_clause 0x3
	global_load_dwordx4 v[45:48], v[5:6], off offset:-2048
	global_load_dwordx4 v[41:44], v[3:4], off offset:512
	global_load_dwordx4 v[37:40], v[3:4], off offset:1024
	;; [unrolled: 1-line block ×3, first 2 shown]
	v_add_co_u32 v3, s2, 0x2000, v1
	v_add_co_ci_u32_e64 v4, null, 0, v2, s2
	v_add_co_u32 v1, s2, 0x2800, v1
	v_add_co_ci_u32_e64 v2, null, 0, v2, s2
	s_clause 0x7
	global_load_dwordx4 v[29:32], v[5:6], off
	global_load_dwordx4 v[25:28], v[3:4], off offset:512
	global_load_dwordx4 v[21:24], v[3:4], off offset:1024
	;; [unrolled: 1-line block ×3, first 2 shown]
	global_load_dwordx4 v[13:16], v[1:2], off
	global_load_dwordx4 v[9:12], v[1:2], off offset:512
	global_load_dwordx4 v[5:8], v[1:2], off offset:1024
	global_load_dwordx4 v[1:4], v[1:2], off offset:1536
	ds_read_b128 v[111:114], v104
	v_add_nc_u32_e32 v105, 0x80, v105
	s_waitcnt lgkmcnt(0)
	v_lshrrev_b32_e32 v101, 16, v111
	v_and_b32_e32 v111, 0xffff, v111
	;;#ASMSTART
	v_cvt_f32_f16 v111, v111;
	;;#ASMEND
	;;#ASMSTART
	v_cvt_f32_f16 v115, v101;
	;;#ASMEND
	s_waitcnt vmcnt(23)
	v_lshrrev_b32_e32 v101, 16, v93
	v_and_b32_e32 v93, 0xffff, v93
	;;#ASMSTART
	v_cvt_f32_f16 v116, v93;
	;;#ASMEND
	v_lshrrev_b32_e32 v93, 16, v112
	;;#ASMSTART
	v_cvt_f32_f16 v117, v101;
	;;#ASMEND
	v_and_b32_e32 v101, 0xffff, v112
	;;#ASMSTART
	v_cvt_f32_f16 v112, v101;
	;;#ASMEND
	;;#ASMSTART
	v_cvt_f32_f16 v118, v93;
	;;#ASMEND
	v_lshrrev_b32_e32 v93, 16, v94
	v_and_b32_e32 v94, 0xffff, v94
	;;#ASMSTART
	v_cvt_f32_f16 v119, v94;
	;;#ASMEND
	;;#ASMSTART
	v_cvt_f32_f16 v120, v93;
	;;#ASMEND
	v_lshrrev_b32_e32 v93, 16, v113
	v_and_b32_e32 v94, 0xffff, v113
	;;#ASMSTART
	v_cvt_f32_f16 v113, v94;
	;;#ASMEND
	;;#ASMSTART
	v_cvt_f32_f16 v121, v93;
	;;#ASMEND
	v_lshrrev_b32_e32 v93, 16, v95
	v_and_b32_e32 v94, 0xffff, v95
	;;#ASMSTART
	v_cvt_f32_f16 v122, v94;
	;;#ASMEND
	;;#ASMSTART
	v_cvt_f32_f16 v123, v93;
	;;#ASMEND
	v_lshrrev_b32_e32 v93, 16, v114
	v_and_b32_e32 v94, 0xffff, v114
	;;#ASMSTART
	v_cvt_f32_f16 v114, v94;
	;;#ASMEND
	;;#ASMSTART
	v_cvt_f32_f16 v124, v93;
	;;#ASMEND
	v_lshrrev_b32_e32 v93, 16, v96
	v_and_b32_e32 v94, 0xffff, v96
	;;#ASMSTART
	v_cvt_f32_f16 v125, v94;
	;;#ASMEND
	;;#ASMSTART
	v_cvt_f32_f16 v126, v93;
	;;#ASMEND
	ds_read_b128 v[93:96], v104 offset:16
	s_waitcnt lgkmcnt(0)
	v_lshrrev_b32_e32 v101, 16, v93
	v_and_b32_e32 v93, 0xffff, v93
	;;#ASMSTART
	v_cvt_f32_f16 v93, v93;
	;;#ASMEND
	;;#ASMSTART
	v_cvt_f32_f16 v127, v101;
	;;#ASMEND
	s_waitcnt vmcnt(22)
	v_lshrrev_b32_e32 v101, 16, v89
	v_and_b32_e32 v89, 0xffff, v89
	;;#ASMSTART
	v_cvt_f32_f16 v89, v89;
	;;#ASMEND
	v_mul_f32_e32 v89, v93, v89
	;;#ASMSTART
	v_cvt_f32_f16 v101, v101;
	;;#ASMEND
	v_mul_f32_e32 v93, v127, v101
	v_lshrrev_b32_e32 v101, 16, v94
	v_and_b32_e32 v94, 0xffff, v94
	v_fmac_f32_e32 v89, v111, v116
	v_lshrrev_b32_e32 v111, 16, v90
	v_and_b32_e32 v90, 0xffff, v90
	;;#ASMSTART
	v_cvt_f32_f16 v94, v94;
	;;#ASMEND
	;;#ASMSTART
	v_cvt_f32_f16 v101, v101;
	;;#ASMEND
	;; [unrolled: 3-line block ×4, first 2 shown]
	v_mul_f32_e32 v90, v94, v90
	v_mul_f32_e32 v94, v101, v111
	v_lshrrev_b32_e32 v101, 16, v95
	v_and_b32_e32 v95, 0xffff, v95
	v_lshrrev_b32_e32 v111, 16, v91
	v_and_b32_e32 v91, 0xffff, v91
	;;#ASMSTART
	v_cvt_f32_f16 v95, v95;
	;;#ASMEND
	;;#ASMSTART
	v_cvt_f32_f16 v101, v101;
	;;#ASMEND
	;; [unrolled: 3-line block ×4, first 2 shown]
	v_mul_f32_e32 v91, v95, v91
	v_mul_f32_e32 v95, v101, v111
	v_lshrrev_b32_e32 v101, 16, v96
	v_and_b32_e32 v96, 0xffff, v96
	v_lshrrev_b32_e32 v111, 16, v92
	v_and_b32_e32 v92, 0xffff, v92
	;;#ASMSTART
	v_cvt_f32_f16 v96, v96;
	;;#ASMEND
	;;#ASMSTART
	v_cvt_f32_f16 v101, v101;
	;;#ASMEND
	;; [unrolled: 3-line block ×3, first 2 shown]
	v_mul_f32_e32 v92, v96, v92
	;;#ASMSTART
	v_cvt_f32_f16 v111, v111;
	;;#ASMEND
	v_fmac_f32_e32 v90, v112, v119
	v_fmac_f32_e32 v91, v113, v122
	v_mul_f32_e32 v96, v101, v111
	v_fmac_f32_e32 v92, v114, v125
	ds_read_b128 v[111:114], v104 offset:32
	v_fmac_f32_e32 v93, v115, v117
	v_fmac_f32_e32 v94, v118, v120
	;; [unrolled: 1-line block ×4, first 2 shown]
	s_waitcnt lgkmcnt(0)
	v_lshrrev_b32_e32 v115, 16, v111
	v_and_b32_e32 v101, 0xffff, v111
	;;#ASMSTART
	v_cvt_f32_f16 v101, v101;
	;;#ASMEND
	;;#ASMSTART
	v_cvt_f32_f16 v111, v115;
	;;#ASMEND
	s_waitcnt vmcnt(21)
	v_lshrrev_b32_e32 v115, 16, v85
	v_and_b32_e32 v85, 0xffff, v85
	;;#ASMSTART
	v_cvt_f32_f16 v85, v85;
	;;#ASMEND
	;;#ASMSTART
	v_cvt_f32_f16 v115, v115;
	;;#ASMEND
	v_fmac_f32_e32 v89, v101, v85
	v_fmac_f32_e32 v93, v111, v115
	v_lshrrev_b32_e32 v101, 16, v112
	v_and_b32_e32 v85, 0xffff, v112
	v_lshrrev_b32_e32 v111, 16, v86
	v_and_b32_e32 v86, 0xffff, v86
	;;#ASMSTART
	v_cvt_f32_f16 v85, v85;
	;;#ASMEND
	;;#ASMSTART
	v_cvt_f32_f16 v101, v101;
	;;#ASMEND
	;; [unrolled: 3-line block ×4, first 2 shown]
	v_fmac_f32_e32 v90, v85, v86
	v_fmac_f32_e32 v94, v101, v111
	v_lshrrev_b32_e32 v86, 16, v113
	v_and_b32_e32 v85, 0xffff, v113
	v_lshrrev_b32_e32 v101, 16, v87
	v_and_b32_e32 v87, 0xffff, v87
	;;#ASMSTART
	v_cvt_f32_f16 v85, v85;
	;;#ASMEND
	;;#ASMSTART
	v_cvt_f32_f16 v86, v86;
	;;#ASMEND
	;; [unrolled: 3-line block ×4, first 2 shown]
	v_fmac_f32_e32 v91, v85, v87
	v_fmac_f32_e32 v95, v86, v101
	v_lshrrev_b32_e32 v86, 16, v114
	v_and_b32_e32 v85, 0xffff, v114
	v_and_b32_e32 v87, 0xffff, v88
	;;#ASMSTART
	v_cvt_f32_f16 v85, v85;
	;;#ASMEND
	;;#ASMSTART
	v_cvt_f32_f16 v86, v86;
	;;#ASMEND
	v_lshrrev_b32_e32 v101, 16, v88
	;;#ASMSTART
	v_cvt_f32_f16 v87, v87;
	;;#ASMEND
	;;#ASMSTART
	v_cvt_f32_f16 v88, v101;
	;;#ASMEND
	v_fmac_f32_e32 v92, v85, v87
	v_fmac_f32_e32 v96, v86, v88
	ds_read_b128 v[85:88], v104 offset:48
	s_waitcnt vmcnt(20)
	v_lshrrev_b32_e32 v111, 16, v81
	v_and_b32_e32 v81, 0xffff, v81
	s_waitcnt lgkmcnt(0)
	v_lshrrev_b32_e32 v101, 16, v85
	v_and_b32_e32 v85, 0xffff, v85
	;;#ASMSTART
	v_cvt_f32_f16 v85, v85;
	;;#ASMEND
	;;#ASMSTART
	v_cvt_f32_f16 v101, v101;
	;;#ASMEND
	;;#ASMSTART
	v_cvt_f32_f16 v81, v81;
	;;#ASMEND
	v_fmac_f32_e32 v89, v85, v81
	v_lshrrev_b32_e32 v85, 16, v86
	v_and_b32_e32 v81, 0xffff, v86
	v_lshrrev_b32_e32 v86, 16, v82
	v_and_b32_e32 v82, 0xffff, v82
	;;#ASMSTART
	v_cvt_f32_f16 v111, v111;
	;;#ASMEND
	;;#ASMSTART
	v_cvt_f32_f16 v81, v81;
	;;#ASMEND
	;; [unrolled: 3-line block ×5, first 2 shown]
	v_fmac_f32_e32 v90, v81, v82
	v_fmac_f32_e32 v94, v85, v86
	v_lshrrev_b32_e32 v82, 16, v87
	v_and_b32_e32 v81, 0xffff, v87
	v_lshrrev_b32_e32 v85, 16, v83
	v_and_b32_e32 v83, 0xffff, v83
	;;#ASMSTART
	v_cvt_f32_f16 v81, v81;
	;;#ASMEND
	;;#ASMSTART
	v_cvt_f32_f16 v82, v82;
	;;#ASMEND
	;; [unrolled: 3-line block ×4, first 2 shown]
	v_fmac_f32_e32 v91, v81, v83
	v_fmac_f32_e32 v95, v82, v85
	v_lshrrev_b32_e32 v82, 16, v88
	v_and_b32_e32 v81, 0xffff, v88
	v_and_b32_e32 v83, 0xffff, v84
	;;#ASMSTART
	v_cvt_f32_f16 v81, v81;
	;;#ASMEND
	;;#ASMSTART
	v_cvt_f32_f16 v82, v82;
	;;#ASMEND
	v_lshrrev_b32_e32 v85, 16, v84
	;;#ASMSTART
	v_cvt_f32_f16 v83, v83;
	;;#ASMEND
	;;#ASMSTART
	v_cvt_f32_f16 v84, v85;
	;;#ASMEND
	v_fmac_f32_e32 v92, v81, v83
	v_fmac_f32_e32 v96, v82, v84
	ds_read_b128 v[81:84], v104 offset:64
	s_waitcnt vmcnt(19)
	v_lshrrev_b32_e32 v86, 16, v77
	v_and_b32_e32 v77, 0xffff, v77
	v_fmac_f32_e32 v93, v101, v111
	s_waitcnt lgkmcnt(0)
	v_lshrrev_b32_e32 v85, 16, v81
	v_and_b32_e32 v81, 0xffff, v81
	;;#ASMSTART
	v_cvt_f32_f16 v81, v81;
	;;#ASMEND
	;;#ASMSTART
	v_cvt_f32_f16 v85, v85;
	;;#ASMEND
	;; [unrolled: 3-line block ×3, first 2 shown]
	v_fmac_f32_e32 v89, v81, v77
	v_lshrrev_b32_e32 v81, 16, v82
	v_and_b32_e32 v77, 0xffff, v82
	v_lshrrev_b32_e32 v82, 16, v78
	v_and_b32_e32 v78, 0xffff, v78
	;;#ASMSTART
	v_cvt_f32_f16 v86, v86;
	;;#ASMEND
	;;#ASMSTART
	v_cvt_f32_f16 v77, v77;
	;;#ASMEND
	;; [unrolled: 3-line block ×5, first 2 shown]
	v_fmac_f32_e32 v90, v77, v78
	v_fmac_f32_e32 v94, v81, v82
	v_lshrrev_b32_e32 v78, 16, v83
	v_and_b32_e32 v77, 0xffff, v83
	v_lshrrev_b32_e32 v81, 16, v79
	v_and_b32_e32 v79, 0xffff, v79
	;;#ASMSTART
	v_cvt_f32_f16 v77, v77;
	;;#ASMEND
	;;#ASMSTART
	v_cvt_f32_f16 v78, v78;
	;;#ASMEND
	;;#ASMSTART
	v_cvt_f32_f16 v79, v79;
	;;#ASMEND
	;;#ASMSTART
	v_cvt_f32_f16 v81, v81;
	;;#ASMEND
	v_fmac_f32_e32 v91, v77, v79
	v_fmac_f32_e32 v95, v78, v81
	v_lshrrev_b32_e32 v78, 16, v84
	v_and_b32_e32 v77, 0xffff, v84
	v_and_b32_e32 v79, 0xffff, v80
	;;#ASMSTART
	v_cvt_f32_f16 v77, v77;
	;;#ASMEND
	;;#ASMSTART
	v_cvt_f32_f16 v78, v78;
	;;#ASMEND
	v_lshrrev_b32_e32 v81, 16, v80
	;;#ASMSTART
	v_cvt_f32_f16 v79, v79;
	;;#ASMEND
	;;#ASMSTART
	v_cvt_f32_f16 v80, v81;
	;;#ASMEND
	v_fmac_f32_e32 v92, v77, v79
	v_fmac_f32_e32 v96, v78, v80
	ds_read_b128 v[77:80], v104 offset:80
	s_waitcnt vmcnt(18)
	v_lshrrev_b32_e32 v82, 16, v73
	v_and_b32_e32 v73, 0xffff, v73
	v_fmac_f32_e32 v93, v85, v86
	s_waitcnt lgkmcnt(0)
	v_lshrrev_b32_e32 v81, 16, v77
	v_and_b32_e32 v77, 0xffff, v77
	;;#ASMSTART
	v_cvt_f32_f16 v77, v77;
	;;#ASMEND
	;;#ASMSTART
	v_cvt_f32_f16 v81, v81;
	;;#ASMEND
	;; [unrolled: 3-line block ×3, first 2 shown]
	v_fmac_f32_e32 v89, v77, v73
	v_lshrrev_b32_e32 v77, 16, v78
	v_and_b32_e32 v73, 0xffff, v78
	v_lshrrev_b32_e32 v78, 16, v74
	v_and_b32_e32 v74, 0xffff, v74
	;;#ASMSTART
	v_cvt_f32_f16 v82, v82;
	;;#ASMEND
	;;#ASMSTART
	v_cvt_f32_f16 v73, v73;
	;;#ASMEND
	;;#ASMSTART
	v_cvt_f32_f16 v77, v77;
	;;#ASMEND
	;;#ASMSTART
	v_cvt_f32_f16 v74, v74;
	;;#ASMEND
	;;#ASMSTART
	v_cvt_f32_f16 v78, v78;
	;;#ASMEND
	v_fmac_f32_e32 v90, v73, v74
	v_fmac_f32_e32 v94, v77, v78
	v_lshrrev_b32_e32 v74, 16, v79
	v_and_b32_e32 v73, 0xffff, v79
	v_lshrrev_b32_e32 v77, 16, v75
	v_and_b32_e32 v75, 0xffff, v75
	;;#ASMSTART
	v_cvt_f32_f16 v73, v73;
	;;#ASMEND
	;;#ASMSTART
	v_cvt_f32_f16 v74, v74;
	;;#ASMEND
	;; [unrolled: 3-line block ×4, first 2 shown]
	v_fmac_f32_e32 v91, v73, v75
	v_fmac_f32_e32 v95, v74, v77
	v_lshrrev_b32_e32 v74, 16, v80
	v_and_b32_e32 v73, 0xffff, v80
	v_and_b32_e32 v75, 0xffff, v76
	;;#ASMSTART
	v_cvt_f32_f16 v73, v73;
	;;#ASMEND
	;;#ASMSTART
	v_cvt_f32_f16 v74, v74;
	;;#ASMEND
	v_lshrrev_b32_e32 v77, 16, v76
	;;#ASMSTART
	v_cvt_f32_f16 v75, v75;
	;;#ASMEND
	;;#ASMSTART
	v_cvt_f32_f16 v76, v77;
	;;#ASMEND
	v_fmac_f32_e32 v92, v73, v75
	v_fmac_f32_e32 v96, v74, v76
	ds_read_b128 v[73:76], v104 offset:96
	s_waitcnt vmcnt(17)
	v_lshrrev_b32_e32 v78, 16, v69
	v_and_b32_e32 v69, 0xffff, v69
	v_fmac_f32_e32 v93, v81, v82
	s_waitcnt lgkmcnt(0)
	v_lshrrev_b32_e32 v77, 16, v73
	v_and_b32_e32 v73, 0xffff, v73
	;;#ASMSTART
	v_cvt_f32_f16 v73, v73;
	;;#ASMEND
	;;#ASMSTART
	v_cvt_f32_f16 v77, v77;
	;;#ASMEND
	;; [unrolled: 3-line block ×3, first 2 shown]
	v_fmac_f32_e32 v89, v73, v69
	v_lshrrev_b32_e32 v73, 16, v74
	v_and_b32_e32 v69, 0xffff, v74
	v_lshrrev_b32_e32 v74, 16, v70
	v_and_b32_e32 v70, 0xffff, v70
	;;#ASMSTART
	v_cvt_f32_f16 v78, v78;
	;;#ASMEND
	;;#ASMSTART
	v_cvt_f32_f16 v69, v69;
	;;#ASMEND
	;; [unrolled: 3-line block ×5, first 2 shown]
	v_fmac_f32_e32 v90, v69, v70
	v_fmac_f32_e32 v94, v73, v74
	v_lshrrev_b32_e32 v70, 16, v75
	v_and_b32_e32 v69, 0xffff, v75
	v_lshrrev_b32_e32 v73, 16, v71
	v_and_b32_e32 v71, 0xffff, v71
	;;#ASMSTART
	v_cvt_f32_f16 v69, v69;
	;;#ASMEND
	;;#ASMSTART
	v_cvt_f32_f16 v70, v70;
	;;#ASMEND
	;; [unrolled: 3-line block ×4, first 2 shown]
	v_fmac_f32_e32 v91, v69, v71
	v_fmac_f32_e32 v95, v70, v73
	v_lshrrev_b32_e32 v70, 16, v76
	v_and_b32_e32 v69, 0xffff, v76
	v_and_b32_e32 v71, 0xffff, v72
	;;#ASMSTART
	v_cvt_f32_f16 v69, v69;
	;;#ASMEND
	;;#ASMSTART
	v_cvt_f32_f16 v70, v70;
	;;#ASMEND
	v_lshrrev_b32_e32 v73, 16, v72
	;;#ASMSTART
	v_cvt_f32_f16 v71, v71;
	;;#ASMEND
	;;#ASMSTART
	v_cvt_f32_f16 v72, v73;
	;;#ASMEND
	v_fmac_f32_e32 v92, v69, v71
	v_fmac_f32_e32 v96, v70, v72
	ds_read_b128 v[69:72], v104 offset:112
	s_waitcnt vmcnt(16)
	v_lshrrev_b32_e32 v74, 16, v65
	v_and_b32_e32 v65, 0xffff, v65
	v_fmac_f32_e32 v93, v77, v78
	s_waitcnt lgkmcnt(0)
	v_lshrrev_b32_e32 v73, 16, v69
	v_and_b32_e32 v69, 0xffff, v69
	;;#ASMSTART
	v_cvt_f32_f16 v69, v69;
	;;#ASMEND
	;;#ASMSTART
	v_cvt_f32_f16 v73, v73;
	;;#ASMEND
	;; [unrolled: 3-line block ×3, first 2 shown]
	v_fmac_f32_e32 v89, v69, v65
	v_lshrrev_b32_e32 v69, 16, v70
	v_and_b32_e32 v65, 0xffff, v70
	v_lshrrev_b32_e32 v70, 16, v66
	v_and_b32_e32 v66, 0xffff, v66
	;;#ASMSTART
	v_cvt_f32_f16 v74, v74;
	;;#ASMEND
	;;#ASMSTART
	v_cvt_f32_f16 v65, v65;
	;;#ASMEND
	;; [unrolled: 3-line block ×5, first 2 shown]
	v_fmac_f32_e32 v90, v65, v66
	v_fmac_f32_e32 v94, v69, v70
	v_lshrrev_b32_e32 v66, 16, v71
	v_and_b32_e32 v65, 0xffff, v71
	v_lshrrev_b32_e32 v69, 16, v67
	v_and_b32_e32 v67, 0xffff, v67
	;;#ASMSTART
	v_cvt_f32_f16 v65, v65;
	;;#ASMEND
	;;#ASMSTART
	v_cvt_f32_f16 v66, v66;
	;;#ASMEND
	;; [unrolled: 3-line block ×4, first 2 shown]
	v_fmac_f32_e32 v91, v65, v67
	v_fmac_f32_e32 v95, v66, v69
	v_lshrrev_b32_e32 v66, 16, v72
	v_and_b32_e32 v65, 0xffff, v72
	v_and_b32_e32 v67, 0xffff, v68
	;;#ASMSTART
	v_cvt_f32_f16 v65, v65;
	;;#ASMEND
	;;#ASMSTART
	v_cvt_f32_f16 v66, v66;
	;;#ASMEND
	v_lshrrev_b32_e32 v69, 16, v68
	;;#ASMSTART
	v_cvt_f32_f16 v67, v67;
	;;#ASMEND
	;;#ASMSTART
	v_cvt_f32_f16 v68, v69;
	;;#ASMEND
	v_fmac_f32_e32 v92, v65, v67
	v_fmac_f32_e32 v96, v66, v68
	ds_read_b128 v[65:68], v104 offset:128
	s_waitcnt vmcnt(15)
	v_lshrrev_b32_e32 v70, 16, v61
	v_and_b32_e32 v61, 0xffff, v61
	v_fmac_f32_e32 v93, v73, v74
	s_waitcnt lgkmcnt(0)
	v_lshrrev_b32_e32 v69, 16, v65
	v_and_b32_e32 v65, 0xffff, v65
	;;#ASMSTART
	v_cvt_f32_f16 v65, v65;
	;;#ASMEND
	;;#ASMSTART
	v_cvt_f32_f16 v69, v69;
	;;#ASMEND
	;; [unrolled: 3-line block ×3, first 2 shown]
	v_fmac_f32_e32 v89, v65, v61
	v_lshrrev_b32_e32 v65, 16, v66
	v_and_b32_e32 v61, 0xffff, v66
	v_lshrrev_b32_e32 v66, 16, v62
	v_and_b32_e32 v62, 0xffff, v62
	;;#ASMSTART
	v_cvt_f32_f16 v70, v70;
	;;#ASMEND
	;;#ASMSTART
	v_cvt_f32_f16 v61, v61;
	;;#ASMEND
	;; [unrolled: 3-line block ×5, first 2 shown]
	v_fmac_f32_e32 v90, v61, v62
	v_fmac_f32_e32 v94, v65, v66
	v_lshrrev_b32_e32 v62, 16, v67
	v_and_b32_e32 v61, 0xffff, v67
	v_lshrrev_b32_e32 v65, 16, v63
	v_and_b32_e32 v63, 0xffff, v63
	;;#ASMSTART
	v_cvt_f32_f16 v61, v61;
	;;#ASMEND
	;;#ASMSTART
	v_cvt_f32_f16 v62, v62;
	;;#ASMEND
	;; [unrolled: 3-line block ×4, first 2 shown]
	v_fmac_f32_e32 v91, v61, v63
	v_fmac_f32_e32 v95, v62, v65
	v_lshrrev_b32_e32 v62, 16, v68
	v_and_b32_e32 v61, 0xffff, v68
	v_and_b32_e32 v63, 0xffff, v64
	;;#ASMSTART
	v_cvt_f32_f16 v61, v61;
	;;#ASMEND
	;;#ASMSTART
	v_cvt_f32_f16 v62, v62;
	;;#ASMEND
	v_lshrrev_b32_e32 v65, 16, v64
	;;#ASMSTART
	v_cvt_f32_f16 v63, v63;
	;;#ASMEND
	;;#ASMSTART
	v_cvt_f32_f16 v64, v65;
	;;#ASMEND
	v_fmac_f32_e32 v92, v61, v63
	v_fmac_f32_e32 v96, v62, v64
	ds_read_b128 v[61:64], v104 offset:144
	s_waitcnt vmcnt(14)
	v_lshrrev_b32_e32 v66, 16, v57
	v_and_b32_e32 v57, 0xffff, v57
	v_fmac_f32_e32 v93, v69, v70
	s_waitcnt lgkmcnt(0)
	v_lshrrev_b32_e32 v65, 16, v61
	v_and_b32_e32 v61, 0xffff, v61
	;;#ASMSTART
	v_cvt_f32_f16 v61, v61;
	;;#ASMEND
	;;#ASMSTART
	v_cvt_f32_f16 v65, v65;
	;;#ASMEND
	;; [unrolled: 3-line block ×3, first 2 shown]
	v_fmac_f32_e32 v89, v61, v57
	v_lshrrev_b32_e32 v61, 16, v62
	v_and_b32_e32 v57, 0xffff, v62
	v_lshrrev_b32_e32 v62, 16, v58
	v_and_b32_e32 v58, 0xffff, v58
	;;#ASMSTART
	v_cvt_f32_f16 v66, v66;
	;;#ASMEND
	;;#ASMSTART
	v_cvt_f32_f16 v57, v57;
	;;#ASMEND
	;; [unrolled: 3-line block ×5, first 2 shown]
	v_fmac_f32_e32 v90, v57, v58
	v_fmac_f32_e32 v94, v61, v62
	v_lshrrev_b32_e32 v58, 16, v63
	v_and_b32_e32 v57, 0xffff, v63
	v_lshrrev_b32_e32 v61, 16, v59
	v_and_b32_e32 v59, 0xffff, v59
	;;#ASMSTART
	v_cvt_f32_f16 v57, v57;
	;;#ASMEND
	;;#ASMSTART
	v_cvt_f32_f16 v58, v58;
	;;#ASMEND
	;; [unrolled: 3-line block ×4, first 2 shown]
	v_fmac_f32_e32 v91, v57, v59
	v_fmac_f32_e32 v95, v58, v61
	v_lshrrev_b32_e32 v58, 16, v64
	v_and_b32_e32 v57, 0xffff, v64
	v_and_b32_e32 v59, 0xffff, v60
	;;#ASMSTART
	v_cvt_f32_f16 v57, v57;
	;;#ASMEND
	;;#ASMSTART
	v_cvt_f32_f16 v58, v58;
	;;#ASMEND
	v_lshrrev_b32_e32 v61, 16, v60
	;;#ASMSTART
	v_cvt_f32_f16 v59, v59;
	;;#ASMEND
	;;#ASMSTART
	v_cvt_f32_f16 v60, v61;
	;;#ASMEND
	v_fmac_f32_e32 v92, v57, v59
	v_fmac_f32_e32 v96, v58, v60
	ds_read_b128 v[57:60], v104 offset:160
	s_waitcnt vmcnt(13)
	v_lshrrev_b32_e32 v62, 16, v53
	v_and_b32_e32 v53, 0xffff, v53
	v_fmac_f32_e32 v93, v65, v66
	s_waitcnt lgkmcnt(0)
	v_lshrrev_b32_e32 v61, 16, v57
	v_and_b32_e32 v57, 0xffff, v57
	;;#ASMSTART
	v_cvt_f32_f16 v57, v57;
	;;#ASMEND
	;;#ASMSTART
	v_cvt_f32_f16 v61, v61;
	;;#ASMEND
	;; [unrolled: 3-line block ×3, first 2 shown]
	v_fmac_f32_e32 v89, v57, v53
	v_lshrrev_b32_e32 v57, 16, v58
	v_and_b32_e32 v53, 0xffff, v58
	v_lshrrev_b32_e32 v58, 16, v54
	v_and_b32_e32 v54, 0xffff, v54
	;;#ASMSTART
	v_cvt_f32_f16 v62, v62;
	;;#ASMEND
	;;#ASMSTART
	v_cvt_f32_f16 v53, v53;
	;;#ASMEND
	;;#ASMSTART
	v_cvt_f32_f16 v57, v57;
	;;#ASMEND
	;;#ASMSTART
	v_cvt_f32_f16 v54, v54;
	;;#ASMEND
	;;#ASMSTART
	v_cvt_f32_f16 v58, v58;
	;;#ASMEND
	v_fmac_f32_e32 v90, v53, v54
	v_fmac_f32_e32 v94, v57, v58
	v_lshrrev_b32_e32 v54, 16, v59
	v_and_b32_e32 v53, 0xffff, v59
	v_lshrrev_b32_e32 v57, 16, v55
	v_and_b32_e32 v55, 0xffff, v55
	;;#ASMSTART
	v_cvt_f32_f16 v53, v53;
	;;#ASMEND
	;;#ASMSTART
	v_cvt_f32_f16 v54, v54;
	;;#ASMEND
	;; [unrolled: 3-line block ×4, first 2 shown]
	v_fmac_f32_e32 v91, v53, v55
	v_fmac_f32_e32 v95, v54, v57
	v_lshrrev_b32_e32 v54, 16, v60
	v_and_b32_e32 v53, 0xffff, v60
	v_and_b32_e32 v55, 0xffff, v56
	;;#ASMSTART
	v_cvt_f32_f16 v53, v53;
	;;#ASMEND
	;;#ASMSTART
	v_cvt_f32_f16 v54, v54;
	;;#ASMEND
	v_lshrrev_b32_e32 v57, 16, v56
	;;#ASMSTART
	v_cvt_f32_f16 v55, v55;
	;;#ASMEND
	;;#ASMSTART
	v_cvt_f32_f16 v56, v57;
	;;#ASMEND
	v_fmac_f32_e32 v92, v53, v55
	v_fmac_f32_e32 v96, v54, v56
	ds_read_b128 v[53:56], v104 offset:176
	s_waitcnt vmcnt(12)
	v_lshrrev_b32_e32 v58, 16, v49
	v_and_b32_e32 v49, 0xffff, v49
	v_fmac_f32_e32 v93, v61, v62
	s_waitcnt lgkmcnt(0)
	v_lshrrev_b32_e32 v57, 16, v53
	v_and_b32_e32 v53, 0xffff, v53
	;;#ASMSTART
	v_cvt_f32_f16 v53, v53;
	;;#ASMEND
	;;#ASMSTART
	v_cvt_f32_f16 v57, v57;
	;;#ASMEND
	;;#ASMSTART
	v_cvt_f32_f16 v49, v49;
	;;#ASMEND
	v_fmac_f32_e32 v89, v53, v49
	v_lshrrev_b32_e32 v53, 16, v54
	v_and_b32_e32 v49, 0xffff, v54
	v_lshrrev_b32_e32 v54, 16, v50
	v_and_b32_e32 v50, 0xffff, v50
	;;#ASMSTART
	v_cvt_f32_f16 v58, v58;
	;;#ASMEND
	;;#ASMSTART
	v_cvt_f32_f16 v49, v49;
	;;#ASMEND
	;; [unrolled: 3-line block ×5, first 2 shown]
	v_fmac_f32_e32 v90, v49, v50
	v_fmac_f32_e32 v94, v53, v54
	v_lshrrev_b32_e32 v50, 16, v55
	v_and_b32_e32 v49, 0xffff, v55
	v_lshrrev_b32_e32 v53, 16, v51
	v_and_b32_e32 v51, 0xffff, v51
	;;#ASMSTART
	v_cvt_f32_f16 v49, v49;
	;;#ASMEND
	;;#ASMSTART
	v_cvt_f32_f16 v50, v50;
	;;#ASMEND
	;; [unrolled: 3-line block ×4, first 2 shown]
	v_fmac_f32_e32 v91, v49, v51
	v_fmac_f32_e32 v95, v50, v53
	v_lshrrev_b32_e32 v50, 16, v56
	v_and_b32_e32 v49, 0xffff, v56
	v_and_b32_e32 v51, 0xffff, v52
	;;#ASMSTART
	v_cvt_f32_f16 v49, v49;
	;;#ASMEND
	;;#ASMSTART
	v_cvt_f32_f16 v50, v50;
	;;#ASMEND
	v_lshrrev_b32_e32 v53, 16, v52
	;;#ASMSTART
	v_cvt_f32_f16 v51, v51;
	;;#ASMEND
	;;#ASMSTART
	v_cvt_f32_f16 v52, v53;
	;;#ASMEND
	v_fmac_f32_e32 v92, v49, v51
	v_fmac_f32_e32 v96, v50, v52
	ds_read_b128 v[49:52], v104 offset:192
	s_waitcnt vmcnt(11)
	v_lshrrev_b32_e32 v54, 16, v45
	v_and_b32_e32 v45, 0xffff, v45
	v_fmac_f32_e32 v93, v57, v58
	s_waitcnt lgkmcnt(0)
	v_lshrrev_b32_e32 v53, 16, v49
	v_and_b32_e32 v49, 0xffff, v49
	;;#ASMSTART
	v_cvt_f32_f16 v49, v49;
	;;#ASMEND
	;;#ASMSTART
	v_cvt_f32_f16 v53, v53;
	;;#ASMEND
	;; [unrolled: 3-line block ×3, first 2 shown]
	v_fmac_f32_e32 v89, v49, v45
	v_lshrrev_b32_e32 v49, 16, v50
	v_and_b32_e32 v45, 0xffff, v50
	v_lshrrev_b32_e32 v50, 16, v46
	v_and_b32_e32 v46, 0xffff, v46
	;;#ASMSTART
	v_cvt_f32_f16 v54, v54;
	;;#ASMEND
	;;#ASMSTART
	v_cvt_f32_f16 v45, v45;
	;;#ASMEND
	;; [unrolled: 3-line block ×5, first 2 shown]
	v_fmac_f32_e32 v90, v45, v46
	v_fmac_f32_e32 v94, v49, v50
	v_lshrrev_b32_e32 v46, 16, v51
	v_and_b32_e32 v45, 0xffff, v51
	v_lshrrev_b32_e32 v49, 16, v47
	v_and_b32_e32 v47, 0xffff, v47
	;;#ASMSTART
	v_cvt_f32_f16 v45, v45;
	;;#ASMEND
	;;#ASMSTART
	v_cvt_f32_f16 v46, v46;
	;;#ASMEND
	;; [unrolled: 3-line block ×4, first 2 shown]
	v_fmac_f32_e32 v91, v45, v47
	v_fmac_f32_e32 v95, v46, v49
	v_lshrrev_b32_e32 v46, 16, v52
	v_and_b32_e32 v45, 0xffff, v52
	v_and_b32_e32 v47, 0xffff, v48
	;;#ASMSTART
	v_cvt_f32_f16 v45, v45;
	;;#ASMEND
	;;#ASMSTART
	v_cvt_f32_f16 v46, v46;
	;;#ASMEND
	v_lshrrev_b32_e32 v49, 16, v48
	;;#ASMSTART
	v_cvt_f32_f16 v47, v47;
	;;#ASMEND
	;;#ASMSTART
	v_cvt_f32_f16 v48, v49;
	;;#ASMEND
	v_fmac_f32_e32 v92, v45, v47
	v_fmac_f32_e32 v96, v46, v48
	ds_read_b128 v[45:48], v104 offset:208
	s_waitcnt vmcnt(10)
	v_lshrrev_b32_e32 v50, 16, v41
	v_and_b32_e32 v41, 0xffff, v41
	v_fmac_f32_e32 v93, v53, v54
	s_waitcnt lgkmcnt(0)
	v_lshrrev_b32_e32 v49, 16, v45
	v_and_b32_e32 v45, 0xffff, v45
	;;#ASMSTART
	v_cvt_f32_f16 v45, v45;
	;;#ASMEND
	;;#ASMSTART
	v_cvt_f32_f16 v49, v49;
	;;#ASMEND
	;; [unrolled: 3-line block ×3, first 2 shown]
	v_fmac_f32_e32 v89, v45, v41
	v_lshrrev_b32_e32 v45, 16, v46
	v_and_b32_e32 v41, 0xffff, v46
	v_lshrrev_b32_e32 v46, 16, v42
	v_and_b32_e32 v42, 0xffff, v42
	;;#ASMSTART
	v_cvt_f32_f16 v50, v50;
	;;#ASMEND
	;;#ASMSTART
	v_cvt_f32_f16 v41, v41;
	;;#ASMEND
	;;#ASMSTART
	v_cvt_f32_f16 v45, v45;
	;;#ASMEND
	;;#ASMSTART
	v_cvt_f32_f16 v42, v42;
	;;#ASMEND
	;;#ASMSTART
	v_cvt_f32_f16 v46, v46;
	;;#ASMEND
	v_fmac_f32_e32 v90, v41, v42
	v_fmac_f32_e32 v94, v45, v46
	v_lshrrev_b32_e32 v42, 16, v47
	v_and_b32_e32 v41, 0xffff, v47
	v_lshrrev_b32_e32 v45, 16, v43
	v_and_b32_e32 v43, 0xffff, v43
	;;#ASMSTART
	v_cvt_f32_f16 v41, v41;
	;;#ASMEND
	;;#ASMSTART
	v_cvt_f32_f16 v42, v42;
	;;#ASMEND
	;;#ASMSTART
	v_cvt_f32_f16 v43, v43;
	;;#ASMEND
	;;#ASMSTART
	v_cvt_f32_f16 v45, v45;
	;;#ASMEND
	v_fmac_f32_e32 v91, v41, v43
	v_fmac_f32_e32 v95, v42, v45
	v_lshrrev_b32_e32 v42, 16, v48
	v_and_b32_e32 v41, 0xffff, v48
	v_and_b32_e32 v43, 0xffff, v44
	;;#ASMSTART
	v_cvt_f32_f16 v41, v41;
	;;#ASMEND
	;;#ASMSTART
	v_cvt_f32_f16 v42, v42;
	;;#ASMEND
	v_lshrrev_b32_e32 v45, 16, v44
	;;#ASMSTART
	v_cvt_f32_f16 v43, v43;
	;;#ASMEND
	;;#ASMSTART
	v_cvt_f32_f16 v44, v45;
	;;#ASMEND
	v_fmac_f32_e32 v92, v41, v43
	v_fmac_f32_e32 v96, v42, v44
	ds_read_b128 v[41:44], v104 offset:224
	s_waitcnt vmcnt(9)
	v_lshrrev_b32_e32 v46, 16, v37
	v_and_b32_e32 v37, 0xffff, v37
	v_fmac_f32_e32 v93, v49, v50
	s_waitcnt lgkmcnt(0)
	v_lshrrev_b32_e32 v45, 16, v41
	v_and_b32_e32 v41, 0xffff, v41
	;;#ASMSTART
	v_cvt_f32_f16 v41, v41;
	;;#ASMEND
	;;#ASMSTART
	v_cvt_f32_f16 v45, v45;
	;;#ASMEND
	;; [unrolled: 3-line block ×3, first 2 shown]
	v_fmac_f32_e32 v89, v41, v37
	v_lshrrev_b32_e32 v41, 16, v42
	v_and_b32_e32 v37, 0xffff, v42
	v_lshrrev_b32_e32 v42, 16, v38
	v_and_b32_e32 v38, 0xffff, v38
	;;#ASMSTART
	v_cvt_f32_f16 v46, v46;
	;;#ASMEND
	;;#ASMSTART
	v_cvt_f32_f16 v37, v37;
	;;#ASMEND
	;; [unrolled: 3-line block ×5, first 2 shown]
	v_fmac_f32_e32 v90, v37, v38
	v_fmac_f32_e32 v94, v41, v42
	v_lshrrev_b32_e32 v38, 16, v43
	v_and_b32_e32 v37, 0xffff, v43
	v_lshrrev_b32_e32 v41, 16, v39
	v_and_b32_e32 v39, 0xffff, v39
	;;#ASMSTART
	v_cvt_f32_f16 v37, v37;
	;;#ASMEND
	;;#ASMSTART
	v_cvt_f32_f16 v38, v38;
	;;#ASMEND
	;; [unrolled: 3-line block ×4, first 2 shown]
	v_fmac_f32_e32 v91, v37, v39
	v_fmac_f32_e32 v95, v38, v41
	v_lshrrev_b32_e32 v38, 16, v44
	v_and_b32_e32 v37, 0xffff, v44
	v_and_b32_e32 v39, 0xffff, v40
	;;#ASMSTART
	v_cvt_f32_f16 v37, v37;
	;;#ASMEND
	;;#ASMSTART
	v_cvt_f32_f16 v38, v38;
	;;#ASMEND
	v_lshrrev_b32_e32 v41, 16, v40
	;;#ASMSTART
	v_cvt_f32_f16 v39, v39;
	;;#ASMEND
	;;#ASMSTART
	v_cvt_f32_f16 v40, v41;
	;;#ASMEND
	v_fmac_f32_e32 v92, v37, v39
	v_fmac_f32_e32 v96, v38, v40
	ds_read_b128 v[37:40], v104 offset:240
	s_waitcnt vmcnt(8)
	v_lshrrev_b32_e32 v42, 16, v33
	v_and_b32_e32 v33, 0xffff, v33
	v_fmac_f32_e32 v93, v45, v46
	s_waitcnt lgkmcnt(0)
	v_lshrrev_b32_e32 v41, 16, v37
	v_and_b32_e32 v37, 0xffff, v37
	;;#ASMSTART
	v_cvt_f32_f16 v37, v37;
	;;#ASMEND
	;;#ASMSTART
	v_cvt_f32_f16 v41, v41;
	;;#ASMEND
	;; [unrolled: 3-line block ×3, first 2 shown]
	v_fmac_f32_e32 v89, v37, v33
	v_lshrrev_b32_e32 v37, 16, v38
	v_and_b32_e32 v33, 0xffff, v38
	v_lshrrev_b32_e32 v38, 16, v34
	v_and_b32_e32 v34, 0xffff, v34
	;;#ASMSTART
	v_cvt_f32_f16 v42, v42;
	;;#ASMEND
	;;#ASMSTART
	v_cvt_f32_f16 v33, v33;
	;;#ASMEND
	;; [unrolled: 3-line block ×5, first 2 shown]
	v_fmac_f32_e32 v90, v33, v34
	v_fmac_f32_e32 v94, v37, v38
	v_lshrrev_b32_e32 v34, 16, v39
	v_and_b32_e32 v33, 0xffff, v39
	v_lshrrev_b32_e32 v37, 16, v35
	v_and_b32_e32 v35, 0xffff, v35
	;;#ASMSTART
	v_cvt_f32_f16 v33, v33;
	;;#ASMEND
	;;#ASMSTART
	v_cvt_f32_f16 v34, v34;
	;;#ASMEND
	;; [unrolled: 3-line block ×4, first 2 shown]
	v_fmac_f32_e32 v91, v33, v35
	v_fmac_f32_e32 v95, v34, v37
	v_lshrrev_b32_e32 v34, 16, v40
	v_and_b32_e32 v33, 0xffff, v40
	v_and_b32_e32 v35, 0xffff, v36
	;;#ASMSTART
	v_cvt_f32_f16 v33, v33;
	;;#ASMEND
	;;#ASMSTART
	v_cvt_f32_f16 v34, v34;
	;;#ASMEND
	v_lshrrev_b32_e32 v37, 16, v36
	;;#ASMSTART
	v_cvt_f32_f16 v35, v35;
	;;#ASMEND
	;;#ASMSTART
	v_cvt_f32_f16 v36, v37;
	;;#ASMEND
	v_fmac_f32_e32 v92, v33, v35
	v_fmac_f32_e32 v96, v34, v36
	ds_read_b128 v[33:36], v104 offset:256
	s_waitcnt vmcnt(7)
	v_lshrrev_b32_e32 v38, 16, v29
	v_and_b32_e32 v29, 0xffff, v29
	v_fmac_f32_e32 v93, v41, v42
	s_waitcnt lgkmcnt(0)
	v_lshrrev_b32_e32 v37, 16, v33
	v_and_b32_e32 v33, 0xffff, v33
	;;#ASMSTART
	v_cvt_f32_f16 v33, v33;
	;;#ASMEND
	;;#ASMSTART
	v_cvt_f32_f16 v37, v37;
	;;#ASMEND
	;; [unrolled: 3-line block ×3, first 2 shown]
	v_fmac_f32_e32 v89, v33, v29
	v_lshrrev_b32_e32 v33, 16, v34
	v_and_b32_e32 v29, 0xffff, v34
	v_lshrrev_b32_e32 v34, 16, v30
	v_and_b32_e32 v30, 0xffff, v30
	;;#ASMSTART
	v_cvt_f32_f16 v38, v38;
	;;#ASMEND
	;;#ASMSTART
	v_cvt_f32_f16 v29, v29;
	;;#ASMEND
	;; [unrolled: 3-line block ×5, first 2 shown]
	v_fmac_f32_e32 v90, v29, v30
	v_fmac_f32_e32 v94, v33, v34
	v_lshrrev_b32_e32 v30, 16, v35
	v_and_b32_e32 v29, 0xffff, v35
	v_lshrrev_b32_e32 v33, 16, v31
	v_and_b32_e32 v31, 0xffff, v31
	;;#ASMSTART
	v_cvt_f32_f16 v29, v29;
	;;#ASMEND
	;;#ASMSTART
	v_cvt_f32_f16 v30, v30;
	;;#ASMEND
	;; [unrolled: 3-line block ×4, first 2 shown]
	v_fmac_f32_e32 v91, v29, v31
	v_fmac_f32_e32 v95, v30, v33
	v_lshrrev_b32_e32 v30, 16, v36
	v_and_b32_e32 v29, 0xffff, v36
	v_and_b32_e32 v31, 0xffff, v32
	;;#ASMSTART
	v_cvt_f32_f16 v29, v29;
	;;#ASMEND
	;;#ASMSTART
	v_cvt_f32_f16 v30, v30;
	;;#ASMEND
	v_lshrrev_b32_e32 v33, 16, v32
	;;#ASMSTART
	v_cvt_f32_f16 v31, v31;
	;;#ASMEND
	;;#ASMSTART
	v_cvt_f32_f16 v32, v33;
	;;#ASMEND
	v_fmac_f32_e32 v92, v29, v31
	v_fmac_f32_e32 v96, v30, v32
	ds_read_b128 v[29:32], v104 offset:272
	s_waitcnt vmcnt(6)
	v_lshrrev_b32_e32 v34, 16, v25
	v_and_b32_e32 v25, 0xffff, v25
	v_fmac_f32_e32 v93, v37, v38
	s_waitcnt lgkmcnt(0)
	v_lshrrev_b32_e32 v33, 16, v29
	v_and_b32_e32 v29, 0xffff, v29
	;;#ASMSTART
	v_cvt_f32_f16 v29, v29;
	;;#ASMEND
	;;#ASMSTART
	v_cvt_f32_f16 v33, v33;
	;;#ASMEND
	;; [unrolled: 3-line block ×3, first 2 shown]
	v_fmac_f32_e32 v89, v29, v25
	v_lshrrev_b32_e32 v29, 16, v30
	v_and_b32_e32 v25, 0xffff, v30
	v_lshrrev_b32_e32 v30, 16, v26
	v_and_b32_e32 v26, 0xffff, v26
	;;#ASMSTART
	v_cvt_f32_f16 v34, v34;
	;;#ASMEND
	;;#ASMSTART
	v_cvt_f32_f16 v25, v25;
	;;#ASMEND
	;; [unrolled: 3-line block ×5, first 2 shown]
	v_fmac_f32_e32 v90, v25, v26
	v_fmac_f32_e32 v94, v29, v30
	v_lshrrev_b32_e32 v26, 16, v31
	v_and_b32_e32 v25, 0xffff, v31
	v_lshrrev_b32_e32 v29, 16, v27
	v_and_b32_e32 v27, 0xffff, v27
	;;#ASMSTART
	v_cvt_f32_f16 v25, v25;
	;;#ASMEND
	;;#ASMSTART
	v_cvt_f32_f16 v26, v26;
	;;#ASMEND
	;; [unrolled: 3-line block ×4, first 2 shown]
	v_fmac_f32_e32 v91, v25, v27
	v_fmac_f32_e32 v95, v26, v29
	v_lshrrev_b32_e32 v26, 16, v32
	v_and_b32_e32 v25, 0xffff, v32
	v_and_b32_e32 v27, 0xffff, v28
	;;#ASMSTART
	v_cvt_f32_f16 v25, v25;
	;;#ASMEND
	;;#ASMSTART
	v_cvt_f32_f16 v26, v26;
	;;#ASMEND
	v_lshrrev_b32_e32 v29, 16, v28
	;;#ASMSTART
	v_cvt_f32_f16 v27, v27;
	;;#ASMEND
	;;#ASMSTART
	v_cvt_f32_f16 v28, v29;
	;;#ASMEND
	v_fmac_f32_e32 v92, v25, v27
	v_fmac_f32_e32 v96, v26, v28
	ds_read_b128 v[25:28], v104 offset:288
	s_waitcnt vmcnt(5)
	v_lshrrev_b32_e32 v30, 16, v21
	v_and_b32_e32 v21, 0xffff, v21
	v_fmac_f32_e32 v93, v33, v34
	s_waitcnt lgkmcnt(0)
	v_lshrrev_b32_e32 v29, 16, v25
	v_and_b32_e32 v25, 0xffff, v25
	;;#ASMSTART
	v_cvt_f32_f16 v25, v25;
	;;#ASMEND
	;;#ASMSTART
	v_cvt_f32_f16 v29, v29;
	;;#ASMEND
	;; [unrolled: 3-line block ×3, first 2 shown]
	v_fmac_f32_e32 v89, v25, v21
	v_lshrrev_b32_e32 v25, 16, v26
	v_and_b32_e32 v21, 0xffff, v26
	v_lshrrev_b32_e32 v26, 16, v22
	v_and_b32_e32 v22, 0xffff, v22
	;;#ASMSTART
	v_cvt_f32_f16 v30, v30;
	;;#ASMEND
	;;#ASMSTART
	v_cvt_f32_f16 v21, v21;
	;;#ASMEND
	;;#ASMSTART
	v_cvt_f32_f16 v25, v25;
	;;#ASMEND
	;;#ASMSTART
	v_cvt_f32_f16 v22, v22;
	;;#ASMEND
	;;#ASMSTART
	v_cvt_f32_f16 v26, v26;
	;;#ASMEND
	v_fmac_f32_e32 v90, v21, v22
	v_fmac_f32_e32 v94, v25, v26
	v_lshrrev_b32_e32 v22, 16, v27
	v_and_b32_e32 v21, 0xffff, v27
	v_lshrrev_b32_e32 v25, 16, v23
	v_and_b32_e32 v23, 0xffff, v23
	;;#ASMSTART
	v_cvt_f32_f16 v21, v21;
	;;#ASMEND
	;;#ASMSTART
	v_cvt_f32_f16 v22, v22;
	;;#ASMEND
	;; [unrolled: 3-line block ×4, first 2 shown]
	v_fmac_f32_e32 v91, v21, v23
	v_fmac_f32_e32 v95, v22, v25
	v_lshrrev_b32_e32 v22, 16, v28
	v_and_b32_e32 v21, 0xffff, v28
	v_and_b32_e32 v23, 0xffff, v24
	;;#ASMSTART
	v_cvt_f32_f16 v21, v21;
	;;#ASMEND
	;;#ASMSTART
	v_cvt_f32_f16 v22, v22;
	;;#ASMEND
	v_lshrrev_b32_e32 v25, 16, v24
	;;#ASMSTART
	v_cvt_f32_f16 v23, v23;
	;;#ASMEND
	;;#ASMSTART
	v_cvt_f32_f16 v24, v25;
	;;#ASMEND
	v_fmac_f32_e32 v92, v21, v23
	v_fmac_f32_e32 v96, v22, v24
	ds_read_b128 v[21:24], v104 offset:304
	s_waitcnt vmcnt(4)
	v_lshrrev_b32_e32 v26, 16, v17
	v_and_b32_e32 v17, 0xffff, v17
	v_fmac_f32_e32 v93, v29, v30
	s_waitcnt lgkmcnt(0)
	v_lshrrev_b32_e32 v25, 16, v21
	v_and_b32_e32 v21, 0xffff, v21
	;;#ASMSTART
	v_cvt_f32_f16 v21, v21;
	;;#ASMEND
	;;#ASMSTART
	v_cvt_f32_f16 v25, v25;
	;;#ASMEND
	;; [unrolled: 3-line block ×3, first 2 shown]
	v_fmac_f32_e32 v89, v21, v17
	v_lshrrev_b32_e32 v21, 16, v22
	v_and_b32_e32 v17, 0xffff, v22
	v_lshrrev_b32_e32 v22, 16, v18
	v_and_b32_e32 v18, 0xffff, v18
	;;#ASMSTART
	v_cvt_f32_f16 v26, v26;
	;;#ASMEND
	;;#ASMSTART
	v_cvt_f32_f16 v17, v17;
	;;#ASMEND
	;;#ASMSTART
	v_cvt_f32_f16 v21, v21;
	;;#ASMEND
	;;#ASMSTART
	v_cvt_f32_f16 v18, v18;
	;;#ASMEND
	;;#ASMSTART
	v_cvt_f32_f16 v22, v22;
	;;#ASMEND
	v_fmac_f32_e32 v90, v17, v18
	v_fmac_f32_e32 v94, v21, v22
	v_lshrrev_b32_e32 v18, 16, v23
	v_and_b32_e32 v17, 0xffff, v23
	v_lshrrev_b32_e32 v21, 16, v19
	v_and_b32_e32 v19, 0xffff, v19
	;;#ASMSTART
	v_cvt_f32_f16 v17, v17;
	;;#ASMEND
	;;#ASMSTART
	v_cvt_f32_f16 v18, v18;
	;;#ASMEND
	;; [unrolled: 3-line block ×4, first 2 shown]
	v_fmac_f32_e32 v91, v17, v19
	v_fmac_f32_e32 v95, v18, v21
	v_lshrrev_b32_e32 v18, 16, v24
	v_and_b32_e32 v17, 0xffff, v24
	v_and_b32_e32 v19, 0xffff, v20
	;;#ASMSTART
	v_cvt_f32_f16 v17, v17;
	;;#ASMEND
	;;#ASMSTART
	v_cvt_f32_f16 v18, v18;
	;;#ASMEND
	v_lshrrev_b32_e32 v21, 16, v20
	;;#ASMSTART
	v_cvt_f32_f16 v19, v19;
	;;#ASMEND
	;;#ASMSTART
	v_cvt_f32_f16 v20, v21;
	;;#ASMEND
	v_fmac_f32_e32 v92, v17, v19
	v_fmac_f32_e32 v96, v18, v20
	ds_read_b128 v[17:20], v104 offset:320
	s_waitcnt vmcnt(3)
	v_lshrrev_b32_e32 v22, 16, v13
	v_and_b32_e32 v13, 0xffff, v13
	v_fmac_f32_e32 v93, v25, v26
	s_waitcnt lgkmcnt(0)
	v_lshrrev_b32_e32 v21, 16, v17
	v_and_b32_e32 v17, 0xffff, v17
	;;#ASMSTART
	v_cvt_f32_f16 v17, v17;
	;;#ASMEND
	;;#ASMSTART
	v_cvt_f32_f16 v21, v21;
	;;#ASMEND
	;; [unrolled: 3-line block ×3, first 2 shown]
	v_fmac_f32_e32 v89, v17, v13
	v_lshrrev_b32_e32 v17, 16, v18
	v_and_b32_e32 v13, 0xffff, v18
	v_lshrrev_b32_e32 v18, 16, v14
	v_and_b32_e32 v14, 0xffff, v14
	;;#ASMSTART
	v_cvt_f32_f16 v22, v22;
	;;#ASMEND
	;;#ASMSTART
	v_cvt_f32_f16 v13, v13;
	;;#ASMEND
	;; [unrolled: 3-line block ×5, first 2 shown]
	v_fmac_f32_e32 v90, v13, v14
	v_fmac_f32_e32 v94, v17, v18
	v_lshrrev_b32_e32 v14, 16, v19
	v_and_b32_e32 v13, 0xffff, v19
	v_lshrrev_b32_e32 v17, 16, v15
	v_and_b32_e32 v15, 0xffff, v15
	;;#ASMSTART
	v_cvt_f32_f16 v13, v13;
	;;#ASMEND
	;;#ASMSTART
	v_cvt_f32_f16 v14, v14;
	;;#ASMEND
	;; [unrolled: 3-line block ×4, first 2 shown]
	v_fmac_f32_e32 v91, v13, v15
	v_fmac_f32_e32 v95, v14, v17
	v_lshrrev_b32_e32 v14, 16, v20
	v_and_b32_e32 v13, 0xffff, v20
	v_and_b32_e32 v15, 0xffff, v16
	;;#ASMSTART
	v_cvt_f32_f16 v13, v13;
	;;#ASMEND
	;;#ASMSTART
	v_cvt_f32_f16 v14, v14;
	;;#ASMEND
	v_lshrrev_b32_e32 v17, 16, v16
	;;#ASMSTART
	v_cvt_f32_f16 v15, v15;
	;;#ASMEND
	;;#ASMSTART
	v_cvt_f32_f16 v16, v17;
	;;#ASMEND
	v_fmac_f32_e32 v92, v13, v15
	v_fmac_f32_e32 v96, v14, v16
	ds_read_b128 v[13:16], v104 offset:336
	s_waitcnt vmcnt(2)
	v_lshrrev_b32_e32 v18, 16, v9
	v_and_b32_e32 v9, 0xffff, v9
	v_fmac_f32_e32 v93, v21, v22
	s_waitcnt lgkmcnt(0)
	v_lshrrev_b32_e32 v17, 16, v13
	v_and_b32_e32 v13, 0xffff, v13
	;;#ASMSTART
	v_cvt_f32_f16 v13, v13;
	;;#ASMEND
	;;#ASMSTART
	v_cvt_f32_f16 v17, v17;
	;;#ASMEND
	;; [unrolled: 3-line block ×3, first 2 shown]
	v_fmac_f32_e32 v89, v13, v9
	v_lshrrev_b32_e32 v13, 16, v14
	v_and_b32_e32 v9, 0xffff, v14
	v_lshrrev_b32_e32 v14, 16, v10
	v_and_b32_e32 v10, 0xffff, v10
	;;#ASMSTART
	v_cvt_f32_f16 v18, v18;
	;;#ASMEND
	;;#ASMSTART
	v_cvt_f32_f16 v9, v9;
	;;#ASMEND
	;; [unrolled: 3-line block ×5, first 2 shown]
	v_fmac_f32_e32 v90, v9, v10
	v_fmac_f32_e32 v94, v13, v14
	v_lshrrev_b32_e32 v10, 16, v15
	v_and_b32_e32 v9, 0xffff, v15
	v_lshrrev_b32_e32 v13, 16, v11
	v_and_b32_e32 v11, 0xffff, v11
	;;#ASMSTART
	v_cvt_f32_f16 v9, v9;
	;;#ASMEND
	;;#ASMSTART
	v_cvt_f32_f16 v10, v10;
	;;#ASMEND
	;; [unrolled: 3-line block ×4, first 2 shown]
	v_fmac_f32_e32 v91, v9, v11
	v_fmac_f32_e32 v95, v10, v13
	v_lshrrev_b32_e32 v10, 16, v16
	v_and_b32_e32 v9, 0xffff, v16
	v_and_b32_e32 v11, 0xffff, v12
	;;#ASMSTART
	v_cvt_f32_f16 v9, v9;
	;;#ASMEND
	;;#ASMSTART
	v_cvt_f32_f16 v10, v10;
	;;#ASMEND
	v_lshrrev_b32_e32 v13, 16, v12
	;;#ASMSTART
	v_cvt_f32_f16 v11, v11;
	;;#ASMEND
	;;#ASMSTART
	v_cvt_f32_f16 v12, v13;
	;;#ASMEND
	v_fmac_f32_e32 v92, v9, v11
	v_fmac_f32_e32 v96, v10, v12
	ds_read_b128 v[9:12], v104 offset:352
	s_waitcnt vmcnt(1)
	v_lshrrev_b32_e32 v14, 16, v5
	v_and_b32_e32 v5, 0xffff, v5
	v_fmac_f32_e32 v93, v17, v18
	s_waitcnt lgkmcnt(0)
	v_lshrrev_b32_e32 v13, 16, v9
	v_and_b32_e32 v9, 0xffff, v9
	;;#ASMSTART
	v_cvt_f32_f16 v9, v9;
	;;#ASMEND
	;;#ASMSTART
	v_cvt_f32_f16 v13, v13;
	;;#ASMEND
	;; [unrolled: 3-line block ×3, first 2 shown]
	v_fmac_f32_e32 v89, v9, v5
	v_lshrrev_b32_e32 v9, 16, v10
	v_and_b32_e32 v5, 0xffff, v10
	v_lshrrev_b32_e32 v10, 16, v6
	v_and_b32_e32 v6, 0xffff, v6
	;;#ASMSTART
	v_cvt_f32_f16 v14, v14;
	;;#ASMEND
	;;#ASMSTART
	v_cvt_f32_f16 v5, v5;
	;;#ASMEND
	;; [unrolled: 3-line block ×5, first 2 shown]
	v_fmac_f32_e32 v90, v5, v6
	v_fmac_f32_e32 v94, v9, v10
	v_lshrrev_b32_e32 v6, 16, v11
	v_and_b32_e32 v5, 0xffff, v11
	v_lshrrev_b32_e32 v9, 16, v7
	v_and_b32_e32 v7, 0xffff, v7
	;;#ASMSTART
	v_cvt_f32_f16 v5, v5;
	;;#ASMEND
	;;#ASMSTART
	v_cvt_f32_f16 v6, v6;
	;;#ASMEND
	;; [unrolled: 3-line block ×4, first 2 shown]
	v_fmac_f32_e32 v91, v5, v7
	v_fmac_f32_e32 v95, v6, v9
	v_lshrrev_b32_e32 v6, 16, v12
	v_and_b32_e32 v5, 0xffff, v12
	v_and_b32_e32 v7, 0xffff, v8
	;;#ASMSTART
	v_cvt_f32_f16 v5, v5;
	;;#ASMEND
	;;#ASMSTART
	v_cvt_f32_f16 v6, v6;
	;;#ASMEND
	v_lshrrev_b32_e32 v9, 16, v8
	;;#ASMSTART
	v_cvt_f32_f16 v7, v7;
	;;#ASMEND
	;;#ASMSTART
	v_cvt_f32_f16 v8, v9;
	;;#ASMEND
	v_fmac_f32_e32 v92, v5, v7
	v_fmac_f32_e32 v96, v6, v8
	ds_read_b128 v[5:8], v104 offset:368
	v_fmac_f32_e32 v93, v13, v14
	s_waitcnt vmcnt(0)
	v_lshrrev_b32_e32 v10, 16, v1
	v_and_b32_e32 v1, 0xffff, v1
	s_waitcnt lgkmcnt(0)
	v_lshrrev_b32_e32 v9, 16, v5
	v_and_b32_e32 v5, 0xffff, v5
	;;#ASMSTART
	v_cvt_f32_f16 v5, v5;
	;;#ASMEND
	;;#ASMSTART
	v_cvt_f32_f16 v9, v9;
	;;#ASMEND
	;; [unrolled: 3-line block ×3, first 2 shown]
	v_fmac_f32_e32 v89, v5, v1
	v_and_b32_e32 v1, 0xffff, v6
	;;#ASMSTART
	v_cvt_f32_f16 v10, v10;
	;;#ASMEND
	v_fmac_f32_e32 v93, v9, v10
	v_lshrrev_b32_e32 v5, 16, v6
	;;#ASMSTART
	v_cvt_f32_f16 v1, v1;
	;;#ASMEND
	v_lshrrev_b32_e32 v6, 16, v2
	v_and_b32_e32 v2, 0xffff, v2
	;;#ASMSTART
	v_cvt_f32_f16 v5, v5;
	;;#ASMEND
	;;#ASMSTART
	v_cvt_f32_f16 v2, v2;
	;;#ASMEND
	v_fmac_f32_e32 v90, v1, v2
	v_and_b32_e32 v1, 0xffff, v7
	;;#ASMSTART
	v_cvt_f32_f16 v6, v6;
	;;#ASMEND
	v_fmac_f32_e32 v94, v5, v6
	v_lshrrev_b32_e32 v2, 16, v7
	;;#ASMSTART
	v_cvt_f32_f16 v1, v1;
	;;#ASMEND
	v_lshrrev_b32_e32 v5, 16, v3
	v_and_b32_e32 v3, 0xffff, v3
	;;#ASMSTART
	v_cvt_f32_f16 v2, v2;
	;;#ASMEND
	;;#ASMSTART
	v_cvt_f32_f16 v3, v3;
	;;#ASMEND
	v_fmac_f32_e32 v91, v1, v3
	v_and_b32_e32 v1, 0xffff, v8
	;;#ASMSTART
	v_cvt_f32_f16 v5, v5;
	;;#ASMEND
	v_fmac_f32_e32 v95, v2, v5
	v_lshrrev_b32_e32 v2, 16, v8
	;;#ASMSTART
	v_cvt_f32_f16 v1, v1;
	;;#ASMEND
	v_and_b32_e32 v3, 0xffff, v4
	;;#ASMSTART
	v_cvt_f32_f16 v2, v2;
	;;#ASMEND
	;;#ASMSTART
	v_cvt_f32_f16 v3, v3;
	;;#ASMEND
	v_fmac_f32_e32 v92, v1, v3
	v_add_f32_e32 v1, v89, v93
	v_lshrrev_b32_e32 v5, 16, v4
	;;#ASMSTART
	v_cvt_f32_f16 v4, v5;
	;;#ASMEND
	v_fmac_f32_e32 v96, v2, v4
	v_add_f32_e32 v1, v1, v90
	v_add_f32_e32 v1, v94, v1
	;; [unrolled: 1-line block ×6, first 2 shown]
	v_fmac_f32_e32 v110, s3, v1
	v_cndmask_b32_e64 v1, 0, v110, s1
	ds_write_b32 v106, v1
	v_max_f32_e32 v1, v103, v103
	v_add_nc_u32_e32 v106, 0x200, v106
	v_max_f32_e32 v1, v1, v110
	v_cndmask_b32_e64 v103, v103, v1, s1
	v_add_co_u32 v97, s1, v97, 16
	v_add_co_ci_u32_e64 v98, null, 0, v98, s1
	v_cmp_le_i32_e64 s1, s12, v109
	s_or_b32 s5, s1, s5
	s_andn2_b32 exec_lo, exec_lo, s5
	s_cbranch_execnz .LBB106_6
; %bb.7:
	s_or_b32 exec_lo, exec_lo, s5
	v_lshlrev_b32_e32 v38, 4, v0
.LBB106_8:
	s_or_b32 exec_lo, exec_lo, s25
	v_mbcnt_lo_u32_b32 v2, -1, 0
	v_max_f32_e32 v5, v103, v103
	v_xor_b32_e32 v1, 16, v2
	v_xor_b32_e32 v4, 8, v2
	v_cmp_gt_i32_e32 vcc_lo, 32, v1
	v_cndmask_b32_e32 v1, v2, v1, vcc_lo
	v_cmp_gt_i32_e32 vcc_lo, 32, v4
	v_lshlrev_b32_e32 v1, 2, v1
	v_cndmask_b32_e32 v4, v2, v4, vcc_lo
	ds_bpermute_b32 v3, v1, v103
	s_waitcnt lgkmcnt(0)
	v_max_f32_e32 v6, v3, v3
	v_lshlrev_b32_e32 v3, 2, v4
	v_max_f32_e32 v5, v5, v6
	v_xor_b32_e32 v6, 4, v2
	ds_bpermute_b32 v4, v3, v5
	v_cmp_gt_i32_e32 vcc_lo, 32, v6
	v_cndmask_b32_e32 v6, v2, v6, vcc_lo
	s_waitcnt lgkmcnt(0)
	v_max_f32_e32 v7, v4, v4
	v_lshlrev_b32_e32 v4, 2, v6
	v_max_f32_e32 v5, v5, v7
	v_xor_b32_e32 v7, 2, v2
	ds_bpermute_b32 v6, v4, v5
	v_cmp_gt_i32_e32 vcc_lo, 32, v7
	v_cndmask_b32_e32 v7, v2, v7, vcc_lo
	v_lshlrev_b32_e32 v12, 2, v7
	v_xor_b32_e32 v7, 1, v2
	v_cmp_gt_i32_e32 vcc_lo, 32, v7
	s_waitcnt lgkmcnt(0)
	v_max_f32_e32 v6, v6, v6
	v_cndmask_b32_e32 v7, v2, v7, vcc_lo
	v_cmp_eq_u32_e32 vcc_lo, 0, v100
	v_max_f32_e32 v5, v5, v6
	v_lshlrev_b32_e32 v11, 2, v7
	ds_bpermute_b32 v6, v12, v5
	s_waitcnt lgkmcnt(0)
	v_max_f32_e32 v6, v6, v6
	v_max_f32_e32 v2, v5, v6
	v_lshlrev_b32_e32 v5, 2, v99
	ds_bpermute_b32 v6, v11, v2
	s_and_saveexec_b32 s1, vcc_lo
	s_cbranch_execz .LBB106_10
; %bb.9:
	s_waitcnt lgkmcnt(0)
	v_max_f32_e32 v6, v6, v6
	v_max_f32_e32 v2, v2, v2
	;; [unrolled: 1-line block ×3, first 2 shown]
	ds_write_b32 v5, v2 offset:384
.LBB106_10:
	s_or_b32 exec_lo, exec_lo, s1
	v_cmp_gt_u32_e64 s1, 4, v100
	v_mov_b32_e32 v2, 0xff7fffff
	s_waitcnt lgkmcnt(0)
	s_barrier
	buffer_gl0_inv
	s_and_saveexec_b32 s2, s1
; %bb.11:
	ds_read_b32 v2, v102 offset:384
; %bb.12:
	s_or_b32 exec_lo, exec_lo, s2
	s_waitcnt lgkmcnt(0)
	ds_bpermute_b32 v6, v12, v2
	v_max_f32_e32 v2, v2, v2
	s_lshl_b32 s2, s12, 5
	s_min_i32 s4, s2, s11
	v_cmp_gt_i32_e64 s2, s4, v0
	s_waitcnt lgkmcnt(0)
	v_max_f32_e32 v6, v6, v6
	v_max_f32_e32 v2, v2, v6
	ds_bpermute_b32 v6, v11, v2
	s_waitcnt lgkmcnt(0)
	v_max_f32_e32 v6, v6, v6
	v_max_f32_e32 v2, v2, v6
	v_mov_b32_e32 v6, 0
	ds_bpermute_b32 v7, v6, v2
	v_lshl_add_u32 v2, v0, 2, 0x1a0
	s_and_saveexec_b32 s5, s2
	s_cbranch_execz .LBB106_16
; %bb.13:
	v_lshl_add_u32 v8, v0, 2, 0x1a0
	v_mov_b32_e32 v6, 0
	v_mov_b32_e32 v9, v0
	s_mov_b32 s15, 0
	.p2align	6
.LBB106_14:                             ; =>This Inner Loop Header: Depth=1
	ds_read_b32 v10, v8
	v_add_nc_u32_e32 v9, 0x80, v9
	v_cmp_le_i32_e64 s3, s4, v9
	s_or_b32 s15, s3, s15
	s_waitcnt lgkmcnt(0)
	v_sub_f32_e32 v10, v10, v7
	v_mul_f32_e32 v10, 0x3fb8aa3b, v10
	v_exp_f32_e32 v10, v10
	ds_write_b32 v8, v10
	v_add_f32_e32 v6, v6, v10
	v_add_nc_u32_e32 v8, 0x200, v8
	s_andn2_b32 exec_lo, exec_lo, s15
	s_cbranch_execnz .LBB106_14
; %bb.15:
	s_or_b32 exec_lo, exec_lo, s15
.LBB106_16:
	s_or_b32 exec_lo, exec_lo, s5
	ds_bpermute_b32 v1, v1, v6
	s_waitcnt lgkmcnt(0)
	v_add_f32_e32 v1, v6, v1
	ds_bpermute_b32 v3, v3, v1
	s_waitcnt lgkmcnt(0)
	v_add_f32_e32 v1, v1, v3
	;; [unrolled: 3-line block ×5, first 2 shown]
	s_and_saveexec_b32 s3, vcc_lo
; %bb.17:
	ds_write_b32 v5, v1 offset:400
; %bb.18:
	s_or_b32 exec_lo, exec_lo, s3
	s_waitcnt lgkmcnt(0)
	s_barrier
	buffer_gl0_inv
	s_and_saveexec_b32 s3, s1
; %bb.19:
	ds_read_b32 v1, v102 offset:400
; %bb.20:
	s_or_b32 exec_lo, exec_lo, s3
	s_waitcnt lgkmcnt(0)
	ds_bpermute_b32 v3, v12, v1
	s_waitcnt lgkmcnt(0)
	v_add_f32_e32 v1, v1, v3
	ds_bpermute_b32 v3, v11, v1
	s_waitcnt lgkmcnt(0)
	v_add_f32_e32 v1, v1, v3
	v_mov_b32_e32 v3, 0
	ds_bpermute_b32 v1, v3, v1
	s_and_saveexec_b32 s1, s2
	s_cbranch_execz .LBB106_23
; %bb.21:
	s_waitcnt lgkmcnt(0)
	v_add_f32_e32 v1, 0x358637bd, v1
	s_mov_b32 s2, 0
	v_div_scale_f32 v3, null, v1, v1, 1.0
	v_div_scale_f32 v6, vcc_lo, 1.0, v1, 1.0
	v_rcp_f32_e32 v4, v3
	v_fma_f32 v5, -v3, v4, 1.0
	v_fmac_f32_e32 v4, v5, v4
	v_mul_f32_e32 v5, v6, v4
	v_fma_f32 v7, -v3, v5, v6
	v_fmac_f32_e32 v5, v7, v4
	v_fma_f32 v3, -v3, v5, v6
	v_div_fmas_f32 v3, v3, v4, v5
	v_div_fixup_f32 v1, v3, v1, 1.0
	v_mov_b32_e32 v3, v0
.LBB106_22:                             ; =>This Inner Loop Header: Depth=1
	ds_read_b32 v4, v2
	v_add_nc_u32_e32 v3, 0x80, v3
	v_cmp_le_i32_e32 vcc_lo, s4, v3
	s_or_b32 s2, vcc_lo, s2
	s_waitcnt lgkmcnt(0)
	v_mul_f32_e32 v4, v1, v4
	ds_write_b32 v2, v4
	v_add_nc_u32_e32 v2, 0x200, v2
	s_andn2_b32 exec_lo, exec_lo, s2
	s_cbranch_execnz .LBB106_22
.LBB106_23:
	s_or_b32 exec_lo, exec_lo, s1
	v_mov_b32_e32 v35, 0
	v_mov_b32_e32 v36, 0
	;; [unrolled: 1-line block ×24, first 2 shown]
	s_waitcnt lgkmcnt(0)
	s_barrier
	buffer_gl0_inv
	s_and_saveexec_b32 s2, s0
	s_cbranch_execz .LBB106_75
; %bb.24:
	v_lshlrev_b32_e32 v1, 3, v0
	s_lshl_b64 s[0:1], s[22:23], 2
	v_mov_b32_e32 v6, 0
	s_add_u32 s3, s18, s0
	s_addc_u32 s4, s19, s1
	s_ashr_i32 s15, s14, 31
	v_and_b32_e32 v37, 24, v1
	v_and_b32_e32 v1, 0x1f0, v38
	s_lshl_b64 s[0:1], s[14:15], 1
	v_mov_b32_e32 v13, 0
	s_add_u32 s0, s20, s0
	s_addc_u32 s1, s21, s1
	v_add_co_u32 v38, s0, s0, v1
	v_add_co_ci_u32_e64 v39, null, s1, 0, s0
	v_mov_b32_e32 v14, 0
	v_mov_b32_e32 v15, 0
	v_mov_b32_e32 v16, 0
	v_mov_b32_e32 v17, 0
	v_mov_b32_e32 v18, 0
	v_mov_b32_e32 v19, 0
	v_mov_b32_e32 v20, 0
	v_mov_b32_e32 v21, 0
	v_mov_b32_e32 v22, 0
	v_mov_b32_e32 v23, 0
	v_mov_b32_e32 v24, 0
	v_mov_b32_e32 v25, 0
	v_mov_b32_e32 v26, 0
	v_mov_b32_e32 v27, 0
	v_mov_b32_e32 v28, 0
	v_mov_b32_e32 v29, 0
	v_mov_b32_e32 v30, 0
	v_mov_b32_e32 v31, 0
	v_mov_b32_e32 v32, 0
	v_mov_b32_e32 v33, 0
	v_mov_b32_e32 v34, 0
	v_mov_b32_e32 v36, 0
	v_mov_b32_e32 v35, 0
	v_mov_b32_e32 v5, v99
	s_mov_b32 s5, s13
	s_add_i32 s14, s12, -1
	s_mov_b32 s13, 0
	s_branch .LBB106_26
.LBB106_25:                             ;   in Loop: Header=BB106_26 Depth=1
	s_or_b32 exec_lo, exec_lo, s1
	v_add_f32_e32 v9, v9, v10
	v_add_f32_e32 v10, v88, v89
	;; [unrolled: 1-line block ×19, first 2 shown]
	v_lshlrev_b32_e32 v10, 16, v94
	v_add_f32_e32 v40, v76, v77
	v_lshlrev_b32_e32 v8, 16, v8
	v_lshlrev_b32_e32 v7, 16, v7
	v_add_f32_e32 v20, v20, v47
	v_and_or_b32 v1, 0xffff, v1, v10
	v_add_f32_e32 v21, v21, v48
	v_add_f32_e32 v47, v74, v75
	;; [unrolled: 1-line block ×7, first 2 shown]
	v_and_or_b32 v2, 0xffff, v2, v8
	v_and_or_b32 v3, 0xffff, v3, v7
	;;#ASMSTART
	v_pk_mul_f16 v1, v42, v1;

	;;#ASMEND
	;;#ASMSTART
	v_pk_mul_f16 v2, v41, v2;

	;;#ASMEND
	;; [unrolled: 4-line block ×4, first 2 shown]
	;;#ASMSTART
	v_pk_add_f16 v1, v1, v2;

	;;#ASMEND
	;;#ASMSTART
	v_pk_add_f16 v1, v1, v3;

	;;#ASMEND
	;; [unrolled: 4-line block ×3, first 2 shown]
	v_and_b32_e32 v3, 0xffff, v1
	v_add_nc_u32_e32 v5, 4, v5
	v_lshrrev_b32_e32 v4, 16, v1
	;;#ASMSTART
	v_cvt_f32_f16 v3, v3;
	;;#ASMEND
	v_add_f32_e32 v25, v25, v47
	v_add_f32_e32 v26, v26, v48
	;; [unrolled: 1-line block ×11, first 2 shown]
	;;#ASMSTART
	v_cvt_f32_f16 v4, v4;
	;;#ASMEND
	v_add_f32_e32 v3, v3, v4
	v_cmp_le_i32_e32 vcc_lo, s12, v5
	v_add_f32_e32 v30, v30, v47
	v_add_f32_e32 v31, v31, v48
	;; [unrolled: 1-line block ×8, first 2 shown]
	s_or_b32 s13, vcc_lo, s13
	s_andn2_b32 exec_lo, exec_lo, s13
	s_cbranch_execz .LBB106_74
.LBB106_26:                             ; =>This Inner Loop Header: Depth=1
	v_lshlrev_b64 v[1:2], 2, v[5:6]
	v_lshl_or_b32 v40, v5, 5, v37
	v_cmp_eq_u32_e64 s0, s14, v5
	v_lshl_add_u32 v8, v40, 2, 0x1a0
	v_add_co_u32 v1, vcc_lo, s3, v1
	v_add_co_ci_u32_e64 v2, null, s4, v2, vcc_lo
	v_or_b32_e32 v53, 1, v40
	v_or_b32_e32 v51, 2, v40
	;; [unrolled: 1-line block ×3, first 2 shown]
	global_load_dword v7, v[1:2], off
	ds_read2_b64 v[1:4], v8 offset1:1
	ds_read2_b64 v[46:49], v8 offset0:2 offset1:3
	v_or_b32_e32 v52, 6, v40
	s_waitcnt lgkmcnt(1)
	;;#ASMSTART
	v_cvt_f16_f32 v42, v1;

	;;#ASMEND
	;;#ASMSTART
	v_cvt_f16_f32 v41, v2;

	;;#ASMEND
	;; [unrolled: 4-line block ×4, first 2 shown]
	s_waitcnt lgkmcnt(0)
	;;#ASMSTART
	v_cvt_f16_f32 v46, v46;

	;;#ASMEND
	;;#ASMSTART
	v_cvt_f16_f32 v10, v47;

	;;#ASMEND
	;;#ASMSTART
	v_cvt_f16_f32 v44, v48;

	;;#ASMEND
	;;#ASMSTART
	v_cvt_f16_f32 v9, v49;

	;;#ASMEND
	v_or_b32_e32 v48, 4, v40
	v_or_b32_e32 v47, 5, v40
	;; [unrolled: 1-line block ×3, first 2 shown]
	s_waitcnt vmcnt(0)
	v_mad_i64_i32 v[7:8], null, v7, s5, 0
	v_lshlrev_b64 v[7:8], 1, v[7:8]
	v_add_co_u32 v7, vcc_lo, v38, v7
	v_add_co_ci_u32_e64 v8, null, v39, v8, vcc_lo
	global_load_dwordx4 v[1:4], v[7:8], off
	s_waitcnt vmcnt(0)
	v_lshrrev_b32_e32 v56, 16, v1
	v_lshrrev_b32_e32 v55, 16, v2
	;; [unrolled: 1-line block ×3, first 2 shown]
	s_and_saveexec_b32 s15, s0
	s_cbranch_execz .LBB106_28
; %bb.27:                               ;   in Loop: Header=BB106_26 Depth=1
	v_cmp_gt_i32_e32 vcc_lo, s11, v40
	v_and_b32_e32 v57, 0xffff0000, v4
	v_cmp_gt_i32_e64 s1, s11, v51
	v_cndmask_b32_e32 v1, 0, v1, vcc_lo
	v_cmp_gt_i32_e32 vcc_lo, s11, v53
	v_cndmask_b32_e64 v2, 0, v2, s1
	v_cmp_gt_i32_e64 s1, s11, v50
	v_cndmask_b32_e32 v56, 0, v56, vcc_lo
	v_cmp_gt_i32_e32 vcc_lo, s11, v52
	v_cndmask_b32_e64 v55, 0, v55, s1
	v_cndmask_b32_sdwa v4, v6, v4, vcc_lo dst_sel:DWORD dst_unused:UNUSED_PAD src0_sel:DWORD src1_sel:WORD_0
	v_cmp_gt_i32_e32 vcc_lo, s11, v49
	v_cndmask_b32_e32 v57, 0, v57, vcc_lo
	v_cmp_gt_i32_e32 vcc_lo, s11, v48
	v_or_b32_e32 v4, v4, v57
	v_cndmask_b32_e32 v3, 0, v3, vcc_lo
	v_cmp_gt_i32_e32 vcc_lo, s11, v47
	v_cndmask_b32_e32 v54, 0, v54, vcc_lo
.LBB106_28:                             ;   in Loop: Header=BB106_26 Depth=1
	s_or_b32 exec_lo, exec_lo, s15
	v_and_b32_e32 v42, 0xffff, v42
	v_and_b32_e32 v45, 0xffff, v45
	v_lshlrev_b32_e32 v56, 16, v56
	v_lshlrev_b32_e32 v54, 16, v54
	v_and_b32_e32 v46, 0xffff, v46
	v_lshl_or_b32 v42, v41, 16, v42
	v_lshl_or_b32 v41, v43, 16, v45
	v_lshlrev_b32_e32 v45, 16, v55
	v_and_b32_e32 v44, 0xffff, v44
	v_and_or_b32 v1, 0xffff, v1, v56
	v_and_or_b32 v3, 0xffff, v3, v54
	;;#ASMSTART
	v_pk_mul_f16 v1, v42, v1;

	;;#ASMEND
	v_and_or_b32 v2, 0xffff, v2, v45
	v_lshl_or_b32 v43, v10, 16, v46
	v_lshl_or_b32 v44, v9, 16, v44
	;;#ASMSTART
	v_pk_mul_f16 v2, v41, v2;

	;;#ASMEND
	;;#ASMSTART
	v_pk_mul_f16 v3, v43, v3;

	;;#ASMEND
	;; [unrolled: 4-line block ×3, first 2 shown]
	;;#ASMSTART
	v_pk_add_f16 v1, v1, v2;

	;;#ASMEND
	;;#ASMSTART
	v_pk_add_f16 v1, v1, v3;

	;;#ASMEND
	;; [unrolled: 4-line block ×3, first 2 shown]
	v_and_b32_e32 v2, 0xffff, v1
	v_lshrrev_b32_e32 v1, 16, v1
	;;#ASMSTART
	v_cvt_f32_f16 v45, v2;
	;;#ASMEND
	;;#ASMSTART
	v_cvt_f32_f16 v46, v1;
	;;#ASMEND
	global_load_dwordx4 v[1:4], v[7:8], off offset:512
	s_waitcnt vmcnt(0)
	v_lshrrev_b32_e32 v54, 16, v1
	v_lshrrev_b32_e32 v10, 16, v2
	;; [unrolled: 1-line block ×3, first 2 shown]
	s_and_saveexec_b32 s15, s0
	s_cbranch_execz .LBB106_30
; %bb.29:                               ;   in Loop: Header=BB106_26 Depth=1
	v_cmp_gt_i32_e32 vcc_lo, s11, v40
	v_and_b32_e32 v55, 0xffff0000, v4
	v_cmp_gt_i32_e64 s1, s11, v51
	v_cndmask_b32_e32 v1, 0, v1, vcc_lo
	v_cmp_gt_i32_e32 vcc_lo, s11, v53
	v_cndmask_b32_e64 v2, 0, v2, s1
	v_cmp_gt_i32_e64 s1, s11, v50
	v_cndmask_b32_e32 v54, 0, v54, vcc_lo
	v_cmp_gt_i32_e32 vcc_lo, s11, v52
	v_cndmask_b32_e64 v10, 0, v10, s1
	v_cndmask_b32_sdwa v4, v6, v4, vcc_lo dst_sel:DWORD dst_unused:UNUSED_PAD src0_sel:DWORD src1_sel:WORD_0
	v_cmp_gt_i32_e32 vcc_lo, s11, v49
	v_cndmask_b32_e32 v55, 0, v55, vcc_lo
	v_cmp_gt_i32_e32 vcc_lo, s11, v48
	v_or_b32_e32 v4, v4, v55
	v_cndmask_b32_e32 v3, 0, v3, vcc_lo
	v_cmp_gt_i32_e32 vcc_lo, s11, v47
	v_cndmask_b32_e32 v9, 0, v9, vcc_lo
.LBB106_30:                             ;   in Loop: Header=BB106_26 Depth=1
	s_or_b32 exec_lo, exec_lo, s15
	v_lshlrev_b32_e32 v54, 16, v54
	v_lshlrev_b32_e32 v10, 16, v10
	;; [unrolled: 1-line block ×3, first 2 shown]
	v_and_or_b32 v1, 0xffff, v1, v54
	v_and_or_b32 v2, 0xffff, v2, v10
	;; [unrolled: 1-line block ×3, first 2 shown]
	;;#ASMSTART
	v_pk_mul_f16 v1, v42, v1;

	;;#ASMEND
	;;#ASMSTART
	v_pk_mul_f16 v2, v41, v2;

	;;#ASMEND
	;; [unrolled: 4-line block ×4, first 2 shown]
	;;#ASMSTART
	v_pk_add_f16 v1, v1, v2;

	;;#ASMEND
	;;#ASMSTART
	v_pk_add_f16 v1, v1, v3;

	;;#ASMEND
	;;#ASMSTART
	v_pk_add_f16 v1, v1, v4;

	;;#ASMEND
	v_and_b32_e32 v2, 0xffff, v1
	v_lshrrev_b32_e32 v1, 16, v1
	;;#ASMSTART
	v_cvt_f32_f16 v54, v2;
	;;#ASMEND
	;;#ASMSTART
	v_cvt_f32_f16 v55, v1;
	;;#ASMEND
	global_load_dwordx4 v[1:4], v[7:8], off offset:1024
	s_waitcnt vmcnt(0)
	v_lshrrev_b32_e32 v56, 16, v1
	v_lshrrev_b32_e32 v10, 16, v2
	;; [unrolled: 1-line block ×3, first 2 shown]
	s_and_saveexec_b32 s15, s0
	s_cbranch_execz .LBB106_32
; %bb.31:                               ;   in Loop: Header=BB106_26 Depth=1
	v_cmp_gt_i32_e32 vcc_lo, s11, v40
	v_and_b32_e32 v57, 0xffff0000, v4
	v_cmp_gt_i32_e64 s1, s11, v51
	v_cndmask_b32_e32 v1, 0, v1, vcc_lo
	v_cmp_gt_i32_e32 vcc_lo, s11, v53
	v_cndmask_b32_e64 v2, 0, v2, s1
	v_cmp_gt_i32_e64 s1, s11, v50
	v_cndmask_b32_e32 v56, 0, v56, vcc_lo
	v_cmp_gt_i32_e32 vcc_lo, s11, v52
	v_cndmask_b32_e64 v10, 0, v10, s1
	v_cndmask_b32_sdwa v4, v6, v4, vcc_lo dst_sel:DWORD dst_unused:UNUSED_PAD src0_sel:DWORD src1_sel:WORD_0
	v_cmp_gt_i32_e32 vcc_lo, s11, v49
	v_cndmask_b32_e32 v57, 0, v57, vcc_lo
	v_cmp_gt_i32_e32 vcc_lo, s11, v48
	v_or_b32_e32 v4, v4, v57
	v_cndmask_b32_e32 v3, 0, v3, vcc_lo
	v_cmp_gt_i32_e32 vcc_lo, s11, v47
	v_cndmask_b32_e32 v9, 0, v9, vcc_lo
.LBB106_32:                             ;   in Loop: Header=BB106_26 Depth=1
	s_or_b32 exec_lo, exec_lo, s15
	v_lshlrev_b32_e32 v56, 16, v56
	v_lshlrev_b32_e32 v10, 16, v10
	;; [unrolled: 1-line block ×3, first 2 shown]
	v_and_or_b32 v1, 0xffff, v1, v56
	v_and_or_b32 v2, 0xffff, v2, v10
	;; [unrolled: 1-line block ×3, first 2 shown]
	;;#ASMSTART
	v_pk_mul_f16 v1, v42, v1;

	;;#ASMEND
	;;#ASMSTART
	v_pk_mul_f16 v2, v41, v2;

	;;#ASMEND
	;; [unrolled: 4-line block ×4, first 2 shown]
	;;#ASMSTART
	v_pk_add_f16 v1, v1, v2;

	;;#ASMEND
	;;#ASMSTART
	v_pk_add_f16 v1, v1, v3;

	;;#ASMEND
	;; [unrolled: 4-line block ×3, first 2 shown]
	v_and_b32_e32 v2, 0xffff, v1
	v_lshrrev_b32_e32 v1, 16, v1
	;;#ASMSTART
	v_cvt_f32_f16 v56, v2;
	;;#ASMEND
	;;#ASMSTART
	v_cvt_f32_f16 v57, v1;
	;;#ASMEND
	global_load_dwordx4 v[1:4], v[7:8], off offset:1536
	s_waitcnt vmcnt(0)
	v_lshrrev_b32_e32 v58, 16, v1
	v_lshrrev_b32_e32 v10, 16, v2
	;; [unrolled: 1-line block ×3, first 2 shown]
	s_and_saveexec_b32 s15, s0
	s_cbranch_execz .LBB106_34
; %bb.33:                               ;   in Loop: Header=BB106_26 Depth=1
	v_cmp_gt_i32_e32 vcc_lo, s11, v40
	v_and_b32_e32 v59, 0xffff0000, v4
	v_cmp_gt_i32_e64 s1, s11, v51
	v_cndmask_b32_e32 v1, 0, v1, vcc_lo
	v_cmp_gt_i32_e32 vcc_lo, s11, v53
	v_cndmask_b32_e64 v2, 0, v2, s1
	v_cmp_gt_i32_e64 s1, s11, v50
	v_cndmask_b32_e32 v58, 0, v58, vcc_lo
	v_cmp_gt_i32_e32 vcc_lo, s11, v52
	v_cndmask_b32_e64 v10, 0, v10, s1
	v_cndmask_b32_sdwa v4, v6, v4, vcc_lo dst_sel:DWORD dst_unused:UNUSED_PAD src0_sel:DWORD src1_sel:WORD_0
	v_cmp_gt_i32_e32 vcc_lo, s11, v49
	v_cndmask_b32_e32 v59, 0, v59, vcc_lo
	v_cmp_gt_i32_e32 vcc_lo, s11, v48
	v_or_b32_e32 v4, v4, v59
	v_cndmask_b32_e32 v3, 0, v3, vcc_lo
	v_cmp_gt_i32_e32 vcc_lo, s11, v47
	v_cndmask_b32_e32 v9, 0, v9, vcc_lo
.LBB106_34:                             ;   in Loop: Header=BB106_26 Depth=1
	s_or_b32 exec_lo, exec_lo, s15
	v_lshlrev_b32_e32 v9, 16, v9
	v_lshlrev_b32_e32 v58, 16, v58
	;; [unrolled: 1-line block ×3, first 2 shown]
	v_and_or_b32 v3, 0xffff, v3, v9
	v_add_co_u32 v9, vcc_lo, 0x800, v7
	v_and_or_b32 v1, 0xffff, v1, v58
	v_and_or_b32 v2, 0xffff, v2, v10
	;;#ASMSTART
	v_pk_mul_f16 v1, v42, v1;

	;;#ASMEND
	v_add_co_ci_u32_e64 v10, null, 0, v8, vcc_lo
	;;#ASMSTART
	v_pk_mul_f16 v2, v41, v2;

	;;#ASMEND
	;;#ASMSTART
	v_pk_mul_f16 v3, v43, v3;

	;;#ASMEND
	;; [unrolled: 4-line block ×3, first 2 shown]
	;;#ASMSTART
	v_pk_add_f16 v1, v1, v2;

	;;#ASMEND
	;;#ASMSTART
	v_pk_add_f16 v1, v1, v3;

	;;#ASMEND
	;;#ASMSTART
	v_pk_add_f16 v1, v1, v4;

	;;#ASMEND
	v_lshrrev_b32_e32 v2, 16, v1
	v_and_b32_e32 v1, 0xffff, v1
	;;#ASMSTART
	v_cvt_f32_f16 v58, v1;
	;;#ASMEND
	;;#ASMSTART
	v_cvt_f32_f16 v59, v2;
	;;#ASMEND
	global_load_dwordx4 v[1:4], v[9:10], off
	s_waitcnt vmcnt(0)
	v_lshrrev_b32_e32 v62, 16, v1
	v_lshrrev_b32_e32 v61, 16, v2
	;; [unrolled: 1-line block ×3, first 2 shown]
	s_and_saveexec_b32 s15, s0
	s_cbranch_execz .LBB106_36
; %bb.35:                               ;   in Loop: Header=BB106_26 Depth=1
	v_cmp_gt_i32_e32 vcc_lo, s11, v40
	v_and_b32_e32 v63, 0xffff0000, v4
	v_cmp_gt_i32_e64 s1, s11, v51
	v_cndmask_b32_e32 v1, 0, v1, vcc_lo
	v_cmp_gt_i32_e32 vcc_lo, s11, v53
	v_cndmask_b32_e64 v2, 0, v2, s1
	v_cmp_gt_i32_e64 s1, s11, v50
	v_cndmask_b32_e32 v62, 0, v62, vcc_lo
	v_cmp_gt_i32_e32 vcc_lo, s11, v52
	v_cndmask_b32_e64 v61, 0, v61, s1
	v_cndmask_b32_sdwa v4, v6, v4, vcc_lo dst_sel:DWORD dst_unused:UNUSED_PAD src0_sel:DWORD src1_sel:WORD_0
	v_cmp_gt_i32_e32 vcc_lo, s11, v49
	v_cndmask_b32_e32 v63, 0, v63, vcc_lo
	v_cmp_gt_i32_e32 vcc_lo, s11, v48
	v_or_b32_e32 v4, v4, v63
	v_cndmask_b32_e32 v3, 0, v3, vcc_lo
	v_cmp_gt_i32_e32 vcc_lo, s11, v47
	v_cndmask_b32_e32 v60, 0, v60, vcc_lo
.LBB106_36:                             ;   in Loop: Header=BB106_26 Depth=1
	s_or_b32 exec_lo, exec_lo, s15
	v_lshlrev_b32_e32 v62, 16, v62
	v_lshlrev_b32_e32 v61, 16, v61
	v_lshlrev_b32_e32 v60, 16, v60
	v_and_or_b32 v1, 0xffff, v1, v62
	v_and_or_b32 v2, 0xffff, v2, v61
	;; [unrolled: 1-line block ×3, first 2 shown]
	;;#ASMSTART
	v_pk_mul_f16 v1, v42, v1;

	;;#ASMEND
	;;#ASMSTART
	v_pk_mul_f16 v2, v41, v2;

	;;#ASMEND
	;; [unrolled: 4-line block ×4, first 2 shown]
	;;#ASMSTART
	v_pk_add_f16 v1, v1, v2;

	;;#ASMEND
	;;#ASMSTART
	v_pk_add_f16 v1, v1, v3;

	;;#ASMEND
	;; [unrolled: 4-line block ×3, first 2 shown]
	v_and_b32_e32 v2, 0xffff, v1
	v_lshrrev_b32_e32 v1, 16, v1
	;;#ASMSTART
	v_cvt_f32_f16 v60, v2;
	;;#ASMEND
	;;#ASMSTART
	v_cvt_f32_f16 v61, v1;
	;;#ASMEND
	global_load_dwordx4 v[1:4], v[9:10], off offset:512
	s_waitcnt vmcnt(0)
	v_lshrrev_b32_e32 v64, 16, v1
	v_lshrrev_b32_e32 v63, 16, v2
	;; [unrolled: 1-line block ×3, first 2 shown]
	s_and_saveexec_b32 s15, s0
	s_cbranch_execz .LBB106_38
; %bb.37:                               ;   in Loop: Header=BB106_26 Depth=1
	v_cmp_gt_i32_e32 vcc_lo, s11, v40
	v_and_b32_e32 v65, 0xffff0000, v4
	v_cmp_gt_i32_e64 s1, s11, v51
	v_cndmask_b32_e32 v1, 0, v1, vcc_lo
	v_cmp_gt_i32_e32 vcc_lo, s11, v53
	v_cndmask_b32_e64 v2, 0, v2, s1
	v_cmp_gt_i32_e64 s1, s11, v50
	v_cndmask_b32_e32 v64, 0, v64, vcc_lo
	v_cmp_gt_i32_e32 vcc_lo, s11, v52
	v_cndmask_b32_e64 v63, 0, v63, s1
	v_cndmask_b32_sdwa v4, v6, v4, vcc_lo dst_sel:DWORD dst_unused:UNUSED_PAD src0_sel:DWORD src1_sel:WORD_0
	v_cmp_gt_i32_e32 vcc_lo, s11, v49
	v_cndmask_b32_e32 v65, 0, v65, vcc_lo
	v_cmp_gt_i32_e32 vcc_lo, s11, v48
	v_or_b32_e32 v4, v4, v65
	v_cndmask_b32_e32 v3, 0, v3, vcc_lo
	v_cmp_gt_i32_e32 vcc_lo, s11, v47
	v_cndmask_b32_e32 v62, 0, v62, vcc_lo
.LBB106_38:                             ;   in Loop: Header=BB106_26 Depth=1
	s_or_b32 exec_lo, exec_lo, s15
	v_lshlrev_b32_e32 v64, 16, v64
	v_lshlrev_b32_e32 v63, 16, v63
	;; [unrolled: 1-line block ×3, first 2 shown]
	v_and_or_b32 v1, 0xffff, v1, v64
	v_and_or_b32 v2, 0xffff, v2, v63
	;; [unrolled: 1-line block ×3, first 2 shown]
	;;#ASMSTART
	v_pk_mul_f16 v1, v42, v1;

	;;#ASMEND
	;;#ASMSTART
	v_pk_mul_f16 v2, v41, v2;

	;;#ASMEND
	;; [unrolled: 4-line block ×4, first 2 shown]
	;;#ASMSTART
	v_pk_add_f16 v1, v1, v2;

	;;#ASMEND
	;;#ASMSTART
	v_pk_add_f16 v1, v1, v3;

	;;#ASMEND
	;; [unrolled: 4-line block ×3, first 2 shown]
	v_and_b32_e32 v2, 0xffff, v1
	v_lshrrev_b32_e32 v1, 16, v1
	;;#ASMSTART
	v_cvt_f32_f16 v62, v2;
	;;#ASMEND
	;;#ASMSTART
	v_cvt_f32_f16 v63, v1;
	;;#ASMEND
	global_load_dwordx4 v[1:4], v[9:10], off offset:1024
	s_waitcnt vmcnt(0)
	v_lshrrev_b32_e32 v66, 16, v1
	v_lshrrev_b32_e32 v65, 16, v2
	;; [unrolled: 1-line block ×3, first 2 shown]
	s_and_saveexec_b32 s15, s0
	s_cbranch_execz .LBB106_40
; %bb.39:                               ;   in Loop: Header=BB106_26 Depth=1
	v_cmp_gt_i32_e32 vcc_lo, s11, v40
	v_and_b32_e32 v67, 0xffff0000, v4
	v_cmp_gt_i32_e64 s1, s11, v51
	v_cndmask_b32_e32 v1, 0, v1, vcc_lo
	v_cmp_gt_i32_e32 vcc_lo, s11, v53
	v_cndmask_b32_e64 v2, 0, v2, s1
	v_cmp_gt_i32_e64 s1, s11, v50
	v_cndmask_b32_e32 v66, 0, v66, vcc_lo
	v_cmp_gt_i32_e32 vcc_lo, s11, v52
	v_cndmask_b32_e64 v65, 0, v65, s1
	v_cndmask_b32_sdwa v4, v6, v4, vcc_lo dst_sel:DWORD dst_unused:UNUSED_PAD src0_sel:DWORD src1_sel:WORD_0
	v_cmp_gt_i32_e32 vcc_lo, s11, v49
	v_cndmask_b32_e32 v67, 0, v67, vcc_lo
	v_cmp_gt_i32_e32 vcc_lo, s11, v48
	v_or_b32_e32 v4, v4, v67
	v_cndmask_b32_e32 v3, 0, v3, vcc_lo
	v_cmp_gt_i32_e32 vcc_lo, s11, v47
	v_cndmask_b32_e32 v64, 0, v64, vcc_lo
.LBB106_40:                             ;   in Loop: Header=BB106_26 Depth=1
	s_or_b32 exec_lo, exec_lo, s15
	v_lshlrev_b32_e32 v66, 16, v66
	v_lshlrev_b32_e32 v65, 16, v65
	;; [unrolled: 1-line block ×3, first 2 shown]
	v_and_or_b32 v1, 0xffff, v1, v66
	v_and_or_b32 v2, 0xffff, v2, v65
	;; [unrolled: 1-line block ×3, first 2 shown]
	;;#ASMSTART
	v_pk_mul_f16 v1, v42, v1;

	;;#ASMEND
	;;#ASMSTART
	v_pk_mul_f16 v2, v41, v2;

	;;#ASMEND
	;;#ASMSTART
	v_pk_mul_f16 v3, v43, v3;

	;;#ASMEND
	;;#ASMSTART
	v_pk_mul_f16 v4, v44, v4;

	;;#ASMEND
	;;#ASMSTART
	v_pk_add_f16 v1, v1, v2;

	;;#ASMEND
	;;#ASMSTART
	v_pk_add_f16 v1, v1, v3;

	;;#ASMEND
	;; [unrolled: 4-line block ×3, first 2 shown]
	v_and_b32_e32 v2, 0xffff, v1
	v_lshrrev_b32_e32 v1, 16, v1
	;;#ASMSTART
	v_cvt_f32_f16 v64, v2;
	;;#ASMEND
	;;#ASMSTART
	v_cvt_f32_f16 v65, v1;
	;;#ASMEND
	global_load_dwordx4 v[1:4], v[9:10], off offset:1536
	s_waitcnt vmcnt(0)
	v_lshrrev_b32_e32 v66, 16, v1
	v_lshrrev_b32_e32 v10, 16, v2
	;; [unrolled: 1-line block ×3, first 2 shown]
	s_and_saveexec_b32 s15, s0
	s_cbranch_execz .LBB106_42
; %bb.41:                               ;   in Loop: Header=BB106_26 Depth=1
	v_cmp_gt_i32_e32 vcc_lo, s11, v40
	v_and_b32_e32 v67, 0xffff0000, v4
	v_cmp_gt_i32_e64 s1, s11, v51
	v_cndmask_b32_e32 v1, 0, v1, vcc_lo
	v_cmp_gt_i32_e32 vcc_lo, s11, v53
	v_cndmask_b32_e64 v2, 0, v2, s1
	v_cmp_gt_i32_e64 s1, s11, v50
	v_cndmask_b32_e32 v66, 0, v66, vcc_lo
	v_cmp_gt_i32_e32 vcc_lo, s11, v52
	v_cndmask_b32_e64 v10, 0, v10, s1
	v_cndmask_b32_sdwa v4, v6, v4, vcc_lo dst_sel:DWORD dst_unused:UNUSED_PAD src0_sel:DWORD src1_sel:WORD_0
	v_cmp_gt_i32_e32 vcc_lo, s11, v49
	v_cndmask_b32_e32 v67, 0, v67, vcc_lo
	v_cmp_gt_i32_e32 vcc_lo, s11, v48
	v_or_b32_e32 v4, v4, v67
	v_cndmask_b32_e32 v3, 0, v3, vcc_lo
	v_cmp_gt_i32_e32 vcc_lo, s11, v47
	v_cndmask_b32_e32 v9, 0, v9, vcc_lo
.LBB106_42:                             ;   in Loop: Header=BB106_26 Depth=1
	s_or_b32 exec_lo, exec_lo, s15
	v_lshlrev_b32_e32 v9, 16, v9
	v_lshlrev_b32_e32 v66, 16, v66
	;; [unrolled: 1-line block ×3, first 2 shown]
	v_and_or_b32 v3, 0xffff, v3, v9
	v_add_co_u32 v9, vcc_lo, 0x1000, v7
	v_and_or_b32 v1, 0xffff, v1, v66
	v_and_or_b32 v2, 0xffff, v2, v10
	;;#ASMSTART
	v_pk_mul_f16 v1, v42, v1;

	;;#ASMEND
	v_add_co_ci_u32_e64 v10, null, 0, v8, vcc_lo
	;;#ASMSTART
	v_pk_mul_f16 v2, v41, v2;

	;;#ASMEND
	;;#ASMSTART
	v_pk_mul_f16 v3, v43, v3;

	;;#ASMEND
	;; [unrolled: 4-line block ×3, first 2 shown]
	;;#ASMSTART
	v_pk_add_f16 v1, v1, v2;

	;;#ASMEND
	;;#ASMSTART
	v_pk_add_f16 v1, v1, v3;

	;;#ASMEND
	;; [unrolled: 4-line block ×3, first 2 shown]
	v_lshrrev_b32_e32 v2, 16, v1
	v_and_b32_e32 v1, 0xffff, v1
	;;#ASMSTART
	v_cvt_f32_f16 v66, v1;
	;;#ASMEND
	;;#ASMSTART
	v_cvt_f32_f16 v67, v2;
	;;#ASMEND
	global_load_dwordx4 v[1:4], v[9:10], off
	s_waitcnt vmcnt(0)
	v_lshrrev_b32_e32 v70, 16, v1
	v_lshrrev_b32_e32 v69, 16, v2
	;; [unrolled: 1-line block ×3, first 2 shown]
	s_and_saveexec_b32 s15, s0
	s_cbranch_execz .LBB106_44
; %bb.43:                               ;   in Loop: Header=BB106_26 Depth=1
	v_cmp_gt_i32_e32 vcc_lo, s11, v40
	v_and_b32_e32 v71, 0xffff0000, v4
	v_cmp_gt_i32_e64 s1, s11, v51
	v_cndmask_b32_e32 v1, 0, v1, vcc_lo
	v_cmp_gt_i32_e32 vcc_lo, s11, v53
	v_cndmask_b32_e64 v2, 0, v2, s1
	v_cmp_gt_i32_e64 s1, s11, v50
	v_cndmask_b32_e32 v70, 0, v70, vcc_lo
	v_cmp_gt_i32_e32 vcc_lo, s11, v52
	v_cndmask_b32_e64 v69, 0, v69, s1
	v_cndmask_b32_sdwa v4, v6, v4, vcc_lo dst_sel:DWORD dst_unused:UNUSED_PAD src0_sel:DWORD src1_sel:WORD_0
	v_cmp_gt_i32_e32 vcc_lo, s11, v49
	v_cndmask_b32_e32 v71, 0, v71, vcc_lo
	v_cmp_gt_i32_e32 vcc_lo, s11, v48
	v_or_b32_e32 v4, v4, v71
	v_cndmask_b32_e32 v3, 0, v3, vcc_lo
	v_cmp_gt_i32_e32 vcc_lo, s11, v47
	v_cndmask_b32_e32 v68, 0, v68, vcc_lo
.LBB106_44:                             ;   in Loop: Header=BB106_26 Depth=1
	s_or_b32 exec_lo, exec_lo, s15
	v_lshlrev_b32_e32 v70, 16, v70
	v_lshlrev_b32_e32 v69, 16, v69
	;; [unrolled: 1-line block ×3, first 2 shown]
	v_and_or_b32 v1, 0xffff, v1, v70
	v_and_or_b32 v2, 0xffff, v2, v69
	;; [unrolled: 1-line block ×3, first 2 shown]
	;;#ASMSTART
	v_pk_mul_f16 v1, v42, v1;

	;;#ASMEND
	;;#ASMSTART
	v_pk_mul_f16 v2, v41, v2;

	;;#ASMEND
	;; [unrolled: 4-line block ×4, first 2 shown]
	;;#ASMSTART
	v_pk_add_f16 v1, v1, v2;

	;;#ASMEND
	;;#ASMSTART
	v_pk_add_f16 v1, v1, v3;

	;;#ASMEND
	;; [unrolled: 4-line block ×3, first 2 shown]
	v_and_b32_e32 v2, 0xffff, v1
	v_lshrrev_b32_e32 v1, 16, v1
	;;#ASMSTART
	v_cvt_f32_f16 v68, v2;
	;;#ASMEND
	;;#ASMSTART
	v_cvt_f32_f16 v69, v1;
	;;#ASMEND
	global_load_dwordx4 v[1:4], v[9:10], off offset:512
	s_waitcnt vmcnt(0)
	v_lshrrev_b32_e32 v72, 16, v1
	v_lshrrev_b32_e32 v71, 16, v2
	;; [unrolled: 1-line block ×3, first 2 shown]
	s_and_saveexec_b32 s15, s0
	s_cbranch_execz .LBB106_46
; %bb.45:                               ;   in Loop: Header=BB106_26 Depth=1
	v_cmp_gt_i32_e32 vcc_lo, s11, v40
	v_and_b32_e32 v73, 0xffff0000, v4
	v_cmp_gt_i32_e64 s1, s11, v51
	v_cndmask_b32_e32 v1, 0, v1, vcc_lo
	v_cmp_gt_i32_e32 vcc_lo, s11, v53
	v_cndmask_b32_e64 v2, 0, v2, s1
	v_cmp_gt_i32_e64 s1, s11, v50
	v_cndmask_b32_e32 v72, 0, v72, vcc_lo
	v_cmp_gt_i32_e32 vcc_lo, s11, v52
	v_cndmask_b32_e64 v71, 0, v71, s1
	v_cndmask_b32_sdwa v4, v6, v4, vcc_lo dst_sel:DWORD dst_unused:UNUSED_PAD src0_sel:DWORD src1_sel:WORD_0
	v_cmp_gt_i32_e32 vcc_lo, s11, v49
	v_cndmask_b32_e32 v73, 0, v73, vcc_lo
	v_cmp_gt_i32_e32 vcc_lo, s11, v48
	v_or_b32_e32 v4, v4, v73
	v_cndmask_b32_e32 v3, 0, v3, vcc_lo
	v_cmp_gt_i32_e32 vcc_lo, s11, v47
	v_cndmask_b32_e32 v70, 0, v70, vcc_lo
.LBB106_46:                             ;   in Loop: Header=BB106_26 Depth=1
	s_or_b32 exec_lo, exec_lo, s15
	v_lshlrev_b32_e32 v72, 16, v72
	v_lshlrev_b32_e32 v71, 16, v71
	;; [unrolled: 1-line block ×3, first 2 shown]
	v_and_or_b32 v1, 0xffff, v1, v72
	v_and_or_b32 v2, 0xffff, v2, v71
	v_and_or_b32 v3, 0xffff, v3, v70
	;;#ASMSTART
	v_pk_mul_f16 v1, v42, v1;

	;;#ASMEND
	;;#ASMSTART
	v_pk_mul_f16 v2, v41, v2;

	;;#ASMEND
	;; [unrolled: 4-line block ×4, first 2 shown]
	;;#ASMSTART
	v_pk_add_f16 v1, v1, v2;

	;;#ASMEND
	;;#ASMSTART
	v_pk_add_f16 v1, v1, v3;

	;;#ASMEND
	;;#ASMSTART
	v_pk_add_f16 v1, v1, v4;

	;;#ASMEND
	v_and_b32_e32 v2, 0xffff, v1
	v_lshrrev_b32_e32 v1, 16, v1
	;;#ASMSTART
	v_cvt_f32_f16 v70, v2;
	;;#ASMEND
	;;#ASMSTART
	v_cvt_f32_f16 v71, v1;
	;;#ASMEND
	global_load_dwordx4 v[1:4], v[9:10], off offset:1024
	s_waitcnt vmcnt(0)
	v_lshrrev_b32_e32 v74, 16, v1
	v_lshrrev_b32_e32 v73, 16, v2
	;; [unrolled: 1-line block ×3, first 2 shown]
	s_and_saveexec_b32 s15, s0
	s_cbranch_execz .LBB106_48
; %bb.47:                               ;   in Loop: Header=BB106_26 Depth=1
	v_cmp_gt_i32_e32 vcc_lo, s11, v40
	v_and_b32_e32 v75, 0xffff0000, v4
	v_cmp_gt_i32_e64 s1, s11, v51
	v_cndmask_b32_e32 v1, 0, v1, vcc_lo
	v_cmp_gt_i32_e32 vcc_lo, s11, v53
	v_cndmask_b32_e64 v2, 0, v2, s1
	v_cmp_gt_i32_e64 s1, s11, v50
	v_cndmask_b32_e32 v74, 0, v74, vcc_lo
	v_cmp_gt_i32_e32 vcc_lo, s11, v52
	v_cndmask_b32_e64 v73, 0, v73, s1
	v_cndmask_b32_sdwa v4, v6, v4, vcc_lo dst_sel:DWORD dst_unused:UNUSED_PAD src0_sel:DWORD src1_sel:WORD_0
	v_cmp_gt_i32_e32 vcc_lo, s11, v49
	v_cndmask_b32_e32 v75, 0, v75, vcc_lo
	v_cmp_gt_i32_e32 vcc_lo, s11, v48
	v_or_b32_e32 v4, v4, v75
	v_cndmask_b32_e32 v3, 0, v3, vcc_lo
	v_cmp_gt_i32_e32 vcc_lo, s11, v47
	v_cndmask_b32_e32 v72, 0, v72, vcc_lo
.LBB106_48:                             ;   in Loop: Header=BB106_26 Depth=1
	s_or_b32 exec_lo, exec_lo, s15
	v_lshlrev_b32_e32 v74, 16, v74
	v_lshlrev_b32_e32 v73, 16, v73
	;; [unrolled: 1-line block ×3, first 2 shown]
	v_and_or_b32 v1, 0xffff, v1, v74
	v_and_or_b32 v2, 0xffff, v2, v73
	;; [unrolled: 1-line block ×3, first 2 shown]
	;;#ASMSTART
	v_pk_mul_f16 v1, v42, v1;

	;;#ASMEND
	;;#ASMSTART
	v_pk_mul_f16 v2, v41, v2;

	;;#ASMEND
	;;#ASMSTART
	v_pk_mul_f16 v3, v43, v3;

	;;#ASMEND
	;;#ASMSTART
	v_pk_mul_f16 v4, v44, v4;

	;;#ASMEND
	;;#ASMSTART
	v_pk_add_f16 v1, v1, v2;

	;;#ASMEND
	;;#ASMSTART
	v_pk_add_f16 v1, v1, v3;

	;;#ASMEND
	;; [unrolled: 4-line block ×3, first 2 shown]
	v_and_b32_e32 v2, 0xffff, v1
	v_lshrrev_b32_e32 v1, 16, v1
	;;#ASMSTART
	v_cvt_f32_f16 v72, v2;
	;;#ASMEND
	;;#ASMSTART
	v_cvt_f32_f16 v73, v1;
	;;#ASMEND
	global_load_dwordx4 v[1:4], v[9:10], off offset:1536
	s_waitcnt vmcnt(0)
	v_lshrrev_b32_e32 v74, 16, v1
	v_lshrrev_b32_e32 v10, 16, v2
	;; [unrolled: 1-line block ×3, first 2 shown]
	s_and_saveexec_b32 s15, s0
	s_cbranch_execz .LBB106_50
; %bb.49:                               ;   in Loop: Header=BB106_26 Depth=1
	v_cmp_gt_i32_e32 vcc_lo, s11, v40
	v_and_b32_e32 v75, 0xffff0000, v4
	v_cmp_gt_i32_e64 s1, s11, v51
	v_cndmask_b32_e32 v1, 0, v1, vcc_lo
	v_cmp_gt_i32_e32 vcc_lo, s11, v53
	v_cndmask_b32_e64 v2, 0, v2, s1
	v_cmp_gt_i32_e64 s1, s11, v50
	v_cndmask_b32_e32 v74, 0, v74, vcc_lo
	v_cmp_gt_i32_e32 vcc_lo, s11, v52
	v_cndmask_b32_e64 v10, 0, v10, s1
	v_cndmask_b32_sdwa v4, v6, v4, vcc_lo dst_sel:DWORD dst_unused:UNUSED_PAD src0_sel:DWORD src1_sel:WORD_0
	v_cmp_gt_i32_e32 vcc_lo, s11, v49
	v_cndmask_b32_e32 v75, 0, v75, vcc_lo
	v_cmp_gt_i32_e32 vcc_lo, s11, v48
	v_or_b32_e32 v4, v4, v75
	v_cndmask_b32_e32 v3, 0, v3, vcc_lo
	v_cmp_gt_i32_e32 vcc_lo, s11, v47
	v_cndmask_b32_e32 v9, 0, v9, vcc_lo
.LBB106_50:                             ;   in Loop: Header=BB106_26 Depth=1
	s_or_b32 exec_lo, exec_lo, s15
	v_lshlrev_b32_e32 v9, 16, v9
	v_lshlrev_b32_e32 v74, 16, v74
	;; [unrolled: 1-line block ×3, first 2 shown]
	v_and_or_b32 v3, 0xffff, v3, v9
	v_add_co_u32 v9, vcc_lo, 0x1800, v7
	v_and_or_b32 v1, 0xffff, v1, v74
	v_and_or_b32 v2, 0xffff, v2, v10
	;;#ASMSTART
	v_pk_mul_f16 v1, v42, v1;

	;;#ASMEND
	v_add_co_ci_u32_e64 v10, null, 0, v8, vcc_lo
	;;#ASMSTART
	v_pk_mul_f16 v2, v41, v2;

	;;#ASMEND
	;;#ASMSTART
	v_pk_mul_f16 v3, v43, v3;

	;;#ASMEND
	;;#ASMSTART
	v_pk_mul_f16 v4, v44, v4;

	;;#ASMEND
	;;#ASMSTART
	v_pk_add_f16 v1, v1, v2;

	;;#ASMEND
	;;#ASMSTART
	v_pk_add_f16 v1, v1, v3;

	;;#ASMEND
	;; [unrolled: 4-line block ×3, first 2 shown]
	v_lshrrev_b32_e32 v2, 16, v1
	v_and_b32_e32 v1, 0xffff, v1
	;;#ASMSTART
	v_cvt_f32_f16 v74, v1;
	;;#ASMEND
	;;#ASMSTART
	v_cvt_f32_f16 v75, v2;
	;;#ASMEND
	global_load_dwordx4 v[1:4], v[9:10], off
	s_waitcnt vmcnt(0)
	v_lshrrev_b32_e32 v78, 16, v1
	v_lshrrev_b32_e32 v77, 16, v2
	;; [unrolled: 1-line block ×3, first 2 shown]
	s_and_saveexec_b32 s15, s0
	s_cbranch_execz .LBB106_52
; %bb.51:                               ;   in Loop: Header=BB106_26 Depth=1
	v_cmp_gt_i32_e32 vcc_lo, s11, v40
	v_and_b32_e32 v79, 0xffff0000, v4
	v_cmp_gt_i32_e64 s1, s11, v51
	v_cndmask_b32_e32 v1, 0, v1, vcc_lo
	v_cmp_gt_i32_e32 vcc_lo, s11, v53
	v_cndmask_b32_e64 v2, 0, v2, s1
	v_cmp_gt_i32_e64 s1, s11, v50
	v_cndmask_b32_e32 v78, 0, v78, vcc_lo
	v_cmp_gt_i32_e32 vcc_lo, s11, v52
	v_cndmask_b32_e64 v77, 0, v77, s1
	v_cndmask_b32_sdwa v4, v6, v4, vcc_lo dst_sel:DWORD dst_unused:UNUSED_PAD src0_sel:DWORD src1_sel:WORD_0
	v_cmp_gt_i32_e32 vcc_lo, s11, v49
	v_cndmask_b32_e32 v79, 0, v79, vcc_lo
	v_cmp_gt_i32_e32 vcc_lo, s11, v48
	v_or_b32_e32 v4, v4, v79
	v_cndmask_b32_e32 v3, 0, v3, vcc_lo
	v_cmp_gt_i32_e32 vcc_lo, s11, v47
	v_cndmask_b32_e32 v76, 0, v76, vcc_lo
.LBB106_52:                             ;   in Loop: Header=BB106_26 Depth=1
	s_or_b32 exec_lo, exec_lo, s15
	v_lshlrev_b32_e32 v78, 16, v78
	v_lshlrev_b32_e32 v77, 16, v77
	;; [unrolled: 1-line block ×3, first 2 shown]
	v_and_or_b32 v1, 0xffff, v1, v78
	v_and_or_b32 v2, 0xffff, v2, v77
	;; [unrolled: 1-line block ×3, first 2 shown]
	;;#ASMSTART
	v_pk_mul_f16 v1, v42, v1;

	;;#ASMEND
	;;#ASMSTART
	v_pk_mul_f16 v2, v41, v2;

	;;#ASMEND
	;;#ASMSTART
	v_pk_mul_f16 v3, v43, v3;

	;;#ASMEND
	;;#ASMSTART
	v_pk_mul_f16 v4, v44, v4;

	;;#ASMEND
	;;#ASMSTART
	v_pk_add_f16 v1, v1, v2;

	;;#ASMEND
	;;#ASMSTART
	v_pk_add_f16 v1, v1, v3;

	;;#ASMEND
	;; [unrolled: 4-line block ×3, first 2 shown]
	v_and_b32_e32 v2, 0xffff, v1
	v_lshrrev_b32_e32 v1, 16, v1
	;;#ASMSTART
	v_cvt_f32_f16 v76, v2;
	;;#ASMEND
	;;#ASMSTART
	v_cvt_f32_f16 v77, v1;
	;;#ASMEND
	global_load_dwordx4 v[1:4], v[9:10], off offset:512
	s_waitcnt vmcnt(0)
	v_lshrrev_b32_e32 v80, 16, v1
	v_lshrrev_b32_e32 v79, 16, v2
	;; [unrolled: 1-line block ×3, first 2 shown]
	s_and_saveexec_b32 s15, s0
	s_cbranch_execz .LBB106_54
; %bb.53:                               ;   in Loop: Header=BB106_26 Depth=1
	v_cmp_gt_i32_e32 vcc_lo, s11, v40
	v_and_b32_e32 v81, 0xffff0000, v4
	v_cmp_gt_i32_e64 s1, s11, v51
	v_cndmask_b32_e32 v1, 0, v1, vcc_lo
	v_cmp_gt_i32_e32 vcc_lo, s11, v53
	v_cndmask_b32_e64 v2, 0, v2, s1
	v_cmp_gt_i32_e64 s1, s11, v50
	v_cndmask_b32_e32 v80, 0, v80, vcc_lo
	v_cmp_gt_i32_e32 vcc_lo, s11, v52
	v_cndmask_b32_e64 v79, 0, v79, s1
	v_cndmask_b32_sdwa v4, v6, v4, vcc_lo dst_sel:DWORD dst_unused:UNUSED_PAD src0_sel:DWORD src1_sel:WORD_0
	v_cmp_gt_i32_e32 vcc_lo, s11, v49
	v_cndmask_b32_e32 v81, 0, v81, vcc_lo
	v_cmp_gt_i32_e32 vcc_lo, s11, v48
	v_or_b32_e32 v4, v4, v81
	v_cndmask_b32_e32 v3, 0, v3, vcc_lo
	v_cmp_gt_i32_e32 vcc_lo, s11, v47
	v_cndmask_b32_e32 v78, 0, v78, vcc_lo
.LBB106_54:                             ;   in Loop: Header=BB106_26 Depth=1
	s_or_b32 exec_lo, exec_lo, s15
	v_lshlrev_b32_e32 v80, 16, v80
	v_lshlrev_b32_e32 v79, 16, v79
	;; [unrolled: 1-line block ×3, first 2 shown]
	v_and_or_b32 v1, 0xffff, v1, v80
	v_and_or_b32 v2, 0xffff, v2, v79
	v_and_or_b32 v3, 0xffff, v3, v78
	;;#ASMSTART
	v_pk_mul_f16 v1, v42, v1;

	;;#ASMEND
	;;#ASMSTART
	v_pk_mul_f16 v2, v41, v2;

	;;#ASMEND
	;; [unrolled: 4-line block ×4, first 2 shown]
	;;#ASMSTART
	v_pk_add_f16 v1, v1, v2;

	;;#ASMEND
	;;#ASMSTART
	v_pk_add_f16 v1, v1, v3;

	;;#ASMEND
	;; [unrolled: 4-line block ×3, first 2 shown]
	v_and_b32_e32 v2, 0xffff, v1
	v_lshrrev_b32_e32 v1, 16, v1
	;;#ASMSTART
	v_cvt_f32_f16 v78, v2;
	;;#ASMEND
	;;#ASMSTART
	v_cvt_f32_f16 v79, v1;
	;;#ASMEND
	global_load_dwordx4 v[1:4], v[9:10], off offset:1024
	s_waitcnt vmcnt(0)
	v_lshrrev_b32_e32 v82, 16, v1
	v_lshrrev_b32_e32 v81, 16, v2
	;; [unrolled: 1-line block ×3, first 2 shown]
	s_and_saveexec_b32 s15, s0
	s_cbranch_execz .LBB106_56
; %bb.55:                               ;   in Loop: Header=BB106_26 Depth=1
	v_cmp_gt_i32_e32 vcc_lo, s11, v40
	v_and_b32_e32 v83, 0xffff0000, v4
	v_cmp_gt_i32_e64 s1, s11, v51
	v_cndmask_b32_e32 v1, 0, v1, vcc_lo
	v_cmp_gt_i32_e32 vcc_lo, s11, v53
	v_cndmask_b32_e64 v2, 0, v2, s1
	v_cmp_gt_i32_e64 s1, s11, v50
	v_cndmask_b32_e32 v82, 0, v82, vcc_lo
	v_cmp_gt_i32_e32 vcc_lo, s11, v52
	v_cndmask_b32_e64 v81, 0, v81, s1
	v_cndmask_b32_sdwa v4, v6, v4, vcc_lo dst_sel:DWORD dst_unused:UNUSED_PAD src0_sel:DWORD src1_sel:WORD_0
	v_cmp_gt_i32_e32 vcc_lo, s11, v49
	v_cndmask_b32_e32 v83, 0, v83, vcc_lo
	v_cmp_gt_i32_e32 vcc_lo, s11, v48
	v_or_b32_e32 v4, v4, v83
	v_cndmask_b32_e32 v3, 0, v3, vcc_lo
	v_cmp_gt_i32_e32 vcc_lo, s11, v47
	v_cndmask_b32_e32 v80, 0, v80, vcc_lo
.LBB106_56:                             ;   in Loop: Header=BB106_26 Depth=1
	s_or_b32 exec_lo, exec_lo, s15
	v_lshlrev_b32_e32 v82, 16, v82
	v_lshlrev_b32_e32 v81, 16, v81
	;; [unrolled: 1-line block ×3, first 2 shown]
	v_and_or_b32 v1, 0xffff, v1, v82
	v_and_or_b32 v2, 0xffff, v2, v81
	;; [unrolled: 1-line block ×3, first 2 shown]
	;;#ASMSTART
	v_pk_mul_f16 v1, v42, v1;

	;;#ASMEND
	;;#ASMSTART
	v_pk_mul_f16 v2, v41, v2;

	;;#ASMEND
	;; [unrolled: 4-line block ×4, first 2 shown]
	;;#ASMSTART
	v_pk_add_f16 v1, v1, v2;

	;;#ASMEND
	;;#ASMSTART
	v_pk_add_f16 v1, v1, v3;

	;;#ASMEND
	;; [unrolled: 4-line block ×3, first 2 shown]
	v_and_b32_e32 v2, 0xffff, v1
	v_lshrrev_b32_e32 v1, 16, v1
	;;#ASMSTART
	v_cvt_f32_f16 v80, v2;
	;;#ASMEND
	;;#ASMSTART
	v_cvt_f32_f16 v81, v1;
	;;#ASMEND
	global_load_dwordx4 v[1:4], v[9:10], off offset:1536
	s_waitcnt vmcnt(0)
	v_lshrrev_b32_e32 v82, 16, v1
	v_lshrrev_b32_e32 v10, 16, v2
	;; [unrolled: 1-line block ×3, first 2 shown]
	s_and_saveexec_b32 s15, s0
	s_cbranch_execz .LBB106_58
; %bb.57:                               ;   in Loop: Header=BB106_26 Depth=1
	v_cmp_gt_i32_e32 vcc_lo, s11, v40
	v_and_b32_e32 v83, 0xffff0000, v4
	v_cmp_gt_i32_e64 s1, s11, v51
	v_cndmask_b32_e32 v1, 0, v1, vcc_lo
	v_cmp_gt_i32_e32 vcc_lo, s11, v53
	v_cndmask_b32_e64 v2, 0, v2, s1
	v_cmp_gt_i32_e64 s1, s11, v50
	v_cndmask_b32_e32 v82, 0, v82, vcc_lo
	v_cmp_gt_i32_e32 vcc_lo, s11, v52
	v_cndmask_b32_e64 v10, 0, v10, s1
	v_cndmask_b32_sdwa v4, v6, v4, vcc_lo dst_sel:DWORD dst_unused:UNUSED_PAD src0_sel:DWORD src1_sel:WORD_0
	v_cmp_gt_i32_e32 vcc_lo, s11, v49
	v_cndmask_b32_e32 v83, 0, v83, vcc_lo
	v_cmp_gt_i32_e32 vcc_lo, s11, v48
	v_or_b32_e32 v4, v4, v83
	v_cndmask_b32_e32 v3, 0, v3, vcc_lo
	v_cmp_gt_i32_e32 vcc_lo, s11, v47
	v_cndmask_b32_e32 v9, 0, v9, vcc_lo
.LBB106_58:                             ;   in Loop: Header=BB106_26 Depth=1
	s_or_b32 exec_lo, exec_lo, s15
	v_lshlrev_b32_e32 v9, 16, v9
	v_lshlrev_b32_e32 v82, 16, v82
	;; [unrolled: 1-line block ×3, first 2 shown]
	v_and_or_b32 v3, 0xffff, v3, v9
	v_add_co_u32 v9, vcc_lo, 0x2000, v7
	v_and_or_b32 v1, 0xffff, v1, v82
	v_and_or_b32 v2, 0xffff, v2, v10
	;;#ASMSTART
	v_pk_mul_f16 v1, v42, v1;

	;;#ASMEND
	v_add_co_ci_u32_e64 v10, null, 0, v8, vcc_lo
	;;#ASMSTART
	v_pk_mul_f16 v2, v41, v2;

	;;#ASMEND
	;;#ASMSTART
	v_pk_mul_f16 v3, v43, v3;

	;;#ASMEND
	;; [unrolled: 4-line block ×3, first 2 shown]
	;;#ASMSTART
	v_pk_add_f16 v1, v1, v2;

	;;#ASMEND
	;;#ASMSTART
	v_pk_add_f16 v1, v1, v3;

	;;#ASMEND
	;;#ASMSTART
	v_pk_add_f16 v1, v1, v4;

	;;#ASMEND
	v_lshrrev_b32_e32 v2, 16, v1
	v_and_b32_e32 v1, 0xffff, v1
	;;#ASMSTART
	v_cvt_f32_f16 v82, v1;
	;;#ASMEND
	;;#ASMSTART
	v_cvt_f32_f16 v83, v2;
	;;#ASMEND
	global_load_dwordx4 v[1:4], v[9:10], off
	s_waitcnt vmcnt(0)
	v_lshrrev_b32_e32 v86, 16, v1
	v_lshrrev_b32_e32 v85, 16, v2
	;; [unrolled: 1-line block ×3, first 2 shown]
	s_and_saveexec_b32 s15, s0
	s_cbranch_execz .LBB106_60
; %bb.59:                               ;   in Loop: Header=BB106_26 Depth=1
	v_cmp_gt_i32_e32 vcc_lo, s11, v40
	v_and_b32_e32 v87, 0xffff0000, v4
	v_cmp_gt_i32_e64 s1, s11, v51
	v_cndmask_b32_e32 v1, 0, v1, vcc_lo
	v_cmp_gt_i32_e32 vcc_lo, s11, v53
	v_cndmask_b32_e64 v2, 0, v2, s1
	v_cmp_gt_i32_e64 s1, s11, v50
	v_cndmask_b32_e32 v86, 0, v86, vcc_lo
	v_cmp_gt_i32_e32 vcc_lo, s11, v52
	v_cndmask_b32_e64 v85, 0, v85, s1
	v_cndmask_b32_sdwa v4, v6, v4, vcc_lo dst_sel:DWORD dst_unused:UNUSED_PAD src0_sel:DWORD src1_sel:WORD_0
	v_cmp_gt_i32_e32 vcc_lo, s11, v49
	v_cndmask_b32_e32 v87, 0, v87, vcc_lo
	v_cmp_gt_i32_e32 vcc_lo, s11, v48
	v_or_b32_e32 v4, v4, v87
	v_cndmask_b32_e32 v3, 0, v3, vcc_lo
	v_cmp_gt_i32_e32 vcc_lo, s11, v47
	v_cndmask_b32_e32 v84, 0, v84, vcc_lo
.LBB106_60:                             ;   in Loop: Header=BB106_26 Depth=1
	s_or_b32 exec_lo, exec_lo, s15
	v_lshlrev_b32_e32 v86, 16, v86
	v_lshlrev_b32_e32 v85, 16, v85
	v_lshlrev_b32_e32 v84, 16, v84
	v_and_or_b32 v1, 0xffff, v1, v86
	v_and_or_b32 v2, 0xffff, v2, v85
	v_and_or_b32 v3, 0xffff, v3, v84
	;;#ASMSTART
	v_pk_mul_f16 v1, v42, v1;

	;;#ASMEND
	;;#ASMSTART
	v_pk_mul_f16 v2, v41, v2;

	;;#ASMEND
	;; [unrolled: 4-line block ×4, first 2 shown]
	;;#ASMSTART
	v_pk_add_f16 v1, v1, v2;

	;;#ASMEND
	;;#ASMSTART
	v_pk_add_f16 v1, v1, v3;

	;;#ASMEND
	;; [unrolled: 4-line block ×3, first 2 shown]
	v_and_b32_e32 v2, 0xffff, v1
	v_lshrrev_b32_e32 v1, 16, v1
	;;#ASMSTART
	v_cvt_f32_f16 v84, v2;
	;;#ASMEND
	;;#ASMSTART
	v_cvt_f32_f16 v85, v1;
	;;#ASMEND
	global_load_dwordx4 v[1:4], v[9:10], off offset:512
	s_waitcnt vmcnt(0)
	v_lshrrev_b32_e32 v88, 16, v1
	v_lshrrev_b32_e32 v87, 16, v2
	;; [unrolled: 1-line block ×3, first 2 shown]
	s_and_saveexec_b32 s15, s0
	s_cbranch_execz .LBB106_62
; %bb.61:                               ;   in Loop: Header=BB106_26 Depth=1
	v_cmp_gt_i32_e32 vcc_lo, s11, v40
	v_and_b32_e32 v89, 0xffff0000, v4
	v_cmp_gt_i32_e64 s1, s11, v51
	v_cndmask_b32_e32 v1, 0, v1, vcc_lo
	v_cmp_gt_i32_e32 vcc_lo, s11, v53
	v_cndmask_b32_e64 v2, 0, v2, s1
	v_cmp_gt_i32_e64 s1, s11, v50
	v_cndmask_b32_e32 v88, 0, v88, vcc_lo
	v_cmp_gt_i32_e32 vcc_lo, s11, v52
	v_cndmask_b32_e64 v87, 0, v87, s1
	v_cndmask_b32_sdwa v4, v6, v4, vcc_lo dst_sel:DWORD dst_unused:UNUSED_PAD src0_sel:DWORD src1_sel:WORD_0
	v_cmp_gt_i32_e32 vcc_lo, s11, v49
	v_cndmask_b32_e32 v89, 0, v89, vcc_lo
	v_cmp_gt_i32_e32 vcc_lo, s11, v48
	v_or_b32_e32 v4, v4, v89
	v_cndmask_b32_e32 v3, 0, v3, vcc_lo
	v_cmp_gt_i32_e32 vcc_lo, s11, v47
	v_cndmask_b32_e32 v86, 0, v86, vcc_lo
.LBB106_62:                             ;   in Loop: Header=BB106_26 Depth=1
	s_or_b32 exec_lo, exec_lo, s15
	v_lshlrev_b32_e32 v88, 16, v88
	v_lshlrev_b32_e32 v87, 16, v87
	;; [unrolled: 1-line block ×3, first 2 shown]
	v_and_or_b32 v1, 0xffff, v1, v88
	v_and_or_b32 v2, 0xffff, v2, v87
	;; [unrolled: 1-line block ×3, first 2 shown]
	;;#ASMSTART
	v_pk_mul_f16 v1, v42, v1;

	;;#ASMEND
	;;#ASMSTART
	v_pk_mul_f16 v2, v41, v2;

	;;#ASMEND
	;; [unrolled: 4-line block ×4, first 2 shown]
	;;#ASMSTART
	v_pk_add_f16 v1, v1, v2;

	;;#ASMEND
	;;#ASMSTART
	v_pk_add_f16 v1, v1, v3;

	;;#ASMEND
	;; [unrolled: 4-line block ×3, first 2 shown]
	v_and_b32_e32 v2, 0xffff, v1
	v_lshrrev_b32_e32 v1, 16, v1
	;;#ASMSTART
	v_cvt_f32_f16 v86, v2;
	;;#ASMEND
	;;#ASMSTART
	v_cvt_f32_f16 v87, v1;
	;;#ASMEND
	global_load_dwordx4 v[1:4], v[9:10], off offset:1024
	s_waitcnt vmcnt(0)
	v_lshrrev_b32_e32 v90, 16, v1
	v_lshrrev_b32_e32 v89, 16, v2
	;; [unrolled: 1-line block ×3, first 2 shown]
	s_and_saveexec_b32 s15, s0
	s_cbranch_execz .LBB106_64
; %bb.63:                               ;   in Loop: Header=BB106_26 Depth=1
	v_cmp_gt_i32_e32 vcc_lo, s11, v40
	v_and_b32_e32 v91, 0xffff0000, v4
	v_cmp_gt_i32_e64 s1, s11, v51
	v_cndmask_b32_e32 v1, 0, v1, vcc_lo
	v_cmp_gt_i32_e32 vcc_lo, s11, v53
	v_cndmask_b32_e64 v2, 0, v2, s1
	v_cmp_gt_i32_e64 s1, s11, v50
	v_cndmask_b32_e32 v90, 0, v90, vcc_lo
	v_cmp_gt_i32_e32 vcc_lo, s11, v52
	v_cndmask_b32_e64 v89, 0, v89, s1
	v_cndmask_b32_sdwa v4, v6, v4, vcc_lo dst_sel:DWORD dst_unused:UNUSED_PAD src0_sel:DWORD src1_sel:WORD_0
	v_cmp_gt_i32_e32 vcc_lo, s11, v49
	v_cndmask_b32_e32 v91, 0, v91, vcc_lo
	v_cmp_gt_i32_e32 vcc_lo, s11, v48
	v_or_b32_e32 v4, v4, v91
	v_cndmask_b32_e32 v3, 0, v3, vcc_lo
	v_cmp_gt_i32_e32 vcc_lo, s11, v47
	v_cndmask_b32_e32 v88, 0, v88, vcc_lo
.LBB106_64:                             ;   in Loop: Header=BB106_26 Depth=1
	s_or_b32 exec_lo, exec_lo, s15
	v_lshlrev_b32_e32 v90, 16, v90
	v_lshlrev_b32_e32 v89, 16, v89
	v_lshlrev_b32_e32 v88, 16, v88
	v_and_or_b32 v1, 0xffff, v1, v90
	v_and_or_b32 v2, 0xffff, v2, v89
	;; [unrolled: 1-line block ×3, first 2 shown]
	;;#ASMSTART
	v_pk_mul_f16 v1, v42, v1;

	;;#ASMEND
	;;#ASMSTART
	v_pk_mul_f16 v2, v41, v2;

	;;#ASMEND
	;; [unrolled: 4-line block ×4, first 2 shown]
	;;#ASMSTART
	v_pk_add_f16 v1, v1, v2;

	;;#ASMEND
	;;#ASMSTART
	v_pk_add_f16 v1, v1, v3;

	;;#ASMEND
	;;#ASMSTART
	v_pk_add_f16 v1, v1, v4;

	;;#ASMEND
	v_and_b32_e32 v2, 0xffff, v1
	v_lshrrev_b32_e32 v1, 16, v1
	;;#ASMSTART
	v_cvt_f32_f16 v88, v2;
	;;#ASMEND
	;;#ASMSTART
	v_cvt_f32_f16 v89, v1;
	;;#ASMEND
	global_load_dwordx4 v[1:4], v[9:10], off offset:1536
	s_waitcnt vmcnt(0)
	v_lshrrev_b32_e32 v90, 16, v1
	v_lshrrev_b32_e32 v10, 16, v2
	;; [unrolled: 1-line block ×3, first 2 shown]
	s_and_saveexec_b32 s15, s0
	s_cbranch_execz .LBB106_66
; %bb.65:                               ;   in Loop: Header=BB106_26 Depth=1
	v_cmp_gt_i32_e32 vcc_lo, s11, v40
	v_and_b32_e32 v91, 0xffff0000, v4
	v_cmp_gt_i32_e64 s1, s11, v51
	v_cndmask_b32_e32 v1, 0, v1, vcc_lo
	v_cmp_gt_i32_e32 vcc_lo, s11, v53
	v_cndmask_b32_e64 v2, 0, v2, s1
	v_cmp_gt_i32_e64 s1, s11, v50
	v_cndmask_b32_e32 v90, 0, v90, vcc_lo
	v_cmp_gt_i32_e32 vcc_lo, s11, v52
	v_cndmask_b32_e64 v10, 0, v10, s1
	v_cndmask_b32_sdwa v4, v6, v4, vcc_lo dst_sel:DWORD dst_unused:UNUSED_PAD src0_sel:DWORD src1_sel:WORD_0
	v_cmp_gt_i32_e32 vcc_lo, s11, v49
	v_cndmask_b32_e32 v91, 0, v91, vcc_lo
	v_cmp_gt_i32_e32 vcc_lo, s11, v48
	v_or_b32_e32 v4, v4, v91
	v_cndmask_b32_e32 v3, 0, v3, vcc_lo
	v_cmp_gt_i32_e32 vcc_lo, s11, v47
	v_cndmask_b32_e32 v9, 0, v9, vcc_lo
.LBB106_66:                             ;   in Loop: Header=BB106_26 Depth=1
	s_or_b32 exec_lo, exec_lo, s15
	v_lshlrev_b32_e32 v90, 16, v90
	v_lshlrev_b32_e32 v10, 16, v10
	;; [unrolled: 1-line block ×3, first 2 shown]
	v_add_co_u32 v7, vcc_lo, 0x2800, v7
	v_and_or_b32 v1, 0xffff, v1, v90
	v_and_or_b32 v2, 0xffff, v2, v10
	;; [unrolled: 1-line block ×3, first 2 shown]
	;;#ASMSTART
	v_pk_mul_f16 v1, v42, v1;

	;;#ASMEND
	v_add_co_ci_u32_e64 v8, null, 0, v8, vcc_lo
	;;#ASMSTART
	v_pk_mul_f16 v2, v41, v2;

	;;#ASMEND
	;;#ASMSTART
	v_pk_mul_f16 v3, v43, v3;

	;;#ASMEND
	;; [unrolled: 4-line block ×3, first 2 shown]
	;;#ASMSTART
	v_pk_add_f16 v1, v1, v2;

	;;#ASMEND
	;;#ASMSTART
	v_pk_add_f16 v1, v1, v3;

	;;#ASMEND
	;;#ASMSTART
	v_pk_add_f16 v1, v1, v4;

	;;#ASMEND
	v_lshrrev_b32_e32 v2, 16, v1
	v_and_b32_e32 v1, 0xffff, v1
	;;#ASMSTART
	v_cvt_f32_f16 v9, v1;
	;;#ASMEND
	;;#ASMSTART
	v_cvt_f32_f16 v10, v2;
	;;#ASMEND
	global_load_dwordx4 v[1:4], v[7:8], off
	s_waitcnt vmcnt(0)
	v_lshrrev_b32_e32 v92, 16, v1
	v_lshrrev_b32_e32 v91, 16, v2
	;; [unrolled: 1-line block ×3, first 2 shown]
	s_and_saveexec_b32 s15, s0
	s_cbranch_execz .LBB106_68
; %bb.67:                               ;   in Loop: Header=BB106_26 Depth=1
	v_cmp_gt_i32_e32 vcc_lo, s11, v40
	v_and_b32_e32 v93, 0xffff0000, v4
	v_cmp_gt_i32_e64 s1, s11, v51
	v_cndmask_b32_e32 v1, 0, v1, vcc_lo
	v_cmp_gt_i32_e32 vcc_lo, s11, v53
	v_cndmask_b32_e64 v2, 0, v2, s1
	v_cmp_gt_i32_e64 s1, s11, v50
	v_cndmask_b32_e32 v92, 0, v92, vcc_lo
	v_cmp_gt_i32_e32 vcc_lo, s11, v52
	v_cndmask_b32_e64 v91, 0, v91, s1
	v_cndmask_b32_sdwa v4, v6, v4, vcc_lo dst_sel:DWORD dst_unused:UNUSED_PAD src0_sel:DWORD src1_sel:WORD_0
	v_cmp_gt_i32_e32 vcc_lo, s11, v49
	v_cndmask_b32_e32 v93, 0, v93, vcc_lo
	v_cmp_gt_i32_e32 vcc_lo, s11, v48
	v_or_b32_e32 v4, v4, v93
	v_cndmask_b32_e32 v3, 0, v3, vcc_lo
	v_cmp_gt_i32_e32 vcc_lo, s11, v47
	v_cndmask_b32_e32 v90, 0, v90, vcc_lo
.LBB106_68:                             ;   in Loop: Header=BB106_26 Depth=1
	s_or_b32 exec_lo, exec_lo, s15
	v_lshlrev_b32_e32 v92, 16, v92
	v_lshlrev_b32_e32 v91, 16, v91
	;; [unrolled: 1-line block ×3, first 2 shown]
	v_and_or_b32 v1, 0xffff, v1, v92
	v_and_or_b32 v2, 0xffff, v2, v91
	;; [unrolled: 1-line block ×3, first 2 shown]
	;;#ASMSTART
	v_pk_mul_f16 v1, v42, v1;

	;;#ASMEND
	;;#ASMSTART
	v_pk_mul_f16 v2, v41, v2;

	;;#ASMEND
	;; [unrolled: 4-line block ×4, first 2 shown]
	;;#ASMSTART
	v_pk_add_f16 v1, v1, v2;

	;;#ASMEND
	;;#ASMSTART
	v_pk_add_f16 v1, v1, v3;

	;;#ASMEND
	;; [unrolled: 4-line block ×3, first 2 shown]
	v_and_b32_e32 v2, 0xffff, v1
	v_lshrrev_b32_e32 v1, 16, v1
	;;#ASMSTART
	v_cvt_f32_f16 v90, v2;
	;;#ASMEND
	;;#ASMSTART
	v_cvt_f32_f16 v91, v1;
	;;#ASMEND
	global_load_dwordx4 v[1:4], v[7:8], off offset:512
	s_waitcnt vmcnt(0)
	v_lshrrev_b32_e32 v94, 16, v1
	v_lshrrev_b32_e32 v93, 16, v2
	;; [unrolled: 1-line block ×3, first 2 shown]
	s_and_saveexec_b32 s15, s0
	s_cbranch_execz .LBB106_70
; %bb.69:                               ;   in Loop: Header=BB106_26 Depth=1
	v_cmp_gt_i32_e32 vcc_lo, s11, v40
	v_and_b32_e32 v95, 0xffff0000, v4
	v_cmp_gt_i32_e64 s1, s11, v51
	v_cndmask_b32_e32 v1, 0, v1, vcc_lo
	v_cmp_gt_i32_e32 vcc_lo, s11, v53
	v_cndmask_b32_e64 v2, 0, v2, s1
	v_cmp_gt_i32_e64 s1, s11, v50
	v_cndmask_b32_e32 v94, 0, v94, vcc_lo
	v_cmp_gt_i32_e32 vcc_lo, s11, v52
	v_cndmask_b32_e64 v93, 0, v93, s1
	v_cndmask_b32_sdwa v4, v6, v4, vcc_lo dst_sel:DWORD dst_unused:UNUSED_PAD src0_sel:DWORD src1_sel:WORD_0
	v_cmp_gt_i32_e32 vcc_lo, s11, v49
	v_cndmask_b32_e32 v95, 0, v95, vcc_lo
	v_cmp_gt_i32_e32 vcc_lo, s11, v48
	v_or_b32_e32 v4, v4, v95
	v_cndmask_b32_e32 v3, 0, v3, vcc_lo
	v_cmp_gt_i32_e32 vcc_lo, s11, v47
	v_cndmask_b32_e32 v92, 0, v92, vcc_lo
.LBB106_70:                             ;   in Loop: Header=BB106_26 Depth=1
	s_or_b32 exec_lo, exec_lo, s15
	v_lshlrev_b32_e32 v94, 16, v94
	v_lshlrev_b32_e32 v93, 16, v93
	;; [unrolled: 1-line block ×3, first 2 shown]
	v_and_or_b32 v1, 0xffff, v1, v94
	v_and_or_b32 v2, 0xffff, v2, v93
	v_and_or_b32 v3, 0xffff, v3, v92
	;;#ASMSTART
	v_pk_mul_f16 v1, v42, v1;

	;;#ASMEND
	;;#ASMSTART
	v_pk_mul_f16 v2, v41, v2;

	;;#ASMEND
	;; [unrolled: 4-line block ×4, first 2 shown]
	;;#ASMSTART
	v_pk_add_f16 v1, v1, v2;

	;;#ASMEND
	;;#ASMSTART
	v_pk_add_f16 v1, v1, v3;

	;;#ASMEND
	;; [unrolled: 4-line block ×3, first 2 shown]
	v_and_b32_e32 v2, 0xffff, v1
	v_lshrrev_b32_e32 v1, 16, v1
	;;#ASMSTART
	v_cvt_f32_f16 v92, v2;
	;;#ASMEND
	;;#ASMSTART
	v_cvt_f32_f16 v93, v1;
	;;#ASMEND
	global_load_dwordx4 v[1:4], v[7:8], off offset:1024
	s_waitcnt vmcnt(0)
	v_lshrrev_b32_e32 v96, 16, v1
	v_lshrrev_b32_e32 v95, 16, v2
	;; [unrolled: 1-line block ×3, first 2 shown]
	s_and_saveexec_b32 s15, s0
	s_cbranch_execz .LBB106_72
; %bb.71:                               ;   in Loop: Header=BB106_26 Depth=1
	v_cmp_gt_i32_e32 vcc_lo, s11, v40
	v_and_b32_e32 v97, 0xffff0000, v4
	v_cmp_gt_i32_e64 s1, s11, v51
	v_cndmask_b32_e32 v1, 0, v1, vcc_lo
	v_cmp_gt_i32_e32 vcc_lo, s11, v53
	v_cndmask_b32_e64 v2, 0, v2, s1
	v_cmp_gt_i32_e64 s1, s11, v50
	v_cndmask_b32_e32 v96, 0, v96, vcc_lo
	v_cmp_gt_i32_e32 vcc_lo, s11, v52
	v_cndmask_b32_e64 v95, 0, v95, s1
	v_cndmask_b32_sdwa v4, v6, v4, vcc_lo dst_sel:DWORD dst_unused:UNUSED_PAD src0_sel:DWORD src1_sel:WORD_0
	v_cmp_gt_i32_e32 vcc_lo, s11, v49
	v_cndmask_b32_e32 v97, 0, v97, vcc_lo
	v_cmp_gt_i32_e32 vcc_lo, s11, v48
	v_or_b32_e32 v4, v4, v97
	v_cndmask_b32_e32 v3, 0, v3, vcc_lo
	v_cmp_gt_i32_e32 vcc_lo, s11, v47
	v_cndmask_b32_e32 v94, 0, v94, vcc_lo
.LBB106_72:                             ;   in Loop: Header=BB106_26 Depth=1
	s_or_b32 exec_lo, exec_lo, s15
	v_lshlrev_b32_e32 v96, 16, v96
	v_lshlrev_b32_e32 v95, 16, v95
	;; [unrolled: 1-line block ×3, first 2 shown]
	v_and_or_b32 v1, 0xffff, v1, v96
	v_and_or_b32 v2, 0xffff, v2, v95
	;; [unrolled: 1-line block ×3, first 2 shown]
	;;#ASMSTART
	v_pk_mul_f16 v1, v42, v1;

	;;#ASMEND
	;;#ASMSTART
	v_pk_mul_f16 v2, v41, v2;

	;;#ASMEND
	;; [unrolled: 4-line block ×4, first 2 shown]
	;;#ASMSTART
	v_pk_add_f16 v1, v1, v2;

	;;#ASMEND
	;;#ASMSTART
	v_pk_add_f16 v1, v1, v3;

	;;#ASMEND
	;; [unrolled: 4-line block ×3, first 2 shown]
	v_and_b32_e32 v2, 0xffff, v1
	v_lshrrev_b32_e32 v1, 16, v1
	;;#ASMSTART
	v_cvt_f32_f16 v95, v2;
	;;#ASMEND
	;;#ASMSTART
	v_cvt_f32_f16 v96, v1;
	;;#ASMEND
	global_load_dwordx4 v[1:4], v[7:8], off offset:1536
	s_waitcnt vmcnt(0)
	v_lshrrev_b32_e32 v94, 16, v1
	v_lshrrev_b32_e32 v8, 16, v2
	;; [unrolled: 1-line block ×3, first 2 shown]
	s_and_saveexec_b32 s1, s0
	s_cbranch_execz .LBB106_25
; %bb.73:                               ;   in Loop: Header=BB106_26 Depth=1
	v_cmp_gt_i32_e32 vcc_lo, s11, v40
	v_and_b32_e32 v40, 0xffff0000, v4
	v_cmp_gt_i32_e64 s0, s11, v51
	v_cndmask_b32_e32 v1, 0, v1, vcc_lo
	v_cmp_gt_i32_e32 vcc_lo, s11, v53
	v_cndmask_b32_e64 v2, 0, v2, s0
	v_cmp_gt_i32_e64 s0, s11, v50
	v_cndmask_b32_e32 v94, 0, v94, vcc_lo
	v_cmp_gt_i32_e32 vcc_lo, s11, v52
	v_cndmask_b32_e64 v8, 0, v8, s0
	v_cndmask_b32_sdwa v4, v6, v4, vcc_lo dst_sel:DWORD dst_unused:UNUSED_PAD src0_sel:DWORD src1_sel:WORD_0
	v_cmp_gt_i32_e32 vcc_lo, s11, v49
	v_cndmask_b32_e32 v40, 0, v40, vcc_lo
	v_cmp_gt_i32_e32 vcc_lo, s11, v48
	v_or_b32_e32 v4, v4, v40
	v_cndmask_b32_e32 v3, 0, v3, vcc_lo
	v_cmp_gt_i32_e32 vcc_lo, s11, v47
	v_cndmask_b32_e32 v7, 0, v7, vcc_lo
	s_branch .LBB106_25
.LBB106_74:
	s_or_b32 exec_lo, exec_lo, s13
.LBB106_75:
	s_or_b32 exec_lo, exec_lo, s2
	ds_bpermute_b32 v1, v12, v35
	ds_bpermute_b32 v2, v12, v36
	;; [unrolled: 1-line block ×19, first 2 shown]
	s_mov_b32 s0, exec_lo
	s_waitcnt lgkmcnt(18)
	v_add_f32_e32 v1, v35, v1
	s_waitcnt lgkmcnt(17)
	v_add_f32_e32 v2, v36, v2
	;; [unrolled: 2-line block ×4, first 2 shown]
	ds_bpermute_b32 v35, v12, v19
	ds_bpermute_b32 v3, v11, v1
	;; [unrolled: 1-line block ×5, first 2 shown]
	s_waitcnt lgkmcnt(19)
	v_add_f32_e32 v5, v32, v5
	s_waitcnt lgkmcnt(18)
	v_add_f32_e32 v6, v31, v6
	;; [unrolled: 2-line block ×5, first 2 shown]
	ds_bpermute_b32 v27, v11, v5
	ds_bpermute_b32 v28, v11, v6
	s_waitcnt lgkmcnt(15)
	v_add_f32_e32 v7, v30, v7
	s_waitcnt lgkmcnt(14)
	v_add_f32_e32 v8, v29, v8
	ds_bpermute_b32 v37, v11, v26
	s_waitcnt lgkmcnt(14)
	v_add_f32_e32 v25, v25, v38
	s_waitcnt lgkmcnt(13)
	v_add_f32_e32 v38, v23, v40
	;; [unrolled: 2-line block ×10, first 2 shown]
	ds_bpermute_b32 v33, v12, v16
	ds_bpermute_b32 v34, v12, v15
	v_add_f32_e32 v36, v24, v39
	ds_bpermute_b32 v24, v12, v14
	ds_bpermute_b32 v12, v12, v13
	v_add_f32_e32 v46, v18, v46
	v_add_f32_e32 v47, v17, v47
	ds_bpermute_b32 v29, v11, v7
	ds_bpermute_b32 v30, v11, v8
	;; [unrolled: 1-line block ×13, first 2 shown]
	s_waitcnt lgkmcnt(16)
	v_add_f32_e32 v33, v16, v33
	s_waitcnt lgkmcnt(15)
	v_add_f32_e32 v34, v15, v34
	v_add_f32_e32 v23, v6, v28
	s_waitcnt lgkmcnt(14)
	v_add_f32_e32 v53, v14, v24
	s_waitcnt lgkmcnt(13)
	v_add_f32_e32 v55, v13, v12
	ds_bpermute_b32 v54, v11, v33
	ds_bpermute_b32 v56, v11, v34
	v_add_f32_e32 v24, v5, v27
	ds_bpermute_b32 v27, v11, v53
	ds_bpermute_b32 v28, v11, v55
	v_add_f32_e32 v18, v26, v37
	v_and_b32_e32 v26, 28, v100
	s_waitcnt lgkmcnt(16)
	v_add_f32_e32 v22, v7, v29
	s_waitcnt lgkmcnt(15)
	v_add_f32_e32 v21, v8, v30
	;; [unrolled: 2-line block ×15, first 2 shown]
	v_and_b32_e32 v29, 0x3c3, v0
	s_waitcnt lgkmcnt(1)
	v_add_f32_e32 v8, v53, v27
	s_waitcnt lgkmcnt(0)
	v_add_f32_e32 v9, v55, v28
	v_lshrrev_b32_e32 v25, 2, v100
	v_add_nc_u32_e32 v26, 0x1a0, v26
	v_mul_u32_u24_e32 v27, 0x300, v99
	s_barrier
	buffer_gl0_inv
	v_cmpx_eq_u32_e32 64, v29
	s_cbranch_execz .LBB106_77
; %bb.76:
	v_add_nc_u32_e32 v28, v26, v27
	v_add_nc_u32_e32 v29, 0xfffffa00, v28
	v_add_nc_u32_e32 v30, 0xfffffa20, v28
	v_add_nc_u32_e32 v31, 0xfffffa40, v28
	v_add_nc_u32_e32 v32, 0xfffffa60, v28
	v_add_nc_u32_e32 v33, 0xfffffa80, v28
	v_add_nc_u32_e32 v34, 0xfffffaa0, v28
	ds_write_b32 v29, v4
	ds_write_b32 v30, v3
	;; [unrolled: 1-line block ×4, first 2 shown]
	v_add_nc_u32_e32 v29, 0xfffffac0, v28
	v_add_nc_u32_e32 v30, 0xfffffae0, v28
	v_add_nc_u32_e32 v31, 0xfffffb00, v28
	ds_write_b32 v33, v24
	ds_write_b32 v34, v23
	ds_write_b32 v29, v22
	ds_write_b32 v30, v21
	ds_write_b32 v31, v20
	v_add_nc_u32_e32 v29, 0xfffffb20, v28
	v_add_nc_u32_e32 v30, 0xfffffb40, v28
	v_add_nc_u32_e32 v31, 0xfffffb60, v28
	v_add_nc_u32_e32 v32, 0xfffffb80, v28
	v_add_nc_u32_e32 v33, 0xfffffba0, v28
	ds_write_b32 v29, v19
	ds_write_b32 v30, v18
	ds_write_b32 v31, v17
	ds_write_b32 v32, v16
	ds_write_b32 v33, v15
	v_add_nc_u32_e32 v29, 0xfffffbc0, v28
	v_add_nc_u32_e32 v30, 0xfffffbe0, v28
	;; [unrolled: 10-line block ×3, first 2 shown]
	v_add_nc_u32_e32 v31, 0xfffffca0, v28
	v_add_nc_u32_e32 v32, 0xfffffcc0, v28
	;; [unrolled: 1-line block ×3, first 2 shown]
	ds_write_b32 v29, v7
	ds_write_b32 v30, v6
	;; [unrolled: 1-line block ×5, first 2 shown]
.LBB106_77:
	s_or_b32 exec_lo, exec_lo, s0
	v_lshlrev_b32_e32 v25, 2, v25
	v_and_b32_e32 v28, 3, v0
	s_mov_b32 s1, exec_lo
	s_waitcnt lgkmcnt(0)
	s_barrier
	v_add3_u32 v25, 0x1a0, v27, v25
	v_cmp_eq_u32_e32 vcc_lo, 0, v28
	buffer_gl0_inv
	v_cmpx_gt_u32_e32 64, v0
	s_cbranch_execz .LBB106_104
; %bb.78:
	s_and_saveexec_b32 s0, vcc_lo
	s_cbranch_execnz .LBB106_136
; %bb.79:
	s_or_b32 exec_lo, exec_lo, s0
	s_and_saveexec_b32 s0, vcc_lo
	s_cbranch_execnz .LBB106_137
.LBB106_80:
	s_or_b32 exec_lo, exec_lo, s0
	s_and_saveexec_b32 s0, vcc_lo
	s_cbranch_execnz .LBB106_138
.LBB106_81:
	s_or_b32 exec_lo, exec_lo, s0
	s_and_saveexec_b32 s0, vcc_lo
	s_cbranch_execnz .LBB106_139
.LBB106_82:
	s_or_b32 exec_lo, exec_lo, s0
	s_and_saveexec_b32 s0, vcc_lo
	s_cbranch_execnz .LBB106_140
.LBB106_83:
	s_or_b32 exec_lo, exec_lo, s0
	s_and_saveexec_b32 s0, vcc_lo
	s_cbranch_execnz .LBB106_141
.LBB106_84:
	s_or_b32 exec_lo, exec_lo, s0
	s_and_saveexec_b32 s0, vcc_lo
	s_cbranch_execnz .LBB106_142
.LBB106_85:
	s_or_b32 exec_lo, exec_lo, s0
	s_and_saveexec_b32 s0, vcc_lo
	s_cbranch_execnz .LBB106_143
.LBB106_86:
	s_or_b32 exec_lo, exec_lo, s0
	s_and_saveexec_b32 s0, vcc_lo
	s_cbranch_execnz .LBB106_144
.LBB106_87:
	s_or_b32 exec_lo, exec_lo, s0
	s_and_saveexec_b32 s0, vcc_lo
	s_cbranch_execnz .LBB106_145
.LBB106_88:
	s_or_b32 exec_lo, exec_lo, s0
	s_and_saveexec_b32 s0, vcc_lo
	s_cbranch_execnz .LBB106_146
.LBB106_89:
	s_or_b32 exec_lo, exec_lo, s0
	s_and_saveexec_b32 s0, vcc_lo
	s_cbranch_execnz .LBB106_147
.LBB106_90:
	s_or_b32 exec_lo, exec_lo, s0
	s_and_saveexec_b32 s0, vcc_lo
	s_cbranch_execnz .LBB106_148
.LBB106_91:
	s_or_b32 exec_lo, exec_lo, s0
	s_and_saveexec_b32 s0, vcc_lo
	s_cbranch_execnz .LBB106_149
.LBB106_92:
	s_or_b32 exec_lo, exec_lo, s0
	s_and_saveexec_b32 s0, vcc_lo
	s_cbranch_execnz .LBB106_150
.LBB106_93:
	s_or_b32 exec_lo, exec_lo, s0
	s_and_saveexec_b32 s0, vcc_lo
	s_cbranch_execnz .LBB106_151
.LBB106_94:
	s_or_b32 exec_lo, exec_lo, s0
	s_and_saveexec_b32 s0, vcc_lo
	s_cbranch_execnz .LBB106_152
.LBB106_95:
	s_or_b32 exec_lo, exec_lo, s0
	s_and_saveexec_b32 s0, vcc_lo
	s_cbranch_execnz .LBB106_153
.LBB106_96:
	s_or_b32 exec_lo, exec_lo, s0
	s_and_saveexec_b32 s0, vcc_lo
	s_cbranch_execnz .LBB106_154
.LBB106_97:
	s_or_b32 exec_lo, exec_lo, s0
	s_and_saveexec_b32 s0, vcc_lo
	s_cbranch_execnz .LBB106_155
.LBB106_98:
	s_or_b32 exec_lo, exec_lo, s0
	s_and_saveexec_b32 s0, vcc_lo
	s_cbranch_execnz .LBB106_156
.LBB106_99:
	s_or_b32 exec_lo, exec_lo, s0
	s_and_saveexec_b32 s0, vcc_lo
	s_cbranch_execnz .LBB106_157
.LBB106_100:
	s_or_b32 exec_lo, exec_lo, s0
	s_and_saveexec_b32 s0, vcc_lo
	s_cbranch_execnz .LBB106_158
.LBB106_101:
	s_or_b32 exec_lo, exec_lo, s0
	s_and_saveexec_b32 s0, vcc_lo
	s_cbranch_execz .LBB106_103
.LBB106_102:
	ds_read_b32 v27, v25 offset:736
	s_waitcnt lgkmcnt(0)
	v_add_f32_e32 v9, v9, v27
.LBB106_103:
	s_or_b32 exec_lo, exec_lo, s0
.LBB106_104:
	s_or_b32 exec_lo, exec_lo, s1
	v_and_b32_e32 v27, 0x3e3, v0
	s_mov_b32 s1, exec_lo
	s_barrier
	buffer_gl0_inv
	v_cmpx_eq_u32_e32 32, v27
	s_cbranch_execz .LBB106_106
; %bb.105:
	ds_write2_b32 v26, v4, v3 offset1:8
	ds_write2_b32 v26, v2, v1 offset0:16 offset1:24
	ds_write2_b32 v26, v24, v23 offset0:32 offset1:40
	;; [unrolled: 1-line block ×11, first 2 shown]
.LBB106_106:
	s_or_b32 exec_lo, exec_lo, s1
	s_mov_b32 s1, exec_lo
	s_waitcnt lgkmcnt(0)
	s_barrier
	buffer_gl0_inv
	v_cmpx_gt_u32_e32 32, v0
	s_cbranch_execz .LBB106_133
; %bb.107:
	s_and_saveexec_b32 s0, vcc_lo
	s_cbranch_execnz .LBB106_159
; %bb.108:
	s_or_b32 exec_lo, exec_lo, s0
	s_and_saveexec_b32 s0, vcc_lo
	s_cbranch_execnz .LBB106_160
.LBB106_109:
	s_or_b32 exec_lo, exec_lo, s0
	s_and_saveexec_b32 s0, vcc_lo
	s_cbranch_execnz .LBB106_161
.LBB106_110:
	s_or_b32 exec_lo, exec_lo, s0
	s_and_saveexec_b32 s0, vcc_lo
	s_cbranch_execnz .LBB106_162
.LBB106_111:
	s_or_b32 exec_lo, exec_lo, s0
	s_and_saveexec_b32 s0, vcc_lo
	s_cbranch_execnz .LBB106_163
.LBB106_112:
	s_or_b32 exec_lo, exec_lo, s0
	s_and_saveexec_b32 s0, vcc_lo
	s_cbranch_execnz .LBB106_164
.LBB106_113:
	s_or_b32 exec_lo, exec_lo, s0
	s_and_saveexec_b32 s0, vcc_lo
	s_cbranch_execnz .LBB106_165
.LBB106_114:
	s_or_b32 exec_lo, exec_lo, s0
	s_and_saveexec_b32 s0, vcc_lo
	s_cbranch_execnz .LBB106_166
.LBB106_115:
	s_or_b32 exec_lo, exec_lo, s0
	s_and_saveexec_b32 s0, vcc_lo
	s_cbranch_execnz .LBB106_167
.LBB106_116:
	s_or_b32 exec_lo, exec_lo, s0
	s_and_saveexec_b32 s0, vcc_lo
	s_cbranch_execnz .LBB106_168
.LBB106_117:
	s_or_b32 exec_lo, exec_lo, s0
	s_and_saveexec_b32 s0, vcc_lo
	s_cbranch_execnz .LBB106_169
.LBB106_118:
	s_or_b32 exec_lo, exec_lo, s0
	s_and_saveexec_b32 s0, vcc_lo
	s_cbranch_execnz .LBB106_170
.LBB106_119:
	s_or_b32 exec_lo, exec_lo, s0
	s_and_saveexec_b32 s0, vcc_lo
	s_cbranch_execnz .LBB106_171
.LBB106_120:
	s_or_b32 exec_lo, exec_lo, s0
	s_and_saveexec_b32 s0, vcc_lo
	s_cbranch_execnz .LBB106_172
.LBB106_121:
	s_or_b32 exec_lo, exec_lo, s0
	s_and_saveexec_b32 s0, vcc_lo
	s_cbranch_execnz .LBB106_173
.LBB106_122:
	s_or_b32 exec_lo, exec_lo, s0
	s_and_saveexec_b32 s0, vcc_lo
	s_cbranch_execnz .LBB106_174
.LBB106_123:
	s_or_b32 exec_lo, exec_lo, s0
	s_and_saveexec_b32 s0, vcc_lo
	s_cbranch_execnz .LBB106_175
.LBB106_124:
	s_or_b32 exec_lo, exec_lo, s0
	s_and_saveexec_b32 s0, vcc_lo
	s_cbranch_execnz .LBB106_176
.LBB106_125:
	s_or_b32 exec_lo, exec_lo, s0
	s_and_saveexec_b32 s0, vcc_lo
	s_cbranch_execnz .LBB106_177
.LBB106_126:
	s_or_b32 exec_lo, exec_lo, s0
	s_and_saveexec_b32 s0, vcc_lo
	s_cbranch_execnz .LBB106_178
.LBB106_127:
	s_or_b32 exec_lo, exec_lo, s0
	s_and_saveexec_b32 s0, vcc_lo
	s_cbranch_execnz .LBB106_179
.LBB106_128:
	s_or_b32 exec_lo, exec_lo, s0
	s_and_saveexec_b32 s0, vcc_lo
	s_cbranch_execnz .LBB106_180
.LBB106_129:
	s_or_b32 exec_lo, exec_lo, s0
	s_and_saveexec_b32 s0, vcc_lo
	s_cbranch_execnz .LBB106_181
.LBB106_130:
	s_or_b32 exec_lo, exec_lo, s0
	s_and_saveexec_b32 s0, vcc_lo
	s_cbranch_execz .LBB106_132
.LBB106_131:
	ds_read_b32 v25, v25 offset:736
	s_waitcnt lgkmcnt(0)
	v_add_f32_e32 v9, v9, v25
.LBB106_132:
	s_or_b32 exec_lo, exec_lo, s0
.LBB106_133:
	s_or_b32 exec_lo, exec_lo, s1
	s_barrier
	buffer_gl0_inv
	s_mov_b32 s0, exec_lo
	v_cmpx_eq_u32_e32 0, v27
	s_cbranch_execz .LBB106_135
; %bb.134:
	s_mul_i32 s0, s10, s7
	s_mul_i32 s2, s7, s6
	;; [unrolled: 1-line block ×3, first 2 shown]
	v_lshrrev_b32_e32 v0, 1, v0
	s_mulk_i32 s0, 0xc0
	;;#ASMSTART
	v_cvt_f16_f32 v4, v4;

	;;#ASMEND
	s_ashr_i32 s1, s0, 31
	s_lshl_b64 s[0:1], s[0:1], 1
	s_add_u32 s4, s16, s0
	s_addc_u32 s5, s17, s1
	s_ashr_i32 s3, s2, 31
	s_lshl_b64 s[0:1], s[2:3], 1
	s_mul_i32 s2, s8, 0xc0
	s_add_u32 s4, s4, s0
	s_addc_u32 s5, s5, s1
	s_ashr_i32 s3, s2, 31
	s_lshl_b64 s[0:1], s[2:3], 1
	s_add_u32 s0, s4, s0
	s_addc_u32 s1, s5, s1
	global_store_short v0, v4, s[0:1]
	;;#ASMSTART
	v_cvt_f16_f32 v3, v3;

	;;#ASMEND
	global_store_short v0, v3, s[0:1] offset:16
	;;#ASMSTART
	v_cvt_f16_f32 v2, v2;

	;;#ASMEND
	global_store_short v0, v2, s[0:1] offset:32
	;; [unrolled: 5-line block ×23, first 2 shown]
.LBB106_135:
	s_endpgm
.LBB106_136:
	ds_read_b32 v27, v25
	s_waitcnt lgkmcnt(0)
	v_add_f32_e32 v4, v4, v27
	s_or_b32 exec_lo, exec_lo, s0
	s_and_saveexec_b32 s0, vcc_lo
	s_cbranch_execz .LBB106_80
.LBB106_137:
	ds_read_b32 v27, v25 offset:32
	s_waitcnt lgkmcnt(0)
	v_add_f32_e32 v3, v3, v27
	s_or_b32 exec_lo, exec_lo, s0
	s_and_saveexec_b32 s0, vcc_lo
	s_cbranch_execz .LBB106_81
.LBB106_138:
	ds_read_b32 v27, v25 offset:64
	s_waitcnt lgkmcnt(0)
	v_add_f32_e32 v2, v2, v27
	s_or_b32 exec_lo, exec_lo, s0
	s_and_saveexec_b32 s0, vcc_lo
	s_cbranch_execz .LBB106_82
.LBB106_139:
	ds_read_b32 v27, v25 offset:96
	s_waitcnt lgkmcnt(0)
	v_add_f32_e32 v1, v1, v27
	s_or_b32 exec_lo, exec_lo, s0
	s_and_saveexec_b32 s0, vcc_lo
	s_cbranch_execz .LBB106_83
.LBB106_140:
	ds_read_b32 v27, v25 offset:128
	s_waitcnt lgkmcnt(0)
	v_add_f32_e32 v24, v24, v27
	s_or_b32 exec_lo, exec_lo, s0
	s_and_saveexec_b32 s0, vcc_lo
	s_cbranch_execz .LBB106_84
.LBB106_141:
	ds_read_b32 v27, v25 offset:160
	s_waitcnt lgkmcnt(0)
	v_add_f32_e32 v23, v23, v27
	s_or_b32 exec_lo, exec_lo, s0
	s_and_saveexec_b32 s0, vcc_lo
	s_cbranch_execz .LBB106_85
.LBB106_142:
	ds_read_b32 v27, v25 offset:192
	s_waitcnt lgkmcnt(0)
	v_add_f32_e32 v22, v22, v27
	s_or_b32 exec_lo, exec_lo, s0
	s_and_saveexec_b32 s0, vcc_lo
	s_cbranch_execz .LBB106_86
.LBB106_143:
	ds_read_b32 v27, v25 offset:224
	s_waitcnt lgkmcnt(0)
	v_add_f32_e32 v21, v21, v27
	s_or_b32 exec_lo, exec_lo, s0
	s_and_saveexec_b32 s0, vcc_lo
	s_cbranch_execz .LBB106_87
.LBB106_144:
	ds_read_b32 v27, v25 offset:256
	s_waitcnt lgkmcnt(0)
	v_add_f32_e32 v20, v20, v27
	s_or_b32 exec_lo, exec_lo, s0
	s_and_saveexec_b32 s0, vcc_lo
	s_cbranch_execz .LBB106_88
.LBB106_145:
	ds_read_b32 v27, v25 offset:288
	s_waitcnt lgkmcnt(0)
	v_add_f32_e32 v19, v19, v27
	s_or_b32 exec_lo, exec_lo, s0
	s_and_saveexec_b32 s0, vcc_lo
	s_cbranch_execz .LBB106_89
.LBB106_146:
	ds_read_b32 v27, v25 offset:320
	s_waitcnt lgkmcnt(0)
	v_add_f32_e32 v18, v18, v27
	s_or_b32 exec_lo, exec_lo, s0
	s_and_saveexec_b32 s0, vcc_lo
	s_cbranch_execz .LBB106_90
.LBB106_147:
	ds_read_b32 v27, v25 offset:352
	s_waitcnt lgkmcnt(0)
	v_add_f32_e32 v17, v17, v27
	s_or_b32 exec_lo, exec_lo, s0
	s_and_saveexec_b32 s0, vcc_lo
	s_cbranch_execz .LBB106_91
.LBB106_148:
	ds_read_b32 v27, v25 offset:384
	s_waitcnt lgkmcnt(0)
	v_add_f32_e32 v16, v16, v27
	s_or_b32 exec_lo, exec_lo, s0
	s_and_saveexec_b32 s0, vcc_lo
	s_cbranch_execz .LBB106_92
.LBB106_149:
	ds_read_b32 v27, v25 offset:416
	s_waitcnt lgkmcnt(0)
	v_add_f32_e32 v15, v15, v27
	s_or_b32 exec_lo, exec_lo, s0
	s_and_saveexec_b32 s0, vcc_lo
	s_cbranch_execz .LBB106_93
.LBB106_150:
	ds_read_b32 v27, v25 offset:448
	s_waitcnt lgkmcnt(0)
	v_add_f32_e32 v14, v14, v27
	s_or_b32 exec_lo, exec_lo, s0
	s_and_saveexec_b32 s0, vcc_lo
	s_cbranch_execz .LBB106_94
.LBB106_151:
	ds_read_b32 v27, v25 offset:480
	s_waitcnt lgkmcnt(0)
	v_add_f32_e32 v13, v13, v27
	s_or_b32 exec_lo, exec_lo, s0
	s_and_saveexec_b32 s0, vcc_lo
	s_cbranch_execz .LBB106_95
.LBB106_152:
	ds_read_b32 v27, v25 offset:512
	s_waitcnt lgkmcnt(0)
	v_add_f32_e32 v12, v12, v27
	s_or_b32 exec_lo, exec_lo, s0
	s_and_saveexec_b32 s0, vcc_lo
	s_cbranch_execz .LBB106_96
.LBB106_153:
	ds_read_b32 v27, v25 offset:544
	s_waitcnt lgkmcnt(0)
	v_add_f32_e32 v11, v11, v27
	s_or_b32 exec_lo, exec_lo, s0
	s_and_saveexec_b32 s0, vcc_lo
	s_cbranch_execz .LBB106_97
.LBB106_154:
	ds_read_b32 v27, v25 offset:576
	s_waitcnt lgkmcnt(0)
	v_add_f32_e32 v10, v10, v27
	s_or_b32 exec_lo, exec_lo, s0
	s_and_saveexec_b32 s0, vcc_lo
	s_cbranch_execz .LBB106_98
.LBB106_155:
	ds_read_b32 v27, v25 offset:608
	s_waitcnt lgkmcnt(0)
	v_add_f32_e32 v7, v7, v27
	s_or_b32 exec_lo, exec_lo, s0
	s_and_saveexec_b32 s0, vcc_lo
	s_cbranch_execz .LBB106_99
.LBB106_156:
	ds_read_b32 v27, v25 offset:640
	s_waitcnt lgkmcnt(0)
	v_add_f32_e32 v6, v6, v27
	s_or_b32 exec_lo, exec_lo, s0
	s_and_saveexec_b32 s0, vcc_lo
	s_cbranch_execz .LBB106_100
.LBB106_157:
	ds_read_b32 v27, v25 offset:672
	s_waitcnt lgkmcnt(0)
	v_add_f32_e32 v5, v5, v27
	s_or_b32 exec_lo, exec_lo, s0
	s_and_saveexec_b32 s0, vcc_lo
	s_cbranch_execz .LBB106_101
.LBB106_158:
	ds_read_b32 v27, v25 offset:704
	s_waitcnt lgkmcnt(0)
	v_add_f32_e32 v8, v8, v27
	s_or_b32 exec_lo, exec_lo, s0
	s_and_saveexec_b32 s0, vcc_lo
	s_cbranch_execnz .LBB106_102
	s_branch .LBB106_103
.LBB106_159:
	ds_read_b32 v26, v25
	s_waitcnt lgkmcnt(0)
	v_add_f32_e32 v4, v4, v26
	s_or_b32 exec_lo, exec_lo, s0
	s_and_saveexec_b32 s0, vcc_lo
	s_cbranch_execz .LBB106_109
.LBB106_160:
	ds_read_b32 v26, v25 offset:32
	s_waitcnt lgkmcnt(0)
	v_add_f32_e32 v3, v3, v26
	s_or_b32 exec_lo, exec_lo, s0
	s_and_saveexec_b32 s0, vcc_lo
	s_cbranch_execz .LBB106_110
.LBB106_161:
	ds_read_b32 v26, v25 offset:64
	s_waitcnt lgkmcnt(0)
	v_add_f32_e32 v2, v2, v26
	s_or_b32 exec_lo, exec_lo, s0
	s_and_saveexec_b32 s0, vcc_lo
	s_cbranch_execz .LBB106_111
.LBB106_162:
	ds_read_b32 v26, v25 offset:96
	s_waitcnt lgkmcnt(0)
	v_add_f32_e32 v1, v1, v26
	s_or_b32 exec_lo, exec_lo, s0
	s_and_saveexec_b32 s0, vcc_lo
	s_cbranch_execz .LBB106_112
.LBB106_163:
	ds_read_b32 v26, v25 offset:128
	s_waitcnt lgkmcnt(0)
	v_add_f32_e32 v24, v24, v26
	s_or_b32 exec_lo, exec_lo, s0
	s_and_saveexec_b32 s0, vcc_lo
	s_cbranch_execz .LBB106_113
.LBB106_164:
	ds_read_b32 v26, v25 offset:160
	s_waitcnt lgkmcnt(0)
	v_add_f32_e32 v23, v23, v26
	s_or_b32 exec_lo, exec_lo, s0
	s_and_saveexec_b32 s0, vcc_lo
	s_cbranch_execz .LBB106_114
.LBB106_165:
	ds_read_b32 v26, v25 offset:192
	s_waitcnt lgkmcnt(0)
	v_add_f32_e32 v22, v22, v26
	s_or_b32 exec_lo, exec_lo, s0
	s_and_saveexec_b32 s0, vcc_lo
	s_cbranch_execz .LBB106_115
.LBB106_166:
	ds_read_b32 v26, v25 offset:224
	s_waitcnt lgkmcnt(0)
	v_add_f32_e32 v21, v21, v26
	s_or_b32 exec_lo, exec_lo, s0
	s_and_saveexec_b32 s0, vcc_lo
	s_cbranch_execz .LBB106_116
.LBB106_167:
	ds_read_b32 v26, v25 offset:256
	s_waitcnt lgkmcnt(0)
	v_add_f32_e32 v20, v20, v26
	s_or_b32 exec_lo, exec_lo, s0
	s_and_saveexec_b32 s0, vcc_lo
	s_cbranch_execz .LBB106_117
.LBB106_168:
	ds_read_b32 v26, v25 offset:288
	s_waitcnt lgkmcnt(0)
	v_add_f32_e32 v19, v19, v26
	s_or_b32 exec_lo, exec_lo, s0
	s_and_saveexec_b32 s0, vcc_lo
	s_cbranch_execz .LBB106_118
.LBB106_169:
	ds_read_b32 v26, v25 offset:320
	s_waitcnt lgkmcnt(0)
	v_add_f32_e32 v18, v18, v26
	s_or_b32 exec_lo, exec_lo, s0
	s_and_saveexec_b32 s0, vcc_lo
	s_cbranch_execz .LBB106_119
.LBB106_170:
	ds_read_b32 v26, v25 offset:352
	s_waitcnt lgkmcnt(0)
	v_add_f32_e32 v17, v17, v26
	s_or_b32 exec_lo, exec_lo, s0
	s_and_saveexec_b32 s0, vcc_lo
	s_cbranch_execz .LBB106_120
.LBB106_171:
	ds_read_b32 v26, v25 offset:384
	s_waitcnt lgkmcnt(0)
	v_add_f32_e32 v16, v16, v26
	s_or_b32 exec_lo, exec_lo, s0
	s_and_saveexec_b32 s0, vcc_lo
	s_cbranch_execz .LBB106_121
.LBB106_172:
	ds_read_b32 v26, v25 offset:416
	s_waitcnt lgkmcnt(0)
	v_add_f32_e32 v15, v15, v26
	s_or_b32 exec_lo, exec_lo, s0
	s_and_saveexec_b32 s0, vcc_lo
	s_cbranch_execz .LBB106_122
.LBB106_173:
	ds_read_b32 v26, v25 offset:448
	s_waitcnt lgkmcnt(0)
	v_add_f32_e32 v14, v14, v26
	s_or_b32 exec_lo, exec_lo, s0
	s_and_saveexec_b32 s0, vcc_lo
	s_cbranch_execz .LBB106_123
.LBB106_174:
	ds_read_b32 v26, v25 offset:480
	s_waitcnt lgkmcnt(0)
	v_add_f32_e32 v13, v13, v26
	s_or_b32 exec_lo, exec_lo, s0
	s_and_saveexec_b32 s0, vcc_lo
	s_cbranch_execz .LBB106_124
.LBB106_175:
	ds_read_b32 v26, v25 offset:512
	s_waitcnt lgkmcnt(0)
	v_add_f32_e32 v12, v12, v26
	s_or_b32 exec_lo, exec_lo, s0
	s_and_saveexec_b32 s0, vcc_lo
	s_cbranch_execz .LBB106_125
.LBB106_176:
	ds_read_b32 v26, v25 offset:544
	s_waitcnt lgkmcnt(0)
	v_add_f32_e32 v11, v11, v26
	s_or_b32 exec_lo, exec_lo, s0
	s_and_saveexec_b32 s0, vcc_lo
	s_cbranch_execz .LBB106_126
.LBB106_177:
	ds_read_b32 v26, v25 offset:576
	s_waitcnt lgkmcnt(0)
	v_add_f32_e32 v10, v10, v26
	s_or_b32 exec_lo, exec_lo, s0
	s_and_saveexec_b32 s0, vcc_lo
	s_cbranch_execz .LBB106_127
.LBB106_178:
	ds_read_b32 v26, v25 offset:608
	s_waitcnt lgkmcnt(0)
	v_add_f32_e32 v7, v7, v26
	s_or_b32 exec_lo, exec_lo, s0
	s_and_saveexec_b32 s0, vcc_lo
	s_cbranch_execz .LBB106_128
.LBB106_179:
	ds_read_b32 v26, v25 offset:640
	s_waitcnt lgkmcnt(0)
	v_add_f32_e32 v6, v6, v26
	s_or_b32 exec_lo, exec_lo, s0
	s_and_saveexec_b32 s0, vcc_lo
	s_cbranch_execz .LBB106_129
.LBB106_180:
	ds_read_b32 v26, v25 offset:672
	s_waitcnt lgkmcnt(0)
	v_add_f32_e32 v5, v5, v26
	s_or_b32 exec_lo, exec_lo, s0
	s_and_saveexec_b32 s0, vcc_lo
	s_cbranch_execz .LBB106_130
.LBB106_181:
	ds_read_b32 v26, v25 offset:704
	s_waitcnt lgkmcnt(0)
	v_add_f32_e32 v8, v8, v26
	s_or_b32 exec_lo, exec_lo, s0
	s_and_saveexec_b32 s0, vcc_lo
	s_cbranch_execnz .LBB106_131
	s_branch .LBB106_132
	.section	.rodata,"a",@progbits
	.p2align	6, 0x0
	.amdhsa_kernel _ZN4vllm25paged_attention_v1_kernelIttLi192ELi32ELi128ELNS_18Fp8KVCacheDataTypeE0ELb0EEEvPT_PKS2_PKT0_S8_ifPKiSA_iPKfiiiSC_SC_iiiii
		.amdhsa_group_segment_fixed_size 416
		.amdhsa_private_segment_fixed_size 0
		.amdhsa_kernarg_size 384
		.amdhsa_user_sgpr_count 6
		.amdhsa_user_sgpr_private_segment_buffer 1
		.amdhsa_user_sgpr_dispatch_ptr 0
		.amdhsa_user_sgpr_queue_ptr 0
		.amdhsa_user_sgpr_kernarg_segment_ptr 1
		.amdhsa_user_sgpr_dispatch_id 0
		.amdhsa_user_sgpr_flat_scratch_init 0
		.amdhsa_user_sgpr_private_segment_size 0
		.amdhsa_wavefront_size32 1
		.amdhsa_uses_dynamic_stack 0
		.amdhsa_system_sgpr_private_segment_wavefront_offset 0
		.amdhsa_system_sgpr_workgroup_id_x 1
		.amdhsa_system_sgpr_workgroup_id_y 1
		.amdhsa_system_sgpr_workgroup_id_z 1
		.amdhsa_system_sgpr_workgroup_info 0
		.amdhsa_system_vgpr_workitem_id 0
		.amdhsa_next_free_vgpr 128
		.amdhsa_next_free_sgpr 28
		.amdhsa_reserve_vcc 1
		.amdhsa_reserve_flat_scratch 0
		.amdhsa_float_round_mode_32 0
		.amdhsa_float_round_mode_16_64 0
		.amdhsa_float_denorm_mode_32 3
		.amdhsa_float_denorm_mode_16_64 3
		.amdhsa_dx10_clamp 1
		.amdhsa_ieee_mode 1
		.amdhsa_fp16_overflow 0
		.amdhsa_workgroup_processor_mode 1
		.amdhsa_memory_ordered 1
		.amdhsa_forward_progress 1
		.amdhsa_shared_vgpr_count 0
		.amdhsa_exception_fp_ieee_invalid_op 0
		.amdhsa_exception_fp_denorm_src 0
		.amdhsa_exception_fp_ieee_div_zero 0
		.amdhsa_exception_fp_ieee_overflow 0
		.amdhsa_exception_fp_ieee_underflow 0
		.amdhsa_exception_fp_ieee_inexact 0
		.amdhsa_exception_int_div_zero 0
	.end_amdhsa_kernel
	.section	.text._ZN4vllm25paged_attention_v1_kernelIttLi192ELi32ELi128ELNS_18Fp8KVCacheDataTypeE0ELb0EEEvPT_PKS2_PKT0_S8_ifPKiSA_iPKfiiiSC_SC_iiiii,"axG",@progbits,_ZN4vllm25paged_attention_v1_kernelIttLi192ELi32ELi128ELNS_18Fp8KVCacheDataTypeE0ELb0EEEvPT_PKS2_PKT0_S8_ifPKiSA_iPKfiiiSC_SC_iiiii,comdat
.Lfunc_end106:
	.size	_ZN4vllm25paged_attention_v1_kernelIttLi192ELi32ELi128ELNS_18Fp8KVCacheDataTypeE0ELb0EEEvPT_PKS2_PKT0_S8_ifPKiSA_iPKfiiiSC_SC_iiiii, .Lfunc_end106-_ZN4vllm25paged_attention_v1_kernelIttLi192ELi32ELi128ELNS_18Fp8KVCacheDataTypeE0ELb0EEEvPT_PKS2_PKT0_S8_ifPKiSA_iPKfiiiSC_SC_iiiii
                                        ; -- End function
	.set _ZN4vllm25paged_attention_v1_kernelIttLi192ELi32ELi128ELNS_18Fp8KVCacheDataTypeE0ELb0EEEvPT_PKS2_PKT0_S8_ifPKiSA_iPKfiiiSC_SC_iiiii.num_vgpr, 128
	.set _ZN4vllm25paged_attention_v1_kernelIttLi192ELi32ELi128ELNS_18Fp8KVCacheDataTypeE0ELb0EEEvPT_PKS2_PKT0_S8_ifPKiSA_iPKfiiiSC_SC_iiiii.num_agpr, 0
	.set _ZN4vllm25paged_attention_v1_kernelIttLi192ELi32ELi128ELNS_18Fp8KVCacheDataTypeE0ELb0EEEvPT_PKS2_PKT0_S8_ifPKiSA_iPKfiiiSC_SC_iiiii.numbered_sgpr, 28
	.set _ZN4vllm25paged_attention_v1_kernelIttLi192ELi32ELi128ELNS_18Fp8KVCacheDataTypeE0ELb0EEEvPT_PKS2_PKT0_S8_ifPKiSA_iPKfiiiSC_SC_iiiii.num_named_barrier, 0
	.set _ZN4vllm25paged_attention_v1_kernelIttLi192ELi32ELi128ELNS_18Fp8KVCacheDataTypeE0ELb0EEEvPT_PKS2_PKT0_S8_ifPKiSA_iPKfiiiSC_SC_iiiii.private_seg_size, 0
	.set _ZN4vllm25paged_attention_v1_kernelIttLi192ELi32ELi128ELNS_18Fp8KVCacheDataTypeE0ELb0EEEvPT_PKS2_PKT0_S8_ifPKiSA_iPKfiiiSC_SC_iiiii.uses_vcc, 1
	.set _ZN4vllm25paged_attention_v1_kernelIttLi192ELi32ELi128ELNS_18Fp8KVCacheDataTypeE0ELb0EEEvPT_PKS2_PKT0_S8_ifPKiSA_iPKfiiiSC_SC_iiiii.uses_flat_scratch, 0
	.set _ZN4vllm25paged_attention_v1_kernelIttLi192ELi32ELi128ELNS_18Fp8KVCacheDataTypeE0ELb0EEEvPT_PKS2_PKT0_S8_ifPKiSA_iPKfiiiSC_SC_iiiii.has_dyn_sized_stack, 0
	.set _ZN4vllm25paged_attention_v1_kernelIttLi192ELi32ELi128ELNS_18Fp8KVCacheDataTypeE0ELb0EEEvPT_PKS2_PKT0_S8_ifPKiSA_iPKfiiiSC_SC_iiiii.has_recursion, 0
	.set _ZN4vllm25paged_attention_v1_kernelIttLi192ELi32ELi128ELNS_18Fp8KVCacheDataTypeE0ELb0EEEvPT_PKS2_PKT0_S8_ifPKiSA_iPKfiiiSC_SC_iiiii.has_indirect_call, 0
	.section	.AMDGPU.csdata,"",@progbits
; Kernel info:
; codeLenInByte = 27236
; TotalNumSgprs: 30
; NumVgprs: 128
; ScratchSize: 0
; MemoryBound: 0
; FloatMode: 240
; IeeeMode: 1
; LDSByteSize: 416 bytes/workgroup (compile time only)
; SGPRBlocks: 0
; VGPRBlocks: 15
; NumSGPRsForWavesPerEU: 30
; NumVGPRsForWavesPerEU: 128
; Occupancy: 8
; WaveLimiterHint : 1
; COMPUTE_PGM_RSRC2:SCRATCH_EN: 0
; COMPUTE_PGM_RSRC2:USER_SGPR: 6
; COMPUTE_PGM_RSRC2:TRAP_HANDLER: 0
; COMPUTE_PGM_RSRC2:TGID_X_EN: 1
; COMPUTE_PGM_RSRC2:TGID_Y_EN: 1
; COMPUTE_PGM_RSRC2:TGID_Z_EN: 1
; COMPUTE_PGM_RSRC2:TIDIG_COMP_CNT: 0
	.section	.text._ZN4vllm25paged_attention_v1_kernelIttLi256ELi32ELi128ELNS_18Fp8KVCacheDataTypeE0ELb0EEEvPT_PKS2_PKT0_S8_ifPKiSA_iPKfiiiSC_SC_iiiii,"axG",@progbits,_ZN4vllm25paged_attention_v1_kernelIttLi256ELi32ELi128ELNS_18Fp8KVCacheDataTypeE0ELb0EEEvPT_PKS2_PKT0_S8_ifPKiSA_iPKfiiiSC_SC_iiiii,comdat
	.protected	_ZN4vllm25paged_attention_v1_kernelIttLi256ELi32ELi128ELNS_18Fp8KVCacheDataTypeE0ELb0EEEvPT_PKS2_PKT0_S8_ifPKiSA_iPKfiiiSC_SC_iiiii ; -- Begin function _ZN4vllm25paged_attention_v1_kernelIttLi256ELi32ELi128ELNS_18Fp8KVCacheDataTypeE0ELb0EEEvPT_PKS2_PKT0_S8_ifPKiSA_iPKfiiiSC_SC_iiiii
	.globl	_ZN4vllm25paged_attention_v1_kernelIttLi256ELi32ELi128ELNS_18Fp8KVCacheDataTypeE0ELb0EEEvPT_PKS2_PKT0_S8_ifPKiSA_iPKfiiiSC_SC_iiiii
	.p2align	8
	.type	_ZN4vllm25paged_attention_v1_kernelIttLi256ELi32ELi128ELNS_18Fp8KVCacheDataTypeE0ELb0EEEvPT_PKS2_PKT0_S8_ifPKiSA_iPKfiiiSC_SC_iiiii,@function
_ZN4vllm25paged_attention_v1_kernelIttLi256ELi32ELi128ELNS_18Fp8KVCacheDataTypeE0ELb0EEEvPT_PKS2_PKT0_S8_ifPKiSA_iPKfiiiSC_SC_iiiii: ; @_ZN4vllm25paged_attention_v1_kernelIttLi256ELi32ELi128ELNS_18Fp8KVCacheDataTypeE0ELb0EEEvPT_PKS2_PKT0_S8_ifPKiSA_iPKfiiiSC_SC_iiiii
; %bb.0:
	s_mov_b64 s[30:31], s[2:3]
	s_mov_b64 s[28:29], s[0:1]
	s_mov_b32 s10, s7
	s_add_u32 s28, s28, s9
	s_clause 0x2
	s_load_dword s9, s[4:5], 0x80
	s_load_dwordx2 s[0:1], s[4:5], 0x30
	s_load_dwordx2 s[24:25], s[4:5], 0x20
	s_addc_u32 s29, s29, 0
	s_ashr_i32 s11, s7, 31
	v_mov_b32_e32 v121, v0
	s_lshl_b64 s[2:3], s[10:11], 2
	s_waitcnt lgkmcnt(0)
	s_add_u32 s0, s0, s2
	s_addc_u32 s1, s1, s3
	s_abs_i32 s2, s24
	s_abs_i32 s11, s9
	v_cvt_f32_u32_e32 v0, s2
	s_sub_i32 s7, 0, s2
	v_rcp_iflag_f32_e32 v0, v0
	v_mul_f32_e32 v0, 0x4f7ffffe, v0
	v_cvt_u32_f32_e32 v0, v0
	v_readfirstlane_b32 s3, v0
	s_mul_i32 s7, s7, s3
	s_mul_hi_u32 s7, s3, s7
	s_add_i32 s3, s3, s7
	s_xor_b32 s7, s9, s24
	s_mul_hi_u32 s3, s11, s3
	s_ashr_i32 s7, s7, 31
	s_mul_i32 s12, s3, s2
	s_mov_b32 s24, 0
	s_sub_i32 s11, s11, s12
	s_add_i32 s12, s3, 1
	s_sub_i32 s13, s11, s2
	s_cmp_ge_u32 s11, s2
	s_cselect_b32 s3, s12, s3
	s_cselect_b32 s11, s13, s11
	s_add_i32 s12, s3, 1
	s_cmp_ge_u32 s11, s2
	s_cselect_b32 s2, s12, s3
	s_abs_i32 s16, s6
	s_xor_b32 s2, s2, s7
	s_sub_i32 s17, s2, s7
	s_load_dwordx2 s[2:3], s[4:5], 0x40
	s_abs_i32 s22, s17
	v_cvt_f32_u32_e32 v0, s22
	s_sub_i32 s11, 0, s22
	v_rcp_iflag_f32_e32 v0, v0
	v_mul_f32_e32 v0, 0x4f7ffffe, v0
	v_cvt_u32_f32_e32 v0, v0
	v_readfirstlane_b32 s7, v0
	s_mul_i32 s11, s11, s7
	s_mul_hi_u32 s11, s7, s11
	s_add_i32 s7, s7, s11
	s_waitcnt lgkmcnt(0)
	s_cmp_eq_u64 s[2:3], 0
	s_mul_hi_u32 s23, s16, s7
	s_cbranch_scc1 .LBB107_2
; %bb.1:
	s_ashr_i32 s7, s6, 31
	s_lshl_b64 s[12:13], s[6:7], 2
	s_add_u32 s2, s2, s12
	s_addc_u32 s3, s3, s13
	s_load_dword s24, s[2:3], 0x0
.LBB107_2:
	s_load_dword s11, s[0:1], 0x0
	s_clause 0x1
	s_load_dwordx2 s[18:19], s[4:5], 0x28
	s_load_dwordx4 s[12:15], s[4:5], 0x48
	v_cmp_gt_u32_e64 s0, 32, v121
	s_ashr_i32 s1, s6, 31
	s_ashr_i32 s2, s17, 31
	s_lshl_b32 s6, s6, 8
	s_and_saveexec_b32 s3, s0
	s_cbranch_execz .LBB107_4
; %bb.3:
	s_load_dwordx2 s[20:21], s[4:5], 0x8
	s_waitcnt lgkmcnt(0)
	s_mul_i32 s26, s12, s10
	v_lshlrev_b32_e32 v4, 4, v121
	s_ashr_i32 s27, s26, 31
	s_lshl_b64 s[26:27], s[26:27], 1
	s_add_u32 s12, s20, s26
	s_addc_u32 s15, s21, s27
	s_ashr_i32 s7, s6, 31
	s_lshl_b64 s[20:21], s[6:7], 1
	s_add_u32 s20, s12, s20
	s_addc_u32 s21, s15, s21
	global_load_dwordx4 v[0:3], v4, s[20:21]
	s_waitcnt vmcnt(0)
	ds_write_b128 v4, v[0:3]
.LBB107_4:
	s_or_b32 exec_lo, exec_lo, s3
	s_waitcnt lgkmcnt(0)
	s_add_i32 s3, s11, 31
	s_load_dword s15, s[4:5], 0x38
	s_ashr_i32 s7, s3, 31
	s_xor_b32 s1, s1, s2
	s_lshr_b32 s2, s7, 27
	s_mul_i32 s7, s23, s22
	s_add_i32 s3, s3, s2
	s_sub_i32 s2, s16, s7
	s_clause 0x2
	s_load_dwordx2 s[16:17], s[4:5], 0x0
	s_load_dwordx2 s[20:21], s[4:5], 0x18
	s_load_dword s7, s[4:5], 0x88
	s_ashr_i32 s12, s3, 5
	s_add_i32 s3, s23, 1
	s_sub_i32 s26, s2, s22
	s_cmp_ge_u32 s2, s22
	v_lshrrev_b32_e32 v122, 5, v121
	s_cselect_b32 s3, s3, s23
	s_cselect_b32 s2, s26, s2
	s_add_i32 s23, s3, 1
	s_cmp_ge_u32 s2, s22
	v_and_b32_e32 v123, 31, v121
	s_cselect_b32 s2, s23, s3
	v_mov_b32_e32 v4, 0xff7fffff
	s_xor_b32 s2, s2, s1
	s_waitcnt lgkmcnt(0)
	s_mul_i32 s22, s15, s10
	s_sub_i32 s2, s2, s1
	v_cmp_gt_i32_e64 s1, s12, v122
	v_lshlrev_b32_e32 v12, 2, v123
	s_ashr_i32 s23, s22, 31
	s_mul_i32 s14, s2, s14
	s_barrier
	buffer_gl0_inv
	s_and_saveexec_b32 s26, s1
	s_cbranch_execz .LBB107_8
; %bb.5:
	s_load_dwordx2 s[2:3], s[4:5], 0x10
	s_ashr_i32 s15, s14, 31
	v_lshlrev_b32_e32 v0, 4, v123
	s_lshl_b64 s[4:5], s[14:15], 1
	v_lshl_or_b32 v1, v122, 7, v12
	v_lshrrev_b32_e32 v2, 3, v121
	v_cmp_neq_f32_e64 vcc_lo, s24, 0
	v_lshl_or_b32 v3, v122, 5, v123
	v_mov_b32_e32 v4, 0xff7fffff
	v_add_nc_u32_e32 v5, 0x220, v1
	v_and_b32_e32 v1, 0x7c, v2
	v_mov_b32_e32 v2, v122
	buffer_store_dword v12, off, s[28:31], 0 offset:124 ; 4-byte Folded Spill
	buffer_store_dword v121, off, s[28:31], 0 offset:116 ; 4-byte Folded Spill
	;; [unrolled: 1-line block ×4, first 2 shown]
	s_waitcnt lgkmcnt(0)
	s_add_u32 s15, s2, s4
	s_addc_u32 s5, s3, s5
	v_add_co_u32 v0, s15, s15, v0
	s_lshl_b64 s[2:3], s[22:23], 2
	s_sub_i32 s4, 1, s11
	s_add_u32 s2, s18, s2
	buffer_store_dword v0, off, s[28:31], 0 offset:108 ; 4-byte Folded Spill
	v_add_co_ci_u32_e64 v0, null, s5, 0, s15
	s_addc_u32 s3, s19, s3
	s_mov_b32 s15, s13
	s_mov_b32 s5, 0
	buffer_store_dword v0, off, s[28:31], 0 offset:112 ; 4-byte Folded Spill
	v_add_co_u32 v0, s2, s2, v1
	v_add_co_ci_u32_e64 v1, null, s3, 0, s2
.LBB107_6:                              ; =>This Inner Loop Header: Depth=1
	buffer_store_dword v2, off, s[28:31], 0 offset:20 ; 4-byte Folded Spill
	buffer_store_dword v0, off, s[28:31], 0 ; 4-byte Folded Spill
	buffer_store_dword v1, off, s[28:31], 0 offset:4 ; 4-byte Folded Spill
	buffer_store_dword v5, off, s[28:31], 0 offset:16 ; 4-byte Folded Spill
	;; [unrolled: 1-line block ×4, first 2 shown]
	s_clause 0x2
	buffer_load_dword v0, off, s[28:31], 0
	buffer_load_dword v1, off, s[28:31], 0 offset:4
	buffer_load_dword v2, off, s[28:31], 0 offset:108
	v_mov_b32_e32 v20, 0
	s_waitcnt vmcnt(1)
	global_load_dword v0, v[0:1], off
	s_waitcnt vmcnt(0)
	v_mad_i64_i32 v[0:1], null, v0, s15, 0
	v_lshlrev_b64 v[0:1], 1, v[0:1]
	v_add_co_u32 v0, s2, v2, v0
	buffer_load_dword v2, off, s[28:31], 0 offset:112 ; 4-byte Folded Reload
	s_waitcnt vmcnt(0)
	v_add_co_ci_u32_e64 v1, null, v2, v1, s2
	v_add_nc_u32_e32 v2, s4, v3
	v_cmp_gt_i32_e64 s2, s11, v3
	s_clause 0x3
	global_load_dwordx4 v[4:7], v[0:1], off
	global_load_dwordx4 v[121:124], v[0:1], off offset:512
	global_load_dwordx4 v[117:120], v[0:1], off offset:1024
	;; [unrolled: 1-line block ×3, first 2 shown]
	v_cvt_f32_i32_e32 v2, v2
	v_mul_f32_e32 v127, s24, v2
	v_add_co_u32 v2, s3, 0x800, v0
	v_add_co_ci_u32_e64 v3, null, 0, v1, s3
	v_add_co_u32 v9, s3, v0, 0x1000
	v_add_co_ci_u32_e64 v10, null, 0, v1, s3
	s_clause 0x3
	global_load_dwordx4 v[109:112], v[9:10], off offset:-2048
	global_load_dwordx4 v[105:108], v[2:3], off offset:512
	global_load_dwordx4 v[101:104], v[2:3], off offset:1024
	global_load_dwordx4 v[97:100], v[2:3], off offset:1536
	v_add_co_u32 v2, s3, 0x1000, v0
	v_add_co_ci_u32_e64 v3, null, 0, v1, s3
	s_clause 0x3
	global_load_dwordx4 v[93:96], v[9:10], off
	global_load_dwordx4 v[89:92], v[2:3], off offset:512
	global_load_dwordx4 v[85:88], v[2:3], off offset:1024
	global_load_dwordx4 v[81:84], v[2:3], off offset:1536
	v_add_co_u32 v2, s3, 0x1800, v0
	v_add_co_ci_u32_e64 v3, null, 0, v1, s3
	v_add_co_u32 v9, s3, v0, 0x2000
	v_add_co_ci_u32_e64 v10, null, 0, v1, s3
	s_clause 0x3
	global_load_dwordx4 v[77:80], v[9:10], off offset:-2048
	global_load_dwordx4 v[73:76], v[2:3], off offset:512
	global_load_dwordx4 v[69:72], v[2:3], off offset:1024
	global_load_dwordx4 v[65:68], v[2:3], off offset:1536
	v_add_co_u32 v2, s3, 0x2000, v0
	v_add_co_ci_u32_e64 v3, null, 0, v1, s3
	s_clause 0x3
	global_load_dwordx4 v[61:64], v[9:10], off
	global_load_dwordx4 v[57:60], v[2:3], off offset:512
	global_load_dwordx4 v[53:56], v[2:3], off offset:1024
	global_load_dwordx4 v[49:52], v[2:3], off offset:1536
	;; [unrolled: 16-line block ×3, first 2 shown]
	v_add_co_u32 v0, s3, 0x3800, v0
	v_add_co_ci_u32_e64 v1, null, 0, v1, s3
	s_waitcnt vmcnt(0)
	buffer_store_dword v8, off, s[28:31], 0 offset:92 ; 4-byte Folded Spill
	buffer_store_dword v9, off, s[28:31], 0 offset:96 ; 4-byte Folded Spill
	buffer_store_dword v10, off, s[28:31], 0 offset:100 ; 4-byte Folded Spill
	buffer_store_dword v11, off, s[28:31], 0 offset:104 ; 4-byte Folded Spill
	global_load_dwordx4 v[8:11], v[0:1], off
	v_lshrrev_b32_e32 v19, 16, v121
	s_waitcnt vmcnt(0)
	buffer_store_dword v8, off, s[28:31], 0 offset:76 ; 4-byte Folded Spill
	buffer_store_dword v9, off, s[28:31], 0 offset:80 ; 4-byte Folded Spill
	buffer_store_dword v10, off, s[28:31], 0 offset:84 ; 4-byte Folded Spill
	buffer_store_dword v11, off, s[28:31], 0 offset:88 ; 4-byte Folded Spill
	global_load_dwordx4 v[8:11], v[0:1], off offset:512
	s_waitcnt vmcnt(0)
	buffer_store_dword v8, off, s[28:31], 0 offset:60 ; 4-byte Folded Spill
	buffer_store_dword v9, off, s[28:31], 0 offset:64 ; 4-byte Folded Spill
	buffer_store_dword v10, off, s[28:31], 0 offset:68 ; 4-byte Folded Spill
	buffer_store_dword v11, off, s[28:31], 0 offset:72 ; 4-byte Folded Spill
	global_load_dwordx4 v[8:11], v[0:1], off offset:1024
	;; [unrolled: 6-line block ×3, first 2 shown]
	s_waitcnt vmcnt(0)
	buffer_store_dword v0, off, s[28:31], 0 offset:28 ; 4-byte Folded Spill
	buffer_store_dword v1, off, s[28:31], 0 offset:32 ; 4-byte Folded Spill
	;; [unrolled: 1-line block ×4, first 2 shown]
	v_cndmask_b32_e32 v0, 0, v127, vcc_lo
	buffer_store_dword v0, off, s[28:31], 0 offset:24 ; 4-byte Folded Spill
	ds_read_b128 v[0:3], v20
	s_waitcnt lgkmcnt(0)
	v_lshrrev_b32_e32 v8, 16, v0
	v_and_b32_e32 v0, 0xffff, v0
	;;#ASMSTART
	v_cvt_f32_f16 v127, v0;
	;;#ASMEND
	v_lshrrev_b32_e32 v0, 16, v4
	;;#ASMSTART
	v_cvt_f32_f16 v125, v8;
	;;#ASMEND
	v_and_b32_e32 v4, 0xffff, v4
	;;#ASMSTART
	v_cvt_f32_f16 v126, v4;
	;;#ASMEND
	;;#ASMSTART
	v_cvt_f32_f16 v8, v0;
	;;#ASMEND
	v_lshrrev_b32_e32 v0, 16, v1
	v_and_b32_e32 v1, 0xffff, v1
	;;#ASMSTART
	v_cvt_f32_f16 v9, v1;
	;;#ASMEND
	;;#ASMSTART
	v_cvt_f32_f16 v10, v0;
	;;#ASMEND
	v_lshrrev_b32_e32 v0, 16, v5
	;; [unrolled: 8-line block ×6, first 2 shown]
	v_and_b32_e32 v1, 0xffff, v7
	;;#ASMSTART
	v_cvt_f32_f16 v7, v1;
	;;#ASMEND
	;;#ASMSTART
	v_cvt_f32_f16 v18, v0;
	;;#ASMEND
	ds_read_b128 v[2:5], v20 offset:16
	s_waitcnt lgkmcnt(0)
	v_lshrrev_b32_e32 v1, 16, v2
	v_and_b32_e32 v0, 0xffff, v2
	;;#ASMSTART
	v_cvt_f32_f16 v0, v0;
	;;#ASMEND
	;;#ASMSTART
	v_cvt_f32_f16 v1, v1;
	;;#ASMEND
	v_and_b32_e32 v2, 0xffff, v121
	;;#ASMSTART
	v_cvt_f32_f16 v2, v2;
	;;#ASMEND
	;;#ASMSTART
	v_cvt_f32_f16 v19, v19;
	;;#ASMEND
	v_mul_f32_e32 v1, v1, v19
	v_mul_f32_e32 v0, v0, v2
	v_and_b32_e32 v2, 0xffff, v3
	;;#ASMSTART
	v_cvt_f32_f16 v2, v2;
	;;#ASMEND
	v_lshrrev_b32_e32 v19, 16, v122
	v_fmac_f32_e32 v1, v125, v8
	v_lshrrev_b32_e32 v8, 16, v3
	;;#ASMSTART
	v_cvt_f32_f16 v3, v8;
	;;#ASMEND
	v_and_b32_e32 v8, 0xffff, v122
	;;#ASMSTART
	v_cvt_f32_f16 v8, v8;
	;;#ASMEND
	v_mul_f32_e32 v2, v2, v8
	v_lshrrev_b32_e32 v8, 16, v4
	v_and_b32_e32 v4, 0xffff, v4
	;;#ASMSTART
	v_cvt_f32_f16 v19, v19;
	;;#ASMEND
	v_mul_f32_e32 v3, v3, v19
	v_fmac_f32_e32 v2, v9, v12
	v_and_b32_e32 v9, 0xffff, v123
	;;#ASMSTART
	v_cvt_f32_f16 v4, v4;
	;;#ASMEND
	;;#ASMSTART
	v_cvt_f32_f16 v8, v8;
	;;#ASMEND
	;; [unrolled: 3-line block ×3, first 2 shown]
	v_mul_f32_e32 v121, v4, v9
	v_fmac_f32_e32 v3, v10, v11
	v_lshrrev_b32_e32 v10, 16, v123
	v_and_b32_e32 v4, 0xffff, v5
	;;#ASMSTART
	v_cvt_f32_f16 v10, v10;
	;;#ASMEND
	v_fmac_f32_e32 v121, v13, v6
	v_lshrrev_b32_e32 v6, 16, v5
	;;#ASMSTART
	v_cvt_f32_f16 v4, v4;
	;;#ASMEND
	;;#ASMSTART
	v_cvt_f32_f16 v5, v6;
	;;#ASMEND
	v_and_b32_e32 v6, 0xffff, v124
	;;#ASMSTART
	v_cvt_f32_f16 v6, v6;
	;;#ASMEND
	v_mul_f32_e32 v123, v4, v6
	v_mul_f32_e32 v122, v8, v10
	v_lshrrev_b32_e32 v8, 16, v124
	;;#ASMSTART
	v_cvt_f32_f16 v8, v8;
	;;#ASMEND
	v_mul_f32_e32 v124, v5, v8
	v_fmac_f32_e32 v123, v16, v7
	ds_read_b128 v[4:7], v20 offset:32
	v_fmac_f32_e32 v0, v127, v126
	v_fmac_f32_e32 v122, v14, v15
	v_lshrrev_b32_e32 v10, 16, v117
	v_and_b32_e32 v9, 0xffff, v117
	v_fmac_f32_e32 v124, v17, v18
	s_waitcnt lgkmcnt(0)
	v_lshrrev_b32_e32 v8, 16, v4
	v_and_b32_e32 v4, 0xffff, v4
	;;#ASMSTART
	v_cvt_f32_f16 v4, v4;
	;;#ASMEND
	;;#ASMSTART
	v_cvt_f32_f16 v8, v8;
	;;#ASMEND
	;; [unrolled: 3-line block ×4, first 2 shown]
	v_fmac_f32_e32 v0, v4, v9
	v_fmac_f32_e32 v1, v8, v10
	v_lshrrev_b32_e32 v8, 16, v5
	v_and_b32_e32 v4, 0xffff, v5
	;;#ASMSTART
	v_cvt_f32_f16 v4, v4;
	;;#ASMEND
	;;#ASMSTART
	v_cvt_f32_f16 v5, v8;
	;;#ASMEND
	v_lshrrev_b32_e32 v9, 16, v118
	v_and_b32_e32 v8, 0xffff, v118
	;;#ASMSTART
	v_cvt_f32_f16 v8, v8;
	;;#ASMEND
	;;#ASMSTART
	v_cvt_f32_f16 v9, v9;
	;;#ASMEND
	v_fmac_f32_e32 v2, v4, v8
	v_fmac_f32_e32 v3, v5, v9
	v_lshrrev_b32_e32 v5, 16, v6
	v_and_b32_e32 v4, 0xffff, v6
	v_and_b32_e32 v6, 0xffff, v119
	;;#ASMSTART
	v_cvt_f32_f16 v4, v4;
	;;#ASMEND
	;;#ASMSTART
	v_cvt_f32_f16 v5, v5;
	;;#ASMEND
	v_lshrrev_b32_e32 v8, 16, v119
	;;#ASMSTART
	v_cvt_f32_f16 v6, v6;
	;;#ASMEND
	;;#ASMSTART
	v_cvt_f32_f16 v8, v8;
	;;#ASMEND
	v_fmac_f32_e32 v121, v4, v6
	v_fmac_f32_e32 v122, v5, v8
	v_lshrrev_b32_e32 v5, 16, v7
	v_and_b32_e32 v4, 0xffff, v7
	v_lshrrev_b32_e32 v7, 16, v120
	v_and_b32_e32 v6, 0xffff, v120
	;;#ASMSTART
	v_cvt_f32_f16 v4, v4;
	;;#ASMEND
	;;#ASMSTART
	v_cvt_f32_f16 v5, v5;
	;;#ASMEND
	;; [unrolled: 3-line block ×4, first 2 shown]
	v_fmac_f32_e32 v123, v4, v6
	v_fmac_f32_e32 v124, v5, v7
	ds_read_b128 v[4:7], v20 offset:48
	v_lshrrev_b32_e32 v10, 16, v113
	v_and_b32_e32 v9, 0xffff, v113
	s_waitcnt lgkmcnt(0)
	v_lshrrev_b32_e32 v8, 16, v4
	v_and_b32_e32 v4, 0xffff, v4
	;;#ASMSTART
	v_cvt_f32_f16 v4, v4;
	;;#ASMEND
	;;#ASMSTART
	v_cvt_f32_f16 v8, v8;
	;;#ASMEND
	;; [unrolled: 3-line block ×4, first 2 shown]
	v_fmac_f32_e32 v0, v4, v9
	v_fmac_f32_e32 v1, v8, v10
	v_lshrrev_b32_e32 v8, 16, v5
	v_and_b32_e32 v4, 0xffff, v5
	;;#ASMSTART
	v_cvt_f32_f16 v4, v4;
	;;#ASMEND
	;;#ASMSTART
	v_cvt_f32_f16 v5, v8;
	;;#ASMEND
	v_lshrrev_b32_e32 v9, 16, v114
	v_and_b32_e32 v8, 0xffff, v114
	;;#ASMSTART
	v_cvt_f32_f16 v8, v8;
	;;#ASMEND
	;;#ASMSTART
	v_cvt_f32_f16 v9, v9;
	;;#ASMEND
	v_fmac_f32_e32 v2, v4, v8
	v_fmac_f32_e32 v3, v5, v9
	v_lshrrev_b32_e32 v5, 16, v6
	v_and_b32_e32 v4, 0xffff, v6
	v_and_b32_e32 v6, 0xffff, v115
	;;#ASMSTART
	v_cvt_f32_f16 v4, v4;
	;;#ASMEND
	;;#ASMSTART
	v_cvt_f32_f16 v5, v5;
	;;#ASMEND
	v_lshrrev_b32_e32 v8, 16, v115
	;;#ASMSTART
	v_cvt_f32_f16 v6, v6;
	;;#ASMEND
	;;#ASMSTART
	v_cvt_f32_f16 v8, v8;
	;;#ASMEND
	v_fmac_f32_e32 v121, v4, v6
	v_fmac_f32_e32 v122, v5, v8
	v_lshrrev_b32_e32 v5, 16, v7
	v_and_b32_e32 v4, 0xffff, v7
	v_lshrrev_b32_e32 v7, 16, v116
	v_and_b32_e32 v6, 0xffff, v116
	;;#ASMSTART
	v_cvt_f32_f16 v4, v4;
	;;#ASMEND
	;;#ASMSTART
	v_cvt_f32_f16 v5, v5;
	;;#ASMEND
	;; [unrolled: 3-line block ×4, first 2 shown]
	v_fmac_f32_e32 v123, v4, v6
	v_fmac_f32_e32 v124, v5, v7
	ds_read_b128 v[4:7], v20 offset:64
	v_lshrrev_b32_e32 v10, 16, v109
	v_and_b32_e32 v9, 0xffff, v109
	s_waitcnt lgkmcnt(0)
	v_lshrrev_b32_e32 v8, 16, v4
	v_and_b32_e32 v4, 0xffff, v4
	;;#ASMSTART
	v_cvt_f32_f16 v4, v4;
	;;#ASMEND
	;;#ASMSTART
	v_cvt_f32_f16 v8, v8;
	;;#ASMEND
	;; [unrolled: 3-line block ×4, first 2 shown]
	v_fmac_f32_e32 v0, v4, v9
	v_fmac_f32_e32 v1, v8, v10
	v_lshrrev_b32_e32 v8, 16, v5
	v_and_b32_e32 v4, 0xffff, v5
	;;#ASMSTART
	v_cvt_f32_f16 v4, v4;
	;;#ASMEND
	;;#ASMSTART
	v_cvt_f32_f16 v5, v8;
	;;#ASMEND
	v_lshrrev_b32_e32 v9, 16, v110
	v_and_b32_e32 v8, 0xffff, v110
	;;#ASMSTART
	v_cvt_f32_f16 v8, v8;
	;;#ASMEND
	;;#ASMSTART
	v_cvt_f32_f16 v9, v9;
	;;#ASMEND
	v_fmac_f32_e32 v2, v4, v8
	v_fmac_f32_e32 v3, v5, v9
	v_lshrrev_b32_e32 v5, 16, v6
	v_and_b32_e32 v4, 0xffff, v6
	v_and_b32_e32 v6, 0xffff, v111
	;;#ASMSTART
	v_cvt_f32_f16 v4, v4;
	;;#ASMEND
	;;#ASMSTART
	v_cvt_f32_f16 v5, v5;
	;;#ASMEND
	v_lshrrev_b32_e32 v8, 16, v111
	;;#ASMSTART
	v_cvt_f32_f16 v6, v6;
	;;#ASMEND
	;;#ASMSTART
	v_cvt_f32_f16 v8, v8;
	;;#ASMEND
	v_fmac_f32_e32 v121, v4, v6
	v_fmac_f32_e32 v122, v5, v8
	v_lshrrev_b32_e32 v5, 16, v7
	v_and_b32_e32 v4, 0xffff, v7
	v_lshrrev_b32_e32 v7, 16, v112
	v_and_b32_e32 v6, 0xffff, v112
	;;#ASMSTART
	v_cvt_f32_f16 v4, v4;
	;;#ASMEND
	;;#ASMSTART
	v_cvt_f32_f16 v5, v5;
	;;#ASMEND
	;; [unrolled: 3-line block ×4, first 2 shown]
	v_fmac_f32_e32 v123, v4, v6
	v_fmac_f32_e32 v124, v5, v7
	ds_read_b128 v[4:7], v20 offset:80
	v_lshrrev_b32_e32 v10, 16, v105
	v_and_b32_e32 v9, 0xffff, v105
	s_waitcnt lgkmcnt(0)
	v_lshrrev_b32_e32 v8, 16, v4
	v_and_b32_e32 v4, 0xffff, v4
	;;#ASMSTART
	v_cvt_f32_f16 v4, v4;
	;;#ASMEND
	;;#ASMSTART
	v_cvt_f32_f16 v8, v8;
	;;#ASMEND
	;; [unrolled: 3-line block ×4, first 2 shown]
	v_fmac_f32_e32 v0, v4, v9
	v_fmac_f32_e32 v1, v8, v10
	v_lshrrev_b32_e32 v8, 16, v5
	v_and_b32_e32 v4, 0xffff, v5
	;;#ASMSTART
	v_cvt_f32_f16 v4, v4;
	;;#ASMEND
	;;#ASMSTART
	v_cvt_f32_f16 v5, v8;
	;;#ASMEND
	v_lshrrev_b32_e32 v9, 16, v106
	v_and_b32_e32 v8, 0xffff, v106
	;;#ASMSTART
	v_cvt_f32_f16 v8, v8;
	;;#ASMEND
	;;#ASMSTART
	v_cvt_f32_f16 v9, v9;
	;;#ASMEND
	v_fmac_f32_e32 v2, v4, v8
	v_fmac_f32_e32 v3, v5, v9
	v_lshrrev_b32_e32 v5, 16, v6
	v_and_b32_e32 v4, 0xffff, v6
	v_and_b32_e32 v6, 0xffff, v107
	;;#ASMSTART
	v_cvt_f32_f16 v4, v4;
	;;#ASMEND
	;;#ASMSTART
	v_cvt_f32_f16 v5, v5;
	;;#ASMEND
	v_lshrrev_b32_e32 v8, 16, v107
	;;#ASMSTART
	v_cvt_f32_f16 v6, v6;
	;;#ASMEND
	;;#ASMSTART
	v_cvt_f32_f16 v8, v8;
	;;#ASMEND
	v_fmac_f32_e32 v121, v4, v6
	v_fmac_f32_e32 v122, v5, v8
	v_lshrrev_b32_e32 v5, 16, v7
	v_and_b32_e32 v4, 0xffff, v7
	v_lshrrev_b32_e32 v7, 16, v108
	v_and_b32_e32 v6, 0xffff, v108
	;;#ASMSTART
	v_cvt_f32_f16 v4, v4;
	;;#ASMEND
	;;#ASMSTART
	v_cvt_f32_f16 v5, v5;
	;;#ASMEND
	;; [unrolled: 3-line block ×4, first 2 shown]
	v_fmac_f32_e32 v123, v4, v6
	v_fmac_f32_e32 v124, v5, v7
	ds_read_b128 v[4:7], v20 offset:96
	v_lshrrev_b32_e32 v10, 16, v101
	v_and_b32_e32 v9, 0xffff, v101
	s_waitcnt lgkmcnt(0)
	v_lshrrev_b32_e32 v8, 16, v4
	v_and_b32_e32 v4, 0xffff, v4
	;;#ASMSTART
	v_cvt_f32_f16 v4, v4;
	;;#ASMEND
	;;#ASMSTART
	v_cvt_f32_f16 v8, v8;
	;;#ASMEND
	;; [unrolled: 3-line block ×4, first 2 shown]
	v_fmac_f32_e32 v0, v4, v9
	v_fmac_f32_e32 v1, v8, v10
	v_lshrrev_b32_e32 v8, 16, v5
	v_and_b32_e32 v4, 0xffff, v5
	;;#ASMSTART
	v_cvt_f32_f16 v4, v4;
	;;#ASMEND
	;;#ASMSTART
	v_cvt_f32_f16 v5, v8;
	;;#ASMEND
	v_lshrrev_b32_e32 v9, 16, v102
	v_and_b32_e32 v8, 0xffff, v102
	;;#ASMSTART
	v_cvt_f32_f16 v8, v8;
	;;#ASMEND
	;;#ASMSTART
	v_cvt_f32_f16 v9, v9;
	;;#ASMEND
	v_fmac_f32_e32 v2, v4, v8
	v_fmac_f32_e32 v3, v5, v9
	v_lshrrev_b32_e32 v5, 16, v6
	v_and_b32_e32 v4, 0xffff, v6
	v_and_b32_e32 v6, 0xffff, v103
	;;#ASMSTART
	v_cvt_f32_f16 v4, v4;
	;;#ASMEND
	;;#ASMSTART
	v_cvt_f32_f16 v5, v5;
	;;#ASMEND
	v_lshrrev_b32_e32 v8, 16, v103
	;;#ASMSTART
	v_cvt_f32_f16 v6, v6;
	;;#ASMEND
	;;#ASMSTART
	v_cvt_f32_f16 v8, v8;
	;;#ASMEND
	v_fmac_f32_e32 v121, v4, v6
	v_fmac_f32_e32 v122, v5, v8
	v_lshrrev_b32_e32 v5, 16, v7
	v_and_b32_e32 v4, 0xffff, v7
	v_lshrrev_b32_e32 v7, 16, v104
	v_and_b32_e32 v6, 0xffff, v104
	;;#ASMSTART
	v_cvt_f32_f16 v4, v4;
	;;#ASMEND
	;;#ASMSTART
	v_cvt_f32_f16 v5, v5;
	;;#ASMEND
	;; [unrolled: 3-line block ×4, first 2 shown]
	v_fmac_f32_e32 v123, v4, v6
	v_fmac_f32_e32 v124, v5, v7
	ds_read_b128 v[4:7], v20 offset:112
	v_lshrrev_b32_e32 v10, 16, v97
	v_and_b32_e32 v9, 0xffff, v97
	s_waitcnt lgkmcnt(0)
	v_lshrrev_b32_e32 v8, 16, v4
	v_and_b32_e32 v4, 0xffff, v4
	;;#ASMSTART
	v_cvt_f32_f16 v4, v4;
	;;#ASMEND
	;;#ASMSTART
	v_cvt_f32_f16 v8, v8;
	;;#ASMEND
	;;#ASMSTART
	v_cvt_f32_f16 v9, v9;
	;;#ASMEND
	;;#ASMSTART
	v_cvt_f32_f16 v10, v10;
	;;#ASMEND
	v_fmac_f32_e32 v0, v4, v9
	v_fmac_f32_e32 v1, v8, v10
	v_lshrrev_b32_e32 v8, 16, v5
	v_and_b32_e32 v4, 0xffff, v5
	;;#ASMSTART
	v_cvt_f32_f16 v4, v4;
	;;#ASMEND
	;;#ASMSTART
	v_cvt_f32_f16 v5, v8;
	;;#ASMEND
	v_lshrrev_b32_e32 v9, 16, v98
	v_and_b32_e32 v8, 0xffff, v98
	;;#ASMSTART
	v_cvt_f32_f16 v8, v8;
	;;#ASMEND
	;;#ASMSTART
	v_cvt_f32_f16 v9, v9;
	;;#ASMEND
	v_fmac_f32_e32 v2, v4, v8
	v_fmac_f32_e32 v3, v5, v9
	v_lshrrev_b32_e32 v5, 16, v6
	v_and_b32_e32 v4, 0xffff, v6
	v_and_b32_e32 v6, 0xffff, v99
	;;#ASMSTART
	v_cvt_f32_f16 v4, v4;
	;;#ASMEND
	;;#ASMSTART
	v_cvt_f32_f16 v5, v5;
	;;#ASMEND
	v_lshrrev_b32_e32 v8, 16, v99
	;;#ASMSTART
	v_cvt_f32_f16 v6, v6;
	;;#ASMEND
	;;#ASMSTART
	v_cvt_f32_f16 v8, v8;
	;;#ASMEND
	v_fmac_f32_e32 v121, v4, v6
	v_fmac_f32_e32 v122, v5, v8
	v_lshrrev_b32_e32 v5, 16, v7
	v_and_b32_e32 v4, 0xffff, v7
	v_lshrrev_b32_e32 v7, 16, v100
	v_and_b32_e32 v6, 0xffff, v100
	;;#ASMSTART
	v_cvt_f32_f16 v4, v4;
	;;#ASMEND
	;;#ASMSTART
	v_cvt_f32_f16 v5, v5;
	;;#ASMEND
	;; [unrolled: 3-line block ×4, first 2 shown]
	v_fmac_f32_e32 v123, v4, v6
	v_fmac_f32_e32 v124, v5, v7
	ds_read_b128 v[4:7], v20 offset:128
	v_lshrrev_b32_e32 v10, 16, v93
	v_and_b32_e32 v9, 0xffff, v93
	s_waitcnt lgkmcnt(0)
	v_lshrrev_b32_e32 v8, 16, v4
	v_and_b32_e32 v4, 0xffff, v4
	;;#ASMSTART
	v_cvt_f32_f16 v4, v4;
	;;#ASMEND
	;;#ASMSTART
	v_cvt_f32_f16 v8, v8;
	;;#ASMEND
	;; [unrolled: 3-line block ×4, first 2 shown]
	v_fmac_f32_e32 v0, v4, v9
	v_fmac_f32_e32 v1, v8, v10
	v_lshrrev_b32_e32 v8, 16, v5
	v_and_b32_e32 v4, 0xffff, v5
	;;#ASMSTART
	v_cvt_f32_f16 v4, v4;
	;;#ASMEND
	;;#ASMSTART
	v_cvt_f32_f16 v5, v8;
	;;#ASMEND
	v_lshrrev_b32_e32 v9, 16, v94
	v_and_b32_e32 v8, 0xffff, v94
	;;#ASMSTART
	v_cvt_f32_f16 v8, v8;
	;;#ASMEND
	;;#ASMSTART
	v_cvt_f32_f16 v9, v9;
	;;#ASMEND
	v_fmac_f32_e32 v2, v4, v8
	v_fmac_f32_e32 v3, v5, v9
	v_lshrrev_b32_e32 v5, 16, v6
	v_and_b32_e32 v4, 0xffff, v6
	v_and_b32_e32 v6, 0xffff, v95
	;;#ASMSTART
	v_cvt_f32_f16 v4, v4;
	;;#ASMEND
	;;#ASMSTART
	v_cvt_f32_f16 v5, v5;
	;;#ASMEND
	v_lshrrev_b32_e32 v8, 16, v95
	;;#ASMSTART
	v_cvt_f32_f16 v6, v6;
	;;#ASMEND
	;;#ASMSTART
	v_cvt_f32_f16 v8, v8;
	;;#ASMEND
	v_fmac_f32_e32 v121, v4, v6
	v_fmac_f32_e32 v122, v5, v8
	v_lshrrev_b32_e32 v5, 16, v7
	v_and_b32_e32 v4, 0xffff, v7
	v_lshrrev_b32_e32 v7, 16, v96
	v_and_b32_e32 v6, 0xffff, v96
	;;#ASMSTART
	v_cvt_f32_f16 v4, v4;
	;;#ASMEND
	;;#ASMSTART
	v_cvt_f32_f16 v5, v5;
	;;#ASMEND
	;; [unrolled: 3-line block ×4, first 2 shown]
	v_fmac_f32_e32 v123, v4, v6
	v_fmac_f32_e32 v124, v5, v7
	ds_read_b128 v[4:7], v20 offset:144
	v_lshrrev_b32_e32 v10, 16, v89
	v_and_b32_e32 v9, 0xffff, v89
	s_waitcnt lgkmcnt(0)
	v_lshrrev_b32_e32 v8, 16, v4
	v_and_b32_e32 v4, 0xffff, v4
	;;#ASMSTART
	v_cvt_f32_f16 v4, v4;
	;;#ASMEND
	;;#ASMSTART
	v_cvt_f32_f16 v8, v8;
	;;#ASMEND
	;;#ASMSTART
	v_cvt_f32_f16 v9, v9;
	;;#ASMEND
	;;#ASMSTART
	v_cvt_f32_f16 v10, v10;
	;;#ASMEND
	v_fmac_f32_e32 v0, v4, v9
	v_fmac_f32_e32 v1, v8, v10
	v_lshrrev_b32_e32 v8, 16, v5
	v_and_b32_e32 v4, 0xffff, v5
	;;#ASMSTART
	v_cvt_f32_f16 v4, v4;
	;;#ASMEND
	;;#ASMSTART
	v_cvt_f32_f16 v5, v8;
	;;#ASMEND
	v_lshrrev_b32_e32 v9, 16, v90
	v_and_b32_e32 v8, 0xffff, v90
	;;#ASMSTART
	v_cvt_f32_f16 v8, v8;
	;;#ASMEND
	;;#ASMSTART
	v_cvt_f32_f16 v9, v9;
	;;#ASMEND
	v_fmac_f32_e32 v2, v4, v8
	v_fmac_f32_e32 v3, v5, v9
	v_lshrrev_b32_e32 v5, 16, v6
	v_and_b32_e32 v4, 0xffff, v6
	v_and_b32_e32 v6, 0xffff, v91
	;;#ASMSTART
	v_cvt_f32_f16 v4, v4;
	;;#ASMEND
	;;#ASMSTART
	v_cvt_f32_f16 v5, v5;
	;;#ASMEND
	v_lshrrev_b32_e32 v8, 16, v91
	;;#ASMSTART
	v_cvt_f32_f16 v6, v6;
	;;#ASMEND
	;;#ASMSTART
	v_cvt_f32_f16 v8, v8;
	;;#ASMEND
	v_fmac_f32_e32 v121, v4, v6
	v_fmac_f32_e32 v122, v5, v8
	v_lshrrev_b32_e32 v5, 16, v7
	v_and_b32_e32 v4, 0xffff, v7
	v_lshrrev_b32_e32 v7, 16, v92
	v_and_b32_e32 v6, 0xffff, v92
	;;#ASMSTART
	v_cvt_f32_f16 v4, v4;
	;;#ASMEND
	;;#ASMSTART
	v_cvt_f32_f16 v5, v5;
	;;#ASMEND
	;; [unrolled: 3-line block ×4, first 2 shown]
	v_fmac_f32_e32 v123, v4, v6
	v_fmac_f32_e32 v124, v5, v7
	ds_read_b128 v[4:7], v20 offset:160
	v_lshrrev_b32_e32 v10, 16, v85
	v_and_b32_e32 v9, 0xffff, v85
	s_waitcnt lgkmcnt(0)
	v_lshrrev_b32_e32 v8, 16, v4
	v_and_b32_e32 v4, 0xffff, v4
	;;#ASMSTART
	v_cvt_f32_f16 v4, v4;
	;;#ASMEND
	;;#ASMSTART
	v_cvt_f32_f16 v8, v8;
	;;#ASMEND
	;; [unrolled: 3-line block ×4, first 2 shown]
	v_fmac_f32_e32 v0, v4, v9
	v_fmac_f32_e32 v1, v8, v10
	v_lshrrev_b32_e32 v8, 16, v5
	v_and_b32_e32 v4, 0xffff, v5
	;;#ASMSTART
	v_cvt_f32_f16 v4, v4;
	;;#ASMEND
	;;#ASMSTART
	v_cvt_f32_f16 v5, v8;
	;;#ASMEND
	v_lshrrev_b32_e32 v9, 16, v86
	v_and_b32_e32 v8, 0xffff, v86
	;;#ASMSTART
	v_cvt_f32_f16 v8, v8;
	;;#ASMEND
	;;#ASMSTART
	v_cvt_f32_f16 v9, v9;
	;;#ASMEND
	v_fmac_f32_e32 v2, v4, v8
	v_fmac_f32_e32 v3, v5, v9
	v_lshrrev_b32_e32 v5, 16, v6
	v_and_b32_e32 v4, 0xffff, v6
	v_and_b32_e32 v6, 0xffff, v87
	;;#ASMSTART
	v_cvt_f32_f16 v4, v4;
	;;#ASMEND
	;;#ASMSTART
	v_cvt_f32_f16 v5, v5;
	;;#ASMEND
	v_lshrrev_b32_e32 v8, 16, v87
	;;#ASMSTART
	v_cvt_f32_f16 v6, v6;
	;;#ASMEND
	;;#ASMSTART
	v_cvt_f32_f16 v8, v8;
	;;#ASMEND
	v_fmac_f32_e32 v121, v4, v6
	v_fmac_f32_e32 v122, v5, v8
	v_lshrrev_b32_e32 v5, 16, v7
	v_and_b32_e32 v4, 0xffff, v7
	v_lshrrev_b32_e32 v7, 16, v88
	v_and_b32_e32 v6, 0xffff, v88
	;;#ASMSTART
	v_cvt_f32_f16 v4, v4;
	;;#ASMEND
	;;#ASMSTART
	v_cvt_f32_f16 v5, v5;
	;;#ASMEND
	;; [unrolled: 3-line block ×4, first 2 shown]
	v_fmac_f32_e32 v123, v4, v6
	v_fmac_f32_e32 v124, v5, v7
	ds_read_b128 v[4:7], v20 offset:176
	v_lshrrev_b32_e32 v10, 16, v81
	v_and_b32_e32 v9, 0xffff, v81
	s_waitcnt lgkmcnt(0)
	v_lshrrev_b32_e32 v8, 16, v4
	v_and_b32_e32 v4, 0xffff, v4
	;;#ASMSTART
	v_cvt_f32_f16 v4, v4;
	;;#ASMEND
	;;#ASMSTART
	v_cvt_f32_f16 v8, v8;
	;;#ASMEND
	;; [unrolled: 3-line block ×4, first 2 shown]
	v_fmac_f32_e32 v0, v4, v9
	v_fmac_f32_e32 v1, v8, v10
	v_lshrrev_b32_e32 v8, 16, v5
	v_and_b32_e32 v4, 0xffff, v5
	;;#ASMSTART
	v_cvt_f32_f16 v4, v4;
	;;#ASMEND
	;;#ASMSTART
	v_cvt_f32_f16 v5, v8;
	;;#ASMEND
	v_lshrrev_b32_e32 v9, 16, v82
	v_and_b32_e32 v8, 0xffff, v82
	;;#ASMSTART
	v_cvt_f32_f16 v8, v8;
	;;#ASMEND
	;;#ASMSTART
	v_cvt_f32_f16 v9, v9;
	;;#ASMEND
	v_fmac_f32_e32 v2, v4, v8
	v_fmac_f32_e32 v3, v5, v9
	v_lshrrev_b32_e32 v5, 16, v6
	v_and_b32_e32 v4, 0xffff, v6
	v_and_b32_e32 v6, 0xffff, v83
	;;#ASMSTART
	v_cvt_f32_f16 v4, v4;
	;;#ASMEND
	;;#ASMSTART
	v_cvt_f32_f16 v5, v5;
	;;#ASMEND
	v_lshrrev_b32_e32 v8, 16, v83
	;;#ASMSTART
	v_cvt_f32_f16 v6, v6;
	;;#ASMEND
	;;#ASMSTART
	v_cvt_f32_f16 v8, v8;
	;;#ASMEND
	v_fmac_f32_e32 v121, v4, v6
	v_fmac_f32_e32 v122, v5, v8
	v_lshrrev_b32_e32 v5, 16, v7
	v_and_b32_e32 v4, 0xffff, v7
	v_lshrrev_b32_e32 v7, 16, v84
	v_and_b32_e32 v6, 0xffff, v84
	;;#ASMSTART
	v_cvt_f32_f16 v4, v4;
	;;#ASMEND
	;;#ASMSTART
	v_cvt_f32_f16 v5, v5;
	;;#ASMEND
	;; [unrolled: 3-line block ×4, first 2 shown]
	v_fmac_f32_e32 v123, v4, v6
	v_fmac_f32_e32 v124, v5, v7
	ds_read_b128 v[4:7], v20 offset:192
	v_lshrrev_b32_e32 v10, 16, v77
	v_and_b32_e32 v9, 0xffff, v77
	s_waitcnt lgkmcnt(0)
	v_lshrrev_b32_e32 v8, 16, v4
	v_and_b32_e32 v4, 0xffff, v4
	;;#ASMSTART
	v_cvt_f32_f16 v4, v4;
	;;#ASMEND
	;;#ASMSTART
	v_cvt_f32_f16 v8, v8;
	;;#ASMEND
	;;#ASMSTART
	v_cvt_f32_f16 v9, v9;
	;;#ASMEND
	;;#ASMSTART
	v_cvt_f32_f16 v10, v10;
	;;#ASMEND
	v_fmac_f32_e32 v0, v4, v9
	v_fmac_f32_e32 v1, v8, v10
	v_lshrrev_b32_e32 v8, 16, v5
	v_and_b32_e32 v4, 0xffff, v5
	;;#ASMSTART
	v_cvt_f32_f16 v4, v4;
	;;#ASMEND
	;;#ASMSTART
	v_cvt_f32_f16 v5, v8;
	;;#ASMEND
	v_lshrrev_b32_e32 v9, 16, v78
	v_and_b32_e32 v8, 0xffff, v78
	;;#ASMSTART
	v_cvt_f32_f16 v8, v8;
	;;#ASMEND
	;;#ASMSTART
	v_cvt_f32_f16 v9, v9;
	;;#ASMEND
	v_fmac_f32_e32 v2, v4, v8
	v_fmac_f32_e32 v3, v5, v9
	v_lshrrev_b32_e32 v5, 16, v6
	v_and_b32_e32 v4, 0xffff, v6
	v_and_b32_e32 v6, 0xffff, v79
	;;#ASMSTART
	v_cvt_f32_f16 v4, v4;
	;;#ASMEND
	;;#ASMSTART
	v_cvt_f32_f16 v5, v5;
	;;#ASMEND
	v_lshrrev_b32_e32 v8, 16, v79
	;;#ASMSTART
	v_cvt_f32_f16 v6, v6;
	;;#ASMEND
	;;#ASMSTART
	v_cvt_f32_f16 v8, v8;
	;;#ASMEND
	v_fmac_f32_e32 v121, v4, v6
	v_fmac_f32_e32 v122, v5, v8
	v_lshrrev_b32_e32 v5, 16, v7
	v_and_b32_e32 v4, 0xffff, v7
	v_lshrrev_b32_e32 v7, 16, v80
	v_and_b32_e32 v6, 0xffff, v80
	;;#ASMSTART
	v_cvt_f32_f16 v4, v4;
	;;#ASMEND
	;;#ASMSTART
	v_cvt_f32_f16 v5, v5;
	;;#ASMEND
	;; [unrolled: 3-line block ×4, first 2 shown]
	v_fmac_f32_e32 v123, v4, v6
	v_fmac_f32_e32 v124, v5, v7
	ds_read_b128 v[4:7], v20 offset:208
	v_lshrrev_b32_e32 v10, 16, v73
	v_and_b32_e32 v9, 0xffff, v73
	s_waitcnt lgkmcnt(0)
	v_lshrrev_b32_e32 v8, 16, v4
	v_and_b32_e32 v4, 0xffff, v4
	;;#ASMSTART
	v_cvt_f32_f16 v4, v4;
	;;#ASMEND
	;;#ASMSTART
	v_cvt_f32_f16 v8, v8;
	;;#ASMEND
	;; [unrolled: 3-line block ×4, first 2 shown]
	v_fmac_f32_e32 v0, v4, v9
	v_fmac_f32_e32 v1, v8, v10
	v_lshrrev_b32_e32 v8, 16, v5
	v_and_b32_e32 v4, 0xffff, v5
	;;#ASMSTART
	v_cvt_f32_f16 v4, v4;
	;;#ASMEND
	;;#ASMSTART
	v_cvt_f32_f16 v5, v8;
	;;#ASMEND
	v_lshrrev_b32_e32 v9, 16, v74
	v_and_b32_e32 v8, 0xffff, v74
	;;#ASMSTART
	v_cvt_f32_f16 v8, v8;
	;;#ASMEND
	;;#ASMSTART
	v_cvt_f32_f16 v9, v9;
	;;#ASMEND
	v_fmac_f32_e32 v2, v4, v8
	v_fmac_f32_e32 v3, v5, v9
	v_lshrrev_b32_e32 v5, 16, v6
	v_and_b32_e32 v4, 0xffff, v6
	v_and_b32_e32 v6, 0xffff, v75
	;;#ASMSTART
	v_cvt_f32_f16 v4, v4;
	;;#ASMEND
	;;#ASMSTART
	v_cvt_f32_f16 v5, v5;
	;;#ASMEND
	v_lshrrev_b32_e32 v8, 16, v75
	;;#ASMSTART
	v_cvt_f32_f16 v6, v6;
	;;#ASMEND
	;;#ASMSTART
	v_cvt_f32_f16 v8, v8;
	;;#ASMEND
	v_fmac_f32_e32 v121, v4, v6
	v_fmac_f32_e32 v122, v5, v8
	v_lshrrev_b32_e32 v5, 16, v7
	v_and_b32_e32 v4, 0xffff, v7
	v_lshrrev_b32_e32 v7, 16, v76
	v_and_b32_e32 v6, 0xffff, v76
	;;#ASMSTART
	v_cvt_f32_f16 v4, v4;
	;;#ASMEND
	;;#ASMSTART
	v_cvt_f32_f16 v5, v5;
	;;#ASMEND
	;; [unrolled: 3-line block ×4, first 2 shown]
	v_fmac_f32_e32 v123, v4, v6
	v_fmac_f32_e32 v124, v5, v7
	ds_read_b128 v[4:7], v20 offset:224
	v_lshrrev_b32_e32 v10, 16, v69
	v_and_b32_e32 v9, 0xffff, v69
	s_waitcnt lgkmcnt(0)
	v_lshrrev_b32_e32 v8, 16, v4
	v_and_b32_e32 v4, 0xffff, v4
	;;#ASMSTART
	v_cvt_f32_f16 v4, v4;
	;;#ASMEND
	;;#ASMSTART
	v_cvt_f32_f16 v8, v8;
	;;#ASMEND
	;; [unrolled: 3-line block ×4, first 2 shown]
	v_fmac_f32_e32 v0, v4, v9
	v_fmac_f32_e32 v1, v8, v10
	v_lshrrev_b32_e32 v8, 16, v5
	v_and_b32_e32 v4, 0xffff, v5
	;;#ASMSTART
	v_cvt_f32_f16 v4, v4;
	;;#ASMEND
	;;#ASMSTART
	v_cvt_f32_f16 v5, v8;
	;;#ASMEND
	v_lshrrev_b32_e32 v9, 16, v70
	v_and_b32_e32 v8, 0xffff, v70
	;;#ASMSTART
	v_cvt_f32_f16 v8, v8;
	;;#ASMEND
	;;#ASMSTART
	v_cvt_f32_f16 v9, v9;
	;;#ASMEND
	v_fmac_f32_e32 v2, v4, v8
	v_fmac_f32_e32 v3, v5, v9
	v_lshrrev_b32_e32 v5, 16, v6
	v_and_b32_e32 v4, 0xffff, v6
	v_and_b32_e32 v6, 0xffff, v71
	;;#ASMSTART
	v_cvt_f32_f16 v4, v4;
	;;#ASMEND
	;;#ASMSTART
	v_cvt_f32_f16 v5, v5;
	;;#ASMEND
	v_lshrrev_b32_e32 v8, 16, v71
	;;#ASMSTART
	v_cvt_f32_f16 v6, v6;
	;;#ASMEND
	;;#ASMSTART
	v_cvt_f32_f16 v8, v8;
	;;#ASMEND
	v_fmac_f32_e32 v121, v4, v6
	v_fmac_f32_e32 v122, v5, v8
	v_lshrrev_b32_e32 v5, 16, v7
	v_and_b32_e32 v4, 0xffff, v7
	v_lshrrev_b32_e32 v7, 16, v72
	v_and_b32_e32 v6, 0xffff, v72
	;;#ASMSTART
	v_cvt_f32_f16 v4, v4;
	;;#ASMEND
	;;#ASMSTART
	v_cvt_f32_f16 v5, v5;
	;;#ASMEND
	;; [unrolled: 3-line block ×4, first 2 shown]
	v_fmac_f32_e32 v123, v4, v6
	v_fmac_f32_e32 v124, v5, v7
	ds_read_b128 v[4:7], v20 offset:240
	v_lshrrev_b32_e32 v10, 16, v65
	v_and_b32_e32 v9, 0xffff, v65
	s_waitcnt lgkmcnt(0)
	v_lshrrev_b32_e32 v8, 16, v4
	v_and_b32_e32 v4, 0xffff, v4
	;;#ASMSTART
	v_cvt_f32_f16 v4, v4;
	;;#ASMEND
	;;#ASMSTART
	v_cvt_f32_f16 v8, v8;
	;;#ASMEND
	;; [unrolled: 3-line block ×4, first 2 shown]
	v_fmac_f32_e32 v0, v4, v9
	v_fmac_f32_e32 v1, v8, v10
	v_lshrrev_b32_e32 v8, 16, v5
	v_and_b32_e32 v4, 0xffff, v5
	;;#ASMSTART
	v_cvt_f32_f16 v4, v4;
	;;#ASMEND
	;;#ASMSTART
	v_cvt_f32_f16 v5, v8;
	;;#ASMEND
	v_lshrrev_b32_e32 v9, 16, v66
	v_and_b32_e32 v8, 0xffff, v66
	;;#ASMSTART
	v_cvt_f32_f16 v8, v8;
	;;#ASMEND
	;;#ASMSTART
	v_cvt_f32_f16 v9, v9;
	;;#ASMEND
	v_fmac_f32_e32 v2, v4, v8
	v_fmac_f32_e32 v3, v5, v9
	v_lshrrev_b32_e32 v5, 16, v6
	v_and_b32_e32 v4, 0xffff, v6
	v_and_b32_e32 v6, 0xffff, v67
	;;#ASMSTART
	v_cvt_f32_f16 v4, v4;
	;;#ASMEND
	;;#ASMSTART
	v_cvt_f32_f16 v5, v5;
	;;#ASMEND
	v_lshrrev_b32_e32 v8, 16, v67
	;;#ASMSTART
	v_cvt_f32_f16 v6, v6;
	;;#ASMEND
	;;#ASMSTART
	v_cvt_f32_f16 v8, v8;
	;;#ASMEND
	v_fmac_f32_e32 v121, v4, v6
	v_fmac_f32_e32 v122, v5, v8
	v_lshrrev_b32_e32 v5, 16, v7
	v_and_b32_e32 v4, 0xffff, v7
	v_lshrrev_b32_e32 v7, 16, v68
	v_and_b32_e32 v6, 0xffff, v68
	;;#ASMSTART
	v_cvt_f32_f16 v4, v4;
	;;#ASMEND
	;;#ASMSTART
	v_cvt_f32_f16 v5, v5;
	;;#ASMEND
	;; [unrolled: 3-line block ×4, first 2 shown]
	v_fmac_f32_e32 v123, v4, v6
	v_fmac_f32_e32 v124, v5, v7
	ds_read_b128 v[4:7], v20 offset:256
	v_lshrrev_b32_e32 v10, 16, v61
	v_and_b32_e32 v9, 0xffff, v61
	s_waitcnt lgkmcnt(0)
	v_lshrrev_b32_e32 v8, 16, v4
	v_and_b32_e32 v4, 0xffff, v4
	;;#ASMSTART
	v_cvt_f32_f16 v4, v4;
	;;#ASMEND
	;;#ASMSTART
	v_cvt_f32_f16 v8, v8;
	;;#ASMEND
	;; [unrolled: 3-line block ×4, first 2 shown]
	v_fmac_f32_e32 v0, v4, v9
	v_fmac_f32_e32 v1, v8, v10
	v_lshrrev_b32_e32 v8, 16, v5
	v_and_b32_e32 v4, 0xffff, v5
	;;#ASMSTART
	v_cvt_f32_f16 v4, v4;
	;;#ASMEND
	;;#ASMSTART
	v_cvt_f32_f16 v5, v8;
	;;#ASMEND
	v_lshrrev_b32_e32 v9, 16, v62
	v_and_b32_e32 v8, 0xffff, v62
	;;#ASMSTART
	v_cvt_f32_f16 v8, v8;
	;;#ASMEND
	;;#ASMSTART
	v_cvt_f32_f16 v9, v9;
	;;#ASMEND
	v_fmac_f32_e32 v2, v4, v8
	v_fmac_f32_e32 v3, v5, v9
	v_lshrrev_b32_e32 v5, 16, v6
	v_and_b32_e32 v4, 0xffff, v6
	v_and_b32_e32 v6, 0xffff, v63
	;;#ASMSTART
	v_cvt_f32_f16 v4, v4;
	;;#ASMEND
	;;#ASMSTART
	v_cvt_f32_f16 v5, v5;
	;;#ASMEND
	v_lshrrev_b32_e32 v8, 16, v63
	;;#ASMSTART
	v_cvt_f32_f16 v6, v6;
	;;#ASMEND
	;;#ASMSTART
	v_cvt_f32_f16 v8, v8;
	;;#ASMEND
	v_fmac_f32_e32 v121, v4, v6
	v_fmac_f32_e32 v122, v5, v8
	v_lshrrev_b32_e32 v5, 16, v7
	v_and_b32_e32 v4, 0xffff, v7
	v_lshrrev_b32_e32 v7, 16, v64
	v_and_b32_e32 v6, 0xffff, v64
	;;#ASMSTART
	v_cvt_f32_f16 v4, v4;
	;;#ASMEND
	;;#ASMSTART
	v_cvt_f32_f16 v5, v5;
	;;#ASMEND
	;; [unrolled: 3-line block ×4, first 2 shown]
	v_fmac_f32_e32 v123, v4, v6
	v_fmac_f32_e32 v124, v5, v7
	ds_read_b128 v[4:7], v20 offset:272
	v_lshrrev_b32_e32 v10, 16, v57
	v_and_b32_e32 v9, 0xffff, v57
	s_waitcnt lgkmcnt(0)
	v_lshrrev_b32_e32 v8, 16, v4
	v_and_b32_e32 v4, 0xffff, v4
	;;#ASMSTART
	v_cvt_f32_f16 v4, v4;
	;;#ASMEND
	;;#ASMSTART
	v_cvt_f32_f16 v8, v8;
	;;#ASMEND
	;;#ASMSTART
	v_cvt_f32_f16 v9, v9;
	;;#ASMEND
	;;#ASMSTART
	v_cvt_f32_f16 v10, v10;
	;;#ASMEND
	v_fmac_f32_e32 v0, v4, v9
	v_fmac_f32_e32 v1, v8, v10
	v_lshrrev_b32_e32 v8, 16, v5
	v_and_b32_e32 v4, 0xffff, v5
	;;#ASMSTART
	v_cvt_f32_f16 v4, v4;
	;;#ASMEND
	;;#ASMSTART
	v_cvt_f32_f16 v5, v8;
	;;#ASMEND
	v_lshrrev_b32_e32 v9, 16, v58
	v_and_b32_e32 v8, 0xffff, v58
	;;#ASMSTART
	v_cvt_f32_f16 v8, v8;
	;;#ASMEND
	;;#ASMSTART
	v_cvt_f32_f16 v9, v9;
	;;#ASMEND
	v_fmac_f32_e32 v2, v4, v8
	v_fmac_f32_e32 v3, v5, v9
	v_lshrrev_b32_e32 v5, 16, v6
	v_and_b32_e32 v4, 0xffff, v6
	v_and_b32_e32 v6, 0xffff, v59
	;;#ASMSTART
	v_cvt_f32_f16 v4, v4;
	;;#ASMEND
	;;#ASMSTART
	v_cvt_f32_f16 v5, v5;
	;;#ASMEND
	v_lshrrev_b32_e32 v8, 16, v59
	;;#ASMSTART
	v_cvt_f32_f16 v6, v6;
	;;#ASMEND
	;;#ASMSTART
	v_cvt_f32_f16 v8, v8;
	;;#ASMEND
	v_fmac_f32_e32 v121, v4, v6
	v_fmac_f32_e32 v122, v5, v8
	v_lshrrev_b32_e32 v5, 16, v7
	v_and_b32_e32 v4, 0xffff, v7
	v_lshrrev_b32_e32 v7, 16, v60
	v_and_b32_e32 v6, 0xffff, v60
	;;#ASMSTART
	v_cvt_f32_f16 v4, v4;
	;;#ASMEND
	;;#ASMSTART
	v_cvt_f32_f16 v5, v5;
	;;#ASMEND
	;; [unrolled: 3-line block ×4, first 2 shown]
	v_fmac_f32_e32 v123, v4, v6
	v_fmac_f32_e32 v124, v5, v7
	ds_read_b128 v[4:7], v20 offset:288
	v_lshrrev_b32_e32 v10, 16, v53
	v_and_b32_e32 v9, 0xffff, v53
	s_waitcnt lgkmcnt(0)
	v_lshrrev_b32_e32 v8, 16, v4
	v_and_b32_e32 v4, 0xffff, v4
	;;#ASMSTART
	v_cvt_f32_f16 v4, v4;
	;;#ASMEND
	;;#ASMSTART
	v_cvt_f32_f16 v8, v8;
	;;#ASMEND
	;; [unrolled: 3-line block ×4, first 2 shown]
	v_fmac_f32_e32 v0, v4, v9
	v_fmac_f32_e32 v1, v8, v10
	v_lshrrev_b32_e32 v8, 16, v5
	v_and_b32_e32 v4, 0xffff, v5
	;;#ASMSTART
	v_cvt_f32_f16 v4, v4;
	;;#ASMEND
	;;#ASMSTART
	v_cvt_f32_f16 v5, v8;
	;;#ASMEND
	v_lshrrev_b32_e32 v9, 16, v54
	v_and_b32_e32 v8, 0xffff, v54
	;;#ASMSTART
	v_cvt_f32_f16 v8, v8;
	;;#ASMEND
	;;#ASMSTART
	v_cvt_f32_f16 v9, v9;
	;;#ASMEND
	v_fmac_f32_e32 v2, v4, v8
	v_fmac_f32_e32 v3, v5, v9
	v_lshrrev_b32_e32 v5, 16, v6
	v_and_b32_e32 v4, 0xffff, v6
	v_and_b32_e32 v6, 0xffff, v55
	;;#ASMSTART
	v_cvt_f32_f16 v4, v4;
	;;#ASMEND
	;;#ASMSTART
	v_cvt_f32_f16 v5, v5;
	;;#ASMEND
	v_lshrrev_b32_e32 v8, 16, v55
	;;#ASMSTART
	v_cvt_f32_f16 v6, v6;
	;;#ASMEND
	;;#ASMSTART
	v_cvt_f32_f16 v8, v8;
	;;#ASMEND
	v_fmac_f32_e32 v121, v4, v6
	v_fmac_f32_e32 v122, v5, v8
	v_lshrrev_b32_e32 v5, 16, v7
	v_and_b32_e32 v4, 0xffff, v7
	v_lshrrev_b32_e32 v7, 16, v56
	v_and_b32_e32 v6, 0xffff, v56
	;;#ASMSTART
	v_cvt_f32_f16 v4, v4;
	;;#ASMEND
	;;#ASMSTART
	v_cvt_f32_f16 v5, v5;
	;;#ASMEND
	;; [unrolled: 3-line block ×4, first 2 shown]
	v_fmac_f32_e32 v123, v4, v6
	v_fmac_f32_e32 v124, v5, v7
	ds_read_b128 v[4:7], v20 offset:304
	v_lshrrev_b32_e32 v10, 16, v49
	v_and_b32_e32 v9, 0xffff, v49
	s_waitcnt lgkmcnt(0)
	v_lshrrev_b32_e32 v8, 16, v4
	v_and_b32_e32 v4, 0xffff, v4
	;;#ASMSTART
	v_cvt_f32_f16 v4, v4;
	;;#ASMEND
	;;#ASMSTART
	v_cvt_f32_f16 v8, v8;
	;;#ASMEND
	;; [unrolled: 3-line block ×4, first 2 shown]
	v_fmac_f32_e32 v0, v4, v9
	v_fmac_f32_e32 v1, v8, v10
	v_lshrrev_b32_e32 v8, 16, v5
	v_and_b32_e32 v4, 0xffff, v5
	;;#ASMSTART
	v_cvt_f32_f16 v4, v4;
	;;#ASMEND
	;;#ASMSTART
	v_cvt_f32_f16 v5, v8;
	;;#ASMEND
	v_lshrrev_b32_e32 v9, 16, v50
	v_and_b32_e32 v8, 0xffff, v50
	;;#ASMSTART
	v_cvt_f32_f16 v8, v8;
	;;#ASMEND
	;;#ASMSTART
	v_cvt_f32_f16 v9, v9;
	;;#ASMEND
	v_fmac_f32_e32 v2, v4, v8
	v_fmac_f32_e32 v3, v5, v9
	v_lshrrev_b32_e32 v5, 16, v6
	v_and_b32_e32 v4, 0xffff, v6
	v_and_b32_e32 v6, 0xffff, v51
	;;#ASMSTART
	v_cvt_f32_f16 v4, v4;
	;;#ASMEND
	;;#ASMSTART
	v_cvt_f32_f16 v5, v5;
	;;#ASMEND
	v_lshrrev_b32_e32 v8, 16, v51
	;;#ASMSTART
	v_cvt_f32_f16 v6, v6;
	;;#ASMEND
	;;#ASMSTART
	v_cvt_f32_f16 v8, v8;
	;;#ASMEND
	v_fmac_f32_e32 v121, v4, v6
	v_fmac_f32_e32 v122, v5, v8
	v_lshrrev_b32_e32 v5, 16, v7
	v_and_b32_e32 v4, 0xffff, v7
	v_lshrrev_b32_e32 v7, 16, v52
	v_and_b32_e32 v6, 0xffff, v52
	;;#ASMSTART
	v_cvt_f32_f16 v4, v4;
	;;#ASMEND
	;;#ASMSTART
	v_cvt_f32_f16 v5, v5;
	;;#ASMEND
	;; [unrolled: 3-line block ×4, first 2 shown]
	v_fmac_f32_e32 v123, v4, v6
	v_fmac_f32_e32 v124, v5, v7
	ds_read_b128 v[4:7], v20 offset:320
	v_lshrrev_b32_e32 v10, 16, v45
	v_and_b32_e32 v9, 0xffff, v45
	s_waitcnt lgkmcnt(0)
	v_lshrrev_b32_e32 v8, 16, v4
	v_and_b32_e32 v4, 0xffff, v4
	;;#ASMSTART
	v_cvt_f32_f16 v4, v4;
	;;#ASMEND
	;;#ASMSTART
	v_cvt_f32_f16 v8, v8;
	;;#ASMEND
	;; [unrolled: 3-line block ×4, first 2 shown]
	v_fmac_f32_e32 v0, v4, v9
	v_fmac_f32_e32 v1, v8, v10
	v_lshrrev_b32_e32 v8, 16, v5
	v_and_b32_e32 v4, 0xffff, v5
	;;#ASMSTART
	v_cvt_f32_f16 v4, v4;
	;;#ASMEND
	;;#ASMSTART
	v_cvt_f32_f16 v5, v8;
	;;#ASMEND
	v_lshrrev_b32_e32 v9, 16, v46
	v_and_b32_e32 v8, 0xffff, v46
	;;#ASMSTART
	v_cvt_f32_f16 v8, v8;
	;;#ASMEND
	;;#ASMSTART
	v_cvt_f32_f16 v9, v9;
	;;#ASMEND
	v_fmac_f32_e32 v2, v4, v8
	v_fmac_f32_e32 v3, v5, v9
	v_lshrrev_b32_e32 v5, 16, v6
	v_and_b32_e32 v4, 0xffff, v6
	v_and_b32_e32 v6, 0xffff, v47
	;;#ASMSTART
	v_cvt_f32_f16 v4, v4;
	;;#ASMEND
	;;#ASMSTART
	v_cvt_f32_f16 v5, v5;
	;;#ASMEND
	v_lshrrev_b32_e32 v8, 16, v47
	;;#ASMSTART
	v_cvt_f32_f16 v6, v6;
	;;#ASMEND
	;;#ASMSTART
	v_cvt_f32_f16 v8, v8;
	;;#ASMEND
	v_fmac_f32_e32 v121, v4, v6
	v_fmac_f32_e32 v122, v5, v8
	v_lshrrev_b32_e32 v5, 16, v7
	v_and_b32_e32 v4, 0xffff, v7
	v_lshrrev_b32_e32 v7, 16, v48
	v_and_b32_e32 v6, 0xffff, v48
	;;#ASMSTART
	v_cvt_f32_f16 v4, v4;
	;;#ASMEND
	;;#ASMSTART
	v_cvt_f32_f16 v5, v5;
	;;#ASMEND
	;; [unrolled: 3-line block ×4, first 2 shown]
	v_fmac_f32_e32 v123, v4, v6
	v_fmac_f32_e32 v124, v5, v7
	ds_read_b128 v[4:7], v20 offset:336
	v_lshrrev_b32_e32 v10, 16, v41
	v_and_b32_e32 v9, 0xffff, v41
	s_waitcnt lgkmcnt(0)
	v_lshrrev_b32_e32 v8, 16, v4
	v_and_b32_e32 v4, 0xffff, v4
	;;#ASMSTART
	v_cvt_f32_f16 v4, v4;
	;;#ASMEND
	;;#ASMSTART
	v_cvt_f32_f16 v8, v8;
	;;#ASMEND
	;; [unrolled: 3-line block ×4, first 2 shown]
	v_fmac_f32_e32 v0, v4, v9
	v_fmac_f32_e32 v1, v8, v10
	v_lshrrev_b32_e32 v8, 16, v5
	v_and_b32_e32 v4, 0xffff, v5
	;;#ASMSTART
	v_cvt_f32_f16 v4, v4;
	;;#ASMEND
	;;#ASMSTART
	v_cvt_f32_f16 v5, v8;
	;;#ASMEND
	v_lshrrev_b32_e32 v9, 16, v42
	v_and_b32_e32 v8, 0xffff, v42
	;;#ASMSTART
	v_cvt_f32_f16 v8, v8;
	;;#ASMEND
	;;#ASMSTART
	v_cvt_f32_f16 v9, v9;
	;;#ASMEND
	v_fmac_f32_e32 v2, v4, v8
	v_fmac_f32_e32 v3, v5, v9
	v_lshrrev_b32_e32 v5, 16, v6
	v_and_b32_e32 v4, 0xffff, v6
	v_and_b32_e32 v6, 0xffff, v43
	;;#ASMSTART
	v_cvt_f32_f16 v4, v4;
	;;#ASMEND
	;;#ASMSTART
	v_cvt_f32_f16 v5, v5;
	;;#ASMEND
	v_lshrrev_b32_e32 v8, 16, v43
	;;#ASMSTART
	v_cvt_f32_f16 v6, v6;
	;;#ASMEND
	;;#ASMSTART
	v_cvt_f32_f16 v8, v8;
	;;#ASMEND
	v_fmac_f32_e32 v121, v4, v6
	v_fmac_f32_e32 v122, v5, v8
	v_lshrrev_b32_e32 v5, 16, v7
	v_and_b32_e32 v4, 0xffff, v7
	v_lshrrev_b32_e32 v7, 16, v44
	v_and_b32_e32 v6, 0xffff, v44
	;;#ASMSTART
	v_cvt_f32_f16 v4, v4;
	;;#ASMEND
	;;#ASMSTART
	v_cvt_f32_f16 v5, v5;
	;;#ASMEND
	;; [unrolled: 3-line block ×4, first 2 shown]
	v_fmac_f32_e32 v123, v4, v6
	v_fmac_f32_e32 v124, v5, v7
	ds_read_b128 v[4:7], v20 offset:352
	v_lshrrev_b32_e32 v10, 16, v37
	v_and_b32_e32 v9, 0xffff, v37
	s_waitcnt lgkmcnt(0)
	v_lshrrev_b32_e32 v8, 16, v4
	v_and_b32_e32 v4, 0xffff, v4
	;;#ASMSTART
	v_cvt_f32_f16 v4, v4;
	;;#ASMEND
	;;#ASMSTART
	v_cvt_f32_f16 v8, v8;
	;;#ASMEND
	;; [unrolled: 3-line block ×4, first 2 shown]
	v_fmac_f32_e32 v0, v4, v9
	v_fmac_f32_e32 v1, v8, v10
	v_lshrrev_b32_e32 v8, 16, v5
	v_and_b32_e32 v4, 0xffff, v5
	;;#ASMSTART
	v_cvt_f32_f16 v4, v4;
	;;#ASMEND
	;;#ASMSTART
	v_cvt_f32_f16 v5, v8;
	;;#ASMEND
	v_lshrrev_b32_e32 v9, 16, v38
	v_and_b32_e32 v8, 0xffff, v38
	;;#ASMSTART
	v_cvt_f32_f16 v8, v8;
	;;#ASMEND
	;;#ASMSTART
	v_cvt_f32_f16 v9, v9;
	;;#ASMEND
	v_fmac_f32_e32 v2, v4, v8
	v_fmac_f32_e32 v3, v5, v9
	v_lshrrev_b32_e32 v5, 16, v6
	v_and_b32_e32 v4, 0xffff, v6
	v_and_b32_e32 v6, 0xffff, v39
	;;#ASMSTART
	v_cvt_f32_f16 v4, v4;
	;;#ASMEND
	;;#ASMSTART
	v_cvt_f32_f16 v5, v5;
	;;#ASMEND
	v_lshrrev_b32_e32 v8, 16, v39
	;;#ASMSTART
	v_cvt_f32_f16 v6, v6;
	;;#ASMEND
	;;#ASMSTART
	v_cvt_f32_f16 v8, v8;
	;;#ASMEND
	v_fmac_f32_e32 v121, v4, v6
	v_fmac_f32_e32 v122, v5, v8
	v_lshrrev_b32_e32 v5, 16, v7
	v_and_b32_e32 v4, 0xffff, v7
	v_lshrrev_b32_e32 v7, 16, v40
	v_and_b32_e32 v6, 0xffff, v40
	;;#ASMSTART
	v_cvt_f32_f16 v4, v4;
	;;#ASMEND
	;;#ASMSTART
	v_cvt_f32_f16 v5, v5;
	;;#ASMEND
	;; [unrolled: 3-line block ×4, first 2 shown]
	v_fmac_f32_e32 v123, v4, v6
	v_fmac_f32_e32 v124, v5, v7
	ds_read_b128 v[4:7], v20 offset:368
	v_lshrrev_b32_e32 v10, 16, v33
	v_and_b32_e32 v9, 0xffff, v33
	s_waitcnt lgkmcnt(0)
	v_lshrrev_b32_e32 v8, 16, v4
	v_and_b32_e32 v4, 0xffff, v4
	;;#ASMSTART
	v_cvt_f32_f16 v4, v4;
	;;#ASMEND
	;;#ASMSTART
	v_cvt_f32_f16 v8, v8;
	;;#ASMEND
	;; [unrolled: 3-line block ×4, first 2 shown]
	v_fmac_f32_e32 v0, v4, v9
	v_fmac_f32_e32 v1, v8, v10
	v_lshrrev_b32_e32 v8, 16, v5
	v_and_b32_e32 v4, 0xffff, v5
	;;#ASMSTART
	v_cvt_f32_f16 v4, v4;
	;;#ASMEND
	;;#ASMSTART
	v_cvt_f32_f16 v5, v8;
	;;#ASMEND
	v_lshrrev_b32_e32 v9, 16, v34
	v_and_b32_e32 v8, 0xffff, v34
	;;#ASMSTART
	v_cvt_f32_f16 v8, v8;
	;;#ASMEND
	;;#ASMSTART
	v_cvt_f32_f16 v9, v9;
	;;#ASMEND
	v_fmac_f32_e32 v2, v4, v8
	v_fmac_f32_e32 v3, v5, v9
	v_lshrrev_b32_e32 v5, 16, v6
	v_and_b32_e32 v4, 0xffff, v6
	v_and_b32_e32 v6, 0xffff, v35
	;;#ASMSTART
	v_cvt_f32_f16 v4, v4;
	;;#ASMEND
	;;#ASMSTART
	v_cvt_f32_f16 v5, v5;
	;;#ASMEND
	v_lshrrev_b32_e32 v8, 16, v35
	;;#ASMSTART
	v_cvt_f32_f16 v6, v6;
	;;#ASMEND
	;;#ASMSTART
	v_cvt_f32_f16 v8, v8;
	;;#ASMEND
	v_fmac_f32_e32 v121, v4, v6
	v_fmac_f32_e32 v122, v5, v8
	v_lshrrev_b32_e32 v5, 16, v7
	v_and_b32_e32 v4, 0xffff, v7
	v_lshrrev_b32_e32 v7, 16, v36
	v_and_b32_e32 v6, 0xffff, v36
	;;#ASMSTART
	v_cvt_f32_f16 v4, v4;
	;;#ASMEND
	;;#ASMSTART
	v_cvt_f32_f16 v5, v5;
	;;#ASMEND
	;;#ASMSTART
	v_cvt_f32_f16 v6, v6;
	;;#ASMEND
	;;#ASMSTART
	v_cvt_f32_f16 v7, v7;
	;;#ASMEND
	v_fmac_f32_e32 v123, v4, v6
	v_fmac_f32_e32 v124, v5, v7
	ds_read_b128 v[4:7], v20 offset:384
	v_lshrrev_b32_e32 v10, 16, v29
	v_and_b32_e32 v9, 0xffff, v29
	s_waitcnt lgkmcnt(0)
	v_lshrrev_b32_e32 v8, 16, v4
	v_and_b32_e32 v4, 0xffff, v4
	;;#ASMSTART
	v_cvt_f32_f16 v4, v4;
	;;#ASMEND
	;;#ASMSTART
	v_cvt_f32_f16 v8, v8;
	;;#ASMEND
	;; [unrolled: 3-line block ×4, first 2 shown]
	v_fmac_f32_e32 v0, v4, v9
	v_fmac_f32_e32 v1, v8, v10
	v_lshrrev_b32_e32 v8, 16, v5
	v_and_b32_e32 v4, 0xffff, v5
	;;#ASMSTART
	v_cvt_f32_f16 v4, v4;
	;;#ASMEND
	;;#ASMSTART
	v_cvt_f32_f16 v5, v8;
	;;#ASMEND
	v_lshrrev_b32_e32 v9, 16, v30
	v_and_b32_e32 v8, 0xffff, v30
	;;#ASMSTART
	v_cvt_f32_f16 v8, v8;
	;;#ASMEND
	;;#ASMSTART
	v_cvt_f32_f16 v9, v9;
	;;#ASMEND
	v_fmac_f32_e32 v2, v4, v8
	v_fmac_f32_e32 v3, v5, v9
	v_lshrrev_b32_e32 v5, 16, v6
	v_and_b32_e32 v4, 0xffff, v6
	v_and_b32_e32 v6, 0xffff, v31
	;;#ASMSTART
	v_cvt_f32_f16 v4, v4;
	;;#ASMEND
	;;#ASMSTART
	v_cvt_f32_f16 v5, v5;
	;;#ASMEND
	v_lshrrev_b32_e32 v8, 16, v31
	;;#ASMSTART
	v_cvt_f32_f16 v6, v6;
	;;#ASMEND
	;;#ASMSTART
	v_cvt_f32_f16 v8, v8;
	;;#ASMEND
	v_fmac_f32_e32 v121, v4, v6
	v_fmac_f32_e32 v122, v5, v8
	v_lshrrev_b32_e32 v5, 16, v7
	v_and_b32_e32 v4, 0xffff, v7
	v_lshrrev_b32_e32 v7, 16, v32
	v_and_b32_e32 v6, 0xffff, v32
	;;#ASMSTART
	v_cvt_f32_f16 v4, v4;
	;;#ASMEND
	;;#ASMSTART
	v_cvt_f32_f16 v5, v5;
	;;#ASMEND
	;; [unrolled: 3-line block ×4, first 2 shown]
	v_fmac_f32_e32 v123, v4, v6
	v_fmac_f32_e32 v124, v5, v7
	ds_read_b128 v[4:7], v20 offset:400
	v_lshrrev_b32_e32 v10, 16, v25
	v_and_b32_e32 v9, 0xffff, v25
	s_waitcnt lgkmcnt(0)
	v_lshrrev_b32_e32 v8, 16, v4
	v_and_b32_e32 v4, 0xffff, v4
	;;#ASMSTART
	v_cvt_f32_f16 v4, v4;
	;;#ASMEND
	;;#ASMSTART
	v_cvt_f32_f16 v8, v8;
	;;#ASMEND
	;; [unrolled: 3-line block ×4, first 2 shown]
	v_fmac_f32_e32 v0, v4, v9
	v_fmac_f32_e32 v1, v8, v10
	v_lshrrev_b32_e32 v8, 16, v5
	v_and_b32_e32 v4, 0xffff, v5
	;;#ASMSTART
	v_cvt_f32_f16 v4, v4;
	;;#ASMEND
	;;#ASMSTART
	v_cvt_f32_f16 v5, v8;
	;;#ASMEND
	v_lshrrev_b32_e32 v9, 16, v26
	v_and_b32_e32 v8, 0xffff, v26
	;;#ASMSTART
	v_cvt_f32_f16 v8, v8;
	;;#ASMEND
	;;#ASMSTART
	v_cvt_f32_f16 v9, v9;
	;;#ASMEND
	v_fmac_f32_e32 v2, v4, v8
	v_fmac_f32_e32 v3, v5, v9
	v_lshrrev_b32_e32 v5, 16, v6
	v_and_b32_e32 v4, 0xffff, v6
	v_and_b32_e32 v6, 0xffff, v27
	;;#ASMSTART
	v_cvt_f32_f16 v4, v4;
	;;#ASMEND
	;;#ASMSTART
	v_cvt_f32_f16 v5, v5;
	;;#ASMEND
	v_lshrrev_b32_e32 v8, 16, v27
	;;#ASMSTART
	v_cvt_f32_f16 v6, v6;
	;;#ASMEND
	;;#ASMSTART
	v_cvt_f32_f16 v8, v8;
	;;#ASMEND
	v_fmac_f32_e32 v121, v4, v6
	v_fmac_f32_e32 v122, v5, v8
	v_lshrrev_b32_e32 v5, 16, v7
	v_and_b32_e32 v4, 0xffff, v7
	v_lshrrev_b32_e32 v7, 16, v28
	v_and_b32_e32 v6, 0xffff, v28
	;;#ASMSTART
	v_cvt_f32_f16 v4, v4;
	;;#ASMEND
	;;#ASMSTART
	v_cvt_f32_f16 v5, v5;
	;;#ASMEND
	;; [unrolled: 3-line block ×4, first 2 shown]
	v_fmac_f32_e32 v123, v4, v6
	v_fmac_f32_e32 v124, v5, v7
	ds_read_b128 v[4:7], v20 offset:416
	v_lshrrev_b32_e32 v10, 16, v21
	v_and_b32_e32 v9, 0xffff, v21
	s_waitcnt lgkmcnt(0)
	v_lshrrev_b32_e32 v8, 16, v4
	v_and_b32_e32 v4, 0xffff, v4
	;;#ASMSTART
	v_cvt_f32_f16 v4, v4;
	;;#ASMEND
	;;#ASMSTART
	v_cvt_f32_f16 v8, v8;
	;;#ASMEND
	;; [unrolled: 3-line block ×4, first 2 shown]
	v_fmac_f32_e32 v0, v4, v9
	v_fmac_f32_e32 v1, v8, v10
	v_lshrrev_b32_e32 v8, 16, v5
	v_and_b32_e32 v4, 0xffff, v5
	;;#ASMSTART
	v_cvt_f32_f16 v4, v4;
	;;#ASMEND
	;;#ASMSTART
	v_cvt_f32_f16 v5, v8;
	;;#ASMEND
	v_lshrrev_b32_e32 v9, 16, v22
	v_and_b32_e32 v8, 0xffff, v22
	;;#ASMSTART
	v_cvt_f32_f16 v8, v8;
	;;#ASMEND
	;;#ASMSTART
	v_cvt_f32_f16 v9, v9;
	;;#ASMEND
	v_fmac_f32_e32 v2, v4, v8
	v_fmac_f32_e32 v3, v5, v9
	v_lshrrev_b32_e32 v5, 16, v6
	v_and_b32_e32 v4, 0xffff, v6
	v_and_b32_e32 v6, 0xffff, v23
	;;#ASMSTART
	v_cvt_f32_f16 v4, v4;
	;;#ASMEND
	;;#ASMSTART
	v_cvt_f32_f16 v5, v5;
	;;#ASMEND
	v_lshrrev_b32_e32 v8, 16, v23
	;;#ASMSTART
	v_cvt_f32_f16 v6, v6;
	;;#ASMEND
	;;#ASMSTART
	v_cvt_f32_f16 v8, v8;
	;;#ASMEND
	v_fmac_f32_e32 v121, v4, v6
	v_fmac_f32_e32 v122, v5, v8
	v_lshrrev_b32_e32 v5, 16, v7
	v_and_b32_e32 v4, 0xffff, v7
	v_lshrrev_b32_e32 v7, 16, v24
	v_and_b32_e32 v6, 0xffff, v24
	;;#ASMSTART
	v_cvt_f32_f16 v4, v4;
	;;#ASMEND
	;;#ASMSTART
	v_cvt_f32_f16 v5, v5;
	;;#ASMEND
	;; [unrolled: 3-line block ×4, first 2 shown]
	v_fmac_f32_e32 v123, v4, v6
	v_fmac_f32_e32 v124, v5, v7
	ds_read_b128 v[4:7], v20 offset:432
	s_waitcnt lgkmcnt(0)
	v_lshrrev_b32_e32 v8, 16, v4
	v_and_b32_e32 v4, 0xffff, v4
	;;#ASMSTART
	v_cvt_f32_f16 v4, v4;
	;;#ASMEND
	;;#ASMSTART
	v_cvt_f32_f16 v8, v8;
	;;#ASMEND
	s_clause 0x3
	buffer_load_dword v11, off, s[28:31], 0 offset:92
	buffer_load_dword v12, off, s[28:31], 0 offset:96
	buffer_load_dword v13, off, s[28:31], 0 offset:100
	buffer_load_dword v14, off, s[28:31], 0 offset:104
	s_waitcnt vmcnt(3)
	v_lshrrev_b32_e32 v10, 16, v11
	v_and_b32_e32 v9, 0xffff, v11
	;;#ASMSTART
	v_cvt_f32_f16 v9, v9;
	;;#ASMEND
	;;#ASMSTART
	v_cvt_f32_f16 v10, v10;
	;;#ASMEND
	v_fmac_f32_e32 v0, v4, v9
	v_fmac_f32_e32 v1, v8, v10
	v_lshrrev_b32_e32 v8, 16, v5
	v_and_b32_e32 v4, 0xffff, v5
	;;#ASMSTART
	v_cvt_f32_f16 v4, v4;
	;;#ASMEND
	;;#ASMSTART
	v_cvt_f32_f16 v5, v8;
	;;#ASMEND
	s_waitcnt vmcnt(2)
	v_lshrrev_b32_e32 v9, 16, v12
	v_and_b32_e32 v8, 0xffff, v12
	;;#ASMSTART
	v_cvt_f32_f16 v8, v8;
	;;#ASMEND
	;;#ASMSTART
	v_cvt_f32_f16 v9, v9;
	;;#ASMEND
	v_fmac_f32_e32 v2, v4, v8
	v_fmac_f32_e32 v3, v5, v9
	v_lshrrev_b32_e32 v5, 16, v6
	v_and_b32_e32 v4, 0xffff, v6
	s_waitcnt vmcnt(1)
	v_and_b32_e32 v6, 0xffff, v13
	;;#ASMSTART
	v_cvt_f32_f16 v4, v4;
	;;#ASMEND
	;;#ASMSTART
	v_cvt_f32_f16 v5, v5;
	;;#ASMEND
	v_lshrrev_b32_e32 v8, 16, v13
	;;#ASMSTART
	v_cvt_f32_f16 v6, v6;
	;;#ASMEND
	;;#ASMSTART
	v_cvt_f32_f16 v8, v8;
	;;#ASMEND
	v_fmac_f32_e32 v121, v4, v6
	v_fmac_f32_e32 v122, v5, v8
	v_lshrrev_b32_e32 v5, 16, v7
	v_and_b32_e32 v4, 0xffff, v7
	s_waitcnt vmcnt(0)
	v_lshrrev_b32_e32 v7, 16, v14
	v_and_b32_e32 v6, 0xffff, v14
	;;#ASMSTART
	v_cvt_f32_f16 v4, v4;
	;;#ASMEND
	;;#ASMSTART
	v_cvt_f32_f16 v5, v5;
	;;#ASMEND
	;; [unrolled: 3-line block ×4, first 2 shown]
	v_fmac_f32_e32 v123, v4, v6
	v_fmac_f32_e32 v124, v5, v7
	ds_read_b128 v[4:7], v20 offset:448
	s_waitcnt lgkmcnt(0)
	v_lshrrev_b32_e32 v8, 16, v4
	v_and_b32_e32 v4, 0xffff, v4
	;;#ASMSTART
	v_cvt_f32_f16 v4, v4;
	;;#ASMEND
	;;#ASMSTART
	v_cvt_f32_f16 v8, v8;
	;;#ASMEND
	s_clause 0x3
	buffer_load_dword v11, off, s[28:31], 0 offset:76
	buffer_load_dword v12, off, s[28:31], 0 offset:80
	;; [unrolled: 1-line block ×4, first 2 shown]
	s_waitcnt vmcnt(3)
	v_lshrrev_b32_e32 v10, 16, v11
	v_and_b32_e32 v9, 0xffff, v11
	;;#ASMSTART
	v_cvt_f32_f16 v9, v9;
	;;#ASMEND
	;;#ASMSTART
	v_cvt_f32_f16 v10, v10;
	;;#ASMEND
	v_fmac_f32_e32 v0, v4, v9
	v_fmac_f32_e32 v1, v8, v10
	v_lshrrev_b32_e32 v8, 16, v5
	v_and_b32_e32 v4, 0xffff, v5
	;;#ASMSTART
	v_cvt_f32_f16 v4, v4;
	;;#ASMEND
	;;#ASMSTART
	v_cvt_f32_f16 v5, v8;
	;;#ASMEND
	s_waitcnt vmcnt(2)
	v_lshrrev_b32_e32 v9, 16, v12
	v_and_b32_e32 v8, 0xffff, v12
	;;#ASMSTART
	v_cvt_f32_f16 v8, v8;
	;;#ASMEND
	;;#ASMSTART
	v_cvt_f32_f16 v9, v9;
	;;#ASMEND
	v_fmac_f32_e32 v2, v4, v8
	v_fmac_f32_e32 v3, v5, v9
	v_lshrrev_b32_e32 v5, 16, v6
	v_and_b32_e32 v4, 0xffff, v6
	s_waitcnt vmcnt(1)
	v_and_b32_e32 v6, 0xffff, v13
	;;#ASMSTART
	v_cvt_f32_f16 v4, v4;
	;;#ASMEND
	;;#ASMSTART
	v_cvt_f32_f16 v5, v5;
	;;#ASMEND
	v_lshrrev_b32_e32 v8, 16, v13
	;;#ASMSTART
	v_cvt_f32_f16 v6, v6;
	;;#ASMEND
	;;#ASMSTART
	v_cvt_f32_f16 v8, v8;
	;;#ASMEND
	v_fmac_f32_e32 v121, v4, v6
	v_fmac_f32_e32 v122, v5, v8
	v_lshrrev_b32_e32 v5, 16, v7
	v_and_b32_e32 v4, 0xffff, v7
	s_waitcnt vmcnt(0)
	v_lshrrev_b32_e32 v7, 16, v14
	v_and_b32_e32 v6, 0xffff, v14
	;;#ASMSTART
	v_cvt_f32_f16 v4, v4;
	;;#ASMEND
	;;#ASMSTART
	v_cvt_f32_f16 v5, v5;
	;;#ASMEND
	;; [unrolled: 3-line block ×4, first 2 shown]
	v_fmac_f32_e32 v123, v4, v6
	v_fmac_f32_e32 v124, v5, v7
	ds_read_b128 v[4:7], v20 offset:464
	s_waitcnt lgkmcnt(0)
	v_lshrrev_b32_e32 v8, 16, v4
	v_and_b32_e32 v4, 0xffff, v4
	;;#ASMSTART
	v_cvt_f32_f16 v4, v4;
	;;#ASMEND
	;;#ASMSTART
	v_cvt_f32_f16 v8, v8;
	;;#ASMEND
	s_clause 0x3
	buffer_load_dword v11, off, s[28:31], 0 offset:60
	buffer_load_dword v12, off, s[28:31], 0 offset:64
	buffer_load_dword v13, off, s[28:31], 0 offset:68
	buffer_load_dword v14, off, s[28:31], 0 offset:72
	s_waitcnt vmcnt(3)
	v_lshrrev_b32_e32 v10, 16, v11
	v_and_b32_e32 v9, 0xffff, v11
	;;#ASMSTART
	v_cvt_f32_f16 v9, v9;
	;;#ASMEND
	;;#ASMSTART
	v_cvt_f32_f16 v10, v10;
	;;#ASMEND
	v_fmac_f32_e32 v0, v4, v9
	v_fmac_f32_e32 v1, v8, v10
	v_lshrrev_b32_e32 v8, 16, v5
	v_and_b32_e32 v4, 0xffff, v5
	;;#ASMSTART
	v_cvt_f32_f16 v4, v4;
	;;#ASMEND
	;;#ASMSTART
	v_cvt_f32_f16 v5, v8;
	;;#ASMEND
	s_waitcnt vmcnt(2)
	v_lshrrev_b32_e32 v9, 16, v12
	v_and_b32_e32 v8, 0xffff, v12
	;;#ASMSTART
	v_cvt_f32_f16 v8, v8;
	;;#ASMEND
	;;#ASMSTART
	v_cvt_f32_f16 v9, v9;
	;;#ASMEND
	v_fmac_f32_e32 v2, v4, v8
	v_fmac_f32_e32 v3, v5, v9
	v_lshrrev_b32_e32 v5, 16, v6
	v_and_b32_e32 v4, 0xffff, v6
	s_waitcnt vmcnt(1)
	v_and_b32_e32 v6, 0xffff, v13
	;;#ASMSTART
	v_cvt_f32_f16 v4, v4;
	;;#ASMEND
	;;#ASMSTART
	v_cvt_f32_f16 v5, v5;
	;;#ASMEND
	v_lshrrev_b32_e32 v8, 16, v13
	;;#ASMSTART
	v_cvt_f32_f16 v6, v6;
	;;#ASMEND
	;;#ASMSTART
	v_cvt_f32_f16 v8, v8;
	;;#ASMEND
	v_fmac_f32_e32 v121, v4, v6
	v_fmac_f32_e32 v122, v5, v8
	v_lshrrev_b32_e32 v5, 16, v7
	v_and_b32_e32 v4, 0xffff, v7
	s_waitcnt vmcnt(0)
	v_lshrrev_b32_e32 v7, 16, v14
	v_and_b32_e32 v6, 0xffff, v14
	;;#ASMSTART
	v_cvt_f32_f16 v4, v4;
	;;#ASMEND
	;;#ASMSTART
	v_cvt_f32_f16 v5, v5;
	;;#ASMEND
	;; [unrolled: 3-line block ×4, first 2 shown]
	v_fmac_f32_e32 v123, v4, v6
	v_fmac_f32_e32 v124, v5, v7
	ds_read_b128 v[4:7], v20 offset:480
	s_waitcnt lgkmcnt(0)
	v_lshrrev_b32_e32 v8, 16, v4
	v_and_b32_e32 v4, 0xffff, v4
	;;#ASMSTART
	v_cvt_f32_f16 v4, v4;
	;;#ASMEND
	;;#ASMSTART
	v_cvt_f32_f16 v8, v8;
	;;#ASMEND
	s_clause 0x3
	buffer_load_dword v11, off, s[28:31], 0 offset:44
	buffer_load_dword v12, off, s[28:31], 0 offset:48
	;; [unrolled: 1-line block ×4, first 2 shown]
	s_waitcnt vmcnt(3)
	v_lshrrev_b32_e32 v10, 16, v11
	v_and_b32_e32 v9, 0xffff, v11
	;;#ASMSTART
	v_cvt_f32_f16 v9, v9;
	;;#ASMEND
	;;#ASMSTART
	v_cvt_f32_f16 v10, v10;
	;;#ASMEND
	v_fmac_f32_e32 v0, v4, v9
	v_fmac_f32_e32 v1, v8, v10
	v_lshrrev_b32_e32 v8, 16, v5
	v_and_b32_e32 v4, 0xffff, v5
	;;#ASMSTART
	v_cvt_f32_f16 v4, v4;
	;;#ASMEND
	;;#ASMSTART
	v_cvt_f32_f16 v5, v8;
	;;#ASMEND
	s_waitcnt vmcnt(2)
	v_lshrrev_b32_e32 v9, 16, v12
	v_and_b32_e32 v8, 0xffff, v12
	;;#ASMSTART
	v_cvt_f32_f16 v8, v8;
	;;#ASMEND
	;;#ASMSTART
	v_cvt_f32_f16 v9, v9;
	;;#ASMEND
	v_fmac_f32_e32 v2, v4, v8
	v_fmac_f32_e32 v3, v5, v9
	v_lshrrev_b32_e32 v5, 16, v6
	v_and_b32_e32 v4, 0xffff, v6
	s_waitcnt vmcnt(1)
	v_and_b32_e32 v6, 0xffff, v13
	;;#ASMSTART
	v_cvt_f32_f16 v4, v4;
	;;#ASMEND
	;;#ASMSTART
	v_cvt_f32_f16 v5, v5;
	;;#ASMEND
	v_lshrrev_b32_e32 v8, 16, v13
	;;#ASMSTART
	v_cvt_f32_f16 v6, v6;
	;;#ASMEND
	;;#ASMSTART
	v_cvt_f32_f16 v8, v8;
	;;#ASMEND
	v_fmac_f32_e32 v121, v4, v6
	v_fmac_f32_e32 v122, v5, v8
	v_lshrrev_b32_e32 v5, 16, v7
	v_and_b32_e32 v4, 0xffff, v7
	s_waitcnt vmcnt(0)
	v_lshrrev_b32_e32 v7, 16, v14
	v_and_b32_e32 v6, 0xffff, v14
	;;#ASMSTART
	v_cvt_f32_f16 v4, v4;
	;;#ASMEND
	;;#ASMSTART
	v_cvt_f32_f16 v5, v5;
	;;#ASMEND
	;; [unrolled: 3-line block ×4, first 2 shown]
	v_fmac_f32_e32 v123, v4, v6
	v_fmac_f32_e32 v124, v5, v7
	ds_read_b128 v[4:7], v20 offset:496
	s_waitcnt lgkmcnt(0)
	v_lshrrev_b32_e32 v8, 16, v4
	v_and_b32_e32 v4, 0xffff, v4
	;;#ASMSTART
	v_cvt_f32_f16 v4, v4;
	;;#ASMEND
	;;#ASMSTART
	v_cvt_f32_f16 v8, v8;
	;;#ASMEND
	s_clause 0x3
	buffer_load_dword v11, off, s[28:31], 0 offset:28
	buffer_load_dword v12, off, s[28:31], 0 offset:32
	;; [unrolled: 1-line block ×4, first 2 shown]
	s_waitcnt vmcnt(3)
	v_lshrrev_b32_e32 v10, 16, v11
	v_and_b32_e32 v9, 0xffff, v11
	;;#ASMSTART
	v_cvt_f32_f16 v9, v9;
	;;#ASMEND
	;;#ASMSTART
	v_cvt_f32_f16 v10, v10;
	;;#ASMEND
	v_fmac_f32_e32 v0, v4, v9
	v_fmac_f32_e32 v1, v8, v10
	v_lshrrev_b32_e32 v8, 16, v5
	v_and_b32_e32 v4, 0xffff, v5
	;;#ASMSTART
	v_cvt_f32_f16 v4, v4;
	;;#ASMEND
	;;#ASMSTART
	v_cvt_f32_f16 v5, v8;
	;;#ASMEND
	s_waitcnt vmcnt(2)
	v_and_b32_e32 v8, 0xffff, v12
	v_lshrrev_b32_e32 v9, 16, v12
	;;#ASMSTART
	v_cvt_f32_f16 v8, v8;
	;;#ASMEND
	v_fmac_f32_e32 v2, v4, v8
	v_add_f32_e32 v0, v0, v1
	;;#ASMSTART
	v_cvt_f32_f16 v9, v9;
	;;#ASMEND
	v_fmac_f32_e32 v3, v5, v9
	v_lshrrev_b32_e32 v5, 16, v6
	v_and_b32_e32 v4, 0xffff, v6
	;;#ASMSTART
	v_cvt_f32_f16 v4, v4;
	;;#ASMEND
	;;#ASMSTART
	v_cvt_f32_f16 v5, v5;
	;;#ASMEND
	s_waitcnt vmcnt(1)
	v_lshrrev_b32_e32 v8, 16, v13
	v_and_b32_e32 v6, 0xffff, v13
	;;#ASMSTART
	v_cvt_f32_f16 v6, v6;
	;;#ASMEND
	;;#ASMSTART
	v_cvt_f32_f16 v8, v8;
	;;#ASMEND
	v_fmac_f32_e32 v121, v4, v6
	v_fmac_f32_e32 v122, v5, v8
	v_lshrrev_b32_e32 v5, 16, v7
	v_and_b32_e32 v4, 0xffff, v7
	;;#ASMSTART
	v_cvt_f32_f16 v4, v4;
	;;#ASMEND
	;;#ASMSTART
	v_cvt_f32_f16 v5, v5;
	;;#ASMEND
	s_waitcnt vmcnt(0)
	v_lshrrev_b32_e32 v7, 16, v14
	v_and_b32_e32 v6, 0xffff, v14
	;;#ASMSTART
	v_cvt_f32_f16 v6, v6;
	;;#ASMEND
	;;#ASMSTART
	v_cvt_f32_f16 v7, v7;
	;;#ASMEND
	v_fmac_f32_e32 v124, v5, v7
	s_clause 0x1
	buffer_load_dword v5, off, s[28:31], 0 offset:16
	buffer_load_dword v1, off, s[28:31], 0 offset:24
	v_add_f32_e32 v0, v0, v2
	buffer_load_dword v2, off, s[28:31], 0 offset:20 ; 4-byte Folded Reload
	v_fmac_f32_e32 v123, v4, v6
	buffer_load_dword v4, off, s[28:31], 0 offset:8 ; 4-byte Folded Reload
	v_add_f32_e32 v0, v3, v0
	buffer_load_dword v3, off, s[28:31], 0 offset:12 ; 4-byte Folded Reload
	v_add_f32_e32 v0, v0, v121
	v_add_f32_e32 v0, v122, v0
	;; [unrolled: 1-line block ×4, first 2 shown]
	s_waitcnt vmcnt(3)
	v_fmac_f32_e32 v1, s25, v0
	s_waitcnt vmcnt(2)
	v_add_nc_u32_e32 v2, 4, v2
	v_cndmask_b32_e64 v0, 0, v1, s2
	s_waitcnt vmcnt(0)
	v_add_nc_u32_e32 v3, 0x80, v3
	ds_write_b32 v5, v0
	v_max_f32_e32 v0, v4, v4
	v_add_nc_u32_e32 v5, 0x200, v5
	v_max_f32_e32 v0, v0, v1
	v_cndmask_b32_e64 v4, v4, v0, s2
	s_clause 0x1
	buffer_load_dword v0, off, s[28:31], 0
	buffer_load_dword v1, off, s[28:31], 0 offset:4
	s_waitcnt vmcnt(1)
	v_add_co_u32 v0, s2, v0, 16
	s_waitcnt vmcnt(0)
	v_add_co_ci_u32_e64 v1, null, 0, v1, s2
	v_cmp_le_i32_e64 s2, s12, v2
	s_or_b32 s5, s2, s5
	s_andn2_b32 exec_lo, exec_lo, s5
	s_cbranch_execnz .LBB107_6
; %bb.7:
	s_or_b32 exec_lo, exec_lo, s5
	s_clause 0x3
	buffer_load_dword v121, off, s[28:31], 0 offset:116
	buffer_load_dword v122, off, s[28:31], 0 offset:128
	;; [unrolled: 1-line block ×4, first 2 shown]
.LBB107_8:
	s_or_b32 exec_lo, exec_lo, s26
	v_mbcnt_lo_u32_b32 v1, -1, 0
	v_xor_b32_e32 v0, 16, v1
	v_xor_b32_e32 v3, 8, v1
	v_cmp_gt_i32_e32 vcc_lo, 32, v0
	v_cndmask_b32_e32 v0, v1, v0, vcc_lo
	v_cmp_gt_i32_e32 vcc_lo, 32, v3
	v_lshlrev_b32_e32 v0, 2, v0
	v_cndmask_b32_e32 v3, v1, v3, vcc_lo
	ds_bpermute_b32 v2, v0, v4
	v_max_f32_e32 v4, v4, v4
	s_waitcnt lgkmcnt(0)
	v_max_f32_e32 v5, v2, v2
	v_lshlrev_b32_e32 v2, 2, v3
	v_max_f32_e32 v4, v4, v5
	v_xor_b32_e32 v5, 4, v1
	ds_bpermute_b32 v3, v2, v4
	v_cmp_gt_i32_e32 vcc_lo, 32, v5
	v_cndmask_b32_e32 v5, v1, v5, vcc_lo
	s_waitcnt lgkmcnt(0)
	v_max_f32_e32 v6, v3, v3
	v_lshlrev_b32_e32 v3, 2, v5
	v_max_f32_e32 v4, v4, v6
	v_xor_b32_e32 v6, 2, v1
	ds_bpermute_b32 v5, v3, v4
	v_cmp_gt_i32_e32 vcc_lo, 32, v6
	v_cndmask_b32_e32 v6, v1, v6, vcc_lo
	v_lshlrev_b32_e32 v11, 2, v6
	v_xor_b32_e32 v6, 1, v1
	v_cmp_gt_i32_e32 vcc_lo, 32, v6
	s_waitcnt lgkmcnt(0)
	v_max_f32_e32 v5, v5, v5
	v_cndmask_b32_e32 v6, v1, v6, vcc_lo
	s_waitcnt vmcnt(1)
	v_cmp_eq_u32_e32 vcc_lo, 0, v123
	v_max_f32_e32 v4, v4, v5
	ds_bpermute_b32 v5, v11, v4
	s_waitcnt lgkmcnt(0)
	v_max_f32_e32 v5, v5, v5
	v_max_f32_e32 v1, v4, v5
	v_lshlrev_b32_e32 v4, 2, v6
	v_lshlrev_b32_e32 v5, 2, v122
	ds_bpermute_b32 v6, v4, v1
	s_and_saveexec_b32 s2, vcc_lo
	s_cbranch_execz .LBB107_10
; %bb.9:
	s_waitcnt lgkmcnt(0)
	v_max_f32_e32 v6, v6, v6
	v_max_f32_e32 v1, v1, v1
	;; [unrolled: 1-line block ×3, first 2 shown]
	ds_write_b32 v5, v1 offset:512
.LBB107_10:
	s_or_b32 exec_lo, exec_lo, s2
	v_cmp_gt_u32_e64 s2, 4, v123
	v_mov_b32_e32 v1, 0xff7fffff
	s_waitcnt vmcnt(0) lgkmcnt(0)
	s_waitcnt_vscnt null, 0x0
	s_barrier
	buffer_gl0_inv
	s_and_saveexec_b32 s3, s2
; %bb.11:
	ds_read_b32 v1, v12 offset:512
; %bb.12:
	s_or_b32 exec_lo, exec_lo, s3
	s_waitcnt lgkmcnt(0)
	ds_bpermute_b32 v6, v11, v1
	v_max_f32_e32 v1, v1, v1
	s_lshl_b32 s3, s12, 5
	s_min_i32 s5, s3, s11
	v_cmp_gt_i32_e64 s3, s5, v121
	s_waitcnt lgkmcnt(0)
	v_max_f32_e32 v6, v6, v6
	v_max_f32_e32 v1, v1, v6
	ds_bpermute_b32 v6, v4, v1
	s_waitcnt lgkmcnt(0)
	v_max_f32_e32 v6, v6, v6
	v_max_f32_e32 v1, v1, v6
	v_mov_b32_e32 v6, 0
	ds_bpermute_b32 v7, v6, v1
	v_lshl_add_u32 v1, v121, 2, 0x220
	s_and_saveexec_b32 s15, s3
	s_cbranch_execz .LBB107_16
; %bb.13:
	v_lshl_add_u32 v8, v121, 2, 0x220
	v_mov_b32_e32 v6, 0
	v_mov_b32_e32 v9, v121
	s_mov_b32 s24, 0
	.p2align	6
.LBB107_14:                             ; =>This Inner Loop Header: Depth=1
	ds_read_b32 v10, v8
	v_add_nc_u32_e32 v9, 0x80, v9
	v_cmp_le_i32_e64 s4, s5, v9
	s_or_b32 s24, s4, s24
	s_waitcnt lgkmcnt(0)
	v_sub_f32_e32 v10, v10, v7
	v_mul_f32_e32 v10, 0x3fb8aa3b, v10
	v_exp_f32_e32 v10, v10
	ds_write_b32 v8, v10
	v_add_f32_e32 v6, v6, v10
	v_add_nc_u32_e32 v8, 0x200, v8
	s_andn2_b32 exec_lo, exec_lo, s24
	s_cbranch_execnz .LBB107_14
; %bb.15:
	s_or_b32 exec_lo, exec_lo, s24
.LBB107_16:
	s_or_b32 exec_lo, exec_lo, s15
	ds_bpermute_b32 v0, v0, v6
	s_waitcnt lgkmcnt(0)
	v_add_f32_e32 v0, v6, v0
	ds_bpermute_b32 v2, v2, v0
	s_waitcnt lgkmcnt(0)
	v_add_f32_e32 v0, v0, v2
	;; [unrolled: 3-line block ×5, first 2 shown]
	s_and_saveexec_b32 s4, vcc_lo
; %bb.17:
	ds_write_b32 v5, v0 offset:528
; %bb.18:
	s_or_b32 exec_lo, exec_lo, s4
	s_waitcnt lgkmcnt(0)
	s_barrier
	buffer_gl0_inv
	s_and_saveexec_b32 s4, s2
; %bb.19:
	ds_read_b32 v0, v12 offset:528
; %bb.20:
	s_or_b32 exec_lo, exec_lo, s4
	s_waitcnt lgkmcnt(0)
	ds_bpermute_b32 v2, v11, v0
	s_waitcnt lgkmcnt(0)
	v_add_f32_e32 v0, v0, v2
	ds_bpermute_b32 v2, v4, v0
	s_waitcnt lgkmcnt(0)
	v_add_f32_e32 v0, v0, v2
	v_mov_b32_e32 v2, 0
	ds_bpermute_b32 v0, v2, v0
	s_and_saveexec_b32 s2, s3
	s_cbranch_execz .LBB107_23
; %bb.21:
	s_waitcnt lgkmcnt(0)
	v_add_f32_e32 v0, 0x358637bd, v0
	s_mov_b32 s3, 0
	v_div_scale_f32 v2, null, v0, v0, 1.0
	v_div_scale_f32 v6, vcc_lo, 1.0, v0, 1.0
	v_rcp_f32_e32 v3, v2
	v_fma_f32 v5, -v2, v3, 1.0
	v_fmac_f32_e32 v3, v5, v3
	v_mul_f32_e32 v5, v6, v3
	v_fma_f32 v7, -v2, v5, v6
	v_fmac_f32_e32 v5, v7, v3
	v_fma_f32 v2, -v2, v5, v6
	v_div_fmas_f32 v2, v2, v3, v5
	v_div_fixup_f32 v0, v2, v0, 1.0
	v_mov_b32_e32 v2, v121
.LBB107_22:                             ; =>This Inner Loop Header: Depth=1
	ds_read_b32 v3, v1
	v_add_nc_u32_e32 v2, 0x80, v2
	v_cmp_le_i32_e32 vcc_lo, s5, v2
	s_or_b32 s3, vcc_lo, s3
	s_waitcnt lgkmcnt(0)
	v_mul_f32_e32 v3, v0, v3
	ds_write_b32 v1, v3
	v_add_nc_u32_e32 v1, 0x200, v1
	s_andn2_b32 exec_lo, exec_lo, s3
	s_cbranch_execnz .LBB107_22
.LBB107_23:
	s_or_b32 exec_lo, exec_lo, s2
	v_mov_b32_e32 v42, 0
	v_mov_b32_e32 v43, 0
	;; [unrolled: 1-line block ×32, first 2 shown]
	s_waitcnt lgkmcnt(0)
	s_barrier
	buffer_gl0_inv
	s_and_saveexec_b32 s3, s1
	s_cbranch_execz .LBB107_91
; %bb.24:
	v_lshlrev_b32_e32 v0, 3, v121
	s_lshl_b64 s[4:5], s[22:23], 2
	v_mov_b32_e32 v6, 0
	s_add_u32 s4, s18, s4
	s_addc_u32 s5, s19, s5
	v_and_b32_e32 v44, 24, v0
	v_and_b32_e32 v1, 0xf8, v0
	v_or_b32_e32 v0, 0x1f00, v0
	s_ashr_i32 s15, s14, 31
	v_mov_b32_e32 v12, 0
	s_lshl_b64 s[14:15], s[14:15], 1
	v_lshlrev_b32_e32 v45, 1, v1
	v_lshlrev_b32_e32 v46, 1, v0
	v_mov_b32_e32 v13, 0
	v_mov_b32_e32 v14, 0
	v_mov_b32_e32 v15, 0
	v_mov_b32_e32 v16, 0
	v_mov_b32_e32 v17, 0
	v_mov_b32_e32 v18, 0
	v_mov_b32_e32 v19, 0
	v_mov_b32_e32 v20, 0
	v_mov_b32_e32 v21, 0
	v_mov_b32_e32 v22, 0
	v_mov_b32_e32 v23, 0
	v_mov_b32_e32 v24, 0
	v_mov_b32_e32 v25, 0
	v_mov_b32_e32 v26, 0
	v_mov_b32_e32 v27, 0
	v_mov_b32_e32 v28, 0
	v_mov_b32_e32 v29, 0
	v_mov_b32_e32 v30, 0
	v_mov_b32_e32 v31, 0
	v_mov_b32_e32 v32, 0
	v_mov_b32_e32 v33, 0
	v_mov_b32_e32 v34, 0
	v_mov_b32_e32 v35, 0
	v_mov_b32_e32 v36, 0
	v_mov_b32_e32 v37, 0
	v_mov_b32_e32 v38, 0
	v_mov_b32_e32 v39, 0
	v_mov_b32_e32 v40, 0
	v_mov_b32_e32 v41, 0
	v_mov_b32_e32 v43, 0
	v_mov_b32_e32 v42, 0
	v_mov_b32_e32 v5, v122
	s_add_u32 s14, s20, s14
	s_addc_u32 s15, s21, s15
	s_add_i32 s19, s12, -1
	s_mov_b32 s18, 0
	s_branch .LBB107_26
.LBB107_25:                             ;   in Loop: Header=BB107_26 Depth=1
	s_or_b32 exec_lo, exec_lo, s2
	v_add_f32_e32 v9, v9, v10
	v_add_f32_e32 v10, v113, v114
	;; [unrolled: 1-line block ×31, first 2 shown]
	v_lshlrev_b32_e32 v10, 16, v61
	v_add_f32_e32 v55, v91, v92
	v_add_f32_e32 v24, v24, v9
	;; [unrolled: 1-line block ×5, first 2 shown]
	v_lshlrev_b32_e32 v8, 16, v8
	v_lshlrev_b32_e32 v7, 16, v7
	v_and_or_b32 v0, 0xffff, v0, v10
	v_add_f32_e32 v27, v27, v54
	v_add_f32_e32 v28, v28, v55
	;; [unrolled: 1-line block ×8, first 2 shown]
	v_and_or_b32 v1, 0xffff, v1, v8
	v_and_or_b32 v2, 0xffff, v2, v7
	;;#ASMSTART
	v_pk_mul_f16 v0, v48, v0;

	;;#ASMEND
	;;#ASMSTART
	v_pk_mul_f16 v1, v47, v1;

	;;#ASMEND
	;; [unrolled: 4-line block ×4, first 2 shown]
	;;#ASMSTART
	v_pk_add_f16 v0, v0, v1;

	;;#ASMEND
	;;#ASMSTART
	v_pk_add_f16 v0, v0, v2;

	;;#ASMEND
	;; [unrolled: 4-line block ×3, first 2 shown]
	v_and_b32_e32 v2, 0xffff, v0
	v_add_nc_u32_e32 v5, 4, v5
	v_lshrrev_b32_e32 v3, 16, v0
	;;#ASMSTART
	v_cvt_f32_f16 v2, v2;
	;;#ASMEND
	v_add_f32_e32 v32, v32, v54
	v_add_f32_e32 v33, v33, v55
	;; [unrolled: 1-line block ×11, first 2 shown]
	;;#ASMSTART
	v_cvt_f32_f16 v3, v3;
	;;#ASMEND
	v_add_f32_e32 v2, v2, v3
	v_cmp_le_i32_e32 vcc_lo, s12, v5
	v_add_f32_e32 v37, v37, v54
	v_add_f32_e32 v38, v38, v55
	;; [unrolled: 1-line block ×8, first 2 shown]
	s_or_b32 s18, vcc_lo, s18
	s_andn2_b32 exec_lo, exec_lo, s18
	s_cbranch_execz .LBB107_90
.LBB107_26:                             ; =>This Inner Loop Header: Depth=1
	v_lshlrev_b64 v[0:1], 2, v[5:6]
	v_lshl_or_b32 v53, v5, 5, v44
	v_cmp_eq_u32_e64 s1, s19, v5
	v_lshl_add_u32 v9, v53, 2, 0x220
	v_add_co_u32 v0, vcc_lo, s4, v0
	v_add_co_ci_u32_e64 v1, null, s5, v1, vcc_lo
	v_or_b32_e32 v60, 1, v53
	v_or_b32_e32 v58, 2, v53
	ds_read2_b64 v[54:57], v9 offset0:2 offset1:3
	global_load_dword v7, v[0:1], off
	ds_read2_b64 v[0:3], v9 offset1:1
	s_waitcnt lgkmcnt(0)
	;;#ASMSTART
	v_cvt_f16_f32 v48, v0;

	;;#ASMEND
	;;#ASMSTART
	v_cvt_f16_f32 v9, v1;

	;;#ASMEND
	;; [unrolled: 4-line block ×8, first 2 shown]
	v_or_b32_e32 v57, 3, v53
	v_or_b32_e32 v55, 4, v53
	;; [unrolled: 1-line block ×5, first 2 shown]
	s_waitcnt vmcnt(0)
	v_mad_i64_i32 v[7:8], null, v7, s13, 0
	v_lshlrev_b64 v[7:8], 1, v[7:8]
	v_add_co_u32 v61, vcc_lo, s14, v7
	v_add_co_ci_u32_e64 v62, null, s15, v8, vcc_lo
	v_add_co_u32 v7, vcc_lo, v61, v45
	v_add_co_ci_u32_e64 v8, null, 0, v62, vcc_lo
	global_load_dwordx4 v[0:3], v[7:8], off
	s_waitcnt vmcnt(0)
	v_lshrrev_b32_e32 v65, 16, v0
	v_lshrrev_b32_e32 v64, 16, v1
	v_lshrrev_b32_e32 v63, 16, v2
	s_and_saveexec_b32 s20, s1
	s_cbranch_execz .LBB107_28
; %bb.27:                               ;   in Loop: Header=BB107_26 Depth=1
	v_cmp_gt_i32_e32 vcc_lo, s11, v53
	v_and_b32_e32 v66, 0xffff0000, v3
	v_cmp_gt_i32_e64 s2, s11, v58
	v_cndmask_b32_e32 v0, 0, v0, vcc_lo
	v_cmp_gt_i32_e32 vcc_lo, s11, v60
	v_cndmask_b32_e64 v1, 0, v1, s2
	v_cmp_gt_i32_e64 s2, s11, v57
	v_cndmask_b32_e32 v65, 0, v65, vcc_lo
	v_cmp_gt_i32_e32 vcc_lo, s11, v59
	v_cndmask_b32_e64 v64, 0, v64, s2
	v_cndmask_b32_sdwa v3, v6, v3, vcc_lo dst_sel:DWORD dst_unused:UNUSED_PAD src0_sel:DWORD src1_sel:WORD_0
	v_cmp_gt_i32_e32 vcc_lo, s11, v56
	v_cndmask_b32_e32 v66, 0, v66, vcc_lo
	v_cmp_gt_i32_e32 vcc_lo, s11, v55
	v_or_b32_e32 v3, v3, v66
	v_cndmask_b32_e32 v2, 0, v2, vcc_lo
	v_cmp_gt_i32_e32 vcc_lo, s11, v54
	v_cndmask_b32_e32 v63, 0, v63, vcc_lo
.LBB107_28:                             ;   in Loop: Header=BB107_26 Depth=1
	s_or_b32 exec_lo, exec_lo, s20
	v_and_b32_e32 v48, 0xffff, v48
	v_and_b32_e32 v51, 0xffff, v51
	v_lshlrev_b32_e32 v65, 16, v65
	v_and_b32_e32 v52, 0xffff, v52
	v_and_b32_e32 v50, 0xffff, v50
	v_lshl_or_b32 v48, v9, 16, v48
	v_lshl_or_b32 v47, v47, 16, v51
	v_lshlrev_b32_e32 v9, 16, v64
	v_lshlrev_b32_e32 v51, 16, v63
	v_and_or_b32 v0, 0xffff, v0, v65
	;;#ASMSTART
	v_pk_mul_f16 v0, v48, v0;

	;;#ASMEND
	v_lshl_or_b32 v49, v49, 16, v52
	v_and_or_b32 v1, 0xffff, v1, v9
	v_and_or_b32 v2, 0xffff, v2, v51
	v_lshl_or_b32 v50, v10, 16, v50
	;;#ASMSTART
	v_pk_mul_f16 v1, v47, v1;

	;;#ASMEND
	;;#ASMSTART
	v_pk_mul_f16 v2, v49, v2;

	;;#ASMEND
	;; [unrolled: 4-line block ×3, first 2 shown]
	;;#ASMSTART
	v_pk_add_f16 v0, v0, v1;

	;;#ASMEND
	;;#ASMSTART
	v_pk_add_f16 v0, v0, v2;

	;;#ASMEND
	;; [unrolled: 4-line block ×3, first 2 shown]
	v_and_b32_e32 v1, 0xffff, v0
	v_lshrrev_b32_e32 v0, 16, v0
	;;#ASMSTART
	v_cvt_f32_f16 v51, v1;
	;;#ASMEND
	;;#ASMSTART
	v_cvt_f32_f16 v52, v0;
	;;#ASMEND
	global_load_dwordx4 v[0:3], v[7:8], off offset:512
	s_waitcnt vmcnt(0)
	v_lshrrev_b32_e32 v63, 16, v0
	v_lshrrev_b32_e32 v10, 16, v1
	;; [unrolled: 1-line block ×3, first 2 shown]
	s_and_saveexec_b32 s20, s1
	s_cbranch_execz .LBB107_30
; %bb.29:                               ;   in Loop: Header=BB107_26 Depth=1
	v_cmp_gt_i32_e32 vcc_lo, s11, v53
	v_and_b32_e32 v64, 0xffff0000, v3
	v_cmp_gt_i32_e64 s2, s11, v58
	v_cndmask_b32_e32 v0, 0, v0, vcc_lo
	v_cmp_gt_i32_e32 vcc_lo, s11, v60
	v_cndmask_b32_e64 v1, 0, v1, s2
	v_cmp_gt_i32_e64 s2, s11, v57
	v_cndmask_b32_e32 v63, 0, v63, vcc_lo
	v_cmp_gt_i32_e32 vcc_lo, s11, v59
	v_cndmask_b32_e64 v10, 0, v10, s2
	v_cndmask_b32_sdwa v3, v6, v3, vcc_lo dst_sel:DWORD dst_unused:UNUSED_PAD src0_sel:DWORD src1_sel:WORD_0
	v_cmp_gt_i32_e32 vcc_lo, s11, v56
	v_cndmask_b32_e32 v64, 0, v64, vcc_lo
	v_cmp_gt_i32_e32 vcc_lo, s11, v55
	v_or_b32_e32 v3, v3, v64
	v_cndmask_b32_e32 v2, 0, v2, vcc_lo
	v_cmp_gt_i32_e32 vcc_lo, s11, v54
	v_cndmask_b32_e32 v9, 0, v9, vcc_lo
.LBB107_30:                             ;   in Loop: Header=BB107_26 Depth=1
	s_or_b32 exec_lo, exec_lo, s20
	v_lshlrev_b32_e32 v63, 16, v63
	v_lshlrev_b32_e32 v10, 16, v10
	v_lshlrev_b32_e32 v9, 16, v9
	v_and_or_b32 v0, 0xffff, v0, v63
	v_and_or_b32 v1, 0xffff, v1, v10
	v_and_or_b32 v2, 0xffff, v2, v9
	;;#ASMSTART
	v_pk_mul_f16 v0, v48, v0;

	;;#ASMEND
	;;#ASMSTART
	v_pk_mul_f16 v1, v47, v1;

	;;#ASMEND
	;; [unrolled: 4-line block ×4, first 2 shown]
	;;#ASMSTART
	v_pk_add_f16 v0, v0, v1;

	;;#ASMEND
	;;#ASMSTART
	v_pk_add_f16 v0, v0, v2;

	;;#ASMEND
	;; [unrolled: 4-line block ×3, first 2 shown]
	v_and_b32_e32 v1, 0xffff, v0
	v_lshrrev_b32_e32 v0, 16, v0
	;;#ASMSTART
	v_cvt_f32_f16 v63, v1;
	;;#ASMEND
	;;#ASMSTART
	v_cvt_f32_f16 v64, v0;
	;;#ASMEND
	global_load_dwordx4 v[0:3], v[7:8], off offset:1024
	s_waitcnt vmcnt(0)
	v_lshrrev_b32_e32 v65, 16, v0
	v_lshrrev_b32_e32 v10, 16, v1
	;; [unrolled: 1-line block ×3, first 2 shown]
	s_and_saveexec_b32 s20, s1
	s_cbranch_execz .LBB107_32
; %bb.31:                               ;   in Loop: Header=BB107_26 Depth=1
	v_cmp_gt_i32_e32 vcc_lo, s11, v53
	v_and_b32_e32 v66, 0xffff0000, v3
	v_cmp_gt_i32_e64 s2, s11, v58
	v_cndmask_b32_e32 v0, 0, v0, vcc_lo
	v_cmp_gt_i32_e32 vcc_lo, s11, v60
	v_cndmask_b32_e64 v1, 0, v1, s2
	v_cmp_gt_i32_e64 s2, s11, v57
	v_cndmask_b32_e32 v65, 0, v65, vcc_lo
	v_cmp_gt_i32_e32 vcc_lo, s11, v59
	v_cndmask_b32_e64 v10, 0, v10, s2
	v_cndmask_b32_sdwa v3, v6, v3, vcc_lo dst_sel:DWORD dst_unused:UNUSED_PAD src0_sel:DWORD src1_sel:WORD_0
	v_cmp_gt_i32_e32 vcc_lo, s11, v56
	v_cndmask_b32_e32 v66, 0, v66, vcc_lo
	v_cmp_gt_i32_e32 vcc_lo, s11, v55
	v_or_b32_e32 v3, v3, v66
	v_cndmask_b32_e32 v2, 0, v2, vcc_lo
	v_cmp_gt_i32_e32 vcc_lo, s11, v54
	v_cndmask_b32_e32 v9, 0, v9, vcc_lo
.LBB107_32:                             ;   in Loop: Header=BB107_26 Depth=1
	s_or_b32 exec_lo, exec_lo, s20
	v_lshlrev_b32_e32 v65, 16, v65
	v_lshlrev_b32_e32 v10, 16, v10
	;; [unrolled: 1-line block ×3, first 2 shown]
	v_and_or_b32 v0, 0xffff, v0, v65
	v_and_or_b32 v1, 0xffff, v1, v10
	;; [unrolled: 1-line block ×3, first 2 shown]
	;;#ASMSTART
	v_pk_mul_f16 v0, v48, v0;

	;;#ASMEND
	;;#ASMSTART
	v_pk_mul_f16 v1, v47, v1;

	;;#ASMEND
	;;#ASMSTART
	v_pk_mul_f16 v2, v49, v2;

	;;#ASMEND
	;;#ASMSTART
	v_pk_mul_f16 v3, v50, v3;

	;;#ASMEND
	;;#ASMSTART
	v_pk_add_f16 v0, v0, v1;

	;;#ASMEND
	;;#ASMSTART
	v_pk_add_f16 v0, v0, v2;

	;;#ASMEND
	;; [unrolled: 4-line block ×3, first 2 shown]
	v_and_b32_e32 v1, 0xffff, v0
	v_lshrrev_b32_e32 v0, 16, v0
	;;#ASMSTART
	v_cvt_f32_f16 v65, v1;
	;;#ASMEND
	;;#ASMSTART
	v_cvt_f32_f16 v66, v0;
	;;#ASMEND
	global_load_dwordx4 v[0:3], v[7:8], off offset:1536
	s_waitcnt vmcnt(0)
	v_lshrrev_b32_e32 v67, 16, v0
	v_lshrrev_b32_e32 v10, 16, v1
	;; [unrolled: 1-line block ×3, first 2 shown]
	s_and_saveexec_b32 s20, s1
	s_cbranch_execz .LBB107_34
; %bb.33:                               ;   in Loop: Header=BB107_26 Depth=1
	v_cmp_gt_i32_e32 vcc_lo, s11, v53
	v_and_b32_e32 v68, 0xffff0000, v3
	v_cmp_gt_i32_e64 s2, s11, v58
	v_cndmask_b32_e32 v0, 0, v0, vcc_lo
	v_cmp_gt_i32_e32 vcc_lo, s11, v60
	v_cndmask_b32_e64 v1, 0, v1, s2
	v_cmp_gt_i32_e64 s2, s11, v57
	v_cndmask_b32_e32 v67, 0, v67, vcc_lo
	v_cmp_gt_i32_e32 vcc_lo, s11, v59
	v_cndmask_b32_e64 v10, 0, v10, s2
	v_cndmask_b32_sdwa v3, v6, v3, vcc_lo dst_sel:DWORD dst_unused:UNUSED_PAD src0_sel:DWORD src1_sel:WORD_0
	v_cmp_gt_i32_e32 vcc_lo, s11, v56
	v_cndmask_b32_e32 v68, 0, v68, vcc_lo
	v_cmp_gt_i32_e32 vcc_lo, s11, v55
	v_or_b32_e32 v3, v3, v68
	v_cndmask_b32_e32 v2, 0, v2, vcc_lo
	v_cmp_gt_i32_e32 vcc_lo, s11, v54
	v_cndmask_b32_e32 v9, 0, v9, vcc_lo
.LBB107_34:                             ;   in Loop: Header=BB107_26 Depth=1
	s_or_b32 exec_lo, exec_lo, s20
	v_lshlrev_b32_e32 v9, 16, v9
	v_lshlrev_b32_e32 v67, 16, v67
	;; [unrolled: 1-line block ×3, first 2 shown]
	v_and_or_b32 v2, 0xffff, v2, v9
	v_add_co_u32 v9, vcc_lo, 0x800, v7
	v_and_or_b32 v0, 0xffff, v0, v67
	v_and_or_b32 v1, 0xffff, v1, v10
	;;#ASMSTART
	v_pk_mul_f16 v0, v48, v0;

	;;#ASMEND
	v_add_co_ci_u32_e64 v10, null, 0, v8, vcc_lo
	;;#ASMSTART
	v_pk_mul_f16 v1, v47, v1;

	;;#ASMEND
	;;#ASMSTART
	v_pk_mul_f16 v2, v49, v2;

	;;#ASMEND
	;; [unrolled: 4-line block ×3, first 2 shown]
	;;#ASMSTART
	v_pk_add_f16 v0, v0, v1;

	;;#ASMEND
	;;#ASMSTART
	v_pk_add_f16 v0, v0, v2;

	;;#ASMEND
	;; [unrolled: 4-line block ×3, first 2 shown]
	v_lshrrev_b32_e32 v1, 16, v0
	v_and_b32_e32 v0, 0xffff, v0
	;;#ASMSTART
	v_cvt_f32_f16 v67, v0;
	;;#ASMEND
	;;#ASMSTART
	v_cvt_f32_f16 v68, v1;
	;;#ASMEND
	global_load_dwordx4 v[0:3], v[9:10], off
	s_waitcnt vmcnt(0)
	v_lshrrev_b32_e32 v71, 16, v0
	v_lshrrev_b32_e32 v70, 16, v1
	;; [unrolled: 1-line block ×3, first 2 shown]
	s_and_saveexec_b32 s20, s1
	s_cbranch_execz .LBB107_36
; %bb.35:                               ;   in Loop: Header=BB107_26 Depth=1
	v_cmp_gt_i32_e32 vcc_lo, s11, v53
	v_and_b32_e32 v72, 0xffff0000, v3
	v_cmp_gt_i32_e64 s2, s11, v58
	v_cndmask_b32_e32 v0, 0, v0, vcc_lo
	v_cmp_gt_i32_e32 vcc_lo, s11, v60
	v_cndmask_b32_e64 v1, 0, v1, s2
	v_cmp_gt_i32_e64 s2, s11, v57
	v_cndmask_b32_e32 v71, 0, v71, vcc_lo
	v_cmp_gt_i32_e32 vcc_lo, s11, v59
	v_cndmask_b32_e64 v70, 0, v70, s2
	v_cndmask_b32_sdwa v3, v6, v3, vcc_lo dst_sel:DWORD dst_unused:UNUSED_PAD src0_sel:DWORD src1_sel:WORD_0
	v_cmp_gt_i32_e32 vcc_lo, s11, v56
	v_cndmask_b32_e32 v72, 0, v72, vcc_lo
	v_cmp_gt_i32_e32 vcc_lo, s11, v55
	v_or_b32_e32 v3, v3, v72
	v_cndmask_b32_e32 v2, 0, v2, vcc_lo
	v_cmp_gt_i32_e32 vcc_lo, s11, v54
	v_cndmask_b32_e32 v69, 0, v69, vcc_lo
.LBB107_36:                             ;   in Loop: Header=BB107_26 Depth=1
	s_or_b32 exec_lo, exec_lo, s20
	v_lshlrev_b32_e32 v71, 16, v71
	v_lshlrev_b32_e32 v70, 16, v70
	;; [unrolled: 1-line block ×3, first 2 shown]
	v_and_or_b32 v0, 0xffff, v0, v71
	v_and_or_b32 v1, 0xffff, v1, v70
	;; [unrolled: 1-line block ×3, first 2 shown]
	;;#ASMSTART
	v_pk_mul_f16 v0, v48, v0;

	;;#ASMEND
	;;#ASMSTART
	v_pk_mul_f16 v1, v47, v1;

	;;#ASMEND
	;; [unrolled: 4-line block ×4, first 2 shown]
	;;#ASMSTART
	v_pk_add_f16 v0, v0, v1;

	;;#ASMEND
	;;#ASMSTART
	v_pk_add_f16 v0, v0, v2;

	;;#ASMEND
	;; [unrolled: 4-line block ×3, first 2 shown]
	v_and_b32_e32 v1, 0xffff, v0
	v_lshrrev_b32_e32 v0, 16, v0
	;;#ASMSTART
	v_cvt_f32_f16 v69, v1;
	;;#ASMEND
	;;#ASMSTART
	v_cvt_f32_f16 v70, v0;
	;;#ASMEND
	global_load_dwordx4 v[0:3], v[9:10], off offset:512
	s_waitcnt vmcnt(0)
	v_lshrrev_b32_e32 v73, 16, v0
	v_lshrrev_b32_e32 v72, 16, v1
	;; [unrolled: 1-line block ×3, first 2 shown]
	s_and_saveexec_b32 s20, s1
	s_cbranch_execz .LBB107_38
; %bb.37:                               ;   in Loop: Header=BB107_26 Depth=1
	v_cmp_gt_i32_e32 vcc_lo, s11, v53
	v_and_b32_e32 v74, 0xffff0000, v3
	v_cmp_gt_i32_e64 s2, s11, v58
	v_cndmask_b32_e32 v0, 0, v0, vcc_lo
	v_cmp_gt_i32_e32 vcc_lo, s11, v60
	v_cndmask_b32_e64 v1, 0, v1, s2
	v_cmp_gt_i32_e64 s2, s11, v57
	v_cndmask_b32_e32 v73, 0, v73, vcc_lo
	v_cmp_gt_i32_e32 vcc_lo, s11, v59
	v_cndmask_b32_e64 v72, 0, v72, s2
	v_cndmask_b32_sdwa v3, v6, v3, vcc_lo dst_sel:DWORD dst_unused:UNUSED_PAD src0_sel:DWORD src1_sel:WORD_0
	v_cmp_gt_i32_e32 vcc_lo, s11, v56
	v_cndmask_b32_e32 v74, 0, v74, vcc_lo
	v_cmp_gt_i32_e32 vcc_lo, s11, v55
	v_or_b32_e32 v3, v3, v74
	v_cndmask_b32_e32 v2, 0, v2, vcc_lo
	v_cmp_gt_i32_e32 vcc_lo, s11, v54
	v_cndmask_b32_e32 v71, 0, v71, vcc_lo
.LBB107_38:                             ;   in Loop: Header=BB107_26 Depth=1
	s_or_b32 exec_lo, exec_lo, s20
	v_lshlrev_b32_e32 v73, 16, v73
	v_lshlrev_b32_e32 v72, 16, v72
	;; [unrolled: 1-line block ×3, first 2 shown]
	v_and_or_b32 v0, 0xffff, v0, v73
	v_and_or_b32 v1, 0xffff, v1, v72
	;; [unrolled: 1-line block ×3, first 2 shown]
	;;#ASMSTART
	v_pk_mul_f16 v0, v48, v0;

	;;#ASMEND
	;;#ASMSTART
	v_pk_mul_f16 v1, v47, v1;

	;;#ASMEND
	;; [unrolled: 4-line block ×4, first 2 shown]
	;;#ASMSTART
	v_pk_add_f16 v0, v0, v1;

	;;#ASMEND
	;;#ASMSTART
	v_pk_add_f16 v0, v0, v2;

	;;#ASMEND
	;; [unrolled: 4-line block ×3, first 2 shown]
	v_and_b32_e32 v1, 0xffff, v0
	v_lshrrev_b32_e32 v0, 16, v0
	;;#ASMSTART
	v_cvt_f32_f16 v71, v1;
	;;#ASMEND
	;;#ASMSTART
	v_cvt_f32_f16 v72, v0;
	;;#ASMEND
	global_load_dwordx4 v[0:3], v[9:10], off offset:1024
	s_waitcnt vmcnt(0)
	v_lshrrev_b32_e32 v75, 16, v0
	v_lshrrev_b32_e32 v74, 16, v1
	;; [unrolled: 1-line block ×3, first 2 shown]
	s_and_saveexec_b32 s20, s1
	s_cbranch_execz .LBB107_40
; %bb.39:                               ;   in Loop: Header=BB107_26 Depth=1
	v_cmp_gt_i32_e32 vcc_lo, s11, v53
	v_and_b32_e32 v76, 0xffff0000, v3
	v_cmp_gt_i32_e64 s2, s11, v58
	v_cndmask_b32_e32 v0, 0, v0, vcc_lo
	v_cmp_gt_i32_e32 vcc_lo, s11, v60
	v_cndmask_b32_e64 v1, 0, v1, s2
	v_cmp_gt_i32_e64 s2, s11, v57
	v_cndmask_b32_e32 v75, 0, v75, vcc_lo
	v_cmp_gt_i32_e32 vcc_lo, s11, v59
	v_cndmask_b32_e64 v74, 0, v74, s2
	v_cndmask_b32_sdwa v3, v6, v3, vcc_lo dst_sel:DWORD dst_unused:UNUSED_PAD src0_sel:DWORD src1_sel:WORD_0
	v_cmp_gt_i32_e32 vcc_lo, s11, v56
	v_cndmask_b32_e32 v76, 0, v76, vcc_lo
	v_cmp_gt_i32_e32 vcc_lo, s11, v55
	v_or_b32_e32 v3, v3, v76
	v_cndmask_b32_e32 v2, 0, v2, vcc_lo
	v_cmp_gt_i32_e32 vcc_lo, s11, v54
	v_cndmask_b32_e32 v73, 0, v73, vcc_lo
.LBB107_40:                             ;   in Loop: Header=BB107_26 Depth=1
	s_or_b32 exec_lo, exec_lo, s20
	v_lshlrev_b32_e32 v75, 16, v75
	v_lshlrev_b32_e32 v74, 16, v74
	;; [unrolled: 1-line block ×3, first 2 shown]
	v_and_or_b32 v0, 0xffff, v0, v75
	v_and_or_b32 v1, 0xffff, v1, v74
	;; [unrolled: 1-line block ×3, first 2 shown]
	;;#ASMSTART
	v_pk_mul_f16 v0, v48, v0;

	;;#ASMEND
	;;#ASMSTART
	v_pk_mul_f16 v1, v47, v1;

	;;#ASMEND
	;; [unrolled: 4-line block ×4, first 2 shown]
	;;#ASMSTART
	v_pk_add_f16 v0, v0, v1;

	;;#ASMEND
	;;#ASMSTART
	v_pk_add_f16 v0, v0, v2;

	;;#ASMEND
	;; [unrolled: 4-line block ×3, first 2 shown]
	v_and_b32_e32 v1, 0xffff, v0
	v_lshrrev_b32_e32 v0, 16, v0
	;;#ASMSTART
	v_cvt_f32_f16 v73, v1;
	;;#ASMEND
	;;#ASMSTART
	v_cvt_f32_f16 v74, v0;
	;;#ASMEND
	global_load_dwordx4 v[0:3], v[9:10], off offset:1536
	s_waitcnt vmcnt(0)
	v_lshrrev_b32_e32 v75, 16, v0
	v_lshrrev_b32_e32 v10, 16, v1
	;; [unrolled: 1-line block ×3, first 2 shown]
	s_and_saveexec_b32 s20, s1
	s_cbranch_execz .LBB107_42
; %bb.41:                               ;   in Loop: Header=BB107_26 Depth=1
	v_cmp_gt_i32_e32 vcc_lo, s11, v53
	v_and_b32_e32 v76, 0xffff0000, v3
	v_cmp_gt_i32_e64 s2, s11, v58
	v_cndmask_b32_e32 v0, 0, v0, vcc_lo
	v_cmp_gt_i32_e32 vcc_lo, s11, v60
	v_cndmask_b32_e64 v1, 0, v1, s2
	v_cmp_gt_i32_e64 s2, s11, v57
	v_cndmask_b32_e32 v75, 0, v75, vcc_lo
	v_cmp_gt_i32_e32 vcc_lo, s11, v59
	v_cndmask_b32_e64 v10, 0, v10, s2
	v_cndmask_b32_sdwa v3, v6, v3, vcc_lo dst_sel:DWORD dst_unused:UNUSED_PAD src0_sel:DWORD src1_sel:WORD_0
	v_cmp_gt_i32_e32 vcc_lo, s11, v56
	v_cndmask_b32_e32 v76, 0, v76, vcc_lo
	v_cmp_gt_i32_e32 vcc_lo, s11, v55
	v_or_b32_e32 v3, v3, v76
	v_cndmask_b32_e32 v2, 0, v2, vcc_lo
	v_cmp_gt_i32_e32 vcc_lo, s11, v54
	v_cndmask_b32_e32 v9, 0, v9, vcc_lo
.LBB107_42:                             ;   in Loop: Header=BB107_26 Depth=1
	s_or_b32 exec_lo, exec_lo, s20
	v_lshlrev_b32_e32 v9, 16, v9
	v_lshlrev_b32_e32 v75, 16, v75
	;; [unrolled: 1-line block ×3, first 2 shown]
	v_and_or_b32 v2, 0xffff, v2, v9
	v_add_co_u32 v9, vcc_lo, 0x1000, v7
	v_and_or_b32 v0, 0xffff, v0, v75
	v_and_or_b32 v1, 0xffff, v1, v10
	;;#ASMSTART
	v_pk_mul_f16 v0, v48, v0;

	;;#ASMEND
	v_add_co_ci_u32_e64 v10, null, 0, v8, vcc_lo
	;;#ASMSTART
	v_pk_mul_f16 v1, v47, v1;

	;;#ASMEND
	;;#ASMSTART
	v_pk_mul_f16 v2, v49, v2;

	;;#ASMEND
	;; [unrolled: 4-line block ×3, first 2 shown]
	;;#ASMSTART
	v_pk_add_f16 v0, v0, v1;

	;;#ASMEND
	;;#ASMSTART
	v_pk_add_f16 v0, v0, v2;

	;;#ASMEND
	;; [unrolled: 4-line block ×3, first 2 shown]
	v_lshrrev_b32_e32 v1, 16, v0
	v_and_b32_e32 v0, 0xffff, v0
	;;#ASMSTART
	v_cvt_f32_f16 v75, v0;
	;;#ASMEND
	;;#ASMSTART
	v_cvt_f32_f16 v76, v1;
	;;#ASMEND
	global_load_dwordx4 v[0:3], v[9:10], off
	s_waitcnt vmcnt(0)
	v_lshrrev_b32_e32 v79, 16, v0
	v_lshrrev_b32_e32 v78, 16, v1
	;; [unrolled: 1-line block ×3, first 2 shown]
	s_and_saveexec_b32 s20, s1
	s_cbranch_execz .LBB107_44
; %bb.43:                               ;   in Loop: Header=BB107_26 Depth=1
	v_cmp_gt_i32_e32 vcc_lo, s11, v53
	v_and_b32_e32 v80, 0xffff0000, v3
	v_cmp_gt_i32_e64 s2, s11, v58
	v_cndmask_b32_e32 v0, 0, v0, vcc_lo
	v_cmp_gt_i32_e32 vcc_lo, s11, v60
	v_cndmask_b32_e64 v1, 0, v1, s2
	v_cmp_gt_i32_e64 s2, s11, v57
	v_cndmask_b32_e32 v79, 0, v79, vcc_lo
	v_cmp_gt_i32_e32 vcc_lo, s11, v59
	v_cndmask_b32_e64 v78, 0, v78, s2
	v_cndmask_b32_sdwa v3, v6, v3, vcc_lo dst_sel:DWORD dst_unused:UNUSED_PAD src0_sel:DWORD src1_sel:WORD_0
	v_cmp_gt_i32_e32 vcc_lo, s11, v56
	v_cndmask_b32_e32 v80, 0, v80, vcc_lo
	v_cmp_gt_i32_e32 vcc_lo, s11, v55
	v_or_b32_e32 v3, v3, v80
	v_cndmask_b32_e32 v2, 0, v2, vcc_lo
	v_cmp_gt_i32_e32 vcc_lo, s11, v54
	v_cndmask_b32_e32 v77, 0, v77, vcc_lo
.LBB107_44:                             ;   in Loop: Header=BB107_26 Depth=1
	s_or_b32 exec_lo, exec_lo, s20
	v_lshlrev_b32_e32 v79, 16, v79
	v_lshlrev_b32_e32 v78, 16, v78
	;; [unrolled: 1-line block ×3, first 2 shown]
	v_and_or_b32 v0, 0xffff, v0, v79
	v_and_or_b32 v1, 0xffff, v1, v78
	v_and_or_b32 v2, 0xffff, v2, v77
	;;#ASMSTART
	v_pk_mul_f16 v0, v48, v0;

	;;#ASMEND
	;;#ASMSTART
	v_pk_mul_f16 v1, v47, v1;

	;;#ASMEND
	;; [unrolled: 4-line block ×4, first 2 shown]
	;;#ASMSTART
	v_pk_add_f16 v0, v0, v1;

	;;#ASMEND
	;;#ASMSTART
	v_pk_add_f16 v0, v0, v2;

	;;#ASMEND
	;; [unrolled: 4-line block ×3, first 2 shown]
	v_and_b32_e32 v1, 0xffff, v0
	v_lshrrev_b32_e32 v0, 16, v0
	;;#ASMSTART
	v_cvt_f32_f16 v77, v1;
	;;#ASMEND
	;;#ASMSTART
	v_cvt_f32_f16 v78, v0;
	;;#ASMEND
	global_load_dwordx4 v[0:3], v[9:10], off offset:512
	s_waitcnt vmcnt(0)
	v_lshrrev_b32_e32 v81, 16, v0
	v_lshrrev_b32_e32 v80, 16, v1
	v_lshrrev_b32_e32 v79, 16, v2
	s_and_saveexec_b32 s20, s1
	s_cbranch_execz .LBB107_46
; %bb.45:                               ;   in Loop: Header=BB107_26 Depth=1
	v_cmp_gt_i32_e32 vcc_lo, s11, v53
	v_and_b32_e32 v82, 0xffff0000, v3
	v_cmp_gt_i32_e64 s2, s11, v58
	v_cndmask_b32_e32 v0, 0, v0, vcc_lo
	v_cmp_gt_i32_e32 vcc_lo, s11, v60
	v_cndmask_b32_e64 v1, 0, v1, s2
	v_cmp_gt_i32_e64 s2, s11, v57
	v_cndmask_b32_e32 v81, 0, v81, vcc_lo
	v_cmp_gt_i32_e32 vcc_lo, s11, v59
	v_cndmask_b32_e64 v80, 0, v80, s2
	v_cndmask_b32_sdwa v3, v6, v3, vcc_lo dst_sel:DWORD dst_unused:UNUSED_PAD src0_sel:DWORD src1_sel:WORD_0
	v_cmp_gt_i32_e32 vcc_lo, s11, v56
	v_cndmask_b32_e32 v82, 0, v82, vcc_lo
	v_cmp_gt_i32_e32 vcc_lo, s11, v55
	v_or_b32_e32 v3, v3, v82
	v_cndmask_b32_e32 v2, 0, v2, vcc_lo
	v_cmp_gt_i32_e32 vcc_lo, s11, v54
	v_cndmask_b32_e32 v79, 0, v79, vcc_lo
.LBB107_46:                             ;   in Loop: Header=BB107_26 Depth=1
	s_or_b32 exec_lo, exec_lo, s20
	v_lshlrev_b32_e32 v81, 16, v81
	v_lshlrev_b32_e32 v80, 16, v80
	;; [unrolled: 1-line block ×3, first 2 shown]
	v_and_or_b32 v0, 0xffff, v0, v81
	v_and_or_b32 v1, 0xffff, v1, v80
	;; [unrolled: 1-line block ×3, first 2 shown]
	;;#ASMSTART
	v_pk_mul_f16 v0, v48, v0;

	;;#ASMEND
	;;#ASMSTART
	v_pk_mul_f16 v1, v47, v1;

	;;#ASMEND
	;; [unrolled: 4-line block ×4, first 2 shown]
	;;#ASMSTART
	v_pk_add_f16 v0, v0, v1;

	;;#ASMEND
	;;#ASMSTART
	v_pk_add_f16 v0, v0, v2;

	;;#ASMEND
	;; [unrolled: 4-line block ×3, first 2 shown]
	v_and_b32_e32 v1, 0xffff, v0
	v_lshrrev_b32_e32 v0, 16, v0
	;;#ASMSTART
	v_cvt_f32_f16 v79, v1;
	;;#ASMEND
	;;#ASMSTART
	v_cvt_f32_f16 v80, v0;
	;;#ASMEND
	global_load_dwordx4 v[0:3], v[9:10], off offset:1024
	s_waitcnt vmcnt(0)
	v_lshrrev_b32_e32 v83, 16, v0
	v_lshrrev_b32_e32 v82, 16, v1
	;; [unrolled: 1-line block ×3, first 2 shown]
	s_and_saveexec_b32 s20, s1
	s_cbranch_execz .LBB107_48
; %bb.47:                               ;   in Loop: Header=BB107_26 Depth=1
	v_cmp_gt_i32_e32 vcc_lo, s11, v53
	v_and_b32_e32 v84, 0xffff0000, v3
	v_cmp_gt_i32_e64 s2, s11, v58
	v_cndmask_b32_e32 v0, 0, v0, vcc_lo
	v_cmp_gt_i32_e32 vcc_lo, s11, v60
	v_cndmask_b32_e64 v1, 0, v1, s2
	v_cmp_gt_i32_e64 s2, s11, v57
	v_cndmask_b32_e32 v83, 0, v83, vcc_lo
	v_cmp_gt_i32_e32 vcc_lo, s11, v59
	v_cndmask_b32_e64 v82, 0, v82, s2
	v_cndmask_b32_sdwa v3, v6, v3, vcc_lo dst_sel:DWORD dst_unused:UNUSED_PAD src0_sel:DWORD src1_sel:WORD_0
	v_cmp_gt_i32_e32 vcc_lo, s11, v56
	v_cndmask_b32_e32 v84, 0, v84, vcc_lo
	v_cmp_gt_i32_e32 vcc_lo, s11, v55
	v_or_b32_e32 v3, v3, v84
	v_cndmask_b32_e32 v2, 0, v2, vcc_lo
	v_cmp_gt_i32_e32 vcc_lo, s11, v54
	v_cndmask_b32_e32 v81, 0, v81, vcc_lo
.LBB107_48:                             ;   in Loop: Header=BB107_26 Depth=1
	s_or_b32 exec_lo, exec_lo, s20
	v_lshlrev_b32_e32 v83, 16, v83
	v_lshlrev_b32_e32 v82, 16, v82
	;; [unrolled: 1-line block ×3, first 2 shown]
	v_and_or_b32 v0, 0xffff, v0, v83
	v_and_or_b32 v1, 0xffff, v1, v82
	;; [unrolled: 1-line block ×3, first 2 shown]
	;;#ASMSTART
	v_pk_mul_f16 v0, v48, v0;

	;;#ASMEND
	;;#ASMSTART
	v_pk_mul_f16 v1, v47, v1;

	;;#ASMEND
	;; [unrolled: 4-line block ×4, first 2 shown]
	;;#ASMSTART
	v_pk_add_f16 v0, v0, v1;

	;;#ASMEND
	;;#ASMSTART
	v_pk_add_f16 v0, v0, v2;

	;;#ASMEND
	;; [unrolled: 4-line block ×3, first 2 shown]
	v_and_b32_e32 v1, 0xffff, v0
	v_lshrrev_b32_e32 v0, 16, v0
	;;#ASMSTART
	v_cvt_f32_f16 v81, v1;
	;;#ASMEND
	;;#ASMSTART
	v_cvt_f32_f16 v82, v0;
	;;#ASMEND
	global_load_dwordx4 v[0:3], v[9:10], off offset:1536
	s_waitcnt vmcnt(0)
	v_lshrrev_b32_e32 v83, 16, v0
	v_lshrrev_b32_e32 v10, 16, v1
	;; [unrolled: 1-line block ×3, first 2 shown]
	s_and_saveexec_b32 s20, s1
	s_cbranch_execz .LBB107_50
; %bb.49:                               ;   in Loop: Header=BB107_26 Depth=1
	v_cmp_gt_i32_e32 vcc_lo, s11, v53
	v_and_b32_e32 v84, 0xffff0000, v3
	v_cmp_gt_i32_e64 s2, s11, v58
	v_cndmask_b32_e32 v0, 0, v0, vcc_lo
	v_cmp_gt_i32_e32 vcc_lo, s11, v60
	v_cndmask_b32_e64 v1, 0, v1, s2
	v_cmp_gt_i32_e64 s2, s11, v57
	v_cndmask_b32_e32 v83, 0, v83, vcc_lo
	v_cmp_gt_i32_e32 vcc_lo, s11, v59
	v_cndmask_b32_e64 v10, 0, v10, s2
	v_cndmask_b32_sdwa v3, v6, v3, vcc_lo dst_sel:DWORD dst_unused:UNUSED_PAD src0_sel:DWORD src1_sel:WORD_0
	v_cmp_gt_i32_e32 vcc_lo, s11, v56
	v_cndmask_b32_e32 v84, 0, v84, vcc_lo
	v_cmp_gt_i32_e32 vcc_lo, s11, v55
	v_or_b32_e32 v3, v3, v84
	v_cndmask_b32_e32 v2, 0, v2, vcc_lo
	v_cmp_gt_i32_e32 vcc_lo, s11, v54
	v_cndmask_b32_e32 v9, 0, v9, vcc_lo
.LBB107_50:                             ;   in Loop: Header=BB107_26 Depth=1
	s_or_b32 exec_lo, exec_lo, s20
	v_lshlrev_b32_e32 v9, 16, v9
	v_lshlrev_b32_e32 v83, 16, v83
	;; [unrolled: 1-line block ×3, first 2 shown]
	v_and_or_b32 v2, 0xffff, v2, v9
	v_add_co_u32 v9, vcc_lo, 0x1800, v7
	v_and_or_b32 v0, 0xffff, v0, v83
	v_and_or_b32 v1, 0xffff, v1, v10
	;;#ASMSTART
	v_pk_mul_f16 v0, v48, v0;

	;;#ASMEND
	v_add_co_ci_u32_e64 v10, null, 0, v8, vcc_lo
	;;#ASMSTART
	v_pk_mul_f16 v1, v47, v1;

	;;#ASMEND
	;;#ASMSTART
	v_pk_mul_f16 v2, v49, v2;

	;;#ASMEND
	;; [unrolled: 4-line block ×3, first 2 shown]
	;;#ASMSTART
	v_pk_add_f16 v0, v0, v1;

	;;#ASMEND
	;;#ASMSTART
	v_pk_add_f16 v0, v0, v2;

	;;#ASMEND
	;; [unrolled: 4-line block ×3, first 2 shown]
	v_lshrrev_b32_e32 v1, 16, v0
	v_and_b32_e32 v0, 0xffff, v0
	;;#ASMSTART
	v_cvt_f32_f16 v83, v0;
	;;#ASMEND
	;;#ASMSTART
	v_cvt_f32_f16 v84, v1;
	;;#ASMEND
	global_load_dwordx4 v[0:3], v[9:10], off
	s_waitcnt vmcnt(0)
	v_lshrrev_b32_e32 v87, 16, v0
	v_lshrrev_b32_e32 v86, 16, v1
	;; [unrolled: 1-line block ×3, first 2 shown]
	s_and_saveexec_b32 s20, s1
	s_cbranch_execz .LBB107_52
; %bb.51:                               ;   in Loop: Header=BB107_26 Depth=1
	v_cmp_gt_i32_e32 vcc_lo, s11, v53
	v_and_b32_e32 v88, 0xffff0000, v3
	v_cmp_gt_i32_e64 s2, s11, v58
	v_cndmask_b32_e32 v0, 0, v0, vcc_lo
	v_cmp_gt_i32_e32 vcc_lo, s11, v60
	v_cndmask_b32_e64 v1, 0, v1, s2
	v_cmp_gt_i32_e64 s2, s11, v57
	v_cndmask_b32_e32 v87, 0, v87, vcc_lo
	v_cmp_gt_i32_e32 vcc_lo, s11, v59
	v_cndmask_b32_e64 v86, 0, v86, s2
	v_cndmask_b32_sdwa v3, v6, v3, vcc_lo dst_sel:DWORD dst_unused:UNUSED_PAD src0_sel:DWORD src1_sel:WORD_0
	v_cmp_gt_i32_e32 vcc_lo, s11, v56
	v_cndmask_b32_e32 v88, 0, v88, vcc_lo
	v_cmp_gt_i32_e32 vcc_lo, s11, v55
	v_or_b32_e32 v3, v3, v88
	v_cndmask_b32_e32 v2, 0, v2, vcc_lo
	v_cmp_gt_i32_e32 vcc_lo, s11, v54
	v_cndmask_b32_e32 v85, 0, v85, vcc_lo
.LBB107_52:                             ;   in Loop: Header=BB107_26 Depth=1
	s_or_b32 exec_lo, exec_lo, s20
	v_lshlrev_b32_e32 v87, 16, v87
	v_lshlrev_b32_e32 v86, 16, v86
	;; [unrolled: 1-line block ×3, first 2 shown]
	v_and_or_b32 v0, 0xffff, v0, v87
	v_and_or_b32 v1, 0xffff, v1, v86
	;; [unrolled: 1-line block ×3, first 2 shown]
	;;#ASMSTART
	v_pk_mul_f16 v0, v48, v0;

	;;#ASMEND
	;;#ASMSTART
	v_pk_mul_f16 v1, v47, v1;

	;;#ASMEND
	;; [unrolled: 4-line block ×4, first 2 shown]
	;;#ASMSTART
	v_pk_add_f16 v0, v0, v1;

	;;#ASMEND
	;;#ASMSTART
	v_pk_add_f16 v0, v0, v2;

	;;#ASMEND
	;; [unrolled: 4-line block ×3, first 2 shown]
	v_and_b32_e32 v1, 0xffff, v0
	v_lshrrev_b32_e32 v0, 16, v0
	;;#ASMSTART
	v_cvt_f32_f16 v85, v1;
	;;#ASMEND
	;;#ASMSTART
	v_cvt_f32_f16 v86, v0;
	;;#ASMEND
	global_load_dwordx4 v[0:3], v[9:10], off offset:512
	s_waitcnt vmcnt(0)
	v_lshrrev_b32_e32 v89, 16, v0
	v_lshrrev_b32_e32 v88, 16, v1
	v_lshrrev_b32_e32 v87, 16, v2
	s_and_saveexec_b32 s20, s1
	s_cbranch_execz .LBB107_54
; %bb.53:                               ;   in Loop: Header=BB107_26 Depth=1
	v_cmp_gt_i32_e32 vcc_lo, s11, v53
	v_and_b32_e32 v90, 0xffff0000, v3
	v_cmp_gt_i32_e64 s2, s11, v58
	v_cndmask_b32_e32 v0, 0, v0, vcc_lo
	v_cmp_gt_i32_e32 vcc_lo, s11, v60
	v_cndmask_b32_e64 v1, 0, v1, s2
	v_cmp_gt_i32_e64 s2, s11, v57
	v_cndmask_b32_e32 v89, 0, v89, vcc_lo
	v_cmp_gt_i32_e32 vcc_lo, s11, v59
	v_cndmask_b32_e64 v88, 0, v88, s2
	v_cndmask_b32_sdwa v3, v6, v3, vcc_lo dst_sel:DWORD dst_unused:UNUSED_PAD src0_sel:DWORD src1_sel:WORD_0
	v_cmp_gt_i32_e32 vcc_lo, s11, v56
	v_cndmask_b32_e32 v90, 0, v90, vcc_lo
	v_cmp_gt_i32_e32 vcc_lo, s11, v55
	v_or_b32_e32 v3, v3, v90
	v_cndmask_b32_e32 v2, 0, v2, vcc_lo
	v_cmp_gt_i32_e32 vcc_lo, s11, v54
	v_cndmask_b32_e32 v87, 0, v87, vcc_lo
.LBB107_54:                             ;   in Loop: Header=BB107_26 Depth=1
	s_or_b32 exec_lo, exec_lo, s20
	v_lshlrev_b32_e32 v89, 16, v89
	v_lshlrev_b32_e32 v88, 16, v88
	;; [unrolled: 1-line block ×3, first 2 shown]
	v_and_or_b32 v0, 0xffff, v0, v89
	v_and_or_b32 v1, 0xffff, v1, v88
	;; [unrolled: 1-line block ×3, first 2 shown]
	;;#ASMSTART
	v_pk_mul_f16 v0, v48, v0;

	;;#ASMEND
	;;#ASMSTART
	v_pk_mul_f16 v1, v47, v1;

	;;#ASMEND
	;; [unrolled: 4-line block ×4, first 2 shown]
	;;#ASMSTART
	v_pk_add_f16 v0, v0, v1;

	;;#ASMEND
	;;#ASMSTART
	v_pk_add_f16 v0, v0, v2;

	;;#ASMEND
	;; [unrolled: 4-line block ×3, first 2 shown]
	v_and_b32_e32 v1, 0xffff, v0
	v_lshrrev_b32_e32 v0, 16, v0
	;;#ASMSTART
	v_cvt_f32_f16 v87, v1;
	;;#ASMEND
	;;#ASMSTART
	v_cvt_f32_f16 v88, v0;
	;;#ASMEND
	global_load_dwordx4 v[0:3], v[9:10], off offset:1024
	s_waitcnt vmcnt(0)
	v_lshrrev_b32_e32 v91, 16, v0
	v_lshrrev_b32_e32 v90, 16, v1
	;; [unrolled: 1-line block ×3, first 2 shown]
	s_and_saveexec_b32 s20, s1
	s_cbranch_execz .LBB107_56
; %bb.55:                               ;   in Loop: Header=BB107_26 Depth=1
	v_cmp_gt_i32_e32 vcc_lo, s11, v53
	v_and_b32_e32 v92, 0xffff0000, v3
	v_cmp_gt_i32_e64 s2, s11, v58
	v_cndmask_b32_e32 v0, 0, v0, vcc_lo
	v_cmp_gt_i32_e32 vcc_lo, s11, v60
	v_cndmask_b32_e64 v1, 0, v1, s2
	v_cmp_gt_i32_e64 s2, s11, v57
	v_cndmask_b32_e32 v91, 0, v91, vcc_lo
	v_cmp_gt_i32_e32 vcc_lo, s11, v59
	v_cndmask_b32_e64 v90, 0, v90, s2
	v_cndmask_b32_sdwa v3, v6, v3, vcc_lo dst_sel:DWORD dst_unused:UNUSED_PAD src0_sel:DWORD src1_sel:WORD_0
	v_cmp_gt_i32_e32 vcc_lo, s11, v56
	v_cndmask_b32_e32 v92, 0, v92, vcc_lo
	v_cmp_gt_i32_e32 vcc_lo, s11, v55
	v_or_b32_e32 v3, v3, v92
	v_cndmask_b32_e32 v2, 0, v2, vcc_lo
	v_cmp_gt_i32_e32 vcc_lo, s11, v54
	v_cndmask_b32_e32 v89, 0, v89, vcc_lo
.LBB107_56:                             ;   in Loop: Header=BB107_26 Depth=1
	s_or_b32 exec_lo, exec_lo, s20
	v_lshlrev_b32_e32 v91, 16, v91
	v_lshlrev_b32_e32 v90, 16, v90
	;; [unrolled: 1-line block ×3, first 2 shown]
	v_and_or_b32 v0, 0xffff, v0, v91
	v_and_or_b32 v1, 0xffff, v1, v90
	v_and_or_b32 v2, 0xffff, v2, v89
	;;#ASMSTART
	v_pk_mul_f16 v0, v48, v0;

	;;#ASMEND
	;;#ASMSTART
	v_pk_mul_f16 v1, v47, v1;

	;;#ASMEND
	;; [unrolled: 4-line block ×4, first 2 shown]
	;;#ASMSTART
	v_pk_add_f16 v0, v0, v1;

	;;#ASMEND
	;;#ASMSTART
	v_pk_add_f16 v0, v0, v2;

	;;#ASMEND
	;; [unrolled: 4-line block ×3, first 2 shown]
	v_and_b32_e32 v1, 0xffff, v0
	v_lshrrev_b32_e32 v0, 16, v0
	;;#ASMSTART
	v_cvt_f32_f16 v89, v1;
	;;#ASMEND
	;;#ASMSTART
	v_cvt_f32_f16 v90, v0;
	;;#ASMEND
	global_load_dwordx4 v[0:3], v[9:10], off offset:1536
	s_waitcnt vmcnt(0)
	v_lshrrev_b32_e32 v91, 16, v0
	v_lshrrev_b32_e32 v10, 16, v1
	;; [unrolled: 1-line block ×3, first 2 shown]
	s_and_saveexec_b32 s20, s1
	s_cbranch_execz .LBB107_58
; %bb.57:                               ;   in Loop: Header=BB107_26 Depth=1
	v_cmp_gt_i32_e32 vcc_lo, s11, v53
	v_and_b32_e32 v92, 0xffff0000, v3
	v_cmp_gt_i32_e64 s2, s11, v58
	v_cndmask_b32_e32 v0, 0, v0, vcc_lo
	v_cmp_gt_i32_e32 vcc_lo, s11, v60
	v_cndmask_b32_e64 v1, 0, v1, s2
	v_cmp_gt_i32_e64 s2, s11, v57
	v_cndmask_b32_e32 v91, 0, v91, vcc_lo
	v_cmp_gt_i32_e32 vcc_lo, s11, v59
	v_cndmask_b32_e64 v10, 0, v10, s2
	v_cndmask_b32_sdwa v3, v6, v3, vcc_lo dst_sel:DWORD dst_unused:UNUSED_PAD src0_sel:DWORD src1_sel:WORD_0
	v_cmp_gt_i32_e32 vcc_lo, s11, v56
	v_cndmask_b32_e32 v92, 0, v92, vcc_lo
	v_cmp_gt_i32_e32 vcc_lo, s11, v55
	v_or_b32_e32 v3, v3, v92
	v_cndmask_b32_e32 v2, 0, v2, vcc_lo
	v_cmp_gt_i32_e32 vcc_lo, s11, v54
	v_cndmask_b32_e32 v9, 0, v9, vcc_lo
.LBB107_58:                             ;   in Loop: Header=BB107_26 Depth=1
	s_or_b32 exec_lo, exec_lo, s20
	v_lshlrev_b32_e32 v9, 16, v9
	v_lshlrev_b32_e32 v91, 16, v91
	;; [unrolled: 1-line block ×3, first 2 shown]
	v_and_or_b32 v2, 0xffff, v2, v9
	v_add_co_u32 v9, vcc_lo, 0x2000, v7
	v_and_or_b32 v0, 0xffff, v0, v91
	v_and_or_b32 v1, 0xffff, v1, v10
	;;#ASMSTART
	v_pk_mul_f16 v0, v48, v0;

	;;#ASMEND
	v_add_co_ci_u32_e64 v10, null, 0, v8, vcc_lo
	;;#ASMSTART
	v_pk_mul_f16 v1, v47, v1;

	;;#ASMEND
	;;#ASMSTART
	v_pk_mul_f16 v2, v49, v2;

	;;#ASMEND
	;; [unrolled: 4-line block ×3, first 2 shown]
	;;#ASMSTART
	v_pk_add_f16 v0, v0, v1;

	;;#ASMEND
	;;#ASMSTART
	v_pk_add_f16 v0, v0, v2;

	;;#ASMEND
	;; [unrolled: 4-line block ×3, first 2 shown]
	v_lshrrev_b32_e32 v1, 16, v0
	v_and_b32_e32 v0, 0xffff, v0
	;;#ASMSTART
	v_cvt_f32_f16 v91, v0;
	;;#ASMEND
	;;#ASMSTART
	v_cvt_f32_f16 v92, v1;
	;;#ASMEND
	global_load_dwordx4 v[0:3], v[9:10], off
	s_waitcnt vmcnt(0)
	v_lshrrev_b32_e32 v95, 16, v0
	v_lshrrev_b32_e32 v94, 16, v1
	;; [unrolled: 1-line block ×3, first 2 shown]
	s_and_saveexec_b32 s20, s1
	s_cbranch_execz .LBB107_60
; %bb.59:                               ;   in Loop: Header=BB107_26 Depth=1
	v_cmp_gt_i32_e32 vcc_lo, s11, v53
	v_and_b32_e32 v96, 0xffff0000, v3
	v_cmp_gt_i32_e64 s2, s11, v58
	v_cndmask_b32_e32 v0, 0, v0, vcc_lo
	v_cmp_gt_i32_e32 vcc_lo, s11, v60
	v_cndmask_b32_e64 v1, 0, v1, s2
	v_cmp_gt_i32_e64 s2, s11, v57
	v_cndmask_b32_e32 v95, 0, v95, vcc_lo
	v_cmp_gt_i32_e32 vcc_lo, s11, v59
	v_cndmask_b32_e64 v94, 0, v94, s2
	v_cndmask_b32_sdwa v3, v6, v3, vcc_lo dst_sel:DWORD dst_unused:UNUSED_PAD src0_sel:DWORD src1_sel:WORD_0
	v_cmp_gt_i32_e32 vcc_lo, s11, v56
	v_cndmask_b32_e32 v96, 0, v96, vcc_lo
	v_cmp_gt_i32_e32 vcc_lo, s11, v55
	v_or_b32_e32 v3, v3, v96
	v_cndmask_b32_e32 v2, 0, v2, vcc_lo
	v_cmp_gt_i32_e32 vcc_lo, s11, v54
	v_cndmask_b32_e32 v93, 0, v93, vcc_lo
.LBB107_60:                             ;   in Loop: Header=BB107_26 Depth=1
	s_or_b32 exec_lo, exec_lo, s20
	v_lshlrev_b32_e32 v95, 16, v95
	v_lshlrev_b32_e32 v94, 16, v94
	;; [unrolled: 1-line block ×3, first 2 shown]
	v_and_or_b32 v0, 0xffff, v0, v95
	v_and_or_b32 v1, 0xffff, v1, v94
	;; [unrolled: 1-line block ×3, first 2 shown]
	;;#ASMSTART
	v_pk_mul_f16 v0, v48, v0;

	;;#ASMEND
	;;#ASMSTART
	v_pk_mul_f16 v1, v47, v1;

	;;#ASMEND
	;; [unrolled: 4-line block ×4, first 2 shown]
	;;#ASMSTART
	v_pk_add_f16 v0, v0, v1;

	;;#ASMEND
	;;#ASMSTART
	v_pk_add_f16 v0, v0, v2;

	;;#ASMEND
	;;#ASMSTART
	v_pk_add_f16 v0, v0, v3;

	;;#ASMEND
	v_and_b32_e32 v1, 0xffff, v0
	v_lshrrev_b32_e32 v0, 16, v0
	;;#ASMSTART
	v_cvt_f32_f16 v93, v1;
	;;#ASMEND
	;;#ASMSTART
	v_cvt_f32_f16 v94, v0;
	;;#ASMEND
	global_load_dwordx4 v[0:3], v[9:10], off offset:512
	s_waitcnt vmcnt(0)
	v_lshrrev_b32_e32 v97, 16, v0
	v_lshrrev_b32_e32 v96, 16, v1
	v_lshrrev_b32_e32 v95, 16, v2
	s_and_saveexec_b32 s20, s1
	s_cbranch_execz .LBB107_62
; %bb.61:                               ;   in Loop: Header=BB107_26 Depth=1
	v_cmp_gt_i32_e32 vcc_lo, s11, v53
	v_and_b32_e32 v98, 0xffff0000, v3
	v_cmp_gt_i32_e64 s2, s11, v58
	v_cndmask_b32_e32 v0, 0, v0, vcc_lo
	v_cmp_gt_i32_e32 vcc_lo, s11, v60
	v_cndmask_b32_e64 v1, 0, v1, s2
	v_cmp_gt_i32_e64 s2, s11, v57
	v_cndmask_b32_e32 v97, 0, v97, vcc_lo
	v_cmp_gt_i32_e32 vcc_lo, s11, v59
	v_cndmask_b32_e64 v96, 0, v96, s2
	v_cndmask_b32_sdwa v3, v6, v3, vcc_lo dst_sel:DWORD dst_unused:UNUSED_PAD src0_sel:DWORD src1_sel:WORD_0
	v_cmp_gt_i32_e32 vcc_lo, s11, v56
	v_cndmask_b32_e32 v98, 0, v98, vcc_lo
	v_cmp_gt_i32_e32 vcc_lo, s11, v55
	v_or_b32_e32 v3, v3, v98
	v_cndmask_b32_e32 v2, 0, v2, vcc_lo
	v_cmp_gt_i32_e32 vcc_lo, s11, v54
	v_cndmask_b32_e32 v95, 0, v95, vcc_lo
.LBB107_62:                             ;   in Loop: Header=BB107_26 Depth=1
	s_or_b32 exec_lo, exec_lo, s20
	v_lshlrev_b32_e32 v97, 16, v97
	v_lshlrev_b32_e32 v96, 16, v96
	;; [unrolled: 1-line block ×3, first 2 shown]
	v_and_or_b32 v0, 0xffff, v0, v97
	v_and_or_b32 v1, 0xffff, v1, v96
	;; [unrolled: 1-line block ×3, first 2 shown]
	;;#ASMSTART
	v_pk_mul_f16 v0, v48, v0;

	;;#ASMEND
	;;#ASMSTART
	v_pk_mul_f16 v1, v47, v1;

	;;#ASMEND
	;; [unrolled: 4-line block ×4, first 2 shown]
	;;#ASMSTART
	v_pk_add_f16 v0, v0, v1;

	;;#ASMEND
	;;#ASMSTART
	v_pk_add_f16 v0, v0, v2;

	;;#ASMEND
	;;#ASMSTART
	v_pk_add_f16 v0, v0, v3;

	;;#ASMEND
	v_and_b32_e32 v1, 0xffff, v0
	v_lshrrev_b32_e32 v0, 16, v0
	;;#ASMSTART
	v_cvt_f32_f16 v95, v1;
	;;#ASMEND
	;;#ASMSTART
	v_cvt_f32_f16 v96, v0;
	;;#ASMEND
	global_load_dwordx4 v[0:3], v[9:10], off offset:1024
	s_waitcnt vmcnt(0)
	v_lshrrev_b32_e32 v99, 16, v0
	v_lshrrev_b32_e32 v98, 16, v1
	;; [unrolled: 1-line block ×3, first 2 shown]
	s_and_saveexec_b32 s20, s1
	s_cbranch_execz .LBB107_64
; %bb.63:                               ;   in Loop: Header=BB107_26 Depth=1
	v_cmp_gt_i32_e32 vcc_lo, s11, v53
	v_and_b32_e32 v100, 0xffff0000, v3
	v_cmp_gt_i32_e64 s2, s11, v58
	v_cndmask_b32_e32 v0, 0, v0, vcc_lo
	v_cmp_gt_i32_e32 vcc_lo, s11, v60
	v_cndmask_b32_e64 v1, 0, v1, s2
	v_cmp_gt_i32_e64 s2, s11, v57
	v_cndmask_b32_e32 v99, 0, v99, vcc_lo
	v_cmp_gt_i32_e32 vcc_lo, s11, v59
	v_cndmask_b32_e64 v98, 0, v98, s2
	v_cndmask_b32_sdwa v3, v6, v3, vcc_lo dst_sel:DWORD dst_unused:UNUSED_PAD src0_sel:DWORD src1_sel:WORD_0
	v_cmp_gt_i32_e32 vcc_lo, s11, v56
	v_cndmask_b32_e32 v100, 0, v100, vcc_lo
	v_cmp_gt_i32_e32 vcc_lo, s11, v55
	v_or_b32_e32 v3, v3, v100
	v_cndmask_b32_e32 v2, 0, v2, vcc_lo
	v_cmp_gt_i32_e32 vcc_lo, s11, v54
	v_cndmask_b32_e32 v97, 0, v97, vcc_lo
.LBB107_64:                             ;   in Loop: Header=BB107_26 Depth=1
	s_or_b32 exec_lo, exec_lo, s20
	v_lshlrev_b32_e32 v99, 16, v99
	v_lshlrev_b32_e32 v98, 16, v98
	;; [unrolled: 1-line block ×3, first 2 shown]
	v_and_or_b32 v0, 0xffff, v0, v99
	v_and_or_b32 v1, 0xffff, v1, v98
	;; [unrolled: 1-line block ×3, first 2 shown]
	;;#ASMSTART
	v_pk_mul_f16 v0, v48, v0;

	;;#ASMEND
	;;#ASMSTART
	v_pk_mul_f16 v1, v47, v1;

	;;#ASMEND
	;; [unrolled: 4-line block ×4, first 2 shown]
	;;#ASMSTART
	v_pk_add_f16 v0, v0, v1;

	;;#ASMEND
	;;#ASMSTART
	v_pk_add_f16 v0, v0, v2;

	;;#ASMEND
	;; [unrolled: 4-line block ×3, first 2 shown]
	v_and_b32_e32 v1, 0xffff, v0
	v_lshrrev_b32_e32 v0, 16, v0
	;;#ASMSTART
	v_cvt_f32_f16 v97, v1;
	;;#ASMEND
	;;#ASMSTART
	v_cvt_f32_f16 v98, v0;
	;;#ASMEND
	global_load_dwordx4 v[0:3], v[9:10], off offset:1536
	s_waitcnt vmcnt(0)
	v_lshrrev_b32_e32 v99, 16, v0
	v_lshrrev_b32_e32 v10, 16, v1
	;; [unrolled: 1-line block ×3, first 2 shown]
	s_and_saveexec_b32 s20, s1
	s_cbranch_execz .LBB107_66
; %bb.65:                               ;   in Loop: Header=BB107_26 Depth=1
	v_cmp_gt_i32_e32 vcc_lo, s11, v53
	v_and_b32_e32 v100, 0xffff0000, v3
	v_cmp_gt_i32_e64 s2, s11, v58
	v_cndmask_b32_e32 v0, 0, v0, vcc_lo
	v_cmp_gt_i32_e32 vcc_lo, s11, v60
	v_cndmask_b32_e64 v1, 0, v1, s2
	v_cmp_gt_i32_e64 s2, s11, v57
	v_cndmask_b32_e32 v99, 0, v99, vcc_lo
	v_cmp_gt_i32_e32 vcc_lo, s11, v59
	v_cndmask_b32_e64 v10, 0, v10, s2
	v_cndmask_b32_sdwa v3, v6, v3, vcc_lo dst_sel:DWORD dst_unused:UNUSED_PAD src0_sel:DWORD src1_sel:WORD_0
	v_cmp_gt_i32_e32 vcc_lo, s11, v56
	v_cndmask_b32_e32 v100, 0, v100, vcc_lo
	v_cmp_gt_i32_e32 vcc_lo, s11, v55
	v_or_b32_e32 v3, v3, v100
	v_cndmask_b32_e32 v2, 0, v2, vcc_lo
	v_cmp_gt_i32_e32 vcc_lo, s11, v54
	v_cndmask_b32_e32 v9, 0, v9, vcc_lo
.LBB107_66:                             ;   in Loop: Header=BB107_26 Depth=1
	s_or_b32 exec_lo, exec_lo, s20
	v_lshlrev_b32_e32 v9, 16, v9
	v_lshlrev_b32_e32 v99, 16, v99
	;; [unrolled: 1-line block ×3, first 2 shown]
	v_and_or_b32 v2, 0xffff, v2, v9
	v_add_co_u32 v9, vcc_lo, 0x2800, v7
	v_and_or_b32 v0, 0xffff, v0, v99
	v_and_or_b32 v1, 0xffff, v1, v10
	;;#ASMSTART
	v_pk_mul_f16 v0, v48, v0;

	;;#ASMEND
	v_add_co_ci_u32_e64 v10, null, 0, v8, vcc_lo
	;;#ASMSTART
	v_pk_mul_f16 v1, v47, v1;

	;;#ASMEND
	;;#ASMSTART
	v_pk_mul_f16 v2, v49, v2;

	;;#ASMEND
	;;#ASMSTART
	v_pk_mul_f16 v3, v50, v3;

	;;#ASMEND
	;;#ASMSTART
	v_pk_add_f16 v0, v0, v1;

	;;#ASMEND
	;;#ASMSTART
	v_pk_add_f16 v0, v0, v2;

	;;#ASMEND
	;; [unrolled: 4-line block ×3, first 2 shown]
	v_lshrrev_b32_e32 v1, 16, v0
	v_and_b32_e32 v0, 0xffff, v0
	;;#ASMSTART
	v_cvt_f32_f16 v99, v0;
	;;#ASMEND
	;;#ASMSTART
	v_cvt_f32_f16 v100, v1;
	;;#ASMEND
	global_load_dwordx4 v[0:3], v[9:10], off
	s_waitcnt vmcnt(0)
	v_lshrrev_b32_e32 v103, 16, v0
	v_lshrrev_b32_e32 v102, 16, v1
	;; [unrolled: 1-line block ×3, first 2 shown]
	s_and_saveexec_b32 s20, s1
	s_cbranch_execz .LBB107_68
; %bb.67:                               ;   in Loop: Header=BB107_26 Depth=1
	v_cmp_gt_i32_e32 vcc_lo, s11, v53
	v_and_b32_e32 v104, 0xffff0000, v3
	v_cmp_gt_i32_e64 s2, s11, v58
	v_cndmask_b32_e32 v0, 0, v0, vcc_lo
	v_cmp_gt_i32_e32 vcc_lo, s11, v60
	v_cndmask_b32_e64 v1, 0, v1, s2
	v_cmp_gt_i32_e64 s2, s11, v57
	v_cndmask_b32_e32 v103, 0, v103, vcc_lo
	v_cmp_gt_i32_e32 vcc_lo, s11, v59
	v_cndmask_b32_e64 v102, 0, v102, s2
	v_cndmask_b32_sdwa v3, v6, v3, vcc_lo dst_sel:DWORD dst_unused:UNUSED_PAD src0_sel:DWORD src1_sel:WORD_0
	v_cmp_gt_i32_e32 vcc_lo, s11, v56
	v_cndmask_b32_e32 v104, 0, v104, vcc_lo
	v_cmp_gt_i32_e32 vcc_lo, s11, v55
	v_or_b32_e32 v3, v3, v104
	v_cndmask_b32_e32 v2, 0, v2, vcc_lo
	v_cmp_gt_i32_e32 vcc_lo, s11, v54
	v_cndmask_b32_e32 v101, 0, v101, vcc_lo
.LBB107_68:                             ;   in Loop: Header=BB107_26 Depth=1
	s_or_b32 exec_lo, exec_lo, s20
	v_lshlrev_b32_e32 v103, 16, v103
	v_lshlrev_b32_e32 v102, 16, v102
	;; [unrolled: 1-line block ×3, first 2 shown]
	v_and_or_b32 v0, 0xffff, v0, v103
	v_and_or_b32 v1, 0xffff, v1, v102
	;; [unrolled: 1-line block ×3, first 2 shown]
	;;#ASMSTART
	v_pk_mul_f16 v0, v48, v0;

	;;#ASMEND
	;;#ASMSTART
	v_pk_mul_f16 v1, v47, v1;

	;;#ASMEND
	;; [unrolled: 4-line block ×4, first 2 shown]
	;;#ASMSTART
	v_pk_add_f16 v0, v0, v1;

	;;#ASMEND
	;;#ASMSTART
	v_pk_add_f16 v0, v0, v2;

	;;#ASMEND
	;; [unrolled: 4-line block ×3, first 2 shown]
	v_and_b32_e32 v1, 0xffff, v0
	v_lshrrev_b32_e32 v0, 16, v0
	;;#ASMSTART
	v_cvt_f32_f16 v101, v1;
	;;#ASMEND
	;;#ASMSTART
	v_cvt_f32_f16 v102, v0;
	;;#ASMEND
	global_load_dwordx4 v[0:3], v[9:10], off offset:512
	s_waitcnt vmcnt(0)
	v_lshrrev_b32_e32 v105, 16, v0
	v_lshrrev_b32_e32 v104, 16, v1
	;; [unrolled: 1-line block ×3, first 2 shown]
	s_and_saveexec_b32 s20, s1
	s_cbranch_execz .LBB107_70
; %bb.69:                               ;   in Loop: Header=BB107_26 Depth=1
	v_cmp_gt_i32_e32 vcc_lo, s11, v53
	v_and_b32_e32 v106, 0xffff0000, v3
	v_cmp_gt_i32_e64 s2, s11, v58
	v_cndmask_b32_e32 v0, 0, v0, vcc_lo
	v_cmp_gt_i32_e32 vcc_lo, s11, v60
	v_cndmask_b32_e64 v1, 0, v1, s2
	v_cmp_gt_i32_e64 s2, s11, v57
	v_cndmask_b32_e32 v105, 0, v105, vcc_lo
	v_cmp_gt_i32_e32 vcc_lo, s11, v59
	v_cndmask_b32_e64 v104, 0, v104, s2
	v_cndmask_b32_sdwa v3, v6, v3, vcc_lo dst_sel:DWORD dst_unused:UNUSED_PAD src0_sel:DWORD src1_sel:WORD_0
	v_cmp_gt_i32_e32 vcc_lo, s11, v56
	v_cndmask_b32_e32 v106, 0, v106, vcc_lo
	v_cmp_gt_i32_e32 vcc_lo, s11, v55
	v_or_b32_e32 v3, v3, v106
	v_cndmask_b32_e32 v2, 0, v2, vcc_lo
	v_cmp_gt_i32_e32 vcc_lo, s11, v54
	v_cndmask_b32_e32 v103, 0, v103, vcc_lo
.LBB107_70:                             ;   in Loop: Header=BB107_26 Depth=1
	s_or_b32 exec_lo, exec_lo, s20
	v_lshlrev_b32_e32 v105, 16, v105
	v_lshlrev_b32_e32 v104, 16, v104
	;; [unrolled: 1-line block ×3, first 2 shown]
	v_and_or_b32 v0, 0xffff, v0, v105
	v_and_or_b32 v1, 0xffff, v1, v104
	;; [unrolled: 1-line block ×3, first 2 shown]
	;;#ASMSTART
	v_pk_mul_f16 v0, v48, v0;

	;;#ASMEND
	;;#ASMSTART
	v_pk_mul_f16 v1, v47, v1;

	;;#ASMEND
	;; [unrolled: 4-line block ×4, first 2 shown]
	;;#ASMSTART
	v_pk_add_f16 v0, v0, v1;

	;;#ASMEND
	;;#ASMSTART
	v_pk_add_f16 v0, v0, v2;

	;;#ASMEND
	;;#ASMSTART
	v_pk_add_f16 v0, v0, v3;

	;;#ASMEND
	v_and_b32_e32 v1, 0xffff, v0
	v_lshrrev_b32_e32 v0, 16, v0
	;;#ASMSTART
	v_cvt_f32_f16 v103, v1;
	;;#ASMEND
	;;#ASMSTART
	v_cvt_f32_f16 v104, v0;
	;;#ASMEND
	global_load_dwordx4 v[0:3], v[9:10], off offset:1024
	s_waitcnt vmcnt(0)
	v_lshrrev_b32_e32 v107, 16, v0
	v_lshrrev_b32_e32 v106, 16, v1
	;; [unrolled: 1-line block ×3, first 2 shown]
	s_and_saveexec_b32 s20, s1
	s_cbranch_execz .LBB107_72
; %bb.71:                               ;   in Loop: Header=BB107_26 Depth=1
	v_cmp_gt_i32_e32 vcc_lo, s11, v53
	v_and_b32_e32 v108, 0xffff0000, v3
	v_cmp_gt_i32_e64 s2, s11, v58
	v_cndmask_b32_e32 v0, 0, v0, vcc_lo
	v_cmp_gt_i32_e32 vcc_lo, s11, v60
	v_cndmask_b32_e64 v1, 0, v1, s2
	v_cmp_gt_i32_e64 s2, s11, v57
	v_cndmask_b32_e32 v107, 0, v107, vcc_lo
	v_cmp_gt_i32_e32 vcc_lo, s11, v59
	v_cndmask_b32_e64 v106, 0, v106, s2
	v_cndmask_b32_sdwa v3, v6, v3, vcc_lo dst_sel:DWORD dst_unused:UNUSED_PAD src0_sel:DWORD src1_sel:WORD_0
	v_cmp_gt_i32_e32 vcc_lo, s11, v56
	v_cndmask_b32_e32 v108, 0, v108, vcc_lo
	v_cmp_gt_i32_e32 vcc_lo, s11, v55
	v_or_b32_e32 v3, v3, v108
	v_cndmask_b32_e32 v2, 0, v2, vcc_lo
	v_cmp_gt_i32_e32 vcc_lo, s11, v54
	v_cndmask_b32_e32 v105, 0, v105, vcc_lo
.LBB107_72:                             ;   in Loop: Header=BB107_26 Depth=1
	s_or_b32 exec_lo, exec_lo, s20
	v_lshlrev_b32_e32 v107, 16, v107
	v_lshlrev_b32_e32 v106, 16, v106
	v_lshlrev_b32_e32 v105, 16, v105
	v_and_or_b32 v0, 0xffff, v0, v107
	v_and_or_b32 v1, 0xffff, v1, v106
	;; [unrolled: 1-line block ×3, first 2 shown]
	;;#ASMSTART
	v_pk_mul_f16 v0, v48, v0;

	;;#ASMEND
	;;#ASMSTART
	v_pk_mul_f16 v1, v47, v1;

	;;#ASMEND
	;; [unrolled: 4-line block ×4, first 2 shown]
	;;#ASMSTART
	v_pk_add_f16 v0, v0, v1;

	;;#ASMEND
	;;#ASMSTART
	v_pk_add_f16 v0, v0, v2;

	;;#ASMEND
	;; [unrolled: 4-line block ×3, first 2 shown]
	v_and_b32_e32 v1, 0xffff, v0
	v_lshrrev_b32_e32 v0, 16, v0
	;;#ASMSTART
	v_cvt_f32_f16 v105, v1;
	;;#ASMEND
	;;#ASMSTART
	v_cvt_f32_f16 v106, v0;
	;;#ASMEND
	global_load_dwordx4 v[0:3], v[9:10], off offset:1536
	s_waitcnt vmcnt(0)
	v_lshrrev_b32_e32 v107, 16, v0
	v_lshrrev_b32_e32 v10, 16, v1
	;; [unrolled: 1-line block ×3, first 2 shown]
	s_and_saveexec_b32 s20, s1
	s_cbranch_execz .LBB107_74
; %bb.73:                               ;   in Loop: Header=BB107_26 Depth=1
	v_cmp_gt_i32_e32 vcc_lo, s11, v53
	v_and_b32_e32 v108, 0xffff0000, v3
	v_cmp_gt_i32_e64 s2, s11, v58
	v_cndmask_b32_e32 v0, 0, v0, vcc_lo
	v_cmp_gt_i32_e32 vcc_lo, s11, v60
	v_cndmask_b32_e64 v1, 0, v1, s2
	v_cmp_gt_i32_e64 s2, s11, v57
	v_cndmask_b32_e32 v107, 0, v107, vcc_lo
	v_cmp_gt_i32_e32 vcc_lo, s11, v59
	v_cndmask_b32_e64 v10, 0, v10, s2
	v_cndmask_b32_sdwa v3, v6, v3, vcc_lo dst_sel:DWORD dst_unused:UNUSED_PAD src0_sel:DWORD src1_sel:WORD_0
	v_cmp_gt_i32_e32 vcc_lo, s11, v56
	v_cndmask_b32_e32 v108, 0, v108, vcc_lo
	v_cmp_gt_i32_e32 vcc_lo, s11, v55
	v_or_b32_e32 v3, v3, v108
	v_cndmask_b32_e32 v2, 0, v2, vcc_lo
	v_cmp_gt_i32_e32 vcc_lo, s11, v54
	v_cndmask_b32_e32 v9, 0, v9, vcc_lo
.LBB107_74:                             ;   in Loop: Header=BB107_26 Depth=1
	s_or_b32 exec_lo, exec_lo, s20
	v_lshlrev_b32_e32 v9, 16, v9
	v_lshlrev_b32_e32 v107, 16, v107
	;; [unrolled: 1-line block ×3, first 2 shown]
	v_and_or_b32 v2, 0xffff, v2, v9
	v_add_co_u32 v9, vcc_lo, 0x3000, v7
	v_and_or_b32 v0, 0xffff, v0, v107
	v_and_or_b32 v1, 0xffff, v1, v10
	;;#ASMSTART
	v_pk_mul_f16 v0, v48, v0;

	;;#ASMEND
	v_add_co_ci_u32_e64 v10, null, 0, v8, vcc_lo
	;;#ASMSTART
	v_pk_mul_f16 v1, v47, v1;

	;;#ASMEND
	;;#ASMSTART
	v_pk_mul_f16 v2, v49, v2;

	;;#ASMEND
	;;#ASMSTART
	v_pk_mul_f16 v3, v50, v3;

	;;#ASMEND
	;;#ASMSTART
	v_pk_add_f16 v0, v0, v1;

	;;#ASMEND
	;;#ASMSTART
	v_pk_add_f16 v0, v0, v2;

	;;#ASMEND
	;; [unrolled: 4-line block ×3, first 2 shown]
	v_lshrrev_b32_e32 v1, 16, v0
	v_and_b32_e32 v0, 0xffff, v0
	;;#ASMSTART
	v_cvt_f32_f16 v107, v0;
	;;#ASMEND
	;;#ASMSTART
	v_cvt_f32_f16 v108, v1;
	;;#ASMEND
	global_load_dwordx4 v[0:3], v[9:10], off
	s_waitcnt vmcnt(0)
	v_lshrrev_b32_e32 v111, 16, v0
	v_lshrrev_b32_e32 v110, 16, v1
	;; [unrolled: 1-line block ×3, first 2 shown]
	s_and_saveexec_b32 s20, s1
	s_cbranch_execz .LBB107_76
; %bb.75:                               ;   in Loop: Header=BB107_26 Depth=1
	v_cmp_gt_i32_e32 vcc_lo, s11, v53
	v_and_b32_e32 v112, 0xffff0000, v3
	v_cmp_gt_i32_e64 s2, s11, v58
	v_cndmask_b32_e32 v0, 0, v0, vcc_lo
	v_cmp_gt_i32_e32 vcc_lo, s11, v60
	v_cndmask_b32_e64 v1, 0, v1, s2
	v_cmp_gt_i32_e64 s2, s11, v57
	v_cndmask_b32_e32 v111, 0, v111, vcc_lo
	v_cmp_gt_i32_e32 vcc_lo, s11, v59
	v_cndmask_b32_e64 v110, 0, v110, s2
	v_cndmask_b32_sdwa v3, v6, v3, vcc_lo dst_sel:DWORD dst_unused:UNUSED_PAD src0_sel:DWORD src1_sel:WORD_0
	v_cmp_gt_i32_e32 vcc_lo, s11, v56
	v_cndmask_b32_e32 v112, 0, v112, vcc_lo
	v_cmp_gt_i32_e32 vcc_lo, s11, v55
	v_or_b32_e32 v3, v3, v112
	v_cndmask_b32_e32 v2, 0, v2, vcc_lo
	v_cmp_gt_i32_e32 vcc_lo, s11, v54
	v_cndmask_b32_e32 v109, 0, v109, vcc_lo
.LBB107_76:                             ;   in Loop: Header=BB107_26 Depth=1
	s_or_b32 exec_lo, exec_lo, s20
	v_lshlrev_b32_e32 v111, 16, v111
	v_lshlrev_b32_e32 v110, 16, v110
	;; [unrolled: 1-line block ×3, first 2 shown]
	v_and_or_b32 v0, 0xffff, v0, v111
	v_and_or_b32 v1, 0xffff, v1, v110
	;; [unrolled: 1-line block ×3, first 2 shown]
	;;#ASMSTART
	v_pk_mul_f16 v0, v48, v0;

	;;#ASMEND
	;;#ASMSTART
	v_pk_mul_f16 v1, v47, v1;

	;;#ASMEND
	;; [unrolled: 4-line block ×4, first 2 shown]
	;;#ASMSTART
	v_pk_add_f16 v0, v0, v1;

	;;#ASMEND
	;;#ASMSTART
	v_pk_add_f16 v0, v0, v2;

	;;#ASMEND
	;; [unrolled: 4-line block ×3, first 2 shown]
	v_and_b32_e32 v1, 0xffff, v0
	v_lshrrev_b32_e32 v0, 16, v0
	;;#ASMSTART
	v_cvt_f32_f16 v109, v1;
	;;#ASMEND
	;;#ASMSTART
	v_cvt_f32_f16 v110, v0;
	;;#ASMEND
	global_load_dwordx4 v[0:3], v[9:10], off offset:512
	s_waitcnt vmcnt(0)
	v_lshrrev_b32_e32 v113, 16, v0
	v_lshrrev_b32_e32 v112, 16, v1
	v_lshrrev_b32_e32 v111, 16, v2
	s_and_saveexec_b32 s20, s1
	s_cbranch_execz .LBB107_78
; %bb.77:                               ;   in Loop: Header=BB107_26 Depth=1
	v_cmp_gt_i32_e32 vcc_lo, s11, v53
	v_and_b32_e32 v114, 0xffff0000, v3
	v_cmp_gt_i32_e64 s2, s11, v58
	v_cndmask_b32_e32 v0, 0, v0, vcc_lo
	v_cmp_gt_i32_e32 vcc_lo, s11, v60
	v_cndmask_b32_e64 v1, 0, v1, s2
	v_cmp_gt_i32_e64 s2, s11, v57
	v_cndmask_b32_e32 v113, 0, v113, vcc_lo
	v_cmp_gt_i32_e32 vcc_lo, s11, v59
	v_cndmask_b32_e64 v112, 0, v112, s2
	v_cndmask_b32_sdwa v3, v6, v3, vcc_lo dst_sel:DWORD dst_unused:UNUSED_PAD src0_sel:DWORD src1_sel:WORD_0
	v_cmp_gt_i32_e32 vcc_lo, s11, v56
	v_cndmask_b32_e32 v114, 0, v114, vcc_lo
	v_cmp_gt_i32_e32 vcc_lo, s11, v55
	v_or_b32_e32 v3, v3, v114
	v_cndmask_b32_e32 v2, 0, v2, vcc_lo
	v_cmp_gt_i32_e32 vcc_lo, s11, v54
	v_cndmask_b32_e32 v111, 0, v111, vcc_lo
.LBB107_78:                             ;   in Loop: Header=BB107_26 Depth=1
	s_or_b32 exec_lo, exec_lo, s20
	v_lshlrev_b32_e32 v113, 16, v113
	v_lshlrev_b32_e32 v112, 16, v112
	;; [unrolled: 1-line block ×3, first 2 shown]
	v_and_or_b32 v0, 0xffff, v0, v113
	v_and_or_b32 v1, 0xffff, v1, v112
	;; [unrolled: 1-line block ×3, first 2 shown]
	;;#ASMSTART
	v_pk_mul_f16 v0, v48, v0;

	;;#ASMEND
	;;#ASMSTART
	v_pk_mul_f16 v1, v47, v1;

	;;#ASMEND
	;; [unrolled: 4-line block ×4, first 2 shown]
	;;#ASMSTART
	v_pk_add_f16 v0, v0, v1;

	;;#ASMEND
	;;#ASMSTART
	v_pk_add_f16 v0, v0, v2;

	;;#ASMEND
	;; [unrolled: 4-line block ×3, first 2 shown]
	v_and_b32_e32 v1, 0xffff, v0
	v_lshrrev_b32_e32 v0, 16, v0
	;;#ASMSTART
	v_cvt_f32_f16 v111, v1;
	;;#ASMEND
	;;#ASMSTART
	v_cvt_f32_f16 v112, v0;
	;;#ASMEND
	global_load_dwordx4 v[0:3], v[9:10], off offset:1024
	s_waitcnt vmcnt(0)
	v_lshrrev_b32_e32 v115, 16, v0
	v_lshrrev_b32_e32 v114, 16, v1
	;; [unrolled: 1-line block ×3, first 2 shown]
	s_and_saveexec_b32 s20, s1
	s_cbranch_execz .LBB107_80
; %bb.79:                               ;   in Loop: Header=BB107_26 Depth=1
	v_cmp_gt_i32_e32 vcc_lo, s11, v53
	v_and_b32_e32 v116, 0xffff0000, v3
	v_cmp_gt_i32_e64 s2, s11, v58
	v_cndmask_b32_e32 v0, 0, v0, vcc_lo
	v_cmp_gt_i32_e32 vcc_lo, s11, v60
	v_cndmask_b32_e64 v1, 0, v1, s2
	v_cmp_gt_i32_e64 s2, s11, v57
	v_cndmask_b32_e32 v115, 0, v115, vcc_lo
	v_cmp_gt_i32_e32 vcc_lo, s11, v59
	v_cndmask_b32_e64 v114, 0, v114, s2
	v_cndmask_b32_sdwa v3, v6, v3, vcc_lo dst_sel:DWORD dst_unused:UNUSED_PAD src0_sel:DWORD src1_sel:WORD_0
	v_cmp_gt_i32_e32 vcc_lo, s11, v56
	v_cndmask_b32_e32 v116, 0, v116, vcc_lo
	v_cmp_gt_i32_e32 vcc_lo, s11, v55
	v_or_b32_e32 v3, v3, v116
	v_cndmask_b32_e32 v2, 0, v2, vcc_lo
	v_cmp_gt_i32_e32 vcc_lo, s11, v54
	v_cndmask_b32_e32 v113, 0, v113, vcc_lo
.LBB107_80:                             ;   in Loop: Header=BB107_26 Depth=1
	s_or_b32 exec_lo, exec_lo, s20
	v_lshlrev_b32_e32 v115, 16, v115
	v_lshlrev_b32_e32 v114, 16, v114
	;; [unrolled: 1-line block ×3, first 2 shown]
	v_and_or_b32 v0, 0xffff, v0, v115
	v_and_or_b32 v1, 0xffff, v1, v114
	;; [unrolled: 1-line block ×3, first 2 shown]
	;;#ASMSTART
	v_pk_mul_f16 v0, v48, v0;

	;;#ASMEND
	;;#ASMSTART
	v_pk_mul_f16 v1, v47, v1;

	;;#ASMEND
	;; [unrolled: 4-line block ×4, first 2 shown]
	;;#ASMSTART
	v_pk_add_f16 v0, v0, v1;

	;;#ASMEND
	;;#ASMSTART
	v_pk_add_f16 v0, v0, v2;

	;;#ASMEND
	;;#ASMSTART
	v_pk_add_f16 v0, v0, v3;

	;;#ASMEND
	v_and_b32_e32 v1, 0xffff, v0
	v_lshrrev_b32_e32 v0, 16, v0
	;;#ASMSTART
	v_cvt_f32_f16 v113, v1;
	;;#ASMEND
	;;#ASMSTART
	v_cvt_f32_f16 v114, v0;
	;;#ASMEND
	global_load_dwordx4 v[0:3], v[9:10], off offset:1536
	s_waitcnt vmcnt(0)
	v_lshrrev_b32_e32 v115, 16, v0
	v_lshrrev_b32_e32 v10, 16, v1
	;; [unrolled: 1-line block ×3, first 2 shown]
	s_and_saveexec_b32 s20, s1
	s_cbranch_execz .LBB107_82
; %bb.81:                               ;   in Loop: Header=BB107_26 Depth=1
	v_cmp_gt_i32_e32 vcc_lo, s11, v53
	v_and_b32_e32 v116, 0xffff0000, v3
	v_cmp_gt_i32_e64 s2, s11, v58
	v_cndmask_b32_e32 v0, 0, v0, vcc_lo
	v_cmp_gt_i32_e32 vcc_lo, s11, v60
	v_cndmask_b32_e64 v1, 0, v1, s2
	v_cmp_gt_i32_e64 s2, s11, v57
	v_cndmask_b32_e32 v115, 0, v115, vcc_lo
	v_cmp_gt_i32_e32 vcc_lo, s11, v59
	v_cndmask_b32_e64 v10, 0, v10, s2
	v_cndmask_b32_sdwa v3, v6, v3, vcc_lo dst_sel:DWORD dst_unused:UNUSED_PAD src0_sel:DWORD src1_sel:WORD_0
	v_cmp_gt_i32_e32 vcc_lo, s11, v56
	v_cndmask_b32_e32 v116, 0, v116, vcc_lo
	v_cmp_gt_i32_e32 vcc_lo, s11, v55
	v_or_b32_e32 v3, v3, v116
	v_cndmask_b32_e32 v2, 0, v2, vcc_lo
	v_cmp_gt_i32_e32 vcc_lo, s11, v54
	v_cndmask_b32_e32 v9, 0, v9, vcc_lo
.LBB107_82:                             ;   in Loop: Header=BB107_26 Depth=1
	s_or_b32 exec_lo, exec_lo, s20
	v_lshlrev_b32_e32 v115, 16, v115
	v_lshlrev_b32_e32 v10, 16, v10
	;; [unrolled: 1-line block ×3, first 2 shown]
	v_add_co_u32 v7, vcc_lo, 0x3800, v7
	v_and_or_b32 v0, 0xffff, v0, v115
	v_and_or_b32 v1, 0xffff, v1, v10
	v_and_or_b32 v2, 0xffff, v2, v9
	;;#ASMSTART
	v_pk_mul_f16 v0, v48, v0;

	;;#ASMEND
	v_add_co_ci_u32_e64 v8, null, 0, v8, vcc_lo
	;;#ASMSTART
	v_pk_mul_f16 v1, v47, v1;

	;;#ASMEND
	;;#ASMSTART
	v_pk_mul_f16 v2, v49, v2;

	;;#ASMEND
	;; [unrolled: 4-line block ×3, first 2 shown]
	;;#ASMSTART
	v_pk_add_f16 v0, v0, v1;

	;;#ASMEND
	;;#ASMSTART
	v_pk_add_f16 v0, v0, v2;

	;;#ASMEND
	;;#ASMSTART
	v_pk_add_f16 v0, v0, v3;

	;;#ASMEND
	v_lshrrev_b32_e32 v1, 16, v0
	v_and_b32_e32 v0, 0xffff, v0
	;;#ASMSTART
	v_cvt_f32_f16 v9, v0;
	;;#ASMEND
	;;#ASMSTART
	v_cvt_f32_f16 v10, v1;
	;;#ASMEND
	global_load_dwordx4 v[0:3], v[7:8], off
	s_waitcnt vmcnt(0)
	v_lshrrev_b32_e32 v117, 16, v0
	v_lshrrev_b32_e32 v116, 16, v1
	;; [unrolled: 1-line block ×3, first 2 shown]
	s_and_saveexec_b32 s20, s1
	s_cbranch_execz .LBB107_84
; %bb.83:                               ;   in Loop: Header=BB107_26 Depth=1
	v_cmp_gt_i32_e32 vcc_lo, s11, v53
	v_and_b32_e32 v118, 0xffff0000, v3
	v_cmp_gt_i32_e64 s2, s11, v58
	v_cndmask_b32_e32 v0, 0, v0, vcc_lo
	v_cmp_gt_i32_e32 vcc_lo, s11, v60
	v_cndmask_b32_e64 v1, 0, v1, s2
	v_cmp_gt_i32_e64 s2, s11, v57
	v_cndmask_b32_e32 v117, 0, v117, vcc_lo
	v_cmp_gt_i32_e32 vcc_lo, s11, v59
	v_cndmask_b32_e64 v116, 0, v116, s2
	v_cndmask_b32_sdwa v3, v6, v3, vcc_lo dst_sel:DWORD dst_unused:UNUSED_PAD src0_sel:DWORD src1_sel:WORD_0
	v_cmp_gt_i32_e32 vcc_lo, s11, v56
	v_cndmask_b32_e32 v118, 0, v118, vcc_lo
	v_cmp_gt_i32_e32 vcc_lo, s11, v55
	v_or_b32_e32 v3, v3, v118
	v_cndmask_b32_e32 v2, 0, v2, vcc_lo
	v_cmp_gt_i32_e32 vcc_lo, s11, v54
	v_cndmask_b32_e32 v115, 0, v115, vcc_lo
.LBB107_84:                             ;   in Loop: Header=BB107_26 Depth=1
	s_or_b32 exec_lo, exec_lo, s20
	v_lshlrev_b32_e32 v117, 16, v117
	v_lshlrev_b32_e32 v116, 16, v116
	;; [unrolled: 1-line block ×3, first 2 shown]
	v_and_or_b32 v0, 0xffff, v0, v117
	v_and_or_b32 v1, 0xffff, v1, v116
	;; [unrolled: 1-line block ×3, first 2 shown]
	;;#ASMSTART
	v_pk_mul_f16 v0, v48, v0;

	;;#ASMEND
	;;#ASMSTART
	v_pk_mul_f16 v1, v47, v1;

	;;#ASMEND
	;; [unrolled: 4-line block ×4, first 2 shown]
	;;#ASMSTART
	v_pk_add_f16 v0, v0, v1;

	;;#ASMEND
	;;#ASMSTART
	v_pk_add_f16 v0, v0, v2;

	;;#ASMEND
	;; [unrolled: 4-line block ×3, first 2 shown]
	v_and_b32_e32 v1, 0xffff, v0
	v_lshrrev_b32_e32 v0, 16, v0
	;;#ASMSTART
	v_cvt_f32_f16 v115, v1;
	;;#ASMEND
	;;#ASMSTART
	v_cvt_f32_f16 v116, v0;
	;;#ASMEND
	global_load_dwordx4 v[0:3], v[7:8], off offset:512
	s_waitcnt vmcnt(0)
	v_lshrrev_b32_e32 v119, 16, v0
	v_lshrrev_b32_e32 v118, 16, v1
	;; [unrolled: 1-line block ×3, first 2 shown]
	s_and_saveexec_b32 s20, s1
	s_cbranch_execz .LBB107_86
; %bb.85:                               ;   in Loop: Header=BB107_26 Depth=1
	v_cmp_gt_i32_e32 vcc_lo, s11, v53
	v_and_b32_e32 v120, 0xffff0000, v3
	v_cmp_gt_i32_e64 s2, s11, v58
	v_cndmask_b32_e32 v0, 0, v0, vcc_lo
	v_cmp_gt_i32_e32 vcc_lo, s11, v60
	v_cndmask_b32_e64 v1, 0, v1, s2
	v_cmp_gt_i32_e64 s2, s11, v57
	v_cndmask_b32_e32 v119, 0, v119, vcc_lo
	v_cmp_gt_i32_e32 vcc_lo, s11, v59
	v_cndmask_b32_e64 v118, 0, v118, s2
	v_cndmask_b32_sdwa v3, v6, v3, vcc_lo dst_sel:DWORD dst_unused:UNUSED_PAD src0_sel:DWORD src1_sel:WORD_0
	v_cmp_gt_i32_e32 vcc_lo, s11, v56
	v_cndmask_b32_e32 v120, 0, v120, vcc_lo
	v_cmp_gt_i32_e32 vcc_lo, s11, v55
	v_or_b32_e32 v3, v3, v120
	v_cndmask_b32_e32 v2, 0, v2, vcc_lo
	v_cmp_gt_i32_e32 vcc_lo, s11, v54
	v_cndmask_b32_e32 v117, 0, v117, vcc_lo
.LBB107_86:                             ;   in Loop: Header=BB107_26 Depth=1
	s_or_b32 exec_lo, exec_lo, s20
	v_lshlrev_b32_e32 v119, 16, v119
	v_lshlrev_b32_e32 v118, 16, v118
	;; [unrolled: 1-line block ×3, first 2 shown]
	v_and_or_b32 v0, 0xffff, v0, v119
	v_and_or_b32 v1, 0xffff, v1, v118
	;; [unrolled: 1-line block ×3, first 2 shown]
	;;#ASMSTART
	v_pk_mul_f16 v0, v48, v0;

	;;#ASMEND
	;;#ASMSTART
	v_pk_mul_f16 v1, v47, v1;

	;;#ASMEND
	;; [unrolled: 4-line block ×4, first 2 shown]
	;;#ASMSTART
	v_pk_add_f16 v0, v0, v1;

	;;#ASMEND
	;;#ASMSTART
	v_pk_add_f16 v0, v0, v2;

	;;#ASMEND
	;; [unrolled: 4-line block ×3, first 2 shown]
	v_and_b32_e32 v1, 0xffff, v0
	v_lshrrev_b32_e32 v0, 16, v0
	;;#ASMSTART
	v_cvt_f32_f16 v117, v1;
	;;#ASMEND
	;;#ASMSTART
	v_cvt_f32_f16 v118, v0;
	;;#ASMEND
	global_load_dwordx4 v[0:3], v[7:8], off offset:1024
	s_waitcnt vmcnt(0)
	v_lshrrev_b32_e32 v119, 16, v0
	v_lshrrev_b32_e32 v8, 16, v1
	;; [unrolled: 1-line block ×3, first 2 shown]
	s_and_saveexec_b32 s20, s1
	s_cbranch_execz .LBB107_88
; %bb.87:                               ;   in Loop: Header=BB107_26 Depth=1
	v_cmp_gt_i32_e32 vcc_lo, s11, v53
	v_and_b32_e32 v120, 0xffff0000, v3
	v_cmp_gt_i32_e64 s2, s11, v58
	v_cndmask_b32_e32 v0, 0, v0, vcc_lo
	v_cmp_gt_i32_e32 vcc_lo, s11, v60
	v_cndmask_b32_e64 v1, 0, v1, s2
	v_cmp_gt_i32_e64 s2, s11, v57
	v_cndmask_b32_e32 v119, 0, v119, vcc_lo
	v_cmp_gt_i32_e32 vcc_lo, s11, v59
	v_cndmask_b32_e64 v8, 0, v8, s2
	v_cndmask_b32_sdwa v3, v6, v3, vcc_lo dst_sel:DWORD dst_unused:UNUSED_PAD src0_sel:DWORD src1_sel:WORD_0
	v_cmp_gt_i32_e32 vcc_lo, s11, v56
	v_cndmask_b32_e32 v120, 0, v120, vcc_lo
	v_cmp_gt_i32_e32 vcc_lo, s11, v55
	v_or_b32_e32 v3, v3, v120
	v_cndmask_b32_e32 v2, 0, v2, vcc_lo
	v_cmp_gt_i32_e32 vcc_lo, s11, v54
	v_cndmask_b32_e32 v7, 0, v7, vcc_lo
.LBB107_88:                             ;   in Loop: Header=BB107_26 Depth=1
	s_or_b32 exec_lo, exec_lo, s20
	v_lshlrev_b32_e32 v119, 16, v119
	v_lshlrev_b32_e32 v8, 16, v8
	;; [unrolled: 1-line block ×3, first 2 shown]
	v_and_or_b32 v0, 0xffff, v0, v119
	v_and_or_b32 v1, 0xffff, v1, v8
	;; [unrolled: 1-line block ×3, first 2 shown]
	;;#ASMSTART
	v_pk_mul_f16 v0, v48, v0;

	;;#ASMEND
	;;#ASMSTART
	v_pk_mul_f16 v1, v47, v1;

	;;#ASMEND
	;; [unrolled: 4-line block ×4, first 2 shown]
	;;#ASMSTART
	v_pk_add_f16 v0, v0, v1;

	;;#ASMEND
	;;#ASMSTART
	v_pk_add_f16 v0, v0, v2;

	;;#ASMEND
	;; [unrolled: 4-line block ×3, first 2 shown]
	v_lshrrev_b32_e32 v2, 16, v0
	v_and_b32_e32 v3, 0xffff, v0
	v_add_co_u32 v0, vcc_lo, v61, v46
	v_add_co_ci_u32_e64 v1, null, 0, v62, vcc_lo
	;;#ASMSTART
	v_cvt_f32_f16 v62, v3;
	;;#ASMEND
	;;#ASMSTART
	v_cvt_f32_f16 v119, v2;
	;;#ASMEND
	global_load_dwordx4 v[0:3], v[0:1], off
	s_waitcnt vmcnt(0)
	v_lshrrev_b32_e32 v61, 16, v0
	v_lshrrev_b32_e32 v8, 16, v1
	;; [unrolled: 1-line block ×3, first 2 shown]
	s_and_saveexec_b32 s2, s1
	s_cbranch_execz .LBB107_25
; %bb.89:                               ;   in Loop: Header=BB107_26 Depth=1
	v_cmp_gt_i32_e32 vcc_lo, s11, v53
	v_and_b32_e32 v53, 0xffff0000, v3
	v_cmp_gt_i32_e64 s1, s11, v58
	v_cndmask_b32_e32 v0, 0, v0, vcc_lo
	v_cmp_gt_i32_e32 vcc_lo, s11, v60
	v_cndmask_b32_e64 v1, 0, v1, s1
	v_cmp_gt_i32_e64 s1, s11, v57
	v_cndmask_b32_e32 v61, 0, v61, vcc_lo
	v_cmp_gt_i32_e32 vcc_lo, s11, v59
	v_cndmask_b32_e64 v8, 0, v8, s1
	v_cndmask_b32_sdwa v3, v6, v3, vcc_lo dst_sel:DWORD dst_unused:UNUSED_PAD src0_sel:DWORD src1_sel:WORD_0
	v_cmp_gt_i32_e32 vcc_lo, s11, v56
	v_cndmask_b32_e32 v53, 0, v53, vcc_lo
	v_cmp_gt_i32_e32 vcc_lo, s11, v55
	v_or_b32_e32 v3, v3, v53
	v_cndmask_b32_e32 v2, 0, v2, vcc_lo
	v_cmp_gt_i32_e32 vcc_lo, s11, v54
	v_cndmask_b32_e32 v7, 0, v7, vcc_lo
	s_branch .LBB107_25
.LBB107_90:
	s_or_b32 exec_lo, exec_lo, s18
.LBB107_91:
	s_or_b32 exec_lo, exec_lo, s3
	ds_bpermute_b32 v0, v11, v42
	ds_bpermute_b32 v1, v11, v43
	;; [unrolled: 1-line block ×16, first 2 shown]
	s_mov_b32 s1, exec_lo
	s_waitcnt lgkmcnt(0)
	s_barrier
	buffer_gl0_inv
	v_add_f32_e32 v0, v42, v0
	v_add_f32_e32 v1, v43, v1
	;; [unrolled: 1-line block ×9, first 2 shown]
	ds_bpermute_b32 v7, v4, v0
	ds_bpermute_b32 v9, v4, v1
	ds_bpermute_b32 v36, v4, v2
	ds_bpermute_b32 v38, v4, v3
	ds_bpermute_b32 v39, v4, v5
	ds_bpermute_b32 v41, v4, v37
	v_add_f32_e32 v34, v34, v10
	ds_bpermute_b32 v10, v4, v8
	v_add_f32_e32 v42, v33, v44
	ds_bpermute_b32 v44, v4, v35
	;; [unrolled: 2-line block ×3, first 2 shown]
	ds_bpermute_b32 v45, v4, v34
	v_add_f32_e32 v31, v31, v46
	v_add_f32_e32 v30, v30, v49
	ds_bpermute_b32 v48, v4, v43
	ds_bpermute_b32 v46, v11, v17
	;; [unrolled: 1-line block ×3, first 2 shown]
	s_waitcnt lgkmcnt(12)
	v_add_f32_e32 v33, v0, v7
	s_waitcnt lgkmcnt(11)
	v_add_f32_e32 v32, v1, v9
	;; [unrolled: 2-line block ×6, first 2 shown]
	ds_bpermute_b32 v36, v11, v27
	s_waitcnt lgkmcnt(7)
	v_add_f32_e32 v2, v8, v10
	ds_bpermute_b32 v37, v11, v26
	ds_bpermute_b32 v38, v11, v25
	s_waitcnt lgkmcnt(8)
	v_add_f32_e32 v10, v35, v44
	v_add_f32_e32 v35, v29, v50
	ds_bpermute_b32 v29, v11, v24
	v_add_f32_e32 v39, v28, v51
	ds_bpermute_b32 v28, v11, v23
	s_waitcnt lgkmcnt(7)
	v_add_f32_e32 v3, v43, v48
	ds_bpermute_b32 v41, v11, v22
	ds_bpermute_b32 v44, v11, v21
	;; [unrolled: 1-line block ×4, first 2 shown]
	v_add_f32_e32 v1, v6, v40
	v_add_f32_e32 v8, v34, v45
	ds_bpermute_b32 v34, v4, v31
	ds_bpermute_b32 v40, v4, v30
	s_waitcnt lgkmcnt(12)
	v_add_f32_e32 v46, v17, v46
	s_waitcnt lgkmcnt(11)
	v_add_f32_e32 v6, v42, v47
	;; [unrolled: 2-line block ×3, first 2 shown]
	ds_bpermute_b32 v27, v11, v20
	s_waitcnt lgkmcnt(10)
	v_add_f32_e32 v37, v26, v37
	ds_bpermute_b32 v26, v11, v19
	s_waitcnt lgkmcnt(10)
	v_add_f32_e32 v38, v25, v38
	;; [unrolled: 3-line block ×4, first 2 shown]
	ds_bpermute_b32 v23, v11, v13
	ds_bpermute_b32 v11, v11, v12
	s_waitcnt lgkmcnt(11)
	v_add_f32_e32 v41, v22, v41
	s_waitcnt lgkmcnt(10)
	v_add_f32_e32 v44, v21, v44
	;; [unrolled: 2-line block ×4, first 2 shown]
	ds_bpermute_b32 v42, v4, v35
	ds_bpermute_b32 v43, v4, v39
	ds_bpermute_b32 v45, v4, v36
	ds_bpermute_b32 v47, v4, v37
	ds_bpermute_b32 v49, v4, v38
	ds_bpermute_b32 v22, v4, v51
	s_waitcnt lgkmcnt(11)
	v_add_f32_e32 v53, v20, v27
	ds_bpermute_b32 v21, v4, v52
	s_waitcnt lgkmcnt(11)
	v_add_f32_e32 v54, v19, v26
	ds_bpermute_b32 v20, v4, v41
	;; [unrolled: 3-line block ×4, first 2 shown]
	s_waitcnt lgkmcnt(11)
	v_add_f32_e32 v13, v13, v23
	s_waitcnt lgkmcnt(10)
	v_add_f32_e32 v58, v12, v11
	ds_bpermute_b32 v17, v4, v54
	ds_bpermute_b32 v16, v4, v55
	;; [unrolled: 1-line block ×6, first 2 shown]
	v_add_f32_e32 v29, v31, v34
	ds_bpermute_b32 v31, v4, v13
	v_add_f32_e32 v28, v30, v40
	ds_bpermute_b32 v30, v4, v58
	v_and_b32_e32 v34, 28, v123
	s_waitcnt lgkmcnt(17)
	v_add_f32_e32 v27, v35, v42
	s_waitcnt lgkmcnt(16)
	v_add_f32_e32 v26, v39, v43
	;; [unrolled: 2-line block ×17, first 2 shown]
	v_and_b32_e32 v35, 0x3c3, v121
	s_waitcnt lgkmcnt(0)
	v_add_f32_e32 v14, v58, v30
	v_lshrrev_b32_e32 v30, 2, v123
	v_add_nc_u32_e32 v31, 0x220, v34
	v_lshlrev_b32_e32 v34, 10, v122
	v_cmpx_eq_u32_e32 64, v35
	s_cbranch_execz .LBB107_93
; %bb.92:
	v_add_nc_u32_e32 v35, v31, v34
	v_add_nc_u32_e32 v36, 0xfffff800, v35
	;; [unrolled: 1-line block ×8, first 2 shown]
	ds_write_b32 v36, v33
	ds_write_b32 v37, v32
	;; [unrolled: 1-line block ×7, first 2 shown]
	v_add_nc_u32_e32 v36, 0xfffff8e0, v35
	v_add_nc_u32_e32 v37, 0xfffff900, v35
	v_add_nc_u32_e32 v38, 0xfffff920, v35
	v_add_nc_u32_e32 v39, 0xfffff940, v35
	v_add_nc_u32_e32 v40, 0xfffff960, v35
	ds_write_b32 v36, v2
	ds_write_b32 v37, v10
	ds_write_b32 v38, v8
	ds_write_b32 v39, v6
	ds_write_b32 v40, v3
	v_add_nc_u32_e32 v36, 0xfffff980, v35
	v_add_nc_u32_e32 v37, 0xfffff9a0, v35
	v_add_nc_u32_e32 v38, 0xfffff9c0, v35
	v_add_nc_u32_e32 v39, 0xfffff9e0, v35
	v_add_nc_u32_e32 v40, 0xfffffa00, v35
	ds_write_b32 v36, v29
	ds_write_b32 v37, v28
	ds_write_b32 v38, v27
	ds_write_b32 v39, v26
	ds_write_b32 v40, v25
	;; [unrolled: 10-line block ×5, first 2 shown]
.LBB107_93:
	s_or_b32 exec_lo, exec_lo, s1
	v_lshlrev_b32_e32 v30, 2, v30
	v_and_b32_e32 v35, 3, v121
	s_mov_b32 s2, exec_lo
	s_waitcnt lgkmcnt(0)
	s_barrier
	v_add3_u32 v30, 0x220, v34, v30
	v_cmp_eq_u32_e32 vcc_lo, 0, v35
	buffer_gl0_inv
	v_cmpx_gt_u32_e32 64, v121
	s_cbranch_execz .LBB107_128
; %bb.94:
	s_and_saveexec_b32 s1, vcc_lo
	s_cbranch_execnz .LBB107_168
; %bb.95:
	s_or_b32 exec_lo, exec_lo, s1
	s_and_saveexec_b32 s1, vcc_lo
	s_cbranch_execnz .LBB107_169
.LBB107_96:
	s_or_b32 exec_lo, exec_lo, s1
	s_and_saveexec_b32 s1, vcc_lo
	s_cbranch_execnz .LBB107_170
.LBB107_97:
	s_or_b32 exec_lo, exec_lo, s1
	s_and_saveexec_b32 s1, vcc_lo
	s_cbranch_execnz .LBB107_171
.LBB107_98:
	s_or_b32 exec_lo, exec_lo, s1
	s_and_saveexec_b32 s1, vcc_lo
	s_cbranch_execnz .LBB107_172
.LBB107_99:
	s_or_b32 exec_lo, exec_lo, s1
	s_and_saveexec_b32 s1, vcc_lo
	s_cbranch_execnz .LBB107_173
.LBB107_100:
	s_or_b32 exec_lo, exec_lo, s1
	s_and_saveexec_b32 s1, vcc_lo
	s_cbranch_execnz .LBB107_174
.LBB107_101:
	s_or_b32 exec_lo, exec_lo, s1
	s_and_saveexec_b32 s1, vcc_lo
	s_cbranch_execnz .LBB107_175
.LBB107_102:
	s_or_b32 exec_lo, exec_lo, s1
	s_and_saveexec_b32 s1, vcc_lo
	s_cbranch_execnz .LBB107_176
.LBB107_103:
	s_or_b32 exec_lo, exec_lo, s1
	s_and_saveexec_b32 s1, vcc_lo
	s_cbranch_execnz .LBB107_177
.LBB107_104:
	s_or_b32 exec_lo, exec_lo, s1
	s_and_saveexec_b32 s1, vcc_lo
	s_cbranch_execnz .LBB107_178
.LBB107_105:
	s_or_b32 exec_lo, exec_lo, s1
	s_and_saveexec_b32 s1, vcc_lo
	s_cbranch_execnz .LBB107_179
.LBB107_106:
	s_or_b32 exec_lo, exec_lo, s1
	s_and_saveexec_b32 s1, vcc_lo
	s_cbranch_execnz .LBB107_180
.LBB107_107:
	s_or_b32 exec_lo, exec_lo, s1
	s_and_saveexec_b32 s1, vcc_lo
	s_cbranch_execnz .LBB107_181
.LBB107_108:
	s_or_b32 exec_lo, exec_lo, s1
	s_and_saveexec_b32 s1, vcc_lo
	s_cbranch_execnz .LBB107_182
.LBB107_109:
	s_or_b32 exec_lo, exec_lo, s1
	s_and_saveexec_b32 s1, vcc_lo
	s_cbranch_execnz .LBB107_183
.LBB107_110:
	s_or_b32 exec_lo, exec_lo, s1
	s_and_saveexec_b32 s1, vcc_lo
	s_cbranch_execnz .LBB107_184
.LBB107_111:
	s_or_b32 exec_lo, exec_lo, s1
	s_and_saveexec_b32 s1, vcc_lo
	s_cbranch_execnz .LBB107_185
.LBB107_112:
	s_or_b32 exec_lo, exec_lo, s1
	s_and_saveexec_b32 s1, vcc_lo
	s_cbranch_execnz .LBB107_186
.LBB107_113:
	s_or_b32 exec_lo, exec_lo, s1
	s_and_saveexec_b32 s1, vcc_lo
	s_cbranch_execnz .LBB107_187
.LBB107_114:
	s_or_b32 exec_lo, exec_lo, s1
	s_and_saveexec_b32 s1, vcc_lo
	s_cbranch_execnz .LBB107_188
.LBB107_115:
	s_or_b32 exec_lo, exec_lo, s1
	s_and_saveexec_b32 s1, vcc_lo
	s_cbranch_execnz .LBB107_189
.LBB107_116:
	s_or_b32 exec_lo, exec_lo, s1
	s_and_saveexec_b32 s1, vcc_lo
	s_cbranch_execnz .LBB107_190
.LBB107_117:
	s_or_b32 exec_lo, exec_lo, s1
	s_and_saveexec_b32 s1, vcc_lo
	s_cbranch_execnz .LBB107_191
.LBB107_118:
	s_or_b32 exec_lo, exec_lo, s1
	s_and_saveexec_b32 s1, vcc_lo
	s_cbranch_execnz .LBB107_192
.LBB107_119:
	s_or_b32 exec_lo, exec_lo, s1
	s_and_saveexec_b32 s1, vcc_lo
	s_cbranch_execnz .LBB107_193
.LBB107_120:
	s_or_b32 exec_lo, exec_lo, s1
	s_and_saveexec_b32 s1, vcc_lo
	s_cbranch_execnz .LBB107_194
.LBB107_121:
	s_or_b32 exec_lo, exec_lo, s1
	s_and_saveexec_b32 s1, vcc_lo
	s_cbranch_execnz .LBB107_195
.LBB107_122:
	s_or_b32 exec_lo, exec_lo, s1
	s_and_saveexec_b32 s1, vcc_lo
	s_cbranch_execnz .LBB107_196
.LBB107_123:
	s_or_b32 exec_lo, exec_lo, s1
	s_and_saveexec_b32 s1, vcc_lo
	s_cbranch_execnz .LBB107_197
.LBB107_124:
	s_or_b32 exec_lo, exec_lo, s1
	s_and_saveexec_b32 s1, vcc_lo
	s_cbranch_execnz .LBB107_198
.LBB107_125:
	s_or_b32 exec_lo, exec_lo, s1
	s_and_saveexec_b32 s1, vcc_lo
	s_cbranch_execz .LBB107_127
.LBB107_126:
	ds_read_b32 v34, v30 offset:992
	s_waitcnt lgkmcnt(0)
	v_add_f32_e32 v14, v14, v34
.LBB107_127:
	s_or_b32 exec_lo, exec_lo, s1
.LBB107_128:
	s_or_b32 exec_lo, exec_lo, s2
	v_and_b32_e32 v34, 0x3e3, v121
	s_mov_b32 s2, exec_lo
	s_barrier
	buffer_gl0_inv
	v_cmpx_eq_u32_e32 32, v34
	s_cbranch_execz .LBB107_130
; %bb.129:
	ds_write2_b32 v31, v33, v32 offset1:8
	ds_write2_b32 v31, v9, v7 offset0:16 offset1:24
	ds_write2_b32 v31, v5, v1 offset0:32 offset1:40
	;; [unrolled: 1-line block ×15, first 2 shown]
.LBB107_130:
	s_or_b32 exec_lo, exec_lo, s2
	s_waitcnt lgkmcnt(0)
	s_barrier
	buffer_gl0_inv
	s_and_saveexec_b32 s1, s0
	s_cbranch_execz .LBB107_165
; %bb.131:
	s_and_saveexec_b32 s0, vcc_lo
	s_cbranch_execnz .LBB107_199
; %bb.132:
	s_or_b32 exec_lo, exec_lo, s0
	s_and_saveexec_b32 s0, vcc_lo
	s_cbranch_execnz .LBB107_200
.LBB107_133:
	s_or_b32 exec_lo, exec_lo, s0
	s_and_saveexec_b32 s0, vcc_lo
	s_cbranch_execnz .LBB107_201
.LBB107_134:
	s_or_b32 exec_lo, exec_lo, s0
	s_and_saveexec_b32 s0, vcc_lo
	s_cbranch_execnz .LBB107_202
.LBB107_135:
	s_or_b32 exec_lo, exec_lo, s0
	s_and_saveexec_b32 s0, vcc_lo
	s_cbranch_execnz .LBB107_203
.LBB107_136:
	s_or_b32 exec_lo, exec_lo, s0
	s_and_saveexec_b32 s0, vcc_lo
	s_cbranch_execnz .LBB107_204
.LBB107_137:
	s_or_b32 exec_lo, exec_lo, s0
	s_and_saveexec_b32 s0, vcc_lo
	s_cbranch_execnz .LBB107_205
.LBB107_138:
	s_or_b32 exec_lo, exec_lo, s0
	s_and_saveexec_b32 s0, vcc_lo
	s_cbranch_execnz .LBB107_206
.LBB107_139:
	s_or_b32 exec_lo, exec_lo, s0
	s_and_saveexec_b32 s0, vcc_lo
	s_cbranch_execnz .LBB107_207
.LBB107_140:
	s_or_b32 exec_lo, exec_lo, s0
	s_and_saveexec_b32 s0, vcc_lo
	s_cbranch_execnz .LBB107_208
.LBB107_141:
	s_or_b32 exec_lo, exec_lo, s0
	s_and_saveexec_b32 s0, vcc_lo
	s_cbranch_execnz .LBB107_209
.LBB107_142:
	s_or_b32 exec_lo, exec_lo, s0
	s_and_saveexec_b32 s0, vcc_lo
	s_cbranch_execnz .LBB107_210
.LBB107_143:
	s_or_b32 exec_lo, exec_lo, s0
	s_and_saveexec_b32 s0, vcc_lo
	s_cbranch_execnz .LBB107_211
.LBB107_144:
	s_or_b32 exec_lo, exec_lo, s0
	s_and_saveexec_b32 s0, vcc_lo
	s_cbranch_execnz .LBB107_212
.LBB107_145:
	s_or_b32 exec_lo, exec_lo, s0
	s_and_saveexec_b32 s0, vcc_lo
	s_cbranch_execnz .LBB107_213
.LBB107_146:
	s_or_b32 exec_lo, exec_lo, s0
	s_and_saveexec_b32 s0, vcc_lo
	s_cbranch_execnz .LBB107_214
.LBB107_147:
	s_or_b32 exec_lo, exec_lo, s0
	s_and_saveexec_b32 s0, vcc_lo
	s_cbranch_execnz .LBB107_215
.LBB107_148:
	s_or_b32 exec_lo, exec_lo, s0
	s_and_saveexec_b32 s0, vcc_lo
	s_cbranch_execnz .LBB107_216
.LBB107_149:
	s_or_b32 exec_lo, exec_lo, s0
	s_and_saveexec_b32 s0, vcc_lo
	s_cbranch_execnz .LBB107_217
.LBB107_150:
	s_or_b32 exec_lo, exec_lo, s0
	s_and_saveexec_b32 s0, vcc_lo
	s_cbranch_execnz .LBB107_218
.LBB107_151:
	s_or_b32 exec_lo, exec_lo, s0
	s_and_saveexec_b32 s0, vcc_lo
	s_cbranch_execnz .LBB107_219
.LBB107_152:
	s_or_b32 exec_lo, exec_lo, s0
	s_and_saveexec_b32 s0, vcc_lo
	s_cbranch_execnz .LBB107_220
.LBB107_153:
	s_or_b32 exec_lo, exec_lo, s0
	s_and_saveexec_b32 s0, vcc_lo
	s_cbranch_execnz .LBB107_221
.LBB107_154:
	s_or_b32 exec_lo, exec_lo, s0
	s_and_saveexec_b32 s0, vcc_lo
	s_cbranch_execnz .LBB107_222
.LBB107_155:
	s_or_b32 exec_lo, exec_lo, s0
	s_and_saveexec_b32 s0, vcc_lo
	s_cbranch_execnz .LBB107_223
.LBB107_156:
	s_or_b32 exec_lo, exec_lo, s0
	s_and_saveexec_b32 s0, vcc_lo
	s_cbranch_execnz .LBB107_224
.LBB107_157:
	s_or_b32 exec_lo, exec_lo, s0
	s_and_saveexec_b32 s0, vcc_lo
	s_cbranch_execnz .LBB107_225
.LBB107_158:
	s_or_b32 exec_lo, exec_lo, s0
	s_and_saveexec_b32 s0, vcc_lo
	s_cbranch_execnz .LBB107_226
.LBB107_159:
	s_or_b32 exec_lo, exec_lo, s0
	s_and_saveexec_b32 s0, vcc_lo
	s_cbranch_execnz .LBB107_227
.LBB107_160:
	s_or_b32 exec_lo, exec_lo, s0
	s_and_saveexec_b32 s0, vcc_lo
	s_cbranch_execnz .LBB107_228
.LBB107_161:
	s_or_b32 exec_lo, exec_lo, s0
	s_and_saveexec_b32 s0, vcc_lo
	s_cbranch_execnz .LBB107_229
.LBB107_162:
	s_or_b32 exec_lo, exec_lo, s0
	s_and_saveexec_b32 s0, vcc_lo
	s_cbranch_execz .LBB107_164
.LBB107_163:
	ds_read_b32 v30, v30 offset:992
	s_waitcnt lgkmcnt(0)
	v_add_f32_e32 v14, v14, v30
.LBB107_164:
	s_or_b32 exec_lo, exec_lo, s0
.LBB107_165:
	s_or_b32 exec_lo, exec_lo, s1
	s_barrier
	buffer_gl0_inv
	s_mov_b32 s0, exec_lo
	v_cmpx_eq_u32_e32 0, v34
	s_cbranch_execz .LBB107_167
; %bb.166:
	s_mul_i32 s0, s10, s7
	s_mul_i32 s2, s7, s6
	;; [unrolled: 1-line block ×3, first 2 shown]
	v_lshrrev_b32_e32 v30, 1, v121
	s_lshl_b32 s0, s0, 8
	;;#ASMSTART
	v_cvt_f16_f32 v31, v33;

	;;#ASMEND
	s_ashr_i32 s1, s0, 31
	s_lshl_b64 s[0:1], s[0:1], 1
	s_add_u32 s4, s16, s0
	s_addc_u32 s5, s17, s1
	s_ashr_i32 s3, s2, 31
	s_lshl_b64 s[0:1], s[2:3], 1
	s_add_u32 s2, s4, s0
	s_addc_u32 s3, s5, s1
	s_lshl_b32 s0, s8, 8
	s_ashr_i32 s1, s0, 31
	s_lshl_b64 s[0:1], s[0:1], 1
	s_add_u32 s0, s2, s0
	s_addc_u32 s1, s3, s1
	global_store_short v30, v31, s[0:1]
	;;#ASMSTART
	v_cvt_f16_f32 v31, v32;

	;;#ASMEND
	global_store_short v30, v31, s[0:1] offset:16
	;;#ASMSTART
	v_cvt_f16_f32 v9, v9;

	;;#ASMEND
	global_store_short v30, v9, s[0:1] offset:32
	;; [unrolled: 5-line block ×31, first 2 shown]
.LBB107_167:
	s_endpgm
.LBB107_168:
	ds_read_b32 v34, v30
	s_waitcnt lgkmcnt(0)
	v_add_f32_e32 v33, v33, v34
	s_or_b32 exec_lo, exec_lo, s1
	s_and_saveexec_b32 s1, vcc_lo
	s_cbranch_execz .LBB107_96
.LBB107_169:
	ds_read_b32 v34, v30 offset:32
	s_waitcnt lgkmcnt(0)
	v_add_f32_e32 v32, v32, v34
	s_or_b32 exec_lo, exec_lo, s1
	s_and_saveexec_b32 s1, vcc_lo
	s_cbranch_execz .LBB107_97
.LBB107_170:
	ds_read_b32 v34, v30 offset:64
	s_waitcnt lgkmcnt(0)
	v_add_f32_e32 v9, v9, v34
	s_or_b32 exec_lo, exec_lo, s1
	s_and_saveexec_b32 s1, vcc_lo
	s_cbranch_execz .LBB107_98
.LBB107_171:
	ds_read_b32 v34, v30 offset:96
	s_waitcnt lgkmcnt(0)
	v_add_f32_e32 v7, v7, v34
	s_or_b32 exec_lo, exec_lo, s1
	s_and_saveexec_b32 s1, vcc_lo
	s_cbranch_execz .LBB107_99
.LBB107_172:
	ds_read_b32 v34, v30 offset:128
	s_waitcnt lgkmcnt(0)
	v_add_f32_e32 v5, v5, v34
	s_or_b32 exec_lo, exec_lo, s1
	s_and_saveexec_b32 s1, vcc_lo
	s_cbranch_execz .LBB107_100
.LBB107_173:
	ds_read_b32 v34, v30 offset:160
	s_waitcnt lgkmcnt(0)
	v_add_f32_e32 v1, v1, v34
	s_or_b32 exec_lo, exec_lo, s1
	s_and_saveexec_b32 s1, vcc_lo
	s_cbranch_execz .LBB107_101
.LBB107_174:
	ds_read_b32 v34, v30 offset:192
	s_waitcnt lgkmcnt(0)
	v_add_f32_e32 v0, v0, v34
	s_or_b32 exec_lo, exec_lo, s1
	s_and_saveexec_b32 s1, vcc_lo
	s_cbranch_execz .LBB107_102
.LBB107_175:
	ds_read_b32 v34, v30 offset:224
	s_waitcnt lgkmcnt(0)
	v_add_f32_e32 v2, v2, v34
	s_or_b32 exec_lo, exec_lo, s1
	s_and_saveexec_b32 s1, vcc_lo
	s_cbranch_execz .LBB107_103
.LBB107_176:
	ds_read_b32 v34, v30 offset:256
	s_waitcnt lgkmcnt(0)
	v_add_f32_e32 v10, v10, v34
	s_or_b32 exec_lo, exec_lo, s1
	s_and_saveexec_b32 s1, vcc_lo
	s_cbranch_execz .LBB107_104
.LBB107_177:
	ds_read_b32 v34, v30 offset:288
	s_waitcnt lgkmcnt(0)
	v_add_f32_e32 v8, v8, v34
	s_or_b32 exec_lo, exec_lo, s1
	s_and_saveexec_b32 s1, vcc_lo
	s_cbranch_execz .LBB107_105
.LBB107_178:
	ds_read_b32 v34, v30 offset:320
	s_waitcnt lgkmcnt(0)
	v_add_f32_e32 v6, v6, v34
	s_or_b32 exec_lo, exec_lo, s1
	s_and_saveexec_b32 s1, vcc_lo
	s_cbranch_execz .LBB107_106
.LBB107_179:
	ds_read_b32 v34, v30 offset:352
	s_waitcnt lgkmcnt(0)
	v_add_f32_e32 v3, v3, v34
	s_or_b32 exec_lo, exec_lo, s1
	s_and_saveexec_b32 s1, vcc_lo
	s_cbranch_execz .LBB107_107
.LBB107_180:
	ds_read_b32 v34, v30 offset:384
	s_waitcnt lgkmcnt(0)
	v_add_f32_e32 v29, v29, v34
	s_or_b32 exec_lo, exec_lo, s1
	s_and_saveexec_b32 s1, vcc_lo
	s_cbranch_execz .LBB107_108
.LBB107_181:
	ds_read_b32 v34, v30 offset:416
	s_waitcnt lgkmcnt(0)
	v_add_f32_e32 v28, v28, v34
	s_or_b32 exec_lo, exec_lo, s1
	s_and_saveexec_b32 s1, vcc_lo
	s_cbranch_execz .LBB107_109
.LBB107_182:
	ds_read_b32 v34, v30 offset:448
	s_waitcnt lgkmcnt(0)
	v_add_f32_e32 v27, v27, v34
	s_or_b32 exec_lo, exec_lo, s1
	s_and_saveexec_b32 s1, vcc_lo
	s_cbranch_execz .LBB107_110
.LBB107_183:
	ds_read_b32 v34, v30 offset:480
	s_waitcnt lgkmcnt(0)
	v_add_f32_e32 v26, v26, v34
	s_or_b32 exec_lo, exec_lo, s1
	s_and_saveexec_b32 s1, vcc_lo
	s_cbranch_execz .LBB107_111
.LBB107_184:
	ds_read_b32 v34, v30 offset:512
	s_waitcnt lgkmcnt(0)
	v_add_f32_e32 v25, v25, v34
	s_or_b32 exec_lo, exec_lo, s1
	s_and_saveexec_b32 s1, vcc_lo
	s_cbranch_execz .LBB107_112
.LBB107_185:
	ds_read_b32 v34, v30 offset:544
	s_waitcnt lgkmcnt(0)
	v_add_f32_e32 v24, v24, v34
	s_or_b32 exec_lo, exec_lo, s1
	s_and_saveexec_b32 s1, vcc_lo
	s_cbranch_execz .LBB107_113
.LBB107_186:
	ds_read_b32 v34, v30 offset:576
	s_waitcnt lgkmcnt(0)
	v_add_f32_e32 v23, v23, v34
	s_or_b32 exec_lo, exec_lo, s1
	s_and_saveexec_b32 s1, vcc_lo
	s_cbranch_execz .LBB107_114
.LBB107_187:
	ds_read_b32 v34, v30 offset:608
	s_waitcnt lgkmcnt(0)
	v_add_f32_e32 v22, v22, v34
	s_or_b32 exec_lo, exec_lo, s1
	s_and_saveexec_b32 s1, vcc_lo
	s_cbranch_execz .LBB107_115
.LBB107_188:
	ds_read_b32 v34, v30 offset:640
	s_waitcnt lgkmcnt(0)
	v_add_f32_e32 v21, v21, v34
	s_or_b32 exec_lo, exec_lo, s1
	s_and_saveexec_b32 s1, vcc_lo
	s_cbranch_execz .LBB107_116
.LBB107_189:
	ds_read_b32 v34, v30 offset:672
	s_waitcnt lgkmcnt(0)
	v_add_f32_e32 v20, v20, v34
	s_or_b32 exec_lo, exec_lo, s1
	s_and_saveexec_b32 s1, vcc_lo
	s_cbranch_execz .LBB107_117
.LBB107_190:
	ds_read_b32 v34, v30 offset:704
	s_waitcnt lgkmcnt(0)
	v_add_f32_e32 v19, v19, v34
	s_or_b32 exec_lo, exec_lo, s1
	s_and_saveexec_b32 s1, vcc_lo
	s_cbranch_execz .LBB107_118
.LBB107_191:
	ds_read_b32 v34, v30 offset:736
	s_waitcnt lgkmcnt(0)
	v_add_f32_e32 v18, v18, v34
	s_or_b32 exec_lo, exec_lo, s1
	s_and_saveexec_b32 s1, vcc_lo
	s_cbranch_execz .LBB107_119
.LBB107_192:
	ds_read_b32 v34, v30 offset:768
	s_waitcnt lgkmcnt(0)
	v_add_f32_e32 v17, v17, v34
	s_or_b32 exec_lo, exec_lo, s1
	s_and_saveexec_b32 s1, vcc_lo
	s_cbranch_execz .LBB107_120
.LBB107_193:
	ds_read_b32 v34, v30 offset:800
	s_waitcnt lgkmcnt(0)
	v_add_f32_e32 v16, v16, v34
	s_or_b32 exec_lo, exec_lo, s1
	s_and_saveexec_b32 s1, vcc_lo
	s_cbranch_execz .LBB107_121
.LBB107_194:
	ds_read_b32 v34, v30 offset:832
	s_waitcnt lgkmcnt(0)
	v_add_f32_e32 v15, v15, v34
	s_or_b32 exec_lo, exec_lo, s1
	s_and_saveexec_b32 s1, vcc_lo
	s_cbranch_execz .LBB107_122
.LBB107_195:
	ds_read_b32 v34, v30 offset:864
	s_waitcnt lgkmcnt(0)
	v_add_f32_e32 v12, v12, v34
	s_or_b32 exec_lo, exec_lo, s1
	s_and_saveexec_b32 s1, vcc_lo
	s_cbranch_execz .LBB107_123
.LBB107_196:
	ds_read_b32 v34, v30 offset:896
	s_waitcnt lgkmcnt(0)
	v_add_f32_e32 v11, v11, v34
	s_or_b32 exec_lo, exec_lo, s1
	s_and_saveexec_b32 s1, vcc_lo
	s_cbranch_execz .LBB107_124
.LBB107_197:
	ds_read_b32 v34, v30 offset:928
	s_waitcnt lgkmcnt(0)
	v_add_f32_e32 v4, v4, v34
	s_or_b32 exec_lo, exec_lo, s1
	s_and_saveexec_b32 s1, vcc_lo
	s_cbranch_execz .LBB107_125
.LBB107_198:
	ds_read_b32 v34, v30 offset:960
	s_waitcnt lgkmcnt(0)
	v_add_f32_e32 v13, v13, v34
	s_or_b32 exec_lo, exec_lo, s1
	s_and_saveexec_b32 s1, vcc_lo
	s_cbranch_execnz .LBB107_126
	s_branch .LBB107_127
.LBB107_199:
	ds_read_b32 v31, v30
	s_waitcnt lgkmcnt(0)
	v_add_f32_e32 v33, v33, v31
	s_or_b32 exec_lo, exec_lo, s0
	s_and_saveexec_b32 s0, vcc_lo
	s_cbranch_execz .LBB107_133
.LBB107_200:
	ds_read_b32 v31, v30 offset:32
	s_waitcnt lgkmcnt(0)
	v_add_f32_e32 v32, v32, v31
	s_or_b32 exec_lo, exec_lo, s0
	s_and_saveexec_b32 s0, vcc_lo
	s_cbranch_execz .LBB107_134
.LBB107_201:
	ds_read_b32 v31, v30 offset:64
	s_waitcnt lgkmcnt(0)
	v_add_f32_e32 v9, v9, v31
	s_or_b32 exec_lo, exec_lo, s0
	s_and_saveexec_b32 s0, vcc_lo
	s_cbranch_execz .LBB107_135
.LBB107_202:
	ds_read_b32 v31, v30 offset:96
	s_waitcnt lgkmcnt(0)
	v_add_f32_e32 v7, v7, v31
	s_or_b32 exec_lo, exec_lo, s0
	s_and_saveexec_b32 s0, vcc_lo
	s_cbranch_execz .LBB107_136
.LBB107_203:
	ds_read_b32 v31, v30 offset:128
	s_waitcnt lgkmcnt(0)
	v_add_f32_e32 v5, v5, v31
	s_or_b32 exec_lo, exec_lo, s0
	s_and_saveexec_b32 s0, vcc_lo
	s_cbranch_execz .LBB107_137
.LBB107_204:
	ds_read_b32 v31, v30 offset:160
	s_waitcnt lgkmcnt(0)
	v_add_f32_e32 v1, v1, v31
	s_or_b32 exec_lo, exec_lo, s0
	s_and_saveexec_b32 s0, vcc_lo
	s_cbranch_execz .LBB107_138
.LBB107_205:
	ds_read_b32 v31, v30 offset:192
	s_waitcnt lgkmcnt(0)
	v_add_f32_e32 v0, v0, v31
	s_or_b32 exec_lo, exec_lo, s0
	s_and_saveexec_b32 s0, vcc_lo
	s_cbranch_execz .LBB107_139
.LBB107_206:
	ds_read_b32 v31, v30 offset:224
	s_waitcnt lgkmcnt(0)
	v_add_f32_e32 v2, v2, v31
	s_or_b32 exec_lo, exec_lo, s0
	s_and_saveexec_b32 s0, vcc_lo
	s_cbranch_execz .LBB107_140
.LBB107_207:
	ds_read_b32 v31, v30 offset:256
	s_waitcnt lgkmcnt(0)
	v_add_f32_e32 v10, v10, v31
	s_or_b32 exec_lo, exec_lo, s0
	s_and_saveexec_b32 s0, vcc_lo
	s_cbranch_execz .LBB107_141
.LBB107_208:
	ds_read_b32 v31, v30 offset:288
	s_waitcnt lgkmcnt(0)
	v_add_f32_e32 v8, v8, v31
	s_or_b32 exec_lo, exec_lo, s0
	s_and_saveexec_b32 s0, vcc_lo
	s_cbranch_execz .LBB107_142
.LBB107_209:
	ds_read_b32 v31, v30 offset:320
	s_waitcnt lgkmcnt(0)
	v_add_f32_e32 v6, v6, v31
	s_or_b32 exec_lo, exec_lo, s0
	s_and_saveexec_b32 s0, vcc_lo
	s_cbranch_execz .LBB107_143
.LBB107_210:
	ds_read_b32 v31, v30 offset:352
	s_waitcnt lgkmcnt(0)
	v_add_f32_e32 v3, v3, v31
	s_or_b32 exec_lo, exec_lo, s0
	s_and_saveexec_b32 s0, vcc_lo
	s_cbranch_execz .LBB107_144
.LBB107_211:
	ds_read_b32 v31, v30 offset:384
	s_waitcnt lgkmcnt(0)
	v_add_f32_e32 v29, v29, v31
	s_or_b32 exec_lo, exec_lo, s0
	s_and_saveexec_b32 s0, vcc_lo
	s_cbranch_execz .LBB107_145
.LBB107_212:
	ds_read_b32 v31, v30 offset:416
	s_waitcnt lgkmcnt(0)
	v_add_f32_e32 v28, v28, v31
	s_or_b32 exec_lo, exec_lo, s0
	s_and_saveexec_b32 s0, vcc_lo
	s_cbranch_execz .LBB107_146
.LBB107_213:
	ds_read_b32 v31, v30 offset:448
	s_waitcnt lgkmcnt(0)
	v_add_f32_e32 v27, v27, v31
	s_or_b32 exec_lo, exec_lo, s0
	s_and_saveexec_b32 s0, vcc_lo
	s_cbranch_execz .LBB107_147
.LBB107_214:
	ds_read_b32 v31, v30 offset:480
	s_waitcnt lgkmcnt(0)
	v_add_f32_e32 v26, v26, v31
	s_or_b32 exec_lo, exec_lo, s0
	s_and_saveexec_b32 s0, vcc_lo
	s_cbranch_execz .LBB107_148
.LBB107_215:
	ds_read_b32 v31, v30 offset:512
	s_waitcnt lgkmcnt(0)
	v_add_f32_e32 v25, v25, v31
	s_or_b32 exec_lo, exec_lo, s0
	s_and_saveexec_b32 s0, vcc_lo
	s_cbranch_execz .LBB107_149
.LBB107_216:
	ds_read_b32 v31, v30 offset:544
	s_waitcnt lgkmcnt(0)
	v_add_f32_e32 v24, v24, v31
	s_or_b32 exec_lo, exec_lo, s0
	s_and_saveexec_b32 s0, vcc_lo
	s_cbranch_execz .LBB107_150
.LBB107_217:
	ds_read_b32 v31, v30 offset:576
	s_waitcnt lgkmcnt(0)
	v_add_f32_e32 v23, v23, v31
	s_or_b32 exec_lo, exec_lo, s0
	s_and_saveexec_b32 s0, vcc_lo
	s_cbranch_execz .LBB107_151
.LBB107_218:
	ds_read_b32 v31, v30 offset:608
	s_waitcnt lgkmcnt(0)
	v_add_f32_e32 v22, v22, v31
	s_or_b32 exec_lo, exec_lo, s0
	s_and_saveexec_b32 s0, vcc_lo
	s_cbranch_execz .LBB107_152
.LBB107_219:
	ds_read_b32 v31, v30 offset:640
	s_waitcnt lgkmcnt(0)
	v_add_f32_e32 v21, v21, v31
	s_or_b32 exec_lo, exec_lo, s0
	s_and_saveexec_b32 s0, vcc_lo
	s_cbranch_execz .LBB107_153
.LBB107_220:
	ds_read_b32 v31, v30 offset:672
	s_waitcnt lgkmcnt(0)
	v_add_f32_e32 v20, v20, v31
	s_or_b32 exec_lo, exec_lo, s0
	s_and_saveexec_b32 s0, vcc_lo
	s_cbranch_execz .LBB107_154
.LBB107_221:
	ds_read_b32 v31, v30 offset:704
	s_waitcnt lgkmcnt(0)
	v_add_f32_e32 v19, v19, v31
	s_or_b32 exec_lo, exec_lo, s0
	s_and_saveexec_b32 s0, vcc_lo
	s_cbranch_execz .LBB107_155
.LBB107_222:
	ds_read_b32 v31, v30 offset:736
	s_waitcnt lgkmcnt(0)
	v_add_f32_e32 v18, v18, v31
	s_or_b32 exec_lo, exec_lo, s0
	s_and_saveexec_b32 s0, vcc_lo
	s_cbranch_execz .LBB107_156
.LBB107_223:
	ds_read_b32 v31, v30 offset:768
	s_waitcnt lgkmcnt(0)
	v_add_f32_e32 v17, v17, v31
	s_or_b32 exec_lo, exec_lo, s0
	s_and_saveexec_b32 s0, vcc_lo
	s_cbranch_execz .LBB107_157
.LBB107_224:
	ds_read_b32 v31, v30 offset:800
	s_waitcnt lgkmcnt(0)
	v_add_f32_e32 v16, v16, v31
	s_or_b32 exec_lo, exec_lo, s0
	s_and_saveexec_b32 s0, vcc_lo
	s_cbranch_execz .LBB107_158
.LBB107_225:
	ds_read_b32 v31, v30 offset:832
	s_waitcnt lgkmcnt(0)
	v_add_f32_e32 v15, v15, v31
	s_or_b32 exec_lo, exec_lo, s0
	s_and_saveexec_b32 s0, vcc_lo
	s_cbranch_execz .LBB107_159
.LBB107_226:
	ds_read_b32 v31, v30 offset:864
	s_waitcnt lgkmcnt(0)
	v_add_f32_e32 v12, v12, v31
	s_or_b32 exec_lo, exec_lo, s0
	s_and_saveexec_b32 s0, vcc_lo
	s_cbranch_execz .LBB107_160
.LBB107_227:
	ds_read_b32 v31, v30 offset:896
	s_waitcnt lgkmcnt(0)
	v_add_f32_e32 v11, v11, v31
	s_or_b32 exec_lo, exec_lo, s0
	s_and_saveexec_b32 s0, vcc_lo
	s_cbranch_execz .LBB107_161
.LBB107_228:
	ds_read_b32 v31, v30 offset:928
	s_waitcnt lgkmcnt(0)
	v_add_f32_e32 v4, v4, v31
	s_or_b32 exec_lo, exec_lo, s0
	s_and_saveexec_b32 s0, vcc_lo
	s_cbranch_execz .LBB107_162
.LBB107_229:
	ds_read_b32 v31, v30 offset:960
	s_waitcnt lgkmcnt(0)
	v_add_f32_e32 v13, v13, v31
	s_or_b32 exec_lo, exec_lo, s0
	s_and_saveexec_b32 s0, vcc_lo
	s_cbranch_execnz .LBB107_163
	s_branch .LBB107_164
	.section	.rodata,"a",@progbits
	.p2align	6, 0x0
	.amdhsa_kernel _ZN4vllm25paged_attention_v1_kernelIttLi256ELi32ELi128ELNS_18Fp8KVCacheDataTypeE0ELb0EEEvPT_PKS2_PKT0_S8_ifPKiSA_iPKfiiiSC_SC_iiiii
		.amdhsa_group_segment_fixed_size 544
		.amdhsa_private_segment_fixed_size 136
		.amdhsa_kernarg_size 384
		.amdhsa_user_sgpr_count 6
		.amdhsa_user_sgpr_private_segment_buffer 1
		.amdhsa_user_sgpr_dispatch_ptr 0
		.amdhsa_user_sgpr_queue_ptr 0
		.amdhsa_user_sgpr_kernarg_segment_ptr 1
		.amdhsa_user_sgpr_dispatch_id 0
		.amdhsa_user_sgpr_flat_scratch_init 0
		.amdhsa_user_sgpr_private_segment_size 0
		.amdhsa_wavefront_size32 1
		.amdhsa_uses_dynamic_stack 0
		.amdhsa_system_sgpr_private_segment_wavefront_offset 1
		.amdhsa_system_sgpr_workgroup_id_x 1
		.amdhsa_system_sgpr_workgroup_id_y 1
		.amdhsa_system_sgpr_workgroup_id_z 1
		.amdhsa_system_sgpr_workgroup_info 0
		.amdhsa_system_vgpr_workitem_id 0
		.amdhsa_next_free_vgpr 128
		.amdhsa_next_free_sgpr 32
		.amdhsa_reserve_vcc 1
		.amdhsa_reserve_flat_scratch 0
		.amdhsa_float_round_mode_32 0
		.amdhsa_float_round_mode_16_64 0
		.amdhsa_float_denorm_mode_32 3
		.amdhsa_float_denorm_mode_16_64 3
		.amdhsa_dx10_clamp 1
		.amdhsa_ieee_mode 1
		.amdhsa_fp16_overflow 0
		.amdhsa_workgroup_processor_mode 1
		.amdhsa_memory_ordered 1
		.amdhsa_forward_progress 1
		.amdhsa_shared_vgpr_count 0
		.amdhsa_exception_fp_ieee_invalid_op 0
		.amdhsa_exception_fp_denorm_src 0
		.amdhsa_exception_fp_ieee_div_zero 0
		.amdhsa_exception_fp_ieee_overflow 0
		.amdhsa_exception_fp_ieee_underflow 0
		.amdhsa_exception_fp_ieee_inexact 0
		.amdhsa_exception_int_div_zero 0
	.end_amdhsa_kernel
	.section	.text._ZN4vllm25paged_attention_v1_kernelIttLi256ELi32ELi128ELNS_18Fp8KVCacheDataTypeE0ELb0EEEvPT_PKS2_PKT0_S8_ifPKiSA_iPKfiiiSC_SC_iiiii,"axG",@progbits,_ZN4vllm25paged_attention_v1_kernelIttLi256ELi32ELi128ELNS_18Fp8KVCacheDataTypeE0ELb0EEEvPT_PKS2_PKT0_S8_ifPKiSA_iPKfiiiSC_SC_iiiii,comdat
.Lfunc_end107:
	.size	_ZN4vllm25paged_attention_v1_kernelIttLi256ELi32ELi128ELNS_18Fp8KVCacheDataTypeE0ELb0EEEvPT_PKS2_PKT0_S8_ifPKiSA_iPKfiiiSC_SC_iiiii, .Lfunc_end107-_ZN4vllm25paged_attention_v1_kernelIttLi256ELi32ELi128ELNS_18Fp8KVCacheDataTypeE0ELb0EEEvPT_PKS2_PKT0_S8_ifPKiSA_iPKfiiiSC_SC_iiiii
                                        ; -- End function
	.set _ZN4vllm25paged_attention_v1_kernelIttLi256ELi32ELi128ELNS_18Fp8KVCacheDataTypeE0ELb0EEEvPT_PKS2_PKT0_S8_ifPKiSA_iPKfiiiSC_SC_iiiii.num_vgpr, 128
	.set _ZN4vllm25paged_attention_v1_kernelIttLi256ELi32ELi128ELNS_18Fp8KVCacheDataTypeE0ELb0EEEvPT_PKS2_PKT0_S8_ifPKiSA_iPKfiiiSC_SC_iiiii.num_agpr, 0
	.set _ZN4vllm25paged_attention_v1_kernelIttLi256ELi32ELi128ELNS_18Fp8KVCacheDataTypeE0ELb0EEEvPT_PKS2_PKT0_S8_ifPKiSA_iPKfiiiSC_SC_iiiii.numbered_sgpr, 32
	.set _ZN4vllm25paged_attention_v1_kernelIttLi256ELi32ELi128ELNS_18Fp8KVCacheDataTypeE0ELb0EEEvPT_PKS2_PKT0_S8_ifPKiSA_iPKfiiiSC_SC_iiiii.num_named_barrier, 0
	.set _ZN4vllm25paged_attention_v1_kernelIttLi256ELi32ELi128ELNS_18Fp8KVCacheDataTypeE0ELb0EEEvPT_PKS2_PKT0_S8_ifPKiSA_iPKfiiiSC_SC_iiiii.private_seg_size, 136
	.set _ZN4vllm25paged_attention_v1_kernelIttLi256ELi32ELi128ELNS_18Fp8KVCacheDataTypeE0ELb0EEEvPT_PKS2_PKT0_S8_ifPKiSA_iPKfiiiSC_SC_iiiii.uses_vcc, 1
	.set _ZN4vllm25paged_attention_v1_kernelIttLi256ELi32ELi128ELNS_18Fp8KVCacheDataTypeE0ELb0EEEvPT_PKS2_PKT0_S8_ifPKiSA_iPKfiiiSC_SC_iiiii.uses_flat_scratch, 0
	.set _ZN4vllm25paged_attention_v1_kernelIttLi256ELi32ELi128ELNS_18Fp8KVCacheDataTypeE0ELb0EEEvPT_PKS2_PKT0_S8_ifPKiSA_iPKfiiiSC_SC_iiiii.has_dyn_sized_stack, 0
	.set _ZN4vllm25paged_attention_v1_kernelIttLi256ELi32ELi128ELNS_18Fp8KVCacheDataTypeE0ELb0EEEvPT_PKS2_PKT0_S8_ifPKiSA_iPKfiiiSC_SC_iiiii.has_recursion, 0
	.set _ZN4vllm25paged_attention_v1_kernelIttLi256ELi32ELi128ELNS_18Fp8KVCacheDataTypeE0ELb0EEEvPT_PKS2_PKT0_S8_ifPKiSA_iPKfiiiSC_SC_iiiii.has_indirect_call, 0
	.section	.AMDGPU.csdata,"",@progbits
; Kernel info:
; codeLenInByte = 36100
; TotalNumSgprs: 34
; NumVgprs: 128
; ScratchSize: 136
; MemoryBound: 0
; FloatMode: 240
; IeeeMode: 1
; LDSByteSize: 544 bytes/workgroup (compile time only)
; SGPRBlocks: 0
; VGPRBlocks: 15
; NumSGPRsForWavesPerEU: 34
; NumVGPRsForWavesPerEU: 128
; Occupancy: 8
; WaveLimiterHint : 1
; COMPUTE_PGM_RSRC2:SCRATCH_EN: 1
; COMPUTE_PGM_RSRC2:USER_SGPR: 6
; COMPUTE_PGM_RSRC2:TRAP_HANDLER: 0
; COMPUTE_PGM_RSRC2:TGID_X_EN: 1
; COMPUTE_PGM_RSRC2:TGID_Y_EN: 1
; COMPUTE_PGM_RSRC2:TGID_Z_EN: 1
; COMPUTE_PGM_RSRC2:TIDIG_COMP_CNT: 0
	.section	.text._ZN4vllm25paged_attention_v1_kernelI14__hip_bfloat16S1_Li32ELi8ELi128ELNS_18Fp8KVCacheDataTypeE0ELb1EEEvPT_PKS3_PKT0_S9_ifPKiSB_iPKfiiiSD_SD_iiiii,"axG",@progbits,_ZN4vllm25paged_attention_v1_kernelI14__hip_bfloat16S1_Li32ELi8ELi128ELNS_18Fp8KVCacheDataTypeE0ELb1EEEvPT_PKS3_PKT0_S9_ifPKiSB_iPKfiiiSD_SD_iiiii,comdat
	.protected	_ZN4vllm25paged_attention_v1_kernelI14__hip_bfloat16S1_Li32ELi8ELi128ELNS_18Fp8KVCacheDataTypeE0ELb1EEEvPT_PKS3_PKT0_S9_ifPKiSB_iPKfiiiSD_SD_iiiii ; -- Begin function _ZN4vllm25paged_attention_v1_kernelI14__hip_bfloat16S1_Li32ELi8ELi128ELNS_18Fp8KVCacheDataTypeE0ELb1EEEvPT_PKS3_PKT0_S9_ifPKiSB_iPKfiiiSD_SD_iiiii
	.globl	_ZN4vllm25paged_attention_v1_kernelI14__hip_bfloat16S1_Li32ELi8ELi128ELNS_18Fp8KVCacheDataTypeE0ELb1EEEvPT_PKS3_PKT0_S9_ifPKiSB_iPKfiiiSD_SD_iiiii
	.p2align	8
	.type	_ZN4vllm25paged_attention_v1_kernelI14__hip_bfloat16S1_Li32ELi8ELi128ELNS_18Fp8KVCacheDataTypeE0ELb1EEEvPT_PKS3_PKT0_S9_ifPKiSB_iPKfiiiSD_SD_iiiii,@function
_ZN4vllm25paged_attention_v1_kernelI14__hip_bfloat16S1_Li32ELi8ELi128ELNS_18Fp8KVCacheDataTypeE0ELb1EEEvPT_PKS3_PKT0_S9_ifPKiSB_iPKfiiiSD_SD_iiiii: ; @_ZN4vllm25paged_attention_v1_kernelI14__hip_bfloat16S1_Li32ELi8ELi128ELNS_18Fp8KVCacheDataTypeE0ELb1EEEvPT_PKS3_PKT0_S9_ifPKiSB_iPKfiiiSD_SD_iiiii
; %bb.0:
	s_clause 0x2
	s_load_dword s9, s[4:5], 0x80
	s_load_dwordx2 s[0:1], s[4:5], 0x30
	s_load_dwordx2 s[28:29], s[4:5], 0x20
	s_mov_b32 s10, s7
	s_ashr_i32 s11, s7, 31
	s_mov_b32 s33, 0
	s_lshl_b64 s[2:3], s[10:11], 2
	s_waitcnt lgkmcnt(0)
	s_add_u32 s0, s0, s2
	s_addc_u32 s1, s1, s3
	s_abs_i32 s2, s28
	s_abs_i32 s11, s9
	v_cvt_f32_u32_e32 v1, s2
	s_sub_i32 s7, 0, s2
	v_rcp_iflag_f32_e32 v1, v1
	v_mul_f32_e32 v1, 0x4f7ffffe, v1
	v_cvt_u32_f32_e32 v1, v1
	v_readfirstlane_b32 s3, v1
	s_mul_i32 s7, s7, s3
	s_mul_hi_u32 s7, s3, s7
	s_add_i32 s3, s3, s7
	s_xor_b32 s7, s9, s28
	s_mul_hi_u32 s3, s11, s3
	s_ashr_i32 s7, s7, 31
	s_mul_i32 s12, s3, s2
	s_sub_i32 s11, s11, s12
	s_add_i32 s12, s3, 1
	s_sub_i32 s13, s11, s2
	s_cmp_ge_u32 s11, s2
	s_cselect_b32 s3, s12, s3
	s_cselect_b32 s11, s13, s11
	s_add_i32 s12, s3, 1
	s_cmp_ge_u32 s11, s2
	s_cselect_b32 s2, s12, s3
	s_abs_i32 s23, s6
	s_xor_b32 s2, s2, s7
	s_sub_i32 s16, s2, s7
	s_load_dwordx2 s[2:3], s[4:5], 0x40
	s_abs_i32 s22, s16
	v_cvt_f32_u32_e32 v1, s22
	s_sub_i32 s11, 0, s22
	v_rcp_iflag_f32_e32 v1, v1
	v_mul_f32_e32 v1, 0x4f7ffffe, v1
	v_cvt_u32_f32_e32 v1, v1
	v_readfirstlane_b32 s7, v1
	s_mul_i32 s11, s11, s7
	s_mul_hi_u32 s11, s7, s11
	s_add_i32 s7, s7, s11
	s_waitcnt lgkmcnt(0)
	s_cmp_eq_u64 s[2:3], 0
	s_mul_hi_u32 s24, s23, s7
	s_cbranch_scc1 .LBB108_2
; %bb.1:
	s_ashr_i32 s7, s6, 31
	s_lshl_b64 s[12:13], s[6:7], 2
	s_add_u32 s2, s2, s12
	s_addc_u32 s3, s3, s13
	s_load_dword s33, s[2:3], 0x0
.LBB108_2:
	s_load_dword s11, s[0:1], 0x0
	s_load_dwordx4 s[12:15], s[4:5], 0x48
	v_and_b32_e32 v1, 3, v0
	v_lshlrev_b32_e32 v2, 2, v0
	s_ashr_i32 s0, s6, 31
	s_ashr_i32 s1, s16, 31
	s_lshl_b32 s20, s6, 5
	s_mov_b32 s2, exec_lo
	v_cmpx_gt_u32_e32 16, v0
	s_cbranch_execz .LBB108_4
; %bb.3:
	s_load_dwordx2 s[16:17], s[4:5], 0x8
	s_waitcnt lgkmcnt(0)
	s_mul_i32 s18, s12, s10
	v_and_b32_e32 v4, 0x3fc, v0
	s_ashr_i32 s19, s18, 31
	s_lshl_b64 s[18:19], s[18:19], 1
	v_lshl_add_u32 v4, v1, 4, v4
	s_add_u32 s3, s16, s18
	s_addc_u32 s7, s17, s19
	s_ashr_i32 s21, s20, 31
	s_lshl_b64 s[16:17], s[20:21], 1
	s_add_u32 s16, s3, s16
	s_addc_u32 s17, s7, s17
	global_load_dword v3, v2, s[16:17]
	s_waitcnt vmcnt(0)
	ds_write_b32 v4, v3
.LBB108_4:
	s_or_b32 exec_lo, exec_lo, s2
	s_load_dwordx4 s[16:19], s[4:5], 0x68
	s_mul_i32 s2, s24, s22
	s_xor_b32 s1, s0, s1
	s_sub_i32 s0, s23, s2
	s_add_i32 s2, s24, 1
	s_sub_i32 s3, s0, s22
	s_cmp_ge_u32 s0, s22
	s_waitcnt lgkmcnt(0)
	s_mov_b32 s12, -1
	s_cselect_b32 s2, s2, s24
	s_cselect_b32 s0, s3, s0
	s_add_i32 s3, s2, 1
	s_cmp_ge_u32 s0, s22
	s_load_dword s0, s[4:5], 0x78
	s_cselect_b32 s2, s3, s2
	s_add_i32 s7, s11, -1
	s_xor_b32 s2, s2, s1
	s_abs_i32 s3, s7
	s_sub_i32 s1, s2, s1
	s_waitcnt lgkmcnt(0)
	s_barrier
	s_abs_i32 s21, s19
	buffer_gl0_inv
	v_cvt_f32_u32_e32 v3, s21
	s_sub_i32 s2, 0, s21
                                        ; implicit-def: $sgpr31
	v_rcp_iflag_f32_e32 v3, v3
	v_mul_f32_e32 v3, 0x4f7ffffe, v3
	v_cvt_u32_f32_e32 v3, v3
	v_readfirstlane_b32 s30, v3
	s_mul_i32 s2, s2, s30
	s_mul_hi_u32 s2, s30, s2
	s_add_i32 s30, s30, s2
	s_cmp_lt_i32 s0, 0
	s_mul_hi_u32 s2, s3, s30
	s_cbranch_scc0 .LBB108_6
; %bb.5:
	s_mul_i32 s12, s16, s28
	s_add_i32 s12, s1, s12
	s_mul_i32 s12, s12, s0
	s_sub_i32 s31, 1, s12
	s_mov_b32 s12, 0
.LBB108_6:
	s_load_dwordx2 s[22:23], s[4:5], 0x28
	s_ashr_i32 s7, s7, 31
	s_andn2_b32 vcc_lo, exec_lo, s12
	s_ashr_i32 s19, s19, 31
	s_cbranch_vccnz .LBB108_8
; %bb.7:
	s_mul_i32 s12, s9, s16
	s_add_i32 s6, s12, s6
	s_mul_i32 s0, s6, s0
	s_add_i32 s31, s0, 1
.LBB108_8:
	s_load_dword s0, s[4:5], 0x38
	s_mul_i32 s6, s2, s21
	s_xor_b32 s15, s7, s19
	s_sub_i32 s3, s3, s6
	s_add_i32 s16, s2, 1
	s_clause 0x2
	s_load_dwordx2 s[6:7], s[4:5], 0x0
	s_load_dwordx2 s[26:27], s[4:5], 0x18
	s_load_dword s12, s[4:5], 0x88
	v_lshrrev_b32_e32 v15, 5, v0
	v_mov_b32_e32 v5, 0xff7fffff
	v_lshrrev_b32_e32 v3, 3, v0
	v_mbcnt_lo_u32_b32 v4, -1, 0
	s_mul_i32 s14, s1, s14
	v_lshlrev_b32_e32 v16, 3, v15
	s_waitcnt lgkmcnt(0)
	s_mul_i32 s24, s0, s10
	s_sub_i32 s0, s3, s21
	s_ashr_i32 s25, s24, 31
	s_cmp_ge_u32 s3, s21
	s_cselect_b32 s2, s16, s2
	s_cselect_b32 s0, s0, s3
	s_add_i32 s3, s2, 1
	s_cmp_ge_u32 s0, s21
	s_cselect_b32 s0, s3, s2
	s_add_i32 s2, s11, 7
	s_ashr_i32 s3, s2, 31
	s_lshr_b32 s3, s3, 29
	s_add_i32 s2, s2, s3
	s_ashr_i32 s16, s2, 3
	s_xor_b32 s2, s0, s15
	v_cmp_gt_i32_e64 s0, s16, v15
	s_sub_i32 s28, s2, s15
	s_and_saveexec_b32 s34, s0
	s_cbranch_execz .LBB108_20
; %bb.9:
	s_load_dwordx2 s[2:3], s[4:5], 0x10
	s_ashr_i32 s15, s14, 31
	s_sub_i32 s4, s28, s17
	s_lshl_b64 s[36:37], s[14:15], 1
	v_bfe_u32 v6, v0, 2, 3
	v_and_b32_e32 v14, 12, v2
	v_cmp_eq_u32_e32 vcc_lo, 0, v1
	v_lshlrev_b32_e32 v7, 4, v1
	v_and_b32_e32 v1, 0x7c, v3
	v_lshlrev_b32_e32 v2, 2, v6
	v_subrev_nc_u32_e32 v13, s11, v6
	v_lshlrev_b32_e32 v17, 4, v6
	v_cmp_neq_f32_e64 s1, s33, 0
	v_lshlrev_b32_e32 v8, 3, v15
	v_lshl_or_b32 v2, v15, 5, v2
	v_mov_b32_e32 v9, 0xff7fffff
	v_xor_b32_e32 v10, 2, v4
	v_xor_b32_e32 v11, 1, v4
	s_waitcnt lgkmcnt(0)
	s_add_u32 s15, s2, s36
	s_addc_u32 s35, s3, s37
	s_abs_i32 s5, s18
	v_add_co_u32 v17, s15, s15, v17
	v_cvt_f32_u32_e32 v5, s5
	s_sub_i32 s2, 0, s5
	v_add_co_ci_u32_e64 v19, null, s35, 0, s15
	s_mov_b32 s15, 0
	v_rcp_iflag_f32_e32 v5, v5
	s_mov_b32 s35, s13
	v_mul_f32_e32 v12, 0x4f7ffffe, v5
	v_mov_b32_e32 v5, 0xff7fffff
	v_cvt_u32_f32_e32 v18, v12
	v_add_nc_u32_e32 v12, 1, v13
	v_add_nc_u32_e32 v13, 0x60, v2
	v_mul_lo_u32 v2, s2, v18
	s_lshl_b64 s[2:3], s[24:25], 2
	s_add_u32 s2, s22, s2
	s_addc_u32 s3, s23, s3
	v_add_co_u32 v1, s2, s2, v1
	v_mul_hi_u32 v20, v18, v2
	v_add_co_ci_u32_e64 v2, null, s3, 0, s2
	v_add_co_u32 v14, s2, v17, v14
	v_add_co_ci_u32_e64 v17, null, 0, v19, s2
	v_mov_b32_e32 v19, v15
	v_add_nc_u32_e32 v18, v18, v20
	s_branch .LBB108_12
.LBB108_10:                             ;   in Loop: Header=BB108_12 Depth=1
	s_or_b32 exec_lo, exec_lo, s36
.LBB108_11:                             ;   in Loop: Header=BB108_12 Depth=1
	s_or_b32 exec_lo, exec_lo, s3
	v_add_nc_u32_e32 v19, 4, v19
	v_add_co_u32 v1, s3, v1, 16
	v_add_co_ci_u32_e64 v2, null, 0, v2, s3
	v_cmp_le_i32_e64 s2, s16, v19
	v_add_nc_u32_e32 v8, 32, v8
	v_add_nc_u32_e32 v13, 0x80, v13
	s_or_b32 s15, s2, s15
	s_andn2_b32 exec_lo, exec_lo, s15
	s_cbranch_execz .LBB108_19
.LBB108_12:                             ; =>This Inner Loop Header: Depth=1
	v_mul_hi_u32 v20, v8, s30
	s_waitcnt lgkmcnt(0)
	v_mul_lo_u32 v21, v20, s21
	v_add_nc_u32_e32 v22, 1, v20
	v_sub_nc_u32_e32 v21, v8, v21
	v_subrev_nc_u32_e32 v23, s21, v21
	v_cmp_le_u32_e64 s2, s21, v21
	v_cndmask_b32_e64 v20, v20, v22, s2
	v_cndmask_b32_e64 v21, v21, v23, s2
	v_add_nc_u32_e32 v22, 1, v20
	v_cmp_le_u32_e64 s2, s21, v21
	v_cndmask_b32_e64 v20, v20, v22, s2
	v_xor_b32_e32 v20, s19, v20
	v_subrev_nc_u32_e32 v20, s19, v20
	v_add_nc_u32_e32 v21, s31, v20
	v_cmp_ge_i32_e64 s3, s4, v20
	v_sub_nc_u32_e32 v22, 0, v21
	v_max_i32_e32 v22, v21, v22
	v_ashrrev_i32_e32 v21, 31, v21
	v_mul_hi_u32 v23, v22, v18
	v_mul_lo_u32 v23, v23, s5
	v_sub_nc_u32_e32 v22, v22, v23
	v_subrev_nc_u32_e32 v23, s5, v22
	v_cmp_le_u32_e64 s2, s5, v22
	v_cndmask_b32_e64 v22, v22, v23, s2
	v_subrev_nc_u32_e32 v23, s5, v22
	v_cmp_le_u32_e64 s2, s5, v22
	v_cndmask_b32_e64 v22, v22, v23, s2
	v_xor_b32_e32 v22, v22, v21
	v_sub_nc_u32_e32 v21, v22, v21
	v_cmp_ne_u32_e64 s2, 0, v21
	s_and_b32 s2, s2, s3
	s_and_saveexec_b32 s3, s2
	s_xor_b32 s2, exec_lo, s3
	s_cbranch_execz .LBB108_16
; %bb.13:                               ;   in Loop: Header=BB108_12 Depth=1
	s_and_saveexec_b32 s3, vcc_lo
; %bb.14:                               ;   in Loop: Header=BB108_12 Depth=1
	ds_write_b32 v13, v9
; %bb.15:                               ;   in Loop: Header=BB108_12 Depth=1
	s_or_b32 exec_lo, exec_lo, s3
.LBB108_16:                             ;   in Loop: Header=BB108_12 Depth=1
	s_andn2_saveexec_b32 s3, s2
	s_cbranch_execz .LBB108_11
; %bb.17:                               ;   in Loop: Header=BB108_12 Depth=1
	global_load_dword v20, v[1:2], off
	s_waitcnt vmcnt(0)
	v_mad_i64_i32 v[20:21], null, v20, s35, 0
	v_lshlrev_b64 v[20:21], 1, v[20:21]
	v_add_co_u32 v20, s2, v14, v20
	v_add_co_ci_u32_e64 v21, null, v17, v21, s2
	v_cmp_gt_i32_e64 s2, 32, v10
	s_clause 0x3
	global_load_dword v24, v[20:21], off offset:128
	global_load_dword v25, v[20:21], off
	global_load_dword v26, v[20:21], off offset:256
	global_load_dword v27, v[20:21], off offset:384
	ds_read_b128 v[20:23], v7
	s_waitcnt lgkmcnt(0)
	v_lshlrev_b32_e32 v29, 16, v21
	v_and_b32_e32 v21, 0xffff0000, v21
	v_lshlrev_b32_e32 v28, 16, v20
	v_and_b32_e32 v20, 0xffff0000, v20
	;; [unrolled: 2-line block ×3, first 2 shown]
	v_lshlrev_b32_e32 v31, 16, v23
	s_waitcnt vmcnt(3)
	v_lshlrev_b32_e32 v32, 16, v24
	v_and_b32_e32 v24, 0xffff0000, v24
	s_waitcnt vmcnt(2)
	v_lshlrev_b32_e32 v33, 16, v25
	v_and_b32_e32 v25, 0xffff0000, v25
	v_mul_f32_e32 v29, v29, v32
	v_mul_f32_e32 v21, v21, v24
	s_waitcnt vmcnt(1)
	v_lshlrev_b32_e32 v24, 16, v26
	v_and_b32_e32 v26, 0xffff0000, v26
	v_fmac_f32_e32 v29, v28, v33
	v_fmac_f32_e32 v21, v20, v25
	v_and_b32_e32 v20, 0xffff0000, v23
	s_waitcnt vmcnt(0)
	v_lshlrev_b32_e32 v23, 16, v27
	v_and_b32_e32 v25, 0xffff0000, v27
	v_fmac_f32_e32 v29, v30, v24
	v_fmac_f32_e32 v21, v22, v26
	v_cndmask_b32_e64 v22, v4, v10, s2
	v_cmp_gt_i32_e64 s2, 32, v11
	v_fmac_f32_e32 v29, v31, v23
	v_fmac_f32_e32 v21, v20, v25
	v_lshlrev_b32_e32 v20, 2, v22
	v_cndmask_b32_e64 v22, v4, v11, s2
	v_add_f32_e32 v21, v29, v21
	v_lshlrev_b32_e32 v22, 2, v22
	ds_bpermute_b32 v20, v20, v21
	s_waitcnt lgkmcnt(0)
	v_add_f32_e32 v20, v21, v20
	ds_bpermute_b32 v21, v22, v20
	s_and_saveexec_b32 s36, vcc_lo
	s_cbranch_execz .LBB108_10
; %bb.18:                               ;   in Loop: Header=BB108_12 Depth=1
	v_add_nc_u32_e32 v22, v12, v8
	s_waitcnt lgkmcnt(0)
	v_add_f32_e32 v20, v20, v21
	v_cvt_f32_i32_e32 v22, v22
	v_mul_f32_e32 v22, s33, v22
	v_cndmask_b32_e64 v21, 0, v22, s1
	v_max_f32_e32 v22, v5, v5
	v_fmac_f32_e32 v21, s29, v20
	v_add_nc_u32_e32 v20, v6, v8
	v_max_f32_e32 v22, v22, v21
	v_cmp_gt_i32_e64 s2, s11, v20
	v_cndmask_b32_e64 v20, 0, v21, s2
	v_cndmask_b32_e64 v5, v5, v22, s2
	ds_write_b32 v13, v20
	s_branch .LBB108_10
.LBB108_19:
	s_or_b32 exec_lo, exec_lo, s15
.LBB108_20:
	s_or_b32 exec_lo, exec_lo, s34
	v_xor_b32_e32 v1, 16, v4
	v_xor_b32_e32 v6, 8, v4
	v_max_f32_e32 v7, v5, v5
	v_and_b32_e32 v17, 31, v0
	v_cmp_gt_i32_e32 vcc_lo, 32, v1
	v_cndmask_b32_e32 v1, v4, v1, vcc_lo
	v_cmp_gt_i32_e32 vcc_lo, 32, v6
	v_lshlrev_b32_e32 v2, 2, v1
	ds_bpermute_b32 v1, v2, v5
	v_cndmask_b32_e32 v5, v4, v6, vcc_lo
	v_lshlrev_b32_e32 v5, 2, v5
	s_waitcnt lgkmcnt(0)
	v_max_f32_e32 v1, v1, v1
	v_max_f32_e32 v1, v7, v1
	v_xor_b32_e32 v7, 4, v4
	ds_bpermute_b32 v6, v5, v1
	v_cmp_gt_i32_e32 vcc_lo, 32, v7
	v_cndmask_b32_e32 v7, v4, v7, vcc_lo
	v_cmp_eq_u32_e32 vcc_lo, 0, v17
	v_lshlrev_b32_e32 v8, 2, v7
	s_waitcnt lgkmcnt(0)
	v_max_f32_e32 v6, v6, v6
	v_max_f32_e32 v1, v1, v6
	v_lshlrev_b32_e32 v6, 2, v15
	ds_bpermute_b32 v7, v8, v1
	s_and_saveexec_b32 s1, vcc_lo
	s_cbranch_execz .LBB108_22
; %bb.21:
	s_waitcnt lgkmcnt(0)
	v_max_f32_e32 v7, v7, v7
	v_max_f32_e32 v1, v1, v1
	;; [unrolled: 1-line block ×3, first 2 shown]
	ds_write_b32 v6, v1 offset:64
.LBB108_22:
	s_or_b32 exec_lo, exec_lo, s1
	v_cmp_gt_u32_e64 s1, 4, v17
	v_mov_b32_e32 v1, 0xff7fffff
	s_waitcnt lgkmcnt(0)
	v_lshlrev_b32_e32 v7, 2, v17
	s_barrier
	buffer_gl0_inv
	s_and_saveexec_b32 s2, s1
; %bb.23:
	ds_read_b32 v1, v7 offset:64
; %bb.24:
	s_or_b32 exec_lo, exec_lo, s2
	v_xor_b32_e32 v9, 2, v4
	v_xor_b32_e32 v11, 1, v4
	v_cmp_gt_i32_e64 s2, 32, v9
	v_cndmask_b32_e64 v9, v4, v9, s2
	v_cmp_gt_i32_e64 s2, 32, v11
	v_lshlrev_b32_e32 v9, 2, v9
	v_cndmask_b32_e64 v4, v4, v11, s2
	s_lshl_b32 s2, s16, 3
	s_min_i32 s4, s2, s11
	s_waitcnt lgkmcnt(0)
	ds_bpermute_b32 v10, v9, v1
	v_max_f32_e32 v1, v1, v1
	v_lshlrev_b32_e32 v4, 2, v4
	v_cmp_gt_i32_e64 s2, s4, v0
	s_waitcnt lgkmcnt(0)
	v_max_f32_e32 v10, v10, v10
	v_max_f32_e32 v1, v1, v10
	ds_bpermute_b32 v10, v4, v1
	s_waitcnt lgkmcnt(0)
	v_max_f32_e32 v10, v10, v10
	v_max_f32_e32 v1, v1, v10
	v_mov_b32_e32 v10, 0
	ds_bpermute_b32 v11, v10, v1
	v_lshl_add_u32 v1, v0, 2, 0x60
	s_and_saveexec_b32 s5, s2
	s_cbranch_execz .LBB108_28
; %bb.25:
	v_lshl_add_u32 v12, v0, 2, 0x60
	v_mov_b32_e32 v10, 0
	v_mov_b32_e32 v13, v0
	s_mov_b32 s15, 0
	.p2align	6
.LBB108_26:                             ; =>This Inner Loop Header: Depth=1
	ds_read_b32 v14, v12
	v_add_nc_u32_e32 v13, 0x80, v13
	v_cmp_le_i32_e64 s3, s4, v13
	s_or_b32 s15, s3, s15
	s_waitcnt lgkmcnt(0)
	v_sub_f32_e32 v14, v14, v11
	v_mul_f32_e32 v14, 0x3fb8aa3b, v14
	v_exp_f32_e32 v14, v14
	ds_write_b32 v12, v14
	v_add_f32_e32 v10, v10, v14
	v_add_nc_u32_e32 v12, 0x200, v12
	s_andn2_b32 exec_lo, exec_lo, s15
	s_cbranch_execnz .LBB108_26
; %bb.27:
	s_or_b32 exec_lo, exec_lo, s15
.LBB108_28:
	s_or_b32 exec_lo, exec_lo, s5
	ds_bpermute_b32 v2, v2, v10
	s_waitcnt lgkmcnt(0)
	v_add_f32_e32 v2, v10, v2
	ds_bpermute_b32 v5, v5, v2
	s_waitcnt lgkmcnt(0)
	v_add_f32_e32 v2, v2, v5
	;; [unrolled: 3-line block ×5, first 2 shown]
	s_and_saveexec_b32 s3, vcc_lo
; %bb.29:
	ds_write_b32 v6, v2 offset:80
; %bb.30:
	s_or_b32 exec_lo, exec_lo, s3
	s_waitcnt lgkmcnt(0)
	s_barrier
	buffer_gl0_inv
	s_and_saveexec_b32 s3, s1
; %bb.31:
	ds_read_b32 v2, v7 offset:80
; %bb.32:
	s_or_b32 exec_lo, exec_lo, s3
	s_waitcnt lgkmcnt(0)
	ds_bpermute_b32 v5, v9, v2
	s_waitcnt lgkmcnt(0)
	v_add_f32_e32 v2, v2, v5
	ds_bpermute_b32 v4, v4, v2
	s_waitcnt lgkmcnt(0)
	v_add_f32_e32 v2, v2, v4
	v_mov_b32_e32 v4, 0
	ds_bpermute_b32 v2, v4, v2
	s_and_saveexec_b32 s1, s2
	s_cbranch_execz .LBB108_35
; %bb.33:
	s_waitcnt lgkmcnt(0)
	v_add_f32_e32 v2, 0x358637bd, v2
	s_mov_b32 s2, 0
	v_div_scale_f32 v4, null, v2, v2, 1.0
	v_div_scale_f32 v7, vcc_lo, 1.0, v2, 1.0
	v_rcp_f32_e32 v5, v4
	v_fma_f32 v6, -v4, v5, 1.0
	v_fmac_f32_e32 v5, v6, v5
	v_mul_f32_e32 v6, v7, v5
	v_fma_f32 v8, -v4, v6, v7
	v_fmac_f32_e32 v6, v8, v5
	v_fma_f32 v4, -v4, v6, v7
	v_div_fmas_f32 v4, v4, v5, v6
	v_div_fixup_f32 v2, v4, v2, 1.0
	v_mov_b32_e32 v4, v0
.LBB108_34:                             ; =>This Inner Loop Header: Depth=1
	ds_read_b32 v5, v1
	v_add_nc_u32_e32 v4, 0x80, v4
	v_cmp_le_i32_e32 vcc_lo, s4, v4
	s_or_b32 s2, vcc_lo, s2
	s_waitcnt lgkmcnt(0)
	v_mul_f32_e32 v5, v2, v5
	ds_write_b32 v1, v5
	v_add_nc_u32_e32 v1, 0x200, v1
	s_andn2_b32 exec_lo, exec_lo, s2
	s_cbranch_execnz .LBB108_34
.LBB108_35:
	s_or_b32 exec_lo, exec_lo, s1
	v_mov_b32_e32 v18, 0
	s_waitcnt lgkmcnt(0)
	s_barrier
	buffer_gl0_inv
	s_and_saveexec_b32 s2, s0
	s_cbranch_execz .LBB108_43
; %bb.36:
	s_ashr_i32 s15, s14, 31
	s_sub_i32 s3, s28, s17
	s_lshl_b64 s[0:1], s[14:15], 1
	v_lshlrev_b32_e32 v4, 4, v17
	s_add_u32 s14, s26, s0
	s_addc_u32 s15, s27, s1
	s_abs_i32 s4, s18
	v_and_b32_e32 v3, 0x7c, v3
	v_cvt_f32_u32_e32 v1, s4
	s_sub_i32 s0, 0, s4
	s_add_i32 s5, s16, -1
	v_add_co_u32 v22, s14, s14, v4
	v_rcp_iflag_f32_e32 v1, v1
	v_mov_b32_e32 v19, 0
	v_lshl_add_u32 v20, v15, 5, 0x60
	v_mov_b32_e32 v21, v15
	v_add_co_ci_u32_e64 v23, null, s15, 0, s14
	v_mov_b32_e32 v18, 0
	s_mov_b32 s15, s11
	s_mov_b32 s14, 0
	v_mul_f32_e32 v1, 0x4f7ffffe, v1
	v_cvt_u32_f32_e32 v1, v1
	v_mul_lo_u32 v2, s0, v1
	s_lshl_b64 s[0:1], s[24:25], 2
	s_add_u32 s0, s22, s0
	s_addc_u32 s1, s23, s1
	v_add_co_u32 v13, s0, s0, v3
	v_add_co_ci_u32_e64 v14, null, s1, 0, s0
	v_mul_hi_u32 v2, v1, v2
	v_add_nc_u32_e32 v24, v1, v2
	s_branch .LBB108_39
.LBB108_37:                             ;   in Loop: Header=BB108_39 Depth=1
	s_or_b32 exec_lo, exec_lo, s18
	s_waitcnt lgkmcnt(1)
	v_bfe_u32 v25, v9, 16, 1
	v_or_b32_e32 v26, 0x400000, v9
	v_bfe_u32 v27, v10, 16, 1
	v_cmp_u_f32_e32 vcc_lo, v9, v9
	v_bfe_u32 v28, v11, 16, 1
	v_add3_u32 v25, v25, v9, 0x7fff
	v_or_b32_e32 v29, 0x400000, v10
	v_add3_u32 v27, v27, v10, 0x7fff
	v_or_b32_e32 v30, 0x400000, v11
	v_add3_u32 v28, v28, v11, 0x7fff
	v_cndmask_b32_e32 v9, v25, v26, vcc_lo
	v_cmp_u_f32_e32 vcc_lo, v10, v10
	v_bfe_u32 v25, v12, 16, 1
	s_waitcnt lgkmcnt(0)
	v_bfe_u32 v26, v5, 16, 1
	v_and_b32_e32 v9, 0xffff0000, v9
	v_cndmask_b32_e32 v10, v27, v29, vcc_lo
	v_cmp_u_f32_e32 vcc_lo, v11, v11
	v_add3_u32 v25, v25, v12, 0x7fff
	v_or_b32_e32 v27, 0x400000, v12
	v_add3_u32 v26, v26, v5, 0x7fff
	v_bfe_u32 v29, v6, 16, 1
	v_cndmask_b32_e32 v11, v28, v30, vcc_lo
	v_cmp_u_f32_e32 vcc_lo, v12, v12
	v_or_b32_e32 v28, 0x400000, v5
	v_and_b32_e32 v10, 0xffff0000, v10
	v_cndmask_b32_e32 v12, v25, v27, vcc_lo
	v_cmp_u_f32_e32 vcc_lo, v5, v5
	v_add3_u32 v25, v29, v6, 0x7fff
	v_bfe_u32 v27, v7, 16, 1
	v_cndmask_b32_e32 v5, v26, v28, vcc_lo
	v_or_b32_e32 v26, 0x400000, v6
	s_waitcnt vmcnt(0)
	v_lshlrev_b32_e32 v28, 16, v1
	v_cmp_u_f32_e32 vcc_lo, v6, v6
	v_and_b32_e32 v1, 0xffff0000, v1
	v_and_b32_e32 v5, 0xffff0000, v5
	v_mul_f32_e32 v9, v9, v28
	v_cndmask_b32_e32 v6, v25, v26, vcc_lo
	v_add3_u32 v25, v27, v7, 0x7fff
	v_or_b32_e32 v26, 0x400000, v7
	v_bfe_u32 v27, v8, 16, 1
	v_cmp_u_f32_e32 vcc_lo, v7, v7
	v_mul_f32_e32 v1, v10, v1
	v_and_b32_e32 v10, 0xffff0000, v11
	v_lshlrev_b32_e32 v11, 16, v2
	v_and_b32_e32 v2, 0xffff0000, v2
	v_cndmask_b32_e32 v7, v25, v26, vcc_lo
	v_add3_u32 v25, v27, v8, 0x7fff
	v_or_b32_e32 v26, 0x400000, v8
	v_bfe_u32 v27, v9, 16, 1
	v_cmp_u_f32_e32 vcc_lo, v8, v8
	v_mul_f32_e32 v10, v10, v11
	v_and_b32_e32 v11, 0xffff0000, v12
	v_and_b32_e32 v6, 0xffff0000, v6
	v_cndmask_b32_e32 v8, v25, v26, vcc_lo
	v_add3_u32 v25, v27, v9, 0x7fff
	v_or_b32_e32 v26, 0x400000, v9
	v_bfe_u32 v27, v1, 16, 1
	v_cmp_u_f32_e32 vcc_lo, v9, v9
	v_mul_f32_e32 v2, v11, v2
	v_lshlrev_b32_e32 v11, 16, v3
	v_and_b32_e32 v3, 0xffff0000, v3
	v_add3_u32 v12, v27, v1, 0x7fff
	v_cndmask_b32_e32 v9, v25, v26, vcc_lo
	v_or_b32_e32 v25, 0x400000, v1
	v_bfe_u32 v26, v10, 16, 1
	v_cmp_u_f32_e32 vcc_lo, v1, v1
	v_mul_f32_e32 v5, v5, v11
	v_mul_f32_e32 v3, v6, v3
	v_and_b32_e32 v6, 0xffff0000, v7
	v_lshlrev_b32_e32 v7, 16, v4
	v_cndmask_b32_e32 v1, v12, v25, vcc_lo
	v_add3_u32 v12, v26, v10, 0x7fff
	v_or_b32_e32 v25, 0x400000, v10
	v_bfe_u32 v26, v2, 16, 1
	v_cmp_u_f32_e32 vcc_lo, v10, v10
	v_and_b32_e32 v8, 0xffff0000, v8
	v_and_b32_e32 v4, 0xffff0000, v4
	v_mul_f32_e32 v6, v6, v7
	v_add3_u32 v11, v26, v2, 0x7fff
	v_cndmask_b32_e32 v10, v12, v25, vcc_lo
	v_or_b32_e32 v12, 0x400000, v2
	v_bfe_u32 v25, v5, 16, 1
	v_cmp_u_f32_e32 vcc_lo, v2, v2
	v_mul_f32_e32 v4, v8, v4
	v_or_b32_e32 v7, 0x400000, v5
	v_and_b32_e32 v1, 0xffff0000, v1
	v_and_b32_e32 v9, 0xffff0000, v9
	v_cndmask_b32_e32 v2, v11, v12, vcc_lo
	v_bfe_u32 v11, v3, 16, 1
	v_add3_u32 v12, v25, v5, 0x7fff
	v_cmp_u_f32_e32 vcc_lo, v5, v5
	v_bfe_u32 v26, v4, 16, 1
	v_bfe_u32 v25, v6, 16, 1
	v_add3_u32 v8, v11, v3, 0x7fff
	v_or_b32_e32 v11, 0x400000, v3
	v_cndmask_b32_e32 v5, v12, v7, vcc_lo
	v_cmp_u_f32_e32 vcc_lo, v3, v3
	v_add3_u32 v7, v25, v6, 0x7fff
	v_and_b32_e32 v2, 0xffff0000, v2
	v_and_b32_e32 v10, 0xffff0000, v10
	v_or_b32_e32 v12, 0x400000, v6
	v_cndmask_b32_e32 v3, v8, v11, vcc_lo
	v_add3_u32 v8, v26, v4, 0x7fff
	v_or_b32_e32 v11, 0x400000, v4
	v_cmp_u_f32_e32 vcc_lo, v4, v4
	v_add_f32_e32 v1, v9, v1
	v_add_f32_e32 v2, v10, v2
	v_and_b32_e32 v3, 0xffff0000, v3
	v_and_b32_e32 v5, 0xffff0000, v5
	v_cndmask_b32_e32 v4, v8, v11, vcc_lo
	v_cmp_u_f32_e32 vcc_lo, v6, v6
	v_add_f32_e32 v1, v2, v1
	v_add_f32_e32 v2, v5, v3
	v_and_b32_e32 v3, 0xffff0000, v4
	v_cndmask_b32_e32 v6, v7, v12, vcc_lo
	v_add_f32_e32 v1, v2, v1
	v_and_b32_e32 v4, 0xffff0000, v6
	v_add_f32_e32 v2, v4, v3
	v_add_f32_e32 v1, v2, v1
	;; [unrolled: 1-line block ×3, first 2 shown]
.LBB108_38:                             ;   in Loop: Header=BB108_39 Depth=1
	s_or_b32 exec_lo, exec_lo, s17
	v_add_nc_u32_e32 v21, 4, v21
	v_add_co_u32 v13, s0, v13, 16
	v_add_co_ci_u32_e64 v14, null, 0, v14, s0
	v_cmp_le_i32_e32 vcc_lo, s16, v21
	v_add_nc_u32_e32 v16, 32, v16
	v_add_nc_u32_e32 v20, 0x80, v20
	s_or_b32 s14, vcc_lo, s14
	s_andn2_b32 exec_lo, exec_lo, s14
	s_cbranch_execz .LBB108_42
.LBB108_39:                             ; =>This Inner Loop Header: Depth=1
	v_mul_hi_u32 v1, v16, s30
	v_mul_lo_u32 v2, v1, s21
	v_add_nc_u32_e32 v3, 1, v1
	v_sub_nc_u32_e32 v2, v16, v2
	v_subrev_nc_u32_e32 v4, s21, v2
	v_cmp_le_u32_e32 vcc_lo, s21, v2
	v_cndmask_b32_e32 v1, v1, v3, vcc_lo
	v_cndmask_b32_e32 v2, v2, v4, vcc_lo
	v_add_nc_u32_e32 v3, 1, v1
	v_cmp_le_u32_e32 vcc_lo, s21, v2
	v_cndmask_b32_e32 v1, v1, v3, vcc_lo
	v_xor_b32_e32 v1, s19, v1
	v_subrev_nc_u32_e32 v1, s19, v1
	v_add_nc_u32_e32 v2, s31, v1
	v_cmp_lt_i32_e64 s0, s3, v1
	v_sub_nc_u32_e32 v3, 0, v2
	v_max_i32_e32 v3, v2, v3
	v_ashrrev_i32_e32 v2, 31, v2
	v_mul_hi_u32 v4, v3, v24
	v_mul_lo_u32 v4, v4, s4
	v_sub_nc_u32_e32 v3, v3, v4
	v_subrev_nc_u32_e32 v4, s4, v3
	v_cmp_le_u32_e32 vcc_lo, s4, v3
	v_cndmask_b32_e32 v3, v3, v4, vcc_lo
	v_subrev_nc_u32_e32 v4, s4, v3
	v_cmp_le_u32_e32 vcc_lo, s4, v3
	v_cndmask_b32_e32 v3, v3, v4, vcc_lo
	v_xor_b32_e32 v3, v3, v2
	v_sub_nc_u32_e32 v2, v3, v2
	v_cmp_eq_u32_e32 vcc_lo, 0, v2
	s_or_b32 s0, vcc_lo, s0
	s_and_saveexec_b32 s17, s0
	s_cbranch_execz .LBB108_38
; %bb.40:                               ;   in Loop: Header=BB108_39 Depth=1
	global_load_dword v1, v[13:14], off
	s_mov_b32 s18, exec_lo
	s_waitcnt vmcnt(0)
	v_mad_i64_i32 v[1:2], null, v1, s13, 0
	v_lshlrev_b64 v[1:2], 1, v[1:2]
	v_add_co_u32 v1, vcc_lo, v22, v1
	v_add_co_ci_u32_e64 v2, null, v23, v2, vcc_lo
	global_load_dwordx4 v[1:4], v[1:2], off
	ds_read2_b64 v[9:12], v20 offset1:1
	ds_read2_b64 v[5:8], v20 offset0:2 offset1:3
	v_cmpx_eq_u32_e64 s5, v21
	s_cbranch_execz .LBB108_37
; %bb.41:                               ;   in Loop: Header=BB108_39 Depth=1
	v_add_nc_u32_e32 v25, 1, v16
	v_or_b32_e32 v26, 3, v16
	v_cmp_gt_i32_e32 vcc_lo, s11, v16
	v_or_b32_e32 v27, 2, v16
	v_or_b32_e32 v29, 7, v16
	v_cmp_gt_i32_e64 s0, s15, v26
	s_waitcnt vmcnt(0)
	v_cndmask_b32_e32 v28, 0, v1, vcc_lo
	v_cmp_gt_i32_e32 vcc_lo, s15, v25
	v_cmp_gt_i32_e64 s1, s11, v27
	v_or_b32_e32 v26, 5, v16
	v_or_b32_e32 v27, 4, v16
	v_cndmask_b32_sdwa v1, v19, v1, vcc_lo dst_sel:DWORD dst_unused:UNUSED_PAD src0_sel:DWORD src1_sel:WORD_1
	s_mov_b32 vcc_lo, s0
	v_cndmask_b32_e64 v25, 0, v2, s1
	v_cndmask_b32_sdwa v2, v19, v2, vcc_lo dst_sel:DWORD dst_unused:UNUSED_PAD src0_sel:DWORD src1_sel:WORD_1
	v_cmp_gt_i32_e32 vcc_lo, s15, v26
	v_cmp_gt_i32_e64 s0, s11, v27
	v_or_b32_e32 v27, 6, v16
	v_perm_b32 v1, v1, v28, 0x5040100
	v_perm_b32 v2, v2, v25, 0x5040100
	v_cndmask_b32_e64 v26, 0, v3, s0
	v_cmp_gt_i32_e64 s0, s15, v29
	v_cndmask_b32_sdwa v3, v19, v3, vcc_lo dst_sel:DWORD dst_unused:UNUSED_PAD src0_sel:DWORD src1_sel:WORD_1
	v_cmp_gt_i32_e32 vcc_lo, s11, v27
	v_perm_b32 v3, v3, v26, 0x5040100
	v_cndmask_b32_e32 v27, 0, v4, vcc_lo
	s_mov_b32 vcc_lo, s0
	v_cndmask_b32_sdwa v4, v19, v4, vcc_lo dst_sel:DWORD dst_unused:UNUSED_PAD src0_sel:DWORD src1_sel:WORD_1
	v_perm_b32 v4, v4, v27, 0x5040100
	s_branch .LBB108_37
.LBB108_42:
	s_or_b32 exec_lo, exec_lo, s14
.LBB108_43:
	s_or_b32 exec_lo, exec_lo, s2
	v_and_b32_e32 v2, 0x3c0, v0
	v_lshl_add_u32 v1, v17, 2, 0x60
	s_mov_b32 s0, exec_lo
	s_barrier
	buffer_gl0_inv
	v_cmpx_eq_u32_e32 64, v2
; %bb.44:
	v_lshlrev_b32_e32 v2, 7, v15
	v_add3_u32 v2, v1, v2, 0xffffff00
	ds_write_b32 v2, v18
; %bb.45:
	s_or_b32 exec_lo, exec_lo, s0
	v_and_b32_e32 v3, 0x3e0, v0
	s_mov_b32 s0, exec_lo
	s_waitcnt lgkmcnt(0)
	s_barrier
	buffer_gl0_inv
	v_lshl_add_u32 v2, v3, 2, v1
	v_cmpx_gt_u32_e32 64, v0
	s_cbranch_execz .LBB108_47
; %bb.46:
	ds_read_b32 v4, v2
	s_waitcnt lgkmcnt(0)
	v_add_f32_e32 v18, v18, v4
.LBB108_47:
	s_or_b32 exec_lo, exec_lo, s0
	s_mov_b32 s0, exec_lo
	s_barrier
	buffer_gl0_inv
	v_cmpx_eq_u32_e32 32, v3
; %bb.48:
	ds_write_b32 v1, v18
; %bb.49:
	s_or_b32 exec_lo, exec_lo, s0
	v_cmp_gt_u32_e32 vcc_lo, 32, v0
	s_waitcnt lgkmcnt(0)
	s_barrier
	buffer_gl0_inv
	s_and_saveexec_b32 s0, vcc_lo
	s_cbranch_execz .LBB108_51
; %bb.50:
	ds_read_b32 v0, v2
	s_waitcnt lgkmcnt(0)
	v_add_f32_e32 v18, v18, v0
.LBB108_51:
	s_or_b32 exec_lo, exec_lo, s0
	s_barrier
	buffer_gl0_inv
	s_and_saveexec_b32 s0, vcc_lo
	s_cbranch_execz .LBB108_53
; %bb.52:
	s_mul_i32 s0, s10, s12
	s_mul_i32 s2, s12, s20
	;; [unrolled: 1-line block ×3, first 2 shown]
	v_bfe_u32 v0, v18, 16, 1
	s_lshl_b32 s0, s0, 5
	v_or_b32_e32 v1, 0x400000, v18
	s_ashr_i32 s1, s0, 31
	v_cmp_u_f32_e32 vcc_lo, v18, v18
	s_lshl_b64 s[0:1], s[0:1], 1
	v_add3_u32 v0, v0, v18, 0x7fff
	s_add_u32 s4, s6, s0
	s_addc_u32 s5, s7, s1
	s_ashr_i32 s3, s2, 31
	v_lshlrev_b32_e32 v2, 1, v17
	s_lshl_b64 s[0:1], s[2:3], 1
	v_cndmask_b32_e32 v0, v0, v1, vcc_lo
	s_add_u32 s2, s4, s0
	s_addc_u32 s3, s5, s1
	s_lshl_b32 s0, s8, 5
	s_ashr_i32 s1, s0, 31
	s_lshl_b64 s[0:1], s[0:1], 1
	s_add_u32 s0, s2, s0
	s_addc_u32 s1, s3, s1
	global_store_short_d16_hi v2, v0, s[0:1]
.LBB108_53:
	s_endpgm
	.section	.rodata,"a",@progbits
	.p2align	6, 0x0
	.amdhsa_kernel _ZN4vllm25paged_attention_v1_kernelI14__hip_bfloat16S1_Li32ELi8ELi128ELNS_18Fp8KVCacheDataTypeE0ELb1EEEvPT_PKS3_PKT0_S9_ifPKiSB_iPKfiiiSD_SD_iiiii
		.amdhsa_group_segment_fixed_size 96
		.amdhsa_private_segment_fixed_size 0
		.amdhsa_kernarg_size 384
		.amdhsa_user_sgpr_count 6
		.amdhsa_user_sgpr_private_segment_buffer 1
		.amdhsa_user_sgpr_dispatch_ptr 0
		.amdhsa_user_sgpr_queue_ptr 0
		.amdhsa_user_sgpr_kernarg_segment_ptr 1
		.amdhsa_user_sgpr_dispatch_id 0
		.amdhsa_user_sgpr_flat_scratch_init 0
		.amdhsa_user_sgpr_private_segment_size 0
		.amdhsa_wavefront_size32 1
		.amdhsa_uses_dynamic_stack 0
		.amdhsa_system_sgpr_private_segment_wavefront_offset 0
		.amdhsa_system_sgpr_workgroup_id_x 1
		.amdhsa_system_sgpr_workgroup_id_y 1
		.amdhsa_system_sgpr_workgroup_id_z 1
		.amdhsa_system_sgpr_workgroup_info 0
		.amdhsa_system_vgpr_workitem_id 0
		.amdhsa_next_free_vgpr 34
		.amdhsa_next_free_sgpr 38
		.amdhsa_reserve_vcc 1
		.amdhsa_reserve_flat_scratch 0
		.amdhsa_float_round_mode_32 0
		.amdhsa_float_round_mode_16_64 0
		.amdhsa_float_denorm_mode_32 3
		.amdhsa_float_denorm_mode_16_64 3
		.amdhsa_dx10_clamp 1
		.amdhsa_ieee_mode 1
		.amdhsa_fp16_overflow 0
		.amdhsa_workgroup_processor_mode 1
		.amdhsa_memory_ordered 1
		.amdhsa_forward_progress 1
		.amdhsa_shared_vgpr_count 0
		.amdhsa_exception_fp_ieee_invalid_op 0
		.amdhsa_exception_fp_denorm_src 0
		.amdhsa_exception_fp_ieee_div_zero 0
		.amdhsa_exception_fp_ieee_overflow 0
		.amdhsa_exception_fp_ieee_underflow 0
		.amdhsa_exception_fp_ieee_inexact 0
		.amdhsa_exception_int_div_zero 0
	.end_amdhsa_kernel
	.section	.text._ZN4vllm25paged_attention_v1_kernelI14__hip_bfloat16S1_Li32ELi8ELi128ELNS_18Fp8KVCacheDataTypeE0ELb1EEEvPT_PKS3_PKT0_S9_ifPKiSB_iPKfiiiSD_SD_iiiii,"axG",@progbits,_ZN4vllm25paged_attention_v1_kernelI14__hip_bfloat16S1_Li32ELi8ELi128ELNS_18Fp8KVCacheDataTypeE0ELb1EEEvPT_PKS3_PKT0_S9_ifPKiSB_iPKfiiiSD_SD_iiiii,comdat
.Lfunc_end108:
	.size	_ZN4vllm25paged_attention_v1_kernelI14__hip_bfloat16S1_Li32ELi8ELi128ELNS_18Fp8KVCacheDataTypeE0ELb1EEEvPT_PKS3_PKT0_S9_ifPKiSB_iPKfiiiSD_SD_iiiii, .Lfunc_end108-_ZN4vllm25paged_attention_v1_kernelI14__hip_bfloat16S1_Li32ELi8ELi128ELNS_18Fp8KVCacheDataTypeE0ELb1EEEvPT_PKS3_PKT0_S9_ifPKiSB_iPKfiiiSD_SD_iiiii
                                        ; -- End function
	.set _ZN4vllm25paged_attention_v1_kernelI14__hip_bfloat16S1_Li32ELi8ELi128ELNS_18Fp8KVCacheDataTypeE0ELb1EEEvPT_PKS3_PKT0_S9_ifPKiSB_iPKfiiiSD_SD_iiiii.num_vgpr, 34
	.set _ZN4vllm25paged_attention_v1_kernelI14__hip_bfloat16S1_Li32ELi8ELi128ELNS_18Fp8KVCacheDataTypeE0ELb1EEEvPT_PKS3_PKT0_S9_ifPKiSB_iPKfiiiSD_SD_iiiii.num_agpr, 0
	.set _ZN4vllm25paged_attention_v1_kernelI14__hip_bfloat16S1_Li32ELi8ELi128ELNS_18Fp8KVCacheDataTypeE0ELb1EEEvPT_PKS3_PKT0_S9_ifPKiSB_iPKfiiiSD_SD_iiiii.numbered_sgpr, 38
	.set _ZN4vllm25paged_attention_v1_kernelI14__hip_bfloat16S1_Li32ELi8ELi128ELNS_18Fp8KVCacheDataTypeE0ELb1EEEvPT_PKS3_PKT0_S9_ifPKiSB_iPKfiiiSD_SD_iiiii.num_named_barrier, 0
	.set _ZN4vllm25paged_attention_v1_kernelI14__hip_bfloat16S1_Li32ELi8ELi128ELNS_18Fp8KVCacheDataTypeE0ELb1EEEvPT_PKS3_PKT0_S9_ifPKiSB_iPKfiiiSD_SD_iiiii.private_seg_size, 0
	.set _ZN4vllm25paged_attention_v1_kernelI14__hip_bfloat16S1_Li32ELi8ELi128ELNS_18Fp8KVCacheDataTypeE0ELb1EEEvPT_PKS3_PKT0_S9_ifPKiSB_iPKfiiiSD_SD_iiiii.uses_vcc, 1
	.set _ZN4vllm25paged_attention_v1_kernelI14__hip_bfloat16S1_Li32ELi8ELi128ELNS_18Fp8KVCacheDataTypeE0ELb1EEEvPT_PKS3_PKT0_S9_ifPKiSB_iPKfiiiSD_SD_iiiii.uses_flat_scratch, 0
	.set _ZN4vllm25paged_attention_v1_kernelI14__hip_bfloat16S1_Li32ELi8ELi128ELNS_18Fp8KVCacheDataTypeE0ELb1EEEvPT_PKS3_PKT0_S9_ifPKiSB_iPKfiiiSD_SD_iiiii.has_dyn_sized_stack, 0
	.set _ZN4vllm25paged_attention_v1_kernelI14__hip_bfloat16S1_Li32ELi8ELi128ELNS_18Fp8KVCacheDataTypeE0ELb1EEEvPT_PKS3_PKT0_S9_ifPKiSB_iPKfiiiSD_SD_iiiii.has_recursion, 0
	.set _ZN4vllm25paged_attention_v1_kernelI14__hip_bfloat16S1_Li32ELi8ELi128ELNS_18Fp8KVCacheDataTypeE0ELb1EEEvPT_PKS3_PKT0_S9_ifPKiSB_iPKfiiiSD_SD_iiiii.has_indirect_call, 0
	.section	.AMDGPU.csdata,"",@progbits
; Kernel info:
; codeLenInByte = 4400
; TotalNumSgprs: 40
; NumVgprs: 34
; ScratchSize: 0
; MemoryBound: 0
; FloatMode: 240
; IeeeMode: 1
; LDSByteSize: 96 bytes/workgroup (compile time only)
; SGPRBlocks: 0
; VGPRBlocks: 4
; NumSGPRsForWavesPerEU: 40
; NumVGPRsForWavesPerEU: 34
; Occupancy: 16
; WaveLimiterHint : 1
; COMPUTE_PGM_RSRC2:SCRATCH_EN: 0
; COMPUTE_PGM_RSRC2:USER_SGPR: 6
; COMPUTE_PGM_RSRC2:TRAP_HANDLER: 0
; COMPUTE_PGM_RSRC2:TGID_X_EN: 1
; COMPUTE_PGM_RSRC2:TGID_Y_EN: 1
; COMPUTE_PGM_RSRC2:TGID_Z_EN: 1
; COMPUTE_PGM_RSRC2:TIDIG_COMP_CNT: 0
	.section	.text._ZN4vllm25paged_attention_v1_kernelI14__hip_bfloat16S1_Li64ELi8ELi128ELNS_18Fp8KVCacheDataTypeE0ELb1EEEvPT_PKS3_PKT0_S9_ifPKiSB_iPKfiiiSD_SD_iiiii,"axG",@progbits,_ZN4vllm25paged_attention_v1_kernelI14__hip_bfloat16S1_Li64ELi8ELi128ELNS_18Fp8KVCacheDataTypeE0ELb1EEEvPT_PKS3_PKT0_S9_ifPKiSB_iPKfiiiSD_SD_iiiii,comdat
	.protected	_ZN4vllm25paged_attention_v1_kernelI14__hip_bfloat16S1_Li64ELi8ELi128ELNS_18Fp8KVCacheDataTypeE0ELb1EEEvPT_PKS3_PKT0_S9_ifPKiSB_iPKfiiiSD_SD_iiiii ; -- Begin function _ZN4vllm25paged_attention_v1_kernelI14__hip_bfloat16S1_Li64ELi8ELi128ELNS_18Fp8KVCacheDataTypeE0ELb1EEEvPT_PKS3_PKT0_S9_ifPKiSB_iPKfiiiSD_SD_iiiii
	.globl	_ZN4vllm25paged_attention_v1_kernelI14__hip_bfloat16S1_Li64ELi8ELi128ELNS_18Fp8KVCacheDataTypeE0ELb1EEEvPT_PKS3_PKT0_S9_ifPKiSB_iPKfiiiSD_SD_iiiii
	.p2align	8
	.type	_ZN4vllm25paged_attention_v1_kernelI14__hip_bfloat16S1_Li64ELi8ELi128ELNS_18Fp8KVCacheDataTypeE0ELb1EEEvPT_PKS3_PKT0_S9_ifPKiSB_iPKfiiiSD_SD_iiiii,@function
_ZN4vllm25paged_attention_v1_kernelI14__hip_bfloat16S1_Li64ELi8ELi128ELNS_18Fp8KVCacheDataTypeE0ELb1EEEvPT_PKS3_PKT0_S9_ifPKiSB_iPKfiiiSD_SD_iiiii: ; @_ZN4vllm25paged_attention_v1_kernelI14__hip_bfloat16S1_Li64ELi8ELi128ELNS_18Fp8KVCacheDataTypeE0ELb1EEEvPT_PKS3_PKT0_S9_ifPKiSB_iPKfiiiSD_SD_iiiii
; %bb.0:
	s_clause 0x2
	s_load_dword s9, s[4:5], 0x80
	s_load_dwordx2 s[0:1], s[4:5], 0x30
	s_load_dwordx2 s[28:29], s[4:5], 0x20
	s_mov_b32 s10, s7
	s_ashr_i32 s11, s7, 31
	s_mov_b32 s33, 0
	s_lshl_b64 s[2:3], s[10:11], 2
	s_waitcnt lgkmcnt(0)
	s_add_u32 s0, s0, s2
	s_addc_u32 s1, s1, s3
	s_abs_i32 s2, s28
	s_abs_i32 s11, s9
	v_cvt_f32_u32_e32 v1, s2
	s_sub_i32 s7, 0, s2
	v_rcp_iflag_f32_e32 v1, v1
	v_mul_f32_e32 v1, 0x4f7ffffe, v1
	v_cvt_u32_f32_e32 v1, v1
	v_readfirstlane_b32 s3, v1
	s_mul_i32 s7, s7, s3
	s_mul_hi_u32 s7, s3, s7
	s_add_i32 s3, s3, s7
	s_xor_b32 s7, s9, s28
	s_mul_hi_u32 s3, s11, s3
	s_ashr_i32 s7, s7, 31
	s_mul_i32 s12, s3, s2
	s_sub_i32 s11, s11, s12
	s_add_i32 s12, s3, 1
	s_sub_i32 s13, s11, s2
	s_cmp_ge_u32 s11, s2
	s_cselect_b32 s3, s12, s3
	s_cselect_b32 s11, s13, s11
	s_add_i32 s12, s3, 1
	s_cmp_ge_u32 s11, s2
	s_cselect_b32 s2, s12, s3
	s_abs_i32 s23, s6
	s_xor_b32 s2, s2, s7
	s_sub_i32 s16, s2, s7
	s_load_dwordx2 s[2:3], s[4:5], 0x40
	s_abs_i32 s22, s16
	v_cvt_f32_u32_e32 v1, s22
	s_sub_i32 s11, 0, s22
	v_rcp_iflag_f32_e32 v1, v1
	v_mul_f32_e32 v1, 0x4f7ffffe, v1
	v_cvt_u32_f32_e32 v1, v1
	v_readfirstlane_b32 s7, v1
	s_mul_i32 s11, s11, s7
	s_mul_hi_u32 s11, s7, s11
	s_add_i32 s7, s7, s11
	s_waitcnt lgkmcnt(0)
	s_cmp_eq_u64 s[2:3], 0
	s_mul_hi_u32 s24, s23, s7
	s_cbranch_scc1 .LBB109_2
; %bb.1:
	s_ashr_i32 s7, s6, 31
	s_lshl_b64 s[12:13], s[6:7], 2
	s_add_u32 s2, s2, s12
	s_addc_u32 s3, s3, s13
	s_load_dword s33, s[2:3], 0x0
.LBB109_2:
	s_load_dword s11, s[0:1], 0x0
	s_load_dwordx4 s[12:15], s[4:5], 0x48
	v_and_b32_e32 v1, 3, v0
	v_cmp_gt_u32_e64 s0, 32, v0
	v_lshlrev_b32_e32 v2, 2, v0
	s_ashr_i32 s1, s6, 31
	s_ashr_i32 s2, s16, 31
	s_lshl_b32 s20, s6, 6
	s_and_saveexec_b32 s3, s0
	s_cbranch_execz .LBB109_4
; %bb.3:
	s_load_dwordx2 s[16:17], s[4:5], 0x8
	s_waitcnt lgkmcnt(0)
	s_mul_i32 s18, s12, s10
	v_and_b32_e32 v4, 0x3fc, v0
	s_ashr_i32 s19, s18, 31
	s_lshl_b64 s[18:19], s[18:19], 1
	v_lshl_add_u32 v4, v1, 5, v4
	s_add_u32 s7, s16, s18
	s_addc_u32 s12, s17, s19
	s_ashr_i32 s21, s20, 31
	s_lshl_b64 s[16:17], s[20:21], 1
	s_add_u32 s16, s7, s16
	s_addc_u32 s17, s12, s17
	global_load_dword v3, v2, s[16:17]
	s_waitcnt vmcnt(0)
	ds_write_b32 v4, v3
.LBB109_4:
	s_or_b32 exec_lo, exec_lo, s3
	s_load_dwordx4 s[16:19], s[4:5], 0x68
	s_mul_i32 s3, s24, s22
	s_xor_b32 s2, s1, s2
	s_sub_i32 s1, s23, s3
	s_add_i32 s3, s24, 1
	s_sub_i32 s7, s1, s22
	s_cmp_ge_u32 s1, s22
	s_waitcnt lgkmcnt(0)
	s_mov_b32 s15, -1
	s_cselect_b32 s3, s3, s24
	s_cselect_b32 s1, s7, s1
	s_add_i32 s7, s3, 1
	s_cmp_ge_u32 s1, s22
	s_load_dword s1, s[4:5], 0x78
	s_cselect_b32 s3, s7, s3
	s_add_i32 s12, s11, -1
	s_xor_b32 s3, s3, s2
	s_abs_i32 s7, s12
	s_sub_i32 s2, s3, s2
	s_waitcnt lgkmcnt(0)
	s_barrier
	s_abs_i32 s21, s19
	buffer_gl0_inv
	v_cvt_f32_u32_e32 v3, s21
	s_sub_i32 s3, 0, s21
                                        ; implicit-def: $sgpr31
	v_rcp_iflag_f32_e32 v3, v3
	v_mul_f32_e32 v3, 0x4f7ffffe, v3
	v_cvt_u32_f32_e32 v3, v3
	v_readfirstlane_b32 s30, v3
	s_mul_i32 s3, s3, s30
	s_mul_hi_u32 s3, s30, s3
	s_add_i32 s30, s30, s3
	s_cmp_lt_i32 s1, 0
	s_mul_hi_u32 s3, s7, s30
	s_cbranch_scc0 .LBB109_6
; %bb.5:
	s_mul_i32 s15, s16, s28
	s_add_i32 s15, s2, s15
	s_mul_i32 s15, s15, s1
	s_sub_i32 s31, 1, s15
	s_mov_b32 s15, 0
.LBB109_6:
	s_load_dwordx2 s[22:23], s[4:5], 0x28
	s_ashr_i32 s12, s12, 31
	s_andn2_b32 vcc_lo, exec_lo, s15
	s_ashr_i32 s19, s19, 31
	s_cbranch_vccnz .LBB109_8
; %bb.7:
	s_mul_i32 s15, s9, s16
	s_add_i32 s6, s15, s6
	s_mul_i32 s1, s6, s1
	s_add_i32 s31, s1, 1
.LBB109_8:
	s_load_dword s1, s[4:5], 0x38
	s_mul_i32 s6, s3, s21
	s_xor_b32 s15, s12, s19
	s_sub_i32 s28, s7, s6
	s_add_i32 s16, s3, 1
	s_clause 0x2
	s_load_dwordx2 s[6:7], s[4:5], 0x0
	s_load_dwordx2 s[26:27], s[4:5], 0x18
	s_load_dword s12, s[4:5], 0x88
	v_lshrrev_b32_e32 v19, 5, v0
	v_mov_b32_e32 v5, 0xff7fffff
	v_lshrrev_b32_e32 v3, 3, v0
	v_mbcnt_lo_u32_b32 v4, -1, 0
	s_mul_i32 s14, s2, s14
	v_lshlrev_b32_e32 v20, 3, v19
	s_waitcnt lgkmcnt(0)
	s_mul_i32 s24, s1, s10
	s_sub_i32 s1, s28, s21
	s_ashr_i32 s25, s24, 31
	s_cmp_ge_u32 s28, s21
	s_cselect_b32 s3, s16, s3
	s_cselect_b32 s1, s1, s28
	s_add_i32 s16, s3, 1
	s_cmp_ge_u32 s1, s21
	s_cselect_b32 s1, s16, s3
	s_add_i32 s3, s11, 7
	s_ashr_i32 s16, s3, 31
	s_lshr_b32 s16, s16, 29
	s_add_i32 s3, s3, s16
	s_ashr_i32 s16, s3, 3
	s_xor_b32 s3, s1, s15
	v_cmp_gt_i32_e64 s1, s16, v19
	s_sub_i32 s28, s3, s15
	s_and_saveexec_b32 s34, s1
	s_cbranch_execz .LBB109_20
; %bb.9:
	s_load_dwordx2 s[2:3], s[4:5], 0x10
	s_ashr_i32 s15, s14, 31
	s_sub_i32 s5, s28, s17
	s_lshl_b64 s[36:37], s[14:15], 1
	v_bfe_u32 v6, v0, 2, 3
	v_and_b32_e32 v14, 12, v2
	v_cmp_eq_u32_e32 vcc_lo, 0, v1
	v_lshlrev_b32_e32 v7, 5, v1
	v_and_b32_e32 v1, 0x7c, v3
	v_lshlrev_b32_e32 v2, 2, v6
	v_subrev_nc_u32_e32 v13, s11, v6
	v_lshlrev_b32_e32 v15, 4, v6
	v_lshlrev_b32_e32 v8, 3, v19
	v_mov_b32_e32 v9, 0xff7fffff
	v_lshl_or_b32 v2, v19, 5, v2
	v_xor_b32_e32 v10, 2, v4
	v_xor_b32_e32 v11, 1, v4
	s_waitcnt lgkmcnt(0)
	s_add_u32 s4, s2, s36
	s_addc_u32 s3, s3, s37
	s_abs_i32 s15, s18
	s_lshl_b64 s[36:37], s[24:25], 2
	v_cvt_f32_u32_e32 v5, s15
	s_sub_i32 s35, 0, s15
	v_add_co_u32 v15, s4, s4, v15
	v_add_co_ci_u32_e64 v17, null, s3, 0, s4
	v_rcp_iflag_f32_e32 v5, v5
	s_add_u32 s3, s22, s36
	s_addc_u32 s4, s23, s37
	v_add_co_u32 v1, s3, s3, v1
	v_cmp_neq_f32_e64 s2, s33, 0
	s_mov_b32 s36, s13
	v_mul_f32_e32 v12, 0x4f7ffffe, v5
	v_mov_b32_e32 v5, 0xff7fffff
	v_cvt_u32_f32_e32 v16, v12
	v_add_nc_u32_e32 v12, 1, v13
	v_add_nc_u32_e32 v13, 0xa0, v2
	v_mul_lo_u32 v2, s35, v16
	s_mov_b32 s35, 0
	v_mul_hi_u32 v18, v16, v2
	v_add_co_ci_u32_e64 v2, null, s4, 0, s3
	v_add_co_u32 v14, s3, v15, v14
	v_add_co_ci_u32_e64 v15, null, 0, v17, s3
	v_mov_b32_e32 v17, v19
	v_add_nc_u32_e32 v16, v16, v18
	s_branch .LBB109_12
.LBB109_10:                             ;   in Loop: Header=BB109_12 Depth=1
	s_or_b32 exec_lo, exec_lo, s37
.LBB109_11:                             ;   in Loop: Header=BB109_12 Depth=1
	s_or_b32 exec_lo, exec_lo, s4
	v_add_nc_u32_e32 v17, 4, v17
	v_add_co_u32 v1, s4, v1, 16
	v_add_co_ci_u32_e64 v2, null, 0, v2, s4
	v_cmp_le_i32_e64 s3, s16, v17
	v_add_nc_u32_e32 v8, 32, v8
	v_add_nc_u32_e32 v13, 0x80, v13
	s_or_b32 s35, s3, s35
	s_andn2_b32 exec_lo, exec_lo, s35
	s_cbranch_execz .LBB109_19
.LBB109_12:                             ; =>This Inner Loop Header: Depth=1
	v_mul_hi_u32 v18, v8, s30
	s_waitcnt lgkmcnt(0)
	v_mul_lo_u32 v21, v18, s21
	v_add_nc_u32_e32 v22, 1, v18
	v_sub_nc_u32_e32 v21, v8, v21
	v_subrev_nc_u32_e32 v23, s21, v21
	v_cmp_le_u32_e64 s3, s21, v21
	v_cndmask_b32_e64 v18, v18, v22, s3
	v_cndmask_b32_e64 v21, v21, v23, s3
	v_add_nc_u32_e32 v22, 1, v18
	v_cmp_le_u32_e64 s3, s21, v21
	v_cndmask_b32_e64 v18, v18, v22, s3
	v_xor_b32_e32 v18, s19, v18
	v_subrev_nc_u32_e32 v18, s19, v18
	v_add_nc_u32_e32 v21, s31, v18
	v_cmp_ge_i32_e64 s4, s5, v18
	v_sub_nc_u32_e32 v22, 0, v21
	v_max_i32_e32 v22, v21, v22
	v_ashrrev_i32_e32 v21, 31, v21
	v_mul_hi_u32 v23, v22, v16
	v_mul_lo_u32 v23, v23, s15
	v_sub_nc_u32_e32 v22, v22, v23
	v_subrev_nc_u32_e32 v23, s15, v22
	v_cmp_le_u32_e64 s3, s15, v22
	v_cndmask_b32_e64 v22, v22, v23, s3
	v_subrev_nc_u32_e32 v23, s15, v22
	v_cmp_le_u32_e64 s3, s15, v22
	v_cndmask_b32_e64 v22, v22, v23, s3
	v_xor_b32_e32 v22, v22, v21
	v_sub_nc_u32_e32 v21, v22, v21
	v_cmp_ne_u32_e64 s3, 0, v21
	s_and_b32 s3, s3, s4
	s_and_saveexec_b32 s4, s3
	s_xor_b32 s3, exec_lo, s4
	s_cbranch_execz .LBB109_16
; %bb.13:                               ;   in Loop: Header=BB109_12 Depth=1
	s_and_saveexec_b32 s4, vcc_lo
; %bb.14:                               ;   in Loop: Header=BB109_12 Depth=1
	ds_write_b32 v13, v9
; %bb.15:                               ;   in Loop: Header=BB109_12 Depth=1
	s_or_b32 exec_lo, exec_lo, s4
.LBB109_16:                             ;   in Loop: Header=BB109_12 Depth=1
	s_andn2_saveexec_b32 s4, s3
	s_cbranch_execz .LBB109_11
; %bb.17:                               ;   in Loop: Header=BB109_12 Depth=1
	global_load_dword v18, v[1:2], off
	s_waitcnt vmcnt(0)
	v_mad_i64_i32 v[21:22], null, v18, s36, 0
	v_lshlrev_b64 v[21:22], 1, v[21:22]
	v_add_co_u32 v21, s3, v14, v21
	v_add_co_ci_u32_e64 v22, null, v15, v22, s3
	v_cmp_gt_i32_e64 s3, 32, v10
	s_clause 0x7
	global_load_dword v18, v[21:22], off offset:128
	global_load_dword v29, v[21:22], off
	global_load_dword v30, v[21:22], off offset:256
	global_load_dword v31, v[21:22], off offset:384
	;; [unrolled: 1-line block ×6, first 2 shown]
	ds_read_b128 v[21:24], v7
	ds_read_b128 v[25:28], v7 offset:16
	s_waitcnt lgkmcnt(1)
	v_lshlrev_b32_e32 v37, 16, v22
	v_and_b32_e32 v22, 0xffff0000, v22
	v_lshlrev_b32_e32 v36, 16, v21
	v_and_b32_e32 v21, 0xffff0000, v21
	v_lshlrev_b32_e32 v38, 16, v23
	v_lshlrev_b32_e32 v39, 16, v24
	s_waitcnt lgkmcnt(0)
	v_lshlrev_b32_e32 v40, 16, v25
	v_lshlrev_b32_e32 v41, 16, v26
	;; [unrolled: 1-line block ×4, first 2 shown]
	s_waitcnt vmcnt(7)
	v_lshlrev_b32_e32 v44, 16, v18
	v_and_b32_e32 v18, 0xffff0000, v18
	s_waitcnt vmcnt(6)
	v_lshlrev_b32_e32 v45, 16, v29
	v_and_b32_e32 v29, 0xffff0000, v29
	v_mul_f32_e32 v37, v37, v44
	v_mul_f32_e32 v18, v22, v18
	v_and_b32_e32 v22, 0xffff0000, v23
	s_waitcnt vmcnt(5)
	v_lshlrev_b32_e32 v23, 16, v30
	v_and_b32_e32 v30, 0xffff0000, v30
	v_fmac_f32_e32 v37, v36, v45
	v_fmac_f32_e32 v18, v21, v29
	v_and_b32_e32 v21, 0xffff0000, v24
	s_waitcnt vmcnt(4)
	v_lshlrev_b32_e32 v24, 16, v31
	v_and_b32_e32 v29, 0xffff0000, v31
	v_fmac_f32_e32 v37, v38, v23
	v_fmac_f32_e32 v18, v22, v30
	;; [unrolled: 6-line block ×6, first 2 shown]
	v_cndmask_b32_e64 v22, v4, v10, s3
	v_cmp_gt_i32_e64 s3, 32, v11
	v_fmac_f32_e32 v37, v43, v24
	v_fmac_f32_e32 v18, v21, v26
	v_lshlrev_b32_e32 v21, 2, v22
	v_cndmask_b32_e64 v22, v4, v11, s3
	v_add_f32_e32 v18, v37, v18
	v_lshlrev_b32_e32 v22, 2, v22
	ds_bpermute_b32 v21, v21, v18
	s_waitcnt lgkmcnt(0)
	v_add_f32_e32 v18, v18, v21
	ds_bpermute_b32 v21, v22, v18
	s_and_saveexec_b32 s37, vcc_lo
	s_cbranch_execz .LBB109_10
; %bb.18:                               ;   in Loop: Header=BB109_12 Depth=1
	v_add_nc_u32_e32 v22, v12, v8
	s_waitcnt lgkmcnt(0)
	v_add_f32_e32 v18, v18, v21
	v_cvt_f32_i32_e32 v22, v22
	v_mul_f32_e32 v22, s33, v22
	v_cndmask_b32_e64 v21, 0, v22, s2
	v_max_f32_e32 v22, v5, v5
	v_fmac_f32_e32 v21, s29, v18
	v_add_nc_u32_e32 v18, v6, v8
	v_max_f32_e32 v22, v22, v21
	v_cmp_gt_i32_e64 s3, s11, v18
	v_cndmask_b32_e64 v18, 0, v21, s3
	v_cndmask_b32_e64 v5, v5, v22, s3
	ds_write_b32 v13, v18
	s_branch .LBB109_10
.LBB109_19:
	s_or_b32 exec_lo, exec_lo, s35
.LBB109_20:
	s_or_b32 exec_lo, exec_lo, s34
	v_xor_b32_e32 v1, 16, v4
	v_xor_b32_e32 v6, 8, v4
	v_max_f32_e32 v7, v5, v5
	s_waitcnt lgkmcnt(0)
	v_and_b32_e32 v21, 31, v0
	v_cmp_gt_i32_e32 vcc_lo, 32, v1
	v_cndmask_b32_e32 v1, v4, v1, vcc_lo
	v_cmp_gt_i32_e32 vcc_lo, 32, v6
	v_lshlrev_b32_e32 v2, 2, v1
	ds_bpermute_b32 v1, v2, v5
	v_cndmask_b32_e32 v5, v4, v6, vcc_lo
	v_lshlrev_b32_e32 v5, 2, v5
	s_waitcnt lgkmcnt(0)
	v_max_f32_e32 v1, v1, v1
	v_max_f32_e32 v1, v7, v1
	v_xor_b32_e32 v7, 4, v4
	ds_bpermute_b32 v6, v5, v1
	v_cmp_gt_i32_e32 vcc_lo, 32, v7
	v_cndmask_b32_e32 v7, v4, v7, vcc_lo
	v_cmp_eq_u32_e32 vcc_lo, 0, v21
	v_lshlrev_b32_e32 v8, 2, v7
	s_waitcnt lgkmcnt(0)
	v_max_f32_e32 v6, v6, v6
	v_max_f32_e32 v1, v1, v6
	v_lshlrev_b32_e32 v6, 2, v19
	ds_bpermute_b32 v7, v8, v1
	s_and_saveexec_b32 s2, vcc_lo
	s_cbranch_execz .LBB109_22
; %bb.21:
	s_waitcnt lgkmcnt(0)
	v_max_f32_e32 v7, v7, v7
	v_max_f32_e32 v1, v1, v1
	v_max_f32_e32 v1, v1, v7
	ds_write_b32 v6, v1 offset:128
.LBB109_22:
	s_or_b32 exec_lo, exec_lo, s2
	v_cmp_gt_u32_e64 s2, 4, v21
	v_mov_b32_e32 v1, 0xff7fffff
	s_waitcnt lgkmcnt(0)
	v_lshlrev_b32_e32 v7, 2, v21
	s_barrier
	buffer_gl0_inv
	s_and_saveexec_b32 s3, s2
; %bb.23:
	ds_read_b32 v1, v7 offset:128
; %bb.24:
	s_or_b32 exec_lo, exec_lo, s3
	v_xor_b32_e32 v9, 2, v4
	v_xor_b32_e32 v11, 1, v4
	v_cmp_gt_i32_e64 s3, 32, v9
	v_cndmask_b32_e64 v9, v4, v9, s3
	v_cmp_gt_i32_e64 s3, 32, v11
	v_lshlrev_b32_e32 v9, 2, v9
	v_cndmask_b32_e64 v4, v4, v11, s3
	s_lshl_b32 s3, s16, 3
	s_min_i32 s5, s3, s11
	s_waitcnt lgkmcnt(0)
	ds_bpermute_b32 v10, v9, v1
	v_max_f32_e32 v1, v1, v1
	v_lshlrev_b32_e32 v4, 2, v4
	v_cmp_gt_i32_e64 s3, s5, v0
	s_waitcnt lgkmcnt(0)
	v_max_f32_e32 v10, v10, v10
	v_max_f32_e32 v1, v1, v10
	ds_bpermute_b32 v10, v4, v1
	s_waitcnt lgkmcnt(0)
	v_max_f32_e32 v10, v10, v10
	v_max_f32_e32 v1, v1, v10
	v_mov_b32_e32 v10, 0
	ds_bpermute_b32 v11, v10, v1
	v_lshl_add_u32 v1, v0, 2, 0xa0
	s_and_saveexec_b32 s15, s3
	s_cbranch_execz .LBB109_28
; %bb.25:
	v_lshl_add_u32 v12, v0, 2, 0xa0
	v_mov_b32_e32 v10, 0
	v_mov_b32_e32 v13, v0
	s_mov_b32 s29, 0
	.p2align	6
.LBB109_26:                             ; =>This Inner Loop Header: Depth=1
	ds_read_b32 v14, v12
	v_add_nc_u32_e32 v13, 0x80, v13
	v_cmp_le_i32_e64 s4, s5, v13
	s_or_b32 s29, s4, s29
	s_waitcnt lgkmcnt(0)
	v_sub_f32_e32 v14, v14, v11
	v_mul_f32_e32 v14, 0x3fb8aa3b, v14
	v_exp_f32_e32 v14, v14
	ds_write_b32 v12, v14
	v_add_f32_e32 v10, v10, v14
	v_add_nc_u32_e32 v12, 0x200, v12
	s_andn2_b32 exec_lo, exec_lo, s29
	s_cbranch_execnz .LBB109_26
; %bb.27:
	s_or_b32 exec_lo, exec_lo, s29
.LBB109_28:
	s_or_b32 exec_lo, exec_lo, s15
	ds_bpermute_b32 v2, v2, v10
	s_waitcnt lgkmcnt(0)
	v_add_f32_e32 v2, v10, v2
	ds_bpermute_b32 v5, v5, v2
	s_waitcnt lgkmcnt(0)
	v_add_f32_e32 v2, v2, v5
	;; [unrolled: 3-line block ×5, first 2 shown]
	s_and_saveexec_b32 s4, vcc_lo
; %bb.29:
	ds_write_b32 v6, v2 offset:144
; %bb.30:
	s_or_b32 exec_lo, exec_lo, s4
	s_waitcnt lgkmcnt(0)
	s_barrier
	buffer_gl0_inv
	s_and_saveexec_b32 s4, s2
; %bb.31:
	ds_read_b32 v2, v7 offset:144
; %bb.32:
	s_or_b32 exec_lo, exec_lo, s4
	s_waitcnt lgkmcnt(0)
	ds_bpermute_b32 v5, v9, v2
	s_waitcnt lgkmcnt(0)
	v_add_f32_e32 v2, v2, v5
	ds_bpermute_b32 v4, v4, v2
	s_waitcnt lgkmcnt(0)
	v_add_f32_e32 v2, v2, v4
	v_mov_b32_e32 v4, 0
	ds_bpermute_b32 v2, v4, v2
	s_and_saveexec_b32 s2, s3
	s_cbranch_execz .LBB109_35
; %bb.33:
	s_waitcnt lgkmcnt(0)
	v_add_f32_e32 v2, 0x358637bd, v2
	s_mov_b32 s3, 0
	v_div_scale_f32 v4, null, v2, v2, 1.0
	v_div_scale_f32 v7, vcc_lo, 1.0, v2, 1.0
	v_rcp_f32_e32 v5, v4
	v_fma_f32 v6, -v4, v5, 1.0
	v_fmac_f32_e32 v5, v6, v5
	v_mul_f32_e32 v6, v7, v5
	v_fma_f32 v8, -v4, v6, v7
	v_fmac_f32_e32 v6, v8, v5
	v_fma_f32 v4, -v4, v6, v7
	v_div_fmas_f32 v4, v4, v5, v6
	v_div_fixup_f32 v2, v4, v2, 1.0
	v_mov_b32_e32 v4, v0
.LBB109_34:                             ; =>This Inner Loop Header: Depth=1
	ds_read_b32 v5, v1
	v_add_nc_u32_e32 v4, 0x80, v4
	v_cmp_le_i32_e32 vcc_lo, s5, v4
	s_or_b32 s3, vcc_lo, s3
	s_waitcnt lgkmcnt(0)
	v_mul_f32_e32 v5, v2, v5
	ds_write_b32 v1, v5
	v_add_nc_u32_e32 v1, 0x200, v1
	s_andn2_b32 exec_lo, exec_lo, s3
	s_cbranch_execnz .LBB109_34
.LBB109_35:
	s_or_b32 exec_lo, exec_lo, s2
	v_mov_b32_e32 v23, 0
	v_mov_b32_e32 v22, 0
	s_waitcnt lgkmcnt(0)
	s_barrier
	buffer_gl0_inv
	s_and_saveexec_b32 s4, s1
	s_cbranch_execz .LBB109_45
; %bb.36:
	s_ashr_i32 s15, s14, 31
	s_sub_i32 s5, s28, s17
	s_lshl_b64 s[2:3], s[14:15], 1
	v_lshlrev_b32_e32 v2, 4, v21
	s_add_u32 s1, s26, s2
	s_addc_u32 s17, s27, s3
	s_abs_i32 s14, s18
	v_and_b32_e32 v3, 0x7c, v3
	v_cvt_f32_u32_e32 v1, s14
	s_sub_i32 s2, 0, s14
	v_add_co_u32 v27, s1, s1, v2
	s_add_i32 s15, s16, -1
	v_rcp_iflag_f32_e32 v1, v1
	v_add_co_ci_u32_e64 v28, null, s17, 0, s1
	v_mov_b32_e32 v24, 0
	v_lshl_add_u32 v25, v19, 5, 0xa0
	v_mov_b32_e32 v26, v19
	v_mov_b32_e32 v22, 0
	;; [unrolled: 1-line block ×3, first 2 shown]
	s_mov_b32 s18, s11
	s_mov_b32 s17, 0
	v_mul_f32_e32 v1, 0x4f7ffffe, v1
	v_cvt_u32_f32_e32 v1, v1
	v_mul_lo_u32 v4, s2, v1
	s_lshl_b64 s[2:3], s[24:25], 2
	s_add_u32 s1, s22, s2
	s_addc_u32 s2, s23, s3
	v_add_co_u32 v17, s1, s1, v3
	v_add_co_ci_u32_e64 v18, null, s2, 0, s1
	v_mul_hi_u32 v4, v1, v4
	v_add_nc_u32_e32 v29, v1, v4
	s_branch .LBB109_39
.LBB109_37:                             ;   in Loop: Header=BB109_39 Depth=1
	s_or_b32 exec_lo, exec_lo, s3
	s_waitcnt lgkmcnt(1)
	v_bfe_u32 v30, v13, 16, 1
	v_or_b32_e32 v31, 0x400000, v13
	v_bfe_u32 v32, v14, 16, 1
	v_cmp_u_f32_e32 vcc_lo, v13, v13
	v_bfe_u32 v33, v15, 16, 1
	v_add3_u32 v30, v30, v13, 0x7fff
	v_or_b32_e32 v34, 0x400000, v14
	v_add3_u32 v32, v32, v14, 0x7fff
	v_or_b32_e32 v35, 0x400000, v15
	v_add3_u32 v33, v33, v15, 0x7fff
	v_cndmask_b32_e32 v13, v30, v31, vcc_lo
	v_cmp_u_f32_e32 vcc_lo, v14, v14
	v_bfe_u32 v30, v16, 16, 1
	s_waitcnt lgkmcnt(0)
	v_bfe_u32 v31, v9, 16, 1
	v_and_b32_e32 v13, 0xffff0000, v13
	v_cndmask_b32_e32 v14, v32, v34, vcc_lo
	v_cmp_u_f32_e32 vcc_lo, v15, v15
	v_add3_u32 v30, v30, v16, 0x7fff
	v_or_b32_e32 v32, 0x400000, v16
	v_add3_u32 v31, v31, v9, 0x7fff
	v_bfe_u32 v34, v10, 16, 1
	v_cndmask_b32_e32 v15, v33, v35, vcc_lo
	v_cmp_u_f32_e32 vcc_lo, v16, v16
	v_or_b32_e32 v33, 0x400000, v9
	v_and_b32_e32 v14, 0xffff0000, v14
	v_and_b32_e32 v15, 0xffff0000, v15
	v_cndmask_b32_e32 v16, v30, v32, vcc_lo
	v_cmp_u_f32_e32 vcc_lo, v9, v9
	v_add3_u32 v30, v34, v10, 0x7fff
	v_bfe_u32 v32, v11, 16, 1
	s_waitcnt vmcnt(1)
	v_lshlrev_b32_e32 v34, 16, v6
	v_and_b32_e32 v16, 0xffff0000, v16
	v_cndmask_b32_e32 v9, v31, v33, vcc_lo
	v_or_b32_e32 v31, 0x400000, v10
	v_lshlrev_b32_e32 v33, 16, v5
	v_cmp_u_f32_e32 vcc_lo, v10, v10
	v_and_b32_e32 v5, 0xffff0000, v5
	v_mul_f32_e32 v34, v15, v34
	v_and_b32_e32 v6, 0xffff0000, v6
	v_mul_f32_e32 v33, v13, v33
	v_cndmask_b32_e32 v10, v30, v31, vcc_lo
	v_add3_u32 v30, v32, v11, 0x7fff
	v_or_b32_e32 v31, 0x400000, v11
	v_bfe_u32 v32, v12, 16, 1
	v_cmp_u_f32_e32 vcc_lo, v11, v11
	v_mul_f32_e32 v5, v14, v5
	v_mul_f32_e32 v6, v16, v6
	v_and_b32_e32 v9, 0xffff0000, v9
	v_or_b32_e32 v36, 0x400000, v34
	v_cndmask_b32_e32 v11, v30, v31, vcc_lo
	v_add3_u32 v30, v32, v12, 0x7fff
	v_or_b32_e32 v31, 0x400000, v12
	v_bfe_u32 v32, v33, 16, 1
	v_cmp_u_f32_e32 vcc_lo, v12, v12
	v_or_b32_e32 v35, 0x400000, v5
	v_bfe_u32 v37, v6, 16, 1
	v_and_b32_e32 v10, 0xffff0000, v10
	v_and_b32_e32 v11, 0xffff0000, v11
	v_cndmask_b32_e32 v12, v30, v31, vcc_lo
	v_add3_u32 v30, v32, v33, 0x7fff
	v_or_b32_e32 v31, 0x400000, v33
	v_bfe_u32 v32, v5, 16, 1
	v_cmp_u_f32_e32 vcc_lo, v33, v33
	v_lshlrev_b32_e32 v33, 16, v7
	v_and_b32_e32 v7, 0xffff0000, v7
	v_and_b32_e32 v12, 0xffff0000, v12
	v_cndmask_b32_e32 v30, v30, v31, vcc_lo
	v_add3_u32 v31, v32, v5, 0x7fff
	v_bfe_u32 v32, v34, 16, 1
	v_cmp_u_f32_e32 vcc_lo, v5, v5
	v_mul_f32_e32 v33, v9, v33
	v_mul_f32_e32 v7, v10, v7
	v_and_b32_e32 v30, 0xffff0000, v30
	v_add3_u32 v32, v32, v34, 0x7fff
	v_cndmask_b32_e32 v5, v31, v35, vcc_lo
	v_cmp_u_f32_e32 vcc_lo, v34, v34
	v_bfe_u32 v34, v33, 16, 1
	v_lshlrev_b32_e32 v35, 16, v8
	v_and_b32_e32 v8, 0xffff0000, v8
	v_and_b32_e32 v5, 0xffff0000, v5
	v_cndmask_b32_e32 v31, v32, v36, vcc_lo
	v_add3_u32 v32, v37, v6, 0x7fff
	v_or_b32_e32 v36, 0x400000, v6
	v_cmp_u_f32_e32 vcc_lo, v6, v6
	v_add3_u32 v34, v34, v33, 0x7fff
	v_or_b32_e32 v37, 0x400000, v33
	v_mul_f32_e32 v35, v11, v35
	v_mul_f32_e32 v8, v12, v8
	v_cndmask_b32_e32 v6, v32, v36, vcc_lo
	v_bfe_u32 v32, v7, 16, 1
	v_cmp_u_f32_e32 vcc_lo, v33, v33
	v_or_b32_e32 v36, 0x400000, v7
	v_and_b32_e32 v31, 0xffff0000, v31
	v_and_b32_e32 v6, 0xffff0000, v6
	v_add3_u32 v32, v32, v7, 0x7fff
	v_cndmask_b32_e32 v33, v34, v37, vcc_lo
	v_bfe_u32 v34, v35, 16, 1
	v_cmp_u_f32_e32 vcc_lo, v7, v7
	v_or_b32_e32 v37, 0x400000, v35
	v_add_f32_e32 v5, v30, v5
	v_add_f32_e32 v6, v31, v6
	v_add3_u32 v34, v34, v35, 0x7fff
	v_cndmask_b32_e32 v7, v32, v36, vcc_lo
	v_cmp_u_f32_e32 vcc_lo, v35, v35
	s_waitcnt vmcnt(0)
	v_lshlrev_b32_e32 v36, 16, v1
	v_and_b32_e32 v1, 0xffff0000, v1
	v_or_b32_e32 v35, 0x400000, v8
	v_and_b32_e32 v7, 0xffff0000, v7
	v_cndmask_b32_e32 v32, v34, v37, vcc_lo
	v_bfe_u32 v34, v8, 16, 1
	v_mul_f32_e32 v13, v13, v36
	v_and_b32_e32 v30, 0xffff0000, v33
	v_cmp_u_f32_e32 vcc_lo, v8, v8
	v_add_f32_e32 v5, v6, v5
	v_add3_u32 v34, v34, v8, 0x7fff
	v_bfe_u32 v6, v13, 16, 1
	v_mul_f32_e32 v1, v14, v1
	v_lshlrev_b32_e32 v14, 16, v2
	v_add_f32_e32 v7, v30, v7
	v_cndmask_b32_e32 v8, v34, v35, vcc_lo
	v_add3_u32 v6, v6, v13, 0x7fff
	v_or_b32_e32 v30, 0x400000, v13
	v_bfe_u32 v31, v1, 16, 1
	v_mul_f32_e32 v14, v15, v14
	v_and_b32_e32 v2, 0xffff0000, v2
	v_cmp_u_f32_e32 vcc_lo, v13, v13
	v_or_b32_e32 v15, 0x400000, v1
	v_add3_u32 v13, v31, v1, 0x7fff
	v_and_b32_e32 v8, 0xffff0000, v8
	v_mul_f32_e32 v2, v16, v2
	v_cndmask_b32_e32 v6, v6, v30, vcc_lo
	v_bfe_u32 v30, v14, 16, 1
	v_lshlrev_b32_e32 v16, 16, v3
	v_cmp_u_f32_e32 vcc_lo, v1, v1
	v_and_b32_e32 v3, 0xffff0000, v3
	v_and_b32_e32 v6, 0xffff0000, v6
	v_add_f32_e32 v5, v7, v5
	v_mul_f32_e32 v9, v9, v16
	v_cndmask_b32_e32 v1, v13, v15, vcc_lo
	v_add3_u32 v13, v30, v14, 0x7fff
	v_or_b32_e32 v15, 0x400000, v14
	v_bfe_u32 v30, v2, 16, 1
	v_cmp_u_f32_e32 vcc_lo, v14, v14
	v_bfe_u32 v16, v9, 16, 1
	v_mul_f32_e32 v3, v10, v3
	v_lshlrev_b32_e32 v10, 16, v4
	v_add3_u32 v14, v30, v2, 0x7fff
	v_cndmask_b32_e32 v13, v13, v15, vcc_lo
	v_or_b32_e32 v15, 0x400000, v2
	v_and_b32_e32 v4, 0xffff0000, v4
	v_cmp_u_f32_e32 vcc_lo, v2, v2
	v_mul_f32_e32 v10, v11, v10
	v_or_b32_e32 v11, 0x400000, v9
	v_and_b32_e32 v1, 0xffff0000, v1
	v_mul_f32_e32 v4, v12, v4
	v_cndmask_b32_e32 v2, v14, v15, vcc_lo
	v_bfe_u32 v14, v3, 16, 1
	v_add3_u32 v15, v16, v9, 0x7fff
	v_cmp_u_f32_e32 vcc_lo, v9, v9
	v_bfe_u32 v30, v4, 16, 1
	v_bfe_u32 v16, v10, 16, 1
	v_add3_u32 v12, v14, v3, 0x7fff
	v_or_b32_e32 v14, 0x400000, v3
	v_cndmask_b32_e32 v9, v15, v11, vcc_lo
	v_cmp_u_f32_e32 vcc_lo, v3, v3
	v_add3_u32 v11, v16, v10, 0x7fff
	v_and_b32_e32 v2, 0xffff0000, v2
	v_and_b32_e32 v13, 0xffff0000, v13
	v_or_b32_e32 v15, 0x400000, v10
	v_cndmask_b32_e32 v3, v12, v14, vcc_lo
	v_add3_u32 v12, v30, v4, 0x7fff
	v_or_b32_e32 v14, 0x400000, v4
	v_cmp_u_f32_e32 vcc_lo, v4, v4
	v_add_f32_e32 v1, v6, v1
	v_add_f32_e32 v2, v13, v2
	v_and_b32_e32 v3, 0xffff0000, v3
	v_and_b32_e32 v6, 0xffff0000, v9
	v_cndmask_b32_e32 v4, v12, v14, vcc_lo
	v_cmp_u_f32_e32 vcc_lo, v10, v10
	v_and_b32_e32 v10, 0xffff0000, v32
	v_add_f32_e32 v1, v2, v1
	v_add_f32_e32 v2, v6, v3
	v_and_b32_e32 v3, 0xffff0000, v4
	v_cndmask_b32_e32 v9, v11, v15, vcc_lo
	v_add_f32_e32 v6, v10, v8
	v_add_f32_e32 v1, v2, v1
	v_and_b32_e32 v4, 0xffff0000, v9
	v_add_f32_e32 v2, v4, v3
	v_add_f32_e32 v3, v6, v5
	;; [unrolled: 1-line block ×5, first 2 shown]
.LBB109_38:                             ;   in Loop: Header=BB109_39 Depth=1
	s_or_b32 exec_lo, exec_lo, s22
	v_add_nc_u32_e32 v26, 4, v26
	v_add_co_u32 v17, s1, v17, 16
	v_add_co_ci_u32_e64 v18, null, 0, v18, s1
	v_cmp_le_i32_e32 vcc_lo, s16, v26
	v_add_nc_u32_e32 v20, 32, v20
	v_add_nc_u32_e32 v25, 0x80, v25
	s_or_b32 s17, vcc_lo, s17
	s_andn2_b32 exec_lo, exec_lo, s17
	s_cbranch_execz .LBB109_44
.LBB109_39:                             ; =>This Inner Loop Header: Depth=1
	v_mul_hi_u32 v1, v20, s30
	v_mul_lo_u32 v2, v1, s21
	v_add_nc_u32_e32 v3, 1, v1
	v_sub_nc_u32_e32 v2, v20, v2
	v_subrev_nc_u32_e32 v4, s21, v2
	v_cmp_le_u32_e32 vcc_lo, s21, v2
	v_cndmask_b32_e32 v1, v1, v3, vcc_lo
	v_cndmask_b32_e32 v2, v2, v4, vcc_lo
	v_add_nc_u32_e32 v3, 1, v1
	v_cmp_le_u32_e32 vcc_lo, s21, v2
	v_cndmask_b32_e32 v1, v1, v3, vcc_lo
	v_xor_b32_e32 v1, s19, v1
	v_subrev_nc_u32_e32 v1, s19, v1
	v_add_nc_u32_e32 v2, s31, v1
	v_cmp_lt_i32_e64 s1, s5, v1
	v_sub_nc_u32_e32 v3, 0, v2
	v_max_i32_e32 v3, v2, v3
	v_ashrrev_i32_e32 v2, 31, v2
	v_mul_hi_u32 v4, v3, v29
	v_mul_lo_u32 v4, v4, s14
	v_sub_nc_u32_e32 v3, v3, v4
	v_subrev_nc_u32_e32 v4, s14, v3
	v_cmp_le_u32_e32 vcc_lo, s14, v3
	v_cndmask_b32_e32 v3, v3, v4, vcc_lo
	v_subrev_nc_u32_e32 v4, s14, v3
	v_cmp_le_u32_e32 vcc_lo, s14, v3
	v_cndmask_b32_e32 v3, v3, v4, vcc_lo
	v_xor_b32_e32 v3, v3, v2
	v_sub_nc_u32_e32 v2, v3, v2
	v_cmp_eq_u32_e32 vcc_lo, 0, v2
	s_or_b32 s1, vcc_lo, s1
	s_and_saveexec_b32 s22, s1
	s_cbranch_execz .LBB109_38
; %bb.40:                               ;   in Loop: Header=BB109_39 Depth=1
	global_load_dword v1, v[17:18], off
	v_cmp_eq_u32_e64 s1, s15, v26
	v_add_nc_u32_e32 v36, 1, v20
	v_or_b32_e32 v34, 3, v20
	v_or_b32_e32 v35, 2, v20
	;; [unrolled: 1-line block ×6, first 2 shown]
	s_waitcnt vmcnt(0)
	v_mad_i64_i32 v[1:2], null, v1, s13, 0
	v_lshlrev_b64 v[1:2], 1, v[1:2]
	v_add_co_u32 v1, vcc_lo, v27, v1
	v_add_co_ci_u32_e64 v2, null, v28, v2, vcc_lo
	global_load_dwordx4 v[5:8], v[1:2], off
	ds_read2_b64 v[13:16], v25 offset1:1
	ds_read2_b64 v[9:12], v25 offset0:2 offset1:3
	s_and_saveexec_b32 s23, s1
	s_cbranch_execz .LBB109_42
; %bb.41:                               ;   in Loop: Header=BB109_39 Depth=1
	v_cmp_gt_i32_e64 s2, s11, v20
	v_cmp_gt_i32_e32 vcc_lo, s18, v36
	v_cmp_gt_i32_e64 s3, s11, v35
	s_waitcnt vmcnt(0)
	v_cndmask_b32_e64 v3, 0, v5, s2
	v_cmp_gt_i32_e64 s2, s18, v34
	v_cndmask_b32_sdwa v5, v24, v5, vcc_lo dst_sel:DWORD dst_unused:UNUSED_PAD src0_sel:DWORD src1_sel:WORD_1
	v_cndmask_b32_e64 v4, 0, v6, s3
	v_cmp_gt_i32_e64 s3, s18, v33
	s_mov_b32 vcc_lo, s2
	v_cmp_gt_i32_e64 s2, s18, v31
	v_cndmask_b32_sdwa v6, v24, v6, vcc_lo dst_sel:DWORD dst_unused:UNUSED_PAD src0_sel:DWORD src1_sel:WORD_1
	v_cmp_gt_i32_e32 vcc_lo, s11, v32
	v_perm_b32 v5, v5, v3, 0x5040100
	v_perm_b32 v6, v6, v4, 0x5040100
	v_cndmask_b32_e32 v37, 0, v7, vcc_lo
	s_mov_b32 vcc_lo, s3
	v_cndmask_b32_sdwa v7, v24, v7, vcc_lo dst_sel:DWORD dst_unused:UNUSED_PAD src0_sel:DWORD src1_sel:WORD_1
	v_cmp_gt_i32_e32 vcc_lo, s11, v30
	v_perm_b32 v7, v7, v37, 0x5040100
	v_cndmask_b32_e32 v38, 0, v8, vcc_lo
	s_mov_b32 vcc_lo, s2
	v_cndmask_b32_sdwa v8, v24, v8, vcc_lo dst_sel:DWORD dst_unused:UNUSED_PAD src0_sel:DWORD src1_sel:WORD_1
	v_perm_b32 v8, v8, v38, 0x5040100
.LBB109_42:                             ;   in Loop: Header=BB109_39 Depth=1
	s_or_b32 exec_lo, exec_lo, s23
	global_load_dwordx4 v[1:4], v[1:2], off offset:512
	s_and_saveexec_b32 s3, s1
	s_cbranch_execz .LBB109_37
; %bb.43:                               ;   in Loop: Header=BB109_39 Depth=1
	v_cmp_gt_i32_e64 s1, s11, v20
	v_cmp_gt_i32_e32 vcc_lo, s18, v36
	v_cmp_gt_i32_e64 s2, s11, v35
	s_waitcnt vmcnt(0)
	v_cndmask_b32_e64 v36, 0, v1, s1
	v_cmp_gt_i32_e64 s1, s18, v34
	v_cndmask_b32_sdwa v1, v24, v1, vcc_lo dst_sel:DWORD dst_unused:UNUSED_PAD src0_sel:DWORD src1_sel:WORD_1
	v_cndmask_b32_e64 v34, 0, v2, s2
	v_cmp_gt_i32_e64 s2, s18, v33
	s_mov_b32 vcc_lo, s1
	v_cmp_gt_i32_e64 s1, s18, v31
	v_cndmask_b32_sdwa v2, v24, v2, vcc_lo dst_sel:DWORD dst_unused:UNUSED_PAD src0_sel:DWORD src1_sel:WORD_1
	v_cmp_gt_i32_e32 vcc_lo, s11, v32
	v_perm_b32 v1, v1, v36, 0x5040100
	v_perm_b32 v2, v2, v34, 0x5040100
	v_cndmask_b32_e32 v32, 0, v3, vcc_lo
	s_mov_b32 vcc_lo, s2
	v_cndmask_b32_sdwa v3, v24, v3, vcc_lo dst_sel:DWORD dst_unused:UNUSED_PAD src0_sel:DWORD src1_sel:WORD_1
	v_cmp_gt_i32_e32 vcc_lo, s11, v30
	v_perm_b32 v3, v3, v32, 0x5040100
	v_cndmask_b32_e32 v30, 0, v4, vcc_lo
	s_mov_b32 vcc_lo, s1
	v_cndmask_b32_sdwa v4, v24, v4, vcc_lo dst_sel:DWORD dst_unused:UNUSED_PAD src0_sel:DWORD src1_sel:WORD_1
	v_perm_b32 v4, v4, v30, 0x5040100
	s_branch .LBB109_37
.LBB109_44:
	s_or_b32 exec_lo, exec_lo, s17
.LBB109_45:
	s_or_b32 exec_lo, exec_lo, s4
	v_lshl_add_u32 v2, v21, 2, 0xa0
	v_and_b32_e32 v3, 0x3c0, v0
	s_mov_b32 s1, exec_lo
	s_barrier
	v_lshl_add_u32 v1, v19, 8, v2
	buffer_gl0_inv
	v_cmpx_eq_u32_e32 64, v3
	s_cbranch_execz .LBB109_47
; %bb.46:
	v_add_nc_u32_e32 v3, 0xfffffe00, v1
	v_add_nc_u32_e32 v4, 0xfffffe80, v1
	ds_write_b32 v3, v22
	ds_write_b32 v4, v23
.LBB109_47:
	s_or_b32 exec_lo, exec_lo, s1
	s_mov_b32 s1, exec_lo
	s_waitcnt lgkmcnt(0)
	s_barrier
	buffer_gl0_inv
	v_cmpx_gt_u32_e32 64, v0
	s_cbranch_execz .LBB109_49
; %bb.48:
	ds_read2_b32 v[3:4], v1 offset1:32
	s_waitcnt lgkmcnt(0)
	v_add_f32_e32 v22, v22, v3
	v_add_f32_e32 v23, v23, v4
.LBB109_49:
	s_or_b32 exec_lo, exec_lo, s1
	v_and_b32_e32 v3, 0x3e0, v0
	s_mov_b32 s1, exec_lo
	s_barrier
	buffer_gl0_inv
	v_cmpx_eq_u32_e32 32, v3
; %bb.50:
	ds_write2_b32 v2, v22, v23 offset1:32
; %bb.51:
	s_or_b32 exec_lo, exec_lo, s1
	s_waitcnt lgkmcnt(0)
	s_barrier
	buffer_gl0_inv
	s_and_saveexec_b32 s1, s0
	s_cbranch_execz .LBB109_53
; %bb.52:
	ds_read2_b32 v[1:2], v1 offset1:32
	s_waitcnt lgkmcnt(0)
	v_add_f32_e32 v22, v22, v1
	v_add_f32_e32 v23, v23, v2
.LBB109_53:
	s_or_b32 exec_lo, exec_lo, s1
	s_barrier
	buffer_gl0_inv
	s_and_saveexec_b32 s1, s0
	s_cbranch_execz .LBB109_55
; %bb.54:
	s_mul_i32 s0, s10, s12
	v_bfe_u32 v1, v22, 16, 1
	s_mul_i32 s0, s0, s9
	s_mul_i32 s2, s12, s20
	s_lshl_b32 s0, s0, 6
	v_or_b32_e32 v2, 0x400000, v22
	s_ashr_i32 s1, s0, 31
	v_bfe_u32 v3, v23, 16, 1
	s_lshl_b64 s[0:1], s[0:1], 1
	v_add3_u32 v1, v1, v22, 0x7fff
	s_add_u32 s4, s6, s0
	s_addc_u32 s5, s7, s1
	s_ashr_i32 s3, s2, 31
	v_cmp_u_f32_e32 vcc_lo, v22, v22
	s_lshl_b64 s[0:1], s[2:3], 1
	v_or_b32_e32 v4, 0x400000, v23
	s_add_u32 s2, s4, s0
	s_addc_u32 s3, s5, s1
	s_lshl_b32 s0, s8, 6
	v_add3_u32 v3, v3, v23, 0x7fff
	v_cndmask_b32_e32 v1, v1, v2, vcc_lo
	v_cmp_u_f32_e32 vcc_lo, v23, v23
	s_ashr_i32 s1, s0, 31
	v_lshlrev_b32_e32 v0, 1, v0
	s_lshl_b64 s[0:1], s[0:1], 1
	v_cndmask_b32_e32 v2, v3, v4, vcc_lo
	s_add_u32 s0, s2, s0
	s_addc_u32 s1, s3, s1
	global_store_short_d16_hi v0, v1, s[0:1]
	global_store_short_d16_hi v0, v2, s[0:1] offset:64
.LBB109_55:
	s_endpgm
	.section	.rodata,"a",@progbits
	.p2align	6, 0x0
	.amdhsa_kernel _ZN4vllm25paged_attention_v1_kernelI14__hip_bfloat16S1_Li64ELi8ELi128ELNS_18Fp8KVCacheDataTypeE0ELb1EEEvPT_PKS3_PKT0_S9_ifPKiSB_iPKfiiiSD_SD_iiiii
		.amdhsa_group_segment_fixed_size 160
		.amdhsa_private_segment_fixed_size 0
		.amdhsa_kernarg_size 384
		.amdhsa_user_sgpr_count 6
		.amdhsa_user_sgpr_private_segment_buffer 1
		.amdhsa_user_sgpr_dispatch_ptr 0
		.amdhsa_user_sgpr_queue_ptr 0
		.amdhsa_user_sgpr_kernarg_segment_ptr 1
		.amdhsa_user_sgpr_dispatch_id 0
		.amdhsa_user_sgpr_flat_scratch_init 0
		.amdhsa_user_sgpr_private_segment_size 0
		.amdhsa_wavefront_size32 1
		.amdhsa_uses_dynamic_stack 0
		.amdhsa_system_sgpr_private_segment_wavefront_offset 0
		.amdhsa_system_sgpr_workgroup_id_x 1
		.amdhsa_system_sgpr_workgroup_id_y 1
		.amdhsa_system_sgpr_workgroup_id_z 1
		.amdhsa_system_sgpr_workgroup_info 0
		.amdhsa_system_vgpr_workitem_id 0
		.amdhsa_next_free_vgpr 46
		.amdhsa_next_free_sgpr 38
		.amdhsa_reserve_vcc 1
		.amdhsa_reserve_flat_scratch 0
		.amdhsa_float_round_mode_32 0
		.amdhsa_float_round_mode_16_64 0
		.amdhsa_float_denorm_mode_32 3
		.amdhsa_float_denorm_mode_16_64 3
		.amdhsa_dx10_clamp 1
		.amdhsa_ieee_mode 1
		.amdhsa_fp16_overflow 0
		.amdhsa_workgroup_processor_mode 1
		.amdhsa_memory_ordered 1
		.amdhsa_forward_progress 1
		.amdhsa_shared_vgpr_count 0
		.amdhsa_exception_fp_ieee_invalid_op 0
		.amdhsa_exception_fp_denorm_src 0
		.amdhsa_exception_fp_ieee_div_zero 0
		.amdhsa_exception_fp_ieee_overflow 0
		.amdhsa_exception_fp_ieee_underflow 0
		.amdhsa_exception_fp_ieee_inexact 0
		.amdhsa_exception_int_div_zero 0
	.end_amdhsa_kernel
	.section	.text._ZN4vllm25paged_attention_v1_kernelI14__hip_bfloat16S1_Li64ELi8ELi128ELNS_18Fp8KVCacheDataTypeE0ELb1EEEvPT_PKS3_PKT0_S9_ifPKiSB_iPKfiiiSD_SD_iiiii,"axG",@progbits,_ZN4vllm25paged_attention_v1_kernelI14__hip_bfloat16S1_Li64ELi8ELi128ELNS_18Fp8KVCacheDataTypeE0ELb1EEEvPT_PKS3_PKT0_S9_ifPKiSB_iPKfiiiSD_SD_iiiii,comdat
.Lfunc_end109:
	.size	_ZN4vllm25paged_attention_v1_kernelI14__hip_bfloat16S1_Li64ELi8ELi128ELNS_18Fp8KVCacheDataTypeE0ELb1EEEvPT_PKS3_PKT0_S9_ifPKiSB_iPKfiiiSD_SD_iiiii, .Lfunc_end109-_ZN4vllm25paged_attention_v1_kernelI14__hip_bfloat16S1_Li64ELi8ELi128ELNS_18Fp8KVCacheDataTypeE0ELb1EEEvPT_PKS3_PKT0_S9_ifPKiSB_iPKfiiiSD_SD_iiiii
                                        ; -- End function
	.set _ZN4vllm25paged_attention_v1_kernelI14__hip_bfloat16S1_Li64ELi8ELi128ELNS_18Fp8KVCacheDataTypeE0ELb1EEEvPT_PKS3_PKT0_S9_ifPKiSB_iPKfiiiSD_SD_iiiii.num_vgpr, 46
	.set _ZN4vllm25paged_attention_v1_kernelI14__hip_bfloat16S1_Li64ELi8ELi128ELNS_18Fp8KVCacheDataTypeE0ELb1EEEvPT_PKS3_PKT0_S9_ifPKiSB_iPKfiiiSD_SD_iiiii.num_agpr, 0
	.set _ZN4vllm25paged_attention_v1_kernelI14__hip_bfloat16S1_Li64ELi8ELi128ELNS_18Fp8KVCacheDataTypeE0ELb1EEEvPT_PKS3_PKT0_S9_ifPKiSB_iPKfiiiSD_SD_iiiii.numbered_sgpr, 38
	.set _ZN4vllm25paged_attention_v1_kernelI14__hip_bfloat16S1_Li64ELi8ELi128ELNS_18Fp8KVCacheDataTypeE0ELb1EEEvPT_PKS3_PKT0_S9_ifPKiSB_iPKfiiiSD_SD_iiiii.num_named_barrier, 0
	.set _ZN4vllm25paged_attention_v1_kernelI14__hip_bfloat16S1_Li64ELi8ELi128ELNS_18Fp8KVCacheDataTypeE0ELb1EEEvPT_PKS3_PKT0_S9_ifPKiSB_iPKfiiiSD_SD_iiiii.private_seg_size, 0
	.set _ZN4vllm25paged_attention_v1_kernelI14__hip_bfloat16S1_Li64ELi8ELi128ELNS_18Fp8KVCacheDataTypeE0ELb1EEEvPT_PKS3_PKT0_S9_ifPKiSB_iPKfiiiSD_SD_iiiii.uses_vcc, 1
	.set _ZN4vllm25paged_attention_v1_kernelI14__hip_bfloat16S1_Li64ELi8ELi128ELNS_18Fp8KVCacheDataTypeE0ELb1EEEvPT_PKS3_PKT0_S9_ifPKiSB_iPKfiiiSD_SD_iiiii.uses_flat_scratch, 0
	.set _ZN4vllm25paged_attention_v1_kernelI14__hip_bfloat16S1_Li64ELi8ELi128ELNS_18Fp8KVCacheDataTypeE0ELb1EEEvPT_PKS3_PKT0_S9_ifPKiSB_iPKfiiiSD_SD_iiiii.has_dyn_sized_stack, 0
	.set _ZN4vllm25paged_attention_v1_kernelI14__hip_bfloat16S1_Li64ELi8ELi128ELNS_18Fp8KVCacheDataTypeE0ELb1EEEvPT_PKS3_PKT0_S9_ifPKiSB_iPKfiiiSD_SD_iiiii.has_recursion, 0
	.set _ZN4vllm25paged_attention_v1_kernelI14__hip_bfloat16S1_Li64ELi8ELi128ELNS_18Fp8KVCacheDataTypeE0ELb1EEEvPT_PKS3_PKT0_S9_ifPKiSB_iPKfiiiSD_SD_iiiii.has_indirect_call, 0
	.section	.AMDGPU.csdata,"",@progbits
; Kernel info:
; codeLenInByte = 5328
; TotalNumSgprs: 40
; NumVgprs: 46
; ScratchSize: 0
; MemoryBound: 0
; FloatMode: 240
; IeeeMode: 1
; LDSByteSize: 160 bytes/workgroup (compile time only)
; SGPRBlocks: 0
; VGPRBlocks: 5
; NumSGPRsForWavesPerEU: 40
; NumVGPRsForWavesPerEU: 46
; Occupancy: 16
; WaveLimiterHint : 1
; COMPUTE_PGM_RSRC2:SCRATCH_EN: 0
; COMPUTE_PGM_RSRC2:USER_SGPR: 6
; COMPUTE_PGM_RSRC2:TRAP_HANDLER: 0
; COMPUTE_PGM_RSRC2:TGID_X_EN: 1
; COMPUTE_PGM_RSRC2:TGID_Y_EN: 1
; COMPUTE_PGM_RSRC2:TGID_Z_EN: 1
; COMPUTE_PGM_RSRC2:TIDIG_COMP_CNT: 0
	.section	.text._ZN4vllm25paged_attention_v1_kernelI14__hip_bfloat16S1_Li80ELi8ELi128ELNS_18Fp8KVCacheDataTypeE0ELb1EEEvPT_PKS3_PKT0_S9_ifPKiSB_iPKfiiiSD_SD_iiiii,"axG",@progbits,_ZN4vllm25paged_attention_v1_kernelI14__hip_bfloat16S1_Li80ELi8ELi128ELNS_18Fp8KVCacheDataTypeE0ELb1EEEvPT_PKS3_PKT0_S9_ifPKiSB_iPKfiiiSD_SD_iiiii,comdat
	.protected	_ZN4vllm25paged_attention_v1_kernelI14__hip_bfloat16S1_Li80ELi8ELi128ELNS_18Fp8KVCacheDataTypeE0ELb1EEEvPT_PKS3_PKT0_S9_ifPKiSB_iPKfiiiSD_SD_iiiii ; -- Begin function _ZN4vllm25paged_attention_v1_kernelI14__hip_bfloat16S1_Li80ELi8ELi128ELNS_18Fp8KVCacheDataTypeE0ELb1EEEvPT_PKS3_PKT0_S9_ifPKiSB_iPKfiiiSD_SD_iiiii
	.globl	_ZN4vllm25paged_attention_v1_kernelI14__hip_bfloat16S1_Li80ELi8ELi128ELNS_18Fp8KVCacheDataTypeE0ELb1EEEvPT_PKS3_PKT0_S9_ifPKiSB_iPKfiiiSD_SD_iiiii
	.p2align	8
	.type	_ZN4vllm25paged_attention_v1_kernelI14__hip_bfloat16S1_Li80ELi8ELi128ELNS_18Fp8KVCacheDataTypeE0ELb1EEEvPT_PKS3_PKT0_S9_ifPKiSB_iPKfiiiSD_SD_iiiii,@function
_ZN4vllm25paged_attention_v1_kernelI14__hip_bfloat16S1_Li80ELi8ELi128ELNS_18Fp8KVCacheDataTypeE0ELb1EEEvPT_PKS3_PKT0_S9_ifPKiSB_iPKfiiiSD_SD_iiiii: ; @_ZN4vllm25paged_attention_v1_kernelI14__hip_bfloat16S1_Li80ELi8ELi128ELNS_18Fp8KVCacheDataTypeE0ELb1EEEvPT_PKS3_PKT0_S9_ifPKiSB_iPKfiiiSD_SD_iiiii
; %bb.0:
	s_clause 0x2
	s_load_dword s30, s[4:5], 0x80
	s_load_dwordx2 s[0:1], s[4:5], 0x30
	s_load_dwordx2 s[28:29], s[4:5], 0x20
	s_mov_b32 s20, s7
	s_ashr_i32 s21, s7, 31
	s_mov_b32 s36, 0
	s_lshl_b64 s[2:3], s[20:21], 2
	s_waitcnt lgkmcnt(0)
	s_add_u32 s0, s0, s2
	s_addc_u32 s1, s1, s3
	s_abs_i32 s2, s28
	s_abs_i32 s9, s30
	v_cvt_f32_u32_e32 v1, s2
	s_sub_i32 s7, 0, s2
	v_rcp_iflag_f32_e32 v1, v1
	v_mul_f32_e32 v1, 0x4f7ffffe, v1
	v_cvt_u32_f32_e32 v1, v1
	v_readfirstlane_b32 s3, v1
	s_mul_i32 s7, s7, s3
	s_mul_hi_u32 s7, s3, s7
	s_add_i32 s3, s3, s7
	s_xor_b32 s7, s30, s28
	s_mul_hi_u32 s3, s9, s3
	s_ashr_i32 s7, s7, 31
	s_mul_i32 s10, s3, s2
	s_sub_i32 s9, s9, s10
	s_add_i32 s10, s3, 1
	s_sub_i32 s11, s9, s2
	s_cmp_ge_u32 s9, s2
	s_cselect_b32 s3, s10, s3
	s_cselect_b32 s9, s11, s9
	s_add_i32 s10, s3, 1
	s_cmp_ge_u32 s9, s2
	s_cselect_b32 s2, s10, s3
	s_xor_b32 s2, s2, s7
	s_sub_i32 s16, s2, s7
	s_load_dwordx2 s[2:3], s[4:5], 0x40
	s_abs_i32 s9, s16
	v_cvt_f32_u32_e32 v1, s9
	s_sub_i32 s10, 0, s9
	v_rcp_iflag_f32_e32 v1, v1
	v_mul_f32_e32 v1, 0x4f7ffffe, v1
	v_cvt_u32_f32_e32 v1, v1
	v_readfirstlane_b32 s7, v1
	s_mul_i32 s10, s10, s7
	s_mul_hi_u32 s11, s7, s10
	s_abs_i32 s10, s6
	s_add_i32 s7, s7, s11
	s_waitcnt lgkmcnt(0)
	s_cmp_eq_u64 s[2:3], 0
	s_mul_hi_u32 s11, s10, s7
	s_cbranch_scc1 .LBB110_2
; %bb.1:
	s_ashr_i32 s7, s6, 31
	s_lshl_b64 s[12:13], s[6:7], 2
	s_add_u32 s2, s2, s12
	s_addc_u32 s3, s3, s13
	s_load_dword s36, s[2:3], 0x0
.LBB110_2:
	s_load_dword s31, s[0:1], 0x0
	s_load_dwordx4 s[12:15], s[4:5], 0x48
	v_and_b32_e32 v1, 3, v0
	v_lshlrev_b32_e32 v2, 2, v0
	s_ashr_i32 s0, s6, 31
	s_ashr_i32 s1, s16, 31
	s_mul_i32 s22, s6, 0x50
	s_mov_b32 s2, exec_lo
	v_cmpx_gt_u32_e32 40, v0
	s_cbranch_execz .LBB110_4
; %bb.3:
	s_load_dwordx2 s[16:17], s[4:5], 0x8
	s_waitcnt lgkmcnt(0)
	s_mul_i32 s18, s12, s20
	v_and_b32_e32 v4, 0x3fc, v0
	s_ashr_i32 s19, s18, 31
	s_lshl_b64 s[18:19], s[18:19], 1
	v_mad_u32_u24 v4, v1, 40, v4
	s_add_u32 s3, s16, s18
	s_addc_u32 s7, s17, s19
	s_ashr_i32 s23, s22, 31
	s_lshl_b64 s[16:17], s[22:23], 1
	s_add_u32 s16, s3, s16
	s_addc_u32 s17, s7, s17
	global_load_dword v3, v2, s[16:17]
	s_waitcnt vmcnt(0)
	ds_write_b32 v4, v3
.LBB110_4:
	s_or_b32 exec_lo, exec_lo, s2
	s_load_dwordx4 s[16:19], s[4:5], 0x68
	s_mul_i32 s2, s11, s9
	s_xor_b32 s1, s0, s1
	s_sub_i32 s0, s10, s2
	s_add_i32 s2, s11, 1
	s_sub_i32 s3, s0, s9
	s_cmp_ge_u32 s0, s9
	s_waitcnt lgkmcnt(0)
	s_cselect_b32 s2, s2, s11
	s_cselect_b32 s0, s3, s0
	s_add_i32 s3, s2, 1
	s_cmp_ge_u32 s0, s9
	s_load_dword s0, s[4:5], 0x78
	s_cselect_b32 s2, s3, s2
	s_add_i32 s7, s31, -1
	s_xor_b32 s2, s2, s1
	s_abs_i32 s3, s7
	s_sub_i32 s1, s2, s1
	s_mov_b32 s9, -1
	s_barrier
	s_abs_i32 s23, s19
	s_waitcnt lgkmcnt(0)
	buffer_gl0_inv
	v_cvt_f32_u32_e32 v3, s23
	s_sub_i32 s2, 0, s23
                                        ; implicit-def: $sgpr34
	v_rcp_iflag_f32_e32 v3, v3
	v_mul_f32_e32 v3, 0x4f7ffffe, v3
	v_cvt_u32_f32_e32 v3, v3
	v_readfirstlane_b32 s33, v3
	s_mul_i32 s2, s2, s33
	s_mul_hi_u32 s2, s33, s2
	s_add_i32 s33, s33, s2
	s_cmp_lt_i32 s0, 0
	s_mul_hi_u32 s2, s3, s33
	s_cbranch_scc0 .LBB110_6
; %bb.5:
	s_mul_i32 s9, s16, s28
	s_add_i32 s9, s1, s9
	s_mul_i32 s9, s9, s0
	s_sub_i32 s34, 1, s9
	s_mov_b32 s9, 0
.LBB110_6:
	s_load_dwordx2 s[10:11], s[4:5], 0x28
	s_ashr_i32 s7, s7, 31
	s_andn2_b32 vcc_lo, exec_lo, s9
	s_ashr_i32 s28, s19, 31
	s_cbranch_vccnz .LBB110_8
; %bb.7:
	s_mul_i32 s9, s30, s16
	s_add_i32 s6, s9, s6
	s_mul_i32 s0, s6, s0
	s_add_i32 s34, s0, 1
.LBB110_8:
	s_load_dword s0, s[4:5], 0x38
	s_mul_i32 s6, s2, s23
	s_xor_b32 s9, s7, s28
	s_sub_i32 s3, s3, s6
	s_add_i32 s12, s2, 1
	s_clause 0x2
	s_load_dwordx2 s[24:25], s[4:5], 0x0
	s_load_dwordx2 s[26:27], s[4:5], 0x18
	s_load_dword s21, s[4:5], 0x88
	v_lshrrev_b32_e32 v19, 5, v0
	v_mov_b32_e32 v5, 0xff7fffff
	v_lshrrev_b32_e32 v3, 3, v0
	v_mbcnt_lo_u32_b32 v4, -1, 0
	s_mul_i32 s14, s1, s14
	v_lshlrev_b32_e32 v20, 3, v19
	s_waitcnt lgkmcnt(0)
	s_mul_i32 s6, s0, s20
	s_sub_i32 s0, s3, s23
	s_ashr_i32 s7, s6, 31
	s_cmp_ge_u32 s3, s23
	s_cselect_b32 s2, s12, s2
	s_cselect_b32 s0, s0, s3
	s_add_i32 s3, s2, 1
	s_cmp_ge_u32 s0, s23
	s_cselect_b32 s0, s3, s2
	s_add_i32 s2, s31, 7
	s_ashr_i32 s3, s2, 31
	s_lshr_b32 s3, s3, 29
	s_add_i32 s2, s2, s3
	s_ashr_i32 s35, s2, 3
	s_xor_b32 s2, s0, s9
	v_cmp_gt_i32_e64 s0, s35, v19
	s_sub_i32 s9, s2, s9
	s_and_saveexec_b32 s12, s0
	s_cbranch_execz .LBB110_20
; %bb.9:
	s_load_dwordx2 s[2:3], s[4:5], 0x10
	s_ashr_i32 s15, s14, 31
	s_sub_i32 s4, s9, s17
	s_lshl_b64 s[38:39], s[14:15], 1
	v_bfe_u32 v6, v0, 2, 3
	v_and_b32_e32 v14, 12, v2
	v_cmp_eq_u32_e32 vcc_lo, 0, v1
	v_mul_u32_u24_e32 v7, 40, v1
	v_and_b32_e32 v1, 0x7c, v3
	v_lshlrev_b32_e32 v2, 2, v6
	v_subrev_nc_u32_e32 v13, s31, v6
	v_lshlrev_b32_e32 v15, 4, v6
	v_cmp_neq_f32_e64 s1, s36, 0
	v_lshlrev_b32_e32 v8, 3, v19
	v_lshl_or_b32 v2, v19, 5, v2
	v_mov_b32_e32 v9, 0xff7fffff
	v_xor_b32_e32 v10, 2, v4
	v_xor_b32_e32 v11, 1, v4
	s_waitcnt lgkmcnt(0)
	s_add_u32 s15, s2, s38
	s_addc_u32 s16, s3, s39
	s_abs_i32 s5, s18
	v_add_co_u32 v15, s15, s15, v15
	v_cvt_f32_u32_e32 v5, s5
	s_sub_i32 s2, 0, s5
	v_add_co_ci_u32_e64 v17, null, s16, 0, s15
	s_mov_b32 s15, 0
	v_rcp_iflag_f32_e32 v5, v5
	s_mov_b32 s16, s13
	v_mul_f32_e32 v12, 0x4f7ffffe, v5
	v_mov_b32_e32 v5, 0xff7fffff
	v_cvt_u32_f32_e32 v16, v12
	v_add_nc_u32_e32 v12, 1, v13
	v_add_nc_u32_e32 v13, 0xc0, v2
	v_mul_lo_u32 v2, s2, v16
	s_lshl_b64 s[2:3], s[6:7], 2
	s_add_u32 s2, s10, s2
	s_addc_u32 s3, s11, s3
	v_add_co_u32 v1, s2, s2, v1
	v_mul_hi_u32 v18, v16, v2
	v_add_co_ci_u32_e64 v2, null, s3, 0, s2
	v_add_co_u32 v14, s2, v15, v14
	v_add_co_ci_u32_e64 v15, null, 0, v17, s2
	v_mov_b32_e32 v17, v19
	v_add_nc_u32_e32 v16, v16, v18
	s_branch .LBB110_12
.LBB110_10:                             ;   in Loop: Header=BB110_12 Depth=1
	s_or_b32 exec_lo, exec_lo, s19
.LBB110_11:                             ;   in Loop: Header=BB110_12 Depth=1
	s_or_b32 exec_lo, exec_lo, s3
	v_add_nc_u32_e32 v17, 4, v17
	v_add_co_u32 v1, s3, v1, 16
	v_add_co_ci_u32_e64 v2, null, 0, v2, s3
	v_cmp_le_i32_e64 s2, s35, v17
	v_add_nc_u32_e32 v8, 32, v8
	v_add_nc_u32_e32 v13, 0x80, v13
	s_or_b32 s15, s2, s15
	s_andn2_b32 exec_lo, exec_lo, s15
	s_cbranch_execz .LBB110_19
.LBB110_12:                             ; =>This Inner Loop Header: Depth=1
	v_mul_hi_u32 v18, v8, s33
	s_waitcnt lgkmcnt(0)
	v_mul_lo_u32 v21, v18, s23
	v_add_nc_u32_e32 v22, 1, v18
	v_sub_nc_u32_e32 v21, v8, v21
	v_subrev_nc_u32_e32 v23, s23, v21
	v_cmp_le_u32_e64 s2, s23, v21
	v_cndmask_b32_e64 v18, v18, v22, s2
	v_cndmask_b32_e64 v21, v21, v23, s2
	v_add_nc_u32_e32 v22, 1, v18
	v_cmp_le_u32_e64 s2, s23, v21
	v_cndmask_b32_e64 v18, v18, v22, s2
	v_xor_b32_e32 v18, s28, v18
	v_subrev_nc_u32_e32 v18, s28, v18
	v_add_nc_u32_e32 v21, s34, v18
	v_cmp_ge_i32_e64 s3, s4, v18
	v_sub_nc_u32_e32 v22, 0, v21
	v_max_i32_e32 v22, v21, v22
	v_ashrrev_i32_e32 v21, 31, v21
	v_mul_hi_u32 v23, v22, v16
	v_mul_lo_u32 v23, v23, s5
	v_sub_nc_u32_e32 v22, v22, v23
	v_subrev_nc_u32_e32 v23, s5, v22
	v_cmp_le_u32_e64 s2, s5, v22
	v_cndmask_b32_e64 v22, v22, v23, s2
	v_subrev_nc_u32_e32 v23, s5, v22
	v_cmp_le_u32_e64 s2, s5, v22
	v_cndmask_b32_e64 v22, v22, v23, s2
	v_xor_b32_e32 v22, v22, v21
	v_sub_nc_u32_e32 v21, v22, v21
	v_cmp_ne_u32_e64 s2, 0, v21
	s_and_b32 s2, s2, s3
	s_and_saveexec_b32 s3, s2
	s_xor_b32 s2, exec_lo, s3
	s_cbranch_execz .LBB110_16
; %bb.13:                               ;   in Loop: Header=BB110_12 Depth=1
	s_and_saveexec_b32 s3, vcc_lo
; %bb.14:                               ;   in Loop: Header=BB110_12 Depth=1
	ds_write_b32 v13, v9
; %bb.15:                               ;   in Loop: Header=BB110_12 Depth=1
	s_or_b32 exec_lo, exec_lo, s3
.LBB110_16:                             ;   in Loop: Header=BB110_12 Depth=1
	s_andn2_saveexec_b32 s3, s2
	s_cbranch_execz .LBB110_11
; %bb.17:                               ;   in Loop: Header=BB110_12 Depth=1
	global_load_dword v18, v[1:2], off
	s_waitcnt vmcnt(0)
	v_mad_i64_i32 v[21:22], null, v18, s16, 0
	v_lshlrev_b64 v[21:22], 1, v[21:22]
	v_add_co_u32 v21, s2, v14, v21
	v_add_co_ci_u32_e64 v22, null, v15, v22, s2
	v_cmp_gt_i32_e64 s2, 32, v10
	s_clause 0x9
	global_load_dword v18, v[21:22], off offset:128
	global_load_dword v31, v[21:22], off
	global_load_dword v32, v[21:22], off offset:256
	global_load_dword v33, v[21:22], off offset:384
	;; [unrolled: 1-line block ×8, first 2 shown]
	ds_read2_b64 v[21:24], v7 offset1:1
	ds_read2_b64 v[25:28], v7 offset0:2 offset1:3
	ds_read_b64 v[29:30], v7 offset:32
	s_waitcnt lgkmcnt(2)
	v_lshlrev_b32_e32 v41, 16, v22
	v_and_b32_e32 v22, 0xffff0000, v22
	v_lshlrev_b32_e32 v40, 16, v21
	v_and_b32_e32 v21, 0xffff0000, v21
	v_lshlrev_b32_e32 v42, 16, v23
	v_lshlrev_b32_e32 v43, 16, v24
	s_waitcnt lgkmcnt(1)
	v_lshlrev_b32_e32 v44, 16, v25
	v_lshlrev_b32_e32 v45, 16, v26
	v_lshlrev_b32_e32 v46, 16, v27
	v_lshlrev_b32_e32 v47, 16, v28
	s_waitcnt lgkmcnt(0)
	v_lshlrev_b32_e32 v48, 16, v29
	v_lshlrev_b32_e32 v49, 16, v30
	s_waitcnt vmcnt(9)
	v_lshlrev_b32_e32 v50, 16, v18
	v_and_b32_e32 v18, 0xffff0000, v18
	s_waitcnt vmcnt(8)
	v_lshlrev_b32_e32 v51, 16, v31
	v_and_b32_e32 v31, 0xffff0000, v31
	v_mul_f32_e32 v41, v41, v50
	v_mul_f32_e32 v18, v22, v18
	v_and_b32_e32 v22, 0xffff0000, v23
	s_waitcnt vmcnt(7)
	v_lshlrev_b32_e32 v23, 16, v32
	v_and_b32_e32 v32, 0xffff0000, v32
	v_fmac_f32_e32 v41, v40, v51
	v_fmac_f32_e32 v18, v21, v31
	v_and_b32_e32 v21, 0xffff0000, v24
	s_waitcnt vmcnt(6)
	v_lshlrev_b32_e32 v24, 16, v33
	v_and_b32_e32 v31, 0xffff0000, v33
	v_fmac_f32_e32 v41, v42, v23
	v_fmac_f32_e32 v18, v22, v32
	v_and_b32_e32 v22, 0xffff0000, v25
	s_waitcnt vmcnt(5)
	v_lshlrev_b32_e32 v23, 16, v34
	v_and_b32_e32 v25, 0xffff0000, v34
	v_fmac_f32_e32 v41, v43, v24
	v_fmac_f32_e32 v18, v21, v31
	v_and_b32_e32 v21, 0xffff0000, v26
	s_waitcnt vmcnt(4)
	v_lshlrev_b32_e32 v24, 16, v35
	v_and_b32_e32 v26, 0xffff0000, v35
	v_fmac_f32_e32 v41, v44, v23
	v_fmac_f32_e32 v18, v22, v25
	v_and_b32_e32 v22, 0xffff0000, v27
	s_waitcnt vmcnt(3)
	v_lshlrev_b32_e32 v23, 16, v36
	v_and_b32_e32 v25, 0xffff0000, v36
	v_fmac_f32_e32 v41, v45, v24
	v_fmac_f32_e32 v18, v21, v26
	v_and_b32_e32 v21, 0xffff0000, v28
	s_waitcnt vmcnt(2)
	v_lshlrev_b32_e32 v24, 16, v37
	v_and_b32_e32 v26, 0xffff0000, v37
	v_fmac_f32_e32 v41, v46, v23
	v_fmac_f32_e32 v18, v22, v25
	v_and_b32_e32 v22, 0xffff0000, v29
	s_waitcnt vmcnt(1)
	v_lshlrev_b32_e32 v23, 16, v38
	v_and_b32_e32 v25, 0xffff0000, v38
	v_fmac_f32_e32 v41, v47, v24
	v_fmac_f32_e32 v18, v21, v26
	v_and_b32_e32 v21, 0xffff0000, v30
	s_waitcnt vmcnt(0)
	v_lshlrev_b32_e32 v24, 16, v39
	v_and_b32_e32 v26, 0xffff0000, v39
	v_fmac_f32_e32 v41, v48, v23
	v_fmac_f32_e32 v18, v22, v25
	v_cndmask_b32_e64 v22, v4, v10, s2
	v_cmp_gt_i32_e64 s2, 32, v11
	v_fmac_f32_e32 v41, v49, v24
	v_fmac_f32_e32 v18, v21, v26
	v_lshlrev_b32_e32 v21, 2, v22
	v_cndmask_b32_e64 v22, v4, v11, s2
	v_add_f32_e32 v18, v41, v18
	v_lshlrev_b32_e32 v22, 2, v22
	ds_bpermute_b32 v21, v21, v18
	s_waitcnt lgkmcnt(0)
	v_add_f32_e32 v18, v18, v21
	ds_bpermute_b32 v21, v22, v18
	s_and_saveexec_b32 s19, vcc_lo
	s_cbranch_execz .LBB110_10
; %bb.18:                               ;   in Loop: Header=BB110_12 Depth=1
	v_add_nc_u32_e32 v22, v12, v8
	s_waitcnt lgkmcnt(0)
	v_add_f32_e32 v18, v18, v21
	v_cvt_f32_i32_e32 v22, v22
	v_mul_f32_e32 v22, s36, v22
	v_cndmask_b32_e64 v21, 0, v22, s1
	v_max_f32_e32 v22, v5, v5
	v_fmac_f32_e32 v21, s29, v18
	v_add_nc_u32_e32 v18, v6, v8
	v_max_f32_e32 v22, v22, v21
	v_cmp_gt_i32_e64 s2, s31, v18
	v_cndmask_b32_e64 v18, 0, v21, s2
	v_cndmask_b32_e64 v5, v5, v22, s2
	ds_write_b32 v13, v18
	s_branch .LBB110_10
.LBB110_19:
	s_or_b32 exec_lo, exec_lo, s15
.LBB110_20:
	s_or_b32 exec_lo, exec_lo, s12
	v_xor_b32_e32 v1, 16, v4
	v_xor_b32_e32 v6, 8, v4
	s_waitcnt lgkmcnt(0)
	v_and_b32_e32 v21, 31, v0
	v_cmp_gt_i32_e32 vcc_lo, 32, v1
	v_cndmask_b32_e32 v1, v4, v1, vcc_lo
	v_cmp_gt_i32_e32 vcc_lo, 32, v6
	v_lshlrev_b32_e32 v1, 2, v1
	v_cndmask_b32_e32 v6, v4, v6, vcc_lo
	ds_bpermute_b32 v2, v1, v5
	v_max_f32_e32 v5, v5, v5
	s_waitcnt lgkmcnt(0)
	v_max_f32_e32 v7, v2, v2
	v_lshlrev_b32_e32 v2, 2, v6
	v_max_f32_e32 v5, v5, v7
	v_xor_b32_e32 v7, 4, v4
	ds_bpermute_b32 v6, v2, v5
	v_cmp_gt_i32_e32 vcc_lo, 32, v7
	v_cndmask_b32_e32 v7, v4, v7, vcc_lo
	v_cmp_eq_u32_e32 vcc_lo, 0, v21
	v_lshlrev_b32_e32 v7, 2, v7
	s_waitcnt lgkmcnt(0)
	v_max_f32_e32 v6, v6, v6
	v_max_f32_e32 v6, v5, v6
	v_lshlrev_b32_e32 v5, 2, v19
	ds_bpermute_b32 v8, v7, v6
	s_and_saveexec_b32 s1, vcc_lo
	s_cbranch_execz .LBB110_22
; %bb.21:
	s_waitcnt lgkmcnt(0)
	v_max_f32_e32 v8, v8, v8
	v_max_f32_e32 v6, v6, v6
	;; [unrolled: 1-line block ×3, first 2 shown]
	ds_write_b32 v5, v6 offset:160
.LBB110_22:
	s_or_b32 exec_lo, exec_lo, s1
	v_cmp_gt_u32_e64 s1, 4, v21
	v_mov_b32_e32 v9, 0xff7fffff
	v_lshlrev_b32_e32 v6, 2, v21
	s_waitcnt lgkmcnt(0)
	s_barrier
	buffer_gl0_inv
	s_and_saveexec_b32 s2, s1
; %bb.23:
	ds_read_b32 v9, v6 offset:160
; %bb.24:
	s_or_b32 exec_lo, exec_lo, s2
	v_xor_b32_e32 v8, 2, v4
	v_xor_b32_e32 v11, 1, v4
	v_lshl_add_u32 v22, v0, 2, 0xc0
	v_cmp_gt_i32_e64 s2, 32, v8
	v_cndmask_b32_e64 v8, v4, v8, s2
	v_cmp_gt_i32_e64 s2, 32, v11
	v_lshlrev_b32_e32 v8, 2, v8
	v_cndmask_b32_e64 v4, v4, v11, s2
	s_lshl_b32 s2, s35, 3
	s_min_i32 s4, s2, s31
	s_waitcnt lgkmcnt(0)
	ds_bpermute_b32 v10, v8, v9
	v_max_f32_e32 v9, v9, v9
	v_lshlrev_b32_e32 v4, 2, v4
	v_cmp_gt_i32_e64 s2, s4, v0
	s_waitcnt lgkmcnt(0)
	v_max_f32_e32 v10, v10, v10
	v_max_f32_e32 v9, v9, v10
	ds_bpermute_b32 v10, v4, v9
	s_waitcnt lgkmcnt(0)
	v_max_f32_e32 v10, v10, v10
	v_max_f32_e32 v10, v9, v10
	v_mov_b32_e32 v9, 0
	ds_bpermute_b32 v10, v9, v10
	s_and_saveexec_b32 s5, s2
	s_cbranch_execz .LBB110_28
; %bb.25:
	v_lshl_add_u32 v11, v0, 2, 0xc0
	v_mov_b32_e32 v9, 0
	v_mov_b32_e32 v12, v0
	s_mov_b32 s12, 0
	.p2align	6
.LBB110_26:                             ; =>This Inner Loop Header: Depth=1
	ds_read_b32 v13, v11
	v_add_nc_u32_e32 v12, 0x80, v12
	v_cmp_le_i32_e64 s3, s4, v12
	s_or_b32 s12, s3, s12
	s_waitcnt lgkmcnt(0)
	v_sub_f32_e32 v13, v13, v10
	v_mul_f32_e32 v13, 0x3fb8aa3b, v13
	v_exp_f32_e32 v13, v13
	ds_write_b32 v11, v13
	v_add_f32_e32 v9, v9, v13
	v_add_nc_u32_e32 v11, 0x200, v11
	s_andn2_b32 exec_lo, exec_lo, s12
	s_cbranch_execnz .LBB110_26
; %bb.27:
	s_or_b32 exec_lo, exec_lo, s12
.LBB110_28:
	s_or_b32 exec_lo, exec_lo, s5
	ds_bpermute_b32 v1, v1, v9
	s_waitcnt lgkmcnt(0)
	v_add_f32_e32 v1, v9, v1
	ds_bpermute_b32 v2, v2, v1
	s_waitcnt lgkmcnt(0)
	v_add_f32_e32 v1, v1, v2
	;; [unrolled: 3-line block ×5, first 2 shown]
	s_and_saveexec_b32 s3, vcc_lo
; %bb.29:
	ds_write_b32 v5, v1 offset:176
; %bb.30:
	s_or_b32 exec_lo, exec_lo, s3
	s_waitcnt lgkmcnt(0)
	s_barrier
	buffer_gl0_inv
	s_and_saveexec_b32 s3, s1
; %bb.31:
	ds_read_b32 v1, v6 offset:176
; %bb.32:
	s_or_b32 exec_lo, exec_lo, s3
	s_waitcnt lgkmcnt(0)
	ds_bpermute_b32 v2, v8, v1
	s_waitcnt lgkmcnt(0)
	v_add_f32_e32 v1, v1, v2
	ds_bpermute_b32 v2, v4, v1
	s_waitcnt lgkmcnt(0)
	v_add_f32_e32 v1, v1, v2
	v_mov_b32_e32 v2, 0
	ds_bpermute_b32 v1, v2, v1
	s_and_saveexec_b32 s1, s2
	s_cbranch_execz .LBB110_35
; %bb.33:
	s_waitcnt lgkmcnt(0)
	v_add_f32_e32 v2, 0x358637bd, v1
	s_mov_b32 s2, 0
	v_div_scale_f32 v1, null, v2, v2, 1.0
	v_div_scale_f32 v6, vcc_lo, 1.0, v2, 1.0
	v_rcp_f32_e32 v4, v1
	v_fma_f32 v5, -v1, v4, 1.0
	v_fmac_f32_e32 v4, v5, v4
	v_mul_f32_e32 v5, v6, v4
	v_fma_f32 v7, -v1, v5, v6
	v_fmac_f32_e32 v5, v7, v4
	v_fma_f32 v1, -v1, v5, v6
	v_div_fmas_f32 v4, v1, v4, v5
	v_mov_b32_e32 v1, v22
	v_div_fixup_f32 v2, v4, v2, 1.0
	v_mov_b32_e32 v4, v0
.LBB110_34:                             ; =>This Inner Loop Header: Depth=1
	ds_read_b32 v5, v1
	v_add_nc_u32_e32 v4, 0x80, v4
	v_cmp_le_i32_e32 vcc_lo, s4, v4
	s_or_b32 s2, vcc_lo, s2
	s_waitcnt lgkmcnt(0)
	v_mul_f32_e32 v5, v2, v5
	ds_write_b32 v1, v5
	v_add_nc_u32_e32 v1, 0x200, v1
	s_andn2_b32 exec_lo, exec_lo, s2
	s_cbranch_execnz .LBB110_34
.LBB110_35:
	s_or_b32 exec_lo, exec_lo, s1
	v_mov_b32_e32 v25, 0
	v_or_b32_e32 v26, 64, v21
	v_mov_b32_e32 v24, 0
	v_mov_b32_e32 v23, 0
	s_waitcnt lgkmcnt(0)
	s_barrier
	buffer_gl0_inv
	s_and_saveexec_b32 s29, s0
	s_cbranch_execz .LBB110_49
; %bb.36:
	s_ashr_i32 s15, s14, 31
	s_sub_i32 s36, s9, s17
	s_lshl_b64 s[0:1], s[14:15], 1
	v_lshlrev_b32_e32 v2, 3, v21
	s_add_u32 s26, s26, s0
	s_addc_u32 s27, s27, s1
	s_abs_i32 s37, s18
	v_and_b32_e32 v3, 0x7c, v3
	v_cvt_f32_u32_e32 v1, s37
	s_sub_i32 s1, 0, s37
	v_lshlrev_b32_e32 v29, 1, v2
	s_lshl_b64 s[2:3], s[6:7], 2
	v_lshlrev_b32_e32 v4, 3, v26
	v_rcp_iflag_f32_e32 v1, v1
	s_add_i32 s38, s35, -1
	v_mov_b32_e32 v27, 0
	v_cmp_gt_u32_e64 s0, 0x50, v26
	v_lshl_add_u32 v28, v19, 5, 0xc0
	v_mov_b32_e32 v23, 0
	v_mov_b32_e32 v24, 0
	;; [unrolled: 1-line block ×3, first 2 shown]
	v_lshlrev_b32_e32 v30, 1, v4
	v_mov_b32_e32 v32, v19
	v_mul_f32_e32 v1, 0x4f7ffffe, v1
	s_mov_b32 s39, s13
	s_mov_b32 s41, s31
	;; [unrolled: 1-line block ×3, first 2 shown]
	v_cvt_u32_f32_e32 v1, v1
	v_mul_lo_u32 v5, s1, v1
	s_add_u32 s1, s10, s2
	s_addc_u32 s2, s11, s3
	v_add_co_u32 v17, s1, s1, v3
	v_add_co_ci_u32_e64 v18, null, s2, 0, s1
	v_mul_hi_u32 v2, v1, v5
	v_add_nc_u32_e32 v31, v1, v2
	s_branch .LBB110_40
.LBB110_37:                             ;   in Loop: Header=BB110_40 Depth=1
	s_or_b32 exec_lo, exec_lo, s44
	v_perm_b32 v11, v42, v41, 0x7060302
	s_waitcnt vmcnt(0)
	v_and_b32_e32 v41, 0xffff0000, v1
	v_perm_b32 v12, v44, v43, 0x7060302
	v_lshlrev_b32_e32 v1, 16, v1
	v_and_b32_e32 v43, 0xffff0000, v2
	v_and_b32_e32 v42, 0xffff0000, v11
	v_lshlrev_b32_e32 v11, 16, v11
	v_lshlrev_b32_e32 v2, 16, v2
	v_perm_b32 v33, v46, v45, 0x7060302
	v_perm_b32 v34, v48, v47, 0x7060302
	v_mul_f32_e32 v41, v42, v41
	v_and_b32_e32 v42, 0xffff0000, v12
	v_lshlrev_b32_e32 v12, 16, v12
	v_mul_f32_e32 v1, v11, v1
	v_and_b32_e32 v11, 0xffff0000, v3
	v_bfe_u32 v44, v41, 16, 1
	v_mul_f32_e32 v42, v42, v43
	v_mul_f32_e32 v2, v12, v2
	v_bfe_u32 v12, v1, 16, 1
	v_or_b32_e32 v43, 0x400000, v41
	v_add3_u32 v44, v44, v41, 0x7fff
	v_cmp_u_f32_e32 vcc_lo, v41, v41
	v_or_b32_e32 v45, 0x400000, v1
	v_bfe_u32 v46, v42, 16, 1
	v_add3_u32 v12, v12, v1, 0x7fff
	v_lshlrev_b32_e32 v3, 16, v3
	v_cndmask_b32_e32 v41, v44, v43, vcc_lo
	v_and_b32_e32 v43, 0xffff0000, v33
	v_cmp_u_f32_e32 vcc_lo, v1, v1
	v_or_b32_e32 v44, 0x400000, v42
	v_lshlrev_b32_e32 v33, 16, v33
	v_and_b32_e32 v41, 0xffff0000, v41
	v_mul_f32_e32 v11, v43, v11
	v_cndmask_b32_e32 v1, v12, v45, vcc_lo
	v_add3_u32 v12, v46, v42, 0x7fff
	v_bfe_u32 v45, v2, 16, 1
	v_cmp_u_f32_e32 vcc_lo, v42, v42
	v_or_b32_e32 v43, 0x400000, v2
	v_mul_f32_e32 v3, v33, v3
	v_and_b32_e32 v33, 0xffff0000, v4
	v_add3_u32 v42, v45, v2, 0x7fff
	v_cndmask_b32_e32 v12, v12, v44, vcc_lo
	v_bfe_u32 v44, v11, 16, 1
	v_and_b32_e32 v45, 0xffff0000, v34
	v_lshlrev_b32_e32 v4, 16, v4
	v_lshlrev_b32_e32 v34, 16, v34
	v_cmp_u_f32_e32 vcc_lo, v2, v2
	v_and_b32_e32 v1, 0xffff0000, v1
	v_mul_f32_e32 v33, v45, v33
	v_and_b32_e32 v12, 0xffff0000, v12
	v_mul_f32_e32 v4, v34, v4
	v_cndmask_b32_e32 v2, v42, v43, vcc_lo
	v_bfe_u32 v42, v3, 16, 1
	v_add3_u32 v43, v44, v11, 0x7fff
	v_or_b32_e32 v34, 0x400000, v11
	v_cmp_u_f32_e32 vcc_lo, v11, v11
	v_or_b32_e32 v44, 0x400000, v3
	v_add3_u32 v42, v42, v3, 0x7fff
	v_bfe_u32 v46, v4, 16, 1
	v_bfe_u32 v45, v33, 16, 1
	v_cndmask_b32_e32 v11, v43, v34, vcc_lo
	v_cmp_u_f32_e32 vcc_lo, v3, v3
	v_or_b32_e32 v43, 0x400000, v4
	v_and_b32_e32 v2, 0xffff0000, v2
	v_add3_u32 v34, v45, v33, 0x7fff
	v_add_f32_e32 v1, v1, v41
	v_cndmask_b32_e32 v3, v42, v44, vcc_lo
	v_add3_u32 v42, v46, v4, 0x7fff
	v_cmp_u_f32_e32 vcc_lo, v4, v4
	v_or_b32_e32 v44, 0x400000, v33
	v_add_f32_e32 v2, v2, v12
	v_and_b32_e32 v3, 0xffff0000, v3
	v_and_b32_e32 v11, 0xffff0000, v11
	v_cndmask_b32_e32 v4, v42, v43, vcc_lo
	v_cmp_u_f32_e32 vcc_lo, v33, v33
	v_add_f32_e32 v1, v2, v1
	v_add_f32_e32 v2, v3, v11
	v_and_b32_e32 v3, 0xffff0000, v4
	v_cndmask_b32_e32 v12, v34, v44, vcc_lo
	v_add_f32_e32 v1, v2, v1
	v_and_b32_e32 v4, 0xffff0000, v12
	v_add_f32_e32 v2, v3, v4
	v_add_f32_e32 v1, v2, v1
	v_add_f32_e32 v23, v23, v1
.LBB110_38:                             ;   in Loop: Header=BB110_40 Depth=1
	s_or_b32 exec_lo, exec_lo, s43
	v_bfe_u32 v1, v16, 16, 1
	v_bfe_u32 v2, v40, 16, 1
	v_or_b32_e32 v3, 0x400000, v16
	v_or_b32_e32 v4, 0x400000, v40
	v_bfe_u32 v11, v39, 16, 1
	v_add3_u32 v1, v1, v16, 0x7fff
	v_add3_u32 v2, v2, v40, 0x7fff
	v_bfe_u32 v12, v38, 16, 1
	v_bfe_u32 v16, v37, 16, 1
	v_or_b32_e32 v33, 0x400000, v37
	v_cndmask_b32_e64 v1, v1, v3, s11
	v_cndmask_b32_e64 v2, v2, v4, s18
	v_add3_u32 v3, v11, v39, 0x7fff
	v_or_b32_e32 v4, 0x400000, v39
	v_add3_u32 v11, v12, v38, 0x7fff
	v_or_b32_e32 v12, 0x400000, v38
	v_add3_u32 v16, v16, v37, 0x7fff
	v_bfe_u32 v34, v15, 16, 1
	v_cndmask_b32_e64 v3, v3, v4, s17
	v_and_b32_e32 v2, 0xffff0000, v2
	v_cndmask_b32_e64 v11, v11, v12, s13
	v_and_b32_e32 v1, 0xffff0000, v1
	v_cndmask_b32_e64 v12, v16, v33, s14
	v_and_b32_e32 v3, 0xffff0000, v3
	v_add3_u32 v16, v34, v15, 0x7fff
	v_and_b32_e32 v11, 0xffff0000, v11
	v_or_b32_e32 v15, 0x400000, v15
	v_add_f32_e32 v1, v2, v1
	v_and_b32_e32 v12, 0xffff0000, v12
	v_bfe_u32 v33, v35, 16, 1
	v_add_f32_e32 v2, v11, v3
	v_cndmask_b32_e64 v3, v16, v15, s10
	v_bfe_u32 v15, v14, 16, 1
	v_bfe_u32 v16, v8, 16, 1
	v_add3_u32 v33, v33, v35, 0x7fff
	v_add_f32_e32 v1, v2, v1
	v_bfe_u32 v2, v13, 16, 1
	v_and_b32_e32 v3, 0xffff0000, v3
	v_add3_u32 v15, v15, v14, 0x7fff
	v_or_b32_e32 v14, 0x400000, v14
	v_or_b32_e32 v35, 0x400000, v35
	v_add3_u32 v2, v2, v13, 0x7fff
	v_or_b32_e32 v13, 0x400000, v13
	v_add_f32_e32 v3, v3, v12
	v_bfe_u32 v12, v7, 16, 1
	v_cndmask_b32_e64 v14, v15, v14, s7
	v_bfe_u32 v15, v9, 16, 1
	v_cndmask_b32_e64 v2, v2, v13, s9
	v_bfe_u32 v13, v10, 16, 1
	v_add3_u32 v12, v12, v7, 0x7fff
	v_or_b32_e32 v7, 0x400000, v7
	v_bfe_u32 v4, v36, 16, 1
	v_cndmask_b32_e64 v11, v33, v35, s16
	v_add3_u32 v13, v13, v10, 0x7fff
	v_or_b32_e32 v10, 0x400000, v10
	v_add3_u32 v15, v15, v9, 0x7fff
	v_or_b32_e32 v9, 0x400000, v9
	;; [unrolled: 2-line block ×3, first 2 shown]
	v_bfe_u32 v33, v6, 16, 1
	v_cndmask_b32_e64 v7, v12, v7, s3
	v_cndmask_b32_e64 v10, v13, v10, s4
	v_bfe_u32 v13, v5, 16, 1
	v_add3_u32 v4, v4, v36, 0x7fff
	v_or_b32_e32 v34, 0x400000, v36
	v_cndmask_b32_e64 v9, v15, v9, s5
	v_cndmask_b32_e64 v8, v16, v8, s6
	v_add3_u32 v12, v33, v6, 0x7fff
	v_and_b32_e32 v2, 0xffff0000, v2
	v_and_b32_e32 v14, 0xffff0000, v14
	;; [unrolled: 1-line block ×4, first 2 shown]
	v_or_b32_e32 v6, 0x400000, v6
	v_add3_u32 v13, v13, v5, 0x7fff
	v_or_b32_e32 v5, 0x400000, v5
	v_cndmask_b32_e64 v4, v4, v34, s15
	v_add_f32_e32 v2, v2, v14
	v_add_f32_e32 v7, v10, v7
	v_and_b32_e32 v8, 0xffff0000, v8
	v_and_b32_e32 v9, 0xffff0000, v9
	v_cndmask_b32_e64 v5, v13, v5, s2
	v_cndmask_b32_e64 v6, v12, v6, s1
	v_and_b32_e32 v11, 0xffff0000, v11
	v_and_b32_e32 v4, 0xffff0000, v4
	v_add_f32_e32 v2, v7, v2
	v_add_f32_e32 v7, v8, v9
	v_and_b32_e32 v5, 0xffff0000, v5
	v_and_b32_e32 v6, 0xffff0000, v6
	v_add_f32_e32 v1, v3, v1
	v_add_f32_e32 v3, v11, v4
	;; [unrolled: 1-line block ×8, first 2 shown]
.LBB110_39:                             ;   in Loop: Header=BB110_40 Depth=1
	s_or_b32 exec_lo, exec_lo, s42
	v_add_nc_u32_e32 v32, 4, v32
	v_add_co_u32 v17, s1, v17, 16
	v_add_co_ci_u32_e64 v18, null, 0, v18, s1
	v_cmp_le_i32_e32 vcc_lo, s35, v32
	v_add_nc_u32_e32 v20, 32, v20
	v_add_nc_u32_e32 v28, 0x80, v28
	s_or_b32 s40, vcc_lo, s40
	s_andn2_b32 exec_lo, exec_lo, s40
	s_cbranch_execz .LBB110_48
.LBB110_40:                             ; =>This Inner Loop Header: Depth=1
	v_mul_hi_u32 v1, v20, s33
	v_mul_lo_u32 v2, v1, s23
	v_add_nc_u32_e32 v3, 1, v1
	v_sub_nc_u32_e32 v2, v20, v2
	v_subrev_nc_u32_e32 v4, s23, v2
	v_cmp_le_u32_e32 vcc_lo, s23, v2
	v_cndmask_b32_e32 v1, v1, v3, vcc_lo
	v_cndmask_b32_e32 v2, v2, v4, vcc_lo
	v_add_nc_u32_e32 v3, 1, v1
	v_cmp_le_u32_e32 vcc_lo, s23, v2
	v_cndmask_b32_e32 v1, v1, v3, vcc_lo
	v_xor_b32_e32 v1, s28, v1
	v_subrev_nc_u32_e32 v1, s28, v1
	v_add_nc_u32_e32 v2, s34, v1
	v_cmp_lt_i32_e64 s1, s36, v1
	v_sub_nc_u32_e32 v3, 0, v2
	v_max_i32_e32 v3, v2, v3
	v_ashrrev_i32_e32 v2, 31, v2
	v_mul_hi_u32 v4, v3, v31
	v_mul_lo_u32 v4, v4, s37
	v_sub_nc_u32_e32 v3, v3, v4
	v_subrev_nc_u32_e32 v4, s37, v3
	v_cmp_le_u32_e32 vcc_lo, s37, v3
	v_cndmask_b32_e32 v3, v3, v4, vcc_lo
	v_subrev_nc_u32_e32 v4, s37, v3
	v_cmp_le_u32_e32 vcc_lo, s37, v3
	v_cndmask_b32_e32 v3, v3, v4, vcc_lo
	v_xor_b32_e32 v3, v3, v2
	v_sub_nc_u32_e32 v2, v3, v2
	v_cmp_eq_u32_e32 vcc_lo, 0, v2
	s_or_b32 s1, vcc_lo, s1
	s_and_saveexec_b32 s42, s1
	s_cbranch_execz .LBB110_39
; %bb.41:                               ;   in Loop: Header=BB110_40 Depth=1
	global_load_dword v1, v[17:18], off
	v_cmp_eq_u32_e64 s12, s38, v32
	s_waitcnt vmcnt(0)
	v_mad_i64_i32 v[1:2], null, v1, s39, 0
	v_lshlrev_b64 v[1:2], 1, v[1:2]
	v_add_co_u32 v33, vcc_lo, s26, v1
	v_add_co_ci_u32_e64 v34, null, s27, v2, vcc_lo
	v_add_co_u32 v9, vcc_lo, v33, v29
	v_add_co_ci_u32_e64 v10, null, 0, v34, vcc_lo
	global_load_dwordx4 v[1:4], v[9:10], off
	ds_read2_b64 v[13:16], v28 offset1:1
	ds_read2_b64 v[5:8], v28 offset0:2 offset1:3
	s_and_saveexec_b32 s3, s12
	s_cbranch_execz .LBB110_43
; %bb.42:                               ;   in Loop: Header=BB110_40 Depth=1
	v_add_nc_u32_e32 v11, 1, v20
	v_or_b32_e32 v12, 3, v20
	v_cmp_gt_i32_e32 vcc_lo, s31, v20
	v_or_b32_e32 v35, 2, v20
	v_or_b32_e32 v37, 7, v20
	v_cmp_gt_i32_e64 s1, s41, v12
	s_waitcnt vmcnt(0)
	v_cndmask_b32_e32 v36, 0, v1, vcc_lo
	v_cmp_gt_i32_e32 vcc_lo, s41, v11
	v_cmp_gt_i32_e64 s2, s31, v35
	v_or_b32_e32 v12, 5, v20
	v_or_b32_e32 v35, 4, v20
	v_cndmask_b32_sdwa v1, v27, v1, vcc_lo dst_sel:DWORD dst_unused:UNUSED_PAD src0_sel:DWORD src1_sel:WORD_1
	s_mov_b32 vcc_lo, s1
	v_cndmask_b32_e64 v11, 0, v2, s2
	v_cndmask_b32_sdwa v2, v27, v2, vcc_lo dst_sel:DWORD dst_unused:UNUSED_PAD src0_sel:DWORD src1_sel:WORD_1
	v_cmp_gt_i32_e32 vcc_lo, s41, v12
	v_cmp_gt_i32_e64 s1, s31, v35
	v_or_b32_e32 v35, 6, v20
	v_perm_b32 v1, v1, v36, 0x5040100
	v_perm_b32 v2, v2, v11, 0x5040100
	v_cndmask_b32_e64 v12, 0, v3, s1
	v_cmp_gt_i32_e64 s1, s41, v37
	v_cndmask_b32_sdwa v3, v27, v3, vcc_lo dst_sel:DWORD dst_unused:UNUSED_PAD src0_sel:DWORD src1_sel:WORD_1
	v_cmp_gt_i32_e32 vcc_lo, s31, v35
	v_perm_b32 v3, v3, v12, 0x5040100
	v_cndmask_b32_e32 v35, 0, v4, vcc_lo
	s_mov_b32 vcc_lo, s1
	v_cndmask_b32_sdwa v4, v27, v4, vcc_lo dst_sel:DWORD dst_unused:UNUSED_PAD src0_sel:DWORD src1_sel:WORD_1
	v_perm_b32 v4, v4, v35, 0x5040100
.LBB110_43:                             ;   in Loop: Header=BB110_40 Depth=1
	s_or_b32 exec_lo, exec_lo, s3
	global_load_dwordx4 v[9:12], v[9:10], off offset:512
	s_and_saveexec_b32 s3, s12
	s_cbranch_execz .LBB110_45
; %bb.44:                               ;   in Loop: Header=BB110_40 Depth=1
	v_add_nc_u32_e32 v35, 1, v20
	v_or_b32_e32 v36, 3, v20
	v_cmp_gt_i32_e32 vcc_lo, s31, v20
	v_or_b32_e32 v37, 2, v20
	v_or_b32_e32 v39, 7, v20
	v_cmp_gt_i32_e64 s1, s41, v36
	s_waitcnt vmcnt(0)
	v_cndmask_b32_e32 v38, 0, v9, vcc_lo
	v_cmp_gt_i32_e32 vcc_lo, s41, v35
	v_cmp_gt_i32_e64 s2, s31, v37
	v_or_b32_e32 v36, 5, v20
	v_or_b32_e32 v37, 4, v20
	v_cndmask_b32_sdwa v9, v27, v9, vcc_lo dst_sel:DWORD dst_unused:UNUSED_PAD src0_sel:DWORD src1_sel:WORD_1
	s_mov_b32 vcc_lo, s1
	v_cndmask_b32_e64 v35, 0, v10, s2
	v_cndmask_b32_sdwa v10, v27, v10, vcc_lo dst_sel:DWORD dst_unused:UNUSED_PAD src0_sel:DWORD src1_sel:WORD_1
	v_cmp_gt_i32_e32 vcc_lo, s41, v36
	v_cmp_gt_i32_e64 s1, s31, v37
	v_or_b32_e32 v37, 6, v20
	v_perm_b32 v9, v9, v38, 0x5040100
	v_perm_b32 v10, v10, v35, 0x5040100
	v_cndmask_b32_e64 v36, 0, v11, s1
	v_cmp_gt_i32_e64 s1, s41, v39
	v_cndmask_b32_sdwa v11, v27, v11, vcc_lo dst_sel:DWORD dst_unused:UNUSED_PAD src0_sel:DWORD src1_sel:WORD_1
	v_cmp_gt_i32_e32 vcc_lo, s31, v37
	v_perm_b32 v11, v11, v36, 0x5040100
	v_cndmask_b32_e32 v37, 0, v12, vcc_lo
	s_mov_b32 vcc_lo, s1
	v_cndmask_b32_sdwa v12, v27, v12, vcc_lo dst_sel:DWORD dst_unused:UNUSED_PAD src0_sel:DWORD src1_sel:WORD_1
	v_perm_b32 v12, v12, v37, 0x5040100
.LBB110_45:                             ;   in Loop: Header=BB110_40 Depth=1
	s_or_b32 exec_lo, exec_lo, s3
	s_waitcnt lgkmcnt(1)
	v_bfe_u32 v35, v13, 16, 1
	v_or_b32_e32 v36, 0x400000, v13
	v_bfe_u32 v37, v14, 16, 1
	v_cmp_u_f32_e32 vcc_lo, v13, v13
	v_bfe_u32 v38, v15, 16, 1
	v_add3_u32 v35, v35, v13, 0x7fff
	v_or_b32_e32 v39, 0x400000, v14
	v_add3_u32 v37, v37, v14, 0x7fff
	v_or_b32_e32 v40, 0x400000, v15
	v_add3_u32 v38, v38, v15, 0x7fff
	v_cndmask_b32_e32 v41, v35, v36, vcc_lo
	v_cmp_u_f32_e32 vcc_lo, v14, v14
	v_bfe_u32 v13, v16, 16, 1
	s_waitcnt lgkmcnt(0)
	v_bfe_u32 v14, v5, 16, 1
	v_bfe_u32 v35, v6, 16, 1
	v_or_b32_e32 v36, 0x400000, v5
	v_cndmask_b32_e32 v42, v37, v39, vcc_lo
	v_cmp_u_f32_e32 vcc_lo, v15, v15
	v_add3_u32 v13, v13, v16, 0x7fff
	v_or_b32_e32 v15, 0x400000, v16
	v_add3_u32 v14, v14, v5, 0x7fff
	s_waitcnt vmcnt(0)
	v_and_b32_e32 v51, 0xffff0000, v10
	v_cndmask_b32_e32 v43, v38, v40, vcc_lo
	v_cmp_u_f32_e32 vcc_lo, v16, v16
	v_cndmask_b32_e32 v44, v13, v15, vcc_lo
	v_cmp_u_f32_e32 vcc_lo, v5, v5
	v_add3_u32 v13, v35, v6, 0x7fff
	v_or_b32_e32 v15, 0x400000, v6
	v_bfe_u32 v5, v7, 16, 1
	v_or_b32_e32 v35, 0x400000, v8
	v_cndmask_b32_e32 v45, v14, v36, vcc_lo
	v_cmp_u_f32_e32 vcc_lo, v6, v6
	v_bfe_u32 v6, v8, 16, 1
	v_add3_u32 v5, v5, v7, 0x7fff
	v_and_b32_e32 v14, 0xffff0000, v1
	v_lshlrev_b32_e32 v1, 16, v1
	v_cndmask_b32_e32 v46, v13, v15, vcc_lo
	v_or_b32_e32 v15, 0x400000, v7
	v_cmp_u_f32_e32 vcc_lo, v7, v7
	v_and_b32_e32 v13, 0xffff0000, v42
	v_add3_u32 v6, v6, v8, 0x7fff
	v_and_b32_e32 v7, 0xffff0000, v2
	v_lshlrev_b32_e32 v2, 16, v2
	v_cndmask_b32_e32 v47, v5, v15, vcc_lo
	v_cmp_u_f32_e32 vcc_lo, v8, v8
	v_mul_f32_e32 v16, v13, v14
	v_and_b32_e32 v5, 0xffff0000, v41
	v_and_b32_e32 v8, 0xffff0000, v43
	;; [unrolled: 1-line block ×3, first 2 shown]
	v_cndmask_b32_e32 v48, v6, v35, vcc_lo
	v_and_b32_e32 v6, 0xffff0000, v44
	v_and_b32_e32 v50, 0xffff0000, v45
	v_lshlrev_b32_e32 v3, 16, v3
	v_and_b32_e32 v49, 0xffff0000, v46
	v_mul_f32_e32 v40, v5, v1
	v_mul_f32_e32 v39, v6, v7
	;; [unrolled: 1-line block ×4, first 2 shown]
	v_and_b32_e32 v1, 0xffff0000, v48
	v_and_b32_e32 v2, 0xffff0000, v4
	v_and_b32_e32 v3, 0xffff0000, v47
	v_lshlrev_b32_e32 v4, 16, v4
	v_and_b32_e32 v7, 0xffff0000, v9
	v_lshlrev_b32_e32 v9, 16, v9
	v_mul_f32_e32 v37, v49, v14
	v_mul_f32_e32 v36, v1, v2
	;; [unrolled: 1-line block ×6, first 2 shown]
	v_lshlrev_b32_e32 v2, 16, v10
	v_and_b32_e32 v4, 0xffff0000, v11
	v_lshlrev_b32_e32 v5, 16, v11
	v_and_b32_e32 v6, 0xffff0000, v12
	v_lshlrev_b32_e32 v11, 16, v12
	v_mul_f32_e32 v10, v8, v2
	v_mul_f32_e32 v9, v49, v4
	;; [unrolled: 1-line block ×5, first 2 shown]
	v_cmp_u_f32_e64 s11, v16, v16
	v_cmp_u_f32_e64 s18, v40, v40
	;; [unrolled: 1-line block ×16, first 2 shown]
	s_and_saveexec_b32 s43, s0
	s_cbranch_execz .LBB110_38
; %bb.46:                               ;   in Loop: Header=BB110_40 Depth=1
	v_add_co_u32 v1, vcc_lo, v33, v30
	v_add_co_ci_u32_e64 v2, null, 0, v34, vcc_lo
	global_load_dwordx4 v[1:4], v[1:2], off
	s_and_saveexec_b32 s44, s12
	s_cbranch_execz .LBB110_37
; %bb.47:                               ;   in Loop: Header=BB110_40 Depth=1
	v_add_nc_u32_e32 v11, 1, v20
	v_or_b32_e32 v12, 3, v20
	v_cmp_gt_i32_e32 vcc_lo, s31, v20
	v_or_b32_e32 v33, 2, v20
	v_or_b32_e32 v49, 7, v20
	v_cmp_gt_i32_e64 s12, s41, v12
	s_waitcnt vmcnt(0)
	v_cndmask_b32_e32 v34, 0, v1, vcc_lo
	v_cmp_gt_i32_e32 vcc_lo, s41, v11
	v_cmp_gt_i32_e64 s19, s31, v33
	v_or_b32_e32 v12, 5, v20
	v_or_b32_e32 v33, 4, v20
	v_cndmask_b32_sdwa v1, v27, v1, vcc_lo dst_sel:DWORD dst_unused:UNUSED_PAD src0_sel:DWORD src1_sel:WORD_1
	s_mov_b32 vcc_lo, s12
	v_cndmask_b32_e64 v11, 0, v2, s19
	v_cndmask_b32_sdwa v2, v27, v2, vcc_lo dst_sel:DWORD dst_unused:UNUSED_PAD src0_sel:DWORD src1_sel:WORD_1
	v_cmp_gt_i32_e32 vcc_lo, s41, v12
	v_cmp_gt_i32_e64 s12, s31, v33
	v_or_b32_e32 v33, 6, v20
	v_perm_b32 v1, v1, v34, 0x5040100
	v_perm_b32 v2, v2, v11, 0x5040100
	v_cndmask_b32_e64 v12, 0, v3, s12
	v_cmp_gt_i32_e64 s12, s41, v49
	v_cndmask_b32_sdwa v3, v27, v3, vcc_lo dst_sel:DWORD dst_unused:UNUSED_PAD src0_sel:DWORD src1_sel:WORD_1
	v_cmp_gt_i32_e32 vcc_lo, s31, v33
	v_perm_b32 v3, v3, v12, 0x5040100
	v_cndmask_b32_e32 v33, 0, v4, vcc_lo
	s_mov_b32 vcc_lo, s12
	v_cndmask_b32_sdwa v4, v27, v4, vcc_lo dst_sel:DWORD dst_unused:UNUSED_PAD src0_sel:DWORD src1_sel:WORD_1
	v_perm_b32 v4, v4, v33, 0x5040100
	s_branch .LBB110_37
.LBB110_48:
	s_or_b32 exec_lo, exec_lo, s40
.LBB110_49:
	s_or_b32 exec_lo, exec_lo, s29
	s_movk_i32 s0, 0x140
	v_and_b32_e32 v2, 0x3c0, v0
	v_mad_u32_u24 v1, v19, s0, 0xc0
	s_mov_b32 s0, exec_lo
	s_barrier
	buffer_gl0_inv
	v_cmpx_eq_u32_e32 64, v2
	s_cbranch_execz .LBB110_52
; %bb.50:
	v_add_nc_u32_e32 v2, 0xfffffd80, v1
	v_cmp_gt_u32_e32 vcc_lo, 0x50, v26
	v_lshl_add_u32 v3, v21, 2, v2
	ds_write2_b32 v3, v25, v24 offset1:32
	s_and_b32 exec_lo, exec_lo, vcc_lo
; %bb.51:
	v_lshl_add_u32 v2, v26, 2, v2
	ds_write_b32 v2, v23
.LBB110_52:
	s_or_b32 exec_lo, exec_lo, s0
	v_lshl_add_u32 v3, v21, 2, v1
	s_mov_b32 s0, exec_lo
	s_waitcnt lgkmcnt(0)
	s_barrier
	buffer_gl0_inv
	v_cmpx_gt_u32_e32 64, v0
	s_cbranch_execz .LBB110_56
; %bb.53:
	v_lshl_or_b32 v2, v0, 2, 0x80
	s_mov_b32 s1, exec_lo
	v_add_nc_u32_e32 v4, v1, v2
	ds_read_b32 v2, v3
	ds_read_b32 v4, v4
	v_cmpx_gt_u32_e32 0x50, v26
	s_cbranch_execz .LBB110_55
; %bb.54:
	ds_read_b32 v5, v3 offset:256
	s_waitcnt lgkmcnt(0)
	v_add_f32_e32 v23, v23, v5
.LBB110_55:
	s_or_b32 exec_lo, exec_lo, s1
	s_waitcnt lgkmcnt(1)
	v_add_f32_e32 v25, v25, v2
	s_waitcnt lgkmcnt(0)
	v_add_f32_e32 v24, v24, v4
.LBB110_56:
	s_or_b32 exec_lo, exec_lo, s0
	v_and_b32_e32 v2, 0x3e0, v0
	s_mov_b32 s0, exec_lo
	s_barrier
	buffer_gl0_inv
	v_cmpx_eq_u32_e32 32, v2
	s_cbranch_execz .LBB110_59
; %bb.57:
	v_lshl_add_u32 v2, v21, 2, 0xc0
	v_cmp_gt_u32_e32 vcc_lo, 0x50, v26
	ds_write_b32 v2, v25
	ds_write_b32 v22, v24
	s_and_b32 exec_lo, exec_lo, vcc_lo
; %bb.58:
	ds_write_b32 v2, v23 offset:256
.LBB110_59:
	s_or_b32 exec_lo, exec_lo, s0
	v_cmp_gt_u32_e32 vcc_lo, 32, v0
	v_or_b32_e32 v2, 64, v0
	s_waitcnt lgkmcnt(0)
	s_barrier
	buffer_gl0_inv
	s_and_saveexec_b32 s1, vcc_lo
	s_cbranch_execz .LBB110_63
; %bb.60:
	v_lshl_add_u32 v4, v0, 2, v1
	s_mov_b32 s2, exec_lo
	ds_read_b32 v1, v3
	ds_read_b32 v3, v4 offset:128
	v_cmpx_gt_u32_e32 0x50, v2
	s_cbranch_execz .LBB110_62
; %bb.61:
	ds_read_b32 v4, v4 offset:256
	s_waitcnt lgkmcnt(0)
	v_add_f32_e32 v23, v23, v4
.LBB110_62:
	s_or_b32 exec_lo, exec_lo, s2
	s_waitcnt lgkmcnt(1)
	v_add_f32_e32 v25, v25, v1
	s_waitcnt lgkmcnt(0)
	v_add_f32_e32 v24, v24, v3
.LBB110_63:
	s_or_b32 exec_lo, exec_lo, s1
	s_barrier
	buffer_gl0_inv
	s_and_saveexec_b32 s0, vcc_lo
	s_cbranch_execz .LBB110_66
; %bb.64:
	s_mul_i32 s0, s20, s21
	v_bfe_u32 v1, v25, 16, 1
	s_mul_i32 s0, s0, s30
	v_or_b32_e32 v3, 0x400000, v25
	s_mulk_i32 s0, 0x50
	v_bfe_u32 v4, v24, 16, 1
	s_ashr_i32 s1, s0, 31
	v_add3_u32 v1, v1, v25, 0x7fff
	s_lshl_b64 s[0:1], s[0:1], 1
	v_cmp_u_f32_e32 vcc_lo, v25, v25
	s_mul_i32 s2, s21, s22
	s_add_u32 s5, s24, s0
	s_addc_u32 s6, s25, s1
	s_ashr_i32 s3, s2, 31
	v_add3_u32 v4, v4, v24, 0x7fff
	s_lshl_b64 s[0:1], s[2:3], 1
	v_or_b32_e32 v5, 0x400000, v24
	v_cndmask_b32_e32 v1, v1, v3, vcc_lo
	v_cmp_u_f32_e32 vcc_lo, v24, v24
	s_mul_i32 s4, s8, 0x50
	s_add_u32 s2, s5, s0
	s_addc_u32 s3, s6, s1
	s_ashr_i32 s5, s4, 31
	v_lshlrev_b32_e32 v0, 1, v0
	s_lshl_b64 s[0:1], s[4:5], 1
	v_cndmask_b32_e32 v3, v4, v5, vcc_lo
	v_cmp_gt_u32_e32 vcc_lo, 0x50, v2
	s_add_u32 s0, s2, s0
	s_addc_u32 s1, s3, s1
	global_store_short_d16_hi v0, v1, s[0:1]
	global_store_short_d16_hi v0, v3, s[0:1] offset:64
	s_and_b32 exec_lo, exec_lo, vcc_lo
	s_cbranch_execz .LBB110_66
; %bb.65:
	v_bfe_u32 v1, v23, 16, 1
	v_or_b32_e32 v2, 0x400000, v23
	v_cmp_u_f32_e32 vcc_lo, v23, v23
	v_add_co_u32 v0, s0, s0, v0
	v_add3_u32 v3, v1, v23, 0x7fff
	v_add_co_ci_u32_e64 v1, null, s1, 0, s0
	v_cndmask_b32_e32 v2, v3, v2, vcc_lo
	global_store_short_d16_hi v[0:1], v2, off offset:128
.LBB110_66:
	s_endpgm
	.section	.rodata,"a",@progbits
	.p2align	6, 0x0
	.amdhsa_kernel _ZN4vllm25paged_attention_v1_kernelI14__hip_bfloat16S1_Li80ELi8ELi128ELNS_18Fp8KVCacheDataTypeE0ELb1EEEvPT_PKS3_PKT0_S9_ifPKiSB_iPKfiiiSD_SD_iiiii
		.amdhsa_group_segment_fixed_size 192
		.amdhsa_private_segment_fixed_size 0
		.amdhsa_kernarg_size 384
		.amdhsa_user_sgpr_count 6
		.amdhsa_user_sgpr_private_segment_buffer 1
		.amdhsa_user_sgpr_dispatch_ptr 0
		.amdhsa_user_sgpr_queue_ptr 0
		.amdhsa_user_sgpr_kernarg_segment_ptr 1
		.amdhsa_user_sgpr_dispatch_id 0
		.amdhsa_user_sgpr_flat_scratch_init 0
		.amdhsa_user_sgpr_private_segment_size 0
		.amdhsa_wavefront_size32 1
		.amdhsa_uses_dynamic_stack 0
		.amdhsa_system_sgpr_private_segment_wavefront_offset 0
		.amdhsa_system_sgpr_workgroup_id_x 1
		.amdhsa_system_sgpr_workgroup_id_y 1
		.amdhsa_system_sgpr_workgroup_id_z 1
		.amdhsa_system_sgpr_workgroup_info 0
		.amdhsa_system_vgpr_workitem_id 0
		.amdhsa_next_free_vgpr 52
		.amdhsa_next_free_sgpr 45
		.amdhsa_reserve_vcc 1
		.amdhsa_reserve_flat_scratch 0
		.amdhsa_float_round_mode_32 0
		.amdhsa_float_round_mode_16_64 0
		.amdhsa_float_denorm_mode_32 3
		.amdhsa_float_denorm_mode_16_64 3
		.amdhsa_dx10_clamp 1
		.amdhsa_ieee_mode 1
		.amdhsa_fp16_overflow 0
		.amdhsa_workgroup_processor_mode 1
		.amdhsa_memory_ordered 1
		.amdhsa_forward_progress 1
		.amdhsa_shared_vgpr_count 0
		.amdhsa_exception_fp_ieee_invalid_op 0
		.amdhsa_exception_fp_denorm_src 0
		.amdhsa_exception_fp_ieee_div_zero 0
		.amdhsa_exception_fp_ieee_overflow 0
		.amdhsa_exception_fp_ieee_underflow 0
		.amdhsa_exception_fp_ieee_inexact 0
		.amdhsa_exception_int_div_zero 0
	.end_amdhsa_kernel
	.section	.text._ZN4vllm25paged_attention_v1_kernelI14__hip_bfloat16S1_Li80ELi8ELi128ELNS_18Fp8KVCacheDataTypeE0ELb1EEEvPT_PKS3_PKT0_S9_ifPKiSB_iPKfiiiSD_SD_iiiii,"axG",@progbits,_ZN4vllm25paged_attention_v1_kernelI14__hip_bfloat16S1_Li80ELi8ELi128ELNS_18Fp8KVCacheDataTypeE0ELb1EEEvPT_PKS3_PKT0_S9_ifPKiSB_iPKfiiiSD_SD_iiiii,comdat
.Lfunc_end110:
	.size	_ZN4vllm25paged_attention_v1_kernelI14__hip_bfloat16S1_Li80ELi8ELi128ELNS_18Fp8KVCacheDataTypeE0ELb1EEEvPT_PKS3_PKT0_S9_ifPKiSB_iPKfiiiSD_SD_iiiii, .Lfunc_end110-_ZN4vllm25paged_attention_v1_kernelI14__hip_bfloat16S1_Li80ELi8ELi128ELNS_18Fp8KVCacheDataTypeE0ELb1EEEvPT_PKS3_PKT0_S9_ifPKiSB_iPKfiiiSD_SD_iiiii
                                        ; -- End function
	.set _ZN4vllm25paged_attention_v1_kernelI14__hip_bfloat16S1_Li80ELi8ELi128ELNS_18Fp8KVCacheDataTypeE0ELb1EEEvPT_PKS3_PKT0_S9_ifPKiSB_iPKfiiiSD_SD_iiiii.num_vgpr, 52
	.set _ZN4vllm25paged_attention_v1_kernelI14__hip_bfloat16S1_Li80ELi8ELi128ELNS_18Fp8KVCacheDataTypeE0ELb1EEEvPT_PKS3_PKT0_S9_ifPKiSB_iPKfiiiSD_SD_iiiii.num_agpr, 0
	.set _ZN4vllm25paged_attention_v1_kernelI14__hip_bfloat16S1_Li80ELi8ELi128ELNS_18Fp8KVCacheDataTypeE0ELb1EEEvPT_PKS3_PKT0_S9_ifPKiSB_iPKfiiiSD_SD_iiiii.numbered_sgpr, 45
	.set _ZN4vllm25paged_attention_v1_kernelI14__hip_bfloat16S1_Li80ELi8ELi128ELNS_18Fp8KVCacheDataTypeE0ELb1EEEvPT_PKS3_PKT0_S9_ifPKiSB_iPKfiiiSD_SD_iiiii.num_named_barrier, 0
	.set _ZN4vllm25paged_attention_v1_kernelI14__hip_bfloat16S1_Li80ELi8ELi128ELNS_18Fp8KVCacheDataTypeE0ELb1EEEvPT_PKS3_PKT0_S9_ifPKiSB_iPKfiiiSD_SD_iiiii.private_seg_size, 0
	.set _ZN4vllm25paged_attention_v1_kernelI14__hip_bfloat16S1_Li80ELi8ELi128ELNS_18Fp8KVCacheDataTypeE0ELb1EEEvPT_PKS3_PKT0_S9_ifPKiSB_iPKfiiiSD_SD_iiiii.uses_vcc, 1
	.set _ZN4vllm25paged_attention_v1_kernelI14__hip_bfloat16S1_Li80ELi8ELi128ELNS_18Fp8KVCacheDataTypeE0ELb1EEEvPT_PKS3_PKT0_S9_ifPKiSB_iPKfiiiSD_SD_iiiii.uses_flat_scratch, 0
	.set _ZN4vllm25paged_attention_v1_kernelI14__hip_bfloat16S1_Li80ELi8ELi128ELNS_18Fp8KVCacheDataTypeE0ELb1EEEvPT_PKS3_PKT0_S9_ifPKiSB_iPKfiiiSD_SD_iiiii.has_dyn_sized_stack, 0
	.set _ZN4vllm25paged_attention_v1_kernelI14__hip_bfloat16S1_Li80ELi8ELi128ELNS_18Fp8KVCacheDataTypeE0ELb1EEEvPT_PKS3_PKT0_S9_ifPKiSB_iPKfiiiSD_SD_iiiii.has_recursion, 0
	.set _ZN4vllm25paged_attention_v1_kernelI14__hip_bfloat16S1_Li80ELi8ELi128ELNS_18Fp8KVCacheDataTypeE0ELb1EEEvPT_PKS3_PKT0_S9_ifPKiSB_iPKfiiiSD_SD_iiiii.has_indirect_call, 0
	.section	.AMDGPU.csdata,"",@progbits
; Kernel info:
; codeLenInByte = 6716
; TotalNumSgprs: 47
; NumVgprs: 52
; ScratchSize: 0
; MemoryBound: 0
; FloatMode: 240
; IeeeMode: 1
; LDSByteSize: 192 bytes/workgroup (compile time only)
; SGPRBlocks: 0
; VGPRBlocks: 6
; NumSGPRsForWavesPerEU: 47
; NumVGPRsForWavesPerEU: 52
; Occupancy: 16
; WaveLimiterHint : 1
; COMPUTE_PGM_RSRC2:SCRATCH_EN: 0
; COMPUTE_PGM_RSRC2:USER_SGPR: 6
; COMPUTE_PGM_RSRC2:TRAP_HANDLER: 0
; COMPUTE_PGM_RSRC2:TGID_X_EN: 1
; COMPUTE_PGM_RSRC2:TGID_Y_EN: 1
; COMPUTE_PGM_RSRC2:TGID_Z_EN: 1
; COMPUTE_PGM_RSRC2:TIDIG_COMP_CNT: 0
	.section	.text._ZN4vllm25paged_attention_v1_kernelI14__hip_bfloat16S1_Li96ELi8ELi128ELNS_18Fp8KVCacheDataTypeE0ELb1EEEvPT_PKS3_PKT0_S9_ifPKiSB_iPKfiiiSD_SD_iiiii,"axG",@progbits,_ZN4vllm25paged_attention_v1_kernelI14__hip_bfloat16S1_Li96ELi8ELi128ELNS_18Fp8KVCacheDataTypeE0ELb1EEEvPT_PKS3_PKT0_S9_ifPKiSB_iPKfiiiSD_SD_iiiii,comdat
	.protected	_ZN4vllm25paged_attention_v1_kernelI14__hip_bfloat16S1_Li96ELi8ELi128ELNS_18Fp8KVCacheDataTypeE0ELb1EEEvPT_PKS3_PKT0_S9_ifPKiSB_iPKfiiiSD_SD_iiiii ; -- Begin function _ZN4vllm25paged_attention_v1_kernelI14__hip_bfloat16S1_Li96ELi8ELi128ELNS_18Fp8KVCacheDataTypeE0ELb1EEEvPT_PKS3_PKT0_S9_ifPKiSB_iPKfiiiSD_SD_iiiii
	.globl	_ZN4vllm25paged_attention_v1_kernelI14__hip_bfloat16S1_Li96ELi8ELi128ELNS_18Fp8KVCacheDataTypeE0ELb1EEEvPT_PKS3_PKT0_S9_ifPKiSB_iPKfiiiSD_SD_iiiii
	.p2align	8
	.type	_ZN4vllm25paged_attention_v1_kernelI14__hip_bfloat16S1_Li96ELi8ELi128ELNS_18Fp8KVCacheDataTypeE0ELb1EEEvPT_PKS3_PKT0_S9_ifPKiSB_iPKfiiiSD_SD_iiiii,@function
_ZN4vllm25paged_attention_v1_kernelI14__hip_bfloat16S1_Li96ELi8ELi128ELNS_18Fp8KVCacheDataTypeE0ELb1EEEvPT_PKS3_PKT0_S9_ifPKiSB_iPKfiiiSD_SD_iiiii: ; @_ZN4vllm25paged_attention_v1_kernelI14__hip_bfloat16S1_Li96ELi8ELi128ELNS_18Fp8KVCacheDataTypeE0ELb1EEEvPT_PKS3_PKT0_S9_ifPKiSB_iPKfiiiSD_SD_iiiii
; %bb.0:
	s_clause 0x2
	s_load_dword s9, s[4:5], 0x80
	s_load_dwordx2 s[0:1], s[4:5], 0x30
	s_load_dwordx2 s[28:29], s[4:5], 0x20
	s_mov_b32 s10, s7
	s_ashr_i32 s11, s7, 31
	s_mov_b32 s33, 0
	s_lshl_b64 s[2:3], s[10:11], 2
	s_waitcnt lgkmcnt(0)
	s_add_u32 s0, s0, s2
	s_addc_u32 s1, s1, s3
	s_abs_i32 s2, s28
	s_abs_i32 s11, s9
	v_cvt_f32_u32_e32 v1, s2
	s_sub_i32 s7, 0, s2
	v_rcp_iflag_f32_e32 v1, v1
	v_mul_f32_e32 v1, 0x4f7ffffe, v1
	v_cvt_u32_f32_e32 v1, v1
	v_readfirstlane_b32 s3, v1
	s_mul_i32 s7, s7, s3
	s_mul_hi_u32 s7, s3, s7
	s_add_i32 s3, s3, s7
	s_xor_b32 s7, s9, s28
	s_mul_hi_u32 s3, s11, s3
	s_ashr_i32 s7, s7, 31
	s_mul_i32 s12, s3, s2
	s_sub_i32 s11, s11, s12
	s_add_i32 s12, s3, 1
	s_sub_i32 s13, s11, s2
	s_cmp_ge_u32 s11, s2
	s_cselect_b32 s3, s12, s3
	s_cselect_b32 s11, s13, s11
	s_add_i32 s12, s3, 1
	s_cmp_ge_u32 s11, s2
	s_cselect_b32 s2, s12, s3
	s_abs_i32 s23, s6
	s_xor_b32 s2, s2, s7
	s_sub_i32 s16, s2, s7
	s_load_dwordx2 s[2:3], s[4:5], 0x40
	s_abs_i32 s22, s16
	v_cvt_f32_u32_e32 v1, s22
	s_sub_i32 s11, 0, s22
	v_rcp_iflag_f32_e32 v1, v1
	v_mul_f32_e32 v1, 0x4f7ffffe, v1
	v_cvt_u32_f32_e32 v1, v1
	v_readfirstlane_b32 s7, v1
	s_mul_i32 s11, s11, s7
	s_mul_hi_u32 s11, s7, s11
	s_add_i32 s7, s7, s11
	s_waitcnt lgkmcnt(0)
	s_cmp_eq_u64 s[2:3], 0
	s_mul_hi_u32 s24, s23, s7
	s_cbranch_scc1 .LBB111_2
; %bb.1:
	s_ashr_i32 s7, s6, 31
	s_lshl_b64 s[12:13], s[6:7], 2
	s_add_u32 s2, s2, s12
	s_addc_u32 s3, s3, s13
	s_load_dword s33, s[2:3], 0x0
.LBB111_2:
	s_load_dword s11, s[0:1], 0x0
	s_load_dwordx4 s[12:15], s[4:5], 0x48
	v_and_b32_e32 v1, 3, v0
	v_lshlrev_b32_e32 v2, 2, v0
	s_ashr_i32 s0, s6, 31
	s_ashr_i32 s1, s16, 31
	s_mul_i32 s20, s6, 0x60
	s_mov_b32 s2, exec_lo
	v_cmpx_gt_u32_e32 48, v0
	s_cbranch_execz .LBB111_4
; %bb.3:
	s_load_dwordx2 s[16:17], s[4:5], 0x8
	s_waitcnt lgkmcnt(0)
	s_mul_i32 s18, s12, s10
	v_and_b32_e32 v4, 0x3fc, v0
	s_ashr_i32 s19, s18, 31
	s_lshl_b64 s[18:19], s[18:19], 1
	v_mad_u32_u24 v4, v1, 48, v4
	s_add_u32 s3, s16, s18
	s_addc_u32 s7, s17, s19
	s_ashr_i32 s21, s20, 31
	s_lshl_b64 s[16:17], s[20:21], 1
	s_add_u32 s16, s3, s16
	s_addc_u32 s17, s7, s17
	global_load_dword v3, v2, s[16:17]
	s_waitcnt vmcnt(0)
	ds_write_b32 v4, v3
.LBB111_4:
	s_or_b32 exec_lo, exec_lo, s2
	s_load_dwordx4 s[16:19], s[4:5], 0x68
	s_mul_i32 s2, s24, s22
	s_xor_b32 s1, s0, s1
	s_sub_i32 s0, s23, s2
	s_add_i32 s2, s24, 1
	s_sub_i32 s3, s0, s22
	s_cmp_ge_u32 s0, s22
	s_waitcnt lgkmcnt(0)
	s_mov_b32 s12, -1
	s_cselect_b32 s2, s2, s24
	s_cselect_b32 s0, s3, s0
	s_add_i32 s3, s2, 1
	s_cmp_ge_u32 s0, s22
	s_load_dword s0, s[4:5], 0x78
	s_cselect_b32 s2, s3, s2
	s_add_i32 s7, s11, -1
	s_xor_b32 s2, s2, s1
	s_abs_i32 s3, s7
	s_sub_i32 s1, s2, s1
	s_waitcnt lgkmcnt(0)
	s_barrier
	s_abs_i32 s21, s19
	buffer_gl0_inv
	v_cvt_f32_u32_e32 v3, s21
	s_sub_i32 s2, 0, s21
                                        ; implicit-def: $sgpr31
	v_rcp_iflag_f32_e32 v3, v3
	v_mul_f32_e32 v3, 0x4f7ffffe, v3
	v_cvt_u32_f32_e32 v3, v3
	v_readfirstlane_b32 s30, v3
	s_mul_i32 s2, s2, s30
	s_mul_hi_u32 s2, s30, s2
	s_add_i32 s30, s30, s2
	s_cmp_lt_i32 s0, 0
	s_mul_hi_u32 s2, s3, s30
	s_cbranch_scc0 .LBB111_6
; %bb.5:
	s_mul_i32 s12, s16, s28
	s_add_i32 s12, s1, s12
	s_mul_i32 s12, s12, s0
	s_sub_i32 s31, 1, s12
	s_mov_b32 s12, 0
.LBB111_6:
	s_load_dwordx2 s[22:23], s[4:5], 0x28
	s_ashr_i32 s7, s7, 31
	s_andn2_b32 vcc_lo, exec_lo, s12
	s_ashr_i32 s19, s19, 31
	s_cbranch_vccnz .LBB111_8
; %bb.7:
	s_mul_i32 s12, s9, s16
	s_add_i32 s6, s12, s6
	s_mul_i32 s0, s6, s0
	s_add_i32 s31, s0, 1
.LBB111_8:
	s_load_dword s0, s[4:5], 0x38
	s_mul_i32 s6, s2, s21
	s_xor_b32 s15, s7, s19
	s_sub_i32 s3, s3, s6
	s_add_i32 s16, s2, 1
	s_clause 0x2
	s_load_dwordx2 s[6:7], s[4:5], 0x0
	s_load_dwordx2 s[26:27], s[4:5], 0x18
	s_load_dword s12, s[4:5], 0x88
	v_lshrrev_b32_e32 v23, 5, v0
	v_mov_b32_e32 v5, 0xff7fffff
	v_lshrrev_b32_e32 v3, 3, v0
	v_mbcnt_lo_u32_b32 v4, -1, 0
	s_mul_i32 s14, s1, s14
	v_lshlrev_b32_e32 v24, 3, v23
	s_waitcnt lgkmcnt(0)
	s_mul_i32 s24, s0, s10
	s_sub_i32 s0, s3, s21
	s_ashr_i32 s25, s24, 31
	s_cmp_ge_u32 s3, s21
	s_cselect_b32 s2, s16, s2
	s_cselect_b32 s0, s0, s3
	s_add_i32 s3, s2, 1
	s_cmp_ge_u32 s0, s21
	s_cselect_b32 s0, s3, s2
	s_add_i32 s2, s11, 7
	s_ashr_i32 s3, s2, 31
	s_lshr_b32 s3, s3, 29
	s_add_i32 s2, s2, s3
	s_ashr_i32 s16, s2, 3
	s_xor_b32 s2, s0, s15
	v_cmp_gt_i32_e64 s0, s16, v23
	s_sub_i32 s28, s2, s15
	s_and_saveexec_b32 s34, s0
	s_cbranch_execz .LBB111_20
; %bb.9:
	s_load_dwordx2 s[2:3], s[4:5], 0x10
	s_ashr_i32 s15, s14, 31
	s_sub_i32 s4, s28, s17
	s_lshl_b64 s[36:37], s[14:15], 1
	v_bfe_u32 v6, v0, 2, 3
	v_and_b32_e32 v14, 12, v2
	v_cmp_eq_u32_e32 vcc_lo, 0, v1
	v_mul_u32_u24_e32 v7, 48, v1
	v_and_b32_e32 v1, 0x7c, v3
	v_lshlrev_b32_e32 v2, 2, v6
	v_subrev_nc_u32_e32 v13, s11, v6
	v_lshlrev_b32_e32 v15, 4, v6
	v_cmp_neq_f32_e64 s1, s33, 0
	v_lshlrev_b32_e32 v8, 3, v23
	v_lshl_or_b32 v2, v23, 5, v2
	v_mov_b32_e32 v9, 0xff7fffff
	v_xor_b32_e32 v10, 2, v4
	v_xor_b32_e32 v11, 1, v4
	s_waitcnt lgkmcnt(0)
	s_add_u32 s15, s2, s36
	s_addc_u32 s35, s3, s37
	s_abs_i32 s5, s18
	v_add_co_u32 v15, s15, s15, v15
	v_cvt_f32_u32_e32 v5, s5
	s_sub_i32 s2, 0, s5
	v_add_co_ci_u32_e64 v17, null, s35, 0, s15
	s_mov_b32 s15, 0
	v_rcp_iflag_f32_e32 v5, v5
	s_mov_b32 s35, s13
	v_mul_f32_e32 v12, 0x4f7ffffe, v5
	v_mov_b32_e32 v5, 0xff7fffff
	v_cvt_u32_f32_e32 v16, v12
	v_add_nc_u32_e32 v12, 1, v13
	v_add_nc_u32_e32 v13, 0xe0, v2
	v_mul_lo_u32 v2, s2, v16
	s_lshl_b64 s[2:3], s[24:25], 2
	s_add_u32 s2, s22, s2
	s_addc_u32 s3, s23, s3
	v_add_co_u32 v1, s2, s2, v1
	v_mul_hi_u32 v18, v16, v2
	v_add_co_ci_u32_e64 v2, null, s3, 0, s2
	v_add_co_u32 v14, s2, v15, v14
	v_add_co_ci_u32_e64 v15, null, 0, v17, s2
	v_mov_b32_e32 v17, v23
	v_add_nc_u32_e32 v16, v16, v18
	s_branch .LBB111_12
.LBB111_10:                             ;   in Loop: Header=BB111_12 Depth=1
	s_or_b32 exec_lo, exec_lo, s36
.LBB111_11:                             ;   in Loop: Header=BB111_12 Depth=1
	s_or_b32 exec_lo, exec_lo, s3
	v_add_nc_u32_e32 v17, 4, v17
	v_add_co_u32 v1, s3, v1, 16
	v_add_co_ci_u32_e64 v2, null, 0, v2, s3
	v_cmp_le_i32_e64 s2, s16, v17
	v_add_nc_u32_e32 v8, 32, v8
	v_add_nc_u32_e32 v13, 0x80, v13
	s_or_b32 s15, s2, s15
	s_andn2_b32 exec_lo, exec_lo, s15
	s_cbranch_execz .LBB111_19
.LBB111_12:                             ; =>This Inner Loop Header: Depth=1
	v_mul_hi_u32 v18, v8, s30
	s_waitcnt lgkmcnt(0)
	v_mul_lo_u32 v19, v18, s21
	v_add_nc_u32_e32 v20, 1, v18
	v_sub_nc_u32_e32 v19, v8, v19
	v_subrev_nc_u32_e32 v21, s21, v19
	v_cmp_le_u32_e64 s2, s21, v19
	v_cndmask_b32_e64 v18, v18, v20, s2
	v_cndmask_b32_e64 v19, v19, v21, s2
	v_add_nc_u32_e32 v20, 1, v18
	v_cmp_le_u32_e64 s2, s21, v19
	v_cndmask_b32_e64 v18, v18, v20, s2
	v_xor_b32_e32 v18, s19, v18
	v_subrev_nc_u32_e32 v18, s19, v18
	v_add_nc_u32_e32 v19, s31, v18
	v_cmp_ge_i32_e64 s3, s4, v18
	v_sub_nc_u32_e32 v20, 0, v19
	v_max_i32_e32 v20, v19, v20
	v_ashrrev_i32_e32 v19, 31, v19
	v_mul_hi_u32 v21, v20, v16
	v_mul_lo_u32 v21, v21, s5
	v_sub_nc_u32_e32 v20, v20, v21
	v_subrev_nc_u32_e32 v21, s5, v20
	v_cmp_le_u32_e64 s2, s5, v20
	v_cndmask_b32_e64 v20, v20, v21, s2
	v_subrev_nc_u32_e32 v21, s5, v20
	v_cmp_le_u32_e64 s2, s5, v20
	v_cndmask_b32_e64 v20, v20, v21, s2
	v_xor_b32_e32 v20, v20, v19
	v_sub_nc_u32_e32 v19, v20, v19
	v_cmp_ne_u32_e64 s2, 0, v19
	s_and_b32 s2, s2, s3
	s_and_saveexec_b32 s3, s2
	s_xor_b32 s2, exec_lo, s3
	s_cbranch_execz .LBB111_16
; %bb.13:                               ;   in Loop: Header=BB111_12 Depth=1
	s_and_saveexec_b32 s3, vcc_lo
; %bb.14:                               ;   in Loop: Header=BB111_12 Depth=1
	ds_write_b32 v13, v9
; %bb.15:                               ;   in Loop: Header=BB111_12 Depth=1
	s_or_b32 exec_lo, exec_lo, s3
.LBB111_16:                             ;   in Loop: Header=BB111_12 Depth=1
	s_andn2_saveexec_b32 s3, s2
	s_cbranch_execz .LBB111_11
; %bb.17:                               ;   in Loop: Header=BB111_12 Depth=1
	global_load_dword v18, v[1:2], off
	s_waitcnt vmcnt(0)
	v_mad_i64_i32 v[18:19], null, v18, s35, 0
	v_lshlrev_b64 v[18:19], 1, v[18:19]
	v_add_co_u32 v18, s2, v14, v18
	v_add_co_ci_u32_e64 v19, null, v15, v19, s2
	v_cmp_gt_i32_e64 s2, 32, v10
	s_clause 0xb
	global_load_dword v22, v[18:19], off offset:128
	global_load_dword v33, v[18:19], off
	global_load_dword v34, v[18:19], off offset:256
	global_load_dword v35, v[18:19], off offset:384
	;; [unrolled: 1-line block ×10, first 2 shown]
	ds_read_b128 v[18:21], v7
	ds_read_b128 v[25:28], v7 offset:16
	ds_read_b128 v[29:32], v7 offset:32
	s_waitcnt lgkmcnt(2)
	v_lshlrev_b32_e32 v45, 16, v19
	v_and_b32_e32 v19, 0xffff0000, v19
	v_lshlrev_b32_e32 v44, 16, v18
	v_and_b32_e32 v18, 0xffff0000, v18
	;; [unrolled: 2-line block ×3, first 2 shown]
	v_lshlrev_b32_e32 v47, 16, v21
	s_waitcnt lgkmcnt(1)
	v_lshlrev_b32_e32 v48, 16, v25
	v_lshlrev_b32_e32 v49, 16, v26
	;; [unrolled: 1-line block ×4, first 2 shown]
	s_waitcnt lgkmcnt(0)
	v_lshlrev_b32_e32 v52, 16, v29
	v_lshlrev_b32_e32 v53, 16, v30
	;; [unrolled: 1-line block ×4, first 2 shown]
	s_waitcnt vmcnt(11)
	v_lshlrev_b32_e32 v56, 16, v22
	v_and_b32_e32 v22, 0xffff0000, v22
	s_waitcnt vmcnt(10)
	v_lshlrev_b32_e32 v57, 16, v33
	v_and_b32_e32 v33, 0xffff0000, v33
	v_mul_f32_e32 v45, v45, v56
	v_mul_f32_e32 v19, v19, v22
	s_waitcnt vmcnt(9)
	v_lshlrev_b32_e32 v22, 16, v34
	v_and_b32_e32 v34, 0xffff0000, v34
	v_fmac_f32_e32 v45, v44, v57
	v_fmac_f32_e32 v19, v18, v33
	v_and_b32_e32 v18, 0xffff0000, v21
	s_waitcnt vmcnt(8)
	v_lshlrev_b32_e32 v21, 16, v35
	v_and_b32_e32 v33, 0xffff0000, v35
	v_fmac_f32_e32 v45, v46, v22
	v_fmac_f32_e32 v19, v20, v34
	v_and_b32_e32 v20, 0xffff0000, v25
	;; [unrolled: 6-line block ×9, first 2 shown]
	s_waitcnt vmcnt(0)
	v_lshlrev_b32_e32 v21, 16, v43
	v_and_b32_e32 v26, 0xffff0000, v43
	v_fmac_f32_e32 v45, v54, v22
	v_fmac_f32_e32 v19, v20, v25
	v_cndmask_b32_e64 v20, v4, v10, s2
	v_cmp_gt_i32_e64 s2, 32, v11
	v_fmac_f32_e32 v45, v55, v21
	v_fmac_f32_e32 v19, v18, v26
	v_lshlrev_b32_e32 v18, 2, v20
	v_cndmask_b32_e64 v20, v4, v11, s2
	v_add_f32_e32 v19, v45, v19
	v_lshlrev_b32_e32 v20, 2, v20
	ds_bpermute_b32 v18, v18, v19
	s_waitcnt lgkmcnt(0)
	v_add_f32_e32 v18, v19, v18
	ds_bpermute_b32 v19, v20, v18
	s_and_saveexec_b32 s36, vcc_lo
	s_cbranch_execz .LBB111_10
; %bb.18:                               ;   in Loop: Header=BB111_12 Depth=1
	v_add_nc_u32_e32 v20, v12, v8
	s_waitcnt lgkmcnt(0)
	v_add_f32_e32 v18, v18, v19
	v_cvt_f32_i32_e32 v20, v20
	v_mul_f32_e32 v20, s33, v20
	v_cndmask_b32_e64 v19, 0, v20, s1
	v_max_f32_e32 v20, v5, v5
	v_fmac_f32_e32 v19, s29, v18
	v_add_nc_u32_e32 v18, v6, v8
	v_max_f32_e32 v20, v20, v19
	v_cmp_gt_i32_e64 s2, s11, v18
	v_cndmask_b32_e64 v18, 0, v19, s2
	v_cndmask_b32_e64 v5, v5, v20, s2
	ds_write_b32 v13, v18
	s_branch .LBB111_10
.LBB111_19:
	s_or_b32 exec_lo, exec_lo, s15
.LBB111_20:
	s_or_b32 exec_lo, exec_lo, s34
	v_xor_b32_e32 v1, 16, v4
	v_xor_b32_e32 v6, 8, v4
	v_max_f32_e32 v7, v5, v5
	v_and_b32_e32 v25, 31, v0
	v_cmp_gt_i32_e32 vcc_lo, 32, v1
	v_cndmask_b32_e32 v1, v4, v1, vcc_lo
	v_cmp_gt_i32_e32 vcc_lo, 32, v6
	v_lshlrev_b32_e32 v2, 2, v1
	ds_bpermute_b32 v1, v2, v5
	v_cndmask_b32_e32 v5, v4, v6, vcc_lo
	v_lshlrev_b32_e32 v5, 2, v5
	s_waitcnt lgkmcnt(0)
	v_max_f32_e32 v1, v1, v1
	v_max_f32_e32 v1, v7, v1
	v_xor_b32_e32 v7, 4, v4
	ds_bpermute_b32 v6, v5, v1
	v_cmp_gt_i32_e32 vcc_lo, 32, v7
	v_cndmask_b32_e32 v7, v4, v7, vcc_lo
	v_cmp_eq_u32_e32 vcc_lo, 0, v25
	v_lshlrev_b32_e32 v8, 2, v7
	s_waitcnt lgkmcnt(0)
	v_max_f32_e32 v6, v6, v6
	v_max_f32_e32 v1, v1, v6
	v_lshlrev_b32_e32 v6, 2, v23
	ds_bpermute_b32 v7, v8, v1
	s_and_saveexec_b32 s1, vcc_lo
	s_cbranch_execz .LBB111_22
; %bb.21:
	s_waitcnt lgkmcnt(0)
	v_max_f32_e32 v7, v7, v7
	v_max_f32_e32 v1, v1, v1
	;; [unrolled: 1-line block ×3, first 2 shown]
	ds_write_b32 v6, v1 offset:192
.LBB111_22:
	s_or_b32 exec_lo, exec_lo, s1
	v_cmp_gt_u32_e64 s1, 4, v25
	v_mov_b32_e32 v1, 0xff7fffff
	s_waitcnt lgkmcnt(0)
	v_lshlrev_b32_e32 v7, 2, v25
	s_barrier
	buffer_gl0_inv
	s_and_saveexec_b32 s2, s1
; %bb.23:
	ds_read_b32 v1, v7 offset:192
; %bb.24:
	s_or_b32 exec_lo, exec_lo, s2
	v_xor_b32_e32 v9, 2, v4
	v_xor_b32_e32 v11, 1, v4
	v_cmp_gt_i32_e64 s2, 32, v9
	v_cndmask_b32_e64 v9, v4, v9, s2
	v_cmp_gt_i32_e64 s2, 32, v11
	v_lshlrev_b32_e32 v9, 2, v9
	v_cndmask_b32_e64 v4, v4, v11, s2
	s_lshl_b32 s2, s16, 3
	s_min_i32 s4, s2, s11
	s_waitcnt lgkmcnt(0)
	ds_bpermute_b32 v10, v9, v1
	v_max_f32_e32 v1, v1, v1
	v_lshlrev_b32_e32 v4, 2, v4
	v_cmp_gt_i32_e64 s2, s4, v0
	s_waitcnt lgkmcnt(0)
	v_max_f32_e32 v10, v10, v10
	v_max_f32_e32 v1, v1, v10
	ds_bpermute_b32 v10, v4, v1
	s_waitcnt lgkmcnt(0)
	v_max_f32_e32 v10, v10, v10
	v_max_f32_e32 v1, v1, v10
	v_mov_b32_e32 v10, 0
	ds_bpermute_b32 v11, v10, v1
	v_lshl_add_u32 v1, v0, 2, 0xe0
	s_and_saveexec_b32 s5, s2
	s_cbranch_execz .LBB111_28
; %bb.25:
	v_lshl_add_u32 v12, v0, 2, 0xe0
	v_mov_b32_e32 v10, 0
	v_mov_b32_e32 v13, v0
	s_mov_b32 s15, 0
	.p2align	6
.LBB111_26:                             ; =>This Inner Loop Header: Depth=1
	ds_read_b32 v14, v12
	v_add_nc_u32_e32 v13, 0x80, v13
	v_cmp_le_i32_e64 s3, s4, v13
	s_or_b32 s15, s3, s15
	s_waitcnt lgkmcnt(0)
	v_sub_f32_e32 v14, v14, v11
	v_mul_f32_e32 v14, 0x3fb8aa3b, v14
	v_exp_f32_e32 v14, v14
	ds_write_b32 v12, v14
	v_add_f32_e32 v10, v10, v14
	v_add_nc_u32_e32 v12, 0x200, v12
	s_andn2_b32 exec_lo, exec_lo, s15
	s_cbranch_execnz .LBB111_26
; %bb.27:
	s_or_b32 exec_lo, exec_lo, s15
.LBB111_28:
	s_or_b32 exec_lo, exec_lo, s5
	ds_bpermute_b32 v2, v2, v10
	s_waitcnt lgkmcnt(0)
	v_add_f32_e32 v2, v10, v2
	ds_bpermute_b32 v5, v5, v2
	s_waitcnt lgkmcnt(0)
	v_add_f32_e32 v2, v2, v5
	;; [unrolled: 3-line block ×5, first 2 shown]
	s_and_saveexec_b32 s3, vcc_lo
; %bb.29:
	ds_write_b32 v6, v2 offset:208
; %bb.30:
	s_or_b32 exec_lo, exec_lo, s3
	s_waitcnt lgkmcnt(0)
	s_barrier
	buffer_gl0_inv
	s_and_saveexec_b32 s3, s1
; %bb.31:
	ds_read_b32 v2, v7 offset:208
; %bb.32:
	s_or_b32 exec_lo, exec_lo, s3
	s_waitcnt lgkmcnt(0)
	ds_bpermute_b32 v5, v9, v2
	s_waitcnt lgkmcnt(0)
	v_add_f32_e32 v2, v2, v5
	ds_bpermute_b32 v4, v4, v2
	s_waitcnt lgkmcnt(0)
	v_add_f32_e32 v2, v2, v4
	v_mov_b32_e32 v4, 0
	ds_bpermute_b32 v2, v4, v2
	s_and_saveexec_b32 s1, s2
	s_cbranch_execz .LBB111_35
; %bb.33:
	s_waitcnt lgkmcnt(0)
	v_add_f32_e32 v2, 0x358637bd, v2
	s_mov_b32 s2, 0
	v_div_scale_f32 v4, null, v2, v2, 1.0
	v_div_scale_f32 v7, vcc_lo, 1.0, v2, 1.0
	v_rcp_f32_e32 v5, v4
	v_fma_f32 v6, -v4, v5, 1.0
	v_fmac_f32_e32 v5, v6, v5
	v_mul_f32_e32 v6, v7, v5
	v_fma_f32 v8, -v4, v6, v7
	v_fmac_f32_e32 v6, v8, v5
	v_fma_f32 v4, -v4, v6, v7
	v_div_fmas_f32 v4, v4, v5, v6
	v_div_fixup_f32 v2, v4, v2, 1.0
	v_mov_b32_e32 v4, v0
.LBB111_34:                             ; =>This Inner Loop Header: Depth=1
	ds_read_b32 v5, v1
	v_add_nc_u32_e32 v4, 0x80, v4
	v_cmp_le_i32_e32 vcc_lo, s4, v4
	s_or_b32 s2, vcc_lo, s2
	s_waitcnt lgkmcnt(0)
	v_mul_f32_e32 v5, v2, v5
	ds_write_b32 v1, v5
	v_add_nc_u32_e32 v1, 0x200, v1
	s_andn2_b32 exec_lo, exec_lo, s2
	s_cbranch_execnz .LBB111_34
.LBB111_35:
	s_or_b32 exec_lo, exec_lo, s1
	v_mov_b32_e32 v28, 0
	v_mov_b32_e32 v27, 0
	;; [unrolled: 1-line block ×3, first 2 shown]
	s_waitcnt lgkmcnt(0)
	s_barrier
	buffer_gl0_inv
	s_and_saveexec_b32 s3, s0
	s_cbranch_execz .LBB111_47
; %bb.36:
	s_ashr_i32 s15, s14, 31
	s_sub_i32 s4, s28, s17
	s_lshl_b64 s[0:1], s[14:15], 1
	v_lshlrev_b32_e32 v2, 4, v25
	s_add_u32 s2, s26, s0
	s_addc_u32 s15, s27, s1
	s_abs_i32 s5, s18
	v_and_b32_e32 v3, 0x7c, v3
	v_cvt_f32_u32_e32 v1, s5
	s_sub_i32 s0, 0, s5
	s_add_i32 s14, s16, -1
	v_add_co_u32 v31, s2, s2, v2
	v_rcp_iflag_f32_e32 v1, v1
	v_mov_b32_e32 v29, 0
	v_lshl_add_u32 v30, v23, 5, 0xe0
	v_mov_b32_e32 v26, 0
	v_mov_b32_e32 v27, 0
	;; [unrolled: 1-line block ×3, first 2 shown]
	v_add_co_ci_u32_e64 v32, null, s15, 0, s2
	v_mov_b32_e32 v34, v23
	s_mov_b32 s17, s11
	v_mul_f32_e32 v1, 0x4f7ffffe, v1
	s_mov_b32 s15, 0
	v_cvt_u32_f32_e32 v1, v1
	v_mul_lo_u32 v4, s0, v1
	s_lshl_b64 s[0:1], s[24:25], 2
	s_add_u32 s0, s22, s0
	s_addc_u32 s1, s23, s1
	v_add_co_u32 v21, s0, s0, v3
	v_add_co_ci_u32_e64 v22, null, s1, 0, s0
	v_mul_hi_u32 v4, v1, v4
	v_add_nc_u32_e32 v33, v1, v4
	s_branch .LBB111_39
.LBB111_37:                             ;   in Loop: Header=BB111_39 Depth=1
	s_or_b32 exec_lo, exec_lo, s2
	s_waitcnt lgkmcnt(1)
	v_bfe_u32 v35, v17, 16, 1
	v_bfe_u32 v36, v18, 16, 1
	v_or_b32_e32 v37, 0x400000, v17
	v_cmp_u_f32_e32 vcc_lo, v17, v17
	v_or_b32_e32 v38, 0x400000, v18
	v_add3_u32 v35, v35, v17, 0x7fff
	v_bfe_u32 v39, v19, 16, 1
	v_add3_u32 v36, v36, v18, 0x7fff
	v_bfe_u32 v40, v20, 16, 1
	v_cndmask_b32_e32 v17, v35, v37, vcc_lo
	v_cmp_u_f32_e32 vcc_lo, v18, v18
	v_add3_u32 v35, v39, v19, 0x7fff
	s_waitcnt lgkmcnt(0)
	v_bfe_u32 v37, v9, 16, 1
	v_or_b32_e32 v39, 0x400000, v20
	v_and_b32_e32 v17, 0xffff0000, v17
	v_cndmask_b32_e32 v18, v36, v38, vcc_lo
	v_or_b32_e32 v36, 0x400000, v19
	v_cmp_u_f32_e32 vcc_lo, v19, v19
	v_add3_u32 v38, v40, v20, 0x7fff
	s_waitcnt vmcnt(1)
	v_and_b32_e32 v40, 0xffff0000, v14
	v_and_b32_e32 v18, 0xffff0000, v18
	v_lshlrev_b32_e32 v14, 16, v14
	v_cndmask_b32_e32 v19, v35, v36, vcc_lo
	v_cmp_u_f32_e32 vcc_lo, v20, v20
	v_add3_u32 v35, v37, v9, 0x7fff
	v_or_b32_e32 v36, 0x400000, v9
	v_bfe_u32 v37, v10, 16, 1
	v_and_b32_e32 v19, 0xffff0000, v19
	v_cndmask_b32_e32 v20, v38, v39, vcc_lo
	v_cmp_u_f32_e32 vcc_lo, v9, v9
	v_or_b32_e32 v38, 0x400000, v10
	v_add3_u32 v37, v37, v10, 0x7fff
	v_or_b32_e32 v39, 0x400000, v11
	v_and_b32_e32 v20, 0xffff0000, v20
	v_cndmask_b32_e32 v9, v35, v36, vcc_lo
	v_bfe_u32 v35, v11, 16, 1
	v_and_b32_e32 v36, 0xffff0000, v13
	v_cmp_u_f32_e32 vcc_lo, v10, v10
	v_lshlrev_b32_e32 v13, 16, v13
	v_mul_f32_e32 v14, v19, v14
	v_add3_u32 v35, v35, v11, 0x7fff
	v_mul_f32_e32 v36, v18, v36
	v_cndmask_b32_e32 v10, v37, v38, vcc_lo
	v_bfe_u32 v37, v12, 16, 1
	v_cmp_u_f32_e32 vcc_lo, v11, v11
	v_or_b32_e32 v38, 0x400000, v12
	v_mul_f32_e32 v13, v17, v13
	v_and_b32_e32 v10, 0xffff0000, v10
	v_add3_u32 v37, v37, v12, 0x7fff
	v_cndmask_b32_e32 v11, v35, v39, vcc_lo
	v_bfe_u32 v35, v36, 16, 1
	v_cmp_u_f32_e32 vcc_lo, v12, v12
	v_or_b32_e32 v39, 0x400000, v36
	v_and_b32_e32 v9, 0xffff0000, v9
	v_and_b32_e32 v11, 0xffff0000, v11
	v_add3_u32 v35, v35, v36, 0x7fff
	v_cndmask_b32_e32 v12, v37, v38, vcc_lo
	v_cmp_u_f32_e32 vcc_lo, v36, v36
	v_bfe_u32 v36, v13, 16, 1
	v_mul_f32_e32 v37, v20, v40
	v_and_b32_e32 v38, 0xffff0000, v15
	v_lshlrev_b32_e32 v15, 16, v15
	v_cndmask_b32_e32 v35, v35, v39, vcc_lo
	v_add3_u32 v36, v36, v13, 0x7fff
	v_or_b32_e32 v39, 0x400000, v13
	v_bfe_u32 v40, v37, 16, 1
	v_cmp_u_f32_e32 vcc_lo, v13, v13
	v_mul_f32_e32 v38, v10, v38
	v_mul_f32_e32 v15, v9, v15
	v_and_b32_e32 v12, 0xffff0000, v12
	v_and_b32_e32 v35, 0xffff0000, v35
	v_cndmask_b32_e32 v13, v36, v39, vcc_lo
	v_add3_u32 v36, v40, v37, 0x7fff
	v_or_b32_e32 v39, 0x400000, v37
	v_bfe_u32 v40, v14, 16, 1
	v_cmp_u_f32_e32 vcc_lo, v37, v37
	v_bfe_u32 v41, v38, 16, 1
	v_or_b32_e32 v42, 0x400000, v38
	v_bfe_u32 v43, v15, 16, 1
	v_add3_u32 v37, v40, v14, 0x7fff
	v_cndmask_b32_e32 v36, v36, v39, vcc_lo
	v_or_b32_e32 v39, 0x400000, v14
	v_cmp_u_f32_e32 vcc_lo, v14, v14
	v_add3_u32 v40, v41, v38, 0x7fff
	v_and_b32_e32 v41, 0xffff0000, v16
	v_lshlrev_b32_e32 v16, 16, v16
	v_and_b32_e32 v13, 0xffff0000, v13
	v_cndmask_b32_e32 v14, v37, v39, vcc_lo
	v_cmp_u_f32_e32 vcc_lo, v38, v38
	v_mul_f32_e32 v37, v12, v41
	v_add3_u32 v39, v43, v15, 0x7fff
	v_and_b32_e32 v36, 0xffff0000, v36
	v_and_b32_e32 v14, 0xffff0000, v14
	v_cndmask_b32_e32 v38, v40, v42, vcc_lo
	v_or_b32_e32 v40, 0x400000, v15
	v_cmp_u_f32_e32 vcc_lo, v15, v15
	v_bfe_u32 v41, v37, 16, 1
	v_mul_f32_e32 v16, v11, v16
	v_add_f32_e32 v13, v13, v35
	v_add_f32_e32 v14, v14, v36
	v_cndmask_b32_e32 v15, v39, v40, vcc_lo
	v_add3_u32 v39, v41, v37, 0x7fff
	v_or_b32_e32 v40, 0x400000, v37
	v_cmp_u_f32_e32 vcc_lo, v37, v37
	v_and_b32_e32 v35, 0xffff0000, v1
	v_and_b32_e32 v15, 0xffff0000, v15
	;; [unrolled: 1-line block ×3, first 2 shown]
	v_add_f32_e32 v13, v14, v13
	v_cndmask_b32_e32 v37, v39, v40, vcc_lo
	v_bfe_u32 v39, v16, 16, 1
	v_mul_f32_e32 v14, v18, v35
	v_add_f32_e32 v15, v15, v36
	v_lshlrev_b32_e32 v1, 16, v1
	v_cmp_u_f32_e32 vcc_lo, v16, v16
	v_add3_u32 v38, v39, v16, 0x7fff
	v_or_b32_e32 v39, 0x400000, v16
	v_bfe_u32 v35, v14, 16, 1
	v_add_f32_e32 v13, v15, v13
	v_and_b32_e32 v15, 0xffff0000, v2
	v_mul_f32_e32 v1, v17, v1
	v_cndmask_b32_e32 v16, v38, v39, vcc_lo
	v_add3_u32 v35, v35, v14, 0x7fff
	v_or_b32_e32 v36, 0x400000, v14
	v_mul_f32_e32 v15, v20, v15
	v_bfe_u32 v38, v1, 16, 1
	v_cmp_u_f32_e32 vcc_lo, v14, v14
	v_lshlrev_b32_e32 v2, 16, v2
	v_or_b32_e32 v39, 0x400000, v1
	v_or_b32_e32 v40, 0x400000, v15
	v_and_b32_e32 v16, 0xffff0000, v16
	v_cndmask_b32_e32 v14, v35, v36, vcc_lo
	v_bfe_u32 v35, v15, 16, 1
	v_add3_u32 v36, v38, v1, 0x7fff
	v_and_b32_e32 v38, 0xffff0000, v3
	v_mul_f32_e32 v2, v19, v2
	v_cmp_u_f32_e32 vcc_lo, v1, v1
	v_add3_u32 v35, v35, v15, 0x7fff
	v_lshlrev_b32_e32 v3, 16, v3
	v_mul_f32_e32 v38, v10, v38
	v_and_b32_e32 v14, 0xffff0000, v14
	v_cndmask_b32_e32 v1, v36, v39, vcc_lo
	v_bfe_u32 v36, v2, 16, 1
	v_cmp_u_f32_e32 vcc_lo, v15, v15
	v_and_b32_e32 v39, 0xffff0000, v4
	v_mul_f32_e32 v3, v9, v3
	v_or_b32_e32 v41, 0x400000, v38
	v_add3_u32 v36, v36, v2, 0x7fff
	v_cndmask_b32_e32 v15, v35, v40, vcc_lo
	v_bfe_u32 v35, v38, 16, 1
	v_or_b32_e32 v40, 0x400000, v2
	v_cmp_u_f32_e32 vcc_lo, v2, v2
	v_mul_f32_e32 v39, v12, v39
	v_lshlrev_b32_e32 v4, 16, v4
	v_add3_u32 v35, v35, v38, 0x7fff
	v_and_b32_e32 v1, 0xffff0000, v1
	v_cndmask_b32_e32 v2, v36, v40, vcc_lo
	v_bfe_u32 v36, v3, 16, 1
	v_cmp_u_f32_e32 vcc_lo, v38, v38
	v_bfe_u32 v40, v39, 16, 1
	v_or_b32_e32 v38, 0x400000, v3
	v_mul_f32_e32 v4, v11, v4
	v_add3_u32 v36, v36, v3, 0x7fff
	v_cndmask_b32_e32 v35, v35, v41, vcc_lo
	v_cmp_u_f32_e32 vcc_lo, v3, v3
	v_add3_u32 v40, v40, v39, 0x7fff
	v_or_b32_e32 v41, 0x400000, v39
	v_and_b32_e32 v2, 0xffff0000, v2
	v_and_b32_e32 v15, 0xffff0000, v15
	v_cndmask_b32_e32 v3, v36, v38, vcc_lo
	v_cmp_u_f32_e32 vcc_lo, v39, v39
	v_bfe_u32 v38, v4, 16, 1
	v_add_f32_e32 v1, v1, v14
	v_add_f32_e32 v2, v2, v15
	v_and_b32_e32 v3, 0xffff0000, v3
	v_cndmask_b32_e32 v36, v40, v41, vcc_lo
	s_waitcnt vmcnt(0)
	v_and_b32_e32 v40, 0xffff0000, v5
	v_and_b32_e32 v14, 0xffff0000, v35
	v_lshlrev_b32_e32 v5, 16, v5
	v_add3_u32 v38, v38, v4, 0x7fff
	v_or_b32_e32 v39, 0x400000, v4
	v_mul_f32_e32 v15, v18, v40
	v_cmp_u_f32_e32 vcc_lo, v4, v4
	v_add_f32_e32 v1, v2, v1
	v_add_f32_e32 v3, v3, v14
	v_mul_f32_e32 v5, v17, v5
	v_bfe_u32 v2, v15, 16, 1
	v_and_b32_e32 v14, 0xffff0000, v6
	v_cndmask_b32_e32 v4, v38, v39, vcc_lo
	v_or_b32_e32 v17, 0x400000, v15
	v_bfe_u32 v18, v5, 16, 1
	v_add3_u32 v2, v2, v15, 0x7fff
	v_mul_f32_e32 v14, v20, v14
	v_lshlrev_b32_e32 v6, 16, v6
	v_cmp_u_f32_e32 vcc_lo, v15, v15
	v_add3_u32 v15, v18, v5, 0x7fff
	v_and_b32_e32 v37, 0xffff0000, v37
	v_bfe_u32 v18, v14, 16, 1
	v_mul_f32_e32 v6, v19, v6
	v_cndmask_b32_e32 v2, v2, v17, vcc_lo
	v_or_b32_e32 v17, 0x400000, v5
	v_and_b32_e32 v19, 0xffff0000, v7
	v_cmp_u_f32_e32 vcc_lo, v5, v5
	v_lshlrev_b32_e32 v7, 16, v7
	v_and_b32_e32 v2, 0xffff0000, v2
	v_and_b32_e32 v4, 0xffff0000, v4
	v_mul_f32_e32 v10, v10, v19
	v_cndmask_b32_e32 v5, v15, v17, vcc_lo
	v_add3_u32 v15, v18, v14, 0x7fff
	v_or_b32_e32 v17, 0x400000, v14
	v_bfe_u32 v18, v6, 16, 1
	v_cmp_u_f32_e32 vcc_lo, v14, v14
	v_mul_f32_e32 v7, v9, v7
	v_and_b32_e32 v9, 0xffff0000, v8
	v_lshlrev_b32_e32 v8, 16, v8
	v_and_b32_e32 v5, 0xffff0000, v5
	v_cndmask_b32_e32 v14, v15, v17, vcc_lo
	v_add3_u32 v15, v18, v6, 0x7fff
	v_or_b32_e32 v17, 0x400000, v6
	v_bfe_u32 v18, v10, 16, 1
	v_cmp_u_f32_e32 vcc_lo, v6, v6
	v_mul_f32_e32 v8, v11, v8
	v_or_b32_e32 v11, 0x400000, v10
	v_mul_f32_e32 v9, v12, v9
	v_and_b32_e32 v14, 0xffff0000, v14
	v_cndmask_b32_e32 v6, v15, v17, vcc_lo
	v_bfe_u32 v15, v7, 16, 1
	v_add3_u32 v17, v18, v10, 0x7fff
	v_cmp_u_f32_e32 vcc_lo, v10, v10
	v_bfe_u32 v19, v8, 16, 1
	v_bfe_u32 v18, v9, 16, 1
	v_add3_u32 v12, v15, v7, 0x7fff
	v_or_b32_e32 v15, 0x400000, v7
	v_cndmask_b32_e32 v10, v17, v11, vcc_lo
	v_cmp_u_f32_e32 vcc_lo, v7, v7
	v_add3_u32 v11, v18, v9, 0x7fff
	v_and_b32_e32 v6, 0xffff0000, v6
	v_or_b32_e32 v17, 0x400000, v9
	v_add_f32_e32 v2, v5, v2
	v_cndmask_b32_e32 v7, v12, v15, vcc_lo
	v_add3_u32 v12, v19, v8, 0x7fff
	v_or_b32_e32 v15, 0x400000, v8
	v_cmp_u_f32_e32 vcc_lo, v8, v8
	v_add_f32_e32 v5, v6, v14
	v_and_b32_e32 v6, 0xffff0000, v7
	v_and_b32_e32 v7, 0xffff0000, v10
	v_and_b32_e32 v10, 0xffff0000, v36
	v_cndmask_b32_e32 v8, v12, v15, vcc_lo
	v_cmp_u_f32_e32 vcc_lo, v9, v9
	v_add_f32_e32 v2, v5, v2
	v_add_f32_e32 v5, v6, v7
	;; [unrolled: 1-line block ×3, first 2 shown]
	v_and_b32_e32 v6, 0xffff0000, v8
	v_cndmask_b32_e32 v9, v11, v17, vcc_lo
	v_add_f32_e32 v8, v16, v37
	v_add_f32_e32 v3, v4, v10
	;; [unrolled: 1-line block ×3, first 2 shown]
	v_and_b32_e32 v7, 0xffff0000, v9
	v_add_f32_e32 v5, v8, v13
	v_add_f32_e32 v1, v3, v1
	;; [unrolled: 1-line block ×7, first 2 shown]
.LBB111_38:                             ;   in Loop: Header=BB111_39 Depth=1
	s_or_b32 exec_lo, exec_lo, s18
	v_add_nc_u32_e32 v34, 4, v34
	v_add_co_u32 v21, s0, v21, 16
	v_add_co_ci_u32_e64 v22, null, 0, v22, s0
	v_cmp_le_i32_e32 vcc_lo, s16, v34
	v_add_nc_u32_e32 v24, 32, v24
	v_add_nc_u32_e32 v30, 0x80, v30
	s_or_b32 s15, vcc_lo, s15
	s_andn2_b32 exec_lo, exec_lo, s15
	s_cbranch_execz .LBB111_46
.LBB111_39:                             ; =>This Inner Loop Header: Depth=1
	v_mul_hi_u32 v1, v24, s30
	v_mul_lo_u32 v2, v1, s21
	v_add_nc_u32_e32 v3, 1, v1
	v_sub_nc_u32_e32 v2, v24, v2
	v_subrev_nc_u32_e32 v4, s21, v2
	v_cmp_le_u32_e32 vcc_lo, s21, v2
	v_cndmask_b32_e32 v1, v1, v3, vcc_lo
	v_cndmask_b32_e32 v2, v2, v4, vcc_lo
	v_add_nc_u32_e32 v3, 1, v1
	v_cmp_le_u32_e32 vcc_lo, s21, v2
	v_cndmask_b32_e32 v1, v1, v3, vcc_lo
	v_xor_b32_e32 v1, s19, v1
	v_subrev_nc_u32_e32 v1, s19, v1
	v_add_nc_u32_e32 v2, s31, v1
	v_cmp_lt_i32_e64 s0, s4, v1
	v_sub_nc_u32_e32 v3, 0, v2
	v_max_i32_e32 v3, v2, v3
	v_ashrrev_i32_e32 v2, 31, v2
	v_mul_hi_u32 v4, v3, v33
	v_mul_lo_u32 v4, v4, s5
	v_sub_nc_u32_e32 v3, v3, v4
	v_subrev_nc_u32_e32 v4, s5, v3
	v_cmp_le_u32_e32 vcc_lo, s5, v3
	v_cndmask_b32_e32 v3, v3, v4, vcc_lo
	v_subrev_nc_u32_e32 v4, s5, v3
	v_cmp_le_u32_e32 vcc_lo, s5, v3
	v_cndmask_b32_e32 v3, v3, v4, vcc_lo
	v_xor_b32_e32 v3, v3, v2
	v_sub_nc_u32_e32 v2, v3, v2
	v_cmp_eq_u32_e32 vcc_lo, 0, v2
	s_or_b32 s0, vcc_lo, s0
	s_and_saveexec_b32 s18, s0
	s_cbranch_execz .LBB111_38
; %bb.40:                               ;   in Loop: Header=BB111_39 Depth=1
	global_load_dword v1, v[21:22], off
	v_cmp_eq_u32_e64 s0, s14, v34
	v_add_nc_u32_e32 v41, 1, v24
	v_or_b32_e32 v39, 3, v24
	v_or_b32_e32 v40, 2, v24
	;; [unrolled: 1-line block ×6, first 2 shown]
	s_waitcnt vmcnt(0)
	v_mad_i64_i32 v[1:2], null, v1, s13, 0
	v_lshlrev_b64 v[1:2], 1, v[1:2]
	v_add_co_u32 v5, vcc_lo, v31, v1
	v_add_co_ci_u32_e64 v6, null, v32, v2, vcc_lo
	global_load_dwordx4 v[1:4], v[5:6], off
	ds_read2_b64 v[17:20], v30 offset1:1
	ds_read2_b64 v[9:12], v30 offset0:2 offset1:3
	s_and_saveexec_b32 s22, s0
	s_cbranch_execnz .LBB111_43
; %bb.41:                               ;   in Loop: Header=BB111_39 Depth=1
	s_or_b32 exec_lo, exec_lo, s22
	global_load_dwordx4 v[13:16], v[5:6], off offset:512
	s_and_saveexec_b32 s22, s0
	s_cbranch_execnz .LBB111_44
.LBB111_42:                             ;   in Loop: Header=BB111_39 Depth=1
	s_or_b32 exec_lo, exec_lo, s22
	global_load_dwordx4 v[5:8], v[5:6], off offset:1024
	s_and_saveexec_b32 s2, s0
	s_cbranch_execz .LBB111_37
	s_branch .LBB111_45
.LBB111_43:                             ;   in Loop: Header=BB111_39 Depth=1
	v_cmp_gt_i32_e64 s1, s11, v24
	v_cmp_gt_i32_e32 vcc_lo, s17, v41
	v_cmp_gt_i32_e64 s2, s11, v40
	s_waitcnt vmcnt(0)
	v_cndmask_b32_e64 v7, 0, v1, s1
	v_cmp_gt_i32_e64 s1, s17, v39
	v_cndmask_b32_sdwa v1, v29, v1, vcc_lo dst_sel:DWORD dst_unused:UNUSED_PAD src0_sel:DWORD src1_sel:WORD_1
	v_cndmask_b32_e64 v8, 0, v2, s2
	v_cmp_gt_i32_e64 s2, s17, v38
	s_mov_b32 vcc_lo, s1
	v_cmp_gt_i32_e64 s1, s17, v36
	v_cndmask_b32_sdwa v2, v29, v2, vcc_lo dst_sel:DWORD dst_unused:UNUSED_PAD src0_sel:DWORD src1_sel:WORD_1
	v_cmp_gt_i32_e32 vcc_lo, s11, v37
	v_perm_b32 v1, v1, v7, 0x5040100
	v_perm_b32 v2, v2, v8, 0x5040100
	v_cndmask_b32_e32 v13, 0, v3, vcc_lo
	s_mov_b32 vcc_lo, s2
	v_cndmask_b32_sdwa v3, v29, v3, vcc_lo dst_sel:DWORD dst_unused:UNUSED_PAD src0_sel:DWORD src1_sel:WORD_1
	v_cmp_gt_i32_e32 vcc_lo, s11, v35
	v_perm_b32 v3, v3, v13, 0x5040100
	v_cndmask_b32_e32 v14, 0, v4, vcc_lo
	s_mov_b32 vcc_lo, s1
	v_cndmask_b32_sdwa v4, v29, v4, vcc_lo dst_sel:DWORD dst_unused:UNUSED_PAD src0_sel:DWORD src1_sel:WORD_1
	v_perm_b32 v4, v4, v14, 0x5040100
	s_or_b32 exec_lo, exec_lo, s22
	global_load_dwordx4 v[13:16], v[5:6], off offset:512
	s_and_saveexec_b32 s22, s0
	s_cbranch_execz .LBB111_42
.LBB111_44:                             ;   in Loop: Header=BB111_39 Depth=1
	v_cmp_gt_i32_e64 s1, s11, v24
	v_cmp_gt_i32_e32 vcc_lo, s17, v41
	v_cmp_gt_i32_e64 s2, s11, v40
	s_waitcnt vmcnt(0)
	v_cndmask_b32_e64 v7, 0, v13, s1
	v_cmp_gt_i32_e64 s1, s17, v39
	v_cndmask_b32_sdwa v13, v29, v13, vcc_lo dst_sel:DWORD dst_unused:UNUSED_PAD src0_sel:DWORD src1_sel:WORD_1
	v_cndmask_b32_e64 v8, 0, v14, s2
	v_cmp_gt_i32_e64 s2, s17, v38
	s_mov_b32 vcc_lo, s1
	v_cmp_gt_i32_e64 s1, s17, v36
	v_cndmask_b32_sdwa v14, v29, v14, vcc_lo dst_sel:DWORD dst_unused:UNUSED_PAD src0_sel:DWORD src1_sel:WORD_1
	v_cmp_gt_i32_e32 vcc_lo, s11, v37
	v_perm_b32 v13, v13, v7, 0x5040100
	v_perm_b32 v14, v14, v8, 0x5040100
	v_cndmask_b32_e32 v42, 0, v15, vcc_lo
	s_mov_b32 vcc_lo, s2
	v_cndmask_b32_sdwa v15, v29, v15, vcc_lo dst_sel:DWORD dst_unused:UNUSED_PAD src0_sel:DWORD src1_sel:WORD_1
	v_cmp_gt_i32_e32 vcc_lo, s11, v35
	v_perm_b32 v15, v15, v42, 0x5040100
	v_cndmask_b32_e32 v43, 0, v16, vcc_lo
	s_mov_b32 vcc_lo, s1
	v_cndmask_b32_sdwa v16, v29, v16, vcc_lo dst_sel:DWORD dst_unused:UNUSED_PAD src0_sel:DWORD src1_sel:WORD_1
	v_perm_b32 v16, v16, v43, 0x5040100
	s_or_b32 exec_lo, exec_lo, s22
	global_load_dwordx4 v[5:8], v[5:6], off offset:1024
	s_and_saveexec_b32 s2, s0
	s_cbranch_execz .LBB111_37
.LBB111_45:                             ;   in Loop: Header=BB111_39 Depth=1
	v_cmp_gt_i32_e64 s0, s11, v24
	v_cmp_gt_i32_e32 vcc_lo, s17, v41
	v_cmp_gt_i32_e64 s1, s11, v40
	s_waitcnt vmcnt(0)
	v_cndmask_b32_e64 v41, 0, v5, s0
	v_cmp_gt_i32_e64 s0, s17, v39
	v_cndmask_b32_sdwa v5, v29, v5, vcc_lo dst_sel:DWORD dst_unused:UNUSED_PAD src0_sel:DWORD src1_sel:WORD_1
	v_cndmask_b32_e64 v39, 0, v6, s1
	v_cmp_gt_i32_e64 s1, s17, v38
	s_mov_b32 vcc_lo, s0
	v_cmp_gt_i32_e64 s0, s17, v36
	v_cndmask_b32_sdwa v6, v29, v6, vcc_lo dst_sel:DWORD dst_unused:UNUSED_PAD src0_sel:DWORD src1_sel:WORD_1
	v_cmp_gt_i32_e32 vcc_lo, s11, v37
	v_perm_b32 v5, v5, v41, 0x5040100
	v_perm_b32 v6, v6, v39, 0x5040100
	v_cndmask_b32_e32 v37, 0, v7, vcc_lo
	s_mov_b32 vcc_lo, s1
	v_cndmask_b32_sdwa v7, v29, v7, vcc_lo dst_sel:DWORD dst_unused:UNUSED_PAD src0_sel:DWORD src1_sel:WORD_1
	v_cmp_gt_i32_e32 vcc_lo, s11, v35
	v_perm_b32 v7, v7, v37, 0x5040100
	v_cndmask_b32_e32 v35, 0, v8, vcc_lo
	s_mov_b32 vcc_lo, s0
	v_cndmask_b32_sdwa v8, v29, v8, vcc_lo dst_sel:DWORD dst_unused:UNUSED_PAD src0_sel:DWORD src1_sel:WORD_1
	v_perm_b32 v8, v8, v35, 0x5040100
	s_branch .LBB111_37
.LBB111_46:
	s_or_b32 exec_lo, exec_lo, s15
.LBB111_47:
	s_or_b32 exec_lo, exec_lo, s3
	v_lshl_add_u32 v2, v25, 2, 0xe0
	v_and_b32_e32 v3, 0x3c0, v0
	s_mov_b32 s0, exec_lo
	s_barrier
	v_mad_u32_u24 v1, 0x180, v23, v2
	buffer_gl0_inv
	v_cmpx_eq_u32_e32 64, v3
	s_cbranch_execz .LBB111_49
; %bb.48:
	v_add_nc_u32_e32 v3, 0xfffffd00, v1
	v_add_nc_u32_e32 v4, 0xfffffd80, v1
	;; [unrolled: 1-line block ×3, first 2 shown]
	ds_write_b32 v3, v28
	ds_write_b32 v4, v27
	;; [unrolled: 1-line block ×3, first 2 shown]
.LBB111_49:
	s_or_b32 exec_lo, exec_lo, s0
	s_mov_b32 s0, exec_lo
	s_waitcnt lgkmcnt(0)
	s_barrier
	buffer_gl0_inv
	v_cmpx_gt_u32_e32 64, v0
	s_cbranch_execz .LBB111_51
; %bb.50:
	ds_read2_b32 v[3:4], v1 offset1:32
	ds_read_b32 v5, v1 offset:256
	s_waitcnt lgkmcnt(1)
	v_add_f32_e32 v28, v28, v3
	v_add_f32_e32 v27, v27, v4
	s_waitcnt lgkmcnt(0)
	v_add_f32_e32 v26, v26, v5
.LBB111_51:
	s_or_b32 exec_lo, exec_lo, s0
	v_and_b32_e32 v3, 0x3e0, v0
	s_mov_b32 s0, exec_lo
	s_barrier
	buffer_gl0_inv
	v_cmpx_eq_u32_e32 32, v3
	s_cbranch_execz .LBB111_53
; %bb.52:
	ds_write2_b32 v2, v28, v27 offset1:32
	ds_write_b32 v2, v26 offset:256
.LBB111_53:
	s_or_b32 exec_lo, exec_lo, s0
	v_cmp_gt_u32_e32 vcc_lo, 32, v0
	s_waitcnt lgkmcnt(0)
	s_barrier
	buffer_gl0_inv
	s_and_saveexec_b32 s0, vcc_lo
	s_cbranch_execz .LBB111_55
; %bb.54:
	ds_read2_b32 v[2:3], v1 offset1:32
	ds_read_b32 v1, v1 offset:256
	s_waitcnt lgkmcnt(1)
	v_add_f32_e32 v28, v28, v2
	v_add_f32_e32 v27, v27, v3
	s_waitcnt lgkmcnt(0)
	v_add_f32_e32 v26, v26, v1
.LBB111_55:
	s_or_b32 exec_lo, exec_lo, s0
	s_barrier
	buffer_gl0_inv
	s_and_saveexec_b32 s0, vcc_lo
	s_cbranch_execz .LBB111_57
; %bb.56:
	s_mul_i32 s0, s10, s12
	v_bfe_u32 v1, v28, 16, 1
	s_mul_i32 s0, s0, s9
	v_bfe_u32 v2, v27, 16, 1
	s_mulk_i32 s0, 0x60
	v_or_b32_e32 v4, 0x400000, v28
	v_add3_u32 v1, v1, v28, 0x7fff
	v_cmp_u_f32_e32 vcc_lo, v28, v28
	s_ashr_i32 s1, s0, 31
	s_mul_i32 s2, s12, s20
	s_lshl_b64 s[0:1], s[0:1], 1
	v_bfe_u32 v3, v26, 16, 1
	s_add_u32 s5, s6, s0
	v_add3_u32 v2, v2, v27, 0x7fff
	v_or_b32_e32 v5, 0x400000, v27
	v_cndmask_b32_e32 v1, v1, v4, vcc_lo
	v_cmp_u_f32_e32 vcc_lo, v27, v27
	s_addc_u32 s6, s7, s1
	s_ashr_i32 s3, s2, 31
	s_mul_i32 s4, s8, 0x60
	s_lshl_b64 s[0:1], s[2:3], 1
	v_add3_u32 v3, v3, v26, 0x7fff
	s_add_u32 s2, s5, s0
	v_or_b32_e32 v6, 0x400000, v26
	v_cndmask_b32_e32 v2, v2, v5, vcc_lo
	v_cmp_u_f32_e32 vcc_lo, v26, v26
	s_addc_u32 s3, s6, s1
	s_ashr_i32 s5, s4, 31
	v_lshlrev_b32_e32 v0, 1, v0
	s_lshl_b64 s[0:1], s[4:5], 1
	v_cndmask_b32_e32 v3, v3, v6, vcc_lo
	s_add_u32 s0, s2, s0
	s_addc_u32 s1, s3, s1
	global_store_short_d16_hi v0, v1, s[0:1]
	global_store_short_d16_hi v0, v2, s[0:1] offset:64
	global_store_short_d16_hi v0, v3, s[0:1] offset:128
.LBB111_57:
	s_endpgm
	.section	.rodata,"a",@progbits
	.p2align	6, 0x0
	.amdhsa_kernel _ZN4vllm25paged_attention_v1_kernelI14__hip_bfloat16S1_Li96ELi8ELi128ELNS_18Fp8KVCacheDataTypeE0ELb1EEEvPT_PKS3_PKT0_S9_ifPKiSB_iPKfiiiSD_SD_iiiii
		.amdhsa_group_segment_fixed_size 224
		.amdhsa_private_segment_fixed_size 0
		.amdhsa_kernarg_size 384
		.amdhsa_user_sgpr_count 6
		.amdhsa_user_sgpr_private_segment_buffer 1
		.amdhsa_user_sgpr_dispatch_ptr 0
		.amdhsa_user_sgpr_queue_ptr 0
		.amdhsa_user_sgpr_kernarg_segment_ptr 1
		.amdhsa_user_sgpr_dispatch_id 0
		.amdhsa_user_sgpr_flat_scratch_init 0
		.amdhsa_user_sgpr_private_segment_size 0
		.amdhsa_wavefront_size32 1
		.amdhsa_uses_dynamic_stack 0
		.amdhsa_system_sgpr_private_segment_wavefront_offset 0
		.amdhsa_system_sgpr_workgroup_id_x 1
		.amdhsa_system_sgpr_workgroup_id_y 1
		.amdhsa_system_sgpr_workgroup_id_z 1
		.amdhsa_system_sgpr_workgroup_info 0
		.amdhsa_system_vgpr_workitem_id 0
		.amdhsa_next_free_vgpr 58
		.amdhsa_next_free_sgpr 38
		.amdhsa_reserve_vcc 1
		.amdhsa_reserve_flat_scratch 0
		.amdhsa_float_round_mode_32 0
		.amdhsa_float_round_mode_16_64 0
		.amdhsa_float_denorm_mode_32 3
		.amdhsa_float_denorm_mode_16_64 3
		.amdhsa_dx10_clamp 1
		.amdhsa_ieee_mode 1
		.amdhsa_fp16_overflow 0
		.amdhsa_workgroup_processor_mode 1
		.amdhsa_memory_ordered 1
		.amdhsa_forward_progress 1
		.amdhsa_shared_vgpr_count 0
		.amdhsa_exception_fp_ieee_invalid_op 0
		.amdhsa_exception_fp_denorm_src 0
		.amdhsa_exception_fp_ieee_div_zero 0
		.amdhsa_exception_fp_ieee_overflow 0
		.amdhsa_exception_fp_ieee_underflow 0
		.amdhsa_exception_fp_ieee_inexact 0
		.amdhsa_exception_int_div_zero 0
	.end_amdhsa_kernel
	.section	.text._ZN4vllm25paged_attention_v1_kernelI14__hip_bfloat16S1_Li96ELi8ELi128ELNS_18Fp8KVCacheDataTypeE0ELb1EEEvPT_PKS3_PKT0_S9_ifPKiSB_iPKfiiiSD_SD_iiiii,"axG",@progbits,_ZN4vllm25paged_attention_v1_kernelI14__hip_bfloat16S1_Li96ELi8ELi128ELNS_18Fp8KVCacheDataTypeE0ELb1EEEvPT_PKS3_PKT0_S9_ifPKiSB_iPKfiiiSD_SD_iiiii,comdat
.Lfunc_end111:
	.size	_ZN4vllm25paged_attention_v1_kernelI14__hip_bfloat16S1_Li96ELi8ELi128ELNS_18Fp8KVCacheDataTypeE0ELb1EEEvPT_PKS3_PKT0_S9_ifPKiSB_iPKfiiiSD_SD_iiiii, .Lfunc_end111-_ZN4vllm25paged_attention_v1_kernelI14__hip_bfloat16S1_Li96ELi8ELi128ELNS_18Fp8KVCacheDataTypeE0ELb1EEEvPT_PKS3_PKT0_S9_ifPKiSB_iPKfiiiSD_SD_iiiii
                                        ; -- End function
	.set _ZN4vllm25paged_attention_v1_kernelI14__hip_bfloat16S1_Li96ELi8ELi128ELNS_18Fp8KVCacheDataTypeE0ELb1EEEvPT_PKS3_PKT0_S9_ifPKiSB_iPKfiiiSD_SD_iiiii.num_vgpr, 58
	.set _ZN4vllm25paged_attention_v1_kernelI14__hip_bfloat16S1_Li96ELi8ELi128ELNS_18Fp8KVCacheDataTypeE0ELb1EEEvPT_PKS3_PKT0_S9_ifPKiSB_iPKfiiiSD_SD_iiiii.num_agpr, 0
	.set _ZN4vllm25paged_attention_v1_kernelI14__hip_bfloat16S1_Li96ELi8ELi128ELNS_18Fp8KVCacheDataTypeE0ELb1EEEvPT_PKS3_PKT0_S9_ifPKiSB_iPKfiiiSD_SD_iiiii.numbered_sgpr, 38
	.set _ZN4vllm25paged_attention_v1_kernelI14__hip_bfloat16S1_Li96ELi8ELi128ELNS_18Fp8KVCacheDataTypeE0ELb1EEEvPT_PKS3_PKT0_S9_ifPKiSB_iPKfiiiSD_SD_iiiii.num_named_barrier, 0
	.set _ZN4vllm25paged_attention_v1_kernelI14__hip_bfloat16S1_Li96ELi8ELi128ELNS_18Fp8KVCacheDataTypeE0ELb1EEEvPT_PKS3_PKT0_S9_ifPKiSB_iPKfiiiSD_SD_iiiii.private_seg_size, 0
	.set _ZN4vllm25paged_attention_v1_kernelI14__hip_bfloat16S1_Li96ELi8ELi128ELNS_18Fp8KVCacheDataTypeE0ELb1EEEvPT_PKS3_PKT0_S9_ifPKiSB_iPKfiiiSD_SD_iiiii.uses_vcc, 1
	.set _ZN4vllm25paged_attention_v1_kernelI14__hip_bfloat16S1_Li96ELi8ELi128ELNS_18Fp8KVCacheDataTypeE0ELb1EEEvPT_PKS3_PKT0_S9_ifPKiSB_iPKfiiiSD_SD_iiiii.uses_flat_scratch, 0
	.set _ZN4vllm25paged_attention_v1_kernelI14__hip_bfloat16S1_Li96ELi8ELi128ELNS_18Fp8KVCacheDataTypeE0ELb1EEEvPT_PKS3_PKT0_S9_ifPKiSB_iPKfiiiSD_SD_iiiii.has_dyn_sized_stack, 0
	.set _ZN4vllm25paged_attention_v1_kernelI14__hip_bfloat16S1_Li96ELi8ELi128ELNS_18Fp8KVCacheDataTypeE0ELb1EEEvPT_PKS3_PKT0_S9_ifPKiSB_iPKfiiiSD_SD_iiiii.has_recursion, 0
	.set _ZN4vllm25paged_attention_v1_kernelI14__hip_bfloat16S1_Li96ELi8ELi128ELNS_18Fp8KVCacheDataTypeE0ELb1EEEvPT_PKS3_PKT0_S9_ifPKiSB_iPKfiiiSD_SD_iiiii.has_indirect_call, 0
	.section	.AMDGPU.csdata,"",@progbits
; Kernel info:
; codeLenInByte = 6344
; TotalNumSgprs: 40
; NumVgprs: 58
; ScratchSize: 0
; MemoryBound: 0
; FloatMode: 240
; IeeeMode: 1
; LDSByteSize: 224 bytes/workgroup (compile time only)
; SGPRBlocks: 0
; VGPRBlocks: 7
; NumSGPRsForWavesPerEU: 40
; NumVGPRsForWavesPerEU: 58
; Occupancy: 16
; WaveLimiterHint : 1
; COMPUTE_PGM_RSRC2:SCRATCH_EN: 0
; COMPUTE_PGM_RSRC2:USER_SGPR: 6
; COMPUTE_PGM_RSRC2:TRAP_HANDLER: 0
; COMPUTE_PGM_RSRC2:TGID_X_EN: 1
; COMPUTE_PGM_RSRC2:TGID_Y_EN: 1
; COMPUTE_PGM_RSRC2:TGID_Z_EN: 1
; COMPUTE_PGM_RSRC2:TIDIG_COMP_CNT: 0
	.section	.text._ZN4vllm25paged_attention_v1_kernelI14__hip_bfloat16S1_Li112ELi8ELi128ELNS_18Fp8KVCacheDataTypeE0ELb1EEEvPT_PKS3_PKT0_S9_ifPKiSB_iPKfiiiSD_SD_iiiii,"axG",@progbits,_ZN4vllm25paged_attention_v1_kernelI14__hip_bfloat16S1_Li112ELi8ELi128ELNS_18Fp8KVCacheDataTypeE0ELb1EEEvPT_PKS3_PKT0_S9_ifPKiSB_iPKfiiiSD_SD_iiiii,comdat
	.protected	_ZN4vllm25paged_attention_v1_kernelI14__hip_bfloat16S1_Li112ELi8ELi128ELNS_18Fp8KVCacheDataTypeE0ELb1EEEvPT_PKS3_PKT0_S9_ifPKiSB_iPKfiiiSD_SD_iiiii ; -- Begin function _ZN4vllm25paged_attention_v1_kernelI14__hip_bfloat16S1_Li112ELi8ELi128ELNS_18Fp8KVCacheDataTypeE0ELb1EEEvPT_PKS3_PKT0_S9_ifPKiSB_iPKfiiiSD_SD_iiiii
	.globl	_ZN4vllm25paged_attention_v1_kernelI14__hip_bfloat16S1_Li112ELi8ELi128ELNS_18Fp8KVCacheDataTypeE0ELb1EEEvPT_PKS3_PKT0_S9_ifPKiSB_iPKfiiiSD_SD_iiiii
	.p2align	8
	.type	_ZN4vllm25paged_attention_v1_kernelI14__hip_bfloat16S1_Li112ELi8ELi128ELNS_18Fp8KVCacheDataTypeE0ELb1EEEvPT_PKS3_PKT0_S9_ifPKiSB_iPKfiiiSD_SD_iiiii,@function
_ZN4vllm25paged_attention_v1_kernelI14__hip_bfloat16S1_Li112ELi8ELi128ELNS_18Fp8KVCacheDataTypeE0ELb1EEEvPT_PKS3_PKT0_S9_ifPKiSB_iPKfiiiSD_SD_iiiii: ; @_ZN4vllm25paged_attention_v1_kernelI14__hip_bfloat16S1_Li112ELi8ELi128ELNS_18Fp8KVCacheDataTypeE0ELb1EEEvPT_PKS3_PKT0_S9_ifPKiSB_iPKfiiiSD_SD_iiiii
; %bb.0:
	s_clause 0x2
	s_load_dword s33, s[4:5], 0x80
	s_load_dwordx2 s[0:1], s[4:5], 0x30
	s_load_dwordx2 s[22:23], s[4:5], 0x20
	s_mov_b32 s28, s7
	s_ashr_i32 s29, s7, 31
	s_mov_b32 s24, 0
	s_lshl_b64 s[2:3], s[28:29], 2
	s_waitcnt lgkmcnt(0)
	s_add_u32 s0, s0, s2
	s_addc_u32 s1, s1, s3
	s_abs_i32 s2, s22
	s_abs_i32 s9, s33
	v_cvt_f32_u32_e32 v1, s2
	s_sub_i32 s7, 0, s2
	v_rcp_iflag_f32_e32 v1, v1
	v_mul_f32_e32 v1, 0x4f7ffffe, v1
	v_cvt_u32_f32_e32 v1, v1
	v_readfirstlane_b32 s3, v1
	s_mul_i32 s7, s7, s3
	s_mul_hi_u32 s7, s3, s7
	s_add_i32 s3, s3, s7
	s_xor_b32 s7, s33, s22
	s_mul_hi_u32 s3, s9, s3
	s_ashr_i32 s7, s7, 31
	s_mul_i32 s10, s3, s2
	s_sub_i32 s9, s9, s10
	s_add_i32 s10, s3, 1
	s_sub_i32 s11, s9, s2
	s_cmp_ge_u32 s9, s2
	s_cselect_b32 s3, s10, s3
	s_cselect_b32 s9, s11, s9
	s_add_i32 s10, s3, 1
	s_cmp_ge_u32 s9, s2
	s_cselect_b32 s2, s10, s3
	s_xor_b32 s2, s2, s7
	s_sub_i32 s16, s2, s7
	s_load_dwordx2 s[2:3], s[4:5], 0x40
	s_abs_i32 s9, s16
	v_cvt_f32_u32_e32 v1, s9
	s_sub_i32 s10, 0, s9
	v_rcp_iflag_f32_e32 v1, v1
	v_mul_f32_e32 v1, 0x4f7ffffe, v1
	v_cvt_u32_f32_e32 v1, v1
	v_readfirstlane_b32 s7, v1
	s_mul_i32 s10, s10, s7
	s_mul_hi_u32 s11, s7, s10
	s_abs_i32 s10, s6
	s_add_i32 s7, s7, s11
	s_waitcnt lgkmcnt(0)
	s_cmp_eq_u64 s[2:3], 0
	s_mul_hi_u32 s11, s10, s7
	s_cbranch_scc1 .LBB112_2
; %bb.1:
	s_ashr_i32 s7, s6, 31
	s_lshl_b64 s[12:13], s[6:7], 2
	s_add_u32 s2, s2, s12
	s_addc_u32 s3, s3, s13
	s_load_dword s24, s[2:3], 0x0
.LBB112_2:
	s_load_dword s36, s[0:1], 0x0
	s_load_dwordx4 s[12:15], s[4:5], 0x48
	v_and_b32_e32 v1, 3, v0
	v_lshlrev_b32_e32 v2, 2, v0
	s_ashr_i32 s0, s6, 31
	s_ashr_i32 s1, s16, 31
	s_mul_i32 s30, s6, 0x70
	s_mov_b32 s2, exec_lo
	v_cmpx_gt_u32_e32 56, v0
	s_cbranch_execz .LBB112_4
; %bb.3:
	s_load_dwordx2 s[16:17], s[4:5], 0x8
	s_waitcnt lgkmcnt(0)
	s_mul_i32 s18, s12, s28
	v_and_b32_e32 v4, 0x3fc, v0
	s_ashr_i32 s19, s18, 31
	s_lshl_b64 s[18:19], s[18:19], 1
	v_mad_u32_u24 v4, v1, 56, v4
	s_add_u32 s3, s16, s18
	s_addc_u32 s7, s17, s19
	s_ashr_i32 s31, s30, 31
	s_lshl_b64 s[16:17], s[30:31], 1
	s_add_u32 s16, s3, s16
	s_addc_u32 s17, s7, s17
	global_load_dword v3, v2, s[16:17]
	s_waitcnt vmcnt(0)
	ds_write_b32 v4, v3
.LBB112_4:
	s_or_b32 exec_lo, exec_lo, s2
	s_load_dwordx4 s[16:19], s[4:5], 0x68
	s_mul_i32 s2, s11, s9
	s_xor_b32 s1, s0, s1
	s_sub_i32 s0, s10, s2
	s_add_i32 s2, s11, 1
	s_sub_i32 s3, s0, s9
	s_cmp_ge_u32 s0, s9
	s_waitcnt lgkmcnt(0)
	s_cselect_b32 s2, s2, s11
	s_cselect_b32 s0, s3, s0
	s_add_i32 s3, s2, 1
	s_cmp_ge_u32 s0, s9
	s_load_dword s0, s[4:5], 0x78
	s_cselect_b32 s2, s3, s2
	s_add_i32 s7, s36, -1
	s_xor_b32 s2, s2, s1
	s_abs_i32 s3, s7
	s_sub_i32 s1, s2, s1
	s_mov_b32 s9, -1
	s_barrier
	s_abs_i32 s31, s19
	s_waitcnt lgkmcnt(0)
	buffer_gl0_inv
	v_cvt_f32_u32_e32 v3, s31
	s_sub_i32 s2, 0, s31
                                        ; implicit-def: $sgpr38
	v_rcp_iflag_f32_e32 v3, v3
	v_mul_f32_e32 v3, 0x4f7ffffe, v3
	v_cvt_u32_f32_e32 v3, v3
	v_readfirstlane_b32 s37, v3
	s_mul_i32 s2, s2, s37
	s_mul_hi_u32 s2, s37, s2
	s_add_i32 s37, s37, s2
	s_cmp_lt_i32 s0, 0
	s_mul_hi_u32 s2, s3, s37
	s_cbranch_scc0 .LBB112_6
; %bb.5:
	s_mul_i32 s9, s16, s22
	s_add_i32 s9, s1, s9
	s_mul_i32 s9, s9, s0
	s_sub_i32 s38, 1, s9
	s_mov_b32 s9, 0
.LBB112_6:
	s_load_dwordx2 s[10:11], s[4:5], 0x28
	s_ashr_i32 s7, s7, 31
	s_andn2_b32 vcc_lo, exec_lo, s9
	s_ashr_i32 s39, s19, 31
	s_cbranch_vccnz .LBB112_8
; %bb.7:
	s_mul_i32 s9, s33, s16
	s_add_i32 s6, s9, s6
	s_mul_i32 s0, s6, s0
	s_add_i32 s38, s0, 1
.LBB112_8:
	s_load_dword s0, s[4:5], 0x38
	s_mul_i32 s6, s2, s31
	s_xor_b32 s9, s7, s39
	s_sub_i32 s3, s3, s6
	s_add_i32 s12, s2, 1
	s_clause 0x2
	s_load_dwordx2 s[34:35], s[4:5], 0x0
	s_load_dwordx2 s[20:21], s[4:5], 0x18
	s_load_dword s29, s[4:5], 0x88
	v_lshrrev_b32_e32 v23, 5, v0
	v_mov_b32_e32 v5, 0xff7fffff
	v_lshrrev_b32_e32 v3, 3, v0
	v_mbcnt_lo_u32_b32 v4, -1, 0
	s_mul_i32 s14, s1, s14
	v_lshlrev_b32_e32 v24, 3, v23
	s_waitcnt lgkmcnt(0)
	s_mul_i32 s6, s0, s28
	s_sub_i32 s0, s3, s31
	s_ashr_i32 s7, s6, 31
	s_cmp_ge_u32 s3, s31
	s_cselect_b32 s2, s12, s2
	s_cselect_b32 s0, s0, s3
	s_add_i32 s3, s2, 1
	s_cmp_ge_u32 s0, s31
	s_cselect_b32 s0, s3, s2
	s_add_i32 s2, s36, 7
	s_ashr_i32 s3, s2, 31
	s_lshr_b32 s3, s3, 29
	s_add_i32 s2, s2, s3
	s_ashr_i32 s40, s2, 3
	s_xor_b32 s2, s0, s9
	v_cmp_gt_i32_e64 s0, s40, v23
	s_sub_i32 s9, s2, s9
	s_and_saveexec_b32 s12, s0
	s_cbranch_execz .LBB112_20
; %bb.9:
	s_load_dwordx2 s[2:3], s[4:5], 0x10
	s_ashr_i32 s15, s14, 31
	s_sub_i32 s4, s9, s17
	s_lshl_b64 s[26:27], s[14:15], 1
	v_bfe_u32 v6, v0, 2, 3
	v_and_b32_e32 v13, 12, v2
	v_cmp_eq_u32_e32 vcc_lo, 0, v1
	v_mul_u32_u24_e32 v7, 56, v1
	v_and_b32_e32 v1, 0x7c, v3
	v_lshlrev_b32_e32 v2, 2, v6
	v_subrev_nc_u32_e32 v12, s36, v6
	v_lshlrev_b32_e32 v14, 4, v6
	v_cmp_neq_f32_e64 s1, s24, 0
	v_lshlrev_b32_e32 v8, 3, v23
	v_lshl_or_b32 v2, v23, 5, v2
	v_xor_b32_e32 v9, 2, v4
	v_xor_b32_e32 v10, 1, v4
	s_waitcnt lgkmcnt(0)
	s_add_u32 s15, s2, s26
	s_addc_u32 s16, s3, s27
	s_abs_i32 s5, s18
	v_add_co_u32 v14, s15, s15, v14
	v_cvt_f32_u32_e32 v5, s5
	s_sub_i32 s2, 0, s5
	v_add_co_ci_u32_e64 v16, null, s16, 0, s15
	s_mov_b32 s15, 0
	v_rcp_iflag_f32_e32 v5, v5
	s_mov_b32 s16, s13
	v_mul_f32_e32 v11, 0x4f7ffffe, v5
	v_mov_b32_e32 v5, 0xff7fffff
	v_cvt_u32_f32_e32 v15, v11
	v_add_nc_u32_e32 v11, 1, v12
	v_add_nc_u32_e32 v12, 0x100, v2
	v_mul_lo_u32 v2, s2, v15
	s_lshl_b64 s[2:3], s[6:7], 2
	s_add_u32 s2, s10, s2
	s_addc_u32 s3, s11, s3
	v_add_co_u32 v1, s2, s2, v1
	v_mul_hi_u32 v17, v15, v2
	v_add_co_ci_u32_e64 v2, null, s3, 0, s2
	v_add_co_u32 v13, s2, v14, v13
	v_add_co_ci_u32_e64 v14, null, 0, v16, s2
	v_mov_b32_e32 v16, v23
	v_add_nc_u32_e32 v15, v15, v17
	s_branch .LBB112_12
.LBB112_10:                             ;   in Loop: Header=BB112_12 Depth=1
	s_or_b32 exec_lo, exec_lo, s19
.LBB112_11:                             ;   in Loop: Header=BB112_12 Depth=1
	s_or_b32 exec_lo, exec_lo, s3
	v_add_nc_u32_e32 v16, 4, v16
	v_add_co_u32 v1, s3, v1, 16
	v_add_co_ci_u32_e64 v2, null, 0, v2, s3
	v_cmp_le_i32_e64 s2, s40, v16
	v_add_nc_u32_e32 v8, 32, v8
	v_add_nc_u32_e32 v12, 0x80, v12
	s_or_b32 s15, s2, s15
	s_andn2_b32 exec_lo, exec_lo, s15
	s_cbranch_execz .LBB112_19
.LBB112_12:                             ; =>This Inner Loop Header: Depth=1
	v_mul_hi_u32 v17, v8, s37
	s_waitcnt lgkmcnt(0)
	v_mul_lo_u32 v18, v17, s31
	v_add_nc_u32_e32 v19, 1, v17
	v_sub_nc_u32_e32 v18, v8, v18
	v_subrev_nc_u32_e32 v20, s31, v18
	v_cmp_le_u32_e64 s2, s31, v18
	v_cndmask_b32_e64 v17, v17, v19, s2
	v_cndmask_b32_e64 v18, v18, v20, s2
	v_add_nc_u32_e32 v19, 1, v17
	v_cmp_le_u32_e64 s2, s31, v18
	v_cndmask_b32_e64 v17, v17, v19, s2
	v_xor_b32_e32 v17, s39, v17
	v_subrev_nc_u32_e32 v17, s39, v17
	v_add_nc_u32_e32 v18, s38, v17
	v_cmp_ge_i32_e64 s3, s4, v17
	v_sub_nc_u32_e32 v19, 0, v18
	v_max_i32_e32 v19, v18, v19
	v_ashrrev_i32_e32 v18, 31, v18
	v_mul_hi_u32 v20, v19, v15
	v_mul_lo_u32 v20, v20, s5
	v_sub_nc_u32_e32 v19, v19, v20
	v_subrev_nc_u32_e32 v20, s5, v19
	v_cmp_le_u32_e64 s2, s5, v19
	v_cndmask_b32_e64 v19, v19, v20, s2
	v_subrev_nc_u32_e32 v20, s5, v19
	v_cmp_le_u32_e64 s2, s5, v19
	v_cndmask_b32_e64 v19, v19, v20, s2
	v_xor_b32_e32 v19, v19, v18
	v_sub_nc_u32_e32 v18, v19, v18
	v_cmp_ne_u32_e64 s2, 0, v18
	s_and_b32 s2, s2, s3
	s_and_saveexec_b32 s3, s2
	s_xor_b32 s2, exec_lo, s3
	s_cbranch_execz .LBB112_16
; %bb.13:                               ;   in Loop: Header=BB112_12 Depth=1
	s_and_saveexec_b32 s3, vcc_lo
; %bb.14:                               ;   in Loop: Header=BB112_12 Depth=1
	v_mov_b32_e32 v17, 0xff7fffff
	ds_write_b32 v12, v17
; %bb.15:                               ;   in Loop: Header=BB112_12 Depth=1
	s_or_b32 exec_lo, exec_lo, s3
.LBB112_16:                             ;   in Loop: Header=BB112_12 Depth=1
	s_andn2_saveexec_b32 s3, s2
	s_cbranch_execz .LBB112_11
; %bb.17:                               ;   in Loop: Header=BB112_12 Depth=1
	global_load_dword v17, v[1:2], off
	s_waitcnt vmcnt(0)
	v_mad_i64_i32 v[17:18], null, v17, s16, 0
	v_lshlrev_b64 v[17:18], 1, v[17:18]
	v_add_co_u32 v17, s2, v13, v17
	v_add_co_ci_u32_e64 v18, null, v14, v18, s2
	v_cmp_gt_i32_e64 s2, 32, v9
	s_clause 0xd
	global_load_dword v33, v[17:18], off offset:128
	global_load_dword v34, v[17:18], off offset:256
	global_load_dword v35, v[17:18], off offset:384
	global_load_dword v36, v[17:18], off offset:512
	global_load_dword v37, v[17:18], off offset:640
	global_load_dword v38, v[17:18], off offset:768
	global_load_dword v39, v[17:18], off offset:896
	global_load_dword v40, v[17:18], off
	global_load_dword v41, v[17:18], off offset:1024
	global_load_dword v42, v[17:18], off offset:1152
	;; [unrolled: 1-line block ×6, first 2 shown]
	ds_read2_b64 v[17:20], v7 offset1:1
	ds_read2_b64 v[25:28], v7 offset0:2 offset1:3
	ds_read2_b64 v[29:32], v7 offset0:4 offset1:5
	ds_read_b64 v[21:22], v7 offset:48
	s_waitcnt lgkmcnt(3)
	v_lshlrev_b32_e32 v48, 16, v18
	v_and_b32_e32 v18, 0xffff0000, v18
	v_lshlrev_b32_e32 v47, 16, v17
	v_and_b32_e32 v17, 0xffff0000, v17
	;; [unrolled: 2-line block ×3, first 2 shown]
	v_lshlrev_b32_e32 v50, 16, v20
	s_waitcnt lgkmcnt(2)
	v_lshlrev_b32_e32 v51, 16, v25
	v_lshlrev_b32_e32 v52, 16, v26
	;; [unrolled: 1-line block ×4, first 2 shown]
	s_waitcnt lgkmcnt(1)
	v_lshlrev_b32_e32 v55, 16, v29
	v_lshlrev_b32_e32 v56, 16, v30
	;; [unrolled: 1-line block ×4, first 2 shown]
	s_waitcnt lgkmcnt(0)
	v_lshlrev_b32_e32 v59, 16, v21
	v_lshlrev_b32_e32 v60, 16, v22
	s_waitcnt vmcnt(13)
	v_lshlrev_b32_e32 v61, 16, v33
	v_and_b32_e32 v33, 0xffff0000, v33
	v_mul_f32_e32 v48, v48, v61
	v_mul_f32_e32 v18, v18, v33
	s_waitcnt vmcnt(6)
	v_lshlrev_b32_e32 v62, 16, v40
	v_and_b32_e32 v40, 0xffff0000, v40
	v_lshlrev_b32_e32 v33, 16, v34
	v_and_b32_e32 v34, 0xffff0000, v34
	v_fmac_f32_e32 v48, v47, v62
	v_fmac_f32_e32 v18, v17, v40
	v_and_b32_e32 v17, 0xffff0000, v20
	v_lshlrev_b32_e32 v20, 16, v35
	v_and_b32_e32 v35, 0xffff0000, v35
	v_fmac_f32_e32 v48, v49, v33
	v_fmac_f32_e32 v18, v19, v34
	;; [unrolled: 5-line block ×6, first 2 shown]
	v_and_b32_e32 v19, 0xffff0000, v29
	s_waitcnt vmcnt(5)
	v_lshlrev_b32_e32 v25, 16, v41
	v_and_b32_e32 v27, 0xffff0000, v41
	v_fmac_f32_e32 v48, v54, v20
	v_fmac_f32_e32 v18, v17, v26
	v_and_b32_e32 v17, 0xffff0000, v30
	s_waitcnt vmcnt(4)
	v_lshlrev_b32_e32 v20, 16, v42
	v_and_b32_e32 v26, 0xffff0000, v42
	v_fmac_f32_e32 v48, v55, v25
	v_fmac_f32_e32 v18, v19, v27
	;; [unrolled: 6-line block ×6, first 2 shown]
	v_cndmask_b32_e64 v19, v4, v9, s2
	v_cmp_gt_i32_e64 s2, 32, v10
	v_fmac_f32_e32 v48, v60, v20
	v_fmac_f32_e32 v18, v17, v22
	v_lshlrev_b32_e32 v17, 2, v19
	v_cndmask_b32_e64 v19, v4, v10, s2
	v_add_f32_e32 v18, v48, v18
	v_lshlrev_b32_e32 v19, 2, v19
	ds_bpermute_b32 v17, v17, v18
	s_waitcnt lgkmcnt(0)
	v_add_f32_e32 v17, v18, v17
	ds_bpermute_b32 v18, v19, v17
	s_and_saveexec_b32 s19, vcc_lo
	s_cbranch_execz .LBB112_10
; %bb.18:                               ;   in Loop: Header=BB112_12 Depth=1
	v_add_nc_u32_e32 v19, v11, v8
	s_waitcnt lgkmcnt(0)
	v_add_f32_e32 v17, v17, v18
	v_cvt_f32_i32_e32 v19, v19
	v_mul_f32_e32 v19, s24, v19
	v_cndmask_b32_e64 v18, 0, v19, s1
	v_max_f32_e32 v19, v5, v5
	v_fmac_f32_e32 v18, s23, v17
	v_add_nc_u32_e32 v17, v6, v8
	v_max_f32_e32 v19, v19, v18
	v_cmp_gt_i32_e64 s2, s36, v17
	v_cndmask_b32_e64 v17, 0, v18, s2
	v_cndmask_b32_e64 v5, v5, v19, s2
	ds_write_b32 v12, v17
	s_branch .LBB112_10
.LBB112_19:
	s_or_b32 exec_lo, exec_lo, s15
.LBB112_20:
	s_or_b32 exec_lo, exec_lo, s12
	v_xor_b32_e32 v1, 16, v4
	v_xor_b32_e32 v6, 8, v4
	v_and_b32_e32 v25, 31, v0
	v_cmp_gt_i32_e32 vcc_lo, 32, v1
	v_cndmask_b32_e32 v1, v4, v1, vcc_lo
	v_cmp_gt_i32_e32 vcc_lo, 32, v6
	v_lshlrev_b32_e32 v1, 2, v1
	v_cndmask_b32_e32 v6, v4, v6, vcc_lo
	ds_bpermute_b32 v2, v1, v5
	v_max_f32_e32 v5, v5, v5
	s_waitcnt lgkmcnt(0)
	v_max_f32_e32 v7, v2, v2
	v_lshlrev_b32_e32 v2, 2, v6
	v_max_f32_e32 v5, v5, v7
	v_xor_b32_e32 v7, 4, v4
	ds_bpermute_b32 v6, v2, v5
	v_cmp_gt_i32_e32 vcc_lo, 32, v7
	v_cndmask_b32_e32 v7, v4, v7, vcc_lo
	v_cmp_eq_u32_e32 vcc_lo, 0, v25
	v_lshlrev_b32_e32 v7, 2, v7
	s_waitcnt lgkmcnt(0)
	v_max_f32_e32 v6, v6, v6
	v_max_f32_e32 v6, v5, v6
	v_lshlrev_b32_e32 v5, 2, v23
	ds_bpermute_b32 v8, v7, v6
	s_and_saveexec_b32 s1, vcc_lo
	s_cbranch_execz .LBB112_22
; %bb.21:
	s_waitcnt lgkmcnt(0)
	v_max_f32_e32 v8, v8, v8
	v_max_f32_e32 v6, v6, v6
	;; [unrolled: 1-line block ×3, first 2 shown]
	ds_write_b32 v5, v6 offset:224
.LBB112_22:
	s_or_b32 exec_lo, exec_lo, s1
	v_cmp_gt_u32_e64 s1, 4, v25
	v_mov_b32_e32 v9, 0xff7fffff
	v_lshlrev_b32_e32 v6, 2, v25
	s_waitcnt lgkmcnt(0)
	s_barrier
	buffer_gl0_inv
	s_and_saveexec_b32 s2, s1
; %bb.23:
	ds_read_b32 v9, v6 offset:224
; %bb.24:
	s_or_b32 exec_lo, exec_lo, s2
	v_xor_b32_e32 v8, 2, v4
	v_xor_b32_e32 v11, 1, v4
	v_lshl_add_u32 v26, v0, 2, 0x100
	v_cmp_gt_i32_e64 s2, 32, v8
	v_cndmask_b32_e64 v8, v4, v8, s2
	v_cmp_gt_i32_e64 s2, 32, v11
	v_lshlrev_b32_e32 v8, 2, v8
	v_cndmask_b32_e64 v4, v4, v11, s2
	s_lshl_b32 s2, s40, 3
	s_min_i32 s4, s2, s36
	s_waitcnt lgkmcnt(0)
	ds_bpermute_b32 v10, v8, v9
	v_max_f32_e32 v9, v9, v9
	v_lshlrev_b32_e32 v4, 2, v4
	v_cmp_gt_i32_e64 s2, s4, v0
	s_waitcnt lgkmcnt(0)
	v_max_f32_e32 v10, v10, v10
	v_max_f32_e32 v9, v9, v10
	ds_bpermute_b32 v10, v4, v9
	s_waitcnt lgkmcnt(0)
	v_max_f32_e32 v10, v10, v10
	v_max_f32_e32 v10, v9, v10
	v_mov_b32_e32 v9, 0
	ds_bpermute_b32 v10, v9, v10
	s_and_saveexec_b32 s5, s2
	s_cbranch_execz .LBB112_28
; %bb.25:
	v_lshl_add_u32 v11, v0, 2, 0x100
	v_mov_b32_e32 v9, 0
	v_mov_b32_e32 v12, v0
	s_mov_b32 s12, 0
	.p2align	6
.LBB112_26:                             ; =>This Inner Loop Header: Depth=1
	ds_read_b32 v13, v11
	v_add_nc_u32_e32 v12, 0x80, v12
	v_cmp_le_i32_e64 s3, s4, v12
	s_or_b32 s12, s3, s12
	s_waitcnt lgkmcnt(0)
	v_sub_f32_e32 v13, v13, v10
	v_mul_f32_e32 v13, 0x3fb8aa3b, v13
	v_exp_f32_e32 v13, v13
	ds_write_b32 v11, v13
	v_add_f32_e32 v9, v9, v13
	v_add_nc_u32_e32 v11, 0x200, v11
	s_andn2_b32 exec_lo, exec_lo, s12
	s_cbranch_execnz .LBB112_26
; %bb.27:
	s_or_b32 exec_lo, exec_lo, s12
.LBB112_28:
	s_or_b32 exec_lo, exec_lo, s5
	ds_bpermute_b32 v1, v1, v9
	s_waitcnt lgkmcnt(0)
	v_add_f32_e32 v1, v9, v1
	ds_bpermute_b32 v2, v2, v1
	s_waitcnt lgkmcnt(0)
	v_add_f32_e32 v1, v1, v2
	;; [unrolled: 3-line block ×5, first 2 shown]
	s_and_saveexec_b32 s3, vcc_lo
; %bb.29:
	ds_write_b32 v5, v1 offset:240
; %bb.30:
	s_or_b32 exec_lo, exec_lo, s3
	s_waitcnt lgkmcnt(0)
	s_barrier
	buffer_gl0_inv
	s_and_saveexec_b32 s3, s1
; %bb.31:
	ds_read_b32 v1, v6 offset:240
; %bb.32:
	s_or_b32 exec_lo, exec_lo, s3
	s_waitcnt lgkmcnt(0)
	ds_bpermute_b32 v2, v8, v1
	s_waitcnt lgkmcnt(0)
	v_add_f32_e32 v1, v1, v2
	ds_bpermute_b32 v2, v4, v1
	s_waitcnt lgkmcnt(0)
	v_add_f32_e32 v1, v1, v2
	v_mov_b32_e32 v2, 0
	ds_bpermute_b32 v1, v2, v1
	s_and_saveexec_b32 s1, s2
	s_cbranch_execz .LBB112_35
; %bb.33:
	s_waitcnt lgkmcnt(0)
	v_add_f32_e32 v2, 0x358637bd, v1
	s_mov_b32 s2, 0
	v_div_scale_f32 v1, null, v2, v2, 1.0
	v_div_scale_f32 v6, vcc_lo, 1.0, v2, 1.0
	v_rcp_f32_e32 v4, v1
	v_fma_f32 v5, -v1, v4, 1.0
	v_fmac_f32_e32 v4, v5, v4
	v_mul_f32_e32 v5, v6, v4
	v_fma_f32 v7, -v1, v5, v6
	v_fmac_f32_e32 v5, v7, v4
	v_fma_f32 v1, -v1, v5, v6
	v_div_fmas_f32 v4, v1, v4, v5
	v_mov_b32_e32 v1, v26
	v_div_fixup_f32 v2, v4, v2, 1.0
	v_mov_b32_e32 v4, v0
.LBB112_34:                             ; =>This Inner Loop Header: Depth=1
	ds_read_b32 v5, v1
	v_add_nc_u32_e32 v4, 0x80, v4
	v_cmp_le_i32_e32 vcc_lo, s4, v4
	s_or_b32 s2, vcc_lo, s2
	s_waitcnt lgkmcnt(0)
	v_mul_f32_e32 v5, v2, v5
	ds_write_b32 v1, v5
	v_add_nc_u32_e32 v1, 0x200, v1
	s_andn2_b32 exec_lo, exec_lo, s2
	s_cbranch_execnz .LBB112_34
.LBB112_35:
	s_or_b32 exec_lo, exec_lo, s1
	v_mov_b32_e32 v30, 0
	v_mov_b32_e32 v29, 0
	;; [unrolled: 1-line block ×4, first 2 shown]
	s_waitcnt lgkmcnt(0)
	s_barrier
	buffer_gl0_inv
	s_and_saveexec_b32 s41, s0
	s_cbranch_execz .LBB112_51
; %bb.36:
	s_ashr_i32 s15, s14, 31
	s_sub_i32 s42, s9, s17
	s_lshl_b64 s[0:1], s[14:15], 1
	v_lshlrev_b32_e32 v2, 3, v25
	s_add_u32 s43, s20, s0
	s_addc_u32 s44, s21, s1
	s_abs_i32 s45, s18
	v_or_b32_e32 v4, 0x60, v25
	v_cvt_f32_u32_e32 v1, s45
	s_sub_i32 s0, 0, s45
	v_lshlrev_b32_e32 v33, 1, v2
	v_and_b32_e32 v3, 0x7c, v3
	s_lshl_b64 s[2:3], s[6:7], 2
	v_rcp_iflag_f32_e32 v1, v1
	s_add_i32 s46, s40, -1
	s_add_u32 s1, s10, s2
	s_addc_u32 s2, s11, s3
	v_add_co_u32 v21, s1, s1, v3
	v_mov_b32_e32 v31, 0
	v_lshl_add_u32 v32, v23, 5, 0x100
	v_mov_b32_e32 v27, 0
	v_mov_b32_e32 v28, 0
	v_mul_f32_e32 v1, 0x4f7ffffe, v1
	v_mov_b32_e32 v29, 0
	v_mov_b32_e32 v30, 0
	v_add_co_ci_u32_e64 v22, null, s2, 0, s1
	v_cvt_u32_f32_e32 v1, v1
	v_mov_b32_e32 v36, v23
	s_mov_b32 s47, s13
	s_mov_b32 s49, s36
	;; [unrolled: 1-line block ×3, first 2 shown]
	v_mul_lo_u32 v5, s0, v1
	v_cmp_gt_u32_e64 s0, 0x70, v4
	v_lshlrev_b32_e32 v4, 3, v4
	v_lshlrev_b32_e32 v34, 1, v4
	v_mul_hi_u32 v2, v1, v5
	v_add_nc_u32_e32 v35, v1, v2
	s_branch .LBB112_40
.LBB112_37:                             ;   in Loop: Header=BB112_40 Depth=1
	s_or_b32 exec_lo, exec_lo, s52
	v_perm_b32 v14, v51, v50, 0x7060302
	s_waitcnt vmcnt(0)
	v_and_b32_e32 v38, 0xffff0000, v1
	v_perm_b32 v15, v53, v52, 0x7060302
	v_lshlrev_b32_e32 v1, 16, v1
	v_and_b32_e32 v51, 0xffff0000, v2
	v_and_b32_e32 v50, 0xffff0000, v14
	v_lshlrev_b32_e32 v14, 16, v14
	v_lshlrev_b32_e32 v2, 16, v2
	v_perm_b32 v16, v55, v54, 0x7060302
	v_perm_b32 v37, v57, v56, 0x7060302
	v_mul_f32_e32 v38, v50, v38
	v_and_b32_e32 v50, 0xffff0000, v15
	v_lshlrev_b32_e32 v15, 16, v15
	v_mul_f32_e32 v1, v14, v1
	v_and_b32_e32 v14, 0xffff0000, v3
	v_bfe_u32 v52, v38, 16, 1
	v_mul_f32_e32 v50, v50, v51
	v_mul_f32_e32 v2, v15, v2
	v_bfe_u32 v15, v1, 16, 1
	v_or_b32_e32 v51, 0x400000, v38
	v_add3_u32 v52, v52, v38, 0x7fff
	v_cmp_u_f32_e32 vcc_lo, v38, v38
	v_or_b32_e32 v53, 0x400000, v1
	v_bfe_u32 v54, v50, 16, 1
	v_add3_u32 v15, v15, v1, 0x7fff
	v_lshlrev_b32_e32 v3, 16, v3
	v_cndmask_b32_e32 v38, v52, v51, vcc_lo
	v_and_b32_e32 v51, 0xffff0000, v16
	v_cmp_u_f32_e32 vcc_lo, v1, v1
	v_or_b32_e32 v52, 0x400000, v50
	v_lshlrev_b32_e32 v16, 16, v16
	v_and_b32_e32 v38, 0xffff0000, v38
	v_mul_f32_e32 v14, v51, v14
	v_cndmask_b32_e32 v1, v15, v53, vcc_lo
	v_add3_u32 v15, v54, v50, 0x7fff
	v_bfe_u32 v53, v2, 16, 1
	v_cmp_u_f32_e32 vcc_lo, v50, v50
	v_or_b32_e32 v51, 0x400000, v2
	v_mul_f32_e32 v3, v16, v3
	v_and_b32_e32 v16, 0xffff0000, v4
	v_add3_u32 v50, v53, v2, 0x7fff
	v_cndmask_b32_e32 v15, v15, v52, vcc_lo
	v_bfe_u32 v52, v14, 16, 1
	v_and_b32_e32 v53, 0xffff0000, v37
	v_lshlrev_b32_e32 v4, 16, v4
	v_lshlrev_b32_e32 v37, 16, v37
	v_cmp_u_f32_e32 vcc_lo, v2, v2
	v_and_b32_e32 v1, 0xffff0000, v1
	v_mul_f32_e32 v16, v53, v16
	v_and_b32_e32 v15, 0xffff0000, v15
	v_mul_f32_e32 v4, v37, v4
	v_cndmask_b32_e32 v2, v50, v51, vcc_lo
	v_bfe_u32 v50, v3, 16, 1
	v_add3_u32 v51, v52, v14, 0x7fff
	v_or_b32_e32 v37, 0x400000, v14
	v_cmp_u_f32_e32 vcc_lo, v14, v14
	v_or_b32_e32 v52, 0x400000, v3
	v_add3_u32 v50, v50, v3, 0x7fff
	v_bfe_u32 v54, v4, 16, 1
	v_bfe_u32 v53, v16, 16, 1
	v_cndmask_b32_e32 v14, v51, v37, vcc_lo
	v_cmp_u_f32_e32 vcc_lo, v3, v3
	v_or_b32_e32 v51, 0x400000, v4
	v_and_b32_e32 v2, 0xffff0000, v2
	v_add3_u32 v37, v53, v16, 0x7fff
	v_add_f32_e32 v1, v1, v38
	v_cndmask_b32_e32 v3, v50, v52, vcc_lo
	v_add3_u32 v50, v54, v4, 0x7fff
	v_cmp_u_f32_e32 vcc_lo, v4, v4
	v_or_b32_e32 v52, 0x400000, v16
	v_add_f32_e32 v2, v2, v15
	v_and_b32_e32 v3, 0xffff0000, v3
	v_and_b32_e32 v14, 0xffff0000, v14
	v_cndmask_b32_e32 v4, v50, v51, vcc_lo
	v_cmp_u_f32_e32 vcc_lo, v16, v16
	v_add_f32_e32 v1, v2, v1
	v_add_f32_e32 v2, v3, v14
	v_and_b32_e32 v3, 0xffff0000, v4
	v_cndmask_b32_e32 v15, v37, v52, vcc_lo
	v_add_f32_e32 v1, v2, v1
	v_and_b32_e32 v4, 0xffff0000, v15
	v_add_f32_e32 v2, v3, v4
	v_add_f32_e32 v1, v2, v1
	v_add_f32_e32 v27, v27, v1
.LBB112_38:                             ;   in Loop: Header=BB112_40 Depth=1
	s_or_b32 exec_lo, exec_lo, s51
	v_bfe_u32 v1, v47, 16, 1
	v_or_b32_e32 v2, 0x400000, v47
	v_bfe_u32 v3, v46, 16, 1
	v_bfe_u32 v14, v45, 16, 1
	;; [unrolled: 1-line block ×3, first 2 shown]
	v_add3_u32 v1, v1, v47, 0x7fff
	v_bfe_u32 v16, v49, 16, 1
	v_or_b32_e32 v4, 0x400000, v46
	v_add3_u32 v3, v3, v46, 0x7fff
	v_add3_u32 v14, v14, v45, 0x7fff
	v_cndmask_b32_e64 v1, v1, v2, s25
	v_or_b32_e32 v2, 0x400000, v45
	v_add3_u32 v15, v15, v44, 0x7fff
	v_or_b32_e32 v37, 0x400000, v44
	v_add3_u32 v16, v16, v49, 0x7fff
	v_or_b32_e32 v38, 0x400000, v49
	v_bfe_u32 v44, v48, 16, 1
	v_cndmask_b32_e64 v3, v3, v4, s21
	v_cndmask_b32_e64 v2, v14, v2, s22
	;; [unrolled: 1-line block ×4, first 2 shown]
	v_add3_u32 v15, v44, v48, 0x7fff
	v_or_b32_e32 v16, 0x400000, v48
	v_bfe_u32 v37, v43, 16, 1
	v_and_b32_e32 v3, 0xffff0000, v3
	v_and_b32_e32 v1, 0xffff0000, v1
	;; [unrolled: 1-line block ×4, first 2 shown]
	v_cndmask_b32_e64 v15, v15, v16, s24
	v_add3_u32 v37, v37, v43, 0x7fff
	v_add_f32_e32 v1, v3, v1
	v_bfe_u32 v16, v41, 16, 1
	v_add_f32_e32 v2, v4, v2
	v_and_b32_e32 v3, 0xffff0000, v15
	v_and_b32_e32 v4, 0xffff0000, v14
	v_or_b32_e32 v14, 0x400000, v43
	v_add3_u32 v15, v16, v41, 0x7fff
	v_add_f32_e32 v1, v2, v1
	v_or_b32_e32 v16, 0x400000, v41
	v_add_f32_e32 v2, v3, v4
	v_cndmask_b32_e64 v3, v37, v14, s20
	v_bfe_u32 v4, v19, 16, 1
	v_or_b32_e32 v37, 0x400000, v40
	v_cndmask_b32_e64 v14, v15, v16, s18
	v_add_f32_e32 v1, v2, v1
	v_and_b32_e32 v2, 0xffff0000, v3
	v_add3_u32 v3, v4, v19, 0x7fff
	v_or_b32_e32 v4, 0x400000, v19
	v_bfe_u32 v15, v42, 16, 1
	v_bfe_u32 v19, v40, 16, 1
	v_or_b32_e32 v16, 0x400000, v42
	v_or_b32_e32 v38, 0x400000, v39
	v_cndmask_b32_e64 v3, v3, v4, s16
	v_bfe_u32 v4, v39, 16, 1
	v_add3_u32 v15, v15, v42, 0x7fff
	v_add3_u32 v19, v19, v40, 0x7fff
	v_and_b32_e32 v14, 0xffff0000, v14
	v_and_b32_e32 v3, 0xffff0000, v3
	v_add3_u32 v4, v4, v39, 0x7fff
	v_cndmask_b32_e64 v15, v15, v16, s19
	v_bfe_u32 v16, v20, 16, 1
	v_cndmask_b32_e64 v19, v19, v37, s17
	v_bfe_u32 v39, v17, 16, 1
	v_cndmask_b32_e64 v4, v4, v38, s14
	v_and_b32_e32 v15, 0xffff0000, v15
	v_add3_u32 v16, v16, v20, 0x7fff
	v_or_b32_e32 v20, 0x400000, v20
	v_and_b32_e32 v19, 0xffff0000, v19
	v_and_b32_e32 v4, 0xffff0000, v4
	v_bfe_u32 v37, v18, 16, 1
	v_add_f32_e32 v3, v15, v3
	v_cndmask_b32_e64 v16, v16, v20, s15
	v_add3_u32 v20, v39, v17, 0x7fff
	v_or_b32_e32 v17, 0x400000, v17
	v_add_f32_e32 v4, v4, v19
	v_add3_u32 v37, v37, v18, 0x7fff
	v_or_b32_e32 v18, 0x400000, v18
	v_and_b32_e32 v16, 0xffff0000, v16
	v_cndmask_b32_e64 v15, v20, v17, s11
	v_add_f32_e32 v3, v4, v3
	v_bfe_u32 v4, v11, 16, 1
	v_cndmask_b32_e64 v17, v37, v18, s12
	v_bfe_u32 v18, v12, 16, 1
	v_and_b32_e32 v15, 0xffff0000, v15
	v_bfe_u32 v19, v8, 16, 1
	v_add3_u32 v4, v4, v11, 0x7fff
	v_or_b32_e32 v11, 0x400000, v11
	v_add3_u32 v18, v18, v12, 0x7fff
	v_or_b32_e32 v12, 0x400000, v12
	v_add_f32_e32 v15, v15, v16
	v_bfe_u32 v16, v7, 16, 1
	v_cndmask_b32_e64 v4, v4, v11, s10
	v_bfe_u32 v11, v10, 16, 1
	v_cndmask_b32_e64 v12, v18, v12, s9
	v_bfe_u32 v18, v9, 16, 1
	v_add3_u32 v16, v16, v7, 0x7fff
	v_or_b32_e32 v7, 0x400000, v7
	v_add3_u32 v11, v11, v10, 0x7fff
	v_or_b32_e32 v10, 0x400000, v10
	v_bfe_u32 v38, v13, 16, 1
	v_add3_u32 v18, v18, v9, 0x7fff
	v_or_b32_e32 v9, 0x400000, v9
	v_add3_u32 v19, v19, v8, 0x7fff
	v_or_b32_e32 v8, 0x400000, v8
	v_bfe_u32 v20, v6, 16, 1
	v_cndmask_b32_e64 v7, v16, v7, s3
	v_cndmask_b32_e64 v10, v11, v10, s5
	v_bfe_u32 v16, v5, 16, 1
	v_add3_u32 v38, v38, v13, 0x7fff
	v_or_b32_e32 v13, 0x400000, v13
	v_cndmask_b32_e64 v9, v18, v9, s6
	v_cndmask_b32_e64 v8, v19, v8, s7
	v_add3_u32 v11, v20, v6, 0x7fff
	v_and_b32_e32 v4, 0xffff0000, v4
	v_and_b32_e32 v12, 0xffff0000, v12
	;; [unrolled: 1-line block ×4, first 2 shown]
	v_or_b32_e32 v6, 0x400000, v6
	v_add3_u32 v16, v16, v5, 0x7fff
	v_or_b32_e32 v5, 0x400000, v5
	v_cndmask_b32_e64 v13, v38, v13, s13
	v_add_f32_e32 v4, v4, v12
	v_add_f32_e32 v7, v10, v7
	v_and_b32_e32 v8, 0xffff0000, v8
	v_and_b32_e32 v9, 0xffff0000, v9
	v_cndmask_b32_e64 v5, v16, v5, s2
	v_cndmask_b32_e64 v6, v11, v6, s1
	v_and_b32_e32 v13, 0xffff0000, v13
	v_and_b32_e32 v10, 0xffff0000, v17
	v_add_f32_e32 v4, v7, v4
	v_add_f32_e32 v7, v8, v9
	v_and_b32_e32 v5, 0xffff0000, v5
	v_and_b32_e32 v6, 0xffff0000, v6
	v_add_f32_e32 v2, v2, v14
	v_add_f32_e32 v3, v15, v3
	;; [unrolled: 1-line block ×11, first 2 shown]
.LBB112_39:                             ;   in Loop: Header=BB112_40 Depth=1
	s_or_b32 exec_lo, exec_lo, s50
	v_add_nc_u32_e32 v36, 4, v36
	v_add_co_u32 v21, s1, v21, 16
	v_add_co_ci_u32_e64 v22, null, 0, v22, s1
	v_cmp_le_i32_e32 vcc_lo, s40, v36
	v_add_nc_u32_e32 v24, 32, v24
	v_add_nc_u32_e32 v32, 0x80, v32
	s_or_b32 s48, vcc_lo, s48
	s_andn2_b32 exec_lo, exec_lo, s48
	s_cbranch_execz .LBB112_50
.LBB112_40:                             ; =>This Inner Loop Header: Depth=1
	v_mul_hi_u32 v1, v24, s37
	v_mul_lo_u32 v2, v1, s31
	v_add_nc_u32_e32 v3, 1, v1
	v_sub_nc_u32_e32 v2, v24, v2
	v_subrev_nc_u32_e32 v4, s31, v2
	v_cmp_le_u32_e32 vcc_lo, s31, v2
	v_cndmask_b32_e32 v1, v1, v3, vcc_lo
	v_cndmask_b32_e32 v2, v2, v4, vcc_lo
	v_add_nc_u32_e32 v3, 1, v1
	v_cmp_le_u32_e32 vcc_lo, s31, v2
	v_cndmask_b32_e32 v1, v1, v3, vcc_lo
	v_xor_b32_e32 v1, s39, v1
	v_subrev_nc_u32_e32 v1, s39, v1
	v_add_nc_u32_e32 v2, s38, v1
	v_cmp_lt_i32_e64 s1, s42, v1
	v_sub_nc_u32_e32 v3, 0, v2
	v_max_i32_e32 v3, v2, v3
	v_ashrrev_i32_e32 v2, 31, v2
	v_mul_hi_u32 v4, v3, v35
	v_mul_lo_u32 v4, v4, s45
	v_sub_nc_u32_e32 v3, v3, v4
	v_subrev_nc_u32_e32 v4, s45, v3
	v_cmp_le_u32_e32 vcc_lo, s45, v3
	v_cndmask_b32_e32 v3, v3, v4, vcc_lo
	v_subrev_nc_u32_e32 v4, s45, v3
	v_cmp_le_u32_e32 vcc_lo, s45, v3
	v_cndmask_b32_e32 v3, v3, v4, vcc_lo
	v_xor_b32_e32 v3, v3, v2
	v_sub_nc_u32_e32 v2, v3, v2
	v_cmp_eq_u32_e32 vcc_lo, 0, v2
	s_or_b32 s1, vcc_lo, s1
	s_and_saveexec_b32 s50, s1
	s_cbranch_execz .LBB112_39
; %bb.41:                               ;   in Loop: Header=BB112_40 Depth=1
	global_load_dword v1, v[21:22], off
	v_cmp_eq_u32_e64 s4, s46, v36
	s_waitcnt vmcnt(0)
	v_mad_i64_i32 v[1:2], null, v1, s47, 0
	v_lshlrev_b64 v[1:2], 1, v[1:2]
	v_add_co_u32 v37, vcc_lo, s43, v1
	v_add_co_ci_u32_e64 v38, null, s44, v2, vcc_lo
	v_add_co_u32 v13, vcc_lo, v37, v33
	v_add_co_ci_u32_e64 v14, null, 0, v38, vcc_lo
	global_load_dwordx4 v[1:4], v[13:14], off
	ds_read2_b64 v[9:12], v32 offset1:1
	ds_read2_b64 v[5:8], v32 offset0:2 offset1:3
	s_and_saveexec_b32 s3, s4
	s_cbranch_execnz .LBB112_48
; %bb.42:                               ;   in Loop: Header=BB112_40 Depth=1
	s_or_b32 exec_lo, exec_lo, s3
	global_load_dwordx4 v[17:20], v[13:14], off offset:512
	s_and_saveexec_b32 s3, s4
	s_cbranch_execnz .LBB112_49
.LBB112_43:                             ;   in Loop: Header=BB112_40 Depth=1
	s_or_b32 exec_lo, exec_lo, s3
	global_load_dwordx4 v[13:16], v[13:14], off offset:1024
	s_and_saveexec_b32 s3, s4
	s_cbranch_execz .LBB112_45
.LBB112_44:                             ;   in Loop: Header=BB112_40 Depth=1
	v_add_nc_u32_e32 v39, 1, v24
	v_or_b32_e32 v40, 3, v24
	v_cmp_gt_i32_e32 vcc_lo, s36, v24
	v_or_b32_e32 v41, 2, v24
	v_or_b32_e32 v43, 7, v24
	v_cmp_gt_i32_e64 s1, s49, v40
	s_waitcnt vmcnt(0)
	v_cndmask_b32_e32 v42, 0, v13, vcc_lo
	v_cmp_gt_i32_e32 vcc_lo, s49, v39
	v_cmp_gt_i32_e64 s2, s36, v41
	v_or_b32_e32 v40, 5, v24
	v_or_b32_e32 v41, 4, v24
	v_cndmask_b32_sdwa v13, v31, v13, vcc_lo dst_sel:DWORD dst_unused:UNUSED_PAD src0_sel:DWORD src1_sel:WORD_1
	s_mov_b32 vcc_lo, s1
	v_cndmask_b32_e64 v39, 0, v14, s2
	v_cndmask_b32_sdwa v14, v31, v14, vcc_lo dst_sel:DWORD dst_unused:UNUSED_PAD src0_sel:DWORD src1_sel:WORD_1
	v_cmp_gt_i32_e32 vcc_lo, s49, v40
	v_cmp_gt_i32_e64 s1, s36, v41
	v_or_b32_e32 v41, 6, v24
	v_perm_b32 v13, v13, v42, 0x5040100
	v_perm_b32 v14, v14, v39, 0x5040100
	v_cndmask_b32_e64 v40, 0, v15, s1
	v_cmp_gt_i32_e64 s1, s49, v43
	v_cndmask_b32_sdwa v15, v31, v15, vcc_lo dst_sel:DWORD dst_unused:UNUSED_PAD src0_sel:DWORD src1_sel:WORD_1
	v_cmp_gt_i32_e32 vcc_lo, s36, v41
	v_perm_b32 v15, v15, v40, 0x5040100
	v_cndmask_b32_e32 v41, 0, v16, vcc_lo
	s_mov_b32 vcc_lo, s1
	v_cndmask_b32_sdwa v16, v31, v16, vcc_lo dst_sel:DWORD dst_unused:UNUSED_PAD src0_sel:DWORD src1_sel:WORD_1
	v_perm_b32 v16, v16, v41, 0x5040100
.LBB112_45:                             ;   in Loop: Header=BB112_40 Depth=1
	s_or_b32 exec_lo, exec_lo, s3
	s_waitcnt lgkmcnt(1)
	v_bfe_u32 v39, v9, 16, 1
	v_or_b32_e32 v40, 0x400000, v9
	v_bfe_u32 v41, v10, 16, 1
	v_cmp_u_f32_e32 vcc_lo, v9, v9
	v_bfe_u32 v42, v11, 16, 1
	v_add3_u32 v39, v39, v9, 0x7fff
	v_or_b32_e32 v43, 0x400000, v10
	v_add3_u32 v41, v41, v10, 0x7fff
	v_or_b32_e32 v44, 0x400000, v11
	v_add3_u32 v42, v42, v11, 0x7fff
	v_cndmask_b32_e32 v50, v39, v40, vcc_lo
	v_cmp_u_f32_e32 vcc_lo, v10, v10
	v_bfe_u32 v9, v12, 16, 1
	s_waitcnt lgkmcnt(0)
	v_bfe_u32 v10, v5, 16, 1
	v_or_b32_e32 v39, 0x400000, v5
	v_bfe_u32 v40, v6, 16, 1
	v_cndmask_b32_e32 v51, v41, v43, vcc_lo
	v_cmp_u_f32_e32 vcc_lo, v11, v11
	v_add3_u32 v9, v9, v12, 0x7fff
	v_or_b32_e32 v11, 0x400000, v12
	v_add3_u32 v10, v10, v5, 0x7fff
	v_cndmask_b32_e32 v52, v42, v44, vcc_lo
	v_cmp_u_f32_e32 vcc_lo, v12, v12
	v_bfe_u32 v12, v8, 16, 1
	v_and_b32_e32 v59, 0xffff0000, v52
	v_cndmask_b32_e32 v53, v9, v11, vcc_lo
	v_cmp_u_f32_e32 vcc_lo, v5, v5
	v_bfe_u32 v9, v7, 16, 1
	v_add3_u32 v5, v40, v6, 0x7fff
	v_or_b32_e32 v11, 0x400000, v7
	v_and_b32_e32 v58, 0xffff0000, v53
	v_cndmask_b32_e32 v54, v10, v39, vcc_lo
	v_or_b32_e32 v10, 0x400000, v6
	v_cmp_u_f32_e32 vcc_lo, v6, v6
	v_add3_u32 v9, v9, v7, 0x7fff
	v_and_b32_e32 v6, 0xffff0000, v51
	v_cndmask_b32_e32 v55, v5, v10, vcc_lo
	v_cmp_u_f32_e32 vcc_lo, v7, v7
	v_add3_u32 v5, v12, v8, 0x7fff
	s_waitcnt vmcnt(1)
	v_and_b32_e32 v7, 0xffff0000, v17
	v_lshlrev_b32_e32 v10, 16, v17
	v_or_b32_e32 v17, 0x400000, v8
	v_cndmask_b32_e32 v56, v9, v11, vcc_lo
	v_and_b32_e32 v9, 0xffff0000, v50
	v_cmp_u_f32_e32 vcc_lo, v8, v8
	v_mul_f32_e32 v47, v6, v7
	v_and_b32_e32 v7, 0xffff0000, v19
	v_and_b32_e32 v8, 0xffff0000, v54
	v_mul_f32_e32 v46, v9, v10
	v_cndmask_b32_e32 v57, v5, v17, vcc_lo
	v_and_b32_e32 v5, 0xffff0000, v55
	v_lshlrev_b32_e32 v10, 16, v19
	v_and_b32_e32 v11, 0xffff0000, v18
	v_lshlrev_b32_e32 v12, 16, v18
	v_and_b32_e32 v17, 0xffff0000, v1
	v_mul_f32_e32 v49, v5, v7
	v_mul_f32_e32 v48, v8, v10
	v_lshlrev_b32_e32 v1, 16, v1
	v_and_b32_e32 v7, 0xffff0000, v2
	v_lshlrev_b32_e32 v2, 16, v2
	v_and_b32_e32 v10, 0xffff0000, v3
	v_lshlrev_b32_e32 v3, 16, v3
	v_mul_f32_e32 v45, v58, v11
	v_mul_f32_e32 v44, v59, v12
	v_and_b32_e32 v60, 0xffff0000, v57
	v_and_b32_e32 v11, 0xffff0000, v20
	;; [unrolled: 1-line block ×3, first 2 shown]
	v_lshlrev_b32_e32 v12, 16, v20
	v_mul_f32_e32 v19, v6, v17
	v_mul_f32_e32 v42, v9, v1
	v_mul_f32_e32 v39, v59, v2
	v_mul_f32_e32 v17, v8, v3
	v_and_b32_e32 v1, 0xffff0000, v4
	v_lshlrev_b32_e32 v2, 16, v4
	s_waitcnt vmcnt(0)
	v_and_b32_e32 v3, 0xffff0000, v13
	v_lshlrev_b32_e32 v4, 16, v13
	v_mul_f32_e32 v41, v60, v11
	v_mul_f32_e32 v43, v61, v12
	;; [unrolled: 1-line block ×3, first 2 shown]
	v_and_b32_e32 v7, 0xffff0000, v14
	v_mul_f32_e32 v18, v60, v1
	v_mul_f32_e32 v13, v61, v2
	;; [unrolled: 1-line block ×4, first 2 shown]
	v_lshlrev_b32_e32 v1, 16, v14
	v_and_b32_e32 v2, 0xffff0000, v15
	v_lshlrev_b32_e32 v3, 16, v15
	v_and_b32_e32 v4, 0xffff0000, v16
	v_lshlrev_b32_e32 v14, 16, v16
	v_mul_f32_e32 v20, v5, v10
	v_mul_f32_e32 v7, v58, v7
	;; [unrolled: 1-line block ×7, first 2 shown]
	v_cmp_u_f32_e64 s25, v47, v47
	v_cmp_u_f32_e64 s21, v46, v46
	;; [unrolled: 1-line block ×24, first 2 shown]
	s_and_saveexec_b32 s51, s0
	s_cbranch_execz .LBB112_38
; %bb.46:                               ;   in Loop: Header=BB112_40 Depth=1
	v_add_co_u32 v1, vcc_lo, v37, v34
	v_add_co_ci_u32_e64 v2, null, 0, v38, vcc_lo
	global_load_dwordx4 v[1:4], v[1:2], off
	s_and_saveexec_b32 s52, s4
	s_cbranch_execz .LBB112_37
; %bb.47:                               ;   in Loop: Header=BB112_40 Depth=1
	v_add_nc_u32_e32 v14, 1, v24
	v_or_b32_e32 v15, 3, v24
	v_cmp_gt_i32_e32 vcc_lo, s36, v24
	v_or_b32_e32 v16, 2, v24
	v_or_b32_e32 v38, 7, v24
	v_cmp_gt_i32_e64 s4, s49, v15
	s_waitcnt vmcnt(0)
	v_cndmask_b32_e32 v37, 0, v1, vcc_lo
	v_cmp_gt_i32_e32 vcc_lo, s49, v14
	v_cmp_gt_i32_e64 s27, s36, v16
	v_or_b32_e32 v15, 5, v24
	v_or_b32_e32 v16, 4, v24
	v_cndmask_b32_sdwa v1, v31, v1, vcc_lo dst_sel:DWORD dst_unused:UNUSED_PAD src0_sel:DWORD src1_sel:WORD_1
	s_mov_b32 vcc_lo, s4
	v_cndmask_b32_e64 v14, 0, v2, s27
	v_cndmask_b32_sdwa v2, v31, v2, vcc_lo dst_sel:DWORD dst_unused:UNUSED_PAD src0_sel:DWORD src1_sel:WORD_1
	v_cmp_gt_i32_e32 vcc_lo, s49, v15
	v_cmp_gt_i32_e64 s4, s36, v16
	v_or_b32_e32 v16, 6, v24
	v_perm_b32 v1, v1, v37, 0x5040100
	v_perm_b32 v2, v2, v14, 0x5040100
	v_cndmask_b32_e64 v15, 0, v3, s4
	v_cmp_gt_i32_e64 s4, s49, v38
	v_cndmask_b32_sdwa v3, v31, v3, vcc_lo dst_sel:DWORD dst_unused:UNUSED_PAD src0_sel:DWORD src1_sel:WORD_1
	v_cmp_gt_i32_e32 vcc_lo, s36, v16
	v_perm_b32 v3, v3, v15, 0x5040100
	v_cndmask_b32_e32 v16, 0, v4, vcc_lo
	s_mov_b32 vcc_lo, s4
	v_cndmask_b32_sdwa v4, v31, v4, vcc_lo dst_sel:DWORD dst_unused:UNUSED_PAD src0_sel:DWORD src1_sel:WORD_1
	v_perm_b32 v4, v4, v16, 0x5040100
	s_branch .LBB112_37
.LBB112_48:                             ;   in Loop: Header=BB112_40 Depth=1
	v_add_nc_u32_e32 v15, 1, v24
	v_or_b32_e32 v16, 3, v24
	v_cmp_gt_i32_e32 vcc_lo, s36, v24
	v_or_b32_e32 v17, 2, v24
	v_or_b32_e32 v19, 7, v24
	v_cmp_gt_i32_e64 s1, s49, v16
	s_waitcnt vmcnt(0)
	v_cndmask_b32_e32 v18, 0, v1, vcc_lo
	v_cmp_gt_i32_e32 vcc_lo, s49, v15
	v_cmp_gt_i32_e64 s2, s36, v17
	v_or_b32_e32 v16, 5, v24
	v_or_b32_e32 v17, 4, v24
	v_cndmask_b32_sdwa v1, v31, v1, vcc_lo dst_sel:DWORD dst_unused:UNUSED_PAD src0_sel:DWORD src1_sel:WORD_1
	s_mov_b32 vcc_lo, s1
	v_cndmask_b32_e64 v15, 0, v2, s2
	v_cndmask_b32_sdwa v2, v31, v2, vcc_lo dst_sel:DWORD dst_unused:UNUSED_PAD src0_sel:DWORD src1_sel:WORD_1
	v_cmp_gt_i32_e32 vcc_lo, s49, v16
	v_cmp_gt_i32_e64 s1, s36, v17
	v_or_b32_e32 v17, 6, v24
	v_perm_b32 v1, v1, v18, 0x5040100
	v_perm_b32 v2, v2, v15, 0x5040100
	v_cndmask_b32_e64 v16, 0, v3, s1
	v_cmp_gt_i32_e64 s1, s49, v19
	v_cndmask_b32_sdwa v3, v31, v3, vcc_lo dst_sel:DWORD dst_unused:UNUSED_PAD src0_sel:DWORD src1_sel:WORD_1
	v_cmp_gt_i32_e32 vcc_lo, s36, v17
	v_perm_b32 v3, v3, v16, 0x5040100
	v_cndmask_b32_e32 v17, 0, v4, vcc_lo
	s_mov_b32 vcc_lo, s1
	v_cndmask_b32_sdwa v4, v31, v4, vcc_lo dst_sel:DWORD dst_unused:UNUSED_PAD src0_sel:DWORD src1_sel:WORD_1
	v_perm_b32 v4, v4, v17, 0x5040100
	s_or_b32 exec_lo, exec_lo, s3
	global_load_dwordx4 v[17:20], v[13:14], off offset:512
	s_and_saveexec_b32 s3, s4
	s_cbranch_execz .LBB112_43
.LBB112_49:                             ;   in Loop: Header=BB112_40 Depth=1
	v_add_nc_u32_e32 v15, 1, v24
	v_or_b32_e32 v16, 3, v24
	v_cmp_gt_i32_e32 vcc_lo, s36, v24
	v_or_b32_e32 v39, 2, v24
	v_or_b32_e32 v41, 7, v24
	v_cmp_gt_i32_e64 s1, s49, v16
	s_waitcnt vmcnt(0)
	v_cndmask_b32_e32 v40, 0, v17, vcc_lo
	v_cmp_gt_i32_e32 vcc_lo, s49, v15
	v_cmp_gt_i32_e64 s2, s36, v39
	v_or_b32_e32 v16, 5, v24
	v_or_b32_e32 v39, 4, v24
	v_cndmask_b32_sdwa v17, v31, v17, vcc_lo dst_sel:DWORD dst_unused:UNUSED_PAD src0_sel:DWORD src1_sel:WORD_1
	s_mov_b32 vcc_lo, s1
	v_cndmask_b32_e64 v15, 0, v18, s2
	v_cndmask_b32_sdwa v18, v31, v18, vcc_lo dst_sel:DWORD dst_unused:UNUSED_PAD src0_sel:DWORD src1_sel:WORD_1
	v_cmp_gt_i32_e32 vcc_lo, s49, v16
	v_cmp_gt_i32_e64 s1, s36, v39
	v_or_b32_e32 v39, 6, v24
	v_perm_b32 v17, v17, v40, 0x5040100
	v_perm_b32 v18, v18, v15, 0x5040100
	v_cndmask_b32_e64 v16, 0, v19, s1
	v_cmp_gt_i32_e64 s1, s49, v41
	v_cndmask_b32_sdwa v19, v31, v19, vcc_lo dst_sel:DWORD dst_unused:UNUSED_PAD src0_sel:DWORD src1_sel:WORD_1
	v_cmp_gt_i32_e32 vcc_lo, s36, v39
	v_perm_b32 v19, v19, v16, 0x5040100
	v_cndmask_b32_e32 v39, 0, v20, vcc_lo
	s_mov_b32 vcc_lo, s1
	v_cndmask_b32_sdwa v20, v31, v20, vcc_lo dst_sel:DWORD dst_unused:UNUSED_PAD src0_sel:DWORD src1_sel:WORD_1
	v_perm_b32 v20, v20, v39, 0x5040100
	s_or_b32 exec_lo, exec_lo, s3
	global_load_dwordx4 v[13:16], v[13:14], off offset:1024
	s_and_saveexec_b32 s3, s4
	s_cbranch_execnz .LBB112_44
	s_branch .LBB112_45
.LBB112_50:
	s_or_b32 exec_lo, exec_lo, s48
.LBB112_51:
	s_or_b32 exec_lo, exec_lo, s41
	s_movk_i32 s0, 0x1c0
	v_and_b32_e32 v1, 0x3c0, v0
	v_mad_u32_u24 v4, v23, s0, 0x100
	v_or_b32_e32 v3, 0x60, v0
	s_mov_b32 s0, exec_lo
	s_barrier
	buffer_gl0_inv
	v_cmpx_eq_u32_e32 64, v1
	s_cbranch_execz .LBB112_54
; %bb.52:
	v_add_nc_u32_e32 v1, 0xfffffc80, v4
	v_cmp_gt_u32_e32 vcc_lo, 0x70, v3
	v_lshl_add_u32 v2, v25, 2, v1
	ds_write2_b32 v2, v30, v29 offset1:32
	ds_write_b32 v2, v28 offset:256
	s_and_b32 exec_lo, exec_lo, vcc_lo
; %bb.53:
	v_lshl_add_u32 v1, v3, 2, v1
	ds_write_b32 v1, v27
.LBB112_54:
	s_or_b32 exec_lo, exec_lo, s0
	v_lshl_add_u32 v5, v25, 2, v4
	s_mov_b32 s0, exec_lo
	s_waitcnt lgkmcnt(0)
	s_barrier
	buffer_gl0_inv
	v_cmpx_gt_u32_e32 64, v0
	s_cbranch_execz .LBB112_58
; %bb.55:
	v_lshl_or_b32 v1, v0, 2, 0x80
	s_mov_b32 s1, exec_lo
	v_add_nc_u32_e32 v6, v4, v1
	ds_read2st64_b32 v[1:2], v5 offset1:1
	ds_read_b32 v6, v6
	v_cmpx_gt_u32_e32 0x70, v3
	s_cbranch_execz .LBB112_57
; %bb.56:
	v_lshl_add_u32 v7, v3, 2, v4
	ds_read_b32 v7, v7
	s_waitcnt lgkmcnt(0)
	v_add_f32_e32 v27, v27, v7
.LBB112_57:
	s_or_b32 exec_lo, exec_lo, s1
	s_waitcnt lgkmcnt(1)
	v_add_f32_e32 v30, v30, v1
	s_waitcnt lgkmcnt(0)
	v_add_f32_e32 v29, v29, v6
	v_add_f32_e32 v28, v28, v2
.LBB112_58:
	s_or_b32 exec_lo, exec_lo, s0
	v_and_b32_e32 v1, 0x3e0, v0
	s_mov_b32 s0, exec_lo
	s_barrier
	buffer_gl0_inv
	v_cmpx_eq_u32_e32 32, v1
	s_cbranch_execz .LBB112_61
; %bb.59:
	v_lshl_add_u32 v1, v25, 2, 0x100
	v_cmp_gt_u32_e32 vcc_lo, 0x70, v3
	ds_write_b32 v1, v30
	ds_write_b32 v26, v29
	ds_write_b32 v1, v28 offset:256
	s_and_b32 exec_lo, exec_lo, vcc_lo
; %bb.60:
	v_lshl_add_u32 v1, v3, 2, 0x100
	ds_write_b32 v1, v27
.LBB112_61:
	s_or_b32 exec_lo, exec_lo, s0
	v_cmp_gt_u32_e32 vcc_lo, 32, v0
	s_waitcnt lgkmcnt(0)
	s_barrier
	buffer_gl0_inv
	s_and_saveexec_b32 s1, vcc_lo
	s_cbranch_execz .LBB112_65
; %bb.62:
	v_lshl_add_u32 v6, v0, 2, v4
	s_mov_b32 s2, exec_lo
	ds_read_b32 v4, v5
	ds_read2_b32 v[1:2], v6 offset0:32 offset1:64
	v_cmpx_gt_u32_e32 0x70, v3
	s_cbranch_execz .LBB112_64
; %bb.63:
	ds_read_b32 v5, v6 offset:384
	s_waitcnt lgkmcnt(0)
	v_add_f32_e32 v27, v27, v5
.LBB112_64:
	s_or_b32 exec_lo, exec_lo, s2
	s_waitcnt lgkmcnt(1)
	v_add_f32_e32 v30, v30, v4
	s_waitcnt lgkmcnt(0)
	v_add_f32_e32 v29, v29, v1
	v_add_f32_e32 v28, v28, v2
.LBB112_65:
	s_or_b32 exec_lo, exec_lo, s1
	s_barrier
	buffer_gl0_inv
	s_and_saveexec_b32 s0, vcc_lo
	s_cbranch_execz .LBB112_68
; %bb.66:
	v_bfe_u32 v1, v30, 16, 1
	s_mul_i32 s0, s28, s29
	v_bfe_u32 v2, v29, 16, 1
	s_mul_i32 s0, s0, s33
	v_or_b32_e32 v5, 0x400000, v30
	v_add3_u32 v1, v1, v30, 0x7fff
	v_cmp_u_f32_e32 vcc_lo, v30, v30
	s_mulk_i32 s0, 0x70
	v_bfe_u32 v4, v28, 16, 1
	s_ashr_i32 s1, s0, 31
	v_add3_u32 v2, v2, v29, 0x7fff
	s_lshl_b64 s[0:1], s[0:1], 1
	v_or_b32_e32 v6, 0x400000, v29
	v_cndmask_b32_e32 v1, v1, v5, vcc_lo
	v_cmp_u_f32_e32 vcc_lo, v29, v29
	s_mul_i32 s2, s29, s30
	s_add_u32 s5, s34, s0
	s_addc_u32 s6, s35, s1
	s_ashr_i32 s3, s2, 31
	v_add3_u32 v4, v4, v28, 0x7fff
	s_lshl_b64 s[0:1], s[2:3], 1
	v_or_b32_e32 v7, 0x400000, v28
	v_cndmask_b32_e32 v2, v2, v6, vcc_lo
	v_cmp_u_f32_e32 vcc_lo, v28, v28
	s_mul_i32 s4, s8, 0x70
	s_add_u32 s2, s5, s0
	s_addc_u32 s3, s6, s1
	s_ashr_i32 s5, s4, 31
	v_lshlrev_b32_e32 v0, 1, v0
	s_lshl_b64 s[0:1], s[4:5], 1
	v_cndmask_b32_e32 v4, v4, v7, vcc_lo
	v_cmp_gt_u32_e32 vcc_lo, 0x70, v3
	s_add_u32 s0, s2, s0
	s_addc_u32 s1, s3, s1
	global_store_short_d16_hi v0, v1, s[0:1]
	global_store_short_d16_hi v0, v2, s[0:1] offset:64
	global_store_short_d16_hi v0, v4, s[0:1] offset:128
	s_and_b32 exec_lo, exec_lo, vcc_lo
	s_cbranch_execz .LBB112_68
; %bb.67:
	v_bfe_u32 v1, v27, 16, 1
	v_or_b32_e32 v2, 0x400000, v27
	v_cmp_u_f32_e32 vcc_lo, v27, v27
	v_add_co_u32 v0, s0, s0, v0
	v_add3_u32 v3, v1, v27, 0x7fff
	v_add_co_ci_u32_e64 v1, null, s1, 0, s0
	v_cndmask_b32_e32 v2, v3, v2, vcc_lo
	global_store_short_d16_hi v[0:1], v2, off offset:192
.LBB112_68:
	s_endpgm
	.section	.rodata,"a",@progbits
	.p2align	6, 0x0
	.amdhsa_kernel _ZN4vllm25paged_attention_v1_kernelI14__hip_bfloat16S1_Li112ELi8ELi128ELNS_18Fp8KVCacheDataTypeE0ELb1EEEvPT_PKS3_PKT0_S9_ifPKiSB_iPKfiiiSD_SD_iiiii
		.amdhsa_group_segment_fixed_size 256
		.amdhsa_private_segment_fixed_size 0
		.amdhsa_kernarg_size 384
		.amdhsa_user_sgpr_count 6
		.amdhsa_user_sgpr_private_segment_buffer 1
		.amdhsa_user_sgpr_dispatch_ptr 0
		.amdhsa_user_sgpr_queue_ptr 0
		.amdhsa_user_sgpr_kernarg_segment_ptr 1
		.amdhsa_user_sgpr_dispatch_id 0
		.amdhsa_user_sgpr_flat_scratch_init 0
		.amdhsa_user_sgpr_private_segment_size 0
		.amdhsa_wavefront_size32 1
		.amdhsa_uses_dynamic_stack 0
		.amdhsa_system_sgpr_private_segment_wavefront_offset 0
		.amdhsa_system_sgpr_workgroup_id_x 1
		.amdhsa_system_sgpr_workgroup_id_y 1
		.amdhsa_system_sgpr_workgroup_id_z 1
		.amdhsa_system_sgpr_workgroup_info 0
		.amdhsa_system_vgpr_workitem_id 0
		.amdhsa_next_free_vgpr 63
		.amdhsa_next_free_sgpr 53
		.amdhsa_reserve_vcc 1
		.amdhsa_reserve_flat_scratch 0
		.amdhsa_float_round_mode_32 0
		.amdhsa_float_round_mode_16_64 0
		.amdhsa_float_denorm_mode_32 3
		.amdhsa_float_denorm_mode_16_64 3
		.amdhsa_dx10_clamp 1
		.amdhsa_ieee_mode 1
		.amdhsa_fp16_overflow 0
		.amdhsa_workgroup_processor_mode 1
		.amdhsa_memory_ordered 1
		.amdhsa_forward_progress 1
		.amdhsa_shared_vgpr_count 0
		.amdhsa_exception_fp_ieee_invalid_op 0
		.amdhsa_exception_fp_denorm_src 0
		.amdhsa_exception_fp_ieee_div_zero 0
		.amdhsa_exception_fp_ieee_overflow 0
		.amdhsa_exception_fp_ieee_underflow 0
		.amdhsa_exception_fp_ieee_inexact 0
		.amdhsa_exception_int_div_zero 0
	.end_amdhsa_kernel
	.section	.text._ZN4vllm25paged_attention_v1_kernelI14__hip_bfloat16S1_Li112ELi8ELi128ELNS_18Fp8KVCacheDataTypeE0ELb1EEEvPT_PKS3_PKT0_S9_ifPKiSB_iPKfiiiSD_SD_iiiii,"axG",@progbits,_ZN4vllm25paged_attention_v1_kernelI14__hip_bfloat16S1_Li112ELi8ELi128ELNS_18Fp8KVCacheDataTypeE0ELb1EEEvPT_PKS3_PKT0_S9_ifPKiSB_iPKfiiiSD_SD_iiiii,comdat
.Lfunc_end112:
	.size	_ZN4vllm25paged_attention_v1_kernelI14__hip_bfloat16S1_Li112ELi8ELi128ELNS_18Fp8KVCacheDataTypeE0ELb1EEEvPT_PKS3_PKT0_S9_ifPKiSB_iPKfiiiSD_SD_iiiii, .Lfunc_end112-_ZN4vllm25paged_attention_v1_kernelI14__hip_bfloat16S1_Li112ELi8ELi128ELNS_18Fp8KVCacheDataTypeE0ELb1EEEvPT_PKS3_PKT0_S9_ifPKiSB_iPKfiiiSD_SD_iiiii
                                        ; -- End function
	.set _ZN4vllm25paged_attention_v1_kernelI14__hip_bfloat16S1_Li112ELi8ELi128ELNS_18Fp8KVCacheDataTypeE0ELb1EEEvPT_PKS3_PKT0_S9_ifPKiSB_iPKfiiiSD_SD_iiiii.num_vgpr, 63
	.set _ZN4vllm25paged_attention_v1_kernelI14__hip_bfloat16S1_Li112ELi8ELi128ELNS_18Fp8KVCacheDataTypeE0ELb1EEEvPT_PKS3_PKT0_S9_ifPKiSB_iPKfiiiSD_SD_iiiii.num_agpr, 0
	.set _ZN4vllm25paged_attention_v1_kernelI14__hip_bfloat16S1_Li112ELi8ELi128ELNS_18Fp8KVCacheDataTypeE0ELb1EEEvPT_PKS3_PKT0_S9_ifPKiSB_iPKfiiiSD_SD_iiiii.numbered_sgpr, 53
	.set _ZN4vllm25paged_attention_v1_kernelI14__hip_bfloat16S1_Li112ELi8ELi128ELNS_18Fp8KVCacheDataTypeE0ELb1EEEvPT_PKS3_PKT0_S9_ifPKiSB_iPKfiiiSD_SD_iiiii.num_named_barrier, 0
	.set _ZN4vllm25paged_attention_v1_kernelI14__hip_bfloat16S1_Li112ELi8ELi128ELNS_18Fp8KVCacheDataTypeE0ELb1EEEvPT_PKS3_PKT0_S9_ifPKiSB_iPKfiiiSD_SD_iiiii.private_seg_size, 0
	.set _ZN4vllm25paged_attention_v1_kernelI14__hip_bfloat16S1_Li112ELi8ELi128ELNS_18Fp8KVCacheDataTypeE0ELb1EEEvPT_PKS3_PKT0_S9_ifPKiSB_iPKfiiiSD_SD_iiiii.uses_vcc, 1
	.set _ZN4vllm25paged_attention_v1_kernelI14__hip_bfloat16S1_Li112ELi8ELi128ELNS_18Fp8KVCacheDataTypeE0ELb1EEEvPT_PKS3_PKT0_S9_ifPKiSB_iPKfiiiSD_SD_iiiii.uses_flat_scratch, 0
	.set _ZN4vllm25paged_attention_v1_kernelI14__hip_bfloat16S1_Li112ELi8ELi128ELNS_18Fp8KVCacheDataTypeE0ELb1EEEvPT_PKS3_PKT0_S9_ifPKiSB_iPKfiiiSD_SD_iiiii.has_dyn_sized_stack, 0
	.set _ZN4vllm25paged_attention_v1_kernelI14__hip_bfloat16S1_Li112ELi8ELi128ELNS_18Fp8KVCacheDataTypeE0ELb1EEEvPT_PKS3_PKT0_S9_ifPKiSB_iPKfiiiSD_SD_iiiii.has_recursion, 0
	.set _ZN4vllm25paged_attention_v1_kernelI14__hip_bfloat16S1_Li112ELi8ELi128ELNS_18Fp8KVCacheDataTypeE0ELb1EEEvPT_PKS3_PKT0_S9_ifPKiSB_iPKfiiiSD_SD_iiiii.has_indirect_call, 0
	.section	.AMDGPU.csdata,"",@progbits
; Kernel info:
; codeLenInByte = 7736
; TotalNumSgprs: 55
; NumVgprs: 63
; ScratchSize: 0
; MemoryBound: 0
; FloatMode: 240
; IeeeMode: 1
; LDSByteSize: 256 bytes/workgroup (compile time only)
; SGPRBlocks: 0
; VGPRBlocks: 7
; NumSGPRsForWavesPerEU: 55
; NumVGPRsForWavesPerEU: 63
; Occupancy: 16
; WaveLimiterHint : 1
; COMPUTE_PGM_RSRC2:SCRATCH_EN: 0
; COMPUTE_PGM_RSRC2:USER_SGPR: 6
; COMPUTE_PGM_RSRC2:TRAP_HANDLER: 0
; COMPUTE_PGM_RSRC2:TGID_X_EN: 1
; COMPUTE_PGM_RSRC2:TGID_Y_EN: 1
; COMPUTE_PGM_RSRC2:TGID_Z_EN: 1
; COMPUTE_PGM_RSRC2:TIDIG_COMP_CNT: 0
	.section	.text._ZN4vllm25paged_attention_v1_kernelI14__hip_bfloat16S1_Li120ELi8ELi128ELNS_18Fp8KVCacheDataTypeE0ELb1EEEvPT_PKS3_PKT0_S9_ifPKiSB_iPKfiiiSD_SD_iiiii,"axG",@progbits,_ZN4vllm25paged_attention_v1_kernelI14__hip_bfloat16S1_Li120ELi8ELi128ELNS_18Fp8KVCacheDataTypeE0ELb1EEEvPT_PKS3_PKT0_S9_ifPKiSB_iPKfiiiSD_SD_iiiii,comdat
	.protected	_ZN4vllm25paged_attention_v1_kernelI14__hip_bfloat16S1_Li120ELi8ELi128ELNS_18Fp8KVCacheDataTypeE0ELb1EEEvPT_PKS3_PKT0_S9_ifPKiSB_iPKfiiiSD_SD_iiiii ; -- Begin function _ZN4vllm25paged_attention_v1_kernelI14__hip_bfloat16S1_Li120ELi8ELi128ELNS_18Fp8KVCacheDataTypeE0ELb1EEEvPT_PKS3_PKT0_S9_ifPKiSB_iPKfiiiSD_SD_iiiii
	.globl	_ZN4vllm25paged_attention_v1_kernelI14__hip_bfloat16S1_Li120ELi8ELi128ELNS_18Fp8KVCacheDataTypeE0ELb1EEEvPT_PKS3_PKT0_S9_ifPKiSB_iPKfiiiSD_SD_iiiii
	.p2align	8
	.type	_ZN4vllm25paged_attention_v1_kernelI14__hip_bfloat16S1_Li120ELi8ELi128ELNS_18Fp8KVCacheDataTypeE0ELb1EEEvPT_PKS3_PKT0_S9_ifPKiSB_iPKfiiiSD_SD_iiiii,@function
_ZN4vllm25paged_attention_v1_kernelI14__hip_bfloat16S1_Li120ELi8ELi128ELNS_18Fp8KVCacheDataTypeE0ELb1EEEvPT_PKS3_PKT0_S9_ifPKiSB_iPKfiiiSD_SD_iiiii: ; @_ZN4vllm25paged_attention_v1_kernelI14__hip_bfloat16S1_Li120ELi8ELi128ELNS_18Fp8KVCacheDataTypeE0ELb1EEEvPT_PKS3_PKT0_S9_ifPKiSB_iPKfiiiSD_SD_iiiii
; %bb.0:
	s_clause 0x2
	s_load_dword s33, s[4:5], 0x80
	s_load_dwordx2 s[0:1], s[4:5], 0x30
	s_load_dwordx2 s[22:23], s[4:5], 0x20
	s_mov_b32 s28, s7
	s_ashr_i32 s29, s7, 31
	s_mov_b32 s24, 0
	s_lshl_b64 s[2:3], s[28:29], 2
	s_waitcnt lgkmcnt(0)
	s_add_u32 s0, s0, s2
	s_addc_u32 s1, s1, s3
	s_abs_i32 s2, s22
	s_abs_i32 s9, s33
	v_cvt_f32_u32_e32 v1, s2
	s_sub_i32 s7, 0, s2
	v_rcp_iflag_f32_e32 v1, v1
	v_mul_f32_e32 v1, 0x4f7ffffe, v1
	v_cvt_u32_f32_e32 v1, v1
	v_readfirstlane_b32 s3, v1
	s_mul_i32 s7, s7, s3
	s_mul_hi_u32 s7, s3, s7
	s_add_i32 s3, s3, s7
	s_xor_b32 s7, s33, s22
	s_mul_hi_u32 s3, s9, s3
	s_ashr_i32 s7, s7, 31
	s_mul_i32 s10, s3, s2
	s_sub_i32 s9, s9, s10
	s_add_i32 s10, s3, 1
	s_sub_i32 s11, s9, s2
	s_cmp_ge_u32 s9, s2
	s_cselect_b32 s3, s10, s3
	s_cselect_b32 s9, s11, s9
	s_add_i32 s10, s3, 1
	s_cmp_ge_u32 s9, s2
	s_cselect_b32 s2, s10, s3
	s_xor_b32 s2, s2, s7
	s_sub_i32 s16, s2, s7
	s_load_dwordx2 s[2:3], s[4:5], 0x40
	s_abs_i32 s9, s16
	v_cvt_f32_u32_e32 v1, s9
	s_sub_i32 s10, 0, s9
	v_rcp_iflag_f32_e32 v1, v1
	v_mul_f32_e32 v1, 0x4f7ffffe, v1
	v_cvt_u32_f32_e32 v1, v1
	v_readfirstlane_b32 s7, v1
	s_mul_i32 s10, s10, s7
	s_mul_hi_u32 s11, s7, s10
	s_abs_i32 s10, s6
	s_add_i32 s7, s7, s11
	s_waitcnt lgkmcnt(0)
	s_cmp_eq_u64 s[2:3], 0
	s_mul_hi_u32 s11, s10, s7
	s_cbranch_scc1 .LBB113_2
; %bb.1:
	s_ashr_i32 s7, s6, 31
	s_lshl_b64 s[12:13], s[6:7], 2
	s_add_u32 s2, s2, s12
	s_addc_u32 s3, s3, s13
	s_load_dword s24, s[2:3], 0x0
.LBB113_2:
	s_load_dword s36, s[0:1], 0x0
	s_load_dwordx4 s[12:15], s[4:5], 0x48
	v_and_b32_e32 v1, 3, v0
	v_lshlrev_b32_e32 v2, 2, v0
	s_ashr_i32 s0, s6, 31
	s_ashr_i32 s1, s16, 31
	s_mul_i32 s30, s6, 0x78
	s_mov_b32 s2, exec_lo
	v_cmpx_gt_u32_e32 60, v0
	s_cbranch_execz .LBB113_4
; %bb.3:
	s_load_dwordx2 s[16:17], s[4:5], 0x8
	s_waitcnt lgkmcnt(0)
	s_mul_i32 s18, s12, s28
	v_and_b32_e32 v4, 0x3fc, v0
	s_ashr_i32 s19, s18, 31
	s_lshl_b64 s[18:19], s[18:19], 1
	v_mad_u32_u24 v4, v1, 60, v4
	s_add_u32 s3, s16, s18
	s_addc_u32 s7, s17, s19
	s_ashr_i32 s31, s30, 31
	s_lshl_b64 s[16:17], s[30:31], 1
	s_add_u32 s16, s3, s16
	s_addc_u32 s17, s7, s17
	global_load_dword v3, v2, s[16:17]
	s_waitcnt vmcnt(0)
	ds_write_b32 v4, v3
.LBB113_4:
	s_or_b32 exec_lo, exec_lo, s2
	s_load_dwordx4 s[16:19], s[4:5], 0x68
	s_mul_i32 s2, s11, s9
	s_xor_b32 s1, s0, s1
	s_sub_i32 s0, s10, s2
	s_add_i32 s2, s11, 1
	s_sub_i32 s3, s0, s9
	s_cmp_ge_u32 s0, s9
	s_waitcnt lgkmcnt(0)
	s_cselect_b32 s2, s2, s11
	s_cselect_b32 s0, s3, s0
	s_add_i32 s3, s2, 1
	s_cmp_ge_u32 s0, s9
	s_load_dword s0, s[4:5], 0x78
	s_cselect_b32 s2, s3, s2
	s_add_i32 s7, s36, -1
	s_xor_b32 s2, s2, s1
	s_abs_i32 s3, s7
	s_sub_i32 s1, s2, s1
	s_mov_b32 s9, -1
	s_barrier
	s_abs_i32 s31, s19
	s_waitcnt lgkmcnt(0)
	buffer_gl0_inv
	v_cvt_f32_u32_e32 v3, s31
	s_sub_i32 s2, 0, s31
                                        ; implicit-def: $sgpr38
	v_rcp_iflag_f32_e32 v3, v3
	v_mul_f32_e32 v3, 0x4f7ffffe, v3
	v_cvt_u32_f32_e32 v3, v3
	v_readfirstlane_b32 s37, v3
	s_mul_i32 s2, s2, s37
	s_mul_hi_u32 s2, s37, s2
	s_add_i32 s37, s37, s2
	s_cmp_lt_i32 s0, 0
	s_mul_hi_u32 s2, s3, s37
	s_cbranch_scc0 .LBB113_6
; %bb.5:
	s_mul_i32 s9, s16, s22
	s_add_i32 s9, s1, s9
	s_mul_i32 s9, s9, s0
	s_sub_i32 s38, 1, s9
	s_mov_b32 s9, 0
.LBB113_6:
	s_load_dwordx2 s[10:11], s[4:5], 0x28
	s_ashr_i32 s7, s7, 31
	s_andn2_b32 vcc_lo, exec_lo, s9
	s_ashr_i32 s39, s19, 31
	s_cbranch_vccnz .LBB113_8
; %bb.7:
	s_mul_i32 s9, s33, s16
	s_add_i32 s6, s9, s6
	s_mul_i32 s0, s6, s0
	s_add_i32 s38, s0, 1
.LBB113_8:
	s_load_dword s0, s[4:5], 0x38
	s_mul_i32 s6, s2, s31
	s_xor_b32 s9, s7, s39
	s_sub_i32 s3, s3, s6
	s_add_i32 s12, s2, 1
	s_clause 0x2
	s_load_dwordx2 s[34:35], s[4:5], 0x0
	s_load_dwordx2 s[20:21], s[4:5], 0x18
	s_load_dword s29, s[4:5], 0x88
	v_lshrrev_b32_e32 v23, 5, v0
	v_mov_b32_e32 v5, 0xff7fffff
	v_lshrrev_b32_e32 v3, 3, v0
	v_mbcnt_lo_u32_b32 v4, -1, 0
	s_mul_i32 s14, s1, s14
	v_lshlrev_b32_e32 v24, 3, v23
	s_waitcnt lgkmcnt(0)
	s_mul_i32 s6, s0, s28
	s_sub_i32 s0, s3, s31
	s_ashr_i32 s7, s6, 31
	s_cmp_ge_u32 s3, s31
	s_cselect_b32 s2, s12, s2
	s_cselect_b32 s0, s0, s3
	s_add_i32 s3, s2, 1
	s_cmp_ge_u32 s0, s31
	s_cselect_b32 s0, s3, s2
	s_add_i32 s2, s36, 7
	s_ashr_i32 s3, s2, 31
	s_lshr_b32 s3, s3, 29
	s_add_i32 s2, s2, s3
	s_ashr_i32 s40, s2, 3
	s_xor_b32 s2, s0, s9
	v_cmp_gt_i32_e64 s0, s40, v23
	s_sub_i32 s9, s2, s9
	s_and_saveexec_b32 s12, s0
	s_cbranch_execz .LBB113_20
; %bb.9:
	s_load_dwordx2 s[2:3], s[4:5], 0x10
	s_ashr_i32 s15, s14, 31
	s_sub_i32 s4, s9, s17
	s_lshl_b64 s[26:27], s[14:15], 1
	v_bfe_u32 v6, v0, 2, 3
	v_and_b32_e32 v14, 12, v2
	v_cmp_eq_u32_e32 vcc_lo, 0, v1
	v_mul_u32_u24_e32 v7, 60, v1
	v_and_b32_e32 v1, 0x7c, v3
	v_lshlrev_b32_e32 v2, 2, v6
	v_subrev_nc_u32_e32 v13, s36, v6
	v_lshlrev_b32_e32 v15, 4, v6
	v_cmp_neq_f32_e64 s1, s24, 0
	v_lshlrev_b32_e32 v8, 3, v23
	v_lshl_or_b32 v2, v23, 5, v2
	v_mov_b32_e32 v9, 0xff7fffff
	v_xor_b32_e32 v10, 2, v4
	v_xor_b32_e32 v11, 1, v4
	s_waitcnt lgkmcnt(0)
	s_add_u32 s15, s2, s26
	s_addc_u32 s16, s3, s27
	s_abs_i32 s5, s18
	v_add_co_u32 v15, s15, s15, v15
	v_cvt_f32_u32_e32 v5, s5
	s_sub_i32 s2, 0, s5
	v_add_co_ci_u32_e64 v17, null, s16, 0, s15
	s_mov_b32 s15, 0
	v_rcp_iflag_f32_e32 v5, v5
	s_mov_b32 s16, s13
	v_mul_f32_e32 v12, 0x4f7ffffe, v5
	v_mov_b32_e32 v5, 0xff7fffff
	v_cvt_u32_f32_e32 v16, v12
	v_add_nc_u32_e32 v12, 1, v13
	v_add_nc_u32_e32 v13, 0x110, v2
	v_mul_lo_u32 v2, s2, v16
	s_lshl_b64 s[2:3], s[6:7], 2
	s_add_u32 s2, s10, s2
	s_addc_u32 s3, s11, s3
	v_add_co_u32 v1, s2, s2, v1
	v_mul_hi_u32 v18, v16, v2
	v_add_co_ci_u32_e64 v2, null, s3, 0, s2
	v_add_co_u32 v14, s2, v15, v14
	v_add_co_ci_u32_e64 v15, null, 0, v17, s2
	v_mov_b32_e32 v17, v23
	v_add_nc_u32_e32 v16, v16, v18
	s_branch .LBB113_12
.LBB113_10:                             ;   in Loop: Header=BB113_12 Depth=1
	s_or_b32 exec_lo, exec_lo, s19
.LBB113_11:                             ;   in Loop: Header=BB113_12 Depth=1
	s_or_b32 exec_lo, exec_lo, s3
	v_add_nc_u32_e32 v17, 4, v17
	v_add_co_u32 v1, s3, v1, 16
	v_add_co_ci_u32_e64 v2, null, 0, v2, s3
	v_cmp_le_i32_e64 s2, s40, v17
	v_add_nc_u32_e32 v8, 32, v8
	v_add_nc_u32_e32 v13, 0x80, v13
	s_or_b32 s15, s2, s15
	s_andn2_b32 exec_lo, exec_lo, s15
	s_cbranch_execz .LBB113_19
.LBB113_12:                             ; =>This Inner Loop Header: Depth=1
	v_mul_hi_u32 v18, v8, s37
	s_waitcnt lgkmcnt(0)
	v_mul_lo_u32 v19, v18, s31
	v_add_nc_u32_e32 v20, 1, v18
	v_sub_nc_u32_e32 v19, v8, v19
	v_subrev_nc_u32_e32 v21, s31, v19
	v_cmp_le_u32_e64 s2, s31, v19
	v_cndmask_b32_e64 v18, v18, v20, s2
	v_cndmask_b32_e64 v19, v19, v21, s2
	v_add_nc_u32_e32 v20, 1, v18
	v_cmp_le_u32_e64 s2, s31, v19
	v_cndmask_b32_e64 v18, v18, v20, s2
	v_xor_b32_e32 v18, s39, v18
	v_subrev_nc_u32_e32 v18, s39, v18
	v_add_nc_u32_e32 v19, s38, v18
	v_cmp_ge_i32_e64 s3, s4, v18
	v_sub_nc_u32_e32 v20, 0, v19
	v_max_i32_e32 v20, v19, v20
	v_ashrrev_i32_e32 v19, 31, v19
	v_mul_hi_u32 v21, v20, v16
	v_mul_lo_u32 v21, v21, s5
	v_sub_nc_u32_e32 v20, v20, v21
	v_subrev_nc_u32_e32 v21, s5, v20
	v_cmp_le_u32_e64 s2, s5, v20
	v_cndmask_b32_e64 v20, v20, v21, s2
	v_subrev_nc_u32_e32 v21, s5, v20
	v_cmp_le_u32_e64 s2, s5, v20
	v_cndmask_b32_e64 v20, v20, v21, s2
	v_xor_b32_e32 v20, v20, v19
	v_sub_nc_u32_e32 v19, v20, v19
	v_cmp_ne_u32_e64 s2, 0, v19
	s_and_b32 s2, s2, s3
	s_and_saveexec_b32 s3, s2
	s_xor_b32 s2, exec_lo, s3
	s_cbranch_execz .LBB113_16
; %bb.13:                               ;   in Loop: Header=BB113_12 Depth=1
	s_and_saveexec_b32 s3, vcc_lo
; %bb.14:                               ;   in Loop: Header=BB113_12 Depth=1
	ds_write_b32 v13, v9
; %bb.15:                               ;   in Loop: Header=BB113_12 Depth=1
	s_or_b32 exec_lo, exec_lo, s3
.LBB113_16:                             ;   in Loop: Header=BB113_12 Depth=1
	s_andn2_saveexec_b32 s3, s2
	s_cbranch_execz .LBB113_11
; %bb.17:                               ;   in Loop: Header=BB113_12 Depth=1
	global_load_dword v18, v[1:2], off
	s_waitcnt vmcnt(0)
	v_mad_i64_i32 v[18:19], null, v18, s16, 0
	v_lshlrev_b64 v[18:19], 1, v[18:19]
	v_add_co_u32 v18, s2, v14, v18
	v_add_co_ci_u32_e64 v19, null, v15, v19, s2
	v_cmp_gt_i32_e64 s2, 32, v10
	s_clause 0xe
	global_load_dword v22, v[18:19], off offset:128
	global_load_dword v35, v[18:19], off
	global_load_dword v36, v[18:19], off offset:256
	global_load_dword v37, v[18:19], off offset:384
	;; [unrolled: 1-line block ×13, first 2 shown]
	ds_read2_b32 v[18:19], v7 offset1:1
	ds_read2_b32 v[20:21], v7 offset0:2 offset1:3
	ds_read2_b32 v[25:26], v7 offset0:4 offset1:5
	;; [unrolled: 1-line block ×6, first 2 shown]
	ds_read_b32 v49, v7 offset:56
	s_waitcnt lgkmcnt(7)
	v_lshlrev_b32_e32 v51, 16, v19
	v_and_b32_e32 v19, 0xffff0000, v19
	v_lshlrev_b32_e32 v50, 16, v18
	v_and_b32_e32 v18, 0xffff0000, v18
	s_waitcnt lgkmcnt(6)
	v_lshlrev_b32_e32 v52, 16, v20
	v_and_b32_e32 v20, 0xffff0000, v20
	v_lshlrev_b32_e32 v53, 16, v21
	s_waitcnt lgkmcnt(5)
	v_lshlrev_b32_e32 v54, 16, v25
	v_lshlrev_b32_e32 v55, 16, v26
	s_waitcnt lgkmcnt(4)
	v_lshlrev_b32_e32 v56, 16, v27
	;; [unrolled: 3-line block ×6, first 2 shown]
	s_waitcnt vmcnt(14)
	v_lshlrev_b32_e32 v65, 16, v22
	v_and_b32_e32 v22, 0xffff0000, v22
	s_waitcnt vmcnt(13)
	v_lshlrev_b32_e32 v66, 16, v35
	v_and_b32_e32 v35, 0xffff0000, v35
	v_mul_f32_e32 v51, v51, v65
	v_mul_f32_e32 v19, v19, v22
	s_waitcnt vmcnt(12)
	v_lshlrev_b32_e32 v22, 16, v36
	v_and_b32_e32 v36, 0xffff0000, v36
	v_fmac_f32_e32 v51, v50, v66
	v_fmac_f32_e32 v19, v18, v35
	v_and_b32_e32 v18, 0xffff0000, v21
	s_waitcnt vmcnt(11)
	v_lshlrev_b32_e32 v21, 16, v37
	v_and_b32_e32 v35, 0xffff0000, v37
	v_fmac_f32_e32 v51, v52, v22
	v_fmac_f32_e32 v19, v20, v36
	v_and_b32_e32 v20, 0xffff0000, v25
	;; [unrolled: 6-line block ×12, first 2 shown]
	s_waitcnt vmcnt(0)
	v_lshlrev_b32_e32 v22, 16, v48
	v_and_b32_e32 v25, 0xffff0000, v48
	v_fmac_f32_e32 v51, v63, v21
	v_fmac_f32_e32 v19, v18, v26
	v_cndmask_b32_e64 v18, v4, v10, s2
	v_cmp_gt_i32_e64 s2, 32, v11
	v_fmac_f32_e32 v51, v64, v22
	v_fmac_f32_e32 v19, v20, v25
	v_lshlrev_b32_e32 v18, 2, v18
	v_cndmask_b32_e64 v20, v4, v11, s2
	v_add_f32_e32 v19, v51, v19
	v_lshlrev_b32_e32 v20, 2, v20
	ds_bpermute_b32 v18, v18, v19
	s_waitcnt lgkmcnt(0)
	v_add_f32_e32 v18, v19, v18
	ds_bpermute_b32 v19, v20, v18
	s_and_saveexec_b32 s19, vcc_lo
	s_cbranch_execz .LBB113_10
; %bb.18:                               ;   in Loop: Header=BB113_12 Depth=1
	v_add_nc_u32_e32 v20, v12, v8
	s_waitcnt lgkmcnt(0)
	v_add_f32_e32 v18, v18, v19
	v_cvt_f32_i32_e32 v20, v20
	v_mul_f32_e32 v20, s24, v20
	v_cndmask_b32_e64 v19, 0, v20, s1
	v_max_f32_e32 v20, v5, v5
	v_fmac_f32_e32 v19, s23, v18
	v_add_nc_u32_e32 v18, v6, v8
	v_max_f32_e32 v20, v20, v19
	v_cmp_gt_i32_e64 s2, s36, v18
	v_cndmask_b32_e64 v18, 0, v19, s2
	v_cndmask_b32_e64 v5, v5, v20, s2
	ds_write_b32 v13, v18
	s_branch .LBB113_10
.LBB113_19:
	s_or_b32 exec_lo, exec_lo, s15
.LBB113_20:
	s_or_b32 exec_lo, exec_lo, s12
	v_xor_b32_e32 v1, 16, v4
	v_xor_b32_e32 v6, 8, v4
	v_and_b32_e32 v25, 31, v0
	v_cmp_gt_i32_e32 vcc_lo, 32, v1
	v_cndmask_b32_e32 v1, v4, v1, vcc_lo
	v_cmp_gt_i32_e32 vcc_lo, 32, v6
	v_lshlrev_b32_e32 v1, 2, v1
	v_cndmask_b32_e32 v6, v4, v6, vcc_lo
	ds_bpermute_b32 v2, v1, v5
	v_max_f32_e32 v5, v5, v5
	s_waitcnt lgkmcnt(0)
	v_max_f32_e32 v7, v2, v2
	v_lshlrev_b32_e32 v2, 2, v6
	v_max_f32_e32 v5, v5, v7
	v_xor_b32_e32 v7, 4, v4
	ds_bpermute_b32 v6, v2, v5
	v_cmp_gt_i32_e32 vcc_lo, 32, v7
	v_cndmask_b32_e32 v7, v4, v7, vcc_lo
	v_cmp_eq_u32_e32 vcc_lo, 0, v25
	v_lshlrev_b32_e32 v7, 2, v7
	s_waitcnt lgkmcnt(0)
	v_max_f32_e32 v6, v6, v6
	v_max_f32_e32 v6, v5, v6
	v_lshlrev_b32_e32 v5, 2, v23
	ds_bpermute_b32 v8, v7, v6
	s_and_saveexec_b32 s1, vcc_lo
	s_cbranch_execz .LBB113_22
; %bb.21:
	s_waitcnt lgkmcnt(0)
	v_max_f32_e32 v8, v8, v8
	v_max_f32_e32 v6, v6, v6
	v_max_f32_e32 v6, v6, v8
	ds_write_b32 v5, v6 offset:240
.LBB113_22:
	s_or_b32 exec_lo, exec_lo, s1
	v_cmp_gt_u32_e64 s1, 4, v25
	v_mov_b32_e32 v9, 0xff7fffff
	v_lshlrev_b32_e32 v6, 2, v25
	s_waitcnt lgkmcnt(0)
	s_barrier
	buffer_gl0_inv
	s_and_saveexec_b32 s2, s1
; %bb.23:
	ds_read_b32 v9, v6 offset:240
; %bb.24:
	s_or_b32 exec_lo, exec_lo, s2
	v_xor_b32_e32 v8, 2, v4
	v_xor_b32_e32 v11, 1, v4
	v_lshl_add_u32 v26, v0, 2, 0x110
	v_cmp_gt_i32_e64 s2, 32, v8
	v_cndmask_b32_e64 v8, v4, v8, s2
	v_cmp_gt_i32_e64 s2, 32, v11
	v_lshlrev_b32_e32 v8, 2, v8
	v_cndmask_b32_e64 v4, v4, v11, s2
	s_lshl_b32 s2, s40, 3
	s_min_i32 s4, s2, s36
	s_waitcnt lgkmcnt(0)
	ds_bpermute_b32 v10, v8, v9
	v_max_f32_e32 v9, v9, v9
	v_lshlrev_b32_e32 v4, 2, v4
	v_cmp_gt_i32_e64 s2, s4, v0
	s_waitcnt lgkmcnt(0)
	v_max_f32_e32 v10, v10, v10
	v_max_f32_e32 v9, v9, v10
	ds_bpermute_b32 v10, v4, v9
	s_waitcnt lgkmcnt(0)
	v_max_f32_e32 v10, v10, v10
	v_max_f32_e32 v10, v9, v10
	v_mov_b32_e32 v9, 0
	ds_bpermute_b32 v10, v9, v10
	s_and_saveexec_b32 s5, s2
	s_cbranch_execz .LBB113_28
; %bb.25:
	v_lshl_add_u32 v11, v0, 2, 0x110
	v_mov_b32_e32 v9, 0
	v_mov_b32_e32 v12, v0
	s_mov_b32 s12, 0
	.p2align	6
.LBB113_26:                             ; =>This Inner Loop Header: Depth=1
	ds_read_b32 v13, v11
	v_add_nc_u32_e32 v12, 0x80, v12
	v_cmp_le_i32_e64 s3, s4, v12
	s_or_b32 s12, s3, s12
	s_waitcnt lgkmcnt(0)
	v_sub_f32_e32 v13, v13, v10
	v_mul_f32_e32 v13, 0x3fb8aa3b, v13
	v_exp_f32_e32 v13, v13
	ds_write_b32 v11, v13
	v_add_f32_e32 v9, v9, v13
	v_add_nc_u32_e32 v11, 0x200, v11
	s_andn2_b32 exec_lo, exec_lo, s12
	s_cbranch_execnz .LBB113_26
; %bb.27:
	s_or_b32 exec_lo, exec_lo, s12
.LBB113_28:
	s_or_b32 exec_lo, exec_lo, s5
	ds_bpermute_b32 v1, v1, v9
	s_waitcnt lgkmcnt(0)
	v_add_f32_e32 v1, v9, v1
	ds_bpermute_b32 v2, v2, v1
	s_waitcnt lgkmcnt(0)
	v_add_f32_e32 v1, v1, v2
	;; [unrolled: 3-line block ×5, first 2 shown]
	s_and_saveexec_b32 s3, vcc_lo
; %bb.29:
	ds_write_b32 v5, v1 offset:256
; %bb.30:
	s_or_b32 exec_lo, exec_lo, s3
	s_waitcnt lgkmcnt(0)
	s_barrier
	buffer_gl0_inv
	s_and_saveexec_b32 s3, s1
; %bb.31:
	ds_read_b32 v1, v6 offset:256
; %bb.32:
	s_or_b32 exec_lo, exec_lo, s3
	s_waitcnt lgkmcnt(0)
	ds_bpermute_b32 v2, v8, v1
	s_waitcnt lgkmcnt(0)
	v_add_f32_e32 v1, v1, v2
	ds_bpermute_b32 v2, v4, v1
	s_waitcnt lgkmcnt(0)
	v_add_f32_e32 v1, v1, v2
	v_mov_b32_e32 v2, 0
	ds_bpermute_b32 v1, v2, v1
	s_and_saveexec_b32 s1, s2
	s_cbranch_execz .LBB113_35
; %bb.33:
	s_waitcnt lgkmcnt(0)
	v_add_f32_e32 v2, 0x358637bd, v1
	s_mov_b32 s2, 0
	v_div_scale_f32 v1, null, v2, v2, 1.0
	v_div_scale_f32 v6, vcc_lo, 1.0, v2, 1.0
	v_rcp_f32_e32 v4, v1
	v_fma_f32 v5, -v1, v4, 1.0
	v_fmac_f32_e32 v4, v5, v4
	v_mul_f32_e32 v5, v6, v4
	v_fma_f32 v7, -v1, v5, v6
	v_fmac_f32_e32 v5, v7, v4
	v_fma_f32 v1, -v1, v5, v6
	v_div_fmas_f32 v4, v1, v4, v5
	v_mov_b32_e32 v1, v26
	v_div_fixup_f32 v2, v4, v2, 1.0
	v_mov_b32_e32 v4, v0
.LBB113_34:                             ; =>This Inner Loop Header: Depth=1
	ds_read_b32 v5, v1
	v_add_nc_u32_e32 v4, 0x80, v4
	v_cmp_le_i32_e32 vcc_lo, s4, v4
	s_or_b32 s2, vcc_lo, s2
	s_waitcnt lgkmcnt(0)
	v_mul_f32_e32 v5, v2, v5
	ds_write_b32 v1, v5
	v_add_nc_u32_e32 v1, 0x200, v1
	s_andn2_b32 exec_lo, exec_lo, s2
	s_cbranch_execnz .LBB113_34
.LBB113_35:
	s_or_b32 exec_lo, exec_lo, s1
	v_mov_b32_e32 v30, 0
	v_mov_b32_e32 v29, 0
	;; [unrolled: 1-line block ×4, first 2 shown]
	s_waitcnt lgkmcnt(0)
	s_barrier
	buffer_gl0_inv
	s_and_saveexec_b32 s41, s0
	s_cbranch_execz .LBB113_51
; %bb.36:
	s_ashr_i32 s15, s14, 31
	s_sub_i32 s42, s9, s17
	s_lshl_b64 s[0:1], s[14:15], 1
	v_lshlrev_b32_e32 v2, 3, v25
	s_add_u32 s43, s20, s0
	s_addc_u32 s44, s21, s1
	s_abs_i32 s45, s18
	v_or_b32_e32 v4, 0x60, v25
	v_cvt_f32_u32_e32 v1, s45
	s_sub_i32 s0, 0, s45
	v_lshlrev_b32_e32 v33, 1, v2
	v_and_b32_e32 v3, 0x7c, v3
	s_lshl_b64 s[2:3], s[6:7], 2
	v_rcp_iflag_f32_e32 v1, v1
	s_add_i32 s46, s40, -1
	s_add_u32 s1, s10, s2
	s_addc_u32 s2, s11, s3
	v_add_co_u32 v21, s1, s1, v3
	v_mov_b32_e32 v31, 0
	v_lshl_add_u32 v32, v23, 5, 0x110
	v_mov_b32_e32 v27, 0
	v_mov_b32_e32 v28, 0
	v_mul_f32_e32 v1, 0x4f7ffffe, v1
	v_mov_b32_e32 v29, 0
	v_mov_b32_e32 v30, 0
	v_add_co_ci_u32_e64 v22, null, s2, 0, s1
	v_cvt_u32_f32_e32 v1, v1
	v_mov_b32_e32 v36, v23
	s_mov_b32 s47, s13
	s_mov_b32 s49, s36
	;; [unrolled: 1-line block ×3, first 2 shown]
	v_mul_lo_u32 v5, s0, v1
	v_cmp_gt_u32_e64 s0, 0x78, v4
	v_lshlrev_b32_e32 v4, 3, v4
	v_lshlrev_b32_e32 v34, 1, v4
	v_mul_hi_u32 v2, v1, v5
	v_add_nc_u32_e32 v35, v1, v2
	s_branch .LBB113_40
.LBB113_37:                             ;   in Loop: Header=BB113_40 Depth=1
	s_or_b32 exec_lo, exec_lo, s52
	v_perm_b32 v14, v51, v50, 0x7060302
	s_waitcnt vmcnt(0)
	v_and_b32_e32 v38, 0xffff0000, v1
	v_perm_b32 v15, v53, v52, 0x7060302
	v_lshlrev_b32_e32 v1, 16, v1
	v_and_b32_e32 v51, 0xffff0000, v2
	v_and_b32_e32 v50, 0xffff0000, v14
	v_lshlrev_b32_e32 v14, 16, v14
	v_lshlrev_b32_e32 v2, 16, v2
	v_perm_b32 v16, v55, v54, 0x7060302
	v_perm_b32 v37, v57, v56, 0x7060302
	v_mul_f32_e32 v38, v50, v38
	v_and_b32_e32 v50, 0xffff0000, v15
	v_lshlrev_b32_e32 v15, 16, v15
	v_mul_f32_e32 v1, v14, v1
	v_and_b32_e32 v14, 0xffff0000, v3
	v_bfe_u32 v52, v38, 16, 1
	v_mul_f32_e32 v50, v50, v51
	v_mul_f32_e32 v2, v15, v2
	v_bfe_u32 v15, v1, 16, 1
	v_or_b32_e32 v51, 0x400000, v38
	v_add3_u32 v52, v52, v38, 0x7fff
	v_cmp_u_f32_e32 vcc_lo, v38, v38
	v_or_b32_e32 v53, 0x400000, v1
	v_bfe_u32 v54, v50, 16, 1
	v_add3_u32 v15, v15, v1, 0x7fff
	v_lshlrev_b32_e32 v3, 16, v3
	v_cndmask_b32_e32 v38, v52, v51, vcc_lo
	v_and_b32_e32 v51, 0xffff0000, v16
	v_cmp_u_f32_e32 vcc_lo, v1, v1
	v_or_b32_e32 v52, 0x400000, v50
	v_lshlrev_b32_e32 v16, 16, v16
	v_and_b32_e32 v38, 0xffff0000, v38
	v_mul_f32_e32 v14, v51, v14
	v_cndmask_b32_e32 v1, v15, v53, vcc_lo
	v_add3_u32 v15, v54, v50, 0x7fff
	v_bfe_u32 v53, v2, 16, 1
	v_cmp_u_f32_e32 vcc_lo, v50, v50
	v_or_b32_e32 v51, 0x400000, v2
	v_mul_f32_e32 v3, v16, v3
	v_and_b32_e32 v16, 0xffff0000, v4
	v_add3_u32 v50, v53, v2, 0x7fff
	v_cndmask_b32_e32 v15, v15, v52, vcc_lo
	v_bfe_u32 v52, v14, 16, 1
	v_and_b32_e32 v53, 0xffff0000, v37
	v_lshlrev_b32_e32 v4, 16, v4
	v_lshlrev_b32_e32 v37, 16, v37
	v_cmp_u_f32_e32 vcc_lo, v2, v2
	v_and_b32_e32 v1, 0xffff0000, v1
	v_mul_f32_e32 v16, v53, v16
	v_and_b32_e32 v15, 0xffff0000, v15
	v_mul_f32_e32 v4, v37, v4
	v_cndmask_b32_e32 v2, v50, v51, vcc_lo
	v_bfe_u32 v50, v3, 16, 1
	v_add3_u32 v51, v52, v14, 0x7fff
	v_or_b32_e32 v37, 0x400000, v14
	v_cmp_u_f32_e32 vcc_lo, v14, v14
	v_or_b32_e32 v52, 0x400000, v3
	v_add3_u32 v50, v50, v3, 0x7fff
	v_bfe_u32 v54, v4, 16, 1
	v_bfe_u32 v53, v16, 16, 1
	v_cndmask_b32_e32 v14, v51, v37, vcc_lo
	v_cmp_u_f32_e32 vcc_lo, v3, v3
	v_or_b32_e32 v51, 0x400000, v4
	v_and_b32_e32 v2, 0xffff0000, v2
	v_add3_u32 v37, v53, v16, 0x7fff
	v_add_f32_e32 v1, v1, v38
	v_cndmask_b32_e32 v3, v50, v52, vcc_lo
	v_add3_u32 v50, v54, v4, 0x7fff
	v_cmp_u_f32_e32 vcc_lo, v4, v4
	v_or_b32_e32 v52, 0x400000, v16
	v_add_f32_e32 v2, v2, v15
	v_and_b32_e32 v3, 0xffff0000, v3
	v_and_b32_e32 v14, 0xffff0000, v14
	v_cndmask_b32_e32 v4, v50, v51, vcc_lo
	v_cmp_u_f32_e32 vcc_lo, v16, v16
	v_add_f32_e32 v1, v2, v1
	v_add_f32_e32 v2, v3, v14
	v_and_b32_e32 v3, 0xffff0000, v4
	v_cndmask_b32_e32 v15, v37, v52, vcc_lo
	v_add_f32_e32 v1, v2, v1
	v_and_b32_e32 v4, 0xffff0000, v15
	v_add_f32_e32 v2, v3, v4
	v_add_f32_e32 v1, v2, v1
	;; [unrolled: 1-line block ×3, first 2 shown]
.LBB113_38:                             ;   in Loop: Header=BB113_40 Depth=1
	s_or_b32 exec_lo, exec_lo, s51
	v_bfe_u32 v1, v47, 16, 1
	v_or_b32_e32 v2, 0x400000, v47
	v_bfe_u32 v3, v46, 16, 1
	v_bfe_u32 v14, v45, 16, 1
	;; [unrolled: 1-line block ×3, first 2 shown]
	v_add3_u32 v1, v1, v47, 0x7fff
	v_bfe_u32 v16, v49, 16, 1
	v_or_b32_e32 v4, 0x400000, v46
	v_add3_u32 v3, v3, v46, 0x7fff
	v_add3_u32 v14, v14, v45, 0x7fff
	v_cndmask_b32_e64 v1, v1, v2, s25
	v_or_b32_e32 v2, 0x400000, v45
	v_add3_u32 v15, v15, v44, 0x7fff
	v_or_b32_e32 v37, 0x400000, v44
	v_add3_u32 v16, v16, v49, 0x7fff
	v_or_b32_e32 v38, 0x400000, v49
	v_bfe_u32 v44, v48, 16, 1
	v_cndmask_b32_e64 v3, v3, v4, s21
	v_cndmask_b32_e64 v2, v14, v2, s22
	;; [unrolled: 1-line block ×4, first 2 shown]
	v_add3_u32 v15, v44, v48, 0x7fff
	v_or_b32_e32 v16, 0x400000, v48
	v_bfe_u32 v37, v43, 16, 1
	v_and_b32_e32 v3, 0xffff0000, v3
	v_and_b32_e32 v1, 0xffff0000, v1
	;; [unrolled: 1-line block ×4, first 2 shown]
	v_cndmask_b32_e64 v15, v15, v16, s24
	v_add3_u32 v37, v37, v43, 0x7fff
	v_add_f32_e32 v1, v3, v1
	v_bfe_u32 v16, v41, 16, 1
	v_add_f32_e32 v2, v4, v2
	v_and_b32_e32 v3, 0xffff0000, v15
	v_and_b32_e32 v4, 0xffff0000, v14
	v_or_b32_e32 v14, 0x400000, v43
	v_add3_u32 v15, v16, v41, 0x7fff
	v_add_f32_e32 v1, v2, v1
	v_or_b32_e32 v16, 0x400000, v41
	v_add_f32_e32 v2, v3, v4
	v_cndmask_b32_e64 v3, v37, v14, s20
	v_bfe_u32 v4, v19, 16, 1
	v_or_b32_e32 v37, 0x400000, v40
	v_cndmask_b32_e64 v14, v15, v16, s18
	v_add_f32_e32 v1, v2, v1
	v_and_b32_e32 v2, 0xffff0000, v3
	v_add3_u32 v3, v4, v19, 0x7fff
	v_or_b32_e32 v4, 0x400000, v19
	v_bfe_u32 v15, v42, 16, 1
	v_bfe_u32 v19, v40, 16, 1
	v_or_b32_e32 v16, 0x400000, v42
	v_or_b32_e32 v38, 0x400000, v39
	v_cndmask_b32_e64 v3, v3, v4, s16
	v_bfe_u32 v4, v39, 16, 1
	v_add3_u32 v15, v15, v42, 0x7fff
	v_add3_u32 v19, v19, v40, 0x7fff
	v_and_b32_e32 v14, 0xffff0000, v14
	v_and_b32_e32 v3, 0xffff0000, v3
	v_add3_u32 v4, v4, v39, 0x7fff
	v_cndmask_b32_e64 v15, v15, v16, s19
	v_bfe_u32 v16, v20, 16, 1
	v_cndmask_b32_e64 v19, v19, v37, s17
	v_bfe_u32 v39, v17, 16, 1
	v_cndmask_b32_e64 v4, v4, v38, s14
	v_and_b32_e32 v15, 0xffff0000, v15
	v_add3_u32 v16, v16, v20, 0x7fff
	v_or_b32_e32 v20, 0x400000, v20
	v_and_b32_e32 v19, 0xffff0000, v19
	v_and_b32_e32 v4, 0xffff0000, v4
	v_bfe_u32 v37, v18, 16, 1
	v_add_f32_e32 v3, v15, v3
	v_cndmask_b32_e64 v16, v16, v20, s15
	v_add3_u32 v20, v39, v17, 0x7fff
	v_or_b32_e32 v17, 0x400000, v17
	v_add_f32_e32 v4, v4, v19
	v_add3_u32 v37, v37, v18, 0x7fff
	v_or_b32_e32 v18, 0x400000, v18
	v_and_b32_e32 v16, 0xffff0000, v16
	v_cndmask_b32_e64 v15, v20, v17, s11
	v_add_f32_e32 v3, v4, v3
	v_bfe_u32 v4, v11, 16, 1
	v_cndmask_b32_e64 v17, v37, v18, s12
	v_bfe_u32 v18, v12, 16, 1
	v_and_b32_e32 v15, 0xffff0000, v15
	v_bfe_u32 v19, v8, 16, 1
	v_add3_u32 v4, v4, v11, 0x7fff
	v_or_b32_e32 v11, 0x400000, v11
	v_add3_u32 v18, v18, v12, 0x7fff
	v_or_b32_e32 v12, 0x400000, v12
	v_add_f32_e32 v15, v15, v16
	v_bfe_u32 v16, v7, 16, 1
	v_cndmask_b32_e64 v4, v4, v11, s10
	v_bfe_u32 v11, v10, 16, 1
	v_cndmask_b32_e64 v12, v18, v12, s9
	v_bfe_u32 v18, v9, 16, 1
	v_add3_u32 v16, v16, v7, 0x7fff
	v_or_b32_e32 v7, 0x400000, v7
	v_add3_u32 v11, v11, v10, 0x7fff
	v_or_b32_e32 v10, 0x400000, v10
	v_bfe_u32 v38, v13, 16, 1
	v_add3_u32 v18, v18, v9, 0x7fff
	v_or_b32_e32 v9, 0x400000, v9
	v_add3_u32 v19, v19, v8, 0x7fff
	v_or_b32_e32 v8, 0x400000, v8
	v_bfe_u32 v20, v6, 16, 1
	v_cndmask_b32_e64 v7, v16, v7, s3
	v_cndmask_b32_e64 v10, v11, v10, s5
	v_bfe_u32 v16, v5, 16, 1
	v_add3_u32 v38, v38, v13, 0x7fff
	v_or_b32_e32 v13, 0x400000, v13
	v_cndmask_b32_e64 v9, v18, v9, s6
	v_cndmask_b32_e64 v8, v19, v8, s7
	v_add3_u32 v11, v20, v6, 0x7fff
	v_and_b32_e32 v4, 0xffff0000, v4
	v_and_b32_e32 v12, 0xffff0000, v12
	v_and_b32_e32 v10, 0xffff0000, v10
	v_and_b32_e32 v7, 0xffff0000, v7
	v_or_b32_e32 v6, 0x400000, v6
	v_add3_u32 v16, v16, v5, 0x7fff
	v_or_b32_e32 v5, 0x400000, v5
	v_cndmask_b32_e64 v13, v38, v13, s13
	v_add_f32_e32 v4, v4, v12
	v_add_f32_e32 v7, v10, v7
	v_and_b32_e32 v8, 0xffff0000, v8
	v_and_b32_e32 v9, 0xffff0000, v9
	v_cndmask_b32_e64 v5, v16, v5, s2
	v_cndmask_b32_e64 v6, v11, v6, s1
	v_and_b32_e32 v13, 0xffff0000, v13
	v_and_b32_e32 v10, 0xffff0000, v17
	v_add_f32_e32 v4, v7, v4
	v_add_f32_e32 v7, v8, v9
	v_and_b32_e32 v5, 0xffff0000, v5
	v_and_b32_e32 v6, 0xffff0000, v6
	v_add_f32_e32 v2, v2, v14
	v_add_f32_e32 v3, v15, v3
	;; [unrolled: 1-line block ×11, first 2 shown]
.LBB113_39:                             ;   in Loop: Header=BB113_40 Depth=1
	s_or_b32 exec_lo, exec_lo, s50
	v_add_nc_u32_e32 v36, 4, v36
	v_add_co_u32 v21, s1, v21, 16
	v_add_co_ci_u32_e64 v22, null, 0, v22, s1
	v_cmp_le_i32_e32 vcc_lo, s40, v36
	v_add_nc_u32_e32 v24, 32, v24
	v_add_nc_u32_e32 v32, 0x80, v32
	s_or_b32 s48, vcc_lo, s48
	s_andn2_b32 exec_lo, exec_lo, s48
	s_cbranch_execz .LBB113_50
.LBB113_40:                             ; =>This Inner Loop Header: Depth=1
	v_mul_hi_u32 v1, v24, s37
	v_mul_lo_u32 v2, v1, s31
	v_add_nc_u32_e32 v3, 1, v1
	v_sub_nc_u32_e32 v2, v24, v2
	v_subrev_nc_u32_e32 v4, s31, v2
	v_cmp_le_u32_e32 vcc_lo, s31, v2
	v_cndmask_b32_e32 v1, v1, v3, vcc_lo
	v_cndmask_b32_e32 v2, v2, v4, vcc_lo
	v_add_nc_u32_e32 v3, 1, v1
	v_cmp_le_u32_e32 vcc_lo, s31, v2
	v_cndmask_b32_e32 v1, v1, v3, vcc_lo
	v_xor_b32_e32 v1, s39, v1
	v_subrev_nc_u32_e32 v1, s39, v1
	v_add_nc_u32_e32 v2, s38, v1
	v_cmp_lt_i32_e64 s1, s42, v1
	v_sub_nc_u32_e32 v3, 0, v2
	v_max_i32_e32 v3, v2, v3
	v_ashrrev_i32_e32 v2, 31, v2
	v_mul_hi_u32 v4, v3, v35
	v_mul_lo_u32 v4, v4, s45
	v_sub_nc_u32_e32 v3, v3, v4
	v_subrev_nc_u32_e32 v4, s45, v3
	v_cmp_le_u32_e32 vcc_lo, s45, v3
	v_cndmask_b32_e32 v3, v3, v4, vcc_lo
	v_subrev_nc_u32_e32 v4, s45, v3
	v_cmp_le_u32_e32 vcc_lo, s45, v3
	v_cndmask_b32_e32 v3, v3, v4, vcc_lo
	v_xor_b32_e32 v3, v3, v2
	v_sub_nc_u32_e32 v2, v3, v2
	v_cmp_eq_u32_e32 vcc_lo, 0, v2
	s_or_b32 s1, vcc_lo, s1
	s_and_saveexec_b32 s50, s1
	s_cbranch_execz .LBB113_39
; %bb.41:                               ;   in Loop: Header=BB113_40 Depth=1
	global_load_dword v1, v[21:22], off
	v_cmp_eq_u32_e64 s4, s46, v36
	s_waitcnt vmcnt(0)
	v_mad_i64_i32 v[1:2], null, v1, s47, 0
	v_lshlrev_b64 v[1:2], 1, v[1:2]
	v_add_co_u32 v37, vcc_lo, s43, v1
	v_add_co_ci_u32_e64 v38, null, s44, v2, vcc_lo
	v_add_co_u32 v13, vcc_lo, v37, v33
	v_add_co_ci_u32_e64 v14, null, 0, v38, vcc_lo
	global_load_dwordx4 v[1:4], v[13:14], off
	ds_read2_b64 v[9:12], v32 offset1:1
	ds_read2_b64 v[5:8], v32 offset0:2 offset1:3
	s_and_saveexec_b32 s3, s4
	s_cbranch_execnz .LBB113_48
; %bb.42:                               ;   in Loop: Header=BB113_40 Depth=1
	s_or_b32 exec_lo, exec_lo, s3
	global_load_dwordx4 v[17:20], v[13:14], off offset:512
	s_and_saveexec_b32 s3, s4
	s_cbranch_execnz .LBB113_49
.LBB113_43:                             ;   in Loop: Header=BB113_40 Depth=1
	s_or_b32 exec_lo, exec_lo, s3
	global_load_dwordx4 v[13:16], v[13:14], off offset:1024
	s_and_saveexec_b32 s3, s4
	s_cbranch_execz .LBB113_45
.LBB113_44:                             ;   in Loop: Header=BB113_40 Depth=1
	v_add_nc_u32_e32 v39, 1, v24
	v_or_b32_e32 v40, 3, v24
	v_cmp_gt_i32_e32 vcc_lo, s36, v24
	v_or_b32_e32 v41, 2, v24
	v_or_b32_e32 v43, 7, v24
	v_cmp_gt_i32_e64 s1, s49, v40
	s_waitcnt vmcnt(0)
	v_cndmask_b32_e32 v42, 0, v13, vcc_lo
	v_cmp_gt_i32_e32 vcc_lo, s49, v39
	v_cmp_gt_i32_e64 s2, s36, v41
	v_or_b32_e32 v40, 5, v24
	v_or_b32_e32 v41, 4, v24
	v_cndmask_b32_sdwa v13, v31, v13, vcc_lo dst_sel:DWORD dst_unused:UNUSED_PAD src0_sel:DWORD src1_sel:WORD_1
	s_mov_b32 vcc_lo, s1
	v_cndmask_b32_e64 v39, 0, v14, s2
	v_cndmask_b32_sdwa v14, v31, v14, vcc_lo dst_sel:DWORD dst_unused:UNUSED_PAD src0_sel:DWORD src1_sel:WORD_1
	v_cmp_gt_i32_e32 vcc_lo, s49, v40
	v_cmp_gt_i32_e64 s1, s36, v41
	v_or_b32_e32 v41, 6, v24
	v_perm_b32 v13, v13, v42, 0x5040100
	v_perm_b32 v14, v14, v39, 0x5040100
	v_cndmask_b32_e64 v40, 0, v15, s1
	v_cmp_gt_i32_e64 s1, s49, v43
	v_cndmask_b32_sdwa v15, v31, v15, vcc_lo dst_sel:DWORD dst_unused:UNUSED_PAD src0_sel:DWORD src1_sel:WORD_1
	v_cmp_gt_i32_e32 vcc_lo, s36, v41
	v_perm_b32 v15, v15, v40, 0x5040100
	v_cndmask_b32_e32 v41, 0, v16, vcc_lo
	s_mov_b32 vcc_lo, s1
	v_cndmask_b32_sdwa v16, v31, v16, vcc_lo dst_sel:DWORD dst_unused:UNUSED_PAD src0_sel:DWORD src1_sel:WORD_1
	v_perm_b32 v16, v16, v41, 0x5040100
.LBB113_45:                             ;   in Loop: Header=BB113_40 Depth=1
	s_or_b32 exec_lo, exec_lo, s3
	s_waitcnt lgkmcnt(1)
	v_bfe_u32 v39, v9, 16, 1
	v_or_b32_e32 v40, 0x400000, v9
	v_bfe_u32 v41, v10, 16, 1
	v_cmp_u_f32_e32 vcc_lo, v9, v9
	v_bfe_u32 v42, v11, 16, 1
	v_add3_u32 v39, v39, v9, 0x7fff
	v_or_b32_e32 v43, 0x400000, v10
	v_add3_u32 v41, v41, v10, 0x7fff
	v_or_b32_e32 v44, 0x400000, v11
	v_add3_u32 v42, v42, v11, 0x7fff
	v_cndmask_b32_e32 v50, v39, v40, vcc_lo
	v_cmp_u_f32_e32 vcc_lo, v10, v10
	v_bfe_u32 v9, v12, 16, 1
	s_waitcnt lgkmcnt(0)
	v_bfe_u32 v10, v5, 16, 1
	v_or_b32_e32 v39, 0x400000, v5
	v_bfe_u32 v40, v6, 16, 1
	v_cndmask_b32_e32 v51, v41, v43, vcc_lo
	v_cmp_u_f32_e32 vcc_lo, v11, v11
	v_add3_u32 v9, v9, v12, 0x7fff
	v_or_b32_e32 v11, 0x400000, v12
	v_add3_u32 v10, v10, v5, 0x7fff
	v_cndmask_b32_e32 v52, v42, v44, vcc_lo
	v_cmp_u_f32_e32 vcc_lo, v12, v12
	v_bfe_u32 v12, v8, 16, 1
	v_and_b32_e32 v59, 0xffff0000, v52
	v_cndmask_b32_e32 v53, v9, v11, vcc_lo
	v_cmp_u_f32_e32 vcc_lo, v5, v5
	v_bfe_u32 v9, v7, 16, 1
	v_add3_u32 v5, v40, v6, 0x7fff
	v_or_b32_e32 v11, 0x400000, v7
	v_and_b32_e32 v58, 0xffff0000, v53
	v_cndmask_b32_e32 v54, v10, v39, vcc_lo
	v_or_b32_e32 v10, 0x400000, v6
	v_cmp_u_f32_e32 vcc_lo, v6, v6
	v_add3_u32 v9, v9, v7, 0x7fff
	v_and_b32_e32 v6, 0xffff0000, v51
	v_cndmask_b32_e32 v55, v5, v10, vcc_lo
	v_cmp_u_f32_e32 vcc_lo, v7, v7
	v_add3_u32 v5, v12, v8, 0x7fff
	s_waitcnt vmcnt(1)
	v_and_b32_e32 v7, 0xffff0000, v17
	v_lshlrev_b32_e32 v10, 16, v17
	v_or_b32_e32 v17, 0x400000, v8
	v_cndmask_b32_e32 v56, v9, v11, vcc_lo
	v_and_b32_e32 v9, 0xffff0000, v50
	v_cmp_u_f32_e32 vcc_lo, v8, v8
	v_mul_f32_e32 v47, v6, v7
	v_and_b32_e32 v7, 0xffff0000, v19
	v_and_b32_e32 v8, 0xffff0000, v54
	v_mul_f32_e32 v46, v9, v10
	v_cndmask_b32_e32 v57, v5, v17, vcc_lo
	v_and_b32_e32 v5, 0xffff0000, v55
	v_lshlrev_b32_e32 v10, 16, v19
	v_and_b32_e32 v11, 0xffff0000, v18
	v_lshlrev_b32_e32 v12, 16, v18
	v_and_b32_e32 v17, 0xffff0000, v1
	v_mul_f32_e32 v49, v5, v7
	v_mul_f32_e32 v48, v8, v10
	v_lshlrev_b32_e32 v1, 16, v1
	v_and_b32_e32 v7, 0xffff0000, v2
	v_lshlrev_b32_e32 v2, 16, v2
	v_and_b32_e32 v10, 0xffff0000, v3
	v_lshlrev_b32_e32 v3, 16, v3
	v_mul_f32_e32 v45, v58, v11
	v_mul_f32_e32 v44, v59, v12
	v_and_b32_e32 v60, 0xffff0000, v57
	v_and_b32_e32 v11, 0xffff0000, v20
	v_and_b32_e32 v61, 0xffff0000, v56
	v_lshlrev_b32_e32 v12, 16, v20
	v_mul_f32_e32 v19, v6, v17
	v_mul_f32_e32 v42, v9, v1
	;; [unrolled: 1-line block ×4, first 2 shown]
	v_and_b32_e32 v1, 0xffff0000, v4
	v_lshlrev_b32_e32 v2, 16, v4
	s_waitcnt vmcnt(0)
	v_and_b32_e32 v3, 0xffff0000, v13
	v_lshlrev_b32_e32 v4, 16, v13
	v_mul_f32_e32 v41, v60, v11
	v_mul_f32_e32 v43, v61, v12
	;; [unrolled: 1-line block ×3, first 2 shown]
	v_and_b32_e32 v7, 0xffff0000, v14
	v_mul_f32_e32 v18, v60, v1
	v_mul_f32_e32 v13, v61, v2
	v_mul_f32_e32 v12, v6, v3
	v_mul_f32_e32 v11, v9, v4
	v_lshlrev_b32_e32 v1, 16, v14
	v_and_b32_e32 v2, 0xffff0000, v15
	v_lshlrev_b32_e32 v3, 16, v15
	v_and_b32_e32 v4, 0xffff0000, v16
	v_lshlrev_b32_e32 v14, 16, v16
	v_mul_f32_e32 v20, v5, v10
	v_mul_f32_e32 v7, v58, v7
	;; [unrolled: 1-line block ×7, first 2 shown]
	v_cmp_u_f32_e64 s25, v47, v47
	v_cmp_u_f32_e64 s21, v46, v46
	;; [unrolled: 1-line block ×24, first 2 shown]
	s_and_saveexec_b32 s51, s0
	s_cbranch_execz .LBB113_38
; %bb.46:                               ;   in Loop: Header=BB113_40 Depth=1
	v_add_co_u32 v1, vcc_lo, v37, v34
	v_add_co_ci_u32_e64 v2, null, 0, v38, vcc_lo
	global_load_dwordx4 v[1:4], v[1:2], off
	s_and_saveexec_b32 s52, s4
	s_cbranch_execz .LBB113_37
; %bb.47:                               ;   in Loop: Header=BB113_40 Depth=1
	v_add_nc_u32_e32 v14, 1, v24
	v_or_b32_e32 v15, 3, v24
	v_cmp_gt_i32_e32 vcc_lo, s36, v24
	v_or_b32_e32 v16, 2, v24
	v_or_b32_e32 v38, 7, v24
	v_cmp_gt_i32_e64 s4, s49, v15
	s_waitcnt vmcnt(0)
	v_cndmask_b32_e32 v37, 0, v1, vcc_lo
	v_cmp_gt_i32_e32 vcc_lo, s49, v14
	v_cmp_gt_i32_e64 s27, s36, v16
	v_or_b32_e32 v15, 5, v24
	v_or_b32_e32 v16, 4, v24
	v_cndmask_b32_sdwa v1, v31, v1, vcc_lo dst_sel:DWORD dst_unused:UNUSED_PAD src0_sel:DWORD src1_sel:WORD_1
	s_mov_b32 vcc_lo, s4
	v_cndmask_b32_e64 v14, 0, v2, s27
	v_cndmask_b32_sdwa v2, v31, v2, vcc_lo dst_sel:DWORD dst_unused:UNUSED_PAD src0_sel:DWORD src1_sel:WORD_1
	v_cmp_gt_i32_e32 vcc_lo, s49, v15
	v_cmp_gt_i32_e64 s4, s36, v16
	v_or_b32_e32 v16, 6, v24
	v_perm_b32 v1, v1, v37, 0x5040100
	v_perm_b32 v2, v2, v14, 0x5040100
	v_cndmask_b32_e64 v15, 0, v3, s4
	v_cmp_gt_i32_e64 s4, s49, v38
	v_cndmask_b32_sdwa v3, v31, v3, vcc_lo dst_sel:DWORD dst_unused:UNUSED_PAD src0_sel:DWORD src1_sel:WORD_1
	v_cmp_gt_i32_e32 vcc_lo, s36, v16
	v_perm_b32 v3, v3, v15, 0x5040100
	v_cndmask_b32_e32 v16, 0, v4, vcc_lo
	s_mov_b32 vcc_lo, s4
	v_cndmask_b32_sdwa v4, v31, v4, vcc_lo dst_sel:DWORD dst_unused:UNUSED_PAD src0_sel:DWORD src1_sel:WORD_1
	v_perm_b32 v4, v4, v16, 0x5040100
	s_branch .LBB113_37
.LBB113_48:                             ;   in Loop: Header=BB113_40 Depth=1
	v_add_nc_u32_e32 v15, 1, v24
	v_or_b32_e32 v16, 3, v24
	v_cmp_gt_i32_e32 vcc_lo, s36, v24
	v_or_b32_e32 v17, 2, v24
	v_or_b32_e32 v19, 7, v24
	v_cmp_gt_i32_e64 s1, s49, v16
	s_waitcnt vmcnt(0)
	v_cndmask_b32_e32 v18, 0, v1, vcc_lo
	v_cmp_gt_i32_e32 vcc_lo, s49, v15
	v_cmp_gt_i32_e64 s2, s36, v17
	v_or_b32_e32 v16, 5, v24
	v_or_b32_e32 v17, 4, v24
	v_cndmask_b32_sdwa v1, v31, v1, vcc_lo dst_sel:DWORD dst_unused:UNUSED_PAD src0_sel:DWORD src1_sel:WORD_1
	s_mov_b32 vcc_lo, s1
	v_cndmask_b32_e64 v15, 0, v2, s2
	v_cndmask_b32_sdwa v2, v31, v2, vcc_lo dst_sel:DWORD dst_unused:UNUSED_PAD src0_sel:DWORD src1_sel:WORD_1
	v_cmp_gt_i32_e32 vcc_lo, s49, v16
	v_cmp_gt_i32_e64 s1, s36, v17
	v_or_b32_e32 v17, 6, v24
	v_perm_b32 v1, v1, v18, 0x5040100
	v_perm_b32 v2, v2, v15, 0x5040100
	v_cndmask_b32_e64 v16, 0, v3, s1
	v_cmp_gt_i32_e64 s1, s49, v19
	v_cndmask_b32_sdwa v3, v31, v3, vcc_lo dst_sel:DWORD dst_unused:UNUSED_PAD src0_sel:DWORD src1_sel:WORD_1
	v_cmp_gt_i32_e32 vcc_lo, s36, v17
	v_perm_b32 v3, v3, v16, 0x5040100
	v_cndmask_b32_e32 v17, 0, v4, vcc_lo
	s_mov_b32 vcc_lo, s1
	v_cndmask_b32_sdwa v4, v31, v4, vcc_lo dst_sel:DWORD dst_unused:UNUSED_PAD src0_sel:DWORD src1_sel:WORD_1
	v_perm_b32 v4, v4, v17, 0x5040100
	s_or_b32 exec_lo, exec_lo, s3
	global_load_dwordx4 v[17:20], v[13:14], off offset:512
	s_and_saveexec_b32 s3, s4
	s_cbranch_execz .LBB113_43
.LBB113_49:                             ;   in Loop: Header=BB113_40 Depth=1
	v_add_nc_u32_e32 v15, 1, v24
	v_or_b32_e32 v16, 3, v24
	v_cmp_gt_i32_e32 vcc_lo, s36, v24
	v_or_b32_e32 v39, 2, v24
	v_or_b32_e32 v41, 7, v24
	v_cmp_gt_i32_e64 s1, s49, v16
	s_waitcnt vmcnt(0)
	v_cndmask_b32_e32 v40, 0, v17, vcc_lo
	v_cmp_gt_i32_e32 vcc_lo, s49, v15
	v_cmp_gt_i32_e64 s2, s36, v39
	v_or_b32_e32 v16, 5, v24
	v_or_b32_e32 v39, 4, v24
	v_cndmask_b32_sdwa v17, v31, v17, vcc_lo dst_sel:DWORD dst_unused:UNUSED_PAD src0_sel:DWORD src1_sel:WORD_1
	s_mov_b32 vcc_lo, s1
	v_cndmask_b32_e64 v15, 0, v18, s2
	v_cndmask_b32_sdwa v18, v31, v18, vcc_lo dst_sel:DWORD dst_unused:UNUSED_PAD src0_sel:DWORD src1_sel:WORD_1
	v_cmp_gt_i32_e32 vcc_lo, s49, v16
	v_cmp_gt_i32_e64 s1, s36, v39
	v_or_b32_e32 v39, 6, v24
	v_perm_b32 v17, v17, v40, 0x5040100
	v_perm_b32 v18, v18, v15, 0x5040100
	v_cndmask_b32_e64 v16, 0, v19, s1
	v_cmp_gt_i32_e64 s1, s49, v41
	v_cndmask_b32_sdwa v19, v31, v19, vcc_lo dst_sel:DWORD dst_unused:UNUSED_PAD src0_sel:DWORD src1_sel:WORD_1
	v_cmp_gt_i32_e32 vcc_lo, s36, v39
	v_perm_b32 v19, v19, v16, 0x5040100
	v_cndmask_b32_e32 v39, 0, v20, vcc_lo
	s_mov_b32 vcc_lo, s1
	v_cndmask_b32_sdwa v20, v31, v20, vcc_lo dst_sel:DWORD dst_unused:UNUSED_PAD src0_sel:DWORD src1_sel:WORD_1
	v_perm_b32 v20, v20, v39, 0x5040100
	s_or_b32 exec_lo, exec_lo, s3
	global_load_dwordx4 v[13:16], v[13:14], off offset:1024
	s_and_saveexec_b32 s3, s4
	s_cbranch_execnz .LBB113_44
	s_branch .LBB113_45
.LBB113_50:
	s_or_b32 exec_lo, exec_lo, s48
.LBB113_51:
	s_or_b32 exec_lo, exec_lo, s41
	s_movk_i32 s0, 0x1e0
	v_and_b32_e32 v1, 0x3c0, v0
	v_mad_u32_u24 v4, v23, s0, 0x110
	v_or_b32_e32 v3, 0x60, v0
	s_mov_b32 s0, exec_lo
	s_barrier
	buffer_gl0_inv
	v_cmpx_eq_u32_e32 64, v1
	s_cbranch_execz .LBB113_54
; %bb.52:
	v_add_nc_u32_e32 v1, 0xfffffc40, v4
	v_cmp_gt_u32_e32 vcc_lo, 0x78, v3
	v_lshl_add_u32 v2, v25, 2, v1
	ds_write2_b32 v2, v30, v29 offset1:32
	ds_write_b32 v2, v28 offset:256
	s_and_b32 exec_lo, exec_lo, vcc_lo
; %bb.53:
	v_lshl_add_u32 v1, v3, 2, v1
	ds_write_b32 v1, v27
.LBB113_54:
	s_or_b32 exec_lo, exec_lo, s0
	v_lshl_add_u32 v5, v25, 2, v4
	s_mov_b32 s0, exec_lo
	s_waitcnt lgkmcnt(0)
	s_barrier
	buffer_gl0_inv
	v_cmpx_gt_u32_e32 64, v0
	s_cbranch_execz .LBB113_58
; %bb.55:
	v_lshl_or_b32 v1, v0, 2, 0x80
	s_mov_b32 s1, exec_lo
	v_add_nc_u32_e32 v6, v4, v1
	ds_read2st64_b32 v[1:2], v5 offset1:1
	ds_read_b32 v6, v6
	v_cmpx_gt_u32_e32 0x78, v3
	s_cbranch_execz .LBB113_57
; %bb.56:
	v_lshl_add_u32 v7, v3, 2, v4
	ds_read_b32 v7, v7
	s_waitcnt lgkmcnt(0)
	v_add_f32_e32 v27, v27, v7
.LBB113_57:
	s_or_b32 exec_lo, exec_lo, s1
	s_waitcnt lgkmcnt(1)
	v_add_f32_e32 v30, v30, v1
	s_waitcnt lgkmcnt(0)
	v_add_f32_e32 v29, v29, v6
	v_add_f32_e32 v28, v28, v2
.LBB113_58:
	s_or_b32 exec_lo, exec_lo, s0
	v_and_b32_e32 v1, 0x3e0, v0
	s_mov_b32 s0, exec_lo
	s_barrier
	buffer_gl0_inv
	v_cmpx_eq_u32_e32 32, v1
	s_cbranch_execz .LBB113_61
; %bb.59:
	v_lshl_add_u32 v1, v25, 2, 0x110
	v_cmp_gt_u32_e32 vcc_lo, 0x78, v3
	ds_write_b32 v1, v30
	ds_write_b32 v26, v29
	ds_write_b32 v1, v28 offset:256
	s_and_b32 exec_lo, exec_lo, vcc_lo
; %bb.60:
	v_lshl_add_u32 v1, v3, 2, 0x110
	ds_write_b32 v1, v27
.LBB113_61:
	s_or_b32 exec_lo, exec_lo, s0
	v_cmp_gt_u32_e32 vcc_lo, 32, v0
	s_waitcnt lgkmcnt(0)
	s_barrier
	buffer_gl0_inv
	s_and_saveexec_b32 s1, vcc_lo
	s_cbranch_execz .LBB113_65
; %bb.62:
	v_lshl_add_u32 v6, v0, 2, v4
	s_mov_b32 s2, exec_lo
	ds_read_b32 v4, v5
	ds_read2_b32 v[1:2], v6 offset0:32 offset1:64
	v_cmpx_gt_u32_e32 0x78, v3
	s_cbranch_execz .LBB113_64
; %bb.63:
	ds_read_b32 v5, v6 offset:384
	s_waitcnt lgkmcnt(0)
	v_add_f32_e32 v27, v27, v5
.LBB113_64:
	s_or_b32 exec_lo, exec_lo, s2
	s_waitcnt lgkmcnt(1)
	v_add_f32_e32 v30, v30, v4
	s_waitcnt lgkmcnt(0)
	v_add_f32_e32 v29, v29, v1
	v_add_f32_e32 v28, v28, v2
.LBB113_65:
	s_or_b32 exec_lo, exec_lo, s1
	s_barrier
	buffer_gl0_inv
	s_and_saveexec_b32 s0, vcc_lo
	s_cbranch_execz .LBB113_68
; %bb.66:
	v_bfe_u32 v1, v30, 16, 1
	s_mul_i32 s0, s28, s29
	v_bfe_u32 v2, v29, 16, 1
	s_mul_i32 s0, s0, s33
	v_or_b32_e32 v5, 0x400000, v30
	v_add3_u32 v1, v1, v30, 0x7fff
	v_cmp_u_f32_e32 vcc_lo, v30, v30
	s_mulk_i32 s0, 0x78
	v_bfe_u32 v4, v28, 16, 1
	s_ashr_i32 s1, s0, 31
	v_add3_u32 v2, v2, v29, 0x7fff
	s_lshl_b64 s[0:1], s[0:1], 1
	v_or_b32_e32 v6, 0x400000, v29
	v_cndmask_b32_e32 v1, v1, v5, vcc_lo
	v_cmp_u_f32_e32 vcc_lo, v29, v29
	s_mul_i32 s2, s29, s30
	s_add_u32 s5, s34, s0
	s_addc_u32 s6, s35, s1
	s_ashr_i32 s3, s2, 31
	v_add3_u32 v4, v4, v28, 0x7fff
	s_lshl_b64 s[0:1], s[2:3], 1
	v_or_b32_e32 v7, 0x400000, v28
	v_cndmask_b32_e32 v2, v2, v6, vcc_lo
	v_cmp_u_f32_e32 vcc_lo, v28, v28
	s_mul_i32 s4, s8, 0x78
	s_add_u32 s2, s5, s0
	s_addc_u32 s3, s6, s1
	s_ashr_i32 s5, s4, 31
	v_lshlrev_b32_e32 v0, 1, v0
	s_lshl_b64 s[0:1], s[4:5], 1
	v_cndmask_b32_e32 v4, v4, v7, vcc_lo
	v_cmp_gt_u32_e32 vcc_lo, 0x78, v3
	s_add_u32 s0, s2, s0
	s_addc_u32 s1, s3, s1
	global_store_short_d16_hi v0, v1, s[0:1]
	global_store_short_d16_hi v0, v2, s[0:1] offset:64
	global_store_short_d16_hi v0, v4, s[0:1] offset:128
	s_and_b32 exec_lo, exec_lo, vcc_lo
	s_cbranch_execz .LBB113_68
; %bb.67:
	v_bfe_u32 v1, v27, 16, 1
	v_or_b32_e32 v2, 0x400000, v27
	v_cmp_u_f32_e32 vcc_lo, v27, v27
	v_add_co_u32 v0, s0, s0, v0
	v_add3_u32 v3, v1, v27, 0x7fff
	v_add_co_ci_u32_e64 v1, null, s1, 0, s0
	v_cndmask_b32_e32 v2, v3, v2, vcc_lo
	global_store_short_d16_hi v[0:1], v2, off offset:192
.LBB113_68:
	s_endpgm
	.section	.rodata,"a",@progbits
	.p2align	6, 0x0
	.amdhsa_kernel _ZN4vllm25paged_attention_v1_kernelI14__hip_bfloat16S1_Li120ELi8ELi128ELNS_18Fp8KVCacheDataTypeE0ELb1EEEvPT_PKS3_PKT0_S9_ifPKiSB_iPKfiiiSD_SD_iiiii
		.amdhsa_group_segment_fixed_size 272
		.amdhsa_private_segment_fixed_size 0
		.amdhsa_kernarg_size 384
		.amdhsa_user_sgpr_count 6
		.amdhsa_user_sgpr_private_segment_buffer 1
		.amdhsa_user_sgpr_dispatch_ptr 0
		.amdhsa_user_sgpr_queue_ptr 0
		.amdhsa_user_sgpr_kernarg_segment_ptr 1
		.amdhsa_user_sgpr_dispatch_id 0
		.amdhsa_user_sgpr_flat_scratch_init 0
		.amdhsa_user_sgpr_private_segment_size 0
		.amdhsa_wavefront_size32 1
		.amdhsa_uses_dynamic_stack 0
		.amdhsa_system_sgpr_private_segment_wavefront_offset 0
		.amdhsa_system_sgpr_workgroup_id_x 1
		.amdhsa_system_sgpr_workgroup_id_y 1
		.amdhsa_system_sgpr_workgroup_id_z 1
		.amdhsa_system_sgpr_workgroup_info 0
		.amdhsa_system_vgpr_workitem_id 0
		.amdhsa_next_free_vgpr 67
		.amdhsa_next_free_sgpr 53
		.amdhsa_reserve_vcc 1
		.amdhsa_reserve_flat_scratch 0
		.amdhsa_float_round_mode_32 0
		.amdhsa_float_round_mode_16_64 0
		.amdhsa_float_denorm_mode_32 3
		.amdhsa_float_denorm_mode_16_64 3
		.amdhsa_dx10_clamp 1
		.amdhsa_ieee_mode 1
		.amdhsa_fp16_overflow 0
		.amdhsa_workgroup_processor_mode 1
		.amdhsa_memory_ordered 1
		.amdhsa_forward_progress 1
		.amdhsa_shared_vgpr_count 0
		.amdhsa_exception_fp_ieee_invalid_op 0
		.amdhsa_exception_fp_denorm_src 0
		.amdhsa_exception_fp_ieee_div_zero 0
		.amdhsa_exception_fp_ieee_overflow 0
		.amdhsa_exception_fp_ieee_underflow 0
		.amdhsa_exception_fp_ieee_inexact 0
		.amdhsa_exception_int_div_zero 0
	.end_amdhsa_kernel
	.section	.text._ZN4vllm25paged_attention_v1_kernelI14__hip_bfloat16S1_Li120ELi8ELi128ELNS_18Fp8KVCacheDataTypeE0ELb1EEEvPT_PKS3_PKT0_S9_ifPKiSB_iPKfiiiSD_SD_iiiii,"axG",@progbits,_ZN4vllm25paged_attention_v1_kernelI14__hip_bfloat16S1_Li120ELi8ELi128ELNS_18Fp8KVCacheDataTypeE0ELb1EEEvPT_PKS3_PKT0_S9_ifPKiSB_iPKfiiiSD_SD_iiiii,comdat
.Lfunc_end113:
	.size	_ZN4vllm25paged_attention_v1_kernelI14__hip_bfloat16S1_Li120ELi8ELi128ELNS_18Fp8KVCacheDataTypeE0ELb1EEEvPT_PKS3_PKT0_S9_ifPKiSB_iPKfiiiSD_SD_iiiii, .Lfunc_end113-_ZN4vllm25paged_attention_v1_kernelI14__hip_bfloat16S1_Li120ELi8ELi128ELNS_18Fp8KVCacheDataTypeE0ELb1EEEvPT_PKS3_PKT0_S9_ifPKiSB_iPKfiiiSD_SD_iiiii
                                        ; -- End function
	.set _ZN4vllm25paged_attention_v1_kernelI14__hip_bfloat16S1_Li120ELi8ELi128ELNS_18Fp8KVCacheDataTypeE0ELb1EEEvPT_PKS3_PKT0_S9_ifPKiSB_iPKfiiiSD_SD_iiiii.num_vgpr, 67
	.set _ZN4vllm25paged_attention_v1_kernelI14__hip_bfloat16S1_Li120ELi8ELi128ELNS_18Fp8KVCacheDataTypeE0ELb1EEEvPT_PKS3_PKT0_S9_ifPKiSB_iPKfiiiSD_SD_iiiii.num_agpr, 0
	.set _ZN4vllm25paged_attention_v1_kernelI14__hip_bfloat16S1_Li120ELi8ELi128ELNS_18Fp8KVCacheDataTypeE0ELb1EEEvPT_PKS3_PKT0_S9_ifPKiSB_iPKfiiiSD_SD_iiiii.numbered_sgpr, 53
	.set _ZN4vllm25paged_attention_v1_kernelI14__hip_bfloat16S1_Li120ELi8ELi128ELNS_18Fp8KVCacheDataTypeE0ELb1EEEvPT_PKS3_PKT0_S9_ifPKiSB_iPKfiiiSD_SD_iiiii.num_named_barrier, 0
	.set _ZN4vllm25paged_attention_v1_kernelI14__hip_bfloat16S1_Li120ELi8ELi128ELNS_18Fp8KVCacheDataTypeE0ELb1EEEvPT_PKS3_PKT0_S9_ifPKiSB_iPKfiiiSD_SD_iiiii.private_seg_size, 0
	.set _ZN4vllm25paged_attention_v1_kernelI14__hip_bfloat16S1_Li120ELi8ELi128ELNS_18Fp8KVCacheDataTypeE0ELb1EEEvPT_PKS3_PKT0_S9_ifPKiSB_iPKfiiiSD_SD_iiiii.uses_vcc, 1
	.set _ZN4vllm25paged_attention_v1_kernelI14__hip_bfloat16S1_Li120ELi8ELi128ELNS_18Fp8KVCacheDataTypeE0ELb1EEEvPT_PKS3_PKT0_S9_ifPKiSB_iPKfiiiSD_SD_iiiii.uses_flat_scratch, 0
	.set _ZN4vllm25paged_attention_v1_kernelI14__hip_bfloat16S1_Li120ELi8ELi128ELNS_18Fp8KVCacheDataTypeE0ELb1EEEvPT_PKS3_PKT0_S9_ifPKiSB_iPKfiiiSD_SD_iiiii.has_dyn_sized_stack, 0
	.set _ZN4vllm25paged_attention_v1_kernelI14__hip_bfloat16S1_Li120ELi8ELi128ELNS_18Fp8KVCacheDataTypeE0ELb1EEEvPT_PKS3_PKT0_S9_ifPKiSB_iPKfiiiSD_SD_iiiii.has_recursion, 0
	.set _ZN4vllm25paged_attention_v1_kernelI14__hip_bfloat16S1_Li120ELi8ELi128ELNS_18Fp8KVCacheDataTypeE0ELb1EEEvPT_PKS3_PKT0_S9_ifPKiSB_iPKfiiiSD_SD_iiiii.has_indirect_call, 0
	.section	.AMDGPU.csdata,"",@progbits
; Kernel info:
; codeLenInByte = 7864
; TotalNumSgprs: 55
; NumVgprs: 67
; ScratchSize: 0
; MemoryBound: 0
; FloatMode: 240
; IeeeMode: 1
; LDSByteSize: 272 bytes/workgroup (compile time only)
; SGPRBlocks: 0
; VGPRBlocks: 8
; NumSGPRsForWavesPerEU: 55
; NumVGPRsForWavesPerEU: 67
; Occupancy: 12
; WaveLimiterHint : 1
; COMPUTE_PGM_RSRC2:SCRATCH_EN: 0
; COMPUTE_PGM_RSRC2:USER_SGPR: 6
; COMPUTE_PGM_RSRC2:TRAP_HANDLER: 0
; COMPUTE_PGM_RSRC2:TGID_X_EN: 1
; COMPUTE_PGM_RSRC2:TGID_Y_EN: 1
; COMPUTE_PGM_RSRC2:TGID_Z_EN: 1
; COMPUTE_PGM_RSRC2:TIDIG_COMP_CNT: 0
	.section	.text._ZN4vllm25paged_attention_v1_kernelI14__hip_bfloat16S1_Li128ELi8ELi128ELNS_18Fp8KVCacheDataTypeE0ELb1EEEvPT_PKS3_PKT0_S9_ifPKiSB_iPKfiiiSD_SD_iiiii,"axG",@progbits,_ZN4vllm25paged_attention_v1_kernelI14__hip_bfloat16S1_Li128ELi8ELi128ELNS_18Fp8KVCacheDataTypeE0ELb1EEEvPT_PKS3_PKT0_S9_ifPKiSB_iPKfiiiSD_SD_iiiii,comdat
	.protected	_ZN4vllm25paged_attention_v1_kernelI14__hip_bfloat16S1_Li128ELi8ELi128ELNS_18Fp8KVCacheDataTypeE0ELb1EEEvPT_PKS3_PKT0_S9_ifPKiSB_iPKfiiiSD_SD_iiiii ; -- Begin function _ZN4vllm25paged_attention_v1_kernelI14__hip_bfloat16S1_Li128ELi8ELi128ELNS_18Fp8KVCacheDataTypeE0ELb1EEEvPT_PKS3_PKT0_S9_ifPKiSB_iPKfiiiSD_SD_iiiii
	.globl	_ZN4vllm25paged_attention_v1_kernelI14__hip_bfloat16S1_Li128ELi8ELi128ELNS_18Fp8KVCacheDataTypeE0ELb1EEEvPT_PKS3_PKT0_S9_ifPKiSB_iPKfiiiSD_SD_iiiii
	.p2align	8
	.type	_ZN4vllm25paged_attention_v1_kernelI14__hip_bfloat16S1_Li128ELi8ELi128ELNS_18Fp8KVCacheDataTypeE0ELb1EEEvPT_PKS3_PKT0_S9_ifPKiSB_iPKfiiiSD_SD_iiiii,@function
_ZN4vllm25paged_attention_v1_kernelI14__hip_bfloat16S1_Li128ELi8ELi128ELNS_18Fp8KVCacheDataTypeE0ELb1EEEvPT_PKS3_PKT0_S9_ifPKiSB_iPKfiiiSD_SD_iiiii: ; @_ZN4vllm25paged_attention_v1_kernelI14__hip_bfloat16S1_Li128ELi8ELi128ELNS_18Fp8KVCacheDataTypeE0ELb1EEEvPT_PKS3_PKT0_S9_ifPKiSB_iPKfiiiSD_SD_iiiii
; %bb.0:
	s_clause 0x2
	s_load_dword s9, s[4:5], 0x80
	s_load_dwordx2 s[0:1], s[4:5], 0x30
	s_load_dwordx2 s[28:29], s[4:5], 0x20
	s_mov_b32 s10, s7
	s_ashr_i32 s11, s7, 31
	s_mov_b32 s33, 0
	s_lshl_b64 s[2:3], s[10:11], 2
	s_waitcnt lgkmcnt(0)
	s_add_u32 s0, s0, s2
	s_addc_u32 s1, s1, s3
	s_abs_i32 s2, s28
	s_abs_i32 s11, s9
	v_cvt_f32_u32_e32 v1, s2
	s_sub_i32 s7, 0, s2
	v_rcp_iflag_f32_e32 v1, v1
	v_mul_f32_e32 v1, 0x4f7ffffe, v1
	v_cvt_u32_f32_e32 v1, v1
	v_readfirstlane_b32 s3, v1
	s_mul_i32 s7, s7, s3
	s_mul_hi_u32 s7, s3, s7
	s_add_i32 s3, s3, s7
	s_xor_b32 s7, s9, s28
	s_mul_hi_u32 s3, s11, s3
	s_ashr_i32 s7, s7, 31
	s_mul_i32 s12, s3, s2
	s_sub_i32 s11, s11, s12
	s_add_i32 s12, s3, 1
	s_sub_i32 s13, s11, s2
	s_cmp_ge_u32 s11, s2
	s_cselect_b32 s3, s12, s3
	s_cselect_b32 s11, s13, s11
	s_add_i32 s12, s3, 1
	s_cmp_ge_u32 s11, s2
	s_cselect_b32 s2, s12, s3
	s_abs_i32 s22, s6
	s_xor_b32 s2, s2, s7
	s_sub_i32 s16, s2, s7
	s_load_dwordx2 s[2:3], s[4:5], 0x40
	s_abs_i32 s11, s16
	v_cvt_f32_u32_e32 v1, s11
	s_sub_i32 s12, 0, s11
	v_rcp_iflag_f32_e32 v1, v1
	v_mul_f32_e32 v1, 0x4f7ffffe, v1
	v_cvt_u32_f32_e32 v1, v1
	v_readfirstlane_b32 s7, v1
	s_mul_i32 s12, s12, s7
	s_mul_hi_u32 s12, s7, s12
	s_add_i32 s7, s7, s12
	s_waitcnt lgkmcnt(0)
	s_cmp_eq_u64 s[2:3], 0
	s_mul_hi_u32 s23, s22, s7
	s_cbranch_scc1 .LBB114_2
; %bb.1:
	s_ashr_i32 s7, s6, 31
	s_lshl_b64 s[12:13], s[6:7], 2
	s_add_u32 s2, s2, s12
	s_addc_u32 s3, s3, s13
	s_load_dword s33, s[2:3], 0x0
.LBB114_2:
	s_load_dword s30, s[0:1], 0x0
	s_load_dwordx4 s[12:15], s[4:5], 0x48
	v_and_b32_e32 v1, 3, v0
	v_cmp_gt_u32_e64 s0, 64, v0
	v_lshlrev_b32_e32 v2, 2, v0
	s_ashr_i32 s1, s6, 31
	s_ashr_i32 s2, s16, 31
	s_lshl_b32 s20, s6, 7
	s_and_saveexec_b32 s3, s0
	s_cbranch_execz .LBB114_4
; %bb.3:
	s_load_dwordx2 s[16:17], s[4:5], 0x8
	s_waitcnt lgkmcnt(0)
	s_mul_i32 s18, s12, s10
	v_and_b32_e32 v4, 0x3fc, v0
	s_ashr_i32 s19, s18, 31
	s_lshl_b64 s[18:19], s[18:19], 1
	v_lshl_add_u32 v4, v1, 6, v4
	s_add_u32 s7, s16, s18
	s_addc_u32 s12, s17, s19
	s_ashr_i32 s21, s20, 31
	s_lshl_b64 s[16:17], s[20:21], 1
	s_add_u32 s16, s7, s16
	s_addc_u32 s17, s12, s17
	global_load_dword v3, v2, s[16:17]
	s_waitcnt vmcnt(0)
	ds_write_b32 v4, v3
.LBB114_4:
	s_or_b32 exec_lo, exec_lo, s3
	s_load_dwordx4 s[16:19], s[4:5], 0x68
	s_mul_i32 s3, s23, s11
	s_xor_b32 s2, s1, s2
	s_sub_i32 s1, s22, s3
	s_add_i32 s3, s23, 1
	s_sub_i32 s7, s1, s11
	s_cmp_ge_u32 s1, s11
	s_waitcnt lgkmcnt(0)
	s_mov_b32 s15, -1
	s_cselect_b32 s3, s3, s23
	s_cselect_b32 s1, s7, s1
	s_add_i32 s7, s3, 1
	s_cmp_ge_u32 s1, s11
	s_load_dword s1, s[4:5], 0x78
	s_cselect_b32 s3, s7, s3
	s_add_i32 s11, s30, -1
	s_xor_b32 s3, s3, s2
	s_abs_i32 s7, s11
	s_sub_i32 s2, s3, s2
	s_waitcnt lgkmcnt(0)
	s_barrier
	s_abs_i32 s12, s19
	buffer_gl0_inv
	v_cvt_f32_u32_e32 v3, s12
	s_sub_i32 s3, 0, s12
                                        ; implicit-def: $sgpr31
	v_rcp_iflag_f32_e32 v3, v3
	v_mul_f32_e32 v3, 0x4f7ffffe, v3
	v_cvt_u32_f32_e32 v3, v3
	v_readfirstlane_b32 s21, v3
	s_mul_i32 s3, s3, s21
	s_mul_hi_u32 s3, s21, s3
	s_add_i32 s21, s21, s3
	s_cmp_lt_i32 s1, 0
	s_mul_hi_u32 s3, s7, s21
	s_cbranch_scc0 .LBB114_6
; %bb.5:
	s_mul_i32 s15, s16, s28
	s_add_i32 s15, s2, s15
	s_mul_i32 s15, s15, s1
	s_sub_i32 s31, 1, s15
	s_mov_b32 s15, 0
.LBB114_6:
	s_load_dwordx2 s[22:23], s[4:5], 0x28
	s_ashr_i32 s11, s11, 31
	s_andn2_b32 vcc_lo, exec_lo, s15
	s_ashr_i32 s19, s19, 31
	s_cbranch_vccnz .LBB114_8
; %bb.7:
	s_mul_i32 s15, s9, s16
	s_add_i32 s6, s15, s6
	s_mul_i32 s1, s6, s1
	s_add_i32 s31, s1, 1
.LBB114_8:
	s_load_dword s1, s[4:5], 0x38
	s_mul_i32 s6, s3, s12
	s_xor_b32 s15, s11, s19
	s_sub_i32 s28, s7, s6
	s_add_i32 s16, s3, 1
	s_clause 0x2
	s_load_dwordx2 s[6:7], s[4:5], 0x0
	s_load_dwordx2 s[26:27], s[4:5], 0x18
	s_load_dword s11, s[4:5], 0x88
	v_lshrrev_b32_e32 v27, 5, v0
	v_mov_b32_e32 v13, 0xff7fffff
	v_lshrrev_b32_e32 v11, 3, v0
	v_mbcnt_lo_u32_b32 v12, -1, 0
	s_mul_i32 s14, s2, s14
	v_lshlrev_b32_e32 v28, 3, v27
	s_waitcnt lgkmcnt(0)
	s_mul_i32 s24, s1, s10
	s_sub_i32 s1, s28, s12
	s_ashr_i32 s25, s24, 31
	s_cmp_ge_u32 s28, s12
	s_cselect_b32 s3, s16, s3
	s_cselect_b32 s1, s1, s28
	s_add_i32 s16, s3, 1
	s_cmp_ge_u32 s1, s12
	s_cselect_b32 s1, s16, s3
	s_add_i32 s3, s30, 7
	s_ashr_i32 s16, s3, 31
	s_lshr_b32 s16, s16, 29
	s_add_i32 s3, s3, s16
	s_ashr_i32 s16, s3, 3
	s_xor_b32 s3, s1, s15
	v_cmp_gt_i32_e64 s1, s16, v27
	s_sub_i32 s28, s3, s15
	s_and_saveexec_b32 s34, s1
	s_cbranch_execz .LBB114_20
; %bb.9:
	s_load_dwordx2 s[2:3], s[4:5], 0x10
	s_ashr_i32 s15, s14, 31
	s_sub_i32 s5, s28, s17
	s_lshl_b64 s[36:37], s[14:15], 1
	v_bfe_u32 v14, v0, 2, 3
	v_cmp_eq_u32_e32 vcc_lo, 0, v1
	v_lshlrev_b32_e32 v15, 6, v1
	v_and_b32_e32 v1, 0x7c, v11
	v_and_b32_e32 v2, 12, v2
	v_lshlrev_b32_e32 v4, 2, v14
	v_subrev_nc_u32_e32 v5, s30, v14
	v_lshlrev_b32_e32 v6, 4, v14
	v_lshlrev_b32_e32 v16, 3, v27
	v_mov_b32_e32 v17, 0xff7fffff
	v_lshl_or_b32 v4, v27, 5, v4
	v_add_nc_u32_e32 v20, 1, v5
	v_xor_b32_e32 v18, 2, v12
	v_xor_b32_e32 v19, 1, v12
	v_mov_b32_e32 v13, 0xff7fffff
	v_add_nc_u32_e32 v21, 0x120, v4
	s_waitcnt lgkmcnt(0)
	s_add_u32 s4, s2, s36
	s_addc_u32 s3, s3, s37
	s_abs_i32 s15, s18
	s_lshl_b64 s[36:37], s[24:25], 2
	v_cvt_f32_u32_e32 v3, s15
	s_sub_i32 s35, 0, s15
	v_add_co_u32 v5, s4, s4, v6
	v_add_co_ci_u32_e64 v6, null, s3, 0, s4
	v_rcp_iflag_f32_e32 v3, v3
	s_add_u32 s3, s22, s36
	s_addc_u32 s4, s23, s37
	v_add_co_u32 v9, s3, s3, v1
	v_add_co_ci_u32_e64 v10, null, s4, 0, s3
	v_add_co_u32 v22, s3, v5, v2
	v_cmp_neq_f32_e64 s2, s33, 0
	v_mul_f32_e32 v3, 0x4f7ffffe, v3
	v_add_co_ci_u32_e64 v23, null, 0, v6, s3
	v_mov_b32_e32 v25, v27
	s_mov_b32 s36, s13
	v_cvt_u32_f32_e32 v3, v3
	v_mul_lo_u32 v4, s35, v3
	s_mov_b32 s35, 0
	v_mul_hi_u32 v4, v3, v4
	v_add_nc_u32_e32 v24, v3, v4
	s_branch .LBB114_12
.LBB114_10:                             ;   in Loop: Header=BB114_12 Depth=1
	s_or_b32 exec_lo, exec_lo, s37
.LBB114_11:                             ;   in Loop: Header=BB114_12 Depth=1
	s_or_b32 exec_lo, exec_lo, s4
	v_add_nc_u32_e32 v25, 4, v25
	v_add_co_u32 v9, s4, v9, 16
	v_add_co_ci_u32_e64 v10, null, 0, v10, s4
	v_cmp_le_i32_e64 s3, s16, v25
	v_add_nc_u32_e32 v16, 32, v16
	v_add_nc_u32_e32 v21, 0x80, v21
	s_or_b32 s35, s3, s35
	s_andn2_b32 exec_lo, exec_lo, s35
	s_cbranch_execz .LBB114_19
.LBB114_12:                             ; =>This Inner Loop Header: Depth=1
	v_mul_hi_u32 v1, v16, s21
	s_waitcnt lgkmcnt(0)
	v_mul_lo_u32 v2, v1, s12
	v_add_nc_u32_e32 v3, 1, v1
	v_sub_nc_u32_e32 v2, v16, v2
	v_subrev_nc_u32_e32 v4, s12, v2
	v_cmp_le_u32_e64 s3, s12, v2
	v_cndmask_b32_e64 v1, v1, v3, s3
	v_cndmask_b32_e64 v2, v2, v4, s3
	v_add_nc_u32_e32 v3, 1, v1
	v_cmp_le_u32_e64 s3, s12, v2
	v_cndmask_b32_e64 v1, v1, v3, s3
	v_xor_b32_e32 v1, s19, v1
	v_subrev_nc_u32_e32 v1, s19, v1
	v_add_nc_u32_e32 v2, s31, v1
	v_cmp_ge_i32_e64 s4, s5, v1
	v_sub_nc_u32_e32 v3, 0, v2
	v_max_i32_e32 v3, v2, v3
	v_ashrrev_i32_e32 v2, 31, v2
	v_mul_hi_u32 v4, v3, v24
	v_mul_lo_u32 v4, v4, s15
	v_sub_nc_u32_e32 v3, v3, v4
	v_subrev_nc_u32_e32 v4, s15, v3
	v_cmp_le_u32_e64 s3, s15, v3
	v_cndmask_b32_e64 v3, v3, v4, s3
	v_subrev_nc_u32_e32 v4, s15, v3
	v_cmp_le_u32_e64 s3, s15, v3
	v_cndmask_b32_e64 v3, v3, v4, s3
	v_xor_b32_e32 v3, v3, v2
	v_sub_nc_u32_e32 v2, v3, v2
	v_cmp_ne_u32_e64 s3, 0, v2
	s_and_b32 s3, s3, s4
	s_and_saveexec_b32 s4, s3
	s_xor_b32 s3, exec_lo, s4
	s_cbranch_execz .LBB114_16
; %bb.13:                               ;   in Loop: Header=BB114_12 Depth=1
	s_and_saveexec_b32 s4, vcc_lo
; %bb.14:                               ;   in Loop: Header=BB114_12 Depth=1
	ds_write_b32 v21, v17
; %bb.15:                               ;   in Loop: Header=BB114_12 Depth=1
	s_or_b32 exec_lo, exec_lo, s4
.LBB114_16:                             ;   in Loop: Header=BB114_12 Depth=1
	s_andn2_saveexec_b32 s4, s3
	s_cbranch_execz .LBB114_11
; %bb.17:                               ;   in Loop: Header=BB114_12 Depth=1
	global_load_dword v1, v[9:10], off
	s_waitcnt vmcnt(0)
	v_mad_i64_i32 v[1:2], null, v1, s36, 0
	v_lshlrev_b64 v[1:2], 1, v[1:2]
	v_add_co_u32 v1, s3, v22, v1
	v_add_co_ci_u32_e64 v2, null, v23, v2, s3
	v_cmp_gt_i32_e64 s3, 32, v18
	s_clause 0xf
	global_load_dword v41, v[1:2], off offset:128
	global_load_dword v42, v[1:2], off offset:256
	;; [unrolled: 1-line block ×7, first 2 shown]
	global_load_dword v48, v[1:2], off
	global_load_dword v49, v[1:2], off offset:1024
	global_load_dword v50, v[1:2], off offset:1152
	;; [unrolled: 1-line block ×8, first 2 shown]
	ds_read_b128 v[33:36], v15
	ds_read_b128 v[37:40], v15 offset:16
	ds_read_b128 v[5:8], v15 offset:32
	;; [unrolled: 1-line block ×3, first 2 shown]
	s_waitcnt lgkmcnt(3)
	v_lshlrev_b32_e32 v53, 16, v34
	v_and_b32_e32 v34, 0xffff0000, v34
	v_lshlrev_b32_e32 v52, 16, v33
	v_and_b32_e32 v33, 0xffff0000, v33
	;; [unrolled: 2-line block ×4, first 2 shown]
	s_waitcnt lgkmcnt(2)
	v_lshlrev_b32_e32 v56, 16, v37
	v_lshlrev_b32_e32 v57, 16, v38
	;; [unrolled: 1-line block ×4, first 2 shown]
	s_waitcnt lgkmcnt(1)
	v_lshlrev_b32_e32 v60, 16, v5
	v_and_b32_e32 v5, 0xffff0000, v5
	v_lshlrev_b32_e32 v61, 16, v6
	v_and_b32_e32 v6, 0xffff0000, v6
	v_lshlrev_b32_e32 v62, 16, v7
	v_lshlrev_b32_e32 v63, 16, v8
	s_waitcnt lgkmcnt(0)
	v_lshlrev_b32_e32 v64, 16, v1
	v_and_b32_e32 v1, 0xffff0000, v1
	v_lshlrev_b32_e32 v66, 16, v2
	v_and_b32_e32 v2, 0xffff0000, v2
	s_waitcnt vmcnt(15)
	v_lshlrev_b32_e32 v65, 16, v41
	v_and_b32_e32 v41, 0xffff0000, v41
	v_mul_f32_e32 v53, v53, v65
	v_mul_f32_e32 v34, v34, v41
	s_waitcnt vmcnt(8)
	v_lshlrev_b32_e32 v67, 16, v48
	v_and_b32_e32 v48, 0xffff0000, v48
	v_lshlrev_b32_e32 v65, 16, v42
	v_and_b32_e32 v42, 0xffff0000, v42
	v_lshlrev_b32_e32 v41, 16, v3
	v_fmac_f32_e32 v53, v52, v67
	v_fmac_f32_e32 v34, v33, v48
	v_lshlrev_b32_e32 v48, 16, v43
	v_and_b32_e32 v43, 0xffff0000, v43
	v_lshlrev_b32_e32 v33, 16, v4
	v_fmac_f32_e32 v53, v54, v65
	v_fmac_f32_e32 v34, v35, v42
	v_and_b32_e32 v35, 0xffff0000, v37
	v_lshlrev_b32_e32 v37, 16, v44
	v_and_b32_e32 v42, 0xffff0000, v44
	v_fmac_f32_e32 v53, v55, v48
	v_fmac_f32_e32 v34, v36, v43
	v_and_b32_e32 v36, 0xffff0000, v38
	v_lshlrev_b32_e32 v38, 16, v45
	v_and_b32_e32 v43, 0xffff0000, v45
	;; [unrolled: 5-line block ×4, first 2 shown]
	v_fmac_f32_e32 v53, v58, v37
	v_fmac_f32_e32 v34, v35, v39
	s_waitcnt vmcnt(7)
	v_lshlrev_b32_e32 v35, 16, v49
	v_and_b32_e32 v37, 0xffff0000, v49
	v_fmac_f32_e32 v53, v59, v38
	v_fmac_f32_e32 v34, v36, v40
	s_waitcnt vmcnt(6)
	v_lshlrev_b32_e32 v36, 16, v50
	v_and_b32_e32 v38, 0xffff0000, v50
	v_fmac_f32_e32 v53, v60, v35
	v_fmac_f32_e32 v34, v5, v37
	v_and_b32_e32 v5, 0xffff0000, v7
	s_waitcnt vmcnt(5)
	v_lshlrev_b32_e32 v7, 16, v51
	v_and_b32_e32 v35, 0xffff0000, v51
	v_fmac_f32_e32 v53, v61, v36
	v_fmac_f32_e32 v34, v6, v38
	v_and_b32_e32 v6, 0xffff0000, v8
	s_waitcnt vmcnt(4)
	v_lshlrev_b32_e32 v8, 16, v32
	v_and_b32_e32 v32, 0xffff0000, v32
	v_fmac_f32_e32 v53, v62, v7
	v_fmac_f32_e32 v34, v5, v35
	s_waitcnt vmcnt(3)
	v_lshlrev_b32_e32 v5, 16, v31
	v_and_b32_e32 v7, 0xffff0000, v31
	v_fmac_f32_e32 v53, v63, v8
	v_fmac_f32_e32 v34, v6, v32
	;; [unrolled: 5-line block ×3, first 2 shown]
	v_and_b32_e32 v1, 0xffff0000, v3
	s_waitcnt vmcnt(1)
	v_lshlrev_b32_e32 v3, 16, v29
	v_and_b32_e32 v5, 0xffff0000, v29
	v_fmac_f32_e32 v53, v66, v6
	v_fmac_f32_e32 v34, v2, v8
	v_and_b32_e32 v2, 0xffff0000, v4
	s_waitcnt vmcnt(0)
	v_lshlrev_b32_e32 v4, 16, v26
	v_and_b32_e32 v6, 0xffff0000, v26
	v_fmac_f32_e32 v53, v41, v3
	v_fmac_f32_e32 v34, v1, v5
	v_cndmask_b32_e64 v1, v12, v18, s3
	v_cmp_gt_i32_e64 s3, 32, v19
	v_fmac_f32_e32 v53, v33, v4
	v_fmac_f32_e32 v34, v2, v6
	v_lshlrev_b32_e32 v1, 2, v1
	v_cndmask_b32_e64 v3, v12, v19, s3
	v_add_f32_e32 v2, v53, v34
	v_lshlrev_b32_e32 v3, 2, v3
	ds_bpermute_b32 v1, v1, v2
	s_waitcnt lgkmcnt(0)
	v_add_f32_e32 v1, v2, v1
	ds_bpermute_b32 v2, v3, v1
	s_and_saveexec_b32 s37, vcc_lo
	s_cbranch_execz .LBB114_10
; %bb.18:                               ;   in Loop: Header=BB114_12 Depth=1
	v_add_nc_u32_e32 v3, v20, v16
	s_waitcnt lgkmcnt(0)
	v_add_f32_e32 v1, v1, v2
	v_cvt_f32_i32_e32 v3, v3
	v_mul_f32_e32 v3, s33, v3
	v_cndmask_b32_e64 v2, 0, v3, s2
	v_max_f32_e32 v3, v13, v13
	v_fmac_f32_e32 v2, s29, v1
	v_add_nc_u32_e32 v1, v14, v16
	v_max_f32_e32 v3, v3, v2
	v_cmp_gt_i32_e64 s3, s30, v1
	v_cndmask_b32_e64 v1, 0, v2, s3
	v_cndmask_b32_e64 v13, v13, v3, s3
	ds_write_b32 v21, v1
	s_branch .LBB114_10
.LBB114_19:
	s_or_b32 exec_lo, exec_lo, s35
.LBB114_20:
	s_or_b32 exec_lo, exec_lo, s34
	v_xor_b32_e32 v1, 16, v12
	v_xor_b32_e32 v3, 8, v12
	v_max_f32_e32 v4, v13, v13
	v_xor_b32_e32 v5, 4, v12
	v_and_b32_e32 v29, 31, v0
	v_cmp_gt_i32_e32 vcc_lo, 32, v1
	v_cndmask_b32_e32 v1, v12, v1, vcc_lo
	v_cmp_gt_i32_e32 vcc_lo, 32, v3
	s_waitcnt lgkmcnt(0)
	v_lshlrev_b32_e32 v2, 2, v1
	v_cndmask_b32_e32 v3, v12, v3, vcc_lo
	v_cmp_gt_i32_e32 vcc_lo, 32, v5
	ds_bpermute_b32 v1, v2, v13
	v_lshlrev_b32_e32 v3, 2, v3
	v_cndmask_b32_e32 v5, v12, v5, vcc_lo
	v_cmp_eq_u32_e32 vcc_lo, 0, v29
	v_lshlrev_b32_e32 v6, 2, v5
	s_waitcnt lgkmcnt(0)
	v_max_f32_e32 v1, v1, v1
	v_max_f32_e32 v1, v4, v1
	ds_bpermute_b32 v4, v3, v1
	s_waitcnt lgkmcnt(0)
	v_max_f32_e32 v4, v4, v4
	v_max_f32_e32 v1, v1, v4
	v_lshlrev_b32_e32 v4, 2, v27
	ds_bpermute_b32 v5, v6, v1
	s_and_saveexec_b32 s2, vcc_lo
	s_cbranch_execz .LBB114_22
; %bb.21:
	s_waitcnt lgkmcnt(0)
	v_max_f32_e32 v5, v5, v5
	v_max_f32_e32 v1, v1, v1
	;; [unrolled: 1-line block ×3, first 2 shown]
	ds_write_b32 v4, v1 offset:256
.LBB114_22:
	s_or_b32 exec_lo, exec_lo, s2
	v_cmp_gt_u32_e64 s2, 4, v29
	v_mov_b32_e32 v1, 0xff7fffff
	s_waitcnt lgkmcnt(0)
	v_lshlrev_b32_e32 v5, 2, v29
	s_barrier
	buffer_gl0_inv
	s_and_saveexec_b32 s3, s2
; %bb.23:
	ds_read_b32 v1, v5 offset:256
; %bb.24:
	s_or_b32 exec_lo, exec_lo, s3
	v_xor_b32_e32 v7, 2, v12
	v_xor_b32_e32 v9, 1, v12
	v_cmp_gt_i32_e64 s3, 32, v7
	v_cndmask_b32_e64 v7, v12, v7, s3
	v_cmp_gt_i32_e64 s3, 32, v9
	v_lshlrev_b32_e32 v7, 2, v7
	v_cndmask_b32_e64 v9, v12, v9, s3
	s_lshl_b32 s3, s16, 3
	s_min_i32 s5, s3, s30
	s_waitcnt lgkmcnt(0)
	ds_bpermute_b32 v8, v7, v1
	v_max_f32_e32 v1, v1, v1
	v_cmp_gt_i32_e64 s3, s5, v0
	s_waitcnt lgkmcnt(0)
	v_max_f32_e32 v10, v8, v8
	v_lshlrev_b32_e32 v8, 2, v9
	v_max_f32_e32 v1, v1, v10
	ds_bpermute_b32 v9, v8, v1
	s_waitcnt lgkmcnt(0)
	v_max_f32_e32 v9, v9, v9
	v_max_f32_e32 v1, v1, v9
	v_mov_b32_e32 v9, 0
	ds_bpermute_b32 v10, v9, v1
	v_lshl_add_u32 v1, v0, 2, 0x120
	s_and_saveexec_b32 s15, s3
	s_cbranch_execz .LBB114_28
; %bb.25:
	v_lshl_add_u32 v12, v0, 2, 0x120
	v_mov_b32_e32 v9, 0
	v_mov_b32_e32 v13, v0
	s_mov_b32 s29, 0
	.p2align	6
.LBB114_26:                             ; =>This Inner Loop Header: Depth=1
	ds_read_b32 v14, v12
	v_add_nc_u32_e32 v13, 0x80, v13
	v_cmp_le_i32_e64 s4, s5, v13
	s_or_b32 s29, s4, s29
	s_waitcnt lgkmcnt(0)
	v_sub_f32_e32 v14, v14, v10
	v_mul_f32_e32 v14, 0x3fb8aa3b, v14
	v_exp_f32_e32 v14, v14
	ds_write_b32 v12, v14
	v_add_f32_e32 v9, v9, v14
	v_add_nc_u32_e32 v12, 0x200, v12
	s_andn2_b32 exec_lo, exec_lo, s29
	s_cbranch_execnz .LBB114_26
; %bb.27:
	s_or_b32 exec_lo, exec_lo, s29
.LBB114_28:
	s_or_b32 exec_lo, exec_lo, s15
	ds_bpermute_b32 v2, v2, v9
	s_waitcnt lgkmcnt(0)
	v_add_f32_e32 v2, v9, v2
	ds_bpermute_b32 v3, v3, v2
	s_waitcnt lgkmcnt(0)
	v_add_f32_e32 v2, v2, v3
	;; [unrolled: 3-line block ×5, first 2 shown]
	s_and_saveexec_b32 s4, vcc_lo
; %bb.29:
	ds_write_b32 v4, v2 offset:272
; %bb.30:
	s_or_b32 exec_lo, exec_lo, s4
	s_waitcnt lgkmcnt(0)
	s_barrier
	buffer_gl0_inv
	s_and_saveexec_b32 s4, s2
; %bb.31:
	ds_read_b32 v2, v5 offset:272
; %bb.32:
	s_or_b32 exec_lo, exec_lo, s4
	s_waitcnt lgkmcnt(0)
	ds_bpermute_b32 v3, v7, v2
	s_waitcnt lgkmcnt(0)
	v_add_f32_e32 v2, v2, v3
	ds_bpermute_b32 v3, v8, v2
	s_waitcnt lgkmcnt(0)
	v_add_f32_e32 v2, v2, v3
	v_mov_b32_e32 v3, 0
	ds_bpermute_b32 v2, v3, v2
	s_and_saveexec_b32 s2, s3
	s_cbranch_execz .LBB114_35
; %bb.33:
	s_waitcnt lgkmcnt(0)
	v_add_f32_e32 v2, 0x358637bd, v2
	s_mov_b32 s3, 0
	v_div_scale_f32 v3, null, v2, v2, 1.0
	v_div_scale_f32 v6, vcc_lo, 1.0, v2, 1.0
	v_rcp_f32_e32 v4, v3
	v_fma_f32 v5, -v3, v4, 1.0
	v_fmac_f32_e32 v4, v5, v4
	v_mul_f32_e32 v5, v6, v4
	v_fma_f32 v7, -v3, v5, v6
	v_fmac_f32_e32 v5, v7, v4
	v_fma_f32 v3, -v3, v5, v6
	v_div_fmas_f32 v3, v3, v4, v5
	v_div_fixup_f32 v2, v3, v2, 1.0
	v_mov_b32_e32 v3, v0
.LBB114_34:                             ; =>This Inner Loop Header: Depth=1
	ds_read_b32 v4, v1
	v_add_nc_u32_e32 v3, 0x80, v3
	v_cmp_le_i32_e32 vcc_lo, s5, v3
	s_or_b32 s3, vcc_lo, s3
	s_waitcnt lgkmcnt(0)
	v_mul_f32_e32 v4, v2, v4
	ds_write_b32 v1, v4
	v_add_nc_u32_e32 v1, 0x200, v1
	s_andn2_b32 exec_lo, exec_lo, s3
	s_cbranch_execnz .LBB114_34
.LBB114_35:
	s_or_b32 exec_lo, exec_lo, s2
	v_mov_b32_e32 v33, 0
	v_mov_b32_e32 v32, 0
	;; [unrolled: 1-line block ×4, first 2 shown]
	s_waitcnt lgkmcnt(0)
	s_barrier
	buffer_gl0_inv
	s_and_saveexec_b32 s4, s1
	s_cbranch_execz .LBB114_49
; %bb.36:
	s_ashr_i32 s15, s14, 31
	s_sub_i32 s5, s28, s17
	s_lshl_b64 s[2:3], s[14:15], 1
	v_lshlrev_b32_e32 v2, 4, v29
	s_add_u32 s1, s26, s2
	s_addc_u32 s17, s27, s3
	s_abs_i32 s14, s18
	v_and_b32_e32 v3, 0x7c, v11
	v_cvt_f32_u32_e32 v1, s14
	s_sub_i32 s2, 0, s14
	v_add_co_u32 v36, s1, s1, v2
	s_add_i32 s15, s16, -1
	v_rcp_iflag_f32_e32 v1, v1
	v_add_co_ci_u32_e64 v37, null, s17, 0, s1
	v_mov_b32_e32 v34, 0
	v_lshl_add_u32 v35, v27, 5, 0x120
	v_mov_b32_e32 v30, 0
	v_mov_b32_e32 v31, 0
	;; [unrolled: 1-line block ×5, first 2 shown]
	v_mul_f32_e32 v1, 0x4f7ffffe, v1
	s_mov_b32 s18, s30
	s_mov_b32 s17, 0
	v_cvt_u32_f32_e32 v1, v1
	v_mul_lo_u32 v4, s2, v1
	s_lshl_b64 s[2:3], s[24:25], 2
	s_add_u32 s1, s22, s2
	s_addc_u32 s2, s23, s3
	v_add_co_u32 v25, s1, s1, v3
	v_add_co_ci_u32_e64 v26, null, s2, 0, s1
	v_mul_hi_u32 v4, v1, v4
	v_add_nc_u32_e32 v38, v1, v4
	s_branch .LBB114_39
.LBB114_37:                             ;   in Loop: Header=BB114_39 Depth=1
	s_or_b32 exec_lo, exec_lo, s3
	s_waitcnt lgkmcnt(1)
	v_bfe_u32 v40, v17, 16, 1
	v_bfe_u32 v41, v18, 16, 1
	v_or_b32_e32 v42, 0x400000, v17
	v_cmp_u_f32_e32 vcc_lo, v17, v17
	v_or_b32_e32 v43, 0x400000, v18
	v_add3_u32 v40, v40, v17, 0x7fff
	v_bfe_u32 v44, v19, 16, 1
	v_add3_u32 v41, v41, v18, 0x7fff
	v_bfe_u32 v45, v20, 16, 1
	v_cndmask_b32_e32 v40, v40, v42, vcc_lo
	v_cmp_u_f32_e32 vcc_lo, v18, v18
	v_add3_u32 v18, v44, v19, 0x7fff
	v_add3_u32 v42, v45, v20, 0x7fff
	s_waitcnt lgkmcnt(0)
	v_bfe_u32 v44, v13, 16, 1
	v_cndmask_b32_e32 v17, v41, v43, vcc_lo
	v_or_b32_e32 v41, 0x400000, v19
	v_cmp_u_f32_e32 vcc_lo, v19, v19
	v_or_b32_e32 v43, 0x400000, v20
	v_bfe_u32 v19, v14, 16, 1
	v_and_b32_e32 v17, 0xffff0000, v17
	v_cndmask_b32_e32 v18, v18, v41, vcc_lo
	v_cmp_u_f32_e32 vcc_lo, v20, v20
	v_add3_u32 v41, v44, v13, 0x7fff
	v_add3_u32 v19, v19, v14, 0x7fff
	v_bfe_u32 v44, v15, 16, 1
	v_and_b32_e32 v18, 0xffff0000, v18
	v_cndmask_b32_e32 v20, v42, v43, vcc_lo
	v_or_b32_e32 v42, 0x400000, v13
	v_cmp_u_f32_e32 vcc_lo, v13, v13
	v_or_b32_e32 v43, 0x400000, v14
	v_and_b32_e32 v13, 0xffff0000, v40
	v_or_b32_e32 v40, 0x400000, v15
	v_cndmask_b32_e32 v41, v41, v42, vcc_lo
	v_cmp_u_f32_e32 vcc_lo, v14, v14
	v_bfe_u32 v42, v16, 16, 1
	v_cndmask_b32_e32 v14, v19, v43, vcc_lo
	s_waitcnt vmcnt(1)
	v_and_b32_e32 v43, 0xffff0000, v21
	v_add3_u32 v19, v44, v15, 0x7fff
	v_lshlrev_b32_e32 v21, 16, v21
	v_cmp_u_f32_e32 vcc_lo, v15, v15
	v_add3_u32 v42, v42, v16, 0x7fff
	v_mul_f32_e32 v43, v17, v43
	v_or_b32_e32 v44, 0x400000, v16
	v_mul_f32_e32 v21, v13, v21
	v_cndmask_b32_e32 v40, v19, v40, vcc_lo
	v_cmp_u_f32_e32 vcc_lo, v16, v16
	v_bfe_u32 v15, v43, 16, 1
	v_and_b32_e32 v16, 0xffff0000, v20
	v_bfe_u32 v19, v21, 16, 1
	v_and_b32_e32 v20, 0xffff0000, v22
	v_cndmask_b32_e32 v42, v42, v44, vcc_lo
	v_add3_u32 v15, v15, v43, 0x7fff
	v_or_b32_e32 v44, 0x400000, v43
	v_cmp_u_f32_e32 vcc_lo, v43, v43
	v_add3_u32 v19, v19, v21, 0x7fff
	v_or_b32_e32 v45, 0x400000, v21
	v_mul_f32_e32 v20, v16, v20
	v_lshlrev_b32_e32 v22, 16, v22
	v_cndmask_b32_e32 v43, v15, v44, vcc_lo
	v_cmp_u_f32_e32 vcc_lo, v21, v21
	v_and_b32_e32 v15, 0xffff0000, v41
	v_bfe_u32 v44, v20, 16, 1
	v_mul_f32_e32 v22, v18, v22
	v_and_b32_e32 v43, 0xffff0000, v43
	v_cndmask_b32_e32 v21, v19, v45, vcc_lo
	v_and_b32_e32 v19, 0xffff0000, v14
	v_and_b32_e32 v14, 0xffff0000, v23
	v_lshlrev_b32_e32 v23, 16, v23
	v_add3_u32 v41, v44, v20, 0x7fff
	v_or_b32_e32 v44, 0x400000, v20
	v_bfe_u32 v45, v22, 16, 1
	v_mul_f32_e32 v46, v19, v14
	v_cmp_u_f32_e32 vcc_lo, v20, v20
	v_mul_f32_e32 v23, v15, v23
	v_and_b32_e32 v14, 0xffff0000, v42
	v_add3_u32 v20, v45, v22, 0x7fff
	v_bfe_u32 v45, v46, 16, 1
	v_cndmask_b32_e32 v41, v41, v44, vcc_lo
	v_or_b32_e32 v44, 0x400000, v22
	v_and_b32_e32 v42, 0xffff0000, v24
	v_cmp_u_f32_e32 vcc_lo, v22, v22
	v_bfe_u32 v47, v23, 16, 1
	v_lshlrev_b32_e32 v24, 16, v24
	v_and_b32_e32 v21, 0xffff0000, v21
	v_mul_f32_e32 v42, v14, v42
	v_cndmask_b32_e32 v22, v20, v44, vcc_lo
	v_add3_u32 v44, v45, v46, 0x7fff
	v_or_b32_e32 v45, 0x400000, v46
	v_and_b32_e32 v20, 0xffff0000, v40
	v_cmp_u_f32_e32 vcc_lo, v46, v46
	v_add3_u32 v47, v47, v23, 0x7fff
	v_or_b32_e32 v40, 0x400000, v23
	v_bfe_u32 v48, v42, 16, 1
	v_mul_f32_e32 v24, v20, v24
	v_cndmask_b32_e32 v44, v44, v45, vcc_lo
	v_cmp_u_f32_e32 vcc_lo, v23, v23
	v_or_b32_e32 v45, 0x400000, v42
	v_and_b32_e32 v22, 0xffff0000, v22
	v_bfe_u32 v46, v24, 16, 1
	v_and_b32_e32 v41, 0xffff0000, v41
	v_cndmask_b32_e32 v23, v47, v40, vcc_lo
	v_add3_u32 v40, v48, v42, 0x7fff
	v_cmp_u_f32_e32 vcc_lo, v42, v42
	v_add3_u32 v42, v46, v24, 0x7fff
	v_add_f32_e32 v21, v21, v43
	v_add_f32_e32 v22, v22, v41
	v_and_b32_e32 v23, 0xffff0000, v23
	v_cndmask_b32_e32 v40, v40, v45, vcc_lo
	v_or_b32_e32 v45, 0x400000, v24
	v_and_b32_e32 v41, 0xffff0000, v44
	v_and_b32_e32 v43, 0xffff0000, v9
	v_cmp_u_f32_e32 vcc_lo, v24, v24
	v_lshlrev_b32_e32 v9, 16, v9
	v_add_f32_e32 v21, v22, v21
	v_add_f32_e32 v22, v23, v41
	v_mul_f32_e32 v23, v17, v43
	v_cndmask_b32_e32 v24, v42, v45, vcc_lo
	v_mul_f32_e32 v41, v13, v9
	v_and_b32_e32 v40, 0xffff0000, v40
	v_and_b32_e32 v42, 0xffff0000, v10
	v_bfe_u32 v43, v23, 16, 1
	v_and_b32_e32 v24, 0xffff0000, v24
	v_add_f32_e32 v9, v22, v21
	v_bfe_u32 v22, v41, 16, 1
	v_cmp_u_f32_e32 vcc_lo, v23, v23
	v_lshlrev_b32_e32 v10, 16, v10
	v_add_f32_e32 v21, v24, v40
	v_mul_f32_e32 v24, v16, v42
	v_add3_u32 v40, v43, v23, 0x7fff
	v_or_b32_e32 v42, 0x400000, v23
	v_add3_u32 v22, v22, v41, 0x7fff
	v_or_b32_e32 v43, 0x400000, v41
	v_bfe_u32 v44, v24, 16, 1
	v_mul_f32_e32 v10, v18, v10
	v_cndmask_b32_e32 v23, v40, v42, vcc_lo
	v_cmp_u_f32_e32 vcc_lo, v41, v41
	v_or_b32_e32 v41, 0x400000, v24
	v_add3_u32 v40, v44, v24, 0x7fff
	v_and_b32_e32 v42, 0xffff0000, v11
	v_lshlrev_b32_e32 v11, 16, v11
	v_cndmask_b32_e32 v22, v22, v43, vcc_lo
	v_cmp_u_f32_e32 vcc_lo, v24, v24
	v_bfe_u32 v43, v10, 16, 1
	v_and_b32_e32 v23, 0xffff0000, v23
	v_mul_f32_e32 v11, v15, v11
	v_and_b32_e32 v22, 0xffff0000, v22
	v_cndmask_b32_e32 v24, v40, v41, vcc_lo
	v_mul_f32_e32 v40, v19, v42
	v_add3_u32 v41, v43, v10, 0x7fff
	v_or_b32_e32 v42, 0x400000, v10
	v_and_b32_e32 v43, 0xffff0000, v12
	v_cmp_u_f32_e32 vcc_lo, v10, v10
	v_bfe_u32 v44, v40, 16, 1
	v_bfe_u32 v45, v11, 16, 1
	v_lshlrev_b32_e32 v12, 16, v12
	v_and_b32_e32 v24, 0xffff0000, v24
	v_cndmask_b32_e32 v10, v41, v42, vcc_lo
	v_mul_f32_e32 v41, v14, v43
	v_add3_u32 v42, v44, v40, 0x7fff
	v_or_b32_e32 v43, 0x400000, v40
	v_cmp_u_f32_e32 vcc_lo, v40, v40
	v_add3_u32 v44, v45, v11, 0x7fff
	v_or_b32_e32 v45, 0x400000, v11
	v_bfe_u32 v46, v41, 16, 1
	v_and_b32_e32 v10, 0xffff0000, v10
	v_cndmask_b32_e32 v40, v42, v43, vcc_lo
	v_cmp_u_f32_e32 vcc_lo, v11, v11
	v_or_b32_e32 v43, 0x400000, v41
	v_add3_u32 v42, v46, v41, 0x7fff
	v_mul_f32_e32 v12, v20, v12
	v_add_f32_e32 v22, v22, v23
	v_cndmask_b32_e32 v11, v44, v45, vcc_lo
	v_cmp_u_f32_e32 vcc_lo, v41, v41
	v_add_f32_e32 v10, v10, v24
	v_and_b32_e32 v23, 0xffff0000, v1
	v_and_b32_e32 v24, 0xffff0000, v40
	;; [unrolled: 1-line block ×3, first 2 shown]
	v_cndmask_b32_e32 v41, v42, v43, vcc_lo
	v_bfe_u32 v42, v12, 16, 1
	v_add_f32_e32 v10, v10, v22
	v_mul_f32_e32 v22, v17, v23
	v_add_f32_e32 v11, v11, v24
	v_lshlrev_b32_e32 v1, 16, v1
	v_add3_u32 v40, v42, v12, 0x7fff
	v_or_b32_e32 v42, 0x400000, v12
	v_cmp_u_f32_e32 vcc_lo, v12, v12
	v_bfe_u32 v23, v22, 16, 1
	v_add_f32_e32 v10, v11, v10
	v_and_b32_e32 v11, 0xffff0000, v2
	v_mul_f32_e32 v1, v13, v1
	v_cndmask_b32_e32 v12, v40, v42, vcc_lo
	v_add3_u32 v23, v23, v22, 0x7fff
	v_or_b32_e32 v24, 0x400000, v22
	v_mul_f32_e32 v11, v16, v11
	v_and_b32_e32 v40, 0xffff0000, v41
	v_bfe_u32 v41, v1, 16, 1
	v_cmp_u_f32_e32 vcc_lo, v22, v22
	v_lshlrev_b32_e32 v2, 16, v2
	v_or_b32_e32 v42, 0x400000, v1
	v_or_b32_e32 v43, 0x400000, v11
	v_and_b32_e32 v12, 0xffff0000, v12
	v_cndmask_b32_e32 v22, v23, v24, vcc_lo
	v_bfe_u32 v23, v11, 16, 1
	v_add3_u32 v24, v41, v1, 0x7fff
	v_and_b32_e32 v41, 0xffff0000, v3
	v_mul_f32_e32 v2, v18, v2
	v_cmp_u_f32_e32 vcc_lo, v1, v1
	v_add3_u32 v23, v23, v11, 0x7fff
	v_lshlrev_b32_e32 v3, 16, v3
	v_mul_f32_e32 v41, v19, v41
	v_and_b32_e32 v22, 0xffff0000, v22
	v_cndmask_b32_e32 v1, v24, v42, vcc_lo
	v_bfe_u32 v24, v2, 16, 1
	v_cmp_u_f32_e32 vcc_lo, v11, v11
	v_and_b32_e32 v42, 0xffff0000, v4
	v_mul_f32_e32 v3, v15, v3
	v_or_b32_e32 v44, 0x400000, v41
	v_add3_u32 v24, v24, v2, 0x7fff
	v_cndmask_b32_e32 v11, v23, v43, vcc_lo
	v_bfe_u32 v23, v41, 16, 1
	v_or_b32_e32 v43, 0x400000, v2
	v_cmp_u_f32_e32 vcc_lo, v2, v2
	v_mul_f32_e32 v42, v14, v42
	v_lshlrev_b32_e32 v4, 16, v4
	v_add3_u32 v23, v23, v41, 0x7fff
	v_and_b32_e32 v1, 0xffff0000, v1
	v_cndmask_b32_e32 v2, v24, v43, vcc_lo
	v_bfe_u32 v24, v3, 16, 1
	v_cmp_u_f32_e32 vcc_lo, v41, v41
	v_bfe_u32 v43, v42, 16, 1
	v_or_b32_e32 v41, 0x400000, v3
	v_mul_f32_e32 v4, v20, v4
	v_add3_u32 v24, v24, v3, 0x7fff
	v_cndmask_b32_e32 v23, v23, v44, vcc_lo
	v_cmp_u_f32_e32 vcc_lo, v3, v3
	v_add3_u32 v43, v43, v42, 0x7fff
	v_or_b32_e32 v44, 0x400000, v42
	v_and_b32_e32 v2, 0xffff0000, v2
	v_and_b32_e32 v11, 0xffff0000, v11
	v_cndmask_b32_e32 v3, v24, v41, vcc_lo
	v_cmp_u_f32_e32 vcc_lo, v42, v42
	v_bfe_u32 v41, v4, 16, 1
	v_add_f32_e32 v1, v1, v22
	v_add_f32_e32 v2, v2, v11
	v_and_b32_e32 v3, 0xffff0000, v3
	v_cndmask_b32_e32 v24, v43, v44, vcc_lo
	s_waitcnt vmcnt(0)
	v_and_b32_e32 v43, 0xffff0000, v5
	v_and_b32_e32 v11, 0xffff0000, v23
	v_lshlrev_b32_e32 v5, 16, v5
	v_add3_u32 v41, v41, v4, 0x7fff
	v_or_b32_e32 v42, 0x400000, v4
	v_mul_f32_e32 v17, v17, v43
	v_cmp_u_f32_e32 vcc_lo, v4, v4
	v_add_f32_e32 v1, v2, v1
	v_add_f32_e32 v3, v3, v11
	v_mul_f32_e32 v5, v13, v5
	v_bfe_u32 v2, v17, 16, 1
	v_and_b32_e32 v11, 0xffff0000, v6
	v_cndmask_b32_e32 v4, v41, v42, vcc_lo
	v_or_b32_e32 v13, 0x400000, v17
	v_bfe_u32 v22, v5, 16, 1
	v_add3_u32 v2, v2, v17, 0x7fff
	v_mul_f32_e32 v11, v16, v11
	v_lshlrev_b32_e32 v6, 16, v6
	v_cmp_u_f32_e32 vcc_lo, v17, v17
	v_or_b32_e32 v16, 0x400000, v5
	v_and_b32_e32 v4, 0xffff0000, v4
	v_bfe_u32 v17, v11, 16, 1
	v_mul_f32_e32 v6, v18, v6
	v_cndmask_b32_e32 v2, v2, v13, vcc_lo
	v_add3_u32 v13, v22, v5, 0x7fff
	v_and_b32_e32 v18, 0xffff0000, v7
	v_cmp_u_f32_e32 vcc_lo, v5, v5
	v_lshlrev_b32_e32 v7, 16, v7
	v_and_b32_e32 v2, 0xffff0000, v2
	v_add_f32_e32 v1, v3, v1
	v_mul_f32_e32 v18, v19, v18
	v_cndmask_b32_e32 v5, v13, v16, vcc_lo
	v_add3_u32 v13, v17, v11, 0x7fff
	v_or_b32_e32 v16, 0x400000, v11
	v_bfe_u32 v17, v6, 16, 1
	v_cmp_u_f32_e32 vcc_lo, v11, v11
	v_mul_f32_e32 v7, v15, v7
	v_and_b32_e32 v15, 0xffff0000, v8
	v_lshlrev_b32_e32 v8, 16, v8
	v_and_b32_e32 v5, 0xffff0000, v5
	v_cndmask_b32_e32 v11, v13, v16, vcc_lo
	v_add3_u32 v13, v17, v6, 0x7fff
	v_or_b32_e32 v16, 0x400000, v6
	v_bfe_u32 v17, v18, 16, 1
	v_cmp_u_f32_e32 vcc_lo, v6, v6
	v_mul_f32_e32 v14, v14, v15
	v_mul_f32_e32 v8, v20, v8
	v_or_b32_e32 v15, 0x400000, v18
	v_and_b32_e32 v11, 0xffff0000, v11
	v_cndmask_b32_e32 v6, v13, v16, vcc_lo
	v_bfe_u32 v13, v7, 16, 1
	v_add3_u32 v16, v17, v18, 0x7fff
	v_cmp_u_f32_e32 vcc_lo, v18, v18
	v_or_b32_e32 v17, 0x400000, v7
	v_bfe_u32 v20, v8, 16, 1
	v_add3_u32 v13, v13, v7, 0x7fff
	v_bfe_u32 v19, v14, 16, 1
	v_cndmask_b32_e32 v15, v16, v15, vcc_lo
	v_cmp_u_f32_e32 vcc_lo, v7, v7
	v_add3_u32 v16, v20, v8, 0x7fff
	v_and_b32_e32 v6, 0xffff0000, v6
	v_or_b32_e32 v18, 0x400000, v14
	v_add_f32_e32 v2, v5, v2
	v_cndmask_b32_e32 v7, v13, v17, vcc_lo
	v_or_b32_e32 v17, 0x400000, v8
	v_cmp_u_f32_e32 vcc_lo, v8, v8
	v_add3_u32 v13, v19, v14, 0x7fff
	v_add_f32_e32 v5, v6, v11
	v_and_b32_e32 v6, 0xffff0000, v7
	v_and_b32_e32 v7, 0xffff0000, v15
	v_cndmask_b32_e32 v8, v16, v17, vcc_lo
	v_cmp_u_f32_e32 vcc_lo, v14, v14
	v_add_f32_e32 v2, v5, v2
	v_add_f32_e32 v5, v6, v7
	v_and_b32_e32 v6, 0xffff0000, v8
	v_cndmask_b32_e32 v11, v13, v18, vcc_lo
	v_and_b32_e32 v13, 0xffff0000, v24
	v_add_f32_e32 v8, v12, v40
	v_add_f32_e32 v2, v5, v2
	;; [unrolled: 1-line block ×3, first 2 shown]
	v_and_b32_e32 v7, 0xffff0000, v11
	v_add_f32_e32 v3, v4, v13
	v_add_f32_e32 v31, v31, v5
	;; [unrolled: 1-line block ×9, first 2 shown]
.LBB114_38:                             ;   in Loop: Header=BB114_39 Depth=1
	s_or_b32 exec_lo, exec_lo, s22
	v_add_nc_u32_e32 v39, 4, v39
	v_add_co_u32 v25, s1, v25, 16
	v_add_co_ci_u32_e64 v26, null, 0, v26, s1
	v_cmp_le_i32_e32 vcc_lo, s16, v39
	v_add_nc_u32_e32 v28, 32, v28
	v_add_nc_u32_e32 v35, 0x80, v35
	s_or_b32 s17, vcc_lo, s17
	s_andn2_b32 exec_lo, exec_lo, s17
	s_cbranch_execz .LBB114_48
.LBB114_39:                             ; =>This Inner Loop Header: Depth=1
	v_mul_hi_u32 v1, v28, s21
	v_mul_lo_u32 v2, v1, s12
	v_add_nc_u32_e32 v3, 1, v1
	v_sub_nc_u32_e32 v2, v28, v2
	v_subrev_nc_u32_e32 v4, s12, v2
	v_cmp_le_u32_e32 vcc_lo, s12, v2
	v_cndmask_b32_e32 v1, v1, v3, vcc_lo
	v_cndmask_b32_e32 v2, v2, v4, vcc_lo
	v_add_nc_u32_e32 v3, 1, v1
	v_cmp_le_u32_e32 vcc_lo, s12, v2
	v_cndmask_b32_e32 v1, v1, v3, vcc_lo
	v_xor_b32_e32 v1, s19, v1
	v_subrev_nc_u32_e32 v1, s19, v1
	v_add_nc_u32_e32 v2, s31, v1
	v_cmp_lt_i32_e64 s1, s5, v1
	v_sub_nc_u32_e32 v3, 0, v2
	v_max_i32_e32 v3, v2, v3
	v_ashrrev_i32_e32 v2, 31, v2
	v_mul_hi_u32 v4, v3, v38
	v_mul_lo_u32 v4, v4, s14
	v_sub_nc_u32_e32 v3, v3, v4
	v_subrev_nc_u32_e32 v4, s14, v3
	v_cmp_le_u32_e32 vcc_lo, s14, v3
	v_cndmask_b32_e32 v3, v3, v4, vcc_lo
	v_subrev_nc_u32_e32 v4, s14, v3
	v_cmp_le_u32_e32 vcc_lo, s14, v3
	v_cndmask_b32_e32 v3, v3, v4, vcc_lo
	v_xor_b32_e32 v3, v3, v2
	v_sub_nc_u32_e32 v2, v3, v2
	v_cmp_eq_u32_e32 vcc_lo, 0, v2
	s_or_b32 s1, vcc_lo, s1
	s_and_saveexec_b32 s22, s1
	s_cbranch_execz .LBB114_38
; %bb.40:                               ;   in Loop: Header=BB114_39 Depth=1
	global_load_dword v1, v[25:26], off
	v_cmp_eq_u32_e64 s1, s15, v39
	v_add_nc_u32_e32 v46, 1, v28
	v_or_b32_e32 v44, 3, v28
	v_or_b32_e32 v45, 2, v28
	;; [unrolled: 1-line block ×6, first 2 shown]
	s_waitcnt vmcnt(0)
	v_mad_i64_i32 v[1:2], null, v1, s13, 0
	v_lshlrev_b64 v[1:2], 1, v[1:2]
	v_add_co_u32 v5, vcc_lo, v36, v1
	v_add_co_ci_u32_e64 v6, null, v37, v2, vcc_lo
	global_load_dwordx4 v[1:4], v[5:6], off
	ds_read2_b64 v[17:20], v35 offset1:1
	ds_read2_b64 v[13:16], v35 offset0:2 offset1:3
	s_and_saveexec_b32 s23, s1
	s_cbranch_execnz .LBB114_44
; %bb.41:                               ;   in Loop: Header=BB114_39 Depth=1
	s_or_b32 exec_lo, exec_lo, s23
	global_load_dwordx4 v[9:12], v[5:6], off offset:512
	s_and_saveexec_b32 s23, s1
	s_cbranch_execnz .LBB114_45
.LBB114_42:                             ;   in Loop: Header=BB114_39 Depth=1
	s_or_b32 exec_lo, exec_lo, s23
	global_load_dwordx4 v[21:24], v[5:6], off offset:1024
	s_and_saveexec_b32 s23, s1
	s_cbranch_execnz .LBB114_46
.LBB114_43:                             ;   in Loop: Header=BB114_39 Depth=1
	s_or_b32 exec_lo, exec_lo, s23
	global_load_dwordx4 v[5:8], v[5:6], off offset:1536
	s_and_saveexec_b32 s3, s1
	s_cbranch_execz .LBB114_37
	s_branch .LBB114_47
.LBB114_44:                             ;   in Loop: Header=BB114_39 Depth=1
	v_cmp_gt_i32_e64 s2, s30, v28
	v_cmp_gt_i32_e32 vcc_lo, s18, v46
	v_cmp_gt_i32_e64 s3, s30, v45
	s_waitcnt vmcnt(0)
	v_cndmask_b32_e64 v7, 0, v1, s2
	v_cmp_gt_i32_e64 s2, s18, v44
	v_cndmask_b32_sdwa v1, v34, v1, vcc_lo dst_sel:DWORD dst_unused:UNUSED_PAD src0_sel:DWORD src1_sel:WORD_1
	v_cndmask_b32_e64 v8, 0, v2, s3
	v_cmp_gt_i32_e64 s3, s18, v43
	s_mov_b32 vcc_lo, s2
	v_cmp_gt_i32_e64 s2, s18, v41
	v_cndmask_b32_sdwa v2, v34, v2, vcc_lo dst_sel:DWORD dst_unused:UNUSED_PAD src0_sel:DWORD src1_sel:WORD_1
	v_cmp_gt_i32_e32 vcc_lo, s30, v42
	v_perm_b32 v1, v1, v7, 0x5040100
	v_perm_b32 v2, v2, v8, 0x5040100
	v_cndmask_b32_e32 v9, 0, v3, vcc_lo
	s_mov_b32 vcc_lo, s3
	v_cndmask_b32_sdwa v3, v34, v3, vcc_lo dst_sel:DWORD dst_unused:UNUSED_PAD src0_sel:DWORD src1_sel:WORD_1
	v_cmp_gt_i32_e32 vcc_lo, s30, v40
	v_perm_b32 v3, v3, v9, 0x5040100
	v_cndmask_b32_e32 v10, 0, v4, vcc_lo
	s_mov_b32 vcc_lo, s2
	v_cndmask_b32_sdwa v4, v34, v4, vcc_lo dst_sel:DWORD dst_unused:UNUSED_PAD src0_sel:DWORD src1_sel:WORD_1
	v_perm_b32 v4, v4, v10, 0x5040100
	s_or_b32 exec_lo, exec_lo, s23
	global_load_dwordx4 v[9:12], v[5:6], off offset:512
	s_and_saveexec_b32 s23, s1
	s_cbranch_execz .LBB114_42
.LBB114_45:                             ;   in Loop: Header=BB114_39 Depth=1
	v_cmp_gt_i32_e64 s2, s30, v28
	v_cmp_gt_i32_e32 vcc_lo, s18, v46
	v_cmp_gt_i32_e64 s3, s30, v45
	s_waitcnt vmcnt(0)
	v_cndmask_b32_e64 v7, 0, v9, s2
	v_cmp_gt_i32_e64 s2, s18, v44
	v_cndmask_b32_sdwa v9, v34, v9, vcc_lo dst_sel:DWORD dst_unused:UNUSED_PAD src0_sel:DWORD src1_sel:WORD_1
	v_cndmask_b32_e64 v8, 0, v10, s3
	v_cmp_gt_i32_e64 s3, s18, v43
	s_mov_b32 vcc_lo, s2
	v_cmp_gt_i32_e64 s2, s18, v41
	v_cndmask_b32_sdwa v10, v34, v10, vcc_lo dst_sel:DWORD dst_unused:UNUSED_PAD src0_sel:DWORD src1_sel:WORD_1
	v_cmp_gt_i32_e32 vcc_lo, s30, v42
	v_perm_b32 v9, v9, v7, 0x5040100
	v_perm_b32 v10, v10, v8, 0x5040100
	v_cndmask_b32_e32 v21, 0, v11, vcc_lo
	s_mov_b32 vcc_lo, s3
	v_cndmask_b32_sdwa v11, v34, v11, vcc_lo dst_sel:DWORD dst_unused:UNUSED_PAD src0_sel:DWORD src1_sel:WORD_1
	v_cmp_gt_i32_e32 vcc_lo, s30, v40
	v_perm_b32 v11, v11, v21, 0x5040100
	v_cndmask_b32_e32 v22, 0, v12, vcc_lo
	s_mov_b32 vcc_lo, s2
	v_cndmask_b32_sdwa v12, v34, v12, vcc_lo dst_sel:DWORD dst_unused:UNUSED_PAD src0_sel:DWORD src1_sel:WORD_1
	v_perm_b32 v12, v12, v22, 0x5040100
	s_or_b32 exec_lo, exec_lo, s23
	global_load_dwordx4 v[21:24], v[5:6], off offset:1024
	s_and_saveexec_b32 s23, s1
	s_cbranch_execz .LBB114_43
.LBB114_46:                             ;   in Loop: Header=BB114_39 Depth=1
	v_cmp_gt_i32_e64 s2, s30, v28
	v_cmp_gt_i32_e32 vcc_lo, s18, v46
	v_cmp_gt_i32_e64 s3, s30, v45
	s_waitcnt vmcnt(0)
	v_cndmask_b32_e64 v7, 0, v21, s2
	v_cmp_gt_i32_e64 s2, s18, v44
	v_cndmask_b32_sdwa v21, v34, v21, vcc_lo dst_sel:DWORD dst_unused:UNUSED_PAD src0_sel:DWORD src1_sel:WORD_1
	v_cndmask_b32_e64 v8, 0, v22, s3
	v_cmp_gt_i32_e64 s3, s18, v43
	s_mov_b32 vcc_lo, s2
	v_cmp_gt_i32_e64 s2, s18, v41
	v_cndmask_b32_sdwa v22, v34, v22, vcc_lo dst_sel:DWORD dst_unused:UNUSED_PAD src0_sel:DWORD src1_sel:WORD_1
	v_cmp_gt_i32_e32 vcc_lo, s30, v42
	v_perm_b32 v21, v21, v7, 0x5040100
	v_perm_b32 v22, v22, v8, 0x5040100
	v_cndmask_b32_e32 v47, 0, v23, vcc_lo
	s_mov_b32 vcc_lo, s3
	v_cndmask_b32_sdwa v23, v34, v23, vcc_lo dst_sel:DWORD dst_unused:UNUSED_PAD src0_sel:DWORD src1_sel:WORD_1
	v_cmp_gt_i32_e32 vcc_lo, s30, v40
	v_perm_b32 v23, v23, v47, 0x5040100
	v_cndmask_b32_e32 v48, 0, v24, vcc_lo
	s_mov_b32 vcc_lo, s2
	v_cndmask_b32_sdwa v24, v34, v24, vcc_lo dst_sel:DWORD dst_unused:UNUSED_PAD src0_sel:DWORD src1_sel:WORD_1
	v_perm_b32 v24, v24, v48, 0x5040100
	s_or_b32 exec_lo, exec_lo, s23
	global_load_dwordx4 v[5:8], v[5:6], off offset:1536
	s_and_saveexec_b32 s3, s1
	s_cbranch_execz .LBB114_37
.LBB114_47:                             ;   in Loop: Header=BB114_39 Depth=1
	v_cmp_gt_i32_e64 s1, s30, v28
	v_cmp_gt_i32_e32 vcc_lo, s18, v46
	v_cmp_gt_i32_e64 s2, s30, v45
	s_waitcnt vmcnt(0)
	v_cndmask_b32_e64 v46, 0, v5, s1
	v_cmp_gt_i32_e64 s1, s18, v44
	v_cndmask_b32_sdwa v5, v34, v5, vcc_lo dst_sel:DWORD dst_unused:UNUSED_PAD src0_sel:DWORD src1_sel:WORD_1
	v_cndmask_b32_e64 v44, 0, v6, s2
	v_cmp_gt_i32_e64 s2, s18, v43
	s_mov_b32 vcc_lo, s1
	v_cmp_gt_i32_e64 s1, s18, v41
	v_cndmask_b32_sdwa v6, v34, v6, vcc_lo dst_sel:DWORD dst_unused:UNUSED_PAD src0_sel:DWORD src1_sel:WORD_1
	v_cmp_gt_i32_e32 vcc_lo, s30, v42
	v_perm_b32 v5, v5, v46, 0x5040100
	v_perm_b32 v6, v6, v44, 0x5040100
	v_cndmask_b32_e32 v42, 0, v7, vcc_lo
	s_mov_b32 vcc_lo, s2
	v_cndmask_b32_sdwa v7, v34, v7, vcc_lo dst_sel:DWORD dst_unused:UNUSED_PAD src0_sel:DWORD src1_sel:WORD_1
	v_cmp_gt_i32_e32 vcc_lo, s30, v40
	v_perm_b32 v7, v7, v42, 0x5040100
	v_cndmask_b32_e32 v40, 0, v8, vcc_lo
	s_mov_b32 vcc_lo, s1
	v_cndmask_b32_sdwa v8, v34, v8, vcc_lo dst_sel:DWORD dst_unused:UNUSED_PAD src0_sel:DWORD src1_sel:WORD_1
	v_perm_b32 v8, v8, v40, 0x5040100
	s_branch .LBB114_37
.LBB114_48:
	s_or_b32 exec_lo, exec_lo, s17
.LBB114_49:
	s_or_b32 exec_lo, exec_lo, s4
	v_lshl_add_u32 v2, v29, 2, 0x120
	v_and_b32_e32 v3, 0x3c0, v0
	s_mov_b32 s1, exec_lo
	s_barrier
	v_lshl_add_u32 v1, v27, 9, v2
	buffer_gl0_inv
	v_cmpx_eq_u32_e32 64, v3
	s_cbranch_execz .LBB114_51
; %bb.50:
	v_add_nc_u32_e32 v3, 0xfffffc00, v1
	v_add_nc_u32_e32 v4, 0xfffffc80, v1
	;; [unrolled: 1-line block ×4, first 2 shown]
	ds_write_b32 v3, v33
	ds_write_b32 v4, v32
	;; [unrolled: 1-line block ×4, first 2 shown]
.LBB114_51:
	s_or_b32 exec_lo, exec_lo, s1
	s_waitcnt lgkmcnt(0)
	s_barrier
	buffer_gl0_inv
	s_and_saveexec_b32 s1, s0
	s_cbranch_execz .LBB114_53
; %bb.52:
	ds_read2_b32 v[3:4], v1 offset1:32
	ds_read2_b32 v[5:6], v1 offset0:64 offset1:96
	s_waitcnt lgkmcnt(1)
	v_add_f32_e32 v33, v33, v3
	v_add_f32_e32 v32, v32, v4
	s_waitcnt lgkmcnt(0)
	v_add_f32_e32 v31, v31, v5
	v_add_f32_e32 v30, v30, v6
.LBB114_53:
	s_or_b32 exec_lo, exec_lo, s1
	v_and_b32_e32 v3, 0x3e0, v0
	s_mov_b32 s0, exec_lo
	s_barrier
	buffer_gl0_inv
	v_cmpx_eq_u32_e32 32, v3
	s_cbranch_execz .LBB114_55
; %bb.54:
	ds_write2_b32 v2, v33, v32 offset1:32
	ds_write2_b32 v2, v31, v30 offset0:64 offset1:96
.LBB114_55:
	s_or_b32 exec_lo, exec_lo, s0
	v_cmp_gt_u32_e32 vcc_lo, 32, v0
	s_waitcnt lgkmcnt(0)
	s_barrier
	buffer_gl0_inv
	s_and_saveexec_b32 s0, vcc_lo
	s_cbranch_execz .LBB114_57
; %bb.56:
	ds_read2_b32 v[2:3], v1 offset1:32
	ds_read2_b32 v[4:5], v1 offset0:64 offset1:96
	s_waitcnt lgkmcnt(1)
	v_add_f32_e32 v33, v33, v2
	v_add_f32_e32 v32, v32, v3
	s_waitcnt lgkmcnt(0)
	v_add_f32_e32 v31, v31, v4
	v_add_f32_e32 v30, v30, v5
.LBB114_57:
	s_or_b32 exec_lo, exec_lo, s0
	s_barrier
	buffer_gl0_inv
	s_and_saveexec_b32 s0, vcc_lo
	s_cbranch_execz .LBB114_59
; %bb.58:
	v_bfe_u32 v1, v33, 16, 1
	s_mul_i32 s0, s10, s11
	v_or_b32_e32 v2, 0x400000, v33
	s_mul_i32 s0, s0, s9
	v_bfe_u32 v3, v32, 16, 1
	v_add3_u32 v1, v1, v33, 0x7fff
	v_cmp_u_f32_e32 vcc_lo, v33, v33
	s_lshl_b32 s0, s0, 7
	v_bfe_u32 v4, v31, 16, 1
	s_ashr_i32 s1, s0, 31
	v_add3_u32 v3, v3, v32, 0x7fff
	s_lshl_b64 s[0:1], s[0:1], 1
	v_cndmask_b32_e32 v1, v1, v2, vcc_lo
	v_or_b32_e32 v5, 0x400000, v32
	v_cmp_u_f32_e32 vcc_lo, v32, v32
	s_mul_i32 s2, s11, s20
	s_add_u32 s4, s6, s0
	s_addc_u32 s5, s7, s1
	s_ashr_i32 s3, s2, 31
	v_bfe_u32 v2, v30, 16, 1
	s_lshl_b64 s[0:1], s[2:3], 1
	v_add3_u32 v4, v4, v31, 0x7fff
	v_or_b32_e32 v6, 0x400000, v31
	v_cndmask_b32_e32 v3, v3, v5, vcc_lo
	v_cmp_u_f32_e32 vcc_lo, v31, v31
	s_add_u32 s2, s4, s0
	s_addc_u32 s3, s5, s1
	s_lshl_b32 s0, s8, 7
	v_add3_u32 v2, v2, v30, 0x7fff
	s_ashr_i32 s1, s0, 31
	v_or_b32_e32 v7, 0x400000, v30
	v_cndmask_b32_e32 v4, v4, v6, vcc_lo
	v_cmp_u_f32_e32 vcc_lo, v30, v30
	v_lshlrev_b32_e32 v0, 1, v0
	s_lshl_b64 s[0:1], s[0:1], 1
	s_add_u32 s0, s2, s0
	s_addc_u32 s1, s3, s1
	v_cndmask_b32_e32 v2, v2, v7, vcc_lo
	global_store_short_d16_hi v0, v1, s[0:1]
	global_store_short_d16_hi v0, v3, s[0:1] offset:64
	global_store_short_d16_hi v0, v4, s[0:1] offset:128
	;; [unrolled: 1-line block ×3, first 2 shown]
.LBB114_59:
	s_endpgm
	.section	.rodata,"a",@progbits
	.p2align	6, 0x0
	.amdhsa_kernel _ZN4vllm25paged_attention_v1_kernelI14__hip_bfloat16S1_Li128ELi8ELi128ELNS_18Fp8KVCacheDataTypeE0ELb1EEEvPT_PKS3_PKT0_S9_ifPKiSB_iPKfiiiSD_SD_iiiii
		.amdhsa_group_segment_fixed_size 288
		.amdhsa_private_segment_fixed_size 0
		.amdhsa_kernarg_size 384
		.amdhsa_user_sgpr_count 6
		.amdhsa_user_sgpr_private_segment_buffer 1
		.amdhsa_user_sgpr_dispatch_ptr 0
		.amdhsa_user_sgpr_queue_ptr 0
		.amdhsa_user_sgpr_kernarg_segment_ptr 1
		.amdhsa_user_sgpr_dispatch_id 0
		.amdhsa_user_sgpr_flat_scratch_init 0
		.amdhsa_user_sgpr_private_segment_size 0
		.amdhsa_wavefront_size32 1
		.amdhsa_uses_dynamic_stack 0
		.amdhsa_system_sgpr_private_segment_wavefront_offset 0
		.amdhsa_system_sgpr_workgroup_id_x 1
		.amdhsa_system_sgpr_workgroup_id_y 1
		.amdhsa_system_sgpr_workgroup_id_z 1
		.amdhsa_system_sgpr_workgroup_info 0
		.amdhsa_system_vgpr_workitem_id 0
		.amdhsa_next_free_vgpr 68
		.amdhsa_next_free_sgpr 38
		.amdhsa_reserve_vcc 1
		.amdhsa_reserve_flat_scratch 0
		.amdhsa_float_round_mode_32 0
		.amdhsa_float_round_mode_16_64 0
		.amdhsa_float_denorm_mode_32 3
		.amdhsa_float_denorm_mode_16_64 3
		.amdhsa_dx10_clamp 1
		.amdhsa_ieee_mode 1
		.amdhsa_fp16_overflow 0
		.amdhsa_workgroup_processor_mode 1
		.amdhsa_memory_ordered 1
		.amdhsa_forward_progress 1
		.amdhsa_shared_vgpr_count 0
		.amdhsa_exception_fp_ieee_invalid_op 0
		.amdhsa_exception_fp_denorm_src 0
		.amdhsa_exception_fp_ieee_div_zero 0
		.amdhsa_exception_fp_ieee_overflow 0
		.amdhsa_exception_fp_ieee_underflow 0
		.amdhsa_exception_fp_ieee_inexact 0
		.amdhsa_exception_int_div_zero 0
	.end_amdhsa_kernel
	.section	.text._ZN4vllm25paged_attention_v1_kernelI14__hip_bfloat16S1_Li128ELi8ELi128ELNS_18Fp8KVCacheDataTypeE0ELb1EEEvPT_PKS3_PKT0_S9_ifPKiSB_iPKfiiiSD_SD_iiiii,"axG",@progbits,_ZN4vllm25paged_attention_v1_kernelI14__hip_bfloat16S1_Li128ELi8ELi128ELNS_18Fp8KVCacheDataTypeE0ELb1EEEvPT_PKS3_PKT0_S9_ifPKiSB_iPKfiiiSD_SD_iiiii,comdat
.Lfunc_end114:
	.size	_ZN4vllm25paged_attention_v1_kernelI14__hip_bfloat16S1_Li128ELi8ELi128ELNS_18Fp8KVCacheDataTypeE0ELb1EEEvPT_PKS3_PKT0_S9_ifPKiSB_iPKfiiiSD_SD_iiiii, .Lfunc_end114-_ZN4vllm25paged_attention_v1_kernelI14__hip_bfloat16S1_Li128ELi8ELi128ELNS_18Fp8KVCacheDataTypeE0ELb1EEEvPT_PKS3_PKT0_S9_ifPKiSB_iPKfiiiSD_SD_iiiii
                                        ; -- End function
	.set _ZN4vllm25paged_attention_v1_kernelI14__hip_bfloat16S1_Li128ELi8ELi128ELNS_18Fp8KVCacheDataTypeE0ELb1EEEvPT_PKS3_PKT0_S9_ifPKiSB_iPKfiiiSD_SD_iiiii.num_vgpr, 68
	.set _ZN4vllm25paged_attention_v1_kernelI14__hip_bfloat16S1_Li128ELi8ELi128ELNS_18Fp8KVCacheDataTypeE0ELb1EEEvPT_PKS3_PKT0_S9_ifPKiSB_iPKfiiiSD_SD_iiiii.num_agpr, 0
	.set _ZN4vllm25paged_attention_v1_kernelI14__hip_bfloat16S1_Li128ELi8ELi128ELNS_18Fp8KVCacheDataTypeE0ELb1EEEvPT_PKS3_PKT0_S9_ifPKiSB_iPKfiiiSD_SD_iiiii.numbered_sgpr, 38
	.set _ZN4vllm25paged_attention_v1_kernelI14__hip_bfloat16S1_Li128ELi8ELi128ELNS_18Fp8KVCacheDataTypeE0ELb1EEEvPT_PKS3_PKT0_S9_ifPKiSB_iPKfiiiSD_SD_iiiii.num_named_barrier, 0
	.set _ZN4vllm25paged_attention_v1_kernelI14__hip_bfloat16S1_Li128ELi8ELi128ELNS_18Fp8KVCacheDataTypeE0ELb1EEEvPT_PKS3_PKT0_S9_ifPKiSB_iPKfiiiSD_SD_iiiii.private_seg_size, 0
	.set _ZN4vllm25paged_attention_v1_kernelI14__hip_bfloat16S1_Li128ELi8ELi128ELNS_18Fp8KVCacheDataTypeE0ELb1EEEvPT_PKS3_PKT0_S9_ifPKiSB_iPKfiiiSD_SD_iiiii.uses_vcc, 1
	.set _ZN4vllm25paged_attention_v1_kernelI14__hip_bfloat16S1_Li128ELi8ELi128ELNS_18Fp8KVCacheDataTypeE0ELb1EEEvPT_PKS3_PKT0_S9_ifPKiSB_iPKfiiiSD_SD_iiiii.uses_flat_scratch, 0
	.set _ZN4vllm25paged_attention_v1_kernelI14__hip_bfloat16S1_Li128ELi8ELi128ELNS_18Fp8KVCacheDataTypeE0ELb1EEEvPT_PKS3_PKT0_S9_ifPKiSB_iPKfiiiSD_SD_iiiii.has_dyn_sized_stack, 0
	.set _ZN4vllm25paged_attention_v1_kernelI14__hip_bfloat16S1_Li128ELi8ELi128ELNS_18Fp8KVCacheDataTypeE0ELb1EEEvPT_PKS3_PKT0_S9_ifPKiSB_iPKfiiiSD_SD_iiiii.has_recursion, 0
	.set _ZN4vllm25paged_attention_v1_kernelI14__hip_bfloat16S1_Li128ELi8ELi128ELNS_18Fp8KVCacheDataTypeE0ELb1EEEvPT_PKS3_PKT0_S9_ifPKiSB_iPKfiiiSD_SD_iiiii.has_indirect_call, 0
	.section	.AMDGPU.csdata,"",@progbits
; Kernel info:
; codeLenInByte = 7276
; TotalNumSgprs: 40
; NumVgprs: 68
; ScratchSize: 0
; MemoryBound: 0
; FloatMode: 240
; IeeeMode: 1
; LDSByteSize: 288 bytes/workgroup (compile time only)
; SGPRBlocks: 0
; VGPRBlocks: 8
; NumSGPRsForWavesPerEU: 40
; NumVGPRsForWavesPerEU: 68
; Occupancy: 12
; WaveLimiterHint : 1
; COMPUTE_PGM_RSRC2:SCRATCH_EN: 0
; COMPUTE_PGM_RSRC2:USER_SGPR: 6
; COMPUTE_PGM_RSRC2:TRAP_HANDLER: 0
; COMPUTE_PGM_RSRC2:TGID_X_EN: 1
; COMPUTE_PGM_RSRC2:TGID_Y_EN: 1
; COMPUTE_PGM_RSRC2:TGID_Z_EN: 1
; COMPUTE_PGM_RSRC2:TIDIG_COMP_CNT: 0
	.section	.text._ZN4vllm25paged_attention_v1_kernelI14__hip_bfloat16S1_Li192ELi8ELi128ELNS_18Fp8KVCacheDataTypeE0ELb1EEEvPT_PKS3_PKT0_S9_ifPKiSB_iPKfiiiSD_SD_iiiii,"axG",@progbits,_ZN4vllm25paged_attention_v1_kernelI14__hip_bfloat16S1_Li192ELi8ELi128ELNS_18Fp8KVCacheDataTypeE0ELb1EEEvPT_PKS3_PKT0_S9_ifPKiSB_iPKfiiiSD_SD_iiiii,comdat
	.protected	_ZN4vllm25paged_attention_v1_kernelI14__hip_bfloat16S1_Li192ELi8ELi128ELNS_18Fp8KVCacheDataTypeE0ELb1EEEvPT_PKS3_PKT0_S9_ifPKiSB_iPKfiiiSD_SD_iiiii ; -- Begin function _ZN4vllm25paged_attention_v1_kernelI14__hip_bfloat16S1_Li192ELi8ELi128ELNS_18Fp8KVCacheDataTypeE0ELb1EEEvPT_PKS3_PKT0_S9_ifPKiSB_iPKfiiiSD_SD_iiiii
	.globl	_ZN4vllm25paged_attention_v1_kernelI14__hip_bfloat16S1_Li192ELi8ELi128ELNS_18Fp8KVCacheDataTypeE0ELb1EEEvPT_PKS3_PKT0_S9_ifPKiSB_iPKfiiiSD_SD_iiiii
	.p2align	8
	.type	_ZN4vllm25paged_attention_v1_kernelI14__hip_bfloat16S1_Li192ELi8ELi128ELNS_18Fp8KVCacheDataTypeE0ELb1EEEvPT_PKS3_PKT0_S9_ifPKiSB_iPKfiiiSD_SD_iiiii,@function
_ZN4vllm25paged_attention_v1_kernelI14__hip_bfloat16S1_Li192ELi8ELi128ELNS_18Fp8KVCacheDataTypeE0ELb1EEEvPT_PKS3_PKT0_S9_ifPKiSB_iPKfiiiSD_SD_iiiii: ; @_ZN4vllm25paged_attention_v1_kernelI14__hip_bfloat16S1_Li192ELi8ELi128ELNS_18Fp8KVCacheDataTypeE0ELb1EEEvPT_PKS3_PKT0_S9_ifPKiSB_iPKfiiiSD_SD_iiiii
; %bb.0:
	s_clause 0x2
	s_load_dword s9, s[4:5], 0x80
	s_load_dwordx2 s[0:1], s[4:5], 0x30
	s_load_dwordx2 s[28:29], s[4:5], 0x20
	s_mov_b32 s10, s7
	s_ashr_i32 s11, s7, 31
	s_mov_b32 s33, 0
	s_lshl_b64 s[2:3], s[10:11], 2
	s_waitcnt lgkmcnt(0)
	s_add_u32 s0, s0, s2
	s_addc_u32 s1, s1, s3
	s_abs_i32 s2, s28
	s_abs_i32 s11, s9
	v_cvt_f32_u32_e32 v1, s2
	s_sub_i32 s7, 0, s2
	v_rcp_iflag_f32_e32 v1, v1
	v_mul_f32_e32 v1, 0x4f7ffffe, v1
	v_cvt_u32_f32_e32 v1, v1
	v_readfirstlane_b32 s3, v1
	s_mul_i32 s7, s7, s3
	s_mul_hi_u32 s7, s3, s7
	s_add_i32 s3, s3, s7
	s_xor_b32 s7, s9, s28
	s_mul_hi_u32 s3, s11, s3
	s_ashr_i32 s7, s7, 31
	s_mul_i32 s12, s3, s2
	s_sub_i32 s11, s11, s12
	s_add_i32 s12, s3, 1
	s_sub_i32 s13, s11, s2
	s_cmp_ge_u32 s11, s2
	s_cselect_b32 s3, s12, s3
	s_cselect_b32 s11, s13, s11
	s_add_i32 s12, s3, 1
	s_cmp_ge_u32 s11, s2
	s_cselect_b32 s2, s12, s3
	s_abs_i32 s22, s6
	s_xor_b32 s2, s2, s7
	s_sub_i32 s16, s2, s7
	s_load_dwordx2 s[2:3], s[4:5], 0x40
	s_abs_i32 s11, s16
	v_cvt_f32_u32_e32 v1, s11
	s_sub_i32 s12, 0, s11
	v_rcp_iflag_f32_e32 v1, v1
	v_mul_f32_e32 v1, 0x4f7ffffe, v1
	v_cvt_u32_f32_e32 v1, v1
	v_readfirstlane_b32 s7, v1
	s_mul_i32 s12, s12, s7
	s_mul_hi_u32 s12, s7, s12
	s_add_i32 s7, s7, s12
	s_waitcnt lgkmcnt(0)
	s_cmp_eq_u64 s[2:3], 0
	s_mul_hi_u32 s23, s22, s7
	s_cbranch_scc1 .LBB115_2
; %bb.1:
	s_ashr_i32 s7, s6, 31
	s_lshl_b64 s[12:13], s[6:7], 2
	s_add_u32 s2, s2, s12
	s_addc_u32 s3, s3, s13
	s_load_dword s33, s[2:3], 0x0
.LBB115_2:
	s_load_dword s30, s[0:1], 0x0
	s_load_dwordx4 s[12:15], s[4:5], 0x48
	v_and_b32_e32 v1, 3, v0
	v_lshlrev_b32_e32 v2, 2, v0
	s_ashr_i32 s0, s6, 31
	s_ashr_i32 s1, s16, 31
	s_mul_i32 s20, s6, 0xc0
	s_mov_b32 s2, exec_lo
	v_cmpx_gt_u32_e32 0x60, v0
	s_cbranch_execz .LBB115_4
; %bb.3:
	s_load_dwordx2 s[16:17], s[4:5], 0x8
	s_waitcnt lgkmcnt(0)
	s_mul_i32 s18, s12, s10
	v_and_b32_e32 v4, 0x3fc, v0
	s_ashr_i32 s19, s18, 31
	s_lshl_b64 s[18:19], s[18:19], 1
	v_mad_u32_u24 v4, 0x60, v1, v4
	s_add_u32 s3, s16, s18
	s_addc_u32 s7, s17, s19
	s_ashr_i32 s21, s20, 31
	s_lshl_b64 s[16:17], s[20:21], 1
	s_add_u32 s16, s3, s16
	s_addc_u32 s17, s7, s17
	global_load_dword v3, v2, s[16:17]
	s_waitcnt vmcnt(0)
	ds_write_b32 v4, v3
.LBB115_4:
	s_or_b32 exec_lo, exec_lo, s2
	s_load_dwordx4 s[16:19], s[4:5], 0x68
	s_mul_i32 s2, s23, s11
	s_xor_b32 s1, s0, s1
	s_sub_i32 s0, s22, s2
	s_add_i32 s2, s23, 1
	s_sub_i32 s3, s0, s11
	s_cmp_ge_u32 s0, s11
	s_waitcnt lgkmcnt(0)
	s_cselect_b32 s2, s2, s23
	s_cselect_b32 s0, s3, s0
	s_add_i32 s3, s2, 1
	s_cmp_ge_u32 s0, s11
	s_load_dword s0, s[4:5], 0x78
	s_cselect_b32 s2, s3, s2
	s_add_i32 s7, s30, -1
	s_xor_b32 s2, s2, s1
	s_abs_i32 s3, s7
	s_sub_i32 s1, s2, s1
	s_mov_b32 s11, -1
	s_barrier
	s_abs_i32 s12, s19
	s_waitcnt lgkmcnt(0)
	buffer_gl0_inv
	v_cvt_f32_u32_e32 v3, s12
	s_sub_i32 s2, 0, s12
                                        ; implicit-def: $sgpr31
	v_rcp_iflag_f32_e32 v3, v3
	v_mul_f32_e32 v3, 0x4f7ffffe, v3
	v_cvt_u32_f32_e32 v3, v3
	v_readfirstlane_b32 s21, v3
	s_mul_i32 s2, s2, s21
	s_mul_hi_u32 s2, s21, s2
	s_add_i32 s21, s21, s2
	s_cmp_lt_i32 s0, 0
	s_mul_hi_u32 s2, s3, s21
	s_cbranch_scc0 .LBB115_6
; %bb.5:
	s_mul_i32 s11, s16, s28
	s_add_i32 s11, s1, s11
	s_mul_i32 s11, s11, s0
	s_sub_i32 s31, 1, s11
	s_mov_b32 s11, 0
.LBB115_6:
	s_load_dwordx2 s[22:23], s[4:5], 0x28
	s_ashr_i32 s7, s7, 31
	s_andn2_b32 vcc_lo, exec_lo, s11
	s_ashr_i32 s19, s19, 31
	s_cbranch_vccnz .LBB115_8
; %bb.7:
	s_mul_i32 s11, s9, s16
	s_add_i32 s6, s11, s6
	s_mul_i32 s0, s6, s0
	s_add_i32 s31, s0, 1
.LBB115_8:
	s_load_dword s0, s[4:5], 0x38
	s_mul_i32 s6, s2, s12
	s_xor_b32 s15, s7, s19
	s_sub_i32 s3, s3, s6
	s_add_i32 s16, s2, 1
	s_clause 0x2
	s_load_dwordx2 s[6:7], s[4:5], 0x0
	s_load_dwordx2 s[26:27], s[4:5], 0x18
	s_load_dword s11, s[4:5], 0x88
	v_lshrrev_b32_e32 v35, 5, v0
	v_mov_b32_e32 v13, 0xff7fffff
	v_lshrrev_b32_e32 v11, 3, v0
	v_mbcnt_lo_u32_b32 v12, -1, 0
	s_mul_i32 s14, s1, s14
	v_lshlrev_b32_e32 v36, 3, v35
	s_waitcnt lgkmcnt(0)
	s_mul_i32 s24, s0, s10
	s_sub_i32 s0, s3, s12
	s_ashr_i32 s25, s24, 31
	s_cmp_ge_u32 s3, s12
	s_cselect_b32 s2, s16, s2
	s_cselect_b32 s0, s0, s3
	s_add_i32 s3, s2, 1
	s_cmp_ge_u32 s0, s12
	s_cselect_b32 s0, s3, s2
	s_add_i32 s2, s30, 7
	s_ashr_i32 s3, s2, 31
	s_lshr_b32 s3, s3, 29
	s_add_i32 s2, s2, s3
	s_ashr_i32 s16, s2, 3
	s_xor_b32 s2, s0, s15
	v_cmp_gt_i32_e64 s0, s16, v35
	s_sub_i32 s28, s2, s15
	s_and_saveexec_b32 s34, s0
	s_cbranch_execz .LBB115_20
; %bb.9:
	s_load_dwordx2 s[2:3], s[4:5], 0x10
	s_ashr_i32 s15, s14, 31
	s_sub_i32 s4, s28, s17
	s_lshl_b64 s[36:37], s[14:15], 1
	v_bfe_u32 v14, v0, 2, 3
	v_cmp_eq_u32_e32 vcc_lo, 0, v1
	v_mul_u32_u24_e32 v15, 0x60, v1
	v_and_b32_e32 v1, 0x7c, v11
	v_and_b32_e32 v2, 12, v2
	v_lshlrev_b32_e32 v4, 2, v14
	v_subrev_nc_u32_e32 v5, s30, v14
	v_lshlrev_b32_e32 v6, 4, v14
	v_cmp_neq_f32_e64 s1, s33, 0
	v_lshlrev_b32_e32 v16, 3, v35
	v_lshl_or_b32 v4, v35, 5, v4
	v_add_nc_u32_e32 v20, 1, v5
	v_mov_b32_e32 v17, 0xff7fffff
	v_xor_b32_e32 v18, 2, v12
	v_xor_b32_e32 v19, 1, v12
	v_add_nc_u32_e32 v21, 0x1a0, v4
	s_waitcnt lgkmcnt(0)
	s_add_u32 s15, s2, s36
	s_addc_u32 s35, s3, s37
	s_abs_i32 s5, s18
	v_add_co_u32 v5, s15, s15, v6
	v_cvt_f32_u32_e32 v3, s5
	s_sub_i32 s2, 0, s5
	v_add_co_ci_u32_e64 v6, null, s35, 0, s15
	v_mov_b32_e32 v13, 0xff7fffff
	v_rcp_iflag_f32_e32 v3, v3
	v_mov_b32_e32 v25, v35
	s_mov_b32 s15, 0
	s_mov_b32 s35, s13
	v_mul_f32_e32 v3, 0x4f7ffffe, v3
	v_cvt_u32_f32_e32 v3, v3
	v_mul_lo_u32 v4, s2, v3
	s_lshl_b64 s[2:3], s[24:25], 2
	s_add_u32 s2, s22, s2
	s_addc_u32 s3, s23, s3
	v_add_co_u32 v9, s2, s2, v1
	v_add_co_ci_u32_e64 v10, null, s3, 0, s2
	v_mul_hi_u32 v4, v3, v4
	v_add_co_u32 v22, s2, v5, v2
	v_add_co_ci_u32_e64 v23, null, 0, v6, s2
	v_add_nc_u32_e32 v24, v3, v4
	s_branch .LBB115_12
.LBB115_10:                             ;   in Loop: Header=BB115_12 Depth=1
	s_or_b32 exec_lo, exec_lo, s36
.LBB115_11:                             ;   in Loop: Header=BB115_12 Depth=1
	s_or_b32 exec_lo, exec_lo, s3
	v_add_nc_u32_e32 v25, 4, v25
	v_add_co_u32 v9, s3, v9, 16
	v_add_co_ci_u32_e64 v10, null, 0, v10, s3
	v_cmp_le_i32_e64 s2, s16, v25
	v_add_nc_u32_e32 v16, 32, v16
	v_add_nc_u32_e32 v21, 0x80, v21
	s_or_b32 s15, s2, s15
	s_andn2_b32 exec_lo, exec_lo, s15
	s_cbranch_execz .LBB115_19
.LBB115_12:                             ; =>This Inner Loop Header: Depth=1
	v_mul_hi_u32 v1, v16, s21
	s_waitcnt lgkmcnt(0)
	v_mul_lo_u32 v2, v1, s12
	v_add_nc_u32_e32 v3, 1, v1
	v_sub_nc_u32_e32 v2, v16, v2
	v_subrev_nc_u32_e32 v4, s12, v2
	v_cmp_le_u32_e64 s2, s12, v2
	v_cndmask_b32_e64 v1, v1, v3, s2
	v_cndmask_b32_e64 v2, v2, v4, s2
	v_add_nc_u32_e32 v3, 1, v1
	v_cmp_le_u32_e64 s2, s12, v2
	v_cndmask_b32_e64 v1, v1, v3, s2
	v_xor_b32_e32 v1, s19, v1
	v_subrev_nc_u32_e32 v1, s19, v1
	v_add_nc_u32_e32 v2, s31, v1
	v_cmp_ge_i32_e64 s3, s4, v1
	v_sub_nc_u32_e32 v3, 0, v2
	v_max_i32_e32 v3, v2, v3
	v_ashrrev_i32_e32 v2, 31, v2
	v_mul_hi_u32 v4, v3, v24
	v_mul_lo_u32 v4, v4, s5
	v_sub_nc_u32_e32 v3, v3, v4
	v_subrev_nc_u32_e32 v4, s5, v3
	v_cmp_le_u32_e64 s2, s5, v3
	v_cndmask_b32_e64 v3, v3, v4, s2
	v_subrev_nc_u32_e32 v4, s5, v3
	v_cmp_le_u32_e64 s2, s5, v3
	v_cndmask_b32_e64 v3, v3, v4, s2
	v_xor_b32_e32 v3, v3, v2
	v_sub_nc_u32_e32 v2, v3, v2
	v_cmp_ne_u32_e64 s2, 0, v2
	s_and_b32 s2, s2, s3
	s_and_saveexec_b32 s3, s2
	s_xor_b32 s2, exec_lo, s3
	s_cbranch_execz .LBB115_16
; %bb.13:                               ;   in Loop: Header=BB115_12 Depth=1
	s_and_saveexec_b32 s3, vcc_lo
; %bb.14:                               ;   in Loop: Header=BB115_12 Depth=1
	ds_write_b32 v21, v17
; %bb.15:                               ;   in Loop: Header=BB115_12 Depth=1
	s_or_b32 exec_lo, exec_lo, s3
.LBB115_16:                             ;   in Loop: Header=BB115_12 Depth=1
	s_andn2_saveexec_b32 s3, s2
	s_cbranch_execz .LBB115_11
; %bb.17:                               ;   in Loop: Header=BB115_12 Depth=1
	global_load_dword v1, v[9:10], off
	s_waitcnt vmcnt(0)
	v_mad_i64_i32 v[1:2], null, v1, s35, 0
	v_lshlrev_b64 v[1:2], 1, v[1:2]
	v_add_co_u32 v1, s2, v22, v1
	v_add_co_ci_u32_e64 v2, null, v23, v2, s2
	s_clause 0xf
	global_load_dword v38, v[1:2], off offset:128
	global_load_dword v37, v[1:2], off offset:256
	;; [unrolled: 1-line block ×7, first 2 shown]
	global_load_dword v40, v[1:2], off
	global_load_dword v32, v[1:2], off offset:1024
	global_load_dword v28, v[1:2], off offset:1152
	;; [unrolled: 1-line block ×8, first 2 shown]
	v_add_co_u32 v1, s2, 0x800, v1
	v_add_co_ci_u32_e64 v2, null, 0, v2, s2
	v_cmp_gt_i32_e64 s2, 32, v18
	s_clause 0x7
	global_load_dword v51, v[1:2], off
	global_load_dword v50, v[1:2], off offset:128
	global_load_dword v49, v[1:2], off offset:256
	;; [unrolled: 1-line block ×7, first 2 shown]
	ds_read_b128 v[52:55], v15
	ds_read_b128 v[56:59], v15 offset:16
	ds_read_b128 v[60:63], v15 offset:32
	;; [unrolled: 1-line block ×5, first 2 shown]
	s_waitcnt lgkmcnt(5)
	v_lshlrev_b32_e32 v69, 16, v53
	v_and_b32_e32 v53, 0xffff0000, v53
	v_lshlrev_b32_e32 v68, 16, v52
	v_and_b32_e32 v52, 0xffff0000, v52
	v_lshlrev_b32_e32 v70, 16, v54
	v_and_b32_e32 v54, 0xffff0000, v54
	v_lshlrev_b32_e32 v71, 16, v55
	v_and_b32_e32 v55, 0xffff0000, v55
	s_waitcnt lgkmcnt(4)
	v_lshlrev_b32_e32 v72, 16, v56
	v_and_b32_e32 v56, 0xffff0000, v56
	v_lshlrev_b32_e32 v73, 16, v57
	v_and_b32_e32 v57, 0xffff0000, v57
	v_lshlrev_b32_e32 v74, 16, v58
	v_and_b32_e32 v58, 0xffff0000, v58
	v_lshlrev_b32_e32 v75, 16, v59
	v_and_b32_e32 v59, 0xffff0000, v59
	;; [unrolled: 9-line block ×3, first 2 shown]
	s_waitcnt lgkmcnt(2)
	v_lshlrev_b32_e32 v80, 16, v64
	v_lshlrev_b32_e32 v82, 16, v65
	s_waitcnt vmcnt(23)
	v_lshlrev_b32_e32 v81, 16, v38
	v_and_b32_e32 v38, 0xffff0000, v38
	v_mul_f32_e32 v69, v69, v81
	v_mul_f32_e32 v38, v53, v38
	s_waitcnt vmcnt(16)
	v_lshlrev_b32_e32 v83, 16, v40
	v_and_b32_e32 v40, 0xffff0000, v40
	v_lshlrev_b32_e32 v81, 16, v37
	v_and_b32_e32 v37, 0xffff0000, v37
	v_lshlrev_b32_e32 v53, 16, v66
	v_fmac_f32_e32 v69, v68, v83
	v_fmac_f32_e32 v38, v52, v40
	v_lshlrev_b32_e32 v52, 16, v33
	v_and_b32_e32 v33, 0xffff0000, v33
	v_lshlrev_b32_e32 v40, 16, v67
	v_fmac_f32_e32 v69, v70, v81
	v_fmac_f32_e32 v38, v54, v37
	v_lshlrev_b32_e32 v54, 16, v31
	v_and_b32_e32 v31, 0xffff0000, v31
	s_waitcnt lgkmcnt(1)
	v_lshlrev_b32_e32 v37, 16, v5
	v_fmac_f32_e32 v69, v71, v52
	v_fmac_f32_e32 v38, v55, v33
	v_lshlrev_b32_e32 v52, 16, v27
	v_and_b32_e32 v27, 0xffff0000, v27
	v_and_b32_e32 v5, 0xffff0000, v5
	v_fmac_f32_e32 v69, v72, v54
	v_fmac_f32_e32 v38, v56, v31
	v_lshlrev_b32_e32 v54, 16, v26
	v_and_b32_e32 v26, 0xffff0000, v26
	v_lshlrev_b32_e32 v33, 16, v6
	v_fmac_f32_e32 v69, v73, v52
	v_fmac_f32_e32 v38, v57, v27
	v_lshlrev_b32_e32 v52, 16, v34
	v_and_b32_e32 v34, 0xffff0000, v34
	v_and_b32_e32 v6, 0xffff0000, v6
	v_fmac_f32_e32 v69, v74, v54
	v_fmac_f32_e32 v38, v58, v26
	s_waitcnt vmcnt(15)
	v_lshlrev_b32_e32 v54, 16, v32
	v_and_b32_e32 v32, 0xffff0000, v32
	v_lshlrev_b32_e32 v31, 16, v7
	v_fmac_f32_e32 v69, v75, v52
	v_fmac_f32_e32 v38, v59, v34
	s_waitcnt vmcnt(14)
	v_lshlrev_b32_e32 v52, 16, v28
	v_and_b32_e32 v28, 0xffff0000, v28
	v_lshlrev_b32_e32 v27, 16, v8
	v_fmac_f32_e32 v69, v76, v54
	v_fmac_f32_e32 v38, v60, v32
	s_waitcnt vmcnt(13)
	v_lshlrev_b32_e32 v54, 16, v29
	v_and_b32_e32 v29, 0xffff0000, v29
	s_waitcnt lgkmcnt(0)
	v_lshlrev_b32_e32 v26, 16, v1
	v_fmac_f32_e32 v69, v77, v52
	v_fmac_f32_e32 v38, v61, v28
	s_waitcnt vmcnt(12)
	v_lshlrev_b32_e32 v52, 16, v30
	v_and_b32_e32 v30, 0xffff0000, v30
	v_and_b32_e32 v1, 0xffff0000, v1
	v_fmac_f32_e32 v69, v78, v54
	v_fmac_f32_e32 v38, v62, v29
	v_and_b32_e32 v29, 0xffff0000, v64
	s_waitcnt vmcnt(11)
	v_lshlrev_b32_e32 v54, 16, v39
	v_and_b32_e32 v39, 0xffff0000, v39
	v_fmac_f32_e32 v69, v79, v52
	v_fmac_f32_e32 v38, v63, v30
	v_and_b32_e32 v30, 0xffff0000, v65
	s_waitcnt vmcnt(10)
	v_lshlrev_b32_e32 v52, 16, v41
	;; [unrolled: 6-line block ×4, first 2 shown]
	v_and_b32_e32 v43, 0xffff0000, v43
	v_fmac_f32_e32 v69, v53, v39
	v_fmac_f32_e32 v38, v29, v45
	s_waitcnt vmcnt(7)
	v_lshlrev_b32_e32 v29, 16, v51
	v_and_b32_e32 v39, 0xffff0000, v51
	v_lshlrev_b32_e32 v34, 16, v2
	v_fmac_f32_e32 v69, v40, v41
	v_fmac_f32_e32 v38, v30, v43
	s_waitcnt vmcnt(6)
	v_lshlrev_b32_e32 v30, 16, v50
	v_and_b32_e32 v40, 0xffff0000, v50
	v_and_b32_e32 v2, 0xffff0000, v2
	v_fmac_f32_e32 v69, v37, v29
	v_fmac_f32_e32 v38, v5, v39
	v_and_b32_e32 v5, 0xffff0000, v7
	s_waitcnt vmcnt(5)
	v_lshlrev_b32_e32 v7, 16, v49
	v_and_b32_e32 v29, 0xffff0000, v49
	v_fmac_f32_e32 v69, v33, v30
	v_fmac_f32_e32 v38, v6, v40
	v_and_b32_e32 v6, 0xffff0000, v8
	s_waitcnt vmcnt(4)
	v_lshlrev_b32_e32 v8, 16, v48
	v_and_b32_e32 v30, 0xffff0000, v48
	v_fmac_f32_e32 v69, v31, v7
	v_fmac_f32_e32 v38, v5, v29
	s_waitcnt vmcnt(3)
	v_lshlrev_b32_e32 v5, 16, v47
	v_and_b32_e32 v7, 0xffff0000, v47
	v_lshlrev_b32_e32 v32, 16, v3
	v_fmac_f32_e32 v69, v27, v8
	v_fmac_f32_e32 v38, v6, v30
	s_waitcnt vmcnt(2)
	v_lshlrev_b32_e32 v6, 16, v46
	v_and_b32_e32 v8, 0xffff0000, v46
	v_lshlrev_b32_e32 v28, 16, v4
	v_fmac_f32_e32 v69, v26, v5
	v_fmac_f32_e32 v38, v1, v7
	v_and_b32_e32 v1, 0xffff0000, v3
	s_waitcnt vmcnt(1)
	v_lshlrev_b32_e32 v3, 16, v44
	v_and_b32_e32 v5, 0xffff0000, v44
	v_fmac_f32_e32 v69, v34, v6
	v_fmac_f32_e32 v38, v2, v8
	v_and_b32_e32 v2, 0xffff0000, v4
	s_waitcnt vmcnt(0)
	v_lshlrev_b32_e32 v4, 16, v42
	v_and_b32_e32 v6, 0xffff0000, v42
	v_fmac_f32_e32 v69, v32, v3
	v_fmac_f32_e32 v38, v1, v5
	v_cndmask_b32_e64 v1, v12, v18, s2
	v_cmp_gt_i32_e64 s2, 32, v19
	v_fmac_f32_e32 v69, v28, v4
	v_fmac_f32_e32 v38, v2, v6
	v_lshlrev_b32_e32 v1, 2, v1
	v_cndmask_b32_e64 v3, v12, v19, s2
	v_add_f32_e32 v2, v69, v38
	v_lshlrev_b32_e32 v3, 2, v3
	ds_bpermute_b32 v1, v1, v2
	s_waitcnt lgkmcnt(0)
	v_add_f32_e32 v1, v2, v1
	ds_bpermute_b32 v2, v3, v1
	s_and_saveexec_b32 s36, vcc_lo
	s_cbranch_execz .LBB115_10
; %bb.18:                               ;   in Loop: Header=BB115_12 Depth=1
	v_add_nc_u32_e32 v3, v20, v16
	s_waitcnt lgkmcnt(0)
	v_add_f32_e32 v1, v1, v2
	v_cvt_f32_i32_e32 v3, v3
	v_mul_f32_e32 v3, s33, v3
	v_cndmask_b32_e64 v2, 0, v3, s1
	v_max_f32_e32 v3, v13, v13
	v_fmac_f32_e32 v2, s29, v1
	v_add_nc_u32_e32 v1, v14, v16
	v_max_f32_e32 v3, v3, v2
	v_cmp_gt_i32_e64 s2, s30, v1
	v_cndmask_b32_e64 v1, 0, v2, s2
	v_cndmask_b32_e64 v13, v13, v3, s2
	ds_write_b32 v21, v1
	s_branch .LBB115_10
.LBB115_19:
	s_or_b32 exec_lo, exec_lo, s15
.LBB115_20:
	s_or_b32 exec_lo, exec_lo, s34
	v_xor_b32_e32 v1, 16, v12
	v_xor_b32_e32 v3, 8, v12
	v_max_f32_e32 v4, v13, v13
	v_xor_b32_e32 v5, 4, v12
	v_and_b32_e32 v37, 31, v0
	v_cmp_gt_i32_e32 vcc_lo, 32, v1
	v_cndmask_b32_e32 v1, v12, v1, vcc_lo
	v_cmp_gt_i32_e32 vcc_lo, 32, v3
	s_waitcnt lgkmcnt(0)
	v_lshlrev_b32_e32 v2, 2, v1
	v_cndmask_b32_e32 v3, v12, v3, vcc_lo
	v_cmp_gt_i32_e32 vcc_lo, 32, v5
	ds_bpermute_b32 v1, v2, v13
	v_lshlrev_b32_e32 v3, 2, v3
	v_cndmask_b32_e32 v5, v12, v5, vcc_lo
	v_cmp_eq_u32_e32 vcc_lo, 0, v37
	v_lshlrev_b32_e32 v6, 2, v5
	s_waitcnt lgkmcnt(0)
	v_max_f32_e32 v1, v1, v1
	v_max_f32_e32 v1, v4, v1
	ds_bpermute_b32 v4, v3, v1
	s_waitcnt lgkmcnt(0)
	v_max_f32_e32 v4, v4, v4
	v_max_f32_e32 v1, v1, v4
	v_lshlrev_b32_e32 v4, 2, v35
	ds_bpermute_b32 v5, v6, v1
	s_and_saveexec_b32 s1, vcc_lo
	s_cbranch_execz .LBB115_22
; %bb.21:
	s_waitcnt lgkmcnt(0)
	v_max_f32_e32 v5, v5, v5
	v_max_f32_e32 v1, v1, v1
	;; [unrolled: 1-line block ×3, first 2 shown]
	ds_write_b32 v4, v1 offset:384
.LBB115_22:
	s_or_b32 exec_lo, exec_lo, s1
	v_cmp_gt_u32_e64 s1, 4, v37
	v_mov_b32_e32 v1, 0xff7fffff
	s_waitcnt lgkmcnt(0)
	v_lshlrev_b32_e32 v5, 2, v37
	s_barrier
	buffer_gl0_inv
	s_and_saveexec_b32 s2, s1
; %bb.23:
	ds_read_b32 v1, v5 offset:384
; %bb.24:
	s_or_b32 exec_lo, exec_lo, s2
	v_xor_b32_e32 v7, 2, v12
	v_xor_b32_e32 v9, 1, v12
	v_cmp_gt_i32_e64 s2, 32, v7
	v_cndmask_b32_e64 v7, v12, v7, s2
	v_cmp_gt_i32_e64 s2, 32, v9
	v_lshlrev_b32_e32 v7, 2, v7
	v_cndmask_b32_e64 v9, v12, v9, s2
	s_lshl_b32 s2, s16, 3
	s_min_i32 s4, s2, s30
	s_waitcnt lgkmcnt(0)
	ds_bpermute_b32 v8, v7, v1
	v_max_f32_e32 v1, v1, v1
	v_cmp_gt_i32_e64 s2, s4, v0
	s_waitcnt lgkmcnt(0)
	v_max_f32_e32 v10, v8, v8
	v_lshlrev_b32_e32 v8, 2, v9
	v_max_f32_e32 v1, v1, v10
	ds_bpermute_b32 v9, v8, v1
	s_waitcnt lgkmcnt(0)
	v_max_f32_e32 v9, v9, v9
	v_max_f32_e32 v1, v1, v9
	v_mov_b32_e32 v9, 0
	ds_bpermute_b32 v10, v9, v1
	v_lshl_add_u32 v1, v0, 2, 0x1a0
	s_and_saveexec_b32 s5, s2
	s_cbranch_execz .LBB115_28
; %bb.25:
	v_lshl_add_u32 v12, v0, 2, 0x1a0
	v_mov_b32_e32 v9, 0
	v_mov_b32_e32 v13, v0
	s_mov_b32 s15, 0
	.p2align	6
.LBB115_26:                             ; =>This Inner Loop Header: Depth=1
	ds_read_b32 v14, v12
	v_add_nc_u32_e32 v13, 0x80, v13
	v_cmp_le_i32_e64 s3, s4, v13
	s_or_b32 s15, s3, s15
	s_waitcnt lgkmcnt(0)
	v_sub_f32_e32 v14, v14, v10
	v_mul_f32_e32 v14, 0x3fb8aa3b, v14
	v_exp_f32_e32 v14, v14
	ds_write_b32 v12, v14
	v_add_f32_e32 v9, v9, v14
	v_add_nc_u32_e32 v12, 0x200, v12
	s_andn2_b32 exec_lo, exec_lo, s15
	s_cbranch_execnz .LBB115_26
; %bb.27:
	s_or_b32 exec_lo, exec_lo, s15
.LBB115_28:
	s_or_b32 exec_lo, exec_lo, s5
	ds_bpermute_b32 v2, v2, v9
	s_waitcnt lgkmcnt(0)
	v_add_f32_e32 v2, v9, v2
	ds_bpermute_b32 v3, v3, v2
	s_waitcnt lgkmcnt(0)
	v_add_f32_e32 v2, v2, v3
	;; [unrolled: 3-line block ×5, first 2 shown]
	s_and_saveexec_b32 s3, vcc_lo
; %bb.29:
	ds_write_b32 v4, v2 offset:400
; %bb.30:
	s_or_b32 exec_lo, exec_lo, s3
	s_waitcnt lgkmcnt(0)
	s_barrier
	buffer_gl0_inv
	s_and_saveexec_b32 s3, s1
; %bb.31:
	ds_read_b32 v2, v5 offset:400
; %bb.32:
	s_or_b32 exec_lo, exec_lo, s3
	s_waitcnt lgkmcnt(0)
	ds_bpermute_b32 v3, v7, v2
	s_waitcnt lgkmcnt(0)
	v_add_f32_e32 v2, v2, v3
	ds_bpermute_b32 v3, v8, v2
	s_waitcnt lgkmcnt(0)
	v_add_f32_e32 v2, v2, v3
	v_mov_b32_e32 v3, 0
	ds_bpermute_b32 v2, v3, v2
	s_and_saveexec_b32 s1, s2
	s_cbranch_execz .LBB115_35
; %bb.33:
	s_waitcnt lgkmcnt(0)
	v_add_f32_e32 v2, 0x358637bd, v2
	s_mov_b32 s2, 0
	v_div_scale_f32 v3, null, v2, v2, 1.0
	v_div_scale_f32 v6, vcc_lo, 1.0, v2, 1.0
	v_rcp_f32_e32 v4, v3
	v_fma_f32 v5, -v3, v4, 1.0
	v_fmac_f32_e32 v4, v5, v4
	v_mul_f32_e32 v5, v6, v4
	v_fma_f32 v7, -v3, v5, v6
	v_fmac_f32_e32 v5, v7, v4
	v_fma_f32 v3, -v3, v5, v6
	v_div_fmas_f32 v3, v3, v4, v5
	v_div_fixup_f32 v2, v3, v2, 1.0
	v_mov_b32_e32 v3, v0
.LBB115_34:                             ; =>This Inner Loop Header: Depth=1
	ds_read_b32 v4, v1
	v_add_nc_u32_e32 v3, 0x80, v3
	v_cmp_le_i32_e32 vcc_lo, s4, v3
	s_or_b32 s2, vcc_lo, s2
	s_waitcnt lgkmcnt(0)
	v_mul_f32_e32 v4, v2, v4
	ds_write_b32 v1, v4
	v_add_nc_u32_e32 v1, 0x200, v1
	s_andn2_b32 exec_lo, exec_lo, s2
	s_cbranch_execnz .LBB115_34
.LBB115_35:
	s_or_b32 exec_lo, exec_lo, s1
	v_mov_b32_e32 v43, 0
	v_mov_b32_e32 v42, 0
	v_mov_b32_e32 v41, 0
	v_mov_b32_e32 v40, 0
	v_mov_b32_e32 v39, 0
	v_mov_b32_e32 v38, 0
	s_waitcnt lgkmcnt(0)
	s_barrier
	buffer_gl0_inv
	s_and_saveexec_b32 s3, s0
	s_cbranch_execz .LBB115_53
; %bb.36:
	s_ashr_i32 s15, s14, 31
	s_sub_i32 s4, s28, s17
	s_lshl_b64 s[0:1], s[14:15], 1
	v_lshlrev_b32_e32 v2, 4, v37
	s_add_u32 s2, s26, s0
	s_addc_u32 s15, s27, s1
	s_abs_i32 s5, s18
	v_and_b32_e32 v3, 0x7c, v11
	v_cvt_f32_u32_e32 v1, s5
	s_sub_i32 s0, 0, s5
	s_add_i32 s14, s16, -1
	v_add_co_u32 v46, s2, s2, v2
	v_rcp_iflag_f32_e32 v1, v1
	v_mov_b32_e32 v44, 0
	v_lshl_add_u32 v45, v35, 5, 0x1a0
	v_mov_b32_e32 v38, 0
	v_mov_b32_e32 v39, 0
	;; [unrolled: 1-line block ×6, first 2 shown]
	v_add_co_ci_u32_e64 v47, null, s15, 0, s2
	v_mul_f32_e32 v1, 0x4f7ffffe, v1
	v_mov_b32_e32 v49, v35
	s_mov_b32 s17, s30
	s_mov_b32 s15, 0
	v_cvt_u32_f32_e32 v1, v1
	v_mul_lo_u32 v4, s0, v1
	s_lshl_b64 s[0:1], s[24:25], 2
	s_add_u32 s0, s22, s0
	s_addc_u32 s1, s23, s1
	v_add_co_u32 v33, s0, s0, v3
	v_add_co_ci_u32_e64 v34, null, s1, 0, s0
	v_mul_hi_u32 v4, v1, v4
	v_add_nc_u32_e32 v48, v1, v4
	s_branch .LBB115_39
.LBB115_37:                             ;   in Loop: Header=BB115_39 Depth=1
	s_or_b32 exec_lo, exec_lo, s2
	s_waitcnt lgkmcnt(1)
	v_bfe_u32 v50, v25, 16, 1
	v_or_b32_e32 v51, 0x400000, v25
	v_bfe_u32 v52, v26, 16, 1
	v_cmp_u_f32_e32 vcc_lo, v25, v25
	v_bfe_u32 v53, v27, 16, 1
	v_add3_u32 v50, v50, v25, 0x7fff
	v_or_b32_e32 v54, 0x400000, v26
	v_add3_u32 v52, v52, v26, 0x7fff
	v_or_b32_e32 v55, 0x400000, v27
	v_add3_u32 v53, v53, v27, 0x7fff
	v_cndmask_b32_e32 v25, v50, v51, vcc_lo
	v_cmp_u_f32_e32 vcc_lo, v26, v26
	v_bfe_u32 v50, v28, 16, 1
	s_waitcnt lgkmcnt(0)
	v_bfe_u32 v51, v17, 16, 1
	s_waitcnt vmcnt(1)
	v_and_b32_e32 v57, 0xffff0000, v32
	v_cndmask_b32_e32 v26, v52, v54, vcc_lo
	v_cmp_u_f32_e32 vcc_lo, v27, v27
	v_add3_u32 v50, v50, v28, 0x7fff
	v_or_b32_e32 v52, 0x400000, v28
	v_add3_u32 v51, v51, v17, 0x7fff
	v_bfe_u32 v54, v18, 16, 1
	v_cndmask_b32_e32 v27, v53, v55, vcc_lo
	v_cmp_u_f32_e32 vcc_lo, v28, v28
	v_or_b32_e32 v53, 0x400000, v17
	v_cndmask_b32_e32 v28, v50, v52, vcc_lo
	v_cmp_u_f32_e32 vcc_lo, v17, v17
	v_or_b32_e32 v52, 0x400000, v18
	v_and_b32_e32 v17, 0xffff0000, v26
	v_and_b32_e32 v26, 0xffff0000, v29
	v_cndmask_b32_e32 v50, v51, v53, vcc_lo
	v_add3_u32 v51, v54, v18, 0x7fff
	v_bfe_u32 v53, v19, 16, 1
	v_cmp_u_f32_e32 vcc_lo, v18, v18
	v_bfe_u32 v54, v20, 16, 1
	v_mul_f32_e32 v26, v17, v26
	v_and_b32_e32 v18, 0xffff0000, v25
	v_lshlrev_b32_e32 v25, 16, v29
	v_cndmask_b32_e32 v51, v51, v52, vcc_lo
	v_add3_u32 v52, v53, v19, 0x7fff
	v_or_b32_e32 v53, 0x400000, v19
	v_cmp_u_f32_e32 vcc_lo, v19, v19
	v_add3_u32 v19, v54, v20, 0x7fff
	v_mul_f32_e32 v54, v18, v25
	v_and_b32_e32 v25, 0xffff0000, v28
	v_and_b32_e32 v28, 0xffff0000, v30
	v_cndmask_b32_e32 v29, v52, v53, vcc_lo
	v_or_b32_e32 v52, 0x400000, v20
	v_bfe_u32 v53, v26, 16, 1
	v_cmp_u_f32_e32 vcc_lo, v20, v20
	v_bfe_u32 v55, v54, 16, 1
	v_mul_f32_e32 v28, v25, v28
	v_and_b32_e32 v20, 0xffff0000, v27
	v_lshlrev_b32_e32 v27, 16, v30
	v_cndmask_b32_e32 v19, v19, v52, vcc_lo
	v_add3_u32 v52, v53, v26, 0x7fff
	v_or_b32_e32 v53, 0x400000, v26
	v_cmp_u_f32_e32 vcc_lo, v26, v26
	v_mul_f32_e32 v56, v20, v27
	v_and_b32_e32 v26, 0xffff0000, v51
	v_and_b32_e32 v27, 0xffff0000, v31
	v_lshlrev_b32_e32 v31, 16, v31
	v_cndmask_b32_e32 v30, v52, v53, vcc_lo
	v_add3_u32 v52, v55, v54, 0x7fff
	v_or_b32_e32 v53, 0x400000, v54
	v_bfe_u32 v55, v28, 16, 1
	v_cmp_u_f32_e32 vcc_lo, v54, v54
	v_bfe_u32 v54, v56, 16, 1
	v_and_b32_e32 v19, 0xffff0000, v19
	v_and_b32_e32 v30, 0xffff0000, v30
	v_cndmask_b32_e32 v51, v52, v53, vcc_lo
	v_add3_u32 v52, v55, v28, 0x7fff
	v_or_b32_e32 v53, 0x400000, v28
	v_mul_f32_e32 v55, v26, v27
	v_and_b32_e32 v27, 0xffff0000, v50
	v_cmp_u_f32_e32 vcc_lo, v28, v28
	v_and_b32_e32 v28, 0xffff0000, v29
	v_lshlrev_b32_e32 v29, 16, v32
	v_and_b32_e32 v51, 0xffff0000, v51
	v_mul_f32_e32 v31, v27, v31
	v_cndmask_b32_e32 v50, v52, v53, vcc_lo
	v_add3_u32 v52, v54, v56, 0x7fff
	v_or_b32_e32 v53, 0x400000, v56
	v_bfe_u32 v54, v55, 16, 1
	v_cmp_u_f32_e32 vcc_lo, v56, v56
	v_mul_f32_e32 v29, v28, v29
	v_or_b32_e32 v56, 0x400000, v55
	v_and_b32_e32 v50, 0xffff0000, v50
	v_add_f32_e32 v30, v51, v30
	v_cndmask_b32_e32 v32, v52, v53, vcc_lo
	v_bfe_u32 v52, v31, 16, 1
	v_add3_u32 v53, v54, v55, 0x7fff
	v_cmp_u_f32_e32 vcc_lo, v55, v55
	v_mul_f32_e32 v54, v19, v57
	v_or_b32_e32 v57, 0x400000, v31
	v_add3_u32 v52, v52, v31, 0x7fff
	v_bfe_u32 v59, v29, 16, 1
	v_cndmask_b32_e32 v53, v53, v56, vcc_lo
	v_cmp_u_f32_e32 vcc_lo, v31, v31
	v_bfe_u32 v58, v54, 16, 1
	v_or_b32_e32 v56, 0x400000, v29
	v_add3_u32 v55, v59, v29, 0x7fff
	v_and_b32_e32 v32, 0xffff0000, v32
	v_cndmask_b32_e32 v31, v52, v57, vcc_lo
	v_cmp_u_f32_e32 vcc_lo, v29, v29
	v_add3_u32 v52, v58, v54, 0x7fff
	v_or_b32_e32 v57, 0x400000, v54
	v_add_f32_e32 v32, v32, v50
	v_and_b32_e32 v31, 0xffff0000, v31
	v_cndmask_b32_e32 v29, v55, v56, vcc_lo
	v_cmp_u_f32_e32 vcc_lo, v54, v54
	v_and_b32_e32 v50, 0xffff0000, v53
	v_add_f32_e32 v30, v32, v30
	v_and_b32_e32 v29, 0xffff0000, v29
	v_cndmask_b32_e32 v51, v52, v57, vcc_lo
	v_add_f32_e32 v31, v31, v50
	v_and_b32_e32 v50, 0xffff0000, v21
	v_lshlrev_b32_e32 v21, 16, v21
	v_and_b32_e32 v52, 0xffff0000, v24
	v_and_b32_e32 v32, 0xffff0000, v51
	v_add_f32_e32 v30, v31, v30
	v_mul_f32_e32 v31, v17, v50
	v_mul_f32_e32 v21, v18, v21
	v_and_b32_e32 v50, 0xffff0000, v22
	v_add_f32_e32 v29, v29, v32
	v_lshlrev_b32_e32 v22, 16, v22
	v_cmp_u_f32_e32 vcc_lo, v31, v31
	v_bfe_u32 v32, v21, 16, 1
	v_mul_f32_e32 v50, v25, v50
	v_add_f32_e32 v29, v29, v30
	v_bfe_u32 v30, v31, 16, 1
	v_or_b32_e32 v51, 0x400000, v21
	v_add3_u32 v32, v32, v21, 0x7fff
	v_mul_f32_e32 v22, v20, v22
	v_add_f32_e32 v39, v39, v29
	v_add3_u32 v29, v30, v31, 0x7fff
	v_or_b32_e32 v30, 0x400000, v31
	v_and_b32_e32 v31, 0xffff0000, v23
	v_lshlrev_b32_e32 v23, 16, v23
	v_lshlrev_b32_e32 v24, 16, v24
	v_cndmask_b32_e32 v29, v29, v30, vcc_lo
	v_bfe_u32 v30, v50, 16, 1
	v_cmp_u_f32_e32 vcc_lo, v21, v21
	v_mul_f32_e32 v31, v26, v31
	v_mul_f32_e32 v23, v27, v23
	;; [unrolled: 1-line block ×3, first 2 shown]
	v_add3_u32 v30, v30, v50, 0x7fff
	v_cndmask_b32_e32 v21, v32, v51, vcc_lo
	v_or_b32_e32 v32, 0x400000, v50
	v_bfe_u32 v51, v22, 16, 1
	v_cmp_u_f32_e32 vcc_lo, v50, v50
	v_or_b32_e32 v50, 0x400000, v22
	v_bfe_u32 v53, v23, 16, 1
	v_and_b32_e32 v21, 0xffff0000, v21
	v_and_b32_e32 v29, 0xffff0000, v29
	v_cndmask_b32_e32 v30, v30, v32, vcc_lo
	v_add3_u32 v32, v51, v22, 0x7fff
	v_bfe_u32 v51, v31, 16, 1
	v_cmp_u_f32_e32 vcc_lo, v22, v22
	v_add_f32_e32 v21, v21, v29
	v_and_b32_e32 v30, 0xffff0000, v30
	v_cndmask_b32_e32 v22, v32, v50, vcc_lo
	v_add3_u32 v32, v51, v31, 0x7fff
	v_mul_f32_e32 v50, v19, v52
	v_or_b32_e32 v51, 0x400000, v31
	v_cmp_u_f32_e32 vcc_lo, v31, v31
	v_add3_u32 v52, v53, v23, 0x7fff
	v_or_b32_e32 v53, 0x400000, v23
	v_bfe_u32 v54, v50, 16, 1
	v_and_b32_e32 v22, 0xffff0000, v22
	v_cndmask_b32_e32 v31, v32, v51, vcc_lo
	v_cmp_u_f32_e32 vcc_lo, v23, v23
	v_or_b32_e32 v51, 0x400000, v50
	v_add3_u32 v32, v54, v50, 0x7fff
	v_add_f32_e32 v22, v22, v30
	v_and_b32_e32 v30, 0xffff0000, v13
	v_cndmask_b32_e32 v23, v52, v53, vcc_lo
	v_bfe_u32 v52, v24, 16, 1
	v_cmp_u_f32_e32 vcc_lo, v50, v50
	v_and_b32_e32 v29, 0xffff0000, v31
	v_lshlrev_b32_e32 v13, 16, v13
	v_and_b32_e32 v23, 0xffff0000, v23
	v_add3_u32 v50, v52, v24, 0x7fff
	v_cndmask_b32_e32 v32, v32, v51, vcc_lo
	v_or_b32_e32 v51, 0x400000, v24
	v_cmp_u_f32_e32 vcc_lo, v24, v24
	v_add_f32_e32 v21, v22, v21
	v_mul_f32_e32 v22, v17, v30
	v_add_f32_e32 v23, v23, v29
	v_mul_f32_e32 v29, v18, v13
	v_cndmask_b32_e32 v24, v50, v51, vcc_lo
	v_and_b32_e32 v30, 0xffff0000, v32
	v_bfe_u32 v31, v22, 16, 1
	v_and_b32_e32 v32, 0xffff0000, v14
	v_add_f32_e32 v13, v23, v21
	v_and_b32_e32 v24, 0xffff0000, v24
	v_bfe_u32 v23, v29, 16, 1
	v_lshlrev_b32_e32 v14, 16, v14
	v_cmp_u_f32_e32 vcc_lo, v22, v22
	v_and_b32_e32 v50, 0xffff0000, v16
	v_add_f32_e32 v21, v24, v30
	v_add3_u32 v24, v31, v22, 0x7fff
	v_or_b32_e32 v30, 0x400000, v22
	v_mul_f32_e32 v31, v25, v32
	v_add3_u32 v23, v23, v29, 0x7fff
	v_or_b32_e32 v32, 0x400000, v29
	v_mul_f32_e32 v14, v20, v14
	v_cndmask_b32_e32 v22, v24, v30, vcc_lo
	v_bfe_u32 v24, v31, 16, 1
	v_cmp_u_f32_e32 vcc_lo, v29, v29
	v_and_b32_e32 v29, 0xffff0000, v15
	v_or_b32_e32 v30, 0x400000, v31
	v_lshlrev_b32_e32 v15, 16, v15
	v_add3_u32 v24, v24, v31, 0x7fff
	v_cndmask_b32_e32 v23, v23, v32, vcc_lo
	v_bfe_u32 v32, v14, 16, 1
	v_mul_f32_e32 v29, v26, v29
	v_cmp_u_f32_e32 vcc_lo, v31, v31
	v_mul_f32_e32 v15, v27, v15
	v_or_b32_e32 v31, 0x400000, v14
	v_lshlrev_b32_e32 v16, 16, v16
	v_and_b32_e32 v23, 0xffff0000, v23
	v_cndmask_b32_e32 v24, v24, v30, vcc_lo
	v_add3_u32 v30, v32, v14, 0x7fff
	v_bfe_u32 v32, v29, 16, 1
	v_cmp_u_f32_e32 vcc_lo, v14, v14
	v_bfe_u32 v51, v15, 16, 1
	v_mul_f32_e32 v16, v28, v16
	v_and_b32_e32 v22, 0xffff0000, v22
	v_and_b32_e32 v24, 0xffff0000, v24
	v_cndmask_b32_e32 v14, v30, v31, vcc_lo
	v_add3_u32 v30, v32, v29, 0x7fff
	v_mul_f32_e32 v31, v19, v50
	v_or_b32_e32 v32, 0x400000, v29
	v_cmp_u_f32_e32 vcc_lo, v29, v29
	v_add3_u32 v50, v51, v15, 0x7fff
	v_or_b32_e32 v51, 0x400000, v15
	v_bfe_u32 v52, v31, 16, 1
	v_and_b32_e32 v14, 0xffff0000, v14
	v_cndmask_b32_e32 v29, v30, v32, vcc_lo
	v_cmp_u_f32_e32 vcc_lo, v15, v15
	v_or_b32_e32 v32, 0x400000, v31
	v_add3_u32 v30, v52, v31, 0x7fff
	v_add_f32_e32 v22, v23, v22
	v_add_f32_e32 v14, v14, v24
	v_cndmask_b32_e32 v15, v50, v51, vcc_lo
	v_bfe_u32 v50, v16, 16, 1
	v_cmp_u_f32_e32 vcc_lo, v31, v31
	v_and_b32_e32 v24, 0xffff0000, v5
	v_and_b32_e32 v23, 0xffff0000, v29
	;; [unrolled: 1-line block ×3, first 2 shown]
	v_add3_u32 v31, v50, v16, 0x7fff
	v_cndmask_b32_e32 v30, v30, v32, vcc_lo
	v_or_b32_e32 v32, 0x400000, v16
	v_cmp_u_f32_e32 vcc_lo, v16, v16
	v_lshlrev_b32_e32 v5, 16, v5
	v_add_f32_e32 v14, v14, v22
	v_mul_f32_e32 v22, v17, v24
	v_add_f32_e32 v15, v15, v23
	v_cndmask_b32_e32 v16, v31, v32, vcc_lo
	v_mul_f32_e32 v23, v18, v5
	v_and_b32_e32 v24, 0xffff0000, v30
	v_and_b32_e32 v29, 0xffff0000, v6
	v_bfe_u32 v30, v22, 16, 1
	v_and_b32_e32 v16, 0xffff0000, v16
	v_add_f32_e32 v5, v15, v14
	v_bfe_u32 v15, v23, 16, 1
	v_cmp_u_f32_e32 vcc_lo, v22, v22
	v_lshlrev_b32_e32 v6, 16, v6
	v_add_f32_e32 v14, v16, v24
	v_mul_f32_e32 v16, v25, v29
	v_add3_u32 v24, v30, v22, 0x7fff
	v_or_b32_e32 v29, 0x400000, v22
	v_add3_u32 v15, v15, v23, 0x7fff
	v_or_b32_e32 v30, 0x400000, v23
	v_bfe_u32 v31, v16, 16, 1
	v_mul_f32_e32 v6, v20, v6
	v_cndmask_b32_e32 v22, v24, v29, vcc_lo
	v_cmp_u_f32_e32 vcc_lo, v23, v23
	v_or_b32_e32 v24, 0x400000, v16
	v_add3_u32 v23, v31, v16, 0x7fff
	v_and_b32_e32 v29, 0xffff0000, v7
	v_lshlrev_b32_e32 v7, 16, v7
	v_cndmask_b32_e32 v15, v15, v30, vcc_lo
	v_cmp_u_f32_e32 vcc_lo, v16, v16
	v_bfe_u32 v30, v6, 16, 1
	v_and_b32_e32 v22, 0xffff0000, v22
	v_mul_f32_e32 v7, v27, v7
	v_and_b32_e32 v15, 0xffff0000, v15
	v_cndmask_b32_e32 v16, v23, v24, vcc_lo
	v_mul_f32_e32 v23, v26, v29
	v_add3_u32 v24, v30, v6, 0x7fff
	v_or_b32_e32 v29, 0x400000, v6
	v_and_b32_e32 v30, 0xffff0000, v8
	v_cmp_u_f32_e32 vcc_lo, v6, v6
	v_bfe_u32 v31, v23, 16, 1
	v_bfe_u32 v32, v7, 16, 1
	v_lshlrev_b32_e32 v8, 16, v8
	v_and_b32_e32 v16, 0xffff0000, v16
	v_cndmask_b32_e32 v6, v24, v29, vcc_lo
	v_mul_f32_e32 v24, v19, v30
	v_add3_u32 v29, v31, v23, 0x7fff
	v_or_b32_e32 v30, 0x400000, v23
	v_cmp_u_f32_e32 vcc_lo, v23, v23
	v_add3_u32 v31, v32, v7, 0x7fff
	v_or_b32_e32 v32, 0x400000, v7
	v_bfe_u32 v50, v24, 16, 1
	v_and_b32_e32 v6, 0xffff0000, v6
	v_cndmask_b32_e32 v23, v29, v30, vcc_lo
	v_cmp_u_f32_e32 vcc_lo, v7, v7
	v_or_b32_e32 v30, 0x400000, v24
	v_add3_u32 v29, v50, v24, 0x7fff
	v_mul_f32_e32 v8, v28, v8
	v_add_f32_e32 v15, v15, v22
	v_cndmask_b32_e32 v7, v31, v32, vcc_lo
	v_cmp_u_f32_e32 vcc_lo, v24, v24
	v_add_f32_e32 v6, v6, v16
	v_and_b32_e32 v16, 0xffff0000, v1
	v_and_b32_e32 v22, 0xffff0000, v23
	;; [unrolled: 1-line block ×3, first 2 shown]
	v_cndmask_b32_e32 v24, v29, v30, vcc_lo
	v_bfe_u32 v29, v8, 16, 1
	v_add_f32_e32 v6, v6, v15
	v_mul_f32_e32 v15, v17, v16
	v_add_f32_e32 v7, v7, v22
	v_lshlrev_b32_e32 v1, 16, v1
	v_add3_u32 v23, v29, v8, 0x7fff
	v_or_b32_e32 v29, 0x400000, v8
	v_cmp_u_f32_e32 vcc_lo, v8, v8
	v_bfe_u32 v16, v15, 16, 1
	v_add_f32_e32 v6, v7, v6
	v_and_b32_e32 v7, 0xffff0000, v2
	v_mul_f32_e32 v1, v18, v1
	v_cndmask_b32_e32 v8, v23, v29, vcc_lo
	v_add3_u32 v16, v16, v15, 0x7fff
	v_or_b32_e32 v22, 0x400000, v15
	v_mul_f32_e32 v7, v25, v7
	v_and_b32_e32 v23, 0xffff0000, v24
	v_bfe_u32 v24, v1, 16, 1
	v_cmp_u_f32_e32 vcc_lo, v15, v15
	v_lshlrev_b32_e32 v2, 16, v2
	v_or_b32_e32 v29, 0x400000, v1
	v_or_b32_e32 v30, 0x400000, v7
	v_and_b32_e32 v8, 0xffff0000, v8
	v_cndmask_b32_e32 v15, v16, v22, vcc_lo
	v_bfe_u32 v16, v7, 16, 1
	v_add3_u32 v22, v24, v1, 0x7fff
	v_and_b32_e32 v24, 0xffff0000, v3
	v_mul_f32_e32 v2, v20, v2
	v_cmp_u_f32_e32 vcc_lo, v1, v1
	v_add3_u32 v16, v16, v7, 0x7fff
	v_lshlrev_b32_e32 v3, 16, v3
	v_mul_f32_e32 v24, v26, v24
	v_and_b32_e32 v15, 0xffff0000, v15
	v_cndmask_b32_e32 v1, v22, v29, vcc_lo
	v_bfe_u32 v22, v2, 16, 1
	v_cmp_u_f32_e32 vcc_lo, v7, v7
	v_and_b32_e32 v29, 0xffff0000, v4
	v_mul_f32_e32 v3, v27, v3
	v_or_b32_e32 v31, 0x400000, v24
	v_add3_u32 v22, v22, v2, 0x7fff
	v_cndmask_b32_e32 v7, v16, v30, vcc_lo
	v_bfe_u32 v16, v24, 16, 1
	v_or_b32_e32 v30, 0x400000, v2
	v_cmp_u_f32_e32 vcc_lo, v2, v2
	v_mul_f32_e32 v29, v19, v29
	v_lshlrev_b32_e32 v4, 16, v4
	v_add3_u32 v16, v16, v24, 0x7fff
	v_and_b32_e32 v1, 0xffff0000, v1
	v_cndmask_b32_e32 v2, v22, v30, vcc_lo
	v_bfe_u32 v22, v3, 16, 1
	v_cmp_u_f32_e32 vcc_lo, v24, v24
	v_bfe_u32 v30, v29, 16, 1
	v_or_b32_e32 v24, 0x400000, v3
	v_mul_f32_e32 v4, v28, v4
	v_add3_u32 v22, v22, v3, 0x7fff
	v_cndmask_b32_e32 v16, v16, v31, vcc_lo
	v_cmp_u_f32_e32 vcc_lo, v3, v3
	v_add3_u32 v30, v30, v29, 0x7fff
	v_or_b32_e32 v31, 0x400000, v29
	v_and_b32_e32 v2, 0xffff0000, v2
	v_and_b32_e32 v7, 0xffff0000, v7
	v_cndmask_b32_e32 v3, v22, v24, vcc_lo
	v_cmp_u_f32_e32 vcc_lo, v29, v29
	v_bfe_u32 v24, v4, 16, 1
	v_add_f32_e32 v1, v1, v15
	v_add_f32_e32 v2, v2, v7
	v_and_b32_e32 v3, 0xffff0000, v3
	v_cndmask_b32_e32 v22, v30, v31, vcc_lo
	s_waitcnt vmcnt(0)
	v_and_b32_e32 v30, 0xffff0000, v9
	v_and_b32_e32 v7, 0xffff0000, v16
	v_lshlrev_b32_e32 v9, 16, v9
	v_add3_u32 v24, v24, v4, 0x7fff
	v_or_b32_e32 v29, 0x400000, v4
	v_mul_f32_e32 v15, v17, v30
	v_cmp_u_f32_e32 vcc_lo, v4, v4
	v_add_f32_e32 v1, v2, v1
	v_add_f32_e32 v3, v3, v7
	v_mul_f32_e32 v7, v18, v9
	v_bfe_u32 v2, v15, 16, 1
	v_and_b32_e32 v9, 0xffff0000, v10
	v_cndmask_b32_e32 v4, v24, v29, vcc_lo
	v_or_b32_e32 v16, 0x400000, v15
	v_bfe_u32 v17, v7, 16, 1
	v_add3_u32 v2, v2, v15, 0x7fff
	v_mul_f32_e32 v9, v25, v9
	v_lshlrev_b32_e32 v10, 16, v10
	v_cmp_u_f32_e32 vcc_lo, v15, v15
	v_add3_u32 v15, v17, v7, 0x7fff
	v_and_b32_e32 v18, 0xffff0000, v11
	v_bfe_u32 v17, v9, 16, 1
	v_mul_f32_e32 v10, v20, v10
	v_cndmask_b32_e32 v2, v2, v16, vcc_lo
	v_or_b32_e32 v16, 0x400000, v7
	v_cmp_u_f32_e32 vcc_lo, v7, v7
	v_mul_f32_e32 v18, v26, v18
	v_lshlrev_b32_e32 v11, 16, v11
	v_and_b32_e32 v20, 0xffff0000, v12
	v_lshlrev_b32_e32 v12, 16, v12
	v_cndmask_b32_e32 v7, v15, v16, vcc_lo
	v_add3_u32 v15, v17, v9, 0x7fff
	v_or_b32_e32 v16, 0x400000, v9
	v_bfe_u32 v17, v10, 16, 1
	v_cmp_u_f32_e32 vcc_lo, v9, v9
	v_mul_f32_e32 v11, v27, v11
	v_mul_f32_e32 v12, v28, v12
	v_and_b32_e32 v7, 0xffff0000, v7
	v_and_b32_e32 v2, 0xffff0000, v2
	v_cndmask_b32_e32 v9, v15, v16, vcc_lo
	v_add3_u32 v15, v17, v10, 0x7fff
	v_or_b32_e32 v16, 0x400000, v10
	v_bfe_u32 v17, v18, 16, 1
	v_cmp_u_f32_e32 vcc_lo, v10, v10
	v_bfe_u32 v25, v12, 16, 1
	v_and_b32_e32 v9, 0xffff0000, v9
	v_add_f32_e32 v2, v7, v2
	v_and_b32_e32 v4, 0xffff0000, v4
	v_cndmask_b32_e32 v10, v15, v16, vcc_lo
	v_bfe_u32 v15, v11, 16, 1
	v_add3_u32 v16, v17, v18, 0x7fff
	v_mul_f32_e32 v17, v19, v20
	v_or_b32_e32 v19, 0x400000, v18
	v_cmp_u_f32_e32 vcc_lo, v18, v18
	v_add3_u32 v15, v15, v11, 0x7fff
	v_or_b32_e32 v20, 0x400000, v11
	v_bfe_u32 v24, v17, 16, 1
	v_add3_u32 v18, v25, v12, 0x7fff
	v_cndmask_b32_e32 v16, v16, v19, vcc_lo
	v_cmp_u_f32_e32 vcc_lo, v11, v11
	v_or_b32_e32 v19, 0x400000, v12
	v_and_b32_e32 v10, 0xffff0000, v10
	v_add_f32_e32 v8, v8, v23
	v_add_f32_e32 v1, v3, v1
	v_cndmask_b32_e32 v11, v15, v20, vcc_lo
	v_cmp_u_f32_e32 vcc_lo, v12, v12
	v_add3_u32 v15, v24, v17, 0x7fff
	v_or_b32_e32 v20, 0x400000, v17
	v_add_f32_e32 v7, v10, v9
	v_and_b32_e32 v9, 0xffff0000, v11
	v_cndmask_b32_e32 v12, v18, v19, vcc_lo
	v_cmp_u_f32_e32 vcc_lo, v17, v17
	v_and_b32_e32 v10, 0xffff0000, v16
	v_add_f32_e32 v2, v7, v2
	v_add_f32_e32 v5, v14, v5
	;; [unrolled: 1-line block ×3, first 2 shown]
	v_cndmask_b32_e32 v11, v15, v20, vcc_lo
	v_and_b32_e32 v15, 0xffff0000, v22
	v_add_f32_e32 v7, v9, v10
	v_and_b32_e32 v9, 0xffff0000, v12
	v_add_f32_e32 v41, v41, v5
	;; [unrolled: 2-line block ×3, first 2 shown]
	v_add_f32_e32 v2, v7, v2
	v_add_f32_e32 v7, v21, v13
	;; [unrolled: 1-line block ×9, first 2 shown]
.LBB115_38:                             ;   in Loop: Header=BB115_39 Depth=1
	s_or_b32 exec_lo, exec_lo, s18
	v_add_nc_u32_e32 v49, 4, v49
	v_add_co_u32 v33, s0, v33, 16
	v_add_co_ci_u32_e64 v34, null, 0, v34, s0
	v_cmp_le_i32_e32 vcc_lo, s16, v49
	v_add_nc_u32_e32 v36, 32, v36
	v_add_nc_u32_e32 v45, 0x80, v45
	s_or_b32 s15, vcc_lo, s15
	s_andn2_b32 exec_lo, exec_lo, s15
	s_cbranch_execz .LBB115_52
.LBB115_39:                             ; =>This Inner Loop Header: Depth=1
	v_mul_hi_u32 v1, v36, s21
	v_mul_lo_u32 v2, v1, s12
	v_add_nc_u32_e32 v3, 1, v1
	v_sub_nc_u32_e32 v2, v36, v2
	v_subrev_nc_u32_e32 v4, s12, v2
	v_cmp_le_u32_e32 vcc_lo, s12, v2
	v_cndmask_b32_e32 v1, v1, v3, vcc_lo
	v_cndmask_b32_e32 v2, v2, v4, vcc_lo
	v_add_nc_u32_e32 v3, 1, v1
	v_cmp_le_u32_e32 vcc_lo, s12, v2
	v_cndmask_b32_e32 v1, v1, v3, vcc_lo
	v_xor_b32_e32 v1, s19, v1
	v_subrev_nc_u32_e32 v1, s19, v1
	v_add_nc_u32_e32 v2, s31, v1
	v_cmp_lt_i32_e64 s0, s4, v1
	v_sub_nc_u32_e32 v3, 0, v2
	v_max_i32_e32 v3, v2, v3
	v_ashrrev_i32_e32 v2, 31, v2
	v_mul_hi_u32 v4, v3, v48
	v_mul_lo_u32 v4, v4, s5
	v_sub_nc_u32_e32 v3, v3, v4
	v_subrev_nc_u32_e32 v4, s5, v3
	v_cmp_le_u32_e32 vcc_lo, s5, v3
	v_cndmask_b32_e32 v3, v3, v4, vcc_lo
	v_subrev_nc_u32_e32 v4, s5, v3
	v_cmp_le_u32_e32 vcc_lo, s5, v3
	v_cndmask_b32_e32 v3, v3, v4, vcc_lo
	v_xor_b32_e32 v3, v3, v2
	v_sub_nc_u32_e32 v2, v3, v2
	v_cmp_eq_u32_e32 vcc_lo, 0, v2
	s_or_b32 s0, vcc_lo, s0
	s_and_saveexec_b32 s18, s0
	s_cbranch_execz .LBB115_38
; %bb.40:                               ;   in Loop: Header=BB115_39 Depth=1
	global_load_dword v1, v[33:34], off
	v_cmp_eq_u32_e64 s0, s14, v49
	v_add_nc_u32_e32 v56, 1, v36
	v_or_b32_e32 v54, 3, v36
	v_or_b32_e32 v55, 2, v36
	;; [unrolled: 1-line block ×6, first 2 shown]
	s_waitcnt vmcnt(0)
	v_mad_i64_i32 v[1:2], null, v1, s13, 0
	v_lshlrev_b64 v[1:2], 1, v[1:2]
	v_add_co_u32 v9, vcc_lo, v46, v1
	v_add_co_ci_u32_e64 v10, null, v47, v2, vcc_lo
	global_load_dwordx4 v[1:4], v[9:10], off
	ds_read2_b64 v[25:28], v45 offset1:1
	ds_read2_b64 v[17:20], v45 offset0:2 offset1:3
	s_and_saveexec_b32 s22, s0
	s_cbranch_execnz .LBB115_49
; %bb.41:                               ;   in Loop: Header=BB115_39 Depth=1
	s_or_b32 exec_lo, exec_lo, s22
	global_load_dwordx4 v[5:8], v[9:10], off offset:512
	s_and_saveexec_b32 s22, s0
	s_cbranch_execnz .LBB115_50
.LBB115_42:                             ;   in Loop: Header=BB115_39 Depth=1
	s_or_b32 exec_lo, exec_lo, s22
	global_load_dwordx4 v[13:16], v[9:10], off offset:1024
	s_and_saveexec_b32 s22, s0
	s_cbranch_execnz .LBB115_51
.LBB115_43:                             ;   in Loop: Header=BB115_39 Depth=1
	s_or_b32 exec_lo, exec_lo, s22
	global_load_dwordx4 v[21:24], v[9:10], off offset:1536
	s_and_saveexec_b32 s22, s0
	s_cbranch_execz .LBB115_45
.LBB115_44:                             ;   in Loop: Header=BB115_39 Depth=1
	v_cmp_gt_i32_e64 s1, s30, v36
	v_cmp_gt_i32_e32 vcc_lo, s17, v56
	v_cmp_gt_i32_e64 s2, s30, v55
	s_waitcnt vmcnt(0)
	v_cndmask_b32_e64 v11, 0, v21, s1
	v_cmp_gt_i32_e64 s1, s17, v54
	v_cndmask_b32_sdwa v21, v44, v21, vcc_lo dst_sel:DWORD dst_unused:UNUSED_PAD src0_sel:DWORD src1_sel:WORD_1
	v_cndmask_b32_e64 v12, 0, v22, s2
	v_cmp_gt_i32_e64 s2, s17, v53
	s_mov_b32 vcc_lo, s1
	v_cmp_gt_i32_e64 s1, s17, v51
	v_cndmask_b32_sdwa v22, v44, v22, vcc_lo dst_sel:DWORD dst_unused:UNUSED_PAD src0_sel:DWORD src1_sel:WORD_1
	v_cmp_gt_i32_e32 vcc_lo, s30, v52
	v_perm_b32 v21, v21, v11, 0x5040100
	v_perm_b32 v22, v22, v12, 0x5040100
	v_cndmask_b32_e32 v29, 0, v23, vcc_lo
	s_mov_b32 vcc_lo, s2
	v_cndmask_b32_sdwa v23, v44, v23, vcc_lo dst_sel:DWORD dst_unused:UNUSED_PAD src0_sel:DWORD src1_sel:WORD_1
	v_cmp_gt_i32_e32 vcc_lo, s30, v50
	v_perm_b32 v23, v23, v29, 0x5040100
	v_cndmask_b32_e32 v30, 0, v24, vcc_lo
	s_mov_b32 vcc_lo, s1
	v_cndmask_b32_sdwa v24, v44, v24, vcc_lo dst_sel:DWORD dst_unused:UNUSED_PAD src0_sel:DWORD src1_sel:WORD_1
	v_perm_b32 v24, v24, v30, 0x5040100
.LBB115_45:                             ;   in Loop: Header=BB115_39 Depth=1
	s_or_b32 exec_lo, exec_lo, s22
	v_add_co_u32 v9, vcc_lo, 0x800, v9
	v_add_co_ci_u32_e64 v10, null, 0, v10, vcc_lo
	global_load_dwordx4 v[29:32], v[9:10], off
	s_and_saveexec_b32 s22, s0
	s_cbranch_execz .LBB115_47
; %bb.46:                               ;   in Loop: Header=BB115_39 Depth=1
	v_cmp_gt_i32_e64 s1, s30, v36
	v_cmp_gt_i32_e32 vcc_lo, s17, v56
	v_cmp_gt_i32_e64 s2, s30, v55
	s_waitcnt vmcnt(0)
	v_cndmask_b32_e64 v11, 0, v29, s1
	v_cmp_gt_i32_e64 s1, s17, v54
	v_cndmask_b32_sdwa v29, v44, v29, vcc_lo dst_sel:DWORD dst_unused:UNUSED_PAD src0_sel:DWORD src1_sel:WORD_1
	v_cndmask_b32_e64 v12, 0, v30, s2
	v_cmp_gt_i32_e64 s2, s17, v53
	s_mov_b32 vcc_lo, s1
	v_cmp_gt_i32_e64 s1, s17, v51
	v_cndmask_b32_sdwa v30, v44, v30, vcc_lo dst_sel:DWORD dst_unused:UNUSED_PAD src0_sel:DWORD src1_sel:WORD_1
	v_cmp_gt_i32_e32 vcc_lo, s30, v52
	v_perm_b32 v29, v29, v11, 0x5040100
	v_perm_b32 v30, v30, v12, 0x5040100
	v_cndmask_b32_e32 v57, 0, v31, vcc_lo
	s_mov_b32 vcc_lo, s2
	v_cndmask_b32_sdwa v31, v44, v31, vcc_lo dst_sel:DWORD dst_unused:UNUSED_PAD src0_sel:DWORD src1_sel:WORD_1
	v_cmp_gt_i32_e32 vcc_lo, s30, v50
	v_perm_b32 v31, v31, v57, 0x5040100
	v_cndmask_b32_e32 v58, 0, v32, vcc_lo
	s_mov_b32 vcc_lo, s1
	v_cndmask_b32_sdwa v32, v44, v32, vcc_lo dst_sel:DWORD dst_unused:UNUSED_PAD src0_sel:DWORD src1_sel:WORD_1
	v_perm_b32 v32, v32, v58, 0x5040100
.LBB115_47:                             ;   in Loop: Header=BB115_39 Depth=1
	s_or_b32 exec_lo, exec_lo, s22
	global_load_dwordx4 v[9:12], v[9:10], off offset:512
	s_and_saveexec_b32 s2, s0
	s_cbranch_execz .LBB115_37
; %bb.48:                               ;   in Loop: Header=BB115_39 Depth=1
	v_cmp_gt_i32_e64 s0, s30, v36
	v_cmp_gt_i32_e32 vcc_lo, s17, v56
	v_cmp_gt_i32_e64 s1, s30, v55
	s_waitcnt vmcnt(0)
	v_cndmask_b32_e64 v56, 0, v9, s0
	v_cmp_gt_i32_e64 s0, s17, v54
	v_cndmask_b32_sdwa v9, v44, v9, vcc_lo dst_sel:DWORD dst_unused:UNUSED_PAD src0_sel:DWORD src1_sel:WORD_1
	v_cndmask_b32_e64 v54, 0, v10, s1
	v_cmp_gt_i32_e64 s1, s17, v53
	s_mov_b32 vcc_lo, s0
	v_cmp_gt_i32_e64 s0, s17, v51
	v_cndmask_b32_sdwa v10, v44, v10, vcc_lo dst_sel:DWORD dst_unused:UNUSED_PAD src0_sel:DWORD src1_sel:WORD_1
	v_cmp_gt_i32_e32 vcc_lo, s30, v52
	v_perm_b32 v9, v9, v56, 0x5040100
	v_perm_b32 v10, v10, v54, 0x5040100
	v_cndmask_b32_e32 v52, 0, v11, vcc_lo
	s_mov_b32 vcc_lo, s1
	v_cndmask_b32_sdwa v11, v44, v11, vcc_lo dst_sel:DWORD dst_unused:UNUSED_PAD src0_sel:DWORD src1_sel:WORD_1
	v_cmp_gt_i32_e32 vcc_lo, s30, v50
	v_perm_b32 v11, v11, v52, 0x5040100
	v_cndmask_b32_e32 v50, 0, v12, vcc_lo
	s_mov_b32 vcc_lo, s0
	v_cndmask_b32_sdwa v12, v44, v12, vcc_lo dst_sel:DWORD dst_unused:UNUSED_PAD src0_sel:DWORD src1_sel:WORD_1
	v_perm_b32 v12, v12, v50, 0x5040100
	s_branch .LBB115_37
.LBB115_49:                             ;   in Loop: Header=BB115_39 Depth=1
	v_cmp_gt_i32_e64 s1, s30, v36
	v_cmp_gt_i32_e32 vcc_lo, s17, v56
	v_cmp_gt_i32_e64 s2, s30, v55
	s_waitcnt vmcnt(0)
	v_cndmask_b32_e64 v5, 0, v1, s1
	v_cmp_gt_i32_e64 s1, s17, v54
	v_cndmask_b32_sdwa v1, v44, v1, vcc_lo dst_sel:DWORD dst_unused:UNUSED_PAD src0_sel:DWORD src1_sel:WORD_1
	v_cndmask_b32_e64 v6, 0, v2, s2
	v_cmp_gt_i32_e64 s2, s17, v53
	s_mov_b32 vcc_lo, s1
	v_cmp_gt_i32_e64 s1, s17, v51
	v_cndmask_b32_sdwa v2, v44, v2, vcc_lo dst_sel:DWORD dst_unused:UNUSED_PAD src0_sel:DWORD src1_sel:WORD_1
	v_cmp_gt_i32_e32 vcc_lo, s30, v52
	v_perm_b32 v1, v1, v5, 0x5040100
	v_perm_b32 v2, v2, v6, 0x5040100
	v_cndmask_b32_e32 v7, 0, v3, vcc_lo
	s_mov_b32 vcc_lo, s2
	v_cndmask_b32_sdwa v3, v44, v3, vcc_lo dst_sel:DWORD dst_unused:UNUSED_PAD src0_sel:DWORD src1_sel:WORD_1
	v_cmp_gt_i32_e32 vcc_lo, s30, v50
	v_perm_b32 v3, v3, v7, 0x5040100
	v_cndmask_b32_e32 v8, 0, v4, vcc_lo
	s_mov_b32 vcc_lo, s1
	v_cndmask_b32_sdwa v4, v44, v4, vcc_lo dst_sel:DWORD dst_unused:UNUSED_PAD src0_sel:DWORD src1_sel:WORD_1
	v_perm_b32 v4, v4, v8, 0x5040100
	s_or_b32 exec_lo, exec_lo, s22
	global_load_dwordx4 v[5:8], v[9:10], off offset:512
	s_and_saveexec_b32 s22, s0
	s_cbranch_execz .LBB115_42
.LBB115_50:                             ;   in Loop: Header=BB115_39 Depth=1
	v_cmp_gt_i32_e64 s1, s30, v36
	v_cmp_gt_i32_e32 vcc_lo, s17, v56
	v_cmp_gt_i32_e64 s2, s30, v55
	s_waitcnt vmcnt(0)
	v_cndmask_b32_e64 v11, 0, v5, s1
	v_cmp_gt_i32_e64 s1, s17, v54
	v_cndmask_b32_sdwa v5, v44, v5, vcc_lo dst_sel:DWORD dst_unused:UNUSED_PAD src0_sel:DWORD src1_sel:WORD_1
	v_cndmask_b32_e64 v12, 0, v6, s2
	v_cmp_gt_i32_e64 s2, s17, v53
	s_mov_b32 vcc_lo, s1
	v_cmp_gt_i32_e64 s1, s17, v51
	v_cndmask_b32_sdwa v6, v44, v6, vcc_lo dst_sel:DWORD dst_unused:UNUSED_PAD src0_sel:DWORD src1_sel:WORD_1
	v_cmp_gt_i32_e32 vcc_lo, s30, v52
	v_perm_b32 v5, v5, v11, 0x5040100
	v_perm_b32 v6, v6, v12, 0x5040100
	v_cndmask_b32_e32 v13, 0, v7, vcc_lo
	s_mov_b32 vcc_lo, s2
	v_cndmask_b32_sdwa v7, v44, v7, vcc_lo dst_sel:DWORD dst_unused:UNUSED_PAD src0_sel:DWORD src1_sel:WORD_1
	v_cmp_gt_i32_e32 vcc_lo, s30, v50
	v_perm_b32 v7, v7, v13, 0x5040100
	v_cndmask_b32_e32 v14, 0, v8, vcc_lo
	s_mov_b32 vcc_lo, s1
	v_cndmask_b32_sdwa v8, v44, v8, vcc_lo dst_sel:DWORD dst_unused:UNUSED_PAD src0_sel:DWORD src1_sel:WORD_1
	v_perm_b32 v8, v8, v14, 0x5040100
	s_or_b32 exec_lo, exec_lo, s22
	global_load_dwordx4 v[13:16], v[9:10], off offset:1024
	s_and_saveexec_b32 s22, s0
	s_cbranch_execz .LBB115_43
.LBB115_51:                             ;   in Loop: Header=BB115_39 Depth=1
	v_cmp_gt_i32_e64 s1, s30, v36
	v_cmp_gt_i32_e32 vcc_lo, s17, v56
	v_cmp_gt_i32_e64 s2, s30, v55
	s_waitcnt vmcnt(0)
	v_cndmask_b32_e64 v11, 0, v13, s1
	v_cmp_gt_i32_e64 s1, s17, v54
	v_cndmask_b32_sdwa v13, v44, v13, vcc_lo dst_sel:DWORD dst_unused:UNUSED_PAD src0_sel:DWORD src1_sel:WORD_1
	v_cndmask_b32_e64 v12, 0, v14, s2
	v_cmp_gt_i32_e64 s2, s17, v53
	s_mov_b32 vcc_lo, s1
	v_cmp_gt_i32_e64 s1, s17, v51
	v_cndmask_b32_sdwa v14, v44, v14, vcc_lo dst_sel:DWORD dst_unused:UNUSED_PAD src0_sel:DWORD src1_sel:WORD_1
	v_cmp_gt_i32_e32 vcc_lo, s30, v52
	v_perm_b32 v13, v13, v11, 0x5040100
	v_perm_b32 v14, v14, v12, 0x5040100
	v_cndmask_b32_e32 v21, 0, v15, vcc_lo
	s_mov_b32 vcc_lo, s2
	v_cndmask_b32_sdwa v15, v44, v15, vcc_lo dst_sel:DWORD dst_unused:UNUSED_PAD src0_sel:DWORD src1_sel:WORD_1
	v_cmp_gt_i32_e32 vcc_lo, s30, v50
	v_perm_b32 v15, v15, v21, 0x5040100
	v_cndmask_b32_e32 v22, 0, v16, vcc_lo
	s_mov_b32 vcc_lo, s1
	v_cndmask_b32_sdwa v16, v44, v16, vcc_lo dst_sel:DWORD dst_unused:UNUSED_PAD src0_sel:DWORD src1_sel:WORD_1
	v_perm_b32 v16, v16, v22, 0x5040100
	s_or_b32 exec_lo, exec_lo, s22
	global_load_dwordx4 v[21:24], v[9:10], off offset:1536
	s_and_saveexec_b32 s22, s0
	s_cbranch_execnz .LBB115_44
	s_branch .LBB115_45
.LBB115_52:
	s_or_b32 exec_lo, exec_lo, s15
.LBB115_53:
	s_or_b32 exec_lo, exec_lo, s3
	v_lshl_add_u32 v2, v37, 2, 0x1a0
	v_and_b32_e32 v3, 0x3c0, v0
	s_mov_b32 s0, exec_lo
	s_barrier
	v_mad_u32_u24 v1, 0x300, v35, v2
	buffer_gl0_inv
	v_cmpx_eq_u32_e32 64, v3
	s_cbranch_execz .LBB115_55
; %bb.54:
	v_add_nc_u32_e32 v3, 0xfffffa00, v1
	v_add_nc_u32_e32 v4, 0xfffffa80, v1
	;; [unrolled: 1-line block ×5, first 2 shown]
	ds_write_b32 v3, v43
	v_add_nc_u32_e32 v3, 0xfffffc80, v1
	ds_write_b32 v4, v42
	ds_write_b32 v5, v41
	;; [unrolled: 1-line block ×5, first 2 shown]
.LBB115_55:
	s_or_b32 exec_lo, exec_lo, s0
	s_mov_b32 s0, exec_lo
	s_waitcnt lgkmcnt(0)
	s_barrier
	buffer_gl0_inv
	v_cmpx_gt_u32_e32 64, v0
	s_cbranch_execz .LBB115_57
; %bb.56:
	ds_read2_b32 v[3:4], v1 offset1:32
	ds_read2_b32 v[5:6], v1 offset0:64 offset1:96
	ds_read2_b32 v[7:8], v1 offset0:128 offset1:160
	s_waitcnt lgkmcnt(2)
	v_add_f32_e32 v43, v43, v3
	v_add_f32_e32 v42, v42, v4
	s_waitcnt lgkmcnt(1)
	v_add_f32_e32 v41, v41, v5
	v_add_f32_e32 v40, v40, v6
	;; [unrolled: 3-line block ×3, first 2 shown]
.LBB115_57:
	s_or_b32 exec_lo, exec_lo, s0
	v_and_b32_e32 v3, 0x3e0, v0
	s_mov_b32 s0, exec_lo
	s_barrier
	buffer_gl0_inv
	v_cmpx_eq_u32_e32 32, v3
	s_cbranch_execz .LBB115_59
; %bb.58:
	ds_write2_b32 v2, v43, v42 offset1:32
	ds_write2_b32 v2, v41, v40 offset0:64 offset1:96
	ds_write2_b32 v2, v39, v38 offset0:128 offset1:160
.LBB115_59:
	s_or_b32 exec_lo, exec_lo, s0
	v_cmp_gt_u32_e32 vcc_lo, 32, v0
	s_waitcnt lgkmcnt(0)
	s_barrier
	buffer_gl0_inv
	s_and_saveexec_b32 s0, vcc_lo
	s_cbranch_execz .LBB115_61
; %bb.60:
	ds_read2_b32 v[2:3], v1 offset1:32
	ds_read2_b32 v[4:5], v1 offset0:64 offset1:96
	ds_read2_b32 v[6:7], v1 offset0:128 offset1:160
	s_waitcnt lgkmcnt(2)
	v_add_f32_e32 v43, v43, v2
	v_add_f32_e32 v42, v42, v3
	s_waitcnt lgkmcnt(1)
	v_add_f32_e32 v41, v41, v4
	v_add_f32_e32 v40, v40, v5
	;; [unrolled: 3-line block ×3, first 2 shown]
.LBB115_61:
	s_or_b32 exec_lo, exec_lo, s0
	s_barrier
	buffer_gl0_inv
	s_and_saveexec_b32 s0, vcc_lo
	s_cbranch_execz .LBB115_63
; %bb.62:
	s_mul_i32 s0, s10, s11
	v_bfe_u32 v1, v43, 16, 1
	s_mul_i32 s0, s0, s9
	s_mul_i32 s2, s11, s20
	s_mulk_i32 s0, 0xc0
	v_or_b32_e32 v2, 0x400000, v43
	s_ashr_i32 s1, s0, 31
	v_add3_u32 v1, v1, v43, 0x7fff
	s_lshl_b64 s[0:1], s[0:1], 1
	v_bfe_u32 v3, v42, 16, 1
	s_add_u32 s5, s6, s0
	s_addc_u32 s6, s7, s1
	s_ashr_i32 s3, s2, 31
	v_cmp_u_f32_e32 vcc_lo, v43, v43
	s_lshl_b64 s[0:1], s[2:3], 1
	s_mul_i32 s4, s8, 0xc0
	s_add_u32 s2, s5, s0
	s_addc_u32 s3, s6, s1
	s_ashr_i32 s5, s4, 31
	v_lshlrev_b32_e32 v0, 1, v0
	s_lshl_b64 s[0:1], s[4:5], 1
	v_cndmask_b32_e32 v1, v1, v2, vcc_lo
	v_bfe_u32 v2, v41, 16, 1
	v_add3_u32 v3, v3, v42, 0x7fff
	v_or_b32_e32 v4, 0x400000, v42
	v_cmp_u_f32_e32 vcc_lo, v42, v42
	s_add_u32 s0, s2, s0
	s_addc_u32 s1, s3, s1
	v_bfe_u32 v5, v39, 16, 1
	global_store_short_d16_hi v0, v1, s[0:1]
	v_add3_u32 v1, v2, v41, 0x7fff
	v_or_b32_e32 v2, 0x400000, v41
	v_cndmask_b32_e32 v3, v3, v4, vcc_lo
	v_bfe_u32 v4, v40, 16, 1
	v_cmp_u_f32_e32 vcc_lo, v41, v41
	v_or_b32_e32 v6, 0x400000, v40
	v_add3_u32 v5, v5, v39, 0x7fff
	v_or_b32_e32 v7, 0x400000, v39
	v_add3_u32 v4, v4, v40, 0x7fff
	v_cndmask_b32_e32 v1, v1, v2, vcc_lo
	v_cmp_u_f32_e32 vcc_lo, v40, v40
	v_bfe_u32 v2, v38, 16, 1
	v_or_b32_e32 v8, 0x400000, v38
	v_cndmask_b32_e32 v4, v4, v6, vcc_lo
	v_cmp_u_f32_e32 vcc_lo, v39, v39
	v_add3_u32 v2, v2, v38, 0x7fff
	v_cndmask_b32_e32 v5, v5, v7, vcc_lo
	v_cmp_u_f32_e32 vcc_lo, v38, v38
	v_cndmask_b32_e32 v2, v2, v8, vcc_lo
	global_store_short_d16_hi v0, v3, s[0:1] offset:64
	global_store_short_d16_hi v0, v1, s[0:1] offset:128
	;; [unrolled: 1-line block ×5, first 2 shown]
.LBB115_63:
	s_endpgm
	.section	.rodata,"a",@progbits
	.p2align	6, 0x0
	.amdhsa_kernel _ZN4vllm25paged_attention_v1_kernelI14__hip_bfloat16S1_Li192ELi8ELi128ELNS_18Fp8KVCacheDataTypeE0ELb1EEEvPT_PKS3_PKT0_S9_ifPKiSB_iPKfiiiSD_SD_iiiii
		.amdhsa_group_segment_fixed_size 416
		.amdhsa_private_segment_fixed_size 0
		.amdhsa_kernarg_size 384
		.amdhsa_user_sgpr_count 6
		.amdhsa_user_sgpr_private_segment_buffer 1
		.amdhsa_user_sgpr_dispatch_ptr 0
		.amdhsa_user_sgpr_queue_ptr 0
		.amdhsa_user_sgpr_kernarg_segment_ptr 1
		.amdhsa_user_sgpr_dispatch_id 0
		.amdhsa_user_sgpr_flat_scratch_init 0
		.amdhsa_user_sgpr_private_segment_size 0
		.amdhsa_wavefront_size32 1
		.amdhsa_uses_dynamic_stack 0
		.amdhsa_system_sgpr_private_segment_wavefront_offset 0
		.amdhsa_system_sgpr_workgroup_id_x 1
		.amdhsa_system_sgpr_workgroup_id_y 1
		.amdhsa_system_sgpr_workgroup_id_z 1
		.amdhsa_system_sgpr_workgroup_info 0
		.amdhsa_system_vgpr_workitem_id 0
		.amdhsa_next_free_vgpr 84
		.amdhsa_next_free_sgpr 38
		.amdhsa_reserve_vcc 1
		.amdhsa_reserve_flat_scratch 0
		.amdhsa_float_round_mode_32 0
		.amdhsa_float_round_mode_16_64 0
		.amdhsa_float_denorm_mode_32 3
		.amdhsa_float_denorm_mode_16_64 3
		.amdhsa_dx10_clamp 1
		.amdhsa_ieee_mode 1
		.amdhsa_fp16_overflow 0
		.amdhsa_workgroup_processor_mode 1
		.amdhsa_memory_ordered 1
		.amdhsa_forward_progress 1
		.amdhsa_shared_vgpr_count 0
		.amdhsa_exception_fp_ieee_invalid_op 0
		.amdhsa_exception_fp_denorm_src 0
		.amdhsa_exception_fp_ieee_div_zero 0
		.amdhsa_exception_fp_ieee_overflow 0
		.amdhsa_exception_fp_ieee_underflow 0
		.amdhsa_exception_fp_ieee_inexact 0
		.amdhsa_exception_int_div_zero 0
	.end_amdhsa_kernel
	.section	.text._ZN4vllm25paged_attention_v1_kernelI14__hip_bfloat16S1_Li192ELi8ELi128ELNS_18Fp8KVCacheDataTypeE0ELb1EEEvPT_PKS3_PKT0_S9_ifPKiSB_iPKfiiiSD_SD_iiiii,"axG",@progbits,_ZN4vllm25paged_attention_v1_kernelI14__hip_bfloat16S1_Li192ELi8ELi128ELNS_18Fp8KVCacheDataTypeE0ELb1EEEvPT_PKS3_PKT0_S9_ifPKiSB_iPKfiiiSD_SD_iiiii,comdat
.Lfunc_end115:
	.size	_ZN4vllm25paged_attention_v1_kernelI14__hip_bfloat16S1_Li192ELi8ELi128ELNS_18Fp8KVCacheDataTypeE0ELb1EEEvPT_PKS3_PKT0_S9_ifPKiSB_iPKfiiiSD_SD_iiiii, .Lfunc_end115-_ZN4vllm25paged_attention_v1_kernelI14__hip_bfloat16S1_Li192ELi8ELi128ELNS_18Fp8KVCacheDataTypeE0ELb1EEEvPT_PKS3_PKT0_S9_ifPKiSB_iPKfiiiSD_SD_iiiii
                                        ; -- End function
	.set _ZN4vllm25paged_attention_v1_kernelI14__hip_bfloat16S1_Li192ELi8ELi128ELNS_18Fp8KVCacheDataTypeE0ELb1EEEvPT_PKS3_PKT0_S9_ifPKiSB_iPKfiiiSD_SD_iiiii.num_vgpr, 84
	.set _ZN4vllm25paged_attention_v1_kernelI14__hip_bfloat16S1_Li192ELi8ELi128ELNS_18Fp8KVCacheDataTypeE0ELb1EEEvPT_PKS3_PKT0_S9_ifPKiSB_iPKfiiiSD_SD_iiiii.num_agpr, 0
	.set _ZN4vllm25paged_attention_v1_kernelI14__hip_bfloat16S1_Li192ELi8ELi128ELNS_18Fp8KVCacheDataTypeE0ELb1EEEvPT_PKS3_PKT0_S9_ifPKiSB_iPKfiiiSD_SD_iiiii.numbered_sgpr, 38
	.set _ZN4vllm25paged_attention_v1_kernelI14__hip_bfloat16S1_Li192ELi8ELi128ELNS_18Fp8KVCacheDataTypeE0ELb1EEEvPT_PKS3_PKT0_S9_ifPKiSB_iPKfiiiSD_SD_iiiii.num_named_barrier, 0
	.set _ZN4vllm25paged_attention_v1_kernelI14__hip_bfloat16S1_Li192ELi8ELi128ELNS_18Fp8KVCacheDataTypeE0ELb1EEEvPT_PKS3_PKT0_S9_ifPKiSB_iPKfiiiSD_SD_iiiii.private_seg_size, 0
	.set _ZN4vllm25paged_attention_v1_kernelI14__hip_bfloat16S1_Li192ELi8ELi128ELNS_18Fp8KVCacheDataTypeE0ELb1EEEvPT_PKS3_PKT0_S9_ifPKiSB_iPKfiiiSD_SD_iiiii.uses_vcc, 1
	.set _ZN4vllm25paged_attention_v1_kernelI14__hip_bfloat16S1_Li192ELi8ELi128ELNS_18Fp8KVCacheDataTypeE0ELb1EEEvPT_PKS3_PKT0_S9_ifPKiSB_iPKfiiiSD_SD_iiiii.uses_flat_scratch, 0
	.set _ZN4vllm25paged_attention_v1_kernelI14__hip_bfloat16S1_Li192ELi8ELi128ELNS_18Fp8KVCacheDataTypeE0ELb1EEEvPT_PKS3_PKT0_S9_ifPKiSB_iPKfiiiSD_SD_iiiii.has_dyn_sized_stack, 0
	.set _ZN4vllm25paged_attention_v1_kernelI14__hip_bfloat16S1_Li192ELi8ELi128ELNS_18Fp8KVCacheDataTypeE0ELb1EEEvPT_PKS3_PKT0_S9_ifPKiSB_iPKfiiiSD_SD_iiiii.has_recursion, 0
	.set _ZN4vllm25paged_attention_v1_kernelI14__hip_bfloat16S1_Li192ELi8ELi128ELNS_18Fp8KVCacheDataTypeE0ELb1EEEvPT_PKS3_PKT0_S9_ifPKiSB_iPKfiiiSD_SD_iiiii.has_indirect_call, 0
	.section	.AMDGPU.csdata,"",@progbits
; Kernel info:
; codeLenInByte = 9188
; TotalNumSgprs: 40
; NumVgprs: 84
; ScratchSize: 0
; MemoryBound: 0
; FloatMode: 240
; IeeeMode: 1
; LDSByteSize: 416 bytes/workgroup (compile time only)
; SGPRBlocks: 0
; VGPRBlocks: 10
; NumSGPRsForWavesPerEU: 40
; NumVGPRsForWavesPerEU: 84
; Occupancy: 10
; WaveLimiterHint : 1
; COMPUTE_PGM_RSRC2:SCRATCH_EN: 0
; COMPUTE_PGM_RSRC2:USER_SGPR: 6
; COMPUTE_PGM_RSRC2:TRAP_HANDLER: 0
; COMPUTE_PGM_RSRC2:TGID_X_EN: 1
; COMPUTE_PGM_RSRC2:TGID_Y_EN: 1
; COMPUTE_PGM_RSRC2:TGID_Z_EN: 1
; COMPUTE_PGM_RSRC2:TIDIG_COMP_CNT: 0
	.section	.text._ZN4vllm25paged_attention_v1_kernelI14__hip_bfloat16S1_Li256ELi8ELi128ELNS_18Fp8KVCacheDataTypeE0ELb1EEEvPT_PKS3_PKT0_S9_ifPKiSB_iPKfiiiSD_SD_iiiii,"axG",@progbits,_ZN4vllm25paged_attention_v1_kernelI14__hip_bfloat16S1_Li256ELi8ELi128ELNS_18Fp8KVCacheDataTypeE0ELb1EEEvPT_PKS3_PKT0_S9_ifPKiSB_iPKfiiiSD_SD_iiiii,comdat
	.protected	_ZN4vllm25paged_attention_v1_kernelI14__hip_bfloat16S1_Li256ELi8ELi128ELNS_18Fp8KVCacheDataTypeE0ELb1EEEvPT_PKS3_PKT0_S9_ifPKiSB_iPKfiiiSD_SD_iiiii ; -- Begin function _ZN4vllm25paged_attention_v1_kernelI14__hip_bfloat16S1_Li256ELi8ELi128ELNS_18Fp8KVCacheDataTypeE0ELb1EEEvPT_PKS3_PKT0_S9_ifPKiSB_iPKfiiiSD_SD_iiiii
	.globl	_ZN4vllm25paged_attention_v1_kernelI14__hip_bfloat16S1_Li256ELi8ELi128ELNS_18Fp8KVCacheDataTypeE0ELb1EEEvPT_PKS3_PKT0_S9_ifPKiSB_iPKfiiiSD_SD_iiiii
	.p2align	8
	.type	_ZN4vllm25paged_attention_v1_kernelI14__hip_bfloat16S1_Li256ELi8ELi128ELNS_18Fp8KVCacheDataTypeE0ELb1EEEvPT_PKS3_PKT0_S9_ifPKiSB_iPKfiiiSD_SD_iiiii,@function
_ZN4vllm25paged_attention_v1_kernelI14__hip_bfloat16S1_Li256ELi8ELi128ELNS_18Fp8KVCacheDataTypeE0ELb1EEEvPT_PKS3_PKT0_S9_ifPKiSB_iPKfiiiSD_SD_iiiii: ; @_ZN4vllm25paged_attention_v1_kernelI14__hip_bfloat16S1_Li256ELi8ELi128ELNS_18Fp8KVCacheDataTypeE0ELb1EEEvPT_PKS3_PKT0_S9_ifPKiSB_iPKfiiiSD_SD_iiiii
; %bb.0:
	s_clause 0x2
	s_load_dword s9, s[4:5], 0x80
	s_load_dwordx2 s[0:1], s[4:5], 0x30
	s_load_dwordx2 s[28:29], s[4:5], 0x20
	s_mov_b32 s10, s7
	s_ashr_i32 s11, s7, 31
	s_mov_b32 s33, 0
	s_lshl_b64 s[2:3], s[10:11], 2
	s_waitcnt lgkmcnt(0)
	s_add_u32 s0, s0, s2
	s_addc_u32 s1, s1, s3
	s_abs_i32 s2, s28
	s_abs_i32 s11, s9
	v_cvt_f32_u32_e32 v1, s2
	s_sub_i32 s7, 0, s2
	v_rcp_iflag_f32_e32 v1, v1
	v_mul_f32_e32 v1, 0x4f7ffffe, v1
	v_cvt_u32_f32_e32 v1, v1
	v_readfirstlane_b32 s3, v1
	s_mul_i32 s7, s7, s3
	s_mul_hi_u32 s7, s3, s7
	s_add_i32 s3, s3, s7
	s_xor_b32 s7, s9, s28
	s_mul_hi_u32 s3, s11, s3
	s_ashr_i32 s7, s7, 31
	s_mul_i32 s12, s3, s2
	s_sub_i32 s11, s11, s12
	s_add_i32 s12, s3, 1
	s_sub_i32 s13, s11, s2
	s_cmp_ge_u32 s11, s2
	s_cselect_b32 s3, s12, s3
	s_cselect_b32 s11, s13, s11
	s_add_i32 s12, s3, 1
	s_cmp_ge_u32 s11, s2
	s_cselect_b32 s2, s12, s3
	s_abs_i32 s22, s6
	s_xor_b32 s2, s2, s7
	s_sub_i32 s16, s2, s7
	s_load_dwordx2 s[2:3], s[4:5], 0x40
	s_abs_i32 s11, s16
	v_cvt_f32_u32_e32 v1, s11
	s_sub_i32 s12, 0, s11
	v_rcp_iflag_f32_e32 v1, v1
	v_mul_f32_e32 v1, 0x4f7ffffe, v1
	v_cvt_u32_f32_e32 v1, v1
	v_readfirstlane_b32 s7, v1
	s_mul_i32 s12, s12, s7
	s_mul_hi_u32 s12, s7, s12
	s_add_i32 s7, s7, s12
	s_waitcnt lgkmcnt(0)
	s_cmp_eq_u64 s[2:3], 0
	s_mul_hi_u32 s23, s22, s7
	s_cbranch_scc1 .LBB116_2
; %bb.1:
	s_ashr_i32 s7, s6, 31
	s_lshl_b64 s[12:13], s[6:7], 2
	s_add_u32 s2, s2, s12
	s_addc_u32 s3, s3, s13
	s_load_dword s33, s[2:3], 0x0
.LBB116_2:
	s_load_dword s30, s[0:1], 0x0
	s_load_dwordx4 s[12:15], s[4:5], 0x48
	v_and_b32_e32 v1, 3, v0
	v_lshlrev_b32_e32 v2, 2, v0
	s_ashr_i32 s0, s6, 31
	s_ashr_i32 s1, s16, 31
	s_lshl_b32 s20, s6, 8
	s_mov_b32 s2, exec_lo
	v_cmpx_gt_u32_e32 0x80, v0
	s_cbranch_execz .LBB116_4
; %bb.3:
	s_load_dwordx2 s[16:17], s[4:5], 0x8
	s_waitcnt lgkmcnt(0)
	s_mul_i32 s18, s12, s10
	v_and_b32_e32 v4, 0x3fc, v0
	s_ashr_i32 s19, s18, 31
	s_lshl_b64 s[18:19], s[18:19], 1
	v_lshl_add_u32 v4, v1, 7, v4
	s_add_u32 s3, s16, s18
	s_addc_u32 s7, s17, s19
	s_ashr_i32 s21, s20, 31
	s_lshl_b64 s[16:17], s[20:21], 1
	s_add_u32 s16, s3, s16
	s_addc_u32 s17, s7, s17
	global_load_dword v3, v2, s[16:17]
	s_waitcnt vmcnt(0)
	ds_write_b32 v4, v3
.LBB116_4:
	s_or_b32 exec_lo, exec_lo, s2
	s_load_dwordx4 s[16:19], s[4:5], 0x68
	s_mul_i32 s2, s23, s11
	s_xor_b32 s1, s0, s1
	s_sub_i32 s0, s22, s2
	s_add_i32 s2, s23, 1
	s_sub_i32 s3, s0, s11
	s_cmp_ge_u32 s0, s11
	s_waitcnt lgkmcnt(0)
	s_cselect_b32 s2, s2, s23
	s_cselect_b32 s0, s3, s0
	s_add_i32 s3, s2, 1
	s_cmp_ge_u32 s0, s11
	s_load_dword s0, s[4:5], 0x78
	s_cselect_b32 s2, s3, s2
	s_add_i32 s7, s30, -1
	s_xor_b32 s2, s2, s1
	s_abs_i32 s3, s7
	s_sub_i32 s1, s2, s1
	s_mov_b32 s11, -1
	s_barrier
	s_abs_i32 s12, s19
	s_waitcnt lgkmcnt(0)
	buffer_gl0_inv
	v_cvt_f32_u32_e32 v3, s12
	s_sub_i32 s2, 0, s12
                                        ; implicit-def: $sgpr31
	v_rcp_iflag_f32_e32 v3, v3
	v_mul_f32_e32 v3, 0x4f7ffffe, v3
	v_cvt_u32_f32_e32 v3, v3
	v_readfirstlane_b32 s21, v3
	s_mul_i32 s2, s2, s21
	s_mul_hi_u32 s2, s21, s2
	s_add_i32 s21, s21, s2
	s_cmp_lt_i32 s0, 0
	s_mul_hi_u32 s2, s3, s21
	s_cbranch_scc0 .LBB116_6
; %bb.5:
	s_mul_i32 s11, s16, s28
	s_add_i32 s11, s1, s11
	s_mul_i32 s11, s11, s0
	s_sub_i32 s31, 1, s11
	s_mov_b32 s11, 0
.LBB116_6:
	s_load_dwordx2 s[22:23], s[4:5], 0x28
	s_ashr_i32 s7, s7, 31
	s_andn2_b32 vcc_lo, exec_lo, s11
	s_ashr_i32 s19, s19, 31
	s_cbranch_vccnz .LBB116_8
; %bb.7:
	s_mul_i32 s11, s9, s16
	s_add_i32 s6, s11, s6
	s_mul_i32 s0, s6, s0
	s_add_i32 s31, s0, 1
.LBB116_8:
	s_load_dword s0, s[4:5], 0x38
	s_mul_i32 s6, s2, s12
	s_xor_b32 s15, s7, s19
	s_sub_i32 s3, s3, s6
	s_add_i32 s16, s2, 1
	s_clause 0x2
	s_load_dwordx2 s[6:7], s[4:5], 0x0
	s_load_dwordx2 s[26:27], s[4:5], 0x18
	s_load_dword s11, s[4:5], 0x88
	v_lshrrev_b32_e32 v43, 5, v0
	v_mov_b32_e32 v5, 0xff7fffff
	v_lshrrev_b32_e32 v3, 3, v0
	v_mbcnt_lo_u32_b32 v4, -1, 0
	s_mul_i32 s14, s1, s14
	v_lshlrev_b32_e32 v44, 3, v43
	s_waitcnt lgkmcnt(0)
	s_mul_i32 s24, s0, s10
	s_sub_i32 s0, s3, s12
	s_ashr_i32 s25, s24, 31
	s_cmp_ge_u32 s3, s12
	s_cselect_b32 s2, s16, s2
	s_cselect_b32 s0, s0, s3
	s_add_i32 s3, s2, 1
	s_cmp_ge_u32 s0, s12
	s_cselect_b32 s0, s3, s2
	s_add_i32 s2, s30, 7
	s_ashr_i32 s3, s2, 31
	s_lshr_b32 s3, s3, 29
	s_add_i32 s2, s2, s3
	s_ashr_i32 s16, s2, 3
	s_xor_b32 s2, s0, s15
	v_cmp_gt_i32_e64 s0, s16, v43
	s_sub_i32 s28, s2, s15
	s_and_saveexec_b32 s34, s0
	s_cbranch_execz .LBB116_20
; %bb.9:
	s_load_dwordx2 s[2:3], s[4:5], 0x10
	s_ashr_i32 s15, s14, 31
	s_sub_i32 s4, s28, s17
	s_lshl_b64 s[36:37], s[14:15], 1
	v_bfe_u32 v6, v0, 2, 3
	v_and_b32_e32 v14, 12, v2
	v_cmp_eq_u32_e32 vcc_lo, 0, v1
	v_lshlrev_b32_e32 v7, 7, v1
	v_and_b32_e32 v1, 0x7c, v3
	v_lshlrev_b32_e32 v2, 2, v6
	v_subrev_nc_u32_e32 v13, s30, v6
	v_lshlrev_b32_e32 v15, 4, v6
	v_cmp_neq_f32_e64 s1, s33, 0
	v_lshlrev_b32_e32 v8, 3, v43
	v_lshl_or_b32 v2, v43, 5, v2
	v_mov_b32_e32 v9, 0xff7fffff
	v_xor_b32_e32 v10, 2, v4
	v_xor_b32_e32 v11, 1, v4
	s_waitcnt lgkmcnt(0)
	s_add_u32 s15, s2, s36
	s_addc_u32 s35, s3, s37
	s_abs_i32 s5, s18
	v_add_co_u32 v15, s15, s15, v15
	v_cvt_f32_u32_e32 v5, s5
	s_sub_i32 s2, 0, s5
	v_add_co_ci_u32_e64 v17, null, s35, 0, s15
	s_mov_b32 s15, 0
	v_rcp_iflag_f32_e32 v5, v5
	s_mov_b32 s35, s13
	v_mul_f32_e32 v12, 0x4f7ffffe, v5
	v_mov_b32_e32 v5, 0xff7fffff
	v_cvt_u32_f32_e32 v16, v12
	v_add_nc_u32_e32 v12, 1, v13
	v_add_nc_u32_e32 v13, 0x220, v2
	v_mul_lo_u32 v2, s2, v16
	s_lshl_b64 s[2:3], s[24:25], 2
	s_add_u32 s2, s22, s2
	s_addc_u32 s3, s23, s3
	v_add_co_u32 v1, s2, s2, v1
	v_mul_hi_u32 v18, v16, v2
	v_add_co_ci_u32_e64 v2, null, s3, 0, s2
	v_add_co_u32 v14, s2, v15, v14
	v_add_co_ci_u32_e64 v15, null, 0, v17, s2
	v_mov_b32_e32 v17, v43
	v_add_nc_u32_e32 v16, v16, v18
	s_branch .LBB116_12
.LBB116_10:                             ;   in Loop: Header=BB116_12 Depth=1
	s_or_b32 exec_lo, exec_lo, s36
.LBB116_11:                             ;   in Loop: Header=BB116_12 Depth=1
	s_or_b32 exec_lo, exec_lo, s3
	v_add_nc_u32_e32 v17, 4, v17
	v_add_co_u32 v1, s3, v1, 16
	v_add_co_ci_u32_e64 v2, null, 0, v2, s3
	v_cmp_le_i32_e64 s2, s16, v17
	v_add_nc_u32_e32 v8, 32, v8
	v_add_nc_u32_e32 v13, 0x80, v13
	s_or_b32 s15, s2, s15
	s_andn2_b32 exec_lo, exec_lo, s15
	s_cbranch_execz .LBB116_19
.LBB116_12:                             ; =>This Inner Loop Header: Depth=1
	v_mul_hi_u32 v18, v8, s21
	s_waitcnt lgkmcnt(0)
	v_mul_lo_u32 v19, v18, s12
	v_add_nc_u32_e32 v20, 1, v18
	v_sub_nc_u32_e32 v19, v8, v19
	v_subrev_nc_u32_e32 v21, s12, v19
	v_cmp_le_u32_e64 s2, s12, v19
	v_cndmask_b32_e64 v18, v18, v20, s2
	v_cndmask_b32_e64 v19, v19, v21, s2
	v_add_nc_u32_e32 v20, 1, v18
	v_cmp_le_u32_e64 s2, s12, v19
	v_cndmask_b32_e64 v18, v18, v20, s2
	v_xor_b32_e32 v18, s19, v18
	v_subrev_nc_u32_e32 v18, s19, v18
	v_add_nc_u32_e32 v19, s31, v18
	v_cmp_ge_i32_e64 s3, s4, v18
	v_sub_nc_u32_e32 v20, 0, v19
	v_max_i32_e32 v20, v19, v20
	v_ashrrev_i32_e32 v19, 31, v19
	v_mul_hi_u32 v21, v20, v16
	v_mul_lo_u32 v21, v21, s5
	v_sub_nc_u32_e32 v20, v20, v21
	v_subrev_nc_u32_e32 v21, s5, v20
	v_cmp_le_u32_e64 s2, s5, v20
	v_cndmask_b32_e64 v20, v20, v21, s2
	v_subrev_nc_u32_e32 v21, s5, v20
	v_cmp_le_u32_e64 s2, s5, v20
	v_cndmask_b32_e64 v20, v20, v21, s2
	v_xor_b32_e32 v20, v20, v19
	v_sub_nc_u32_e32 v19, v20, v19
	v_cmp_ne_u32_e64 s2, 0, v19
	s_and_b32 s2, s2, s3
	s_and_saveexec_b32 s3, s2
	s_xor_b32 s2, exec_lo, s3
	s_cbranch_execz .LBB116_16
; %bb.13:                               ;   in Loop: Header=BB116_12 Depth=1
	s_and_saveexec_b32 s3, vcc_lo
; %bb.14:                               ;   in Loop: Header=BB116_12 Depth=1
	ds_write_b32 v13, v9
; %bb.15:                               ;   in Loop: Header=BB116_12 Depth=1
	s_or_b32 exec_lo, exec_lo, s3
.LBB116_16:                             ;   in Loop: Header=BB116_12 Depth=1
	s_andn2_saveexec_b32 s3, s2
	s_cbranch_execz .LBB116_11
; %bb.17:                               ;   in Loop: Header=BB116_12 Depth=1
	global_load_dword v18, v[1:2], off
	s_waitcnt vmcnt(0)
	v_mad_i64_i32 v[18:19], null, v18, s35, 0
	v_lshlrev_b64 v[18:19], 1, v[18:19]
	v_add_co_u32 v18, s2, v14, v18
	v_add_co_ci_u32_e64 v19, null, v15, v19, s2
	s_clause 0xe
	global_load_dword v27, v[18:19], off offset:128
	global_load_dword v40, v[18:19], off offset:256
	;; [unrolled: 1-line block ×7, first 2 shown]
	global_load_dword v29, v[18:19], off
	global_load_dword v64, v[18:19], off offset:1024
	global_load_dword v65, v[18:19], off offset:1152
	;; [unrolled: 1-line block ×7, first 2 shown]
	v_add_co_u32 v36, s2, 0x800, v18
	v_add_co_ci_u32_e64 v37, null, 0, v19, s2
	s_clause 0x10
	global_load_dword v71, v[18:19], off offset:1920
	global_load_dword v35, v[36:37], off
	global_load_dword v34, v[36:37], off offset:128
	global_load_dword v33, v[36:37], off offset:256
	;; [unrolled: 1-line block ×15, first 2 shown]
	ds_read_b128 v[36:39], v7
	ds_read_b128 v[45:48], v7 offset:16
	ds_read_b128 v[49:52], v7 offset:32
	;; [unrolled: 1-line block ×4, first 2 shown]
	v_cmp_gt_i32_e64 s2, 32, v10
	s_waitcnt lgkmcnt(4)
	v_lshlrev_b32_e32 v73, 16, v37
	v_lshlrev_b32_e32 v74, 16, v38
	;; [unrolled: 1-line block ×3, first 2 shown]
	v_and_b32_e32 v37, 0xffff0000, v37
	v_and_b32_e32 v84, 0xffff0000, v38
	v_and_b32_e32 v85, 0xffff0000, v39
	v_lshlrev_b32_e32 v72, 16, v36
	s_waitcnt lgkmcnt(3)
	v_lshlrev_b32_e32 v78, 16, v47
	v_and_b32_e32 v36, 0xffff0000, v36
	v_and_b32_e32 v86, 0xffff0000, v47
	v_lshlrev_b32_e32 v76, 16, v45
	v_and_b32_e32 v45, 0xffff0000, v45
	v_lshlrev_b32_e32 v77, 16, v46
	v_lshlrev_b32_e32 v79, 16, v48
	v_and_b32_e32 v46, 0xffff0000, v46
	v_and_b32_e32 v87, 0xffff0000, v48
	s_waitcnt lgkmcnt(2)
	v_lshlrev_b32_e32 v80, 16, v49
	v_and_b32_e32 v88, 0xffff0000, v49
	v_lshlrev_b32_e32 v81, 16, v50
	v_and_b32_e32 v89, 0xffff0000, v50
	v_lshlrev_b32_e32 v82, 16, v51
	v_and_b32_e32 v90, 0xffff0000, v51
	v_lshlrev_b32_e32 v83, 16, v52
	v_and_b32_e32 v91, 0xffff0000, v52
	s_waitcnt lgkmcnt(1)
	v_lshlrev_b32_e32 v92, 16, v53
	v_and_b32_e32 v53, 0xffff0000, v53
	v_lshlrev_b32_e32 v93, 16, v54
	v_and_b32_e32 v54, 0xffff0000, v54
	;; [unrolled: 2-line block ×3, first 2 shown]
	s_waitcnt vmcnt(31)
	v_lshlrev_b32_e32 v38, 16, v27
	v_and_b32_e32 v39, 0xffff0000, v27
	s_waitcnt vmcnt(27)
	v_and_b32_e32 v48, 0xffff0000, v61
	v_mul_f32_e32 v27, v73, v38
	v_lshlrev_b32_e32 v73, 16, v55
	s_waitcnt vmcnt(24)
	v_lshlrev_b32_e32 v47, 16, v29
	v_and_b32_e32 v38, 0xffff0000, v29
	v_mul_f32_e32 v29, v37, v39
	v_lshlrev_b32_e32 v37, 16, v40
	v_and_b32_e32 v40, 0xffff0000, v40
	v_fmac_f32_e32 v27, v72, v47
	v_lshlrev_b32_e32 v47, 16, v41
	v_fmac_f32_e32 v29, v36, v38
	v_and_b32_e32 v41, 0xffff0000, v41
	v_and_b32_e32 v55, 0xffff0000, v55
	v_fmac_f32_e32 v27, v74, v37
	ds_read_b128 v[36:39], v7 offset:80
	v_fmac_f32_e32 v29, v84, v40
	s_waitcnt lgkmcnt(1)
	v_lshlrev_b32_e32 v40, 16, v57
	v_and_b32_e32 v57, 0xffff0000, v57
	v_fmac_f32_e32 v27, v75, v47
	v_lshlrev_b32_e32 v47, 16, v42
	v_fmac_f32_e32 v29, v85, v41
	v_and_b32_e32 v42, 0xffff0000, v42
	v_lshlrev_b32_e32 v72, 16, v58
	v_and_b32_e32 v58, 0xffff0000, v58
	v_fmac_f32_e32 v27, v76, v47
	v_lshlrev_b32_e32 v47, 16, v61
	v_fmac_f32_e32 v29, v45, v42
	v_lshlrev_b32_e32 v42, 16, v62
	v_and_b32_e32 v61, 0xffff0000, v62
	v_and_b32_e32 v62, 0xffff0000, v63
	v_fmac_f32_e32 v27, v77, v47
	v_fmac_f32_e32 v29, v46, v48
	ds_read_b128 v[45:48], v7 offset:96
	ds_read_b128 v[49:52], v7 offset:112
	v_lshlrev_b32_e32 v74, 16, v59
	v_and_b32_e32 v59, 0xffff0000, v59
	v_fmac_f32_e32 v27, v78, v42
	v_lshlrev_b32_e32 v42, 16, v63
	v_fmac_f32_e32 v29, v86, v61
	s_waitcnt vmcnt(23)
	v_lshlrev_b32_e32 v63, 16, v64
	v_and_b32_e32 v64, 0xffff0000, v64
	v_lshlrev_b32_e32 v41, 16, v60
	v_fmac_f32_e32 v27, v79, v42
	v_fmac_f32_e32 v29, v87, v62
	s_waitcnt vmcnt(22)
	v_lshlrev_b32_e32 v62, 16, v65
	v_and_b32_e32 v65, 0xffff0000, v65
	v_and_b32_e32 v60, 0xffff0000, v60
	v_fmac_f32_e32 v27, v80, v63
	v_fmac_f32_e32 v29, v88, v64
	s_waitcnt vmcnt(21)
	v_lshlrev_b32_e32 v64, 16, v66
	v_and_b32_e32 v66, 0xffff0000, v66
	s_waitcnt lgkmcnt(2)
	v_lshlrev_b32_e32 v61, 16, v36
	v_fmac_f32_e32 v27, v81, v62
	v_fmac_f32_e32 v29, v89, v65
	s_waitcnt vmcnt(20)
	v_lshlrev_b32_e32 v65, 16, v67
	v_and_b32_e32 v67, 0xffff0000, v67
	v_and_b32_e32 v36, 0xffff0000, v36
	v_fmac_f32_e32 v27, v82, v64
	v_fmac_f32_e32 v29, v90, v66
	s_waitcnt vmcnt(19)
	v_lshlrev_b32_e32 v64, 16, v68
	v_and_b32_e32 v66, 0xffff0000, v68
	v_lshlrev_b32_e32 v42, 16, v37
	v_fmac_f32_e32 v27, v83, v65
	v_fmac_f32_e32 v29, v91, v67
	s_waitcnt vmcnt(18)
	v_lshlrev_b32_e32 v65, 16, v69
	v_and_b32_e32 v67, 0xffff0000, v69
	v_and_b32_e32 v37, 0xffff0000, v37
	v_fmac_f32_e32 v27, v92, v64
	v_fmac_f32_e32 v29, v53, v66
	s_waitcnt vmcnt(17)
	v_lshlrev_b32_e32 v53, 16, v70
	v_and_b32_e32 v64, 0xffff0000, v70
	;; [unrolled: 12-line block ×4, first 2 shown]
	s_waitcnt lgkmcnt(1)
	v_lshlrev_b32_e32 v35, 16, v46
	v_fmac_f32_e32 v27, v72, v54
	v_fmac_f32_e32 v29, v58, v34
	v_and_b32_e32 v34, 0xffff0000, v46
	s_waitcnt vmcnt(12)
	v_lshlrev_b32_e32 v46, 16, v32
	v_and_b32_e32 v32, 0xffff0000, v32
	v_fmac_f32_e32 v27, v74, v40
	v_fmac_f32_e32 v29, v59, v33
	s_waitcnt vmcnt(11)
	v_lshlrev_b32_e32 v40, 16, v31
	v_and_b32_e32 v31, 0xffff0000, v31
	v_lshlrev_b32_e32 v53, 16, v45
	v_fmac_f32_e32 v27, v41, v46
	v_fmac_f32_e32 v29, v60, v32
	s_waitcnt vmcnt(10)
	v_lshlrev_b32_e32 v41, 16, v30
	v_and_b32_e32 v30, 0xffff0000, v30
	v_and_b32_e32 v45, 0xffff0000, v45
	v_fmac_f32_e32 v27, v61, v40
	v_fmac_f32_e32 v29, v36, v31
	s_waitcnt vmcnt(9)
	v_lshlrev_b32_e32 v36, 16, v28
	v_and_b32_e32 v28, 0xffff0000, v28
	v_lshlrev_b32_e32 v33, 16, v47
	v_fmac_f32_e32 v27, v42, v41
	v_fmac_f32_e32 v29, v37, v30
	s_waitcnt vmcnt(8)
	v_lshlrev_b32_e32 v37, 16, v26
	v_and_b32_e32 v26, 0xffff0000, v26
	;; [unrolled: 12-line block ×3, first 2 shown]
	v_and_b32_e32 v30, 0xffff0000, v48
	v_fmac_f32_e32 v27, v53, v36
	v_fmac_f32_e32 v29, v45, v25
	s_waitcnt vmcnt(5)
	v_lshlrev_b32_e32 v36, 16, v23
	v_and_b32_e32 v23, 0xffff0000, v23
	s_waitcnt lgkmcnt(0)
	v_lshlrev_b32_e32 v28, 16, v49
	v_fmac_f32_e32 v27, v37, v35
	v_fmac_f32_e32 v29, v24, v34
	s_waitcnt vmcnt(4)
	v_lshlrev_b32_e32 v34, 16, v22
	v_and_b32_e32 v22, 0xffff0000, v22
	v_and_b32_e32 v26, 0xffff0000, v49
	v_fmac_f32_e32 v27, v36, v33
	v_fmac_f32_e32 v29, v23, v32
	s_waitcnt vmcnt(3)
	v_lshlrev_b32_e32 v32, 16, v21
	v_and_b32_e32 v21, 0xffff0000, v21
	v_lshlrev_b32_e32 v25, 16, v50
	v_fmac_f32_e32 v27, v34, v31
	v_fmac_f32_e32 v29, v22, v30
	v_and_b32_e32 v24, 0xffff0000, v50
	s_waitcnt vmcnt(2)
	v_lshlrev_b32_e32 v30, 16, v20
	v_and_b32_e32 v20, 0xffff0000, v20
	v_fmac_f32_e32 v27, v32, v28
	v_fmac_f32_e32 v29, v21, v26
	v_lshlrev_b32_e32 v23, 16, v51
	v_and_b32_e32 v22, 0xffff0000, v51
	s_waitcnt vmcnt(1)
	v_lshlrev_b32_e32 v26, 16, v19
	v_and_b32_e32 v19, 0xffff0000, v19
	v_fmac_f32_e32 v27, v30, v25
	v_fmac_f32_e32 v29, v20, v24
	v_lshlrev_b32_e32 v21, 16, v52
	v_and_b32_e32 v20, 0xffff0000, v52
	s_waitcnt vmcnt(0)
	v_lshlrev_b32_e32 v24, 16, v18
	v_and_b32_e32 v18, 0xffff0000, v18
	v_fmac_f32_e32 v27, v26, v23
	v_fmac_f32_e32 v29, v19, v22
	v_cndmask_b32_e64 v19, v4, v10, s2
	v_cmp_gt_i32_e64 s2, 32, v11
	v_fmac_f32_e32 v27, v24, v21
	v_fmac_f32_e32 v29, v18, v20
	v_lshlrev_b32_e32 v18, 2, v19
	v_cndmask_b32_e64 v20, v4, v11, s2
	v_add_f32_e32 v19, v27, v29
	v_lshlrev_b32_e32 v20, 2, v20
	ds_bpermute_b32 v18, v18, v19
	s_waitcnt lgkmcnt(0)
	v_add_f32_e32 v18, v19, v18
	ds_bpermute_b32 v19, v20, v18
	s_and_saveexec_b32 s36, vcc_lo
	s_cbranch_execz .LBB116_10
; %bb.18:                               ;   in Loop: Header=BB116_12 Depth=1
	v_add_nc_u32_e32 v20, v12, v8
	s_waitcnt lgkmcnt(0)
	v_add_f32_e32 v18, v18, v19
	v_cvt_f32_i32_e32 v20, v20
	v_mul_f32_e32 v20, s33, v20
	v_cndmask_b32_e64 v19, 0, v20, s1
	v_max_f32_e32 v20, v5, v5
	v_fmac_f32_e32 v19, s29, v18
	v_add_nc_u32_e32 v18, v6, v8
	v_max_f32_e32 v20, v20, v19
	v_cmp_gt_i32_e64 s2, s30, v18
	v_cndmask_b32_e64 v18, 0, v19, s2
	v_cndmask_b32_e64 v5, v5, v20, s2
	ds_write_b32 v13, v18
	s_branch .LBB116_10
.LBB116_19:
	s_or_b32 exec_lo, exec_lo, s15
.LBB116_20:
	s_or_b32 exec_lo, exec_lo, s34
	v_xor_b32_e32 v1, 16, v4
	v_xor_b32_e32 v6, 8, v4
	v_max_f32_e32 v7, v5, v5
	v_and_b32_e32 v49, 31, v0
	v_cmp_gt_i32_e32 vcc_lo, 32, v1
	v_cndmask_b32_e32 v1, v4, v1, vcc_lo
	v_cmp_gt_i32_e32 vcc_lo, 32, v6
	v_lshlrev_b32_e32 v2, 2, v1
	ds_bpermute_b32 v1, v2, v5
	v_cndmask_b32_e32 v5, v4, v6, vcc_lo
	v_lshlrev_b32_e32 v5, 2, v5
	s_waitcnt lgkmcnt(0)
	v_max_f32_e32 v1, v1, v1
	v_max_f32_e32 v1, v7, v1
	v_xor_b32_e32 v7, 4, v4
	ds_bpermute_b32 v6, v5, v1
	v_cmp_gt_i32_e32 vcc_lo, 32, v7
	v_cndmask_b32_e32 v7, v4, v7, vcc_lo
	v_cmp_eq_u32_e32 vcc_lo, 0, v49
	v_lshlrev_b32_e32 v8, 2, v7
	s_waitcnt lgkmcnt(0)
	v_max_f32_e32 v6, v6, v6
	v_max_f32_e32 v1, v1, v6
	v_lshlrev_b32_e32 v6, 2, v43
	ds_bpermute_b32 v7, v8, v1
	s_and_saveexec_b32 s1, vcc_lo
	s_cbranch_execz .LBB116_22
; %bb.21:
	s_waitcnt lgkmcnt(0)
	v_max_f32_e32 v7, v7, v7
	v_max_f32_e32 v1, v1, v1
	;; [unrolled: 1-line block ×3, first 2 shown]
	ds_write_b32 v6, v1 offset:512
.LBB116_22:
	s_or_b32 exec_lo, exec_lo, s1
	v_cmp_gt_u32_e64 s1, 4, v49
	v_mov_b32_e32 v1, 0xff7fffff
	s_waitcnt lgkmcnt(0)
	v_lshlrev_b32_e32 v7, 2, v49
	s_barrier
	buffer_gl0_inv
	s_and_saveexec_b32 s2, s1
; %bb.23:
	ds_read_b32 v1, v7 offset:512
; %bb.24:
	s_or_b32 exec_lo, exec_lo, s2
	v_xor_b32_e32 v9, 2, v4
	v_xor_b32_e32 v11, 1, v4
	v_cmp_gt_i32_e64 s2, 32, v9
	v_cndmask_b32_e64 v9, v4, v9, s2
	v_cmp_gt_i32_e64 s2, 32, v11
	v_lshlrev_b32_e32 v9, 2, v9
	v_cndmask_b32_e64 v4, v4, v11, s2
	s_lshl_b32 s2, s16, 3
	s_min_i32 s4, s2, s30
	s_waitcnt lgkmcnt(0)
	ds_bpermute_b32 v10, v9, v1
	v_max_f32_e32 v1, v1, v1
	v_lshlrev_b32_e32 v4, 2, v4
	v_cmp_gt_i32_e64 s2, s4, v0
	s_waitcnt lgkmcnt(0)
	v_max_f32_e32 v10, v10, v10
	v_max_f32_e32 v1, v1, v10
	ds_bpermute_b32 v10, v4, v1
	s_waitcnt lgkmcnt(0)
	v_max_f32_e32 v10, v10, v10
	v_max_f32_e32 v1, v1, v10
	v_mov_b32_e32 v10, 0
	ds_bpermute_b32 v11, v10, v1
	v_lshl_add_u32 v1, v0, 2, 0x220
	s_and_saveexec_b32 s5, s2
	s_cbranch_execz .LBB116_28
; %bb.25:
	v_lshl_add_u32 v12, v0, 2, 0x220
	v_mov_b32_e32 v10, 0
	v_mov_b32_e32 v13, v0
	s_mov_b32 s15, 0
	.p2align	6
.LBB116_26:                             ; =>This Inner Loop Header: Depth=1
	ds_read_b32 v14, v12
	v_add_nc_u32_e32 v13, 0x80, v13
	v_cmp_le_i32_e64 s3, s4, v13
	s_or_b32 s15, s3, s15
	s_waitcnt lgkmcnt(0)
	v_sub_f32_e32 v14, v14, v11
	v_mul_f32_e32 v14, 0x3fb8aa3b, v14
	v_exp_f32_e32 v14, v14
	ds_write_b32 v12, v14
	v_add_f32_e32 v10, v10, v14
	v_add_nc_u32_e32 v12, 0x200, v12
	s_andn2_b32 exec_lo, exec_lo, s15
	s_cbranch_execnz .LBB116_26
; %bb.27:
	s_or_b32 exec_lo, exec_lo, s15
.LBB116_28:
	s_or_b32 exec_lo, exec_lo, s5
	ds_bpermute_b32 v2, v2, v10
	s_waitcnt lgkmcnt(0)
	v_add_f32_e32 v2, v10, v2
	ds_bpermute_b32 v5, v5, v2
	s_waitcnt lgkmcnt(0)
	v_add_f32_e32 v2, v2, v5
	;; [unrolled: 3-line block ×5, first 2 shown]
	s_and_saveexec_b32 s3, vcc_lo
; %bb.29:
	ds_write_b32 v6, v2 offset:528
; %bb.30:
	s_or_b32 exec_lo, exec_lo, s3
	s_waitcnt lgkmcnt(0)
	s_barrier
	buffer_gl0_inv
	s_and_saveexec_b32 s3, s1
; %bb.31:
	ds_read_b32 v2, v7 offset:528
; %bb.32:
	s_or_b32 exec_lo, exec_lo, s3
	s_waitcnt lgkmcnt(0)
	ds_bpermute_b32 v5, v9, v2
	s_waitcnt lgkmcnt(0)
	v_add_f32_e32 v2, v2, v5
	ds_bpermute_b32 v4, v4, v2
	s_waitcnt lgkmcnt(0)
	v_add_f32_e32 v2, v2, v4
	v_mov_b32_e32 v4, 0
	ds_bpermute_b32 v2, v4, v2
	s_and_saveexec_b32 s1, s2
	s_cbranch_execz .LBB116_35
; %bb.33:
	s_waitcnt lgkmcnt(0)
	v_add_f32_e32 v2, 0x358637bd, v2
	s_mov_b32 s2, 0
	v_div_scale_f32 v4, null, v2, v2, 1.0
	v_div_scale_f32 v7, vcc_lo, 1.0, v2, 1.0
	v_rcp_f32_e32 v5, v4
	v_fma_f32 v6, -v4, v5, 1.0
	v_fmac_f32_e32 v5, v6, v5
	v_mul_f32_e32 v6, v7, v5
	v_fma_f32 v8, -v4, v6, v7
	v_fmac_f32_e32 v6, v8, v5
	v_fma_f32 v4, -v4, v6, v7
	v_div_fmas_f32 v4, v4, v5, v6
	v_div_fixup_f32 v2, v4, v2, 1.0
	v_mov_b32_e32 v4, v0
.LBB116_34:                             ; =>This Inner Loop Header: Depth=1
	ds_read_b32 v5, v1
	v_add_nc_u32_e32 v4, 0x80, v4
	v_cmp_le_i32_e32 vcc_lo, s4, v4
	s_or_b32 s2, vcc_lo, s2
	s_waitcnt lgkmcnt(0)
	v_mul_f32_e32 v5, v2, v5
	ds_write_b32 v1, v5
	v_add_nc_u32_e32 v1, 0x200, v1
	s_andn2_b32 exec_lo, exec_lo, s2
	s_cbranch_execnz .LBB116_34
.LBB116_35:
	s_or_b32 exec_lo, exec_lo, s1
	v_mov_b32_e32 v53, 0
	v_mov_b32_e32 v52, 0
	;; [unrolled: 1-line block ×8, first 2 shown]
	s_waitcnt lgkmcnt(0)
	s_barrier
	buffer_gl0_inv
	s_and_saveexec_b32 s3, s0
	s_cbranch_execz .LBB116_57
; %bb.36:
	s_ashr_i32 s15, s14, 31
	s_sub_i32 s4, s28, s17
	s_lshl_b64 s[0:1], s[14:15], 1
	v_lshlrev_b32_e32 v2, 4, v49
	s_add_u32 s2, s26, s0
	s_addc_u32 s15, s27, s1
	s_abs_i32 s5, s18
	v_and_b32_e32 v3, 0x7c, v3
	v_cvt_f32_u32_e32 v1, s5
	s_sub_i32 s0, 0, s5
	s_add_i32 s14, s16, -1
	v_add_co_u32 v56, s2, s2, v2
	v_rcp_iflag_f32_e32 v1, v1
	v_mov_b32_e32 v54, 0
	v_lshl_add_u32 v55, v43, 5, 0x220
	v_mov_b32_e32 v45, 0
	v_mov_b32_e32 v46, 0
	;; [unrolled: 1-line block ×7, first 2 shown]
	v_mul_f32_e32 v1, 0x4f7ffffe, v1
	v_mov_b32_e32 v53, 0
	v_add_co_ci_u32_e64 v57, null, s15, 0, s2
	v_mov_b32_e32 v59, v43
	v_cvt_u32_f32_e32 v1, v1
	s_mov_b32 s17, s30
	s_mov_b32 s15, 0
	v_mul_lo_u32 v4, s0, v1
	s_lshl_b64 s[0:1], s[24:25], 2
	s_add_u32 s0, s22, s0
	s_addc_u32 s1, s23, s1
	v_add_co_u32 v41, s0, s0, v3
	v_add_co_ci_u32_e64 v42, null, s1, 0, s0
	v_mul_hi_u32 v4, v1, v4
	v_add_nc_u32_e32 v58, v1, v4
	s_branch .LBB116_39
.LBB116_37:                             ;   in Loop: Header=BB116_39 Depth=1
	s_or_b32 exec_lo, exec_lo, s2
	s_waitcnt lgkmcnt(1)
	v_bfe_u32 v60, v29, 16, 1
	v_or_b32_e32 v61, 0x400000, v29
	v_bfe_u32 v62, v30, 16, 1
	v_cmp_u_f32_e32 vcc_lo, v29, v29
	v_bfe_u32 v63, v31, 16, 1
	v_add3_u32 v60, v60, v29, 0x7fff
	v_or_b32_e32 v64, 0x400000, v30
	v_add3_u32 v62, v62, v30, 0x7fff
	v_or_b32_e32 v65, 0x400000, v31
	v_add3_u32 v63, v63, v31, 0x7fff
	v_cndmask_b32_e32 v29, v60, v61, vcc_lo
	v_cmp_u_f32_e32 vcc_lo, v30, v30
	v_bfe_u32 v60, v32, 16, 1
	s_waitcnt lgkmcnt(0)
	v_bfe_u32 v61, v25, 16, 1
	v_cndmask_b32_e32 v30, v62, v64, vcc_lo
	v_cmp_u_f32_e32 vcc_lo, v31, v31
	v_add3_u32 v60, v60, v32, 0x7fff
	v_or_b32_e32 v62, 0x400000, v32
	v_add3_u32 v61, v61, v25, 0x7fff
	v_bfe_u32 v64, v26, 16, 1
	v_cndmask_b32_e32 v31, v63, v65, vcc_lo
	v_cmp_u_f32_e32 vcc_lo, v32, v32
	v_or_b32_e32 v63, 0x400000, v25
	v_cndmask_b32_e32 v32, v60, v62, vcc_lo
	v_cmp_u_f32_e32 vcc_lo, v25, v25
	v_or_b32_e32 v62, 0x400000, v26
	v_and_b32_e32 v25, 0xffff0000, v30
	s_waitcnt vmcnt(1)
	v_and_b32_e32 v30, 0xffff0000, v37
	v_cndmask_b32_e32 v60, v61, v63, vcc_lo
	v_add3_u32 v61, v64, v26, 0x7fff
	v_bfe_u32 v63, v27, 16, 1
	v_cmp_u_f32_e32 vcc_lo, v26, v26
	v_bfe_u32 v64, v28, 16, 1
	v_mul_f32_e32 v30, v25, v30
	v_and_b32_e32 v26, 0xffff0000, v29
	v_lshlrev_b32_e32 v29, 16, v37
	v_cndmask_b32_e32 v61, v61, v62, vcc_lo
	v_add3_u32 v62, v63, v27, 0x7fff
	v_or_b32_e32 v63, 0x400000, v27
	v_cmp_u_f32_e32 vcc_lo, v27, v27
	v_add3_u32 v27, v64, v28, 0x7fff
	v_mul_f32_e32 v64, v26, v29
	v_and_b32_e32 v29, 0xffff0000, v32
	v_and_b32_e32 v32, 0xffff0000, v38
	v_cndmask_b32_e32 v37, v62, v63, vcc_lo
	v_or_b32_e32 v62, 0x400000, v28
	v_bfe_u32 v63, v30, 16, 1
	v_cmp_u_f32_e32 vcc_lo, v28, v28
	v_bfe_u32 v65, v64, 16, 1
	v_mul_f32_e32 v32, v29, v32
	v_and_b32_e32 v28, 0xffff0000, v31
	v_lshlrev_b32_e32 v31, 16, v38
	v_cndmask_b32_e32 v27, v27, v62, vcc_lo
	v_add3_u32 v62, v63, v30, 0x7fff
	v_or_b32_e32 v63, 0x400000, v30
	v_cmp_u_f32_e32 vcc_lo, v30, v30
	v_mul_f32_e32 v66, v28, v31
	v_and_b32_e32 v30, 0xffff0000, v61
	v_and_b32_e32 v31, 0xffff0000, v39
	v_lshlrev_b32_e32 v39, 16, v39
	v_cndmask_b32_e32 v38, v62, v63, vcc_lo
	v_add3_u32 v62, v65, v64, 0x7fff
	v_or_b32_e32 v63, 0x400000, v64
	v_bfe_u32 v65, v32, 16, 1
	v_cmp_u_f32_e32 vcc_lo, v64, v64
	v_bfe_u32 v64, v66, 16, 1
	v_and_b32_e32 v27, 0xffff0000, v27
	v_and_b32_e32 v38, 0xffff0000, v38
	v_cndmask_b32_e32 v61, v62, v63, vcc_lo
	v_add3_u32 v62, v65, v32, 0x7fff
	v_or_b32_e32 v63, 0x400000, v32
	v_cmp_u_f32_e32 vcc_lo, v32, v32
	v_mul_f32_e32 v65, v30, v31
	v_and_b32_e32 v31, 0xffff0000, v60
	v_add3_u32 v32, v64, v66, 0x7fff
	v_and_b32_e32 v64, 0xffff0000, v40
	v_cndmask_b32_e32 v60, v62, v63, vcc_lo
	v_or_b32_e32 v62, 0x400000, v66
	v_cmp_u_f32_e32 vcc_lo, v66, v66
	v_bfe_u32 v63, v65, 16, 1
	v_mul_f32_e32 v39, v31, v39
	v_mul_f32_e32 v64, v27, v64
	v_and_b32_e32 v61, 0xffff0000, v61
	v_cndmask_b32_e32 v62, v32, v62, vcc_lo
	v_and_b32_e32 v32, 0xffff0000, v37
	v_lshlrev_b32_e32 v37, 16, v40
	v_add3_u32 v63, v63, v65, 0x7fff
	v_bfe_u32 v66, v39, 16, 1
	v_or_b32_e32 v40, 0x400000, v65
	v_cmp_u_f32_e32 vcc_lo, v65, v65
	v_mul_f32_e32 v37, v32, v37
	v_or_b32_e32 v67, 0x400000, v39
	v_add3_u32 v66, v66, v39, 0x7fff
	v_bfe_u32 v68, v64, 16, 1
	v_cndmask_b32_e32 v40, v63, v40, vcc_lo
	v_cmp_u_f32_e32 vcc_lo, v39, v39
	v_bfe_u32 v65, v37, 16, 1
	v_and_b32_e32 v62, 0xffff0000, v62
	v_add3_u32 v63, v68, v64, 0x7fff
	v_and_b32_e32 v60, 0xffff0000, v60
	v_cndmask_b32_e32 v39, v66, v67, vcc_lo
	v_add3_u32 v65, v65, v37, 0x7fff
	v_or_b32_e32 v67, 0x400000, v37
	v_cmp_u_f32_e32 vcc_lo, v37, v37
	v_or_b32_e32 v66, 0x400000, v64
	v_and_b32_e32 v39, 0xffff0000, v39
	v_and_b32_e32 v40, 0xffff0000, v40
	v_add_f32_e32 v38, v61, v38
	v_cndmask_b32_e32 v37, v65, v67, vcc_lo
	v_cmp_u_f32_e32 vcc_lo, v64, v64
	v_add_f32_e32 v60, v62, v60
	v_add_f32_e32 v39, v39, v40
	v_and_b32_e32 v40, 0xffff0000, v33
	v_and_b32_e32 v37, 0xffff0000, v37
	v_cndmask_b32_e32 v61, v63, v66, vcc_lo
	v_add_f32_e32 v38, v60, v38
	v_lshlrev_b32_e32 v33, 16, v33
	v_mul_f32_e32 v40, v25, v40
	v_and_b32_e32 v60, 0xffff0000, v61
	v_add_f32_e32 v38, v39, v38
	v_mul_f32_e32 v33, v26, v33
	v_and_b32_e32 v39, 0xffff0000, v34
	v_cmp_u_f32_e32 vcc_lo, v40, v40
	v_add_f32_e32 v37, v37, v60
	v_bfe_u32 v60, v40, 16, 1
	v_bfe_u32 v61, v33, 16, 1
	v_or_b32_e32 v62, 0x400000, v33
	v_lshlrev_b32_e32 v34, 16, v34
	v_add_f32_e32 v37, v37, v38
	v_mul_f32_e32 v38, v29, v39
	v_add3_u32 v39, v60, v40, 0x7fff
	v_or_b32_e32 v60, 0x400000, v40
	v_add3_u32 v61, v61, v33, 0x7fff
	v_mul_f32_e32 v34, v28, v34
	v_bfe_u32 v63, v38, 16, 1
	v_add_f32_e32 v46, v46, v37
	v_cndmask_b32_e32 v39, v39, v60, vcc_lo
	v_cmp_u_f32_e32 vcc_lo, v33, v33
	v_or_b32_e32 v60, 0x400000, v38
	v_add3_u32 v40, v63, v38, 0x7fff
	v_and_b32_e32 v39, 0xffff0000, v39
	v_cndmask_b32_e32 v33, v61, v62, vcc_lo
	v_and_b32_e32 v61, 0xffff0000, v35
	v_cmp_u_f32_e32 vcc_lo, v38, v38
	v_lshlrev_b32_e32 v35, 16, v35
	v_bfe_u32 v62, v34, 16, 1
	v_and_b32_e32 v33, 0xffff0000, v33
	v_cndmask_b32_e32 v38, v40, v60, vcc_lo
	v_mul_f32_e32 v40, v30, v61
	v_mul_f32_e32 v35, v31, v35
	v_add3_u32 v60, v62, v34, 0x7fff
	v_or_b32_e32 v61, 0x400000, v34
	v_and_b32_e32 v62, 0xffff0000, v36
	v_bfe_u32 v63, v40, 16, 1
	v_cmp_u_f32_e32 vcc_lo, v34, v34
	v_bfe_u32 v64, v35, 16, 1
	v_lshlrev_b32_e32 v36, 16, v36
	v_and_b32_e32 v38, 0xffff0000, v38
	v_add_f32_e32 v33, v33, v39
	v_cndmask_b32_e32 v34, v60, v61, vcc_lo
	v_mul_f32_e32 v60, v27, v62
	v_add3_u32 v61, v63, v40, 0x7fff
	v_or_b32_e32 v62, 0x400000, v40
	v_cmp_u_f32_e32 vcc_lo, v40, v40
	v_add3_u32 v63, v64, v35, 0x7fff
	v_or_b32_e32 v64, 0x400000, v35
	v_bfe_u32 v65, v60, 16, 1
	v_and_b32_e32 v34, 0xffff0000, v34
	v_cndmask_b32_e32 v40, v61, v62, vcc_lo
	v_cmp_u_f32_e32 vcc_lo, v35, v35
	v_or_b32_e32 v62, 0x400000, v60
	v_add3_u32 v61, v65, v60, 0x7fff
	v_mul_f32_e32 v36, v32, v36
	v_add_f32_e32 v34, v34, v38
	v_cndmask_b32_e32 v35, v63, v64, vcc_lo
	v_cmp_u_f32_e32 vcc_lo, v60, v60
	v_and_b32_e32 v38, 0xffff0000, v21
	v_and_b32_e32 v39, 0xffff0000, v40
	v_add_f32_e32 v33, v34, v33
	v_and_b32_e32 v35, 0xffff0000, v35
	v_cndmask_b32_e32 v60, v61, v62, vcc_lo
	v_bfe_u32 v61, v36, 16, 1
	v_mul_f32_e32 v34, v25, v38
	v_lshlrev_b32_e32 v21, 16, v21
	v_add_f32_e32 v35, v35, v39
	v_cmp_u_f32_e32 vcc_lo, v36, v36
	v_add3_u32 v40, v61, v36, 0x7fff
	v_or_b32_e32 v61, 0x400000, v36
	v_bfe_u32 v38, v34, 16, 1
	v_add_f32_e32 v33, v35, v33
	v_mul_f32_e32 v21, v26, v21
	v_and_b32_e32 v35, 0xffff0000, v22
	v_cndmask_b32_e32 v36, v40, v61, vcc_lo
	v_add3_u32 v38, v38, v34, 0x7fff
	v_or_b32_e32 v39, 0x400000, v34
	v_bfe_u32 v40, v21, 16, 1
	v_mul_f32_e32 v35, v29, v35
	v_lshlrev_b32_e32 v22, 16, v22
	v_cmp_u_f32_e32 vcc_lo, v34, v34
	v_and_b32_e32 v61, 0xffff0000, v23
	v_lshlrev_b32_e32 v23, 16, v23
	v_and_b32_e32 v62, 0xffff0000, v24
	v_mul_f32_e32 v22, v28, v22
	v_cndmask_b32_e32 v34, v38, v39, vcc_lo
	v_add3_u32 v38, v40, v21, 0x7fff
	v_or_b32_e32 v39, 0x400000, v21
	v_bfe_u32 v40, v35, 16, 1
	v_cmp_u_f32_e32 vcc_lo, v21, v21
	v_mul_f32_e32 v61, v30, v61
	v_mul_f32_e32 v23, v31, v23
	v_lshlrev_b32_e32 v24, 16, v24
	v_and_b32_e32 v34, 0xffff0000, v34
	v_cndmask_b32_e32 v21, v38, v39, vcc_lo
	v_add3_u32 v38, v40, v35, 0x7fff
	v_or_b32_e32 v39, 0x400000, v35
	v_bfe_u32 v40, v22, 16, 1
	v_cmp_u_f32_e32 vcc_lo, v35, v35
	v_mul_f32_e32 v24, v32, v24
	v_or_b32_e32 v63, 0x400000, v23
	v_and_b32_e32 v21, 0xffff0000, v21
	v_and_b32_e32 v36, 0xffff0000, v36
	v_cndmask_b32_e32 v35, v38, v39, vcc_lo
	v_add3_u32 v38, v40, v22, 0x7fff
	v_or_b32_e32 v39, 0x400000, v22
	v_bfe_u32 v40, v61, 16, 1
	v_cmp_u_f32_e32 vcc_lo, v22, v22
	v_bfe_u32 v65, v24, 16, 1
	v_and_b32_e32 v35, 0xffff0000, v35
	v_add_f32_e32 v21, v21, v34
	v_cndmask_b32_e32 v22, v38, v39, vcc_lo
	v_bfe_u32 v38, v23, 16, 1
	v_add3_u32 v39, v40, v61, 0x7fff
	v_mul_f32_e32 v40, v27, v62
	v_or_b32_e32 v62, 0x400000, v61
	v_cmp_u_f32_e32 vcc_lo, v61, v61
	v_add3_u32 v38, v38, v23, 0x7fff
	v_add3_u32 v61, v65, v24, 0x7fff
	v_bfe_u32 v64, v40, 16, 1
	v_and_b32_e32 v22, 0xffff0000, v22
	v_cndmask_b32_e32 v39, v39, v62, vcc_lo
	v_cmp_u_f32_e32 vcc_lo, v23, v23
	v_or_b32_e32 v62, 0x400000, v24
	v_add_f32_e32 v22, v22, v35
	v_and_b32_e32 v34, 0xffff0000, v39
	v_cndmask_b32_e32 v23, v38, v63, vcc_lo
	v_cmp_u_f32_e32 vcc_lo, v24, v24
	v_add3_u32 v38, v64, v40, 0x7fff
	v_or_b32_e32 v63, 0x400000, v40
	v_add_f32_e32 v21, v22, v21
	v_and_b32_e32 v23, 0xffff0000, v23
	v_cndmask_b32_e32 v24, v61, v62, vcc_lo
	v_cmp_u_f32_e32 vcc_lo, v40, v40
	v_add_f32_e32 v22, v23, v34
	v_and_b32_e32 v23, 0xffff0000, v24
	v_cndmask_b32_e32 v35, v38, v63, vcc_lo
	v_and_b32_e32 v38, 0xffff0000, v60
	v_and_b32_e32 v34, 0xffff0000, v17
	v_lshlrev_b32_e32 v17, 16, v17
	v_add_f32_e32 v21, v22, v21
	v_and_b32_e32 v24, 0xffff0000, v35
	v_add_f32_e32 v35, v36, v38
	v_mul_f32_e32 v17, v26, v17
	v_add_f32_e32 v22, v23, v24
	v_mul_f32_e32 v23, v25, v34
	v_add_f32_e32 v24, v35, v33
	v_and_b32_e32 v33, 0xffff0000, v18
	v_lshlrev_b32_e32 v18, 16, v18
	v_add_f32_e32 v21, v22, v21
	v_bfe_u32 v22, v23, 16, 1
	v_add_f32_e32 v47, v47, v24
	v_bfe_u32 v24, v17, 16, 1
	v_mul_f32_e32 v33, v29, v33
	v_add_f32_e32 v48, v48, v21
	v_add3_u32 v21, v22, v23, 0x7fff
	v_or_b32_e32 v22, 0x400000, v23
	v_cmp_u_f32_e32 vcc_lo, v23, v23
	v_add3_u32 v24, v24, v17, 0x7fff
	v_or_b32_e32 v34, 0x400000, v17
	v_mul_f32_e32 v18, v28, v18
	v_and_b32_e32 v23, 0xffff0000, v19
	v_cndmask_b32_e32 v21, v21, v22, vcc_lo
	v_bfe_u32 v22, v33, 16, 1
	v_cmp_u_f32_e32 vcc_lo, v17, v17
	v_lshlrev_b32_e32 v19, 16, v19
	v_mul_f32_e32 v23, v30, v23
	v_and_b32_e32 v35, 0xffff0000, v20
	v_add3_u32 v22, v22, v33, 0x7fff
	v_cndmask_b32_e32 v17, v24, v34, vcc_lo
	v_or_b32_e32 v24, 0x400000, v33
	v_bfe_u32 v34, v18, 16, 1
	v_cmp_u_f32_e32 vcc_lo, v33, v33
	v_mul_f32_e32 v19, v31, v19
	v_or_b32_e32 v33, 0x400000, v18
	v_lshlrev_b32_e32 v20, 16, v20
	v_and_b32_e32 v17, 0xffff0000, v17
	v_cndmask_b32_e32 v22, v22, v24, vcc_lo
	v_add3_u32 v24, v34, v18, 0x7fff
	v_bfe_u32 v34, v23, 16, 1
	v_cmp_u_f32_e32 vcc_lo, v18, v18
	v_bfe_u32 v36, v19, 16, 1
	v_mul_f32_e32 v20, v32, v20
	v_and_b32_e32 v21, 0xffff0000, v21
	v_and_b32_e32 v22, 0xffff0000, v22
	v_cndmask_b32_e32 v18, v24, v33, vcc_lo
	v_add3_u32 v24, v34, v23, 0x7fff
	v_mul_f32_e32 v33, v27, v35
	v_or_b32_e32 v34, 0x400000, v23
	v_cmp_u_f32_e32 vcc_lo, v23, v23
	v_add3_u32 v35, v36, v19, 0x7fff
	v_or_b32_e32 v36, 0x400000, v19
	v_bfe_u32 v37, v33, 16, 1
	v_and_b32_e32 v18, 0xffff0000, v18
	v_cndmask_b32_e32 v23, v24, v34, vcc_lo
	v_cmp_u_f32_e32 vcc_lo, v19, v19
	v_or_b32_e32 v34, 0x400000, v33
	v_add3_u32 v24, v37, v33, 0x7fff
	v_add_f32_e32 v17, v17, v21
	v_add_f32_e32 v18, v18, v22
	v_cndmask_b32_e32 v19, v35, v36, vcc_lo
	v_bfe_u32 v35, v20, 16, 1
	v_cmp_u_f32_e32 vcc_lo, v33, v33
	v_and_b32_e32 v22, 0xffff0000, v13
	v_and_b32_e32 v21, 0xffff0000, v23
	;; [unrolled: 1-line block ×3, first 2 shown]
	v_add3_u32 v33, v35, v20, 0x7fff
	v_cndmask_b32_e32 v24, v24, v34, vcc_lo
	v_or_b32_e32 v34, 0x400000, v20
	v_cmp_u_f32_e32 vcc_lo, v20, v20
	v_lshlrev_b32_e32 v13, 16, v13
	v_add_f32_e32 v17, v18, v17
	v_mul_f32_e32 v18, v25, v22
	v_add_f32_e32 v19, v19, v21
	v_cndmask_b32_e32 v20, v33, v34, vcc_lo
	v_mul_f32_e32 v21, v26, v13
	v_and_b32_e32 v22, 0xffff0000, v24
	v_bfe_u32 v23, v18, 16, 1
	v_and_b32_e32 v24, 0xffff0000, v14
	v_and_b32_e32 v20, 0xffff0000, v20
	v_add_f32_e32 v13, v19, v17
	v_bfe_u32 v19, v21, 16, 1
	v_lshlrev_b32_e32 v14, 16, v14
	v_cmp_u_f32_e32 vcc_lo, v18, v18
	v_add_f32_e32 v17, v20, v22
	v_add3_u32 v20, v23, v18, 0x7fff
	v_or_b32_e32 v22, 0x400000, v18
	v_mul_f32_e32 v23, v29, v24
	v_add3_u32 v19, v19, v21, 0x7fff
	v_or_b32_e32 v24, 0x400000, v21
	v_mul_f32_e32 v14, v28, v14
	v_cndmask_b32_e32 v18, v20, v22, vcc_lo
	v_bfe_u32 v20, v23, 16, 1
	v_cmp_u_f32_e32 vcc_lo, v21, v21
	v_and_b32_e32 v21, 0xffff0000, v15
	v_or_b32_e32 v22, 0x400000, v23
	v_lshlrev_b32_e32 v15, 16, v15
	v_add3_u32 v20, v20, v23, 0x7fff
	v_cndmask_b32_e32 v19, v19, v24, vcc_lo
	v_bfe_u32 v24, v14, 16, 1
	v_mul_f32_e32 v21, v30, v21
	v_cmp_u_f32_e32 vcc_lo, v23, v23
	v_mul_f32_e32 v15, v31, v15
	v_or_b32_e32 v23, 0x400000, v14
	v_and_b32_e32 v33, 0xffff0000, v16
	v_lshlrev_b32_e32 v16, 16, v16
	v_cndmask_b32_e32 v20, v20, v22, vcc_lo
	v_add3_u32 v22, v24, v14, 0x7fff
	v_bfe_u32 v24, v21, 16, 1
	v_cmp_u_f32_e32 vcc_lo, v14, v14
	v_bfe_u32 v34, v15, 16, 1
	v_mul_f32_e32 v16, v32, v16
	v_and_b32_e32 v19, 0xffff0000, v19
	v_and_b32_e32 v18, 0xffff0000, v18
	v_cndmask_b32_e32 v14, v22, v23, vcc_lo
	v_add3_u32 v22, v24, v21, 0x7fff
	v_mul_f32_e32 v23, v27, v33
	v_or_b32_e32 v24, 0x400000, v21
	v_cmp_u_f32_e32 vcc_lo, v21, v21
	v_add3_u32 v33, v34, v15, 0x7fff
	v_or_b32_e32 v34, 0x400000, v15
	v_bfe_u32 v35, v23, 16, 1
	v_and_b32_e32 v14, 0xffff0000, v14
	v_cndmask_b32_e32 v21, v22, v24, vcc_lo
	v_cmp_u_f32_e32 vcc_lo, v15, v15
	v_or_b32_e32 v24, 0x400000, v23
	v_add3_u32 v22, v35, v23, 0x7fff
	v_and_b32_e32 v20, 0xffff0000, v20
	v_add_f32_e32 v18, v19, v18
	v_cndmask_b32_e32 v15, v33, v34, vcc_lo
	v_bfe_u32 v33, v16, 16, 1
	v_cmp_u_f32_e32 vcc_lo, v23, v23
	v_add_f32_e32 v14, v14, v20
	v_and_b32_e32 v20, 0xffff0000, v5
	v_and_b32_e32 v15, 0xffff0000, v15
	v_add3_u32 v23, v33, v16, 0x7fff
	v_cndmask_b32_e32 v22, v22, v24, vcc_lo
	v_or_b32_e32 v24, 0x400000, v16
	v_cmp_u_f32_e32 vcc_lo, v16, v16
	v_and_b32_e32 v19, 0xffff0000, v21
	v_lshlrev_b32_e32 v5, 16, v5
	v_add_f32_e32 v14, v14, v18
	v_mul_f32_e32 v18, v25, v20
	v_cndmask_b32_e32 v16, v23, v24, vcc_lo
	v_add_f32_e32 v15, v15, v19
	v_mul_f32_e32 v19, v26, v5
	v_and_b32_e32 v20, 0xffff0000, v22
	v_and_b32_e32 v21, 0xffff0000, v6
	;; [unrolled: 1-line block ×3, first 2 shown]
	v_bfe_u32 v22, v18, 16, 1
	v_add_f32_e32 v5, v15, v14
	v_bfe_u32 v15, v19, 16, 1
	v_cmp_u_f32_e32 vcc_lo, v18, v18
	v_add_f32_e32 v14, v16, v20
	v_mul_f32_e32 v16, v29, v21
	v_add3_u32 v20, v22, v18, 0x7fff
	v_or_b32_e32 v21, 0x400000, v18
	v_add3_u32 v15, v15, v19, 0x7fff
	v_or_b32_e32 v22, 0x400000, v19
	v_bfe_u32 v23, v16, 16, 1
	v_lshlrev_b32_e32 v6, 16, v6
	v_cndmask_b32_e32 v18, v20, v21, vcc_lo
	v_cmp_u_f32_e32 vcc_lo, v19, v19
	v_or_b32_e32 v20, 0x400000, v16
	v_add3_u32 v19, v23, v16, 0x7fff
	v_mul_f32_e32 v6, v28, v6
	v_and_b32_e32 v21, 0xffff0000, v7
	v_cndmask_b32_e32 v15, v15, v22, vcc_lo
	v_cmp_u_f32_e32 vcc_lo, v16, v16
	v_lshlrev_b32_e32 v7, 16, v7
	v_bfe_u32 v22, v6, 16, 1
	v_and_b32_e32 v18, 0xffff0000, v18
	v_and_b32_e32 v15, 0xffff0000, v15
	v_cndmask_b32_e32 v16, v19, v20, vcc_lo
	v_mul_f32_e32 v19, v30, v21
	v_mul_f32_e32 v7, v31, v7
	v_add3_u32 v20, v22, v6, 0x7fff
	v_or_b32_e32 v21, 0x400000, v6
	v_and_b32_e32 v22, 0xffff0000, v8
	v_bfe_u32 v23, v19, 16, 1
	v_cmp_u_f32_e32 vcc_lo, v6, v6
	v_bfe_u32 v24, v7, 16, 1
	v_lshlrev_b32_e32 v8, 16, v8
	v_and_b32_e32 v16, 0xffff0000, v16
	v_add_f32_e32 v15, v15, v18
	v_cndmask_b32_e32 v6, v20, v21, vcc_lo
	v_mul_f32_e32 v20, v27, v22
	v_add3_u32 v21, v23, v19, 0x7fff
	v_or_b32_e32 v22, 0x400000, v19
	v_cmp_u_f32_e32 vcc_lo, v19, v19
	v_add3_u32 v23, v24, v7, 0x7fff
	v_or_b32_e32 v24, 0x400000, v7
	v_bfe_u32 v33, v20, 16, 1
	v_and_b32_e32 v6, 0xffff0000, v6
	v_cndmask_b32_e32 v19, v21, v22, vcc_lo
	v_cmp_u_f32_e32 vcc_lo, v7, v7
	v_or_b32_e32 v22, 0x400000, v20
	v_add3_u32 v21, v33, v20, 0x7fff
	v_mul_f32_e32 v8, v32, v8
	v_add_f32_e32 v6, v6, v16
	v_cndmask_b32_e32 v7, v23, v24, vcc_lo
	v_cmp_u_f32_e32 vcc_lo, v20, v20
	v_and_b32_e32 v16, 0xffff0000, v1
	v_and_b32_e32 v18, 0xffff0000, v19
	v_add_f32_e32 v6, v6, v15
	v_and_b32_e32 v7, 0xffff0000, v7
	v_cndmask_b32_e32 v20, v21, v22, vcc_lo
	v_bfe_u32 v21, v8, 16, 1
	v_mul_f32_e32 v15, v25, v16
	v_lshlrev_b32_e32 v1, 16, v1
	v_add_f32_e32 v7, v7, v18
	v_cmp_u_f32_e32 vcc_lo, v8, v8
	v_add3_u32 v19, v21, v8, 0x7fff
	v_or_b32_e32 v21, 0x400000, v8
	v_bfe_u32 v16, v15, 16, 1
	v_add_f32_e32 v6, v7, v6
	v_and_b32_e32 v7, 0xffff0000, v2
	v_mul_f32_e32 v1, v26, v1
	v_cndmask_b32_e32 v8, v19, v21, vcc_lo
	v_add3_u32 v16, v16, v15, 0x7fff
	v_or_b32_e32 v18, 0x400000, v15
	v_mul_f32_e32 v7, v29, v7
	v_and_b32_e32 v19, 0xffff0000, v20
	v_bfe_u32 v20, v1, 16, 1
	v_cmp_u_f32_e32 vcc_lo, v15, v15
	v_lshlrev_b32_e32 v2, 16, v2
	v_or_b32_e32 v21, 0x400000, v1
	v_or_b32_e32 v22, 0x400000, v7
	v_and_b32_e32 v8, 0xffff0000, v8
	v_cndmask_b32_e32 v15, v16, v18, vcc_lo
	v_bfe_u32 v16, v7, 16, 1
	v_add3_u32 v18, v20, v1, 0x7fff
	v_and_b32_e32 v20, 0xffff0000, v3
	v_mul_f32_e32 v2, v28, v2
	v_cmp_u_f32_e32 vcc_lo, v1, v1
	v_add3_u32 v16, v16, v7, 0x7fff
	v_lshlrev_b32_e32 v3, 16, v3
	v_mul_f32_e32 v20, v30, v20
	v_and_b32_e32 v15, 0xffff0000, v15
	v_cndmask_b32_e32 v1, v18, v21, vcc_lo
	v_bfe_u32 v18, v2, 16, 1
	v_cmp_u_f32_e32 vcc_lo, v7, v7
	v_and_b32_e32 v21, 0xffff0000, v4
	v_mul_f32_e32 v3, v31, v3
	v_or_b32_e32 v23, 0x400000, v20
	v_add3_u32 v18, v18, v2, 0x7fff
	v_cndmask_b32_e32 v7, v16, v22, vcc_lo
	v_bfe_u32 v16, v20, 16, 1
	v_or_b32_e32 v22, 0x400000, v2
	v_cmp_u_f32_e32 vcc_lo, v2, v2
	v_mul_f32_e32 v21, v27, v21
	v_lshlrev_b32_e32 v4, 16, v4
	v_add3_u32 v16, v16, v20, 0x7fff
	v_and_b32_e32 v1, 0xffff0000, v1
	v_cndmask_b32_e32 v2, v18, v22, vcc_lo
	v_bfe_u32 v18, v3, 16, 1
	v_cmp_u_f32_e32 vcc_lo, v20, v20
	v_bfe_u32 v22, v21, 16, 1
	v_or_b32_e32 v20, 0x400000, v3
	v_mul_f32_e32 v4, v32, v4
	v_add3_u32 v18, v18, v3, 0x7fff
	v_cndmask_b32_e32 v16, v16, v23, vcc_lo
	v_cmp_u_f32_e32 vcc_lo, v3, v3
	v_add3_u32 v22, v22, v21, 0x7fff
	v_or_b32_e32 v23, 0x400000, v21
	v_and_b32_e32 v2, 0xffff0000, v2
	v_and_b32_e32 v7, 0xffff0000, v7
	v_cndmask_b32_e32 v3, v18, v20, vcc_lo
	v_cmp_u_f32_e32 vcc_lo, v21, v21
	v_bfe_u32 v20, v4, 16, 1
	v_add_f32_e32 v1, v1, v15
	v_add_f32_e32 v2, v2, v7
	v_and_b32_e32 v3, 0xffff0000, v3
	v_cndmask_b32_e32 v18, v22, v23, vcc_lo
	s_waitcnt vmcnt(0)
	v_and_b32_e32 v22, 0xffff0000, v9
	v_and_b32_e32 v7, 0xffff0000, v16
	v_lshlrev_b32_e32 v9, 16, v9
	v_add3_u32 v20, v20, v4, 0x7fff
	v_or_b32_e32 v21, 0x400000, v4
	v_mul_f32_e32 v15, v25, v22
	v_cmp_u_f32_e32 vcc_lo, v4, v4
	v_add_f32_e32 v1, v2, v1
	v_add_f32_e32 v3, v3, v7
	v_mul_f32_e32 v7, v26, v9
	v_bfe_u32 v2, v15, 16, 1
	v_and_b32_e32 v9, 0xffff0000, v10
	v_cndmask_b32_e32 v4, v20, v21, vcc_lo
	v_or_b32_e32 v16, 0x400000, v15
	v_bfe_u32 v20, v7, 16, 1
	v_add3_u32 v2, v2, v15, 0x7fff
	v_mul_f32_e32 v9, v29, v9
	v_lshlrev_b32_e32 v10, 16, v10
	v_cmp_u_f32_e32 vcc_lo, v15, v15
	v_add3_u32 v15, v20, v7, 0x7fff
	v_and_b32_e32 v21, 0xffff0000, v11
	v_bfe_u32 v20, v9, 16, 1
	v_mul_f32_e32 v10, v28, v10
	v_cndmask_b32_e32 v2, v2, v16, vcc_lo
	v_or_b32_e32 v16, 0x400000, v7
	v_cmp_u_f32_e32 vcc_lo, v7, v7
	v_mul_f32_e32 v21, v30, v21
	v_lshlrev_b32_e32 v11, 16, v11
	v_and_b32_e32 v22, 0xffff0000, v12
	v_lshlrev_b32_e32 v12, 16, v12
	v_cndmask_b32_e32 v7, v15, v16, vcc_lo
	v_add3_u32 v15, v20, v9, 0x7fff
	v_or_b32_e32 v16, 0x400000, v9
	v_bfe_u32 v20, v10, 16, 1
	v_cmp_u_f32_e32 vcc_lo, v9, v9
	v_mul_f32_e32 v11, v31, v11
	v_mul_f32_e32 v12, v32, v12
	v_and_b32_e32 v7, 0xffff0000, v7
	v_and_b32_e32 v2, 0xffff0000, v2
	v_cndmask_b32_e32 v9, v15, v16, vcc_lo
	v_add3_u32 v15, v20, v10, 0x7fff
	v_or_b32_e32 v16, 0x400000, v10
	v_bfe_u32 v20, v21, 16, 1
	v_cmp_u_f32_e32 vcc_lo, v10, v10
	v_or_b32_e32 v23, 0x400000, v11
	v_bfe_u32 v25, v12, 16, 1
	v_and_b32_e32 v9, 0xffff0000, v9
	v_add_f32_e32 v2, v7, v2
	v_cndmask_b32_e32 v10, v15, v16, vcc_lo
	v_bfe_u32 v15, v11, 16, 1
	v_add3_u32 v16, v20, v21, 0x7fff
	v_mul_f32_e32 v20, v27, v22
	v_or_b32_e32 v22, 0x400000, v21
	v_cmp_u_f32_e32 vcc_lo, v21, v21
	v_add3_u32 v15, v15, v11, 0x7fff
	v_add3_u32 v21, v25, v12, 0x7fff
	v_bfe_u32 v24, v20, 16, 1
	v_and_b32_e32 v10, 0xffff0000, v10
	v_cndmask_b32_e32 v16, v16, v22, vcc_lo
	v_cmp_u_f32_e32 vcc_lo, v11, v11
	v_or_b32_e32 v22, 0x400000, v12
	v_and_b32_e32 v4, 0xffff0000, v4
	v_add_f32_e32 v7, v10, v9
	v_and_b32_e32 v10, 0xffff0000, v16
	v_cndmask_b32_e32 v11, v15, v23, vcc_lo
	v_cmp_u_f32_e32 vcc_lo, v12, v12
	v_add3_u32 v15, v24, v20, 0x7fff
	v_or_b32_e32 v23, 0x400000, v20
	v_add_f32_e32 v2, v7, v2
	v_and_b32_e32 v9, 0xffff0000, v11
	v_cndmask_b32_e32 v12, v21, v22, vcc_lo
	v_cmp_u_f32_e32 vcc_lo, v20, v20
	v_add_f32_e32 v8, v8, v19
	v_add_f32_e32 v1, v3, v1
	;; [unrolled: 1-line block ×3, first 2 shown]
	v_and_b32_e32 v9, 0xffff0000, v12
	v_cndmask_b32_e32 v11, v15, v23, vcc_lo
	v_and_b32_e32 v15, 0xffff0000, v18
	v_add_f32_e32 v5, v14, v5
	v_add_f32_e32 v2, v7, v2
	;; [unrolled: 1-line block ×3, first 2 shown]
	v_and_b32_e32 v10, 0xffff0000, v11
	v_add_f32_e32 v3, v4, v15
	v_add_f32_e32 v6, v8, v6
	;; [unrolled: 1-line block ×10, first 2 shown]
.LBB116_38:                             ;   in Loop: Header=BB116_39 Depth=1
	s_or_b32 exec_lo, exec_lo, s18
	v_add_nc_u32_e32 v59, 4, v59
	v_add_co_u32 v41, s0, v41, 16
	v_add_co_ci_u32_e64 v42, null, 0, v42, s0
	v_cmp_le_i32_e32 vcc_lo, s16, v59
	v_add_nc_u32_e32 v44, 32, v44
	v_add_nc_u32_e32 v55, 0x80, v55
	s_or_b32 s15, vcc_lo, s15
	s_andn2_b32 exec_lo, exec_lo, s15
	s_cbranch_execz .LBB116_56
.LBB116_39:                             ; =>This Inner Loop Header: Depth=1
	v_mul_hi_u32 v1, v44, s21
	v_mul_lo_u32 v2, v1, s12
	v_add_nc_u32_e32 v3, 1, v1
	v_sub_nc_u32_e32 v2, v44, v2
	v_subrev_nc_u32_e32 v4, s12, v2
	v_cmp_le_u32_e32 vcc_lo, s12, v2
	v_cndmask_b32_e32 v1, v1, v3, vcc_lo
	v_cndmask_b32_e32 v2, v2, v4, vcc_lo
	v_add_nc_u32_e32 v3, 1, v1
	v_cmp_le_u32_e32 vcc_lo, s12, v2
	v_cndmask_b32_e32 v1, v1, v3, vcc_lo
	v_xor_b32_e32 v1, s19, v1
	v_subrev_nc_u32_e32 v1, s19, v1
	v_add_nc_u32_e32 v2, s31, v1
	v_cmp_lt_i32_e64 s0, s4, v1
	v_sub_nc_u32_e32 v3, 0, v2
	v_max_i32_e32 v3, v2, v3
	v_ashrrev_i32_e32 v2, 31, v2
	v_mul_hi_u32 v4, v3, v58
	v_mul_lo_u32 v4, v4, s5
	v_sub_nc_u32_e32 v3, v3, v4
	v_subrev_nc_u32_e32 v4, s5, v3
	v_cmp_le_u32_e32 vcc_lo, s5, v3
	v_cndmask_b32_e32 v3, v3, v4, vcc_lo
	v_subrev_nc_u32_e32 v4, s5, v3
	v_cmp_le_u32_e32 vcc_lo, s5, v3
	v_cndmask_b32_e32 v3, v3, v4, vcc_lo
	v_xor_b32_e32 v3, v3, v2
	v_sub_nc_u32_e32 v2, v3, v2
	v_cmp_eq_u32_e32 vcc_lo, 0, v2
	s_or_b32 s0, vcc_lo, s0
	s_and_saveexec_b32 s18, s0
	s_cbranch_execz .LBB116_38
; %bb.40:                               ;   in Loop: Header=BB116_39 Depth=1
	global_load_dword v1, v[41:42], off
	v_cmp_eq_u32_e64 s0, s14, v59
	v_add_nc_u32_e32 v66, 1, v44
	v_or_b32_e32 v64, 3, v44
	v_or_b32_e32 v65, 2, v44
	;; [unrolled: 1-line block ×6, first 2 shown]
	s_waitcnt vmcnt(0)
	v_mad_i64_i32 v[1:2], null, v1, s13, 0
	v_lshlrev_b64 v[1:2], 1, v[1:2]
	v_add_co_u32 v9, vcc_lo, v56, v1
	v_add_co_ci_u32_e64 v10, null, v57, v2, vcc_lo
	global_load_dwordx4 v[1:4], v[9:10], off
	ds_read2_b64 v[29:32], v55 offset1:1
	ds_read2_b64 v[25:28], v55 offset0:2 offset1:3
	s_and_saveexec_b32 s22, s0
	s_cbranch_execnz .LBB116_49
; %bb.41:                               ;   in Loop: Header=BB116_39 Depth=1
	s_or_b32 exec_lo, exec_lo, s22
	global_load_dwordx4 v[5:8], v[9:10], off offset:512
	s_and_saveexec_b32 s22, s0
	s_cbranch_execnz .LBB116_50
.LBB116_42:                             ;   in Loop: Header=BB116_39 Depth=1
	s_or_b32 exec_lo, exec_lo, s22
	global_load_dwordx4 v[13:16], v[9:10], off offset:1024
	s_and_saveexec_b32 s22, s0
	s_cbranch_execnz .LBB116_51
.LBB116_43:                             ;   in Loop: Header=BB116_39 Depth=1
	s_or_b32 exec_lo, exec_lo, s22
	global_load_dwordx4 v[17:20], v[9:10], off offset:1536
	s_and_saveexec_b32 s22, s0
	s_cbranch_execz .LBB116_45
.LBB116_44:                             ;   in Loop: Header=BB116_39 Depth=1
	v_cmp_gt_i32_e64 s1, s30, v44
	v_cmp_gt_i32_e32 vcc_lo, s17, v66
	v_cmp_gt_i32_e64 s2, s30, v65
	s_waitcnt vmcnt(0)
	v_cndmask_b32_e64 v11, 0, v17, s1
	v_cmp_gt_i32_e64 s1, s17, v64
	v_cndmask_b32_sdwa v17, v54, v17, vcc_lo dst_sel:DWORD dst_unused:UNUSED_PAD src0_sel:DWORD src1_sel:WORD_1
	v_cndmask_b32_e64 v12, 0, v18, s2
	v_cmp_gt_i32_e64 s2, s17, v63
	s_mov_b32 vcc_lo, s1
	v_cmp_gt_i32_e64 s1, s17, v61
	v_cndmask_b32_sdwa v18, v54, v18, vcc_lo dst_sel:DWORD dst_unused:UNUSED_PAD src0_sel:DWORD src1_sel:WORD_1
	v_cmp_gt_i32_e32 vcc_lo, s30, v62
	v_perm_b32 v17, v17, v11, 0x5040100
	v_perm_b32 v18, v18, v12, 0x5040100
	v_cndmask_b32_e32 v21, 0, v19, vcc_lo
	s_mov_b32 vcc_lo, s2
	v_cndmask_b32_sdwa v19, v54, v19, vcc_lo dst_sel:DWORD dst_unused:UNUSED_PAD src0_sel:DWORD src1_sel:WORD_1
	v_cmp_gt_i32_e32 vcc_lo, s30, v60
	v_perm_b32 v19, v19, v21, 0x5040100
	v_cndmask_b32_e32 v22, 0, v20, vcc_lo
	s_mov_b32 vcc_lo, s1
	v_cndmask_b32_sdwa v20, v54, v20, vcc_lo dst_sel:DWORD dst_unused:UNUSED_PAD src0_sel:DWORD src1_sel:WORD_1
	v_perm_b32 v20, v20, v22, 0x5040100
.LBB116_45:                             ;   in Loop: Header=BB116_39 Depth=1
	s_or_b32 exec_lo, exec_lo, s22
	v_add_co_u32 v9, vcc_lo, 0x800, v9
	v_add_co_ci_u32_e64 v10, null, 0, v10, vcc_lo
	global_load_dwordx4 v[21:24], v[9:10], off
	s_and_saveexec_b32 s22, s0
	s_cbranch_execnz .LBB116_52
; %bb.46:                               ;   in Loop: Header=BB116_39 Depth=1
	s_or_b32 exec_lo, exec_lo, s22
	global_load_dwordx4 v[33:36], v[9:10], off offset:512
	s_and_saveexec_b32 s22, s0
	s_cbranch_execnz .LBB116_53
.LBB116_47:                             ;   in Loop: Header=BB116_39 Depth=1
	s_or_b32 exec_lo, exec_lo, s22
	global_load_dwordx4 v[37:40], v[9:10], off offset:1024
	s_and_saveexec_b32 s22, s0
	s_cbranch_execnz .LBB116_54
.LBB116_48:                             ;   in Loop: Header=BB116_39 Depth=1
	s_or_b32 exec_lo, exec_lo, s22
	global_load_dwordx4 v[9:12], v[9:10], off offset:1536
	s_and_saveexec_b32 s2, s0
	s_cbranch_execz .LBB116_37
	s_branch .LBB116_55
.LBB116_49:                             ;   in Loop: Header=BB116_39 Depth=1
	v_cmp_gt_i32_e64 s1, s30, v44
	v_cmp_gt_i32_e32 vcc_lo, s17, v66
	v_cmp_gt_i32_e64 s2, s30, v65
	s_waitcnt vmcnt(0)
	v_cndmask_b32_e64 v5, 0, v1, s1
	v_cmp_gt_i32_e64 s1, s17, v64
	v_cndmask_b32_sdwa v1, v54, v1, vcc_lo dst_sel:DWORD dst_unused:UNUSED_PAD src0_sel:DWORD src1_sel:WORD_1
	v_cndmask_b32_e64 v6, 0, v2, s2
	v_cmp_gt_i32_e64 s2, s17, v63
	s_mov_b32 vcc_lo, s1
	v_cmp_gt_i32_e64 s1, s17, v61
	v_cndmask_b32_sdwa v2, v54, v2, vcc_lo dst_sel:DWORD dst_unused:UNUSED_PAD src0_sel:DWORD src1_sel:WORD_1
	v_cmp_gt_i32_e32 vcc_lo, s30, v62
	v_perm_b32 v1, v1, v5, 0x5040100
	v_perm_b32 v2, v2, v6, 0x5040100
	v_cndmask_b32_e32 v7, 0, v3, vcc_lo
	s_mov_b32 vcc_lo, s2
	v_cndmask_b32_sdwa v3, v54, v3, vcc_lo dst_sel:DWORD dst_unused:UNUSED_PAD src0_sel:DWORD src1_sel:WORD_1
	v_cmp_gt_i32_e32 vcc_lo, s30, v60
	v_perm_b32 v3, v3, v7, 0x5040100
	v_cndmask_b32_e32 v8, 0, v4, vcc_lo
	s_mov_b32 vcc_lo, s1
	v_cndmask_b32_sdwa v4, v54, v4, vcc_lo dst_sel:DWORD dst_unused:UNUSED_PAD src0_sel:DWORD src1_sel:WORD_1
	v_perm_b32 v4, v4, v8, 0x5040100
	s_or_b32 exec_lo, exec_lo, s22
	global_load_dwordx4 v[5:8], v[9:10], off offset:512
	s_and_saveexec_b32 s22, s0
	s_cbranch_execz .LBB116_42
.LBB116_50:                             ;   in Loop: Header=BB116_39 Depth=1
	v_cmp_gt_i32_e64 s1, s30, v44
	v_cmp_gt_i32_e32 vcc_lo, s17, v66
	v_cmp_gt_i32_e64 s2, s30, v65
	s_waitcnt vmcnt(0)
	v_cndmask_b32_e64 v11, 0, v5, s1
	v_cmp_gt_i32_e64 s1, s17, v64
	v_cndmask_b32_sdwa v5, v54, v5, vcc_lo dst_sel:DWORD dst_unused:UNUSED_PAD src0_sel:DWORD src1_sel:WORD_1
	v_cndmask_b32_e64 v12, 0, v6, s2
	v_cmp_gt_i32_e64 s2, s17, v63
	s_mov_b32 vcc_lo, s1
	v_cmp_gt_i32_e64 s1, s17, v61
	v_cndmask_b32_sdwa v6, v54, v6, vcc_lo dst_sel:DWORD dst_unused:UNUSED_PAD src0_sel:DWORD src1_sel:WORD_1
	v_cmp_gt_i32_e32 vcc_lo, s30, v62
	v_perm_b32 v5, v5, v11, 0x5040100
	v_perm_b32 v6, v6, v12, 0x5040100
	v_cndmask_b32_e32 v13, 0, v7, vcc_lo
	s_mov_b32 vcc_lo, s2
	v_cndmask_b32_sdwa v7, v54, v7, vcc_lo dst_sel:DWORD dst_unused:UNUSED_PAD src0_sel:DWORD src1_sel:WORD_1
	v_cmp_gt_i32_e32 vcc_lo, s30, v60
	v_perm_b32 v7, v7, v13, 0x5040100
	v_cndmask_b32_e32 v14, 0, v8, vcc_lo
	s_mov_b32 vcc_lo, s1
	v_cndmask_b32_sdwa v8, v54, v8, vcc_lo dst_sel:DWORD dst_unused:UNUSED_PAD src0_sel:DWORD src1_sel:WORD_1
	v_perm_b32 v8, v8, v14, 0x5040100
	s_or_b32 exec_lo, exec_lo, s22
	global_load_dwordx4 v[13:16], v[9:10], off offset:1024
	s_and_saveexec_b32 s22, s0
	s_cbranch_execz .LBB116_43
.LBB116_51:                             ;   in Loop: Header=BB116_39 Depth=1
	v_cmp_gt_i32_e64 s1, s30, v44
	v_cmp_gt_i32_e32 vcc_lo, s17, v66
	v_cmp_gt_i32_e64 s2, s30, v65
	s_waitcnt vmcnt(0)
	v_cndmask_b32_e64 v11, 0, v13, s1
	v_cmp_gt_i32_e64 s1, s17, v64
	v_cndmask_b32_sdwa v13, v54, v13, vcc_lo dst_sel:DWORD dst_unused:UNUSED_PAD src0_sel:DWORD src1_sel:WORD_1
	v_cndmask_b32_e64 v12, 0, v14, s2
	v_cmp_gt_i32_e64 s2, s17, v63
	s_mov_b32 vcc_lo, s1
	v_cmp_gt_i32_e64 s1, s17, v61
	v_cndmask_b32_sdwa v14, v54, v14, vcc_lo dst_sel:DWORD dst_unused:UNUSED_PAD src0_sel:DWORD src1_sel:WORD_1
	v_cmp_gt_i32_e32 vcc_lo, s30, v62
	v_perm_b32 v13, v13, v11, 0x5040100
	v_perm_b32 v14, v14, v12, 0x5040100
	v_cndmask_b32_e32 v17, 0, v15, vcc_lo
	s_mov_b32 vcc_lo, s2
	v_cndmask_b32_sdwa v15, v54, v15, vcc_lo dst_sel:DWORD dst_unused:UNUSED_PAD src0_sel:DWORD src1_sel:WORD_1
	v_cmp_gt_i32_e32 vcc_lo, s30, v60
	v_perm_b32 v15, v15, v17, 0x5040100
	v_cndmask_b32_e32 v18, 0, v16, vcc_lo
	s_mov_b32 vcc_lo, s1
	v_cndmask_b32_sdwa v16, v54, v16, vcc_lo dst_sel:DWORD dst_unused:UNUSED_PAD src0_sel:DWORD src1_sel:WORD_1
	v_perm_b32 v16, v16, v18, 0x5040100
	s_or_b32 exec_lo, exec_lo, s22
	global_load_dwordx4 v[17:20], v[9:10], off offset:1536
	s_and_saveexec_b32 s22, s0
	s_cbranch_execnz .LBB116_44
	s_branch .LBB116_45
.LBB116_52:                             ;   in Loop: Header=BB116_39 Depth=1
	v_cmp_gt_i32_e64 s1, s30, v44
	v_cmp_gt_i32_e32 vcc_lo, s17, v66
	v_cmp_gt_i32_e64 s2, s30, v65
	s_waitcnt vmcnt(0)
	v_cndmask_b32_e64 v11, 0, v21, s1
	v_cmp_gt_i32_e64 s1, s17, v64
	v_cndmask_b32_sdwa v21, v54, v21, vcc_lo dst_sel:DWORD dst_unused:UNUSED_PAD src0_sel:DWORD src1_sel:WORD_1
	v_cndmask_b32_e64 v12, 0, v22, s2
	v_cmp_gt_i32_e64 s2, s17, v63
	s_mov_b32 vcc_lo, s1
	v_cmp_gt_i32_e64 s1, s17, v61
	v_cndmask_b32_sdwa v22, v54, v22, vcc_lo dst_sel:DWORD dst_unused:UNUSED_PAD src0_sel:DWORD src1_sel:WORD_1
	v_cmp_gt_i32_e32 vcc_lo, s30, v62
	v_perm_b32 v21, v21, v11, 0x5040100
	v_perm_b32 v22, v22, v12, 0x5040100
	v_cndmask_b32_e32 v33, 0, v23, vcc_lo
	s_mov_b32 vcc_lo, s2
	v_cndmask_b32_sdwa v23, v54, v23, vcc_lo dst_sel:DWORD dst_unused:UNUSED_PAD src0_sel:DWORD src1_sel:WORD_1
	v_cmp_gt_i32_e32 vcc_lo, s30, v60
	v_perm_b32 v23, v23, v33, 0x5040100
	v_cndmask_b32_e32 v34, 0, v24, vcc_lo
	s_mov_b32 vcc_lo, s1
	v_cndmask_b32_sdwa v24, v54, v24, vcc_lo dst_sel:DWORD dst_unused:UNUSED_PAD src0_sel:DWORD src1_sel:WORD_1
	v_perm_b32 v24, v24, v34, 0x5040100
	s_or_b32 exec_lo, exec_lo, s22
	global_load_dwordx4 v[33:36], v[9:10], off offset:512
	s_and_saveexec_b32 s22, s0
	s_cbranch_execz .LBB116_47
.LBB116_53:                             ;   in Loop: Header=BB116_39 Depth=1
	v_cmp_gt_i32_e64 s1, s30, v44
	v_cmp_gt_i32_e32 vcc_lo, s17, v66
	v_cmp_gt_i32_e64 s2, s30, v65
	s_waitcnt vmcnt(0)
	v_cndmask_b32_e64 v11, 0, v33, s1
	v_cmp_gt_i32_e64 s1, s17, v64
	v_cndmask_b32_sdwa v33, v54, v33, vcc_lo dst_sel:DWORD dst_unused:UNUSED_PAD src0_sel:DWORD src1_sel:WORD_1
	v_cndmask_b32_e64 v12, 0, v34, s2
	v_cmp_gt_i32_e64 s2, s17, v63
	s_mov_b32 vcc_lo, s1
	v_cmp_gt_i32_e64 s1, s17, v61
	v_cndmask_b32_sdwa v34, v54, v34, vcc_lo dst_sel:DWORD dst_unused:UNUSED_PAD src0_sel:DWORD src1_sel:WORD_1
	v_cmp_gt_i32_e32 vcc_lo, s30, v62
	v_perm_b32 v33, v33, v11, 0x5040100
	v_perm_b32 v34, v34, v12, 0x5040100
	v_cndmask_b32_e32 v37, 0, v35, vcc_lo
	s_mov_b32 vcc_lo, s2
	v_cndmask_b32_sdwa v35, v54, v35, vcc_lo dst_sel:DWORD dst_unused:UNUSED_PAD src0_sel:DWORD src1_sel:WORD_1
	v_cmp_gt_i32_e32 vcc_lo, s30, v60
	v_perm_b32 v35, v35, v37, 0x5040100
	v_cndmask_b32_e32 v38, 0, v36, vcc_lo
	s_mov_b32 vcc_lo, s1
	v_cndmask_b32_sdwa v36, v54, v36, vcc_lo dst_sel:DWORD dst_unused:UNUSED_PAD src0_sel:DWORD src1_sel:WORD_1
	v_perm_b32 v36, v36, v38, 0x5040100
	s_or_b32 exec_lo, exec_lo, s22
	global_load_dwordx4 v[37:40], v[9:10], off offset:1024
	s_and_saveexec_b32 s22, s0
	s_cbranch_execz .LBB116_48
.LBB116_54:                             ;   in Loop: Header=BB116_39 Depth=1
	v_cmp_gt_i32_e64 s1, s30, v44
	v_cmp_gt_i32_e32 vcc_lo, s17, v66
	v_cmp_gt_i32_e64 s2, s30, v65
	s_waitcnt vmcnt(0)
	v_cndmask_b32_e64 v11, 0, v37, s1
	v_cmp_gt_i32_e64 s1, s17, v64
	v_cndmask_b32_sdwa v37, v54, v37, vcc_lo dst_sel:DWORD dst_unused:UNUSED_PAD src0_sel:DWORD src1_sel:WORD_1
	v_cndmask_b32_e64 v12, 0, v38, s2
	v_cmp_gt_i32_e64 s2, s17, v63
	s_mov_b32 vcc_lo, s1
	v_cmp_gt_i32_e64 s1, s17, v61
	v_cndmask_b32_sdwa v38, v54, v38, vcc_lo dst_sel:DWORD dst_unused:UNUSED_PAD src0_sel:DWORD src1_sel:WORD_1
	v_cmp_gt_i32_e32 vcc_lo, s30, v62
	v_perm_b32 v37, v37, v11, 0x5040100
	v_perm_b32 v38, v38, v12, 0x5040100
	v_cndmask_b32_e32 v67, 0, v39, vcc_lo
	s_mov_b32 vcc_lo, s2
	v_cndmask_b32_sdwa v39, v54, v39, vcc_lo dst_sel:DWORD dst_unused:UNUSED_PAD src0_sel:DWORD src1_sel:WORD_1
	v_cmp_gt_i32_e32 vcc_lo, s30, v60
	v_perm_b32 v39, v39, v67, 0x5040100
	v_cndmask_b32_e32 v68, 0, v40, vcc_lo
	s_mov_b32 vcc_lo, s1
	v_cndmask_b32_sdwa v40, v54, v40, vcc_lo dst_sel:DWORD dst_unused:UNUSED_PAD src0_sel:DWORD src1_sel:WORD_1
	v_perm_b32 v40, v40, v68, 0x5040100
	s_or_b32 exec_lo, exec_lo, s22
	global_load_dwordx4 v[9:12], v[9:10], off offset:1536
	s_and_saveexec_b32 s2, s0
	s_cbranch_execz .LBB116_37
.LBB116_55:                             ;   in Loop: Header=BB116_39 Depth=1
	v_cmp_gt_i32_e64 s0, s30, v44
	v_cmp_gt_i32_e32 vcc_lo, s17, v66
	v_cmp_gt_i32_e64 s1, s30, v65
	s_waitcnt vmcnt(0)
	v_cndmask_b32_e64 v66, 0, v9, s0
	v_cmp_gt_i32_e64 s0, s17, v64
	v_cndmask_b32_sdwa v9, v54, v9, vcc_lo dst_sel:DWORD dst_unused:UNUSED_PAD src0_sel:DWORD src1_sel:WORD_1
	v_cndmask_b32_e64 v64, 0, v10, s1
	v_cmp_gt_i32_e64 s1, s17, v63
	s_mov_b32 vcc_lo, s0
	v_cmp_gt_i32_e64 s0, s17, v61
	v_cndmask_b32_sdwa v10, v54, v10, vcc_lo dst_sel:DWORD dst_unused:UNUSED_PAD src0_sel:DWORD src1_sel:WORD_1
	v_cmp_gt_i32_e32 vcc_lo, s30, v62
	v_perm_b32 v9, v9, v66, 0x5040100
	v_perm_b32 v10, v10, v64, 0x5040100
	v_cndmask_b32_e32 v62, 0, v11, vcc_lo
	s_mov_b32 vcc_lo, s1
	v_cndmask_b32_sdwa v11, v54, v11, vcc_lo dst_sel:DWORD dst_unused:UNUSED_PAD src0_sel:DWORD src1_sel:WORD_1
	v_cmp_gt_i32_e32 vcc_lo, s30, v60
	v_perm_b32 v11, v11, v62, 0x5040100
	v_cndmask_b32_e32 v60, 0, v12, vcc_lo
	s_mov_b32 vcc_lo, s0
	v_cndmask_b32_sdwa v12, v54, v12, vcc_lo dst_sel:DWORD dst_unused:UNUSED_PAD src0_sel:DWORD src1_sel:WORD_1
	v_perm_b32 v12, v12, v60, 0x5040100
	s_branch .LBB116_37
.LBB116_56:
	s_or_b32 exec_lo, exec_lo, s15
.LBB116_57:
	s_or_b32 exec_lo, exec_lo, s3
	v_lshl_add_u32 v2, v49, 2, 0x220
	v_and_b32_e32 v3, 0x3c0, v0
	s_mov_b32 s0, exec_lo
	s_barrier
	v_lshl_add_u32 v1, v43, 10, v2
	buffer_gl0_inv
	v_cmpx_eq_u32_e32 64, v3
	s_cbranch_execz .LBB116_59
; %bb.58:
	v_add_nc_u32_e32 v3, 0xfffff800, v1
	v_add_nc_u32_e32 v4, 0xfffff880, v1
	;; [unrolled: 1-line block ×5, first 2 shown]
	ds_write_b32 v3, v53
	ds_write_b32 v4, v52
	;; [unrolled: 1-line block ×3, first 2 shown]
	v_add_nc_u32_e32 v3, 0xfffff980, v1
	v_add_nc_u32_e32 v4, 0xfffffa00, v1
	;; [unrolled: 1-line block ×3, first 2 shown]
	ds_write_b32 v3, v50
	ds_write_b32 v4, v48
	;; [unrolled: 1-line block ×5, first 2 shown]
.LBB116_59:
	s_or_b32 exec_lo, exec_lo, s0
	s_mov_b32 s0, exec_lo
	s_waitcnt lgkmcnt(0)
	s_barrier
	buffer_gl0_inv
	v_cmpx_gt_u32_e32 64, v0
	s_cbranch_execz .LBB116_61
; %bb.60:
	ds_read2_b32 v[3:4], v1 offset1:32
	ds_read2_b32 v[5:6], v1 offset0:64 offset1:96
	ds_read2_b32 v[7:8], v1 offset0:128 offset1:160
	;; [unrolled: 1-line block ×3, first 2 shown]
	s_waitcnt lgkmcnt(3)
	v_add_f32_e32 v53, v53, v3
	v_add_f32_e32 v52, v52, v4
	s_waitcnt lgkmcnt(2)
	v_add_f32_e32 v51, v51, v5
	v_add_f32_e32 v50, v50, v6
	s_waitcnt lgkmcnt(1)
	v_add_f32_e32 v48, v48, v7
	v_add_f32_e32 v47, v47, v8
	s_waitcnt lgkmcnt(0)
	v_add_f32_e32 v46, v46, v9
	v_add_f32_e32 v45, v45, v10
.LBB116_61:
	s_or_b32 exec_lo, exec_lo, s0
	v_and_b32_e32 v3, 0x3e0, v0
	s_mov_b32 s0, exec_lo
	s_barrier
	buffer_gl0_inv
	v_cmpx_eq_u32_e32 32, v3
	s_cbranch_execz .LBB116_63
; %bb.62:
	ds_write2_b32 v2, v53, v52 offset1:32
	ds_write2_b32 v2, v51, v50 offset0:64 offset1:96
	ds_write2_b32 v2, v48, v47 offset0:128 offset1:160
	;; [unrolled: 1-line block ×3, first 2 shown]
.LBB116_63:
	s_or_b32 exec_lo, exec_lo, s0
	v_cmp_gt_u32_e32 vcc_lo, 32, v0
	s_waitcnt lgkmcnt(0)
	s_barrier
	buffer_gl0_inv
	s_and_saveexec_b32 s0, vcc_lo
	s_cbranch_execz .LBB116_65
; %bb.64:
	ds_read2_b32 v[2:3], v1 offset1:32
	ds_read2_b32 v[4:5], v1 offset0:64 offset1:96
	ds_read2_b32 v[6:7], v1 offset0:128 offset1:160
	;; [unrolled: 1-line block ×3, first 2 shown]
	s_waitcnt lgkmcnt(3)
	v_add_f32_e32 v53, v53, v2
	v_add_f32_e32 v52, v52, v3
	s_waitcnt lgkmcnt(2)
	v_add_f32_e32 v51, v51, v4
	v_add_f32_e32 v50, v50, v5
	;; [unrolled: 3-line block ×4, first 2 shown]
.LBB116_65:
	s_or_b32 exec_lo, exec_lo, s0
	s_barrier
	buffer_gl0_inv
	s_and_saveexec_b32 s0, vcc_lo
	s_cbranch_execz .LBB116_67
; %bb.66:
	s_mul_i32 s0, s10, s11
	s_mul_i32 s2, s11, s20
	;; [unrolled: 1-line block ×3, first 2 shown]
	v_bfe_u32 v1, v53, 16, 1
	s_lshl_b32 s0, s0, 8
	v_or_b32_e32 v2, 0x400000, v53
	s_ashr_i32 s1, s0, 31
	v_bfe_u32 v3, v52, 16, 1
	s_lshl_b64 s[0:1], s[0:1], 1
	v_add3_u32 v1, v1, v53, 0x7fff
	s_add_u32 s4, s6, s0
	s_addc_u32 s5, s7, s1
	s_ashr_i32 s3, s2, 31
	v_cmp_u_f32_e32 vcc_lo, v53, v53
	s_lshl_b64 s[0:1], s[2:3], 1
	v_lshlrev_b32_e32 v0, 1, v0
	s_add_u32 s2, s4, s0
	s_addc_u32 s3, s5, s1
	s_lshl_b32 s0, s8, 8
	v_cndmask_b32_e32 v1, v1, v2, vcc_lo
	s_ashr_i32 s1, s0, 31
	v_bfe_u32 v2, v51, 16, 1
	s_lshl_b64 s[0:1], s[0:1], 1
	v_add3_u32 v3, v3, v52, 0x7fff
	v_or_b32_e32 v4, 0x400000, v52
	v_cmp_u_f32_e32 vcc_lo, v52, v52
	s_add_u32 s0, s2, s0
	s_addc_u32 s1, s3, s1
	v_bfe_u32 v5, v46, 16, 1
	global_store_short_d16_hi v0, v1, s[0:1]
	v_add3_u32 v1, v2, v51, 0x7fff
	v_or_b32_e32 v2, 0x400000, v51
	v_cndmask_b32_e32 v3, v3, v4, vcc_lo
	v_bfe_u32 v4, v50, 16, 1
	v_cmp_u_f32_e32 vcc_lo, v51, v51
	v_or_b32_e32 v6, 0x400000, v47
	v_add3_u32 v5, v5, v46, 0x7fff
	global_store_short_d16_hi v0, v3, s[0:1] offset:64
	v_add3_u32 v3, v4, v50, 0x7fff
	v_cndmask_b32_e32 v1, v1, v2, vcc_lo
	v_bfe_u32 v2, v48, 16, 1
	v_or_b32_e32 v4, 0x400000, v50
	v_cmp_u_f32_e32 vcc_lo, v50, v50
	v_or_b32_e32 v7, 0x400000, v46
	global_store_short_d16_hi v0, v1, s[0:1] offset:128
	v_add3_u32 v1, v2, v48, 0x7fff
	v_or_b32_e32 v2, 0x400000, v48
	v_cndmask_b32_e32 v3, v3, v4, vcc_lo
	v_bfe_u32 v4, v47, 16, 1
	v_cmp_u_f32_e32 vcc_lo, v48, v48
	v_or_b32_e32 v8, 0x400000, v45
	v_add3_u32 v4, v4, v47, 0x7fff
	v_cndmask_b32_e32 v1, v1, v2, vcc_lo
	v_cmp_u_f32_e32 vcc_lo, v47, v47
	v_bfe_u32 v2, v45, 16, 1
	v_cndmask_b32_e32 v4, v4, v6, vcc_lo
	v_cmp_u_f32_e32 vcc_lo, v46, v46
	v_add3_u32 v2, v2, v45, 0x7fff
	v_cndmask_b32_e32 v5, v5, v7, vcc_lo
	v_cmp_u_f32_e32 vcc_lo, v45, v45
	v_cndmask_b32_e32 v2, v2, v8, vcc_lo
	global_store_short_d16_hi v0, v3, s[0:1] offset:192
	global_store_short_d16_hi v0, v1, s[0:1] offset:256
	;; [unrolled: 1-line block ×5, first 2 shown]
.LBB116_67:
	s_endpgm
	.section	.rodata,"a",@progbits
	.p2align	6, 0x0
	.amdhsa_kernel _ZN4vllm25paged_attention_v1_kernelI14__hip_bfloat16S1_Li256ELi8ELi128ELNS_18Fp8KVCacheDataTypeE0ELb1EEEvPT_PKS3_PKT0_S9_ifPKiSB_iPKfiiiSD_SD_iiiii
		.amdhsa_group_segment_fixed_size 544
		.amdhsa_private_segment_fixed_size 0
		.amdhsa_kernarg_size 384
		.amdhsa_user_sgpr_count 6
		.amdhsa_user_sgpr_private_segment_buffer 1
		.amdhsa_user_sgpr_dispatch_ptr 0
		.amdhsa_user_sgpr_queue_ptr 0
		.amdhsa_user_sgpr_kernarg_segment_ptr 1
		.amdhsa_user_sgpr_dispatch_id 0
		.amdhsa_user_sgpr_flat_scratch_init 0
		.amdhsa_user_sgpr_private_segment_size 0
		.amdhsa_wavefront_size32 1
		.amdhsa_uses_dynamic_stack 0
		.amdhsa_system_sgpr_private_segment_wavefront_offset 0
		.amdhsa_system_sgpr_workgroup_id_x 1
		.amdhsa_system_sgpr_workgroup_id_y 1
		.amdhsa_system_sgpr_workgroup_id_z 1
		.amdhsa_system_sgpr_workgroup_info 0
		.amdhsa_system_vgpr_workitem_id 0
		.amdhsa_next_free_vgpr 95
		.amdhsa_next_free_sgpr 38
		.amdhsa_reserve_vcc 1
		.amdhsa_reserve_flat_scratch 0
		.amdhsa_float_round_mode_32 0
		.amdhsa_float_round_mode_16_64 0
		.amdhsa_float_denorm_mode_32 3
		.amdhsa_float_denorm_mode_16_64 3
		.amdhsa_dx10_clamp 1
		.amdhsa_ieee_mode 1
		.amdhsa_fp16_overflow 0
		.amdhsa_workgroup_processor_mode 1
		.amdhsa_memory_ordered 1
		.amdhsa_forward_progress 1
		.amdhsa_shared_vgpr_count 0
		.amdhsa_exception_fp_ieee_invalid_op 0
		.amdhsa_exception_fp_denorm_src 0
		.amdhsa_exception_fp_ieee_div_zero 0
		.amdhsa_exception_fp_ieee_overflow 0
		.amdhsa_exception_fp_ieee_underflow 0
		.amdhsa_exception_fp_ieee_inexact 0
		.amdhsa_exception_int_div_zero 0
	.end_amdhsa_kernel
	.section	.text._ZN4vllm25paged_attention_v1_kernelI14__hip_bfloat16S1_Li256ELi8ELi128ELNS_18Fp8KVCacheDataTypeE0ELb1EEEvPT_PKS3_PKT0_S9_ifPKiSB_iPKfiiiSD_SD_iiiii,"axG",@progbits,_ZN4vllm25paged_attention_v1_kernelI14__hip_bfloat16S1_Li256ELi8ELi128ELNS_18Fp8KVCacheDataTypeE0ELb1EEEvPT_PKS3_PKT0_S9_ifPKiSB_iPKfiiiSD_SD_iiiii,comdat
.Lfunc_end116:
	.size	_ZN4vllm25paged_attention_v1_kernelI14__hip_bfloat16S1_Li256ELi8ELi128ELNS_18Fp8KVCacheDataTypeE0ELb1EEEvPT_PKS3_PKT0_S9_ifPKiSB_iPKfiiiSD_SD_iiiii, .Lfunc_end116-_ZN4vllm25paged_attention_v1_kernelI14__hip_bfloat16S1_Li256ELi8ELi128ELNS_18Fp8KVCacheDataTypeE0ELb1EEEvPT_PKS3_PKT0_S9_ifPKiSB_iPKfiiiSD_SD_iiiii
                                        ; -- End function
	.set _ZN4vllm25paged_attention_v1_kernelI14__hip_bfloat16S1_Li256ELi8ELi128ELNS_18Fp8KVCacheDataTypeE0ELb1EEEvPT_PKS3_PKT0_S9_ifPKiSB_iPKfiiiSD_SD_iiiii.num_vgpr, 95
	.set _ZN4vllm25paged_attention_v1_kernelI14__hip_bfloat16S1_Li256ELi8ELi128ELNS_18Fp8KVCacheDataTypeE0ELb1EEEvPT_PKS3_PKT0_S9_ifPKiSB_iPKfiiiSD_SD_iiiii.num_agpr, 0
	.set _ZN4vllm25paged_attention_v1_kernelI14__hip_bfloat16S1_Li256ELi8ELi128ELNS_18Fp8KVCacheDataTypeE0ELb1EEEvPT_PKS3_PKT0_S9_ifPKiSB_iPKfiiiSD_SD_iiiii.numbered_sgpr, 38
	.set _ZN4vllm25paged_attention_v1_kernelI14__hip_bfloat16S1_Li256ELi8ELi128ELNS_18Fp8KVCacheDataTypeE0ELb1EEEvPT_PKS3_PKT0_S9_ifPKiSB_iPKfiiiSD_SD_iiiii.num_named_barrier, 0
	.set _ZN4vllm25paged_attention_v1_kernelI14__hip_bfloat16S1_Li256ELi8ELi128ELNS_18Fp8KVCacheDataTypeE0ELb1EEEvPT_PKS3_PKT0_S9_ifPKiSB_iPKfiiiSD_SD_iiiii.private_seg_size, 0
	.set _ZN4vllm25paged_attention_v1_kernelI14__hip_bfloat16S1_Li256ELi8ELi128ELNS_18Fp8KVCacheDataTypeE0ELb1EEEvPT_PKS3_PKT0_S9_ifPKiSB_iPKfiiiSD_SD_iiiii.uses_vcc, 1
	.set _ZN4vllm25paged_attention_v1_kernelI14__hip_bfloat16S1_Li256ELi8ELi128ELNS_18Fp8KVCacheDataTypeE0ELb1EEEvPT_PKS3_PKT0_S9_ifPKiSB_iPKfiiiSD_SD_iiiii.uses_flat_scratch, 0
	.set _ZN4vllm25paged_attention_v1_kernelI14__hip_bfloat16S1_Li256ELi8ELi128ELNS_18Fp8KVCacheDataTypeE0ELb1EEEvPT_PKS3_PKT0_S9_ifPKiSB_iPKfiiiSD_SD_iiiii.has_dyn_sized_stack, 0
	.set _ZN4vllm25paged_attention_v1_kernelI14__hip_bfloat16S1_Li256ELi8ELi128ELNS_18Fp8KVCacheDataTypeE0ELb1EEEvPT_PKS3_PKT0_S9_ifPKiSB_iPKfiiiSD_SD_iiiii.has_recursion, 0
	.set _ZN4vllm25paged_attention_v1_kernelI14__hip_bfloat16S1_Li256ELi8ELi128ELNS_18Fp8KVCacheDataTypeE0ELb1EEEvPT_PKS3_PKT0_S9_ifPKiSB_iPKfiiiSD_SD_iiiii.has_indirect_call, 0
	.section	.AMDGPU.csdata,"",@progbits
; Kernel info:
; codeLenInByte = 11124
; TotalNumSgprs: 40
; NumVgprs: 95
; ScratchSize: 0
; MemoryBound: 0
; FloatMode: 240
; IeeeMode: 1
; LDSByteSize: 544 bytes/workgroup (compile time only)
; SGPRBlocks: 0
; VGPRBlocks: 11
; NumSGPRsForWavesPerEU: 40
; NumVGPRsForWavesPerEU: 95
; Occupancy: 10
; WaveLimiterHint : 1
; COMPUTE_PGM_RSRC2:SCRATCH_EN: 0
; COMPUTE_PGM_RSRC2:USER_SGPR: 6
; COMPUTE_PGM_RSRC2:TRAP_HANDLER: 0
; COMPUTE_PGM_RSRC2:TGID_X_EN: 1
; COMPUTE_PGM_RSRC2:TGID_Y_EN: 1
; COMPUTE_PGM_RSRC2:TGID_Z_EN: 1
; COMPUTE_PGM_RSRC2:TIDIG_COMP_CNT: 0
	.section	.text._ZN4vllm25paged_attention_v1_kernelI14__hip_bfloat16S1_Li32ELi8ELi128ELNS_18Fp8KVCacheDataTypeE0ELb0EEEvPT_PKS3_PKT0_S9_ifPKiSB_iPKfiiiSD_SD_iiiii,"axG",@progbits,_ZN4vllm25paged_attention_v1_kernelI14__hip_bfloat16S1_Li32ELi8ELi128ELNS_18Fp8KVCacheDataTypeE0ELb0EEEvPT_PKS3_PKT0_S9_ifPKiSB_iPKfiiiSD_SD_iiiii,comdat
	.protected	_ZN4vllm25paged_attention_v1_kernelI14__hip_bfloat16S1_Li32ELi8ELi128ELNS_18Fp8KVCacheDataTypeE0ELb0EEEvPT_PKS3_PKT0_S9_ifPKiSB_iPKfiiiSD_SD_iiiii ; -- Begin function _ZN4vllm25paged_attention_v1_kernelI14__hip_bfloat16S1_Li32ELi8ELi128ELNS_18Fp8KVCacheDataTypeE0ELb0EEEvPT_PKS3_PKT0_S9_ifPKiSB_iPKfiiiSD_SD_iiiii
	.globl	_ZN4vllm25paged_attention_v1_kernelI14__hip_bfloat16S1_Li32ELi8ELi128ELNS_18Fp8KVCacheDataTypeE0ELb0EEEvPT_PKS3_PKT0_S9_ifPKiSB_iPKfiiiSD_SD_iiiii
	.p2align	8
	.type	_ZN4vllm25paged_attention_v1_kernelI14__hip_bfloat16S1_Li32ELi8ELi128ELNS_18Fp8KVCacheDataTypeE0ELb0EEEvPT_PKS3_PKT0_S9_ifPKiSB_iPKfiiiSD_SD_iiiii,@function
_ZN4vllm25paged_attention_v1_kernelI14__hip_bfloat16S1_Li32ELi8ELi128ELNS_18Fp8KVCacheDataTypeE0ELb0EEEvPT_PKS3_PKT0_S9_ifPKiSB_iPKfiiiSD_SD_iiiii: ; @_ZN4vllm25paged_attention_v1_kernelI14__hip_bfloat16S1_Li32ELi8ELi128ELNS_18Fp8KVCacheDataTypeE0ELb0EEEvPT_PKS3_PKT0_S9_ifPKiSB_iPKfiiiSD_SD_iiiii
; %bb.0:
	s_clause 0x2
	s_load_dword s9, s[4:5], 0x80
	s_load_dwordx2 s[0:1], s[4:5], 0x30
	s_load_dwordx2 s[24:25], s[4:5], 0x20
	s_mov_b32 s10, s7
	s_ashr_i32 s11, s7, 31
	s_lshl_b64 s[2:3], s[10:11], 2
	s_waitcnt lgkmcnt(0)
	s_add_u32 s0, s0, s2
	s_addc_u32 s1, s1, s3
	s_abs_i32 s2, s24
	s_abs_i32 s11, s9
	v_cvt_f32_u32_e32 v1, s2
	s_sub_i32 s7, 0, s2
	v_rcp_iflag_f32_e32 v1, v1
	v_mul_f32_e32 v1, 0x4f7ffffe, v1
	v_cvt_u32_f32_e32 v1, v1
	v_readfirstlane_b32 s3, v1
	s_mul_i32 s7, s7, s3
	s_mul_hi_u32 s7, s3, s7
	s_add_i32 s3, s3, s7
	s_xor_b32 s7, s9, s24
	s_mul_hi_u32 s3, s11, s3
	s_ashr_i32 s7, s7, 31
	s_mul_i32 s12, s3, s2
	s_mov_b32 s24, 0
	s_sub_i32 s11, s11, s12
	s_add_i32 s12, s3, 1
	s_sub_i32 s13, s11, s2
	s_cmp_ge_u32 s11, s2
	s_cselect_b32 s3, s12, s3
	s_cselect_b32 s11, s13, s11
	s_add_i32 s12, s3, 1
	s_cmp_ge_u32 s11, s2
	s_cselect_b32 s2, s12, s3
	s_abs_i32 s17, s6
	s_xor_b32 s2, s2, s7
	s_sub_i32 s18, s2, s7
	s_load_dwordx2 s[2:3], s[4:5], 0x40
	s_abs_i32 s16, s18
	v_cvt_f32_u32_e32 v1, s16
	s_sub_i32 s11, 0, s16
	v_rcp_iflag_f32_e32 v1, v1
	v_mul_f32_e32 v1, 0x4f7ffffe, v1
	v_cvt_u32_f32_e32 v1, v1
	v_readfirstlane_b32 s7, v1
	s_mul_i32 s11, s11, s7
	s_mul_hi_u32 s11, s7, s11
	s_add_i32 s7, s7, s11
	s_waitcnt lgkmcnt(0)
	s_cmp_eq_u64 s[2:3], 0
	s_mul_hi_u32 s20, s17, s7
	s_cbranch_scc1 .LBB117_2
; %bb.1:
	s_ashr_i32 s7, s6, 31
	s_lshl_b64 s[12:13], s[6:7], 2
	s_add_u32 s2, s2, s12
	s_addc_u32 s3, s3, s13
	s_load_dword s24, s[2:3], 0x0
.LBB117_2:
	s_load_dword s11, s[0:1], 0x0
	s_load_dwordx4 s[12:15], s[4:5], 0x48
	v_and_b32_e32 v1, 3, v0
	v_lshlrev_b32_e32 v2, 2, v0
	s_ashr_i32 s0, s6, 31
	s_ashr_i32 s1, s18, 31
	s_lshl_b32 s6, s6, 5
	s_mov_b32 s2, exec_lo
	v_cmpx_gt_u32_e32 16, v0
	s_cbranch_execz .LBB117_4
; %bb.3:
	s_load_dwordx2 s[18:19], s[4:5], 0x8
	s_waitcnt lgkmcnt(0)
	s_mul_i32 s22, s12, s10
	v_and_b32_e32 v4, 0x3fc, v0
	s_ashr_i32 s23, s22, 31
	s_lshl_b64 s[22:23], s[22:23], 1
	v_lshl_add_u32 v4, v1, 4, v4
	s_add_u32 s3, s18, s22
	s_addc_u32 s12, s19, s23
	s_ashr_i32 s7, s6, 31
	s_lshl_b64 s[18:19], s[6:7], 1
	s_add_u32 s18, s3, s18
	s_addc_u32 s19, s12, s19
	global_load_dword v3, v2, s[18:19]
	s_waitcnt vmcnt(0)
	ds_write_b32 v4, v3
.LBB117_4:
	s_or_b32 exec_lo, exec_lo, s2
	s_waitcnt lgkmcnt(0)
	s_add_i32 s2, s11, 7
	s_clause 0x1
	s_load_dwordx2 s[18:19], s[4:5], 0x28
	s_load_dword s7, s[4:5], 0x38
	s_ashr_i32 s3, s2, 31
	s_xor_b32 s0, s0, s1
	s_lshr_b32 s3, s3, 29
	s_mul_i32 s1, s20, s16
	s_add_i32 s2, s2, s3
	s_sub_i32 s1, s17, s1
	s_ashr_i32 s12, s2, 3
	s_add_i32 s2, s20, 1
	s_sub_i32 s3, s1, s16
	s_cmp_ge_u32 s1, s16
	v_lshrrev_b32_e32 v15, 5, v0
	s_cselect_b32 s2, s2, s20
	s_cselect_b32 s1, s3, s1
	s_add_i32 s3, s2, 1
	s_cmp_ge_u32 s1, s16
	v_mbcnt_lo_u32_b32 v4, -1, 0
	s_cselect_b32 s1, s3, s2
	s_mov_b32 s2, exec_lo
	s_xor_b32 s1, s1, s0
	s_waitcnt lgkmcnt(0)
	s_mul_i32 s20, s7, s10
	s_sub_i32 s1, s1, s0
	v_cmp_gt_i32_e64 s0, s12, v15
	s_ashr_i32 s21, s20, 31
	s_barrier
	buffer_gl0_inv
                                        ; implicit-def: $vgpr5
                                        ; implicit-def: $vgpr6
	v_cmpx_le_i32_e64 s12, v15
	s_xor_b32 s2, exec_lo, s2
; %bb.5:
	v_mov_b32_e32 v5, 0
	v_mbcnt_lo_u32_b32 v4, -1, 0
	v_mov_b32_e32 v6, 32
                                        ; implicit-def: $vgpr2
                                        ; implicit-def: $vgpr1
; %bb.6:
	s_or_saveexec_b32 s26, s2
	s_clause 0x2
	s_load_dwordx2 s[16:17], s[4:5], 0x0
	s_load_dwordx2 s[22:23], s[4:5], 0x18
	s_load_dword s7, s[4:5], 0x88
	v_mov_b32_e32 v9, 0xff7fffff
	v_lshrrev_b32_e32 v3, 3, v0
	s_mul_i32 s14, s1, s14
	s_xor_b32 exec_lo, exec_lo, s26
	s_cbranch_execz .LBB117_12
; %bb.7:
	s_load_dwordx2 s[2:3], s[4:5], 0x10
	v_lshlrev_b32_e32 v5, 4, v1
	v_bfe_u32 v9, v0, 2, 3
	s_ashr_i32 s15, s14, 31
	v_and_b32_e32 v2, 12, v2
	s_lshl_b64 s[4:5], s[14:15], 1
	ds_read_b128 v[16:19], v5
	v_lshlrev_b32_e32 v7, 4, v9
	v_xor_b32_e32 v6, 2, v4
	v_xor_b32_e32 v20, 1, v4
	v_mov_b32_e32 v5, 0
	v_mov_b32_e32 v23, v15
	s_mov_b32 s15, s13
	s_waitcnt lgkmcnt(0)
	s_add_u32 s1, s2, s4
	s_addc_u32 s2, s3, s5
	v_add_co_u32 v21, s1, s1, v7
	v_add_co_ci_u32_e64 v22, null, s2, 0, s1
	v_lshlrev_b32_e32 v7, 16, v16
	v_and_b32_e32 v8, 0xffff0000, v16
	v_add_co_u32 v16, vcc_lo, v21, v2
	v_lshlrev_b32_e32 v10, 16, v17
	v_and_b32_e32 v11, 0xffff0000, v17
	v_add_co_ci_u32_e64 v17, null, 0, v22, vcc_lo
	v_cmp_gt_i32_e32 vcc_lo, 32, v6
	v_lshlrev_b32_e32 v21, 2, v9
	v_lshlrev_b32_e32 v12, 16, v18
	v_and_b32_e32 v13, 0xffff0000, v18
	v_lshlrev_b32_e32 v14, 16, v19
	v_cndmask_b32_e32 v2, v4, v6, vcc_lo
	v_cmp_gt_i32_e32 vcc_lo, 32, v20
	v_and_b32_e32 v18, 0xffff0000, v19
	s_lshl_b64 s[2:3], s[20:21], 2
	s_sub_i32 s4, 1, s11
	v_lshlrev_b32_e32 v19, 2, v2
	v_cndmask_b32_e32 v20, v4, v20, vcc_lo
	v_cmp_eq_u32_e32 vcc_lo, 0, v1
	v_lshl_or_b32 v1, v15, 5, v21
	v_and_b32_e32 v2, 0x7c, v3
	s_add_u32 s2, s18, s2
	s_addc_u32 s3, s19, s3
	v_mov_b32_e32 v6, 32
	v_add_nc_u32_e32 v22, 0x60, v1
	v_add_co_u32 v1, s2, s2, v2
	v_lshlrev_b32_e32 v20, 2, v20
	v_cmp_neq_f32_e64 s1, s24, 0
	v_lshl_or_b32 v21, v15, 3, v9
	v_add_co_ci_u32_e64 v2, null, s3, 0, s2
	v_mov_b32_e32 v9, 0xff7fffff
	s_mov_b32 s5, 0
	s_branch .LBB117_9
.LBB117_8:                              ;   in Loop: Header=BB117_9 Depth=1
	s_or_b32 exec_lo, exec_lo, s3
	v_add_nc_u32_e32 v23, 4, v23
	v_add_co_u32 v1, s3, v1, 16
	v_add_nc_u32_e32 v21, 32, v21
	v_add_nc_u32_e32 v22, 0x80, v22
	v_cmp_le_i32_e64 s2, s12, v23
	v_add_co_ci_u32_e64 v2, null, 0, v2, s3
	s_or_b32 s5, s2, s5
	s_andn2_b32 exec_lo, exec_lo, s5
	s_cbranch_execz .LBB117_11
.LBB117_9:                              ; =>This Inner Loop Header: Depth=1
	global_load_dword v24, v[1:2], off
	s_waitcnt vmcnt(0) lgkmcnt(0)
	v_mad_i64_i32 v[24:25], null, v24, s15, 0
	v_lshlrev_b64 v[24:25], 1, v[24:25]
	v_add_co_u32 v24, s2, v16, v24
	v_add_co_ci_u32_e64 v25, null, v17, v25, s2
	s_clause 0x3
	global_load_dword v26, v[24:25], off offset:128
	global_load_dword v27, v[24:25], off
	global_load_dword v28, v[24:25], off offset:256
	global_load_dword v24, v[24:25], off offset:384
	s_waitcnt vmcnt(3)
	v_lshlrev_b32_e32 v25, 16, v26
	v_and_b32_e32 v26, 0xffff0000, v26
	s_waitcnt vmcnt(2)
	v_lshlrev_b32_e32 v29, 16, v27
	v_and_b32_e32 v27, 0xffff0000, v27
	s_waitcnt vmcnt(1)
	v_lshlrev_b32_e32 v30, 16, v28
	v_mul_f32_e32 v25, v10, v25
	v_mul_f32_e32 v26, v11, v26
	v_and_b32_e32 v28, 0xffff0000, v28
	v_fmac_f32_e32 v25, v7, v29
	v_fmac_f32_e32 v26, v8, v27
	s_waitcnt vmcnt(0)
	v_lshlrev_b32_e32 v27, 16, v24
	v_and_b32_e32 v24, 0xffff0000, v24
	v_fmac_f32_e32 v25, v12, v30
	v_fmac_f32_e32 v26, v13, v28
	;; [unrolled: 1-line block ×4, first 2 shown]
	v_add_f32_e32 v24, v25, v26
	ds_bpermute_b32 v25, v19, v24
	s_waitcnt lgkmcnt(0)
	v_add_f32_e32 v24, v24, v25
	ds_bpermute_b32 v25, v20, v24
	s_and_saveexec_b32 s3, vcc_lo
	s_cbranch_execz .LBB117_8
; %bb.10:                               ;   in Loop: Header=BB117_9 Depth=1
	v_add_nc_u32_e32 v26, s4, v21
	s_waitcnt lgkmcnt(0)
	v_add_f32_e32 v24, v24, v25
	v_cmp_gt_i32_e64 s2, s11, v21
	v_cvt_f32_i32_e32 v26, v26
	v_mul_f32_e32 v26, s24, v26
	v_cndmask_b32_e64 v25, 0, v26, s1
	v_max_f32_e32 v26, v9, v9
	v_fmac_f32_e32 v25, s25, v24
	v_max_f32_e32 v24, v26, v25
	v_cndmask_b32_e64 v25, 0, v25, s2
	v_cndmask_b32_e64 v9, v9, v24, s2
	ds_write_b32 v22, v25
	s_branch .LBB117_8
.LBB117_11:
	s_or_b32 exec_lo, exec_lo, s5
.LBB117_12:
	s_or_b32 exec_lo, exec_lo, s26
	v_xor_b32_e32 v1, 16, v4
	v_xor_b32_e32 v7, 8, v4
	v_max_f32_e32 v8, v9, v9
	v_and_b32_e32 v16, 31, v0
	v_cmp_lt_i32_e32 vcc_lo, v1, v6
	v_cndmask_b32_e32 v1, v4, v1, vcc_lo
	v_cmp_lt_i32_e32 vcc_lo, v7, v6
	v_lshlrev_b32_e32 v2, 2, v1
	v_cndmask_b32_e32 v7, v4, v7, vcc_lo
	ds_bpermute_b32 v1, v2, v9
	v_lshlrev_b32_e32 v7, 2, v7
	v_xor_b32_e32 v9, 4, v4
	v_cmp_lt_i32_e32 vcc_lo, v9, v6
	v_cndmask_b32_e32 v9, v4, v9, vcc_lo
	v_cmp_eq_u32_e32 vcc_lo, 0, v16
	v_lshlrev_b32_e32 v10, 2, v9
	s_waitcnt lgkmcnt(0)
	v_max_f32_e32 v1, v1, v1
	v_max_f32_e32 v1, v8, v1
	ds_bpermute_b32 v8, v7, v1
	s_waitcnt lgkmcnt(0)
	v_max_f32_e32 v8, v8, v8
	v_max_f32_e32 v1, v1, v8
	v_lshlrev_b32_e32 v8, 2, v15
	ds_bpermute_b32 v9, v10, v1
	s_and_saveexec_b32 s1, vcc_lo
	s_cbranch_execz .LBB117_14
; %bb.13:
	s_waitcnt lgkmcnt(0)
	v_max_f32_e32 v9, v9, v9
	v_max_f32_e32 v1, v1, v1
	;; [unrolled: 1-line block ×3, first 2 shown]
	ds_write_b32 v8, v1 offset:64
.LBB117_14:
	s_or_b32 exec_lo, exec_lo, s1
	v_cmp_gt_u32_e64 s1, 4, v16
	v_mov_b32_e32 v1, 0xff7fffff
	s_waitcnt lgkmcnt(0)
	v_lshlrev_b32_e32 v9, 2, v16
	s_barrier
	buffer_gl0_inv
	s_and_saveexec_b32 s2, s1
; %bb.15:
	ds_read_b32 v1, v9 offset:64
; %bb.16:
	s_or_b32 exec_lo, exec_lo, s2
	v_xor_b32_e32 v11, 2, v4
	v_xor_b32_e32 v13, 1, v4
	v_lshlrev_b32_e32 v5, 2, v5
	v_cmp_lt_i32_e64 s2, v11, v6
	v_cndmask_b32_e64 v11, v4, v11, s2
	v_cmp_lt_i32_e64 s2, v13, v6
	v_lshlrev_b32_e32 v11, 2, v11
	v_cndmask_b32_e64 v6, v4, v13, s2
	s_lshl_b32 s2, s12, 3
	s_min_i32 s4, s2, s11
	s_waitcnt lgkmcnt(0)
	ds_bpermute_b32 v12, v11, v1
	v_max_f32_e32 v1, v1, v1
	v_lshlrev_b32_e32 v6, 2, v6
	v_cmp_gt_i32_e64 s2, s4, v0
	s_waitcnt lgkmcnt(0)
	v_max_f32_e32 v12, v12, v12
	v_max_f32_e32 v1, v1, v12
	ds_bpermute_b32 v12, v6, v1
	s_waitcnt lgkmcnt(0)
	v_max_f32_e32 v12, v12, v12
	v_max_f32_e32 v1, v1, v12
	ds_bpermute_b32 v12, v5, v1
	v_mov_b32_e32 v5, 0
	v_lshl_add_u32 v1, v0, 2, 0x60
	s_and_saveexec_b32 s5, s2
	s_cbranch_execz .LBB117_20
; %bb.17:
	v_lshl_add_u32 v13, v0, 2, 0x60
	v_mov_b32_e32 v5, 0
	v_mov_b32_e32 v14, v0
	s_mov_b32 s15, 0
	.p2align	6
.LBB117_18:                             ; =>This Inner Loop Header: Depth=1
	ds_read_b32 v17, v13
	v_add_nc_u32_e32 v14, 0x80, v14
	v_cmp_le_i32_e64 s3, s4, v14
	s_or_b32 s15, s3, s15
	s_waitcnt lgkmcnt(0)
	v_sub_f32_e32 v17, v17, v12
	v_mul_f32_e32 v17, 0x3fb8aa3b, v17
	v_exp_f32_e32 v17, v17
	ds_write_b32 v13, v17
	v_add_f32_e32 v5, v5, v17
	v_add_nc_u32_e32 v13, 0x200, v13
	s_andn2_b32 exec_lo, exec_lo, s15
	s_cbranch_execnz .LBB117_18
; %bb.19:
	s_or_b32 exec_lo, exec_lo, s15
.LBB117_20:
	s_or_b32 exec_lo, exec_lo, s5
	ds_bpermute_b32 v2, v2, v5
	s_waitcnt lgkmcnt(0)
	v_add_f32_e32 v2, v5, v2
	ds_bpermute_b32 v5, v7, v2
	s_waitcnt lgkmcnt(0)
	v_add_f32_e32 v2, v2, v5
	;; [unrolled: 3-line block ×5, first 2 shown]
	s_and_saveexec_b32 s3, vcc_lo
; %bb.21:
	ds_write_b32 v8, v2 offset:80
; %bb.22:
	s_or_b32 exec_lo, exec_lo, s3
	s_waitcnt lgkmcnt(0)
	s_barrier
	buffer_gl0_inv
	s_and_saveexec_b32 s3, s1
; %bb.23:
	ds_read_b32 v2, v9 offset:80
; %bb.24:
	s_or_b32 exec_lo, exec_lo, s3
	s_waitcnt lgkmcnt(0)
	ds_bpermute_b32 v5, v11, v2
	v_lshlrev_b32_e32 v4, 2, v4
	v_and_b32_e32 v4, 0xffffff80, v4
	s_waitcnt lgkmcnt(0)
	v_add_f32_e32 v2, v2, v5
	ds_bpermute_b32 v5, v6, v2
	s_waitcnt lgkmcnt(0)
	v_add_f32_e32 v2, v2, v5
	ds_bpermute_b32 v2, v4, v2
	s_and_saveexec_b32 s1, s2
	s_cbranch_execz .LBB117_27
; %bb.25:
	s_waitcnt lgkmcnt(0)
	v_add_f32_e32 v2, 0x358637bd, v2
	s_mov_b32 s2, 0
	v_div_scale_f32 v4, null, v2, v2, 1.0
	v_div_scale_f32 v7, vcc_lo, 1.0, v2, 1.0
	v_rcp_f32_e32 v5, v4
	v_fma_f32 v6, -v4, v5, 1.0
	v_fmac_f32_e32 v5, v6, v5
	v_mul_f32_e32 v6, v7, v5
	v_fma_f32 v8, -v4, v6, v7
	v_fmac_f32_e32 v6, v8, v5
	v_fma_f32 v4, -v4, v6, v7
	v_div_fmas_f32 v4, v4, v5, v6
	v_div_fixup_f32 v2, v4, v2, 1.0
	v_mov_b32_e32 v4, v0
.LBB117_26:                             ; =>This Inner Loop Header: Depth=1
	ds_read_b32 v5, v1
	v_add_nc_u32_e32 v4, 0x80, v4
	v_cmp_le_i32_e32 vcc_lo, s4, v4
	s_or_b32 s2, vcc_lo, s2
	s_waitcnt lgkmcnt(0)
	v_mul_f32_e32 v5, v2, v5
	ds_write_b32 v1, v5
	v_add_nc_u32_e32 v1, 0x200, v1
	s_andn2_b32 exec_lo, exec_lo, s2
	s_cbranch_execnz .LBB117_26
.LBB117_27:
	s_or_b32 exec_lo, exec_lo, s1
	v_mov_b32_e32 v17, 0
	s_waitcnt lgkmcnt(0)
	s_barrier
	buffer_gl0_inv
	s_and_saveexec_b32 s2, s0
	s_cbranch_execz .LBB117_33
; %bb.28:
	s_ashr_i32 s15, s14, 31
	v_lshlrev_b32_e32 v1, 4, v16
	s_lshl_b64 s[0:1], s[14:15], 1
	v_mov_b32_e32 v18, 0
	s_add_u32 s0, s22, s0
	s_addc_u32 s1, s23, s1
	v_add_co_u32 v19, s0, s0, v1
	v_and_b32_e32 v1, 0x7c, v3
	v_add_co_ci_u32_e64 v20, null, s1, 0, s0
	s_lshl_b64 s[0:1], s[20:21], 2
	s_add_i32 s3, s12, -1
	s_add_u32 s0, s18, s0
	s_addc_u32 s1, s19, s1
	v_add_co_u32 v13, s0, s0, v1
	v_lshlrev_b32_e32 v21, 3, v15
	v_lshl_add_u32 v22, v15, 5, 0x60
	v_add_co_ci_u32_e64 v14, null, s1, 0, s0
	v_mov_b32_e32 v23, v15
	v_mov_b32_e32 v17, 0
	s_mov_b32 s4, s13
	s_mov_b32 s13, s11
	;; [unrolled: 1-line block ×3, first 2 shown]
	s_branch .LBB117_30
.LBB117_29:                             ;   in Loop: Header=BB117_30 Depth=1
	s_or_b32 exec_lo, exec_lo, s14
	s_waitcnt lgkmcnt(1)
	v_bfe_u32 v24, v9, 16, 1
	v_or_b32_e32 v25, 0x400000, v9
	v_bfe_u32 v26, v10, 16, 1
	v_cmp_u_f32_e32 vcc_lo, v9, v9
	v_bfe_u32 v27, v11, 16, 1
	v_add3_u32 v24, v24, v9, 0x7fff
	v_or_b32_e32 v28, 0x400000, v10
	v_add3_u32 v26, v26, v10, 0x7fff
	v_or_b32_e32 v29, 0x400000, v11
	v_add3_u32 v27, v27, v11, 0x7fff
	v_cndmask_b32_e32 v9, v24, v25, vcc_lo
	v_cmp_u_f32_e32 vcc_lo, v10, v10
	v_bfe_u32 v24, v12, 16, 1
	s_waitcnt lgkmcnt(0)
	v_bfe_u32 v25, v5, 16, 1
	v_add_nc_u32_e32 v23, 4, v23
	v_and_b32_e32 v9, 0xffff0000, v9
	v_cndmask_b32_e32 v10, v26, v28, vcc_lo
	v_cmp_u_f32_e32 vcc_lo, v11, v11
	v_add3_u32 v24, v24, v12, 0x7fff
	v_or_b32_e32 v26, 0x400000, v12
	v_add3_u32 v25, v25, v5, 0x7fff
	v_bfe_u32 v28, v6, 16, 1
	v_cndmask_b32_e32 v11, v27, v29, vcc_lo
	v_cmp_u_f32_e32 vcc_lo, v12, v12
	v_or_b32_e32 v27, 0x400000, v5
	v_and_b32_e32 v10, 0xffff0000, v10
	v_add_co_u32 v13, s0, v13, 16
	v_cndmask_b32_e32 v12, v24, v26, vcc_lo
	v_cmp_u_f32_e32 vcc_lo, v5, v5
	v_add3_u32 v24, v28, v6, 0x7fff
	v_bfe_u32 v26, v7, 16, 1
	v_add_nc_u32_e32 v21, 32, v21
	v_add_nc_u32_e32 v22, 0x80, v22
	v_cndmask_b32_e32 v5, v25, v27, vcc_lo
	v_or_b32_e32 v25, 0x400000, v6
	s_waitcnt vmcnt(0)
	v_lshlrev_b32_e32 v27, 16, v1
	v_cmp_u_f32_e32 vcc_lo, v6, v6
	v_and_b32_e32 v1, 0xffff0000, v1
	v_and_b32_e32 v5, 0xffff0000, v5
	v_add_co_ci_u32_e64 v14, null, 0, v14, s0
	v_cndmask_b32_e32 v6, v24, v25, vcc_lo
	v_add3_u32 v24, v26, v7, 0x7fff
	v_or_b32_e32 v25, 0x400000, v7
	v_bfe_u32 v26, v8, 16, 1
	v_mul_f32_e32 v9, v9, v27
	v_cmp_u_f32_e32 vcc_lo, v7, v7
	v_mul_f32_e32 v1, v10, v1
	v_and_b32_e32 v10, 0xffff0000, v11
	v_lshlrev_b32_e32 v11, 16, v2
	v_and_b32_e32 v2, 0xffff0000, v2
	v_cndmask_b32_e32 v7, v24, v25, vcc_lo
	v_add3_u32 v24, v26, v8, 0x7fff
	v_or_b32_e32 v25, 0x400000, v8
	v_bfe_u32 v26, v9, 16, 1
	v_cmp_u_f32_e32 vcc_lo, v8, v8
	v_mul_f32_e32 v10, v10, v11
	v_and_b32_e32 v11, 0xffff0000, v12
	v_and_b32_e32 v6, 0xffff0000, v6
	v_cndmask_b32_e32 v8, v24, v25, vcc_lo
	v_add3_u32 v24, v26, v9, 0x7fff
	v_or_b32_e32 v25, 0x400000, v9
	v_bfe_u32 v26, v1, 16, 1
	v_cmp_u_f32_e32 vcc_lo, v9, v9
	v_mul_f32_e32 v2, v11, v2
	v_lshlrev_b32_e32 v11, 16, v3
	v_and_b32_e32 v3, 0xffff0000, v3
	v_add3_u32 v12, v26, v1, 0x7fff
	v_cndmask_b32_e32 v9, v24, v25, vcc_lo
	v_or_b32_e32 v24, 0x400000, v1
	v_bfe_u32 v25, v10, 16, 1
	v_cmp_u_f32_e32 vcc_lo, v1, v1
	v_mul_f32_e32 v5, v5, v11
	v_mul_f32_e32 v3, v6, v3
	v_and_b32_e32 v6, 0xffff0000, v7
	v_lshlrev_b32_e32 v7, 16, v4
	v_cndmask_b32_e32 v1, v12, v24, vcc_lo
	v_add3_u32 v12, v25, v10, 0x7fff
	v_or_b32_e32 v24, 0x400000, v10
	v_bfe_u32 v25, v2, 16, 1
	v_cmp_u_f32_e32 vcc_lo, v10, v10
	v_and_b32_e32 v8, 0xffff0000, v8
	v_and_b32_e32 v4, 0xffff0000, v4
	v_mul_f32_e32 v6, v6, v7
	v_add3_u32 v11, v25, v2, 0x7fff
	v_cndmask_b32_e32 v10, v12, v24, vcc_lo
	v_or_b32_e32 v12, 0x400000, v2
	v_bfe_u32 v24, v5, 16, 1
	v_cmp_u_f32_e32 vcc_lo, v2, v2
	v_mul_f32_e32 v4, v8, v4
	v_or_b32_e32 v7, 0x400000, v5
	v_and_b32_e32 v1, 0xffff0000, v1
	v_and_b32_e32 v9, 0xffff0000, v9
	v_cndmask_b32_e32 v2, v11, v12, vcc_lo
	v_bfe_u32 v11, v3, 16, 1
	v_add3_u32 v12, v24, v5, 0x7fff
	v_cmp_u_f32_e32 vcc_lo, v5, v5
	v_bfe_u32 v25, v4, 16, 1
	v_bfe_u32 v24, v6, 16, 1
	v_add3_u32 v8, v11, v3, 0x7fff
	v_or_b32_e32 v11, 0x400000, v3
	v_cndmask_b32_e32 v5, v12, v7, vcc_lo
	v_cmp_u_f32_e32 vcc_lo, v3, v3
	v_add3_u32 v7, v24, v6, 0x7fff
	v_and_b32_e32 v2, 0xffff0000, v2
	v_and_b32_e32 v10, 0xffff0000, v10
	v_or_b32_e32 v12, 0x400000, v6
	v_cndmask_b32_e32 v3, v8, v11, vcc_lo
	v_add3_u32 v8, v25, v4, 0x7fff
	v_or_b32_e32 v11, 0x400000, v4
	v_cmp_u_f32_e32 vcc_lo, v4, v4
	v_add_f32_e32 v1, v9, v1
	v_add_f32_e32 v2, v10, v2
	v_and_b32_e32 v3, 0xffff0000, v3
	v_and_b32_e32 v5, 0xffff0000, v5
	v_cndmask_b32_e32 v4, v8, v11, vcc_lo
	v_cmp_u_f32_e32 vcc_lo, v6, v6
	v_add_f32_e32 v1, v2, v1
	v_add_f32_e32 v2, v5, v3
	v_and_b32_e32 v3, 0xffff0000, v4
	v_cndmask_b32_e32 v6, v7, v12, vcc_lo
	v_cmp_le_i32_e32 vcc_lo, s12, v23
	v_add_f32_e32 v1, v2, v1
	v_and_b32_e32 v4, 0xffff0000, v6
	s_or_b32 s5, vcc_lo, s5
	v_add_f32_e32 v2, v4, v3
	v_add_f32_e32 v1, v2, v1
	;; [unrolled: 1-line block ×3, first 2 shown]
	s_andn2_b32 exec_lo, exec_lo, s5
	s_cbranch_execz .LBB117_32
.LBB117_30:                             ; =>This Inner Loop Header: Depth=1
	global_load_dword v1, v[13:14], off
	s_mov_b32 s14, exec_lo
	s_waitcnt vmcnt(0)
	v_mad_i64_i32 v[1:2], null, v1, s4, 0
	v_lshlrev_b64 v[1:2], 1, v[1:2]
	v_add_co_u32 v1, vcc_lo, v19, v1
	v_add_co_ci_u32_e64 v2, null, v20, v2, vcc_lo
	global_load_dwordx4 v[1:4], v[1:2], off
	ds_read2_b64 v[9:12], v22 offset1:1
	ds_read2_b64 v[5:8], v22 offset0:2 offset1:3
	v_cmpx_eq_u32_e64 s3, v23
	s_cbranch_execz .LBB117_29
; %bb.31:                               ;   in Loop: Header=BB117_30 Depth=1
	v_add_nc_u32_e32 v24, 1, v21
	v_or_b32_e32 v25, 3, v21
	v_cmp_gt_i32_e32 vcc_lo, s11, v21
	v_or_b32_e32 v26, 2, v21
	v_or_b32_e32 v28, 7, v21
	v_cmp_gt_i32_e64 s0, s13, v25
	s_waitcnt vmcnt(0)
	v_cndmask_b32_e32 v27, 0, v1, vcc_lo
	v_cmp_gt_i32_e32 vcc_lo, s13, v24
	v_cmp_gt_i32_e64 s1, s11, v26
	v_or_b32_e32 v25, 5, v21
	v_or_b32_e32 v26, 4, v21
	v_cndmask_b32_sdwa v1, v18, v1, vcc_lo dst_sel:DWORD dst_unused:UNUSED_PAD src0_sel:DWORD src1_sel:WORD_1
	s_mov_b32 vcc_lo, s0
	v_cndmask_b32_e64 v24, 0, v2, s1
	v_cndmask_b32_sdwa v2, v18, v2, vcc_lo dst_sel:DWORD dst_unused:UNUSED_PAD src0_sel:DWORD src1_sel:WORD_1
	v_cmp_gt_i32_e32 vcc_lo, s13, v25
	v_cmp_gt_i32_e64 s0, s11, v26
	v_or_b32_e32 v26, 6, v21
	v_perm_b32 v1, v1, v27, 0x5040100
	v_perm_b32 v2, v2, v24, 0x5040100
	v_cndmask_b32_e64 v25, 0, v3, s0
	v_cmp_gt_i32_e64 s0, s13, v28
	v_cndmask_b32_sdwa v3, v18, v3, vcc_lo dst_sel:DWORD dst_unused:UNUSED_PAD src0_sel:DWORD src1_sel:WORD_1
	v_cmp_gt_i32_e32 vcc_lo, s11, v26
	v_perm_b32 v3, v3, v25, 0x5040100
	v_cndmask_b32_e32 v26, 0, v4, vcc_lo
	s_mov_b32 vcc_lo, s0
	v_cndmask_b32_sdwa v4, v18, v4, vcc_lo dst_sel:DWORD dst_unused:UNUSED_PAD src0_sel:DWORD src1_sel:WORD_1
	v_perm_b32 v4, v4, v26, 0x5040100
	s_branch .LBB117_29
.LBB117_32:
	s_or_b32 exec_lo, exec_lo, s5
.LBB117_33:
	s_or_b32 exec_lo, exec_lo, s2
	v_and_b32_e32 v2, 0x3c0, v0
	v_lshl_add_u32 v1, v16, 2, 0x60
	s_mov_b32 s0, exec_lo
	s_barrier
	buffer_gl0_inv
	v_cmpx_eq_u32_e32 64, v2
; %bb.34:
	v_lshlrev_b32_e32 v2, 7, v15
	v_add3_u32 v2, v1, v2, 0xffffff00
	ds_write_b32 v2, v17
; %bb.35:
	s_or_b32 exec_lo, exec_lo, s0
	v_and_b32_e32 v3, 0x3e0, v0
	s_mov_b32 s0, exec_lo
	s_waitcnt lgkmcnt(0)
	s_barrier
	buffer_gl0_inv
	v_lshl_add_u32 v2, v3, 2, v1
	v_cmpx_gt_u32_e32 64, v0
	s_cbranch_execz .LBB117_37
; %bb.36:
	ds_read_b32 v4, v2
	s_waitcnt lgkmcnt(0)
	v_add_f32_e32 v17, v17, v4
.LBB117_37:
	s_or_b32 exec_lo, exec_lo, s0
	s_mov_b32 s0, exec_lo
	s_barrier
	buffer_gl0_inv
	v_cmpx_eq_u32_e32 32, v3
; %bb.38:
	ds_write_b32 v1, v17
; %bb.39:
	s_or_b32 exec_lo, exec_lo, s0
	v_cmp_gt_u32_e32 vcc_lo, 32, v0
	s_waitcnt lgkmcnt(0)
	s_barrier
	buffer_gl0_inv
	s_and_saveexec_b32 s0, vcc_lo
	s_cbranch_execz .LBB117_41
; %bb.40:
	ds_read_b32 v0, v2
	s_waitcnt lgkmcnt(0)
	v_add_f32_e32 v17, v17, v0
.LBB117_41:
	s_or_b32 exec_lo, exec_lo, s0
	s_barrier
	buffer_gl0_inv
	s_and_saveexec_b32 s0, vcc_lo
	s_cbranch_execz .LBB117_43
; %bb.42:
	s_mul_i32 s0, s10, s7
	s_mul_i32 s2, s7, s6
	s_mul_i32 s0, s0, s9
	v_bfe_u32 v0, v17, 16, 1
	s_lshl_b32 s0, s0, 5
	v_or_b32_e32 v1, 0x400000, v17
	s_ashr_i32 s1, s0, 31
	v_cmp_u_f32_e32 vcc_lo, v17, v17
	s_lshl_b64 s[0:1], s[0:1], 1
	v_add3_u32 v0, v0, v17, 0x7fff
	s_add_u32 s4, s16, s0
	s_addc_u32 s5, s17, s1
	s_ashr_i32 s3, s2, 31
	v_lshlrev_b32_e32 v2, 1, v16
	s_lshl_b64 s[0:1], s[2:3], 1
	v_cndmask_b32_e32 v0, v0, v1, vcc_lo
	s_add_u32 s2, s4, s0
	s_addc_u32 s3, s5, s1
	s_lshl_b32 s0, s8, 5
	s_ashr_i32 s1, s0, 31
	s_lshl_b64 s[0:1], s[0:1], 1
	s_add_u32 s0, s2, s0
	s_addc_u32 s1, s3, s1
	global_store_short_d16_hi v2, v0, s[0:1]
.LBB117_43:
	s_endpgm
	.section	.rodata,"a",@progbits
	.p2align	6, 0x0
	.amdhsa_kernel _ZN4vllm25paged_attention_v1_kernelI14__hip_bfloat16S1_Li32ELi8ELi128ELNS_18Fp8KVCacheDataTypeE0ELb0EEEvPT_PKS3_PKT0_S9_ifPKiSB_iPKfiiiSD_SD_iiiii
		.amdhsa_group_segment_fixed_size 96
		.amdhsa_private_segment_fixed_size 0
		.amdhsa_kernarg_size 384
		.amdhsa_user_sgpr_count 6
		.amdhsa_user_sgpr_private_segment_buffer 1
		.amdhsa_user_sgpr_dispatch_ptr 0
		.amdhsa_user_sgpr_queue_ptr 0
		.amdhsa_user_sgpr_kernarg_segment_ptr 1
		.amdhsa_user_sgpr_dispatch_id 0
		.amdhsa_user_sgpr_flat_scratch_init 0
		.amdhsa_user_sgpr_private_segment_size 0
		.amdhsa_wavefront_size32 1
		.amdhsa_uses_dynamic_stack 0
		.amdhsa_system_sgpr_private_segment_wavefront_offset 0
		.amdhsa_system_sgpr_workgroup_id_x 1
		.amdhsa_system_sgpr_workgroup_id_y 1
		.amdhsa_system_sgpr_workgroup_id_z 1
		.amdhsa_system_sgpr_workgroup_info 0
		.amdhsa_system_vgpr_workitem_id 0
		.amdhsa_next_free_vgpr 31
		.amdhsa_next_free_sgpr 27
		.amdhsa_reserve_vcc 1
		.amdhsa_reserve_flat_scratch 0
		.amdhsa_float_round_mode_32 0
		.amdhsa_float_round_mode_16_64 0
		.amdhsa_float_denorm_mode_32 3
		.amdhsa_float_denorm_mode_16_64 3
		.amdhsa_dx10_clamp 1
		.amdhsa_ieee_mode 1
		.amdhsa_fp16_overflow 0
		.amdhsa_workgroup_processor_mode 1
		.amdhsa_memory_ordered 1
		.amdhsa_forward_progress 1
		.amdhsa_shared_vgpr_count 0
		.amdhsa_exception_fp_ieee_invalid_op 0
		.amdhsa_exception_fp_denorm_src 0
		.amdhsa_exception_fp_ieee_div_zero 0
		.amdhsa_exception_fp_ieee_overflow 0
		.amdhsa_exception_fp_ieee_underflow 0
		.amdhsa_exception_fp_ieee_inexact 0
		.amdhsa_exception_int_div_zero 0
	.end_amdhsa_kernel
	.section	.text._ZN4vllm25paged_attention_v1_kernelI14__hip_bfloat16S1_Li32ELi8ELi128ELNS_18Fp8KVCacheDataTypeE0ELb0EEEvPT_PKS3_PKT0_S9_ifPKiSB_iPKfiiiSD_SD_iiiii,"axG",@progbits,_ZN4vllm25paged_attention_v1_kernelI14__hip_bfloat16S1_Li32ELi8ELi128ELNS_18Fp8KVCacheDataTypeE0ELb0EEEvPT_PKS3_PKT0_S9_ifPKiSB_iPKfiiiSD_SD_iiiii,comdat
.Lfunc_end117:
	.size	_ZN4vllm25paged_attention_v1_kernelI14__hip_bfloat16S1_Li32ELi8ELi128ELNS_18Fp8KVCacheDataTypeE0ELb0EEEvPT_PKS3_PKT0_S9_ifPKiSB_iPKfiiiSD_SD_iiiii, .Lfunc_end117-_ZN4vllm25paged_attention_v1_kernelI14__hip_bfloat16S1_Li32ELi8ELi128ELNS_18Fp8KVCacheDataTypeE0ELb0EEEvPT_PKS3_PKT0_S9_ifPKiSB_iPKfiiiSD_SD_iiiii
                                        ; -- End function
	.set _ZN4vllm25paged_attention_v1_kernelI14__hip_bfloat16S1_Li32ELi8ELi128ELNS_18Fp8KVCacheDataTypeE0ELb0EEEvPT_PKS3_PKT0_S9_ifPKiSB_iPKfiiiSD_SD_iiiii.num_vgpr, 31
	.set _ZN4vllm25paged_attention_v1_kernelI14__hip_bfloat16S1_Li32ELi8ELi128ELNS_18Fp8KVCacheDataTypeE0ELb0EEEvPT_PKS3_PKT0_S9_ifPKiSB_iPKfiiiSD_SD_iiiii.num_agpr, 0
	.set _ZN4vllm25paged_attention_v1_kernelI14__hip_bfloat16S1_Li32ELi8ELi128ELNS_18Fp8KVCacheDataTypeE0ELb0EEEvPT_PKS3_PKT0_S9_ifPKiSB_iPKfiiiSD_SD_iiiii.numbered_sgpr, 27
	.set _ZN4vllm25paged_attention_v1_kernelI14__hip_bfloat16S1_Li32ELi8ELi128ELNS_18Fp8KVCacheDataTypeE0ELb0EEEvPT_PKS3_PKT0_S9_ifPKiSB_iPKfiiiSD_SD_iiiii.num_named_barrier, 0
	.set _ZN4vllm25paged_attention_v1_kernelI14__hip_bfloat16S1_Li32ELi8ELi128ELNS_18Fp8KVCacheDataTypeE0ELb0EEEvPT_PKS3_PKT0_S9_ifPKiSB_iPKfiiiSD_SD_iiiii.private_seg_size, 0
	.set _ZN4vllm25paged_attention_v1_kernelI14__hip_bfloat16S1_Li32ELi8ELi128ELNS_18Fp8KVCacheDataTypeE0ELb0EEEvPT_PKS3_PKT0_S9_ifPKiSB_iPKfiiiSD_SD_iiiii.uses_vcc, 1
	.set _ZN4vllm25paged_attention_v1_kernelI14__hip_bfloat16S1_Li32ELi8ELi128ELNS_18Fp8KVCacheDataTypeE0ELb0EEEvPT_PKS3_PKT0_S9_ifPKiSB_iPKfiiiSD_SD_iiiii.uses_flat_scratch, 0
	.set _ZN4vllm25paged_attention_v1_kernelI14__hip_bfloat16S1_Li32ELi8ELi128ELNS_18Fp8KVCacheDataTypeE0ELb0EEEvPT_PKS3_PKT0_S9_ifPKiSB_iPKfiiiSD_SD_iiiii.has_dyn_sized_stack, 0
	.set _ZN4vllm25paged_attention_v1_kernelI14__hip_bfloat16S1_Li32ELi8ELi128ELNS_18Fp8KVCacheDataTypeE0ELb0EEEvPT_PKS3_PKT0_S9_ifPKiSB_iPKfiiiSD_SD_iiiii.has_recursion, 0
	.set _ZN4vllm25paged_attention_v1_kernelI14__hip_bfloat16S1_Li32ELi8ELi128ELNS_18Fp8KVCacheDataTypeE0ELb0EEEvPT_PKS3_PKT0_S9_ifPKiSB_iPKfiiiSD_SD_iiiii.has_indirect_call, 0
	.section	.AMDGPU.csdata,"",@progbits
; Kernel info:
; codeLenInByte = 3760
; TotalNumSgprs: 29
; NumVgprs: 31
; ScratchSize: 0
; MemoryBound: 0
; FloatMode: 240
; IeeeMode: 1
; LDSByteSize: 96 bytes/workgroup (compile time only)
; SGPRBlocks: 0
; VGPRBlocks: 3
; NumSGPRsForWavesPerEU: 29
; NumVGPRsForWavesPerEU: 31
; Occupancy: 16
; WaveLimiterHint : 1
; COMPUTE_PGM_RSRC2:SCRATCH_EN: 0
; COMPUTE_PGM_RSRC2:USER_SGPR: 6
; COMPUTE_PGM_RSRC2:TRAP_HANDLER: 0
; COMPUTE_PGM_RSRC2:TGID_X_EN: 1
; COMPUTE_PGM_RSRC2:TGID_Y_EN: 1
; COMPUTE_PGM_RSRC2:TGID_Z_EN: 1
; COMPUTE_PGM_RSRC2:TIDIG_COMP_CNT: 0
	.section	.text._ZN4vllm25paged_attention_v1_kernelI14__hip_bfloat16S1_Li64ELi8ELi128ELNS_18Fp8KVCacheDataTypeE0ELb0EEEvPT_PKS3_PKT0_S9_ifPKiSB_iPKfiiiSD_SD_iiiii,"axG",@progbits,_ZN4vllm25paged_attention_v1_kernelI14__hip_bfloat16S1_Li64ELi8ELi128ELNS_18Fp8KVCacheDataTypeE0ELb0EEEvPT_PKS3_PKT0_S9_ifPKiSB_iPKfiiiSD_SD_iiiii,comdat
	.protected	_ZN4vllm25paged_attention_v1_kernelI14__hip_bfloat16S1_Li64ELi8ELi128ELNS_18Fp8KVCacheDataTypeE0ELb0EEEvPT_PKS3_PKT0_S9_ifPKiSB_iPKfiiiSD_SD_iiiii ; -- Begin function _ZN4vllm25paged_attention_v1_kernelI14__hip_bfloat16S1_Li64ELi8ELi128ELNS_18Fp8KVCacheDataTypeE0ELb0EEEvPT_PKS3_PKT0_S9_ifPKiSB_iPKfiiiSD_SD_iiiii
	.globl	_ZN4vllm25paged_attention_v1_kernelI14__hip_bfloat16S1_Li64ELi8ELi128ELNS_18Fp8KVCacheDataTypeE0ELb0EEEvPT_PKS3_PKT0_S9_ifPKiSB_iPKfiiiSD_SD_iiiii
	.p2align	8
	.type	_ZN4vllm25paged_attention_v1_kernelI14__hip_bfloat16S1_Li64ELi8ELi128ELNS_18Fp8KVCacheDataTypeE0ELb0EEEvPT_PKS3_PKT0_S9_ifPKiSB_iPKfiiiSD_SD_iiiii,@function
_ZN4vllm25paged_attention_v1_kernelI14__hip_bfloat16S1_Li64ELi8ELi128ELNS_18Fp8KVCacheDataTypeE0ELb0EEEvPT_PKS3_PKT0_S9_ifPKiSB_iPKfiiiSD_SD_iiiii: ; @_ZN4vllm25paged_attention_v1_kernelI14__hip_bfloat16S1_Li64ELi8ELi128ELNS_18Fp8KVCacheDataTypeE0ELb0EEEvPT_PKS3_PKT0_S9_ifPKiSB_iPKfiiiSD_SD_iiiii
; %bb.0:
	s_clause 0x2
	s_load_dword s9, s[4:5], 0x80
	s_load_dwordx2 s[0:1], s[4:5], 0x30
	s_load_dwordx2 s[24:25], s[4:5], 0x20
	s_mov_b32 s10, s7
	s_ashr_i32 s11, s7, 31
	s_lshl_b64 s[2:3], s[10:11], 2
	s_waitcnt lgkmcnt(0)
	s_add_u32 s0, s0, s2
	s_addc_u32 s1, s1, s3
	s_abs_i32 s2, s24
	s_abs_i32 s11, s9
	v_cvt_f32_u32_e32 v1, s2
	s_sub_i32 s7, 0, s2
	v_rcp_iflag_f32_e32 v1, v1
	v_mul_f32_e32 v1, 0x4f7ffffe, v1
	v_cvt_u32_f32_e32 v1, v1
	v_readfirstlane_b32 s3, v1
	s_mul_i32 s7, s7, s3
	s_mul_hi_u32 s7, s3, s7
	s_add_i32 s3, s3, s7
	s_xor_b32 s7, s9, s24
	s_mul_hi_u32 s3, s11, s3
	s_ashr_i32 s7, s7, 31
	s_mul_i32 s12, s3, s2
	s_mov_b32 s24, 0
	s_sub_i32 s11, s11, s12
	s_add_i32 s12, s3, 1
	s_sub_i32 s13, s11, s2
	s_cmp_ge_u32 s11, s2
	s_cselect_b32 s3, s12, s3
	s_cselect_b32 s11, s13, s11
	s_add_i32 s12, s3, 1
	s_cmp_ge_u32 s11, s2
	s_cselect_b32 s2, s12, s3
	s_abs_i32 s17, s6
	s_xor_b32 s2, s2, s7
	s_sub_i32 s18, s2, s7
	s_load_dwordx2 s[2:3], s[4:5], 0x40
	s_abs_i32 s16, s18
	v_cvt_f32_u32_e32 v1, s16
	s_sub_i32 s11, 0, s16
	v_rcp_iflag_f32_e32 v1, v1
	v_mul_f32_e32 v1, 0x4f7ffffe, v1
	v_cvt_u32_f32_e32 v1, v1
	v_readfirstlane_b32 s7, v1
	s_mul_i32 s11, s11, s7
	s_mul_hi_u32 s11, s7, s11
	s_add_i32 s7, s7, s11
	s_waitcnt lgkmcnt(0)
	s_cmp_eq_u64 s[2:3], 0
	s_mul_hi_u32 s20, s17, s7
	s_cbranch_scc1 .LBB118_2
; %bb.1:
	s_ashr_i32 s7, s6, 31
	s_lshl_b64 s[12:13], s[6:7], 2
	s_add_u32 s2, s2, s12
	s_addc_u32 s3, s3, s13
	s_load_dword s24, s[2:3], 0x0
.LBB118_2:
	s_load_dword s11, s[0:1], 0x0
	s_load_dwordx4 s[12:15], s[4:5], 0x48
	v_and_b32_e32 v1, 3, v0
	v_cmp_gt_u32_e64 s0, 32, v0
	v_lshlrev_b32_e32 v2, 2, v0
	s_ashr_i32 s1, s6, 31
	s_ashr_i32 s2, s18, 31
	s_lshl_b32 s6, s6, 6
	s_and_saveexec_b32 s3, s0
	s_cbranch_execz .LBB118_4
; %bb.3:
	s_load_dwordx2 s[18:19], s[4:5], 0x8
	s_waitcnt lgkmcnt(0)
	s_mul_i32 s22, s12, s10
	v_and_b32_e32 v4, 0x3fc, v0
	s_ashr_i32 s23, s22, 31
	s_lshl_b64 s[22:23], s[22:23], 1
	v_lshl_add_u32 v4, v1, 5, v4
	s_add_u32 s12, s18, s22
	s_addc_u32 s15, s19, s23
	s_ashr_i32 s7, s6, 31
	s_lshl_b64 s[18:19], s[6:7], 1
	s_add_u32 s18, s12, s18
	s_addc_u32 s19, s15, s19
	global_load_dword v3, v2, s[18:19]
	s_waitcnt vmcnt(0)
	ds_write_b32 v4, v3
.LBB118_4:
	s_or_b32 exec_lo, exec_lo, s3
	s_waitcnt lgkmcnt(0)
	s_add_i32 s3, s11, 7
	s_clause 0x1
	s_load_dwordx2 s[18:19], s[4:5], 0x28
	s_load_dword s15, s[4:5], 0x38
	s_ashr_i32 s7, s3, 31
	s_xor_b32 s1, s1, s2
	s_lshr_b32 s7, s7, 29
	s_mul_i32 s2, s20, s16
	s_add_i32 s3, s3, s7
	s_sub_i32 s2, s17, s2
	s_ashr_i32 s12, s3, 3
	s_add_i32 s3, s20, 1
	s_sub_i32 s7, s2, s16
	s_cmp_ge_u32 s2, s16
	v_lshrrev_b32_e32 v19, 5, v0
	s_cselect_b32 s3, s3, s20
	s_cselect_b32 s2, s7, s2
	s_add_i32 s7, s3, 1
	s_cmp_ge_u32 s2, s16
	v_mbcnt_lo_u32_b32 v4, -1, 0
	s_cselect_b32 s2, s7, s3
	s_mov_b32 s3, exec_lo
	s_xor_b32 s2, s2, s1
	s_waitcnt lgkmcnt(0)
	s_mul_i32 s20, s15, s10
	s_sub_i32 s2, s2, s1
	v_cmp_gt_i32_e64 s1, s12, v19
	s_ashr_i32 s21, s20, 31
	s_barrier
	buffer_gl0_inv
                                        ; implicit-def: $vgpr5
                                        ; implicit-def: $vgpr6
	v_cmpx_le_i32_e64 s12, v19
	s_xor_b32 s3, exec_lo, s3
; %bb.5:
	v_mov_b32_e32 v5, 0
	v_mbcnt_lo_u32_b32 v4, -1, 0
	v_mov_b32_e32 v6, 32
                                        ; implicit-def: $vgpr2
                                        ; implicit-def: $vgpr1
; %bb.6:
	s_or_saveexec_b32 s26, s3
	s_clause 0x2
	s_load_dwordx2 s[16:17], s[4:5], 0x0
	s_load_dwordx2 s[22:23], s[4:5], 0x18
	s_load_dword s7, s[4:5], 0x88
	v_mov_b32_e32 v22, 0xff7fffff
	v_lshrrev_b32_e32 v3, 3, v0
	s_mul_i32 s14, s2, s14
	s_xor_b32 exec_lo, exec_lo, s26
	s_cbranch_execz .LBB118_12
; %bb.7:
	s_load_dwordx2 s[2:3], s[4:5], 0x10
	v_bfe_u32 v22, v0, 2, 3
	s_ashr_i32 s15, s14, 31
	v_and_b32_e32 v2, 12, v2
	s_lshl_b64 s[4:5], s[14:15], 1
	v_lshlrev_b32_e32 v5, 5, v1
	v_lshlrev_b32_e32 v6, 4, v22
	;; [unrolled: 1-line block ×3, first 2 shown]
	v_mov_b32_e32 v31, v19
	s_mov_b32 s27, s13
	ds_read_b128 v[11:14], v5
	ds_read_b128 v[23:26], v5 offset:16
	v_mov_b32_e32 v5, 0
	s_mov_b32 s15, 0
	s_waitcnt lgkmcnt(0)
	s_add_u32 s2, s2, s4
	s_addc_u32 s3, s3, s5
	v_add_co_u32 v6, s2, s2, v6
	v_add_co_ci_u32_e64 v17, null, s3, 0, s2
	s_lshl_b64 s[28:29], s[20:21], 2
	v_add_co_u32 v16, vcc_lo, v6, v2
	v_xor_b32_e32 v2, 2, v4
	v_add_co_ci_u32_e64 v17, null, 0, v17, vcc_lo
	v_xor_b32_e32 v6, 1, v4
	s_sub_i32 s5, 1, s11
	v_cmp_gt_i32_e32 vcc_lo, 32, v2
	s_add_u32 s3, s18, s28
	s_addc_u32 s4, s19, s29
	v_lshlrev_b32_e32 v7, 16, v11
	v_and_b32_e32 v8, 0xffff0000, v11
	v_cndmask_b32_e32 v2, v4, v2, vcc_lo
	v_cmp_gt_i32_e32 vcc_lo, 32, v6
	v_lshlrev_b32_e32 v9, 16, v12
	v_and_b32_e32 v10, 0xffff0000, v12
	v_lshlrev_b32_e32 v11, 16, v13
	v_lshlrev_b32_e32 v27, 2, v2
	v_cndmask_b32_e32 v28, v4, v6, vcc_lo
	v_cmp_eq_u32_e32 vcc_lo, 0, v1
	v_lshl_or_b32 v1, v19, 5, v29
	v_and_b32_e32 v2, 0x7c, v3
	v_and_b32_e32 v12, 0xffff0000, v13
	v_lshlrev_b32_e32 v13, 16, v14
	v_and_b32_e32 v14, 0xffff0000, v14
	v_add_nc_u32_e32 v30, 0xa0, v1
	v_add_co_u32 v1, s3, s3, v2
	v_lshlrev_b32_e32 v15, 16, v23
	v_and_b32_e32 v18, 0xffff0000, v23
	v_lshlrev_b32_e32 v20, 16, v24
	v_and_b32_e32 v21, 0xffff0000, v24
	;; [unrolled: 2-line block ×4, first 2 shown]
	v_mov_b32_e32 v6, 32
	v_lshlrev_b32_e32 v28, 2, v28
	v_cmp_neq_f32_e64 s2, s24, 0
	v_lshl_or_b32 v29, v19, 3, v22
	v_add_co_ci_u32_e64 v2, null, s4, 0, s3
	v_mov_b32_e32 v22, 0xff7fffff
	s_branch .LBB118_9
.LBB118_8:                              ;   in Loop: Header=BB118_9 Depth=1
	s_or_b32 exec_lo, exec_lo, s4
	v_add_nc_u32_e32 v31, 4, v31
	v_add_co_u32 v1, s4, v1, 16
	v_add_nc_u32_e32 v29, 32, v29
	v_add_nc_u32_e32 v30, 0x80, v30
	v_cmp_le_i32_e64 s3, s12, v31
	v_add_co_ci_u32_e64 v2, null, 0, v2, s4
	s_or_b32 s15, s3, s15
	s_andn2_b32 exec_lo, exec_lo, s15
	s_cbranch_execz .LBB118_11
.LBB118_9:                              ; =>This Inner Loop Header: Depth=1
	global_load_dword v32, v[1:2], off
	s_waitcnt vmcnt(0) lgkmcnt(0)
	v_mad_i64_i32 v[32:33], null, v32, s27, 0
	v_lshlrev_b64 v[32:33], 1, v[32:33]
	v_add_co_u32 v32, s3, v16, v32
	v_add_co_ci_u32_e64 v33, null, v17, v33, s3
	s_clause 0x7
	global_load_dword v34, v[32:33], off offset:128
	global_load_dword v35, v[32:33], off
	global_load_dword v36, v[32:33], off offset:256
	global_load_dword v37, v[32:33], off offset:384
	;; [unrolled: 1-line block ×6, first 2 shown]
	s_waitcnt vmcnt(7)
	v_lshlrev_b32_e32 v33, 16, v34
	v_and_b32_e32 v34, 0xffff0000, v34
	s_waitcnt vmcnt(6)
	v_lshlrev_b32_e32 v41, 16, v35
	v_and_b32_e32 v35, 0xffff0000, v35
	s_waitcnt vmcnt(5)
	v_lshlrev_b32_e32 v42, 16, v36
	v_mul_f32_e32 v33, v9, v33
	v_mul_f32_e32 v34, v10, v34
	v_and_b32_e32 v36, 0xffff0000, v36
	v_fmac_f32_e32 v33, v7, v41
	v_fmac_f32_e32 v34, v8, v35
	s_waitcnt vmcnt(4)
	v_lshlrev_b32_e32 v35, 16, v37
	v_and_b32_e32 v37, 0xffff0000, v37
	v_fmac_f32_e32 v33, v11, v42
	v_fmac_f32_e32 v34, v12, v36
	s_waitcnt vmcnt(3)
	v_lshlrev_b32_e32 v36, 16, v38
	;; [unrolled: 5-line block ×5, first 2 shown]
	v_and_b32_e32 v32, 0xffff0000, v32
	v_fmac_f32_e32 v33, v23, v36
	v_fmac_f32_e32 v34, v24, v38
	;; [unrolled: 1-line block ×4, first 2 shown]
	v_add_f32_e32 v32, v33, v34
	ds_bpermute_b32 v33, v27, v32
	s_waitcnt lgkmcnt(0)
	v_add_f32_e32 v32, v32, v33
	ds_bpermute_b32 v33, v28, v32
	s_and_saveexec_b32 s4, vcc_lo
	s_cbranch_execz .LBB118_8
; %bb.10:                               ;   in Loop: Header=BB118_9 Depth=1
	v_add_nc_u32_e32 v34, s5, v29
	s_waitcnt lgkmcnt(0)
	v_add_f32_e32 v32, v32, v33
	v_cmp_gt_i32_e64 s3, s11, v29
	v_cvt_f32_i32_e32 v34, v34
	v_mul_f32_e32 v34, s24, v34
	v_cndmask_b32_e64 v33, 0, v34, s2
	v_max_f32_e32 v34, v22, v22
	v_fmac_f32_e32 v33, s25, v32
	v_max_f32_e32 v32, v34, v33
	v_cndmask_b32_e64 v33, 0, v33, s3
	v_cndmask_b32_e64 v22, v22, v32, s3
	ds_write_b32 v30, v33
	s_branch .LBB118_8
.LBB118_11:
	s_or_b32 exec_lo, exec_lo, s15
.LBB118_12:
	s_or_b32 exec_lo, exec_lo, s26
	v_xor_b32_e32 v1, 16, v4
	v_xor_b32_e32 v7, 8, v4
	v_max_f32_e32 v8, v22, v22
	v_xor_b32_e32 v9, 4, v4
	v_and_b32_e32 v20, 31, v0
	v_cmp_lt_i32_e32 vcc_lo, v1, v6
	v_cndmask_b32_e32 v1, v4, v1, vcc_lo
	v_cmp_lt_i32_e32 vcc_lo, v7, v6
	v_lshlrev_b32_e32 v2, 2, v1
	v_cndmask_b32_e32 v7, v4, v7, vcc_lo
	v_cmp_lt_i32_e32 vcc_lo, v9, v6
	ds_bpermute_b32 v1, v2, v22
	v_lshlrev_b32_e32 v7, 2, v7
	v_cndmask_b32_e32 v9, v4, v9, vcc_lo
	v_cmp_eq_u32_e32 vcc_lo, 0, v20
	v_lshlrev_b32_e32 v10, 2, v9
	s_waitcnt lgkmcnt(0)
	v_max_f32_e32 v1, v1, v1
	v_max_f32_e32 v1, v8, v1
	ds_bpermute_b32 v8, v7, v1
	s_waitcnt lgkmcnt(0)
	v_max_f32_e32 v8, v8, v8
	v_max_f32_e32 v1, v1, v8
	v_lshlrev_b32_e32 v8, 2, v19
	ds_bpermute_b32 v9, v10, v1
	s_and_saveexec_b32 s2, vcc_lo
	s_cbranch_execz .LBB118_14
; %bb.13:
	s_waitcnt lgkmcnt(0)
	v_max_f32_e32 v9, v9, v9
	v_max_f32_e32 v1, v1, v1
	;; [unrolled: 1-line block ×3, first 2 shown]
	ds_write_b32 v8, v1 offset:128
.LBB118_14:
	s_or_b32 exec_lo, exec_lo, s2
	v_cmp_gt_u32_e64 s2, 4, v20
	v_mov_b32_e32 v1, 0xff7fffff
	s_waitcnt lgkmcnt(0)
	v_lshlrev_b32_e32 v9, 2, v20
	s_barrier
	buffer_gl0_inv
	s_and_saveexec_b32 s3, s2
; %bb.15:
	ds_read_b32 v1, v9 offset:128
; %bb.16:
	s_or_b32 exec_lo, exec_lo, s3
	v_xor_b32_e32 v11, 2, v4
	v_xor_b32_e32 v13, 1, v4
	v_lshlrev_b32_e32 v5, 2, v5
	v_cmp_lt_i32_e64 s3, v11, v6
	v_cndmask_b32_e64 v11, v4, v11, s3
	v_cmp_lt_i32_e64 s3, v13, v6
	v_lshlrev_b32_e32 v11, 2, v11
	v_cndmask_b32_e64 v6, v4, v13, s3
	s_lshl_b32 s3, s12, 3
	s_min_i32 s5, s3, s11
	s_waitcnt lgkmcnt(0)
	ds_bpermute_b32 v12, v11, v1
	v_max_f32_e32 v1, v1, v1
	v_lshlrev_b32_e32 v6, 2, v6
	v_cmp_gt_i32_e64 s3, s5, v0
	s_waitcnt lgkmcnt(0)
	v_max_f32_e32 v12, v12, v12
	v_max_f32_e32 v1, v1, v12
	ds_bpermute_b32 v12, v6, v1
	s_waitcnt lgkmcnt(0)
	v_max_f32_e32 v12, v12, v12
	v_max_f32_e32 v1, v1, v12
	ds_bpermute_b32 v12, v5, v1
	v_mov_b32_e32 v5, 0
	v_lshl_add_u32 v1, v0, 2, 0xa0
	s_and_saveexec_b32 s15, s3
	s_cbranch_execz .LBB118_20
; %bb.17:
	v_lshl_add_u32 v13, v0, 2, 0xa0
	v_mov_b32_e32 v5, 0
	v_mov_b32_e32 v14, v0
	s_mov_b32 s24, 0
	.p2align	6
.LBB118_18:                             ; =>This Inner Loop Header: Depth=1
	ds_read_b32 v15, v13
	v_add_nc_u32_e32 v14, 0x80, v14
	v_cmp_le_i32_e64 s4, s5, v14
	s_or_b32 s24, s4, s24
	s_waitcnt lgkmcnt(0)
	v_sub_f32_e32 v15, v15, v12
	v_mul_f32_e32 v15, 0x3fb8aa3b, v15
	v_exp_f32_e32 v15, v15
	ds_write_b32 v13, v15
	v_add_f32_e32 v5, v5, v15
	v_add_nc_u32_e32 v13, 0x200, v13
	s_andn2_b32 exec_lo, exec_lo, s24
	s_cbranch_execnz .LBB118_18
; %bb.19:
	s_or_b32 exec_lo, exec_lo, s24
.LBB118_20:
	s_or_b32 exec_lo, exec_lo, s15
	ds_bpermute_b32 v2, v2, v5
	s_waitcnt lgkmcnt(0)
	v_add_f32_e32 v2, v5, v2
	ds_bpermute_b32 v5, v7, v2
	s_waitcnt lgkmcnt(0)
	v_add_f32_e32 v2, v2, v5
	;; [unrolled: 3-line block ×5, first 2 shown]
	s_and_saveexec_b32 s4, vcc_lo
; %bb.21:
	ds_write_b32 v8, v2 offset:144
; %bb.22:
	s_or_b32 exec_lo, exec_lo, s4
	s_waitcnt lgkmcnt(0)
	s_barrier
	buffer_gl0_inv
	s_and_saveexec_b32 s4, s2
; %bb.23:
	ds_read_b32 v2, v9 offset:144
; %bb.24:
	s_or_b32 exec_lo, exec_lo, s4
	s_waitcnt lgkmcnt(0)
	ds_bpermute_b32 v5, v11, v2
	v_lshlrev_b32_e32 v4, 2, v4
	v_and_b32_e32 v4, 0xffffff80, v4
	s_waitcnt lgkmcnt(0)
	v_add_f32_e32 v2, v2, v5
	ds_bpermute_b32 v5, v6, v2
	s_waitcnt lgkmcnt(0)
	v_add_f32_e32 v2, v2, v5
	ds_bpermute_b32 v2, v4, v2
	s_and_saveexec_b32 s2, s3
	s_cbranch_execz .LBB118_27
; %bb.25:
	s_waitcnt lgkmcnt(0)
	v_add_f32_e32 v2, 0x358637bd, v2
	s_mov_b32 s3, 0
	v_div_scale_f32 v4, null, v2, v2, 1.0
	v_div_scale_f32 v7, vcc_lo, 1.0, v2, 1.0
	v_rcp_f32_e32 v5, v4
	v_fma_f32 v6, -v4, v5, 1.0
	v_fmac_f32_e32 v5, v6, v5
	v_mul_f32_e32 v6, v7, v5
	v_fma_f32 v8, -v4, v6, v7
	v_fmac_f32_e32 v6, v8, v5
	v_fma_f32 v4, -v4, v6, v7
	v_div_fmas_f32 v4, v4, v5, v6
	v_div_fixup_f32 v2, v4, v2, 1.0
	v_mov_b32_e32 v4, v0
.LBB118_26:                             ; =>This Inner Loop Header: Depth=1
	ds_read_b32 v5, v1
	v_add_nc_u32_e32 v4, 0x80, v4
	v_cmp_le_i32_e32 vcc_lo, s5, v4
	s_or_b32 s3, vcc_lo, s3
	s_waitcnt lgkmcnt(0)
	v_mul_f32_e32 v5, v2, v5
	ds_write_b32 v1, v5
	v_add_nc_u32_e32 v1, 0x200, v1
	s_andn2_b32 exec_lo, exec_lo, s3
	s_cbranch_execnz .LBB118_26
.LBB118_27:
	s_or_b32 exec_lo, exec_lo, s2
	v_mov_b32_e32 v21, 0
	v_mov_b32_e32 v22, 0
	s_waitcnt lgkmcnt(0)
	s_barrier
	buffer_gl0_inv
	s_and_saveexec_b32 s4, s1
	s_cbranch_execz .LBB118_35
; %bb.28:
	s_ashr_i32 s15, s14, 31
	v_lshlrev_b32_e32 v1, 4, v20
	s_lshl_b64 s[2:3], s[14:15], 1
	v_mov_b32_e32 v23, 0
	s_add_u32 s1, s22, s2
	s_addc_u32 s2, s23, s3
	v_add_co_u32 v24, s1, s1, v1
	v_and_b32_e32 v1, 0x7c, v3
	v_add_co_ci_u32_e64 v25, null, s2, 0, s1
	s_lshl_b64 s[2:3], s[20:21], 2
	s_add_i32 s5, s12, -1
	s_add_u32 s1, s18, s2
	s_addc_u32 s2, s19, s3
	v_add_co_u32 v17, s1, s1, v1
	v_lshlrev_b32_e32 v26, 3, v19
	v_lshl_add_u32 v27, v19, 5, 0xa0
	v_add_co_ci_u32_e64 v18, null, s2, 0, s1
	v_mov_b32_e32 v28, v19
	v_mov_b32_e32 v22, 0
	;; [unrolled: 1-line block ×3, first 2 shown]
	s_mov_b32 s15, s11
	s_mov_b32 s14, 0
	s_branch .LBB118_30
.LBB118_29:                             ;   in Loop: Header=BB118_30 Depth=1
	s_or_b32 exec_lo, exec_lo, s3
	s_waitcnt lgkmcnt(1)
	v_bfe_u32 v29, v13, 16, 1
	v_or_b32_e32 v30, 0x400000, v13
	v_bfe_u32 v31, v14, 16, 1
	v_cmp_u_f32_e32 vcc_lo, v13, v13
	v_bfe_u32 v32, v15, 16, 1
	v_add3_u32 v29, v29, v13, 0x7fff
	v_or_b32_e32 v33, 0x400000, v14
	v_add3_u32 v31, v31, v14, 0x7fff
	v_or_b32_e32 v34, 0x400000, v15
	v_add3_u32 v32, v32, v15, 0x7fff
	v_cndmask_b32_e32 v13, v29, v30, vcc_lo
	v_cmp_u_f32_e32 vcc_lo, v14, v14
	v_bfe_u32 v29, v16, 16, 1
	s_waitcnt lgkmcnt(0)
	v_bfe_u32 v30, v9, 16, 1
	v_add_nc_u32_e32 v28, 4, v28
	v_and_b32_e32 v13, 0xffff0000, v13
	v_cndmask_b32_e32 v14, v31, v33, vcc_lo
	v_cmp_u_f32_e32 vcc_lo, v15, v15
	v_add3_u32 v29, v29, v16, 0x7fff
	v_or_b32_e32 v31, 0x400000, v16
	v_add3_u32 v30, v30, v9, 0x7fff
	v_bfe_u32 v33, v10, 16, 1
	v_cndmask_b32_e32 v15, v32, v34, vcc_lo
	v_cmp_u_f32_e32 vcc_lo, v16, v16
	v_or_b32_e32 v32, 0x400000, v9
	v_and_b32_e32 v14, 0xffff0000, v14
	v_add_co_u32 v17, s1, v17, 16
	v_cndmask_b32_e32 v16, v29, v31, vcc_lo
	v_cmp_u_f32_e32 vcc_lo, v9, v9
	v_add3_u32 v29, v33, v10, 0x7fff
	v_bfe_u32 v31, v11, 16, 1
	v_and_b32_e32 v15, 0xffff0000, v15
	s_waitcnt vmcnt(1)
	v_lshlrev_b32_e32 v33, 16, v6
	v_cndmask_b32_e32 v9, v30, v32, vcc_lo
	v_or_b32_e32 v30, 0x400000, v10
	v_lshlrev_b32_e32 v32, 16, v5
	v_cmp_u_f32_e32 vcc_lo, v10, v10
	v_and_b32_e32 v5, 0xffff0000, v5
	v_mul_f32_e32 v33, v15, v33
	v_and_b32_e32 v16, 0xffff0000, v16
	v_mul_f32_e32 v32, v13, v32
	v_cndmask_b32_e32 v10, v29, v30, vcc_lo
	v_add3_u32 v29, v31, v11, 0x7fff
	v_or_b32_e32 v30, 0x400000, v11
	v_bfe_u32 v31, v12, 16, 1
	v_cmp_u_f32_e32 vcc_lo, v11, v11
	v_mul_f32_e32 v5, v14, v5
	v_and_b32_e32 v6, 0xffff0000, v6
	v_and_b32_e32 v9, 0xffff0000, v9
	v_or_b32_e32 v35, 0x400000, v33
	v_cndmask_b32_e32 v11, v29, v30, vcc_lo
	v_add3_u32 v29, v31, v12, 0x7fff
	v_or_b32_e32 v30, 0x400000, v12
	v_bfe_u32 v31, v32, 16, 1
	v_cmp_u_f32_e32 vcc_lo, v12, v12
	v_mul_f32_e32 v6, v16, v6
	v_or_b32_e32 v34, 0x400000, v5
	v_and_b32_e32 v10, 0xffff0000, v10
	v_and_b32_e32 v11, 0xffff0000, v11
	v_cndmask_b32_e32 v12, v29, v30, vcc_lo
	v_add3_u32 v29, v31, v32, 0x7fff
	v_or_b32_e32 v30, 0x400000, v32
	v_bfe_u32 v31, v5, 16, 1
	v_cmp_u_f32_e32 vcc_lo, v32, v32
	v_lshlrev_b32_e32 v32, 16, v7
	v_bfe_u32 v36, v6, 16, 1
	v_and_b32_e32 v7, 0xffff0000, v7
	v_and_b32_e32 v12, 0xffff0000, v12
	v_cndmask_b32_e32 v29, v29, v30, vcc_lo
	v_add3_u32 v30, v31, v5, 0x7fff
	v_bfe_u32 v31, v33, 16, 1
	v_cmp_u_f32_e32 vcc_lo, v5, v5
	v_mul_f32_e32 v32, v9, v32
	v_mul_f32_e32 v7, v10, v7
	v_and_b32_e32 v29, 0xffff0000, v29
	v_add3_u32 v31, v31, v33, 0x7fff
	v_cndmask_b32_e32 v5, v30, v34, vcc_lo
	v_cmp_u_f32_e32 vcc_lo, v33, v33
	v_bfe_u32 v33, v32, 16, 1
	v_lshlrev_b32_e32 v34, 16, v8
	v_and_b32_e32 v8, 0xffff0000, v8
	v_and_b32_e32 v5, 0xffff0000, v5
	v_cndmask_b32_e32 v30, v31, v35, vcc_lo
	v_add3_u32 v31, v36, v6, 0x7fff
	v_or_b32_e32 v35, 0x400000, v6
	v_cmp_u_f32_e32 vcc_lo, v6, v6
	v_add3_u32 v33, v33, v32, 0x7fff
	v_or_b32_e32 v36, 0x400000, v32
	v_mul_f32_e32 v34, v11, v34
	v_mul_f32_e32 v8, v12, v8
	v_cndmask_b32_e32 v6, v31, v35, vcc_lo
	v_bfe_u32 v31, v7, 16, 1
	v_cmp_u_f32_e32 vcc_lo, v32, v32
	v_or_b32_e32 v35, 0x400000, v7
	v_and_b32_e32 v30, 0xffff0000, v30
	v_and_b32_e32 v6, 0xffff0000, v6
	v_add3_u32 v31, v31, v7, 0x7fff
	v_cndmask_b32_e32 v32, v33, v36, vcc_lo
	v_bfe_u32 v33, v34, 16, 1
	v_cmp_u_f32_e32 vcc_lo, v7, v7
	v_or_b32_e32 v36, 0x400000, v34
	v_add_f32_e32 v5, v29, v5
	v_add_f32_e32 v6, v30, v6
	v_add3_u32 v33, v33, v34, 0x7fff
	v_cndmask_b32_e32 v7, v31, v35, vcc_lo
	v_cmp_u_f32_e32 vcc_lo, v34, v34
	s_waitcnt vmcnt(0)
	v_lshlrev_b32_e32 v35, 16, v1
	v_and_b32_e32 v1, 0xffff0000, v1
	v_or_b32_e32 v34, 0x400000, v8
	v_and_b32_e32 v7, 0xffff0000, v7
	v_cndmask_b32_e32 v31, v33, v36, vcc_lo
	v_bfe_u32 v33, v8, 16, 1
	v_mul_f32_e32 v13, v13, v35
	v_and_b32_e32 v29, 0xffff0000, v32
	v_cmp_u_f32_e32 vcc_lo, v8, v8
	v_add_f32_e32 v5, v6, v5
	v_add3_u32 v33, v33, v8, 0x7fff
	v_bfe_u32 v6, v13, 16, 1
	v_mul_f32_e32 v1, v14, v1
	v_lshlrev_b32_e32 v14, 16, v2
	v_add_f32_e32 v7, v29, v7
	v_cndmask_b32_e32 v8, v33, v34, vcc_lo
	v_add3_u32 v6, v6, v13, 0x7fff
	v_or_b32_e32 v29, 0x400000, v13
	v_bfe_u32 v30, v1, 16, 1
	v_mul_f32_e32 v14, v15, v14
	v_and_b32_e32 v2, 0xffff0000, v2
	v_cmp_u_f32_e32 vcc_lo, v13, v13
	v_or_b32_e32 v15, 0x400000, v1
	v_add3_u32 v13, v30, v1, 0x7fff
	v_and_b32_e32 v8, 0xffff0000, v8
	v_mul_f32_e32 v2, v16, v2
	v_cndmask_b32_e32 v6, v6, v29, vcc_lo
	v_bfe_u32 v29, v14, 16, 1
	v_lshlrev_b32_e32 v16, 16, v3
	v_cmp_u_f32_e32 vcc_lo, v1, v1
	v_and_b32_e32 v3, 0xffff0000, v3
	v_and_b32_e32 v6, 0xffff0000, v6
	v_add_f32_e32 v5, v7, v5
	v_mul_f32_e32 v9, v9, v16
	v_cndmask_b32_e32 v1, v13, v15, vcc_lo
	v_add3_u32 v13, v29, v14, 0x7fff
	v_or_b32_e32 v15, 0x400000, v14
	v_bfe_u32 v29, v2, 16, 1
	v_cmp_u_f32_e32 vcc_lo, v14, v14
	v_bfe_u32 v16, v9, 16, 1
	v_mul_f32_e32 v3, v10, v3
	v_lshlrev_b32_e32 v10, 16, v4
	v_add3_u32 v14, v29, v2, 0x7fff
	v_cndmask_b32_e32 v13, v13, v15, vcc_lo
	v_or_b32_e32 v15, 0x400000, v2
	v_and_b32_e32 v4, 0xffff0000, v4
	v_cmp_u_f32_e32 vcc_lo, v2, v2
	v_mul_f32_e32 v10, v11, v10
	v_or_b32_e32 v11, 0x400000, v9
	v_and_b32_e32 v1, 0xffff0000, v1
	v_mul_f32_e32 v4, v12, v4
	v_cndmask_b32_e32 v2, v14, v15, vcc_lo
	v_bfe_u32 v14, v3, 16, 1
	v_add3_u32 v15, v16, v9, 0x7fff
	v_cmp_u_f32_e32 vcc_lo, v9, v9
	v_bfe_u32 v29, v4, 16, 1
	v_bfe_u32 v16, v10, 16, 1
	v_add3_u32 v12, v14, v3, 0x7fff
	v_or_b32_e32 v14, 0x400000, v3
	v_cndmask_b32_e32 v9, v15, v11, vcc_lo
	v_cmp_u_f32_e32 vcc_lo, v3, v3
	v_add3_u32 v11, v16, v10, 0x7fff
	v_and_b32_e32 v2, 0xffff0000, v2
	v_and_b32_e32 v13, 0xffff0000, v13
	v_or_b32_e32 v15, 0x400000, v10
	v_cndmask_b32_e32 v3, v12, v14, vcc_lo
	v_add3_u32 v12, v29, v4, 0x7fff
	v_or_b32_e32 v14, 0x400000, v4
	v_cmp_u_f32_e32 vcc_lo, v4, v4
	v_add_f32_e32 v1, v6, v1
	v_add_f32_e32 v2, v13, v2
	v_and_b32_e32 v3, 0xffff0000, v3
	v_and_b32_e32 v6, 0xffff0000, v9
	v_cndmask_b32_e32 v4, v12, v14, vcc_lo
	v_cmp_u_f32_e32 vcc_lo, v10, v10
	v_and_b32_e32 v10, 0xffff0000, v31
	v_add_f32_e32 v1, v2, v1
	v_add_f32_e32 v2, v6, v3
	v_and_b32_e32 v3, 0xffff0000, v4
	v_cndmask_b32_e32 v9, v11, v15, vcc_lo
	v_add_f32_e32 v6, v10, v8
	v_cmp_le_i32_e32 vcc_lo, s12, v28
	v_add_f32_e32 v1, v2, v1
	v_add_nc_u32_e32 v26, 32, v26
	v_and_b32_e32 v4, 0xffff0000, v9
	v_add_nc_u32_e32 v27, 0x80, v27
	v_add_co_ci_u32_e64 v18, null, 0, v18, s1
	s_or_b32 s14, vcc_lo, s14
	v_add_f32_e32 v2, v4, v3
	v_add_f32_e32 v3, v6, v5
	;; [unrolled: 1-line block ×5, first 2 shown]
	s_andn2_b32 exec_lo, exec_lo, s14
	s_cbranch_execz .LBB118_34
.LBB118_30:                             ; =>This Inner Loop Header: Depth=1
	global_load_dword v1, v[17:18], off
	v_cmp_eq_u32_e64 s1, s5, v28
	v_add_nc_u32_e32 v35, 1, v26
	v_or_b32_e32 v33, 3, v26
	v_or_b32_e32 v34, 2, v26
	;; [unrolled: 1-line block ×6, first 2 shown]
	s_waitcnt vmcnt(0)
	v_mad_i64_i32 v[1:2], null, v1, s13, 0
	v_lshlrev_b64 v[1:2], 1, v[1:2]
	v_add_co_u32 v1, vcc_lo, v24, v1
	v_add_co_ci_u32_e64 v2, null, v25, v2, vcc_lo
	global_load_dwordx4 v[5:8], v[1:2], off
	ds_read2_b64 v[13:16], v27 offset1:1
	ds_read2_b64 v[9:12], v27 offset0:2 offset1:3
	s_and_saveexec_b32 s18, s1
	s_cbranch_execz .LBB118_32
; %bb.31:                               ;   in Loop: Header=BB118_30 Depth=1
	v_cmp_gt_i32_e64 s2, s11, v26
	v_cmp_gt_i32_e32 vcc_lo, s15, v35
	v_cmp_gt_i32_e64 s3, s11, v34
	s_waitcnt vmcnt(0)
	v_cndmask_b32_e64 v3, 0, v5, s2
	v_cmp_gt_i32_e64 s2, s15, v33
	v_cndmask_b32_sdwa v5, v23, v5, vcc_lo dst_sel:DWORD dst_unused:UNUSED_PAD src0_sel:DWORD src1_sel:WORD_1
	v_cndmask_b32_e64 v4, 0, v6, s3
	v_cmp_gt_i32_e64 s3, s15, v32
	s_mov_b32 vcc_lo, s2
	v_cmp_gt_i32_e64 s2, s15, v30
	v_cndmask_b32_sdwa v6, v23, v6, vcc_lo dst_sel:DWORD dst_unused:UNUSED_PAD src0_sel:DWORD src1_sel:WORD_1
	v_cmp_gt_i32_e32 vcc_lo, s11, v31
	v_perm_b32 v5, v5, v3, 0x5040100
	v_perm_b32 v6, v6, v4, 0x5040100
	v_cndmask_b32_e32 v36, 0, v7, vcc_lo
	s_mov_b32 vcc_lo, s3
	v_cndmask_b32_sdwa v7, v23, v7, vcc_lo dst_sel:DWORD dst_unused:UNUSED_PAD src0_sel:DWORD src1_sel:WORD_1
	v_cmp_gt_i32_e32 vcc_lo, s11, v29
	v_perm_b32 v7, v7, v36, 0x5040100
	v_cndmask_b32_e32 v37, 0, v8, vcc_lo
	s_mov_b32 vcc_lo, s2
	v_cndmask_b32_sdwa v8, v23, v8, vcc_lo dst_sel:DWORD dst_unused:UNUSED_PAD src0_sel:DWORD src1_sel:WORD_1
	v_perm_b32 v8, v8, v37, 0x5040100
.LBB118_32:                             ;   in Loop: Header=BB118_30 Depth=1
	s_or_b32 exec_lo, exec_lo, s18
	global_load_dwordx4 v[1:4], v[1:2], off offset:512
	s_and_saveexec_b32 s3, s1
	s_cbranch_execz .LBB118_29
; %bb.33:                               ;   in Loop: Header=BB118_30 Depth=1
	v_cmp_gt_i32_e64 s1, s11, v26
	v_cmp_gt_i32_e32 vcc_lo, s15, v35
	v_cmp_gt_i32_e64 s2, s11, v34
	s_waitcnt vmcnt(0)
	v_cndmask_b32_e64 v35, 0, v1, s1
	v_cmp_gt_i32_e64 s1, s15, v33
	v_cndmask_b32_sdwa v1, v23, v1, vcc_lo dst_sel:DWORD dst_unused:UNUSED_PAD src0_sel:DWORD src1_sel:WORD_1
	v_cndmask_b32_e64 v33, 0, v2, s2
	v_cmp_gt_i32_e64 s2, s15, v32
	s_mov_b32 vcc_lo, s1
	v_cmp_gt_i32_e64 s1, s15, v30
	v_cndmask_b32_sdwa v2, v23, v2, vcc_lo dst_sel:DWORD dst_unused:UNUSED_PAD src0_sel:DWORD src1_sel:WORD_1
	v_cmp_gt_i32_e32 vcc_lo, s11, v31
	v_perm_b32 v1, v1, v35, 0x5040100
	v_perm_b32 v2, v2, v33, 0x5040100
	v_cndmask_b32_e32 v31, 0, v3, vcc_lo
	s_mov_b32 vcc_lo, s2
	v_cndmask_b32_sdwa v3, v23, v3, vcc_lo dst_sel:DWORD dst_unused:UNUSED_PAD src0_sel:DWORD src1_sel:WORD_1
	v_cmp_gt_i32_e32 vcc_lo, s11, v29
	v_perm_b32 v3, v3, v31, 0x5040100
	v_cndmask_b32_e32 v29, 0, v4, vcc_lo
	s_mov_b32 vcc_lo, s1
	v_cndmask_b32_sdwa v4, v23, v4, vcc_lo dst_sel:DWORD dst_unused:UNUSED_PAD src0_sel:DWORD src1_sel:WORD_1
	v_perm_b32 v4, v4, v29, 0x5040100
	s_branch .LBB118_29
.LBB118_34:
	s_or_b32 exec_lo, exec_lo, s14
.LBB118_35:
	s_or_b32 exec_lo, exec_lo, s4
	v_lshl_add_u32 v2, v20, 2, 0xa0
	v_and_b32_e32 v3, 0x3c0, v0
	s_mov_b32 s1, exec_lo
	s_barrier
	v_lshl_add_u32 v1, v19, 8, v2
	buffer_gl0_inv
	v_cmpx_eq_u32_e32 64, v3
	s_cbranch_execz .LBB118_37
; %bb.36:
	v_add_nc_u32_e32 v3, 0xfffffe00, v1
	v_add_nc_u32_e32 v4, 0xfffffe80, v1
	ds_write_b32 v3, v22
	ds_write_b32 v4, v21
.LBB118_37:
	s_or_b32 exec_lo, exec_lo, s1
	s_mov_b32 s1, exec_lo
	s_waitcnt lgkmcnt(0)
	s_barrier
	buffer_gl0_inv
	v_cmpx_gt_u32_e32 64, v0
	s_cbranch_execz .LBB118_39
; %bb.38:
	ds_read2_b32 v[3:4], v1 offset1:32
	s_waitcnt lgkmcnt(0)
	v_add_f32_e32 v22, v22, v3
	v_add_f32_e32 v21, v21, v4
.LBB118_39:
	s_or_b32 exec_lo, exec_lo, s1
	v_and_b32_e32 v3, 0x3e0, v0
	s_mov_b32 s1, exec_lo
	s_barrier
	buffer_gl0_inv
	v_cmpx_eq_u32_e32 32, v3
; %bb.40:
	ds_write2_b32 v2, v22, v21 offset1:32
; %bb.41:
	s_or_b32 exec_lo, exec_lo, s1
	s_waitcnt lgkmcnt(0)
	s_barrier
	buffer_gl0_inv
	s_and_saveexec_b32 s1, s0
	s_cbranch_execz .LBB118_43
; %bb.42:
	ds_read2_b32 v[1:2], v1 offset1:32
	s_waitcnt lgkmcnt(0)
	v_add_f32_e32 v22, v22, v1
	v_add_f32_e32 v21, v21, v2
.LBB118_43:
	s_or_b32 exec_lo, exec_lo, s1
	s_barrier
	buffer_gl0_inv
	s_and_saveexec_b32 s1, s0
	s_cbranch_execz .LBB118_45
; %bb.44:
	s_mul_i32 s0, s10, s7
	v_bfe_u32 v1, v22, 16, 1
	s_mul_i32 s0, s0, s9
	s_mul_i32 s2, s7, s6
	s_lshl_b32 s0, s0, 6
	v_or_b32_e32 v2, 0x400000, v22
	s_ashr_i32 s1, s0, 31
	v_bfe_u32 v3, v21, 16, 1
	s_lshl_b64 s[0:1], s[0:1], 1
	v_add3_u32 v1, v1, v22, 0x7fff
	s_add_u32 s4, s16, s0
	s_addc_u32 s5, s17, s1
	s_ashr_i32 s3, s2, 31
	v_cmp_u_f32_e32 vcc_lo, v22, v22
	s_lshl_b64 s[0:1], s[2:3], 1
	v_or_b32_e32 v4, 0x400000, v21
	s_add_u32 s2, s4, s0
	s_addc_u32 s3, s5, s1
	s_lshl_b32 s0, s8, 6
	v_add3_u32 v3, v3, v21, 0x7fff
	v_cndmask_b32_e32 v1, v1, v2, vcc_lo
	v_cmp_u_f32_e32 vcc_lo, v21, v21
	s_ashr_i32 s1, s0, 31
	v_lshlrev_b32_e32 v0, 1, v0
	s_lshl_b64 s[0:1], s[0:1], 1
	v_cndmask_b32_e32 v2, v3, v4, vcc_lo
	s_add_u32 s0, s2, s0
	s_addc_u32 s1, s3, s1
	global_store_short_d16_hi v0, v1, s[0:1]
	global_store_short_d16_hi v0, v2, s[0:1] offset:64
.LBB118_45:
	s_endpgm
	.section	.rodata,"a",@progbits
	.p2align	6, 0x0
	.amdhsa_kernel _ZN4vllm25paged_attention_v1_kernelI14__hip_bfloat16S1_Li64ELi8ELi128ELNS_18Fp8KVCacheDataTypeE0ELb0EEEvPT_PKS3_PKT0_S9_ifPKiSB_iPKfiiiSD_SD_iiiii
		.amdhsa_group_segment_fixed_size 160
		.amdhsa_private_segment_fixed_size 0
		.amdhsa_kernarg_size 384
		.amdhsa_user_sgpr_count 6
		.amdhsa_user_sgpr_private_segment_buffer 1
		.amdhsa_user_sgpr_dispatch_ptr 0
		.amdhsa_user_sgpr_queue_ptr 0
		.amdhsa_user_sgpr_kernarg_segment_ptr 1
		.amdhsa_user_sgpr_dispatch_id 0
		.amdhsa_user_sgpr_flat_scratch_init 0
		.amdhsa_user_sgpr_private_segment_size 0
		.amdhsa_wavefront_size32 1
		.amdhsa_uses_dynamic_stack 0
		.amdhsa_system_sgpr_private_segment_wavefront_offset 0
		.amdhsa_system_sgpr_workgroup_id_x 1
		.amdhsa_system_sgpr_workgroup_id_y 1
		.amdhsa_system_sgpr_workgroup_id_z 1
		.amdhsa_system_sgpr_workgroup_info 0
		.amdhsa_system_vgpr_workitem_id 0
		.amdhsa_next_free_vgpr 43
		.amdhsa_next_free_sgpr 30
		.amdhsa_reserve_vcc 1
		.amdhsa_reserve_flat_scratch 0
		.amdhsa_float_round_mode_32 0
		.amdhsa_float_round_mode_16_64 0
		.amdhsa_float_denorm_mode_32 3
		.amdhsa_float_denorm_mode_16_64 3
		.amdhsa_dx10_clamp 1
		.amdhsa_ieee_mode 1
		.amdhsa_fp16_overflow 0
		.amdhsa_workgroup_processor_mode 1
		.amdhsa_memory_ordered 1
		.amdhsa_forward_progress 1
		.amdhsa_shared_vgpr_count 0
		.amdhsa_exception_fp_ieee_invalid_op 0
		.amdhsa_exception_fp_denorm_src 0
		.amdhsa_exception_fp_ieee_div_zero 0
		.amdhsa_exception_fp_ieee_overflow 0
		.amdhsa_exception_fp_ieee_underflow 0
		.amdhsa_exception_fp_ieee_inexact 0
		.amdhsa_exception_int_div_zero 0
	.end_amdhsa_kernel
	.section	.text._ZN4vllm25paged_attention_v1_kernelI14__hip_bfloat16S1_Li64ELi8ELi128ELNS_18Fp8KVCacheDataTypeE0ELb0EEEvPT_PKS3_PKT0_S9_ifPKiSB_iPKfiiiSD_SD_iiiii,"axG",@progbits,_ZN4vllm25paged_attention_v1_kernelI14__hip_bfloat16S1_Li64ELi8ELi128ELNS_18Fp8KVCacheDataTypeE0ELb0EEEvPT_PKS3_PKT0_S9_ifPKiSB_iPKfiiiSD_SD_iiiii,comdat
.Lfunc_end118:
	.size	_ZN4vllm25paged_attention_v1_kernelI14__hip_bfloat16S1_Li64ELi8ELi128ELNS_18Fp8KVCacheDataTypeE0ELb0EEEvPT_PKS3_PKT0_S9_ifPKiSB_iPKfiiiSD_SD_iiiii, .Lfunc_end118-_ZN4vllm25paged_attention_v1_kernelI14__hip_bfloat16S1_Li64ELi8ELi128ELNS_18Fp8KVCacheDataTypeE0ELb0EEEvPT_PKS3_PKT0_S9_ifPKiSB_iPKfiiiSD_SD_iiiii
                                        ; -- End function
	.set _ZN4vllm25paged_attention_v1_kernelI14__hip_bfloat16S1_Li64ELi8ELi128ELNS_18Fp8KVCacheDataTypeE0ELb0EEEvPT_PKS3_PKT0_S9_ifPKiSB_iPKfiiiSD_SD_iiiii.num_vgpr, 43
	.set _ZN4vllm25paged_attention_v1_kernelI14__hip_bfloat16S1_Li64ELi8ELi128ELNS_18Fp8KVCacheDataTypeE0ELb0EEEvPT_PKS3_PKT0_S9_ifPKiSB_iPKfiiiSD_SD_iiiii.num_agpr, 0
	.set _ZN4vllm25paged_attention_v1_kernelI14__hip_bfloat16S1_Li64ELi8ELi128ELNS_18Fp8KVCacheDataTypeE0ELb0EEEvPT_PKS3_PKT0_S9_ifPKiSB_iPKfiiiSD_SD_iiiii.numbered_sgpr, 30
	.set _ZN4vllm25paged_attention_v1_kernelI14__hip_bfloat16S1_Li64ELi8ELi128ELNS_18Fp8KVCacheDataTypeE0ELb0EEEvPT_PKS3_PKT0_S9_ifPKiSB_iPKfiiiSD_SD_iiiii.num_named_barrier, 0
	.set _ZN4vllm25paged_attention_v1_kernelI14__hip_bfloat16S1_Li64ELi8ELi128ELNS_18Fp8KVCacheDataTypeE0ELb0EEEvPT_PKS3_PKT0_S9_ifPKiSB_iPKfiiiSD_SD_iiiii.private_seg_size, 0
	.set _ZN4vllm25paged_attention_v1_kernelI14__hip_bfloat16S1_Li64ELi8ELi128ELNS_18Fp8KVCacheDataTypeE0ELb0EEEvPT_PKS3_PKT0_S9_ifPKiSB_iPKfiiiSD_SD_iiiii.uses_vcc, 1
	.set _ZN4vllm25paged_attention_v1_kernelI14__hip_bfloat16S1_Li64ELi8ELi128ELNS_18Fp8KVCacheDataTypeE0ELb0EEEvPT_PKS3_PKT0_S9_ifPKiSB_iPKfiiiSD_SD_iiiii.uses_flat_scratch, 0
	.set _ZN4vllm25paged_attention_v1_kernelI14__hip_bfloat16S1_Li64ELi8ELi128ELNS_18Fp8KVCacheDataTypeE0ELb0EEEvPT_PKS3_PKT0_S9_ifPKiSB_iPKfiiiSD_SD_iiiii.has_dyn_sized_stack, 0
	.set _ZN4vllm25paged_attention_v1_kernelI14__hip_bfloat16S1_Li64ELi8ELi128ELNS_18Fp8KVCacheDataTypeE0ELb0EEEvPT_PKS3_PKT0_S9_ifPKiSB_iPKfiiiSD_SD_iiiii.has_recursion, 0
	.set _ZN4vllm25paged_attention_v1_kernelI14__hip_bfloat16S1_Li64ELi8ELi128ELNS_18Fp8KVCacheDataTypeE0ELb0EEEvPT_PKS3_PKT0_S9_ifPKiSB_iPKfiiiSD_SD_iiiii.has_indirect_call, 0
	.section	.AMDGPU.csdata,"",@progbits
; Kernel info:
; codeLenInByte = 4684
; TotalNumSgprs: 32
; NumVgprs: 43
; ScratchSize: 0
; MemoryBound: 0
; FloatMode: 240
; IeeeMode: 1
; LDSByteSize: 160 bytes/workgroup (compile time only)
; SGPRBlocks: 0
; VGPRBlocks: 5
; NumSGPRsForWavesPerEU: 32
; NumVGPRsForWavesPerEU: 43
; Occupancy: 16
; WaveLimiterHint : 1
; COMPUTE_PGM_RSRC2:SCRATCH_EN: 0
; COMPUTE_PGM_RSRC2:USER_SGPR: 6
; COMPUTE_PGM_RSRC2:TRAP_HANDLER: 0
; COMPUTE_PGM_RSRC2:TGID_X_EN: 1
; COMPUTE_PGM_RSRC2:TGID_Y_EN: 1
; COMPUTE_PGM_RSRC2:TGID_Z_EN: 1
; COMPUTE_PGM_RSRC2:TIDIG_COMP_CNT: 0
	.section	.text._ZN4vllm25paged_attention_v1_kernelI14__hip_bfloat16S1_Li80ELi8ELi128ELNS_18Fp8KVCacheDataTypeE0ELb0EEEvPT_PKS3_PKT0_S9_ifPKiSB_iPKfiiiSD_SD_iiiii,"axG",@progbits,_ZN4vllm25paged_attention_v1_kernelI14__hip_bfloat16S1_Li80ELi8ELi128ELNS_18Fp8KVCacheDataTypeE0ELb0EEEvPT_PKS3_PKT0_S9_ifPKiSB_iPKfiiiSD_SD_iiiii,comdat
	.protected	_ZN4vllm25paged_attention_v1_kernelI14__hip_bfloat16S1_Li80ELi8ELi128ELNS_18Fp8KVCacheDataTypeE0ELb0EEEvPT_PKS3_PKT0_S9_ifPKiSB_iPKfiiiSD_SD_iiiii ; -- Begin function _ZN4vllm25paged_attention_v1_kernelI14__hip_bfloat16S1_Li80ELi8ELi128ELNS_18Fp8KVCacheDataTypeE0ELb0EEEvPT_PKS3_PKT0_S9_ifPKiSB_iPKfiiiSD_SD_iiiii
	.globl	_ZN4vllm25paged_attention_v1_kernelI14__hip_bfloat16S1_Li80ELi8ELi128ELNS_18Fp8KVCacheDataTypeE0ELb0EEEvPT_PKS3_PKT0_S9_ifPKiSB_iPKfiiiSD_SD_iiiii
	.p2align	8
	.type	_ZN4vllm25paged_attention_v1_kernelI14__hip_bfloat16S1_Li80ELi8ELi128ELNS_18Fp8KVCacheDataTypeE0ELb0EEEvPT_PKS3_PKT0_S9_ifPKiSB_iPKfiiiSD_SD_iiiii,@function
_ZN4vllm25paged_attention_v1_kernelI14__hip_bfloat16S1_Li80ELi8ELi128ELNS_18Fp8KVCacheDataTypeE0ELb0EEEvPT_PKS3_PKT0_S9_ifPKiSB_iPKfiiiSD_SD_iiiii: ; @_ZN4vllm25paged_attention_v1_kernelI14__hip_bfloat16S1_Li80ELi8ELi128ELNS_18Fp8KVCacheDataTypeE0ELb0EEEvPT_PKS3_PKT0_S9_ifPKiSB_iPKfiiiSD_SD_iiiii
; %bb.0:
	s_clause 0x2
	s_load_dword s9, s[4:5], 0x80
	s_load_dwordx2 s[0:1], s[4:5], 0x30
	s_load_dwordx2 s[24:25], s[4:5], 0x20
	s_mov_b32 s10, s7
	s_ashr_i32 s11, s7, 31
	s_lshl_b64 s[2:3], s[10:11], 2
	s_waitcnt lgkmcnt(0)
	s_add_u32 s0, s0, s2
	s_addc_u32 s1, s1, s3
	s_abs_i32 s2, s24
	s_abs_i32 s11, s9
	v_cvt_f32_u32_e32 v1, s2
	s_sub_i32 s7, 0, s2
	v_rcp_iflag_f32_e32 v1, v1
	v_mul_f32_e32 v1, 0x4f7ffffe, v1
	v_cvt_u32_f32_e32 v1, v1
	v_readfirstlane_b32 s3, v1
	s_mul_i32 s7, s7, s3
	s_mul_hi_u32 s7, s3, s7
	s_add_i32 s3, s3, s7
	s_xor_b32 s7, s9, s24
	s_mul_hi_u32 s3, s11, s3
	s_ashr_i32 s7, s7, 31
	s_mul_i32 s12, s3, s2
	s_mov_b32 s24, 0
	s_sub_i32 s11, s11, s12
	s_add_i32 s12, s3, 1
	s_sub_i32 s13, s11, s2
	s_cmp_ge_u32 s11, s2
	s_cselect_b32 s3, s12, s3
	s_cselect_b32 s11, s13, s11
	s_add_i32 s12, s3, 1
	s_cmp_ge_u32 s11, s2
	s_cselect_b32 s2, s12, s3
	s_abs_i32 s17, s6
	s_xor_b32 s2, s2, s7
	s_sub_i32 s18, s2, s7
	s_load_dwordx2 s[2:3], s[4:5], 0x40
	s_abs_i32 s16, s18
	v_cvt_f32_u32_e32 v1, s16
	s_sub_i32 s11, 0, s16
	v_rcp_iflag_f32_e32 v1, v1
	v_mul_f32_e32 v1, 0x4f7ffffe, v1
	v_cvt_u32_f32_e32 v1, v1
	v_readfirstlane_b32 s7, v1
	s_mul_i32 s11, s11, s7
	s_mul_hi_u32 s11, s7, s11
	s_add_i32 s7, s7, s11
	s_waitcnt lgkmcnt(0)
	s_cmp_eq_u64 s[2:3], 0
	s_mul_hi_u32 s20, s17, s7
	s_cbranch_scc1 .LBB119_2
; %bb.1:
	s_ashr_i32 s7, s6, 31
	s_lshl_b64 s[12:13], s[6:7], 2
	s_add_u32 s2, s2, s12
	s_addc_u32 s3, s3, s13
	s_load_dword s24, s[2:3], 0x0
.LBB119_2:
	s_load_dword s11, s[0:1], 0x0
	s_load_dwordx4 s[12:15], s[4:5], 0x48
	v_and_b32_e32 v1, 3, v0
	v_lshlrev_b32_e32 v2, 2, v0
	s_ashr_i32 s0, s6, 31
	s_ashr_i32 s1, s18, 31
	s_mulk_i32 s6, 0x50
	s_mov_b32 s2, exec_lo
	v_cmpx_gt_u32_e32 40, v0
	s_cbranch_execz .LBB119_4
; %bb.3:
	s_load_dwordx2 s[18:19], s[4:5], 0x8
	s_waitcnt lgkmcnt(0)
	s_mul_i32 s22, s12, s10
	v_and_b32_e32 v4, 0x3fc, v0
	s_ashr_i32 s23, s22, 31
	s_lshl_b64 s[22:23], s[22:23], 1
	v_mad_u32_u24 v4, v1, 40, v4
	s_add_u32 s3, s18, s22
	s_addc_u32 s12, s19, s23
	s_ashr_i32 s7, s6, 31
	s_lshl_b64 s[18:19], s[6:7], 1
	s_add_u32 s18, s3, s18
	s_addc_u32 s19, s12, s19
	global_load_dword v3, v2, s[18:19]
	s_waitcnt vmcnt(0)
	ds_write_b32 v4, v3
.LBB119_4:
	s_or_b32 exec_lo, exec_lo, s2
	s_waitcnt lgkmcnt(0)
	s_add_i32 s2, s11, 7
	s_clause 0x1
	s_load_dwordx2 s[18:19], s[4:5], 0x28
	s_load_dword s7, s[4:5], 0x38
	s_ashr_i32 s3, s2, 31
	s_xor_b32 s0, s0, s1
	s_lshr_b32 s3, s3, 29
	s_mul_i32 s1, s20, s16
	s_add_i32 s2, s2, s3
	s_sub_i32 s1, s17, s1
	s_ashr_i32 s12, s2, 3
	s_add_i32 s2, s20, 1
	s_sub_i32 s3, s1, s16
	s_cmp_ge_u32 s1, s16
	v_lshrrev_b32_e32 v19, 5, v0
	s_cselect_b32 s2, s2, s20
	s_cselect_b32 s1, s3, s1
	s_add_i32 s3, s2, 1
	s_cmp_ge_u32 s1, s16
	v_mbcnt_lo_u32_b32 v4, -1, 0
	s_cselect_b32 s1, s3, s2
	s_mov_b32 s2, exec_lo
	s_xor_b32 s1, s1, s0
	s_waitcnt lgkmcnt(0)
	s_mul_i32 s20, s7, s10
	s_sub_i32 s1, s1, s0
	v_cmp_gt_i32_e64 s0, s12, v19
	s_ashr_i32 s21, s20, 31
	s_barrier
	buffer_gl0_inv
                                        ; implicit-def: $vgpr5
                                        ; implicit-def: $vgpr6
	v_cmpx_le_i32_e64 s12, v19
	s_xor_b32 s2, exec_lo, s2
; %bb.5:
	v_mov_b32_e32 v5, 0
	v_mbcnt_lo_u32_b32 v4, -1, 0
	v_mov_b32_e32 v6, 32
                                        ; implicit-def: $vgpr2
                                        ; implicit-def: $vgpr1
; %bb.6:
	s_or_saveexec_b32 s26, s2
	s_clause 0x2
	s_load_dwordx2 s[16:17], s[4:5], 0x0
	s_load_dwordx2 s[22:23], s[4:5], 0x18
	s_load_dword s7, s[4:5], 0x88
	v_mov_b32_e32 v26, 0xff7fffff
	v_lshrrev_b32_e32 v3, 3, v0
	s_mul_i32 s14, s1, s14
	s_xor_b32 exec_lo, exec_lo, s26
	s_cbranch_execz .LBB119_12
; %bb.7:
	s_load_dwordx2 s[2:3], s[4:5], 0x10
	v_bfe_u32 v26, v0, 2, 3
	s_ashr_i32 s15, s14, 31
	v_mul_u32_u24_e32 v6, 40, v1
	s_lshl_b64 s[4:5], s[14:15], 1
	v_and_b32_e32 v2, 12, v2
	v_lshlrev_b32_e32 v7, 4, v26
	v_lshlrev_b32_e32 v33, 2, v26
	ds_read2_b64 v[11:14], v6 offset1:1
	ds_read2_b64 v[22:25], v6 offset0:2 offset1:3
	ds_read_b64 v[29:30], v6 offset:32
	v_mov_b32_e32 v5, 0
	v_mov_b32_e32 v35, v19
	s_mov_b32 s15, s13
	s_waitcnt lgkmcnt(0)
	s_add_u32 s1, s2, s4
	s_addc_u32 s2, s3, s5
	v_add_co_u32 v6, s1, s1, v7
	v_add_co_ci_u32_e64 v16, null, s2, 0, s1
	s_lshl_b64 s[2:3], s[20:21], 2
	v_add_co_u32 v15, vcc_lo, v6, v2
	v_xor_b32_e32 v2, 2, v4
	v_add_co_ci_u32_e64 v16, null, 0, v16, vcc_lo
	v_xor_b32_e32 v6, 1, v4
	s_sub_i32 s4, 1, s11
	v_cmp_gt_i32_e32 vcc_lo, 32, v2
	s_add_u32 s2, s18, s2
	s_addc_u32 s3, s19, s3
	v_lshlrev_b32_e32 v7, 16, v11
	v_and_b32_e32 v8, 0xffff0000, v11
	v_cndmask_b32_e32 v2, v4, v2, vcc_lo
	v_cmp_gt_i32_e32 vcc_lo, 32, v6
	v_lshlrev_b32_e32 v9, 16, v12
	v_and_b32_e32 v10, 0xffff0000, v12
	v_lshlrev_b32_e32 v11, 16, v13
	v_lshlrev_b32_e32 v31, 2, v2
	v_cndmask_b32_e32 v32, v4, v6, vcc_lo
	v_cmp_eq_u32_e32 vcc_lo, 0, v1
	v_lshl_or_b32 v1, v19, 5, v33
	v_and_b32_e32 v2, 0x7c, v3
	v_and_b32_e32 v12, 0xffff0000, v13
	v_lshlrev_b32_e32 v13, 16, v14
	v_and_b32_e32 v14, 0xffff0000, v14
	v_add_nc_u32_e32 v34, 0xc0, v1
	v_add_co_u32 v1, s2, s2, v2
	v_lshlrev_b32_e32 v17, 16, v22
	v_and_b32_e32 v18, 0xffff0000, v22
	v_lshlrev_b32_e32 v20, 16, v23
	v_and_b32_e32 v21, 0xffff0000, v23
	;; [unrolled: 2-line block ×6, first 2 shown]
	v_mov_b32_e32 v6, 32
	v_lshlrev_b32_e32 v32, 2, v32
	v_cmp_neq_f32_e64 s1, s24, 0
	v_lshl_or_b32 v33, v19, 3, v26
	v_add_co_ci_u32_e64 v2, null, s3, 0, s2
	v_mov_b32_e32 v26, 0xff7fffff
	s_mov_b32 s5, 0
	s_branch .LBB119_9
.LBB119_8:                              ;   in Loop: Header=BB119_9 Depth=1
	s_or_b32 exec_lo, exec_lo, s3
	v_add_nc_u32_e32 v35, 4, v35
	v_add_co_u32 v1, s3, v1, 16
	v_add_nc_u32_e32 v33, 32, v33
	v_add_nc_u32_e32 v34, 0x80, v34
	v_cmp_le_i32_e64 s2, s12, v35
	v_add_co_ci_u32_e64 v2, null, 0, v2, s3
	s_or_b32 s5, s2, s5
	s_andn2_b32 exec_lo, exec_lo, s5
	s_cbranch_execz .LBB119_11
.LBB119_9:                              ; =>This Inner Loop Header: Depth=1
	global_load_dword v36, v[1:2], off
	s_waitcnt vmcnt(0) lgkmcnt(0)
	v_mad_i64_i32 v[36:37], null, v36, s15, 0
	v_lshlrev_b64 v[36:37], 1, v[36:37]
	v_add_co_u32 v36, s2, v15, v36
	v_add_co_ci_u32_e64 v37, null, v16, v37, s2
	s_clause 0x9
	global_load_dword v38, v[36:37], off offset:128
	global_load_dword v39, v[36:37], off
	global_load_dword v40, v[36:37], off offset:256
	global_load_dword v41, v[36:37], off offset:384
	;; [unrolled: 1-line block ×8, first 2 shown]
	s_waitcnt vmcnt(9)
	v_lshlrev_b32_e32 v37, 16, v38
	v_and_b32_e32 v38, 0xffff0000, v38
	s_waitcnt vmcnt(8)
	v_lshlrev_b32_e32 v47, 16, v39
	v_and_b32_e32 v39, 0xffff0000, v39
	s_waitcnt vmcnt(7)
	v_lshlrev_b32_e32 v48, 16, v40
	v_mul_f32_e32 v37, v9, v37
	v_mul_f32_e32 v38, v10, v38
	v_and_b32_e32 v40, 0xffff0000, v40
	v_fmac_f32_e32 v37, v7, v47
	v_fmac_f32_e32 v38, v8, v39
	s_waitcnt vmcnt(6)
	v_lshlrev_b32_e32 v39, 16, v41
	v_and_b32_e32 v41, 0xffff0000, v41
	v_fmac_f32_e32 v37, v11, v48
	v_fmac_f32_e32 v38, v12, v40
	s_waitcnt vmcnt(5)
	v_lshlrev_b32_e32 v40, 16, v42
	v_and_b32_e32 v42, 0xffff0000, v42
	v_fmac_f32_e32 v37, v13, v39
	v_fmac_f32_e32 v38, v14, v41
	s_waitcnt vmcnt(4)
	v_lshlrev_b32_e32 v39, 16, v43
	v_and_b32_e32 v41, 0xffff0000, v43
	v_fmac_f32_e32 v37, v17, v40
	v_fmac_f32_e32 v38, v18, v42
	s_waitcnt vmcnt(3)
	v_lshlrev_b32_e32 v40, 16, v44
	v_and_b32_e32 v42, 0xffff0000, v44
	v_fmac_f32_e32 v37, v20, v39
	v_fmac_f32_e32 v38, v21, v41
	s_waitcnt vmcnt(2)
	v_lshlrev_b32_e32 v39, 16, v45
	v_and_b32_e32 v41, 0xffff0000, v45
	v_fmac_f32_e32 v37, v22, v40
	v_fmac_f32_e32 v38, v23, v42
	s_waitcnt vmcnt(1)
	v_lshlrev_b32_e32 v40, 16, v46
	v_and_b32_e32 v42, 0xffff0000, v46
	v_fmac_f32_e32 v37, v24, v39
	v_fmac_f32_e32 v38, v25, v41
	s_waitcnt vmcnt(0)
	v_lshlrev_b32_e32 v39, 16, v36
	v_and_b32_e32 v36, 0xffff0000, v36
	v_fmac_f32_e32 v37, v27, v40
	v_fmac_f32_e32 v38, v28, v42
	;; [unrolled: 1-line block ×4, first 2 shown]
	v_add_f32_e32 v36, v37, v38
	ds_bpermute_b32 v37, v31, v36
	s_waitcnt lgkmcnt(0)
	v_add_f32_e32 v36, v36, v37
	ds_bpermute_b32 v37, v32, v36
	s_and_saveexec_b32 s3, vcc_lo
	s_cbranch_execz .LBB119_8
; %bb.10:                               ;   in Loop: Header=BB119_9 Depth=1
	v_add_nc_u32_e32 v38, s4, v33
	s_waitcnt lgkmcnt(0)
	v_add_f32_e32 v36, v36, v37
	v_cmp_gt_i32_e64 s2, s11, v33
	v_cvt_f32_i32_e32 v38, v38
	v_mul_f32_e32 v38, s24, v38
	v_cndmask_b32_e64 v37, 0, v38, s1
	v_max_f32_e32 v38, v26, v26
	v_fmac_f32_e32 v37, s25, v36
	v_max_f32_e32 v36, v38, v37
	v_cndmask_b32_e64 v37, 0, v37, s2
	v_cndmask_b32_e64 v26, v26, v36, s2
	ds_write_b32 v34, v37
	s_branch .LBB119_8
.LBB119_11:
	s_or_b32 exec_lo, exec_lo, s5
.LBB119_12:
	s_or_b32 exec_lo, exec_lo, s26
	v_xor_b32_e32 v1, 16, v4
	v_xor_b32_e32 v7, 8, v4
	v_max_f32_e32 v8, v26, v26
	v_and_b32_e32 v20, 31, v0
	v_cmp_lt_i32_e32 vcc_lo, v1, v6
	v_cndmask_b32_e32 v1, v4, v1, vcc_lo
	v_cmp_lt_i32_e32 vcc_lo, v7, v6
	v_lshlrev_b32_e32 v1, 2, v1
	v_cndmask_b32_e32 v7, v4, v7, vcc_lo
	ds_bpermute_b32 v2, v1, v26
	s_waitcnt lgkmcnt(0)
	v_max_f32_e32 v9, v2, v2
	v_lshlrev_b32_e32 v2, 2, v7
	v_max_f32_e32 v7, v8, v9
	v_xor_b32_e32 v9, 4, v4
	ds_bpermute_b32 v8, v2, v7
	v_cmp_lt_i32_e32 vcc_lo, v9, v6
	v_cndmask_b32_e32 v9, v4, v9, vcc_lo
	v_cmp_eq_u32_e32 vcc_lo, 0, v20
	v_lshlrev_b32_e32 v9, 2, v9
	s_waitcnt lgkmcnt(0)
	v_max_f32_e32 v8, v8, v8
	v_max_f32_e32 v8, v7, v8
	v_lshlrev_b32_e32 v7, 2, v19
	ds_bpermute_b32 v10, v9, v8
	s_and_saveexec_b32 s1, vcc_lo
	s_cbranch_execz .LBB119_14
; %bb.13:
	s_waitcnt lgkmcnt(0)
	v_max_f32_e32 v10, v10, v10
	v_max_f32_e32 v8, v8, v8
	;; [unrolled: 1-line block ×3, first 2 shown]
	ds_write_b32 v7, v8 offset:160
.LBB119_14:
	s_or_b32 exec_lo, exec_lo, s1
	v_cmp_gt_u32_e64 s1, 4, v20
	v_mov_b32_e32 v11, 0xff7fffff
	v_lshlrev_b32_e32 v8, 2, v20
	s_waitcnt lgkmcnt(0)
	s_barrier
	buffer_gl0_inv
	s_and_saveexec_b32 s2, s1
; %bb.15:
	ds_read_b32 v11, v8 offset:160
; %bb.16:
	s_or_b32 exec_lo, exec_lo, s2
	v_xor_b32_e32 v10, 2, v4
	v_xor_b32_e32 v13, 1, v4
	v_lshlrev_b32_e32 v5, 2, v5
	v_lshl_add_u32 v21, v0, 2, 0xc0
	v_cmp_lt_i32_e64 s2, v10, v6
	v_cndmask_b32_e64 v10, v4, v10, s2
	v_cmp_lt_i32_e64 s2, v13, v6
	v_lshlrev_b32_e32 v10, 2, v10
	v_cndmask_b32_e64 v6, v4, v13, s2
	s_lshl_b32 s2, s12, 3
	s_min_i32 s4, s2, s11
	s_waitcnt lgkmcnt(0)
	ds_bpermute_b32 v12, v10, v11
	v_max_f32_e32 v11, v11, v11
	v_lshlrev_b32_e32 v6, 2, v6
	v_cmp_gt_i32_e64 s2, s4, v0
	s_waitcnt lgkmcnt(0)
	v_max_f32_e32 v12, v12, v12
	v_max_f32_e32 v11, v11, v12
	ds_bpermute_b32 v12, v6, v11
	s_waitcnt lgkmcnt(0)
	v_max_f32_e32 v12, v12, v12
	v_max_f32_e32 v11, v11, v12
	ds_bpermute_b32 v11, v5, v11
	v_mov_b32_e32 v5, 0
	s_and_saveexec_b32 s5, s2
	s_cbranch_execz .LBB119_20
; %bb.17:
	v_lshl_add_u32 v12, v0, 2, 0xc0
	v_mov_b32_e32 v5, 0
	v_mov_b32_e32 v13, v0
	s_mov_b32 s15, 0
	.p2align	6
.LBB119_18:                             ; =>This Inner Loop Header: Depth=1
	ds_read_b32 v14, v12
	v_add_nc_u32_e32 v13, 0x80, v13
	v_cmp_le_i32_e64 s3, s4, v13
	s_or_b32 s15, s3, s15
	s_waitcnt lgkmcnt(0)
	v_sub_f32_e32 v14, v14, v11
	v_mul_f32_e32 v14, 0x3fb8aa3b, v14
	v_exp_f32_e32 v14, v14
	ds_write_b32 v12, v14
	v_add_f32_e32 v5, v5, v14
	v_add_nc_u32_e32 v12, 0x200, v12
	s_andn2_b32 exec_lo, exec_lo, s15
	s_cbranch_execnz .LBB119_18
; %bb.19:
	s_or_b32 exec_lo, exec_lo, s15
.LBB119_20:
	s_or_b32 exec_lo, exec_lo, s5
	ds_bpermute_b32 v1, v1, v5
	s_waitcnt lgkmcnt(0)
	v_add_f32_e32 v1, v5, v1
	ds_bpermute_b32 v2, v2, v1
	s_waitcnt lgkmcnt(0)
	v_add_f32_e32 v1, v1, v2
	ds_bpermute_b32 v2, v9, v1
	s_waitcnt lgkmcnt(0)
	v_add_f32_e32 v1, v1, v2
	ds_bpermute_b32 v2, v10, v1
	s_waitcnt lgkmcnt(0)
	v_add_f32_e32 v1, v1, v2
	ds_bpermute_b32 v2, v6, v1
	s_waitcnt lgkmcnt(0)
	v_add_f32_e32 v1, v1, v2
	s_and_saveexec_b32 s3, vcc_lo
; %bb.21:
	ds_write_b32 v7, v1 offset:176
; %bb.22:
	s_or_b32 exec_lo, exec_lo, s3
	s_waitcnt lgkmcnt(0)
	s_barrier
	buffer_gl0_inv
	s_and_saveexec_b32 s3, s1
; %bb.23:
	ds_read_b32 v1, v8 offset:176
; %bb.24:
	s_or_b32 exec_lo, exec_lo, s3
	s_waitcnt lgkmcnt(0)
	ds_bpermute_b32 v2, v10, v1
	v_lshlrev_b32_e32 v4, 2, v4
	s_waitcnt lgkmcnt(0)
	v_add_f32_e32 v1, v1, v2
	ds_bpermute_b32 v2, v6, v1
	s_waitcnt lgkmcnt(0)
	v_add_f32_e32 v1, v1, v2
	v_and_b32_e32 v2, 0xffffff80, v4
	ds_bpermute_b32 v1, v2, v1
	s_and_saveexec_b32 s1, s2
	s_cbranch_execz .LBB119_27
; %bb.25:
	s_waitcnt lgkmcnt(0)
	v_add_f32_e32 v2, 0x358637bd, v1
	s_mov_b32 s2, 0
	v_div_scale_f32 v1, null, v2, v2, 1.0
	v_div_scale_f32 v6, vcc_lo, 1.0, v2, 1.0
	v_rcp_f32_e32 v4, v1
	v_fma_f32 v5, -v1, v4, 1.0
	v_fmac_f32_e32 v4, v5, v4
	v_mul_f32_e32 v5, v6, v4
	v_fma_f32 v7, -v1, v5, v6
	v_fmac_f32_e32 v5, v7, v4
	v_fma_f32 v1, -v1, v5, v6
	v_div_fmas_f32 v4, v1, v4, v5
	v_mov_b32_e32 v1, v21
	v_div_fixup_f32 v2, v4, v2, 1.0
	v_mov_b32_e32 v4, v0
.LBB119_26:                             ; =>This Inner Loop Header: Depth=1
	ds_read_b32 v5, v1
	v_add_nc_u32_e32 v4, 0x80, v4
	v_cmp_le_i32_e32 vcc_lo, s4, v4
	s_or_b32 s2, vcc_lo, s2
	s_waitcnt lgkmcnt(0)
	v_mul_f32_e32 v5, v2, v5
	ds_write_b32 v1, v5
	v_add_nc_u32_e32 v1, 0x200, v1
	s_andn2_b32 exec_lo, exec_lo, s2
	s_cbranch_execnz .LBB119_26
.LBB119_27:
	s_or_b32 exec_lo, exec_lo, s1
	v_mov_b32_e32 v24, 0
	v_or_b32_e32 v25, 64, v20
	v_mov_b32_e32 v23, 0
	v_mov_b32_e32 v22, 0
	s_waitcnt lgkmcnt(0)
	s_barrier
	buffer_gl0_inv
	s_and_saveexec_b32 s4, s0
	s_cbranch_execz .LBB119_39
; %bb.28:
	s_ashr_i32 s15, s14, 31
	v_and_b32_e32 v3, 0x7c, v3
	s_lshl_b64 s[0:1], s[14:15], 1
	v_lshlrev_b32_e32 v1, 3, v20
	s_add_u32 s5, s22, s0
	s_addc_u32 s14, s23, s1
	s_lshl_b64 s[2:3], s[20:21], 2
	s_add_i32 s15, s12, -1
	v_lshlrev_b32_e32 v2, 3, v25
	s_add_u32 s1, s18, s2
	s_addc_u32 s2, s19, s3
	v_add_co_u32 v17, s1, s1, v3
	v_mov_b32_e32 v26, 0
	v_cmp_gt_u32_e64 s0, 0x50, v25
	v_lshlrev_b32_e32 v27, 3, v19
	v_lshl_add_u32 v28, v19, 5, 0xc0
	v_add_co_ci_u32_e64 v18, null, s2, 0, s1
	v_lshlrev_b32_e32 v29, 1, v1
	v_lshlrev_b32_e32 v30, 1, v2
	v_mov_b32_e32 v22, 0
	v_mov_b32_e32 v23, 0
	;; [unrolled: 1-line block ×4, first 2 shown]
	s_mov_b32 s19, s11
	s_mov_b32 s18, 0
	s_branch .LBB119_31
.LBB119_29:                             ;   in Loop: Header=BB119_31 Depth=1
	s_or_b32 exec_lo, exec_lo, s20
	s_waitcnt vmcnt(0)
	v_and_b32_e32 v32, 0xffff0000, v9
	v_and_b32_e32 v33, 0xffff0000, v16
	v_lshlrev_b32_e32 v9, 16, v9
	v_lshlrev_b32_e32 v34, 16, v16
	v_and_b32_e32 v35, 0xffff0000, v10
	v_lshlrev_b32_e32 v10, 16, v10
	v_mul_f32_e32 v32, v33, v32
	v_and_b32_e32 v33, 0xffff0000, v15
	v_lshlrev_b32_e32 v36, 16, v15
	v_mul_f32_e32 v9, v34, v9
	v_lshlrev_b32_e32 v40, 16, v13
	v_bfe_u32 v34, v32, 16, 1
	v_mul_f32_e32 v33, v33, v35
	v_mul_f32_e32 v10, v36, v10
	v_bfe_u32 v35, v9, 16, 1
	v_or_b32_e32 v36, 0x400000, v32
	v_add3_u32 v34, v34, v32, 0x7fff
	v_cmp_u_f32_e32 vcc_lo, v32, v32
	v_or_b32_e32 v37, 0x400000, v9
	v_bfe_u32 v38, v33, 16, 1
	v_add3_u32 v35, v35, v9, 0x7fff
	v_and_b32_e32 v39, 0xffff0000, v13
	v_cndmask_b32_e32 v32, v34, v36, vcc_lo
	v_and_b32_e32 v34, 0xffff0000, v11
	v_and_b32_e32 v36, 0xffff0000, v14
	v_cmp_u_f32_e32 vcc_lo, v9, v9
	v_lshlrev_b32_e32 v11, 16, v11
	v_and_b32_e32 v32, 0xffff0000, v32
	v_mul_f32_e32 v34, v36, v34
	v_cndmask_b32_e32 v9, v35, v37, vcc_lo
	v_add3_u32 v35, v38, v33, 0x7fff
	v_or_b32_e32 v37, 0x400000, v33
	v_bfe_u32 v38, v10, 16, 1
	v_lshlrev_b32_e32 v36, 16, v14
	v_cmp_u_f32_e32 vcc_lo, v33, v33
	v_and_b32_e32 v9, 0xffff0000, v9
	v_mul_f32_e32 v11, v36, v11
	v_cndmask_b32_e32 v33, v35, v37, vcc_lo
	v_add3_u32 v35, v38, v10, 0x7fff
	v_or_b32_e32 v37, 0x400000, v10
	v_bfe_u32 v38, v34, 16, 1
	v_and_b32_e32 v36, 0xffff0000, v12
	v_lshlrev_b32_e32 v12, 16, v12
	v_cmp_u_f32_e32 vcc_lo, v10, v10
	v_and_b32_e32 v33, 0xffff0000, v33
	v_add_f32_e32 v9, v9, v32
	v_mul_f32_e32 v36, v39, v36
	v_mul_f32_e32 v12, v40, v12
	v_cndmask_b32_e32 v10, v35, v37, vcc_lo
	v_bfe_u32 v35, v11, 16, 1
	v_add3_u32 v37, v38, v34, 0x7fff
	v_or_b32_e32 v38, 0x400000, v34
	v_cmp_u_f32_e32 vcc_lo, v34, v34
	v_or_b32_e32 v39, 0x400000, v11
	v_add3_u32 v35, v35, v11, 0x7fff
	v_bfe_u32 v41, v12, 16, 1
	v_bfe_u32 v40, v36, 16, 1
	v_cndmask_b32_e32 v34, v37, v38, vcc_lo
	v_cmp_u_f32_e32 vcc_lo, v11, v11
	v_or_b32_e32 v38, 0x400000, v12
	v_add3_u32 v37, v41, v12, 0x7fff
	v_and_b32_e32 v10, 0xffff0000, v10
	v_and_b32_e32 v32, 0xffff0000, v34
	v_cndmask_b32_e32 v11, v35, v39, vcc_lo
	v_cmp_u_f32_e32 vcc_lo, v12, v12
	v_add3_u32 v35, v40, v36, 0x7fff
	v_or_b32_e32 v39, 0x400000, v36
	v_add_f32_e32 v10, v10, v33
	v_and_b32_e32 v11, 0xffff0000, v11
	v_cndmask_b32_e32 v12, v37, v38, vcc_lo
	v_cmp_u_f32_e32 vcc_lo, v36, v36
	v_add_f32_e32 v9, v10, v9
	v_add_f32_e32 v10, v11, v32
	v_and_b32_e32 v11, 0xffff0000, v12
	v_cndmask_b32_e32 v33, v35, v39, vcc_lo
	v_add_f32_e32 v9, v10, v9
	v_and_b32_e32 v12, 0xffff0000, v33
	v_add_f32_e32 v10, v11, v12
	v_add_f32_e32 v9, v10, v9
	;; [unrolled: 1-line block ×3, first 2 shown]
.LBB119_30:                             ;   in Loop: Header=BB119_31 Depth=1
	s_or_b32 exec_lo, exec_lo, s3
	s_waitcnt vmcnt(0)
	v_and_b32_e32 v9, 0xffff0000, v5
	v_and_b32_e32 v10, 0xffff0000, v16
	v_lshlrev_b32_e32 v5, 16, v5
	v_lshlrev_b32_e32 v11, 16, v16
	v_and_b32_e32 v12, 0xffff0000, v6
	v_and_b32_e32 v16, 0xffff0000, v15
	v_mul_f32_e32 v9, v10, v9
	v_lshlrev_b32_e32 v6, 16, v6
	v_mul_f32_e32 v5, v11, v5
	v_lshlrev_b32_e32 v15, 16, v15
	v_mul_f32_e32 v12, v16, v12
	v_bfe_u32 v32, v9, 16, 1
	v_or_b32_e32 v35, 0x400000, v9
	v_bfe_u32 v34, v5, 16, 1
	v_cmp_u_f32_e32 vcc_lo, v9, v9
	v_and_b32_e32 v33, 0xffff0000, v7
	v_add3_u32 v32, v32, v9, 0x7fff
	v_mul_f32_e32 v6, v15, v6
	v_bfe_u32 v36, v12, 16, 1
	v_add3_u32 v34, v34, v5, 0x7fff
	v_or_b32_e32 v37, 0x400000, v12
	v_cndmask_b32_e32 v9, v32, v35, vcc_lo
	v_and_b32_e32 v32, 0xffff0000, v14
	v_or_b32_e32 v35, 0x400000, v5
	v_cmp_u_f32_e32 vcc_lo, v5, v5
	v_add3_u32 v36, v36, v12, 0x7fff
	v_bfe_u32 v38, v6, 16, 1
	v_mul_f32_e32 v33, v32, v33
	v_lshlrev_b32_e32 v7, 16, v7
	v_cndmask_b32_e32 v5, v34, v35, vcc_lo
	v_cmp_u_f32_e32 vcc_lo, v12, v12
	v_lshlrev_b32_e32 v14, 16, v14
	v_add3_u32 v34, v38, v6, 0x7fff
	v_bfe_u32 v35, v33, 16, 1
	v_or_b32_e32 v38, 0x400000, v6
	v_cndmask_b32_e32 v12, v36, v37, vcc_lo
	v_and_b32_e32 v36, 0xffff0000, v8
	v_and_b32_e32 v37, 0xffff0000, v13
	v_mul_f32_e32 v7, v14, v7
	v_cmp_u_f32_e32 vcc_lo, v6, v6
	v_add3_u32 v35, v35, v33, 0x7fff
	v_or_b32_e32 v39, 0x400000, v33
	v_mul_f32_e32 v36, v37, v36
	v_lshlrev_b32_e32 v8, 16, v8
	v_cndmask_b32_e32 v6, v34, v38, vcc_lo
	v_bfe_u32 v34, v7, 16, 1
	v_cmp_u_f32_e32 vcc_lo, v33, v33
	v_lshlrev_b32_e32 v13, 16, v13
	v_or_b32_e32 v38, 0x400000, v7
	v_and_b32_e32 v5, 0xffff0000, v5
	v_add3_u32 v34, v34, v7, 0x7fff
	v_cndmask_b32_e32 v33, v35, v39, vcc_lo
	v_bfe_u32 v35, v36, 16, 1
	v_cmp_u_f32_e32 vcc_lo, v7, v7
	v_or_b32_e32 v39, 0x400000, v36
	v_mul_f32_e32 v8, v13, v8
	v_and_b32_e32 v9, 0xffff0000, v9
	v_add3_u32 v35, v35, v36, 0x7fff
	v_cndmask_b32_e32 v7, v34, v38, vcc_lo
	v_cmp_u_f32_e32 vcc_lo, v36, v36
	v_and_b32_e32 v6, 0xffff0000, v6
	v_and_b32_e32 v12, 0xffff0000, v12
	;; [unrolled: 1-line block ×3, first 2 shown]
	v_add_f32_e32 v5, v5, v9
	v_cndmask_b32_e32 v34, v35, v39, vcc_lo
	v_bfe_u32 v35, v8, 16, 1
	v_add_f32_e32 v6, v6, v12
	v_and_b32_e32 v7, 0xffff0000, v7
	v_and_b32_e32 v9, 0xffff0000, v33
	v_mul_f32_e32 v10, v10, v38
	v_lshlrev_b32_e32 v1, 16, v1
	v_add3_u32 v35, v35, v8, 0x7fff
	v_or_b32_e32 v36, 0x400000, v8
	v_cmp_u_f32_e32 vcc_lo, v8, v8
	v_add_f32_e32 v5, v6, v5
	v_bfe_u32 v6, v10, 16, 1
	v_add_f32_e32 v7, v7, v9
	v_mul_f32_e32 v1, v11, v1
	v_and_b32_e32 v9, 0xffff0000, v2
	v_cndmask_b32_e32 v8, v35, v36, vcc_lo
	v_add3_u32 v6, v6, v10, 0x7fff
	v_or_b32_e32 v11, 0x400000, v10
	v_bfe_u32 v12, v1, 16, 1
	v_mul_f32_e32 v9, v16, v9
	v_lshlrev_b32_e32 v2, 16, v2
	v_cmp_u_f32_e32 vcc_lo, v10, v10
	v_and_b32_e32 v8, 0xffff0000, v8
	v_add3_u32 v10, v12, v1, 0x7fff
	v_bfe_u32 v12, v9, 16, 1
	v_mul_f32_e32 v2, v15, v2
	v_cndmask_b32_e32 v6, v6, v11, vcc_lo
	v_or_b32_e32 v11, 0x400000, v1
	v_and_b32_e32 v15, 0xffff0000, v3
	v_cmp_u_f32_e32 vcc_lo, v1, v1
	v_lshlrev_b32_e32 v3, 16, v3
	v_and_b32_e32 v6, 0xffff0000, v6
	v_add_f32_e32 v5, v7, v5
	v_mul_f32_e32 v15, v32, v15
	v_cndmask_b32_e32 v1, v10, v11, vcc_lo
	v_add3_u32 v10, v12, v9, 0x7fff
	v_or_b32_e32 v11, 0x400000, v9
	v_bfe_u32 v12, v2, 16, 1
	v_cmp_u_f32_e32 vcc_lo, v9, v9
	v_mul_f32_e32 v3, v14, v3
	v_and_b32_e32 v14, 0xffff0000, v4
	v_lshlrev_b32_e32 v4, 16, v4
	v_and_b32_e32 v1, 0xffff0000, v1
	v_cndmask_b32_e32 v9, v10, v11, vcc_lo
	v_add3_u32 v10, v12, v2, 0x7fff
	v_or_b32_e32 v11, 0x400000, v2
	v_bfe_u32 v12, v15, 16, 1
	v_cmp_u_f32_e32 vcc_lo, v2, v2
	v_mul_f32_e32 v4, v13, v4
	v_or_b32_e32 v13, 0x400000, v15
	v_and_b32_e32 v9, 0xffff0000, v9
	v_add_f32_e32 v1, v1, v6
	v_cndmask_b32_e32 v2, v10, v11, vcc_lo
	v_bfe_u32 v10, v3, 16, 1
	v_add3_u32 v11, v12, v15, 0x7fff
	v_cmp_u_f32_e32 vcc_lo, v15, v15
	v_mul_f32_e32 v12, v37, v14
	v_or_b32_e32 v14, 0x400000, v3
	v_add3_u32 v10, v10, v3, 0x7fff
	v_bfe_u32 v32, v4, 16, 1
	v_cndmask_b32_e32 v11, v11, v13, vcc_lo
	v_cmp_u_f32_e32 vcc_lo, v3, v3
	v_bfe_u32 v16, v12, 16, 1
	v_and_b32_e32 v2, 0xffff0000, v2
	v_add3_u32 v13, v32, v4, 0x7fff
	v_or_b32_e32 v15, 0x400000, v12
	v_cndmask_b32_e32 v3, v10, v14, vcc_lo
	v_or_b32_e32 v14, 0x400000, v4
	v_cmp_u_f32_e32 vcc_lo, v4, v4
	v_add3_u32 v10, v16, v12, 0x7fff
	v_add_f32_e32 v2, v2, v9
	v_and_b32_e32 v3, 0xffff0000, v3
	v_and_b32_e32 v6, 0xffff0000, v11
	v_cndmask_b32_e32 v4, v13, v14, vcc_lo
	v_cmp_u_f32_e32 vcc_lo, v12, v12
	v_add_f32_e32 v1, v2, v1
	v_add_nc_u32_e32 v31, 4, v31
	v_add_f32_e32 v2, v3, v6
	v_and_b32_e32 v3, 0xffff0000, v4
	v_cndmask_b32_e32 v9, v10, v15, vcc_lo
	v_and_b32_e32 v10, 0xffff0000, v34
	v_cmp_le_i32_e32 vcc_lo, s12, v31
	v_add_f32_e32 v1, v2, v1
	v_add_co_u32 v17, s1, v17, 16
	v_and_b32_e32 v4, 0xffff0000, v9
	v_add_f32_e32 v6, v8, v10
	v_add_nc_u32_e32 v27, 32, v27
	v_add_nc_u32_e32 v28, 0x80, v28
	v_add_co_ci_u32_e64 v18, null, 0, v18, s1
	v_add_f32_e32 v2, v3, v4
	v_add_f32_e32 v3, v6, v5
	s_or_b32 s18, vcc_lo, s18
	v_add_f32_e32 v1, v2, v1
	v_add_f32_e32 v23, v23, v3
	;; [unrolled: 1-line block ×3, first 2 shown]
	s_andn2_b32 exec_lo, exec_lo, s18
	s_cbranch_execz .LBB119_38
.LBB119_31:                             ; =>This Inner Loop Header: Depth=1
	global_load_dword v1, v[17:18], off
	v_cmp_eq_u32_e64 s1, s15, v31
	s_waitcnt vmcnt(0)
	v_mad_i64_i32 v[1:2], null, v1, s13, 0
	v_lshlrev_b64 v[1:2], 1, v[1:2]
	v_add_co_u32 v32, vcc_lo, s5, v1
	v_add_co_ci_u32_e64 v33, null, s14, v2, vcc_lo
	v_add_co_u32 v5, vcc_lo, v32, v29
	v_add_co_ci_u32_e64 v6, null, 0, v33, vcc_lo
	global_load_dwordx4 v[1:4], v[5:6], off
	ds_read2_b64 v[13:16], v28 offset1:1
	ds_read2_b64 v[9:12], v28 offset0:2 offset1:3
	s_and_saveexec_b32 s20, s1
	s_cbranch_execz .LBB119_33
; %bb.32:                               ;   in Loop: Header=BB119_31 Depth=1
	v_add_nc_u32_e32 v7, 1, v27
	v_or_b32_e32 v8, 3, v27
	v_cmp_gt_i32_e32 vcc_lo, s11, v27
	v_or_b32_e32 v34, 2, v27
	v_or_b32_e32 v36, 7, v27
	v_cmp_gt_i32_e64 s2, s19, v8
	s_waitcnt vmcnt(0)
	v_cndmask_b32_e32 v35, 0, v1, vcc_lo
	v_cmp_gt_i32_e32 vcc_lo, s19, v7
	v_cmp_gt_i32_e64 s3, s11, v34
	v_or_b32_e32 v8, 5, v27
	v_or_b32_e32 v34, 4, v27
	v_cndmask_b32_sdwa v1, v26, v1, vcc_lo dst_sel:DWORD dst_unused:UNUSED_PAD src0_sel:DWORD src1_sel:WORD_1
	s_mov_b32 vcc_lo, s2
	v_cndmask_b32_e64 v7, 0, v2, s3
	v_cndmask_b32_sdwa v2, v26, v2, vcc_lo dst_sel:DWORD dst_unused:UNUSED_PAD src0_sel:DWORD src1_sel:WORD_1
	v_cmp_gt_i32_e32 vcc_lo, s19, v8
	v_cmp_gt_i32_e64 s2, s11, v34
	v_or_b32_e32 v34, 6, v27
	v_perm_b32 v1, v1, v35, 0x5040100
	v_perm_b32 v2, v2, v7, 0x5040100
	v_cndmask_b32_e64 v8, 0, v3, s2
	v_cmp_gt_i32_e64 s2, s19, v36
	v_cndmask_b32_sdwa v3, v26, v3, vcc_lo dst_sel:DWORD dst_unused:UNUSED_PAD src0_sel:DWORD src1_sel:WORD_1
	v_cmp_gt_i32_e32 vcc_lo, s11, v34
	v_perm_b32 v3, v3, v8, 0x5040100
	v_cndmask_b32_e32 v34, 0, v4, vcc_lo
	s_mov_b32 vcc_lo, s2
	v_cndmask_b32_sdwa v4, v26, v4, vcc_lo dst_sel:DWORD dst_unused:UNUSED_PAD src0_sel:DWORD src1_sel:WORD_1
	v_perm_b32 v4, v4, v34, 0x5040100
.LBB119_33:                             ;   in Loop: Header=BB119_31 Depth=1
	s_or_b32 exec_lo, exec_lo, s20
	global_load_dwordx4 v[5:8], v[5:6], off offset:512
	s_and_saveexec_b32 s20, s1
	s_cbranch_execz .LBB119_35
; %bb.34:                               ;   in Loop: Header=BB119_31 Depth=1
	v_add_nc_u32_e32 v34, 1, v27
	v_or_b32_e32 v35, 3, v27
	v_cmp_gt_i32_e32 vcc_lo, s11, v27
	v_or_b32_e32 v36, 2, v27
	v_or_b32_e32 v38, 7, v27
	v_cmp_gt_i32_e64 s2, s19, v35
	s_waitcnt vmcnt(0)
	v_cndmask_b32_e32 v37, 0, v5, vcc_lo
	v_cmp_gt_i32_e32 vcc_lo, s19, v34
	v_cmp_gt_i32_e64 s3, s11, v36
	v_or_b32_e32 v35, 5, v27
	v_or_b32_e32 v36, 4, v27
	v_cndmask_b32_sdwa v5, v26, v5, vcc_lo dst_sel:DWORD dst_unused:UNUSED_PAD src0_sel:DWORD src1_sel:WORD_1
	s_mov_b32 vcc_lo, s2
	v_cndmask_b32_e64 v34, 0, v6, s3
	v_cndmask_b32_sdwa v6, v26, v6, vcc_lo dst_sel:DWORD dst_unused:UNUSED_PAD src0_sel:DWORD src1_sel:WORD_1
	v_cmp_gt_i32_e32 vcc_lo, s19, v35
	v_cmp_gt_i32_e64 s2, s11, v36
	v_or_b32_e32 v36, 6, v27
	v_perm_b32 v5, v5, v37, 0x5040100
	v_perm_b32 v6, v6, v34, 0x5040100
	v_cndmask_b32_e64 v35, 0, v7, s2
	v_cmp_gt_i32_e64 s2, s19, v38
	v_cndmask_b32_sdwa v7, v26, v7, vcc_lo dst_sel:DWORD dst_unused:UNUSED_PAD src0_sel:DWORD src1_sel:WORD_1
	v_cmp_gt_i32_e32 vcc_lo, s11, v36
	v_perm_b32 v7, v7, v35, 0x5040100
	v_cndmask_b32_e32 v36, 0, v8, vcc_lo
	s_mov_b32 vcc_lo, s2
	v_cndmask_b32_sdwa v8, v26, v8, vcc_lo dst_sel:DWORD dst_unused:UNUSED_PAD src0_sel:DWORD src1_sel:WORD_1
	v_perm_b32 v8, v8, v36, 0x5040100
.LBB119_35:                             ;   in Loop: Header=BB119_31 Depth=1
	s_or_b32 exec_lo, exec_lo, s20
	s_waitcnt lgkmcnt(1)
	v_bfe_u32 v34, v13, 16, 1
	v_bfe_u32 v35, v14, 16, 1
	v_or_b32_e32 v36, 0x400000, v13
	v_cmp_u_f32_e32 vcc_lo, v13, v13
	v_or_b32_e32 v37, 0x400000, v14
	v_add3_u32 v34, v34, v13, 0x7fff
	v_bfe_u32 v38, v15, 16, 1
	v_add3_u32 v35, v35, v14, 0x7fff
	v_bfe_u32 v39, v16, 16, 1
	v_cndmask_b32_e32 v13, v34, v36, vcc_lo
	v_cmp_u_f32_e32 vcc_lo, v14, v14
	v_add3_u32 v34, v38, v15, 0x7fff
	s_waitcnt lgkmcnt(0)
	v_bfe_u32 v36, v9, 16, 1
	v_or_b32_e32 v38, 0x400000, v16
	v_cndmask_b32_e32 v14, v35, v37, vcc_lo
	v_or_b32_e32 v35, 0x400000, v15
	v_cmp_u_f32_e32 vcc_lo, v15, v15
	v_add3_u32 v37, v39, v16, 0x7fff
	v_or_b32_e32 v39, 0x400000, v12
	v_cndmask_b32_e32 v15, v34, v35, vcc_lo
	v_cmp_u_f32_e32 vcc_lo, v16, v16
	v_add3_u32 v34, v36, v9, 0x7fff
	v_or_b32_e32 v35, 0x400000, v9
	v_bfe_u32 v16, v10, 16, 1
	v_cndmask_b32_e32 v36, v37, v38, vcc_lo
	v_cmp_u_f32_e32 vcc_lo, v9, v9
	v_bfe_u32 v37, v11, 16, 1
	v_add3_u32 v16, v16, v10, 0x7fff
	v_or_b32_e32 v38, 0x400000, v11
	v_perm_b32 v15, v36, v15, 0x7060302
	v_cndmask_b32_e32 v9, v34, v35, vcc_lo
	v_or_b32_e32 v35, 0x400000, v10
	v_cmp_u_f32_e32 vcc_lo, v10, v10
	v_bfe_u32 v34, v12, 16, 1
	v_add3_u32 v37, v37, v11, 0x7fff
	v_cndmask_b32_e32 v10, v16, v35, vcc_lo
	v_cmp_u_f32_e32 vcc_lo, v11, v11
	v_add3_u32 v34, v34, v12, 0x7fff
	v_perm_b32 v16, v14, v13, 0x7060302
	v_perm_b32 v14, v10, v9, 0x7060302
	v_cndmask_b32_e32 v11, v37, v38, vcc_lo
	v_cmp_u_f32_e32 vcc_lo, v12, v12
	v_cndmask_b32_e32 v12, v34, v39, vcc_lo
	v_perm_b32 v13, v12, v11, 0x7060302
	s_and_saveexec_b32 s3, s0
	s_cbranch_execz .LBB119_30
; %bb.36:                               ;   in Loop: Header=BB119_31 Depth=1
	v_add_co_u32 v9, vcc_lo, v32, v30
	v_add_co_ci_u32_e64 v10, null, 0, v33, vcc_lo
	global_load_dwordx4 v[9:12], v[9:10], off
	s_and_saveexec_b32 s20, s1
	s_cbranch_execz .LBB119_29
; %bb.37:                               ;   in Loop: Header=BB119_31 Depth=1
	v_add_nc_u32_e32 v32, 1, v27
	v_or_b32_e32 v33, 3, v27
	v_cmp_gt_i32_e32 vcc_lo, s11, v27
	v_or_b32_e32 v34, 2, v27
	v_or_b32_e32 v36, 7, v27
	v_cmp_gt_i32_e64 s1, s19, v33
	s_waitcnt vmcnt(0)
	v_cndmask_b32_e32 v35, 0, v9, vcc_lo
	v_cmp_gt_i32_e32 vcc_lo, s19, v32
	v_cmp_gt_i32_e64 s2, s11, v34
	v_or_b32_e32 v33, 5, v27
	v_or_b32_e32 v34, 4, v27
	v_cndmask_b32_sdwa v9, v26, v9, vcc_lo dst_sel:DWORD dst_unused:UNUSED_PAD src0_sel:DWORD src1_sel:WORD_1
	s_mov_b32 vcc_lo, s1
	v_cndmask_b32_e64 v32, 0, v10, s2
	v_cndmask_b32_sdwa v10, v26, v10, vcc_lo dst_sel:DWORD dst_unused:UNUSED_PAD src0_sel:DWORD src1_sel:WORD_1
	v_cmp_gt_i32_e32 vcc_lo, s19, v33
	v_cmp_gt_i32_e64 s1, s11, v34
	v_or_b32_e32 v34, 6, v27
	v_perm_b32 v9, v9, v35, 0x5040100
	v_perm_b32 v10, v10, v32, 0x5040100
	v_cndmask_b32_e64 v33, 0, v11, s1
	v_cmp_gt_i32_e64 s1, s19, v36
	v_cndmask_b32_sdwa v11, v26, v11, vcc_lo dst_sel:DWORD dst_unused:UNUSED_PAD src0_sel:DWORD src1_sel:WORD_1
	v_cmp_gt_i32_e32 vcc_lo, s11, v34
	v_perm_b32 v11, v11, v33, 0x5040100
	v_cndmask_b32_e32 v34, 0, v12, vcc_lo
	s_mov_b32 vcc_lo, s1
	v_cndmask_b32_sdwa v12, v26, v12, vcc_lo dst_sel:DWORD dst_unused:UNUSED_PAD src0_sel:DWORD src1_sel:WORD_1
	v_perm_b32 v12, v12, v34, 0x5040100
	s_branch .LBB119_29
.LBB119_38:
	s_or_b32 exec_lo, exec_lo, s18
.LBB119_39:
	s_or_b32 exec_lo, exec_lo, s4
	s_movk_i32 s0, 0x140
	v_and_b32_e32 v2, 0x3c0, v0
	v_mad_u32_u24 v1, v19, s0, 0xc0
	s_mov_b32 s0, exec_lo
	s_barrier
	buffer_gl0_inv
	v_cmpx_eq_u32_e32 64, v2
	s_cbranch_execz .LBB119_42
; %bb.40:
	v_add_nc_u32_e32 v2, 0xfffffd80, v1
	v_cmp_gt_u32_e32 vcc_lo, 0x50, v25
	v_lshl_add_u32 v3, v20, 2, v2
	ds_write2_b32 v3, v24, v23 offset1:32
	s_and_b32 exec_lo, exec_lo, vcc_lo
; %bb.41:
	v_lshl_add_u32 v2, v25, 2, v2
	ds_write_b32 v2, v22
.LBB119_42:
	s_or_b32 exec_lo, exec_lo, s0
	v_lshl_add_u32 v3, v20, 2, v1
	s_mov_b32 s0, exec_lo
	s_waitcnt lgkmcnt(0)
	s_barrier
	buffer_gl0_inv
	v_cmpx_gt_u32_e32 64, v0
	s_cbranch_execz .LBB119_46
; %bb.43:
	v_lshl_or_b32 v2, v0, 2, 0x80
	s_mov_b32 s1, exec_lo
	v_add_nc_u32_e32 v4, v1, v2
	ds_read_b32 v2, v3
	ds_read_b32 v4, v4
	v_cmpx_gt_u32_e32 0x50, v25
	s_cbranch_execz .LBB119_45
; %bb.44:
	ds_read_b32 v5, v3 offset:256
	s_waitcnt lgkmcnt(0)
	v_add_f32_e32 v22, v22, v5
.LBB119_45:
	s_or_b32 exec_lo, exec_lo, s1
	s_waitcnt lgkmcnt(1)
	v_add_f32_e32 v24, v24, v2
	s_waitcnt lgkmcnt(0)
	v_add_f32_e32 v23, v23, v4
.LBB119_46:
	s_or_b32 exec_lo, exec_lo, s0
	v_and_b32_e32 v2, 0x3e0, v0
	s_mov_b32 s0, exec_lo
	s_barrier
	buffer_gl0_inv
	v_cmpx_eq_u32_e32 32, v2
	s_cbranch_execz .LBB119_49
; %bb.47:
	v_lshl_add_u32 v2, v20, 2, 0xc0
	v_cmp_gt_u32_e32 vcc_lo, 0x50, v25
	ds_write_b32 v2, v24
	ds_write_b32 v21, v23
	s_and_b32 exec_lo, exec_lo, vcc_lo
; %bb.48:
	ds_write_b32 v2, v22 offset:256
.LBB119_49:
	s_or_b32 exec_lo, exec_lo, s0
	v_cmp_gt_u32_e32 vcc_lo, 32, v0
	v_or_b32_e32 v2, 64, v0
	s_waitcnt lgkmcnt(0)
	s_barrier
	buffer_gl0_inv
	s_and_saveexec_b32 s1, vcc_lo
	s_cbranch_execz .LBB119_53
; %bb.50:
	v_lshl_add_u32 v4, v0, 2, v1
	s_mov_b32 s2, exec_lo
	ds_read_b32 v1, v3
	ds_read_b32 v3, v4 offset:128
	v_cmpx_gt_u32_e32 0x50, v2
	s_cbranch_execz .LBB119_52
; %bb.51:
	ds_read_b32 v4, v4 offset:256
	s_waitcnt lgkmcnt(0)
	v_add_f32_e32 v22, v22, v4
.LBB119_52:
	s_or_b32 exec_lo, exec_lo, s2
	s_waitcnt lgkmcnt(1)
	v_add_f32_e32 v24, v24, v1
	s_waitcnt lgkmcnt(0)
	v_add_f32_e32 v23, v23, v3
.LBB119_53:
	s_or_b32 exec_lo, exec_lo, s1
	s_barrier
	buffer_gl0_inv
	s_and_saveexec_b32 s0, vcc_lo
	s_cbranch_execz .LBB119_56
; %bb.54:
	s_mul_i32 s0, s10, s7
	v_bfe_u32 v1, v24, 16, 1
	s_mul_i32 s0, s0, s9
	v_or_b32_e32 v3, 0x400000, v24
	s_mulk_i32 s0, 0x50
	v_bfe_u32 v4, v23, 16, 1
	s_ashr_i32 s1, s0, 31
	v_add3_u32 v1, v1, v24, 0x7fff
	s_lshl_b64 s[0:1], s[0:1], 1
	v_cmp_u_f32_e32 vcc_lo, v24, v24
	s_mul_i32 s2, s7, s6
	s_add_u32 s5, s16, s0
	s_addc_u32 s6, s17, s1
	s_ashr_i32 s3, s2, 31
	v_add3_u32 v4, v4, v23, 0x7fff
	s_lshl_b64 s[0:1], s[2:3], 1
	v_or_b32_e32 v5, 0x400000, v23
	v_cndmask_b32_e32 v1, v1, v3, vcc_lo
	v_cmp_u_f32_e32 vcc_lo, v23, v23
	s_mul_i32 s4, s8, 0x50
	s_add_u32 s2, s5, s0
	s_addc_u32 s3, s6, s1
	s_ashr_i32 s5, s4, 31
	v_lshlrev_b32_e32 v0, 1, v0
	s_lshl_b64 s[0:1], s[4:5], 1
	v_cndmask_b32_e32 v3, v4, v5, vcc_lo
	v_cmp_gt_u32_e32 vcc_lo, 0x50, v2
	s_add_u32 s0, s2, s0
	s_addc_u32 s1, s3, s1
	global_store_short_d16_hi v0, v1, s[0:1]
	global_store_short_d16_hi v0, v3, s[0:1] offset:64
	s_and_b32 exec_lo, exec_lo, vcc_lo
	s_cbranch_execz .LBB119_56
; %bb.55:
	v_bfe_u32 v1, v22, 16, 1
	v_or_b32_e32 v2, 0x400000, v22
	v_cmp_u_f32_e32 vcc_lo, v22, v22
	v_add_co_u32 v0, s0, s0, v0
	v_add3_u32 v3, v1, v22, 0x7fff
	v_add_co_ci_u32_e64 v1, null, s1, 0, s0
	v_cndmask_b32_e32 v2, v3, v2, vcc_lo
	global_store_short_d16_hi v[0:1], v2, off offset:128
.LBB119_56:
	s_endpgm
	.section	.rodata,"a",@progbits
	.p2align	6, 0x0
	.amdhsa_kernel _ZN4vllm25paged_attention_v1_kernelI14__hip_bfloat16S1_Li80ELi8ELi128ELNS_18Fp8KVCacheDataTypeE0ELb0EEEvPT_PKS3_PKT0_S9_ifPKiSB_iPKfiiiSD_SD_iiiii
		.amdhsa_group_segment_fixed_size 192
		.amdhsa_private_segment_fixed_size 0
		.amdhsa_kernarg_size 384
		.amdhsa_user_sgpr_count 6
		.amdhsa_user_sgpr_private_segment_buffer 1
		.amdhsa_user_sgpr_dispatch_ptr 0
		.amdhsa_user_sgpr_queue_ptr 0
		.amdhsa_user_sgpr_kernarg_segment_ptr 1
		.amdhsa_user_sgpr_dispatch_id 0
		.amdhsa_user_sgpr_flat_scratch_init 0
		.amdhsa_user_sgpr_private_segment_size 0
		.amdhsa_wavefront_size32 1
		.amdhsa_uses_dynamic_stack 0
		.amdhsa_system_sgpr_private_segment_wavefront_offset 0
		.amdhsa_system_sgpr_workgroup_id_x 1
		.amdhsa_system_sgpr_workgroup_id_y 1
		.amdhsa_system_sgpr_workgroup_id_z 1
		.amdhsa_system_sgpr_workgroup_info 0
		.amdhsa_system_vgpr_workitem_id 0
		.amdhsa_next_free_vgpr 49
		.amdhsa_next_free_sgpr 27
		.amdhsa_reserve_vcc 1
		.amdhsa_reserve_flat_scratch 0
		.amdhsa_float_round_mode_32 0
		.amdhsa_float_round_mode_16_64 0
		.amdhsa_float_denorm_mode_32 3
		.amdhsa_float_denorm_mode_16_64 3
		.amdhsa_dx10_clamp 1
		.amdhsa_ieee_mode 1
		.amdhsa_fp16_overflow 0
		.amdhsa_workgroup_processor_mode 1
		.amdhsa_memory_ordered 1
		.amdhsa_forward_progress 1
		.amdhsa_shared_vgpr_count 0
		.amdhsa_exception_fp_ieee_invalid_op 0
		.amdhsa_exception_fp_denorm_src 0
		.amdhsa_exception_fp_ieee_div_zero 0
		.amdhsa_exception_fp_ieee_overflow 0
		.amdhsa_exception_fp_ieee_underflow 0
		.amdhsa_exception_fp_ieee_inexact 0
		.amdhsa_exception_int_div_zero 0
	.end_amdhsa_kernel
	.section	.text._ZN4vllm25paged_attention_v1_kernelI14__hip_bfloat16S1_Li80ELi8ELi128ELNS_18Fp8KVCacheDataTypeE0ELb0EEEvPT_PKS3_PKT0_S9_ifPKiSB_iPKfiiiSD_SD_iiiii,"axG",@progbits,_ZN4vllm25paged_attention_v1_kernelI14__hip_bfloat16S1_Li80ELi8ELi128ELNS_18Fp8KVCacheDataTypeE0ELb0EEEvPT_PKS3_PKT0_S9_ifPKiSB_iPKfiiiSD_SD_iiiii,comdat
.Lfunc_end119:
	.size	_ZN4vllm25paged_attention_v1_kernelI14__hip_bfloat16S1_Li80ELi8ELi128ELNS_18Fp8KVCacheDataTypeE0ELb0EEEvPT_PKS3_PKT0_S9_ifPKiSB_iPKfiiiSD_SD_iiiii, .Lfunc_end119-_ZN4vllm25paged_attention_v1_kernelI14__hip_bfloat16S1_Li80ELi8ELi128ELNS_18Fp8KVCacheDataTypeE0ELb0EEEvPT_PKS3_PKT0_S9_ifPKiSB_iPKfiiiSD_SD_iiiii
                                        ; -- End function
	.set _ZN4vllm25paged_attention_v1_kernelI14__hip_bfloat16S1_Li80ELi8ELi128ELNS_18Fp8KVCacheDataTypeE0ELb0EEEvPT_PKS3_PKT0_S9_ifPKiSB_iPKfiiiSD_SD_iiiii.num_vgpr, 49
	.set _ZN4vllm25paged_attention_v1_kernelI14__hip_bfloat16S1_Li80ELi8ELi128ELNS_18Fp8KVCacheDataTypeE0ELb0EEEvPT_PKS3_PKT0_S9_ifPKiSB_iPKfiiiSD_SD_iiiii.num_agpr, 0
	.set _ZN4vllm25paged_attention_v1_kernelI14__hip_bfloat16S1_Li80ELi8ELi128ELNS_18Fp8KVCacheDataTypeE0ELb0EEEvPT_PKS3_PKT0_S9_ifPKiSB_iPKfiiiSD_SD_iiiii.numbered_sgpr, 27
	.set _ZN4vllm25paged_attention_v1_kernelI14__hip_bfloat16S1_Li80ELi8ELi128ELNS_18Fp8KVCacheDataTypeE0ELb0EEEvPT_PKS3_PKT0_S9_ifPKiSB_iPKfiiiSD_SD_iiiii.num_named_barrier, 0
	.set _ZN4vllm25paged_attention_v1_kernelI14__hip_bfloat16S1_Li80ELi8ELi128ELNS_18Fp8KVCacheDataTypeE0ELb0EEEvPT_PKS3_PKT0_S9_ifPKiSB_iPKfiiiSD_SD_iiiii.private_seg_size, 0
	.set _ZN4vllm25paged_attention_v1_kernelI14__hip_bfloat16S1_Li80ELi8ELi128ELNS_18Fp8KVCacheDataTypeE0ELb0EEEvPT_PKS3_PKT0_S9_ifPKiSB_iPKfiiiSD_SD_iiiii.uses_vcc, 1
	.set _ZN4vllm25paged_attention_v1_kernelI14__hip_bfloat16S1_Li80ELi8ELi128ELNS_18Fp8KVCacheDataTypeE0ELb0EEEvPT_PKS3_PKT0_S9_ifPKiSB_iPKfiiiSD_SD_iiiii.uses_flat_scratch, 0
	.set _ZN4vllm25paged_attention_v1_kernelI14__hip_bfloat16S1_Li80ELi8ELi128ELNS_18Fp8KVCacheDataTypeE0ELb0EEEvPT_PKS3_PKT0_S9_ifPKiSB_iPKfiiiSD_SD_iiiii.has_dyn_sized_stack, 0
	.set _ZN4vllm25paged_attention_v1_kernelI14__hip_bfloat16S1_Li80ELi8ELi128ELNS_18Fp8KVCacheDataTypeE0ELb0EEEvPT_PKS3_PKT0_S9_ifPKiSB_iPKfiiiSD_SD_iiiii.has_recursion, 0
	.set _ZN4vllm25paged_attention_v1_kernelI14__hip_bfloat16S1_Li80ELi8ELi128ELNS_18Fp8KVCacheDataTypeE0ELb0EEEvPT_PKS3_PKT0_S9_ifPKiSB_iPKfiiiSD_SD_iiiii.has_indirect_call, 0
	.section	.AMDGPU.csdata,"",@progbits
; Kernel info:
; codeLenInByte = 5860
; TotalNumSgprs: 29
; NumVgprs: 49
; ScratchSize: 0
; MemoryBound: 0
; FloatMode: 240
; IeeeMode: 1
; LDSByteSize: 192 bytes/workgroup (compile time only)
; SGPRBlocks: 0
; VGPRBlocks: 6
; NumSGPRsForWavesPerEU: 29
; NumVGPRsForWavesPerEU: 49
; Occupancy: 16
; WaveLimiterHint : 1
; COMPUTE_PGM_RSRC2:SCRATCH_EN: 0
; COMPUTE_PGM_RSRC2:USER_SGPR: 6
; COMPUTE_PGM_RSRC2:TRAP_HANDLER: 0
; COMPUTE_PGM_RSRC2:TGID_X_EN: 1
; COMPUTE_PGM_RSRC2:TGID_Y_EN: 1
; COMPUTE_PGM_RSRC2:TGID_Z_EN: 1
; COMPUTE_PGM_RSRC2:TIDIG_COMP_CNT: 0
	.section	.text._ZN4vllm25paged_attention_v1_kernelI14__hip_bfloat16S1_Li96ELi8ELi128ELNS_18Fp8KVCacheDataTypeE0ELb0EEEvPT_PKS3_PKT0_S9_ifPKiSB_iPKfiiiSD_SD_iiiii,"axG",@progbits,_ZN4vllm25paged_attention_v1_kernelI14__hip_bfloat16S1_Li96ELi8ELi128ELNS_18Fp8KVCacheDataTypeE0ELb0EEEvPT_PKS3_PKT0_S9_ifPKiSB_iPKfiiiSD_SD_iiiii,comdat
	.protected	_ZN4vllm25paged_attention_v1_kernelI14__hip_bfloat16S1_Li96ELi8ELi128ELNS_18Fp8KVCacheDataTypeE0ELb0EEEvPT_PKS3_PKT0_S9_ifPKiSB_iPKfiiiSD_SD_iiiii ; -- Begin function _ZN4vllm25paged_attention_v1_kernelI14__hip_bfloat16S1_Li96ELi8ELi128ELNS_18Fp8KVCacheDataTypeE0ELb0EEEvPT_PKS3_PKT0_S9_ifPKiSB_iPKfiiiSD_SD_iiiii
	.globl	_ZN4vllm25paged_attention_v1_kernelI14__hip_bfloat16S1_Li96ELi8ELi128ELNS_18Fp8KVCacheDataTypeE0ELb0EEEvPT_PKS3_PKT0_S9_ifPKiSB_iPKfiiiSD_SD_iiiii
	.p2align	8
	.type	_ZN4vllm25paged_attention_v1_kernelI14__hip_bfloat16S1_Li96ELi8ELi128ELNS_18Fp8KVCacheDataTypeE0ELb0EEEvPT_PKS3_PKT0_S9_ifPKiSB_iPKfiiiSD_SD_iiiii,@function
_ZN4vllm25paged_attention_v1_kernelI14__hip_bfloat16S1_Li96ELi8ELi128ELNS_18Fp8KVCacheDataTypeE0ELb0EEEvPT_PKS3_PKT0_S9_ifPKiSB_iPKfiiiSD_SD_iiiii: ; @_ZN4vllm25paged_attention_v1_kernelI14__hip_bfloat16S1_Li96ELi8ELi128ELNS_18Fp8KVCacheDataTypeE0ELb0EEEvPT_PKS3_PKT0_S9_ifPKiSB_iPKfiiiSD_SD_iiiii
; %bb.0:
	s_clause 0x2
	s_load_dword s9, s[4:5], 0x80
	s_load_dwordx2 s[0:1], s[4:5], 0x30
	s_load_dwordx2 s[24:25], s[4:5], 0x20
	s_mov_b32 s10, s7
	s_ashr_i32 s11, s7, 31
	s_lshl_b64 s[2:3], s[10:11], 2
	s_waitcnt lgkmcnt(0)
	s_add_u32 s0, s0, s2
	s_addc_u32 s1, s1, s3
	s_abs_i32 s2, s24
	s_abs_i32 s11, s9
	v_cvt_f32_u32_e32 v1, s2
	s_sub_i32 s7, 0, s2
	v_rcp_iflag_f32_e32 v1, v1
	v_mul_f32_e32 v1, 0x4f7ffffe, v1
	v_cvt_u32_f32_e32 v1, v1
	v_readfirstlane_b32 s3, v1
	s_mul_i32 s7, s7, s3
	s_mul_hi_u32 s7, s3, s7
	s_add_i32 s3, s3, s7
	s_xor_b32 s7, s9, s24
	s_mul_hi_u32 s3, s11, s3
	s_ashr_i32 s7, s7, 31
	s_mul_i32 s12, s3, s2
	s_mov_b32 s24, 0
	s_sub_i32 s11, s11, s12
	s_add_i32 s12, s3, 1
	s_sub_i32 s13, s11, s2
	s_cmp_ge_u32 s11, s2
	s_cselect_b32 s3, s12, s3
	s_cselect_b32 s11, s13, s11
	s_add_i32 s12, s3, 1
	s_cmp_ge_u32 s11, s2
	s_cselect_b32 s2, s12, s3
	s_abs_i32 s17, s6
	s_xor_b32 s2, s2, s7
	s_sub_i32 s18, s2, s7
	s_load_dwordx2 s[2:3], s[4:5], 0x40
	s_abs_i32 s16, s18
	v_cvt_f32_u32_e32 v1, s16
	s_sub_i32 s11, 0, s16
	v_rcp_iflag_f32_e32 v1, v1
	v_mul_f32_e32 v1, 0x4f7ffffe, v1
	v_cvt_u32_f32_e32 v1, v1
	v_readfirstlane_b32 s7, v1
	s_mul_i32 s11, s11, s7
	s_mul_hi_u32 s11, s7, s11
	s_add_i32 s7, s7, s11
	s_waitcnt lgkmcnt(0)
	s_cmp_eq_u64 s[2:3], 0
	s_mul_hi_u32 s20, s17, s7
	s_cbranch_scc1 .LBB120_2
; %bb.1:
	s_ashr_i32 s7, s6, 31
	s_lshl_b64 s[12:13], s[6:7], 2
	s_add_u32 s2, s2, s12
	s_addc_u32 s3, s3, s13
	s_load_dword s24, s[2:3], 0x0
.LBB120_2:
	s_load_dword s11, s[0:1], 0x0
	s_load_dwordx4 s[12:15], s[4:5], 0x48
	v_and_b32_e32 v1, 3, v0
	v_lshlrev_b32_e32 v2, 2, v0
	s_ashr_i32 s0, s6, 31
	s_ashr_i32 s1, s18, 31
	s_mulk_i32 s6, 0x60
	s_mov_b32 s2, exec_lo
	v_cmpx_gt_u32_e32 48, v0
	s_cbranch_execz .LBB120_4
; %bb.3:
	s_load_dwordx2 s[18:19], s[4:5], 0x8
	s_waitcnt lgkmcnt(0)
	s_mul_i32 s22, s12, s10
	v_and_b32_e32 v4, 0x3fc, v0
	s_ashr_i32 s23, s22, 31
	s_lshl_b64 s[22:23], s[22:23], 1
	v_mad_u32_u24 v4, v1, 48, v4
	s_add_u32 s3, s18, s22
	s_addc_u32 s12, s19, s23
	s_ashr_i32 s7, s6, 31
	s_lshl_b64 s[18:19], s[6:7], 1
	s_add_u32 s18, s3, s18
	s_addc_u32 s19, s12, s19
	global_load_dword v3, v2, s[18:19]
	s_waitcnt vmcnt(0)
	ds_write_b32 v4, v3
.LBB120_4:
	s_or_b32 exec_lo, exec_lo, s2
	s_waitcnt lgkmcnt(0)
	s_add_i32 s2, s11, 7
	s_clause 0x1
	s_load_dwordx2 s[18:19], s[4:5], 0x28
	s_load_dword s7, s[4:5], 0x38
	s_ashr_i32 s3, s2, 31
	s_xor_b32 s0, s0, s1
	s_lshr_b32 s3, s3, 29
	s_mul_i32 s1, s20, s16
	s_add_i32 s2, s2, s3
	s_sub_i32 s1, s17, s1
	s_ashr_i32 s12, s2, 3
	s_add_i32 s2, s20, 1
	s_sub_i32 s3, s1, s16
	s_cmp_ge_u32 s1, s16
	v_lshrrev_b32_e32 v23, 5, v0
	s_cselect_b32 s2, s2, s20
	s_cselect_b32 s1, s3, s1
	s_add_i32 s3, s2, 1
	s_cmp_ge_u32 s1, s16
	v_mbcnt_lo_u32_b32 v4, -1, 0
	s_cselect_b32 s1, s3, s2
	s_mov_b32 s2, exec_lo
	s_xor_b32 s1, s1, s0
	s_waitcnt lgkmcnt(0)
	s_mul_i32 s20, s7, s10
	s_sub_i32 s1, s1, s0
	v_cmp_gt_i32_e64 s0, s12, v23
	s_ashr_i32 s21, s20, 31
	s_barrier
	buffer_gl0_inv
                                        ; implicit-def: $vgpr5
                                        ; implicit-def: $vgpr6
	v_cmpx_le_i32_e64 s12, v23
	s_xor_b32 s2, exec_lo, s2
; %bb.5:
	v_mov_b32_e32 v5, 0
	v_mbcnt_lo_u32_b32 v4, -1, 0
	v_mov_b32_e32 v6, 32
                                        ; implicit-def: $vgpr2
                                        ; implicit-def: $vgpr1
; %bb.6:
	s_or_saveexec_b32 s26, s2
	s_clause 0x2
	s_load_dwordx2 s[16:17], s[4:5], 0x0
	s_load_dwordx2 s[22:23], s[4:5], 0x18
	s_load_dword s7, s[4:5], 0x88
	v_mov_b32_e32 v30, 0xff7fffff
	v_lshrrev_b32_e32 v3, 3, v0
	s_mul_i32 s14, s1, s14
	s_xor_b32 exec_lo, exec_lo, s26
	s_cbranch_execz .LBB120_12
; %bb.7:
	s_load_dwordx2 s[2:3], s[4:5], 0x10
	v_bfe_u32 v30, v0, 2, 3
	s_ashr_i32 s15, s14, 31
	v_mul_u32_u24_e32 v6, 48, v1
	s_lshl_b64 s[4:5], s[14:15], 1
	v_and_b32_e32 v2, 12, v2
	v_lshlrev_b32_e32 v7, 4, v30
	v_lshlrev_b32_e32 v37, 2, v30
	ds_read_b128 v[11:14], v6
	ds_read_b128 v[24:27], v6 offset:16
	ds_read_b128 v[31:34], v6 offset:32
	v_mov_b32_e32 v5, 0
	v_mov_b32_e32 v39, v23
	s_mov_b32 s15, s13
	s_waitcnt lgkmcnt(0)
	s_add_u32 s1, s2, s4
	s_addc_u32 s2, s3, s5
	v_add_co_u32 v6, s1, s1, v7
	v_add_co_ci_u32_e64 v16, null, s2, 0, s1
	s_lshl_b64 s[2:3], s[20:21], 2
	v_add_co_u32 v15, vcc_lo, v6, v2
	v_xor_b32_e32 v2, 2, v4
	v_add_co_ci_u32_e64 v16, null, 0, v16, vcc_lo
	v_xor_b32_e32 v6, 1, v4
	s_sub_i32 s4, 1, s11
	v_cmp_gt_i32_e32 vcc_lo, 32, v2
	s_add_u32 s2, s18, s2
	s_addc_u32 s3, s19, s3
	v_lshlrev_b32_e32 v7, 16, v11
	v_and_b32_e32 v8, 0xffff0000, v11
	v_cndmask_b32_e32 v2, v4, v2, vcc_lo
	v_cmp_gt_i32_e32 vcc_lo, 32, v6
	v_lshlrev_b32_e32 v9, 16, v12
	v_and_b32_e32 v10, 0xffff0000, v12
	v_lshlrev_b32_e32 v11, 16, v13
	v_lshlrev_b32_e32 v35, 2, v2
	v_cndmask_b32_e32 v36, v4, v6, vcc_lo
	v_cmp_eq_u32_e32 vcc_lo, 0, v1
	v_lshl_or_b32 v1, v23, 5, v37
	v_and_b32_e32 v2, 0x7c, v3
	v_and_b32_e32 v12, 0xffff0000, v13
	v_lshlrev_b32_e32 v13, 16, v14
	v_and_b32_e32 v14, 0xffff0000, v14
	v_add_nc_u32_e32 v38, 0xe0, v1
	v_add_co_u32 v1, s2, s2, v2
	v_lshlrev_b32_e32 v17, 16, v24
	v_and_b32_e32 v18, 0xffff0000, v24
	v_lshlrev_b32_e32 v19, 16, v25
	v_and_b32_e32 v20, 0xffff0000, v25
	;; [unrolled: 2-line block ×8, first 2 shown]
	v_mov_b32_e32 v6, 32
	v_lshlrev_b32_e32 v36, 2, v36
	v_cmp_neq_f32_e64 s1, s24, 0
	v_lshl_or_b32 v37, v23, 3, v30
	v_add_co_ci_u32_e64 v2, null, s3, 0, s2
	v_mov_b32_e32 v30, 0xff7fffff
	s_mov_b32 s5, 0
	s_branch .LBB120_9
.LBB120_8:                              ;   in Loop: Header=BB120_9 Depth=1
	s_or_b32 exec_lo, exec_lo, s3
	v_add_nc_u32_e32 v39, 4, v39
	v_add_co_u32 v1, s3, v1, 16
	v_add_nc_u32_e32 v37, 32, v37
	v_add_nc_u32_e32 v38, 0x80, v38
	v_cmp_le_i32_e64 s2, s12, v39
	v_add_co_ci_u32_e64 v2, null, 0, v2, s3
	s_or_b32 s5, s2, s5
	s_andn2_b32 exec_lo, exec_lo, s5
	s_cbranch_execz .LBB120_11
.LBB120_9:                              ; =>This Inner Loop Header: Depth=1
	global_load_dword v40, v[1:2], off
	s_waitcnt vmcnt(0) lgkmcnt(0)
	v_mad_i64_i32 v[40:41], null, v40, s15, 0
	v_lshlrev_b64 v[40:41], 1, v[40:41]
	v_add_co_u32 v40, s2, v15, v40
	v_add_co_ci_u32_e64 v41, null, v16, v41, s2
	s_clause 0xb
	global_load_dword v42, v[40:41], off offset:128
	global_load_dword v43, v[40:41], off
	global_load_dword v44, v[40:41], off offset:256
	global_load_dword v45, v[40:41], off offset:384
	global_load_dword v46, v[40:41], off offset:512
	global_load_dword v47, v[40:41], off offset:640
	global_load_dword v48, v[40:41], off offset:768
	global_load_dword v49, v[40:41], off offset:896
	global_load_dword v50, v[40:41], off offset:1024
	global_load_dword v51, v[40:41], off offset:1152
	global_load_dword v52, v[40:41], off offset:1280
	global_load_dword v40, v[40:41], off offset:1408
	s_waitcnt vmcnt(11)
	v_lshlrev_b32_e32 v41, 16, v42
	v_and_b32_e32 v42, 0xffff0000, v42
	s_waitcnt vmcnt(10)
	v_lshlrev_b32_e32 v53, 16, v43
	v_and_b32_e32 v43, 0xffff0000, v43
	s_waitcnt vmcnt(9)
	v_lshlrev_b32_e32 v54, 16, v44
	v_mul_f32_e32 v41, v9, v41
	v_mul_f32_e32 v42, v10, v42
	v_and_b32_e32 v44, 0xffff0000, v44
	v_fmac_f32_e32 v41, v7, v53
	v_fmac_f32_e32 v42, v8, v43
	s_waitcnt vmcnt(8)
	v_lshlrev_b32_e32 v43, 16, v45
	v_and_b32_e32 v45, 0xffff0000, v45
	v_fmac_f32_e32 v41, v11, v54
	v_fmac_f32_e32 v42, v12, v44
	s_waitcnt vmcnt(7)
	v_lshlrev_b32_e32 v44, 16, v46
	;; [unrolled: 5-line block ×9, first 2 shown]
	v_and_b32_e32 v40, 0xffff0000, v40
	v_fmac_f32_e32 v41, v31, v44
	v_fmac_f32_e32 v42, v32, v46
	v_fmac_f32_e32 v41, v33, v43
	v_fmac_f32_e32 v42, v34, v40
	v_add_f32_e32 v40, v41, v42
	ds_bpermute_b32 v41, v35, v40
	s_waitcnt lgkmcnt(0)
	v_add_f32_e32 v40, v40, v41
	ds_bpermute_b32 v41, v36, v40
	s_and_saveexec_b32 s3, vcc_lo
	s_cbranch_execz .LBB120_8
; %bb.10:                               ;   in Loop: Header=BB120_9 Depth=1
	v_add_nc_u32_e32 v42, s4, v37
	s_waitcnt lgkmcnt(0)
	v_add_f32_e32 v40, v40, v41
	v_cmp_gt_i32_e64 s2, s11, v37
	v_cvt_f32_i32_e32 v42, v42
	v_mul_f32_e32 v42, s24, v42
	v_cndmask_b32_e64 v41, 0, v42, s1
	v_max_f32_e32 v42, v30, v30
	v_fmac_f32_e32 v41, s25, v40
	v_max_f32_e32 v40, v42, v41
	v_cndmask_b32_e64 v41, 0, v41, s2
	v_cndmask_b32_e64 v30, v30, v40, s2
	ds_write_b32 v38, v41
	s_branch .LBB120_8
.LBB120_11:
	s_or_b32 exec_lo, exec_lo, s5
.LBB120_12:
	s_or_b32 exec_lo, exec_lo, s26
	v_xor_b32_e32 v1, 16, v4
	v_xor_b32_e32 v7, 8, v4
	v_max_f32_e32 v8, v30, v30
	v_xor_b32_e32 v9, 4, v4
	v_and_b32_e32 v24, 31, v0
	v_cmp_lt_i32_e32 vcc_lo, v1, v6
	v_cndmask_b32_e32 v1, v4, v1, vcc_lo
	v_cmp_lt_i32_e32 vcc_lo, v7, v6
	v_lshlrev_b32_e32 v2, 2, v1
	v_cndmask_b32_e32 v7, v4, v7, vcc_lo
	v_cmp_lt_i32_e32 vcc_lo, v9, v6
	ds_bpermute_b32 v1, v2, v30
	v_lshlrev_b32_e32 v7, 2, v7
	v_cndmask_b32_e32 v9, v4, v9, vcc_lo
	v_cmp_eq_u32_e32 vcc_lo, 0, v24
	v_lshlrev_b32_e32 v10, 2, v9
	s_waitcnt lgkmcnt(0)
	v_max_f32_e32 v1, v1, v1
	v_max_f32_e32 v1, v8, v1
	ds_bpermute_b32 v8, v7, v1
	s_waitcnt lgkmcnt(0)
	v_max_f32_e32 v8, v8, v8
	v_max_f32_e32 v1, v1, v8
	v_lshlrev_b32_e32 v8, 2, v23
	ds_bpermute_b32 v9, v10, v1
	s_and_saveexec_b32 s1, vcc_lo
	s_cbranch_execz .LBB120_14
; %bb.13:
	s_waitcnt lgkmcnt(0)
	v_max_f32_e32 v9, v9, v9
	v_max_f32_e32 v1, v1, v1
	;; [unrolled: 1-line block ×3, first 2 shown]
	ds_write_b32 v8, v1 offset:192
.LBB120_14:
	s_or_b32 exec_lo, exec_lo, s1
	v_cmp_gt_u32_e64 s1, 4, v24
	v_mov_b32_e32 v1, 0xff7fffff
	s_waitcnt lgkmcnt(0)
	v_lshlrev_b32_e32 v9, 2, v24
	s_barrier
	buffer_gl0_inv
	s_and_saveexec_b32 s2, s1
; %bb.15:
	ds_read_b32 v1, v9 offset:192
; %bb.16:
	s_or_b32 exec_lo, exec_lo, s2
	v_xor_b32_e32 v11, 2, v4
	v_xor_b32_e32 v13, 1, v4
	v_lshlrev_b32_e32 v5, 2, v5
	v_cmp_lt_i32_e64 s2, v11, v6
	v_cndmask_b32_e64 v11, v4, v11, s2
	v_cmp_lt_i32_e64 s2, v13, v6
	v_lshlrev_b32_e32 v11, 2, v11
	v_cndmask_b32_e64 v6, v4, v13, s2
	s_lshl_b32 s2, s12, 3
	s_min_i32 s4, s2, s11
	s_waitcnt lgkmcnt(0)
	ds_bpermute_b32 v12, v11, v1
	v_max_f32_e32 v1, v1, v1
	v_lshlrev_b32_e32 v6, 2, v6
	v_cmp_gt_i32_e64 s2, s4, v0
	s_waitcnt lgkmcnt(0)
	v_max_f32_e32 v12, v12, v12
	v_max_f32_e32 v1, v1, v12
	ds_bpermute_b32 v12, v6, v1
	s_waitcnt lgkmcnt(0)
	v_max_f32_e32 v12, v12, v12
	v_max_f32_e32 v1, v1, v12
	ds_bpermute_b32 v12, v5, v1
	v_mov_b32_e32 v5, 0
	v_lshl_add_u32 v1, v0, 2, 0xe0
	s_and_saveexec_b32 s5, s2
	s_cbranch_execz .LBB120_20
; %bb.17:
	v_lshl_add_u32 v13, v0, 2, 0xe0
	v_mov_b32_e32 v5, 0
	v_mov_b32_e32 v14, v0
	s_mov_b32 s15, 0
	.p2align	6
.LBB120_18:                             ; =>This Inner Loop Header: Depth=1
	ds_read_b32 v15, v13
	v_add_nc_u32_e32 v14, 0x80, v14
	v_cmp_le_i32_e64 s3, s4, v14
	s_or_b32 s15, s3, s15
	s_waitcnt lgkmcnt(0)
	v_sub_f32_e32 v15, v15, v12
	v_mul_f32_e32 v15, 0x3fb8aa3b, v15
	v_exp_f32_e32 v15, v15
	ds_write_b32 v13, v15
	v_add_f32_e32 v5, v5, v15
	v_add_nc_u32_e32 v13, 0x200, v13
	s_andn2_b32 exec_lo, exec_lo, s15
	s_cbranch_execnz .LBB120_18
; %bb.19:
	s_or_b32 exec_lo, exec_lo, s15
.LBB120_20:
	s_or_b32 exec_lo, exec_lo, s5
	ds_bpermute_b32 v2, v2, v5
	s_waitcnt lgkmcnt(0)
	v_add_f32_e32 v2, v5, v2
	ds_bpermute_b32 v5, v7, v2
	s_waitcnt lgkmcnt(0)
	v_add_f32_e32 v2, v2, v5
	;; [unrolled: 3-line block ×5, first 2 shown]
	s_and_saveexec_b32 s3, vcc_lo
; %bb.21:
	ds_write_b32 v8, v2 offset:208
; %bb.22:
	s_or_b32 exec_lo, exec_lo, s3
	s_waitcnt lgkmcnt(0)
	s_barrier
	buffer_gl0_inv
	s_and_saveexec_b32 s3, s1
; %bb.23:
	ds_read_b32 v2, v9 offset:208
; %bb.24:
	s_or_b32 exec_lo, exec_lo, s3
	s_waitcnt lgkmcnt(0)
	ds_bpermute_b32 v5, v11, v2
	v_lshlrev_b32_e32 v4, 2, v4
	v_and_b32_e32 v4, 0xffffff80, v4
	s_waitcnt lgkmcnt(0)
	v_add_f32_e32 v2, v2, v5
	ds_bpermute_b32 v5, v6, v2
	s_waitcnt lgkmcnt(0)
	v_add_f32_e32 v2, v2, v5
	ds_bpermute_b32 v2, v4, v2
	s_and_saveexec_b32 s1, s2
	s_cbranch_execz .LBB120_27
; %bb.25:
	s_waitcnt lgkmcnt(0)
	v_add_f32_e32 v2, 0x358637bd, v2
	s_mov_b32 s2, 0
	v_div_scale_f32 v4, null, v2, v2, 1.0
	v_div_scale_f32 v7, vcc_lo, 1.0, v2, 1.0
	v_rcp_f32_e32 v5, v4
	v_fma_f32 v6, -v4, v5, 1.0
	v_fmac_f32_e32 v5, v6, v5
	v_mul_f32_e32 v6, v7, v5
	v_fma_f32 v8, -v4, v6, v7
	v_fmac_f32_e32 v6, v8, v5
	v_fma_f32 v4, -v4, v6, v7
	v_div_fmas_f32 v4, v4, v5, v6
	v_div_fixup_f32 v2, v4, v2, 1.0
	v_mov_b32_e32 v4, v0
.LBB120_26:                             ; =>This Inner Loop Header: Depth=1
	ds_read_b32 v5, v1
	v_add_nc_u32_e32 v4, 0x80, v4
	v_cmp_le_i32_e32 vcc_lo, s4, v4
	s_or_b32 s2, vcc_lo, s2
	s_waitcnt lgkmcnt(0)
	v_mul_f32_e32 v5, v2, v5
	ds_write_b32 v1, v5
	v_add_nc_u32_e32 v1, 0x200, v1
	s_andn2_b32 exec_lo, exec_lo, s2
	s_cbranch_execnz .LBB120_26
.LBB120_27:
	s_or_b32 exec_lo, exec_lo, s1
	v_mov_b32_e32 v27, 0
	v_mov_b32_e32 v26, 0
	;; [unrolled: 1-line block ×3, first 2 shown]
	s_waitcnt lgkmcnt(0)
	s_barrier
	buffer_gl0_inv
	s_and_saveexec_b32 s3, s0
	s_cbranch_execz .LBB120_37
; %bb.28:
	s_ashr_i32 s15, s14, 31
	v_lshlrev_b32_e32 v1, 4, v24
	s_lshl_b64 s[0:1], s[14:15], 1
	v_mov_b32_e32 v28, 0
	s_add_u32 s0, s22, s0
	s_addc_u32 s1, s23, s1
	v_add_co_u32 v29, s0, s0, v1
	v_and_b32_e32 v1, 0x7c, v3
	v_add_co_ci_u32_e64 v30, null, s1, 0, s0
	s_lshl_b64 s[0:1], s[20:21], 2
	s_add_i32 s4, s12, -1
	s_add_u32 s0, s18, s0
	s_addc_u32 s1, s19, s1
	v_add_co_u32 v21, s0, s0, v1
	v_lshlrev_b32_e32 v31, 3, v23
	v_lshl_add_u32 v32, v23, 5, 0xe0
	v_add_co_ci_u32_e64 v22, null, s1, 0, s0
	v_mov_b32_e32 v25, 0
	v_mov_b32_e32 v26, 0
	;; [unrolled: 1-line block ×4, first 2 shown]
	s_mov_b32 s5, s13
	s_mov_b32 s14, s11
	;; [unrolled: 1-line block ×3, first 2 shown]
	s_branch .LBB120_30
.LBB120_29:                             ;   in Loop: Header=BB120_30 Depth=1
	s_or_b32 exec_lo, exec_lo, s2
	s_waitcnt lgkmcnt(1)
	v_bfe_u32 v34, v17, 16, 1
	v_bfe_u32 v35, v18, 16, 1
	v_or_b32_e32 v36, 0x400000, v17
	v_cmp_u_f32_e32 vcc_lo, v17, v17
	v_or_b32_e32 v37, 0x400000, v18
	v_add3_u32 v34, v34, v17, 0x7fff
	v_bfe_u32 v38, v19, 16, 1
	v_add3_u32 v35, v35, v18, 0x7fff
	v_bfe_u32 v39, v20, 16, 1
	v_add_nc_u32_e32 v33, 4, v33
	v_cndmask_b32_e32 v17, v34, v36, vcc_lo
	v_cmp_u_f32_e32 vcc_lo, v18, v18
	v_add3_u32 v34, v38, v19, 0x7fff
	s_waitcnt lgkmcnt(0)
	v_bfe_u32 v36, v9, 16, 1
	v_or_b32_e32 v38, 0x400000, v20
	v_and_b32_e32 v17, 0xffff0000, v17
	v_cndmask_b32_e32 v18, v35, v37, vcc_lo
	v_or_b32_e32 v35, 0x400000, v19
	v_cmp_u_f32_e32 vcc_lo, v19, v19
	v_add3_u32 v37, v39, v20, 0x7fff
	v_add_co_u32 v21, s0, v21, 16
	v_add_nc_u32_e32 v31, 32, v31
	v_cndmask_b32_e32 v19, v34, v35, vcc_lo
	v_cmp_u_f32_e32 vcc_lo, v20, v20
	v_add3_u32 v34, v36, v9, 0x7fff
	v_or_b32_e32 v35, 0x400000, v9
	v_bfe_u32 v36, v10, 16, 1
	v_and_b32_e32 v19, 0xffff0000, v19
	v_cndmask_b32_e32 v20, v37, v38, vcc_lo
	v_cmp_u_f32_e32 vcc_lo, v9, v9
	v_and_b32_e32 v9, 0xffff0000, v18
	s_waitcnt vmcnt(1)
	v_and_b32_e32 v18, 0xffff0000, v13
	v_add3_u32 v36, v36, v10, 0x7fff
	v_or_b32_e32 v37, 0x400000, v10
	v_cndmask_b32_e32 v34, v34, v35, vcc_lo
	v_bfe_u32 v35, v11, 16, 1
	v_mul_f32_e32 v18, v9, v18
	v_cmp_u_f32_e32 vcc_lo, v10, v10
	v_or_b32_e32 v38, 0x400000, v11
	v_lshlrev_b32_e32 v13, 16, v13
	v_add3_u32 v35, v35, v11, 0x7fff
	v_or_b32_e32 v39, 0x400000, v18
	v_cndmask_b32_e32 v10, v36, v37, vcc_lo
	v_bfe_u32 v36, v12, 16, 1
	v_cmp_u_f32_e32 vcc_lo, v11, v11
	v_bfe_u32 v11, v18, 16, 1
	v_or_b32_e32 v37, 0x400000, v12
	v_mul_f32_e32 v13, v17, v13
	v_add3_u32 v36, v36, v12, 0x7fff
	v_cndmask_b32_e32 v35, v35, v38, vcc_lo
	v_add3_u32 v38, v11, v18, 0x7fff
	v_and_b32_e32 v11, 0xffff0000, v20
	v_and_b32_e32 v20, 0xffff0000, v14
	v_cmp_u_f32_e32 vcc_lo, v12, v12
	v_lshlrev_b32_e32 v14, 16, v14
	v_and_b32_e32 v10, 0xffff0000, v10
	v_and_b32_e32 v34, 0xffff0000, v34
	v_mul_f32_e32 v20, v11, v20
	v_cndmask_b32_e32 v12, v36, v37, vcc_lo
	v_cmp_u_f32_e32 vcc_lo, v18, v18
	v_bfe_u32 v36, v13, 16, 1
	v_and_b32_e32 v37, 0xffff0000, v15
	v_mul_f32_e32 v14, v19, v14
	v_lshlrev_b32_e32 v15, 16, v15
	v_cndmask_b32_e32 v18, v38, v39, vcc_lo
	v_add3_u32 v36, v36, v13, 0x7fff
	v_or_b32_e32 v38, 0x400000, v13
	v_bfe_u32 v39, v20, 16, 1
	v_cmp_u_f32_e32 vcc_lo, v13, v13
	v_mul_f32_e32 v37, v10, v37
	v_mul_f32_e32 v15, v34, v15
	v_and_b32_e32 v12, 0xffff0000, v12
	v_and_b32_e32 v35, 0xffff0000, v35
	v_cndmask_b32_e32 v13, v36, v38, vcc_lo
	v_add3_u32 v36, v39, v20, 0x7fff
	v_or_b32_e32 v38, 0x400000, v20
	v_bfe_u32 v39, v14, 16, 1
	v_cmp_u_f32_e32 vcc_lo, v20, v20
	v_bfe_u32 v40, v37, 16, 1
	v_or_b32_e32 v41, 0x400000, v37
	v_bfe_u32 v42, v15, 16, 1
	v_and_b32_e32 v13, 0xffff0000, v13
	v_cndmask_b32_e32 v20, v36, v38, vcc_lo
	v_add3_u32 v36, v39, v14, 0x7fff
	v_or_b32_e32 v38, 0x400000, v14
	v_cmp_u_f32_e32 vcc_lo, v14, v14
	v_add3_u32 v39, v40, v37, 0x7fff
	v_and_b32_e32 v40, 0xffff0000, v16
	v_lshlrev_b32_e32 v16, 16, v16
	v_and_b32_e32 v18, 0xffff0000, v18
	v_cndmask_b32_e32 v14, v36, v38, vcc_lo
	v_cmp_u_f32_e32 vcc_lo, v37, v37
	v_mul_f32_e32 v36, v12, v40
	v_add3_u32 v38, v42, v15, 0x7fff
	v_and_b32_e32 v20, 0xffff0000, v20
	v_and_b32_e32 v14, 0xffff0000, v14
	v_cndmask_b32_e32 v37, v39, v41, vcc_lo
	v_or_b32_e32 v39, 0x400000, v15
	v_cmp_u_f32_e32 vcc_lo, v15, v15
	v_bfe_u32 v40, v36, 16, 1
	v_mul_f32_e32 v16, v35, v16
	v_add_f32_e32 v13, v13, v18
	v_add_f32_e32 v14, v14, v20
	v_cndmask_b32_e32 v15, v38, v39, vcc_lo
	v_add3_u32 v38, v40, v36, 0x7fff
	v_or_b32_e32 v39, 0x400000, v36
	v_cmp_u_f32_e32 vcc_lo, v36, v36
	v_and_b32_e32 v18, 0xffff0000, v1
	v_and_b32_e32 v15, 0xffff0000, v15
	;; [unrolled: 1-line block ×3, first 2 shown]
	v_add_f32_e32 v13, v14, v13
	v_cndmask_b32_e32 v36, v38, v39, vcc_lo
	v_bfe_u32 v38, v16, 16, 1
	v_mul_f32_e32 v14, v9, v18
	v_add_f32_e32 v15, v15, v20
	v_lshlrev_b32_e32 v1, 16, v1
	v_cmp_u_f32_e32 vcc_lo, v16, v16
	v_add3_u32 v37, v38, v16, 0x7fff
	v_or_b32_e32 v38, 0x400000, v16
	v_bfe_u32 v18, v14, 16, 1
	v_add_f32_e32 v13, v15, v13
	v_and_b32_e32 v15, 0xffff0000, v2
	v_mul_f32_e32 v1, v17, v1
	v_cndmask_b32_e32 v16, v37, v38, vcc_lo
	v_add3_u32 v18, v18, v14, 0x7fff
	v_or_b32_e32 v20, 0x400000, v14
	v_mul_f32_e32 v15, v11, v15
	v_bfe_u32 v37, v1, 16, 1
	v_cmp_u_f32_e32 vcc_lo, v14, v14
	v_lshlrev_b32_e32 v2, 16, v2
	v_or_b32_e32 v38, 0x400000, v1
	v_or_b32_e32 v39, 0x400000, v15
	v_and_b32_e32 v16, 0xffff0000, v16
	v_cndmask_b32_e32 v14, v18, v20, vcc_lo
	v_bfe_u32 v18, v15, 16, 1
	v_add3_u32 v20, v37, v1, 0x7fff
	v_and_b32_e32 v37, 0xffff0000, v3
	v_mul_f32_e32 v2, v19, v2
	v_cmp_u_f32_e32 vcc_lo, v1, v1
	v_add3_u32 v18, v18, v15, 0x7fff
	v_lshlrev_b32_e32 v3, 16, v3
	v_mul_f32_e32 v37, v10, v37
	v_and_b32_e32 v14, 0xffff0000, v14
	v_cndmask_b32_e32 v1, v20, v38, vcc_lo
	v_bfe_u32 v20, v2, 16, 1
	v_cmp_u_f32_e32 vcc_lo, v15, v15
	v_and_b32_e32 v38, 0xffff0000, v4
	v_mul_f32_e32 v3, v34, v3
	v_or_b32_e32 v40, 0x400000, v37
	v_add3_u32 v20, v20, v2, 0x7fff
	v_cndmask_b32_e32 v15, v18, v39, vcc_lo
	v_bfe_u32 v18, v37, 16, 1
	v_or_b32_e32 v39, 0x400000, v2
	v_cmp_u_f32_e32 vcc_lo, v2, v2
	v_mul_f32_e32 v38, v12, v38
	v_lshlrev_b32_e32 v4, 16, v4
	v_add3_u32 v18, v18, v37, 0x7fff
	v_and_b32_e32 v1, 0xffff0000, v1
	v_cndmask_b32_e32 v2, v20, v39, vcc_lo
	v_bfe_u32 v20, v3, 16, 1
	v_cmp_u_f32_e32 vcc_lo, v37, v37
	v_bfe_u32 v39, v38, 16, 1
	v_or_b32_e32 v37, 0x400000, v3
	v_mul_f32_e32 v4, v35, v4
	v_add3_u32 v20, v20, v3, 0x7fff
	v_cndmask_b32_e32 v18, v18, v40, vcc_lo
	v_cmp_u_f32_e32 vcc_lo, v3, v3
	v_add3_u32 v39, v39, v38, 0x7fff
	v_or_b32_e32 v40, 0x400000, v38
	v_and_b32_e32 v2, 0xffff0000, v2
	v_and_b32_e32 v15, 0xffff0000, v15
	v_cndmask_b32_e32 v3, v20, v37, vcc_lo
	v_cmp_u_f32_e32 vcc_lo, v38, v38
	v_bfe_u32 v37, v4, 16, 1
	v_add_f32_e32 v1, v1, v14
	v_add_f32_e32 v2, v2, v15
	v_or_b32_e32 v38, 0x400000, v4
	v_cndmask_b32_e32 v20, v39, v40, vcc_lo
	s_waitcnt vmcnt(0)
	v_lshlrev_b32_e32 v39, 16, v5
	v_and_b32_e32 v5, 0xffff0000, v5
	v_add3_u32 v37, v37, v4, 0x7fff
	v_and_b32_e32 v3, 0xffff0000, v3
	v_and_b32_e32 v14, 0xffff0000, v18
	v_mul_f32_e32 v15, v17, v39
	v_cmp_u_f32_e32 vcc_lo, v4, v4
	v_add_f32_e32 v1, v2, v1
	v_mul_f32_e32 v5, v9, v5
	v_lshlrev_b32_e32 v9, 16, v6
	v_bfe_u32 v2, v15, 16, 1
	v_cndmask_b32_e32 v4, v37, v38, vcc_lo
	v_add_f32_e32 v3, v3, v14
	v_or_b32_e32 v14, 0x400000, v15
	v_bfe_u32 v17, v5, 16, 1
	v_add3_u32 v2, v2, v15, 0x7fff
	v_mul_f32_e32 v9, v19, v9
	v_and_b32_e32 v6, 0xffff0000, v6
	v_cmp_u_f32_e32 vcc_lo, v15, v15
	v_or_b32_e32 v15, 0x400000, v5
	v_and_b32_e32 v36, 0xffff0000, v36
	v_and_b32_e32 v4, 0xffff0000, v4
	v_mul_f32_e32 v6, v11, v6
	v_cndmask_b32_e32 v2, v2, v14, vcc_lo
	v_add3_u32 v14, v17, v5, 0x7fff
	v_bfe_u32 v17, v9, 16, 1
	v_lshlrev_b32_e32 v11, 16, v7
	v_cmp_u_f32_e32 vcc_lo, v5, v5
	v_and_b32_e32 v7, 0xffff0000, v7
	v_and_b32_e32 v2, 0xffff0000, v2
	v_add_f32_e32 v1, v3, v1
	v_mul_f32_e32 v11, v34, v11
	v_cndmask_b32_e32 v5, v14, v15, vcc_lo
	v_add3_u32 v14, v17, v9, 0x7fff
	v_or_b32_e32 v15, 0x400000, v9
	v_bfe_u32 v17, v6, 16, 1
	v_cmp_u_f32_e32 vcc_lo, v9, v9
	v_mul_f32_e32 v7, v10, v7
	v_lshlrev_b32_e32 v10, 16, v8
	v_and_b32_e32 v8, 0xffff0000, v8
	v_and_b32_e32 v5, 0xffff0000, v5
	v_cndmask_b32_e32 v9, v14, v15, vcc_lo
	v_add3_u32 v14, v17, v6, 0x7fff
	v_or_b32_e32 v15, 0x400000, v6
	v_bfe_u32 v17, v11, 16, 1
	v_cmp_u_f32_e32 vcc_lo, v6, v6
	v_mul_f32_e32 v8, v12, v8
	v_or_b32_e32 v12, 0x400000, v11
	v_mul_f32_e32 v10, v35, v10
	v_and_b32_e32 v9, 0xffff0000, v9
	v_cndmask_b32_e32 v6, v14, v15, vcc_lo
	v_bfe_u32 v14, v7, 16, 1
	v_add3_u32 v15, v17, v11, 0x7fff
	v_cmp_u_f32_e32 vcc_lo, v11, v11
	v_or_b32_e32 v17, 0x400000, v7
	v_bfe_u32 v19, v8, 16, 1
	v_add3_u32 v14, v14, v7, 0x7fff
	v_bfe_u32 v18, v10, 16, 1
	v_cndmask_b32_e32 v11, v15, v12, vcc_lo
	v_cmp_u_f32_e32 vcc_lo, v7, v7
	v_or_b32_e32 v15, 0x400000, v8
	v_and_b32_e32 v6, 0xffff0000, v6
	v_add3_u32 v12, v18, v10, 0x7fff
	v_add_f32_e32 v2, v2, v5
	v_cndmask_b32_e32 v7, v14, v17, vcc_lo
	v_add3_u32 v14, v19, v8, 0x7fff
	v_cmp_u_f32_e32 vcc_lo, v8, v8
	v_or_b32_e32 v17, 0x400000, v10
	v_add_f32_e32 v5, v9, v6
	v_and_b32_e32 v6, 0xffff0000, v7
	v_and_b32_e32 v7, 0xffff0000, v11
	v_cndmask_b32_e32 v8, v14, v15, vcc_lo
	v_cmp_u_f32_e32 vcc_lo, v10, v10
	v_and_b32_e32 v10, 0xffff0000, v20
	v_add_f32_e32 v2, v5, v2
	v_add_f32_e32 v5, v7, v6
	v_and_b32_e32 v6, 0xffff0000, v8
	v_cndmask_b32_e32 v9, v12, v17, vcc_lo
	v_add_f32_e32 v8, v16, v36
	v_add_f32_e32 v3, v4, v10
	;; [unrolled: 1-line block ×3, first 2 shown]
	v_cmp_le_i32_e32 vcc_lo, s12, v33
	v_and_b32_e32 v7, 0xffff0000, v9
	v_add_f32_e32 v5, v8, v13
	v_add_f32_e32 v1, v3, v1
	v_add_nc_u32_e32 v32, 0x80, v32
	v_add_co_ci_u32_e64 v22, null, 0, v22, s0
	v_add_f32_e32 v4, v7, v6
	v_add_f32_e32 v26, v26, v5
	;; [unrolled: 1-line block ×3, first 2 shown]
	s_or_b32 s13, vcc_lo, s13
	v_add_f32_e32 v2, v4, v2
	v_add_f32_e32 v25, v25, v2
	s_andn2_b32 exec_lo, exec_lo, s13
	s_cbranch_execz .LBB120_36
.LBB120_30:                             ; =>This Inner Loop Header: Depth=1
	global_load_dword v1, v[21:22], off
	v_cmp_eq_u32_e64 s0, s4, v33
	v_add_nc_u32_e32 v40, 1, v31
	v_or_b32_e32 v38, 3, v31
	v_or_b32_e32 v39, 2, v31
	;; [unrolled: 1-line block ×6, first 2 shown]
	s_waitcnt vmcnt(0)
	v_mad_i64_i32 v[1:2], null, v1, s5, 0
	v_lshlrev_b64 v[1:2], 1, v[1:2]
	v_add_co_u32 v5, vcc_lo, v29, v1
	v_add_co_ci_u32_e64 v6, null, v30, v2, vcc_lo
	global_load_dwordx4 v[1:4], v[5:6], off
	ds_read2_b64 v[17:20], v32 offset1:1
	ds_read2_b64 v[9:12], v32 offset0:2 offset1:3
	s_and_saveexec_b32 s15, s0
	s_cbranch_execnz .LBB120_33
; %bb.31:                               ;   in Loop: Header=BB120_30 Depth=1
	s_or_b32 exec_lo, exec_lo, s15
	global_load_dwordx4 v[13:16], v[5:6], off offset:512
	s_and_saveexec_b32 s15, s0
	s_cbranch_execnz .LBB120_34
.LBB120_32:                             ;   in Loop: Header=BB120_30 Depth=1
	s_or_b32 exec_lo, exec_lo, s15
	global_load_dwordx4 v[5:8], v[5:6], off offset:1024
	s_and_saveexec_b32 s2, s0
	s_cbranch_execz .LBB120_29
	s_branch .LBB120_35
.LBB120_33:                             ;   in Loop: Header=BB120_30 Depth=1
	v_cmp_gt_i32_e64 s1, s11, v31
	v_cmp_gt_i32_e32 vcc_lo, s14, v40
	v_cmp_gt_i32_e64 s2, s11, v39
	s_waitcnt vmcnt(0)
	v_cndmask_b32_e64 v7, 0, v1, s1
	v_cmp_gt_i32_e64 s1, s14, v38
	v_cndmask_b32_sdwa v1, v28, v1, vcc_lo dst_sel:DWORD dst_unused:UNUSED_PAD src0_sel:DWORD src1_sel:WORD_1
	v_cndmask_b32_e64 v8, 0, v2, s2
	v_cmp_gt_i32_e64 s2, s14, v37
	s_mov_b32 vcc_lo, s1
	v_cmp_gt_i32_e64 s1, s14, v35
	v_cndmask_b32_sdwa v2, v28, v2, vcc_lo dst_sel:DWORD dst_unused:UNUSED_PAD src0_sel:DWORD src1_sel:WORD_1
	v_cmp_gt_i32_e32 vcc_lo, s11, v36
	v_perm_b32 v1, v1, v7, 0x5040100
	v_perm_b32 v2, v2, v8, 0x5040100
	v_cndmask_b32_e32 v13, 0, v3, vcc_lo
	s_mov_b32 vcc_lo, s2
	v_cndmask_b32_sdwa v3, v28, v3, vcc_lo dst_sel:DWORD dst_unused:UNUSED_PAD src0_sel:DWORD src1_sel:WORD_1
	v_cmp_gt_i32_e32 vcc_lo, s11, v34
	v_perm_b32 v3, v3, v13, 0x5040100
	v_cndmask_b32_e32 v14, 0, v4, vcc_lo
	s_mov_b32 vcc_lo, s1
	v_cndmask_b32_sdwa v4, v28, v4, vcc_lo dst_sel:DWORD dst_unused:UNUSED_PAD src0_sel:DWORD src1_sel:WORD_1
	v_perm_b32 v4, v4, v14, 0x5040100
	s_or_b32 exec_lo, exec_lo, s15
	global_load_dwordx4 v[13:16], v[5:6], off offset:512
	s_and_saveexec_b32 s15, s0
	s_cbranch_execz .LBB120_32
.LBB120_34:                             ;   in Loop: Header=BB120_30 Depth=1
	v_cmp_gt_i32_e64 s1, s11, v31
	v_cmp_gt_i32_e32 vcc_lo, s14, v40
	v_cmp_gt_i32_e64 s2, s11, v39
	s_waitcnt vmcnt(0)
	v_cndmask_b32_e64 v7, 0, v13, s1
	v_cmp_gt_i32_e64 s1, s14, v38
	v_cndmask_b32_sdwa v13, v28, v13, vcc_lo dst_sel:DWORD dst_unused:UNUSED_PAD src0_sel:DWORD src1_sel:WORD_1
	v_cndmask_b32_e64 v8, 0, v14, s2
	v_cmp_gt_i32_e64 s2, s14, v37
	s_mov_b32 vcc_lo, s1
	v_cmp_gt_i32_e64 s1, s14, v35
	v_cndmask_b32_sdwa v14, v28, v14, vcc_lo dst_sel:DWORD dst_unused:UNUSED_PAD src0_sel:DWORD src1_sel:WORD_1
	v_cmp_gt_i32_e32 vcc_lo, s11, v36
	v_perm_b32 v13, v13, v7, 0x5040100
	v_perm_b32 v14, v14, v8, 0x5040100
	v_cndmask_b32_e32 v41, 0, v15, vcc_lo
	s_mov_b32 vcc_lo, s2
	v_cndmask_b32_sdwa v15, v28, v15, vcc_lo dst_sel:DWORD dst_unused:UNUSED_PAD src0_sel:DWORD src1_sel:WORD_1
	v_cmp_gt_i32_e32 vcc_lo, s11, v34
	v_perm_b32 v15, v15, v41, 0x5040100
	v_cndmask_b32_e32 v42, 0, v16, vcc_lo
	s_mov_b32 vcc_lo, s1
	v_cndmask_b32_sdwa v16, v28, v16, vcc_lo dst_sel:DWORD dst_unused:UNUSED_PAD src0_sel:DWORD src1_sel:WORD_1
	v_perm_b32 v16, v16, v42, 0x5040100
	s_or_b32 exec_lo, exec_lo, s15
	global_load_dwordx4 v[5:8], v[5:6], off offset:1024
	s_and_saveexec_b32 s2, s0
	s_cbranch_execz .LBB120_29
.LBB120_35:                             ;   in Loop: Header=BB120_30 Depth=1
	v_cmp_gt_i32_e64 s0, s11, v31
	v_cmp_gt_i32_e32 vcc_lo, s14, v40
	v_cmp_gt_i32_e64 s1, s11, v39
	s_waitcnt vmcnt(0)
	v_cndmask_b32_e64 v40, 0, v5, s0
	v_cmp_gt_i32_e64 s0, s14, v38
	v_cndmask_b32_sdwa v5, v28, v5, vcc_lo dst_sel:DWORD dst_unused:UNUSED_PAD src0_sel:DWORD src1_sel:WORD_1
	v_cndmask_b32_e64 v38, 0, v6, s1
	v_cmp_gt_i32_e64 s1, s14, v37
	s_mov_b32 vcc_lo, s0
	v_cmp_gt_i32_e64 s0, s14, v35
	v_cndmask_b32_sdwa v6, v28, v6, vcc_lo dst_sel:DWORD dst_unused:UNUSED_PAD src0_sel:DWORD src1_sel:WORD_1
	v_cmp_gt_i32_e32 vcc_lo, s11, v36
	v_perm_b32 v5, v5, v40, 0x5040100
	v_perm_b32 v6, v6, v38, 0x5040100
	v_cndmask_b32_e32 v36, 0, v7, vcc_lo
	s_mov_b32 vcc_lo, s1
	v_cndmask_b32_sdwa v7, v28, v7, vcc_lo dst_sel:DWORD dst_unused:UNUSED_PAD src0_sel:DWORD src1_sel:WORD_1
	v_cmp_gt_i32_e32 vcc_lo, s11, v34
	v_perm_b32 v7, v7, v36, 0x5040100
	v_cndmask_b32_e32 v34, 0, v8, vcc_lo
	s_mov_b32 vcc_lo, s0
	v_cndmask_b32_sdwa v8, v28, v8, vcc_lo dst_sel:DWORD dst_unused:UNUSED_PAD src0_sel:DWORD src1_sel:WORD_1
	v_perm_b32 v8, v8, v34, 0x5040100
	s_branch .LBB120_29
.LBB120_36:
	s_or_b32 exec_lo, exec_lo, s13
.LBB120_37:
	s_or_b32 exec_lo, exec_lo, s3
	v_lshl_add_u32 v2, v24, 2, 0xe0
	v_and_b32_e32 v3, 0x3c0, v0
	s_mov_b32 s0, exec_lo
	s_barrier
	v_mad_u32_u24 v1, 0x180, v23, v2
	buffer_gl0_inv
	v_cmpx_eq_u32_e32 64, v3
	s_cbranch_execz .LBB120_39
; %bb.38:
	v_add_nc_u32_e32 v3, 0xfffffd00, v1
	v_add_nc_u32_e32 v4, 0xfffffd80, v1
	;; [unrolled: 1-line block ×3, first 2 shown]
	ds_write_b32 v3, v27
	ds_write_b32 v4, v26
	;; [unrolled: 1-line block ×3, first 2 shown]
.LBB120_39:
	s_or_b32 exec_lo, exec_lo, s0
	s_mov_b32 s0, exec_lo
	s_waitcnt lgkmcnt(0)
	s_barrier
	buffer_gl0_inv
	v_cmpx_gt_u32_e32 64, v0
	s_cbranch_execz .LBB120_41
; %bb.40:
	ds_read2_b32 v[3:4], v1 offset1:32
	ds_read_b32 v5, v1 offset:256
	s_waitcnt lgkmcnt(1)
	v_add_f32_e32 v27, v27, v3
	v_add_f32_e32 v26, v26, v4
	s_waitcnt lgkmcnt(0)
	v_add_f32_e32 v25, v25, v5
.LBB120_41:
	s_or_b32 exec_lo, exec_lo, s0
	v_and_b32_e32 v3, 0x3e0, v0
	s_mov_b32 s0, exec_lo
	s_barrier
	buffer_gl0_inv
	v_cmpx_eq_u32_e32 32, v3
	s_cbranch_execz .LBB120_43
; %bb.42:
	ds_write2_b32 v2, v27, v26 offset1:32
	ds_write_b32 v2, v25 offset:256
.LBB120_43:
	s_or_b32 exec_lo, exec_lo, s0
	v_cmp_gt_u32_e32 vcc_lo, 32, v0
	s_waitcnt lgkmcnt(0)
	s_barrier
	buffer_gl0_inv
	s_and_saveexec_b32 s0, vcc_lo
	s_cbranch_execz .LBB120_45
; %bb.44:
	ds_read2_b32 v[2:3], v1 offset1:32
	ds_read_b32 v1, v1 offset:256
	s_waitcnt lgkmcnt(1)
	v_add_f32_e32 v27, v27, v2
	v_add_f32_e32 v26, v26, v3
	s_waitcnt lgkmcnt(0)
	v_add_f32_e32 v25, v25, v1
.LBB120_45:
	s_or_b32 exec_lo, exec_lo, s0
	s_barrier
	buffer_gl0_inv
	s_and_saveexec_b32 s0, vcc_lo
	s_cbranch_execz .LBB120_47
; %bb.46:
	s_mul_i32 s0, s10, s7
	v_bfe_u32 v1, v27, 16, 1
	s_mul_i32 s0, s0, s9
	v_bfe_u32 v2, v26, 16, 1
	s_mulk_i32 s0, 0x60
	v_or_b32_e32 v4, 0x400000, v27
	v_add3_u32 v1, v1, v27, 0x7fff
	v_cmp_u_f32_e32 vcc_lo, v27, v27
	s_ashr_i32 s1, s0, 31
	s_mul_i32 s2, s7, s6
	s_lshl_b64 s[0:1], s[0:1], 1
	v_bfe_u32 v3, v25, 16, 1
	s_add_u32 s5, s16, s0
	v_add3_u32 v2, v2, v26, 0x7fff
	v_or_b32_e32 v5, 0x400000, v26
	v_cndmask_b32_e32 v1, v1, v4, vcc_lo
	v_cmp_u_f32_e32 vcc_lo, v26, v26
	s_addc_u32 s6, s17, s1
	s_ashr_i32 s3, s2, 31
	s_mul_i32 s4, s8, 0x60
	s_lshl_b64 s[0:1], s[2:3], 1
	v_add3_u32 v3, v3, v25, 0x7fff
	s_add_u32 s2, s5, s0
	v_or_b32_e32 v6, 0x400000, v25
	v_cndmask_b32_e32 v2, v2, v5, vcc_lo
	v_cmp_u_f32_e32 vcc_lo, v25, v25
	s_addc_u32 s3, s6, s1
	s_ashr_i32 s5, s4, 31
	v_lshlrev_b32_e32 v0, 1, v0
	s_lshl_b64 s[0:1], s[4:5], 1
	v_cndmask_b32_e32 v3, v3, v6, vcc_lo
	s_add_u32 s0, s2, s0
	s_addc_u32 s1, s3, s1
	global_store_short_d16_hi v0, v1, s[0:1]
	global_store_short_d16_hi v0, v2, s[0:1] offset:64
	global_store_short_d16_hi v0, v3, s[0:1] offset:128
.LBB120_47:
	s_endpgm
	.section	.rodata,"a",@progbits
	.p2align	6, 0x0
	.amdhsa_kernel _ZN4vllm25paged_attention_v1_kernelI14__hip_bfloat16S1_Li96ELi8ELi128ELNS_18Fp8KVCacheDataTypeE0ELb0EEEvPT_PKS3_PKT0_S9_ifPKiSB_iPKfiiiSD_SD_iiiii
		.amdhsa_group_segment_fixed_size 224
		.amdhsa_private_segment_fixed_size 0
		.amdhsa_kernarg_size 384
		.amdhsa_user_sgpr_count 6
		.amdhsa_user_sgpr_private_segment_buffer 1
		.amdhsa_user_sgpr_dispatch_ptr 0
		.amdhsa_user_sgpr_queue_ptr 0
		.amdhsa_user_sgpr_kernarg_segment_ptr 1
		.amdhsa_user_sgpr_dispatch_id 0
		.amdhsa_user_sgpr_flat_scratch_init 0
		.amdhsa_user_sgpr_private_segment_size 0
		.amdhsa_wavefront_size32 1
		.amdhsa_uses_dynamic_stack 0
		.amdhsa_system_sgpr_private_segment_wavefront_offset 0
		.amdhsa_system_sgpr_workgroup_id_x 1
		.amdhsa_system_sgpr_workgroup_id_y 1
		.amdhsa_system_sgpr_workgroup_id_z 1
		.amdhsa_system_sgpr_workgroup_info 0
		.amdhsa_system_vgpr_workitem_id 0
		.amdhsa_next_free_vgpr 55
		.amdhsa_next_free_sgpr 27
		.amdhsa_reserve_vcc 1
		.amdhsa_reserve_flat_scratch 0
		.amdhsa_float_round_mode_32 0
		.amdhsa_float_round_mode_16_64 0
		.amdhsa_float_denorm_mode_32 3
		.amdhsa_float_denorm_mode_16_64 3
		.amdhsa_dx10_clamp 1
		.amdhsa_ieee_mode 1
		.amdhsa_fp16_overflow 0
		.amdhsa_workgroup_processor_mode 1
		.amdhsa_memory_ordered 1
		.amdhsa_forward_progress 1
		.amdhsa_shared_vgpr_count 0
		.amdhsa_exception_fp_ieee_invalid_op 0
		.amdhsa_exception_fp_denorm_src 0
		.amdhsa_exception_fp_ieee_div_zero 0
		.amdhsa_exception_fp_ieee_overflow 0
		.amdhsa_exception_fp_ieee_underflow 0
		.amdhsa_exception_fp_ieee_inexact 0
		.amdhsa_exception_int_div_zero 0
	.end_amdhsa_kernel
	.section	.text._ZN4vllm25paged_attention_v1_kernelI14__hip_bfloat16S1_Li96ELi8ELi128ELNS_18Fp8KVCacheDataTypeE0ELb0EEEvPT_PKS3_PKT0_S9_ifPKiSB_iPKfiiiSD_SD_iiiii,"axG",@progbits,_ZN4vllm25paged_attention_v1_kernelI14__hip_bfloat16S1_Li96ELi8ELi128ELNS_18Fp8KVCacheDataTypeE0ELb0EEEvPT_PKS3_PKT0_S9_ifPKiSB_iPKfiiiSD_SD_iiiii,comdat
.Lfunc_end120:
	.size	_ZN4vllm25paged_attention_v1_kernelI14__hip_bfloat16S1_Li96ELi8ELi128ELNS_18Fp8KVCacheDataTypeE0ELb0EEEvPT_PKS3_PKT0_S9_ifPKiSB_iPKfiiiSD_SD_iiiii, .Lfunc_end120-_ZN4vllm25paged_attention_v1_kernelI14__hip_bfloat16S1_Li96ELi8ELi128ELNS_18Fp8KVCacheDataTypeE0ELb0EEEvPT_PKS3_PKT0_S9_ifPKiSB_iPKfiiiSD_SD_iiiii
                                        ; -- End function
	.set _ZN4vllm25paged_attention_v1_kernelI14__hip_bfloat16S1_Li96ELi8ELi128ELNS_18Fp8KVCacheDataTypeE0ELb0EEEvPT_PKS3_PKT0_S9_ifPKiSB_iPKfiiiSD_SD_iiiii.num_vgpr, 55
	.set _ZN4vllm25paged_attention_v1_kernelI14__hip_bfloat16S1_Li96ELi8ELi128ELNS_18Fp8KVCacheDataTypeE0ELb0EEEvPT_PKS3_PKT0_S9_ifPKiSB_iPKfiiiSD_SD_iiiii.num_agpr, 0
	.set _ZN4vllm25paged_attention_v1_kernelI14__hip_bfloat16S1_Li96ELi8ELi128ELNS_18Fp8KVCacheDataTypeE0ELb0EEEvPT_PKS3_PKT0_S9_ifPKiSB_iPKfiiiSD_SD_iiiii.numbered_sgpr, 27
	.set _ZN4vllm25paged_attention_v1_kernelI14__hip_bfloat16S1_Li96ELi8ELi128ELNS_18Fp8KVCacheDataTypeE0ELb0EEEvPT_PKS3_PKT0_S9_ifPKiSB_iPKfiiiSD_SD_iiiii.num_named_barrier, 0
	.set _ZN4vllm25paged_attention_v1_kernelI14__hip_bfloat16S1_Li96ELi8ELi128ELNS_18Fp8KVCacheDataTypeE0ELb0EEEvPT_PKS3_PKT0_S9_ifPKiSB_iPKfiiiSD_SD_iiiii.private_seg_size, 0
	.set _ZN4vllm25paged_attention_v1_kernelI14__hip_bfloat16S1_Li96ELi8ELi128ELNS_18Fp8KVCacheDataTypeE0ELb0EEEvPT_PKS3_PKT0_S9_ifPKiSB_iPKfiiiSD_SD_iiiii.uses_vcc, 1
	.set _ZN4vllm25paged_attention_v1_kernelI14__hip_bfloat16S1_Li96ELi8ELi128ELNS_18Fp8KVCacheDataTypeE0ELb0EEEvPT_PKS3_PKT0_S9_ifPKiSB_iPKfiiiSD_SD_iiiii.uses_flat_scratch, 0
	.set _ZN4vllm25paged_attention_v1_kernelI14__hip_bfloat16S1_Li96ELi8ELi128ELNS_18Fp8KVCacheDataTypeE0ELb0EEEvPT_PKS3_PKT0_S9_ifPKiSB_iPKfiiiSD_SD_iiiii.has_dyn_sized_stack, 0
	.set _ZN4vllm25paged_attention_v1_kernelI14__hip_bfloat16S1_Li96ELi8ELi128ELNS_18Fp8KVCacheDataTypeE0ELb0EEEvPT_PKS3_PKT0_S9_ifPKiSB_iPKfiiiSD_SD_iiiii.has_recursion, 0
	.set _ZN4vllm25paged_attention_v1_kernelI14__hip_bfloat16S1_Li96ELi8ELi128ELNS_18Fp8KVCacheDataTypeE0ELb0EEEvPT_PKS3_PKT0_S9_ifPKiSB_iPKfiiiSD_SD_iiiii.has_indirect_call, 0
	.section	.AMDGPU.csdata,"",@progbits
; Kernel info:
; codeLenInByte = 5704
; TotalNumSgprs: 29
; NumVgprs: 55
; ScratchSize: 0
; MemoryBound: 0
; FloatMode: 240
; IeeeMode: 1
; LDSByteSize: 224 bytes/workgroup (compile time only)
; SGPRBlocks: 0
; VGPRBlocks: 6
; NumSGPRsForWavesPerEU: 29
; NumVGPRsForWavesPerEU: 55
; Occupancy: 16
; WaveLimiterHint : 1
; COMPUTE_PGM_RSRC2:SCRATCH_EN: 0
; COMPUTE_PGM_RSRC2:USER_SGPR: 6
; COMPUTE_PGM_RSRC2:TRAP_HANDLER: 0
; COMPUTE_PGM_RSRC2:TGID_X_EN: 1
; COMPUTE_PGM_RSRC2:TGID_Y_EN: 1
; COMPUTE_PGM_RSRC2:TGID_Z_EN: 1
; COMPUTE_PGM_RSRC2:TIDIG_COMP_CNT: 0
	.section	.text._ZN4vllm25paged_attention_v1_kernelI14__hip_bfloat16S1_Li112ELi8ELi128ELNS_18Fp8KVCacheDataTypeE0ELb0EEEvPT_PKS3_PKT0_S9_ifPKiSB_iPKfiiiSD_SD_iiiii,"axG",@progbits,_ZN4vllm25paged_attention_v1_kernelI14__hip_bfloat16S1_Li112ELi8ELi128ELNS_18Fp8KVCacheDataTypeE0ELb0EEEvPT_PKS3_PKT0_S9_ifPKiSB_iPKfiiiSD_SD_iiiii,comdat
	.protected	_ZN4vllm25paged_attention_v1_kernelI14__hip_bfloat16S1_Li112ELi8ELi128ELNS_18Fp8KVCacheDataTypeE0ELb0EEEvPT_PKS3_PKT0_S9_ifPKiSB_iPKfiiiSD_SD_iiiii ; -- Begin function _ZN4vllm25paged_attention_v1_kernelI14__hip_bfloat16S1_Li112ELi8ELi128ELNS_18Fp8KVCacheDataTypeE0ELb0EEEvPT_PKS3_PKT0_S9_ifPKiSB_iPKfiiiSD_SD_iiiii
	.globl	_ZN4vllm25paged_attention_v1_kernelI14__hip_bfloat16S1_Li112ELi8ELi128ELNS_18Fp8KVCacheDataTypeE0ELb0EEEvPT_PKS3_PKT0_S9_ifPKiSB_iPKfiiiSD_SD_iiiii
	.p2align	8
	.type	_ZN4vllm25paged_attention_v1_kernelI14__hip_bfloat16S1_Li112ELi8ELi128ELNS_18Fp8KVCacheDataTypeE0ELb0EEEvPT_PKS3_PKT0_S9_ifPKiSB_iPKfiiiSD_SD_iiiii,@function
_ZN4vllm25paged_attention_v1_kernelI14__hip_bfloat16S1_Li112ELi8ELi128ELNS_18Fp8KVCacheDataTypeE0ELb0EEEvPT_PKS3_PKT0_S9_ifPKiSB_iPKfiiiSD_SD_iiiii: ; @_ZN4vllm25paged_attention_v1_kernelI14__hip_bfloat16S1_Li112ELi8ELi128ELNS_18Fp8KVCacheDataTypeE0ELb0EEEvPT_PKS3_PKT0_S9_ifPKiSB_iPKfiiiSD_SD_iiiii
; %bb.0:
	s_clause 0x2
	s_load_dword s9, s[4:5], 0x80
	s_load_dwordx2 s[0:1], s[4:5], 0x30
	s_load_dwordx2 s[24:25], s[4:5], 0x20
	s_mov_b32 s10, s7
	s_ashr_i32 s11, s7, 31
	s_lshl_b64 s[2:3], s[10:11], 2
	s_waitcnt lgkmcnt(0)
	s_add_u32 s0, s0, s2
	s_addc_u32 s1, s1, s3
	s_abs_i32 s2, s24
	s_abs_i32 s11, s9
	v_cvt_f32_u32_e32 v1, s2
	s_sub_i32 s7, 0, s2
	v_rcp_iflag_f32_e32 v1, v1
	v_mul_f32_e32 v1, 0x4f7ffffe, v1
	v_cvt_u32_f32_e32 v1, v1
	v_readfirstlane_b32 s3, v1
	s_mul_i32 s7, s7, s3
	s_mul_hi_u32 s7, s3, s7
	s_add_i32 s3, s3, s7
	s_xor_b32 s7, s9, s24
	s_mul_hi_u32 s3, s11, s3
	s_ashr_i32 s7, s7, 31
	s_mul_i32 s12, s3, s2
	s_mov_b32 s24, 0
	s_sub_i32 s11, s11, s12
	s_add_i32 s12, s3, 1
	s_sub_i32 s13, s11, s2
	s_cmp_ge_u32 s11, s2
	s_cselect_b32 s3, s12, s3
	s_cselect_b32 s11, s13, s11
	s_add_i32 s12, s3, 1
	s_cmp_ge_u32 s11, s2
	s_cselect_b32 s2, s12, s3
	s_abs_i32 s17, s6
	s_xor_b32 s2, s2, s7
	s_sub_i32 s18, s2, s7
	s_load_dwordx2 s[2:3], s[4:5], 0x40
	s_abs_i32 s16, s18
	v_cvt_f32_u32_e32 v1, s16
	s_sub_i32 s11, 0, s16
	v_rcp_iflag_f32_e32 v1, v1
	v_mul_f32_e32 v1, 0x4f7ffffe, v1
	v_cvt_u32_f32_e32 v1, v1
	v_readfirstlane_b32 s7, v1
	s_mul_i32 s11, s11, s7
	s_mul_hi_u32 s11, s7, s11
	s_add_i32 s7, s7, s11
	s_waitcnt lgkmcnt(0)
	s_cmp_eq_u64 s[2:3], 0
	s_mul_hi_u32 s20, s17, s7
	s_cbranch_scc1 .LBB121_2
; %bb.1:
	s_ashr_i32 s7, s6, 31
	s_lshl_b64 s[12:13], s[6:7], 2
	s_add_u32 s2, s2, s12
	s_addc_u32 s3, s3, s13
	s_load_dword s24, s[2:3], 0x0
.LBB121_2:
	s_load_dword s11, s[0:1], 0x0
	s_load_dwordx4 s[12:15], s[4:5], 0x48
	v_and_b32_e32 v1, 3, v0
	v_lshlrev_b32_e32 v2, 2, v0
	s_ashr_i32 s0, s6, 31
	s_ashr_i32 s1, s18, 31
	s_mulk_i32 s6, 0x70
	s_mov_b32 s2, exec_lo
	v_cmpx_gt_u32_e32 56, v0
	s_cbranch_execz .LBB121_4
; %bb.3:
	s_load_dwordx2 s[18:19], s[4:5], 0x8
	s_waitcnt lgkmcnt(0)
	s_mul_i32 s22, s12, s10
	v_and_b32_e32 v4, 0x3fc, v0
	s_ashr_i32 s23, s22, 31
	s_lshl_b64 s[22:23], s[22:23], 1
	v_mad_u32_u24 v4, v1, 56, v4
	s_add_u32 s3, s18, s22
	s_addc_u32 s12, s19, s23
	s_ashr_i32 s7, s6, 31
	s_lshl_b64 s[18:19], s[6:7], 1
	s_add_u32 s18, s3, s18
	s_addc_u32 s19, s12, s19
	global_load_dword v3, v2, s[18:19]
	s_waitcnt vmcnt(0)
	ds_write_b32 v4, v3
.LBB121_4:
	s_or_b32 exec_lo, exec_lo, s2
	s_waitcnt lgkmcnt(0)
	s_add_i32 s2, s11, 7
	s_clause 0x1
	s_load_dwordx2 s[18:19], s[4:5], 0x28
	s_load_dword s7, s[4:5], 0x38
	s_ashr_i32 s3, s2, 31
	s_xor_b32 s0, s0, s1
	s_lshr_b32 s3, s3, 29
	s_mul_i32 s1, s20, s16
	s_add_i32 s2, s2, s3
	s_sub_i32 s1, s17, s1
	s_ashr_i32 s12, s2, 3
	s_add_i32 s2, s20, 1
	s_sub_i32 s3, s1, s16
	s_cmp_ge_u32 s1, s16
	v_lshrrev_b32_e32 v23, 5, v0
	s_cselect_b32 s2, s2, s20
	s_cselect_b32 s1, s3, s1
	s_add_i32 s3, s2, 1
	s_cmp_ge_u32 s1, s16
	v_mbcnt_lo_u32_b32 v4, -1, 0
	s_cselect_b32 s1, s3, s2
	s_mov_b32 s2, exec_lo
	s_xor_b32 s1, s1, s0
	s_waitcnt lgkmcnt(0)
	s_mul_i32 s20, s7, s10
	s_sub_i32 s1, s1, s0
	v_cmp_gt_i32_e64 s0, s12, v23
	s_ashr_i32 s21, s20, 31
	s_barrier
	buffer_gl0_inv
                                        ; implicit-def: $vgpr5
                                        ; implicit-def: $vgpr6
	v_cmpx_le_i32_e64 s12, v23
	s_xor_b32 s2, exec_lo, s2
; %bb.5:
	v_mov_b32_e32 v5, 0
	v_mbcnt_lo_u32_b32 v4, -1, 0
	v_mov_b32_e32 v6, 32
                                        ; implicit-def: $vgpr2
                                        ; implicit-def: $vgpr1
; %bb.6:
	s_or_saveexec_b32 s26, s2
	s_clause 0x2
	s_load_dwordx2 s[16:17], s[4:5], 0x0
	s_load_dwordx2 s[22:23], s[4:5], 0x18
	s_load_dword s7, s[4:5], 0x88
	v_mov_b32_e32 v34, 0xff7fffff
	v_lshrrev_b32_e32 v3, 3, v0
	s_mul_i32 s14, s1, s14
	s_xor_b32 exec_lo, exec_lo, s26
	s_cbranch_execz .LBB121_12
; %bb.7:
	s_load_dwordx2 s[2:3], s[4:5], 0x10
	v_mul_u32_u24_e32 v6, 56, v1
	v_bfe_u32 v34, v0, 2, 3
	s_ashr_i32 s15, s14, 31
	v_and_b32_e32 v2, 12, v2
	s_lshl_b64 s[4:5], s[14:15], 1
	ds_read2_b64 v[13:16], v6 offset1:1
	v_lshlrev_b32_e32 v7, 4, v34
	ds_read2_b64 v[24:27], v6 offset0:2 offset1:3
	ds_read2_b64 v[30:33], v6 offset0:4 offset1:5
	ds_read_b64 v[37:38], v6 offset:48
	v_lshlrev_b32_e32 v41, 2, v34
	v_mov_b32_e32 v5, 0
	v_mov_b32_e32 v43, v23
	s_mov_b32 s15, s13
	s_waitcnt lgkmcnt(0)
	s_add_u32 s1, s2, s4
	s_addc_u32 s2, s3, s5
	v_add_co_u32 v6, s1, s1, v7
	v_add_co_ci_u32_e64 v17, null, s2, 0, s1
	v_lshlrev_b32_e32 v9, 16, v14
	v_and_b32_e32 v10, 0xffff0000, v14
	v_add_co_u32 v14, vcc_lo, v6, v2
	v_xor_b32_e32 v2, 2, v4
	v_lshlrev_b32_e32 v11, 16, v15
	v_and_b32_e32 v12, 0xffff0000, v15
	v_add_co_ci_u32_e64 v15, null, 0, v17, vcc_lo
	v_xor_b32_e32 v6, 1, v4
	v_cmp_gt_i32_e32 vcc_lo, 32, v2
	s_lshl_b64 s[2:3], s[20:21], 2
	s_sub_i32 s4, 1, s11
	s_add_u32 s2, s18, s2
	s_addc_u32 s3, s19, s3
	v_cndmask_b32_e32 v2, v4, v2, vcc_lo
	v_cmp_gt_i32_e32 vcc_lo, 32, v6
	v_lshlrev_b32_e32 v7, 16, v13
	v_and_b32_e32 v8, 0xffff0000, v13
	v_lshlrev_b32_e32 v13, 16, v16
	v_lshlrev_b32_e32 v39, 2, v2
	v_cndmask_b32_e32 v40, v4, v6, vcc_lo
	v_cmp_eq_u32_e32 vcc_lo, 0, v1
	v_lshl_or_b32 v1, v23, 5, v41
	v_and_b32_e32 v2, 0x7c, v3
	v_and_b32_e32 v16, 0xffff0000, v16
	v_lshlrev_b32_e32 v17, 16, v24
	v_and_b32_e32 v18, 0xffff0000, v24
	v_add_nc_u32_e32 v42, 0x100, v1
	v_add_co_u32 v1, s2, s2, v2
	v_lshlrev_b32_e32 v19, 16, v25
	v_and_b32_e32 v20, 0xffff0000, v25
	v_lshlrev_b32_e32 v21, 16, v26
	v_and_b32_e32 v22, 0xffff0000, v26
	;; [unrolled: 2-line block ×9, first 2 shown]
	v_mov_b32_e32 v6, 32
	v_lshlrev_b32_e32 v40, 2, v40
	v_cmp_neq_f32_e64 s1, s24, 0
	v_lshl_or_b32 v41, v23, 3, v34
	v_add_co_ci_u32_e64 v2, null, s3, 0, s2
	v_mov_b32_e32 v34, 0xff7fffff
	s_mov_b32 s5, 0
	s_branch .LBB121_9
.LBB121_8:                              ;   in Loop: Header=BB121_9 Depth=1
	s_or_b32 exec_lo, exec_lo, s3
	v_add_nc_u32_e32 v43, 4, v43
	v_add_co_u32 v1, s3, v1, 16
	v_add_nc_u32_e32 v41, 32, v41
	v_add_nc_u32_e32 v42, 0x80, v42
	v_cmp_le_i32_e64 s2, s12, v43
	v_add_co_ci_u32_e64 v2, null, 0, v2, s3
	s_or_b32 s5, s2, s5
	s_andn2_b32 exec_lo, exec_lo, s5
	s_cbranch_execz .LBB121_11
.LBB121_9:                              ; =>This Inner Loop Header: Depth=1
	global_load_dword v44, v[1:2], off
	s_waitcnt vmcnt(0) lgkmcnt(0)
	v_mad_i64_i32 v[44:45], null, v44, s15, 0
	v_lshlrev_b64 v[44:45], 1, v[44:45]
	v_add_co_u32 v44, s2, v14, v44
	v_add_co_ci_u32_e64 v45, null, v15, v45, s2
	s_clause 0xd
	global_load_dword v46, v[44:45], off offset:128
	global_load_dword v47, v[44:45], off
	global_load_dword v48, v[44:45], off offset:256
	global_load_dword v49, v[44:45], off offset:384
	global_load_dword v50, v[44:45], off offset:512
	global_load_dword v51, v[44:45], off offset:640
	global_load_dword v52, v[44:45], off offset:768
	global_load_dword v53, v[44:45], off offset:896
	global_load_dword v54, v[44:45], off offset:1024
	global_load_dword v55, v[44:45], off offset:1152
	global_load_dword v56, v[44:45], off offset:1280
	global_load_dword v57, v[44:45], off offset:1408
	global_load_dword v58, v[44:45], off offset:1536
	global_load_dword v44, v[44:45], off offset:1664
	s_waitcnt vmcnt(13)
	v_lshlrev_b32_e32 v45, 16, v46
	v_and_b32_e32 v46, 0xffff0000, v46
	s_waitcnt vmcnt(12)
	v_lshlrev_b32_e32 v59, 16, v47
	v_and_b32_e32 v47, 0xffff0000, v47
	s_waitcnt vmcnt(11)
	v_lshlrev_b32_e32 v60, 16, v48
	v_mul_f32_e32 v45, v9, v45
	v_mul_f32_e32 v46, v10, v46
	v_and_b32_e32 v48, 0xffff0000, v48
	v_fmac_f32_e32 v45, v7, v59
	v_fmac_f32_e32 v46, v8, v47
	s_waitcnt vmcnt(10)
	v_lshlrev_b32_e32 v47, 16, v49
	v_and_b32_e32 v49, 0xffff0000, v49
	v_fmac_f32_e32 v45, v11, v60
	v_fmac_f32_e32 v46, v12, v48
	s_waitcnt vmcnt(9)
	v_lshlrev_b32_e32 v48, 16, v50
	;; [unrolled: 5-line block ×11, first 2 shown]
	v_and_b32_e32 v44, 0xffff0000, v44
	v_fmac_f32_e32 v45, v35, v48
	v_fmac_f32_e32 v46, v36, v50
	;; [unrolled: 1-line block ×4, first 2 shown]
	v_add_f32_e32 v44, v45, v46
	ds_bpermute_b32 v45, v39, v44
	s_waitcnt lgkmcnt(0)
	v_add_f32_e32 v44, v44, v45
	ds_bpermute_b32 v45, v40, v44
	s_and_saveexec_b32 s3, vcc_lo
	s_cbranch_execz .LBB121_8
; %bb.10:                               ;   in Loop: Header=BB121_9 Depth=1
	v_add_nc_u32_e32 v46, s4, v41
	s_waitcnt lgkmcnt(0)
	v_add_f32_e32 v44, v44, v45
	v_cmp_gt_i32_e64 s2, s11, v41
	v_cvt_f32_i32_e32 v46, v46
	v_mul_f32_e32 v46, s24, v46
	v_cndmask_b32_e64 v45, 0, v46, s1
	v_max_f32_e32 v46, v34, v34
	v_fmac_f32_e32 v45, s25, v44
	v_max_f32_e32 v44, v46, v45
	v_cndmask_b32_e64 v45, 0, v45, s2
	v_cndmask_b32_e64 v34, v34, v44, s2
	ds_write_b32 v42, v45
	s_branch .LBB121_8
.LBB121_11:
	s_or_b32 exec_lo, exec_lo, s5
.LBB121_12:
	s_or_b32 exec_lo, exec_lo, s26
	v_xor_b32_e32 v1, 16, v4
	v_xor_b32_e32 v7, 8, v4
	v_max_f32_e32 v8, v34, v34
	v_and_b32_e32 v24, 31, v0
	v_cmp_lt_i32_e32 vcc_lo, v1, v6
	v_cndmask_b32_e32 v1, v4, v1, vcc_lo
	v_cmp_lt_i32_e32 vcc_lo, v7, v6
	v_lshlrev_b32_e32 v1, 2, v1
	v_cndmask_b32_e32 v7, v4, v7, vcc_lo
	ds_bpermute_b32 v2, v1, v34
	s_waitcnt lgkmcnt(0)
	v_max_f32_e32 v9, v2, v2
	v_lshlrev_b32_e32 v2, 2, v7
	v_max_f32_e32 v7, v8, v9
	v_xor_b32_e32 v9, 4, v4
	ds_bpermute_b32 v8, v2, v7
	v_cmp_lt_i32_e32 vcc_lo, v9, v6
	v_cndmask_b32_e32 v9, v4, v9, vcc_lo
	v_cmp_eq_u32_e32 vcc_lo, 0, v24
	v_lshlrev_b32_e32 v9, 2, v9
	s_waitcnt lgkmcnt(0)
	v_max_f32_e32 v8, v8, v8
	v_max_f32_e32 v8, v7, v8
	v_lshlrev_b32_e32 v7, 2, v23
	ds_bpermute_b32 v10, v9, v8
	s_and_saveexec_b32 s1, vcc_lo
	s_cbranch_execz .LBB121_14
; %bb.13:
	s_waitcnt lgkmcnt(0)
	v_max_f32_e32 v10, v10, v10
	v_max_f32_e32 v8, v8, v8
	;; [unrolled: 1-line block ×3, first 2 shown]
	ds_write_b32 v7, v8 offset:224
.LBB121_14:
	s_or_b32 exec_lo, exec_lo, s1
	v_cmp_gt_u32_e64 s1, 4, v24
	v_mov_b32_e32 v11, 0xff7fffff
	v_lshlrev_b32_e32 v8, 2, v24
	s_waitcnt lgkmcnt(0)
	s_barrier
	buffer_gl0_inv
	s_and_saveexec_b32 s2, s1
; %bb.15:
	ds_read_b32 v11, v8 offset:224
; %bb.16:
	s_or_b32 exec_lo, exec_lo, s2
	v_xor_b32_e32 v10, 2, v4
	v_xor_b32_e32 v13, 1, v4
	v_lshlrev_b32_e32 v5, 2, v5
	v_lshl_add_u32 v25, v0, 2, 0x100
	v_cmp_lt_i32_e64 s2, v10, v6
	v_cndmask_b32_e64 v10, v4, v10, s2
	v_cmp_lt_i32_e64 s2, v13, v6
	v_lshlrev_b32_e32 v10, 2, v10
	v_cndmask_b32_e64 v6, v4, v13, s2
	s_lshl_b32 s2, s12, 3
	s_min_i32 s4, s2, s11
	s_waitcnt lgkmcnt(0)
	ds_bpermute_b32 v12, v10, v11
	v_max_f32_e32 v11, v11, v11
	v_lshlrev_b32_e32 v6, 2, v6
	v_cmp_gt_i32_e64 s2, s4, v0
	s_waitcnt lgkmcnt(0)
	v_max_f32_e32 v12, v12, v12
	v_max_f32_e32 v11, v11, v12
	ds_bpermute_b32 v12, v6, v11
	s_waitcnt lgkmcnt(0)
	v_max_f32_e32 v12, v12, v12
	v_max_f32_e32 v11, v11, v12
	ds_bpermute_b32 v11, v5, v11
	v_mov_b32_e32 v5, 0
	s_and_saveexec_b32 s5, s2
	s_cbranch_execz .LBB121_20
; %bb.17:
	v_lshl_add_u32 v12, v0, 2, 0x100
	v_mov_b32_e32 v5, 0
	v_mov_b32_e32 v13, v0
	s_mov_b32 s15, 0
	.p2align	6
.LBB121_18:                             ; =>This Inner Loop Header: Depth=1
	ds_read_b32 v14, v12
	v_add_nc_u32_e32 v13, 0x80, v13
	v_cmp_le_i32_e64 s3, s4, v13
	s_or_b32 s15, s3, s15
	s_waitcnt lgkmcnt(0)
	v_sub_f32_e32 v14, v14, v11
	v_mul_f32_e32 v14, 0x3fb8aa3b, v14
	v_exp_f32_e32 v14, v14
	ds_write_b32 v12, v14
	v_add_f32_e32 v5, v5, v14
	v_add_nc_u32_e32 v12, 0x200, v12
	s_andn2_b32 exec_lo, exec_lo, s15
	s_cbranch_execnz .LBB121_18
; %bb.19:
	s_or_b32 exec_lo, exec_lo, s15
.LBB121_20:
	s_or_b32 exec_lo, exec_lo, s5
	ds_bpermute_b32 v1, v1, v5
	s_waitcnt lgkmcnt(0)
	v_add_f32_e32 v1, v5, v1
	ds_bpermute_b32 v2, v2, v1
	s_waitcnt lgkmcnt(0)
	v_add_f32_e32 v1, v1, v2
	;; [unrolled: 3-line block ×5, first 2 shown]
	s_and_saveexec_b32 s3, vcc_lo
; %bb.21:
	ds_write_b32 v7, v1 offset:240
; %bb.22:
	s_or_b32 exec_lo, exec_lo, s3
	s_waitcnt lgkmcnt(0)
	s_barrier
	buffer_gl0_inv
	s_and_saveexec_b32 s3, s1
; %bb.23:
	ds_read_b32 v1, v8 offset:240
; %bb.24:
	s_or_b32 exec_lo, exec_lo, s3
	s_waitcnt lgkmcnt(0)
	ds_bpermute_b32 v2, v10, v1
	v_lshlrev_b32_e32 v4, 2, v4
	s_waitcnt lgkmcnt(0)
	v_add_f32_e32 v1, v1, v2
	ds_bpermute_b32 v2, v6, v1
	s_waitcnt lgkmcnt(0)
	v_add_f32_e32 v1, v1, v2
	v_and_b32_e32 v2, 0xffffff80, v4
	ds_bpermute_b32 v1, v2, v1
	s_and_saveexec_b32 s1, s2
	s_cbranch_execz .LBB121_27
; %bb.25:
	s_waitcnt lgkmcnt(0)
	v_add_f32_e32 v2, 0x358637bd, v1
	s_mov_b32 s2, 0
	v_div_scale_f32 v1, null, v2, v2, 1.0
	v_div_scale_f32 v6, vcc_lo, 1.0, v2, 1.0
	v_rcp_f32_e32 v4, v1
	v_fma_f32 v5, -v1, v4, 1.0
	v_fmac_f32_e32 v4, v5, v4
	v_mul_f32_e32 v5, v6, v4
	v_fma_f32 v7, -v1, v5, v6
	v_fmac_f32_e32 v5, v7, v4
	v_fma_f32 v1, -v1, v5, v6
	v_div_fmas_f32 v4, v1, v4, v5
	v_mov_b32_e32 v1, v25
	v_div_fixup_f32 v2, v4, v2, 1.0
	v_mov_b32_e32 v4, v0
.LBB121_26:                             ; =>This Inner Loop Header: Depth=1
	ds_read_b32 v5, v1
	v_add_nc_u32_e32 v4, 0x80, v4
	v_cmp_le_i32_e32 vcc_lo, s4, v4
	s_or_b32 s2, vcc_lo, s2
	s_waitcnt lgkmcnt(0)
	v_mul_f32_e32 v5, v2, v5
	ds_write_b32 v1, v5
	v_add_nc_u32_e32 v1, 0x200, v1
	s_andn2_b32 exec_lo, exec_lo, s2
	s_cbranch_execnz .LBB121_26
.LBB121_27:
	s_or_b32 exec_lo, exec_lo, s1
	v_mov_b32_e32 v29, 0
	v_mov_b32_e32 v28, 0
	;; [unrolled: 1-line block ×4, first 2 shown]
	s_waitcnt lgkmcnt(0)
	s_barrier
	buffer_gl0_inv
	s_and_saveexec_b32 s4, s0
	s_cbranch_execz .LBB121_41
; %bb.28:
	s_ashr_i32 s15, s14, 31
	v_or_b32_e32 v1, 0x60, v24
	s_lshl_b64 s[0:1], s[14:15], 1
	v_and_b32_e32 v3, 0x7c, v3
	s_add_u32 s5, s22, s0
	s_addc_u32 s14, s23, s1
	s_lshl_b64 s[2:3], s[20:21], 2
	s_add_i32 s15, s12, -1
	v_lshlrev_b32_e32 v2, 3, v24
	v_cmp_gt_u32_e64 s0, 0x70, v1
	v_lshlrev_b32_e32 v1, 3, v1
	s_add_u32 s1, s18, s2
	s_addc_u32 s2, s19, s3
	v_add_co_u32 v21, s1, s1, v3
	v_mov_b32_e32 v30, 0
	v_lshlrev_b32_e32 v31, 3, v23
	v_lshl_add_u32 v32, v23, 5, 0x100
	v_add_co_ci_u32_e64 v22, null, s2, 0, s1
	v_lshlrev_b32_e32 v33, 1, v2
	v_lshlrev_b32_e32 v34, 1, v1
	v_mov_b32_e32 v26, 0
	v_mov_b32_e32 v27, 0
	;; [unrolled: 1-line block ×5, first 2 shown]
	s_mov_b32 s19, s11
	s_mov_b32 s18, 0
	s_branch .LBB121_31
.LBB121_29:                             ;   in Loop: Header=BB121_31 Depth=1
	s_or_b32 exec_lo, exec_lo, s20
	s_waitcnt vmcnt(0)
	v_and_b32_e32 v36, 0xffff0000, v13
	v_and_b32_e32 v37, 0xffff0000, v20
	v_lshlrev_b32_e32 v13, 16, v13
	v_lshlrev_b32_e32 v38, 16, v20
	v_and_b32_e32 v39, 0xffff0000, v14
	v_lshlrev_b32_e32 v14, 16, v14
	v_mul_f32_e32 v36, v37, v36
	v_and_b32_e32 v37, 0xffff0000, v19
	v_lshlrev_b32_e32 v40, 16, v19
	v_mul_f32_e32 v13, v38, v13
	v_lshlrev_b32_e32 v44, 16, v17
	v_bfe_u32 v38, v36, 16, 1
	v_mul_f32_e32 v37, v37, v39
	v_mul_f32_e32 v14, v40, v14
	v_bfe_u32 v39, v13, 16, 1
	v_or_b32_e32 v40, 0x400000, v36
	v_add3_u32 v38, v38, v36, 0x7fff
	v_cmp_u_f32_e32 vcc_lo, v36, v36
	v_or_b32_e32 v41, 0x400000, v13
	v_bfe_u32 v42, v37, 16, 1
	v_add3_u32 v39, v39, v13, 0x7fff
	v_and_b32_e32 v43, 0xffff0000, v17
	v_cndmask_b32_e32 v36, v38, v40, vcc_lo
	v_and_b32_e32 v38, 0xffff0000, v15
	v_and_b32_e32 v40, 0xffff0000, v18
	v_cmp_u_f32_e32 vcc_lo, v13, v13
	v_lshlrev_b32_e32 v15, 16, v15
	v_and_b32_e32 v36, 0xffff0000, v36
	v_mul_f32_e32 v38, v40, v38
	v_cndmask_b32_e32 v13, v39, v41, vcc_lo
	v_add3_u32 v39, v42, v37, 0x7fff
	v_or_b32_e32 v41, 0x400000, v37
	v_bfe_u32 v42, v14, 16, 1
	v_lshlrev_b32_e32 v40, 16, v18
	v_cmp_u_f32_e32 vcc_lo, v37, v37
	v_and_b32_e32 v13, 0xffff0000, v13
	v_mul_f32_e32 v15, v40, v15
	v_cndmask_b32_e32 v37, v39, v41, vcc_lo
	v_add3_u32 v39, v42, v14, 0x7fff
	v_or_b32_e32 v41, 0x400000, v14
	v_bfe_u32 v42, v38, 16, 1
	v_and_b32_e32 v40, 0xffff0000, v16
	v_lshlrev_b32_e32 v16, 16, v16
	v_cmp_u_f32_e32 vcc_lo, v14, v14
	v_and_b32_e32 v37, 0xffff0000, v37
	v_add_f32_e32 v13, v13, v36
	v_mul_f32_e32 v40, v43, v40
	v_mul_f32_e32 v16, v44, v16
	v_cndmask_b32_e32 v14, v39, v41, vcc_lo
	v_bfe_u32 v39, v15, 16, 1
	v_add3_u32 v41, v42, v38, 0x7fff
	v_or_b32_e32 v42, 0x400000, v38
	v_cmp_u_f32_e32 vcc_lo, v38, v38
	v_or_b32_e32 v43, 0x400000, v15
	v_add3_u32 v39, v39, v15, 0x7fff
	v_bfe_u32 v45, v16, 16, 1
	v_bfe_u32 v44, v40, 16, 1
	v_cndmask_b32_e32 v38, v41, v42, vcc_lo
	v_cmp_u_f32_e32 vcc_lo, v15, v15
	v_or_b32_e32 v42, 0x400000, v16
	v_add3_u32 v41, v45, v16, 0x7fff
	v_and_b32_e32 v14, 0xffff0000, v14
	v_and_b32_e32 v36, 0xffff0000, v38
	v_cndmask_b32_e32 v15, v39, v43, vcc_lo
	v_cmp_u_f32_e32 vcc_lo, v16, v16
	v_add3_u32 v39, v44, v40, 0x7fff
	v_or_b32_e32 v43, 0x400000, v40
	v_add_f32_e32 v14, v14, v37
	v_and_b32_e32 v15, 0xffff0000, v15
	v_cndmask_b32_e32 v16, v41, v42, vcc_lo
	v_cmp_u_f32_e32 vcc_lo, v40, v40
	v_add_f32_e32 v13, v14, v13
	v_add_f32_e32 v14, v15, v36
	v_and_b32_e32 v15, 0xffff0000, v16
	v_cndmask_b32_e32 v37, v39, v43, vcc_lo
	v_add_f32_e32 v13, v14, v13
	v_and_b32_e32 v16, 0xffff0000, v37
	v_add_f32_e32 v14, v15, v16
	v_add_f32_e32 v13, v14, v13
	v_add_f32_e32 v26, v26, v13
.LBB121_30:                             ;   in Loop: Header=BB121_31 Depth=1
	s_or_b32 exec_lo, exec_lo, s3
	s_waitcnt vmcnt(0)
	v_and_b32_e32 v13, 0xffff0000, v9
	v_and_b32_e32 v14, 0xffff0000, v20
	v_lshlrev_b32_e32 v9, 16, v9
	v_lshlrev_b32_e32 v15, 16, v20
	v_and_b32_e32 v16, 0xffff0000, v10
	v_and_b32_e32 v20, 0xffff0000, v19
	v_mul_f32_e32 v13, v14, v13
	v_lshlrev_b32_e32 v10, 16, v10
	v_mul_f32_e32 v9, v15, v9
	v_lshlrev_b32_e32 v19, 16, v19
	v_mul_f32_e32 v16, v20, v16
	v_bfe_u32 v36, v13, 16, 1
	v_or_b32_e32 v40, 0x400000, v13
	v_bfe_u32 v39, v9, 16, 1
	v_cmp_u_f32_e32 vcc_lo, v13, v13
	v_and_b32_e32 v37, 0xffff0000, v11
	v_add3_u32 v36, v36, v13, 0x7fff
	v_and_b32_e32 v38, 0xffff0000, v18
	v_or_b32_e32 v41, 0x400000, v9
	v_add3_u32 v39, v39, v9, 0x7fff
	v_mul_f32_e32 v10, v19, v10
	v_cndmask_b32_e32 v13, v36, v40, vcc_lo
	v_bfe_u32 v36, v16, 16, 1
	v_cmp_u_f32_e32 vcc_lo, v9, v9
	v_mul_f32_e32 v37, v38, v37
	v_bfe_u32 v40, v10, 16, 1
	v_lshlrev_b32_e32 v11, 16, v11
	v_add3_u32 v36, v36, v16, 0x7fff
	v_cndmask_b32_e32 v9, v39, v41, vcc_lo
	v_or_b32_e32 v39, 0x400000, v16
	v_lshlrev_b32_e32 v18, 16, v18
	v_cmp_u_f32_e32 vcc_lo, v16, v16
	v_bfe_u32 v41, v37, 16, 1
	v_and_b32_e32 v42, 0xffff0000, v17
	v_or_b32_e32 v43, 0x400000, v37
	v_mul_f32_e32 v11, v18, v11
	v_cndmask_b32_e32 v16, v36, v39, vcc_lo
	v_add3_u32 v36, v40, v10, 0x7fff
	v_or_b32_e32 v39, 0x400000, v10
	v_cmp_u_f32_e32 vcc_lo, v10, v10
	v_add3_u32 v40, v41, v37, 0x7fff
	v_and_b32_e32 v41, 0xffff0000, v12
	v_bfe_u32 v44, v11, 16, 1
	v_lshlrev_b32_e32 v12, 16, v12
	v_cndmask_b32_e32 v10, v36, v39, vcc_lo
	v_cmp_u_f32_e32 vcc_lo, v37, v37
	v_mul_f32_e32 v36, v42, v41
	v_add3_u32 v39, v44, v11, 0x7fff
	v_lshlrev_b32_e32 v17, 16, v17
	v_and_b32_e32 v9, 0xffff0000, v9
	v_cndmask_b32_e32 v37, v40, v43, vcc_lo
	v_or_b32_e32 v40, 0x400000, v11
	v_cmp_u_f32_e32 vcc_lo, v11, v11
	v_bfe_u32 v41, v36, 16, 1
	v_and_b32_e32 v13, 0xffff0000, v13
	v_and_b32_e32 v10, 0xffff0000, v10
	;; [unrolled: 1-line block ×3, first 2 shown]
	v_cndmask_b32_e32 v11, v39, v40, vcc_lo
	v_add3_u32 v39, v41, v36, 0x7fff
	v_or_b32_e32 v40, 0x400000, v36
	v_mul_f32_e32 v12, v17, v12
	v_cmp_u_f32_e32 vcc_lo, v36, v36
	v_add_f32_e32 v9, v9, v13
	v_add_f32_e32 v10, v10, v16
	v_and_b32_e32 v11, 0xffff0000, v11
	v_and_b32_e32 v13, 0xffff0000, v5
	;; [unrolled: 1-line block ×3, first 2 shown]
	v_cndmask_b32_e32 v36, v39, v40, vcc_lo
	v_bfe_u32 v39, v12, 16, 1
	v_add_f32_e32 v9, v10, v9
	v_mul_f32_e32 v10, v14, v13
	v_add_f32_e32 v11, v11, v16
	v_lshlrev_b32_e32 v5, 16, v5
	v_add3_u32 v37, v39, v12, 0x7fff
	v_or_b32_e32 v39, 0x400000, v12
	v_cmp_u_f32_e32 vcc_lo, v12, v12
	v_bfe_u32 v13, v10, 16, 1
	v_add_f32_e32 v9, v11, v9
	v_and_b32_e32 v11, 0xffff0000, v6
	v_mul_f32_e32 v5, v15, v5
	v_cndmask_b32_e32 v12, v37, v39, vcc_lo
	v_add3_u32 v13, v13, v10, 0x7fff
	v_or_b32_e32 v16, 0x400000, v10
	v_mul_f32_e32 v11, v20, v11
	v_bfe_u32 v37, v5, 16, 1
	v_cmp_u_f32_e32 vcc_lo, v10, v10
	v_lshlrev_b32_e32 v6, 16, v6
	v_or_b32_e32 v39, 0x400000, v5
	v_or_b32_e32 v40, 0x400000, v11
	v_and_b32_e32 v12, 0xffff0000, v12
	v_cndmask_b32_e32 v10, v13, v16, vcc_lo
	v_bfe_u32 v13, v11, 16, 1
	v_add3_u32 v16, v37, v5, 0x7fff
	v_and_b32_e32 v37, 0xffff0000, v7
	v_mul_f32_e32 v6, v19, v6
	v_cmp_u_f32_e32 vcc_lo, v5, v5
	v_add3_u32 v13, v13, v11, 0x7fff
	v_lshlrev_b32_e32 v7, 16, v7
	v_mul_f32_e32 v37, v38, v37
	v_and_b32_e32 v10, 0xffff0000, v10
	v_cndmask_b32_e32 v5, v16, v39, vcc_lo
	v_bfe_u32 v16, v6, 16, 1
	v_cmp_u_f32_e32 vcc_lo, v11, v11
	v_and_b32_e32 v39, 0xffff0000, v8
	v_mul_f32_e32 v7, v18, v7
	v_or_b32_e32 v41, 0x400000, v37
	v_add3_u32 v16, v16, v6, 0x7fff
	v_cndmask_b32_e32 v11, v13, v40, vcc_lo
	v_bfe_u32 v13, v37, 16, 1
	v_or_b32_e32 v40, 0x400000, v6
	v_cmp_u_f32_e32 vcc_lo, v6, v6
	v_mul_f32_e32 v39, v42, v39
	v_lshlrev_b32_e32 v8, 16, v8
	v_add3_u32 v13, v13, v37, 0x7fff
	v_and_b32_e32 v5, 0xffff0000, v5
	v_cndmask_b32_e32 v6, v16, v40, vcc_lo
	v_bfe_u32 v16, v7, 16, 1
	v_cmp_u_f32_e32 vcc_lo, v37, v37
	v_bfe_u32 v40, v39, 16, 1
	v_or_b32_e32 v37, 0x400000, v7
	v_mul_f32_e32 v8, v17, v8
	v_add3_u32 v16, v16, v7, 0x7fff
	v_cndmask_b32_e32 v13, v13, v41, vcc_lo
	v_cmp_u_f32_e32 vcc_lo, v7, v7
	v_add3_u32 v40, v40, v39, 0x7fff
	v_or_b32_e32 v41, 0x400000, v39
	v_and_b32_e32 v6, 0xffff0000, v6
	v_and_b32_e32 v11, 0xffff0000, v11
	v_cndmask_b32_e32 v7, v16, v37, vcc_lo
	v_cmp_u_f32_e32 vcc_lo, v39, v39
	v_bfe_u32 v37, v8, 16, 1
	v_add_f32_e32 v5, v5, v10
	v_add_f32_e32 v6, v6, v11
	v_and_b32_e32 v7, 0xffff0000, v7
	v_cndmask_b32_e32 v16, v40, v41, vcc_lo
	v_and_b32_e32 v40, 0xffff0000, v1
	v_and_b32_e32 v10, 0xffff0000, v13
	v_lshlrev_b32_e32 v1, 16, v1
	v_add3_u32 v37, v37, v8, 0x7fff
	v_or_b32_e32 v39, 0x400000, v8
	v_mul_f32_e32 v11, v14, v40
	v_cmp_u_f32_e32 vcc_lo, v8, v8
	v_add_f32_e32 v5, v6, v5
	v_add_f32_e32 v7, v7, v10
	v_mul_f32_e32 v1, v15, v1
	v_bfe_u32 v6, v11, 16, 1
	v_and_b32_e32 v10, 0xffff0000, v2
	v_cndmask_b32_e32 v8, v37, v39, vcc_lo
	v_or_b32_e32 v13, 0x400000, v11
	v_bfe_u32 v14, v1, 16, 1
	v_add3_u32 v6, v6, v11, 0x7fff
	v_mul_f32_e32 v10, v20, v10
	v_lshlrev_b32_e32 v2, 16, v2
	v_cmp_u_f32_e32 vcc_lo, v11, v11
	v_add3_u32 v11, v14, v1, 0x7fff
	v_and_b32_e32 v15, 0xffff0000, v3
	v_bfe_u32 v14, v10, 16, 1
	v_mul_f32_e32 v2, v19, v2
	v_cndmask_b32_e32 v6, v6, v13, vcc_lo
	v_or_b32_e32 v13, 0x400000, v1
	v_cmp_u_f32_e32 vcc_lo, v1, v1
	v_mul_f32_e32 v15, v38, v15
	v_lshlrev_b32_e32 v3, 16, v3
	v_and_b32_e32 v6, 0xffff0000, v6
	v_and_b32_e32 v36, 0xffff0000, v36
	v_cndmask_b32_e32 v1, v11, v13, vcc_lo
	v_add3_u32 v11, v14, v10, 0x7fff
	v_or_b32_e32 v13, 0x400000, v10
	v_bfe_u32 v14, v2, 16, 1
	v_cmp_u_f32_e32 vcc_lo, v10, v10
	v_mul_f32_e32 v3, v18, v3
	v_and_b32_e32 v18, 0xffff0000, v4
	v_lshlrev_b32_e32 v4, 16, v4
	v_and_b32_e32 v1, 0xffff0000, v1
	v_cndmask_b32_e32 v10, v11, v13, vcc_lo
	v_add3_u32 v11, v14, v2, 0x7fff
	v_or_b32_e32 v13, 0x400000, v2
	v_bfe_u32 v14, v15, 16, 1
	v_cmp_u_f32_e32 vcc_lo, v2, v2
	v_mul_f32_e32 v4, v17, v4
	v_or_b32_e32 v17, 0x400000, v15
	v_and_b32_e32 v10, 0xffff0000, v10
	v_add_f32_e32 v1, v1, v6
	v_cndmask_b32_e32 v2, v11, v13, vcc_lo
	v_bfe_u32 v11, v3, 16, 1
	v_add3_u32 v13, v14, v15, 0x7fff
	v_cmp_u_f32_e32 vcc_lo, v15, v15
	v_mul_f32_e32 v14, v42, v18
	v_or_b32_e32 v18, 0x400000, v3
	v_add3_u32 v11, v11, v3, 0x7fff
	v_bfe_u32 v20, v4, 16, 1
	v_cndmask_b32_e32 v13, v13, v17, vcc_lo
	v_cmp_u_f32_e32 vcc_lo, v3, v3
	v_bfe_u32 v19, v14, 16, 1
	v_or_b32_e32 v17, 0x400000, v4
	v_add3_u32 v15, v20, v4, 0x7fff
	v_and_b32_e32 v2, 0xffff0000, v2
	v_cndmask_b32_e32 v3, v11, v18, vcc_lo
	v_cmp_u_f32_e32 vcc_lo, v4, v4
	v_add3_u32 v11, v19, v14, 0x7fff
	v_or_b32_e32 v18, 0x400000, v14
	v_add_f32_e32 v2, v2, v10
	v_and_b32_e32 v3, 0xffff0000, v3
	v_cndmask_b32_e32 v4, v15, v17, vcc_lo
	v_cmp_u_f32_e32 vcc_lo, v14, v14
	v_and_b32_e32 v6, 0xffff0000, v13
	v_and_b32_e32 v8, 0xffff0000, v8
	v_add_f32_e32 v1, v2, v1
	v_add_f32_e32 v5, v7, v5
	v_cndmask_b32_e32 v10, v11, v18, vcc_lo
	v_and_b32_e32 v11, 0xffff0000, v16
	v_add_f32_e32 v2, v3, v6
	v_and_b32_e32 v3, 0xffff0000, v4
	v_add_f32_e32 v6, v12, v36
	;; [unrolled: 2-line block ×3, first 2 shown]
	v_add_f32_e32 v1, v2, v1
	v_add_nc_u32_e32 v35, 4, v35
	v_add_co_u32 v21, s1, v21, 16
	v_add_f32_e32 v2, v3, v4
	v_add_f32_e32 v3, v6, v9
	;; [unrolled: 1-line block ×3, first 2 shown]
	v_cmp_le_i32_e32 vcc_lo, s12, v35
	v_add_nc_u32_e32 v31, 32, v31
	v_add_f32_e32 v1, v2, v1
	v_add_f32_e32 v27, v27, v3
	;; [unrolled: 1-line block ×3, first 2 shown]
	v_add_nc_u32_e32 v32, 0x80, v32
	v_add_co_ci_u32_e64 v22, null, 0, v22, s1
	v_add_f32_e32 v29, v29, v1
	s_or_b32 s18, vcc_lo, s18
	s_andn2_b32 exec_lo, exec_lo, s18
	s_cbranch_execz .LBB121_40
.LBB121_31:                             ; =>This Inner Loop Header: Depth=1
	global_load_dword v1, v[21:22], off
	v_cmp_eq_u32_e64 s1, s15, v35
	s_waitcnt vmcnt(0)
	v_mad_i64_i32 v[1:2], null, v1, s13, 0
	v_lshlrev_b64 v[1:2], 1, v[1:2]
	v_add_co_u32 v36, vcc_lo, s5, v1
	v_add_co_ci_u32_e64 v37, null, s14, v2, vcc_lo
	v_add_co_u32 v9, vcc_lo, v36, v33
	v_add_co_ci_u32_e64 v10, null, 0, v37, vcc_lo
	global_load_dwordx4 v[1:4], v[9:10], off
	ds_read2_b64 v[17:20], v32 offset1:1
	ds_read2_b64 v[13:16], v32 offset0:2 offset1:3
	s_and_saveexec_b32 s20, s1
	s_cbranch_execnz .LBB121_38
; %bb.32:                               ;   in Loop: Header=BB121_31 Depth=1
	s_or_b32 exec_lo, exec_lo, s20
	global_load_dwordx4 v[5:8], v[9:10], off offset:512
	s_and_saveexec_b32 s20, s1
	s_cbranch_execnz .LBB121_39
.LBB121_33:                             ;   in Loop: Header=BB121_31 Depth=1
	s_or_b32 exec_lo, exec_lo, s20
	global_load_dwordx4 v[9:12], v[9:10], off offset:1024
	s_and_saveexec_b32 s20, s1
	s_cbranch_execz .LBB121_35
.LBB121_34:                             ;   in Loop: Header=BB121_31 Depth=1
	v_add_nc_u32_e32 v38, 1, v31
	v_or_b32_e32 v39, 3, v31
	v_cmp_gt_i32_e32 vcc_lo, s11, v31
	v_or_b32_e32 v40, 2, v31
	v_or_b32_e32 v42, 7, v31
	v_cmp_gt_i32_e64 s2, s19, v39
	s_waitcnt vmcnt(0)
	v_cndmask_b32_e32 v41, 0, v9, vcc_lo
	v_cmp_gt_i32_e32 vcc_lo, s19, v38
	v_cmp_gt_i32_e64 s3, s11, v40
	v_or_b32_e32 v39, 5, v31
	v_or_b32_e32 v40, 4, v31
	v_cndmask_b32_sdwa v9, v30, v9, vcc_lo dst_sel:DWORD dst_unused:UNUSED_PAD src0_sel:DWORD src1_sel:WORD_1
	s_mov_b32 vcc_lo, s2
	v_cndmask_b32_e64 v38, 0, v10, s3
	v_cndmask_b32_sdwa v10, v30, v10, vcc_lo dst_sel:DWORD dst_unused:UNUSED_PAD src0_sel:DWORD src1_sel:WORD_1
	v_cmp_gt_i32_e32 vcc_lo, s19, v39
	v_cmp_gt_i32_e64 s2, s11, v40
	v_or_b32_e32 v40, 6, v31
	v_perm_b32 v9, v9, v41, 0x5040100
	v_perm_b32 v10, v10, v38, 0x5040100
	v_cndmask_b32_e64 v39, 0, v11, s2
	v_cmp_gt_i32_e64 s2, s19, v42
	v_cndmask_b32_sdwa v11, v30, v11, vcc_lo dst_sel:DWORD dst_unused:UNUSED_PAD src0_sel:DWORD src1_sel:WORD_1
	v_cmp_gt_i32_e32 vcc_lo, s11, v40
	v_perm_b32 v11, v11, v39, 0x5040100
	v_cndmask_b32_e32 v40, 0, v12, vcc_lo
	s_mov_b32 vcc_lo, s2
	v_cndmask_b32_sdwa v12, v30, v12, vcc_lo dst_sel:DWORD dst_unused:UNUSED_PAD src0_sel:DWORD src1_sel:WORD_1
	v_perm_b32 v12, v12, v40, 0x5040100
.LBB121_35:                             ;   in Loop: Header=BB121_31 Depth=1
	s_or_b32 exec_lo, exec_lo, s20
	s_waitcnt lgkmcnt(1)
	v_bfe_u32 v38, v17, 16, 1
	v_bfe_u32 v39, v18, 16, 1
	v_or_b32_e32 v40, 0x400000, v17
	v_cmp_u_f32_e32 vcc_lo, v17, v17
	v_or_b32_e32 v41, 0x400000, v18
	v_add3_u32 v38, v38, v17, 0x7fff
	v_bfe_u32 v42, v19, 16, 1
	v_add3_u32 v39, v39, v18, 0x7fff
	v_bfe_u32 v43, v20, 16, 1
	v_cndmask_b32_e32 v17, v38, v40, vcc_lo
	v_cmp_u_f32_e32 vcc_lo, v18, v18
	v_add3_u32 v38, v42, v19, 0x7fff
	s_waitcnt lgkmcnt(0)
	v_bfe_u32 v40, v13, 16, 1
	v_or_b32_e32 v42, 0x400000, v20
	v_cndmask_b32_e32 v18, v39, v41, vcc_lo
	v_or_b32_e32 v39, 0x400000, v19
	v_cmp_u_f32_e32 vcc_lo, v19, v19
	v_add3_u32 v41, v43, v20, 0x7fff
	v_or_b32_e32 v43, 0x400000, v16
	v_cndmask_b32_e32 v19, v38, v39, vcc_lo
	v_cmp_u_f32_e32 vcc_lo, v20, v20
	v_add3_u32 v38, v40, v13, 0x7fff
	v_or_b32_e32 v39, 0x400000, v13
	v_bfe_u32 v20, v14, 16, 1
	v_cndmask_b32_e32 v40, v41, v42, vcc_lo
	v_cmp_u_f32_e32 vcc_lo, v13, v13
	v_bfe_u32 v41, v15, 16, 1
	v_add3_u32 v20, v20, v14, 0x7fff
	v_or_b32_e32 v42, 0x400000, v15
	v_perm_b32 v19, v40, v19, 0x7060302
	v_cndmask_b32_e32 v13, v38, v39, vcc_lo
	v_or_b32_e32 v39, 0x400000, v14
	v_cmp_u_f32_e32 vcc_lo, v14, v14
	v_bfe_u32 v38, v16, 16, 1
	v_add3_u32 v41, v41, v15, 0x7fff
	v_cndmask_b32_e32 v14, v20, v39, vcc_lo
	v_cmp_u_f32_e32 vcc_lo, v15, v15
	v_add3_u32 v38, v38, v16, 0x7fff
	v_perm_b32 v20, v18, v17, 0x7060302
	v_perm_b32 v18, v14, v13, 0x7060302
	v_cndmask_b32_e32 v15, v41, v42, vcc_lo
	v_cmp_u_f32_e32 vcc_lo, v16, v16
	v_cndmask_b32_e32 v16, v38, v43, vcc_lo
	v_perm_b32 v17, v16, v15, 0x7060302
	s_and_saveexec_b32 s3, s0
	s_cbranch_execz .LBB121_30
; %bb.36:                               ;   in Loop: Header=BB121_31 Depth=1
	v_add_co_u32 v13, vcc_lo, v36, v34
	v_add_co_ci_u32_e64 v14, null, 0, v37, vcc_lo
	global_load_dwordx4 v[13:16], v[13:14], off
	s_and_saveexec_b32 s20, s1
	s_cbranch_execz .LBB121_29
; %bb.37:                               ;   in Loop: Header=BB121_31 Depth=1
	v_add_nc_u32_e32 v36, 1, v31
	v_or_b32_e32 v37, 3, v31
	v_cmp_gt_i32_e32 vcc_lo, s11, v31
	v_or_b32_e32 v38, 2, v31
	v_or_b32_e32 v40, 7, v31
	v_cmp_gt_i32_e64 s1, s19, v37
	s_waitcnt vmcnt(0)
	v_cndmask_b32_e32 v39, 0, v13, vcc_lo
	v_cmp_gt_i32_e32 vcc_lo, s19, v36
	v_cmp_gt_i32_e64 s2, s11, v38
	v_or_b32_e32 v37, 5, v31
	v_or_b32_e32 v38, 4, v31
	v_cndmask_b32_sdwa v13, v30, v13, vcc_lo dst_sel:DWORD dst_unused:UNUSED_PAD src0_sel:DWORD src1_sel:WORD_1
	s_mov_b32 vcc_lo, s1
	v_cndmask_b32_e64 v36, 0, v14, s2
	v_cndmask_b32_sdwa v14, v30, v14, vcc_lo dst_sel:DWORD dst_unused:UNUSED_PAD src0_sel:DWORD src1_sel:WORD_1
	v_cmp_gt_i32_e32 vcc_lo, s19, v37
	v_cmp_gt_i32_e64 s1, s11, v38
	v_or_b32_e32 v38, 6, v31
	v_perm_b32 v13, v13, v39, 0x5040100
	v_perm_b32 v14, v14, v36, 0x5040100
	v_cndmask_b32_e64 v37, 0, v15, s1
	v_cmp_gt_i32_e64 s1, s19, v40
	v_cndmask_b32_sdwa v15, v30, v15, vcc_lo dst_sel:DWORD dst_unused:UNUSED_PAD src0_sel:DWORD src1_sel:WORD_1
	v_cmp_gt_i32_e32 vcc_lo, s11, v38
	v_perm_b32 v15, v15, v37, 0x5040100
	v_cndmask_b32_e32 v38, 0, v16, vcc_lo
	s_mov_b32 vcc_lo, s1
	v_cndmask_b32_sdwa v16, v30, v16, vcc_lo dst_sel:DWORD dst_unused:UNUSED_PAD src0_sel:DWORD src1_sel:WORD_1
	v_perm_b32 v16, v16, v38, 0x5040100
	s_branch .LBB121_29
.LBB121_38:                             ;   in Loop: Header=BB121_31 Depth=1
	v_add_nc_u32_e32 v5, 1, v31
	v_or_b32_e32 v6, 3, v31
	v_cmp_gt_i32_e32 vcc_lo, s11, v31
	v_or_b32_e32 v7, 2, v31
	v_or_b32_e32 v11, 7, v31
	v_cmp_gt_i32_e64 s2, s19, v6
	s_waitcnt vmcnt(0)
	v_cndmask_b32_e32 v8, 0, v1, vcc_lo
	v_cmp_gt_i32_e32 vcc_lo, s19, v5
	v_cmp_gt_i32_e64 s3, s11, v7
	v_or_b32_e32 v6, 5, v31
	v_or_b32_e32 v7, 4, v31
	v_cndmask_b32_sdwa v1, v30, v1, vcc_lo dst_sel:DWORD dst_unused:UNUSED_PAD src0_sel:DWORD src1_sel:WORD_1
	s_mov_b32 vcc_lo, s2
	v_cndmask_b32_e64 v5, 0, v2, s3
	v_cndmask_b32_sdwa v2, v30, v2, vcc_lo dst_sel:DWORD dst_unused:UNUSED_PAD src0_sel:DWORD src1_sel:WORD_1
	v_cmp_gt_i32_e32 vcc_lo, s19, v6
	v_cmp_gt_i32_e64 s2, s11, v7
	v_or_b32_e32 v7, 6, v31
	v_perm_b32 v1, v1, v8, 0x5040100
	v_perm_b32 v2, v2, v5, 0x5040100
	v_cndmask_b32_e64 v6, 0, v3, s2
	v_cmp_gt_i32_e64 s2, s19, v11
	v_cndmask_b32_sdwa v3, v30, v3, vcc_lo dst_sel:DWORD dst_unused:UNUSED_PAD src0_sel:DWORD src1_sel:WORD_1
	v_cmp_gt_i32_e32 vcc_lo, s11, v7
	v_perm_b32 v3, v3, v6, 0x5040100
	v_cndmask_b32_e32 v7, 0, v4, vcc_lo
	s_mov_b32 vcc_lo, s2
	v_cndmask_b32_sdwa v4, v30, v4, vcc_lo dst_sel:DWORD dst_unused:UNUSED_PAD src0_sel:DWORD src1_sel:WORD_1
	v_perm_b32 v4, v4, v7, 0x5040100
	s_or_b32 exec_lo, exec_lo, s20
	global_load_dwordx4 v[5:8], v[9:10], off offset:512
	s_and_saveexec_b32 s20, s1
	s_cbranch_execz .LBB121_33
.LBB121_39:                             ;   in Loop: Header=BB121_31 Depth=1
	v_add_nc_u32_e32 v11, 1, v31
	v_or_b32_e32 v12, 3, v31
	v_cmp_gt_i32_e32 vcc_lo, s11, v31
	v_or_b32_e32 v38, 2, v31
	v_or_b32_e32 v40, 7, v31
	v_cmp_gt_i32_e64 s2, s19, v12
	s_waitcnt vmcnt(0)
	v_cndmask_b32_e32 v39, 0, v5, vcc_lo
	v_cmp_gt_i32_e32 vcc_lo, s19, v11
	v_cmp_gt_i32_e64 s3, s11, v38
	v_or_b32_e32 v12, 5, v31
	v_or_b32_e32 v38, 4, v31
	v_cndmask_b32_sdwa v5, v30, v5, vcc_lo dst_sel:DWORD dst_unused:UNUSED_PAD src0_sel:DWORD src1_sel:WORD_1
	s_mov_b32 vcc_lo, s2
	v_cndmask_b32_e64 v11, 0, v6, s3
	v_cndmask_b32_sdwa v6, v30, v6, vcc_lo dst_sel:DWORD dst_unused:UNUSED_PAD src0_sel:DWORD src1_sel:WORD_1
	v_cmp_gt_i32_e32 vcc_lo, s19, v12
	v_cmp_gt_i32_e64 s2, s11, v38
	v_or_b32_e32 v38, 6, v31
	v_perm_b32 v5, v5, v39, 0x5040100
	v_perm_b32 v6, v6, v11, 0x5040100
	v_cndmask_b32_e64 v12, 0, v7, s2
	v_cmp_gt_i32_e64 s2, s19, v40
	v_cndmask_b32_sdwa v7, v30, v7, vcc_lo dst_sel:DWORD dst_unused:UNUSED_PAD src0_sel:DWORD src1_sel:WORD_1
	v_cmp_gt_i32_e32 vcc_lo, s11, v38
	v_perm_b32 v7, v7, v12, 0x5040100
	v_cndmask_b32_e32 v38, 0, v8, vcc_lo
	s_mov_b32 vcc_lo, s2
	v_cndmask_b32_sdwa v8, v30, v8, vcc_lo dst_sel:DWORD dst_unused:UNUSED_PAD src0_sel:DWORD src1_sel:WORD_1
	v_perm_b32 v8, v8, v38, 0x5040100
	s_or_b32 exec_lo, exec_lo, s20
	global_load_dwordx4 v[9:12], v[9:10], off offset:1024
	s_and_saveexec_b32 s20, s1
	s_cbranch_execnz .LBB121_34
	s_branch .LBB121_35
.LBB121_40:
	s_or_b32 exec_lo, exec_lo, s18
.LBB121_41:
	s_or_b32 exec_lo, exec_lo, s4
	s_movk_i32 s0, 0x1c0
	v_and_b32_e32 v1, 0x3c0, v0
	v_mad_u32_u24 v4, v23, s0, 0x100
	v_or_b32_e32 v3, 0x60, v0
	s_mov_b32 s0, exec_lo
	s_barrier
	buffer_gl0_inv
	v_cmpx_eq_u32_e32 64, v1
	s_cbranch_execz .LBB121_44
; %bb.42:
	v_add_nc_u32_e32 v1, 0xfffffc80, v4
	v_cmp_gt_u32_e32 vcc_lo, 0x70, v3
	v_lshl_add_u32 v2, v24, 2, v1
	ds_write2_b32 v2, v29, v28 offset1:32
	ds_write_b32 v2, v27 offset:256
	s_and_b32 exec_lo, exec_lo, vcc_lo
; %bb.43:
	v_lshl_add_u32 v1, v3, 2, v1
	ds_write_b32 v1, v26
.LBB121_44:
	s_or_b32 exec_lo, exec_lo, s0
	v_lshl_add_u32 v5, v24, 2, v4
	s_mov_b32 s0, exec_lo
	s_waitcnt lgkmcnt(0)
	s_barrier
	buffer_gl0_inv
	v_cmpx_gt_u32_e32 64, v0
	s_cbranch_execz .LBB121_48
; %bb.45:
	v_lshl_or_b32 v1, v0, 2, 0x80
	s_mov_b32 s1, exec_lo
	v_add_nc_u32_e32 v6, v4, v1
	ds_read2st64_b32 v[1:2], v5 offset1:1
	ds_read_b32 v6, v6
	v_cmpx_gt_u32_e32 0x70, v3
	s_cbranch_execz .LBB121_47
; %bb.46:
	v_lshl_add_u32 v7, v3, 2, v4
	ds_read_b32 v7, v7
	s_waitcnt lgkmcnt(0)
	v_add_f32_e32 v26, v26, v7
.LBB121_47:
	s_or_b32 exec_lo, exec_lo, s1
	s_waitcnt lgkmcnt(1)
	v_add_f32_e32 v29, v29, v1
	s_waitcnt lgkmcnt(0)
	v_add_f32_e32 v28, v28, v6
	v_add_f32_e32 v27, v27, v2
.LBB121_48:
	s_or_b32 exec_lo, exec_lo, s0
	v_and_b32_e32 v1, 0x3e0, v0
	s_mov_b32 s0, exec_lo
	s_barrier
	buffer_gl0_inv
	v_cmpx_eq_u32_e32 32, v1
	s_cbranch_execz .LBB121_51
; %bb.49:
	v_lshl_add_u32 v1, v24, 2, 0x100
	v_cmp_gt_u32_e32 vcc_lo, 0x70, v3
	ds_write_b32 v1, v29
	ds_write_b32 v25, v28
	ds_write_b32 v1, v27 offset:256
	s_and_b32 exec_lo, exec_lo, vcc_lo
; %bb.50:
	v_lshl_add_u32 v1, v3, 2, 0x100
	ds_write_b32 v1, v26
.LBB121_51:
	s_or_b32 exec_lo, exec_lo, s0
	v_cmp_gt_u32_e32 vcc_lo, 32, v0
	s_waitcnt lgkmcnt(0)
	s_barrier
	buffer_gl0_inv
	s_and_saveexec_b32 s1, vcc_lo
	s_cbranch_execz .LBB121_55
; %bb.52:
	v_lshl_add_u32 v6, v0, 2, v4
	s_mov_b32 s2, exec_lo
	ds_read_b32 v4, v5
	ds_read2_b32 v[1:2], v6 offset0:32 offset1:64
	v_cmpx_gt_u32_e32 0x70, v3
	s_cbranch_execz .LBB121_54
; %bb.53:
	ds_read_b32 v5, v6 offset:384
	s_waitcnt lgkmcnt(0)
	v_add_f32_e32 v26, v26, v5
.LBB121_54:
	s_or_b32 exec_lo, exec_lo, s2
	s_waitcnt lgkmcnt(1)
	v_add_f32_e32 v29, v29, v4
	s_waitcnt lgkmcnt(0)
	v_add_f32_e32 v28, v28, v1
	v_add_f32_e32 v27, v27, v2
.LBB121_55:
	s_or_b32 exec_lo, exec_lo, s1
	s_barrier
	buffer_gl0_inv
	s_and_saveexec_b32 s0, vcc_lo
	s_cbranch_execz .LBB121_58
; %bb.56:
	v_bfe_u32 v1, v29, 16, 1
	s_mul_i32 s0, s10, s7
	v_bfe_u32 v2, v28, 16, 1
	s_mul_i32 s0, s0, s9
	v_or_b32_e32 v5, 0x400000, v29
	v_add3_u32 v1, v1, v29, 0x7fff
	v_cmp_u_f32_e32 vcc_lo, v29, v29
	s_mulk_i32 s0, 0x70
	v_bfe_u32 v4, v27, 16, 1
	s_ashr_i32 s1, s0, 31
	v_add3_u32 v2, v2, v28, 0x7fff
	s_lshl_b64 s[0:1], s[0:1], 1
	v_or_b32_e32 v6, 0x400000, v28
	v_cndmask_b32_e32 v1, v1, v5, vcc_lo
	v_cmp_u_f32_e32 vcc_lo, v28, v28
	s_mul_i32 s2, s7, s6
	s_add_u32 s5, s16, s0
	s_addc_u32 s6, s17, s1
	s_ashr_i32 s3, s2, 31
	v_add3_u32 v4, v4, v27, 0x7fff
	s_lshl_b64 s[0:1], s[2:3], 1
	v_or_b32_e32 v7, 0x400000, v27
	v_cndmask_b32_e32 v2, v2, v6, vcc_lo
	v_cmp_u_f32_e32 vcc_lo, v27, v27
	s_mul_i32 s4, s8, 0x70
	s_add_u32 s2, s5, s0
	s_addc_u32 s3, s6, s1
	s_ashr_i32 s5, s4, 31
	v_lshlrev_b32_e32 v0, 1, v0
	s_lshl_b64 s[0:1], s[4:5], 1
	v_cndmask_b32_e32 v4, v4, v7, vcc_lo
	v_cmp_gt_u32_e32 vcc_lo, 0x70, v3
	s_add_u32 s0, s2, s0
	s_addc_u32 s1, s3, s1
	global_store_short_d16_hi v0, v1, s[0:1]
	global_store_short_d16_hi v0, v2, s[0:1] offset:64
	global_store_short_d16_hi v0, v4, s[0:1] offset:128
	s_and_b32 exec_lo, exec_lo, vcc_lo
	s_cbranch_execz .LBB121_58
; %bb.57:
	v_bfe_u32 v1, v26, 16, 1
	v_or_b32_e32 v2, 0x400000, v26
	v_cmp_u_f32_e32 vcc_lo, v26, v26
	v_add_co_u32 v0, s0, s0, v0
	v_add3_u32 v3, v1, v26, 0x7fff
	v_add_co_ci_u32_e64 v1, null, s1, 0, s0
	v_cndmask_b32_e32 v2, v3, v2, vcc_lo
	global_store_short_d16_hi v[0:1], v2, off offset:192
.LBB121_58:
	s_endpgm
	.section	.rodata,"a",@progbits
	.p2align	6, 0x0
	.amdhsa_kernel _ZN4vllm25paged_attention_v1_kernelI14__hip_bfloat16S1_Li112ELi8ELi128ELNS_18Fp8KVCacheDataTypeE0ELb0EEEvPT_PKS3_PKT0_S9_ifPKiSB_iPKfiiiSD_SD_iiiii
		.amdhsa_group_segment_fixed_size 256
		.amdhsa_private_segment_fixed_size 0
		.amdhsa_kernarg_size 384
		.amdhsa_user_sgpr_count 6
		.amdhsa_user_sgpr_private_segment_buffer 1
		.amdhsa_user_sgpr_dispatch_ptr 0
		.amdhsa_user_sgpr_queue_ptr 0
		.amdhsa_user_sgpr_kernarg_segment_ptr 1
		.amdhsa_user_sgpr_dispatch_id 0
		.amdhsa_user_sgpr_flat_scratch_init 0
		.amdhsa_user_sgpr_private_segment_size 0
		.amdhsa_wavefront_size32 1
		.amdhsa_uses_dynamic_stack 0
		.amdhsa_system_sgpr_private_segment_wavefront_offset 0
		.amdhsa_system_sgpr_workgroup_id_x 1
		.amdhsa_system_sgpr_workgroup_id_y 1
		.amdhsa_system_sgpr_workgroup_id_z 1
		.amdhsa_system_sgpr_workgroup_info 0
		.amdhsa_system_vgpr_workitem_id 0
		.amdhsa_next_free_vgpr 61
		.amdhsa_next_free_sgpr 27
		.amdhsa_reserve_vcc 1
		.amdhsa_reserve_flat_scratch 0
		.amdhsa_float_round_mode_32 0
		.amdhsa_float_round_mode_16_64 0
		.amdhsa_float_denorm_mode_32 3
		.amdhsa_float_denorm_mode_16_64 3
		.amdhsa_dx10_clamp 1
		.amdhsa_ieee_mode 1
		.amdhsa_fp16_overflow 0
		.amdhsa_workgroup_processor_mode 1
		.amdhsa_memory_ordered 1
		.amdhsa_forward_progress 1
		.amdhsa_shared_vgpr_count 0
		.amdhsa_exception_fp_ieee_invalid_op 0
		.amdhsa_exception_fp_denorm_src 0
		.amdhsa_exception_fp_ieee_div_zero 0
		.amdhsa_exception_fp_ieee_overflow 0
		.amdhsa_exception_fp_ieee_underflow 0
		.amdhsa_exception_fp_ieee_inexact 0
		.amdhsa_exception_int_div_zero 0
	.end_amdhsa_kernel
	.section	.text._ZN4vllm25paged_attention_v1_kernelI14__hip_bfloat16S1_Li112ELi8ELi128ELNS_18Fp8KVCacheDataTypeE0ELb0EEEvPT_PKS3_PKT0_S9_ifPKiSB_iPKfiiiSD_SD_iiiii,"axG",@progbits,_ZN4vllm25paged_attention_v1_kernelI14__hip_bfloat16S1_Li112ELi8ELi128ELNS_18Fp8KVCacheDataTypeE0ELb0EEEvPT_PKS3_PKT0_S9_ifPKiSB_iPKfiiiSD_SD_iiiii,comdat
.Lfunc_end121:
	.size	_ZN4vllm25paged_attention_v1_kernelI14__hip_bfloat16S1_Li112ELi8ELi128ELNS_18Fp8KVCacheDataTypeE0ELb0EEEvPT_PKS3_PKT0_S9_ifPKiSB_iPKfiiiSD_SD_iiiii, .Lfunc_end121-_ZN4vllm25paged_attention_v1_kernelI14__hip_bfloat16S1_Li112ELi8ELi128ELNS_18Fp8KVCacheDataTypeE0ELb0EEEvPT_PKS3_PKT0_S9_ifPKiSB_iPKfiiiSD_SD_iiiii
                                        ; -- End function
	.set _ZN4vllm25paged_attention_v1_kernelI14__hip_bfloat16S1_Li112ELi8ELi128ELNS_18Fp8KVCacheDataTypeE0ELb0EEEvPT_PKS3_PKT0_S9_ifPKiSB_iPKfiiiSD_SD_iiiii.num_vgpr, 61
	.set _ZN4vllm25paged_attention_v1_kernelI14__hip_bfloat16S1_Li112ELi8ELi128ELNS_18Fp8KVCacheDataTypeE0ELb0EEEvPT_PKS3_PKT0_S9_ifPKiSB_iPKfiiiSD_SD_iiiii.num_agpr, 0
	.set _ZN4vllm25paged_attention_v1_kernelI14__hip_bfloat16S1_Li112ELi8ELi128ELNS_18Fp8KVCacheDataTypeE0ELb0EEEvPT_PKS3_PKT0_S9_ifPKiSB_iPKfiiiSD_SD_iiiii.numbered_sgpr, 27
	.set _ZN4vllm25paged_attention_v1_kernelI14__hip_bfloat16S1_Li112ELi8ELi128ELNS_18Fp8KVCacheDataTypeE0ELb0EEEvPT_PKS3_PKT0_S9_ifPKiSB_iPKfiiiSD_SD_iiiii.num_named_barrier, 0
	.set _ZN4vllm25paged_attention_v1_kernelI14__hip_bfloat16S1_Li112ELi8ELi128ELNS_18Fp8KVCacheDataTypeE0ELb0EEEvPT_PKS3_PKT0_S9_ifPKiSB_iPKfiiiSD_SD_iiiii.private_seg_size, 0
	.set _ZN4vllm25paged_attention_v1_kernelI14__hip_bfloat16S1_Li112ELi8ELi128ELNS_18Fp8KVCacheDataTypeE0ELb0EEEvPT_PKS3_PKT0_S9_ifPKiSB_iPKfiiiSD_SD_iiiii.uses_vcc, 1
	.set _ZN4vllm25paged_attention_v1_kernelI14__hip_bfloat16S1_Li112ELi8ELi128ELNS_18Fp8KVCacheDataTypeE0ELb0EEEvPT_PKS3_PKT0_S9_ifPKiSB_iPKfiiiSD_SD_iiiii.uses_flat_scratch, 0
	.set _ZN4vllm25paged_attention_v1_kernelI14__hip_bfloat16S1_Li112ELi8ELi128ELNS_18Fp8KVCacheDataTypeE0ELb0EEEvPT_PKS3_PKT0_S9_ifPKiSB_iPKfiiiSD_SD_iiiii.has_dyn_sized_stack, 0
	.set _ZN4vllm25paged_attention_v1_kernelI14__hip_bfloat16S1_Li112ELi8ELi128ELNS_18Fp8KVCacheDataTypeE0ELb0EEEvPT_PKS3_PKT0_S9_ifPKiSB_iPKfiiiSD_SD_iiiii.has_recursion, 0
	.set _ZN4vllm25paged_attention_v1_kernelI14__hip_bfloat16S1_Li112ELi8ELi128ELNS_18Fp8KVCacheDataTypeE0ELb0EEEvPT_PKS3_PKT0_S9_ifPKiSB_iPKfiiiSD_SD_iiiii.has_indirect_call, 0
	.section	.AMDGPU.csdata,"",@progbits
; Kernel info:
; codeLenInByte = 6876
; TotalNumSgprs: 29
; NumVgprs: 61
; ScratchSize: 0
; MemoryBound: 0
; FloatMode: 240
; IeeeMode: 1
; LDSByteSize: 256 bytes/workgroup (compile time only)
; SGPRBlocks: 0
; VGPRBlocks: 7
; NumSGPRsForWavesPerEU: 29
; NumVGPRsForWavesPerEU: 61
; Occupancy: 16
; WaveLimiterHint : 1
; COMPUTE_PGM_RSRC2:SCRATCH_EN: 0
; COMPUTE_PGM_RSRC2:USER_SGPR: 6
; COMPUTE_PGM_RSRC2:TRAP_HANDLER: 0
; COMPUTE_PGM_RSRC2:TGID_X_EN: 1
; COMPUTE_PGM_RSRC2:TGID_Y_EN: 1
; COMPUTE_PGM_RSRC2:TGID_Z_EN: 1
; COMPUTE_PGM_RSRC2:TIDIG_COMP_CNT: 0
	.section	.text._ZN4vllm25paged_attention_v1_kernelI14__hip_bfloat16S1_Li120ELi8ELi128ELNS_18Fp8KVCacheDataTypeE0ELb0EEEvPT_PKS3_PKT0_S9_ifPKiSB_iPKfiiiSD_SD_iiiii,"axG",@progbits,_ZN4vllm25paged_attention_v1_kernelI14__hip_bfloat16S1_Li120ELi8ELi128ELNS_18Fp8KVCacheDataTypeE0ELb0EEEvPT_PKS3_PKT0_S9_ifPKiSB_iPKfiiiSD_SD_iiiii,comdat
	.protected	_ZN4vllm25paged_attention_v1_kernelI14__hip_bfloat16S1_Li120ELi8ELi128ELNS_18Fp8KVCacheDataTypeE0ELb0EEEvPT_PKS3_PKT0_S9_ifPKiSB_iPKfiiiSD_SD_iiiii ; -- Begin function _ZN4vllm25paged_attention_v1_kernelI14__hip_bfloat16S1_Li120ELi8ELi128ELNS_18Fp8KVCacheDataTypeE0ELb0EEEvPT_PKS3_PKT0_S9_ifPKiSB_iPKfiiiSD_SD_iiiii
	.globl	_ZN4vllm25paged_attention_v1_kernelI14__hip_bfloat16S1_Li120ELi8ELi128ELNS_18Fp8KVCacheDataTypeE0ELb0EEEvPT_PKS3_PKT0_S9_ifPKiSB_iPKfiiiSD_SD_iiiii
	.p2align	8
	.type	_ZN4vllm25paged_attention_v1_kernelI14__hip_bfloat16S1_Li120ELi8ELi128ELNS_18Fp8KVCacheDataTypeE0ELb0EEEvPT_PKS3_PKT0_S9_ifPKiSB_iPKfiiiSD_SD_iiiii,@function
_ZN4vllm25paged_attention_v1_kernelI14__hip_bfloat16S1_Li120ELi8ELi128ELNS_18Fp8KVCacheDataTypeE0ELb0EEEvPT_PKS3_PKT0_S9_ifPKiSB_iPKfiiiSD_SD_iiiii: ; @_ZN4vllm25paged_attention_v1_kernelI14__hip_bfloat16S1_Li120ELi8ELi128ELNS_18Fp8KVCacheDataTypeE0ELb0EEEvPT_PKS3_PKT0_S9_ifPKiSB_iPKfiiiSD_SD_iiiii
; %bb.0:
	s_clause 0x2
	s_load_dword s9, s[4:5], 0x80
	s_load_dwordx2 s[0:1], s[4:5], 0x30
	s_load_dwordx2 s[24:25], s[4:5], 0x20
	s_mov_b32 s10, s7
	s_ashr_i32 s11, s7, 31
	s_lshl_b64 s[2:3], s[10:11], 2
	s_waitcnt lgkmcnt(0)
	s_add_u32 s0, s0, s2
	s_addc_u32 s1, s1, s3
	s_abs_i32 s2, s24
	s_abs_i32 s11, s9
	v_cvt_f32_u32_e32 v1, s2
	s_sub_i32 s7, 0, s2
	v_rcp_iflag_f32_e32 v1, v1
	v_mul_f32_e32 v1, 0x4f7ffffe, v1
	v_cvt_u32_f32_e32 v1, v1
	v_readfirstlane_b32 s3, v1
	s_mul_i32 s7, s7, s3
	s_mul_hi_u32 s7, s3, s7
	s_add_i32 s3, s3, s7
	s_xor_b32 s7, s9, s24
	s_mul_hi_u32 s3, s11, s3
	s_ashr_i32 s7, s7, 31
	s_mul_i32 s12, s3, s2
	s_mov_b32 s24, 0
	s_sub_i32 s11, s11, s12
	s_add_i32 s12, s3, 1
	s_sub_i32 s13, s11, s2
	s_cmp_ge_u32 s11, s2
	s_cselect_b32 s3, s12, s3
	s_cselect_b32 s11, s13, s11
	s_add_i32 s12, s3, 1
	s_cmp_ge_u32 s11, s2
	s_cselect_b32 s2, s12, s3
	s_abs_i32 s17, s6
	s_xor_b32 s2, s2, s7
	s_sub_i32 s18, s2, s7
	s_load_dwordx2 s[2:3], s[4:5], 0x40
	s_abs_i32 s16, s18
	v_cvt_f32_u32_e32 v1, s16
	s_sub_i32 s11, 0, s16
	v_rcp_iflag_f32_e32 v1, v1
	v_mul_f32_e32 v1, 0x4f7ffffe, v1
	v_cvt_u32_f32_e32 v1, v1
	v_readfirstlane_b32 s7, v1
	s_mul_i32 s11, s11, s7
	s_mul_hi_u32 s11, s7, s11
	s_add_i32 s7, s7, s11
	s_waitcnt lgkmcnt(0)
	s_cmp_eq_u64 s[2:3], 0
	s_mul_hi_u32 s20, s17, s7
	s_cbranch_scc1 .LBB122_2
; %bb.1:
	s_ashr_i32 s7, s6, 31
	s_lshl_b64 s[12:13], s[6:7], 2
	s_add_u32 s2, s2, s12
	s_addc_u32 s3, s3, s13
	s_load_dword s24, s[2:3], 0x0
.LBB122_2:
	s_load_dword s11, s[0:1], 0x0
	s_load_dwordx4 s[12:15], s[4:5], 0x48
	v_and_b32_e32 v1, 3, v0
	v_lshlrev_b32_e32 v2, 2, v0
	s_ashr_i32 s0, s6, 31
	s_ashr_i32 s1, s18, 31
	s_mulk_i32 s6, 0x78
	s_mov_b32 s2, exec_lo
	v_cmpx_gt_u32_e32 60, v0
	s_cbranch_execz .LBB122_4
; %bb.3:
	s_load_dwordx2 s[18:19], s[4:5], 0x8
	s_waitcnt lgkmcnt(0)
	s_mul_i32 s22, s12, s10
	v_and_b32_e32 v4, 0x3fc, v0
	s_ashr_i32 s23, s22, 31
	s_lshl_b64 s[22:23], s[22:23], 1
	v_mad_u32_u24 v4, v1, 60, v4
	s_add_u32 s3, s18, s22
	s_addc_u32 s12, s19, s23
	s_ashr_i32 s7, s6, 31
	s_lshl_b64 s[18:19], s[6:7], 1
	s_add_u32 s18, s3, s18
	s_addc_u32 s19, s12, s19
	global_load_dword v3, v2, s[18:19]
	s_waitcnt vmcnt(0)
	ds_write_b32 v4, v3
.LBB122_4:
	s_or_b32 exec_lo, exec_lo, s2
	s_waitcnt lgkmcnt(0)
	s_add_i32 s2, s11, 7
	s_clause 0x1
	s_load_dwordx2 s[18:19], s[4:5], 0x28
	s_load_dword s7, s[4:5], 0x38
	s_ashr_i32 s3, s2, 31
	s_xor_b32 s0, s0, s1
	s_lshr_b32 s3, s3, 29
	s_mul_i32 s1, s20, s16
	s_add_i32 s2, s2, s3
	s_sub_i32 s1, s17, s1
	s_ashr_i32 s12, s2, 3
	s_add_i32 s2, s20, 1
	s_sub_i32 s3, s1, s16
	s_cmp_ge_u32 s1, s16
	v_lshrrev_b32_e32 v23, 5, v0
	s_cselect_b32 s2, s2, s20
	s_cselect_b32 s1, s3, s1
	s_add_i32 s3, s2, 1
	s_cmp_ge_u32 s1, s16
	v_mbcnt_lo_u32_b32 v4, -1, 0
	s_cselect_b32 s1, s3, s2
	s_mov_b32 s2, exec_lo
	s_xor_b32 s1, s1, s0
	s_waitcnt lgkmcnt(0)
	s_mul_i32 s20, s7, s10
	s_sub_i32 s1, s1, s0
	v_cmp_gt_i32_e64 s0, s12, v23
	s_ashr_i32 s21, s20, 31
	s_barrier
	buffer_gl0_inv
                                        ; implicit-def: $vgpr5
                                        ; implicit-def: $vgpr6
	v_cmpx_le_i32_e64 s12, v23
	s_xor_b32 s2, exec_lo, s2
; %bb.5:
	v_mov_b32_e32 v5, 0
	v_mbcnt_lo_u32_b32 v4, -1, 0
	v_mov_b32_e32 v6, 32
                                        ; implicit-def: $vgpr2
                                        ; implicit-def: $vgpr1
; %bb.6:
	s_or_saveexec_b32 s26, s2
	s_clause 0x2
	s_load_dwordx2 s[16:17], s[4:5], 0x0
	s_load_dwordx2 s[22:23], s[4:5], 0x18
	s_load_dword s7, s[4:5], 0x88
	v_mov_b32_e32 v36, 0xff7fffff
	v_lshrrev_b32_e32 v3, 3, v0
	s_mul_i32 s14, s1, s14
	s_xor_b32 exec_lo, exec_lo, s26
	s_cbranch_execz .LBB122_12
; %bb.7:
	s_load_dwordx2 s[2:3], s[4:5], 0x10
	v_bfe_u32 v43, v0, 2, 3
	s_ashr_i32 s15, s14, 31
	v_mul_u32_u24_e32 v6, 60, v1
	s_lshl_b64 s[4:5], s[14:15], 1
	v_and_b32_e32 v2, 12, v2
	v_lshlrev_b32_e32 v7, 4, v43
	v_xor_b32_e32 v40, 1, v4
	ds_read2_b32 v[9:10], v6 offset1:1
	ds_read2_b32 v[15:16], v6 offset0:2 offset1:3
	ds_read2_b32 v[19:20], v6 offset0:4 offset1:5
	;; [unrolled: 1-line block ×6, first 2 shown]
	v_mov_b32_e32 v5, 0
	v_mov_b32_e32 v45, v23
	s_mov_b32 s15, s13
	s_waitcnt lgkmcnt(0)
	s_add_u32 s1, s2, s4
	s_addc_u32 s2, s3, s5
	v_add_co_u32 v12, s1, s1, v7
	v_add_co_ci_u32_e64 v13, null, s2, 0, s1
	s_lshl_b64 s[2:3], s[20:21], 2
	v_add_co_u32 v12, vcc_lo, v12, v2
	ds_read_b32 v2, v6 offset:56
	v_xor_b32_e32 v6, 2, v4
	v_add_co_ci_u32_e64 v13, null, 0, v13, vcc_lo
	v_lshlrev_b32_e32 v37, 16, v36
	v_and_b32_e32 v38, 0xffff0000, v36
	v_cmp_gt_i32_e32 vcc_lo, 32, v6
	s_sub_i32 s4, 1, s11
	s_add_u32 s2, s18, s2
	s_addc_u32 s3, s19, s3
	v_lshlrev_b32_e32 v7, 16, v9
	v_cndmask_b32_e32 v36, v4, v6, vcc_lo
	v_cmp_gt_i32_e32 vcc_lo, 32, v40
	v_and_b32_e32 v8, 0xffff0000, v9
	v_lshlrev_b32_e32 v9, 16, v10
	v_and_b32_e32 v10, 0xffff0000, v10
	v_lshlrev_b32_e32 v11, 16, v15
	v_cndmask_b32_e32 v42, v4, v40, vcc_lo
	v_cmp_eq_u32_e32 vcc_lo, 0, v1
	v_and_b32_e32 v14, 0xffff0000, v15
	s_waitcnt lgkmcnt(0)
	v_lshlrev_b32_e32 v39, 16, v2
	v_and_b32_e32 v40, 0xffff0000, v2
	v_lshlrev_b32_e32 v2, 2, v43
	v_lshlrev_b32_e32 v15, 16, v16
	v_and_b32_e32 v16, 0xffff0000, v16
	v_lshlrev_b32_e32 v17, 16, v19
	v_and_b32_e32 v18, 0xffff0000, v19
	v_lshl_or_b32 v1, v23, 5, v2
	v_and_b32_e32 v2, 0x7c, v3
	v_lshlrev_b32_e32 v19, 16, v20
	v_and_b32_e32 v20, 0xffff0000, v20
	v_lshlrev_b32_e32 v21, 16, v24
	v_add_nc_u32_e32 v44, 0x110, v1
	v_add_co_u32 v1, s2, s2, v2
	v_and_b32_e32 v22, 0xffff0000, v24
	v_lshlrev_b32_e32 v24, 16, v25
	v_and_b32_e32 v25, 0xffff0000, v25
	v_lshlrev_b32_e32 v26, 16, v28
	;; [unrolled: 2-line block ×6, first 2 shown]
	v_and_b32_e32 v35, 0xffff0000, v35
	v_mov_b32_e32 v6, 32
	v_lshlrev_b32_e32 v41, 2, v36
	v_lshlrev_b32_e32 v42, 2, v42
	v_cmp_neq_f32_e64 s1, s24, 0
	v_lshl_or_b32 v43, v23, 3, v43
	v_add_co_ci_u32_e64 v2, null, s3, 0, s2
	v_mov_b32_e32 v36, 0xff7fffff
	s_mov_b32 s5, 0
	s_branch .LBB122_9
.LBB122_8:                              ;   in Loop: Header=BB122_9 Depth=1
	s_or_b32 exec_lo, exec_lo, s3
	v_add_nc_u32_e32 v45, 4, v45
	v_add_co_u32 v1, s3, v1, 16
	v_add_nc_u32_e32 v43, 32, v43
	v_add_nc_u32_e32 v44, 0x80, v44
	v_cmp_le_i32_e64 s2, s12, v45
	v_add_co_ci_u32_e64 v2, null, 0, v2, s3
	s_or_b32 s5, s2, s5
	s_andn2_b32 exec_lo, exec_lo, s5
	s_cbranch_execz .LBB122_11
.LBB122_9:                              ; =>This Inner Loop Header: Depth=1
	global_load_dword v46, v[1:2], off
	s_waitcnt vmcnt(0) lgkmcnt(0)
	v_mad_i64_i32 v[46:47], null, v46, s15, 0
	v_lshlrev_b64 v[46:47], 1, v[46:47]
	v_add_co_u32 v46, s2, v12, v46
	v_add_co_ci_u32_e64 v47, null, v13, v47, s2
	s_clause 0xe
	global_load_dword v48, v[46:47], off offset:128
	global_load_dword v49, v[46:47], off
	global_load_dword v50, v[46:47], off offset:256
	global_load_dword v51, v[46:47], off offset:384
	;; [unrolled: 1-line block ×13, first 2 shown]
	s_waitcnt vmcnt(14)
	v_lshlrev_b32_e32 v47, 16, v48
	v_and_b32_e32 v48, 0xffff0000, v48
	s_waitcnt vmcnt(13)
	v_lshlrev_b32_e32 v62, 16, v49
	v_and_b32_e32 v49, 0xffff0000, v49
	s_waitcnt vmcnt(12)
	v_lshlrev_b32_e32 v63, 16, v50
	v_mul_f32_e32 v47, v9, v47
	v_mul_f32_e32 v48, v10, v48
	v_and_b32_e32 v50, 0xffff0000, v50
	v_fmac_f32_e32 v47, v7, v62
	v_fmac_f32_e32 v48, v8, v49
	s_waitcnt vmcnt(11)
	v_lshlrev_b32_e32 v49, 16, v51
	v_and_b32_e32 v51, 0xffff0000, v51
	v_fmac_f32_e32 v47, v11, v63
	v_fmac_f32_e32 v48, v14, v50
	s_waitcnt vmcnt(10)
	v_lshlrev_b32_e32 v50, 16, v52
	;; [unrolled: 5-line block ×12, first 2 shown]
	v_and_b32_e32 v46, 0xffff0000, v46
	v_fmac_f32_e32 v47, v37, v49
	v_fmac_f32_e32 v48, v38, v51
	;; [unrolled: 1-line block ×4, first 2 shown]
	v_add_f32_e32 v46, v47, v48
	ds_bpermute_b32 v47, v41, v46
	s_waitcnt lgkmcnt(0)
	v_add_f32_e32 v46, v46, v47
	ds_bpermute_b32 v47, v42, v46
	s_and_saveexec_b32 s3, vcc_lo
	s_cbranch_execz .LBB122_8
; %bb.10:                               ;   in Loop: Header=BB122_9 Depth=1
	v_add_nc_u32_e32 v48, s4, v43
	s_waitcnt lgkmcnt(0)
	v_add_f32_e32 v46, v46, v47
	v_cmp_gt_i32_e64 s2, s11, v43
	v_cvt_f32_i32_e32 v48, v48
	v_mul_f32_e32 v48, s24, v48
	v_cndmask_b32_e64 v47, 0, v48, s1
	v_max_f32_e32 v48, v36, v36
	v_fmac_f32_e32 v47, s25, v46
	v_max_f32_e32 v46, v48, v47
	v_cndmask_b32_e64 v47, 0, v47, s2
	v_cndmask_b32_e64 v36, v36, v46, s2
	ds_write_b32 v44, v47
	s_branch .LBB122_8
.LBB122_11:
	s_or_b32 exec_lo, exec_lo, s5
.LBB122_12:
	s_or_b32 exec_lo, exec_lo, s26
	v_xor_b32_e32 v1, 16, v4
	v_xor_b32_e32 v7, 8, v4
	v_max_f32_e32 v8, v36, v36
	v_and_b32_e32 v24, 31, v0
	v_cmp_lt_i32_e32 vcc_lo, v1, v6
	v_cndmask_b32_e32 v1, v4, v1, vcc_lo
	v_cmp_lt_i32_e32 vcc_lo, v7, v6
	v_lshlrev_b32_e32 v1, 2, v1
	v_cndmask_b32_e32 v7, v4, v7, vcc_lo
	ds_bpermute_b32 v2, v1, v36
	s_waitcnt lgkmcnt(0)
	v_max_f32_e32 v9, v2, v2
	v_lshlrev_b32_e32 v2, 2, v7
	v_max_f32_e32 v7, v8, v9
	v_xor_b32_e32 v9, 4, v4
	ds_bpermute_b32 v8, v2, v7
	v_cmp_lt_i32_e32 vcc_lo, v9, v6
	v_cndmask_b32_e32 v9, v4, v9, vcc_lo
	v_cmp_eq_u32_e32 vcc_lo, 0, v24
	v_lshlrev_b32_e32 v9, 2, v9
	s_waitcnt lgkmcnt(0)
	v_max_f32_e32 v8, v8, v8
	v_max_f32_e32 v8, v7, v8
	v_lshlrev_b32_e32 v7, 2, v23
	ds_bpermute_b32 v10, v9, v8
	s_and_saveexec_b32 s1, vcc_lo
	s_cbranch_execz .LBB122_14
; %bb.13:
	s_waitcnt lgkmcnt(0)
	v_max_f32_e32 v10, v10, v10
	v_max_f32_e32 v8, v8, v8
	;; [unrolled: 1-line block ×3, first 2 shown]
	ds_write_b32 v7, v8 offset:240
.LBB122_14:
	s_or_b32 exec_lo, exec_lo, s1
	v_cmp_gt_u32_e64 s1, 4, v24
	v_mov_b32_e32 v11, 0xff7fffff
	v_lshlrev_b32_e32 v8, 2, v24
	s_waitcnt lgkmcnt(0)
	s_barrier
	buffer_gl0_inv
	s_and_saveexec_b32 s2, s1
; %bb.15:
	ds_read_b32 v11, v8 offset:240
; %bb.16:
	s_or_b32 exec_lo, exec_lo, s2
	v_xor_b32_e32 v10, 2, v4
	v_xor_b32_e32 v13, 1, v4
	v_lshlrev_b32_e32 v5, 2, v5
	v_lshl_add_u32 v25, v0, 2, 0x110
	v_cmp_lt_i32_e64 s2, v10, v6
	v_cndmask_b32_e64 v10, v4, v10, s2
	v_cmp_lt_i32_e64 s2, v13, v6
	v_lshlrev_b32_e32 v10, 2, v10
	v_cndmask_b32_e64 v6, v4, v13, s2
	s_lshl_b32 s2, s12, 3
	s_min_i32 s4, s2, s11
	s_waitcnt lgkmcnt(0)
	ds_bpermute_b32 v12, v10, v11
	v_max_f32_e32 v11, v11, v11
	v_lshlrev_b32_e32 v6, 2, v6
	v_cmp_gt_i32_e64 s2, s4, v0
	s_waitcnt lgkmcnt(0)
	v_max_f32_e32 v12, v12, v12
	v_max_f32_e32 v11, v11, v12
	ds_bpermute_b32 v12, v6, v11
	s_waitcnt lgkmcnt(0)
	v_max_f32_e32 v12, v12, v12
	v_max_f32_e32 v11, v11, v12
	ds_bpermute_b32 v11, v5, v11
	v_mov_b32_e32 v5, 0
	s_and_saveexec_b32 s5, s2
	s_cbranch_execz .LBB122_20
; %bb.17:
	v_lshl_add_u32 v12, v0, 2, 0x110
	v_mov_b32_e32 v5, 0
	v_mov_b32_e32 v13, v0
	s_mov_b32 s15, 0
	.p2align	6
.LBB122_18:                             ; =>This Inner Loop Header: Depth=1
	ds_read_b32 v14, v12
	v_add_nc_u32_e32 v13, 0x80, v13
	v_cmp_le_i32_e64 s3, s4, v13
	s_or_b32 s15, s3, s15
	s_waitcnt lgkmcnt(0)
	v_sub_f32_e32 v14, v14, v11
	v_mul_f32_e32 v14, 0x3fb8aa3b, v14
	v_exp_f32_e32 v14, v14
	ds_write_b32 v12, v14
	v_add_f32_e32 v5, v5, v14
	v_add_nc_u32_e32 v12, 0x200, v12
	s_andn2_b32 exec_lo, exec_lo, s15
	s_cbranch_execnz .LBB122_18
; %bb.19:
	s_or_b32 exec_lo, exec_lo, s15
.LBB122_20:
	s_or_b32 exec_lo, exec_lo, s5
	ds_bpermute_b32 v1, v1, v5
	s_waitcnt lgkmcnt(0)
	v_add_f32_e32 v1, v5, v1
	ds_bpermute_b32 v2, v2, v1
	s_waitcnt lgkmcnt(0)
	v_add_f32_e32 v1, v1, v2
	;; [unrolled: 3-line block ×5, first 2 shown]
	s_and_saveexec_b32 s3, vcc_lo
; %bb.21:
	ds_write_b32 v7, v1 offset:256
; %bb.22:
	s_or_b32 exec_lo, exec_lo, s3
	s_waitcnt lgkmcnt(0)
	s_barrier
	buffer_gl0_inv
	s_and_saveexec_b32 s3, s1
; %bb.23:
	ds_read_b32 v1, v8 offset:256
; %bb.24:
	s_or_b32 exec_lo, exec_lo, s3
	s_waitcnt lgkmcnt(0)
	ds_bpermute_b32 v2, v10, v1
	v_lshlrev_b32_e32 v4, 2, v4
	s_waitcnt lgkmcnt(0)
	v_add_f32_e32 v1, v1, v2
	ds_bpermute_b32 v2, v6, v1
	s_waitcnt lgkmcnt(0)
	v_add_f32_e32 v1, v1, v2
	v_and_b32_e32 v2, 0xffffff80, v4
	ds_bpermute_b32 v1, v2, v1
	s_and_saveexec_b32 s1, s2
	s_cbranch_execz .LBB122_27
; %bb.25:
	s_waitcnt lgkmcnt(0)
	v_add_f32_e32 v2, 0x358637bd, v1
	s_mov_b32 s2, 0
	v_div_scale_f32 v1, null, v2, v2, 1.0
	v_div_scale_f32 v6, vcc_lo, 1.0, v2, 1.0
	v_rcp_f32_e32 v4, v1
	v_fma_f32 v5, -v1, v4, 1.0
	v_fmac_f32_e32 v4, v5, v4
	v_mul_f32_e32 v5, v6, v4
	v_fma_f32 v7, -v1, v5, v6
	v_fmac_f32_e32 v5, v7, v4
	v_fma_f32 v1, -v1, v5, v6
	v_div_fmas_f32 v4, v1, v4, v5
	v_mov_b32_e32 v1, v25
	v_div_fixup_f32 v2, v4, v2, 1.0
	v_mov_b32_e32 v4, v0
.LBB122_26:                             ; =>This Inner Loop Header: Depth=1
	ds_read_b32 v5, v1
	v_add_nc_u32_e32 v4, 0x80, v4
	v_cmp_le_i32_e32 vcc_lo, s4, v4
	s_or_b32 s2, vcc_lo, s2
	s_waitcnt lgkmcnt(0)
	v_mul_f32_e32 v5, v2, v5
	ds_write_b32 v1, v5
	v_add_nc_u32_e32 v1, 0x200, v1
	s_andn2_b32 exec_lo, exec_lo, s2
	s_cbranch_execnz .LBB122_26
.LBB122_27:
	s_or_b32 exec_lo, exec_lo, s1
	v_mov_b32_e32 v29, 0
	v_mov_b32_e32 v28, 0
	;; [unrolled: 1-line block ×4, first 2 shown]
	s_waitcnt lgkmcnt(0)
	s_barrier
	buffer_gl0_inv
	s_and_saveexec_b32 s4, s0
	s_cbranch_execz .LBB122_41
; %bb.28:
	s_ashr_i32 s15, s14, 31
	v_or_b32_e32 v1, 0x60, v24
	s_lshl_b64 s[0:1], s[14:15], 1
	v_and_b32_e32 v3, 0x7c, v3
	s_add_u32 s5, s22, s0
	s_addc_u32 s14, s23, s1
	s_lshl_b64 s[2:3], s[20:21], 2
	s_add_i32 s15, s12, -1
	v_lshlrev_b32_e32 v2, 3, v24
	v_cmp_gt_u32_e64 s0, 0x78, v1
	v_lshlrev_b32_e32 v1, 3, v1
	s_add_u32 s1, s18, s2
	s_addc_u32 s2, s19, s3
	v_add_co_u32 v21, s1, s1, v3
	v_mov_b32_e32 v30, 0
	v_lshlrev_b32_e32 v31, 3, v23
	v_lshl_add_u32 v32, v23, 5, 0x110
	v_add_co_ci_u32_e64 v22, null, s2, 0, s1
	v_lshlrev_b32_e32 v33, 1, v2
	v_lshlrev_b32_e32 v34, 1, v1
	v_mov_b32_e32 v26, 0
	v_mov_b32_e32 v27, 0
	;; [unrolled: 1-line block ×5, first 2 shown]
	s_mov_b32 s19, s11
	s_mov_b32 s18, 0
	s_branch .LBB122_31
.LBB122_29:                             ;   in Loop: Header=BB122_31 Depth=1
	s_or_b32 exec_lo, exec_lo, s20
	s_waitcnt vmcnt(0)
	v_and_b32_e32 v36, 0xffff0000, v13
	v_and_b32_e32 v37, 0xffff0000, v20
	v_lshlrev_b32_e32 v13, 16, v13
	v_lshlrev_b32_e32 v38, 16, v20
	v_and_b32_e32 v39, 0xffff0000, v14
	v_lshlrev_b32_e32 v14, 16, v14
	v_mul_f32_e32 v36, v37, v36
	v_and_b32_e32 v37, 0xffff0000, v19
	v_lshlrev_b32_e32 v40, 16, v19
	v_mul_f32_e32 v13, v38, v13
	v_lshlrev_b32_e32 v44, 16, v17
	v_bfe_u32 v38, v36, 16, 1
	v_mul_f32_e32 v37, v37, v39
	v_mul_f32_e32 v14, v40, v14
	v_bfe_u32 v39, v13, 16, 1
	v_or_b32_e32 v40, 0x400000, v36
	v_add3_u32 v38, v38, v36, 0x7fff
	v_cmp_u_f32_e32 vcc_lo, v36, v36
	v_or_b32_e32 v41, 0x400000, v13
	v_bfe_u32 v42, v37, 16, 1
	v_add3_u32 v39, v39, v13, 0x7fff
	v_and_b32_e32 v43, 0xffff0000, v17
	v_cndmask_b32_e32 v36, v38, v40, vcc_lo
	v_and_b32_e32 v38, 0xffff0000, v15
	v_and_b32_e32 v40, 0xffff0000, v18
	v_cmp_u_f32_e32 vcc_lo, v13, v13
	v_lshlrev_b32_e32 v15, 16, v15
	v_and_b32_e32 v36, 0xffff0000, v36
	v_mul_f32_e32 v38, v40, v38
	v_cndmask_b32_e32 v13, v39, v41, vcc_lo
	v_add3_u32 v39, v42, v37, 0x7fff
	v_or_b32_e32 v41, 0x400000, v37
	v_bfe_u32 v42, v14, 16, 1
	v_lshlrev_b32_e32 v40, 16, v18
	v_cmp_u_f32_e32 vcc_lo, v37, v37
	v_and_b32_e32 v13, 0xffff0000, v13
	v_mul_f32_e32 v15, v40, v15
	v_cndmask_b32_e32 v37, v39, v41, vcc_lo
	v_add3_u32 v39, v42, v14, 0x7fff
	v_or_b32_e32 v41, 0x400000, v14
	v_bfe_u32 v42, v38, 16, 1
	v_and_b32_e32 v40, 0xffff0000, v16
	v_lshlrev_b32_e32 v16, 16, v16
	v_cmp_u_f32_e32 vcc_lo, v14, v14
	v_and_b32_e32 v37, 0xffff0000, v37
	v_add_f32_e32 v13, v13, v36
	v_mul_f32_e32 v40, v43, v40
	v_mul_f32_e32 v16, v44, v16
	v_cndmask_b32_e32 v14, v39, v41, vcc_lo
	v_bfe_u32 v39, v15, 16, 1
	v_add3_u32 v41, v42, v38, 0x7fff
	v_or_b32_e32 v42, 0x400000, v38
	v_cmp_u_f32_e32 vcc_lo, v38, v38
	v_or_b32_e32 v43, 0x400000, v15
	v_add3_u32 v39, v39, v15, 0x7fff
	v_bfe_u32 v45, v16, 16, 1
	v_bfe_u32 v44, v40, 16, 1
	v_cndmask_b32_e32 v38, v41, v42, vcc_lo
	v_cmp_u_f32_e32 vcc_lo, v15, v15
	v_or_b32_e32 v42, 0x400000, v16
	v_add3_u32 v41, v45, v16, 0x7fff
	v_and_b32_e32 v14, 0xffff0000, v14
	v_and_b32_e32 v36, 0xffff0000, v38
	v_cndmask_b32_e32 v15, v39, v43, vcc_lo
	v_cmp_u_f32_e32 vcc_lo, v16, v16
	v_add3_u32 v39, v44, v40, 0x7fff
	v_or_b32_e32 v43, 0x400000, v40
	v_add_f32_e32 v14, v14, v37
	v_and_b32_e32 v15, 0xffff0000, v15
	v_cndmask_b32_e32 v16, v41, v42, vcc_lo
	v_cmp_u_f32_e32 vcc_lo, v40, v40
	v_add_f32_e32 v13, v14, v13
	v_add_f32_e32 v14, v15, v36
	v_and_b32_e32 v15, 0xffff0000, v16
	v_cndmask_b32_e32 v37, v39, v43, vcc_lo
	v_add_f32_e32 v13, v14, v13
	v_and_b32_e32 v16, 0xffff0000, v37
	v_add_f32_e32 v14, v15, v16
	v_add_f32_e32 v13, v14, v13
	v_add_f32_e32 v26, v26, v13
.LBB122_30:                             ;   in Loop: Header=BB122_31 Depth=1
	s_or_b32 exec_lo, exec_lo, s3
	s_waitcnt vmcnt(0)
	v_and_b32_e32 v13, 0xffff0000, v9
	v_and_b32_e32 v14, 0xffff0000, v20
	v_lshlrev_b32_e32 v9, 16, v9
	v_lshlrev_b32_e32 v15, 16, v20
	v_and_b32_e32 v16, 0xffff0000, v10
	v_and_b32_e32 v20, 0xffff0000, v19
	v_mul_f32_e32 v13, v14, v13
	v_lshlrev_b32_e32 v10, 16, v10
	v_mul_f32_e32 v9, v15, v9
	v_lshlrev_b32_e32 v19, 16, v19
	v_mul_f32_e32 v16, v20, v16
	v_bfe_u32 v36, v13, 16, 1
	v_or_b32_e32 v40, 0x400000, v13
	v_bfe_u32 v39, v9, 16, 1
	v_cmp_u_f32_e32 vcc_lo, v13, v13
	v_and_b32_e32 v37, 0xffff0000, v11
	v_add3_u32 v36, v36, v13, 0x7fff
	v_and_b32_e32 v38, 0xffff0000, v18
	v_or_b32_e32 v41, 0x400000, v9
	v_add3_u32 v39, v39, v9, 0x7fff
	v_mul_f32_e32 v10, v19, v10
	v_cndmask_b32_e32 v13, v36, v40, vcc_lo
	v_bfe_u32 v36, v16, 16, 1
	v_cmp_u_f32_e32 vcc_lo, v9, v9
	v_mul_f32_e32 v37, v38, v37
	v_bfe_u32 v40, v10, 16, 1
	v_lshlrev_b32_e32 v11, 16, v11
	v_add3_u32 v36, v36, v16, 0x7fff
	v_cndmask_b32_e32 v9, v39, v41, vcc_lo
	v_or_b32_e32 v39, 0x400000, v16
	v_lshlrev_b32_e32 v18, 16, v18
	v_cmp_u_f32_e32 vcc_lo, v16, v16
	v_bfe_u32 v41, v37, 16, 1
	v_and_b32_e32 v42, 0xffff0000, v17
	v_or_b32_e32 v43, 0x400000, v37
	v_mul_f32_e32 v11, v18, v11
	v_cndmask_b32_e32 v16, v36, v39, vcc_lo
	v_add3_u32 v36, v40, v10, 0x7fff
	v_or_b32_e32 v39, 0x400000, v10
	v_cmp_u_f32_e32 vcc_lo, v10, v10
	v_add3_u32 v40, v41, v37, 0x7fff
	v_and_b32_e32 v41, 0xffff0000, v12
	v_bfe_u32 v44, v11, 16, 1
	v_lshlrev_b32_e32 v12, 16, v12
	v_cndmask_b32_e32 v10, v36, v39, vcc_lo
	v_cmp_u_f32_e32 vcc_lo, v37, v37
	v_mul_f32_e32 v36, v42, v41
	v_add3_u32 v39, v44, v11, 0x7fff
	v_lshlrev_b32_e32 v17, 16, v17
	v_and_b32_e32 v9, 0xffff0000, v9
	v_cndmask_b32_e32 v37, v40, v43, vcc_lo
	v_or_b32_e32 v40, 0x400000, v11
	v_cmp_u_f32_e32 vcc_lo, v11, v11
	v_bfe_u32 v41, v36, 16, 1
	v_and_b32_e32 v13, 0xffff0000, v13
	v_and_b32_e32 v10, 0xffff0000, v10
	;; [unrolled: 1-line block ×3, first 2 shown]
	v_cndmask_b32_e32 v11, v39, v40, vcc_lo
	v_add3_u32 v39, v41, v36, 0x7fff
	v_or_b32_e32 v40, 0x400000, v36
	v_mul_f32_e32 v12, v17, v12
	v_cmp_u_f32_e32 vcc_lo, v36, v36
	v_add_f32_e32 v9, v9, v13
	v_add_f32_e32 v10, v10, v16
	v_and_b32_e32 v11, 0xffff0000, v11
	v_and_b32_e32 v13, 0xffff0000, v5
	;; [unrolled: 1-line block ×3, first 2 shown]
	v_cndmask_b32_e32 v36, v39, v40, vcc_lo
	v_bfe_u32 v39, v12, 16, 1
	v_add_f32_e32 v9, v10, v9
	v_mul_f32_e32 v10, v14, v13
	v_add_f32_e32 v11, v11, v16
	v_lshlrev_b32_e32 v5, 16, v5
	v_add3_u32 v37, v39, v12, 0x7fff
	v_or_b32_e32 v39, 0x400000, v12
	v_cmp_u_f32_e32 vcc_lo, v12, v12
	v_bfe_u32 v13, v10, 16, 1
	v_add_f32_e32 v9, v11, v9
	v_and_b32_e32 v11, 0xffff0000, v6
	v_mul_f32_e32 v5, v15, v5
	v_cndmask_b32_e32 v12, v37, v39, vcc_lo
	v_add3_u32 v13, v13, v10, 0x7fff
	v_or_b32_e32 v16, 0x400000, v10
	v_mul_f32_e32 v11, v20, v11
	v_bfe_u32 v37, v5, 16, 1
	v_cmp_u_f32_e32 vcc_lo, v10, v10
	v_lshlrev_b32_e32 v6, 16, v6
	v_or_b32_e32 v39, 0x400000, v5
	v_or_b32_e32 v40, 0x400000, v11
	v_and_b32_e32 v12, 0xffff0000, v12
	v_cndmask_b32_e32 v10, v13, v16, vcc_lo
	v_bfe_u32 v13, v11, 16, 1
	v_add3_u32 v16, v37, v5, 0x7fff
	v_and_b32_e32 v37, 0xffff0000, v7
	v_mul_f32_e32 v6, v19, v6
	v_cmp_u_f32_e32 vcc_lo, v5, v5
	v_add3_u32 v13, v13, v11, 0x7fff
	v_lshlrev_b32_e32 v7, 16, v7
	v_mul_f32_e32 v37, v38, v37
	v_and_b32_e32 v10, 0xffff0000, v10
	v_cndmask_b32_e32 v5, v16, v39, vcc_lo
	v_bfe_u32 v16, v6, 16, 1
	v_cmp_u_f32_e32 vcc_lo, v11, v11
	v_and_b32_e32 v39, 0xffff0000, v8
	v_mul_f32_e32 v7, v18, v7
	v_or_b32_e32 v41, 0x400000, v37
	v_add3_u32 v16, v16, v6, 0x7fff
	v_cndmask_b32_e32 v11, v13, v40, vcc_lo
	v_bfe_u32 v13, v37, 16, 1
	v_or_b32_e32 v40, 0x400000, v6
	v_cmp_u_f32_e32 vcc_lo, v6, v6
	v_mul_f32_e32 v39, v42, v39
	v_lshlrev_b32_e32 v8, 16, v8
	v_add3_u32 v13, v13, v37, 0x7fff
	v_and_b32_e32 v5, 0xffff0000, v5
	v_cndmask_b32_e32 v6, v16, v40, vcc_lo
	v_bfe_u32 v16, v7, 16, 1
	v_cmp_u_f32_e32 vcc_lo, v37, v37
	v_bfe_u32 v40, v39, 16, 1
	v_or_b32_e32 v37, 0x400000, v7
	v_mul_f32_e32 v8, v17, v8
	v_add3_u32 v16, v16, v7, 0x7fff
	v_cndmask_b32_e32 v13, v13, v41, vcc_lo
	v_cmp_u_f32_e32 vcc_lo, v7, v7
	v_add3_u32 v40, v40, v39, 0x7fff
	v_or_b32_e32 v41, 0x400000, v39
	v_and_b32_e32 v6, 0xffff0000, v6
	v_and_b32_e32 v11, 0xffff0000, v11
	v_cndmask_b32_e32 v7, v16, v37, vcc_lo
	v_cmp_u_f32_e32 vcc_lo, v39, v39
	v_bfe_u32 v37, v8, 16, 1
	v_add_f32_e32 v5, v5, v10
	v_add_f32_e32 v6, v6, v11
	v_and_b32_e32 v7, 0xffff0000, v7
	v_cndmask_b32_e32 v16, v40, v41, vcc_lo
	v_and_b32_e32 v40, 0xffff0000, v1
	v_and_b32_e32 v10, 0xffff0000, v13
	v_lshlrev_b32_e32 v1, 16, v1
	v_add3_u32 v37, v37, v8, 0x7fff
	v_or_b32_e32 v39, 0x400000, v8
	v_mul_f32_e32 v11, v14, v40
	v_cmp_u_f32_e32 vcc_lo, v8, v8
	v_add_f32_e32 v5, v6, v5
	v_add_f32_e32 v7, v7, v10
	v_mul_f32_e32 v1, v15, v1
	v_bfe_u32 v6, v11, 16, 1
	v_and_b32_e32 v10, 0xffff0000, v2
	v_cndmask_b32_e32 v8, v37, v39, vcc_lo
	v_or_b32_e32 v13, 0x400000, v11
	v_bfe_u32 v14, v1, 16, 1
	v_add3_u32 v6, v6, v11, 0x7fff
	v_mul_f32_e32 v10, v20, v10
	v_lshlrev_b32_e32 v2, 16, v2
	v_cmp_u_f32_e32 vcc_lo, v11, v11
	v_add3_u32 v11, v14, v1, 0x7fff
	v_and_b32_e32 v15, 0xffff0000, v3
	v_bfe_u32 v14, v10, 16, 1
	v_mul_f32_e32 v2, v19, v2
	v_cndmask_b32_e32 v6, v6, v13, vcc_lo
	v_or_b32_e32 v13, 0x400000, v1
	v_cmp_u_f32_e32 vcc_lo, v1, v1
	v_mul_f32_e32 v15, v38, v15
	v_lshlrev_b32_e32 v3, 16, v3
	v_and_b32_e32 v6, 0xffff0000, v6
	v_and_b32_e32 v36, 0xffff0000, v36
	v_cndmask_b32_e32 v1, v11, v13, vcc_lo
	v_add3_u32 v11, v14, v10, 0x7fff
	v_or_b32_e32 v13, 0x400000, v10
	v_bfe_u32 v14, v2, 16, 1
	v_cmp_u_f32_e32 vcc_lo, v10, v10
	v_mul_f32_e32 v3, v18, v3
	v_and_b32_e32 v18, 0xffff0000, v4
	v_lshlrev_b32_e32 v4, 16, v4
	v_and_b32_e32 v1, 0xffff0000, v1
	v_cndmask_b32_e32 v10, v11, v13, vcc_lo
	v_add3_u32 v11, v14, v2, 0x7fff
	v_or_b32_e32 v13, 0x400000, v2
	v_bfe_u32 v14, v15, 16, 1
	v_cmp_u_f32_e32 vcc_lo, v2, v2
	v_mul_f32_e32 v4, v17, v4
	v_or_b32_e32 v17, 0x400000, v15
	v_and_b32_e32 v10, 0xffff0000, v10
	v_add_f32_e32 v1, v1, v6
	v_cndmask_b32_e32 v2, v11, v13, vcc_lo
	v_bfe_u32 v11, v3, 16, 1
	v_add3_u32 v13, v14, v15, 0x7fff
	v_cmp_u_f32_e32 vcc_lo, v15, v15
	v_mul_f32_e32 v14, v42, v18
	v_or_b32_e32 v18, 0x400000, v3
	v_add3_u32 v11, v11, v3, 0x7fff
	v_bfe_u32 v20, v4, 16, 1
	v_cndmask_b32_e32 v13, v13, v17, vcc_lo
	v_cmp_u_f32_e32 vcc_lo, v3, v3
	v_bfe_u32 v19, v14, 16, 1
	v_or_b32_e32 v17, 0x400000, v4
	v_add3_u32 v15, v20, v4, 0x7fff
	v_and_b32_e32 v2, 0xffff0000, v2
	v_cndmask_b32_e32 v3, v11, v18, vcc_lo
	v_cmp_u_f32_e32 vcc_lo, v4, v4
	v_add3_u32 v11, v19, v14, 0x7fff
	v_or_b32_e32 v18, 0x400000, v14
	v_add_f32_e32 v2, v2, v10
	v_and_b32_e32 v3, 0xffff0000, v3
	v_cndmask_b32_e32 v4, v15, v17, vcc_lo
	v_cmp_u_f32_e32 vcc_lo, v14, v14
	v_and_b32_e32 v6, 0xffff0000, v13
	v_and_b32_e32 v8, 0xffff0000, v8
	v_add_f32_e32 v1, v2, v1
	v_add_f32_e32 v5, v7, v5
	v_cndmask_b32_e32 v10, v11, v18, vcc_lo
	v_and_b32_e32 v11, 0xffff0000, v16
	v_add_f32_e32 v2, v3, v6
	v_and_b32_e32 v3, 0xffff0000, v4
	v_add_f32_e32 v6, v12, v36
	;; [unrolled: 2-line block ×3, first 2 shown]
	v_add_f32_e32 v1, v2, v1
	v_add_nc_u32_e32 v35, 4, v35
	v_add_co_u32 v21, s1, v21, 16
	v_add_f32_e32 v2, v3, v4
	v_add_f32_e32 v3, v6, v9
	;; [unrolled: 1-line block ×3, first 2 shown]
	v_cmp_le_i32_e32 vcc_lo, s12, v35
	v_add_nc_u32_e32 v31, 32, v31
	v_add_f32_e32 v1, v2, v1
	v_add_f32_e32 v27, v27, v3
	;; [unrolled: 1-line block ×3, first 2 shown]
	v_add_nc_u32_e32 v32, 0x80, v32
	v_add_co_ci_u32_e64 v22, null, 0, v22, s1
	v_add_f32_e32 v29, v29, v1
	s_or_b32 s18, vcc_lo, s18
	s_andn2_b32 exec_lo, exec_lo, s18
	s_cbranch_execz .LBB122_40
.LBB122_31:                             ; =>This Inner Loop Header: Depth=1
	global_load_dword v1, v[21:22], off
	v_cmp_eq_u32_e64 s1, s15, v35
	s_waitcnt vmcnt(0)
	v_mad_i64_i32 v[1:2], null, v1, s13, 0
	v_lshlrev_b64 v[1:2], 1, v[1:2]
	v_add_co_u32 v36, vcc_lo, s5, v1
	v_add_co_ci_u32_e64 v37, null, s14, v2, vcc_lo
	v_add_co_u32 v9, vcc_lo, v36, v33
	v_add_co_ci_u32_e64 v10, null, 0, v37, vcc_lo
	global_load_dwordx4 v[1:4], v[9:10], off
	ds_read2_b64 v[17:20], v32 offset1:1
	ds_read2_b64 v[13:16], v32 offset0:2 offset1:3
	s_and_saveexec_b32 s20, s1
	s_cbranch_execnz .LBB122_38
; %bb.32:                               ;   in Loop: Header=BB122_31 Depth=1
	s_or_b32 exec_lo, exec_lo, s20
	global_load_dwordx4 v[5:8], v[9:10], off offset:512
	s_and_saveexec_b32 s20, s1
	s_cbranch_execnz .LBB122_39
.LBB122_33:                             ;   in Loop: Header=BB122_31 Depth=1
	s_or_b32 exec_lo, exec_lo, s20
	global_load_dwordx4 v[9:12], v[9:10], off offset:1024
	s_and_saveexec_b32 s20, s1
	s_cbranch_execz .LBB122_35
.LBB122_34:                             ;   in Loop: Header=BB122_31 Depth=1
	v_add_nc_u32_e32 v38, 1, v31
	v_or_b32_e32 v39, 3, v31
	v_cmp_gt_i32_e32 vcc_lo, s11, v31
	v_or_b32_e32 v40, 2, v31
	v_or_b32_e32 v42, 7, v31
	v_cmp_gt_i32_e64 s2, s19, v39
	s_waitcnt vmcnt(0)
	v_cndmask_b32_e32 v41, 0, v9, vcc_lo
	v_cmp_gt_i32_e32 vcc_lo, s19, v38
	v_cmp_gt_i32_e64 s3, s11, v40
	v_or_b32_e32 v39, 5, v31
	v_or_b32_e32 v40, 4, v31
	v_cndmask_b32_sdwa v9, v30, v9, vcc_lo dst_sel:DWORD dst_unused:UNUSED_PAD src0_sel:DWORD src1_sel:WORD_1
	s_mov_b32 vcc_lo, s2
	v_cndmask_b32_e64 v38, 0, v10, s3
	v_cndmask_b32_sdwa v10, v30, v10, vcc_lo dst_sel:DWORD dst_unused:UNUSED_PAD src0_sel:DWORD src1_sel:WORD_1
	v_cmp_gt_i32_e32 vcc_lo, s19, v39
	v_cmp_gt_i32_e64 s2, s11, v40
	v_or_b32_e32 v40, 6, v31
	v_perm_b32 v9, v9, v41, 0x5040100
	v_perm_b32 v10, v10, v38, 0x5040100
	v_cndmask_b32_e64 v39, 0, v11, s2
	v_cmp_gt_i32_e64 s2, s19, v42
	v_cndmask_b32_sdwa v11, v30, v11, vcc_lo dst_sel:DWORD dst_unused:UNUSED_PAD src0_sel:DWORD src1_sel:WORD_1
	v_cmp_gt_i32_e32 vcc_lo, s11, v40
	v_perm_b32 v11, v11, v39, 0x5040100
	v_cndmask_b32_e32 v40, 0, v12, vcc_lo
	s_mov_b32 vcc_lo, s2
	v_cndmask_b32_sdwa v12, v30, v12, vcc_lo dst_sel:DWORD dst_unused:UNUSED_PAD src0_sel:DWORD src1_sel:WORD_1
	v_perm_b32 v12, v12, v40, 0x5040100
.LBB122_35:                             ;   in Loop: Header=BB122_31 Depth=1
	s_or_b32 exec_lo, exec_lo, s20
	s_waitcnt lgkmcnt(1)
	v_bfe_u32 v38, v17, 16, 1
	v_bfe_u32 v39, v18, 16, 1
	v_or_b32_e32 v40, 0x400000, v17
	v_cmp_u_f32_e32 vcc_lo, v17, v17
	v_or_b32_e32 v41, 0x400000, v18
	v_add3_u32 v38, v38, v17, 0x7fff
	v_bfe_u32 v42, v19, 16, 1
	v_add3_u32 v39, v39, v18, 0x7fff
	v_bfe_u32 v43, v20, 16, 1
	v_cndmask_b32_e32 v17, v38, v40, vcc_lo
	v_cmp_u_f32_e32 vcc_lo, v18, v18
	v_add3_u32 v38, v42, v19, 0x7fff
	s_waitcnt lgkmcnt(0)
	v_bfe_u32 v40, v13, 16, 1
	v_or_b32_e32 v42, 0x400000, v20
	v_cndmask_b32_e32 v18, v39, v41, vcc_lo
	v_or_b32_e32 v39, 0x400000, v19
	v_cmp_u_f32_e32 vcc_lo, v19, v19
	v_add3_u32 v41, v43, v20, 0x7fff
	v_or_b32_e32 v43, 0x400000, v16
	v_cndmask_b32_e32 v19, v38, v39, vcc_lo
	v_cmp_u_f32_e32 vcc_lo, v20, v20
	v_add3_u32 v38, v40, v13, 0x7fff
	v_or_b32_e32 v39, 0x400000, v13
	v_bfe_u32 v20, v14, 16, 1
	v_cndmask_b32_e32 v40, v41, v42, vcc_lo
	v_cmp_u_f32_e32 vcc_lo, v13, v13
	v_bfe_u32 v41, v15, 16, 1
	v_add3_u32 v20, v20, v14, 0x7fff
	v_or_b32_e32 v42, 0x400000, v15
	v_perm_b32 v19, v40, v19, 0x7060302
	v_cndmask_b32_e32 v13, v38, v39, vcc_lo
	v_or_b32_e32 v39, 0x400000, v14
	v_cmp_u_f32_e32 vcc_lo, v14, v14
	v_bfe_u32 v38, v16, 16, 1
	v_add3_u32 v41, v41, v15, 0x7fff
	v_cndmask_b32_e32 v14, v20, v39, vcc_lo
	v_cmp_u_f32_e32 vcc_lo, v15, v15
	v_add3_u32 v38, v38, v16, 0x7fff
	v_perm_b32 v20, v18, v17, 0x7060302
	v_perm_b32 v18, v14, v13, 0x7060302
	v_cndmask_b32_e32 v15, v41, v42, vcc_lo
	v_cmp_u_f32_e32 vcc_lo, v16, v16
	v_cndmask_b32_e32 v16, v38, v43, vcc_lo
	v_perm_b32 v17, v16, v15, 0x7060302
	s_and_saveexec_b32 s3, s0
	s_cbranch_execz .LBB122_30
; %bb.36:                               ;   in Loop: Header=BB122_31 Depth=1
	v_add_co_u32 v13, vcc_lo, v36, v34
	v_add_co_ci_u32_e64 v14, null, 0, v37, vcc_lo
	global_load_dwordx4 v[13:16], v[13:14], off
	s_and_saveexec_b32 s20, s1
	s_cbranch_execz .LBB122_29
; %bb.37:                               ;   in Loop: Header=BB122_31 Depth=1
	v_add_nc_u32_e32 v36, 1, v31
	v_or_b32_e32 v37, 3, v31
	v_cmp_gt_i32_e32 vcc_lo, s11, v31
	v_or_b32_e32 v38, 2, v31
	v_or_b32_e32 v40, 7, v31
	v_cmp_gt_i32_e64 s1, s19, v37
	s_waitcnt vmcnt(0)
	v_cndmask_b32_e32 v39, 0, v13, vcc_lo
	v_cmp_gt_i32_e32 vcc_lo, s19, v36
	v_cmp_gt_i32_e64 s2, s11, v38
	v_or_b32_e32 v37, 5, v31
	v_or_b32_e32 v38, 4, v31
	v_cndmask_b32_sdwa v13, v30, v13, vcc_lo dst_sel:DWORD dst_unused:UNUSED_PAD src0_sel:DWORD src1_sel:WORD_1
	s_mov_b32 vcc_lo, s1
	v_cndmask_b32_e64 v36, 0, v14, s2
	v_cndmask_b32_sdwa v14, v30, v14, vcc_lo dst_sel:DWORD dst_unused:UNUSED_PAD src0_sel:DWORD src1_sel:WORD_1
	v_cmp_gt_i32_e32 vcc_lo, s19, v37
	v_cmp_gt_i32_e64 s1, s11, v38
	v_or_b32_e32 v38, 6, v31
	v_perm_b32 v13, v13, v39, 0x5040100
	v_perm_b32 v14, v14, v36, 0x5040100
	v_cndmask_b32_e64 v37, 0, v15, s1
	v_cmp_gt_i32_e64 s1, s19, v40
	v_cndmask_b32_sdwa v15, v30, v15, vcc_lo dst_sel:DWORD dst_unused:UNUSED_PAD src0_sel:DWORD src1_sel:WORD_1
	v_cmp_gt_i32_e32 vcc_lo, s11, v38
	v_perm_b32 v15, v15, v37, 0x5040100
	v_cndmask_b32_e32 v38, 0, v16, vcc_lo
	s_mov_b32 vcc_lo, s1
	v_cndmask_b32_sdwa v16, v30, v16, vcc_lo dst_sel:DWORD dst_unused:UNUSED_PAD src0_sel:DWORD src1_sel:WORD_1
	v_perm_b32 v16, v16, v38, 0x5040100
	s_branch .LBB122_29
.LBB122_38:                             ;   in Loop: Header=BB122_31 Depth=1
	v_add_nc_u32_e32 v5, 1, v31
	v_or_b32_e32 v6, 3, v31
	v_cmp_gt_i32_e32 vcc_lo, s11, v31
	v_or_b32_e32 v7, 2, v31
	v_or_b32_e32 v11, 7, v31
	v_cmp_gt_i32_e64 s2, s19, v6
	s_waitcnt vmcnt(0)
	v_cndmask_b32_e32 v8, 0, v1, vcc_lo
	v_cmp_gt_i32_e32 vcc_lo, s19, v5
	v_cmp_gt_i32_e64 s3, s11, v7
	v_or_b32_e32 v6, 5, v31
	v_or_b32_e32 v7, 4, v31
	v_cndmask_b32_sdwa v1, v30, v1, vcc_lo dst_sel:DWORD dst_unused:UNUSED_PAD src0_sel:DWORD src1_sel:WORD_1
	s_mov_b32 vcc_lo, s2
	v_cndmask_b32_e64 v5, 0, v2, s3
	v_cndmask_b32_sdwa v2, v30, v2, vcc_lo dst_sel:DWORD dst_unused:UNUSED_PAD src0_sel:DWORD src1_sel:WORD_1
	v_cmp_gt_i32_e32 vcc_lo, s19, v6
	v_cmp_gt_i32_e64 s2, s11, v7
	v_or_b32_e32 v7, 6, v31
	v_perm_b32 v1, v1, v8, 0x5040100
	v_perm_b32 v2, v2, v5, 0x5040100
	v_cndmask_b32_e64 v6, 0, v3, s2
	v_cmp_gt_i32_e64 s2, s19, v11
	v_cndmask_b32_sdwa v3, v30, v3, vcc_lo dst_sel:DWORD dst_unused:UNUSED_PAD src0_sel:DWORD src1_sel:WORD_1
	v_cmp_gt_i32_e32 vcc_lo, s11, v7
	v_perm_b32 v3, v3, v6, 0x5040100
	v_cndmask_b32_e32 v7, 0, v4, vcc_lo
	s_mov_b32 vcc_lo, s2
	v_cndmask_b32_sdwa v4, v30, v4, vcc_lo dst_sel:DWORD dst_unused:UNUSED_PAD src0_sel:DWORD src1_sel:WORD_1
	v_perm_b32 v4, v4, v7, 0x5040100
	s_or_b32 exec_lo, exec_lo, s20
	global_load_dwordx4 v[5:8], v[9:10], off offset:512
	s_and_saveexec_b32 s20, s1
	s_cbranch_execz .LBB122_33
.LBB122_39:                             ;   in Loop: Header=BB122_31 Depth=1
	v_add_nc_u32_e32 v11, 1, v31
	v_or_b32_e32 v12, 3, v31
	v_cmp_gt_i32_e32 vcc_lo, s11, v31
	v_or_b32_e32 v38, 2, v31
	v_or_b32_e32 v40, 7, v31
	v_cmp_gt_i32_e64 s2, s19, v12
	s_waitcnt vmcnt(0)
	v_cndmask_b32_e32 v39, 0, v5, vcc_lo
	v_cmp_gt_i32_e32 vcc_lo, s19, v11
	v_cmp_gt_i32_e64 s3, s11, v38
	v_or_b32_e32 v12, 5, v31
	v_or_b32_e32 v38, 4, v31
	v_cndmask_b32_sdwa v5, v30, v5, vcc_lo dst_sel:DWORD dst_unused:UNUSED_PAD src0_sel:DWORD src1_sel:WORD_1
	s_mov_b32 vcc_lo, s2
	v_cndmask_b32_e64 v11, 0, v6, s3
	v_cndmask_b32_sdwa v6, v30, v6, vcc_lo dst_sel:DWORD dst_unused:UNUSED_PAD src0_sel:DWORD src1_sel:WORD_1
	v_cmp_gt_i32_e32 vcc_lo, s19, v12
	v_cmp_gt_i32_e64 s2, s11, v38
	v_or_b32_e32 v38, 6, v31
	v_perm_b32 v5, v5, v39, 0x5040100
	v_perm_b32 v6, v6, v11, 0x5040100
	v_cndmask_b32_e64 v12, 0, v7, s2
	v_cmp_gt_i32_e64 s2, s19, v40
	v_cndmask_b32_sdwa v7, v30, v7, vcc_lo dst_sel:DWORD dst_unused:UNUSED_PAD src0_sel:DWORD src1_sel:WORD_1
	v_cmp_gt_i32_e32 vcc_lo, s11, v38
	v_perm_b32 v7, v7, v12, 0x5040100
	v_cndmask_b32_e32 v38, 0, v8, vcc_lo
	s_mov_b32 vcc_lo, s2
	v_cndmask_b32_sdwa v8, v30, v8, vcc_lo dst_sel:DWORD dst_unused:UNUSED_PAD src0_sel:DWORD src1_sel:WORD_1
	v_perm_b32 v8, v8, v38, 0x5040100
	s_or_b32 exec_lo, exec_lo, s20
	global_load_dwordx4 v[9:12], v[9:10], off offset:1024
	s_and_saveexec_b32 s20, s1
	s_cbranch_execnz .LBB122_34
	s_branch .LBB122_35
.LBB122_40:
	s_or_b32 exec_lo, exec_lo, s18
.LBB122_41:
	s_or_b32 exec_lo, exec_lo, s4
	s_movk_i32 s0, 0x1e0
	v_and_b32_e32 v1, 0x3c0, v0
	v_mad_u32_u24 v4, v23, s0, 0x110
	v_or_b32_e32 v3, 0x60, v0
	s_mov_b32 s0, exec_lo
	s_barrier
	buffer_gl0_inv
	v_cmpx_eq_u32_e32 64, v1
	s_cbranch_execz .LBB122_44
; %bb.42:
	v_add_nc_u32_e32 v1, 0xfffffc40, v4
	v_cmp_gt_u32_e32 vcc_lo, 0x78, v3
	v_lshl_add_u32 v2, v24, 2, v1
	ds_write2_b32 v2, v29, v28 offset1:32
	ds_write_b32 v2, v27 offset:256
	s_and_b32 exec_lo, exec_lo, vcc_lo
; %bb.43:
	v_lshl_add_u32 v1, v3, 2, v1
	ds_write_b32 v1, v26
.LBB122_44:
	s_or_b32 exec_lo, exec_lo, s0
	v_lshl_add_u32 v5, v24, 2, v4
	s_mov_b32 s0, exec_lo
	s_waitcnt lgkmcnt(0)
	s_barrier
	buffer_gl0_inv
	v_cmpx_gt_u32_e32 64, v0
	s_cbranch_execz .LBB122_48
; %bb.45:
	v_lshl_or_b32 v1, v0, 2, 0x80
	s_mov_b32 s1, exec_lo
	v_add_nc_u32_e32 v6, v4, v1
	ds_read2st64_b32 v[1:2], v5 offset1:1
	ds_read_b32 v6, v6
	v_cmpx_gt_u32_e32 0x78, v3
	s_cbranch_execz .LBB122_47
; %bb.46:
	v_lshl_add_u32 v7, v3, 2, v4
	ds_read_b32 v7, v7
	s_waitcnt lgkmcnt(0)
	v_add_f32_e32 v26, v26, v7
.LBB122_47:
	s_or_b32 exec_lo, exec_lo, s1
	s_waitcnt lgkmcnt(1)
	v_add_f32_e32 v29, v29, v1
	s_waitcnt lgkmcnt(0)
	v_add_f32_e32 v28, v28, v6
	v_add_f32_e32 v27, v27, v2
.LBB122_48:
	s_or_b32 exec_lo, exec_lo, s0
	v_and_b32_e32 v1, 0x3e0, v0
	s_mov_b32 s0, exec_lo
	s_barrier
	buffer_gl0_inv
	v_cmpx_eq_u32_e32 32, v1
	s_cbranch_execz .LBB122_51
; %bb.49:
	v_lshl_add_u32 v1, v24, 2, 0x110
	v_cmp_gt_u32_e32 vcc_lo, 0x78, v3
	ds_write_b32 v1, v29
	ds_write_b32 v25, v28
	ds_write_b32 v1, v27 offset:256
	s_and_b32 exec_lo, exec_lo, vcc_lo
; %bb.50:
	v_lshl_add_u32 v1, v3, 2, 0x110
	ds_write_b32 v1, v26
.LBB122_51:
	s_or_b32 exec_lo, exec_lo, s0
	v_cmp_gt_u32_e32 vcc_lo, 32, v0
	s_waitcnt lgkmcnt(0)
	s_barrier
	buffer_gl0_inv
	s_and_saveexec_b32 s1, vcc_lo
	s_cbranch_execz .LBB122_55
; %bb.52:
	v_lshl_add_u32 v6, v0, 2, v4
	s_mov_b32 s2, exec_lo
	ds_read_b32 v4, v5
	ds_read2_b32 v[1:2], v6 offset0:32 offset1:64
	v_cmpx_gt_u32_e32 0x78, v3
	s_cbranch_execz .LBB122_54
; %bb.53:
	ds_read_b32 v5, v6 offset:384
	s_waitcnt lgkmcnt(0)
	v_add_f32_e32 v26, v26, v5
.LBB122_54:
	s_or_b32 exec_lo, exec_lo, s2
	s_waitcnt lgkmcnt(1)
	v_add_f32_e32 v29, v29, v4
	s_waitcnt lgkmcnt(0)
	v_add_f32_e32 v28, v28, v1
	v_add_f32_e32 v27, v27, v2
.LBB122_55:
	s_or_b32 exec_lo, exec_lo, s1
	s_barrier
	buffer_gl0_inv
	s_and_saveexec_b32 s0, vcc_lo
	s_cbranch_execz .LBB122_58
; %bb.56:
	v_bfe_u32 v1, v29, 16, 1
	s_mul_i32 s0, s10, s7
	v_bfe_u32 v2, v28, 16, 1
	s_mul_i32 s0, s0, s9
	v_or_b32_e32 v5, 0x400000, v29
	v_add3_u32 v1, v1, v29, 0x7fff
	v_cmp_u_f32_e32 vcc_lo, v29, v29
	s_mulk_i32 s0, 0x78
	v_bfe_u32 v4, v27, 16, 1
	s_ashr_i32 s1, s0, 31
	v_add3_u32 v2, v2, v28, 0x7fff
	s_lshl_b64 s[0:1], s[0:1], 1
	v_or_b32_e32 v6, 0x400000, v28
	v_cndmask_b32_e32 v1, v1, v5, vcc_lo
	v_cmp_u_f32_e32 vcc_lo, v28, v28
	s_mul_i32 s2, s7, s6
	s_add_u32 s5, s16, s0
	s_addc_u32 s6, s17, s1
	s_ashr_i32 s3, s2, 31
	v_add3_u32 v4, v4, v27, 0x7fff
	s_lshl_b64 s[0:1], s[2:3], 1
	v_or_b32_e32 v7, 0x400000, v27
	v_cndmask_b32_e32 v2, v2, v6, vcc_lo
	v_cmp_u_f32_e32 vcc_lo, v27, v27
	s_mul_i32 s4, s8, 0x78
	s_add_u32 s2, s5, s0
	s_addc_u32 s3, s6, s1
	s_ashr_i32 s5, s4, 31
	v_lshlrev_b32_e32 v0, 1, v0
	s_lshl_b64 s[0:1], s[4:5], 1
	v_cndmask_b32_e32 v4, v4, v7, vcc_lo
	v_cmp_gt_u32_e32 vcc_lo, 0x78, v3
	s_add_u32 s0, s2, s0
	s_addc_u32 s1, s3, s1
	global_store_short_d16_hi v0, v1, s[0:1]
	global_store_short_d16_hi v0, v2, s[0:1] offset:64
	global_store_short_d16_hi v0, v4, s[0:1] offset:128
	s_and_b32 exec_lo, exec_lo, vcc_lo
	s_cbranch_execz .LBB122_58
; %bb.57:
	v_bfe_u32 v1, v26, 16, 1
	v_or_b32_e32 v2, 0x400000, v26
	v_cmp_u_f32_e32 vcc_lo, v26, v26
	v_add_co_u32 v0, s0, s0, v0
	v_add3_u32 v3, v1, v26, 0x7fff
	v_add_co_ci_u32_e64 v1, null, s1, 0, s0
	v_cndmask_b32_e32 v2, v3, v2, vcc_lo
	global_store_short_d16_hi v[0:1], v2, off offset:192
.LBB122_58:
	s_endpgm
	.section	.rodata,"a",@progbits
	.p2align	6, 0x0
	.amdhsa_kernel _ZN4vllm25paged_attention_v1_kernelI14__hip_bfloat16S1_Li120ELi8ELi128ELNS_18Fp8KVCacheDataTypeE0ELb0EEEvPT_PKS3_PKT0_S9_ifPKiSB_iPKfiiiSD_SD_iiiii
		.amdhsa_group_segment_fixed_size 272
		.amdhsa_private_segment_fixed_size 0
		.amdhsa_kernarg_size 384
		.amdhsa_user_sgpr_count 6
		.amdhsa_user_sgpr_private_segment_buffer 1
		.amdhsa_user_sgpr_dispatch_ptr 0
		.amdhsa_user_sgpr_queue_ptr 0
		.amdhsa_user_sgpr_kernarg_segment_ptr 1
		.amdhsa_user_sgpr_dispatch_id 0
		.amdhsa_user_sgpr_flat_scratch_init 0
		.amdhsa_user_sgpr_private_segment_size 0
		.amdhsa_wavefront_size32 1
		.amdhsa_uses_dynamic_stack 0
		.amdhsa_system_sgpr_private_segment_wavefront_offset 0
		.amdhsa_system_sgpr_workgroup_id_x 1
		.amdhsa_system_sgpr_workgroup_id_y 1
		.amdhsa_system_sgpr_workgroup_id_z 1
		.amdhsa_system_sgpr_workgroup_info 0
		.amdhsa_system_vgpr_workitem_id 0
		.amdhsa_next_free_vgpr 64
		.amdhsa_next_free_sgpr 27
		.amdhsa_reserve_vcc 1
		.amdhsa_reserve_flat_scratch 0
		.amdhsa_float_round_mode_32 0
		.amdhsa_float_round_mode_16_64 0
		.amdhsa_float_denorm_mode_32 3
		.amdhsa_float_denorm_mode_16_64 3
		.amdhsa_dx10_clamp 1
		.amdhsa_ieee_mode 1
		.amdhsa_fp16_overflow 0
		.amdhsa_workgroup_processor_mode 1
		.amdhsa_memory_ordered 1
		.amdhsa_forward_progress 1
		.amdhsa_shared_vgpr_count 0
		.amdhsa_exception_fp_ieee_invalid_op 0
		.amdhsa_exception_fp_denorm_src 0
		.amdhsa_exception_fp_ieee_div_zero 0
		.amdhsa_exception_fp_ieee_overflow 0
		.amdhsa_exception_fp_ieee_underflow 0
		.amdhsa_exception_fp_ieee_inexact 0
		.amdhsa_exception_int_div_zero 0
	.end_amdhsa_kernel
	.section	.text._ZN4vllm25paged_attention_v1_kernelI14__hip_bfloat16S1_Li120ELi8ELi128ELNS_18Fp8KVCacheDataTypeE0ELb0EEEvPT_PKS3_PKT0_S9_ifPKiSB_iPKfiiiSD_SD_iiiii,"axG",@progbits,_ZN4vllm25paged_attention_v1_kernelI14__hip_bfloat16S1_Li120ELi8ELi128ELNS_18Fp8KVCacheDataTypeE0ELb0EEEvPT_PKS3_PKT0_S9_ifPKiSB_iPKfiiiSD_SD_iiiii,comdat
.Lfunc_end122:
	.size	_ZN4vllm25paged_attention_v1_kernelI14__hip_bfloat16S1_Li120ELi8ELi128ELNS_18Fp8KVCacheDataTypeE0ELb0EEEvPT_PKS3_PKT0_S9_ifPKiSB_iPKfiiiSD_SD_iiiii, .Lfunc_end122-_ZN4vllm25paged_attention_v1_kernelI14__hip_bfloat16S1_Li120ELi8ELi128ELNS_18Fp8KVCacheDataTypeE0ELb0EEEvPT_PKS3_PKT0_S9_ifPKiSB_iPKfiiiSD_SD_iiiii
                                        ; -- End function
	.set _ZN4vllm25paged_attention_v1_kernelI14__hip_bfloat16S1_Li120ELi8ELi128ELNS_18Fp8KVCacheDataTypeE0ELb0EEEvPT_PKS3_PKT0_S9_ifPKiSB_iPKfiiiSD_SD_iiiii.num_vgpr, 64
	.set _ZN4vllm25paged_attention_v1_kernelI14__hip_bfloat16S1_Li120ELi8ELi128ELNS_18Fp8KVCacheDataTypeE0ELb0EEEvPT_PKS3_PKT0_S9_ifPKiSB_iPKfiiiSD_SD_iiiii.num_agpr, 0
	.set _ZN4vllm25paged_attention_v1_kernelI14__hip_bfloat16S1_Li120ELi8ELi128ELNS_18Fp8KVCacheDataTypeE0ELb0EEEvPT_PKS3_PKT0_S9_ifPKiSB_iPKfiiiSD_SD_iiiii.numbered_sgpr, 27
	.set _ZN4vllm25paged_attention_v1_kernelI14__hip_bfloat16S1_Li120ELi8ELi128ELNS_18Fp8KVCacheDataTypeE0ELb0EEEvPT_PKS3_PKT0_S9_ifPKiSB_iPKfiiiSD_SD_iiiii.num_named_barrier, 0
	.set _ZN4vllm25paged_attention_v1_kernelI14__hip_bfloat16S1_Li120ELi8ELi128ELNS_18Fp8KVCacheDataTypeE0ELb0EEEvPT_PKS3_PKT0_S9_ifPKiSB_iPKfiiiSD_SD_iiiii.private_seg_size, 0
	.set _ZN4vllm25paged_attention_v1_kernelI14__hip_bfloat16S1_Li120ELi8ELi128ELNS_18Fp8KVCacheDataTypeE0ELb0EEEvPT_PKS3_PKT0_S9_ifPKiSB_iPKfiiiSD_SD_iiiii.uses_vcc, 1
	.set _ZN4vllm25paged_attention_v1_kernelI14__hip_bfloat16S1_Li120ELi8ELi128ELNS_18Fp8KVCacheDataTypeE0ELb0EEEvPT_PKS3_PKT0_S9_ifPKiSB_iPKfiiiSD_SD_iiiii.uses_flat_scratch, 0
	.set _ZN4vllm25paged_attention_v1_kernelI14__hip_bfloat16S1_Li120ELi8ELi128ELNS_18Fp8KVCacheDataTypeE0ELb0EEEvPT_PKS3_PKT0_S9_ifPKiSB_iPKfiiiSD_SD_iiiii.has_dyn_sized_stack, 0
	.set _ZN4vllm25paged_attention_v1_kernelI14__hip_bfloat16S1_Li120ELi8ELi128ELNS_18Fp8KVCacheDataTypeE0ELb0EEEvPT_PKS3_PKT0_S9_ifPKiSB_iPKfiiiSD_SD_iiiii.has_recursion, 0
	.set _ZN4vllm25paged_attention_v1_kernelI14__hip_bfloat16S1_Li120ELi8ELi128ELNS_18Fp8KVCacheDataTypeE0ELb0EEEvPT_PKS3_PKT0_S9_ifPKiSB_iPKfiiiSD_SD_iiiii.has_indirect_call, 0
	.section	.AMDGPU.csdata,"",@progbits
; Kernel info:
; codeLenInByte = 6940
; TotalNumSgprs: 29
; NumVgprs: 64
; ScratchSize: 0
; MemoryBound: 0
; FloatMode: 240
; IeeeMode: 1
; LDSByteSize: 272 bytes/workgroup (compile time only)
; SGPRBlocks: 0
; VGPRBlocks: 7
; NumSGPRsForWavesPerEU: 29
; NumVGPRsForWavesPerEU: 64
; Occupancy: 16
; WaveLimiterHint : 1
; COMPUTE_PGM_RSRC2:SCRATCH_EN: 0
; COMPUTE_PGM_RSRC2:USER_SGPR: 6
; COMPUTE_PGM_RSRC2:TRAP_HANDLER: 0
; COMPUTE_PGM_RSRC2:TGID_X_EN: 1
; COMPUTE_PGM_RSRC2:TGID_Y_EN: 1
; COMPUTE_PGM_RSRC2:TGID_Z_EN: 1
; COMPUTE_PGM_RSRC2:TIDIG_COMP_CNT: 0
	.section	.text._ZN4vllm25paged_attention_v1_kernelI14__hip_bfloat16S1_Li128ELi8ELi128ELNS_18Fp8KVCacheDataTypeE0ELb0EEEvPT_PKS3_PKT0_S9_ifPKiSB_iPKfiiiSD_SD_iiiii,"axG",@progbits,_ZN4vllm25paged_attention_v1_kernelI14__hip_bfloat16S1_Li128ELi8ELi128ELNS_18Fp8KVCacheDataTypeE0ELb0EEEvPT_PKS3_PKT0_S9_ifPKiSB_iPKfiiiSD_SD_iiiii,comdat
	.protected	_ZN4vllm25paged_attention_v1_kernelI14__hip_bfloat16S1_Li128ELi8ELi128ELNS_18Fp8KVCacheDataTypeE0ELb0EEEvPT_PKS3_PKT0_S9_ifPKiSB_iPKfiiiSD_SD_iiiii ; -- Begin function _ZN4vllm25paged_attention_v1_kernelI14__hip_bfloat16S1_Li128ELi8ELi128ELNS_18Fp8KVCacheDataTypeE0ELb0EEEvPT_PKS3_PKT0_S9_ifPKiSB_iPKfiiiSD_SD_iiiii
	.globl	_ZN4vllm25paged_attention_v1_kernelI14__hip_bfloat16S1_Li128ELi8ELi128ELNS_18Fp8KVCacheDataTypeE0ELb0EEEvPT_PKS3_PKT0_S9_ifPKiSB_iPKfiiiSD_SD_iiiii
	.p2align	8
	.type	_ZN4vllm25paged_attention_v1_kernelI14__hip_bfloat16S1_Li128ELi8ELi128ELNS_18Fp8KVCacheDataTypeE0ELb0EEEvPT_PKS3_PKT0_S9_ifPKiSB_iPKfiiiSD_SD_iiiii,@function
_ZN4vllm25paged_attention_v1_kernelI14__hip_bfloat16S1_Li128ELi8ELi128ELNS_18Fp8KVCacheDataTypeE0ELb0EEEvPT_PKS3_PKT0_S9_ifPKiSB_iPKfiiiSD_SD_iiiii: ; @_ZN4vllm25paged_attention_v1_kernelI14__hip_bfloat16S1_Li128ELi8ELi128ELNS_18Fp8KVCacheDataTypeE0ELb0EEEvPT_PKS3_PKT0_S9_ifPKiSB_iPKfiiiSD_SD_iiiii
; %bb.0:
	s_clause 0x2
	s_load_dword s9, s[4:5], 0x80
	s_load_dwordx2 s[0:1], s[4:5], 0x30
	s_load_dwordx2 s[24:25], s[4:5], 0x20
	s_mov_b32 s10, s7
	s_ashr_i32 s11, s7, 31
	s_lshl_b64 s[2:3], s[10:11], 2
	s_waitcnt lgkmcnt(0)
	s_add_u32 s0, s0, s2
	s_addc_u32 s1, s1, s3
	s_abs_i32 s2, s24
	s_abs_i32 s11, s9
	v_cvt_f32_u32_e32 v1, s2
	s_sub_i32 s7, 0, s2
	v_rcp_iflag_f32_e32 v1, v1
	v_mul_f32_e32 v1, 0x4f7ffffe, v1
	v_cvt_u32_f32_e32 v1, v1
	v_readfirstlane_b32 s3, v1
	s_mul_i32 s7, s7, s3
	s_mul_hi_u32 s7, s3, s7
	s_add_i32 s3, s3, s7
	s_xor_b32 s7, s9, s24
	s_mul_hi_u32 s3, s11, s3
	s_ashr_i32 s7, s7, 31
	s_mul_i32 s12, s3, s2
	s_mov_b32 s24, 0
	s_sub_i32 s11, s11, s12
	s_add_i32 s12, s3, 1
	s_sub_i32 s13, s11, s2
	s_cmp_ge_u32 s11, s2
	s_cselect_b32 s3, s12, s3
	s_cselect_b32 s11, s13, s11
	s_add_i32 s12, s3, 1
	s_cmp_ge_u32 s11, s2
	s_cselect_b32 s2, s12, s3
	s_abs_i32 s17, s6
	s_xor_b32 s2, s2, s7
	s_sub_i32 s18, s2, s7
	s_load_dwordx2 s[2:3], s[4:5], 0x40
	s_abs_i32 s16, s18
	v_cvt_f32_u32_e32 v1, s16
	s_sub_i32 s11, 0, s16
	v_rcp_iflag_f32_e32 v1, v1
	v_mul_f32_e32 v1, 0x4f7ffffe, v1
	v_cvt_u32_f32_e32 v1, v1
	v_readfirstlane_b32 s7, v1
	s_mul_i32 s11, s11, s7
	s_mul_hi_u32 s11, s7, s11
	s_add_i32 s7, s7, s11
	s_waitcnt lgkmcnt(0)
	s_cmp_eq_u64 s[2:3], 0
	s_mul_hi_u32 s20, s17, s7
	s_cbranch_scc1 .LBB123_2
; %bb.1:
	s_ashr_i32 s7, s6, 31
	s_lshl_b64 s[12:13], s[6:7], 2
	s_add_u32 s2, s2, s12
	s_addc_u32 s3, s3, s13
	s_load_dword s24, s[2:3], 0x0
.LBB123_2:
	s_load_dword s11, s[0:1], 0x0
	s_load_dwordx4 s[12:15], s[4:5], 0x48
	v_and_b32_e32 v1, 3, v0
	v_cmp_gt_u32_e64 s0, 64, v0
	v_lshlrev_b32_e32 v2, 2, v0
	s_ashr_i32 s1, s6, 31
	s_ashr_i32 s2, s18, 31
	s_lshl_b32 s6, s6, 7
	s_and_saveexec_b32 s3, s0
	s_cbranch_execz .LBB123_4
; %bb.3:
	s_load_dwordx2 s[18:19], s[4:5], 0x8
	s_waitcnt lgkmcnt(0)
	s_mul_i32 s22, s12, s10
	v_and_b32_e32 v4, 0x3fc, v0
	s_ashr_i32 s23, s22, 31
	s_lshl_b64 s[22:23], s[22:23], 1
	v_lshl_add_u32 v4, v1, 6, v4
	s_add_u32 s12, s18, s22
	s_addc_u32 s15, s19, s23
	s_ashr_i32 s7, s6, 31
	s_lshl_b64 s[18:19], s[6:7], 1
	s_add_u32 s18, s12, s18
	s_addc_u32 s19, s15, s19
	global_load_dword v3, v2, s[18:19]
	s_waitcnt vmcnt(0)
	ds_write_b32 v4, v3
.LBB123_4:
	s_or_b32 exec_lo, exec_lo, s3
	s_waitcnt lgkmcnt(0)
	s_add_i32 s3, s11, 7
	s_clause 0x1
	s_load_dwordx2 s[18:19], s[4:5], 0x28
	s_load_dword s15, s[4:5], 0x38
	s_ashr_i32 s7, s3, 31
	s_xor_b32 s1, s1, s2
	s_lshr_b32 s7, s7, 29
	s_mul_i32 s2, s20, s16
	s_add_i32 s3, s3, s7
	s_sub_i32 s2, s17, s2
	s_ashr_i32 s12, s3, 3
	s_add_i32 s3, s20, 1
	s_sub_i32 s7, s2, s16
	s_cmp_ge_u32 s2, s16
	v_lshrrev_b32_e32 v27, 5, v0
	s_cselect_b32 s3, s3, s20
	s_cselect_b32 s2, s7, s2
	s_add_i32 s7, s3, 1
	s_cmp_ge_u32 s2, s16
	v_mbcnt_lo_u32_b32 v4, -1, 0
	s_cselect_b32 s2, s7, s3
	s_mov_b32 s3, exec_lo
	s_xor_b32 s2, s2, s1
	s_waitcnt lgkmcnt(0)
	s_mul_i32 s20, s15, s10
	s_sub_i32 s2, s2, s1
	v_cmp_gt_i32_e64 s1, s12, v27
	s_ashr_i32 s21, s20, 31
	s_barrier
	buffer_gl0_inv
                                        ; implicit-def: $vgpr5
                                        ; implicit-def: $vgpr6
	v_cmpx_le_i32_e64 s12, v27
	s_xor_b32 s3, exec_lo, s3
; %bb.5:
	v_mov_b32_e32 v5, 0
	v_mbcnt_lo_u32_b32 v4, -1, 0
	v_mov_b32_e32 v6, 32
                                        ; implicit-def: $vgpr2
                                        ; implicit-def: $vgpr1
; %bb.6:
	s_or_saveexec_b32 s26, s3
	s_clause 0x2
	s_load_dwordx2 s[16:17], s[4:5], 0x0
	s_load_dwordx2 s[22:23], s[4:5], 0x18
	s_load_dword s7, s[4:5], 0x88
	v_mov_b32_e32 v38, 0xff7fffff
	v_lshrrev_b32_e32 v3, 3, v0
	s_mul_i32 s14, s2, s14
	s_xor_b32 exec_lo, exec_lo, s26
	s_cbranch_execz .LBB123_12
; %bb.7:
	s_load_dwordx2 s[2:3], s[4:5], 0x10
	v_lshlrev_b32_e32 v6, 6, v1
	v_bfe_u32 v38, v0, 2, 3
	s_ashr_i32 s15, s14, 31
	v_and_b32_e32 v2, 12, v2
	s_lshl_b64 s[4:5], s[14:15], 1
	ds_read_b128 v[13:16], v6
	v_lshlrev_b32_e32 v7, 4, v38
	ds_read_b128 v[21:24], v6 offset:16
	ds_read_b128 v[30:33], v6 offset:32
	;; [unrolled: 1-line block ×3, first 2 shown]
	v_lshlrev_b32_e32 v45, 2, v38
	v_mov_b32_e32 v5, 0
	v_mov_b32_e32 v47, v27
	s_mov_b32 s27, s13
	s_mov_b32 s15, 0
	s_waitcnt lgkmcnt(0)
	s_add_u32 s2, s2, s4
	s_addc_u32 s3, s3, s5
	v_add_co_u32 v6, s2, s2, v7
	v_add_co_ci_u32_e64 v17, null, s3, 0, s2
	v_lshlrev_b32_e32 v9, 16, v14
	v_and_b32_e32 v10, 0xffff0000, v14
	v_add_co_u32 v14, vcc_lo, v6, v2
	v_xor_b32_e32 v2, 2, v4
	v_lshlrev_b32_e32 v11, 16, v15
	v_and_b32_e32 v12, 0xffff0000, v15
	v_add_co_ci_u32_e64 v15, null, 0, v17, vcc_lo
	v_xor_b32_e32 v6, 1, v4
	v_cmp_gt_i32_e32 vcc_lo, 32, v2
	s_lshl_b64 s[28:29], s[20:21], 2
	s_sub_i32 s5, 1, s11
	s_add_u32 s3, s18, s28
	s_addc_u32 s4, s19, s29
	v_cndmask_b32_e32 v2, v4, v2, vcc_lo
	v_cmp_gt_i32_e32 vcc_lo, 32, v6
	v_lshlrev_b32_e32 v7, 16, v13
	v_and_b32_e32 v8, 0xffff0000, v13
	v_lshlrev_b32_e32 v13, 16, v16
	v_lshlrev_b32_e32 v43, 2, v2
	v_cndmask_b32_e32 v44, v4, v6, vcc_lo
	v_cmp_eq_u32_e32 vcc_lo, 0, v1
	v_lshl_or_b32 v1, v27, 5, v45
	v_and_b32_e32 v2, 0x7c, v3
	v_and_b32_e32 v16, 0xffff0000, v16
	v_lshlrev_b32_e32 v17, 16, v21
	v_and_b32_e32 v18, 0xffff0000, v21
	v_add_nc_u32_e32 v46, 0x120, v1
	v_add_co_u32 v1, s3, s3, v2
	v_lshlrev_b32_e32 v19, 16, v22
	v_and_b32_e32 v20, 0xffff0000, v22
	v_lshlrev_b32_e32 v21, 16, v23
	v_and_b32_e32 v22, 0xffff0000, v23
	v_lshlrev_b32_e32 v23, 16, v24
	v_and_b32_e32 v24, 0xffff0000, v24
	v_lshlrev_b32_e32 v25, 16, v30
	v_and_b32_e32 v26, 0xffff0000, v30
	v_lshlrev_b32_e32 v28, 16, v31
	v_and_b32_e32 v29, 0xffff0000, v31
	v_lshlrev_b32_e32 v30, 16, v32
	v_and_b32_e32 v31, 0xffff0000, v32
	v_lshlrev_b32_e32 v32, 16, v33
	v_and_b32_e32 v33, 0xffff0000, v33
	v_lshlrev_b32_e32 v34, 16, v39
	v_and_b32_e32 v35, 0xffff0000, v39
	v_lshlrev_b32_e32 v36, 16, v40
	v_and_b32_e32 v37, 0xffff0000, v40
	v_lshlrev_b32_e32 v39, 16, v41
	v_and_b32_e32 v40, 0xffff0000, v41
	v_lshlrev_b32_e32 v41, 16, v42
	v_and_b32_e32 v42, 0xffff0000, v42
	v_mov_b32_e32 v6, 32
	v_lshlrev_b32_e32 v44, 2, v44
	v_cmp_neq_f32_e64 s2, s24, 0
	v_lshl_or_b32 v45, v27, 3, v38
	v_add_co_ci_u32_e64 v2, null, s4, 0, s3
	v_mov_b32_e32 v38, 0xff7fffff
	s_branch .LBB123_9
.LBB123_8:                              ;   in Loop: Header=BB123_9 Depth=1
	s_or_b32 exec_lo, exec_lo, s4
	v_add_nc_u32_e32 v47, 4, v47
	v_add_co_u32 v1, s4, v1, 16
	v_add_nc_u32_e32 v45, 32, v45
	v_add_nc_u32_e32 v46, 0x80, v46
	v_cmp_le_i32_e64 s3, s12, v47
	v_add_co_ci_u32_e64 v2, null, 0, v2, s4
	s_or_b32 s15, s3, s15
	s_andn2_b32 exec_lo, exec_lo, s15
	s_cbranch_execz .LBB123_11
.LBB123_9:                              ; =>This Inner Loop Header: Depth=1
	global_load_dword v48, v[1:2], off
	s_waitcnt vmcnt(0) lgkmcnt(0)
	v_mad_i64_i32 v[48:49], null, v48, s27, 0
	v_lshlrev_b64 v[48:49], 1, v[48:49]
	v_add_co_u32 v48, s3, v14, v48
	v_add_co_ci_u32_e64 v49, null, v15, v49, s3
	s_clause 0xf
	global_load_dword v50, v[48:49], off offset:128
	global_load_dword v51, v[48:49], off
	global_load_dword v52, v[48:49], off offset:256
	global_load_dword v53, v[48:49], off offset:384
	;; [unrolled: 1-line block ×14, first 2 shown]
	s_waitcnt vmcnt(15)
	v_lshlrev_b32_e32 v49, 16, v50
	v_and_b32_e32 v50, 0xffff0000, v50
	s_waitcnt vmcnt(14)
	v_lshlrev_b32_e32 v65, 16, v51
	v_and_b32_e32 v51, 0xffff0000, v51
	s_waitcnt vmcnt(13)
	v_lshlrev_b32_e32 v66, 16, v52
	v_mul_f32_e32 v49, v9, v49
	v_mul_f32_e32 v50, v10, v50
	v_and_b32_e32 v52, 0xffff0000, v52
	v_fmac_f32_e32 v49, v7, v65
	v_fmac_f32_e32 v50, v8, v51
	s_waitcnt vmcnt(12)
	v_lshlrev_b32_e32 v51, 16, v53
	v_and_b32_e32 v53, 0xffff0000, v53
	v_fmac_f32_e32 v49, v11, v66
	v_fmac_f32_e32 v50, v12, v52
	s_waitcnt vmcnt(11)
	v_lshlrev_b32_e32 v52, 16, v54
	;; [unrolled: 5-line block ×13, first 2 shown]
	v_and_b32_e32 v48, 0xffff0000, v48
	v_fmac_f32_e32 v49, v39, v52
	v_fmac_f32_e32 v50, v40, v54
	;; [unrolled: 1-line block ×4, first 2 shown]
	v_add_f32_e32 v48, v49, v50
	ds_bpermute_b32 v49, v43, v48
	s_waitcnt lgkmcnt(0)
	v_add_f32_e32 v48, v48, v49
	ds_bpermute_b32 v49, v44, v48
	s_and_saveexec_b32 s4, vcc_lo
	s_cbranch_execz .LBB123_8
; %bb.10:                               ;   in Loop: Header=BB123_9 Depth=1
	v_add_nc_u32_e32 v50, s5, v45
	s_waitcnt lgkmcnt(0)
	v_add_f32_e32 v48, v48, v49
	v_cmp_gt_i32_e64 s3, s11, v45
	v_cvt_f32_i32_e32 v50, v50
	v_mul_f32_e32 v50, s24, v50
	v_cndmask_b32_e64 v49, 0, v50, s2
	v_max_f32_e32 v50, v38, v38
	v_fmac_f32_e32 v49, s25, v48
	v_max_f32_e32 v48, v50, v49
	v_cndmask_b32_e64 v49, 0, v49, s3
	v_cndmask_b32_e64 v38, v38, v48, s3
	ds_write_b32 v46, v49
	s_branch .LBB123_8
.LBB123_11:
	s_or_b32 exec_lo, exec_lo, s15
.LBB123_12:
	s_or_b32 exec_lo, exec_lo, s26
	v_xor_b32_e32 v1, 16, v4
	v_xor_b32_e32 v7, 8, v4
	v_max_f32_e32 v8, v38, v38
	v_xor_b32_e32 v9, 4, v4
	v_and_b32_e32 v28, 31, v0
	v_cmp_lt_i32_e32 vcc_lo, v1, v6
	v_cndmask_b32_e32 v1, v4, v1, vcc_lo
	v_cmp_lt_i32_e32 vcc_lo, v7, v6
	v_lshlrev_b32_e32 v2, 2, v1
	v_cndmask_b32_e32 v7, v4, v7, vcc_lo
	v_cmp_lt_i32_e32 vcc_lo, v9, v6
	ds_bpermute_b32 v1, v2, v38
	v_lshlrev_b32_e32 v7, 2, v7
	v_cndmask_b32_e32 v9, v4, v9, vcc_lo
	v_cmp_eq_u32_e32 vcc_lo, 0, v28
	v_lshlrev_b32_e32 v10, 2, v9
	s_waitcnt lgkmcnt(0)
	v_max_f32_e32 v1, v1, v1
	v_max_f32_e32 v1, v8, v1
	ds_bpermute_b32 v8, v7, v1
	s_waitcnt lgkmcnt(0)
	v_max_f32_e32 v8, v8, v8
	v_max_f32_e32 v1, v1, v8
	v_lshlrev_b32_e32 v8, 2, v27
	ds_bpermute_b32 v9, v10, v1
	s_and_saveexec_b32 s2, vcc_lo
	s_cbranch_execz .LBB123_14
; %bb.13:
	s_waitcnt lgkmcnt(0)
	v_max_f32_e32 v9, v9, v9
	v_max_f32_e32 v1, v1, v1
	;; [unrolled: 1-line block ×3, first 2 shown]
	ds_write_b32 v8, v1 offset:256
.LBB123_14:
	s_or_b32 exec_lo, exec_lo, s2
	v_cmp_gt_u32_e64 s2, 4, v28
	v_mov_b32_e32 v1, 0xff7fffff
	s_waitcnt lgkmcnt(0)
	v_lshlrev_b32_e32 v9, 2, v28
	s_barrier
	buffer_gl0_inv
	s_and_saveexec_b32 s3, s2
; %bb.15:
	ds_read_b32 v1, v9 offset:256
; %bb.16:
	s_or_b32 exec_lo, exec_lo, s3
	v_xor_b32_e32 v11, 2, v4
	v_xor_b32_e32 v13, 1, v4
	v_lshlrev_b32_e32 v5, 2, v5
	v_cmp_lt_i32_e64 s3, v11, v6
	v_cndmask_b32_e64 v11, v4, v11, s3
	v_cmp_lt_i32_e64 s3, v13, v6
	v_lshlrev_b32_e32 v11, 2, v11
	v_cndmask_b32_e64 v6, v4, v13, s3
	s_lshl_b32 s3, s12, 3
	s_min_i32 s5, s3, s11
	s_waitcnt lgkmcnt(0)
	ds_bpermute_b32 v12, v11, v1
	v_max_f32_e32 v1, v1, v1
	v_lshlrev_b32_e32 v6, 2, v6
	v_cmp_gt_i32_e64 s3, s5, v0
	s_waitcnt lgkmcnt(0)
	v_max_f32_e32 v12, v12, v12
	v_max_f32_e32 v1, v1, v12
	ds_bpermute_b32 v12, v6, v1
	s_waitcnt lgkmcnt(0)
	v_max_f32_e32 v12, v12, v12
	v_max_f32_e32 v1, v1, v12
	ds_bpermute_b32 v12, v5, v1
	v_mov_b32_e32 v5, 0
	v_lshl_add_u32 v1, v0, 2, 0x120
	s_and_saveexec_b32 s15, s3
	s_cbranch_execz .LBB123_20
; %bb.17:
	v_lshl_add_u32 v13, v0, 2, 0x120
	v_mov_b32_e32 v5, 0
	v_mov_b32_e32 v14, v0
	s_mov_b32 s24, 0
	.p2align	6
.LBB123_18:                             ; =>This Inner Loop Header: Depth=1
	ds_read_b32 v15, v13
	v_add_nc_u32_e32 v14, 0x80, v14
	v_cmp_le_i32_e64 s4, s5, v14
	s_or_b32 s24, s4, s24
	s_waitcnt lgkmcnt(0)
	v_sub_f32_e32 v15, v15, v12
	v_mul_f32_e32 v15, 0x3fb8aa3b, v15
	v_exp_f32_e32 v15, v15
	ds_write_b32 v13, v15
	v_add_f32_e32 v5, v5, v15
	v_add_nc_u32_e32 v13, 0x200, v13
	s_andn2_b32 exec_lo, exec_lo, s24
	s_cbranch_execnz .LBB123_18
; %bb.19:
	s_or_b32 exec_lo, exec_lo, s24
.LBB123_20:
	s_or_b32 exec_lo, exec_lo, s15
	ds_bpermute_b32 v2, v2, v5
	s_waitcnt lgkmcnt(0)
	v_add_f32_e32 v2, v5, v2
	ds_bpermute_b32 v5, v7, v2
	s_waitcnt lgkmcnt(0)
	v_add_f32_e32 v2, v2, v5
	;; [unrolled: 3-line block ×5, first 2 shown]
	s_and_saveexec_b32 s4, vcc_lo
; %bb.21:
	ds_write_b32 v8, v2 offset:272
; %bb.22:
	s_or_b32 exec_lo, exec_lo, s4
	s_waitcnt lgkmcnt(0)
	s_barrier
	buffer_gl0_inv
	s_and_saveexec_b32 s4, s2
; %bb.23:
	ds_read_b32 v2, v9 offset:272
; %bb.24:
	s_or_b32 exec_lo, exec_lo, s4
	s_waitcnt lgkmcnt(0)
	ds_bpermute_b32 v5, v11, v2
	v_lshlrev_b32_e32 v4, 2, v4
	v_and_b32_e32 v4, 0xffffff80, v4
	s_waitcnt lgkmcnt(0)
	v_add_f32_e32 v2, v2, v5
	ds_bpermute_b32 v5, v6, v2
	s_waitcnt lgkmcnt(0)
	v_add_f32_e32 v2, v2, v5
	ds_bpermute_b32 v2, v4, v2
	s_and_saveexec_b32 s2, s3
	s_cbranch_execz .LBB123_27
; %bb.25:
	s_waitcnt lgkmcnt(0)
	v_add_f32_e32 v2, 0x358637bd, v2
	s_mov_b32 s3, 0
	v_div_scale_f32 v4, null, v2, v2, 1.0
	v_div_scale_f32 v7, vcc_lo, 1.0, v2, 1.0
	v_rcp_f32_e32 v5, v4
	v_fma_f32 v6, -v4, v5, 1.0
	v_fmac_f32_e32 v5, v6, v5
	v_mul_f32_e32 v6, v7, v5
	v_fma_f32 v8, -v4, v6, v7
	v_fmac_f32_e32 v6, v8, v5
	v_fma_f32 v4, -v4, v6, v7
	v_div_fmas_f32 v4, v4, v5, v6
	v_div_fixup_f32 v2, v4, v2, 1.0
	v_mov_b32_e32 v4, v0
.LBB123_26:                             ; =>This Inner Loop Header: Depth=1
	ds_read_b32 v5, v1
	v_add_nc_u32_e32 v4, 0x80, v4
	v_cmp_le_i32_e32 vcc_lo, s5, v4
	s_or_b32 s3, vcc_lo, s3
	s_waitcnt lgkmcnt(0)
	v_mul_f32_e32 v5, v2, v5
	ds_write_b32 v1, v5
	v_add_nc_u32_e32 v1, 0x200, v1
	s_andn2_b32 exec_lo, exec_lo, s3
	s_cbranch_execnz .LBB123_26
.LBB123_27:
	s_or_b32 exec_lo, exec_lo, s2
	v_mov_b32_e32 v32, 0
	v_mov_b32_e32 v31, 0
	;; [unrolled: 1-line block ×4, first 2 shown]
	s_waitcnt lgkmcnt(0)
	s_barrier
	buffer_gl0_inv
	s_and_saveexec_b32 s4, s1
	s_cbranch_execz .LBB123_39
; %bb.28:
	s_ashr_i32 s15, s14, 31
	v_lshlrev_b32_e32 v1, 4, v28
	s_lshl_b64 s[2:3], s[14:15], 1
	v_mov_b32_e32 v33, 0
	s_add_u32 s1, s22, s2
	s_addc_u32 s2, s23, s3
	v_add_co_u32 v34, s1, s1, v1
	v_and_b32_e32 v1, 0x7c, v3
	v_add_co_ci_u32_e64 v35, null, s2, 0, s1
	s_lshl_b64 s[2:3], s[20:21], 2
	s_add_i32 s5, s12, -1
	s_add_u32 s1, s18, s2
	s_addc_u32 s2, s19, s3
	v_add_co_u32 v25, s1, s1, v1
	v_lshlrev_b32_e32 v36, 3, v27
	v_lshl_add_u32 v37, v27, 5, 0x120
	v_add_co_ci_u32_e64 v26, null, s2, 0, s1
	v_mov_b32_e32 v29, 0
	v_mov_b32_e32 v30, 0
	;; [unrolled: 1-line block ×5, first 2 shown]
	s_mov_b32 s15, s11
	s_mov_b32 s14, 0
	s_branch .LBB123_30
.LBB123_29:                             ;   in Loop: Header=BB123_30 Depth=1
	s_or_b32 exec_lo, exec_lo, s3
	s_waitcnt lgkmcnt(1)
	v_bfe_u32 v39, v17, 16, 1
	v_bfe_u32 v40, v18, 16, 1
	v_or_b32_e32 v41, 0x400000, v17
	v_cmp_u_f32_e32 vcc_lo, v17, v17
	v_or_b32_e32 v42, 0x400000, v18
	v_add3_u32 v39, v39, v17, 0x7fff
	v_bfe_u32 v43, v19, 16, 1
	v_add3_u32 v40, v40, v18, 0x7fff
	v_bfe_u32 v44, v20, 16, 1
	s_waitcnt vmcnt(1)
	v_and_b32_e32 v46, 0xffff0000, v24
	v_cndmask_b32_e32 v17, v39, v41, vcc_lo
	v_cmp_u_f32_e32 vcc_lo, v18, v18
	v_add3_u32 v39, v43, v19, 0x7fff
	v_add3_u32 v41, v44, v20, 0x7fff
	s_waitcnt lgkmcnt(0)
	v_bfe_u32 v43, v13, 16, 1
	v_and_b32_e32 v17, 0xffff0000, v17
	v_cndmask_b32_e32 v18, v40, v42, vcc_lo
	v_or_b32_e32 v40, 0x400000, v19
	v_cmp_u_f32_e32 vcc_lo, v19, v19
	v_or_b32_e32 v42, 0x400000, v20
	v_lshlrev_b32_e32 v24, 16, v24
	v_add_nc_u32_e32 v38, 4, v38
	v_add_co_u32 v25, s1, v25, 16
	v_cndmask_b32_e32 v19, v39, v40, vcc_lo
	v_cmp_u_f32_e32 vcc_lo, v20, v20
	v_bfe_u32 v39, v14, 16, 1
	v_add3_u32 v40, v43, v13, 0x7fff
	v_bfe_u32 v43, v15, 16, 1
	v_add_nc_u32_e32 v36, 32, v36
	v_cndmask_b32_e32 v20, v41, v42, vcc_lo
	v_or_b32_e32 v41, 0x400000, v13
	v_cmp_u_f32_e32 vcc_lo, v13, v13
	v_add3_u32 v39, v39, v14, 0x7fff
	v_or_b32_e32 v42, 0x400000, v14
	v_and_b32_e32 v13, 0xffff0000, v18
	v_and_b32_e32 v18, 0xffff0000, v21
	v_cndmask_b32_e32 v40, v40, v41, vcc_lo
	v_cmp_u_f32_e32 vcc_lo, v14, v14
	v_add3_u32 v14, v43, v15, 0x7fff
	v_bfe_u32 v41, v16, 16, 1
	v_lshlrev_b32_e32 v21, 16, v21
	v_mul_f32_e32 v18, v13, v18
	v_cndmask_b32_e32 v39, v39, v42, vcc_lo
	v_or_b32_e32 v42, 0x400000, v15
	v_cmp_u_f32_e32 vcc_lo, v15, v15
	v_add3_u32 v41, v41, v16, 0x7fff
	v_or_b32_e32 v43, 0x400000, v16
	v_mul_f32_e32 v21, v17, v21
	v_bfe_u32 v15, v18, 16, 1
	v_cndmask_b32_e32 v42, v14, v42, vcc_lo
	v_cmp_u_f32_e32 vcc_lo, v16, v16
	v_and_b32_e32 v14, 0xffff0000, v20
	v_and_b32_e32 v20, 0xffff0000, v22
	v_add3_u32 v15, v15, v18, 0x7fff
	v_or_b32_e32 v44, 0x400000, v21
	v_cndmask_b32_e32 v16, v41, v43, vcc_lo
	v_bfe_u32 v41, v21, 16, 1
	v_or_b32_e32 v43, 0x400000, v18
	v_cmp_u_f32_e32 vcc_lo, v18, v18
	v_mul_f32_e32 v45, v14, v20
	v_and_b32_e32 v20, 0xffff0000, v19
	v_add3_u32 v41, v41, v21, 0x7fff
	v_lshlrev_b32_e32 v19, 16, v22
	v_cndmask_b32_e32 v22, v15, v43, vcc_lo
	v_cmp_u_f32_e32 vcc_lo, v21, v21
	v_and_b32_e32 v15, 0xffff0000, v39
	v_and_b32_e32 v39, 0xffff0000, v23
	v_mul_f32_e32 v19, v20, v19
	v_and_b32_e32 v18, 0xffff0000, v40
	v_cndmask_b32_e32 v21, v41, v44, vcc_lo
	v_bfe_u32 v41, v45, 16, 1
	v_lshlrev_b32_e32 v23, 16, v23
	v_bfe_u32 v43, v19, 16, 1
	v_mul_f32_e32 v39, v15, v39
	v_cmp_u_f32_e32 vcc_lo, v45, v45
	v_add3_u32 v40, v41, v45, 0x7fff
	v_or_b32_e32 v41, 0x400000, v45
	v_mul_f32_e32 v23, v18, v23
	v_bfe_u32 v44, v39, 16, 1
	v_and_b32_e32 v16, 0xffff0000, v16
	v_and_b32_e32 v21, 0xffff0000, v21
	v_cndmask_b32_e32 v40, v40, v41, vcc_lo
	v_add3_u32 v41, v43, v19, 0x7fff
	v_or_b32_e32 v43, 0x400000, v19
	v_cmp_u_f32_e32 vcc_lo, v19, v19
	v_bfe_u32 v45, v23, 16, 1
	v_mul_f32_e32 v46, v16, v46
	v_and_b32_e32 v19, 0xffff0000, v42
	v_or_b32_e32 v42, 0x400000, v23
	v_cndmask_b32_e32 v41, v41, v43, vcc_lo
	v_add3_u32 v43, v44, v39, 0x7fff
	v_or_b32_e32 v44, 0x400000, v39
	v_cmp_u_f32_e32 vcc_lo, v39, v39
	v_add3_u32 v45, v45, v23, 0x7fff
	v_bfe_u32 v47, v46, 16, 1
	v_mul_f32_e32 v24, v19, v24
	v_and_b32_e32 v22, 0xffff0000, v22
	v_cndmask_b32_e32 v39, v43, v44, vcc_lo
	v_cmp_u_f32_e32 vcc_lo, v23, v23
	v_or_b32_e32 v43, 0x400000, v46
	v_bfe_u32 v44, v24, 16, 1
	v_and_b32_e32 v41, 0xffff0000, v41
	v_and_b32_e32 v40, 0xffff0000, v40
	v_cndmask_b32_e32 v23, v45, v42, vcc_lo
	v_add3_u32 v42, v47, v46, 0x7fff
	v_cmp_u_f32_e32 vcc_lo, v46, v46
	v_add_f32_e32 v21, v21, v22
	v_add_f32_e32 v22, v41, v40
	v_and_b32_e32 v23, 0xffff0000, v23
	v_and_b32_e32 v39, 0xffff0000, v39
	v_cndmask_b32_e32 v42, v42, v43, vcc_lo
	v_add3_u32 v43, v44, v24, 0x7fff
	v_or_b32_e32 v44, 0x400000, v24
	v_and_b32_e32 v40, 0xffff0000, v9
	v_cmp_u_f32_e32 vcc_lo, v24, v24
	v_lshlrev_b32_e32 v9, 16, v9
	v_add_f32_e32 v21, v22, v21
	v_add_f32_e32 v22, v23, v39
	v_mul_f32_e32 v23, v13, v40
	v_cndmask_b32_e32 v24, v43, v44, vcc_lo
	v_mul_f32_e32 v39, v17, v9
	v_and_b32_e32 v40, 0xffff0000, v42
	v_and_b32_e32 v41, 0xffff0000, v10
	v_bfe_u32 v42, v23, 16, 1
	v_and_b32_e32 v24, 0xffff0000, v24
	v_add_f32_e32 v9, v22, v21
	v_bfe_u32 v22, v39, 16, 1
	v_cmp_u_f32_e32 vcc_lo, v23, v23
	v_lshlrev_b32_e32 v10, 16, v10
	v_add_f32_e32 v21, v24, v40
	v_mul_f32_e32 v24, v14, v41
	v_add3_u32 v40, v42, v23, 0x7fff
	v_or_b32_e32 v41, 0x400000, v23
	v_add3_u32 v22, v22, v39, 0x7fff
	v_or_b32_e32 v42, 0x400000, v39
	v_bfe_u32 v43, v24, 16, 1
	v_mul_f32_e32 v10, v20, v10
	v_cndmask_b32_e32 v23, v40, v41, vcc_lo
	v_cmp_u_f32_e32 vcc_lo, v39, v39
	v_or_b32_e32 v40, 0x400000, v24
	v_add3_u32 v39, v43, v24, 0x7fff
	v_and_b32_e32 v41, 0xffff0000, v11
	v_lshlrev_b32_e32 v11, 16, v11
	v_cndmask_b32_e32 v22, v22, v42, vcc_lo
	v_cmp_u_f32_e32 vcc_lo, v24, v24
	v_bfe_u32 v42, v10, 16, 1
	v_and_b32_e32 v23, 0xffff0000, v23
	v_mul_f32_e32 v11, v18, v11
	v_and_b32_e32 v22, 0xffff0000, v22
	v_cndmask_b32_e32 v24, v39, v40, vcc_lo
	v_mul_f32_e32 v39, v15, v41
	v_add3_u32 v40, v42, v10, 0x7fff
	v_or_b32_e32 v41, 0x400000, v10
	v_and_b32_e32 v42, 0xffff0000, v12
	v_cmp_u_f32_e32 vcc_lo, v10, v10
	v_bfe_u32 v43, v39, 16, 1
	v_bfe_u32 v44, v11, 16, 1
	v_lshlrev_b32_e32 v12, 16, v12
	v_and_b32_e32 v24, 0xffff0000, v24
	v_cndmask_b32_e32 v10, v40, v41, vcc_lo
	v_mul_f32_e32 v40, v16, v42
	v_add3_u32 v41, v43, v39, 0x7fff
	v_or_b32_e32 v42, 0x400000, v39
	v_cmp_u_f32_e32 vcc_lo, v39, v39
	v_add3_u32 v43, v44, v11, 0x7fff
	v_or_b32_e32 v44, 0x400000, v11
	v_bfe_u32 v45, v40, 16, 1
	v_and_b32_e32 v10, 0xffff0000, v10
	v_cndmask_b32_e32 v39, v41, v42, vcc_lo
	v_cmp_u_f32_e32 vcc_lo, v11, v11
	v_or_b32_e32 v42, 0x400000, v40
	v_add3_u32 v41, v45, v40, 0x7fff
	v_mul_f32_e32 v12, v19, v12
	v_add_f32_e32 v22, v22, v23
	v_cndmask_b32_e32 v11, v43, v44, vcc_lo
	v_cmp_u_f32_e32 vcc_lo, v40, v40
	v_add_f32_e32 v10, v10, v24
	v_and_b32_e32 v23, 0xffff0000, v1
	v_and_b32_e32 v24, 0xffff0000, v39
	;; [unrolled: 1-line block ×3, first 2 shown]
	v_cndmask_b32_e32 v40, v41, v42, vcc_lo
	v_bfe_u32 v41, v12, 16, 1
	v_add_f32_e32 v10, v10, v22
	v_mul_f32_e32 v22, v13, v23
	v_add_f32_e32 v11, v11, v24
	v_lshlrev_b32_e32 v1, 16, v1
	v_add3_u32 v39, v41, v12, 0x7fff
	v_or_b32_e32 v41, 0x400000, v12
	v_cmp_u_f32_e32 vcc_lo, v12, v12
	v_bfe_u32 v23, v22, 16, 1
	v_add_f32_e32 v10, v11, v10
	v_and_b32_e32 v11, 0xffff0000, v2
	v_mul_f32_e32 v1, v17, v1
	v_cndmask_b32_e32 v12, v39, v41, vcc_lo
	v_add3_u32 v23, v23, v22, 0x7fff
	v_or_b32_e32 v24, 0x400000, v22
	v_mul_f32_e32 v11, v14, v11
	v_and_b32_e32 v39, 0xffff0000, v40
	v_bfe_u32 v40, v1, 16, 1
	v_cmp_u_f32_e32 vcc_lo, v22, v22
	v_lshlrev_b32_e32 v2, 16, v2
	v_or_b32_e32 v41, 0x400000, v1
	v_or_b32_e32 v42, 0x400000, v11
	v_and_b32_e32 v12, 0xffff0000, v12
	v_cndmask_b32_e32 v22, v23, v24, vcc_lo
	v_bfe_u32 v23, v11, 16, 1
	v_add3_u32 v24, v40, v1, 0x7fff
	v_and_b32_e32 v40, 0xffff0000, v3
	v_mul_f32_e32 v2, v20, v2
	v_cmp_u_f32_e32 vcc_lo, v1, v1
	v_add3_u32 v23, v23, v11, 0x7fff
	v_lshlrev_b32_e32 v3, 16, v3
	v_mul_f32_e32 v40, v15, v40
	v_and_b32_e32 v22, 0xffff0000, v22
	v_cndmask_b32_e32 v1, v24, v41, vcc_lo
	v_bfe_u32 v24, v2, 16, 1
	v_cmp_u_f32_e32 vcc_lo, v11, v11
	v_and_b32_e32 v41, 0xffff0000, v4
	v_mul_f32_e32 v3, v18, v3
	v_or_b32_e32 v43, 0x400000, v40
	v_add3_u32 v24, v24, v2, 0x7fff
	v_cndmask_b32_e32 v11, v23, v42, vcc_lo
	v_bfe_u32 v23, v40, 16, 1
	v_or_b32_e32 v42, 0x400000, v2
	v_cmp_u_f32_e32 vcc_lo, v2, v2
	v_mul_f32_e32 v41, v16, v41
	v_lshlrev_b32_e32 v4, 16, v4
	v_add3_u32 v23, v23, v40, 0x7fff
	v_and_b32_e32 v1, 0xffff0000, v1
	v_cndmask_b32_e32 v2, v24, v42, vcc_lo
	v_bfe_u32 v24, v3, 16, 1
	v_cmp_u_f32_e32 vcc_lo, v40, v40
	v_bfe_u32 v42, v41, 16, 1
	v_or_b32_e32 v40, 0x400000, v3
	v_mul_f32_e32 v4, v19, v4
	v_add3_u32 v24, v24, v3, 0x7fff
	v_cndmask_b32_e32 v23, v23, v43, vcc_lo
	v_cmp_u_f32_e32 vcc_lo, v3, v3
	v_add3_u32 v42, v42, v41, 0x7fff
	v_or_b32_e32 v43, 0x400000, v41
	v_and_b32_e32 v2, 0xffff0000, v2
	v_and_b32_e32 v11, 0xffff0000, v11
	v_cndmask_b32_e32 v3, v24, v40, vcc_lo
	v_cmp_u_f32_e32 vcc_lo, v41, v41
	v_bfe_u32 v40, v4, 16, 1
	v_add_f32_e32 v1, v1, v22
	v_add_f32_e32 v2, v2, v11
	v_and_b32_e32 v3, 0xffff0000, v3
	v_cndmask_b32_e32 v24, v42, v43, vcc_lo
	s_waitcnt vmcnt(0)
	v_lshlrev_b32_e32 v42, 16, v5
	v_and_b32_e32 v11, 0xffff0000, v23
	v_and_b32_e32 v5, 0xffff0000, v5
	v_add3_u32 v40, v40, v4, 0x7fff
	v_or_b32_e32 v41, 0x400000, v4
	v_mul_f32_e32 v17, v17, v42
	v_cmp_u_f32_e32 vcc_lo, v4, v4
	v_add_f32_e32 v1, v2, v1
	v_add_f32_e32 v3, v3, v11
	v_mul_f32_e32 v5, v13, v5
	v_bfe_u32 v2, v17, 16, 1
	v_lshlrev_b32_e32 v11, 16, v6
	v_cndmask_b32_e32 v4, v40, v41, vcc_lo
	v_or_b32_e32 v13, 0x400000, v17
	v_bfe_u32 v22, v5, 16, 1
	v_add3_u32 v2, v2, v17, 0x7fff
	v_mul_f32_e32 v11, v20, v11
	v_and_b32_e32 v6, 0xffff0000, v6
	v_cmp_u_f32_e32 vcc_lo, v17, v17
	v_or_b32_e32 v17, 0x400000, v5
	v_and_b32_e32 v4, 0xffff0000, v4
	v_bfe_u32 v20, v11, 16, 1
	v_mul_f32_e32 v6, v14, v6
	v_cndmask_b32_e32 v2, v2, v13, vcc_lo
	v_add3_u32 v13, v22, v5, 0x7fff
	v_lshlrev_b32_e32 v14, 16, v7
	v_cmp_u_f32_e32 vcc_lo, v5, v5
	v_and_b32_e32 v7, 0xffff0000, v7
	v_and_b32_e32 v2, 0xffff0000, v2
	v_add_f32_e32 v1, v3, v1
	v_mul_f32_e32 v14, v18, v14
	v_cndmask_b32_e32 v5, v13, v17, vcc_lo
	v_add3_u32 v13, v20, v11, 0x7fff
	v_or_b32_e32 v17, 0x400000, v11
	v_bfe_u32 v20, v6, 16, 1
	v_cmp_u_f32_e32 vcc_lo, v11, v11
	v_bfe_u32 v18, v14, 16, 1
	v_mul_f32_e32 v7, v15, v7
	v_lshlrev_b32_e32 v15, 16, v8
	v_and_b32_e32 v8, 0xffff0000, v8
	v_cndmask_b32_e32 v11, v13, v17, vcc_lo
	v_add3_u32 v13, v20, v6, 0x7fff
	v_or_b32_e32 v17, 0x400000, v6
	v_cmp_u_f32_e32 vcc_lo, v6, v6
	v_mul_f32_e32 v8, v16, v8
	v_or_b32_e32 v16, 0x400000, v14
	v_mul_f32_e32 v15, v19, v15
	v_and_b32_e32 v5, 0xffff0000, v5
	v_cndmask_b32_e32 v6, v13, v17, vcc_lo
	v_bfe_u32 v13, v7, 16, 1
	v_add3_u32 v17, v18, v14, 0x7fff
	v_cmp_u_f32_e32 vcc_lo, v14, v14
	v_or_b32_e32 v18, 0x400000, v7
	v_bfe_u32 v20, v8, 16, 1
	v_add3_u32 v13, v13, v7, 0x7fff
	v_bfe_u32 v19, v15, 16, 1
	v_cndmask_b32_e32 v14, v17, v16, vcc_lo
	v_cmp_u_f32_e32 vcc_lo, v7, v7
	v_add3_u32 v16, v20, v8, 0x7fff
	v_or_b32_e32 v17, 0x400000, v8
	v_and_b32_e32 v6, 0xffff0000, v6
	v_and_b32_e32 v11, 0xffff0000, v11
	v_cndmask_b32_e32 v7, v13, v18, vcc_lo
	v_cmp_u_f32_e32 vcc_lo, v8, v8
	v_add3_u32 v13, v19, v15, 0x7fff
	v_or_b32_e32 v18, 0x400000, v15
	v_add_f32_e32 v2, v2, v5
	v_add_f32_e32 v5, v11, v6
	v_cndmask_b32_e32 v8, v16, v17, vcc_lo
	v_cmp_u_f32_e32 vcc_lo, v15, v15
	v_and_b32_e32 v6, 0xffff0000, v7
	v_and_b32_e32 v7, 0xffff0000, v14
	v_add_f32_e32 v2, v5, v2
	v_add_nc_u32_e32 v37, 0x80, v37
	v_cndmask_b32_e32 v11, v13, v18, vcc_lo
	v_and_b32_e32 v13, 0xffff0000, v24
	v_add_f32_e32 v5, v7, v6
	v_and_b32_e32 v6, 0xffff0000, v8
	v_add_f32_e32 v8, v12, v39
	;; [unrolled: 2-line block ×3, first 2 shown]
	v_add_f32_e32 v2, v5, v2
	v_add_f32_e32 v5, v21, v9
	v_cmp_le_i32_e32 vcc_lo, s12, v38
	v_add_f32_e32 v4, v7, v6
	v_add_f32_e32 v6, v8, v10
	;; [unrolled: 1-line block ×4, first 2 shown]
	v_add_co_ci_u32_e64 v26, null, 0, v26, s1
	v_add_f32_e32 v2, v4, v2
	v_add_f32_e32 v31, v31, v6
	;; [unrolled: 1-line block ×3, first 2 shown]
	s_or_b32 s14, vcc_lo, s14
	v_add_f32_e32 v29, v29, v2
	s_andn2_b32 exec_lo, exec_lo, s14
	s_cbranch_execz .LBB123_38
.LBB123_30:                             ; =>This Inner Loop Header: Depth=1
	global_load_dword v1, v[25:26], off
	v_cmp_eq_u32_e64 s1, s5, v38
	v_add_nc_u32_e32 v45, 1, v36
	v_or_b32_e32 v43, 3, v36
	v_or_b32_e32 v44, 2, v36
	;; [unrolled: 1-line block ×6, first 2 shown]
	s_waitcnt vmcnt(0)
	v_mad_i64_i32 v[1:2], null, v1, s13, 0
	v_lshlrev_b64 v[1:2], 1, v[1:2]
	v_add_co_u32 v5, vcc_lo, v34, v1
	v_add_co_ci_u32_e64 v6, null, v35, v2, vcc_lo
	global_load_dwordx4 v[1:4], v[5:6], off
	ds_read2_b64 v[17:20], v37 offset1:1
	ds_read2_b64 v[13:16], v37 offset0:2 offset1:3
	s_and_saveexec_b32 s18, s1
	s_cbranch_execnz .LBB123_34
; %bb.31:                               ;   in Loop: Header=BB123_30 Depth=1
	s_or_b32 exec_lo, exec_lo, s18
	global_load_dwordx4 v[9:12], v[5:6], off offset:512
	s_and_saveexec_b32 s18, s1
	s_cbranch_execnz .LBB123_35
.LBB123_32:                             ;   in Loop: Header=BB123_30 Depth=1
	s_or_b32 exec_lo, exec_lo, s18
	global_load_dwordx4 v[21:24], v[5:6], off offset:1024
	s_and_saveexec_b32 s18, s1
	s_cbranch_execnz .LBB123_36
.LBB123_33:                             ;   in Loop: Header=BB123_30 Depth=1
	s_or_b32 exec_lo, exec_lo, s18
	global_load_dwordx4 v[5:8], v[5:6], off offset:1536
	s_and_saveexec_b32 s3, s1
	s_cbranch_execz .LBB123_29
	s_branch .LBB123_37
.LBB123_34:                             ;   in Loop: Header=BB123_30 Depth=1
	v_cmp_gt_i32_e64 s2, s11, v36
	v_cmp_gt_i32_e32 vcc_lo, s15, v45
	v_cmp_gt_i32_e64 s3, s11, v44
	s_waitcnt vmcnt(0)
	v_cndmask_b32_e64 v7, 0, v1, s2
	v_cmp_gt_i32_e64 s2, s15, v43
	v_cndmask_b32_sdwa v1, v33, v1, vcc_lo dst_sel:DWORD dst_unused:UNUSED_PAD src0_sel:DWORD src1_sel:WORD_1
	v_cndmask_b32_e64 v8, 0, v2, s3
	v_cmp_gt_i32_e64 s3, s15, v42
	s_mov_b32 vcc_lo, s2
	v_cmp_gt_i32_e64 s2, s15, v40
	v_cndmask_b32_sdwa v2, v33, v2, vcc_lo dst_sel:DWORD dst_unused:UNUSED_PAD src0_sel:DWORD src1_sel:WORD_1
	v_cmp_gt_i32_e32 vcc_lo, s11, v41
	v_perm_b32 v1, v1, v7, 0x5040100
	v_perm_b32 v2, v2, v8, 0x5040100
	v_cndmask_b32_e32 v9, 0, v3, vcc_lo
	s_mov_b32 vcc_lo, s3
	v_cndmask_b32_sdwa v3, v33, v3, vcc_lo dst_sel:DWORD dst_unused:UNUSED_PAD src0_sel:DWORD src1_sel:WORD_1
	v_cmp_gt_i32_e32 vcc_lo, s11, v39
	v_perm_b32 v3, v3, v9, 0x5040100
	v_cndmask_b32_e32 v10, 0, v4, vcc_lo
	s_mov_b32 vcc_lo, s2
	v_cndmask_b32_sdwa v4, v33, v4, vcc_lo dst_sel:DWORD dst_unused:UNUSED_PAD src0_sel:DWORD src1_sel:WORD_1
	v_perm_b32 v4, v4, v10, 0x5040100
	s_or_b32 exec_lo, exec_lo, s18
	global_load_dwordx4 v[9:12], v[5:6], off offset:512
	s_and_saveexec_b32 s18, s1
	s_cbranch_execz .LBB123_32
.LBB123_35:                             ;   in Loop: Header=BB123_30 Depth=1
	v_cmp_gt_i32_e64 s2, s11, v36
	v_cmp_gt_i32_e32 vcc_lo, s15, v45
	v_cmp_gt_i32_e64 s3, s11, v44
	s_waitcnt vmcnt(0)
	v_cndmask_b32_e64 v7, 0, v9, s2
	v_cmp_gt_i32_e64 s2, s15, v43
	v_cndmask_b32_sdwa v9, v33, v9, vcc_lo dst_sel:DWORD dst_unused:UNUSED_PAD src0_sel:DWORD src1_sel:WORD_1
	v_cndmask_b32_e64 v8, 0, v10, s3
	v_cmp_gt_i32_e64 s3, s15, v42
	s_mov_b32 vcc_lo, s2
	v_cmp_gt_i32_e64 s2, s15, v40
	v_cndmask_b32_sdwa v10, v33, v10, vcc_lo dst_sel:DWORD dst_unused:UNUSED_PAD src0_sel:DWORD src1_sel:WORD_1
	v_cmp_gt_i32_e32 vcc_lo, s11, v41
	v_perm_b32 v9, v9, v7, 0x5040100
	v_perm_b32 v10, v10, v8, 0x5040100
	v_cndmask_b32_e32 v21, 0, v11, vcc_lo
	s_mov_b32 vcc_lo, s3
	v_cndmask_b32_sdwa v11, v33, v11, vcc_lo dst_sel:DWORD dst_unused:UNUSED_PAD src0_sel:DWORD src1_sel:WORD_1
	v_cmp_gt_i32_e32 vcc_lo, s11, v39
	v_perm_b32 v11, v11, v21, 0x5040100
	v_cndmask_b32_e32 v22, 0, v12, vcc_lo
	s_mov_b32 vcc_lo, s2
	v_cndmask_b32_sdwa v12, v33, v12, vcc_lo dst_sel:DWORD dst_unused:UNUSED_PAD src0_sel:DWORD src1_sel:WORD_1
	v_perm_b32 v12, v12, v22, 0x5040100
	s_or_b32 exec_lo, exec_lo, s18
	global_load_dwordx4 v[21:24], v[5:6], off offset:1024
	s_and_saveexec_b32 s18, s1
	s_cbranch_execz .LBB123_33
.LBB123_36:                             ;   in Loop: Header=BB123_30 Depth=1
	v_cmp_gt_i32_e64 s2, s11, v36
	v_cmp_gt_i32_e32 vcc_lo, s15, v45
	v_cmp_gt_i32_e64 s3, s11, v44
	s_waitcnt vmcnt(0)
	v_cndmask_b32_e64 v7, 0, v21, s2
	v_cmp_gt_i32_e64 s2, s15, v43
	v_cndmask_b32_sdwa v21, v33, v21, vcc_lo dst_sel:DWORD dst_unused:UNUSED_PAD src0_sel:DWORD src1_sel:WORD_1
	v_cndmask_b32_e64 v8, 0, v22, s3
	v_cmp_gt_i32_e64 s3, s15, v42
	s_mov_b32 vcc_lo, s2
	v_cmp_gt_i32_e64 s2, s15, v40
	v_cndmask_b32_sdwa v22, v33, v22, vcc_lo dst_sel:DWORD dst_unused:UNUSED_PAD src0_sel:DWORD src1_sel:WORD_1
	v_cmp_gt_i32_e32 vcc_lo, s11, v41
	v_perm_b32 v21, v21, v7, 0x5040100
	v_perm_b32 v22, v22, v8, 0x5040100
	v_cndmask_b32_e32 v46, 0, v23, vcc_lo
	s_mov_b32 vcc_lo, s3
	v_cndmask_b32_sdwa v23, v33, v23, vcc_lo dst_sel:DWORD dst_unused:UNUSED_PAD src0_sel:DWORD src1_sel:WORD_1
	v_cmp_gt_i32_e32 vcc_lo, s11, v39
	v_perm_b32 v23, v23, v46, 0x5040100
	v_cndmask_b32_e32 v47, 0, v24, vcc_lo
	s_mov_b32 vcc_lo, s2
	v_cndmask_b32_sdwa v24, v33, v24, vcc_lo dst_sel:DWORD dst_unused:UNUSED_PAD src0_sel:DWORD src1_sel:WORD_1
	v_perm_b32 v24, v24, v47, 0x5040100
	s_or_b32 exec_lo, exec_lo, s18
	global_load_dwordx4 v[5:8], v[5:6], off offset:1536
	s_and_saveexec_b32 s3, s1
	s_cbranch_execz .LBB123_29
.LBB123_37:                             ;   in Loop: Header=BB123_30 Depth=1
	v_cmp_gt_i32_e64 s1, s11, v36
	v_cmp_gt_i32_e32 vcc_lo, s15, v45
	v_cmp_gt_i32_e64 s2, s11, v44
	s_waitcnt vmcnt(0)
	v_cndmask_b32_e64 v45, 0, v5, s1
	v_cmp_gt_i32_e64 s1, s15, v43
	v_cndmask_b32_sdwa v5, v33, v5, vcc_lo dst_sel:DWORD dst_unused:UNUSED_PAD src0_sel:DWORD src1_sel:WORD_1
	v_cndmask_b32_e64 v43, 0, v6, s2
	v_cmp_gt_i32_e64 s2, s15, v42
	s_mov_b32 vcc_lo, s1
	v_cmp_gt_i32_e64 s1, s15, v40
	v_cndmask_b32_sdwa v6, v33, v6, vcc_lo dst_sel:DWORD dst_unused:UNUSED_PAD src0_sel:DWORD src1_sel:WORD_1
	v_cmp_gt_i32_e32 vcc_lo, s11, v41
	v_perm_b32 v5, v5, v45, 0x5040100
	v_perm_b32 v6, v6, v43, 0x5040100
	v_cndmask_b32_e32 v41, 0, v7, vcc_lo
	s_mov_b32 vcc_lo, s2
	v_cndmask_b32_sdwa v7, v33, v7, vcc_lo dst_sel:DWORD dst_unused:UNUSED_PAD src0_sel:DWORD src1_sel:WORD_1
	v_cmp_gt_i32_e32 vcc_lo, s11, v39
	v_perm_b32 v7, v7, v41, 0x5040100
	v_cndmask_b32_e32 v39, 0, v8, vcc_lo
	s_mov_b32 vcc_lo, s1
	v_cndmask_b32_sdwa v8, v33, v8, vcc_lo dst_sel:DWORD dst_unused:UNUSED_PAD src0_sel:DWORD src1_sel:WORD_1
	v_perm_b32 v8, v8, v39, 0x5040100
	s_branch .LBB123_29
.LBB123_38:
	s_or_b32 exec_lo, exec_lo, s14
.LBB123_39:
	s_or_b32 exec_lo, exec_lo, s4
	v_lshl_add_u32 v2, v28, 2, 0x120
	v_and_b32_e32 v3, 0x3c0, v0
	s_mov_b32 s1, exec_lo
	s_barrier
	v_lshl_add_u32 v1, v27, 9, v2
	buffer_gl0_inv
	v_cmpx_eq_u32_e32 64, v3
	s_cbranch_execz .LBB123_41
; %bb.40:
	v_add_nc_u32_e32 v3, 0xfffffc00, v1
	v_add_nc_u32_e32 v4, 0xfffffc80, v1
	;; [unrolled: 1-line block ×4, first 2 shown]
	ds_write_b32 v3, v32
	ds_write_b32 v4, v31
	;; [unrolled: 1-line block ×4, first 2 shown]
.LBB123_41:
	s_or_b32 exec_lo, exec_lo, s1
	s_waitcnt lgkmcnt(0)
	s_barrier
	buffer_gl0_inv
	s_and_saveexec_b32 s1, s0
	s_cbranch_execz .LBB123_43
; %bb.42:
	ds_read2_b32 v[3:4], v1 offset1:32
	ds_read2_b32 v[5:6], v1 offset0:64 offset1:96
	s_waitcnt lgkmcnt(1)
	v_add_f32_e32 v32, v32, v3
	v_add_f32_e32 v31, v31, v4
	s_waitcnt lgkmcnt(0)
	v_add_f32_e32 v30, v30, v5
	v_add_f32_e32 v29, v29, v6
.LBB123_43:
	s_or_b32 exec_lo, exec_lo, s1
	v_and_b32_e32 v3, 0x3e0, v0
	s_mov_b32 s0, exec_lo
	s_barrier
	buffer_gl0_inv
	v_cmpx_eq_u32_e32 32, v3
	s_cbranch_execz .LBB123_45
; %bb.44:
	ds_write2_b32 v2, v32, v31 offset1:32
	ds_write2_b32 v2, v30, v29 offset0:64 offset1:96
.LBB123_45:
	s_or_b32 exec_lo, exec_lo, s0
	v_cmp_gt_u32_e32 vcc_lo, 32, v0
	s_waitcnt lgkmcnt(0)
	s_barrier
	buffer_gl0_inv
	s_and_saveexec_b32 s0, vcc_lo
	s_cbranch_execz .LBB123_47
; %bb.46:
	ds_read2_b32 v[2:3], v1 offset1:32
	ds_read2_b32 v[4:5], v1 offset0:64 offset1:96
	s_waitcnt lgkmcnt(1)
	v_add_f32_e32 v32, v32, v2
	v_add_f32_e32 v31, v31, v3
	s_waitcnt lgkmcnt(0)
	v_add_f32_e32 v30, v30, v4
	v_add_f32_e32 v29, v29, v5
.LBB123_47:
	s_or_b32 exec_lo, exec_lo, s0
	s_barrier
	buffer_gl0_inv
	s_and_saveexec_b32 s0, vcc_lo
	s_cbranch_execz .LBB123_49
; %bb.48:
	v_bfe_u32 v1, v32, 16, 1
	s_mul_i32 s0, s10, s7
	v_or_b32_e32 v2, 0x400000, v32
	s_mul_i32 s0, s0, s9
	v_bfe_u32 v3, v31, 16, 1
	v_add3_u32 v1, v1, v32, 0x7fff
	v_cmp_u_f32_e32 vcc_lo, v32, v32
	s_lshl_b32 s0, s0, 7
	v_bfe_u32 v4, v30, 16, 1
	s_ashr_i32 s1, s0, 31
	v_add3_u32 v3, v3, v31, 0x7fff
	s_lshl_b64 s[0:1], s[0:1], 1
	v_cndmask_b32_e32 v1, v1, v2, vcc_lo
	v_or_b32_e32 v5, 0x400000, v31
	v_cmp_u_f32_e32 vcc_lo, v31, v31
	s_mul_i32 s2, s7, s6
	s_add_u32 s4, s16, s0
	s_addc_u32 s5, s17, s1
	s_ashr_i32 s3, s2, 31
	v_bfe_u32 v2, v29, 16, 1
	s_lshl_b64 s[0:1], s[2:3], 1
	v_add3_u32 v4, v4, v30, 0x7fff
	v_or_b32_e32 v6, 0x400000, v30
	v_cndmask_b32_e32 v3, v3, v5, vcc_lo
	v_cmp_u_f32_e32 vcc_lo, v30, v30
	s_add_u32 s2, s4, s0
	s_addc_u32 s3, s5, s1
	s_lshl_b32 s0, s8, 7
	v_add3_u32 v2, v2, v29, 0x7fff
	s_ashr_i32 s1, s0, 31
	v_or_b32_e32 v7, 0x400000, v29
	v_cndmask_b32_e32 v4, v4, v6, vcc_lo
	v_cmp_u_f32_e32 vcc_lo, v29, v29
	v_lshlrev_b32_e32 v0, 1, v0
	s_lshl_b64 s[0:1], s[0:1], 1
	s_add_u32 s0, s2, s0
	s_addc_u32 s1, s3, s1
	v_cndmask_b32_e32 v2, v2, v7, vcc_lo
	global_store_short_d16_hi v0, v1, s[0:1]
	global_store_short_d16_hi v0, v3, s[0:1] offset:64
	global_store_short_d16_hi v0, v4, s[0:1] offset:128
	;; [unrolled: 1-line block ×3, first 2 shown]
.LBB123_49:
	s_endpgm
	.section	.rodata,"a",@progbits
	.p2align	6, 0x0
	.amdhsa_kernel _ZN4vllm25paged_attention_v1_kernelI14__hip_bfloat16S1_Li128ELi8ELi128ELNS_18Fp8KVCacheDataTypeE0ELb0EEEvPT_PKS3_PKT0_S9_ifPKiSB_iPKfiiiSD_SD_iiiii
		.amdhsa_group_segment_fixed_size 288
		.amdhsa_private_segment_fixed_size 0
		.amdhsa_kernarg_size 384
		.amdhsa_user_sgpr_count 6
		.amdhsa_user_sgpr_private_segment_buffer 1
		.amdhsa_user_sgpr_dispatch_ptr 0
		.amdhsa_user_sgpr_queue_ptr 0
		.amdhsa_user_sgpr_kernarg_segment_ptr 1
		.amdhsa_user_sgpr_dispatch_id 0
		.amdhsa_user_sgpr_flat_scratch_init 0
		.amdhsa_user_sgpr_private_segment_size 0
		.amdhsa_wavefront_size32 1
		.amdhsa_uses_dynamic_stack 0
		.amdhsa_system_sgpr_private_segment_wavefront_offset 0
		.amdhsa_system_sgpr_workgroup_id_x 1
		.amdhsa_system_sgpr_workgroup_id_y 1
		.amdhsa_system_sgpr_workgroup_id_z 1
		.amdhsa_system_sgpr_workgroup_info 0
		.amdhsa_system_vgpr_workitem_id 0
		.amdhsa_next_free_vgpr 67
		.amdhsa_next_free_sgpr 30
		.amdhsa_reserve_vcc 1
		.amdhsa_reserve_flat_scratch 0
		.amdhsa_float_round_mode_32 0
		.amdhsa_float_round_mode_16_64 0
		.amdhsa_float_denorm_mode_32 3
		.amdhsa_float_denorm_mode_16_64 3
		.amdhsa_dx10_clamp 1
		.amdhsa_ieee_mode 1
		.amdhsa_fp16_overflow 0
		.amdhsa_workgroup_processor_mode 1
		.amdhsa_memory_ordered 1
		.amdhsa_forward_progress 1
		.amdhsa_shared_vgpr_count 0
		.amdhsa_exception_fp_ieee_invalid_op 0
		.amdhsa_exception_fp_denorm_src 0
		.amdhsa_exception_fp_ieee_div_zero 0
		.amdhsa_exception_fp_ieee_overflow 0
		.amdhsa_exception_fp_ieee_underflow 0
		.amdhsa_exception_fp_ieee_inexact 0
		.amdhsa_exception_int_div_zero 0
	.end_amdhsa_kernel
	.section	.text._ZN4vllm25paged_attention_v1_kernelI14__hip_bfloat16S1_Li128ELi8ELi128ELNS_18Fp8KVCacheDataTypeE0ELb0EEEvPT_PKS3_PKT0_S9_ifPKiSB_iPKfiiiSD_SD_iiiii,"axG",@progbits,_ZN4vllm25paged_attention_v1_kernelI14__hip_bfloat16S1_Li128ELi8ELi128ELNS_18Fp8KVCacheDataTypeE0ELb0EEEvPT_PKS3_PKT0_S9_ifPKiSB_iPKfiiiSD_SD_iiiii,comdat
.Lfunc_end123:
	.size	_ZN4vllm25paged_attention_v1_kernelI14__hip_bfloat16S1_Li128ELi8ELi128ELNS_18Fp8KVCacheDataTypeE0ELb0EEEvPT_PKS3_PKT0_S9_ifPKiSB_iPKfiiiSD_SD_iiiii, .Lfunc_end123-_ZN4vllm25paged_attention_v1_kernelI14__hip_bfloat16S1_Li128ELi8ELi128ELNS_18Fp8KVCacheDataTypeE0ELb0EEEvPT_PKS3_PKT0_S9_ifPKiSB_iPKfiiiSD_SD_iiiii
                                        ; -- End function
	.set _ZN4vllm25paged_attention_v1_kernelI14__hip_bfloat16S1_Li128ELi8ELi128ELNS_18Fp8KVCacheDataTypeE0ELb0EEEvPT_PKS3_PKT0_S9_ifPKiSB_iPKfiiiSD_SD_iiiii.num_vgpr, 67
	.set _ZN4vllm25paged_attention_v1_kernelI14__hip_bfloat16S1_Li128ELi8ELi128ELNS_18Fp8KVCacheDataTypeE0ELb0EEEvPT_PKS3_PKT0_S9_ifPKiSB_iPKfiiiSD_SD_iiiii.num_agpr, 0
	.set _ZN4vllm25paged_attention_v1_kernelI14__hip_bfloat16S1_Li128ELi8ELi128ELNS_18Fp8KVCacheDataTypeE0ELb0EEEvPT_PKS3_PKT0_S9_ifPKiSB_iPKfiiiSD_SD_iiiii.numbered_sgpr, 30
	.set _ZN4vllm25paged_attention_v1_kernelI14__hip_bfloat16S1_Li128ELi8ELi128ELNS_18Fp8KVCacheDataTypeE0ELb0EEEvPT_PKS3_PKT0_S9_ifPKiSB_iPKfiiiSD_SD_iiiii.num_named_barrier, 0
	.set _ZN4vllm25paged_attention_v1_kernelI14__hip_bfloat16S1_Li128ELi8ELi128ELNS_18Fp8KVCacheDataTypeE0ELb0EEEvPT_PKS3_PKT0_S9_ifPKiSB_iPKfiiiSD_SD_iiiii.private_seg_size, 0
	.set _ZN4vllm25paged_attention_v1_kernelI14__hip_bfloat16S1_Li128ELi8ELi128ELNS_18Fp8KVCacheDataTypeE0ELb0EEEvPT_PKS3_PKT0_S9_ifPKiSB_iPKfiiiSD_SD_iiiii.uses_vcc, 1
	.set _ZN4vllm25paged_attention_v1_kernelI14__hip_bfloat16S1_Li128ELi8ELi128ELNS_18Fp8KVCacheDataTypeE0ELb0EEEvPT_PKS3_PKT0_S9_ifPKiSB_iPKfiiiSD_SD_iiiii.uses_flat_scratch, 0
	.set _ZN4vllm25paged_attention_v1_kernelI14__hip_bfloat16S1_Li128ELi8ELi128ELNS_18Fp8KVCacheDataTypeE0ELb0EEEvPT_PKS3_PKT0_S9_ifPKiSB_iPKfiiiSD_SD_iiiii.has_dyn_sized_stack, 0
	.set _ZN4vllm25paged_attention_v1_kernelI14__hip_bfloat16S1_Li128ELi8ELi128ELNS_18Fp8KVCacheDataTypeE0ELb0EEEvPT_PKS3_PKT0_S9_ifPKiSB_iPKfiiiSD_SD_iiiii.has_recursion, 0
	.set _ZN4vllm25paged_attention_v1_kernelI14__hip_bfloat16S1_Li128ELi8ELi128ELNS_18Fp8KVCacheDataTypeE0ELb0EEEvPT_PKS3_PKT0_S9_ifPKiSB_iPKfiiiSD_SD_iiiii.has_indirect_call, 0
	.section	.AMDGPU.csdata,"",@progbits
; Kernel info:
; codeLenInByte = 6632
; TotalNumSgprs: 32
; NumVgprs: 67
; ScratchSize: 0
; MemoryBound: 0
; FloatMode: 240
; IeeeMode: 1
; LDSByteSize: 288 bytes/workgroup (compile time only)
; SGPRBlocks: 0
; VGPRBlocks: 8
; NumSGPRsForWavesPerEU: 32
; NumVGPRsForWavesPerEU: 67
; Occupancy: 12
; WaveLimiterHint : 1
; COMPUTE_PGM_RSRC2:SCRATCH_EN: 0
; COMPUTE_PGM_RSRC2:USER_SGPR: 6
; COMPUTE_PGM_RSRC2:TRAP_HANDLER: 0
; COMPUTE_PGM_RSRC2:TGID_X_EN: 1
; COMPUTE_PGM_RSRC2:TGID_Y_EN: 1
; COMPUTE_PGM_RSRC2:TGID_Z_EN: 1
; COMPUTE_PGM_RSRC2:TIDIG_COMP_CNT: 0
	.section	.text._ZN4vllm25paged_attention_v1_kernelI14__hip_bfloat16S1_Li192ELi8ELi128ELNS_18Fp8KVCacheDataTypeE0ELb0EEEvPT_PKS3_PKT0_S9_ifPKiSB_iPKfiiiSD_SD_iiiii,"axG",@progbits,_ZN4vllm25paged_attention_v1_kernelI14__hip_bfloat16S1_Li192ELi8ELi128ELNS_18Fp8KVCacheDataTypeE0ELb0EEEvPT_PKS3_PKT0_S9_ifPKiSB_iPKfiiiSD_SD_iiiii,comdat
	.protected	_ZN4vllm25paged_attention_v1_kernelI14__hip_bfloat16S1_Li192ELi8ELi128ELNS_18Fp8KVCacheDataTypeE0ELb0EEEvPT_PKS3_PKT0_S9_ifPKiSB_iPKfiiiSD_SD_iiiii ; -- Begin function _ZN4vllm25paged_attention_v1_kernelI14__hip_bfloat16S1_Li192ELi8ELi128ELNS_18Fp8KVCacheDataTypeE0ELb0EEEvPT_PKS3_PKT0_S9_ifPKiSB_iPKfiiiSD_SD_iiiii
	.globl	_ZN4vllm25paged_attention_v1_kernelI14__hip_bfloat16S1_Li192ELi8ELi128ELNS_18Fp8KVCacheDataTypeE0ELb0EEEvPT_PKS3_PKT0_S9_ifPKiSB_iPKfiiiSD_SD_iiiii
	.p2align	8
	.type	_ZN4vllm25paged_attention_v1_kernelI14__hip_bfloat16S1_Li192ELi8ELi128ELNS_18Fp8KVCacheDataTypeE0ELb0EEEvPT_PKS3_PKT0_S9_ifPKiSB_iPKfiiiSD_SD_iiiii,@function
_ZN4vllm25paged_attention_v1_kernelI14__hip_bfloat16S1_Li192ELi8ELi128ELNS_18Fp8KVCacheDataTypeE0ELb0EEEvPT_PKS3_PKT0_S9_ifPKiSB_iPKfiiiSD_SD_iiiii: ; @_ZN4vllm25paged_attention_v1_kernelI14__hip_bfloat16S1_Li192ELi8ELi128ELNS_18Fp8KVCacheDataTypeE0ELb0EEEvPT_PKS3_PKT0_S9_ifPKiSB_iPKfiiiSD_SD_iiiii
; %bb.0:
	s_clause 0x2
	s_load_dword s9, s[4:5], 0x80
	s_load_dwordx2 s[0:1], s[4:5], 0x30
	s_load_dwordx2 s[24:25], s[4:5], 0x20
	s_mov_b32 s10, s7
	s_ashr_i32 s11, s7, 31
	s_lshl_b64 s[2:3], s[10:11], 2
	s_waitcnt lgkmcnt(0)
	s_add_u32 s0, s0, s2
	s_addc_u32 s1, s1, s3
	s_abs_i32 s2, s24
	s_abs_i32 s11, s9
	v_cvt_f32_u32_e32 v1, s2
	s_sub_i32 s7, 0, s2
	v_rcp_iflag_f32_e32 v1, v1
	v_mul_f32_e32 v1, 0x4f7ffffe, v1
	v_cvt_u32_f32_e32 v1, v1
	v_readfirstlane_b32 s3, v1
	s_mul_i32 s7, s7, s3
	s_mul_hi_u32 s7, s3, s7
	s_add_i32 s3, s3, s7
	s_xor_b32 s7, s9, s24
	s_mul_hi_u32 s3, s11, s3
	s_ashr_i32 s7, s7, 31
	s_mul_i32 s12, s3, s2
	s_mov_b32 s24, 0
	s_sub_i32 s11, s11, s12
	s_add_i32 s12, s3, 1
	s_sub_i32 s13, s11, s2
	s_cmp_ge_u32 s11, s2
	s_cselect_b32 s3, s12, s3
	s_cselect_b32 s11, s13, s11
	s_add_i32 s12, s3, 1
	s_cmp_ge_u32 s11, s2
	s_cselect_b32 s2, s12, s3
	s_abs_i32 s17, s6
	s_xor_b32 s2, s2, s7
	s_sub_i32 s18, s2, s7
	s_load_dwordx2 s[2:3], s[4:5], 0x40
	s_abs_i32 s16, s18
	v_cvt_f32_u32_e32 v1, s16
	s_sub_i32 s11, 0, s16
	v_rcp_iflag_f32_e32 v1, v1
	v_mul_f32_e32 v1, 0x4f7ffffe, v1
	v_cvt_u32_f32_e32 v1, v1
	v_readfirstlane_b32 s7, v1
	s_mul_i32 s11, s11, s7
	s_mul_hi_u32 s11, s7, s11
	s_add_i32 s7, s7, s11
	s_waitcnt lgkmcnt(0)
	s_cmp_eq_u64 s[2:3], 0
	s_mul_hi_u32 s20, s17, s7
	s_cbranch_scc1 .LBB124_2
; %bb.1:
	s_ashr_i32 s7, s6, 31
	s_lshl_b64 s[12:13], s[6:7], 2
	s_add_u32 s2, s2, s12
	s_addc_u32 s3, s3, s13
	s_load_dword s24, s[2:3], 0x0
.LBB124_2:
	s_load_dword s11, s[0:1], 0x0
	s_load_dwordx4 s[12:15], s[4:5], 0x48
	v_and_b32_e32 v1, 3, v0
	v_lshlrev_b32_e32 v2, 2, v0
	s_ashr_i32 s0, s6, 31
	s_ashr_i32 s1, s18, 31
	s_mulk_i32 s6, 0xc0
	s_mov_b32 s2, exec_lo
	v_cmpx_gt_u32_e32 0x60, v0
	s_cbranch_execz .LBB124_4
; %bb.3:
	s_load_dwordx2 s[18:19], s[4:5], 0x8
	s_waitcnt lgkmcnt(0)
	s_mul_i32 s22, s12, s10
	v_and_b32_e32 v4, 0x3fc, v0
	s_ashr_i32 s23, s22, 31
	s_lshl_b64 s[22:23], s[22:23], 1
	v_mad_u32_u24 v4, 0x60, v1, v4
	s_add_u32 s3, s18, s22
	s_addc_u32 s12, s19, s23
	s_ashr_i32 s7, s6, 31
	s_lshl_b64 s[18:19], s[6:7], 1
	s_add_u32 s18, s3, s18
	s_addc_u32 s19, s12, s19
	global_load_dword v3, v2, s[18:19]
	s_waitcnt vmcnt(0)
	ds_write_b32 v4, v3
.LBB124_4:
	s_or_b32 exec_lo, exec_lo, s2
	s_waitcnt lgkmcnt(0)
	s_add_i32 s2, s11, 7
	s_clause 0x1
	s_load_dwordx2 s[18:19], s[4:5], 0x28
	s_load_dword s7, s[4:5], 0x38
	s_ashr_i32 s3, s2, 31
	s_xor_b32 s0, s0, s1
	s_lshr_b32 s3, s3, 29
	s_mul_i32 s1, s20, s16
	s_add_i32 s2, s2, s3
	s_sub_i32 s1, s17, s1
	s_ashr_i32 s12, s2, 3
	s_add_i32 s2, s20, 1
	s_sub_i32 s3, s1, s16
	s_cmp_ge_u32 s1, s16
	v_lshrrev_b32_e32 v35, 5, v0
	s_cselect_b32 s2, s2, s20
	s_cselect_b32 s1, s3, s1
	s_add_i32 s3, s2, 1
	s_cmp_ge_u32 s1, s16
	v_mbcnt_lo_u32_b32 v4, -1, 0
	s_cselect_b32 s1, s3, s2
	s_mov_b32 s2, exec_lo
	s_xor_b32 s1, s1, s0
	s_waitcnt lgkmcnt(0)
	s_mul_i32 s20, s7, s10
	s_sub_i32 s1, s1, s0
	v_cmp_gt_i32_e64 s0, s12, v35
	s_ashr_i32 s21, s20, 31
	s_barrier
	buffer_gl0_inv
                                        ; implicit-def: $vgpr5
                                        ; implicit-def: $vgpr6
	v_cmpx_le_i32_e64 s12, v35
	s_xor_b32 s2, exec_lo, s2
; %bb.5:
	v_mov_b32_e32 v5, 0
	v_mbcnt_lo_u32_b32 v4, -1, 0
	v_mov_b32_e32 v6, 32
                                        ; implicit-def: $vgpr2
                                        ; implicit-def: $vgpr1
; %bb.6:
	s_or_saveexec_b32 s26, s2
	s_clause 0x2
	s_load_dwordx2 s[16:17], s[4:5], 0x0
	s_load_dwordx2 s[22:23], s[4:5], 0x18
	s_load_dword s7, s[4:5], 0x88
	v_mov_b32_e32 v56, 0xff7fffff
	v_lshrrev_b32_e32 v3, 3, v0
	s_mul_i32 s14, s1, s14
	s_xor_b32 exec_lo, exec_lo, s26
	s_cbranch_execz .LBB124_12
; %bb.7:
	s_load_dwordx2 s[2:3], s[4:5], 0x10
	v_mul_u32_u24_e32 v5, 0x60, v1
	v_bfe_u32 v6, v0, 2, 3
	s_ashr_i32 s15, s14, 31
	v_xor_b32_e32 v57, 1, v4
	ds_read_b128 v[11:14], v5
	ds_read_b128 v[19:22], v5 offset:16
	ds_read_b128 v[27:30], v5 offset:32
	;; [unrolled: 1-line block ×5, first 2 shown]
	v_xor_b32_e32 v5, 2, v4
	v_lshlrev_b32_e32 v56, 4, v6
	s_lshl_b64 s[4:5], s[14:15], 1
	v_and_b32_e32 v2, 12, v2
	v_lshl_or_b32 v61, v35, 3, v6
	v_cmp_gt_i32_e32 vcc_lo, 32, v5
	v_mov_b32_e32 v63, v35
	s_mov_b32 s15, s13
	v_cndmask_b32_e32 v5, v4, v5, vcc_lo
	s_waitcnt lgkmcnt(0)
	s_add_u32 s1, s2, s4
	v_cmp_gt_i32_e32 vcc_lo, 32, v57
	v_add_co_u32 v56, s1, s1, v56
	s_addc_u32 s2, s3, s5
	s_sub_i32 s4, 1, s11
	v_add_co_ci_u32_e64 v58, null, s2, 0, s1
	v_cndmask_b32_e32 v60, v4, v57, vcc_lo
	v_add_co_u32 v57, vcc_lo, v56, v2
	v_lshlrev_b32_e32 v2, 2, v6
	v_add_co_ci_u32_e64 v58, null, 0, v58, vcc_lo
	v_cmp_eq_u32_e32 vcc_lo, 0, v1
	s_lshl_b64 s[2:3], s[20:21], 2
	v_lshl_or_b32 v1, v35, 5, v2
	v_and_b32_e32 v2, 0x7c, v3
	s_add_u32 s2, s18, s2
	s_addc_u32 s3, s19, s3
	v_lshlrev_b32_e32 v7, 16, v11
	v_add_nc_u32_e32 v62, 0x1a0, v1
	v_add_co_u32 v1, s2, s2, v2
	v_and_b32_e32 v8, 0xffff0000, v11
	v_lshlrev_b32_e32 v9, 16, v12
	v_and_b32_e32 v10, 0xffff0000, v12
	v_lshlrev_b32_e32 v11, 16, v13
	;; [unrolled: 2-line block ×24, first 2 shown]
	v_lshlrev_b32_e32 v60, 2, v60
	v_cmp_neq_f32_e64 s1, s24, 0
	v_add_co_ci_u32_e64 v2, null, s3, 0, s2
	v_mov_b32_e32 v5, 0
	v_mov_b32_e32 v6, 32
	;; [unrolled: 1-line block ×3, first 2 shown]
	s_mov_b32 s5, 0
	s_branch .LBB124_9
.LBB124_8:                              ;   in Loop: Header=BB124_9 Depth=1
	s_or_b32 exec_lo, exec_lo, s3
	v_add_nc_u32_e32 v63, 4, v63
	v_add_co_u32 v1, s3, v1, 16
	v_add_nc_u32_e32 v61, 32, v61
	v_add_nc_u32_e32 v62, 0x80, v62
	v_cmp_le_i32_e64 s2, s12, v63
	v_add_co_ci_u32_e64 v2, null, 0, v2, s3
	s_or_b32 s5, s2, s5
	s_andn2_b32 exec_lo, exec_lo, s5
	s_cbranch_execz .LBB124_11
.LBB124_9:                              ; =>This Inner Loop Header: Depth=1
	global_load_dword v64, v[1:2], off
	s_waitcnt vmcnt(0) lgkmcnt(0)
	v_mad_i64_i32 v[64:65], null, v64, s15, 0
	v_lshlrev_b64 v[64:65], 1, v[64:65]
	v_add_co_u32 v64, s2, v57, v64
	v_add_co_ci_u32_e64 v65, null, v58, v65, s2
	s_clause 0xe
	global_load_dword v68, v[64:65], off offset:128
	global_load_dword v69, v[64:65], off offset:256
	;; [unrolled: 1-line block ×7, first 2 shown]
	global_load_dword v75, v[64:65], off
	global_load_dword v76, v[64:65], off offset:1024
	global_load_dword v77, v[64:65], off offset:1152
	;; [unrolled: 1-line block ×7, first 2 shown]
	v_add_co_u32 v66, s2, 0x800, v64
	v_add_co_ci_u32_e64 v67, null, 0, v65, s2
	s_clause 0x8
	global_load_dword v64, v[64:65], off offset:1920
	global_load_dword v65, v[66:67], off
	global_load_dword v83, v[66:67], off offset:128
	global_load_dword v84, v[66:67], off offset:256
	;; [unrolled: 1-line block ×7, first 2 shown]
	s_waitcnt vmcnt(23)
	v_lshlrev_b32_e32 v67, 16, v68
	v_and_b32_e32 v68, 0xffff0000, v68
	s_waitcnt vmcnt(22)
	v_lshlrev_b32_e32 v90, 16, v69
	v_and_b32_e32 v69, 0xffff0000, v69
	v_mul_f32_e32 v67, v9, v67
	v_mul_f32_e32 v68, v10, v68
	s_waitcnt vmcnt(16)
	v_lshlrev_b32_e32 v89, 16, v75
	v_and_b32_e32 v75, 0xffff0000, v75
	v_fmac_f32_e32 v67, v7, v89
	v_fmac_f32_e32 v68, v8, v75
	v_lshlrev_b32_e32 v75, 16, v70
	v_and_b32_e32 v70, 0xffff0000, v70
	v_fmac_f32_e32 v67, v11, v90
	v_fmac_f32_e32 v68, v12, v69
	;; [unrolled: 4-line block ×6, first 2 shown]
	s_waitcnt vmcnt(15)
	v_lshlrev_b32_e32 v69, 16, v76
	v_and_b32_e32 v71, 0xffff0000, v76
	v_fmac_f32_e32 v67, v21, v70
	v_fmac_f32_e32 v68, v22, v72
	s_waitcnt vmcnt(14)
	v_lshlrev_b32_e32 v70, 16, v77
	v_and_b32_e32 v72, 0xffff0000, v77
	v_fmac_f32_e32 v67, v23, v69
	v_fmac_f32_e32 v68, v24, v71
	;; [unrolled: 5-line block ×16, first 2 shown]
	v_fmac_f32_e32 v67, v54, v64
	v_fmac_f32_e32 v68, v55, v66
	v_add_f32_e32 v64, v67, v68
	ds_bpermute_b32 v65, v59, v64
	s_waitcnt lgkmcnt(0)
	v_add_f32_e32 v64, v64, v65
	ds_bpermute_b32 v65, v60, v64
	s_and_saveexec_b32 s3, vcc_lo
	s_cbranch_execz .LBB124_8
; %bb.10:                               ;   in Loop: Header=BB124_9 Depth=1
	v_add_nc_u32_e32 v66, s4, v61
	s_waitcnt lgkmcnt(0)
	v_add_f32_e32 v64, v64, v65
	v_cmp_gt_i32_e64 s2, s11, v61
	v_cvt_f32_i32_e32 v66, v66
	v_mul_f32_e32 v66, s24, v66
	v_cndmask_b32_e64 v65, 0, v66, s1
	v_max_f32_e32 v66, v56, v56
	v_fmac_f32_e32 v65, s25, v64
	v_max_f32_e32 v64, v66, v65
	v_cndmask_b32_e64 v65, 0, v65, s2
	v_cndmask_b32_e64 v56, v56, v64, s2
	ds_write_b32 v62, v65
	s_branch .LBB124_8
.LBB124_11:
	s_or_b32 exec_lo, exec_lo, s5
.LBB124_12:
	s_or_b32 exec_lo, exec_lo, s26
	v_xor_b32_e32 v1, 16, v4
	v_xor_b32_e32 v7, 8, v4
	v_max_f32_e32 v8, v56, v56
	v_xor_b32_e32 v9, 4, v4
	v_and_b32_e32 v36, 31, v0
	v_cmp_lt_i32_e32 vcc_lo, v1, v6
	v_cndmask_b32_e32 v1, v4, v1, vcc_lo
	v_cmp_lt_i32_e32 vcc_lo, v7, v6
	v_lshlrev_b32_e32 v2, 2, v1
	v_cndmask_b32_e32 v7, v4, v7, vcc_lo
	v_cmp_lt_i32_e32 vcc_lo, v9, v6
	ds_bpermute_b32 v1, v2, v56
	v_lshlrev_b32_e32 v7, 2, v7
	v_cndmask_b32_e32 v9, v4, v9, vcc_lo
	v_cmp_eq_u32_e32 vcc_lo, 0, v36
	v_lshlrev_b32_e32 v10, 2, v9
	s_waitcnt lgkmcnt(0)
	v_max_f32_e32 v1, v1, v1
	v_max_f32_e32 v1, v8, v1
	ds_bpermute_b32 v8, v7, v1
	s_waitcnt lgkmcnt(0)
	v_max_f32_e32 v8, v8, v8
	v_max_f32_e32 v1, v1, v8
	v_lshlrev_b32_e32 v8, 2, v35
	ds_bpermute_b32 v9, v10, v1
	s_and_saveexec_b32 s1, vcc_lo
	s_cbranch_execz .LBB124_14
; %bb.13:
	s_waitcnt lgkmcnt(0)
	v_max_f32_e32 v9, v9, v9
	v_max_f32_e32 v1, v1, v1
	;; [unrolled: 1-line block ×3, first 2 shown]
	ds_write_b32 v8, v1 offset:384
.LBB124_14:
	s_or_b32 exec_lo, exec_lo, s1
	v_cmp_gt_u32_e64 s1, 4, v36
	v_mov_b32_e32 v1, 0xff7fffff
	s_waitcnt lgkmcnt(0)
	v_lshlrev_b32_e32 v9, 2, v36
	s_barrier
	buffer_gl0_inv
	s_and_saveexec_b32 s2, s1
; %bb.15:
	ds_read_b32 v1, v9 offset:384
; %bb.16:
	s_or_b32 exec_lo, exec_lo, s2
	v_xor_b32_e32 v11, 2, v4
	v_xor_b32_e32 v13, 1, v4
	v_lshlrev_b32_e32 v5, 2, v5
	v_cmp_lt_i32_e64 s2, v11, v6
	v_cndmask_b32_e64 v11, v4, v11, s2
	v_cmp_lt_i32_e64 s2, v13, v6
	v_lshlrev_b32_e32 v11, 2, v11
	v_cndmask_b32_e64 v6, v4, v13, s2
	s_lshl_b32 s2, s12, 3
	s_min_i32 s4, s2, s11
	s_waitcnt lgkmcnt(0)
	ds_bpermute_b32 v12, v11, v1
	v_max_f32_e32 v1, v1, v1
	v_lshlrev_b32_e32 v6, 2, v6
	v_cmp_gt_i32_e64 s2, s4, v0
	s_waitcnt lgkmcnt(0)
	v_max_f32_e32 v12, v12, v12
	v_max_f32_e32 v1, v1, v12
	ds_bpermute_b32 v12, v6, v1
	s_waitcnt lgkmcnt(0)
	v_max_f32_e32 v12, v12, v12
	v_max_f32_e32 v1, v1, v12
	ds_bpermute_b32 v12, v5, v1
	v_mov_b32_e32 v5, 0
	v_lshl_add_u32 v1, v0, 2, 0x1a0
	s_and_saveexec_b32 s5, s2
	s_cbranch_execz .LBB124_20
; %bb.17:
	v_lshl_add_u32 v13, v0, 2, 0x1a0
	v_mov_b32_e32 v5, 0
	v_mov_b32_e32 v14, v0
	s_mov_b32 s15, 0
	.p2align	6
.LBB124_18:                             ; =>This Inner Loop Header: Depth=1
	ds_read_b32 v15, v13
	v_add_nc_u32_e32 v14, 0x80, v14
	v_cmp_le_i32_e64 s3, s4, v14
	s_or_b32 s15, s3, s15
	s_waitcnt lgkmcnt(0)
	v_sub_f32_e32 v15, v15, v12
	v_mul_f32_e32 v15, 0x3fb8aa3b, v15
	v_exp_f32_e32 v15, v15
	ds_write_b32 v13, v15
	v_add_f32_e32 v5, v5, v15
	v_add_nc_u32_e32 v13, 0x200, v13
	s_andn2_b32 exec_lo, exec_lo, s15
	s_cbranch_execnz .LBB124_18
; %bb.19:
	s_or_b32 exec_lo, exec_lo, s15
.LBB124_20:
	s_or_b32 exec_lo, exec_lo, s5
	ds_bpermute_b32 v2, v2, v5
	s_waitcnt lgkmcnt(0)
	v_add_f32_e32 v2, v5, v2
	ds_bpermute_b32 v5, v7, v2
	s_waitcnt lgkmcnt(0)
	v_add_f32_e32 v2, v2, v5
	;; [unrolled: 3-line block ×5, first 2 shown]
	s_and_saveexec_b32 s3, vcc_lo
; %bb.21:
	ds_write_b32 v8, v2 offset:400
; %bb.22:
	s_or_b32 exec_lo, exec_lo, s3
	s_waitcnt lgkmcnt(0)
	s_barrier
	buffer_gl0_inv
	s_and_saveexec_b32 s3, s1
; %bb.23:
	ds_read_b32 v2, v9 offset:400
; %bb.24:
	s_or_b32 exec_lo, exec_lo, s3
	s_waitcnt lgkmcnt(0)
	ds_bpermute_b32 v5, v11, v2
	v_lshlrev_b32_e32 v4, 2, v4
	v_and_b32_e32 v4, 0xffffff80, v4
	s_waitcnt lgkmcnt(0)
	v_add_f32_e32 v2, v2, v5
	ds_bpermute_b32 v5, v6, v2
	s_waitcnt lgkmcnt(0)
	v_add_f32_e32 v2, v2, v5
	ds_bpermute_b32 v2, v4, v2
	s_and_saveexec_b32 s1, s2
	s_cbranch_execz .LBB124_27
; %bb.25:
	s_waitcnt lgkmcnt(0)
	v_add_f32_e32 v2, 0x358637bd, v2
	s_mov_b32 s2, 0
	v_div_scale_f32 v4, null, v2, v2, 1.0
	v_div_scale_f32 v7, vcc_lo, 1.0, v2, 1.0
	v_rcp_f32_e32 v5, v4
	v_fma_f32 v6, -v4, v5, 1.0
	v_fmac_f32_e32 v5, v6, v5
	v_mul_f32_e32 v6, v7, v5
	v_fma_f32 v8, -v4, v6, v7
	v_fmac_f32_e32 v6, v8, v5
	v_fma_f32 v4, -v4, v6, v7
	v_div_fmas_f32 v4, v4, v5, v6
	v_div_fixup_f32 v2, v4, v2, 1.0
	v_mov_b32_e32 v4, v0
.LBB124_26:                             ; =>This Inner Loop Header: Depth=1
	ds_read_b32 v5, v1
	v_add_nc_u32_e32 v4, 0x80, v4
	v_cmp_le_i32_e32 vcc_lo, s4, v4
	s_or_b32 s2, vcc_lo, s2
	s_waitcnt lgkmcnt(0)
	v_mul_f32_e32 v5, v2, v5
	ds_write_b32 v1, v5
	v_add_nc_u32_e32 v1, 0x200, v1
	s_andn2_b32 exec_lo, exec_lo, s2
	s_cbranch_execnz .LBB124_26
.LBB124_27:
	s_or_b32 exec_lo, exec_lo, s1
	v_mov_b32_e32 v42, 0
	v_mov_b32_e32 v41, 0
	;; [unrolled: 1-line block ×6, first 2 shown]
	s_waitcnt lgkmcnt(0)
	s_barrier
	buffer_gl0_inv
	s_and_saveexec_b32 s3, s0
	s_cbranch_execz .LBB124_43
; %bb.28:
	s_ashr_i32 s15, s14, 31
	v_lshlrev_b32_e32 v1, 4, v36
	s_lshl_b64 s[0:1], s[14:15], 1
	v_mov_b32_e32 v43, 0
	s_add_u32 s0, s22, s0
	s_addc_u32 s1, s23, s1
	v_add_co_u32 v44, s0, s0, v1
	v_and_b32_e32 v1, 0x7c, v3
	v_add_co_ci_u32_e64 v45, null, s1, 0, s0
	s_lshl_b64 s[0:1], s[20:21], 2
	s_add_i32 s4, s12, -1
	s_add_u32 s0, s18, s0
	s_addc_u32 s1, s19, s1
	v_add_co_u32 v33, s0, s0, v1
	v_lshlrev_b32_e32 v46, 3, v35
	v_lshl_add_u32 v47, v35, 5, 0x1a0
	v_add_co_ci_u32_e64 v34, null, s1, 0, s0
	v_mov_b32_e32 v37, 0
	v_mov_b32_e32 v38, 0
	;; [unrolled: 1-line block ×7, first 2 shown]
	s_mov_b32 s5, s13
	s_mov_b32 s14, s11
	;; [unrolled: 1-line block ×3, first 2 shown]
	s_branch .LBB124_30
.LBB124_29:                             ;   in Loop: Header=BB124_30 Depth=1
	s_or_b32 exec_lo, exec_lo, s2
	s_waitcnt lgkmcnt(1)
	v_bfe_u32 v49, v25, 16, 1
	v_bfe_u32 v50, v26, 16, 1
	v_or_b32_e32 v51, 0x400000, v25
	v_cmp_u_f32_e32 vcc_lo, v25, v25
	v_or_b32_e32 v52, 0x400000, v26
	v_add3_u32 v49, v49, v25, 0x7fff
	v_bfe_u32 v53, v27, 16, 1
	v_add3_u32 v50, v50, v26, 0x7fff
	v_bfe_u32 v54, v28, 16, 1
	s_waitcnt vmcnt(1)
	v_and_b32_e32 v56, 0xffff0000, v32
	v_cndmask_b32_e32 v25, v49, v51, vcc_lo
	v_cmp_u_f32_e32 vcc_lo, v26, v26
	v_add3_u32 v49, v53, v27, 0x7fff
	v_add3_u32 v51, v54, v28, 0x7fff
	s_waitcnt lgkmcnt(0)
	v_bfe_u32 v53, v21, 16, 1
	v_and_b32_e32 v25, 0xffff0000, v25
	v_cndmask_b32_e32 v26, v50, v52, vcc_lo
	v_or_b32_e32 v50, 0x400000, v27
	v_cmp_u_f32_e32 vcc_lo, v27, v27
	v_or_b32_e32 v52, 0x400000, v28
	v_lshlrev_b32_e32 v32, 16, v32
	v_add_nc_u32_e32 v48, 4, v48
	v_add_co_u32 v33, s0, v33, 16
	v_cndmask_b32_e32 v27, v49, v50, vcc_lo
	v_cmp_u_f32_e32 vcc_lo, v28, v28
	v_bfe_u32 v49, v22, 16, 1
	v_add3_u32 v50, v53, v21, 0x7fff
	v_bfe_u32 v53, v23, 16, 1
	v_add_nc_u32_e32 v46, 32, v46
	v_cndmask_b32_e32 v28, v51, v52, vcc_lo
	v_or_b32_e32 v51, 0x400000, v21
	v_cmp_u_f32_e32 vcc_lo, v21, v21
	v_add3_u32 v49, v49, v22, 0x7fff
	v_or_b32_e32 v52, 0x400000, v22
	v_and_b32_e32 v21, 0xffff0000, v26
	v_and_b32_e32 v26, 0xffff0000, v29
	v_cndmask_b32_e32 v50, v50, v51, vcc_lo
	v_cmp_u_f32_e32 vcc_lo, v22, v22
	v_add3_u32 v22, v53, v23, 0x7fff
	v_bfe_u32 v51, v24, 16, 1
	v_lshlrev_b32_e32 v29, 16, v29
	v_mul_f32_e32 v26, v21, v26
	v_cndmask_b32_e32 v49, v49, v52, vcc_lo
	v_or_b32_e32 v52, 0x400000, v23
	v_cmp_u_f32_e32 vcc_lo, v23, v23
	v_add3_u32 v51, v51, v24, 0x7fff
	v_or_b32_e32 v53, 0x400000, v24
	v_mul_f32_e32 v29, v25, v29
	v_bfe_u32 v23, v26, 16, 1
	v_cndmask_b32_e32 v52, v22, v52, vcc_lo
	v_cmp_u_f32_e32 vcc_lo, v24, v24
	v_and_b32_e32 v22, 0xffff0000, v28
	v_and_b32_e32 v28, 0xffff0000, v30
	v_add3_u32 v23, v23, v26, 0x7fff
	v_or_b32_e32 v54, 0x400000, v29
	v_cndmask_b32_e32 v24, v51, v53, vcc_lo
	v_bfe_u32 v51, v29, 16, 1
	v_or_b32_e32 v53, 0x400000, v26
	v_cmp_u_f32_e32 vcc_lo, v26, v26
	v_mul_f32_e32 v55, v22, v28
	v_and_b32_e32 v28, 0xffff0000, v27
	v_add3_u32 v51, v51, v29, 0x7fff
	v_lshlrev_b32_e32 v27, 16, v30
	v_cndmask_b32_e32 v30, v23, v53, vcc_lo
	v_cmp_u_f32_e32 vcc_lo, v29, v29
	v_and_b32_e32 v23, 0xffff0000, v49
	v_and_b32_e32 v49, 0xffff0000, v31
	v_mul_f32_e32 v27, v28, v27
	v_and_b32_e32 v26, 0xffff0000, v50
	v_cndmask_b32_e32 v29, v51, v54, vcc_lo
	v_bfe_u32 v51, v55, 16, 1
	v_lshlrev_b32_e32 v31, 16, v31
	v_bfe_u32 v53, v27, 16, 1
	v_mul_f32_e32 v49, v23, v49
	v_cmp_u_f32_e32 vcc_lo, v55, v55
	v_add3_u32 v50, v51, v55, 0x7fff
	v_or_b32_e32 v51, 0x400000, v55
	v_mul_f32_e32 v31, v26, v31
	v_bfe_u32 v54, v49, 16, 1
	v_and_b32_e32 v24, 0xffff0000, v24
	v_and_b32_e32 v29, 0xffff0000, v29
	v_cndmask_b32_e32 v50, v50, v51, vcc_lo
	v_add3_u32 v51, v53, v27, 0x7fff
	v_or_b32_e32 v53, 0x400000, v27
	v_cmp_u_f32_e32 vcc_lo, v27, v27
	v_bfe_u32 v55, v31, 16, 1
	v_mul_f32_e32 v56, v24, v56
	v_and_b32_e32 v27, 0xffff0000, v52
	v_or_b32_e32 v52, 0x400000, v31
	v_cndmask_b32_e32 v51, v51, v53, vcc_lo
	v_add3_u32 v53, v54, v49, 0x7fff
	v_or_b32_e32 v54, 0x400000, v49
	v_cmp_u_f32_e32 vcc_lo, v49, v49
	v_add3_u32 v55, v55, v31, 0x7fff
	v_bfe_u32 v57, v56, 16, 1
	v_mul_f32_e32 v32, v27, v32
	v_and_b32_e32 v30, 0xffff0000, v30
	v_cndmask_b32_e32 v49, v53, v54, vcc_lo
	v_cmp_u_f32_e32 vcc_lo, v31, v31
	v_or_b32_e32 v53, 0x400000, v56
	v_bfe_u32 v54, v32, 16, 1
	v_and_b32_e32 v51, 0xffff0000, v51
	v_and_b32_e32 v50, 0xffff0000, v50
	v_cndmask_b32_e32 v31, v55, v52, vcc_lo
	v_add3_u32 v52, v57, v56, 0x7fff
	v_cmp_u_f32_e32 vcc_lo, v56, v56
	v_add_f32_e32 v29, v29, v30
	v_add_f32_e32 v30, v51, v50
	v_and_b32_e32 v50, 0xffff0000, v17
	v_and_b32_e32 v31, 0xffff0000, v31
	v_cndmask_b32_e32 v52, v52, v53, vcc_lo
	v_add3_u32 v53, v54, v32, 0x7fff
	v_or_b32_e32 v54, 0x400000, v32
	v_cmp_u_f32_e32 vcc_lo, v32, v32
	v_and_b32_e32 v49, 0xffff0000, v49
	v_lshlrev_b32_e32 v17, 16, v17
	v_add_f32_e32 v29, v30, v29
	v_mul_f32_e32 v30, v21, v50
	v_cndmask_b32_e32 v32, v53, v54, vcc_lo
	v_add_f32_e32 v31, v31, v49
	v_mul_f32_e32 v17, v25, v17
	v_and_b32_e32 v49, 0xffff0000, v52
	v_bfe_u32 v50, v30, 16, 1
	v_and_b32_e32 v32, 0xffff0000, v32
	v_add_f32_e32 v29, v31, v29
	v_bfe_u32 v31, v17, 16, 1
	v_and_b32_e32 v51, 0xffff0000, v18
	v_cmp_u_f32_e32 vcc_lo, v30, v30
	v_add_f32_e32 v32, v32, v49
	v_add3_u32 v49, v50, v30, 0x7fff
	v_or_b32_e32 v50, 0x400000, v30
	v_add3_u32 v31, v31, v17, 0x7fff
	v_mul_f32_e32 v51, v22, v51
	v_or_b32_e32 v52, 0x400000, v17
	v_lshlrev_b32_e32 v18, 16, v18
	v_cndmask_b32_e32 v30, v49, v50, vcc_lo
	v_cmp_u_f32_e32 vcc_lo, v17, v17
	v_bfe_u32 v49, v51, 16, 1
	v_or_b32_e32 v50, 0x400000, v51
	v_mul_f32_e32 v18, v28, v18
	v_and_b32_e32 v53, 0xffff0000, v20
	v_cndmask_b32_e32 v17, v31, v52, vcc_lo
	v_and_b32_e32 v31, 0xffff0000, v19
	v_add3_u32 v49, v49, v51, 0x7fff
	v_lshlrev_b32_e32 v19, 16, v19
	v_bfe_u32 v52, v18, 16, 1
	v_cmp_u_f32_e32 vcc_lo, v51, v51
	v_mul_f32_e32 v31, v23, v31
	v_or_b32_e32 v51, 0x400000, v18
	v_mul_f32_e32 v19, v26, v19
	v_lshlrev_b32_e32 v20, 16, v20
	v_cndmask_b32_e32 v49, v49, v50, vcc_lo
	v_add3_u32 v50, v52, v18, 0x7fff
	v_bfe_u32 v52, v31, 16, 1
	v_cmp_u_f32_e32 vcc_lo, v18, v18
	v_bfe_u32 v54, v19, 16, 1
	v_mul_f32_e32 v20, v27, v20
	v_and_b32_e32 v17, 0xffff0000, v17
	v_and_b32_e32 v30, 0xffff0000, v30
	v_cndmask_b32_e32 v18, v50, v51, vcc_lo
	v_add3_u32 v50, v52, v31, 0x7fff
	v_mul_f32_e32 v51, v24, v53
	v_or_b32_e32 v52, 0x400000, v31
	v_cmp_u_f32_e32 vcc_lo, v31, v31
	v_add3_u32 v53, v54, v19, 0x7fff
	v_or_b32_e32 v54, 0x400000, v19
	v_bfe_u32 v55, v51, 16, 1
	v_and_b32_e32 v18, 0xffff0000, v18
	v_cndmask_b32_e32 v31, v50, v52, vcc_lo
	v_cmp_u_f32_e32 vcc_lo, v19, v19
	v_or_b32_e32 v52, 0x400000, v51
	v_add3_u32 v50, v55, v51, 0x7fff
	v_and_b32_e32 v49, 0xffff0000, v49
	v_add_f32_e32 v17, v17, v30
	v_cndmask_b32_e32 v19, v53, v54, vcc_lo
	v_bfe_u32 v53, v20, 16, 1
	v_cmp_u_f32_e32 vcc_lo, v51, v51
	v_add_f32_e32 v18, v18, v49
	v_and_b32_e32 v30, 0xffff0000, v31
	v_and_b32_e32 v19, 0xffff0000, v19
	v_add3_u32 v51, v53, v20, 0x7fff
	v_cndmask_b32_e32 v50, v50, v52, vcc_lo
	v_or_b32_e32 v52, 0x400000, v20
	v_cmp_u_f32_e32 vcc_lo, v20, v20
	v_add_f32_e32 v17, v18, v17
	v_and_b32_e32 v18, 0xffff0000, v13
	v_add_f32_e32 v19, v19, v30
	v_lshlrev_b32_e32 v13, 16, v13
	v_cndmask_b32_e32 v20, v51, v52, vcc_lo
	v_and_b32_e32 v30, 0xffff0000, v50
	v_mul_f32_e32 v18, v21, v18
	v_add_f32_e32 v29, v32, v29
	v_mul_f32_e32 v31, v25, v13
	v_and_b32_e32 v20, 0xffff0000, v20
	v_add_f32_e32 v13, v19, v17
	v_bfe_u32 v19, v18, 16, 1
	v_add_f32_e32 v38, v38, v29
	v_and_b32_e32 v29, 0xffff0000, v14
	v_add_f32_e32 v17, v20, v30
	v_bfe_u32 v20, v31, 16, 1
	v_cmp_u_f32_e32 vcc_lo, v18, v18
	v_or_b32_e32 v30, 0x400000, v31
	v_mul_f32_e32 v29, v22, v29
	v_add_f32_e32 v13, v17, v13
	v_add3_u32 v17, v19, v18, 0x7fff
	v_or_b32_e32 v19, 0x400000, v18
	v_add3_u32 v20, v20, v31, 0x7fff
	v_lshlrev_b32_e32 v14, 16, v14
	v_bfe_u32 v18, v29, 16, 1
	v_and_b32_e32 v32, 0xffff0000, v16
	v_cndmask_b32_e32 v17, v17, v19, vcc_lo
	v_cmp_u_f32_e32 vcc_lo, v31, v31
	v_mul_f32_e32 v14, v28, v14
	v_add3_u32 v18, v18, v29, 0x7fff
	v_lshlrev_b32_e32 v16, 16, v16
	v_and_b32_e32 v17, 0xffff0000, v17
	v_cndmask_b32_e32 v19, v20, v30, vcc_lo
	v_and_b32_e32 v20, 0xffff0000, v15
	v_or_b32_e32 v30, 0x400000, v29
	v_lshlrev_b32_e32 v15, 16, v15
	v_bfe_u32 v31, v14, 16, 1
	v_cmp_u_f32_e32 vcc_lo, v29, v29
	v_mul_f32_e32 v20, v23, v20
	v_mul_f32_e32 v16, v27, v16
	;; [unrolled: 1-line block ×3, first 2 shown]
	v_add3_u32 v29, v31, v14, 0x7fff
	v_cndmask_b32_e32 v18, v18, v30, vcc_lo
	v_or_b32_e32 v30, 0x400000, v14
	v_bfe_u32 v31, v20, 16, 1
	v_cmp_u_f32_e32 vcc_lo, v14, v14
	v_bfe_u32 v49, v15, 16, 1
	v_and_b32_e32 v19, 0xffff0000, v19
	v_and_b32_e32 v18, 0xffff0000, v18
	v_add_f32_e32 v39, v39, v13
	v_cndmask_b32_e32 v14, v29, v30, vcc_lo
	v_add3_u32 v29, v31, v20, 0x7fff
	v_mul_f32_e32 v30, v24, v32
	v_or_b32_e32 v31, 0x400000, v20
	v_cmp_u_f32_e32 vcc_lo, v20, v20
	v_add3_u32 v32, v49, v15, 0x7fff
	v_or_b32_e32 v49, 0x400000, v15
	v_bfe_u32 v50, v30, 16, 1
	v_and_b32_e32 v14, 0xffff0000, v14
	v_cndmask_b32_e32 v20, v29, v31, vcc_lo
	v_cmp_u_f32_e32 vcc_lo, v15, v15
	v_or_b32_e32 v31, 0x400000, v30
	v_add3_u32 v29, v50, v30, 0x7fff
	v_add_f32_e32 v17, v19, v17
	v_add_f32_e32 v14, v14, v18
	v_cndmask_b32_e32 v15, v32, v49, vcc_lo
	v_bfe_u32 v32, v16, 16, 1
	v_cmp_u_f32_e32 vcc_lo, v30, v30
	v_and_b32_e32 v19, 0xffff0000, v5
	v_and_b32_e32 v18, 0xffff0000, v20
	;; [unrolled: 1-line block ×3, first 2 shown]
	v_add3_u32 v30, v32, v16, 0x7fff
	v_cndmask_b32_e32 v29, v29, v31, vcc_lo
	v_or_b32_e32 v31, 0x400000, v16
	v_cmp_u_f32_e32 vcc_lo, v16, v16
	v_lshlrev_b32_e32 v5, 16, v5
	v_add_f32_e32 v14, v14, v17
	v_mul_f32_e32 v17, v21, v19
	v_add_f32_e32 v15, v15, v18
	v_cndmask_b32_e32 v16, v30, v31, vcc_lo
	v_mul_f32_e32 v18, v25, v5
	v_and_b32_e32 v19, 0xffff0000, v29
	v_and_b32_e32 v20, 0xffff0000, v6
	v_bfe_u32 v29, v17, 16, 1
	v_and_b32_e32 v16, 0xffff0000, v16
	v_add_f32_e32 v5, v15, v14
	v_bfe_u32 v15, v18, 16, 1
	v_cmp_u_f32_e32 vcc_lo, v17, v17
	v_lshlrev_b32_e32 v6, 16, v6
	v_add_f32_e32 v14, v16, v19
	v_mul_f32_e32 v16, v22, v20
	v_add3_u32 v19, v29, v17, 0x7fff
	v_or_b32_e32 v20, 0x400000, v17
	v_add3_u32 v15, v15, v18, 0x7fff
	v_or_b32_e32 v29, 0x400000, v18
	v_bfe_u32 v30, v16, 16, 1
	v_mul_f32_e32 v6, v28, v6
	v_cndmask_b32_e32 v17, v19, v20, vcc_lo
	v_cmp_u_f32_e32 vcc_lo, v18, v18
	v_or_b32_e32 v19, 0x400000, v16
	v_add3_u32 v18, v30, v16, 0x7fff
	v_and_b32_e32 v20, 0xffff0000, v7
	v_lshlrev_b32_e32 v7, 16, v7
	v_cndmask_b32_e32 v15, v15, v29, vcc_lo
	v_cmp_u_f32_e32 vcc_lo, v16, v16
	v_bfe_u32 v29, v6, 16, 1
	v_and_b32_e32 v17, 0xffff0000, v17
	v_mul_f32_e32 v7, v26, v7
	v_and_b32_e32 v15, 0xffff0000, v15
	v_cndmask_b32_e32 v16, v18, v19, vcc_lo
	v_mul_f32_e32 v18, v23, v20
	v_add3_u32 v19, v29, v6, 0x7fff
	v_or_b32_e32 v20, 0x400000, v6
	v_and_b32_e32 v29, 0xffff0000, v8
	v_cmp_u_f32_e32 vcc_lo, v6, v6
	v_bfe_u32 v30, v18, 16, 1
	v_bfe_u32 v31, v7, 16, 1
	v_lshlrev_b32_e32 v8, 16, v8
	v_and_b32_e32 v16, 0xffff0000, v16
	v_cndmask_b32_e32 v6, v19, v20, vcc_lo
	v_mul_f32_e32 v19, v24, v29
	v_add3_u32 v20, v30, v18, 0x7fff
	v_or_b32_e32 v29, 0x400000, v18
	v_cmp_u_f32_e32 vcc_lo, v18, v18
	v_add3_u32 v30, v31, v7, 0x7fff
	v_or_b32_e32 v31, 0x400000, v7
	v_bfe_u32 v32, v19, 16, 1
	v_and_b32_e32 v6, 0xffff0000, v6
	v_cndmask_b32_e32 v18, v20, v29, vcc_lo
	v_cmp_u_f32_e32 vcc_lo, v7, v7
	v_or_b32_e32 v29, 0x400000, v19
	v_add3_u32 v20, v32, v19, 0x7fff
	v_mul_f32_e32 v8, v27, v8
	v_add_f32_e32 v15, v15, v17
	v_cndmask_b32_e32 v7, v30, v31, vcc_lo
	v_cmp_u_f32_e32 vcc_lo, v19, v19
	v_add_f32_e32 v6, v6, v16
	v_and_b32_e32 v16, 0xffff0000, v1
	v_and_b32_e32 v17, 0xffff0000, v18
	;; [unrolled: 1-line block ×3, first 2 shown]
	v_cndmask_b32_e32 v19, v20, v29, vcc_lo
	v_bfe_u32 v20, v8, 16, 1
	v_add_f32_e32 v6, v6, v15
	v_mul_f32_e32 v15, v21, v16
	v_add_f32_e32 v7, v7, v17
	v_lshlrev_b32_e32 v1, 16, v1
	v_add3_u32 v18, v20, v8, 0x7fff
	v_or_b32_e32 v20, 0x400000, v8
	v_cmp_u_f32_e32 vcc_lo, v8, v8
	v_bfe_u32 v16, v15, 16, 1
	v_add_f32_e32 v6, v7, v6
	v_and_b32_e32 v7, 0xffff0000, v2
	v_mul_f32_e32 v1, v25, v1
	v_cndmask_b32_e32 v8, v18, v20, vcc_lo
	v_add3_u32 v16, v16, v15, 0x7fff
	v_or_b32_e32 v17, 0x400000, v15
	v_mul_f32_e32 v7, v22, v7
	v_and_b32_e32 v18, 0xffff0000, v19
	v_bfe_u32 v19, v1, 16, 1
	v_cmp_u_f32_e32 vcc_lo, v15, v15
	v_lshlrev_b32_e32 v2, 16, v2
	v_or_b32_e32 v20, 0x400000, v1
	v_or_b32_e32 v29, 0x400000, v7
	v_and_b32_e32 v8, 0xffff0000, v8
	v_cndmask_b32_e32 v15, v16, v17, vcc_lo
	v_bfe_u32 v16, v7, 16, 1
	v_add3_u32 v17, v19, v1, 0x7fff
	v_and_b32_e32 v19, 0xffff0000, v3
	v_mul_f32_e32 v2, v28, v2
	v_cmp_u_f32_e32 vcc_lo, v1, v1
	v_add3_u32 v16, v16, v7, 0x7fff
	v_lshlrev_b32_e32 v3, 16, v3
	v_mul_f32_e32 v19, v23, v19
	v_and_b32_e32 v15, 0xffff0000, v15
	v_cndmask_b32_e32 v1, v17, v20, vcc_lo
	v_bfe_u32 v17, v2, 16, 1
	v_cmp_u_f32_e32 vcc_lo, v7, v7
	v_and_b32_e32 v20, 0xffff0000, v4
	v_mul_f32_e32 v3, v26, v3
	v_or_b32_e32 v30, 0x400000, v19
	v_add3_u32 v17, v17, v2, 0x7fff
	v_cndmask_b32_e32 v7, v16, v29, vcc_lo
	v_bfe_u32 v16, v19, 16, 1
	v_or_b32_e32 v29, 0x400000, v2
	v_cmp_u_f32_e32 vcc_lo, v2, v2
	v_mul_f32_e32 v20, v24, v20
	v_lshlrev_b32_e32 v4, 16, v4
	v_add3_u32 v16, v16, v19, 0x7fff
	v_and_b32_e32 v1, 0xffff0000, v1
	v_cndmask_b32_e32 v2, v17, v29, vcc_lo
	v_bfe_u32 v17, v3, 16, 1
	v_cmp_u_f32_e32 vcc_lo, v19, v19
	v_bfe_u32 v29, v20, 16, 1
	v_or_b32_e32 v19, 0x400000, v3
	v_mul_f32_e32 v4, v27, v4
	v_add3_u32 v17, v17, v3, 0x7fff
	v_cndmask_b32_e32 v16, v16, v30, vcc_lo
	v_cmp_u_f32_e32 vcc_lo, v3, v3
	v_add3_u32 v29, v29, v20, 0x7fff
	v_or_b32_e32 v30, 0x400000, v20
	v_and_b32_e32 v2, 0xffff0000, v2
	v_and_b32_e32 v7, 0xffff0000, v7
	v_cndmask_b32_e32 v3, v17, v19, vcc_lo
	v_cmp_u_f32_e32 vcc_lo, v20, v20
	v_bfe_u32 v19, v4, 16, 1
	v_add_f32_e32 v1, v1, v15
	v_add_f32_e32 v2, v2, v7
	v_and_b32_e32 v3, 0xffff0000, v3
	v_cndmask_b32_e32 v17, v29, v30, vcc_lo
	s_waitcnt vmcnt(0)
	v_lshlrev_b32_e32 v29, 16, v9
	v_and_b32_e32 v7, 0xffff0000, v16
	v_and_b32_e32 v9, 0xffff0000, v9
	v_add3_u32 v19, v19, v4, 0x7fff
	v_or_b32_e32 v20, 0x400000, v4
	v_mul_f32_e32 v15, v25, v29
	v_cmp_u_f32_e32 vcc_lo, v4, v4
	v_add_f32_e32 v1, v2, v1
	v_add_f32_e32 v3, v3, v7
	v_mul_f32_e32 v7, v21, v9
	v_bfe_u32 v2, v15, 16, 1
	v_lshlrev_b32_e32 v9, 16, v10
	v_cndmask_b32_e32 v4, v19, v20, vcc_lo
	v_or_b32_e32 v16, 0x400000, v15
	v_bfe_u32 v19, v7, 16, 1
	v_add3_u32 v2, v2, v15, 0x7fff
	v_mul_f32_e32 v9, v28, v9
	v_and_b32_e32 v10, 0xffff0000, v10
	v_cmp_u_f32_e32 vcc_lo, v15, v15
	v_add3_u32 v15, v19, v7, 0x7fff
	v_lshlrev_b32_e32 v20, 16, v11
	v_bfe_u32 v19, v9, 16, 1
	v_mul_f32_e32 v10, v22, v10
	v_cndmask_b32_e32 v2, v2, v16, vcc_lo
	v_or_b32_e32 v16, 0x400000, v7
	v_cmp_u_f32_e32 vcc_lo, v7, v7
	v_mul_f32_e32 v20, v26, v20
	v_and_b32_e32 v11, 0xffff0000, v11
	v_lshlrev_b32_e32 v21, 16, v12
	v_and_b32_e32 v12, 0xffff0000, v12
	v_cndmask_b32_e32 v7, v15, v16, vcc_lo
	v_add3_u32 v15, v19, v9, 0x7fff
	v_or_b32_e32 v16, 0x400000, v9
	v_bfe_u32 v19, v10, 16, 1
	v_cmp_u_f32_e32 vcc_lo, v9, v9
	v_mul_f32_e32 v11, v23, v11
	v_mul_f32_e32 v12, v24, v12
	v_and_b32_e32 v7, 0xffff0000, v7
	v_and_b32_e32 v2, 0xffff0000, v2
	v_cndmask_b32_e32 v9, v15, v16, vcc_lo
	v_add3_u32 v15, v19, v10, 0x7fff
	v_or_b32_e32 v16, 0x400000, v10
	v_bfe_u32 v19, v20, 16, 1
	v_cmp_u_f32_e32 vcc_lo, v10, v10
	v_or_b32_e32 v22, 0x400000, v11
	v_bfe_u32 v24, v12, 16, 1
	v_and_b32_e32 v9, 0xffff0000, v9
	v_add_f32_e32 v2, v2, v7
	v_cndmask_b32_e32 v10, v15, v16, vcc_lo
	v_bfe_u32 v15, v11, 16, 1
	v_add3_u32 v16, v19, v20, 0x7fff
	v_mul_f32_e32 v19, v27, v21
	v_or_b32_e32 v21, 0x400000, v20
	v_cmp_u_f32_e32 vcc_lo, v20, v20
	v_add3_u32 v15, v15, v11, 0x7fff
	v_add3_u32 v20, v24, v12, 0x7fff
	v_bfe_u32 v23, v19, 16, 1
	v_and_b32_e32 v10, 0xffff0000, v10
	v_cndmask_b32_e32 v16, v16, v21, vcc_lo
	v_cmp_u_f32_e32 vcc_lo, v11, v11
	v_or_b32_e32 v21, 0x400000, v12
	v_and_b32_e32 v4, 0xffff0000, v4
	v_add_f32_e32 v7, v9, v10
	v_and_b32_e32 v10, 0xffff0000, v16
	v_cndmask_b32_e32 v11, v15, v22, vcc_lo
	v_cmp_u_f32_e32 vcc_lo, v12, v12
	v_add3_u32 v15, v23, v19, 0x7fff
	v_or_b32_e32 v22, 0x400000, v19
	v_add_f32_e32 v2, v7, v2
	v_and_b32_e32 v9, 0xffff0000, v11
	v_cndmask_b32_e32 v12, v20, v21, vcc_lo
	v_cmp_u_f32_e32 vcc_lo, v19, v19
	v_add_f32_e32 v8, v8, v18
	v_add_f32_e32 v1, v3, v1
	v_add_f32_e32 v7, v10, v9
	v_and_b32_e32 v9, 0xffff0000, v12
	v_cndmask_b32_e32 v11, v15, v22, vcc_lo
	v_and_b32_e32 v15, 0xffff0000, v17
	v_add_f32_e32 v5, v14, v5
	v_add_f32_e32 v2, v7, v2
	;; [unrolled: 1-line block ×3, first 2 shown]
	v_and_b32_e32 v10, 0xffff0000, v11
	v_add_f32_e32 v3, v4, v15
	v_cmp_le_i32_e32 vcc_lo, s12, v48
	v_add_f32_e32 v40, v40, v5
	v_add_f32_e32 v41, v41, v6
	;; [unrolled: 1-line block ×4, first 2 shown]
	v_add_nc_u32_e32 v47, 0x80, v47
	v_add_co_ci_u32_e64 v34, null, 0, v34, s0
	v_add_f32_e32 v2, v4, v2
	v_add_f32_e32 v42, v42, v1
	s_or_b32 s13, vcc_lo, s13
	v_add_f32_e32 v37, v37, v2
	s_andn2_b32 exec_lo, exec_lo, s13
	s_cbranch_execz .LBB124_42
.LBB124_30:                             ; =>This Inner Loop Header: Depth=1
	global_load_dword v1, v[33:34], off
	v_cmp_eq_u32_e64 s0, s4, v48
	v_add_nc_u32_e32 v55, 1, v46
	v_or_b32_e32 v53, 3, v46
	v_or_b32_e32 v54, 2, v46
	v_or_b32_e32 v52, 5, v46
	v_or_b32_e32 v51, 4, v46
	v_or_b32_e32 v50, 7, v46
	v_or_b32_e32 v49, 6, v46
	s_waitcnt vmcnt(0)
	v_mad_i64_i32 v[1:2], null, v1, s5, 0
	v_lshlrev_b64 v[1:2], 1, v[1:2]
	v_add_co_u32 v9, vcc_lo, v44, v1
	v_add_co_ci_u32_e64 v10, null, v45, v2, vcc_lo
	global_load_dwordx4 v[1:4], v[9:10], off
	ds_read2_b64 v[25:28], v47 offset1:1
	ds_read2_b64 v[21:24], v47 offset0:2 offset1:3
	s_and_saveexec_b32 s15, s0
	s_cbranch_execnz .LBB124_39
; %bb.31:                               ;   in Loop: Header=BB124_30 Depth=1
	s_or_b32 exec_lo, exec_lo, s15
	global_load_dwordx4 v[5:8], v[9:10], off offset:512
	s_and_saveexec_b32 s15, s0
	s_cbranch_execnz .LBB124_40
.LBB124_32:                             ;   in Loop: Header=BB124_30 Depth=1
	s_or_b32 exec_lo, exec_lo, s15
	global_load_dwordx4 v[13:16], v[9:10], off offset:1024
	s_and_saveexec_b32 s15, s0
	s_cbranch_execnz .LBB124_41
.LBB124_33:                             ;   in Loop: Header=BB124_30 Depth=1
	s_or_b32 exec_lo, exec_lo, s15
	global_load_dwordx4 v[17:20], v[9:10], off offset:1536
	s_and_saveexec_b32 s15, s0
	s_cbranch_execz .LBB124_35
.LBB124_34:                             ;   in Loop: Header=BB124_30 Depth=1
	v_cmp_gt_i32_e64 s1, s11, v46
	v_cmp_gt_i32_e32 vcc_lo, s14, v55
	v_cmp_gt_i32_e64 s2, s11, v54
	s_waitcnt vmcnt(0)
	v_cndmask_b32_e64 v11, 0, v17, s1
	v_cmp_gt_i32_e64 s1, s14, v53
	v_cndmask_b32_sdwa v17, v43, v17, vcc_lo dst_sel:DWORD dst_unused:UNUSED_PAD src0_sel:DWORD src1_sel:WORD_1
	v_cndmask_b32_e64 v12, 0, v18, s2
	v_cmp_gt_i32_e64 s2, s14, v52
	s_mov_b32 vcc_lo, s1
	v_cmp_gt_i32_e64 s1, s14, v50
	v_cndmask_b32_sdwa v18, v43, v18, vcc_lo dst_sel:DWORD dst_unused:UNUSED_PAD src0_sel:DWORD src1_sel:WORD_1
	v_cmp_gt_i32_e32 vcc_lo, s11, v51
	v_perm_b32 v17, v17, v11, 0x5040100
	v_perm_b32 v18, v18, v12, 0x5040100
	v_cndmask_b32_e32 v29, 0, v19, vcc_lo
	s_mov_b32 vcc_lo, s2
	v_cndmask_b32_sdwa v19, v43, v19, vcc_lo dst_sel:DWORD dst_unused:UNUSED_PAD src0_sel:DWORD src1_sel:WORD_1
	v_cmp_gt_i32_e32 vcc_lo, s11, v49
	v_perm_b32 v19, v19, v29, 0x5040100
	v_cndmask_b32_e32 v30, 0, v20, vcc_lo
	s_mov_b32 vcc_lo, s1
	v_cndmask_b32_sdwa v20, v43, v20, vcc_lo dst_sel:DWORD dst_unused:UNUSED_PAD src0_sel:DWORD src1_sel:WORD_1
	v_perm_b32 v20, v20, v30, 0x5040100
.LBB124_35:                             ;   in Loop: Header=BB124_30 Depth=1
	s_or_b32 exec_lo, exec_lo, s15
	v_add_co_u32 v9, vcc_lo, 0x800, v9
	v_add_co_ci_u32_e64 v10, null, 0, v10, vcc_lo
	global_load_dwordx4 v[29:32], v[9:10], off
	s_and_saveexec_b32 s15, s0
	s_cbranch_execz .LBB124_37
; %bb.36:                               ;   in Loop: Header=BB124_30 Depth=1
	v_cmp_gt_i32_e64 s1, s11, v46
	v_cmp_gt_i32_e32 vcc_lo, s14, v55
	v_cmp_gt_i32_e64 s2, s11, v54
	s_waitcnt vmcnt(0)
	v_cndmask_b32_e64 v11, 0, v29, s1
	v_cmp_gt_i32_e64 s1, s14, v53
	v_cndmask_b32_sdwa v29, v43, v29, vcc_lo dst_sel:DWORD dst_unused:UNUSED_PAD src0_sel:DWORD src1_sel:WORD_1
	v_cndmask_b32_e64 v12, 0, v30, s2
	v_cmp_gt_i32_e64 s2, s14, v52
	s_mov_b32 vcc_lo, s1
	v_cmp_gt_i32_e64 s1, s14, v50
	v_cndmask_b32_sdwa v30, v43, v30, vcc_lo dst_sel:DWORD dst_unused:UNUSED_PAD src0_sel:DWORD src1_sel:WORD_1
	v_cmp_gt_i32_e32 vcc_lo, s11, v51
	v_perm_b32 v29, v29, v11, 0x5040100
	v_perm_b32 v30, v30, v12, 0x5040100
	v_cndmask_b32_e32 v56, 0, v31, vcc_lo
	s_mov_b32 vcc_lo, s2
	v_cndmask_b32_sdwa v31, v43, v31, vcc_lo dst_sel:DWORD dst_unused:UNUSED_PAD src0_sel:DWORD src1_sel:WORD_1
	v_cmp_gt_i32_e32 vcc_lo, s11, v49
	v_perm_b32 v31, v31, v56, 0x5040100
	v_cndmask_b32_e32 v57, 0, v32, vcc_lo
	s_mov_b32 vcc_lo, s1
	v_cndmask_b32_sdwa v32, v43, v32, vcc_lo dst_sel:DWORD dst_unused:UNUSED_PAD src0_sel:DWORD src1_sel:WORD_1
	v_perm_b32 v32, v32, v57, 0x5040100
.LBB124_37:                             ;   in Loop: Header=BB124_30 Depth=1
	s_or_b32 exec_lo, exec_lo, s15
	global_load_dwordx4 v[9:12], v[9:10], off offset:512
	s_and_saveexec_b32 s2, s0
	s_cbranch_execz .LBB124_29
; %bb.38:                               ;   in Loop: Header=BB124_30 Depth=1
	v_cmp_gt_i32_e64 s0, s11, v46
	v_cmp_gt_i32_e32 vcc_lo, s14, v55
	v_cmp_gt_i32_e64 s1, s11, v54
	s_waitcnt vmcnt(0)
	v_cndmask_b32_e64 v55, 0, v9, s0
	v_cmp_gt_i32_e64 s0, s14, v53
	v_cndmask_b32_sdwa v9, v43, v9, vcc_lo dst_sel:DWORD dst_unused:UNUSED_PAD src0_sel:DWORD src1_sel:WORD_1
	v_cndmask_b32_e64 v53, 0, v10, s1
	v_cmp_gt_i32_e64 s1, s14, v52
	s_mov_b32 vcc_lo, s0
	v_cmp_gt_i32_e64 s0, s14, v50
	v_cndmask_b32_sdwa v10, v43, v10, vcc_lo dst_sel:DWORD dst_unused:UNUSED_PAD src0_sel:DWORD src1_sel:WORD_1
	v_cmp_gt_i32_e32 vcc_lo, s11, v51
	v_perm_b32 v9, v9, v55, 0x5040100
	v_perm_b32 v10, v10, v53, 0x5040100
	v_cndmask_b32_e32 v51, 0, v11, vcc_lo
	s_mov_b32 vcc_lo, s1
	v_cndmask_b32_sdwa v11, v43, v11, vcc_lo dst_sel:DWORD dst_unused:UNUSED_PAD src0_sel:DWORD src1_sel:WORD_1
	v_cmp_gt_i32_e32 vcc_lo, s11, v49
	v_perm_b32 v11, v11, v51, 0x5040100
	v_cndmask_b32_e32 v49, 0, v12, vcc_lo
	s_mov_b32 vcc_lo, s0
	v_cndmask_b32_sdwa v12, v43, v12, vcc_lo dst_sel:DWORD dst_unused:UNUSED_PAD src0_sel:DWORD src1_sel:WORD_1
	v_perm_b32 v12, v12, v49, 0x5040100
	s_branch .LBB124_29
.LBB124_39:                             ;   in Loop: Header=BB124_30 Depth=1
	v_cmp_gt_i32_e64 s1, s11, v46
	v_cmp_gt_i32_e32 vcc_lo, s14, v55
	v_cmp_gt_i32_e64 s2, s11, v54
	s_waitcnt vmcnt(0)
	v_cndmask_b32_e64 v5, 0, v1, s1
	v_cmp_gt_i32_e64 s1, s14, v53
	v_cndmask_b32_sdwa v1, v43, v1, vcc_lo dst_sel:DWORD dst_unused:UNUSED_PAD src0_sel:DWORD src1_sel:WORD_1
	v_cndmask_b32_e64 v6, 0, v2, s2
	v_cmp_gt_i32_e64 s2, s14, v52
	s_mov_b32 vcc_lo, s1
	v_cmp_gt_i32_e64 s1, s14, v50
	v_cndmask_b32_sdwa v2, v43, v2, vcc_lo dst_sel:DWORD dst_unused:UNUSED_PAD src0_sel:DWORD src1_sel:WORD_1
	v_cmp_gt_i32_e32 vcc_lo, s11, v51
	v_perm_b32 v1, v1, v5, 0x5040100
	v_perm_b32 v2, v2, v6, 0x5040100
	v_cndmask_b32_e32 v7, 0, v3, vcc_lo
	s_mov_b32 vcc_lo, s2
	v_cndmask_b32_sdwa v3, v43, v3, vcc_lo dst_sel:DWORD dst_unused:UNUSED_PAD src0_sel:DWORD src1_sel:WORD_1
	v_cmp_gt_i32_e32 vcc_lo, s11, v49
	v_perm_b32 v3, v3, v7, 0x5040100
	v_cndmask_b32_e32 v8, 0, v4, vcc_lo
	s_mov_b32 vcc_lo, s1
	v_cndmask_b32_sdwa v4, v43, v4, vcc_lo dst_sel:DWORD dst_unused:UNUSED_PAD src0_sel:DWORD src1_sel:WORD_1
	v_perm_b32 v4, v4, v8, 0x5040100
	s_or_b32 exec_lo, exec_lo, s15
	global_load_dwordx4 v[5:8], v[9:10], off offset:512
	s_and_saveexec_b32 s15, s0
	s_cbranch_execz .LBB124_32
.LBB124_40:                             ;   in Loop: Header=BB124_30 Depth=1
	v_cmp_gt_i32_e64 s1, s11, v46
	v_cmp_gt_i32_e32 vcc_lo, s14, v55
	v_cmp_gt_i32_e64 s2, s11, v54
	s_waitcnt vmcnt(0)
	v_cndmask_b32_e64 v11, 0, v5, s1
	v_cmp_gt_i32_e64 s1, s14, v53
	v_cndmask_b32_sdwa v5, v43, v5, vcc_lo dst_sel:DWORD dst_unused:UNUSED_PAD src0_sel:DWORD src1_sel:WORD_1
	v_cndmask_b32_e64 v12, 0, v6, s2
	v_cmp_gt_i32_e64 s2, s14, v52
	s_mov_b32 vcc_lo, s1
	v_cmp_gt_i32_e64 s1, s14, v50
	v_cndmask_b32_sdwa v6, v43, v6, vcc_lo dst_sel:DWORD dst_unused:UNUSED_PAD src0_sel:DWORD src1_sel:WORD_1
	v_cmp_gt_i32_e32 vcc_lo, s11, v51
	v_perm_b32 v5, v5, v11, 0x5040100
	v_perm_b32 v6, v6, v12, 0x5040100
	v_cndmask_b32_e32 v13, 0, v7, vcc_lo
	s_mov_b32 vcc_lo, s2
	v_cndmask_b32_sdwa v7, v43, v7, vcc_lo dst_sel:DWORD dst_unused:UNUSED_PAD src0_sel:DWORD src1_sel:WORD_1
	v_cmp_gt_i32_e32 vcc_lo, s11, v49
	v_perm_b32 v7, v7, v13, 0x5040100
	v_cndmask_b32_e32 v14, 0, v8, vcc_lo
	s_mov_b32 vcc_lo, s1
	v_cndmask_b32_sdwa v8, v43, v8, vcc_lo dst_sel:DWORD dst_unused:UNUSED_PAD src0_sel:DWORD src1_sel:WORD_1
	v_perm_b32 v8, v8, v14, 0x5040100
	s_or_b32 exec_lo, exec_lo, s15
	global_load_dwordx4 v[13:16], v[9:10], off offset:1024
	s_and_saveexec_b32 s15, s0
	s_cbranch_execz .LBB124_33
.LBB124_41:                             ;   in Loop: Header=BB124_30 Depth=1
	v_cmp_gt_i32_e64 s1, s11, v46
	v_cmp_gt_i32_e32 vcc_lo, s14, v55
	v_cmp_gt_i32_e64 s2, s11, v54
	s_waitcnt vmcnt(0)
	v_cndmask_b32_e64 v11, 0, v13, s1
	v_cmp_gt_i32_e64 s1, s14, v53
	v_cndmask_b32_sdwa v13, v43, v13, vcc_lo dst_sel:DWORD dst_unused:UNUSED_PAD src0_sel:DWORD src1_sel:WORD_1
	v_cndmask_b32_e64 v12, 0, v14, s2
	v_cmp_gt_i32_e64 s2, s14, v52
	s_mov_b32 vcc_lo, s1
	v_cmp_gt_i32_e64 s1, s14, v50
	v_cndmask_b32_sdwa v14, v43, v14, vcc_lo dst_sel:DWORD dst_unused:UNUSED_PAD src0_sel:DWORD src1_sel:WORD_1
	v_cmp_gt_i32_e32 vcc_lo, s11, v51
	v_perm_b32 v13, v13, v11, 0x5040100
	v_perm_b32 v14, v14, v12, 0x5040100
	v_cndmask_b32_e32 v17, 0, v15, vcc_lo
	s_mov_b32 vcc_lo, s2
	v_cndmask_b32_sdwa v15, v43, v15, vcc_lo dst_sel:DWORD dst_unused:UNUSED_PAD src0_sel:DWORD src1_sel:WORD_1
	v_cmp_gt_i32_e32 vcc_lo, s11, v49
	v_perm_b32 v15, v15, v17, 0x5040100
	v_cndmask_b32_e32 v18, 0, v16, vcc_lo
	s_mov_b32 vcc_lo, s1
	v_cndmask_b32_sdwa v16, v43, v16, vcc_lo dst_sel:DWORD dst_unused:UNUSED_PAD src0_sel:DWORD src1_sel:WORD_1
	v_perm_b32 v16, v16, v18, 0x5040100
	s_or_b32 exec_lo, exec_lo, s15
	global_load_dwordx4 v[17:20], v[9:10], off offset:1536
	s_and_saveexec_b32 s15, s0
	s_cbranch_execnz .LBB124_34
	s_branch .LBB124_35
.LBB124_42:
	s_or_b32 exec_lo, exec_lo, s13
.LBB124_43:
	s_or_b32 exec_lo, exec_lo, s3
	v_lshl_add_u32 v2, v36, 2, 0x1a0
	v_and_b32_e32 v3, 0x3c0, v0
	s_mov_b32 s0, exec_lo
	s_barrier
	v_mad_u32_u24 v1, 0x300, v35, v2
	buffer_gl0_inv
	v_cmpx_eq_u32_e32 64, v3
	s_cbranch_execz .LBB124_45
; %bb.44:
	v_add_nc_u32_e32 v3, 0xfffffa00, v1
	v_add_nc_u32_e32 v4, 0xfffffa80, v1
	;; [unrolled: 1-line block ×5, first 2 shown]
	ds_write_b32 v3, v42
	v_add_nc_u32_e32 v3, 0xfffffc80, v1
	ds_write_b32 v4, v41
	ds_write_b32 v5, v40
	ds_write_b32 v6, v39
	ds_write_b32 v7, v38
	ds_write_b32 v3, v37
.LBB124_45:
	s_or_b32 exec_lo, exec_lo, s0
	s_mov_b32 s0, exec_lo
	s_waitcnt lgkmcnt(0)
	s_barrier
	buffer_gl0_inv
	v_cmpx_gt_u32_e32 64, v0
	s_cbranch_execz .LBB124_47
; %bb.46:
	ds_read2_b32 v[3:4], v1 offset1:32
	ds_read2_b32 v[5:6], v1 offset0:64 offset1:96
	ds_read2_b32 v[7:8], v1 offset0:128 offset1:160
	s_waitcnt lgkmcnt(2)
	v_add_f32_e32 v42, v42, v3
	v_add_f32_e32 v41, v41, v4
	s_waitcnt lgkmcnt(1)
	v_add_f32_e32 v40, v40, v5
	v_add_f32_e32 v39, v39, v6
	;; [unrolled: 3-line block ×3, first 2 shown]
.LBB124_47:
	s_or_b32 exec_lo, exec_lo, s0
	v_and_b32_e32 v3, 0x3e0, v0
	s_mov_b32 s0, exec_lo
	s_barrier
	buffer_gl0_inv
	v_cmpx_eq_u32_e32 32, v3
	s_cbranch_execz .LBB124_49
; %bb.48:
	ds_write2_b32 v2, v42, v41 offset1:32
	ds_write2_b32 v2, v40, v39 offset0:64 offset1:96
	ds_write2_b32 v2, v38, v37 offset0:128 offset1:160
.LBB124_49:
	s_or_b32 exec_lo, exec_lo, s0
	v_cmp_gt_u32_e32 vcc_lo, 32, v0
	s_waitcnt lgkmcnt(0)
	s_barrier
	buffer_gl0_inv
	s_and_saveexec_b32 s0, vcc_lo
	s_cbranch_execz .LBB124_51
; %bb.50:
	ds_read2_b32 v[2:3], v1 offset1:32
	ds_read2_b32 v[4:5], v1 offset0:64 offset1:96
	ds_read2_b32 v[6:7], v1 offset0:128 offset1:160
	s_waitcnt lgkmcnt(2)
	v_add_f32_e32 v42, v42, v2
	v_add_f32_e32 v41, v41, v3
	s_waitcnt lgkmcnt(1)
	v_add_f32_e32 v40, v40, v4
	v_add_f32_e32 v39, v39, v5
	;; [unrolled: 3-line block ×3, first 2 shown]
.LBB124_51:
	s_or_b32 exec_lo, exec_lo, s0
	s_barrier
	buffer_gl0_inv
	s_and_saveexec_b32 s0, vcc_lo
	s_cbranch_execz .LBB124_53
; %bb.52:
	s_mul_i32 s0, s10, s7
	v_bfe_u32 v1, v42, 16, 1
	s_mul_i32 s0, s0, s9
	s_mul_i32 s2, s7, s6
	s_mulk_i32 s0, 0xc0
	v_or_b32_e32 v2, 0x400000, v42
	s_ashr_i32 s1, s0, 31
	v_add3_u32 v1, v1, v42, 0x7fff
	s_lshl_b64 s[0:1], s[0:1], 1
	v_bfe_u32 v3, v41, 16, 1
	s_add_u32 s5, s16, s0
	s_addc_u32 s6, s17, s1
	s_ashr_i32 s3, s2, 31
	v_cmp_u_f32_e32 vcc_lo, v42, v42
	s_lshl_b64 s[0:1], s[2:3], 1
	s_mul_i32 s4, s8, 0xc0
	s_add_u32 s2, s5, s0
	s_addc_u32 s3, s6, s1
	s_ashr_i32 s5, s4, 31
	v_lshlrev_b32_e32 v0, 1, v0
	s_lshl_b64 s[0:1], s[4:5], 1
	v_cndmask_b32_e32 v1, v1, v2, vcc_lo
	v_bfe_u32 v2, v40, 16, 1
	v_add3_u32 v3, v3, v41, 0x7fff
	v_or_b32_e32 v4, 0x400000, v41
	v_cmp_u_f32_e32 vcc_lo, v41, v41
	s_add_u32 s0, s2, s0
	s_addc_u32 s1, s3, s1
	v_bfe_u32 v5, v38, 16, 1
	global_store_short_d16_hi v0, v1, s[0:1]
	v_add3_u32 v1, v2, v40, 0x7fff
	v_or_b32_e32 v2, 0x400000, v40
	v_cndmask_b32_e32 v3, v3, v4, vcc_lo
	v_bfe_u32 v4, v39, 16, 1
	v_cmp_u_f32_e32 vcc_lo, v40, v40
	v_or_b32_e32 v6, 0x400000, v39
	v_add3_u32 v5, v5, v38, 0x7fff
	v_or_b32_e32 v7, 0x400000, v38
	v_add3_u32 v4, v4, v39, 0x7fff
	v_cndmask_b32_e32 v1, v1, v2, vcc_lo
	v_cmp_u_f32_e32 vcc_lo, v39, v39
	v_bfe_u32 v2, v37, 16, 1
	v_or_b32_e32 v8, 0x400000, v37
	v_cndmask_b32_e32 v4, v4, v6, vcc_lo
	v_cmp_u_f32_e32 vcc_lo, v38, v38
	v_add3_u32 v2, v2, v37, 0x7fff
	v_cndmask_b32_e32 v5, v5, v7, vcc_lo
	v_cmp_u_f32_e32 vcc_lo, v37, v37
	v_cndmask_b32_e32 v2, v2, v8, vcc_lo
	global_store_short_d16_hi v0, v3, s[0:1] offset:64
	global_store_short_d16_hi v0, v1, s[0:1] offset:128
	;; [unrolled: 1-line block ×5, first 2 shown]
.LBB124_53:
	s_endpgm
	.section	.rodata,"a",@progbits
	.p2align	6, 0x0
	.amdhsa_kernel _ZN4vllm25paged_attention_v1_kernelI14__hip_bfloat16S1_Li192ELi8ELi128ELNS_18Fp8KVCacheDataTypeE0ELb0EEEvPT_PKS3_PKT0_S9_ifPKiSB_iPKfiiiSD_SD_iiiii
		.amdhsa_group_segment_fixed_size 416
		.amdhsa_private_segment_fixed_size 0
		.amdhsa_kernarg_size 384
		.amdhsa_user_sgpr_count 6
		.amdhsa_user_sgpr_private_segment_buffer 1
		.amdhsa_user_sgpr_dispatch_ptr 0
		.amdhsa_user_sgpr_queue_ptr 0
		.amdhsa_user_sgpr_kernarg_segment_ptr 1
		.amdhsa_user_sgpr_dispatch_id 0
		.amdhsa_user_sgpr_flat_scratch_init 0
		.amdhsa_user_sgpr_private_segment_size 0
		.amdhsa_wavefront_size32 1
		.amdhsa_uses_dynamic_stack 0
		.amdhsa_system_sgpr_private_segment_wavefront_offset 0
		.amdhsa_system_sgpr_workgroup_id_x 1
		.amdhsa_system_sgpr_workgroup_id_y 1
		.amdhsa_system_sgpr_workgroup_id_z 1
		.amdhsa_system_sgpr_workgroup_info 0
		.amdhsa_system_vgpr_workitem_id 0
		.amdhsa_next_free_vgpr 91
		.amdhsa_next_free_sgpr 27
		.amdhsa_reserve_vcc 1
		.amdhsa_reserve_flat_scratch 0
		.amdhsa_float_round_mode_32 0
		.amdhsa_float_round_mode_16_64 0
		.amdhsa_float_denorm_mode_32 3
		.amdhsa_float_denorm_mode_16_64 3
		.amdhsa_dx10_clamp 1
		.amdhsa_ieee_mode 1
		.amdhsa_fp16_overflow 0
		.amdhsa_workgroup_processor_mode 1
		.amdhsa_memory_ordered 1
		.amdhsa_forward_progress 1
		.amdhsa_shared_vgpr_count 0
		.amdhsa_exception_fp_ieee_invalid_op 0
		.amdhsa_exception_fp_denorm_src 0
		.amdhsa_exception_fp_ieee_div_zero 0
		.amdhsa_exception_fp_ieee_overflow 0
		.amdhsa_exception_fp_ieee_underflow 0
		.amdhsa_exception_fp_ieee_inexact 0
		.amdhsa_exception_int_div_zero 0
	.end_amdhsa_kernel
	.section	.text._ZN4vllm25paged_attention_v1_kernelI14__hip_bfloat16S1_Li192ELi8ELi128ELNS_18Fp8KVCacheDataTypeE0ELb0EEEvPT_PKS3_PKT0_S9_ifPKiSB_iPKfiiiSD_SD_iiiii,"axG",@progbits,_ZN4vllm25paged_attention_v1_kernelI14__hip_bfloat16S1_Li192ELi8ELi128ELNS_18Fp8KVCacheDataTypeE0ELb0EEEvPT_PKS3_PKT0_S9_ifPKiSB_iPKfiiiSD_SD_iiiii,comdat
.Lfunc_end124:
	.size	_ZN4vllm25paged_attention_v1_kernelI14__hip_bfloat16S1_Li192ELi8ELi128ELNS_18Fp8KVCacheDataTypeE0ELb0EEEvPT_PKS3_PKT0_S9_ifPKiSB_iPKfiiiSD_SD_iiiii, .Lfunc_end124-_ZN4vllm25paged_attention_v1_kernelI14__hip_bfloat16S1_Li192ELi8ELi128ELNS_18Fp8KVCacheDataTypeE0ELb0EEEvPT_PKS3_PKT0_S9_ifPKiSB_iPKfiiiSD_SD_iiiii
                                        ; -- End function
	.set _ZN4vllm25paged_attention_v1_kernelI14__hip_bfloat16S1_Li192ELi8ELi128ELNS_18Fp8KVCacheDataTypeE0ELb0EEEvPT_PKS3_PKT0_S9_ifPKiSB_iPKfiiiSD_SD_iiiii.num_vgpr, 91
	.set _ZN4vllm25paged_attention_v1_kernelI14__hip_bfloat16S1_Li192ELi8ELi128ELNS_18Fp8KVCacheDataTypeE0ELb0EEEvPT_PKS3_PKT0_S9_ifPKiSB_iPKfiiiSD_SD_iiiii.num_agpr, 0
	.set _ZN4vllm25paged_attention_v1_kernelI14__hip_bfloat16S1_Li192ELi8ELi128ELNS_18Fp8KVCacheDataTypeE0ELb0EEEvPT_PKS3_PKT0_S9_ifPKiSB_iPKfiiiSD_SD_iiiii.numbered_sgpr, 27
	.set _ZN4vllm25paged_attention_v1_kernelI14__hip_bfloat16S1_Li192ELi8ELi128ELNS_18Fp8KVCacheDataTypeE0ELb0EEEvPT_PKS3_PKT0_S9_ifPKiSB_iPKfiiiSD_SD_iiiii.num_named_barrier, 0
	.set _ZN4vllm25paged_attention_v1_kernelI14__hip_bfloat16S1_Li192ELi8ELi128ELNS_18Fp8KVCacheDataTypeE0ELb0EEEvPT_PKS3_PKT0_S9_ifPKiSB_iPKfiiiSD_SD_iiiii.private_seg_size, 0
	.set _ZN4vllm25paged_attention_v1_kernelI14__hip_bfloat16S1_Li192ELi8ELi128ELNS_18Fp8KVCacheDataTypeE0ELb0EEEvPT_PKS3_PKT0_S9_ifPKiSB_iPKfiiiSD_SD_iiiii.uses_vcc, 1
	.set _ZN4vllm25paged_attention_v1_kernelI14__hip_bfloat16S1_Li192ELi8ELi128ELNS_18Fp8KVCacheDataTypeE0ELb0EEEvPT_PKS3_PKT0_S9_ifPKiSB_iPKfiiiSD_SD_iiiii.uses_flat_scratch, 0
	.set _ZN4vllm25paged_attention_v1_kernelI14__hip_bfloat16S1_Li192ELi8ELi128ELNS_18Fp8KVCacheDataTypeE0ELb0EEEvPT_PKS3_PKT0_S9_ifPKiSB_iPKfiiiSD_SD_iiiii.has_dyn_sized_stack, 0
	.set _ZN4vllm25paged_attention_v1_kernelI14__hip_bfloat16S1_Li192ELi8ELi128ELNS_18Fp8KVCacheDataTypeE0ELb0EEEvPT_PKS3_PKT0_S9_ifPKiSB_iPKfiiiSD_SD_iiiii.has_recursion, 0
	.set _ZN4vllm25paged_attention_v1_kernelI14__hip_bfloat16S1_Li192ELi8ELi128ELNS_18Fp8KVCacheDataTypeE0ELb0EEEvPT_PKS3_PKT0_S9_ifPKiSB_iPKfiiiSD_SD_iiiii.has_indirect_call, 0
	.section	.AMDGPU.csdata,"",@progbits
; Kernel info:
; codeLenInByte = 8548
; TotalNumSgprs: 29
; NumVgprs: 91
; ScratchSize: 0
; MemoryBound: 0
; FloatMode: 240
; IeeeMode: 1
; LDSByteSize: 416 bytes/workgroup (compile time only)
; SGPRBlocks: 0
; VGPRBlocks: 11
; NumSGPRsForWavesPerEU: 29
; NumVGPRsForWavesPerEU: 91
; Occupancy: 10
; WaveLimiterHint : 1
; COMPUTE_PGM_RSRC2:SCRATCH_EN: 0
; COMPUTE_PGM_RSRC2:USER_SGPR: 6
; COMPUTE_PGM_RSRC2:TRAP_HANDLER: 0
; COMPUTE_PGM_RSRC2:TGID_X_EN: 1
; COMPUTE_PGM_RSRC2:TGID_Y_EN: 1
; COMPUTE_PGM_RSRC2:TGID_Z_EN: 1
; COMPUTE_PGM_RSRC2:TIDIG_COMP_CNT: 0
	.section	.text._ZN4vllm25paged_attention_v1_kernelI14__hip_bfloat16S1_Li256ELi8ELi128ELNS_18Fp8KVCacheDataTypeE0ELb0EEEvPT_PKS3_PKT0_S9_ifPKiSB_iPKfiiiSD_SD_iiiii,"axG",@progbits,_ZN4vllm25paged_attention_v1_kernelI14__hip_bfloat16S1_Li256ELi8ELi128ELNS_18Fp8KVCacheDataTypeE0ELb0EEEvPT_PKS3_PKT0_S9_ifPKiSB_iPKfiiiSD_SD_iiiii,comdat
	.protected	_ZN4vllm25paged_attention_v1_kernelI14__hip_bfloat16S1_Li256ELi8ELi128ELNS_18Fp8KVCacheDataTypeE0ELb0EEEvPT_PKS3_PKT0_S9_ifPKiSB_iPKfiiiSD_SD_iiiii ; -- Begin function _ZN4vllm25paged_attention_v1_kernelI14__hip_bfloat16S1_Li256ELi8ELi128ELNS_18Fp8KVCacheDataTypeE0ELb0EEEvPT_PKS3_PKT0_S9_ifPKiSB_iPKfiiiSD_SD_iiiii
	.globl	_ZN4vllm25paged_attention_v1_kernelI14__hip_bfloat16S1_Li256ELi8ELi128ELNS_18Fp8KVCacheDataTypeE0ELb0EEEvPT_PKS3_PKT0_S9_ifPKiSB_iPKfiiiSD_SD_iiiii
	.p2align	8
	.type	_ZN4vllm25paged_attention_v1_kernelI14__hip_bfloat16S1_Li256ELi8ELi128ELNS_18Fp8KVCacheDataTypeE0ELb0EEEvPT_PKS3_PKT0_S9_ifPKiSB_iPKfiiiSD_SD_iiiii,@function
_ZN4vllm25paged_attention_v1_kernelI14__hip_bfloat16S1_Li256ELi8ELi128ELNS_18Fp8KVCacheDataTypeE0ELb0EEEvPT_PKS3_PKT0_S9_ifPKiSB_iPKfiiiSD_SD_iiiii: ; @_ZN4vllm25paged_attention_v1_kernelI14__hip_bfloat16S1_Li256ELi8ELi128ELNS_18Fp8KVCacheDataTypeE0ELb0EEEvPT_PKS3_PKT0_S9_ifPKiSB_iPKfiiiSD_SD_iiiii
; %bb.0:
	s_clause 0x2
	s_load_dword s9, s[4:5], 0x80
	s_load_dwordx2 s[0:1], s[4:5], 0x30
	s_load_dwordx2 s[24:25], s[4:5], 0x20
	s_mov_b32 s10, s7
	s_ashr_i32 s11, s7, 31
	s_lshl_b64 s[2:3], s[10:11], 2
	s_waitcnt lgkmcnt(0)
	s_add_u32 s0, s0, s2
	s_addc_u32 s1, s1, s3
	s_abs_i32 s2, s24
	s_abs_i32 s11, s9
	v_cvt_f32_u32_e32 v1, s2
	s_sub_i32 s7, 0, s2
	v_rcp_iflag_f32_e32 v1, v1
	v_mul_f32_e32 v1, 0x4f7ffffe, v1
	v_cvt_u32_f32_e32 v1, v1
	v_readfirstlane_b32 s3, v1
	s_mul_i32 s7, s7, s3
	s_mul_hi_u32 s7, s3, s7
	s_add_i32 s3, s3, s7
	s_xor_b32 s7, s9, s24
	s_mul_hi_u32 s3, s11, s3
	s_ashr_i32 s7, s7, 31
	s_mul_i32 s12, s3, s2
	s_mov_b32 s24, 0
	s_sub_i32 s11, s11, s12
	s_add_i32 s12, s3, 1
	s_sub_i32 s13, s11, s2
	s_cmp_ge_u32 s11, s2
	s_cselect_b32 s3, s12, s3
	s_cselect_b32 s11, s13, s11
	s_add_i32 s12, s3, 1
	s_cmp_ge_u32 s11, s2
	s_cselect_b32 s2, s12, s3
	s_abs_i32 s17, s6
	s_xor_b32 s2, s2, s7
	s_sub_i32 s18, s2, s7
	s_load_dwordx2 s[2:3], s[4:5], 0x40
	s_abs_i32 s16, s18
	v_cvt_f32_u32_e32 v1, s16
	s_sub_i32 s11, 0, s16
	v_rcp_iflag_f32_e32 v1, v1
	v_mul_f32_e32 v1, 0x4f7ffffe, v1
	v_cvt_u32_f32_e32 v1, v1
	v_readfirstlane_b32 s7, v1
	s_mul_i32 s11, s11, s7
	s_mul_hi_u32 s11, s7, s11
	s_add_i32 s7, s7, s11
	s_waitcnt lgkmcnt(0)
	s_cmp_eq_u64 s[2:3], 0
	s_mul_hi_u32 s20, s17, s7
	s_cbranch_scc1 .LBB125_2
; %bb.1:
	s_ashr_i32 s7, s6, 31
	s_lshl_b64 s[12:13], s[6:7], 2
	s_add_u32 s2, s2, s12
	s_addc_u32 s3, s3, s13
	s_load_dword s24, s[2:3], 0x0
.LBB125_2:
	s_load_dword s11, s[0:1], 0x0
	s_load_dwordx4 s[12:15], s[4:5], 0x48
	v_and_b32_e32 v1, 3, v0
	v_lshlrev_b32_e32 v2, 2, v0
	s_ashr_i32 s0, s6, 31
	s_ashr_i32 s1, s18, 31
	s_lshl_b32 s6, s6, 8
	s_mov_b32 s2, exec_lo
	v_cmpx_gt_u32_e32 0x80, v0
	s_cbranch_execz .LBB125_4
; %bb.3:
	s_load_dwordx2 s[18:19], s[4:5], 0x8
	s_waitcnt lgkmcnt(0)
	s_mul_i32 s22, s12, s10
	v_and_b32_e32 v4, 0x3fc, v0
	s_ashr_i32 s23, s22, 31
	s_lshl_b64 s[22:23], s[22:23], 1
	v_lshl_add_u32 v4, v1, 7, v4
	s_add_u32 s3, s18, s22
	s_addc_u32 s12, s19, s23
	s_ashr_i32 s7, s6, 31
	s_lshl_b64 s[18:19], s[6:7], 1
	s_add_u32 s18, s3, s18
	s_addc_u32 s19, s12, s19
	global_load_dword v3, v2, s[18:19]
	s_waitcnt vmcnt(0)
	ds_write_b32 v4, v3
.LBB125_4:
	s_or_b32 exec_lo, exec_lo, s2
	s_waitcnt lgkmcnt(0)
	s_add_i32 s2, s11, 7
	s_clause 0x1
	s_load_dwordx2 s[18:19], s[4:5], 0x28
	s_load_dword s7, s[4:5], 0x38
	s_ashr_i32 s3, s2, 31
	s_xor_b32 s0, s0, s1
	s_lshr_b32 s3, s3, 29
	s_mul_i32 s1, s20, s16
	s_add_i32 s2, s2, s3
	s_sub_i32 s1, s17, s1
	s_ashr_i32 s12, s2, 3
	s_add_i32 s2, s20, 1
	s_sub_i32 s3, s1, s16
	s_cmp_ge_u32 s1, s16
	v_lshrrev_b32_e32 v43, 5, v0
	s_cselect_b32 s2, s2, s20
	s_cselect_b32 s1, s3, s1
	s_add_i32 s3, s2, 1
	s_cmp_ge_u32 s1, s16
	v_mbcnt_lo_u32_b32 v4, -1, 0
	s_cselect_b32 s1, s3, s2
	s_mov_b32 s2, exec_lo
	s_xor_b32 s1, s1, s0
	s_waitcnt lgkmcnt(0)
	s_mul_i32 s20, s7, s10
	s_sub_i32 s1, s1, s0
	v_cmp_gt_i32_e64 s0, s12, v43
	s_ashr_i32 s21, s20, 31
	s_barrier
	buffer_gl0_inv
                                        ; implicit-def: $vgpr35
                                        ; implicit-def: $vgpr37
	v_cmpx_le_i32_e64 s12, v43
	s_xor_b32 s2, exec_lo, s2
; %bb.5:
	v_mov_b32_e32 v35, 0
	v_mbcnt_lo_u32_b32 v4, -1, 0
	v_mov_b32_e32 v37, 32
                                        ; implicit-def: $vgpr2
                                        ; implicit-def: $vgpr1
; %bb.6:
	s_or_saveexec_b32 s26, s2
	s_clause 0x2
	s_load_dwordx2 s[16:17], s[4:5], 0x0
	s_load_dwordx2 s[22:23], s[4:5], 0x18
	s_load_dword s7, s[4:5], 0x88
	v_mov_b32_e32 v72, 0xff7fffff
	v_lshrrev_b32_e32 v3, 3, v0
	s_mul_i32 s14, s1, s14
	s_xor_b32 exec_lo, exec_lo, s26
	s_cbranch_execz .LBB125_12
; %bb.7:
	v_lshlrev_b32_e32 v37, 7, v1
	s_load_dwordx2 s[2:3], s[4:5], 0x10
	s_ashr_i32 s15, s14, 31
	v_xor_b32_e32 v72, 2, v4
	s_lshl_b64 s[4:5], s[14:15], 1
	ds_read_b128 v[9:12], v37
	ds_read_b128 v[17:20], v37 offset:16
	ds_read_b128 v[25:28], v37 offset:32
	;; [unrolled: 1-line block ×7, first 2 shown]
	v_xor_b32_e32 v73, 1, v4
	v_and_b32_e32 v2, 12, v2
	v_cmp_eq_u32_e32 vcc_lo, 0, v1
	v_mov_b32_e32 v79, v43
	s_mov_b32 s15, s13
	s_waitcnt lgkmcnt(0)
	s_add_u32 s1, s2, s4
	s_addc_u32 s2, s3, s5
	s_sub_i32 s4, 1, s11
	v_lshlrev_b32_e32 v36, 16, v35
	v_and_b32_e32 v38, 0xffff0000, v35
	v_bfe_u32 v35, v0, 2, 3
	v_lshlrev_b32_e32 v5, 16, v9
	v_and_b32_e32 v6, 0xffff0000, v9
	v_lshlrev_b32_e32 v7, 16, v10
	v_and_b32_e32 v8, 0xffff0000, v10
	v_lshlrev_b32_e32 v37, 4, v35
	v_lshlrev_b32_e32 v77, 2, v35
	;; [unrolled: 1-line block ×3, first 2 shown]
	v_and_b32_e32 v10, 0xffff0000, v11
	v_lshlrev_b32_e32 v11, 16, v12
	v_add_co_u32 v37, s1, s1, v37
	v_add_co_ci_u32_e64 v74, null, s2, 0, s1
	v_cmp_gt_i32_e64 s1, 32, v72
	s_lshl_b64 s[2:3], s[20:21], 2
	v_and_b32_e32 v12, 0xffff0000, v12
	s_add_u32 s2, s18, s2
	s_addc_u32 s3, s19, s3
	v_cndmask_b32_e64 v1, v4, v72, s1
	v_cmp_gt_i32_e64 s1, 32, v73
	v_lshlrev_b32_e32 v13, 16, v17
	v_and_b32_e32 v14, 0xffff0000, v17
	v_lshlrev_b32_e32 v15, 16, v18
	v_lshlrev_b32_e32 v75, 2, v1
	v_cndmask_b32_e64 v72, v4, v73, s1
	v_add_co_u32 v73, s1, v37, v2
	v_lshl_or_b32 v1, v43, 5, v77
	v_and_b32_e32 v2, 0x7c, v3
	v_and_b32_e32 v16, 0xffff0000, v18
	v_lshlrev_b32_e32 v17, 16, v19
	v_and_b32_e32 v18, 0xffff0000, v19
	v_add_nc_u32_e32 v78, 0x220, v1
	v_add_co_u32 v1, s2, s2, v2
	v_lshlrev_b32_e32 v19, 16, v20
	v_and_b32_e32 v20, 0xffff0000, v20
	v_lshlrev_b32_e32 v21, 16, v25
	v_and_b32_e32 v22, 0xffff0000, v25
	;; [unrolled: 2-line block ×24, first 2 shown]
	v_add_co_ci_u32_e64 v74, null, 0, v74, s1
	v_lshlrev_b32_e32 v76, 2, v72
	v_cmp_neq_f32_e64 s1, s24, 0
	v_lshl_or_b32 v77, v43, 3, v35
	v_add_co_ci_u32_e64 v2, null, s3, 0, s2
	v_mov_b32_e32 v35, 0
	v_mov_b32_e32 v37, 32
	;; [unrolled: 1-line block ×3, first 2 shown]
	s_mov_b32 s5, 0
	s_branch .LBB125_9
.LBB125_8:                              ;   in Loop: Header=BB125_9 Depth=1
	s_or_b32 exec_lo, exec_lo, s3
	v_add_nc_u32_e32 v79, 4, v79
	v_add_co_u32 v1, s3, v1, 16
	v_add_nc_u32_e32 v77, 32, v77
	v_add_nc_u32_e32 v78, 0x80, v78
	v_cmp_le_i32_e64 s2, s12, v79
	v_add_co_ci_u32_e64 v2, null, 0, v2, s3
	s_or_b32 s5, s2, s5
	s_andn2_b32 exec_lo, exec_lo, s5
	s_cbranch_execz .LBB125_11
.LBB125_9:                              ; =>This Inner Loop Header: Depth=1
	global_load_dword v80, v[1:2], off
	s_waitcnt vmcnt(0) lgkmcnt(0)
	v_mad_i64_i32 v[80:81], null, v80, s15, 0
	v_lshlrev_b64 v[80:81], 1, v[80:81]
	v_add_co_u32 v80, s2, v73, v80
	v_add_co_ci_u32_e64 v81, null, v74, v81, s2
	s_clause 0xe
	global_load_dword v82, v[80:81], off offset:128
	global_load_dword v88, v[80:81], off offset:256
	;; [unrolled: 1-line block ×7, first 2 shown]
	global_load_dword v94, v[80:81], off
	global_load_dword v95, v[80:81], off offset:1024
	global_load_dword v96, v[80:81], off offset:1152
	;; [unrolled: 1-line block ×7, first 2 shown]
	v_add_co_u32 v86, s2, 0x800, v80
	v_add_co_ci_u32_e64 v87, null, 0, v81, s2
	s_clause 0x10
	global_load_dword v102, v[80:81], off offset:1920
	global_load_dword v103, v[86:87], off
	global_load_dword v104, v[86:87], off offset:128
	global_load_dword v105, v[86:87], off offset:256
	;; [unrolled: 1-line block ×15, first 2 shown]
	s_waitcnt vmcnt(31)
	v_lshlrev_b32_e32 v81, 16, v82
	v_and_b32_e32 v82, 0xffff0000, v82
	v_mul_f32_e32 v81, v7, v81
	v_mul_f32_e32 v82, v8, v82
	s_waitcnt vmcnt(24)
	v_lshlrev_b32_e32 v86, 16, v94
	v_and_b32_e32 v87, 0xffff0000, v94
	v_lshlrev_b32_e32 v94, 16, v88
	v_and_b32_e32 v88, 0xffff0000, v88
	v_fmac_f32_e32 v81, v5, v86
	v_fmac_f32_e32 v82, v6, v87
	v_lshlrev_b32_e32 v86, 16, v89
	v_and_b32_e32 v87, 0xffff0000, v89
	v_and_b32_e32 v89, 0xffff0000, v90
	v_fmac_f32_e32 v81, v9, v94
	v_fmac_f32_e32 v82, v10, v88
	v_lshlrev_b32_e32 v88, 16, v90
	v_fmac_f32_e32 v81, v11, v86
	v_fmac_f32_e32 v82, v12, v87
	v_lshlrev_b32_e32 v86, 16, v91
	v_and_b32_e32 v87, 0xffff0000, v91
	v_fmac_f32_e32 v81, v13, v88
	v_fmac_f32_e32 v82, v14, v89
	v_lshlrev_b32_e32 v88, 16, v92
	v_and_b32_e32 v89, 0xffff0000, v92
	;; [unrolled: 4-line block ×3, first 2 shown]
	v_fmac_f32_e32 v81, v17, v88
	v_fmac_f32_e32 v82, v18, v89
	s_waitcnt vmcnt(23)
	v_lshlrev_b32_e32 v88, 16, v95
	v_and_b32_e32 v89, 0xffff0000, v95
	v_fmac_f32_e32 v81, v19, v86
	v_fmac_f32_e32 v82, v20, v87
	s_waitcnt vmcnt(22)
	v_lshlrev_b32_e32 v86, 16, v96
	v_and_b32_e32 v87, 0xffff0000, v96
	;; [unrolled: 5-line block ×24, first 2 shown]
	v_fmac_f32_e32 v81, v68, v85
	v_fmac_f32_e32 v82, v69, v83
	;; [unrolled: 1-line block ×4, first 2 shown]
	v_add_f32_e32 v80, v81, v82
	ds_bpermute_b32 v81, v75, v80
	s_waitcnt lgkmcnt(0)
	v_add_f32_e32 v80, v80, v81
	ds_bpermute_b32 v81, v76, v80
	s_and_saveexec_b32 s3, vcc_lo
	s_cbranch_execz .LBB125_8
; %bb.10:                               ;   in Loop: Header=BB125_9 Depth=1
	v_add_nc_u32_e32 v82, s4, v77
	s_waitcnt lgkmcnt(0)
	v_add_f32_e32 v80, v80, v81
	v_cmp_gt_i32_e64 s2, s11, v77
	v_cvt_f32_i32_e32 v82, v82
	v_mul_f32_e32 v82, s24, v82
	v_cndmask_b32_e64 v81, 0, v82, s1
	v_max_f32_e32 v82, v72, v72
	v_fmac_f32_e32 v81, s25, v80
	v_max_f32_e32 v80, v82, v81
	v_cndmask_b32_e64 v81, 0, v81, s2
	v_cndmask_b32_e64 v72, v72, v80, s2
	ds_write_b32 v78, v81
	s_branch .LBB125_8
.LBB125_11:
	s_or_b32 exec_lo, exec_lo, s5
.LBB125_12:
	s_or_b32 exec_lo, exec_lo, s26
	v_xor_b32_e32 v1, 16, v4
	v_xor_b32_e32 v5, 8, v4
	v_max_f32_e32 v6, v72, v72
	v_xor_b32_e32 v7, 4, v4
	v_and_b32_e32 v49, 31, v0
	v_cmp_lt_i32_e32 vcc_lo, v1, v37
	v_cndmask_b32_e32 v1, v4, v1, vcc_lo
	v_cmp_lt_i32_e32 vcc_lo, v5, v37
	v_lshlrev_b32_e32 v2, 2, v1
	v_cndmask_b32_e32 v5, v4, v5, vcc_lo
	v_cmp_lt_i32_e32 vcc_lo, v7, v37
	ds_bpermute_b32 v1, v2, v72
	v_lshlrev_b32_e32 v5, 2, v5
	v_cndmask_b32_e32 v7, v4, v7, vcc_lo
	v_cmp_eq_u32_e32 vcc_lo, 0, v49
	v_lshlrev_b32_e32 v8, 2, v7
	s_waitcnt lgkmcnt(0)
	v_max_f32_e32 v1, v1, v1
	v_max_f32_e32 v1, v6, v1
	ds_bpermute_b32 v6, v5, v1
	s_waitcnt lgkmcnt(0)
	v_max_f32_e32 v6, v6, v6
	v_max_f32_e32 v1, v1, v6
	v_lshlrev_b32_e32 v6, 2, v43
	ds_bpermute_b32 v7, v8, v1
	s_and_saveexec_b32 s1, vcc_lo
	s_cbranch_execz .LBB125_14
; %bb.13:
	s_waitcnt lgkmcnt(0)
	v_max_f32_e32 v7, v7, v7
	v_max_f32_e32 v1, v1, v1
	;; [unrolled: 1-line block ×3, first 2 shown]
	ds_write_b32 v6, v1 offset:512
.LBB125_14:
	s_or_b32 exec_lo, exec_lo, s1
	v_cmp_gt_u32_e64 s1, 4, v49
	v_mov_b32_e32 v1, 0xff7fffff
	s_waitcnt lgkmcnt(0)
	v_lshlrev_b32_e32 v7, 2, v49
	s_barrier
	buffer_gl0_inv
	s_and_saveexec_b32 s2, s1
; %bb.15:
	ds_read_b32 v1, v7 offset:512
; %bb.16:
	s_or_b32 exec_lo, exec_lo, s2
	v_xor_b32_e32 v9, 2, v4
	v_xor_b32_e32 v11, 1, v4
	v_cmp_lt_i32_e64 s2, v9, v37
	v_cndmask_b32_e64 v9, v4, v9, s2
	v_cmp_lt_i32_e64 s2, v11, v37
	v_lshlrev_b32_e32 v9, 2, v9
	v_cndmask_b32_e64 v11, v4, v11, s2
	s_lshl_b32 s2, s12, 3
	s_min_i32 s4, s2, s11
	s_waitcnt lgkmcnt(0)
	ds_bpermute_b32 v10, v9, v1
	v_max_f32_e32 v1, v1, v1
	v_cmp_gt_i32_e64 s2, s4, v0
	s_waitcnt lgkmcnt(0)
	v_max_f32_e32 v12, v10, v10
	v_lshlrev_b32_e32 v10, 2, v11
	v_max_f32_e32 v1, v1, v12
	ds_bpermute_b32 v11, v10, v1
	s_waitcnt lgkmcnt(0)
	v_max_f32_e32 v11, v11, v11
	v_max_f32_e32 v1, v1, v11
	v_lshlrev_b32_e32 v11, 2, v35
	ds_bpermute_b32 v12, v11, v1
	v_mov_b32_e32 v11, 0
	v_lshl_add_u32 v1, v0, 2, 0x220
	s_and_saveexec_b32 s5, s2
	s_cbranch_execz .LBB125_20
; %bb.17:
	v_lshl_add_u32 v13, v0, 2, 0x220
	v_mov_b32_e32 v11, 0
	v_mov_b32_e32 v14, v0
	s_mov_b32 s15, 0
	.p2align	6
.LBB125_18:                             ; =>This Inner Loop Header: Depth=1
	ds_read_b32 v15, v13
	v_add_nc_u32_e32 v14, 0x80, v14
	v_cmp_le_i32_e64 s3, s4, v14
	s_or_b32 s15, s3, s15
	s_waitcnt lgkmcnt(0)
	v_sub_f32_e32 v15, v15, v12
	v_mul_f32_e32 v15, 0x3fb8aa3b, v15
	v_exp_f32_e32 v15, v15
	ds_write_b32 v13, v15
	v_add_f32_e32 v11, v11, v15
	v_add_nc_u32_e32 v13, 0x200, v13
	s_andn2_b32 exec_lo, exec_lo, s15
	s_cbranch_execnz .LBB125_18
; %bb.19:
	s_or_b32 exec_lo, exec_lo, s15
.LBB125_20:
	s_or_b32 exec_lo, exec_lo, s5
	ds_bpermute_b32 v2, v2, v11
	s_waitcnt lgkmcnt(0)
	v_add_f32_e32 v2, v11, v2
	ds_bpermute_b32 v5, v5, v2
	s_waitcnt lgkmcnt(0)
	v_add_f32_e32 v2, v2, v5
	;; [unrolled: 3-line block ×5, first 2 shown]
	s_and_saveexec_b32 s3, vcc_lo
; %bb.21:
	ds_write_b32 v6, v2 offset:528
; %bb.22:
	s_or_b32 exec_lo, exec_lo, s3
	s_waitcnt lgkmcnt(0)
	s_barrier
	buffer_gl0_inv
	s_and_saveexec_b32 s3, s1
; %bb.23:
	ds_read_b32 v2, v7 offset:528
; %bb.24:
	s_or_b32 exec_lo, exec_lo, s3
	s_waitcnt lgkmcnt(0)
	ds_bpermute_b32 v5, v9, v2
	v_lshlrev_b32_e32 v4, 2, v4
	v_and_b32_e32 v4, 0xffffff80, v4
	s_waitcnt lgkmcnt(0)
	v_add_f32_e32 v2, v2, v5
	ds_bpermute_b32 v5, v10, v2
	s_waitcnt lgkmcnt(0)
	v_add_f32_e32 v2, v2, v5
	ds_bpermute_b32 v2, v4, v2
	s_and_saveexec_b32 s1, s2
	s_cbranch_execz .LBB125_27
; %bb.25:
	s_waitcnt lgkmcnt(0)
	v_add_f32_e32 v2, 0x358637bd, v2
	s_mov_b32 s2, 0
	v_div_scale_f32 v4, null, v2, v2, 1.0
	v_div_scale_f32 v7, vcc_lo, 1.0, v2, 1.0
	v_rcp_f32_e32 v5, v4
	v_fma_f32 v6, -v4, v5, 1.0
	v_fmac_f32_e32 v5, v6, v5
	v_mul_f32_e32 v6, v7, v5
	v_fma_f32 v8, -v4, v6, v7
	v_fmac_f32_e32 v6, v8, v5
	v_fma_f32 v4, -v4, v6, v7
	v_div_fmas_f32 v4, v4, v5, v6
	v_div_fixup_f32 v2, v4, v2, 1.0
	v_mov_b32_e32 v4, v0
.LBB125_26:                             ; =>This Inner Loop Header: Depth=1
	ds_read_b32 v5, v1
	v_add_nc_u32_e32 v4, 0x80, v4
	v_cmp_le_i32_e32 vcc_lo, s4, v4
	s_or_b32 s2, vcc_lo, s2
	s_waitcnt lgkmcnt(0)
	v_mul_f32_e32 v5, v2, v5
	ds_write_b32 v1, v5
	v_add_nc_u32_e32 v1, 0x200, v1
	s_andn2_b32 exec_lo, exec_lo, s2
	s_cbranch_execnz .LBB125_26
.LBB125_27:
	s_or_b32 exec_lo, exec_lo, s1
	v_mov_b32_e32 v52, 0
	v_mov_b32_e32 v51, 0
	;; [unrolled: 1-line block ×8, first 2 shown]
	s_waitcnt lgkmcnt(0)
	s_barrier
	buffer_gl0_inv
	s_and_saveexec_b32 s3, s0
	s_cbranch_execz .LBB125_47
; %bb.28:
	s_ashr_i32 s15, s14, 31
	v_lshlrev_b32_e32 v1, 4, v49
	s_lshl_b64 s[0:1], s[14:15], 1
	v_mov_b32_e32 v53, 0
	s_add_u32 s0, s22, s0
	s_addc_u32 s1, s23, s1
	v_add_co_u32 v54, s0, s0, v1
	v_and_b32_e32 v1, 0x7c, v3
	v_add_co_ci_u32_e64 v55, null, s1, 0, s0
	s_lshl_b64 s[0:1], s[20:21], 2
	s_add_i32 s4, s12, -1
	s_add_u32 s0, s18, s0
	s_addc_u32 s1, s19, s1
	v_add_co_u32 v41, s0, s0, v1
	v_lshlrev_b32_e32 v56, 3, v43
	v_lshl_add_u32 v57, v43, 5, 0x220
	v_add_co_ci_u32_e64 v42, null, s1, 0, s0
	v_mov_b32_e32 v44, 0
	v_mov_b32_e32 v45, 0
	;; [unrolled: 1-line block ×9, first 2 shown]
	s_mov_b32 s5, s13
	s_mov_b32 s14, s11
	;; [unrolled: 1-line block ×3, first 2 shown]
	s_branch .LBB125_30
.LBB125_29:                             ;   in Loop: Header=BB125_30 Depth=1
	s_or_b32 exec_lo, exec_lo, s2
	s_waitcnt lgkmcnt(1)
	v_bfe_u32 v59, v29, 16, 1
	v_bfe_u32 v60, v30, 16, 1
	v_or_b32_e32 v61, 0x400000, v29
	v_cmp_u_f32_e32 vcc_lo, v29, v29
	v_or_b32_e32 v62, 0x400000, v30
	v_add3_u32 v59, v59, v29, 0x7fff
	v_bfe_u32 v63, v31, 16, 1
	v_add3_u32 v60, v60, v30, 0x7fff
	v_bfe_u32 v64, v32, 16, 1
	v_add_nc_u32_e32 v58, 4, v58
	v_cndmask_b32_e32 v29, v59, v61, vcc_lo
	v_cmp_u_f32_e32 vcc_lo, v30, v30
	v_add3_u32 v59, v63, v31, 0x7fff
	s_waitcnt lgkmcnt(0)
	v_bfe_u32 v61, v25, 16, 1
	v_or_b32_e32 v63, 0x400000, v32
	v_and_b32_e32 v29, 0xffff0000, v29
	v_cndmask_b32_e32 v30, v60, v62, vcc_lo
	v_or_b32_e32 v60, 0x400000, v31
	v_cmp_u_f32_e32 vcc_lo, v31, v31
	v_add3_u32 v62, v64, v32, 0x7fff
	v_add_co_u32 v41, s0, v41, 16
	v_add_nc_u32_e32 v56, 32, v56
	v_cndmask_b32_e32 v31, v59, v60, vcc_lo
	v_cmp_u_f32_e32 vcc_lo, v32, v32
	v_add3_u32 v59, v61, v25, 0x7fff
	v_or_b32_e32 v60, 0x400000, v25
	v_bfe_u32 v61, v26, 16, 1
	v_add_nc_u32_e32 v57, 0x80, v57
	v_cndmask_b32_e32 v32, v62, v63, vcc_lo
	v_cmp_u_f32_e32 vcc_lo, v25, v25
	v_and_b32_e32 v25, 0xffff0000, v30
	s_waitcnt vmcnt(1)
	v_and_b32_e32 v30, 0xffff0000, v37
	v_add3_u32 v61, v61, v26, 0x7fff
	v_or_b32_e32 v62, 0x400000, v26
	v_cndmask_b32_e32 v59, v59, v60, vcc_lo
	v_bfe_u32 v60, v27, 16, 1
	v_cmp_u_f32_e32 vcc_lo, v26, v26
	v_or_b32_e32 v63, 0x400000, v27
	v_mul_f32_e32 v30, v25, v30
	v_lshlrev_b32_e32 v37, 16, v37
	v_add3_u32 v60, v60, v27, 0x7fff
	v_cndmask_b32_e32 v26, v61, v62, vcc_lo
	v_bfe_u32 v61, v28, 16, 1
	v_cmp_u_f32_e32 vcc_lo, v27, v27
	v_bfe_u32 v27, v30, 16, 1
	v_or_b32_e32 v62, 0x400000, v28
	v_or_b32_e32 v64, 0x400000, v30
	v_add3_u32 v61, v61, v28, 0x7fff
	v_cndmask_b32_e32 v60, v60, v63, vcc_lo
	v_cmp_u_f32_e32 vcc_lo, v28, v28
	v_add3_u32 v63, v27, v30, 0x7fff
	v_mul_f32_e32 v37, v29, v37
	v_and_b32_e32 v27, 0xffff0000, v32
	v_and_b32_e32 v32, 0xffff0000, v38
	v_cndmask_b32_e32 v28, v61, v62, vcc_lo
	v_cmp_u_f32_e32 vcc_lo, v30, v30
	v_bfe_u32 v62, v37, 16, 1
	v_and_b32_e32 v30, 0xffff0000, v31
	v_lshlrev_b32_e32 v31, 16, v38
	v_and_b32_e32 v26, 0xffff0000, v26
	v_cndmask_b32_e32 v61, v63, v64, vcc_lo
	v_mul_f32_e32 v63, v27, v32
	v_and_b32_e32 v32, 0xffff0000, v39
	v_add3_u32 v38, v62, v37, 0x7fff
	v_or_b32_e32 v62, 0x400000, v37
	v_mul_f32_e32 v31, v30, v31
	v_bfe_u32 v64, v63, 16, 1
	v_cmp_u_f32_e32 vcc_lo, v37, v37
	v_mul_f32_e32 v65, v26, v32
	v_and_b32_e32 v32, 0xffff0000, v59
	v_lshlrev_b32_e32 v39, 16, v39
	v_and_b32_e32 v28, 0xffff0000, v28
	v_cndmask_b32_e32 v37, v38, v62, vcc_lo
	v_add3_u32 v38, v64, v63, 0x7fff
	v_or_b32_e32 v62, 0x400000, v63
	v_bfe_u32 v64, v31, 16, 1
	v_cmp_u_f32_e32 vcc_lo, v63, v63
	v_bfe_u32 v66, v65, 16, 1
	v_mul_f32_e32 v39, v32, v39
	v_and_b32_e32 v37, 0xffff0000, v37
	v_add3_u32 v59, v64, v31, 0x7fff
	v_cndmask_b32_e32 v38, v38, v62, vcc_lo
	v_or_b32_e32 v62, 0x400000, v31
	v_cmp_u_f32_e32 vcc_lo, v31, v31
	v_add3_u32 v63, v66, v65, 0x7fff
	v_and_b32_e32 v64, 0xffff0000, v40
	v_or_b32_e32 v66, 0x400000, v65
	v_bfe_u32 v67, v39, 16, 1
	v_cndmask_b32_e32 v59, v59, v62, vcc_lo
	v_cmp_u_f32_e32 vcc_lo, v65, v65
	v_mul_f32_e32 v62, v28, v64
	v_or_b32_e32 v65, 0x400000, v39
	v_add3_u32 v64, v67, v39, 0x7fff
	v_and_b32_e32 v31, 0xffff0000, v60
	v_cndmask_b32_e32 v63, v63, v66, vcc_lo
	v_cmp_u_f32_e32 vcc_lo, v39, v39
	v_lshlrev_b32_e32 v40, 16, v40
	v_and_b32_e32 v61, 0xffff0000, v61
	v_and_b32_e32 v59, 0xffff0000, v59
	;; [unrolled: 1-line block ×3, first 2 shown]
	v_cndmask_b32_e32 v39, v64, v65, vcc_lo
	v_bfe_u32 v66, v62, 16, 1
	v_mul_f32_e32 v40, v31, v40
	v_add_f32_e32 v37, v37, v61
	v_add_f32_e32 v38, v59, v38
	v_and_b32_e32 v39, 0xffff0000, v39
	v_and_b32_e32 v59, 0xffff0000, v33
	;; [unrolled: 1-line block ×3, first 2 shown]
	v_add3_u32 v60, v66, v62, 0x7fff
	v_or_b32_e32 v64, 0x400000, v62
	v_cmp_u_f32_e32 vcc_lo, v62, v62
	v_bfe_u32 v62, v40, 16, 1
	v_add_f32_e32 v37, v38, v37
	v_mul_f32_e32 v38, v25, v59
	v_add_f32_e32 v39, v39, v61
	v_lshlrev_b32_e32 v33, 16, v33
	v_cndmask_b32_e32 v60, v60, v64, vcc_lo
	v_add3_u32 v62, v62, v40, 0x7fff
	v_or_b32_e32 v63, 0x400000, v40
	v_cmp_u_f32_e32 vcc_lo, v40, v40
	v_bfe_u32 v59, v38, 16, 1
	v_add_f32_e32 v37, v39, v37
	v_mul_f32_e32 v33, v29, v33
	v_and_b32_e32 v39, 0xffff0000, v34
	v_cndmask_b32_e32 v40, v62, v63, vcc_lo
	v_add3_u32 v59, v59, v38, 0x7fff
	v_or_b32_e32 v61, 0x400000, v38
	v_bfe_u32 v62, v33, 16, 1
	v_mul_f32_e32 v39, v27, v39
	v_lshlrev_b32_e32 v34, 16, v34
	v_cmp_u_f32_e32 vcc_lo, v38, v38
	v_and_b32_e32 v63, 0xffff0000, v35
	v_lshlrev_b32_e32 v35, 16, v35
	v_and_b32_e32 v64, 0xffff0000, v36
	v_mul_f32_e32 v34, v30, v34
	v_cndmask_b32_e32 v38, v59, v61, vcc_lo
	v_add3_u32 v59, v62, v33, 0x7fff
	v_or_b32_e32 v61, 0x400000, v33
	v_bfe_u32 v62, v39, 16, 1
	v_cmp_u_f32_e32 vcc_lo, v33, v33
	v_mul_f32_e32 v63, v26, v63
	v_mul_f32_e32 v35, v32, v35
	v_lshlrev_b32_e32 v36, 16, v36
	v_and_b32_e32 v38, 0xffff0000, v38
	v_cndmask_b32_e32 v33, v59, v61, vcc_lo
	v_add3_u32 v59, v62, v39, 0x7fff
	v_or_b32_e32 v61, 0x400000, v39
	v_bfe_u32 v62, v34, 16, 1
	v_cmp_u_f32_e32 vcc_lo, v39, v39
	v_mul_f32_e32 v36, v31, v36
	v_or_b32_e32 v65, 0x400000, v35
	v_and_b32_e32 v33, 0xffff0000, v33
	v_and_b32_e32 v40, 0xffff0000, v40
	v_cndmask_b32_e32 v39, v59, v61, vcc_lo
	v_add3_u32 v59, v62, v34, 0x7fff
	v_or_b32_e32 v61, 0x400000, v34
	v_bfe_u32 v62, v63, 16, 1
	v_cmp_u_f32_e32 vcc_lo, v34, v34
	v_bfe_u32 v67, v36, 16, 1
	v_and_b32_e32 v39, 0xffff0000, v39
	v_add_f32_e32 v33, v33, v38
	v_add_co_ci_u32_e64 v42, null, 0, v42, s0
	v_cndmask_b32_e32 v34, v59, v61, vcc_lo
	v_bfe_u32 v59, v35, 16, 1
	v_add3_u32 v61, v62, v63, 0x7fff
	v_mul_f32_e32 v62, v28, v64
	v_or_b32_e32 v64, 0x400000, v63
	v_cmp_u_f32_e32 vcc_lo, v63, v63
	v_add3_u32 v59, v59, v35, 0x7fff
	v_add3_u32 v63, v67, v36, 0x7fff
	v_bfe_u32 v66, v62, 16, 1
	v_and_b32_e32 v34, 0xffff0000, v34
	v_cndmask_b32_e32 v61, v61, v64, vcc_lo
	v_cmp_u_f32_e32 vcc_lo, v35, v35
	v_or_b32_e32 v64, 0x400000, v36
	v_add_f32_e32 v34, v34, v39
	v_and_b32_e32 v38, 0xffff0000, v61
	v_cndmask_b32_e32 v35, v59, v65, vcc_lo
	v_cmp_u_f32_e32 vcc_lo, v36, v36
	v_add3_u32 v59, v66, v62, 0x7fff
	v_or_b32_e32 v65, 0x400000, v62
	v_add_f32_e32 v33, v34, v33
	v_and_b32_e32 v35, 0xffff0000, v35
	v_cndmask_b32_e32 v36, v63, v64, vcc_lo
	v_cmp_u_f32_e32 vcc_lo, v62, v62
	v_add_f32_e32 v34, v35, v38
	v_and_b32_e32 v35, 0xffff0000, v36
	v_cndmask_b32_e32 v39, v59, v65, vcc_lo
	v_and_b32_e32 v59, 0xffff0000, v60
	v_and_b32_e32 v38, 0xffff0000, v21
	v_lshlrev_b32_e32 v21, 16, v21
	v_add_f32_e32 v33, v34, v33
	v_and_b32_e32 v36, 0xffff0000, v39
	v_add_f32_e32 v39, v40, v59
	v_mul_f32_e32 v21, v29, v21
	v_add_f32_e32 v34, v35, v36
	v_mul_f32_e32 v35, v25, v38
	v_add_f32_e32 v36, v39, v37
	v_and_b32_e32 v37, 0xffff0000, v22
	v_lshlrev_b32_e32 v22, 16, v22
	v_add_f32_e32 v33, v34, v33
	v_bfe_u32 v34, v35, 16, 1
	v_add_f32_e32 v45, v45, v36
	v_bfe_u32 v36, v21, 16, 1
	v_mul_f32_e32 v37, v27, v37
	v_add_f32_e32 v46, v46, v33
	v_add3_u32 v33, v34, v35, 0x7fff
	v_or_b32_e32 v34, 0x400000, v35
	v_cmp_u_f32_e32 vcc_lo, v35, v35
	v_add3_u32 v36, v36, v21, 0x7fff
	v_or_b32_e32 v38, 0x400000, v21
	v_mul_f32_e32 v22, v30, v22
	v_and_b32_e32 v35, 0xffff0000, v23
	v_cndmask_b32_e32 v33, v33, v34, vcc_lo
	v_bfe_u32 v34, v37, 16, 1
	v_cmp_u_f32_e32 vcc_lo, v21, v21
	v_lshlrev_b32_e32 v23, 16, v23
	v_mul_f32_e32 v35, v26, v35
	v_and_b32_e32 v39, 0xffff0000, v24
	v_add3_u32 v34, v34, v37, 0x7fff
	v_cndmask_b32_e32 v21, v36, v38, vcc_lo
	v_or_b32_e32 v36, 0x400000, v37
	v_bfe_u32 v38, v22, 16, 1
	v_cmp_u_f32_e32 vcc_lo, v37, v37
	v_mul_f32_e32 v23, v32, v23
	v_or_b32_e32 v37, 0x400000, v22
	v_lshlrev_b32_e32 v24, 16, v24
	v_and_b32_e32 v21, 0xffff0000, v21
	v_cndmask_b32_e32 v34, v34, v36, vcc_lo
	v_add3_u32 v36, v38, v22, 0x7fff
	v_bfe_u32 v38, v35, 16, 1
	v_cmp_u_f32_e32 vcc_lo, v22, v22
	v_bfe_u32 v40, v23, 16, 1
	v_mul_f32_e32 v24, v31, v24
	v_and_b32_e32 v33, 0xffff0000, v33
	v_and_b32_e32 v34, 0xffff0000, v34
	v_cndmask_b32_e32 v22, v36, v37, vcc_lo
	v_add3_u32 v36, v38, v35, 0x7fff
	v_mul_f32_e32 v37, v28, v39
	v_or_b32_e32 v38, 0x400000, v35
	v_cmp_u_f32_e32 vcc_lo, v35, v35
	v_add3_u32 v39, v40, v23, 0x7fff
	v_or_b32_e32 v40, 0x400000, v23
	v_bfe_u32 v59, v37, 16, 1
	v_and_b32_e32 v22, 0xffff0000, v22
	v_cndmask_b32_e32 v35, v36, v38, vcc_lo
	v_cmp_u_f32_e32 vcc_lo, v23, v23
	v_or_b32_e32 v38, 0x400000, v37
	v_add3_u32 v36, v59, v37, 0x7fff
	v_add_f32_e32 v21, v21, v33
	v_add_f32_e32 v22, v22, v34
	v_cndmask_b32_e32 v23, v39, v40, vcc_lo
	v_bfe_u32 v39, v24, 16, 1
	v_cmp_u_f32_e32 vcc_lo, v37, v37
	v_and_b32_e32 v34, 0xffff0000, v17
	v_and_b32_e32 v33, 0xffff0000, v35
	;; [unrolled: 1-line block ×3, first 2 shown]
	v_add3_u32 v37, v39, v24, 0x7fff
	v_cndmask_b32_e32 v36, v36, v38, vcc_lo
	v_or_b32_e32 v38, 0x400000, v24
	v_cmp_u_f32_e32 vcc_lo, v24, v24
	v_lshlrev_b32_e32 v17, 16, v17
	v_add_f32_e32 v21, v22, v21
	v_mul_f32_e32 v22, v25, v34
	v_add_f32_e32 v23, v23, v33
	v_cndmask_b32_e32 v24, v37, v38, vcc_lo
	v_mul_f32_e32 v17, v29, v17
	v_and_b32_e32 v33, 0xffff0000, v36
	v_bfe_u32 v34, v22, 16, 1
	v_add_f32_e32 v21, v23, v21
	v_and_b32_e32 v24, 0xffff0000, v24
	v_bfe_u32 v23, v17, 16, 1
	v_and_b32_e32 v35, 0xffff0000, v18
	v_cmp_u_f32_e32 vcc_lo, v22, v22
	v_or_b32_e32 v36, 0x400000, v17
	v_add_f32_e32 v24, v24, v33
	v_add3_u32 v33, v34, v22, 0x7fff
	v_or_b32_e32 v34, 0x400000, v22
	v_add3_u32 v23, v23, v17, 0x7fff
	v_mul_f32_e32 v35, v27, v35
	v_lshlrev_b32_e32 v18, 16, v18
	v_and_b32_e32 v37, 0xffff0000, v20
	v_cndmask_b32_e32 v22, v33, v34, vcc_lo
	v_cmp_u_f32_e32 vcc_lo, v17, v17
	v_bfe_u32 v33, v35, 16, 1
	v_mul_f32_e32 v18, v30, v18
	v_or_b32_e32 v34, 0x400000, v35
	v_lshlrev_b32_e32 v20, 16, v20
	v_cndmask_b32_e32 v17, v23, v36, vcc_lo
	v_and_b32_e32 v23, 0xffff0000, v19
	v_add3_u32 v33, v33, v35, 0x7fff
	v_lshlrev_b32_e32 v19, 16, v19
	v_bfe_u32 v36, v18, 16, 1
	v_cmp_u_f32_e32 vcc_lo, v35, v35
	v_mul_f32_e32 v23, v26, v23
	v_or_b32_e32 v35, 0x400000, v18
	v_mul_f32_e32 v19, v32, v19
	v_mul_f32_e32 v20, v31, v20
	v_cndmask_b32_e32 v33, v33, v34, vcc_lo
	v_add3_u32 v34, v36, v18, 0x7fff
	v_bfe_u32 v36, v23, 16, 1
	v_cmp_u_f32_e32 vcc_lo, v18, v18
	v_bfe_u32 v38, v19, 16, 1
	v_and_b32_e32 v17, 0xffff0000, v17
	v_and_b32_e32 v22, 0xffff0000, v22
	;; [unrolled: 1-line block ×3, first 2 shown]
	v_cndmask_b32_e32 v18, v34, v35, vcc_lo
	v_add3_u32 v34, v36, v23, 0x7fff
	v_mul_f32_e32 v35, v28, v37
	v_or_b32_e32 v36, 0x400000, v23
	v_cmp_u_f32_e32 vcc_lo, v23, v23
	v_add3_u32 v37, v38, v19, 0x7fff
	v_or_b32_e32 v38, 0x400000, v19
	v_bfe_u32 v39, v35, 16, 1
	v_and_b32_e32 v18, 0xffff0000, v18
	v_cndmask_b32_e32 v23, v34, v36, vcc_lo
	v_cmp_u_f32_e32 vcc_lo, v19, v19
	v_or_b32_e32 v36, 0x400000, v35
	v_add3_u32 v34, v39, v35, 0x7fff
	v_add_f32_e32 v17, v17, v22
	v_add_f32_e32 v18, v18, v33
	v_cndmask_b32_e32 v19, v37, v38, vcc_lo
	v_bfe_u32 v37, v20, 16, 1
	v_cmp_u_f32_e32 vcc_lo, v35, v35
	v_and_b32_e32 v22, 0xffff0000, v23
	v_add_f32_e32 v17, v18, v17
	v_and_b32_e32 v19, 0xffff0000, v19
	v_add3_u32 v35, v37, v20, 0x7fff
	v_cndmask_b32_e32 v34, v34, v36, vcc_lo
	v_or_b32_e32 v36, 0x400000, v20
	v_cmp_u_f32_e32 vcc_lo, v20, v20
	v_and_b32_e32 v18, 0xffff0000, v13
	v_add_f32_e32 v19, v19, v22
	v_lshlrev_b32_e32 v13, 16, v13
	v_and_b32_e32 v22, 0xffff0000, v34
	v_cndmask_b32_e32 v20, v35, v36, vcc_lo
	v_mul_f32_e32 v18, v25, v18
	v_add_f32_e32 v21, v24, v21
	v_mul_f32_e32 v23, v29, v13
	v_add_f32_e32 v13, v19, v17
	v_and_b32_e32 v20, 0xffff0000, v20
	v_bfe_u32 v19, v18, 16, 1
	v_add_f32_e32 v47, v47, v21
	v_and_b32_e32 v21, 0xffff0000, v14
	v_cmp_u_f32_e32 vcc_lo, v18, v18
	v_add_f32_e32 v17, v20, v22
	v_bfe_u32 v20, v23, 16, 1
	v_or_b32_e32 v22, 0x400000, v23
	v_mul_f32_e32 v21, v27, v21
	v_lshlrev_b32_e32 v14, 16, v14
	v_add_f32_e32 v13, v17, v13
	v_add3_u32 v17, v19, v18, 0x7fff
	v_or_b32_e32 v19, 0x400000, v18
	v_add3_u32 v20, v20, v23, 0x7fff
	v_bfe_u32 v18, v21, 16, 1
	v_mul_f32_e32 v14, v30, v14
	v_and_b32_e32 v24, 0xffff0000, v16
	v_cndmask_b32_e32 v17, v17, v19, vcc_lo
	v_cmp_u_f32_e32 vcc_lo, v23, v23
	v_add3_u32 v18, v18, v21, 0x7fff
	v_bfe_u32 v23, v14, 16, 1
	v_lshlrev_b32_e32 v16, 16, v16
	v_and_b32_e32 v17, 0xffff0000, v17
	v_cndmask_b32_e32 v19, v20, v22, vcc_lo
	v_and_b32_e32 v20, 0xffff0000, v15
	v_or_b32_e32 v22, 0x400000, v21
	v_lshlrev_b32_e32 v15, 16, v15
	v_cmp_u_f32_e32 vcc_lo, v21, v21
	v_add3_u32 v21, v23, v14, 0x7fff
	v_mul_f32_e32 v20, v26, v20
	v_mul_f32_e32 v16, v31, v16
	;; [unrolled: 1-line block ×3, first 2 shown]
	v_cndmask_b32_e32 v18, v18, v22, vcc_lo
	v_or_b32_e32 v22, 0x400000, v14
	v_bfe_u32 v23, v20, 16, 1
	v_cmp_u_f32_e32 vcc_lo, v14, v14
	v_bfe_u32 v33, v15, 16, 1
	v_and_b32_e32 v19, 0xffff0000, v19
	v_and_b32_e32 v18, 0xffff0000, v18
	v_add_f32_e32 v48, v48, v13
	v_cndmask_b32_e32 v14, v21, v22, vcc_lo
	v_add3_u32 v21, v23, v20, 0x7fff
	v_mul_f32_e32 v22, v28, v24
	v_or_b32_e32 v23, 0x400000, v20
	v_cmp_u_f32_e32 vcc_lo, v20, v20
	v_add3_u32 v24, v33, v15, 0x7fff
	v_or_b32_e32 v33, 0x400000, v15
	v_bfe_u32 v34, v22, 16, 1
	v_and_b32_e32 v14, 0xffff0000, v14
	v_cndmask_b32_e32 v20, v21, v23, vcc_lo
	v_cmp_u_f32_e32 vcc_lo, v15, v15
	v_or_b32_e32 v23, 0x400000, v22
	v_add3_u32 v21, v34, v22, 0x7fff
	v_add_f32_e32 v17, v19, v17
	v_add_f32_e32 v14, v14, v18
	v_cndmask_b32_e32 v15, v24, v33, vcc_lo
	v_bfe_u32 v24, v16, 16, 1
	v_cmp_u_f32_e32 vcc_lo, v22, v22
	v_and_b32_e32 v19, 0xffff0000, v5
	v_and_b32_e32 v18, 0xffff0000, v20
	;; [unrolled: 1-line block ×3, first 2 shown]
	v_add3_u32 v22, v24, v16, 0x7fff
	v_cndmask_b32_e32 v21, v21, v23, vcc_lo
	v_or_b32_e32 v23, 0x400000, v16
	v_cmp_u_f32_e32 vcc_lo, v16, v16
	v_lshlrev_b32_e32 v5, 16, v5
	v_add_f32_e32 v14, v14, v17
	v_mul_f32_e32 v17, v25, v19
	v_add_f32_e32 v15, v15, v18
	v_cndmask_b32_e32 v16, v22, v23, vcc_lo
	v_mul_f32_e32 v18, v29, v5
	v_and_b32_e32 v19, 0xffff0000, v21
	v_and_b32_e32 v20, 0xffff0000, v6
	v_bfe_u32 v21, v17, 16, 1
	v_and_b32_e32 v16, 0xffff0000, v16
	v_add_f32_e32 v5, v15, v14
	v_bfe_u32 v15, v18, 16, 1
	v_cmp_u_f32_e32 vcc_lo, v17, v17
	v_lshlrev_b32_e32 v6, 16, v6
	v_add_f32_e32 v14, v16, v19
	v_mul_f32_e32 v16, v27, v20
	v_add3_u32 v19, v21, v17, 0x7fff
	v_or_b32_e32 v20, 0x400000, v17
	v_add3_u32 v15, v15, v18, 0x7fff
	v_or_b32_e32 v21, 0x400000, v18
	v_bfe_u32 v22, v16, 16, 1
	v_mul_f32_e32 v6, v30, v6
	v_cndmask_b32_e32 v17, v19, v20, vcc_lo
	v_cmp_u_f32_e32 vcc_lo, v18, v18
	v_or_b32_e32 v19, 0x400000, v16
	v_add3_u32 v18, v22, v16, 0x7fff
	v_and_b32_e32 v20, 0xffff0000, v7
	v_lshlrev_b32_e32 v7, 16, v7
	v_cndmask_b32_e32 v15, v15, v21, vcc_lo
	v_cmp_u_f32_e32 vcc_lo, v16, v16
	v_bfe_u32 v21, v6, 16, 1
	v_and_b32_e32 v17, 0xffff0000, v17
	v_mul_f32_e32 v7, v32, v7
	v_and_b32_e32 v15, 0xffff0000, v15
	v_cndmask_b32_e32 v16, v18, v19, vcc_lo
	v_mul_f32_e32 v18, v26, v20
	v_add3_u32 v19, v21, v6, 0x7fff
	v_or_b32_e32 v20, 0x400000, v6
	v_and_b32_e32 v21, 0xffff0000, v8
	v_cmp_u_f32_e32 vcc_lo, v6, v6
	v_bfe_u32 v22, v18, 16, 1
	v_bfe_u32 v23, v7, 16, 1
	v_lshlrev_b32_e32 v8, 16, v8
	v_and_b32_e32 v16, 0xffff0000, v16
	v_cndmask_b32_e32 v6, v19, v20, vcc_lo
	v_mul_f32_e32 v19, v28, v21
	v_add3_u32 v20, v22, v18, 0x7fff
	v_or_b32_e32 v21, 0x400000, v18
	v_cmp_u_f32_e32 vcc_lo, v18, v18
	v_add3_u32 v22, v23, v7, 0x7fff
	v_or_b32_e32 v23, 0x400000, v7
	v_bfe_u32 v24, v19, 16, 1
	v_and_b32_e32 v6, 0xffff0000, v6
	v_cndmask_b32_e32 v18, v20, v21, vcc_lo
	v_cmp_u_f32_e32 vcc_lo, v7, v7
	v_or_b32_e32 v21, 0x400000, v19
	v_add3_u32 v20, v24, v19, 0x7fff
	v_mul_f32_e32 v8, v31, v8
	v_add_f32_e32 v15, v15, v17
	v_cndmask_b32_e32 v7, v22, v23, vcc_lo
	v_cmp_u_f32_e32 vcc_lo, v19, v19
	v_add_f32_e32 v6, v6, v16
	v_and_b32_e32 v16, 0xffff0000, v1
	v_and_b32_e32 v17, 0xffff0000, v18
	;; [unrolled: 1-line block ×3, first 2 shown]
	v_cndmask_b32_e32 v19, v20, v21, vcc_lo
	v_bfe_u32 v20, v8, 16, 1
	v_add_f32_e32 v6, v6, v15
	v_mul_f32_e32 v15, v25, v16
	v_add_f32_e32 v7, v7, v17
	v_lshlrev_b32_e32 v1, 16, v1
	v_add3_u32 v18, v20, v8, 0x7fff
	v_or_b32_e32 v20, 0x400000, v8
	v_cmp_u_f32_e32 vcc_lo, v8, v8
	v_bfe_u32 v16, v15, 16, 1
	v_add_f32_e32 v6, v7, v6
	v_and_b32_e32 v7, 0xffff0000, v2
	v_mul_f32_e32 v1, v29, v1
	v_cndmask_b32_e32 v8, v18, v20, vcc_lo
	v_add3_u32 v16, v16, v15, 0x7fff
	v_or_b32_e32 v17, 0x400000, v15
	v_mul_f32_e32 v7, v27, v7
	v_and_b32_e32 v18, 0xffff0000, v19
	v_bfe_u32 v19, v1, 16, 1
	v_cmp_u_f32_e32 vcc_lo, v15, v15
	v_lshlrev_b32_e32 v2, 16, v2
	v_or_b32_e32 v20, 0x400000, v1
	v_or_b32_e32 v21, 0x400000, v7
	v_and_b32_e32 v8, 0xffff0000, v8
	v_cndmask_b32_e32 v15, v16, v17, vcc_lo
	v_bfe_u32 v16, v7, 16, 1
	v_add3_u32 v17, v19, v1, 0x7fff
	v_and_b32_e32 v19, 0xffff0000, v3
	v_mul_f32_e32 v2, v30, v2
	v_cmp_u_f32_e32 vcc_lo, v1, v1
	v_add3_u32 v16, v16, v7, 0x7fff
	v_lshlrev_b32_e32 v3, 16, v3
	v_mul_f32_e32 v19, v26, v19
	v_and_b32_e32 v15, 0xffff0000, v15
	v_cndmask_b32_e32 v1, v17, v20, vcc_lo
	v_bfe_u32 v17, v2, 16, 1
	v_cmp_u_f32_e32 vcc_lo, v7, v7
	v_and_b32_e32 v20, 0xffff0000, v4
	v_mul_f32_e32 v3, v32, v3
	v_or_b32_e32 v22, 0x400000, v19
	v_add3_u32 v17, v17, v2, 0x7fff
	v_cndmask_b32_e32 v7, v16, v21, vcc_lo
	v_bfe_u32 v16, v19, 16, 1
	v_or_b32_e32 v21, 0x400000, v2
	v_cmp_u_f32_e32 vcc_lo, v2, v2
	v_mul_f32_e32 v20, v28, v20
	v_lshlrev_b32_e32 v4, 16, v4
	v_add3_u32 v16, v16, v19, 0x7fff
	v_and_b32_e32 v1, 0xffff0000, v1
	v_cndmask_b32_e32 v2, v17, v21, vcc_lo
	v_bfe_u32 v17, v3, 16, 1
	v_cmp_u_f32_e32 vcc_lo, v19, v19
	v_bfe_u32 v21, v20, 16, 1
	v_or_b32_e32 v19, 0x400000, v3
	v_mul_f32_e32 v4, v31, v4
	v_add3_u32 v17, v17, v3, 0x7fff
	v_cndmask_b32_e32 v16, v16, v22, vcc_lo
	v_cmp_u_f32_e32 vcc_lo, v3, v3
	v_add3_u32 v21, v21, v20, 0x7fff
	v_or_b32_e32 v22, 0x400000, v20
	v_and_b32_e32 v2, 0xffff0000, v2
	v_and_b32_e32 v7, 0xffff0000, v7
	v_cndmask_b32_e32 v3, v17, v19, vcc_lo
	v_cmp_u_f32_e32 vcc_lo, v20, v20
	v_bfe_u32 v19, v4, 16, 1
	v_add_f32_e32 v1, v1, v15
	v_add_f32_e32 v2, v2, v7
	v_and_b32_e32 v3, 0xffff0000, v3
	v_cndmask_b32_e32 v17, v21, v22, vcc_lo
	s_waitcnt vmcnt(0)
	v_lshlrev_b32_e32 v21, 16, v9
	v_and_b32_e32 v7, 0xffff0000, v16
	v_and_b32_e32 v9, 0xffff0000, v9
	v_add3_u32 v19, v19, v4, 0x7fff
	v_or_b32_e32 v20, 0x400000, v4
	v_mul_f32_e32 v15, v29, v21
	v_cmp_u_f32_e32 vcc_lo, v4, v4
	v_add_f32_e32 v1, v2, v1
	v_add_f32_e32 v3, v3, v7
	v_mul_f32_e32 v7, v25, v9
	v_bfe_u32 v2, v15, 16, 1
	v_lshlrev_b32_e32 v9, 16, v10
	v_cndmask_b32_e32 v4, v19, v20, vcc_lo
	v_or_b32_e32 v16, 0x400000, v15
	v_bfe_u32 v19, v7, 16, 1
	v_add3_u32 v2, v2, v15, 0x7fff
	v_mul_f32_e32 v9, v30, v9
	v_and_b32_e32 v10, 0xffff0000, v10
	v_cmp_u_f32_e32 vcc_lo, v15, v15
	v_add3_u32 v15, v19, v7, 0x7fff
	v_lshlrev_b32_e32 v20, 16, v11
	v_bfe_u32 v19, v9, 16, 1
	v_mul_f32_e32 v10, v27, v10
	v_cndmask_b32_e32 v2, v2, v16, vcc_lo
	v_or_b32_e32 v16, 0x400000, v7
	v_cmp_u_f32_e32 vcc_lo, v7, v7
	v_mul_f32_e32 v20, v32, v20
	v_and_b32_e32 v11, 0xffff0000, v11
	v_lshlrev_b32_e32 v21, 16, v12
	v_and_b32_e32 v12, 0xffff0000, v12
	v_cndmask_b32_e32 v7, v15, v16, vcc_lo
	v_add3_u32 v15, v19, v9, 0x7fff
	v_or_b32_e32 v16, 0x400000, v9
	v_bfe_u32 v19, v10, 16, 1
	v_cmp_u_f32_e32 vcc_lo, v9, v9
	v_mul_f32_e32 v11, v26, v11
	v_mul_f32_e32 v12, v28, v12
	v_and_b32_e32 v7, 0xffff0000, v7
	v_and_b32_e32 v2, 0xffff0000, v2
	v_cndmask_b32_e32 v9, v15, v16, vcc_lo
	v_add3_u32 v15, v19, v10, 0x7fff
	v_or_b32_e32 v16, 0x400000, v10
	v_bfe_u32 v19, v20, 16, 1
	v_cmp_u_f32_e32 vcc_lo, v10, v10
	v_or_b32_e32 v22, 0x400000, v11
	v_bfe_u32 v24, v12, 16, 1
	v_and_b32_e32 v9, 0xffff0000, v9
	v_add_f32_e32 v2, v2, v7
	v_cndmask_b32_e32 v10, v15, v16, vcc_lo
	v_bfe_u32 v15, v11, 16, 1
	v_add3_u32 v16, v19, v20, 0x7fff
	v_mul_f32_e32 v19, v31, v21
	v_or_b32_e32 v21, 0x400000, v20
	v_cmp_u_f32_e32 vcc_lo, v20, v20
	v_add3_u32 v15, v15, v11, 0x7fff
	v_add3_u32 v20, v24, v12, 0x7fff
	v_bfe_u32 v23, v19, 16, 1
	v_and_b32_e32 v10, 0xffff0000, v10
	v_cndmask_b32_e32 v16, v16, v21, vcc_lo
	v_cmp_u_f32_e32 vcc_lo, v11, v11
	v_or_b32_e32 v21, 0x400000, v12
	v_and_b32_e32 v4, 0xffff0000, v4
	v_add_f32_e32 v7, v9, v10
	v_and_b32_e32 v10, 0xffff0000, v16
	v_cndmask_b32_e32 v11, v15, v22, vcc_lo
	v_cmp_u_f32_e32 vcc_lo, v12, v12
	v_add3_u32 v15, v23, v19, 0x7fff
	v_or_b32_e32 v22, 0x400000, v19
	v_add_f32_e32 v2, v7, v2
	v_and_b32_e32 v9, 0xffff0000, v11
	v_cndmask_b32_e32 v12, v20, v21, vcc_lo
	v_cmp_u_f32_e32 vcc_lo, v19, v19
	v_add_f32_e32 v8, v8, v18
	v_add_f32_e32 v1, v3, v1
	;; [unrolled: 1-line block ×3, first 2 shown]
	v_and_b32_e32 v9, 0xffff0000, v12
	v_cndmask_b32_e32 v11, v15, v22, vcc_lo
	v_and_b32_e32 v15, 0xffff0000, v17
	v_add_f32_e32 v5, v14, v5
	v_add_f32_e32 v2, v7, v2
	v_add_f32_e32 v6, v8, v6
	v_and_b32_e32 v10, 0xffff0000, v11
	v_add_f32_e32 v3, v4, v15
	v_cmp_le_i32_e32 vcc_lo, s12, v58
	v_add_f32_e32 v50, v50, v5
	v_add_f32_e32 v51, v51, v6
	;; [unrolled: 1-line block ×4, first 2 shown]
	s_or_b32 s13, vcc_lo, s13
	v_add_f32_e32 v2, v4, v2
	v_add_f32_e32 v52, v52, v1
	v_add_f32_e32 v44, v44, v2
	s_andn2_b32 exec_lo, exec_lo, s13
	s_cbranch_execz .LBB125_46
.LBB125_30:                             ; =>This Inner Loop Header: Depth=1
	global_load_dword v1, v[41:42], off
	v_cmp_eq_u32_e64 s0, s4, v58
	v_add_nc_u32_e32 v65, 1, v56
	v_or_b32_e32 v63, 3, v56
	v_or_b32_e32 v64, 2, v56
	v_or_b32_e32 v62, 5, v56
	v_or_b32_e32 v61, 4, v56
	v_or_b32_e32 v60, 7, v56
	v_or_b32_e32 v59, 6, v56
	s_waitcnt vmcnt(0)
	v_mad_i64_i32 v[1:2], null, v1, s5, 0
	v_lshlrev_b64 v[1:2], 1, v[1:2]
	v_add_co_u32 v9, vcc_lo, v54, v1
	v_add_co_ci_u32_e64 v10, null, v55, v2, vcc_lo
	global_load_dwordx4 v[1:4], v[9:10], off
	ds_read2_b64 v[29:32], v57 offset1:1
	ds_read2_b64 v[25:28], v57 offset0:2 offset1:3
	s_and_saveexec_b32 s15, s0
	s_cbranch_execnz .LBB125_39
; %bb.31:                               ;   in Loop: Header=BB125_30 Depth=1
	s_or_b32 exec_lo, exec_lo, s15
	global_load_dwordx4 v[5:8], v[9:10], off offset:512
	s_and_saveexec_b32 s15, s0
	s_cbranch_execnz .LBB125_40
.LBB125_32:                             ;   in Loop: Header=BB125_30 Depth=1
	s_or_b32 exec_lo, exec_lo, s15
	global_load_dwordx4 v[13:16], v[9:10], off offset:1024
	s_and_saveexec_b32 s15, s0
	s_cbranch_execnz .LBB125_41
.LBB125_33:                             ;   in Loop: Header=BB125_30 Depth=1
	s_or_b32 exec_lo, exec_lo, s15
	global_load_dwordx4 v[17:20], v[9:10], off offset:1536
	s_and_saveexec_b32 s15, s0
	s_cbranch_execz .LBB125_35
.LBB125_34:                             ;   in Loop: Header=BB125_30 Depth=1
	v_cmp_gt_i32_e64 s1, s11, v56
	v_cmp_gt_i32_e32 vcc_lo, s14, v65
	v_cmp_gt_i32_e64 s2, s11, v64
	s_waitcnt vmcnt(0)
	v_cndmask_b32_e64 v11, 0, v17, s1
	v_cmp_gt_i32_e64 s1, s14, v63
	v_cndmask_b32_sdwa v17, v53, v17, vcc_lo dst_sel:DWORD dst_unused:UNUSED_PAD src0_sel:DWORD src1_sel:WORD_1
	v_cndmask_b32_e64 v12, 0, v18, s2
	v_cmp_gt_i32_e64 s2, s14, v62
	s_mov_b32 vcc_lo, s1
	v_cmp_gt_i32_e64 s1, s14, v60
	v_cndmask_b32_sdwa v18, v53, v18, vcc_lo dst_sel:DWORD dst_unused:UNUSED_PAD src0_sel:DWORD src1_sel:WORD_1
	v_cmp_gt_i32_e32 vcc_lo, s11, v61
	v_perm_b32 v17, v17, v11, 0x5040100
	v_perm_b32 v18, v18, v12, 0x5040100
	v_cndmask_b32_e32 v21, 0, v19, vcc_lo
	s_mov_b32 vcc_lo, s2
	v_cndmask_b32_sdwa v19, v53, v19, vcc_lo dst_sel:DWORD dst_unused:UNUSED_PAD src0_sel:DWORD src1_sel:WORD_1
	v_cmp_gt_i32_e32 vcc_lo, s11, v59
	v_perm_b32 v19, v19, v21, 0x5040100
	v_cndmask_b32_e32 v22, 0, v20, vcc_lo
	s_mov_b32 vcc_lo, s1
	v_cndmask_b32_sdwa v20, v53, v20, vcc_lo dst_sel:DWORD dst_unused:UNUSED_PAD src0_sel:DWORD src1_sel:WORD_1
	v_perm_b32 v20, v20, v22, 0x5040100
.LBB125_35:                             ;   in Loop: Header=BB125_30 Depth=1
	s_or_b32 exec_lo, exec_lo, s15
	v_add_co_u32 v9, vcc_lo, 0x800, v9
	v_add_co_ci_u32_e64 v10, null, 0, v10, vcc_lo
	global_load_dwordx4 v[21:24], v[9:10], off
	s_and_saveexec_b32 s15, s0
	s_cbranch_execnz .LBB125_42
; %bb.36:                               ;   in Loop: Header=BB125_30 Depth=1
	s_or_b32 exec_lo, exec_lo, s15
	global_load_dwordx4 v[33:36], v[9:10], off offset:512
	s_and_saveexec_b32 s15, s0
	s_cbranch_execnz .LBB125_43
.LBB125_37:                             ;   in Loop: Header=BB125_30 Depth=1
	s_or_b32 exec_lo, exec_lo, s15
	global_load_dwordx4 v[37:40], v[9:10], off offset:1024
	s_and_saveexec_b32 s15, s0
	s_cbranch_execnz .LBB125_44
.LBB125_38:                             ;   in Loop: Header=BB125_30 Depth=1
	s_or_b32 exec_lo, exec_lo, s15
	global_load_dwordx4 v[9:12], v[9:10], off offset:1536
	s_and_saveexec_b32 s2, s0
	s_cbranch_execz .LBB125_29
	s_branch .LBB125_45
.LBB125_39:                             ;   in Loop: Header=BB125_30 Depth=1
	v_cmp_gt_i32_e64 s1, s11, v56
	v_cmp_gt_i32_e32 vcc_lo, s14, v65
	v_cmp_gt_i32_e64 s2, s11, v64
	s_waitcnt vmcnt(0)
	v_cndmask_b32_e64 v5, 0, v1, s1
	v_cmp_gt_i32_e64 s1, s14, v63
	v_cndmask_b32_sdwa v1, v53, v1, vcc_lo dst_sel:DWORD dst_unused:UNUSED_PAD src0_sel:DWORD src1_sel:WORD_1
	v_cndmask_b32_e64 v6, 0, v2, s2
	v_cmp_gt_i32_e64 s2, s14, v62
	s_mov_b32 vcc_lo, s1
	v_cmp_gt_i32_e64 s1, s14, v60
	v_cndmask_b32_sdwa v2, v53, v2, vcc_lo dst_sel:DWORD dst_unused:UNUSED_PAD src0_sel:DWORD src1_sel:WORD_1
	v_cmp_gt_i32_e32 vcc_lo, s11, v61
	v_perm_b32 v1, v1, v5, 0x5040100
	v_perm_b32 v2, v2, v6, 0x5040100
	v_cndmask_b32_e32 v7, 0, v3, vcc_lo
	s_mov_b32 vcc_lo, s2
	v_cndmask_b32_sdwa v3, v53, v3, vcc_lo dst_sel:DWORD dst_unused:UNUSED_PAD src0_sel:DWORD src1_sel:WORD_1
	v_cmp_gt_i32_e32 vcc_lo, s11, v59
	v_perm_b32 v3, v3, v7, 0x5040100
	v_cndmask_b32_e32 v8, 0, v4, vcc_lo
	s_mov_b32 vcc_lo, s1
	v_cndmask_b32_sdwa v4, v53, v4, vcc_lo dst_sel:DWORD dst_unused:UNUSED_PAD src0_sel:DWORD src1_sel:WORD_1
	v_perm_b32 v4, v4, v8, 0x5040100
	s_or_b32 exec_lo, exec_lo, s15
	global_load_dwordx4 v[5:8], v[9:10], off offset:512
	s_and_saveexec_b32 s15, s0
	s_cbranch_execz .LBB125_32
.LBB125_40:                             ;   in Loop: Header=BB125_30 Depth=1
	v_cmp_gt_i32_e64 s1, s11, v56
	v_cmp_gt_i32_e32 vcc_lo, s14, v65
	v_cmp_gt_i32_e64 s2, s11, v64
	s_waitcnt vmcnt(0)
	v_cndmask_b32_e64 v11, 0, v5, s1
	v_cmp_gt_i32_e64 s1, s14, v63
	v_cndmask_b32_sdwa v5, v53, v5, vcc_lo dst_sel:DWORD dst_unused:UNUSED_PAD src0_sel:DWORD src1_sel:WORD_1
	v_cndmask_b32_e64 v12, 0, v6, s2
	v_cmp_gt_i32_e64 s2, s14, v62
	s_mov_b32 vcc_lo, s1
	v_cmp_gt_i32_e64 s1, s14, v60
	v_cndmask_b32_sdwa v6, v53, v6, vcc_lo dst_sel:DWORD dst_unused:UNUSED_PAD src0_sel:DWORD src1_sel:WORD_1
	v_cmp_gt_i32_e32 vcc_lo, s11, v61
	v_perm_b32 v5, v5, v11, 0x5040100
	v_perm_b32 v6, v6, v12, 0x5040100
	v_cndmask_b32_e32 v13, 0, v7, vcc_lo
	s_mov_b32 vcc_lo, s2
	v_cndmask_b32_sdwa v7, v53, v7, vcc_lo dst_sel:DWORD dst_unused:UNUSED_PAD src0_sel:DWORD src1_sel:WORD_1
	v_cmp_gt_i32_e32 vcc_lo, s11, v59
	v_perm_b32 v7, v7, v13, 0x5040100
	v_cndmask_b32_e32 v14, 0, v8, vcc_lo
	s_mov_b32 vcc_lo, s1
	v_cndmask_b32_sdwa v8, v53, v8, vcc_lo dst_sel:DWORD dst_unused:UNUSED_PAD src0_sel:DWORD src1_sel:WORD_1
	v_perm_b32 v8, v8, v14, 0x5040100
	s_or_b32 exec_lo, exec_lo, s15
	global_load_dwordx4 v[13:16], v[9:10], off offset:1024
	s_and_saveexec_b32 s15, s0
	s_cbranch_execz .LBB125_33
.LBB125_41:                             ;   in Loop: Header=BB125_30 Depth=1
	v_cmp_gt_i32_e64 s1, s11, v56
	v_cmp_gt_i32_e32 vcc_lo, s14, v65
	v_cmp_gt_i32_e64 s2, s11, v64
	s_waitcnt vmcnt(0)
	v_cndmask_b32_e64 v11, 0, v13, s1
	v_cmp_gt_i32_e64 s1, s14, v63
	v_cndmask_b32_sdwa v13, v53, v13, vcc_lo dst_sel:DWORD dst_unused:UNUSED_PAD src0_sel:DWORD src1_sel:WORD_1
	v_cndmask_b32_e64 v12, 0, v14, s2
	v_cmp_gt_i32_e64 s2, s14, v62
	s_mov_b32 vcc_lo, s1
	v_cmp_gt_i32_e64 s1, s14, v60
	v_cndmask_b32_sdwa v14, v53, v14, vcc_lo dst_sel:DWORD dst_unused:UNUSED_PAD src0_sel:DWORD src1_sel:WORD_1
	v_cmp_gt_i32_e32 vcc_lo, s11, v61
	v_perm_b32 v13, v13, v11, 0x5040100
	v_perm_b32 v14, v14, v12, 0x5040100
	v_cndmask_b32_e32 v17, 0, v15, vcc_lo
	s_mov_b32 vcc_lo, s2
	v_cndmask_b32_sdwa v15, v53, v15, vcc_lo dst_sel:DWORD dst_unused:UNUSED_PAD src0_sel:DWORD src1_sel:WORD_1
	v_cmp_gt_i32_e32 vcc_lo, s11, v59
	v_perm_b32 v15, v15, v17, 0x5040100
	v_cndmask_b32_e32 v18, 0, v16, vcc_lo
	s_mov_b32 vcc_lo, s1
	v_cndmask_b32_sdwa v16, v53, v16, vcc_lo dst_sel:DWORD dst_unused:UNUSED_PAD src0_sel:DWORD src1_sel:WORD_1
	v_perm_b32 v16, v16, v18, 0x5040100
	s_or_b32 exec_lo, exec_lo, s15
	global_load_dwordx4 v[17:20], v[9:10], off offset:1536
	s_and_saveexec_b32 s15, s0
	s_cbranch_execnz .LBB125_34
	s_branch .LBB125_35
.LBB125_42:                             ;   in Loop: Header=BB125_30 Depth=1
	v_cmp_gt_i32_e64 s1, s11, v56
	v_cmp_gt_i32_e32 vcc_lo, s14, v65
	v_cmp_gt_i32_e64 s2, s11, v64
	s_waitcnt vmcnt(0)
	v_cndmask_b32_e64 v11, 0, v21, s1
	v_cmp_gt_i32_e64 s1, s14, v63
	v_cndmask_b32_sdwa v21, v53, v21, vcc_lo dst_sel:DWORD dst_unused:UNUSED_PAD src0_sel:DWORD src1_sel:WORD_1
	v_cndmask_b32_e64 v12, 0, v22, s2
	v_cmp_gt_i32_e64 s2, s14, v62
	s_mov_b32 vcc_lo, s1
	v_cmp_gt_i32_e64 s1, s14, v60
	v_cndmask_b32_sdwa v22, v53, v22, vcc_lo dst_sel:DWORD dst_unused:UNUSED_PAD src0_sel:DWORD src1_sel:WORD_1
	v_cmp_gt_i32_e32 vcc_lo, s11, v61
	v_perm_b32 v21, v21, v11, 0x5040100
	v_perm_b32 v22, v22, v12, 0x5040100
	v_cndmask_b32_e32 v33, 0, v23, vcc_lo
	s_mov_b32 vcc_lo, s2
	v_cndmask_b32_sdwa v23, v53, v23, vcc_lo dst_sel:DWORD dst_unused:UNUSED_PAD src0_sel:DWORD src1_sel:WORD_1
	v_cmp_gt_i32_e32 vcc_lo, s11, v59
	v_perm_b32 v23, v23, v33, 0x5040100
	v_cndmask_b32_e32 v34, 0, v24, vcc_lo
	s_mov_b32 vcc_lo, s1
	v_cndmask_b32_sdwa v24, v53, v24, vcc_lo dst_sel:DWORD dst_unused:UNUSED_PAD src0_sel:DWORD src1_sel:WORD_1
	v_perm_b32 v24, v24, v34, 0x5040100
	s_or_b32 exec_lo, exec_lo, s15
	global_load_dwordx4 v[33:36], v[9:10], off offset:512
	s_and_saveexec_b32 s15, s0
	s_cbranch_execz .LBB125_37
.LBB125_43:                             ;   in Loop: Header=BB125_30 Depth=1
	v_cmp_gt_i32_e64 s1, s11, v56
	v_cmp_gt_i32_e32 vcc_lo, s14, v65
	v_cmp_gt_i32_e64 s2, s11, v64
	s_waitcnt vmcnt(0)
	v_cndmask_b32_e64 v11, 0, v33, s1
	v_cmp_gt_i32_e64 s1, s14, v63
	v_cndmask_b32_sdwa v33, v53, v33, vcc_lo dst_sel:DWORD dst_unused:UNUSED_PAD src0_sel:DWORD src1_sel:WORD_1
	v_cndmask_b32_e64 v12, 0, v34, s2
	v_cmp_gt_i32_e64 s2, s14, v62
	s_mov_b32 vcc_lo, s1
	v_cmp_gt_i32_e64 s1, s14, v60
	v_cndmask_b32_sdwa v34, v53, v34, vcc_lo dst_sel:DWORD dst_unused:UNUSED_PAD src0_sel:DWORD src1_sel:WORD_1
	v_cmp_gt_i32_e32 vcc_lo, s11, v61
	v_perm_b32 v33, v33, v11, 0x5040100
	v_perm_b32 v34, v34, v12, 0x5040100
	v_cndmask_b32_e32 v37, 0, v35, vcc_lo
	s_mov_b32 vcc_lo, s2
	v_cndmask_b32_sdwa v35, v53, v35, vcc_lo dst_sel:DWORD dst_unused:UNUSED_PAD src0_sel:DWORD src1_sel:WORD_1
	v_cmp_gt_i32_e32 vcc_lo, s11, v59
	v_perm_b32 v35, v35, v37, 0x5040100
	v_cndmask_b32_e32 v38, 0, v36, vcc_lo
	s_mov_b32 vcc_lo, s1
	v_cndmask_b32_sdwa v36, v53, v36, vcc_lo dst_sel:DWORD dst_unused:UNUSED_PAD src0_sel:DWORD src1_sel:WORD_1
	v_perm_b32 v36, v36, v38, 0x5040100
	s_or_b32 exec_lo, exec_lo, s15
	global_load_dwordx4 v[37:40], v[9:10], off offset:1024
	s_and_saveexec_b32 s15, s0
	s_cbranch_execz .LBB125_38
.LBB125_44:                             ;   in Loop: Header=BB125_30 Depth=1
	v_cmp_gt_i32_e64 s1, s11, v56
	v_cmp_gt_i32_e32 vcc_lo, s14, v65
	v_cmp_gt_i32_e64 s2, s11, v64
	s_waitcnt vmcnt(0)
	v_cndmask_b32_e64 v11, 0, v37, s1
	v_cmp_gt_i32_e64 s1, s14, v63
	v_cndmask_b32_sdwa v37, v53, v37, vcc_lo dst_sel:DWORD dst_unused:UNUSED_PAD src0_sel:DWORD src1_sel:WORD_1
	v_cndmask_b32_e64 v12, 0, v38, s2
	v_cmp_gt_i32_e64 s2, s14, v62
	s_mov_b32 vcc_lo, s1
	v_cmp_gt_i32_e64 s1, s14, v60
	v_cndmask_b32_sdwa v38, v53, v38, vcc_lo dst_sel:DWORD dst_unused:UNUSED_PAD src0_sel:DWORD src1_sel:WORD_1
	v_cmp_gt_i32_e32 vcc_lo, s11, v61
	v_perm_b32 v37, v37, v11, 0x5040100
	v_perm_b32 v38, v38, v12, 0x5040100
	v_cndmask_b32_e32 v66, 0, v39, vcc_lo
	s_mov_b32 vcc_lo, s2
	v_cndmask_b32_sdwa v39, v53, v39, vcc_lo dst_sel:DWORD dst_unused:UNUSED_PAD src0_sel:DWORD src1_sel:WORD_1
	v_cmp_gt_i32_e32 vcc_lo, s11, v59
	v_perm_b32 v39, v39, v66, 0x5040100
	v_cndmask_b32_e32 v67, 0, v40, vcc_lo
	s_mov_b32 vcc_lo, s1
	v_cndmask_b32_sdwa v40, v53, v40, vcc_lo dst_sel:DWORD dst_unused:UNUSED_PAD src0_sel:DWORD src1_sel:WORD_1
	v_perm_b32 v40, v40, v67, 0x5040100
	s_or_b32 exec_lo, exec_lo, s15
	global_load_dwordx4 v[9:12], v[9:10], off offset:1536
	s_and_saveexec_b32 s2, s0
	s_cbranch_execz .LBB125_29
.LBB125_45:                             ;   in Loop: Header=BB125_30 Depth=1
	v_cmp_gt_i32_e64 s0, s11, v56
	v_cmp_gt_i32_e32 vcc_lo, s14, v65
	v_cmp_gt_i32_e64 s1, s11, v64
	s_waitcnt vmcnt(0)
	v_cndmask_b32_e64 v65, 0, v9, s0
	v_cmp_gt_i32_e64 s0, s14, v63
	v_cndmask_b32_sdwa v9, v53, v9, vcc_lo dst_sel:DWORD dst_unused:UNUSED_PAD src0_sel:DWORD src1_sel:WORD_1
	v_cndmask_b32_e64 v63, 0, v10, s1
	v_cmp_gt_i32_e64 s1, s14, v62
	s_mov_b32 vcc_lo, s0
	v_cmp_gt_i32_e64 s0, s14, v60
	v_cndmask_b32_sdwa v10, v53, v10, vcc_lo dst_sel:DWORD dst_unused:UNUSED_PAD src0_sel:DWORD src1_sel:WORD_1
	v_cmp_gt_i32_e32 vcc_lo, s11, v61
	v_perm_b32 v9, v9, v65, 0x5040100
	v_perm_b32 v10, v10, v63, 0x5040100
	v_cndmask_b32_e32 v61, 0, v11, vcc_lo
	s_mov_b32 vcc_lo, s1
	v_cndmask_b32_sdwa v11, v53, v11, vcc_lo dst_sel:DWORD dst_unused:UNUSED_PAD src0_sel:DWORD src1_sel:WORD_1
	v_cmp_gt_i32_e32 vcc_lo, s11, v59
	v_perm_b32 v11, v11, v61, 0x5040100
	v_cndmask_b32_e32 v59, 0, v12, vcc_lo
	s_mov_b32 vcc_lo, s0
	v_cndmask_b32_sdwa v12, v53, v12, vcc_lo dst_sel:DWORD dst_unused:UNUSED_PAD src0_sel:DWORD src1_sel:WORD_1
	v_perm_b32 v12, v12, v59, 0x5040100
	s_branch .LBB125_29
.LBB125_46:
	s_or_b32 exec_lo, exec_lo, s13
.LBB125_47:
	s_or_b32 exec_lo, exec_lo, s3
	v_lshl_add_u32 v2, v49, 2, 0x220
	v_and_b32_e32 v3, 0x3c0, v0
	s_mov_b32 s0, exec_lo
	s_barrier
	v_lshl_add_u32 v1, v43, 10, v2
	buffer_gl0_inv
	v_cmpx_eq_u32_e32 64, v3
	s_cbranch_execz .LBB125_49
; %bb.48:
	v_add_nc_u32_e32 v3, 0xfffff800, v1
	v_add_nc_u32_e32 v4, 0xfffff880, v1
	;; [unrolled: 1-line block ×5, first 2 shown]
	ds_write_b32 v3, v52
	ds_write_b32 v4, v51
	ds_write_b32 v5, v50
	v_add_nc_u32_e32 v3, 0xfffff980, v1
	v_add_nc_u32_e32 v4, 0xfffffa00, v1
	;; [unrolled: 1-line block ×3, first 2 shown]
	ds_write_b32 v3, v48
	ds_write_b32 v4, v47
	;; [unrolled: 1-line block ×5, first 2 shown]
.LBB125_49:
	s_or_b32 exec_lo, exec_lo, s0
	s_mov_b32 s0, exec_lo
	s_waitcnt lgkmcnt(0)
	s_barrier
	buffer_gl0_inv
	v_cmpx_gt_u32_e32 64, v0
	s_cbranch_execz .LBB125_51
; %bb.50:
	ds_read2_b32 v[3:4], v1 offset1:32
	ds_read2_b32 v[5:6], v1 offset0:64 offset1:96
	ds_read2_b32 v[7:8], v1 offset0:128 offset1:160
	;; [unrolled: 1-line block ×3, first 2 shown]
	s_waitcnt lgkmcnt(3)
	v_add_f32_e32 v52, v52, v3
	v_add_f32_e32 v51, v51, v4
	s_waitcnt lgkmcnt(2)
	v_add_f32_e32 v50, v50, v5
	v_add_f32_e32 v48, v48, v6
	;; [unrolled: 3-line block ×4, first 2 shown]
.LBB125_51:
	s_or_b32 exec_lo, exec_lo, s0
	v_and_b32_e32 v3, 0x3e0, v0
	s_mov_b32 s0, exec_lo
	s_barrier
	buffer_gl0_inv
	v_cmpx_eq_u32_e32 32, v3
	s_cbranch_execz .LBB125_53
; %bb.52:
	ds_write2_b32 v2, v52, v51 offset1:32
	ds_write2_b32 v2, v50, v48 offset0:64 offset1:96
	ds_write2_b32 v2, v47, v46 offset0:128 offset1:160
	;; [unrolled: 1-line block ×3, first 2 shown]
.LBB125_53:
	s_or_b32 exec_lo, exec_lo, s0
	v_cmp_gt_u32_e32 vcc_lo, 32, v0
	s_waitcnt lgkmcnt(0)
	s_barrier
	buffer_gl0_inv
	s_and_saveexec_b32 s0, vcc_lo
	s_cbranch_execz .LBB125_55
; %bb.54:
	ds_read2_b32 v[2:3], v1 offset1:32
	ds_read2_b32 v[4:5], v1 offset0:64 offset1:96
	ds_read2_b32 v[6:7], v1 offset0:128 offset1:160
	;; [unrolled: 1-line block ×3, first 2 shown]
	s_waitcnt lgkmcnt(3)
	v_add_f32_e32 v52, v52, v2
	v_add_f32_e32 v51, v51, v3
	s_waitcnt lgkmcnt(2)
	v_add_f32_e32 v50, v50, v4
	v_add_f32_e32 v48, v48, v5
	;; [unrolled: 3-line block ×4, first 2 shown]
.LBB125_55:
	s_or_b32 exec_lo, exec_lo, s0
	s_barrier
	buffer_gl0_inv
	s_and_saveexec_b32 s0, vcc_lo
	s_cbranch_execz .LBB125_57
; %bb.56:
	s_mul_i32 s0, s10, s7
	s_mul_i32 s2, s7, s6
	s_mul_i32 s0, s0, s9
	v_bfe_u32 v1, v52, 16, 1
	s_lshl_b32 s0, s0, 8
	v_or_b32_e32 v2, 0x400000, v52
	s_ashr_i32 s1, s0, 31
	v_bfe_u32 v3, v51, 16, 1
	s_lshl_b64 s[0:1], s[0:1], 1
	v_add3_u32 v1, v1, v52, 0x7fff
	s_add_u32 s4, s16, s0
	s_addc_u32 s5, s17, s1
	s_ashr_i32 s3, s2, 31
	v_cmp_u_f32_e32 vcc_lo, v52, v52
	s_lshl_b64 s[0:1], s[2:3], 1
	v_lshlrev_b32_e32 v0, 1, v0
	s_add_u32 s2, s4, s0
	s_addc_u32 s3, s5, s1
	s_lshl_b32 s0, s8, 8
	v_cndmask_b32_e32 v1, v1, v2, vcc_lo
	s_ashr_i32 s1, s0, 31
	v_bfe_u32 v2, v50, 16, 1
	s_lshl_b64 s[0:1], s[0:1], 1
	v_add3_u32 v3, v3, v51, 0x7fff
	v_or_b32_e32 v4, 0x400000, v51
	v_cmp_u_f32_e32 vcc_lo, v51, v51
	s_add_u32 s0, s2, s0
	s_addc_u32 s1, s3, s1
	v_bfe_u32 v5, v45, 16, 1
	global_store_short_d16_hi v0, v1, s[0:1]
	v_add3_u32 v1, v2, v50, 0x7fff
	v_or_b32_e32 v2, 0x400000, v50
	v_cndmask_b32_e32 v3, v3, v4, vcc_lo
	v_bfe_u32 v4, v48, 16, 1
	v_cmp_u_f32_e32 vcc_lo, v50, v50
	v_or_b32_e32 v6, 0x400000, v46
	v_add3_u32 v5, v5, v45, 0x7fff
	global_store_short_d16_hi v0, v3, s[0:1] offset:64
	v_add3_u32 v3, v4, v48, 0x7fff
	v_cndmask_b32_e32 v1, v1, v2, vcc_lo
	v_bfe_u32 v2, v47, 16, 1
	v_or_b32_e32 v4, 0x400000, v48
	v_cmp_u_f32_e32 vcc_lo, v48, v48
	v_or_b32_e32 v7, 0x400000, v45
	global_store_short_d16_hi v0, v1, s[0:1] offset:128
	v_add3_u32 v1, v2, v47, 0x7fff
	v_or_b32_e32 v2, 0x400000, v47
	v_cndmask_b32_e32 v3, v3, v4, vcc_lo
	v_bfe_u32 v4, v46, 16, 1
	v_cmp_u_f32_e32 vcc_lo, v47, v47
	v_or_b32_e32 v8, 0x400000, v44
	v_add3_u32 v4, v4, v46, 0x7fff
	v_cndmask_b32_e32 v1, v1, v2, vcc_lo
	v_cmp_u_f32_e32 vcc_lo, v46, v46
	v_bfe_u32 v2, v44, 16, 1
	v_cndmask_b32_e32 v4, v4, v6, vcc_lo
	v_cmp_u_f32_e32 vcc_lo, v45, v45
	v_add3_u32 v2, v2, v44, 0x7fff
	v_cndmask_b32_e32 v5, v5, v7, vcc_lo
	v_cmp_u_f32_e32 vcc_lo, v44, v44
	v_cndmask_b32_e32 v2, v2, v8, vcc_lo
	global_store_short_d16_hi v0, v3, s[0:1] offset:192
	global_store_short_d16_hi v0, v1, s[0:1] offset:256
	;; [unrolled: 1-line block ×5, first 2 shown]
.LBB125_57:
	s_endpgm
	.section	.rodata,"a",@progbits
	.p2align	6, 0x0
	.amdhsa_kernel _ZN4vllm25paged_attention_v1_kernelI14__hip_bfloat16S1_Li256ELi8ELi128ELNS_18Fp8KVCacheDataTypeE0ELb0EEEvPT_PKS3_PKT0_S9_ifPKiSB_iPKfiiiSD_SD_iiiii
		.amdhsa_group_segment_fixed_size 544
		.amdhsa_private_segment_fixed_size 0
		.amdhsa_kernarg_size 384
		.amdhsa_user_sgpr_count 6
		.amdhsa_user_sgpr_private_segment_buffer 1
		.amdhsa_user_sgpr_dispatch_ptr 0
		.amdhsa_user_sgpr_queue_ptr 0
		.amdhsa_user_sgpr_kernarg_segment_ptr 1
		.amdhsa_user_sgpr_dispatch_id 0
		.amdhsa_user_sgpr_flat_scratch_init 0
		.amdhsa_user_sgpr_private_segment_size 0
		.amdhsa_wavefront_size32 1
		.amdhsa_uses_dynamic_stack 0
		.amdhsa_system_sgpr_private_segment_wavefront_offset 0
		.amdhsa_system_sgpr_workgroup_id_x 1
		.amdhsa_system_sgpr_workgroup_id_y 1
		.amdhsa_system_sgpr_workgroup_id_z 1
		.amdhsa_system_sgpr_workgroup_info 0
		.amdhsa_system_vgpr_workitem_id 0
		.amdhsa_next_free_vgpr 115
		.amdhsa_next_free_sgpr 27
		.amdhsa_reserve_vcc 1
		.amdhsa_reserve_flat_scratch 0
		.amdhsa_float_round_mode_32 0
		.amdhsa_float_round_mode_16_64 0
		.amdhsa_float_denorm_mode_32 3
		.amdhsa_float_denorm_mode_16_64 3
		.amdhsa_dx10_clamp 1
		.amdhsa_ieee_mode 1
		.amdhsa_fp16_overflow 0
		.amdhsa_workgroup_processor_mode 1
		.amdhsa_memory_ordered 1
		.amdhsa_forward_progress 1
		.amdhsa_shared_vgpr_count 0
		.amdhsa_exception_fp_ieee_invalid_op 0
		.amdhsa_exception_fp_denorm_src 0
		.amdhsa_exception_fp_ieee_div_zero 0
		.amdhsa_exception_fp_ieee_overflow 0
		.amdhsa_exception_fp_ieee_underflow 0
		.amdhsa_exception_fp_ieee_inexact 0
		.amdhsa_exception_int_div_zero 0
	.end_amdhsa_kernel
	.section	.text._ZN4vllm25paged_attention_v1_kernelI14__hip_bfloat16S1_Li256ELi8ELi128ELNS_18Fp8KVCacheDataTypeE0ELb0EEEvPT_PKS3_PKT0_S9_ifPKiSB_iPKfiiiSD_SD_iiiii,"axG",@progbits,_ZN4vllm25paged_attention_v1_kernelI14__hip_bfloat16S1_Li256ELi8ELi128ELNS_18Fp8KVCacheDataTypeE0ELb0EEEvPT_PKS3_PKT0_S9_ifPKiSB_iPKfiiiSD_SD_iiiii,comdat
.Lfunc_end125:
	.size	_ZN4vllm25paged_attention_v1_kernelI14__hip_bfloat16S1_Li256ELi8ELi128ELNS_18Fp8KVCacheDataTypeE0ELb0EEEvPT_PKS3_PKT0_S9_ifPKiSB_iPKfiiiSD_SD_iiiii, .Lfunc_end125-_ZN4vllm25paged_attention_v1_kernelI14__hip_bfloat16S1_Li256ELi8ELi128ELNS_18Fp8KVCacheDataTypeE0ELb0EEEvPT_PKS3_PKT0_S9_ifPKiSB_iPKfiiiSD_SD_iiiii
                                        ; -- End function
	.set _ZN4vllm25paged_attention_v1_kernelI14__hip_bfloat16S1_Li256ELi8ELi128ELNS_18Fp8KVCacheDataTypeE0ELb0EEEvPT_PKS3_PKT0_S9_ifPKiSB_iPKfiiiSD_SD_iiiii.num_vgpr, 115
	.set _ZN4vllm25paged_attention_v1_kernelI14__hip_bfloat16S1_Li256ELi8ELi128ELNS_18Fp8KVCacheDataTypeE0ELb0EEEvPT_PKS3_PKT0_S9_ifPKiSB_iPKfiiiSD_SD_iiiii.num_agpr, 0
	.set _ZN4vllm25paged_attention_v1_kernelI14__hip_bfloat16S1_Li256ELi8ELi128ELNS_18Fp8KVCacheDataTypeE0ELb0EEEvPT_PKS3_PKT0_S9_ifPKiSB_iPKfiiiSD_SD_iiiii.numbered_sgpr, 27
	.set _ZN4vllm25paged_attention_v1_kernelI14__hip_bfloat16S1_Li256ELi8ELi128ELNS_18Fp8KVCacheDataTypeE0ELb0EEEvPT_PKS3_PKT0_S9_ifPKiSB_iPKfiiiSD_SD_iiiii.num_named_barrier, 0
	.set _ZN4vllm25paged_attention_v1_kernelI14__hip_bfloat16S1_Li256ELi8ELi128ELNS_18Fp8KVCacheDataTypeE0ELb0EEEvPT_PKS3_PKT0_S9_ifPKiSB_iPKfiiiSD_SD_iiiii.private_seg_size, 0
	.set _ZN4vllm25paged_attention_v1_kernelI14__hip_bfloat16S1_Li256ELi8ELi128ELNS_18Fp8KVCacheDataTypeE0ELb0EEEvPT_PKS3_PKT0_S9_ifPKiSB_iPKfiiiSD_SD_iiiii.uses_vcc, 1
	.set _ZN4vllm25paged_attention_v1_kernelI14__hip_bfloat16S1_Li256ELi8ELi128ELNS_18Fp8KVCacheDataTypeE0ELb0EEEvPT_PKS3_PKT0_S9_ifPKiSB_iPKfiiiSD_SD_iiiii.uses_flat_scratch, 0
	.set _ZN4vllm25paged_attention_v1_kernelI14__hip_bfloat16S1_Li256ELi8ELi128ELNS_18Fp8KVCacheDataTypeE0ELb0EEEvPT_PKS3_PKT0_S9_ifPKiSB_iPKfiiiSD_SD_iiiii.has_dyn_sized_stack, 0
	.set _ZN4vllm25paged_attention_v1_kernelI14__hip_bfloat16S1_Li256ELi8ELi128ELNS_18Fp8KVCacheDataTypeE0ELb0EEEvPT_PKS3_PKT0_S9_ifPKiSB_iPKfiiiSD_SD_iiiii.has_recursion, 0
	.set _ZN4vllm25paged_attention_v1_kernelI14__hip_bfloat16S1_Li256ELi8ELi128ELNS_18Fp8KVCacheDataTypeE0ELb0EEEvPT_PKS3_PKT0_S9_ifPKiSB_iPKfiiiSD_SD_iiiii.has_indirect_call, 0
	.section	.AMDGPU.csdata,"",@progbits
; Kernel info:
; codeLenInByte = 10420
; TotalNumSgprs: 29
; NumVgprs: 115
; ScratchSize: 0
; MemoryBound: 0
; FloatMode: 240
; IeeeMode: 1
; LDSByteSize: 544 bytes/workgroup (compile time only)
; SGPRBlocks: 0
; VGPRBlocks: 14
; NumSGPRsForWavesPerEU: 29
; NumVGPRsForWavesPerEU: 115
; Occupancy: 8
; WaveLimiterHint : 1
; COMPUTE_PGM_RSRC2:SCRATCH_EN: 0
; COMPUTE_PGM_RSRC2:USER_SGPR: 6
; COMPUTE_PGM_RSRC2:TRAP_HANDLER: 0
; COMPUTE_PGM_RSRC2:TGID_X_EN: 1
; COMPUTE_PGM_RSRC2:TGID_Y_EN: 1
; COMPUTE_PGM_RSRC2:TGID_Z_EN: 1
; COMPUTE_PGM_RSRC2:TIDIG_COMP_CNT: 0
	.section	.text._ZN4vllm25paged_attention_v1_kernelI14__hip_bfloat16S1_Li32ELi16ELi128ELNS_18Fp8KVCacheDataTypeE0ELb1EEEvPT_PKS3_PKT0_S9_ifPKiSB_iPKfiiiSD_SD_iiiii,"axG",@progbits,_ZN4vllm25paged_attention_v1_kernelI14__hip_bfloat16S1_Li32ELi16ELi128ELNS_18Fp8KVCacheDataTypeE0ELb1EEEvPT_PKS3_PKT0_S9_ifPKiSB_iPKfiiiSD_SD_iiiii,comdat
	.protected	_ZN4vllm25paged_attention_v1_kernelI14__hip_bfloat16S1_Li32ELi16ELi128ELNS_18Fp8KVCacheDataTypeE0ELb1EEEvPT_PKS3_PKT0_S9_ifPKiSB_iPKfiiiSD_SD_iiiii ; -- Begin function _ZN4vllm25paged_attention_v1_kernelI14__hip_bfloat16S1_Li32ELi16ELi128ELNS_18Fp8KVCacheDataTypeE0ELb1EEEvPT_PKS3_PKT0_S9_ifPKiSB_iPKfiiiSD_SD_iiiii
	.globl	_ZN4vllm25paged_attention_v1_kernelI14__hip_bfloat16S1_Li32ELi16ELi128ELNS_18Fp8KVCacheDataTypeE0ELb1EEEvPT_PKS3_PKT0_S9_ifPKiSB_iPKfiiiSD_SD_iiiii
	.p2align	8
	.type	_ZN4vllm25paged_attention_v1_kernelI14__hip_bfloat16S1_Li32ELi16ELi128ELNS_18Fp8KVCacheDataTypeE0ELb1EEEvPT_PKS3_PKT0_S9_ifPKiSB_iPKfiiiSD_SD_iiiii,@function
_ZN4vllm25paged_attention_v1_kernelI14__hip_bfloat16S1_Li32ELi16ELi128ELNS_18Fp8KVCacheDataTypeE0ELb1EEEvPT_PKS3_PKT0_S9_ifPKiSB_iPKfiiiSD_SD_iiiii: ; @_ZN4vllm25paged_attention_v1_kernelI14__hip_bfloat16S1_Li32ELi16ELi128ELNS_18Fp8KVCacheDataTypeE0ELb1EEEvPT_PKS3_PKT0_S9_ifPKiSB_iPKfiiiSD_SD_iiiii
; %bb.0:
	s_clause 0x2
	s_load_dword s9, s[4:5], 0x80
	s_load_dwordx2 s[0:1], s[4:5], 0x30
	s_load_dwordx2 s[28:29], s[4:5], 0x20
	s_mov_b32 s10, s7
	s_ashr_i32 s11, s7, 31
	s_mov_b32 s33, 0
	s_lshl_b64 s[2:3], s[10:11], 2
	s_waitcnt lgkmcnt(0)
	s_add_u32 s0, s0, s2
	s_addc_u32 s1, s1, s3
	s_abs_i32 s2, s28
	s_abs_i32 s11, s9
	v_cvt_f32_u32_e32 v1, s2
	s_sub_i32 s7, 0, s2
	v_rcp_iflag_f32_e32 v1, v1
	v_mul_f32_e32 v1, 0x4f7ffffe, v1
	v_cvt_u32_f32_e32 v1, v1
	v_readfirstlane_b32 s3, v1
	s_mul_i32 s7, s7, s3
	s_mul_hi_u32 s7, s3, s7
	s_add_i32 s3, s3, s7
	s_xor_b32 s7, s9, s28
	s_mul_hi_u32 s3, s11, s3
	s_ashr_i32 s7, s7, 31
	s_mul_i32 s12, s3, s2
	s_sub_i32 s11, s11, s12
	s_add_i32 s12, s3, 1
	s_sub_i32 s13, s11, s2
	s_cmp_ge_u32 s11, s2
	s_cselect_b32 s3, s12, s3
	s_cselect_b32 s11, s13, s11
	s_add_i32 s12, s3, 1
	s_cmp_ge_u32 s11, s2
	s_cselect_b32 s2, s12, s3
	s_abs_i32 s22, s6
	s_xor_b32 s2, s2, s7
	s_sub_i32 s16, s2, s7
	s_load_dwordx2 s[2:3], s[4:5], 0x40
	s_abs_i32 s11, s16
	v_cvt_f32_u32_e32 v1, s11
	s_sub_i32 s12, 0, s11
	v_rcp_iflag_f32_e32 v1, v1
	v_mul_f32_e32 v1, 0x4f7ffffe, v1
	v_cvt_u32_f32_e32 v1, v1
	v_readfirstlane_b32 s7, v1
	s_mul_i32 s12, s12, s7
	s_mul_hi_u32 s12, s7, s12
	s_add_i32 s7, s7, s12
	s_waitcnt lgkmcnt(0)
	s_cmp_eq_u64 s[2:3], 0
	s_mul_hi_u32 s23, s22, s7
	s_cbranch_scc1 .LBB126_2
; %bb.1:
	s_ashr_i32 s7, s6, 31
	s_lshl_b64 s[12:13], s[6:7], 2
	s_add_u32 s2, s2, s12
	s_addc_u32 s3, s3, s13
	s_load_dword s33, s[2:3], 0x0
.LBB126_2:
	s_load_dword s30, s[0:1], 0x0
	s_load_dwordx4 s[12:15], s[4:5], 0x48
	v_lshrrev_b32_e32 v19, 1, v0
	v_and_b32_e32 v20, 1, v0
	v_lshlrev_b32_e32 v3, 3, v0
	s_ashr_i32 s0, s6, 31
	s_ashr_i32 s1, s16, 31
	s_lshl_b32 s20, s6, 5
	s_mov_b32 s2, exec_lo
	v_cmpx_gt_u32_e32 8, v0
	s_cbranch_execz .LBB126_4
; %bb.3:
	s_load_dwordx2 s[16:17], s[4:5], 0x8
	s_waitcnt lgkmcnt(0)
	s_mul_i32 s18, s12, s10
	v_lshlrev_b32_e32 v4, 3, v19
	s_ashr_i32 s19, s18, 31
	s_lshl_b64 s[18:19], s[18:19], 1
	v_lshl_add_u32 v4, v20, 5, v4
	s_add_u32 s3, s16, s18
	s_addc_u32 s7, s17, s19
	s_ashr_i32 s21, s20, 31
	s_lshl_b64 s[16:17], s[20:21], 1
	s_add_u32 s16, s3, s16
	s_addc_u32 s17, s7, s17
	global_load_dwordx2 v[1:2], v3, s[16:17]
	s_waitcnt vmcnt(0)
	ds_write_b64 v4, v[1:2]
.LBB126_4:
	s_or_b32 exec_lo, exec_lo, s2
	s_load_dwordx4 s[16:19], s[4:5], 0x68
	s_mul_i32 s2, s23, s11
	s_xor_b32 s1, s0, s1
	s_sub_i32 s0, s22, s2
	s_add_i32 s2, s23, 1
	s_sub_i32 s3, s0, s11
	s_cmp_ge_u32 s0, s11
	s_waitcnt lgkmcnt(0)
	s_cselect_b32 s2, s2, s23
	s_cselect_b32 s0, s3, s0
	s_add_i32 s3, s2, 1
	s_cmp_ge_u32 s0, s11
	s_load_dword s0, s[4:5], 0x78
	s_cselect_b32 s2, s3, s2
	s_add_i32 s7, s30, -1
	s_xor_b32 s2, s2, s1
	s_abs_i32 s3, s7
	s_sub_i32 s1, s2, s1
	s_mov_b32 s11, -1
	s_barrier
	s_abs_i32 s12, s19
	s_waitcnt lgkmcnt(0)
	buffer_gl0_inv
	v_cvt_f32_u32_e32 v1, s12
	s_sub_i32 s2, 0, s12
                                        ; implicit-def: $sgpr31
	v_rcp_iflag_f32_e32 v1, v1
	v_mul_f32_e32 v1, 0x4f7ffffe, v1
	v_cvt_u32_f32_e32 v1, v1
	v_readfirstlane_b32 s21, v1
	s_mul_i32 s2, s2, s21
	s_mul_hi_u32 s2, s21, s2
	s_add_i32 s21, s21, s2
	s_cmp_lt_i32 s0, 0
	s_mul_hi_u32 s2, s3, s21
	s_cbranch_scc0 .LBB126_6
; %bb.5:
	s_mul_i32 s11, s16, s28
	s_add_i32 s11, s1, s11
	s_mul_i32 s11, s11, s0
	s_sub_i32 s31, 1, s11
	s_mov_b32 s11, 0
.LBB126_6:
	s_load_dwordx2 s[22:23], s[4:5], 0x28
	s_ashr_i32 s7, s7, 31
	s_andn2_b32 vcc_lo, exec_lo, s11
	s_ashr_i32 s19, s19, 31
	s_cbranch_vccnz .LBB126_8
; %bb.7:
	s_mul_i32 s11, s9, s16
	s_add_i32 s6, s11, s6
	s_mul_i32 s0, s6, s0
	s_add_i32 s31, s0, 1
.LBB126_8:
	s_load_dword s0, s[4:5], 0x38
	s_mul_i32 s6, s2, s12
	s_xor_b32 s15, s7, s19
	s_sub_i32 s3, s3, s6
	s_add_i32 s16, s2, 1
	s_clause 0x2
	s_load_dwordx2 s[6:7], s[4:5], 0x0
	s_load_dwordx2 s[26:27], s[4:5], 0x18
	s_load_dword s11, s[4:5], 0x88
	v_lshrrev_b32_e32 v21, 5, v0
	v_mov_b32_e32 v6, 0xff7fffff
	v_lshrrev_b32_e32 v4, 3, v0
	v_mbcnt_lo_u32_b32 v5, -1, 0
	s_mul_i32 s14, s1, s14
	v_lshlrev_b32_e32 v22, 4, v21
	s_waitcnt lgkmcnt(0)
	s_mul_i32 s24, s0, s10
	s_sub_i32 s0, s3, s12
	s_ashr_i32 s25, s24, 31
	s_cmp_ge_u32 s3, s12
	s_cselect_b32 s2, s16, s2
	s_cselect_b32 s0, s0, s3
	s_add_i32 s3, s2, 1
	s_cmp_ge_u32 s0, s12
	s_cselect_b32 s0, s3, s2
	s_add_i32 s2, s30, 15
	s_ashr_i32 s3, s2, 31
	s_lshr_b32 s3, s3, 28
	s_add_i32 s2, s2, s3
	s_ashr_i32 s16, s2, 4
	s_xor_b32 s2, s0, s15
	v_cmp_gt_i32_e64 s0, s16, v21
	s_sub_i32 s28, s2, s15
	s_and_saveexec_b32 s34, s0
	s_cbranch_execz .LBB126_20
; %bb.9:
	s_load_dwordx2 s[2:3], s[4:5], 0x10
	s_ashr_i32 s15, s14, 31
	s_sub_i32 s4, s28, s17
	s_lshl_b64 s[36:37], s[14:15], 1
	v_bfe_u32 v7, v0, 1, 4
	v_and_b32_e32 v2, 0x7c, v4
	v_and_b32_e32 v14, 8, v3
	v_lshlrev_b32_e32 v8, 5, v20
	v_cmp_neq_f32_e64 s1, s33, 0
	v_lshlrev_b32_e32 v12, 2, v7
	v_subrev_nc_u32_e32 v13, s30, v7
	v_lshlrev_b32_e32 v9, 4, v21
	v_mov_b32_e32 v10, 0xff7fffff
	v_xor_b32_e32 v11, 1, v5
	v_lshl_or_b32 v15, v21, 6, v12
	v_add_nc_u32_e32 v12, 1, v13
	v_mov_b32_e32 v6, 0xff7fffff
	v_cmp_eq_u32_e32 vcc_lo, 0, v20
	v_add_nc_u32_e32 v13, 0x60, v15
	s_waitcnt lgkmcnt(0)
	s_add_u32 s15, s2, s36
	s_addc_u32 s35, s3, s37
	s_abs_i32 s5, s18
	v_cvt_f32_u32_e32 v1, s5
	s_sub_i32 s2, 0, s5
	v_rcp_iflag_f32_e32 v1, v1
	v_mul_f32_e32 v1, 0x4f7ffffe, v1
	v_cvt_u32_f32_e32 v16, v1
	v_lshlrev_b32_e32 v1, 4, v7
	v_mul_lo_u32 v15, s2, v16
	s_lshl_b64 s[2:3], s[24:25], 2
	v_add_co_u32 v17, s15, s15, v1
	s_add_u32 s2, s22, s2
	v_add_co_ci_u32_e64 v18, null, s35, 0, s15
	s_addc_u32 s3, s23, s3
	v_mul_hi_u32 v23, v16, v15
	v_add_co_u32 v1, s2, s2, v2
	v_add_co_ci_u32_e64 v2, null, s3, 0, s2
	v_add_co_u32 v14, s2, v17, v14
	v_add_co_ci_u32_e64 v15, null, 0, v18, s2
	v_add_nc_u32_e32 v16, v16, v23
	v_mov_b32_e32 v17, v21
	s_mov_b32 s15, 0
	s_mov_b32 s35, s13
	s_branch .LBB126_12
.LBB126_10:                             ;   in Loop: Header=BB126_12 Depth=1
	s_or_b32 exec_lo, exec_lo, s36
.LBB126_11:                             ;   in Loop: Header=BB126_12 Depth=1
	s_or_b32 exec_lo, exec_lo, s3
	v_add_nc_u32_e32 v17, 4, v17
	v_add_co_u32 v1, s3, v1, 16
	v_add_co_ci_u32_e64 v2, null, 0, v2, s3
	v_cmp_le_i32_e64 s2, s16, v17
	v_add_nc_u32_e32 v9, 64, v9
	v_add_nc_u32_e32 v13, 0x100, v13
	s_or_b32 s15, s2, s15
	s_andn2_b32 exec_lo, exec_lo, s15
	s_cbranch_execz .LBB126_19
.LBB126_12:                             ; =>This Inner Loop Header: Depth=1
	v_mul_hi_u32 v18, v9, s21
	s_waitcnt lgkmcnt(0)
	v_mul_lo_u32 v23, v18, s12
	v_add_nc_u32_e32 v24, 1, v18
	v_sub_nc_u32_e32 v23, v9, v23
	v_subrev_nc_u32_e32 v25, s12, v23
	v_cmp_le_u32_e64 s2, s12, v23
	v_cndmask_b32_e64 v18, v18, v24, s2
	v_cndmask_b32_e64 v23, v23, v25, s2
	v_add_nc_u32_e32 v24, 1, v18
	v_cmp_le_u32_e64 s2, s12, v23
	v_cndmask_b32_e64 v18, v18, v24, s2
	v_xor_b32_e32 v18, s19, v18
	v_subrev_nc_u32_e32 v18, s19, v18
	v_add_nc_u32_e32 v23, s31, v18
	v_cmp_ge_i32_e64 s3, s4, v18
	v_sub_nc_u32_e32 v24, 0, v23
	v_max_i32_e32 v24, v23, v24
	v_ashrrev_i32_e32 v23, 31, v23
	v_mul_hi_u32 v25, v24, v16
	v_mul_lo_u32 v25, v25, s5
	v_sub_nc_u32_e32 v24, v24, v25
	v_subrev_nc_u32_e32 v25, s5, v24
	v_cmp_le_u32_e64 s2, s5, v24
	v_cndmask_b32_e64 v24, v24, v25, s2
	v_subrev_nc_u32_e32 v25, s5, v24
	v_cmp_le_u32_e64 s2, s5, v24
	v_cndmask_b32_e64 v24, v24, v25, s2
	v_xor_b32_e32 v24, v24, v23
	v_sub_nc_u32_e32 v23, v24, v23
	v_cmp_ne_u32_e64 s2, 0, v23
	s_and_b32 s2, s2, s3
	s_and_saveexec_b32 s3, s2
	s_xor_b32 s2, exec_lo, s3
	s_cbranch_execz .LBB126_16
; %bb.13:                               ;   in Loop: Header=BB126_12 Depth=1
	s_and_saveexec_b32 s3, vcc_lo
; %bb.14:                               ;   in Loop: Header=BB126_12 Depth=1
	ds_write_b32 v13, v10
; %bb.15:                               ;   in Loop: Header=BB126_12 Depth=1
	s_or_b32 exec_lo, exec_lo, s3
.LBB126_16:                             ;   in Loop: Header=BB126_12 Depth=1
	s_andn2_saveexec_b32 s3, s2
	s_cbranch_execz .LBB126_11
; %bb.17:                               ;   in Loop: Header=BB126_12 Depth=1
	global_load_dword v18, v[1:2], off
	s_waitcnt vmcnt(0)
	v_mad_i64_i32 v[23:24], null, v18, s35, 0
	v_lshlrev_b64 v[23:24], 1, v[23:24]
	v_add_co_u32 v23, s2, v14, v23
	v_add_co_ci_u32_e64 v24, null, v15, v24, s2
	v_cmp_gt_i32_e64 s2, 32, v11
	s_clause 0x3
	global_load_dwordx2 v[31:32], v[23:24], off
	global_load_dwordx2 v[33:34], v[23:24], off offset:256
	global_load_dwordx2 v[35:36], v[23:24], off offset:512
	;; [unrolled: 1-line block ×3, first 2 shown]
	ds_read_b128 v[23:26], v8
	ds_read_b128 v[27:30], v8 offset:16
	s_waitcnt lgkmcnt(1)
	v_lshlrev_b32_e32 v40, 16, v25
	v_and_b32_e32 v25, 0xffff0000, v25
	v_lshlrev_b32_e32 v18, 16, v23
	v_lshlrev_b32_e32 v41, 16, v26
	v_and_b32_e32 v23, 0xffff0000, v23
	v_lshlrev_b32_e32 v39, 16, v24
	s_waitcnt lgkmcnt(0)
	v_lshlrev_b32_e32 v42, 16, v27
	v_and_b32_e32 v26, 0xffff0000, v26
	v_and_b32_e32 v27, 0xffff0000, v27
	v_lshlrev_b32_e32 v43, 16, v28
	v_lshlrev_b32_e32 v44, 16, v29
	v_and_b32_e32 v24, 0xffff0000, v24
	v_and_b32_e32 v29, 0xffff0000, v29
	v_lshlrev_b32_e32 v45, 16, v30
	v_and_b32_e32 v28, 0xffff0000, v28
	s_waitcnt vmcnt(3)
	v_lshlrev_b32_e32 v46, 16, v31
	s_waitcnt vmcnt(2)
	v_lshlrev_b32_e32 v48, 16, v33
	v_and_b32_e32 v33, 0xffff0000, v33
	v_and_b32_e32 v31, 0xffff0000, v31
	v_lshlrev_b32_e32 v49, 16, v34
	v_lshlrev_b32_e32 v47, 16, v32
	v_mul_f32_e32 v40, v40, v48
	v_mul_f32_e32 v25, v25, v33
	v_and_b32_e32 v34, 0xffff0000, v34
	s_waitcnt vmcnt(1)
	v_lshlrev_b32_e32 v50, 16, v35
	v_and_b32_e32 v35, 0xffff0000, v35
	v_mul_f32_e32 v41, v41, v49
	v_fmac_f32_e32 v40, v18, v46
	v_fmac_f32_e32 v25, v23, v31
	v_and_b32_e32 v32, 0xffff0000, v32
	v_lshlrev_b32_e32 v51, 16, v36
	v_and_b32_e32 v33, 0xffff0000, v36
	s_waitcnt vmcnt(0)
	v_lshlrev_b32_e32 v36, 16, v37
	v_and_b32_e32 v18, 0xffff0000, v37
	v_mul_f32_e32 v23, v26, v34
	v_fmac_f32_e32 v41, v39, v47
	v_fmac_f32_e32 v40, v42, v50
	;; [unrolled: 1-line block ×3, first 2 shown]
	v_lshlrev_b32_e32 v26, 16, v38
	v_fmac_f32_e32 v23, v24, v32
	v_fmac_f32_e32 v41, v43, v51
	;; [unrolled: 1-line block ×4, first 2 shown]
	v_and_b32_e32 v18, 0xffff0000, v30
	v_fmac_f32_e32 v23, v28, v33
	v_and_b32_e32 v24, 0xffff0000, v38
	v_fmac_f32_e32 v41, v45, v26
	v_add_f32_e32 v25, v40, v25
	v_cndmask_b32_e64 v26, v5, v11, s2
	v_fmac_f32_e32 v23, v18, v24
	v_add_f32_e32 v18, v25, v41
	v_lshlrev_b32_e32 v24, 2, v26
	v_add_f32_e32 v18, v23, v18
	ds_bpermute_b32 v23, v24, v18
	s_and_saveexec_b32 s36, vcc_lo
	s_cbranch_execz .LBB126_10
; %bb.18:                               ;   in Loop: Header=BB126_12 Depth=1
	v_add_nc_u32_e32 v24, v12, v9
	s_waitcnt lgkmcnt(0)
	v_add_f32_e32 v18, v18, v23
	v_cvt_f32_i32_e32 v24, v24
	v_mul_f32_e32 v24, s33, v24
	v_cndmask_b32_e64 v23, 0, v24, s1
	v_max_f32_e32 v24, v6, v6
	v_fmac_f32_e32 v23, s29, v18
	v_add_nc_u32_e32 v18, v7, v9
	v_max_f32_e32 v24, v24, v23
	v_cmp_gt_i32_e64 s2, s30, v18
	v_cndmask_b32_e64 v18, 0, v23, s2
	v_cndmask_b32_e64 v6, v6, v24, s2
	ds_write_b32 v13, v18
	s_branch .LBB126_10
.LBB126_19:
	s_or_b32 exec_lo, exec_lo, s15
.LBB126_20:
	s_or_b32 exec_lo, exec_lo, s34
	v_xor_b32_e32 v1, 16, v5
	v_xor_b32_e32 v7, 8, v5
	v_max_f32_e32 v8, v6, v6
	s_waitcnt lgkmcnt(0)
	v_and_b32_e32 v23, 31, v0
	v_cmp_gt_i32_e32 vcc_lo, 32, v1
	v_cndmask_b32_e32 v1, v5, v1, vcc_lo
	v_cmp_gt_i32_e32 vcc_lo, 32, v7
	v_lshlrev_b32_e32 v2, 2, v1
	ds_bpermute_b32 v1, v2, v6
	v_cndmask_b32_e32 v6, v5, v7, vcc_lo
	v_lshlrev_b32_e32 v6, 2, v6
	s_waitcnt lgkmcnt(0)
	v_max_f32_e32 v1, v1, v1
	v_max_f32_e32 v1, v8, v1
	v_xor_b32_e32 v8, 4, v5
	ds_bpermute_b32 v7, v6, v1
	v_cmp_gt_i32_e32 vcc_lo, 32, v8
	v_cndmask_b32_e32 v8, v5, v8, vcc_lo
	s_waitcnt lgkmcnt(0)
	v_max_f32_e32 v9, v7, v7
	v_lshlrev_b32_e32 v7, 2, v8
	v_max_f32_e32 v1, v1, v9
	v_xor_b32_e32 v9, 2, v5
	ds_bpermute_b32 v8, v7, v1
	v_cmp_gt_i32_e32 vcc_lo, 32, v9
	v_cndmask_b32_e32 v10, v5, v9, vcc_lo
	v_cmp_eq_u32_e32 vcc_lo, 0, v23
	s_waitcnt lgkmcnt(0)
	v_max_f32_e32 v8, v8, v8
	v_max_f32_e32 v9, v1, v8
	v_lshlrev_b32_e32 v1, 2, v10
	v_lshlrev_b32_e32 v8, 2, v21
	ds_bpermute_b32 v10, v1, v9
	s_and_saveexec_b32 s1, vcc_lo
	s_cbranch_execz .LBB126_22
; %bb.21:
	s_waitcnt lgkmcnt(0)
	v_max_f32_e32 v10, v10, v10
	v_max_f32_e32 v9, v9, v9
	;; [unrolled: 1-line block ×3, first 2 shown]
	ds_write_b32 v8, v9 offset:64
.LBB126_22:
	s_or_b32 exec_lo, exec_lo, s1
	v_cmp_gt_u32_e64 s1, 4, v23
	s_waitcnt lgkmcnt(0)
	v_mov_b32_e32 v10, 0xff7fffff
	v_lshlrev_b32_e32 v9, 2, v23
	s_barrier
	buffer_gl0_inv
	s_and_saveexec_b32 s2, s1
; %bb.23:
	ds_read_b32 v10, v9 offset:64
; %bb.24:
	s_or_b32 exec_lo, exec_lo, s2
	s_waitcnt lgkmcnt(0)
	ds_bpermute_b32 v11, v1, v10
	v_xor_b32_e32 v12, 1, v5
	v_max_f32_e32 v10, v10, v10
	v_cmp_gt_i32_e64 s2, 32, v12
	v_cndmask_b32_e64 v5, v5, v12, s2
	s_lshl_b32 s2, s16, 4
	s_min_i32 s4, s2, s30
	v_lshlrev_b32_e32 v24, 2, v5
	v_cmp_gt_i32_e64 s2, s4, v0
	s_waitcnt lgkmcnt(0)
	v_max_f32_e32 v11, v11, v11
	v_max_f32_e32 v5, v10, v11
	ds_bpermute_b32 v10, v24, v5
	s_waitcnt lgkmcnt(0)
	v_max_f32_e32 v10, v10, v10
	v_max_f32_e32 v5, v5, v10
	v_mov_b32_e32 v10, 0
	ds_bpermute_b32 v11, v10, v5
	v_lshl_add_u32 v5, v0, 2, 0x60
	s_and_saveexec_b32 s5, s2
	s_cbranch_execz .LBB126_28
; %bb.25:
	v_lshl_add_u32 v12, v0, 2, 0x60
	v_mov_b32_e32 v10, 0
	v_mov_b32_e32 v13, v0
	s_mov_b32 s15, 0
	.p2align	6
.LBB126_26:                             ; =>This Inner Loop Header: Depth=1
	ds_read_b32 v14, v12
	v_add_nc_u32_e32 v13, 0x80, v13
	v_cmp_le_i32_e64 s3, s4, v13
	s_or_b32 s15, s3, s15
	s_waitcnt lgkmcnt(0)
	v_sub_f32_e32 v14, v14, v11
	v_mul_f32_e32 v14, 0x3fb8aa3b, v14
	v_exp_f32_e32 v14, v14
	ds_write_b32 v12, v14
	v_add_f32_e32 v10, v10, v14
	v_add_nc_u32_e32 v12, 0x200, v12
	s_andn2_b32 exec_lo, exec_lo, s15
	s_cbranch_execnz .LBB126_26
; %bb.27:
	s_or_b32 exec_lo, exec_lo, s15
.LBB126_28:
	s_or_b32 exec_lo, exec_lo, s5
	ds_bpermute_b32 v2, v2, v10
	s_waitcnt lgkmcnt(0)
	v_add_f32_e32 v2, v10, v2
	ds_bpermute_b32 v6, v6, v2
	s_waitcnt lgkmcnt(0)
	v_add_f32_e32 v2, v2, v6
	;; [unrolled: 3-line block ×5, first 2 shown]
	s_and_saveexec_b32 s3, vcc_lo
; %bb.29:
	ds_write_b32 v8, v2 offset:80
; %bb.30:
	s_or_b32 exec_lo, exec_lo, s3
	s_waitcnt lgkmcnt(0)
	s_barrier
	buffer_gl0_inv
	s_and_saveexec_b32 s3, s1
; %bb.31:
	ds_read_b32 v2, v9 offset:80
; %bb.32:
	s_or_b32 exec_lo, exec_lo, s3
	s_waitcnt lgkmcnt(0)
	ds_bpermute_b32 v1, v1, v2
	s_waitcnt lgkmcnt(0)
	v_add_f32_e32 v1, v2, v1
	ds_bpermute_b32 v2, v24, v1
	s_waitcnt lgkmcnt(0)
	v_add_f32_e32 v1, v1, v2
	v_mov_b32_e32 v2, 0
	ds_bpermute_b32 v1, v2, v1
	s_and_saveexec_b32 s1, s2
	s_cbranch_execz .LBB126_35
; %bb.33:
	s_waitcnt lgkmcnt(0)
	v_add_f32_e32 v1, 0x358637bd, v1
	s_mov_b32 s2, 0
	v_div_scale_f32 v2, null, v1, v1, 1.0
	v_div_scale_f32 v8, vcc_lo, 1.0, v1, 1.0
	v_rcp_f32_e32 v6, v2
	v_fma_f32 v7, -v2, v6, 1.0
	v_fmac_f32_e32 v6, v7, v6
	v_mul_f32_e32 v7, v8, v6
	v_fma_f32 v9, -v2, v7, v8
	v_fmac_f32_e32 v7, v9, v6
	v_fma_f32 v2, -v2, v7, v8
	v_div_fmas_f32 v2, v2, v6, v7
	v_div_fixup_f32 v1, v2, v1, 1.0
	v_mov_b32_e32 v2, v0
.LBB126_34:                             ; =>This Inner Loop Header: Depth=1
	ds_read_b32 v6, v5
	v_add_nc_u32_e32 v2, 0x80, v2
	v_cmp_le_i32_e32 vcc_lo, s4, v2
	s_or_b32 s2, vcc_lo, s2
	s_waitcnt lgkmcnt(0)
	v_mul_f32_e32 v6, v1, v6
	ds_write_b32 v5, v6
	v_add_nc_u32_e32 v5, 0x200, v5
	s_andn2_b32 exec_lo, exec_lo, s2
	s_cbranch_execnz .LBB126_34
.LBB126_35:
	s_or_b32 exec_lo, exec_lo, s1
	v_mov_b32_e32 v28, 0
	v_mov_b32_e32 v25, 0
	s_waitcnt lgkmcnt(0)
	s_barrier
	buffer_gl0_inv
	s_and_saveexec_b32 s3, s0
	s_cbranch_execz .LBB126_45
; %bb.36:
	s_ashr_i32 s15, s14, 31
	s_sub_i32 s4, s28, s17
	s_lshl_b64 s[0:1], s[14:15], 1
	v_lshlrev_b32_e32 v2, 4, v0
	s_add_u32 s2, s26, s0
	s_addc_u32 s15, s27, s1
	s_abs_i32 s5, s18
	v_and_b32_e32 v26, 8, v3
	v_cvt_f32_u32_e32 v1, s5
	s_sub_i32 s0, 0, s5
	v_and_b32_e32 v3, 0x7c, v4
	v_lshlrev_b32_e32 v4, 5, v20
	v_and_b32_e32 v2, 0x1f0, v2
	v_rcp_iflag_f32_e32 v1, v1
	s_add_i32 s14, s16, -1
	v_mov_b32_e32 v27, 0
	v_lshl_or_b32 v4, v21, 6, v4
	v_add_co_u32 v30, s2, s2, v2
	v_mov_b32_e32 v29, v21
	v_mov_b32_e32 v25, 0
	v_add_co_ci_u32_e64 v31, null, s15, 0, s2
	v_mul_f32_e32 v1, 0x4f7ffffe, v1
	v_add_nc_u32_e32 v32, 0x60, v4
	v_mov_b32_e32 v28, 0
	s_mov_b32 s17, s30
	s_mov_b32 s15, 0
	v_cvt_u32_f32_e32 v1, v1
	v_mul_lo_u32 v5, s0, v1
	s_lshl_b64 s[0:1], s[24:25], 2
	s_add_u32 s0, s22, s0
	s_addc_u32 s1, s23, s1
	v_add_co_u32 v17, s0, s0, v3
	v_add_co_ci_u32_e64 v18, null, s1, 0, s0
	v_mul_hi_u32 v5, v1, v5
	v_add_nc_u32_e32 v33, v1, v5
	s_branch .LBB126_39
.LBB126_37:                             ;   in Loop: Header=BB126_39 Depth=1
	s_or_b32 exec_lo, exec_lo, s2
	s_waitcnt lgkmcnt(1)
	v_bfe_u32 v34, v13, 16, 1
	v_or_b32_e32 v35, 0x400000, v13
	v_bfe_u32 v36, v14, 16, 1
	v_cmp_u_f32_e32 vcc_lo, v13, v13
	v_bfe_u32 v37, v15, 16, 1
	v_add3_u32 v34, v34, v13, 0x7fff
	v_or_b32_e32 v38, 0x400000, v14
	v_add3_u32 v36, v36, v14, 0x7fff
	v_or_b32_e32 v39, 0x400000, v15
	v_add3_u32 v37, v37, v15, 0x7fff
	v_cndmask_b32_e32 v13, v34, v35, vcc_lo
	v_cmp_u_f32_e32 vcc_lo, v14, v14
	v_bfe_u32 v34, v16, 16, 1
	s_waitcnt lgkmcnt(0)
	v_bfe_u32 v35, v9, 16, 1
	v_and_b32_e32 v13, 0xffff0000, v13
	v_cndmask_b32_e32 v14, v36, v38, vcc_lo
	v_cmp_u_f32_e32 vcc_lo, v15, v15
	v_add3_u32 v34, v34, v16, 0x7fff
	v_or_b32_e32 v36, 0x400000, v16
	v_add3_u32 v35, v35, v9, 0x7fff
	v_bfe_u32 v38, v10, 16, 1
	v_cndmask_b32_e32 v15, v37, v39, vcc_lo
	v_cmp_u_f32_e32 vcc_lo, v16, v16
	v_or_b32_e32 v37, 0x400000, v9
	v_and_b32_e32 v14, 0xffff0000, v14
	v_and_b32_e32 v15, 0xffff0000, v15
	v_cndmask_b32_e32 v16, v34, v36, vcc_lo
	v_cmp_u_f32_e32 vcc_lo, v9, v9
	v_add3_u32 v34, v38, v10, 0x7fff
	v_bfe_u32 v36, v11, 16, 1
	s_waitcnt vmcnt(1)
	v_lshlrev_b32_e32 v38, 16, v6
	v_and_b32_e32 v16, 0xffff0000, v16
	v_cndmask_b32_e32 v9, v35, v37, vcc_lo
	v_or_b32_e32 v35, 0x400000, v10
	v_lshlrev_b32_e32 v37, 16, v5
	v_cmp_u_f32_e32 vcc_lo, v10, v10
	v_and_b32_e32 v5, 0xffff0000, v5
	v_mul_f32_e32 v38, v15, v38
	v_and_b32_e32 v6, 0xffff0000, v6
	v_mul_f32_e32 v37, v13, v37
	v_cndmask_b32_e32 v10, v34, v35, vcc_lo
	v_add3_u32 v34, v36, v11, 0x7fff
	v_or_b32_e32 v35, 0x400000, v11
	v_bfe_u32 v36, v12, 16, 1
	v_cmp_u_f32_e32 vcc_lo, v11, v11
	v_mul_f32_e32 v5, v14, v5
	v_mul_f32_e32 v6, v16, v6
	v_and_b32_e32 v9, 0xffff0000, v9
	v_or_b32_e32 v40, 0x400000, v38
	v_cndmask_b32_e32 v11, v34, v35, vcc_lo
	v_add3_u32 v34, v36, v12, 0x7fff
	v_or_b32_e32 v35, 0x400000, v12
	v_bfe_u32 v36, v37, 16, 1
	v_cmp_u_f32_e32 vcc_lo, v12, v12
	v_or_b32_e32 v39, 0x400000, v5
	v_bfe_u32 v41, v6, 16, 1
	v_and_b32_e32 v10, 0xffff0000, v10
	v_and_b32_e32 v11, 0xffff0000, v11
	v_cndmask_b32_e32 v12, v34, v35, vcc_lo
	v_add3_u32 v34, v36, v37, 0x7fff
	v_or_b32_e32 v35, 0x400000, v37
	v_bfe_u32 v36, v5, 16, 1
	v_cmp_u_f32_e32 vcc_lo, v37, v37
	v_lshlrev_b32_e32 v37, 16, v7
	v_and_b32_e32 v7, 0xffff0000, v7
	v_and_b32_e32 v12, 0xffff0000, v12
	v_cndmask_b32_e32 v34, v34, v35, vcc_lo
	v_add3_u32 v35, v36, v5, 0x7fff
	v_bfe_u32 v36, v38, 16, 1
	v_cmp_u_f32_e32 vcc_lo, v5, v5
	v_mul_f32_e32 v37, v9, v37
	v_mul_f32_e32 v7, v10, v7
	v_and_b32_e32 v34, 0xffff0000, v34
	v_add3_u32 v36, v36, v38, 0x7fff
	v_cndmask_b32_e32 v5, v35, v39, vcc_lo
	v_cmp_u_f32_e32 vcc_lo, v38, v38
	v_bfe_u32 v38, v37, 16, 1
	v_lshlrev_b32_e32 v39, 16, v8
	v_and_b32_e32 v8, 0xffff0000, v8
	v_and_b32_e32 v5, 0xffff0000, v5
	v_cndmask_b32_e32 v35, v36, v40, vcc_lo
	v_add3_u32 v36, v41, v6, 0x7fff
	v_or_b32_e32 v40, 0x400000, v6
	v_cmp_u_f32_e32 vcc_lo, v6, v6
	v_add3_u32 v38, v38, v37, 0x7fff
	v_or_b32_e32 v41, 0x400000, v37
	v_mul_f32_e32 v39, v11, v39
	v_mul_f32_e32 v8, v12, v8
	v_cndmask_b32_e32 v6, v36, v40, vcc_lo
	v_bfe_u32 v36, v7, 16, 1
	v_cmp_u_f32_e32 vcc_lo, v37, v37
	v_or_b32_e32 v40, 0x400000, v7
	v_and_b32_e32 v35, 0xffff0000, v35
	v_and_b32_e32 v6, 0xffff0000, v6
	v_add3_u32 v36, v36, v7, 0x7fff
	v_cndmask_b32_e32 v37, v38, v41, vcc_lo
	v_bfe_u32 v38, v39, 16, 1
	v_cmp_u_f32_e32 vcc_lo, v7, v7
	v_or_b32_e32 v41, 0x400000, v39
	v_add_f32_e32 v5, v34, v5
	v_add_f32_e32 v6, v35, v6
	v_add3_u32 v38, v38, v39, 0x7fff
	v_cndmask_b32_e32 v7, v36, v40, vcc_lo
	v_cmp_u_f32_e32 vcc_lo, v39, v39
	s_waitcnt vmcnt(0)
	v_lshlrev_b32_e32 v40, 16, v1
	v_and_b32_e32 v1, 0xffff0000, v1
	v_or_b32_e32 v39, 0x400000, v8
	v_and_b32_e32 v7, 0xffff0000, v7
	v_cndmask_b32_e32 v36, v38, v41, vcc_lo
	v_bfe_u32 v38, v8, 16, 1
	v_mul_f32_e32 v13, v13, v40
	v_and_b32_e32 v34, 0xffff0000, v37
	v_cmp_u_f32_e32 vcc_lo, v8, v8
	v_add_f32_e32 v5, v6, v5
	v_add3_u32 v38, v38, v8, 0x7fff
	v_bfe_u32 v6, v13, 16, 1
	v_mul_f32_e32 v1, v14, v1
	v_lshlrev_b32_e32 v14, 16, v2
	v_add_f32_e32 v7, v34, v7
	v_cndmask_b32_e32 v8, v38, v39, vcc_lo
	v_add3_u32 v6, v6, v13, 0x7fff
	v_or_b32_e32 v34, 0x400000, v13
	v_bfe_u32 v35, v1, 16, 1
	v_mul_f32_e32 v14, v15, v14
	v_and_b32_e32 v2, 0xffff0000, v2
	v_cmp_u_f32_e32 vcc_lo, v13, v13
	v_or_b32_e32 v15, 0x400000, v1
	v_add3_u32 v13, v35, v1, 0x7fff
	v_and_b32_e32 v8, 0xffff0000, v8
	v_mul_f32_e32 v2, v16, v2
	v_cndmask_b32_e32 v6, v6, v34, vcc_lo
	v_bfe_u32 v34, v14, 16, 1
	v_lshlrev_b32_e32 v16, 16, v3
	v_cmp_u_f32_e32 vcc_lo, v1, v1
	v_and_b32_e32 v3, 0xffff0000, v3
	v_and_b32_e32 v6, 0xffff0000, v6
	v_add_f32_e32 v5, v7, v5
	v_mul_f32_e32 v9, v9, v16
	v_cndmask_b32_e32 v1, v13, v15, vcc_lo
	v_add3_u32 v13, v34, v14, 0x7fff
	v_or_b32_e32 v15, 0x400000, v14
	v_bfe_u32 v34, v2, 16, 1
	v_cmp_u_f32_e32 vcc_lo, v14, v14
	v_bfe_u32 v16, v9, 16, 1
	v_mul_f32_e32 v3, v10, v3
	v_lshlrev_b32_e32 v10, 16, v4
	v_add3_u32 v14, v34, v2, 0x7fff
	v_cndmask_b32_e32 v13, v13, v15, vcc_lo
	v_or_b32_e32 v15, 0x400000, v2
	v_and_b32_e32 v4, 0xffff0000, v4
	v_cmp_u_f32_e32 vcc_lo, v2, v2
	v_mul_f32_e32 v10, v11, v10
	v_or_b32_e32 v11, 0x400000, v9
	v_and_b32_e32 v1, 0xffff0000, v1
	v_mul_f32_e32 v4, v12, v4
	v_cndmask_b32_e32 v2, v14, v15, vcc_lo
	v_bfe_u32 v14, v3, 16, 1
	v_add3_u32 v15, v16, v9, 0x7fff
	v_cmp_u_f32_e32 vcc_lo, v9, v9
	v_bfe_u32 v34, v4, 16, 1
	v_bfe_u32 v16, v10, 16, 1
	v_add3_u32 v12, v14, v3, 0x7fff
	v_or_b32_e32 v14, 0x400000, v3
	v_cndmask_b32_e32 v9, v15, v11, vcc_lo
	v_cmp_u_f32_e32 vcc_lo, v3, v3
	v_add3_u32 v11, v16, v10, 0x7fff
	v_and_b32_e32 v2, 0xffff0000, v2
	v_and_b32_e32 v13, 0xffff0000, v13
	v_or_b32_e32 v15, 0x400000, v10
	v_cndmask_b32_e32 v3, v12, v14, vcc_lo
	v_add3_u32 v12, v34, v4, 0x7fff
	v_or_b32_e32 v14, 0x400000, v4
	v_cmp_u_f32_e32 vcc_lo, v4, v4
	v_add_f32_e32 v1, v6, v1
	v_add_f32_e32 v2, v13, v2
	v_and_b32_e32 v3, 0xffff0000, v3
	v_and_b32_e32 v6, 0xffff0000, v9
	v_cndmask_b32_e32 v4, v12, v14, vcc_lo
	v_cmp_u_f32_e32 vcc_lo, v10, v10
	v_and_b32_e32 v10, 0xffff0000, v36
	v_add_f32_e32 v1, v2, v1
	v_add_f32_e32 v2, v6, v3
	v_and_b32_e32 v3, 0xffff0000, v4
	v_cndmask_b32_e32 v9, v11, v15, vcc_lo
	v_add_f32_e32 v6, v10, v8
	v_add_f32_e32 v1, v2, v1
	v_and_b32_e32 v4, 0xffff0000, v9
	v_add_f32_e32 v2, v4, v3
	v_add_f32_e32 v3, v6, v5
	;; [unrolled: 1-line block ×5, first 2 shown]
.LBB126_38:                             ;   in Loop: Header=BB126_39 Depth=1
	s_or_b32 exec_lo, exec_lo, s18
	v_add_nc_u32_e32 v29, 4, v29
	v_add_co_u32 v17, s0, v17, 16
	v_add_co_ci_u32_e64 v18, null, 0, v18, s0
	v_cmp_le_i32_e32 vcc_lo, s16, v29
	v_add_nc_u32_e32 v22, 64, v22
	v_add_nc_u32_e32 v32, 0x100, v32
	s_or_b32 s15, vcc_lo, s15
	s_andn2_b32 exec_lo, exec_lo, s15
	s_cbranch_execz .LBB126_44
.LBB126_39:                             ; =>This Inner Loop Header: Depth=1
	v_mul_hi_u32 v1, v22, s21
	v_mul_lo_u32 v2, v1, s12
	v_add_nc_u32_e32 v3, 1, v1
	v_sub_nc_u32_e32 v2, v22, v2
	v_subrev_nc_u32_e32 v4, s12, v2
	v_cmp_le_u32_e32 vcc_lo, s12, v2
	v_cndmask_b32_e32 v1, v1, v3, vcc_lo
	v_cndmask_b32_e32 v2, v2, v4, vcc_lo
	v_add_nc_u32_e32 v3, 1, v1
	v_cmp_le_u32_e32 vcc_lo, s12, v2
	v_cndmask_b32_e32 v1, v1, v3, vcc_lo
	v_xor_b32_e32 v1, s19, v1
	v_subrev_nc_u32_e32 v1, s19, v1
	v_add_nc_u32_e32 v2, s31, v1
	v_cmp_lt_i32_e64 s0, s4, v1
	v_sub_nc_u32_e32 v3, 0, v2
	v_max_i32_e32 v3, v2, v3
	v_ashrrev_i32_e32 v2, 31, v2
	v_mul_hi_u32 v4, v3, v33
	v_mul_lo_u32 v4, v4, s5
	v_sub_nc_u32_e32 v3, v3, v4
	v_subrev_nc_u32_e32 v4, s5, v3
	v_cmp_le_u32_e32 vcc_lo, s5, v3
	v_cndmask_b32_e32 v3, v3, v4, vcc_lo
	v_subrev_nc_u32_e32 v4, s5, v3
	v_cmp_le_u32_e32 vcc_lo, s5, v3
	v_cndmask_b32_e32 v3, v3, v4, vcc_lo
	v_xor_b32_e32 v3, v3, v2
	v_sub_nc_u32_e32 v2, v3, v2
	v_cmp_eq_u32_e32 vcc_lo, 0, v2
	s_or_b32 s0, vcc_lo, s0
	s_and_saveexec_b32 s18, s0
	s_cbranch_execz .LBB126_38
; %bb.40:                               ;   in Loop: Header=BB126_39 Depth=1
	global_load_dword v1, v[17:18], off
	v_add_nc_u32_e32 v38, v26, v22
	v_cmp_eq_u32_e64 s0, s14, v29
	v_add_nc_u32_e32 v41, 1, v38
	v_or_b32_e32 v39, 3, v38
	v_or_b32_e32 v40, 2, v38
	;; [unrolled: 1-line block ×6, first 2 shown]
	s_waitcnt vmcnt(0)
	v_mad_i64_i32 v[1:2], null, v1, s13, 0
	v_lshlrev_b64 v[1:2], 1, v[1:2]
	v_add_co_u32 v1, vcc_lo, v30, v1
	v_add_co_ci_u32_e64 v2, null, v31, v2, vcc_lo
	global_load_dwordx4 v[5:8], v[1:2], off
	ds_read2_b64 v[13:16], v32 offset1:1
	ds_read2_b64 v[9:12], v32 offset0:2 offset1:3
	s_and_saveexec_b32 s22, s0
	s_cbranch_execz .LBB126_42
; %bb.41:                               ;   in Loop: Header=BB126_39 Depth=1
	v_cmp_gt_i32_e64 s1, s30, v38
	v_cmp_gt_i32_e32 vcc_lo, s17, v41
	v_cmp_gt_i32_e64 s2, s30, v40
	s_waitcnt vmcnt(0)
	v_cndmask_b32_e64 v3, 0, v5, s1
	v_cmp_gt_i32_e64 s1, s17, v39
	v_cndmask_b32_sdwa v5, v27, v5, vcc_lo dst_sel:DWORD dst_unused:UNUSED_PAD src0_sel:DWORD src1_sel:WORD_1
	v_cndmask_b32_e64 v4, 0, v6, s2
	v_cmp_gt_i32_e64 s2, s17, v37
	s_mov_b32 vcc_lo, s1
	v_cmp_gt_i32_e64 s1, s17, v35
	v_cndmask_b32_sdwa v6, v27, v6, vcc_lo dst_sel:DWORD dst_unused:UNUSED_PAD src0_sel:DWORD src1_sel:WORD_1
	v_cmp_gt_i32_e32 vcc_lo, s30, v36
	v_perm_b32 v5, v5, v3, 0x5040100
	v_perm_b32 v6, v6, v4, 0x5040100
	v_cndmask_b32_e32 v42, 0, v7, vcc_lo
	s_mov_b32 vcc_lo, s2
	v_cndmask_b32_sdwa v7, v27, v7, vcc_lo dst_sel:DWORD dst_unused:UNUSED_PAD src0_sel:DWORD src1_sel:WORD_1
	v_cmp_gt_i32_e32 vcc_lo, s30, v34
	v_perm_b32 v7, v7, v42, 0x5040100
	v_cndmask_b32_e32 v43, 0, v8, vcc_lo
	s_mov_b32 vcc_lo, s1
	v_cndmask_b32_sdwa v8, v27, v8, vcc_lo dst_sel:DWORD dst_unused:UNUSED_PAD src0_sel:DWORD src1_sel:WORD_1
	v_perm_b32 v8, v8, v43, 0x5040100
.LBB126_42:                             ;   in Loop: Header=BB126_39 Depth=1
	s_or_b32 exec_lo, exec_lo, s22
	global_load_dwordx4 v[1:4], v[1:2], off offset:512
	s_and_saveexec_b32 s2, s0
	s_cbranch_execz .LBB126_37
; %bb.43:                               ;   in Loop: Header=BB126_39 Depth=1
	v_cmp_gt_i32_e64 s0, s30, v38
	v_cmp_gt_i32_e32 vcc_lo, s17, v41
	v_cmp_gt_i32_e64 s1, s30, v40
	s_waitcnt vmcnt(0)
	v_cndmask_b32_e64 v38, 0, v1, s0
	v_cmp_gt_i32_e64 s0, s17, v39
	v_cndmask_b32_sdwa v1, v27, v1, vcc_lo dst_sel:DWORD dst_unused:UNUSED_PAD src0_sel:DWORD src1_sel:WORD_1
	v_cndmask_b32_e64 v39, 0, v2, s1
	v_cmp_gt_i32_e64 s1, s17, v37
	s_mov_b32 vcc_lo, s0
	v_cmp_gt_i32_e64 s0, s17, v35
	v_cndmask_b32_sdwa v2, v27, v2, vcc_lo dst_sel:DWORD dst_unused:UNUSED_PAD src0_sel:DWORD src1_sel:WORD_1
	v_cmp_gt_i32_e32 vcc_lo, s30, v36
	v_perm_b32 v1, v1, v38, 0x5040100
	v_perm_b32 v2, v2, v39, 0x5040100
	v_cndmask_b32_e32 v36, 0, v3, vcc_lo
	s_mov_b32 vcc_lo, s1
	v_cndmask_b32_sdwa v3, v27, v3, vcc_lo dst_sel:DWORD dst_unused:UNUSED_PAD src0_sel:DWORD src1_sel:WORD_1
	v_cmp_gt_i32_e32 vcc_lo, s30, v34
	v_perm_b32 v3, v3, v36, 0x5040100
	v_cndmask_b32_e32 v34, 0, v4, vcc_lo
	s_mov_b32 vcc_lo, s0
	v_cndmask_b32_sdwa v4, v27, v4, vcc_lo dst_sel:DWORD dst_unused:UNUSED_PAD src0_sel:DWORD src1_sel:WORD_1
	v_perm_b32 v4, v4, v34, 0x5040100
	s_branch .LBB126_37
.LBB126_44:
	s_or_b32 exec_lo, exec_lo, s15
.LBB126_45:
	s_or_b32 exec_lo, exec_lo, s3
	ds_bpermute_b32 v1, v24, v25
	ds_bpermute_b32 v5, v24, v28
	v_lshrrev_b32_e32 v3, 1, v23
	v_and_b32_e32 v6, 0x3c1, v0
	s_mov_b32 s0, exec_lo
	s_waitcnt lgkmcnt(0)
	s_barrier
	v_lshl_add_u32 v4, v3, 2, 0x60
	buffer_gl0_inv
	v_add_f32_e32 v2, v25, v1
	v_add_f32_e32 v1, v28, v5
	v_cmpx_eq_u32_e32 64, v6
	s_cbranch_execz .LBB126_47
; %bb.46:
	v_lshl_add_u32 v5, v21, 7, v4
	v_add_nc_u32_e32 v6, 0xffffff00, v5
	v_add_nc_u32_e32 v5, 0xffffff40, v5
	ds_write_b32 v6, v2
	ds_write_b32 v5, v1
.LBB126_47:
	s_or_b32 exec_lo, exec_lo, s0
	v_and_b32_e32 v5, 0x3e0, v0
	v_lshlrev_b32_e32 v3, 2, v3
	s_mov_b32 s1, exec_lo
	v_cmp_eq_u32_e32 vcc_lo, 0, v20
	s_waitcnt lgkmcnt(0)
	v_lshlrev_b32_e32 v5, 2, v5
	s_barrier
	buffer_gl0_inv
	v_add3_u32 v3, 0x60, v5, v3
	v_cmpx_gt_u32_e32 64, v0
	s_cbranch_execz .LBB126_53
; %bb.48:
	s_and_saveexec_b32 s0, vcc_lo
	s_cbranch_execz .LBB126_50
; %bb.49:
	ds_read_b32 v5, v3
	s_waitcnt lgkmcnt(0)
	v_add_f32_e32 v2, v2, v5
.LBB126_50:
	s_or_b32 exec_lo, exec_lo, s0
	s_and_saveexec_b32 s0, vcc_lo
	s_cbranch_execz .LBB126_52
; %bb.51:
	ds_read_b32 v5, v3 offset:64
	s_waitcnt lgkmcnt(0)
	v_add_f32_e32 v1, v1, v5
.LBB126_52:
	s_or_b32 exec_lo, exec_lo, s0
.LBB126_53:
	s_or_b32 exec_lo, exec_lo, s1
	v_and_b32_e32 v5, 0x3e1, v0
	s_mov_b32 s1, exec_lo
	s_barrier
	buffer_gl0_inv
	v_cmpx_eq_u32_e32 32, v5
; %bb.54:
	ds_write2_b32 v4, v2, v1 offset1:16
; %bb.55:
	s_or_b32 exec_lo, exec_lo, s1
	s_mov_b32 s1, exec_lo
	s_waitcnt lgkmcnt(0)
	s_barrier
	buffer_gl0_inv
	v_cmpx_gt_u32_e32 32, v0
	s_cbranch_execz .LBB126_61
; %bb.56:
	s_and_saveexec_b32 s0, vcc_lo
	s_cbranch_execz .LBB126_58
; %bb.57:
	ds_read_b32 v0, v3
	s_waitcnt lgkmcnt(0)
	v_add_f32_e32 v2, v2, v0
.LBB126_58:
	s_or_b32 exec_lo, exec_lo, s0
	s_and_saveexec_b32 s0, vcc_lo
	s_cbranch_execz .LBB126_60
; %bb.59:
	ds_read_b32 v0, v3 offset:64
	s_waitcnt lgkmcnt(0)
	v_add_f32_e32 v1, v1, v0
.LBB126_60:
	s_or_b32 exec_lo, exec_lo, s0
.LBB126_61:
	s_or_b32 exec_lo, exec_lo, s1
	s_barrier
	buffer_gl0_inv
	s_mov_b32 s0, exec_lo
	v_cmpx_eq_u32_e32 0, v5
	s_cbranch_execz .LBB126_63
; %bb.62:
	s_mul_i32 s0, s10, s11
	v_bfe_u32 v0, v2, 16, 1
	s_mul_i32 s0, s0, s9
	s_mul_i32 s2, s11, s20
	s_lshl_b32 s0, s0, 5
	v_or_b32_e32 v3, 0x400000, v2
	s_ashr_i32 s1, s0, 31
	v_bfe_u32 v4, v1, 16, 1
	s_lshl_b64 s[0:1], s[0:1], 1
	v_add3_u32 v0, v0, v2, 0x7fff
	s_add_u32 s4, s6, s0
	s_addc_u32 s5, s7, s1
	s_ashr_i32 s3, s2, 31
	v_cmp_u_f32_e32 vcc_lo, v2, v2
	s_lshl_b64 s[0:1], s[2:3], 1
	v_or_b32_e32 v5, 0x400000, v1
	s_add_u32 s2, s4, s0
	s_addc_u32 s3, s5, s1
	s_lshl_b32 s0, s8, 5
	v_add3_u32 v4, v4, v1, 0x7fff
	v_cndmask_b32_e32 v0, v0, v3, vcc_lo
	v_cmp_u_f32_e32 vcc_lo, v1, v1
	s_ashr_i32 s1, s0, 31
	v_lshlrev_b32_e32 v2, 1, v19
	s_lshl_b64 s[0:1], s[0:1], 1
	v_cndmask_b32_e32 v1, v4, v5, vcc_lo
	s_add_u32 s0, s2, s0
	s_addc_u32 s1, s3, s1
	global_store_short_d16_hi v2, v0, s[0:1]
	global_store_short_d16_hi v2, v1, s[0:1] offset:32
.LBB126_63:
	s_endpgm
	.section	.rodata,"a",@progbits
	.p2align	6, 0x0
	.amdhsa_kernel _ZN4vllm25paged_attention_v1_kernelI14__hip_bfloat16S1_Li32ELi16ELi128ELNS_18Fp8KVCacheDataTypeE0ELb1EEEvPT_PKS3_PKT0_S9_ifPKiSB_iPKfiiiSD_SD_iiiii
		.amdhsa_group_segment_fixed_size 96
		.amdhsa_private_segment_fixed_size 0
		.amdhsa_kernarg_size 384
		.amdhsa_user_sgpr_count 6
		.amdhsa_user_sgpr_private_segment_buffer 1
		.amdhsa_user_sgpr_dispatch_ptr 0
		.amdhsa_user_sgpr_queue_ptr 0
		.amdhsa_user_sgpr_kernarg_segment_ptr 1
		.amdhsa_user_sgpr_dispatch_id 0
		.amdhsa_user_sgpr_flat_scratch_init 0
		.amdhsa_user_sgpr_private_segment_size 0
		.amdhsa_wavefront_size32 1
		.amdhsa_uses_dynamic_stack 0
		.amdhsa_system_sgpr_private_segment_wavefront_offset 0
		.amdhsa_system_sgpr_workgroup_id_x 1
		.amdhsa_system_sgpr_workgroup_id_y 1
		.amdhsa_system_sgpr_workgroup_id_z 1
		.amdhsa_system_sgpr_workgroup_info 0
		.amdhsa_system_vgpr_workitem_id 0
		.amdhsa_next_free_vgpr 52
		.amdhsa_next_free_sgpr 38
		.amdhsa_reserve_vcc 1
		.amdhsa_reserve_flat_scratch 0
		.amdhsa_float_round_mode_32 0
		.amdhsa_float_round_mode_16_64 0
		.amdhsa_float_denorm_mode_32 3
		.amdhsa_float_denorm_mode_16_64 3
		.amdhsa_dx10_clamp 1
		.amdhsa_ieee_mode 1
		.amdhsa_fp16_overflow 0
		.amdhsa_workgroup_processor_mode 1
		.amdhsa_memory_ordered 1
		.amdhsa_forward_progress 1
		.amdhsa_shared_vgpr_count 0
		.amdhsa_exception_fp_ieee_invalid_op 0
		.amdhsa_exception_fp_denorm_src 0
		.amdhsa_exception_fp_ieee_div_zero 0
		.amdhsa_exception_fp_ieee_overflow 0
		.amdhsa_exception_fp_ieee_underflow 0
		.amdhsa_exception_fp_ieee_inexact 0
		.amdhsa_exception_int_div_zero 0
	.end_amdhsa_kernel
	.section	.text._ZN4vllm25paged_attention_v1_kernelI14__hip_bfloat16S1_Li32ELi16ELi128ELNS_18Fp8KVCacheDataTypeE0ELb1EEEvPT_PKS3_PKT0_S9_ifPKiSB_iPKfiiiSD_SD_iiiii,"axG",@progbits,_ZN4vllm25paged_attention_v1_kernelI14__hip_bfloat16S1_Li32ELi16ELi128ELNS_18Fp8KVCacheDataTypeE0ELb1EEEvPT_PKS3_PKT0_S9_ifPKiSB_iPKfiiiSD_SD_iiiii,comdat
.Lfunc_end126:
	.size	_ZN4vllm25paged_attention_v1_kernelI14__hip_bfloat16S1_Li32ELi16ELi128ELNS_18Fp8KVCacheDataTypeE0ELb1EEEvPT_PKS3_PKT0_S9_ifPKiSB_iPKfiiiSD_SD_iiiii, .Lfunc_end126-_ZN4vllm25paged_attention_v1_kernelI14__hip_bfloat16S1_Li32ELi16ELi128ELNS_18Fp8KVCacheDataTypeE0ELb1EEEvPT_PKS3_PKT0_S9_ifPKiSB_iPKfiiiSD_SD_iiiii
                                        ; -- End function
	.set _ZN4vllm25paged_attention_v1_kernelI14__hip_bfloat16S1_Li32ELi16ELi128ELNS_18Fp8KVCacheDataTypeE0ELb1EEEvPT_PKS3_PKT0_S9_ifPKiSB_iPKfiiiSD_SD_iiiii.num_vgpr, 52
	.set _ZN4vllm25paged_attention_v1_kernelI14__hip_bfloat16S1_Li32ELi16ELi128ELNS_18Fp8KVCacheDataTypeE0ELb1EEEvPT_PKS3_PKT0_S9_ifPKiSB_iPKfiiiSD_SD_iiiii.num_agpr, 0
	.set _ZN4vllm25paged_attention_v1_kernelI14__hip_bfloat16S1_Li32ELi16ELi128ELNS_18Fp8KVCacheDataTypeE0ELb1EEEvPT_PKS3_PKT0_S9_ifPKiSB_iPKfiiiSD_SD_iiiii.numbered_sgpr, 38
	.set _ZN4vllm25paged_attention_v1_kernelI14__hip_bfloat16S1_Li32ELi16ELi128ELNS_18Fp8KVCacheDataTypeE0ELb1EEEvPT_PKS3_PKT0_S9_ifPKiSB_iPKfiiiSD_SD_iiiii.num_named_barrier, 0
	.set _ZN4vllm25paged_attention_v1_kernelI14__hip_bfloat16S1_Li32ELi16ELi128ELNS_18Fp8KVCacheDataTypeE0ELb1EEEvPT_PKS3_PKT0_S9_ifPKiSB_iPKfiiiSD_SD_iiiii.private_seg_size, 0
	.set _ZN4vllm25paged_attention_v1_kernelI14__hip_bfloat16S1_Li32ELi16ELi128ELNS_18Fp8KVCacheDataTypeE0ELb1EEEvPT_PKS3_PKT0_S9_ifPKiSB_iPKfiiiSD_SD_iiiii.uses_vcc, 1
	.set _ZN4vllm25paged_attention_v1_kernelI14__hip_bfloat16S1_Li32ELi16ELi128ELNS_18Fp8KVCacheDataTypeE0ELb1EEEvPT_PKS3_PKT0_S9_ifPKiSB_iPKfiiiSD_SD_iiiii.uses_flat_scratch, 0
	.set _ZN4vllm25paged_attention_v1_kernelI14__hip_bfloat16S1_Li32ELi16ELi128ELNS_18Fp8KVCacheDataTypeE0ELb1EEEvPT_PKS3_PKT0_S9_ifPKiSB_iPKfiiiSD_SD_iiiii.has_dyn_sized_stack, 0
	.set _ZN4vllm25paged_attention_v1_kernelI14__hip_bfloat16S1_Li32ELi16ELi128ELNS_18Fp8KVCacheDataTypeE0ELb1EEEvPT_PKS3_PKT0_S9_ifPKiSB_iPKfiiiSD_SD_iiiii.has_recursion, 0
	.set _ZN4vllm25paged_attention_v1_kernelI14__hip_bfloat16S1_Li32ELi16ELi128ELNS_18Fp8KVCacheDataTypeE0ELb1EEEvPT_PKS3_PKT0_S9_ifPKiSB_iPKfiiiSD_SD_iiiii.has_indirect_call, 0
	.section	.AMDGPU.csdata,"",@progbits
; Kernel info:
; codeLenInByte = 5432
; TotalNumSgprs: 40
; NumVgprs: 52
; ScratchSize: 0
; MemoryBound: 0
; FloatMode: 240
; IeeeMode: 1
; LDSByteSize: 96 bytes/workgroup (compile time only)
; SGPRBlocks: 0
; VGPRBlocks: 6
; NumSGPRsForWavesPerEU: 40
; NumVGPRsForWavesPerEU: 52
; Occupancy: 16
; WaveLimiterHint : 1
; COMPUTE_PGM_RSRC2:SCRATCH_EN: 0
; COMPUTE_PGM_RSRC2:USER_SGPR: 6
; COMPUTE_PGM_RSRC2:TRAP_HANDLER: 0
; COMPUTE_PGM_RSRC2:TGID_X_EN: 1
; COMPUTE_PGM_RSRC2:TGID_Y_EN: 1
; COMPUTE_PGM_RSRC2:TGID_Z_EN: 1
; COMPUTE_PGM_RSRC2:TIDIG_COMP_CNT: 0
	.section	.text._ZN4vllm25paged_attention_v1_kernelI14__hip_bfloat16S1_Li64ELi16ELi128ELNS_18Fp8KVCacheDataTypeE0ELb1EEEvPT_PKS3_PKT0_S9_ifPKiSB_iPKfiiiSD_SD_iiiii,"axG",@progbits,_ZN4vllm25paged_attention_v1_kernelI14__hip_bfloat16S1_Li64ELi16ELi128ELNS_18Fp8KVCacheDataTypeE0ELb1EEEvPT_PKS3_PKT0_S9_ifPKiSB_iPKfiiiSD_SD_iiiii,comdat
	.protected	_ZN4vllm25paged_attention_v1_kernelI14__hip_bfloat16S1_Li64ELi16ELi128ELNS_18Fp8KVCacheDataTypeE0ELb1EEEvPT_PKS3_PKT0_S9_ifPKiSB_iPKfiiiSD_SD_iiiii ; -- Begin function _ZN4vllm25paged_attention_v1_kernelI14__hip_bfloat16S1_Li64ELi16ELi128ELNS_18Fp8KVCacheDataTypeE0ELb1EEEvPT_PKS3_PKT0_S9_ifPKiSB_iPKfiiiSD_SD_iiiii
	.globl	_ZN4vllm25paged_attention_v1_kernelI14__hip_bfloat16S1_Li64ELi16ELi128ELNS_18Fp8KVCacheDataTypeE0ELb1EEEvPT_PKS3_PKT0_S9_ifPKiSB_iPKfiiiSD_SD_iiiii
	.p2align	8
	.type	_ZN4vllm25paged_attention_v1_kernelI14__hip_bfloat16S1_Li64ELi16ELi128ELNS_18Fp8KVCacheDataTypeE0ELb1EEEvPT_PKS3_PKT0_S9_ifPKiSB_iPKfiiiSD_SD_iiiii,@function
_ZN4vllm25paged_attention_v1_kernelI14__hip_bfloat16S1_Li64ELi16ELi128ELNS_18Fp8KVCacheDataTypeE0ELb1EEEvPT_PKS3_PKT0_S9_ifPKiSB_iPKfiiiSD_SD_iiiii: ; @_ZN4vllm25paged_attention_v1_kernelI14__hip_bfloat16S1_Li64ELi16ELi128ELNS_18Fp8KVCacheDataTypeE0ELb1EEEvPT_PKS3_PKT0_S9_ifPKiSB_iPKfiiiSD_SD_iiiii
; %bb.0:
	s_clause 0x2
	s_load_dword s9, s[4:5], 0x80
	s_load_dwordx2 s[0:1], s[4:5], 0x30
	s_load_dwordx2 s[28:29], s[4:5], 0x20
	s_mov_b32 s10, s7
	s_ashr_i32 s11, s7, 31
	s_mov_b32 s33, 0
	s_lshl_b64 s[2:3], s[10:11], 2
	s_waitcnt lgkmcnt(0)
	s_add_u32 s0, s0, s2
	s_addc_u32 s1, s1, s3
	s_abs_i32 s2, s28
	s_abs_i32 s11, s9
	v_cvt_f32_u32_e32 v1, s2
	s_sub_i32 s7, 0, s2
	v_rcp_iflag_f32_e32 v1, v1
	v_mul_f32_e32 v1, 0x4f7ffffe, v1
	v_cvt_u32_f32_e32 v1, v1
	v_readfirstlane_b32 s3, v1
	s_mul_i32 s7, s7, s3
	s_mul_hi_u32 s7, s3, s7
	s_add_i32 s3, s3, s7
	s_xor_b32 s7, s9, s28
	s_mul_hi_u32 s3, s11, s3
	s_ashr_i32 s7, s7, 31
	s_mul_i32 s12, s3, s2
	s_sub_i32 s11, s11, s12
	s_add_i32 s12, s3, 1
	s_sub_i32 s13, s11, s2
	s_cmp_ge_u32 s11, s2
	s_cselect_b32 s3, s12, s3
	s_cselect_b32 s11, s13, s11
	s_add_i32 s12, s3, 1
	s_cmp_ge_u32 s11, s2
	s_cselect_b32 s2, s12, s3
	s_abs_i32 s22, s6
	s_xor_b32 s2, s2, s7
	s_sub_i32 s16, s2, s7
	s_load_dwordx2 s[2:3], s[4:5], 0x40
	s_abs_i32 s11, s16
	v_cvt_f32_u32_e32 v1, s11
	s_sub_i32 s12, 0, s11
	v_rcp_iflag_f32_e32 v1, v1
	v_mul_f32_e32 v1, 0x4f7ffffe, v1
	v_cvt_u32_f32_e32 v1, v1
	v_readfirstlane_b32 s7, v1
	s_mul_i32 s12, s12, s7
	s_mul_hi_u32 s12, s7, s12
	s_add_i32 s7, s7, s12
	s_waitcnt lgkmcnt(0)
	s_cmp_eq_u64 s[2:3], 0
	s_mul_hi_u32 s23, s22, s7
	s_cbranch_scc1 .LBB127_2
; %bb.1:
	s_ashr_i32 s7, s6, 31
	s_lshl_b64 s[12:13], s[6:7], 2
	s_add_u32 s2, s2, s12
	s_addc_u32 s3, s3, s13
	s_load_dword s33, s[2:3], 0x0
.LBB127_2:
	s_load_dword s30, s[0:1], 0x0
	s_load_dwordx4 s[12:15], s[4:5], 0x48
	v_lshrrev_b32_e32 v27, 1, v0
	v_and_b32_e32 v28, 1, v0
	v_lshlrev_b32_e32 v3, 3, v0
	s_ashr_i32 s0, s6, 31
	s_ashr_i32 s1, s16, 31
	s_lshl_b32 s20, s6, 6
	s_mov_b32 s2, exec_lo
	v_cmpx_gt_u32_e32 16, v0
	s_cbranch_execz .LBB127_4
; %bb.3:
	s_load_dwordx2 s[16:17], s[4:5], 0x8
	s_waitcnt lgkmcnt(0)
	s_mul_i32 s18, s12, s10
	v_lshlrev_b32_e32 v4, 3, v27
	s_ashr_i32 s19, s18, 31
	s_lshl_b64 s[18:19], s[18:19], 1
	v_lshl_add_u32 v4, v28, 6, v4
	s_add_u32 s3, s16, s18
	s_addc_u32 s7, s17, s19
	s_ashr_i32 s21, s20, 31
	s_lshl_b64 s[16:17], s[20:21], 1
	s_add_u32 s16, s3, s16
	s_addc_u32 s17, s7, s17
	global_load_dwordx2 v[1:2], v3, s[16:17]
	s_waitcnt vmcnt(0)
	ds_write_b64 v4, v[1:2]
.LBB127_4:
	s_or_b32 exec_lo, exec_lo, s2
	s_load_dwordx4 s[16:19], s[4:5], 0x68
	s_mul_i32 s2, s23, s11
	s_xor_b32 s1, s0, s1
	s_sub_i32 s0, s22, s2
	s_add_i32 s2, s23, 1
	s_sub_i32 s3, s0, s11
	s_cmp_ge_u32 s0, s11
	s_waitcnt lgkmcnt(0)
	s_cselect_b32 s2, s2, s23
	s_cselect_b32 s0, s3, s0
	s_add_i32 s3, s2, 1
	s_cmp_ge_u32 s0, s11
	s_load_dword s0, s[4:5], 0x78
	s_cselect_b32 s2, s3, s2
	s_add_i32 s7, s30, -1
	s_xor_b32 s2, s2, s1
	s_abs_i32 s3, s7
	s_sub_i32 s1, s2, s1
	s_mov_b32 s11, -1
	s_barrier
	s_abs_i32 s12, s19
	s_waitcnt lgkmcnt(0)
	buffer_gl0_inv
	v_cvt_f32_u32_e32 v1, s12
	s_sub_i32 s2, 0, s12
                                        ; implicit-def: $sgpr31
	v_rcp_iflag_f32_e32 v1, v1
	v_mul_f32_e32 v1, 0x4f7ffffe, v1
	v_cvt_u32_f32_e32 v1, v1
	v_readfirstlane_b32 s21, v1
	s_mul_i32 s2, s2, s21
	s_mul_hi_u32 s2, s21, s2
	s_add_i32 s21, s21, s2
	s_cmp_lt_i32 s0, 0
	s_mul_hi_u32 s2, s3, s21
	s_cbranch_scc0 .LBB127_6
; %bb.5:
	s_mul_i32 s11, s16, s28
	s_add_i32 s11, s1, s11
	s_mul_i32 s11, s11, s0
	s_sub_i32 s31, 1, s11
	s_mov_b32 s11, 0
.LBB127_6:
	s_load_dwordx2 s[22:23], s[4:5], 0x28
	s_ashr_i32 s7, s7, 31
	s_andn2_b32 vcc_lo, exec_lo, s11
	s_ashr_i32 s19, s19, 31
	s_cbranch_vccnz .LBB127_8
; %bb.7:
	s_mul_i32 s11, s9, s16
	s_add_i32 s6, s11, s6
	s_mul_i32 s0, s6, s0
	s_add_i32 s31, s0, 1
.LBB127_8:
	s_load_dword s0, s[4:5], 0x38
	s_mul_i32 s6, s2, s12
	s_xor_b32 s15, s7, s19
	s_sub_i32 s3, s3, s6
	s_add_i32 s16, s2, 1
	s_clause 0x2
	s_load_dwordx2 s[6:7], s[4:5], 0x0
	s_load_dwordx2 s[26:27], s[4:5], 0x18
	s_load_dword s11, s[4:5], 0x88
	v_lshrrev_b32_e32 v29, 5, v0
	v_mov_b32_e32 v6, 0xff7fffff
	v_lshrrev_b32_e32 v4, 3, v0
	v_mbcnt_lo_u32_b32 v5, -1, 0
	s_mul_i32 s14, s1, s14
	v_lshlrev_b32_e32 v30, 4, v29
	s_waitcnt lgkmcnt(0)
	s_mul_i32 s24, s0, s10
	s_sub_i32 s0, s3, s12
	s_ashr_i32 s25, s24, 31
	s_cmp_ge_u32 s3, s12
	s_cselect_b32 s2, s16, s2
	s_cselect_b32 s0, s0, s3
	s_add_i32 s3, s2, 1
	s_cmp_ge_u32 s0, s12
	s_cselect_b32 s0, s3, s2
	s_add_i32 s2, s30, 15
	s_ashr_i32 s3, s2, 31
	s_lshr_b32 s3, s3, 28
	s_add_i32 s2, s2, s3
	s_ashr_i32 s16, s2, 4
	s_xor_b32 s2, s0, s15
	v_cmp_gt_i32_e64 s0, s16, v29
	s_sub_i32 s28, s2, s15
	s_and_saveexec_b32 s34, s0
	s_cbranch_execz .LBB127_20
; %bb.9:
	s_load_dwordx2 s[2:3], s[4:5], 0x10
	s_ashr_i32 s15, s14, 31
	s_sub_i32 s4, s28, s17
	s_lshl_b64 s[36:37], s[14:15], 1
	v_bfe_u32 v7, v0, 1, 4
	v_and_b32_e32 v2, 0x7c, v4
	v_and_b32_e32 v14, 8, v3
	v_lshlrev_b32_e32 v8, 6, v28
	v_cmp_neq_f32_e64 s1, s33, 0
	v_lshlrev_b32_e32 v12, 2, v7
	v_subrev_nc_u32_e32 v13, s30, v7
	v_lshlrev_b32_e32 v9, 4, v29
	v_mov_b32_e32 v10, 0xff7fffff
	v_xor_b32_e32 v11, 1, v5
	v_lshl_or_b32 v15, v29, 6, v12
	v_add_nc_u32_e32 v12, 1, v13
	v_mov_b32_e32 v6, 0xff7fffff
	v_cmp_eq_u32_e32 vcc_lo, 0, v28
	v_add_nc_u32_e32 v13, 0xa0, v15
	s_waitcnt lgkmcnt(0)
	s_add_u32 s15, s2, s36
	s_addc_u32 s35, s3, s37
	s_abs_i32 s5, s18
	v_cvt_f32_u32_e32 v1, s5
	s_sub_i32 s2, 0, s5
	v_rcp_iflag_f32_e32 v1, v1
	v_mul_f32_e32 v1, 0x4f7ffffe, v1
	v_cvt_u32_f32_e32 v16, v1
	v_lshlrev_b32_e32 v1, 4, v7
	v_mul_lo_u32 v15, s2, v16
	s_lshl_b64 s[2:3], s[24:25], 2
	v_add_co_u32 v17, s15, s15, v1
	s_add_u32 s2, s22, s2
	v_add_co_ci_u32_e64 v18, null, s35, 0, s15
	s_addc_u32 s3, s23, s3
	v_mul_hi_u32 v19, v16, v15
	v_add_co_u32 v1, s2, s2, v2
	v_add_co_ci_u32_e64 v2, null, s3, 0, s2
	v_add_co_u32 v14, s2, v17, v14
	v_add_co_ci_u32_e64 v15, null, 0, v18, s2
	v_add_nc_u32_e32 v16, v16, v19
	v_mov_b32_e32 v17, v29
	s_mov_b32 s15, 0
	s_mov_b32 s35, s13
	s_branch .LBB127_12
.LBB127_10:                             ;   in Loop: Header=BB127_12 Depth=1
	s_or_b32 exec_lo, exec_lo, s36
.LBB127_11:                             ;   in Loop: Header=BB127_12 Depth=1
	s_or_b32 exec_lo, exec_lo, s3
	v_add_nc_u32_e32 v17, 4, v17
	v_add_co_u32 v1, s3, v1, 16
	v_add_co_ci_u32_e64 v2, null, 0, v2, s3
	v_cmp_le_i32_e64 s2, s16, v17
	v_add_nc_u32_e32 v9, 64, v9
	v_add_nc_u32_e32 v13, 0x100, v13
	s_or_b32 s15, s2, s15
	s_andn2_b32 exec_lo, exec_lo, s15
	s_cbranch_execz .LBB127_19
.LBB127_12:                             ; =>This Inner Loop Header: Depth=1
	v_mul_hi_u32 v18, v9, s21
	s_waitcnt lgkmcnt(0)
	v_mul_lo_u32 v19, v18, s12
	v_add_nc_u32_e32 v20, 1, v18
	v_sub_nc_u32_e32 v19, v9, v19
	v_subrev_nc_u32_e32 v21, s12, v19
	v_cmp_le_u32_e64 s2, s12, v19
	v_cndmask_b32_e64 v18, v18, v20, s2
	v_cndmask_b32_e64 v19, v19, v21, s2
	v_add_nc_u32_e32 v20, 1, v18
	v_cmp_le_u32_e64 s2, s12, v19
	v_cndmask_b32_e64 v18, v18, v20, s2
	v_xor_b32_e32 v18, s19, v18
	v_subrev_nc_u32_e32 v18, s19, v18
	v_add_nc_u32_e32 v19, s31, v18
	v_cmp_ge_i32_e64 s3, s4, v18
	v_sub_nc_u32_e32 v20, 0, v19
	v_max_i32_e32 v20, v19, v20
	v_ashrrev_i32_e32 v19, 31, v19
	v_mul_hi_u32 v21, v20, v16
	v_mul_lo_u32 v21, v21, s5
	v_sub_nc_u32_e32 v20, v20, v21
	v_subrev_nc_u32_e32 v21, s5, v20
	v_cmp_le_u32_e64 s2, s5, v20
	v_cndmask_b32_e64 v20, v20, v21, s2
	v_subrev_nc_u32_e32 v21, s5, v20
	v_cmp_le_u32_e64 s2, s5, v20
	v_cndmask_b32_e64 v20, v20, v21, s2
	v_xor_b32_e32 v20, v20, v19
	v_sub_nc_u32_e32 v19, v20, v19
	v_cmp_ne_u32_e64 s2, 0, v19
	s_and_b32 s2, s2, s3
	s_and_saveexec_b32 s3, s2
	s_xor_b32 s2, exec_lo, s3
	s_cbranch_execz .LBB127_16
; %bb.13:                               ;   in Loop: Header=BB127_12 Depth=1
	s_and_saveexec_b32 s3, vcc_lo
; %bb.14:                               ;   in Loop: Header=BB127_12 Depth=1
	ds_write_b32 v13, v10
; %bb.15:                               ;   in Loop: Header=BB127_12 Depth=1
	s_or_b32 exec_lo, exec_lo, s3
.LBB127_16:                             ;   in Loop: Header=BB127_12 Depth=1
	s_andn2_saveexec_b32 s3, s2
	s_cbranch_execz .LBB127_11
; %bb.17:                               ;   in Loop: Header=BB127_12 Depth=1
	global_load_dword v18, v[1:2], off
	s_waitcnt vmcnt(0)
	v_mad_i64_i32 v[18:19], null, v18, s35, 0
	v_lshlrev_b64 v[18:19], 1, v[18:19]
	v_add_co_u32 v18, s2, v14, v18
	v_add_co_ci_u32_e64 v19, null, v15, v19, s2
	v_cmp_gt_i32_e64 s2, 32, v11
	s_clause 0x7
	global_load_dwordx2 v[39:40], v[18:19], off offset:256
	global_load_dwordx2 v[41:42], v[18:19], off offset:512
	;; [unrolled: 1-line block ×3, first 2 shown]
	global_load_dwordx2 v[45:46], v[18:19], off
	global_load_dwordx2 v[47:48], v[18:19], off offset:1024
	global_load_dwordx2 v[49:50], v[18:19], off offset:1280
	;; [unrolled: 1-line block ×4, first 2 shown]
	ds_read_b128 v[18:21], v8
	ds_read_b128 v[22:25], v8 offset:16
	ds_read_b128 v[31:34], v8 offset:32
	;; [unrolled: 1-line block ×3, first 2 shown]
	s_waitcnt lgkmcnt(3)
	v_lshlrev_b32_e32 v56, 16, v20
	v_and_b32_e32 v20, 0xffff0000, v20
	v_lshlrev_b32_e32 v26, 16, v18
	v_lshlrev_b32_e32 v57, 16, v21
	v_and_b32_e32 v18, 0xffff0000, v18
	v_lshlrev_b32_e32 v55, 16, v19
	s_waitcnt lgkmcnt(2)
	v_lshlrev_b32_e32 v58, 16, v22
	v_and_b32_e32 v21, 0xffff0000, v21
	v_and_b32_e32 v22, 0xffff0000, v22
	v_lshlrev_b32_e32 v59, 16, v23
	v_lshlrev_b32_e32 v60, 16, v24
	v_and_b32_e32 v19, 0xffff0000, v19
	v_and_b32_e32 v24, 0xffff0000, v24
	v_lshlrev_b32_e32 v61, 16, v25
	s_waitcnt lgkmcnt(1)
	v_lshlrev_b32_e32 v62, 16, v31
	v_and_b32_e32 v23, 0xffff0000, v23
	v_and_b32_e32 v31, 0xffff0000, v31
	v_lshlrev_b32_e32 v63, 16, v32
	v_lshlrev_b32_e32 v64, 16, v33
	v_and_b32_e32 v25, 0xffff0000, v25
	v_and_b32_e32 v33, 0xffff0000, v33
	v_lshlrev_b32_e32 v65, 16, v34
	v_and_b32_e32 v32, 0xffff0000, v32
	s_waitcnt lgkmcnt(0)
	v_lshlrev_b32_e32 v66, 16, v35
	v_and_b32_e32 v35, 0xffff0000, v35
	v_and_b32_e32 v34, 0xffff0000, v34
	v_lshlrev_b32_e32 v67, 16, v36
	v_lshlrev_b32_e32 v68, 16, v37
	v_and_b32_e32 v37, 0xffff0000, v37
	v_lshlrev_b32_e32 v69, 16, v38
	v_and_b32_e32 v36, 0xffff0000, v36
	s_waitcnt vmcnt(7)
	v_lshlrev_b32_e32 v70, 16, v39
	v_and_b32_e32 v39, 0xffff0000, v39
	v_lshlrev_b32_e32 v72, 16, v40
	s_waitcnt vmcnt(4)
	v_lshlrev_b32_e32 v71, 16, v45
	v_and_b32_e32 v45, 0xffff0000, v45
	v_mul_f32_e32 v56, v56, v70
	v_mul_f32_e32 v20, v20, v39
	v_and_b32_e32 v40, 0xffff0000, v40
	v_lshlrev_b32_e32 v73, 16, v46
	v_lshlrev_b32_e32 v74, 16, v41
	v_and_b32_e32 v41, 0xffff0000, v41
	v_mul_f32_e32 v57, v57, v72
	v_fmac_f32_e32 v56, v26, v71
	v_fmac_f32_e32 v20, v18, v45
	v_and_b32_e32 v46, 0xffff0000, v46
	v_lshlrev_b32_e32 v75, 16, v42
	v_lshlrev_b32_e32 v76, 16, v43
	v_and_b32_e32 v43, 0xffff0000, v43
	v_mul_f32_e32 v21, v21, v40
	v_fmac_f32_e32 v57, v55, v73
	v_fmac_f32_e32 v56, v58, v74
	;; [unrolled: 1-line block ×3, first 2 shown]
	v_and_b32_e32 v42, 0xffff0000, v42
	v_lshlrev_b32_e32 v77, 16, v44
	s_waitcnt vmcnt(3)
	v_lshlrev_b32_e32 v78, 16, v47
	v_and_b32_e32 v47, 0xffff0000, v47
	v_fmac_f32_e32 v21, v19, v46
	v_fmac_f32_e32 v57, v59, v75
	;; [unrolled: 1-line block ×4, first 2 shown]
	v_and_b32_e32 v44, 0xffff0000, v44
	v_lshlrev_b32_e32 v79, 16, v48
	s_waitcnt vmcnt(2)
	v_lshlrev_b32_e32 v80, 16, v49
	v_and_b32_e32 v49, 0xffff0000, v49
	v_fmac_f32_e32 v21, v23, v42
	v_fmac_f32_e32 v57, v61, v77
	;; [unrolled: 1-line block ×4, first 2 shown]
	v_and_b32_e32 v48, 0xffff0000, v48
	v_lshlrev_b32_e32 v81, 16, v50
	v_and_b32_e32 v39, 0xffff0000, v50
	s_waitcnt vmcnt(1)
	v_lshlrev_b32_e32 v50, 16, v51
	v_and_b32_e32 v18, 0xffff0000, v51
	v_fmac_f32_e32 v21, v25, v44
	v_fmac_f32_e32 v57, v63, v79
	;; [unrolled: 1-line block ×4, first 2 shown]
	v_lshlrev_b32_e32 v22, 16, v52
	s_waitcnt vmcnt(0)
	v_lshlrev_b32_e32 v23, 16, v53
	v_and_b32_e32 v24, 0xffff0000, v53
	v_fmac_f32_e32 v21, v32, v48
	v_fmac_f32_e32 v57, v65, v81
	;; [unrolled: 1-line block ×4, first 2 shown]
	v_and_b32_e32 v19, 0xffff0000, v52
	v_lshlrev_b32_e32 v18, 16, v54
	v_fmac_f32_e32 v21, v34, v39
	v_fmac_f32_e32 v57, v67, v22
	;; [unrolled: 1-line block ×4, first 2 shown]
	v_and_b32_e32 v22, 0xffff0000, v38
	v_fmac_f32_e32 v21, v36, v19
	v_and_b32_e32 v19, 0xffff0000, v54
	v_fmac_f32_e32 v57, v69, v18
	v_add_f32_e32 v18, v56, v20
	v_cndmask_b32_e64 v20, v5, v11, s2
	v_fmac_f32_e32 v21, v22, v19
	v_add_f32_e32 v18, v18, v57
	v_lshlrev_b32_e32 v19, 2, v20
	v_add_f32_e32 v18, v21, v18
	ds_bpermute_b32 v19, v19, v18
	s_and_saveexec_b32 s36, vcc_lo
	s_cbranch_execz .LBB127_10
; %bb.18:                               ;   in Loop: Header=BB127_12 Depth=1
	v_add_nc_u32_e32 v20, v12, v9
	s_waitcnt lgkmcnt(0)
	v_add_f32_e32 v18, v18, v19
	v_cvt_f32_i32_e32 v20, v20
	v_mul_f32_e32 v20, s33, v20
	v_cndmask_b32_e64 v19, 0, v20, s1
	v_max_f32_e32 v20, v6, v6
	v_fmac_f32_e32 v19, s29, v18
	v_add_nc_u32_e32 v18, v7, v9
	v_max_f32_e32 v20, v20, v19
	v_cmp_gt_i32_e64 s2, s30, v18
	v_cndmask_b32_e64 v18, 0, v19, s2
	v_cndmask_b32_e64 v6, v6, v20, s2
	ds_write_b32 v13, v18
	s_branch .LBB127_10
.LBB127_19:
	s_or_b32 exec_lo, exec_lo, s15
.LBB127_20:
	s_or_b32 exec_lo, exec_lo, s34
	v_xor_b32_e32 v1, 16, v5
	v_xor_b32_e32 v7, 8, v5
	v_max_f32_e32 v8, v6, v6
	v_and_b32_e32 v31, 31, v0
	v_cmp_gt_i32_e32 vcc_lo, 32, v1
	v_cndmask_b32_e32 v1, v5, v1, vcc_lo
	v_cmp_gt_i32_e32 vcc_lo, 32, v7
	v_lshlrev_b32_e32 v2, 2, v1
	ds_bpermute_b32 v1, v2, v6
	v_cndmask_b32_e32 v6, v5, v7, vcc_lo
	v_lshlrev_b32_e32 v6, 2, v6
	s_waitcnt lgkmcnt(0)
	v_max_f32_e32 v1, v1, v1
	v_max_f32_e32 v1, v8, v1
	v_xor_b32_e32 v8, 4, v5
	ds_bpermute_b32 v7, v6, v1
	v_cmp_gt_i32_e32 vcc_lo, 32, v8
	v_cndmask_b32_e32 v8, v5, v8, vcc_lo
	s_waitcnt lgkmcnt(0)
	v_max_f32_e32 v9, v7, v7
	v_lshlrev_b32_e32 v7, 2, v8
	v_max_f32_e32 v1, v1, v9
	v_xor_b32_e32 v9, 2, v5
	ds_bpermute_b32 v8, v7, v1
	v_cmp_gt_i32_e32 vcc_lo, 32, v9
	v_cndmask_b32_e32 v10, v5, v9, vcc_lo
	v_cmp_eq_u32_e32 vcc_lo, 0, v31
	s_waitcnt lgkmcnt(0)
	v_max_f32_e32 v8, v8, v8
	v_max_f32_e32 v9, v1, v8
	v_lshlrev_b32_e32 v1, 2, v10
	v_lshlrev_b32_e32 v8, 2, v29
	ds_bpermute_b32 v10, v1, v9
	s_and_saveexec_b32 s1, vcc_lo
	s_cbranch_execz .LBB127_22
; %bb.21:
	s_waitcnt lgkmcnt(0)
	v_max_f32_e32 v10, v10, v10
	v_max_f32_e32 v9, v9, v9
	;; [unrolled: 1-line block ×3, first 2 shown]
	ds_write_b32 v8, v9 offset:128
.LBB127_22:
	s_or_b32 exec_lo, exec_lo, s1
	v_cmp_gt_u32_e64 s1, 4, v31
	s_waitcnt lgkmcnt(0)
	v_mov_b32_e32 v10, 0xff7fffff
	v_lshlrev_b32_e32 v9, 2, v31
	s_barrier
	buffer_gl0_inv
	s_and_saveexec_b32 s2, s1
; %bb.23:
	ds_read_b32 v10, v9 offset:128
; %bb.24:
	s_or_b32 exec_lo, exec_lo, s2
	s_waitcnt lgkmcnt(0)
	ds_bpermute_b32 v11, v1, v10
	v_xor_b32_e32 v12, 1, v5
	v_max_f32_e32 v10, v10, v10
	v_cmp_gt_i32_e64 s2, 32, v12
	v_cndmask_b32_e64 v5, v5, v12, s2
	s_lshl_b32 s2, s16, 4
	s_min_i32 s4, s2, s30
	v_lshlrev_b32_e32 v32, 2, v5
	v_cmp_gt_i32_e64 s2, s4, v0
	s_waitcnt lgkmcnt(0)
	v_max_f32_e32 v11, v11, v11
	v_max_f32_e32 v5, v10, v11
	ds_bpermute_b32 v10, v32, v5
	s_waitcnt lgkmcnt(0)
	v_max_f32_e32 v10, v10, v10
	v_max_f32_e32 v5, v5, v10
	v_mov_b32_e32 v10, 0
	ds_bpermute_b32 v11, v10, v5
	v_lshl_add_u32 v5, v0, 2, 0xa0
	s_and_saveexec_b32 s5, s2
	s_cbranch_execz .LBB127_28
; %bb.25:
	v_lshl_add_u32 v12, v0, 2, 0xa0
	v_mov_b32_e32 v10, 0
	v_mov_b32_e32 v13, v0
	s_mov_b32 s15, 0
	.p2align	6
.LBB127_26:                             ; =>This Inner Loop Header: Depth=1
	ds_read_b32 v14, v12
	v_add_nc_u32_e32 v13, 0x80, v13
	v_cmp_le_i32_e64 s3, s4, v13
	s_or_b32 s15, s3, s15
	s_waitcnt lgkmcnt(0)
	v_sub_f32_e32 v14, v14, v11
	v_mul_f32_e32 v14, 0x3fb8aa3b, v14
	v_exp_f32_e32 v14, v14
	ds_write_b32 v12, v14
	v_add_f32_e32 v10, v10, v14
	v_add_nc_u32_e32 v12, 0x200, v12
	s_andn2_b32 exec_lo, exec_lo, s15
	s_cbranch_execnz .LBB127_26
; %bb.27:
	s_or_b32 exec_lo, exec_lo, s15
.LBB127_28:
	s_or_b32 exec_lo, exec_lo, s5
	ds_bpermute_b32 v2, v2, v10
	s_waitcnt lgkmcnt(0)
	v_add_f32_e32 v2, v10, v2
	ds_bpermute_b32 v6, v6, v2
	s_waitcnt lgkmcnt(0)
	v_add_f32_e32 v2, v2, v6
	;; [unrolled: 3-line block ×5, first 2 shown]
	s_and_saveexec_b32 s3, vcc_lo
; %bb.29:
	ds_write_b32 v8, v2 offset:144
; %bb.30:
	s_or_b32 exec_lo, exec_lo, s3
	s_waitcnt lgkmcnt(0)
	s_barrier
	buffer_gl0_inv
	s_and_saveexec_b32 s3, s1
; %bb.31:
	ds_read_b32 v2, v9 offset:144
; %bb.32:
	s_or_b32 exec_lo, exec_lo, s3
	s_waitcnt lgkmcnt(0)
	ds_bpermute_b32 v1, v1, v2
	s_waitcnt lgkmcnt(0)
	v_add_f32_e32 v1, v2, v1
	ds_bpermute_b32 v2, v32, v1
	s_waitcnt lgkmcnt(0)
	v_add_f32_e32 v1, v1, v2
	v_mov_b32_e32 v2, 0
	ds_bpermute_b32 v1, v2, v1
	s_and_saveexec_b32 s1, s2
	s_cbranch_execz .LBB127_35
; %bb.33:
	s_waitcnt lgkmcnt(0)
	v_add_f32_e32 v1, 0x358637bd, v1
	s_mov_b32 s2, 0
	v_div_scale_f32 v2, null, v1, v1, 1.0
	v_div_scale_f32 v8, vcc_lo, 1.0, v1, 1.0
	v_rcp_f32_e32 v6, v2
	v_fma_f32 v7, -v2, v6, 1.0
	v_fmac_f32_e32 v6, v7, v6
	v_mul_f32_e32 v7, v8, v6
	v_fma_f32 v9, -v2, v7, v8
	v_fmac_f32_e32 v7, v9, v6
	v_fma_f32 v2, -v2, v7, v8
	v_div_fmas_f32 v2, v2, v6, v7
	v_div_fixup_f32 v1, v2, v1, 1.0
	v_mov_b32_e32 v2, v0
.LBB127_34:                             ; =>This Inner Loop Header: Depth=1
	ds_read_b32 v6, v5
	v_add_nc_u32_e32 v2, 0x80, v2
	v_cmp_le_i32_e32 vcc_lo, s4, v2
	s_or_b32 s2, vcc_lo, s2
	s_waitcnt lgkmcnt(0)
	v_mul_f32_e32 v6, v1, v6
	ds_write_b32 v5, v6
	v_add_nc_u32_e32 v5, 0x200, v5
	s_andn2_b32 exec_lo, exec_lo, s2
	s_cbranch_execnz .LBB127_34
.LBB127_35:
	s_or_b32 exec_lo, exec_lo, s1
	v_mov_b32_e32 v36, 0
	v_mov_b32_e32 v35, 0
	;; [unrolled: 1-line block ×4, first 2 shown]
	s_waitcnt lgkmcnt(0)
	s_barrier
	buffer_gl0_inv
	s_and_saveexec_b32 s3, s0
	s_cbranch_execz .LBB127_49
; %bb.36:
	s_ashr_i32 s15, s14, 31
	s_sub_i32 s4, s28, s17
	s_lshl_b64 s[0:1], s[14:15], 1
	v_lshlrev_b32_e32 v2, 4, v0
	s_add_u32 s2, s26, s0
	s_addc_u32 s15, s27, s1
	s_abs_i32 s5, s18
	v_and_b32_e32 v37, 8, v3
	v_cvt_f32_u32_e32 v1, s5
	s_sub_i32 s0, 0, s5
	v_and_b32_e32 v3, 0x7c, v4
	v_lshlrev_b32_e32 v4, 5, v28
	v_and_b32_e32 v2, 0x1f0, v2
	v_rcp_iflag_f32_e32 v1, v1
	s_add_i32 s14, s16, -1
	v_mov_b32_e32 v38, 0
	v_lshl_or_b32 v4, v29, 6, v4
	v_add_co_u32 v39, s2, s2, v2
	v_mov_b32_e32 v33, 0
	v_mov_b32_e32 v34, 0
	;; [unrolled: 1-line block ×4, first 2 shown]
	v_mul_f32_e32 v1, 0x4f7ffffe, v1
	v_add_co_ci_u32_e64 v40, null, s15, 0, s2
	v_add_nc_u32_e32 v41, 0xa0, v4
	v_mov_b32_e32 v43, v29
	v_cvt_u32_f32_e32 v1, v1
	s_mov_b32 s17, s30
	s_mov_b32 s15, 0
	v_mul_lo_u32 v5, s0, v1
	s_lshl_b64 s[0:1], s[24:25], 2
	s_add_u32 s0, s22, s0
	s_addc_u32 s1, s23, s1
	v_add_co_u32 v25, s0, s0, v3
	v_add_co_ci_u32_e64 v26, null, s1, 0, s0
	v_mul_hi_u32 v5, v1, v5
	v_add_nc_u32_e32 v42, v1, v5
	s_branch .LBB127_39
.LBB127_37:                             ;   in Loop: Header=BB127_39 Depth=1
	s_or_b32 exec_lo, exec_lo, s2
	s_waitcnt lgkmcnt(1)
	v_bfe_u32 v44, v17, 16, 1
	v_bfe_u32 v45, v18, 16, 1
	v_or_b32_e32 v46, 0x400000, v17
	v_cmp_u_f32_e32 vcc_lo, v17, v17
	v_or_b32_e32 v47, 0x400000, v18
	v_add3_u32 v44, v44, v17, 0x7fff
	v_bfe_u32 v48, v19, 16, 1
	v_add3_u32 v45, v45, v18, 0x7fff
	v_bfe_u32 v49, v20, 16, 1
	s_waitcnt vmcnt(1)
	v_and_b32_e32 v51, 0xffff0000, v24
	v_cndmask_b32_e32 v17, v44, v46, vcc_lo
	v_cmp_u_f32_e32 vcc_lo, v18, v18
	v_add3_u32 v44, v48, v19, 0x7fff
	v_add3_u32 v46, v49, v20, 0x7fff
	s_waitcnt lgkmcnt(0)
	v_bfe_u32 v48, v13, 16, 1
	v_and_b32_e32 v17, 0xffff0000, v17
	v_cndmask_b32_e32 v18, v45, v47, vcc_lo
	v_or_b32_e32 v45, 0x400000, v19
	v_cmp_u_f32_e32 vcc_lo, v19, v19
	v_or_b32_e32 v47, 0x400000, v20
	v_lshlrev_b32_e32 v24, 16, v24
	v_cndmask_b32_e32 v19, v44, v45, vcc_lo
	v_cmp_u_f32_e32 vcc_lo, v20, v20
	v_bfe_u32 v44, v14, 16, 1
	v_add3_u32 v45, v48, v13, 0x7fff
	v_bfe_u32 v48, v15, 16, 1
	v_cndmask_b32_e32 v20, v46, v47, vcc_lo
	v_or_b32_e32 v46, 0x400000, v13
	v_cmp_u_f32_e32 vcc_lo, v13, v13
	v_add3_u32 v44, v44, v14, 0x7fff
	v_or_b32_e32 v47, 0x400000, v14
	v_and_b32_e32 v13, 0xffff0000, v18
	v_and_b32_e32 v18, 0xffff0000, v21
	v_cndmask_b32_e32 v45, v45, v46, vcc_lo
	v_cmp_u_f32_e32 vcc_lo, v14, v14
	v_add3_u32 v14, v48, v15, 0x7fff
	v_bfe_u32 v46, v16, 16, 1
	v_lshlrev_b32_e32 v21, 16, v21
	v_mul_f32_e32 v18, v13, v18
	v_cndmask_b32_e32 v44, v44, v47, vcc_lo
	v_or_b32_e32 v47, 0x400000, v15
	v_cmp_u_f32_e32 vcc_lo, v15, v15
	v_add3_u32 v46, v46, v16, 0x7fff
	v_or_b32_e32 v48, 0x400000, v16
	v_mul_f32_e32 v21, v17, v21
	v_bfe_u32 v15, v18, 16, 1
	v_cndmask_b32_e32 v47, v14, v47, vcc_lo
	v_cmp_u_f32_e32 vcc_lo, v16, v16
	v_and_b32_e32 v14, 0xffff0000, v20
	v_and_b32_e32 v20, 0xffff0000, v22
	v_add3_u32 v15, v15, v18, 0x7fff
	v_or_b32_e32 v49, 0x400000, v21
	v_cndmask_b32_e32 v16, v46, v48, vcc_lo
	v_bfe_u32 v46, v21, 16, 1
	v_or_b32_e32 v48, 0x400000, v18
	v_cmp_u_f32_e32 vcc_lo, v18, v18
	v_mul_f32_e32 v50, v14, v20
	v_and_b32_e32 v20, 0xffff0000, v19
	v_add3_u32 v46, v46, v21, 0x7fff
	v_lshlrev_b32_e32 v19, 16, v22
	v_cndmask_b32_e32 v22, v15, v48, vcc_lo
	v_cmp_u_f32_e32 vcc_lo, v21, v21
	v_and_b32_e32 v15, 0xffff0000, v44
	v_and_b32_e32 v44, 0xffff0000, v23
	v_mul_f32_e32 v19, v20, v19
	v_and_b32_e32 v18, 0xffff0000, v45
	v_cndmask_b32_e32 v21, v46, v49, vcc_lo
	v_bfe_u32 v46, v50, 16, 1
	v_lshlrev_b32_e32 v23, 16, v23
	v_bfe_u32 v48, v19, 16, 1
	v_mul_f32_e32 v44, v15, v44
	v_cmp_u_f32_e32 vcc_lo, v50, v50
	v_add3_u32 v45, v46, v50, 0x7fff
	v_or_b32_e32 v46, 0x400000, v50
	v_mul_f32_e32 v23, v18, v23
	v_bfe_u32 v49, v44, 16, 1
	v_and_b32_e32 v16, 0xffff0000, v16
	v_and_b32_e32 v21, 0xffff0000, v21
	v_cndmask_b32_e32 v45, v45, v46, vcc_lo
	v_add3_u32 v46, v48, v19, 0x7fff
	v_or_b32_e32 v48, 0x400000, v19
	v_cmp_u_f32_e32 vcc_lo, v19, v19
	v_bfe_u32 v50, v23, 16, 1
	v_mul_f32_e32 v51, v16, v51
	v_and_b32_e32 v19, 0xffff0000, v47
	v_or_b32_e32 v47, 0x400000, v23
	v_cndmask_b32_e32 v46, v46, v48, vcc_lo
	v_add3_u32 v48, v49, v44, 0x7fff
	v_or_b32_e32 v49, 0x400000, v44
	v_cmp_u_f32_e32 vcc_lo, v44, v44
	v_add3_u32 v50, v50, v23, 0x7fff
	v_bfe_u32 v52, v51, 16, 1
	v_mul_f32_e32 v24, v19, v24
	v_and_b32_e32 v22, 0xffff0000, v22
	v_cndmask_b32_e32 v44, v48, v49, vcc_lo
	v_cmp_u_f32_e32 vcc_lo, v23, v23
	v_or_b32_e32 v48, 0x400000, v51
	v_bfe_u32 v49, v24, 16, 1
	v_and_b32_e32 v46, 0xffff0000, v46
	v_and_b32_e32 v45, 0xffff0000, v45
	v_cndmask_b32_e32 v23, v50, v47, vcc_lo
	v_add3_u32 v47, v52, v51, 0x7fff
	v_cmp_u_f32_e32 vcc_lo, v51, v51
	v_add_f32_e32 v21, v21, v22
	v_add_f32_e32 v22, v46, v45
	v_and_b32_e32 v23, 0xffff0000, v23
	v_and_b32_e32 v44, 0xffff0000, v44
	v_cndmask_b32_e32 v47, v47, v48, vcc_lo
	v_add3_u32 v48, v49, v24, 0x7fff
	v_or_b32_e32 v49, 0x400000, v24
	v_and_b32_e32 v45, 0xffff0000, v9
	v_cmp_u_f32_e32 vcc_lo, v24, v24
	v_lshlrev_b32_e32 v9, 16, v9
	v_add_f32_e32 v21, v22, v21
	v_add_f32_e32 v22, v23, v44
	v_mul_f32_e32 v23, v13, v45
	v_cndmask_b32_e32 v24, v48, v49, vcc_lo
	v_mul_f32_e32 v44, v17, v9
	v_and_b32_e32 v45, 0xffff0000, v47
	v_and_b32_e32 v46, 0xffff0000, v10
	v_bfe_u32 v47, v23, 16, 1
	v_and_b32_e32 v24, 0xffff0000, v24
	v_add_f32_e32 v9, v22, v21
	v_bfe_u32 v22, v44, 16, 1
	v_cmp_u_f32_e32 vcc_lo, v23, v23
	v_lshlrev_b32_e32 v10, 16, v10
	v_add_f32_e32 v21, v24, v45
	v_mul_f32_e32 v24, v14, v46
	v_add3_u32 v45, v47, v23, 0x7fff
	v_or_b32_e32 v46, 0x400000, v23
	v_add3_u32 v22, v22, v44, 0x7fff
	v_or_b32_e32 v47, 0x400000, v44
	v_bfe_u32 v48, v24, 16, 1
	v_mul_f32_e32 v10, v20, v10
	v_cndmask_b32_e32 v23, v45, v46, vcc_lo
	v_cmp_u_f32_e32 vcc_lo, v44, v44
	v_or_b32_e32 v45, 0x400000, v24
	v_add3_u32 v44, v48, v24, 0x7fff
	v_and_b32_e32 v46, 0xffff0000, v11
	v_lshlrev_b32_e32 v11, 16, v11
	v_cndmask_b32_e32 v22, v22, v47, vcc_lo
	v_cmp_u_f32_e32 vcc_lo, v24, v24
	v_bfe_u32 v47, v10, 16, 1
	v_and_b32_e32 v23, 0xffff0000, v23
	v_mul_f32_e32 v11, v18, v11
	v_and_b32_e32 v22, 0xffff0000, v22
	v_cndmask_b32_e32 v24, v44, v45, vcc_lo
	v_mul_f32_e32 v44, v15, v46
	v_add3_u32 v45, v47, v10, 0x7fff
	v_or_b32_e32 v46, 0x400000, v10
	v_and_b32_e32 v47, 0xffff0000, v12
	v_cmp_u_f32_e32 vcc_lo, v10, v10
	v_bfe_u32 v48, v44, 16, 1
	v_bfe_u32 v49, v11, 16, 1
	v_lshlrev_b32_e32 v12, 16, v12
	v_and_b32_e32 v24, 0xffff0000, v24
	v_cndmask_b32_e32 v10, v45, v46, vcc_lo
	v_mul_f32_e32 v45, v16, v47
	v_add3_u32 v46, v48, v44, 0x7fff
	v_or_b32_e32 v47, 0x400000, v44
	v_cmp_u_f32_e32 vcc_lo, v44, v44
	v_add3_u32 v48, v49, v11, 0x7fff
	v_or_b32_e32 v49, 0x400000, v11
	v_bfe_u32 v50, v45, 16, 1
	v_and_b32_e32 v10, 0xffff0000, v10
	v_cndmask_b32_e32 v44, v46, v47, vcc_lo
	v_cmp_u_f32_e32 vcc_lo, v11, v11
	v_or_b32_e32 v47, 0x400000, v45
	v_add3_u32 v46, v50, v45, 0x7fff
	v_mul_f32_e32 v12, v19, v12
	v_add_f32_e32 v22, v22, v23
	v_cndmask_b32_e32 v11, v48, v49, vcc_lo
	v_cmp_u_f32_e32 vcc_lo, v45, v45
	v_add_f32_e32 v10, v10, v24
	v_and_b32_e32 v23, 0xffff0000, v1
	v_and_b32_e32 v24, 0xffff0000, v44
	;; [unrolled: 1-line block ×3, first 2 shown]
	v_cndmask_b32_e32 v45, v46, v47, vcc_lo
	v_bfe_u32 v46, v12, 16, 1
	v_add_f32_e32 v10, v10, v22
	v_mul_f32_e32 v22, v13, v23
	v_add_f32_e32 v11, v11, v24
	v_lshlrev_b32_e32 v1, 16, v1
	v_add3_u32 v44, v46, v12, 0x7fff
	v_or_b32_e32 v46, 0x400000, v12
	v_cmp_u_f32_e32 vcc_lo, v12, v12
	v_bfe_u32 v23, v22, 16, 1
	v_add_f32_e32 v10, v11, v10
	v_and_b32_e32 v11, 0xffff0000, v2
	v_mul_f32_e32 v1, v17, v1
	v_cndmask_b32_e32 v12, v44, v46, vcc_lo
	v_add3_u32 v23, v23, v22, 0x7fff
	v_or_b32_e32 v24, 0x400000, v22
	v_mul_f32_e32 v11, v14, v11
	v_and_b32_e32 v44, 0xffff0000, v45
	v_bfe_u32 v45, v1, 16, 1
	v_cmp_u_f32_e32 vcc_lo, v22, v22
	v_lshlrev_b32_e32 v2, 16, v2
	v_or_b32_e32 v46, 0x400000, v1
	v_or_b32_e32 v47, 0x400000, v11
	v_and_b32_e32 v12, 0xffff0000, v12
	v_cndmask_b32_e32 v22, v23, v24, vcc_lo
	v_bfe_u32 v23, v11, 16, 1
	v_add3_u32 v24, v45, v1, 0x7fff
	v_and_b32_e32 v45, 0xffff0000, v3
	v_mul_f32_e32 v2, v20, v2
	v_cmp_u_f32_e32 vcc_lo, v1, v1
	v_add3_u32 v23, v23, v11, 0x7fff
	v_lshlrev_b32_e32 v3, 16, v3
	v_mul_f32_e32 v45, v15, v45
	v_and_b32_e32 v22, 0xffff0000, v22
	v_cndmask_b32_e32 v1, v24, v46, vcc_lo
	v_bfe_u32 v24, v2, 16, 1
	v_cmp_u_f32_e32 vcc_lo, v11, v11
	v_and_b32_e32 v46, 0xffff0000, v4
	v_mul_f32_e32 v3, v18, v3
	v_or_b32_e32 v48, 0x400000, v45
	v_add3_u32 v24, v24, v2, 0x7fff
	v_cndmask_b32_e32 v11, v23, v47, vcc_lo
	v_bfe_u32 v23, v45, 16, 1
	v_or_b32_e32 v47, 0x400000, v2
	v_cmp_u_f32_e32 vcc_lo, v2, v2
	v_mul_f32_e32 v46, v16, v46
	v_lshlrev_b32_e32 v4, 16, v4
	v_add3_u32 v23, v23, v45, 0x7fff
	v_and_b32_e32 v1, 0xffff0000, v1
	v_cndmask_b32_e32 v2, v24, v47, vcc_lo
	v_bfe_u32 v24, v3, 16, 1
	v_cmp_u_f32_e32 vcc_lo, v45, v45
	v_bfe_u32 v47, v46, 16, 1
	v_or_b32_e32 v45, 0x400000, v3
	v_mul_f32_e32 v4, v19, v4
	v_add3_u32 v24, v24, v3, 0x7fff
	v_cndmask_b32_e32 v23, v23, v48, vcc_lo
	v_cmp_u_f32_e32 vcc_lo, v3, v3
	v_add3_u32 v47, v47, v46, 0x7fff
	v_or_b32_e32 v48, 0x400000, v46
	v_and_b32_e32 v2, 0xffff0000, v2
	v_and_b32_e32 v11, 0xffff0000, v11
	v_cndmask_b32_e32 v3, v24, v45, vcc_lo
	v_cmp_u_f32_e32 vcc_lo, v46, v46
	v_bfe_u32 v45, v4, 16, 1
	v_add_f32_e32 v1, v1, v22
	v_add_f32_e32 v2, v2, v11
	v_and_b32_e32 v3, 0xffff0000, v3
	v_cndmask_b32_e32 v24, v47, v48, vcc_lo
	s_waitcnt vmcnt(0)
	v_lshlrev_b32_e32 v47, 16, v5
	v_and_b32_e32 v11, 0xffff0000, v23
	v_and_b32_e32 v5, 0xffff0000, v5
	v_add3_u32 v45, v45, v4, 0x7fff
	v_or_b32_e32 v46, 0x400000, v4
	v_mul_f32_e32 v17, v17, v47
	v_cmp_u_f32_e32 vcc_lo, v4, v4
	v_add_f32_e32 v1, v2, v1
	v_add_f32_e32 v3, v3, v11
	v_mul_f32_e32 v5, v13, v5
	v_bfe_u32 v2, v17, 16, 1
	v_lshlrev_b32_e32 v11, 16, v6
	v_cndmask_b32_e32 v4, v45, v46, vcc_lo
	v_or_b32_e32 v13, 0x400000, v17
	v_bfe_u32 v22, v5, 16, 1
	v_add3_u32 v2, v2, v17, 0x7fff
	v_mul_f32_e32 v11, v20, v11
	v_and_b32_e32 v6, 0xffff0000, v6
	v_cmp_u_f32_e32 vcc_lo, v17, v17
	v_or_b32_e32 v17, 0x400000, v5
	v_and_b32_e32 v4, 0xffff0000, v4
	v_bfe_u32 v20, v11, 16, 1
	v_mul_f32_e32 v6, v14, v6
	v_cndmask_b32_e32 v2, v2, v13, vcc_lo
	v_add3_u32 v13, v22, v5, 0x7fff
	v_lshlrev_b32_e32 v14, 16, v7
	v_cmp_u_f32_e32 vcc_lo, v5, v5
	v_and_b32_e32 v7, 0xffff0000, v7
	v_and_b32_e32 v2, 0xffff0000, v2
	v_add_f32_e32 v1, v3, v1
	v_mul_f32_e32 v14, v18, v14
	v_cndmask_b32_e32 v5, v13, v17, vcc_lo
	v_add3_u32 v13, v20, v11, 0x7fff
	v_or_b32_e32 v17, 0x400000, v11
	v_bfe_u32 v20, v6, 16, 1
	v_cmp_u_f32_e32 vcc_lo, v11, v11
	v_bfe_u32 v18, v14, 16, 1
	v_mul_f32_e32 v7, v15, v7
	v_lshlrev_b32_e32 v15, 16, v8
	v_and_b32_e32 v8, 0xffff0000, v8
	v_cndmask_b32_e32 v11, v13, v17, vcc_lo
	v_add3_u32 v13, v20, v6, 0x7fff
	v_or_b32_e32 v17, 0x400000, v6
	v_cmp_u_f32_e32 vcc_lo, v6, v6
	v_mul_f32_e32 v8, v16, v8
	v_or_b32_e32 v16, 0x400000, v14
	v_mul_f32_e32 v15, v19, v15
	v_and_b32_e32 v5, 0xffff0000, v5
	v_cndmask_b32_e32 v6, v13, v17, vcc_lo
	v_bfe_u32 v13, v7, 16, 1
	v_add3_u32 v17, v18, v14, 0x7fff
	v_cmp_u_f32_e32 vcc_lo, v14, v14
	v_or_b32_e32 v18, 0x400000, v7
	v_bfe_u32 v20, v8, 16, 1
	v_add3_u32 v13, v13, v7, 0x7fff
	v_bfe_u32 v19, v15, 16, 1
	v_cndmask_b32_e32 v14, v17, v16, vcc_lo
	v_cmp_u_f32_e32 vcc_lo, v7, v7
	v_add3_u32 v16, v20, v8, 0x7fff
	v_or_b32_e32 v17, 0x400000, v8
	v_and_b32_e32 v6, 0xffff0000, v6
	v_and_b32_e32 v11, 0xffff0000, v11
	v_cndmask_b32_e32 v7, v13, v18, vcc_lo
	v_cmp_u_f32_e32 vcc_lo, v8, v8
	v_add3_u32 v13, v19, v15, 0x7fff
	v_or_b32_e32 v18, 0x400000, v15
	v_add_f32_e32 v2, v2, v5
	v_add_f32_e32 v5, v11, v6
	v_cndmask_b32_e32 v8, v16, v17, vcc_lo
	v_cmp_u_f32_e32 vcc_lo, v15, v15
	v_and_b32_e32 v6, 0xffff0000, v7
	v_and_b32_e32 v7, 0xffff0000, v14
	v_add_f32_e32 v2, v5, v2
	v_cndmask_b32_e32 v11, v13, v18, vcc_lo
	v_and_b32_e32 v13, 0xffff0000, v24
	v_add_f32_e32 v5, v7, v6
	v_and_b32_e32 v6, 0xffff0000, v8
	v_add_f32_e32 v8, v12, v44
	;; [unrolled: 2-line block ×3, first 2 shown]
	v_add_f32_e32 v2, v5, v2
	v_add_f32_e32 v5, v21, v9
	;; [unrolled: 1-line block ×10, first 2 shown]
.LBB127_38:                             ;   in Loop: Header=BB127_39 Depth=1
	s_or_b32 exec_lo, exec_lo, s18
	v_add_nc_u32_e32 v43, 4, v43
	v_add_co_u32 v25, s0, v25, 16
	v_add_co_ci_u32_e64 v26, null, 0, v26, s0
	v_cmp_le_i32_e32 vcc_lo, s16, v43
	v_add_nc_u32_e32 v30, 64, v30
	v_add_nc_u32_e32 v41, 0x100, v41
	s_or_b32 s15, vcc_lo, s15
	s_andn2_b32 exec_lo, exec_lo, s15
	s_cbranch_execz .LBB127_48
.LBB127_39:                             ; =>This Inner Loop Header: Depth=1
	v_mul_hi_u32 v1, v30, s21
	v_mul_lo_u32 v2, v1, s12
	v_add_nc_u32_e32 v3, 1, v1
	v_sub_nc_u32_e32 v2, v30, v2
	v_subrev_nc_u32_e32 v4, s12, v2
	v_cmp_le_u32_e32 vcc_lo, s12, v2
	v_cndmask_b32_e32 v1, v1, v3, vcc_lo
	v_cndmask_b32_e32 v2, v2, v4, vcc_lo
	v_add_nc_u32_e32 v3, 1, v1
	v_cmp_le_u32_e32 vcc_lo, s12, v2
	v_cndmask_b32_e32 v1, v1, v3, vcc_lo
	v_xor_b32_e32 v1, s19, v1
	v_subrev_nc_u32_e32 v1, s19, v1
	v_add_nc_u32_e32 v2, s31, v1
	v_cmp_lt_i32_e64 s0, s4, v1
	v_sub_nc_u32_e32 v3, 0, v2
	v_max_i32_e32 v3, v2, v3
	v_ashrrev_i32_e32 v2, 31, v2
	v_mul_hi_u32 v4, v3, v42
	v_mul_lo_u32 v4, v4, s5
	v_sub_nc_u32_e32 v3, v3, v4
	v_subrev_nc_u32_e32 v4, s5, v3
	v_cmp_le_u32_e32 vcc_lo, s5, v3
	v_cndmask_b32_e32 v3, v3, v4, vcc_lo
	v_subrev_nc_u32_e32 v4, s5, v3
	v_cmp_le_u32_e32 vcc_lo, s5, v3
	v_cndmask_b32_e32 v3, v3, v4, vcc_lo
	v_xor_b32_e32 v3, v3, v2
	v_sub_nc_u32_e32 v2, v3, v2
	v_cmp_eq_u32_e32 vcc_lo, 0, v2
	s_or_b32 s0, vcc_lo, s0
	s_and_saveexec_b32 s18, s0
	s_cbranch_execz .LBB127_38
; %bb.40:                               ;   in Loop: Header=BB127_39 Depth=1
	global_load_dword v1, v[25:26], off
	v_add_nc_u32_e32 v48, v37, v30
	v_cmp_eq_u32_e64 s0, s14, v43
	v_add_nc_u32_e32 v51, 1, v48
	v_or_b32_e32 v49, 3, v48
	v_or_b32_e32 v50, 2, v48
	;; [unrolled: 1-line block ×6, first 2 shown]
	s_waitcnt vmcnt(0)
	v_mad_i64_i32 v[1:2], null, v1, s13, 0
	v_lshlrev_b64 v[1:2], 1, v[1:2]
	v_add_co_u32 v5, vcc_lo, v39, v1
	v_add_co_ci_u32_e64 v6, null, v40, v2, vcc_lo
	global_load_dwordx4 v[1:4], v[5:6], off
	ds_read2_b64 v[17:20], v41 offset1:1
	ds_read2_b64 v[13:16], v41 offset0:2 offset1:3
	s_and_saveexec_b32 s22, s0
	s_cbranch_execnz .LBB127_44
; %bb.41:                               ;   in Loop: Header=BB127_39 Depth=1
	s_or_b32 exec_lo, exec_lo, s22
	global_load_dwordx4 v[9:12], v[5:6], off offset:512
	s_and_saveexec_b32 s22, s0
	s_cbranch_execnz .LBB127_45
.LBB127_42:                             ;   in Loop: Header=BB127_39 Depth=1
	s_or_b32 exec_lo, exec_lo, s22
	global_load_dwordx4 v[21:24], v[5:6], off offset:1024
	s_and_saveexec_b32 s22, s0
	s_cbranch_execnz .LBB127_46
.LBB127_43:                             ;   in Loop: Header=BB127_39 Depth=1
	s_or_b32 exec_lo, exec_lo, s22
	global_load_dwordx4 v[5:8], v[5:6], off offset:1536
	s_and_saveexec_b32 s2, s0
	s_cbranch_execz .LBB127_37
	s_branch .LBB127_47
.LBB127_44:                             ;   in Loop: Header=BB127_39 Depth=1
	v_cmp_gt_i32_e64 s1, s30, v48
	v_cmp_gt_i32_e32 vcc_lo, s17, v51
	v_cmp_gt_i32_e64 s2, s30, v50
	s_waitcnt vmcnt(0)
	v_cndmask_b32_e64 v7, 0, v1, s1
	v_cmp_gt_i32_e64 s1, s17, v49
	v_cndmask_b32_sdwa v1, v38, v1, vcc_lo dst_sel:DWORD dst_unused:UNUSED_PAD src0_sel:DWORD src1_sel:WORD_1
	v_cndmask_b32_e64 v8, 0, v2, s2
	v_cmp_gt_i32_e64 s2, s17, v47
	s_mov_b32 vcc_lo, s1
	v_cmp_gt_i32_e64 s1, s17, v45
	v_cndmask_b32_sdwa v2, v38, v2, vcc_lo dst_sel:DWORD dst_unused:UNUSED_PAD src0_sel:DWORD src1_sel:WORD_1
	v_cmp_gt_i32_e32 vcc_lo, s30, v46
	v_perm_b32 v1, v1, v7, 0x5040100
	v_perm_b32 v2, v2, v8, 0x5040100
	v_cndmask_b32_e32 v9, 0, v3, vcc_lo
	s_mov_b32 vcc_lo, s2
	v_cndmask_b32_sdwa v3, v38, v3, vcc_lo dst_sel:DWORD dst_unused:UNUSED_PAD src0_sel:DWORD src1_sel:WORD_1
	v_cmp_gt_i32_e32 vcc_lo, s30, v44
	v_perm_b32 v3, v3, v9, 0x5040100
	v_cndmask_b32_e32 v10, 0, v4, vcc_lo
	s_mov_b32 vcc_lo, s1
	v_cndmask_b32_sdwa v4, v38, v4, vcc_lo dst_sel:DWORD dst_unused:UNUSED_PAD src0_sel:DWORD src1_sel:WORD_1
	v_perm_b32 v4, v4, v10, 0x5040100
	s_or_b32 exec_lo, exec_lo, s22
	global_load_dwordx4 v[9:12], v[5:6], off offset:512
	s_and_saveexec_b32 s22, s0
	s_cbranch_execz .LBB127_42
.LBB127_45:                             ;   in Loop: Header=BB127_39 Depth=1
	v_cmp_gt_i32_e64 s1, s30, v48
	v_cmp_gt_i32_e32 vcc_lo, s17, v51
	v_cmp_gt_i32_e64 s2, s30, v50
	s_waitcnt vmcnt(0)
	v_cndmask_b32_e64 v7, 0, v9, s1
	v_cmp_gt_i32_e64 s1, s17, v49
	v_cndmask_b32_sdwa v9, v38, v9, vcc_lo dst_sel:DWORD dst_unused:UNUSED_PAD src0_sel:DWORD src1_sel:WORD_1
	v_cndmask_b32_e64 v8, 0, v10, s2
	v_cmp_gt_i32_e64 s2, s17, v47
	s_mov_b32 vcc_lo, s1
	v_cmp_gt_i32_e64 s1, s17, v45
	v_cndmask_b32_sdwa v10, v38, v10, vcc_lo dst_sel:DWORD dst_unused:UNUSED_PAD src0_sel:DWORD src1_sel:WORD_1
	v_cmp_gt_i32_e32 vcc_lo, s30, v46
	v_perm_b32 v9, v9, v7, 0x5040100
	v_perm_b32 v10, v10, v8, 0x5040100
	v_cndmask_b32_e32 v21, 0, v11, vcc_lo
	s_mov_b32 vcc_lo, s2
	v_cndmask_b32_sdwa v11, v38, v11, vcc_lo dst_sel:DWORD dst_unused:UNUSED_PAD src0_sel:DWORD src1_sel:WORD_1
	v_cmp_gt_i32_e32 vcc_lo, s30, v44
	v_perm_b32 v11, v11, v21, 0x5040100
	v_cndmask_b32_e32 v22, 0, v12, vcc_lo
	s_mov_b32 vcc_lo, s1
	v_cndmask_b32_sdwa v12, v38, v12, vcc_lo dst_sel:DWORD dst_unused:UNUSED_PAD src0_sel:DWORD src1_sel:WORD_1
	v_perm_b32 v12, v12, v22, 0x5040100
	s_or_b32 exec_lo, exec_lo, s22
	global_load_dwordx4 v[21:24], v[5:6], off offset:1024
	s_and_saveexec_b32 s22, s0
	s_cbranch_execz .LBB127_43
.LBB127_46:                             ;   in Loop: Header=BB127_39 Depth=1
	v_cmp_gt_i32_e64 s1, s30, v48
	v_cmp_gt_i32_e32 vcc_lo, s17, v51
	v_cmp_gt_i32_e64 s2, s30, v50
	s_waitcnt vmcnt(0)
	v_cndmask_b32_e64 v7, 0, v21, s1
	v_cmp_gt_i32_e64 s1, s17, v49
	v_cndmask_b32_sdwa v21, v38, v21, vcc_lo dst_sel:DWORD dst_unused:UNUSED_PAD src0_sel:DWORD src1_sel:WORD_1
	v_cndmask_b32_e64 v8, 0, v22, s2
	v_cmp_gt_i32_e64 s2, s17, v47
	s_mov_b32 vcc_lo, s1
	v_cmp_gt_i32_e64 s1, s17, v45
	v_cndmask_b32_sdwa v22, v38, v22, vcc_lo dst_sel:DWORD dst_unused:UNUSED_PAD src0_sel:DWORD src1_sel:WORD_1
	v_cmp_gt_i32_e32 vcc_lo, s30, v46
	v_perm_b32 v21, v21, v7, 0x5040100
	v_perm_b32 v22, v22, v8, 0x5040100
	v_cndmask_b32_e32 v52, 0, v23, vcc_lo
	s_mov_b32 vcc_lo, s2
	v_cndmask_b32_sdwa v23, v38, v23, vcc_lo dst_sel:DWORD dst_unused:UNUSED_PAD src0_sel:DWORD src1_sel:WORD_1
	v_cmp_gt_i32_e32 vcc_lo, s30, v44
	v_perm_b32 v23, v23, v52, 0x5040100
	v_cndmask_b32_e32 v53, 0, v24, vcc_lo
	s_mov_b32 vcc_lo, s1
	v_cndmask_b32_sdwa v24, v38, v24, vcc_lo dst_sel:DWORD dst_unused:UNUSED_PAD src0_sel:DWORD src1_sel:WORD_1
	v_perm_b32 v24, v24, v53, 0x5040100
	s_or_b32 exec_lo, exec_lo, s22
	global_load_dwordx4 v[5:8], v[5:6], off offset:1536
	s_and_saveexec_b32 s2, s0
	s_cbranch_execz .LBB127_37
.LBB127_47:                             ;   in Loop: Header=BB127_39 Depth=1
	v_cmp_gt_i32_e64 s0, s30, v48
	v_cmp_gt_i32_e32 vcc_lo, s17, v51
	v_cmp_gt_i32_e64 s1, s30, v50
	s_waitcnt vmcnt(0)
	v_cndmask_b32_e64 v48, 0, v5, s0
	v_cmp_gt_i32_e64 s0, s17, v49
	v_cndmask_b32_sdwa v5, v38, v5, vcc_lo dst_sel:DWORD dst_unused:UNUSED_PAD src0_sel:DWORD src1_sel:WORD_1
	v_cndmask_b32_e64 v49, 0, v6, s1
	v_cmp_gt_i32_e64 s1, s17, v47
	s_mov_b32 vcc_lo, s0
	v_cmp_gt_i32_e64 s0, s17, v45
	v_cndmask_b32_sdwa v6, v38, v6, vcc_lo dst_sel:DWORD dst_unused:UNUSED_PAD src0_sel:DWORD src1_sel:WORD_1
	v_cmp_gt_i32_e32 vcc_lo, s30, v46
	v_perm_b32 v5, v5, v48, 0x5040100
	v_perm_b32 v6, v6, v49, 0x5040100
	v_cndmask_b32_e32 v46, 0, v7, vcc_lo
	s_mov_b32 vcc_lo, s1
	v_cndmask_b32_sdwa v7, v38, v7, vcc_lo dst_sel:DWORD dst_unused:UNUSED_PAD src0_sel:DWORD src1_sel:WORD_1
	v_cmp_gt_i32_e32 vcc_lo, s30, v44
	v_perm_b32 v7, v7, v46, 0x5040100
	v_cndmask_b32_e32 v44, 0, v8, vcc_lo
	s_mov_b32 vcc_lo, s0
	v_cndmask_b32_sdwa v8, v38, v8, vcc_lo dst_sel:DWORD dst_unused:UNUSED_PAD src0_sel:DWORD src1_sel:WORD_1
	v_perm_b32 v8, v8, v44, 0x5040100
	s_branch .LBB127_37
.LBB127_48:
	s_or_b32 exec_lo, exec_lo, s15
.LBB127_49:
	s_or_b32 exec_lo, exec_lo, s3
	ds_bpermute_b32 v1, v32, v36
	ds_bpermute_b32 v2, v32, v35
	;; [unrolled: 1-line block ×4, first 2 shown]
	v_lshrrev_b32_e32 v5, 1, v31
	v_lshlrev_b32_e32 v7, 8, v29
	v_and_b32_e32 v10, 0x3c1, v0
	s_mov_b32 s0, exec_lo
	s_waitcnt lgkmcnt(0)
	v_lshl_add_u32 v6, v5, 2, 0xa0
	s_barrier
	buffer_gl0_inv
	v_add_f32_e32 v4, v36, v1
	v_add_f32_e32 v3, v35, v2
	;; [unrolled: 1-line block ×4, first 2 shown]
	v_cmpx_eq_u32_e32 64, v10
	s_cbranch_execz .LBB127_51
; %bb.50:
	v_add_nc_u32_e32 v8, v6, v7
	v_add_nc_u32_e32 v9, 0xfffffe00, v8
	;; [unrolled: 1-line block ×5, first 2 shown]
	ds_write_b32 v9, v4
	ds_write_b32 v10, v3
	;; [unrolled: 1-line block ×4, first 2 shown]
.LBB127_51:
	s_or_b32 exec_lo, exec_lo, s0
	v_lshlrev_b32_e32 v5, 2, v5
	s_mov_b32 s1, exec_lo
	v_cmp_eq_u32_e32 vcc_lo, 0, v28
	s_waitcnt lgkmcnt(0)
	s_barrier
	v_add3_u32 v5, 0xa0, v7, v5
	buffer_gl0_inv
	v_cmpx_gt_u32_e32 64, v0
	s_cbranch_execz .LBB127_58
; %bb.52:
	s_and_saveexec_b32 s0, vcc_lo
	s_cbranch_execnz .LBB127_70
; %bb.53:
	s_or_b32 exec_lo, exec_lo, s0
	s_and_saveexec_b32 s0, vcc_lo
	s_cbranch_execnz .LBB127_71
.LBB127_54:
	s_or_b32 exec_lo, exec_lo, s0
	s_and_saveexec_b32 s0, vcc_lo
	s_cbranch_execnz .LBB127_72
.LBB127_55:
	s_or_b32 exec_lo, exec_lo, s0
	s_and_saveexec_b32 s0, vcc_lo
	s_cbranch_execz .LBB127_57
.LBB127_56:
	ds_read_b32 v7, v5 offset:192
	s_waitcnt lgkmcnt(0)
	v_add_f32_e32 v1, v1, v7
.LBB127_57:
	s_or_b32 exec_lo, exec_lo, s0
.LBB127_58:
	s_or_b32 exec_lo, exec_lo, s1
	v_and_b32_e32 v7, 0x3e1, v0
	s_mov_b32 s1, exec_lo
	s_barrier
	buffer_gl0_inv
	v_cmpx_eq_u32_e32 32, v7
	s_cbranch_execz .LBB127_60
; %bb.59:
	ds_write2_b32 v6, v4, v3 offset1:16
	ds_write2_b32 v6, v2, v1 offset0:32 offset1:48
.LBB127_60:
	s_or_b32 exec_lo, exec_lo, s1
	s_mov_b32 s1, exec_lo
	s_waitcnt lgkmcnt(0)
	s_barrier
	buffer_gl0_inv
	v_cmpx_gt_u32_e32 32, v0
	s_cbranch_execz .LBB127_67
; %bb.61:
	s_and_saveexec_b32 s0, vcc_lo
	s_cbranch_execnz .LBB127_73
; %bb.62:
	s_or_b32 exec_lo, exec_lo, s0
	s_and_saveexec_b32 s0, vcc_lo
	s_cbranch_execnz .LBB127_74
.LBB127_63:
	s_or_b32 exec_lo, exec_lo, s0
	s_and_saveexec_b32 s0, vcc_lo
	s_cbranch_execnz .LBB127_75
.LBB127_64:
	s_or_b32 exec_lo, exec_lo, s0
	s_and_saveexec_b32 s0, vcc_lo
	s_cbranch_execz .LBB127_66
.LBB127_65:
	ds_read_b32 v0, v5 offset:192
	s_waitcnt lgkmcnt(0)
	v_add_f32_e32 v1, v1, v0
.LBB127_66:
	s_or_b32 exec_lo, exec_lo, s0
.LBB127_67:
	s_or_b32 exec_lo, exec_lo, s1
	s_barrier
	buffer_gl0_inv
	s_mov_b32 s0, exec_lo
	v_cmpx_eq_u32_e32 0, v7
	s_cbranch_execz .LBB127_69
; %bb.68:
	v_bfe_u32 v5, v4, 16, 1
	s_mul_i32 s0, s10, s11
	v_or_b32_e32 v6, 0x400000, v4
	s_mul_i32 s0, s0, s9
	v_bfe_u32 v7, v3, 16, 1
	v_add3_u32 v5, v5, v4, 0x7fff
	v_cmp_u_f32_e32 vcc_lo, v4, v4
	s_lshl_b32 s0, s0, 6
	v_bfe_u32 v8, v2, 16, 1
	s_ashr_i32 s1, s0, 31
	s_mul_i32 s2, s11, s20
	s_lshl_b64 s[0:1], s[0:1], 1
	v_cndmask_b32_e32 v4, v5, v6, vcc_lo
	v_add3_u32 v6, v7, v3, 0x7fff
	v_or_b32_e32 v7, 0x400000, v3
	v_cmp_u_f32_e32 vcc_lo, v3, v3
	s_add_u32 s4, s6, s0
	s_addc_u32 s5, s7, s1
	s_ashr_i32 s3, s2, 31
	v_bfe_u32 v5, v1, 16, 1
	s_lshl_b64 s[0:1], s[2:3], 1
	v_add3_u32 v8, v8, v2, 0x7fff
	v_or_b32_e32 v9, 0x400000, v2
	v_cndmask_b32_e32 v3, v6, v7, vcc_lo
	v_cmp_u_f32_e32 vcc_lo, v2, v2
	s_add_u32 s2, s4, s0
	s_addc_u32 s3, s5, s1
	s_lshl_b32 s0, s8, 6
	v_add3_u32 v5, v5, v1, 0x7fff
	s_ashr_i32 s1, s0, 31
	v_or_b32_e32 v10, 0x400000, v1
	v_cndmask_b32_e32 v2, v8, v9, vcc_lo
	v_cmp_u_f32_e32 vcc_lo, v1, v1
	v_lshlrev_b32_e32 v0, 1, v27
	s_lshl_b64 s[0:1], s[0:1], 1
	s_add_u32 s0, s2, s0
	s_addc_u32 s1, s3, s1
	v_cndmask_b32_e32 v1, v5, v10, vcc_lo
	global_store_short_d16_hi v0, v4, s[0:1]
	global_store_short_d16_hi v0, v3, s[0:1] offset:32
	global_store_short_d16_hi v0, v2, s[0:1] offset:64
	;; [unrolled: 1-line block ×3, first 2 shown]
.LBB127_69:
	s_endpgm
.LBB127_70:
	ds_read_b32 v7, v5
	s_waitcnt lgkmcnt(0)
	v_add_f32_e32 v4, v4, v7
	s_or_b32 exec_lo, exec_lo, s0
	s_and_saveexec_b32 s0, vcc_lo
	s_cbranch_execz .LBB127_54
.LBB127_71:
	ds_read_b32 v7, v5 offset:64
	s_waitcnt lgkmcnt(0)
	v_add_f32_e32 v3, v3, v7
	s_or_b32 exec_lo, exec_lo, s0
	s_and_saveexec_b32 s0, vcc_lo
	s_cbranch_execz .LBB127_55
.LBB127_72:
	ds_read_b32 v7, v5 offset:128
	s_waitcnt lgkmcnt(0)
	v_add_f32_e32 v2, v2, v7
	s_or_b32 exec_lo, exec_lo, s0
	s_and_saveexec_b32 s0, vcc_lo
	s_cbranch_execnz .LBB127_56
	s_branch .LBB127_57
.LBB127_73:
	ds_read_b32 v0, v5
	s_waitcnt lgkmcnt(0)
	v_add_f32_e32 v4, v4, v0
	s_or_b32 exec_lo, exec_lo, s0
	s_and_saveexec_b32 s0, vcc_lo
	s_cbranch_execz .LBB127_63
.LBB127_74:
	ds_read_b32 v0, v5 offset:64
	s_waitcnt lgkmcnt(0)
	v_add_f32_e32 v3, v3, v0
	s_or_b32 exec_lo, exec_lo, s0
	s_and_saveexec_b32 s0, vcc_lo
	s_cbranch_execz .LBB127_64
.LBB127_75:
	ds_read_b32 v0, v5 offset:128
	s_waitcnt lgkmcnt(0)
	v_add_f32_e32 v2, v2, v0
	s_or_b32 exec_lo, exec_lo, s0
	s_and_saveexec_b32 s0, vcc_lo
	s_cbranch_execnz .LBB127_65
	s_branch .LBB127_66
	.section	.rodata,"a",@progbits
	.p2align	6, 0x0
	.amdhsa_kernel _ZN4vllm25paged_attention_v1_kernelI14__hip_bfloat16S1_Li64ELi16ELi128ELNS_18Fp8KVCacheDataTypeE0ELb1EEEvPT_PKS3_PKT0_S9_ifPKiSB_iPKfiiiSD_SD_iiiii
		.amdhsa_group_segment_fixed_size 160
		.amdhsa_private_segment_fixed_size 0
		.amdhsa_kernarg_size 384
		.amdhsa_user_sgpr_count 6
		.amdhsa_user_sgpr_private_segment_buffer 1
		.amdhsa_user_sgpr_dispatch_ptr 0
		.amdhsa_user_sgpr_queue_ptr 0
		.amdhsa_user_sgpr_kernarg_segment_ptr 1
		.amdhsa_user_sgpr_dispatch_id 0
		.amdhsa_user_sgpr_flat_scratch_init 0
		.amdhsa_user_sgpr_private_segment_size 0
		.amdhsa_wavefront_size32 1
		.amdhsa_uses_dynamic_stack 0
		.amdhsa_system_sgpr_private_segment_wavefront_offset 0
		.amdhsa_system_sgpr_workgroup_id_x 1
		.amdhsa_system_sgpr_workgroup_id_y 1
		.amdhsa_system_sgpr_workgroup_id_z 1
		.amdhsa_system_sgpr_workgroup_info 0
		.amdhsa_system_vgpr_workitem_id 0
		.amdhsa_next_free_vgpr 82
		.amdhsa_next_free_sgpr 38
		.amdhsa_reserve_vcc 1
		.amdhsa_reserve_flat_scratch 0
		.amdhsa_float_round_mode_32 0
		.amdhsa_float_round_mode_16_64 0
		.amdhsa_float_denorm_mode_32 3
		.amdhsa_float_denorm_mode_16_64 3
		.amdhsa_dx10_clamp 1
		.amdhsa_ieee_mode 1
		.amdhsa_fp16_overflow 0
		.amdhsa_workgroup_processor_mode 1
		.amdhsa_memory_ordered 1
		.amdhsa_forward_progress 1
		.amdhsa_shared_vgpr_count 0
		.amdhsa_exception_fp_ieee_invalid_op 0
		.amdhsa_exception_fp_denorm_src 0
		.amdhsa_exception_fp_ieee_div_zero 0
		.amdhsa_exception_fp_ieee_overflow 0
		.amdhsa_exception_fp_ieee_underflow 0
		.amdhsa_exception_fp_ieee_inexact 0
		.amdhsa_exception_int_div_zero 0
	.end_amdhsa_kernel
	.section	.text._ZN4vllm25paged_attention_v1_kernelI14__hip_bfloat16S1_Li64ELi16ELi128ELNS_18Fp8KVCacheDataTypeE0ELb1EEEvPT_PKS3_PKT0_S9_ifPKiSB_iPKfiiiSD_SD_iiiii,"axG",@progbits,_ZN4vllm25paged_attention_v1_kernelI14__hip_bfloat16S1_Li64ELi16ELi128ELNS_18Fp8KVCacheDataTypeE0ELb1EEEvPT_PKS3_PKT0_S9_ifPKiSB_iPKfiiiSD_SD_iiiii,comdat
.Lfunc_end127:
	.size	_ZN4vllm25paged_attention_v1_kernelI14__hip_bfloat16S1_Li64ELi16ELi128ELNS_18Fp8KVCacheDataTypeE0ELb1EEEvPT_PKS3_PKT0_S9_ifPKiSB_iPKfiiiSD_SD_iiiii, .Lfunc_end127-_ZN4vllm25paged_attention_v1_kernelI14__hip_bfloat16S1_Li64ELi16ELi128ELNS_18Fp8KVCacheDataTypeE0ELb1EEEvPT_PKS3_PKT0_S9_ifPKiSB_iPKfiiiSD_SD_iiiii
                                        ; -- End function
	.set _ZN4vllm25paged_attention_v1_kernelI14__hip_bfloat16S1_Li64ELi16ELi128ELNS_18Fp8KVCacheDataTypeE0ELb1EEEvPT_PKS3_PKT0_S9_ifPKiSB_iPKfiiiSD_SD_iiiii.num_vgpr, 82
	.set _ZN4vllm25paged_attention_v1_kernelI14__hip_bfloat16S1_Li64ELi16ELi128ELNS_18Fp8KVCacheDataTypeE0ELb1EEEvPT_PKS3_PKT0_S9_ifPKiSB_iPKfiiiSD_SD_iiiii.num_agpr, 0
	.set _ZN4vllm25paged_attention_v1_kernelI14__hip_bfloat16S1_Li64ELi16ELi128ELNS_18Fp8KVCacheDataTypeE0ELb1EEEvPT_PKS3_PKT0_S9_ifPKiSB_iPKfiiiSD_SD_iiiii.numbered_sgpr, 38
	.set _ZN4vllm25paged_attention_v1_kernelI14__hip_bfloat16S1_Li64ELi16ELi128ELNS_18Fp8KVCacheDataTypeE0ELb1EEEvPT_PKS3_PKT0_S9_ifPKiSB_iPKfiiiSD_SD_iiiii.num_named_barrier, 0
	.set _ZN4vllm25paged_attention_v1_kernelI14__hip_bfloat16S1_Li64ELi16ELi128ELNS_18Fp8KVCacheDataTypeE0ELb1EEEvPT_PKS3_PKT0_S9_ifPKiSB_iPKfiiiSD_SD_iiiii.private_seg_size, 0
	.set _ZN4vllm25paged_attention_v1_kernelI14__hip_bfloat16S1_Li64ELi16ELi128ELNS_18Fp8KVCacheDataTypeE0ELb1EEEvPT_PKS3_PKT0_S9_ifPKiSB_iPKfiiiSD_SD_iiiii.uses_vcc, 1
	.set _ZN4vllm25paged_attention_v1_kernelI14__hip_bfloat16S1_Li64ELi16ELi128ELNS_18Fp8KVCacheDataTypeE0ELb1EEEvPT_PKS3_PKT0_S9_ifPKiSB_iPKfiiiSD_SD_iiiii.uses_flat_scratch, 0
	.set _ZN4vllm25paged_attention_v1_kernelI14__hip_bfloat16S1_Li64ELi16ELi128ELNS_18Fp8KVCacheDataTypeE0ELb1EEEvPT_PKS3_PKT0_S9_ifPKiSB_iPKfiiiSD_SD_iiiii.has_dyn_sized_stack, 0
	.set _ZN4vllm25paged_attention_v1_kernelI14__hip_bfloat16S1_Li64ELi16ELi128ELNS_18Fp8KVCacheDataTypeE0ELb1EEEvPT_PKS3_PKT0_S9_ifPKiSB_iPKfiiiSD_SD_iiiii.has_recursion, 0
	.set _ZN4vllm25paged_attention_v1_kernelI14__hip_bfloat16S1_Li64ELi16ELi128ELNS_18Fp8KVCacheDataTypeE0ELb1EEEvPT_PKS3_PKT0_S9_ifPKiSB_iPKfiiiSD_SD_iiiii.has_indirect_call, 0
	.section	.AMDGPU.csdata,"",@progbits
; Kernel info:
; codeLenInByte = 7480
; TotalNumSgprs: 40
; NumVgprs: 82
; ScratchSize: 0
; MemoryBound: 0
; FloatMode: 240
; IeeeMode: 1
; LDSByteSize: 160 bytes/workgroup (compile time only)
; SGPRBlocks: 0
; VGPRBlocks: 10
; NumSGPRsForWavesPerEU: 40
; NumVGPRsForWavesPerEU: 82
; Occupancy: 10
; WaveLimiterHint : 1
; COMPUTE_PGM_RSRC2:SCRATCH_EN: 0
; COMPUTE_PGM_RSRC2:USER_SGPR: 6
; COMPUTE_PGM_RSRC2:TRAP_HANDLER: 0
; COMPUTE_PGM_RSRC2:TGID_X_EN: 1
; COMPUTE_PGM_RSRC2:TGID_Y_EN: 1
; COMPUTE_PGM_RSRC2:TGID_Z_EN: 1
; COMPUTE_PGM_RSRC2:TIDIG_COMP_CNT: 0
	.section	.text._ZN4vllm25paged_attention_v1_kernelI14__hip_bfloat16S1_Li80ELi16ELi128ELNS_18Fp8KVCacheDataTypeE0ELb1EEEvPT_PKS3_PKT0_S9_ifPKiSB_iPKfiiiSD_SD_iiiii,"axG",@progbits,_ZN4vllm25paged_attention_v1_kernelI14__hip_bfloat16S1_Li80ELi16ELi128ELNS_18Fp8KVCacheDataTypeE0ELb1EEEvPT_PKS3_PKT0_S9_ifPKiSB_iPKfiiiSD_SD_iiiii,comdat
	.protected	_ZN4vllm25paged_attention_v1_kernelI14__hip_bfloat16S1_Li80ELi16ELi128ELNS_18Fp8KVCacheDataTypeE0ELb1EEEvPT_PKS3_PKT0_S9_ifPKiSB_iPKfiiiSD_SD_iiiii ; -- Begin function _ZN4vllm25paged_attention_v1_kernelI14__hip_bfloat16S1_Li80ELi16ELi128ELNS_18Fp8KVCacheDataTypeE0ELb1EEEvPT_PKS3_PKT0_S9_ifPKiSB_iPKfiiiSD_SD_iiiii
	.globl	_ZN4vllm25paged_attention_v1_kernelI14__hip_bfloat16S1_Li80ELi16ELi128ELNS_18Fp8KVCacheDataTypeE0ELb1EEEvPT_PKS3_PKT0_S9_ifPKiSB_iPKfiiiSD_SD_iiiii
	.p2align	8
	.type	_ZN4vllm25paged_attention_v1_kernelI14__hip_bfloat16S1_Li80ELi16ELi128ELNS_18Fp8KVCacheDataTypeE0ELb1EEEvPT_PKS3_PKT0_S9_ifPKiSB_iPKfiiiSD_SD_iiiii,@function
_ZN4vllm25paged_attention_v1_kernelI14__hip_bfloat16S1_Li80ELi16ELi128ELNS_18Fp8KVCacheDataTypeE0ELb1EEEvPT_PKS3_PKT0_S9_ifPKiSB_iPKfiiiSD_SD_iiiii: ; @_ZN4vllm25paged_attention_v1_kernelI14__hip_bfloat16S1_Li80ELi16ELi128ELNS_18Fp8KVCacheDataTypeE0ELb1EEEvPT_PKS3_PKT0_S9_ifPKiSB_iPKfiiiSD_SD_iiiii
; %bb.0:
	s_clause 0x2
	s_load_dword s9, s[4:5], 0x80
	s_load_dwordx2 s[0:1], s[4:5], 0x30
	s_load_dwordx2 s[28:29], s[4:5], 0x20
	s_mov_b32 s10, s7
	s_ashr_i32 s11, s7, 31
	s_mov_b32 s33, 0
	s_lshl_b64 s[2:3], s[10:11], 2
	s_waitcnt lgkmcnt(0)
	s_add_u32 s0, s0, s2
	s_addc_u32 s1, s1, s3
	s_abs_i32 s2, s28
	s_abs_i32 s11, s9
	v_cvt_f32_u32_e32 v1, s2
	s_sub_i32 s7, 0, s2
	v_rcp_iflag_f32_e32 v1, v1
	v_mul_f32_e32 v1, 0x4f7ffffe, v1
	v_cvt_u32_f32_e32 v1, v1
	v_readfirstlane_b32 s3, v1
	s_mul_i32 s7, s7, s3
	s_mul_hi_u32 s7, s3, s7
	s_add_i32 s3, s3, s7
	s_xor_b32 s7, s9, s28
	s_mul_hi_u32 s3, s11, s3
	s_ashr_i32 s7, s7, 31
	s_mul_i32 s12, s3, s2
	s_sub_i32 s11, s11, s12
	s_add_i32 s12, s3, 1
	s_sub_i32 s13, s11, s2
	s_cmp_ge_u32 s11, s2
	s_cselect_b32 s3, s12, s3
	s_cselect_b32 s11, s13, s11
	s_add_i32 s12, s3, 1
	s_cmp_ge_u32 s11, s2
	s_cselect_b32 s2, s12, s3
	s_abs_i32 s22, s6
	s_xor_b32 s2, s2, s7
	s_sub_i32 s16, s2, s7
	s_load_dwordx2 s[2:3], s[4:5], 0x40
	s_abs_i32 s11, s16
	v_cvt_f32_u32_e32 v1, s11
	s_sub_i32 s12, 0, s11
	v_rcp_iflag_f32_e32 v1, v1
	v_mul_f32_e32 v1, 0x4f7ffffe, v1
	v_cvt_u32_f32_e32 v1, v1
	v_readfirstlane_b32 s7, v1
	s_mul_i32 s12, s12, s7
	s_mul_hi_u32 s12, s7, s12
	s_add_i32 s7, s7, s12
	s_waitcnt lgkmcnt(0)
	s_cmp_eq_u64 s[2:3], 0
	s_mul_hi_u32 s23, s22, s7
	s_cbranch_scc1 .LBB128_2
; %bb.1:
	s_ashr_i32 s7, s6, 31
	s_lshl_b64 s[12:13], s[6:7], 2
	s_add_u32 s2, s2, s12
	s_addc_u32 s3, s3, s13
	s_load_dword s33, s[2:3], 0x0
.LBB128_2:
	s_load_dword s30, s[0:1], 0x0
	s_load_dwordx4 s[12:15], s[4:5], 0x48
	v_lshrrev_b32_e32 v31, 1, v0
	v_and_b32_e32 v32, 1, v0
	v_lshlrev_b32_e32 v3, 3, v0
	s_ashr_i32 s0, s6, 31
	s_ashr_i32 s1, s16, 31
	s_mul_i32 s20, s6, 0x50
	s_mov_b32 s2, exec_lo
	v_cmpx_gt_u32_e32 20, v0
	s_cbranch_execz .LBB128_4
; %bb.3:
	s_load_dwordx2 s[16:17], s[4:5], 0x8
	s_waitcnt lgkmcnt(0)
	s_mul_i32 s18, s12, s10
	v_lshlrev_b32_e32 v4, 3, v31
	s_ashr_i32 s19, s18, 31
	s_lshl_b64 s[18:19], s[18:19], 1
	v_mad_u32_u24 v4, 0x50, v32, v4
	s_add_u32 s3, s16, s18
	s_addc_u32 s7, s17, s19
	s_ashr_i32 s21, s20, 31
	s_lshl_b64 s[16:17], s[20:21], 1
	s_add_u32 s16, s3, s16
	s_addc_u32 s17, s7, s17
	global_load_dwordx2 v[1:2], v3, s[16:17]
	s_waitcnt vmcnt(0)
	ds_write_b64 v4, v[1:2]
.LBB128_4:
	s_or_b32 exec_lo, exec_lo, s2
	s_load_dwordx4 s[16:19], s[4:5], 0x68
	s_mul_i32 s2, s23, s11
	s_xor_b32 s1, s0, s1
	s_sub_i32 s0, s22, s2
	s_add_i32 s2, s23, 1
	s_sub_i32 s3, s0, s11
	s_cmp_ge_u32 s0, s11
	s_waitcnt lgkmcnt(0)
	s_cselect_b32 s2, s2, s23
	s_cselect_b32 s0, s3, s0
	s_add_i32 s3, s2, 1
	s_cmp_ge_u32 s0, s11
	s_load_dword s0, s[4:5], 0x78
	s_cselect_b32 s2, s3, s2
	s_add_i32 s7, s30, -1
	s_xor_b32 s2, s2, s1
	s_abs_i32 s3, s7
	s_sub_i32 s1, s2, s1
	s_mov_b32 s11, -1
	s_barrier
	s_abs_i32 s12, s19
	s_waitcnt lgkmcnt(0)
	buffer_gl0_inv
	v_cvt_f32_u32_e32 v1, s12
	s_sub_i32 s2, 0, s12
                                        ; implicit-def: $sgpr31
	v_rcp_iflag_f32_e32 v1, v1
	v_mul_f32_e32 v1, 0x4f7ffffe, v1
	v_cvt_u32_f32_e32 v1, v1
	v_readfirstlane_b32 s21, v1
	s_mul_i32 s2, s2, s21
	s_mul_hi_u32 s2, s21, s2
	s_add_i32 s21, s21, s2
	s_cmp_lt_i32 s0, 0
	s_mul_hi_u32 s2, s3, s21
	s_cbranch_scc0 .LBB128_6
; %bb.5:
	s_mul_i32 s11, s16, s28
	s_add_i32 s11, s1, s11
	s_mul_i32 s11, s11, s0
	s_sub_i32 s31, 1, s11
	s_mov_b32 s11, 0
.LBB128_6:
	s_load_dwordx2 s[22:23], s[4:5], 0x28
	s_ashr_i32 s7, s7, 31
	s_andn2_b32 vcc_lo, exec_lo, s11
	s_ashr_i32 s19, s19, 31
	s_cbranch_vccnz .LBB128_8
; %bb.7:
	s_mul_i32 s11, s9, s16
	s_add_i32 s6, s11, s6
	s_mul_i32 s0, s6, s0
	s_add_i32 s31, s0, 1
.LBB128_8:
	s_load_dword s0, s[4:5], 0x38
	s_mul_i32 s6, s2, s12
	s_xor_b32 s15, s7, s19
	s_sub_i32 s3, s3, s6
	s_add_i32 s16, s2, 1
	s_clause 0x2
	s_load_dwordx2 s[6:7], s[4:5], 0x0
	s_load_dwordx2 s[26:27], s[4:5], 0x18
	s_load_dword s11, s[4:5], 0x88
	v_lshrrev_b32_e32 v33, 5, v0
	v_mov_b32_e32 v6, 0xff7fffff
	v_lshrrev_b32_e32 v4, 3, v0
	v_mbcnt_lo_u32_b32 v5, -1, 0
	s_mul_i32 s14, s1, s14
	v_lshlrev_b32_e32 v34, 4, v33
	s_waitcnt lgkmcnt(0)
	s_mul_i32 s24, s0, s10
	s_sub_i32 s0, s3, s12
	s_ashr_i32 s25, s24, 31
	s_cmp_ge_u32 s3, s12
	s_cselect_b32 s2, s16, s2
	s_cselect_b32 s0, s0, s3
	s_add_i32 s3, s2, 1
	s_cmp_ge_u32 s0, s12
	s_cselect_b32 s0, s3, s2
	s_add_i32 s2, s30, 15
	s_ashr_i32 s3, s2, 31
	s_lshr_b32 s3, s3, 28
	s_add_i32 s2, s2, s3
	s_ashr_i32 s16, s2, 4
	s_xor_b32 s2, s0, s15
	v_cmp_gt_i32_e64 s0, s16, v33
	s_sub_i32 s28, s2, s15
	s_and_saveexec_b32 s34, s0
	s_cbranch_execz .LBB128_20
; %bb.9:
	s_load_dwordx2 s[2:3], s[4:5], 0x10
	s_ashr_i32 s15, s14, 31
	s_sub_i32 s4, s28, s17
	s_lshl_b64 s[36:37], s[14:15], 1
	v_bfe_u32 v7, v0, 1, 4
	v_and_b32_e32 v2, 0x7c, v4
	v_and_b32_e32 v14, 8, v3
	v_mul_u32_u24_e32 v8, 0x50, v32
	v_cmp_neq_f32_e64 s1, s33, 0
	v_lshlrev_b32_e32 v12, 2, v7
	v_subrev_nc_u32_e32 v13, s30, v7
	v_lshlrev_b32_e32 v9, 4, v33
	v_mov_b32_e32 v10, 0xff7fffff
	v_xor_b32_e32 v11, 1, v5
	v_lshl_or_b32 v15, v33, 6, v12
	v_add_nc_u32_e32 v12, 1, v13
	v_mov_b32_e32 v6, 0xff7fffff
	v_cmp_eq_u32_e32 vcc_lo, 0, v32
	v_add_nc_u32_e32 v13, 0xc0, v15
	s_waitcnt lgkmcnt(0)
	s_add_u32 s15, s2, s36
	s_addc_u32 s35, s3, s37
	s_abs_i32 s5, s18
	v_cvt_f32_u32_e32 v1, s5
	s_sub_i32 s2, 0, s5
	v_rcp_iflag_f32_e32 v1, v1
	v_mul_f32_e32 v1, 0x4f7ffffe, v1
	v_cvt_u32_f32_e32 v16, v1
	v_lshlrev_b32_e32 v1, 4, v7
	v_mul_lo_u32 v15, s2, v16
	s_lshl_b64 s[2:3], s[24:25], 2
	v_add_co_u32 v17, s15, s15, v1
	s_add_u32 s2, s22, s2
	v_add_co_ci_u32_e64 v18, null, s35, 0, s15
	s_addc_u32 s3, s23, s3
	v_mul_hi_u32 v19, v16, v15
	v_add_co_u32 v1, s2, s2, v2
	v_add_co_ci_u32_e64 v2, null, s3, 0, s2
	v_add_co_u32 v14, s2, v17, v14
	v_add_co_ci_u32_e64 v15, null, 0, v18, s2
	v_add_nc_u32_e32 v16, v16, v19
	v_mov_b32_e32 v17, v33
	s_mov_b32 s15, 0
	s_mov_b32 s35, s13
	s_branch .LBB128_12
.LBB128_10:                             ;   in Loop: Header=BB128_12 Depth=1
	s_or_b32 exec_lo, exec_lo, s36
.LBB128_11:                             ;   in Loop: Header=BB128_12 Depth=1
	s_or_b32 exec_lo, exec_lo, s3
	v_add_nc_u32_e32 v17, 4, v17
	v_add_co_u32 v1, s3, v1, 16
	v_add_co_ci_u32_e64 v2, null, 0, v2, s3
	v_cmp_le_i32_e64 s2, s16, v17
	v_add_nc_u32_e32 v9, 64, v9
	v_add_nc_u32_e32 v13, 0x100, v13
	s_or_b32 s15, s2, s15
	s_andn2_b32 exec_lo, exec_lo, s15
	s_cbranch_execz .LBB128_19
.LBB128_12:                             ; =>This Inner Loop Header: Depth=1
	v_mul_hi_u32 v18, v9, s21
	s_waitcnt lgkmcnt(0)
	v_mul_lo_u32 v19, v18, s12
	v_add_nc_u32_e32 v20, 1, v18
	v_sub_nc_u32_e32 v19, v9, v19
	v_subrev_nc_u32_e32 v21, s12, v19
	v_cmp_le_u32_e64 s2, s12, v19
	v_cndmask_b32_e64 v18, v18, v20, s2
	v_cndmask_b32_e64 v19, v19, v21, s2
	v_add_nc_u32_e32 v20, 1, v18
	v_cmp_le_u32_e64 s2, s12, v19
	v_cndmask_b32_e64 v18, v18, v20, s2
	v_xor_b32_e32 v18, s19, v18
	v_subrev_nc_u32_e32 v18, s19, v18
	v_add_nc_u32_e32 v19, s31, v18
	v_cmp_ge_i32_e64 s3, s4, v18
	v_sub_nc_u32_e32 v20, 0, v19
	v_max_i32_e32 v20, v19, v20
	v_ashrrev_i32_e32 v19, 31, v19
	v_mul_hi_u32 v21, v20, v16
	v_mul_lo_u32 v21, v21, s5
	v_sub_nc_u32_e32 v20, v20, v21
	v_subrev_nc_u32_e32 v21, s5, v20
	v_cmp_le_u32_e64 s2, s5, v20
	v_cndmask_b32_e64 v20, v20, v21, s2
	v_subrev_nc_u32_e32 v21, s5, v20
	v_cmp_le_u32_e64 s2, s5, v20
	v_cndmask_b32_e64 v20, v20, v21, s2
	v_xor_b32_e32 v20, v20, v19
	v_sub_nc_u32_e32 v19, v20, v19
	v_cmp_ne_u32_e64 s2, 0, v19
	s_and_b32 s2, s2, s3
	s_and_saveexec_b32 s3, s2
	s_xor_b32 s2, exec_lo, s3
	s_cbranch_execz .LBB128_16
; %bb.13:                               ;   in Loop: Header=BB128_12 Depth=1
	s_and_saveexec_b32 s3, vcc_lo
; %bb.14:                               ;   in Loop: Header=BB128_12 Depth=1
	ds_write_b32 v13, v10
; %bb.15:                               ;   in Loop: Header=BB128_12 Depth=1
	s_or_b32 exec_lo, exec_lo, s3
.LBB128_16:                             ;   in Loop: Header=BB128_12 Depth=1
	s_andn2_saveexec_b32 s3, s2
	s_cbranch_execz .LBB128_11
; %bb.17:                               ;   in Loop: Header=BB128_12 Depth=1
	global_load_dword v18, v[1:2], off
	s_waitcnt vmcnt(0)
	v_mad_i64_i32 v[18:19], null, v18, s35, 0
	v_lshlrev_b64 v[18:19], 1, v[18:19]
	v_add_co_u32 v18, s2, v14, v18
	v_add_co_ci_u32_e64 v19, null, v15, v19, s2
	s_clause 0x7
	global_load_dwordx2 v[43:44], v[18:19], off
	global_load_dwordx2 v[45:46], v[18:19], off offset:256
	global_load_dwordx2 v[47:48], v[18:19], off offset:512
	;; [unrolled: 1-line block ×7, first 2 shown]
	v_add_co_u32 v18, s2, 0x800, v18
	v_add_co_ci_u32_e64 v19, null, 0, v19, s2
	v_cmp_gt_i32_e64 s2, 32, v11
	s_clause 0x1
	global_load_dwordx2 v[59:60], v[18:19], off
	global_load_dwordx2 v[61:62], v[18:19], off offset:256
	ds_read_b128 v[18:21], v8
	ds_read_b128 v[22:25], v8 offset:16
	ds_read_b128 v[26:29], v8 offset:32
	;; [unrolled: 1-line block ×4, first 2 shown]
	s_waitcnt lgkmcnt(4)
	v_lshlrev_b32_e32 v64, 16, v20
	v_and_b32_e32 v20, 0xffff0000, v20
	v_lshlrev_b32_e32 v30, 16, v18
	v_lshlrev_b32_e32 v65, 16, v21
	v_and_b32_e32 v18, 0xffff0000, v18
	v_lshlrev_b32_e32 v63, 16, v19
	s_waitcnt lgkmcnt(3)
	v_lshlrev_b32_e32 v66, 16, v22
	v_and_b32_e32 v21, 0xffff0000, v21
	v_and_b32_e32 v22, 0xffff0000, v22
	v_lshlrev_b32_e32 v67, 16, v23
	v_lshlrev_b32_e32 v68, 16, v24
	v_and_b32_e32 v19, 0xffff0000, v19
	v_and_b32_e32 v24, 0xffff0000, v24
	v_lshlrev_b32_e32 v69, 16, v25
	s_waitcnt lgkmcnt(2)
	v_lshlrev_b32_e32 v70, 16, v26
	v_and_b32_e32 v23, 0xffff0000, v23
	v_and_b32_e32 v26, 0xffff0000, v26
	v_lshlrev_b32_e32 v71, 16, v27
	v_lshlrev_b32_e32 v72, 16, v28
	v_and_b32_e32 v25, 0xffff0000, v25
	;; [unrolled: 9-line block ×3, first 2 shown]
	v_and_b32_e32 v37, 0xffff0000, v37
	v_lshlrev_b32_e32 v77, 16, v38
	v_and_b32_e32 v36, 0xffff0000, v36
	s_waitcnt lgkmcnt(0)
	v_lshlrev_b32_e32 v78, 16, v39
	v_and_b32_e32 v39, 0xffff0000, v39
	v_and_b32_e32 v38, 0xffff0000, v38
	v_lshlrev_b32_e32 v79, 16, v40
	v_lshlrev_b32_e32 v80, 16, v41
	v_and_b32_e32 v41, 0xffff0000, v41
	v_lshlrev_b32_e32 v90, 16, v42
	v_and_b32_e32 v40, 0xffff0000, v40
	s_waitcnt vmcnt(9)
	v_lshlrev_b32_e32 v81, 16, v43
	s_waitcnt vmcnt(8)
	v_lshlrev_b32_e32 v83, 16, v45
	v_and_b32_e32 v45, 0xffff0000, v45
	v_and_b32_e32 v43, 0xffff0000, v43
	v_lshlrev_b32_e32 v84, 16, v46
	v_lshlrev_b32_e32 v82, 16, v44
	v_mul_f32_e32 v64, v64, v83
	v_mul_f32_e32 v20, v20, v45
	v_and_b32_e32 v46, 0xffff0000, v46
	s_waitcnt vmcnt(7)
	v_lshlrev_b32_e32 v85, 16, v47
	v_and_b32_e32 v47, 0xffff0000, v47
	v_fmac_f32_e32 v64, v30, v81
	v_mul_f32_e32 v65, v65, v84
	v_fmac_f32_e32 v20, v18, v43
	v_and_b32_e32 v44, 0xffff0000, v44
	v_lshlrev_b32_e32 v86, 16, v48
	s_waitcnt vmcnt(6)
	v_lshlrev_b32_e32 v87, 16, v49
	v_and_b32_e32 v49, 0xffff0000, v49
	v_fmac_f32_e32 v65, v63, v82
	v_mul_f32_e32 v21, v21, v46
	v_fmac_f32_e32 v64, v66, v85
	v_fmac_f32_e32 v20, v22, v47
	v_and_b32_e32 v48, 0xffff0000, v48
	v_lshlrev_b32_e32 v88, 16, v50
	s_waitcnt vmcnt(5)
	v_lshlrev_b32_e32 v89, 16, v51
	v_and_b32_e32 v51, 0xffff0000, v51
	v_fmac_f32_e32 v21, v19, v44
	v_fmac_f32_e32 v65, v67, v86
	v_fmac_f32_e32 v64, v68, v87
	v_fmac_f32_e32 v20, v24, v49
	v_and_b32_e32 v50, 0xffff0000, v50
	v_lshlrev_b32_e32 v83, 16, v52
	s_waitcnt vmcnt(4)
	v_lshlrev_b32_e32 v30, 16, v53
	v_and_b32_e32 v53, 0xffff0000, v53
	v_fmac_f32_e32 v21, v23, v48
	v_fmac_f32_e32 v65, v69, v88
	;; [unrolled: 9-line block ×3, first 2 shown]
	v_fmac_f32_e32 v64, v72, v30
	v_fmac_f32_e32 v20, v28, v53
	v_and_b32_e32 v54, 0xffff0000, v54
	v_lshlrev_b32_e32 v43, 16, v56
	v_and_b32_e32 v55, 0xffff0000, v56
	s_waitcnt vmcnt(2)
	v_lshlrev_b32_e32 v56, 16, v57
	v_and_b32_e32 v57, 0xffff0000, v57
	v_fmac_f32_e32 v21, v27, v52
	v_fmac_f32_e32 v65, v73, v45
	;; [unrolled: 1-line block ×4, first 2 shown]
	v_lshlrev_b32_e32 v63, 16, v58
	s_waitcnt vmcnt(1)
	v_lshlrev_b32_e32 v22, 16, v59
	v_and_b32_e32 v19, 0xffff0000, v59
	v_fmac_f32_e32 v21, v29, v54
	v_fmac_f32_e32 v65, v75, v43
	;; [unrolled: 1-line block ×4, first 2 shown]
	v_and_b32_e32 v58, 0xffff0000, v58
	v_lshlrev_b32_e32 v23, 16, v60
	s_waitcnt vmcnt(0)
	v_lshlrev_b32_e32 v18, 16, v61
	v_and_b32_e32 v25, 0xffff0000, v61
	v_fmac_f32_e32 v21, v36, v55
	v_fmac_f32_e32 v65, v77, v63
	;; [unrolled: 1-line block ×4, first 2 shown]
	v_and_b32_e32 v24, 0xffff0000, v60
	v_lshlrev_b32_e32 v19, 16, v62
	v_fmac_f32_e32 v21, v38, v58
	v_fmac_f32_e32 v65, v79, v23
	;; [unrolled: 1-line block ×4, first 2 shown]
	v_and_b32_e32 v18, 0xffff0000, v42
	v_fmac_f32_e32 v21, v40, v24
	v_and_b32_e32 v22, 0xffff0000, v62
	v_fmac_f32_e32 v65, v90, v19
	v_add_f32_e32 v19, v64, v20
	v_cndmask_b32_e64 v20, v5, v11, s2
	v_fmac_f32_e32 v21, v18, v22
	v_add_f32_e32 v18, v19, v65
	v_lshlrev_b32_e32 v19, 2, v20
	v_add_f32_e32 v18, v21, v18
	ds_bpermute_b32 v19, v19, v18
	s_and_saveexec_b32 s36, vcc_lo
	s_cbranch_execz .LBB128_10
; %bb.18:                               ;   in Loop: Header=BB128_12 Depth=1
	v_add_nc_u32_e32 v20, v12, v9
	s_waitcnt lgkmcnt(0)
	v_add_f32_e32 v18, v18, v19
	v_cvt_f32_i32_e32 v20, v20
	v_mul_f32_e32 v20, s33, v20
	v_cndmask_b32_e64 v19, 0, v20, s1
	v_max_f32_e32 v20, v6, v6
	v_fmac_f32_e32 v19, s29, v18
	v_add_nc_u32_e32 v18, v7, v9
	v_max_f32_e32 v20, v20, v19
	v_cmp_gt_i32_e64 s2, s30, v18
	v_cndmask_b32_e64 v18, 0, v19, s2
	v_cndmask_b32_e64 v6, v6, v20, s2
	ds_write_b32 v13, v18
	s_branch .LBB128_10
.LBB128_19:
	s_or_b32 exec_lo, exec_lo, s15
.LBB128_20:
	s_or_b32 exec_lo, exec_lo, s34
	v_xor_b32_e32 v1, 16, v5
	v_xor_b32_e32 v7, 8, v5
	v_max_f32_e32 v8, v6, v6
	v_and_b32_e32 v35, 31, v0
	v_cmp_gt_i32_e32 vcc_lo, 32, v1
	v_cndmask_b32_e32 v1, v5, v1, vcc_lo
	v_cmp_gt_i32_e32 vcc_lo, 32, v7
	v_lshlrev_b32_e32 v2, 2, v1
	ds_bpermute_b32 v1, v2, v6
	v_cndmask_b32_e32 v6, v5, v7, vcc_lo
	v_lshlrev_b32_e32 v6, 2, v6
	s_waitcnt lgkmcnt(0)
	v_max_f32_e32 v1, v1, v1
	v_max_f32_e32 v1, v8, v1
	v_xor_b32_e32 v8, 4, v5
	ds_bpermute_b32 v7, v6, v1
	v_cmp_gt_i32_e32 vcc_lo, 32, v8
	v_cndmask_b32_e32 v8, v5, v8, vcc_lo
	s_waitcnt lgkmcnt(0)
	v_max_f32_e32 v9, v7, v7
	v_lshlrev_b32_e32 v7, 2, v8
	v_max_f32_e32 v1, v1, v9
	v_xor_b32_e32 v9, 2, v5
	ds_bpermute_b32 v8, v7, v1
	v_cmp_gt_i32_e32 vcc_lo, 32, v9
	v_cndmask_b32_e32 v10, v5, v9, vcc_lo
	v_cmp_eq_u32_e32 vcc_lo, 0, v35
	s_waitcnt lgkmcnt(0)
	v_max_f32_e32 v8, v8, v8
	v_max_f32_e32 v9, v1, v8
	v_lshlrev_b32_e32 v1, 2, v10
	v_lshlrev_b32_e32 v8, 2, v33
	ds_bpermute_b32 v10, v1, v9
	s_and_saveexec_b32 s1, vcc_lo
	s_cbranch_execz .LBB128_22
; %bb.21:
	s_waitcnt lgkmcnt(0)
	v_max_f32_e32 v10, v10, v10
	v_max_f32_e32 v9, v9, v9
	v_max_f32_e32 v9, v9, v10
	ds_write_b32 v8, v9 offset:160
.LBB128_22:
	s_or_b32 exec_lo, exec_lo, s1
	v_cmp_gt_u32_e64 s1, 4, v35
	s_waitcnt lgkmcnt(0)
	v_mov_b32_e32 v10, 0xff7fffff
	v_lshlrev_b32_e32 v9, 2, v35
	s_barrier
	buffer_gl0_inv
	s_and_saveexec_b32 s2, s1
; %bb.23:
	ds_read_b32 v10, v9 offset:160
; %bb.24:
	s_or_b32 exec_lo, exec_lo, s2
	s_waitcnt lgkmcnt(0)
	ds_bpermute_b32 v11, v1, v10
	v_xor_b32_e32 v12, 1, v5
	v_max_f32_e32 v10, v10, v10
	v_cmp_gt_i32_e64 s2, 32, v12
	v_cndmask_b32_e64 v5, v5, v12, s2
	s_lshl_b32 s2, s16, 4
	s_min_i32 s4, s2, s30
	v_lshlrev_b32_e32 v36, 2, v5
	v_cmp_gt_i32_e64 s2, s4, v0
	s_waitcnt lgkmcnt(0)
	v_max_f32_e32 v11, v11, v11
	v_max_f32_e32 v5, v10, v11
	ds_bpermute_b32 v10, v36, v5
	s_waitcnt lgkmcnt(0)
	v_max_f32_e32 v10, v10, v10
	v_max_f32_e32 v5, v5, v10
	v_mov_b32_e32 v10, 0
	ds_bpermute_b32 v11, v10, v5
	v_lshl_add_u32 v5, v0, 2, 0xc0
	s_and_saveexec_b32 s5, s2
	s_cbranch_execz .LBB128_28
; %bb.25:
	v_lshl_add_u32 v12, v0, 2, 0xc0
	v_mov_b32_e32 v10, 0
	v_mov_b32_e32 v13, v0
	s_mov_b32 s15, 0
	.p2align	6
.LBB128_26:                             ; =>This Inner Loop Header: Depth=1
	ds_read_b32 v14, v12
	v_add_nc_u32_e32 v13, 0x80, v13
	v_cmp_le_i32_e64 s3, s4, v13
	s_or_b32 s15, s3, s15
	s_waitcnt lgkmcnt(0)
	v_sub_f32_e32 v14, v14, v11
	v_mul_f32_e32 v14, 0x3fb8aa3b, v14
	v_exp_f32_e32 v14, v14
	ds_write_b32 v12, v14
	v_add_f32_e32 v10, v10, v14
	v_add_nc_u32_e32 v12, 0x200, v12
	s_andn2_b32 exec_lo, exec_lo, s15
	s_cbranch_execnz .LBB128_26
; %bb.27:
	s_or_b32 exec_lo, exec_lo, s15
.LBB128_28:
	s_or_b32 exec_lo, exec_lo, s5
	ds_bpermute_b32 v2, v2, v10
	s_waitcnt lgkmcnt(0)
	v_add_f32_e32 v2, v10, v2
	ds_bpermute_b32 v6, v6, v2
	s_waitcnt lgkmcnt(0)
	v_add_f32_e32 v2, v2, v6
	;; [unrolled: 3-line block ×5, first 2 shown]
	s_and_saveexec_b32 s3, vcc_lo
; %bb.29:
	ds_write_b32 v8, v2 offset:176
; %bb.30:
	s_or_b32 exec_lo, exec_lo, s3
	s_waitcnt lgkmcnt(0)
	s_barrier
	buffer_gl0_inv
	s_and_saveexec_b32 s3, s1
; %bb.31:
	ds_read_b32 v2, v9 offset:176
; %bb.32:
	s_or_b32 exec_lo, exec_lo, s3
	s_waitcnt lgkmcnt(0)
	ds_bpermute_b32 v1, v1, v2
	s_waitcnt lgkmcnt(0)
	v_add_f32_e32 v1, v2, v1
	ds_bpermute_b32 v2, v36, v1
	s_waitcnt lgkmcnt(0)
	v_add_f32_e32 v1, v1, v2
	v_mov_b32_e32 v2, 0
	ds_bpermute_b32 v1, v2, v1
	s_and_saveexec_b32 s1, s2
	s_cbranch_execz .LBB128_35
; %bb.33:
	s_waitcnt lgkmcnt(0)
	v_add_f32_e32 v1, 0x358637bd, v1
	s_mov_b32 s2, 0
	v_div_scale_f32 v2, null, v1, v1, 1.0
	v_div_scale_f32 v8, vcc_lo, 1.0, v1, 1.0
	v_rcp_f32_e32 v6, v2
	v_fma_f32 v7, -v2, v6, 1.0
	v_fmac_f32_e32 v6, v7, v6
	v_mul_f32_e32 v7, v8, v6
	v_fma_f32 v9, -v2, v7, v8
	v_fmac_f32_e32 v7, v9, v6
	v_fma_f32 v2, -v2, v7, v8
	v_div_fmas_f32 v2, v2, v6, v7
	v_div_fixup_f32 v1, v2, v1, 1.0
	v_mov_b32_e32 v2, v0
.LBB128_34:                             ; =>This Inner Loop Header: Depth=1
	ds_read_b32 v6, v5
	v_add_nc_u32_e32 v2, 0x80, v2
	v_cmp_le_i32_e32 vcc_lo, s4, v2
	s_or_b32 s2, vcc_lo, s2
	s_waitcnt lgkmcnt(0)
	v_mul_f32_e32 v6, v1, v6
	ds_write_b32 v5, v6
	v_add_nc_u32_e32 v5, 0x200, v5
	s_andn2_b32 exec_lo, exec_lo, s2
	s_cbranch_execnz .LBB128_34
.LBB128_35:
	s_or_b32 exec_lo, exec_lo, s1
	v_mov_b32_e32 v41, 0
	v_mov_b32_e32 v40, 0
	;; [unrolled: 1-line block ×5, first 2 shown]
	s_waitcnt lgkmcnt(0)
	s_barrier
	buffer_gl0_inv
	s_and_saveexec_b32 s3, s0
	s_cbranch_execz .LBB128_51
; %bb.36:
	s_ashr_i32 s15, s14, 31
	s_sub_i32 s4, s28, s17
	s_lshl_b64 s[0:1], s[14:15], 1
	v_lshlrev_b32_e32 v2, 4, v0
	s_add_u32 s2, s26, s0
	s_addc_u32 s15, s27, s1
	s_abs_i32 s5, s18
	v_and_b32_e32 v42, 8, v3
	v_cvt_f32_u32_e32 v1, s5
	s_sub_i32 s0, 0, s5
	v_and_b32_e32 v3, 0x7c, v4
	v_lshlrev_b32_e32 v4, 5, v32
	v_and_b32_e32 v2, 0x1f0, v2
	v_rcp_iflag_f32_e32 v1, v1
	s_add_i32 s14, s16, -1
	v_mov_b32_e32 v43, 0
	v_lshl_or_b32 v4, v33, 6, v4
	v_add_co_u32 v44, s2, s2, v2
	v_mov_b32_e32 v37, 0
	v_mov_b32_e32 v38, 0
	;; [unrolled: 1-line block ×4, first 2 shown]
	v_mul_f32_e32 v1, 0x4f7ffffe, v1
	v_mov_b32_e32 v41, 0
	v_add_co_ci_u32_e64 v45, null, s15, 0, s2
	v_add_nc_u32_e32 v46, 0xc0, v4
	v_cvt_u32_f32_e32 v1, v1
	v_mov_b32_e32 v48, v33
	s_mov_b32 s17, s30
	s_mov_b32 s15, 0
	v_mul_lo_u32 v5, s0, v1
	s_lshl_b64 s[0:1], s[24:25], 2
	s_add_u32 s0, s22, s0
	s_addc_u32 s1, s23, s1
	v_add_co_u32 v29, s0, s0, v3
	v_add_co_ci_u32_e64 v30, null, s1, 0, s0
	v_mul_hi_u32 v5, v1, v5
	v_add_nc_u32_e32 v47, v1, v5
	s_branch .LBB128_39
.LBB128_37:                             ;   in Loop: Header=BB128_39 Depth=1
	s_or_b32 exec_lo, exec_lo, s2
	s_waitcnt lgkmcnt(1)
	v_bfe_u32 v49, v21, 16, 1
	v_bfe_u32 v50, v22, 16, 1
	v_or_b32_e32 v51, 0x400000, v21
	v_cmp_u_f32_e32 vcc_lo, v21, v21
	v_or_b32_e32 v52, 0x400000, v22
	v_add3_u32 v49, v49, v21, 0x7fff
	v_bfe_u32 v53, v23, 16, 1
	v_add3_u32 v50, v50, v22, 0x7fff
	v_bfe_u32 v54, v24, 16, 1
	s_waitcnt vmcnt(1)
	v_and_b32_e32 v56, 0xffff0000, v28
	v_cndmask_b32_e32 v21, v49, v51, vcc_lo
	v_cmp_u_f32_e32 vcc_lo, v22, v22
	v_add3_u32 v49, v53, v23, 0x7fff
	v_add3_u32 v51, v54, v24, 0x7fff
	s_waitcnt lgkmcnt(0)
	v_bfe_u32 v53, v17, 16, 1
	v_and_b32_e32 v21, 0xffff0000, v21
	v_cndmask_b32_e32 v22, v50, v52, vcc_lo
	v_or_b32_e32 v50, 0x400000, v23
	v_cmp_u_f32_e32 vcc_lo, v23, v23
	v_or_b32_e32 v52, 0x400000, v24
	v_lshlrev_b32_e32 v28, 16, v28
	v_cndmask_b32_e32 v23, v49, v50, vcc_lo
	v_cmp_u_f32_e32 vcc_lo, v24, v24
	v_bfe_u32 v49, v18, 16, 1
	v_add3_u32 v50, v53, v17, 0x7fff
	v_bfe_u32 v53, v19, 16, 1
	v_cndmask_b32_e32 v24, v51, v52, vcc_lo
	v_or_b32_e32 v51, 0x400000, v17
	v_cmp_u_f32_e32 vcc_lo, v17, v17
	v_add3_u32 v49, v49, v18, 0x7fff
	v_or_b32_e32 v52, 0x400000, v18
	v_and_b32_e32 v17, 0xffff0000, v22
	v_and_b32_e32 v22, 0xffff0000, v25
	v_cndmask_b32_e32 v50, v50, v51, vcc_lo
	v_cmp_u_f32_e32 vcc_lo, v18, v18
	v_add3_u32 v18, v53, v19, 0x7fff
	v_bfe_u32 v51, v20, 16, 1
	v_lshlrev_b32_e32 v25, 16, v25
	v_mul_f32_e32 v22, v17, v22
	v_cndmask_b32_e32 v49, v49, v52, vcc_lo
	v_or_b32_e32 v52, 0x400000, v19
	v_cmp_u_f32_e32 vcc_lo, v19, v19
	v_add3_u32 v51, v51, v20, 0x7fff
	v_or_b32_e32 v53, 0x400000, v20
	v_mul_f32_e32 v25, v21, v25
	v_bfe_u32 v19, v22, 16, 1
	v_cndmask_b32_e32 v52, v18, v52, vcc_lo
	v_cmp_u_f32_e32 vcc_lo, v20, v20
	v_and_b32_e32 v18, 0xffff0000, v24
	v_and_b32_e32 v24, 0xffff0000, v26
	v_add3_u32 v19, v19, v22, 0x7fff
	v_or_b32_e32 v54, 0x400000, v25
	v_cndmask_b32_e32 v20, v51, v53, vcc_lo
	v_bfe_u32 v51, v25, 16, 1
	v_or_b32_e32 v53, 0x400000, v22
	v_cmp_u_f32_e32 vcc_lo, v22, v22
	v_mul_f32_e32 v55, v18, v24
	v_and_b32_e32 v24, 0xffff0000, v23
	v_add3_u32 v51, v51, v25, 0x7fff
	v_lshlrev_b32_e32 v23, 16, v26
	v_cndmask_b32_e32 v26, v19, v53, vcc_lo
	v_cmp_u_f32_e32 vcc_lo, v25, v25
	v_and_b32_e32 v19, 0xffff0000, v49
	v_and_b32_e32 v49, 0xffff0000, v27
	v_mul_f32_e32 v23, v24, v23
	v_and_b32_e32 v22, 0xffff0000, v50
	v_cndmask_b32_e32 v25, v51, v54, vcc_lo
	v_bfe_u32 v51, v55, 16, 1
	v_lshlrev_b32_e32 v27, 16, v27
	v_bfe_u32 v53, v23, 16, 1
	v_mul_f32_e32 v49, v19, v49
	v_cmp_u_f32_e32 vcc_lo, v55, v55
	v_add3_u32 v50, v51, v55, 0x7fff
	v_or_b32_e32 v51, 0x400000, v55
	v_mul_f32_e32 v27, v22, v27
	v_bfe_u32 v54, v49, 16, 1
	v_and_b32_e32 v20, 0xffff0000, v20
	v_and_b32_e32 v25, 0xffff0000, v25
	v_cndmask_b32_e32 v50, v50, v51, vcc_lo
	v_add3_u32 v51, v53, v23, 0x7fff
	v_or_b32_e32 v53, 0x400000, v23
	v_cmp_u_f32_e32 vcc_lo, v23, v23
	v_bfe_u32 v55, v27, 16, 1
	v_mul_f32_e32 v56, v20, v56
	v_and_b32_e32 v23, 0xffff0000, v52
	v_or_b32_e32 v52, 0x400000, v27
	v_cndmask_b32_e32 v51, v51, v53, vcc_lo
	v_add3_u32 v53, v54, v49, 0x7fff
	v_or_b32_e32 v54, 0x400000, v49
	v_cmp_u_f32_e32 vcc_lo, v49, v49
	v_add3_u32 v55, v55, v27, 0x7fff
	v_bfe_u32 v57, v56, 16, 1
	v_mul_f32_e32 v28, v23, v28
	v_and_b32_e32 v26, 0xffff0000, v26
	v_cndmask_b32_e32 v49, v53, v54, vcc_lo
	v_cmp_u_f32_e32 vcc_lo, v27, v27
	v_or_b32_e32 v53, 0x400000, v56
	v_bfe_u32 v54, v28, 16, 1
	v_and_b32_e32 v51, 0xffff0000, v51
	v_and_b32_e32 v50, 0xffff0000, v50
	v_cndmask_b32_e32 v27, v55, v52, vcc_lo
	v_add3_u32 v52, v57, v56, 0x7fff
	v_cmp_u_f32_e32 vcc_lo, v56, v56
	v_add_f32_e32 v25, v25, v26
	v_add_f32_e32 v26, v51, v50
	v_and_b32_e32 v50, 0xffff0000, v13
	v_and_b32_e32 v27, 0xffff0000, v27
	v_cndmask_b32_e32 v52, v52, v53, vcc_lo
	v_add3_u32 v53, v54, v28, 0x7fff
	v_or_b32_e32 v54, 0x400000, v28
	v_cmp_u_f32_e32 vcc_lo, v28, v28
	v_and_b32_e32 v49, 0xffff0000, v49
	v_lshlrev_b32_e32 v13, 16, v13
	v_add_f32_e32 v25, v26, v25
	v_mul_f32_e32 v26, v17, v50
	v_cndmask_b32_e32 v28, v53, v54, vcc_lo
	v_add_f32_e32 v27, v27, v49
	v_mul_f32_e32 v49, v21, v13
	v_and_b32_e32 v50, 0xffff0000, v52
	v_bfe_u32 v51, v26, 16, 1
	v_and_b32_e32 v28, 0xffff0000, v28
	v_and_b32_e32 v52, 0xffff0000, v14
	v_add_f32_e32 v13, v27, v25
	v_bfe_u32 v27, v49, 16, 1
	v_lshlrev_b32_e32 v14, 16, v14
	v_add_f32_e32 v25, v28, v50
	v_add3_u32 v28, v51, v26, 0x7fff
	v_or_b32_e32 v50, 0x400000, v26
	v_mul_f32_e32 v51, v18, v52
	v_cmp_u_f32_e32 vcc_lo, v26, v26
	v_add3_u32 v27, v27, v49, 0x7fff
	v_or_b32_e32 v52, 0x400000, v49
	v_mul_f32_e32 v14, v24, v14
	v_and_b32_e32 v53, 0xffff0000, v16
	v_cndmask_b32_e32 v26, v28, v50, vcc_lo
	v_bfe_u32 v28, v51, 16, 1
	v_cmp_u_f32_e32 vcc_lo, v49, v49
	v_and_b32_e32 v49, 0xffff0000, v15
	v_or_b32_e32 v50, 0x400000, v51
	v_lshlrev_b32_e32 v15, 16, v15
	v_add3_u32 v28, v28, v51, 0x7fff
	v_cndmask_b32_e32 v27, v27, v52, vcc_lo
	v_bfe_u32 v52, v14, 16, 1
	v_mul_f32_e32 v49, v19, v49
	v_cmp_u_f32_e32 vcc_lo, v51, v51
	v_mul_f32_e32 v15, v22, v15
	v_or_b32_e32 v51, 0x400000, v14
	v_lshlrev_b32_e32 v16, 16, v16
	v_and_b32_e32 v27, 0xffff0000, v27
	v_cndmask_b32_e32 v28, v28, v50, vcc_lo
	v_add3_u32 v50, v52, v14, 0x7fff
	v_bfe_u32 v52, v49, 16, 1
	v_cmp_u_f32_e32 vcc_lo, v14, v14
	v_bfe_u32 v54, v15, 16, 1
	v_mul_f32_e32 v16, v23, v16
	v_and_b32_e32 v26, 0xffff0000, v26
	v_and_b32_e32 v28, 0xffff0000, v28
	v_cndmask_b32_e32 v14, v50, v51, vcc_lo
	v_add3_u32 v50, v52, v49, 0x7fff
	v_mul_f32_e32 v51, v20, v53
	v_or_b32_e32 v52, 0x400000, v49
	v_cmp_u_f32_e32 vcc_lo, v49, v49
	v_add3_u32 v53, v54, v15, 0x7fff
	v_or_b32_e32 v54, 0x400000, v15
	v_bfe_u32 v55, v51, 16, 1
	v_and_b32_e32 v14, 0xffff0000, v14
	v_cndmask_b32_e32 v49, v50, v52, vcc_lo
	v_cmp_u_f32_e32 vcc_lo, v15, v15
	v_or_b32_e32 v52, 0x400000, v51
	v_add3_u32 v50, v55, v51, 0x7fff
	v_add_f32_e32 v26, v27, v26
	v_add_f32_e32 v14, v14, v28
	v_cndmask_b32_e32 v15, v53, v54, vcc_lo
	v_bfe_u32 v53, v16, 16, 1
	v_cmp_u_f32_e32 vcc_lo, v51, v51
	v_and_b32_e32 v28, 0xffff0000, v9
	v_and_b32_e32 v27, 0xffff0000, v49
	;; [unrolled: 1-line block ×3, first 2 shown]
	v_add3_u32 v51, v53, v16, 0x7fff
	v_cndmask_b32_e32 v50, v50, v52, vcc_lo
	v_or_b32_e32 v52, 0x400000, v16
	v_cmp_u_f32_e32 vcc_lo, v16, v16
	v_lshlrev_b32_e32 v9, 16, v9
	v_add_f32_e32 v14, v14, v26
	v_mul_f32_e32 v26, v17, v28
	v_add_f32_e32 v15, v15, v27
	v_cndmask_b32_e32 v16, v51, v52, vcc_lo
	v_mul_f32_e32 v27, v21, v9
	v_and_b32_e32 v28, 0xffff0000, v50
	v_and_b32_e32 v49, 0xffff0000, v10
	v_bfe_u32 v50, v26, 16, 1
	v_and_b32_e32 v16, 0xffff0000, v16
	v_add_f32_e32 v9, v15, v14
	v_bfe_u32 v15, v27, 16, 1
	v_cmp_u_f32_e32 vcc_lo, v26, v26
	v_lshlrev_b32_e32 v10, 16, v10
	v_add_f32_e32 v14, v16, v28
	v_mul_f32_e32 v16, v18, v49
	v_add3_u32 v28, v50, v26, 0x7fff
	v_or_b32_e32 v49, 0x400000, v26
	v_add3_u32 v15, v15, v27, 0x7fff
	v_or_b32_e32 v50, 0x400000, v27
	v_bfe_u32 v51, v16, 16, 1
	v_mul_f32_e32 v10, v24, v10
	v_cndmask_b32_e32 v26, v28, v49, vcc_lo
	v_cmp_u_f32_e32 vcc_lo, v27, v27
	v_or_b32_e32 v28, 0x400000, v16
	v_add3_u32 v27, v51, v16, 0x7fff
	v_and_b32_e32 v49, 0xffff0000, v11
	v_lshlrev_b32_e32 v11, 16, v11
	v_cndmask_b32_e32 v15, v15, v50, vcc_lo
	v_cmp_u_f32_e32 vcc_lo, v16, v16
	v_bfe_u32 v50, v10, 16, 1
	v_and_b32_e32 v26, 0xffff0000, v26
	v_mul_f32_e32 v11, v22, v11
	v_and_b32_e32 v15, 0xffff0000, v15
	v_cndmask_b32_e32 v16, v27, v28, vcc_lo
	v_mul_f32_e32 v27, v19, v49
	v_add3_u32 v28, v50, v10, 0x7fff
	v_or_b32_e32 v49, 0x400000, v10
	v_and_b32_e32 v50, 0xffff0000, v12
	v_cmp_u_f32_e32 vcc_lo, v10, v10
	v_bfe_u32 v51, v27, 16, 1
	v_bfe_u32 v52, v11, 16, 1
	v_lshlrev_b32_e32 v12, 16, v12
	v_and_b32_e32 v16, 0xffff0000, v16
	v_cndmask_b32_e32 v10, v28, v49, vcc_lo
	v_mul_f32_e32 v28, v20, v50
	v_add3_u32 v49, v51, v27, 0x7fff
	v_or_b32_e32 v50, 0x400000, v27
	v_cmp_u_f32_e32 vcc_lo, v27, v27
	v_add3_u32 v51, v52, v11, 0x7fff
	v_or_b32_e32 v52, 0x400000, v11
	v_bfe_u32 v53, v28, 16, 1
	v_and_b32_e32 v10, 0xffff0000, v10
	v_cndmask_b32_e32 v27, v49, v50, vcc_lo
	v_cmp_u_f32_e32 vcc_lo, v11, v11
	v_or_b32_e32 v50, 0x400000, v28
	v_add3_u32 v49, v53, v28, 0x7fff
	v_mul_f32_e32 v12, v23, v12
	v_add_f32_e32 v15, v15, v26
	v_cndmask_b32_e32 v11, v51, v52, vcc_lo
	v_cmp_u_f32_e32 vcc_lo, v28, v28
	v_add_f32_e32 v10, v10, v16
	v_and_b32_e32 v16, 0xffff0000, v1
	v_and_b32_e32 v26, 0xffff0000, v27
	;; [unrolled: 1-line block ×3, first 2 shown]
	v_cndmask_b32_e32 v28, v49, v50, vcc_lo
	v_bfe_u32 v49, v12, 16, 1
	v_add_f32_e32 v10, v10, v15
	v_mul_f32_e32 v15, v17, v16
	v_add_f32_e32 v11, v11, v26
	v_lshlrev_b32_e32 v1, 16, v1
	v_add3_u32 v27, v49, v12, 0x7fff
	v_or_b32_e32 v49, 0x400000, v12
	v_cmp_u_f32_e32 vcc_lo, v12, v12
	v_bfe_u32 v16, v15, 16, 1
	v_add_f32_e32 v10, v11, v10
	v_and_b32_e32 v11, 0xffff0000, v2
	v_mul_f32_e32 v1, v21, v1
	v_cndmask_b32_e32 v12, v27, v49, vcc_lo
	v_add3_u32 v16, v16, v15, 0x7fff
	v_or_b32_e32 v26, 0x400000, v15
	v_mul_f32_e32 v11, v18, v11
	v_and_b32_e32 v27, 0xffff0000, v28
	v_bfe_u32 v28, v1, 16, 1
	v_cmp_u_f32_e32 vcc_lo, v15, v15
	v_lshlrev_b32_e32 v2, 16, v2
	v_or_b32_e32 v49, 0x400000, v1
	v_or_b32_e32 v50, 0x400000, v11
	v_and_b32_e32 v12, 0xffff0000, v12
	v_cndmask_b32_e32 v15, v16, v26, vcc_lo
	v_bfe_u32 v16, v11, 16, 1
	v_add3_u32 v26, v28, v1, 0x7fff
	v_and_b32_e32 v28, 0xffff0000, v3
	v_mul_f32_e32 v2, v24, v2
	v_cmp_u_f32_e32 vcc_lo, v1, v1
	v_add3_u32 v16, v16, v11, 0x7fff
	v_lshlrev_b32_e32 v3, 16, v3
	v_mul_f32_e32 v28, v19, v28
	v_and_b32_e32 v15, 0xffff0000, v15
	v_cndmask_b32_e32 v1, v26, v49, vcc_lo
	v_bfe_u32 v26, v2, 16, 1
	v_cmp_u_f32_e32 vcc_lo, v11, v11
	v_and_b32_e32 v49, 0xffff0000, v4
	v_mul_f32_e32 v3, v22, v3
	v_or_b32_e32 v51, 0x400000, v28
	v_add3_u32 v26, v26, v2, 0x7fff
	v_cndmask_b32_e32 v11, v16, v50, vcc_lo
	v_bfe_u32 v16, v28, 16, 1
	v_or_b32_e32 v50, 0x400000, v2
	v_cmp_u_f32_e32 vcc_lo, v2, v2
	v_mul_f32_e32 v49, v20, v49
	v_lshlrev_b32_e32 v4, 16, v4
	v_add3_u32 v16, v16, v28, 0x7fff
	v_and_b32_e32 v1, 0xffff0000, v1
	v_cndmask_b32_e32 v2, v26, v50, vcc_lo
	v_bfe_u32 v26, v3, 16, 1
	v_cmp_u_f32_e32 vcc_lo, v28, v28
	v_bfe_u32 v50, v49, 16, 1
	v_or_b32_e32 v28, 0x400000, v3
	v_mul_f32_e32 v4, v23, v4
	v_add3_u32 v26, v26, v3, 0x7fff
	v_cndmask_b32_e32 v16, v16, v51, vcc_lo
	v_cmp_u_f32_e32 vcc_lo, v3, v3
	v_add3_u32 v50, v50, v49, 0x7fff
	v_or_b32_e32 v51, 0x400000, v49
	v_and_b32_e32 v2, 0xffff0000, v2
	v_and_b32_e32 v11, 0xffff0000, v11
	v_cndmask_b32_e32 v3, v26, v28, vcc_lo
	v_cmp_u_f32_e32 vcc_lo, v49, v49
	v_bfe_u32 v28, v4, 16, 1
	v_add_f32_e32 v1, v1, v15
	v_add_f32_e32 v2, v2, v11
	v_and_b32_e32 v3, 0xffff0000, v3
	v_cndmask_b32_e32 v26, v50, v51, vcc_lo
	s_waitcnt vmcnt(0)
	v_lshlrev_b32_e32 v50, 16, v5
	v_and_b32_e32 v11, 0xffff0000, v16
	v_and_b32_e32 v5, 0xffff0000, v5
	v_add3_u32 v28, v28, v4, 0x7fff
	v_or_b32_e32 v49, 0x400000, v4
	v_mul_f32_e32 v15, v21, v50
	v_cmp_u_f32_e32 vcc_lo, v4, v4
	v_add_f32_e32 v1, v2, v1
	v_add_f32_e32 v3, v3, v11
	v_mul_f32_e32 v5, v17, v5
	v_bfe_u32 v2, v15, 16, 1
	v_lshlrev_b32_e32 v11, 16, v6
	v_cndmask_b32_e32 v4, v28, v49, vcc_lo
	v_or_b32_e32 v16, 0x400000, v15
	v_bfe_u32 v17, v5, 16, 1
	v_add3_u32 v2, v2, v15, 0x7fff
	v_mul_f32_e32 v11, v24, v11
	v_and_b32_e32 v6, 0xffff0000, v6
	v_cmp_u_f32_e32 vcc_lo, v15, v15
	v_add3_u32 v15, v17, v5, 0x7fff
	v_and_b32_e32 v4, 0xffff0000, v4
	v_bfe_u32 v17, v11, 16, 1
	v_mul_f32_e32 v6, v18, v6
	v_cndmask_b32_e32 v2, v2, v16, vcc_lo
	v_or_b32_e32 v16, 0x400000, v5
	v_lshlrev_b32_e32 v18, 16, v7
	v_cmp_u_f32_e32 vcc_lo, v5, v5
	v_and_b32_e32 v7, 0xffff0000, v7
	v_and_b32_e32 v2, 0xffff0000, v2
	v_add_f32_e32 v1, v3, v1
	v_mul_f32_e32 v18, v22, v18
	v_cndmask_b32_e32 v5, v15, v16, vcc_lo
	v_add3_u32 v15, v17, v11, 0x7fff
	v_or_b32_e32 v16, 0x400000, v11
	v_bfe_u32 v17, v6, 16, 1
	v_cmp_u_f32_e32 vcc_lo, v11, v11
	v_mul_f32_e32 v7, v19, v7
	v_lshlrev_b32_e32 v19, 16, v8
	v_and_b32_e32 v8, 0xffff0000, v8
	v_and_b32_e32 v5, 0xffff0000, v5
	v_cndmask_b32_e32 v11, v15, v16, vcc_lo
	v_add3_u32 v15, v17, v6, 0x7fff
	v_or_b32_e32 v16, 0x400000, v6
	v_bfe_u32 v17, v18, 16, 1
	v_cmp_u_f32_e32 vcc_lo, v6, v6
	v_mul_f32_e32 v8, v20, v8
	v_or_b32_e32 v20, 0x400000, v7
	v_and_b32_e32 v11, 0xffff0000, v11
	v_add_f32_e32 v2, v2, v5
	v_cndmask_b32_e32 v6, v15, v16, vcc_lo
	v_bfe_u32 v15, v7, 16, 1
	v_add3_u32 v16, v17, v18, 0x7fff
	v_mul_f32_e32 v17, v23, v19
	v_or_b32_e32 v19, 0x400000, v18
	v_cmp_u_f32_e32 vcc_lo, v18, v18
	v_add3_u32 v15, v15, v7, 0x7fff
	v_bfe_u32 v22, v8, 16, 1
	v_bfe_u32 v21, v17, 16, 1
	v_and_b32_e32 v6, 0xffff0000, v6
	v_cndmask_b32_e32 v16, v16, v19, vcc_lo
	v_cmp_u_f32_e32 vcc_lo, v7, v7
	v_add3_u32 v18, v22, v8, 0x7fff
	v_or_b32_e32 v19, 0x400000, v8
	v_add_f32_e32 v5, v11, v6
	v_cndmask_b32_e32 v7, v15, v20, vcc_lo
	v_cmp_u_f32_e32 vcc_lo, v8, v8
	v_add3_u32 v15, v21, v17, 0x7fff
	v_or_b32_e32 v20, 0x400000, v17
	v_add_f32_e32 v2, v5, v2
	v_and_b32_e32 v6, 0xffff0000, v7
	v_cndmask_b32_e32 v8, v18, v19, vcc_lo
	v_cmp_u_f32_e32 vcc_lo, v17, v17
	v_and_b32_e32 v7, 0xffff0000, v16
	v_cndmask_b32_e32 v11, v15, v20, vcc_lo
	v_and_b32_e32 v15, 0xffff0000, v26
	v_add_f32_e32 v5, v7, v6
	v_and_b32_e32 v6, 0xffff0000, v8
	v_add_f32_e32 v8, v12, v27
	;; [unrolled: 2-line block ×3, first 2 shown]
	v_add_f32_e32 v2, v5, v2
	v_add_f32_e32 v5, v25, v13
	;; [unrolled: 1-line block ×12, first 2 shown]
.LBB128_38:                             ;   in Loop: Header=BB128_39 Depth=1
	s_or_b32 exec_lo, exec_lo, s18
	v_add_nc_u32_e32 v48, 4, v48
	v_add_co_u32 v29, s0, v29, 16
	v_add_co_ci_u32_e64 v30, null, 0, v30, s0
	v_cmp_le_i32_e32 vcc_lo, s16, v48
	v_add_nc_u32_e32 v34, 64, v34
	v_add_nc_u32_e32 v46, 0x100, v46
	s_or_b32 s15, vcc_lo, s15
	s_andn2_b32 exec_lo, exec_lo, s15
	s_cbranch_execz .LBB128_50
.LBB128_39:                             ; =>This Inner Loop Header: Depth=1
	v_mul_hi_u32 v1, v34, s21
	v_mul_lo_u32 v2, v1, s12
	v_add_nc_u32_e32 v3, 1, v1
	v_sub_nc_u32_e32 v2, v34, v2
	v_subrev_nc_u32_e32 v4, s12, v2
	v_cmp_le_u32_e32 vcc_lo, s12, v2
	v_cndmask_b32_e32 v1, v1, v3, vcc_lo
	v_cndmask_b32_e32 v2, v2, v4, vcc_lo
	v_add_nc_u32_e32 v3, 1, v1
	v_cmp_le_u32_e32 vcc_lo, s12, v2
	v_cndmask_b32_e32 v1, v1, v3, vcc_lo
	v_xor_b32_e32 v1, s19, v1
	v_subrev_nc_u32_e32 v1, s19, v1
	v_add_nc_u32_e32 v2, s31, v1
	v_cmp_lt_i32_e64 s0, s4, v1
	v_sub_nc_u32_e32 v3, 0, v2
	v_max_i32_e32 v3, v2, v3
	v_ashrrev_i32_e32 v2, 31, v2
	v_mul_hi_u32 v4, v3, v47
	v_mul_lo_u32 v4, v4, s5
	v_sub_nc_u32_e32 v3, v3, v4
	v_subrev_nc_u32_e32 v4, s5, v3
	v_cmp_le_u32_e32 vcc_lo, s5, v3
	v_cndmask_b32_e32 v3, v3, v4, vcc_lo
	v_subrev_nc_u32_e32 v4, s5, v3
	v_cmp_le_u32_e32 vcc_lo, s5, v3
	v_cndmask_b32_e32 v3, v3, v4, vcc_lo
	v_xor_b32_e32 v3, v3, v2
	v_sub_nc_u32_e32 v2, v3, v2
	v_cmp_eq_u32_e32 vcc_lo, 0, v2
	s_or_b32 s0, vcc_lo, s0
	s_and_saveexec_b32 s18, s0
	s_cbranch_execz .LBB128_38
; %bb.40:                               ;   in Loop: Header=BB128_39 Depth=1
	global_load_dword v1, v[29:30], off
	v_add_nc_u32_e32 v53, v42, v34
	v_cmp_eq_u32_e64 s0, s14, v48
	v_add_nc_u32_e32 v56, 1, v53
	v_or_b32_e32 v54, 3, v53
	v_or_b32_e32 v55, 2, v53
	;; [unrolled: 1-line block ×6, first 2 shown]
	s_waitcnt vmcnt(0)
	v_mad_i64_i32 v[1:2], null, v1, s13, 0
	v_lshlrev_b64 v[1:2], 1, v[1:2]
	v_add_co_u32 v5, vcc_lo, v44, v1
	v_add_co_ci_u32_e64 v6, null, v45, v2, vcc_lo
	global_load_dwordx4 v[1:4], v[5:6], off
	ds_read2_b64 v[21:24], v46 offset1:1
	ds_read2_b64 v[17:20], v46 offset0:2 offset1:3
	s_and_saveexec_b32 s22, s0
	s_cbranch_execnz .LBB128_47
; %bb.41:                               ;   in Loop: Header=BB128_39 Depth=1
	s_or_b32 exec_lo, exec_lo, s22
	global_load_dwordx4 v[9:12], v[5:6], off offset:512
	s_and_saveexec_b32 s22, s0
	s_cbranch_execnz .LBB128_48
.LBB128_42:                             ;   in Loop: Header=BB128_39 Depth=1
	s_or_b32 exec_lo, exec_lo, s22
	global_load_dwordx4 v[13:16], v[5:6], off offset:1024
	s_and_saveexec_b32 s22, s0
	s_cbranch_execnz .LBB128_49
.LBB128_43:                             ;   in Loop: Header=BB128_39 Depth=1
	s_or_b32 exec_lo, exec_lo, s22
	global_load_dwordx4 v[25:28], v[5:6], off offset:1536
	s_and_saveexec_b32 s22, s0
	s_cbranch_execz .LBB128_45
.LBB128_44:                             ;   in Loop: Header=BB128_39 Depth=1
	v_cmp_gt_i32_e64 s1, s30, v53
	v_cmp_gt_i32_e32 vcc_lo, s17, v56
	v_cmp_gt_i32_e64 s2, s30, v55
	s_waitcnt vmcnt(0)
	v_cndmask_b32_e64 v7, 0, v25, s1
	v_cmp_gt_i32_e64 s1, s17, v54
	v_cndmask_b32_sdwa v25, v43, v25, vcc_lo dst_sel:DWORD dst_unused:UNUSED_PAD src0_sel:DWORD src1_sel:WORD_1
	v_cndmask_b32_e64 v8, 0, v26, s2
	v_cmp_gt_i32_e64 s2, s17, v52
	s_mov_b32 vcc_lo, s1
	v_cmp_gt_i32_e64 s1, s17, v50
	v_cndmask_b32_sdwa v26, v43, v26, vcc_lo dst_sel:DWORD dst_unused:UNUSED_PAD src0_sel:DWORD src1_sel:WORD_1
	v_cmp_gt_i32_e32 vcc_lo, s30, v51
	v_perm_b32 v25, v25, v7, 0x5040100
	v_perm_b32 v26, v26, v8, 0x5040100
	v_cndmask_b32_e32 v57, 0, v27, vcc_lo
	s_mov_b32 vcc_lo, s2
	v_cndmask_b32_sdwa v27, v43, v27, vcc_lo dst_sel:DWORD dst_unused:UNUSED_PAD src0_sel:DWORD src1_sel:WORD_1
	v_cmp_gt_i32_e32 vcc_lo, s30, v49
	v_perm_b32 v27, v27, v57, 0x5040100
	v_cndmask_b32_e32 v58, 0, v28, vcc_lo
	s_mov_b32 vcc_lo, s1
	v_cndmask_b32_sdwa v28, v43, v28, vcc_lo dst_sel:DWORD dst_unused:UNUSED_PAD src0_sel:DWORD src1_sel:WORD_1
	v_perm_b32 v28, v28, v58, 0x5040100
.LBB128_45:                             ;   in Loop: Header=BB128_39 Depth=1
	s_or_b32 exec_lo, exec_lo, s22
	v_add_co_u32 v5, vcc_lo, 0x800, v5
	v_add_co_ci_u32_e64 v6, null, 0, v6, vcc_lo
	global_load_dwordx4 v[5:8], v[5:6], off
	s_and_saveexec_b32 s2, s0
	s_cbranch_execz .LBB128_37
; %bb.46:                               ;   in Loop: Header=BB128_39 Depth=1
	v_cmp_gt_i32_e64 s0, s30, v53
	v_cmp_gt_i32_e32 vcc_lo, s17, v56
	v_cmp_gt_i32_e64 s1, s30, v55
	s_waitcnt vmcnt(0)
	v_cndmask_b32_e64 v53, 0, v5, s0
	v_cmp_gt_i32_e64 s0, s17, v54
	v_cndmask_b32_sdwa v5, v43, v5, vcc_lo dst_sel:DWORD dst_unused:UNUSED_PAD src0_sel:DWORD src1_sel:WORD_1
	v_cndmask_b32_e64 v54, 0, v6, s1
	v_cmp_gt_i32_e64 s1, s17, v52
	s_mov_b32 vcc_lo, s0
	v_cmp_gt_i32_e64 s0, s17, v50
	v_cndmask_b32_sdwa v6, v43, v6, vcc_lo dst_sel:DWORD dst_unused:UNUSED_PAD src0_sel:DWORD src1_sel:WORD_1
	v_cmp_gt_i32_e32 vcc_lo, s30, v51
	v_perm_b32 v5, v5, v53, 0x5040100
	v_perm_b32 v6, v6, v54, 0x5040100
	v_cndmask_b32_e32 v51, 0, v7, vcc_lo
	s_mov_b32 vcc_lo, s1
	v_cndmask_b32_sdwa v7, v43, v7, vcc_lo dst_sel:DWORD dst_unused:UNUSED_PAD src0_sel:DWORD src1_sel:WORD_1
	v_cmp_gt_i32_e32 vcc_lo, s30, v49
	v_perm_b32 v7, v7, v51, 0x5040100
	v_cndmask_b32_e32 v49, 0, v8, vcc_lo
	s_mov_b32 vcc_lo, s0
	v_cndmask_b32_sdwa v8, v43, v8, vcc_lo dst_sel:DWORD dst_unused:UNUSED_PAD src0_sel:DWORD src1_sel:WORD_1
	v_perm_b32 v8, v8, v49, 0x5040100
	s_branch .LBB128_37
.LBB128_47:                             ;   in Loop: Header=BB128_39 Depth=1
	v_cmp_gt_i32_e64 s1, s30, v53
	v_cmp_gt_i32_e32 vcc_lo, s17, v56
	v_cmp_gt_i32_e64 s2, s30, v55
	s_waitcnt vmcnt(0)
	v_cndmask_b32_e64 v7, 0, v1, s1
	v_cmp_gt_i32_e64 s1, s17, v54
	v_cndmask_b32_sdwa v1, v43, v1, vcc_lo dst_sel:DWORD dst_unused:UNUSED_PAD src0_sel:DWORD src1_sel:WORD_1
	v_cndmask_b32_e64 v8, 0, v2, s2
	v_cmp_gt_i32_e64 s2, s17, v52
	s_mov_b32 vcc_lo, s1
	v_cmp_gt_i32_e64 s1, s17, v50
	v_cndmask_b32_sdwa v2, v43, v2, vcc_lo dst_sel:DWORD dst_unused:UNUSED_PAD src0_sel:DWORD src1_sel:WORD_1
	v_cmp_gt_i32_e32 vcc_lo, s30, v51
	v_perm_b32 v1, v1, v7, 0x5040100
	v_perm_b32 v2, v2, v8, 0x5040100
	v_cndmask_b32_e32 v9, 0, v3, vcc_lo
	s_mov_b32 vcc_lo, s2
	v_cndmask_b32_sdwa v3, v43, v3, vcc_lo dst_sel:DWORD dst_unused:UNUSED_PAD src0_sel:DWORD src1_sel:WORD_1
	v_cmp_gt_i32_e32 vcc_lo, s30, v49
	v_perm_b32 v3, v3, v9, 0x5040100
	v_cndmask_b32_e32 v10, 0, v4, vcc_lo
	s_mov_b32 vcc_lo, s1
	v_cndmask_b32_sdwa v4, v43, v4, vcc_lo dst_sel:DWORD dst_unused:UNUSED_PAD src0_sel:DWORD src1_sel:WORD_1
	v_perm_b32 v4, v4, v10, 0x5040100
	s_or_b32 exec_lo, exec_lo, s22
	global_load_dwordx4 v[9:12], v[5:6], off offset:512
	s_and_saveexec_b32 s22, s0
	s_cbranch_execz .LBB128_42
.LBB128_48:                             ;   in Loop: Header=BB128_39 Depth=1
	v_cmp_gt_i32_e64 s1, s30, v53
	v_cmp_gt_i32_e32 vcc_lo, s17, v56
	v_cmp_gt_i32_e64 s2, s30, v55
	s_waitcnt vmcnt(0)
	v_cndmask_b32_e64 v7, 0, v9, s1
	v_cmp_gt_i32_e64 s1, s17, v54
	v_cndmask_b32_sdwa v9, v43, v9, vcc_lo dst_sel:DWORD dst_unused:UNUSED_PAD src0_sel:DWORD src1_sel:WORD_1
	v_cndmask_b32_e64 v8, 0, v10, s2
	v_cmp_gt_i32_e64 s2, s17, v52
	s_mov_b32 vcc_lo, s1
	v_cmp_gt_i32_e64 s1, s17, v50
	v_cndmask_b32_sdwa v10, v43, v10, vcc_lo dst_sel:DWORD dst_unused:UNUSED_PAD src0_sel:DWORD src1_sel:WORD_1
	v_cmp_gt_i32_e32 vcc_lo, s30, v51
	v_perm_b32 v9, v9, v7, 0x5040100
	v_perm_b32 v10, v10, v8, 0x5040100
	v_cndmask_b32_e32 v13, 0, v11, vcc_lo
	s_mov_b32 vcc_lo, s2
	v_cndmask_b32_sdwa v11, v43, v11, vcc_lo dst_sel:DWORD dst_unused:UNUSED_PAD src0_sel:DWORD src1_sel:WORD_1
	v_cmp_gt_i32_e32 vcc_lo, s30, v49
	v_perm_b32 v11, v11, v13, 0x5040100
	v_cndmask_b32_e32 v14, 0, v12, vcc_lo
	s_mov_b32 vcc_lo, s1
	v_cndmask_b32_sdwa v12, v43, v12, vcc_lo dst_sel:DWORD dst_unused:UNUSED_PAD src0_sel:DWORD src1_sel:WORD_1
	v_perm_b32 v12, v12, v14, 0x5040100
	s_or_b32 exec_lo, exec_lo, s22
	global_load_dwordx4 v[13:16], v[5:6], off offset:1024
	s_and_saveexec_b32 s22, s0
	s_cbranch_execz .LBB128_43
.LBB128_49:                             ;   in Loop: Header=BB128_39 Depth=1
	v_cmp_gt_i32_e64 s1, s30, v53
	v_cmp_gt_i32_e32 vcc_lo, s17, v56
	v_cmp_gt_i32_e64 s2, s30, v55
	s_waitcnt vmcnt(0)
	v_cndmask_b32_e64 v7, 0, v13, s1
	v_cmp_gt_i32_e64 s1, s17, v54
	v_cndmask_b32_sdwa v13, v43, v13, vcc_lo dst_sel:DWORD dst_unused:UNUSED_PAD src0_sel:DWORD src1_sel:WORD_1
	v_cndmask_b32_e64 v8, 0, v14, s2
	v_cmp_gt_i32_e64 s2, s17, v52
	s_mov_b32 vcc_lo, s1
	v_cmp_gt_i32_e64 s1, s17, v50
	v_cndmask_b32_sdwa v14, v43, v14, vcc_lo dst_sel:DWORD dst_unused:UNUSED_PAD src0_sel:DWORD src1_sel:WORD_1
	v_cmp_gt_i32_e32 vcc_lo, s30, v51
	v_perm_b32 v13, v13, v7, 0x5040100
	v_perm_b32 v14, v14, v8, 0x5040100
	v_cndmask_b32_e32 v25, 0, v15, vcc_lo
	s_mov_b32 vcc_lo, s2
	v_cndmask_b32_sdwa v15, v43, v15, vcc_lo dst_sel:DWORD dst_unused:UNUSED_PAD src0_sel:DWORD src1_sel:WORD_1
	v_cmp_gt_i32_e32 vcc_lo, s30, v49
	v_perm_b32 v15, v15, v25, 0x5040100
	v_cndmask_b32_e32 v26, 0, v16, vcc_lo
	s_mov_b32 vcc_lo, s1
	v_cndmask_b32_sdwa v16, v43, v16, vcc_lo dst_sel:DWORD dst_unused:UNUSED_PAD src0_sel:DWORD src1_sel:WORD_1
	v_perm_b32 v16, v16, v26, 0x5040100
	s_or_b32 exec_lo, exec_lo, s22
	global_load_dwordx4 v[25:28], v[5:6], off offset:1536
	s_and_saveexec_b32 s22, s0
	s_cbranch_execnz .LBB128_44
	s_branch .LBB128_45
.LBB128_50:
	s_or_b32 exec_lo, exec_lo, s15
.LBB128_51:
	s_or_b32 exec_lo, exec_lo, s3
	ds_bpermute_b32 v1, v36, v41
	ds_bpermute_b32 v2, v36, v40
	;; [unrolled: 1-line block ×5, first 2 shown]
	v_lshrrev_b32_e32 v6, 1, v35
	v_mul_u32_u24_e32 v8, 0x140, v33
	v_and_b32_e32 v11, 0x3c1, v0
	s_mov_b32 s0, exec_lo
	s_waitcnt lgkmcnt(0)
	v_lshl_add_u32 v7, v6, 2, 0xc0
	s_barrier
	buffer_gl0_inv
	v_add_f32_e32 v5, v41, v1
	v_add_f32_e32 v4, v40, v2
	v_add_f32_e32 v3, v39, v3
	v_add_f32_e32 v2, v38, v9
	v_add_f32_e32 v1, v37, v10
	v_cmpx_eq_u32_e32 64, v11
	s_cbranch_execz .LBB128_53
; %bb.52:
	v_add_nc_u32_e32 v9, v7, v8
	v_add_nc_u32_e32 v10, 0xfffffd80, v9
	v_add_nc_u32_e32 v11, 0xfffffdc0, v9
	v_add_nc_u32_e32 v12, 0xfffffe00, v9
	v_add_nc_u32_e32 v13, 0xfffffe40, v9
	v_add_nc_u32_e32 v9, 0xfffffe80, v9
	ds_write_b32 v10, v5
	ds_write_b32 v11, v4
	;; [unrolled: 1-line block ×5, first 2 shown]
.LBB128_53:
	s_or_b32 exec_lo, exec_lo, s0
	v_lshlrev_b32_e32 v6, 2, v6
	s_mov_b32 s1, exec_lo
	v_cmp_eq_u32_e32 vcc_lo, 0, v32
	s_waitcnt lgkmcnt(0)
	s_barrier
	v_add3_u32 v6, 0xc0, v8, v6
	buffer_gl0_inv
	v_cmpx_gt_u32_e32 64, v0
	s_cbranch_execz .LBB128_61
; %bb.54:
	s_and_saveexec_b32 s0, vcc_lo
	s_cbranch_execnz .LBB128_74
; %bb.55:
	s_or_b32 exec_lo, exec_lo, s0
	s_and_saveexec_b32 s0, vcc_lo
	s_cbranch_execnz .LBB128_75
.LBB128_56:
	s_or_b32 exec_lo, exec_lo, s0
	s_and_saveexec_b32 s0, vcc_lo
	s_cbranch_execnz .LBB128_76
.LBB128_57:
	s_or_b32 exec_lo, exec_lo, s0
	s_and_saveexec_b32 s0, vcc_lo
	s_cbranch_execnz .LBB128_77
.LBB128_58:
	s_or_b32 exec_lo, exec_lo, s0
	s_and_saveexec_b32 s0, vcc_lo
	s_cbranch_execz .LBB128_60
.LBB128_59:
	ds_read_b32 v8, v6 offset:256
	s_waitcnt lgkmcnt(0)
	v_add_f32_e32 v1, v1, v8
.LBB128_60:
	s_or_b32 exec_lo, exec_lo, s0
.LBB128_61:
	s_or_b32 exec_lo, exec_lo, s1
	v_and_b32_e32 v8, 0x3e1, v0
	s_mov_b32 s1, exec_lo
	s_barrier
	buffer_gl0_inv
	v_cmpx_eq_u32_e32 32, v8
	s_cbranch_execz .LBB128_63
; %bb.62:
	ds_write2_b32 v7, v5, v4 offset1:16
	ds_write2_b32 v7, v3, v2 offset0:32 offset1:48
	ds_write_b32 v7, v1 offset:256
.LBB128_63:
	s_or_b32 exec_lo, exec_lo, s1
	s_mov_b32 s1, exec_lo
	s_waitcnt lgkmcnt(0)
	s_barrier
	buffer_gl0_inv
	v_cmpx_gt_u32_e32 32, v0
	s_cbranch_execz .LBB128_71
; %bb.64:
	s_and_saveexec_b32 s0, vcc_lo
	s_cbranch_execnz .LBB128_78
; %bb.65:
	s_or_b32 exec_lo, exec_lo, s0
	s_and_saveexec_b32 s0, vcc_lo
	s_cbranch_execnz .LBB128_79
.LBB128_66:
	s_or_b32 exec_lo, exec_lo, s0
	s_and_saveexec_b32 s0, vcc_lo
	s_cbranch_execnz .LBB128_80
.LBB128_67:
	s_or_b32 exec_lo, exec_lo, s0
	s_and_saveexec_b32 s0, vcc_lo
	s_cbranch_execnz .LBB128_81
.LBB128_68:
	s_or_b32 exec_lo, exec_lo, s0
	s_and_saveexec_b32 s0, vcc_lo
	s_cbranch_execz .LBB128_70
.LBB128_69:
	ds_read_b32 v0, v6 offset:256
	s_waitcnt lgkmcnt(0)
	v_add_f32_e32 v1, v1, v0
.LBB128_70:
	s_or_b32 exec_lo, exec_lo, s0
.LBB128_71:
	s_or_b32 exec_lo, exec_lo, s1
	s_barrier
	buffer_gl0_inv
	s_mov_b32 s0, exec_lo
	v_cmpx_eq_u32_e32 0, v8
	s_cbranch_execz .LBB128_73
; %bb.72:
	v_bfe_u32 v6, v5, 16, 1
	v_or_b32_e32 v7, 0x400000, v5
	v_bfe_u32 v8, v4, 16, 1
	v_cmp_u_f32_e32 vcc_lo, v5, v5
	s_mul_i32 s0, s10, s11
	v_add3_u32 v6, v6, v5, 0x7fff
	s_mul_i32 s0, s0, s9
	v_add3_u32 v8, v8, v4, 0x7fff
	v_or_b32_e32 v9, 0x400000, v4
	s_mulk_i32 s0, 0x50
	v_cndmask_b32_e32 v5, v6, v7, vcc_lo
	v_bfe_u32 v6, v3, 16, 1
	v_cmp_u_f32_e32 vcc_lo, v4, v4
	s_ashr_i32 s1, s0, 31
	v_bfe_u32 v7, v2, 16, 1
	s_lshl_b64 s[0:1], s[0:1], 1
	v_add3_u32 v6, v6, v3, 0x7fff
	v_cndmask_b32_e32 v4, v8, v9, vcc_lo
	v_or_b32_e32 v9, 0x400000, v3
	v_cmp_u_f32_e32 vcc_lo, v3, v3
	s_mul_i32 s2, s11, s20
	s_add_u32 s5, s6, s0
	s_addc_u32 s6, s7, s1
	s_ashr_i32 s3, s2, 31
	v_bfe_u32 v8, v1, 16, 1
	v_add3_u32 v7, v7, v2, 0x7fff
	v_or_b32_e32 v10, 0x400000, v2
	v_cndmask_b32_e32 v3, v6, v9, vcc_lo
	v_cmp_u_f32_e32 vcc_lo, v2, v2
	s_lshl_b64 s[0:1], s[2:3], 1
	s_mul_i32 s4, s8, 0x50
	s_add_u32 s2, s5, s0
	s_addc_u32 s3, s6, s1
	s_ashr_i32 s5, s4, 31
	v_add3_u32 v8, v8, v1, 0x7fff
	v_or_b32_e32 v11, 0x400000, v1
	v_cndmask_b32_e32 v2, v7, v10, vcc_lo
	v_cmp_u_f32_e32 vcc_lo, v1, v1
	v_lshlrev_b32_e32 v0, 1, v31
	s_lshl_b64 s[0:1], s[4:5], 1
	s_add_u32 s0, s2, s0
	s_addc_u32 s1, s3, s1
	v_cndmask_b32_e32 v1, v8, v11, vcc_lo
	global_store_short_d16_hi v0, v5, s[0:1]
	global_store_short_d16_hi v0, v4, s[0:1] offset:32
	global_store_short_d16_hi v0, v3, s[0:1] offset:64
	;; [unrolled: 1-line block ×4, first 2 shown]
.LBB128_73:
	s_endpgm
.LBB128_74:
	ds_read_b32 v8, v6
	s_waitcnt lgkmcnt(0)
	v_add_f32_e32 v5, v5, v8
	s_or_b32 exec_lo, exec_lo, s0
	s_and_saveexec_b32 s0, vcc_lo
	s_cbranch_execz .LBB128_56
.LBB128_75:
	ds_read_b32 v8, v6 offset:64
	s_waitcnt lgkmcnt(0)
	v_add_f32_e32 v4, v4, v8
	s_or_b32 exec_lo, exec_lo, s0
	s_and_saveexec_b32 s0, vcc_lo
	s_cbranch_execz .LBB128_57
.LBB128_76:
	ds_read_b32 v8, v6 offset:128
	s_waitcnt lgkmcnt(0)
	v_add_f32_e32 v3, v3, v8
	s_or_b32 exec_lo, exec_lo, s0
	s_and_saveexec_b32 s0, vcc_lo
	s_cbranch_execz .LBB128_58
.LBB128_77:
	ds_read_b32 v8, v6 offset:192
	s_waitcnt lgkmcnt(0)
	v_add_f32_e32 v2, v2, v8
	s_or_b32 exec_lo, exec_lo, s0
	s_and_saveexec_b32 s0, vcc_lo
	s_cbranch_execnz .LBB128_59
	s_branch .LBB128_60
.LBB128_78:
	ds_read_b32 v0, v6
	s_waitcnt lgkmcnt(0)
	v_add_f32_e32 v5, v5, v0
	s_or_b32 exec_lo, exec_lo, s0
	s_and_saveexec_b32 s0, vcc_lo
	s_cbranch_execz .LBB128_66
.LBB128_79:
	ds_read_b32 v0, v6 offset:64
	s_waitcnt lgkmcnt(0)
	v_add_f32_e32 v4, v4, v0
	s_or_b32 exec_lo, exec_lo, s0
	s_and_saveexec_b32 s0, vcc_lo
	s_cbranch_execz .LBB128_67
.LBB128_80:
	ds_read_b32 v0, v6 offset:128
	s_waitcnt lgkmcnt(0)
	v_add_f32_e32 v3, v3, v0
	s_or_b32 exec_lo, exec_lo, s0
	s_and_saveexec_b32 s0, vcc_lo
	s_cbranch_execz .LBB128_68
.LBB128_81:
	ds_read_b32 v0, v6 offset:192
	s_waitcnt lgkmcnt(0)
	v_add_f32_e32 v2, v2, v0
	s_or_b32 exec_lo, exec_lo, s0
	s_and_saveexec_b32 s0, vcc_lo
	s_cbranch_execnz .LBB128_69
	s_branch .LBB128_70
	.section	.rodata,"a",@progbits
	.p2align	6, 0x0
	.amdhsa_kernel _ZN4vllm25paged_attention_v1_kernelI14__hip_bfloat16S1_Li80ELi16ELi128ELNS_18Fp8KVCacheDataTypeE0ELb1EEEvPT_PKS3_PKT0_S9_ifPKiSB_iPKfiiiSD_SD_iiiii
		.amdhsa_group_segment_fixed_size 192
		.amdhsa_private_segment_fixed_size 0
		.amdhsa_kernarg_size 384
		.amdhsa_user_sgpr_count 6
		.amdhsa_user_sgpr_private_segment_buffer 1
		.amdhsa_user_sgpr_dispatch_ptr 0
		.amdhsa_user_sgpr_queue_ptr 0
		.amdhsa_user_sgpr_kernarg_segment_ptr 1
		.amdhsa_user_sgpr_dispatch_id 0
		.amdhsa_user_sgpr_flat_scratch_init 0
		.amdhsa_user_sgpr_private_segment_size 0
		.amdhsa_wavefront_size32 1
		.amdhsa_uses_dynamic_stack 0
		.amdhsa_system_sgpr_private_segment_wavefront_offset 0
		.amdhsa_system_sgpr_workgroup_id_x 1
		.amdhsa_system_sgpr_workgroup_id_y 1
		.amdhsa_system_sgpr_workgroup_id_z 1
		.amdhsa_system_sgpr_workgroup_info 0
		.amdhsa_system_vgpr_workitem_id 0
		.amdhsa_next_free_vgpr 91
		.amdhsa_next_free_sgpr 38
		.amdhsa_reserve_vcc 1
		.amdhsa_reserve_flat_scratch 0
		.amdhsa_float_round_mode_32 0
		.amdhsa_float_round_mode_16_64 0
		.amdhsa_float_denorm_mode_32 3
		.amdhsa_float_denorm_mode_16_64 3
		.amdhsa_dx10_clamp 1
		.amdhsa_ieee_mode 1
		.amdhsa_fp16_overflow 0
		.amdhsa_workgroup_processor_mode 1
		.amdhsa_memory_ordered 1
		.amdhsa_forward_progress 1
		.amdhsa_shared_vgpr_count 0
		.amdhsa_exception_fp_ieee_invalid_op 0
		.amdhsa_exception_fp_denorm_src 0
		.amdhsa_exception_fp_ieee_div_zero 0
		.amdhsa_exception_fp_ieee_overflow 0
		.amdhsa_exception_fp_ieee_underflow 0
		.amdhsa_exception_fp_ieee_inexact 0
		.amdhsa_exception_int_div_zero 0
	.end_amdhsa_kernel
	.section	.text._ZN4vllm25paged_attention_v1_kernelI14__hip_bfloat16S1_Li80ELi16ELi128ELNS_18Fp8KVCacheDataTypeE0ELb1EEEvPT_PKS3_PKT0_S9_ifPKiSB_iPKfiiiSD_SD_iiiii,"axG",@progbits,_ZN4vllm25paged_attention_v1_kernelI14__hip_bfloat16S1_Li80ELi16ELi128ELNS_18Fp8KVCacheDataTypeE0ELb1EEEvPT_PKS3_PKT0_S9_ifPKiSB_iPKfiiiSD_SD_iiiii,comdat
.Lfunc_end128:
	.size	_ZN4vllm25paged_attention_v1_kernelI14__hip_bfloat16S1_Li80ELi16ELi128ELNS_18Fp8KVCacheDataTypeE0ELb1EEEvPT_PKS3_PKT0_S9_ifPKiSB_iPKfiiiSD_SD_iiiii, .Lfunc_end128-_ZN4vllm25paged_attention_v1_kernelI14__hip_bfloat16S1_Li80ELi16ELi128ELNS_18Fp8KVCacheDataTypeE0ELb1EEEvPT_PKS3_PKT0_S9_ifPKiSB_iPKfiiiSD_SD_iiiii
                                        ; -- End function
	.set _ZN4vllm25paged_attention_v1_kernelI14__hip_bfloat16S1_Li80ELi16ELi128ELNS_18Fp8KVCacheDataTypeE0ELb1EEEvPT_PKS3_PKT0_S9_ifPKiSB_iPKfiiiSD_SD_iiiii.num_vgpr, 91
	.set _ZN4vllm25paged_attention_v1_kernelI14__hip_bfloat16S1_Li80ELi16ELi128ELNS_18Fp8KVCacheDataTypeE0ELb1EEEvPT_PKS3_PKT0_S9_ifPKiSB_iPKfiiiSD_SD_iiiii.num_agpr, 0
	.set _ZN4vllm25paged_attention_v1_kernelI14__hip_bfloat16S1_Li80ELi16ELi128ELNS_18Fp8KVCacheDataTypeE0ELb1EEEvPT_PKS3_PKT0_S9_ifPKiSB_iPKfiiiSD_SD_iiiii.numbered_sgpr, 38
	.set _ZN4vllm25paged_attention_v1_kernelI14__hip_bfloat16S1_Li80ELi16ELi128ELNS_18Fp8KVCacheDataTypeE0ELb1EEEvPT_PKS3_PKT0_S9_ifPKiSB_iPKfiiiSD_SD_iiiii.num_named_barrier, 0
	.set _ZN4vllm25paged_attention_v1_kernelI14__hip_bfloat16S1_Li80ELi16ELi128ELNS_18Fp8KVCacheDataTypeE0ELb1EEEvPT_PKS3_PKT0_S9_ifPKiSB_iPKfiiiSD_SD_iiiii.private_seg_size, 0
	.set _ZN4vllm25paged_attention_v1_kernelI14__hip_bfloat16S1_Li80ELi16ELi128ELNS_18Fp8KVCacheDataTypeE0ELb1EEEvPT_PKS3_PKT0_S9_ifPKiSB_iPKfiiiSD_SD_iiiii.uses_vcc, 1
	.set _ZN4vllm25paged_attention_v1_kernelI14__hip_bfloat16S1_Li80ELi16ELi128ELNS_18Fp8KVCacheDataTypeE0ELb1EEEvPT_PKS3_PKT0_S9_ifPKiSB_iPKfiiiSD_SD_iiiii.uses_flat_scratch, 0
	.set _ZN4vllm25paged_attention_v1_kernelI14__hip_bfloat16S1_Li80ELi16ELi128ELNS_18Fp8KVCacheDataTypeE0ELb1EEEvPT_PKS3_PKT0_S9_ifPKiSB_iPKfiiiSD_SD_iiiii.has_dyn_sized_stack, 0
	.set _ZN4vllm25paged_attention_v1_kernelI14__hip_bfloat16S1_Li80ELi16ELi128ELNS_18Fp8KVCacheDataTypeE0ELb1EEEvPT_PKS3_PKT0_S9_ifPKiSB_iPKfiiiSD_SD_iiiii.has_recursion, 0
	.set _ZN4vllm25paged_attention_v1_kernelI14__hip_bfloat16S1_Li80ELi16ELi128ELNS_18Fp8KVCacheDataTypeE0ELb1EEEvPT_PKS3_PKT0_S9_ifPKiSB_iPKfiiiSD_SD_iiiii.has_indirect_call, 0
	.section	.AMDGPU.csdata,"",@progbits
; Kernel info:
; codeLenInByte = 8524
; TotalNumSgprs: 40
; NumVgprs: 91
; ScratchSize: 0
; MemoryBound: 0
; FloatMode: 240
; IeeeMode: 1
; LDSByteSize: 192 bytes/workgroup (compile time only)
; SGPRBlocks: 0
; VGPRBlocks: 11
; NumSGPRsForWavesPerEU: 40
; NumVGPRsForWavesPerEU: 91
; Occupancy: 10
; WaveLimiterHint : 1
; COMPUTE_PGM_RSRC2:SCRATCH_EN: 0
; COMPUTE_PGM_RSRC2:USER_SGPR: 6
; COMPUTE_PGM_RSRC2:TRAP_HANDLER: 0
; COMPUTE_PGM_RSRC2:TGID_X_EN: 1
; COMPUTE_PGM_RSRC2:TGID_Y_EN: 1
; COMPUTE_PGM_RSRC2:TGID_Z_EN: 1
; COMPUTE_PGM_RSRC2:TIDIG_COMP_CNT: 0
	.section	.text._ZN4vllm25paged_attention_v1_kernelI14__hip_bfloat16S1_Li96ELi16ELi128ELNS_18Fp8KVCacheDataTypeE0ELb1EEEvPT_PKS3_PKT0_S9_ifPKiSB_iPKfiiiSD_SD_iiiii,"axG",@progbits,_ZN4vllm25paged_attention_v1_kernelI14__hip_bfloat16S1_Li96ELi16ELi128ELNS_18Fp8KVCacheDataTypeE0ELb1EEEvPT_PKS3_PKT0_S9_ifPKiSB_iPKfiiiSD_SD_iiiii,comdat
	.protected	_ZN4vllm25paged_attention_v1_kernelI14__hip_bfloat16S1_Li96ELi16ELi128ELNS_18Fp8KVCacheDataTypeE0ELb1EEEvPT_PKS3_PKT0_S9_ifPKiSB_iPKfiiiSD_SD_iiiii ; -- Begin function _ZN4vllm25paged_attention_v1_kernelI14__hip_bfloat16S1_Li96ELi16ELi128ELNS_18Fp8KVCacheDataTypeE0ELb1EEEvPT_PKS3_PKT0_S9_ifPKiSB_iPKfiiiSD_SD_iiiii
	.globl	_ZN4vllm25paged_attention_v1_kernelI14__hip_bfloat16S1_Li96ELi16ELi128ELNS_18Fp8KVCacheDataTypeE0ELb1EEEvPT_PKS3_PKT0_S9_ifPKiSB_iPKfiiiSD_SD_iiiii
	.p2align	8
	.type	_ZN4vllm25paged_attention_v1_kernelI14__hip_bfloat16S1_Li96ELi16ELi128ELNS_18Fp8KVCacheDataTypeE0ELb1EEEvPT_PKS3_PKT0_S9_ifPKiSB_iPKfiiiSD_SD_iiiii,@function
_ZN4vllm25paged_attention_v1_kernelI14__hip_bfloat16S1_Li96ELi16ELi128ELNS_18Fp8KVCacheDataTypeE0ELb1EEEvPT_PKS3_PKT0_S9_ifPKiSB_iPKfiiiSD_SD_iiiii: ; @_ZN4vllm25paged_attention_v1_kernelI14__hip_bfloat16S1_Li96ELi16ELi128ELNS_18Fp8KVCacheDataTypeE0ELb1EEEvPT_PKS3_PKT0_S9_ifPKiSB_iPKfiiiSD_SD_iiiii
; %bb.0:
	s_clause 0x2
	s_load_dword s9, s[4:5], 0x80
	s_load_dwordx2 s[0:1], s[4:5], 0x30
	s_load_dwordx2 s[28:29], s[4:5], 0x20
	s_mov_b32 s10, s7
	s_ashr_i32 s11, s7, 31
	s_mov_b32 s33, 0
	s_lshl_b64 s[2:3], s[10:11], 2
	s_waitcnt lgkmcnt(0)
	s_add_u32 s0, s0, s2
	s_addc_u32 s1, s1, s3
	s_abs_i32 s2, s28
	s_abs_i32 s11, s9
	v_cvt_f32_u32_e32 v1, s2
	s_sub_i32 s7, 0, s2
	v_rcp_iflag_f32_e32 v1, v1
	v_mul_f32_e32 v1, 0x4f7ffffe, v1
	v_cvt_u32_f32_e32 v1, v1
	v_readfirstlane_b32 s3, v1
	s_mul_i32 s7, s7, s3
	s_mul_hi_u32 s7, s3, s7
	s_add_i32 s3, s3, s7
	s_xor_b32 s7, s9, s28
	s_mul_hi_u32 s3, s11, s3
	s_ashr_i32 s7, s7, 31
	s_mul_i32 s12, s3, s2
	s_sub_i32 s11, s11, s12
	s_add_i32 s12, s3, 1
	s_sub_i32 s13, s11, s2
	s_cmp_ge_u32 s11, s2
	s_cselect_b32 s3, s12, s3
	s_cselect_b32 s11, s13, s11
	s_add_i32 s12, s3, 1
	s_cmp_ge_u32 s11, s2
	s_cselect_b32 s2, s12, s3
	s_abs_i32 s22, s6
	s_xor_b32 s2, s2, s7
	s_sub_i32 s16, s2, s7
	s_load_dwordx2 s[2:3], s[4:5], 0x40
	s_abs_i32 s11, s16
	v_cvt_f32_u32_e32 v1, s11
	s_sub_i32 s12, 0, s11
	v_rcp_iflag_f32_e32 v1, v1
	v_mul_f32_e32 v1, 0x4f7ffffe, v1
	v_cvt_u32_f32_e32 v1, v1
	v_readfirstlane_b32 s7, v1
	s_mul_i32 s12, s12, s7
	s_mul_hi_u32 s12, s7, s12
	s_add_i32 s7, s7, s12
	s_waitcnt lgkmcnt(0)
	s_cmp_eq_u64 s[2:3], 0
	s_mul_hi_u32 s23, s22, s7
	s_cbranch_scc1 .LBB129_2
; %bb.1:
	s_ashr_i32 s7, s6, 31
	s_lshl_b64 s[12:13], s[6:7], 2
	s_add_u32 s2, s2, s12
	s_addc_u32 s3, s3, s13
	s_load_dword s33, s[2:3], 0x0
.LBB129_2:
	s_load_dword s30, s[0:1], 0x0
	s_load_dwordx4 s[12:15], s[4:5], 0x48
	v_lshrrev_b32_e32 v35, 1, v0
	v_and_b32_e32 v36, 1, v0
	v_lshlrev_b32_e32 v3, 3, v0
	s_ashr_i32 s0, s6, 31
	s_ashr_i32 s1, s16, 31
	s_mul_i32 s20, s6, 0x60
	s_mov_b32 s2, exec_lo
	v_cmpx_gt_u32_e32 24, v0
	s_cbranch_execz .LBB129_4
; %bb.3:
	s_load_dwordx2 s[16:17], s[4:5], 0x8
	s_waitcnt lgkmcnt(0)
	s_mul_i32 s18, s12, s10
	v_lshlrev_b32_e32 v4, 3, v35
	s_ashr_i32 s19, s18, 31
	s_lshl_b64 s[18:19], s[18:19], 1
	v_mad_u32_u24 v4, 0x60, v36, v4
	s_add_u32 s3, s16, s18
	s_addc_u32 s7, s17, s19
	s_ashr_i32 s21, s20, 31
	s_lshl_b64 s[16:17], s[20:21], 1
	s_add_u32 s16, s3, s16
	s_addc_u32 s17, s7, s17
	global_load_dwordx2 v[1:2], v3, s[16:17]
	s_waitcnt vmcnt(0)
	ds_write_b64 v4, v[1:2]
.LBB129_4:
	s_or_b32 exec_lo, exec_lo, s2
	s_load_dwordx4 s[16:19], s[4:5], 0x68
	s_mul_i32 s2, s23, s11
	s_xor_b32 s1, s0, s1
	s_sub_i32 s0, s22, s2
	s_add_i32 s2, s23, 1
	s_sub_i32 s3, s0, s11
	s_cmp_ge_u32 s0, s11
	s_waitcnt lgkmcnt(0)
	s_cselect_b32 s2, s2, s23
	s_cselect_b32 s0, s3, s0
	s_add_i32 s3, s2, 1
	s_cmp_ge_u32 s0, s11
	s_load_dword s0, s[4:5], 0x78
	s_cselect_b32 s2, s3, s2
	s_add_i32 s7, s30, -1
	s_xor_b32 s2, s2, s1
	s_abs_i32 s3, s7
	s_sub_i32 s1, s2, s1
	s_mov_b32 s11, -1
	s_barrier
	s_abs_i32 s12, s19
	s_waitcnt lgkmcnt(0)
	buffer_gl0_inv
	v_cvt_f32_u32_e32 v1, s12
	s_sub_i32 s2, 0, s12
                                        ; implicit-def: $sgpr31
	v_rcp_iflag_f32_e32 v1, v1
	v_mul_f32_e32 v1, 0x4f7ffffe, v1
	v_cvt_u32_f32_e32 v1, v1
	v_readfirstlane_b32 s21, v1
	s_mul_i32 s2, s2, s21
	s_mul_hi_u32 s2, s21, s2
	s_add_i32 s21, s21, s2
	s_cmp_lt_i32 s0, 0
	s_mul_hi_u32 s2, s3, s21
	s_cbranch_scc0 .LBB129_6
; %bb.5:
	s_mul_i32 s11, s16, s28
	s_add_i32 s11, s1, s11
	s_mul_i32 s11, s11, s0
	s_sub_i32 s31, 1, s11
	s_mov_b32 s11, 0
.LBB129_6:
	s_load_dwordx2 s[22:23], s[4:5], 0x28
	s_ashr_i32 s7, s7, 31
	s_andn2_b32 vcc_lo, exec_lo, s11
	s_ashr_i32 s19, s19, 31
	s_cbranch_vccnz .LBB129_8
; %bb.7:
	s_mul_i32 s11, s9, s16
	s_add_i32 s6, s11, s6
	s_mul_i32 s0, s6, s0
	s_add_i32 s31, s0, 1
.LBB129_8:
	s_load_dword s0, s[4:5], 0x38
	s_mul_i32 s6, s2, s12
	s_xor_b32 s15, s7, s19
	s_sub_i32 s3, s3, s6
	s_add_i32 s16, s2, 1
	s_clause 0x2
	s_load_dwordx2 s[6:7], s[4:5], 0x0
	s_load_dwordx2 s[26:27], s[4:5], 0x18
	s_load_dword s11, s[4:5], 0x88
	v_lshrrev_b32_e32 v37, 5, v0
	v_mov_b32_e32 v6, 0xff7fffff
	v_lshrrev_b32_e32 v4, 3, v0
	v_mbcnt_lo_u32_b32 v5, -1, 0
	s_mul_i32 s14, s1, s14
	v_lshlrev_b32_e32 v38, 4, v37
	s_waitcnt lgkmcnt(0)
	s_mul_i32 s24, s0, s10
	s_sub_i32 s0, s3, s12
	s_ashr_i32 s25, s24, 31
	s_cmp_ge_u32 s3, s12
	s_cselect_b32 s2, s16, s2
	s_cselect_b32 s0, s0, s3
	s_add_i32 s3, s2, 1
	s_cmp_ge_u32 s0, s12
	s_cselect_b32 s0, s3, s2
	s_add_i32 s2, s30, 15
	s_ashr_i32 s3, s2, 31
	s_lshr_b32 s3, s3, 28
	s_add_i32 s2, s2, s3
	s_ashr_i32 s16, s2, 4
	s_xor_b32 s2, s0, s15
	v_cmp_gt_i32_e64 s0, s16, v37
	s_sub_i32 s28, s2, s15
	s_and_saveexec_b32 s34, s0
	s_cbranch_execz .LBB129_20
; %bb.9:
	s_load_dwordx2 s[2:3], s[4:5], 0x10
	s_ashr_i32 s15, s14, 31
	s_sub_i32 s4, s28, s17
	s_lshl_b64 s[36:37], s[14:15], 1
	v_bfe_u32 v7, v0, 1, 4
	v_and_b32_e32 v2, 0x7c, v4
	v_and_b32_e32 v14, 8, v3
	v_mul_u32_u24_e32 v8, 0x60, v36
	v_cmp_neq_f32_e64 s1, s33, 0
	v_lshlrev_b32_e32 v12, 2, v7
	v_subrev_nc_u32_e32 v13, s30, v7
	v_lshlrev_b32_e32 v9, 4, v37
	v_mov_b32_e32 v10, 0xff7fffff
	v_xor_b32_e32 v11, 1, v5
	v_lshl_or_b32 v15, v37, 6, v12
	v_add_nc_u32_e32 v12, 1, v13
	v_mov_b32_e32 v6, 0xff7fffff
	v_cmp_eq_u32_e32 vcc_lo, 0, v36
	v_add_nc_u32_e32 v13, 0xe0, v15
	s_waitcnt lgkmcnt(0)
	s_add_u32 s15, s2, s36
	s_addc_u32 s35, s3, s37
	s_abs_i32 s5, s18
	v_cvt_f32_u32_e32 v1, s5
	s_sub_i32 s2, 0, s5
	v_rcp_iflag_f32_e32 v1, v1
	v_mul_f32_e32 v1, 0x4f7ffffe, v1
	v_cvt_u32_f32_e32 v16, v1
	v_lshlrev_b32_e32 v1, 4, v7
	v_mul_lo_u32 v15, s2, v16
	s_lshl_b64 s[2:3], s[24:25], 2
	v_add_co_u32 v17, s15, s15, v1
	s_add_u32 s2, s22, s2
	v_add_co_ci_u32_e64 v18, null, s35, 0, s15
	s_addc_u32 s3, s23, s3
	v_mul_hi_u32 v19, v16, v15
	v_add_co_u32 v1, s2, s2, v2
	v_add_co_ci_u32_e64 v2, null, s3, 0, s2
	v_add_co_u32 v14, s2, v17, v14
	v_add_co_ci_u32_e64 v15, null, 0, v18, s2
	v_add_nc_u32_e32 v16, v16, v19
	v_mov_b32_e32 v17, v37
	s_mov_b32 s15, 0
	s_mov_b32 s35, s13
	s_branch .LBB129_12
.LBB129_10:                             ;   in Loop: Header=BB129_12 Depth=1
	s_or_b32 exec_lo, exec_lo, s36
.LBB129_11:                             ;   in Loop: Header=BB129_12 Depth=1
	s_or_b32 exec_lo, exec_lo, s3
	v_add_nc_u32_e32 v17, 4, v17
	v_add_co_u32 v1, s3, v1, 16
	v_add_co_ci_u32_e64 v2, null, 0, v2, s3
	v_cmp_le_i32_e64 s2, s16, v17
	v_add_nc_u32_e32 v9, 64, v9
	v_add_nc_u32_e32 v13, 0x100, v13
	s_or_b32 s15, s2, s15
	s_andn2_b32 exec_lo, exec_lo, s15
	s_cbranch_execz .LBB129_19
.LBB129_12:                             ; =>This Inner Loop Header: Depth=1
	v_mul_hi_u32 v18, v9, s21
	s_waitcnt lgkmcnt(0)
	v_mul_lo_u32 v19, v18, s12
	v_add_nc_u32_e32 v20, 1, v18
	v_sub_nc_u32_e32 v19, v9, v19
	v_subrev_nc_u32_e32 v21, s12, v19
	v_cmp_le_u32_e64 s2, s12, v19
	v_cndmask_b32_e64 v18, v18, v20, s2
	v_cndmask_b32_e64 v19, v19, v21, s2
	v_add_nc_u32_e32 v20, 1, v18
	v_cmp_le_u32_e64 s2, s12, v19
	v_cndmask_b32_e64 v18, v18, v20, s2
	v_xor_b32_e32 v18, s19, v18
	v_subrev_nc_u32_e32 v18, s19, v18
	v_add_nc_u32_e32 v19, s31, v18
	v_cmp_ge_i32_e64 s3, s4, v18
	v_sub_nc_u32_e32 v20, 0, v19
	v_max_i32_e32 v20, v19, v20
	v_ashrrev_i32_e32 v19, 31, v19
	v_mul_hi_u32 v21, v20, v16
	v_mul_lo_u32 v21, v21, s5
	v_sub_nc_u32_e32 v20, v20, v21
	v_subrev_nc_u32_e32 v21, s5, v20
	v_cmp_le_u32_e64 s2, s5, v20
	v_cndmask_b32_e64 v20, v20, v21, s2
	v_subrev_nc_u32_e32 v21, s5, v20
	v_cmp_le_u32_e64 s2, s5, v20
	v_cndmask_b32_e64 v20, v20, v21, s2
	v_xor_b32_e32 v20, v20, v19
	v_sub_nc_u32_e32 v19, v20, v19
	v_cmp_ne_u32_e64 s2, 0, v19
	s_and_b32 s2, s2, s3
	s_and_saveexec_b32 s3, s2
	s_xor_b32 s2, exec_lo, s3
	s_cbranch_execz .LBB129_16
; %bb.13:                               ;   in Loop: Header=BB129_12 Depth=1
	s_and_saveexec_b32 s3, vcc_lo
; %bb.14:                               ;   in Loop: Header=BB129_12 Depth=1
	ds_write_b32 v13, v10
; %bb.15:                               ;   in Loop: Header=BB129_12 Depth=1
	s_or_b32 exec_lo, exec_lo, s3
.LBB129_16:                             ;   in Loop: Header=BB129_12 Depth=1
	s_andn2_saveexec_b32 s3, s2
	s_cbranch_execz .LBB129_11
; %bb.17:                               ;   in Loop: Header=BB129_12 Depth=1
	global_load_dword v18, v[1:2], off
	s_waitcnt vmcnt(0)
	v_mad_i64_i32 v[18:19], null, v18, s35, 0
	v_lshlrev_b64 v[18:19], 1, v[18:19]
	v_add_co_u32 v47, s2, v14, v18
	v_add_co_ci_u32_e64 v48, null, v15, v19, s2
	s_clause 0x3
	global_load_dwordx2 v[49:50], v[47:48], off offset:256
	global_load_dwordx2 v[51:52], v[47:48], off offset:512
	;; [unrolled: 1-line block ×3, first 2 shown]
	global_load_dwordx2 v[55:56], v[47:48], off
	ds_read_b128 v[18:21], v8
	ds_read_b128 v[22:25], v8 offset:16
	ds_read_b128 v[26:29], v8 offset:32
	;; [unrolled: 1-line block ×5, first 2 shown]
	s_clause 0x1
	global_load_dwordx2 v[57:58], v[47:48], off offset:1024
	global_load_dwordx2 v[59:60], v[47:48], off offset:1280
	s_waitcnt lgkmcnt(5)
	v_lshlrev_b32_e32 v62, 16, v20
	v_and_b32_e32 v82, 0xffff0000, v20
	v_add_co_u32 v20, s2, 0x800, v47
	v_lshlrev_b32_e32 v34, 16, v18
	v_lshlrev_b32_e32 v61, 16, v19
	;; [unrolled: 1-line block ×3, first 2 shown]
	v_and_b32_e32 v80, 0xffff0000, v18
	v_and_b32_e32 v81, 0xffff0000, v19
	;; [unrolled: 1-line block ×3, first 2 shown]
	global_load_dwordx2 v[18:19], v[47:48], off offset:1536
	v_add_co_ci_u32_e64 v21, null, 0, v48, s2
	s_waitcnt lgkmcnt(4)
	v_lshlrev_b32_e32 v64, 16, v22
	v_lshlrev_b32_e32 v65, 16, v23
	;; [unrolled: 1-line block ×4, first 2 shown]
	v_and_b32_e32 v84, 0xffff0000, v22
	v_and_b32_e32 v85, 0xffff0000, v23
	;; [unrolled: 1-line block ×4, first 2 shown]
	s_clause 0x2
	global_load_dwordx2 v[22:23], v[20:21], off
	global_load_dwordx2 v[24:25], v[20:21], off offset:256
	global_load_dwordx2 v[47:48], v[47:48], off offset:1792
	s_waitcnt lgkmcnt(3)
	v_lshlrev_b32_e32 v68, 16, v26
	v_lshlrev_b32_e32 v69, 16, v27
	v_and_b32_e32 v88, 0xffff0000, v26
	v_and_b32_e32 v89, 0xffff0000, v27
	s_clause 0x1
	global_load_dwordx2 v[26:27], v[20:21], off offset:512
	global_load_dwordx2 v[20:21], v[20:21], off offset:768
	v_lshlrev_b32_e32 v70, 16, v28
	v_and_b32_e32 v28, 0xffff0000, v28
	v_lshlrev_b32_e32 v71, 16, v29
	s_waitcnt lgkmcnt(2)
	v_lshlrev_b32_e32 v72, 16, v30
	v_and_b32_e32 v30, 0xffff0000, v30
	v_lshlrev_b32_e32 v73, 16, v31
	v_lshlrev_b32_e32 v74, 16, v32
	v_and_b32_e32 v29, 0xffff0000, v29
	v_and_b32_e32 v32, 0xffff0000, v32
	v_lshlrev_b32_e32 v75, 16, v33
	s_waitcnt lgkmcnt(1)
	v_lshlrev_b32_e32 v76, 16, v39
	v_and_b32_e32 v31, 0xffff0000, v31
	v_and_b32_e32 v39, 0xffff0000, v39
	v_lshlrev_b32_e32 v77, 16, v40
	v_lshlrev_b32_e32 v78, 16, v41
	v_and_b32_e32 v33, 0xffff0000, v33
	v_and_b32_e32 v41, 0xffff0000, v41
	v_lshlrev_b32_e32 v79, 16, v42
	v_and_b32_e32 v40, 0xffff0000, v40
	v_and_b32_e32 v42, 0xffff0000, v42
	v_cmp_gt_i32_e64 s2, 32, v11
	s_waitcnt vmcnt(11)
	v_lshlrev_b32_e32 v90, 16, v49
	v_mul_f32_e32 v62, v62, v90
	s_waitcnt vmcnt(8)
	v_lshlrev_b32_e32 v90, 16, v55
	v_fmac_f32_e32 v62, v34, v90
	v_and_b32_e32 v34, 0xffff0000, v49
	v_and_b32_e32 v49, 0xffff0000, v55
	v_lshlrev_b32_e32 v55, 16, v50
	v_and_b32_e32 v50, 0xffff0000, v50
	s_waitcnt lgkmcnt(0)
	v_lshlrev_b32_e32 v90, 16, v46
	v_mul_f32_e32 v34, v82, v34
	v_lshlrev_b32_e32 v82, 16, v45
	v_mul_f32_e32 v55, v63, v55
	v_lshlrev_b32_e32 v63, 16, v56
	v_and_b32_e32 v56, 0xffff0000, v56
	v_fmac_f32_e32 v34, v80, v49
	v_mul_f32_e32 v50, v83, v50
	v_lshlrev_b32_e32 v49, 16, v43
	v_fmac_f32_e32 v55, v61, v63
	v_lshlrev_b32_e32 v61, 16, v51
	v_and_b32_e32 v51, 0xffff0000, v51
	v_fmac_f32_e32 v50, v81, v56
	v_lshlrev_b32_e32 v56, 16, v52
	v_lshlrev_b32_e32 v63, 16, v53
	v_fmac_f32_e32 v62, v64, v61
	v_and_b32_e32 v53, 0xffff0000, v53
	v_fmac_f32_e32 v34, v84, v51
	v_and_b32_e32 v52, 0xffff0000, v52
	v_lshlrev_b32_e32 v61, 16, v54
	s_waitcnt vmcnt(7)
	v_lshlrev_b32_e32 v64, 16, v57
	v_and_b32_e32 v51, 0xffff0000, v57
	v_fmac_f32_e32 v55, v65, v56
	v_fmac_f32_e32 v62, v66, v63
	v_fmac_f32_e32 v34, v86, v53
	v_and_b32_e32 v54, 0xffff0000, v54
	v_lshlrev_b32_e32 v57, 16, v58
	s_waitcnt vmcnt(6)
	v_lshlrev_b32_e32 v81, 16, v59
	v_and_b32_e32 v56, 0xffff0000, v59
	v_fmac_f32_e32 v50, v85, v52
	v_fmac_f32_e32 v55, v67, v61
	v_fmac_f32_e32 v62, v68, v64
	v_fmac_f32_e32 v34, v88, v51
	v_and_b32_e32 v58, 0xffff0000, v58
	v_lshlrev_b32_e32 v59, 16, v60
	s_waitcnt vmcnt(5)
	v_lshlrev_b32_e32 v65, 16, v18
	v_and_b32_e32 v18, 0xffff0000, v18
	v_fmac_f32_e32 v50, v87, v54
	;; [unrolled: 9-line block ×3, first 2 shown]
	v_fmac_f32_e32 v55, v71, v59
	v_fmac_f32_e32 v62, v72, v65
	;; [unrolled: 1-line block ×3, first 2 shown]
	v_and_b32_e32 v19, 0xffff0000, v19
	v_lshlrev_b32_e32 v63, 16, v48
	v_lshlrev_b32_e32 v66, 16, v22
	v_and_b32_e32 v22, 0xffff0000, v22
	v_fmac_f32_e32 v50, v29, v60
	v_fmac_f32_e32 v55, v73, v52
	;; [unrolled: 1-line block ×4, first 2 shown]
	v_and_b32_e32 v48, 0xffff0000, v48
	v_lshlrev_b32_e32 v53, 16, v23
	v_lshlrev_b32_e32 v84, 16, v24
	v_and_b32_e32 v24, 0xffff0000, v24
	v_fmac_f32_e32 v50, v31, v19
	v_fmac_f32_e32 v55, v75, v63
	;; [unrolled: 1-line block ×4, first 2 shown]
	v_and_b32_e32 v43, 0xffff0000, v43
	v_and_b32_e32 v23, 0xffff0000, v23
	v_lshlrev_b32_e32 v61, 16, v25
	s_waitcnt vmcnt(1)
	v_lshlrev_b32_e32 v51, 16, v26
	v_and_b32_e32 v26, 0xffff0000, v26
	v_fmac_f32_e32 v50, v33, v48
	v_fmac_f32_e32 v55, v77, v53
	;; [unrolled: 1-line block ×4, first 2 shown]
	v_lshlrev_b32_e32 v80, 16, v44
	v_and_b32_e32 v25, 0xffff0000, v25
	v_and_b32_e32 v45, 0xffff0000, v45
	v_lshlrev_b32_e32 v18, 16, v27
	s_waitcnt vmcnt(0)
	v_lshlrev_b32_e32 v19, 16, v20
	v_and_b32_e32 v20, 0xffff0000, v20
	v_fmac_f32_e32 v50, v40, v23
	v_fmac_f32_e32 v55, v79, v61
	;; [unrolled: 1-line block ×4, first 2 shown]
	v_and_b32_e32 v44, 0xffff0000, v44
	v_and_b32_e32 v27, 0xffff0000, v27
	v_lshlrev_b32_e32 v22, 16, v21
	v_fmac_f32_e32 v50, v42, v25
	v_fmac_f32_e32 v55, v80, v18
	;; [unrolled: 1-line block ×4, first 2 shown]
	v_and_b32_e32 v18, 0xffff0000, v46
	v_fmac_f32_e32 v50, v44, v27
	v_and_b32_e32 v19, 0xffff0000, v21
	v_fmac_f32_e32 v55, v90, v22
	v_add_f32_e32 v20, v62, v34
	v_cndmask_b32_e64 v21, v5, v11, s2
	v_fmac_f32_e32 v50, v18, v19
	v_add_f32_e32 v18, v20, v55
	v_lshlrev_b32_e32 v19, 2, v21
	v_add_f32_e32 v18, v50, v18
	ds_bpermute_b32 v19, v19, v18
	s_and_saveexec_b32 s36, vcc_lo
	s_cbranch_execz .LBB129_10
; %bb.18:                               ;   in Loop: Header=BB129_12 Depth=1
	v_add_nc_u32_e32 v20, v12, v9
	s_waitcnt lgkmcnt(0)
	v_add_f32_e32 v18, v18, v19
	v_cvt_f32_i32_e32 v20, v20
	v_mul_f32_e32 v20, s33, v20
	v_cndmask_b32_e64 v19, 0, v20, s1
	v_max_f32_e32 v20, v6, v6
	v_fmac_f32_e32 v19, s29, v18
	v_add_nc_u32_e32 v18, v7, v9
	v_max_f32_e32 v20, v20, v19
	v_cmp_gt_i32_e64 s2, s30, v18
	v_cndmask_b32_e64 v18, 0, v19, s2
	v_cndmask_b32_e64 v6, v6, v20, s2
	ds_write_b32 v13, v18
	s_branch .LBB129_10
.LBB129_19:
	s_or_b32 exec_lo, exec_lo, s15
.LBB129_20:
	s_or_b32 exec_lo, exec_lo, s34
	v_xor_b32_e32 v1, 16, v5
	v_xor_b32_e32 v7, 8, v5
	v_max_f32_e32 v8, v6, v6
	v_and_b32_e32 v39, 31, v0
	v_cmp_gt_i32_e32 vcc_lo, 32, v1
	v_cndmask_b32_e32 v1, v5, v1, vcc_lo
	v_cmp_gt_i32_e32 vcc_lo, 32, v7
	v_lshlrev_b32_e32 v2, 2, v1
	ds_bpermute_b32 v1, v2, v6
	v_cndmask_b32_e32 v6, v5, v7, vcc_lo
	v_lshlrev_b32_e32 v6, 2, v6
	s_waitcnt lgkmcnt(0)
	v_max_f32_e32 v1, v1, v1
	v_max_f32_e32 v1, v8, v1
	v_xor_b32_e32 v8, 4, v5
	ds_bpermute_b32 v7, v6, v1
	v_cmp_gt_i32_e32 vcc_lo, 32, v8
	v_cndmask_b32_e32 v8, v5, v8, vcc_lo
	s_waitcnt lgkmcnt(0)
	v_max_f32_e32 v9, v7, v7
	v_lshlrev_b32_e32 v7, 2, v8
	v_max_f32_e32 v1, v1, v9
	v_xor_b32_e32 v9, 2, v5
	ds_bpermute_b32 v8, v7, v1
	v_cmp_gt_i32_e32 vcc_lo, 32, v9
	v_cndmask_b32_e32 v10, v5, v9, vcc_lo
	v_cmp_eq_u32_e32 vcc_lo, 0, v39
	s_waitcnt lgkmcnt(0)
	v_max_f32_e32 v8, v8, v8
	v_max_f32_e32 v9, v1, v8
	v_lshlrev_b32_e32 v1, 2, v10
	v_lshlrev_b32_e32 v8, 2, v37
	ds_bpermute_b32 v10, v1, v9
	s_and_saveexec_b32 s1, vcc_lo
	s_cbranch_execz .LBB129_22
; %bb.21:
	s_waitcnt lgkmcnt(0)
	v_max_f32_e32 v10, v10, v10
	v_max_f32_e32 v9, v9, v9
	v_max_f32_e32 v9, v9, v10
	ds_write_b32 v8, v9 offset:192
.LBB129_22:
	s_or_b32 exec_lo, exec_lo, s1
	v_cmp_gt_u32_e64 s1, 4, v39
	s_waitcnt lgkmcnt(0)
	v_mov_b32_e32 v10, 0xff7fffff
	v_lshlrev_b32_e32 v9, 2, v39
	s_barrier
	buffer_gl0_inv
	s_and_saveexec_b32 s2, s1
; %bb.23:
	ds_read_b32 v10, v9 offset:192
; %bb.24:
	s_or_b32 exec_lo, exec_lo, s2
	s_waitcnt lgkmcnt(0)
	ds_bpermute_b32 v11, v1, v10
	v_xor_b32_e32 v12, 1, v5
	v_max_f32_e32 v10, v10, v10
	v_cmp_gt_i32_e64 s2, 32, v12
	v_cndmask_b32_e64 v5, v5, v12, s2
	s_lshl_b32 s2, s16, 4
	s_min_i32 s4, s2, s30
	v_lshlrev_b32_e32 v40, 2, v5
	v_cmp_gt_i32_e64 s2, s4, v0
	s_waitcnt lgkmcnt(0)
	v_max_f32_e32 v11, v11, v11
	v_max_f32_e32 v5, v10, v11
	ds_bpermute_b32 v10, v40, v5
	s_waitcnt lgkmcnt(0)
	v_max_f32_e32 v10, v10, v10
	v_max_f32_e32 v5, v5, v10
	v_mov_b32_e32 v10, 0
	ds_bpermute_b32 v11, v10, v5
	v_lshl_add_u32 v5, v0, 2, 0xe0
	s_and_saveexec_b32 s5, s2
	s_cbranch_execz .LBB129_28
; %bb.25:
	v_lshl_add_u32 v12, v0, 2, 0xe0
	v_mov_b32_e32 v10, 0
	v_mov_b32_e32 v13, v0
	s_mov_b32 s15, 0
	.p2align	6
.LBB129_26:                             ; =>This Inner Loop Header: Depth=1
	ds_read_b32 v14, v12
	v_add_nc_u32_e32 v13, 0x80, v13
	v_cmp_le_i32_e64 s3, s4, v13
	s_or_b32 s15, s3, s15
	s_waitcnt lgkmcnt(0)
	v_sub_f32_e32 v14, v14, v11
	v_mul_f32_e32 v14, 0x3fb8aa3b, v14
	v_exp_f32_e32 v14, v14
	ds_write_b32 v12, v14
	v_add_f32_e32 v10, v10, v14
	v_add_nc_u32_e32 v12, 0x200, v12
	s_andn2_b32 exec_lo, exec_lo, s15
	s_cbranch_execnz .LBB129_26
; %bb.27:
	s_or_b32 exec_lo, exec_lo, s15
.LBB129_28:
	s_or_b32 exec_lo, exec_lo, s5
	ds_bpermute_b32 v2, v2, v10
	s_waitcnt lgkmcnt(0)
	v_add_f32_e32 v2, v10, v2
	ds_bpermute_b32 v6, v6, v2
	s_waitcnt lgkmcnt(0)
	v_add_f32_e32 v2, v2, v6
	;; [unrolled: 3-line block ×5, first 2 shown]
	s_and_saveexec_b32 s3, vcc_lo
; %bb.29:
	ds_write_b32 v8, v2 offset:208
; %bb.30:
	s_or_b32 exec_lo, exec_lo, s3
	s_waitcnt lgkmcnt(0)
	s_barrier
	buffer_gl0_inv
	s_and_saveexec_b32 s3, s1
; %bb.31:
	ds_read_b32 v2, v9 offset:208
; %bb.32:
	s_or_b32 exec_lo, exec_lo, s3
	s_waitcnt lgkmcnt(0)
	ds_bpermute_b32 v1, v1, v2
	s_waitcnt lgkmcnt(0)
	v_add_f32_e32 v1, v2, v1
	ds_bpermute_b32 v2, v40, v1
	s_waitcnt lgkmcnt(0)
	v_add_f32_e32 v1, v1, v2
	v_mov_b32_e32 v2, 0
	ds_bpermute_b32 v1, v2, v1
	s_and_saveexec_b32 s1, s2
	s_cbranch_execz .LBB129_35
; %bb.33:
	s_waitcnt lgkmcnt(0)
	v_add_f32_e32 v1, 0x358637bd, v1
	s_mov_b32 s2, 0
	v_div_scale_f32 v2, null, v1, v1, 1.0
	v_div_scale_f32 v8, vcc_lo, 1.0, v1, 1.0
	v_rcp_f32_e32 v6, v2
	v_fma_f32 v7, -v2, v6, 1.0
	v_fmac_f32_e32 v6, v7, v6
	v_mul_f32_e32 v7, v8, v6
	v_fma_f32 v9, -v2, v7, v8
	v_fmac_f32_e32 v7, v9, v6
	v_fma_f32 v2, -v2, v7, v8
	v_div_fmas_f32 v2, v2, v6, v7
	v_div_fixup_f32 v1, v2, v1, 1.0
	v_mov_b32_e32 v2, v0
.LBB129_34:                             ; =>This Inner Loop Header: Depth=1
	ds_read_b32 v6, v5
	v_add_nc_u32_e32 v2, 0x80, v2
	v_cmp_le_i32_e32 vcc_lo, s4, v2
	s_or_b32 s2, vcc_lo, s2
	s_waitcnt lgkmcnt(0)
	v_mul_f32_e32 v6, v1, v6
	ds_write_b32 v5, v6
	v_add_nc_u32_e32 v5, 0x200, v5
	s_andn2_b32 exec_lo, exec_lo, s2
	s_cbranch_execnz .LBB129_34
.LBB129_35:
	s_or_b32 exec_lo, exec_lo, s1
	v_mov_b32_e32 v46, 0
	v_mov_b32_e32 v45, 0
	;; [unrolled: 1-line block ×6, first 2 shown]
	s_waitcnt lgkmcnt(0)
	s_barrier
	buffer_gl0_inv
	s_and_saveexec_b32 s3, s0
	s_cbranch_execz .LBB129_53
; %bb.36:
	s_ashr_i32 s15, s14, 31
	s_sub_i32 s4, s28, s17
	s_lshl_b64 s[0:1], s[14:15], 1
	v_lshlrev_b32_e32 v2, 4, v0
	s_add_u32 s2, s26, s0
	s_addc_u32 s15, s27, s1
	s_abs_i32 s5, s18
	v_and_b32_e32 v47, 8, v3
	v_cvt_f32_u32_e32 v1, s5
	s_sub_i32 s0, 0, s5
	v_and_b32_e32 v3, 0x7c, v4
	v_lshlrev_b32_e32 v4, 5, v36
	v_and_b32_e32 v2, 0x1f0, v2
	v_rcp_iflag_f32_e32 v1, v1
	s_add_i32 s14, s16, -1
	v_mov_b32_e32 v48, 0
	v_lshl_or_b32 v4, v37, 6, v4
	v_add_co_u32 v49, s2, s2, v2
	v_mov_b32_e32 v41, 0
	v_mov_b32_e32 v42, 0
	;; [unrolled: 1-line block ×4, first 2 shown]
	v_mul_f32_e32 v1, 0x4f7ffffe, v1
	v_mov_b32_e32 v45, 0
	v_mov_b32_e32 v46, 0
	v_add_co_ci_u32_e64 v50, null, s15, 0, s2
	v_cvt_u32_f32_e32 v1, v1
	v_add_nc_u32_e32 v51, 0xe0, v4
	v_mov_b32_e32 v53, v37
	s_mov_b32 s17, s30
	s_mov_b32 s15, 0
	v_mul_lo_u32 v5, s0, v1
	s_lshl_b64 s[0:1], s[24:25], 2
	s_add_u32 s0, s22, s0
	s_addc_u32 s1, s23, s1
	v_add_co_u32 v33, s0, s0, v3
	v_add_co_ci_u32_e64 v34, null, s1, 0, s0
	v_mul_hi_u32 v5, v1, v5
	v_add_nc_u32_e32 v52, v1, v5
	s_branch .LBB129_39
.LBB129_37:                             ;   in Loop: Header=BB129_39 Depth=1
	s_or_b32 exec_lo, exec_lo, s2
	s_waitcnt lgkmcnt(1)
	v_bfe_u32 v54, v25, 16, 1
	v_or_b32_e32 v55, 0x400000, v25
	v_bfe_u32 v56, v26, 16, 1
	v_cmp_u_f32_e32 vcc_lo, v25, v25
	v_bfe_u32 v57, v27, 16, 1
	v_add3_u32 v54, v54, v25, 0x7fff
	v_or_b32_e32 v58, 0x400000, v26
	v_add3_u32 v56, v56, v26, 0x7fff
	v_or_b32_e32 v59, 0x400000, v27
	v_add3_u32 v57, v57, v27, 0x7fff
	v_cndmask_b32_e32 v25, v54, v55, vcc_lo
	v_cmp_u_f32_e32 vcc_lo, v26, v26
	v_bfe_u32 v54, v28, 16, 1
	s_waitcnt lgkmcnt(0)
	v_bfe_u32 v55, v17, 16, 1
	s_waitcnt vmcnt(1)
	v_and_b32_e32 v61, 0xffff0000, v32
	v_cndmask_b32_e32 v26, v56, v58, vcc_lo
	v_cmp_u_f32_e32 vcc_lo, v27, v27
	v_add3_u32 v54, v54, v28, 0x7fff
	v_or_b32_e32 v56, 0x400000, v28
	v_add3_u32 v55, v55, v17, 0x7fff
	v_bfe_u32 v58, v18, 16, 1
	v_cndmask_b32_e32 v27, v57, v59, vcc_lo
	v_cmp_u_f32_e32 vcc_lo, v28, v28
	v_or_b32_e32 v57, 0x400000, v17
	v_and_b32_e32 v27, 0xffff0000, v27
	v_cndmask_b32_e32 v28, v54, v56, vcc_lo
	v_cmp_u_f32_e32 vcc_lo, v17, v17
	v_or_b32_e32 v56, 0x400000, v18
	v_and_b32_e32 v17, 0xffff0000, v26
	v_and_b32_e32 v26, 0xffff0000, v29
	v_cndmask_b32_e32 v54, v55, v57, vcc_lo
	v_add3_u32 v55, v58, v18, 0x7fff
	v_bfe_u32 v57, v19, 16, 1
	v_cmp_u_f32_e32 vcc_lo, v18, v18
	v_mul_f32_e32 v58, v17, v26
	v_and_b32_e32 v26, 0xffff0000, v25
	v_lshlrev_b32_e32 v25, 16, v29
	v_add3_u32 v18, v57, v19, 0x7fff
	v_cndmask_b32_e32 v55, v55, v56, vcc_lo
	v_or_b32_e32 v56, 0x400000, v19
	v_bfe_u32 v57, v20, 16, 1
	v_cmp_u_f32_e32 vcc_lo, v19, v19
	v_mul_f32_e32 v25, v26, v25
	v_add3_u32 v19, v57, v20, 0x7fff
	v_cndmask_b32_e32 v29, v18, v56, vcc_lo
	v_or_b32_e32 v56, 0x400000, v20
	v_bfe_u32 v57, v58, 16, 1
	v_and_b32_e32 v18, 0xffff0000, v28
	v_and_b32_e32 v28, 0xffff0000, v30
	v_cmp_u_f32_e32 vcc_lo, v20, v20
	v_mul_f32_e32 v59, v18, v28
	v_cndmask_b32_e32 v20, v19, v56, vcc_lo
	v_add3_u32 v19, v57, v58, 0x7fff
	v_or_b32_e32 v56, 0x400000, v58
	v_bfe_u32 v57, v25, 16, 1
	v_lshlrev_b32_e32 v28, 16, v30
	v_cmp_u_f32_e32 vcc_lo, v58, v58
	v_bfe_u32 v58, v59, 16, 1
	v_and_b32_e32 v20, 0xffff0000, v20
	v_mul_f32_e32 v60, v27, v28
	v_cndmask_b32_e32 v30, v19, v56, vcc_lo
	v_add3_u32 v56, v57, v25, 0x7fff
	v_or_b32_e32 v57, 0x400000, v25
	v_and_b32_e32 v19, 0xffff0000, v55
	v_and_b32_e32 v28, 0xffff0000, v31
	v_cmp_u_f32_e32 vcc_lo, v25, v25
	v_add3_u32 v25, v58, v59, 0x7fff
	v_lshlrev_b32_e32 v31, 16, v31
	v_and_b32_e32 v30, 0xffff0000, v30
	v_mul_f32_e32 v58, v19, v28
	v_cndmask_b32_e32 v55, v56, v57, vcc_lo
	v_or_b32_e32 v56, 0x400000, v59
	v_bfe_u32 v57, v60, 16, 1
	v_and_b32_e32 v28, 0xffff0000, v54
	v_cmp_u_f32_e32 vcc_lo, v59, v59
	v_bfe_u32 v59, v58, 16, 1
	v_and_b32_e32 v55, 0xffff0000, v55
	v_mul_f32_e32 v31, v28, v31
	v_cndmask_b32_e32 v54, v25, v56, vcc_lo
	v_add3_u32 v56, v57, v60, 0x7fff
	v_or_b32_e32 v57, 0x400000, v60
	v_and_b32_e32 v25, 0xffff0000, v29
	v_lshlrev_b32_e32 v29, 16, v32
	v_cmp_u_f32_e32 vcc_lo, v60, v60
	v_or_b32_e32 v60, 0x400000, v58
	v_and_b32_e32 v54, 0xffff0000, v54
	v_add_f32_e32 v30, v55, v30
	v_mul_f32_e32 v29, v25, v29
	v_cndmask_b32_e32 v32, v56, v57, vcc_lo
	v_bfe_u32 v56, v31, 16, 1
	v_add3_u32 v57, v59, v58, 0x7fff
	v_cmp_u_f32_e32 vcc_lo, v58, v58
	v_mul_f32_e32 v59, v20, v61
	v_or_b32_e32 v61, 0x400000, v31
	v_add3_u32 v56, v56, v31, 0x7fff
	v_bfe_u32 v63, v29, 16, 1
	v_cndmask_b32_e32 v57, v57, v60, vcc_lo
	v_cmp_u_f32_e32 vcc_lo, v31, v31
	v_bfe_u32 v62, v59, 16, 1
	v_or_b32_e32 v60, 0x400000, v29
	v_add3_u32 v58, v63, v29, 0x7fff
	v_and_b32_e32 v32, 0xffff0000, v32
	v_cndmask_b32_e32 v31, v56, v61, vcc_lo
	v_cmp_u_f32_e32 vcc_lo, v29, v29
	v_add3_u32 v56, v62, v59, 0x7fff
	v_or_b32_e32 v61, 0x400000, v59
	v_add_f32_e32 v32, v32, v54
	v_and_b32_e32 v31, 0xffff0000, v31
	v_cndmask_b32_e32 v29, v58, v60, vcc_lo
	v_cmp_u_f32_e32 vcc_lo, v59, v59
	v_and_b32_e32 v54, 0xffff0000, v57
	v_add_f32_e32 v30, v32, v30
	v_and_b32_e32 v29, 0xffff0000, v29
	v_cndmask_b32_e32 v55, v56, v61, vcc_lo
	v_add_f32_e32 v31, v31, v54
	v_and_b32_e32 v54, 0xffff0000, v21
	v_lshlrev_b32_e32 v21, 16, v21
	v_and_b32_e32 v56, 0xffff0000, v24
	v_and_b32_e32 v32, 0xffff0000, v55
	v_add_f32_e32 v30, v31, v30
	v_mul_f32_e32 v31, v17, v54
	v_mul_f32_e32 v21, v26, v21
	v_and_b32_e32 v54, 0xffff0000, v22
	v_add_f32_e32 v29, v29, v32
	v_lshlrev_b32_e32 v22, 16, v22
	v_cmp_u_f32_e32 vcc_lo, v31, v31
	v_bfe_u32 v32, v21, 16, 1
	v_mul_f32_e32 v54, v18, v54
	v_add_f32_e32 v29, v29, v30
	v_bfe_u32 v30, v31, 16, 1
	v_or_b32_e32 v55, 0x400000, v21
	v_add3_u32 v32, v32, v21, 0x7fff
	v_mul_f32_e32 v22, v27, v22
	v_add_f32_e32 v42, v42, v29
	v_add3_u32 v29, v30, v31, 0x7fff
	v_or_b32_e32 v30, 0x400000, v31
	v_and_b32_e32 v31, 0xffff0000, v23
	v_lshlrev_b32_e32 v23, 16, v23
	v_lshlrev_b32_e32 v24, 16, v24
	v_cndmask_b32_e32 v29, v29, v30, vcc_lo
	v_bfe_u32 v30, v54, 16, 1
	v_cmp_u_f32_e32 vcc_lo, v21, v21
	v_mul_f32_e32 v31, v19, v31
	v_mul_f32_e32 v23, v28, v23
	;; [unrolled: 1-line block ×3, first 2 shown]
	v_add3_u32 v30, v30, v54, 0x7fff
	v_cndmask_b32_e32 v21, v32, v55, vcc_lo
	v_or_b32_e32 v32, 0x400000, v54
	v_bfe_u32 v55, v22, 16, 1
	v_cmp_u_f32_e32 vcc_lo, v54, v54
	v_or_b32_e32 v54, 0x400000, v22
	v_bfe_u32 v57, v23, 16, 1
	v_and_b32_e32 v21, 0xffff0000, v21
	v_and_b32_e32 v29, 0xffff0000, v29
	v_cndmask_b32_e32 v30, v30, v32, vcc_lo
	v_add3_u32 v32, v55, v22, 0x7fff
	v_bfe_u32 v55, v31, 16, 1
	v_cmp_u_f32_e32 vcc_lo, v22, v22
	v_add_f32_e32 v21, v21, v29
	v_and_b32_e32 v30, 0xffff0000, v30
	v_cndmask_b32_e32 v22, v32, v54, vcc_lo
	v_add3_u32 v32, v55, v31, 0x7fff
	v_mul_f32_e32 v54, v20, v56
	v_or_b32_e32 v55, 0x400000, v31
	v_cmp_u_f32_e32 vcc_lo, v31, v31
	v_add3_u32 v56, v57, v23, 0x7fff
	v_or_b32_e32 v57, 0x400000, v23
	v_bfe_u32 v58, v54, 16, 1
	v_and_b32_e32 v22, 0xffff0000, v22
	v_cndmask_b32_e32 v31, v32, v55, vcc_lo
	v_cmp_u_f32_e32 vcc_lo, v23, v23
	v_or_b32_e32 v55, 0x400000, v54
	v_add3_u32 v32, v58, v54, 0x7fff
	v_add_f32_e32 v22, v22, v30
	v_and_b32_e32 v30, 0xffff0000, v13
	v_cndmask_b32_e32 v23, v56, v57, vcc_lo
	v_bfe_u32 v56, v24, 16, 1
	v_cmp_u_f32_e32 vcc_lo, v54, v54
	v_and_b32_e32 v29, 0xffff0000, v31
	v_lshlrev_b32_e32 v13, 16, v13
	v_and_b32_e32 v23, 0xffff0000, v23
	v_add3_u32 v54, v56, v24, 0x7fff
	v_cndmask_b32_e32 v32, v32, v55, vcc_lo
	v_or_b32_e32 v55, 0x400000, v24
	v_cmp_u_f32_e32 vcc_lo, v24, v24
	v_add_f32_e32 v21, v22, v21
	v_mul_f32_e32 v22, v17, v30
	v_add_f32_e32 v23, v23, v29
	v_mul_f32_e32 v29, v26, v13
	v_cndmask_b32_e32 v24, v54, v55, vcc_lo
	v_and_b32_e32 v30, 0xffff0000, v32
	v_bfe_u32 v31, v22, 16, 1
	v_and_b32_e32 v32, 0xffff0000, v14
	v_add_f32_e32 v13, v23, v21
	v_and_b32_e32 v24, 0xffff0000, v24
	v_bfe_u32 v23, v29, 16, 1
	v_lshlrev_b32_e32 v14, 16, v14
	v_cmp_u_f32_e32 vcc_lo, v22, v22
	v_and_b32_e32 v54, 0xffff0000, v16
	v_add_f32_e32 v21, v24, v30
	v_add3_u32 v24, v31, v22, 0x7fff
	v_or_b32_e32 v30, 0x400000, v22
	v_mul_f32_e32 v31, v18, v32
	v_add3_u32 v23, v23, v29, 0x7fff
	v_or_b32_e32 v32, 0x400000, v29
	v_mul_f32_e32 v14, v27, v14
	v_cndmask_b32_e32 v22, v24, v30, vcc_lo
	v_bfe_u32 v24, v31, 16, 1
	v_cmp_u_f32_e32 vcc_lo, v29, v29
	v_and_b32_e32 v29, 0xffff0000, v15
	v_or_b32_e32 v30, 0x400000, v31
	v_lshlrev_b32_e32 v15, 16, v15
	v_add3_u32 v24, v24, v31, 0x7fff
	v_cndmask_b32_e32 v23, v23, v32, vcc_lo
	v_bfe_u32 v32, v14, 16, 1
	v_mul_f32_e32 v29, v19, v29
	v_cmp_u_f32_e32 vcc_lo, v31, v31
	v_mul_f32_e32 v15, v28, v15
	v_or_b32_e32 v31, 0x400000, v14
	v_lshlrev_b32_e32 v16, 16, v16
	v_and_b32_e32 v23, 0xffff0000, v23
	v_cndmask_b32_e32 v24, v24, v30, vcc_lo
	v_add3_u32 v30, v32, v14, 0x7fff
	v_bfe_u32 v32, v29, 16, 1
	v_cmp_u_f32_e32 vcc_lo, v14, v14
	v_bfe_u32 v55, v15, 16, 1
	v_mul_f32_e32 v16, v25, v16
	v_and_b32_e32 v22, 0xffff0000, v22
	v_and_b32_e32 v24, 0xffff0000, v24
	v_cndmask_b32_e32 v14, v30, v31, vcc_lo
	v_add3_u32 v30, v32, v29, 0x7fff
	v_mul_f32_e32 v31, v20, v54
	v_or_b32_e32 v32, 0x400000, v29
	v_cmp_u_f32_e32 vcc_lo, v29, v29
	v_add3_u32 v54, v55, v15, 0x7fff
	v_or_b32_e32 v55, 0x400000, v15
	v_bfe_u32 v56, v31, 16, 1
	v_and_b32_e32 v14, 0xffff0000, v14
	v_cndmask_b32_e32 v29, v30, v32, vcc_lo
	v_cmp_u_f32_e32 vcc_lo, v15, v15
	v_or_b32_e32 v32, 0x400000, v31
	v_add3_u32 v30, v56, v31, 0x7fff
	v_add_f32_e32 v22, v23, v22
	v_add_f32_e32 v14, v14, v24
	v_cndmask_b32_e32 v15, v54, v55, vcc_lo
	v_bfe_u32 v54, v16, 16, 1
	v_cmp_u_f32_e32 vcc_lo, v31, v31
	v_and_b32_e32 v24, 0xffff0000, v5
	v_and_b32_e32 v23, 0xffff0000, v29
	;; [unrolled: 1-line block ×3, first 2 shown]
	v_add3_u32 v31, v54, v16, 0x7fff
	v_cndmask_b32_e32 v30, v30, v32, vcc_lo
	v_or_b32_e32 v32, 0x400000, v16
	v_cmp_u_f32_e32 vcc_lo, v16, v16
	v_lshlrev_b32_e32 v5, 16, v5
	v_add_f32_e32 v14, v14, v22
	v_mul_f32_e32 v22, v17, v24
	v_add_f32_e32 v15, v15, v23
	v_cndmask_b32_e32 v16, v31, v32, vcc_lo
	v_mul_f32_e32 v23, v26, v5
	v_and_b32_e32 v24, 0xffff0000, v30
	v_and_b32_e32 v29, 0xffff0000, v6
	v_bfe_u32 v30, v22, 16, 1
	v_and_b32_e32 v16, 0xffff0000, v16
	v_add_f32_e32 v5, v15, v14
	v_bfe_u32 v15, v23, 16, 1
	v_cmp_u_f32_e32 vcc_lo, v22, v22
	v_lshlrev_b32_e32 v6, 16, v6
	v_add_f32_e32 v14, v16, v24
	v_mul_f32_e32 v16, v18, v29
	v_add3_u32 v24, v30, v22, 0x7fff
	v_or_b32_e32 v29, 0x400000, v22
	v_add3_u32 v15, v15, v23, 0x7fff
	v_or_b32_e32 v30, 0x400000, v23
	v_bfe_u32 v31, v16, 16, 1
	v_mul_f32_e32 v6, v27, v6
	v_cndmask_b32_e32 v22, v24, v29, vcc_lo
	v_cmp_u_f32_e32 vcc_lo, v23, v23
	v_or_b32_e32 v24, 0x400000, v16
	v_add3_u32 v23, v31, v16, 0x7fff
	v_and_b32_e32 v29, 0xffff0000, v7
	v_lshlrev_b32_e32 v7, 16, v7
	v_cndmask_b32_e32 v15, v15, v30, vcc_lo
	v_cmp_u_f32_e32 vcc_lo, v16, v16
	v_bfe_u32 v30, v6, 16, 1
	v_and_b32_e32 v22, 0xffff0000, v22
	v_mul_f32_e32 v7, v28, v7
	v_and_b32_e32 v15, 0xffff0000, v15
	v_cndmask_b32_e32 v16, v23, v24, vcc_lo
	v_mul_f32_e32 v23, v19, v29
	v_add3_u32 v24, v30, v6, 0x7fff
	v_or_b32_e32 v29, 0x400000, v6
	v_and_b32_e32 v30, 0xffff0000, v8
	v_cmp_u_f32_e32 vcc_lo, v6, v6
	v_bfe_u32 v31, v23, 16, 1
	v_bfe_u32 v32, v7, 16, 1
	v_lshlrev_b32_e32 v8, 16, v8
	v_and_b32_e32 v16, 0xffff0000, v16
	v_cndmask_b32_e32 v6, v24, v29, vcc_lo
	v_mul_f32_e32 v24, v20, v30
	v_add3_u32 v29, v31, v23, 0x7fff
	v_or_b32_e32 v30, 0x400000, v23
	v_cmp_u_f32_e32 vcc_lo, v23, v23
	v_add3_u32 v31, v32, v7, 0x7fff
	v_or_b32_e32 v32, 0x400000, v7
	v_bfe_u32 v54, v24, 16, 1
	v_and_b32_e32 v6, 0xffff0000, v6
	v_cndmask_b32_e32 v23, v29, v30, vcc_lo
	v_cmp_u_f32_e32 vcc_lo, v7, v7
	v_or_b32_e32 v30, 0x400000, v24
	v_add3_u32 v29, v54, v24, 0x7fff
	v_mul_f32_e32 v8, v25, v8
	v_add_f32_e32 v15, v15, v22
	v_cndmask_b32_e32 v7, v31, v32, vcc_lo
	v_cmp_u_f32_e32 vcc_lo, v24, v24
	v_add_f32_e32 v6, v6, v16
	v_and_b32_e32 v16, 0xffff0000, v1
	v_and_b32_e32 v22, 0xffff0000, v23
	v_and_b32_e32 v7, 0xffff0000, v7
	v_cndmask_b32_e32 v24, v29, v30, vcc_lo
	v_bfe_u32 v29, v8, 16, 1
	v_add_f32_e32 v6, v6, v15
	v_mul_f32_e32 v15, v17, v16
	v_add_f32_e32 v7, v7, v22
	v_lshlrev_b32_e32 v1, 16, v1
	v_add3_u32 v23, v29, v8, 0x7fff
	v_or_b32_e32 v29, 0x400000, v8
	v_cmp_u_f32_e32 vcc_lo, v8, v8
	v_bfe_u32 v16, v15, 16, 1
	v_add_f32_e32 v6, v7, v6
	v_and_b32_e32 v7, 0xffff0000, v2
	v_mul_f32_e32 v1, v26, v1
	v_cndmask_b32_e32 v8, v23, v29, vcc_lo
	v_add3_u32 v16, v16, v15, 0x7fff
	v_or_b32_e32 v22, 0x400000, v15
	v_mul_f32_e32 v7, v18, v7
	v_and_b32_e32 v23, 0xffff0000, v24
	v_bfe_u32 v24, v1, 16, 1
	v_cmp_u_f32_e32 vcc_lo, v15, v15
	v_lshlrev_b32_e32 v2, 16, v2
	v_or_b32_e32 v29, 0x400000, v1
	v_or_b32_e32 v30, 0x400000, v7
	v_and_b32_e32 v8, 0xffff0000, v8
	v_cndmask_b32_e32 v15, v16, v22, vcc_lo
	v_bfe_u32 v16, v7, 16, 1
	v_add3_u32 v22, v24, v1, 0x7fff
	v_and_b32_e32 v24, 0xffff0000, v3
	v_mul_f32_e32 v2, v27, v2
	v_cmp_u_f32_e32 vcc_lo, v1, v1
	v_add3_u32 v16, v16, v7, 0x7fff
	v_lshlrev_b32_e32 v3, 16, v3
	v_mul_f32_e32 v24, v19, v24
	v_and_b32_e32 v15, 0xffff0000, v15
	v_cndmask_b32_e32 v1, v22, v29, vcc_lo
	v_bfe_u32 v22, v2, 16, 1
	v_cmp_u_f32_e32 vcc_lo, v7, v7
	v_and_b32_e32 v29, 0xffff0000, v4
	v_mul_f32_e32 v3, v28, v3
	v_or_b32_e32 v31, 0x400000, v24
	v_add3_u32 v22, v22, v2, 0x7fff
	v_cndmask_b32_e32 v7, v16, v30, vcc_lo
	v_bfe_u32 v16, v24, 16, 1
	v_or_b32_e32 v30, 0x400000, v2
	v_cmp_u_f32_e32 vcc_lo, v2, v2
	v_mul_f32_e32 v29, v20, v29
	v_lshlrev_b32_e32 v4, 16, v4
	v_add3_u32 v16, v16, v24, 0x7fff
	v_and_b32_e32 v1, 0xffff0000, v1
	v_cndmask_b32_e32 v2, v22, v30, vcc_lo
	v_bfe_u32 v22, v3, 16, 1
	v_cmp_u_f32_e32 vcc_lo, v24, v24
	v_bfe_u32 v30, v29, 16, 1
	v_or_b32_e32 v24, 0x400000, v3
	v_mul_f32_e32 v4, v25, v4
	v_add3_u32 v22, v22, v3, 0x7fff
	v_cndmask_b32_e32 v16, v16, v31, vcc_lo
	v_cmp_u_f32_e32 vcc_lo, v3, v3
	v_add3_u32 v30, v30, v29, 0x7fff
	v_or_b32_e32 v31, 0x400000, v29
	v_and_b32_e32 v2, 0xffff0000, v2
	v_and_b32_e32 v7, 0xffff0000, v7
	v_cndmask_b32_e32 v3, v22, v24, vcc_lo
	v_cmp_u_f32_e32 vcc_lo, v29, v29
	v_bfe_u32 v24, v4, 16, 1
	v_add_f32_e32 v1, v1, v15
	v_add_f32_e32 v2, v2, v7
	v_and_b32_e32 v3, 0xffff0000, v3
	v_cndmask_b32_e32 v22, v30, v31, vcc_lo
	s_waitcnt vmcnt(0)
	v_lshlrev_b32_e32 v30, 16, v9
	v_and_b32_e32 v7, 0xffff0000, v16
	v_and_b32_e32 v9, 0xffff0000, v9
	v_add3_u32 v24, v24, v4, 0x7fff
	v_or_b32_e32 v29, 0x400000, v4
	v_mul_f32_e32 v15, v26, v30
	v_cmp_u_f32_e32 vcc_lo, v4, v4
	v_add_f32_e32 v1, v2, v1
	v_add_f32_e32 v3, v3, v7
	v_mul_f32_e32 v7, v17, v9
	v_bfe_u32 v2, v15, 16, 1
	v_lshlrev_b32_e32 v9, 16, v10
	v_cndmask_b32_e32 v4, v24, v29, vcc_lo
	v_or_b32_e32 v16, 0x400000, v15
	v_bfe_u32 v17, v7, 16, 1
	v_add3_u32 v2, v2, v15, 0x7fff
	v_mul_f32_e32 v9, v27, v9
	v_and_b32_e32 v10, 0xffff0000, v10
	v_cmp_u_f32_e32 vcc_lo, v15, v15
	v_add3_u32 v15, v17, v7, 0x7fff
	v_and_b32_e32 v4, 0xffff0000, v4
	v_bfe_u32 v17, v9, 16, 1
	v_mul_f32_e32 v10, v18, v10
	v_cndmask_b32_e32 v2, v2, v16, vcc_lo
	v_or_b32_e32 v16, 0x400000, v7
	v_lshlrev_b32_e32 v18, 16, v11
	v_cmp_u_f32_e32 vcc_lo, v7, v7
	v_and_b32_e32 v11, 0xffff0000, v11
	v_and_b32_e32 v2, 0xffff0000, v2
	v_add_f32_e32 v8, v8, v23
	v_mul_f32_e32 v18, v28, v18
	v_cndmask_b32_e32 v7, v15, v16, vcc_lo
	v_add3_u32 v15, v17, v9, 0x7fff
	v_or_b32_e32 v16, 0x400000, v9
	v_bfe_u32 v17, v10, 16, 1
	v_cmp_u_f32_e32 vcc_lo, v9, v9
	v_mul_f32_e32 v11, v19, v11
	v_lshlrev_b32_e32 v19, 16, v12
	v_and_b32_e32 v12, 0xffff0000, v12
	v_and_b32_e32 v7, 0xffff0000, v7
	v_cndmask_b32_e32 v9, v15, v16, vcc_lo
	v_add3_u32 v15, v17, v10, 0x7fff
	v_or_b32_e32 v16, 0x400000, v10
	v_bfe_u32 v17, v18, 16, 1
	v_cmp_u_f32_e32 vcc_lo, v10, v10
	v_mul_f32_e32 v12, v20, v12
	v_or_b32_e32 v20, 0x400000, v11
	v_and_b32_e32 v9, 0xffff0000, v9
	v_add_f32_e32 v2, v2, v7
	v_cndmask_b32_e32 v10, v15, v16, vcc_lo
	v_bfe_u32 v15, v11, 16, 1
	v_add3_u32 v16, v17, v18, 0x7fff
	v_mul_f32_e32 v17, v25, v19
	v_or_b32_e32 v19, 0x400000, v18
	v_cmp_u_f32_e32 vcc_lo, v18, v18
	v_add3_u32 v15, v15, v11, 0x7fff
	v_bfe_u32 v25, v12, 16, 1
	v_bfe_u32 v24, v17, 16, 1
	v_and_b32_e32 v10, 0xffff0000, v10
	v_cndmask_b32_e32 v16, v16, v19, vcc_lo
	v_cmp_u_f32_e32 vcc_lo, v11, v11
	v_add3_u32 v18, v25, v12, 0x7fff
	v_or_b32_e32 v19, 0x400000, v12
	v_add_f32_e32 v7, v9, v10
	v_and_b32_e32 v10, 0xffff0000, v16
	v_cndmask_b32_e32 v11, v15, v20, vcc_lo
	v_cmp_u_f32_e32 vcc_lo, v12, v12
	v_add3_u32 v15, v24, v17, 0x7fff
	v_or_b32_e32 v20, 0x400000, v17
	v_add_f32_e32 v2, v7, v2
	v_and_b32_e32 v9, 0xffff0000, v11
	v_cndmask_b32_e32 v12, v18, v19, vcc_lo
	v_cmp_u_f32_e32 vcc_lo, v17, v17
	v_add_f32_e32 v1, v3, v1
	v_add_f32_e32 v5, v14, v5
	;; [unrolled: 1-line block ×3, first 2 shown]
	v_and_b32_e32 v9, 0xffff0000, v12
	v_cndmask_b32_e32 v11, v15, v20, vcc_lo
	v_and_b32_e32 v15, 0xffff0000, v22
	v_add_f32_e32 v6, v8, v6
	v_add_f32_e32 v2, v7, v2
	;; [unrolled: 1-line block ×3, first 2 shown]
	v_and_b32_e32 v10, 0xffff0000, v11
	v_add_f32_e32 v3, v4, v15
	v_add_f32_e32 v44, v44, v5
	;; [unrolled: 1-line block ×9, first 2 shown]
.LBB129_38:                             ;   in Loop: Header=BB129_39 Depth=1
	s_or_b32 exec_lo, exec_lo, s18
	v_add_nc_u32_e32 v53, 4, v53
	v_add_co_u32 v33, s0, v33, 16
	v_add_co_ci_u32_e64 v34, null, 0, v34, s0
	v_cmp_le_i32_e32 vcc_lo, s16, v53
	v_add_nc_u32_e32 v38, 64, v38
	v_add_nc_u32_e32 v51, 0x100, v51
	s_or_b32 s15, vcc_lo, s15
	s_andn2_b32 exec_lo, exec_lo, s15
	s_cbranch_execz .LBB129_52
.LBB129_39:                             ; =>This Inner Loop Header: Depth=1
	v_mul_hi_u32 v1, v38, s21
	v_mul_lo_u32 v2, v1, s12
	v_add_nc_u32_e32 v3, 1, v1
	v_sub_nc_u32_e32 v2, v38, v2
	v_subrev_nc_u32_e32 v4, s12, v2
	v_cmp_le_u32_e32 vcc_lo, s12, v2
	v_cndmask_b32_e32 v1, v1, v3, vcc_lo
	v_cndmask_b32_e32 v2, v2, v4, vcc_lo
	v_add_nc_u32_e32 v3, 1, v1
	v_cmp_le_u32_e32 vcc_lo, s12, v2
	v_cndmask_b32_e32 v1, v1, v3, vcc_lo
	v_xor_b32_e32 v1, s19, v1
	v_subrev_nc_u32_e32 v1, s19, v1
	v_add_nc_u32_e32 v2, s31, v1
	v_cmp_lt_i32_e64 s0, s4, v1
	v_sub_nc_u32_e32 v3, 0, v2
	v_max_i32_e32 v3, v2, v3
	v_ashrrev_i32_e32 v2, 31, v2
	v_mul_hi_u32 v4, v3, v52
	v_mul_lo_u32 v4, v4, s5
	v_sub_nc_u32_e32 v3, v3, v4
	v_subrev_nc_u32_e32 v4, s5, v3
	v_cmp_le_u32_e32 vcc_lo, s5, v3
	v_cndmask_b32_e32 v3, v3, v4, vcc_lo
	v_subrev_nc_u32_e32 v4, s5, v3
	v_cmp_le_u32_e32 vcc_lo, s5, v3
	v_cndmask_b32_e32 v3, v3, v4, vcc_lo
	v_xor_b32_e32 v3, v3, v2
	v_sub_nc_u32_e32 v2, v3, v2
	v_cmp_eq_u32_e32 vcc_lo, 0, v2
	s_or_b32 s0, vcc_lo, s0
	s_and_saveexec_b32 s18, s0
	s_cbranch_execz .LBB129_38
; %bb.40:                               ;   in Loop: Header=BB129_39 Depth=1
	global_load_dword v1, v[33:34], off
	v_add_nc_u32_e32 v58, v47, v38
	v_cmp_eq_u32_e64 s0, s14, v53
	v_add_nc_u32_e32 v61, 1, v58
	v_or_b32_e32 v59, 3, v58
	v_or_b32_e32 v60, 2, v58
	;; [unrolled: 1-line block ×6, first 2 shown]
	s_waitcnt vmcnt(0)
	v_mad_i64_i32 v[1:2], null, v1, s13, 0
	v_lshlrev_b64 v[1:2], 1, v[1:2]
	v_add_co_u32 v9, vcc_lo, v49, v1
	v_add_co_ci_u32_e64 v10, null, v50, v2, vcc_lo
	global_load_dwordx4 v[1:4], v[9:10], off
	ds_read2_b64 v[25:28], v51 offset1:1
	ds_read2_b64 v[17:20], v51 offset0:2 offset1:3
	s_and_saveexec_b32 s22, s0
	s_cbranch_execnz .LBB129_49
; %bb.41:                               ;   in Loop: Header=BB129_39 Depth=1
	s_or_b32 exec_lo, exec_lo, s22
	global_load_dwordx4 v[5:8], v[9:10], off offset:512
	s_and_saveexec_b32 s22, s0
	s_cbranch_execnz .LBB129_50
.LBB129_42:                             ;   in Loop: Header=BB129_39 Depth=1
	s_or_b32 exec_lo, exec_lo, s22
	global_load_dwordx4 v[13:16], v[9:10], off offset:1024
	s_and_saveexec_b32 s22, s0
	s_cbranch_execnz .LBB129_51
.LBB129_43:                             ;   in Loop: Header=BB129_39 Depth=1
	s_or_b32 exec_lo, exec_lo, s22
	global_load_dwordx4 v[21:24], v[9:10], off offset:1536
	s_and_saveexec_b32 s22, s0
	s_cbranch_execz .LBB129_45
.LBB129_44:                             ;   in Loop: Header=BB129_39 Depth=1
	v_cmp_gt_i32_e64 s1, s30, v58
	v_cmp_gt_i32_e32 vcc_lo, s17, v61
	v_cmp_gt_i32_e64 s2, s30, v60
	s_waitcnt vmcnt(0)
	v_cndmask_b32_e64 v11, 0, v21, s1
	v_cmp_gt_i32_e64 s1, s17, v59
	v_cndmask_b32_sdwa v21, v48, v21, vcc_lo dst_sel:DWORD dst_unused:UNUSED_PAD src0_sel:DWORD src1_sel:WORD_1
	v_cndmask_b32_e64 v12, 0, v22, s2
	v_cmp_gt_i32_e64 s2, s17, v57
	s_mov_b32 vcc_lo, s1
	v_cmp_gt_i32_e64 s1, s17, v55
	v_cndmask_b32_sdwa v22, v48, v22, vcc_lo dst_sel:DWORD dst_unused:UNUSED_PAD src0_sel:DWORD src1_sel:WORD_1
	v_cmp_gt_i32_e32 vcc_lo, s30, v56
	v_perm_b32 v21, v21, v11, 0x5040100
	v_perm_b32 v22, v22, v12, 0x5040100
	v_cndmask_b32_e32 v29, 0, v23, vcc_lo
	s_mov_b32 vcc_lo, s2
	v_cndmask_b32_sdwa v23, v48, v23, vcc_lo dst_sel:DWORD dst_unused:UNUSED_PAD src0_sel:DWORD src1_sel:WORD_1
	v_cmp_gt_i32_e32 vcc_lo, s30, v54
	v_perm_b32 v23, v23, v29, 0x5040100
	v_cndmask_b32_e32 v30, 0, v24, vcc_lo
	s_mov_b32 vcc_lo, s1
	v_cndmask_b32_sdwa v24, v48, v24, vcc_lo dst_sel:DWORD dst_unused:UNUSED_PAD src0_sel:DWORD src1_sel:WORD_1
	v_perm_b32 v24, v24, v30, 0x5040100
.LBB129_45:                             ;   in Loop: Header=BB129_39 Depth=1
	s_or_b32 exec_lo, exec_lo, s22
	v_add_co_u32 v9, vcc_lo, 0x800, v9
	v_add_co_ci_u32_e64 v10, null, 0, v10, vcc_lo
	global_load_dwordx4 v[29:32], v[9:10], off
	s_and_saveexec_b32 s22, s0
	s_cbranch_execz .LBB129_47
; %bb.46:                               ;   in Loop: Header=BB129_39 Depth=1
	v_cmp_gt_i32_e64 s1, s30, v58
	v_cmp_gt_i32_e32 vcc_lo, s17, v61
	v_cmp_gt_i32_e64 s2, s30, v60
	s_waitcnt vmcnt(0)
	v_cndmask_b32_e64 v11, 0, v29, s1
	v_cmp_gt_i32_e64 s1, s17, v59
	v_cndmask_b32_sdwa v29, v48, v29, vcc_lo dst_sel:DWORD dst_unused:UNUSED_PAD src0_sel:DWORD src1_sel:WORD_1
	v_cndmask_b32_e64 v12, 0, v30, s2
	v_cmp_gt_i32_e64 s2, s17, v57
	s_mov_b32 vcc_lo, s1
	v_cmp_gt_i32_e64 s1, s17, v55
	v_cndmask_b32_sdwa v30, v48, v30, vcc_lo dst_sel:DWORD dst_unused:UNUSED_PAD src0_sel:DWORD src1_sel:WORD_1
	v_cmp_gt_i32_e32 vcc_lo, s30, v56
	v_perm_b32 v29, v29, v11, 0x5040100
	v_perm_b32 v30, v30, v12, 0x5040100
	v_cndmask_b32_e32 v62, 0, v31, vcc_lo
	s_mov_b32 vcc_lo, s2
	v_cndmask_b32_sdwa v31, v48, v31, vcc_lo dst_sel:DWORD dst_unused:UNUSED_PAD src0_sel:DWORD src1_sel:WORD_1
	v_cmp_gt_i32_e32 vcc_lo, s30, v54
	v_perm_b32 v31, v31, v62, 0x5040100
	v_cndmask_b32_e32 v63, 0, v32, vcc_lo
	s_mov_b32 vcc_lo, s1
	v_cndmask_b32_sdwa v32, v48, v32, vcc_lo dst_sel:DWORD dst_unused:UNUSED_PAD src0_sel:DWORD src1_sel:WORD_1
	v_perm_b32 v32, v32, v63, 0x5040100
.LBB129_47:                             ;   in Loop: Header=BB129_39 Depth=1
	s_or_b32 exec_lo, exec_lo, s22
	global_load_dwordx4 v[9:12], v[9:10], off offset:512
	s_and_saveexec_b32 s2, s0
	s_cbranch_execz .LBB129_37
; %bb.48:                               ;   in Loop: Header=BB129_39 Depth=1
	v_cmp_gt_i32_e64 s0, s30, v58
	v_cmp_gt_i32_e32 vcc_lo, s17, v61
	v_cmp_gt_i32_e64 s1, s30, v60
	s_waitcnt vmcnt(0)
	v_cndmask_b32_e64 v58, 0, v9, s0
	v_cmp_gt_i32_e64 s0, s17, v59
	v_cndmask_b32_sdwa v9, v48, v9, vcc_lo dst_sel:DWORD dst_unused:UNUSED_PAD src0_sel:DWORD src1_sel:WORD_1
	v_cndmask_b32_e64 v59, 0, v10, s1
	v_cmp_gt_i32_e64 s1, s17, v57
	s_mov_b32 vcc_lo, s0
	v_cmp_gt_i32_e64 s0, s17, v55
	v_cndmask_b32_sdwa v10, v48, v10, vcc_lo dst_sel:DWORD dst_unused:UNUSED_PAD src0_sel:DWORD src1_sel:WORD_1
	v_cmp_gt_i32_e32 vcc_lo, s30, v56
	v_perm_b32 v9, v9, v58, 0x5040100
	v_perm_b32 v10, v10, v59, 0x5040100
	v_cndmask_b32_e32 v56, 0, v11, vcc_lo
	s_mov_b32 vcc_lo, s1
	v_cndmask_b32_sdwa v11, v48, v11, vcc_lo dst_sel:DWORD dst_unused:UNUSED_PAD src0_sel:DWORD src1_sel:WORD_1
	v_cmp_gt_i32_e32 vcc_lo, s30, v54
	v_perm_b32 v11, v11, v56, 0x5040100
	v_cndmask_b32_e32 v54, 0, v12, vcc_lo
	s_mov_b32 vcc_lo, s0
	v_cndmask_b32_sdwa v12, v48, v12, vcc_lo dst_sel:DWORD dst_unused:UNUSED_PAD src0_sel:DWORD src1_sel:WORD_1
	v_perm_b32 v12, v12, v54, 0x5040100
	s_branch .LBB129_37
.LBB129_49:                             ;   in Loop: Header=BB129_39 Depth=1
	v_cmp_gt_i32_e64 s1, s30, v58
	v_cmp_gt_i32_e32 vcc_lo, s17, v61
	v_cmp_gt_i32_e64 s2, s30, v60
	s_waitcnt vmcnt(0)
	v_cndmask_b32_e64 v5, 0, v1, s1
	v_cmp_gt_i32_e64 s1, s17, v59
	v_cndmask_b32_sdwa v1, v48, v1, vcc_lo dst_sel:DWORD dst_unused:UNUSED_PAD src0_sel:DWORD src1_sel:WORD_1
	v_cndmask_b32_e64 v6, 0, v2, s2
	v_cmp_gt_i32_e64 s2, s17, v57
	s_mov_b32 vcc_lo, s1
	v_cmp_gt_i32_e64 s1, s17, v55
	v_cndmask_b32_sdwa v2, v48, v2, vcc_lo dst_sel:DWORD dst_unused:UNUSED_PAD src0_sel:DWORD src1_sel:WORD_1
	v_cmp_gt_i32_e32 vcc_lo, s30, v56
	v_perm_b32 v1, v1, v5, 0x5040100
	v_perm_b32 v2, v2, v6, 0x5040100
	v_cndmask_b32_e32 v7, 0, v3, vcc_lo
	s_mov_b32 vcc_lo, s2
	v_cndmask_b32_sdwa v3, v48, v3, vcc_lo dst_sel:DWORD dst_unused:UNUSED_PAD src0_sel:DWORD src1_sel:WORD_1
	v_cmp_gt_i32_e32 vcc_lo, s30, v54
	v_perm_b32 v3, v3, v7, 0x5040100
	v_cndmask_b32_e32 v8, 0, v4, vcc_lo
	s_mov_b32 vcc_lo, s1
	v_cndmask_b32_sdwa v4, v48, v4, vcc_lo dst_sel:DWORD dst_unused:UNUSED_PAD src0_sel:DWORD src1_sel:WORD_1
	v_perm_b32 v4, v4, v8, 0x5040100
	s_or_b32 exec_lo, exec_lo, s22
	global_load_dwordx4 v[5:8], v[9:10], off offset:512
	s_and_saveexec_b32 s22, s0
	s_cbranch_execz .LBB129_42
.LBB129_50:                             ;   in Loop: Header=BB129_39 Depth=1
	v_cmp_gt_i32_e64 s1, s30, v58
	v_cmp_gt_i32_e32 vcc_lo, s17, v61
	v_cmp_gt_i32_e64 s2, s30, v60
	s_waitcnt vmcnt(0)
	v_cndmask_b32_e64 v11, 0, v5, s1
	v_cmp_gt_i32_e64 s1, s17, v59
	v_cndmask_b32_sdwa v5, v48, v5, vcc_lo dst_sel:DWORD dst_unused:UNUSED_PAD src0_sel:DWORD src1_sel:WORD_1
	v_cndmask_b32_e64 v12, 0, v6, s2
	v_cmp_gt_i32_e64 s2, s17, v57
	s_mov_b32 vcc_lo, s1
	v_cmp_gt_i32_e64 s1, s17, v55
	v_cndmask_b32_sdwa v6, v48, v6, vcc_lo dst_sel:DWORD dst_unused:UNUSED_PAD src0_sel:DWORD src1_sel:WORD_1
	v_cmp_gt_i32_e32 vcc_lo, s30, v56
	v_perm_b32 v5, v5, v11, 0x5040100
	v_perm_b32 v6, v6, v12, 0x5040100
	v_cndmask_b32_e32 v13, 0, v7, vcc_lo
	s_mov_b32 vcc_lo, s2
	v_cndmask_b32_sdwa v7, v48, v7, vcc_lo dst_sel:DWORD dst_unused:UNUSED_PAD src0_sel:DWORD src1_sel:WORD_1
	v_cmp_gt_i32_e32 vcc_lo, s30, v54
	v_perm_b32 v7, v7, v13, 0x5040100
	v_cndmask_b32_e32 v14, 0, v8, vcc_lo
	s_mov_b32 vcc_lo, s1
	v_cndmask_b32_sdwa v8, v48, v8, vcc_lo dst_sel:DWORD dst_unused:UNUSED_PAD src0_sel:DWORD src1_sel:WORD_1
	v_perm_b32 v8, v8, v14, 0x5040100
	s_or_b32 exec_lo, exec_lo, s22
	global_load_dwordx4 v[13:16], v[9:10], off offset:1024
	s_and_saveexec_b32 s22, s0
	s_cbranch_execz .LBB129_43
.LBB129_51:                             ;   in Loop: Header=BB129_39 Depth=1
	v_cmp_gt_i32_e64 s1, s30, v58
	v_cmp_gt_i32_e32 vcc_lo, s17, v61
	v_cmp_gt_i32_e64 s2, s30, v60
	s_waitcnt vmcnt(0)
	v_cndmask_b32_e64 v11, 0, v13, s1
	v_cmp_gt_i32_e64 s1, s17, v59
	v_cndmask_b32_sdwa v13, v48, v13, vcc_lo dst_sel:DWORD dst_unused:UNUSED_PAD src0_sel:DWORD src1_sel:WORD_1
	v_cndmask_b32_e64 v12, 0, v14, s2
	v_cmp_gt_i32_e64 s2, s17, v57
	s_mov_b32 vcc_lo, s1
	v_cmp_gt_i32_e64 s1, s17, v55
	v_cndmask_b32_sdwa v14, v48, v14, vcc_lo dst_sel:DWORD dst_unused:UNUSED_PAD src0_sel:DWORD src1_sel:WORD_1
	v_cmp_gt_i32_e32 vcc_lo, s30, v56
	v_perm_b32 v13, v13, v11, 0x5040100
	v_perm_b32 v14, v14, v12, 0x5040100
	v_cndmask_b32_e32 v21, 0, v15, vcc_lo
	s_mov_b32 vcc_lo, s2
	v_cndmask_b32_sdwa v15, v48, v15, vcc_lo dst_sel:DWORD dst_unused:UNUSED_PAD src0_sel:DWORD src1_sel:WORD_1
	v_cmp_gt_i32_e32 vcc_lo, s30, v54
	v_perm_b32 v15, v15, v21, 0x5040100
	v_cndmask_b32_e32 v22, 0, v16, vcc_lo
	s_mov_b32 vcc_lo, s1
	v_cndmask_b32_sdwa v16, v48, v16, vcc_lo dst_sel:DWORD dst_unused:UNUSED_PAD src0_sel:DWORD src1_sel:WORD_1
	v_perm_b32 v16, v16, v22, 0x5040100
	s_or_b32 exec_lo, exec_lo, s22
	global_load_dwordx4 v[21:24], v[9:10], off offset:1536
	s_and_saveexec_b32 s22, s0
	s_cbranch_execnz .LBB129_44
	s_branch .LBB129_45
.LBB129_52:
	s_or_b32 exec_lo, exec_lo, s15
.LBB129_53:
	s_or_b32 exec_lo, exec_lo, s3
	ds_bpermute_b32 v1, v40, v46
	ds_bpermute_b32 v2, v40, v45
	;; [unrolled: 1-line block ×6, first 2 shown]
	v_lshrrev_b32_e32 v7, 1, v39
	v_mul_u32_u24_e32 v9, 0x180, v37
	v_and_b32_e32 v13, 0x3c1, v0
	s_mov_b32 s0, exec_lo
	s_waitcnt lgkmcnt(0)
	v_lshl_add_u32 v8, v7, 2, 0xe0
	s_barrier
	buffer_gl0_inv
	v_add_f32_e32 v6, v46, v1
	v_add_f32_e32 v5, v45, v2
	;; [unrolled: 1-line block ×6, first 2 shown]
	v_cmpx_eq_u32_e32 64, v13
	s_cbranch_execz .LBB129_55
; %bb.54:
	v_add_nc_u32_e32 v10, v8, v9
	v_add_nc_u32_e32 v11, 0xfffffd00, v10
	;; [unrolled: 1-line block ×7, first 2 shown]
	ds_write_b32 v11, v6
	ds_write_b32 v12, v5
	;; [unrolled: 1-line block ×6, first 2 shown]
.LBB129_55:
	s_or_b32 exec_lo, exec_lo, s0
	v_lshlrev_b32_e32 v7, 2, v7
	s_mov_b32 s1, exec_lo
	v_cmp_eq_u32_e32 vcc_lo, 0, v36
	s_waitcnt lgkmcnt(0)
	s_barrier
	v_add3_u32 v7, 0xe0, v9, v7
	buffer_gl0_inv
	v_cmpx_gt_u32_e32 64, v0
	s_cbranch_execz .LBB129_64
; %bb.56:
	s_and_saveexec_b32 s0, vcc_lo
	s_cbranch_execnz .LBB129_78
; %bb.57:
	s_or_b32 exec_lo, exec_lo, s0
	s_and_saveexec_b32 s0, vcc_lo
	s_cbranch_execnz .LBB129_79
.LBB129_58:
	s_or_b32 exec_lo, exec_lo, s0
	s_and_saveexec_b32 s0, vcc_lo
	s_cbranch_execnz .LBB129_80
.LBB129_59:
	s_or_b32 exec_lo, exec_lo, s0
	s_and_saveexec_b32 s0, vcc_lo
	s_cbranch_execnz .LBB129_81
.LBB129_60:
	s_or_b32 exec_lo, exec_lo, s0
	s_and_saveexec_b32 s0, vcc_lo
	s_cbranch_execnz .LBB129_82
.LBB129_61:
	s_or_b32 exec_lo, exec_lo, s0
	s_and_saveexec_b32 s0, vcc_lo
	s_cbranch_execz .LBB129_63
.LBB129_62:
	ds_read_b32 v9, v7 offset:320
	s_waitcnt lgkmcnt(0)
	v_add_f32_e32 v1, v1, v9
.LBB129_63:
	s_or_b32 exec_lo, exec_lo, s0
.LBB129_64:
	s_or_b32 exec_lo, exec_lo, s1
	v_and_b32_e32 v9, 0x3e1, v0
	s_mov_b32 s1, exec_lo
	s_barrier
	buffer_gl0_inv
	v_cmpx_eq_u32_e32 32, v9
	s_cbranch_execz .LBB129_66
; %bb.65:
	ds_write2_b32 v8, v6, v5 offset1:16
	ds_write2_b32 v8, v4, v3 offset0:32 offset1:48
	ds_write2_b32 v8, v2, v1 offset0:64 offset1:80
.LBB129_66:
	s_or_b32 exec_lo, exec_lo, s1
	s_mov_b32 s1, exec_lo
	s_waitcnt lgkmcnt(0)
	s_barrier
	buffer_gl0_inv
	v_cmpx_gt_u32_e32 32, v0
	s_cbranch_execz .LBB129_75
; %bb.67:
	s_and_saveexec_b32 s0, vcc_lo
	s_cbranch_execnz .LBB129_83
; %bb.68:
	s_or_b32 exec_lo, exec_lo, s0
	s_and_saveexec_b32 s0, vcc_lo
	s_cbranch_execnz .LBB129_84
.LBB129_69:
	s_or_b32 exec_lo, exec_lo, s0
	s_and_saveexec_b32 s0, vcc_lo
	s_cbranch_execnz .LBB129_85
.LBB129_70:
	s_or_b32 exec_lo, exec_lo, s0
	s_and_saveexec_b32 s0, vcc_lo
	s_cbranch_execnz .LBB129_86
.LBB129_71:
	s_or_b32 exec_lo, exec_lo, s0
	s_and_saveexec_b32 s0, vcc_lo
	s_cbranch_execnz .LBB129_87
.LBB129_72:
	s_or_b32 exec_lo, exec_lo, s0
	s_and_saveexec_b32 s0, vcc_lo
	s_cbranch_execz .LBB129_74
.LBB129_73:
	ds_read_b32 v0, v7 offset:320
	s_waitcnt lgkmcnt(0)
	v_add_f32_e32 v1, v1, v0
.LBB129_74:
	s_or_b32 exec_lo, exec_lo, s0
.LBB129_75:
	s_or_b32 exec_lo, exec_lo, s1
	s_barrier
	buffer_gl0_inv
	s_mov_b32 s0, exec_lo
	v_cmpx_eq_u32_e32 0, v9
	s_cbranch_execz .LBB129_77
; %bb.76:
	s_mul_i32 s0, s10, s11
	v_bfe_u32 v7, v6, 16, 1
	s_mul_i32 s0, s0, s9
	s_mul_i32 s2, s11, s20
	s_mulk_i32 s0, 0x60
	v_or_b32_e32 v8, 0x400000, v6
	s_ashr_i32 s1, s0, 31
	v_add3_u32 v7, v7, v6, 0x7fff
	s_lshl_b64 s[0:1], s[0:1], 1
	v_bfe_u32 v9, v5, 16, 1
	s_add_u32 s5, s6, s0
	s_addc_u32 s6, s7, s1
	s_ashr_i32 s3, s2, 31
	v_cmp_u_f32_e32 vcc_lo, v6, v6
	s_lshl_b64 s[0:1], s[2:3], 1
	s_mul_i32 s4, s8, 0x60
	s_add_u32 s2, s5, s0
	s_addc_u32 s3, s6, s1
	s_ashr_i32 s5, s4, 31
	v_lshlrev_b32_e32 v0, 1, v35
	s_lshl_b64 s[0:1], s[4:5], 1
	v_cndmask_b32_e32 v6, v7, v8, vcc_lo
	v_bfe_u32 v7, v4, 16, 1
	v_add3_u32 v8, v9, v5, 0x7fff
	v_or_b32_e32 v9, 0x400000, v5
	v_cmp_u_f32_e32 vcc_lo, v5, v5
	s_add_u32 s0, s2, s0
	s_addc_u32 s1, s3, s1
	v_or_b32_e32 v10, 0x400000, v2
	global_store_short_d16_hi v0, v6, s[0:1]
	v_add3_u32 v6, v7, v4, 0x7fff
	v_or_b32_e32 v7, 0x400000, v4
	v_cndmask_b32_e32 v5, v8, v9, vcc_lo
	v_bfe_u32 v8, v3, 16, 1
	v_cmp_u_f32_e32 vcc_lo, v4, v4
	v_bfe_u32 v9, v2, 16, 1
	v_or_b32_e32 v11, 0x400000, v1
	v_cndmask_b32_e32 v4, v6, v7, vcc_lo
	v_add3_u32 v7, v8, v3, 0x7fff
	v_or_b32_e32 v8, 0x400000, v3
	v_cmp_u_f32_e32 vcc_lo, v3, v3
	v_bfe_u32 v6, v1, 16, 1
	v_add3_u32 v9, v9, v2, 0x7fff
	v_cndmask_b32_e32 v3, v7, v8, vcc_lo
	v_cmp_u_f32_e32 vcc_lo, v2, v2
	v_add3_u32 v6, v6, v1, 0x7fff
	v_cndmask_b32_e32 v2, v9, v10, vcc_lo
	v_cmp_u_f32_e32 vcc_lo, v1, v1
	v_cndmask_b32_e32 v1, v6, v11, vcc_lo
	global_store_short_d16_hi v0, v5, s[0:1] offset:32
	global_store_short_d16_hi v0, v4, s[0:1] offset:64
	;; [unrolled: 1-line block ×5, first 2 shown]
.LBB129_77:
	s_endpgm
.LBB129_78:
	ds_read_b32 v9, v7
	s_waitcnt lgkmcnt(0)
	v_add_f32_e32 v6, v6, v9
	s_or_b32 exec_lo, exec_lo, s0
	s_and_saveexec_b32 s0, vcc_lo
	s_cbranch_execz .LBB129_58
.LBB129_79:
	ds_read_b32 v9, v7 offset:64
	s_waitcnt lgkmcnt(0)
	v_add_f32_e32 v5, v5, v9
	s_or_b32 exec_lo, exec_lo, s0
	s_and_saveexec_b32 s0, vcc_lo
	s_cbranch_execz .LBB129_59
.LBB129_80:
	ds_read_b32 v9, v7 offset:128
	s_waitcnt lgkmcnt(0)
	v_add_f32_e32 v4, v4, v9
	s_or_b32 exec_lo, exec_lo, s0
	s_and_saveexec_b32 s0, vcc_lo
	s_cbranch_execz .LBB129_60
.LBB129_81:
	ds_read_b32 v9, v7 offset:192
	s_waitcnt lgkmcnt(0)
	v_add_f32_e32 v3, v3, v9
	s_or_b32 exec_lo, exec_lo, s0
	s_and_saveexec_b32 s0, vcc_lo
	s_cbranch_execz .LBB129_61
.LBB129_82:
	ds_read_b32 v9, v7 offset:256
	s_waitcnt lgkmcnt(0)
	v_add_f32_e32 v2, v2, v9
	s_or_b32 exec_lo, exec_lo, s0
	s_and_saveexec_b32 s0, vcc_lo
	s_cbranch_execnz .LBB129_62
	s_branch .LBB129_63
.LBB129_83:
	ds_read_b32 v0, v7
	s_waitcnt lgkmcnt(0)
	v_add_f32_e32 v6, v6, v0
	s_or_b32 exec_lo, exec_lo, s0
	s_and_saveexec_b32 s0, vcc_lo
	s_cbranch_execz .LBB129_69
.LBB129_84:
	ds_read_b32 v0, v7 offset:64
	s_waitcnt lgkmcnt(0)
	v_add_f32_e32 v5, v5, v0
	s_or_b32 exec_lo, exec_lo, s0
	s_and_saveexec_b32 s0, vcc_lo
	s_cbranch_execz .LBB129_70
.LBB129_85:
	ds_read_b32 v0, v7 offset:128
	s_waitcnt lgkmcnt(0)
	v_add_f32_e32 v4, v4, v0
	s_or_b32 exec_lo, exec_lo, s0
	s_and_saveexec_b32 s0, vcc_lo
	s_cbranch_execz .LBB129_71
.LBB129_86:
	ds_read_b32 v0, v7 offset:192
	s_waitcnt lgkmcnt(0)
	v_add_f32_e32 v3, v3, v0
	s_or_b32 exec_lo, exec_lo, s0
	s_and_saveexec_b32 s0, vcc_lo
	s_cbranch_execz .LBB129_72
.LBB129_87:
	ds_read_b32 v0, v7 offset:256
	s_waitcnt lgkmcnt(0)
	v_add_f32_e32 v2, v2, v0
	s_or_b32 exec_lo, exec_lo, s0
	s_and_saveexec_b32 s0, vcc_lo
	s_cbranch_execnz .LBB129_73
	s_branch .LBB129_74
	.section	.rodata,"a",@progbits
	.p2align	6, 0x0
	.amdhsa_kernel _ZN4vllm25paged_attention_v1_kernelI14__hip_bfloat16S1_Li96ELi16ELi128ELNS_18Fp8KVCacheDataTypeE0ELb1EEEvPT_PKS3_PKT0_S9_ifPKiSB_iPKfiiiSD_SD_iiiii
		.amdhsa_group_segment_fixed_size 224
		.amdhsa_private_segment_fixed_size 0
		.amdhsa_kernarg_size 384
		.amdhsa_user_sgpr_count 6
		.amdhsa_user_sgpr_private_segment_buffer 1
		.amdhsa_user_sgpr_dispatch_ptr 0
		.amdhsa_user_sgpr_queue_ptr 0
		.amdhsa_user_sgpr_kernarg_segment_ptr 1
		.amdhsa_user_sgpr_dispatch_id 0
		.amdhsa_user_sgpr_flat_scratch_init 0
		.amdhsa_user_sgpr_private_segment_size 0
		.amdhsa_wavefront_size32 1
		.amdhsa_uses_dynamic_stack 0
		.amdhsa_system_sgpr_private_segment_wavefront_offset 0
		.amdhsa_system_sgpr_workgroup_id_x 1
		.amdhsa_system_sgpr_workgroup_id_y 1
		.amdhsa_system_sgpr_workgroup_id_z 1
		.amdhsa_system_sgpr_workgroup_info 0
		.amdhsa_system_vgpr_workitem_id 0
		.amdhsa_next_free_vgpr 91
		.amdhsa_next_free_sgpr 38
		.amdhsa_reserve_vcc 1
		.amdhsa_reserve_flat_scratch 0
		.amdhsa_float_round_mode_32 0
		.amdhsa_float_round_mode_16_64 0
		.amdhsa_float_denorm_mode_32 3
		.amdhsa_float_denorm_mode_16_64 3
		.amdhsa_dx10_clamp 1
		.amdhsa_ieee_mode 1
		.amdhsa_fp16_overflow 0
		.amdhsa_workgroup_processor_mode 1
		.amdhsa_memory_ordered 1
		.amdhsa_forward_progress 1
		.amdhsa_shared_vgpr_count 0
		.amdhsa_exception_fp_ieee_invalid_op 0
		.amdhsa_exception_fp_denorm_src 0
		.amdhsa_exception_fp_ieee_div_zero 0
		.amdhsa_exception_fp_ieee_overflow 0
		.amdhsa_exception_fp_ieee_underflow 0
		.amdhsa_exception_fp_ieee_inexact 0
		.amdhsa_exception_int_div_zero 0
	.end_amdhsa_kernel
	.section	.text._ZN4vllm25paged_attention_v1_kernelI14__hip_bfloat16S1_Li96ELi16ELi128ELNS_18Fp8KVCacheDataTypeE0ELb1EEEvPT_PKS3_PKT0_S9_ifPKiSB_iPKfiiiSD_SD_iiiii,"axG",@progbits,_ZN4vllm25paged_attention_v1_kernelI14__hip_bfloat16S1_Li96ELi16ELi128ELNS_18Fp8KVCacheDataTypeE0ELb1EEEvPT_PKS3_PKT0_S9_ifPKiSB_iPKfiiiSD_SD_iiiii,comdat
.Lfunc_end129:
	.size	_ZN4vllm25paged_attention_v1_kernelI14__hip_bfloat16S1_Li96ELi16ELi128ELNS_18Fp8KVCacheDataTypeE0ELb1EEEvPT_PKS3_PKT0_S9_ifPKiSB_iPKfiiiSD_SD_iiiii, .Lfunc_end129-_ZN4vllm25paged_attention_v1_kernelI14__hip_bfloat16S1_Li96ELi16ELi128ELNS_18Fp8KVCacheDataTypeE0ELb1EEEvPT_PKS3_PKT0_S9_ifPKiSB_iPKfiiiSD_SD_iiiii
                                        ; -- End function
	.set _ZN4vllm25paged_attention_v1_kernelI14__hip_bfloat16S1_Li96ELi16ELi128ELNS_18Fp8KVCacheDataTypeE0ELb1EEEvPT_PKS3_PKT0_S9_ifPKiSB_iPKfiiiSD_SD_iiiii.num_vgpr, 91
	.set _ZN4vllm25paged_attention_v1_kernelI14__hip_bfloat16S1_Li96ELi16ELi128ELNS_18Fp8KVCacheDataTypeE0ELb1EEEvPT_PKS3_PKT0_S9_ifPKiSB_iPKfiiiSD_SD_iiiii.num_agpr, 0
	.set _ZN4vllm25paged_attention_v1_kernelI14__hip_bfloat16S1_Li96ELi16ELi128ELNS_18Fp8KVCacheDataTypeE0ELb1EEEvPT_PKS3_PKT0_S9_ifPKiSB_iPKfiiiSD_SD_iiiii.numbered_sgpr, 38
	.set _ZN4vllm25paged_attention_v1_kernelI14__hip_bfloat16S1_Li96ELi16ELi128ELNS_18Fp8KVCacheDataTypeE0ELb1EEEvPT_PKS3_PKT0_S9_ifPKiSB_iPKfiiiSD_SD_iiiii.num_named_barrier, 0
	.set _ZN4vllm25paged_attention_v1_kernelI14__hip_bfloat16S1_Li96ELi16ELi128ELNS_18Fp8KVCacheDataTypeE0ELb1EEEvPT_PKS3_PKT0_S9_ifPKiSB_iPKfiiiSD_SD_iiiii.private_seg_size, 0
	.set _ZN4vllm25paged_attention_v1_kernelI14__hip_bfloat16S1_Li96ELi16ELi128ELNS_18Fp8KVCacheDataTypeE0ELb1EEEvPT_PKS3_PKT0_S9_ifPKiSB_iPKfiiiSD_SD_iiiii.uses_vcc, 1
	.set _ZN4vllm25paged_attention_v1_kernelI14__hip_bfloat16S1_Li96ELi16ELi128ELNS_18Fp8KVCacheDataTypeE0ELb1EEEvPT_PKS3_PKT0_S9_ifPKiSB_iPKfiiiSD_SD_iiiii.uses_flat_scratch, 0
	.set _ZN4vllm25paged_attention_v1_kernelI14__hip_bfloat16S1_Li96ELi16ELi128ELNS_18Fp8KVCacheDataTypeE0ELb1EEEvPT_PKS3_PKT0_S9_ifPKiSB_iPKfiiiSD_SD_iiiii.has_dyn_sized_stack, 0
	.set _ZN4vllm25paged_attention_v1_kernelI14__hip_bfloat16S1_Li96ELi16ELi128ELNS_18Fp8KVCacheDataTypeE0ELb1EEEvPT_PKS3_PKT0_S9_ifPKiSB_iPKfiiiSD_SD_iiiii.has_recursion, 0
	.set _ZN4vllm25paged_attention_v1_kernelI14__hip_bfloat16S1_Li96ELi16ELi128ELNS_18Fp8KVCacheDataTypeE0ELb1EEEvPT_PKS3_PKT0_S9_ifPKiSB_iPKfiiiSD_SD_iiiii.has_indirect_call, 0
	.section	.AMDGPU.csdata,"",@progbits
; Kernel info:
; codeLenInByte = 9532
; TotalNumSgprs: 40
; NumVgprs: 91
; ScratchSize: 0
; MemoryBound: 0
; FloatMode: 240
; IeeeMode: 1
; LDSByteSize: 224 bytes/workgroup (compile time only)
; SGPRBlocks: 0
; VGPRBlocks: 11
; NumSGPRsForWavesPerEU: 40
; NumVGPRsForWavesPerEU: 91
; Occupancy: 10
; WaveLimiterHint : 1
; COMPUTE_PGM_RSRC2:SCRATCH_EN: 0
; COMPUTE_PGM_RSRC2:USER_SGPR: 6
; COMPUTE_PGM_RSRC2:TRAP_HANDLER: 0
; COMPUTE_PGM_RSRC2:TGID_X_EN: 1
; COMPUTE_PGM_RSRC2:TGID_Y_EN: 1
; COMPUTE_PGM_RSRC2:TGID_Z_EN: 1
; COMPUTE_PGM_RSRC2:TIDIG_COMP_CNT: 0
	.section	.text._ZN4vllm25paged_attention_v1_kernelI14__hip_bfloat16S1_Li112ELi16ELi128ELNS_18Fp8KVCacheDataTypeE0ELb1EEEvPT_PKS3_PKT0_S9_ifPKiSB_iPKfiiiSD_SD_iiiii,"axG",@progbits,_ZN4vllm25paged_attention_v1_kernelI14__hip_bfloat16S1_Li112ELi16ELi128ELNS_18Fp8KVCacheDataTypeE0ELb1EEEvPT_PKS3_PKT0_S9_ifPKiSB_iPKfiiiSD_SD_iiiii,comdat
	.protected	_ZN4vllm25paged_attention_v1_kernelI14__hip_bfloat16S1_Li112ELi16ELi128ELNS_18Fp8KVCacheDataTypeE0ELb1EEEvPT_PKS3_PKT0_S9_ifPKiSB_iPKfiiiSD_SD_iiiii ; -- Begin function _ZN4vllm25paged_attention_v1_kernelI14__hip_bfloat16S1_Li112ELi16ELi128ELNS_18Fp8KVCacheDataTypeE0ELb1EEEvPT_PKS3_PKT0_S9_ifPKiSB_iPKfiiiSD_SD_iiiii
	.globl	_ZN4vllm25paged_attention_v1_kernelI14__hip_bfloat16S1_Li112ELi16ELi128ELNS_18Fp8KVCacheDataTypeE0ELb1EEEvPT_PKS3_PKT0_S9_ifPKiSB_iPKfiiiSD_SD_iiiii
	.p2align	8
	.type	_ZN4vllm25paged_attention_v1_kernelI14__hip_bfloat16S1_Li112ELi16ELi128ELNS_18Fp8KVCacheDataTypeE0ELb1EEEvPT_PKS3_PKT0_S9_ifPKiSB_iPKfiiiSD_SD_iiiii,@function
_ZN4vllm25paged_attention_v1_kernelI14__hip_bfloat16S1_Li112ELi16ELi128ELNS_18Fp8KVCacheDataTypeE0ELb1EEEvPT_PKS3_PKT0_S9_ifPKiSB_iPKfiiiSD_SD_iiiii: ; @_ZN4vllm25paged_attention_v1_kernelI14__hip_bfloat16S1_Li112ELi16ELi128ELNS_18Fp8KVCacheDataTypeE0ELb1EEEvPT_PKS3_PKT0_S9_ifPKiSB_iPKfiiiSD_SD_iiiii
; %bb.0:
	s_clause 0x2
	s_load_dword s9, s[4:5], 0x80
	s_load_dwordx2 s[0:1], s[4:5], 0x30
	s_load_dwordx2 s[28:29], s[4:5], 0x20
	s_mov_b32 s10, s7
	s_ashr_i32 s11, s7, 31
	s_mov_b32 s33, 0
	s_lshl_b64 s[2:3], s[10:11], 2
	s_waitcnt lgkmcnt(0)
	s_add_u32 s0, s0, s2
	s_addc_u32 s1, s1, s3
	s_abs_i32 s2, s28
	s_abs_i32 s11, s9
	v_cvt_f32_u32_e32 v1, s2
	s_sub_i32 s7, 0, s2
	v_rcp_iflag_f32_e32 v1, v1
	v_mul_f32_e32 v1, 0x4f7ffffe, v1
	v_cvt_u32_f32_e32 v1, v1
	v_readfirstlane_b32 s3, v1
	s_mul_i32 s7, s7, s3
	s_mul_hi_u32 s7, s3, s7
	s_add_i32 s3, s3, s7
	s_xor_b32 s7, s9, s28
	s_mul_hi_u32 s3, s11, s3
	s_ashr_i32 s7, s7, 31
	s_mul_i32 s12, s3, s2
	s_sub_i32 s11, s11, s12
	s_add_i32 s12, s3, 1
	s_sub_i32 s13, s11, s2
	s_cmp_ge_u32 s11, s2
	s_cselect_b32 s3, s12, s3
	s_cselect_b32 s11, s13, s11
	s_add_i32 s12, s3, 1
	s_cmp_ge_u32 s11, s2
	s_cselect_b32 s2, s12, s3
	s_abs_i32 s22, s6
	s_xor_b32 s2, s2, s7
	s_sub_i32 s16, s2, s7
	s_load_dwordx2 s[2:3], s[4:5], 0x40
	s_abs_i32 s11, s16
	v_cvt_f32_u32_e32 v1, s11
	s_sub_i32 s12, 0, s11
	v_rcp_iflag_f32_e32 v1, v1
	v_mul_f32_e32 v1, 0x4f7ffffe, v1
	v_cvt_u32_f32_e32 v1, v1
	v_readfirstlane_b32 s7, v1
	s_mul_i32 s12, s12, s7
	s_mul_hi_u32 s12, s7, s12
	s_add_i32 s7, s7, s12
	s_waitcnt lgkmcnt(0)
	s_cmp_eq_u64 s[2:3], 0
	s_mul_hi_u32 s23, s22, s7
	s_cbranch_scc1 .LBB130_2
; %bb.1:
	s_ashr_i32 s7, s6, 31
	s_lshl_b64 s[12:13], s[6:7], 2
	s_add_u32 s2, s2, s12
	s_addc_u32 s3, s3, s13
	s_load_dword s33, s[2:3], 0x0
.LBB130_2:
	s_load_dword s30, s[0:1], 0x0
	s_load_dwordx4 s[12:15], s[4:5], 0x48
	v_lshrrev_b32_e32 v39, 1, v0
	v_and_b32_e32 v40, 1, v0
	v_lshlrev_b32_e32 v31, 3, v0
	s_ashr_i32 s0, s6, 31
	s_ashr_i32 s1, s16, 31
	s_mul_i32 s20, s6, 0x70
	s_mov_b32 s2, exec_lo
	v_cmpx_gt_u32_e32 28, v0
	s_cbranch_execz .LBB130_4
; %bb.3:
	s_load_dwordx2 s[16:17], s[4:5], 0x8
	s_waitcnt lgkmcnt(0)
	s_mul_i32 s18, s12, s10
	v_lshlrev_b32_e32 v3, 3, v39
	s_ashr_i32 s19, s18, 31
	s_lshl_b64 s[18:19], s[18:19], 1
	v_mad_u32_u24 v3, 0x70, v40, v3
	s_add_u32 s3, s16, s18
	s_addc_u32 s7, s17, s19
	s_ashr_i32 s21, s20, 31
	s_lshl_b64 s[16:17], s[20:21], 1
	s_add_u32 s16, s3, s16
	s_addc_u32 s17, s7, s17
	global_load_dwordx2 v[1:2], v31, s[16:17]
	s_waitcnt vmcnt(0)
	ds_write_b64 v3, v[1:2]
.LBB130_4:
	s_or_b32 exec_lo, exec_lo, s2
	s_load_dwordx4 s[16:19], s[4:5], 0x68
	s_mul_i32 s2, s23, s11
	s_xor_b32 s1, s0, s1
	s_sub_i32 s0, s22, s2
	s_add_i32 s2, s23, 1
	s_sub_i32 s3, s0, s11
	s_cmp_ge_u32 s0, s11
	s_waitcnt lgkmcnt(0)
	s_cselect_b32 s2, s2, s23
	s_cselect_b32 s0, s3, s0
	s_add_i32 s3, s2, 1
	s_cmp_ge_u32 s0, s11
	s_load_dword s0, s[4:5], 0x78
	s_cselect_b32 s2, s3, s2
	s_add_i32 s7, s30, -1
	s_xor_b32 s2, s2, s1
	s_abs_i32 s3, s7
	s_sub_i32 s1, s2, s1
	s_mov_b32 s11, -1
	s_barrier
	s_abs_i32 s12, s19
	s_waitcnt lgkmcnt(0)
	buffer_gl0_inv
	v_cvt_f32_u32_e32 v1, s12
	s_sub_i32 s2, 0, s12
                                        ; implicit-def: $sgpr31
	v_rcp_iflag_f32_e32 v1, v1
	v_mul_f32_e32 v1, 0x4f7ffffe, v1
	v_cvt_u32_f32_e32 v1, v1
	v_readfirstlane_b32 s21, v1
	s_mul_i32 s2, s2, s21
	s_mul_hi_u32 s2, s21, s2
	s_add_i32 s21, s21, s2
	s_cmp_lt_i32 s0, 0
	s_mul_hi_u32 s2, s3, s21
	s_cbranch_scc0 .LBB130_6
; %bb.5:
	s_mul_i32 s11, s16, s28
	s_add_i32 s11, s1, s11
	s_mul_i32 s11, s11, s0
	s_sub_i32 s31, 1, s11
	s_mov_b32 s11, 0
.LBB130_6:
	s_load_dwordx2 s[22:23], s[4:5], 0x28
	s_ashr_i32 s7, s7, 31
	s_andn2_b32 vcc_lo, exec_lo, s11
	s_ashr_i32 s19, s19, 31
	s_cbranch_vccnz .LBB130_8
; %bb.7:
	s_mul_i32 s11, s9, s16
	s_add_i32 s6, s11, s6
	s_mul_i32 s0, s6, s0
	s_add_i32 s31, s0, 1
.LBB130_8:
	s_load_dword s0, s[4:5], 0x38
	s_mul_i32 s6, s2, s12
	s_xor_b32 s15, s7, s19
	s_sub_i32 s3, s3, s6
	s_add_i32 s16, s2, 1
	s_clause 0x2
	s_load_dwordx2 s[6:7], s[4:5], 0x0
	s_load_dwordx2 s[26:27], s[4:5], 0x18
	s_load_dword s11, s[4:5], 0x88
	v_lshrrev_b32_e32 v41, 5, v0
	v_mov_b32_e32 v34, 0xff7fffff
	v_lshrrev_b32_e32 v32, 3, v0
	v_mbcnt_lo_u32_b32 v33, -1, 0
	s_mul_i32 s14, s1, s14
	v_lshlrev_b32_e32 v42, 4, v41
	s_waitcnt lgkmcnt(0)
	s_mul_i32 s24, s0, s10
	s_sub_i32 s0, s3, s12
	s_ashr_i32 s25, s24, 31
	s_cmp_ge_u32 s3, s12
	s_cselect_b32 s2, s16, s2
	s_cselect_b32 s0, s0, s3
	s_add_i32 s3, s2, 1
	s_cmp_ge_u32 s0, s12
	s_cselect_b32 s0, s3, s2
	s_add_i32 s2, s30, 15
	s_ashr_i32 s3, s2, 31
	s_lshr_b32 s3, s3, 28
	s_add_i32 s2, s2, s3
	s_ashr_i32 s16, s2, 4
	s_xor_b32 s2, s0, s15
	v_cmp_gt_i32_e64 s0, s16, v41
	s_sub_i32 s28, s2, s15
	s_and_saveexec_b32 s34, s0
	s_cbranch_execz .LBB130_20
; %bb.9:
	s_load_dwordx2 s[2:3], s[4:5], 0x10
	s_ashr_i32 s15, s14, 31
	s_sub_i32 s4, s28, s17
	s_lshl_b64 s[36:37], s[14:15], 1
	v_bfe_u32 v35, v0, 1, 4
	v_and_b32_e32 v3, 0x7c, v32
	v_and_b32_e32 v2, 8, v31
	v_mul_u32_u24_e32 v36, 0x70, v40
	v_cmp_neq_f32_e64 s1, s33, 0
	v_lshlrev_b32_e32 v4, 2, v35
	v_lshlrev_b32_e32 v6, 4, v35
	v_subrev_nc_u32_e32 v5, s30, v35
	v_lshlrev_b32_e32 v37, 4, v41
	v_mov_b32_e32 v38, 0xff7fffff
	v_lshl_or_b32 v4, v41, 6, v4
	v_xor_b32_e32 v43, 1, v33
	v_add_nc_u32_e32 v44, 1, v5
	v_mov_b32_e32 v34, 0xff7fffff
	v_mov_b32_e32 v49, v41
	v_add_nc_u32_e32 v45, 0x100, v4
	s_waitcnt lgkmcnt(0)
	s_add_u32 s15, s2, s36
	s_addc_u32 s35, s3, s37
	s_abs_i32 s5, s18
	v_add_co_u32 v7, s15, s15, v6
	v_cvt_f32_u32_e32 v1, s5
	s_sub_i32 s2, 0, s5
	v_add_co_ci_u32_e64 v8, null, s35, 0, s15
	s_mov_b32 s15, 0
	v_rcp_iflag_f32_e32 v1, v1
	s_mov_b32 s35, s13
	v_cmp_eq_u32_e32 vcc_lo, 0, v40
	v_mul_f32_e32 v1, 0x4f7ffffe, v1
	v_cvt_u32_f32_e32 v1, v1
	v_mul_lo_u32 v4, s2, v1
	s_lshl_b64 s[2:3], s[24:25], 2
	s_add_u32 s2, s22, s2
	s_addc_u32 s3, s23, s3
	v_add_co_u32 v5, s2, s2, v3
	v_add_co_ci_u32_e64 v6, null, s3, 0, s2
	v_mul_hi_u32 v4, v1, v4
	v_add_co_u32 v46, s2, v7, v2
	v_add_co_ci_u32_e64 v47, null, 0, v8, s2
	v_add_nc_u32_e32 v48, v1, v4
	s_branch .LBB130_12
.LBB130_10:                             ;   in Loop: Header=BB130_12 Depth=1
	s_or_b32 exec_lo, exec_lo, s36
.LBB130_11:                             ;   in Loop: Header=BB130_12 Depth=1
	s_or_b32 exec_lo, exec_lo, s3
	v_add_nc_u32_e32 v49, 4, v49
	v_add_co_u32 v5, s3, v5, 16
	v_add_co_ci_u32_e64 v6, null, 0, v6, s3
	v_cmp_le_i32_e64 s2, s16, v49
	v_add_nc_u32_e32 v37, 64, v37
	v_add_nc_u32_e32 v45, 0x100, v45
	s_or_b32 s15, s2, s15
	s_andn2_b32 exec_lo, exec_lo, s15
	s_cbranch_execz .LBB130_19
.LBB130_12:                             ; =>This Inner Loop Header: Depth=1
	v_mul_hi_u32 v1, v37, s21
	s_waitcnt lgkmcnt(0)
	v_mul_lo_u32 v2, v1, s12
	v_add_nc_u32_e32 v3, 1, v1
	v_sub_nc_u32_e32 v2, v37, v2
	v_subrev_nc_u32_e32 v4, s12, v2
	v_cmp_le_u32_e64 s2, s12, v2
	v_cndmask_b32_e64 v1, v1, v3, s2
	v_cndmask_b32_e64 v2, v2, v4, s2
	v_add_nc_u32_e32 v3, 1, v1
	v_cmp_le_u32_e64 s2, s12, v2
	v_cndmask_b32_e64 v1, v1, v3, s2
	v_xor_b32_e32 v1, s19, v1
	v_subrev_nc_u32_e32 v1, s19, v1
	v_add_nc_u32_e32 v2, s31, v1
	v_cmp_ge_i32_e64 s3, s4, v1
	v_sub_nc_u32_e32 v3, 0, v2
	v_max_i32_e32 v3, v2, v3
	v_ashrrev_i32_e32 v2, 31, v2
	v_mul_hi_u32 v4, v3, v48
	v_mul_lo_u32 v4, v4, s5
	v_sub_nc_u32_e32 v3, v3, v4
	v_subrev_nc_u32_e32 v4, s5, v3
	v_cmp_le_u32_e64 s2, s5, v3
	v_cndmask_b32_e64 v3, v3, v4, s2
	v_subrev_nc_u32_e32 v4, s5, v3
	v_cmp_le_u32_e64 s2, s5, v3
	v_cndmask_b32_e64 v3, v3, v4, s2
	v_xor_b32_e32 v3, v3, v2
	v_sub_nc_u32_e32 v2, v3, v2
	v_cmp_ne_u32_e64 s2, 0, v2
	s_and_b32 s2, s2, s3
	s_and_saveexec_b32 s3, s2
	s_xor_b32 s2, exec_lo, s3
	s_cbranch_execz .LBB130_16
; %bb.13:                               ;   in Loop: Header=BB130_12 Depth=1
	s_and_saveexec_b32 s3, vcc_lo
; %bb.14:                               ;   in Loop: Header=BB130_12 Depth=1
	ds_write_b32 v45, v38
; %bb.15:                               ;   in Loop: Header=BB130_12 Depth=1
	s_or_b32 exec_lo, exec_lo, s3
.LBB130_16:                             ;   in Loop: Header=BB130_12 Depth=1
	s_andn2_saveexec_b32 s3, s2
	s_cbranch_execz .LBB130_11
; %bb.17:                               ;   in Loop: Header=BB130_12 Depth=1
	global_load_dword v1, v[5:6], off
	s_waitcnt vmcnt(0)
	v_mad_i64_i32 v[1:2], null, v1, s35, 0
	v_lshlrev_b64 v[1:2], 1, v[1:2]
	v_add_co_u32 v1, s2, v46, v1
	v_add_co_ci_u32_e64 v2, null, v47, v2, s2
	s_clause 0x6
	global_load_dwordx2 v[27:28], v[1:2], off offset:256
	global_load_dwordx2 v[7:8], v[1:2], off offset:512
	;; [unrolled: 1-line block ×3, first 2 shown]
	global_load_dwordx2 v[86:87], v[1:2], off
	global_load_dwordx2 v[88:89], v[1:2], off offset:1024
	global_load_dwordx2 v[25:26], v[1:2], off offset:1280
	;; [unrolled: 1-line block ×3, first 2 shown]
	v_add_co_u32 v3, s2, 0x800, v1
	v_add_co_ci_u32_e64 v4, null, 0, v2, s2
	s_clause 0x6
	global_load_dwordx2 v[21:22], v[1:2], off offset:1792
	global_load_dwordx2 v[15:16], v[3:4], off
	global_load_dwordx2 v[17:18], v[3:4], off offset:256
	global_load_dwordx2 v[19:20], v[3:4], off offset:512
	;; [unrolled: 1-line block ×5, first 2 shown]
	ds_read_b128 v[62:65], v36
	ds_read_b128 v[66:69], v36 offset:16
	ds_read_b128 v[70:73], v36 offset:32
	;; [unrolled: 1-line block ×6, first 2 shown]
	v_cmp_gt_i32_e64 s2, 32, v43
	s_waitcnt lgkmcnt(6)
	v_lshlrev_b32_e32 v55, 16, v64
	v_and_b32_e32 v64, 0xffff0000, v64
	v_lshlrev_b32_e32 v90, 16, v62
	v_lshlrev_b32_e32 v92, 16, v65
	v_and_b32_e32 v62, 0xffff0000, v62
	v_lshlrev_b32_e32 v91, 16, v63
	s_waitcnt lgkmcnt(5)
	v_lshlrev_b32_e32 v93, 16, v66
	v_and_b32_e32 v65, 0xffff0000, v65
	v_and_b32_e32 v66, 0xffff0000, v66
	v_lshlrev_b32_e32 v94, 16, v67
	v_lshlrev_b32_e32 v95, 16, v68
	v_and_b32_e32 v63, 0xffff0000, v63
	v_and_b32_e32 v68, 0xffff0000, v68
	v_lshlrev_b32_e32 v96, 16, v69
	s_waitcnt lgkmcnt(4)
	v_lshlrev_b32_e32 v97, 16, v70
	v_and_b32_e32 v67, 0xffff0000, v67
	v_and_b32_e32 v70, 0xffff0000, v70
	v_lshlrev_b32_e32 v98, 16, v71
	v_lshlrev_b32_e32 v99, 16, v72
	v_and_b32_e32 v69, 0xffff0000, v69
	;; [unrolled: 9-line block ×5, first 2 shown]
	v_and_b32_e32 v84, 0xffff0000, v84
	v_lshlrev_b32_e32 v50, 16, v85
	v_and_b32_e32 v83, 0xffff0000, v83
	v_and_b32_e32 v85, 0xffff0000, v85
	s_waitcnt lgkmcnt(0)
	v_lshlrev_b32_e32 v104, 16, v2
	v_and_b32_e32 v2, 0xffff0000, v2
	s_waitcnt vmcnt(13)
	v_lshlrev_b32_e32 v102, 16, v27
	v_and_b32_e32 v27, 0xffff0000, v27
	s_waitcnt vmcnt(10)
	v_lshlrev_b32_e32 v103, 16, v86
	v_and_b32_e32 v86, 0xffff0000, v86
	v_mul_f32_e32 v55, v55, v102
	v_mul_f32_e32 v27, v64, v27
	v_lshlrev_b32_e32 v64, 16, v28
	v_and_b32_e32 v28, 0xffff0000, v28
	v_lshlrev_b32_e32 v102, 16, v1
	v_fmac_f32_e32 v55, v90, v103
	v_lshlrev_b32_e32 v90, 16, v87
	v_fmac_f32_e32 v27, v62, v86
	v_lshlrev_b32_e32 v62, 16, v7
	v_and_b32_e32 v7, 0xffff0000, v7
	v_mul_f32_e32 v64, v92, v64
	v_and_b32_e32 v87, 0xffff0000, v87
	v_lshlrev_b32_e32 v86, 16, v8
	v_mul_f32_e32 v28, v65, v28
	v_lshlrev_b32_e32 v65, 16, v29
	v_fmac_f32_e32 v64, v91, v90
	v_and_b32_e32 v29, 0xffff0000, v29
	v_fmac_f32_e32 v55, v93, v62
	v_fmac_f32_e32 v27, v66, v7
	v_and_b32_e32 v8, 0xffff0000, v8
	v_lshlrev_b32_e32 v90, 16, v30
	s_waitcnt vmcnt(9)
	v_lshlrev_b32_e32 v91, 16, v88
	v_fmac_f32_e32 v28, v63, v87
	v_and_b32_e32 v63, 0xffff0000, v88
	v_fmac_f32_e32 v64, v94, v86
	v_fmac_f32_e32 v55, v95, v65
	;; [unrolled: 1-line block ×3, first 2 shown]
	v_and_b32_e32 v30, 0xffff0000, v30
	v_lshlrev_b32_e32 v87, 16, v89
	v_and_b32_e32 v88, 0xffff0000, v89
	s_waitcnt vmcnt(8)
	v_lshlrev_b32_e32 v89, 16, v25
	v_and_b32_e32 v25, 0xffff0000, v25
	v_fmac_f32_e32 v28, v67, v8
	v_fmac_f32_e32 v64, v96, v90
	;; [unrolled: 1-line block ×4, first 2 shown]
	v_lshlrev_b32_e32 v62, 16, v26
	s_waitcnt vmcnt(7)
	v_lshlrev_b32_e32 v92, 16, v23
	v_and_b32_e32 v7, 0xffff0000, v23
	v_fmac_f32_e32 v28, v69, v30
	v_fmac_f32_e32 v64, v98, v87
	v_fmac_f32_e32 v55, v99, v89
	v_fmac_f32_e32 v27, v72, v25
	v_and_b32_e32 v26, 0xffff0000, v26
	v_lshlrev_b32_e32 v23, 16, v24
	s_waitcnt vmcnt(6)
	v_lshlrev_b32_e32 v66, 16, v21
	v_and_b32_e32 v21, 0xffff0000, v21
	v_fmac_f32_e32 v28, v71, v88
	v_fmac_f32_e32 v64, v100, v62
	v_fmac_f32_e32 v55, v101, v92
	v_fmac_f32_e32 v27, v74, v7
	v_and_b32_e32 v24, 0xffff0000, v24
	;; [unrolled: 9-line block ×6, first 2 shown]
	v_and_b32_e32 v20, 0xffff0000, v20
	v_lshlrev_b32_e32 v30, 16, v14
	s_waitcnt vmcnt(1)
	v_lshlrev_b32_e32 v7, 16, v11
	v_and_b32_e32 v11, 0xffff0000, v11
	v_fmac_f32_e32 v28, v81, v18
	v_fmac_f32_e32 v64, v51, v29
	v_fmac_f32_e32 v55, v52, v90
	v_fmac_f32_e32 v27, v84, v13
	v_lshlrev_b32_e32 v103, 16, v3
	v_and_b32_e32 v3, 0xffff0000, v3
	v_and_b32_e32 v14, 0xffff0000, v14
	v_lshlrev_b32_e32 v8, 16, v12
	s_waitcnt vmcnt(0)
	v_lshlrev_b32_e32 v15, 16, v9
	v_fmac_f32_e32 v28, v83, v20
	v_and_b32_e32 v9, 0xffff0000, v9
	v_fmac_f32_e32 v64, v50, v30
	v_fmac_f32_e32 v55, v102, v7
	;; [unrolled: 1-line block ×3, first 2 shown]
	v_lshlrev_b32_e32 v68, 16, v4
	v_and_b32_e32 v12, 0xffff0000, v12
	v_fmac_f32_e32 v28, v85, v14
	v_lshlrev_b32_e32 v1, 16, v10
	v_fmac_f32_e32 v64, v104, v8
	v_fmac_f32_e32 v55, v15, v103
	;; [unrolled: 1-line block ×4, first 2 shown]
	v_and_b32_e32 v2, 0xffff0000, v4
	v_and_b32_e32 v3, 0xffff0000, v10
	v_fmac_f32_e32 v64, v1, v68
	v_add_f32_e32 v1, v55, v27
	v_cndmask_b32_e64 v4, v33, v43, s2
	v_fmac_f32_e32 v28, v3, v2
	v_add_f32_e32 v1, v1, v64
	v_lshlrev_b32_e32 v2, 2, v4
	v_add_f32_e32 v1, v28, v1
	ds_bpermute_b32 v2, v2, v1
	s_and_saveexec_b32 s36, vcc_lo
	s_cbranch_execz .LBB130_10
; %bb.18:                               ;   in Loop: Header=BB130_12 Depth=1
	v_add_nc_u32_e32 v3, v44, v37
	s_waitcnt lgkmcnt(0)
	v_add_f32_e32 v1, v1, v2
	v_cvt_f32_i32_e32 v3, v3
	v_mul_f32_e32 v3, s33, v3
	v_cndmask_b32_e64 v2, 0, v3, s1
	v_max_f32_e32 v3, v34, v34
	v_fmac_f32_e32 v2, s29, v1
	v_add_nc_u32_e32 v1, v35, v37
	v_max_f32_e32 v3, v3, v2
	v_cmp_gt_i32_e64 s2, s30, v1
	v_cndmask_b32_e64 v1, 0, v2, s2
	v_cndmask_b32_e64 v34, v34, v3, s2
	ds_write_b32 v45, v1
	s_branch .LBB130_10
.LBB130_19:
	s_or_b32 exec_lo, exec_lo, s15
.LBB130_20:
	s_or_b32 exec_lo, exec_lo, s34
	v_xor_b32_e32 v1, 16, v33
	v_xor_b32_e32 v3, 8, v33
	v_max_f32_e32 v5, v34, v34
	v_xor_b32_e32 v6, 2, v33
	v_and_b32_e32 v43, 31, v0
	v_cmp_gt_i32_e32 vcc_lo, 32, v1
	v_cndmask_b32_e32 v1, v33, v1, vcc_lo
	v_cmp_gt_i32_e32 vcc_lo, 32, v3
	s_waitcnt lgkmcnt(0)
	v_lshlrev_b32_e32 v2, 2, v1
	v_cndmask_b32_e32 v3, v33, v3, vcc_lo
	ds_bpermute_b32 v1, v2, v34
	v_lshlrev_b32_e32 v4, 2, v3
	s_waitcnt lgkmcnt(0)
	v_max_f32_e32 v1, v1, v1
	v_max_f32_e32 v1, v5, v1
	v_xor_b32_e32 v5, 4, v33
	ds_bpermute_b32 v3, v4, v1
	v_cmp_gt_i32_e32 vcc_lo, 32, v5
	v_cndmask_b32_e32 v5, v33, v5, vcc_lo
	v_cmp_gt_i32_e32 vcc_lo, 32, v6
	v_lshlrev_b32_e32 v5, 2, v5
	v_cndmask_b32_e32 v6, v33, v6, vcc_lo
	v_cmp_eq_u32_e32 vcc_lo, 0, v43
	s_waitcnt lgkmcnt(0)
	v_max_f32_e32 v3, v3, v3
	v_max_f32_e32 v1, v1, v3
	ds_bpermute_b32 v3, v5, v1
	s_waitcnt lgkmcnt(0)
	v_max_f32_e32 v3, v3, v3
	v_max_f32_e32 v3, v1, v3
	v_lshlrev_b32_e32 v1, 2, v6
	v_lshlrev_b32_e32 v6, 2, v41
	ds_bpermute_b32 v7, v1, v3
	s_and_saveexec_b32 s1, vcc_lo
	s_cbranch_execz .LBB130_22
; %bb.21:
	s_waitcnt lgkmcnt(0)
	v_max_f32_e32 v7, v7, v7
	v_max_f32_e32 v3, v3, v3
	;; [unrolled: 1-line block ×3, first 2 shown]
	ds_write_b32 v6, v3 offset:224
.LBB130_22:
	s_or_b32 exec_lo, exec_lo, s1
	v_cmp_gt_u32_e64 s1, 4, v43
	v_mov_b32_e32 v3, 0xff7fffff
	s_waitcnt lgkmcnt(0)
	v_lshlrev_b32_e32 v7, 2, v43
	s_barrier
	buffer_gl0_inv
	s_and_saveexec_b32 s2, s1
; %bb.23:
	ds_read_b32 v3, v7 offset:224
; %bb.24:
	s_or_b32 exec_lo, exec_lo, s2
	s_waitcnt lgkmcnt(0)
	ds_bpermute_b32 v8, v1, v3
	v_xor_b32_e32 v9, 1, v33
	v_max_f32_e32 v3, v3, v3
	v_cmp_gt_i32_e64 s2, 32, v9
	v_cndmask_b32_e64 v9, v33, v9, s2
	s_lshl_b32 s2, s16, 4
	s_min_i32 s4, s2, s30
	v_lshlrev_b32_e32 v44, 2, v9
	v_cmp_gt_i32_e64 s2, s4, v0
	s_waitcnt lgkmcnt(0)
	v_max_f32_e32 v8, v8, v8
	v_max_f32_e32 v3, v3, v8
	ds_bpermute_b32 v8, v44, v3
	s_waitcnt lgkmcnt(0)
	v_max_f32_e32 v8, v8, v8
	v_max_f32_e32 v3, v3, v8
	v_mov_b32_e32 v8, 0
	ds_bpermute_b32 v9, v8, v3
	v_lshl_add_u32 v3, v0, 2, 0x100
	s_and_saveexec_b32 s5, s2
	s_cbranch_execz .LBB130_28
; %bb.25:
	v_lshl_add_u32 v10, v0, 2, 0x100
	v_mov_b32_e32 v8, 0
	v_mov_b32_e32 v11, v0
	s_mov_b32 s15, 0
	.p2align	6
.LBB130_26:                             ; =>This Inner Loop Header: Depth=1
	ds_read_b32 v12, v10
	v_add_nc_u32_e32 v11, 0x80, v11
	v_cmp_le_i32_e64 s3, s4, v11
	s_or_b32 s15, s3, s15
	s_waitcnt lgkmcnt(0)
	v_sub_f32_e32 v12, v12, v9
	v_mul_f32_e32 v12, 0x3fb8aa3b, v12
	v_exp_f32_e32 v12, v12
	ds_write_b32 v10, v12
	v_add_f32_e32 v8, v8, v12
	v_add_nc_u32_e32 v10, 0x200, v10
	s_andn2_b32 exec_lo, exec_lo, s15
	s_cbranch_execnz .LBB130_26
; %bb.27:
	s_or_b32 exec_lo, exec_lo, s15
.LBB130_28:
	s_or_b32 exec_lo, exec_lo, s5
	ds_bpermute_b32 v2, v2, v8
	s_waitcnt lgkmcnt(0)
	v_add_f32_e32 v2, v8, v2
	ds_bpermute_b32 v4, v4, v2
	s_waitcnt lgkmcnt(0)
	v_add_f32_e32 v2, v2, v4
	;; [unrolled: 3-line block ×5, first 2 shown]
	s_and_saveexec_b32 s3, vcc_lo
; %bb.29:
	ds_write_b32 v6, v2 offset:240
; %bb.30:
	s_or_b32 exec_lo, exec_lo, s3
	s_waitcnt lgkmcnt(0)
	s_barrier
	buffer_gl0_inv
	s_and_saveexec_b32 s3, s1
; %bb.31:
	ds_read_b32 v2, v7 offset:240
; %bb.32:
	s_or_b32 exec_lo, exec_lo, s3
	s_waitcnt lgkmcnt(0)
	ds_bpermute_b32 v1, v1, v2
	s_waitcnt lgkmcnt(0)
	v_add_f32_e32 v1, v2, v1
	ds_bpermute_b32 v2, v44, v1
	s_waitcnt lgkmcnt(0)
	v_add_f32_e32 v1, v1, v2
	v_mov_b32_e32 v2, 0
	ds_bpermute_b32 v1, v2, v1
	s_and_saveexec_b32 s1, s2
	s_cbranch_execz .LBB130_35
; %bb.33:
	s_waitcnt lgkmcnt(0)
	v_add_f32_e32 v1, 0x358637bd, v1
	s_mov_b32 s2, 0
	v_div_scale_f32 v2, null, v1, v1, 1.0
	v_div_scale_f32 v6, vcc_lo, 1.0, v1, 1.0
	v_rcp_f32_e32 v4, v2
	v_fma_f32 v5, -v2, v4, 1.0
	v_fmac_f32_e32 v4, v5, v4
	v_mul_f32_e32 v5, v6, v4
	v_fma_f32 v7, -v2, v5, v6
	v_fmac_f32_e32 v5, v7, v4
	v_fma_f32 v2, -v2, v5, v6
	v_div_fmas_f32 v2, v2, v4, v5
	v_div_fixup_f32 v1, v2, v1, 1.0
	v_mov_b32_e32 v2, v0
.LBB130_34:                             ; =>This Inner Loop Header: Depth=1
	ds_read_b32 v4, v3
	v_add_nc_u32_e32 v2, 0x80, v2
	v_cmp_le_i32_e32 vcc_lo, s4, v2
	s_or_b32 s2, vcc_lo, s2
	s_waitcnt lgkmcnt(0)
	v_mul_f32_e32 v4, v1, v4
	ds_write_b32 v3, v4
	v_add_nc_u32_e32 v3, 0x200, v3
	s_andn2_b32 exec_lo, exec_lo, s2
	s_cbranch_execnz .LBB130_34
.LBB130_35:
	s_or_b32 exec_lo, exec_lo, s1
	v_mov_b32_e32 v51, 0
	v_mov_b32_e32 v50, 0
	;; [unrolled: 1-line block ×7, first 2 shown]
	s_waitcnt lgkmcnt(0)
	s_barrier
	buffer_gl0_inv
	s_and_saveexec_b32 s3, s0
	s_cbranch_execz .LBB130_55
; %bb.36:
	s_ashr_i32 s15, s14, 31
	s_sub_i32 s4, s28, s17
	s_lshl_b64 s[0:1], s[14:15], 1
	v_lshlrev_b32_e32 v2, 4, v0
	s_add_u32 s2, s26, s0
	s_addc_u32 s15, s27, s1
	s_abs_i32 s5, s18
	v_lshlrev_b32_e32 v4, 5, v40
	v_cvt_f32_u32_e32 v1, s5
	s_sub_i32 s0, 0, s5
	v_and_b32_e32 v3, 0x7c, v32
	v_and_b32_e32 v2, 0x1f0, v2
	s_add_i32 s14, s16, -1
	v_rcp_iflag_f32_e32 v1, v1
	v_lshl_or_b32 v4, v41, 6, v4
	v_and_b32_e32 v52, 8, v31
	v_add_co_u32 v54, s2, s2, v2
	v_mov_b32_e32 v53, 0
	v_mov_b32_e32 v45, 0
	;; [unrolled: 1-line block ×5, first 2 shown]
	v_mul_f32_e32 v1, 0x4f7ffffe, v1
	v_mov_b32_e32 v49, 0
	v_mov_b32_e32 v50, 0
	;; [unrolled: 1-line block ×3, first 2 shown]
	v_add_co_ci_u32_e64 v55, null, s15, 0, s2
	v_cvt_u32_f32_e32 v1, v1
	v_add_nc_u32_e32 v56, 0x100, v4
	v_mov_b32_e32 v58, v41
	s_mov_b32 s17, s30
	s_mov_b32 s15, 0
	v_mul_lo_u32 v5, s0, v1
	s_lshl_b64 s[0:1], s[24:25], 2
	s_add_u32 s0, s22, s0
	s_addc_u32 s1, s23, s1
	v_add_co_u32 v37, s0, s0, v3
	v_add_co_ci_u32_e64 v38, null, s1, 0, s0
	v_mul_hi_u32 v5, v1, v5
	v_add_nc_u32_e32 v57, v1, v5
	s_branch .LBB130_39
.LBB130_37:                             ;   in Loop: Header=BB130_39 Depth=1
	s_or_b32 exec_lo, exec_lo, s2
	s_waitcnt lgkmcnt(1)
	v_bfe_u32 v59, v25, 16, 1
	v_bfe_u32 v60, v26, 16, 1
	v_or_b32_e32 v61, 0x400000, v25
	v_cmp_u_f32_e32 vcc_lo, v25, v25
	v_or_b32_e32 v62, 0x400000, v26
	v_add3_u32 v59, v59, v25, 0x7fff
	v_bfe_u32 v63, v27, 16, 1
	v_add3_u32 v60, v60, v26, 0x7fff
	v_bfe_u32 v64, v28, 16, 1
	v_cndmask_b32_e32 v25, v59, v61, vcc_lo
	v_cmp_u_f32_e32 vcc_lo, v26, v26
	v_add3_u32 v59, v63, v27, 0x7fff
	s_waitcnt lgkmcnt(0)
	v_bfe_u32 v61, v21, 16, 1
	v_or_b32_e32 v63, 0x400000, v28
	v_and_b32_e32 v25, 0xffff0000, v25
	v_cndmask_b32_e32 v26, v60, v62, vcc_lo
	v_or_b32_e32 v60, 0x400000, v27
	v_cmp_u_f32_e32 vcc_lo, v27, v27
	v_add3_u32 v62, v64, v28, 0x7fff
	v_cndmask_b32_e32 v27, v59, v60, vcc_lo
	v_cmp_u_f32_e32 vcc_lo, v28, v28
	v_add3_u32 v59, v61, v21, 0x7fff
	v_or_b32_e32 v60, 0x400000, v21
	v_bfe_u32 v61, v22, 16, 1
	v_cndmask_b32_e32 v28, v62, v63, vcc_lo
	v_cmp_u_f32_e32 vcc_lo, v21, v21
	v_and_b32_e32 v21, 0xffff0000, v26
	s_waitcnt vmcnt(1)
	v_and_b32_e32 v26, 0xffff0000, v33
	v_add3_u32 v61, v61, v22, 0x7fff
	v_or_b32_e32 v62, 0x400000, v22
	v_cndmask_b32_e32 v59, v59, v60, vcc_lo
	v_bfe_u32 v60, v23, 16, 1
	v_cmp_u_f32_e32 vcc_lo, v22, v22
	v_or_b32_e32 v63, 0x400000, v23
	v_mul_f32_e32 v26, v21, v26
	v_lshlrev_b32_e32 v33, 16, v33
	v_add3_u32 v60, v60, v23, 0x7fff
	v_cndmask_b32_e32 v22, v61, v62, vcc_lo
	v_bfe_u32 v61, v24, 16, 1
	v_cmp_u_f32_e32 vcc_lo, v23, v23
	v_bfe_u32 v23, v26, 16, 1
	v_or_b32_e32 v62, 0x400000, v24
	v_or_b32_e32 v64, 0x400000, v26
	v_add3_u32 v61, v61, v24, 0x7fff
	v_cndmask_b32_e32 v60, v60, v63, vcc_lo
	v_cmp_u_f32_e32 vcc_lo, v24, v24
	v_add3_u32 v63, v23, v26, 0x7fff
	v_mul_f32_e32 v33, v25, v33
	v_and_b32_e32 v23, 0xffff0000, v28
	v_and_b32_e32 v28, 0xffff0000, v34
	v_cndmask_b32_e32 v24, v61, v62, vcc_lo
	v_cmp_u_f32_e32 vcc_lo, v26, v26
	v_bfe_u32 v62, v33, 16, 1
	v_and_b32_e32 v26, 0xffff0000, v27
	v_lshlrev_b32_e32 v27, 16, v34
	v_and_b32_e32 v22, 0xffff0000, v22
	v_cndmask_b32_e32 v61, v63, v64, vcc_lo
	v_mul_f32_e32 v63, v23, v28
	v_and_b32_e32 v28, 0xffff0000, v35
	v_add3_u32 v34, v62, v33, 0x7fff
	v_or_b32_e32 v62, 0x400000, v33
	v_mul_f32_e32 v27, v26, v27
	v_bfe_u32 v64, v63, 16, 1
	v_cmp_u_f32_e32 vcc_lo, v33, v33
	v_mul_f32_e32 v65, v22, v28
	v_and_b32_e32 v28, 0xffff0000, v59
	v_lshlrev_b32_e32 v35, 16, v35
	v_and_b32_e32 v24, 0xffff0000, v24
	v_cndmask_b32_e32 v33, v34, v62, vcc_lo
	v_add3_u32 v34, v64, v63, 0x7fff
	v_or_b32_e32 v62, 0x400000, v63
	v_bfe_u32 v64, v27, 16, 1
	v_cmp_u_f32_e32 vcc_lo, v63, v63
	v_bfe_u32 v66, v65, 16, 1
	v_mul_f32_e32 v35, v28, v35
	v_and_b32_e32 v33, 0xffff0000, v33
	v_add3_u32 v59, v64, v27, 0x7fff
	v_cndmask_b32_e32 v34, v34, v62, vcc_lo
	v_or_b32_e32 v62, 0x400000, v27
	v_cmp_u_f32_e32 vcc_lo, v27, v27
	v_add3_u32 v63, v66, v65, 0x7fff
	v_and_b32_e32 v64, 0xffff0000, v36
	v_or_b32_e32 v66, 0x400000, v65
	v_bfe_u32 v67, v35, 16, 1
	v_cndmask_b32_e32 v59, v59, v62, vcc_lo
	v_cmp_u_f32_e32 vcc_lo, v65, v65
	v_mul_f32_e32 v62, v24, v64
	v_or_b32_e32 v65, 0x400000, v35
	v_add3_u32 v64, v67, v35, 0x7fff
	v_and_b32_e32 v27, 0xffff0000, v60
	v_cndmask_b32_e32 v63, v63, v66, vcc_lo
	v_cmp_u_f32_e32 vcc_lo, v35, v35
	v_lshlrev_b32_e32 v36, 16, v36
	v_and_b32_e32 v61, 0xffff0000, v61
	v_and_b32_e32 v59, 0xffff0000, v59
	;; [unrolled: 1-line block ×3, first 2 shown]
	v_cndmask_b32_e32 v35, v64, v65, vcc_lo
	v_bfe_u32 v66, v62, 16, 1
	v_mul_f32_e32 v36, v27, v36
	v_add_f32_e32 v33, v33, v61
	v_add_f32_e32 v34, v59, v34
	v_and_b32_e32 v35, 0xffff0000, v35
	v_and_b32_e32 v59, 0xffff0000, v29
	;; [unrolled: 1-line block ×3, first 2 shown]
	v_add3_u32 v60, v66, v62, 0x7fff
	v_or_b32_e32 v64, 0x400000, v62
	v_cmp_u_f32_e32 vcc_lo, v62, v62
	v_bfe_u32 v62, v36, 16, 1
	v_add_f32_e32 v33, v34, v33
	v_mul_f32_e32 v34, v21, v59
	v_add_f32_e32 v35, v35, v61
	v_lshlrev_b32_e32 v29, 16, v29
	v_cndmask_b32_e32 v60, v60, v64, vcc_lo
	v_add3_u32 v62, v62, v36, 0x7fff
	v_or_b32_e32 v63, 0x400000, v36
	v_cmp_u_f32_e32 vcc_lo, v36, v36
	v_bfe_u32 v59, v34, 16, 1
	v_add_f32_e32 v33, v35, v33
	v_mul_f32_e32 v29, v25, v29
	v_and_b32_e32 v35, 0xffff0000, v30
	v_cndmask_b32_e32 v36, v62, v63, vcc_lo
	v_add3_u32 v59, v59, v34, 0x7fff
	v_or_b32_e32 v61, 0x400000, v34
	v_bfe_u32 v62, v29, 16, 1
	v_mul_f32_e32 v35, v23, v35
	v_lshlrev_b32_e32 v30, 16, v30
	v_cmp_u_f32_e32 vcc_lo, v34, v34
	v_and_b32_e32 v63, 0xffff0000, v31
	v_lshlrev_b32_e32 v31, 16, v31
	v_and_b32_e32 v64, 0xffff0000, v32
	v_mul_f32_e32 v30, v26, v30
	v_cndmask_b32_e32 v34, v59, v61, vcc_lo
	v_add3_u32 v59, v62, v29, 0x7fff
	v_or_b32_e32 v61, 0x400000, v29
	v_bfe_u32 v62, v35, 16, 1
	v_cmp_u_f32_e32 vcc_lo, v29, v29
	v_mul_f32_e32 v63, v22, v63
	v_mul_f32_e32 v31, v28, v31
	v_lshlrev_b32_e32 v32, 16, v32
	v_and_b32_e32 v34, 0xffff0000, v34
	v_cndmask_b32_e32 v29, v59, v61, vcc_lo
	v_add3_u32 v59, v62, v35, 0x7fff
	v_or_b32_e32 v61, 0x400000, v35
	v_bfe_u32 v62, v30, 16, 1
	v_cmp_u_f32_e32 vcc_lo, v35, v35
	v_mul_f32_e32 v32, v27, v32
	v_or_b32_e32 v65, 0x400000, v31
	v_and_b32_e32 v29, 0xffff0000, v29
	v_and_b32_e32 v36, 0xffff0000, v36
	v_cndmask_b32_e32 v35, v59, v61, vcc_lo
	v_add3_u32 v59, v62, v30, 0x7fff
	v_or_b32_e32 v61, 0x400000, v30
	v_bfe_u32 v62, v63, 16, 1
	v_cmp_u_f32_e32 vcc_lo, v30, v30
	v_bfe_u32 v67, v32, 16, 1
	v_and_b32_e32 v35, 0xffff0000, v35
	v_add_f32_e32 v29, v29, v34
	v_cndmask_b32_e32 v30, v59, v61, vcc_lo
	v_bfe_u32 v59, v31, 16, 1
	v_add3_u32 v61, v62, v63, 0x7fff
	v_mul_f32_e32 v62, v24, v64
	v_or_b32_e32 v64, 0x400000, v63
	v_cmp_u_f32_e32 vcc_lo, v63, v63
	v_add3_u32 v59, v59, v31, 0x7fff
	v_add3_u32 v63, v67, v32, 0x7fff
	v_bfe_u32 v66, v62, 16, 1
	v_and_b32_e32 v30, 0xffff0000, v30
	v_cndmask_b32_e32 v61, v61, v64, vcc_lo
	v_cmp_u_f32_e32 vcc_lo, v31, v31
	v_or_b32_e32 v64, 0x400000, v32
	v_add_f32_e32 v30, v30, v35
	v_and_b32_e32 v34, 0xffff0000, v61
	v_cndmask_b32_e32 v31, v59, v65, vcc_lo
	v_cmp_u_f32_e32 vcc_lo, v32, v32
	v_add3_u32 v59, v66, v62, 0x7fff
	v_or_b32_e32 v65, 0x400000, v62
	v_add_f32_e32 v29, v30, v29
	v_and_b32_e32 v31, 0xffff0000, v31
	v_cndmask_b32_e32 v32, v63, v64, vcc_lo
	v_cmp_u_f32_e32 vcc_lo, v62, v62
	v_add_f32_e32 v30, v31, v34
	v_and_b32_e32 v31, 0xffff0000, v32
	v_cndmask_b32_e32 v35, v59, v65, vcc_lo
	v_and_b32_e32 v59, 0xffff0000, v60
	v_and_b32_e32 v34, 0xffff0000, v17
	v_lshlrev_b32_e32 v17, 16, v17
	v_add_f32_e32 v29, v30, v29
	v_and_b32_e32 v32, 0xffff0000, v35
	v_add_f32_e32 v35, v36, v59
	v_mul_f32_e32 v17, v25, v17
	v_add_f32_e32 v30, v31, v32
	v_mul_f32_e32 v31, v21, v34
	v_add_f32_e32 v32, v35, v33
	v_and_b32_e32 v33, 0xffff0000, v18
	v_lshlrev_b32_e32 v18, 16, v18
	v_add_f32_e32 v29, v30, v29
	v_bfe_u32 v30, v31, 16, 1
	v_add_f32_e32 v46, v46, v32
	v_bfe_u32 v32, v17, 16, 1
	v_mul_f32_e32 v33, v23, v33
	v_add_f32_e32 v47, v47, v29
	v_add3_u32 v29, v30, v31, 0x7fff
	v_or_b32_e32 v30, 0x400000, v31
	v_cmp_u_f32_e32 vcc_lo, v31, v31
	v_add3_u32 v32, v32, v17, 0x7fff
	v_or_b32_e32 v34, 0x400000, v17
	v_mul_f32_e32 v18, v26, v18
	v_and_b32_e32 v31, 0xffff0000, v19
	v_cndmask_b32_e32 v29, v29, v30, vcc_lo
	v_bfe_u32 v30, v33, 16, 1
	v_cmp_u_f32_e32 vcc_lo, v17, v17
	v_lshlrev_b32_e32 v19, 16, v19
	v_mul_f32_e32 v31, v22, v31
	v_and_b32_e32 v35, 0xffff0000, v20
	v_add3_u32 v30, v30, v33, 0x7fff
	v_cndmask_b32_e32 v17, v32, v34, vcc_lo
	v_or_b32_e32 v32, 0x400000, v33
	v_bfe_u32 v34, v18, 16, 1
	v_cmp_u_f32_e32 vcc_lo, v33, v33
	v_mul_f32_e32 v19, v28, v19
	v_or_b32_e32 v33, 0x400000, v18
	v_lshlrev_b32_e32 v20, 16, v20
	v_and_b32_e32 v17, 0xffff0000, v17
	v_cndmask_b32_e32 v30, v30, v32, vcc_lo
	v_add3_u32 v32, v34, v18, 0x7fff
	v_bfe_u32 v34, v31, 16, 1
	v_cmp_u_f32_e32 vcc_lo, v18, v18
	v_bfe_u32 v36, v19, 16, 1
	v_mul_f32_e32 v20, v27, v20
	v_and_b32_e32 v29, 0xffff0000, v29
	v_and_b32_e32 v30, 0xffff0000, v30
	v_cndmask_b32_e32 v18, v32, v33, vcc_lo
	v_add3_u32 v32, v34, v31, 0x7fff
	v_mul_f32_e32 v33, v24, v35
	v_or_b32_e32 v34, 0x400000, v31
	v_cmp_u_f32_e32 vcc_lo, v31, v31
	v_add3_u32 v35, v36, v19, 0x7fff
	v_or_b32_e32 v36, 0x400000, v19
	v_bfe_u32 v59, v33, 16, 1
	v_and_b32_e32 v18, 0xffff0000, v18
	v_cndmask_b32_e32 v31, v32, v34, vcc_lo
	v_cmp_u_f32_e32 vcc_lo, v19, v19
	v_or_b32_e32 v34, 0x400000, v33
	v_add3_u32 v32, v59, v33, 0x7fff
	v_add_f32_e32 v17, v17, v29
	v_add_f32_e32 v18, v18, v30
	v_cndmask_b32_e32 v19, v35, v36, vcc_lo
	v_bfe_u32 v35, v20, 16, 1
	v_cmp_u_f32_e32 vcc_lo, v33, v33
	v_and_b32_e32 v30, 0xffff0000, v13
	v_and_b32_e32 v29, 0xffff0000, v31
	;; [unrolled: 1-line block ×3, first 2 shown]
	v_add3_u32 v33, v35, v20, 0x7fff
	v_cndmask_b32_e32 v32, v32, v34, vcc_lo
	v_or_b32_e32 v34, 0x400000, v20
	v_cmp_u_f32_e32 vcc_lo, v20, v20
	v_lshlrev_b32_e32 v13, 16, v13
	v_add_f32_e32 v17, v18, v17
	v_mul_f32_e32 v18, v21, v30
	v_add_f32_e32 v19, v19, v29
	v_cndmask_b32_e32 v20, v33, v34, vcc_lo
	v_mul_f32_e32 v29, v25, v13
	v_and_b32_e32 v30, 0xffff0000, v32
	v_bfe_u32 v31, v18, 16, 1
	v_and_b32_e32 v32, 0xffff0000, v14
	v_and_b32_e32 v20, 0xffff0000, v20
	v_add_f32_e32 v13, v19, v17
	v_bfe_u32 v19, v29, 16, 1
	v_lshlrev_b32_e32 v14, 16, v14
	v_cmp_u_f32_e32 vcc_lo, v18, v18
	v_add_f32_e32 v17, v20, v30
	v_add3_u32 v20, v31, v18, 0x7fff
	v_or_b32_e32 v30, 0x400000, v18
	v_mul_f32_e32 v31, v23, v32
	v_add3_u32 v19, v19, v29, 0x7fff
	v_or_b32_e32 v32, 0x400000, v29
	v_mul_f32_e32 v14, v26, v14
	v_cndmask_b32_e32 v18, v20, v30, vcc_lo
	v_bfe_u32 v20, v31, 16, 1
	v_cmp_u_f32_e32 vcc_lo, v29, v29
	v_and_b32_e32 v29, 0xffff0000, v15
	v_or_b32_e32 v30, 0x400000, v31
	v_lshlrev_b32_e32 v15, 16, v15
	v_add3_u32 v20, v20, v31, 0x7fff
	v_cndmask_b32_e32 v19, v19, v32, vcc_lo
	v_bfe_u32 v32, v14, 16, 1
	v_mul_f32_e32 v29, v22, v29
	v_cmp_u_f32_e32 vcc_lo, v31, v31
	v_mul_f32_e32 v15, v28, v15
	v_or_b32_e32 v31, 0x400000, v14
	v_and_b32_e32 v33, 0xffff0000, v16
	v_lshlrev_b32_e32 v16, 16, v16
	v_cndmask_b32_e32 v20, v20, v30, vcc_lo
	v_add3_u32 v30, v32, v14, 0x7fff
	v_bfe_u32 v32, v29, 16, 1
	v_cmp_u_f32_e32 vcc_lo, v14, v14
	v_bfe_u32 v34, v15, 16, 1
	v_mul_f32_e32 v16, v27, v16
	v_and_b32_e32 v19, 0xffff0000, v19
	v_and_b32_e32 v18, 0xffff0000, v18
	v_cndmask_b32_e32 v14, v30, v31, vcc_lo
	v_add3_u32 v30, v32, v29, 0x7fff
	v_mul_f32_e32 v31, v24, v33
	v_or_b32_e32 v32, 0x400000, v29
	v_cmp_u_f32_e32 vcc_lo, v29, v29
	v_add3_u32 v33, v34, v15, 0x7fff
	v_or_b32_e32 v34, 0x400000, v15
	v_bfe_u32 v35, v31, 16, 1
	v_and_b32_e32 v14, 0xffff0000, v14
	v_cndmask_b32_e32 v29, v30, v32, vcc_lo
	v_cmp_u_f32_e32 vcc_lo, v15, v15
	v_or_b32_e32 v32, 0x400000, v31
	v_add3_u32 v30, v35, v31, 0x7fff
	v_and_b32_e32 v20, 0xffff0000, v20
	v_add_f32_e32 v18, v19, v18
	v_cndmask_b32_e32 v15, v33, v34, vcc_lo
	v_bfe_u32 v33, v16, 16, 1
	v_cmp_u_f32_e32 vcc_lo, v31, v31
	v_add_f32_e32 v14, v14, v20
	v_and_b32_e32 v20, 0xffff0000, v5
	v_and_b32_e32 v15, 0xffff0000, v15
	v_add3_u32 v31, v33, v16, 0x7fff
	v_cndmask_b32_e32 v30, v30, v32, vcc_lo
	v_or_b32_e32 v32, 0x400000, v16
	v_cmp_u_f32_e32 vcc_lo, v16, v16
	v_and_b32_e32 v19, 0xffff0000, v29
	v_lshlrev_b32_e32 v5, 16, v5
	v_add_f32_e32 v14, v14, v18
	v_mul_f32_e32 v18, v21, v20
	v_cndmask_b32_e32 v16, v31, v32, vcc_lo
	v_add_f32_e32 v15, v15, v19
	v_mul_f32_e32 v19, v25, v5
	v_and_b32_e32 v20, 0xffff0000, v30
	v_and_b32_e32 v29, 0xffff0000, v6
	;; [unrolled: 1-line block ×3, first 2 shown]
	v_bfe_u32 v30, v18, 16, 1
	v_add_f32_e32 v5, v15, v14
	v_bfe_u32 v15, v19, 16, 1
	v_cmp_u_f32_e32 vcc_lo, v18, v18
	v_add_f32_e32 v14, v16, v20
	v_mul_f32_e32 v16, v23, v29
	v_add3_u32 v20, v30, v18, 0x7fff
	v_or_b32_e32 v29, 0x400000, v18
	v_add3_u32 v15, v15, v19, 0x7fff
	v_or_b32_e32 v30, 0x400000, v19
	v_bfe_u32 v31, v16, 16, 1
	v_lshlrev_b32_e32 v6, 16, v6
	v_cndmask_b32_e32 v18, v20, v29, vcc_lo
	v_cmp_u_f32_e32 vcc_lo, v19, v19
	v_or_b32_e32 v20, 0x400000, v16
	v_add3_u32 v19, v31, v16, 0x7fff
	v_mul_f32_e32 v6, v26, v6
	v_and_b32_e32 v29, 0xffff0000, v7
	v_cndmask_b32_e32 v15, v15, v30, vcc_lo
	v_cmp_u_f32_e32 vcc_lo, v16, v16
	v_lshlrev_b32_e32 v7, 16, v7
	v_bfe_u32 v30, v6, 16, 1
	v_and_b32_e32 v18, 0xffff0000, v18
	v_and_b32_e32 v15, 0xffff0000, v15
	v_cndmask_b32_e32 v16, v19, v20, vcc_lo
	v_mul_f32_e32 v19, v22, v29
	v_mul_f32_e32 v7, v28, v7
	v_add3_u32 v20, v30, v6, 0x7fff
	v_or_b32_e32 v29, 0x400000, v6
	v_and_b32_e32 v30, 0xffff0000, v8
	v_bfe_u32 v31, v19, 16, 1
	v_cmp_u_f32_e32 vcc_lo, v6, v6
	v_bfe_u32 v32, v7, 16, 1
	v_lshlrev_b32_e32 v8, 16, v8
	v_and_b32_e32 v16, 0xffff0000, v16
	v_add_f32_e32 v15, v15, v18
	v_cndmask_b32_e32 v6, v20, v29, vcc_lo
	v_mul_f32_e32 v20, v24, v30
	v_add3_u32 v29, v31, v19, 0x7fff
	v_or_b32_e32 v30, 0x400000, v19
	v_cmp_u_f32_e32 vcc_lo, v19, v19
	v_add3_u32 v31, v32, v7, 0x7fff
	v_or_b32_e32 v32, 0x400000, v7
	v_bfe_u32 v33, v20, 16, 1
	v_and_b32_e32 v6, 0xffff0000, v6
	v_cndmask_b32_e32 v19, v29, v30, vcc_lo
	v_cmp_u_f32_e32 vcc_lo, v7, v7
	v_or_b32_e32 v30, 0x400000, v20
	v_add3_u32 v29, v33, v20, 0x7fff
	v_mul_f32_e32 v8, v27, v8
	v_add_f32_e32 v6, v6, v16
	v_cndmask_b32_e32 v7, v31, v32, vcc_lo
	v_cmp_u_f32_e32 vcc_lo, v20, v20
	v_and_b32_e32 v16, 0xffff0000, v1
	v_and_b32_e32 v18, 0xffff0000, v19
	v_add_f32_e32 v6, v6, v15
	v_and_b32_e32 v7, 0xffff0000, v7
	v_cndmask_b32_e32 v20, v29, v30, vcc_lo
	v_bfe_u32 v29, v8, 16, 1
	v_mul_f32_e32 v15, v21, v16
	v_lshlrev_b32_e32 v1, 16, v1
	v_add_f32_e32 v7, v7, v18
	v_cmp_u_f32_e32 vcc_lo, v8, v8
	v_add3_u32 v19, v29, v8, 0x7fff
	v_or_b32_e32 v29, 0x400000, v8
	v_bfe_u32 v16, v15, 16, 1
	v_add_f32_e32 v6, v7, v6
	v_and_b32_e32 v7, 0xffff0000, v2
	v_mul_f32_e32 v1, v25, v1
	v_cndmask_b32_e32 v8, v19, v29, vcc_lo
	v_add3_u32 v16, v16, v15, 0x7fff
	v_or_b32_e32 v18, 0x400000, v15
	v_mul_f32_e32 v7, v23, v7
	v_and_b32_e32 v19, 0xffff0000, v20
	v_bfe_u32 v20, v1, 16, 1
	v_cmp_u_f32_e32 vcc_lo, v15, v15
	v_lshlrev_b32_e32 v2, 16, v2
	v_or_b32_e32 v29, 0x400000, v1
	v_or_b32_e32 v30, 0x400000, v7
	v_and_b32_e32 v8, 0xffff0000, v8
	v_cndmask_b32_e32 v15, v16, v18, vcc_lo
	v_bfe_u32 v16, v7, 16, 1
	v_add3_u32 v18, v20, v1, 0x7fff
	v_and_b32_e32 v20, 0xffff0000, v3
	v_mul_f32_e32 v2, v26, v2
	v_cmp_u_f32_e32 vcc_lo, v1, v1
	v_add3_u32 v16, v16, v7, 0x7fff
	v_lshlrev_b32_e32 v3, 16, v3
	v_mul_f32_e32 v20, v22, v20
	v_and_b32_e32 v15, 0xffff0000, v15
	v_cndmask_b32_e32 v1, v18, v29, vcc_lo
	v_bfe_u32 v18, v2, 16, 1
	v_cmp_u_f32_e32 vcc_lo, v7, v7
	v_and_b32_e32 v29, 0xffff0000, v4
	v_mul_f32_e32 v3, v28, v3
	v_or_b32_e32 v31, 0x400000, v20
	v_add3_u32 v18, v18, v2, 0x7fff
	v_cndmask_b32_e32 v7, v16, v30, vcc_lo
	v_bfe_u32 v16, v20, 16, 1
	v_or_b32_e32 v30, 0x400000, v2
	v_cmp_u_f32_e32 vcc_lo, v2, v2
	v_mul_f32_e32 v29, v24, v29
	v_lshlrev_b32_e32 v4, 16, v4
	v_add3_u32 v16, v16, v20, 0x7fff
	v_and_b32_e32 v1, 0xffff0000, v1
	v_cndmask_b32_e32 v2, v18, v30, vcc_lo
	v_bfe_u32 v18, v3, 16, 1
	v_cmp_u_f32_e32 vcc_lo, v20, v20
	v_bfe_u32 v30, v29, 16, 1
	v_or_b32_e32 v20, 0x400000, v3
	v_mul_f32_e32 v4, v27, v4
	v_add3_u32 v18, v18, v3, 0x7fff
	v_cndmask_b32_e32 v16, v16, v31, vcc_lo
	v_cmp_u_f32_e32 vcc_lo, v3, v3
	v_add3_u32 v30, v30, v29, 0x7fff
	v_or_b32_e32 v31, 0x400000, v29
	v_and_b32_e32 v2, 0xffff0000, v2
	v_and_b32_e32 v7, 0xffff0000, v7
	v_cndmask_b32_e32 v3, v18, v20, vcc_lo
	v_cmp_u_f32_e32 vcc_lo, v29, v29
	v_bfe_u32 v20, v4, 16, 1
	v_add_f32_e32 v1, v1, v15
	v_add_f32_e32 v2, v2, v7
	v_and_b32_e32 v3, 0xffff0000, v3
	v_cndmask_b32_e32 v18, v30, v31, vcc_lo
	s_waitcnt vmcnt(0)
	v_lshlrev_b32_e32 v30, 16, v9
	v_and_b32_e32 v7, 0xffff0000, v16
	v_and_b32_e32 v9, 0xffff0000, v9
	v_add3_u32 v20, v20, v4, 0x7fff
	v_or_b32_e32 v29, 0x400000, v4
	v_mul_f32_e32 v15, v25, v30
	v_cmp_u_f32_e32 vcc_lo, v4, v4
	v_add_f32_e32 v1, v2, v1
	v_add_f32_e32 v3, v3, v7
	v_mul_f32_e32 v7, v21, v9
	v_bfe_u32 v2, v15, 16, 1
	v_lshlrev_b32_e32 v9, 16, v10
	v_cndmask_b32_e32 v4, v20, v29, vcc_lo
	v_or_b32_e32 v16, 0x400000, v15
	v_bfe_u32 v20, v7, 16, 1
	v_add3_u32 v2, v2, v15, 0x7fff
	v_mul_f32_e32 v9, v26, v9
	v_and_b32_e32 v10, 0xffff0000, v10
	v_cmp_u_f32_e32 vcc_lo, v15, v15
	v_add3_u32 v15, v20, v7, 0x7fff
	v_lshlrev_b32_e32 v21, 16, v11
	v_bfe_u32 v20, v9, 16, 1
	v_mul_f32_e32 v10, v23, v10
	v_cndmask_b32_e32 v2, v2, v16, vcc_lo
	v_or_b32_e32 v16, 0x400000, v7
	v_cmp_u_f32_e32 vcc_lo, v7, v7
	v_mul_f32_e32 v21, v28, v21
	v_and_b32_e32 v11, 0xffff0000, v11
	v_and_b32_e32 v2, 0xffff0000, v2
	;; [unrolled: 1-line block ×3, first 2 shown]
	v_cndmask_b32_e32 v7, v15, v16, vcc_lo
	v_add3_u32 v15, v20, v9, 0x7fff
	v_or_b32_e32 v16, 0x400000, v9
	v_bfe_u32 v20, v10, 16, 1
	v_cmp_u_f32_e32 vcc_lo, v9, v9
	v_mul_f32_e32 v11, v22, v11
	v_lshlrev_b32_e32 v22, 16, v12
	v_and_b32_e32 v12, 0xffff0000, v12
	v_and_b32_e32 v7, 0xffff0000, v7
	v_cndmask_b32_e32 v9, v15, v16, vcc_lo
	v_add3_u32 v15, v20, v10, 0x7fff
	v_or_b32_e32 v16, 0x400000, v10
	v_bfe_u32 v20, v21, 16, 1
	v_cmp_u_f32_e32 vcc_lo, v10, v10
	v_mul_f32_e32 v12, v24, v12
	v_or_b32_e32 v23, 0x400000, v11
	v_and_b32_e32 v9, 0xffff0000, v9
	v_add_f32_e32 v2, v2, v7
	v_cndmask_b32_e32 v10, v15, v16, vcc_lo
	v_bfe_u32 v15, v11, 16, 1
	v_add3_u32 v16, v20, v21, 0x7fff
	v_mul_f32_e32 v20, v27, v22
	v_or_b32_e32 v22, 0x400000, v21
	v_cmp_u_f32_e32 vcc_lo, v21, v21
	v_add3_u32 v15, v15, v11, 0x7fff
	v_bfe_u32 v25, v12, 16, 1
	v_bfe_u32 v24, v20, 16, 1
	v_and_b32_e32 v10, 0xffff0000, v10
	v_cndmask_b32_e32 v16, v16, v22, vcc_lo
	v_cmp_u_f32_e32 vcc_lo, v11, v11
	v_add3_u32 v21, v25, v12, 0x7fff
	v_or_b32_e32 v22, 0x400000, v12
	v_add_f32_e32 v7, v9, v10
	v_and_b32_e32 v10, 0xffff0000, v16
	v_cndmask_b32_e32 v11, v15, v23, vcc_lo
	v_cmp_u_f32_e32 vcc_lo, v12, v12
	v_add3_u32 v15, v24, v20, 0x7fff
	v_or_b32_e32 v23, 0x400000, v20
	v_add_f32_e32 v2, v7, v2
	v_and_b32_e32 v9, 0xffff0000, v11
	v_cndmask_b32_e32 v12, v21, v22, vcc_lo
	v_cmp_u_f32_e32 vcc_lo, v20, v20
	v_add_f32_e32 v8, v8, v19
	v_add_f32_e32 v1, v3, v1
	;; [unrolled: 1-line block ×3, first 2 shown]
	v_and_b32_e32 v9, 0xffff0000, v12
	v_cndmask_b32_e32 v11, v15, v23, vcc_lo
	v_and_b32_e32 v15, 0xffff0000, v18
	v_add_f32_e32 v5, v14, v5
	v_add_f32_e32 v2, v7, v2
	;; [unrolled: 1-line block ×3, first 2 shown]
	v_and_b32_e32 v10, 0xffff0000, v11
	v_add_f32_e32 v3, v4, v15
	v_add_f32_e32 v6, v8, v6
	;; [unrolled: 1-line block ×10, first 2 shown]
.LBB130_38:                             ;   in Loop: Header=BB130_39 Depth=1
	s_or_b32 exec_lo, exec_lo, s18
	v_add_nc_u32_e32 v58, 4, v58
	v_add_co_u32 v37, s0, v37, 16
	v_add_co_ci_u32_e64 v38, null, 0, v38, s0
	v_cmp_le_i32_e32 vcc_lo, s16, v58
	v_add_nc_u32_e32 v42, 64, v42
	v_add_nc_u32_e32 v56, 0x100, v56
	s_or_b32 s15, vcc_lo, s15
	s_andn2_b32 exec_lo, exec_lo, s15
	s_cbranch_execz .LBB130_54
.LBB130_39:                             ; =>This Inner Loop Header: Depth=1
	v_mul_hi_u32 v1, v42, s21
	v_mul_lo_u32 v2, v1, s12
	v_add_nc_u32_e32 v3, 1, v1
	v_sub_nc_u32_e32 v2, v42, v2
	v_subrev_nc_u32_e32 v4, s12, v2
	v_cmp_le_u32_e32 vcc_lo, s12, v2
	v_cndmask_b32_e32 v1, v1, v3, vcc_lo
	v_cndmask_b32_e32 v2, v2, v4, vcc_lo
	v_add_nc_u32_e32 v3, 1, v1
	v_cmp_le_u32_e32 vcc_lo, s12, v2
	v_cndmask_b32_e32 v1, v1, v3, vcc_lo
	v_xor_b32_e32 v1, s19, v1
	v_subrev_nc_u32_e32 v1, s19, v1
	v_add_nc_u32_e32 v2, s31, v1
	v_cmp_lt_i32_e64 s0, s4, v1
	v_sub_nc_u32_e32 v3, 0, v2
	v_max_i32_e32 v3, v2, v3
	v_ashrrev_i32_e32 v2, 31, v2
	v_mul_hi_u32 v4, v3, v57
	v_mul_lo_u32 v4, v4, s5
	v_sub_nc_u32_e32 v3, v3, v4
	v_subrev_nc_u32_e32 v4, s5, v3
	v_cmp_le_u32_e32 vcc_lo, s5, v3
	v_cndmask_b32_e32 v3, v3, v4, vcc_lo
	v_subrev_nc_u32_e32 v4, s5, v3
	v_cmp_le_u32_e32 vcc_lo, s5, v3
	v_cndmask_b32_e32 v3, v3, v4, vcc_lo
	v_xor_b32_e32 v3, v3, v2
	v_sub_nc_u32_e32 v2, v3, v2
	v_cmp_eq_u32_e32 vcc_lo, 0, v2
	s_or_b32 s0, vcc_lo, s0
	s_and_saveexec_b32 s18, s0
	s_cbranch_execz .LBB130_38
; %bb.40:                               ;   in Loop: Header=BB130_39 Depth=1
	global_load_dword v1, v[37:38], off
	v_add_nc_u32_e32 v63, v52, v42
	v_cmp_eq_u32_e64 s0, s14, v58
	v_add_nc_u32_e32 v66, 1, v63
	v_or_b32_e32 v64, 3, v63
	v_or_b32_e32 v65, 2, v63
	;; [unrolled: 1-line block ×6, first 2 shown]
	s_waitcnt vmcnt(0)
	v_mad_i64_i32 v[1:2], null, v1, s13, 0
	v_lshlrev_b64 v[1:2], 1, v[1:2]
	v_add_co_u32 v9, vcc_lo, v54, v1
	v_add_co_ci_u32_e64 v10, null, v55, v2, vcc_lo
	global_load_dwordx4 v[1:4], v[9:10], off
	ds_read2_b64 v[25:28], v56 offset1:1
	ds_read2_b64 v[21:24], v56 offset0:2 offset1:3
	s_and_saveexec_b32 s22, s0
	s_cbranch_execnz .LBB130_48
; %bb.41:                               ;   in Loop: Header=BB130_39 Depth=1
	s_or_b32 exec_lo, exec_lo, s22
	global_load_dwordx4 v[5:8], v[9:10], off offset:512
	s_and_saveexec_b32 s22, s0
	s_cbranch_execnz .LBB130_49
.LBB130_42:                             ;   in Loop: Header=BB130_39 Depth=1
	s_or_b32 exec_lo, exec_lo, s22
	global_load_dwordx4 v[13:16], v[9:10], off offset:1024
	s_and_saveexec_b32 s22, s0
	s_cbranch_execnz .LBB130_50
.LBB130_43:                             ;   in Loop: Header=BB130_39 Depth=1
	s_or_b32 exec_lo, exec_lo, s22
	global_load_dwordx4 v[17:20], v[9:10], off offset:1536
	s_and_saveexec_b32 s22, s0
	s_cbranch_execz .LBB130_45
.LBB130_44:                             ;   in Loop: Header=BB130_39 Depth=1
	v_cmp_gt_i32_e64 s1, s30, v63
	v_cmp_gt_i32_e32 vcc_lo, s17, v66
	v_cmp_gt_i32_e64 s2, s30, v65
	s_waitcnt vmcnt(0)
	v_cndmask_b32_e64 v11, 0, v17, s1
	v_cmp_gt_i32_e64 s1, s17, v64
	v_cndmask_b32_sdwa v17, v53, v17, vcc_lo dst_sel:DWORD dst_unused:UNUSED_PAD src0_sel:DWORD src1_sel:WORD_1
	v_cndmask_b32_e64 v12, 0, v18, s2
	v_cmp_gt_i32_e64 s2, s17, v62
	s_mov_b32 vcc_lo, s1
	v_cmp_gt_i32_e64 s1, s17, v60
	v_cndmask_b32_sdwa v18, v53, v18, vcc_lo dst_sel:DWORD dst_unused:UNUSED_PAD src0_sel:DWORD src1_sel:WORD_1
	v_cmp_gt_i32_e32 vcc_lo, s30, v61
	v_perm_b32 v17, v17, v11, 0x5040100
	v_perm_b32 v18, v18, v12, 0x5040100
	v_cndmask_b32_e32 v29, 0, v19, vcc_lo
	s_mov_b32 vcc_lo, s2
	v_cndmask_b32_sdwa v19, v53, v19, vcc_lo dst_sel:DWORD dst_unused:UNUSED_PAD src0_sel:DWORD src1_sel:WORD_1
	v_cmp_gt_i32_e32 vcc_lo, s30, v59
	v_perm_b32 v19, v19, v29, 0x5040100
	v_cndmask_b32_e32 v30, 0, v20, vcc_lo
	s_mov_b32 vcc_lo, s1
	v_cndmask_b32_sdwa v20, v53, v20, vcc_lo dst_sel:DWORD dst_unused:UNUSED_PAD src0_sel:DWORD src1_sel:WORD_1
	v_perm_b32 v20, v20, v30, 0x5040100
.LBB130_45:                             ;   in Loop: Header=BB130_39 Depth=1
	s_or_b32 exec_lo, exec_lo, s22
	v_add_co_u32 v9, vcc_lo, 0x800, v9
	v_add_co_ci_u32_e64 v10, null, 0, v10, vcc_lo
	global_load_dwordx4 v[29:32], v[9:10], off
	s_and_saveexec_b32 s22, s0
	s_cbranch_execnz .LBB130_51
; %bb.46:                               ;   in Loop: Header=BB130_39 Depth=1
	s_or_b32 exec_lo, exec_lo, s22
	global_load_dwordx4 v[33:36], v[9:10], off offset:512
	s_and_saveexec_b32 s22, s0
	s_cbranch_execnz .LBB130_52
.LBB130_47:                             ;   in Loop: Header=BB130_39 Depth=1
	s_or_b32 exec_lo, exec_lo, s22
	global_load_dwordx4 v[9:12], v[9:10], off offset:1024
	s_and_saveexec_b32 s2, s0
	s_cbranch_execz .LBB130_37
	s_branch .LBB130_53
.LBB130_48:                             ;   in Loop: Header=BB130_39 Depth=1
	v_cmp_gt_i32_e64 s1, s30, v63
	v_cmp_gt_i32_e32 vcc_lo, s17, v66
	v_cmp_gt_i32_e64 s2, s30, v65
	s_waitcnt vmcnt(0)
	v_cndmask_b32_e64 v5, 0, v1, s1
	v_cmp_gt_i32_e64 s1, s17, v64
	v_cndmask_b32_sdwa v1, v53, v1, vcc_lo dst_sel:DWORD dst_unused:UNUSED_PAD src0_sel:DWORD src1_sel:WORD_1
	v_cndmask_b32_e64 v6, 0, v2, s2
	v_cmp_gt_i32_e64 s2, s17, v62
	s_mov_b32 vcc_lo, s1
	v_cmp_gt_i32_e64 s1, s17, v60
	v_cndmask_b32_sdwa v2, v53, v2, vcc_lo dst_sel:DWORD dst_unused:UNUSED_PAD src0_sel:DWORD src1_sel:WORD_1
	v_cmp_gt_i32_e32 vcc_lo, s30, v61
	v_perm_b32 v1, v1, v5, 0x5040100
	v_perm_b32 v2, v2, v6, 0x5040100
	v_cndmask_b32_e32 v7, 0, v3, vcc_lo
	s_mov_b32 vcc_lo, s2
	v_cndmask_b32_sdwa v3, v53, v3, vcc_lo dst_sel:DWORD dst_unused:UNUSED_PAD src0_sel:DWORD src1_sel:WORD_1
	v_cmp_gt_i32_e32 vcc_lo, s30, v59
	v_perm_b32 v3, v3, v7, 0x5040100
	v_cndmask_b32_e32 v8, 0, v4, vcc_lo
	s_mov_b32 vcc_lo, s1
	v_cndmask_b32_sdwa v4, v53, v4, vcc_lo dst_sel:DWORD dst_unused:UNUSED_PAD src0_sel:DWORD src1_sel:WORD_1
	v_perm_b32 v4, v4, v8, 0x5040100
	s_or_b32 exec_lo, exec_lo, s22
	global_load_dwordx4 v[5:8], v[9:10], off offset:512
	s_and_saveexec_b32 s22, s0
	s_cbranch_execz .LBB130_42
.LBB130_49:                             ;   in Loop: Header=BB130_39 Depth=1
	v_cmp_gt_i32_e64 s1, s30, v63
	v_cmp_gt_i32_e32 vcc_lo, s17, v66
	v_cmp_gt_i32_e64 s2, s30, v65
	s_waitcnt vmcnt(0)
	v_cndmask_b32_e64 v11, 0, v5, s1
	v_cmp_gt_i32_e64 s1, s17, v64
	v_cndmask_b32_sdwa v5, v53, v5, vcc_lo dst_sel:DWORD dst_unused:UNUSED_PAD src0_sel:DWORD src1_sel:WORD_1
	v_cndmask_b32_e64 v12, 0, v6, s2
	v_cmp_gt_i32_e64 s2, s17, v62
	s_mov_b32 vcc_lo, s1
	v_cmp_gt_i32_e64 s1, s17, v60
	v_cndmask_b32_sdwa v6, v53, v6, vcc_lo dst_sel:DWORD dst_unused:UNUSED_PAD src0_sel:DWORD src1_sel:WORD_1
	v_cmp_gt_i32_e32 vcc_lo, s30, v61
	v_perm_b32 v5, v5, v11, 0x5040100
	v_perm_b32 v6, v6, v12, 0x5040100
	v_cndmask_b32_e32 v13, 0, v7, vcc_lo
	s_mov_b32 vcc_lo, s2
	v_cndmask_b32_sdwa v7, v53, v7, vcc_lo dst_sel:DWORD dst_unused:UNUSED_PAD src0_sel:DWORD src1_sel:WORD_1
	v_cmp_gt_i32_e32 vcc_lo, s30, v59
	v_perm_b32 v7, v7, v13, 0x5040100
	v_cndmask_b32_e32 v14, 0, v8, vcc_lo
	s_mov_b32 vcc_lo, s1
	v_cndmask_b32_sdwa v8, v53, v8, vcc_lo dst_sel:DWORD dst_unused:UNUSED_PAD src0_sel:DWORD src1_sel:WORD_1
	v_perm_b32 v8, v8, v14, 0x5040100
	s_or_b32 exec_lo, exec_lo, s22
	global_load_dwordx4 v[13:16], v[9:10], off offset:1024
	s_and_saveexec_b32 s22, s0
	s_cbranch_execz .LBB130_43
.LBB130_50:                             ;   in Loop: Header=BB130_39 Depth=1
	v_cmp_gt_i32_e64 s1, s30, v63
	v_cmp_gt_i32_e32 vcc_lo, s17, v66
	v_cmp_gt_i32_e64 s2, s30, v65
	s_waitcnt vmcnt(0)
	v_cndmask_b32_e64 v11, 0, v13, s1
	v_cmp_gt_i32_e64 s1, s17, v64
	v_cndmask_b32_sdwa v13, v53, v13, vcc_lo dst_sel:DWORD dst_unused:UNUSED_PAD src0_sel:DWORD src1_sel:WORD_1
	v_cndmask_b32_e64 v12, 0, v14, s2
	v_cmp_gt_i32_e64 s2, s17, v62
	s_mov_b32 vcc_lo, s1
	v_cmp_gt_i32_e64 s1, s17, v60
	v_cndmask_b32_sdwa v14, v53, v14, vcc_lo dst_sel:DWORD dst_unused:UNUSED_PAD src0_sel:DWORD src1_sel:WORD_1
	v_cmp_gt_i32_e32 vcc_lo, s30, v61
	v_perm_b32 v13, v13, v11, 0x5040100
	v_perm_b32 v14, v14, v12, 0x5040100
	v_cndmask_b32_e32 v17, 0, v15, vcc_lo
	s_mov_b32 vcc_lo, s2
	v_cndmask_b32_sdwa v15, v53, v15, vcc_lo dst_sel:DWORD dst_unused:UNUSED_PAD src0_sel:DWORD src1_sel:WORD_1
	v_cmp_gt_i32_e32 vcc_lo, s30, v59
	v_perm_b32 v15, v15, v17, 0x5040100
	v_cndmask_b32_e32 v18, 0, v16, vcc_lo
	s_mov_b32 vcc_lo, s1
	v_cndmask_b32_sdwa v16, v53, v16, vcc_lo dst_sel:DWORD dst_unused:UNUSED_PAD src0_sel:DWORD src1_sel:WORD_1
	v_perm_b32 v16, v16, v18, 0x5040100
	s_or_b32 exec_lo, exec_lo, s22
	global_load_dwordx4 v[17:20], v[9:10], off offset:1536
	s_and_saveexec_b32 s22, s0
	s_cbranch_execnz .LBB130_44
	s_branch .LBB130_45
.LBB130_51:                             ;   in Loop: Header=BB130_39 Depth=1
	v_cmp_gt_i32_e64 s1, s30, v63
	v_cmp_gt_i32_e32 vcc_lo, s17, v66
	v_cmp_gt_i32_e64 s2, s30, v65
	s_waitcnt vmcnt(0)
	v_cndmask_b32_e64 v11, 0, v29, s1
	v_cmp_gt_i32_e64 s1, s17, v64
	v_cndmask_b32_sdwa v29, v53, v29, vcc_lo dst_sel:DWORD dst_unused:UNUSED_PAD src0_sel:DWORD src1_sel:WORD_1
	v_cndmask_b32_e64 v12, 0, v30, s2
	v_cmp_gt_i32_e64 s2, s17, v62
	s_mov_b32 vcc_lo, s1
	v_cmp_gt_i32_e64 s1, s17, v60
	v_cndmask_b32_sdwa v30, v53, v30, vcc_lo dst_sel:DWORD dst_unused:UNUSED_PAD src0_sel:DWORD src1_sel:WORD_1
	v_cmp_gt_i32_e32 vcc_lo, s30, v61
	v_perm_b32 v29, v29, v11, 0x5040100
	v_perm_b32 v30, v30, v12, 0x5040100
	v_cndmask_b32_e32 v33, 0, v31, vcc_lo
	s_mov_b32 vcc_lo, s2
	v_cndmask_b32_sdwa v31, v53, v31, vcc_lo dst_sel:DWORD dst_unused:UNUSED_PAD src0_sel:DWORD src1_sel:WORD_1
	v_cmp_gt_i32_e32 vcc_lo, s30, v59
	v_perm_b32 v31, v31, v33, 0x5040100
	v_cndmask_b32_e32 v34, 0, v32, vcc_lo
	s_mov_b32 vcc_lo, s1
	v_cndmask_b32_sdwa v32, v53, v32, vcc_lo dst_sel:DWORD dst_unused:UNUSED_PAD src0_sel:DWORD src1_sel:WORD_1
	v_perm_b32 v32, v32, v34, 0x5040100
	s_or_b32 exec_lo, exec_lo, s22
	global_load_dwordx4 v[33:36], v[9:10], off offset:512
	s_and_saveexec_b32 s22, s0
	s_cbranch_execz .LBB130_47
.LBB130_52:                             ;   in Loop: Header=BB130_39 Depth=1
	v_cmp_gt_i32_e64 s1, s30, v63
	v_cmp_gt_i32_e32 vcc_lo, s17, v66
	v_cmp_gt_i32_e64 s2, s30, v65
	s_waitcnt vmcnt(0)
	v_cndmask_b32_e64 v11, 0, v33, s1
	v_cmp_gt_i32_e64 s1, s17, v64
	v_cndmask_b32_sdwa v33, v53, v33, vcc_lo dst_sel:DWORD dst_unused:UNUSED_PAD src0_sel:DWORD src1_sel:WORD_1
	v_cndmask_b32_e64 v12, 0, v34, s2
	v_cmp_gt_i32_e64 s2, s17, v62
	s_mov_b32 vcc_lo, s1
	v_cmp_gt_i32_e64 s1, s17, v60
	v_cndmask_b32_sdwa v34, v53, v34, vcc_lo dst_sel:DWORD dst_unused:UNUSED_PAD src0_sel:DWORD src1_sel:WORD_1
	v_cmp_gt_i32_e32 vcc_lo, s30, v61
	v_perm_b32 v33, v33, v11, 0x5040100
	v_perm_b32 v34, v34, v12, 0x5040100
	v_cndmask_b32_e32 v67, 0, v35, vcc_lo
	s_mov_b32 vcc_lo, s2
	v_cndmask_b32_sdwa v35, v53, v35, vcc_lo dst_sel:DWORD dst_unused:UNUSED_PAD src0_sel:DWORD src1_sel:WORD_1
	v_cmp_gt_i32_e32 vcc_lo, s30, v59
	v_perm_b32 v35, v35, v67, 0x5040100
	v_cndmask_b32_e32 v68, 0, v36, vcc_lo
	s_mov_b32 vcc_lo, s1
	v_cndmask_b32_sdwa v36, v53, v36, vcc_lo dst_sel:DWORD dst_unused:UNUSED_PAD src0_sel:DWORD src1_sel:WORD_1
	v_perm_b32 v36, v36, v68, 0x5040100
	s_or_b32 exec_lo, exec_lo, s22
	global_load_dwordx4 v[9:12], v[9:10], off offset:1024
	s_and_saveexec_b32 s2, s0
	s_cbranch_execz .LBB130_37
.LBB130_53:                             ;   in Loop: Header=BB130_39 Depth=1
	v_cmp_gt_i32_e64 s0, s30, v63
	v_cmp_gt_i32_e32 vcc_lo, s17, v66
	v_cmp_gt_i32_e64 s1, s30, v65
	s_waitcnt vmcnt(0)
	v_cndmask_b32_e64 v63, 0, v9, s0
	v_cmp_gt_i32_e64 s0, s17, v64
	v_cndmask_b32_sdwa v9, v53, v9, vcc_lo dst_sel:DWORD dst_unused:UNUSED_PAD src0_sel:DWORD src1_sel:WORD_1
	v_cndmask_b32_e64 v64, 0, v10, s1
	v_cmp_gt_i32_e64 s1, s17, v62
	s_mov_b32 vcc_lo, s0
	v_cmp_gt_i32_e64 s0, s17, v60
	v_cndmask_b32_sdwa v10, v53, v10, vcc_lo dst_sel:DWORD dst_unused:UNUSED_PAD src0_sel:DWORD src1_sel:WORD_1
	v_cmp_gt_i32_e32 vcc_lo, s30, v61
	v_perm_b32 v9, v9, v63, 0x5040100
	v_perm_b32 v10, v10, v64, 0x5040100
	v_cndmask_b32_e32 v61, 0, v11, vcc_lo
	s_mov_b32 vcc_lo, s1
	v_cndmask_b32_sdwa v11, v53, v11, vcc_lo dst_sel:DWORD dst_unused:UNUSED_PAD src0_sel:DWORD src1_sel:WORD_1
	v_cmp_gt_i32_e32 vcc_lo, s30, v59
	v_perm_b32 v11, v11, v61, 0x5040100
	v_cndmask_b32_e32 v59, 0, v12, vcc_lo
	s_mov_b32 vcc_lo, s0
	v_cndmask_b32_sdwa v12, v53, v12, vcc_lo dst_sel:DWORD dst_unused:UNUSED_PAD src0_sel:DWORD src1_sel:WORD_1
	v_perm_b32 v12, v12, v59, 0x5040100
	s_branch .LBB130_37
.LBB130_54:
	s_or_b32 exec_lo, exec_lo, s15
.LBB130_55:
	s_or_b32 exec_lo, exec_lo, s3
	ds_bpermute_b32 v1, v44, v51
	ds_bpermute_b32 v2, v44, v50
	;; [unrolled: 1-line block ×7, first 2 shown]
	v_lshrrev_b32_e32 v8, 1, v43
	v_mul_u32_u24_e32 v10, 0x1c0, v41
	v_and_b32_e32 v14, 0x3c1, v0
	s_mov_b32 s0, exec_lo
	s_waitcnt lgkmcnt(0)
	v_lshl_add_u32 v9, v8, 2, 0x100
	s_barrier
	buffer_gl0_inv
	v_add_f32_e32 v7, v51, v1
	v_add_f32_e32 v6, v50, v2
	v_add_f32_e32 v5, v49, v3
	v_add_f32_e32 v4, v48, v4
	v_add_f32_e32 v3, v47, v11
	v_add_f32_e32 v2, v46, v12
	v_add_f32_e32 v1, v45, v13
	v_cmpx_eq_u32_e32 64, v14
	s_cbranch_execz .LBB130_57
; %bb.56:
	v_add_nc_u32_e32 v11, v9, v10
	v_add_nc_u32_e32 v12, 0xfffffc80, v11
	;; [unrolled: 1-line block ×8, first 2 shown]
	ds_write_b32 v12, v7
	ds_write_b32 v13, v6
	;; [unrolled: 1-line block ×7, first 2 shown]
.LBB130_57:
	s_or_b32 exec_lo, exec_lo, s0
	v_lshlrev_b32_e32 v8, 2, v8
	s_mov_b32 s1, exec_lo
	v_cmp_eq_u32_e32 vcc_lo, 0, v40
	s_waitcnt lgkmcnt(0)
	s_barrier
	v_add3_u32 v8, 0x100, v10, v8
	buffer_gl0_inv
	v_cmpx_gt_u32_e32 64, v0
	s_cbranch_execz .LBB130_67
; %bb.58:
	s_and_saveexec_b32 s0, vcc_lo
	s_cbranch_execnz .LBB130_82
; %bb.59:
	s_or_b32 exec_lo, exec_lo, s0
	s_and_saveexec_b32 s0, vcc_lo
	s_cbranch_execnz .LBB130_83
.LBB130_60:
	s_or_b32 exec_lo, exec_lo, s0
	s_and_saveexec_b32 s0, vcc_lo
	s_cbranch_execnz .LBB130_84
.LBB130_61:
	s_or_b32 exec_lo, exec_lo, s0
	s_and_saveexec_b32 s0, vcc_lo
	s_cbranch_execnz .LBB130_85
.LBB130_62:
	s_or_b32 exec_lo, exec_lo, s0
	s_and_saveexec_b32 s0, vcc_lo
	s_cbranch_execnz .LBB130_86
.LBB130_63:
	s_or_b32 exec_lo, exec_lo, s0
	s_and_saveexec_b32 s0, vcc_lo
	s_cbranch_execnz .LBB130_87
.LBB130_64:
	s_or_b32 exec_lo, exec_lo, s0
	s_and_saveexec_b32 s0, vcc_lo
	s_cbranch_execz .LBB130_66
.LBB130_65:
	ds_read_b32 v10, v8 offset:384
	s_waitcnt lgkmcnt(0)
	v_add_f32_e32 v1, v1, v10
.LBB130_66:
	s_or_b32 exec_lo, exec_lo, s0
.LBB130_67:
	s_or_b32 exec_lo, exec_lo, s1
	v_and_b32_e32 v10, 0x3e1, v0
	s_mov_b32 s1, exec_lo
	s_barrier
	buffer_gl0_inv
	v_cmpx_eq_u32_e32 32, v10
	s_cbranch_execz .LBB130_69
; %bb.68:
	ds_write2_b32 v9, v7, v6 offset1:16
	ds_write2_b32 v9, v5, v4 offset0:32 offset1:48
	ds_write2_b32 v9, v3, v2 offset0:64 offset1:80
	ds_write_b32 v9, v1 offset:384
.LBB130_69:
	s_or_b32 exec_lo, exec_lo, s1
	s_mov_b32 s1, exec_lo
	s_waitcnt lgkmcnt(0)
	s_barrier
	buffer_gl0_inv
	v_cmpx_gt_u32_e32 32, v0
	s_cbranch_execz .LBB130_79
; %bb.70:
	s_and_saveexec_b32 s0, vcc_lo
	s_cbranch_execnz .LBB130_88
; %bb.71:
	s_or_b32 exec_lo, exec_lo, s0
	s_and_saveexec_b32 s0, vcc_lo
	s_cbranch_execnz .LBB130_89
.LBB130_72:
	s_or_b32 exec_lo, exec_lo, s0
	s_and_saveexec_b32 s0, vcc_lo
	s_cbranch_execnz .LBB130_90
.LBB130_73:
	s_or_b32 exec_lo, exec_lo, s0
	s_and_saveexec_b32 s0, vcc_lo
	s_cbranch_execnz .LBB130_91
.LBB130_74:
	s_or_b32 exec_lo, exec_lo, s0
	s_and_saveexec_b32 s0, vcc_lo
	s_cbranch_execnz .LBB130_92
.LBB130_75:
	s_or_b32 exec_lo, exec_lo, s0
	s_and_saveexec_b32 s0, vcc_lo
	s_cbranch_execnz .LBB130_93
.LBB130_76:
	s_or_b32 exec_lo, exec_lo, s0
	s_and_saveexec_b32 s0, vcc_lo
	s_cbranch_execz .LBB130_78
.LBB130_77:
	ds_read_b32 v0, v8 offset:384
	s_waitcnt lgkmcnt(0)
	v_add_f32_e32 v1, v1, v0
.LBB130_78:
	s_or_b32 exec_lo, exec_lo, s0
.LBB130_79:
	s_or_b32 exec_lo, exec_lo, s1
	s_barrier
	buffer_gl0_inv
	s_mov_b32 s0, exec_lo
	v_cmpx_eq_u32_e32 0, v10
	s_cbranch_execz .LBB130_81
; %bb.80:
	s_mul_i32 s0, s10, s11
	v_bfe_u32 v8, v7, 16, 1
	s_mul_i32 s0, s0, s9
	s_mul_i32 s2, s11, s20
	s_mulk_i32 s0, 0x70
	v_or_b32_e32 v9, 0x400000, v7
	s_ashr_i32 s1, s0, 31
	v_bfe_u32 v10, v6, 16, 1
	s_lshl_b64 s[0:1], s[0:1], 1
	v_add3_u32 v8, v8, v7, 0x7fff
	s_add_u32 s5, s6, s0
	s_addc_u32 s6, s7, s1
	s_ashr_i32 s3, s2, 31
	v_cmp_u_f32_e32 vcc_lo, v7, v7
	s_lshl_b64 s[0:1], s[2:3], 1
	s_mul_i32 s4, s8, 0x70
	s_add_u32 s2, s5, s0
	s_addc_u32 s3, s6, s1
	s_ashr_i32 s5, s4, 31
	v_lshlrev_b32_e32 v0, 1, v39
	s_lshl_b64 s[0:1], s[4:5], 1
	v_add3_u32 v10, v10, v6, 0x7fff
	v_or_b32_e32 v11, 0x400000, v6
	v_cndmask_b32_e32 v7, v8, v9, vcc_lo
	v_bfe_u32 v8, v5, 16, 1
	v_cmp_u_f32_e32 vcc_lo, v6, v6
	s_add_u32 s0, s2, s0
	s_addc_u32 s1, s3, s1
	v_bfe_u32 v9, v4, 16, 1
	global_store_short_d16_hi v0, v7, s[0:1]
	v_cndmask_b32_e32 v6, v10, v11, vcc_lo
	v_add3_u32 v7, v8, v5, 0x7fff
	v_or_b32_e32 v8, 0x400000, v5
	v_cmp_u_f32_e32 vcc_lo, v5, v5
	v_or_b32_e32 v10, 0x400000, v2
	global_store_short_d16_hi v0, v6, s[0:1] offset:32
	v_add3_u32 v6, v9, v4, 0x7fff
	v_or_b32_e32 v9, 0x400000, v4
	v_cndmask_b32_e32 v5, v7, v8, vcc_lo
	v_bfe_u32 v7, v3, 16, 1
	v_cmp_u_f32_e32 vcc_lo, v4, v4
	v_bfe_u32 v8, v2, 16, 1
	v_or_b32_e32 v11, 0x400000, v1
	v_add3_u32 v7, v7, v3, 0x7fff
	v_cndmask_b32_e32 v4, v6, v9, vcc_lo
	v_or_b32_e32 v9, 0x400000, v3
	v_cmp_u_f32_e32 vcc_lo, v3, v3
	v_bfe_u32 v6, v1, 16, 1
	v_add3_u32 v8, v8, v2, 0x7fff
	v_cndmask_b32_e32 v3, v7, v9, vcc_lo
	v_cmp_u_f32_e32 vcc_lo, v2, v2
	v_add3_u32 v6, v6, v1, 0x7fff
	v_cndmask_b32_e32 v2, v8, v10, vcc_lo
	v_cmp_u_f32_e32 vcc_lo, v1, v1
	v_cndmask_b32_e32 v1, v6, v11, vcc_lo
	global_store_short_d16_hi v0, v5, s[0:1] offset:64
	global_store_short_d16_hi v0, v4, s[0:1] offset:96
	global_store_short_d16_hi v0, v3, s[0:1] offset:128
	global_store_short_d16_hi v0, v2, s[0:1] offset:160
	global_store_short_d16_hi v0, v1, s[0:1] offset:192
.LBB130_81:
	s_endpgm
.LBB130_82:
	ds_read_b32 v10, v8
	s_waitcnt lgkmcnt(0)
	v_add_f32_e32 v7, v7, v10
	s_or_b32 exec_lo, exec_lo, s0
	s_and_saveexec_b32 s0, vcc_lo
	s_cbranch_execz .LBB130_60
.LBB130_83:
	ds_read_b32 v10, v8 offset:64
	s_waitcnt lgkmcnt(0)
	v_add_f32_e32 v6, v6, v10
	s_or_b32 exec_lo, exec_lo, s0
	s_and_saveexec_b32 s0, vcc_lo
	s_cbranch_execz .LBB130_61
.LBB130_84:
	ds_read_b32 v10, v8 offset:128
	s_waitcnt lgkmcnt(0)
	v_add_f32_e32 v5, v5, v10
	s_or_b32 exec_lo, exec_lo, s0
	s_and_saveexec_b32 s0, vcc_lo
	s_cbranch_execz .LBB130_62
.LBB130_85:
	ds_read_b32 v10, v8 offset:192
	s_waitcnt lgkmcnt(0)
	v_add_f32_e32 v4, v4, v10
	s_or_b32 exec_lo, exec_lo, s0
	s_and_saveexec_b32 s0, vcc_lo
	s_cbranch_execz .LBB130_63
.LBB130_86:
	ds_read_b32 v10, v8 offset:256
	s_waitcnt lgkmcnt(0)
	v_add_f32_e32 v3, v3, v10
	s_or_b32 exec_lo, exec_lo, s0
	s_and_saveexec_b32 s0, vcc_lo
	s_cbranch_execz .LBB130_64
.LBB130_87:
	ds_read_b32 v10, v8 offset:320
	s_waitcnt lgkmcnt(0)
	v_add_f32_e32 v2, v2, v10
	s_or_b32 exec_lo, exec_lo, s0
	s_and_saveexec_b32 s0, vcc_lo
	s_cbranch_execnz .LBB130_65
	s_branch .LBB130_66
.LBB130_88:
	ds_read_b32 v0, v8
	s_waitcnt lgkmcnt(0)
	v_add_f32_e32 v7, v7, v0
	s_or_b32 exec_lo, exec_lo, s0
	s_and_saveexec_b32 s0, vcc_lo
	s_cbranch_execz .LBB130_72
.LBB130_89:
	ds_read_b32 v0, v8 offset:64
	s_waitcnt lgkmcnt(0)
	v_add_f32_e32 v6, v6, v0
	s_or_b32 exec_lo, exec_lo, s0
	s_and_saveexec_b32 s0, vcc_lo
	s_cbranch_execz .LBB130_73
.LBB130_90:
	ds_read_b32 v0, v8 offset:128
	s_waitcnt lgkmcnt(0)
	v_add_f32_e32 v5, v5, v0
	s_or_b32 exec_lo, exec_lo, s0
	s_and_saveexec_b32 s0, vcc_lo
	s_cbranch_execz .LBB130_74
.LBB130_91:
	ds_read_b32 v0, v8 offset:192
	s_waitcnt lgkmcnt(0)
	v_add_f32_e32 v4, v4, v0
	s_or_b32 exec_lo, exec_lo, s0
	s_and_saveexec_b32 s0, vcc_lo
	s_cbranch_execz .LBB130_75
.LBB130_92:
	ds_read_b32 v0, v8 offset:256
	s_waitcnt lgkmcnt(0)
	v_add_f32_e32 v3, v3, v0
	s_or_b32 exec_lo, exec_lo, s0
	s_and_saveexec_b32 s0, vcc_lo
	s_cbranch_execz .LBB130_76
.LBB130_93:
	ds_read_b32 v0, v8 offset:320
	s_waitcnt lgkmcnt(0)
	v_add_f32_e32 v2, v2, v0
	s_or_b32 exec_lo, exec_lo, s0
	s_and_saveexec_b32 s0, vcc_lo
	s_cbranch_execnz .LBB130_77
	s_branch .LBB130_78
	.section	.rodata,"a",@progbits
	.p2align	6, 0x0
	.amdhsa_kernel _ZN4vllm25paged_attention_v1_kernelI14__hip_bfloat16S1_Li112ELi16ELi128ELNS_18Fp8KVCacheDataTypeE0ELb1EEEvPT_PKS3_PKT0_S9_ifPKiSB_iPKfiiiSD_SD_iiiii
		.amdhsa_group_segment_fixed_size 256
		.amdhsa_private_segment_fixed_size 0
		.amdhsa_kernarg_size 384
		.amdhsa_user_sgpr_count 6
		.amdhsa_user_sgpr_private_segment_buffer 1
		.amdhsa_user_sgpr_dispatch_ptr 0
		.amdhsa_user_sgpr_queue_ptr 0
		.amdhsa_user_sgpr_kernarg_segment_ptr 1
		.amdhsa_user_sgpr_dispatch_id 0
		.amdhsa_user_sgpr_flat_scratch_init 0
		.amdhsa_user_sgpr_private_segment_size 0
		.amdhsa_wavefront_size32 1
		.amdhsa_uses_dynamic_stack 0
		.amdhsa_system_sgpr_private_segment_wavefront_offset 0
		.amdhsa_system_sgpr_workgroup_id_x 1
		.amdhsa_system_sgpr_workgroup_id_y 1
		.amdhsa_system_sgpr_workgroup_id_z 1
		.amdhsa_system_sgpr_workgroup_info 0
		.amdhsa_system_vgpr_workitem_id 0
		.amdhsa_next_free_vgpr 105
		.amdhsa_next_free_sgpr 38
		.amdhsa_reserve_vcc 1
		.amdhsa_reserve_flat_scratch 0
		.amdhsa_float_round_mode_32 0
		.amdhsa_float_round_mode_16_64 0
		.amdhsa_float_denorm_mode_32 3
		.amdhsa_float_denorm_mode_16_64 3
		.amdhsa_dx10_clamp 1
		.amdhsa_ieee_mode 1
		.amdhsa_fp16_overflow 0
		.amdhsa_workgroup_processor_mode 1
		.amdhsa_memory_ordered 1
		.amdhsa_forward_progress 1
		.amdhsa_shared_vgpr_count 0
		.amdhsa_exception_fp_ieee_invalid_op 0
		.amdhsa_exception_fp_denorm_src 0
		.amdhsa_exception_fp_ieee_div_zero 0
		.amdhsa_exception_fp_ieee_overflow 0
		.amdhsa_exception_fp_ieee_underflow 0
		.amdhsa_exception_fp_ieee_inexact 0
		.amdhsa_exception_int_div_zero 0
	.end_amdhsa_kernel
	.section	.text._ZN4vllm25paged_attention_v1_kernelI14__hip_bfloat16S1_Li112ELi16ELi128ELNS_18Fp8KVCacheDataTypeE0ELb1EEEvPT_PKS3_PKT0_S9_ifPKiSB_iPKfiiiSD_SD_iiiii,"axG",@progbits,_ZN4vllm25paged_attention_v1_kernelI14__hip_bfloat16S1_Li112ELi16ELi128ELNS_18Fp8KVCacheDataTypeE0ELb1EEEvPT_PKS3_PKT0_S9_ifPKiSB_iPKfiiiSD_SD_iiiii,comdat
.Lfunc_end130:
	.size	_ZN4vllm25paged_attention_v1_kernelI14__hip_bfloat16S1_Li112ELi16ELi128ELNS_18Fp8KVCacheDataTypeE0ELb1EEEvPT_PKS3_PKT0_S9_ifPKiSB_iPKfiiiSD_SD_iiiii, .Lfunc_end130-_ZN4vllm25paged_attention_v1_kernelI14__hip_bfloat16S1_Li112ELi16ELi128ELNS_18Fp8KVCacheDataTypeE0ELb1EEEvPT_PKS3_PKT0_S9_ifPKiSB_iPKfiiiSD_SD_iiiii
                                        ; -- End function
	.set _ZN4vllm25paged_attention_v1_kernelI14__hip_bfloat16S1_Li112ELi16ELi128ELNS_18Fp8KVCacheDataTypeE0ELb1EEEvPT_PKS3_PKT0_S9_ifPKiSB_iPKfiiiSD_SD_iiiii.num_vgpr, 105
	.set _ZN4vllm25paged_attention_v1_kernelI14__hip_bfloat16S1_Li112ELi16ELi128ELNS_18Fp8KVCacheDataTypeE0ELb1EEEvPT_PKS3_PKT0_S9_ifPKiSB_iPKfiiiSD_SD_iiiii.num_agpr, 0
	.set _ZN4vllm25paged_attention_v1_kernelI14__hip_bfloat16S1_Li112ELi16ELi128ELNS_18Fp8KVCacheDataTypeE0ELb1EEEvPT_PKS3_PKT0_S9_ifPKiSB_iPKfiiiSD_SD_iiiii.numbered_sgpr, 38
	.set _ZN4vllm25paged_attention_v1_kernelI14__hip_bfloat16S1_Li112ELi16ELi128ELNS_18Fp8KVCacheDataTypeE0ELb1EEEvPT_PKS3_PKT0_S9_ifPKiSB_iPKfiiiSD_SD_iiiii.num_named_barrier, 0
	.set _ZN4vllm25paged_attention_v1_kernelI14__hip_bfloat16S1_Li112ELi16ELi128ELNS_18Fp8KVCacheDataTypeE0ELb1EEEvPT_PKS3_PKT0_S9_ifPKiSB_iPKfiiiSD_SD_iiiii.private_seg_size, 0
	.set _ZN4vllm25paged_attention_v1_kernelI14__hip_bfloat16S1_Li112ELi16ELi128ELNS_18Fp8KVCacheDataTypeE0ELb1EEEvPT_PKS3_PKT0_S9_ifPKiSB_iPKfiiiSD_SD_iiiii.uses_vcc, 1
	.set _ZN4vllm25paged_attention_v1_kernelI14__hip_bfloat16S1_Li112ELi16ELi128ELNS_18Fp8KVCacheDataTypeE0ELb1EEEvPT_PKS3_PKT0_S9_ifPKiSB_iPKfiiiSD_SD_iiiii.uses_flat_scratch, 0
	.set _ZN4vllm25paged_attention_v1_kernelI14__hip_bfloat16S1_Li112ELi16ELi128ELNS_18Fp8KVCacheDataTypeE0ELb1EEEvPT_PKS3_PKT0_S9_ifPKiSB_iPKfiiiSD_SD_iiiii.has_dyn_sized_stack, 0
	.set _ZN4vllm25paged_attention_v1_kernelI14__hip_bfloat16S1_Li112ELi16ELi128ELNS_18Fp8KVCacheDataTypeE0ELb1EEEvPT_PKS3_PKT0_S9_ifPKiSB_iPKfiiiSD_SD_iiiii.has_recursion, 0
	.set _ZN4vllm25paged_attention_v1_kernelI14__hip_bfloat16S1_Li112ELi16ELi128ELNS_18Fp8KVCacheDataTypeE0ELb1EEEvPT_PKS3_PKT0_S9_ifPKiSB_iPKfiiiSD_SD_iiiii.has_indirect_call, 0
	.section	.AMDGPU.csdata,"",@progbits
; Kernel info:
; codeLenInByte = 10528
; TotalNumSgprs: 40
; NumVgprs: 105
; ScratchSize: 0
; MemoryBound: 0
; FloatMode: 240
; IeeeMode: 1
; LDSByteSize: 256 bytes/workgroup (compile time only)
; SGPRBlocks: 0
; VGPRBlocks: 13
; NumSGPRsForWavesPerEU: 40
; NumVGPRsForWavesPerEU: 105
; Occupancy: 9
; WaveLimiterHint : 1
; COMPUTE_PGM_RSRC2:SCRATCH_EN: 0
; COMPUTE_PGM_RSRC2:USER_SGPR: 6
; COMPUTE_PGM_RSRC2:TRAP_HANDLER: 0
; COMPUTE_PGM_RSRC2:TGID_X_EN: 1
; COMPUTE_PGM_RSRC2:TGID_Y_EN: 1
; COMPUTE_PGM_RSRC2:TGID_Z_EN: 1
; COMPUTE_PGM_RSRC2:TIDIG_COMP_CNT: 0
	.section	.text._ZN4vllm25paged_attention_v1_kernelI14__hip_bfloat16S1_Li120ELi16ELi128ELNS_18Fp8KVCacheDataTypeE0ELb1EEEvPT_PKS3_PKT0_S9_ifPKiSB_iPKfiiiSD_SD_iiiii,"axG",@progbits,_ZN4vllm25paged_attention_v1_kernelI14__hip_bfloat16S1_Li120ELi16ELi128ELNS_18Fp8KVCacheDataTypeE0ELb1EEEvPT_PKS3_PKT0_S9_ifPKiSB_iPKfiiiSD_SD_iiiii,comdat
	.protected	_ZN4vllm25paged_attention_v1_kernelI14__hip_bfloat16S1_Li120ELi16ELi128ELNS_18Fp8KVCacheDataTypeE0ELb1EEEvPT_PKS3_PKT0_S9_ifPKiSB_iPKfiiiSD_SD_iiiii ; -- Begin function _ZN4vllm25paged_attention_v1_kernelI14__hip_bfloat16S1_Li120ELi16ELi128ELNS_18Fp8KVCacheDataTypeE0ELb1EEEvPT_PKS3_PKT0_S9_ifPKiSB_iPKfiiiSD_SD_iiiii
	.globl	_ZN4vllm25paged_attention_v1_kernelI14__hip_bfloat16S1_Li120ELi16ELi128ELNS_18Fp8KVCacheDataTypeE0ELb1EEEvPT_PKS3_PKT0_S9_ifPKiSB_iPKfiiiSD_SD_iiiii
	.p2align	8
	.type	_ZN4vllm25paged_attention_v1_kernelI14__hip_bfloat16S1_Li120ELi16ELi128ELNS_18Fp8KVCacheDataTypeE0ELb1EEEvPT_PKS3_PKT0_S9_ifPKiSB_iPKfiiiSD_SD_iiiii,@function
_ZN4vllm25paged_attention_v1_kernelI14__hip_bfloat16S1_Li120ELi16ELi128ELNS_18Fp8KVCacheDataTypeE0ELb1EEEvPT_PKS3_PKT0_S9_ifPKiSB_iPKfiiiSD_SD_iiiii: ; @_ZN4vllm25paged_attention_v1_kernelI14__hip_bfloat16S1_Li120ELi16ELi128ELNS_18Fp8KVCacheDataTypeE0ELb1EEEvPT_PKS3_PKT0_S9_ifPKiSB_iPKfiiiSD_SD_iiiii
; %bb.0:
	s_clause 0x2
	s_load_dword s9, s[4:5], 0x80
	s_load_dwordx2 s[0:1], s[4:5], 0x30
	s_load_dwordx2 s[28:29], s[4:5], 0x20
	s_mov_b32 s10, s7
	s_ashr_i32 s11, s7, 31
	s_mov_b32 s33, 0
	s_lshl_b64 s[2:3], s[10:11], 2
	s_waitcnt lgkmcnt(0)
	s_add_u32 s0, s0, s2
	s_addc_u32 s1, s1, s3
	s_abs_i32 s2, s28
	s_abs_i32 s11, s9
	v_cvt_f32_u32_e32 v1, s2
	s_sub_i32 s7, 0, s2
	v_rcp_iflag_f32_e32 v1, v1
	v_mul_f32_e32 v1, 0x4f7ffffe, v1
	v_cvt_u32_f32_e32 v1, v1
	v_readfirstlane_b32 s3, v1
	s_mul_i32 s7, s7, s3
	s_mul_hi_u32 s7, s3, s7
	s_add_i32 s3, s3, s7
	s_xor_b32 s7, s9, s28
	s_mul_hi_u32 s3, s11, s3
	s_ashr_i32 s7, s7, 31
	s_mul_i32 s12, s3, s2
	s_sub_i32 s11, s11, s12
	s_add_i32 s12, s3, 1
	s_sub_i32 s13, s11, s2
	s_cmp_ge_u32 s11, s2
	s_cselect_b32 s3, s12, s3
	s_cselect_b32 s11, s13, s11
	s_add_i32 s12, s3, 1
	s_cmp_ge_u32 s11, s2
	s_cselect_b32 s2, s12, s3
	s_abs_i32 s22, s6
	s_xor_b32 s2, s2, s7
	s_sub_i32 s16, s2, s7
	s_load_dwordx2 s[2:3], s[4:5], 0x40
	s_abs_i32 s11, s16
	v_cvt_f32_u32_e32 v1, s11
	s_sub_i32 s12, 0, s11
	v_rcp_iflag_f32_e32 v1, v1
	v_mul_f32_e32 v1, 0x4f7ffffe, v1
	v_cvt_u32_f32_e32 v1, v1
	v_readfirstlane_b32 s7, v1
	s_mul_i32 s12, s12, s7
	s_mul_hi_u32 s12, s7, s12
	s_add_i32 s7, s7, s12
	s_waitcnt lgkmcnt(0)
	s_cmp_eq_u64 s[2:3], 0
	s_mul_hi_u32 s23, s22, s7
	s_cbranch_scc1 .LBB131_2
; %bb.1:
	s_ashr_i32 s7, s6, 31
	s_lshl_b64 s[12:13], s[6:7], 2
	s_add_u32 s2, s2, s12
	s_addc_u32 s3, s3, s13
	s_load_dword s33, s[2:3], 0x0
.LBB131_2:
	s_load_dword s30, s[0:1], 0x0
	s_load_dwordx4 s[12:15], s[4:5], 0x48
	v_lshrrev_b32_e32 v39, 1, v0
	v_and_b32_e32 v40, 1, v0
	v_lshlrev_b32_e32 v3, 3, v0
	s_ashr_i32 s0, s6, 31
	s_ashr_i32 s1, s16, 31
	s_mul_i32 s20, s6, 0x78
	s_mov_b32 s2, exec_lo
	v_cmpx_gt_u32_e32 30, v0
	s_cbranch_execz .LBB131_4
; %bb.3:
	s_load_dwordx2 s[16:17], s[4:5], 0x8
	s_waitcnt lgkmcnt(0)
	s_mul_i32 s18, s12, s10
	v_lshlrev_b32_e32 v4, 3, v39
	s_ashr_i32 s19, s18, 31
	s_lshl_b64 s[18:19], s[18:19], 1
	v_mad_u32_u24 v4, 0x78, v40, v4
	s_add_u32 s3, s16, s18
	s_addc_u32 s7, s17, s19
	s_ashr_i32 s21, s20, 31
	s_lshl_b64 s[16:17], s[20:21], 1
	s_add_u32 s16, s3, s16
	s_addc_u32 s17, s7, s17
	global_load_dwordx2 v[1:2], v3, s[16:17]
	s_waitcnt vmcnt(0)
	ds_write_b64 v4, v[1:2]
.LBB131_4:
	s_or_b32 exec_lo, exec_lo, s2
	s_load_dwordx4 s[16:19], s[4:5], 0x68
	s_mul_i32 s2, s23, s11
	s_xor_b32 s1, s0, s1
	s_sub_i32 s0, s22, s2
	s_add_i32 s2, s23, 1
	s_sub_i32 s3, s0, s11
	s_cmp_ge_u32 s0, s11
	s_waitcnt lgkmcnt(0)
	s_cselect_b32 s2, s2, s23
	s_cselect_b32 s0, s3, s0
	s_add_i32 s3, s2, 1
	s_cmp_ge_u32 s0, s11
	s_load_dword s0, s[4:5], 0x78
	s_cselect_b32 s2, s3, s2
	s_add_i32 s7, s30, -1
	s_xor_b32 s2, s2, s1
	s_abs_i32 s3, s7
	s_sub_i32 s1, s2, s1
	s_mov_b32 s11, -1
	s_barrier
	s_abs_i32 s12, s19
	s_waitcnt lgkmcnt(0)
	buffer_gl0_inv
	v_cvt_f32_u32_e32 v1, s12
	s_sub_i32 s2, 0, s12
                                        ; implicit-def: $sgpr31
	v_rcp_iflag_f32_e32 v1, v1
	v_mul_f32_e32 v1, 0x4f7ffffe, v1
	v_cvt_u32_f32_e32 v1, v1
	v_readfirstlane_b32 s21, v1
	s_mul_i32 s2, s2, s21
	s_mul_hi_u32 s2, s21, s2
	s_add_i32 s21, s21, s2
	s_cmp_lt_i32 s0, 0
	s_mul_hi_u32 s2, s3, s21
	s_cbranch_scc0 .LBB131_6
; %bb.5:
	s_mul_i32 s11, s16, s28
	s_add_i32 s11, s1, s11
	s_mul_i32 s11, s11, s0
	s_sub_i32 s31, 1, s11
	s_mov_b32 s11, 0
.LBB131_6:
	s_load_dwordx2 s[22:23], s[4:5], 0x28
	s_ashr_i32 s7, s7, 31
	s_andn2_b32 vcc_lo, exec_lo, s11
	s_ashr_i32 s19, s19, 31
	s_cbranch_vccnz .LBB131_8
; %bb.7:
	s_mul_i32 s11, s9, s16
	s_add_i32 s6, s11, s6
	s_mul_i32 s0, s6, s0
	s_add_i32 s31, s0, 1
.LBB131_8:
	s_load_dword s0, s[4:5], 0x38
	s_mul_i32 s6, s2, s12
	s_xor_b32 s15, s7, s19
	s_sub_i32 s3, s3, s6
	s_add_i32 s16, s2, 1
	s_clause 0x2
	s_load_dwordx2 s[6:7], s[4:5], 0x0
	s_load_dwordx2 s[26:27], s[4:5], 0x18
	s_load_dword s11, s[4:5], 0x88
	v_lshrrev_b32_e32 v41, 5, v0
	v_mov_b32_e32 v6, 0xff7fffff
	v_lshrrev_b32_e32 v4, 3, v0
	v_mbcnt_lo_u32_b32 v5, -1, 0
	s_mul_i32 s14, s1, s14
	v_lshlrev_b32_e32 v42, 4, v41
	s_mov_b32 s34, exec_lo
	s_waitcnt lgkmcnt(0)
	s_mul_i32 s24, s0, s10
	s_sub_i32 s0, s3, s12
	s_ashr_i32 s25, s24, 31
	s_cmp_ge_u32 s3, s12
	s_cselect_b32 s2, s16, s2
	s_cselect_b32 s0, s0, s3
	s_add_i32 s3, s2, 1
	s_cmp_ge_u32 s0, s12
	s_cselect_b32 s0, s3, s2
	s_add_i32 s2, s30, 15
	s_ashr_i32 s3, s2, 31
	s_lshr_b32 s3, s3, 28
	s_add_i32 s2, s2, s3
	s_ashr_i32 s16, s2, 4
	s_xor_b32 s2, s0, s15
	v_cmp_le_i32_e64 s0, s16, v41
	s_sub_i32 s28, s2, s15
	v_cmpx_gt_i32_e64 s16, v41
	s_cbranch_execz .LBB131_20
; %bb.9:
	s_load_dwordx2 s[2:3], s[4:5], 0x10
	s_ashr_i32 s15, s14, 31
	s_sub_i32 s4, s28, s17
	s_lshl_b64 s[36:37], s[14:15], 1
	v_bfe_u32 v7, v0, 1, 4
	v_and_b32_e32 v2, 0x7c, v4
	v_and_b32_e32 v14, 8, v3
	v_mul_u32_u24_e32 v8, 0x78, v40
	v_cmp_neq_f32_e64 s1, s33, 0
	v_lshlrev_b32_e32 v12, 2, v7
	v_subrev_nc_u32_e32 v13, s30, v7
	v_lshlrev_b32_e32 v9, 4, v41
	v_mov_b32_e32 v10, 0xff7fffff
	v_xor_b32_e32 v11, 1, v5
	v_lshl_or_b32 v15, v41, 6, v12
	v_add_nc_u32_e32 v12, 1, v13
	v_mov_b32_e32 v6, 0xff7fffff
	v_cmp_eq_u32_e32 vcc_lo, 0, v40
	v_add_nc_u32_e32 v13, 0x110, v15
	s_waitcnt lgkmcnt(0)
	s_add_u32 s15, s2, s36
	s_addc_u32 s35, s3, s37
	s_abs_i32 s5, s18
	v_cvt_f32_u32_e32 v1, s5
	s_sub_i32 s2, 0, s5
	v_rcp_iflag_f32_e32 v1, v1
	v_mul_f32_e32 v1, 0x4f7ffffe, v1
	v_cvt_u32_f32_e32 v16, v1
	v_lshlrev_b32_e32 v1, 4, v7
	v_mul_lo_u32 v15, s2, v16
	s_lshl_b64 s[2:3], s[24:25], 2
	v_add_co_u32 v17, s15, s15, v1
	s_add_u32 s2, s22, s2
	v_add_co_ci_u32_e64 v18, null, s35, 0, s15
	s_addc_u32 s3, s23, s3
	v_mul_hi_u32 v19, v16, v15
	v_add_co_u32 v1, s2, s2, v2
	v_add_co_ci_u32_e64 v2, null, s3, 0, s2
	v_add_co_u32 v14, s2, v17, v14
	v_add_co_ci_u32_e64 v15, null, 0, v18, s2
	v_add_nc_u32_e32 v16, v16, v19
	v_mov_b32_e32 v17, v41
	s_mov_b32 s15, 0
	s_mov_b32 s35, s13
	s_branch .LBB131_12
.LBB131_10:                             ;   in Loop: Header=BB131_12 Depth=1
	s_or_b32 exec_lo, exec_lo, s36
.LBB131_11:                             ;   in Loop: Header=BB131_12 Depth=1
	s_or_b32 exec_lo, exec_lo, s3
	v_add_nc_u32_e32 v17, 4, v17
	v_add_co_u32 v1, s3, v1, 16
	v_add_co_ci_u32_e64 v2, null, 0, v2, s3
	v_cmp_le_i32_e64 s2, s16, v17
	v_add_nc_u32_e32 v9, 64, v9
	v_add_nc_u32_e32 v13, 0x100, v13
	s_or_b32 s15, s2, s15
	s_andn2_b32 exec_lo, exec_lo, s15
	s_cbranch_execz .LBB131_19
.LBB131_12:                             ; =>This Inner Loop Header: Depth=1
	v_mul_hi_u32 v18, v9, s21
	s_waitcnt lgkmcnt(0)
	v_mul_lo_u32 v19, v18, s12
	v_add_nc_u32_e32 v20, 1, v18
	v_sub_nc_u32_e32 v19, v9, v19
	v_subrev_nc_u32_e32 v21, s12, v19
	v_cmp_le_u32_e64 s2, s12, v19
	v_cndmask_b32_e64 v18, v18, v20, s2
	v_cndmask_b32_e64 v19, v19, v21, s2
	v_add_nc_u32_e32 v20, 1, v18
	v_cmp_le_u32_e64 s2, s12, v19
	v_cndmask_b32_e64 v18, v18, v20, s2
	v_xor_b32_e32 v18, s19, v18
	v_subrev_nc_u32_e32 v18, s19, v18
	v_add_nc_u32_e32 v19, s31, v18
	v_cmp_ge_i32_e64 s3, s4, v18
	v_sub_nc_u32_e32 v20, 0, v19
	v_max_i32_e32 v20, v19, v20
	v_ashrrev_i32_e32 v19, 31, v19
	v_mul_hi_u32 v21, v20, v16
	v_mul_lo_u32 v21, v21, s5
	v_sub_nc_u32_e32 v20, v20, v21
	v_subrev_nc_u32_e32 v21, s5, v20
	v_cmp_le_u32_e64 s2, s5, v20
	v_cndmask_b32_e64 v20, v20, v21, s2
	v_subrev_nc_u32_e32 v21, s5, v20
	v_cmp_le_u32_e64 s2, s5, v20
	v_cndmask_b32_e64 v20, v20, v21, s2
	v_xor_b32_e32 v20, v20, v19
	v_sub_nc_u32_e32 v19, v20, v19
	v_cmp_ne_u32_e64 s2, 0, v19
	s_and_b32 s2, s2, s3
	s_and_saveexec_b32 s3, s2
	s_xor_b32 s2, exec_lo, s3
	s_cbranch_execz .LBB131_16
; %bb.13:                               ;   in Loop: Header=BB131_12 Depth=1
	s_and_saveexec_b32 s3, vcc_lo
; %bb.14:                               ;   in Loop: Header=BB131_12 Depth=1
	ds_write_b32 v13, v10
; %bb.15:                               ;   in Loop: Header=BB131_12 Depth=1
	s_or_b32 exec_lo, exec_lo, s3
.LBB131_16:                             ;   in Loop: Header=BB131_12 Depth=1
	s_andn2_saveexec_b32 s3, s2
	s_cbranch_execz .LBB131_11
; %bb.17:                               ;   in Loop: Header=BB131_12 Depth=1
	global_load_dword v18, v[1:2], off
	s_waitcnt vmcnt(0)
	v_mad_i64_i32 v[18:19], null, v18, s35, 0
	v_lshlrev_b64 v[18:19], 1, v[18:19]
	v_add_co_u32 v51, s2, v14, v18
	v_add_co_ci_u32_e64 v52, null, v15, v19, s2
	s_clause 0x3
	global_load_dwordx2 v[53:54], v[51:52], off offset:256
	global_load_dwordx2 v[55:56], v[51:52], off offset:512
	;; [unrolled: 1-line block ×3, first 2 shown]
	global_load_dwordx2 v[59:60], v[51:52], off
	ds_read2_b64 v[18:21], v8 offset1:1
	ds_read2_b64 v[22:25], v8 offset0:2 offset1:3
	ds_read2_b64 v[26:29], v8 offset0:4 offset1:5
	;; [unrolled: 1-line block ×6, first 2 shown]
	ds_read_b64 v[61:62], v8 offset:112
	s_waitcnt lgkmcnt(7)
	v_lshlrev_b32_e32 v38, 16, v18
	v_lshlrev_b32_e32 v63, 16, v19
	v_and_b32_e32 v86, 0xffff0000, v18
	v_and_b32_e32 v87, 0xffff0000, v19
	global_load_dwordx2 v[18:19], v[51:52], off offset:1024
	v_lshlrev_b32_e32 v64, 16, v20
	v_lshlrev_b32_e32 v65, 16, v21
	v_and_b32_e32 v88, 0xffff0000, v20
	v_and_b32_e32 v89, 0xffff0000, v21
	global_load_dwordx2 v[20:21], v[51:52], off offset:1280
	s_waitcnt lgkmcnt(6)
	v_lshlrev_b32_e32 v66, 16, v22
	v_lshlrev_b32_e32 v67, 16, v23
	v_and_b32_e32 v90, 0xffff0000, v22
	v_and_b32_e32 v91, 0xffff0000, v23
	global_load_dwordx2 v[22:23], v[51:52], off offset:1536
	v_lshlrev_b32_e32 v68, 16, v24
	v_and_b32_e32 v92, 0xffff0000, v24
	v_add_co_u32 v24, s2, 0x800, v51
	s_waitcnt lgkmcnt(5)
	v_lshlrev_b32_e32 v70, 16, v26
	v_lshlrev_b32_e32 v71, 16, v27
	v_and_b32_e32 v94, 0xffff0000, v26
	v_and_b32_e32 v95, 0xffff0000, v27
	global_load_dwordx2 v[26:27], v[51:52], off offset:1792
	v_lshlrev_b32_e32 v69, 16, v25
	v_and_b32_e32 v93, 0xffff0000, v25
	v_add_co_ci_u32_e64 v25, null, 0, v52, s2
	v_lshlrev_b32_e32 v72, 16, v28
	v_lshlrev_b32_e32 v73, 16, v29
	s_waitcnt lgkmcnt(4)
	v_lshlrev_b32_e32 v74, 16, v30
	v_lshlrev_b32_e32 v75, 16, v31
	v_and_b32_e32 v96, 0xffff0000, v28
	v_and_b32_e32 v97, 0xffff0000, v29
	;; [unrolled: 1-line block ×4, first 2 shown]
	s_clause 0x1
	global_load_dwordx2 v[28:29], v[24:25], off
	global_load_dwordx2 v[30:31], v[24:25], off offset:256
	v_lshlrev_b32_e32 v76, 16, v32
	v_and_b32_e32 v100, 0xffff0000, v32
	v_lshlrev_b32_e32 v77, 16, v33
	s_waitcnt lgkmcnt(3)
	v_lshlrev_b32_e32 v78, 16, v34
	v_lshlrev_b32_e32 v79, 16, v35
	;; [unrolled: 1-line block ×3, first 2 shown]
	s_waitcnt lgkmcnt(2)
	v_lshlrev_b32_e32 v82, 16, v43
	v_and_b32_e32 v101, 0xffff0000, v33
	v_and_b32_e32 v102, 0xffff0000, v34
	;; [unrolled: 1-line block ×5, first 2 shown]
	v_lshlrev_b32_e32 v81, 16, v37
	v_and_b32_e32 v105, 0xffff0000, v37
	v_lshlrev_b32_e32 v83, 16, v44
	v_and_b32_e32 v107, 0xffff0000, v44
	;; [unrolled: 2-line block ×3, first 2 shown]
	v_lshlrev_b32_e32 v85, 16, v46
	s_waitcnt lgkmcnt(1)
	v_lshlrev_b32_e32 v108, 16, v47
	v_and_b32_e32 v47, 0xffff0000, v47
	v_and_b32_e32 v46, 0xffff0000, v46
	v_lshlrev_b32_e32 v109, 16, v48
	v_lshlrev_b32_e32 v110, 16, v49
	v_and_b32_e32 v49, 0xffff0000, v49
	v_and_b32_e32 v48, 0xffff0000, v48
	v_lshlrev_b32_e32 v51, 16, v50
	v_and_b32_e32 v50, 0xffff0000, v50
	v_cmp_gt_i32_e64 s2, 32, v11
	s_waitcnt vmcnt(9)
	v_lshlrev_b32_e32 v32, 16, v53
	v_and_b32_e32 v34, 0xffff0000, v53
	v_lshlrev_b32_e32 v35, 16, v54
	s_waitcnt vmcnt(6)
	v_lshlrev_b32_e32 v36, 16, v59
	v_and_b32_e32 v43, 0xffff0000, v59
	v_mul_f32_e32 v59, v64, v32
	global_load_dwordx2 v[32:33], v[24:25], off offset:512
	v_and_b32_e32 v52, 0xffff0000, v54
	v_lshlrev_b32_e32 v53, 16, v60
	v_and_b32_e32 v54, 0xffff0000, v60
	v_mul_f32_e32 v60, v88, v34
	v_mul_f32_e32 v64, v65, v35
	global_load_dwordx2 v[34:35], v[24:25], off offset:768
	v_fmac_f32_e32 v59, v38, v36
	global_load_dwordx2 v[36:37], v[24:25], off offset:1024
	v_fmac_f32_e32 v60, v86, v43
	s_clause 0x1
	global_load_dwordx2 v[43:44], v[24:25], off offset:1280
	global_load_dwordx2 v[24:25], v[24:25], off offset:1536
	v_mul_f32_e32 v38, v89, v52
	s_waitcnt lgkmcnt(0)
	v_lshlrev_b32_e32 v52, 16, v61
	v_fmac_f32_e32 v64, v63, v53
	v_and_b32_e32 v53, 0xffff0000, v61
	v_lshlrev_b32_e32 v61, 16, v55
	v_fmac_f32_e32 v38, v87, v54
	v_and_b32_e32 v54, 0xffff0000, v55
	v_lshlrev_b32_e32 v55, 16, v56
	v_lshlrev_b32_e32 v63, 16, v57
	v_fmac_f32_e32 v59, v66, v61
	v_and_b32_e32 v57, 0xffff0000, v57
	v_fmac_f32_e32 v60, v90, v54
	v_and_b32_e32 v56, 0xffff0000, v56
	v_lshlrev_b32_e32 v61, 16, v58
	s_waitcnt vmcnt(10)
	v_lshlrev_b32_e32 v65, 16, v18
	v_and_b32_e32 v18, 0xffff0000, v18
	v_fmac_f32_e32 v64, v67, v55
	v_fmac_f32_e32 v59, v68, v63
	v_fmac_f32_e32 v60, v92, v57
	v_and_b32_e32 v58, 0xffff0000, v58
	v_lshlrev_b32_e32 v54, 16, v19
	s_waitcnt vmcnt(9)
	v_lshlrev_b32_e32 v66, 16, v20
	v_and_b32_e32 v20, 0xffff0000, v20
	v_fmac_f32_e32 v38, v91, v56
	v_fmac_f32_e32 v64, v69, v61
	v_fmac_f32_e32 v59, v70, v65
	v_fmac_f32_e32 v60, v94, v18
	v_and_b32_e32 v19, 0xffff0000, v19
	v_lshlrev_b32_e32 v55, 16, v21
	s_waitcnt vmcnt(8)
	v_lshlrev_b32_e32 v67, 16, v22
	v_and_b32_e32 v22, 0xffff0000, v22
	v_fmac_f32_e32 v38, v93, v58
	;; [unrolled: 9-line block ×5, first 2 shown]
	v_fmac_f32_e32 v64, v77, v63
	v_fmac_f32_e32 v59, v78, v68
	;; [unrolled: 1-line block ×3, first 2 shown]
	v_and_b32_e32 v29, 0xffff0000, v29
	v_lshlrev_b32_e32 v61, 16, v31
	v_fmac_f32_e32 v38, v101, v27
	v_fmac_f32_e32 v64, v79, v57
	v_fmac_f32_e32 v59, v80, v87
	v_fmac_f32_e32 v60, v104, v30
	v_and_b32_e32 v31, 0xffff0000, v31
	v_fmac_f32_e32 v38, v103, v29
	v_fmac_f32_e32 v64, v81, v61
	v_lshlrev_b32_e32 v70, 16, v62
	v_fmac_f32_e32 v38, v105, v31
	s_waitcnt vmcnt(4)
	v_lshlrev_b32_e32 v69, 16, v32
	v_and_b32_e32 v32, 0xffff0000, v32
	v_lshlrev_b32_e32 v58, 16, v33
	v_and_b32_e32 v33, 0xffff0000, v33
	v_fmac_f32_e32 v59, v82, v69
	s_waitcnt vmcnt(3)
	v_lshlrev_b32_e32 v88, 16, v34
	v_and_b32_e32 v34, 0xffff0000, v34
	v_fmac_f32_e32 v60, v106, v32
	v_lshlrev_b32_e32 v65, 16, v35
	s_waitcnt vmcnt(2)
	v_lshlrev_b32_e32 v18, 16, v36
	v_and_b32_e32 v36, 0xffff0000, v36
	v_fmac_f32_e32 v64, v83, v58
	v_fmac_f32_e32 v59, v84, v88
	;; [unrolled: 1-line block ×3, first 2 shown]
	v_and_b32_e32 v35, 0xffff0000, v35
	v_lshlrev_b32_e32 v19, 16, v37
	s_waitcnt vmcnt(1)
	v_lshlrev_b32_e32 v21, 16, v43
	v_and_b32_e32 v22, 0xffff0000, v43
	v_fmac_f32_e32 v38, v107, v33
	v_fmac_f32_e32 v64, v85, v65
	;; [unrolled: 1-line block ×4, first 2 shown]
	v_and_b32_e32 v20, 0xffff0000, v37
	v_lshlrev_b32_e32 v23, 16, v44
	s_waitcnt vmcnt(0)
	v_lshlrev_b32_e32 v27, 16, v24
	v_fmac_f32_e32 v38, v46, v35
	v_and_b32_e32 v18, 0xffff0000, v24
	v_fmac_f32_e32 v64, v109, v19
	v_fmac_f32_e32 v59, v21, v110
	;; [unrolled: 1-line block ×3, first 2 shown]
	v_and_b32_e32 v26, 0xffff0000, v44
	v_fmac_f32_e32 v38, v48, v20
	v_lshlrev_b32_e32 v19, 16, v25
	v_fmac_f32_e32 v64, v23, v51
	v_fmac_f32_e32 v59, v27, v52
	;; [unrolled: 1-line block ×4, first 2 shown]
	v_and_b32_e32 v18, 0xffff0000, v62
	v_and_b32_e32 v20, 0xffff0000, v25
	v_fmac_f32_e32 v64, v19, v70
	v_add_f32_e32 v19, v59, v60
	v_cndmask_b32_e64 v21, v5, v11, s2
	v_fmac_f32_e32 v38, v20, v18
	v_add_f32_e32 v18, v19, v64
	v_lshlrev_b32_e32 v19, 2, v21
	v_add_f32_e32 v18, v38, v18
	ds_bpermute_b32 v19, v19, v18
	s_and_saveexec_b32 s36, vcc_lo
	s_cbranch_execz .LBB131_10
; %bb.18:                               ;   in Loop: Header=BB131_12 Depth=1
	v_add_nc_u32_e32 v20, v12, v9
	s_waitcnt lgkmcnt(0)
	v_add_f32_e32 v18, v18, v19
	v_cvt_f32_i32_e32 v20, v20
	v_mul_f32_e32 v20, s33, v20
	v_cndmask_b32_e64 v19, 0, v20, s1
	v_max_f32_e32 v20, v6, v6
	v_fmac_f32_e32 v19, s29, v18
	v_add_nc_u32_e32 v18, v7, v9
	v_max_f32_e32 v20, v20, v19
	v_cmp_gt_i32_e64 s2, s30, v18
	v_cndmask_b32_e64 v18, 0, v19, s2
	v_cndmask_b32_e64 v6, v6, v20, s2
	ds_write_b32 v13, v18
	s_branch .LBB131_10
.LBB131_19:
	s_or_b32 exec_lo, exec_lo, s15
.LBB131_20:
	s_or_b32 exec_lo, exec_lo, s34
	v_xor_b32_e32 v1, 16, v5
	v_xor_b32_e32 v2, 8, v5
	v_max_f32_e32 v8, v6, v6
	v_xor_b32_e32 v9, 2, v5
	v_cmp_gt_i32_e32 vcc_lo, 32, v1
	v_cndmask_b32_e32 v1, v5, v1, vcc_lo
	v_cmp_gt_i32_e32 vcc_lo, 32, v2
	v_lshlrev_b32_e32 v7, 2, v1
	v_cndmask_b32_e32 v2, v5, v2, vcc_lo
	ds_bpermute_b32 v1, v7, v6
	v_lshlrev_b32_e32 v6, 2, v2
	s_waitcnt lgkmcnt(0)
	v_max_f32_e32 v1, v1, v1
	v_max_f32_e32 v1, v8, v1
	v_xor_b32_e32 v8, 4, v5
	ds_bpermute_b32 v2, v6, v1
	v_cmp_gt_i32_e32 vcc_lo, 32, v8
	v_cndmask_b32_e32 v8, v5, v8, vcc_lo
	v_cmp_gt_i32_e32 vcc_lo, 32, v9
	v_lshlrev_b32_e32 v8, 2, v8
	v_cndmask_b32_e32 v9, v5, v9, vcc_lo
	s_waitcnt lgkmcnt(0)
	v_max_f32_e32 v2, v2, v2
	v_max_f32_e32 v1, v1, v2
	ds_bpermute_b32 v2, v8, v1
	s_waitcnt lgkmcnt(0)
	v_max_f32_e32 v2, v2, v2
	v_max_f32_e32 v10, v1, v2
	v_lshlrev_b32_e32 v2, 2, v9
	v_and_b32_e32 v1, 31, v0
	v_lshlrev_b32_e32 v9, 2, v41
	ds_bpermute_b32 v11, v2, v10
	v_cmp_eq_u32_e32 vcc_lo, 0, v1
	s_and_saveexec_b32 s1, vcc_lo
	s_cbranch_execz .LBB131_22
; %bb.21:
	s_waitcnt lgkmcnt(0)
	v_max_f32_e32 v11, v11, v11
	v_max_f32_e32 v10, v10, v10
	;; [unrolled: 1-line block ×3, first 2 shown]
	ds_write_b32 v9, v10 offset:240
.LBB131_22:
	s_or_b32 exec_lo, exec_lo, s1
	v_cmp_gt_u32_e64 s1, 4, v1
	s_waitcnt lgkmcnt(0)
	v_mov_b32_e32 v11, 0xff7fffff
	v_lshlrev_b32_e32 v10, 2, v1
	s_barrier
	buffer_gl0_inv
	s_and_saveexec_b32 s2, s1
; %bb.23:
	ds_read_b32 v11, v10 offset:240
; %bb.24:
	s_or_b32 exec_lo, exec_lo, s2
	s_waitcnt lgkmcnt(0)
	ds_bpermute_b32 v12, v2, v11
	v_xor_b32_e32 v13, 1, v5
	v_max_f32_e32 v11, v11, v11
	v_cmp_gt_i32_e64 s2, 32, v13
	v_cndmask_b32_e64 v5, v5, v13, s2
	s_lshl_b32 s2, s16, 4
	s_min_i32 s4, s2, s30
	v_lshlrev_b32_e32 v44, 2, v5
	v_cmp_gt_i32_e64 s2, s4, v0
	s_waitcnt lgkmcnt(0)
	v_max_f32_e32 v12, v12, v12
	v_max_f32_e32 v5, v11, v12
	ds_bpermute_b32 v11, v44, v5
	s_waitcnt lgkmcnt(0)
	v_max_f32_e32 v11, v11, v11
	v_max_f32_e32 v5, v5, v11
	v_mov_b32_e32 v11, 0
	ds_bpermute_b32 v12, v11, v5
	v_lshl_add_u32 v5, v0, 2, 0x110
	s_and_saveexec_b32 s5, s2
	s_cbranch_execz .LBB131_28
; %bb.25:
	v_lshl_add_u32 v13, v0, 2, 0x110
	v_mov_b32_e32 v11, 0
	v_mov_b32_e32 v14, v0
	s_mov_b32 s15, 0
	.p2align	6
.LBB131_26:                             ; =>This Inner Loop Header: Depth=1
	ds_read_b32 v15, v13
	v_add_nc_u32_e32 v14, 0x80, v14
	v_cmp_le_i32_e64 s3, s4, v14
	s_or_b32 s15, s3, s15
	s_waitcnt lgkmcnt(0)
	v_sub_f32_e32 v15, v15, v12
	v_mul_f32_e32 v15, 0x3fb8aa3b, v15
	v_exp_f32_e32 v15, v15
	ds_write_b32 v13, v15
	v_add_f32_e32 v11, v11, v15
	v_add_nc_u32_e32 v13, 0x200, v13
	s_andn2_b32 exec_lo, exec_lo, s15
	s_cbranch_execnz .LBB131_26
; %bb.27:
	s_or_b32 exec_lo, exec_lo, s15
.LBB131_28:
	s_or_b32 exec_lo, exec_lo, s5
	ds_bpermute_b32 v7, v7, v11
	s_waitcnt lgkmcnt(0)
	v_add_f32_e32 v7, v11, v7
	ds_bpermute_b32 v6, v6, v7
	s_waitcnt lgkmcnt(0)
	v_add_f32_e32 v6, v7, v6
	;; [unrolled: 3-line block ×5, first 2 shown]
	s_and_saveexec_b32 s3, vcc_lo
; %bb.29:
	ds_write_b32 v9, v6 offset:256
; %bb.30:
	s_or_b32 exec_lo, exec_lo, s3
	s_waitcnt lgkmcnt(0)
	s_barrier
	buffer_gl0_inv
	s_and_saveexec_b32 s3, s1
; %bb.31:
	ds_read_b32 v6, v10 offset:256
; %bb.32:
	s_or_b32 exec_lo, exec_lo, s3
	s_waitcnt lgkmcnt(0)
	ds_bpermute_b32 v2, v2, v6
	s_waitcnt lgkmcnt(0)
	v_add_f32_e32 v2, v6, v2
	ds_bpermute_b32 v6, v44, v2
	s_waitcnt lgkmcnt(0)
	v_add_f32_e32 v2, v2, v6
	v_mov_b32_e32 v6, 0
	ds_bpermute_b32 v2, v6, v2
	s_and_saveexec_b32 s1, s2
	s_cbranch_execz .LBB131_35
; %bb.33:
	s_waitcnt lgkmcnt(0)
	v_add_f32_e32 v2, 0x358637bd, v2
	s_mov_b32 s2, 0
	v_div_scale_f32 v6, null, v2, v2, 1.0
	v_div_scale_f32 v9, vcc_lo, 1.0, v2, 1.0
	v_rcp_f32_e32 v7, v6
	v_fma_f32 v8, -v6, v7, 1.0
	v_fmac_f32_e32 v7, v8, v7
	v_mul_f32_e32 v8, v9, v7
	v_fma_f32 v10, -v6, v8, v9
	v_fmac_f32_e32 v8, v10, v7
	v_fma_f32 v6, -v6, v8, v9
	v_div_fmas_f32 v6, v6, v7, v8
	v_div_fixup_f32 v2, v6, v2, 1.0
	v_mov_b32_e32 v6, v0
.LBB131_34:                             ; =>This Inner Loop Header: Depth=1
	ds_read_b32 v7, v5
	v_add_nc_u32_e32 v6, 0x80, v6
	v_cmp_le_i32_e32 vcc_lo, s4, v6
	s_or_b32 s2, vcc_lo, s2
	s_waitcnt lgkmcnt(0)
	v_mul_f32_e32 v7, v2, v7
	ds_write_b32 v5, v7
	v_add_nc_u32_e32 v5, 0x200, v5
	s_andn2_b32 exec_lo, exec_lo, s2
	s_cbranch_execnz .LBB131_34
.LBB131_35:
	s_or_b32 exec_lo, exec_lo, s1
	v_lshrrev_b32_e32 v43, 1, v1
	s_waitcnt lgkmcnt(0)
	s_barrier
	buffer_gl0_inv
	s_and_saveexec_b32 s1, s0
	s_xor_b32 s0, exec_lo, s1
; %bb.36:
	v_lshrrev_b32_e32 v43, 1, v1
                                        ; implicit-def: $vgpr42
                                        ; implicit-def: $vgpr3
                                        ; implicit-def: $vgpr4
; %bb.37:
	s_or_saveexec_b32 s4, s0
	v_mov_b32_e32 v52, 0
	v_mov_b32_e32 v51, 0
	;; [unrolled: 1-line block ×8, first 2 shown]
	s_xor_b32 exec_lo, exec_lo, s4
	s_cbranch_execz .LBB131_61
; %bb.38:
	s_ashr_i32 s15, s14, 31
	s_sub_i32 s5, s28, s17
	s_lshl_b64 s[0:1], s[14:15], 1
	v_and_b32_e32 v53, 8, v3
	s_add_u32 s14, s26, s0
	s_addc_u32 s15, s27, s1
	s_abs_i32 s17, s18
	v_or_b32_e32 v2, 0x70, v43
	v_cvt_f32_u32_e32 v1, s17
	s_sub_i32 s0, 0, s17
	v_and_b32_e32 v3, 0x7c, v4
	v_lshlrev_b32_e32 v4, 5, v40
	s_lshl_b64 s[2:3], s[24:25], 2
	v_rcp_iflag_f32_e32 v1, v1
	s_add_i32 s18, s16, -1
	v_lshl_or_b32 v6, v43, 4, v53
	v_lshl_or_b32 v4, v41, 6, v4
	s_add_u32 s1, s22, s2
	s_addc_u32 s2, s23, s3
	v_add_co_u32 v37, s1, s1, v3
	v_mov_b32_e32 v54, 0
	v_mov_b32_e32 v45, 0
	v_mul_f32_e32 v1, 0x4f7ffffe, v1
	v_mov_b32_e32 v46, 0
	v_mov_b32_e32 v47, 0
	;; [unrolled: 1-line block ×4, first 2 shown]
	v_cvt_u32_f32_e32 v1, v1
	v_mov_b32_e32 v50, 0
	v_mov_b32_e32 v51, 0
	;; [unrolled: 1-line block ×3, first 2 shown]
	v_add_nc_u32_e32 v55, 0x110, v4
	v_mul_lo_u32 v5, s0, v1
	v_cmp_gt_u32_e64 s0, 0x78, v2
	v_lshl_or_b32 v2, v2, 4, v53
	v_lshlrev_b32_e32 v56, 1, v6
	v_add_co_ci_u32_e64 v38, null, s2, 0, s1
	v_mov_b32_e32 v59, v41
	v_lshlrev_b32_e32 v57, 1, v2
	v_mul_hi_u32 v5, v1, v5
	s_mov_b32 s23, s30
	s_mov_b32 s22, 0
	v_add_nc_u32_e32 v58, v1, v5
	s_branch .LBB131_42
.LBB131_39:                             ;   in Loop: Header=BB131_42 Depth=1
	s_or_b32 exec_lo, exec_lo, s25
	s_waitcnt vmcnt(0)
	v_lshlrev_b32_e32 v31, 16, v25
	v_lshlrev_b32_e32 v60, 16, v29
	v_and_b32_e32 v25, 0xffff0000, v25
	v_and_b32_e32 v61, 0xffff0000, v29
	v_lshlrev_b32_e32 v62, 16, v26
	v_and_b32_e32 v26, 0xffff0000, v26
	v_mul_f32_e32 v31, v60, v31
	v_lshlrev_b32_e32 v60, 16, v63
	v_and_b32_e32 v64, 0xffff0000, v63
	v_mul_f32_e32 v25, v61, v25
	v_and_b32_e32 v68, 0xffff0000, v32
	v_bfe_u32 v61, v31, 16, 1
	v_mul_f32_e32 v60, v60, v62
	v_mul_f32_e32 v26, v64, v26
	v_bfe_u32 v62, v25, 16, 1
	v_or_b32_e32 v64, 0x400000, v31
	v_add3_u32 v61, v61, v31, 0x7fff
	v_cmp_u_f32_e32 vcc_lo, v31, v31
	v_or_b32_e32 v65, 0x400000, v25
	v_bfe_u32 v66, v60, 16, 1
	v_add3_u32 v62, v62, v25, 0x7fff
	v_lshlrev_b32_e32 v67, 16, v32
	v_cndmask_b32_e32 v31, v61, v64, vcc_lo
	v_lshlrev_b32_e32 v61, 16, v27
	v_lshlrev_b32_e32 v64, 16, v30
	v_cmp_u_f32_e32 vcc_lo, v25, v25
	v_and_b32_e32 v27, 0xffff0000, v27
	v_and_b32_e32 v31, 0xffff0000, v31
	v_mul_f32_e32 v61, v64, v61
	v_cndmask_b32_e32 v25, v62, v65, vcc_lo
	v_add3_u32 v62, v66, v60, 0x7fff
	v_or_b32_e32 v65, 0x400000, v60
	v_bfe_u32 v66, v26, 16, 1
	v_and_b32_e32 v64, 0xffff0000, v30
	v_cmp_u_f32_e32 vcc_lo, v60, v60
	v_and_b32_e32 v25, 0xffff0000, v25
	v_mul_f32_e32 v27, v64, v27
	v_cndmask_b32_e32 v60, v62, v65, vcc_lo
	v_add3_u32 v62, v66, v26, 0x7fff
	v_or_b32_e32 v65, 0x400000, v26
	v_bfe_u32 v66, v61, 16, 1
	v_lshlrev_b32_e32 v64, 16, v28
	v_and_b32_e32 v28, 0xffff0000, v28
	v_cmp_u_f32_e32 vcc_lo, v26, v26
	v_and_b32_e32 v60, 0xffff0000, v60
	v_add_f32_e32 v25, v31, v25
	v_mul_f32_e32 v64, v67, v64
	v_mul_f32_e32 v28, v68, v28
	v_cndmask_b32_e32 v26, v62, v65, vcc_lo
	v_bfe_u32 v62, v27, 16, 1
	v_add3_u32 v65, v66, v61, 0x7fff
	v_or_b32_e32 v66, 0x400000, v61
	v_cmp_u_f32_e32 vcc_lo, v61, v61
	v_or_b32_e32 v67, 0x400000, v27
	v_add3_u32 v62, v62, v27, 0x7fff
	v_bfe_u32 v69, v28, 16, 1
	v_bfe_u32 v68, v64, 16, 1
	v_cndmask_b32_e32 v61, v65, v66, vcc_lo
	v_cmp_u_f32_e32 vcc_lo, v27, v27
	v_or_b32_e32 v66, 0x400000, v28
	v_add3_u32 v65, v69, v28, 0x7fff
	v_and_b32_e32 v26, 0xffff0000, v26
	v_and_b32_e32 v31, 0xffff0000, v61
	v_cndmask_b32_e32 v27, v62, v67, vcc_lo
	v_cmp_u_f32_e32 vcc_lo, v28, v28
	v_add3_u32 v62, v68, v64, 0x7fff
	v_or_b32_e32 v67, 0x400000, v64
	v_add_f32_e32 v26, v60, v26
	v_and_b32_e32 v27, 0xffff0000, v27
	v_cndmask_b32_e32 v28, v65, v66, vcc_lo
	v_cmp_u_f32_e32 vcc_lo, v64, v64
	v_add_f32_e32 v25, v26, v25
	v_add_f32_e32 v26, v31, v27
	v_and_b32_e32 v27, 0xffff0000, v28
	v_cndmask_b32_e32 v60, v62, v67, vcc_lo
	v_add_f32_e32 v25, v26, v25
	v_and_b32_e32 v28, 0xffff0000, v60
	v_add_f32_e32 v26, v28, v27
	v_add_f32_e32 v25, v26, v25
	;; [unrolled: 1-line block ×3, first 2 shown]
.LBB131_40:                             ;   in Loop: Header=BB131_42 Depth=1
	s_or_b32 exec_lo, exec_lo, s3
	s_waitcnt vmcnt(0)
	v_and_b32_e32 v25, 0xffff0000, v33
	v_and_b32_e32 v31, 0xffff0000, v29
	v_lshlrev_b32_e32 v26, 16, v33
	v_lshlrev_b32_e32 v29, 16, v29
	v_and_b32_e32 v28, 0xffff0000, v34
	v_and_b32_e32 v27, 0xffff0000, v63
	v_mul_f32_e32 v33, v31, v25
	v_lshlrev_b32_e32 v34, 16, v34
	v_mul_f32_e32 v60, v29, v26
	v_lshlrev_b32_e32 v26, 16, v63
	v_mul_f32_e32 v28, v27, v28
	v_bfe_u32 v61, v33, 16, 1
	v_or_b32_e32 v64, 0x400000, v33
	v_bfe_u32 v63, v60, 16, 1
	v_cmp_u_f32_e32 vcc_lo, v33, v33
	v_and_b32_e32 v62, 0xffff0000, v35
	v_add3_u32 v61, v61, v33, 0x7fff
	v_and_b32_e32 v25, 0xffff0000, v30
	v_or_b32_e32 v65, 0x400000, v60
	v_add3_u32 v63, v63, v60, 0x7fff
	v_mul_f32_e32 v34, v26, v34
	v_cndmask_b32_e32 v33, v61, v64, vcc_lo
	v_bfe_u32 v61, v28, 16, 1
	v_cmp_u_f32_e32 vcc_lo, v60, v60
	v_mul_f32_e32 v62, v25, v62
	v_bfe_u32 v64, v34, 16, 1
	v_lshlrev_b32_e32 v35, 16, v35
	v_add3_u32 v61, v61, v28, 0x7fff
	v_cndmask_b32_e32 v60, v63, v65, vcc_lo
	v_or_b32_e32 v63, 0x400000, v28
	v_lshlrev_b32_e32 v30, 16, v30
	v_cmp_u_f32_e32 vcc_lo, v28, v28
	v_bfe_u32 v65, v62, 16, 1
	v_and_b32_e32 v66, 0xffff0000, v36
	v_and_b32_e32 v28, 0xffff0000, v32
	v_mul_f32_e32 v35, v30, v35
	v_cndmask_b32_e32 v61, v61, v63, vcc_lo
	v_add3_u32 v63, v64, v34, 0x7fff
	v_or_b32_e32 v64, 0x400000, v34
	v_cmp_u_f32_e32 vcc_lo, v34, v34
	v_add3_u32 v65, v65, v62, 0x7fff
	v_or_b32_e32 v67, 0x400000, v62
	v_bfe_u32 v68, v35, 16, 1
	v_lshlrev_b32_e32 v36, 16, v36
	v_cndmask_b32_e32 v34, v63, v64, vcc_lo
	v_cmp_u_f32_e32 vcc_lo, v62, v62
	v_mul_f32_e32 v63, v28, v66
	v_add3_u32 v64, v68, v35, 0x7fff
	v_lshlrev_b32_e32 v32, 16, v32
	v_and_b32_e32 v60, 0xffff0000, v60
	v_cndmask_b32_e32 v62, v65, v67, vcc_lo
	v_or_b32_e32 v65, 0x400000, v35
	v_cmp_u_f32_e32 vcc_lo, v35, v35
	v_bfe_u32 v66, v63, 16, 1
	v_and_b32_e32 v33, 0xffff0000, v33
	v_and_b32_e32 v34, 0xffff0000, v34
	;; [unrolled: 1-line block ×3, first 2 shown]
	v_cndmask_b32_e32 v35, v64, v65, vcc_lo
	v_add3_u32 v64, v66, v63, 0x7fff
	v_or_b32_e32 v65, 0x400000, v63
	v_mul_f32_e32 v36, v32, v36
	v_cmp_u_f32_e32 vcc_lo, v63, v63
	v_add_f32_e32 v33, v60, v33
	v_add_f32_e32 v34, v34, v61
	v_and_b32_e32 v35, 0xffff0000, v35
	v_and_b32_e32 v60, 0xffff0000, v21
	;; [unrolled: 1-line block ×3, first 2 shown]
	v_cndmask_b32_e32 v63, v64, v65, vcc_lo
	v_bfe_u32 v64, v36, 16, 1
	v_add_f32_e32 v33, v34, v33
	v_mul_f32_e32 v34, v31, v60
	v_add_f32_e32 v35, v35, v61
	v_lshlrev_b32_e32 v21, 16, v21
	v_add3_u32 v62, v64, v36, 0x7fff
	v_or_b32_e32 v64, 0x400000, v36
	v_cmp_u_f32_e32 vcc_lo, v36, v36
	v_bfe_u32 v60, v34, 16, 1
	v_add_f32_e32 v33, v35, v33
	v_mul_f32_e32 v21, v29, v21
	v_and_b32_e32 v35, 0xffff0000, v22
	v_cndmask_b32_e32 v36, v62, v64, vcc_lo
	v_add3_u32 v60, v60, v34, 0x7fff
	v_or_b32_e32 v61, 0x400000, v34
	v_bfe_u32 v62, v21, 16, 1
	v_mul_f32_e32 v35, v27, v35
	v_lshlrev_b32_e32 v22, 16, v22
	v_cmp_u_f32_e32 vcc_lo, v34, v34
	v_and_b32_e32 v64, 0xffff0000, v23
	v_lshlrev_b32_e32 v23, 16, v23
	v_and_b32_e32 v65, 0xffff0000, v24
	v_mul_f32_e32 v22, v26, v22
	v_cndmask_b32_e32 v34, v60, v61, vcc_lo
	v_add3_u32 v60, v62, v21, 0x7fff
	v_or_b32_e32 v61, 0x400000, v21
	v_bfe_u32 v62, v35, 16, 1
	v_cmp_u_f32_e32 vcc_lo, v21, v21
	v_mul_f32_e32 v64, v25, v64
	v_mul_f32_e32 v23, v30, v23
	v_lshlrev_b32_e32 v24, 16, v24
	v_and_b32_e32 v34, 0xffff0000, v34
	v_cndmask_b32_e32 v21, v60, v61, vcc_lo
	v_add3_u32 v60, v62, v35, 0x7fff
	v_or_b32_e32 v61, 0x400000, v35
	v_bfe_u32 v62, v22, 16, 1
	v_cmp_u_f32_e32 vcc_lo, v35, v35
	v_mul_f32_e32 v24, v32, v24
	v_or_b32_e32 v66, 0x400000, v23
	v_and_b32_e32 v21, 0xffff0000, v21
	v_and_b32_e32 v36, 0xffff0000, v36
	v_cndmask_b32_e32 v35, v60, v61, vcc_lo
	v_add3_u32 v60, v62, v22, 0x7fff
	v_or_b32_e32 v61, 0x400000, v22
	v_bfe_u32 v62, v64, 16, 1
	v_cmp_u_f32_e32 vcc_lo, v22, v22
	v_bfe_u32 v68, v24, 16, 1
	v_and_b32_e32 v35, 0xffff0000, v35
	v_add_f32_e32 v21, v21, v34
	v_cndmask_b32_e32 v22, v60, v61, vcc_lo
	v_bfe_u32 v60, v23, 16, 1
	v_add3_u32 v61, v62, v64, 0x7fff
	v_mul_f32_e32 v62, v28, v65
	v_or_b32_e32 v65, 0x400000, v64
	v_cmp_u_f32_e32 vcc_lo, v64, v64
	v_add3_u32 v60, v60, v23, 0x7fff
	v_add3_u32 v64, v68, v24, 0x7fff
	v_bfe_u32 v67, v62, 16, 1
	v_and_b32_e32 v22, 0xffff0000, v22
	v_cndmask_b32_e32 v61, v61, v65, vcc_lo
	v_cmp_u_f32_e32 vcc_lo, v23, v23
	v_or_b32_e32 v65, 0x400000, v24
	v_add_f32_e32 v22, v22, v35
	v_and_b32_e32 v34, 0xffff0000, v61
	v_cndmask_b32_e32 v23, v60, v66, vcc_lo
	v_cmp_u_f32_e32 vcc_lo, v24, v24
	v_add3_u32 v60, v67, v62, 0x7fff
	v_or_b32_e32 v66, 0x400000, v62
	v_add_f32_e32 v21, v22, v21
	v_and_b32_e32 v23, 0xffff0000, v23
	v_cndmask_b32_e32 v24, v64, v65, vcc_lo
	v_cmp_u_f32_e32 vcc_lo, v62, v62
	v_add_f32_e32 v22, v23, v34
	v_and_b32_e32 v23, 0xffff0000, v24
	v_cndmask_b32_e32 v35, v60, v66, vcc_lo
	v_and_b32_e32 v60, 0xffff0000, v63
	v_and_b32_e32 v34, 0xffff0000, v17
	v_lshlrev_b32_e32 v17, 16, v17
	v_add_f32_e32 v21, v22, v21
	v_and_b32_e32 v24, 0xffff0000, v35
	v_add_f32_e32 v35, v36, v60
	v_mul_f32_e32 v17, v29, v17
	v_add_f32_e32 v22, v23, v24
	v_mul_f32_e32 v23, v31, v34
	v_add_f32_e32 v24, v35, v33
	v_and_b32_e32 v33, 0xffff0000, v18
	v_lshlrev_b32_e32 v18, 16, v18
	v_add_f32_e32 v21, v22, v21
	v_bfe_u32 v22, v23, 16, 1
	v_add_f32_e32 v46, v46, v24
	v_bfe_u32 v24, v17, 16, 1
	v_mul_f32_e32 v33, v27, v33
	v_add_f32_e32 v47, v47, v21
	v_add3_u32 v21, v22, v23, 0x7fff
	v_or_b32_e32 v22, 0x400000, v23
	v_cmp_u_f32_e32 vcc_lo, v23, v23
	v_add3_u32 v24, v24, v17, 0x7fff
	v_or_b32_e32 v34, 0x400000, v17
	v_mul_f32_e32 v18, v26, v18
	v_and_b32_e32 v23, 0xffff0000, v19
	v_cndmask_b32_e32 v21, v21, v22, vcc_lo
	v_bfe_u32 v22, v33, 16, 1
	v_cmp_u_f32_e32 vcc_lo, v17, v17
	v_lshlrev_b32_e32 v19, 16, v19
	v_mul_f32_e32 v23, v25, v23
	v_and_b32_e32 v35, 0xffff0000, v20
	v_add3_u32 v22, v22, v33, 0x7fff
	v_cndmask_b32_e32 v17, v24, v34, vcc_lo
	v_or_b32_e32 v24, 0x400000, v33
	v_bfe_u32 v34, v18, 16, 1
	v_cmp_u_f32_e32 vcc_lo, v33, v33
	v_mul_f32_e32 v19, v30, v19
	v_or_b32_e32 v33, 0x400000, v18
	v_lshlrev_b32_e32 v20, 16, v20
	v_and_b32_e32 v17, 0xffff0000, v17
	v_cndmask_b32_e32 v22, v22, v24, vcc_lo
	v_add3_u32 v24, v34, v18, 0x7fff
	v_bfe_u32 v34, v23, 16, 1
	v_cmp_u_f32_e32 vcc_lo, v18, v18
	v_bfe_u32 v36, v19, 16, 1
	v_mul_f32_e32 v20, v32, v20
	v_and_b32_e32 v21, 0xffff0000, v21
	v_and_b32_e32 v22, 0xffff0000, v22
	v_cndmask_b32_e32 v18, v24, v33, vcc_lo
	v_add3_u32 v24, v34, v23, 0x7fff
	v_mul_f32_e32 v33, v28, v35
	v_or_b32_e32 v34, 0x400000, v23
	v_cmp_u_f32_e32 vcc_lo, v23, v23
	v_add3_u32 v35, v36, v19, 0x7fff
	v_or_b32_e32 v36, 0x400000, v19
	v_bfe_u32 v60, v33, 16, 1
	v_and_b32_e32 v18, 0xffff0000, v18
	v_cndmask_b32_e32 v23, v24, v34, vcc_lo
	v_cmp_u_f32_e32 vcc_lo, v19, v19
	v_or_b32_e32 v34, 0x400000, v33
	v_add3_u32 v24, v60, v33, 0x7fff
	v_add_f32_e32 v17, v17, v21
	v_add_f32_e32 v18, v18, v22
	v_cndmask_b32_e32 v19, v35, v36, vcc_lo
	v_bfe_u32 v35, v20, 16, 1
	v_cmp_u_f32_e32 vcc_lo, v33, v33
	v_and_b32_e32 v22, 0xffff0000, v13
	v_and_b32_e32 v21, 0xffff0000, v23
	v_and_b32_e32 v19, 0xffff0000, v19
	v_add3_u32 v33, v35, v20, 0x7fff
	v_cndmask_b32_e32 v24, v24, v34, vcc_lo
	v_or_b32_e32 v34, 0x400000, v20
	v_cmp_u_f32_e32 vcc_lo, v20, v20
	v_lshlrev_b32_e32 v13, 16, v13
	v_add_f32_e32 v17, v18, v17
	v_mul_f32_e32 v18, v31, v22
	v_add_f32_e32 v19, v19, v21
	v_cndmask_b32_e32 v20, v33, v34, vcc_lo
	v_mul_f32_e32 v21, v29, v13
	v_and_b32_e32 v22, 0xffff0000, v24
	v_bfe_u32 v23, v18, 16, 1
	v_and_b32_e32 v24, 0xffff0000, v14
	v_and_b32_e32 v20, 0xffff0000, v20
	v_add_f32_e32 v13, v19, v17
	v_bfe_u32 v19, v21, 16, 1
	v_lshlrev_b32_e32 v14, 16, v14
	v_cmp_u_f32_e32 vcc_lo, v18, v18
	v_add_f32_e32 v17, v20, v22
	v_add3_u32 v20, v23, v18, 0x7fff
	v_or_b32_e32 v22, 0x400000, v18
	v_mul_f32_e32 v23, v27, v24
	v_add3_u32 v19, v19, v21, 0x7fff
	v_or_b32_e32 v24, 0x400000, v21
	v_mul_f32_e32 v14, v26, v14
	v_cndmask_b32_e32 v18, v20, v22, vcc_lo
	v_bfe_u32 v20, v23, 16, 1
	v_cmp_u_f32_e32 vcc_lo, v21, v21
	v_and_b32_e32 v21, 0xffff0000, v15
	v_or_b32_e32 v22, 0x400000, v23
	v_lshlrev_b32_e32 v15, 16, v15
	v_add3_u32 v20, v20, v23, 0x7fff
	v_cndmask_b32_e32 v19, v19, v24, vcc_lo
	v_bfe_u32 v24, v14, 16, 1
	v_mul_f32_e32 v21, v25, v21
	v_cmp_u_f32_e32 vcc_lo, v23, v23
	v_mul_f32_e32 v15, v30, v15
	v_or_b32_e32 v23, 0x400000, v14
	v_and_b32_e32 v33, 0xffff0000, v16
	v_lshlrev_b32_e32 v16, 16, v16
	v_cndmask_b32_e32 v20, v20, v22, vcc_lo
	v_add3_u32 v22, v24, v14, 0x7fff
	v_bfe_u32 v24, v21, 16, 1
	v_cmp_u_f32_e32 vcc_lo, v14, v14
	v_bfe_u32 v34, v15, 16, 1
	v_mul_f32_e32 v16, v32, v16
	v_and_b32_e32 v19, 0xffff0000, v19
	v_and_b32_e32 v18, 0xffff0000, v18
	v_cndmask_b32_e32 v14, v22, v23, vcc_lo
	v_add3_u32 v22, v24, v21, 0x7fff
	v_mul_f32_e32 v23, v28, v33
	v_or_b32_e32 v24, 0x400000, v21
	v_cmp_u_f32_e32 vcc_lo, v21, v21
	v_add3_u32 v33, v34, v15, 0x7fff
	v_or_b32_e32 v34, 0x400000, v15
	v_bfe_u32 v35, v23, 16, 1
	v_and_b32_e32 v14, 0xffff0000, v14
	v_cndmask_b32_e32 v21, v22, v24, vcc_lo
	v_cmp_u_f32_e32 vcc_lo, v15, v15
	v_or_b32_e32 v24, 0x400000, v23
	v_add3_u32 v22, v35, v23, 0x7fff
	v_and_b32_e32 v20, 0xffff0000, v20
	v_add_f32_e32 v18, v19, v18
	v_cndmask_b32_e32 v15, v33, v34, vcc_lo
	v_bfe_u32 v33, v16, 16, 1
	v_cmp_u_f32_e32 vcc_lo, v23, v23
	v_add_f32_e32 v14, v14, v20
	v_and_b32_e32 v20, 0xffff0000, v9
	v_and_b32_e32 v15, 0xffff0000, v15
	v_add3_u32 v23, v33, v16, 0x7fff
	v_cndmask_b32_e32 v22, v22, v24, vcc_lo
	v_or_b32_e32 v24, 0x400000, v16
	v_cmp_u_f32_e32 vcc_lo, v16, v16
	v_and_b32_e32 v19, 0xffff0000, v21
	v_lshlrev_b32_e32 v9, 16, v9
	v_add_f32_e32 v14, v14, v18
	v_mul_f32_e32 v18, v31, v20
	v_cndmask_b32_e32 v16, v23, v24, vcc_lo
	v_add_f32_e32 v15, v15, v19
	v_mul_f32_e32 v19, v29, v9
	v_and_b32_e32 v20, 0xffff0000, v22
	v_and_b32_e32 v21, 0xffff0000, v10
	;; [unrolled: 1-line block ×3, first 2 shown]
	v_bfe_u32 v22, v18, 16, 1
	v_add_f32_e32 v9, v15, v14
	v_bfe_u32 v15, v19, 16, 1
	v_cmp_u_f32_e32 vcc_lo, v18, v18
	v_add_f32_e32 v14, v16, v20
	v_mul_f32_e32 v16, v27, v21
	v_add3_u32 v20, v22, v18, 0x7fff
	v_or_b32_e32 v21, 0x400000, v18
	v_add3_u32 v15, v15, v19, 0x7fff
	v_or_b32_e32 v22, 0x400000, v19
	v_bfe_u32 v23, v16, 16, 1
	v_lshlrev_b32_e32 v10, 16, v10
	v_cndmask_b32_e32 v18, v20, v21, vcc_lo
	v_cmp_u_f32_e32 vcc_lo, v19, v19
	v_or_b32_e32 v20, 0x400000, v16
	v_add3_u32 v19, v23, v16, 0x7fff
	v_mul_f32_e32 v10, v26, v10
	v_and_b32_e32 v21, 0xffff0000, v11
	v_cndmask_b32_e32 v15, v15, v22, vcc_lo
	v_cmp_u_f32_e32 vcc_lo, v16, v16
	v_lshlrev_b32_e32 v11, 16, v11
	v_bfe_u32 v22, v10, 16, 1
	v_and_b32_e32 v18, 0xffff0000, v18
	v_and_b32_e32 v15, 0xffff0000, v15
	v_cndmask_b32_e32 v16, v19, v20, vcc_lo
	v_mul_f32_e32 v19, v25, v21
	v_mul_f32_e32 v11, v30, v11
	v_add3_u32 v20, v22, v10, 0x7fff
	v_or_b32_e32 v21, 0x400000, v10
	v_and_b32_e32 v22, 0xffff0000, v12
	v_bfe_u32 v23, v19, 16, 1
	v_cmp_u_f32_e32 vcc_lo, v10, v10
	v_bfe_u32 v24, v11, 16, 1
	v_lshlrev_b32_e32 v12, 16, v12
	v_and_b32_e32 v16, 0xffff0000, v16
	v_add_f32_e32 v15, v15, v18
	v_cndmask_b32_e32 v10, v20, v21, vcc_lo
	v_mul_f32_e32 v20, v28, v22
	v_add3_u32 v21, v23, v19, 0x7fff
	v_or_b32_e32 v22, 0x400000, v19
	v_cmp_u_f32_e32 vcc_lo, v19, v19
	v_add3_u32 v23, v24, v11, 0x7fff
	v_or_b32_e32 v24, 0x400000, v11
	v_bfe_u32 v33, v20, 16, 1
	v_and_b32_e32 v10, 0xffff0000, v10
	v_cndmask_b32_e32 v19, v21, v22, vcc_lo
	v_cmp_u_f32_e32 vcc_lo, v11, v11
	v_or_b32_e32 v22, 0x400000, v20
	v_add3_u32 v21, v33, v20, 0x7fff
	v_mul_f32_e32 v12, v32, v12
	v_add_f32_e32 v10, v10, v16
	v_cndmask_b32_e32 v11, v23, v24, vcc_lo
	v_cmp_u_f32_e32 vcc_lo, v20, v20
	v_and_b32_e32 v16, 0xffff0000, v5
	v_and_b32_e32 v18, 0xffff0000, v19
	v_add_f32_e32 v10, v10, v15
	v_and_b32_e32 v11, 0xffff0000, v11
	v_cndmask_b32_e32 v20, v21, v22, vcc_lo
	v_bfe_u32 v21, v12, 16, 1
	v_mul_f32_e32 v15, v31, v16
	v_lshlrev_b32_e32 v5, 16, v5
	v_add_f32_e32 v11, v11, v18
	v_cmp_u_f32_e32 vcc_lo, v12, v12
	v_add3_u32 v19, v21, v12, 0x7fff
	v_or_b32_e32 v21, 0x400000, v12
	v_bfe_u32 v16, v15, 16, 1
	v_add_f32_e32 v10, v11, v10
	v_and_b32_e32 v11, 0xffff0000, v6
	v_mul_f32_e32 v5, v29, v5
	v_cndmask_b32_e32 v12, v19, v21, vcc_lo
	v_add3_u32 v16, v16, v15, 0x7fff
	v_or_b32_e32 v18, 0x400000, v15
	v_mul_f32_e32 v11, v27, v11
	v_and_b32_e32 v19, 0xffff0000, v20
	v_bfe_u32 v20, v5, 16, 1
	v_cmp_u_f32_e32 vcc_lo, v15, v15
	v_lshlrev_b32_e32 v6, 16, v6
	v_or_b32_e32 v21, 0x400000, v5
	v_or_b32_e32 v22, 0x400000, v11
	v_and_b32_e32 v12, 0xffff0000, v12
	v_cndmask_b32_e32 v15, v16, v18, vcc_lo
	v_bfe_u32 v16, v11, 16, 1
	v_add3_u32 v18, v20, v5, 0x7fff
	v_and_b32_e32 v20, 0xffff0000, v7
	v_mul_f32_e32 v6, v26, v6
	v_cmp_u_f32_e32 vcc_lo, v5, v5
	v_add3_u32 v16, v16, v11, 0x7fff
	v_lshlrev_b32_e32 v7, 16, v7
	v_mul_f32_e32 v20, v25, v20
	v_and_b32_e32 v15, 0xffff0000, v15
	v_cndmask_b32_e32 v5, v18, v21, vcc_lo
	v_bfe_u32 v18, v6, 16, 1
	v_cmp_u_f32_e32 vcc_lo, v11, v11
	v_and_b32_e32 v21, 0xffff0000, v8
	v_mul_f32_e32 v7, v30, v7
	v_or_b32_e32 v23, 0x400000, v20
	v_add3_u32 v18, v18, v6, 0x7fff
	v_cndmask_b32_e32 v11, v16, v22, vcc_lo
	v_bfe_u32 v16, v20, 16, 1
	v_or_b32_e32 v22, 0x400000, v6
	v_cmp_u_f32_e32 vcc_lo, v6, v6
	v_mul_f32_e32 v21, v28, v21
	v_lshlrev_b32_e32 v8, 16, v8
	v_add3_u32 v16, v16, v20, 0x7fff
	v_and_b32_e32 v5, 0xffff0000, v5
	v_cndmask_b32_e32 v6, v18, v22, vcc_lo
	v_bfe_u32 v18, v7, 16, 1
	v_cmp_u_f32_e32 vcc_lo, v20, v20
	v_bfe_u32 v22, v21, 16, 1
	v_or_b32_e32 v20, 0x400000, v7
	v_mul_f32_e32 v8, v32, v8
	v_add3_u32 v18, v18, v7, 0x7fff
	v_cndmask_b32_e32 v16, v16, v23, vcc_lo
	v_cmp_u_f32_e32 vcc_lo, v7, v7
	v_add3_u32 v22, v22, v21, 0x7fff
	v_or_b32_e32 v23, 0x400000, v21
	v_and_b32_e32 v6, 0xffff0000, v6
	v_and_b32_e32 v11, 0xffff0000, v11
	v_cndmask_b32_e32 v7, v18, v20, vcc_lo
	v_cmp_u_f32_e32 vcc_lo, v21, v21
	v_bfe_u32 v20, v8, 16, 1
	v_add_f32_e32 v5, v5, v15
	v_add_f32_e32 v6, v6, v11
	v_and_b32_e32 v7, 0xffff0000, v7
	v_cndmask_b32_e32 v18, v22, v23, vcc_lo
	v_and_b32_e32 v22, 0xffff0000, v1
	v_and_b32_e32 v11, 0xffff0000, v16
	v_lshlrev_b32_e32 v1, 16, v1
	v_add3_u32 v20, v20, v8, 0x7fff
	v_or_b32_e32 v21, 0x400000, v8
	v_mul_f32_e32 v15, v31, v22
	v_cmp_u_f32_e32 vcc_lo, v8, v8
	v_add_f32_e32 v5, v6, v5
	v_add_f32_e32 v7, v7, v11
	v_mul_f32_e32 v1, v29, v1
	v_bfe_u32 v6, v15, 16, 1
	v_and_b32_e32 v11, 0xffff0000, v2
	v_cndmask_b32_e32 v8, v20, v21, vcc_lo
	v_or_b32_e32 v16, 0x400000, v15
	v_bfe_u32 v20, v1, 16, 1
	v_add3_u32 v6, v6, v15, 0x7fff
	v_mul_f32_e32 v11, v27, v11
	v_lshlrev_b32_e32 v2, 16, v2
	v_cmp_u_f32_e32 vcc_lo, v15, v15
	v_add3_u32 v15, v20, v1, 0x7fff
	v_and_b32_e32 v21, 0xffff0000, v3
	v_bfe_u32 v20, v11, 16, 1
	v_mul_f32_e32 v2, v26, v2
	v_cndmask_b32_e32 v6, v6, v16, vcc_lo
	v_or_b32_e32 v16, 0x400000, v1
	v_cmp_u_f32_e32 vcc_lo, v1, v1
	v_mul_f32_e32 v21, v25, v21
	v_lshlrev_b32_e32 v3, 16, v3
	v_and_b32_e32 v22, 0xffff0000, v4
	v_lshlrev_b32_e32 v4, 16, v4
	v_cndmask_b32_e32 v1, v15, v16, vcc_lo
	v_add3_u32 v15, v20, v11, 0x7fff
	v_or_b32_e32 v16, 0x400000, v11
	v_bfe_u32 v20, v2, 16, 1
	v_cmp_u_f32_e32 vcc_lo, v11, v11
	v_mul_f32_e32 v3, v30, v3
	v_mul_f32_e32 v4, v32, v4
	v_and_b32_e32 v1, 0xffff0000, v1
	v_and_b32_e32 v6, 0xffff0000, v6
	v_cndmask_b32_e32 v11, v15, v16, vcc_lo
	v_add3_u32 v15, v20, v2, 0x7fff
	v_or_b32_e32 v16, 0x400000, v2
	v_bfe_u32 v20, v21, 16, 1
	v_cmp_u_f32_e32 vcc_lo, v2, v2
	v_or_b32_e32 v23, 0x400000, v3
	v_bfe_u32 v25, v4, 16, 1
	v_and_b32_e32 v11, 0xffff0000, v11
	v_add_f32_e32 v1, v1, v6
	v_cndmask_b32_e32 v2, v15, v16, vcc_lo
	v_bfe_u32 v15, v3, 16, 1
	v_add3_u32 v16, v20, v21, 0x7fff
	v_mul_f32_e32 v20, v28, v22
	v_or_b32_e32 v22, 0x400000, v21
	v_cmp_u_f32_e32 vcc_lo, v21, v21
	v_add3_u32 v15, v15, v3, 0x7fff
	v_add3_u32 v21, v25, v4, 0x7fff
	v_bfe_u32 v24, v20, 16, 1
	v_and_b32_e32 v2, 0xffff0000, v2
	v_cndmask_b32_e32 v16, v16, v22, vcc_lo
	v_cmp_u_f32_e32 vcc_lo, v3, v3
	v_or_b32_e32 v22, 0x400000, v4
	v_and_b32_e32 v8, 0xffff0000, v8
	v_add_f32_e32 v2, v2, v11
	v_and_b32_e32 v6, 0xffff0000, v16
	v_cndmask_b32_e32 v3, v15, v23, vcc_lo
	v_cmp_u_f32_e32 vcc_lo, v4, v4
	v_add3_u32 v15, v24, v20, 0x7fff
	v_or_b32_e32 v23, 0x400000, v20
	v_add_f32_e32 v1, v2, v1
	v_and_b32_e32 v3, 0xffff0000, v3
	v_cndmask_b32_e32 v4, v21, v22, vcc_lo
	v_cmp_u_f32_e32 vcc_lo, v20, v20
	v_add_f32_e32 v5, v7, v5
	v_add_f32_e32 v2, v3, v6
	v_and_b32_e32 v3, 0xffff0000, v4
	v_cndmask_b32_e32 v11, v15, v23, vcc_lo
	v_and_b32_e32 v15, 0xffff0000, v18
	v_add_f32_e32 v6, v12, v19
	v_add_f32_e32 v1, v2, v1
	v_and_b32_e32 v4, 0xffff0000, v11
	v_add_f32_e32 v7, v8, v15
	v_add_f32_e32 v6, v6, v10
	;; [unrolled: 1-line block ×12, first 2 shown]
.LBB131_41:                             ;   in Loop: Header=BB131_42 Depth=1
	s_or_b32 exec_lo, exec_lo, s24
	v_add_nc_u32_e32 v59, 4, v59
	v_add_co_u32 v37, s1, v37, 16
	v_add_co_ci_u32_e64 v38, null, 0, v38, s1
	v_cmp_le_i32_e32 vcc_lo, s16, v59
	v_add_nc_u32_e32 v42, 64, v42
	v_add_nc_u32_e32 v55, 0x100, v55
	s_or_b32 s22, vcc_lo, s22
	s_andn2_b32 exec_lo, exec_lo, s22
	s_cbranch_execz .LBB131_60
.LBB131_42:                             ; =>This Inner Loop Header: Depth=1
	v_mul_hi_u32 v1, v42, s21
	v_mul_lo_u32 v2, v1, s12
	v_add_nc_u32_e32 v3, 1, v1
	v_sub_nc_u32_e32 v2, v42, v2
	v_subrev_nc_u32_e32 v4, s12, v2
	v_cmp_le_u32_e32 vcc_lo, s12, v2
	v_cndmask_b32_e32 v1, v1, v3, vcc_lo
	v_cndmask_b32_e32 v2, v2, v4, vcc_lo
	v_add_nc_u32_e32 v3, 1, v1
	v_cmp_le_u32_e32 vcc_lo, s12, v2
	v_cndmask_b32_e32 v1, v1, v3, vcc_lo
	v_xor_b32_e32 v1, s19, v1
	v_subrev_nc_u32_e32 v1, s19, v1
	v_add_nc_u32_e32 v2, s31, v1
	v_cmp_lt_i32_e64 s1, s5, v1
	v_sub_nc_u32_e32 v3, 0, v2
	v_max_i32_e32 v3, v2, v3
	v_ashrrev_i32_e32 v2, 31, v2
	v_mul_hi_u32 v4, v3, v58
	v_mul_lo_u32 v4, v4, s17
	v_sub_nc_u32_e32 v3, v3, v4
	v_subrev_nc_u32_e32 v4, s17, v3
	v_cmp_le_u32_e32 vcc_lo, s17, v3
	v_cndmask_b32_e32 v3, v3, v4, vcc_lo
	v_subrev_nc_u32_e32 v4, s17, v3
	v_cmp_le_u32_e32 vcc_lo, s17, v3
	v_cndmask_b32_e32 v3, v3, v4, vcc_lo
	v_xor_b32_e32 v3, v3, v2
	v_sub_nc_u32_e32 v2, v3, v2
	v_cmp_eq_u32_e32 vcc_lo, 0, v2
	s_or_b32 s1, vcc_lo, s1
	s_and_saveexec_b32 s24, s1
	s_cbranch_execz .LBB131_41
; %bb.43:                               ;   in Loop: Header=BB131_42 Depth=1
	global_load_dword v1, v[37:38], off
	v_add_nc_u32_e32 v60, v53, v42
	v_cmp_eq_u32_e64 s1, s18, v59
	s_waitcnt vmcnt(0)
	v_mad_i64_i32 v[1:2], null, v1, s13, 0
	v_lshlrev_b64 v[1:2], 1, v[1:2]
	v_add_co_u32 v61, vcc_lo, s14, v1
	v_add_co_ci_u32_e64 v62, null, s15, v2, vcc_lo
	v_add_co_u32 v17, vcc_lo, v61, v56
	v_add_co_ci_u32_e64 v18, null, 0, v62, vcc_lo
	global_load_dwordx4 v[1:4], v[17:18], off
	ds_read2_b64 v[29:32], v55 offset1:1
	ds_read2_b64 v[25:28], v55 offset0:2 offset1:3
	s_and_saveexec_b32 s25, s1
	s_cbranch_execnz .LBB131_55
; %bb.44:                               ;   in Loop: Header=BB131_42 Depth=1
	s_or_b32 exec_lo, exec_lo, s25
	global_load_dwordx4 v[5:8], v[17:18], off offset:512
	s_and_saveexec_b32 s25, s1
	s_cbranch_execnz .LBB131_56
.LBB131_45:                             ;   in Loop: Header=BB131_42 Depth=1
	s_or_b32 exec_lo, exec_lo, s25
	global_load_dwordx4 v[9:12], v[17:18], off offset:1024
	s_and_saveexec_b32 s25, s1
	s_cbranch_execnz .LBB131_57
.LBB131_46:                             ;   in Loop: Header=BB131_42 Depth=1
	s_or_b32 exec_lo, exec_lo, s25
	global_load_dwordx4 v[13:16], v[17:18], off offset:1536
	s_and_saveexec_b32 s25, s1
	s_cbranch_execz .LBB131_48
.LBB131_47:                             ;   in Loop: Header=BB131_42 Depth=1
	v_add_nc_u32_e32 v19, 1, v60
	v_or_b32_e32 v20, 3, v60
	v_cmp_gt_i32_e32 vcc_lo, s30, v60
	v_or_b32_e32 v21, 2, v60
	v_or_b32_e32 v23, 7, v60
	v_cmp_gt_i32_e64 s2, s23, v20
	s_waitcnt vmcnt(0)
	v_cndmask_b32_e32 v22, 0, v13, vcc_lo
	v_cmp_gt_i32_e32 vcc_lo, s23, v19
	v_cmp_gt_i32_e64 s3, s30, v21
	v_or_b32_e32 v20, 5, v60
	v_or_b32_e32 v21, 4, v60
	v_cndmask_b32_sdwa v13, v54, v13, vcc_lo dst_sel:DWORD dst_unused:UNUSED_PAD src0_sel:DWORD src1_sel:WORD_1
	s_mov_b32 vcc_lo, s2
	v_cndmask_b32_e64 v19, 0, v14, s3
	v_cndmask_b32_sdwa v14, v54, v14, vcc_lo dst_sel:DWORD dst_unused:UNUSED_PAD src0_sel:DWORD src1_sel:WORD_1
	v_cmp_gt_i32_e32 vcc_lo, s23, v20
	v_cmp_gt_i32_e64 s2, s30, v21
	v_or_b32_e32 v21, 6, v60
	v_perm_b32 v13, v13, v22, 0x5040100
	v_perm_b32 v14, v14, v19, 0x5040100
	v_cndmask_b32_e64 v20, 0, v15, s2
	v_cmp_gt_i32_e64 s2, s23, v23
	v_cndmask_b32_sdwa v15, v54, v15, vcc_lo dst_sel:DWORD dst_unused:UNUSED_PAD src0_sel:DWORD src1_sel:WORD_1
	v_cmp_gt_i32_e32 vcc_lo, s30, v21
	v_perm_b32 v15, v15, v20, 0x5040100
	v_cndmask_b32_e32 v21, 0, v16, vcc_lo
	s_mov_b32 vcc_lo, s2
	v_cndmask_b32_sdwa v16, v54, v16, vcc_lo dst_sel:DWORD dst_unused:UNUSED_PAD src0_sel:DWORD src1_sel:WORD_1
	v_perm_b32 v16, v16, v21, 0x5040100
.LBB131_48:                             ;   in Loop: Header=BB131_42 Depth=1
	s_or_b32 exec_lo, exec_lo, s25
	v_add_co_u32 v33, vcc_lo, 0x800, v17
	v_add_co_ci_u32_e64 v34, null, 0, v18, vcc_lo
	global_load_dwordx4 v[17:20], v[33:34], off
	s_and_saveexec_b32 s25, s1
	s_cbranch_execnz .LBB131_58
; %bb.49:                               ;   in Loop: Header=BB131_42 Depth=1
	s_or_b32 exec_lo, exec_lo, s25
	global_load_dwordx4 v[21:24], v[33:34], off offset:512
	s_and_saveexec_b32 s25, s1
	s_cbranch_execnz .LBB131_59
.LBB131_50:                             ;   in Loop: Header=BB131_42 Depth=1
	s_or_b32 exec_lo, exec_lo, s25
	global_load_dwordx4 v[33:36], v[33:34], off offset:1024
	s_and_saveexec_b32 s25, s1
	s_cbranch_execz .LBB131_52
.LBB131_51:                             ;   in Loop: Header=BB131_42 Depth=1
	v_add_nc_u32_e32 v63, 1, v60
	v_or_b32_e32 v64, 3, v60
	v_cmp_gt_i32_e32 vcc_lo, s30, v60
	v_or_b32_e32 v65, 2, v60
	v_or_b32_e32 v67, 7, v60
	v_cmp_gt_i32_e64 s2, s23, v64
	s_waitcnt vmcnt(0)
	v_cndmask_b32_e32 v66, 0, v33, vcc_lo
	v_cmp_gt_i32_e32 vcc_lo, s23, v63
	v_cmp_gt_i32_e64 s3, s30, v65
	v_or_b32_e32 v64, 5, v60
	v_or_b32_e32 v65, 4, v60
	v_cndmask_b32_sdwa v33, v54, v33, vcc_lo dst_sel:DWORD dst_unused:UNUSED_PAD src0_sel:DWORD src1_sel:WORD_1
	s_mov_b32 vcc_lo, s2
	v_cndmask_b32_e64 v63, 0, v34, s3
	v_cndmask_b32_sdwa v34, v54, v34, vcc_lo dst_sel:DWORD dst_unused:UNUSED_PAD src0_sel:DWORD src1_sel:WORD_1
	v_cmp_gt_i32_e32 vcc_lo, s23, v64
	v_cmp_gt_i32_e64 s2, s30, v65
	v_or_b32_e32 v65, 6, v60
	v_perm_b32 v33, v33, v66, 0x5040100
	v_perm_b32 v34, v34, v63, 0x5040100
	v_cndmask_b32_e64 v64, 0, v35, s2
	v_cmp_gt_i32_e64 s2, s23, v67
	v_cndmask_b32_sdwa v35, v54, v35, vcc_lo dst_sel:DWORD dst_unused:UNUSED_PAD src0_sel:DWORD src1_sel:WORD_1
	v_cmp_gt_i32_e32 vcc_lo, s30, v65
	v_perm_b32 v35, v35, v64, 0x5040100
	v_cndmask_b32_e32 v65, 0, v36, vcc_lo
	s_mov_b32 vcc_lo, s2
	v_cndmask_b32_sdwa v36, v54, v36, vcc_lo dst_sel:DWORD dst_unused:UNUSED_PAD src0_sel:DWORD src1_sel:WORD_1
	v_perm_b32 v36, v36, v65, 0x5040100
.LBB131_52:                             ;   in Loop: Header=BB131_42 Depth=1
	s_or_b32 exec_lo, exec_lo, s25
	s_waitcnt lgkmcnt(1)
	v_bfe_u32 v63, v29, 16, 1
	v_bfe_u32 v64, v30, 16, 1
	v_or_b32_e32 v65, 0x400000, v29
	v_cmp_u_f32_e32 vcc_lo, v29, v29
	v_or_b32_e32 v66, 0x400000, v30
	v_add3_u32 v63, v63, v29, 0x7fff
	v_bfe_u32 v67, v31, 16, 1
	v_add3_u32 v64, v64, v30, 0x7fff
	v_bfe_u32 v68, v32, 16, 1
	v_cndmask_b32_e32 v29, v63, v65, vcc_lo
	v_cmp_u_f32_e32 vcc_lo, v30, v30
	v_add3_u32 v63, v67, v31, 0x7fff
	s_waitcnt lgkmcnt(0)
	v_bfe_u32 v65, v25, 16, 1
	v_or_b32_e32 v67, 0x400000, v32
	v_cndmask_b32_e32 v30, v64, v66, vcc_lo
	v_or_b32_e32 v64, 0x400000, v31
	v_cmp_u_f32_e32 vcc_lo, v31, v31
	v_add3_u32 v66, v68, v32, 0x7fff
	v_or_b32_e32 v68, 0x400000, v28
	v_perm_b32 v29, v30, v29, 0x7060302
	v_cndmask_b32_e32 v31, v63, v64, vcc_lo
	v_cmp_u_f32_e32 vcc_lo, v32, v32
	v_add3_u32 v63, v65, v25, 0x7fff
	v_or_b32_e32 v64, 0x400000, v25
	v_bfe_u32 v65, v26, 16, 1
	v_cndmask_b32_e32 v32, v66, v67, vcc_lo
	v_cmp_u_f32_e32 vcc_lo, v25, v25
	v_bfe_u32 v66, v27, 16, 1
	v_or_b32_e32 v67, 0x400000, v27
	v_cndmask_b32_e32 v25, v63, v64, vcc_lo
	v_add3_u32 v64, v65, v26, 0x7fff
	v_or_b32_e32 v65, 0x400000, v26
	v_cmp_u_f32_e32 vcc_lo, v26, v26
	v_bfe_u32 v63, v28, 16, 1
	v_add3_u32 v66, v66, v27, 0x7fff
	v_cndmask_b32_e32 v26, v64, v65, vcc_lo
	v_cmp_u_f32_e32 vcc_lo, v27, v27
	v_add3_u32 v63, v63, v28, 0x7fff
	v_perm_b32 v30, v26, v25, 0x7060302
	v_cndmask_b32_e32 v27, v66, v67, vcc_lo
	v_cmp_u_f32_e32 vcc_lo, v28, v28
	v_cndmask_b32_e32 v28, v63, v68, vcc_lo
	v_perm_b32 v63, v32, v31, 0x7060302
	v_perm_b32 v32, v28, v27, 0x7060302
	s_and_saveexec_b32 s3, s0
	s_cbranch_execz .LBB131_40
; %bb.53:                               ;   in Loop: Header=BB131_42 Depth=1
	v_add_co_u32 v25, vcc_lo, v61, v57
	v_add_co_ci_u32_e64 v26, null, 0, v62, vcc_lo
	global_load_dwordx4 v[25:28], v[25:26], off
	s_and_saveexec_b32 s25, s1
	s_cbranch_execz .LBB131_39
; %bb.54:                               ;   in Loop: Header=BB131_42 Depth=1
	v_add_nc_u32_e32 v31, 1, v60
	v_or_b32_e32 v61, 3, v60
	v_cmp_gt_i32_e32 vcc_lo, s30, v60
	v_or_b32_e32 v62, 2, v60
	v_or_b32_e32 v65, 7, v60
	v_cmp_gt_i32_e64 s1, s23, v61
	s_waitcnt vmcnt(0)
	v_cndmask_b32_e32 v64, 0, v25, vcc_lo
	v_cmp_gt_i32_e32 vcc_lo, s23, v31
	v_cmp_gt_i32_e64 s2, s30, v62
	v_or_b32_e32 v61, 5, v60
	v_or_b32_e32 v62, 4, v60
	;; [unrolled: 1-line block ×3, first 2 shown]
	v_cndmask_b32_sdwa v25, v54, v25, vcc_lo dst_sel:DWORD dst_unused:UNUSED_PAD src0_sel:DWORD src1_sel:WORD_1
	s_mov_b32 vcc_lo, s1
	v_cndmask_b32_e64 v31, 0, v26, s2
	v_cndmask_b32_sdwa v26, v54, v26, vcc_lo dst_sel:DWORD dst_unused:UNUSED_PAD src0_sel:DWORD src1_sel:WORD_1
	v_cmp_gt_i32_e32 vcc_lo, s23, v61
	v_cmp_gt_i32_e64 s1, s30, v62
	v_perm_b32 v25, v25, v64, 0x5040100
	v_perm_b32 v26, v26, v31, 0x5040100
	v_cndmask_b32_e64 v61, 0, v27, s1
	v_cmp_gt_i32_e64 s1, s23, v65
	v_cndmask_b32_sdwa v27, v54, v27, vcc_lo dst_sel:DWORD dst_unused:UNUSED_PAD src0_sel:DWORD src1_sel:WORD_1
	v_cmp_gt_i32_e32 vcc_lo, s30, v60
	v_perm_b32 v27, v27, v61, 0x5040100
	v_cndmask_b32_e32 v60, 0, v28, vcc_lo
	s_mov_b32 vcc_lo, s1
	v_cndmask_b32_sdwa v28, v54, v28, vcc_lo dst_sel:DWORD dst_unused:UNUSED_PAD src0_sel:DWORD src1_sel:WORD_1
	v_perm_b32 v28, v28, v60, 0x5040100
	s_branch .LBB131_39
.LBB131_55:                             ;   in Loop: Header=BB131_42 Depth=1
	v_add_nc_u32_e32 v5, 1, v60
	v_or_b32_e32 v6, 3, v60
	v_cmp_gt_i32_e32 vcc_lo, s30, v60
	v_or_b32_e32 v7, 2, v60
	v_or_b32_e32 v9, 7, v60
	v_cmp_gt_i32_e64 s2, s23, v6
	s_waitcnt vmcnt(0)
	v_cndmask_b32_e32 v8, 0, v1, vcc_lo
	v_cmp_gt_i32_e32 vcc_lo, s23, v5
	v_cmp_gt_i32_e64 s3, s30, v7
	v_or_b32_e32 v6, 5, v60
	v_or_b32_e32 v7, 4, v60
	v_cndmask_b32_sdwa v1, v54, v1, vcc_lo dst_sel:DWORD dst_unused:UNUSED_PAD src0_sel:DWORD src1_sel:WORD_1
	s_mov_b32 vcc_lo, s2
	v_cndmask_b32_e64 v5, 0, v2, s3
	v_cndmask_b32_sdwa v2, v54, v2, vcc_lo dst_sel:DWORD dst_unused:UNUSED_PAD src0_sel:DWORD src1_sel:WORD_1
	v_cmp_gt_i32_e32 vcc_lo, s23, v6
	v_cmp_gt_i32_e64 s2, s30, v7
	v_or_b32_e32 v7, 6, v60
	v_perm_b32 v1, v1, v8, 0x5040100
	v_perm_b32 v2, v2, v5, 0x5040100
	v_cndmask_b32_e64 v6, 0, v3, s2
	v_cmp_gt_i32_e64 s2, s23, v9
	v_cndmask_b32_sdwa v3, v54, v3, vcc_lo dst_sel:DWORD dst_unused:UNUSED_PAD src0_sel:DWORD src1_sel:WORD_1
	v_cmp_gt_i32_e32 vcc_lo, s30, v7
	v_perm_b32 v3, v3, v6, 0x5040100
	v_cndmask_b32_e32 v7, 0, v4, vcc_lo
	s_mov_b32 vcc_lo, s2
	v_cndmask_b32_sdwa v4, v54, v4, vcc_lo dst_sel:DWORD dst_unused:UNUSED_PAD src0_sel:DWORD src1_sel:WORD_1
	v_perm_b32 v4, v4, v7, 0x5040100
	s_or_b32 exec_lo, exec_lo, s25
	global_load_dwordx4 v[5:8], v[17:18], off offset:512
	s_and_saveexec_b32 s25, s1
	s_cbranch_execz .LBB131_45
.LBB131_56:                             ;   in Loop: Header=BB131_42 Depth=1
	v_add_nc_u32_e32 v9, 1, v60
	v_or_b32_e32 v10, 3, v60
	v_cmp_gt_i32_e32 vcc_lo, s30, v60
	v_or_b32_e32 v11, 2, v60
	v_or_b32_e32 v13, 7, v60
	v_cmp_gt_i32_e64 s2, s23, v10
	s_waitcnt vmcnt(0)
	v_cndmask_b32_e32 v12, 0, v5, vcc_lo
	v_cmp_gt_i32_e32 vcc_lo, s23, v9
	v_cmp_gt_i32_e64 s3, s30, v11
	v_or_b32_e32 v10, 5, v60
	v_or_b32_e32 v11, 4, v60
	v_cndmask_b32_sdwa v5, v54, v5, vcc_lo dst_sel:DWORD dst_unused:UNUSED_PAD src0_sel:DWORD src1_sel:WORD_1
	s_mov_b32 vcc_lo, s2
	v_cndmask_b32_e64 v9, 0, v6, s3
	v_cndmask_b32_sdwa v6, v54, v6, vcc_lo dst_sel:DWORD dst_unused:UNUSED_PAD src0_sel:DWORD src1_sel:WORD_1
	v_cmp_gt_i32_e32 vcc_lo, s23, v10
	v_cmp_gt_i32_e64 s2, s30, v11
	v_or_b32_e32 v11, 6, v60
	v_perm_b32 v5, v5, v12, 0x5040100
	v_perm_b32 v6, v6, v9, 0x5040100
	v_cndmask_b32_e64 v10, 0, v7, s2
	v_cmp_gt_i32_e64 s2, s23, v13
	v_cndmask_b32_sdwa v7, v54, v7, vcc_lo dst_sel:DWORD dst_unused:UNUSED_PAD src0_sel:DWORD src1_sel:WORD_1
	v_cmp_gt_i32_e32 vcc_lo, s30, v11
	v_perm_b32 v7, v7, v10, 0x5040100
	v_cndmask_b32_e32 v11, 0, v8, vcc_lo
	s_mov_b32 vcc_lo, s2
	v_cndmask_b32_sdwa v8, v54, v8, vcc_lo dst_sel:DWORD dst_unused:UNUSED_PAD src0_sel:DWORD src1_sel:WORD_1
	v_perm_b32 v8, v8, v11, 0x5040100
	s_or_b32 exec_lo, exec_lo, s25
	global_load_dwordx4 v[9:12], v[17:18], off offset:1024
	s_and_saveexec_b32 s25, s1
	s_cbranch_execz .LBB131_46
.LBB131_57:                             ;   in Loop: Header=BB131_42 Depth=1
	v_add_nc_u32_e32 v13, 1, v60
	v_or_b32_e32 v14, 3, v60
	v_cmp_gt_i32_e32 vcc_lo, s30, v60
	v_or_b32_e32 v15, 2, v60
	v_or_b32_e32 v19, 7, v60
	v_cmp_gt_i32_e64 s2, s23, v14
	s_waitcnt vmcnt(0)
	v_cndmask_b32_e32 v16, 0, v9, vcc_lo
	v_cmp_gt_i32_e32 vcc_lo, s23, v13
	v_cmp_gt_i32_e64 s3, s30, v15
	v_or_b32_e32 v14, 5, v60
	v_or_b32_e32 v15, 4, v60
	v_cndmask_b32_sdwa v9, v54, v9, vcc_lo dst_sel:DWORD dst_unused:UNUSED_PAD src0_sel:DWORD src1_sel:WORD_1
	s_mov_b32 vcc_lo, s2
	v_cndmask_b32_e64 v13, 0, v10, s3
	v_cndmask_b32_sdwa v10, v54, v10, vcc_lo dst_sel:DWORD dst_unused:UNUSED_PAD src0_sel:DWORD src1_sel:WORD_1
	v_cmp_gt_i32_e32 vcc_lo, s23, v14
	v_cmp_gt_i32_e64 s2, s30, v15
	v_or_b32_e32 v15, 6, v60
	v_perm_b32 v9, v9, v16, 0x5040100
	v_perm_b32 v10, v10, v13, 0x5040100
	v_cndmask_b32_e64 v14, 0, v11, s2
	v_cmp_gt_i32_e64 s2, s23, v19
	v_cndmask_b32_sdwa v11, v54, v11, vcc_lo dst_sel:DWORD dst_unused:UNUSED_PAD src0_sel:DWORD src1_sel:WORD_1
	v_cmp_gt_i32_e32 vcc_lo, s30, v15
	v_perm_b32 v11, v11, v14, 0x5040100
	v_cndmask_b32_e32 v15, 0, v12, vcc_lo
	s_mov_b32 vcc_lo, s2
	v_cndmask_b32_sdwa v12, v54, v12, vcc_lo dst_sel:DWORD dst_unused:UNUSED_PAD src0_sel:DWORD src1_sel:WORD_1
	v_perm_b32 v12, v12, v15, 0x5040100
	s_or_b32 exec_lo, exec_lo, s25
	global_load_dwordx4 v[13:16], v[17:18], off offset:1536
	s_and_saveexec_b32 s25, s1
	s_cbranch_execnz .LBB131_47
	s_branch .LBB131_48
.LBB131_58:                             ;   in Loop: Header=BB131_42 Depth=1
	v_add_nc_u32_e32 v21, 1, v60
	v_or_b32_e32 v22, 3, v60
	v_cmp_gt_i32_e32 vcc_lo, s30, v60
	v_or_b32_e32 v23, 2, v60
	v_or_b32_e32 v35, 7, v60
	v_cmp_gt_i32_e64 s2, s23, v22
	s_waitcnt vmcnt(0)
	v_cndmask_b32_e32 v24, 0, v17, vcc_lo
	v_cmp_gt_i32_e32 vcc_lo, s23, v21
	v_cmp_gt_i32_e64 s3, s30, v23
	v_or_b32_e32 v22, 5, v60
	v_or_b32_e32 v23, 4, v60
	v_cndmask_b32_sdwa v17, v54, v17, vcc_lo dst_sel:DWORD dst_unused:UNUSED_PAD src0_sel:DWORD src1_sel:WORD_1
	s_mov_b32 vcc_lo, s2
	v_cndmask_b32_e64 v21, 0, v18, s3
	v_cndmask_b32_sdwa v18, v54, v18, vcc_lo dst_sel:DWORD dst_unused:UNUSED_PAD src0_sel:DWORD src1_sel:WORD_1
	v_cmp_gt_i32_e32 vcc_lo, s23, v22
	v_cmp_gt_i32_e64 s2, s30, v23
	v_or_b32_e32 v23, 6, v60
	v_perm_b32 v17, v17, v24, 0x5040100
	v_perm_b32 v18, v18, v21, 0x5040100
	v_cndmask_b32_e64 v22, 0, v19, s2
	v_cmp_gt_i32_e64 s2, s23, v35
	v_cndmask_b32_sdwa v19, v54, v19, vcc_lo dst_sel:DWORD dst_unused:UNUSED_PAD src0_sel:DWORD src1_sel:WORD_1
	v_cmp_gt_i32_e32 vcc_lo, s30, v23
	v_perm_b32 v19, v19, v22, 0x5040100
	v_cndmask_b32_e32 v23, 0, v20, vcc_lo
	s_mov_b32 vcc_lo, s2
	v_cndmask_b32_sdwa v20, v54, v20, vcc_lo dst_sel:DWORD dst_unused:UNUSED_PAD src0_sel:DWORD src1_sel:WORD_1
	v_perm_b32 v20, v20, v23, 0x5040100
	s_or_b32 exec_lo, exec_lo, s25
	global_load_dwordx4 v[21:24], v[33:34], off offset:512
	s_and_saveexec_b32 s25, s1
	s_cbranch_execz .LBB131_50
.LBB131_59:                             ;   in Loop: Header=BB131_42 Depth=1
	v_add_nc_u32_e32 v35, 1, v60
	v_or_b32_e32 v36, 3, v60
	v_cmp_gt_i32_e32 vcc_lo, s30, v60
	v_or_b32_e32 v63, 2, v60
	v_or_b32_e32 v65, 7, v60
	v_cmp_gt_i32_e64 s2, s23, v36
	s_waitcnt vmcnt(0)
	v_cndmask_b32_e32 v64, 0, v21, vcc_lo
	v_cmp_gt_i32_e32 vcc_lo, s23, v35
	v_cmp_gt_i32_e64 s3, s30, v63
	v_or_b32_e32 v36, 5, v60
	v_or_b32_e32 v63, 4, v60
	v_cndmask_b32_sdwa v21, v54, v21, vcc_lo dst_sel:DWORD dst_unused:UNUSED_PAD src0_sel:DWORD src1_sel:WORD_1
	s_mov_b32 vcc_lo, s2
	v_cndmask_b32_e64 v35, 0, v22, s3
	v_cndmask_b32_sdwa v22, v54, v22, vcc_lo dst_sel:DWORD dst_unused:UNUSED_PAD src0_sel:DWORD src1_sel:WORD_1
	v_cmp_gt_i32_e32 vcc_lo, s23, v36
	v_cmp_gt_i32_e64 s2, s30, v63
	v_or_b32_e32 v63, 6, v60
	v_perm_b32 v21, v21, v64, 0x5040100
	v_perm_b32 v22, v22, v35, 0x5040100
	v_cndmask_b32_e64 v36, 0, v23, s2
	v_cmp_gt_i32_e64 s2, s23, v65
	v_cndmask_b32_sdwa v23, v54, v23, vcc_lo dst_sel:DWORD dst_unused:UNUSED_PAD src0_sel:DWORD src1_sel:WORD_1
	v_cmp_gt_i32_e32 vcc_lo, s30, v63
	v_perm_b32 v23, v23, v36, 0x5040100
	v_cndmask_b32_e32 v63, 0, v24, vcc_lo
	s_mov_b32 vcc_lo, s2
	v_cndmask_b32_sdwa v24, v54, v24, vcc_lo dst_sel:DWORD dst_unused:UNUSED_PAD src0_sel:DWORD src1_sel:WORD_1
	v_perm_b32 v24, v24, v63, 0x5040100
	s_or_b32 exec_lo, exec_lo, s25
	global_load_dwordx4 v[33:36], v[33:34], off offset:1024
	s_and_saveexec_b32 s25, s1
	s_cbranch_execnz .LBB131_51
	s_branch .LBB131_52
.LBB131_60:
	s_or_b32 exec_lo, exec_lo, s22
.LBB131_61:
	s_or_b32 exec_lo, exec_lo, s4
	ds_bpermute_b32 v1, v44, v52
	ds_bpermute_b32 v2, v44, v51
	;; [unrolled: 1-line block ×8, first 2 shown]
	s_movk_i32 s0, 0x1e0
	v_and_b32_e32 v14, 0x3c0, v0
	v_mad_u32_u24 v9, v41, s0, 0x110
	s_mov_b32 s1, exec_lo
	v_cmp_eq_u32_e32 vcc_lo, 0, v40
	s_waitcnt lgkmcnt(0)
	s_barrier
	buffer_gl0_inv
	v_add_f32_e32 v8, v52, v1
	v_add_f32_e32 v7, v51, v2
	;; [unrolled: 1-line block ×8, first 2 shown]
	v_cmpx_eq_u32_e32 64, v14
	s_cbranch_execz .LBB131_66
; %bb.62:
	v_add_nc_u32_e32 v10, 0xfffffc40, v9
	s_and_saveexec_b32 s0, vcc_lo
	s_cbranch_execz .LBB131_64
; %bb.63:
	v_lshl_add_u32 v11, v43, 2, v10
	ds_write2_b32 v11, v8, v7 offset1:16
	ds_write2_b32 v11, v6, v5 offset0:32 offset1:48
	ds_write2_b32 v11, v4, v3 offset0:64 offset1:80
	ds_write_b32 v11, v2 offset:384
.LBB131_64:
	s_or_b32 exec_lo, exec_lo, s0
	v_or_b32_e32 v11, 0x70, v43
	v_cmp_gt_u32_e64 s0, 0x78, v11
	s_and_b32 s0, vcc_lo, s0
	s_and_b32 exec_lo, exec_lo, s0
; %bb.65:
	v_lshl_add_u32 v10, v11, 2, v10
	ds_write_b32 v10, v1
.LBB131_66:
	s_or_b32 exec_lo, exec_lo, s1
	s_mov_b32 s1, exec_lo
	s_waitcnt lgkmcnt(0)
	s_barrier
	buffer_gl0_inv
	v_cmpx_gt_u32_e32 64, v0
	s_cbranch_execz .LBB131_78
; %bb.67:
	s_and_saveexec_b32 s0, vcc_lo
	s_cbranch_execnz .LBB131_113
; %bb.68:
	s_or_b32 exec_lo, exec_lo, s0
	s_and_saveexec_b32 s0, vcc_lo
	s_cbranch_execnz .LBB131_114
.LBB131_69:
	s_or_b32 exec_lo, exec_lo, s0
	s_and_saveexec_b32 s0, vcc_lo
	s_cbranch_execnz .LBB131_115
.LBB131_70:
	s_or_b32 exec_lo, exec_lo, s0
	s_and_saveexec_b32 s0, vcc_lo
	s_cbranch_execnz .LBB131_116
.LBB131_71:
	s_or_b32 exec_lo, exec_lo, s0
	s_and_saveexec_b32 s0, vcc_lo
	s_cbranch_execnz .LBB131_117
.LBB131_72:
	s_or_b32 exec_lo, exec_lo, s0
	s_and_saveexec_b32 s0, vcc_lo
	s_cbranch_execnz .LBB131_118
.LBB131_73:
	s_or_b32 exec_lo, exec_lo, s0
	s_and_saveexec_b32 s0, vcc_lo
	s_cbranch_execz .LBB131_75
.LBB131_74:
	v_lshl_add_u32 v10, v43, 2, v9
	ds_read_b32 v10, v10 offset:384
	s_waitcnt lgkmcnt(0)
	v_add_f32_e32 v2, v2, v10
.LBB131_75:
	s_or_b32 exec_lo, exec_lo, s0
	v_or_b32_e32 v10, 0x70, v43
	v_cmp_gt_u32_e64 s0, 0x78, v10
	s_and_b32 s2, vcc_lo, s0
	s_and_saveexec_b32 s0, s2
	s_cbranch_execz .LBB131_77
; %bb.76:
	v_lshl_add_u32 v10, v43, 2, v9
	ds_read_b32 v10, v10 offset:448
	s_waitcnt lgkmcnt(0)
	v_add_f32_e32 v1, v1, v10
.LBB131_77:
	s_or_b32 exec_lo, exec_lo, s0
.LBB131_78:
	s_or_b32 exec_lo, exec_lo, s1
	v_and_b32_e32 v10, 0x3e0, v0
	s_mov_b32 s1, exec_lo
	s_barrier
	buffer_gl0_inv
	v_cmpx_eq_u32_e32 32, v10
	s_cbranch_execz .LBB131_83
; %bb.79:
	v_lshl_add_u32 v10, v43, 2, 0x110
	s_and_saveexec_b32 s0, vcc_lo
	s_cbranch_execz .LBB131_81
; %bb.80:
	ds_write2_b32 v10, v8, v7 offset1:16
	ds_write2_b32 v10, v6, v5 offset0:32 offset1:48
	ds_write2_b32 v10, v4, v3 offset0:64 offset1:80
	ds_write_b32 v10, v2 offset:384
.LBB131_81:
	s_or_b32 exec_lo, exec_lo, s0
	v_or_b32_e32 v11, 0x70, v43
	v_cmp_gt_u32_e64 s0, 0x78, v11
	s_and_b32 s0, vcc_lo, s0
	s_and_b32 exec_lo, exec_lo, s0
; %bb.82:
	ds_write_b32 v10, v1 offset:448
.LBB131_83:
	s_or_b32 exec_lo, exec_lo, s1
	v_cmp_gt_u32_e64 s0, 32, v0
	s_waitcnt lgkmcnt(0)
	s_barrier
	buffer_gl0_inv
	s_and_saveexec_b32 s2, s0
	s_cbranch_execz .LBB131_95
; %bb.84:
	v_lshl_add_u32 v0, v43, 2, v9
	s_and_saveexec_b32 s1, vcc_lo
	s_cbranch_execnz .LBB131_119
; %bb.85:
	s_or_b32 exec_lo, exec_lo, s1
	s_and_saveexec_b32 s1, vcc_lo
	s_cbranch_execnz .LBB131_120
.LBB131_86:
	s_or_b32 exec_lo, exec_lo, s1
	s_and_saveexec_b32 s1, vcc_lo
	s_cbranch_execnz .LBB131_121
.LBB131_87:
	s_or_b32 exec_lo, exec_lo, s1
	s_and_saveexec_b32 s1, vcc_lo
	s_cbranch_execnz .LBB131_122
.LBB131_88:
	s_or_b32 exec_lo, exec_lo, s1
	s_and_saveexec_b32 s1, vcc_lo
	s_cbranch_execnz .LBB131_123
.LBB131_89:
	s_or_b32 exec_lo, exec_lo, s1
	s_and_saveexec_b32 s1, vcc_lo
	s_cbranch_execnz .LBB131_124
.LBB131_90:
	s_or_b32 exec_lo, exec_lo, s1
	s_and_saveexec_b32 s1, vcc_lo
	s_cbranch_execz .LBB131_92
.LBB131_91:
	ds_read_b32 v9, v0 offset:384
	s_waitcnt lgkmcnt(0)
	v_add_f32_e32 v2, v2, v9
.LBB131_92:
	s_or_b32 exec_lo, exec_lo, s1
	v_or_b32_e32 v9, 0x70, v43
	v_cmp_gt_u32_e64 s1, 0x78, v9
	s_and_b32 s3, vcc_lo, s1
	s_and_saveexec_b32 s1, s3
	s_cbranch_execz .LBB131_94
; %bb.93:
	ds_read_b32 v0, v0 offset:448
	s_waitcnt lgkmcnt(0)
	v_add_f32_e32 v1, v1, v0
.LBB131_94:
	s_or_b32 exec_lo, exec_lo, s1
.LBB131_95:
	s_or_b32 exec_lo, exec_lo, s2
	s_barrier
	buffer_gl0_inv
	s_and_saveexec_b32 s1, s0
	s_cbranch_execz .LBB131_112
; %bb.96:
	s_mul_i32 s0, s10, s11
	s_mul_i32 s2, s11, s20
	;; [unrolled: 1-line block ×3, first 2 shown]
	v_lshlrev_b32_e32 v0, 1, v39
	s_mulk_i32 s0, 0x78
	s_ashr_i32 s1, s0, 31
	s_lshl_b64 s[0:1], s[0:1], 1
	s_add_u32 s4, s6, s0
	s_addc_u32 s5, s7, s1
	s_ashr_i32 s3, s2, 31
	s_lshl_b64 s[0:1], s[2:3], 1
	s_mul_i32 s2, s8, 0x78
	s_add_u32 s4, s4, s0
	s_addc_u32 s5, s5, s1
	s_ashr_i32 s3, s2, 31
	s_lshl_b64 s[0:1], s[2:3], 1
	s_add_u32 s2, s4, s0
	s_addc_u32 s3, s5, s1
	s_and_saveexec_b32 s1, vcc_lo
	s_cbranch_execz .LBB131_98
; %bb.97:
	v_bfe_u32 v9, v8, 16, 1
	v_or_b32_e32 v10, 0x400000, v8
	v_cmp_u_f32_e64 s0, v8, v8
	v_add3_u32 v9, v9, v8, 0x7fff
	v_cndmask_b32_e64 v8, v9, v10, s0
	global_store_short_d16_hi v0, v8, s[2:3]
.LBB131_98:
	s_or_b32 exec_lo, exec_lo, s1
	v_or_b32_e32 v8, 16, v39
	v_cmp_gt_u32_e64 s0, 0x78, v8
	s_and_b32 s0, vcc_lo, s0
	s_and_saveexec_b32 s1, s0
	s_cbranch_execz .LBB131_100
; %bb.99:
	v_bfe_u32 v8, v7, 16, 1
	v_or_b32_e32 v9, 0x400000, v7
	v_cmp_u_f32_e64 s0, v7, v7
	v_add3_u32 v8, v8, v7, 0x7fff
	v_cndmask_b32_e64 v7, v8, v9, s0
	global_store_short_d16_hi v0, v7, s[2:3] offset:32
.LBB131_100:
	s_or_b32 exec_lo, exec_lo, s1
	v_or_b32_e32 v7, 32, v39
	v_cmp_gt_u32_e64 s0, 0x78, v7
	s_and_b32 s0, vcc_lo, s0
	s_and_saveexec_b32 s1, s0
	s_cbranch_execz .LBB131_102
; %bb.101:
	v_bfe_u32 v7, v6, 16, 1
	v_or_b32_e32 v8, 0x400000, v6
	v_cmp_u_f32_e64 s0, v6, v6
	v_add3_u32 v7, v7, v6, 0x7fff
	v_cndmask_b32_e64 v6, v7, v8, s0
	global_store_short_d16_hi v0, v6, s[2:3] offset:64
.LBB131_102:
	;; [unrolled: 14-line block ×6, first 2 shown]
	s_or_b32 exec_lo, exec_lo, s1
	v_or_b32_e32 v2, 0x70, v39
	v_cmp_gt_u32_e64 s0, 0x78, v2
	s_and_b32 s0, vcc_lo, s0
	s_and_b32 exec_lo, exec_lo, s0
	s_cbranch_execz .LBB131_112
; %bb.111:
	v_bfe_u32 v2, v1, 16, 1
	v_or_b32_e32 v3, 0x400000, v1
	v_cmp_u_f32_e32 vcc_lo, v1, v1
	v_add3_u32 v2, v2, v1, 0x7fff
	v_cndmask_b32_e32 v1, v2, v3, vcc_lo
	global_store_short_d16_hi v0, v1, s[2:3] offset:224
.LBB131_112:
	s_endpgm
.LBB131_113:
	v_lshl_add_u32 v10, v43, 2, v9
	ds_read_b32 v10, v10
	s_waitcnt lgkmcnt(0)
	v_add_f32_e32 v8, v8, v10
	s_or_b32 exec_lo, exec_lo, s0
	s_and_saveexec_b32 s0, vcc_lo
	s_cbranch_execz .LBB131_69
.LBB131_114:
	v_lshl_add_u32 v10, v43, 2, v9
	ds_read_b32 v10, v10 offset:64
	s_waitcnt lgkmcnt(0)
	v_add_f32_e32 v7, v7, v10
	s_or_b32 exec_lo, exec_lo, s0
	s_and_saveexec_b32 s0, vcc_lo
	s_cbranch_execz .LBB131_70
.LBB131_115:
	v_lshl_add_u32 v10, v43, 2, v9
	ds_read_b32 v10, v10 offset:128
	s_waitcnt lgkmcnt(0)
	v_add_f32_e32 v6, v6, v10
	s_or_b32 exec_lo, exec_lo, s0
	s_and_saveexec_b32 s0, vcc_lo
	s_cbranch_execz .LBB131_71
.LBB131_116:
	v_lshl_add_u32 v10, v43, 2, v9
	ds_read_b32 v10, v10 offset:192
	s_waitcnt lgkmcnt(0)
	v_add_f32_e32 v5, v5, v10
	s_or_b32 exec_lo, exec_lo, s0
	s_and_saveexec_b32 s0, vcc_lo
	s_cbranch_execz .LBB131_72
.LBB131_117:
	v_lshl_add_u32 v10, v43, 2, v9
	ds_read_b32 v10, v10 offset:256
	s_waitcnt lgkmcnt(0)
	v_add_f32_e32 v4, v4, v10
	s_or_b32 exec_lo, exec_lo, s0
	s_and_saveexec_b32 s0, vcc_lo
	s_cbranch_execz .LBB131_73
.LBB131_118:
	v_lshl_add_u32 v10, v43, 2, v9
	ds_read_b32 v10, v10 offset:320
	s_waitcnt lgkmcnt(0)
	v_add_f32_e32 v3, v3, v10
	s_or_b32 exec_lo, exec_lo, s0
	s_and_saveexec_b32 s0, vcc_lo
	s_cbranch_execnz .LBB131_74
	s_branch .LBB131_75
.LBB131_119:
	ds_read_b32 v9, v0
	s_waitcnt lgkmcnt(0)
	v_add_f32_e32 v8, v8, v9
	s_or_b32 exec_lo, exec_lo, s1
	s_and_saveexec_b32 s1, vcc_lo
	s_cbranch_execz .LBB131_86
.LBB131_120:
	ds_read_b32 v9, v0 offset:64
	s_waitcnt lgkmcnt(0)
	v_add_f32_e32 v7, v7, v9
	s_or_b32 exec_lo, exec_lo, s1
	s_and_saveexec_b32 s1, vcc_lo
	s_cbranch_execz .LBB131_87
.LBB131_121:
	ds_read_b32 v9, v0 offset:128
	s_waitcnt lgkmcnt(0)
	v_add_f32_e32 v6, v6, v9
	s_or_b32 exec_lo, exec_lo, s1
	s_and_saveexec_b32 s1, vcc_lo
	s_cbranch_execz .LBB131_88
.LBB131_122:
	ds_read_b32 v9, v0 offset:192
	s_waitcnt lgkmcnt(0)
	v_add_f32_e32 v5, v5, v9
	s_or_b32 exec_lo, exec_lo, s1
	s_and_saveexec_b32 s1, vcc_lo
	s_cbranch_execz .LBB131_89
.LBB131_123:
	ds_read_b32 v9, v0 offset:256
	s_waitcnt lgkmcnt(0)
	v_add_f32_e32 v4, v4, v9
	s_or_b32 exec_lo, exec_lo, s1
	s_and_saveexec_b32 s1, vcc_lo
	s_cbranch_execz .LBB131_90
.LBB131_124:
	ds_read_b32 v9, v0 offset:320
	s_waitcnt lgkmcnt(0)
	v_add_f32_e32 v3, v3, v9
	s_or_b32 exec_lo, exec_lo, s1
	s_and_saveexec_b32 s1, vcc_lo
	s_cbranch_execnz .LBB131_91
	s_branch .LBB131_92
	.section	.rodata,"a",@progbits
	.p2align	6, 0x0
	.amdhsa_kernel _ZN4vllm25paged_attention_v1_kernelI14__hip_bfloat16S1_Li120ELi16ELi128ELNS_18Fp8KVCacheDataTypeE0ELb1EEEvPT_PKS3_PKT0_S9_ifPKiSB_iPKfiiiSD_SD_iiiii
		.amdhsa_group_segment_fixed_size 272
		.amdhsa_private_segment_fixed_size 0
		.amdhsa_kernarg_size 384
		.amdhsa_user_sgpr_count 6
		.amdhsa_user_sgpr_private_segment_buffer 1
		.amdhsa_user_sgpr_dispatch_ptr 0
		.amdhsa_user_sgpr_queue_ptr 0
		.amdhsa_user_sgpr_kernarg_segment_ptr 1
		.amdhsa_user_sgpr_dispatch_id 0
		.amdhsa_user_sgpr_flat_scratch_init 0
		.amdhsa_user_sgpr_private_segment_size 0
		.amdhsa_wavefront_size32 1
		.amdhsa_uses_dynamic_stack 0
		.amdhsa_system_sgpr_private_segment_wavefront_offset 0
		.amdhsa_system_sgpr_workgroup_id_x 1
		.amdhsa_system_sgpr_workgroup_id_y 1
		.amdhsa_system_sgpr_workgroup_id_z 1
		.amdhsa_system_sgpr_workgroup_info 0
		.amdhsa_system_vgpr_workitem_id 0
		.amdhsa_next_free_vgpr 111
		.amdhsa_next_free_sgpr 38
		.amdhsa_reserve_vcc 1
		.amdhsa_reserve_flat_scratch 0
		.amdhsa_float_round_mode_32 0
		.amdhsa_float_round_mode_16_64 0
		.amdhsa_float_denorm_mode_32 3
		.amdhsa_float_denorm_mode_16_64 3
		.amdhsa_dx10_clamp 1
		.amdhsa_ieee_mode 1
		.amdhsa_fp16_overflow 0
		.amdhsa_workgroup_processor_mode 1
		.amdhsa_memory_ordered 1
		.amdhsa_forward_progress 1
		.amdhsa_shared_vgpr_count 0
		.amdhsa_exception_fp_ieee_invalid_op 0
		.amdhsa_exception_fp_denorm_src 0
		.amdhsa_exception_fp_ieee_div_zero 0
		.amdhsa_exception_fp_ieee_overflow 0
		.amdhsa_exception_fp_ieee_underflow 0
		.amdhsa_exception_fp_ieee_inexact 0
		.amdhsa_exception_int_div_zero 0
	.end_amdhsa_kernel
	.section	.text._ZN4vllm25paged_attention_v1_kernelI14__hip_bfloat16S1_Li120ELi16ELi128ELNS_18Fp8KVCacheDataTypeE0ELb1EEEvPT_PKS3_PKT0_S9_ifPKiSB_iPKfiiiSD_SD_iiiii,"axG",@progbits,_ZN4vllm25paged_attention_v1_kernelI14__hip_bfloat16S1_Li120ELi16ELi128ELNS_18Fp8KVCacheDataTypeE0ELb1EEEvPT_PKS3_PKT0_S9_ifPKiSB_iPKfiiiSD_SD_iiiii,comdat
.Lfunc_end131:
	.size	_ZN4vllm25paged_attention_v1_kernelI14__hip_bfloat16S1_Li120ELi16ELi128ELNS_18Fp8KVCacheDataTypeE0ELb1EEEvPT_PKS3_PKT0_S9_ifPKiSB_iPKfiiiSD_SD_iiiii, .Lfunc_end131-_ZN4vllm25paged_attention_v1_kernelI14__hip_bfloat16S1_Li120ELi16ELi128ELNS_18Fp8KVCacheDataTypeE0ELb1EEEvPT_PKS3_PKT0_S9_ifPKiSB_iPKfiiiSD_SD_iiiii
                                        ; -- End function
	.set _ZN4vllm25paged_attention_v1_kernelI14__hip_bfloat16S1_Li120ELi16ELi128ELNS_18Fp8KVCacheDataTypeE0ELb1EEEvPT_PKS3_PKT0_S9_ifPKiSB_iPKfiiiSD_SD_iiiii.num_vgpr, 111
	.set _ZN4vllm25paged_attention_v1_kernelI14__hip_bfloat16S1_Li120ELi16ELi128ELNS_18Fp8KVCacheDataTypeE0ELb1EEEvPT_PKS3_PKT0_S9_ifPKiSB_iPKfiiiSD_SD_iiiii.num_agpr, 0
	.set _ZN4vllm25paged_attention_v1_kernelI14__hip_bfloat16S1_Li120ELi16ELi128ELNS_18Fp8KVCacheDataTypeE0ELb1EEEvPT_PKS3_PKT0_S9_ifPKiSB_iPKfiiiSD_SD_iiiii.numbered_sgpr, 38
	.set _ZN4vllm25paged_attention_v1_kernelI14__hip_bfloat16S1_Li120ELi16ELi128ELNS_18Fp8KVCacheDataTypeE0ELb1EEEvPT_PKS3_PKT0_S9_ifPKiSB_iPKfiiiSD_SD_iiiii.num_named_barrier, 0
	.set _ZN4vllm25paged_attention_v1_kernelI14__hip_bfloat16S1_Li120ELi16ELi128ELNS_18Fp8KVCacheDataTypeE0ELb1EEEvPT_PKS3_PKT0_S9_ifPKiSB_iPKfiiiSD_SD_iiiii.private_seg_size, 0
	.set _ZN4vllm25paged_attention_v1_kernelI14__hip_bfloat16S1_Li120ELi16ELi128ELNS_18Fp8KVCacheDataTypeE0ELb1EEEvPT_PKS3_PKT0_S9_ifPKiSB_iPKfiiiSD_SD_iiiii.uses_vcc, 1
	.set _ZN4vllm25paged_attention_v1_kernelI14__hip_bfloat16S1_Li120ELi16ELi128ELNS_18Fp8KVCacheDataTypeE0ELb1EEEvPT_PKS3_PKT0_S9_ifPKiSB_iPKfiiiSD_SD_iiiii.uses_flat_scratch, 0
	.set _ZN4vllm25paged_attention_v1_kernelI14__hip_bfloat16S1_Li120ELi16ELi128ELNS_18Fp8KVCacheDataTypeE0ELb1EEEvPT_PKS3_PKT0_S9_ifPKiSB_iPKfiiiSD_SD_iiiii.has_dyn_sized_stack, 0
	.set _ZN4vllm25paged_attention_v1_kernelI14__hip_bfloat16S1_Li120ELi16ELi128ELNS_18Fp8KVCacheDataTypeE0ELb1EEEvPT_PKS3_PKT0_S9_ifPKiSB_iPKfiiiSD_SD_iiiii.has_recursion, 0
	.set _ZN4vllm25paged_attention_v1_kernelI14__hip_bfloat16S1_Li120ELi16ELi128ELNS_18Fp8KVCacheDataTypeE0ELb1EEEvPT_PKS3_PKT0_S9_ifPKiSB_iPKfiiiSD_SD_iiiii.has_indirect_call, 0
	.section	.AMDGPU.csdata,"",@progbits
; Kernel info:
; codeLenInByte = 12168
; TotalNumSgprs: 40
; NumVgprs: 111
; ScratchSize: 0
; MemoryBound: 0
; FloatMode: 240
; IeeeMode: 1
; LDSByteSize: 272 bytes/workgroup (compile time only)
; SGPRBlocks: 0
; VGPRBlocks: 13
; NumSGPRsForWavesPerEU: 40
; NumVGPRsForWavesPerEU: 111
; Occupancy: 9
; WaveLimiterHint : 1
; COMPUTE_PGM_RSRC2:SCRATCH_EN: 0
; COMPUTE_PGM_RSRC2:USER_SGPR: 6
; COMPUTE_PGM_RSRC2:TRAP_HANDLER: 0
; COMPUTE_PGM_RSRC2:TGID_X_EN: 1
; COMPUTE_PGM_RSRC2:TGID_Y_EN: 1
; COMPUTE_PGM_RSRC2:TGID_Z_EN: 1
; COMPUTE_PGM_RSRC2:TIDIG_COMP_CNT: 0
	.section	.text._ZN4vllm25paged_attention_v1_kernelI14__hip_bfloat16S1_Li128ELi16ELi128ELNS_18Fp8KVCacheDataTypeE0ELb1EEEvPT_PKS3_PKT0_S9_ifPKiSB_iPKfiiiSD_SD_iiiii,"axG",@progbits,_ZN4vllm25paged_attention_v1_kernelI14__hip_bfloat16S1_Li128ELi16ELi128ELNS_18Fp8KVCacheDataTypeE0ELb1EEEvPT_PKS3_PKT0_S9_ifPKiSB_iPKfiiiSD_SD_iiiii,comdat
	.protected	_ZN4vllm25paged_attention_v1_kernelI14__hip_bfloat16S1_Li128ELi16ELi128ELNS_18Fp8KVCacheDataTypeE0ELb1EEEvPT_PKS3_PKT0_S9_ifPKiSB_iPKfiiiSD_SD_iiiii ; -- Begin function _ZN4vllm25paged_attention_v1_kernelI14__hip_bfloat16S1_Li128ELi16ELi128ELNS_18Fp8KVCacheDataTypeE0ELb1EEEvPT_PKS3_PKT0_S9_ifPKiSB_iPKfiiiSD_SD_iiiii
	.globl	_ZN4vllm25paged_attention_v1_kernelI14__hip_bfloat16S1_Li128ELi16ELi128ELNS_18Fp8KVCacheDataTypeE0ELb1EEEvPT_PKS3_PKT0_S9_ifPKiSB_iPKfiiiSD_SD_iiiii
	.p2align	8
	.type	_ZN4vllm25paged_attention_v1_kernelI14__hip_bfloat16S1_Li128ELi16ELi128ELNS_18Fp8KVCacheDataTypeE0ELb1EEEvPT_PKS3_PKT0_S9_ifPKiSB_iPKfiiiSD_SD_iiiii,@function
_ZN4vllm25paged_attention_v1_kernelI14__hip_bfloat16S1_Li128ELi16ELi128ELNS_18Fp8KVCacheDataTypeE0ELb1EEEvPT_PKS3_PKT0_S9_ifPKiSB_iPKfiiiSD_SD_iiiii: ; @_ZN4vllm25paged_attention_v1_kernelI14__hip_bfloat16S1_Li128ELi16ELi128ELNS_18Fp8KVCacheDataTypeE0ELb1EEEvPT_PKS3_PKT0_S9_ifPKiSB_iPKfiiiSD_SD_iiiii
; %bb.0:
	s_clause 0x2
	s_load_dword s9, s[4:5], 0x80
	s_load_dwordx2 s[0:1], s[4:5], 0x30
	s_load_dwordx2 s[28:29], s[4:5], 0x20
	s_mov_b32 s10, s7
	s_ashr_i32 s11, s7, 31
	s_mov_b32 s33, 0
	s_lshl_b64 s[2:3], s[10:11], 2
	s_waitcnt lgkmcnt(0)
	s_add_u32 s0, s0, s2
	s_addc_u32 s1, s1, s3
	s_abs_i32 s2, s28
	s_abs_i32 s11, s9
	v_cvt_f32_u32_e32 v1, s2
	s_sub_i32 s7, 0, s2
	v_rcp_iflag_f32_e32 v1, v1
	v_mul_f32_e32 v1, 0x4f7ffffe, v1
	v_cvt_u32_f32_e32 v1, v1
	v_readfirstlane_b32 s3, v1
	s_mul_i32 s7, s7, s3
	s_mul_hi_u32 s7, s3, s7
	s_add_i32 s3, s3, s7
	s_xor_b32 s7, s9, s28
	s_mul_hi_u32 s3, s11, s3
	s_ashr_i32 s7, s7, 31
	s_mul_i32 s12, s3, s2
	s_sub_i32 s11, s11, s12
	s_add_i32 s12, s3, 1
	s_sub_i32 s13, s11, s2
	s_cmp_ge_u32 s11, s2
	s_cselect_b32 s3, s12, s3
	s_cselect_b32 s11, s13, s11
	s_add_i32 s12, s3, 1
	s_cmp_ge_u32 s11, s2
	s_cselect_b32 s2, s12, s3
	s_abs_i32 s22, s6
	s_xor_b32 s2, s2, s7
	s_sub_i32 s16, s2, s7
	s_load_dwordx2 s[2:3], s[4:5], 0x40
	s_abs_i32 s11, s16
	v_cvt_f32_u32_e32 v1, s11
	s_sub_i32 s12, 0, s11
	v_rcp_iflag_f32_e32 v1, v1
	v_mul_f32_e32 v1, 0x4f7ffffe, v1
	v_cvt_u32_f32_e32 v1, v1
	v_readfirstlane_b32 s7, v1
	s_mul_i32 s12, s12, s7
	s_mul_hi_u32 s12, s7, s12
	s_add_i32 s7, s7, s12
	s_waitcnt lgkmcnt(0)
	s_cmp_eq_u64 s[2:3], 0
	s_mul_hi_u32 s23, s22, s7
	s_cbranch_scc1 .LBB132_2
; %bb.1:
	s_ashr_i32 s7, s6, 31
	s_lshl_b64 s[12:13], s[6:7], 2
	s_add_u32 s2, s2, s12
	s_addc_u32 s3, s3, s13
	s_load_dword s33, s[2:3], 0x0
.LBB132_2:
	s_load_dword s30, s[0:1], 0x0
	s_load_dwordx4 s[12:15], s[4:5], 0x48
	v_lshrrev_b32_e32 v43, 1, v0
	v_and_b32_e32 v44, 1, v0
	v_cmp_gt_u32_e64 s0, 32, v0
	v_lshlrev_b32_e32 v7, 3, v0
	s_ashr_i32 s1, s6, 31
	s_ashr_i32 s2, s16, 31
	s_lshl_b32 s20, s6, 7
	s_and_saveexec_b32 s3, s0
	s_cbranch_execz .LBB132_4
; %bb.3:
	s_load_dwordx2 s[16:17], s[4:5], 0x8
	s_waitcnt lgkmcnt(0)
	s_mul_i32 s18, s12, s10
	v_lshlrev_b32_e32 v3, 3, v43
	s_ashr_i32 s19, s18, 31
	s_lshl_b64 s[18:19], s[18:19], 1
	v_lshl_add_u32 v3, v44, 7, v3
	s_add_u32 s7, s16, s18
	s_addc_u32 s12, s17, s19
	s_ashr_i32 s21, s20, 31
	s_lshl_b64 s[16:17], s[20:21], 1
	s_add_u32 s16, s7, s16
	s_addc_u32 s17, s12, s17
	global_load_dwordx2 v[1:2], v7, s[16:17]
	s_waitcnt vmcnt(0)
	ds_write_b64 v3, v[1:2]
.LBB132_4:
	s_or_b32 exec_lo, exec_lo, s3
	s_load_dwordx4 s[16:19], s[4:5], 0x68
	s_mul_i32 s3, s23, s11
	s_xor_b32 s2, s1, s2
	s_sub_i32 s1, s22, s3
	s_add_i32 s3, s23, 1
	s_sub_i32 s7, s1, s11
	s_cmp_ge_u32 s1, s11
	s_waitcnt lgkmcnt(0)
	s_mov_b32 s15, -1
	s_cselect_b32 s3, s3, s23
	s_cselect_b32 s1, s7, s1
	s_add_i32 s7, s3, 1
	s_cmp_ge_u32 s1, s11
	s_load_dword s1, s[4:5], 0x78
	s_cselect_b32 s3, s7, s3
	s_add_i32 s11, s30, -1
	s_xor_b32 s3, s3, s2
	s_abs_i32 s7, s11
	s_sub_i32 s2, s3, s2
	s_waitcnt lgkmcnt(0)
	s_barrier
	s_abs_i32 s12, s19
	buffer_gl0_inv
	v_cvt_f32_u32_e32 v1, s12
	s_sub_i32 s3, 0, s12
                                        ; implicit-def: $sgpr31
	v_rcp_iflag_f32_e32 v1, v1
	v_mul_f32_e32 v1, 0x4f7ffffe, v1
	v_cvt_u32_f32_e32 v1, v1
	v_readfirstlane_b32 s21, v1
	s_mul_i32 s3, s3, s21
	s_mul_hi_u32 s3, s21, s3
	s_add_i32 s21, s21, s3
	s_cmp_lt_i32 s1, 0
	s_mul_hi_u32 s3, s7, s21
	s_cbranch_scc0 .LBB132_6
; %bb.5:
	s_mul_i32 s15, s16, s28
	s_add_i32 s15, s2, s15
	s_mul_i32 s15, s15, s1
	s_sub_i32 s31, 1, s15
	s_mov_b32 s15, 0
.LBB132_6:
	s_load_dwordx2 s[22:23], s[4:5], 0x28
	s_ashr_i32 s11, s11, 31
	s_andn2_b32 vcc_lo, exec_lo, s15
	s_ashr_i32 s19, s19, 31
	s_cbranch_vccnz .LBB132_8
; %bb.7:
	s_mul_i32 s15, s9, s16
	s_add_i32 s6, s15, s6
	s_mul_i32 s1, s6, s1
	s_add_i32 s31, s1, 1
.LBB132_8:
	s_load_dword s1, s[4:5], 0x38
	s_mul_i32 s6, s3, s12
	s_xor_b32 s15, s11, s19
	s_sub_i32 s28, s7, s6
	s_add_i32 s16, s3, 1
	s_clause 0x2
	s_load_dwordx2 s[6:7], s[4:5], 0x0
	s_load_dwordx2 s[26:27], s[4:5], 0x18
	s_load_dword s11, s[4:5], 0x88
	v_lshrrev_b32_e32 v45, 5, v0
	v_mov_b32_e32 v10, 0xff7fffff
	v_lshrrev_b32_e32 v8, 3, v0
	v_mbcnt_lo_u32_b32 v9, -1, 0
	s_mul_i32 s14, s2, s14
	v_lshlrev_b32_e32 v46, 4, v45
	s_waitcnt lgkmcnt(0)
	s_mul_i32 s24, s1, s10
	s_sub_i32 s1, s28, s12
	s_ashr_i32 s25, s24, 31
	s_cmp_ge_u32 s28, s12
	s_cselect_b32 s3, s16, s3
	s_cselect_b32 s1, s1, s28
	s_add_i32 s16, s3, 1
	s_cmp_ge_u32 s1, s12
	s_cselect_b32 s1, s16, s3
	s_add_i32 s3, s30, 15
	s_ashr_i32 s16, s3, 31
	s_lshr_b32 s16, s16, 28
	s_add_i32 s3, s3, s16
	s_ashr_i32 s16, s3, 4
	s_xor_b32 s3, s1, s15
	v_cmp_gt_i32_e64 s1, s16, v45
	s_sub_i32 s28, s3, s15
	s_and_saveexec_b32 s34, s1
	s_cbranch_execz .LBB132_20
; %bb.9:
	s_load_dwordx2 s[2:3], s[4:5], 0x10
	s_ashr_i32 s15, s14, 31
	s_sub_i32 s5, s28, s17
	s_lshl_b64 s[36:37], s[14:15], 1
	v_bfe_u32 v11, v0, 1, 4
	v_and_b32_e32 v3, 0x7c, v8
	v_and_b32_e32 v2, 8, v7
	v_lshlrev_b32_e32 v12, 7, v44
	v_lshlrev_b32_e32 v13, 4, v45
	;; [unrolled: 1-line block ×4, first 2 shown]
	v_subrev_nc_u32_e32 v5, s30, v11
	v_mov_b32_e32 v14, 0xff7fffff
	v_xor_b32_e32 v15, 1, v9
	v_lshl_or_b32 v4, v45, 6, v4
	v_mov_b32_e32 v10, 0xff7fffff
	v_add_nc_u32_e32 v16, 1, v5
	v_mov_b32_e32 v21, v45
	v_cmp_eq_u32_e32 vcc_lo, 0, v44
	v_add_nc_u32_e32 v17, 0x120, v4
	s_waitcnt lgkmcnt(0)
	s_add_u32 s4, s2, s36
	s_addc_u32 s3, s3, s37
	s_abs_i32 s15, s18
	s_lshl_b64 s[36:37], s[24:25], 2
	v_cvt_f32_u32_e32 v1, s15
	s_sub_i32 s35, 0, s15
	v_add_co_u32 v18, s4, s4, v6
	v_add_co_ci_u32_e64 v19, null, s3, 0, s4
	v_rcp_iflag_f32_e32 v1, v1
	s_add_u32 s3, s22, s36
	s_addc_u32 s4, s23, s37
	v_add_co_u32 v5, s3, s3, v3
	v_add_co_ci_u32_e64 v6, null, s4, 0, s3
	v_add_co_u32 v18, s3, v18, v2
	v_cmp_neq_f32_e64 s2, s33, 0
	v_mul_f32_e32 v1, 0x4f7ffffe, v1
	v_add_co_ci_u32_e64 v19, null, 0, v19, s3
	s_mov_b32 s36, s13
	v_cvt_u32_f32_e32 v1, v1
	v_mul_lo_u32 v4, s35, v1
	s_mov_b32 s35, 0
	v_mul_hi_u32 v4, v1, v4
	v_add_nc_u32_e32 v20, v1, v4
	s_branch .LBB132_12
.LBB132_10:                             ;   in Loop: Header=BB132_12 Depth=1
	s_or_b32 exec_lo, exec_lo, s37
.LBB132_11:                             ;   in Loop: Header=BB132_12 Depth=1
	s_or_b32 exec_lo, exec_lo, s4
	v_add_nc_u32_e32 v21, 4, v21
	v_add_co_u32 v5, s4, v5, 16
	v_add_co_ci_u32_e64 v6, null, 0, v6, s4
	v_cmp_le_i32_e64 s3, s16, v21
	v_add_nc_u32_e32 v13, 64, v13
	v_add_nc_u32_e32 v17, 0x100, v17
	s_or_b32 s35, s3, s35
	s_andn2_b32 exec_lo, exec_lo, s35
	s_cbranch_execz .LBB132_19
.LBB132_12:                             ; =>This Inner Loop Header: Depth=1
	v_mul_hi_u32 v1, v13, s21
	s_waitcnt lgkmcnt(0)
	v_mul_lo_u32 v2, v1, s12
	v_add_nc_u32_e32 v3, 1, v1
	v_sub_nc_u32_e32 v2, v13, v2
	v_subrev_nc_u32_e32 v4, s12, v2
	v_cmp_le_u32_e64 s3, s12, v2
	v_cndmask_b32_e64 v1, v1, v3, s3
	v_cndmask_b32_e64 v2, v2, v4, s3
	v_add_nc_u32_e32 v3, 1, v1
	v_cmp_le_u32_e64 s3, s12, v2
	v_cndmask_b32_e64 v1, v1, v3, s3
	v_xor_b32_e32 v1, s19, v1
	v_subrev_nc_u32_e32 v1, s19, v1
	v_add_nc_u32_e32 v2, s31, v1
	v_cmp_ge_i32_e64 s4, s5, v1
	v_sub_nc_u32_e32 v3, 0, v2
	v_max_i32_e32 v3, v2, v3
	v_ashrrev_i32_e32 v2, 31, v2
	v_mul_hi_u32 v4, v3, v20
	v_mul_lo_u32 v4, v4, s15
	v_sub_nc_u32_e32 v3, v3, v4
	v_subrev_nc_u32_e32 v4, s15, v3
	v_cmp_le_u32_e64 s3, s15, v3
	v_cndmask_b32_e64 v3, v3, v4, s3
	v_subrev_nc_u32_e32 v4, s15, v3
	v_cmp_le_u32_e64 s3, s15, v3
	v_cndmask_b32_e64 v3, v3, v4, s3
	v_xor_b32_e32 v3, v3, v2
	v_sub_nc_u32_e32 v2, v3, v2
	v_cmp_ne_u32_e64 s3, 0, v2
	s_and_b32 s3, s3, s4
	s_and_saveexec_b32 s4, s3
	s_xor_b32 s3, exec_lo, s4
	s_cbranch_execz .LBB132_16
; %bb.13:                               ;   in Loop: Header=BB132_12 Depth=1
	s_and_saveexec_b32 s4, vcc_lo
; %bb.14:                               ;   in Loop: Header=BB132_12 Depth=1
	ds_write_b32 v17, v14
; %bb.15:                               ;   in Loop: Header=BB132_12 Depth=1
	s_or_b32 exec_lo, exec_lo, s4
.LBB132_16:                             ;   in Loop: Header=BB132_12 Depth=1
	s_andn2_saveexec_b32 s4, s3
	s_cbranch_execz .LBB132_11
; %bb.17:                               ;   in Loop: Header=BB132_12 Depth=1
	global_load_dword v1, v[5:6], off
	s_waitcnt vmcnt(0)
	v_mad_i64_i32 v[1:2], null, v1, s36, 0
	v_lshlrev_b64 v[1:2], 1, v[1:2]
	v_add_co_u32 v55, s3, v18, v1
	v_add_co_ci_u32_e64 v56, null, v19, v2, s3
	s_clause 0x3
	global_load_dwordx2 v[57:58], v[55:56], off offset:256
	global_load_dwordx2 v[59:60], v[55:56], off offset:512
	;; [unrolled: 1-line block ×3, first 2 shown]
	global_load_dwordx2 v[63:64], v[55:56], off
	ds_read_b128 v[22:25], v12
	ds_read_b128 v[26:29], v12 offset:16
	ds_read_b128 v[30:33], v12 offset:32
	;; [unrolled: 1-line block ×7, first 2 shown]
	s_waitcnt lgkmcnt(7)
	v_lshlrev_b32_e32 v42, 16, v22
	v_lshlrev_b32_e32 v65, 16, v23
	v_and_b32_e32 v88, 0xffff0000, v22
	v_and_b32_e32 v89, 0xffff0000, v23
	global_load_dwordx2 v[22:23], v[55:56], off offset:1024
	v_lshlrev_b32_e32 v66, 16, v24
	v_lshlrev_b32_e32 v67, 16, v25
	s_waitcnt lgkmcnt(6)
	v_lshlrev_b32_e32 v68, 16, v26
	v_lshlrev_b32_e32 v69, 16, v27
	v_and_b32_e32 v90, 0xffff0000, v24
	v_and_b32_e32 v91, 0xffff0000, v25
	;; [unrolled: 1-line block ×4, first 2 shown]
	s_clause 0x1
	global_load_dwordx2 v[24:25], v[55:56], off offset:1280
	global_load_dwordx2 v[26:27], v[55:56], off offset:1536
	v_lshlrev_b32_e32 v70, 16, v28
	v_and_b32_e32 v94, 0xffff0000, v28
	v_add_co_u32 v28, s3, 0x800, v55
	v_lshlrev_b32_e32 v71, 16, v29
	v_and_b32_e32 v95, 0xffff0000, v29
	v_add_co_ci_u32_e64 v29, null, 0, v56, s3
	s_waitcnt lgkmcnt(5)
	v_lshlrev_b32_e32 v72, 16, v30
	v_lshlrev_b32_e32 v73, 16, v31
	;; [unrolled: 1-line block ×4, first 2 shown]
	v_and_b32_e32 v96, 0xffff0000, v30
	v_and_b32_e32 v97, 0xffff0000, v31
	;; [unrolled: 1-line block ×4, first 2 shown]
	s_clause 0x1
	global_load_dwordx2 v[30:31], v[55:56], off offset:1792
	global_load_dwordx2 v[32:33], v[28:29], off
	s_waitcnt lgkmcnt(4)
	v_lshlrev_b32_e32 v76, 16, v34
	v_and_b32_e32 v100, 0xffff0000, v34
	v_lshlrev_b32_e32 v77, 16, v35
	v_lshlrev_b32_e32 v78, 16, v36
	;; [unrolled: 1-line block ×3, first 2 shown]
	v_and_b32_e32 v101, 0xffff0000, v35
	v_and_b32_e32 v102, 0xffff0000, v36
	;; [unrolled: 1-line block ×3, first 2 shown]
	s_waitcnt lgkmcnt(3)
	v_lshlrev_b32_e32 v80, 16, v38
	v_and_b32_e32 v104, 0xffff0000, v38
	v_lshlrev_b32_e32 v81, 16, v39
	v_lshlrev_b32_e32 v82, 16, v40
	v_and_b32_e32 v105, 0xffff0000, v39
	v_and_b32_e32 v106, 0xffff0000, v40
	v_lshlrev_b32_e32 v83, 16, v41
	s_waitcnt lgkmcnt(2)
	v_lshlrev_b32_e32 v84, 16, v47
	v_and_b32_e32 v107, 0xffff0000, v41
	v_and_b32_e32 v108, 0xffff0000, v47
	v_lshlrev_b32_e32 v86, 16, v49
	v_and_b32_e32 v110, 0xffff0000, v49
	v_lshlrev_b32_e32 v85, 16, v48
	;; [unrolled: 2-line block ×3, first 2 shown]
	v_and_b32_e32 v111, 0xffff0000, v50
	s_waitcnt lgkmcnt(1)
	v_lshlrev_b32_e32 v112, 16, v51
	v_and_b32_e32 v51, 0xffff0000, v51
	v_lshlrev_b32_e32 v113, 16, v52
	v_lshlrev_b32_e32 v114, 16, v53
	v_and_b32_e32 v53, 0xffff0000, v53
	v_and_b32_e32 v52, 0xffff0000, v52
	v_lshlrev_b32_e32 v115, 16, v54
	v_and_b32_e32 v54, 0xffff0000, v54
	v_cmp_gt_i32_e64 s3, 32, v15
	s_waitcnt vmcnt(8)
	v_lshlrev_b32_e32 v34, 16, v57
	v_and_b32_e32 v36, 0xffff0000, v57
	v_lshlrev_b32_e32 v37, 16, v58
	s_waitcnt vmcnt(5)
	v_lshlrev_b32_e32 v38, 16, v63
	v_and_b32_e32 v40, 0xffff0000, v63
	v_mul_f32_e32 v55, v66, v34
	global_load_dwordx2 v[34:35], v[28:29], off offset:256
	v_mul_f32_e32 v56, v90, v36
	v_mul_f32_e32 v57, v67, v37
	global_load_dwordx2 v[36:37], v[28:29], off offset:512
	v_fmac_f32_e32 v55, v42, v38
	global_load_dwordx2 v[38:39], v[28:29], off offset:768
	v_lshlrev_b32_e32 v47, 16, v64
	v_fmac_f32_e32 v56, v88, v40
	global_load_dwordx2 v[40:41], v[28:29], off offset:1024
	v_and_b32_e32 v49, 0xffff0000, v58
	v_and_b32_e32 v50, 0xffff0000, v64
	v_fmac_f32_e32 v57, v65, v47
	global_load_dwordx2 v[47:48], v[28:29], off offset:1280
	v_lshlrev_b32_e32 v58, 16, v59
	v_mul_f32_e32 v42, v91, v49
	s_waitcnt vmcnt(9)
	v_lshlrev_b32_e32 v64, 16, v22
	v_and_b32_e32 v22, 0xffff0000, v22
	s_waitcnt lgkmcnt(0)
	v_lshlrev_b32_e32 v63, 16, v2
	v_fmac_f32_e32 v55, v68, v58
	v_fmac_f32_e32 v42, v89, v50
	s_clause 0x1
	global_load_dwordx2 v[49:50], v[28:29], off offset:1536
	global_load_dwordx2 v[28:29], v[28:29], off offset:1792
	v_and_b32_e32 v58, 0xffff0000, v59
	v_lshlrev_b32_e32 v59, 16, v60
	v_and_b32_e32 v60, 0xffff0000, v60
	s_waitcnt vmcnt(10)
	v_lshlrev_b32_e32 v65, 16, v24
	v_and_b32_e32 v24, 0xffff0000, v24
	v_fmac_f32_e32 v56, v92, v58
	v_fmac_f32_e32 v57, v69, v59
	v_lshlrev_b32_e32 v59, 16, v61
	v_and_b32_e32 v61, 0xffff0000, v61
	v_fmac_f32_e32 v42, v93, v60
	s_waitcnt vmcnt(9)
	v_lshlrev_b32_e32 v66, 16, v26
	v_and_b32_e32 v26, 0xffff0000, v26
	v_fmac_f32_e32 v55, v70, v59
	v_lshlrev_b32_e32 v59, 16, v62
	v_fmac_f32_e32 v56, v94, v61
	v_and_b32_e32 v62, 0xffff0000, v62
	v_lshlrev_b32_e32 v61, 16, v23
	v_fmac_f32_e32 v55, v72, v64
	v_fmac_f32_e32 v57, v71, v59
	;; [unrolled: 1-line block ×3, first 2 shown]
	v_and_b32_e32 v23, 0xffff0000, v23
	v_lshlrev_b32_e32 v59, 16, v25
	v_fmac_f32_e32 v42, v95, v62
	v_fmac_f32_e32 v57, v73, v61
	;; [unrolled: 1-line block ×4, first 2 shown]
	v_and_b32_e32 v25, 0xffff0000, v25
	v_lshlrev_b32_e32 v62, 16, v27
	s_waitcnt vmcnt(8)
	v_lshlrev_b32_e32 v67, 16, v30
	v_and_b32_e32 v30, 0xffff0000, v30
	v_fmac_f32_e32 v42, v97, v23
	v_fmac_f32_e32 v57, v75, v59
	;; [unrolled: 1-line block ×4, first 2 shown]
	v_and_b32_e32 v27, 0xffff0000, v27
	v_lshlrev_b32_e32 v64, 16, v31
	s_waitcnt vmcnt(7)
	v_lshlrev_b32_e32 v68, 16, v32
	v_and_b32_e32 v22, 0xffff0000, v32
	v_fmac_f32_e32 v42, v99, v25
	v_fmac_f32_e32 v57, v77, v62
	;; [unrolled: 1-line block ×4, first 2 shown]
	v_and_b32_e32 v31, 0xffff0000, v31
	v_lshlrev_b32_e32 v32, 16, v33
	v_fmac_f32_e32 v42, v101, v27
	v_fmac_f32_e32 v57, v79, v64
	;; [unrolled: 1-line block ×4, first 2 shown]
	v_and_b32_e32 v33, 0xffff0000, v33
	v_fmac_f32_e32 v42, v103, v31
	v_fmac_f32_e32 v57, v81, v32
	v_lshlrev_b32_e32 v58, 16, v1
	v_and_b32_e32 v1, 0xffff0000, v1
	v_lshlrev_b32_e32 v60, 16, v3
	v_fmac_f32_e32 v42, v105, v33
	v_and_b32_e32 v3, 0xffff0000, v3
	v_and_b32_e32 v2, 0xffff0000, v2
	v_lshlrev_b32_e32 v73, 16, v4
	s_waitcnt vmcnt(6)
	v_lshlrev_b32_e32 v69, 16, v34
	v_and_b32_e32 v34, 0xffff0000, v34
	v_lshlrev_b32_e32 v61, 16, v35
	s_waitcnt vmcnt(5)
	v_lshlrev_b32_e32 v70, 16, v36
	v_and_b32_e32 v23, 0xffff0000, v36
	v_fmac_f32_e32 v55, v82, v69
	v_fmac_f32_e32 v56, v106, v34
	v_and_b32_e32 v35, 0xffff0000, v35
	v_lshlrev_b32_e32 v36, 16, v37
	s_waitcnt vmcnt(4)
	v_lshlrev_b32_e32 v71, 16, v38
	v_and_b32_e32 v38, 0xffff0000, v38
	v_fmac_f32_e32 v57, v83, v61
	v_fmac_f32_e32 v55, v84, v70
	v_fmac_f32_e32 v56, v108, v23
	v_and_b32_e32 v37, 0xffff0000, v37
	v_lshlrev_b32_e32 v65, 16, v39
	s_waitcnt vmcnt(3)
	v_lshlrev_b32_e32 v72, 16, v40
	v_and_b32_e32 v24, 0xffff0000, v40
	v_fmac_f32_e32 v42, v107, v35
	v_fmac_f32_e32 v57, v85, v36
	v_fmac_f32_e32 v55, v86, v71
	v_fmac_f32_e32 v56, v110, v38
	v_and_b32_e32 v39, 0xffff0000, v39
	v_lshlrev_b32_e32 v40, 16, v41
	s_waitcnt vmcnt(2)
	v_lshlrev_b32_e32 v59, 16, v47
	v_and_b32_e32 v47, 0xffff0000, v47
	v_fmac_f32_e32 v42, v109, v37
	v_fmac_f32_e32 v57, v87, v65
	v_fmac_f32_e32 v55, v112, v72
	v_fmac_f32_e32 v56, v51, v24
	v_and_b32_e32 v41, 0xffff0000, v41
	v_lshlrev_b32_e32 v25, 16, v48
	s_waitcnt vmcnt(1)
	v_lshlrev_b32_e32 v22, 16, v49
	v_and_b32_e32 v27, 0xffff0000, v49
	v_fmac_f32_e32 v42, v111, v39
	v_fmac_f32_e32 v57, v113, v40
	v_fmac_f32_e32 v55, v59, v114
	v_fmac_f32_e32 v56, v47, v53
	v_and_b32_e32 v26, 0xffff0000, v48
	v_lshlrev_b32_e32 v23, 16, v50
	s_waitcnt vmcnt(0)
	v_lshlrev_b32_e32 v24, 16, v28
	v_fmac_f32_e32 v42, v52, v41
	v_and_b32_e32 v28, 0xffff0000, v28
	v_fmac_f32_e32 v57, v25, v115
	v_fmac_f32_e32 v55, v22, v58
	;; [unrolled: 1-line block ×3, first 2 shown]
	v_and_b32_e32 v30, 0xffff0000, v50
	v_fmac_f32_e32 v42, v26, v54
	v_lshlrev_b32_e32 v1, 16, v29
	v_fmac_f32_e32 v57, v23, v63
	v_fmac_f32_e32 v55, v24, v60
	;; [unrolled: 1-line block ×4, first 2 shown]
	v_and_b32_e32 v2, 0xffff0000, v4
	v_and_b32_e32 v3, 0xffff0000, v29
	v_fmac_f32_e32 v57, v1, v73
	v_add_f32_e32 v1, v55, v56
	v_cndmask_b32_e64 v4, v9, v15, s3
	v_fmac_f32_e32 v42, v3, v2
	v_add_f32_e32 v1, v1, v57
	v_lshlrev_b32_e32 v2, 2, v4
	v_add_f32_e32 v1, v42, v1
	ds_bpermute_b32 v2, v2, v1
	s_and_saveexec_b32 s37, vcc_lo
	s_cbranch_execz .LBB132_10
; %bb.18:                               ;   in Loop: Header=BB132_12 Depth=1
	v_add_nc_u32_e32 v3, v16, v13
	s_waitcnt lgkmcnt(0)
	v_add_f32_e32 v1, v1, v2
	v_cvt_f32_i32_e32 v3, v3
	v_mul_f32_e32 v3, s33, v3
	v_cndmask_b32_e64 v2, 0, v3, s2
	v_max_f32_e32 v3, v10, v10
	v_fmac_f32_e32 v2, s29, v1
	v_add_nc_u32_e32 v1, v11, v13
	v_max_f32_e32 v3, v3, v2
	v_cmp_gt_i32_e64 s3, s30, v1
	v_cndmask_b32_e64 v1, 0, v2, s3
	v_cndmask_b32_e64 v10, v10, v3, s3
	ds_write_b32 v17, v1
	s_branch .LBB132_10
.LBB132_19:
	s_or_b32 exec_lo, exec_lo, s35
.LBB132_20:
	s_or_b32 exec_lo, exec_lo, s34
	v_xor_b32_e32 v1, 16, v9
	v_xor_b32_e32 v3, 8, v9
	v_max_f32_e32 v5, v10, v10
	v_xor_b32_e32 v6, 2, v9
	v_and_b32_e32 v47, 31, v0
	v_cmp_gt_i32_e32 vcc_lo, 32, v1
	v_cndmask_b32_e32 v1, v9, v1, vcc_lo
	v_cmp_gt_i32_e32 vcc_lo, 32, v3
	s_waitcnt lgkmcnt(0)
	v_lshlrev_b32_e32 v2, 2, v1
	v_cndmask_b32_e32 v3, v9, v3, vcc_lo
	ds_bpermute_b32 v1, v2, v10
	v_lshlrev_b32_e32 v4, 2, v3
	s_waitcnt lgkmcnt(0)
	v_max_f32_e32 v1, v1, v1
	v_max_f32_e32 v1, v5, v1
	v_xor_b32_e32 v5, 4, v9
	ds_bpermute_b32 v3, v4, v1
	v_cmp_gt_i32_e32 vcc_lo, 32, v5
	v_cndmask_b32_e32 v5, v9, v5, vcc_lo
	v_cmp_gt_i32_e32 vcc_lo, 32, v6
	v_lshlrev_b32_e32 v5, 2, v5
	v_cndmask_b32_e32 v6, v9, v6, vcc_lo
	v_cmp_eq_u32_e32 vcc_lo, 0, v47
	s_waitcnt lgkmcnt(0)
	v_max_f32_e32 v3, v3, v3
	v_max_f32_e32 v1, v1, v3
	ds_bpermute_b32 v3, v5, v1
	s_waitcnt lgkmcnt(0)
	v_max_f32_e32 v3, v3, v3
	v_max_f32_e32 v3, v1, v3
	v_lshlrev_b32_e32 v1, 2, v6
	v_lshlrev_b32_e32 v6, 2, v45
	ds_bpermute_b32 v10, v1, v3
	s_and_saveexec_b32 s2, vcc_lo
	s_cbranch_execz .LBB132_22
; %bb.21:
	s_waitcnt lgkmcnt(0)
	v_max_f32_e32 v10, v10, v10
	v_max_f32_e32 v3, v3, v3
	;; [unrolled: 1-line block ×3, first 2 shown]
	ds_write_b32 v6, v3 offset:256
.LBB132_22:
	s_or_b32 exec_lo, exec_lo, s2
	v_cmp_gt_u32_e64 s2, 4, v47
	v_mov_b32_e32 v3, 0xff7fffff
	s_waitcnt lgkmcnt(0)
	v_lshlrev_b32_e32 v10, 2, v47
	s_barrier
	buffer_gl0_inv
	s_and_saveexec_b32 s3, s2
; %bb.23:
	ds_read_b32 v3, v10 offset:256
; %bb.24:
	s_or_b32 exec_lo, exec_lo, s3
	s_waitcnt lgkmcnt(0)
	ds_bpermute_b32 v11, v1, v3
	v_xor_b32_e32 v12, 1, v9
	v_max_f32_e32 v3, v3, v3
	v_cmp_gt_i32_e64 s3, 32, v12
	v_cndmask_b32_e64 v9, v9, v12, s3
	s_lshl_b32 s3, s16, 4
	s_min_i32 s5, s3, s30
	v_lshlrev_b32_e32 v48, 2, v9
	v_cmp_gt_i32_e64 s3, s5, v0
	s_waitcnt lgkmcnt(0)
	v_max_f32_e32 v11, v11, v11
	v_max_f32_e32 v3, v3, v11
	ds_bpermute_b32 v9, v48, v3
	s_waitcnt lgkmcnt(0)
	v_max_f32_e32 v9, v9, v9
	v_max_f32_e32 v3, v3, v9
	v_mov_b32_e32 v9, 0
	ds_bpermute_b32 v11, v9, v3
	v_lshl_add_u32 v3, v0, 2, 0x120
	s_and_saveexec_b32 s15, s3
	s_cbranch_execz .LBB132_28
; %bb.25:
	v_lshl_add_u32 v12, v0, 2, 0x120
	v_mov_b32_e32 v9, 0
	v_mov_b32_e32 v13, v0
	s_mov_b32 s29, 0
	.p2align	6
.LBB132_26:                             ; =>This Inner Loop Header: Depth=1
	ds_read_b32 v14, v12
	v_add_nc_u32_e32 v13, 0x80, v13
	v_cmp_le_i32_e64 s4, s5, v13
	s_or_b32 s29, s4, s29
	s_waitcnt lgkmcnt(0)
	v_sub_f32_e32 v14, v14, v11
	v_mul_f32_e32 v14, 0x3fb8aa3b, v14
	v_exp_f32_e32 v14, v14
	ds_write_b32 v12, v14
	v_add_f32_e32 v9, v9, v14
	v_add_nc_u32_e32 v12, 0x200, v12
	s_andn2_b32 exec_lo, exec_lo, s29
	s_cbranch_execnz .LBB132_26
; %bb.27:
	s_or_b32 exec_lo, exec_lo, s29
.LBB132_28:
	s_or_b32 exec_lo, exec_lo, s15
	ds_bpermute_b32 v2, v2, v9
	s_waitcnt lgkmcnt(0)
	v_add_f32_e32 v2, v9, v2
	ds_bpermute_b32 v4, v4, v2
	s_waitcnt lgkmcnt(0)
	v_add_f32_e32 v2, v2, v4
	;; [unrolled: 3-line block ×5, first 2 shown]
	s_and_saveexec_b32 s4, vcc_lo
; %bb.29:
	ds_write_b32 v6, v2 offset:272
; %bb.30:
	s_or_b32 exec_lo, exec_lo, s4
	s_waitcnt lgkmcnt(0)
	s_barrier
	buffer_gl0_inv
	s_and_saveexec_b32 s4, s2
; %bb.31:
	ds_read_b32 v2, v10 offset:272
; %bb.32:
	s_or_b32 exec_lo, exec_lo, s4
	s_waitcnt lgkmcnt(0)
	ds_bpermute_b32 v1, v1, v2
	s_waitcnt lgkmcnt(0)
	v_add_f32_e32 v1, v2, v1
	ds_bpermute_b32 v2, v48, v1
	s_waitcnt lgkmcnt(0)
	v_add_f32_e32 v1, v1, v2
	v_mov_b32_e32 v2, 0
	ds_bpermute_b32 v1, v2, v1
	s_and_saveexec_b32 s2, s3
	s_cbranch_execz .LBB132_35
; %bb.33:
	s_waitcnt lgkmcnt(0)
	v_add_f32_e32 v1, 0x358637bd, v1
	s_mov_b32 s3, 0
	v_div_scale_f32 v2, null, v1, v1, 1.0
	v_div_scale_f32 v6, vcc_lo, 1.0, v1, 1.0
	v_rcp_f32_e32 v4, v2
	v_fma_f32 v5, -v2, v4, 1.0
	v_fmac_f32_e32 v4, v5, v4
	v_mul_f32_e32 v5, v6, v4
	v_fma_f32 v9, -v2, v5, v6
	v_fmac_f32_e32 v5, v9, v4
	v_fma_f32 v2, -v2, v5, v6
	v_div_fmas_f32 v2, v2, v4, v5
	v_div_fixup_f32 v1, v2, v1, 1.0
	v_mov_b32_e32 v2, v0
.LBB132_34:                             ; =>This Inner Loop Header: Depth=1
	ds_read_b32 v4, v3
	v_add_nc_u32_e32 v2, 0x80, v2
	v_cmp_le_i32_e32 vcc_lo, s5, v2
	s_or_b32 s3, vcc_lo, s3
	s_waitcnt lgkmcnt(0)
	v_mul_f32_e32 v4, v1, v4
	ds_write_b32 v3, v4
	v_add_nc_u32_e32 v3, 0x200, v3
	s_andn2_b32 exec_lo, exec_lo, s3
	s_cbranch_execnz .LBB132_34
.LBB132_35:
	s_or_b32 exec_lo, exec_lo, s2
	v_mov_b32_e32 v56, 0
	v_mov_b32_e32 v55, 0
	;; [unrolled: 1-line block ×8, first 2 shown]
	s_waitcnt lgkmcnt(0)
	s_barrier
	buffer_gl0_inv
	s_and_saveexec_b32 s4, s1
	s_cbranch_execz .LBB132_57
; %bb.36:
	s_ashr_i32 s15, s14, 31
	s_sub_i32 s5, s28, s17
	s_lshl_b64 s[2:3], s[14:15], 1
	v_lshlrev_b32_e32 v2, 4, v0
	s_add_u32 s1, s26, s2
	s_addc_u32 s17, s27, s3
	s_abs_i32 s14, s18
	v_lshlrev_b32_e32 v4, 5, v44
	v_cvt_f32_u32_e32 v1, s14
	s_sub_i32 s2, 0, s14
	v_and_b32_e32 v2, 0x1f0, v2
	v_and_b32_e32 v3, 0x7c, v8
	s_add_i32 s15, s16, -1
	v_rcp_iflag_f32_e32 v1, v1
	v_lshl_or_b32 v4, v45, 6, v4
	v_add_co_u32 v59, s1, s1, v2
	v_add_co_ci_u32_e64 v60, null, s17, 0, s1
	v_and_b32_e32 v57, 8, v7
	v_mov_b32_e32 v58, 0
	v_mov_b32_e32 v49, 0
	;; [unrolled: 1-line block ×3, first 2 shown]
	v_mul_f32_e32 v1, 0x4f7ffffe, v1
	v_mov_b32_e32 v51, 0
	v_mov_b32_e32 v52, 0
	;; [unrolled: 1-line block ×4, first 2 shown]
	v_cvt_u32_f32_e32 v1, v1
	v_mov_b32_e32 v55, 0
	v_mov_b32_e32 v56, 0
	v_add_nc_u32_e32 v61, 0x120, v4
	v_mov_b32_e32 v63, v45
	v_mul_lo_u32 v5, s2, v1
	s_lshl_b64 s[2:3], s[24:25], 2
	s_mov_b32 s18, s30
	s_add_u32 s2, s22, s2
	s_addc_u32 s3, s23, s3
	v_add_co_u32 v41, s1, s2, v3
	v_add_co_ci_u32_e64 v42, null, s3, 0, s1
	v_mul_hi_u32 v5, v1, v5
	s_mov_b32 s17, 0
	v_add_nc_u32_e32 v62, v1, v5
	s_branch .LBB132_39
.LBB132_37:                             ;   in Loop: Header=BB132_39 Depth=1
	s_or_b32 exec_lo, exec_lo, s3
	s_waitcnt lgkmcnt(1)
	v_bfe_u32 v64, v29, 16, 1
	v_or_b32_e32 v65, 0x400000, v29
	v_bfe_u32 v66, v30, 16, 1
	v_cmp_u_f32_e32 vcc_lo, v29, v29
	v_bfe_u32 v67, v31, 16, 1
	v_add3_u32 v64, v64, v29, 0x7fff
	v_or_b32_e32 v68, 0x400000, v30
	v_add3_u32 v66, v66, v30, 0x7fff
	v_or_b32_e32 v69, 0x400000, v31
	v_add3_u32 v67, v67, v31, 0x7fff
	v_cndmask_b32_e32 v29, v64, v65, vcc_lo
	v_cmp_u_f32_e32 vcc_lo, v30, v30
	v_bfe_u32 v64, v32, 16, 1
	s_waitcnt lgkmcnt(0)
	v_bfe_u32 v65, v25, 16, 1
	v_and_b32_e32 v29, 0xffff0000, v29
	v_cndmask_b32_e32 v30, v66, v68, vcc_lo
	v_cmp_u_f32_e32 vcc_lo, v31, v31
	v_add3_u32 v64, v64, v32, 0x7fff
	v_or_b32_e32 v66, 0x400000, v32
	v_add3_u32 v65, v65, v25, 0x7fff
	v_bfe_u32 v68, v26, 16, 1
	v_cndmask_b32_e32 v31, v67, v69, vcc_lo
	v_cmp_u_f32_e32 vcc_lo, v32, v32
	v_or_b32_e32 v67, 0x400000, v25
	v_and_b32_e32 v31, 0xffff0000, v31
	v_cndmask_b32_e32 v32, v64, v66, vcc_lo
	v_cmp_u_f32_e32 vcc_lo, v25, v25
	v_or_b32_e32 v66, 0x400000, v26
	v_and_b32_e32 v25, 0xffff0000, v30
	s_waitcnt vmcnt(1)
	v_and_b32_e32 v30, 0xffff0000, v37
	v_lshlrev_b32_e32 v37, 16, v37
	v_cndmask_b32_e32 v64, v65, v67, vcc_lo
	v_add3_u32 v65, v68, v26, 0x7fff
	v_bfe_u32 v67, v27, 16, 1
	v_cmp_u_f32_e32 vcc_lo, v26, v26
	v_mul_f32_e32 v30, v25, v30
	v_mul_f32_e32 v37, v29, v37
	v_add3_u32 v26, v67, v27, 0x7fff
	v_cndmask_b32_e32 v65, v65, v66, vcc_lo
	v_or_b32_e32 v66, 0x400000, v27
	v_bfe_u32 v67, v28, 16, 1
	v_cmp_u_f32_e32 vcc_lo, v27, v27
	v_bfe_u32 v68, v30, 16, 1
	v_add3_u32 v27, v67, v28, 0x7fff
	v_cndmask_b32_e32 v66, v26, v66, vcc_lo
	v_or_b32_e32 v67, 0x400000, v28
	v_and_b32_e32 v26, 0xffff0000, v32
	v_and_b32_e32 v32, 0xffff0000, v38
	v_cmp_u_f32_e32 vcc_lo, v28, v28
	v_mul_f32_e32 v69, v26, v32
	v_cndmask_b32_e32 v28, v27, v67, vcc_lo
	v_add3_u32 v27, v68, v30, 0x7fff
	v_or_b32_e32 v67, 0x400000, v30
	v_bfe_u32 v68, v37, 16, 1
	v_lshlrev_b32_e32 v32, 16, v38
	v_cmp_u_f32_e32 vcc_lo, v30, v30
	v_and_b32_e32 v28, 0xffff0000, v28
	v_add3_u32 v30, v68, v37, 0x7fff
	v_bfe_u32 v68, v69, 16, 1
	v_cndmask_b32_e32 v38, v27, v67, vcc_lo
	v_or_b32_e32 v67, 0x400000, v37
	v_mul_f32_e32 v70, v31, v32
	v_cmp_u_f32_e32 vcc_lo, v37, v37
	v_and_b32_e32 v27, 0xffff0000, v65
	v_and_b32_e32 v32, 0xffff0000, v39
	v_or_b32_e32 v65, 0x400000, v69
	v_lshlrev_b32_e32 v39, 16, v39
	v_cndmask_b32_e32 v37, v30, v67, vcc_lo
	v_add3_u32 v30, v68, v69, 0x7fff
	v_bfe_u32 v67, v70, 16, 1
	v_cmp_u_f32_e32 vcc_lo, v69, v69
	v_mul_f32_e32 v68, v27, v32
	v_and_b32_e32 v32, 0xffff0000, v64
	v_and_b32_e32 v69, 0xffff0000, v40
	v_lshlrev_b32_e32 v40, 16, v40
	v_cndmask_b32_e32 v64, v30, v65, vcc_lo
	v_add3_u32 v30, v67, v70, 0x7fff
	v_or_b32_e32 v65, 0x400000, v70
	v_cmp_u_f32_e32 vcc_lo, v70, v70
	v_bfe_u32 v67, v68, 16, 1
	v_mul_f32_e32 v39, v32, v39
	v_mul_f32_e32 v69, v28, v69
	v_and_b32_e32 v37, 0xffff0000, v37
	v_cndmask_b32_e32 v65, v30, v65, vcc_lo
	v_and_b32_e32 v30, 0xffff0000, v66
	v_add3_u32 v67, v67, v68, 0x7fff
	v_bfe_u32 v70, v39, 16, 1
	v_or_b32_e32 v66, 0x400000, v68
	v_cmp_u_f32_e32 vcc_lo, v68, v68
	v_mul_f32_e32 v40, v30, v40
	v_or_b32_e32 v71, 0x400000, v39
	v_add3_u32 v70, v70, v39, 0x7fff
	v_bfe_u32 v72, v69, 16, 1
	v_cndmask_b32_e32 v66, v67, v66, vcc_lo
	v_cmp_u_f32_e32 vcc_lo, v39, v39
	v_bfe_u32 v68, v40, 16, 1
	v_and_b32_e32 v38, 0xffff0000, v38
	v_and_b32_e32 v65, 0xffff0000, v65
	;; [unrolled: 1-line block ×3, first 2 shown]
	v_cndmask_b32_e32 v39, v70, v71, vcc_lo
	v_add3_u32 v68, v68, v40, 0x7fff
	v_or_b32_e32 v71, 0x400000, v40
	v_cmp_u_f32_e32 vcc_lo, v40, v40
	v_add3_u32 v67, v72, v69, 0x7fff
	v_or_b32_e32 v70, 0x400000, v69
	v_add_f32_e32 v37, v37, v38
	v_add_f32_e32 v38, v65, v64
	v_and_b32_e32 v39, 0xffff0000, v39
	v_and_b32_e32 v64, 0xffff0000, v66
	v_cndmask_b32_e32 v40, v68, v71, vcc_lo
	v_cmp_u_f32_e32 vcc_lo, v69, v69
	v_add_f32_e32 v37, v38, v37
	v_add_f32_e32 v38, v39, v64
	v_and_b32_e32 v39, 0xffff0000, v33
	v_cndmask_b32_e32 v65, v67, v70, vcc_lo
	v_and_b32_e32 v40, 0xffff0000, v40
	v_lshlrev_b32_e32 v33, 16, v33
	v_add_f32_e32 v37, v38, v37
	v_mul_f32_e32 v39, v25, v39
	v_and_b32_e32 v64, 0xffff0000, v65
	v_mul_f32_e32 v33, v29, v33
	v_cmp_u_f32_e32 vcc_lo, v39, v39
	v_add_f32_e32 v38, v40, v64
	v_and_b32_e32 v40, 0xffff0000, v34
	v_bfe_u32 v64, v39, 16, 1
	v_bfe_u32 v65, v33, 16, 1
	v_or_b32_e32 v66, 0x400000, v33
	v_add_f32_e32 v37, v38, v37
	v_mul_f32_e32 v38, v26, v40
	v_add3_u32 v40, v64, v39, 0x7fff
	v_or_b32_e32 v64, 0x400000, v39
	v_add3_u32 v65, v65, v33, 0x7fff
	v_lshlrev_b32_e32 v34, 16, v34
	v_bfe_u32 v67, v38, 16, 1
	v_add_f32_e32 v50, v50, v37
	v_cndmask_b32_e32 v39, v40, v64, vcc_lo
	v_cmp_u_f32_e32 vcc_lo, v33, v33
	v_mul_f32_e32 v34, v31, v34
	v_add3_u32 v40, v67, v38, 0x7fff
	v_or_b32_e32 v64, 0x400000, v38
	v_and_b32_e32 v39, 0xffff0000, v39
	v_cndmask_b32_e32 v33, v65, v66, vcc_lo
	v_and_b32_e32 v65, 0xffff0000, v35
	v_cmp_u_f32_e32 vcc_lo, v38, v38
	v_lshlrev_b32_e32 v35, 16, v35
	v_bfe_u32 v66, v34, 16, 1
	v_and_b32_e32 v33, 0xffff0000, v33
	v_cndmask_b32_e32 v38, v40, v64, vcc_lo
	v_mul_f32_e32 v40, v27, v65
	v_mul_f32_e32 v35, v32, v35
	v_add3_u32 v64, v66, v34, 0x7fff
	v_or_b32_e32 v65, 0x400000, v34
	v_and_b32_e32 v66, 0xffff0000, v36
	v_bfe_u32 v67, v40, 16, 1
	v_cmp_u_f32_e32 vcc_lo, v34, v34
	v_bfe_u32 v68, v35, 16, 1
	v_lshlrev_b32_e32 v36, 16, v36
	v_and_b32_e32 v38, 0xffff0000, v38
	v_add_f32_e32 v33, v33, v39
	v_cndmask_b32_e32 v34, v64, v65, vcc_lo
	v_mul_f32_e32 v64, v28, v66
	v_add3_u32 v65, v67, v40, 0x7fff
	v_or_b32_e32 v66, 0x400000, v40
	v_cmp_u_f32_e32 vcc_lo, v40, v40
	v_add3_u32 v67, v68, v35, 0x7fff
	v_or_b32_e32 v68, 0x400000, v35
	v_bfe_u32 v69, v64, 16, 1
	v_and_b32_e32 v34, 0xffff0000, v34
	v_cndmask_b32_e32 v40, v65, v66, vcc_lo
	v_cmp_u_f32_e32 vcc_lo, v35, v35
	v_or_b32_e32 v66, 0x400000, v64
	v_add3_u32 v65, v69, v64, 0x7fff
	v_mul_f32_e32 v36, v30, v36
	v_add_f32_e32 v34, v34, v38
	v_cndmask_b32_e32 v35, v67, v68, vcc_lo
	v_cmp_u_f32_e32 vcc_lo, v64, v64
	v_and_b32_e32 v38, 0xffff0000, v21
	v_and_b32_e32 v39, 0xffff0000, v40
	v_add_f32_e32 v33, v34, v33
	v_and_b32_e32 v35, 0xffff0000, v35
	v_cndmask_b32_e32 v64, v65, v66, vcc_lo
	v_bfe_u32 v65, v36, 16, 1
	v_mul_f32_e32 v34, v25, v38
	v_lshlrev_b32_e32 v21, 16, v21
	v_add_f32_e32 v35, v35, v39
	v_cmp_u_f32_e32 vcc_lo, v36, v36
	v_add3_u32 v40, v65, v36, 0x7fff
	v_or_b32_e32 v65, 0x400000, v36
	v_bfe_u32 v38, v34, 16, 1
	v_add_f32_e32 v33, v35, v33
	v_mul_f32_e32 v21, v29, v21
	v_and_b32_e32 v35, 0xffff0000, v22
	v_cndmask_b32_e32 v36, v40, v65, vcc_lo
	v_add3_u32 v38, v38, v34, 0x7fff
	v_or_b32_e32 v39, 0x400000, v34
	v_bfe_u32 v40, v21, 16, 1
	v_mul_f32_e32 v35, v26, v35
	v_lshlrev_b32_e32 v22, 16, v22
	v_cmp_u_f32_e32 vcc_lo, v34, v34
	v_and_b32_e32 v65, 0xffff0000, v23
	v_lshlrev_b32_e32 v23, 16, v23
	v_and_b32_e32 v66, 0xffff0000, v24
	v_mul_f32_e32 v22, v31, v22
	v_cndmask_b32_e32 v34, v38, v39, vcc_lo
	v_add3_u32 v38, v40, v21, 0x7fff
	v_or_b32_e32 v39, 0x400000, v21
	v_bfe_u32 v40, v35, 16, 1
	v_cmp_u_f32_e32 vcc_lo, v21, v21
	v_mul_f32_e32 v65, v27, v65
	v_mul_f32_e32 v23, v32, v23
	v_lshlrev_b32_e32 v24, 16, v24
	v_and_b32_e32 v34, 0xffff0000, v34
	v_cndmask_b32_e32 v21, v38, v39, vcc_lo
	v_add3_u32 v38, v40, v35, 0x7fff
	v_or_b32_e32 v39, 0x400000, v35
	v_bfe_u32 v40, v22, 16, 1
	v_cmp_u_f32_e32 vcc_lo, v35, v35
	v_mul_f32_e32 v24, v30, v24
	v_or_b32_e32 v67, 0x400000, v23
	v_and_b32_e32 v21, 0xffff0000, v21
	v_and_b32_e32 v36, 0xffff0000, v36
	v_cndmask_b32_e32 v35, v38, v39, vcc_lo
	v_add3_u32 v38, v40, v22, 0x7fff
	v_or_b32_e32 v39, 0x400000, v22
	v_bfe_u32 v40, v65, 16, 1
	v_cmp_u_f32_e32 vcc_lo, v22, v22
	v_bfe_u32 v69, v24, 16, 1
	v_and_b32_e32 v35, 0xffff0000, v35
	v_add_f32_e32 v21, v21, v34
	v_cndmask_b32_e32 v22, v38, v39, vcc_lo
	v_bfe_u32 v38, v23, 16, 1
	v_add3_u32 v39, v40, v65, 0x7fff
	v_mul_f32_e32 v40, v28, v66
	v_or_b32_e32 v66, 0x400000, v65
	v_cmp_u_f32_e32 vcc_lo, v65, v65
	v_add3_u32 v38, v38, v23, 0x7fff
	v_add3_u32 v65, v69, v24, 0x7fff
	v_bfe_u32 v68, v40, 16, 1
	v_and_b32_e32 v22, 0xffff0000, v22
	v_cndmask_b32_e32 v39, v39, v66, vcc_lo
	v_cmp_u_f32_e32 vcc_lo, v23, v23
	v_or_b32_e32 v66, 0x400000, v24
	v_add_f32_e32 v22, v22, v35
	v_and_b32_e32 v34, 0xffff0000, v39
	v_cndmask_b32_e32 v23, v38, v67, vcc_lo
	v_cmp_u_f32_e32 vcc_lo, v24, v24
	v_add3_u32 v38, v68, v40, 0x7fff
	v_or_b32_e32 v67, 0x400000, v40
	v_add_f32_e32 v21, v22, v21
	v_and_b32_e32 v23, 0xffff0000, v23
	v_cndmask_b32_e32 v24, v65, v66, vcc_lo
	v_cmp_u_f32_e32 vcc_lo, v40, v40
	v_add_f32_e32 v22, v23, v34
	v_and_b32_e32 v23, 0xffff0000, v24
	v_cndmask_b32_e32 v35, v38, v67, vcc_lo
	v_and_b32_e32 v38, 0xffff0000, v64
	v_and_b32_e32 v34, 0xffff0000, v17
	v_lshlrev_b32_e32 v17, 16, v17
	v_add_f32_e32 v21, v22, v21
	v_and_b32_e32 v24, 0xffff0000, v35
	v_add_f32_e32 v35, v36, v38
	v_mul_f32_e32 v17, v29, v17
	v_add_f32_e32 v22, v23, v24
	v_mul_f32_e32 v23, v25, v34
	v_add_f32_e32 v24, v35, v33
	v_and_b32_e32 v33, 0xffff0000, v18
	v_lshlrev_b32_e32 v18, 16, v18
	v_add_f32_e32 v21, v22, v21
	v_bfe_u32 v22, v23, 16, 1
	v_add_f32_e32 v51, v51, v24
	v_bfe_u32 v24, v17, 16, 1
	v_mul_f32_e32 v33, v26, v33
	v_add_f32_e32 v52, v52, v21
	v_add3_u32 v21, v22, v23, 0x7fff
	v_or_b32_e32 v22, 0x400000, v23
	v_cmp_u_f32_e32 vcc_lo, v23, v23
	v_add3_u32 v24, v24, v17, 0x7fff
	v_or_b32_e32 v34, 0x400000, v17
	v_mul_f32_e32 v18, v31, v18
	v_and_b32_e32 v23, 0xffff0000, v19
	v_cndmask_b32_e32 v21, v21, v22, vcc_lo
	v_bfe_u32 v22, v33, 16, 1
	v_cmp_u_f32_e32 vcc_lo, v17, v17
	v_lshlrev_b32_e32 v19, 16, v19
	v_mul_f32_e32 v23, v27, v23
	v_and_b32_e32 v35, 0xffff0000, v20
	v_add3_u32 v22, v22, v33, 0x7fff
	v_cndmask_b32_e32 v17, v24, v34, vcc_lo
	v_or_b32_e32 v24, 0x400000, v33
	v_bfe_u32 v34, v18, 16, 1
	v_cmp_u_f32_e32 vcc_lo, v33, v33
	v_mul_f32_e32 v19, v32, v19
	v_or_b32_e32 v33, 0x400000, v18
	v_lshlrev_b32_e32 v20, 16, v20
	v_and_b32_e32 v17, 0xffff0000, v17
	v_cndmask_b32_e32 v22, v22, v24, vcc_lo
	v_add3_u32 v24, v34, v18, 0x7fff
	v_bfe_u32 v34, v23, 16, 1
	v_cmp_u_f32_e32 vcc_lo, v18, v18
	v_bfe_u32 v36, v19, 16, 1
	v_mul_f32_e32 v20, v30, v20
	v_and_b32_e32 v21, 0xffff0000, v21
	v_and_b32_e32 v22, 0xffff0000, v22
	v_cndmask_b32_e32 v18, v24, v33, vcc_lo
	v_add3_u32 v24, v34, v23, 0x7fff
	v_mul_f32_e32 v33, v28, v35
	v_or_b32_e32 v34, 0x400000, v23
	v_cmp_u_f32_e32 vcc_lo, v23, v23
	v_add3_u32 v35, v36, v19, 0x7fff
	v_or_b32_e32 v36, 0x400000, v19
	v_bfe_u32 v37, v33, 16, 1
	v_and_b32_e32 v18, 0xffff0000, v18
	v_cndmask_b32_e32 v23, v24, v34, vcc_lo
	v_cmp_u_f32_e32 vcc_lo, v19, v19
	v_or_b32_e32 v34, 0x400000, v33
	v_add3_u32 v24, v37, v33, 0x7fff
	v_add_f32_e32 v17, v17, v21
	v_add_f32_e32 v18, v18, v22
	v_cndmask_b32_e32 v19, v35, v36, vcc_lo
	v_bfe_u32 v35, v20, 16, 1
	v_cmp_u_f32_e32 vcc_lo, v33, v33
	v_and_b32_e32 v22, 0xffff0000, v13
	v_and_b32_e32 v21, 0xffff0000, v23
	v_and_b32_e32 v19, 0xffff0000, v19
	v_add3_u32 v33, v35, v20, 0x7fff
	v_cndmask_b32_e32 v24, v24, v34, vcc_lo
	v_or_b32_e32 v34, 0x400000, v20
	v_cmp_u_f32_e32 vcc_lo, v20, v20
	v_lshlrev_b32_e32 v13, 16, v13
	v_add_f32_e32 v17, v18, v17
	v_mul_f32_e32 v18, v25, v22
	v_add_f32_e32 v19, v19, v21
	v_cndmask_b32_e32 v20, v33, v34, vcc_lo
	v_mul_f32_e32 v21, v29, v13
	v_and_b32_e32 v22, 0xffff0000, v24
	v_bfe_u32 v23, v18, 16, 1
	v_and_b32_e32 v24, 0xffff0000, v14
	v_and_b32_e32 v20, 0xffff0000, v20
	v_add_f32_e32 v13, v19, v17
	v_bfe_u32 v19, v21, 16, 1
	v_lshlrev_b32_e32 v14, 16, v14
	v_cmp_u_f32_e32 vcc_lo, v18, v18
	v_add_f32_e32 v17, v20, v22
	v_add3_u32 v20, v23, v18, 0x7fff
	v_or_b32_e32 v22, 0x400000, v18
	v_mul_f32_e32 v23, v26, v24
	v_add3_u32 v19, v19, v21, 0x7fff
	v_or_b32_e32 v24, 0x400000, v21
	v_mul_f32_e32 v14, v31, v14
	v_cndmask_b32_e32 v18, v20, v22, vcc_lo
	v_bfe_u32 v20, v23, 16, 1
	v_cmp_u_f32_e32 vcc_lo, v21, v21
	v_and_b32_e32 v21, 0xffff0000, v15
	v_or_b32_e32 v22, 0x400000, v23
	v_lshlrev_b32_e32 v15, 16, v15
	v_add3_u32 v20, v20, v23, 0x7fff
	v_cndmask_b32_e32 v19, v19, v24, vcc_lo
	v_bfe_u32 v24, v14, 16, 1
	v_mul_f32_e32 v21, v27, v21
	v_cmp_u_f32_e32 vcc_lo, v23, v23
	v_mul_f32_e32 v15, v32, v15
	v_or_b32_e32 v23, 0x400000, v14
	v_and_b32_e32 v33, 0xffff0000, v16
	v_lshlrev_b32_e32 v16, 16, v16
	v_cndmask_b32_e32 v20, v20, v22, vcc_lo
	v_add3_u32 v22, v24, v14, 0x7fff
	v_bfe_u32 v24, v21, 16, 1
	v_cmp_u_f32_e32 vcc_lo, v14, v14
	v_bfe_u32 v34, v15, 16, 1
	v_mul_f32_e32 v16, v30, v16
	v_and_b32_e32 v19, 0xffff0000, v19
	v_and_b32_e32 v18, 0xffff0000, v18
	v_cndmask_b32_e32 v14, v22, v23, vcc_lo
	v_add3_u32 v22, v24, v21, 0x7fff
	v_mul_f32_e32 v23, v28, v33
	v_or_b32_e32 v24, 0x400000, v21
	v_cmp_u_f32_e32 vcc_lo, v21, v21
	v_add3_u32 v33, v34, v15, 0x7fff
	v_or_b32_e32 v34, 0x400000, v15
	v_bfe_u32 v35, v23, 16, 1
	v_and_b32_e32 v14, 0xffff0000, v14
	v_cndmask_b32_e32 v21, v22, v24, vcc_lo
	v_cmp_u_f32_e32 vcc_lo, v15, v15
	v_or_b32_e32 v24, 0x400000, v23
	v_add3_u32 v22, v35, v23, 0x7fff
	v_and_b32_e32 v20, 0xffff0000, v20
	v_add_f32_e32 v18, v19, v18
	v_cndmask_b32_e32 v15, v33, v34, vcc_lo
	v_bfe_u32 v33, v16, 16, 1
	v_cmp_u_f32_e32 vcc_lo, v23, v23
	v_add_f32_e32 v14, v14, v20
	v_and_b32_e32 v20, 0xffff0000, v5
	v_and_b32_e32 v15, 0xffff0000, v15
	v_add3_u32 v23, v33, v16, 0x7fff
	v_cndmask_b32_e32 v22, v22, v24, vcc_lo
	v_or_b32_e32 v24, 0x400000, v16
	v_cmp_u_f32_e32 vcc_lo, v16, v16
	v_and_b32_e32 v19, 0xffff0000, v21
	v_lshlrev_b32_e32 v5, 16, v5
	v_add_f32_e32 v14, v14, v18
	v_mul_f32_e32 v18, v25, v20
	v_cndmask_b32_e32 v16, v23, v24, vcc_lo
	v_add_f32_e32 v15, v15, v19
	v_mul_f32_e32 v19, v29, v5
	v_and_b32_e32 v20, 0xffff0000, v22
	v_and_b32_e32 v21, 0xffff0000, v6
	;; [unrolled: 1-line block ×3, first 2 shown]
	v_bfe_u32 v22, v18, 16, 1
	v_add_f32_e32 v5, v15, v14
	v_bfe_u32 v15, v19, 16, 1
	v_cmp_u_f32_e32 vcc_lo, v18, v18
	v_add_f32_e32 v14, v16, v20
	v_mul_f32_e32 v16, v26, v21
	v_add3_u32 v20, v22, v18, 0x7fff
	v_or_b32_e32 v21, 0x400000, v18
	v_add3_u32 v15, v15, v19, 0x7fff
	v_or_b32_e32 v22, 0x400000, v19
	v_bfe_u32 v23, v16, 16, 1
	v_lshlrev_b32_e32 v6, 16, v6
	v_cndmask_b32_e32 v18, v20, v21, vcc_lo
	v_cmp_u_f32_e32 vcc_lo, v19, v19
	v_or_b32_e32 v20, 0x400000, v16
	v_add3_u32 v19, v23, v16, 0x7fff
	v_mul_f32_e32 v6, v31, v6
	v_and_b32_e32 v21, 0xffff0000, v7
	v_cndmask_b32_e32 v15, v15, v22, vcc_lo
	v_cmp_u_f32_e32 vcc_lo, v16, v16
	v_lshlrev_b32_e32 v7, 16, v7
	v_bfe_u32 v22, v6, 16, 1
	v_and_b32_e32 v18, 0xffff0000, v18
	v_and_b32_e32 v15, 0xffff0000, v15
	v_cndmask_b32_e32 v16, v19, v20, vcc_lo
	v_mul_f32_e32 v19, v27, v21
	v_mul_f32_e32 v7, v32, v7
	v_add3_u32 v20, v22, v6, 0x7fff
	v_or_b32_e32 v21, 0x400000, v6
	v_and_b32_e32 v22, 0xffff0000, v8
	v_bfe_u32 v23, v19, 16, 1
	v_cmp_u_f32_e32 vcc_lo, v6, v6
	v_bfe_u32 v24, v7, 16, 1
	v_lshlrev_b32_e32 v8, 16, v8
	v_and_b32_e32 v16, 0xffff0000, v16
	v_add_f32_e32 v15, v15, v18
	v_cndmask_b32_e32 v6, v20, v21, vcc_lo
	v_mul_f32_e32 v20, v28, v22
	v_add3_u32 v21, v23, v19, 0x7fff
	v_or_b32_e32 v22, 0x400000, v19
	v_cmp_u_f32_e32 vcc_lo, v19, v19
	v_add3_u32 v23, v24, v7, 0x7fff
	v_or_b32_e32 v24, 0x400000, v7
	v_bfe_u32 v33, v20, 16, 1
	v_and_b32_e32 v6, 0xffff0000, v6
	v_cndmask_b32_e32 v19, v21, v22, vcc_lo
	v_cmp_u_f32_e32 vcc_lo, v7, v7
	v_or_b32_e32 v22, 0x400000, v20
	v_add3_u32 v21, v33, v20, 0x7fff
	v_mul_f32_e32 v8, v30, v8
	v_add_f32_e32 v6, v6, v16
	v_cndmask_b32_e32 v7, v23, v24, vcc_lo
	v_cmp_u_f32_e32 vcc_lo, v20, v20
	v_and_b32_e32 v16, 0xffff0000, v1
	v_and_b32_e32 v18, 0xffff0000, v19
	v_add_f32_e32 v6, v6, v15
	v_and_b32_e32 v7, 0xffff0000, v7
	v_cndmask_b32_e32 v20, v21, v22, vcc_lo
	v_bfe_u32 v21, v8, 16, 1
	v_mul_f32_e32 v15, v25, v16
	v_lshlrev_b32_e32 v1, 16, v1
	v_add_f32_e32 v7, v7, v18
	v_cmp_u_f32_e32 vcc_lo, v8, v8
	v_add3_u32 v19, v21, v8, 0x7fff
	v_or_b32_e32 v21, 0x400000, v8
	v_bfe_u32 v16, v15, 16, 1
	v_add_f32_e32 v6, v7, v6
	v_and_b32_e32 v7, 0xffff0000, v2
	v_mul_f32_e32 v1, v29, v1
	v_cndmask_b32_e32 v8, v19, v21, vcc_lo
	v_add3_u32 v16, v16, v15, 0x7fff
	v_or_b32_e32 v18, 0x400000, v15
	v_mul_f32_e32 v7, v26, v7
	v_and_b32_e32 v19, 0xffff0000, v20
	v_bfe_u32 v20, v1, 16, 1
	v_cmp_u_f32_e32 vcc_lo, v15, v15
	v_lshlrev_b32_e32 v2, 16, v2
	v_or_b32_e32 v21, 0x400000, v1
	v_or_b32_e32 v22, 0x400000, v7
	v_and_b32_e32 v8, 0xffff0000, v8
	v_cndmask_b32_e32 v15, v16, v18, vcc_lo
	v_bfe_u32 v16, v7, 16, 1
	v_add3_u32 v18, v20, v1, 0x7fff
	v_and_b32_e32 v20, 0xffff0000, v3
	v_mul_f32_e32 v2, v31, v2
	v_cmp_u_f32_e32 vcc_lo, v1, v1
	v_add3_u32 v16, v16, v7, 0x7fff
	v_lshlrev_b32_e32 v3, 16, v3
	v_mul_f32_e32 v20, v27, v20
	v_and_b32_e32 v15, 0xffff0000, v15
	v_cndmask_b32_e32 v1, v18, v21, vcc_lo
	v_bfe_u32 v18, v2, 16, 1
	v_cmp_u_f32_e32 vcc_lo, v7, v7
	v_and_b32_e32 v21, 0xffff0000, v4
	v_mul_f32_e32 v3, v32, v3
	v_or_b32_e32 v23, 0x400000, v20
	v_add3_u32 v18, v18, v2, 0x7fff
	v_cndmask_b32_e32 v7, v16, v22, vcc_lo
	v_bfe_u32 v16, v20, 16, 1
	v_or_b32_e32 v22, 0x400000, v2
	v_cmp_u_f32_e32 vcc_lo, v2, v2
	v_mul_f32_e32 v21, v28, v21
	v_lshlrev_b32_e32 v4, 16, v4
	v_add3_u32 v16, v16, v20, 0x7fff
	v_and_b32_e32 v1, 0xffff0000, v1
	v_cndmask_b32_e32 v2, v18, v22, vcc_lo
	v_bfe_u32 v18, v3, 16, 1
	v_cmp_u_f32_e32 vcc_lo, v20, v20
	v_bfe_u32 v22, v21, 16, 1
	v_or_b32_e32 v20, 0x400000, v3
	v_mul_f32_e32 v4, v30, v4
	v_add3_u32 v18, v18, v3, 0x7fff
	v_cndmask_b32_e32 v16, v16, v23, vcc_lo
	v_cmp_u_f32_e32 vcc_lo, v3, v3
	v_add3_u32 v22, v22, v21, 0x7fff
	v_or_b32_e32 v23, 0x400000, v21
	v_and_b32_e32 v2, 0xffff0000, v2
	v_and_b32_e32 v7, 0xffff0000, v7
	v_cndmask_b32_e32 v3, v18, v20, vcc_lo
	v_cmp_u_f32_e32 vcc_lo, v21, v21
	v_bfe_u32 v20, v4, 16, 1
	v_add_f32_e32 v1, v1, v15
	v_add_f32_e32 v2, v2, v7
	v_and_b32_e32 v3, 0xffff0000, v3
	v_cndmask_b32_e32 v18, v22, v23, vcc_lo
	s_waitcnt vmcnt(0)
	v_lshlrev_b32_e32 v22, 16, v9
	v_and_b32_e32 v7, 0xffff0000, v16
	v_and_b32_e32 v9, 0xffff0000, v9
	v_add3_u32 v20, v20, v4, 0x7fff
	v_or_b32_e32 v21, 0x400000, v4
	v_mul_f32_e32 v15, v29, v22
	v_cmp_u_f32_e32 vcc_lo, v4, v4
	v_add_f32_e32 v1, v2, v1
	v_add_f32_e32 v3, v3, v7
	v_mul_f32_e32 v7, v25, v9
	v_bfe_u32 v2, v15, 16, 1
	v_lshlrev_b32_e32 v9, 16, v10
	v_cndmask_b32_e32 v4, v20, v21, vcc_lo
	v_or_b32_e32 v16, 0x400000, v15
	v_bfe_u32 v20, v7, 16, 1
	v_add3_u32 v2, v2, v15, 0x7fff
	v_mul_f32_e32 v9, v31, v9
	v_and_b32_e32 v10, 0xffff0000, v10
	v_cmp_u_f32_e32 vcc_lo, v15, v15
	v_add3_u32 v15, v20, v7, 0x7fff
	v_lshlrev_b32_e32 v21, 16, v11
	v_bfe_u32 v20, v9, 16, 1
	v_mul_f32_e32 v10, v26, v10
	v_cndmask_b32_e32 v2, v2, v16, vcc_lo
	v_or_b32_e32 v16, 0x400000, v7
	v_cmp_u_f32_e32 vcc_lo, v7, v7
	v_mul_f32_e32 v21, v32, v21
	v_and_b32_e32 v11, 0xffff0000, v11
	v_lshlrev_b32_e32 v22, 16, v12
	v_and_b32_e32 v12, 0xffff0000, v12
	v_cndmask_b32_e32 v7, v15, v16, vcc_lo
	v_add3_u32 v15, v20, v9, 0x7fff
	v_or_b32_e32 v16, 0x400000, v9
	v_bfe_u32 v20, v10, 16, 1
	v_cmp_u_f32_e32 vcc_lo, v9, v9
	v_mul_f32_e32 v11, v27, v11
	v_mul_f32_e32 v12, v28, v12
	v_and_b32_e32 v7, 0xffff0000, v7
	v_and_b32_e32 v2, 0xffff0000, v2
	v_cndmask_b32_e32 v9, v15, v16, vcc_lo
	v_add3_u32 v15, v20, v10, 0x7fff
	v_or_b32_e32 v16, 0x400000, v10
	v_bfe_u32 v20, v21, 16, 1
	v_cmp_u_f32_e32 vcc_lo, v10, v10
	v_or_b32_e32 v23, 0x400000, v11
	v_bfe_u32 v25, v12, 16, 1
	v_and_b32_e32 v9, 0xffff0000, v9
	v_add_f32_e32 v2, v2, v7
	v_cndmask_b32_e32 v10, v15, v16, vcc_lo
	v_bfe_u32 v15, v11, 16, 1
	v_add3_u32 v16, v20, v21, 0x7fff
	v_mul_f32_e32 v20, v30, v22
	v_or_b32_e32 v22, 0x400000, v21
	v_cmp_u_f32_e32 vcc_lo, v21, v21
	v_add3_u32 v15, v15, v11, 0x7fff
	v_add3_u32 v21, v25, v12, 0x7fff
	v_bfe_u32 v24, v20, 16, 1
	v_and_b32_e32 v10, 0xffff0000, v10
	v_cndmask_b32_e32 v16, v16, v22, vcc_lo
	v_cmp_u_f32_e32 vcc_lo, v11, v11
	v_or_b32_e32 v22, 0x400000, v12
	v_and_b32_e32 v4, 0xffff0000, v4
	v_add_f32_e32 v7, v9, v10
	v_and_b32_e32 v10, 0xffff0000, v16
	v_cndmask_b32_e32 v11, v15, v23, vcc_lo
	v_cmp_u_f32_e32 vcc_lo, v12, v12
	v_add3_u32 v15, v24, v20, 0x7fff
	v_or_b32_e32 v23, 0x400000, v20
	v_add_f32_e32 v2, v7, v2
	v_and_b32_e32 v9, 0xffff0000, v11
	v_cndmask_b32_e32 v12, v21, v22, vcc_lo
	v_cmp_u_f32_e32 vcc_lo, v20, v20
	v_add_f32_e32 v8, v8, v19
	v_add_f32_e32 v1, v3, v1
	;; [unrolled: 1-line block ×3, first 2 shown]
	v_and_b32_e32 v9, 0xffff0000, v12
	v_cndmask_b32_e32 v11, v15, v23, vcc_lo
	v_and_b32_e32 v15, 0xffff0000, v18
	v_add_f32_e32 v5, v14, v5
	v_add_f32_e32 v2, v7, v2
	;; [unrolled: 1-line block ×3, first 2 shown]
	v_and_b32_e32 v10, 0xffff0000, v11
	v_add_f32_e32 v3, v4, v15
	v_add_f32_e32 v6, v8, v6
	;; [unrolled: 1-line block ×10, first 2 shown]
.LBB132_38:                             ;   in Loop: Header=BB132_39 Depth=1
	s_or_b32 exec_lo, exec_lo, s22
	v_add_nc_u32_e32 v63, 4, v63
	v_add_co_u32 v41, s1, v41, 16
	v_add_co_ci_u32_e64 v42, null, 0, v42, s1
	v_cmp_le_i32_e32 vcc_lo, s16, v63
	v_add_nc_u32_e32 v46, 64, v46
	v_add_nc_u32_e32 v61, 0x100, v61
	s_or_b32 s17, vcc_lo, s17
	s_andn2_b32 exec_lo, exec_lo, s17
	s_cbranch_execz .LBB132_56
.LBB132_39:                             ; =>This Inner Loop Header: Depth=1
	v_mul_hi_u32 v1, v46, s21
	v_mul_lo_u32 v2, v1, s12
	v_add_nc_u32_e32 v3, 1, v1
	v_sub_nc_u32_e32 v2, v46, v2
	v_subrev_nc_u32_e32 v4, s12, v2
	v_cmp_le_u32_e32 vcc_lo, s12, v2
	v_cndmask_b32_e32 v1, v1, v3, vcc_lo
	v_cndmask_b32_e32 v2, v2, v4, vcc_lo
	v_add_nc_u32_e32 v3, 1, v1
	v_cmp_le_u32_e32 vcc_lo, s12, v2
	v_cndmask_b32_e32 v1, v1, v3, vcc_lo
	v_xor_b32_e32 v1, s19, v1
	v_subrev_nc_u32_e32 v1, s19, v1
	v_add_nc_u32_e32 v2, s31, v1
	v_cmp_lt_i32_e64 s1, s5, v1
	v_sub_nc_u32_e32 v3, 0, v2
	v_max_i32_e32 v3, v2, v3
	v_ashrrev_i32_e32 v2, 31, v2
	v_mul_hi_u32 v4, v3, v62
	v_mul_lo_u32 v4, v4, s14
	v_sub_nc_u32_e32 v3, v3, v4
	v_subrev_nc_u32_e32 v4, s14, v3
	v_cmp_le_u32_e32 vcc_lo, s14, v3
	v_cndmask_b32_e32 v3, v3, v4, vcc_lo
	v_subrev_nc_u32_e32 v4, s14, v3
	v_cmp_le_u32_e32 vcc_lo, s14, v3
	v_cndmask_b32_e32 v3, v3, v4, vcc_lo
	v_xor_b32_e32 v3, v3, v2
	v_sub_nc_u32_e32 v2, v3, v2
	v_cmp_eq_u32_e32 vcc_lo, 0, v2
	s_or_b32 s1, vcc_lo, s1
	s_and_saveexec_b32 s22, s1
	s_cbranch_execz .LBB132_38
; %bb.40:                               ;   in Loop: Header=BB132_39 Depth=1
	global_load_dword v1, v[41:42], off
	v_add_nc_u32_e32 v68, v57, v46
	v_cmp_eq_u32_e64 s1, s15, v63
	v_add_nc_u32_e32 v71, 1, v68
	v_or_b32_e32 v69, 3, v68
	v_or_b32_e32 v70, 2, v68
	;; [unrolled: 1-line block ×6, first 2 shown]
	s_waitcnt vmcnt(0)
	v_mad_i64_i32 v[1:2], null, v1, s13, 0
	v_lshlrev_b64 v[1:2], 1, v[1:2]
	v_add_co_u32 v9, vcc_lo, v59, v1
	v_add_co_ci_u32_e64 v10, null, v60, v2, vcc_lo
	global_load_dwordx4 v[1:4], v[9:10], off
	ds_read2_b64 v[29:32], v61 offset1:1
	ds_read2_b64 v[25:28], v61 offset0:2 offset1:3
	s_and_saveexec_b32 s23, s1
	s_cbranch_execnz .LBB132_49
; %bb.41:                               ;   in Loop: Header=BB132_39 Depth=1
	s_or_b32 exec_lo, exec_lo, s23
	global_load_dwordx4 v[5:8], v[9:10], off offset:512
	s_and_saveexec_b32 s23, s1
	s_cbranch_execnz .LBB132_50
.LBB132_42:                             ;   in Loop: Header=BB132_39 Depth=1
	s_or_b32 exec_lo, exec_lo, s23
	global_load_dwordx4 v[13:16], v[9:10], off offset:1024
	s_and_saveexec_b32 s23, s1
	s_cbranch_execnz .LBB132_51
.LBB132_43:                             ;   in Loop: Header=BB132_39 Depth=1
	s_or_b32 exec_lo, exec_lo, s23
	global_load_dwordx4 v[17:20], v[9:10], off offset:1536
	s_and_saveexec_b32 s23, s1
	s_cbranch_execz .LBB132_45
.LBB132_44:                             ;   in Loop: Header=BB132_39 Depth=1
	v_cmp_gt_i32_e64 s2, s30, v68
	v_cmp_gt_i32_e32 vcc_lo, s18, v71
	v_cmp_gt_i32_e64 s3, s30, v70
	s_waitcnt vmcnt(0)
	v_cndmask_b32_e64 v11, 0, v17, s2
	v_cmp_gt_i32_e64 s2, s18, v69
	v_cndmask_b32_sdwa v17, v58, v17, vcc_lo dst_sel:DWORD dst_unused:UNUSED_PAD src0_sel:DWORD src1_sel:WORD_1
	v_cndmask_b32_e64 v12, 0, v18, s3
	v_cmp_gt_i32_e64 s3, s18, v67
	s_mov_b32 vcc_lo, s2
	v_cmp_gt_i32_e64 s2, s18, v65
	v_cndmask_b32_sdwa v18, v58, v18, vcc_lo dst_sel:DWORD dst_unused:UNUSED_PAD src0_sel:DWORD src1_sel:WORD_1
	v_cmp_gt_i32_e32 vcc_lo, s30, v66
	v_perm_b32 v17, v17, v11, 0x5040100
	v_perm_b32 v18, v18, v12, 0x5040100
	v_cndmask_b32_e32 v21, 0, v19, vcc_lo
	s_mov_b32 vcc_lo, s3
	v_cndmask_b32_sdwa v19, v58, v19, vcc_lo dst_sel:DWORD dst_unused:UNUSED_PAD src0_sel:DWORD src1_sel:WORD_1
	v_cmp_gt_i32_e32 vcc_lo, s30, v64
	v_perm_b32 v19, v19, v21, 0x5040100
	v_cndmask_b32_e32 v22, 0, v20, vcc_lo
	s_mov_b32 vcc_lo, s2
	v_cndmask_b32_sdwa v20, v58, v20, vcc_lo dst_sel:DWORD dst_unused:UNUSED_PAD src0_sel:DWORD src1_sel:WORD_1
	v_perm_b32 v20, v20, v22, 0x5040100
.LBB132_45:                             ;   in Loop: Header=BB132_39 Depth=1
	s_or_b32 exec_lo, exec_lo, s23
	v_add_co_u32 v9, vcc_lo, 0x800, v9
	v_add_co_ci_u32_e64 v10, null, 0, v10, vcc_lo
	global_load_dwordx4 v[21:24], v[9:10], off
	s_and_saveexec_b32 s23, s1
	s_cbranch_execnz .LBB132_52
; %bb.46:                               ;   in Loop: Header=BB132_39 Depth=1
	s_or_b32 exec_lo, exec_lo, s23
	global_load_dwordx4 v[33:36], v[9:10], off offset:512
	s_and_saveexec_b32 s23, s1
	s_cbranch_execnz .LBB132_53
.LBB132_47:                             ;   in Loop: Header=BB132_39 Depth=1
	s_or_b32 exec_lo, exec_lo, s23
	global_load_dwordx4 v[37:40], v[9:10], off offset:1024
	s_and_saveexec_b32 s23, s1
	s_cbranch_execnz .LBB132_54
.LBB132_48:                             ;   in Loop: Header=BB132_39 Depth=1
	s_or_b32 exec_lo, exec_lo, s23
	global_load_dwordx4 v[9:12], v[9:10], off offset:1536
	s_and_saveexec_b32 s3, s1
	s_cbranch_execz .LBB132_37
	s_branch .LBB132_55
.LBB132_49:                             ;   in Loop: Header=BB132_39 Depth=1
	v_cmp_gt_i32_e64 s2, s30, v68
	v_cmp_gt_i32_e32 vcc_lo, s18, v71
	v_cmp_gt_i32_e64 s3, s30, v70
	s_waitcnt vmcnt(0)
	v_cndmask_b32_e64 v5, 0, v1, s2
	v_cmp_gt_i32_e64 s2, s18, v69
	v_cndmask_b32_sdwa v1, v58, v1, vcc_lo dst_sel:DWORD dst_unused:UNUSED_PAD src0_sel:DWORD src1_sel:WORD_1
	v_cndmask_b32_e64 v6, 0, v2, s3
	v_cmp_gt_i32_e64 s3, s18, v67
	s_mov_b32 vcc_lo, s2
	v_cmp_gt_i32_e64 s2, s18, v65
	v_cndmask_b32_sdwa v2, v58, v2, vcc_lo dst_sel:DWORD dst_unused:UNUSED_PAD src0_sel:DWORD src1_sel:WORD_1
	v_cmp_gt_i32_e32 vcc_lo, s30, v66
	v_perm_b32 v1, v1, v5, 0x5040100
	v_perm_b32 v2, v2, v6, 0x5040100
	v_cndmask_b32_e32 v7, 0, v3, vcc_lo
	s_mov_b32 vcc_lo, s3
	v_cndmask_b32_sdwa v3, v58, v3, vcc_lo dst_sel:DWORD dst_unused:UNUSED_PAD src0_sel:DWORD src1_sel:WORD_1
	v_cmp_gt_i32_e32 vcc_lo, s30, v64
	v_perm_b32 v3, v3, v7, 0x5040100
	v_cndmask_b32_e32 v8, 0, v4, vcc_lo
	s_mov_b32 vcc_lo, s2
	v_cndmask_b32_sdwa v4, v58, v4, vcc_lo dst_sel:DWORD dst_unused:UNUSED_PAD src0_sel:DWORD src1_sel:WORD_1
	v_perm_b32 v4, v4, v8, 0x5040100
	s_or_b32 exec_lo, exec_lo, s23
	global_load_dwordx4 v[5:8], v[9:10], off offset:512
	s_and_saveexec_b32 s23, s1
	s_cbranch_execz .LBB132_42
.LBB132_50:                             ;   in Loop: Header=BB132_39 Depth=1
	v_cmp_gt_i32_e64 s2, s30, v68
	v_cmp_gt_i32_e32 vcc_lo, s18, v71
	v_cmp_gt_i32_e64 s3, s30, v70
	s_waitcnt vmcnt(0)
	v_cndmask_b32_e64 v11, 0, v5, s2
	v_cmp_gt_i32_e64 s2, s18, v69
	v_cndmask_b32_sdwa v5, v58, v5, vcc_lo dst_sel:DWORD dst_unused:UNUSED_PAD src0_sel:DWORD src1_sel:WORD_1
	v_cndmask_b32_e64 v12, 0, v6, s3
	v_cmp_gt_i32_e64 s3, s18, v67
	s_mov_b32 vcc_lo, s2
	v_cmp_gt_i32_e64 s2, s18, v65
	v_cndmask_b32_sdwa v6, v58, v6, vcc_lo dst_sel:DWORD dst_unused:UNUSED_PAD src0_sel:DWORD src1_sel:WORD_1
	v_cmp_gt_i32_e32 vcc_lo, s30, v66
	v_perm_b32 v5, v5, v11, 0x5040100
	v_perm_b32 v6, v6, v12, 0x5040100
	v_cndmask_b32_e32 v13, 0, v7, vcc_lo
	s_mov_b32 vcc_lo, s3
	v_cndmask_b32_sdwa v7, v58, v7, vcc_lo dst_sel:DWORD dst_unused:UNUSED_PAD src0_sel:DWORD src1_sel:WORD_1
	v_cmp_gt_i32_e32 vcc_lo, s30, v64
	v_perm_b32 v7, v7, v13, 0x5040100
	v_cndmask_b32_e32 v14, 0, v8, vcc_lo
	s_mov_b32 vcc_lo, s2
	v_cndmask_b32_sdwa v8, v58, v8, vcc_lo dst_sel:DWORD dst_unused:UNUSED_PAD src0_sel:DWORD src1_sel:WORD_1
	v_perm_b32 v8, v8, v14, 0x5040100
	s_or_b32 exec_lo, exec_lo, s23
	global_load_dwordx4 v[13:16], v[9:10], off offset:1024
	s_and_saveexec_b32 s23, s1
	s_cbranch_execz .LBB132_43
.LBB132_51:                             ;   in Loop: Header=BB132_39 Depth=1
	v_cmp_gt_i32_e64 s2, s30, v68
	v_cmp_gt_i32_e32 vcc_lo, s18, v71
	v_cmp_gt_i32_e64 s3, s30, v70
	s_waitcnt vmcnt(0)
	v_cndmask_b32_e64 v11, 0, v13, s2
	v_cmp_gt_i32_e64 s2, s18, v69
	v_cndmask_b32_sdwa v13, v58, v13, vcc_lo dst_sel:DWORD dst_unused:UNUSED_PAD src0_sel:DWORD src1_sel:WORD_1
	v_cndmask_b32_e64 v12, 0, v14, s3
	v_cmp_gt_i32_e64 s3, s18, v67
	s_mov_b32 vcc_lo, s2
	v_cmp_gt_i32_e64 s2, s18, v65
	v_cndmask_b32_sdwa v14, v58, v14, vcc_lo dst_sel:DWORD dst_unused:UNUSED_PAD src0_sel:DWORD src1_sel:WORD_1
	v_cmp_gt_i32_e32 vcc_lo, s30, v66
	v_perm_b32 v13, v13, v11, 0x5040100
	v_perm_b32 v14, v14, v12, 0x5040100
	v_cndmask_b32_e32 v17, 0, v15, vcc_lo
	s_mov_b32 vcc_lo, s3
	v_cndmask_b32_sdwa v15, v58, v15, vcc_lo dst_sel:DWORD dst_unused:UNUSED_PAD src0_sel:DWORD src1_sel:WORD_1
	v_cmp_gt_i32_e32 vcc_lo, s30, v64
	v_perm_b32 v15, v15, v17, 0x5040100
	v_cndmask_b32_e32 v18, 0, v16, vcc_lo
	s_mov_b32 vcc_lo, s2
	v_cndmask_b32_sdwa v16, v58, v16, vcc_lo dst_sel:DWORD dst_unused:UNUSED_PAD src0_sel:DWORD src1_sel:WORD_1
	v_perm_b32 v16, v16, v18, 0x5040100
	s_or_b32 exec_lo, exec_lo, s23
	global_load_dwordx4 v[17:20], v[9:10], off offset:1536
	s_and_saveexec_b32 s23, s1
	s_cbranch_execnz .LBB132_44
	s_branch .LBB132_45
.LBB132_52:                             ;   in Loop: Header=BB132_39 Depth=1
	v_cmp_gt_i32_e64 s2, s30, v68
	v_cmp_gt_i32_e32 vcc_lo, s18, v71
	v_cmp_gt_i32_e64 s3, s30, v70
	s_waitcnt vmcnt(0)
	v_cndmask_b32_e64 v11, 0, v21, s2
	v_cmp_gt_i32_e64 s2, s18, v69
	v_cndmask_b32_sdwa v21, v58, v21, vcc_lo dst_sel:DWORD dst_unused:UNUSED_PAD src0_sel:DWORD src1_sel:WORD_1
	v_cndmask_b32_e64 v12, 0, v22, s3
	v_cmp_gt_i32_e64 s3, s18, v67
	s_mov_b32 vcc_lo, s2
	v_cmp_gt_i32_e64 s2, s18, v65
	v_cndmask_b32_sdwa v22, v58, v22, vcc_lo dst_sel:DWORD dst_unused:UNUSED_PAD src0_sel:DWORD src1_sel:WORD_1
	v_cmp_gt_i32_e32 vcc_lo, s30, v66
	v_perm_b32 v21, v21, v11, 0x5040100
	v_perm_b32 v22, v22, v12, 0x5040100
	v_cndmask_b32_e32 v33, 0, v23, vcc_lo
	s_mov_b32 vcc_lo, s3
	v_cndmask_b32_sdwa v23, v58, v23, vcc_lo dst_sel:DWORD dst_unused:UNUSED_PAD src0_sel:DWORD src1_sel:WORD_1
	v_cmp_gt_i32_e32 vcc_lo, s30, v64
	v_perm_b32 v23, v23, v33, 0x5040100
	v_cndmask_b32_e32 v34, 0, v24, vcc_lo
	s_mov_b32 vcc_lo, s2
	v_cndmask_b32_sdwa v24, v58, v24, vcc_lo dst_sel:DWORD dst_unused:UNUSED_PAD src0_sel:DWORD src1_sel:WORD_1
	v_perm_b32 v24, v24, v34, 0x5040100
	s_or_b32 exec_lo, exec_lo, s23
	global_load_dwordx4 v[33:36], v[9:10], off offset:512
	s_and_saveexec_b32 s23, s1
	s_cbranch_execz .LBB132_47
.LBB132_53:                             ;   in Loop: Header=BB132_39 Depth=1
	v_cmp_gt_i32_e64 s2, s30, v68
	v_cmp_gt_i32_e32 vcc_lo, s18, v71
	v_cmp_gt_i32_e64 s3, s30, v70
	s_waitcnt vmcnt(0)
	v_cndmask_b32_e64 v11, 0, v33, s2
	v_cmp_gt_i32_e64 s2, s18, v69
	v_cndmask_b32_sdwa v33, v58, v33, vcc_lo dst_sel:DWORD dst_unused:UNUSED_PAD src0_sel:DWORD src1_sel:WORD_1
	v_cndmask_b32_e64 v12, 0, v34, s3
	v_cmp_gt_i32_e64 s3, s18, v67
	s_mov_b32 vcc_lo, s2
	v_cmp_gt_i32_e64 s2, s18, v65
	v_cndmask_b32_sdwa v34, v58, v34, vcc_lo dst_sel:DWORD dst_unused:UNUSED_PAD src0_sel:DWORD src1_sel:WORD_1
	v_cmp_gt_i32_e32 vcc_lo, s30, v66
	v_perm_b32 v33, v33, v11, 0x5040100
	v_perm_b32 v34, v34, v12, 0x5040100
	v_cndmask_b32_e32 v37, 0, v35, vcc_lo
	s_mov_b32 vcc_lo, s3
	v_cndmask_b32_sdwa v35, v58, v35, vcc_lo dst_sel:DWORD dst_unused:UNUSED_PAD src0_sel:DWORD src1_sel:WORD_1
	v_cmp_gt_i32_e32 vcc_lo, s30, v64
	v_perm_b32 v35, v35, v37, 0x5040100
	v_cndmask_b32_e32 v38, 0, v36, vcc_lo
	s_mov_b32 vcc_lo, s2
	v_cndmask_b32_sdwa v36, v58, v36, vcc_lo dst_sel:DWORD dst_unused:UNUSED_PAD src0_sel:DWORD src1_sel:WORD_1
	v_perm_b32 v36, v36, v38, 0x5040100
	s_or_b32 exec_lo, exec_lo, s23
	global_load_dwordx4 v[37:40], v[9:10], off offset:1024
	s_and_saveexec_b32 s23, s1
	s_cbranch_execz .LBB132_48
.LBB132_54:                             ;   in Loop: Header=BB132_39 Depth=1
	v_cmp_gt_i32_e64 s2, s30, v68
	v_cmp_gt_i32_e32 vcc_lo, s18, v71
	v_cmp_gt_i32_e64 s3, s30, v70
	s_waitcnt vmcnt(0)
	v_cndmask_b32_e64 v11, 0, v37, s2
	v_cmp_gt_i32_e64 s2, s18, v69
	v_cndmask_b32_sdwa v37, v58, v37, vcc_lo dst_sel:DWORD dst_unused:UNUSED_PAD src0_sel:DWORD src1_sel:WORD_1
	v_cndmask_b32_e64 v12, 0, v38, s3
	v_cmp_gt_i32_e64 s3, s18, v67
	s_mov_b32 vcc_lo, s2
	v_cmp_gt_i32_e64 s2, s18, v65
	v_cndmask_b32_sdwa v38, v58, v38, vcc_lo dst_sel:DWORD dst_unused:UNUSED_PAD src0_sel:DWORD src1_sel:WORD_1
	v_cmp_gt_i32_e32 vcc_lo, s30, v66
	v_perm_b32 v37, v37, v11, 0x5040100
	v_perm_b32 v38, v38, v12, 0x5040100
	v_cndmask_b32_e32 v72, 0, v39, vcc_lo
	s_mov_b32 vcc_lo, s3
	v_cndmask_b32_sdwa v39, v58, v39, vcc_lo dst_sel:DWORD dst_unused:UNUSED_PAD src0_sel:DWORD src1_sel:WORD_1
	v_cmp_gt_i32_e32 vcc_lo, s30, v64
	v_perm_b32 v39, v39, v72, 0x5040100
	v_cndmask_b32_e32 v73, 0, v40, vcc_lo
	s_mov_b32 vcc_lo, s2
	v_cndmask_b32_sdwa v40, v58, v40, vcc_lo dst_sel:DWORD dst_unused:UNUSED_PAD src0_sel:DWORD src1_sel:WORD_1
	v_perm_b32 v40, v40, v73, 0x5040100
	s_or_b32 exec_lo, exec_lo, s23
	global_load_dwordx4 v[9:12], v[9:10], off offset:1536
	s_and_saveexec_b32 s3, s1
	s_cbranch_execz .LBB132_37
.LBB132_55:                             ;   in Loop: Header=BB132_39 Depth=1
	v_cmp_gt_i32_e64 s1, s30, v68
	v_cmp_gt_i32_e32 vcc_lo, s18, v71
	v_cmp_gt_i32_e64 s2, s30, v70
	s_waitcnt vmcnt(0)
	v_cndmask_b32_e64 v68, 0, v9, s1
	v_cmp_gt_i32_e64 s1, s18, v69
	v_cndmask_b32_sdwa v9, v58, v9, vcc_lo dst_sel:DWORD dst_unused:UNUSED_PAD src0_sel:DWORD src1_sel:WORD_1
	v_cndmask_b32_e64 v69, 0, v10, s2
	v_cmp_gt_i32_e64 s2, s18, v67
	s_mov_b32 vcc_lo, s1
	v_cmp_gt_i32_e64 s1, s18, v65
	v_cndmask_b32_sdwa v10, v58, v10, vcc_lo dst_sel:DWORD dst_unused:UNUSED_PAD src0_sel:DWORD src1_sel:WORD_1
	v_cmp_gt_i32_e32 vcc_lo, s30, v66
	v_perm_b32 v9, v9, v68, 0x5040100
	v_perm_b32 v10, v10, v69, 0x5040100
	v_cndmask_b32_e32 v66, 0, v11, vcc_lo
	s_mov_b32 vcc_lo, s2
	v_cndmask_b32_sdwa v11, v58, v11, vcc_lo dst_sel:DWORD dst_unused:UNUSED_PAD src0_sel:DWORD src1_sel:WORD_1
	v_cmp_gt_i32_e32 vcc_lo, s30, v64
	v_perm_b32 v11, v11, v66, 0x5040100
	v_cndmask_b32_e32 v64, 0, v12, vcc_lo
	s_mov_b32 vcc_lo, s1
	v_cndmask_b32_sdwa v12, v58, v12, vcc_lo dst_sel:DWORD dst_unused:UNUSED_PAD src0_sel:DWORD src1_sel:WORD_1
	v_perm_b32 v12, v12, v64, 0x5040100
	s_branch .LBB132_37
.LBB132_56:
	s_or_b32 exec_lo, exec_lo, s17
.LBB132_57:
	s_or_b32 exec_lo, exec_lo, s4
	ds_bpermute_b32 v1, v48, v56
	ds_bpermute_b32 v2, v48, v55
	;; [unrolled: 1-line block ×8, first 2 shown]
	v_lshrrev_b32_e32 v9, 1, v47
	v_lshlrev_b32_e32 v11, 9, v45
	v_and_b32_e32 v16, 0x3c1, v0
	s_mov_b32 s1, exec_lo
	s_waitcnt lgkmcnt(0)
	v_lshl_add_u32 v10, v9, 2, 0x120
	s_barrier
	buffer_gl0_inv
	v_add_f32_e32 v8, v56, v1
	v_add_f32_e32 v7, v55, v2
	;; [unrolled: 1-line block ×8, first 2 shown]
	v_cmpx_eq_u32_e32 64, v16
	s_cbranch_execz .LBB132_59
; %bb.58:
	v_add_nc_u32_e32 v12, v10, v11
	v_add_nc_u32_e32 v13, 0xfffffc00, v12
	;; [unrolled: 1-line block ×9, first 2 shown]
	ds_write_b32 v13, v8
	ds_write_b32 v14, v7
	;; [unrolled: 1-line block ×8, first 2 shown]
.LBB132_59:
	s_or_b32 exec_lo, exec_lo, s1
	v_lshlrev_b32_e32 v9, 2, v9
	s_mov_b32 s2, exec_lo
	v_cmp_eq_u32_e32 vcc_lo, 0, v44
	s_waitcnt lgkmcnt(0)
	s_barrier
	v_add3_u32 v9, 0x120, v11, v9
	buffer_gl0_inv
	v_cmpx_gt_u32_e32 64, v0
	s_cbranch_execz .LBB132_70
; %bb.60:
	s_and_saveexec_b32 s1, vcc_lo
	s_cbranch_execnz .LBB132_86
; %bb.61:
	s_or_b32 exec_lo, exec_lo, s1
	s_and_saveexec_b32 s1, vcc_lo
	s_cbranch_execnz .LBB132_87
.LBB132_62:
	s_or_b32 exec_lo, exec_lo, s1
	s_and_saveexec_b32 s1, vcc_lo
	s_cbranch_execnz .LBB132_88
.LBB132_63:
	s_or_b32 exec_lo, exec_lo, s1
	s_and_saveexec_b32 s1, vcc_lo
	s_cbranch_execnz .LBB132_89
.LBB132_64:
	s_or_b32 exec_lo, exec_lo, s1
	s_and_saveexec_b32 s1, vcc_lo
	s_cbranch_execnz .LBB132_90
.LBB132_65:
	s_or_b32 exec_lo, exec_lo, s1
	s_and_saveexec_b32 s1, vcc_lo
	s_cbranch_execnz .LBB132_91
.LBB132_66:
	s_or_b32 exec_lo, exec_lo, s1
	s_and_saveexec_b32 s1, vcc_lo
	s_cbranch_execnz .LBB132_92
.LBB132_67:
	s_or_b32 exec_lo, exec_lo, s1
	s_and_saveexec_b32 s1, vcc_lo
	s_cbranch_execz .LBB132_69
.LBB132_68:
	ds_read_b32 v11, v9 offset:448
	s_waitcnt lgkmcnt(0)
	v_add_f32_e32 v1, v1, v11
.LBB132_69:
	s_or_b32 exec_lo, exec_lo, s1
.LBB132_70:
	s_or_b32 exec_lo, exec_lo, s2
	v_and_b32_e32 v0, 0x3e1, v0
	s_mov_b32 s2, exec_lo
	s_barrier
	buffer_gl0_inv
	v_cmpx_eq_u32_e32 32, v0
	s_cbranch_execz .LBB132_72
; %bb.71:
	ds_write2_b32 v10, v8, v7 offset1:16
	ds_write2_b32 v10, v6, v5 offset0:32 offset1:48
	ds_write2_b32 v10, v4, v3 offset0:64 offset1:80
	;; [unrolled: 1-line block ×3, first 2 shown]
.LBB132_72:
	s_or_b32 exec_lo, exec_lo, s2
	s_waitcnt lgkmcnt(0)
	s_barrier
	buffer_gl0_inv
	s_and_saveexec_b32 s1, s0
	s_cbranch_execz .LBB132_83
; %bb.73:
	s_and_saveexec_b32 s0, vcc_lo
	s_cbranch_execnz .LBB132_93
; %bb.74:
	s_or_b32 exec_lo, exec_lo, s0
	s_and_saveexec_b32 s0, vcc_lo
	s_cbranch_execnz .LBB132_94
.LBB132_75:
	s_or_b32 exec_lo, exec_lo, s0
	s_and_saveexec_b32 s0, vcc_lo
	s_cbranch_execnz .LBB132_95
.LBB132_76:
	s_or_b32 exec_lo, exec_lo, s0
	s_and_saveexec_b32 s0, vcc_lo
	s_cbranch_execnz .LBB132_96
.LBB132_77:
	s_or_b32 exec_lo, exec_lo, s0
	s_and_saveexec_b32 s0, vcc_lo
	s_cbranch_execnz .LBB132_97
.LBB132_78:
	s_or_b32 exec_lo, exec_lo, s0
	s_and_saveexec_b32 s0, vcc_lo
	s_cbranch_execnz .LBB132_98
.LBB132_79:
	s_or_b32 exec_lo, exec_lo, s0
	s_and_saveexec_b32 s0, vcc_lo
	s_cbranch_execnz .LBB132_99
.LBB132_80:
	s_or_b32 exec_lo, exec_lo, s0
	s_and_saveexec_b32 s0, vcc_lo
	s_cbranch_execz .LBB132_82
.LBB132_81:
	ds_read_b32 v9, v9 offset:448
	s_waitcnt lgkmcnt(0)
	v_add_f32_e32 v1, v1, v9
.LBB132_82:
	s_or_b32 exec_lo, exec_lo, s0
.LBB132_83:
	s_or_b32 exec_lo, exec_lo, s1
	s_barrier
	buffer_gl0_inv
	s_mov_b32 s0, exec_lo
	v_cmpx_eq_u32_e32 0, v0
	s_cbranch_execz .LBB132_85
; %bb.84:
	s_mul_i32 s0, s10, s11
	s_mul_i32 s2, s11, s20
	;; [unrolled: 1-line block ×3, first 2 shown]
	v_bfe_u32 v9, v8, 16, 1
	s_lshl_b32 s0, s0, 7
	v_or_b32_e32 v10, 0x400000, v8
	s_ashr_i32 s1, s0, 31
	v_bfe_u32 v11, v7, 16, 1
	s_lshl_b64 s[0:1], s[0:1], 1
	v_add3_u32 v9, v9, v8, 0x7fff
	s_add_u32 s4, s6, s0
	s_addc_u32 s5, s7, s1
	s_ashr_i32 s3, s2, 31
	v_cmp_u_f32_e32 vcc_lo, v8, v8
	s_lshl_b64 s[0:1], s[2:3], 1
	v_lshlrev_b32_e32 v0, 1, v43
	s_add_u32 s2, s4, s0
	s_addc_u32 s3, s5, s1
	s_lshl_b32 s0, s8, 7
	v_cndmask_b32_e32 v8, v9, v10, vcc_lo
	s_ashr_i32 s1, s0, 31
	v_bfe_u32 v9, v6, 16, 1
	s_lshl_b64 s[0:1], s[0:1], 1
	v_add3_u32 v10, v11, v7, 0x7fff
	v_or_b32_e32 v11, 0x400000, v7
	v_cmp_u_f32_e32 vcc_lo, v7, v7
	s_add_u32 s0, s2, s0
	s_addc_u32 s1, s3, s1
	global_store_short_d16_hi v0, v8, s[0:1]
	v_add3_u32 v8, v9, v6, 0x7fff
	v_or_b32_e32 v9, 0x400000, v6
	v_cndmask_b32_e32 v7, v10, v11, vcc_lo
	v_bfe_u32 v10, v5, 16, 1
	v_cmp_u_f32_e32 vcc_lo, v6, v6
	v_or_b32_e32 v11, 0x400000, v1
	global_store_short_d16_hi v0, v7, s[0:1] offset:32
	v_add3_u32 v7, v10, v5, 0x7fff
	v_cndmask_b32_e32 v6, v8, v9, vcc_lo
	v_bfe_u32 v8, v4, 16, 1
	v_or_b32_e32 v9, 0x400000, v5
	v_cmp_u_f32_e32 vcc_lo, v5, v5
	v_or_b32_e32 v10, 0x400000, v2
	global_store_short_d16_hi v0, v6, s[0:1] offset:64
	v_add3_u32 v6, v8, v4, 0x7fff
	v_or_b32_e32 v8, 0x400000, v4
	v_cndmask_b32_e32 v5, v7, v9, vcc_lo
	v_bfe_u32 v7, v3, 16, 1
	v_cmp_u_f32_e32 vcc_lo, v4, v4
	v_bfe_u32 v9, v2, 16, 1
	v_add3_u32 v7, v7, v3, 0x7fff
	v_cndmask_b32_e32 v4, v6, v8, vcc_lo
	v_or_b32_e32 v8, 0x400000, v3
	v_cmp_u_f32_e32 vcc_lo, v3, v3
	v_bfe_u32 v6, v1, 16, 1
	v_add3_u32 v9, v9, v2, 0x7fff
	v_cndmask_b32_e32 v3, v7, v8, vcc_lo
	v_cmp_u_f32_e32 vcc_lo, v2, v2
	v_add3_u32 v6, v6, v1, 0x7fff
	v_cndmask_b32_e32 v2, v9, v10, vcc_lo
	v_cmp_u_f32_e32 vcc_lo, v1, v1
	v_cndmask_b32_e32 v1, v6, v11, vcc_lo
	global_store_short_d16_hi v0, v5, s[0:1] offset:96
	global_store_short_d16_hi v0, v4, s[0:1] offset:128
	;; [unrolled: 1-line block ×5, first 2 shown]
.LBB132_85:
	s_endpgm
.LBB132_86:
	ds_read_b32 v11, v9
	s_waitcnt lgkmcnt(0)
	v_add_f32_e32 v8, v8, v11
	s_or_b32 exec_lo, exec_lo, s1
	s_and_saveexec_b32 s1, vcc_lo
	s_cbranch_execz .LBB132_62
.LBB132_87:
	ds_read_b32 v11, v9 offset:64
	s_waitcnt lgkmcnt(0)
	v_add_f32_e32 v7, v7, v11
	s_or_b32 exec_lo, exec_lo, s1
	s_and_saveexec_b32 s1, vcc_lo
	s_cbranch_execz .LBB132_63
.LBB132_88:
	ds_read_b32 v11, v9 offset:128
	s_waitcnt lgkmcnt(0)
	v_add_f32_e32 v6, v6, v11
	s_or_b32 exec_lo, exec_lo, s1
	s_and_saveexec_b32 s1, vcc_lo
	s_cbranch_execz .LBB132_64
.LBB132_89:
	ds_read_b32 v11, v9 offset:192
	s_waitcnt lgkmcnt(0)
	v_add_f32_e32 v5, v5, v11
	s_or_b32 exec_lo, exec_lo, s1
	s_and_saveexec_b32 s1, vcc_lo
	s_cbranch_execz .LBB132_65
.LBB132_90:
	ds_read_b32 v11, v9 offset:256
	s_waitcnt lgkmcnt(0)
	v_add_f32_e32 v4, v4, v11
	s_or_b32 exec_lo, exec_lo, s1
	s_and_saveexec_b32 s1, vcc_lo
	s_cbranch_execz .LBB132_66
.LBB132_91:
	ds_read_b32 v11, v9 offset:320
	s_waitcnt lgkmcnt(0)
	v_add_f32_e32 v3, v3, v11
	s_or_b32 exec_lo, exec_lo, s1
	s_and_saveexec_b32 s1, vcc_lo
	s_cbranch_execz .LBB132_67
.LBB132_92:
	ds_read_b32 v11, v9 offset:384
	s_waitcnt lgkmcnt(0)
	v_add_f32_e32 v2, v2, v11
	s_or_b32 exec_lo, exec_lo, s1
	s_and_saveexec_b32 s1, vcc_lo
	s_cbranch_execnz .LBB132_68
	s_branch .LBB132_69
.LBB132_93:
	ds_read_b32 v10, v9
	s_waitcnt lgkmcnt(0)
	v_add_f32_e32 v8, v8, v10
	s_or_b32 exec_lo, exec_lo, s0
	s_and_saveexec_b32 s0, vcc_lo
	s_cbranch_execz .LBB132_75
.LBB132_94:
	ds_read_b32 v10, v9 offset:64
	s_waitcnt lgkmcnt(0)
	v_add_f32_e32 v7, v7, v10
	s_or_b32 exec_lo, exec_lo, s0
	s_and_saveexec_b32 s0, vcc_lo
	s_cbranch_execz .LBB132_76
.LBB132_95:
	ds_read_b32 v10, v9 offset:128
	s_waitcnt lgkmcnt(0)
	v_add_f32_e32 v6, v6, v10
	s_or_b32 exec_lo, exec_lo, s0
	s_and_saveexec_b32 s0, vcc_lo
	s_cbranch_execz .LBB132_77
.LBB132_96:
	ds_read_b32 v10, v9 offset:192
	s_waitcnt lgkmcnt(0)
	v_add_f32_e32 v5, v5, v10
	s_or_b32 exec_lo, exec_lo, s0
	s_and_saveexec_b32 s0, vcc_lo
	s_cbranch_execz .LBB132_78
.LBB132_97:
	ds_read_b32 v10, v9 offset:256
	s_waitcnt lgkmcnt(0)
	v_add_f32_e32 v4, v4, v10
	s_or_b32 exec_lo, exec_lo, s0
	s_and_saveexec_b32 s0, vcc_lo
	s_cbranch_execz .LBB132_79
.LBB132_98:
	ds_read_b32 v10, v9 offset:320
	s_waitcnt lgkmcnt(0)
	v_add_f32_e32 v3, v3, v10
	s_or_b32 exec_lo, exec_lo, s0
	s_and_saveexec_b32 s0, vcc_lo
	s_cbranch_execz .LBB132_80
.LBB132_99:
	ds_read_b32 v10, v9 offset:384
	s_waitcnt lgkmcnt(0)
	v_add_f32_e32 v2, v2, v10
	s_or_b32 exec_lo, exec_lo, s0
	s_and_saveexec_b32 s0, vcc_lo
	s_cbranch_execnz .LBB132_81
	s_branch .LBB132_82
	.section	.rodata,"a",@progbits
	.p2align	6, 0x0
	.amdhsa_kernel _ZN4vllm25paged_attention_v1_kernelI14__hip_bfloat16S1_Li128ELi16ELi128ELNS_18Fp8KVCacheDataTypeE0ELb1EEEvPT_PKS3_PKT0_S9_ifPKiSB_iPKfiiiSD_SD_iiiii
		.amdhsa_group_segment_fixed_size 288
		.amdhsa_private_segment_fixed_size 0
		.amdhsa_kernarg_size 384
		.amdhsa_user_sgpr_count 6
		.amdhsa_user_sgpr_private_segment_buffer 1
		.amdhsa_user_sgpr_dispatch_ptr 0
		.amdhsa_user_sgpr_queue_ptr 0
		.amdhsa_user_sgpr_kernarg_segment_ptr 1
		.amdhsa_user_sgpr_dispatch_id 0
		.amdhsa_user_sgpr_flat_scratch_init 0
		.amdhsa_user_sgpr_private_segment_size 0
		.amdhsa_wavefront_size32 1
		.amdhsa_uses_dynamic_stack 0
		.amdhsa_system_sgpr_private_segment_wavefront_offset 0
		.amdhsa_system_sgpr_workgroup_id_x 1
		.amdhsa_system_sgpr_workgroup_id_y 1
		.amdhsa_system_sgpr_workgroup_id_z 1
		.amdhsa_system_sgpr_workgroup_info 0
		.amdhsa_system_vgpr_workitem_id 0
		.amdhsa_next_free_vgpr 116
		.amdhsa_next_free_sgpr 38
		.amdhsa_reserve_vcc 1
		.amdhsa_reserve_flat_scratch 0
		.amdhsa_float_round_mode_32 0
		.amdhsa_float_round_mode_16_64 0
		.amdhsa_float_denorm_mode_32 3
		.amdhsa_float_denorm_mode_16_64 3
		.amdhsa_dx10_clamp 1
		.amdhsa_ieee_mode 1
		.amdhsa_fp16_overflow 0
		.amdhsa_workgroup_processor_mode 1
		.amdhsa_memory_ordered 1
		.amdhsa_forward_progress 1
		.amdhsa_shared_vgpr_count 0
		.amdhsa_exception_fp_ieee_invalid_op 0
		.amdhsa_exception_fp_denorm_src 0
		.amdhsa_exception_fp_ieee_div_zero 0
		.amdhsa_exception_fp_ieee_overflow 0
		.amdhsa_exception_fp_ieee_underflow 0
		.amdhsa_exception_fp_ieee_inexact 0
		.amdhsa_exception_int_div_zero 0
	.end_amdhsa_kernel
	.section	.text._ZN4vllm25paged_attention_v1_kernelI14__hip_bfloat16S1_Li128ELi16ELi128ELNS_18Fp8KVCacheDataTypeE0ELb1EEEvPT_PKS3_PKT0_S9_ifPKiSB_iPKfiiiSD_SD_iiiii,"axG",@progbits,_ZN4vllm25paged_attention_v1_kernelI14__hip_bfloat16S1_Li128ELi16ELi128ELNS_18Fp8KVCacheDataTypeE0ELb1EEEvPT_PKS3_PKT0_S9_ifPKiSB_iPKfiiiSD_SD_iiiii,comdat
.Lfunc_end132:
	.size	_ZN4vllm25paged_attention_v1_kernelI14__hip_bfloat16S1_Li128ELi16ELi128ELNS_18Fp8KVCacheDataTypeE0ELb1EEEvPT_PKS3_PKT0_S9_ifPKiSB_iPKfiiiSD_SD_iiiii, .Lfunc_end132-_ZN4vllm25paged_attention_v1_kernelI14__hip_bfloat16S1_Li128ELi16ELi128ELNS_18Fp8KVCacheDataTypeE0ELb1EEEvPT_PKS3_PKT0_S9_ifPKiSB_iPKfiiiSD_SD_iiiii
                                        ; -- End function
	.set _ZN4vllm25paged_attention_v1_kernelI14__hip_bfloat16S1_Li128ELi16ELi128ELNS_18Fp8KVCacheDataTypeE0ELb1EEEvPT_PKS3_PKT0_S9_ifPKiSB_iPKfiiiSD_SD_iiiii.num_vgpr, 116
	.set _ZN4vllm25paged_attention_v1_kernelI14__hip_bfloat16S1_Li128ELi16ELi128ELNS_18Fp8KVCacheDataTypeE0ELb1EEEvPT_PKS3_PKT0_S9_ifPKiSB_iPKfiiiSD_SD_iiiii.num_agpr, 0
	.set _ZN4vllm25paged_attention_v1_kernelI14__hip_bfloat16S1_Li128ELi16ELi128ELNS_18Fp8KVCacheDataTypeE0ELb1EEEvPT_PKS3_PKT0_S9_ifPKiSB_iPKfiiiSD_SD_iiiii.numbered_sgpr, 38
	.set _ZN4vllm25paged_attention_v1_kernelI14__hip_bfloat16S1_Li128ELi16ELi128ELNS_18Fp8KVCacheDataTypeE0ELb1EEEvPT_PKS3_PKT0_S9_ifPKiSB_iPKfiiiSD_SD_iiiii.num_named_barrier, 0
	.set _ZN4vllm25paged_attention_v1_kernelI14__hip_bfloat16S1_Li128ELi16ELi128ELNS_18Fp8KVCacheDataTypeE0ELb1EEEvPT_PKS3_PKT0_S9_ifPKiSB_iPKfiiiSD_SD_iiiii.private_seg_size, 0
	.set _ZN4vllm25paged_attention_v1_kernelI14__hip_bfloat16S1_Li128ELi16ELi128ELNS_18Fp8KVCacheDataTypeE0ELb1EEEvPT_PKS3_PKT0_S9_ifPKiSB_iPKfiiiSD_SD_iiiii.uses_vcc, 1
	.set _ZN4vllm25paged_attention_v1_kernelI14__hip_bfloat16S1_Li128ELi16ELi128ELNS_18Fp8KVCacheDataTypeE0ELb1EEEvPT_PKS3_PKT0_S9_ifPKiSB_iPKfiiiSD_SD_iiiii.uses_flat_scratch, 0
	.set _ZN4vllm25paged_attention_v1_kernelI14__hip_bfloat16S1_Li128ELi16ELi128ELNS_18Fp8KVCacheDataTypeE0ELb1EEEvPT_PKS3_PKT0_S9_ifPKiSB_iPKfiiiSD_SD_iiiii.has_dyn_sized_stack, 0
	.set _ZN4vllm25paged_attention_v1_kernelI14__hip_bfloat16S1_Li128ELi16ELi128ELNS_18Fp8KVCacheDataTypeE0ELb1EEEvPT_PKS3_PKT0_S9_ifPKiSB_iPKfiiiSD_SD_iiiii.has_recursion, 0
	.set _ZN4vllm25paged_attention_v1_kernelI14__hip_bfloat16S1_Li128ELi16ELi128ELNS_18Fp8KVCacheDataTypeE0ELb1EEEvPT_PKS3_PKT0_S9_ifPKiSB_iPKfiiiSD_SD_iiiii.has_indirect_call, 0
	.section	.AMDGPU.csdata,"",@progbits
; Kernel info:
; codeLenInByte = 11544
; TotalNumSgprs: 40
; NumVgprs: 116
; ScratchSize: 0
; MemoryBound: 0
; FloatMode: 240
; IeeeMode: 1
; LDSByteSize: 288 bytes/workgroup (compile time only)
; SGPRBlocks: 0
; VGPRBlocks: 14
; NumSGPRsForWavesPerEU: 40
; NumVGPRsForWavesPerEU: 116
; Occupancy: 8
; WaveLimiterHint : 1
; COMPUTE_PGM_RSRC2:SCRATCH_EN: 0
; COMPUTE_PGM_RSRC2:USER_SGPR: 6
; COMPUTE_PGM_RSRC2:TRAP_HANDLER: 0
; COMPUTE_PGM_RSRC2:TGID_X_EN: 1
; COMPUTE_PGM_RSRC2:TGID_Y_EN: 1
; COMPUTE_PGM_RSRC2:TGID_Z_EN: 1
; COMPUTE_PGM_RSRC2:TIDIG_COMP_CNT: 0
	.section	.text._ZN4vllm25paged_attention_v1_kernelI14__hip_bfloat16S1_Li192ELi16ELi128ELNS_18Fp8KVCacheDataTypeE0ELb1EEEvPT_PKS3_PKT0_S9_ifPKiSB_iPKfiiiSD_SD_iiiii,"axG",@progbits,_ZN4vllm25paged_attention_v1_kernelI14__hip_bfloat16S1_Li192ELi16ELi128ELNS_18Fp8KVCacheDataTypeE0ELb1EEEvPT_PKS3_PKT0_S9_ifPKiSB_iPKfiiiSD_SD_iiiii,comdat
	.protected	_ZN4vllm25paged_attention_v1_kernelI14__hip_bfloat16S1_Li192ELi16ELi128ELNS_18Fp8KVCacheDataTypeE0ELb1EEEvPT_PKS3_PKT0_S9_ifPKiSB_iPKfiiiSD_SD_iiiii ; -- Begin function _ZN4vllm25paged_attention_v1_kernelI14__hip_bfloat16S1_Li192ELi16ELi128ELNS_18Fp8KVCacheDataTypeE0ELb1EEEvPT_PKS3_PKT0_S9_ifPKiSB_iPKfiiiSD_SD_iiiii
	.globl	_ZN4vllm25paged_attention_v1_kernelI14__hip_bfloat16S1_Li192ELi16ELi128ELNS_18Fp8KVCacheDataTypeE0ELb1EEEvPT_PKS3_PKT0_S9_ifPKiSB_iPKfiiiSD_SD_iiiii
	.p2align	8
	.type	_ZN4vllm25paged_attention_v1_kernelI14__hip_bfloat16S1_Li192ELi16ELi128ELNS_18Fp8KVCacheDataTypeE0ELb1EEEvPT_PKS3_PKT0_S9_ifPKiSB_iPKfiiiSD_SD_iiiii,@function
_ZN4vllm25paged_attention_v1_kernelI14__hip_bfloat16S1_Li192ELi16ELi128ELNS_18Fp8KVCacheDataTypeE0ELb1EEEvPT_PKS3_PKT0_S9_ifPKiSB_iPKfiiiSD_SD_iiiii: ; @_ZN4vllm25paged_attention_v1_kernelI14__hip_bfloat16S1_Li192ELi16ELi128ELNS_18Fp8KVCacheDataTypeE0ELb1EEEvPT_PKS3_PKT0_S9_ifPKiSB_iPKfiiiSD_SD_iiiii
; %bb.0:
	s_mov_b64 s[42:43], s[2:3]
	s_mov_b64 s[40:41], s[0:1]
	s_mov_b32 s10, s7
	s_add_u32 s40, s40, s9
	s_clause 0x2
	s_load_dword s9, s[4:5], 0x80
	s_load_dwordx2 s[0:1], s[4:5], 0x30
	s_load_dwordx2 s[28:29], s[4:5], 0x20
	s_addc_u32 s41, s41, 0
	s_ashr_i32 s11, s7, 31
	s_mov_b32 s33, 0
	s_lshl_b64 s[2:3], s[10:11], 2
	s_waitcnt lgkmcnt(0)
	s_add_u32 s0, s0, s2
	s_addc_u32 s1, s1, s3
	s_abs_i32 s2, s28
	s_abs_i32 s11, s9
	v_cvt_f32_u32_e32 v1, s2
	s_sub_i32 s7, 0, s2
	v_rcp_iflag_f32_e32 v1, v1
	v_mul_f32_e32 v1, 0x4f7ffffe, v1
	v_cvt_u32_f32_e32 v1, v1
	v_readfirstlane_b32 s3, v1
	s_mul_i32 s7, s7, s3
	s_mul_hi_u32 s7, s3, s7
	s_add_i32 s3, s3, s7
	s_xor_b32 s7, s9, s28
	s_mul_hi_u32 s3, s11, s3
	s_ashr_i32 s7, s7, 31
	s_mul_i32 s12, s3, s2
	s_sub_i32 s11, s11, s12
	s_add_i32 s12, s3, 1
	s_sub_i32 s13, s11, s2
	s_cmp_ge_u32 s11, s2
	s_cselect_b32 s3, s12, s3
	s_cselect_b32 s11, s13, s11
	s_add_i32 s12, s3, 1
	s_cmp_ge_u32 s11, s2
	s_cselect_b32 s2, s12, s3
	s_abs_i32 s22, s6
	s_xor_b32 s2, s2, s7
	s_sub_i32 s16, s2, s7
	s_load_dwordx2 s[2:3], s[4:5], 0x40
	s_abs_i32 s11, s16
	v_cvt_f32_u32_e32 v1, s11
	s_sub_i32 s12, 0, s11
	v_rcp_iflag_f32_e32 v1, v1
	v_mul_f32_e32 v1, 0x4f7ffffe, v1
	v_cvt_u32_f32_e32 v1, v1
	v_readfirstlane_b32 s7, v1
	s_mul_i32 s12, s12, s7
	s_mul_hi_u32 s12, s7, s12
	s_add_i32 s7, s7, s12
	s_waitcnt lgkmcnt(0)
	s_cmp_eq_u64 s[2:3], 0
	s_mul_hi_u32 s23, s22, s7
	s_cbranch_scc1 .LBB133_2
; %bb.1:
	s_ashr_i32 s7, s6, 31
	s_lshl_b64 s[12:13], s[6:7], 2
	s_add_u32 s2, s2, s12
	s_addc_u32 s3, s3, s13
	s_load_dword s33, s[2:3], 0x0
.LBB133_2:
	s_load_dword s30, s[0:1], 0x0
	s_load_dwordx4 s[12:15], s[4:5], 0x48
	v_lshrrev_b32_e32 v4, 1, v0
	v_lshlrev_b32_e32 v13, 3, v0
	s_ashr_i32 s0, s6, 31
	s_ashr_i32 s1, s16, 31
	s_mul_i32 s20, s6, 0xc0
	s_mov_b32 s2, exec_lo
	v_cmpx_gt_u32_e32 48, v0
	s_cbranch_execz .LBB133_4
; %bb.3:
	s_load_dwordx2 s[16:17], s[4:5], 0x8
	s_waitcnt lgkmcnt(0)
	s_mul_i32 s18, s12, s10
	v_lshlrev_b32_e32 v3, 3, v4
	s_ashr_i32 s19, s18, 31
	v_and_b32_e32 v5, 1, v0
	s_lshl_b64 s[18:19], s[18:19], 1
	v_mad_u32_u24 v3, 0xc0, v5, v3
	s_add_u32 s3, s16, s18
	s_addc_u32 s7, s17, s19
	s_ashr_i32 s21, s20, 31
	s_lshl_b64 s[16:17], s[20:21], 1
	s_add_u32 s16, s3, s16
	s_addc_u32 s17, s7, s17
	global_load_dwordx2 v[1:2], v13, s[16:17]
	s_waitcnt vmcnt(0)
	ds_write_b64 v3, v[1:2]
.LBB133_4:
	s_or_b32 exec_lo, exec_lo, s2
	s_load_dwordx4 s[16:19], s[4:5], 0x68
	s_mul_i32 s2, s23, s11
	s_xor_b32 s1, s0, s1
	s_sub_i32 s0, s22, s2
	s_add_i32 s2, s23, 1
	s_sub_i32 s3, s0, s11
	s_cmp_ge_u32 s0, s11
	s_waitcnt lgkmcnt(0)
	s_cselect_b32 s2, s2, s23
	s_cselect_b32 s0, s3, s0
	s_add_i32 s3, s2, 1
	s_cmp_ge_u32 s0, s11
	s_load_dword s0, s[4:5], 0x78
	s_cselect_b32 s2, s3, s2
	s_add_i32 s7, s30, -1
	s_xor_b32 s2, s2, s1
	s_abs_i32 s3, s7
	s_sub_i32 s1, s2, s1
	s_mov_b32 s11, -1
	s_barrier
	s_abs_i32 s12, s19
	s_waitcnt lgkmcnt(0)
	buffer_gl0_inv
	v_cvt_f32_u32_e32 v1, s12
	s_sub_i32 s2, 0, s12
                                        ; implicit-def: $sgpr31
	v_rcp_iflag_f32_e32 v1, v1
	v_mul_f32_e32 v1, 0x4f7ffffe, v1
	v_cvt_u32_f32_e32 v1, v1
	v_readfirstlane_b32 s21, v1
	s_mul_i32 s2, s2, s21
	s_mul_hi_u32 s2, s21, s2
	s_add_i32 s21, s21, s2
	s_cmp_lt_i32 s0, 0
	s_mul_hi_u32 s2, s3, s21
	s_cbranch_scc0 .LBB133_6
; %bb.5:
	s_mul_i32 s11, s16, s28
	s_add_i32 s11, s1, s11
	s_mul_i32 s11, s11, s0
	s_sub_i32 s31, 1, s11
	s_mov_b32 s11, 0
.LBB133_6:
	s_load_dwordx2 s[22:23], s[4:5], 0x28
	s_ashr_i32 s7, s7, 31
	s_andn2_b32 vcc_lo, exec_lo, s11
	s_ashr_i32 s19, s19, 31
	s_cbranch_vccnz .LBB133_8
; %bb.7:
	s_mul_i32 s11, s9, s16
	s_add_i32 s6, s11, s6
	s_mul_i32 s0, s6, s0
	s_add_i32 s31, s0, 1
.LBB133_8:
	s_load_dword s0, s[4:5], 0x38
	s_mul_i32 s6, s2, s12
	s_xor_b32 s15, s7, s19
	s_sub_i32 s3, s3, s6
	s_add_i32 s16, s2, 1
	buffer_store_dword v4, off, s[40:43], 0 ; 4-byte Folded Spill
	s_clause 0x2
	s_load_dwordx2 s[6:7], s[4:5], 0x0
	s_load_dwordx2 s[26:27], s[4:5], 0x18
	s_load_dword s11, s[4:5], 0x88
	v_lshrrev_b32_e32 v61, 5, v0
	v_mov_b32_e32 v40, 0xff7fffff
	v_lshrrev_b32_e32 v14, 3, v0
	v_mbcnt_lo_u32_b32 v39, -1, 0
	s_mul_i32 s14, s1, s14
	v_lshlrev_b32_e32 v62, 4, v61
	s_waitcnt lgkmcnt(0)
	s_mul_i32 s24, s0, s10
	s_sub_i32 s0, s3, s12
	s_ashr_i32 s25, s24, 31
	s_cmp_ge_u32 s3, s12
	s_cselect_b32 s2, s16, s2
	s_cselect_b32 s0, s0, s3
	s_add_i32 s3, s2, 1
	s_cmp_ge_u32 s0, s12
	s_cselect_b32 s0, s3, s2
	s_add_i32 s2, s30, 15
	s_ashr_i32 s3, s2, 31
	s_lshr_b32 s3, s3, 28
	s_add_i32 s2, s2, s3
	s_ashr_i32 s16, s2, 4
	s_xor_b32 s2, s0, s15
	v_cmp_gt_i32_e64 s0, s16, v61
	s_sub_i32 s28, s2, s15
	s_and_saveexec_b32 s34, s0
	s_cbranch_execz .LBB133_20
; %bb.9:
	s_load_dwordx2 s[2:3], s[4:5], 0x10
	s_ashr_i32 s15, s14, 31
	s_sub_i32 s5, s28, s17
	s_lshl_b64 s[36:37], s[14:15], 1
	v_bfe_u32 v41, v0, 1, 4
	v_and_b32_e32 v3, 1, v0
	v_and_b32_e32 v2, 8, v13
	v_cmp_neq_f32_e64 s1, s33, 0
	v_lshlrev_b32_e32 v43, 4, v61
	v_lshlrev_b32_e32 v4, 2, v41
	;; [unrolled: 1-line block ×3, first 2 shown]
	v_cmp_eq_u32_e32 vcc_lo, 0, v3
	v_mul_u32_u24_e32 v42, 0xc0, v3
	v_and_b32_e32 v3, 0x7c, v14
	v_lshl_or_b32 v4, v61, 6, v4
	v_subrev_nc_u32_e32 v5, s30, v41
	v_mov_b32_e32 v44, 0xff7fffff
	v_xor_b32_e32 v45, 1, v39
	v_mov_b32_e32 v40, 0xff7fffff
	v_add_nc_u32_e32 v47, 0x1a0, v4
	s_waitcnt lgkmcnt(0)
	s_add_u32 s4, s2, s36
	s_addc_u32 s35, s3, s37
	s_abs_i32 s15, s18
	v_add_co_u32 v7, s4, s4, v6
	v_cvt_f32_u32_e32 v1, s15
	s_sub_i32 s2, 0, s15
	v_add_co_ci_u32_e64 v8, null, s35, 0, s4
	v_add_nc_u32_e32 v46, 1, v5
	v_rcp_iflag_f32_e32 v1, v1
	v_mov_b32_e32 v51, v61
	s_mov_b32 s35, 0
	s_mov_b32 s36, s13
	v_mul_f32_e32 v1, 0x4f7ffffe, v1
	v_cvt_u32_f32_e32 v1, v1
	v_mul_lo_u32 v4, s2, v1
	s_lshl_b64 s[2:3], s[24:25], 2
	s_add_u32 s2, s22, s2
	s_addc_u32 s3, s23, s3
	v_add_co_u32 v5, s2, s2, v3
	v_add_co_ci_u32_e64 v6, null, s3, 0, s2
	v_mul_hi_u32 v4, v1, v4
	v_add_co_u32 v48, s2, v7, v2
	v_add_co_ci_u32_e64 v49, null, 0, v8, s2
	v_add_nc_u32_e32 v50, v1, v4
	s_branch .LBB133_12
.LBB133_10:                             ;   in Loop: Header=BB133_12 Depth=1
	s_or_b32 exec_lo, exec_lo, s3
.LBB133_11:                             ;   in Loop: Header=BB133_12 Depth=1
	s_or_b32 exec_lo, exec_lo, s37
	v_add_nc_u32_e32 v51, 4, v51
	v_add_co_u32 v5, s3, v5, 16
	v_add_co_ci_u32_e64 v6, null, 0, v6, s3
	v_cmp_le_i32_e64 s2, s16, v51
	v_add_nc_u32_e32 v43, 64, v43
	v_add_nc_u32_e32 v47, 0x100, v47
	s_or_b32 s35, s2, s35
	s_andn2_b32 exec_lo, exec_lo, s35
	s_cbranch_execz .LBB133_19
.LBB133_12:                             ; =>This Inner Loop Header: Depth=1
	v_mul_hi_u32 v1, v43, s21
	s_waitcnt lgkmcnt(0)
	v_mul_lo_u32 v2, v1, s12
	v_add_nc_u32_e32 v3, 1, v1
	v_sub_nc_u32_e32 v2, v43, v2
	v_subrev_nc_u32_e32 v4, s12, v2
	v_cmp_le_u32_e64 s2, s12, v2
	v_cndmask_b32_e64 v1, v1, v3, s2
	v_cndmask_b32_e64 v2, v2, v4, s2
	v_add_nc_u32_e32 v3, 1, v1
	v_cmp_le_u32_e64 s2, s12, v2
	v_cndmask_b32_e64 v1, v1, v3, s2
	v_xor_b32_e32 v1, s19, v1
	v_subrev_nc_u32_e32 v1, s19, v1
	v_add_nc_u32_e32 v2, s31, v1
	v_cmp_ge_i32_e64 s3, s5, v1
	v_sub_nc_u32_e32 v3, 0, v2
	v_max_i32_e32 v3, v2, v3
	v_ashrrev_i32_e32 v2, 31, v2
	v_mul_hi_u32 v4, v3, v50
	v_mul_lo_u32 v4, v4, s15
	v_sub_nc_u32_e32 v3, v3, v4
	v_subrev_nc_u32_e32 v4, s15, v3
	v_cmp_le_u32_e64 s2, s15, v3
	v_cndmask_b32_e64 v3, v3, v4, s2
	v_subrev_nc_u32_e32 v4, s15, v3
	v_cmp_le_u32_e64 s2, s15, v3
	v_cndmask_b32_e64 v3, v3, v4, s2
	v_xor_b32_e32 v3, v3, v2
	v_sub_nc_u32_e32 v2, v3, v2
	v_cmp_ne_u32_e64 s2, 0, v2
	s_and_b32 s2, s2, s3
	s_and_saveexec_b32 s3, s2
	s_xor_b32 s2, exec_lo, s3
	s_cbranch_execz .LBB133_16
; %bb.13:                               ;   in Loop: Header=BB133_12 Depth=1
	s_and_saveexec_b32 s3, vcc_lo
; %bb.14:                               ;   in Loop: Header=BB133_12 Depth=1
	ds_write_b32 v47, v44
; %bb.15:                               ;   in Loop: Header=BB133_12 Depth=1
	s_or_b32 exec_lo, exec_lo, s3
.LBB133_16:                             ;   in Loop: Header=BB133_12 Depth=1
	s_andn2_saveexec_b32 s37, s2
	s_cbranch_execz .LBB133_11
; %bb.17:                               ;   in Loop: Header=BB133_12 Depth=1
	global_load_dword v34, v[5:6], off
	ds_read_b128 v[22:25], v42
	ds_read_b128 v[26:29], v42 offset:16
	ds_read_b128 v[30:33], v42 offset:32
	;; [unrolled: 1-line block ×10, first 2 shown]
	s_waitcnt lgkmcnt(10)
	v_lshlrev_b32_e32 v108, 16, v24
	v_lshlrev_b32_e32 v114, 16, v25
	v_and_b32_e32 v119, 0xffff0000, v24
	v_and_b32_e32 v120, 0xffff0000, v25
	s_waitcnt lgkmcnt(9)
	v_lshlrev_b32_e32 v116, 16, v26
	v_lshlrev_b32_e32 v21, 16, v27
	v_and_b32_e32 v121, 0xffff0000, v26
	v_and_b32_e32 v122, 0xffff0000, v27
	v_lshlrev_b32_e32 v19, 16, v28
	v_and_b32_e32 v123, 0xffff0000, v28
	v_lshlrev_b32_e32 v36, 16, v23
	v_lshlrev_b32_e32 v16, 16, v29
	s_waitcnt lgkmcnt(5)
	v_lshlrev_b32_e32 v86, 16, v67
	v_and_b32_e32 v118, 0xffff0000, v23
	v_and_b32_e32 v23, 0xffff0000, v29
	;; [unrolled: 1-line block ×3, first 2 shown]
	s_waitcnt lgkmcnt(4)
	v_lshlrev_b32_e32 v71, 16, v73
	v_and_b32_e32 v67, 0xffff0000, v73
	v_lshlrev_b32_e32 v77, 16, v74
	v_and_b32_e32 v78, 0xffff0000, v74
	s_waitcnt lgkmcnt(3)
	v_lshlrev_b32_e32 v73, 16, v91
	v_and_b32_e32 v74, 0xffff0000, v91
	v_lshlrev_b32_e32 v35, 16, v22
	v_lshlrev_b32_e32 v14, 16, v30
	;; [unrolled: 1-line block ×4, first 2 shown]
	v_and_b32_e32 v117, 0xffff0000, v22
	v_and_b32_e32 v22, 0xffff0000, v30
	;; [unrolled: 1-line block ×4, first 2 shown]
	s_waitcnt lgkmcnt(2)
	v_lshlrev_b32_e32 v54, 16, v96
	v_and_b32_e32 v52, 0xffff0000, v96
	s_waitcnt lgkmcnt(1)
	v_lshlrev_b32_e32 v57, 16, v99
	v_and_b32_e32 v96, 0xffff0000, v99
	v_lshlrev_b32_e32 v11, 16, v31
	v_and_b32_e32 v20, 0xffff0000, v31
	v_lshlrev_b32_e32 v9, 16, v32
	v_lshlrev_b32_e32 v8, 16, v33
	;; [unrolled: 1-line block ×8, first 2 shown]
	v_and_b32_e32 v18, 0xffff0000, v32
	v_and_b32_e32 v17, 0xffff0000, v33
	;; [unrolled: 1-line block ×8, first 2 shown]
	v_lshlrev_b32_e32 v81, 16, v72
	v_and_b32_e32 v80, 0xffff0000, v72
	v_lshlrev_b32_e32 v72, 16, v75
	v_and_b32_e32 v65, 0xffff0000, v75
	;; [unrolled: 2-line block ×8, first 2 shown]
	s_waitcnt lgkmcnt(0)
	v_lshlrev_b32_e32 v101, 16, v104
	v_and_b32_e32 v102, 0xffff0000, v104
	v_lshlrev_b32_e32 v104, 16, v107
	v_and_b32_e32 v103, 0xffff0000, v107
	v_lshlrev_b32_e32 v84, 16, v68
	v_lshlrev_b32_e32 v82, 16, v69
	v_and_b32_e32 v85, 0xffff0000, v69
	v_lshlrev_b32_e32 v79, 16, v70
	v_and_b32_e32 v87, 0xffff0000, v68
	v_and_b32_e32 v83, 0xffff0000, v70
	v_lshlrev_b32_e32 v68, 16, v90
	v_and_b32_e32 v58, 0xffff0000, v90
	v_lshlrev_b32_e32 v69, 16, v93
	;; [unrolled: 2-line block ×5, first 2 shown]
	v_and_b32_e32 v106, 0xffff0000, v106
	s_waitcnt vmcnt(0)
	v_mad_i64_i32 v[24:25], null, v34, s36, 0
	v_lshlrev_b64 v[24:25], 1, v[24:25]
	v_add_co_u32 v24, s2, v48, v24
	v_add_co_ci_u32_e64 v25, null, v49, v25, s2
	global_load_dwordx2 v[26:27], v[24:25], off offset:256
	s_waitcnt vmcnt(0)
	v_lshlrev_b32_e32 v28, 16, v26
	v_and_b32_e32 v26, 0xffff0000, v26
	v_and_b32_e32 v31, 0xffff0000, v27
	v_mul_f32_e32 v91, v108, v28
	global_load_dwordx2 v[28:29], v[24:25], off
	v_mul_f32_e32 v99, v119, v26
	v_mul_f32_e32 v108, v120, v31
	v_add_co_u32 v120, s4, 0x1000, v24
	s_waitcnt vmcnt(0)
	v_lshlrev_b32_e32 v30, 16, v28
	v_and_b32_e32 v26, 0xffff0000, v28
	v_lshlrev_b32_e32 v28, 16, v29
	v_and_b32_e32 v29, 0xffff0000, v29
	v_fmac_f32_e32 v91, v35, v30
	v_lshlrev_b32_e32 v30, 16, v27
	v_fmac_f32_e32 v99, v117, v26
	global_load_dwordx2 v[26:27], v[24:25], off offset:512
	v_fmac_f32_e32 v108, v118, v29
	v_add_co_u32 v118, s3, v24, 0x1000
	v_mul_f32_e32 v107, v114, v30
	v_add_co_ci_u32_e64 v119, null, 0, v25, s3
	v_fmac_f32_e32 v107, v36, v28
	s_waitcnt vmcnt(0)
	v_lshlrev_b32_e32 v30, 16, v26
	v_and_b32_e32 v32, 0xffff0000, v26
	v_lshlrev_b32_e32 v33, 16, v27
	v_and_b32_e32 v34, 0xffff0000, v27
	global_load_dwordx2 v[26:27], v[24:25], off offset:768
	v_fmac_f32_e32 v91, v116, v30
	v_fmac_f32_e32 v99, v121, v32
	;; [unrolled: 1-line block ×3, first 2 shown]
	v_add_co_u32 v116, s2, 0x800, v24
	v_fmac_f32_e32 v108, v122, v34
	v_add_co_ci_u32_e64 v117, null, 0, v25, s2
	v_add_co_ci_u32_e64 v121, null, 0, v25, s4
	v_cmp_gt_i32_e64 s2, 32, v45
	s_waitcnt vmcnt(0)
	v_lshlrev_b32_e32 v28, 16, v26
	v_and_b32_e32 v29, 0xffff0000, v26
	v_lshlrev_b32_e32 v31, 16, v27
	v_and_b32_e32 v35, 0xffff0000, v27
	global_load_dwordx2 v[26:27], v[24:25], off offset:1024
	v_fmac_f32_e32 v91, v19, v28
	v_fmac_f32_e32 v99, v123, v29
	;; [unrolled: 1-line block ×4, first 2 shown]
	s_waitcnt vmcnt(0)
	v_lshlrev_b32_e32 v30, 16, v26
	v_and_b32_e32 v32, 0xffff0000, v26
	v_lshlrev_b32_e32 v36, 16, v27
	v_and_b32_e32 v114, 0xffff0000, v27
	global_load_dwordx2 v[26:27], v[24:25], off offset:1280
	v_fmac_f32_e32 v91, v14, v30
	global_load_dwordx2 v[29:30], v[116:117], off offset:1024
	v_fmac_f32_e32 v107, v11, v36
	;; [unrolled: 2-line block ×3, first 2 shown]
	global_load_dwordx2 v[21:22], v[118:119], off offset:-2048
	v_fmac_f32_e32 v108, v20, v114
	global_load_dwordx2 v[31:32], v[116:117], off offset:768
	s_waitcnt vmcnt(4)
	v_lshlrev_b32_e32 v33, 16, v26
	v_and_b32_e32 v34, 0xffff0000, v26
	v_lshlrev_b32_e32 v122, 16, v27
	v_and_b32_e32 v124, 0xffff0000, v27
	global_load_dwordx2 v[26:27], v[24:25], off offset:1536
	v_fmac_f32_e32 v91, v9, v33
	v_fmac_f32_e32 v99, v18, v34
	s_clause 0x1
	global_load_dwordx2 v[33:34], v[116:117], off offset:512
	global_load_dwordx2 v[23:24], v[24:25], off offset:1792
	s_waitcnt vmcnt(4)
	v_lshlrev_b32_e32 v60, 16, v21
	v_and_b32_e32 v38, 0xffff0000, v21
	v_lshlrev_b32_e32 v37, 16, v22
	v_and_b32_e32 v114, 0xffff0000, v22
	v_fmac_f32_e32 v108, v17, v124
	v_fmac_f32_e32 v107, v8, v122
	s_waitcnt vmcnt(2)
	v_lshlrev_b32_e32 v123, 16, v27
	v_and_b32_e32 v125, 0xffff0000, v27
	global_load_dwordx2 v[27:28], v[116:117], off offset:1280
	v_lshlrev_b32_e32 v19, 16, v26
	v_and_b32_e32 v26, 0xffff0000, v26
	s_waitcnt vmcnt(1)
	v_lshlrev_b32_e32 v14, 16, v23
	v_and_b32_e32 v126, 0xffff0000, v23
	v_lshlrev_b32_e32 v127, 16, v24
	v_and_b32_e32 v59, 0xffff0000, v24
	v_fmac_f32_e32 v99, v15, v26
	s_clause 0x2
	global_load_dwordx2 v[25:26], v[116:117], off offset:1536
	global_load_dwordx2 v[23:24], v[116:117], off offset:1792
	global_load_dwordx2 v[21:22], v[118:119], off
	v_fmac_f32_e32 v91, v7, v19
	s_clause 0x2
	global_load_dwordx2 v[19:20], v[120:121], off offset:256
	global_load_dwordx2 v[17:18], v[120:121], off offset:512
	;; [unrolled: 1-line block ×3, first 2 shown]
	v_fmac_f32_e32 v108, v13, v125
	v_fmac_f32_e32 v91, v3, v14
	global_load_dwordx2 v[13:14], v[120:121], off offset:1024
	v_fmac_f32_e32 v99, v12, v126
	global_load_dwordx2 v[11:12], v[120:121], off offset:1280
	v_fmac_f32_e32 v108, v10, v59
	s_clause 0x1
	global_load_dwordx2 v[9:10], v[120:121], off offset:1536
	global_load_dwordx2 v[7:8], v[120:121], off offset:1792
	v_fmac_f32_e32 v107, v4, v123
	v_fmac_f32_e32 v91, v1, v60
	;; [unrolled: 1-line block ×4, first 2 shown]
	v_lshlrev_b32_e32 v59, 16, v36
	v_fmac_f32_e32 v107, v2, v127
	v_and_b32_e32 v36, 0xffff0000, v36
	v_lshlrev_b32_e32 v60, 16, v33
	v_and_b32_e32 v33, 0xffff0000, v33
	ds_read_b128 v[1:4], v42 offset:176
	v_fmac_f32_e32 v107, v113, v37
	v_lshlrev_b32_e32 v37, 16, v35
	v_and_b32_e32 v35, 0xffff0000, v35
	v_fmac_f32_e32 v108, v98, v36
	v_lshlrev_b32_e32 v36, 16, v34
	v_fmac_f32_e32 v107, v109, v59
	v_fmac_f32_e32 v91, v110, v37
	;; [unrolled: 1-line block ×3, first 2 shown]
	v_lshlrev_b32_e32 v98, 16, v31
	v_and_b32_e32 v31, 0xffff0000, v31
	v_and_b32_e32 v34, 0xffff0000, v34
	v_fmac_f32_e32 v91, v86, v60
	v_fmac_f32_e32 v99, v88, v33
	v_lshlrev_b32_e32 v60, 16, v32
	v_lshlrev_b32_e32 v86, 16, v29
	v_and_b32_e32 v29, 0xffff0000, v29
	v_fmac_f32_e32 v107, v84, v36
	v_fmac_f32_e32 v91, v82, v98
	;; [unrolled: 1-line block ×3, first 2 shown]
	v_and_b32_e32 v32, 0xffff0000, v32
	v_lshlrev_b32_e32 v33, 16, v30
	v_fmac_f32_e32 v108, v87, v34
	v_fmac_f32_e32 v107, v79, v60
	;; [unrolled: 1-line block ×4, first 2 shown]
	v_and_b32_e32 v30, 0xffff0000, v30
	v_fmac_f32_e32 v108, v83, v32
	v_fmac_f32_e32 v107, v71, v33
	s_waitcnt lgkmcnt(0)
	v_lshlrev_b32_e32 v38, 16, v1
	v_and_b32_e32 v1, 0xffff0000, v1
	v_lshlrev_b32_e32 v37, 16, v2
	v_fmac_f32_e32 v108, v67, v30
	v_lshlrev_b32_e32 v35, 16, v3
	v_and_b32_e32 v3, 0xffff0000, v3
	v_and_b32_e32 v2, 0xffff0000, v2
	v_lshlrev_b32_e32 v59, 16, v4
	s_waitcnt vmcnt(10)
	v_lshlrev_b32_e32 v88, 16, v27
	v_and_b32_e32 v27, 0xffff0000, v27
	v_lshlrev_b32_e32 v36, 16, v28
	v_and_b32_e32 v28, 0xffff0000, v28
	v_fmac_f32_e32 v91, v88, v77
	s_waitcnt vmcnt(9)
	v_lshlrev_b32_e32 v84, 16, v25
	v_and_b32_e32 v25, 0xffff0000, v25
	v_fmac_f32_e32 v99, v27, v78
	v_lshlrev_b32_e32 v34, 16, v26
	s_waitcnt vmcnt(8)
	v_lshlrev_b32_e32 v87, 16, v23
	v_and_b32_e32 v23, 0xffff0000, v23
	v_fmac_f32_e32 v107, v36, v72
	v_fmac_f32_e32 v91, v84, v75
	v_fmac_f32_e32 v99, v25, v76
	v_and_b32_e32 v26, 0xffff0000, v26
	v_lshlrev_b32_e32 v82, 16, v24
	s_waitcnt vmcnt(7)
	v_lshlrev_b32_e32 v98, 16, v21
	v_and_b32_e32 v21, 0xffff0000, v21
	v_fmac_f32_e32 v108, v28, v65
	v_fmac_f32_e32 v107, v34, v68
	v_fmac_f32_e32 v91, v87, v73
	v_fmac_f32_e32 v99, v23, v74
	v_and_b32_e32 v24, 0xffff0000, v24
	v_lshlrev_b32_e32 v31, 16, v22
	s_waitcnt vmcnt(6)
	v_lshlrev_b32_e32 v85, 16, v19
	v_and_b32_e32 v19, 0xffff0000, v19
	v_fmac_f32_e32 v108, v26, v58
	;; [unrolled: 9-line block ×7, first 2 shown]
	v_fmac_f32_e32 v107, v29, v100
	v_fmac_f32_e32 v91, v80, v105
	;; [unrolled: 1-line block ×3, first 2 shown]
	v_and_b32_e32 v12, 0xffff0000, v12
	v_lshlrev_b32_e32 v17, 16, v10
	s_waitcnt vmcnt(0)
	v_lshlrev_b32_e32 v13, 16, v7
	v_fmac_f32_e32 v108, v14, v97
	v_and_b32_e32 v7, 0xffff0000, v7
	v_fmac_f32_e32 v107, v25, v104
	v_fmac_f32_e32 v91, v21, v38
	;; [unrolled: 1-line block ×3, first 2 shown]
	v_and_b32_e32 v10, 0xffff0000, v10
	v_fmac_f32_e32 v108, v12, v103
	v_lshlrev_b32_e32 v1, 16, v8
	v_fmac_f32_e32 v107, v17, v37
	v_fmac_f32_e32 v91, v13, v35
	;; [unrolled: 1-line block ×4, first 2 shown]
	v_and_b32_e32 v2, 0xffff0000, v4
	v_and_b32_e32 v3, 0xffff0000, v8
	v_fmac_f32_e32 v107, v1, v59
	v_add_f32_e32 v1, v91, v99
	v_cndmask_b32_e64 v4, v39, v45, s2
	v_fmac_f32_e32 v108, v3, v2
	v_add_f32_e32 v1, v1, v107
	v_lshlrev_b32_e32 v2, 2, v4
	v_add_f32_e32 v1, v108, v1
	ds_bpermute_b32 v2, v2, v1
	s_and_saveexec_b32 s3, vcc_lo
	s_cbranch_execz .LBB133_10
; %bb.18:                               ;   in Loop: Header=BB133_12 Depth=1
	v_add_nc_u32_e32 v3, v46, v43
	s_waitcnt lgkmcnt(0)
	v_add_f32_e32 v1, v1, v2
	v_cvt_f32_i32_e32 v3, v3
	v_mul_f32_e32 v3, s33, v3
	v_cndmask_b32_e64 v2, 0, v3, s1
	v_max_f32_e32 v3, v40, v40
	v_fmac_f32_e32 v2, s29, v1
	v_add_nc_u32_e32 v1, v41, v43
	v_max_f32_e32 v3, v3, v2
	v_cmp_gt_i32_e64 s2, s30, v1
	v_cndmask_b32_e64 v1, 0, v2, s2
	v_cndmask_b32_e64 v40, v40, v3, s2
	ds_write_b32 v47, v1
	s_branch .LBB133_10
.LBB133_19:
	s_or_b32 exec_lo, exec_lo, s35
	v_lshlrev_b32_e32 v13, 3, v0
	v_lshrrev_b32_e32 v14, 3, v0
.LBB133_20:
	s_or_b32 exec_lo, exec_lo, s34
	v_xor_b32_e32 v1, 16, v39
	v_xor_b32_e32 v3, 8, v39
	v_max_f32_e32 v5, v40, v40
	v_xor_b32_e32 v6, 2, v39
	v_and_b32_e32 v63, 31, v0
	v_cmp_gt_i32_e32 vcc_lo, 32, v1
	v_cndmask_b32_e32 v1, v39, v1, vcc_lo
	v_cmp_gt_i32_e32 vcc_lo, 32, v3
	s_waitcnt lgkmcnt(0)
	v_lshlrev_b32_e32 v2, 2, v1
	v_cndmask_b32_e32 v3, v39, v3, vcc_lo
	ds_bpermute_b32 v1, v2, v40
	v_lshlrev_b32_e32 v4, 2, v3
	s_waitcnt lgkmcnt(0)
	v_max_f32_e32 v1, v1, v1
	v_max_f32_e32 v1, v5, v1
	v_xor_b32_e32 v5, 4, v39
	ds_bpermute_b32 v3, v4, v1
	v_cmp_gt_i32_e32 vcc_lo, 32, v5
	v_cndmask_b32_e32 v5, v39, v5, vcc_lo
	v_cmp_gt_i32_e32 vcc_lo, 32, v6
	v_lshlrev_b32_e32 v5, 2, v5
	v_cndmask_b32_e32 v6, v39, v6, vcc_lo
	v_cmp_eq_u32_e32 vcc_lo, 0, v63
	s_waitcnt lgkmcnt(0)
	v_max_f32_e32 v3, v3, v3
	v_max_f32_e32 v1, v1, v3
	ds_bpermute_b32 v3, v5, v1
	s_waitcnt lgkmcnt(0)
	v_max_f32_e32 v3, v3, v3
	v_max_f32_e32 v3, v1, v3
	v_lshlrev_b32_e32 v1, 2, v6
	v_lshlrev_b32_e32 v6, 2, v61
	ds_bpermute_b32 v7, v1, v3
	s_and_saveexec_b32 s1, vcc_lo
	s_cbranch_execz .LBB133_22
; %bb.21:
	s_waitcnt lgkmcnt(0)
	v_max_f32_e32 v7, v7, v7
	v_max_f32_e32 v3, v3, v3
	;; [unrolled: 1-line block ×3, first 2 shown]
	ds_write_b32 v6, v3 offset:384
.LBB133_22:
	s_or_b32 exec_lo, exec_lo, s1
	v_cmp_gt_u32_e64 s1, 4, v63
	v_mov_b32_e32 v3, 0xff7fffff
	s_waitcnt lgkmcnt(0)
	v_lshlrev_b32_e32 v7, 2, v63
	s_waitcnt_vscnt null, 0x0
	s_barrier
	buffer_gl0_inv
	s_and_saveexec_b32 s2, s1
; %bb.23:
	ds_read_b32 v3, v7 offset:384
; %bb.24:
	s_or_b32 exec_lo, exec_lo, s2
	s_waitcnt lgkmcnt(0)
	ds_bpermute_b32 v8, v1, v3
	v_xor_b32_e32 v9, 1, v39
	v_max_f32_e32 v3, v3, v3
	v_cmp_gt_i32_e64 s2, 32, v9
	v_cndmask_b32_e64 v9, v39, v9, s2
	s_lshl_b32 s2, s16, 4
	s_min_i32 s4, s2, s30
	v_lshlrev_b32_e32 v64, 2, v9
	v_cmp_gt_i32_e64 s2, s4, v0
	s_waitcnt lgkmcnt(0)
	v_max_f32_e32 v8, v8, v8
	v_max_f32_e32 v3, v3, v8
	ds_bpermute_b32 v8, v64, v3
	s_waitcnt lgkmcnt(0)
	v_max_f32_e32 v8, v8, v8
	v_max_f32_e32 v3, v3, v8
	v_mov_b32_e32 v8, 0
	ds_bpermute_b32 v9, v8, v3
	v_lshl_add_u32 v3, v0, 2, 0x1a0
	s_and_saveexec_b32 s5, s2
	s_cbranch_execz .LBB133_28
; %bb.25:
	v_lshl_add_u32 v10, v0, 2, 0x1a0
	v_mov_b32_e32 v8, 0
	v_mov_b32_e32 v11, v0
	s_mov_b32 s15, 0
	.p2align	6
.LBB133_26:                             ; =>This Inner Loop Header: Depth=1
	ds_read_b32 v12, v10
	v_add_nc_u32_e32 v11, 0x80, v11
	v_cmp_le_i32_e64 s3, s4, v11
	s_or_b32 s15, s3, s15
	s_waitcnt lgkmcnt(0)
	v_sub_f32_e32 v12, v12, v9
	v_mul_f32_e32 v12, 0x3fb8aa3b, v12
	v_exp_f32_e32 v12, v12
	ds_write_b32 v10, v12
	v_add_f32_e32 v8, v8, v12
	v_add_nc_u32_e32 v10, 0x200, v10
	s_andn2_b32 exec_lo, exec_lo, s15
	s_cbranch_execnz .LBB133_26
; %bb.27:
	s_or_b32 exec_lo, exec_lo, s15
.LBB133_28:
	s_or_b32 exec_lo, exec_lo, s5
	ds_bpermute_b32 v2, v2, v8
	s_waitcnt lgkmcnt(0)
	v_add_f32_e32 v2, v8, v2
	ds_bpermute_b32 v4, v4, v2
	s_waitcnt lgkmcnt(0)
	v_add_f32_e32 v2, v2, v4
	;; [unrolled: 3-line block ×5, first 2 shown]
	s_and_saveexec_b32 s3, vcc_lo
; %bb.29:
	ds_write_b32 v6, v2 offset:400
; %bb.30:
	s_or_b32 exec_lo, exec_lo, s3
	s_waitcnt lgkmcnt(0)
	s_barrier
	buffer_gl0_inv
	s_and_saveexec_b32 s3, s1
; %bb.31:
	ds_read_b32 v2, v7 offset:400
; %bb.32:
	s_or_b32 exec_lo, exec_lo, s3
	s_waitcnt lgkmcnt(0)
	ds_bpermute_b32 v1, v1, v2
	s_waitcnt lgkmcnt(0)
	v_add_f32_e32 v1, v2, v1
	ds_bpermute_b32 v2, v64, v1
	s_waitcnt lgkmcnt(0)
	v_add_f32_e32 v1, v1, v2
	v_mov_b32_e32 v2, 0
	ds_bpermute_b32 v1, v2, v1
	s_and_saveexec_b32 s1, s2
	s_cbranch_execz .LBB133_35
; %bb.33:
	s_waitcnt lgkmcnt(0)
	v_add_f32_e32 v1, 0x358637bd, v1
	s_mov_b32 s2, 0
	v_div_scale_f32 v2, null, v1, v1, 1.0
	v_div_scale_f32 v6, vcc_lo, 1.0, v1, 1.0
	v_rcp_f32_e32 v4, v2
	v_fma_f32 v5, -v2, v4, 1.0
	v_fmac_f32_e32 v4, v5, v4
	v_mul_f32_e32 v5, v6, v4
	v_fma_f32 v7, -v2, v5, v6
	v_fmac_f32_e32 v5, v7, v4
	v_fma_f32 v2, -v2, v5, v6
	v_div_fmas_f32 v2, v2, v4, v5
	v_div_fixup_f32 v1, v2, v1, 1.0
	v_mov_b32_e32 v2, v0
.LBB133_34:                             ; =>This Inner Loop Header: Depth=1
	ds_read_b32 v4, v3
	v_add_nc_u32_e32 v2, 0x80, v2
	v_cmp_le_i32_e32 vcc_lo, s4, v2
	s_or_b32 s2, vcc_lo, s2
	s_waitcnt lgkmcnt(0)
	v_mul_f32_e32 v4, v1, v4
	ds_write_b32 v3, v4
	v_add_nc_u32_e32 v3, 0x200, v3
	s_andn2_b32 exec_lo, exec_lo, s2
	s_cbranch_execnz .LBB133_34
.LBB133_35:
	s_or_b32 exec_lo, exec_lo, s1
	v_mov_b32_e32 v76, 0
	v_mov_b32_e32 v75, 0
	v_mov_b32_e32 v74, 0
	v_mov_b32_e32 v73, 0
	v_mov_b32_e32 v72, 0
	v_mov_b32_e32 v71, 0
	v_mov_b32_e32 v70, 0
	v_mov_b32_e32 v69, 0
	v_mov_b32_e32 v68, 0
	v_mov_b32_e32 v67, 0
	v_mov_b32_e32 v66, 0
	v_mov_b32_e32 v65, 0
	s_waitcnt lgkmcnt(0)
	s_barrier
	buffer_gl0_inv
	s_and_saveexec_b32 s3, s0
	s_cbranch_execz .LBB133_65
; %bb.36:
	s_ashr_i32 s15, s14, 31
	s_sub_i32 s4, s28, s17
	s_lshl_b64 s[0:1], s[14:15], 1
	v_and_b32_e32 v4, 1, v0
	s_add_u32 s2, s26, s0
	s_addc_u32 s15, s27, s1
	s_abs_i32 s5, s18
	v_lshlrev_b32_e32 v2, 4, v0
	v_cvt_f32_u32_e32 v1, s5
	s_sub_i32 s0, 0, s5
	v_lshlrev_b32_e32 v4, 5, v4
	v_and_b32_e32 v3, 0x7c, v14
	v_and_b32_e32 v2, 0x1f0, v2
	v_rcp_iflag_f32_e32 v1, v1
	s_add_i32 s14, s16, -1
	v_lshl_or_b32 v4, v61, 6, v4
	v_and_b32_e32 v77, 8, v13
	v_add_co_u32 v79, s2, s2, v2
	v_mov_b32_e32 v78, 0
	v_mov_b32_e32 v65, 0
	v_mov_b32_e32 v66, 0
	v_mov_b32_e32 v67, 0
	v_mul_f32_e32 v1, 0x4f7ffffe, v1
	v_mov_b32_e32 v68, 0
	v_mov_b32_e32 v69, 0
	;; [unrolled: 1-line block ×4, first 2 shown]
	v_cvt_u32_f32_e32 v1, v1
	v_mov_b32_e32 v72, 0
	v_mov_b32_e32 v73, 0
	;; [unrolled: 1-line block ×4, first 2 shown]
	v_mul_lo_u32 v5, s0, v1
	s_lshl_b64 s[0:1], s[24:25], 2
	v_mov_b32_e32 v76, 0
	s_add_u32 s0, s22, s0
	s_addc_u32 s1, s23, s1
	v_add_co_u32 v57, s0, s0, v3
	v_add_co_ci_u32_e64 v80, null, s15, 0, s2
	v_mul_hi_u32 v5, v1, v5
	v_add_nc_u32_e32 v81, 0x1a0, v4
	v_add_co_ci_u32_e64 v58, null, s1, 0, s0
	v_mov_b32_e32 v83, v61
	s_mov_b32 s17, s30
	s_mov_b32 s15, 0
	v_add_nc_u32_e32 v82, v1, v5
	s_branch .LBB133_39
.LBB133_37:                             ;   in Loop: Header=BB133_39 Depth=1
	s_or_b32 exec_lo, exec_lo, s2
	s_waitcnt lgkmcnt(1)
	v_bfe_u32 v59, v41, 16, 1
	v_or_b32_e32 v60, 0x400000, v41
	v_bfe_u32 v84, v42, 16, 1
	v_cmp_u_f32_e32 vcc_lo, v41, v41
	v_bfe_u32 v85, v43, 16, 1
	v_add3_u32 v59, v59, v41, 0x7fff
	v_or_b32_e32 v86, 0x400000, v42
	v_add3_u32 v84, v84, v42, 0x7fff
	v_or_b32_e32 v87, 0x400000, v43
	v_add3_u32 v85, v85, v43, 0x7fff
	v_cndmask_b32_e32 v41, v59, v60, vcc_lo
	v_cmp_u_f32_e32 vcc_lo, v42, v42
	v_bfe_u32 v59, v44, 16, 1
	s_waitcnt lgkmcnt(0)
	v_bfe_u32 v60, v33, 16, 1
	v_and_b32_e32 v41, 0xffff0000, v41
	v_cndmask_b32_e32 v42, v84, v86, vcc_lo
	v_cmp_u_f32_e32 vcc_lo, v43, v43
	v_add3_u32 v59, v59, v44, 0x7fff
	v_or_b32_e32 v84, 0x400000, v44
	v_add3_u32 v60, v60, v33, 0x7fff
	v_bfe_u32 v86, v34, 16, 1
	v_cndmask_b32_e32 v43, v85, v87, vcc_lo
	v_cmp_u_f32_e32 vcc_lo, v44, v44
	v_or_b32_e32 v85, 0x400000, v33
	v_and_b32_e32 v43, 0xffff0000, v43
	v_cndmask_b32_e32 v44, v59, v84, vcc_lo
	v_cmp_u_f32_e32 vcc_lo, v33, v33
	v_or_b32_e32 v84, 0x400000, v34
	v_and_b32_e32 v33, 0xffff0000, v42
	s_waitcnt vmcnt(1)
	v_and_b32_e32 v42, 0xffff0000, v53
	v_lshlrev_b32_e32 v53, 16, v53
	v_cndmask_b32_e32 v59, v60, v85, vcc_lo
	v_add3_u32 v60, v86, v34, 0x7fff
	v_bfe_u32 v85, v35, 16, 1
	v_cmp_u_f32_e32 vcc_lo, v34, v34
	v_mul_f32_e32 v42, v33, v42
	v_mul_f32_e32 v53, v41, v53
	v_add3_u32 v34, v85, v35, 0x7fff
	v_cndmask_b32_e32 v60, v60, v84, vcc_lo
	v_or_b32_e32 v84, 0x400000, v35
	v_bfe_u32 v85, v36, 16, 1
	v_cmp_u_f32_e32 vcc_lo, v35, v35
	v_bfe_u32 v86, v42, 16, 1
	v_add3_u32 v35, v85, v36, 0x7fff
	v_cndmask_b32_e32 v84, v34, v84, vcc_lo
	v_or_b32_e32 v85, 0x400000, v36
	v_and_b32_e32 v34, 0xffff0000, v44
	v_and_b32_e32 v44, 0xffff0000, v54
	v_cmp_u_f32_e32 vcc_lo, v36, v36
	v_mul_f32_e32 v87, v34, v44
	v_cndmask_b32_e32 v36, v35, v85, vcc_lo
	v_add3_u32 v35, v86, v42, 0x7fff
	v_or_b32_e32 v85, 0x400000, v42
	v_bfe_u32 v86, v53, 16, 1
	v_lshlrev_b32_e32 v44, 16, v54
	v_cmp_u_f32_e32 vcc_lo, v42, v42
	v_and_b32_e32 v36, 0xffff0000, v36
	v_add3_u32 v42, v86, v53, 0x7fff
	v_bfe_u32 v86, v87, 16, 1
	v_cndmask_b32_e32 v54, v35, v85, vcc_lo
	v_or_b32_e32 v85, 0x400000, v53
	v_mul_f32_e32 v88, v43, v44
	v_cmp_u_f32_e32 vcc_lo, v53, v53
	v_and_b32_e32 v35, 0xffff0000, v60
	v_and_b32_e32 v44, 0xffff0000, v55
	v_or_b32_e32 v60, 0x400000, v87
	v_lshlrev_b32_e32 v55, 16, v55
	v_cndmask_b32_e32 v53, v42, v85, vcc_lo
	v_add3_u32 v42, v86, v87, 0x7fff
	v_bfe_u32 v85, v88, 16, 1
	v_cmp_u_f32_e32 vcc_lo, v87, v87
	v_mul_f32_e32 v86, v35, v44
	v_and_b32_e32 v44, 0xffff0000, v59
	v_and_b32_e32 v87, 0xffff0000, v56
	v_lshlrev_b32_e32 v56, 16, v56
	v_cndmask_b32_e32 v59, v42, v60, vcc_lo
	v_add3_u32 v42, v85, v88, 0x7fff
	v_or_b32_e32 v60, 0x400000, v88
	v_cmp_u_f32_e32 vcc_lo, v88, v88
	v_bfe_u32 v85, v86, 16, 1
	v_mul_f32_e32 v55, v44, v55
	v_mul_f32_e32 v87, v36, v87
	v_and_b32_e32 v53, 0xffff0000, v53
	v_cndmask_b32_e32 v60, v42, v60, vcc_lo
	v_and_b32_e32 v42, 0xffff0000, v84
	v_add3_u32 v85, v85, v86, 0x7fff
	v_bfe_u32 v88, v55, 16, 1
	v_or_b32_e32 v84, 0x400000, v86
	v_cmp_u_f32_e32 vcc_lo, v86, v86
	v_mul_f32_e32 v56, v42, v56
	v_or_b32_e32 v89, 0x400000, v55
	v_add3_u32 v88, v88, v55, 0x7fff
	v_bfe_u32 v90, v87, 16, 1
	v_cndmask_b32_e32 v84, v85, v84, vcc_lo
	v_cmp_u_f32_e32 vcc_lo, v55, v55
	v_bfe_u32 v86, v56, 16, 1
	v_and_b32_e32 v54, 0xffff0000, v54
	v_and_b32_e32 v60, 0xffff0000, v60
	;; [unrolled: 1-line block ×3, first 2 shown]
	v_cndmask_b32_e32 v55, v88, v89, vcc_lo
	v_add3_u32 v86, v86, v56, 0x7fff
	v_or_b32_e32 v89, 0x400000, v56
	v_cmp_u_f32_e32 vcc_lo, v56, v56
	v_add3_u32 v85, v90, v87, 0x7fff
	v_or_b32_e32 v88, 0x400000, v87
	v_add_f32_e32 v53, v53, v54
	v_add_f32_e32 v54, v60, v59
	v_and_b32_e32 v55, 0xffff0000, v55
	v_and_b32_e32 v59, 0xffff0000, v84
	v_cndmask_b32_e32 v56, v86, v89, vcc_lo
	v_cmp_u_f32_e32 vcc_lo, v87, v87
	v_add_f32_e32 v53, v54, v53
	v_add_f32_e32 v54, v55, v59
	v_and_b32_e32 v55, 0xffff0000, v49
	v_cndmask_b32_e32 v60, v85, v88, vcc_lo
	v_and_b32_e32 v56, 0xffff0000, v56
	v_lshlrev_b32_e32 v49, 16, v49
	v_add_f32_e32 v53, v54, v53
	v_mul_f32_e32 v55, v33, v55
	v_and_b32_e32 v59, 0xffff0000, v60
	v_mul_f32_e32 v49, v41, v49
	v_cmp_u_f32_e32 vcc_lo, v55, v55
	v_add_f32_e32 v54, v56, v59
	v_and_b32_e32 v56, 0xffff0000, v50
	v_bfe_u32 v59, v55, 16, 1
	v_bfe_u32 v60, v49, 16, 1
	v_or_b32_e32 v84, 0x400000, v49
	v_add_f32_e32 v53, v54, v53
	v_mul_f32_e32 v54, v34, v56
	v_add3_u32 v56, v59, v55, 0x7fff
	v_or_b32_e32 v59, 0x400000, v55
	v_add3_u32 v60, v60, v49, 0x7fff
	v_lshlrev_b32_e32 v50, 16, v50
	v_bfe_u32 v85, v54, 16, 1
	v_add_f32_e32 v66, v66, v53
	v_cndmask_b32_e32 v55, v56, v59, vcc_lo
	v_cmp_u_f32_e32 vcc_lo, v49, v49
	v_mul_f32_e32 v50, v43, v50
	v_add3_u32 v56, v85, v54, 0x7fff
	v_or_b32_e32 v59, 0x400000, v54
	v_and_b32_e32 v55, 0xffff0000, v55
	v_cndmask_b32_e32 v49, v60, v84, vcc_lo
	v_and_b32_e32 v60, 0xffff0000, v51
	v_cmp_u_f32_e32 vcc_lo, v54, v54
	v_lshlrev_b32_e32 v51, 16, v51
	v_bfe_u32 v84, v50, 16, 1
	v_and_b32_e32 v49, 0xffff0000, v49
	v_cndmask_b32_e32 v54, v56, v59, vcc_lo
	v_mul_f32_e32 v56, v35, v60
	v_mul_f32_e32 v51, v44, v51
	v_add3_u32 v59, v84, v50, 0x7fff
	v_or_b32_e32 v60, 0x400000, v50
	v_and_b32_e32 v84, 0xffff0000, v52
	v_bfe_u32 v85, v56, 16, 1
	v_cmp_u_f32_e32 vcc_lo, v50, v50
	v_bfe_u32 v86, v51, 16, 1
	v_lshlrev_b32_e32 v52, 16, v52
	v_and_b32_e32 v54, 0xffff0000, v54
	v_add_f32_e32 v49, v49, v55
	v_cndmask_b32_e32 v50, v59, v60, vcc_lo
	v_mul_f32_e32 v59, v36, v84
	v_add3_u32 v60, v85, v56, 0x7fff
	v_or_b32_e32 v84, 0x400000, v56
	v_cmp_u_f32_e32 vcc_lo, v56, v56
	v_add3_u32 v85, v86, v51, 0x7fff
	v_or_b32_e32 v86, 0x400000, v51
	v_bfe_u32 v87, v59, 16, 1
	v_and_b32_e32 v50, 0xffff0000, v50
	v_cndmask_b32_e32 v56, v60, v84, vcc_lo
	v_cmp_u_f32_e32 vcc_lo, v51, v51
	v_or_b32_e32 v84, 0x400000, v59
	v_add3_u32 v60, v87, v59, 0x7fff
	v_mul_f32_e32 v52, v42, v52
	v_add_f32_e32 v50, v50, v54
	v_cndmask_b32_e32 v51, v85, v86, vcc_lo
	v_cmp_u_f32_e32 vcc_lo, v59, v59
	v_and_b32_e32 v54, 0xffff0000, v45
	v_and_b32_e32 v55, 0xffff0000, v56
	v_add_f32_e32 v49, v50, v49
	v_and_b32_e32 v51, 0xffff0000, v51
	v_cndmask_b32_e32 v59, v60, v84, vcc_lo
	v_bfe_u32 v60, v52, 16, 1
	v_mul_f32_e32 v50, v33, v54
	v_lshlrev_b32_e32 v45, 16, v45
	v_add_f32_e32 v51, v51, v55
	v_cmp_u_f32_e32 vcc_lo, v52, v52
	v_add3_u32 v56, v60, v52, 0x7fff
	v_or_b32_e32 v60, 0x400000, v52
	v_bfe_u32 v54, v50, 16, 1
	v_add_f32_e32 v49, v51, v49
	v_mul_f32_e32 v45, v41, v45
	v_and_b32_e32 v51, 0xffff0000, v46
	v_cndmask_b32_e32 v52, v56, v60, vcc_lo
	v_add3_u32 v54, v54, v50, 0x7fff
	v_or_b32_e32 v55, 0x400000, v50
	v_bfe_u32 v56, v45, 16, 1
	v_mul_f32_e32 v51, v34, v51
	v_lshlrev_b32_e32 v46, 16, v46
	v_cmp_u_f32_e32 vcc_lo, v50, v50
	v_and_b32_e32 v60, 0xffff0000, v47
	v_lshlrev_b32_e32 v47, 16, v47
	v_and_b32_e32 v84, 0xffff0000, v48
	v_mul_f32_e32 v46, v43, v46
	v_cndmask_b32_e32 v50, v54, v55, vcc_lo
	v_add3_u32 v54, v56, v45, 0x7fff
	v_or_b32_e32 v55, 0x400000, v45
	v_bfe_u32 v56, v51, 16, 1
	v_cmp_u_f32_e32 vcc_lo, v45, v45
	v_mul_f32_e32 v60, v35, v60
	v_mul_f32_e32 v47, v44, v47
	v_lshlrev_b32_e32 v48, 16, v48
	v_and_b32_e32 v50, 0xffff0000, v50
	v_cndmask_b32_e32 v45, v54, v55, vcc_lo
	v_add3_u32 v54, v56, v51, 0x7fff
	v_or_b32_e32 v55, 0x400000, v51
	v_bfe_u32 v56, v46, 16, 1
	v_cmp_u_f32_e32 vcc_lo, v51, v51
	v_mul_f32_e32 v48, v42, v48
	v_or_b32_e32 v85, 0x400000, v47
	v_and_b32_e32 v45, 0xffff0000, v45
	v_and_b32_e32 v52, 0xffff0000, v52
	v_cndmask_b32_e32 v51, v54, v55, vcc_lo
	v_add3_u32 v54, v56, v46, 0x7fff
	v_or_b32_e32 v55, 0x400000, v46
	v_bfe_u32 v56, v60, 16, 1
	v_cmp_u_f32_e32 vcc_lo, v46, v46
	v_bfe_u32 v87, v48, 16, 1
	v_and_b32_e32 v51, 0xffff0000, v51
	v_add_f32_e32 v45, v45, v50
	v_cndmask_b32_e32 v46, v54, v55, vcc_lo
	v_bfe_u32 v54, v47, 16, 1
	v_add3_u32 v55, v56, v60, 0x7fff
	v_mul_f32_e32 v56, v36, v84
	v_or_b32_e32 v84, 0x400000, v60
	v_cmp_u_f32_e32 vcc_lo, v60, v60
	v_add3_u32 v54, v54, v47, 0x7fff
	v_add3_u32 v60, v87, v48, 0x7fff
	v_bfe_u32 v86, v56, 16, 1
	v_and_b32_e32 v46, 0xffff0000, v46
	v_cndmask_b32_e32 v55, v55, v84, vcc_lo
	v_cmp_u_f32_e32 vcc_lo, v47, v47
	v_or_b32_e32 v84, 0x400000, v48
	v_add_f32_e32 v46, v46, v51
	v_and_b32_e32 v50, 0xffff0000, v55
	v_cndmask_b32_e32 v47, v54, v85, vcc_lo
	v_cmp_u_f32_e32 vcc_lo, v48, v48
	v_add3_u32 v54, v86, v56, 0x7fff
	v_or_b32_e32 v85, 0x400000, v56
	v_add_f32_e32 v45, v46, v45
	v_and_b32_e32 v47, 0xffff0000, v47
	v_cndmask_b32_e32 v48, v60, v84, vcc_lo
	v_cmp_u_f32_e32 vcc_lo, v56, v56
	v_add_f32_e32 v46, v47, v50
	v_and_b32_e32 v47, 0xffff0000, v48
	v_cndmask_b32_e32 v51, v54, v85, vcc_lo
	v_and_b32_e32 v54, 0xffff0000, v59
	v_and_b32_e32 v50, 0xffff0000, v37
	v_lshlrev_b32_e32 v37, 16, v37
	v_add_f32_e32 v45, v46, v45
	v_and_b32_e32 v48, 0xffff0000, v51
	v_add_f32_e32 v51, v52, v54
	v_mul_f32_e32 v37, v41, v37
	v_add_f32_e32 v46, v47, v48
	v_mul_f32_e32 v47, v33, v50
	v_add_f32_e32 v48, v51, v49
	v_and_b32_e32 v49, 0xffff0000, v38
	v_lshlrev_b32_e32 v38, 16, v38
	v_add_f32_e32 v45, v46, v45
	v_bfe_u32 v46, v47, 16, 1
	v_add_f32_e32 v67, v67, v48
	v_bfe_u32 v48, v37, 16, 1
	v_mul_f32_e32 v49, v34, v49
	v_add_f32_e32 v68, v68, v45
	v_add3_u32 v45, v46, v47, 0x7fff
	v_or_b32_e32 v46, 0x400000, v47
	v_cmp_u_f32_e32 vcc_lo, v47, v47
	v_add3_u32 v48, v48, v37, 0x7fff
	v_or_b32_e32 v50, 0x400000, v37
	v_mul_f32_e32 v38, v43, v38
	v_and_b32_e32 v47, 0xffff0000, v39
	v_cndmask_b32_e32 v45, v45, v46, vcc_lo
	v_bfe_u32 v46, v49, 16, 1
	v_cmp_u_f32_e32 vcc_lo, v37, v37
	v_lshlrev_b32_e32 v39, 16, v39
	v_mul_f32_e32 v47, v35, v47
	v_and_b32_e32 v51, 0xffff0000, v40
	v_add3_u32 v46, v46, v49, 0x7fff
	v_cndmask_b32_e32 v37, v48, v50, vcc_lo
	v_or_b32_e32 v48, 0x400000, v49
	v_bfe_u32 v50, v38, 16, 1
	v_cmp_u_f32_e32 vcc_lo, v49, v49
	v_mul_f32_e32 v39, v44, v39
	v_or_b32_e32 v49, 0x400000, v38
	v_lshlrev_b32_e32 v40, 16, v40
	v_and_b32_e32 v37, 0xffff0000, v37
	v_cndmask_b32_e32 v46, v46, v48, vcc_lo
	v_add3_u32 v48, v50, v38, 0x7fff
	v_bfe_u32 v50, v47, 16, 1
	v_cmp_u_f32_e32 vcc_lo, v38, v38
	v_bfe_u32 v52, v39, 16, 1
	v_mul_f32_e32 v40, v42, v40
	v_and_b32_e32 v45, 0xffff0000, v45
	v_and_b32_e32 v46, 0xffff0000, v46
	v_cndmask_b32_e32 v38, v48, v49, vcc_lo
	v_add3_u32 v48, v50, v47, 0x7fff
	v_mul_f32_e32 v49, v36, v51
	v_or_b32_e32 v50, 0x400000, v47
	v_cmp_u_f32_e32 vcc_lo, v47, v47
	v_add3_u32 v51, v52, v39, 0x7fff
	v_or_b32_e32 v52, 0x400000, v39
	v_bfe_u32 v53, v49, 16, 1
	v_and_b32_e32 v38, 0xffff0000, v38
	v_cndmask_b32_e32 v47, v48, v50, vcc_lo
	v_cmp_u_f32_e32 vcc_lo, v39, v39
	v_or_b32_e32 v50, 0x400000, v49
	v_add3_u32 v48, v53, v49, 0x7fff
	v_add_f32_e32 v37, v37, v45
	v_add_f32_e32 v38, v38, v46
	v_cndmask_b32_e32 v39, v51, v52, vcc_lo
	v_bfe_u32 v51, v40, 16, 1
	v_cmp_u_f32_e32 vcc_lo, v49, v49
	v_and_b32_e32 v45, 0xffff0000, v29
	v_and_b32_e32 v46, 0xffff0000, v47
	;; [unrolled: 1-line block ×3, first 2 shown]
	v_add3_u32 v49, v51, v40, 0x7fff
	v_cndmask_b32_e32 v48, v48, v50, vcc_lo
	v_or_b32_e32 v50, 0x400000, v40
	v_cmp_u_f32_e32 vcc_lo, v40, v40
	v_add_f32_e32 v37, v38, v37
	v_mul_f32_e32 v38, v33, v45
	v_add_f32_e32 v39, v39, v46
	v_lshlrev_b32_e32 v29, 16, v29
	v_cndmask_b32_e32 v40, v49, v50, vcc_lo
	v_and_b32_e32 v45, 0xffff0000, v48
	v_bfe_u32 v46, v38, 16, 1
	v_add_f32_e32 v37, v39, v37
	v_mul_f32_e32 v29, v41, v29
	v_and_b32_e32 v40, 0xffff0000, v40
	v_and_b32_e32 v39, 0xffff0000, v30
	v_lshlrev_b32_e32 v30, 16, v30
	v_cmp_u_f32_e32 vcc_lo, v38, v38
	v_bfe_u32 v47, v29, 16, 1
	v_add_f32_e32 v40, v40, v45
	v_add3_u32 v45, v46, v38, 0x7fff
	v_or_b32_e32 v46, 0x400000, v38
	v_mul_f32_e32 v39, v34, v39
	v_mul_f32_e32 v30, v43, v30
	v_and_b32_e32 v48, 0xffff0000, v31
	v_lshlrev_b32_e32 v31, 16, v31
	v_cndmask_b32_e32 v38, v45, v46, vcc_lo
	v_add3_u32 v45, v47, v29, 0x7fff
	v_or_b32_e32 v46, 0x400000, v29
	v_bfe_u32 v47, v39, 16, 1
	v_cmp_u_f32_e32 vcc_lo, v29, v29
	v_mul_f32_e32 v48, v35, v48
	v_mul_f32_e32 v31, v44, v31
	v_and_b32_e32 v49, 0xffff0000, v32
	v_lshlrev_b32_e32 v32, 16, v32
	v_cndmask_b32_e32 v29, v45, v46, vcc_lo
	v_add3_u32 v45, v47, v39, 0x7fff
	v_or_b32_e32 v46, 0x400000, v39
	v_bfe_u32 v47, v30, 16, 1
	v_cmp_u_f32_e32 vcc_lo, v39, v39
	v_mul_f32_e32 v32, v42, v32
	v_or_b32_e32 v50, 0x400000, v31
	v_and_b32_e32 v29, 0xffff0000, v29
	v_and_b32_e32 v38, 0xffff0000, v38
	v_cndmask_b32_e32 v39, v45, v46, vcc_lo
	v_add3_u32 v45, v47, v30, 0x7fff
	v_or_b32_e32 v46, 0x400000, v30
	v_bfe_u32 v47, v48, 16, 1
	v_cmp_u_f32_e32 vcc_lo, v30, v30
	v_and_b32_e32 v39, 0xffff0000, v39
	v_add_f32_e32 v29, v29, v38
	v_add_f32_e32 v37, v40, v37
	v_cndmask_b32_e32 v30, v45, v46, vcc_lo
	v_bfe_u32 v45, v31, 16, 1
	v_add3_u32 v46, v47, v48, 0x7fff
	v_mul_f32_e32 v47, v36, v49
	v_or_b32_e32 v49, 0x400000, v48
	v_cmp_u_f32_e32 vcc_lo, v48, v48
	v_add3_u32 v45, v45, v31, 0x7fff
	v_bfe_u32 v48, v32, 16, 1
	v_bfe_u32 v51, v47, 16, 1
	v_and_b32_e32 v30, 0xffff0000, v30
	v_cndmask_b32_e32 v46, v46, v49, vcc_lo
	v_cmp_u_f32_e32 vcc_lo, v31, v31
	v_add3_u32 v48, v48, v32, 0x7fff
	v_or_b32_e32 v49, 0x400000, v47
	v_add_f32_e32 v30, v30, v39
	v_and_b32_e32 v38, 0xffff0000, v46
	v_cndmask_b32_e32 v31, v45, v50, vcc_lo
	v_or_b32_e32 v50, 0x400000, v32
	v_cmp_u_f32_e32 vcc_lo, v32, v32
	v_add3_u32 v45, v51, v47, 0x7fff
	v_add_f32_e32 v29, v30, v29
	v_and_b32_e32 v31, 0xffff0000, v31
	v_add_f32_e32 v69, v69, v37
	v_cndmask_b32_e32 v32, v48, v50, vcc_lo
	v_cmp_u_f32_e32 vcc_lo, v47, v47
	v_add_f32_e32 v30, v31, v38
	v_and_b32_e32 v31, 0xffff0000, v25
	v_and_b32_e32 v32, 0xffff0000, v32
	v_cndmask_b32_e32 v39, v45, v49, vcc_lo
	v_lshlrev_b32_e32 v25, 16, v25
	v_add_f32_e32 v29, v30, v29
	v_mul_f32_e32 v31, v33, v31
	v_and_b32_e32 v38, 0xffff0000, v39
	v_mul_f32_e32 v25, v41, v25
	v_cmp_u_f32_e32 vcc_lo, v31, v31
	v_add_f32_e32 v30, v32, v38
	v_and_b32_e32 v32, 0xffff0000, v26
	v_bfe_u32 v38, v31, 16, 1
	v_bfe_u32 v37, v25, 16, 1
	v_or_b32_e32 v39, 0x400000, v25
	v_add_f32_e32 v29, v30, v29
	v_mul_f32_e32 v30, v34, v32
	v_add3_u32 v32, v38, v31, 0x7fff
	v_or_b32_e32 v38, 0x400000, v31
	v_add3_u32 v37, v37, v25, 0x7fff
	v_lshlrev_b32_e32 v26, 16, v26
	v_bfe_u32 v40, v30, 16, 1
	v_add_f32_e32 v70, v70, v29
	v_cndmask_b32_e32 v31, v32, v38, vcc_lo
	v_cmp_u_f32_e32 vcc_lo, v25, v25
	v_mul_f32_e32 v26, v43, v26
	v_add3_u32 v32, v40, v30, 0x7fff
	v_and_b32_e32 v38, 0xffff0000, v27
	v_lshlrev_b32_e32 v27, 16, v27
	v_cndmask_b32_e32 v25, v37, v39, vcc_lo
	v_or_b32_e32 v37, 0x400000, v30
	v_cmp_u_f32_e32 vcc_lo, v30, v30
	v_bfe_u32 v39, v26, 16, 1
	v_mul_f32_e32 v27, v44, v27
	v_and_b32_e32 v25, 0xffff0000, v25
	v_and_b32_e32 v31, 0xffff0000, v31
	v_cndmask_b32_e32 v30, v32, v37, vcc_lo
	v_mul_f32_e32 v32, v35, v38
	v_add3_u32 v37, v39, v26, 0x7fff
	v_or_b32_e32 v38, 0x400000, v26
	v_and_b32_e32 v39, 0xffff0000, v28
	v_cmp_u_f32_e32 vcc_lo, v26, v26
	v_bfe_u32 v40, v32, 16, 1
	v_bfe_u32 v45, v27, 16, 1
	v_lshlrev_b32_e32 v28, 16, v28
	v_and_b32_e32 v30, 0xffff0000, v30
	v_cndmask_b32_e32 v26, v37, v38, vcc_lo
	v_mul_f32_e32 v37, v36, v39
	v_add3_u32 v38, v40, v32, 0x7fff
	v_or_b32_e32 v39, 0x400000, v32
	v_cmp_u_f32_e32 vcc_lo, v32, v32
	v_add3_u32 v40, v45, v27, 0x7fff
	v_or_b32_e32 v45, 0x400000, v27
	v_bfe_u32 v46, v37, 16, 1
	v_and_b32_e32 v26, 0xffff0000, v26
	v_cndmask_b32_e32 v32, v38, v39, vcc_lo
	v_cmp_u_f32_e32 vcc_lo, v27, v27
	v_or_b32_e32 v39, 0x400000, v37
	v_add3_u32 v38, v46, v37, 0x7fff
	v_mul_f32_e32 v28, v42, v28
	v_add_f32_e32 v25, v25, v31
	v_cndmask_b32_e32 v27, v40, v45, vcc_lo
	v_cmp_u_f32_e32 vcc_lo, v37, v37
	v_add_f32_e32 v26, v26, v30
	v_and_b32_e32 v30, 0xffff0000, v21
	v_and_b32_e32 v31, 0xffff0000, v32
	;; [unrolled: 1-line block ×3, first 2 shown]
	v_cndmask_b32_e32 v37, v38, v39, vcc_lo
	v_bfe_u32 v38, v28, 16, 1
	v_add_f32_e32 v25, v26, v25
	v_mul_f32_e32 v26, v33, v30
	v_add_f32_e32 v27, v27, v31
	v_lshlrev_b32_e32 v21, 16, v21
	v_add3_u32 v32, v38, v28, 0x7fff
	v_or_b32_e32 v38, 0x400000, v28
	v_cmp_u_f32_e32 vcc_lo, v28, v28
	v_bfe_u32 v30, v26, 16, 1
	v_add_f32_e32 v25, v27, v25
	v_mul_f32_e32 v21, v41, v21
	v_and_b32_e32 v27, 0xffff0000, v22
	v_cndmask_b32_e32 v28, v32, v38, vcc_lo
	v_add3_u32 v30, v30, v26, 0x7fff
	v_or_b32_e32 v31, 0x400000, v26
	v_bfe_u32 v32, v21, 16, 1
	v_mul_f32_e32 v27, v34, v27
	v_lshlrev_b32_e32 v22, 16, v22
	v_cmp_u_f32_e32 vcc_lo, v26, v26
	v_and_b32_e32 v38, 0xffff0000, v23
	v_lshlrev_b32_e32 v23, 16, v23
	v_and_b32_e32 v39, 0xffff0000, v24
	v_mul_f32_e32 v22, v43, v22
	v_cndmask_b32_e32 v26, v30, v31, vcc_lo
	v_add3_u32 v30, v32, v21, 0x7fff
	v_or_b32_e32 v31, 0x400000, v21
	v_bfe_u32 v32, v27, 16, 1
	v_cmp_u_f32_e32 vcc_lo, v21, v21
	v_mul_f32_e32 v38, v35, v38
	v_mul_f32_e32 v23, v44, v23
	v_lshlrev_b32_e32 v24, 16, v24
	v_and_b32_e32 v26, 0xffff0000, v26
	v_cndmask_b32_e32 v21, v30, v31, vcc_lo
	v_add3_u32 v30, v32, v27, 0x7fff
	v_or_b32_e32 v31, 0x400000, v27
	v_bfe_u32 v32, v22, 16, 1
	v_cmp_u_f32_e32 vcc_lo, v27, v27
	v_mul_f32_e32 v24, v42, v24
	v_or_b32_e32 v40, 0x400000, v23
	v_and_b32_e32 v21, 0xffff0000, v21
	v_and_b32_e32 v28, 0xffff0000, v28
	v_cndmask_b32_e32 v27, v30, v31, vcc_lo
	v_add3_u32 v30, v32, v22, 0x7fff
	v_or_b32_e32 v31, 0x400000, v22
	v_bfe_u32 v32, v38, 16, 1
	v_cmp_u_f32_e32 vcc_lo, v22, v22
	v_bfe_u32 v46, v24, 16, 1
	v_and_b32_e32 v27, 0xffff0000, v27
	v_add_f32_e32 v21, v21, v26
	v_cndmask_b32_e32 v22, v30, v31, vcc_lo
	v_bfe_u32 v30, v23, 16, 1
	v_add3_u32 v31, v32, v38, 0x7fff
	v_mul_f32_e32 v32, v36, v39
	v_or_b32_e32 v39, 0x400000, v38
	v_cmp_u_f32_e32 vcc_lo, v38, v38
	v_add3_u32 v30, v30, v23, 0x7fff
	v_add3_u32 v38, v46, v24, 0x7fff
	v_bfe_u32 v45, v32, 16, 1
	v_and_b32_e32 v22, 0xffff0000, v22
	v_cndmask_b32_e32 v31, v31, v39, vcc_lo
	v_cmp_u_f32_e32 vcc_lo, v23, v23
	v_or_b32_e32 v39, 0x400000, v24
	v_add_f32_e32 v22, v22, v27
	v_and_b32_e32 v26, 0xffff0000, v31
	v_cndmask_b32_e32 v23, v30, v40, vcc_lo
	v_cmp_u_f32_e32 vcc_lo, v24, v24
	v_add3_u32 v30, v45, v32, 0x7fff
	v_or_b32_e32 v40, 0x400000, v32
	v_add_f32_e32 v21, v22, v21
	v_and_b32_e32 v23, 0xffff0000, v23
	v_cndmask_b32_e32 v24, v38, v39, vcc_lo
	v_cmp_u_f32_e32 vcc_lo, v32, v32
	v_add_f32_e32 v22, v23, v26
	v_and_b32_e32 v23, 0xffff0000, v24
	v_cndmask_b32_e32 v27, v30, v40, vcc_lo
	v_and_b32_e32 v30, 0xffff0000, v37
	v_and_b32_e32 v26, 0xffff0000, v13
	v_lshlrev_b32_e32 v13, 16, v13
	v_add_f32_e32 v21, v22, v21
	v_and_b32_e32 v24, 0xffff0000, v27
	v_add_f32_e32 v27, v28, v30
	v_mul_f32_e32 v13, v41, v13
	v_add_f32_e32 v22, v23, v24
	v_mul_f32_e32 v23, v33, v26
	v_add_f32_e32 v24, v27, v25
	v_and_b32_e32 v25, 0xffff0000, v14
	v_lshlrev_b32_e32 v14, 16, v14
	v_add_f32_e32 v21, v22, v21
	v_bfe_u32 v22, v23, 16, 1
	v_add_f32_e32 v71, v71, v24
	v_bfe_u32 v24, v13, 16, 1
	v_mul_f32_e32 v25, v34, v25
	v_add_f32_e32 v72, v72, v21
	v_add3_u32 v21, v22, v23, 0x7fff
	v_or_b32_e32 v22, 0x400000, v23
	v_cmp_u_f32_e32 vcc_lo, v23, v23
	v_add3_u32 v24, v24, v13, 0x7fff
	v_or_b32_e32 v26, 0x400000, v13
	v_mul_f32_e32 v14, v43, v14
	v_and_b32_e32 v23, 0xffff0000, v15
	v_cndmask_b32_e32 v21, v21, v22, vcc_lo
	v_bfe_u32 v22, v25, 16, 1
	v_cmp_u_f32_e32 vcc_lo, v13, v13
	v_lshlrev_b32_e32 v15, 16, v15
	v_mul_f32_e32 v23, v35, v23
	v_and_b32_e32 v27, 0xffff0000, v16
	v_add3_u32 v22, v22, v25, 0x7fff
	v_cndmask_b32_e32 v13, v24, v26, vcc_lo
	v_or_b32_e32 v24, 0x400000, v25
	v_bfe_u32 v26, v14, 16, 1
	v_cmp_u_f32_e32 vcc_lo, v25, v25
	v_mul_f32_e32 v15, v44, v15
	v_or_b32_e32 v25, 0x400000, v14
	v_lshlrev_b32_e32 v16, 16, v16
	v_and_b32_e32 v13, 0xffff0000, v13
	v_cndmask_b32_e32 v22, v22, v24, vcc_lo
	v_add3_u32 v24, v26, v14, 0x7fff
	v_bfe_u32 v26, v23, 16, 1
	v_cmp_u_f32_e32 vcc_lo, v14, v14
	v_bfe_u32 v28, v15, 16, 1
	v_mul_f32_e32 v16, v42, v16
	v_and_b32_e32 v21, 0xffff0000, v21
	v_and_b32_e32 v22, 0xffff0000, v22
	v_cndmask_b32_e32 v14, v24, v25, vcc_lo
	v_add3_u32 v24, v26, v23, 0x7fff
	v_mul_f32_e32 v25, v36, v27
	v_or_b32_e32 v26, 0x400000, v23
	v_cmp_u_f32_e32 vcc_lo, v23, v23
	v_add3_u32 v27, v28, v15, 0x7fff
	v_or_b32_e32 v28, 0x400000, v15
	v_bfe_u32 v29, v25, 16, 1
	v_and_b32_e32 v14, 0xffff0000, v14
	v_cndmask_b32_e32 v23, v24, v26, vcc_lo
	v_cmp_u_f32_e32 vcc_lo, v15, v15
	v_or_b32_e32 v26, 0x400000, v25
	v_add3_u32 v24, v29, v25, 0x7fff
	v_add_f32_e32 v13, v13, v21
	v_add_f32_e32 v14, v14, v22
	v_cndmask_b32_e32 v15, v27, v28, vcc_lo
	v_bfe_u32 v27, v16, 16, 1
	v_cmp_u_f32_e32 vcc_lo, v25, v25
	v_and_b32_e32 v22, 0xffff0000, v9
	v_and_b32_e32 v21, 0xffff0000, v23
	;; [unrolled: 1-line block ×3, first 2 shown]
	v_add3_u32 v25, v27, v16, 0x7fff
	v_cndmask_b32_e32 v24, v24, v26, vcc_lo
	v_or_b32_e32 v26, 0x400000, v16
	v_cmp_u_f32_e32 vcc_lo, v16, v16
	v_lshlrev_b32_e32 v9, 16, v9
	v_add_f32_e32 v13, v14, v13
	v_mul_f32_e32 v14, v33, v22
	v_add_f32_e32 v15, v15, v21
	v_cndmask_b32_e32 v16, v25, v26, vcc_lo
	v_mul_f32_e32 v21, v41, v9
	v_and_b32_e32 v22, 0xffff0000, v24
	v_bfe_u32 v23, v14, 16, 1
	v_and_b32_e32 v24, 0xffff0000, v10
	v_and_b32_e32 v16, 0xffff0000, v16
	v_add_f32_e32 v9, v15, v13
	v_bfe_u32 v15, v21, 16, 1
	v_lshlrev_b32_e32 v10, 16, v10
	v_cmp_u_f32_e32 vcc_lo, v14, v14
	v_add_f32_e32 v13, v16, v22
	v_add3_u32 v16, v23, v14, 0x7fff
	v_or_b32_e32 v22, 0x400000, v14
	v_mul_f32_e32 v23, v34, v24
	v_add3_u32 v15, v15, v21, 0x7fff
	v_or_b32_e32 v24, 0x400000, v21
	v_mul_f32_e32 v10, v43, v10
	v_cndmask_b32_e32 v14, v16, v22, vcc_lo
	v_bfe_u32 v16, v23, 16, 1
	v_cmp_u_f32_e32 vcc_lo, v21, v21
	v_and_b32_e32 v21, 0xffff0000, v11
	v_or_b32_e32 v22, 0x400000, v23
	v_lshlrev_b32_e32 v11, 16, v11
	v_add3_u32 v16, v16, v23, 0x7fff
	v_cndmask_b32_e32 v15, v15, v24, vcc_lo
	v_bfe_u32 v24, v10, 16, 1
	v_mul_f32_e32 v21, v35, v21
	v_cmp_u_f32_e32 vcc_lo, v23, v23
	v_mul_f32_e32 v11, v44, v11
	v_or_b32_e32 v23, 0x400000, v10
	v_and_b32_e32 v25, 0xffff0000, v12
	v_lshlrev_b32_e32 v12, 16, v12
	v_cndmask_b32_e32 v16, v16, v22, vcc_lo
	v_add3_u32 v22, v24, v10, 0x7fff
	v_bfe_u32 v24, v21, 16, 1
	v_cmp_u_f32_e32 vcc_lo, v10, v10
	v_bfe_u32 v26, v11, 16, 1
	v_mul_f32_e32 v12, v42, v12
	v_and_b32_e32 v15, 0xffff0000, v15
	v_and_b32_e32 v14, 0xffff0000, v14
	v_cndmask_b32_e32 v10, v22, v23, vcc_lo
	v_add3_u32 v22, v24, v21, 0x7fff
	v_mul_f32_e32 v23, v36, v25
	v_or_b32_e32 v24, 0x400000, v21
	v_cmp_u_f32_e32 vcc_lo, v21, v21
	v_add3_u32 v25, v26, v11, 0x7fff
	v_or_b32_e32 v26, 0x400000, v11
	v_bfe_u32 v27, v23, 16, 1
	v_and_b32_e32 v10, 0xffff0000, v10
	v_cndmask_b32_e32 v21, v22, v24, vcc_lo
	v_cmp_u_f32_e32 vcc_lo, v11, v11
	v_or_b32_e32 v24, 0x400000, v23
	v_add3_u32 v22, v27, v23, 0x7fff
	v_and_b32_e32 v16, 0xffff0000, v16
	v_add_f32_e32 v14, v15, v14
	v_cndmask_b32_e32 v11, v25, v26, vcc_lo
	v_bfe_u32 v25, v12, 16, 1
	v_cmp_u_f32_e32 vcc_lo, v23, v23
	v_add_f32_e32 v10, v10, v16
	v_and_b32_e32 v16, 0xffff0000, v5
	v_and_b32_e32 v11, 0xffff0000, v11
	v_add3_u32 v23, v25, v12, 0x7fff
	v_cndmask_b32_e32 v22, v22, v24, vcc_lo
	v_or_b32_e32 v24, 0x400000, v12
	v_cmp_u_f32_e32 vcc_lo, v12, v12
	v_and_b32_e32 v15, 0xffff0000, v21
	v_lshlrev_b32_e32 v5, 16, v5
	v_add_f32_e32 v10, v10, v14
	v_mul_f32_e32 v14, v33, v16
	v_cndmask_b32_e32 v12, v23, v24, vcc_lo
	v_add_f32_e32 v11, v11, v15
	v_mul_f32_e32 v15, v41, v5
	v_and_b32_e32 v16, 0xffff0000, v22
	v_and_b32_e32 v21, 0xffff0000, v6
	;; [unrolled: 1-line block ×3, first 2 shown]
	v_bfe_u32 v22, v14, 16, 1
	v_add_f32_e32 v5, v11, v10
	v_bfe_u32 v11, v15, 16, 1
	v_cmp_u_f32_e32 vcc_lo, v14, v14
	v_add_f32_e32 v10, v12, v16
	v_mul_f32_e32 v12, v34, v21
	v_add3_u32 v16, v22, v14, 0x7fff
	v_or_b32_e32 v21, 0x400000, v14
	v_add3_u32 v11, v11, v15, 0x7fff
	v_or_b32_e32 v22, 0x400000, v15
	v_bfe_u32 v23, v12, 16, 1
	v_lshlrev_b32_e32 v6, 16, v6
	v_cndmask_b32_e32 v14, v16, v21, vcc_lo
	v_cmp_u_f32_e32 vcc_lo, v15, v15
	v_or_b32_e32 v16, 0x400000, v12
	v_add3_u32 v15, v23, v12, 0x7fff
	v_mul_f32_e32 v6, v43, v6
	v_and_b32_e32 v21, 0xffff0000, v7
	v_cndmask_b32_e32 v11, v11, v22, vcc_lo
	v_cmp_u_f32_e32 vcc_lo, v12, v12
	v_lshlrev_b32_e32 v7, 16, v7
	v_bfe_u32 v22, v6, 16, 1
	v_and_b32_e32 v14, 0xffff0000, v14
	v_and_b32_e32 v11, 0xffff0000, v11
	v_cndmask_b32_e32 v12, v15, v16, vcc_lo
	v_mul_f32_e32 v15, v35, v21
	v_mul_f32_e32 v7, v44, v7
	v_add3_u32 v16, v22, v6, 0x7fff
	v_or_b32_e32 v21, 0x400000, v6
	v_and_b32_e32 v22, 0xffff0000, v8
	v_bfe_u32 v23, v15, 16, 1
	v_cmp_u_f32_e32 vcc_lo, v6, v6
	v_bfe_u32 v24, v7, 16, 1
	v_lshlrev_b32_e32 v8, 16, v8
	v_and_b32_e32 v12, 0xffff0000, v12
	v_add_f32_e32 v11, v11, v14
	v_cndmask_b32_e32 v6, v16, v21, vcc_lo
	v_mul_f32_e32 v16, v36, v22
	v_add3_u32 v21, v23, v15, 0x7fff
	v_or_b32_e32 v22, 0x400000, v15
	v_cmp_u_f32_e32 vcc_lo, v15, v15
	v_add3_u32 v23, v24, v7, 0x7fff
	v_or_b32_e32 v24, 0x400000, v7
	v_bfe_u32 v25, v16, 16, 1
	v_and_b32_e32 v6, 0xffff0000, v6
	v_cndmask_b32_e32 v15, v21, v22, vcc_lo
	v_cmp_u_f32_e32 vcc_lo, v7, v7
	v_or_b32_e32 v22, 0x400000, v16
	v_add3_u32 v21, v25, v16, 0x7fff
	v_mul_f32_e32 v8, v42, v8
	v_add_f32_e32 v6, v6, v12
	v_cndmask_b32_e32 v7, v23, v24, vcc_lo
	v_cmp_u_f32_e32 vcc_lo, v16, v16
	v_and_b32_e32 v12, 0xffff0000, v1
	v_and_b32_e32 v14, 0xffff0000, v15
	v_add_f32_e32 v6, v6, v11
	v_and_b32_e32 v7, 0xffff0000, v7
	v_cndmask_b32_e32 v16, v21, v22, vcc_lo
	v_bfe_u32 v21, v8, 16, 1
	v_mul_f32_e32 v11, v33, v12
	v_lshlrev_b32_e32 v1, 16, v1
	v_add_f32_e32 v7, v7, v14
	v_cmp_u_f32_e32 vcc_lo, v8, v8
	v_add3_u32 v15, v21, v8, 0x7fff
	v_or_b32_e32 v21, 0x400000, v8
	v_bfe_u32 v12, v11, 16, 1
	v_add_f32_e32 v6, v7, v6
	v_and_b32_e32 v7, 0xffff0000, v2
	v_mul_f32_e32 v1, v41, v1
	v_cndmask_b32_e32 v8, v15, v21, vcc_lo
	v_add3_u32 v12, v12, v11, 0x7fff
	v_or_b32_e32 v14, 0x400000, v11
	v_mul_f32_e32 v7, v34, v7
	v_and_b32_e32 v15, 0xffff0000, v16
	v_bfe_u32 v16, v1, 16, 1
	v_cmp_u_f32_e32 vcc_lo, v11, v11
	v_lshlrev_b32_e32 v2, 16, v2
	v_or_b32_e32 v21, 0x400000, v1
	v_or_b32_e32 v22, 0x400000, v7
	v_and_b32_e32 v8, 0xffff0000, v8
	v_cndmask_b32_e32 v11, v12, v14, vcc_lo
	v_bfe_u32 v12, v7, 16, 1
	v_add3_u32 v14, v16, v1, 0x7fff
	v_and_b32_e32 v16, 0xffff0000, v3
	v_mul_f32_e32 v2, v43, v2
	v_cmp_u_f32_e32 vcc_lo, v1, v1
	v_add3_u32 v12, v12, v7, 0x7fff
	v_lshlrev_b32_e32 v3, 16, v3
	v_mul_f32_e32 v16, v35, v16
	v_and_b32_e32 v11, 0xffff0000, v11
	v_cndmask_b32_e32 v1, v14, v21, vcc_lo
	v_bfe_u32 v14, v2, 16, 1
	v_cmp_u_f32_e32 vcc_lo, v7, v7
	v_and_b32_e32 v21, 0xffff0000, v4
	v_mul_f32_e32 v3, v44, v3
	v_or_b32_e32 v23, 0x400000, v16
	v_add3_u32 v14, v14, v2, 0x7fff
	v_cndmask_b32_e32 v7, v12, v22, vcc_lo
	v_bfe_u32 v12, v16, 16, 1
	v_or_b32_e32 v22, 0x400000, v2
	v_cmp_u_f32_e32 vcc_lo, v2, v2
	v_mul_f32_e32 v21, v36, v21
	v_lshlrev_b32_e32 v4, 16, v4
	v_add3_u32 v12, v12, v16, 0x7fff
	v_and_b32_e32 v1, 0xffff0000, v1
	v_cndmask_b32_e32 v2, v14, v22, vcc_lo
	v_bfe_u32 v14, v3, 16, 1
	v_cmp_u_f32_e32 vcc_lo, v16, v16
	v_bfe_u32 v22, v21, 16, 1
	v_or_b32_e32 v16, 0x400000, v3
	v_mul_f32_e32 v4, v42, v4
	v_add3_u32 v14, v14, v3, 0x7fff
	v_cndmask_b32_e32 v12, v12, v23, vcc_lo
	v_cmp_u_f32_e32 vcc_lo, v3, v3
	v_add3_u32 v22, v22, v21, 0x7fff
	v_or_b32_e32 v23, 0x400000, v21
	v_and_b32_e32 v2, 0xffff0000, v2
	v_and_b32_e32 v7, 0xffff0000, v7
	v_cndmask_b32_e32 v3, v14, v16, vcc_lo
	v_cmp_u_f32_e32 vcc_lo, v21, v21
	v_bfe_u32 v16, v4, 16, 1
	v_add_f32_e32 v1, v1, v11
	v_add_f32_e32 v2, v2, v7
	v_and_b32_e32 v3, 0xffff0000, v3
	v_cndmask_b32_e32 v14, v22, v23, vcc_lo
	s_waitcnt vmcnt(0)
	v_lshlrev_b32_e32 v22, 16, v17
	v_and_b32_e32 v7, 0xffff0000, v12
	v_and_b32_e32 v12, 0xffff0000, v17
	v_add3_u32 v16, v16, v4, 0x7fff
	v_or_b32_e32 v21, 0x400000, v4
	v_mul_f32_e32 v11, v41, v22
	v_cmp_u_f32_e32 vcc_lo, v4, v4
	v_add_f32_e32 v1, v2, v1
	v_add_f32_e32 v3, v3, v7
	v_mul_f32_e32 v7, v33, v12
	v_bfe_u32 v2, v11, 16, 1
	v_lshlrev_b32_e32 v12, 16, v18
	v_cndmask_b32_e32 v4, v16, v21, vcc_lo
	v_or_b32_e32 v16, 0x400000, v11
	v_bfe_u32 v17, v7, 16, 1
	v_add3_u32 v2, v2, v11, 0x7fff
	v_mul_f32_e32 v12, v43, v12
	v_and_b32_e32 v18, 0xffff0000, v18
	v_cmp_u_f32_e32 vcc_lo, v11, v11
	v_add3_u32 v11, v17, v7, 0x7fff
	v_lshlrev_b32_e32 v21, 16, v19
	v_bfe_u32 v17, v12, 16, 1
	v_mul_f32_e32 v18, v34, v18
	v_cndmask_b32_e32 v2, v2, v16, vcc_lo
	v_or_b32_e32 v16, 0x400000, v7
	v_cmp_u_f32_e32 vcc_lo, v7, v7
	v_mul_f32_e32 v21, v44, v21
	v_and_b32_e32 v19, 0xffff0000, v19
	v_lshlrev_b32_e32 v22, 16, v20
	v_and_b32_e32 v20, 0xffff0000, v20
	v_cndmask_b32_e32 v7, v11, v16, vcc_lo
	v_add3_u32 v11, v17, v12, 0x7fff
	v_or_b32_e32 v16, 0x400000, v12
	v_bfe_u32 v17, v18, 16, 1
	v_cmp_u_f32_e32 vcc_lo, v12, v12
	v_mul_f32_e32 v19, v35, v19
	v_mul_f32_e32 v20, v36, v20
	v_and_b32_e32 v7, 0xffff0000, v7
	v_add3_u32 v12, v17, v18, 0x7fff
	v_cndmask_b32_e32 v11, v11, v16, vcc_lo
	v_or_b32_e32 v16, 0x400000, v18
	v_bfe_u32 v17, v21, 16, 1
	v_cmp_u_f32_e32 vcc_lo, v18, v18
	v_mul_f32_e32 v18, v42, v22
	v_or_b32_e32 v22, 0x400000, v21
	v_or_b32_e32 v23, 0x400000, v19
	v_add3_u32 v17, v17, v21, 0x7fff
	v_cndmask_b32_e32 v12, v12, v16, vcc_lo
	v_bfe_u32 v16, v19, 16, 1
	v_cmp_u_f32_e32 vcc_lo, v21, v21
	v_bfe_u32 v25, v20, 16, 1
	v_bfe_u32 v24, v18, 16, 1
	v_and_b32_e32 v2, 0xffff0000, v2
	v_add3_u32 v16, v16, v19, 0x7fff
	v_cndmask_b32_e32 v17, v17, v22, vcc_lo
	v_cmp_u_f32_e32 vcc_lo, v19, v19
	v_add3_u32 v21, v25, v20, 0x7fff
	v_or_b32_e32 v22, 0x400000, v20
	v_add3_u32 v19, v24, v18, 0x7fff
	v_and_b32_e32 v12, 0xffff0000, v12
	v_cndmask_b32_e32 v16, v16, v23, vcc_lo
	v_cmp_u_f32_e32 vcc_lo, v20, v20
	v_and_b32_e32 v11, 0xffff0000, v11
	v_or_b32_e32 v23, 0x400000, v18
	v_add_f32_e32 v2, v2, v7
	v_and_b32_e32 v4, 0xffff0000, v4
	v_cndmask_b32_e32 v20, v21, v22, vcc_lo
	v_cmp_u_f32_e32 vcc_lo, v18, v18
	v_add_f32_e32 v7, v11, v12
	v_and_b32_e32 v11, 0xffff0000, v16
	v_and_b32_e32 v12, 0xffff0000, v17
	;; [unrolled: 1-line block ×3, first 2 shown]
	v_cndmask_b32_e32 v16, v19, v23, vcc_lo
	v_add_f32_e32 v2, v7, v2
	v_add_f32_e32 v8, v8, v15
	v_add_f32_e32 v7, v12, v11
	v_and_b32_e32 v11, 0xffff0000, v20
	v_and_b32_e32 v12, 0xffff0000, v16
	v_add_f32_e32 v1, v3, v1
	v_add_f32_e32 v3, v4, v14
	;; [unrolled: 1-line block ×14, first 2 shown]
.LBB133_38:                             ;   in Loop: Header=BB133_39 Depth=1
	s_or_b32 exec_lo, exec_lo, s18
	v_add_nc_u32_e32 v83, 4, v83
	v_add_co_u32 v57, s0, v57, 16
	v_add_co_ci_u32_e64 v58, null, 0, v58, s0
	v_cmp_le_i32_e32 vcc_lo, s16, v83
	v_add_nc_u32_e32 v62, 64, v62
	v_add_nc_u32_e32 v81, 0x100, v81
	s_or_b32 s15, vcc_lo, s15
	s_andn2_b32 exec_lo, exec_lo, s15
	s_cbranch_execz .LBB133_64
.LBB133_39:                             ; =>This Inner Loop Header: Depth=1
	v_mul_hi_u32 v1, v62, s21
	v_mul_lo_u32 v2, v1, s12
	v_add_nc_u32_e32 v3, 1, v1
	v_sub_nc_u32_e32 v2, v62, v2
	v_subrev_nc_u32_e32 v4, s12, v2
	v_cmp_le_u32_e32 vcc_lo, s12, v2
	v_cndmask_b32_e32 v1, v1, v3, vcc_lo
	v_cndmask_b32_e32 v2, v2, v4, vcc_lo
	v_add_nc_u32_e32 v3, 1, v1
	v_cmp_le_u32_e32 vcc_lo, s12, v2
	v_cndmask_b32_e32 v1, v1, v3, vcc_lo
	v_xor_b32_e32 v1, s19, v1
	v_subrev_nc_u32_e32 v1, s19, v1
	v_add_nc_u32_e32 v2, s31, v1
	v_cmp_lt_i32_e64 s0, s4, v1
	v_sub_nc_u32_e32 v3, 0, v2
	v_max_i32_e32 v3, v2, v3
	v_ashrrev_i32_e32 v2, 31, v2
	v_mul_hi_u32 v4, v3, v82
	v_mul_lo_u32 v4, v4, s5
	v_sub_nc_u32_e32 v3, v3, v4
	v_subrev_nc_u32_e32 v4, s5, v3
	v_cmp_le_u32_e32 vcc_lo, s5, v3
	v_cndmask_b32_e32 v3, v3, v4, vcc_lo
	v_subrev_nc_u32_e32 v4, s5, v3
	v_cmp_le_u32_e32 vcc_lo, s5, v3
	v_cndmask_b32_e32 v3, v3, v4, vcc_lo
	v_xor_b32_e32 v3, v3, v2
	v_sub_nc_u32_e32 v2, v3, v2
	v_cmp_eq_u32_e32 vcc_lo, 0, v2
	s_or_b32 s0, vcc_lo, s0
	s_and_saveexec_b32 s18, s0
	s_cbranch_execz .LBB133_38
; %bb.40:                               ;   in Loop: Header=BB133_39 Depth=1
	global_load_dword v1, v[57:58], off
	v_add_nc_u32_e32 v88, v77, v62
	v_cmp_eq_u32_e64 s0, s14, v83
	v_add_nc_u32_e32 v91, 1, v88
	v_or_b32_e32 v89, 3, v88
	v_or_b32_e32 v90, 2, v88
	;; [unrolled: 1-line block ×6, first 2 shown]
	s_waitcnt vmcnt(0)
	v_mad_i64_i32 v[1:2], null, v1, s13, 0
	v_lshlrev_b64 v[1:2], 1, v[1:2]
	v_add_co_u32 v17, vcc_lo, v79, v1
	v_add_co_ci_u32_e64 v18, null, v80, v2, vcc_lo
	global_load_dwordx4 v[1:4], v[17:18], off
	ds_read2_b64 v[41:44], v81 offset1:1
	ds_read2_b64 v[33:36], v81 offset0:2 offset1:3
	s_and_saveexec_b32 s22, s0
	s_cbranch_execnz .LBB133_54
; %bb.41:                               ;   in Loop: Header=BB133_39 Depth=1
	s_or_b32 exec_lo, exec_lo, s22
	global_load_dwordx4 v[5:8], v[17:18], off offset:512
	s_and_saveexec_b32 s22, s0
	s_cbranch_execnz .LBB133_55
.LBB133_42:                             ;   in Loop: Header=BB133_39 Depth=1
	s_or_b32 exec_lo, exec_lo, s22
	global_load_dwordx4 v[9:12], v[17:18], off offset:1024
	s_and_saveexec_b32 s22, s0
	s_cbranch_execnz .LBB133_56
.LBB133_43:                             ;   in Loop: Header=BB133_39 Depth=1
	s_or_b32 exec_lo, exec_lo, s22
	global_load_dwordx4 v[13:16], v[17:18], off offset:1536
	s_and_saveexec_b32 s22, s0
	s_cbranch_execz .LBB133_45
.LBB133_44:                             ;   in Loop: Header=BB133_39 Depth=1
	v_cmp_gt_i32_e64 s1, s30, v88
	v_cmp_gt_i32_e32 vcc_lo, s17, v91
	v_cmp_gt_i32_e64 s2, s30, v90
	s_waitcnt vmcnt(0)
	v_cndmask_b32_e64 v19, 0, v13, s1
	v_cmp_gt_i32_e64 s1, s17, v89
	v_cndmask_b32_sdwa v13, v78, v13, vcc_lo dst_sel:DWORD dst_unused:UNUSED_PAD src0_sel:DWORD src1_sel:WORD_1
	v_cndmask_b32_e64 v20, 0, v14, s2
	v_cmp_gt_i32_e64 s2, s17, v87
	s_mov_b32 vcc_lo, s1
	v_cmp_gt_i32_e64 s1, s17, v85
	v_cndmask_b32_sdwa v14, v78, v14, vcc_lo dst_sel:DWORD dst_unused:UNUSED_PAD src0_sel:DWORD src1_sel:WORD_1
	v_cmp_gt_i32_e32 vcc_lo, s30, v86
	v_perm_b32 v13, v13, v19, 0x5040100
	v_perm_b32 v14, v14, v20, 0x5040100
	v_cndmask_b32_e32 v21, 0, v15, vcc_lo
	s_mov_b32 vcc_lo, s2
	v_cndmask_b32_sdwa v15, v78, v15, vcc_lo dst_sel:DWORD dst_unused:UNUSED_PAD src0_sel:DWORD src1_sel:WORD_1
	v_cmp_gt_i32_e32 vcc_lo, s30, v84
	v_perm_b32 v15, v15, v21, 0x5040100
	v_cndmask_b32_e32 v22, 0, v16, vcc_lo
	s_mov_b32 vcc_lo, s1
	v_cndmask_b32_sdwa v16, v78, v16, vcc_lo dst_sel:DWORD dst_unused:UNUSED_PAD src0_sel:DWORD src1_sel:WORD_1
	v_perm_b32 v16, v16, v22, 0x5040100
.LBB133_45:                             ;   in Loop: Header=BB133_39 Depth=1
	s_or_b32 exec_lo, exec_lo, s22
	v_add_co_u32 v19, vcc_lo, 0x800, v17
	v_add_co_ci_u32_e64 v20, null, 0, v18, vcc_lo
	global_load_dwordx4 v[21:24], v[19:20], off
	s_and_saveexec_b32 s22, s0
	s_cbranch_execnz .LBB133_57
; %bb.46:                               ;   in Loop: Header=BB133_39 Depth=1
	s_or_b32 exec_lo, exec_lo, s22
	global_load_dwordx4 v[25:28], v[19:20], off offset:512
	s_and_saveexec_b32 s22, s0
	s_cbranch_execnz .LBB133_58
.LBB133_47:                             ;   in Loop: Header=BB133_39 Depth=1
	s_or_b32 exec_lo, exec_lo, s22
	global_load_dwordx4 v[29:32], v[19:20], off offset:1024
	s_and_saveexec_b32 s22, s0
	s_cbranch_execnz .LBB133_59
.LBB133_48:                             ;   in Loop: Header=BB133_39 Depth=1
	s_or_b32 exec_lo, exec_lo, s22
	global_load_dwordx4 v[37:40], v[19:20], off offset:1536
	s_and_saveexec_b32 s22, s0
	s_cbranch_execz .LBB133_50
.LBB133_49:                             ;   in Loop: Header=BB133_39 Depth=1
	v_cmp_gt_i32_e64 s1, s30, v88
	v_cmp_gt_i32_e32 vcc_lo, s17, v91
	v_cmp_gt_i32_e64 s2, s30, v90
	s_waitcnt vmcnt(0)
	v_cndmask_b32_e64 v19, 0, v37, s1
	v_cmp_gt_i32_e64 s1, s17, v89
	v_cndmask_b32_sdwa v37, v78, v37, vcc_lo dst_sel:DWORD dst_unused:UNUSED_PAD src0_sel:DWORD src1_sel:WORD_1
	v_cndmask_b32_e64 v20, 0, v38, s2
	v_cmp_gt_i32_e64 s2, s17, v87
	s_mov_b32 vcc_lo, s1
	v_cmp_gt_i32_e64 s1, s17, v85
	v_cndmask_b32_sdwa v38, v78, v38, vcc_lo dst_sel:DWORD dst_unused:UNUSED_PAD src0_sel:DWORD src1_sel:WORD_1
	v_cmp_gt_i32_e32 vcc_lo, s30, v86
	v_perm_b32 v37, v37, v19, 0x5040100
	v_perm_b32 v38, v38, v20, 0x5040100
	v_cndmask_b32_e32 v45, 0, v39, vcc_lo
	s_mov_b32 vcc_lo, s2
	v_cndmask_b32_sdwa v39, v78, v39, vcc_lo dst_sel:DWORD dst_unused:UNUSED_PAD src0_sel:DWORD src1_sel:WORD_1
	v_cmp_gt_i32_e32 vcc_lo, s30, v84
	v_perm_b32 v39, v39, v45, 0x5040100
	v_cndmask_b32_e32 v46, 0, v40, vcc_lo
	s_mov_b32 vcc_lo, s1
	v_cndmask_b32_sdwa v40, v78, v40, vcc_lo dst_sel:DWORD dst_unused:UNUSED_PAD src0_sel:DWORD src1_sel:WORD_1
	v_perm_b32 v40, v40, v46, 0x5040100
.LBB133_50:                             ;   in Loop: Header=BB133_39 Depth=1
	s_or_b32 exec_lo, exec_lo, s22
	v_add_co_u32 v17, vcc_lo, 0x1000, v17
	v_add_co_ci_u32_e64 v18, null, 0, v18, vcc_lo
	global_load_dwordx4 v[45:48], v[17:18], off
	s_and_saveexec_b32 s22, s0
	s_cbranch_execnz .LBB133_60
; %bb.51:                               ;   in Loop: Header=BB133_39 Depth=1
	s_or_b32 exec_lo, exec_lo, s22
	global_load_dwordx4 v[49:52], v[17:18], off offset:512
	s_and_saveexec_b32 s22, s0
	s_cbranch_execnz .LBB133_61
.LBB133_52:                             ;   in Loop: Header=BB133_39 Depth=1
	s_or_b32 exec_lo, exec_lo, s22
	global_load_dwordx4 v[53:56], v[17:18], off offset:1024
	s_and_saveexec_b32 s22, s0
	s_cbranch_execnz .LBB133_62
.LBB133_53:                             ;   in Loop: Header=BB133_39 Depth=1
	s_or_b32 exec_lo, exec_lo, s22
	global_load_dwordx4 v[17:20], v[17:18], off offset:1536
	s_and_saveexec_b32 s2, s0
	s_cbranch_execz .LBB133_37
	s_branch .LBB133_63
.LBB133_54:                             ;   in Loop: Header=BB133_39 Depth=1
	v_cmp_gt_i32_e64 s1, s30, v88
	v_cmp_gt_i32_e32 vcc_lo, s17, v91
	v_cmp_gt_i32_e64 s2, s30, v90
	s_waitcnt vmcnt(0)
	v_cndmask_b32_e64 v5, 0, v1, s1
	v_cmp_gt_i32_e64 s1, s17, v89
	v_cndmask_b32_sdwa v1, v78, v1, vcc_lo dst_sel:DWORD dst_unused:UNUSED_PAD src0_sel:DWORD src1_sel:WORD_1
	v_cndmask_b32_e64 v6, 0, v2, s2
	v_cmp_gt_i32_e64 s2, s17, v87
	s_mov_b32 vcc_lo, s1
	v_cmp_gt_i32_e64 s1, s17, v85
	v_cndmask_b32_sdwa v2, v78, v2, vcc_lo dst_sel:DWORD dst_unused:UNUSED_PAD src0_sel:DWORD src1_sel:WORD_1
	v_cmp_gt_i32_e32 vcc_lo, s30, v86
	v_perm_b32 v1, v1, v5, 0x5040100
	v_perm_b32 v2, v2, v6, 0x5040100
	v_cndmask_b32_e32 v7, 0, v3, vcc_lo
	s_mov_b32 vcc_lo, s2
	v_cndmask_b32_sdwa v3, v78, v3, vcc_lo dst_sel:DWORD dst_unused:UNUSED_PAD src0_sel:DWORD src1_sel:WORD_1
	v_cmp_gt_i32_e32 vcc_lo, s30, v84
	v_perm_b32 v3, v3, v7, 0x5040100
	v_cndmask_b32_e32 v8, 0, v4, vcc_lo
	s_mov_b32 vcc_lo, s1
	v_cndmask_b32_sdwa v4, v78, v4, vcc_lo dst_sel:DWORD dst_unused:UNUSED_PAD src0_sel:DWORD src1_sel:WORD_1
	v_perm_b32 v4, v4, v8, 0x5040100
	s_or_b32 exec_lo, exec_lo, s22
	global_load_dwordx4 v[5:8], v[17:18], off offset:512
	s_and_saveexec_b32 s22, s0
	s_cbranch_execz .LBB133_42
.LBB133_55:                             ;   in Loop: Header=BB133_39 Depth=1
	v_cmp_gt_i32_e64 s1, s30, v88
	v_cmp_gt_i32_e32 vcc_lo, s17, v91
	v_cmp_gt_i32_e64 s2, s30, v90
	s_waitcnt vmcnt(0)
	v_cndmask_b32_e64 v9, 0, v5, s1
	v_cmp_gt_i32_e64 s1, s17, v89
	v_cndmask_b32_sdwa v5, v78, v5, vcc_lo dst_sel:DWORD dst_unused:UNUSED_PAD src0_sel:DWORD src1_sel:WORD_1
	v_cndmask_b32_e64 v10, 0, v6, s2
	v_cmp_gt_i32_e64 s2, s17, v87
	s_mov_b32 vcc_lo, s1
	v_cmp_gt_i32_e64 s1, s17, v85
	v_cndmask_b32_sdwa v6, v78, v6, vcc_lo dst_sel:DWORD dst_unused:UNUSED_PAD src0_sel:DWORD src1_sel:WORD_1
	v_cmp_gt_i32_e32 vcc_lo, s30, v86
	v_perm_b32 v5, v5, v9, 0x5040100
	v_perm_b32 v6, v6, v10, 0x5040100
	v_cndmask_b32_e32 v11, 0, v7, vcc_lo
	s_mov_b32 vcc_lo, s2
	v_cndmask_b32_sdwa v7, v78, v7, vcc_lo dst_sel:DWORD dst_unused:UNUSED_PAD src0_sel:DWORD src1_sel:WORD_1
	v_cmp_gt_i32_e32 vcc_lo, s30, v84
	v_perm_b32 v7, v7, v11, 0x5040100
	v_cndmask_b32_e32 v12, 0, v8, vcc_lo
	s_mov_b32 vcc_lo, s1
	v_cndmask_b32_sdwa v8, v78, v8, vcc_lo dst_sel:DWORD dst_unused:UNUSED_PAD src0_sel:DWORD src1_sel:WORD_1
	v_perm_b32 v8, v8, v12, 0x5040100
	s_or_b32 exec_lo, exec_lo, s22
	global_load_dwordx4 v[9:12], v[17:18], off offset:1024
	s_and_saveexec_b32 s22, s0
	s_cbranch_execz .LBB133_43
.LBB133_56:                             ;   in Loop: Header=BB133_39 Depth=1
	v_cmp_gt_i32_e64 s1, s30, v88
	v_cmp_gt_i32_e32 vcc_lo, s17, v91
	v_cmp_gt_i32_e64 s2, s30, v90
	s_waitcnt vmcnt(0)
	v_cndmask_b32_e64 v13, 0, v9, s1
	v_cmp_gt_i32_e64 s1, s17, v89
	v_cndmask_b32_sdwa v9, v78, v9, vcc_lo dst_sel:DWORD dst_unused:UNUSED_PAD src0_sel:DWORD src1_sel:WORD_1
	v_cndmask_b32_e64 v14, 0, v10, s2
	v_cmp_gt_i32_e64 s2, s17, v87
	s_mov_b32 vcc_lo, s1
	v_cmp_gt_i32_e64 s1, s17, v85
	v_cndmask_b32_sdwa v10, v78, v10, vcc_lo dst_sel:DWORD dst_unused:UNUSED_PAD src0_sel:DWORD src1_sel:WORD_1
	v_cmp_gt_i32_e32 vcc_lo, s30, v86
	v_perm_b32 v9, v9, v13, 0x5040100
	v_perm_b32 v10, v10, v14, 0x5040100
	v_cndmask_b32_e32 v15, 0, v11, vcc_lo
	s_mov_b32 vcc_lo, s2
	v_cndmask_b32_sdwa v11, v78, v11, vcc_lo dst_sel:DWORD dst_unused:UNUSED_PAD src0_sel:DWORD src1_sel:WORD_1
	v_cmp_gt_i32_e32 vcc_lo, s30, v84
	v_perm_b32 v11, v11, v15, 0x5040100
	v_cndmask_b32_e32 v16, 0, v12, vcc_lo
	s_mov_b32 vcc_lo, s1
	v_cndmask_b32_sdwa v12, v78, v12, vcc_lo dst_sel:DWORD dst_unused:UNUSED_PAD src0_sel:DWORD src1_sel:WORD_1
	v_perm_b32 v12, v12, v16, 0x5040100
	s_or_b32 exec_lo, exec_lo, s22
	global_load_dwordx4 v[13:16], v[17:18], off offset:1536
	s_and_saveexec_b32 s22, s0
	s_cbranch_execnz .LBB133_44
	s_branch .LBB133_45
.LBB133_57:                             ;   in Loop: Header=BB133_39 Depth=1
	v_cmp_gt_i32_e64 s1, s30, v88
	v_cmp_gt_i32_e32 vcc_lo, s17, v91
	v_cmp_gt_i32_e64 s2, s30, v90
	s_waitcnt vmcnt(0)
	v_cndmask_b32_e64 v25, 0, v21, s1
	v_cmp_gt_i32_e64 s1, s17, v89
	v_cndmask_b32_sdwa v21, v78, v21, vcc_lo dst_sel:DWORD dst_unused:UNUSED_PAD src0_sel:DWORD src1_sel:WORD_1
	v_cndmask_b32_e64 v26, 0, v22, s2
	v_cmp_gt_i32_e64 s2, s17, v87
	s_mov_b32 vcc_lo, s1
	v_cmp_gt_i32_e64 s1, s17, v85
	v_cndmask_b32_sdwa v22, v78, v22, vcc_lo dst_sel:DWORD dst_unused:UNUSED_PAD src0_sel:DWORD src1_sel:WORD_1
	v_cmp_gt_i32_e32 vcc_lo, s30, v86
	v_perm_b32 v21, v21, v25, 0x5040100
	v_perm_b32 v22, v22, v26, 0x5040100
	v_cndmask_b32_e32 v27, 0, v23, vcc_lo
	s_mov_b32 vcc_lo, s2
	v_cndmask_b32_sdwa v23, v78, v23, vcc_lo dst_sel:DWORD dst_unused:UNUSED_PAD src0_sel:DWORD src1_sel:WORD_1
	v_cmp_gt_i32_e32 vcc_lo, s30, v84
	v_perm_b32 v23, v23, v27, 0x5040100
	v_cndmask_b32_e32 v28, 0, v24, vcc_lo
	s_mov_b32 vcc_lo, s1
	v_cndmask_b32_sdwa v24, v78, v24, vcc_lo dst_sel:DWORD dst_unused:UNUSED_PAD src0_sel:DWORD src1_sel:WORD_1
	v_perm_b32 v24, v24, v28, 0x5040100
	s_or_b32 exec_lo, exec_lo, s22
	global_load_dwordx4 v[25:28], v[19:20], off offset:512
	s_and_saveexec_b32 s22, s0
	s_cbranch_execz .LBB133_47
.LBB133_58:                             ;   in Loop: Header=BB133_39 Depth=1
	v_cmp_gt_i32_e64 s1, s30, v88
	v_cmp_gt_i32_e32 vcc_lo, s17, v91
	v_cmp_gt_i32_e64 s2, s30, v90
	s_waitcnt vmcnt(0)
	v_cndmask_b32_e64 v29, 0, v25, s1
	v_cmp_gt_i32_e64 s1, s17, v89
	v_cndmask_b32_sdwa v25, v78, v25, vcc_lo dst_sel:DWORD dst_unused:UNUSED_PAD src0_sel:DWORD src1_sel:WORD_1
	v_cndmask_b32_e64 v30, 0, v26, s2
	v_cmp_gt_i32_e64 s2, s17, v87
	s_mov_b32 vcc_lo, s1
	v_cmp_gt_i32_e64 s1, s17, v85
	v_cndmask_b32_sdwa v26, v78, v26, vcc_lo dst_sel:DWORD dst_unused:UNUSED_PAD src0_sel:DWORD src1_sel:WORD_1
	v_cmp_gt_i32_e32 vcc_lo, s30, v86
	v_perm_b32 v25, v25, v29, 0x5040100
	v_perm_b32 v26, v26, v30, 0x5040100
	v_cndmask_b32_e32 v31, 0, v27, vcc_lo
	s_mov_b32 vcc_lo, s2
	v_cndmask_b32_sdwa v27, v78, v27, vcc_lo dst_sel:DWORD dst_unused:UNUSED_PAD src0_sel:DWORD src1_sel:WORD_1
	v_cmp_gt_i32_e32 vcc_lo, s30, v84
	v_perm_b32 v27, v27, v31, 0x5040100
	v_cndmask_b32_e32 v32, 0, v28, vcc_lo
	s_mov_b32 vcc_lo, s1
	v_cndmask_b32_sdwa v28, v78, v28, vcc_lo dst_sel:DWORD dst_unused:UNUSED_PAD src0_sel:DWORD src1_sel:WORD_1
	v_perm_b32 v28, v28, v32, 0x5040100
	s_or_b32 exec_lo, exec_lo, s22
	global_load_dwordx4 v[29:32], v[19:20], off offset:1024
	s_and_saveexec_b32 s22, s0
	s_cbranch_execz .LBB133_48
.LBB133_59:                             ;   in Loop: Header=BB133_39 Depth=1
	v_cmp_gt_i32_e64 s1, s30, v88
	v_cmp_gt_i32_e32 vcc_lo, s17, v91
	v_cmp_gt_i32_e64 s2, s30, v90
	s_waitcnt vmcnt(0)
	v_cndmask_b32_e64 v37, 0, v29, s1
	v_cmp_gt_i32_e64 s1, s17, v89
	v_cndmask_b32_sdwa v29, v78, v29, vcc_lo dst_sel:DWORD dst_unused:UNUSED_PAD src0_sel:DWORD src1_sel:WORD_1
	v_cndmask_b32_e64 v38, 0, v30, s2
	v_cmp_gt_i32_e64 s2, s17, v87
	s_mov_b32 vcc_lo, s1
	v_cmp_gt_i32_e64 s1, s17, v85
	v_cndmask_b32_sdwa v30, v78, v30, vcc_lo dst_sel:DWORD dst_unused:UNUSED_PAD src0_sel:DWORD src1_sel:WORD_1
	v_cmp_gt_i32_e32 vcc_lo, s30, v86
	v_perm_b32 v29, v29, v37, 0x5040100
	v_perm_b32 v30, v30, v38, 0x5040100
	v_cndmask_b32_e32 v39, 0, v31, vcc_lo
	s_mov_b32 vcc_lo, s2
	v_cndmask_b32_sdwa v31, v78, v31, vcc_lo dst_sel:DWORD dst_unused:UNUSED_PAD src0_sel:DWORD src1_sel:WORD_1
	v_cmp_gt_i32_e32 vcc_lo, s30, v84
	v_perm_b32 v31, v31, v39, 0x5040100
	v_cndmask_b32_e32 v40, 0, v32, vcc_lo
	s_mov_b32 vcc_lo, s1
	v_cndmask_b32_sdwa v32, v78, v32, vcc_lo dst_sel:DWORD dst_unused:UNUSED_PAD src0_sel:DWORD src1_sel:WORD_1
	v_perm_b32 v32, v32, v40, 0x5040100
	s_or_b32 exec_lo, exec_lo, s22
	global_load_dwordx4 v[37:40], v[19:20], off offset:1536
	s_and_saveexec_b32 s22, s0
	s_cbranch_execnz .LBB133_49
	s_branch .LBB133_50
.LBB133_60:                             ;   in Loop: Header=BB133_39 Depth=1
	v_cmp_gt_i32_e64 s1, s30, v88
	v_cmp_gt_i32_e32 vcc_lo, s17, v91
	v_cmp_gt_i32_e64 s2, s30, v90
	s_waitcnt vmcnt(0)
	v_cndmask_b32_e64 v19, 0, v45, s1
	v_cmp_gt_i32_e64 s1, s17, v89
	v_cndmask_b32_sdwa v45, v78, v45, vcc_lo dst_sel:DWORD dst_unused:UNUSED_PAD src0_sel:DWORD src1_sel:WORD_1
	v_cndmask_b32_e64 v20, 0, v46, s2
	v_cmp_gt_i32_e64 s2, s17, v87
	s_mov_b32 vcc_lo, s1
	v_cmp_gt_i32_e64 s1, s17, v85
	v_cndmask_b32_sdwa v46, v78, v46, vcc_lo dst_sel:DWORD dst_unused:UNUSED_PAD src0_sel:DWORD src1_sel:WORD_1
	v_cmp_gt_i32_e32 vcc_lo, s30, v86
	v_perm_b32 v45, v45, v19, 0x5040100
	v_perm_b32 v46, v46, v20, 0x5040100
	v_cndmask_b32_e32 v49, 0, v47, vcc_lo
	s_mov_b32 vcc_lo, s2
	v_cndmask_b32_sdwa v47, v78, v47, vcc_lo dst_sel:DWORD dst_unused:UNUSED_PAD src0_sel:DWORD src1_sel:WORD_1
	v_cmp_gt_i32_e32 vcc_lo, s30, v84
	v_perm_b32 v47, v47, v49, 0x5040100
	v_cndmask_b32_e32 v50, 0, v48, vcc_lo
	s_mov_b32 vcc_lo, s1
	v_cndmask_b32_sdwa v48, v78, v48, vcc_lo dst_sel:DWORD dst_unused:UNUSED_PAD src0_sel:DWORD src1_sel:WORD_1
	v_perm_b32 v48, v48, v50, 0x5040100
	s_or_b32 exec_lo, exec_lo, s22
	global_load_dwordx4 v[49:52], v[17:18], off offset:512
	s_and_saveexec_b32 s22, s0
	s_cbranch_execz .LBB133_52
.LBB133_61:                             ;   in Loop: Header=BB133_39 Depth=1
	v_cmp_gt_i32_e64 s1, s30, v88
	v_cmp_gt_i32_e32 vcc_lo, s17, v91
	v_cmp_gt_i32_e64 s2, s30, v90
	s_waitcnt vmcnt(0)
	v_cndmask_b32_e64 v19, 0, v49, s1
	v_cmp_gt_i32_e64 s1, s17, v89
	v_cndmask_b32_sdwa v49, v78, v49, vcc_lo dst_sel:DWORD dst_unused:UNUSED_PAD src0_sel:DWORD src1_sel:WORD_1
	v_cndmask_b32_e64 v20, 0, v50, s2
	v_cmp_gt_i32_e64 s2, s17, v87
	s_mov_b32 vcc_lo, s1
	v_cmp_gt_i32_e64 s1, s17, v85
	v_cndmask_b32_sdwa v50, v78, v50, vcc_lo dst_sel:DWORD dst_unused:UNUSED_PAD src0_sel:DWORD src1_sel:WORD_1
	v_cmp_gt_i32_e32 vcc_lo, s30, v86
	v_perm_b32 v49, v49, v19, 0x5040100
	v_perm_b32 v50, v50, v20, 0x5040100
	v_cndmask_b32_e32 v53, 0, v51, vcc_lo
	s_mov_b32 vcc_lo, s2
	v_cndmask_b32_sdwa v51, v78, v51, vcc_lo dst_sel:DWORD dst_unused:UNUSED_PAD src0_sel:DWORD src1_sel:WORD_1
	v_cmp_gt_i32_e32 vcc_lo, s30, v84
	v_perm_b32 v51, v51, v53, 0x5040100
	v_cndmask_b32_e32 v54, 0, v52, vcc_lo
	s_mov_b32 vcc_lo, s1
	v_cndmask_b32_sdwa v52, v78, v52, vcc_lo dst_sel:DWORD dst_unused:UNUSED_PAD src0_sel:DWORD src1_sel:WORD_1
	v_perm_b32 v52, v52, v54, 0x5040100
	s_or_b32 exec_lo, exec_lo, s22
	global_load_dwordx4 v[53:56], v[17:18], off offset:1024
	s_and_saveexec_b32 s22, s0
	s_cbranch_execz .LBB133_53
.LBB133_62:                             ;   in Loop: Header=BB133_39 Depth=1
	v_cmp_gt_i32_e64 s1, s30, v88
	v_cmp_gt_i32_e32 vcc_lo, s17, v91
	v_cmp_gt_i32_e64 s2, s30, v90
	s_waitcnt vmcnt(0)
	v_cndmask_b32_e64 v19, 0, v53, s1
	v_cmp_gt_i32_e64 s1, s17, v89
	v_cndmask_b32_sdwa v53, v78, v53, vcc_lo dst_sel:DWORD dst_unused:UNUSED_PAD src0_sel:DWORD src1_sel:WORD_1
	v_cndmask_b32_e64 v20, 0, v54, s2
	v_cmp_gt_i32_e64 s2, s17, v87
	s_mov_b32 vcc_lo, s1
	v_cmp_gt_i32_e64 s1, s17, v85
	v_cndmask_b32_sdwa v54, v78, v54, vcc_lo dst_sel:DWORD dst_unused:UNUSED_PAD src0_sel:DWORD src1_sel:WORD_1
	v_cmp_gt_i32_e32 vcc_lo, s30, v86
	v_perm_b32 v53, v53, v19, 0x5040100
	v_perm_b32 v54, v54, v20, 0x5040100
	v_cndmask_b32_e32 v59, 0, v55, vcc_lo
	s_mov_b32 vcc_lo, s2
	v_cndmask_b32_sdwa v55, v78, v55, vcc_lo dst_sel:DWORD dst_unused:UNUSED_PAD src0_sel:DWORD src1_sel:WORD_1
	v_cmp_gt_i32_e32 vcc_lo, s30, v84
	v_perm_b32 v55, v55, v59, 0x5040100
	v_cndmask_b32_e32 v60, 0, v56, vcc_lo
	s_mov_b32 vcc_lo, s1
	v_cndmask_b32_sdwa v56, v78, v56, vcc_lo dst_sel:DWORD dst_unused:UNUSED_PAD src0_sel:DWORD src1_sel:WORD_1
	v_perm_b32 v56, v56, v60, 0x5040100
	s_or_b32 exec_lo, exec_lo, s22
	global_load_dwordx4 v[17:20], v[17:18], off offset:1536
	s_and_saveexec_b32 s2, s0
	s_cbranch_execz .LBB133_37
.LBB133_63:                             ;   in Loop: Header=BB133_39 Depth=1
	v_cmp_gt_i32_e64 s0, s30, v88
	v_cmp_gt_i32_e32 vcc_lo, s17, v91
	v_cmp_gt_i32_e64 s1, s30, v90
	s_waitcnt vmcnt(0)
	v_cndmask_b32_e64 v59, 0, v17, s0
	v_cmp_gt_i32_e64 s0, s17, v89
	v_cndmask_b32_sdwa v17, v78, v17, vcc_lo dst_sel:DWORD dst_unused:UNUSED_PAD src0_sel:DWORD src1_sel:WORD_1
	v_cndmask_b32_e64 v60, 0, v18, s1
	v_cmp_gt_i32_e64 s1, s17, v87
	s_mov_b32 vcc_lo, s0
	v_cmp_gt_i32_e64 s0, s17, v85
	v_cndmask_b32_sdwa v18, v78, v18, vcc_lo dst_sel:DWORD dst_unused:UNUSED_PAD src0_sel:DWORD src1_sel:WORD_1
	v_cmp_gt_i32_e32 vcc_lo, s30, v86
	v_perm_b32 v17, v17, v59, 0x5040100
	v_perm_b32 v18, v18, v60, 0x5040100
	v_cndmask_b32_e32 v86, 0, v19, vcc_lo
	s_mov_b32 vcc_lo, s1
	v_cndmask_b32_sdwa v19, v78, v19, vcc_lo dst_sel:DWORD dst_unused:UNUSED_PAD src0_sel:DWORD src1_sel:WORD_1
	v_cmp_gt_i32_e32 vcc_lo, s30, v84
	v_perm_b32 v19, v19, v86, 0x5040100
	v_cndmask_b32_e32 v84, 0, v20, vcc_lo
	s_mov_b32 vcc_lo, s0
	v_cndmask_b32_sdwa v20, v78, v20, vcc_lo dst_sel:DWORD dst_unused:UNUSED_PAD src0_sel:DWORD src1_sel:WORD_1
	v_perm_b32 v20, v20, v84, 0x5040100
	s_branch .LBB133_37
.LBB133_64:
	s_or_b32 exec_lo, exec_lo, s15
.LBB133_65:
	s_or_b32 exec_lo, exec_lo, s3
	ds_bpermute_b32 v6, v64, v71
	ds_bpermute_b32 v13, v64, v70
	;; [unrolled: 1-line block ×12, first 2 shown]
	s_mov_b32 s0, exec_lo
	s_waitcnt lgkmcnt(0)
	s_barrier
	buffer_gl0_inv
	v_add_f32_e32 v7, v71, v6
	v_add_f32_e32 v6, v70, v13
	v_lshrrev_b32_e32 v13, 1, v63
	v_add_f32_e32 v12, v76, v1
	v_add_f32_e32 v11, v75, v2
	;; [unrolled: 1-line block ×8, first 2 shown]
	v_and_b32_e32 v16, 0x3c1, v0
	v_add_f32_e32 v3, v66, v17
	v_add_f32_e32 v2, v65, v18
	v_lshl_add_u32 v14, v13, 2, 0x1a0
	v_mul_u32_u24_e32 v15, 0x300, v61
	v_cmpx_eq_u32_e32 64, v16
	s_cbranch_execz .LBB133_67
; %bb.66:
	v_add_nc_u32_e32 v16, v14, v15
	v_add_nc_u32_e32 v17, 0xfffffa00, v16
	;; [unrolled: 1-line block ×8, first 2 shown]
	ds_write_b32 v17, v12
	ds_write_b32 v18, v11
	;; [unrolled: 1-line block ×7, first 2 shown]
	v_add_nc_u32_e32 v17, 0xfffffbc0, v16
	v_add_nc_u32_e32 v18, 0xfffffc00, v16
	v_add_nc_u32_e32 v19, 0xfffffc40, v16
	v_add_nc_u32_e32 v20, 0xfffffc80, v16
	v_add_nc_u32_e32 v16, 0xfffffcc0, v16
	ds_write_b32 v17, v5
	ds_write_b32 v18, v4
	;; [unrolled: 1-line block ×5, first 2 shown]
.LBB133_67:
	s_or_b32 exec_lo, exec_lo, s0
	v_lshlrev_b32_e32 v13, 2, v13
	v_and_b32_e32 v16, 1, v0
	s_mov_b32 s1, exec_lo
	s_waitcnt lgkmcnt(0)
	s_barrier
	v_add3_u32 v13, 0x1a0, v15, v13
	v_cmp_eq_u32_e32 vcc_lo, 0, v16
	buffer_gl0_inv
	v_cmpx_gt_u32_e32 64, v0
	s_cbranch_execz .LBB133_82
; %bb.68:
	s_and_saveexec_b32 s0, vcc_lo
	s_cbranch_execnz .LBB133_102
; %bb.69:
	s_or_b32 exec_lo, exec_lo, s0
	s_and_saveexec_b32 s0, vcc_lo
	s_cbranch_execnz .LBB133_103
.LBB133_70:
	s_or_b32 exec_lo, exec_lo, s0
	s_and_saveexec_b32 s0, vcc_lo
	s_cbranch_execnz .LBB133_104
.LBB133_71:
	s_or_b32 exec_lo, exec_lo, s0
	s_and_saveexec_b32 s0, vcc_lo
	s_cbranch_execnz .LBB133_105
.LBB133_72:
	s_or_b32 exec_lo, exec_lo, s0
	s_and_saveexec_b32 s0, vcc_lo
	s_cbranch_execnz .LBB133_106
.LBB133_73:
	s_or_b32 exec_lo, exec_lo, s0
	s_and_saveexec_b32 s0, vcc_lo
	s_cbranch_execnz .LBB133_107
.LBB133_74:
	s_or_b32 exec_lo, exec_lo, s0
	s_and_saveexec_b32 s0, vcc_lo
	s_cbranch_execnz .LBB133_108
.LBB133_75:
	s_or_b32 exec_lo, exec_lo, s0
	s_and_saveexec_b32 s0, vcc_lo
	s_cbranch_execnz .LBB133_109
.LBB133_76:
	s_or_b32 exec_lo, exec_lo, s0
	s_and_saveexec_b32 s0, vcc_lo
	s_cbranch_execnz .LBB133_110
.LBB133_77:
	s_or_b32 exec_lo, exec_lo, s0
	s_and_saveexec_b32 s0, vcc_lo
	s_cbranch_execnz .LBB133_111
.LBB133_78:
	s_or_b32 exec_lo, exec_lo, s0
	s_and_saveexec_b32 s0, vcc_lo
	s_cbranch_execnz .LBB133_112
.LBB133_79:
	s_or_b32 exec_lo, exec_lo, s0
	s_and_saveexec_b32 s0, vcc_lo
	s_cbranch_execz .LBB133_81
.LBB133_80:
	ds_read_b32 v15, v13 offset:704
	s_waitcnt lgkmcnt(0)
	v_add_f32_e32 v2, v2, v15
.LBB133_81:
	s_or_b32 exec_lo, exec_lo, s0
.LBB133_82:
	s_or_b32 exec_lo, exec_lo, s1
	v_and_b32_e32 v15, 0x3e1, v0
	s_mov_b32 s1, exec_lo
	s_barrier
	buffer_gl0_inv
	v_cmpx_eq_u32_e32 32, v15
	s_cbranch_execz .LBB133_84
; %bb.83:
	ds_write2_b32 v14, v12, v11 offset1:16
	ds_write2_b32 v14, v10, v9 offset0:32 offset1:48
	ds_write2_b32 v14, v8, v7 offset0:64 offset1:80
	;; [unrolled: 1-line block ×5, first 2 shown]
.LBB133_84:
	s_or_b32 exec_lo, exec_lo, s1
	s_mov_b32 s1, exec_lo
	s_waitcnt lgkmcnt(0)
	s_barrier
	buffer_gl0_inv
	v_cmpx_gt_u32_e32 32, v0
	s_cbranch_execz .LBB133_99
; %bb.85:
	s_and_saveexec_b32 s0, vcc_lo
	s_cbranch_execnz .LBB133_113
; %bb.86:
	s_or_b32 exec_lo, exec_lo, s0
	s_and_saveexec_b32 s0, vcc_lo
	s_cbranch_execnz .LBB133_114
.LBB133_87:
	s_or_b32 exec_lo, exec_lo, s0
	s_and_saveexec_b32 s0, vcc_lo
	s_cbranch_execnz .LBB133_115
.LBB133_88:
	s_or_b32 exec_lo, exec_lo, s0
	s_and_saveexec_b32 s0, vcc_lo
	s_cbranch_execnz .LBB133_116
.LBB133_89:
	s_or_b32 exec_lo, exec_lo, s0
	s_and_saveexec_b32 s0, vcc_lo
	s_cbranch_execnz .LBB133_117
.LBB133_90:
	s_or_b32 exec_lo, exec_lo, s0
	s_and_saveexec_b32 s0, vcc_lo
	s_cbranch_execnz .LBB133_118
.LBB133_91:
	s_or_b32 exec_lo, exec_lo, s0
	s_and_saveexec_b32 s0, vcc_lo
	s_cbranch_execnz .LBB133_119
.LBB133_92:
	s_or_b32 exec_lo, exec_lo, s0
	s_and_saveexec_b32 s0, vcc_lo
	s_cbranch_execnz .LBB133_120
.LBB133_93:
	s_or_b32 exec_lo, exec_lo, s0
	s_and_saveexec_b32 s0, vcc_lo
	s_cbranch_execnz .LBB133_121
.LBB133_94:
	s_or_b32 exec_lo, exec_lo, s0
	s_and_saveexec_b32 s0, vcc_lo
	s_cbranch_execnz .LBB133_122
.LBB133_95:
	s_or_b32 exec_lo, exec_lo, s0
	s_and_saveexec_b32 s0, vcc_lo
	s_cbranch_execnz .LBB133_123
.LBB133_96:
	s_or_b32 exec_lo, exec_lo, s0
	s_and_saveexec_b32 s0, vcc_lo
	s_cbranch_execz .LBB133_98
.LBB133_97:
	ds_read_b32 v0, v13 offset:704
	s_waitcnt lgkmcnt(0)
	v_add_f32_e32 v2, v2, v0
.LBB133_98:
	s_or_b32 exec_lo, exec_lo, s0
.LBB133_99:
	s_or_b32 exec_lo, exec_lo, s1
	s_barrier
	buffer_gl0_inv
	s_mov_b32 s0, exec_lo
	v_cmpx_eq_u32_e32 0, v15
	s_cbranch_execz .LBB133_101
; %bb.100:
	buffer_load_dword v0, off, s[40:43], 0  ; 4-byte Folded Reload
	s_mul_i32 s0, s10, s11
	v_bfe_u32 v13, v12, 16, 1
	s_mul_i32 s0, s0, s9
	s_mul_i32 s2, s11, s20
	s_mulk_i32 s0, 0xc0
	v_or_b32_e32 v14, 0x400000, v12
	s_ashr_i32 s1, s0, 31
	v_add3_u32 v13, v13, v12, 0x7fff
	s_lshl_b64 s[0:1], s[0:1], 1
	v_bfe_u32 v15, v11, 16, 1
	s_add_u32 s5, s6, s0
	s_addc_u32 s6, s7, s1
	s_ashr_i32 s3, s2, 31
	v_cmp_u_f32_e32 vcc_lo, v12, v12
	s_lshl_b64 s[0:1], s[2:3], 1
	s_mul_i32 s4, s8, 0xc0
	s_add_u32 s2, s5, s0
	s_addc_u32 s3, s6, s1
	s_ashr_i32 s5, s4, 31
	v_cndmask_b32_e32 v12, v13, v14, vcc_lo
	s_lshl_b64 s[0:1], s[4:5], 1
	v_bfe_u32 v13, v10, 16, 1
	v_add3_u32 v14, v15, v11, 0x7fff
	v_or_b32_e32 v15, 0x400000, v11
	v_cmp_u_f32_e32 vcc_lo, v11, v11
	s_add_u32 s0, s2, s0
	s_addc_u32 s1, s3, s1
	v_cndmask_b32_e32 v11, v14, v15, vcc_lo
	v_bfe_u32 v14, v9, 16, 1
	v_cmp_u_f32_e32 vcc_lo, v10, v10
	s_waitcnt vmcnt(0)
	v_lshlrev_b32_e32 v0, 1, v0
	global_store_short_d16_hi v0, v12, s[0:1]
	v_add3_u32 v12, v13, v10, 0x7fff
	v_or_b32_e32 v13, 0x400000, v10
	global_store_short_d16_hi v0, v11, s[0:1] offset:32
	v_add3_u32 v11, v14, v9, 0x7fff
	v_cndmask_b32_e32 v10, v12, v13, vcc_lo
	v_bfe_u32 v12, v8, 16, 1
	v_or_b32_e32 v13, 0x400000, v9
	v_cmp_u_f32_e32 vcc_lo, v9, v9
	global_store_short_d16_hi v0, v10, s[0:1] offset:64
	v_add3_u32 v10, v12, v8, 0x7fff
	v_or_b32_e32 v12, 0x400000, v8
	v_cndmask_b32_e32 v9, v11, v13, vcc_lo
	v_bfe_u32 v11, v7, 16, 1
	v_cmp_u_f32_e32 vcc_lo, v8, v8
	global_store_short_d16_hi v0, v9, s[0:1] offset:96
	v_add3_u32 v9, v11, v7, 0x7fff
	v_cndmask_b32_e32 v8, v10, v12, vcc_lo
	v_bfe_u32 v10, v6, 16, 1
	v_or_b32_e32 v11, 0x400000, v7
	v_cmp_u_f32_e32 vcc_lo, v7, v7
	global_store_short_d16_hi v0, v8, s[0:1] offset:128
	v_add3_u32 v8, v10, v6, 0x7fff
	v_or_b32_e32 v10, 0x400000, v6
	v_cndmask_b32_e32 v7, v9, v11, vcc_lo
	v_bfe_u32 v9, v5, 16, 1
	v_cmp_u_f32_e32 vcc_lo, v6, v6
	v_or_b32_e32 v11, 0x400000, v2
	global_store_short_d16_hi v0, v7, s[0:1] offset:160
	v_add3_u32 v7, v9, v5, 0x7fff
	v_cndmask_b32_e32 v6, v8, v10, vcc_lo
	v_bfe_u32 v8, v4, 16, 1
	v_or_b32_e32 v9, 0x400000, v5
	v_cmp_u_f32_e32 vcc_lo, v5, v5
	v_or_b32_e32 v10, 0x400000, v3
	global_store_short_d16_hi v0, v6, s[0:1] offset:192
	v_add3_u32 v6, v8, v4, 0x7fff
	v_or_b32_e32 v8, 0x400000, v4
	v_cndmask_b32_e32 v5, v7, v9, vcc_lo
	v_bfe_u32 v7, v1, 16, 1
	v_cmp_u_f32_e32 vcc_lo, v4, v4
	v_bfe_u32 v9, v3, 16, 1
	v_add3_u32 v7, v7, v1, 0x7fff
	v_cndmask_b32_e32 v4, v6, v8, vcc_lo
	v_or_b32_e32 v8, 0x400000, v1
	v_cmp_u_f32_e32 vcc_lo, v1, v1
	v_bfe_u32 v6, v2, 16, 1
	v_add3_u32 v9, v9, v3, 0x7fff
	v_cndmask_b32_e32 v1, v7, v8, vcc_lo
	v_cmp_u_f32_e32 vcc_lo, v3, v3
	v_add3_u32 v6, v6, v2, 0x7fff
	v_cndmask_b32_e32 v3, v9, v10, vcc_lo
	v_cmp_u_f32_e32 vcc_lo, v2, v2
	v_cndmask_b32_e32 v2, v6, v11, vcc_lo
	global_store_short_d16_hi v0, v5, s[0:1] offset:224
	global_store_short_d16_hi v0, v4, s[0:1] offset:256
	;; [unrolled: 1-line block ×5, first 2 shown]
.LBB133_101:
	s_endpgm
.LBB133_102:
	ds_read_b32 v15, v13
	s_waitcnt lgkmcnt(0)
	v_add_f32_e32 v12, v12, v15
	s_or_b32 exec_lo, exec_lo, s0
	s_and_saveexec_b32 s0, vcc_lo
	s_cbranch_execz .LBB133_70
.LBB133_103:
	ds_read_b32 v15, v13 offset:64
	s_waitcnt lgkmcnt(0)
	v_add_f32_e32 v11, v11, v15
	s_or_b32 exec_lo, exec_lo, s0
	s_and_saveexec_b32 s0, vcc_lo
	s_cbranch_execz .LBB133_71
.LBB133_104:
	ds_read_b32 v15, v13 offset:128
	s_waitcnt lgkmcnt(0)
	v_add_f32_e32 v10, v10, v15
	s_or_b32 exec_lo, exec_lo, s0
	s_and_saveexec_b32 s0, vcc_lo
	s_cbranch_execz .LBB133_72
.LBB133_105:
	ds_read_b32 v15, v13 offset:192
	s_waitcnt lgkmcnt(0)
	v_add_f32_e32 v9, v9, v15
	s_or_b32 exec_lo, exec_lo, s0
	s_and_saveexec_b32 s0, vcc_lo
	s_cbranch_execz .LBB133_73
.LBB133_106:
	ds_read_b32 v15, v13 offset:256
	s_waitcnt lgkmcnt(0)
	v_add_f32_e32 v8, v8, v15
	s_or_b32 exec_lo, exec_lo, s0
	s_and_saveexec_b32 s0, vcc_lo
	s_cbranch_execz .LBB133_74
.LBB133_107:
	ds_read_b32 v15, v13 offset:320
	s_waitcnt lgkmcnt(0)
	v_add_f32_e32 v7, v7, v15
	s_or_b32 exec_lo, exec_lo, s0
	s_and_saveexec_b32 s0, vcc_lo
	s_cbranch_execz .LBB133_75
.LBB133_108:
	ds_read_b32 v15, v13 offset:384
	s_waitcnt lgkmcnt(0)
	v_add_f32_e32 v6, v6, v15
	s_or_b32 exec_lo, exec_lo, s0
	s_and_saveexec_b32 s0, vcc_lo
	s_cbranch_execz .LBB133_76
.LBB133_109:
	ds_read_b32 v15, v13 offset:448
	s_waitcnt lgkmcnt(0)
	v_add_f32_e32 v5, v5, v15
	s_or_b32 exec_lo, exec_lo, s0
	s_and_saveexec_b32 s0, vcc_lo
	s_cbranch_execz .LBB133_77
.LBB133_110:
	ds_read_b32 v15, v13 offset:512
	s_waitcnt lgkmcnt(0)
	v_add_f32_e32 v4, v4, v15
	s_or_b32 exec_lo, exec_lo, s0
	s_and_saveexec_b32 s0, vcc_lo
	s_cbranch_execz .LBB133_78
.LBB133_111:
	ds_read_b32 v15, v13 offset:576
	s_waitcnt lgkmcnt(0)
	v_add_f32_e32 v1, v1, v15
	s_or_b32 exec_lo, exec_lo, s0
	s_and_saveexec_b32 s0, vcc_lo
	s_cbranch_execz .LBB133_79
.LBB133_112:
	ds_read_b32 v15, v13 offset:640
	s_waitcnt lgkmcnt(0)
	v_add_f32_e32 v3, v3, v15
	s_or_b32 exec_lo, exec_lo, s0
	s_and_saveexec_b32 s0, vcc_lo
	s_cbranch_execnz .LBB133_80
	s_branch .LBB133_81
.LBB133_113:
	ds_read_b32 v0, v13
	s_waitcnt lgkmcnt(0)
	v_add_f32_e32 v12, v12, v0
	s_or_b32 exec_lo, exec_lo, s0
	s_and_saveexec_b32 s0, vcc_lo
	s_cbranch_execz .LBB133_87
.LBB133_114:
	ds_read_b32 v0, v13 offset:64
	s_waitcnt lgkmcnt(0)
	v_add_f32_e32 v11, v11, v0
	s_or_b32 exec_lo, exec_lo, s0
	s_and_saveexec_b32 s0, vcc_lo
	s_cbranch_execz .LBB133_88
.LBB133_115:
	ds_read_b32 v0, v13 offset:128
	s_waitcnt lgkmcnt(0)
	v_add_f32_e32 v10, v10, v0
	s_or_b32 exec_lo, exec_lo, s0
	s_and_saveexec_b32 s0, vcc_lo
	s_cbranch_execz .LBB133_89
.LBB133_116:
	ds_read_b32 v0, v13 offset:192
	s_waitcnt lgkmcnt(0)
	v_add_f32_e32 v9, v9, v0
	s_or_b32 exec_lo, exec_lo, s0
	s_and_saveexec_b32 s0, vcc_lo
	s_cbranch_execz .LBB133_90
.LBB133_117:
	ds_read_b32 v0, v13 offset:256
	s_waitcnt lgkmcnt(0)
	v_add_f32_e32 v8, v8, v0
	s_or_b32 exec_lo, exec_lo, s0
	s_and_saveexec_b32 s0, vcc_lo
	s_cbranch_execz .LBB133_91
.LBB133_118:
	ds_read_b32 v0, v13 offset:320
	s_waitcnt lgkmcnt(0)
	v_add_f32_e32 v7, v7, v0
	s_or_b32 exec_lo, exec_lo, s0
	s_and_saveexec_b32 s0, vcc_lo
	s_cbranch_execz .LBB133_92
.LBB133_119:
	ds_read_b32 v0, v13 offset:384
	s_waitcnt lgkmcnt(0)
	v_add_f32_e32 v6, v6, v0
	s_or_b32 exec_lo, exec_lo, s0
	s_and_saveexec_b32 s0, vcc_lo
	s_cbranch_execz .LBB133_93
.LBB133_120:
	ds_read_b32 v0, v13 offset:448
	s_waitcnt lgkmcnt(0)
	v_add_f32_e32 v5, v5, v0
	s_or_b32 exec_lo, exec_lo, s0
	s_and_saveexec_b32 s0, vcc_lo
	s_cbranch_execz .LBB133_94
.LBB133_121:
	ds_read_b32 v0, v13 offset:512
	s_waitcnt lgkmcnt(0)
	v_add_f32_e32 v4, v4, v0
	s_or_b32 exec_lo, exec_lo, s0
	s_and_saveexec_b32 s0, vcc_lo
	s_cbranch_execz .LBB133_95
.LBB133_122:
	ds_read_b32 v0, v13 offset:576
	s_waitcnt lgkmcnt(0)
	v_add_f32_e32 v1, v1, v0
	s_or_b32 exec_lo, exec_lo, s0
	s_and_saveexec_b32 s0, vcc_lo
	s_cbranch_execz .LBB133_96
.LBB133_123:
	ds_read_b32 v0, v13 offset:640
	s_waitcnt lgkmcnt(0)
	v_add_f32_e32 v3, v3, v0
	s_or_b32 exec_lo, exec_lo, s0
	s_and_saveexec_b32 s0, vcc_lo
	s_cbranch_execnz .LBB133_97
	s_branch .LBB133_98
	.section	.rodata,"a",@progbits
	.p2align	6, 0x0
	.amdhsa_kernel _ZN4vllm25paged_attention_v1_kernelI14__hip_bfloat16S1_Li192ELi16ELi128ELNS_18Fp8KVCacheDataTypeE0ELb1EEEvPT_PKS3_PKT0_S9_ifPKiSB_iPKfiiiSD_SD_iiiii
		.amdhsa_group_segment_fixed_size 416
		.amdhsa_private_segment_fixed_size 8
		.amdhsa_kernarg_size 384
		.amdhsa_user_sgpr_count 6
		.amdhsa_user_sgpr_private_segment_buffer 1
		.amdhsa_user_sgpr_dispatch_ptr 0
		.amdhsa_user_sgpr_queue_ptr 0
		.amdhsa_user_sgpr_kernarg_segment_ptr 1
		.amdhsa_user_sgpr_dispatch_id 0
		.amdhsa_user_sgpr_flat_scratch_init 0
		.amdhsa_user_sgpr_private_segment_size 0
		.amdhsa_wavefront_size32 1
		.amdhsa_uses_dynamic_stack 0
		.amdhsa_system_sgpr_private_segment_wavefront_offset 1
		.amdhsa_system_sgpr_workgroup_id_x 1
		.amdhsa_system_sgpr_workgroup_id_y 1
		.amdhsa_system_sgpr_workgroup_id_z 1
		.amdhsa_system_sgpr_workgroup_info 0
		.amdhsa_system_vgpr_workitem_id 0
		.amdhsa_next_free_vgpr 128
		.amdhsa_next_free_sgpr 44
		.amdhsa_reserve_vcc 1
		.amdhsa_reserve_flat_scratch 0
		.amdhsa_float_round_mode_32 0
		.amdhsa_float_round_mode_16_64 0
		.amdhsa_float_denorm_mode_32 3
		.amdhsa_float_denorm_mode_16_64 3
		.amdhsa_dx10_clamp 1
		.amdhsa_ieee_mode 1
		.amdhsa_fp16_overflow 0
		.amdhsa_workgroup_processor_mode 1
		.amdhsa_memory_ordered 1
		.amdhsa_forward_progress 1
		.amdhsa_shared_vgpr_count 0
		.amdhsa_exception_fp_ieee_invalid_op 0
		.amdhsa_exception_fp_denorm_src 0
		.amdhsa_exception_fp_ieee_div_zero 0
		.amdhsa_exception_fp_ieee_overflow 0
		.amdhsa_exception_fp_ieee_underflow 0
		.amdhsa_exception_fp_ieee_inexact 0
		.amdhsa_exception_int_div_zero 0
	.end_amdhsa_kernel
	.section	.text._ZN4vllm25paged_attention_v1_kernelI14__hip_bfloat16S1_Li192ELi16ELi128ELNS_18Fp8KVCacheDataTypeE0ELb1EEEvPT_PKS3_PKT0_S9_ifPKiSB_iPKfiiiSD_SD_iiiii,"axG",@progbits,_ZN4vllm25paged_attention_v1_kernelI14__hip_bfloat16S1_Li192ELi16ELi128ELNS_18Fp8KVCacheDataTypeE0ELb1EEEvPT_PKS3_PKT0_S9_ifPKiSB_iPKfiiiSD_SD_iiiii,comdat
.Lfunc_end133:
	.size	_ZN4vllm25paged_attention_v1_kernelI14__hip_bfloat16S1_Li192ELi16ELi128ELNS_18Fp8KVCacheDataTypeE0ELb1EEEvPT_PKS3_PKT0_S9_ifPKiSB_iPKfiiiSD_SD_iiiii, .Lfunc_end133-_ZN4vllm25paged_attention_v1_kernelI14__hip_bfloat16S1_Li192ELi16ELi128ELNS_18Fp8KVCacheDataTypeE0ELb1EEEvPT_PKS3_PKT0_S9_ifPKiSB_iPKfiiiSD_SD_iiiii
                                        ; -- End function
	.set _ZN4vllm25paged_attention_v1_kernelI14__hip_bfloat16S1_Li192ELi16ELi128ELNS_18Fp8KVCacheDataTypeE0ELb1EEEvPT_PKS3_PKT0_S9_ifPKiSB_iPKfiiiSD_SD_iiiii.num_vgpr, 128
	.set _ZN4vllm25paged_attention_v1_kernelI14__hip_bfloat16S1_Li192ELi16ELi128ELNS_18Fp8KVCacheDataTypeE0ELb1EEEvPT_PKS3_PKT0_S9_ifPKiSB_iPKfiiiSD_SD_iiiii.num_agpr, 0
	.set _ZN4vllm25paged_attention_v1_kernelI14__hip_bfloat16S1_Li192ELi16ELi128ELNS_18Fp8KVCacheDataTypeE0ELb1EEEvPT_PKS3_PKT0_S9_ifPKiSB_iPKfiiiSD_SD_iiiii.numbered_sgpr, 44
	.set _ZN4vllm25paged_attention_v1_kernelI14__hip_bfloat16S1_Li192ELi16ELi128ELNS_18Fp8KVCacheDataTypeE0ELb1EEEvPT_PKS3_PKT0_S9_ifPKiSB_iPKfiiiSD_SD_iiiii.num_named_barrier, 0
	.set _ZN4vllm25paged_attention_v1_kernelI14__hip_bfloat16S1_Li192ELi16ELi128ELNS_18Fp8KVCacheDataTypeE0ELb1EEEvPT_PKS3_PKT0_S9_ifPKiSB_iPKfiiiSD_SD_iiiii.private_seg_size, 8
	.set _ZN4vllm25paged_attention_v1_kernelI14__hip_bfloat16S1_Li192ELi16ELi128ELNS_18Fp8KVCacheDataTypeE0ELb1EEEvPT_PKS3_PKT0_S9_ifPKiSB_iPKfiiiSD_SD_iiiii.uses_vcc, 1
	.set _ZN4vllm25paged_attention_v1_kernelI14__hip_bfloat16S1_Li192ELi16ELi128ELNS_18Fp8KVCacheDataTypeE0ELb1EEEvPT_PKS3_PKT0_S9_ifPKiSB_iPKfiiiSD_SD_iiiii.uses_flat_scratch, 0
	.set _ZN4vllm25paged_attention_v1_kernelI14__hip_bfloat16S1_Li192ELi16ELi128ELNS_18Fp8KVCacheDataTypeE0ELb1EEEvPT_PKS3_PKT0_S9_ifPKiSB_iPKfiiiSD_SD_iiiii.has_dyn_sized_stack, 0
	.set _ZN4vllm25paged_attention_v1_kernelI14__hip_bfloat16S1_Li192ELi16ELi128ELNS_18Fp8KVCacheDataTypeE0ELb1EEEvPT_PKS3_PKT0_S9_ifPKiSB_iPKfiiiSD_SD_iiiii.has_recursion, 0
	.set _ZN4vllm25paged_attention_v1_kernelI14__hip_bfloat16S1_Li192ELi16ELi128ELNS_18Fp8KVCacheDataTypeE0ELb1EEEvPT_PKS3_PKT0_S9_ifPKiSB_iPKfiiiSD_SD_iiiii.has_indirect_call, 0
	.section	.AMDGPU.csdata,"",@progbits
; Kernel info:
; codeLenInByte = 15644
; TotalNumSgprs: 46
; NumVgprs: 128
; ScratchSize: 8
; MemoryBound: 0
; FloatMode: 240
; IeeeMode: 1
; LDSByteSize: 416 bytes/workgroup (compile time only)
; SGPRBlocks: 0
; VGPRBlocks: 15
; NumSGPRsForWavesPerEU: 46
; NumVGPRsForWavesPerEU: 128
; Occupancy: 8
; WaveLimiterHint : 1
; COMPUTE_PGM_RSRC2:SCRATCH_EN: 1
; COMPUTE_PGM_RSRC2:USER_SGPR: 6
; COMPUTE_PGM_RSRC2:TRAP_HANDLER: 0
; COMPUTE_PGM_RSRC2:TGID_X_EN: 1
; COMPUTE_PGM_RSRC2:TGID_Y_EN: 1
; COMPUTE_PGM_RSRC2:TGID_Z_EN: 1
; COMPUTE_PGM_RSRC2:TIDIG_COMP_CNT: 0
	.section	.text._ZN4vllm25paged_attention_v1_kernelI14__hip_bfloat16S1_Li256ELi16ELi128ELNS_18Fp8KVCacheDataTypeE0ELb1EEEvPT_PKS3_PKT0_S9_ifPKiSB_iPKfiiiSD_SD_iiiii,"axG",@progbits,_ZN4vllm25paged_attention_v1_kernelI14__hip_bfloat16S1_Li256ELi16ELi128ELNS_18Fp8KVCacheDataTypeE0ELb1EEEvPT_PKS3_PKT0_S9_ifPKiSB_iPKfiiiSD_SD_iiiii,comdat
	.protected	_ZN4vllm25paged_attention_v1_kernelI14__hip_bfloat16S1_Li256ELi16ELi128ELNS_18Fp8KVCacheDataTypeE0ELb1EEEvPT_PKS3_PKT0_S9_ifPKiSB_iPKfiiiSD_SD_iiiii ; -- Begin function _ZN4vllm25paged_attention_v1_kernelI14__hip_bfloat16S1_Li256ELi16ELi128ELNS_18Fp8KVCacheDataTypeE0ELb1EEEvPT_PKS3_PKT0_S9_ifPKiSB_iPKfiiiSD_SD_iiiii
	.globl	_ZN4vllm25paged_attention_v1_kernelI14__hip_bfloat16S1_Li256ELi16ELi128ELNS_18Fp8KVCacheDataTypeE0ELb1EEEvPT_PKS3_PKT0_S9_ifPKiSB_iPKfiiiSD_SD_iiiii
	.p2align	8
	.type	_ZN4vllm25paged_attention_v1_kernelI14__hip_bfloat16S1_Li256ELi16ELi128ELNS_18Fp8KVCacheDataTypeE0ELb1EEEvPT_PKS3_PKT0_S9_ifPKiSB_iPKfiiiSD_SD_iiiii,@function
_ZN4vllm25paged_attention_v1_kernelI14__hip_bfloat16S1_Li256ELi16ELi128ELNS_18Fp8KVCacheDataTypeE0ELb1EEEvPT_PKS3_PKT0_S9_ifPKiSB_iPKfiiiSD_SD_iiiii: ; @_ZN4vllm25paged_attention_v1_kernelI14__hip_bfloat16S1_Li256ELi16ELi128ELNS_18Fp8KVCacheDataTypeE0ELb1EEEvPT_PKS3_PKT0_S9_ifPKiSB_iPKfiiiSD_SD_iiiii
; %bb.0:
	s_mov_b64 s[42:43], s[2:3]
	s_mov_b64 s[40:41], s[0:1]
	s_mov_b32 s10, s7
	s_add_u32 s40, s40, s9
	s_addc_u32 s41, s41, 0
	s_ashr_i32 s11, s7, 31
	buffer_store_dword v0, off, s[40:43], 0 offset:16 ; 4-byte Folded Spill
	s_clause 0x2
	s_load_dword s9, s[4:5], 0x80
	s_load_dwordx2 s[0:1], s[4:5], 0x30
	s_load_dwordx2 s[28:29], s[4:5], 0x20
	s_lshl_b64 s[2:3], s[10:11], 2
	s_mov_b32 s33, 0
	s_waitcnt lgkmcnt(0)
	s_add_u32 s0, s0, s2
	s_addc_u32 s1, s1, s3
	s_abs_i32 s2, s28
	s_abs_i32 s11, s9
	v_cvt_f32_u32_e32 v0, s2
	s_sub_i32 s7, 0, s2
	v_rcp_iflag_f32_e32 v0, v0
	v_mul_f32_e32 v0, 0x4f7ffffe, v0
	v_cvt_u32_f32_e32 v0, v0
	v_readfirstlane_b32 s3, v0
	s_mul_i32 s7, s7, s3
	s_mul_hi_u32 s7, s3, s7
	s_add_i32 s3, s3, s7
	s_xor_b32 s7, s9, s28
	s_mul_hi_u32 s3, s11, s3
	s_ashr_i32 s7, s7, 31
	s_mul_i32 s12, s3, s2
	s_sub_i32 s11, s11, s12
	s_add_i32 s12, s3, 1
	s_sub_i32 s13, s11, s2
	s_cmp_ge_u32 s11, s2
	s_cselect_b32 s3, s12, s3
	s_cselect_b32 s11, s13, s11
	s_add_i32 s12, s3, 1
	s_cmp_ge_u32 s11, s2
	s_cselect_b32 s2, s12, s3
	s_abs_i32 s22, s6
	s_xor_b32 s2, s2, s7
	s_sub_i32 s16, s2, s7
	s_load_dwordx2 s[2:3], s[4:5], 0x40
	s_abs_i32 s11, s16
	v_cvt_f32_u32_e32 v0, s11
	s_sub_i32 s12, 0, s11
	v_rcp_iflag_f32_e32 v0, v0
	v_mul_f32_e32 v0, 0x4f7ffffe, v0
	v_cvt_u32_f32_e32 v0, v0
	v_readfirstlane_b32 s7, v0
	s_mul_i32 s12, s12, s7
	s_mul_hi_u32 s12, s7, s12
	s_add_i32 s7, s7, s12
	s_waitcnt lgkmcnt(0)
	s_cmp_eq_u64 s[2:3], 0
	s_mul_hi_u32 s23, s22, s7
	s_cbranch_scc1 .LBB134_2
; %bb.1:
	s_ashr_i32 s7, s6, 31
	s_lshl_b64 s[12:13], s[6:7], 2
	s_add_u32 s2, s2, s12
	s_addc_u32 s3, s3, s13
	s_load_dword s33, s[2:3], 0x0
.LBB134_2:
	s_load_dword s30, s[0:1], 0x0
	s_load_dwordx4 s[12:15], s[4:5], 0x48
	buffer_load_dword v0, off, s[40:43], 0 offset:16 ; 4-byte Folded Reload
	s_ashr_i32 s1, s6, 31
	s_ashr_i32 s2, s16, 31
	s_lshl_b32 s20, s6, 8
	s_waitcnt vmcnt(0)
	v_lshrrev_b32_e32 v112, 1, v0
	v_and_b32_e32 v1, 1, v0
	v_cmp_gt_u32_e64 s0, 64, v0
	v_lshlrev_b32_e32 v12, 3, v0
	buffer_store_dword v1, off, s[40:43], 0 offset:56 ; 4-byte Folded Spill
	s_and_saveexec_b32 s3, s0
	s_cbranch_execz .LBB134_4
; %bb.3:
	s_load_dwordx2 s[16:17], s[4:5], 0x8
	s_waitcnt lgkmcnt(0)
	s_mul_i32 s18, s12, s10
	buffer_load_dword v3, off, s[40:43], 0 offset:56 ; 4-byte Folded Reload
	s_ashr_i32 s19, s18, 31
	v_lshlrev_b32_e32 v2, 3, v112
	s_lshl_b64 s[18:19], s[18:19], 1
	s_add_u32 s7, s16, s18
	s_addc_u32 s12, s17, s19
	s_ashr_i32 s21, s20, 31
	s_lshl_b64 s[16:17], s[20:21], 1
	s_add_u32 s16, s7, s16
	s_addc_u32 s17, s12, s17
	global_load_dwordx2 v[0:1], v12, s[16:17]
	s_waitcnt vmcnt(1)
	v_lshl_add_u32 v2, v3, 8, v2
	s_waitcnt vmcnt(0)
	ds_write_b64 v2, v[0:1]
.LBB134_4:
	s_or_b32 exec_lo, exec_lo, s3
	s_load_dwordx4 s[16:19], s[4:5], 0x68
	s_mul_i32 s3, s23, s11
	s_xor_b32 s2, s1, s2
	s_sub_i32 s1, s22, s3
	s_add_i32 s3, s23, 1
	s_sub_i32 s7, s1, s11
	s_cmp_ge_u32 s1, s11
	s_waitcnt lgkmcnt(0)
	s_mov_b32 s15, -1
	s_cselect_b32 s3, s3, s23
	s_cselect_b32 s1, s7, s1
	s_add_i32 s7, s3, 1
	s_cmp_ge_u32 s1, s11
	s_load_dword s1, s[4:5], 0x78
	s_cselect_b32 s3, s7, s3
	s_add_i32 s11, s30, -1
	s_xor_b32 s3, s3, s2
	s_abs_i32 s7, s11
	s_sub_i32 s2, s3, s2
	s_waitcnt lgkmcnt(0)
	s_waitcnt_vscnt null, 0x0
	s_barrier
	s_abs_i32 s12, s19
	buffer_gl0_inv
	v_cvt_f32_u32_e32 v0, s12
	s_sub_i32 s3, 0, s12
                                        ; implicit-def: $sgpr31
	v_rcp_iflag_f32_e32 v0, v0
	v_mul_f32_e32 v0, 0x4f7ffffe, v0
	v_cvt_u32_f32_e32 v0, v0
	v_readfirstlane_b32 s21, v0
	s_mul_i32 s3, s3, s21
	s_mul_hi_u32 s3, s21, s3
	s_add_i32 s21, s21, s3
	s_cmp_lt_i32 s1, 0
	s_mul_hi_u32 s3, s7, s21
	s_cbranch_scc0 .LBB134_6
; %bb.5:
	s_mul_i32 s15, s16, s28
	s_add_i32 s15, s2, s15
	s_mul_i32 s15, s15, s1
	s_sub_i32 s31, 1, s15
	s_mov_b32 s15, 0
.LBB134_6:
	s_load_dwordx2 s[22:23], s[4:5], 0x28
	s_ashr_i32 s11, s11, 31
	s_andn2_b32 vcc_lo, exec_lo, s15
	s_ashr_i32 s19, s19, 31
	s_cbranch_vccnz .LBB134_8
; %bb.7:
	s_mul_i32 s15, s9, s16
	s_add_i32 s6, s15, s6
	s_mul_i32 s1, s6, s1
	s_add_i32 s31, s1, 1
.LBB134_8:
	s_mul_i32 s6, s3, s12
	s_xor_b32 s15, s11, s19
	s_sub_i32 s28, s7, s6
	s_clause 0x2
	s_load_dwordx2 s[6:7], s[4:5], 0x0
	s_load_dwordx2 s[26:27], s[4:5], 0x18
	s_load_dword s11, s[4:5], 0x88
	buffer_load_dword v0, off, s[40:43], 0 offset:16 ; 4-byte Folded Reload
	s_load_dword s1, s[4:5], 0x38
	s_add_i32 s16, s3, 1
	v_mov_b32_e32 v3, 0xff7fffff
	s_mul_i32 s14, s2, s14
	s_waitcnt lgkmcnt(0)
	s_mul_i32 s24, s1, s10
	s_sub_i32 s1, s28, s12
	s_ashr_i32 s25, s24, 31
	s_cmp_ge_u32 s28, s12
	s_cselect_b32 s3, s16, s3
	s_cselect_b32 s1, s1, s28
	s_add_i32 s16, s3, 1
	s_cmp_ge_u32 s1, s12
	s_cselect_b32 s1, s16, s3
	s_add_i32 s3, s30, 15
	s_ashr_i32 s16, s3, 31
	s_lshr_b32 s16, s16, 28
	s_add_i32 s3, s3, s16
	s_ashr_i32 s16, s3, 4
	s_xor_b32 s3, s1, s15
	s_sub_i32 s28, s3, s15
	s_waitcnt vmcnt(0)
	v_lshrrev_b32_e32 v1, 5, v0
	v_lshrrev_b32_e32 v13, 3, v0
	v_lshlrev_b32_e32 v113, 4, v1
	v_cmp_gt_i32_e64 s1, s16, v1
	buffer_store_dword v1, off, s[40:43], 0 offset:52 ; 4-byte Folded Spill
	s_and_saveexec_b32 s34, s1
	s_cbranch_execz .LBB134_20
; %bb.9:
	s_clause 0x2
	buffer_load_dword v1, off, s[40:43], 0 offset:16
	buffer_load_dword v2, off, s[40:43], 0 offset:56
	;; [unrolled: 1-line block ×3, first 2 shown]
	s_load_dwordx2 s[2:3], s[4:5], 0x10
	s_ashr_i32 s15, s14, 31
	s_sub_i32 s5, s28, s17
	s_lshl_b64 s[36:37], s[14:15], 1
	v_mbcnt_lo_u32_b32 v4, -1, 0
	v_mov_b32_e32 v5, 0xff7fffff
	buffer_store_dword v12, off, s[40:43], 0 offset:60 ; 4-byte Folded Spill
	buffer_store_dword v13, off, s[40:43], 0 offset:64 ; 4-byte Folded Spill
	;; [unrolled: 1-line block ×3, first 2 shown]
	v_xor_b32_e32 v4, 1, v4
	buffer_store_dword v5, off, s[40:43], 0 offset:20 ; 4-byte Folded Spill
	buffer_store_dword v4, off, s[40:43], 0 offset:40 ; 4-byte Folded Spill
	s_waitcnt lgkmcnt(0)
	s_add_u32 s4, s2, s36
	s_addc_u32 s3, s3, s37
	s_abs_i32 s15, s18
	s_lshl_b64 s[36:37], s[24:25], 2
	v_cvt_f32_u32_e32 v0, s15
	s_sub_i32 s35, 0, s15
	v_cmp_neq_f32_e64 s2, s33, 0
	v_rcp_iflag_f32_e32 v0, v0
	v_mul_f32_e32 v0, 0x4f7ffffe, v0
	v_cvt_u32_f32_e32 v0, v0
	s_waitcnt vmcnt(2)
	v_bfe_u32 v6, v1, 1, 4
	s_waitcnt vmcnt(1)
	v_cmp_eq_u32_e32 vcc_lo, 0, v2
	v_lshlrev_b32_e32 v2, 8, v2
	v_and_b32_e32 v1, 8, v12
	s_waitcnt vmcnt(0)
	v_lshlrev_b32_e32 v105, 4, v112
	v_lshlrev_b32_e32 v3, 2, v6
	v_subrev_nc_u32_e32 v4, s30, v6
	v_lshlrev_b32_e32 v5, 4, v6
	buffer_store_dword v2, off, s[40:43], 0 offset:28 ; 4-byte Folded Spill
	v_and_b32_e32 v2, 0x7c, v13
	v_lshl_or_b32 v3, v112, 6, v3
	v_add_nc_u32_e32 v4, 1, v4
	buffer_store_dword v6, off, s[40:43], 0 offset:44 ; 4-byte Folded Spill
	v_add_nc_u32_e32 v37, 0x220, v3
	v_mul_lo_u32 v3, s35, v0
	buffer_store_dword v4, off, s[40:43], 0 offset:48 ; 4-byte Folded Spill
	v_add_co_u32 v4, s4, s4, v5
	v_add_co_ci_u32_e64 v5, null, s3, 0, s4
	s_add_u32 s3, s22, s36
	s_addc_u32 s4, s23, s37
	v_mul_hi_u32 v3, v0, v3
	v_add_co_u32 v29, s3, s3, v2
	v_add_co_ci_u32_e64 v30, null, s4, 0, s3
	v_add_co_u32 v1, s3, v4, v1
	s_mov_b32 s35, 0
	v_add_nc_u32_e32 v38, v0, v3
	s_mov_b32 s36, s13
	buffer_store_dword v1, off, s[40:43], 0 offset:32 ; 4-byte Folded Spill
	v_add_co_ci_u32_e64 v1, null, 0, v5, s3
	buffer_store_dword v1, off, s[40:43], 0 offset:36 ; 4-byte Folded Spill
	s_branch .LBB134_12
.LBB134_10:                             ;   in Loop: Header=BB134_12 Depth=1
	s_or_b32 exec_lo, exec_lo, s37
	buffer_load_dword v113, off, s[40:43], 0 offset:24 ; 4-byte Folded Reload
.LBB134_11:                             ;   in Loop: Header=BB134_12 Depth=1
	s_or_b32 exec_lo, exec_lo, s4
	v_add_nc_u32_e32 v112, 4, v112
	v_add_co_u32 v29, s4, v29, 16
	v_add_co_ci_u32_e64 v30, null, 0, v30, s4
	v_cmp_le_i32_e64 s3, s16, v112
	v_add_nc_u32_e32 v105, 64, v105
	v_add_nc_u32_e32 v37, 0x100, v37
	s_or_b32 s35, s3, s35
	s_andn2_b32 exec_lo, exec_lo, s35
	s_cbranch_execz .LBB134_19
.LBB134_12:                             ; =>This Inner Loop Header: Depth=1
	v_mul_hi_u32 v0, v105, s21
	s_waitcnt lgkmcnt(0)
	v_mul_lo_u32 v1, v0, s12
	v_add_nc_u32_e32 v2, 1, v0
	v_sub_nc_u32_e32 v1, v105, v1
	v_subrev_nc_u32_e32 v3, s12, v1
	v_cmp_le_u32_e64 s3, s12, v1
	v_cndmask_b32_e64 v0, v0, v2, s3
	v_cndmask_b32_e64 v1, v1, v3, s3
	v_add_nc_u32_e32 v2, 1, v0
	v_cmp_le_u32_e64 s3, s12, v1
	v_cndmask_b32_e64 v0, v0, v2, s3
	v_xor_b32_e32 v0, s19, v0
	v_subrev_nc_u32_e32 v0, s19, v0
	v_add_nc_u32_e32 v1, s31, v0
	v_cmp_ge_i32_e64 s4, s5, v0
	v_sub_nc_u32_e32 v2, 0, v1
	v_max_i32_e32 v2, v1, v2
	v_ashrrev_i32_e32 v1, 31, v1
	v_mul_hi_u32 v3, v2, v38
	v_mul_lo_u32 v3, v3, s15
	v_sub_nc_u32_e32 v2, v2, v3
	v_subrev_nc_u32_e32 v3, s15, v2
	v_cmp_le_u32_e64 s3, s15, v2
	v_cndmask_b32_e64 v2, v2, v3, s3
	v_subrev_nc_u32_e32 v3, s15, v2
	v_cmp_le_u32_e64 s3, s15, v2
	v_cndmask_b32_e64 v2, v2, v3, s3
	v_xor_b32_e32 v2, v2, v1
	v_sub_nc_u32_e32 v1, v2, v1
	v_cmp_ne_u32_e64 s3, 0, v1
	s_and_b32 s3, s3, s4
	s_and_saveexec_b32 s4, s3
	s_xor_b32 s3, exec_lo, s4
	s_cbranch_execz .LBB134_16
; %bb.13:                               ;   in Loop: Header=BB134_12 Depth=1
	s_and_saveexec_b32 s4, vcc_lo
; %bb.14:                               ;   in Loop: Header=BB134_12 Depth=1
	v_mov_b32_e32 v0, 0xff7fffff
	ds_write_b32 v37, v0
; %bb.15:                               ;   in Loop: Header=BB134_12 Depth=1
	s_or_b32 exec_lo, exec_lo, s4
.LBB134_16:                             ;   in Loop: Header=BB134_12 Depth=1
	s_andn2_saveexec_b32 s4, s3
	s_cbranch_execz .LBB134_11
; %bb.17:                               ;   in Loop: Header=BB134_12 Depth=1
	global_load_dword v0, v[29:30], off
	s_clause 0x1
	buffer_load_dword v2, off, s[40:43], 0 offset:32
	buffer_load_dword v108, off, s[40:43], 0 offset:28
	v_mbcnt_lo_u32_b32 v33, -1, 0
	s_waitcnt vmcnt(2)
	v_mad_i64_i32 v[0:1], null, v0, s36, 0
	v_lshlrev_b64 v[0:1], 1, v[0:1]
	s_waitcnt vmcnt(1)
	v_add_co_u32 v31, s3, v2, v0
	buffer_load_dword v0, off, s[40:43], 0 offset:36 ; 4-byte Folded Reload
	s_waitcnt vmcnt(1)
	ds_read_b128 v[25:28], v108
	ds_read_b128 v[21:24], v108 offset:16
	ds_read_b128 v[17:20], v108 offset:32
	;; [unrolled: 1-line block ×3, first 2 shown]
	buffer_load_dword v34, off, s[40:43], 0 offset:40 ; 4-byte Folded Reload
	ds_read_b128 v[13:16], v108 offset:64
	ds_read_b128 v[5:8], v108 offset:80
	s_waitcnt lgkmcnt(5)
	v_lshlrev_b32_e32 v110, 16, v27
	v_and_b32_e32 v27, 0xffff0000, v27
	v_lshlrev_b32_e32 v109, 16, v25
	s_waitcnt lgkmcnt(2)
	v_lshlrev_b32_e32 v126, 16, v9
	v_and_b32_e32 v102, 0xffff0000, v9
	v_and_b32_e32 v25, 0xffff0000, v25
	s_waitcnt lgkmcnt(0)
	v_lshlrev_b32_e32 v115, 16, v8
	v_and_b32_e32 v98, 0xffff0000, v8
	v_lshlrev_b32_e32 v118, 16, v5
	v_lshlrev_b32_e32 v117, 16, v6
	;; [unrolled: 1-line block ×3, first 2 shown]
	v_and_b32_e32 v111, 0xffff0000, v5
	v_and_b32_e32 v5, 0xffff0000, v6
	;; [unrolled: 1-line block ×3, first 2 shown]
	v_lshlrev_b32_e32 v106, 16, v26
	v_lshlrev_b32_e32 v107, 16, v21
	v_and_b32_e32 v26, 0xffff0000, v26
	v_and_b32_e32 v21, 0xffff0000, v21
	v_lshlrev_b32_e32 v103, 16, v22
	v_and_b32_e32 v22, 0xffff0000, v22
	v_lshlrev_b32_e32 v97, 16, v23
	;; [unrolled: 2-line block ×14, first 2 shown]
	v_and_b32_e32 v16, 0xffff0000, v16
	s_waitcnt vmcnt(1)
	v_add_co_ci_u32_e64 v32, null, v0, v1, s3
	s_waitcnt vmcnt(0)
	v_cmp_gt_i32_e64 s3, 32, v34
	ds_read_b128 v[1:4], v108 offset:96
	s_clause 0x7
	global_load_dwordx2 v[93:94], v[31:32], off
	global_load_dwordx2 v[91:92], v[31:32], off offset:256
	global_load_dwordx2 v[89:90], v[31:32], off offset:512
	global_load_dwordx2 v[87:88], v[31:32], off offset:768
	global_load_dwordx2 v[85:86], v[31:32], off offset:1024
	global_load_dwordx2 v[83:84], v[31:32], off offset:1280
	global_load_dwordx2 v[81:82], v[31:32], off offset:1536
	global_load_dwordx2 v[79:80], v[31:32], off offset:1792
	v_lshlrev_b32_e32 v0, 16, v28
	v_cndmask_b32_e64 v101, v33, v34, s3
	v_add_co_u32 v33, s3, 0x800, v31
	v_add_co_ci_u32_e64 v34, null, 0, v32, s3
	v_add_co_u32 v35, s3, v31, 0x1000
	v_add_co_ci_u32_e64 v36, null, 0, v32, s3
	s_clause 0x7
	global_load_dwordx2 v[77:78], v[35:36], off offset:-2048
	global_load_dwordx2 v[75:76], v[33:34], off offset:256
	global_load_dwordx2 v[73:74], v[33:34], off offset:512
	;; [unrolled: 1-line block ×7, first 2 shown]
	v_add_co_u32 v33, s3, 0x1000, v31
	v_add_co_ci_u32_e64 v34, null, 0, v32, s3
	v_add_co_u32 v31, s3, 0x1800, v31
	v_add_co_ci_u32_e64 v32, null, 0, v32, s3
	s_clause 0xd
	global_load_dwordx2 v[61:62], v[35:36], off
	global_load_dwordx2 v[59:60], v[33:34], off offset:256
	global_load_dwordx2 v[57:58], v[33:34], off offset:512
	;; [unrolled: 1-line block ×7, first 2 shown]
	global_load_dwordx2 v[45:46], v[31:32], off
	global_load_dwordx2 v[43:44], v[31:32], off offset:256
	global_load_dwordx2 v[41:42], v[31:32], off offset:512
	;; [unrolled: 1-line block ×5, first 2 shown]
	v_and_b32_e32 v28, 0xffff0000, v28
	s_waitcnt lgkmcnt(0)
	v_lshlrev_b32_e32 v114, 16, v1
	v_and_b32_e32 v1, 0xffff0000, v1
	v_lshlrev_b32_e32 v113, 16, v2
	v_and_b32_e32 v2, 0xffff0000, v2
	v_lshlrev_b32_e32 v101, 2, v101
	s_waitcnt vmcnt(0)
	buffer_store_dword v35, off, s[40:43], 0 offset:8 ; 4-byte Folded Spill
	buffer_store_dword v36, off, s[40:43], 0 offset:12 ; 4-byte Folded Spill
	global_load_dwordx2 v[35:36], v[31:32], off offset:1536
	v_lshlrev_b32_e32 v8, 16, v91
	v_and_b32_e32 v9, 0xffff0000, v91
	v_lshlrev_b32_e32 v6, 16, v93
	v_and_b32_e32 v7, 0xffff0000, v93
	v_lshlrev_b32_e32 v93, 16, v94
	v_mul_f32_e32 v8, v110, v8
	v_mul_f32_e32 v9, v27, v9
	v_and_b32_e32 v94, 0xffff0000, v94
	s_waitcnt vmcnt(0)
	buffer_store_dword v35, off, s[40:43], 0 ; 4-byte Folded Spill
	buffer_store_dword v36, off, s[40:43], 0 offset:4 ; 4-byte Folded Spill
	v_fmac_f32_e32 v8, v109, v6
	v_fmac_f32_e32 v9, v25, v7
	v_lshlrev_b32_e32 v6, 16, v92
	v_and_b32_e32 v25, 0xffff0000, v92
	global_load_dwordx2 v[31:32], v[31:32], off offset:1792
	v_mul_f32_e32 v7, v0, v6
	v_mul_f32_e32 v6, v28, v25
	v_lshlrev_b32_e32 v0, 16, v89
	v_and_b32_e32 v25, 0xffff0000, v89
	v_fmac_f32_e32 v7, v106, v93
	v_fmac_f32_e32 v6, v26, v94
	;; [unrolled: 1-line block ×4, first 2 shown]
	v_lshlrev_b32_e32 v0, 16, v90
	v_and_b32_e32 v21, 0xffff0000, v90
	v_fmac_f32_e32 v7, v103, v0
	v_fmac_f32_e32 v6, v22, v21
	v_lshlrev_b32_e32 v0, 16, v87
	v_and_b32_e32 v21, 0xffff0000, v87
	v_fmac_f32_e32 v8, v97, v0
	v_fmac_f32_e32 v9, v23, v21
	;; [unrolled: 4-line block ×17, first 2 shown]
	v_lshlrev_b32_e32 v0, 16, v71
	v_and_b32_e32 v5, 0xffff0000, v71
	v_and_b32_e32 v10, 0xffff0000, v65
	v_fmac_f32_e32 v8, v116, v0
	v_fmac_f32_e32 v9, v104, v5
	v_lshlrev_b32_e32 v0, 16, v72
	v_and_b32_e32 v5, 0xffff0000, v72
	v_fmac_f32_e32 v7, v115, v0
	v_fmac_f32_e32 v6, v98, v5
	v_lshlrev_b32_e32 v0, 16, v69
	;; [unrolled: 4-line block ×3, first 2 shown]
	v_and_b32_e32 v1, 0xffff0000, v70
	v_lshlrev_b32_e32 v5, 16, v65
	v_fmac_f32_e32 v7, v113, v0
	v_fmac_f32_e32 v6, v2, v1
	v_lshlrev_b32_e32 v0, 16, v3
	v_and_b32_e32 v1, 0xffff0000, v3
	v_lshlrev_b32_e32 v2, 16, v67
	v_and_b32_e32 v3, 0xffff0000, v67
	v_fmac_f32_e32 v8, v2, v0
	v_fmac_f32_e32 v9, v3, v1
	v_lshlrev_b32_e32 v0, 16, v4
	v_and_b32_e32 v1, 0xffff0000, v4
	v_lshlrev_b32_e32 v2, 16, v68
	v_and_b32_e32 v3, 0xffff0000, v68
	v_fmac_f32_e32 v7, v2, v0
	v_fmac_f32_e32 v6, v3, v1
	ds_read_b128 v[0:3], v108 offset:112
	s_waitcnt lgkmcnt(0)
	v_lshlrev_b32_e32 v4, 16, v0
	v_and_b32_e32 v0, 0xffff0000, v0
	v_fmac_f32_e32 v8, v5, v4
	v_fmac_f32_e32 v9, v10, v0
	v_lshlrev_b32_e32 v0, 16, v1
	v_and_b32_e32 v1, 0xffff0000, v1
	v_lshlrev_b32_e32 v4, 16, v66
	v_and_b32_e32 v5, 0xffff0000, v66
	v_and_b32_e32 v10, 0xffff0000, v61
	v_fmac_f32_e32 v7, v4, v0
	v_fmac_f32_e32 v6, v5, v1
	v_lshlrev_b32_e32 v0, 16, v2
	v_and_b32_e32 v1, 0xffff0000, v2
	v_lshlrev_b32_e32 v2, 16, v63
	v_and_b32_e32 v4, 0xffff0000, v63
	v_lshlrev_b32_e32 v5, 16, v61
	v_fmac_f32_e32 v8, v2, v0
	v_fmac_f32_e32 v9, v4, v1
	v_lshlrev_b32_e32 v0, 16, v3
	v_and_b32_e32 v1, 0xffff0000, v3
	v_lshlrev_b32_e32 v2, 16, v64
	v_and_b32_e32 v3, 0xffff0000, v64
	v_fmac_f32_e32 v7, v2, v0
	v_fmac_f32_e32 v6, v3, v1
	ds_read_b128 v[0:3], v108 offset:128
	s_waitcnt lgkmcnt(0)
	v_lshlrev_b32_e32 v4, 16, v0
	v_and_b32_e32 v0, 0xffff0000, v0
	v_fmac_f32_e32 v8, v5, v4
	v_fmac_f32_e32 v9, v10, v0
	v_lshlrev_b32_e32 v0, 16, v1
	v_and_b32_e32 v1, 0xffff0000, v1
	v_lshlrev_b32_e32 v4, 16, v62
	v_and_b32_e32 v5, 0xffff0000, v62
	v_and_b32_e32 v10, 0xffff0000, v57
	v_fmac_f32_e32 v7, v4, v0
	v_fmac_f32_e32 v6, v5, v1
	v_lshlrev_b32_e32 v0, 16, v2
	v_and_b32_e32 v1, 0xffff0000, v2
	v_lshlrev_b32_e32 v2, 16, v59
	v_and_b32_e32 v4, 0xffff0000, v59
	v_lshlrev_b32_e32 v5, 16, v57
	;; [unrolled: 26-line block ×7, first 2 shown]
	v_fmac_f32_e32 v8, v2, v0
	v_fmac_f32_e32 v9, v4, v1
	v_lshlrev_b32_e32 v0, 16, v3
	v_and_b32_e32 v1, 0xffff0000, v3
	v_lshlrev_b32_e32 v2, 16, v40
	v_and_b32_e32 v3, 0xffff0000, v40
	v_fmac_f32_e32 v7, v2, v0
	v_fmac_f32_e32 v6, v3, v1
	ds_read_b128 v[0:3], v108 offset:224
	s_waitcnt lgkmcnt(0)
	v_lshlrev_b32_e32 v4, 16, v0
	v_and_b32_e32 v0, 0xffff0000, v0
	v_fmac_f32_e32 v8, v5, v4
	v_fmac_f32_e32 v9, v10, v0
	v_lshlrev_b32_e32 v0, 16, v1
	v_and_b32_e32 v1, 0xffff0000, v1
	v_lshlrev_b32_e32 v4, 16, v34
	v_and_b32_e32 v5, 0xffff0000, v34
	v_fmac_f32_e32 v7, v4, v0
	v_fmac_f32_e32 v6, v5, v1
	s_clause 0x1
	buffer_load_dword v4, off, s[40:43], 0 offset:8
	buffer_load_dword v5, off, s[40:43], 0 offset:12
	v_lshlrev_b32_e32 v0, 16, v2
	v_and_b32_e32 v1, 0xffff0000, v2
	s_waitcnt vmcnt(1)
	v_lshlrev_b32_e32 v2, 16, v4
	v_and_b32_e32 v4, 0xffff0000, v4
	v_fmac_f32_e32 v8, v2, v0
	v_fmac_f32_e32 v9, v4, v1
	v_lshlrev_b32_e32 v0, 16, v3
	v_and_b32_e32 v1, 0xffff0000, v3
	s_waitcnt vmcnt(0)
	v_lshlrev_b32_e32 v2, 16, v5
	v_and_b32_e32 v3, 0xffff0000, v5
	v_fmac_f32_e32 v7, v2, v0
	v_fmac_f32_e32 v6, v3, v1
	ds_read_b128 v[1:4], v108 offset:240
	s_clause 0x1
	buffer_load_dword v10, off, s[40:43], 0
	buffer_load_dword v11, off, s[40:43], 0 offset:4
	s_waitcnt lgkmcnt(0)
	v_lshlrev_b32_e32 v0, 16, v1
	v_and_b32_e32 v1, 0xffff0000, v1
	s_waitcnt vmcnt(1)
	v_lshlrev_b32_e32 v5, 16, v10
	v_and_b32_e32 v10, 0xffff0000, v10
	v_fmac_f32_e32 v8, v5, v0
	v_fmac_f32_e32 v9, v10, v1
	v_lshlrev_b32_e32 v0, 16, v2
	v_and_b32_e32 v1, 0xffff0000, v2
	s_waitcnt vmcnt(0)
	v_lshlrev_b32_e32 v2, 16, v11
	v_and_b32_e32 v5, 0xffff0000, v11
	v_fmac_f32_e32 v7, v2, v0
	v_fmac_f32_e32 v6, v5, v1
	v_lshlrev_b32_e32 v0, 16, v3
	v_and_b32_e32 v1, 0xffff0000, v3
	v_lshlrev_b32_e32 v2, 16, v31
	v_and_b32_e32 v3, 0xffff0000, v31
	v_fmac_f32_e32 v8, v2, v0
	v_fmac_f32_e32 v9, v3, v1
	v_lshlrev_b32_e32 v0, 16, v4
	v_lshlrev_b32_e32 v2, 16, v32
	v_and_b32_e32 v1, 0xffff0000, v4
	v_and_b32_e32 v3, 0xffff0000, v32
	v_fmac_f32_e32 v7, v2, v0
	v_add_f32_e32 v0, v8, v9
	v_fmac_f32_e32 v6, v3, v1
	v_add_f32_e32 v0, v0, v7
	v_add_f32_e32 v0, v6, v0
	ds_bpermute_b32 v1, v101, v0
	s_and_saveexec_b32 s37, vcc_lo
	s_cbranch_execz .LBB134_10
; %bb.18:                               ;   in Loop: Header=BB134_12 Depth=1
	buffer_load_dword v2, off, s[40:43], 0 offset:48 ; 4-byte Folded Reload
	s_waitcnt lgkmcnt(0)
	v_add_f32_e32 v0, v0, v1
	buffer_load_dword v3, off, s[40:43], 0 offset:20 ; 4-byte Folded Reload
	s_waitcnt vmcnt(1)
	v_add_nc_u32_e32 v2, v2, v105
	v_cvt_f32_i32_e32 v2, v2
	v_mul_f32_e32 v2, s33, v2
	v_cndmask_b32_e64 v1, 0, v2, s2
	v_fmac_f32_e32 v1, s29, v0
	buffer_load_dword v0, off, s[40:43], 0 offset:44 ; 4-byte Folded Reload
	s_waitcnt vmcnt(1)
	v_max_f32_e32 v2, v3, v3
	v_max_f32_e32 v2, v2, v1
	s_waitcnt vmcnt(0)
	v_add_nc_u32_e32 v0, v0, v105
	v_cmp_gt_i32_e64 s3, s30, v0
	v_cndmask_b32_e64 v0, 0, v1, s3
	v_cndmask_b32_e64 v3, v3, v2, s3
	ds_write_b32 v37, v0
	buffer_store_dword v3, off, s[40:43], 0 offset:20 ; 4-byte Folded Spill
	s_branch .LBB134_10
.LBB134_19:
	s_or_b32 exec_lo, exec_lo, s35
	s_clause 0x3
	buffer_load_dword v0, off, s[40:43], 0 offset:16
	buffer_load_dword v12, off, s[40:43], 0 offset:60
	buffer_load_dword v13, off, s[40:43], 0 offset:64
	buffer_load_dword v3, off, s[40:43], 0 offset:20
	s_waitcnt vmcnt(3)
	v_lshrrev_b32_e32 v112, 1, v0
.LBB134_20:
	s_or_b32 exec_lo, exec_lo, s34
	v_mbcnt_lo_u32_b32 v6, -1, 0
	s_waitcnt vmcnt(0)
	v_max_f32_e32 v4, v3, v3
	v_xor_b32_e32 v0, 16, v6
	v_xor_b32_e32 v2, 8, v6
	;; [unrolled: 1-line block ×3, first 2 shown]
	v_cmp_gt_i32_e32 vcc_lo, 32, v0
	v_cndmask_b32_e32 v0, v6, v0, vcc_lo
	v_cmp_gt_i32_e32 vcc_lo, 32, v2
	s_waitcnt lgkmcnt(0)
	v_lshlrev_b32_e32 v1, 2, v0
	v_cndmask_b32_e32 v2, v6, v2, vcc_lo
	ds_bpermute_b32 v0, v1, v3
	v_lshlrev_b32_e32 v3, 2, v2
	s_waitcnt lgkmcnt(0)
	v_max_f32_e32 v0, v0, v0
	v_max_f32_e32 v0, v4, v0
	v_xor_b32_e32 v4, 4, v6
	ds_bpermute_b32 v2, v3, v0
	v_cmp_gt_i32_e32 vcc_lo, 32, v4
	v_cndmask_b32_e32 v4, v6, v4, vcc_lo
	v_cmp_gt_i32_e32 vcc_lo, 32, v5
	v_lshlrev_b32_e32 v4, 2, v4
	v_cndmask_b32_e32 v5, v6, v5, vcc_lo
	s_waitcnt lgkmcnt(0)
	v_max_f32_e32 v2, v2, v2
	v_max_f32_e32 v0, v0, v2
	ds_bpermute_b32 v2, v4, v0
	s_waitcnt lgkmcnt(0)
	v_max_f32_e32 v2, v2, v2
	v_max_f32_e32 v2, v0, v2
	v_lshlrev_b32_e32 v0, 2, v5
	buffer_load_dword v5, off, s[40:43], 0 offset:16 ; 4-byte Folded Reload
	ds_bpermute_b32 v6, v0, v2
	s_waitcnt vmcnt(0)
	v_and_b32_e32 v75, 31, v5
	buffer_load_dword v5, off, s[40:43], 0 offset:52 ; 4-byte Folded Reload
	v_cmp_eq_u32_e32 vcc_lo, 0, v75
	s_waitcnt vmcnt(0)
	v_lshlrev_b32_e32 v5, 2, v5
	s_and_saveexec_b32 s2, vcc_lo
	s_cbranch_execz .LBB134_22
; %bb.21:
	s_waitcnt lgkmcnt(0)
	v_max_f32_e32 v6, v6, v6
	v_max_f32_e32 v2, v2, v2
	v_max_f32_e32 v2, v2, v6
	ds_write_b32 v5, v2 offset:512
.LBB134_22:
	s_or_b32 exec_lo, exec_lo, s2
	v_cmp_gt_u32_e64 s2, 4, v75
	v_mov_b32_e32 v2, 0xff7fffff
	s_waitcnt lgkmcnt(0)
	v_lshlrev_b32_e32 v6, 2, v75
	s_waitcnt_vscnt null, 0x0
	s_barrier
	buffer_gl0_inv
	s_and_saveexec_b32 s3, s2
; %bb.23:
	ds_read_b32 v2, v6 offset:512
; %bb.24:
	s_or_b32 exec_lo, exec_lo, s3
	s_waitcnt lgkmcnt(0)
	ds_bpermute_b32 v7, v0, v2
	v_mbcnt_lo_u32_b32 v9, -1, 0
	v_max_f32_e32 v2, v2, v2
	v_xor_b32_e32 v8, 1, v9
	v_cmp_gt_i32_e64 s3, 32, v8
	v_cndmask_b32_e64 v8, v9, v8, s3
	s_lshl_b32 s3, s16, 4
	s_min_i32 s5, s3, s30
	s_waitcnt lgkmcnt(0)
	v_max_f32_e32 v7, v7, v7
	v_lshlrev_b32_e32 v76, 2, v8
	v_max_f32_e32 v2, v2, v7
	ds_bpermute_b32 v7, v76, v2
	s_waitcnt lgkmcnt(0)
	v_max_f32_e32 v7, v7, v7
	v_max_f32_e32 v2, v2, v7
	v_mov_b32_e32 v7, 0
	ds_bpermute_b32 v8, v7, v2
	buffer_load_dword v2, off, s[40:43], 0 offset:16 ; 4-byte Folded Reload
	s_waitcnt vmcnt(0)
	v_cmp_gt_i32_e64 s3, s5, v2
	v_lshl_add_u32 v2, v2, 2, 0x220
	s_and_saveexec_b32 s15, s3
	s_cbranch_execz .LBB134_28
; %bb.25:
	buffer_load_dword v10, off, s[40:43], 0 offset:16 ; 4-byte Folded Reload
	v_mov_b32_e32 v7, 0
	s_mov_b32 s29, 0
	s_waitcnt vmcnt(0)
	v_lshl_add_u32 v9, v10, 2, 0x220
	.p2align	6
.LBB134_26:                             ; =>This Inner Loop Header: Depth=1
	ds_read_b32 v11, v9
	v_add_nc_u32_e32 v10, 0x80, v10
	v_cmp_le_i32_e64 s4, s5, v10
	s_or_b32 s29, s4, s29
	s_waitcnt lgkmcnt(0)
	v_sub_f32_e32 v11, v11, v8
	v_mul_f32_e32 v11, 0x3fb8aa3b, v11
	v_exp_f32_e32 v11, v11
	ds_write_b32 v9, v11
	v_add_f32_e32 v7, v7, v11
	v_add_nc_u32_e32 v9, 0x200, v9
	s_andn2_b32 exec_lo, exec_lo, s29
	s_cbranch_execnz .LBB134_26
; %bb.27:
	s_or_b32 exec_lo, exec_lo, s29
.LBB134_28:
	s_or_b32 exec_lo, exec_lo, s15
	ds_bpermute_b32 v1, v1, v7
	s_waitcnt lgkmcnt(0)
	v_add_f32_e32 v1, v7, v1
	ds_bpermute_b32 v3, v3, v1
	s_waitcnt lgkmcnt(0)
	v_add_f32_e32 v1, v1, v3
	ds_bpermute_b32 v3, v4, v1
	s_waitcnt lgkmcnt(0)
	v_add_f32_e32 v1, v1, v3
	ds_bpermute_b32 v3, v0, v1
	s_waitcnt lgkmcnt(0)
	v_add_f32_e32 v1, v1, v3
	ds_bpermute_b32 v3, v76, v1
	s_waitcnt lgkmcnt(0)
	v_add_f32_e32 v1, v1, v3
	s_and_saveexec_b32 s4, vcc_lo
; %bb.29:
	ds_write_b32 v5, v1 offset:528
; %bb.30:
	s_or_b32 exec_lo, exec_lo, s4
	s_waitcnt lgkmcnt(0)
	s_barrier
	buffer_gl0_inv
	s_and_saveexec_b32 s4, s2
; %bb.31:
	ds_read_b32 v1, v6 offset:528
; %bb.32:
	s_or_b32 exec_lo, exec_lo, s4
	s_waitcnt lgkmcnt(0)
	ds_bpermute_b32 v0, v0, v1
	s_waitcnt lgkmcnt(0)
	v_add_f32_e32 v0, v1, v0
	ds_bpermute_b32 v1, v76, v0
	s_waitcnt lgkmcnt(0)
	v_add_f32_e32 v0, v0, v1
	v_mov_b32_e32 v1, 0
	ds_bpermute_b32 v0, v1, v0
	s_and_saveexec_b32 s2, s3
	s_cbranch_execz .LBB134_35
; %bb.33:
	s_waitcnt lgkmcnt(0)
	v_add_f32_e32 v0, 0x358637bd, v0
	s_mov_b32 s3, 0
	v_div_scale_f32 v1, null, v0, v0, 1.0
	v_div_scale_f32 v5, vcc_lo, 1.0, v0, 1.0
	v_rcp_f32_e32 v3, v1
	v_fma_f32 v4, -v1, v3, 1.0
	v_fmac_f32_e32 v3, v4, v3
	v_mul_f32_e32 v4, v5, v3
	v_fma_f32 v6, -v1, v4, v5
	v_fmac_f32_e32 v4, v6, v3
	v_fma_f32 v1, -v1, v4, v5
	v_div_fmas_f32 v1, v1, v3, v4
	v_div_fixup_f32 v0, v1, v0, 1.0
	buffer_load_dword v1, off, s[40:43], 0 offset:16 ; 4-byte Folded Reload
.LBB134_34:                             ; =>This Inner Loop Header: Depth=1
	ds_read_b32 v3, v2
	s_waitcnt vmcnt(0)
	v_add_nc_u32_e32 v1, 0x80, v1
	v_cmp_le_i32_e32 vcc_lo, s5, v1
	s_or_b32 s3, vcc_lo, s3
	s_waitcnt lgkmcnt(0)
	v_mul_f32_e32 v3, v0, v3
	ds_write_b32 v2, v3
	v_add_nc_u32_e32 v2, 0x200, v2
	s_andn2_b32 exec_lo, exec_lo, s3
	s_cbranch_execnz .LBB134_34
.LBB134_35:
	s_or_b32 exec_lo, exec_lo, s2
	v_mov_b32_e32 v92, 0
	v_mov_b32_e32 v91, 0
	;; [unrolled: 1-line block ×16, first 2 shown]
	s_waitcnt lgkmcnt(0)
	s_barrier
	buffer_gl0_inv
	s_and_saveexec_b32 s4, s1
	s_cbranch_execz .LBB134_73
; %bb.36:
	s_clause 0x2
	buffer_load_dword v1, off, s[40:43], 0 offset:16
	buffer_load_dword v3, off, s[40:43], 0 offset:56
	;; [unrolled: 1-line block ×3, first 2 shown]
	s_ashr_i32 s15, s14, 31
	s_sub_i32 s5, s28, s17
	s_lshl_b64 s[2:3], s[14:15], 1
	v_and_b32_e32 v2, 0x7c, v13
	s_add_u32 s1, s26, s2
	s_addc_u32 s17, s27, s3
	s_abs_i32 s14, s18
	s_add_i32 s15, s16, -1
	v_cvt_f32_u32_e32 v0, s14
	s_sub_i32 s2, 0, s14
	v_and_b32_e32 v93, 8, v12
	v_mov_b32_e32 v94, 0
	v_mov_b32_e32 v77, 0
	v_rcp_iflag_f32_e32 v0, v0
	v_mov_b32_e32 v78, 0
	v_mov_b32_e32 v79, 0
	;; [unrolled: 1-line block ×9, first 2 shown]
	v_mul_f32_e32 v0, 0x4f7ffffe, v0
	v_mov_b32_e32 v87, 0
	v_mov_b32_e32 v88, 0
	;; [unrolled: 1-line block ×4, first 2 shown]
	v_cvt_u32_f32_e32 v0, v0
	v_mov_b32_e32 v91, 0
	v_mov_b32_e32 v92, 0
	s_mov_b32 s18, s30
	v_mul_lo_u32 v4, s2, v0
	s_lshl_b64 s[2:3], s[24:25], 2
	s_add_u32 s2, s22, s2
	s_addc_u32 s3, s23, s3
	v_mul_hi_u32 v4, v0, v4
	v_add_nc_u32_e32 v102, v0, v4
	s_waitcnt vmcnt(2)
	v_lshlrev_b32_e32 v1, 4, v1
	s_waitcnt vmcnt(1)
	v_lshlrev_b32_e32 v3, 5, v3
	v_and_b32_e32 v1, 0x1f0, v1
	s_waitcnt vmcnt(0)
	v_lshl_or_b32 v3, v103, 6, v3
	v_add_co_u32 v99, s1, s1, v1
	v_add_co_ci_u32_e64 v100, null, s17, 0, s1
	v_add_co_u32 v73, s1, s2, v2
	v_add_nc_u32_e32 v101, 0x220, v3
	v_add_co_ci_u32_e64 v74, null, s3, 0, s1
	s_mov_b32 s17, 0
	s_branch .LBB134_39
.LBB134_37:                             ;   in Loop: Header=BB134_39 Depth=1
	s_or_b32 exec_lo, exec_lo, s3
	s_waitcnt lgkmcnt(1)
	v_bfe_u32 v0, v49, 16, 1
	v_or_b32_e32 v95, 0x400000, v49
	v_bfe_u32 v96, v50, 16, 1
	v_cmp_u_f32_e32 vcc_lo, v49, v49
	v_bfe_u32 v97, v51, 16, 1
	v_add3_u32 v0, v0, v49, 0x7fff
	v_or_b32_e32 v98, 0x400000, v50
	v_add3_u32 v96, v96, v50, 0x7fff
	v_or_b32_e32 v104, 0x400000, v51
	v_add3_u32 v97, v97, v51, 0x7fff
	v_cndmask_b32_e32 v0, v0, v95, vcc_lo
	v_cmp_u_f32_e32 vcc_lo, v50, v50
	v_bfe_u32 v49, v52, 16, 1
	s_waitcnt lgkmcnt(0)
	v_bfe_u32 v95, v45, 16, 1
	v_cndmask_b32_e32 v50, v96, v98, vcc_lo
	v_cmp_u_f32_e32 vcc_lo, v51, v51
	v_add3_u32 v49, v49, v52, 0x7fff
	v_or_b32_e32 v96, 0x400000, v52
	v_add3_u32 v95, v95, v45, 0x7fff
	v_bfe_u32 v98, v46, 16, 1
	v_cndmask_b32_e32 v51, v97, v104, vcc_lo
	v_cmp_u_f32_e32 vcc_lo, v52, v52
	v_or_b32_e32 v97, 0x400000, v45
	v_and_b32_e32 v51, 0xffff0000, v51
	v_cndmask_b32_e32 v52, v49, v96, vcc_lo
	v_cmp_u_f32_e32 vcc_lo, v45, v45
	v_add3_u32 v49, v98, v46, 0x7fff
	v_or_b32_e32 v96, 0x400000, v46
	v_and_b32_e32 v45, 0xffff0000, v50
	s_waitcnt vmcnt(1)
	v_and_b32_e32 v50, 0xffff0000, v69
	v_cndmask_b32_e32 v95, v95, v97, vcc_lo
	v_bfe_u32 v97, v47, 16, 1
	v_cmp_u_f32_e32 vcc_lo, v46, v46
	v_bfe_u32 v98, v48, 16, 1
	v_mul_f32_e32 v50, v45, v50
	v_add3_u32 v46, v97, v47, 0x7fff
	v_cndmask_b32_e32 v96, v49, v96, vcc_lo
	v_or_b32_e32 v97, 0x400000, v47
	v_and_b32_e32 v49, 0xffff0000, v0
	v_lshlrev_b32_e32 v0, 16, v69
	v_cmp_u_f32_e32 vcc_lo, v47, v47
	v_add3_u32 v47, v98, v48, 0x7fff
	v_bfe_u32 v98, v50, 16, 1
	v_mul_f32_e32 v0, v49, v0
	v_cndmask_b32_e32 v69, v46, v97, vcc_lo
	v_or_b32_e32 v97, 0x400000, v48
	v_and_b32_e32 v46, 0xffff0000, v52
	v_and_b32_e32 v52, 0xffff0000, v70
	v_cmp_u_f32_e32 vcc_lo, v48, v48
	v_mul_f32_e32 v104, v46, v52
	v_cndmask_b32_e32 v48, v47, v97, vcc_lo
	v_add3_u32 v47, v98, v50, 0x7fff
	v_or_b32_e32 v97, 0x400000, v50
	v_bfe_u32 v98, v0, 16, 1
	v_lshlrev_b32_e32 v52, 16, v70
	v_cmp_u_f32_e32 vcc_lo, v50, v50
	v_and_b32_e32 v48, 0xffff0000, v48
	v_add3_u32 v50, v98, v0, 0x7fff
	v_bfe_u32 v98, v104, 16, 1
	v_cndmask_b32_e32 v70, v47, v97, vcc_lo
	v_or_b32_e32 v97, 0x400000, v0
	v_mul_f32_e32 v105, v51, v52
	v_cmp_u_f32_e32 vcc_lo, v0, v0
	v_and_b32_e32 v47, 0xffff0000, v96
	v_and_b32_e32 v52, 0xffff0000, v71
	v_or_b32_e32 v96, 0x400000, v104
	v_lshlrev_b32_e32 v71, 16, v71
	v_cndmask_b32_e32 v0, v50, v97, vcc_lo
	v_add3_u32 v50, v98, v104, 0x7fff
	v_bfe_u32 v97, v105, 16, 1
	v_cmp_u_f32_e32 vcc_lo, v104, v104
	v_mul_f32_e32 v98, v47, v52
	v_and_b32_e32 v52, 0xffff0000, v95
	v_and_b32_e32 v104, 0xffff0000, v72
	;; [unrolled: 1-line block ×3, first 2 shown]
	v_cndmask_b32_e32 v95, v50, v96, vcc_lo
	v_add3_u32 v50, v97, v105, 0x7fff
	v_or_b32_e32 v96, 0x400000, v105
	v_cmp_u_f32_e32 vcc_lo, v105, v105
	v_bfe_u32 v97, v98, 16, 1
	v_mul_f32_e32 v71, v52, v71
	v_mul_f32_e32 v104, v48, v104
	v_and_b32_e32 v70, 0xffff0000, v70
	v_cndmask_b32_e32 v96, v50, v96, vcc_lo
	v_and_b32_e32 v50, 0xffff0000, v69
	v_lshlrev_b32_e32 v69, 16, v72
	v_add3_u32 v97, v97, v98, 0x7fff
	v_bfe_u32 v105, v71, 16, 1
	v_or_b32_e32 v72, 0x400000, v98
	v_cmp_u_f32_e32 vcc_lo, v98, v98
	v_mul_f32_e32 v69, v50, v69
	v_or_b32_e32 v106, 0x400000, v71
	v_add3_u32 v105, v105, v71, 0x7fff
	v_bfe_u32 v107, v104, 16, 1
	v_cndmask_b32_e32 v72, v97, v72, vcc_lo
	v_cmp_u_f32_e32 vcc_lo, v71, v71
	v_bfe_u32 v98, v69, 16, 1
	v_and_b32_e32 v96, 0xffff0000, v96
	v_and_b32_e32 v95, 0xffff0000, v95
	v_add3_u32 v97, v107, v104, 0x7fff
	v_cndmask_b32_e32 v71, v105, v106, vcc_lo
	v_add3_u32 v98, v98, v69, 0x7fff
	v_or_b32_e32 v106, 0x400000, v69
	v_cmp_u_f32_e32 vcc_lo, v69, v69
	v_or_b32_e32 v105, 0x400000, v104
	v_add_f32_e32 v0, v0, v70
	v_add_f32_e32 v70, v96, v95
	v_and_b32_e32 v71, 0xffff0000, v71
	v_and_b32_e32 v72, 0xffff0000, v72
	v_cndmask_b32_e32 v69, v98, v106, vcc_lo
	v_cmp_u_f32_e32 vcc_lo, v104, v104
	v_add_f32_e32 v0, v70, v0
	v_add_f32_e32 v70, v71, v72
	v_and_b32_e32 v71, 0xffff0000, v65
	v_cndmask_b32_e32 v95, v97, v105, vcc_lo
	v_and_b32_e32 v69, 0xffff0000, v69
	v_lshlrev_b32_e32 v65, 16, v65
	v_add_f32_e32 v0, v70, v0
	v_mul_f32_e32 v71, v45, v71
	v_and_b32_e32 v72, 0xffff0000, v95
	v_and_b32_e32 v70, 0xffff0000, v66
	v_mul_f32_e32 v65, v49, v65
	v_lshlrev_b32_e32 v66, 16, v66
	v_cmp_u_f32_e32 vcc_lo, v71, v71
	v_add_f32_e32 v69, v69, v72
	v_bfe_u32 v72, v71, 16, 1
	v_bfe_u32 v95, v65, 16, 1
	v_or_b32_e32 v96, 0x400000, v65
	v_mul_f32_e32 v66, v51, v66
	v_add_f32_e32 v0, v69, v0
	v_mul_f32_e32 v69, v46, v70
	v_add3_u32 v70, v72, v71, 0x7fff
	v_or_b32_e32 v72, 0x400000, v71
	v_add3_u32 v95, v95, v65, 0x7fff
	v_add_f32_e32 v78, v78, v0
	v_bfe_u32 v97, v69, 16, 1
	v_cndmask_b32_e32 v70, v70, v72, vcc_lo
	v_cmp_u_f32_e32 vcc_lo, v65, v65
	v_or_b32_e32 v72, 0x400000, v69
	v_add3_u32 v71, v97, v69, 0x7fff
	v_and_b32_e32 v70, 0xffff0000, v70
	v_cndmask_b32_e32 v65, v95, v96, vcc_lo
	v_and_b32_e32 v95, 0xffff0000, v67
	v_cmp_u_f32_e32 vcc_lo, v69, v69
	v_lshlrev_b32_e32 v67, 16, v67
	v_bfe_u32 v96, v66, 16, 1
	v_and_b32_e32 v65, 0xffff0000, v65
	v_cndmask_b32_e32 v69, v71, v72, vcc_lo
	v_mul_f32_e32 v71, v47, v95
	v_mul_f32_e32 v67, v52, v67
	v_add3_u32 v72, v96, v66, 0x7fff
	v_or_b32_e32 v95, 0x400000, v66
	v_and_b32_e32 v96, 0xffff0000, v68
	v_bfe_u32 v97, v71, 16, 1
	v_cmp_u_f32_e32 vcc_lo, v66, v66
	v_bfe_u32 v98, v67, 16, 1
	v_lshlrev_b32_e32 v68, 16, v68
	v_and_b32_e32 v69, 0xffff0000, v69
	v_add_f32_e32 v65, v65, v70
	v_cndmask_b32_e32 v66, v72, v95, vcc_lo
	v_mul_f32_e32 v72, v48, v96
	v_add3_u32 v95, v97, v71, 0x7fff
	v_or_b32_e32 v96, 0x400000, v71
	v_cmp_u_f32_e32 vcc_lo, v71, v71
	v_add3_u32 v97, v98, v67, 0x7fff
	v_or_b32_e32 v98, 0x400000, v67
	v_bfe_u32 v104, v72, 16, 1
	v_and_b32_e32 v66, 0xffff0000, v66
	v_cndmask_b32_e32 v71, v95, v96, vcc_lo
	v_cmp_u_f32_e32 vcc_lo, v67, v67
	v_or_b32_e32 v96, 0x400000, v72
	v_add3_u32 v95, v104, v72, 0x7fff
	v_mul_f32_e32 v68, v50, v68
	v_add_f32_e32 v66, v66, v69
	v_cndmask_b32_e32 v67, v97, v98, vcc_lo
	v_cmp_u_f32_e32 vcc_lo, v72, v72
	v_and_b32_e32 v69, 0xffff0000, v61
	v_and_b32_e32 v70, 0xffff0000, v71
	v_add_f32_e32 v65, v66, v65
	v_and_b32_e32 v67, 0xffff0000, v67
	v_cndmask_b32_e32 v72, v95, v96, vcc_lo
	v_bfe_u32 v95, v68, 16, 1
	v_mul_f32_e32 v66, v45, v69
	v_lshlrev_b32_e32 v61, 16, v61
	v_add_f32_e32 v67, v67, v70
	v_cmp_u_f32_e32 vcc_lo, v68, v68
	v_add3_u32 v71, v95, v68, 0x7fff
	v_or_b32_e32 v95, 0x400000, v68
	v_bfe_u32 v69, v66, 16, 1
	v_add_f32_e32 v65, v67, v65
	v_mul_f32_e32 v61, v49, v61
	v_and_b32_e32 v67, 0xffff0000, v62
	v_cndmask_b32_e32 v68, v71, v95, vcc_lo
	v_add3_u32 v69, v69, v66, 0x7fff
	v_or_b32_e32 v70, 0x400000, v66
	v_bfe_u32 v71, v61, 16, 1
	v_mul_f32_e32 v67, v46, v67
	v_lshlrev_b32_e32 v62, 16, v62
	v_cmp_u_f32_e32 vcc_lo, v66, v66
	v_and_b32_e32 v95, 0xffff0000, v63
	v_lshlrev_b32_e32 v63, 16, v63
	v_and_b32_e32 v96, 0xffff0000, v64
	v_mul_f32_e32 v62, v51, v62
	v_cndmask_b32_e32 v66, v69, v70, vcc_lo
	v_add3_u32 v69, v71, v61, 0x7fff
	v_or_b32_e32 v70, 0x400000, v61
	v_bfe_u32 v71, v67, 16, 1
	v_cmp_u_f32_e32 vcc_lo, v61, v61
	v_mul_f32_e32 v95, v47, v95
	v_mul_f32_e32 v63, v52, v63
	v_lshlrev_b32_e32 v64, 16, v64
	v_and_b32_e32 v66, 0xffff0000, v66
	v_cndmask_b32_e32 v61, v69, v70, vcc_lo
	v_add3_u32 v69, v71, v67, 0x7fff
	v_or_b32_e32 v70, 0x400000, v67
	v_bfe_u32 v71, v62, 16, 1
	v_cmp_u_f32_e32 vcc_lo, v67, v67
	v_mul_f32_e32 v64, v50, v64
	v_or_b32_e32 v97, 0x400000, v63
	v_and_b32_e32 v61, 0xffff0000, v61
	v_and_b32_e32 v68, 0xffff0000, v68
	v_cndmask_b32_e32 v67, v69, v70, vcc_lo
	v_add3_u32 v69, v71, v62, 0x7fff
	v_or_b32_e32 v70, 0x400000, v62
	v_bfe_u32 v71, v95, 16, 1
	v_cmp_u_f32_e32 vcc_lo, v62, v62
	v_bfe_u32 v104, v64, 16, 1
	v_and_b32_e32 v67, 0xffff0000, v67
	v_add_f32_e32 v61, v61, v66
	v_cndmask_b32_e32 v62, v69, v70, vcc_lo
	v_bfe_u32 v69, v63, 16, 1
	v_add3_u32 v70, v71, v95, 0x7fff
	v_mul_f32_e32 v71, v48, v96
	v_or_b32_e32 v96, 0x400000, v95
	v_cmp_u_f32_e32 vcc_lo, v95, v95
	v_add3_u32 v69, v69, v63, 0x7fff
	v_add3_u32 v95, v104, v64, 0x7fff
	v_bfe_u32 v98, v71, 16, 1
	v_and_b32_e32 v62, 0xffff0000, v62
	v_cndmask_b32_e32 v70, v70, v96, vcc_lo
	v_cmp_u_f32_e32 vcc_lo, v63, v63
	v_or_b32_e32 v96, 0x400000, v64
	v_add_f32_e32 v62, v62, v67
	v_and_b32_e32 v66, 0xffff0000, v70
	v_cndmask_b32_e32 v63, v69, v97, vcc_lo
	v_cmp_u_f32_e32 vcc_lo, v64, v64
	v_add3_u32 v69, v98, v71, 0x7fff
	v_or_b32_e32 v97, 0x400000, v71
	v_add_f32_e32 v61, v62, v61
	v_and_b32_e32 v63, 0xffff0000, v63
	v_cndmask_b32_e32 v64, v95, v96, vcc_lo
	v_cmp_u_f32_e32 vcc_lo, v71, v71
	v_add_f32_e32 v62, v63, v66
	v_and_b32_e32 v63, 0xffff0000, v64
	v_cndmask_b32_e32 v67, v69, v97, vcc_lo
	v_and_b32_e32 v69, 0xffff0000, v72
	v_and_b32_e32 v66, 0xffff0000, v57
	v_lshlrev_b32_e32 v57, 16, v57
	v_add_f32_e32 v61, v62, v61
	v_and_b32_e32 v64, 0xffff0000, v67
	v_add_f32_e32 v67, v68, v69
	v_mul_f32_e32 v57, v49, v57
	v_add_f32_e32 v62, v63, v64
	v_mul_f32_e32 v63, v45, v66
	v_add_f32_e32 v64, v67, v65
	v_or_b32_e32 v65, 0x400000, v57
	v_and_b32_e32 v66, 0xffff0000, v60
	v_add_f32_e32 v0, v62, v61
	v_bfe_u32 v61, v63, 16, 1
	v_add_f32_e32 v79, v79, v64
	v_bfe_u32 v62, v57, 16, 1
	v_and_b32_e32 v64, 0xffff0000, v58
	v_add_f32_e32 v80, v80, v0
	v_add3_u32 v0, v61, v63, 0x7fff
	v_or_b32_e32 v61, 0x400000, v63
	v_cmp_u_f32_e32 vcc_lo, v63, v63
	v_add3_u32 v62, v62, v57, 0x7fff
	v_mul_f32_e32 v64, v46, v64
	v_lshlrev_b32_e32 v58, 16, v58
	v_lshlrev_b32_e32 v60, 16, v60
	v_cndmask_b32_e32 v0, v0, v61, vcc_lo
	v_cmp_u_f32_e32 vcc_lo, v57, v57
	v_bfe_u32 v61, v64, 16, 1
	v_mul_f32_e32 v58, v51, v58
	v_or_b32_e32 v63, 0x400000, v64
	v_mul_f32_e32 v60, v50, v60
	v_cndmask_b32_e32 v57, v62, v65, vcc_lo
	v_and_b32_e32 v62, 0xffff0000, v59
	v_add3_u32 v61, v61, v64, 0x7fff
	v_lshlrev_b32_e32 v59, 16, v59
	v_bfe_u32 v65, v58, 16, 1
	v_cmp_u_f32_e32 vcc_lo, v64, v64
	v_mul_f32_e32 v62, v47, v62
	v_or_b32_e32 v64, 0x400000, v58
	v_mul_f32_e32 v59, v52, v59
	v_and_b32_e32 v57, 0xffff0000, v57
	v_cndmask_b32_e32 v61, v61, v63, vcc_lo
	v_add3_u32 v63, v65, v58, 0x7fff
	v_bfe_u32 v65, v62, 16, 1
	v_cmp_u_f32_e32 vcc_lo, v58, v58
	v_bfe_u32 v67, v59, 16, 1
	v_and_b32_e32 v0, 0xffff0000, v0
	v_and_b32_e32 v61, 0xffff0000, v61
	v_cndmask_b32_e32 v58, v63, v64, vcc_lo
	v_add3_u32 v63, v65, v62, 0x7fff
	v_mul_f32_e32 v64, v48, v66
	v_or_b32_e32 v65, 0x400000, v62
	v_cmp_u_f32_e32 vcc_lo, v62, v62
	v_add3_u32 v66, v67, v59, 0x7fff
	v_or_b32_e32 v67, 0x400000, v59
	v_bfe_u32 v68, v64, 16, 1
	v_and_b32_e32 v58, 0xffff0000, v58
	v_cndmask_b32_e32 v62, v63, v65, vcc_lo
	v_cmp_u_f32_e32 vcc_lo, v59, v59
	v_or_b32_e32 v65, 0x400000, v64
	v_add3_u32 v63, v68, v64, 0x7fff
	v_add_f32_e32 v0, v57, v0
	v_add_f32_e32 v57, v58, v61
	v_cndmask_b32_e32 v59, v66, v67, vcc_lo
	v_bfe_u32 v66, v60, 16, 1
	v_cmp_u_f32_e32 vcc_lo, v64, v64
	v_and_b32_e32 v61, 0xffff0000, v62
	v_add_f32_e32 v0, v57, v0
	v_and_b32_e32 v58, 0xffff0000, v59
	v_add3_u32 v64, v66, v60, 0x7fff
	v_cndmask_b32_e32 v63, v63, v65, vcc_lo
	v_or_b32_e32 v65, 0x400000, v60
	v_and_b32_e32 v59, 0xffff0000, v53
	v_cmp_u_f32_e32 vcc_lo, v60, v60
	v_add_f32_e32 v58, v58, v61
	v_lshlrev_b32_e32 v53, 16, v53
	v_mul_f32_e32 v57, v45, v59
	v_cndmask_b32_e32 v60, v64, v65, vcc_lo
	v_add_f32_e32 v0, v58, v0
	v_mul_f32_e32 v53, v49, v53
	v_and_b32_e32 v58, 0xffff0000, v54
	v_bfe_u32 v61, v57, 16, 1
	v_and_b32_e32 v59, 0xffff0000, v60
	v_and_b32_e32 v60, 0xffff0000, v63
	v_bfe_u32 v62, v53, 16, 1
	v_mul_f32_e32 v58, v46, v58
	v_lshlrev_b32_e32 v54, 16, v54
	v_cmp_u_f32_e32 vcc_lo, v57, v57
	v_add_f32_e32 v59, v59, v60
	v_add3_u32 v60, v61, v57, 0x7fff
	v_or_b32_e32 v61, 0x400000, v57
	v_mul_f32_e32 v54, v51, v54
	v_and_b32_e32 v63, 0xffff0000, v55
	v_lshlrev_b32_e32 v55, 16, v55
	v_and_b32_e32 v64, 0xffff0000, v56
	v_cndmask_b32_e32 v57, v60, v61, vcc_lo
	v_add3_u32 v60, v62, v53, 0x7fff
	v_or_b32_e32 v61, 0x400000, v53
	v_bfe_u32 v62, v58, 16, 1
	v_cmp_u_f32_e32 vcc_lo, v53, v53
	v_mul_f32_e32 v63, v47, v63
	v_mul_f32_e32 v55, v52, v55
	v_lshlrev_b32_e32 v56, 16, v56
	v_and_b32_e32 v57, 0xffff0000, v57
	v_cndmask_b32_e32 v53, v60, v61, vcc_lo
	v_add3_u32 v60, v62, v58, 0x7fff
	v_or_b32_e32 v61, 0x400000, v58
	v_bfe_u32 v62, v54, 16, 1
	v_cmp_u_f32_e32 vcc_lo, v58, v58
	v_mul_f32_e32 v56, v50, v56
	v_or_b32_e32 v65, 0x400000, v55
	v_and_b32_e32 v53, 0xffff0000, v53
	v_add_f32_e32 v0, v59, v0
	v_cndmask_b32_e32 v58, v60, v61, vcc_lo
	v_add3_u32 v60, v62, v54, 0x7fff
	v_or_b32_e32 v61, 0x400000, v54
	v_bfe_u32 v62, v63, 16, 1
	v_cmp_u_f32_e32 vcc_lo, v54, v54
	v_and_b32_e32 v58, 0xffff0000, v58
	v_add_f32_e32 v53, v53, v57
	v_add_f32_e32 v81, v81, v0
	v_cndmask_b32_e32 v54, v60, v61, vcc_lo
	v_bfe_u32 v60, v55, 16, 1
	v_add3_u32 v61, v62, v63, 0x7fff
	v_mul_f32_e32 v62, v48, v64
	v_or_b32_e32 v64, 0x400000, v63
	v_cmp_u_f32_e32 vcc_lo, v63, v63
	v_add3_u32 v60, v60, v55, 0x7fff
	v_bfe_u32 v63, v56, 16, 1
	v_bfe_u32 v66, v62, 16, 1
	v_and_b32_e32 v54, 0xffff0000, v54
	v_cndmask_b32_e32 v61, v61, v64, vcc_lo
	v_cmp_u_f32_e32 vcc_lo, v55, v55
	v_add3_u32 v63, v63, v56, 0x7fff
	v_or_b32_e32 v64, 0x400000, v62
	v_add_f32_e32 v54, v54, v58
	v_and_b32_e32 v57, 0xffff0000, v61
	v_cndmask_b32_e32 v55, v60, v65, vcc_lo
	v_or_b32_e32 v65, 0x400000, v56
	v_cmp_u_f32_e32 vcc_lo, v56, v56
	v_add3_u32 v60, v66, v62, 0x7fff
	v_add_f32_e32 v53, v54, v53
	v_and_b32_e32 v55, 0xffff0000, v55
	v_cndmask_b32_e32 v56, v63, v65, vcc_lo
	v_cmp_u_f32_e32 vcc_lo, v62, v62
	v_add_f32_e32 v54, v55, v57
	v_and_b32_e32 v55, 0xffff0000, v41
	v_and_b32_e32 v56, 0xffff0000, v56
	v_cndmask_b32_e32 v58, v60, v64, vcc_lo
	v_lshlrev_b32_e32 v41, 16, v41
	v_add_f32_e32 v53, v54, v53
	v_mul_f32_e32 v55, v45, v55
	v_and_b32_e32 v57, 0xffff0000, v58
	v_mul_f32_e32 v41, v49, v41
	v_cmp_u_f32_e32 vcc_lo, v55, v55
	v_add_f32_e32 v54, v56, v57
	v_and_b32_e32 v56, 0xffff0000, v42
	v_bfe_u32 v57, v55, 16, 1
	v_bfe_u32 v0, v41, 16, 1
	v_lshlrev_b32_e32 v42, 16, v42
	v_add_f32_e32 v53, v54, v53
	v_mul_f32_e32 v54, v46, v56
	v_add3_u32 v56, v57, v55, 0x7fff
	v_or_b32_e32 v57, 0x400000, v55
	v_add3_u32 v0, v0, v41, 0x7fff
	v_or_b32_e32 v58, 0x400000, v41
	v_bfe_u32 v59, v54, 16, 1
	v_add_f32_e32 v82, v82, v53
	v_cndmask_b32_e32 v55, v56, v57, vcc_lo
	v_cmp_u_f32_e32 vcc_lo, v41, v41
	v_mul_f32_e32 v41, v51, v42
	v_and_b32_e32 v57, 0xffff0000, v43
	v_add3_u32 v42, v59, v54, 0x7fff
	v_or_b32_e32 v56, 0x400000, v54
	v_cndmask_b32_e32 v0, v0, v58, vcc_lo
	v_lshlrev_b32_e32 v43, 16, v43
	v_bfe_u32 v58, v41, 16, 1
	v_cmp_u_f32_e32 vcc_lo, v54, v54
	v_mul_f32_e32 v54, v47, v57
	v_or_b32_e32 v57, 0x400000, v41
	v_mul_f32_e32 v43, v52, v43
	v_and_b32_e32 v0, 0xffff0000, v0
	v_cndmask_b32_e32 v42, v42, v56, vcc_lo
	v_add3_u32 v56, v58, v41, 0x7fff
	v_and_b32_e32 v58, 0xffff0000, v44
	v_bfe_u32 v59, v54, 16, 1
	v_cmp_u_f32_e32 vcc_lo, v41, v41
	v_bfe_u32 v60, v43, 16, 1
	v_lshlrev_b32_e32 v44, 16, v44
	v_and_b32_e32 v55, 0xffff0000, v55
	v_and_b32_e32 v42, 0xffff0000, v42
	v_cndmask_b32_e32 v41, v56, v57, vcc_lo
	v_mul_f32_e32 v56, v48, v58
	v_add3_u32 v57, v59, v54, 0x7fff
	v_or_b32_e32 v58, 0x400000, v54
	v_cmp_u_f32_e32 vcc_lo, v54, v54
	v_add3_u32 v59, v60, v43, 0x7fff
	v_or_b32_e32 v60, 0x400000, v43
	v_bfe_u32 v61, v56, 16, 1
	v_and_b32_e32 v41, 0xffff0000, v41
	v_cndmask_b32_e32 v54, v57, v58, vcc_lo
	v_cmp_u_f32_e32 vcc_lo, v43, v43
	v_or_b32_e32 v58, 0x400000, v56
	v_add3_u32 v57, v61, v56, 0x7fff
	v_mul_f32_e32 v44, v50, v44
	v_add_f32_e32 v0, v0, v55
	v_cndmask_b32_e32 v43, v59, v60, vcc_lo
	v_cmp_u_f32_e32 vcc_lo, v56, v56
	v_add_f32_e32 v41, v41, v42
	v_and_b32_e32 v54, 0xffff0000, v54
	v_and_b32_e32 v42, 0xffff0000, v43
	v_and_b32_e32 v43, 0xffff0000, v37
	v_cndmask_b32_e32 v56, v57, v58, vcc_lo
	v_bfe_u32 v57, v44, 16, 1
	v_add_f32_e32 v0, v41, v0
	v_add_f32_e32 v42, v42, v54
	v_mul_f32_e32 v41, v45, v43
	v_lshlrev_b32_e32 v37, 16, v37
	v_add3_u32 v55, v57, v44, 0x7fff
	v_or_b32_e32 v57, 0x400000, v44
	v_cmp_u_f32_e32 vcc_lo, v44, v44
	v_bfe_u32 v44, v41, 16, 1
	v_add_f32_e32 v0, v42, v0
	v_mul_f32_e32 v37, v49, v37
	v_and_b32_e32 v42, 0xffff0000, v38
	v_cndmask_b32_e32 v43, v55, v57, vcc_lo
	v_add3_u32 v44, v44, v41, 0x7fff
	v_or_b32_e32 v54, 0x400000, v41
	v_bfe_u32 v55, v37, 16, 1
	v_mul_f32_e32 v42, v46, v42
	v_lshlrev_b32_e32 v38, 16, v38
	v_cmp_u_f32_e32 vcc_lo, v41, v41
	v_and_b32_e32 v57, 0xffff0000, v39
	v_lshlrev_b32_e32 v39, 16, v39
	v_and_b32_e32 v58, 0xffff0000, v40
	v_mul_f32_e32 v38, v51, v38
	v_cndmask_b32_e32 v41, v44, v54, vcc_lo
	v_add3_u32 v44, v55, v37, 0x7fff
	v_or_b32_e32 v54, 0x400000, v37
	v_bfe_u32 v55, v42, 16, 1
	v_cmp_u_f32_e32 vcc_lo, v37, v37
	v_mul_f32_e32 v57, v47, v57
	v_mul_f32_e32 v39, v52, v39
	v_lshlrev_b32_e32 v40, 16, v40
	v_and_b32_e32 v41, 0xffff0000, v41
	v_cndmask_b32_e32 v37, v44, v54, vcc_lo
	v_add3_u32 v44, v55, v42, 0x7fff
	v_or_b32_e32 v54, 0x400000, v42
	v_bfe_u32 v55, v38, 16, 1
	v_cmp_u_f32_e32 vcc_lo, v42, v42
	v_mul_f32_e32 v40, v50, v40
	v_or_b32_e32 v59, 0x400000, v39
	v_and_b32_e32 v37, 0xffff0000, v37
	v_and_b32_e32 v43, 0xffff0000, v43
	v_cndmask_b32_e32 v42, v44, v54, vcc_lo
	v_add3_u32 v44, v55, v38, 0x7fff
	v_or_b32_e32 v54, 0x400000, v38
	v_bfe_u32 v55, v57, 16, 1
	v_cmp_u_f32_e32 vcc_lo, v38, v38
	v_bfe_u32 v61, v40, 16, 1
	v_and_b32_e32 v42, 0xffff0000, v42
	v_add_f32_e32 v37, v37, v41
	v_cndmask_b32_e32 v38, v44, v54, vcc_lo
	v_bfe_u32 v44, v39, 16, 1
	v_add3_u32 v54, v55, v57, 0x7fff
	v_mul_f32_e32 v55, v48, v58
	v_or_b32_e32 v58, 0x400000, v57
	v_cmp_u_f32_e32 vcc_lo, v57, v57
	v_add3_u32 v44, v44, v39, 0x7fff
	v_add3_u32 v57, v61, v40, 0x7fff
	v_bfe_u32 v60, v55, 16, 1
	v_and_b32_e32 v38, 0xffff0000, v38
	v_cndmask_b32_e32 v54, v54, v58, vcc_lo
	v_cmp_u_f32_e32 vcc_lo, v39, v39
	v_or_b32_e32 v58, 0x400000, v40
	v_add_f32_e32 v38, v38, v42
	v_and_b32_e32 v41, 0xffff0000, v54
	v_cndmask_b32_e32 v39, v44, v59, vcc_lo
	v_cmp_u_f32_e32 vcc_lo, v40, v40
	v_add3_u32 v44, v60, v55, 0x7fff
	v_or_b32_e32 v59, 0x400000, v55
	v_add_f32_e32 v37, v38, v37
	v_and_b32_e32 v39, 0xffff0000, v39
	v_cndmask_b32_e32 v40, v57, v58, vcc_lo
	v_cmp_u_f32_e32 vcc_lo, v55, v55
	v_add_f32_e32 v38, v39, v41
	v_and_b32_e32 v39, 0xffff0000, v40
	v_cndmask_b32_e32 v42, v44, v59, vcc_lo
	v_and_b32_e32 v44, 0xffff0000, v56
	v_and_b32_e32 v41, 0xffff0000, v33
	v_lshlrev_b32_e32 v33, 16, v33
	v_add_f32_e32 v37, v38, v37
	v_and_b32_e32 v40, 0xffff0000, v42
	v_add_f32_e32 v42, v43, v44
	v_mul_f32_e32 v33, v49, v33
	v_add_f32_e32 v38, v39, v40
	v_mul_f32_e32 v39, v45, v41
	v_add_f32_e32 v0, v42, v0
	v_and_b32_e32 v40, 0xffff0000, v34
	v_lshlrev_b32_e32 v34, 16, v34
	v_add_f32_e32 v37, v38, v37
	v_bfe_u32 v38, v39, 16, 1
	v_add_f32_e32 v83, v83, v0
	v_bfe_u32 v0, v33, 16, 1
	v_mul_f32_e32 v40, v46, v40
	v_add_f32_e32 v84, v84, v37
	v_add3_u32 v37, v38, v39, 0x7fff
	v_or_b32_e32 v38, 0x400000, v39
	v_cmp_u_f32_e32 vcc_lo, v39, v39
	v_add3_u32 v0, v0, v33, 0x7fff
	v_or_b32_e32 v41, 0x400000, v33
	v_or_b32_e32 v39, 0x400000, v40
	v_and_b32_e32 v42, 0xffff0000, v36
	v_cndmask_b32_e32 v37, v37, v38, vcc_lo
	v_bfe_u32 v38, v40, 16, 1
	v_cmp_u_f32_e32 vcc_lo, v33, v33
	v_mul_f32_e32 v33, v51, v34
	v_and_b32_e32 v34, 0xffff0000, v35
	v_lshlrev_b32_e32 v35, 16, v35
	v_add3_u32 v38, v38, v40, 0x7fff
	v_cndmask_b32_e32 v0, v0, v41, vcc_lo
	v_bfe_u32 v41, v33, 16, 1
	v_mul_f32_e32 v34, v47, v34
	v_cmp_u_f32_e32 vcc_lo, v40, v40
	v_mul_f32_e32 v35, v52, v35
	v_or_b32_e32 v40, 0x400000, v33
	v_lshlrev_b32_e32 v36, 16, v36
	v_and_b32_e32 v0, 0xffff0000, v0
	v_cndmask_b32_e32 v38, v38, v39, vcc_lo
	v_add3_u32 v39, v41, v33, 0x7fff
	v_bfe_u32 v41, v34, 16, 1
	v_cmp_u_f32_e32 vcc_lo, v33, v33
	v_bfe_u32 v43, v35, 16, 1
	v_mul_f32_e32 v36, v50, v36
	v_and_b32_e32 v37, 0xffff0000, v37
	v_and_b32_e32 v38, 0xffff0000, v38
	v_cndmask_b32_e32 v33, v39, v40, vcc_lo
	v_add3_u32 v39, v41, v34, 0x7fff
	v_mul_f32_e32 v40, v48, v42
	v_or_b32_e32 v41, 0x400000, v34
	v_cmp_u_f32_e32 vcc_lo, v34, v34
	v_add3_u32 v42, v43, v35, 0x7fff
	v_or_b32_e32 v43, 0x400000, v35
	v_bfe_u32 v44, v40, 16, 1
	v_and_b32_e32 v33, 0xffff0000, v33
	v_cndmask_b32_e32 v34, v39, v41, vcc_lo
	v_cmp_u_f32_e32 vcc_lo, v35, v35
	v_or_b32_e32 v41, 0x400000, v40
	v_add3_u32 v39, v44, v40, 0x7fff
	v_add_f32_e32 v0, v0, v37
	v_add_f32_e32 v33, v33, v38
	v_cndmask_b32_e32 v35, v42, v43, vcc_lo
	v_bfe_u32 v42, v36, 16, 1
	v_cmp_u_f32_e32 vcc_lo, v40, v40
	v_and_b32_e32 v37, 0xffff0000, v29
	v_and_b32_e32 v34, 0xffff0000, v34
	;; [unrolled: 1-line block ×3, first 2 shown]
	v_add3_u32 v40, v42, v36, 0x7fff
	v_cndmask_b32_e32 v39, v39, v41, vcc_lo
	v_or_b32_e32 v41, 0x400000, v36
	v_cmp_u_f32_e32 vcc_lo, v36, v36
	v_add_f32_e32 v0, v33, v0
	v_mul_f32_e32 v33, v45, v37
	v_add_f32_e32 v34, v35, v34
	v_lshlrev_b32_e32 v29, 16, v29
	v_cndmask_b32_e32 v36, v40, v41, vcc_lo
	v_and_b32_e32 v40, 0xffff0000, v32
	v_bfe_u32 v37, v33, 16, 1
	v_add_f32_e32 v0, v34, v0
	v_mul_f32_e32 v29, v49, v29
	v_and_b32_e32 v35, 0xffff0000, v36
	v_and_b32_e32 v36, 0xffff0000, v39
	;; [unrolled: 1-line block ×3, first 2 shown]
	v_lshlrev_b32_e32 v30, 16, v30
	v_bfe_u32 v38, v29, 16, 1
	v_cmp_u_f32_e32 vcc_lo, v33, v33
	v_add_f32_e32 v35, v35, v36
	v_add3_u32 v36, v37, v33, 0x7fff
	v_or_b32_e32 v37, 0x400000, v33
	v_mul_f32_e32 v34, v46, v34
	v_mul_f32_e32 v30, v51, v30
	v_and_b32_e32 v39, 0xffff0000, v31
	v_lshlrev_b32_e32 v31, 16, v31
	v_cndmask_b32_e32 v33, v36, v37, vcc_lo
	v_add3_u32 v36, v38, v29, 0x7fff
	v_or_b32_e32 v37, 0x400000, v29
	v_bfe_u32 v38, v34, 16, 1
	v_cmp_u_f32_e32 vcc_lo, v29, v29
	v_mul_f32_e32 v39, v47, v39
	v_mul_f32_e32 v31, v52, v31
	v_lshlrev_b32_e32 v32, 16, v32
	v_and_b32_e32 v33, 0xffff0000, v33
	v_cndmask_b32_e32 v29, v36, v37, vcc_lo
	v_add3_u32 v36, v38, v34, 0x7fff
	v_or_b32_e32 v37, 0x400000, v34
	v_bfe_u32 v38, v30, 16, 1
	v_cmp_u_f32_e32 vcc_lo, v34, v34
	v_mul_f32_e32 v32, v50, v32
	v_or_b32_e32 v41, 0x400000, v31
	v_and_b32_e32 v29, 0xffff0000, v29
	v_add_f32_e32 v0, v35, v0
	v_cndmask_b32_e32 v34, v36, v37, vcc_lo
	v_add3_u32 v36, v38, v30, 0x7fff
	v_or_b32_e32 v37, 0x400000, v30
	v_bfe_u32 v38, v39, 16, 1
	v_cmp_u_f32_e32 vcc_lo, v30, v30
	v_and_b32_e32 v34, 0xffff0000, v34
	v_add_f32_e32 v29, v29, v33
	v_add_f32_e32 v85, v85, v0
	v_cndmask_b32_e32 v30, v36, v37, vcc_lo
	v_bfe_u32 v36, v31, 16, 1
	v_add3_u32 v37, v38, v39, 0x7fff
	v_mul_f32_e32 v38, v48, v40
	v_or_b32_e32 v40, 0x400000, v39
	v_cmp_u_f32_e32 vcc_lo, v39, v39
	v_add3_u32 v36, v36, v31, 0x7fff
	v_bfe_u32 v39, v32, 16, 1
	v_bfe_u32 v42, v38, 16, 1
	v_and_b32_e32 v30, 0xffff0000, v30
	v_cndmask_b32_e32 v37, v37, v40, vcc_lo
	v_cmp_u_f32_e32 vcc_lo, v31, v31
	v_add3_u32 v39, v39, v32, 0x7fff
	v_or_b32_e32 v40, 0x400000, v38
	v_add_f32_e32 v30, v30, v34
	v_and_b32_e32 v33, 0xffff0000, v37
	v_cndmask_b32_e32 v31, v36, v41, vcc_lo
	v_or_b32_e32 v41, 0x400000, v32
	v_cmp_u_f32_e32 vcc_lo, v32, v32
	v_add3_u32 v36, v42, v38, 0x7fff
	v_add_f32_e32 v29, v30, v29
	v_and_b32_e32 v31, 0xffff0000, v31
	v_cndmask_b32_e32 v32, v39, v41, vcc_lo
	v_cmp_u_f32_e32 vcc_lo, v38, v38
	v_add_f32_e32 v30, v31, v33
	v_and_b32_e32 v31, 0xffff0000, v25
	v_and_b32_e32 v32, 0xffff0000, v32
	v_cndmask_b32_e32 v34, v36, v40, vcc_lo
	v_lshlrev_b32_e32 v25, 16, v25
	v_add_f32_e32 v29, v30, v29
	v_mul_f32_e32 v31, v45, v31
	v_and_b32_e32 v33, 0xffff0000, v34
	v_mul_f32_e32 v25, v49, v25
	v_cmp_u_f32_e32 vcc_lo, v31, v31
	v_add_f32_e32 v30, v32, v33
	v_and_b32_e32 v32, 0xffff0000, v26
	v_bfe_u32 v33, v31, 16, 1
	v_bfe_u32 v0, v25, 16, 1
	v_lshlrev_b32_e32 v26, 16, v26
	v_add_f32_e32 v29, v30, v29
	v_mul_f32_e32 v30, v46, v32
	v_add3_u32 v32, v33, v31, 0x7fff
	v_or_b32_e32 v33, 0x400000, v31
	v_add3_u32 v0, v0, v25, 0x7fff
	v_or_b32_e32 v34, 0x400000, v25
	v_bfe_u32 v35, v30, 16, 1
	v_add_f32_e32 v86, v86, v29
	v_cndmask_b32_e32 v31, v32, v33, vcc_lo
	v_cmp_u_f32_e32 vcc_lo, v25, v25
	v_mul_f32_e32 v25, v51, v26
	v_and_b32_e32 v33, 0xffff0000, v27
	v_add3_u32 v26, v35, v30, 0x7fff
	v_or_b32_e32 v32, 0x400000, v30
	v_cndmask_b32_e32 v0, v0, v34, vcc_lo
	v_lshlrev_b32_e32 v27, 16, v27
	v_bfe_u32 v34, v25, 16, 1
	v_cmp_u_f32_e32 vcc_lo, v30, v30
	v_mul_f32_e32 v30, v47, v33
	v_or_b32_e32 v33, 0x400000, v25
	v_mul_f32_e32 v27, v52, v27
	v_and_b32_e32 v0, 0xffff0000, v0
	v_cndmask_b32_e32 v26, v26, v32, vcc_lo
	v_add3_u32 v32, v34, v25, 0x7fff
	v_and_b32_e32 v34, 0xffff0000, v28
	v_bfe_u32 v35, v30, 16, 1
	v_cmp_u_f32_e32 vcc_lo, v25, v25
	v_bfe_u32 v36, v27, 16, 1
	v_lshlrev_b32_e32 v28, 16, v28
	v_and_b32_e32 v31, 0xffff0000, v31
	v_and_b32_e32 v26, 0xffff0000, v26
	v_cndmask_b32_e32 v25, v32, v33, vcc_lo
	v_mul_f32_e32 v32, v48, v34
	v_add3_u32 v33, v35, v30, 0x7fff
	v_or_b32_e32 v34, 0x400000, v30
	v_cmp_u_f32_e32 vcc_lo, v30, v30
	v_add3_u32 v35, v36, v27, 0x7fff
	v_or_b32_e32 v36, 0x400000, v27
	v_bfe_u32 v37, v32, 16, 1
	v_and_b32_e32 v25, 0xffff0000, v25
	v_cndmask_b32_e32 v30, v33, v34, vcc_lo
	v_cmp_u_f32_e32 vcc_lo, v27, v27
	v_or_b32_e32 v34, 0x400000, v32
	v_add3_u32 v33, v37, v32, 0x7fff
	v_mul_f32_e32 v28, v50, v28
	v_add_f32_e32 v0, v0, v31
	v_cndmask_b32_e32 v27, v35, v36, vcc_lo
	v_cmp_u_f32_e32 vcc_lo, v32, v32
	v_add_f32_e32 v25, v25, v26
	v_and_b32_e32 v30, 0xffff0000, v30
	v_and_b32_e32 v26, 0xffff0000, v27
	;; [unrolled: 1-line block ×3, first 2 shown]
	v_cndmask_b32_e32 v32, v33, v34, vcc_lo
	v_bfe_u32 v33, v28, 16, 1
	v_add_f32_e32 v0, v25, v0
	v_add_f32_e32 v26, v26, v30
	v_mul_f32_e32 v25, v45, v27
	v_lshlrev_b32_e32 v17, 16, v17
	v_add3_u32 v31, v33, v28, 0x7fff
	v_or_b32_e32 v33, 0x400000, v28
	v_cmp_u_f32_e32 vcc_lo, v28, v28
	v_bfe_u32 v28, v25, 16, 1
	v_add_f32_e32 v0, v26, v0
	v_mul_f32_e32 v17, v49, v17
	v_and_b32_e32 v26, 0xffff0000, v18
	v_cndmask_b32_e32 v27, v31, v33, vcc_lo
	v_add3_u32 v28, v28, v25, 0x7fff
	v_or_b32_e32 v30, 0x400000, v25
	v_bfe_u32 v31, v17, 16, 1
	v_mul_f32_e32 v26, v46, v26
	v_lshlrev_b32_e32 v18, 16, v18
	v_cmp_u_f32_e32 vcc_lo, v25, v25
	v_and_b32_e32 v33, 0xffff0000, v19
	v_lshlrev_b32_e32 v19, 16, v19
	v_and_b32_e32 v34, 0xffff0000, v20
	v_mul_f32_e32 v18, v51, v18
	v_cndmask_b32_e32 v25, v28, v30, vcc_lo
	v_add3_u32 v28, v31, v17, 0x7fff
	v_or_b32_e32 v30, 0x400000, v17
	v_bfe_u32 v31, v26, 16, 1
	v_cmp_u_f32_e32 vcc_lo, v17, v17
	v_mul_f32_e32 v33, v47, v33
	v_mul_f32_e32 v19, v52, v19
	v_lshlrev_b32_e32 v20, 16, v20
	v_and_b32_e32 v25, 0xffff0000, v25
	v_cndmask_b32_e32 v17, v28, v30, vcc_lo
	v_add3_u32 v28, v31, v26, 0x7fff
	v_or_b32_e32 v30, 0x400000, v26
	v_bfe_u32 v31, v18, 16, 1
	v_cmp_u_f32_e32 vcc_lo, v26, v26
	v_mul_f32_e32 v20, v50, v20
	v_or_b32_e32 v35, 0x400000, v19
	v_and_b32_e32 v17, 0xffff0000, v17
	v_and_b32_e32 v27, 0xffff0000, v27
	v_cndmask_b32_e32 v26, v28, v30, vcc_lo
	v_add3_u32 v28, v31, v18, 0x7fff
	v_or_b32_e32 v30, 0x400000, v18
	v_bfe_u32 v31, v33, 16, 1
	v_cmp_u_f32_e32 vcc_lo, v18, v18
	v_bfe_u32 v37, v20, 16, 1
	v_and_b32_e32 v26, 0xffff0000, v26
	v_add_f32_e32 v17, v17, v25
	v_cndmask_b32_e32 v18, v28, v30, vcc_lo
	v_bfe_u32 v28, v19, 16, 1
	v_add3_u32 v30, v31, v33, 0x7fff
	v_mul_f32_e32 v31, v48, v34
	v_or_b32_e32 v34, 0x400000, v33
	v_cmp_u_f32_e32 vcc_lo, v33, v33
	v_add3_u32 v28, v28, v19, 0x7fff
	v_add3_u32 v33, v37, v20, 0x7fff
	v_bfe_u32 v36, v31, 16, 1
	v_and_b32_e32 v18, 0xffff0000, v18
	v_cndmask_b32_e32 v30, v30, v34, vcc_lo
	v_cmp_u_f32_e32 vcc_lo, v19, v19
	v_or_b32_e32 v34, 0x400000, v20
	v_add_f32_e32 v18, v18, v26
	v_and_b32_e32 v25, 0xffff0000, v30
	v_cndmask_b32_e32 v19, v28, v35, vcc_lo
	v_cmp_u_f32_e32 vcc_lo, v20, v20
	v_add3_u32 v28, v36, v31, 0x7fff
	v_or_b32_e32 v35, 0x400000, v31
	v_add_f32_e32 v17, v18, v17
	v_and_b32_e32 v19, 0xffff0000, v19
	v_cndmask_b32_e32 v20, v33, v34, vcc_lo
	v_cmp_u_f32_e32 vcc_lo, v31, v31
	v_add_f32_e32 v18, v19, v25
	v_and_b32_e32 v19, 0xffff0000, v20
	v_cndmask_b32_e32 v26, v28, v35, vcc_lo
	v_and_b32_e32 v28, 0xffff0000, v32
	v_and_b32_e32 v25, 0xffff0000, v13
	v_lshlrev_b32_e32 v13, 16, v13
	v_add_f32_e32 v17, v18, v17
	v_and_b32_e32 v20, 0xffff0000, v26
	v_add_f32_e32 v26, v27, v28
	v_mul_f32_e32 v13, v49, v13
	v_add_f32_e32 v18, v19, v20
	v_mul_f32_e32 v19, v45, v25
	v_add_f32_e32 v0, v26, v0
	v_and_b32_e32 v20, 0xffff0000, v14
	v_lshlrev_b32_e32 v14, 16, v14
	v_add_f32_e32 v17, v18, v17
	v_bfe_u32 v18, v19, 16, 1
	v_add_f32_e32 v87, v87, v0
	v_bfe_u32 v0, v13, 16, 1
	v_mul_f32_e32 v20, v46, v20
	v_add_f32_e32 v88, v88, v17
	v_add3_u32 v17, v18, v19, 0x7fff
	v_or_b32_e32 v18, 0x400000, v19
	v_cmp_u_f32_e32 vcc_lo, v19, v19
	v_add3_u32 v0, v0, v13, 0x7fff
	v_or_b32_e32 v25, 0x400000, v13
	v_or_b32_e32 v19, 0x400000, v20
	v_and_b32_e32 v26, 0xffff0000, v16
	v_cndmask_b32_e32 v17, v17, v18, vcc_lo
	v_bfe_u32 v18, v20, 16, 1
	v_cmp_u_f32_e32 vcc_lo, v13, v13
	v_mul_f32_e32 v13, v51, v14
	v_and_b32_e32 v14, 0xffff0000, v15
	v_lshlrev_b32_e32 v15, 16, v15
	v_add3_u32 v18, v18, v20, 0x7fff
	v_cndmask_b32_e32 v0, v0, v25, vcc_lo
	v_bfe_u32 v25, v13, 16, 1
	v_mul_f32_e32 v14, v47, v14
	v_cmp_u_f32_e32 vcc_lo, v20, v20
	v_mul_f32_e32 v15, v52, v15
	v_or_b32_e32 v20, 0x400000, v13
	v_lshlrev_b32_e32 v16, 16, v16
	v_and_b32_e32 v0, 0xffff0000, v0
	v_cndmask_b32_e32 v18, v18, v19, vcc_lo
	v_add3_u32 v19, v25, v13, 0x7fff
	v_bfe_u32 v25, v14, 16, 1
	v_cmp_u_f32_e32 vcc_lo, v13, v13
	v_bfe_u32 v27, v15, 16, 1
	v_mul_f32_e32 v16, v50, v16
	v_and_b32_e32 v17, 0xffff0000, v17
	v_and_b32_e32 v18, 0xffff0000, v18
	v_cndmask_b32_e32 v13, v19, v20, vcc_lo
	v_add3_u32 v19, v25, v14, 0x7fff
	v_mul_f32_e32 v20, v48, v26
	v_or_b32_e32 v25, 0x400000, v14
	v_cmp_u_f32_e32 vcc_lo, v14, v14
	v_add3_u32 v26, v27, v15, 0x7fff
	v_or_b32_e32 v27, 0x400000, v15
	v_bfe_u32 v28, v20, 16, 1
	v_and_b32_e32 v13, 0xffff0000, v13
	v_cndmask_b32_e32 v14, v19, v25, vcc_lo
	v_cmp_u_f32_e32 vcc_lo, v15, v15
	v_or_b32_e32 v25, 0x400000, v20
	v_add3_u32 v19, v28, v20, 0x7fff
	v_add_f32_e32 v0, v0, v17
	v_add_f32_e32 v13, v13, v18
	v_cndmask_b32_e32 v15, v26, v27, vcc_lo
	v_bfe_u32 v26, v16, 16, 1
	v_cmp_u_f32_e32 vcc_lo, v20, v20
	v_and_b32_e32 v17, 0xffff0000, v9
	v_and_b32_e32 v14, 0xffff0000, v14
	;; [unrolled: 1-line block ×3, first 2 shown]
	v_add3_u32 v20, v26, v16, 0x7fff
	v_cndmask_b32_e32 v19, v19, v25, vcc_lo
	v_or_b32_e32 v25, 0x400000, v16
	v_cmp_u_f32_e32 vcc_lo, v16, v16
	v_lshlrev_b32_e32 v9, 16, v9
	v_add_f32_e32 v0, v13, v0
	v_mul_f32_e32 v13, v45, v17
	v_add_f32_e32 v14, v15, v14
	v_cndmask_b32_e32 v16, v20, v25, vcc_lo
	v_mul_f32_e32 v15, v49, v9
	v_and_b32_e32 v18, 0xffff0000, v10
	v_bfe_u32 v17, v13, 16, 1
	v_add_f32_e32 v0, v14, v0
	v_and_b32_e32 v9, 0xffff0000, v16
	v_and_b32_e32 v16, 0xffff0000, v19
	v_bfe_u32 v14, v15, 16, 1
	v_mul_f32_e32 v18, v46, v18
	v_lshlrev_b32_e32 v10, 16, v10
	v_cmp_u_f32_e32 vcc_lo, v13, v13
	v_add_f32_e32 v9, v9, v16
	v_add3_u32 v16, v17, v13, 0x7fff
	v_or_b32_e32 v17, 0x400000, v13
	v_add3_u32 v14, v14, v15, 0x7fff
	v_or_b32_e32 v19, 0x400000, v15
	v_mul_f32_e32 v10, v51, v10
	v_and_b32_e32 v20, 0xffff0000, v12
	v_cndmask_b32_e32 v13, v16, v17, vcc_lo
	v_bfe_u32 v16, v18, 16, 1
	v_cmp_u_f32_e32 vcc_lo, v15, v15
	v_and_b32_e32 v15, 0xffff0000, v11
	v_or_b32_e32 v17, 0x400000, v18
	v_lshlrev_b32_e32 v11, 16, v11
	v_add3_u32 v16, v16, v18, 0x7fff
	v_cndmask_b32_e32 v14, v14, v19, vcc_lo
	v_bfe_u32 v19, v10, 16, 1
	v_mul_f32_e32 v15, v47, v15
	v_cmp_u_f32_e32 vcc_lo, v18, v18
	v_mul_f32_e32 v11, v52, v11
	v_or_b32_e32 v18, 0x400000, v10
	v_lshlrev_b32_e32 v12, 16, v12
	v_and_b32_e32 v14, 0xffff0000, v14
	v_cndmask_b32_e32 v16, v16, v17, vcc_lo
	v_add3_u32 v17, v19, v10, 0x7fff
	v_bfe_u32 v19, v15, 16, 1
	v_cmp_u_f32_e32 vcc_lo, v10, v10
	v_bfe_u32 v25, v11, 16, 1
	v_mul_f32_e32 v12, v50, v12
	v_and_b32_e32 v13, 0xffff0000, v13
	v_and_b32_e32 v16, 0xffff0000, v16
	v_cndmask_b32_e32 v10, v17, v18, vcc_lo
	v_add3_u32 v17, v19, v15, 0x7fff
	v_mul_f32_e32 v18, v48, v20
	v_or_b32_e32 v19, 0x400000, v15
	v_cmp_u_f32_e32 vcc_lo, v15, v15
	v_add3_u32 v20, v25, v11, 0x7fff
	v_or_b32_e32 v25, 0x400000, v11
	v_bfe_u32 v26, v18, 16, 1
	v_and_b32_e32 v10, 0xffff0000, v10
	v_cndmask_b32_e32 v15, v17, v19, vcc_lo
	v_cmp_u_f32_e32 vcc_lo, v11, v11
	v_or_b32_e32 v19, 0x400000, v18
	v_add3_u32 v17, v26, v18, 0x7fff
	v_add_f32_e32 v13, v14, v13
	v_add_f32_e32 v10, v10, v16
	v_cndmask_b32_e32 v11, v20, v25, vcc_lo
	v_bfe_u32 v20, v12, 16, 1
	v_cmp_u_f32_e32 vcc_lo, v18, v18
	v_and_b32_e32 v14, 0xffff0000, v15
	v_and_b32_e32 v15, 0xffff0000, v5
	;; [unrolled: 1-line block ×3, first 2 shown]
	v_add3_u32 v18, v20, v12, 0x7fff
	v_cndmask_b32_e32 v17, v17, v19, vcc_lo
	v_or_b32_e32 v19, 0x400000, v12
	v_cmp_u_f32_e32 vcc_lo, v12, v12
	v_lshlrev_b32_e32 v5, 16, v5
	v_add_f32_e32 v10, v10, v13
	v_mul_f32_e32 v13, v45, v15
	v_add_f32_e32 v11, v11, v14
	v_cndmask_b32_e32 v12, v18, v19, vcc_lo
	v_mul_f32_e32 v14, v49, v5
	v_and_b32_e32 v15, 0xffff0000, v17
	v_and_b32_e32 v16, 0xffff0000, v6
	v_bfe_u32 v17, v13, 16, 1
	v_and_b32_e32 v12, 0xffff0000, v12
	v_add_f32_e32 v5, v11, v10
	v_bfe_u32 v11, v14, 16, 1
	v_cmp_u_f32_e32 vcc_lo, v13, v13
	v_lshlrev_b32_e32 v6, 16, v6
	v_add_f32_e32 v10, v12, v15
	v_mul_f32_e32 v12, v46, v16
	v_add3_u32 v15, v17, v13, 0x7fff
	v_or_b32_e32 v16, 0x400000, v13
	v_add3_u32 v11, v11, v14, 0x7fff
	v_or_b32_e32 v17, 0x400000, v14
	v_bfe_u32 v18, v12, 16, 1
	v_mul_f32_e32 v6, v51, v6
	v_cndmask_b32_e32 v13, v15, v16, vcc_lo
	v_cmp_u_f32_e32 vcc_lo, v14, v14
	v_or_b32_e32 v15, 0x400000, v12
	v_add3_u32 v14, v18, v12, 0x7fff
	v_and_b32_e32 v16, 0xffff0000, v7
	v_lshlrev_b32_e32 v7, 16, v7
	v_cndmask_b32_e32 v11, v11, v17, vcc_lo
	v_cmp_u_f32_e32 vcc_lo, v12, v12
	v_bfe_u32 v17, v6, 16, 1
	v_and_b32_e32 v13, 0xffff0000, v13
	v_mul_f32_e32 v7, v52, v7
	v_and_b32_e32 v11, 0xffff0000, v11
	v_cndmask_b32_e32 v12, v14, v15, vcc_lo
	v_mul_f32_e32 v14, v47, v16
	v_add3_u32 v15, v17, v6, 0x7fff
	v_or_b32_e32 v16, 0x400000, v6
	v_and_b32_e32 v17, 0xffff0000, v8
	v_cmp_u_f32_e32 vcc_lo, v6, v6
	v_bfe_u32 v18, v14, 16, 1
	v_bfe_u32 v19, v7, 16, 1
	v_lshlrev_b32_e32 v8, 16, v8
	v_and_b32_e32 v12, 0xffff0000, v12
	v_cndmask_b32_e32 v6, v15, v16, vcc_lo
	v_mul_f32_e32 v15, v48, v17
	v_add3_u32 v16, v18, v14, 0x7fff
	v_or_b32_e32 v17, 0x400000, v14
	v_cmp_u_f32_e32 vcc_lo, v14, v14
	v_add3_u32 v18, v19, v7, 0x7fff
	v_or_b32_e32 v19, 0x400000, v7
	v_bfe_u32 v20, v15, 16, 1
	v_and_b32_e32 v6, 0xffff0000, v6
	v_cndmask_b32_e32 v14, v16, v17, vcc_lo
	v_cmp_u_f32_e32 vcc_lo, v7, v7
	v_or_b32_e32 v17, 0x400000, v15
	v_add3_u32 v16, v20, v15, 0x7fff
	v_mul_f32_e32 v8, v50, v8
	v_add_f32_e32 v11, v11, v13
	v_cndmask_b32_e32 v7, v18, v19, vcc_lo
	v_cmp_u_f32_e32 vcc_lo, v15, v15
	v_add_f32_e32 v6, v6, v12
	v_and_b32_e32 v12, 0xffff0000, v1
	v_and_b32_e32 v13, 0xffff0000, v14
	;; [unrolled: 1-line block ×3, first 2 shown]
	v_cndmask_b32_e32 v15, v16, v17, vcc_lo
	v_bfe_u32 v16, v8, 16, 1
	v_add_f32_e32 v6, v6, v11
	v_mul_f32_e32 v11, v45, v12
	v_add_f32_e32 v7, v7, v13
	v_lshlrev_b32_e32 v1, 16, v1
	v_add3_u32 v14, v16, v8, 0x7fff
	v_or_b32_e32 v16, 0x400000, v8
	v_cmp_u_f32_e32 vcc_lo, v8, v8
	v_bfe_u32 v12, v11, 16, 1
	v_add_f32_e32 v6, v7, v6
	v_and_b32_e32 v7, 0xffff0000, v2
	v_mul_f32_e32 v1, v49, v1
	v_cndmask_b32_e32 v8, v14, v16, vcc_lo
	v_add3_u32 v12, v12, v11, 0x7fff
	v_or_b32_e32 v13, 0x400000, v11
	v_mul_f32_e32 v7, v46, v7
	v_and_b32_e32 v14, 0xffff0000, v15
	v_bfe_u32 v15, v1, 16, 1
	v_cmp_u_f32_e32 vcc_lo, v11, v11
	v_lshlrev_b32_e32 v2, 16, v2
	v_or_b32_e32 v16, 0x400000, v1
	v_or_b32_e32 v17, 0x400000, v7
	s_waitcnt vmcnt(0)
	v_and_b32_e32 v19, 0xffff0000, v23
	v_cndmask_b32_e32 v11, v12, v13, vcc_lo
	v_bfe_u32 v12, v7, 16, 1
	v_add3_u32 v13, v15, v1, 0x7fff
	v_and_b32_e32 v15, 0xffff0000, v3
	v_mul_f32_e32 v2, v51, v2
	v_cmp_u_f32_e32 vcc_lo, v1, v1
	v_add3_u32 v12, v12, v7, 0x7fff
	v_lshlrev_b32_e32 v3, 16, v3
	v_mul_f32_e32 v15, v47, v15
	v_and_b32_e32 v11, 0xffff0000, v11
	v_cndmask_b32_e32 v1, v13, v16, vcc_lo
	v_bfe_u32 v13, v2, 16, 1
	v_cmp_u_f32_e32 vcc_lo, v7, v7
	v_and_b32_e32 v16, 0xffff0000, v4
	v_mul_f32_e32 v3, v52, v3
	v_or_b32_e32 v18, 0x400000, v15
	v_add3_u32 v13, v13, v2, 0x7fff
	v_cndmask_b32_e32 v7, v12, v17, vcc_lo
	v_bfe_u32 v12, v15, 16, 1
	v_or_b32_e32 v17, 0x400000, v2
	v_cmp_u_f32_e32 vcc_lo, v2, v2
	v_mul_f32_e32 v16, v48, v16
	v_lshlrev_b32_e32 v4, 16, v4
	v_add3_u32 v12, v12, v15, 0x7fff
	v_and_b32_e32 v1, 0xffff0000, v1
	v_cndmask_b32_e32 v2, v13, v17, vcc_lo
	v_bfe_u32 v13, v3, 16, 1
	v_cmp_u_f32_e32 vcc_lo, v15, v15
	v_bfe_u32 v17, v16, 16, 1
	v_or_b32_e32 v15, 0x400000, v3
	v_mul_f32_e32 v4, v50, v4
	v_add3_u32 v13, v13, v3, 0x7fff
	v_cndmask_b32_e32 v12, v12, v18, vcc_lo
	v_cmp_u_f32_e32 vcc_lo, v3, v3
	v_add3_u32 v17, v17, v16, 0x7fff
	v_or_b32_e32 v18, 0x400000, v16
	v_and_b32_e32 v2, 0xffff0000, v2
	v_and_b32_e32 v7, 0xffff0000, v7
	v_cndmask_b32_e32 v3, v13, v15, vcc_lo
	v_cmp_u_f32_e32 vcc_lo, v16, v16
	v_bfe_u32 v15, v4, 16, 1
	v_add_f32_e32 v1, v1, v11
	v_add_f32_e32 v2, v2, v7
	v_and_b32_e32 v3, 0xffff0000, v3
	v_cndmask_b32_e32 v13, v17, v18, vcc_lo
	v_lshlrev_b32_e32 v17, 16, v21
	v_and_b32_e32 v7, 0xffff0000, v12
	v_and_b32_e32 v12, 0xffff0000, v21
	v_add3_u32 v15, v15, v4, 0x7fff
	v_or_b32_e32 v16, 0x400000, v4
	v_mul_f32_e32 v11, v49, v17
	v_cmp_u_f32_e32 vcc_lo, v4, v4
	v_add_f32_e32 v1, v2, v1
	v_add_f32_e32 v3, v3, v7
	v_mul_f32_e32 v7, v45, v12
	v_bfe_u32 v2, v11, 16, 1
	v_lshlrev_b32_e32 v12, 16, v22
	v_cndmask_b32_e32 v4, v15, v16, vcc_lo
	v_or_b32_e32 v15, 0x400000, v11
	v_bfe_u32 v16, v7, 16, 1
	v_add3_u32 v2, v2, v11, 0x7fff
	v_mul_f32_e32 v12, v51, v12
	v_and_b32_e32 v17, 0xffff0000, v22
	v_cmp_u_f32_e32 vcc_lo, v11, v11
	v_add3_u32 v11, v16, v7, 0x7fff
	v_lshlrev_b32_e32 v18, 16, v23
	v_bfe_u32 v16, v12, 16, 1
	v_mul_f32_e32 v17, v46, v17
	v_cndmask_b32_e32 v2, v2, v15, vcc_lo
	v_or_b32_e32 v15, 0x400000, v7
	v_cmp_u_f32_e32 vcc_lo, v7, v7
	v_mul_f32_e32 v18, v52, v18
	v_mul_f32_e32 v19, v47, v19
	v_lshlrev_b32_e32 v20, 16, v24
	v_and_b32_e32 v21, 0xffff0000, v24
	v_cndmask_b32_e32 v7, v11, v15, vcc_lo
	v_add3_u32 v11, v16, v12, 0x7fff
	v_or_b32_e32 v15, 0x400000, v12
	v_bfe_u32 v16, v17, 16, 1
	v_cmp_u_f32_e32 vcc_lo, v12, v12
	v_or_b32_e32 v22, 0x400000, v19
	v_and_b32_e32 v7, 0xffff0000, v7
	v_and_b32_e32 v2, 0xffff0000, v2
	v_add3_u32 v12, v16, v17, 0x7fff
	v_cndmask_b32_e32 v11, v11, v15, vcc_lo
	v_or_b32_e32 v15, 0x400000, v17
	v_bfe_u32 v16, v18, 16, 1
	v_cmp_u_f32_e32 vcc_lo, v17, v17
	v_mul_f32_e32 v17, v50, v20
	v_mul_f32_e32 v20, v48, v21
	v_or_b32_e32 v21, 0x400000, v18
	v_add3_u32 v16, v16, v18, 0x7fff
	v_cndmask_b32_e32 v12, v12, v15, vcc_lo
	v_bfe_u32 v15, v19, 16, 1
	v_cmp_u_f32_e32 vcc_lo, v18, v18
	v_bfe_u32 v24, v20, 16, 1
	v_bfe_u32 v23, v17, 16, 1
	v_and_b32_e32 v12, 0xffff0000, v12
	v_add3_u32 v15, v15, v19, 0x7fff
	v_cndmask_b32_e32 v16, v16, v21, vcc_lo
	v_cmp_u_f32_e32 vcc_lo, v19, v19
	v_add3_u32 v19, v24, v20, 0x7fff
	v_or_b32_e32 v21, 0x400000, v20
	v_add3_u32 v18, v23, v17, 0x7fff
	v_and_b32_e32 v11, 0xffff0000, v11
	v_cndmask_b32_e32 v15, v15, v22, vcc_lo
	v_cmp_u_f32_e32 vcc_lo, v20, v20
	v_or_b32_e32 v22, 0x400000, v17
	v_add_f32_e32 v2, v2, v7
	v_add_f32_e32 v7, v11, v12
	v_and_b32_e32 v11, 0xffff0000, v15
	v_cndmask_b32_e32 v19, v19, v21, vcc_lo
	v_cmp_u_f32_e32 vcc_lo, v17, v17
	v_and_b32_e32 v12, 0xffff0000, v16
	v_and_b32_e32 v8, 0xffff0000, v8
	;; [unrolled: 1-line block ×4, first 2 shown]
	v_cndmask_b32_e32 v15, v18, v22, vcc_lo
	v_add_f32_e32 v2, v7, v2
	v_add_f32_e32 v7, v12, v11
	v_and_b32_e32 v11, 0xffff0000, v19
	v_add_f32_e32 v8, v8, v14
	v_and_b32_e32 v12, 0xffff0000, v15
	v_add_f32_e32 v1, v3, v1
	v_add_f32_e32 v3, v4, v13
	;; [unrolled: 1-line block ×14, first 2 shown]
.LBB134_38:                             ;   in Loop: Header=BB134_39 Depth=1
	s_or_b32 exec_lo, exec_lo, s22
	v_add_nc_u32_e32 v103, 4, v103
	v_add_co_u32 v73, s1, v73, 16
	v_add_co_ci_u32_e64 v74, null, 0, v74, s1
	v_cmp_le_i32_e32 vcc_lo, s16, v103
	v_add_nc_u32_e32 v113, 64, v113
	v_add_nc_u32_e32 v101, 0x100, v101
	s_or_b32 s17, vcc_lo, s17
	s_andn2_b32 exec_lo, exec_lo, s17
	s_cbranch_execz .LBB134_72
.LBB134_39:                             ; =>This Inner Loop Header: Depth=1
	v_mul_hi_u32 v0, v113, s21
	v_mul_lo_u32 v1, v0, s12
	v_add_nc_u32_e32 v2, 1, v0
	v_sub_nc_u32_e32 v1, v113, v1
	v_subrev_nc_u32_e32 v3, s12, v1
	v_cmp_le_u32_e32 vcc_lo, s12, v1
	v_cndmask_b32_e32 v0, v0, v2, vcc_lo
	v_cndmask_b32_e32 v1, v1, v3, vcc_lo
	v_add_nc_u32_e32 v2, 1, v0
	v_cmp_le_u32_e32 vcc_lo, s12, v1
	v_cndmask_b32_e32 v0, v0, v2, vcc_lo
	v_xor_b32_e32 v0, s19, v0
	v_subrev_nc_u32_e32 v0, s19, v0
	v_add_nc_u32_e32 v1, s31, v0
	v_cmp_lt_i32_e64 s1, s5, v0
	v_sub_nc_u32_e32 v2, 0, v1
	v_max_i32_e32 v2, v1, v2
	v_ashrrev_i32_e32 v1, 31, v1
	v_mul_hi_u32 v3, v2, v102
	v_mul_lo_u32 v3, v3, s14
	v_sub_nc_u32_e32 v2, v2, v3
	v_subrev_nc_u32_e32 v3, s14, v2
	v_cmp_le_u32_e32 vcc_lo, s14, v2
	v_cndmask_b32_e32 v2, v2, v3, vcc_lo
	v_subrev_nc_u32_e32 v3, s14, v2
	v_cmp_le_u32_e32 vcc_lo, s14, v2
	v_cndmask_b32_e32 v2, v2, v3, vcc_lo
	v_xor_b32_e32 v2, v2, v1
	v_sub_nc_u32_e32 v1, v2, v1
	v_cmp_eq_u32_e32 vcc_lo, 0, v1
	s_or_b32 s1, vcc_lo, s1
	s_and_saveexec_b32 s22, s1
	s_cbranch_execz .LBB134_38
; %bb.40:                               ;   in Loop: Header=BB134_39 Depth=1
	global_load_dword v0, v[73:74], off
	v_add_nc_u32_e32 v108, v93, v113
	v_cmp_eq_u32_e64 s1, s15, v103
	v_add_nc_u32_e32 v111, 1, v108
	v_or_b32_e32 v109, 3, v108
	v_or_b32_e32 v110, 2, v108
	;; [unrolled: 1-line block ×6, first 2 shown]
	s_waitcnt vmcnt(0)
	v_mad_i64_i32 v[0:1], null, v0, s13, 0
	v_lshlrev_b64 v[0:1], 1, v[0:1]
	v_add_co_u32 v21, vcc_lo, v99, v0
	v_add_co_ci_u32_e64 v22, null, v100, v1, vcc_lo
	global_load_dwordx4 v[1:4], v[21:22], off
	ds_read2_b64 v[49:52], v101 offset1:1
	ds_read2_b64 v[45:48], v101 offset0:2 offset1:3
	s_and_saveexec_b32 s23, s1
	s_cbranch_execnz .LBB134_59
; %bb.41:                               ;   in Loop: Header=BB134_39 Depth=1
	s_or_b32 exec_lo, exec_lo, s23
	global_load_dwordx4 v[5:8], v[21:22], off offset:512
	s_and_saveexec_b32 s23, s1
	s_cbranch_execnz .LBB134_60
.LBB134_42:                             ;   in Loop: Header=BB134_39 Depth=1
	s_or_b32 exec_lo, exec_lo, s23
	global_load_dwordx4 v[9:12], v[21:22], off offset:1024
	s_and_saveexec_b32 s23, s1
	s_cbranch_execnz .LBB134_61
.LBB134_43:                             ;   in Loop: Header=BB134_39 Depth=1
	s_or_b32 exec_lo, exec_lo, s23
	global_load_dwordx4 v[13:16], v[21:22], off offset:1536
	s_and_saveexec_b32 s23, s1
	s_cbranch_execz .LBB134_45
.LBB134_44:                             ;   in Loop: Header=BB134_39 Depth=1
	v_cmp_gt_i32_e64 s2, s30, v108
	v_cmp_gt_i32_e32 vcc_lo, s18, v111
	v_cmp_gt_i32_e64 s3, s30, v110
	s_waitcnt vmcnt(0)
	v_cndmask_b32_e64 v0, 0, v13, s2
	v_cmp_gt_i32_e64 s2, s18, v109
	v_cndmask_b32_sdwa v13, v94, v13, vcc_lo dst_sel:DWORD dst_unused:UNUSED_PAD src0_sel:DWORD src1_sel:WORD_1
	v_cndmask_b32_e64 v17, 0, v14, s3
	v_cmp_gt_i32_e64 s3, s18, v107
	s_mov_b32 vcc_lo, s2
	v_cmp_gt_i32_e64 s2, s18, v105
	v_cndmask_b32_sdwa v14, v94, v14, vcc_lo dst_sel:DWORD dst_unused:UNUSED_PAD src0_sel:DWORD src1_sel:WORD_1
	v_cmp_gt_i32_e32 vcc_lo, s30, v106
	v_perm_b32 v13, v13, v0, 0x5040100
	v_perm_b32 v14, v14, v17, 0x5040100
	v_cndmask_b32_e32 v18, 0, v15, vcc_lo
	s_mov_b32 vcc_lo, s3
	v_cndmask_b32_sdwa v15, v94, v15, vcc_lo dst_sel:DWORD dst_unused:UNUSED_PAD src0_sel:DWORD src1_sel:WORD_1
	v_cmp_gt_i32_e32 vcc_lo, s30, v104
	v_perm_b32 v15, v15, v18, 0x5040100
	v_cndmask_b32_e32 v19, 0, v16, vcc_lo
	s_mov_b32 vcc_lo, s2
	v_cndmask_b32_sdwa v16, v94, v16, vcc_lo dst_sel:DWORD dst_unused:UNUSED_PAD src0_sel:DWORD src1_sel:WORD_1
	v_perm_b32 v16, v16, v19, 0x5040100
.LBB134_45:                             ;   in Loop: Header=BB134_39 Depth=1
	s_or_b32 exec_lo, exec_lo, s23
	v_add_co_u32 v23, vcc_lo, 0x800, v21
	v_add_co_ci_u32_e64 v24, null, 0, v22, vcc_lo
	global_load_dwordx4 v[17:20], v[23:24], off
	s_and_saveexec_b32 s23, s1
	s_cbranch_execnz .LBB134_62
; %bb.46:                               ;   in Loop: Header=BB134_39 Depth=1
	s_or_b32 exec_lo, exec_lo, s23
	global_load_dwordx4 v[25:28], v[23:24], off offset:512
	s_and_saveexec_b32 s23, s1
	s_cbranch_execnz .LBB134_63
.LBB134_47:                             ;   in Loop: Header=BB134_39 Depth=1
	s_or_b32 exec_lo, exec_lo, s23
	global_load_dwordx4 v[29:32], v[23:24], off offset:1024
	s_and_saveexec_b32 s23, s1
	s_cbranch_execnz .LBB134_64
.LBB134_48:                             ;   in Loop: Header=BB134_39 Depth=1
	s_or_b32 exec_lo, exec_lo, s23
	global_load_dwordx4 v[33:36], v[23:24], off offset:1536
	s_and_saveexec_b32 s23, s1
	s_cbranch_execz .LBB134_50
.LBB134_49:                             ;   in Loop: Header=BB134_39 Depth=1
	v_cmp_gt_i32_e64 s2, s30, v108
	v_cmp_gt_i32_e32 vcc_lo, s18, v111
	v_cmp_gt_i32_e64 s3, s30, v110
	s_waitcnt vmcnt(0)
	v_cndmask_b32_e64 v0, 0, v33, s2
	v_cmp_gt_i32_e64 s2, s18, v109
	v_cndmask_b32_sdwa v24, v94, v33, vcc_lo dst_sel:DWORD dst_unused:UNUSED_PAD src0_sel:DWORD src1_sel:WORD_1
	v_cndmask_b32_e64 v23, 0, v34, s3
	v_cmp_gt_i32_e64 s3, s18, v107
	s_mov_b32 vcc_lo, s2
	v_cmp_gt_i32_e64 s2, s18, v105
	v_cndmask_b32_sdwa v34, v94, v34, vcc_lo dst_sel:DWORD dst_unused:UNUSED_PAD src0_sel:DWORD src1_sel:WORD_1
	v_cmp_gt_i32_e32 vcc_lo, s30, v106
	v_perm_b32 v33, v24, v0, 0x5040100
	v_perm_b32 v34, v34, v23, 0x5040100
	v_cndmask_b32_e32 v37, 0, v35, vcc_lo
	s_mov_b32 vcc_lo, s3
	v_cndmask_b32_sdwa v35, v94, v35, vcc_lo dst_sel:DWORD dst_unused:UNUSED_PAD src0_sel:DWORD src1_sel:WORD_1
	v_cmp_gt_i32_e32 vcc_lo, s30, v104
	v_perm_b32 v35, v35, v37, 0x5040100
	v_cndmask_b32_e32 v38, 0, v36, vcc_lo
	s_mov_b32 vcc_lo, s2
	v_cndmask_b32_sdwa v36, v94, v36, vcc_lo dst_sel:DWORD dst_unused:UNUSED_PAD src0_sel:DWORD src1_sel:WORD_1
	v_perm_b32 v36, v36, v38, 0x5040100
.LBB134_50:                             ;   in Loop: Header=BB134_39 Depth=1
	s_or_b32 exec_lo, exec_lo, s23
	v_add_co_u32 v23, vcc_lo, 0x1000, v21
	v_add_co_ci_u32_e64 v24, null, 0, v22, vcc_lo
	global_load_dwordx4 v[37:40], v[23:24], off
	s_and_saveexec_b32 s23, s1
	s_cbranch_execnz .LBB134_65
; %bb.51:                               ;   in Loop: Header=BB134_39 Depth=1
	s_or_b32 exec_lo, exec_lo, s23
	global_load_dwordx4 v[41:44], v[23:24], off offset:512
	s_and_saveexec_b32 s23, s1
	s_cbranch_execnz .LBB134_66
.LBB134_52:                             ;   in Loop: Header=BB134_39 Depth=1
	s_or_b32 exec_lo, exec_lo, s23
	global_load_dwordx4 v[53:56], v[23:24], off offset:1024
	s_and_saveexec_b32 s23, s1
	s_cbranch_execnz .LBB134_67
.LBB134_53:                             ;   in Loop: Header=BB134_39 Depth=1
	s_or_b32 exec_lo, exec_lo, s23
	global_load_dwordx4 v[57:60], v[23:24], off offset:1536
	s_and_saveexec_b32 s23, s1
	s_cbranch_execz .LBB134_55
.LBB134_54:                             ;   in Loop: Header=BB134_39 Depth=1
	v_cmp_gt_i32_e64 s2, s30, v108
	v_cmp_gt_i32_e32 vcc_lo, s18, v111
	v_cmp_gt_i32_e64 s3, s30, v110
	s_waitcnt vmcnt(0)
	v_cndmask_b32_e64 v0, 0, v57, s2
	v_cmp_gt_i32_e64 s2, s18, v109
	v_cndmask_b32_sdwa v24, v94, v57, vcc_lo dst_sel:DWORD dst_unused:UNUSED_PAD src0_sel:DWORD src1_sel:WORD_1
	v_cndmask_b32_e64 v23, 0, v58, s3
	v_cmp_gt_i32_e64 s3, s18, v107
	s_mov_b32 vcc_lo, s2
	v_cmp_gt_i32_e64 s2, s18, v105
	v_cndmask_b32_sdwa v58, v94, v58, vcc_lo dst_sel:DWORD dst_unused:UNUSED_PAD src0_sel:DWORD src1_sel:WORD_1
	v_cmp_gt_i32_e32 vcc_lo, s30, v106
	v_perm_b32 v57, v24, v0, 0x5040100
	v_perm_b32 v58, v58, v23, 0x5040100
	v_cndmask_b32_e32 v61, 0, v59, vcc_lo
	s_mov_b32 vcc_lo, s3
	v_cndmask_b32_sdwa v59, v94, v59, vcc_lo dst_sel:DWORD dst_unused:UNUSED_PAD src0_sel:DWORD src1_sel:WORD_1
	v_cmp_gt_i32_e32 vcc_lo, s30, v104
	v_perm_b32 v59, v59, v61, 0x5040100
	v_cndmask_b32_e32 v62, 0, v60, vcc_lo
	s_mov_b32 vcc_lo, s2
	v_cndmask_b32_sdwa v60, v94, v60, vcc_lo dst_sel:DWORD dst_unused:UNUSED_PAD src0_sel:DWORD src1_sel:WORD_1
	v_perm_b32 v60, v60, v62, 0x5040100
.LBB134_55:                             ;   in Loop: Header=BB134_39 Depth=1
	s_or_b32 exec_lo, exec_lo, s23
	v_add_co_u32 v21, vcc_lo, 0x1800, v21
	v_add_co_ci_u32_e64 v22, null, 0, v22, vcc_lo
	global_load_dwordx4 v[61:64], v[21:22], off
	s_and_saveexec_b32 s23, s1
	s_cbranch_execnz .LBB134_68
; %bb.56:                               ;   in Loop: Header=BB134_39 Depth=1
	s_or_b32 exec_lo, exec_lo, s23
	global_load_dwordx4 v[65:68], v[21:22], off offset:512
	s_and_saveexec_b32 s23, s1
	s_cbranch_execnz .LBB134_69
.LBB134_57:                             ;   in Loop: Header=BB134_39 Depth=1
	s_or_b32 exec_lo, exec_lo, s23
	global_load_dwordx4 v[69:72], v[21:22], off offset:1024
	s_and_saveexec_b32 s23, s1
	s_cbranch_execnz .LBB134_70
.LBB134_58:                             ;   in Loop: Header=BB134_39 Depth=1
	s_or_b32 exec_lo, exec_lo, s23
	global_load_dwordx4 v[21:24], v[21:22], off offset:1536
	s_and_saveexec_b32 s3, s1
	s_cbranch_execz .LBB134_37
	s_branch .LBB134_71
.LBB134_59:                             ;   in Loop: Header=BB134_39 Depth=1
	v_cmp_gt_i32_e64 s2, s30, v108
	v_cmp_gt_i32_e32 vcc_lo, s18, v111
	v_cmp_gt_i32_e64 s3, s30, v110
	s_waitcnt vmcnt(0)
	v_cndmask_b32_e64 v0, 0, v1, s2
	v_cmp_gt_i32_e64 s2, s18, v109
	v_cndmask_b32_sdwa v1, v94, v1, vcc_lo dst_sel:DWORD dst_unused:UNUSED_PAD src0_sel:DWORD src1_sel:WORD_1
	v_cndmask_b32_e64 v5, 0, v2, s3
	v_cmp_gt_i32_e64 s3, s18, v107
	s_mov_b32 vcc_lo, s2
	v_cmp_gt_i32_e64 s2, s18, v105
	v_cndmask_b32_sdwa v2, v94, v2, vcc_lo dst_sel:DWORD dst_unused:UNUSED_PAD src0_sel:DWORD src1_sel:WORD_1
	v_cmp_gt_i32_e32 vcc_lo, s30, v106
	v_perm_b32 v1, v1, v0, 0x5040100
	v_perm_b32 v2, v2, v5, 0x5040100
	v_cndmask_b32_e32 v6, 0, v3, vcc_lo
	s_mov_b32 vcc_lo, s3
	v_cndmask_b32_sdwa v3, v94, v3, vcc_lo dst_sel:DWORD dst_unused:UNUSED_PAD src0_sel:DWORD src1_sel:WORD_1
	v_cmp_gt_i32_e32 vcc_lo, s30, v104
	v_perm_b32 v3, v3, v6, 0x5040100
	v_cndmask_b32_e32 v7, 0, v4, vcc_lo
	s_mov_b32 vcc_lo, s2
	v_cndmask_b32_sdwa v4, v94, v4, vcc_lo dst_sel:DWORD dst_unused:UNUSED_PAD src0_sel:DWORD src1_sel:WORD_1
	v_perm_b32 v4, v4, v7, 0x5040100
	s_or_b32 exec_lo, exec_lo, s23
	global_load_dwordx4 v[5:8], v[21:22], off offset:512
	s_and_saveexec_b32 s23, s1
	s_cbranch_execz .LBB134_42
.LBB134_60:                             ;   in Loop: Header=BB134_39 Depth=1
	v_cmp_gt_i32_e64 s2, s30, v108
	v_cmp_gt_i32_e32 vcc_lo, s18, v111
	v_cmp_gt_i32_e64 s3, s30, v110
	s_waitcnt vmcnt(0)
	v_cndmask_b32_e64 v0, 0, v5, s2
	v_cmp_gt_i32_e64 s2, s18, v109
	v_cndmask_b32_sdwa v5, v94, v5, vcc_lo dst_sel:DWORD dst_unused:UNUSED_PAD src0_sel:DWORD src1_sel:WORD_1
	v_cndmask_b32_e64 v9, 0, v6, s3
	v_cmp_gt_i32_e64 s3, s18, v107
	s_mov_b32 vcc_lo, s2
	v_cmp_gt_i32_e64 s2, s18, v105
	v_cndmask_b32_sdwa v6, v94, v6, vcc_lo dst_sel:DWORD dst_unused:UNUSED_PAD src0_sel:DWORD src1_sel:WORD_1
	v_cmp_gt_i32_e32 vcc_lo, s30, v106
	v_perm_b32 v5, v5, v0, 0x5040100
	v_perm_b32 v6, v6, v9, 0x5040100
	v_cndmask_b32_e32 v10, 0, v7, vcc_lo
	s_mov_b32 vcc_lo, s3
	v_cndmask_b32_sdwa v7, v94, v7, vcc_lo dst_sel:DWORD dst_unused:UNUSED_PAD src0_sel:DWORD src1_sel:WORD_1
	v_cmp_gt_i32_e32 vcc_lo, s30, v104
	v_perm_b32 v7, v7, v10, 0x5040100
	v_cndmask_b32_e32 v11, 0, v8, vcc_lo
	s_mov_b32 vcc_lo, s2
	v_cndmask_b32_sdwa v8, v94, v8, vcc_lo dst_sel:DWORD dst_unused:UNUSED_PAD src0_sel:DWORD src1_sel:WORD_1
	v_perm_b32 v8, v8, v11, 0x5040100
	s_or_b32 exec_lo, exec_lo, s23
	global_load_dwordx4 v[9:12], v[21:22], off offset:1024
	s_and_saveexec_b32 s23, s1
	s_cbranch_execz .LBB134_43
.LBB134_61:                             ;   in Loop: Header=BB134_39 Depth=1
	v_cmp_gt_i32_e64 s2, s30, v108
	v_cmp_gt_i32_e32 vcc_lo, s18, v111
	v_cmp_gt_i32_e64 s3, s30, v110
	s_waitcnt vmcnt(0)
	v_cndmask_b32_e64 v0, 0, v9, s2
	v_cmp_gt_i32_e64 s2, s18, v109
	v_cndmask_b32_sdwa v9, v94, v9, vcc_lo dst_sel:DWORD dst_unused:UNUSED_PAD src0_sel:DWORD src1_sel:WORD_1
	v_cndmask_b32_e64 v13, 0, v10, s3
	v_cmp_gt_i32_e64 s3, s18, v107
	s_mov_b32 vcc_lo, s2
	v_cmp_gt_i32_e64 s2, s18, v105
	v_cndmask_b32_sdwa v10, v94, v10, vcc_lo dst_sel:DWORD dst_unused:UNUSED_PAD src0_sel:DWORD src1_sel:WORD_1
	v_cmp_gt_i32_e32 vcc_lo, s30, v106
	v_perm_b32 v9, v9, v0, 0x5040100
	v_perm_b32 v10, v10, v13, 0x5040100
	v_cndmask_b32_e32 v14, 0, v11, vcc_lo
	s_mov_b32 vcc_lo, s3
	v_cndmask_b32_sdwa v11, v94, v11, vcc_lo dst_sel:DWORD dst_unused:UNUSED_PAD src0_sel:DWORD src1_sel:WORD_1
	v_cmp_gt_i32_e32 vcc_lo, s30, v104
	v_perm_b32 v11, v11, v14, 0x5040100
	v_cndmask_b32_e32 v15, 0, v12, vcc_lo
	s_mov_b32 vcc_lo, s2
	v_cndmask_b32_sdwa v12, v94, v12, vcc_lo dst_sel:DWORD dst_unused:UNUSED_PAD src0_sel:DWORD src1_sel:WORD_1
	v_perm_b32 v12, v12, v15, 0x5040100
	s_or_b32 exec_lo, exec_lo, s23
	global_load_dwordx4 v[13:16], v[21:22], off offset:1536
	s_and_saveexec_b32 s23, s1
	s_cbranch_execnz .LBB134_44
	s_branch .LBB134_45
.LBB134_62:                             ;   in Loop: Header=BB134_39 Depth=1
	v_cmp_gt_i32_e64 s2, s30, v108
	v_cmp_gt_i32_e32 vcc_lo, s18, v111
	v_cmp_gt_i32_e64 s3, s30, v110
	s_waitcnt vmcnt(0)
	v_cndmask_b32_e64 v0, 0, v17, s2
	v_cmp_gt_i32_e64 s2, s18, v109
	v_cndmask_b32_sdwa v17, v94, v17, vcc_lo dst_sel:DWORD dst_unused:UNUSED_PAD src0_sel:DWORD src1_sel:WORD_1
	v_cndmask_b32_e64 v25, 0, v18, s3
	v_cmp_gt_i32_e64 s3, s18, v107
	s_mov_b32 vcc_lo, s2
	v_cmp_gt_i32_e64 s2, s18, v105
	v_cndmask_b32_sdwa v18, v94, v18, vcc_lo dst_sel:DWORD dst_unused:UNUSED_PAD src0_sel:DWORD src1_sel:WORD_1
	v_cmp_gt_i32_e32 vcc_lo, s30, v106
	v_perm_b32 v17, v17, v0, 0x5040100
	v_perm_b32 v18, v18, v25, 0x5040100
	v_cndmask_b32_e32 v26, 0, v19, vcc_lo
	s_mov_b32 vcc_lo, s3
	v_cndmask_b32_sdwa v19, v94, v19, vcc_lo dst_sel:DWORD dst_unused:UNUSED_PAD src0_sel:DWORD src1_sel:WORD_1
	v_cmp_gt_i32_e32 vcc_lo, s30, v104
	v_perm_b32 v19, v19, v26, 0x5040100
	v_cndmask_b32_e32 v27, 0, v20, vcc_lo
	s_mov_b32 vcc_lo, s2
	v_cndmask_b32_sdwa v20, v94, v20, vcc_lo dst_sel:DWORD dst_unused:UNUSED_PAD src0_sel:DWORD src1_sel:WORD_1
	v_perm_b32 v20, v20, v27, 0x5040100
	s_or_b32 exec_lo, exec_lo, s23
	global_load_dwordx4 v[25:28], v[23:24], off offset:512
	s_and_saveexec_b32 s23, s1
	s_cbranch_execz .LBB134_47
.LBB134_63:                             ;   in Loop: Header=BB134_39 Depth=1
	v_cmp_gt_i32_e64 s2, s30, v108
	v_cmp_gt_i32_e32 vcc_lo, s18, v111
	v_cmp_gt_i32_e64 s3, s30, v110
	s_waitcnt vmcnt(0)
	v_cndmask_b32_e64 v0, 0, v25, s2
	v_cmp_gt_i32_e64 s2, s18, v109
	v_cndmask_b32_sdwa v25, v94, v25, vcc_lo dst_sel:DWORD dst_unused:UNUSED_PAD src0_sel:DWORD src1_sel:WORD_1
	v_cndmask_b32_e64 v29, 0, v26, s3
	v_cmp_gt_i32_e64 s3, s18, v107
	s_mov_b32 vcc_lo, s2
	v_cmp_gt_i32_e64 s2, s18, v105
	v_cndmask_b32_sdwa v26, v94, v26, vcc_lo dst_sel:DWORD dst_unused:UNUSED_PAD src0_sel:DWORD src1_sel:WORD_1
	v_cmp_gt_i32_e32 vcc_lo, s30, v106
	v_perm_b32 v25, v25, v0, 0x5040100
	v_perm_b32 v26, v26, v29, 0x5040100
	v_cndmask_b32_e32 v30, 0, v27, vcc_lo
	s_mov_b32 vcc_lo, s3
	v_cndmask_b32_sdwa v27, v94, v27, vcc_lo dst_sel:DWORD dst_unused:UNUSED_PAD src0_sel:DWORD src1_sel:WORD_1
	v_cmp_gt_i32_e32 vcc_lo, s30, v104
	v_perm_b32 v27, v27, v30, 0x5040100
	v_cndmask_b32_e32 v31, 0, v28, vcc_lo
	s_mov_b32 vcc_lo, s2
	v_cndmask_b32_sdwa v28, v94, v28, vcc_lo dst_sel:DWORD dst_unused:UNUSED_PAD src0_sel:DWORD src1_sel:WORD_1
	v_perm_b32 v28, v28, v31, 0x5040100
	s_or_b32 exec_lo, exec_lo, s23
	global_load_dwordx4 v[29:32], v[23:24], off offset:1024
	s_and_saveexec_b32 s23, s1
	s_cbranch_execz .LBB134_48
.LBB134_64:                             ;   in Loop: Header=BB134_39 Depth=1
	v_cmp_gt_i32_e64 s2, s30, v108
	v_cmp_gt_i32_e32 vcc_lo, s18, v111
	v_cmp_gt_i32_e64 s3, s30, v110
	s_waitcnt vmcnt(0)
	v_cndmask_b32_e64 v0, 0, v29, s2
	v_cmp_gt_i32_e64 s2, s18, v109
	v_cndmask_b32_sdwa v29, v94, v29, vcc_lo dst_sel:DWORD dst_unused:UNUSED_PAD src0_sel:DWORD src1_sel:WORD_1
	v_cndmask_b32_e64 v33, 0, v30, s3
	v_cmp_gt_i32_e64 s3, s18, v107
	s_mov_b32 vcc_lo, s2
	v_cmp_gt_i32_e64 s2, s18, v105
	v_cndmask_b32_sdwa v30, v94, v30, vcc_lo dst_sel:DWORD dst_unused:UNUSED_PAD src0_sel:DWORD src1_sel:WORD_1
	v_cmp_gt_i32_e32 vcc_lo, s30, v106
	v_perm_b32 v29, v29, v0, 0x5040100
	v_perm_b32 v30, v30, v33, 0x5040100
	v_cndmask_b32_e32 v34, 0, v31, vcc_lo
	s_mov_b32 vcc_lo, s3
	v_cndmask_b32_sdwa v31, v94, v31, vcc_lo dst_sel:DWORD dst_unused:UNUSED_PAD src0_sel:DWORD src1_sel:WORD_1
	v_cmp_gt_i32_e32 vcc_lo, s30, v104
	v_perm_b32 v31, v31, v34, 0x5040100
	v_cndmask_b32_e32 v35, 0, v32, vcc_lo
	s_mov_b32 vcc_lo, s2
	v_cndmask_b32_sdwa v32, v94, v32, vcc_lo dst_sel:DWORD dst_unused:UNUSED_PAD src0_sel:DWORD src1_sel:WORD_1
	v_perm_b32 v32, v32, v35, 0x5040100
	s_or_b32 exec_lo, exec_lo, s23
	global_load_dwordx4 v[33:36], v[23:24], off offset:1536
	s_and_saveexec_b32 s23, s1
	s_cbranch_execnz .LBB134_49
	s_branch .LBB134_50
.LBB134_65:                             ;   in Loop: Header=BB134_39 Depth=1
	v_cmp_gt_i32_e64 s2, s30, v108
	v_cmp_gt_i32_e32 vcc_lo, s18, v111
	v_cmp_gt_i32_e64 s3, s30, v110
	s_waitcnt vmcnt(0)
	v_cndmask_b32_e64 v0, 0, v37, s2
	v_cmp_gt_i32_e64 s2, s18, v109
	v_cndmask_b32_sdwa v37, v94, v37, vcc_lo dst_sel:DWORD dst_unused:UNUSED_PAD src0_sel:DWORD src1_sel:WORD_1
	v_cndmask_b32_e64 v41, 0, v38, s3
	v_cmp_gt_i32_e64 s3, s18, v107
	s_mov_b32 vcc_lo, s2
	v_cmp_gt_i32_e64 s2, s18, v105
	v_cndmask_b32_sdwa v38, v94, v38, vcc_lo dst_sel:DWORD dst_unused:UNUSED_PAD src0_sel:DWORD src1_sel:WORD_1
	v_cmp_gt_i32_e32 vcc_lo, s30, v106
	v_perm_b32 v37, v37, v0, 0x5040100
	v_perm_b32 v38, v38, v41, 0x5040100
	v_cndmask_b32_e32 v42, 0, v39, vcc_lo
	s_mov_b32 vcc_lo, s3
	v_cndmask_b32_sdwa v39, v94, v39, vcc_lo dst_sel:DWORD dst_unused:UNUSED_PAD src0_sel:DWORD src1_sel:WORD_1
	v_cmp_gt_i32_e32 vcc_lo, s30, v104
	v_perm_b32 v39, v39, v42, 0x5040100
	v_cndmask_b32_e32 v43, 0, v40, vcc_lo
	s_mov_b32 vcc_lo, s2
	v_cndmask_b32_sdwa v40, v94, v40, vcc_lo dst_sel:DWORD dst_unused:UNUSED_PAD src0_sel:DWORD src1_sel:WORD_1
	v_perm_b32 v40, v40, v43, 0x5040100
	s_or_b32 exec_lo, exec_lo, s23
	global_load_dwordx4 v[41:44], v[23:24], off offset:512
	s_and_saveexec_b32 s23, s1
	s_cbranch_execz .LBB134_52
.LBB134_66:                             ;   in Loop: Header=BB134_39 Depth=1
	v_cmp_gt_i32_e64 s2, s30, v108
	v_cmp_gt_i32_e32 vcc_lo, s18, v111
	v_cmp_gt_i32_e64 s3, s30, v110
	s_waitcnt vmcnt(0)
	v_cndmask_b32_e64 v0, 0, v41, s2
	v_cmp_gt_i32_e64 s2, s18, v109
	v_cndmask_b32_sdwa v41, v94, v41, vcc_lo dst_sel:DWORD dst_unused:UNUSED_PAD src0_sel:DWORD src1_sel:WORD_1
	v_cndmask_b32_e64 v53, 0, v42, s3
	v_cmp_gt_i32_e64 s3, s18, v107
	s_mov_b32 vcc_lo, s2
	v_cmp_gt_i32_e64 s2, s18, v105
	v_cndmask_b32_sdwa v42, v94, v42, vcc_lo dst_sel:DWORD dst_unused:UNUSED_PAD src0_sel:DWORD src1_sel:WORD_1
	v_cmp_gt_i32_e32 vcc_lo, s30, v106
	v_perm_b32 v41, v41, v0, 0x5040100
	v_perm_b32 v42, v42, v53, 0x5040100
	v_cndmask_b32_e32 v54, 0, v43, vcc_lo
	s_mov_b32 vcc_lo, s3
	v_cndmask_b32_sdwa v43, v94, v43, vcc_lo dst_sel:DWORD dst_unused:UNUSED_PAD src0_sel:DWORD src1_sel:WORD_1
	v_cmp_gt_i32_e32 vcc_lo, s30, v104
	v_perm_b32 v43, v43, v54, 0x5040100
	v_cndmask_b32_e32 v55, 0, v44, vcc_lo
	s_mov_b32 vcc_lo, s2
	v_cndmask_b32_sdwa v44, v94, v44, vcc_lo dst_sel:DWORD dst_unused:UNUSED_PAD src0_sel:DWORD src1_sel:WORD_1
	v_perm_b32 v44, v44, v55, 0x5040100
	s_or_b32 exec_lo, exec_lo, s23
	global_load_dwordx4 v[53:56], v[23:24], off offset:1024
	s_and_saveexec_b32 s23, s1
	s_cbranch_execz .LBB134_53
.LBB134_67:                             ;   in Loop: Header=BB134_39 Depth=1
	v_cmp_gt_i32_e64 s2, s30, v108
	v_cmp_gt_i32_e32 vcc_lo, s18, v111
	v_cmp_gt_i32_e64 s3, s30, v110
	s_waitcnt vmcnt(0)
	v_cndmask_b32_e64 v0, 0, v53, s2
	v_cmp_gt_i32_e64 s2, s18, v109
	v_cndmask_b32_sdwa v53, v94, v53, vcc_lo dst_sel:DWORD dst_unused:UNUSED_PAD src0_sel:DWORD src1_sel:WORD_1
	v_cndmask_b32_e64 v57, 0, v54, s3
	v_cmp_gt_i32_e64 s3, s18, v107
	s_mov_b32 vcc_lo, s2
	v_cmp_gt_i32_e64 s2, s18, v105
	v_cndmask_b32_sdwa v54, v94, v54, vcc_lo dst_sel:DWORD dst_unused:UNUSED_PAD src0_sel:DWORD src1_sel:WORD_1
	v_cmp_gt_i32_e32 vcc_lo, s30, v106
	v_perm_b32 v53, v53, v0, 0x5040100
	v_perm_b32 v54, v54, v57, 0x5040100
	v_cndmask_b32_e32 v58, 0, v55, vcc_lo
	s_mov_b32 vcc_lo, s3
	v_cndmask_b32_sdwa v55, v94, v55, vcc_lo dst_sel:DWORD dst_unused:UNUSED_PAD src0_sel:DWORD src1_sel:WORD_1
	v_cmp_gt_i32_e32 vcc_lo, s30, v104
	v_perm_b32 v55, v55, v58, 0x5040100
	v_cndmask_b32_e32 v59, 0, v56, vcc_lo
	s_mov_b32 vcc_lo, s2
	v_cndmask_b32_sdwa v56, v94, v56, vcc_lo dst_sel:DWORD dst_unused:UNUSED_PAD src0_sel:DWORD src1_sel:WORD_1
	v_perm_b32 v56, v56, v59, 0x5040100
	s_or_b32 exec_lo, exec_lo, s23
	global_load_dwordx4 v[57:60], v[23:24], off offset:1536
	s_and_saveexec_b32 s23, s1
	s_cbranch_execnz .LBB134_54
	s_branch .LBB134_55
.LBB134_68:                             ;   in Loop: Header=BB134_39 Depth=1
	v_cmp_gt_i32_e64 s2, s30, v108
	v_cmp_gt_i32_e32 vcc_lo, s18, v111
	v_cmp_gt_i32_e64 s3, s30, v110
	s_waitcnt vmcnt(0)
	v_cndmask_b32_e64 v0, 0, v61, s2
	v_cmp_gt_i32_e64 s2, s18, v109
	v_cndmask_b32_sdwa v24, v94, v61, vcc_lo dst_sel:DWORD dst_unused:UNUSED_PAD src0_sel:DWORD src1_sel:WORD_1
	v_cndmask_b32_e64 v23, 0, v62, s3
	v_cmp_gt_i32_e64 s3, s18, v107
	s_mov_b32 vcc_lo, s2
	v_cmp_gt_i32_e64 s2, s18, v105
	v_cndmask_b32_sdwa v62, v94, v62, vcc_lo dst_sel:DWORD dst_unused:UNUSED_PAD src0_sel:DWORD src1_sel:WORD_1
	v_cmp_gt_i32_e32 vcc_lo, s30, v106
	v_perm_b32 v61, v24, v0, 0x5040100
	v_perm_b32 v62, v62, v23, 0x5040100
	v_cndmask_b32_e32 v65, 0, v63, vcc_lo
	s_mov_b32 vcc_lo, s3
	v_cndmask_b32_sdwa v63, v94, v63, vcc_lo dst_sel:DWORD dst_unused:UNUSED_PAD src0_sel:DWORD src1_sel:WORD_1
	v_cmp_gt_i32_e32 vcc_lo, s30, v104
	v_perm_b32 v63, v63, v65, 0x5040100
	v_cndmask_b32_e32 v66, 0, v64, vcc_lo
	s_mov_b32 vcc_lo, s2
	v_cndmask_b32_sdwa v64, v94, v64, vcc_lo dst_sel:DWORD dst_unused:UNUSED_PAD src0_sel:DWORD src1_sel:WORD_1
	v_perm_b32 v64, v64, v66, 0x5040100
	s_or_b32 exec_lo, exec_lo, s23
	global_load_dwordx4 v[65:68], v[21:22], off offset:512
	s_and_saveexec_b32 s23, s1
	s_cbranch_execz .LBB134_57
.LBB134_69:                             ;   in Loop: Header=BB134_39 Depth=1
	v_cmp_gt_i32_e64 s2, s30, v108
	v_cmp_gt_i32_e32 vcc_lo, s18, v111
	v_cmp_gt_i32_e64 s3, s30, v110
	s_waitcnt vmcnt(0)
	v_cndmask_b32_e64 v0, 0, v65, s2
	v_cmp_gt_i32_e64 s2, s18, v109
	v_cndmask_b32_sdwa v24, v94, v65, vcc_lo dst_sel:DWORD dst_unused:UNUSED_PAD src0_sel:DWORD src1_sel:WORD_1
	v_cndmask_b32_e64 v23, 0, v66, s3
	v_cmp_gt_i32_e64 s3, s18, v107
	s_mov_b32 vcc_lo, s2
	v_cmp_gt_i32_e64 s2, s18, v105
	v_cndmask_b32_sdwa v66, v94, v66, vcc_lo dst_sel:DWORD dst_unused:UNUSED_PAD src0_sel:DWORD src1_sel:WORD_1
	v_cmp_gt_i32_e32 vcc_lo, s30, v106
	v_perm_b32 v65, v24, v0, 0x5040100
	v_perm_b32 v66, v66, v23, 0x5040100
	v_cndmask_b32_e32 v69, 0, v67, vcc_lo
	s_mov_b32 vcc_lo, s3
	v_cndmask_b32_sdwa v67, v94, v67, vcc_lo dst_sel:DWORD dst_unused:UNUSED_PAD src0_sel:DWORD src1_sel:WORD_1
	v_cmp_gt_i32_e32 vcc_lo, s30, v104
	v_perm_b32 v67, v67, v69, 0x5040100
	v_cndmask_b32_e32 v70, 0, v68, vcc_lo
	s_mov_b32 vcc_lo, s2
	v_cndmask_b32_sdwa v68, v94, v68, vcc_lo dst_sel:DWORD dst_unused:UNUSED_PAD src0_sel:DWORD src1_sel:WORD_1
	v_perm_b32 v68, v68, v70, 0x5040100
	s_or_b32 exec_lo, exec_lo, s23
	global_load_dwordx4 v[69:72], v[21:22], off offset:1024
	s_and_saveexec_b32 s23, s1
	s_cbranch_execz .LBB134_58
.LBB134_70:                             ;   in Loop: Header=BB134_39 Depth=1
	v_cmp_gt_i32_e64 s2, s30, v108
	v_cmp_gt_i32_e32 vcc_lo, s18, v111
	v_cmp_gt_i32_e64 s3, s30, v110
	s_waitcnt vmcnt(0)
	v_cndmask_b32_e64 v0, 0, v69, s2
	v_cmp_gt_i32_e64 s2, s18, v109
	v_cndmask_b32_sdwa v24, v94, v69, vcc_lo dst_sel:DWORD dst_unused:UNUSED_PAD src0_sel:DWORD src1_sel:WORD_1
	v_cndmask_b32_e64 v23, 0, v70, s3
	v_cmp_gt_i32_e64 s3, s18, v107
	s_mov_b32 vcc_lo, s2
	v_cmp_gt_i32_e64 s2, s18, v105
	v_cndmask_b32_sdwa v70, v94, v70, vcc_lo dst_sel:DWORD dst_unused:UNUSED_PAD src0_sel:DWORD src1_sel:WORD_1
	v_cmp_gt_i32_e32 vcc_lo, s30, v106
	v_perm_b32 v69, v24, v0, 0x5040100
	v_perm_b32 v70, v70, v23, 0x5040100
	v_cndmask_b32_e32 v95, 0, v71, vcc_lo
	s_mov_b32 vcc_lo, s3
	v_cndmask_b32_sdwa v71, v94, v71, vcc_lo dst_sel:DWORD dst_unused:UNUSED_PAD src0_sel:DWORD src1_sel:WORD_1
	v_cmp_gt_i32_e32 vcc_lo, s30, v104
	v_perm_b32 v71, v71, v95, 0x5040100
	v_cndmask_b32_e32 v96, 0, v72, vcc_lo
	s_mov_b32 vcc_lo, s2
	v_cndmask_b32_sdwa v72, v94, v72, vcc_lo dst_sel:DWORD dst_unused:UNUSED_PAD src0_sel:DWORD src1_sel:WORD_1
	v_perm_b32 v72, v72, v96, 0x5040100
	s_or_b32 exec_lo, exec_lo, s23
	global_load_dwordx4 v[21:24], v[21:22], off offset:1536
	s_and_saveexec_b32 s3, s1
	s_cbranch_execz .LBB134_37
.LBB134_71:                             ;   in Loop: Header=BB134_39 Depth=1
	v_cmp_gt_i32_e64 s1, s30, v108
	v_cmp_gt_i32_e32 vcc_lo, s18, v111
	v_cmp_gt_i32_e64 s2, s30, v110
	s_waitcnt vmcnt(0)
	v_cndmask_b32_e64 v0, 0, v21, s1
	v_cmp_gt_i32_e64 s1, s18, v109
	v_cndmask_b32_sdwa v21, v94, v21, vcc_lo dst_sel:DWORD dst_unused:UNUSED_PAD src0_sel:DWORD src1_sel:WORD_1
	v_cndmask_b32_e64 v95, 0, v22, s2
	v_cmp_gt_i32_e64 s2, s18, v107
	s_mov_b32 vcc_lo, s1
	v_cmp_gt_i32_e64 s1, s18, v105
	v_cndmask_b32_sdwa v22, v94, v22, vcc_lo dst_sel:DWORD dst_unused:UNUSED_PAD src0_sel:DWORD src1_sel:WORD_1
	v_cmp_gt_i32_e32 vcc_lo, s30, v106
	v_perm_b32 v21, v21, v0, 0x5040100
	v_perm_b32 v22, v22, v95, 0x5040100
	v_cndmask_b32_e32 v96, 0, v23, vcc_lo
	s_mov_b32 vcc_lo, s2
	v_cndmask_b32_sdwa v23, v94, v23, vcc_lo dst_sel:DWORD dst_unused:UNUSED_PAD src0_sel:DWORD src1_sel:WORD_1
	v_cmp_gt_i32_e32 vcc_lo, s30, v104
	v_perm_b32 v23, v23, v96, 0x5040100
	v_cndmask_b32_e32 v97, 0, v24, vcc_lo
	s_mov_b32 vcc_lo, s1
	v_cndmask_b32_sdwa v24, v94, v24, vcc_lo dst_sel:DWORD dst_unused:UNUSED_PAD src0_sel:DWORD src1_sel:WORD_1
	v_perm_b32 v24, v24, v97, 0x5040100
	s_branch .LBB134_37
.LBB134_72:
	s_or_b32 exec_lo, exec_lo, s17
.LBB134_73:
	s_or_b32 exec_lo, exec_lo, s4
	ds_bpermute_b32 v0, v76, v92
	ds_bpermute_b32 v6, v76, v86
	ds_bpermute_b32 v18, v76, v82
	ds_bpermute_b32 v7, v76, v85
	ds_bpermute_b32 v17, v76, v83
	ds_bpermute_b32 v1, v76, v91
	ds_bpermute_b32 v2, v76, v90
	ds_bpermute_b32 v3, v76, v89
	ds_bpermute_b32 v4, v76, v88
	ds_bpermute_b32 v5, v76, v87
	ds_bpermute_b32 v8, v76, v84
	ds_bpermute_b32 v19, v76, v81
	ds_bpermute_b32 v20, v76, v80
	ds_bpermute_b32 v21, v76, v79
	ds_bpermute_b32 v22, v76, v78
	ds_bpermute_b32 v23, v76, v77
	s_mov_b32 s1, exec_lo
	s_waitcnt lgkmcnt(15)
	v_add_f32_e32 v16, v92, v0
	s_waitcnt lgkmcnt(14)
	v_add_f32_e32 v10, v86, v6
	;; [unrolled: 2-line block ×3, first 2 shown]
	s_clause 0x1
	buffer_load_dword v0, off, s[40:43], 0 offset:16
	buffer_load_dword v18, off, s[40:43], 0 offset:52
	s_waitcnt lgkmcnt(12)
	v_add_f32_e32 v9, v85, v7
	s_waitcnt lgkmcnt(11)
	v_add_f32_e32 v7, v83, v17
	v_lshrrev_b32_e32 v17, 1, v75
	s_waitcnt lgkmcnt(10)
	v_add_f32_e32 v15, v91, v1
	s_waitcnt lgkmcnt(9)
	v_add_f32_e32 v14, v90, v2
	;; [unrolled: 2-line block ×11, first 2 shown]
	s_waitcnt vmcnt(0)
	s_barrier
	buffer_gl0_inv
	v_and_b32_e32 v19, 0x3c1, v0
	v_lshl_add_u32 v0, v17, 2, 0x220
	v_lshlrev_b32_e32 v18, 10, v18
	v_cmpx_eq_u32_e32 64, v19
	s_cbranch_execz .LBB134_75
; %bb.74:
	v_add_nc_u32_e32 v19, v0, v18
	v_add_nc_u32_e32 v20, 0xfffff800, v19
	v_add_nc_u32_e32 v21, 0xfffff840, v19
	v_add_nc_u32_e32 v22, 0xfffff880, v19
	v_add_nc_u32_e32 v23, 0xfffff8c0, v19
	v_add_nc_u32_e32 v24, 0xfffff900, v19
	v_add_nc_u32_e32 v25, 0xfffff940, v19
	ds_write_b32 v20, v16
	ds_write_b32 v21, v15
	ds_write_b32 v22, v14
	ds_write_b32 v23, v13
	ds_write_b32 v24, v12
	ds_write_b32 v25, v11
	v_add_nc_u32_e32 v20, 0xfffff980, v19
	v_add_nc_u32_e32 v21, 0xfffff9c0, v19
	;; [unrolled: 1-line block ×5, first 2 shown]
	ds_write_b32 v20, v10
	ds_write_b32 v21, v9
	;; [unrolled: 1-line block ×5, first 2 shown]
	v_add_nc_u32_e32 v20, 0xfffffac0, v19
	v_add_nc_u32_e32 v21, 0xfffffb00, v19
	;; [unrolled: 1-line block ×5, first 2 shown]
	ds_write_b32 v20, v5
	ds_write_b32 v21, v4
	;; [unrolled: 1-line block ×5, first 2 shown]
.LBB134_75:
	s_or_b32 exec_lo, exec_lo, s1
	buffer_load_dword v19, off, s[40:43], 0 offset:56 ; 4-byte Folded Reload
	v_lshlrev_b32_e32 v17, 2, v17
	s_waitcnt vmcnt(0) lgkmcnt(0)
	s_barrier
	buffer_gl0_inv
	v_add3_u32 v17, 0x220, v18, v17
	v_cmp_eq_u32_e32 vcc_lo, 0, v19
	s_and_saveexec_b32 s1, s0
	s_cbranch_execz .LBB134_94
; %bb.76:
	s_and_saveexec_b32 s0, vcc_lo
	s_cbranch_execnz .LBB134_118
; %bb.77:
	s_or_b32 exec_lo, exec_lo, s0
	s_and_saveexec_b32 s0, vcc_lo
	s_cbranch_execnz .LBB134_119
.LBB134_78:
	s_or_b32 exec_lo, exec_lo, s0
	s_and_saveexec_b32 s0, vcc_lo
	s_cbranch_execnz .LBB134_120
.LBB134_79:
	s_or_b32 exec_lo, exec_lo, s0
	s_and_saveexec_b32 s0, vcc_lo
	s_cbranch_execnz .LBB134_121
.LBB134_80:
	s_or_b32 exec_lo, exec_lo, s0
	s_and_saveexec_b32 s0, vcc_lo
	s_cbranch_execnz .LBB134_122
.LBB134_81:
	s_or_b32 exec_lo, exec_lo, s0
	s_and_saveexec_b32 s0, vcc_lo
	s_cbranch_execnz .LBB134_123
.LBB134_82:
	s_or_b32 exec_lo, exec_lo, s0
	s_and_saveexec_b32 s0, vcc_lo
	s_cbranch_execnz .LBB134_124
.LBB134_83:
	s_or_b32 exec_lo, exec_lo, s0
	s_and_saveexec_b32 s0, vcc_lo
	s_cbranch_execnz .LBB134_125
.LBB134_84:
	s_or_b32 exec_lo, exec_lo, s0
	s_and_saveexec_b32 s0, vcc_lo
	s_cbranch_execnz .LBB134_126
.LBB134_85:
	s_or_b32 exec_lo, exec_lo, s0
	s_and_saveexec_b32 s0, vcc_lo
	s_cbranch_execnz .LBB134_127
.LBB134_86:
	s_or_b32 exec_lo, exec_lo, s0
	s_and_saveexec_b32 s0, vcc_lo
	s_cbranch_execnz .LBB134_128
.LBB134_87:
	s_or_b32 exec_lo, exec_lo, s0
	s_and_saveexec_b32 s0, vcc_lo
	s_cbranch_execnz .LBB134_129
.LBB134_88:
	s_or_b32 exec_lo, exec_lo, s0
	s_and_saveexec_b32 s0, vcc_lo
	s_cbranch_execnz .LBB134_130
.LBB134_89:
	s_or_b32 exec_lo, exec_lo, s0
	s_and_saveexec_b32 s0, vcc_lo
	s_cbranch_execnz .LBB134_131
.LBB134_90:
	s_or_b32 exec_lo, exec_lo, s0
	s_and_saveexec_b32 s0, vcc_lo
	s_cbranch_execnz .LBB134_132
.LBB134_91:
	s_or_b32 exec_lo, exec_lo, s0
	s_and_saveexec_b32 s0, vcc_lo
	s_cbranch_execz .LBB134_93
.LBB134_92:
	ds_read_b32 v18, v17 offset:960
	s_waitcnt lgkmcnt(0)
	v_add_f32_e32 v2, v2, v18
.LBB134_93:
	s_or_b32 exec_lo, exec_lo, s0
.LBB134_94:
	s_or_b32 exec_lo, exec_lo, s1
	buffer_load_dword v18, off, s[40:43], 0 offset:16 ; 4-byte Folded Reload
	s_mov_b32 s1, exec_lo
	s_waitcnt vmcnt(0)
	s_barrier
	buffer_gl0_inv
	v_and_b32_e32 v18, 0x3e1, v18
	v_cmpx_eq_u32_e32 32, v18
	s_cbranch_execz .LBB134_96
; %bb.95:
	ds_write2_b32 v0, v16, v15 offset1:16
	ds_write2_b32 v0, v14, v13 offset0:32 offset1:48
	ds_write2_b32 v0, v12, v11 offset0:64 offset1:80
	;; [unrolled: 1-line block ×7, first 2 shown]
.LBB134_96:
	s_or_b32 exec_lo, exec_lo, s1
	buffer_load_dword v0, off, s[40:43], 0 offset:16 ; 4-byte Folded Reload
	s_mov_b32 s1, exec_lo
	s_waitcnt vmcnt(0) lgkmcnt(0)
	s_barrier
	buffer_gl0_inv
	v_cmpx_gt_u32_e32 32, v0
	s_cbranch_execz .LBB134_115
; %bb.97:
	s_and_saveexec_b32 s0, vcc_lo
	s_cbranch_execnz .LBB134_133
; %bb.98:
	s_or_b32 exec_lo, exec_lo, s0
	s_and_saveexec_b32 s0, vcc_lo
	s_cbranch_execnz .LBB134_134
.LBB134_99:
	s_or_b32 exec_lo, exec_lo, s0
	s_and_saveexec_b32 s0, vcc_lo
	s_cbranch_execnz .LBB134_135
.LBB134_100:
	s_or_b32 exec_lo, exec_lo, s0
	s_and_saveexec_b32 s0, vcc_lo
	s_cbranch_execnz .LBB134_136
.LBB134_101:
	s_or_b32 exec_lo, exec_lo, s0
	s_and_saveexec_b32 s0, vcc_lo
	s_cbranch_execnz .LBB134_137
.LBB134_102:
	s_or_b32 exec_lo, exec_lo, s0
	s_and_saveexec_b32 s0, vcc_lo
	s_cbranch_execnz .LBB134_138
.LBB134_103:
	s_or_b32 exec_lo, exec_lo, s0
	s_and_saveexec_b32 s0, vcc_lo
	s_cbranch_execnz .LBB134_139
.LBB134_104:
	s_or_b32 exec_lo, exec_lo, s0
	s_and_saveexec_b32 s0, vcc_lo
	s_cbranch_execnz .LBB134_140
.LBB134_105:
	s_or_b32 exec_lo, exec_lo, s0
	s_and_saveexec_b32 s0, vcc_lo
	s_cbranch_execnz .LBB134_141
.LBB134_106:
	s_or_b32 exec_lo, exec_lo, s0
	s_and_saveexec_b32 s0, vcc_lo
	s_cbranch_execnz .LBB134_142
.LBB134_107:
	s_or_b32 exec_lo, exec_lo, s0
	s_and_saveexec_b32 s0, vcc_lo
	s_cbranch_execnz .LBB134_143
.LBB134_108:
	s_or_b32 exec_lo, exec_lo, s0
	s_and_saveexec_b32 s0, vcc_lo
	s_cbranch_execnz .LBB134_144
.LBB134_109:
	s_or_b32 exec_lo, exec_lo, s0
	s_and_saveexec_b32 s0, vcc_lo
	s_cbranch_execnz .LBB134_145
.LBB134_110:
	s_or_b32 exec_lo, exec_lo, s0
	s_and_saveexec_b32 s0, vcc_lo
	s_cbranch_execnz .LBB134_146
.LBB134_111:
	s_or_b32 exec_lo, exec_lo, s0
	s_and_saveexec_b32 s0, vcc_lo
	s_cbranch_execnz .LBB134_147
.LBB134_112:
	s_or_b32 exec_lo, exec_lo, s0
	s_and_saveexec_b32 s0, vcc_lo
	s_cbranch_execz .LBB134_114
.LBB134_113:
	ds_read_b32 v0, v17 offset:960
	s_waitcnt lgkmcnt(0)
	v_add_f32_e32 v2, v2, v0
.LBB134_114:
	s_or_b32 exec_lo, exec_lo, s0
.LBB134_115:
	s_or_b32 exec_lo, exec_lo, s1
	s_barrier
	buffer_gl0_inv
	s_mov_b32 s0, exec_lo
	v_cmpx_eq_u32_e32 0, v18
	s_cbranch_execz .LBB134_117
; %bb.116:
	s_mul_i32 s0, s10, s11
	s_mul_i32 s2, s11, s20
	;; [unrolled: 1-line block ×3, first 2 shown]
	v_bfe_u32 v17, v16, 16, 1
	s_lshl_b32 s0, s0, 8
	v_or_b32_e32 v18, 0x400000, v16
	s_ashr_i32 s1, s0, 31
	v_bfe_u32 v19, v15, 16, 1
	s_lshl_b64 s[0:1], s[0:1], 1
	v_add3_u32 v17, v17, v16, 0x7fff
	s_add_u32 s4, s6, s0
	s_addc_u32 s5, s7, s1
	s_ashr_i32 s3, s2, 31
	v_cmp_u_f32_e32 vcc_lo, v16, v16
	s_lshl_b64 s[0:1], s[2:3], 1
	v_lshlrev_b32_e32 v0, 1, v112
	s_add_u32 s2, s4, s0
	s_addc_u32 s3, s5, s1
	s_lshl_b32 s0, s8, 8
	v_cndmask_b32_e32 v16, v17, v18, vcc_lo
	s_ashr_i32 s1, s0, 31
	v_bfe_u32 v17, v14, 16, 1
	s_lshl_b64 s[0:1], s[0:1], 1
	v_add3_u32 v18, v19, v15, 0x7fff
	v_or_b32_e32 v19, 0x400000, v15
	v_cmp_u_f32_e32 vcc_lo, v15, v15
	s_add_u32 s0, s2, s0
	s_addc_u32 s1, s3, s1
	global_store_short_d16_hi v0, v16, s[0:1]
	v_add3_u32 v16, v17, v14, 0x7fff
	v_or_b32_e32 v17, 0x400000, v14
	v_cndmask_b32_e32 v15, v18, v19, vcc_lo
	v_bfe_u32 v18, v13, 16, 1
	v_cmp_u_f32_e32 vcc_lo, v14, v14
	global_store_short_d16_hi v0, v15, s[0:1] offset:32
	v_add3_u32 v15, v18, v13, 0x7fff
	v_cndmask_b32_e32 v14, v16, v17, vcc_lo
	v_bfe_u32 v16, v12, 16, 1
	v_or_b32_e32 v17, 0x400000, v13
	v_cmp_u_f32_e32 vcc_lo, v13, v13
	global_store_short_d16_hi v0, v14, s[0:1] offset:64
	v_add3_u32 v14, v16, v12, 0x7fff
	v_or_b32_e32 v16, 0x400000, v12
	v_cndmask_b32_e32 v13, v15, v17, vcc_lo
	v_bfe_u32 v15, v11, 16, 1
	v_cmp_u_f32_e32 vcc_lo, v12, v12
	global_store_short_d16_hi v0, v13, s[0:1] offset:96
	v_add3_u32 v13, v15, v11, 0x7fff
	v_cndmask_b32_e32 v12, v14, v16, vcc_lo
	v_bfe_u32 v14, v10, 16, 1
	v_or_b32_e32 v15, 0x400000, v11
	v_cmp_u_f32_e32 vcc_lo, v11, v11
	global_store_short_d16_hi v0, v12, s[0:1] offset:128
	;; [unrolled: 12-line block ×4, first 2 shown]
	v_add3_u32 v8, v10, v6, 0x7fff
	v_or_b32_e32 v10, 0x400000, v6
	v_cndmask_b32_e32 v7, v9, v11, vcc_lo
	v_bfe_u32 v9, v5, 16, 1
	v_cmp_u_f32_e32 vcc_lo, v6, v6
	v_or_b32_e32 v11, 0x400000, v2
	global_store_short_d16_hi v0, v7, s[0:1] offset:288
	v_add3_u32 v7, v9, v5, 0x7fff
	v_cndmask_b32_e32 v6, v8, v10, vcc_lo
	v_bfe_u32 v8, v4, 16, 1
	v_or_b32_e32 v9, 0x400000, v5
	v_cmp_u_f32_e32 vcc_lo, v5, v5
	v_or_b32_e32 v10, 0x400000, v3
	global_store_short_d16_hi v0, v6, s[0:1] offset:320
	v_add3_u32 v6, v8, v4, 0x7fff
	v_or_b32_e32 v8, 0x400000, v4
	v_cndmask_b32_e32 v5, v7, v9, vcc_lo
	v_bfe_u32 v7, v1, 16, 1
	v_cmp_u_f32_e32 vcc_lo, v4, v4
	v_bfe_u32 v9, v3, 16, 1
	v_add3_u32 v7, v7, v1, 0x7fff
	v_cndmask_b32_e32 v4, v6, v8, vcc_lo
	v_or_b32_e32 v8, 0x400000, v1
	v_cmp_u_f32_e32 vcc_lo, v1, v1
	v_bfe_u32 v6, v2, 16, 1
	v_add3_u32 v9, v9, v3, 0x7fff
	v_cndmask_b32_e32 v1, v7, v8, vcc_lo
	v_cmp_u_f32_e32 vcc_lo, v3, v3
	v_add3_u32 v6, v6, v2, 0x7fff
	v_cndmask_b32_e32 v3, v9, v10, vcc_lo
	v_cmp_u_f32_e32 vcc_lo, v2, v2
	v_cndmask_b32_e32 v2, v6, v11, vcc_lo
	global_store_short_d16_hi v0, v5, s[0:1] offset:352
	global_store_short_d16_hi v0, v4, s[0:1] offset:384
	;; [unrolled: 1-line block ×5, first 2 shown]
.LBB134_117:
	s_endpgm
.LBB134_118:
	ds_read_b32 v18, v17
	s_waitcnt lgkmcnt(0)
	v_add_f32_e32 v16, v16, v18
	s_or_b32 exec_lo, exec_lo, s0
	s_and_saveexec_b32 s0, vcc_lo
	s_cbranch_execz .LBB134_78
.LBB134_119:
	ds_read_b32 v18, v17 offset:64
	s_waitcnt lgkmcnt(0)
	v_add_f32_e32 v15, v15, v18
	s_or_b32 exec_lo, exec_lo, s0
	s_and_saveexec_b32 s0, vcc_lo
	s_cbranch_execz .LBB134_79
.LBB134_120:
	ds_read_b32 v18, v17 offset:128
	s_waitcnt lgkmcnt(0)
	v_add_f32_e32 v14, v14, v18
	s_or_b32 exec_lo, exec_lo, s0
	s_and_saveexec_b32 s0, vcc_lo
	s_cbranch_execz .LBB134_80
.LBB134_121:
	ds_read_b32 v18, v17 offset:192
	s_waitcnt lgkmcnt(0)
	v_add_f32_e32 v13, v13, v18
	s_or_b32 exec_lo, exec_lo, s0
	s_and_saveexec_b32 s0, vcc_lo
	s_cbranch_execz .LBB134_81
.LBB134_122:
	ds_read_b32 v18, v17 offset:256
	s_waitcnt lgkmcnt(0)
	v_add_f32_e32 v12, v12, v18
	s_or_b32 exec_lo, exec_lo, s0
	s_and_saveexec_b32 s0, vcc_lo
	s_cbranch_execz .LBB134_82
.LBB134_123:
	ds_read_b32 v18, v17 offset:320
	s_waitcnt lgkmcnt(0)
	v_add_f32_e32 v11, v11, v18
	s_or_b32 exec_lo, exec_lo, s0
	s_and_saveexec_b32 s0, vcc_lo
	s_cbranch_execz .LBB134_83
.LBB134_124:
	ds_read_b32 v18, v17 offset:384
	s_waitcnt lgkmcnt(0)
	v_add_f32_e32 v10, v10, v18
	s_or_b32 exec_lo, exec_lo, s0
	s_and_saveexec_b32 s0, vcc_lo
	s_cbranch_execz .LBB134_84
.LBB134_125:
	ds_read_b32 v18, v17 offset:448
	s_waitcnt lgkmcnt(0)
	v_add_f32_e32 v9, v9, v18
	s_or_b32 exec_lo, exec_lo, s0
	s_and_saveexec_b32 s0, vcc_lo
	s_cbranch_execz .LBB134_85
.LBB134_126:
	ds_read_b32 v18, v17 offset:512
	s_waitcnt lgkmcnt(0)
	v_add_f32_e32 v8, v8, v18
	s_or_b32 exec_lo, exec_lo, s0
	s_and_saveexec_b32 s0, vcc_lo
	s_cbranch_execz .LBB134_86
.LBB134_127:
	ds_read_b32 v18, v17 offset:576
	s_waitcnt lgkmcnt(0)
	v_add_f32_e32 v7, v7, v18
	s_or_b32 exec_lo, exec_lo, s0
	s_and_saveexec_b32 s0, vcc_lo
	s_cbranch_execz .LBB134_87
.LBB134_128:
	ds_read_b32 v18, v17 offset:640
	s_waitcnt lgkmcnt(0)
	v_add_f32_e32 v6, v6, v18
	s_or_b32 exec_lo, exec_lo, s0
	s_and_saveexec_b32 s0, vcc_lo
	s_cbranch_execz .LBB134_88
.LBB134_129:
	ds_read_b32 v18, v17 offset:704
	s_waitcnt lgkmcnt(0)
	v_add_f32_e32 v5, v5, v18
	s_or_b32 exec_lo, exec_lo, s0
	s_and_saveexec_b32 s0, vcc_lo
	s_cbranch_execz .LBB134_89
.LBB134_130:
	ds_read_b32 v18, v17 offset:768
	s_waitcnt lgkmcnt(0)
	v_add_f32_e32 v4, v4, v18
	s_or_b32 exec_lo, exec_lo, s0
	s_and_saveexec_b32 s0, vcc_lo
	s_cbranch_execz .LBB134_90
.LBB134_131:
	ds_read_b32 v18, v17 offset:832
	s_waitcnt lgkmcnt(0)
	v_add_f32_e32 v1, v1, v18
	s_or_b32 exec_lo, exec_lo, s0
	s_and_saveexec_b32 s0, vcc_lo
	s_cbranch_execz .LBB134_91
.LBB134_132:
	ds_read_b32 v18, v17 offset:896
	s_waitcnt lgkmcnt(0)
	v_add_f32_e32 v3, v3, v18
	s_or_b32 exec_lo, exec_lo, s0
	s_and_saveexec_b32 s0, vcc_lo
	s_cbranch_execnz .LBB134_92
	s_branch .LBB134_93
.LBB134_133:
	ds_read_b32 v0, v17
	s_waitcnt lgkmcnt(0)
	v_add_f32_e32 v16, v16, v0
	s_or_b32 exec_lo, exec_lo, s0
	s_and_saveexec_b32 s0, vcc_lo
	s_cbranch_execz .LBB134_99
.LBB134_134:
	ds_read_b32 v0, v17 offset:64
	s_waitcnt lgkmcnt(0)
	v_add_f32_e32 v15, v15, v0
	s_or_b32 exec_lo, exec_lo, s0
	s_and_saveexec_b32 s0, vcc_lo
	s_cbranch_execz .LBB134_100
.LBB134_135:
	ds_read_b32 v0, v17 offset:128
	s_waitcnt lgkmcnt(0)
	v_add_f32_e32 v14, v14, v0
	s_or_b32 exec_lo, exec_lo, s0
	s_and_saveexec_b32 s0, vcc_lo
	s_cbranch_execz .LBB134_101
.LBB134_136:
	ds_read_b32 v0, v17 offset:192
	s_waitcnt lgkmcnt(0)
	v_add_f32_e32 v13, v13, v0
	s_or_b32 exec_lo, exec_lo, s0
	s_and_saveexec_b32 s0, vcc_lo
	s_cbranch_execz .LBB134_102
.LBB134_137:
	ds_read_b32 v0, v17 offset:256
	s_waitcnt lgkmcnt(0)
	v_add_f32_e32 v12, v12, v0
	s_or_b32 exec_lo, exec_lo, s0
	s_and_saveexec_b32 s0, vcc_lo
	s_cbranch_execz .LBB134_103
.LBB134_138:
	ds_read_b32 v0, v17 offset:320
	s_waitcnt lgkmcnt(0)
	v_add_f32_e32 v11, v11, v0
	s_or_b32 exec_lo, exec_lo, s0
	s_and_saveexec_b32 s0, vcc_lo
	s_cbranch_execz .LBB134_104
.LBB134_139:
	ds_read_b32 v0, v17 offset:384
	s_waitcnt lgkmcnt(0)
	v_add_f32_e32 v10, v10, v0
	s_or_b32 exec_lo, exec_lo, s0
	s_and_saveexec_b32 s0, vcc_lo
	s_cbranch_execz .LBB134_105
.LBB134_140:
	ds_read_b32 v0, v17 offset:448
	s_waitcnt lgkmcnt(0)
	v_add_f32_e32 v9, v9, v0
	s_or_b32 exec_lo, exec_lo, s0
	s_and_saveexec_b32 s0, vcc_lo
	s_cbranch_execz .LBB134_106
.LBB134_141:
	ds_read_b32 v0, v17 offset:512
	s_waitcnt lgkmcnt(0)
	v_add_f32_e32 v8, v8, v0
	s_or_b32 exec_lo, exec_lo, s0
	s_and_saveexec_b32 s0, vcc_lo
	s_cbranch_execz .LBB134_107
.LBB134_142:
	ds_read_b32 v0, v17 offset:576
	s_waitcnt lgkmcnt(0)
	v_add_f32_e32 v7, v7, v0
	s_or_b32 exec_lo, exec_lo, s0
	s_and_saveexec_b32 s0, vcc_lo
	s_cbranch_execz .LBB134_108
.LBB134_143:
	ds_read_b32 v0, v17 offset:640
	s_waitcnt lgkmcnt(0)
	v_add_f32_e32 v6, v6, v0
	s_or_b32 exec_lo, exec_lo, s0
	s_and_saveexec_b32 s0, vcc_lo
	s_cbranch_execz .LBB134_109
.LBB134_144:
	ds_read_b32 v0, v17 offset:704
	s_waitcnt lgkmcnt(0)
	v_add_f32_e32 v5, v5, v0
	s_or_b32 exec_lo, exec_lo, s0
	s_and_saveexec_b32 s0, vcc_lo
	s_cbranch_execz .LBB134_110
.LBB134_145:
	ds_read_b32 v0, v17 offset:768
	s_waitcnt lgkmcnt(0)
	v_add_f32_e32 v4, v4, v0
	s_or_b32 exec_lo, exec_lo, s0
	s_and_saveexec_b32 s0, vcc_lo
	s_cbranch_execz .LBB134_111
.LBB134_146:
	ds_read_b32 v0, v17 offset:832
	s_waitcnt lgkmcnt(0)
	v_add_f32_e32 v1, v1, v0
	s_or_b32 exec_lo, exec_lo, s0
	s_and_saveexec_b32 s0, vcc_lo
	s_cbranch_execz .LBB134_112
.LBB134_147:
	ds_read_b32 v0, v17 offset:896
	s_waitcnt lgkmcnt(0)
	v_add_f32_e32 v3, v3, v0
	s_or_b32 exec_lo, exec_lo, s0
	s_and_saveexec_b32 s0, vcc_lo
	s_cbranch_execnz .LBB134_113
	s_branch .LBB134_114
	.section	.rodata,"a",@progbits
	.p2align	6, 0x0
	.amdhsa_kernel _ZN4vllm25paged_attention_v1_kernelI14__hip_bfloat16S1_Li256ELi16ELi128ELNS_18Fp8KVCacheDataTypeE0ELb1EEEvPT_PKS3_PKT0_S9_ifPKiSB_iPKfiiiSD_SD_iiiii
		.amdhsa_group_segment_fixed_size 544
		.amdhsa_private_segment_fixed_size 72
		.amdhsa_kernarg_size 384
		.amdhsa_user_sgpr_count 6
		.amdhsa_user_sgpr_private_segment_buffer 1
		.amdhsa_user_sgpr_dispatch_ptr 0
		.amdhsa_user_sgpr_queue_ptr 0
		.amdhsa_user_sgpr_kernarg_segment_ptr 1
		.amdhsa_user_sgpr_dispatch_id 0
		.amdhsa_user_sgpr_flat_scratch_init 0
		.amdhsa_user_sgpr_private_segment_size 0
		.amdhsa_wavefront_size32 1
		.amdhsa_uses_dynamic_stack 0
		.amdhsa_system_sgpr_private_segment_wavefront_offset 1
		.amdhsa_system_sgpr_workgroup_id_x 1
		.amdhsa_system_sgpr_workgroup_id_y 1
		.amdhsa_system_sgpr_workgroup_id_z 1
		.amdhsa_system_sgpr_workgroup_info 0
		.amdhsa_system_vgpr_workitem_id 0
		.amdhsa_next_free_vgpr 128
		.amdhsa_next_free_sgpr 44
		.amdhsa_reserve_vcc 1
		.amdhsa_reserve_flat_scratch 0
		.amdhsa_float_round_mode_32 0
		.amdhsa_float_round_mode_16_64 0
		.amdhsa_float_denorm_mode_32 3
		.amdhsa_float_denorm_mode_16_64 3
		.amdhsa_dx10_clamp 1
		.amdhsa_ieee_mode 1
		.amdhsa_fp16_overflow 0
		.amdhsa_workgroup_processor_mode 1
		.amdhsa_memory_ordered 1
		.amdhsa_forward_progress 1
		.amdhsa_shared_vgpr_count 0
		.amdhsa_exception_fp_ieee_invalid_op 0
		.amdhsa_exception_fp_denorm_src 0
		.amdhsa_exception_fp_ieee_div_zero 0
		.amdhsa_exception_fp_ieee_overflow 0
		.amdhsa_exception_fp_ieee_underflow 0
		.amdhsa_exception_fp_ieee_inexact 0
		.amdhsa_exception_int_div_zero 0
	.end_amdhsa_kernel
	.section	.text._ZN4vllm25paged_attention_v1_kernelI14__hip_bfloat16S1_Li256ELi16ELi128ELNS_18Fp8KVCacheDataTypeE0ELb1EEEvPT_PKS3_PKT0_S9_ifPKiSB_iPKfiiiSD_SD_iiiii,"axG",@progbits,_ZN4vllm25paged_attention_v1_kernelI14__hip_bfloat16S1_Li256ELi16ELi128ELNS_18Fp8KVCacheDataTypeE0ELb1EEEvPT_PKS3_PKT0_S9_ifPKiSB_iPKfiiiSD_SD_iiiii,comdat
.Lfunc_end134:
	.size	_ZN4vllm25paged_attention_v1_kernelI14__hip_bfloat16S1_Li256ELi16ELi128ELNS_18Fp8KVCacheDataTypeE0ELb1EEEvPT_PKS3_PKT0_S9_ifPKiSB_iPKfiiiSD_SD_iiiii, .Lfunc_end134-_ZN4vllm25paged_attention_v1_kernelI14__hip_bfloat16S1_Li256ELi16ELi128ELNS_18Fp8KVCacheDataTypeE0ELb1EEEvPT_PKS3_PKT0_S9_ifPKiSB_iPKfiiiSD_SD_iiiii
                                        ; -- End function
	.set _ZN4vllm25paged_attention_v1_kernelI14__hip_bfloat16S1_Li256ELi16ELi128ELNS_18Fp8KVCacheDataTypeE0ELb1EEEvPT_PKS3_PKT0_S9_ifPKiSB_iPKfiiiSD_SD_iiiii.num_vgpr, 128
	.set _ZN4vllm25paged_attention_v1_kernelI14__hip_bfloat16S1_Li256ELi16ELi128ELNS_18Fp8KVCacheDataTypeE0ELb1EEEvPT_PKS3_PKT0_S9_ifPKiSB_iPKfiiiSD_SD_iiiii.num_agpr, 0
	.set _ZN4vllm25paged_attention_v1_kernelI14__hip_bfloat16S1_Li256ELi16ELi128ELNS_18Fp8KVCacheDataTypeE0ELb1EEEvPT_PKS3_PKT0_S9_ifPKiSB_iPKfiiiSD_SD_iiiii.numbered_sgpr, 44
	.set _ZN4vllm25paged_attention_v1_kernelI14__hip_bfloat16S1_Li256ELi16ELi128ELNS_18Fp8KVCacheDataTypeE0ELb1EEEvPT_PKS3_PKT0_S9_ifPKiSB_iPKfiiiSD_SD_iiiii.num_named_barrier, 0
	.set _ZN4vllm25paged_attention_v1_kernelI14__hip_bfloat16S1_Li256ELi16ELi128ELNS_18Fp8KVCacheDataTypeE0ELb1EEEvPT_PKS3_PKT0_S9_ifPKiSB_iPKfiiiSD_SD_iiiii.private_seg_size, 72
	.set _ZN4vllm25paged_attention_v1_kernelI14__hip_bfloat16S1_Li256ELi16ELi128ELNS_18Fp8KVCacheDataTypeE0ELb1EEEvPT_PKS3_PKT0_S9_ifPKiSB_iPKfiiiSD_SD_iiiii.uses_vcc, 1
	.set _ZN4vllm25paged_attention_v1_kernelI14__hip_bfloat16S1_Li256ELi16ELi128ELNS_18Fp8KVCacheDataTypeE0ELb1EEEvPT_PKS3_PKT0_S9_ifPKiSB_iPKfiiiSD_SD_iiiii.uses_flat_scratch, 0
	.set _ZN4vllm25paged_attention_v1_kernelI14__hip_bfloat16S1_Li256ELi16ELi128ELNS_18Fp8KVCacheDataTypeE0ELb1EEEvPT_PKS3_PKT0_S9_ifPKiSB_iPKfiiiSD_SD_iiiii.has_dyn_sized_stack, 0
	.set _ZN4vllm25paged_attention_v1_kernelI14__hip_bfloat16S1_Li256ELi16ELi128ELNS_18Fp8KVCacheDataTypeE0ELb1EEEvPT_PKS3_PKT0_S9_ifPKiSB_iPKfiiiSD_SD_iiiii.has_recursion, 0
	.set _ZN4vllm25paged_attention_v1_kernelI14__hip_bfloat16S1_Li256ELi16ELi128ELNS_18Fp8KVCacheDataTypeE0ELb1EEEvPT_PKS3_PKT0_S9_ifPKiSB_iPKfiiiSD_SD_iiiii.has_indirect_call, 0
	.section	.AMDGPU.csdata,"",@progbits
; Kernel info:
; codeLenInByte = 20156
; TotalNumSgprs: 46
; NumVgprs: 128
; ScratchSize: 72
; MemoryBound: 0
; FloatMode: 240
; IeeeMode: 1
; LDSByteSize: 544 bytes/workgroup (compile time only)
; SGPRBlocks: 0
; VGPRBlocks: 15
; NumSGPRsForWavesPerEU: 46
; NumVGPRsForWavesPerEU: 128
; Occupancy: 8
; WaveLimiterHint : 1
; COMPUTE_PGM_RSRC2:SCRATCH_EN: 1
; COMPUTE_PGM_RSRC2:USER_SGPR: 6
; COMPUTE_PGM_RSRC2:TRAP_HANDLER: 0
; COMPUTE_PGM_RSRC2:TGID_X_EN: 1
; COMPUTE_PGM_RSRC2:TGID_Y_EN: 1
; COMPUTE_PGM_RSRC2:TGID_Z_EN: 1
; COMPUTE_PGM_RSRC2:TIDIG_COMP_CNT: 0
	.section	.text._ZN4vllm25paged_attention_v1_kernelI14__hip_bfloat16S1_Li32ELi16ELi128ELNS_18Fp8KVCacheDataTypeE0ELb0EEEvPT_PKS3_PKT0_S9_ifPKiSB_iPKfiiiSD_SD_iiiii,"axG",@progbits,_ZN4vllm25paged_attention_v1_kernelI14__hip_bfloat16S1_Li32ELi16ELi128ELNS_18Fp8KVCacheDataTypeE0ELb0EEEvPT_PKS3_PKT0_S9_ifPKiSB_iPKfiiiSD_SD_iiiii,comdat
	.protected	_ZN4vllm25paged_attention_v1_kernelI14__hip_bfloat16S1_Li32ELi16ELi128ELNS_18Fp8KVCacheDataTypeE0ELb0EEEvPT_PKS3_PKT0_S9_ifPKiSB_iPKfiiiSD_SD_iiiii ; -- Begin function _ZN4vllm25paged_attention_v1_kernelI14__hip_bfloat16S1_Li32ELi16ELi128ELNS_18Fp8KVCacheDataTypeE0ELb0EEEvPT_PKS3_PKT0_S9_ifPKiSB_iPKfiiiSD_SD_iiiii
	.globl	_ZN4vllm25paged_attention_v1_kernelI14__hip_bfloat16S1_Li32ELi16ELi128ELNS_18Fp8KVCacheDataTypeE0ELb0EEEvPT_PKS3_PKT0_S9_ifPKiSB_iPKfiiiSD_SD_iiiii
	.p2align	8
	.type	_ZN4vllm25paged_attention_v1_kernelI14__hip_bfloat16S1_Li32ELi16ELi128ELNS_18Fp8KVCacheDataTypeE0ELb0EEEvPT_PKS3_PKT0_S9_ifPKiSB_iPKfiiiSD_SD_iiiii,@function
_ZN4vllm25paged_attention_v1_kernelI14__hip_bfloat16S1_Li32ELi16ELi128ELNS_18Fp8KVCacheDataTypeE0ELb0EEEvPT_PKS3_PKT0_S9_ifPKiSB_iPKfiiiSD_SD_iiiii: ; @_ZN4vllm25paged_attention_v1_kernelI14__hip_bfloat16S1_Li32ELi16ELi128ELNS_18Fp8KVCacheDataTypeE0ELb0EEEvPT_PKS3_PKT0_S9_ifPKiSB_iPKfiiiSD_SD_iiiii
; %bb.0:
	s_clause 0x2
	s_load_dword s9, s[4:5], 0x80
	s_load_dwordx2 s[0:1], s[4:5], 0x30
	s_load_dwordx2 s[24:25], s[4:5], 0x20
	s_mov_b32 s10, s7
	s_ashr_i32 s11, s7, 31
	s_lshl_b64 s[2:3], s[10:11], 2
	s_waitcnt lgkmcnt(0)
	s_add_u32 s0, s0, s2
	s_addc_u32 s1, s1, s3
	s_abs_i32 s2, s24
	s_abs_i32 s11, s9
	v_cvt_f32_u32_e32 v1, s2
	s_sub_i32 s7, 0, s2
	v_rcp_iflag_f32_e32 v1, v1
	v_mul_f32_e32 v1, 0x4f7ffffe, v1
	v_cvt_u32_f32_e32 v1, v1
	v_readfirstlane_b32 s3, v1
	s_mul_i32 s7, s7, s3
	s_mul_hi_u32 s7, s3, s7
	s_add_i32 s3, s3, s7
	s_xor_b32 s7, s9, s24
	s_mul_hi_u32 s3, s11, s3
	s_ashr_i32 s7, s7, 31
	s_mul_i32 s12, s3, s2
	s_mov_b32 s24, 0
	s_sub_i32 s11, s11, s12
	s_add_i32 s12, s3, 1
	s_sub_i32 s13, s11, s2
	s_cmp_ge_u32 s11, s2
	s_cselect_b32 s3, s12, s3
	s_cselect_b32 s11, s13, s11
	s_add_i32 s12, s3, 1
	s_cmp_ge_u32 s11, s2
	s_cselect_b32 s2, s12, s3
	s_abs_i32 s17, s6
	s_xor_b32 s2, s2, s7
	s_sub_i32 s18, s2, s7
	s_load_dwordx2 s[2:3], s[4:5], 0x40
	s_abs_i32 s16, s18
	v_cvt_f32_u32_e32 v1, s16
	s_sub_i32 s11, 0, s16
	v_rcp_iflag_f32_e32 v1, v1
	v_mul_f32_e32 v1, 0x4f7ffffe, v1
	v_cvt_u32_f32_e32 v1, v1
	v_readfirstlane_b32 s7, v1
	s_mul_i32 s11, s11, s7
	s_mul_hi_u32 s11, s7, s11
	s_add_i32 s7, s7, s11
	s_waitcnt lgkmcnt(0)
	s_cmp_eq_u64 s[2:3], 0
	s_mul_hi_u32 s20, s17, s7
	s_cbranch_scc1 .LBB135_2
; %bb.1:
	s_ashr_i32 s7, s6, 31
	s_lshl_b64 s[12:13], s[6:7], 2
	s_add_u32 s2, s2, s12
	s_addc_u32 s3, s3, s13
	s_load_dword s24, s[2:3], 0x0
.LBB135_2:
	s_load_dword s11, s[0:1], 0x0
	s_load_dwordx4 s[12:15], s[4:5], 0x48
	v_lshrrev_b32_e32 v19, 1, v0
	v_and_b32_e32 v20, 1, v0
	v_lshlrev_b32_e32 v3, 3, v0
	s_ashr_i32 s0, s6, 31
	s_ashr_i32 s1, s18, 31
	s_lshl_b32 s6, s6, 5
	s_mov_b32 s2, exec_lo
	v_cmpx_gt_u32_e32 8, v0
	s_cbranch_execz .LBB135_4
; %bb.3:
	s_load_dwordx2 s[18:19], s[4:5], 0x8
	s_waitcnt lgkmcnt(0)
	s_mul_i32 s22, s12, s10
	v_lshlrev_b32_e32 v4, 3, v19
	s_ashr_i32 s23, s22, 31
	s_lshl_b64 s[22:23], s[22:23], 1
	v_lshl_add_u32 v4, v20, 5, v4
	s_add_u32 s3, s18, s22
	s_addc_u32 s12, s19, s23
	s_ashr_i32 s7, s6, 31
	s_lshl_b64 s[18:19], s[6:7], 1
	s_add_u32 s18, s3, s18
	s_addc_u32 s19, s12, s19
	global_load_dwordx2 v[1:2], v3, s[18:19]
	s_waitcnt vmcnt(0)
	ds_write_b64 v4, v[1:2]
.LBB135_4:
	s_or_b32 exec_lo, exec_lo, s2
	s_waitcnt lgkmcnt(0)
	s_add_i32 s2, s11, 15
	s_clause 0x1
	s_load_dwordx2 s[18:19], s[4:5], 0x28
	s_load_dword s7, s[4:5], 0x38
	s_ashr_i32 s3, s2, 31
	s_xor_b32 s0, s0, s1
	s_lshr_b32 s3, s3, 28
	s_mul_i32 s1, s20, s16
	s_add_i32 s2, s2, s3
	s_sub_i32 s1, s17, s1
	s_ashr_i32 s12, s2, 4
	s_add_i32 s2, s20, 1
	s_sub_i32 s3, s1, s16
	s_cmp_ge_u32 s1, s16
	v_lshrrev_b32_e32 v21, 5, v0
	s_cselect_b32 s2, s2, s20
	s_cselect_b32 s1, s3, s1
	s_add_i32 s3, s2, 1
	s_cmp_ge_u32 s1, s16
	v_mbcnt_lo_u32_b32 v5, -1, 0
	s_cselect_b32 s1, s3, s2
	s_mov_b32 s2, exec_lo
	s_xor_b32 s1, s1, s0
	s_waitcnt lgkmcnt(0)
	s_mul_i32 s20, s7, s10
	s_sub_i32 s1, s1, s0
	v_cmp_gt_i32_e64 s0, s12, v21
	s_ashr_i32 s21, s20, 31
	s_barrier
	buffer_gl0_inv
                                        ; implicit-def: $vgpr6
                                        ; implicit-def: $vgpr7
	v_cmpx_le_i32_e64 s12, v21
	s_xor_b32 s2, exec_lo, s2
; %bb.5:
	v_mov_b32_e32 v6, 0
	v_mbcnt_lo_u32_b32 v5, -1, 0
	v_mov_b32_e32 v7, 32
; %bb.6:
	s_or_saveexec_b32 s26, s2
	s_clause 0x2
	s_load_dwordx2 s[16:17], s[4:5], 0x0
	s_load_dwordx2 s[22:23], s[4:5], 0x18
	s_load_dword s7, s[4:5], 0x88
	v_mov_b32_e32 v23, 0xff7fffff
	v_lshrrev_b32_e32 v4, 3, v0
	s_mul_i32 s14, s1, s14
	s_xor_b32 exec_lo, exec_lo, s26
	s_cbranch_execz .LBB135_12
; %bb.7:
	s_load_dwordx2 s[2:3], s[4:5], 0x10
	v_lshlrev_b32_e32 v1, 5, v20
	v_bfe_u32 v2, v0, 1, 4
	s_ashr_i32 s15, s14, 31
	v_and_b32_e32 v7, 8, v3
	s_lshl_b64 s[4:5], s[14:15], 1
	ds_read_b128 v[12:15], v1
	ds_read_b128 v[26:29], v1 offset:16
	v_lshlrev_b32_e32 v1, 4, v2
	v_lshlrev_b32_e32 v23, 2, v2
	v_lshl_or_b32 v31, v21, 4, v2
	v_and_b32_e32 v2, 0x7c, v4
	v_mov_b32_e32 v6, 0
	v_mov_b32_e32 v33, v21
	s_mov_b32 s15, s13
	s_waitcnt lgkmcnt(0)
	s_add_u32 s1, s2, s4
	s_addc_u32 s2, s3, s5
	v_add_co_u32 v1, s1, s1, v1
	v_add_co_ci_u32_e64 v18, null, s2, 0, s1
	s_lshl_b64 s[2:3], s[20:21], 2
	v_add_co_u32 v17, vcc_lo, v1, v7
	v_xor_b32_e32 v1, 1, v5
	v_add_co_ci_u32_e64 v18, null, 0, v18, vcc_lo
	s_sub_i32 s4, 1, s11
	s_add_u32 s2, s18, s2
	v_cmp_gt_i32_e32 vcc_lo, 32, v1
	s_addc_u32 s3, s19, s3
	v_lshlrev_b32_e32 v8, 16, v12
	v_and_b32_e32 v9, 0xffff0000, v12
	v_lshlrev_b32_e32 v10, 16, v13
	v_cndmask_b32_e32 v1, v5, v1, vcc_lo
	v_and_b32_e32 v11, 0xffff0000, v13
	v_lshlrev_b32_e32 v12, 16, v14
	v_and_b32_e32 v13, 0xffff0000, v14
	v_lshlrev_b32_e32 v14, 16, v15
	v_lshlrev_b32_e32 v30, 2, v1
	v_lshl_or_b32 v1, v21, 6, v23
	v_and_b32_e32 v15, 0xffff0000, v15
	v_lshlrev_b32_e32 v16, 16, v26
	v_and_b32_e32 v22, 0xffff0000, v26
	v_lshlrev_b32_e32 v24, 16, v27
	v_add_nc_u32_e32 v32, 0x60, v1
	v_add_co_u32 v1, s2, s2, v2
	v_and_b32_e32 v25, 0xffff0000, v27
	v_lshlrev_b32_e32 v26, 16, v28
	v_and_b32_e32 v27, 0xffff0000, v28
	v_lshlrev_b32_e32 v28, 16, v29
	v_and_b32_e32 v29, 0xffff0000, v29
	v_mov_b32_e32 v7, 32
	v_cmp_neq_f32_e64 s1, s24, 0
	v_add_co_ci_u32_e64 v2, null, s3, 0, s2
	v_mov_b32_e32 v23, 0xff7fffff
	s_mov_b32 s5, 0
	v_cmp_eq_u32_e32 vcc_lo, 0, v20
	s_branch .LBB135_9
.LBB135_8:                              ;   in Loop: Header=BB135_9 Depth=1
	s_or_b32 exec_lo, exec_lo, s3
	v_add_nc_u32_e32 v33, 4, v33
	v_add_co_u32 v1, s3, v1, 16
	v_add_nc_u32_e32 v31, 64, v31
	v_add_nc_u32_e32 v32, 0x100, v32
	v_cmp_le_i32_e64 s2, s12, v33
	v_add_co_ci_u32_e64 v2, null, 0, v2, s3
	s_or_b32 s5, s2, s5
	s_andn2_b32 exec_lo, exec_lo, s5
	s_cbranch_execz .LBB135_11
.LBB135_9:                              ; =>This Inner Loop Header: Depth=1
	global_load_dword v34, v[1:2], off
	s_waitcnt vmcnt(0) lgkmcnt(0)
	v_mad_i64_i32 v[34:35], null, v34, s15, 0
	v_lshlrev_b64 v[34:35], 1, v[34:35]
	v_add_co_u32 v34, s2, v17, v34
	v_add_co_ci_u32_e64 v35, null, v18, v35, s2
	s_clause 0x3
	global_load_dwordx2 v[36:37], v[34:35], off
	global_load_dwordx2 v[38:39], v[34:35], off offset:256
	global_load_dwordx2 v[40:41], v[34:35], off offset:512
	;; [unrolled: 1-line block ×3, first 2 shown]
	s_waitcnt vmcnt(3)
	v_lshlrev_b32_e32 v42, 16, v36
	s_waitcnt vmcnt(2)
	v_lshlrev_b32_e32 v44, 16, v38
	v_and_b32_e32 v38, 0xffff0000, v38
	v_and_b32_e32 v36, 0xffff0000, v36
	v_lshlrev_b32_e32 v45, 16, v39
	v_lshlrev_b32_e32 v43, 16, v37
	v_mul_f32_e32 v44, v12, v44
	v_mul_f32_e32 v38, v13, v38
	v_and_b32_e32 v39, 0xffff0000, v39
	s_waitcnt vmcnt(1)
	v_lshlrev_b32_e32 v46, 16, v40
	v_and_b32_e32 v40, 0xffff0000, v40
	v_mul_f32_e32 v45, v14, v45
	v_fmac_f32_e32 v44, v8, v42
	v_fmac_f32_e32 v38, v9, v36
	v_and_b32_e32 v37, 0xffff0000, v37
	v_lshlrev_b32_e32 v47, 16, v41
	s_waitcnt vmcnt(0)
	v_lshlrev_b32_e32 v48, 16, v34
	v_and_b32_e32 v34, 0xffff0000, v34
	v_mul_f32_e32 v36, v15, v39
	v_fmac_f32_e32 v45, v10, v43
	v_fmac_f32_e32 v44, v16, v46
	;; [unrolled: 1-line block ×3, first 2 shown]
	v_and_b32_e32 v41, 0xffff0000, v41
	v_lshlrev_b32_e32 v39, 16, v35
	v_fmac_f32_e32 v36, v11, v37
	v_fmac_f32_e32 v45, v24, v47
	;; [unrolled: 1-line block ×4, first 2 shown]
	v_and_b32_e32 v34, 0xffff0000, v35
	v_fmac_f32_e32 v36, v25, v41
	v_fmac_f32_e32 v45, v28, v39
	v_add_f32_e32 v35, v44, v38
	v_fmac_f32_e32 v36, v29, v34
	v_add_f32_e32 v34, v35, v45
	v_add_f32_e32 v34, v36, v34
	ds_bpermute_b32 v35, v30, v34
	s_and_saveexec_b32 s3, vcc_lo
	s_cbranch_execz .LBB135_8
; %bb.10:                               ;   in Loop: Header=BB135_9 Depth=1
	v_add_nc_u32_e32 v36, s4, v31
	s_waitcnt lgkmcnt(0)
	v_add_f32_e32 v34, v34, v35
	v_cmp_gt_i32_e64 s2, s11, v31
	v_cvt_f32_i32_e32 v36, v36
	v_mul_f32_e32 v36, s24, v36
	v_cndmask_b32_e64 v35, 0, v36, s1
	v_max_f32_e32 v36, v23, v23
	v_fmac_f32_e32 v35, s25, v34
	v_max_f32_e32 v34, v36, v35
	v_cndmask_b32_e64 v35, 0, v35, s2
	v_cndmask_b32_e64 v23, v23, v34, s2
	ds_write_b32 v32, v35
	s_branch .LBB135_8
.LBB135_11:
	s_or_b32 exec_lo, exec_lo, s5
.LBB135_12:
	s_or_b32 exec_lo, exec_lo, s26
	v_xor_b32_e32 v1, 16, v5
	v_xor_b32_e32 v8, 8, v5
	v_max_f32_e32 v9, v23, v23
	v_xor_b32_e32 v10, 4, v5
	v_and_b32_e32 v22, 31, v0
	v_cmp_lt_i32_e32 vcc_lo, v1, v7
	v_cndmask_b32_e32 v1, v5, v1, vcc_lo
	v_cmp_lt_i32_e32 vcc_lo, v8, v7
	v_lshlrev_b32_e32 v2, 2, v1
	v_cndmask_b32_e32 v8, v5, v8, vcc_lo
	v_cmp_lt_i32_e32 vcc_lo, v10, v7
	ds_bpermute_b32 v1, v2, v23
	v_lshlrev_b32_e32 v8, 2, v8
	v_cndmask_b32_e32 v10, v5, v10, vcc_lo
	s_waitcnt lgkmcnt(0)
	v_max_f32_e32 v1, v1, v1
	v_max_f32_e32 v1, v9, v1
	ds_bpermute_b32 v9, v8, v1
	s_waitcnt lgkmcnt(0)
	v_max_f32_e32 v11, v9, v9
	v_lshlrev_b32_e32 v9, 2, v10
	v_max_f32_e32 v1, v1, v11
	v_xor_b32_e32 v11, 2, v5
	ds_bpermute_b32 v10, v9, v1
	v_cmp_lt_i32_e32 vcc_lo, v11, v7
	v_cndmask_b32_e32 v12, v5, v11, vcc_lo
	v_cmp_eq_u32_e32 vcc_lo, 0, v22
	s_waitcnt lgkmcnt(0)
	v_max_f32_e32 v10, v10, v10
	v_max_f32_e32 v11, v1, v10
	v_lshlrev_b32_e32 v1, 2, v12
	v_lshlrev_b32_e32 v10, 2, v21
	ds_bpermute_b32 v12, v1, v11
	s_and_saveexec_b32 s1, vcc_lo
	s_cbranch_execz .LBB135_14
; %bb.13:
	s_waitcnt lgkmcnt(0)
	v_max_f32_e32 v12, v12, v12
	v_max_f32_e32 v11, v11, v11
	v_max_f32_e32 v11, v11, v12
	ds_write_b32 v10, v11 offset:64
.LBB135_14:
	s_or_b32 exec_lo, exec_lo, s1
	v_cmp_gt_u32_e64 s1, 4, v22
	s_waitcnt lgkmcnt(0)
	v_mov_b32_e32 v12, 0xff7fffff
	v_lshlrev_b32_e32 v11, 2, v22
	s_barrier
	buffer_gl0_inv
	s_and_saveexec_b32 s2, s1
; %bb.15:
	ds_read_b32 v12, v11 offset:64
; %bb.16:
	s_or_b32 exec_lo, exec_lo, s2
	s_waitcnt lgkmcnt(0)
	ds_bpermute_b32 v13, v1, v12
	v_xor_b32_e32 v14, 1, v5
	v_max_f32_e32 v12, v12, v12
	v_lshlrev_b32_e32 v6, 2, v6
	v_cmp_lt_i32_e64 s2, v14, v7
	v_cndmask_b32_e64 v7, v5, v14, s2
	s_lshl_b32 s2, s12, 4
	s_min_i32 s4, s2, s11
	v_lshlrev_b32_e32 v23, 2, v7
	v_cmp_gt_i32_e64 s2, s4, v0
	s_waitcnt lgkmcnt(0)
	v_max_f32_e32 v13, v13, v13
	v_max_f32_e32 v7, v12, v13
	ds_bpermute_b32 v12, v23, v7
	s_waitcnt lgkmcnt(0)
	v_max_f32_e32 v12, v12, v12
	v_max_f32_e32 v7, v7, v12
	ds_bpermute_b32 v12, v6, v7
	v_mov_b32_e32 v7, 0
	v_lshl_add_u32 v6, v0, 2, 0x60
	s_and_saveexec_b32 s5, s2
	s_cbranch_execz .LBB135_20
; %bb.17:
	v_lshl_add_u32 v13, v0, 2, 0x60
	v_mov_b32_e32 v7, 0
	v_mov_b32_e32 v14, v0
	s_mov_b32 s15, 0
	.p2align	6
.LBB135_18:                             ; =>This Inner Loop Header: Depth=1
	ds_read_b32 v15, v13
	v_add_nc_u32_e32 v14, 0x80, v14
	v_cmp_le_i32_e64 s3, s4, v14
	s_or_b32 s15, s3, s15
	s_waitcnt lgkmcnt(0)
	v_sub_f32_e32 v15, v15, v12
	v_mul_f32_e32 v15, 0x3fb8aa3b, v15
	v_exp_f32_e32 v15, v15
	ds_write_b32 v13, v15
	v_add_f32_e32 v7, v7, v15
	v_add_nc_u32_e32 v13, 0x200, v13
	s_andn2_b32 exec_lo, exec_lo, s15
	s_cbranch_execnz .LBB135_18
; %bb.19:
	s_or_b32 exec_lo, exec_lo, s15
.LBB135_20:
	s_or_b32 exec_lo, exec_lo, s5
	ds_bpermute_b32 v2, v2, v7
	s_waitcnt lgkmcnt(0)
	v_add_f32_e32 v2, v7, v2
	ds_bpermute_b32 v7, v8, v2
	s_waitcnt lgkmcnt(0)
	v_add_f32_e32 v2, v2, v7
	;; [unrolled: 3-line block ×5, first 2 shown]
	s_and_saveexec_b32 s3, vcc_lo
; %bb.21:
	ds_write_b32 v10, v2 offset:80
; %bb.22:
	s_or_b32 exec_lo, exec_lo, s3
	s_waitcnt lgkmcnt(0)
	s_barrier
	buffer_gl0_inv
	s_and_saveexec_b32 s3, s1
; %bb.23:
	ds_read_b32 v2, v11 offset:80
; %bb.24:
	s_or_b32 exec_lo, exec_lo, s3
	s_waitcnt lgkmcnt(0)
	ds_bpermute_b32 v1, v1, v2
	v_lshlrev_b32_e32 v5, 2, v5
	s_waitcnt lgkmcnt(0)
	v_add_f32_e32 v1, v2, v1
	ds_bpermute_b32 v2, v23, v1
	s_waitcnt lgkmcnt(0)
	v_add_f32_e32 v1, v1, v2
	v_and_b32_e32 v2, 0xffffff80, v5
	ds_bpermute_b32 v1, v2, v1
	s_and_saveexec_b32 s1, s2
	s_cbranch_execz .LBB135_27
; %bb.25:
	s_waitcnt lgkmcnt(0)
	v_add_f32_e32 v1, 0x358637bd, v1
	s_mov_b32 s2, 0
	v_div_scale_f32 v2, null, v1, v1, 1.0
	v_div_scale_f32 v8, vcc_lo, 1.0, v1, 1.0
	v_rcp_f32_e32 v5, v2
	v_fma_f32 v7, -v2, v5, 1.0
	v_fmac_f32_e32 v5, v7, v5
	v_mul_f32_e32 v7, v8, v5
	v_fma_f32 v9, -v2, v7, v8
	v_fmac_f32_e32 v7, v9, v5
	v_fma_f32 v2, -v2, v7, v8
	v_div_fmas_f32 v2, v2, v5, v7
	v_div_fixup_f32 v1, v2, v1, 1.0
	v_mov_b32_e32 v2, v0
.LBB135_26:                             ; =>This Inner Loop Header: Depth=1
	ds_read_b32 v5, v6
	v_add_nc_u32_e32 v2, 0x80, v2
	v_cmp_le_i32_e32 vcc_lo, s4, v2
	s_or_b32 s2, vcc_lo, s2
	s_waitcnt lgkmcnt(0)
	v_mul_f32_e32 v5, v1, v5
	ds_write_b32 v6, v5
	v_add_nc_u32_e32 v6, 0x200, v6
	s_andn2_b32 exec_lo, exec_lo, s2
	s_cbranch_execnz .LBB135_26
.LBB135_27:
	s_or_b32 exec_lo, exec_lo, s1
	v_mov_b32_e32 v24, 0
	v_mov_b32_e32 v25, 0
	s_waitcnt lgkmcnt(0)
	s_barrier
	buffer_gl0_inv
	s_and_saveexec_b32 s3, s0
	s_cbranch_execz .LBB135_35
; %bb.28:
	v_lshlrev_b32_e32 v1, 4, v0
	s_ashr_i32 s15, s14, 31
	v_and_b32_e32 v2, 8, v3
	s_lshl_b64 s[0:1], s[14:15], 1
	v_lshlrev_b32_e32 v3, 5, v20
	v_and_b32_e32 v1, 0x1f0, v1
	s_add_u32 s0, s22, s0
	s_addc_u32 s1, s23, s1
	s_add_i32 s4, s12, -1
	v_lshl_or_b32 v3, v21, 6, v3
	v_add_co_u32 v27, s0, s0, v1
	v_and_b32_e32 v1, 0x7c, v4
	v_add_co_ci_u32_e64 v28, null, s1, 0, s0
	s_lshl_b64 s[0:1], s[20:21], 2
	v_mov_b32_e32 v26, 0
	s_add_u32 s0, s18, s0
	s_addc_u32 s1, s19, s1
	v_add_co_u32 v17, s0, s0, v1
	v_lshl_or_b32 v29, v21, 4, v2
	v_add_nc_u32_e32 v30, 0x60, v3
	v_add_co_ci_u32_e64 v18, null, s1, 0, s0
	v_mov_b32_e32 v31, v21
	v_mov_b32_e32 v25, 0
	;; [unrolled: 1-line block ×3, first 2 shown]
	s_mov_b32 s5, s13
	s_mov_b32 s14, s11
	;; [unrolled: 1-line block ×3, first 2 shown]
	s_branch .LBB135_30
.LBB135_29:                             ;   in Loop: Header=BB135_30 Depth=1
	s_or_b32 exec_lo, exec_lo, s2
	s_waitcnt lgkmcnt(1)
	v_bfe_u32 v32, v13, 16, 1
	v_or_b32_e32 v33, 0x400000, v13
	v_bfe_u32 v34, v14, 16, 1
	v_cmp_u_f32_e32 vcc_lo, v13, v13
	v_bfe_u32 v35, v15, 16, 1
	v_add3_u32 v32, v32, v13, 0x7fff
	v_or_b32_e32 v36, 0x400000, v14
	v_add3_u32 v34, v34, v14, 0x7fff
	v_or_b32_e32 v37, 0x400000, v15
	v_add3_u32 v35, v35, v15, 0x7fff
	v_cndmask_b32_e32 v13, v32, v33, vcc_lo
	v_cmp_u_f32_e32 vcc_lo, v14, v14
	v_bfe_u32 v32, v16, 16, 1
	s_waitcnt lgkmcnt(0)
	v_bfe_u32 v33, v9, 16, 1
	v_add_nc_u32_e32 v31, 4, v31
	v_and_b32_e32 v13, 0xffff0000, v13
	v_cndmask_b32_e32 v14, v34, v36, vcc_lo
	v_cmp_u_f32_e32 vcc_lo, v15, v15
	v_add3_u32 v32, v32, v16, 0x7fff
	v_or_b32_e32 v34, 0x400000, v16
	v_add3_u32 v33, v33, v9, 0x7fff
	v_bfe_u32 v36, v10, 16, 1
	v_cndmask_b32_e32 v15, v35, v37, vcc_lo
	v_cmp_u_f32_e32 vcc_lo, v16, v16
	v_or_b32_e32 v35, 0x400000, v9
	v_and_b32_e32 v14, 0xffff0000, v14
	v_add_co_u32 v17, s0, v17, 16
	v_cndmask_b32_e32 v16, v32, v34, vcc_lo
	v_cmp_u_f32_e32 vcc_lo, v9, v9
	v_add3_u32 v32, v36, v10, 0x7fff
	v_bfe_u32 v34, v11, 16, 1
	v_and_b32_e32 v15, 0xffff0000, v15
	s_waitcnt vmcnt(1)
	v_lshlrev_b32_e32 v36, 16, v6
	v_cndmask_b32_e32 v9, v33, v35, vcc_lo
	v_or_b32_e32 v33, 0x400000, v10
	v_lshlrev_b32_e32 v35, 16, v5
	v_cmp_u_f32_e32 vcc_lo, v10, v10
	v_and_b32_e32 v5, 0xffff0000, v5
	v_mul_f32_e32 v36, v15, v36
	v_and_b32_e32 v16, 0xffff0000, v16
	v_mul_f32_e32 v35, v13, v35
	v_cndmask_b32_e32 v10, v32, v33, vcc_lo
	v_add3_u32 v32, v34, v11, 0x7fff
	v_or_b32_e32 v33, 0x400000, v11
	v_bfe_u32 v34, v12, 16, 1
	v_cmp_u_f32_e32 vcc_lo, v11, v11
	v_mul_f32_e32 v5, v14, v5
	v_and_b32_e32 v6, 0xffff0000, v6
	v_and_b32_e32 v9, 0xffff0000, v9
	v_or_b32_e32 v38, 0x400000, v36
	v_cndmask_b32_e32 v11, v32, v33, vcc_lo
	v_add3_u32 v32, v34, v12, 0x7fff
	v_or_b32_e32 v33, 0x400000, v12
	v_bfe_u32 v34, v35, 16, 1
	v_cmp_u_f32_e32 vcc_lo, v12, v12
	v_mul_f32_e32 v6, v16, v6
	v_or_b32_e32 v37, 0x400000, v5
	v_and_b32_e32 v10, 0xffff0000, v10
	v_and_b32_e32 v11, 0xffff0000, v11
	v_cndmask_b32_e32 v12, v32, v33, vcc_lo
	v_add3_u32 v32, v34, v35, 0x7fff
	v_or_b32_e32 v33, 0x400000, v35
	v_bfe_u32 v34, v5, 16, 1
	v_cmp_u_f32_e32 vcc_lo, v35, v35
	v_lshlrev_b32_e32 v35, 16, v7
	v_bfe_u32 v39, v6, 16, 1
	v_and_b32_e32 v7, 0xffff0000, v7
	v_and_b32_e32 v12, 0xffff0000, v12
	v_cndmask_b32_e32 v32, v32, v33, vcc_lo
	v_add3_u32 v33, v34, v5, 0x7fff
	v_bfe_u32 v34, v36, 16, 1
	v_cmp_u_f32_e32 vcc_lo, v5, v5
	v_mul_f32_e32 v35, v9, v35
	v_mul_f32_e32 v7, v10, v7
	v_and_b32_e32 v32, 0xffff0000, v32
	v_add3_u32 v34, v34, v36, 0x7fff
	v_cndmask_b32_e32 v5, v33, v37, vcc_lo
	v_cmp_u_f32_e32 vcc_lo, v36, v36
	v_bfe_u32 v36, v35, 16, 1
	v_lshlrev_b32_e32 v37, 16, v8
	v_and_b32_e32 v8, 0xffff0000, v8
	v_and_b32_e32 v5, 0xffff0000, v5
	v_cndmask_b32_e32 v33, v34, v38, vcc_lo
	v_add3_u32 v34, v39, v6, 0x7fff
	v_or_b32_e32 v38, 0x400000, v6
	v_cmp_u_f32_e32 vcc_lo, v6, v6
	v_add3_u32 v36, v36, v35, 0x7fff
	v_or_b32_e32 v39, 0x400000, v35
	v_mul_f32_e32 v37, v11, v37
	v_mul_f32_e32 v8, v12, v8
	v_cndmask_b32_e32 v6, v34, v38, vcc_lo
	v_bfe_u32 v34, v7, 16, 1
	v_cmp_u_f32_e32 vcc_lo, v35, v35
	v_or_b32_e32 v38, 0x400000, v7
	v_and_b32_e32 v33, 0xffff0000, v33
	v_and_b32_e32 v6, 0xffff0000, v6
	v_add3_u32 v34, v34, v7, 0x7fff
	v_cndmask_b32_e32 v35, v36, v39, vcc_lo
	v_bfe_u32 v36, v37, 16, 1
	v_cmp_u_f32_e32 vcc_lo, v7, v7
	v_or_b32_e32 v39, 0x400000, v37
	v_add_f32_e32 v5, v32, v5
	v_add_f32_e32 v6, v33, v6
	v_add3_u32 v36, v36, v37, 0x7fff
	v_cndmask_b32_e32 v7, v34, v38, vcc_lo
	v_cmp_u_f32_e32 vcc_lo, v37, v37
	s_waitcnt vmcnt(0)
	v_lshlrev_b32_e32 v38, 16, v1
	v_and_b32_e32 v1, 0xffff0000, v1
	v_or_b32_e32 v37, 0x400000, v8
	v_and_b32_e32 v7, 0xffff0000, v7
	v_cndmask_b32_e32 v34, v36, v39, vcc_lo
	v_bfe_u32 v36, v8, 16, 1
	v_mul_f32_e32 v13, v13, v38
	v_and_b32_e32 v32, 0xffff0000, v35
	v_cmp_u_f32_e32 vcc_lo, v8, v8
	v_add_f32_e32 v5, v6, v5
	v_add3_u32 v36, v36, v8, 0x7fff
	v_bfe_u32 v6, v13, 16, 1
	v_mul_f32_e32 v1, v14, v1
	v_lshlrev_b32_e32 v14, 16, v2
	v_add_f32_e32 v7, v32, v7
	v_cndmask_b32_e32 v8, v36, v37, vcc_lo
	v_add3_u32 v6, v6, v13, 0x7fff
	v_or_b32_e32 v32, 0x400000, v13
	v_bfe_u32 v33, v1, 16, 1
	v_mul_f32_e32 v14, v15, v14
	v_and_b32_e32 v2, 0xffff0000, v2
	v_cmp_u_f32_e32 vcc_lo, v13, v13
	v_or_b32_e32 v15, 0x400000, v1
	v_add3_u32 v13, v33, v1, 0x7fff
	v_and_b32_e32 v8, 0xffff0000, v8
	v_mul_f32_e32 v2, v16, v2
	v_cndmask_b32_e32 v6, v6, v32, vcc_lo
	v_bfe_u32 v32, v14, 16, 1
	v_lshlrev_b32_e32 v16, 16, v3
	v_cmp_u_f32_e32 vcc_lo, v1, v1
	v_and_b32_e32 v3, 0xffff0000, v3
	v_and_b32_e32 v6, 0xffff0000, v6
	v_add_f32_e32 v5, v7, v5
	v_mul_f32_e32 v9, v9, v16
	v_cndmask_b32_e32 v1, v13, v15, vcc_lo
	v_add3_u32 v13, v32, v14, 0x7fff
	v_or_b32_e32 v15, 0x400000, v14
	v_bfe_u32 v32, v2, 16, 1
	v_cmp_u_f32_e32 vcc_lo, v14, v14
	v_bfe_u32 v16, v9, 16, 1
	v_mul_f32_e32 v3, v10, v3
	v_lshlrev_b32_e32 v10, 16, v4
	v_add3_u32 v14, v32, v2, 0x7fff
	v_cndmask_b32_e32 v13, v13, v15, vcc_lo
	v_or_b32_e32 v15, 0x400000, v2
	v_and_b32_e32 v4, 0xffff0000, v4
	v_cmp_u_f32_e32 vcc_lo, v2, v2
	v_mul_f32_e32 v10, v11, v10
	v_or_b32_e32 v11, 0x400000, v9
	v_and_b32_e32 v1, 0xffff0000, v1
	v_mul_f32_e32 v4, v12, v4
	v_cndmask_b32_e32 v2, v14, v15, vcc_lo
	v_bfe_u32 v14, v3, 16, 1
	v_add3_u32 v15, v16, v9, 0x7fff
	v_cmp_u_f32_e32 vcc_lo, v9, v9
	v_bfe_u32 v32, v4, 16, 1
	v_bfe_u32 v16, v10, 16, 1
	v_add3_u32 v12, v14, v3, 0x7fff
	v_or_b32_e32 v14, 0x400000, v3
	v_cndmask_b32_e32 v9, v15, v11, vcc_lo
	v_cmp_u_f32_e32 vcc_lo, v3, v3
	v_add3_u32 v11, v16, v10, 0x7fff
	v_and_b32_e32 v2, 0xffff0000, v2
	v_and_b32_e32 v13, 0xffff0000, v13
	v_or_b32_e32 v15, 0x400000, v10
	v_cndmask_b32_e32 v3, v12, v14, vcc_lo
	v_add3_u32 v12, v32, v4, 0x7fff
	v_or_b32_e32 v14, 0x400000, v4
	v_cmp_u_f32_e32 vcc_lo, v4, v4
	v_add_f32_e32 v1, v6, v1
	v_add_f32_e32 v2, v13, v2
	v_and_b32_e32 v3, 0xffff0000, v3
	v_and_b32_e32 v6, 0xffff0000, v9
	v_cndmask_b32_e32 v4, v12, v14, vcc_lo
	v_cmp_u_f32_e32 vcc_lo, v10, v10
	v_and_b32_e32 v10, 0xffff0000, v34
	v_add_f32_e32 v1, v2, v1
	v_add_f32_e32 v2, v6, v3
	v_and_b32_e32 v3, 0xffff0000, v4
	v_cndmask_b32_e32 v9, v11, v15, vcc_lo
	v_add_f32_e32 v6, v10, v8
	v_cmp_le_i32_e32 vcc_lo, s12, v31
	v_add_f32_e32 v1, v2, v1
	v_add_nc_u32_e32 v29, 64, v29
	v_and_b32_e32 v4, 0xffff0000, v9
	v_add_nc_u32_e32 v30, 0x100, v30
	v_add_co_ci_u32_e64 v18, null, 0, v18, s0
	s_or_b32 s13, vcc_lo, s13
	v_add_f32_e32 v2, v4, v3
	v_add_f32_e32 v3, v6, v5
	;; [unrolled: 1-line block ×5, first 2 shown]
	s_andn2_b32 exec_lo, exec_lo, s13
	s_cbranch_execz .LBB135_34
.LBB135_30:                             ; =>This Inner Loop Header: Depth=1
	global_load_dword v1, v[17:18], off
	v_cmp_eq_u32_e64 s0, s4, v31
	v_add_nc_u32_e32 v38, 1, v29
	v_or_b32_e32 v36, 3, v29
	v_or_b32_e32 v37, 2, v29
	v_or_b32_e32 v35, 5, v29
	v_or_b32_e32 v34, 4, v29
	v_or_b32_e32 v33, 7, v29
	v_or_b32_e32 v32, 6, v29
	s_waitcnt vmcnt(0)
	v_mad_i64_i32 v[1:2], null, v1, s5, 0
	v_lshlrev_b64 v[1:2], 1, v[1:2]
	v_add_co_u32 v1, vcc_lo, v27, v1
	v_add_co_ci_u32_e64 v2, null, v28, v2, vcc_lo
	global_load_dwordx4 v[5:8], v[1:2], off
	ds_read2_b64 v[13:16], v30 offset1:1
	ds_read2_b64 v[9:12], v30 offset0:2 offset1:3
	s_and_saveexec_b32 s15, s0
	s_cbranch_execz .LBB135_32
; %bb.31:                               ;   in Loop: Header=BB135_30 Depth=1
	v_cmp_gt_i32_e64 s1, s11, v29
	v_cmp_gt_i32_e32 vcc_lo, s14, v38
	v_cmp_gt_i32_e64 s2, s11, v37
	s_waitcnt vmcnt(0)
	v_cndmask_b32_e64 v3, 0, v5, s1
	v_cmp_gt_i32_e64 s1, s14, v36
	v_cndmask_b32_sdwa v5, v26, v5, vcc_lo dst_sel:DWORD dst_unused:UNUSED_PAD src0_sel:DWORD src1_sel:WORD_1
	v_cndmask_b32_e64 v4, 0, v6, s2
	v_cmp_gt_i32_e64 s2, s14, v35
	s_mov_b32 vcc_lo, s1
	v_cmp_gt_i32_e64 s1, s14, v33
	v_cndmask_b32_sdwa v6, v26, v6, vcc_lo dst_sel:DWORD dst_unused:UNUSED_PAD src0_sel:DWORD src1_sel:WORD_1
	v_cmp_gt_i32_e32 vcc_lo, s11, v34
	v_perm_b32 v5, v5, v3, 0x5040100
	v_perm_b32 v6, v6, v4, 0x5040100
	v_cndmask_b32_e32 v39, 0, v7, vcc_lo
	s_mov_b32 vcc_lo, s2
	v_cndmask_b32_sdwa v7, v26, v7, vcc_lo dst_sel:DWORD dst_unused:UNUSED_PAD src0_sel:DWORD src1_sel:WORD_1
	v_cmp_gt_i32_e32 vcc_lo, s11, v32
	v_perm_b32 v7, v7, v39, 0x5040100
	v_cndmask_b32_e32 v40, 0, v8, vcc_lo
	s_mov_b32 vcc_lo, s1
	v_cndmask_b32_sdwa v8, v26, v8, vcc_lo dst_sel:DWORD dst_unused:UNUSED_PAD src0_sel:DWORD src1_sel:WORD_1
	v_perm_b32 v8, v8, v40, 0x5040100
.LBB135_32:                             ;   in Loop: Header=BB135_30 Depth=1
	s_or_b32 exec_lo, exec_lo, s15
	global_load_dwordx4 v[1:4], v[1:2], off offset:512
	s_and_saveexec_b32 s2, s0
	s_cbranch_execz .LBB135_29
; %bb.33:                               ;   in Loop: Header=BB135_30 Depth=1
	v_cmp_gt_i32_e64 s0, s11, v29
	v_cmp_gt_i32_e32 vcc_lo, s14, v38
	v_cmp_gt_i32_e64 s1, s11, v37
	s_waitcnt vmcnt(0)
	v_cndmask_b32_e64 v38, 0, v1, s0
	v_cmp_gt_i32_e64 s0, s14, v36
	v_cndmask_b32_sdwa v1, v26, v1, vcc_lo dst_sel:DWORD dst_unused:UNUSED_PAD src0_sel:DWORD src1_sel:WORD_1
	v_cndmask_b32_e64 v36, 0, v2, s1
	v_cmp_gt_i32_e64 s1, s14, v35
	s_mov_b32 vcc_lo, s0
	v_cmp_gt_i32_e64 s0, s14, v33
	v_cndmask_b32_sdwa v2, v26, v2, vcc_lo dst_sel:DWORD dst_unused:UNUSED_PAD src0_sel:DWORD src1_sel:WORD_1
	v_cmp_gt_i32_e32 vcc_lo, s11, v34
	v_perm_b32 v1, v1, v38, 0x5040100
	v_perm_b32 v2, v2, v36, 0x5040100
	v_cndmask_b32_e32 v34, 0, v3, vcc_lo
	s_mov_b32 vcc_lo, s1
	v_cndmask_b32_sdwa v3, v26, v3, vcc_lo dst_sel:DWORD dst_unused:UNUSED_PAD src0_sel:DWORD src1_sel:WORD_1
	v_cmp_gt_i32_e32 vcc_lo, s11, v32
	v_perm_b32 v3, v3, v34, 0x5040100
	v_cndmask_b32_e32 v32, 0, v4, vcc_lo
	s_mov_b32 vcc_lo, s0
	v_cndmask_b32_sdwa v4, v26, v4, vcc_lo dst_sel:DWORD dst_unused:UNUSED_PAD src0_sel:DWORD src1_sel:WORD_1
	v_perm_b32 v4, v4, v32, 0x5040100
	s_branch .LBB135_29
.LBB135_34:
	s_or_b32 exec_lo, exec_lo, s13
.LBB135_35:
	s_or_b32 exec_lo, exec_lo, s3
	ds_bpermute_b32 v1, v23, v25
	ds_bpermute_b32 v5, v23, v24
	v_lshrrev_b32_e32 v3, 1, v22
	v_and_b32_e32 v6, 0x3c1, v0
	s_mov_b32 s0, exec_lo
	s_waitcnt lgkmcnt(0)
	s_barrier
	v_lshl_add_u32 v4, v3, 2, 0x60
	buffer_gl0_inv
	v_add_f32_e32 v2, v25, v1
	v_add_f32_e32 v1, v24, v5
	v_cmpx_eq_u32_e32 64, v6
	s_cbranch_execz .LBB135_37
; %bb.36:
	v_lshl_add_u32 v5, v21, 7, v4
	v_add_nc_u32_e32 v6, 0xffffff00, v5
	v_add_nc_u32_e32 v5, 0xffffff40, v5
	ds_write_b32 v6, v2
	ds_write_b32 v5, v1
.LBB135_37:
	s_or_b32 exec_lo, exec_lo, s0
	v_and_b32_e32 v5, 0x3e0, v0
	v_lshlrev_b32_e32 v3, 2, v3
	s_mov_b32 s1, exec_lo
	v_cmp_eq_u32_e32 vcc_lo, 0, v20
	s_waitcnt lgkmcnt(0)
	v_lshlrev_b32_e32 v5, 2, v5
	s_barrier
	buffer_gl0_inv
	v_add3_u32 v3, 0x60, v5, v3
	v_cmpx_gt_u32_e32 64, v0
	s_cbranch_execz .LBB135_43
; %bb.38:
	s_and_saveexec_b32 s0, vcc_lo
	s_cbranch_execz .LBB135_40
; %bb.39:
	ds_read_b32 v5, v3
	s_waitcnt lgkmcnt(0)
	v_add_f32_e32 v2, v2, v5
.LBB135_40:
	s_or_b32 exec_lo, exec_lo, s0
	s_and_saveexec_b32 s0, vcc_lo
	s_cbranch_execz .LBB135_42
; %bb.41:
	ds_read_b32 v5, v3 offset:64
	s_waitcnt lgkmcnt(0)
	v_add_f32_e32 v1, v1, v5
.LBB135_42:
	s_or_b32 exec_lo, exec_lo, s0
.LBB135_43:
	s_or_b32 exec_lo, exec_lo, s1
	v_and_b32_e32 v5, 0x3e1, v0
	s_mov_b32 s1, exec_lo
	s_barrier
	buffer_gl0_inv
	v_cmpx_eq_u32_e32 32, v5
; %bb.44:
	ds_write2_b32 v4, v2, v1 offset1:16
; %bb.45:
	s_or_b32 exec_lo, exec_lo, s1
	s_mov_b32 s1, exec_lo
	s_waitcnt lgkmcnt(0)
	s_barrier
	buffer_gl0_inv
	v_cmpx_gt_u32_e32 32, v0
	s_cbranch_execz .LBB135_51
; %bb.46:
	s_and_saveexec_b32 s0, vcc_lo
	s_cbranch_execz .LBB135_48
; %bb.47:
	ds_read_b32 v0, v3
	s_waitcnt lgkmcnt(0)
	v_add_f32_e32 v2, v2, v0
.LBB135_48:
	s_or_b32 exec_lo, exec_lo, s0
	s_and_saveexec_b32 s0, vcc_lo
	s_cbranch_execz .LBB135_50
; %bb.49:
	ds_read_b32 v0, v3 offset:64
	s_waitcnt lgkmcnt(0)
	v_add_f32_e32 v1, v1, v0
.LBB135_50:
	s_or_b32 exec_lo, exec_lo, s0
.LBB135_51:
	s_or_b32 exec_lo, exec_lo, s1
	s_barrier
	buffer_gl0_inv
	s_mov_b32 s0, exec_lo
	v_cmpx_eq_u32_e32 0, v5
	s_cbranch_execz .LBB135_53
; %bb.52:
	s_mul_i32 s0, s10, s7
	v_bfe_u32 v0, v2, 16, 1
	s_mul_i32 s0, s0, s9
	s_mul_i32 s2, s7, s6
	s_lshl_b32 s0, s0, 5
	v_or_b32_e32 v3, 0x400000, v2
	s_ashr_i32 s1, s0, 31
	v_bfe_u32 v4, v1, 16, 1
	s_lshl_b64 s[0:1], s[0:1], 1
	v_add3_u32 v0, v0, v2, 0x7fff
	s_add_u32 s4, s16, s0
	s_addc_u32 s5, s17, s1
	s_ashr_i32 s3, s2, 31
	v_cmp_u_f32_e32 vcc_lo, v2, v2
	s_lshl_b64 s[0:1], s[2:3], 1
	v_or_b32_e32 v5, 0x400000, v1
	s_add_u32 s2, s4, s0
	s_addc_u32 s3, s5, s1
	s_lshl_b32 s0, s8, 5
	v_add3_u32 v4, v4, v1, 0x7fff
	v_cndmask_b32_e32 v0, v0, v3, vcc_lo
	v_cmp_u_f32_e32 vcc_lo, v1, v1
	s_ashr_i32 s1, s0, 31
	v_lshlrev_b32_e32 v2, 1, v19
	s_lshl_b64 s[0:1], s[0:1], 1
	v_cndmask_b32_e32 v1, v4, v5, vcc_lo
	s_add_u32 s0, s2, s0
	s_addc_u32 s1, s3, s1
	global_store_short_d16_hi v2, v0, s[0:1]
	global_store_short_d16_hi v2, v1, s[0:1] offset:32
.LBB135_53:
	s_endpgm
	.section	.rodata,"a",@progbits
	.p2align	6, 0x0
	.amdhsa_kernel _ZN4vllm25paged_attention_v1_kernelI14__hip_bfloat16S1_Li32ELi16ELi128ELNS_18Fp8KVCacheDataTypeE0ELb0EEEvPT_PKS3_PKT0_S9_ifPKiSB_iPKfiiiSD_SD_iiiii
		.amdhsa_group_segment_fixed_size 96
		.amdhsa_private_segment_fixed_size 0
		.amdhsa_kernarg_size 384
		.amdhsa_user_sgpr_count 6
		.amdhsa_user_sgpr_private_segment_buffer 1
		.amdhsa_user_sgpr_dispatch_ptr 0
		.amdhsa_user_sgpr_queue_ptr 0
		.amdhsa_user_sgpr_kernarg_segment_ptr 1
		.amdhsa_user_sgpr_dispatch_id 0
		.amdhsa_user_sgpr_flat_scratch_init 0
		.amdhsa_user_sgpr_private_segment_size 0
		.amdhsa_wavefront_size32 1
		.amdhsa_uses_dynamic_stack 0
		.amdhsa_system_sgpr_private_segment_wavefront_offset 0
		.amdhsa_system_sgpr_workgroup_id_x 1
		.amdhsa_system_sgpr_workgroup_id_y 1
		.amdhsa_system_sgpr_workgroup_id_z 1
		.amdhsa_system_sgpr_workgroup_info 0
		.amdhsa_system_vgpr_workitem_id 0
		.amdhsa_next_free_vgpr 49
		.amdhsa_next_free_sgpr 27
		.amdhsa_reserve_vcc 1
		.amdhsa_reserve_flat_scratch 0
		.amdhsa_float_round_mode_32 0
		.amdhsa_float_round_mode_16_64 0
		.amdhsa_float_denorm_mode_32 3
		.amdhsa_float_denorm_mode_16_64 3
		.amdhsa_dx10_clamp 1
		.amdhsa_ieee_mode 1
		.amdhsa_fp16_overflow 0
		.amdhsa_workgroup_processor_mode 1
		.amdhsa_memory_ordered 1
		.amdhsa_forward_progress 1
		.amdhsa_shared_vgpr_count 0
		.amdhsa_exception_fp_ieee_invalid_op 0
		.amdhsa_exception_fp_denorm_src 0
		.amdhsa_exception_fp_ieee_div_zero 0
		.amdhsa_exception_fp_ieee_overflow 0
		.amdhsa_exception_fp_ieee_underflow 0
		.amdhsa_exception_fp_ieee_inexact 0
		.amdhsa_exception_int_div_zero 0
	.end_amdhsa_kernel
	.section	.text._ZN4vllm25paged_attention_v1_kernelI14__hip_bfloat16S1_Li32ELi16ELi128ELNS_18Fp8KVCacheDataTypeE0ELb0EEEvPT_PKS3_PKT0_S9_ifPKiSB_iPKfiiiSD_SD_iiiii,"axG",@progbits,_ZN4vllm25paged_attention_v1_kernelI14__hip_bfloat16S1_Li32ELi16ELi128ELNS_18Fp8KVCacheDataTypeE0ELb0EEEvPT_PKS3_PKT0_S9_ifPKiSB_iPKfiiiSD_SD_iiiii,comdat
.Lfunc_end135:
	.size	_ZN4vllm25paged_attention_v1_kernelI14__hip_bfloat16S1_Li32ELi16ELi128ELNS_18Fp8KVCacheDataTypeE0ELb0EEEvPT_PKS3_PKT0_S9_ifPKiSB_iPKfiiiSD_SD_iiiii, .Lfunc_end135-_ZN4vllm25paged_attention_v1_kernelI14__hip_bfloat16S1_Li32ELi16ELi128ELNS_18Fp8KVCacheDataTypeE0ELb0EEEvPT_PKS3_PKT0_S9_ifPKiSB_iPKfiiiSD_SD_iiiii
                                        ; -- End function
	.set _ZN4vllm25paged_attention_v1_kernelI14__hip_bfloat16S1_Li32ELi16ELi128ELNS_18Fp8KVCacheDataTypeE0ELb0EEEvPT_PKS3_PKT0_S9_ifPKiSB_iPKfiiiSD_SD_iiiii.num_vgpr, 49
	.set _ZN4vllm25paged_attention_v1_kernelI14__hip_bfloat16S1_Li32ELi16ELi128ELNS_18Fp8KVCacheDataTypeE0ELb0EEEvPT_PKS3_PKT0_S9_ifPKiSB_iPKfiiiSD_SD_iiiii.num_agpr, 0
	.set _ZN4vllm25paged_attention_v1_kernelI14__hip_bfloat16S1_Li32ELi16ELi128ELNS_18Fp8KVCacheDataTypeE0ELb0EEEvPT_PKS3_PKT0_S9_ifPKiSB_iPKfiiiSD_SD_iiiii.numbered_sgpr, 27
	.set _ZN4vllm25paged_attention_v1_kernelI14__hip_bfloat16S1_Li32ELi16ELi128ELNS_18Fp8KVCacheDataTypeE0ELb0EEEvPT_PKS3_PKT0_S9_ifPKiSB_iPKfiiiSD_SD_iiiii.num_named_barrier, 0
	.set _ZN4vllm25paged_attention_v1_kernelI14__hip_bfloat16S1_Li32ELi16ELi128ELNS_18Fp8KVCacheDataTypeE0ELb0EEEvPT_PKS3_PKT0_S9_ifPKiSB_iPKfiiiSD_SD_iiiii.private_seg_size, 0
	.set _ZN4vllm25paged_attention_v1_kernelI14__hip_bfloat16S1_Li32ELi16ELi128ELNS_18Fp8KVCacheDataTypeE0ELb0EEEvPT_PKS3_PKT0_S9_ifPKiSB_iPKfiiiSD_SD_iiiii.uses_vcc, 1
	.set _ZN4vllm25paged_attention_v1_kernelI14__hip_bfloat16S1_Li32ELi16ELi128ELNS_18Fp8KVCacheDataTypeE0ELb0EEEvPT_PKS3_PKT0_S9_ifPKiSB_iPKfiiiSD_SD_iiiii.uses_flat_scratch, 0
	.set _ZN4vllm25paged_attention_v1_kernelI14__hip_bfloat16S1_Li32ELi16ELi128ELNS_18Fp8KVCacheDataTypeE0ELb0EEEvPT_PKS3_PKT0_S9_ifPKiSB_iPKfiiiSD_SD_iiiii.has_dyn_sized_stack, 0
	.set _ZN4vllm25paged_attention_v1_kernelI14__hip_bfloat16S1_Li32ELi16ELi128ELNS_18Fp8KVCacheDataTypeE0ELb0EEEvPT_PKS3_PKT0_S9_ifPKiSB_iPKfiiiSD_SD_iiiii.has_recursion, 0
	.set _ZN4vllm25paged_attention_v1_kernelI14__hip_bfloat16S1_Li32ELi16ELi128ELNS_18Fp8KVCacheDataTypeE0ELb0EEEvPT_PKS3_PKT0_S9_ifPKiSB_iPKfiiiSD_SD_iiiii.has_indirect_call, 0
	.section	.AMDGPU.csdata,"",@progbits
; Kernel info:
; codeLenInByte = 4792
; TotalNumSgprs: 29
; NumVgprs: 49
; ScratchSize: 0
; MemoryBound: 0
; FloatMode: 240
; IeeeMode: 1
; LDSByteSize: 96 bytes/workgroup (compile time only)
; SGPRBlocks: 0
; VGPRBlocks: 6
; NumSGPRsForWavesPerEU: 29
; NumVGPRsForWavesPerEU: 49
; Occupancy: 16
; WaveLimiterHint : 1
; COMPUTE_PGM_RSRC2:SCRATCH_EN: 0
; COMPUTE_PGM_RSRC2:USER_SGPR: 6
; COMPUTE_PGM_RSRC2:TRAP_HANDLER: 0
; COMPUTE_PGM_RSRC2:TGID_X_EN: 1
; COMPUTE_PGM_RSRC2:TGID_Y_EN: 1
; COMPUTE_PGM_RSRC2:TGID_Z_EN: 1
; COMPUTE_PGM_RSRC2:TIDIG_COMP_CNT: 0
	.section	.text._ZN4vllm25paged_attention_v1_kernelI14__hip_bfloat16S1_Li64ELi16ELi128ELNS_18Fp8KVCacheDataTypeE0ELb0EEEvPT_PKS3_PKT0_S9_ifPKiSB_iPKfiiiSD_SD_iiiii,"axG",@progbits,_ZN4vllm25paged_attention_v1_kernelI14__hip_bfloat16S1_Li64ELi16ELi128ELNS_18Fp8KVCacheDataTypeE0ELb0EEEvPT_PKS3_PKT0_S9_ifPKiSB_iPKfiiiSD_SD_iiiii,comdat
	.protected	_ZN4vllm25paged_attention_v1_kernelI14__hip_bfloat16S1_Li64ELi16ELi128ELNS_18Fp8KVCacheDataTypeE0ELb0EEEvPT_PKS3_PKT0_S9_ifPKiSB_iPKfiiiSD_SD_iiiii ; -- Begin function _ZN4vllm25paged_attention_v1_kernelI14__hip_bfloat16S1_Li64ELi16ELi128ELNS_18Fp8KVCacheDataTypeE0ELb0EEEvPT_PKS3_PKT0_S9_ifPKiSB_iPKfiiiSD_SD_iiiii
	.globl	_ZN4vllm25paged_attention_v1_kernelI14__hip_bfloat16S1_Li64ELi16ELi128ELNS_18Fp8KVCacheDataTypeE0ELb0EEEvPT_PKS3_PKT0_S9_ifPKiSB_iPKfiiiSD_SD_iiiii
	.p2align	8
	.type	_ZN4vllm25paged_attention_v1_kernelI14__hip_bfloat16S1_Li64ELi16ELi128ELNS_18Fp8KVCacheDataTypeE0ELb0EEEvPT_PKS3_PKT0_S9_ifPKiSB_iPKfiiiSD_SD_iiiii,@function
_ZN4vllm25paged_attention_v1_kernelI14__hip_bfloat16S1_Li64ELi16ELi128ELNS_18Fp8KVCacheDataTypeE0ELb0EEEvPT_PKS3_PKT0_S9_ifPKiSB_iPKfiiiSD_SD_iiiii: ; @_ZN4vllm25paged_attention_v1_kernelI14__hip_bfloat16S1_Li64ELi16ELi128ELNS_18Fp8KVCacheDataTypeE0ELb0EEEvPT_PKS3_PKT0_S9_ifPKiSB_iPKfiiiSD_SD_iiiii
; %bb.0:
	s_clause 0x2
	s_load_dword s9, s[4:5], 0x80
	s_load_dwordx2 s[0:1], s[4:5], 0x30
	s_load_dwordx2 s[24:25], s[4:5], 0x20
	s_mov_b32 s10, s7
	s_ashr_i32 s11, s7, 31
	s_lshl_b64 s[2:3], s[10:11], 2
	s_waitcnt lgkmcnt(0)
	s_add_u32 s0, s0, s2
	s_addc_u32 s1, s1, s3
	s_abs_i32 s2, s24
	s_abs_i32 s11, s9
	v_cvt_f32_u32_e32 v1, s2
	s_sub_i32 s7, 0, s2
	v_rcp_iflag_f32_e32 v1, v1
	v_mul_f32_e32 v1, 0x4f7ffffe, v1
	v_cvt_u32_f32_e32 v1, v1
	v_readfirstlane_b32 s3, v1
	s_mul_i32 s7, s7, s3
	s_mul_hi_u32 s7, s3, s7
	s_add_i32 s3, s3, s7
	s_xor_b32 s7, s9, s24
	s_mul_hi_u32 s3, s11, s3
	s_ashr_i32 s7, s7, 31
	s_mul_i32 s12, s3, s2
	s_mov_b32 s24, 0
	s_sub_i32 s11, s11, s12
	s_add_i32 s12, s3, 1
	s_sub_i32 s13, s11, s2
	s_cmp_ge_u32 s11, s2
	s_cselect_b32 s3, s12, s3
	s_cselect_b32 s11, s13, s11
	s_add_i32 s12, s3, 1
	s_cmp_ge_u32 s11, s2
	s_cselect_b32 s2, s12, s3
	s_abs_i32 s17, s6
	s_xor_b32 s2, s2, s7
	s_sub_i32 s18, s2, s7
	s_load_dwordx2 s[2:3], s[4:5], 0x40
	s_abs_i32 s16, s18
	v_cvt_f32_u32_e32 v1, s16
	s_sub_i32 s11, 0, s16
	v_rcp_iflag_f32_e32 v1, v1
	v_mul_f32_e32 v1, 0x4f7ffffe, v1
	v_cvt_u32_f32_e32 v1, v1
	v_readfirstlane_b32 s7, v1
	s_mul_i32 s11, s11, s7
	s_mul_hi_u32 s11, s7, s11
	s_add_i32 s7, s7, s11
	s_waitcnt lgkmcnt(0)
	s_cmp_eq_u64 s[2:3], 0
	s_mul_hi_u32 s20, s17, s7
	s_cbranch_scc1 .LBB136_2
; %bb.1:
	s_ashr_i32 s7, s6, 31
	s_lshl_b64 s[12:13], s[6:7], 2
	s_add_u32 s2, s2, s12
	s_addc_u32 s3, s3, s13
	s_load_dword s24, s[2:3], 0x0
.LBB136_2:
	s_load_dword s11, s[0:1], 0x0
	s_load_dwordx4 s[12:15], s[4:5], 0x48
	v_lshrrev_b32_e32 v27, 1, v0
	v_and_b32_e32 v28, 1, v0
	v_lshlrev_b32_e32 v3, 3, v0
	s_ashr_i32 s0, s6, 31
	s_ashr_i32 s1, s18, 31
	s_lshl_b32 s6, s6, 6
	s_mov_b32 s2, exec_lo
	v_cmpx_gt_u32_e32 16, v0
	s_cbranch_execz .LBB136_4
; %bb.3:
	s_load_dwordx2 s[18:19], s[4:5], 0x8
	s_waitcnt lgkmcnt(0)
	s_mul_i32 s22, s12, s10
	v_lshlrev_b32_e32 v4, 3, v27
	s_ashr_i32 s23, s22, 31
	s_lshl_b64 s[22:23], s[22:23], 1
	v_lshl_add_u32 v4, v28, 6, v4
	s_add_u32 s3, s18, s22
	s_addc_u32 s12, s19, s23
	s_ashr_i32 s7, s6, 31
	s_lshl_b64 s[18:19], s[6:7], 1
	s_add_u32 s18, s3, s18
	s_addc_u32 s19, s12, s19
	global_load_dwordx2 v[1:2], v3, s[18:19]
	s_waitcnt vmcnt(0)
	ds_write_b64 v4, v[1:2]
.LBB136_4:
	s_or_b32 exec_lo, exec_lo, s2
	s_waitcnt lgkmcnt(0)
	s_add_i32 s2, s11, 15
	s_clause 0x1
	s_load_dwordx2 s[18:19], s[4:5], 0x28
	s_load_dword s7, s[4:5], 0x38
	s_ashr_i32 s3, s2, 31
	s_xor_b32 s0, s0, s1
	s_lshr_b32 s3, s3, 28
	s_mul_i32 s1, s20, s16
	s_add_i32 s2, s2, s3
	s_sub_i32 s1, s17, s1
	s_ashr_i32 s12, s2, 4
	s_add_i32 s2, s20, 1
	s_sub_i32 s3, s1, s16
	s_cmp_ge_u32 s1, s16
	v_lshrrev_b32_e32 v29, 5, v0
	s_cselect_b32 s2, s2, s20
	s_cselect_b32 s1, s3, s1
	s_add_i32 s3, s2, 1
	s_cmp_ge_u32 s1, s16
	v_mbcnt_lo_u32_b32 v5, -1, 0
	s_cselect_b32 s1, s3, s2
	s_mov_b32 s2, exec_lo
	s_xor_b32 s1, s1, s0
	s_waitcnt lgkmcnt(0)
	s_mul_i32 s20, s7, s10
	s_sub_i32 s1, s1, s0
	v_cmp_gt_i32_e64 s0, s12, v29
	s_ashr_i32 s21, s20, 31
	s_barrier
	buffer_gl0_inv
                                        ; implicit-def: $vgpr6
                                        ; implicit-def: $vgpr7
	v_cmpx_le_i32_e64 s12, v29
	s_xor_b32 s2, exec_lo, s2
; %bb.5:
	v_mov_b32_e32 v6, 0
	v_mbcnt_lo_u32_b32 v5, -1, 0
	v_mov_b32_e32 v7, 32
; %bb.6:
	s_or_saveexec_b32 s26, s2
	s_clause 0x2
	s_load_dwordx2 s[16:17], s[4:5], 0x0
	s_load_dwordx2 s[22:23], s[4:5], 0x18
	s_load_dword s7, s[4:5], 0x88
	v_mov_b32_e32 v39, 0xff7fffff
	v_lshrrev_b32_e32 v4, 3, v0
	s_mul_i32 s14, s1, s14
	s_xor_b32 exec_lo, exec_lo, s26
	s_cbranch_execz .LBB136_12
; %bb.7:
	s_load_dwordx2 s[2:3], s[4:5], 0x10
	v_lshlrev_b32_e32 v1, 6, v28
	v_bfe_u32 v2, v0, 1, 4
	s_ashr_i32 s15, s14, 31
	v_and_b32_e32 v7, 8, v3
	s_lshl_b64 s[4:5], s[14:15], 1
	ds_read_b128 v[14:17], v1
	v_lshlrev_b32_e32 v8, 4, v2
	ds_read_b128 v[22:25], v1 offset:16
	ds_read_b128 v[33:36], v1 offset:32
	;; [unrolled: 1-line block ×3, first 2 shown]
	v_lshlrev_b32_e32 v39, 2, v2
	v_lshl_or_b32 v47, v29, 4, v2
	v_and_b32_e32 v2, 0x7c, v4
	v_mov_b32_e32 v6, 0
	v_mov_b32_e32 v49, v29
	s_mov_b32 s15, s13
	s_waitcnt lgkmcnt(0)
	s_add_u32 s1, s2, s4
	s_addc_u32 s2, s3, s5
	v_add_co_u32 v1, s1, s1, v8
	v_add_co_ci_u32_e64 v18, null, s2, 0, s1
	v_lshlrev_b32_e32 v10, 16, v15
	v_and_b32_e32 v11, 0xffff0000, v15
	v_add_co_u32 v15, vcc_lo, v1, v7
	v_xor_b32_e32 v1, 1, v5
	v_lshlrev_b32_e32 v12, 16, v16
	v_and_b32_e32 v13, 0xffff0000, v16
	v_add_co_ci_u32_e64 v16, null, 0, v18, vcc_lo
	v_cmp_gt_i32_e32 vcc_lo, 32, v1
	s_lshl_b64 s[2:3], s[20:21], 2
	s_sub_i32 s4, 1, s11
	s_add_u32 s2, s18, s2
	s_addc_u32 s3, s19, s3
	v_cndmask_b32_e32 v1, v5, v1, vcc_lo
	v_lshlrev_b32_e32 v8, 16, v14
	v_and_b32_e32 v9, 0xffff0000, v14
	v_lshlrev_b32_e32 v14, 16, v17
	v_and_b32_e32 v17, 0xffff0000, v17
	v_lshlrev_b32_e32 v46, 2, v1
	v_lshl_or_b32 v1, v29, 6, v39
	v_lshlrev_b32_e32 v18, 16, v22
	v_and_b32_e32 v19, 0xffff0000, v22
	v_lshlrev_b32_e32 v20, 16, v23
	v_and_b32_e32 v21, 0xffff0000, v23
	v_add_nc_u32_e32 v48, 0xa0, v1
	v_add_co_u32 v1, s2, s2, v2
	v_lshlrev_b32_e32 v22, 16, v24
	v_and_b32_e32 v23, 0xffff0000, v24
	v_lshlrev_b32_e32 v24, 16, v25
	v_and_b32_e32 v25, 0xffff0000, v25
	;; [unrolled: 2-line block ×10, first 2 shown]
	v_mov_b32_e32 v7, 32
	v_cmp_neq_f32_e64 s1, s24, 0
	v_add_co_ci_u32_e64 v2, null, s3, 0, s2
	v_mov_b32_e32 v39, 0xff7fffff
	s_mov_b32 s5, 0
	v_cmp_eq_u32_e32 vcc_lo, 0, v28
	s_branch .LBB136_9
.LBB136_8:                              ;   in Loop: Header=BB136_9 Depth=1
	s_or_b32 exec_lo, exec_lo, s3
	v_add_nc_u32_e32 v49, 4, v49
	v_add_co_u32 v1, s3, v1, 16
	v_add_nc_u32_e32 v47, 64, v47
	v_add_nc_u32_e32 v48, 0x100, v48
	v_cmp_le_i32_e64 s2, s12, v49
	v_add_co_ci_u32_e64 v2, null, 0, v2, s3
	s_or_b32 s5, s2, s5
	s_andn2_b32 exec_lo, exec_lo, s5
	s_cbranch_execz .LBB136_11
.LBB136_9:                              ; =>This Inner Loop Header: Depth=1
	global_load_dword v50, v[1:2], off
	s_waitcnt vmcnt(0) lgkmcnt(0)
	v_mad_i64_i32 v[50:51], null, v50, s15, 0
	v_lshlrev_b64 v[50:51], 1, v[50:51]
	v_add_co_u32 v50, s2, v15, v50
	v_add_co_ci_u32_e64 v51, null, v16, v51, s2
	s_clause 0x7
	global_load_dwordx2 v[52:53], v[50:51], off
	global_load_dwordx2 v[54:55], v[50:51], off offset:256
	global_load_dwordx2 v[56:57], v[50:51], off offset:512
	global_load_dwordx2 v[58:59], v[50:51], off offset:768
	global_load_dwordx2 v[60:61], v[50:51], off offset:1024
	global_load_dwordx2 v[62:63], v[50:51], off offset:1280
	global_load_dwordx2 v[64:65], v[50:51], off offset:1536
	global_load_dwordx2 v[50:51], v[50:51], off offset:1792
	s_waitcnt vmcnt(7)
	v_lshlrev_b32_e32 v66, 16, v52
	s_waitcnt vmcnt(6)
	v_lshlrev_b32_e32 v68, 16, v54
	v_and_b32_e32 v54, 0xffff0000, v54
	v_and_b32_e32 v52, 0xffff0000, v52
	v_lshlrev_b32_e32 v69, 16, v55
	v_lshlrev_b32_e32 v67, 16, v53
	v_mul_f32_e32 v68, v12, v68
	v_mul_f32_e32 v54, v13, v54
	v_and_b32_e32 v55, 0xffff0000, v55
	s_waitcnt vmcnt(5)
	v_lshlrev_b32_e32 v70, 16, v56
	v_and_b32_e32 v56, 0xffff0000, v56
	v_mul_f32_e32 v69, v14, v69
	v_fmac_f32_e32 v68, v8, v66
	v_fmac_f32_e32 v54, v9, v52
	v_and_b32_e32 v53, 0xffff0000, v53
	v_lshlrev_b32_e32 v71, 16, v57
	s_waitcnt vmcnt(4)
	v_lshlrev_b32_e32 v72, 16, v58
	v_and_b32_e32 v58, 0xffff0000, v58
	v_mul_f32_e32 v55, v17, v55
	v_fmac_f32_e32 v69, v10, v67
	v_fmac_f32_e32 v68, v18, v70
	v_fmac_f32_e32 v54, v19, v56
	v_and_b32_e32 v57, 0xffff0000, v57
	v_lshlrev_b32_e32 v73, 16, v59
	s_waitcnt vmcnt(3)
	v_lshlrev_b32_e32 v74, 16, v60
	v_and_b32_e32 v60, 0xffff0000, v60
	v_fmac_f32_e32 v55, v11, v53
	v_fmac_f32_e32 v69, v20, v71
	v_fmac_f32_e32 v68, v22, v72
	v_fmac_f32_e32 v54, v23, v58
	v_and_b32_e32 v59, 0xffff0000, v59
	v_lshlrev_b32_e32 v75, 16, v61
	s_waitcnt vmcnt(2)
	v_lshlrev_b32_e32 v76, 16, v62
	v_and_b32_e32 v62, 0xffff0000, v62
	v_fmac_f32_e32 v55, v21, v57
	;; [unrolled: 9-line block ×4, first 2 shown]
	v_fmac_f32_e32 v69, v35, v77
	v_fmac_f32_e32 v68, v37, v78
	;; [unrolled: 1-line block ×3, first 2 shown]
	v_and_b32_e32 v53, 0xffff0000, v65
	v_lshlrev_b32_e32 v52, 16, v51
	v_fmac_f32_e32 v55, v36, v63
	v_fmac_f32_e32 v69, v40, v56
	;; [unrolled: 1-line block ×4, first 2 shown]
	v_and_b32_e32 v50, 0xffff0000, v51
	v_fmac_f32_e32 v55, v41, v53
	v_fmac_f32_e32 v69, v44, v52
	v_add_f32_e32 v51, v68, v54
	v_fmac_f32_e32 v55, v45, v50
	v_add_f32_e32 v50, v51, v69
	v_add_f32_e32 v50, v55, v50
	ds_bpermute_b32 v51, v46, v50
	s_and_saveexec_b32 s3, vcc_lo
	s_cbranch_execz .LBB136_8
; %bb.10:                               ;   in Loop: Header=BB136_9 Depth=1
	v_add_nc_u32_e32 v52, s4, v47
	s_waitcnt lgkmcnt(0)
	v_add_f32_e32 v50, v50, v51
	v_cmp_gt_i32_e64 s2, s11, v47
	v_cvt_f32_i32_e32 v52, v52
	v_mul_f32_e32 v52, s24, v52
	v_cndmask_b32_e64 v51, 0, v52, s1
	v_max_f32_e32 v52, v39, v39
	v_fmac_f32_e32 v51, s25, v50
	v_max_f32_e32 v50, v52, v51
	v_cndmask_b32_e64 v51, 0, v51, s2
	v_cndmask_b32_e64 v39, v39, v50, s2
	ds_write_b32 v48, v51
	s_branch .LBB136_8
.LBB136_11:
	s_or_b32 exec_lo, exec_lo, s5
.LBB136_12:
	s_or_b32 exec_lo, exec_lo, s26
	v_xor_b32_e32 v1, 16, v5
	v_xor_b32_e32 v8, 8, v5
	v_max_f32_e32 v9, v39, v39
	v_xor_b32_e32 v10, 4, v5
	v_and_b32_e32 v30, 31, v0
	v_cmp_lt_i32_e32 vcc_lo, v1, v7
	v_cndmask_b32_e32 v1, v5, v1, vcc_lo
	v_cmp_lt_i32_e32 vcc_lo, v8, v7
	v_lshlrev_b32_e32 v2, 2, v1
	v_cndmask_b32_e32 v8, v5, v8, vcc_lo
	v_cmp_lt_i32_e32 vcc_lo, v10, v7
	ds_bpermute_b32 v1, v2, v39
	v_lshlrev_b32_e32 v8, 2, v8
	v_cndmask_b32_e32 v10, v5, v10, vcc_lo
	s_waitcnt lgkmcnt(0)
	v_max_f32_e32 v1, v1, v1
	v_max_f32_e32 v1, v9, v1
	ds_bpermute_b32 v9, v8, v1
	s_waitcnt lgkmcnt(0)
	v_max_f32_e32 v11, v9, v9
	v_lshlrev_b32_e32 v9, 2, v10
	v_max_f32_e32 v1, v1, v11
	v_xor_b32_e32 v11, 2, v5
	ds_bpermute_b32 v10, v9, v1
	v_cmp_lt_i32_e32 vcc_lo, v11, v7
	v_cndmask_b32_e32 v12, v5, v11, vcc_lo
	v_cmp_eq_u32_e32 vcc_lo, 0, v30
	s_waitcnt lgkmcnt(0)
	v_max_f32_e32 v10, v10, v10
	v_max_f32_e32 v11, v1, v10
	v_lshlrev_b32_e32 v1, 2, v12
	v_lshlrev_b32_e32 v10, 2, v29
	ds_bpermute_b32 v12, v1, v11
	s_and_saveexec_b32 s1, vcc_lo
	s_cbranch_execz .LBB136_14
; %bb.13:
	s_waitcnt lgkmcnt(0)
	v_max_f32_e32 v12, v12, v12
	v_max_f32_e32 v11, v11, v11
	;; [unrolled: 1-line block ×3, first 2 shown]
	ds_write_b32 v10, v11 offset:128
.LBB136_14:
	s_or_b32 exec_lo, exec_lo, s1
	v_cmp_gt_u32_e64 s1, 4, v30
	s_waitcnt lgkmcnt(0)
	v_mov_b32_e32 v12, 0xff7fffff
	v_lshlrev_b32_e32 v11, 2, v30
	s_barrier
	buffer_gl0_inv
	s_and_saveexec_b32 s2, s1
; %bb.15:
	ds_read_b32 v12, v11 offset:128
; %bb.16:
	s_or_b32 exec_lo, exec_lo, s2
	s_waitcnt lgkmcnt(0)
	ds_bpermute_b32 v13, v1, v12
	v_xor_b32_e32 v14, 1, v5
	v_max_f32_e32 v12, v12, v12
	v_lshlrev_b32_e32 v6, 2, v6
	v_cmp_lt_i32_e64 s2, v14, v7
	v_cndmask_b32_e64 v7, v5, v14, s2
	s_lshl_b32 s2, s12, 4
	s_min_i32 s4, s2, s11
	v_lshlrev_b32_e32 v31, 2, v7
	v_cmp_gt_i32_e64 s2, s4, v0
	s_waitcnt lgkmcnt(0)
	v_max_f32_e32 v13, v13, v13
	v_max_f32_e32 v7, v12, v13
	ds_bpermute_b32 v12, v31, v7
	s_waitcnt lgkmcnt(0)
	v_max_f32_e32 v12, v12, v12
	v_max_f32_e32 v7, v7, v12
	ds_bpermute_b32 v12, v6, v7
	v_mov_b32_e32 v7, 0
	v_lshl_add_u32 v6, v0, 2, 0xa0
	s_and_saveexec_b32 s5, s2
	s_cbranch_execz .LBB136_20
; %bb.17:
	v_lshl_add_u32 v13, v0, 2, 0xa0
	v_mov_b32_e32 v7, 0
	v_mov_b32_e32 v14, v0
	s_mov_b32 s15, 0
	.p2align	6
.LBB136_18:                             ; =>This Inner Loop Header: Depth=1
	ds_read_b32 v15, v13
	v_add_nc_u32_e32 v14, 0x80, v14
	v_cmp_le_i32_e64 s3, s4, v14
	s_or_b32 s15, s3, s15
	s_waitcnt lgkmcnt(0)
	v_sub_f32_e32 v15, v15, v12
	v_mul_f32_e32 v15, 0x3fb8aa3b, v15
	v_exp_f32_e32 v15, v15
	ds_write_b32 v13, v15
	v_add_f32_e32 v7, v7, v15
	v_add_nc_u32_e32 v13, 0x200, v13
	s_andn2_b32 exec_lo, exec_lo, s15
	s_cbranch_execnz .LBB136_18
; %bb.19:
	s_or_b32 exec_lo, exec_lo, s15
.LBB136_20:
	s_or_b32 exec_lo, exec_lo, s5
	ds_bpermute_b32 v2, v2, v7
	s_waitcnt lgkmcnt(0)
	v_add_f32_e32 v2, v7, v2
	ds_bpermute_b32 v7, v8, v2
	s_waitcnt lgkmcnt(0)
	v_add_f32_e32 v2, v2, v7
	;; [unrolled: 3-line block ×5, first 2 shown]
	s_and_saveexec_b32 s3, vcc_lo
; %bb.21:
	ds_write_b32 v10, v2 offset:144
; %bb.22:
	s_or_b32 exec_lo, exec_lo, s3
	s_waitcnt lgkmcnt(0)
	s_barrier
	buffer_gl0_inv
	s_and_saveexec_b32 s3, s1
; %bb.23:
	ds_read_b32 v2, v11 offset:144
; %bb.24:
	s_or_b32 exec_lo, exec_lo, s3
	s_waitcnt lgkmcnt(0)
	ds_bpermute_b32 v1, v1, v2
	v_lshlrev_b32_e32 v5, 2, v5
	s_waitcnt lgkmcnt(0)
	v_add_f32_e32 v1, v2, v1
	ds_bpermute_b32 v2, v31, v1
	s_waitcnt lgkmcnt(0)
	v_add_f32_e32 v1, v1, v2
	v_and_b32_e32 v2, 0xffffff80, v5
	ds_bpermute_b32 v1, v2, v1
	s_and_saveexec_b32 s1, s2
	s_cbranch_execz .LBB136_27
; %bb.25:
	s_waitcnt lgkmcnt(0)
	v_add_f32_e32 v1, 0x358637bd, v1
	s_mov_b32 s2, 0
	v_div_scale_f32 v2, null, v1, v1, 1.0
	v_div_scale_f32 v8, vcc_lo, 1.0, v1, 1.0
	v_rcp_f32_e32 v5, v2
	v_fma_f32 v7, -v2, v5, 1.0
	v_fmac_f32_e32 v5, v7, v5
	v_mul_f32_e32 v7, v8, v5
	v_fma_f32 v9, -v2, v7, v8
	v_fmac_f32_e32 v7, v9, v5
	v_fma_f32 v2, -v2, v7, v8
	v_div_fmas_f32 v2, v2, v5, v7
	v_div_fixup_f32 v1, v2, v1, 1.0
	v_mov_b32_e32 v2, v0
.LBB136_26:                             ; =>This Inner Loop Header: Depth=1
	ds_read_b32 v5, v6
	v_add_nc_u32_e32 v2, 0x80, v2
	v_cmp_le_i32_e32 vcc_lo, s4, v2
	s_or_b32 s2, vcc_lo, s2
	s_waitcnt lgkmcnt(0)
	v_mul_f32_e32 v5, v1, v5
	ds_write_b32 v6, v5
	v_add_nc_u32_e32 v6, 0x200, v6
	s_andn2_b32 exec_lo, exec_lo, s2
	s_cbranch_execnz .LBB136_26
.LBB136_27:
	s_or_b32 exec_lo, exec_lo, s1
	v_mov_b32_e32 v34, 0
	v_mov_b32_e32 v35, 0
	;; [unrolled: 1-line block ×4, first 2 shown]
	s_waitcnt lgkmcnt(0)
	s_barrier
	buffer_gl0_inv
	s_and_saveexec_b32 s3, s0
	s_cbranch_execz .LBB136_39
; %bb.28:
	v_lshlrev_b32_e32 v1, 4, v0
	s_ashr_i32 s15, s14, 31
	v_and_b32_e32 v2, 8, v3
	s_lshl_b64 s[0:1], s[14:15], 1
	v_lshlrev_b32_e32 v3, 5, v28
	v_and_b32_e32 v1, 0x1f0, v1
	s_add_u32 s0, s22, s0
	s_addc_u32 s1, s23, s1
	s_add_i32 s4, s12, -1
	v_lshl_or_b32 v3, v29, 6, v3
	v_add_co_u32 v37, s0, s0, v1
	v_and_b32_e32 v1, 0x7c, v4
	v_add_co_ci_u32_e64 v38, null, s1, 0, s0
	s_lshl_b64 s[0:1], s[20:21], 2
	v_mov_b32_e32 v36, 0
	s_add_u32 s0, s18, s0
	s_addc_u32 s1, s19, s1
	v_add_co_u32 v25, s0, s0, v1
	v_lshl_or_b32 v39, v29, 4, v2
	v_add_nc_u32_e32 v40, 0xa0, v3
	v_add_co_ci_u32_e64 v26, null, s1, 0, s0
	v_mov_b32_e32 v32, 0
	v_mov_b32_e32 v33, 0
	;; [unrolled: 1-line block ×5, first 2 shown]
	s_mov_b32 s5, s13
	s_mov_b32 s14, s11
	;; [unrolled: 1-line block ×3, first 2 shown]
	s_branch .LBB136_30
.LBB136_29:                             ;   in Loop: Header=BB136_30 Depth=1
	s_or_b32 exec_lo, exec_lo, s2
	s_waitcnt lgkmcnt(1)
	v_bfe_u32 v42, v17, 16, 1
	v_bfe_u32 v43, v18, 16, 1
	v_or_b32_e32 v44, 0x400000, v17
	v_cmp_u_f32_e32 vcc_lo, v17, v17
	v_or_b32_e32 v45, 0x400000, v18
	v_add3_u32 v42, v42, v17, 0x7fff
	v_bfe_u32 v46, v19, 16, 1
	v_add3_u32 v43, v43, v18, 0x7fff
	v_bfe_u32 v47, v20, 16, 1
	s_waitcnt vmcnt(1)
	v_and_b32_e32 v49, 0xffff0000, v24
	v_cndmask_b32_e32 v17, v42, v44, vcc_lo
	v_cmp_u_f32_e32 vcc_lo, v18, v18
	v_add3_u32 v42, v46, v19, 0x7fff
	v_add3_u32 v44, v47, v20, 0x7fff
	s_waitcnt lgkmcnt(0)
	v_bfe_u32 v46, v13, 16, 1
	v_and_b32_e32 v17, 0xffff0000, v17
	v_cndmask_b32_e32 v18, v43, v45, vcc_lo
	v_or_b32_e32 v43, 0x400000, v19
	v_cmp_u_f32_e32 vcc_lo, v19, v19
	v_or_b32_e32 v45, 0x400000, v20
	v_lshlrev_b32_e32 v24, 16, v24
	v_add_nc_u32_e32 v41, 4, v41
	v_add_co_u32 v25, s0, v25, 16
	v_cndmask_b32_e32 v19, v42, v43, vcc_lo
	v_cmp_u_f32_e32 vcc_lo, v20, v20
	v_bfe_u32 v42, v14, 16, 1
	v_add3_u32 v43, v46, v13, 0x7fff
	v_bfe_u32 v46, v15, 16, 1
	v_add_nc_u32_e32 v39, 64, v39
	v_cndmask_b32_e32 v20, v44, v45, vcc_lo
	v_or_b32_e32 v44, 0x400000, v13
	v_cmp_u_f32_e32 vcc_lo, v13, v13
	v_add3_u32 v42, v42, v14, 0x7fff
	v_or_b32_e32 v45, 0x400000, v14
	v_and_b32_e32 v13, 0xffff0000, v18
	v_and_b32_e32 v18, 0xffff0000, v21
	v_cndmask_b32_e32 v43, v43, v44, vcc_lo
	v_cmp_u_f32_e32 vcc_lo, v14, v14
	v_add3_u32 v14, v46, v15, 0x7fff
	v_bfe_u32 v44, v16, 16, 1
	v_lshlrev_b32_e32 v21, 16, v21
	v_mul_f32_e32 v18, v13, v18
	v_cndmask_b32_e32 v42, v42, v45, vcc_lo
	v_or_b32_e32 v45, 0x400000, v15
	v_cmp_u_f32_e32 vcc_lo, v15, v15
	v_add3_u32 v44, v44, v16, 0x7fff
	v_or_b32_e32 v46, 0x400000, v16
	v_mul_f32_e32 v21, v17, v21
	v_bfe_u32 v15, v18, 16, 1
	v_cndmask_b32_e32 v45, v14, v45, vcc_lo
	v_cmp_u_f32_e32 vcc_lo, v16, v16
	v_and_b32_e32 v14, 0xffff0000, v20
	v_and_b32_e32 v20, 0xffff0000, v22
	v_add3_u32 v15, v15, v18, 0x7fff
	v_or_b32_e32 v47, 0x400000, v21
	v_cndmask_b32_e32 v16, v44, v46, vcc_lo
	v_bfe_u32 v44, v21, 16, 1
	v_or_b32_e32 v46, 0x400000, v18
	v_cmp_u_f32_e32 vcc_lo, v18, v18
	v_mul_f32_e32 v48, v14, v20
	v_and_b32_e32 v20, 0xffff0000, v19
	v_add3_u32 v44, v44, v21, 0x7fff
	v_lshlrev_b32_e32 v19, 16, v22
	v_cndmask_b32_e32 v22, v15, v46, vcc_lo
	v_cmp_u_f32_e32 vcc_lo, v21, v21
	v_and_b32_e32 v15, 0xffff0000, v42
	v_and_b32_e32 v42, 0xffff0000, v23
	v_mul_f32_e32 v19, v20, v19
	v_and_b32_e32 v18, 0xffff0000, v43
	v_cndmask_b32_e32 v21, v44, v47, vcc_lo
	v_bfe_u32 v44, v48, 16, 1
	v_lshlrev_b32_e32 v23, 16, v23
	v_bfe_u32 v46, v19, 16, 1
	v_mul_f32_e32 v42, v15, v42
	v_cmp_u_f32_e32 vcc_lo, v48, v48
	v_add3_u32 v43, v44, v48, 0x7fff
	v_or_b32_e32 v44, 0x400000, v48
	v_mul_f32_e32 v23, v18, v23
	v_bfe_u32 v47, v42, 16, 1
	v_and_b32_e32 v16, 0xffff0000, v16
	v_and_b32_e32 v21, 0xffff0000, v21
	v_cndmask_b32_e32 v43, v43, v44, vcc_lo
	v_add3_u32 v44, v46, v19, 0x7fff
	v_or_b32_e32 v46, 0x400000, v19
	v_cmp_u_f32_e32 vcc_lo, v19, v19
	v_bfe_u32 v48, v23, 16, 1
	v_mul_f32_e32 v49, v16, v49
	v_and_b32_e32 v19, 0xffff0000, v45
	v_or_b32_e32 v45, 0x400000, v23
	v_cndmask_b32_e32 v44, v44, v46, vcc_lo
	v_add3_u32 v46, v47, v42, 0x7fff
	v_or_b32_e32 v47, 0x400000, v42
	v_cmp_u_f32_e32 vcc_lo, v42, v42
	v_add3_u32 v48, v48, v23, 0x7fff
	v_bfe_u32 v50, v49, 16, 1
	v_mul_f32_e32 v24, v19, v24
	v_and_b32_e32 v22, 0xffff0000, v22
	v_cndmask_b32_e32 v42, v46, v47, vcc_lo
	v_cmp_u_f32_e32 vcc_lo, v23, v23
	v_or_b32_e32 v46, 0x400000, v49
	v_bfe_u32 v47, v24, 16, 1
	v_and_b32_e32 v44, 0xffff0000, v44
	v_and_b32_e32 v43, 0xffff0000, v43
	v_cndmask_b32_e32 v23, v48, v45, vcc_lo
	v_add3_u32 v45, v50, v49, 0x7fff
	v_cmp_u_f32_e32 vcc_lo, v49, v49
	v_add_f32_e32 v21, v21, v22
	v_add_f32_e32 v22, v44, v43
	v_and_b32_e32 v23, 0xffff0000, v23
	v_and_b32_e32 v42, 0xffff0000, v42
	v_cndmask_b32_e32 v45, v45, v46, vcc_lo
	v_add3_u32 v46, v47, v24, 0x7fff
	v_or_b32_e32 v47, 0x400000, v24
	v_and_b32_e32 v43, 0xffff0000, v9
	v_cmp_u_f32_e32 vcc_lo, v24, v24
	v_lshlrev_b32_e32 v9, 16, v9
	v_add_f32_e32 v21, v22, v21
	v_add_f32_e32 v22, v23, v42
	v_mul_f32_e32 v23, v13, v43
	v_cndmask_b32_e32 v24, v46, v47, vcc_lo
	v_mul_f32_e32 v42, v17, v9
	v_and_b32_e32 v43, 0xffff0000, v45
	v_and_b32_e32 v44, 0xffff0000, v10
	v_bfe_u32 v45, v23, 16, 1
	v_and_b32_e32 v24, 0xffff0000, v24
	v_add_f32_e32 v9, v22, v21
	v_bfe_u32 v22, v42, 16, 1
	v_cmp_u_f32_e32 vcc_lo, v23, v23
	v_lshlrev_b32_e32 v10, 16, v10
	v_add_f32_e32 v21, v24, v43
	v_mul_f32_e32 v24, v14, v44
	v_add3_u32 v43, v45, v23, 0x7fff
	v_or_b32_e32 v44, 0x400000, v23
	v_add3_u32 v22, v22, v42, 0x7fff
	v_or_b32_e32 v45, 0x400000, v42
	v_bfe_u32 v46, v24, 16, 1
	v_mul_f32_e32 v10, v20, v10
	v_cndmask_b32_e32 v23, v43, v44, vcc_lo
	v_cmp_u_f32_e32 vcc_lo, v42, v42
	v_or_b32_e32 v43, 0x400000, v24
	v_add3_u32 v42, v46, v24, 0x7fff
	v_and_b32_e32 v44, 0xffff0000, v11
	v_lshlrev_b32_e32 v11, 16, v11
	v_cndmask_b32_e32 v22, v22, v45, vcc_lo
	v_cmp_u_f32_e32 vcc_lo, v24, v24
	v_bfe_u32 v45, v10, 16, 1
	v_and_b32_e32 v23, 0xffff0000, v23
	v_mul_f32_e32 v11, v18, v11
	v_and_b32_e32 v22, 0xffff0000, v22
	v_cndmask_b32_e32 v24, v42, v43, vcc_lo
	v_mul_f32_e32 v42, v15, v44
	v_add3_u32 v43, v45, v10, 0x7fff
	v_or_b32_e32 v44, 0x400000, v10
	v_and_b32_e32 v45, 0xffff0000, v12
	v_cmp_u_f32_e32 vcc_lo, v10, v10
	v_bfe_u32 v46, v42, 16, 1
	v_bfe_u32 v47, v11, 16, 1
	v_lshlrev_b32_e32 v12, 16, v12
	v_and_b32_e32 v24, 0xffff0000, v24
	v_cndmask_b32_e32 v10, v43, v44, vcc_lo
	v_mul_f32_e32 v43, v16, v45
	v_add3_u32 v44, v46, v42, 0x7fff
	v_or_b32_e32 v45, 0x400000, v42
	v_cmp_u_f32_e32 vcc_lo, v42, v42
	v_add3_u32 v46, v47, v11, 0x7fff
	v_or_b32_e32 v47, 0x400000, v11
	v_bfe_u32 v48, v43, 16, 1
	v_and_b32_e32 v10, 0xffff0000, v10
	v_cndmask_b32_e32 v42, v44, v45, vcc_lo
	v_cmp_u_f32_e32 vcc_lo, v11, v11
	v_or_b32_e32 v45, 0x400000, v43
	v_add3_u32 v44, v48, v43, 0x7fff
	v_mul_f32_e32 v12, v19, v12
	v_add_f32_e32 v22, v22, v23
	v_cndmask_b32_e32 v11, v46, v47, vcc_lo
	v_cmp_u_f32_e32 vcc_lo, v43, v43
	v_add_f32_e32 v10, v10, v24
	v_and_b32_e32 v23, 0xffff0000, v1
	v_and_b32_e32 v24, 0xffff0000, v42
	;; [unrolled: 1-line block ×3, first 2 shown]
	v_cndmask_b32_e32 v43, v44, v45, vcc_lo
	v_bfe_u32 v44, v12, 16, 1
	v_add_f32_e32 v10, v10, v22
	v_mul_f32_e32 v22, v13, v23
	v_add_f32_e32 v11, v11, v24
	v_lshlrev_b32_e32 v1, 16, v1
	v_add3_u32 v42, v44, v12, 0x7fff
	v_or_b32_e32 v44, 0x400000, v12
	v_cmp_u_f32_e32 vcc_lo, v12, v12
	v_bfe_u32 v23, v22, 16, 1
	v_add_f32_e32 v10, v11, v10
	v_and_b32_e32 v11, 0xffff0000, v2
	v_mul_f32_e32 v1, v17, v1
	v_cndmask_b32_e32 v12, v42, v44, vcc_lo
	v_add3_u32 v23, v23, v22, 0x7fff
	v_or_b32_e32 v24, 0x400000, v22
	v_mul_f32_e32 v11, v14, v11
	v_and_b32_e32 v42, 0xffff0000, v43
	v_bfe_u32 v43, v1, 16, 1
	v_cmp_u_f32_e32 vcc_lo, v22, v22
	v_lshlrev_b32_e32 v2, 16, v2
	v_or_b32_e32 v44, 0x400000, v1
	v_or_b32_e32 v45, 0x400000, v11
	v_and_b32_e32 v12, 0xffff0000, v12
	v_cndmask_b32_e32 v22, v23, v24, vcc_lo
	v_bfe_u32 v23, v11, 16, 1
	v_add3_u32 v24, v43, v1, 0x7fff
	v_and_b32_e32 v43, 0xffff0000, v3
	v_mul_f32_e32 v2, v20, v2
	v_cmp_u_f32_e32 vcc_lo, v1, v1
	v_add3_u32 v23, v23, v11, 0x7fff
	v_lshlrev_b32_e32 v3, 16, v3
	v_mul_f32_e32 v43, v15, v43
	v_and_b32_e32 v22, 0xffff0000, v22
	v_cndmask_b32_e32 v1, v24, v44, vcc_lo
	v_bfe_u32 v24, v2, 16, 1
	v_cmp_u_f32_e32 vcc_lo, v11, v11
	v_and_b32_e32 v44, 0xffff0000, v4
	v_mul_f32_e32 v3, v18, v3
	v_or_b32_e32 v46, 0x400000, v43
	v_add3_u32 v24, v24, v2, 0x7fff
	v_cndmask_b32_e32 v11, v23, v45, vcc_lo
	v_bfe_u32 v23, v43, 16, 1
	v_or_b32_e32 v45, 0x400000, v2
	v_cmp_u_f32_e32 vcc_lo, v2, v2
	v_mul_f32_e32 v44, v16, v44
	v_lshlrev_b32_e32 v4, 16, v4
	v_add3_u32 v23, v23, v43, 0x7fff
	v_and_b32_e32 v1, 0xffff0000, v1
	v_cndmask_b32_e32 v2, v24, v45, vcc_lo
	v_bfe_u32 v24, v3, 16, 1
	v_cmp_u_f32_e32 vcc_lo, v43, v43
	v_bfe_u32 v45, v44, 16, 1
	v_or_b32_e32 v43, 0x400000, v3
	v_mul_f32_e32 v4, v19, v4
	v_add3_u32 v24, v24, v3, 0x7fff
	v_cndmask_b32_e32 v23, v23, v46, vcc_lo
	v_cmp_u_f32_e32 vcc_lo, v3, v3
	v_add3_u32 v45, v45, v44, 0x7fff
	v_or_b32_e32 v46, 0x400000, v44
	v_and_b32_e32 v2, 0xffff0000, v2
	v_and_b32_e32 v11, 0xffff0000, v11
	v_cndmask_b32_e32 v3, v24, v43, vcc_lo
	v_cmp_u_f32_e32 vcc_lo, v44, v44
	v_bfe_u32 v43, v4, 16, 1
	v_add_f32_e32 v1, v1, v22
	v_add_f32_e32 v2, v2, v11
	v_and_b32_e32 v3, 0xffff0000, v3
	v_cndmask_b32_e32 v24, v45, v46, vcc_lo
	s_waitcnt vmcnt(0)
	v_lshlrev_b32_e32 v45, 16, v5
	v_and_b32_e32 v11, 0xffff0000, v23
	v_and_b32_e32 v5, 0xffff0000, v5
	v_add3_u32 v43, v43, v4, 0x7fff
	v_or_b32_e32 v44, 0x400000, v4
	v_mul_f32_e32 v17, v17, v45
	v_cmp_u_f32_e32 vcc_lo, v4, v4
	v_add_f32_e32 v1, v2, v1
	v_add_f32_e32 v3, v3, v11
	v_mul_f32_e32 v5, v13, v5
	v_bfe_u32 v2, v17, 16, 1
	v_lshlrev_b32_e32 v11, 16, v6
	v_cndmask_b32_e32 v4, v43, v44, vcc_lo
	v_or_b32_e32 v13, 0x400000, v17
	v_bfe_u32 v22, v5, 16, 1
	v_add3_u32 v2, v2, v17, 0x7fff
	v_mul_f32_e32 v11, v20, v11
	v_and_b32_e32 v6, 0xffff0000, v6
	v_cmp_u_f32_e32 vcc_lo, v17, v17
	v_or_b32_e32 v17, 0x400000, v5
	v_and_b32_e32 v4, 0xffff0000, v4
	v_bfe_u32 v20, v11, 16, 1
	v_mul_f32_e32 v6, v14, v6
	v_cndmask_b32_e32 v2, v2, v13, vcc_lo
	v_add3_u32 v13, v22, v5, 0x7fff
	v_lshlrev_b32_e32 v14, 16, v7
	v_cmp_u_f32_e32 vcc_lo, v5, v5
	v_and_b32_e32 v7, 0xffff0000, v7
	v_and_b32_e32 v2, 0xffff0000, v2
	v_add_f32_e32 v1, v3, v1
	v_mul_f32_e32 v14, v18, v14
	v_cndmask_b32_e32 v5, v13, v17, vcc_lo
	v_add3_u32 v13, v20, v11, 0x7fff
	v_or_b32_e32 v17, 0x400000, v11
	v_bfe_u32 v20, v6, 16, 1
	v_cmp_u_f32_e32 vcc_lo, v11, v11
	v_bfe_u32 v18, v14, 16, 1
	v_mul_f32_e32 v7, v15, v7
	v_lshlrev_b32_e32 v15, 16, v8
	v_and_b32_e32 v8, 0xffff0000, v8
	v_cndmask_b32_e32 v11, v13, v17, vcc_lo
	v_add3_u32 v13, v20, v6, 0x7fff
	v_or_b32_e32 v17, 0x400000, v6
	v_cmp_u_f32_e32 vcc_lo, v6, v6
	v_mul_f32_e32 v8, v16, v8
	v_or_b32_e32 v16, 0x400000, v14
	v_mul_f32_e32 v15, v19, v15
	v_and_b32_e32 v5, 0xffff0000, v5
	v_cndmask_b32_e32 v6, v13, v17, vcc_lo
	v_bfe_u32 v13, v7, 16, 1
	v_add3_u32 v17, v18, v14, 0x7fff
	v_cmp_u_f32_e32 vcc_lo, v14, v14
	v_or_b32_e32 v18, 0x400000, v7
	v_bfe_u32 v20, v8, 16, 1
	v_add3_u32 v13, v13, v7, 0x7fff
	v_bfe_u32 v19, v15, 16, 1
	v_cndmask_b32_e32 v14, v17, v16, vcc_lo
	v_cmp_u_f32_e32 vcc_lo, v7, v7
	v_add3_u32 v16, v20, v8, 0x7fff
	v_or_b32_e32 v17, 0x400000, v8
	v_and_b32_e32 v6, 0xffff0000, v6
	v_and_b32_e32 v11, 0xffff0000, v11
	v_cndmask_b32_e32 v7, v13, v18, vcc_lo
	v_cmp_u_f32_e32 vcc_lo, v8, v8
	v_add3_u32 v13, v19, v15, 0x7fff
	v_or_b32_e32 v18, 0x400000, v15
	v_add_f32_e32 v2, v2, v5
	v_add_f32_e32 v5, v11, v6
	v_cndmask_b32_e32 v8, v16, v17, vcc_lo
	v_cmp_u_f32_e32 vcc_lo, v15, v15
	v_and_b32_e32 v6, 0xffff0000, v7
	v_and_b32_e32 v7, 0xffff0000, v14
	v_add_f32_e32 v2, v5, v2
	v_add_nc_u32_e32 v40, 0x100, v40
	v_cndmask_b32_e32 v11, v13, v18, vcc_lo
	v_and_b32_e32 v13, 0xffff0000, v24
	v_add_f32_e32 v5, v7, v6
	v_and_b32_e32 v6, 0xffff0000, v8
	v_add_f32_e32 v8, v12, v42
	;; [unrolled: 2-line block ×3, first 2 shown]
	v_add_f32_e32 v2, v5, v2
	v_add_f32_e32 v5, v21, v9
	v_cmp_le_i32_e32 vcc_lo, s12, v41
	v_add_f32_e32 v4, v7, v6
	v_add_f32_e32 v6, v8, v10
	;; [unrolled: 1-line block ×4, first 2 shown]
	v_add_co_ci_u32_e64 v26, null, 0, v26, s0
	v_add_f32_e32 v2, v4, v2
	v_add_f32_e32 v35, v35, v6
	;; [unrolled: 1-line block ×3, first 2 shown]
	s_or_b32 s13, vcc_lo, s13
	v_add_f32_e32 v32, v32, v2
	s_andn2_b32 exec_lo, exec_lo, s13
	s_cbranch_execz .LBB136_38
.LBB136_30:                             ; =>This Inner Loop Header: Depth=1
	global_load_dword v1, v[25:26], off
	v_cmp_eq_u32_e64 s0, s4, v41
	v_add_nc_u32_e32 v48, 1, v39
	v_or_b32_e32 v46, 3, v39
	v_or_b32_e32 v47, 2, v39
	;; [unrolled: 1-line block ×6, first 2 shown]
	s_waitcnt vmcnt(0)
	v_mad_i64_i32 v[1:2], null, v1, s5, 0
	v_lshlrev_b64 v[1:2], 1, v[1:2]
	v_add_co_u32 v5, vcc_lo, v37, v1
	v_add_co_ci_u32_e64 v6, null, v38, v2, vcc_lo
	global_load_dwordx4 v[1:4], v[5:6], off
	ds_read2_b64 v[17:20], v40 offset1:1
	ds_read2_b64 v[13:16], v40 offset0:2 offset1:3
	s_and_saveexec_b32 s15, s0
	s_cbranch_execnz .LBB136_34
; %bb.31:                               ;   in Loop: Header=BB136_30 Depth=1
	s_or_b32 exec_lo, exec_lo, s15
	global_load_dwordx4 v[9:12], v[5:6], off offset:512
	s_and_saveexec_b32 s15, s0
	s_cbranch_execnz .LBB136_35
.LBB136_32:                             ;   in Loop: Header=BB136_30 Depth=1
	s_or_b32 exec_lo, exec_lo, s15
	global_load_dwordx4 v[21:24], v[5:6], off offset:1024
	s_and_saveexec_b32 s15, s0
	s_cbranch_execnz .LBB136_36
.LBB136_33:                             ;   in Loop: Header=BB136_30 Depth=1
	s_or_b32 exec_lo, exec_lo, s15
	global_load_dwordx4 v[5:8], v[5:6], off offset:1536
	s_and_saveexec_b32 s2, s0
	s_cbranch_execz .LBB136_29
	s_branch .LBB136_37
.LBB136_34:                             ;   in Loop: Header=BB136_30 Depth=1
	v_cmp_gt_i32_e64 s1, s11, v39
	v_cmp_gt_i32_e32 vcc_lo, s14, v48
	v_cmp_gt_i32_e64 s2, s11, v47
	s_waitcnt vmcnt(0)
	v_cndmask_b32_e64 v7, 0, v1, s1
	v_cmp_gt_i32_e64 s1, s14, v46
	v_cndmask_b32_sdwa v1, v36, v1, vcc_lo dst_sel:DWORD dst_unused:UNUSED_PAD src0_sel:DWORD src1_sel:WORD_1
	v_cndmask_b32_e64 v8, 0, v2, s2
	v_cmp_gt_i32_e64 s2, s14, v45
	s_mov_b32 vcc_lo, s1
	v_cmp_gt_i32_e64 s1, s14, v43
	v_cndmask_b32_sdwa v2, v36, v2, vcc_lo dst_sel:DWORD dst_unused:UNUSED_PAD src0_sel:DWORD src1_sel:WORD_1
	v_cmp_gt_i32_e32 vcc_lo, s11, v44
	v_perm_b32 v1, v1, v7, 0x5040100
	v_perm_b32 v2, v2, v8, 0x5040100
	v_cndmask_b32_e32 v9, 0, v3, vcc_lo
	s_mov_b32 vcc_lo, s2
	v_cndmask_b32_sdwa v3, v36, v3, vcc_lo dst_sel:DWORD dst_unused:UNUSED_PAD src0_sel:DWORD src1_sel:WORD_1
	v_cmp_gt_i32_e32 vcc_lo, s11, v42
	v_perm_b32 v3, v3, v9, 0x5040100
	v_cndmask_b32_e32 v10, 0, v4, vcc_lo
	s_mov_b32 vcc_lo, s1
	v_cndmask_b32_sdwa v4, v36, v4, vcc_lo dst_sel:DWORD dst_unused:UNUSED_PAD src0_sel:DWORD src1_sel:WORD_1
	v_perm_b32 v4, v4, v10, 0x5040100
	s_or_b32 exec_lo, exec_lo, s15
	global_load_dwordx4 v[9:12], v[5:6], off offset:512
	s_and_saveexec_b32 s15, s0
	s_cbranch_execz .LBB136_32
.LBB136_35:                             ;   in Loop: Header=BB136_30 Depth=1
	v_cmp_gt_i32_e64 s1, s11, v39
	v_cmp_gt_i32_e32 vcc_lo, s14, v48
	v_cmp_gt_i32_e64 s2, s11, v47
	s_waitcnt vmcnt(0)
	v_cndmask_b32_e64 v7, 0, v9, s1
	v_cmp_gt_i32_e64 s1, s14, v46
	v_cndmask_b32_sdwa v9, v36, v9, vcc_lo dst_sel:DWORD dst_unused:UNUSED_PAD src0_sel:DWORD src1_sel:WORD_1
	v_cndmask_b32_e64 v8, 0, v10, s2
	v_cmp_gt_i32_e64 s2, s14, v45
	s_mov_b32 vcc_lo, s1
	v_cmp_gt_i32_e64 s1, s14, v43
	v_cndmask_b32_sdwa v10, v36, v10, vcc_lo dst_sel:DWORD dst_unused:UNUSED_PAD src0_sel:DWORD src1_sel:WORD_1
	v_cmp_gt_i32_e32 vcc_lo, s11, v44
	v_perm_b32 v9, v9, v7, 0x5040100
	v_perm_b32 v10, v10, v8, 0x5040100
	v_cndmask_b32_e32 v21, 0, v11, vcc_lo
	s_mov_b32 vcc_lo, s2
	v_cndmask_b32_sdwa v11, v36, v11, vcc_lo dst_sel:DWORD dst_unused:UNUSED_PAD src0_sel:DWORD src1_sel:WORD_1
	v_cmp_gt_i32_e32 vcc_lo, s11, v42
	v_perm_b32 v11, v11, v21, 0x5040100
	v_cndmask_b32_e32 v22, 0, v12, vcc_lo
	s_mov_b32 vcc_lo, s1
	v_cndmask_b32_sdwa v12, v36, v12, vcc_lo dst_sel:DWORD dst_unused:UNUSED_PAD src0_sel:DWORD src1_sel:WORD_1
	v_perm_b32 v12, v12, v22, 0x5040100
	s_or_b32 exec_lo, exec_lo, s15
	global_load_dwordx4 v[21:24], v[5:6], off offset:1024
	s_and_saveexec_b32 s15, s0
	s_cbranch_execz .LBB136_33
.LBB136_36:                             ;   in Loop: Header=BB136_30 Depth=1
	v_cmp_gt_i32_e64 s1, s11, v39
	v_cmp_gt_i32_e32 vcc_lo, s14, v48
	v_cmp_gt_i32_e64 s2, s11, v47
	s_waitcnt vmcnt(0)
	v_cndmask_b32_e64 v7, 0, v21, s1
	v_cmp_gt_i32_e64 s1, s14, v46
	v_cndmask_b32_sdwa v21, v36, v21, vcc_lo dst_sel:DWORD dst_unused:UNUSED_PAD src0_sel:DWORD src1_sel:WORD_1
	v_cndmask_b32_e64 v8, 0, v22, s2
	v_cmp_gt_i32_e64 s2, s14, v45
	s_mov_b32 vcc_lo, s1
	v_cmp_gt_i32_e64 s1, s14, v43
	v_cndmask_b32_sdwa v22, v36, v22, vcc_lo dst_sel:DWORD dst_unused:UNUSED_PAD src0_sel:DWORD src1_sel:WORD_1
	v_cmp_gt_i32_e32 vcc_lo, s11, v44
	v_perm_b32 v21, v21, v7, 0x5040100
	v_perm_b32 v22, v22, v8, 0x5040100
	v_cndmask_b32_e32 v49, 0, v23, vcc_lo
	s_mov_b32 vcc_lo, s2
	v_cndmask_b32_sdwa v23, v36, v23, vcc_lo dst_sel:DWORD dst_unused:UNUSED_PAD src0_sel:DWORD src1_sel:WORD_1
	v_cmp_gt_i32_e32 vcc_lo, s11, v42
	v_perm_b32 v23, v23, v49, 0x5040100
	v_cndmask_b32_e32 v50, 0, v24, vcc_lo
	s_mov_b32 vcc_lo, s1
	v_cndmask_b32_sdwa v24, v36, v24, vcc_lo dst_sel:DWORD dst_unused:UNUSED_PAD src0_sel:DWORD src1_sel:WORD_1
	v_perm_b32 v24, v24, v50, 0x5040100
	s_or_b32 exec_lo, exec_lo, s15
	global_load_dwordx4 v[5:8], v[5:6], off offset:1536
	s_and_saveexec_b32 s2, s0
	s_cbranch_execz .LBB136_29
.LBB136_37:                             ;   in Loop: Header=BB136_30 Depth=1
	v_cmp_gt_i32_e64 s0, s11, v39
	v_cmp_gt_i32_e32 vcc_lo, s14, v48
	v_cmp_gt_i32_e64 s1, s11, v47
	s_waitcnt vmcnt(0)
	v_cndmask_b32_e64 v48, 0, v5, s0
	v_cmp_gt_i32_e64 s0, s14, v46
	v_cndmask_b32_sdwa v5, v36, v5, vcc_lo dst_sel:DWORD dst_unused:UNUSED_PAD src0_sel:DWORD src1_sel:WORD_1
	v_cndmask_b32_e64 v46, 0, v6, s1
	v_cmp_gt_i32_e64 s1, s14, v45
	s_mov_b32 vcc_lo, s0
	v_cmp_gt_i32_e64 s0, s14, v43
	v_cndmask_b32_sdwa v6, v36, v6, vcc_lo dst_sel:DWORD dst_unused:UNUSED_PAD src0_sel:DWORD src1_sel:WORD_1
	v_cmp_gt_i32_e32 vcc_lo, s11, v44
	v_perm_b32 v5, v5, v48, 0x5040100
	v_perm_b32 v6, v6, v46, 0x5040100
	v_cndmask_b32_e32 v44, 0, v7, vcc_lo
	s_mov_b32 vcc_lo, s1
	v_cndmask_b32_sdwa v7, v36, v7, vcc_lo dst_sel:DWORD dst_unused:UNUSED_PAD src0_sel:DWORD src1_sel:WORD_1
	v_cmp_gt_i32_e32 vcc_lo, s11, v42
	v_perm_b32 v7, v7, v44, 0x5040100
	v_cndmask_b32_e32 v42, 0, v8, vcc_lo
	s_mov_b32 vcc_lo, s0
	v_cndmask_b32_sdwa v8, v36, v8, vcc_lo dst_sel:DWORD dst_unused:UNUSED_PAD src0_sel:DWORD src1_sel:WORD_1
	v_perm_b32 v8, v8, v42, 0x5040100
	s_branch .LBB136_29
.LBB136_38:
	s_or_b32 exec_lo, exec_lo, s13
.LBB136_39:
	s_or_b32 exec_lo, exec_lo, s3
	ds_bpermute_b32 v1, v31, v34
	ds_bpermute_b32 v2, v31, v35
	;; [unrolled: 1-line block ×4, first 2 shown]
	v_lshrrev_b32_e32 v5, 1, v30
	v_lshlrev_b32_e32 v7, 8, v29
	v_and_b32_e32 v10, 0x3c1, v0
	s_mov_b32 s0, exec_lo
	s_waitcnt lgkmcnt(0)
	v_lshl_add_u32 v6, v5, 2, 0xa0
	s_barrier
	buffer_gl0_inv
	v_add_f32_e32 v4, v34, v1
	v_add_f32_e32 v3, v35, v2
	;; [unrolled: 1-line block ×4, first 2 shown]
	v_cmpx_eq_u32_e32 64, v10
	s_cbranch_execz .LBB136_41
; %bb.40:
	v_add_nc_u32_e32 v8, v6, v7
	v_add_nc_u32_e32 v9, 0xfffffe00, v8
	;; [unrolled: 1-line block ×5, first 2 shown]
	ds_write_b32 v9, v4
	ds_write_b32 v10, v3
	;; [unrolled: 1-line block ×4, first 2 shown]
.LBB136_41:
	s_or_b32 exec_lo, exec_lo, s0
	v_lshlrev_b32_e32 v5, 2, v5
	s_mov_b32 s1, exec_lo
	v_cmp_eq_u32_e32 vcc_lo, 0, v28
	s_waitcnt lgkmcnt(0)
	s_barrier
	v_add3_u32 v5, 0xa0, v7, v5
	buffer_gl0_inv
	v_cmpx_gt_u32_e32 64, v0
	s_cbranch_execz .LBB136_48
; %bb.42:
	s_and_saveexec_b32 s0, vcc_lo
	s_cbranch_execnz .LBB136_60
; %bb.43:
	s_or_b32 exec_lo, exec_lo, s0
	s_and_saveexec_b32 s0, vcc_lo
	s_cbranch_execnz .LBB136_61
.LBB136_44:
	s_or_b32 exec_lo, exec_lo, s0
	s_and_saveexec_b32 s0, vcc_lo
	s_cbranch_execnz .LBB136_62
.LBB136_45:
	s_or_b32 exec_lo, exec_lo, s0
	s_and_saveexec_b32 s0, vcc_lo
	s_cbranch_execz .LBB136_47
.LBB136_46:
	ds_read_b32 v7, v5 offset:192
	s_waitcnt lgkmcnt(0)
	v_add_f32_e32 v1, v1, v7
.LBB136_47:
	s_or_b32 exec_lo, exec_lo, s0
.LBB136_48:
	s_or_b32 exec_lo, exec_lo, s1
	v_and_b32_e32 v7, 0x3e1, v0
	s_mov_b32 s1, exec_lo
	s_barrier
	buffer_gl0_inv
	v_cmpx_eq_u32_e32 32, v7
	s_cbranch_execz .LBB136_50
; %bb.49:
	ds_write2_b32 v6, v4, v3 offset1:16
	ds_write2_b32 v6, v2, v1 offset0:32 offset1:48
.LBB136_50:
	s_or_b32 exec_lo, exec_lo, s1
	s_mov_b32 s1, exec_lo
	s_waitcnt lgkmcnt(0)
	s_barrier
	buffer_gl0_inv
	v_cmpx_gt_u32_e32 32, v0
	s_cbranch_execz .LBB136_57
; %bb.51:
	s_and_saveexec_b32 s0, vcc_lo
	s_cbranch_execnz .LBB136_63
; %bb.52:
	s_or_b32 exec_lo, exec_lo, s0
	s_and_saveexec_b32 s0, vcc_lo
	s_cbranch_execnz .LBB136_64
.LBB136_53:
	s_or_b32 exec_lo, exec_lo, s0
	s_and_saveexec_b32 s0, vcc_lo
	s_cbranch_execnz .LBB136_65
.LBB136_54:
	s_or_b32 exec_lo, exec_lo, s0
	s_and_saveexec_b32 s0, vcc_lo
	s_cbranch_execz .LBB136_56
.LBB136_55:
	ds_read_b32 v0, v5 offset:192
	s_waitcnt lgkmcnt(0)
	v_add_f32_e32 v1, v1, v0
.LBB136_56:
	s_or_b32 exec_lo, exec_lo, s0
.LBB136_57:
	s_or_b32 exec_lo, exec_lo, s1
	s_barrier
	buffer_gl0_inv
	s_mov_b32 s0, exec_lo
	v_cmpx_eq_u32_e32 0, v7
	s_cbranch_execz .LBB136_59
; %bb.58:
	v_bfe_u32 v5, v4, 16, 1
	s_mul_i32 s0, s10, s7
	v_or_b32_e32 v6, 0x400000, v4
	s_mul_i32 s0, s0, s9
	v_bfe_u32 v7, v3, 16, 1
	v_add3_u32 v5, v5, v4, 0x7fff
	v_cmp_u_f32_e32 vcc_lo, v4, v4
	s_lshl_b32 s0, s0, 6
	v_bfe_u32 v8, v2, 16, 1
	s_ashr_i32 s1, s0, 31
	s_mul_i32 s2, s7, s6
	s_lshl_b64 s[0:1], s[0:1], 1
	v_cndmask_b32_e32 v4, v5, v6, vcc_lo
	v_add3_u32 v6, v7, v3, 0x7fff
	v_or_b32_e32 v7, 0x400000, v3
	v_cmp_u_f32_e32 vcc_lo, v3, v3
	s_add_u32 s4, s16, s0
	s_addc_u32 s5, s17, s1
	s_ashr_i32 s3, s2, 31
	v_bfe_u32 v5, v1, 16, 1
	s_lshl_b64 s[0:1], s[2:3], 1
	v_add3_u32 v8, v8, v2, 0x7fff
	v_or_b32_e32 v9, 0x400000, v2
	v_cndmask_b32_e32 v3, v6, v7, vcc_lo
	v_cmp_u_f32_e32 vcc_lo, v2, v2
	s_add_u32 s2, s4, s0
	s_addc_u32 s3, s5, s1
	s_lshl_b32 s0, s8, 6
	v_add3_u32 v5, v5, v1, 0x7fff
	s_ashr_i32 s1, s0, 31
	v_or_b32_e32 v10, 0x400000, v1
	v_cndmask_b32_e32 v2, v8, v9, vcc_lo
	v_cmp_u_f32_e32 vcc_lo, v1, v1
	v_lshlrev_b32_e32 v0, 1, v27
	s_lshl_b64 s[0:1], s[0:1], 1
	s_add_u32 s0, s2, s0
	s_addc_u32 s1, s3, s1
	v_cndmask_b32_e32 v1, v5, v10, vcc_lo
	global_store_short_d16_hi v0, v4, s[0:1]
	global_store_short_d16_hi v0, v3, s[0:1] offset:32
	global_store_short_d16_hi v0, v2, s[0:1] offset:64
	;; [unrolled: 1-line block ×3, first 2 shown]
.LBB136_59:
	s_endpgm
.LBB136_60:
	ds_read_b32 v7, v5
	s_waitcnt lgkmcnt(0)
	v_add_f32_e32 v4, v4, v7
	s_or_b32 exec_lo, exec_lo, s0
	s_and_saveexec_b32 s0, vcc_lo
	s_cbranch_execz .LBB136_44
.LBB136_61:
	ds_read_b32 v7, v5 offset:64
	s_waitcnt lgkmcnt(0)
	v_add_f32_e32 v3, v3, v7
	s_or_b32 exec_lo, exec_lo, s0
	s_and_saveexec_b32 s0, vcc_lo
	s_cbranch_execz .LBB136_45
.LBB136_62:
	ds_read_b32 v7, v5 offset:128
	s_waitcnt lgkmcnt(0)
	v_add_f32_e32 v2, v2, v7
	s_or_b32 exec_lo, exec_lo, s0
	s_and_saveexec_b32 s0, vcc_lo
	s_cbranch_execnz .LBB136_46
	s_branch .LBB136_47
.LBB136_63:
	ds_read_b32 v0, v5
	s_waitcnt lgkmcnt(0)
	v_add_f32_e32 v4, v4, v0
	s_or_b32 exec_lo, exec_lo, s0
	s_and_saveexec_b32 s0, vcc_lo
	s_cbranch_execz .LBB136_53
.LBB136_64:
	ds_read_b32 v0, v5 offset:64
	s_waitcnt lgkmcnt(0)
	v_add_f32_e32 v3, v3, v0
	s_or_b32 exec_lo, exec_lo, s0
	s_and_saveexec_b32 s0, vcc_lo
	s_cbranch_execz .LBB136_54
.LBB136_65:
	ds_read_b32 v0, v5 offset:128
	s_waitcnt lgkmcnt(0)
	v_add_f32_e32 v2, v2, v0
	s_or_b32 exec_lo, exec_lo, s0
	s_and_saveexec_b32 s0, vcc_lo
	s_cbranch_execnz .LBB136_55
	s_branch .LBB136_56
	.section	.rodata,"a",@progbits
	.p2align	6, 0x0
	.amdhsa_kernel _ZN4vllm25paged_attention_v1_kernelI14__hip_bfloat16S1_Li64ELi16ELi128ELNS_18Fp8KVCacheDataTypeE0ELb0EEEvPT_PKS3_PKT0_S9_ifPKiSB_iPKfiiiSD_SD_iiiii
		.amdhsa_group_segment_fixed_size 160
		.amdhsa_private_segment_fixed_size 0
		.amdhsa_kernarg_size 384
		.amdhsa_user_sgpr_count 6
		.amdhsa_user_sgpr_private_segment_buffer 1
		.amdhsa_user_sgpr_dispatch_ptr 0
		.amdhsa_user_sgpr_queue_ptr 0
		.amdhsa_user_sgpr_kernarg_segment_ptr 1
		.amdhsa_user_sgpr_dispatch_id 0
		.amdhsa_user_sgpr_flat_scratch_init 0
		.amdhsa_user_sgpr_private_segment_size 0
		.amdhsa_wavefront_size32 1
		.amdhsa_uses_dynamic_stack 0
		.amdhsa_system_sgpr_private_segment_wavefront_offset 0
		.amdhsa_system_sgpr_workgroup_id_x 1
		.amdhsa_system_sgpr_workgroup_id_y 1
		.amdhsa_system_sgpr_workgroup_id_z 1
		.amdhsa_system_sgpr_workgroup_info 0
		.amdhsa_system_vgpr_workitem_id 0
		.amdhsa_next_free_vgpr 79
		.amdhsa_next_free_sgpr 27
		.amdhsa_reserve_vcc 1
		.amdhsa_reserve_flat_scratch 0
		.amdhsa_float_round_mode_32 0
		.amdhsa_float_round_mode_16_64 0
		.amdhsa_float_denorm_mode_32 3
		.amdhsa_float_denorm_mode_16_64 3
		.amdhsa_dx10_clamp 1
		.amdhsa_ieee_mode 1
		.amdhsa_fp16_overflow 0
		.amdhsa_workgroup_processor_mode 1
		.amdhsa_memory_ordered 1
		.amdhsa_forward_progress 1
		.amdhsa_shared_vgpr_count 0
		.amdhsa_exception_fp_ieee_invalid_op 0
		.amdhsa_exception_fp_denorm_src 0
		.amdhsa_exception_fp_ieee_div_zero 0
		.amdhsa_exception_fp_ieee_overflow 0
		.amdhsa_exception_fp_ieee_underflow 0
		.amdhsa_exception_fp_ieee_inexact 0
		.amdhsa_exception_int_div_zero 0
	.end_amdhsa_kernel
	.section	.text._ZN4vllm25paged_attention_v1_kernelI14__hip_bfloat16S1_Li64ELi16ELi128ELNS_18Fp8KVCacheDataTypeE0ELb0EEEvPT_PKS3_PKT0_S9_ifPKiSB_iPKfiiiSD_SD_iiiii,"axG",@progbits,_ZN4vllm25paged_attention_v1_kernelI14__hip_bfloat16S1_Li64ELi16ELi128ELNS_18Fp8KVCacheDataTypeE0ELb0EEEvPT_PKS3_PKT0_S9_ifPKiSB_iPKfiiiSD_SD_iiiii,comdat
.Lfunc_end136:
	.size	_ZN4vllm25paged_attention_v1_kernelI14__hip_bfloat16S1_Li64ELi16ELi128ELNS_18Fp8KVCacheDataTypeE0ELb0EEEvPT_PKS3_PKT0_S9_ifPKiSB_iPKfiiiSD_SD_iiiii, .Lfunc_end136-_ZN4vllm25paged_attention_v1_kernelI14__hip_bfloat16S1_Li64ELi16ELi128ELNS_18Fp8KVCacheDataTypeE0ELb0EEEvPT_PKS3_PKT0_S9_ifPKiSB_iPKfiiiSD_SD_iiiii
                                        ; -- End function
	.set _ZN4vllm25paged_attention_v1_kernelI14__hip_bfloat16S1_Li64ELi16ELi128ELNS_18Fp8KVCacheDataTypeE0ELb0EEEvPT_PKS3_PKT0_S9_ifPKiSB_iPKfiiiSD_SD_iiiii.num_vgpr, 79
	.set _ZN4vllm25paged_attention_v1_kernelI14__hip_bfloat16S1_Li64ELi16ELi128ELNS_18Fp8KVCacheDataTypeE0ELb0EEEvPT_PKS3_PKT0_S9_ifPKiSB_iPKfiiiSD_SD_iiiii.num_agpr, 0
	.set _ZN4vllm25paged_attention_v1_kernelI14__hip_bfloat16S1_Li64ELi16ELi128ELNS_18Fp8KVCacheDataTypeE0ELb0EEEvPT_PKS3_PKT0_S9_ifPKiSB_iPKfiiiSD_SD_iiiii.numbered_sgpr, 27
	.set _ZN4vllm25paged_attention_v1_kernelI14__hip_bfloat16S1_Li64ELi16ELi128ELNS_18Fp8KVCacheDataTypeE0ELb0EEEvPT_PKS3_PKT0_S9_ifPKiSB_iPKfiiiSD_SD_iiiii.num_named_barrier, 0
	.set _ZN4vllm25paged_attention_v1_kernelI14__hip_bfloat16S1_Li64ELi16ELi128ELNS_18Fp8KVCacheDataTypeE0ELb0EEEvPT_PKS3_PKT0_S9_ifPKiSB_iPKfiiiSD_SD_iiiii.private_seg_size, 0
	.set _ZN4vllm25paged_attention_v1_kernelI14__hip_bfloat16S1_Li64ELi16ELi128ELNS_18Fp8KVCacheDataTypeE0ELb0EEEvPT_PKS3_PKT0_S9_ifPKiSB_iPKfiiiSD_SD_iiiii.uses_vcc, 1
	.set _ZN4vllm25paged_attention_v1_kernelI14__hip_bfloat16S1_Li64ELi16ELi128ELNS_18Fp8KVCacheDataTypeE0ELb0EEEvPT_PKS3_PKT0_S9_ifPKiSB_iPKfiiiSD_SD_iiiii.uses_flat_scratch, 0
	.set _ZN4vllm25paged_attention_v1_kernelI14__hip_bfloat16S1_Li64ELi16ELi128ELNS_18Fp8KVCacheDataTypeE0ELb0EEEvPT_PKS3_PKT0_S9_ifPKiSB_iPKfiiiSD_SD_iiiii.has_dyn_sized_stack, 0
	.set _ZN4vllm25paged_attention_v1_kernelI14__hip_bfloat16S1_Li64ELi16ELi128ELNS_18Fp8KVCacheDataTypeE0ELb0EEEvPT_PKS3_PKT0_S9_ifPKiSB_iPKfiiiSD_SD_iiiii.has_recursion, 0
	.set _ZN4vllm25paged_attention_v1_kernelI14__hip_bfloat16S1_Li64ELi16ELi128ELNS_18Fp8KVCacheDataTypeE0ELb0EEEvPT_PKS3_PKT0_S9_ifPKiSB_iPKfiiiSD_SD_iiiii.has_indirect_call, 0
	.section	.AMDGPU.csdata,"",@progbits
; Kernel info:
; codeLenInByte = 6840
; TotalNumSgprs: 29
; NumVgprs: 79
; ScratchSize: 0
; MemoryBound: 0
; FloatMode: 240
; IeeeMode: 1
; LDSByteSize: 160 bytes/workgroup (compile time only)
; SGPRBlocks: 0
; VGPRBlocks: 9
; NumSGPRsForWavesPerEU: 29
; NumVGPRsForWavesPerEU: 79
; Occupancy: 12
; WaveLimiterHint : 1
; COMPUTE_PGM_RSRC2:SCRATCH_EN: 0
; COMPUTE_PGM_RSRC2:USER_SGPR: 6
; COMPUTE_PGM_RSRC2:TRAP_HANDLER: 0
; COMPUTE_PGM_RSRC2:TGID_X_EN: 1
; COMPUTE_PGM_RSRC2:TGID_Y_EN: 1
; COMPUTE_PGM_RSRC2:TGID_Z_EN: 1
; COMPUTE_PGM_RSRC2:TIDIG_COMP_CNT: 0
	.section	.text._ZN4vllm25paged_attention_v1_kernelI14__hip_bfloat16S1_Li80ELi16ELi128ELNS_18Fp8KVCacheDataTypeE0ELb0EEEvPT_PKS3_PKT0_S9_ifPKiSB_iPKfiiiSD_SD_iiiii,"axG",@progbits,_ZN4vllm25paged_attention_v1_kernelI14__hip_bfloat16S1_Li80ELi16ELi128ELNS_18Fp8KVCacheDataTypeE0ELb0EEEvPT_PKS3_PKT0_S9_ifPKiSB_iPKfiiiSD_SD_iiiii,comdat
	.protected	_ZN4vllm25paged_attention_v1_kernelI14__hip_bfloat16S1_Li80ELi16ELi128ELNS_18Fp8KVCacheDataTypeE0ELb0EEEvPT_PKS3_PKT0_S9_ifPKiSB_iPKfiiiSD_SD_iiiii ; -- Begin function _ZN4vllm25paged_attention_v1_kernelI14__hip_bfloat16S1_Li80ELi16ELi128ELNS_18Fp8KVCacheDataTypeE0ELb0EEEvPT_PKS3_PKT0_S9_ifPKiSB_iPKfiiiSD_SD_iiiii
	.globl	_ZN4vllm25paged_attention_v1_kernelI14__hip_bfloat16S1_Li80ELi16ELi128ELNS_18Fp8KVCacheDataTypeE0ELb0EEEvPT_PKS3_PKT0_S9_ifPKiSB_iPKfiiiSD_SD_iiiii
	.p2align	8
	.type	_ZN4vllm25paged_attention_v1_kernelI14__hip_bfloat16S1_Li80ELi16ELi128ELNS_18Fp8KVCacheDataTypeE0ELb0EEEvPT_PKS3_PKT0_S9_ifPKiSB_iPKfiiiSD_SD_iiiii,@function
_ZN4vllm25paged_attention_v1_kernelI14__hip_bfloat16S1_Li80ELi16ELi128ELNS_18Fp8KVCacheDataTypeE0ELb0EEEvPT_PKS3_PKT0_S9_ifPKiSB_iPKfiiiSD_SD_iiiii: ; @_ZN4vllm25paged_attention_v1_kernelI14__hip_bfloat16S1_Li80ELi16ELi128ELNS_18Fp8KVCacheDataTypeE0ELb0EEEvPT_PKS3_PKT0_S9_ifPKiSB_iPKfiiiSD_SD_iiiii
; %bb.0:
	s_clause 0x2
	s_load_dword s9, s[4:5], 0x80
	s_load_dwordx2 s[0:1], s[4:5], 0x30
	s_load_dwordx2 s[24:25], s[4:5], 0x20
	s_mov_b32 s10, s7
	s_ashr_i32 s11, s7, 31
	s_lshl_b64 s[2:3], s[10:11], 2
	s_waitcnt lgkmcnt(0)
	s_add_u32 s0, s0, s2
	s_addc_u32 s1, s1, s3
	s_abs_i32 s2, s24
	s_abs_i32 s11, s9
	v_cvt_f32_u32_e32 v1, s2
	s_sub_i32 s7, 0, s2
	v_rcp_iflag_f32_e32 v1, v1
	v_mul_f32_e32 v1, 0x4f7ffffe, v1
	v_cvt_u32_f32_e32 v1, v1
	v_readfirstlane_b32 s3, v1
	s_mul_i32 s7, s7, s3
	s_mul_hi_u32 s7, s3, s7
	s_add_i32 s3, s3, s7
	s_xor_b32 s7, s9, s24
	s_mul_hi_u32 s3, s11, s3
	s_ashr_i32 s7, s7, 31
	s_mul_i32 s12, s3, s2
	s_mov_b32 s24, 0
	s_sub_i32 s11, s11, s12
	s_add_i32 s12, s3, 1
	s_sub_i32 s13, s11, s2
	s_cmp_ge_u32 s11, s2
	s_cselect_b32 s3, s12, s3
	s_cselect_b32 s11, s13, s11
	s_add_i32 s12, s3, 1
	s_cmp_ge_u32 s11, s2
	s_cselect_b32 s2, s12, s3
	s_abs_i32 s17, s6
	s_xor_b32 s2, s2, s7
	s_sub_i32 s18, s2, s7
	s_load_dwordx2 s[2:3], s[4:5], 0x40
	s_abs_i32 s16, s18
	v_cvt_f32_u32_e32 v1, s16
	s_sub_i32 s11, 0, s16
	v_rcp_iflag_f32_e32 v1, v1
	v_mul_f32_e32 v1, 0x4f7ffffe, v1
	v_cvt_u32_f32_e32 v1, v1
	v_readfirstlane_b32 s7, v1
	s_mul_i32 s11, s11, s7
	s_mul_hi_u32 s11, s7, s11
	s_add_i32 s7, s7, s11
	s_waitcnt lgkmcnt(0)
	s_cmp_eq_u64 s[2:3], 0
	s_mul_hi_u32 s20, s17, s7
	s_cbranch_scc1 .LBB137_2
; %bb.1:
	s_ashr_i32 s7, s6, 31
	s_lshl_b64 s[12:13], s[6:7], 2
	s_add_u32 s2, s2, s12
	s_addc_u32 s3, s3, s13
	s_load_dword s24, s[2:3], 0x0
.LBB137_2:
	s_load_dword s11, s[0:1], 0x0
	s_load_dwordx4 s[12:15], s[4:5], 0x48
	v_lshrrev_b32_e32 v31, 1, v0
	v_and_b32_e32 v32, 1, v0
	v_lshlrev_b32_e32 v3, 3, v0
	s_ashr_i32 s0, s6, 31
	s_ashr_i32 s1, s18, 31
	s_mulk_i32 s6, 0x50
	s_mov_b32 s2, exec_lo
	v_cmpx_gt_u32_e32 20, v0
	s_cbranch_execz .LBB137_4
; %bb.3:
	s_load_dwordx2 s[18:19], s[4:5], 0x8
	s_waitcnt lgkmcnt(0)
	s_mul_i32 s22, s12, s10
	v_lshlrev_b32_e32 v4, 3, v31
	s_ashr_i32 s23, s22, 31
	s_lshl_b64 s[22:23], s[22:23], 1
	v_mad_u32_u24 v4, 0x50, v32, v4
	s_add_u32 s3, s18, s22
	s_addc_u32 s12, s19, s23
	s_ashr_i32 s7, s6, 31
	s_lshl_b64 s[18:19], s[6:7], 1
	s_add_u32 s18, s3, s18
	s_addc_u32 s19, s12, s19
	global_load_dwordx2 v[1:2], v3, s[18:19]
	s_waitcnt vmcnt(0)
	ds_write_b64 v4, v[1:2]
.LBB137_4:
	s_or_b32 exec_lo, exec_lo, s2
	s_waitcnt lgkmcnt(0)
	s_add_i32 s2, s11, 15
	s_clause 0x1
	s_load_dwordx2 s[18:19], s[4:5], 0x28
	s_load_dword s7, s[4:5], 0x38
	s_ashr_i32 s3, s2, 31
	s_xor_b32 s0, s0, s1
	s_lshr_b32 s3, s3, 28
	s_mul_i32 s1, s20, s16
	s_add_i32 s2, s2, s3
	s_sub_i32 s1, s17, s1
	s_ashr_i32 s12, s2, 4
	s_add_i32 s2, s20, 1
	s_sub_i32 s3, s1, s16
	s_cmp_ge_u32 s1, s16
	v_lshrrev_b32_e32 v33, 5, v0
	s_cselect_b32 s2, s2, s20
	s_cselect_b32 s1, s3, s1
	s_add_i32 s3, s2, 1
	s_cmp_ge_u32 s1, s16
	v_mbcnt_lo_u32_b32 v5, -1, 0
	s_cselect_b32 s1, s3, s2
	s_mov_b32 s2, exec_lo
	s_xor_b32 s1, s1, s0
	s_waitcnt lgkmcnt(0)
	s_mul_i32 s20, s7, s10
	s_sub_i32 s1, s1, s0
	v_cmp_gt_i32_e64 s0, s12, v33
	s_ashr_i32 s21, s20, 31
	s_barrier
	buffer_gl0_inv
                                        ; implicit-def: $vgpr6
                                        ; implicit-def: $vgpr7
	v_cmpx_le_i32_e64 s12, v33
	s_xor_b32 s2, exec_lo, s2
; %bb.5:
	v_mov_b32_e32 v6, 0
	v_mbcnt_lo_u32_b32 v5, -1, 0
	v_mov_b32_e32 v7, 32
; %bb.6:
	s_or_saveexec_b32 s26, s2
	s_clause 0x2
	s_load_dwordx2 s[16:17], s[4:5], 0x0
	s_load_dwordx2 s[22:23], s[4:5], 0x18
	s_load_dword s7, s[4:5], 0x88
	v_mov_b32_e32 v47, 0xff7fffff
	v_lshrrev_b32_e32 v4, 3, v0
	s_mul_i32 s14, s1, s14
	s_xor_b32 exec_lo, exec_lo, s26
	s_cbranch_execz .LBB137_12
; %bb.7:
	s_load_dwordx2 s[2:3], s[4:5], 0x10
	v_mul_u32_u24_e32 v1, 0x50, v32
	v_bfe_u32 v2, v0, 1, 4
	s_ashr_i32 s15, s14, 31
	v_and_b32_e32 v7, 8, v3
	s_lshl_b64 s[4:5], s[14:15], 1
	ds_read_b128 v[14:17], v1
	v_lshlrev_b32_e32 v8, 4, v2
	ds_read_b128 v[22:25], v1 offset:16
	ds_read_b128 v[34:37], v1 offset:32
	;; [unrolled: 1-line block ×4, first 2 shown]
	v_xor_b32_e32 v1, 1, v5
	v_lshlrev_b32_e32 v47, 2, v2
	v_lshl_or_b32 v55, v33, 4, v2
	v_and_b32_e32 v2, 0x7c, v4
	v_mov_b32_e32 v6, 0
	v_mov_b32_e32 v57, v33
	s_mov_b32 s15, s13
	s_waitcnt lgkmcnt(0)
	s_add_u32 s1, s2, s4
	s_addc_u32 s2, s3, s5
	v_add_co_u32 v18, s1, s1, v8
	v_add_co_ci_u32_e64 v19, null, s2, 0, s1
	v_lshlrev_b32_e32 v10, 16, v15
	v_and_b32_e32 v11, 0xffff0000, v15
	v_add_co_u32 v15, vcc_lo, v18, v7
	v_lshlrev_b32_e32 v12, 16, v16
	v_and_b32_e32 v13, 0xffff0000, v16
	v_add_co_ci_u32_e64 v16, null, 0, v19, vcc_lo
	v_cmp_gt_i32_e32 vcc_lo, 32, v1
	s_lshl_b64 s[2:3], s[20:21], 2
	s_sub_i32 s4, 1, s11
	s_add_u32 s2, s18, s2
	s_addc_u32 s3, s19, s3
	v_cndmask_b32_e32 v1, v5, v1, vcc_lo
	v_lshlrev_b32_e32 v8, 16, v14
	v_and_b32_e32 v9, 0xffff0000, v14
	v_lshlrev_b32_e32 v14, 16, v17
	v_and_b32_e32 v17, 0xffff0000, v17
	v_lshlrev_b32_e32 v54, 2, v1
	v_lshl_or_b32 v1, v33, 6, v47
	v_lshlrev_b32_e32 v18, 16, v22
	v_and_b32_e32 v19, 0xffff0000, v22
	v_lshlrev_b32_e32 v20, 16, v23
	v_and_b32_e32 v21, 0xffff0000, v23
	v_add_nc_u32_e32 v56, 0xc0, v1
	v_add_co_u32 v1, s2, s2, v2
	v_lshlrev_b32_e32 v22, 16, v24
	v_and_b32_e32 v23, 0xffff0000, v24
	v_lshlrev_b32_e32 v24, 16, v25
	v_and_b32_e32 v25, 0xffff0000, v25
	;; [unrolled: 2-line block ×14, first 2 shown]
	v_mov_b32_e32 v7, 32
	v_cmp_neq_f32_e64 s1, s24, 0
	v_add_co_ci_u32_e64 v2, null, s3, 0, s2
	v_mov_b32_e32 v47, 0xff7fffff
	s_mov_b32 s5, 0
	v_cmp_eq_u32_e32 vcc_lo, 0, v32
	s_branch .LBB137_9
.LBB137_8:                              ;   in Loop: Header=BB137_9 Depth=1
	s_or_b32 exec_lo, exec_lo, s3
	v_add_nc_u32_e32 v57, 4, v57
	v_add_co_u32 v1, s3, v1, 16
	v_add_nc_u32_e32 v55, 64, v55
	v_add_nc_u32_e32 v56, 0x100, v56
	v_cmp_le_i32_e64 s2, s12, v57
	v_add_co_ci_u32_e64 v2, null, 0, v2, s3
	s_or_b32 s5, s2, s5
	s_andn2_b32 exec_lo, exec_lo, s5
	s_cbranch_execz .LBB137_11
.LBB137_9:                              ; =>This Inner Loop Header: Depth=1
	global_load_dword v58, v[1:2], off
	s_waitcnt vmcnt(0) lgkmcnt(0)
	v_mad_i64_i32 v[58:59], null, v58, s15, 0
	v_lshlrev_b64 v[58:59], 1, v[58:59]
	v_add_co_u32 v58, s2, v15, v58
	v_add_co_ci_u32_e64 v59, null, v16, v59, s2
	s_clause 0x7
	global_load_dwordx2 v[60:61], v[58:59], off
	global_load_dwordx2 v[62:63], v[58:59], off offset:256
	global_load_dwordx2 v[64:65], v[58:59], off offset:512
	;; [unrolled: 1-line block ×7, first 2 shown]
	v_add_co_u32 v58, s2, 0x800, v58
	v_add_co_ci_u32_e64 v59, null, 0, v59, s2
	s_clause 0x1
	global_load_dwordx2 v[76:77], v[58:59], off
	global_load_dwordx2 v[58:59], v[58:59], off offset:256
	s_waitcnt vmcnt(9)
	v_lshlrev_b32_e32 v78, 16, v60
	s_waitcnt vmcnt(8)
	v_lshlrev_b32_e32 v80, 16, v62
	v_and_b32_e32 v62, 0xffff0000, v62
	v_and_b32_e32 v60, 0xffff0000, v60
	v_lshlrev_b32_e32 v81, 16, v63
	v_lshlrev_b32_e32 v79, 16, v61
	v_mul_f32_e32 v80, v12, v80
	v_mul_f32_e32 v62, v13, v62
	v_and_b32_e32 v63, 0xffff0000, v63
	s_waitcnt vmcnt(7)
	v_lshlrev_b32_e32 v82, 16, v64
	v_and_b32_e32 v64, 0xffff0000, v64
	v_mul_f32_e32 v81, v14, v81
	v_fmac_f32_e32 v80, v8, v78
	v_fmac_f32_e32 v62, v9, v60
	v_and_b32_e32 v61, 0xffff0000, v61
	v_lshlrev_b32_e32 v83, 16, v65
	s_waitcnt vmcnt(6)
	v_lshlrev_b32_e32 v84, 16, v66
	v_and_b32_e32 v66, 0xffff0000, v66
	v_mul_f32_e32 v63, v17, v63
	v_fmac_f32_e32 v81, v10, v79
	v_fmac_f32_e32 v80, v18, v82
	v_fmac_f32_e32 v62, v19, v64
	v_and_b32_e32 v65, 0xffff0000, v65
	v_lshlrev_b32_e32 v85, 16, v67
	s_waitcnt vmcnt(5)
	v_lshlrev_b32_e32 v86, 16, v68
	v_and_b32_e32 v68, 0xffff0000, v68
	v_fmac_f32_e32 v63, v11, v61
	v_fmac_f32_e32 v81, v20, v83
	v_fmac_f32_e32 v80, v22, v84
	v_fmac_f32_e32 v62, v23, v66
	v_and_b32_e32 v67, 0xffff0000, v67
	v_lshlrev_b32_e32 v87, 16, v69
	s_waitcnt vmcnt(4)
	v_lshlrev_b32_e32 v88, 16, v70
	v_and_b32_e32 v70, 0xffff0000, v70
	v_fmac_f32_e32 v63, v21, v65
	;; [unrolled: 9-line block ×6, first 2 shown]
	v_fmac_f32_e32 v81, v43, v93
	v_fmac_f32_e32 v80, v45, v64
	;; [unrolled: 1-line block ×3, first 2 shown]
	v_and_b32_e32 v66, 0xffff0000, v77
	v_lshlrev_b32_e32 v61, 16, v59
	v_fmac_f32_e32 v63, v44, v60
	v_fmac_f32_e32 v81, v48, v65
	;; [unrolled: 1-line block ×4, first 2 shown]
	v_and_b32_e32 v58, 0xffff0000, v59
	v_fmac_f32_e32 v63, v49, v66
	v_fmac_f32_e32 v81, v52, v61
	v_add_f32_e32 v59, v80, v62
	v_fmac_f32_e32 v63, v53, v58
	v_add_f32_e32 v58, v59, v81
	v_add_f32_e32 v58, v63, v58
	ds_bpermute_b32 v59, v54, v58
	s_and_saveexec_b32 s3, vcc_lo
	s_cbranch_execz .LBB137_8
; %bb.10:                               ;   in Loop: Header=BB137_9 Depth=1
	v_add_nc_u32_e32 v60, s4, v55
	s_waitcnt lgkmcnt(0)
	v_add_f32_e32 v58, v58, v59
	v_cmp_gt_i32_e64 s2, s11, v55
	v_cvt_f32_i32_e32 v60, v60
	v_mul_f32_e32 v60, s24, v60
	v_cndmask_b32_e64 v59, 0, v60, s1
	v_max_f32_e32 v60, v47, v47
	v_fmac_f32_e32 v59, s25, v58
	v_max_f32_e32 v58, v60, v59
	v_cndmask_b32_e64 v59, 0, v59, s2
	v_cndmask_b32_e64 v47, v47, v58, s2
	ds_write_b32 v56, v59
	s_branch .LBB137_8
.LBB137_11:
	s_or_b32 exec_lo, exec_lo, s5
.LBB137_12:
	s_or_b32 exec_lo, exec_lo, s26
	v_xor_b32_e32 v1, 16, v5
	v_xor_b32_e32 v8, 8, v5
	v_max_f32_e32 v9, v47, v47
	v_xor_b32_e32 v10, 4, v5
	v_and_b32_e32 v34, 31, v0
	v_cmp_lt_i32_e32 vcc_lo, v1, v7
	v_cndmask_b32_e32 v1, v5, v1, vcc_lo
	v_cmp_lt_i32_e32 vcc_lo, v8, v7
	v_lshlrev_b32_e32 v2, 2, v1
	v_cndmask_b32_e32 v8, v5, v8, vcc_lo
	v_cmp_lt_i32_e32 vcc_lo, v10, v7
	ds_bpermute_b32 v1, v2, v47
	v_lshlrev_b32_e32 v8, 2, v8
	v_cndmask_b32_e32 v10, v5, v10, vcc_lo
	s_waitcnt lgkmcnt(0)
	v_max_f32_e32 v1, v1, v1
	v_max_f32_e32 v1, v9, v1
	ds_bpermute_b32 v9, v8, v1
	s_waitcnt lgkmcnt(0)
	v_max_f32_e32 v11, v9, v9
	v_lshlrev_b32_e32 v9, 2, v10
	v_max_f32_e32 v1, v1, v11
	v_xor_b32_e32 v11, 2, v5
	ds_bpermute_b32 v10, v9, v1
	v_cmp_lt_i32_e32 vcc_lo, v11, v7
	v_cndmask_b32_e32 v12, v5, v11, vcc_lo
	v_cmp_eq_u32_e32 vcc_lo, 0, v34
	s_waitcnt lgkmcnt(0)
	v_max_f32_e32 v10, v10, v10
	v_max_f32_e32 v11, v1, v10
	v_lshlrev_b32_e32 v1, 2, v12
	v_lshlrev_b32_e32 v10, 2, v33
	ds_bpermute_b32 v12, v1, v11
	s_and_saveexec_b32 s1, vcc_lo
	s_cbranch_execz .LBB137_14
; %bb.13:
	s_waitcnt lgkmcnt(0)
	v_max_f32_e32 v12, v12, v12
	v_max_f32_e32 v11, v11, v11
	v_max_f32_e32 v11, v11, v12
	ds_write_b32 v10, v11 offset:160
.LBB137_14:
	s_or_b32 exec_lo, exec_lo, s1
	v_cmp_gt_u32_e64 s1, 4, v34
	s_waitcnt lgkmcnt(0)
	v_mov_b32_e32 v12, 0xff7fffff
	v_lshlrev_b32_e32 v11, 2, v34
	s_barrier
	buffer_gl0_inv
	s_and_saveexec_b32 s2, s1
; %bb.15:
	ds_read_b32 v12, v11 offset:160
; %bb.16:
	s_or_b32 exec_lo, exec_lo, s2
	s_waitcnt lgkmcnt(0)
	ds_bpermute_b32 v13, v1, v12
	v_xor_b32_e32 v14, 1, v5
	v_max_f32_e32 v12, v12, v12
	v_lshlrev_b32_e32 v6, 2, v6
	v_cmp_lt_i32_e64 s2, v14, v7
	v_cndmask_b32_e64 v7, v5, v14, s2
	s_lshl_b32 s2, s12, 4
	s_min_i32 s4, s2, s11
	v_lshlrev_b32_e32 v35, 2, v7
	v_cmp_gt_i32_e64 s2, s4, v0
	s_waitcnt lgkmcnt(0)
	v_max_f32_e32 v13, v13, v13
	v_max_f32_e32 v7, v12, v13
	ds_bpermute_b32 v12, v35, v7
	s_waitcnt lgkmcnt(0)
	v_max_f32_e32 v12, v12, v12
	v_max_f32_e32 v7, v7, v12
	ds_bpermute_b32 v12, v6, v7
	v_mov_b32_e32 v7, 0
	v_lshl_add_u32 v6, v0, 2, 0xc0
	s_and_saveexec_b32 s5, s2
	s_cbranch_execz .LBB137_20
; %bb.17:
	v_lshl_add_u32 v13, v0, 2, 0xc0
	v_mov_b32_e32 v7, 0
	v_mov_b32_e32 v14, v0
	s_mov_b32 s15, 0
	.p2align	6
.LBB137_18:                             ; =>This Inner Loop Header: Depth=1
	ds_read_b32 v15, v13
	v_add_nc_u32_e32 v14, 0x80, v14
	v_cmp_le_i32_e64 s3, s4, v14
	s_or_b32 s15, s3, s15
	s_waitcnt lgkmcnt(0)
	v_sub_f32_e32 v15, v15, v12
	v_mul_f32_e32 v15, 0x3fb8aa3b, v15
	v_exp_f32_e32 v15, v15
	ds_write_b32 v13, v15
	v_add_f32_e32 v7, v7, v15
	v_add_nc_u32_e32 v13, 0x200, v13
	s_andn2_b32 exec_lo, exec_lo, s15
	s_cbranch_execnz .LBB137_18
; %bb.19:
	s_or_b32 exec_lo, exec_lo, s15
.LBB137_20:
	s_or_b32 exec_lo, exec_lo, s5
	ds_bpermute_b32 v2, v2, v7
	s_waitcnt lgkmcnt(0)
	v_add_f32_e32 v2, v7, v2
	ds_bpermute_b32 v7, v8, v2
	s_waitcnt lgkmcnt(0)
	v_add_f32_e32 v2, v2, v7
	;; [unrolled: 3-line block ×5, first 2 shown]
	s_and_saveexec_b32 s3, vcc_lo
; %bb.21:
	ds_write_b32 v10, v2 offset:176
; %bb.22:
	s_or_b32 exec_lo, exec_lo, s3
	s_waitcnt lgkmcnt(0)
	s_barrier
	buffer_gl0_inv
	s_and_saveexec_b32 s3, s1
; %bb.23:
	ds_read_b32 v2, v11 offset:176
; %bb.24:
	s_or_b32 exec_lo, exec_lo, s3
	s_waitcnt lgkmcnt(0)
	ds_bpermute_b32 v1, v1, v2
	v_lshlrev_b32_e32 v5, 2, v5
	s_waitcnt lgkmcnt(0)
	v_add_f32_e32 v1, v2, v1
	ds_bpermute_b32 v2, v35, v1
	s_waitcnt lgkmcnt(0)
	v_add_f32_e32 v1, v1, v2
	v_and_b32_e32 v2, 0xffffff80, v5
	ds_bpermute_b32 v1, v2, v1
	s_and_saveexec_b32 s1, s2
	s_cbranch_execz .LBB137_27
; %bb.25:
	s_waitcnt lgkmcnt(0)
	v_add_f32_e32 v1, 0x358637bd, v1
	s_mov_b32 s2, 0
	v_div_scale_f32 v2, null, v1, v1, 1.0
	v_div_scale_f32 v8, vcc_lo, 1.0, v1, 1.0
	v_rcp_f32_e32 v5, v2
	v_fma_f32 v7, -v2, v5, 1.0
	v_fmac_f32_e32 v5, v7, v5
	v_mul_f32_e32 v7, v8, v5
	v_fma_f32 v9, -v2, v7, v8
	v_fmac_f32_e32 v7, v9, v5
	v_fma_f32 v2, -v2, v7, v8
	v_div_fmas_f32 v2, v2, v5, v7
	v_div_fixup_f32 v1, v2, v1, 1.0
	v_mov_b32_e32 v2, v0
.LBB137_26:                             ; =>This Inner Loop Header: Depth=1
	ds_read_b32 v5, v6
	v_add_nc_u32_e32 v2, 0x80, v2
	v_cmp_le_i32_e32 vcc_lo, s4, v2
	s_or_b32 s2, vcc_lo, s2
	s_waitcnt lgkmcnt(0)
	v_mul_f32_e32 v5, v1, v5
	ds_write_b32 v6, v5
	v_add_nc_u32_e32 v6, 0x200, v6
	s_andn2_b32 exec_lo, exec_lo, s2
	s_cbranch_execnz .LBB137_26
.LBB137_27:
	s_or_b32 exec_lo, exec_lo, s1
	v_mov_b32_e32 v39, 0
	v_mov_b32_e32 v40, 0
	;; [unrolled: 1-line block ×5, first 2 shown]
	s_waitcnt lgkmcnt(0)
	s_barrier
	buffer_gl0_inv
	s_and_saveexec_b32 s3, s0
	s_cbranch_execz .LBB137_41
; %bb.28:
	v_lshlrev_b32_e32 v1, 4, v0
	s_ashr_i32 s15, s14, 31
	v_and_b32_e32 v2, 8, v3
	s_lshl_b64 s[0:1], s[14:15], 1
	v_lshlrev_b32_e32 v3, 5, v32
	v_and_b32_e32 v1, 0x1f0, v1
	s_add_u32 s0, s22, s0
	s_addc_u32 s1, s23, s1
	s_add_i32 s4, s12, -1
	v_lshl_or_b32 v3, v33, 6, v3
	v_add_co_u32 v42, s0, s0, v1
	v_and_b32_e32 v1, 0x7c, v4
	v_add_co_ci_u32_e64 v43, null, s1, 0, s0
	s_lshl_b64 s[0:1], s[20:21], 2
	v_mov_b32_e32 v41, 0
	s_add_u32 s0, s18, s0
	s_addc_u32 s1, s19, s1
	v_add_co_u32 v29, s0, s0, v1
	v_lshl_or_b32 v44, v33, 4, v2
	v_add_nc_u32_e32 v45, 0xc0, v3
	v_add_co_ci_u32_e64 v30, null, s1, 0, s0
	v_mov_b32_e32 v36, 0
	v_mov_b32_e32 v37, 0
	;; [unrolled: 1-line block ×6, first 2 shown]
	s_mov_b32 s5, s13
	s_mov_b32 s14, s11
	;; [unrolled: 1-line block ×3, first 2 shown]
	s_branch .LBB137_30
.LBB137_29:                             ;   in Loop: Header=BB137_30 Depth=1
	s_or_b32 exec_lo, exec_lo, s2
	s_waitcnt lgkmcnt(1)
	v_bfe_u32 v47, v21, 16, 1
	v_bfe_u32 v48, v22, 16, 1
	v_or_b32_e32 v49, 0x400000, v21
	v_cmp_u_f32_e32 vcc_lo, v21, v21
	v_or_b32_e32 v50, 0x400000, v22
	v_add3_u32 v47, v47, v21, 0x7fff
	v_bfe_u32 v51, v23, 16, 1
	v_add3_u32 v48, v48, v22, 0x7fff
	v_bfe_u32 v52, v24, 16, 1
	s_waitcnt vmcnt(1)
	v_and_b32_e32 v54, 0xffff0000, v28
	v_cndmask_b32_e32 v21, v47, v49, vcc_lo
	v_cmp_u_f32_e32 vcc_lo, v22, v22
	v_add3_u32 v47, v51, v23, 0x7fff
	v_add3_u32 v49, v52, v24, 0x7fff
	s_waitcnt lgkmcnt(0)
	v_bfe_u32 v51, v17, 16, 1
	v_and_b32_e32 v21, 0xffff0000, v21
	v_cndmask_b32_e32 v22, v48, v50, vcc_lo
	v_or_b32_e32 v48, 0x400000, v23
	v_cmp_u_f32_e32 vcc_lo, v23, v23
	v_or_b32_e32 v50, 0x400000, v24
	v_lshlrev_b32_e32 v28, 16, v28
	v_add_nc_u32_e32 v46, 4, v46
	v_add_co_u32 v29, s0, v29, 16
	v_cndmask_b32_e32 v23, v47, v48, vcc_lo
	v_cmp_u_f32_e32 vcc_lo, v24, v24
	v_bfe_u32 v47, v18, 16, 1
	v_add3_u32 v48, v51, v17, 0x7fff
	v_bfe_u32 v51, v19, 16, 1
	v_add_nc_u32_e32 v44, 64, v44
	v_cndmask_b32_e32 v24, v49, v50, vcc_lo
	v_or_b32_e32 v49, 0x400000, v17
	v_cmp_u_f32_e32 vcc_lo, v17, v17
	v_add3_u32 v47, v47, v18, 0x7fff
	v_or_b32_e32 v50, 0x400000, v18
	v_and_b32_e32 v17, 0xffff0000, v22
	v_and_b32_e32 v22, 0xffff0000, v25
	v_cndmask_b32_e32 v48, v48, v49, vcc_lo
	v_cmp_u_f32_e32 vcc_lo, v18, v18
	v_add3_u32 v18, v51, v19, 0x7fff
	v_bfe_u32 v49, v20, 16, 1
	v_lshlrev_b32_e32 v25, 16, v25
	v_mul_f32_e32 v22, v17, v22
	v_cndmask_b32_e32 v47, v47, v50, vcc_lo
	v_or_b32_e32 v50, 0x400000, v19
	v_cmp_u_f32_e32 vcc_lo, v19, v19
	v_add3_u32 v49, v49, v20, 0x7fff
	v_or_b32_e32 v51, 0x400000, v20
	v_mul_f32_e32 v25, v21, v25
	v_bfe_u32 v19, v22, 16, 1
	v_cndmask_b32_e32 v50, v18, v50, vcc_lo
	v_cmp_u_f32_e32 vcc_lo, v20, v20
	v_and_b32_e32 v18, 0xffff0000, v24
	v_and_b32_e32 v24, 0xffff0000, v26
	v_add3_u32 v19, v19, v22, 0x7fff
	v_or_b32_e32 v52, 0x400000, v25
	v_cndmask_b32_e32 v20, v49, v51, vcc_lo
	v_bfe_u32 v49, v25, 16, 1
	v_or_b32_e32 v51, 0x400000, v22
	v_cmp_u_f32_e32 vcc_lo, v22, v22
	v_mul_f32_e32 v53, v18, v24
	v_and_b32_e32 v24, 0xffff0000, v23
	v_add3_u32 v49, v49, v25, 0x7fff
	v_lshlrev_b32_e32 v23, 16, v26
	v_cndmask_b32_e32 v26, v19, v51, vcc_lo
	v_cmp_u_f32_e32 vcc_lo, v25, v25
	v_and_b32_e32 v19, 0xffff0000, v47
	v_and_b32_e32 v47, 0xffff0000, v27
	v_mul_f32_e32 v23, v24, v23
	v_and_b32_e32 v22, 0xffff0000, v48
	v_cndmask_b32_e32 v25, v49, v52, vcc_lo
	v_bfe_u32 v49, v53, 16, 1
	v_lshlrev_b32_e32 v27, 16, v27
	v_bfe_u32 v51, v23, 16, 1
	v_mul_f32_e32 v47, v19, v47
	v_cmp_u_f32_e32 vcc_lo, v53, v53
	v_add3_u32 v48, v49, v53, 0x7fff
	v_or_b32_e32 v49, 0x400000, v53
	v_mul_f32_e32 v27, v22, v27
	v_bfe_u32 v52, v47, 16, 1
	v_and_b32_e32 v20, 0xffff0000, v20
	v_and_b32_e32 v25, 0xffff0000, v25
	v_cndmask_b32_e32 v48, v48, v49, vcc_lo
	v_add3_u32 v49, v51, v23, 0x7fff
	v_or_b32_e32 v51, 0x400000, v23
	v_cmp_u_f32_e32 vcc_lo, v23, v23
	v_bfe_u32 v53, v27, 16, 1
	v_mul_f32_e32 v54, v20, v54
	v_and_b32_e32 v23, 0xffff0000, v50
	v_or_b32_e32 v50, 0x400000, v27
	v_cndmask_b32_e32 v49, v49, v51, vcc_lo
	v_add3_u32 v51, v52, v47, 0x7fff
	v_or_b32_e32 v52, 0x400000, v47
	v_cmp_u_f32_e32 vcc_lo, v47, v47
	v_add3_u32 v53, v53, v27, 0x7fff
	v_bfe_u32 v55, v54, 16, 1
	v_mul_f32_e32 v28, v23, v28
	v_and_b32_e32 v26, 0xffff0000, v26
	v_cndmask_b32_e32 v47, v51, v52, vcc_lo
	v_cmp_u_f32_e32 vcc_lo, v27, v27
	v_or_b32_e32 v51, 0x400000, v54
	v_bfe_u32 v52, v28, 16, 1
	v_and_b32_e32 v49, 0xffff0000, v49
	v_and_b32_e32 v48, 0xffff0000, v48
	v_cndmask_b32_e32 v27, v53, v50, vcc_lo
	v_add3_u32 v50, v55, v54, 0x7fff
	v_cmp_u_f32_e32 vcc_lo, v54, v54
	v_add_f32_e32 v25, v25, v26
	v_add_f32_e32 v26, v49, v48
	v_and_b32_e32 v27, 0xffff0000, v27
	v_and_b32_e32 v47, 0xffff0000, v47
	v_cndmask_b32_e32 v50, v50, v51, vcc_lo
	v_add3_u32 v51, v52, v28, 0x7fff
	v_or_b32_e32 v52, 0x400000, v28
	v_cmp_u_f32_e32 vcc_lo, v28, v28
	v_add_f32_e32 v25, v26, v25
	v_and_b32_e32 v26, 0xffff0000, v13
	v_add_f32_e32 v27, v27, v47
	v_lshlrev_b32_e32 v13, 16, v13
	v_cndmask_b32_e32 v28, v51, v52, vcc_lo
	v_and_b32_e32 v47, 0xffff0000, v50
	v_mul_f32_e32 v26, v17, v26
	v_and_b32_e32 v50, 0xffff0000, v16
	v_mul_f32_e32 v48, v21, v13
	v_and_b32_e32 v28, 0xffff0000, v28
	v_add_f32_e32 v13, v27, v25
	v_bfe_u32 v27, v26, 16, 1
	v_cmp_u_f32_e32 vcc_lo, v26, v26
	v_or_b32_e32 v49, 0x400000, v48
	v_add_f32_e32 v25, v28, v47
	v_bfe_u32 v28, v48, 16, 1
	v_and_b32_e32 v47, 0xffff0000, v14
	v_lshlrev_b32_e32 v14, 16, v14
	v_lshlrev_b32_e32 v16, 16, v16
	v_add_f32_e32 v13, v25, v13
	v_add3_u32 v25, v27, v26, 0x7fff
	v_or_b32_e32 v27, 0x400000, v26
	v_add3_u32 v28, v28, v48, 0x7fff
	v_mul_f32_e32 v47, v18, v47
	v_mul_f32_e32 v14, v24, v14
	;; [unrolled: 1-line block ×3, first 2 shown]
	v_cndmask_b32_e32 v25, v25, v27, vcc_lo
	v_cmp_u_f32_e32 vcc_lo, v48, v48
	v_bfe_u32 v26, v47, 16, 1
	v_or_b32_e32 v48, 0x400000, v47
	v_add_f32_e32 v37, v37, v13
	v_and_b32_e32 v25, 0xffff0000, v25
	v_cndmask_b32_e32 v27, v28, v49, vcc_lo
	v_and_b32_e32 v28, 0xffff0000, v15
	v_add3_u32 v26, v26, v47, 0x7fff
	v_lshlrev_b32_e32 v15, 16, v15
	v_bfe_u32 v49, v14, 16, 1
	v_cmp_u_f32_e32 vcc_lo, v47, v47
	v_mul_f32_e32 v28, v19, v28
	v_and_b32_e32 v27, 0xffff0000, v27
	v_mul_f32_e32 v15, v22, v15
	v_add3_u32 v47, v49, v14, 0x7fff
	v_cndmask_b32_e32 v26, v26, v48, vcc_lo
	v_or_b32_e32 v48, 0x400000, v14
	v_bfe_u32 v49, v28, 16, 1
	v_cmp_u_f32_e32 vcc_lo, v14, v14
	v_bfe_u32 v51, v15, 16, 1
	v_and_b32_e32 v26, 0xffff0000, v26
	v_add_f32_e32 v25, v27, v25
	v_and_b32_e32 v27, 0xffff0000, v9
	v_cndmask_b32_e32 v14, v47, v48, vcc_lo
	v_add3_u32 v47, v49, v28, 0x7fff
	v_mul_f32_e32 v48, v20, v50
	v_or_b32_e32 v49, 0x400000, v28
	v_cmp_u_f32_e32 vcc_lo, v28, v28
	v_add3_u32 v50, v51, v15, 0x7fff
	v_or_b32_e32 v51, 0x400000, v15
	v_bfe_u32 v52, v48, 16, 1
	v_and_b32_e32 v14, 0xffff0000, v14
	v_cndmask_b32_e32 v28, v47, v49, vcc_lo
	v_cmp_u_f32_e32 vcc_lo, v15, v15
	v_or_b32_e32 v49, 0x400000, v48
	v_add3_u32 v47, v52, v48, 0x7fff
	v_add_f32_e32 v14, v14, v26
	v_and_b32_e32 v26, 0xffff0000, v28
	v_cndmask_b32_e32 v15, v50, v51, vcc_lo
	v_bfe_u32 v50, v16, 16, 1
	v_cmp_u_f32_e32 vcc_lo, v48, v48
	v_lshlrev_b32_e32 v9, 16, v9
	v_add_f32_e32 v14, v14, v25
	v_and_b32_e32 v15, 0xffff0000, v15
	v_add3_u32 v48, v50, v16, 0x7fff
	v_cndmask_b32_e32 v47, v47, v49, vcc_lo
	v_or_b32_e32 v49, 0x400000, v16
	v_cmp_u_f32_e32 vcc_lo, v16, v16
	v_mul_f32_e32 v25, v17, v27
	v_add_f32_e32 v15, v15, v26
	v_mul_f32_e32 v26, v21, v9
	v_and_b32_e32 v27, 0xffff0000, v47
	v_cndmask_b32_e32 v16, v48, v49, vcc_lo
	v_and_b32_e32 v28, 0xffff0000, v10
	v_bfe_u32 v47, v25, 16, 1
	v_add_f32_e32 v9, v15, v14
	v_bfe_u32 v15, v26, 16, 1
	v_and_b32_e32 v16, 0xffff0000, v16
	v_cmp_u_f32_e32 vcc_lo, v25, v25
	v_lshlrev_b32_e32 v10, 16, v10
	v_add_nc_u32_e32 v45, 0x100, v45
	v_add3_u32 v15, v15, v26, 0x7fff
	v_add_f32_e32 v14, v16, v27
	v_mul_f32_e32 v16, v18, v28
	v_add3_u32 v27, v47, v25, 0x7fff
	v_or_b32_e32 v28, 0x400000, v25
	v_or_b32_e32 v47, 0x400000, v26
	v_mul_f32_e32 v10, v24, v10
	v_bfe_u32 v48, v16, 16, 1
	v_add_co_ci_u32_e64 v30, null, 0, v30, s0
	v_cndmask_b32_e32 v25, v27, v28, vcc_lo
	v_cmp_u_f32_e32 vcc_lo, v26, v26
	v_add3_u32 v26, v48, v16, 0x7fff
	v_or_b32_e32 v27, 0x400000, v16
	v_and_b32_e32 v28, 0xffff0000, v11
	v_lshlrev_b32_e32 v11, 16, v11
	v_cndmask_b32_e32 v15, v15, v47, vcc_lo
	v_cmp_u_f32_e32 vcc_lo, v16, v16
	v_bfe_u32 v47, v10, 16, 1
	v_and_b32_e32 v25, 0xffff0000, v25
	v_mul_f32_e32 v11, v22, v11
	v_and_b32_e32 v15, 0xffff0000, v15
	v_cndmask_b32_e32 v16, v26, v27, vcc_lo
	v_mul_f32_e32 v26, v19, v28
	v_add3_u32 v27, v47, v10, 0x7fff
	v_or_b32_e32 v28, 0x400000, v10
	v_and_b32_e32 v47, 0xffff0000, v12
	v_cmp_u_f32_e32 vcc_lo, v10, v10
	v_bfe_u32 v48, v26, 16, 1
	v_bfe_u32 v49, v11, 16, 1
	v_lshlrev_b32_e32 v12, 16, v12
	v_and_b32_e32 v16, 0xffff0000, v16
	v_cndmask_b32_e32 v10, v27, v28, vcc_lo
	v_mul_f32_e32 v27, v20, v47
	v_add3_u32 v28, v48, v26, 0x7fff
	v_or_b32_e32 v47, 0x400000, v26
	v_cmp_u_f32_e32 vcc_lo, v26, v26
	v_add3_u32 v48, v49, v11, 0x7fff
	v_or_b32_e32 v49, 0x400000, v11
	v_bfe_u32 v50, v27, 16, 1
	v_and_b32_e32 v10, 0xffff0000, v10
	v_cndmask_b32_e32 v26, v28, v47, vcc_lo
	v_cmp_u_f32_e32 vcc_lo, v11, v11
	v_or_b32_e32 v47, 0x400000, v27
	v_add3_u32 v28, v50, v27, 0x7fff
	v_mul_f32_e32 v12, v23, v12
	v_add_f32_e32 v15, v15, v25
	v_cndmask_b32_e32 v11, v48, v49, vcc_lo
	v_cmp_u_f32_e32 vcc_lo, v27, v27
	v_add_f32_e32 v10, v10, v16
	v_and_b32_e32 v16, 0xffff0000, v1
	v_and_b32_e32 v25, 0xffff0000, v26
	;; [unrolled: 1-line block ×3, first 2 shown]
	v_cndmask_b32_e32 v27, v28, v47, vcc_lo
	v_bfe_u32 v28, v12, 16, 1
	v_add_f32_e32 v10, v10, v15
	v_mul_f32_e32 v15, v17, v16
	v_add_f32_e32 v11, v11, v25
	v_lshlrev_b32_e32 v1, 16, v1
	v_add3_u32 v26, v28, v12, 0x7fff
	v_or_b32_e32 v28, 0x400000, v12
	v_cmp_u_f32_e32 vcc_lo, v12, v12
	v_bfe_u32 v16, v15, 16, 1
	v_add_f32_e32 v10, v11, v10
	v_and_b32_e32 v11, 0xffff0000, v2
	v_mul_f32_e32 v1, v21, v1
	v_cndmask_b32_e32 v12, v26, v28, vcc_lo
	v_add3_u32 v16, v16, v15, 0x7fff
	v_or_b32_e32 v25, 0x400000, v15
	v_mul_f32_e32 v11, v18, v11
	v_and_b32_e32 v26, 0xffff0000, v27
	v_bfe_u32 v27, v1, 16, 1
	v_cmp_u_f32_e32 vcc_lo, v15, v15
	v_lshlrev_b32_e32 v2, 16, v2
	v_or_b32_e32 v28, 0x400000, v1
	v_or_b32_e32 v47, 0x400000, v11
	v_and_b32_e32 v12, 0xffff0000, v12
	v_cndmask_b32_e32 v15, v16, v25, vcc_lo
	v_bfe_u32 v16, v11, 16, 1
	v_add3_u32 v25, v27, v1, 0x7fff
	v_and_b32_e32 v27, 0xffff0000, v3
	v_mul_f32_e32 v2, v24, v2
	v_cmp_u_f32_e32 vcc_lo, v1, v1
	v_add3_u32 v16, v16, v11, 0x7fff
	v_lshlrev_b32_e32 v3, 16, v3
	v_mul_f32_e32 v27, v19, v27
	v_and_b32_e32 v15, 0xffff0000, v15
	v_cndmask_b32_e32 v1, v25, v28, vcc_lo
	v_bfe_u32 v25, v2, 16, 1
	v_cmp_u_f32_e32 vcc_lo, v11, v11
	v_and_b32_e32 v28, 0xffff0000, v4
	v_mul_f32_e32 v3, v22, v3
	v_or_b32_e32 v48, 0x400000, v27
	v_add3_u32 v25, v25, v2, 0x7fff
	v_cndmask_b32_e32 v11, v16, v47, vcc_lo
	v_bfe_u32 v16, v27, 16, 1
	v_or_b32_e32 v47, 0x400000, v2
	v_cmp_u_f32_e32 vcc_lo, v2, v2
	v_mul_f32_e32 v28, v20, v28
	v_lshlrev_b32_e32 v4, 16, v4
	v_add3_u32 v16, v16, v27, 0x7fff
	v_and_b32_e32 v1, 0xffff0000, v1
	v_cndmask_b32_e32 v2, v25, v47, vcc_lo
	v_bfe_u32 v25, v3, 16, 1
	v_cmp_u_f32_e32 vcc_lo, v27, v27
	v_bfe_u32 v47, v28, 16, 1
	v_or_b32_e32 v27, 0x400000, v3
	v_mul_f32_e32 v4, v23, v4
	v_add3_u32 v25, v25, v3, 0x7fff
	v_cndmask_b32_e32 v16, v16, v48, vcc_lo
	v_cmp_u_f32_e32 vcc_lo, v3, v3
	v_add3_u32 v47, v47, v28, 0x7fff
	v_or_b32_e32 v48, 0x400000, v28
	v_and_b32_e32 v2, 0xffff0000, v2
	v_and_b32_e32 v11, 0xffff0000, v11
	v_cndmask_b32_e32 v3, v25, v27, vcc_lo
	v_cmp_u_f32_e32 vcc_lo, v28, v28
	v_bfe_u32 v27, v4, 16, 1
	v_add_f32_e32 v1, v1, v15
	v_add_f32_e32 v2, v2, v11
	v_and_b32_e32 v3, 0xffff0000, v3
	v_cndmask_b32_e32 v25, v47, v48, vcc_lo
	s_waitcnt vmcnt(0)
	v_lshlrev_b32_e32 v47, 16, v5
	v_and_b32_e32 v11, 0xffff0000, v16
	v_and_b32_e32 v5, 0xffff0000, v5
	v_add3_u32 v27, v27, v4, 0x7fff
	v_or_b32_e32 v28, 0x400000, v4
	v_mul_f32_e32 v15, v21, v47
	v_cmp_u_f32_e32 vcc_lo, v4, v4
	v_add_f32_e32 v1, v2, v1
	v_add_f32_e32 v3, v3, v11
	v_mul_f32_e32 v5, v17, v5
	v_bfe_u32 v2, v15, 16, 1
	v_lshlrev_b32_e32 v11, 16, v6
	v_cndmask_b32_e32 v4, v27, v28, vcc_lo
	v_or_b32_e32 v16, 0x400000, v15
	v_bfe_u32 v17, v5, 16, 1
	v_add3_u32 v2, v2, v15, 0x7fff
	v_mul_f32_e32 v11, v24, v11
	v_and_b32_e32 v6, 0xffff0000, v6
	v_cmp_u_f32_e32 vcc_lo, v15, v15
	v_add3_u32 v15, v17, v5, 0x7fff
	v_and_b32_e32 v4, 0xffff0000, v4
	v_bfe_u32 v17, v11, 16, 1
	v_mul_f32_e32 v6, v18, v6
	v_cndmask_b32_e32 v2, v2, v16, vcc_lo
	v_or_b32_e32 v16, 0x400000, v5
	v_lshlrev_b32_e32 v18, 16, v7
	v_cmp_u_f32_e32 vcc_lo, v5, v5
	v_and_b32_e32 v7, 0xffff0000, v7
	v_and_b32_e32 v2, 0xffff0000, v2
	v_add_f32_e32 v1, v3, v1
	v_mul_f32_e32 v18, v22, v18
	v_cndmask_b32_e32 v5, v15, v16, vcc_lo
	v_add3_u32 v15, v17, v11, 0x7fff
	v_or_b32_e32 v16, 0x400000, v11
	v_bfe_u32 v17, v6, 16, 1
	v_cmp_u_f32_e32 vcc_lo, v11, v11
	v_mul_f32_e32 v7, v19, v7
	v_lshlrev_b32_e32 v19, 16, v8
	v_and_b32_e32 v8, 0xffff0000, v8
	v_and_b32_e32 v5, 0xffff0000, v5
	v_cndmask_b32_e32 v11, v15, v16, vcc_lo
	v_add3_u32 v15, v17, v6, 0x7fff
	v_or_b32_e32 v16, 0x400000, v6
	v_bfe_u32 v17, v18, 16, 1
	v_cmp_u_f32_e32 vcc_lo, v6, v6
	v_mul_f32_e32 v8, v20, v8
	v_or_b32_e32 v20, 0x400000, v7
	v_and_b32_e32 v11, 0xffff0000, v11
	v_add_f32_e32 v2, v2, v5
	v_cndmask_b32_e32 v6, v15, v16, vcc_lo
	v_bfe_u32 v15, v7, 16, 1
	v_add3_u32 v16, v17, v18, 0x7fff
	v_mul_f32_e32 v17, v23, v19
	v_or_b32_e32 v19, 0x400000, v18
	v_cmp_u_f32_e32 vcc_lo, v18, v18
	v_add3_u32 v15, v15, v7, 0x7fff
	v_bfe_u32 v22, v8, 16, 1
	v_bfe_u32 v21, v17, 16, 1
	v_and_b32_e32 v6, 0xffff0000, v6
	v_cndmask_b32_e32 v16, v16, v19, vcc_lo
	v_cmp_u_f32_e32 vcc_lo, v7, v7
	v_add3_u32 v18, v22, v8, 0x7fff
	v_or_b32_e32 v19, 0x400000, v8
	v_add_f32_e32 v5, v11, v6
	v_cndmask_b32_e32 v7, v15, v20, vcc_lo
	v_cmp_u_f32_e32 vcc_lo, v8, v8
	v_add3_u32 v15, v21, v17, 0x7fff
	v_or_b32_e32 v20, 0x400000, v17
	v_add_f32_e32 v2, v5, v2
	v_and_b32_e32 v6, 0xffff0000, v7
	v_cndmask_b32_e32 v8, v18, v19, vcc_lo
	v_cmp_u_f32_e32 vcc_lo, v17, v17
	v_and_b32_e32 v7, 0xffff0000, v16
	v_cndmask_b32_e32 v11, v15, v20, vcc_lo
	v_and_b32_e32 v15, 0xffff0000, v25
	v_add_f32_e32 v5, v7, v6
	v_and_b32_e32 v6, 0xffff0000, v8
	v_add_f32_e32 v8, v12, v26
	;; [unrolled: 2-line block ×3, first 2 shown]
	v_add_f32_e32 v2, v5, v2
	v_add_f32_e32 v5, v14, v9
	v_cmp_le_i32_e32 vcc_lo, s12, v46
	v_add_f32_e32 v4, v7, v6
	v_add_f32_e32 v6, v8, v10
	;; [unrolled: 1-line block ×4, first 2 shown]
	s_or_b32 s13, vcc_lo, s13
	v_add_f32_e32 v2, v4, v2
	v_add_f32_e32 v40, v40, v6
	;; [unrolled: 1-line block ×4, first 2 shown]
	s_andn2_b32 exec_lo, exec_lo, s13
	s_cbranch_execz .LBB137_40
.LBB137_30:                             ; =>This Inner Loop Header: Depth=1
	global_load_dword v1, v[29:30], off
	v_cmp_eq_u32_e64 s0, s4, v46
	v_add_nc_u32_e32 v53, 1, v44
	v_or_b32_e32 v51, 3, v44
	v_or_b32_e32 v52, 2, v44
	;; [unrolled: 1-line block ×6, first 2 shown]
	s_waitcnt vmcnt(0)
	v_mad_i64_i32 v[1:2], null, v1, s5, 0
	v_lshlrev_b64 v[1:2], 1, v[1:2]
	v_add_co_u32 v5, vcc_lo, v42, v1
	v_add_co_ci_u32_e64 v6, null, v43, v2, vcc_lo
	global_load_dwordx4 v[1:4], v[5:6], off
	ds_read2_b64 v[21:24], v45 offset1:1
	ds_read2_b64 v[17:20], v45 offset0:2 offset1:3
	s_and_saveexec_b32 s15, s0
	s_cbranch_execnz .LBB137_37
; %bb.31:                               ;   in Loop: Header=BB137_30 Depth=1
	s_or_b32 exec_lo, exec_lo, s15
	global_load_dwordx4 v[9:12], v[5:6], off offset:512
	s_and_saveexec_b32 s15, s0
	s_cbranch_execnz .LBB137_38
.LBB137_32:                             ;   in Loop: Header=BB137_30 Depth=1
	s_or_b32 exec_lo, exec_lo, s15
	global_load_dwordx4 v[13:16], v[5:6], off offset:1024
	s_and_saveexec_b32 s15, s0
	s_cbranch_execnz .LBB137_39
.LBB137_33:                             ;   in Loop: Header=BB137_30 Depth=1
	s_or_b32 exec_lo, exec_lo, s15
	global_load_dwordx4 v[25:28], v[5:6], off offset:1536
	s_and_saveexec_b32 s15, s0
	s_cbranch_execz .LBB137_35
.LBB137_34:                             ;   in Loop: Header=BB137_30 Depth=1
	v_cmp_gt_i32_e64 s1, s11, v44
	v_cmp_gt_i32_e32 vcc_lo, s14, v53
	v_cmp_gt_i32_e64 s2, s11, v52
	s_waitcnt vmcnt(0)
	v_cndmask_b32_e64 v7, 0, v25, s1
	v_cmp_gt_i32_e64 s1, s14, v51
	v_cndmask_b32_sdwa v25, v41, v25, vcc_lo dst_sel:DWORD dst_unused:UNUSED_PAD src0_sel:DWORD src1_sel:WORD_1
	v_cndmask_b32_e64 v8, 0, v26, s2
	v_cmp_gt_i32_e64 s2, s14, v50
	s_mov_b32 vcc_lo, s1
	v_cmp_gt_i32_e64 s1, s14, v48
	v_cndmask_b32_sdwa v26, v41, v26, vcc_lo dst_sel:DWORD dst_unused:UNUSED_PAD src0_sel:DWORD src1_sel:WORD_1
	v_cmp_gt_i32_e32 vcc_lo, s11, v49
	v_perm_b32 v25, v25, v7, 0x5040100
	v_perm_b32 v26, v26, v8, 0x5040100
	v_cndmask_b32_e32 v54, 0, v27, vcc_lo
	s_mov_b32 vcc_lo, s2
	v_cndmask_b32_sdwa v27, v41, v27, vcc_lo dst_sel:DWORD dst_unused:UNUSED_PAD src0_sel:DWORD src1_sel:WORD_1
	v_cmp_gt_i32_e32 vcc_lo, s11, v47
	v_perm_b32 v27, v27, v54, 0x5040100
	v_cndmask_b32_e32 v55, 0, v28, vcc_lo
	s_mov_b32 vcc_lo, s1
	v_cndmask_b32_sdwa v28, v41, v28, vcc_lo dst_sel:DWORD dst_unused:UNUSED_PAD src0_sel:DWORD src1_sel:WORD_1
	v_perm_b32 v28, v28, v55, 0x5040100
.LBB137_35:                             ;   in Loop: Header=BB137_30 Depth=1
	s_or_b32 exec_lo, exec_lo, s15
	v_add_co_u32 v5, vcc_lo, 0x800, v5
	v_add_co_ci_u32_e64 v6, null, 0, v6, vcc_lo
	global_load_dwordx4 v[5:8], v[5:6], off
	s_and_saveexec_b32 s2, s0
	s_cbranch_execz .LBB137_29
; %bb.36:                               ;   in Loop: Header=BB137_30 Depth=1
	v_cmp_gt_i32_e64 s0, s11, v44
	v_cmp_gt_i32_e32 vcc_lo, s14, v53
	v_cmp_gt_i32_e64 s1, s11, v52
	s_waitcnt vmcnt(0)
	v_cndmask_b32_e64 v53, 0, v5, s0
	v_cmp_gt_i32_e64 s0, s14, v51
	v_cndmask_b32_sdwa v5, v41, v5, vcc_lo dst_sel:DWORD dst_unused:UNUSED_PAD src0_sel:DWORD src1_sel:WORD_1
	v_cndmask_b32_e64 v51, 0, v6, s1
	v_cmp_gt_i32_e64 s1, s14, v50
	s_mov_b32 vcc_lo, s0
	v_cmp_gt_i32_e64 s0, s14, v48
	v_cndmask_b32_sdwa v6, v41, v6, vcc_lo dst_sel:DWORD dst_unused:UNUSED_PAD src0_sel:DWORD src1_sel:WORD_1
	v_cmp_gt_i32_e32 vcc_lo, s11, v49
	v_perm_b32 v5, v5, v53, 0x5040100
	v_perm_b32 v6, v6, v51, 0x5040100
	v_cndmask_b32_e32 v49, 0, v7, vcc_lo
	s_mov_b32 vcc_lo, s1
	v_cndmask_b32_sdwa v7, v41, v7, vcc_lo dst_sel:DWORD dst_unused:UNUSED_PAD src0_sel:DWORD src1_sel:WORD_1
	v_cmp_gt_i32_e32 vcc_lo, s11, v47
	v_perm_b32 v7, v7, v49, 0x5040100
	v_cndmask_b32_e32 v47, 0, v8, vcc_lo
	s_mov_b32 vcc_lo, s0
	v_cndmask_b32_sdwa v8, v41, v8, vcc_lo dst_sel:DWORD dst_unused:UNUSED_PAD src0_sel:DWORD src1_sel:WORD_1
	v_perm_b32 v8, v8, v47, 0x5040100
	s_branch .LBB137_29
.LBB137_37:                             ;   in Loop: Header=BB137_30 Depth=1
	v_cmp_gt_i32_e64 s1, s11, v44
	v_cmp_gt_i32_e32 vcc_lo, s14, v53
	v_cmp_gt_i32_e64 s2, s11, v52
	s_waitcnt vmcnt(0)
	v_cndmask_b32_e64 v7, 0, v1, s1
	v_cmp_gt_i32_e64 s1, s14, v51
	v_cndmask_b32_sdwa v1, v41, v1, vcc_lo dst_sel:DWORD dst_unused:UNUSED_PAD src0_sel:DWORD src1_sel:WORD_1
	v_cndmask_b32_e64 v8, 0, v2, s2
	v_cmp_gt_i32_e64 s2, s14, v50
	s_mov_b32 vcc_lo, s1
	v_cmp_gt_i32_e64 s1, s14, v48
	v_cndmask_b32_sdwa v2, v41, v2, vcc_lo dst_sel:DWORD dst_unused:UNUSED_PAD src0_sel:DWORD src1_sel:WORD_1
	v_cmp_gt_i32_e32 vcc_lo, s11, v49
	v_perm_b32 v1, v1, v7, 0x5040100
	v_perm_b32 v2, v2, v8, 0x5040100
	v_cndmask_b32_e32 v9, 0, v3, vcc_lo
	s_mov_b32 vcc_lo, s2
	v_cndmask_b32_sdwa v3, v41, v3, vcc_lo dst_sel:DWORD dst_unused:UNUSED_PAD src0_sel:DWORD src1_sel:WORD_1
	v_cmp_gt_i32_e32 vcc_lo, s11, v47
	v_perm_b32 v3, v3, v9, 0x5040100
	v_cndmask_b32_e32 v10, 0, v4, vcc_lo
	s_mov_b32 vcc_lo, s1
	v_cndmask_b32_sdwa v4, v41, v4, vcc_lo dst_sel:DWORD dst_unused:UNUSED_PAD src0_sel:DWORD src1_sel:WORD_1
	v_perm_b32 v4, v4, v10, 0x5040100
	s_or_b32 exec_lo, exec_lo, s15
	global_load_dwordx4 v[9:12], v[5:6], off offset:512
	s_and_saveexec_b32 s15, s0
	s_cbranch_execz .LBB137_32
.LBB137_38:                             ;   in Loop: Header=BB137_30 Depth=1
	v_cmp_gt_i32_e64 s1, s11, v44
	v_cmp_gt_i32_e32 vcc_lo, s14, v53
	v_cmp_gt_i32_e64 s2, s11, v52
	s_waitcnt vmcnt(0)
	v_cndmask_b32_e64 v7, 0, v9, s1
	v_cmp_gt_i32_e64 s1, s14, v51
	v_cndmask_b32_sdwa v9, v41, v9, vcc_lo dst_sel:DWORD dst_unused:UNUSED_PAD src0_sel:DWORD src1_sel:WORD_1
	v_cndmask_b32_e64 v8, 0, v10, s2
	v_cmp_gt_i32_e64 s2, s14, v50
	s_mov_b32 vcc_lo, s1
	v_cmp_gt_i32_e64 s1, s14, v48
	v_cndmask_b32_sdwa v10, v41, v10, vcc_lo dst_sel:DWORD dst_unused:UNUSED_PAD src0_sel:DWORD src1_sel:WORD_1
	v_cmp_gt_i32_e32 vcc_lo, s11, v49
	v_perm_b32 v9, v9, v7, 0x5040100
	v_perm_b32 v10, v10, v8, 0x5040100
	v_cndmask_b32_e32 v13, 0, v11, vcc_lo
	s_mov_b32 vcc_lo, s2
	v_cndmask_b32_sdwa v11, v41, v11, vcc_lo dst_sel:DWORD dst_unused:UNUSED_PAD src0_sel:DWORD src1_sel:WORD_1
	v_cmp_gt_i32_e32 vcc_lo, s11, v47
	v_perm_b32 v11, v11, v13, 0x5040100
	v_cndmask_b32_e32 v14, 0, v12, vcc_lo
	s_mov_b32 vcc_lo, s1
	v_cndmask_b32_sdwa v12, v41, v12, vcc_lo dst_sel:DWORD dst_unused:UNUSED_PAD src0_sel:DWORD src1_sel:WORD_1
	v_perm_b32 v12, v12, v14, 0x5040100
	s_or_b32 exec_lo, exec_lo, s15
	global_load_dwordx4 v[13:16], v[5:6], off offset:1024
	s_and_saveexec_b32 s15, s0
	s_cbranch_execz .LBB137_33
.LBB137_39:                             ;   in Loop: Header=BB137_30 Depth=1
	v_cmp_gt_i32_e64 s1, s11, v44
	v_cmp_gt_i32_e32 vcc_lo, s14, v53
	v_cmp_gt_i32_e64 s2, s11, v52
	s_waitcnt vmcnt(0)
	v_cndmask_b32_e64 v7, 0, v13, s1
	v_cmp_gt_i32_e64 s1, s14, v51
	v_cndmask_b32_sdwa v13, v41, v13, vcc_lo dst_sel:DWORD dst_unused:UNUSED_PAD src0_sel:DWORD src1_sel:WORD_1
	v_cndmask_b32_e64 v8, 0, v14, s2
	v_cmp_gt_i32_e64 s2, s14, v50
	s_mov_b32 vcc_lo, s1
	v_cmp_gt_i32_e64 s1, s14, v48
	v_cndmask_b32_sdwa v14, v41, v14, vcc_lo dst_sel:DWORD dst_unused:UNUSED_PAD src0_sel:DWORD src1_sel:WORD_1
	v_cmp_gt_i32_e32 vcc_lo, s11, v49
	v_perm_b32 v13, v13, v7, 0x5040100
	v_perm_b32 v14, v14, v8, 0x5040100
	v_cndmask_b32_e32 v25, 0, v15, vcc_lo
	s_mov_b32 vcc_lo, s2
	v_cndmask_b32_sdwa v15, v41, v15, vcc_lo dst_sel:DWORD dst_unused:UNUSED_PAD src0_sel:DWORD src1_sel:WORD_1
	v_cmp_gt_i32_e32 vcc_lo, s11, v47
	v_perm_b32 v15, v15, v25, 0x5040100
	v_cndmask_b32_e32 v26, 0, v16, vcc_lo
	s_mov_b32 vcc_lo, s1
	v_cndmask_b32_sdwa v16, v41, v16, vcc_lo dst_sel:DWORD dst_unused:UNUSED_PAD src0_sel:DWORD src1_sel:WORD_1
	v_perm_b32 v16, v16, v26, 0x5040100
	s_or_b32 exec_lo, exec_lo, s15
	global_load_dwordx4 v[25:28], v[5:6], off offset:1536
	s_and_saveexec_b32 s15, s0
	s_cbranch_execnz .LBB137_34
	s_branch .LBB137_35
.LBB137_40:
	s_or_b32 exec_lo, exec_lo, s13
.LBB137_41:
	s_or_b32 exec_lo, exec_lo, s3
	ds_bpermute_b32 v1, v35, v39
	ds_bpermute_b32 v2, v35, v40
	;; [unrolled: 1-line block ×5, first 2 shown]
	v_lshrrev_b32_e32 v6, 1, v34
	v_mul_u32_u24_e32 v8, 0x140, v33
	v_and_b32_e32 v11, 0x3c1, v0
	s_mov_b32 s0, exec_lo
	s_waitcnt lgkmcnt(0)
	v_lshl_add_u32 v7, v6, 2, 0xc0
	s_barrier
	buffer_gl0_inv
	v_add_f32_e32 v5, v39, v1
	v_add_f32_e32 v4, v40, v2
	;; [unrolled: 1-line block ×5, first 2 shown]
	v_cmpx_eq_u32_e32 64, v11
	s_cbranch_execz .LBB137_43
; %bb.42:
	v_add_nc_u32_e32 v9, v7, v8
	v_add_nc_u32_e32 v10, 0xfffffd80, v9
	;; [unrolled: 1-line block ×6, first 2 shown]
	ds_write_b32 v10, v5
	ds_write_b32 v11, v4
	;; [unrolled: 1-line block ×5, first 2 shown]
.LBB137_43:
	s_or_b32 exec_lo, exec_lo, s0
	v_lshlrev_b32_e32 v6, 2, v6
	s_mov_b32 s1, exec_lo
	v_cmp_eq_u32_e32 vcc_lo, 0, v32
	s_waitcnt lgkmcnt(0)
	s_barrier
	v_add3_u32 v6, 0xc0, v8, v6
	buffer_gl0_inv
	v_cmpx_gt_u32_e32 64, v0
	s_cbranch_execz .LBB137_51
; %bb.44:
	s_and_saveexec_b32 s0, vcc_lo
	s_cbranch_execnz .LBB137_64
; %bb.45:
	s_or_b32 exec_lo, exec_lo, s0
	s_and_saveexec_b32 s0, vcc_lo
	s_cbranch_execnz .LBB137_65
.LBB137_46:
	s_or_b32 exec_lo, exec_lo, s0
	s_and_saveexec_b32 s0, vcc_lo
	s_cbranch_execnz .LBB137_66
.LBB137_47:
	s_or_b32 exec_lo, exec_lo, s0
	s_and_saveexec_b32 s0, vcc_lo
	s_cbranch_execnz .LBB137_67
.LBB137_48:
	s_or_b32 exec_lo, exec_lo, s0
	s_and_saveexec_b32 s0, vcc_lo
	s_cbranch_execz .LBB137_50
.LBB137_49:
	ds_read_b32 v8, v6 offset:256
	s_waitcnt lgkmcnt(0)
	v_add_f32_e32 v1, v1, v8
.LBB137_50:
	s_or_b32 exec_lo, exec_lo, s0
.LBB137_51:
	s_or_b32 exec_lo, exec_lo, s1
	v_and_b32_e32 v8, 0x3e1, v0
	s_mov_b32 s1, exec_lo
	s_barrier
	buffer_gl0_inv
	v_cmpx_eq_u32_e32 32, v8
	s_cbranch_execz .LBB137_53
; %bb.52:
	ds_write2_b32 v7, v5, v4 offset1:16
	ds_write2_b32 v7, v3, v2 offset0:32 offset1:48
	ds_write_b32 v7, v1 offset:256
.LBB137_53:
	s_or_b32 exec_lo, exec_lo, s1
	s_mov_b32 s1, exec_lo
	s_waitcnt lgkmcnt(0)
	s_barrier
	buffer_gl0_inv
	v_cmpx_gt_u32_e32 32, v0
	s_cbranch_execz .LBB137_61
; %bb.54:
	s_and_saveexec_b32 s0, vcc_lo
	s_cbranch_execnz .LBB137_68
; %bb.55:
	s_or_b32 exec_lo, exec_lo, s0
	s_and_saveexec_b32 s0, vcc_lo
	s_cbranch_execnz .LBB137_69
.LBB137_56:
	s_or_b32 exec_lo, exec_lo, s0
	s_and_saveexec_b32 s0, vcc_lo
	s_cbranch_execnz .LBB137_70
.LBB137_57:
	s_or_b32 exec_lo, exec_lo, s0
	s_and_saveexec_b32 s0, vcc_lo
	s_cbranch_execnz .LBB137_71
.LBB137_58:
	s_or_b32 exec_lo, exec_lo, s0
	s_and_saveexec_b32 s0, vcc_lo
	s_cbranch_execz .LBB137_60
.LBB137_59:
	ds_read_b32 v0, v6 offset:256
	s_waitcnt lgkmcnt(0)
	v_add_f32_e32 v1, v1, v0
.LBB137_60:
	s_or_b32 exec_lo, exec_lo, s0
.LBB137_61:
	s_or_b32 exec_lo, exec_lo, s1
	s_barrier
	buffer_gl0_inv
	s_mov_b32 s0, exec_lo
	v_cmpx_eq_u32_e32 0, v8
	s_cbranch_execz .LBB137_63
; %bb.62:
	v_bfe_u32 v6, v5, 16, 1
	v_or_b32_e32 v7, 0x400000, v5
	v_bfe_u32 v8, v4, 16, 1
	v_cmp_u_f32_e32 vcc_lo, v5, v5
	s_mul_i32 s0, s10, s7
	v_add3_u32 v6, v6, v5, 0x7fff
	s_mul_i32 s0, s0, s9
	v_add3_u32 v8, v8, v4, 0x7fff
	v_or_b32_e32 v9, 0x400000, v4
	s_mulk_i32 s0, 0x50
	v_cndmask_b32_e32 v5, v6, v7, vcc_lo
	v_bfe_u32 v6, v3, 16, 1
	v_cmp_u_f32_e32 vcc_lo, v4, v4
	s_ashr_i32 s1, s0, 31
	v_bfe_u32 v7, v2, 16, 1
	s_lshl_b64 s[0:1], s[0:1], 1
	v_add3_u32 v6, v6, v3, 0x7fff
	v_cndmask_b32_e32 v4, v8, v9, vcc_lo
	v_or_b32_e32 v9, 0x400000, v3
	v_cmp_u_f32_e32 vcc_lo, v3, v3
	s_mul_i32 s2, s7, s6
	s_add_u32 s5, s16, s0
	s_addc_u32 s6, s17, s1
	s_ashr_i32 s3, s2, 31
	v_bfe_u32 v8, v1, 16, 1
	v_add3_u32 v7, v7, v2, 0x7fff
	v_or_b32_e32 v10, 0x400000, v2
	v_cndmask_b32_e32 v3, v6, v9, vcc_lo
	v_cmp_u_f32_e32 vcc_lo, v2, v2
	s_lshl_b64 s[0:1], s[2:3], 1
	s_mul_i32 s4, s8, 0x50
	s_add_u32 s2, s5, s0
	s_addc_u32 s3, s6, s1
	s_ashr_i32 s5, s4, 31
	v_add3_u32 v8, v8, v1, 0x7fff
	v_or_b32_e32 v11, 0x400000, v1
	v_cndmask_b32_e32 v2, v7, v10, vcc_lo
	v_cmp_u_f32_e32 vcc_lo, v1, v1
	v_lshlrev_b32_e32 v0, 1, v31
	s_lshl_b64 s[0:1], s[4:5], 1
	s_add_u32 s0, s2, s0
	s_addc_u32 s1, s3, s1
	v_cndmask_b32_e32 v1, v8, v11, vcc_lo
	global_store_short_d16_hi v0, v5, s[0:1]
	global_store_short_d16_hi v0, v4, s[0:1] offset:32
	global_store_short_d16_hi v0, v3, s[0:1] offset:64
	;; [unrolled: 1-line block ×4, first 2 shown]
.LBB137_63:
	s_endpgm
.LBB137_64:
	ds_read_b32 v8, v6
	s_waitcnt lgkmcnt(0)
	v_add_f32_e32 v5, v5, v8
	s_or_b32 exec_lo, exec_lo, s0
	s_and_saveexec_b32 s0, vcc_lo
	s_cbranch_execz .LBB137_46
.LBB137_65:
	ds_read_b32 v8, v6 offset:64
	s_waitcnt lgkmcnt(0)
	v_add_f32_e32 v4, v4, v8
	s_or_b32 exec_lo, exec_lo, s0
	s_and_saveexec_b32 s0, vcc_lo
	s_cbranch_execz .LBB137_47
.LBB137_66:
	ds_read_b32 v8, v6 offset:128
	s_waitcnt lgkmcnt(0)
	v_add_f32_e32 v3, v3, v8
	s_or_b32 exec_lo, exec_lo, s0
	s_and_saveexec_b32 s0, vcc_lo
	s_cbranch_execz .LBB137_48
.LBB137_67:
	ds_read_b32 v8, v6 offset:192
	s_waitcnt lgkmcnt(0)
	v_add_f32_e32 v2, v2, v8
	s_or_b32 exec_lo, exec_lo, s0
	s_and_saveexec_b32 s0, vcc_lo
	s_cbranch_execnz .LBB137_49
	s_branch .LBB137_50
.LBB137_68:
	ds_read_b32 v0, v6
	s_waitcnt lgkmcnt(0)
	v_add_f32_e32 v5, v5, v0
	s_or_b32 exec_lo, exec_lo, s0
	s_and_saveexec_b32 s0, vcc_lo
	s_cbranch_execz .LBB137_56
.LBB137_69:
	ds_read_b32 v0, v6 offset:64
	s_waitcnt lgkmcnt(0)
	v_add_f32_e32 v4, v4, v0
	s_or_b32 exec_lo, exec_lo, s0
	s_and_saveexec_b32 s0, vcc_lo
	s_cbranch_execz .LBB137_57
.LBB137_70:
	ds_read_b32 v0, v6 offset:128
	s_waitcnt lgkmcnt(0)
	v_add_f32_e32 v3, v3, v0
	s_or_b32 exec_lo, exec_lo, s0
	s_and_saveexec_b32 s0, vcc_lo
	s_cbranch_execz .LBB137_58
.LBB137_71:
	ds_read_b32 v0, v6 offset:192
	s_waitcnt lgkmcnt(0)
	v_add_f32_e32 v2, v2, v0
	s_or_b32 exec_lo, exec_lo, s0
	s_and_saveexec_b32 s0, vcc_lo
	s_cbranch_execnz .LBB137_59
	s_branch .LBB137_60
	.section	.rodata,"a",@progbits
	.p2align	6, 0x0
	.amdhsa_kernel _ZN4vllm25paged_attention_v1_kernelI14__hip_bfloat16S1_Li80ELi16ELi128ELNS_18Fp8KVCacheDataTypeE0ELb0EEEvPT_PKS3_PKT0_S9_ifPKiSB_iPKfiiiSD_SD_iiiii
		.amdhsa_group_segment_fixed_size 192
		.amdhsa_private_segment_fixed_size 0
		.amdhsa_kernarg_size 384
		.amdhsa_user_sgpr_count 6
		.amdhsa_user_sgpr_private_segment_buffer 1
		.amdhsa_user_sgpr_dispatch_ptr 0
		.amdhsa_user_sgpr_queue_ptr 0
		.amdhsa_user_sgpr_kernarg_segment_ptr 1
		.amdhsa_user_sgpr_dispatch_id 0
		.amdhsa_user_sgpr_flat_scratch_init 0
		.amdhsa_user_sgpr_private_segment_size 0
		.amdhsa_wavefront_size32 1
		.amdhsa_uses_dynamic_stack 0
		.amdhsa_system_sgpr_private_segment_wavefront_offset 0
		.amdhsa_system_sgpr_workgroup_id_x 1
		.amdhsa_system_sgpr_workgroup_id_y 1
		.amdhsa_system_sgpr_workgroup_id_z 1
		.amdhsa_system_sgpr_workgroup_info 0
		.amdhsa_system_vgpr_workitem_id 0
		.amdhsa_next_free_vgpr 94
		.amdhsa_next_free_sgpr 27
		.amdhsa_reserve_vcc 1
		.amdhsa_reserve_flat_scratch 0
		.amdhsa_float_round_mode_32 0
		.amdhsa_float_round_mode_16_64 0
		.amdhsa_float_denorm_mode_32 3
		.amdhsa_float_denorm_mode_16_64 3
		.amdhsa_dx10_clamp 1
		.amdhsa_ieee_mode 1
		.amdhsa_fp16_overflow 0
		.amdhsa_workgroup_processor_mode 1
		.amdhsa_memory_ordered 1
		.amdhsa_forward_progress 1
		.amdhsa_shared_vgpr_count 0
		.amdhsa_exception_fp_ieee_invalid_op 0
		.amdhsa_exception_fp_denorm_src 0
		.amdhsa_exception_fp_ieee_div_zero 0
		.amdhsa_exception_fp_ieee_overflow 0
		.amdhsa_exception_fp_ieee_underflow 0
		.amdhsa_exception_fp_ieee_inexact 0
		.amdhsa_exception_int_div_zero 0
	.end_amdhsa_kernel
	.section	.text._ZN4vllm25paged_attention_v1_kernelI14__hip_bfloat16S1_Li80ELi16ELi128ELNS_18Fp8KVCacheDataTypeE0ELb0EEEvPT_PKS3_PKT0_S9_ifPKiSB_iPKfiiiSD_SD_iiiii,"axG",@progbits,_ZN4vllm25paged_attention_v1_kernelI14__hip_bfloat16S1_Li80ELi16ELi128ELNS_18Fp8KVCacheDataTypeE0ELb0EEEvPT_PKS3_PKT0_S9_ifPKiSB_iPKfiiiSD_SD_iiiii,comdat
.Lfunc_end137:
	.size	_ZN4vllm25paged_attention_v1_kernelI14__hip_bfloat16S1_Li80ELi16ELi128ELNS_18Fp8KVCacheDataTypeE0ELb0EEEvPT_PKS3_PKT0_S9_ifPKiSB_iPKfiiiSD_SD_iiiii, .Lfunc_end137-_ZN4vllm25paged_attention_v1_kernelI14__hip_bfloat16S1_Li80ELi16ELi128ELNS_18Fp8KVCacheDataTypeE0ELb0EEEvPT_PKS3_PKT0_S9_ifPKiSB_iPKfiiiSD_SD_iiiii
                                        ; -- End function
	.set _ZN4vllm25paged_attention_v1_kernelI14__hip_bfloat16S1_Li80ELi16ELi128ELNS_18Fp8KVCacheDataTypeE0ELb0EEEvPT_PKS3_PKT0_S9_ifPKiSB_iPKfiiiSD_SD_iiiii.num_vgpr, 94
	.set _ZN4vllm25paged_attention_v1_kernelI14__hip_bfloat16S1_Li80ELi16ELi128ELNS_18Fp8KVCacheDataTypeE0ELb0EEEvPT_PKS3_PKT0_S9_ifPKiSB_iPKfiiiSD_SD_iiiii.num_agpr, 0
	.set _ZN4vllm25paged_attention_v1_kernelI14__hip_bfloat16S1_Li80ELi16ELi128ELNS_18Fp8KVCacheDataTypeE0ELb0EEEvPT_PKS3_PKT0_S9_ifPKiSB_iPKfiiiSD_SD_iiiii.numbered_sgpr, 27
	.set _ZN4vllm25paged_attention_v1_kernelI14__hip_bfloat16S1_Li80ELi16ELi128ELNS_18Fp8KVCacheDataTypeE0ELb0EEEvPT_PKS3_PKT0_S9_ifPKiSB_iPKfiiiSD_SD_iiiii.num_named_barrier, 0
	.set _ZN4vllm25paged_attention_v1_kernelI14__hip_bfloat16S1_Li80ELi16ELi128ELNS_18Fp8KVCacheDataTypeE0ELb0EEEvPT_PKS3_PKT0_S9_ifPKiSB_iPKfiiiSD_SD_iiiii.private_seg_size, 0
	.set _ZN4vllm25paged_attention_v1_kernelI14__hip_bfloat16S1_Li80ELi16ELi128ELNS_18Fp8KVCacheDataTypeE0ELb0EEEvPT_PKS3_PKT0_S9_ifPKiSB_iPKfiiiSD_SD_iiiii.uses_vcc, 1
	.set _ZN4vllm25paged_attention_v1_kernelI14__hip_bfloat16S1_Li80ELi16ELi128ELNS_18Fp8KVCacheDataTypeE0ELb0EEEvPT_PKS3_PKT0_S9_ifPKiSB_iPKfiiiSD_SD_iiiii.uses_flat_scratch, 0
	.set _ZN4vllm25paged_attention_v1_kernelI14__hip_bfloat16S1_Li80ELi16ELi128ELNS_18Fp8KVCacheDataTypeE0ELb0EEEvPT_PKS3_PKT0_S9_ifPKiSB_iPKfiiiSD_SD_iiiii.has_dyn_sized_stack, 0
	.set _ZN4vllm25paged_attention_v1_kernelI14__hip_bfloat16S1_Li80ELi16ELi128ELNS_18Fp8KVCacheDataTypeE0ELb0EEEvPT_PKS3_PKT0_S9_ifPKiSB_iPKfiiiSD_SD_iiiii.has_recursion, 0
	.set _ZN4vllm25paged_attention_v1_kernelI14__hip_bfloat16S1_Li80ELi16ELi128ELNS_18Fp8KVCacheDataTypeE0ELb0EEEvPT_PKS3_PKT0_S9_ifPKiSB_iPKfiiiSD_SD_iiiii.has_indirect_call, 0
	.section	.AMDGPU.csdata,"",@progbits
; Kernel info:
; codeLenInByte = 7884
; TotalNumSgprs: 29
; NumVgprs: 94
; ScratchSize: 0
; MemoryBound: 0
; FloatMode: 240
; IeeeMode: 1
; LDSByteSize: 192 bytes/workgroup (compile time only)
; SGPRBlocks: 0
; VGPRBlocks: 11
; NumSGPRsForWavesPerEU: 29
; NumVGPRsForWavesPerEU: 94
; Occupancy: 10
; WaveLimiterHint : 1
; COMPUTE_PGM_RSRC2:SCRATCH_EN: 0
; COMPUTE_PGM_RSRC2:USER_SGPR: 6
; COMPUTE_PGM_RSRC2:TRAP_HANDLER: 0
; COMPUTE_PGM_RSRC2:TGID_X_EN: 1
; COMPUTE_PGM_RSRC2:TGID_Y_EN: 1
; COMPUTE_PGM_RSRC2:TGID_Z_EN: 1
; COMPUTE_PGM_RSRC2:TIDIG_COMP_CNT: 0
	.section	.text._ZN4vllm25paged_attention_v1_kernelI14__hip_bfloat16S1_Li96ELi16ELi128ELNS_18Fp8KVCacheDataTypeE0ELb0EEEvPT_PKS3_PKT0_S9_ifPKiSB_iPKfiiiSD_SD_iiiii,"axG",@progbits,_ZN4vllm25paged_attention_v1_kernelI14__hip_bfloat16S1_Li96ELi16ELi128ELNS_18Fp8KVCacheDataTypeE0ELb0EEEvPT_PKS3_PKT0_S9_ifPKiSB_iPKfiiiSD_SD_iiiii,comdat
	.protected	_ZN4vllm25paged_attention_v1_kernelI14__hip_bfloat16S1_Li96ELi16ELi128ELNS_18Fp8KVCacheDataTypeE0ELb0EEEvPT_PKS3_PKT0_S9_ifPKiSB_iPKfiiiSD_SD_iiiii ; -- Begin function _ZN4vllm25paged_attention_v1_kernelI14__hip_bfloat16S1_Li96ELi16ELi128ELNS_18Fp8KVCacheDataTypeE0ELb0EEEvPT_PKS3_PKT0_S9_ifPKiSB_iPKfiiiSD_SD_iiiii
	.globl	_ZN4vllm25paged_attention_v1_kernelI14__hip_bfloat16S1_Li96ELi16ELi128ELNS_18Fp8KVCacheDataTypeE0ELb0EEEvPT_PKS3_PKT0_S9_ifPKiSB_iPKfiiiSD_SD_iiiii
	.p2align	8
	.type	_ZN4vllm25paged_attention_v1_kernelI14__hip_bfloat16S1_Li96ELi16ELi128ELNS_18Fp8KVCacheDataTypeE0ELb0EEEvPT_PKS3_PKT0_S9_ifPKiSB_iPKfiiiSD_SD_iiiii,@function
_ZN4vllm25paged_attention_v1_kernelI14__hip_bfloat16S1_Li96ELi16ELi128ELNS_18Fp8KVCacheDataTypeE0ELb0EEEvPT_PKS3_PKT0_S9_ifPKiSB_iPKfiiiSD_SD_iiiii: ; @_ZN4vllm25paged_attention_v1_kernelI14__hip_bfloat16S1_Li96ELi16ELi128ELNS_18Fp8KVCacheDataTypeE0ELb0EEEvPT_PKS3_PKT0_S9_ifPKiSB_iPKfiiiSD_SD_iiiii
; %bb.0:
	s_clause 0x2
	s_load_dword s9, s[4:5], 0x80
	s_load_dwordx2 s[0:1], s[4:5], 0x30
	s_load_dwordx2 s[24:25], s[4:5], 0x20
	s_mov_b32 s10, s7
	s_ashr_i32 s11, s7, 31
	s_lshl_b64 s[2:3], s[10:11], 2
	s_waitcnt lgkmcnt(0)
	s_add_u32 s0, s0, s2
	s_addc_u32 s1, s1, s3
	s_abs_i32 s2, s24
	s_abs_i32 s11, s9
	v_cvt_f32_u32_e32 v1, s2
	s_sub_i32 s7, 0, s2
	v_rcp_iflag_f32_e32 v1, v1
	v_mul_f32_e32 v1, 0x4f7ffffe, v1
	v_cvt_u32_f32_e32 v1, v1
	v_readfirstlane_b32 s3, v1
	s_mul_i32 s7, s7, s3
	s_mul_hi_u32 s7, s3, s7
	s_add_i32 s3, s3, s7
	s_xor_b32 s7, s9, s24
	s_mul_hi_u32 s3, s11, s3
	s_ashr_i32 s7, s7, 31
	s_mul_i32 s12, s3, s2
	s_mov_b32 s24, 0
	s_sub_i32 s11, s11, s12
	s_add_i32 s12, s3, 1
	s_sub_i32 s13, s11, s2
	s_cmp_ge_u32 s11, s2
	s_cselect_b32 s3, s12, s3
	s_cselect_b32 s11, s13, s11
	s_add_i32 s12, s3, 1
	s_cmp_ge_u32 s11, s2
	s_cselect_b32 s2, s12, s3
	s_abs_i32 s17, s6
	s_xor_b32 s2, s2, s7
	s_sub_i32 s18, s2, s7
	s_load_dwordx2 s[2:3], s[4:5], 0x40
	s_abs_i32 s16, s18
	v_cvt_f32_u32_e32 v1, s16
	s_sub_i32 s11, 0, s16
	v_rcp_iflag_f32_e32 v1, v1
	v_mul_f32_e32 v1, 0x4f7ffffe, v1
	v_cvt_u32_f32_e32 v1, v1
	v_readfirstlane_b32 s7, v1
	s_mul_i32 s11, s11, s7
	s_mul_hi_u32 s11, s7, s11
	s_add_i32 s7, s7, s11
	s_waitcnt lgkmcnt(0)
	s_cmp_eq_u64 s[2:3], 0
	s_mul_hi_u32 s20, s17, s7
	s_cbranch_scc1 .LBB138_2
; %bb.1:
	s_ashr_i32 s7, s6, 31
	s_lshl_b64 s[12:13], s[6:7], 2
	s_add_u32 s2, s2, s12
	s_addc_u32 s3, s3, s13
	s_load_dword s24, s[2:3], 0x0
.LBB138_2:
	s_load_dword s11, s[0:1], 0x0
	s_load_dwordx4 s[12:15], s[4:5], 0x48
	v_lshrrev_b32_e32 v35, 1, v0
	v_and_b32_e32 v36, 1, v0
	v_lshlrev_b32_e32 v3, 3, v0
	s_ashr_i32 s0, s6, 31
	s_ashr_i32 s1, s18, 31
	s_mulk_i32 s6, 0x60
	s_mov_b32 s2, exec_lo
	v_cmpx_gt_u32_e32 24, v0
	s_cbranch_execz .LBB138_4
; %bb.3:
	s_load_dwordx2 s[18:19], s[4:5], 0x8
	s_waitcnt lgkmcnt(0)
	s_mul_i32 s22, s12, s10
	v_lshlrev_b32_e32 v4, 3, v35
	s_ashr_i32 s23, s22, 31
	s_lshl_b64 s[22:23], s[22:23], 1
	v_mad_u32_u24 v4, 0x60, v36, v4
	s_add_u32 s3, s18, s22
	s_addc_u32 s12, s19, s23
	s_ashr_i32 s7, s6, 31
	s_lshl_b64 s[18:19], s[6:7], 1
	s_add_u32 s18, s3, s18
	s_addc_u32 s19, s12, s19
	global_load_dwordx2 v[1:2], v3, s[18:19]
	s_waitcnt vmcnt(0)
	ds_write_b64 v4, v[1:2]
.LBB138_4:
	s_or_b32 exec_lo, exec_lo, s2
	s_waitcnt lgkmcnt(0)
	s_add_i32 s2, s11, 15
	s_clause 0x1
	s_load_dwordx2 s[18:19], s[4:5], 0x28
	s_load_dword s7, s[4:5], 0x38
	s_ashr_i32 s3, s2, 31
	s_xor_b32 s0, s0, s1
	s_lshr_b32 s3, s3, 28
	s_mul_i32 s1, s20, s16
	s_add_i32 s2, s2, s3
	s_sub_i32 s1, s17, s1
	s_ashr_i32 s12, s2, 4
	s_add_i32 s2, s20, 1
	s_sub_i32 s3, s1, s16
	s_cmp_ge_u32 s1, s16
	v_lshrrev_b32_e32 v37, 5, v0
	s_cselect_b32 s2, s2, s20
	s_cselect_b32 s1, s3, s1
	s_add_i32 s3, s2, 1
	s_cmp_ge_u32 s1, s16
	v_mbcnt_lo_u32_b32 v5, -1, 0
	s_cselect_b32 s1, s3, s2
	s_mov_b32 s2, exec_lo
	s_xor_b32 s1, s1, s0
	s_waitcnt lgkmcnt(0)
	s_mul_i32 s20, s7, s10
	s_sub_i32 s1, s1, s0
	v_cmp_gt_i32_e64 s0, s12, v37
	s_ashr_i32 s21, s20, 31
	s_barrier
	buffer_gl0_inv
                                        ; implicit-def: $vgpr6
                                        ; implicit-def: $vgpr7
	v_cmpx_le_i32_e64 s12, v37
	s_xor_b32 s2, exec_lo, s2
; %bb.5:
	v_mov_b32_e32 v6, 0
	v_mbcnt_lo_u32_b32 v5, -1, 0
	v_mov_b32_e32 v7, 32
; %bb.6:
	s_or_saveexec_b32 s26, s2
	s_clause 0x2
	s_load_dwordx2 s[16:17], s[4:5], 0x0
	s_load_dwordx2 s[22:23], s[4:5], 0x18
	s_load_dword s7, s[4:5], 0x88
	v_mov_b32_e32 v58, 0xff7fffff
	v_lshrrev_b32_e32 v4, 3, v0
	s_mul_i32 s14, s1, s14
	s_xor_b32 exec_lo, exec_lo, s26
	s_cbranch_execz .LBB138_12
; %bb.7:
	v_mul_u32_u24_e32 v1, 0x60, v36
	s_load_dwordx2 s[2:3], s[4:5], 0x10
	v_bfe_u32 v2, v0, 1, 4
	s_ashr_i32 s15, s14, 31
	v_and_b32_e32 v6, 8, v3
	ds_read_b128 v[12:15], v1
	ds_read_b128 v[20:23], v1 offset:16
	ds_read_b128 v[28:31], v1 offset:32
	ds_read_b128 v[39:42], v1 offset:48
	ds_read_b128 v[47:50], v1 offset:64
	ds_read_b128 v[55:58], v1 offset:80
	v_xor_b32_e32 v1, 1, v5
	v_lshlrev_b32_e32 v7, 4, v2
	s_lshl_b64 s[4:5], s[14:15], 1
	v_lshlrev_b32_e32 v63, 2, v2
	v_mov_b32_e32 v65, v37
	v_cmp_gt_i32_e32 vcc_lo, 32, v1
	s_mov_b32 s15, s13
	v_cndmask_b32_e32 v1, v5, v1, vcc_lo
	s_waitcnt lgkmcnt(0)
	s_add_u32 s1, s2, s4
	s_addc_u32 s2, s3, s5
	v_add_co_u32 v7, s1, s1, v7
	v_lshlrev_b32_e32 v62, 2, v1
	v_lshl_or_b32 v1, v37, 6, v63
	v_lshl_or_b32 v63, v37, 4, v2
	v_and_b32_e32 v2, 0x7c, v4
	v_lshlrev_b32_e32 v51, 16, v55
	v_and_b32_e32 v52, 0xffff0000, v55
	v_lshlrev_b32_e32 v53, 16, v56
	;; [unrolled: 2-line block ×4, first 2 shown]
	v_and_b32_e32 v59, 0xffff0000, v58
	v_add_co_ci_u32_e64 v58, null, s2, 0, s1
	s_lshl_b64 s[2:3], s[20:21], 2
	s_sub_i32 s4, 1, s11
	s_add_u32 s2, s18, s2
	v_add_co_u32 v60, vcc_lo, v7, v6
	v_add_nc_u32_e32 v64, 0xe0, v1
	s_addc_u32 s3, s19, s3
	v_add_co_u32 v1, s2, s2, v2
	v_lshlrev_b32_e32 v8, 16, v12
	v_and_b32_e32 v9, 0xffff0000, v12
	v_lshlrev_b32_e32 v10, 16, v13
	v_and_b32_e32 v11, 0xffff0000, v13
	;; [unrolled: 2-line block ×20, first 2 shown]
	v_add_co_ci_u32_e64 v61, null, 0, v58, vcc_lo
	v_cmp_neq_f32_e64 s1, s24, 0
	v_add_co_ci_u32_e64 v2, null, s3, 0, s2
	v_mov_b32_e32 v6, 0
	v_mov_b32_e32 v7, 32
	;; [unrolled: 1-line block ×3, first 2 shown]
	s_mov_b32 s5, 0
	v_cmp_eq_u32_e32 vcc_lo, 0, v36
	s_branch .LBB138_9
.LBB138_8:                              ;   in Loop: Header=BB138_9 Depth=1
	s_or_b32 exec_lo, exec_lo, s3
	v_add_nc_u32_e32 v65, 4, v65
	v_add_co_u32 v1, s3, v1, 16
	v_add_nc_u32_e32 v63, 64, v63
	v_add_nc_u32_e32 v64, 0x100, v64
	v_cmp_le_i32_e64 s2, s12, v65
	v_add_co_ci_u32_e64 v2, null, 0, v2, s3
	s_or_b32 s5, s2, s5
	s_andn2_b32 exec_lo, exec_lo, s5
	s_cbranch_execz .LBB138_11
.LBB138_9:                              ; =>This Inner Loop Header: Depth=1
	global_load_dword v66, v[1:2], off
	s_waitcnt vmcnt(0) lgkmcnt(0)
	v_mad_i64_i32 v[66:67], null, v66, s15, 0
	v_lshlrev_b64 v[66:67], 1, v[66:67]
	v_add_co_u32 v66, s2, v60, v66
	v_add_co_ci_u32_e64 v67, null, v61, v67, s2
	s_clause 0x6
	global_load_dwordx2 v[68:69], v[66:67], off
	global_load_dwordx2 v[70:71], v[66:67], off offset:256
	global_load_dwordx2 v[72:73], v[66:67], off offset:512
	;; [unrolled: 1-line block ×6, first 2 shown]
	v_add_co_u32 v82, s2, 0x800, v66
	v_add_co_ci_u32_e64 v83, null, 0, v67, s2
	s_clause 0x4
	global_load_dwordx2 v[66:67], v[66:67], off offset:1792
	global_load_dwordx2 v[84:85], v[82:83], off
	global_load_dwordx2 v[86:87], v[82:83], off offset:256
	global_load_dwordx2 v[88:89], v[82:83], off offset:512
	;; [unrolled: 1-line block ×3, first 2 shown]
	s_waitcnt vmcnt(11)
	v_lshlrev_b32_e32 v90, 16, v68
	s_waitcnt vmcnt(10)
	v_lshlrev_b32_e32 v92, 16, v70
	v_and_b32_e32 v70, 0xffff0000, v70
	v_and_b32_e32 v68, 0xffff0000, v68
	v_lshlrev_b32_e32 v93, 16, v71
	v_lshlrev_b32_e32 v91, 16, v69
	v_mul_f32_e32 v92, v12, v92
	v_mul_f32_e32 v70, v13, v70
	v_and_b32_e32 v71, 0xffff0000, v71
	s_waitcnt vmcnt(9)
	v_lshlrev_b32_e32 v94, 16, v72
	v_and_b32_e32 v72, 0xffff0000, v72
	v_mul_f32_e32 v93, v14, v93
	v_fmac_f32_e32 v92, v8, v90
	v_fmac_f32_e32 v70, v9, v68
	v_and_b32_e32 v69, 0xffff0000, v69
	v_lshlrev_b32_e32 v95, 16, v73
	s_waitcnt vmcnt(8)
	v_lshlrev_b32_e32 v96, 16, v74
	v_and_b32_e32 v74, 0xffff0000, v74
	v_mul_f32_e32 v71, v15, v71
	v_fmac_f32_e32 v93, v10, v91
	v_fmac_f32_e32 v92, v16, v94
	v_fmac_f32_e32 v70, v17, v72
	v_and_b32_e32 v73, 0xffff0000, v73
	v_lshlrev_b32_e32 v97, 16, v75
	s_waitcnt vmcnt(7)
	v_lshlrev_b32_e32 v98, 16, v76
	v_and_b32_e32 v76, 0xffff0000, v76
	v_fmac_f32_e32 v71, v11, v69
	v_fmac_f32_e32 v93, v18, v95
	v_fmac_f32_e32 v92, v20, v96
	v_fmac_f32_e32 v70, v21, v74
	v_and_b32_e32 v75, 0xffff0000, v75
	v_lshlrev_b32_e32 v99, 16, v77
	s_waitcnt vmcnt(6)
	v_lshlrev_b32_e32 v100, 16, v78
	v_and_b32_e32 v78, 0xffff0000, v78
	v_fmac_f32_e32 v71, v19, v73
	;; [unrolled: 9-line block ×8, first 2 shown]
	v_fmac_f32_e32 v93, v49, v72
	v_fmac_f32_e32 v92, v51, v73
	;; [unrolled: 1-line block ×3, first 2 shown]
	v_and_b32_e32 v66, 0xffff0000, v89
	v_lshlrev_b32_e32 v68, 16, v83
	v_fmac_f32_e32 v71, v50, v69
	v_fmac_f32_e32 v93, v53, v75
	v_fmac_f32_e32 v92, v55, v76
	v_fmac_f32_e32 v70, v56, v67
	v_fmac_f32_e32 v71, v54, v66
	v_and_b32_e32 v66, 0xffff0000, v83
	v_fmac_f32_e32 v93, v57, v68
	v_add_f32_e32 v67, v92, v70
	v_fmac_f32_e32 v71, v59, v66
	v_add_f32_e32 v66, v67, v93
	v_add_f32_e32 v66, v71, v66
	ds_bpermute_b32 v67, v62, v66
	s_and_saveexec_b32 s3, vcc_lo
	s_cbranch_execz .LBB138_8
; %bb.10:                               ;   in Loop: Header=BB138_9 Depth=1
	v_add_nc_u32_e32 v68, s4, v63
	s_waitcnt lgkmcnt(0)
	v_add_f32_e32 v66, v66, v67
	v_cmp_gt_i32_e64 s2, s11, v63
	v_cvt_f32_i32_e32 v68, v68
	v_mul_f32_e32 v68, s24, v68
	v_cndmask_b32_e64 v67, 0, v68, s1
	v_max_f32_e32 v68, v58, v58
	v_fmac_f32_e32 v67, s25, v66
	v_max_f32_e32 v66, v68, v67
	v_cndmask_b32_e64 v67, 0, v67, s2
	v_cndmask_b32_e64 v58, v58, v66, s2
	ds_write_b32 v64, v67
	s_branch .LBB138_8
.LBB138_11:
	s_or_b32 exec_lo, exec_lo, s5
.LBB138_12:
	s_or_b32 exec_lo, exec_lo, s26
	v_xor_b32_e32 v1, 16, v5
	v_xor_b32_e32 v8, 8, v5
	v_max_f32_e32 v9, v58, v58
	v_xor_b32_e32 v10, 4, v5
	v_and_b32_e32 v38, 31, v0
	v_cmp_lt_i32_e32 vcc_lo, v1, v7
	v_cndmask_b32_e32 v1, v5, v1, vcc_lo
	v_cmp_lt_i32_e32 vcc_lo, v8, v7
	v_lshlrev_b32_e32 v2, 2, v1
	v_cndmask_b32_e32 v8, v5, v8, vcc_lo
	v_cmp_lt_i32_e32 vcc_lo, v10, v7
	ds_bpermute_b32 v1, v2, v58
	v_lshlrev_b32_e32 v8, 2, v8
	v_cndmask_b32_e32 v10, v5, v10, vcc_lo
	s_waitcnt lgkmcnt(0)
	v_max_f32_e32 v1, v1, v1
	v_max_f32_e32 v1, v9, v1
	ds_bpermute_b32 v9, v8, v1
	s_waitcnt lgkmcnt(0)
	v_max_f32_e32 v11, v9, v9
	v_lshlrev_b32_e32 v9, 2, v10
	v_max_f32_e32 v1, v1, v11
	v_xor_b32_e32 v11, 2, v5
	ds_bpermute_b32 v10, v9, v1
	v_cmp_lt_i32_e32 vcc_lo, v11, v7
	v_cndmask_b32_e32 v12, v5, v11, vcc_lo
	v_cmp_eq_u32_e32 vcc_lo, 0, v38
	s_waitcnt lgkmcnt(0)
	v_max_f32_e32 v10, v10, v10
	v_max_f32_e32 v11, v1, v10
	v_lshlrev_b32_e32 v1, 2, v12
	v_lshlrev_b32_e32 v10, 2, v37
	ds_bpermute_b32 v12, v1, v11
	s_and_saveexec_b32 s1, vcc_lo
	s_cbranch_execz .LBB138_14
; %bb.13:
	s_waitcnt lgkmcnt(0)
	v_max_f32_e32 v12, v12, v12
	v_max_f32_e32 v11, v11, v11
	;; [unrolled: 1-line block ×3, first 2 shown]
	ds_write_b32 v10, v11 offset:192
.LBB138_14:
	s_or_b32 exec_lo, exec_lo, s1
	v_cmp_gt_u32_e64 s1, 4, v38
	s_waitcnt lgkmcnt(0)
	v_mov_b32_e32 v12, 0xff7fffff
	v_lshlrev_b32_e32 v11, 2, v38
	s_barrier
	buffer_gl0_inv
	s_and_saveexec_b32 s2, s1
; %bb.15:
	ds_read_b32 v12, v11 offset:192
; %bb.16:
	s_or_b32 exec_lo, exec_lo, s2
	s_waitcnt lgkmcnt(0)
	ds_bpermute_b32 v13, v1, v12
	v_xor_b32_e32 v14, 1, v5
	v_max_f32_e32 v12, v12, v12
	v_lshlrev_b32_e32 v6, 2, v6
	v_cmp_lt_i32_e64 s2, v14, v7
	v_cndmask_b32_e64 v7, v5, v14, s2
	s_lshl_b32 s2, s12, 4
	s_min_i32 s4, s2, s11
	v_lshlrev_b32_e32 v39, 2, v7
	v_cmp_gt_i32_e64 s2, s4, v0
	s_waitcnt lgkmcnt(0)
	v_max_f32_e32 v13, v13, v13
	v_max_f32_e32 v7, v12, v13
	ds_bpermute_b32 v12, v39, v7
	s_waitcnt lgkmcnt(0)
	v_max_f32_e32 v12, v12, v12
	v_max_f32_e32 v7, v7, v12
	ds_bpermute_b32 v12, v6, v7
	v_mov_b32_e32 v7, 0
	v_lshl_add_u32 v6, v0, 2, 0xe0
	s_and_saveexec_b32 s5, s2
	s_cbranch_execz .LBB138_20
; %bb.17:
	v_lshl_add_u32 v13, v0, 2, 0xe0
	v_mov_b32_e32 v7, 0
	v_mov_b32_e32 v14, v0
	s_mov_b32 s15, 0
	.p2align	6
.LBB138_18:                             ; =>This Inner Loop Header: Depth=1
	ds_read_b32 v15, v13
	v_add_nc_u32_e32 v14, 0x80, v14
	v_cmp_le_i32_e64 s3, s4, v14
	s_or_b32 s15, s3, s15
	s_waitcnt lgkmcnt(0)
	v_sub_f32_e32 v15, v15, v12
	v_mul_f32_e32 v15, 0x3fb8aa3b, v15
	v_exp_f32_e32 v15, v15
	ds_write_b32 v13, v15
	v_add_f32_e32 v7, v7, v15
	v_add_nc_u32_e32 v13, 0x200, v13
	s_andn2_b32 exec_lo, exec_lo, s15
	s_cbranch_execnz .LBB138_18
; %bb.19:
	s_or_b32 exec_lo, exec_lo, s15
.LBB138_20:
	s_or_b32 exec_lo, exec_lo, s5
	ds_bpermute_b32 v2, v2, v7
	s_waitcnt lgkmcnt(0)
	v_add_f32_e32 v2, v7, v2
	ds_bpermute_b32 v7, v8, v2
	s_waitcnt lgkmcnt(0)
	v_add_f32_e32 v2, v2, v7
	;; [unrolled: 3-line block ×5, first 2 shown]
	s_and_saveexec_b32 s3, vcc_lo
; %bb.21:
	ds_write_b32 v10, v2 offset:208
; %bb.22:
	s_or_b32 exec_lo, exec_lo, s3
	s_waitcnt lgkmcnt(0)
	s_barrier
	buffer_gl0_inv
	s_and_saveexec_b32 s3, s1
; %bb.23:
	ds_read_b32 v2, v11 offset:208
; %bb.24:
	s_or_b32 exec_lo, exec_lo, s3
	s_waitcnt lgkmcnt(0)
	ds_bpermute_b32 v1, v1, v2
	v_lshlrev_b32_e32 v5, 2, v5
	s_waitcnt lgkmcnt(0)
	v_add_f32_e32 v1, v2, v1
	ds_bpermute_b32 v2, v39, v1
	s_waitcnt lgkmcnt(0)
	v_add_f32_e32 v1, v1, v2
	v_and_b32_e32 v2, 0xffffff80, v5
	ds_bpermute_b32 v1, v2, v1
	s_and_saveexec_b32 s1, s2
	s_cbranch_execz .LBB138_27
; %bb.25:
	s_waitcnt lgkmcnt(0)
	v_add_f32_e32 v1, 0x358637bd, v1
	s_mov_b32 s2, 0
	v_div_scale_f32 v2, null, v1, v1, 1.0
	v_div_scale_f32 v8, vcc_lo, 1.0, v1, 1.0
	v_rcp_f32_e32 v5, v2
	v_fma_f32 v7, -v2, v5, 1.0
	v_fmac_f32_e32 v5, v7, v5
	v_mul_f32_e32 v7, v8, v5
	v_fma_f32 v9, -v2, v7, v8
	v_fmac_f32_e32 v7, v9, v5
	v_fma_f32 v2, -v2, v7, v8
	v_div_fmas_f32 v2, v2, v5, v7
	v_div_fixup_f32 v1, v2, v1, 1.0
	v_mov_b32_e32 v2, v0
.LBB138_26:                             ; =>This Inner Loop Header: Depth=1
	ds_read_b32 v5, v6
	v_add_nc_u32_e32 v2, 0x80, v2
	v_cmp_le_i32_e32 vcc_lo, s4, v2
	s_or_b32 s2, vcc_lo, s2
	s_waitcnt lgkmcnt(0)
	v_mul_f32_e32 v5, v1, v5
	ds_write_b32 v6, v5
	v_add_nc_u32_e32 v6, 0x200, v6
	s_andn2_b32 exec_lo, exec_lo, s2
	s_cbranch_execnz .LBB138_26
.LBB138_27:
	s_or_b32 exec_lo, exec_lo, s1
	v_mov_b32_e32 v44, 0
	v_mov_b32_e32 v45, 0
	;; [unrolled: 1-line block ×6, first 2 shown]
	s_waitcnt lgkmcnt(0)
	s_barrier
	buffer_gl0_inv
	s_and_saveexec_b32 s3, s0
	s_cbranch_execz .LBB138_43
; %bb.28:
	v_lshlrev_b32_e32 v1, 4, v0
	s_ashr_i32 s15, s14, 31
	v_and_b32_e32 v2, 8, v3
	s_lshl_b64 s[0:1], s[14:15], 1
	v_lshlrev_b32_e32 v3, 5, v36
	v_and_b32_e32 v1, 0x1f0, v1
	s_add_u32 s0, s22, s0
	s_addc_u32 s1, s23, s1
	s_add_i32 s4, s12, -1
	v_lshl_or_b32 v3, v37, 6, v3
	v_add_co_u32 v47, s0, s0, v1
	v_and_b32_e32 v1, 0x7c, v4
	v_add_co_ci_u32_e64 v48, null, s1, 0, s0
	s_lshl_b64 s[0:1], s[20:21], 2
	v_mov_b32_e32 v46, 0
	s_add_u32 s0, s18, s0
	s_addc_u32 s1, s19, s1
	v_add_co_u32 v33, s0, s0, v1
	v_lshl_or_b32 v49, v37, 4, v2
	v_add_nc_u32_e32 v50, 0xe0, v3
	v_add_co_ci_u32_e64 v34, null, s1, 0, s0
	v_mov_b32_e32 v40, 0
	v_mov_b32_e32 v41, 0
	;; [unrolled: 1-line block ×7, first 2 shown]
	s_mov_b32 s5, s13
	s_mov_b32 s14, s11
	;; [unrolled: 1-line block ×3, first 2 shown]
	s_branch .LBB138_30
.LBB138_29:                             ;   in Loop: Header=BB138_30 Depth=1
	s_or_b32 exec_lo, exec_lo, s2
	s_waitcnt lgkmcnt(1)
	v_bfe_u32 v52, v25, 16, 1
	v_bfe_u32 v53, v26, 16, 1
	v_or_b32_e32 v54, 0x400000, v25
	v_cmp_u_f32_e32 vcc_lo, v25, v25
	v_or_b32_e32 v55, 0x400000, v26
	v_add3_u32 v52, v52, v25, 0x7fff
	v_bfe_u32 v56, v27, 16, 1
	v_add3_u32 v53, v53, v26, 0x7fff
	v_bfe_u32 v57, v28, 16, 1
	s_waitcnt vmcnt(1)
	v_and_b32_e32 v59, 0xffff0000, v32
	v_cndmask_b32_e32 v25, v52, v54, vcc_lo
	v_cmp_u_f32_e32 vcc_lo, v26, v26
	v_add3_u32 v52, v56, v27, 0x7fff
	v_add3_u32 v54, v57, v28, 0x7fff
	s_waitcnt lgkmcnt(0)
	v_bfe_u32 v56, v21, 16, 1
	v_and_b32_e32 v25, 0xffff0000, v25
	v_cndmask_b32_e32 v26, v53, v55, vcc_lo
	v_or_b32_e32 v53, 0x400000, v27
	v_cmp_u_f32_e32 vcc_lo, v27, v27
	v_or_b32_e32 v55, 0x400000, v28
	v_lshlrev_b32_e32 v32, 16, v32
	v_add_nc_u32_e32 v51, 4, v51
	v_add_co_u32 v33, s0, v33, 16
	v_cndmask_b32_e32 v27, v52, v53, vcc_lo
	v_cmp_u_f32_e32 vcc_lo, v28, v28
	v_bfe_u32 v52, v22, 16, 1
	v_add3_u32 v53, v56, v21, 0x7fff
	v_bfe_u32 v56, v23, 16, 1
	v_add_nc_u32_e32 v49, 64, v49
	v_cndmask_b32_e32 v28, v54, v55, vcc_lo
	v_or_b32_e32 v54, 0x400000, v21
	v_cmp_u_f32_e32 vcc_lo, v21, v21
	v_add3_u32 v52, v52, v22, 0x7fff
	v_or_b32_e32 v55, 0x400000, v22
	v_and_b32_e32 v21, 0xffff0000, v26
	v_and_b32_e32 v26, 0xffff0000, v29
	v_cndmask_b32_e32 v53, v53, v54, vcc_lo
	v_cmp_u_f32_e32 vcc_lo, v22, v22
	v_add3_u32 v22, v56, v23, 0x7fff
	v_bfe_u32 v54, v24, 16, 1
	v_lshlrev_b32_e32 v29, 16, v29
	v_mul_f32_e32 v26, v21, v26
	v_cndmask_b32_e32 v52, v52, v55, vcc_lo
	v_or_b32_e32 v55, 0x400000, v23
	v_cmp_u_f32_e32 vcc_lo, v23, v23
	v_add3_u32 v54, v54, v24, 0x7fff
	v_or_b32_e32 v56, 0x400000, v24
	v_mul_f32_e32 v29, v25, v29
	v_bfe_u32 v23, v26, 16, 1
	v_cndmask_b32_e32 v55, v22, v55, vcc_lo
	v_cmp_u_f32_e32 vcc_lo, v24, v24
	v_and_b32_e32 v22, 0xffff0000, v28
	v_and_b32_e32 v28, 0xffff0000, v30
	v_add3_u32 v23, v23, v26, 0x7fff
	v_or_b32_e32 v57, 0x400000, v29
	v_cndmask_b32_e32 v24, v54, v56, vcc_lo
	v_bfe_u32 v54, v29, 16, 1
	v_or_b32_e32 v56, 0x400000, v26
	v_cmp_u_f32_e32 vcc_lo, v26, v26
	v_mul_f32_e32 v58, v22, v28
	v_and_b32_e32 v28, 0xffff0000, v27
	v_add3_u32 v54, v54, v29, 0x7fff
	v_lshlrev_b32_e32 v27, 16, v30
	v_cndmask_b32_e32 v30, v23, v56, vcc_lo
	v_cmp_u_f32_e32 vcc_lo, v29, v29
	v_and_b32_e32 v23, 0xffff0000, v52
	v_and_b32_e32 v52, 0xffff0000, v31
	v_mul_f32_e32 v27, v28, v27
	v_and_b32_e32 v26, 0xffff0000, v53
	v_cndmask_b32_e32 v29, v54, v57, vcc_lo
	v_bfe_u32 v54, v58, 16, 1
	v_lshlrev_b32_e32 v31, 16, v31
	v_bfe_u32 v56, v27, 16, 1
	v_mul_f32_e32 v52, v23, v52
	v_cmp_u_f32_e32 vcc_lo, v58, v58
	v_add3_u32 v53, v54, v58, 0x7fff
	v_or_b32_e32 v54, 0x400000, v58
	v_mul_f32_e32 v31, v26, v31
	v_bfe_u32 v57, v52, 16, 1
	v_and_b32_e32 v24, 0xffff0000, v24
	v_and_b32_e32 v29, 0xffff0000, v29
	v_cndmask_b32_e32 v53, v53, v54, vcc_lo
	v_add3_u32 v54, v56, v27, 0x7fff
	v_or_b32_e32 v56, 0x400000, v27
	v_cmp_u_f32_e32 vcc_lo, v27, v27
	v_bfe_u32 v58, v31, 16, 1
	v_mul_f32_e32 v59, v24, v59
	v_and_b32_e32 v27, 0xffff0000, v55
	v_or_b32_e32 v55, 0x400000, v31
	v_cndmask_b32_e32 v54, v54, v56, vcc_lo
	v_add3_u32 v56, v57, v52, 0x7fff
	v_or_b32_e32 v57, 0x400000, v52
	v_cmp_u_f32_e32 vcc_lo, v52, v52
	v_add3_u32 v58, v58, v31, 0x7fff
	v_bfe_u32 v60, v59, 16, 1
	v_mul_f32_e32 v32, v27, v32
	v_and_b32_e32 v30, 0xffff0000, v30
	v_cndmask_b32_e32 v52, v56, v57, vcc_lo
	v_cmp_u_f32_e32 vcc_lo, v31, v31
	v_or_b32_e32 v56, 0x400000, v59
	v_bfe_u32 v57, v32, 16, 1
	v_and_b32_e32 v54, 0xffff0000, v54
	v_and_b32_e32 v53, 0xffff0000, v53
	v_cndmask_b32_e32 v31, v58, v55, vcc_lo
	v_add3_u32 v55, v60, v59, 0x7fff
	v_cmp_u_f32_e32 vcc_lo, v59, v59
	v_add_f32_e32 v29, v29, v30
	v_add_f32_e32 v30, v54, v53
	v_and_b32_e32 v53, 0xffff0000, v17
	v_and_b32_e32 v31, 0xffff0000, v31
	v_cndmask_b32_e32 v55, v55, v56, vcc_lo
	v_add3_u32 v56, v57, v32, 0x7fff
	v_or_b32_e32 v57, 0x400000, v32
	v_cmp_u_f32_e32 vcc_lo, v32, v32
	v_and_b32_e32 v52, 0xffff0000, v52
	v_lshlrev_b32_e32 v17, 16, v17
	v_add_f32_e32 v29, v30, v29
	v_mul_f32_e32 v30, v21, v53
	v_cndmask_b32_e32 v32, v56, v57, vcc_lo
	v_add_f32_e32 v31, v31, v52
	v_mul_f32_e32 v17, v25, v17
	v_and_b32_e32 v52, 0xffff0000, v55
	v_bfe_u32 v53, v30, 16, 1
	v_and_b32_e32 v32, 0xffff0000, v32
	v_add_f32_e32 v29, v31, v29
	v_bfe_u32 v31, v17, 16, 1
	v_and_b32_e32 v54, 0xffff0000, v18
	v_cmp_u_f32_e32 vcc_lo, v30, v30
	v_add_f32_e32 v32, v32, v52
	v_add3_u32 v52, v53, v30, 0x7fff
	v_or_b32_e32 v53, 0x400000, v30
	v_add3_u32 v31, v31, v17, 0x7fff
	v_mul_f32_e32 v54, v22, v54
	v_or_b32_e32 v55, 0x400000, v17
	v_lshlrev_b32_e32 v18, 16, v18
	v_cndmask_b32_e32 v30, v52, v53, vcc_lo
	v_cmp_u_f32_e32 vcc_lo, v17, v17
	v_bfe_u32 v52, v54, 16, 1
	v_or_b32_e32 v53, 0x400000, v54
	v_mul_f32_e32 v18, v28, v18
	v_and_b32_e32 v56, 0xffff0000, v20
	v_cndmask_b32_e32 v17, v31, v55, vcc_lo
	v_and_b32_e32 v31, 0xffff0000, v19
	v_add3_u32 v52, v52, v54, 0x7fff
	v_lshlrev_b32_e32 v19, 16, v19
	v_bfe_u32 v55, v18, 16, 1
	v_cmp_u_f32_e32 vcc_lo, v54, v54
	v_mul_f32_e32 v31, v23, v31
	v_or_b32_e32 v54, 0x400000, v18
	v_mul_f32_e32 v19, v26, v19
	v_lshlrev_b32_e32 v20, 16, v20
	v_cndmask_b32_e32 v52, v52, v53, vcc_lo
	v_add3_u32 v53, v55, v18, 0x7fff
	v_bfe_u32 v55, v31, 16, 1
	v_cmp_u_f32_e32 vcc_lo, v18, v18
	v_bfe_u32 v57, v19, 16, 1
	v_mul_f32_e32 v20, v27, v20
	v_and_b32_e32 v17, 0xffff0000, v17
	v_and_b32_e32 v30, 0xffff0000, v30
	v_cndmask_b32_e32 v18, v53, v54, vcc_lo
	v_add3_u32 v53, v55, v31, 0x7fff
	v_mul_f32_e32 v54, v24, v56
	v_or_b32_e32 v55, 0x400000, v31
	v_cmp_u_f32_e32 vcc_lo, v31, v31
	v_add3_u32 v56, v57, v19, 0x7fff
	v_or_b32_e32 v57, 0x400000, v19
	v_bfe_u32 v58, v54, 16, 1
	v_and_b32_e32 v18, 0xffff0000, v18
	v_cndmask_b32_e32 v31, v53, v55, vcc_lo
	v_cmp_u_f32_e32 vcc_lo, v19, v19
	v_or_b32_e32 v55, 0x400000, v54
	v_add3_u32 v53, v58, v54, 0x7fff
	v_and_b32_e32 v52, 0xffff0000, v52
	v_add_f32_e32 v17, v17, v30
	v_cndmask_b32_e32 v19, v56, v57, vcc_lo
	v_bfe_u32 v56, v20, 16, 1
	v_cmp_u_f32_e32 vcc_lo, v54, v54
	v_add_f32_e32 v18, v18, v52
	v_and_b32_e32 v30, 0xffff0000, v31
	v_and_b32_e32 v19, 0xffff0000, v19
	v_add3_u32 v54, v56, v20, 0x7fff
	v_cndmask_b32_e32 v53, v53, v55, vcc_lo
	v_or_b32_e32 v55, 0x400000, v20
	v_cmp_u_f32_e32 vcc_lo, v20, v20
	v_add_f32_e32 v17, v18, v17
	v_and_b32_e32 v18, 0xffff0000, v13
	v_add_f32_e32 v19, v19, v30
	v_lshlrev_b32_e32 v13, 16, v13
	v_cndmask_b32_e32 v20, v54, v55, vcc_lo
	v_and_b32_e32 v30, 0xffff0000, v53
	v_mul_f32_e32 v18, v21, v18
	v_add_f32_e32 v29, v32, v29
	v_mul_f32_e32 v31, v25, v13
	v_and_b32_e32 v20, 0xffff0000, v20
	v_add_f32_e32 v13, v19, v17
	v_bfe_u32 v19, v18, 16, 1
	v_add_f32_e32 v41, v41, v29
	v_and_b32_e32 v29, 0xffff0000, v14
	v_add_f32_e32 v17, v20, v30
	v_bfe_u32 v20, v31, 16, 1
	v_cmp_u_f32_e32 vcc_lo, v18, v18
	v_or_b32_e32 v30, 0x400000, v31
	v_mul_f32_e32 v29, v22, v29
	v_add_f32_e32 v13, v17, v13
	v_add3_u32 v17, v19, v18, 0x7fff
	v_or_b32_e32 v19, 0x400000, v18
	v_add3_u32 v20, v20, v31, 0x7fff
	v_lshlrev_b32_e32 v14, 16, v14
	v_bfe_u32 v18, v29, 16, 1
	v_and_b32_e32 v32, 0xffff0000, v16
	v_cndmask_b32_e32 v17, v17, v19, vcc_lo
	v_cmp_u_f32_e32 vcc_lo, v31, v31
	v_mul_f32_e32 v14, v28, v14
	v_add3_u32 v18, v18, v29, 0x7fff
	v_lshlrev_b32_e32 v16, 16, v16
	v_and_b32_e32 v17, 0xffff0000, v17
	v_cndmask_b32_e32 v19, v20, v30, vcc_lo
	v_and_b32_e32 v20, 0xffff0000, v15
	v_or_b32_e32 v30, 0x400000, v29
	v_lshlrev_b32_e32 v15, 16, v15
	v_bfe_u32 v31, v14, 16, 1
	v_cmp_u_f32_e32 vcc_lo, v29, v29
	v_mul_f32_e32 v20, v23, v20
	v_mul_f32_e32 v16, v27, v16
	;; [unrolled: 1-line block ×3, first 2 shown]
	v_add3_u32 v29, v31, v14, 0x7fff
	v_cndmask_b32_e32 v18, v18, v30, vcc_lo
	v_or_b32_e32 v30, 0x400000, v14
	v_bfe_u32 v31, v20, 16, 1
	v_cmp_u_f32_e32 vcc_lo, v14, v14
	v_bfe_u32 v52, v15, 16, 1
	v_and_b32_e32 v19, 0xffff0000, v19
	v_and_b32_e32 v18, 0xffff0000, v18
	v_add_f32_e32 v42, v42, v13
	v_cndmask_b32_e32 v14, v29, v30, vcc_lo
	v_add3_u32 v29, v31, v20, 0x7fff
	v_mul_f32_e32 v30, v24, v32
	v_or_b32_e32 v31, 0x400000, v20
	v_cmp_u_f32_e32 vcc_lo, v20, v20
	v_add3_u32 v32, v52, v15, 0x7fff
	v_or_b32_e32 v52, 0x400000, v15
	v_bfe_u32 v53, v30, 16, 1
	v_and_b32_e32 v14, 0xffff0000, v14
	v_cndmask_b32_e32 v20, v29, v31, vcc_lo
	v_cmp_u_f32_e32 vcc_lo, v15, v15
	v_or_b32_e32 v31, 0x400000, v30
	v_add3_u32 v29, v53, v30, 0x7fff
	v_add_f32_e32 v17, v19, v17
	v_add_f32_e32 v14, v14, v18
	v_cndmask_b32_e32 v15, v32, v52, vcc_lo
	v_bfe_u32 v32, v16, 16, 1
	v_cmp_u_f32_e32 vcc_lo, v30, v30
	v_and_b32_e32 v19, 0xffff0000, v5
	v_and_b32_e32 v18, 0xffff0000, v20
	;; [unrolled: 1-line block ×3, first 2 shown]
	v_add3_u32 v30, v32, v16, 0x7fff
	v_cndmask_b32_e32 v29, v29, v31, vcc_lo
	v_or_b32_e32 v31, 0x400000, v16
	v_cmp_u_f32_e32 vcc_lo, v16, v16
	v_lshlrev_b32_e32 v5, 16, v5
	v_add_f32_e32 v14, v14, v17
	v_mul_f32_e32 v17, v21, v19
	v_add_f32_e32 v15, v15, v18
	v_cndmask_b32_e32 v16, v30, v31, vcc_lo
	v_mul_f32_e32 v18, v25, v5
	v_and_b32_e32 v19, 0xffff0000, v29
	v_and_b32_e32 v20, 0xffff0000, v6
	v_bfe_u32 v29, v17, 16, 1
	v_and_b32_e32 v16, 0xffff0000, v16
	v_add_f32_e32 v5, v15, v14
	v_bfe_u32 v15, v18, 16, 1
	v_cmp_u_f32_e32 vcc_lo, v17, v17
	v_lshlrev_b32_e32 v6, 16, v6
	v_add_f32_e32 v14, v16, v19
	v_mul_f32_e32 v16, v22, v20
	v_add3_u32 v19, v29, v17, 0x7fff
	v_or_b32_e32 v20, 0x400000, v17
	v_add3_u32 v15, v15, v18, 0x7fff
	v_or_b32_e32 v29, 0x400000, v18
	v_bfe_u32 v30, v16, 16, 1
	v_mul_f32_e32 v6, v28, v6
	v_cndmask_b32_e32 v17, v19, v20, vcc_lo
	v_cmp_u_f32_e32 vcc_lo, v18, v18
	v_or_b32_e32 v19, 0x400000, v16
	v_add3_u32 v18, v30, v16, 0x7fff
	v_and_b32_e32 v20, 0xffff0000, v7
	v_lshlrev_b32_e32 v7, 16, v7
	v_cndmask_b32_e32 v15, v15, v29, vcc_lo
	v_cmp_u_f32_e32 vcc_lo, v16, v16
	v_bfe_u32 v29, v6, 16, 1
	v_and_b32_e32 v17, 0xffff0000, v17
	v_mul_f32_e32 v7, v26, v7
	v_and_b32_e32 v15, 0xffff0000, v15
	v_cndmask_b32_e32 v16, v18, v19, vcc_lo
	v_mul_f32_e32 v18, v23, v20
	v_add3_u32 v19, v29, v6, 0x7fff
	v_or_b32_e32 v20, 0x400000, v6
	v_and_b32_e32 v29, 0xffff0000, v8
	v_cmp_u_f32_e32 vcc_lo, v6, v6
	v_bfe_u32 v30, v18, 16, 1
	v_bfe_u32 v31, v7, 16, 1
	v_lshlrev_b32_e32 v8, 16, v8
	v_and_b32_e32 v16, 0xffff0000, v16
	v_cndmask_b32_e32 v6, v19, v20, vcc_lo
	v_mul_f32_e32 v19, v24, v29
	v_add3_u32 v20, v30, v18, 0x7fff
	v_or_b32_e32 v29, 0x400000, v18
	v_cmp_u_f32_e32 vcc_lo, v18, v18
	v_add3_u32 v30, v31, v7, 0x7fff
	v_or_b32_e32 v31, 0x400000, v7
	v_bfe_u32 v32, v19, 16, 1
	v_and_b32_e32 v6, 0xffff0000, v6
	v_cndmask_b32_e32 v18, v20, v29, vcc_lo
	v_cmp_u_f32_e32 vcc_lo, v7, v7
	v_or_b32_e32 v29, 0x400000, v19
	v_add3_u32 v20, v32, v19, 0x7fff
	v_mul_f32_e32 v8, v27, v8
	v_add_f32_e32 v15, v15, v17
	v_cndmask_b32_e32 v7, v30, v31, vcc_lo
	v_cmp_u_f32_e32 vcc_lo, v19, v19
	v_add_f32_e32 v6, v6, v16
	v_and_b32_e32 v16, 0xffff0000, v1
	v_and_b32_e32 v17, 0xffff0000, v18
	;; [unrolled: 1-line block ×3, first 2 shown]
	v_cndmask_b32_e32 v19, v20, v29, vcc_lo
	v_bfe_u32 v20, v8, 16, 1
	v_add_f32_e32 v6, v6, v15
	v_mul_f32_e32 v15, v21, v16
	v_add_f32_e32 v7, v7, v17
	v_lshlrev_b32_e32 v1, 16, v1
	v_add3_u32 v18, v20, v8, 0x7fff
	v_or_b32_e32 v20, 0x400000, v8
	v_cmp_u_f32_e32 vcc_lo, v8, v8
	v_bfe_u32 v16, v15, 16, 1
	v_add_f32_e32 v6, v7, v6
	v_and_b32_e32 v7, 0xffff0000, v2
	v_mul_f32_e32 v1, v25, v1
	v_cndmask_b32_e32 v8, v18, v20, vcc_lo
	v_add3_u32 v16, v16, v15, 0x7fff
	v_or_b32_e32 v17, 0x400000, v15
	v_mul_f32_e32 v7, v22, v7
	v_and_b32_e32 v18, 0xffff0000, v19
	v_bfe_u32 v19, v1, 16, 1
	v_cmp_u_f32_e32 vcc_lo, v15, v15
	v_lshlrev_b32_e32 v2, 16, v2
	v_or_b32_e32 v20, 0x400000, v1
	v_or_b32_e32 v29, 0x400000, v7
	v_and_b32_e32 v8, 0xffff0000, v8
	v_cndmask_b32_e32 v15, v16, v17, vcc_lo
	v_bfe_u32 v16, v7, 16, 1
	v_add3_u32 v17, v19, v1, 0x7fff
	v_and_b32_e32 v19, 0xffff0000, v3
	v_mul_f32_e32 v2, v28, v2
	v_cmp_u_f32_e32 vcc_lo, v1, v1
	v_add3_u32 v16, v16, v7, 0x7fff
	v_lshlrev_b32_e32 v3, 16, v3
	v_mul_f32_e32 v19, v23, v19
	v_and_b32_e32 v15, 0xffff0000, v15
	v_cndmask_b32_e32 v1, v17, v20, vcc_lo
	v_bfe_u32 v17, v2, 16, 1
	v_cmp_u_f32_e32 vcc_lo, v7, v7
	v_and_b32_e32 v20, 0xffff0000, v4
	v_mul_f32_e32 v3, v26, v3
	v_or_b32_e32 v30, 0x400000, v19
	v_add3_u32 v17, v17, v2, 0x7fff
	v_cndmask_b32_e32 v7, v16, v29, vcc_lo
	v_bfe_u32 v16, v19, 16, 1
	v_or_b32_e32 v29, 0x400000, v2
	v_cmp_u_f32_e32 vcc_lo, v2, v2
	v_mul_f32_e32 v20, v24, v20
	v_lshlrev_b32_e32 v4, 16, v4
	v_add3_u32 v16, v16, v19, 0x7fff
	v_and_b32_e32 v1, 0xffff0000, v1
	v_cndmask_b32_e32 v2, v17, v29, vcc_lo
	v_bfe_u32 v17, v3, 16, 1
	v_cmp_u_f32_e32 vcc_lo, v19, v19
	v_bfe_u32 v29, v20, 16, 1
	v_or_b32_e32 v19, 0x400000, v3
	v_mul_f32_e32 v4, v27, v4
	v_add3_u32 v17, v17, v3, 0x7fff
	v_cndmask_b32_e32 v16, v16, v30, vcc_lo
	v_cmp_u_f32_e32 vcc_lo, v3, v3
	v_add3_u32 v29, v29, v20, 0x7fff
	v_or_b32_e32 v30, 0x400000, v20
	v_and_b32_e32 v2, 0xffff0000, v2
	v_and_b32_e32 v7, 0xffff0000, v7
	v_cndmask_b32_e32 v3, v17, v19, vcc_lo
	v_cmp_u_f32_e32 vcc_lo, v20, v20
	v_bfe_u32 v19, v4, 16, 1
	v_add_f32_e32 v1, v1, v15
	v_add_f32_e32 v2, v2, v7
	v_and_b32_e32 v3, 0xffff0000, v3
	v_cndmask_b32_e32 v17, v29, v30, vcc_lo
	s_waitcnt vmcnt(0)
	v_lshlrev_b32_e32 v29, 16, v9
	v_and_b32_e32 v7, 0xffff0000, v16
	v_and_b32_e32 v9, 0xffff0000, v9
	v_add3_u32 v19, v19, v4, 0x7fff
	v_or_b32_e32 v20, 0x400000, v4
	v_mul_f32_e32 v15, v25, v29
	v_cmp_u_f32_e32 vcc_lo, v4, v4
	v_add_f32_e32 v1, v2, v1
	v_add_f32_e32 v3, v3, v7
	v_mul_f32_e32 v7, v21, v9
	v_bfe_u32 v2, v15, 16, 1
	v_lshlrev_b32_e32 v9, 16, v10
	v_cndmask_b32_e32 v4, v19, v20, vcc_lo
	v_or_b32_e32 v16, 0x400000, v15
	v_bfe_u32 v19, v7, 16, 1
	v_add3_u32 v2, v2, v15, 0x7fff
	v_mul_f32_e32 v9, v28, v9
	v_and_b32_e32 v10, 0xffff0000, v10
	v_cmp_u_f32_e32 vcc_lo, v15, v15
	v_add3_u32 v15, v19, v7, 0x7fff
	v_lshlrev_b32_e32 v20, 16, v11
	v_bfe_u32 v19, v9, 16, 1
	v_mul_f32_e32 v10, v22, v10
	v_cndmask_b32_e32 v2, v2, v16, vcc_lo
	v_or_b32_e32 v16, 0x400000, v7
	v_cmp_u_f32_e32 vcc_lo, v7, v7
	v_mul_f32_e32 v20, v26, v20
	v_and_b32_e32 v11, 0xffff0000, v11
	v_lshlrev_b32_e32 v21, 16, v12
	v_and_b32_e32 v12, 0xffff0000, v12
	v_cndmask_b32_e32 v7, v15, v16, vcc_lo
	v_add3_u32 v15, v19, v9, 0x7fff
	v_or_b32_e32 v16, 0x400000, v9
	v_bfe_u32 v19, v10, 16, 1
	v_cmp_u_f32_e32 vcc_lo, v9, v9
	v_mul_f32_e32 v11, v23, v11
	v_mul_f32_e32 v12, v24, v12
	v_and_b32_e32 v7, 0xffff0000, v7
	v_and_b32_e32 v2, 0xffff0000, v2
	v_cndmask_b32_e32 v9, v15, v16, vcc_lo
	v_add3_u32 v15, v19, v10, 0x7fff
	v_or_b32_e32 v16, 0x400000, v10
	v_bfe_u32 v19, v20, 16, 1
	v_cmp_u_f32_e32 vcc_lo, v10, v10
	v_or_b32_e32 v22, 0x400000, v11
	v_bfe_u32 v24, v12, 16, 1
	v_and_b32_e32 v9, 0xffff0000, v9
	v_add_f32_e32 v2, v2, v7
	v_cndmask_b32_e32 v10, v15, v16, vcc_lo
	v_bfe_u32 v15, v11, 16, 1
	v_add3_u32 v16, v19, v20, 0x7fff
	v_mul_f32_e32 v19, v27, v21
	v_or_b32_e32 v21, 0x400000, v20
	v_cmp_u_f32_e32 vcc_lo, v20, v20
	v_add3_u32 v15, v15, v11, 0x7fff
	v_add3_u32 v20, v24, v12, 0x7fff
	v_bfe_u32 v23, v19, 16, 1
	v_and_b32_e32 v10, 0xffff0000, v10
	v_cndmask_b32_e32 v16, v16, v21, vcc_lo
	v_cmp_u_f32_e32 vcc_lo, v11, v11
	v_or_b32_e32 v21, 0x400000, v12
	v_and_b32_e32 v4, 0xffff0000, v4
	v_add_f32_e32 v7, v9, v10
	v_and_b32_e32 v10, 0xffff0000, v16
	v_cndmask_b32_e32 v11, v15, v22, vcc_lo
	v_cmp_u_f32_e32 vcc_lo, v12, v12
	v_add3_u32 v15, v23, v19, 0x7fff
	v_or_b32_e32 v22, 0x400000, v19
	v_add_f32_e32 v2, v7, v2
	v_and_b32_e32 v9, 0xffff0000, v11
	v_cndmask_b32_e32 v12, v20, v21, vcc_lo
	v_cmp_u_f32_e32 vcc_lo, v19, v19
	v_add_f32_e32 v8, v8, v18
	v_add_f32_e32 v1, v3, v1
	v_add_f32_e32 v7, v10, v9
	v_and_b32_e32 v9, 0xffff0000, v12
	v_cndmask_b32_e32 v11, v15, v22, vcc_lo
	v_and_b32_e32 v15, 0xffff0000, v17
	v_add_f32_e32 v5, v14, v5
	v_add_f32_e32 v2, v7, v2
	;; [unrolled: 1-line block ×3, first 2 shown]
	v_and_b32_e32 v10, 0xffff0000, v11
	v_add_f32_e32 v3, v4, v15
	v_cmp_le_i32_e32 vcc_lo, s12, v51
	v_add_f32_e32 v43, v43, v5
	v_add_f32_e32 v45, v45, v6
	;; [unrolled: 1-line block ×4, first 2 shown]
	v_add_nc_u32_e32 v50, 0x100, v50
	v_add_co_ci_u32_e64 v34, null, 0, v34, s0
	v_add_f32_e32 v2, v4, v2
	v_add_f32_e32 v44, v44, v1
	s_or_b32 s13, vcc_lo, s13
	v_add_f32_e32 v40, v40, v2
	s_andn2_b32 exec_lo, exec_lo, s13
	s_cbranch_execz .LBB138_42
.LBB138_30:                             ; =>This Inner Loop Header: Depth=1
	global_load_dword v1, v[33:34], off
	v_cmp_eq_u32_e64 s0, s4, v51
	v_add_nc_u32_e32 v58, 1, v49
	v_or_b32_e32 v56, 3, v49
	v_or_b32_e32 v57, 2, v49
	;; [unrolled: 1-line block ×6, first 2 shown]
	s_waitcnt vmcnt(0)
	v_mad_i64_i32 v[1:2], null, v1, s5, 0
	v_lshlrev_b64 v[1:2], 1, v[1:2]
	v_add_co_u32 v9, vcc_lo, v47, v1
	v_add_co_ci_u32_e64 v10, null, v48, v2, vcc_lo
	global_load_dwordx4 v[1:4], v[9:10], off
	ds_read2_b64 v[25:28], v50 offset1:1
	ds_read2_b64 v[21:24], v50 offset0:2 offset1:3
	s_and_saveexec_b32 s15, s0
	s_cbranch_execnz .LBB138_39
; %bb.31:                               ;   in Loop: Header=BB138_30 Depth=1
	s_or_b32 exec_lo, exec_lo, s15
	global_load_dwordx4 v[5:8], v[9:10], off offset:512
	s_and_saveexec_b32 s15, s0
	s_cbranch_execnz .LBB138_40
.LBB138_32:                             ;   in Loop: Header=BB138_30 Depth=1
	s_or_b32 exec_lo, exec_lo, s15
	global_load_dwordx4 v[13:16], v[9:10], off offset:1024
	s_and_saveexec_b32 s15, s0
	s_cbranch_execnz .LBB138_41
.LBB138_33:                             ;   in Loop: Header=BB138_30 Depth=1
	s_or_b32 exec_lo, exec_lo, s15
	global_load_dwordx4 v[17:20], v[9:10], off offset:1536
	s_and_saveexec_b32 s15, s0
	s_cbranch_execz .LBB138_35
.LBB138_34:                             ;   in Loop: Header=BB138_30 Depth=1
	v_cmp_gt_i32_e64 s1, s11, v49
	v_cmp_gt_i32_e32 vcc_lo, s14, v58
	v_cmp_gt_i32_e64 s2, s11, v57
	s_waitcnt vmcnt(0)
	v_cndmask_b32_e64 v11, 0, v17, s1
	v_cmp_gt_i32_e64 s1, s14, v56
	v_cndmask_b32_sdwa v17, v46, v17, vcc_lo dst_sel:DWORD dst_unused:UNUSED_PAD src0_sel:DWORD src1_sel:WORD_1
	v_cndmask_b32_e64 v12, 0, v18, s2
	v_cmp_gt_i32_e64 s2, s14, v55
	s_mov_b32 vcc_lo, s1
	v_cmp_gt_i32_e64 s1, s14, v53
	v_cndmask_b32_sdwa v18, v46, v18, vcc_lo dst_sel:DWORD dst_unused:UNUSED_PAD src0_sel:DWORD src1_sel:WORD_1
	v_cmp_gt_i32_e32 vcc_lo, s11, v54
	v_perm_b32 v17, v17, v11, 0x5040100
	v_perm_b32 v18, v18, v12, 0x5040100
	v_cndmask_b32_e32 v29, 0, v19, vcc_lo
	s_mov_b32 vcc_lo, s2
	v_cndmask_b32_sdwa v19, v46, v19, vcc_lo dst_sel:DWORD dst_unused:UNUSED_PAD src0_sel:DWORD src1_sel:WORD_1
	v_cmp_gt_i32_e32 vcc_lo, s11, v52
	v_perm_b32 v19, v19, v29, 0x5040100
	v_cndmask_b32_e32 v30, 0, v20, vcc_lo
	s_mov_b32 vcc_lo, s1
	v_cndmask_b32_sdwa v20, v46, v20, vcc_lo dst_sel:DWORD dst_unused:UNUSED_PAD src0_sel:DWORD src1_sel:WORD_1
	v_perm_b32 v20, v20, v30, 0x5040100
.LBB138_35:                             ;   in Loop: Header=BB138_30 Depth=1
	s_or_b32 exec_lo, exec_lo, s15
	v_add_co_u32 v9, vcc_lo, 0x800, v9
	v_add_co_ci_u32_e64 v10, null, 0, v10, vcc_lo
	global_load_dwordx4 v[29:32], v[9:10], off
	s_and_saveexec_b32 s15, s0
	s_cbranch_execz .LBB138_37
; %bb.36:                               ;   in Loop: Header=BB138_30 Depth=1
	v_cmp_gt_i32_e64 s1, s11, v49
	v_cmp_gt_i32_e32 vcc_lo, s14, v58
	v_cmp_gt_i32_e64 s2, s11, v57
	s_waitcnt vmcnt(0)
	v_cndmask_b32_e64 v11, 0, v29, s1
	v_cmp_gt_i32_e64 s1, s14, v56
	v_cndmask_b32_sdwa v29, v46, v29, vcc_lo dst_sel:DWORD dst_unused:UNUSED_PAD src0_sel:DWORD src1_sel:WORD_1
	v_cndmask_b32_e64 v12, 0, v30, s2
	v_cmp_gt_i32_e64 s2, s14, v55
	s_mov_b32 vcc_lo, s1
	v_cmp_gt_i32_e64 s1, s14, v53
	v_cndmask_b32_sdwa v30, v46, v30, vcc_lo dst_sel:DWORD dst_unused:UNUSED_PAD src0_sel:DWORD src1_sel:WORD_1
	v_cmp_gt_i32_e32 vcc_lo, s11, v54
	v_perm_b32 v29, v29, v11, 0x5040100
	v_perm_b32 v30, v30, v12, 0x5040100
	v_cndmask_b32_e32 v59, 0, v31, vcc_lo
	s_mov_b32 vcc_lo, s2
	v_cndmask_b32_sdwa v31, v46, v31, vcc_lo dst_sel:DWORD dst_unused:UNUSED_PAD src0_sel:DWORD src1_sel:WORD_1
	v_cmp_gt_i32_e32 vcc_lo, s11, v52
	v_perm_b32 v31, v31, v59, 0x5040100
	v_cndmask_b32_e32 v60, 0, v32, vcc_lo
	s_mov_b32 vcc_lo, s1
	v_cndmask_b32_sdwa v32, v46, v32, vcc_lo dst_sel:DWORD dst_unused:UNUSED_PAD src0_sel:DWORD src1_sel:WORD_1
	v_perm_b32 v32, v32, v60, 0x5040100
.LBB138_37:                             ;   in Loop: Header=BB138_30 Depth=1
	s_or_b32 exec_lo, exec_lo, s15
	global_load_dwordx4 v[9:12], v[9:10], off offset:512
	s_and_saveexec_b32 s2, s0
	s_cbranch_execz .LBB138_29
; %bb.38:                               ;   in Loop: Header=BB138_30 Depth=1
	v_cmp_gt_i32_e64 s0, s11, v49
	v_cmp_gt_i32_e32 vcc_lo, s14, v58
	v_cmp_gt_i32_e64 s1, s11, v57
	s_waitcnt vmcnt(0)
	v_cndmask_b32_e64 v58, 0, v9, s0
	v_cmp_gt_i32_e64 s0, s14, v56
	v_cndmask_b32_sdwa v9, v46, v9, vcc_lo dst_sel:DWORD dst_unused:UNUSED_PAD src0_sel:DWORD src1_sel:WORD_1
	v_cndmask_b32_e64 v56, 0, v10, s1
	v_cmp_gt_i32_e64 s1, s14, v55
	s_mov_b32 vcc_lo, s0
	v_cmp_gt_i32_e64 s0, s14, v53
	v_cndmask_b32_sdwa v10, v46, v10, vcc_lo dst_sel:DWORD dst_unused:UNUSED_PAD src0_sel:DWORD src1_sel:WORD_1
	v_cmp_gt_i32_e32 vcc_lo, s11, v54
	v_perm_b32 v9, v9, v58, 0x5040100
	v_perm_b32 v10, v10, v56, 0x5040100
	v_cndmask_b32_e32 v54, 0, v11, vcc_lo
	s_mov_b32 vcc_lo, s1
	v_cndmask_b32_sdwa v11, v46, v11, vcc_lo dst_sel:DWORD dst_unused:UNUSED_PAD src0_sel:DWORD src1_sel:WORD_1
	v_cmp_gt_i32_e32 vcc_lo, s11, v52
	v_perm_b32 v11, v11, v54, 0x5040100
	v_cndmask_b32_e32 v52, 0, v12, vcc_lo
	s_mov_b32 vcc_lo, s0
	v_cndmask_b32_sdwa v12, v46, v12, vcc_lo dst_sel:DWORD dst_unused:UNUSED_PAD src0_sel:DWORD src1_sel:WORD_1
	v_perm_b32 v12, v12, v52, 0x5040100
	s_branch .LBB138_29
.LBB138_39:                             ;   in Loop: Header=BB138_30 Depth=1
	v_cmp_gt_i32_e64 s1, s11, v49
	v_cmp_gt_i32_e32 vcc_lo, s14, v58
	v_cmp_gt_i32_e64 s2, s11, v57
	s_waitcnt vmcnt(0)
	v_cndmask_b32_e64 v5, 0, v1, s1
	v_cmp_gt_i32_e64 s1, s14, v56
	v_cndmask_b32_sdwa v1, v46, v1, vcc_lo dst_sel:DWORD dst_unused:UNUSED_PAD src0_sel:DWORD src1_sel:WORD_1
	v_cndmask_b32_e64 v6, 0, v2, s2
	v_cmp_gt_i32_e64 s2, s14, v55
	s_mov_b32 vcc_lo, s1
	v_cmp_gt_i32_e64 s1, s14, v53
	v_cndmask_b32_sdwa v2, v46, v2, vcc_lo dst_sel:DWORD dst_unused:UNUSED_PAD src0_sel:DWORD src1_sel:WORD_1
	v_cmp_gt_i32_e32 vcc_lo, s11, v54
	v_perm_b32 v1, v1, v5, 0x5040100
	v_perm_b32 v2, v2, v6, 0x5040100
	v_cndmask_b32_e32 v7, 0, v3, vcc_lo
	s_mov_b32 vcc_lo, s2
	v_cndmask_b32_sdwa v3, v46, v3, vcc_lo dst_sel:DWORD dst_unused:UNUSED_PAD src0_sel:DWORD src1_sel:WORD_1
	v_cmp_gt_i32_e32 vcc_lo, s11, v52
	v_perm_b32 v3, v3, v7, 0x5040100
	v_cndmask_b32_e32 v8, 0, v4, vcc_lo
	s_mov_b32 vcc_lo, s1
	v_cndmask_b32_sdwa v4, v46, v4, vcc_lo dst_sel:DWORD dst_unused:UNUSED_PAD src0_sel:DWORD src1_sel:WORD_1
	v_perm_b32 v4, v4, v8, 0x5040100
	s_or_b32 exec_lo, exec_lo, s15
	global_load_dwordx4 v[5:8], v[9:10], off offset:512
	s_and_saveexec_b32 s15, s0
	s_cbranch_execz .LBB138_32
.LBB138_40:                             ;   in Loop: Header=BB138_30 Depth=1
	v_cmp_gt_i32_e64 s1, s11, v49
	v_cmp_gt_i32_e32 vcc_lo, s14, v58
	v_cmp_gt_i32_e64 s2, s11, v57
	s_waitcnt vmcnt(0)
	v_cndmask_b32_e64 v11, 0, v5, s1
	v_cmp_gt_i32_e64 s1, s14, v56
	v_cndmask_b32_sdwa v5, v46, v5, vcc_lo dst_sel:DWORD dst_unused:UNUSED_PAD src0_sel:DWORD src1_sel:WORD_1
	v_cndmask_b32_e64 v12, 0, v6, s2
	v_cmp_gt_i32_e64 s2, s14, v55
	s_mov_b32 vcc_lo, s1
	v_cmp_gt_i32_e64 s1, s14, v53
	v_cndmask_b32_sdwa v6, v46, v6, vcc_lo dst_sel:DWORD dst_unused:UNUSED_PAD src0_sel:DWORD src1_sel:WORD_1
	v_cmp_gt_i32_e32 vcc_lo, s11, v54
	v_perm_b32 v5, v5, v11, 0x5040100
	v_perm_b32 v6, v6, v12, 0x5040100
	v_cndmask_b32_e32 v13, 0, v7, vcc_lo
	s_mov_b32 vcc_lo, s2
	v_cndmask_b32_sdwa v7, v46, v7, vcc_lo dst_sel:DWORD dst_unused:UNUSED_PAD src0_sel:DWORD src1_sel:WORD_1
	v_cmp_gt_i32_e32 vcc_lo, s11, v52
	v_perm_b32 v7, v7, v13, 0x5040100
	v_cndmask_b32_e32 v14, 0, v8, vcc_lo
	s_mov_b32 vcc_lo, s1
	v_cndmask_b32_sdwa v8, v46, v8, vcc_lo dst_sel:DWORD dst_unused:UNUSED_PAD src0_sel:DWORD src1_sel:WORD_1
	v_perm_b32 v8, v8, v14, 0x5040100
	s_or_b32 exec_lo, exec_lo, s15
	global_load_dwordx4 v[13:16], v[9:10], off offset:1024
	s_and_saveexec_b32 s15, s0
	s_cbranch_execz .LBB138_33
.LBB138_41:                             ;   in Loop: Header=BB138_30 Depth=1
	v_cmp_gt_i32_e64 s1, s11, v49
	v_cmp_gt_i32_e32 vcc_lo, s14, v58
	v_cmp_gt_i32_e64 s2, s11, v57
	s_waitcnt vmcnt(0)
	v_cndmask_b32_e64 v11, 0, v13, s1
	v_cmp_gt_i32_e64 s1, s14, v56
	v_cndmask_b32_sdwa v13, v46, v13, vcc_lo dst_sel:DWORD dst_unused:UNUSED_PAD src0_sel:DWORD src1_sel:WORD_1
	v_cndmask_b32_e64 v12, 0, v14, s2
	v_cmp_gt_i32_e64 s2, s14, v55
	s_mov_b32 vcc_lo, s1
	v_cmp_gt_i32_e64 s1, s14, v53
	v_cndmask_b32_sdwa v14, v46, v14, vcc_lo dst_sel:DWORD dst_unused:UNUSED_PAD src0_sel:DWORD src1_sel:WORD_1
	v_cmp_gt_i32_e32 vcc_lo, s11, v54
	v_perm_b32 v13, v13, v11, 0x5040100
	v_perm_b32 v14, v14, v12, 0x5040100
	v_cndmask_b32_e32 v17, 0, v15, vcc_lo
	s_mov_b32 vcc_lo, s2
	v_cndmask_b32_sdwa v15, v46, v15, vcc_lo dst_sel:DWORD dst_unused:UNUSED_PAD src0_sel:DWORD src1_sel:WORD_1
	v_cmp_gt_i32_e32 vcc_lo, s11, v52
	v_perm_b32 v15, v15, v17, 0x5040100
	v_cndmask_b32_e32 v18, 0, v16, vcc_lo
	s_mov_b32 vcc_lo, s1
	v_cndmask_b32_sdwa v16, v46, v16, vcc_lo dst_sel:DWORD dst_unused:UNUSED_PAD src0_sel:DWORD src1_sel:WORD_1
	v_perm_b32 v16, v16, v18, 0x5040100
	s_or_b32 exec_lo, exec_lo, s15
	global_load_dwordx4 v[17:20], v[9:10], off offset:1536
	s_and_saveexec_b32 s15, s0
	s_cbranch_execnz .LBB138_34
	s_branch .LBB138_35
.LBB138_42:
	s_or_b32 exec_lo, exec_lo, s13
.LBB138_43:
	s_or_b32 exec_lo, exec_lo, s3
	ds_bpermute_b32 v1, v39, v44
	ds_bpermute_b32 v2, v39, v45
	;; [unrolled: 1-line block ×6, first 2 shown]
	v_lshrrev_b32_e32 v7, 1, v38
	v_mul_u32_u24_e32 v9, 0x180, v37
	v_and_b32_e32 v13, 0x3c1, v0
	s_mov_b32 s0, exec_lo
	s_waitcnt lgkmcnt(0)
	v_lshl_add_u32 v8, v7, 2, 0xe0
	s_barrier
	buffer_gl0_inv
	v_add_f32_e32 v6, v44, v1
	v_add_f32_e32 v5, v45, v2
	;; [unrolled: 1-line block ×6, first 2 shown]
	v_cmpx_eq_u32_e32 64, v13
	s_cbranch_execz .LBB138_45
; %bb.44:
	v_add_nc_u32_e32 v10, v8, v9
	v_add_nc_u32_e32 v11, 0xfffffd00, v10
	;; [unrolled: 1-line block ×7, first 2 shown]
	ds_write_b32 v11, v6
	ds_write_b32 v12, v5
	ds_write_b32 v13, v4
	ds_write_b32 v14, v3
	ds_write_b32 v15, v2
	ds_write_b32 v10, v1
.LBB138_45:
	s_or_b32 exec_lo, exec_lo, s0
	v_lshlrev_b32_e32 v7, 2, v7
	s_mov_b32 s1, exec_lo
	v_cmp_eq_u32_e32 vcc_lo, 0, v36
	s_waitcnt lgkmcnt(0)
	s_barrier
	v_add3_u32 v7, 0xe0, v9, v7
	buffer_gl0_inv
	v_cmpx_gt_u32_e32 64, v0
	s_cbranch_execz .LBB138_54
; %bb.46:
	s_and_saveexec_b32 s0, vcc_lo
	s_cbranch_execnz .LBB138_68
; %bb.47:
	s_or_b32 exec_lo, exec_lo, s0
	s_and_saveexec_b32 s0, vcc_lo
	s_cbranch_execnz .LBB138_69
.LBB138_48:
	s_or_b32 exec_lo, exec_lo, s0
	s_and_saveexec_b32 s0, vcc_lo
	s_cbranch_execnz .LBB138_70
.LBB138_49:
	s_or_b32 exec_lo, exec_lo, s0
	s_and_saveexec_b32 s0, vcc_lo
	s_cbranch_execnz .LBB138_71
.LBB138_50:
	s_or_b32 exec_lo, exec_lo, s0
	s_and_saveexec_b32 s0, vcc_lo
	s_cbranch_execnz .LBB138_72
.LBB138_51:
	s_or_b32 exec_lo, exec_lo, s0
	s_and_saveexec_b32 s0, vcc_lo
	s_cbranch_execz .LBB138_53
.LBB138_52:
	ds_read_b32 v9, v7 offset:320
	s_waitcnt lgkmcnt(0)
	v_add_f32_e32 v1, v1, v9
.LBB138_53:
	s_or_b32 exec_lo, exec_lo, s0
.LBB138_54:
	s_or_b32 exec_lo, exec_lo, s1
	v_and_b32_e32 v9, 0x3e1, v0
	s_mov_b32 s1, exec_lo
	s_barrier
	buffer_gl0_inv
	v_cmpx_eq_u32_e32 32, v9
	s_cbranch_execz .LBB138_56
; %bb.55:
	ds_write2_b32 v8, v6, v5 offset1:16
	ds_write2_b32 v8, v4, v3 offset0:32 offset1:48
	ds_write2_b32 v8, v2, v1 offset0:64 offset1:80
.LBB138_56:
	s_or_b32 exec_lo, exec_lo, s1
	s_mov_b32 s1, exec_lo
	s_waitcnt lgkmcnt(0)
	s_barrier
	buffer_gl0_inv
	v_cmpx_gt_u32_e32 32, v0
	s_cbranch_execz .LBB138_65
; %bb.57:
	s_and_saveexec_b32 s0, vcc_lo
	s_cbranch_execnz .LBB138_73
; %bb.58:
	s_or_b32 exec_lo, exec_lo, s0
	s_and_saveexec_b32 s0, vcc_lo
	s_cbranch_execnz .LBB138_74
.LBB138_59:
	s_or_b32 exec_lo, exec_lo, s0
	s_and_saveexec_b32 s0, vcc_lo
	s_cbranch_execnz .LBB138_75
.LBB138_60:
	s_or_b32 exec_lo, exec_lo, s0
	s_and_saveexec_b32 s0, vcc_lo
	s_cbranch_execnz .LBB138_76
.LBB138_61:
	s_or_b32 exec_lo, exec_lo, s0
	s_and_saveexec_b32 s0, vcc_lo
	s_cbranch_execnz .LBB138_77
.LBB138_62:
	s_or_b32 exec_lo, exec_lo, s0
	s_and_saveexec_b32 s0, vcc_lo
	s_cbranch_execz .LBB138_64
.LBB138_63:
	ds_read_b32 v0, v7 offset:320
	s_waitcnt lgkmcnt(0)
	v_add_f32_e32 v1, v1, v0
.LBB138_64:
	s_or_b32 exec_lo, exec_lo, s0
.LBB138_65:
	s_or_b32 exec_lo, exec_lo, s1
	s_barrier
	buffer_gl0_inv
	s_mov_b32 s0, exec_lo
	v_cmpx_eq_u32_e32 0, v9
	s_cbranch_execz .LBB138_67
; %bb.66:
	s_mul_i32 s0, s10, s7
	v_bfe_u32 v7, v6, 16, 1
	s_mul_i32 s0, s0, s9
	s_mul_i32 s2, s7, s6
	s_mulk_i32 s0, 0x60
	v_or_b32_e32 v8, 0x400000, v6
	s_ashr_i32 s1, s0, 31
	v_add3_u32 v7, v7, v6, 0x7fff
	s_lshl_b64 s[0:1], s[0:1], 1
	v_bfe_u32 v9, v5, 16, 1
	s_add_u32 s5, s16, s0
	s_addc_u32 s6, s17, s1
	s_ashr_i32 s3, s2, 31
	v_cmp_u_f32_e32 vcc_lo, v6, v6
	s_lshl_b64 s[0:1], s[2:3], 1
	s_mul_i32 s4, s8, 0x60
	s_add_u32 s2, s5, s0
	s_addc_u32 s3, s6, s1
	s_ashr_i32 s5, s4, 31
	v_lshlrev_b32_e32 v0, 1, v35
	s_lshl_b64 s[0:1], s[4:5], 1
	v_cndmask_b32_e32 v6, v7, v8, vcc_lo
	v_bfe_u32 v7, v4, 16, 1
	v_add3_u32 v8, v9, v5, 0x7fff
	v_or_b32_e32 v9, 0x400000, v5
	v_cmp_u_f32_e32 vcc_lo, v5, v5
	s_add_u32 s0, s2, s0
	s_addc_u32 s1, s3, s1
	v_or_b32_e32 v10, 0x400000, v2
	global_store_short_d16_hi v0, v6, s[0:1]
	v_add3_u32 v6, v7, v4, 0x7fff
	v_or_b32_e32 v7, 0x400000, v4
	v_cndmask_b32_e32 v5, v8, v9, vcc_lo
	v_bfe_u32 v8, v3, 16, 1
	v_cmp_u_f32_e32 vcc_lo, v4, v4
	v_bfe_u32 v9, v2, 16, 1
	v_or_b32_e32 v11, 0x400000, v1
	v_cndmask_b32_e32 v4, v6, v7, vcc_lo
	v_add3_u32 v7, v8, v3, 0x7fff
	v_or_b32_e32 v8, 0x400000, v3
	v_cmp_u_f32_e32 vcc_lo, v3, v3
	v_bfe_u32 v6, v1, 16, 1
	v_add3_u32 v9, v9, v2, 0x7fff
	v_cndmask_b32_e32 v3, v7, v8, vcc_lo
	v_cmp_u_f32_e32 vcc_lo, v2, v2
	v_add3_u32 v6, v6, v1, 0x7fff
	v_cndmask_b32_e32 v2, v9, v10, vcc_lo
	v_cmp_u_f32_e32 vcc_lo, v1, v1
	v_cndmask_b32_e32 v1, v6, v11, vcc_lo
	global_store_short_d16_hi v0, v5, s[0:1] offset:32
	global_store_short_d16_hi v0, v4, s[0:1] offset:64
	;; [unrolled: 1-line block ×5, first 2 shown]
.LBB138_67:
	s_endpgm
.LBB138_68:
	ds_read_b32 v9, v7
	s_waitcnt lgkmcnt(0)
	v_add_f32_e32 v6, v6, v9
	s_or_b32 exec_lo, exec_lo, s0
	s_and_saveexec_b32 s0, vcc_lo
	s_cbranch_execz .LBB138_48
.LBB138_69:
	ds_read_b32 v9, v7 offset:64
	s_waitcnt lgkmcnt(0)
	v_add_f32_e32 v5, v5, v9
	s_or_b32 exec_lo, exec_lo, s0
	s_and_saveexec_b32 s0, vcc_lo
	s_cbranch_execz .LBB138_49
.LBB138_70:
	ds_read_b32 v9, v7 offset:128
	s_waitcnt lgkmcnt(0)
	v_add_f32_e32 v4, v4, v9
	s_or_b32 exec_lo, exec_lo, s0
	s_and_saveexec_b32 s0, vcc_lo
	s_cbranch_execz .LBB138_50
.LBB138_71:
	ds_read_b32 v9, v7 offset:192
	s_waitcnt lgkmcnt(0)
	v_add_f32_e32 v3, v3, v9
	s_or_b32 exec_lo, exec_lo, s0
	s_and_saveexec_b32 s0, vcc_lo
	s_cbranch_execz .LBB138_51
.LBB138_72:
	ds_read_b32 v9, v7 offset:256
	s_waitcnt lgkmcnt(0)
	v_add_f32_e32 v2, v2, v9
	s_or_b32 exec_lo, exec_lo, s0
	s_and_saveexec_b32 s0, vcc_lo
	s_cbranch_execnz .LBB138_52
	s_branch .LBB138_53
.LBB138_73:
	ds_read_b32 v0, v7
	s_waitcnt lgkmcnt(0)
	v_add_f32_e32 v6, v6, v0
	s_or_b32 exec_lo, exec_lo, s0
	s_and_saveexec_b32 s0, vcc_lo
	s_cbranch_execz .LBB138_59
.LBB138_74:
	ds_read_b32 v0, v7 offset:64
	s_waitcnt lgkmcnt(0)
	v_add_f32_e32 v5, v5, v0
	s_or_b32 exec_lo, exec_lo, s0
	s_and_saveexec_b32 s0, vcc_lo
	s_cbranch_execz .LBB138_60
.LBB138_75:
	ds_read_b32 v0, v7 offset:128
	s_waitcnt lgkmcnt(0)
	v_add_f32_e32 v4, v4, v0
	s_or_b32 exec_lo, exec_lo, s0
	s_and_saveexec_b32 s0, vcc_lo
	s_cbranch_execz .LBB138_61
.LBB138_76:
	ds_read_b32 v0, v7 offset:192
	s_waitcnt lgkmcnt(0)
	v_add_f32_e32 v3, v3, v0
	s_or_b32 exec_lo, exec_lo, s0
	s_and_saveexec_b32 s0, vcc_lo
	s_cbranch_execz .LBB138_62
.LBB138_77:
	ds_read_b32 v0, v7 offset:256
	s_waitcnt lgkmcnt(0)
	v_add_f32_e32 v2, v2, v0
	s_or_b32 exec_lo, exec_lo, s0
	s_and_saveexec_b32 s0, vcc_lo
	s_cbranch_execnz .LBB138_63
	s_branch .LBB138_64
	.section	.rodata,"a",@progbits
	.p2align	6, 0x0
	.amdhsa_kernel _ZN4vllm25paged_attention_v1_kernelI14__hip_bfloat16S1_Li96ELi16ELi128ELNS_18Fp8KVCacheDataTypeE0ELb0EEEvPT_PKS3_PKT0_S9_ifPKiSB_iPKfiiiSD_SD_iiiii
		.amdhsa_group_segment_fixed_size 224
		.amdhsa_private_segment_fixed_size 0
		.amdhsa_kernarg_size 384
		.amdhsa_user_sgpr_count 6
		.amdhsa_user_sgpr_private_segment_buffer 1
		.amdhsa_user_sgpr_dispatch_ptr 0
		.amdhsa_user_sgpr_queue_ptr 0
		.amdhsa_user_sgpr_kernarg_segment_ptr 1
		.amdhsa_user_sgpr_dispatch_id 0
		.amdhsa_user_sgpr_flat_scratch_init 0
		.amdhsa_user_sgpr_private_segment_size 0
		.amdhsa_wavefront_size32 1
		.amdhsa_uses_dynamic_stack 0
		.amdhsa_system_sgpr_private_segment_wavefront_offset 0
		.amdhsa_system_sgpr_workgroup_id_x 1
		.amdhsa_system_sgpr_workgroup_id_y 1
		.amdhsa_system_sgpr_workgroup_id_z 1
		.amdhsa_system_sgpr_workgroup_info 0
		.amdhsa_system_vgpr_workitem_id 0
		.amdhsa_next_free_vgpr 108
		.amdhsa_next_free_sgpr 27
		.amdhsa_reserve_vcc 1
		.amdhsa_reserve_flat_scratch 0
		.amdhsa_float_round_mode_32 0
		.amdhsa_float_round_mode_16_64 0
		.amdhsa_float_denorm_mode_32 3
		.amdhsa_float_denorm_mode_16_64 3
		.amdhsa_dx10_clamp 1
		.amdhsa_ieee_mode 1
		.amdhsa_fp16_overflow 0
		.amdhsa_workgroup_processor_mode 1
		.amdhsa_memory_ordered 1
		.amdhsa_forward_progress 1
		.amdhsa_shared_vgpr_count 0
		.amdhsa_exception_fp_ieee_invalid_op 0
		.amdhsa_exception_fp_denorm_src 0
		.amdhsa_exception_fp_ieee_div_zero 0
		.amdhsa_exception_fp_ieee_overflow 0
		.amdhsa_exception_fp_ieee_underflow 0
		.amdhsa_exception_fp_ieee_inexact 0
		.amdhsa_exception_int_div_zero 0
	.end_amdhsa_kernel
	.section	.text._ZN4vllm25paged_attention_v1_kernelI14__hip_bfloat16S1_Li96ELi16ELi128ELNS_18Fp8KVCacheDataTypeE0ELb0EEEvPT_PKS3_PKT0_S9_ifPKiSB_iPKfiiiSD_SD_iiiii,"axG",@progbits,_ZN4vllm25paged_attention_v1_kernelI14__hip_bfloat16S1_Li96ELi16ELi128ELNS_18Fp8KVCacheDataTypeE0ELb0EEEvPT_PKS3_PKT0_S9_ifPKiSB_iPKfiiiSD_SD_iiiii,comdat
.Lfunc_end138:
	.size	_ZN4vllm25paged_attention_v1_kernelI14__hip_bfloat16S1_Li96ELi16ELi128ELNS_18Fp8KVCacheDataTypeE0ELb0EEEvPT_PKS3_PKT0_S9_ifPKiSB_iPKfiiiSD_SD_iiiii, .Lfunc_end138-_ZN4vllm25paged_attention_v1_kernelI14__hip_bfloat16S1_Li96ELi16ELi128ELNS_18Fp8KVCacheDataTypeE0ELb0EEEvPT_PKS3_PKT0_S9_ifPKiSB_iPKfiiiSD_SD_iiiii
                                        ; -- End function
	.set _ZN4vllm25paged_attention_v1_kernelI14__hip_bfloat16S1_Li96ELi16ELi128ELNS_18Fp8KVCacheDataTypeE0ELb0EEEvPT_PKS3_PKT0_S9_ifPKiSB_iPKfiiiSD_SD_iiiii.num_vgpr, 108
	.set _ZN4vllm25paged_attention_v1_kernelI14__hip_bfloat16S1_Li96ELi16ELi128ELNS_18Fp8KVCacheDataTypeE0ELb0EEEvPT_PKS3_PKT0_S9_ifPKiSB_iPKfiiiSD_SD_iiiii.num_agpr, 0
	.set _ZN4vllm25paged_attention_v1_kernelI14__hip_bfloat16S1_Li96ELi16ELi128ELNS_18Fp8KVCacheDataTypeE0ELb0EEEvPT_PKS3_PKT0_S9_ifPKiSB_iPKfiiiSD_SD_iiiii.numbered_sgpr, 27
	.set _ZN4vllm25paged_attention_v1_kernelI14__hip_bfloat16S1_Li96ELi16ELi128ELNS_18Fp8KVCacheDataTypeE0ELb0EEEvPT_PKS3_PKT0_S9_ifPKiSB_iPKfiiiSD_SD_iiiii.num_named_barrier, 0
	.set _ZN4vllm25paged_attention_v1_kernelI14__hip_bfloat16S1_Li96ELi16ELi128ELNS_18Fp8KVCacheDataTypeE0ELb0EEEvPT_PKS3_PKT0_S9_ifPKiSB_iPKfiiiSD_SD_iiiii.private_seg_size, 0
	.set _ZN4vllm25paged_attention_v1_kernelI14__hip_bfloat16S1_Li96ELi16ELi128ELNS_18Fp8KVCacheDataTypeE0ELb0EEEvPT_PKS3_PKT0_S9_ifPKiSB_iPKfiiiSD_SD_iiiii.uses_vcc, 1
	.set _ZN4vllm25paged_attention_v1_kernelI14__hip_bfloat16S1_Li96ELi16ELi128ELNS_18Fp8KVCacheDataTypeE0ELb0EEEvPT_PKS3_PKT0_S9_ifPKiSB_iPKfiiiSD_SD_iiiii.uses_flat_scratch, 0
	.set _ZN4vllm25paged_attention_v1_kernelI14__hip_bfloat16S1_Li96ELi16ELi128ELNS_18Fp8KVCacheDataTypeE0ELb0EEEvPT_PKS3_PKT0_S9_ifPKiSB_iPKfiiiSD_SD_iiiii.has_dyn_sized_stack, 0
	.set _ZN4vllm25paged_attention_v1_kernelI14__hip_bfloat16S1_Li96ELi16ELi128ELNS_18Fp8KVCacheDataTypeE0ELb0EEEvPT_PKS3_PKT0_S9_ifPKiSB_iPKfiiiSD_SD_iiiii.has_recursion, 0
	.set _ZN4vllm25paged_attention_v1_kernelI14__hip_bfloat16S1_Li96ELi16ELi128ELNS_18Fp8KVCacheDataTypeE0ELb0EEEvPT_PKS3_PKT0_S9_ifPKiSB_iPKfiiiSD_SD_iiiii.has_indirect_call, 0
	.section	.AMDGPU.csdata,"",@progbits
; Kernel info:
; codeLenInByte = 8828
; TotalNumSgprs: 29
; NumVgprs: 108
; ScratchSize: 0
; MemoryBound: 0
; FloatMode: 240
; IeeeMode: 1
; LDSByteSize: 224 bytes/workgroup (compile time only)
; SGPRBlocks: 0
; VGPRBlocks: 13
; NumSGPRsForWavesPerEU: 29
; NumVGPRsForWavesPerEU: 108
; Occupancy: 9
; WaveLimiterHint : 1
; COMPUTE_PGM_RSRC2:SCRATCH_EN: 0
; COMPUTE_PGM_RSRC2:USER_SGPR: 6
; COMPUTE_PGM_RSRC2:TRAP_HANDLER: 0
; COMPUTE_PGM_RSRC2:TGID_X_EN: 1
; COMPUTE_PGM_RSRC2:TGID_Y_EN: 1
; COMPUTE_PGM_RSRC2:TGID_Z_EN: 1
; COMPUTE_PGM_RSRC2:TIDIG_COMP_CNT: 0
	.section	.text._ZN4vllm25paged_attention_v1_kernelI14__hip_bfloat16S1_Li112ELi16ELi128ELNS_18Fp8KVCacheDataTypeE0ELb0EEEvPT_PKS3_PKT0_S9_ifPKiSB_iPKfiiiSD_SD_iiiii,"axG",@progbits,_ZN4vllm25paged_attention_v1_kernelI14__hip_bfloat16S1_Li112ELi16ELi128ELNS_18Fp8KVCacheDataTypeE0ELb0EEEvPT_PKS3_PKT0_S9_ifPKiSB_iPKfiiiSD_SD_iiiii,comdat
	.protected	_ZN4vllm25paged_attention_v1_kernelI14__hip_bfloat16S1_Li112ELi16ELi128ELNS_18Fp8KVCacheDataTypeE0ELb0EEEvPT_PKS3_PKT0_S9_ifPKiSB_iPKfiiiSD_SD_iiiii ; -- Begin function _ZN4vllm25paged_attention_v1_kernelI14__hip_bfloat16S1_Li112ELi16ELi128ELNS_18Fp8KVCacheDataTypeE0ELb0EEEvPT_PKS3_PKT0_S9_ifPKiSB_iPKfiiiSD_SD_iiiii
	.globl	_ZN4vllm25paged_attention_v1_kernelI14__hip_bfloat16S1_Li112ELi16ELi128ELNS_18Fp8KVCacheDataTypeE0ELb0EEEvPT_PKS3_PKT0_S9_ifPKiSB_iPKfiiiSD_SD_iiiii
	.p2align	8
	.type	_ZN4vllm25paged_attention_v1_kernelI14__hip_bfloat16S1_Li112ELi16ELi128ELNS_18Fp8KVCacheDataTypeE0ELb0EEEvPT_PKS3_PKT0_S9_ifPKiSB_iPKfiiiSD_SD_iiiii,@function
_ZN4vllm25paged_attention_v1_kernelI14__hip_bfloat16S1_Li112ELi16ELi128ELNS_18Fp8KVCacheDataTypeE0ELb0EEEvPT_PKS3_PKT0_S9_ifPKiSB_iPKfiiiSD_SD_iiiii: ; @_ZN4vllm25paged_attention_v1_kernelI14__hip_bfloat16S1_Li112ELi16ELi128ELNS_18Fp8KVCacheDataTypeE0ELb0EEEvPT_PKS3_PKT0_S9_ifPKiSB_iPKfiiiSD_SD_iiiii
; %bb.0:
	s_clause 0x2
	s_load_dword s9, s[4:5], 0x80
	s_load_dwordx2 s[0:1], s[4:5], 0x30
	s_load_dwordx2 s[24:25], s[4:5], 0x20
	s_mov_b32 s10, s7
	s_ashr_i32 s11, s7, 31
	s_lshl_b64 s[2:3], s[10:11], 2
	s_waitcnt lgkmcnt(0)
	s_add_u32 s0, s0, s2
	s_addc_u32 s1, s1, s3
	s_abs_i32 s2, s24
	s_abs_i32 s11, s9
	v_cvt_f32_u32_e32 v1, s2
	s_sub_i32 s7, 0, s2
	v_rcp_iflag_f32_e32 v1, v1
	v_mul_f32_e32 v1, 0x4f7ffffe, v1
	v_cvt_u32_f32_e32 v1, v1
	v_readfirstlane_b32 s3, v1
	s_mul_i32 s7, s7, s3
	s_mul_hi_u32 s7, s3, s7
	s_add_i32 s3, s3, s7
	s_xor_b32 s7, s9, s24
	s_mul_hi_u32 s3, s11, s3
	s_ashr_i32 s7, s7, 31
	s_mul_i32 s12, s3, s2
	s_mov_b32 s24, 0
	s_sub_i32 s11, s11, s12
	s_add_i32 s12, s3, 1
	s_sub_i32 s13, s11, s2
	s_cmp_ge_u32 s11, s2
	s_cselect_b32 s3, s12, s3
	s_cselect_b32 s11, s13, s11
	s_add_i32 s12, s3, 1
	s_cmp_ge_u32 s11, s2
	s_cselect_b32 s2, s12, s3
	s_abs_i32 s17, s6
	s_xor_b32 s2, s2, s7
	s_sub_i32 s18, s2, s7
	s_load_dwordx2 s[2:3], s[4:5], 0x40
	s_abs_i32 s16, s18
	v_cvt_f32_u32_e32 v1, s16
	s_sub_i32 s11, 0, s16
	v_rcp_iflag_f32_e32 v1, v1
	v_mul_f32_e32 v1, 0x4f7ffffe, v1
	v_cvt_u32_f32_e32 v1, v1
	v_readfirstlane_b32 s7, v1
	s_mul_i32 s11, s11, s7
	s_mul_hi_u32 s11, s7, s11
	s_add_i32 s7, s7, s11
	s_waitcnt lgkmcnt(0)
	s_cmp_eq_u64 s[2:3], 0
	s_mul_hi_u32 s20, s17, s7
	s_cbranch_scc1 .LBB139_2
; %bb.1:
	s_ashr_i32 s7, s6, 31
	s_lshl_b64 s[12:13], s[6:7], 2
	s_add_u32 s2, s2, s12
	s_addc_u32 s3, s3, s13
	s_load_dword s24, s[2:3], 0x0
.LBB139_2:
	s_load_dword s11, s[0:1], 0x0
	s_load_dwordx4 s[12:15], s[4:5], 0x48
	v_lshrrev_b32_e32 v39, 1, v0
	v_and_b32_e32 v40, 1, v0
	v_lshlrev_b32_e32 v3, 3, v0
	s_ashr_i32 s0, s6, 31
	s_ashr_i32 s1, s18, 31
	s_mulk_i32 s6, 0x70
	s_mov_b32 s2, exec_lo
	v_cmpx_gt_u32_e32 28, v0
	s_cbranch_execz .LBB139_4
; %bb.3:
	s_load_dwordx2 s[18:19], s[4:5], 0x8
	s_waitcnt lgkmcnt(0)
	s_mul_i32 s22, s12, s10
	v_lshlrev_b32_e32 v4, 3, v39
	s_ashr_i32 s23, s22, 31
	s_lshl_b64 s[22:23], s[22:23], 1
	v_mad_u32_u24 v4, 0x70, v40, v4
	s_add_u32 s3, s18, s22
	s_addc_u32 s12, s19, s23
	s_ashr_i32 s7, s6, 31
	s_lshl_b64 s[18:19], s[6:7], 1
	s_add_u32 s18, s3, s18
	s_addc_u32 s19, s12, s19
	global_load_dwordx2 v[1:2], v3, s[18:19]
	s_waitcnt vmcnt(0)
	ds_write_b64 v4, v[1:2]
.LBB139_4:
	s_or_b32 exec_lo, exec_lo, s2
	s_waitcnt lgkmcnt(0)
	s_add_i32 s2, s11, 15
	s_clause 0x1
	s_load_dwordx2 s[18:19], s[4:5], 0x28
	s_load_dword s7, s[4:5], 0x38
	s_ashr_i32 s3, s2, 31
	s_xor_b32 s0, s0, s1
	s_lshr_b32 s3, s3, 28
	s_mul_i32 s1, s20, s16
	s_add_i32 s2, s2, s3
	s_sub_i32 s1, s17, s1
	s_ashr_i32 s12, s2, 4
	s_add_i32 s2, s20, 1
	s_sub_i32 s3, s1, s16
	s_cmp_ge_u32 s1, s16
	v_lshrrev_b32_e32 v41, 5, v0
	s_cselect_b32 s2, s2, s20
	s_cselect_b32 s1, s3, s1
	s_add_i32 s3, s2, 1
	s_cmp_ge_u32 s1, s16
	v_mbcnt_lo_u32_b32 v5, -1, 0
	s_cselect_b32 s1, s3, s2
	s_mov_b32 s2, exec_lo
	s_xor_b32 s1, s1, s0
	s_waitcnt lgkmcnt(0)
	s_mul_i32 s20, s7, s10
	s_sub_i32 s1, s1, s0
	v_cmp_gt_i32_e64 s0, s12, v41
	s_ashr_i32 s21, s20, 31
	s_barrier
	buffer_gl0_inv
                                        ; implicit-def: $vgpr10
                                        ; implicit-def: $vgpr23
	v_cmpx_le_i32_e64 s12, v41
	s_xor_b32 s2, exec_lo, s2
; %bb.5:
	v_mov_b32_e32 v10, 0
	v_mbcnt_lo_u32_b32 v5, -1, 0
	v_mov_b32_e32 v23, 32
; %bb.6:
	s_or_saveexec_b32 s26, s2
	s_clause 0x2
	s_load_dwordx2 s[16:17], s[4:5], 0x0
	s_load_dwordx2 s[22:23], s[4:5], 0x18
	s_load_dword s7, s[4:5], 0x88
	v_mov_b32_e32 v67, 0xff7fffff
	v_lshrrev_b32_e32 v4, 3, v0
	s_mul_i32 s14, s1, s14
	s_xor_b32 exec_lo, exec_lo, s26
	s_cbranch_execz .LBB139_12
; %bb.7:
	s_load_dwordx2 s[2:3], s[4:5], 0x10
	v_mul_u32_u24_e32 v1, 0x70, v40
	s_ashr_i32 s15, s14, 31
	v_xor_b32_e32 v23, 1, v5
	s_lshl_b64 s[4:5], s[14:15], 1
	ds_read_b128 v[11:14], v1
	ds_read_b128 v[19:22], v1 offset:16
	ds_read_b128 v[28:31], v1 offset:32
	;; [unrolled: 1-line block ×6, first 2 shown]
	v_bfe_u32 v1, v0, 1, 4
	v_and_b32_e32 v10, 8, v3
	v_cmp_gt_i32_e32 vcc_lo, 32, v23
	v_mov_b32_e32 v73, v41
	s_mov_b32 s15, s13
	v_lshlrev_b32_e32 v2, 4, v1
	v_lshlrev_b32_e32 v71, 2, v1
	v_cndmask_b32_e32 v23, v5, v23, vcc_lo
	s_waitcnt lgkmcnt(0)
	s_add_u32 s1, s2, s4
	s_addc_u32 s2, s3, s5
	v_add_co_u32 v2, s1, s1, v2
	v_add_co_ci_u32_e64 v67, null, s2, 0, s1
	s_lshl_b64 s[2:3], s[20:21], 2
	v_add_co_u32 v68, vcc_lo, v2, v10
	v_lshl_or_b32 v2, v41, 6, v71
	v_lshl_or_b32 v71, v41, 4, v1
	v_and_b32_e32 v1, 0x7c, v4
	s_sub_i32 s4, 1, s11
	s_add_u32 s2, s18, s2
	s_addc_u32 s3, s19, s3
	v_lshlrev_b32_e32 v6, 16, v11
	v_add_co_u32 v1, s2, s2, v1
	v_and_b32_e32 v7, 0xffff0000, v11
	v_lshlrev_b32_e32 v8, 16, v12
	v_and_b32_e32 v9, 0xffff0000, v12
	v_lshlrev_b32_e32 v11, 16, v13
	;; [unrolled: 2-line block ×27, first 2 shown]
	v_and_b32_e32 v66, 0xffff0000, v66
	v_add_co_ci_u32_e64 v69, null, 0, v67, vcc_lo
	v_lshlrev_b32_e32 v70, 2, v23
	v_cmp_neq_f32_e64 s1, s24, 0
	v_add_nc_u32_e32 v72, 0x100, v2
	v_add_co_ci_u32_e64 v2, null, s3, 0, s2
	v_mov_b32_e32 v10, 0
	v_mov_b32_e32 v23, 32
	;; [unrolled: 1-line block ×3, first 2 shown]
	s_mov_b32 s5, 0
	v_cmp_eq_u32_e32 vcc_lo, 0, v40
	s_branch .LBB139_9
.LBB139_8:                              ;   in Loop: Header=BB139_9 Depth=1
	s_or_b32 exec_lo, exec_lo, s3
	v_add_nc_u32_e32 v73, 4, v73
	v_add_co_u32 v1, s3, v1, 16
	v_add_nc_u32_e32 v71, 64, v71
	v_add_nc_u32_e32 v72, 0x100, v72
	v_cmp_le_i32_e64 s2, s12, v73
	v_add_co_ci_u32_e64 v2, null, 0, v2, s3
	s_or_b32 s5, s2, s5
	s_andn2_b32 exec_lo, exec_lo, s5
	s_cbranch_execz .LBB139_11
.LBB139_9:                              ; =>This Inner Loop Header: Depth=1
	global_load_dword v74, v[1:2], off
	s_waitcnt vmcnt(0) lgkmcnt(0)
	v_mad_i64_i32 v[74:75], null, v74, s15, 0
	v_lshlrev_b64 v[74:75], 1, v[74:75]
	v_add_co_u32 v74, s2, v68, v74
	v_add_co_ci_u32_e64 v75, null, v69, v75, s2
	s_clause 0x6
	global_load_dwordx2 v[76:77], v[74:75], off
	global_load_dwordx2 v[78:79], v[74:75], off offset:256
	global_load_dwordx2 v[80:81], v[74:75], off offset:512
	;; [unrolled: 1-line block ×6, first 2 shown]
	v_add_co_u32 v90, s2, 0x800, v74
	v_add_co_ci_u32_e64 v91, null, 0, v75, s2
	s_clause 0x4
	global_load_dwordx2 v[74:75], v[74:75], off offset:1792
	global_load_dwordx2 v[92:93], v[90:91], off
	global_load_dwordx2 v[94:95], v[90:91], off offset:256
	global_load_dwordx2 v[96:97], v[90:91], off offset:512
	;; [unrolled: 1-line block ×3, first 2 shown]
	s_waitcnt vmcnt(11)
	v_lshlrev_b32_e32 v101, 16, v77
	v_and_b32_e32 v102, 0xffff0000, v77
	s_waitcnt vmcnt(10)
	v_lshlrev_b32_e32 v77, 16, v78
	v_and_b32_e32 v78, 0xffff0000, v78
	v_lshlrev_b32_e32 v100, 16, v76
	v_and_b32_e32 v76, 0xffff0000, v76
	v_lshlrev_b32_e32 v103, 16, v79
	v_mul_f32_e32 v124, v11, v77
	v_mul_f32_e32 v78, v12, v78
	s_waitcnt vmcnt(4)
	v_lshlrev_b32_e32 v114, 16, v74
	v_and_b32_e32 v115, 0xffff0000, v74
	v_lshlrev_b32_e32 v116, 16, v75
	v_and_b32_e32 v117, 0xffff0000, v75
	v_fmac_f32_e32 v78, v7, v76
	s_clause 0x1
	global_load_dwordx2 v[74:75], v[90:91], off offset:1024
	global_load_dwordx2 v[76:77], v[90:91], off offset:1280
	v_and_b32_e32 v79, 0xffff0000, v79
	v_lshlrev_b32_e32 v104, 16, v80
	v_and_b32_e32 v80, 0xffff0000, v80
	v_fmac_f32_e32 v124, v6, v100
	v_mul_f32_e32 v100, v13, v103
	v_lshlrev_b32_e32 v105, 16, v81
	v_lshlrev_b32_e32 v106, 16, v82
	v_and_b32_e32 v82, 0xffff0000, v82
	v_mul_f32_e32 v79, v14, v79
	v_fmac_f32_e32 v100, v8, v101
	v_fmac_f32_e32 v124, v15, v104
	v_fmac_f32_e32 v78, v16, v80
	v_and_b32_e32 v81, 0xffff0000, v81
	v_lshlrev_b32_e32 v107, 16, v83
	v_lshlrev_b32_e32 v108, 16, v84
	v_and_b32_e32 v84, 0xffff0000, v84
	v_fmac_f32_e32 v79, v9, v102
	v_fmac_f32_e32 v100, v17, v105
	v_fmac_f32_e32 v124, v19, v106
	v_fmac_f32_e32 v78, v20, v82
	v_and_b32_e32 v83, 0xffff0000, v83
	v_lshlrev_b32_e32 v109, 16, v85
	v_lshlrev_b32_e32 v110, 16, v86
	v_and_b32_e32 v86, 0xffff0000, v86
	v_fmac_f32_e32 v79, v18, v81
	;; [unrolled: 8-line block ×3, first 2 shown]
	v_fmac_f32_e32 v100, v26, v109
	v_fmac_f32_e32 v124, v28, v110
	;; [unrolled: 1-line block ×3, first 2 shown]
	v_and_b32_e32 v87, 0xffff0000, v87
	v_lshlrev_b32_e32 v113, 16, v89
	v_fmac_f32_e32 v79, v27, v85
	v_fmac_f32_e32 v100, v30, v111
	v_fmac_f32_e32 v124, v32, v112
	v_fmac_f32_e32 v78, v33, v88
	v_and_b32_e32 v89, 0xffff0000, v89
	s_waitcnt vmcnt(5)
	v_lshlrev_b32_e32 v118, 16, v92
	v_and_b32_e32 v92, 0xffff0000, v92
	v_fmac_f32_e32 v79, v31, v87
	v_fmac_f32_e32 v100, v34, v113
	;; [unrolled: 1-line block ×4, first 2 shown]
	v_lshlrev_b32_e32 v119, 16, v93
	s_waitcnt vmcnt(4)
	v_lshlrev_b32_e32 v120, 16, v94
	v_and_b32_e32 v94, 0xffff0000, v94
	v_fmac_f32_e32 v79, v35, v89
	v_fmac_f32_e32 v100, v38, v116
	v_fmac_f32_e32 v124, v43, v118
	v_fmac_f32_e32 v78, v44, v92
	v_and_b32_e32 v93, 0xffff0000, v93
	v_lshlrev_b32_e32 v121, 16, v95
	s_waitcnt vmcnt(3)
	v_lshlrev_b32_e32 v122, 16, v96
	v_and_b32_e32 v96, 0xffff0000, v96
	v_fmac_f32_e32 v79, v42, v117
	v_fmac_f32_e32 v100, v45, v119
	v_fmac_f32_e32 v124, v47, v120
	v_fmac_f32_e32 v78, v48, v94
	v_and_b32_e32 v95, 0xffff0000, v95
	;; [unrolled: 9-line block ×3, first 2 shown]
	v_lshlrev_b32_e32 v81, 16, v99
	v_fmac_f32_e32 v79, v50, v95
	v_fmac_f32_e32 v100, v53, v123
	;; [unrolled: 1-line block ×4, first 2 shown]
	v_and_b32_e32 v83, 0xffff0000, v99
	v_fmac_f32_e32 v79, v54, v97
	v_fmac_f32_e32 v100, v57, v81
	;; [unrolled: 1-line block ×3, first 2 shown]
	s_waitcnt vmcnt(1)
	v_lshlrev_b32_e32 v84, 16, v74
	v_and_b32_e32 v74, 0xffff0000, v74
	v_lshlrev_b32_e32 v85, 16, v75
	s_waitcnt vmcnt(0)
	v_lshlrev_b32_e32 v86, 16, v76
	v_and_b32_e32 v76, 0xffff0000, v76
	v_fmac_f32_e32 v124, v59, v84
	v_fmac_f32_e32 v78, v60, v74
	v_and_b32_e32 v75, 0xffff0000, v75
	v_lshlrev_b32_e32 v74, 16, v77
	v_fmac_f32_e32 v100, v61, v85
	v_fmac_f32_e32 v124, v63, v86
	;; [unrolled: 1-line block ×4, first 2 shown]
	v_and_b32_e32 v75, 0xffff0000, v77
	v_fmac_f32_e32 v100, v65, v74
	v_add_f32_e32 v74, v124, v78
	v_fmac_f32_e32 v79, v66, v75
	v_add_f32_e32 v74, v74, v100
	v_add_f32_e32 v74, v79, v74
	ds_bpermute_b32 v75, v70, v74
	s_and_saveexec_b32 s3, vcc_lo
	s_cbranch_execz .LBB139_8
; %bb.10:                               ;   in Loop: Header=BB139_9 Depth=1
	v_add_nc_u32_e32 v76, s4, v71
	s_waitcnt lgkmcnt(0)
	v_add_f32_e32 v74, v74, v75
	v_cmp_gt_i32_e64 s2, s11, v71
	v_cvt_f32_i32_e32 v76, v76
	v_mul_f32_e32 v76, s24, v76
	v_cndmask_b32_e64 v75, 0, v76, s1
	v_max_f32_e32 v76, v67, v67
	v_fmac_f32_e32 v75, s25, v74
	v_max_f32_e32 v74, v76, v75
	v_cndmask_b32_e64 v75, 0, v75, s2
	v_cndmask_b32_e64 v67, v67, v74, s2
	ds_write_b32 v72, v75
	s_branch .LBB139_8
.LBB139_11:
	s_or_b32 exec_lo, exec_lo, s5
.LBB139_12:
	s_or_b32 exec_lo, exec_lo, s26
	v_xor_b32_e32 v1, 16, v5
	v_xor_b32_e32 v6, 8, v5
	v_max_f32_e32 v8, v67, v67
	v_xor_b32_e32 v9, 2, v5
	v_and_b32_e32 v42, 31, v0
	v_cmp_lt_i32_e32 vcc_lo, v1, v23
	v_cndmask_b32_e32 v1, v5, v1, vcc_lo
	v_cmp_lt_i32_e32 vcc_lo, v6, v23
	v_lshlrev_b32_e32 v2, 2, v1
	v_cndmask_b32_e32 v6, v5, v6, vcc_lo
	ds_bpermute_b32 v1, v2, v67
	v_lshlrev_b32_e32 v7, 2, v6
	s_waitcnt lgkmcnt(0)
	v_max_f32_e32 v1, v1, v1
	v_max_f32_e32 v1, v8, v1
	v_xor_b32_e32 v8, 4, v5
	ds_bpermute_b32 v6, v7, v1
	v_cmp_lt_i32_e32 vcc_lo, v8, v23
	v_cndmask_b32_e32 v8, v5, v8, vcc_lo
	v_cmp_lt_i32_e32 vcc_lo, v9, v23
	v_lshlrev_b32_e32 v8, 2, v8
	v_cndmask_b32_e32 v9, v5, v9, vcc_lo
	v_cmp_eq_u32_e32 vcc_lo, 0, v42
	s_waitcnt lgkmcnt(0)
	v_max_f32_e32 v6, v6, v6
	v_max_f32_e32 v1, v1, v6
	ds_bpermute_b32 v6, v8, v1
	s_waitcnt lgkmcnt(0)
	v_max_f32_e32 v6, v6, v6
	v_max_f32_e32 v6, v1, v6
	v_lshlrev_b32_e32 v1, 2, v9
	v_lshlrev_b32_e32 v9, 2, v41
	ds_bpermute_b32 v11, v1, v6
	s_and_saveexec_b32 s1, vcc_lo
	s_cbranch_execz .LBB139_14
; %bb.13:
	s_waitcnt lgkmcnt(0)
	v_max_f32_e32 v11, v11, v11
	v_max_f32_e32 v6, v6, v6
	;; [unrolled: 1-line block ×3, first 2 shown]
	ds_write_b32 v9, v6 offset:224
.LBB139_14:
	s_or_b32 exec_lo, exec_lo, s1
	v_cmp_gt_u32_e64 s1, 4, v42
	v_mov_b32_e32 v6, 0xff7fffff
	s_waitcnt lgkmcnt(0)
	v_lshlrev_b32_e32 v11, 2, v42
	s_barrier
	buffer_gl0_inv
	s_and_saveexec_b32 s2, s1
; %bb.15:
	ds_read_b32 v6, v11 offset:224
; %bb.16:
	s_or_b32 exec_lo, exec_lo, s2
	s_waitcnt lgkmcnt(0)
	ds_bpermute_b32 v12, v1, v6
	v_xor_b32_e32 v13, 1, v5
	v_max_f32_e32 v6, v6, v6
	v_lshlrev_b32_e32 v10, 2, v10
	v_cmp_lt_i32_e64 s2, v13, v23
	v_cndmask_b32_e64 v13, v5, v13, s2
	s_lshl_b32 s2, s12, 4
	s_min_i32 s4, s2, s11
	v_lshlrev_b32_e32 v43, 2, v13
	v_cmp_gt_i32_e64 s2, s4, v0
	s_waitcnt lgkmcnt(0)
	v_max_f32_e32 v12, v12, v12
	v_max_f32_e32 v6, v6, v12
	ds_bpermute_b32 v12, v43, v6
	s_waitcnt lgkmcnt(0)
	v_max_f32_e32 v12, v12, v12
	v_max_f32_e32 v6, v6, v12
	ds_bpermute_b32 v12, v10, v6
	v_mov_b32_e32 v10, 0
	v_lshl_add_u32 v6, v0, 2, 0x100
	s_and_saveexec_b32 s5, s2
	s_cbranch_execz .LBB139_20
; %bb.17:
	v_lshl_add_u32 v13, v0, 2, 0x100
	v_mov_b32_e32 v10, 0
	v_mov_b32_e32 v14, v0
	s_mov_b32 s15, 0
	.p2align	6
.LBB139_18:                             ; =>This Inner Loop Header: Depth=1
	ds_read_b32 v15, v13
	v_add_nc_u32_e32 v14, 0x80, v14
	v_cmp_le_i32_e64 s3, s4, v14
	s_or_b32 s15, s3, s15
	s_waitcnt lgkmcnt(0)
	v_sub_f32_e32 v15, v15, v12
	v_mul_f32_e32 v15, 0x3fb8aa3b, v15
	v_exp_f32_e32 v15, v15
	ds_write_b32 v13, v15
	v_add_f32_e32 v10, v10, v15
	v_add_nc_u32_e32 v13, 0x200, v13
	s_andn2_b32 exec_lo, exec_lo, s15
	s_cbranch_execnz .LBB139_18
; %bb.19:
	s_or_b32 exec_lo, exec_lo, s15
.LBB139_20:
	s_or_b32 exec_lo, exec_lo, s5
	ds_bpermute_b32 v2, v2, v10
	s_waitcnt lgkmcnt(0)
	v_add_f32_e32 v2, v10, v2
	ds_bpermute_b32 v7, v7, v2
	s_waitcnt lgkmcnt(0)
	v_add_f32_e32 v2, v2, v7
	;; [unrolled: 3-line block ×5, first 2 shown]
	s_and_saveexec_b32 s3, vcc_lo
; %bb.21:
	ds_write_b32 v9, v2 offset:240
; %bb.22:
	s_or_b32 exec_lo, exec_lo, s3
	s_waitcnt lgkmcnt(0)
	s_barrier
	buffer_gl0_inv
	s_and_saveexec_b32 s3, s1
; %bb.23:
	ds_read_b32 v2, v11 offset:240
; %bb.24:
	s_or_b32 exec_lo, exec_lo, s3
	s_waitcnt lgkmcnt(0)
	ds_bpermute_b32 v1, v1, v2
	v_lshlrev_b32_e32 v5, 2, v5
	s_waitcnt lgkmcnt(0)
	v_add_f32_e32 v1, v2, v1
	ds_bpermute_b32 v2, v43, v1
	s_waitcnt lgkmcnt(0)
	v_add_f32_e32 v1, v1, v2
	v_and_b32_e32 v2, 0xffffff80, v5
	ds_bpermute_b32 v1, v2, v1
	s_and_saveexec_b32 s1, s2
	s_cbranch_execz .LBB139_27
; %bb.25:
	s_waitcnt lgkmcnt(0)
	v_add_f32_e32 v1, 0x358637bd, v1
	s_mov_b32 s2, 0
	v_div_scale_f32 v2, null, v1, v1, 1.0
	v_div_scale_f32 v8, vcc_lo, 1.0, v1, 1.0
	v_rcp_f32_e32 v5, v2
	v_fma_f32 v7, -v2, v5, 1.0
	v_fmac_f32_e32 v5, v7, v5
	v_mul_f32_e32 v7, v8, v5
	v_fma_f32 v9, -v2, v7, v8
	v_fmac_f32_e32 v7, v9, v5
	v_fma_f32 v2, -v2, v7, v8
	v_div_fmas_f32 v2, v2, v5, v7
	v_div_fixup_f32 v1, v2, v1, 1.0
	v_mov_b32_e32 v2, v0
.LBB139_26:                             ; =>This Inner Loop Header: Depth=1
	ds_read_b32 v5, v6
	v_add_nc_u32_e32 v2, 0x80, v2
	v_cmp_le_i32_e32 vcc_lo, s4, v2
	s_or_b32 s2, vcc_lo, s2
	s_waitcnt lgkmcnt(0)
	v_mul_f32_e32 v5, v1, v5
	ds_write_b32 v6, v5
	v_add_nc_u32_e32 v6, 0x200, v6
	s_andn2_b32 exec_lo, exec_lo, s2
	s_cbranch_execnz .LBB139_26
.LBB139_27:
	s_or_b32 exec_lo, exec_lo, s1
	v_mov_b32_e32 v49, 0
	v_mov_b32_e32 v50, 0
	;; [unrolled: 1-line block ×7, first 2 shown]
	s_waitcnt lgkmcnt(0)
	s_barrier
	buffer_gl0_inv
	s_and_saveexec_b32 s3, s0
	s_cbranch_execz .LBB139_45
; %bb.28:
	v_lshlrev_b32_e32 v1, 4, v0
	s_ashr_i32 s15, s14, 31
	v_and_b32_e32 v2, 8, v3
	s_lshl_b64 s[0:1], s[14:15], 1
	v_lshlrev_b32_e32 v3, 5, v40
	v_and_b32_e32 v1, 0x1f0, v1
	s_add_u32 s0, s22, s0
	s_addc_u32 s1, s23, s1
	s_add_i32 s4, s12, -1
	v_lshl_or_b32 v3, v41, 6, v3
	v_add_co_u32 v52, s0, s0, v1
	v_and_b32_e32 v1, 0x7c, v4
	v_add_co_ci_u32_e64 v53, null, s1, 0, s0
	s_lshl_b64 s[0:1], s[20:21], 2
	v_mov_b32_e32 v51, 0
	s_add_u32 s0, s18, s0
	s_addc_u32 s1, s19, s1
	v_add_co_u32 v37, s0, s0, v1
	v_lshl_or_b32 v54, v41, 4, v2
	v_add_nc_u32_e32 v55, 0x100, v3
	v_add_co_ci_u32_e64 v38, null, s1, 0, s0
	v_mov_b32_e32 v44, 0
	v_mov_b32_e32 v45, 0
	;; [unrolled: 1-line block ×8, first 2 shown]
	s_mov_b32 s5, s13
	s_mov_b32 s14, s11
	;; [unrolled: 1-line block ×3, first 2 shown]
	s_branch .LBB139_30
.LBB139_29:                             ;   in Loop: Header=BB139_30 Depth=1
	s_or_b32 exec_lo, exec_lo, s2
	s_waitcnt lgkmcnt(1)
	v_bfe_u32 v57, v25, 16, 1
	v_or_b32_e32 v58, 0x400000, v25
	v_bfe_u32 v59, v26, 16, 1
	v_cmp_u_f32_e32 vcc_lo, v25, v25
	v_bfe_u32 v60, v27, 16, 1
	v_add3_u32 v57, v57, v25, 0x7fff
	v_or_b32_e32 v61, 0x400000, v26
	v_add3_u32 v59, v59, v26, 0x7fff
	v_or_b32_e32 v62, 0x400000, v27
	v_add3_u32 v60, v60, v27, 0x7fff
	v_cndmask_b32_e32 v25, v57, v58, vcc_lo
	v_cmp_u_f32_e32 vcc_lo, v26, v26
	v_bfe_u32 v57, v28, 16, 1
	s_waitcnt lgkmcnt(0)
	v_bfe_u32 v58, v21, 16, 1
	s_waitcnt vmcnt(1)
	v_and_b32_e32 v64, 0xffff0000, v36
	v_add_nc_u32_e32 v56, 4, v56
	v_cndmask_b32_e32 v26, v59, v61, vcc_lo
	v_cmp_u_f32_e32 vcc_lo, v27, v27
	v_add3_u32 v57, v57, v28, 0x7fff
	v_or_b32_e32 v59, 0x400000, v28
	v_add3_u32 v58, v58, v21, 0x7fff
	v_bfe_u32 v61, v22, 16, 1
	v_cndmask_b32_e32 v27, v60, v62, vcc_lo
	v_cmp_u_f32_e32 vcc_lo, v28, v28
	v_or_b32_e32 v60, 0x400000, v21
	v_add_co_u32 v37, s0, v37, 16
	v_and_b32_e32 v27, 0xffff0000, v27
	v_cndmask_b32_e32 v28, v57, v59, vcc_lo
	v_cmp_u_f32_e32 vcc_lo, v21, v21
	v_or_b32_e32 v59, 0x400000, v22
	v_and_b32_e32 v21, 0xffff0000, v26
	v_and_b32_e32 v26, 0xffff0000, v33
	v_add_nc_u32_e32 v54, 64, v54
	v_cndmask_b32_e32 v57, v58, v60, vcc_lo
	v_add3_u32 v58, v61, v22, 0x7fff
	v_bfe_u32 v60, v23, 16, 1
	v_cmp_u_f32_e32 vcc_lo, v22, v22
	v_mul_f32_e32 v61, v21, v26
	v_and_b32_e32 v26, 0xffff0000, v25
	v_lshlrev_b32_e32 v25, 16, v33
	v_add3_u32 v22, v60, v23, 0x7fff
	v_cndmask_b32_e32 v58, v58, v59, vcc_lo
	v_or_b32_e32 v59, 0x400000, v23
	v_bfe_u32 v60, v24, 16, 1
	v_cmp_u_f32_e32 vcc_lo, v23, v23
	v_mul_f32_e32 v25, v26, v25
	v_add_nc_u32_e32 v55, 0x100, v55
	v_add_co_ci_u32_e64 v38, null, 0, v38, s0
	v_cndmask_b32_e32 v33, v22, v59, vcc_lo
	v_add3_u32 v23, v60, v24, 0x7fff
	v_or_b32_e32 v59, 0x400000, v24
	v_bfe_u32 v60, v61, 16, 1
	v_and_b32_e32 v22, 0xffff0000, v28
	v_and_b32_e32 v28, 0xffff0000, v34
	v_cmp_u_f32_e32 vcc_lo, v24, v24
	v_mul_f32_e32 v62, v22, v28
	v_cndmask_b32_e32 v24, v23, v59, vcc_lo
	v_add3_u32 v23, v60, v61, 0x7fff
	v_or_b32_e32 v59, 0x400000, v61
	v_bfe_u32 v60, v25, 16, 1
	v_lshlrev_b32_e32 v28, 16, v34
	v_cmp_u_f32_e32 vcc_lo, v61, v61
	v_bfe_u32 v61, v62, 16, 1
	v_and_b32_e32 v24, 0xffff0000, v24
	v_mul_f32_e32 v63, v27, v28
	v_cndmask_b32_e32 v34, v23, v59, vcc_lo
	v_add3_u32 v59, v60, v25, 0x7fff
	v_or_b32_e32 v60, 0x400000, v25
	v_and_b32_e32 v23, 0xffff0000, v58
	v_and_b32_e32 v28, 0xffff0000, v35
	v_cmp_u_f32_e32 vcc_lo, v25, v25
	v_add3_u32 v25, v61, v62, 0x7fff
	v_lshlrev_b32_e32 v35, 16, v35
	v_and_b32_e32 v34, 0xffff0000, v34
	v_mul_f32_e32 v61, v23, v28
	v_cndmask_b32_e32 v58, v59, v60, vcc_lo
	v_or_b32_e32 v59, 0x400000, v62
	v_bfe_u32 v60, v63, 16, 1
	v_and_b32_e32 v28, 0xffff0000, v57
	v_cmp_u_f32_e32 vcc_lo, v62, v62
	v_bfe_u32 v62, v61, 16, 1
	v_and_b32_e32 v58, 0xffff0000, v58
	v_mul_f32_e32 v35, v28, v35
	v_cndmask_b32_e32 v57, v25, v59, vcc_lo
	v_add3_u32 v59, v60, v63, 0x7fff
	v_or_b32_e32 v60, 0x400000, v63
	v_and_b32_e32 v25, 0xffff0000, v33
	v_lshlrev_b32_e32 v33, 16, v36
	v_cmp_u_f32_e32 vcc_lo, v63, v63
	v_or_b32_e32 v63, 0x400000, v61
	v_and_b32_e32 v57, 0xffff0000, v57
	v_add_f32_e32 v34, v58, v34
	v_mul_f32_e32 v33, v25, v33
	v_cndmask_b32_e32 v36, v59, v60, vcc_lo
	v_bfe_u32 v59, v35, 16, 1
	v_add3_u32 v60, v62, v61, 0x7fff
	v_cmp_u_f32_e32 vcc_lo, v61, v61
	v_mul_f32_e32 v62, v24, v64
	v_or_b32_e32 v64, 0x400000, v35
	v_add3_u32 v59, v59, v35, 0x7fff
	v_bfe_u32 v66, v33, 16, 1
	v_cndmask_b32_e32 v60, v60, v63, vcc_lo
	v_cmp_u_f32_e32 vcc_lo, v35, v35
	v_bfe_u32 v65, v62, 16, 1
	v_or_b32_e32 v63, 0x400000, v33
	v_add3_u32 v61, v66, v33, 0x7fff
	v_and_b32_e32 v36, 0xffff0000, v36
	v_cndmask_b32_e32 v35, v59, v64, vcc_lo
	v_cmp_u_f32_e32 vcc_lo, v33, v33
	v_add3_u32 v59, v65, v62, 0x7fff
	v_or_b32_e32 v64, 0x400000, v62
	v_add_f32_e32 v36, v36, v57
	v_and_b32_e32 v35, 0xffff0000, v35
	v_cndmask_b32_e32 v33, v61, v63, vcc_lo
	v_cmp_u_f32_e32 vcc_lo, v62, v62
	v_and_b32_e32 v57, 0xffff0000, v60
	v_add_f32_e32 v34, v36, v34
	v_and_b32_e32 v33, 0xffff0000, v33
	v_cndmask_b32_e32 v58, v59, v64, vcc_lo
	v_add_f32_e32 v35, v35, v57
	v_and_b32_e32 v57, 0xffff0000, v29
	v_lshlrev_b32_e32 v29, 16, v29
	v_and_b32_e32 v59, 0xffff0000, v32
	v_and_b32_e32 v36, 0xffff0000, v58
	v_add_f32_e32 v34, v35, v34
	v_mul_f32_e32 v35, v21, v57
	v_mul_f32_e32 v29, v26, v29
	v_and_b32_e32 v57, 0xffff0000, v30
	v_add_f32_e32 v33, v33, v36
	v_lshlrev_b32_e32 v30, 16, v30
	v_cmp_u_f32_e32 vcc_lo, v35, v35
	v_bfe_u32 v36, v29, 16, 1
	v_mul_f32_e32 v57, v22, v57
	v_add_f32_e32 v33, v33, v34
	v_bfe_u32 v34, v35, 16, 1
	v_or_b32_e32 v58, 0x400000, v29
	v_add3_u32 v36, v36, v29, 0x7fff
	v_mul_f32_e32 v30, v27, v30
	v_add_f32_e32 v45, v45, v33
	v_add3_u32 v33, v34, v35, 0x7fff
	v_or_b32_e32 v34, 0x400000, v35
	v_and_b32_e32 v35, 0xffff0000, v31
	v_lshlrev_b32_e32 v31, 16, v31
	v_lshlrev_b32_e32 v32, 16, v32
	v_cndmask_b32_e32 v33, v33, v34, vcc_lo
	v_bfe_u32 v34, v57, 16, 1
	v_cmp_u_f32_e32 vcc_lo, v29, v29
	v_mul_f32_e32 v35, v23, v35
	v_mul_f32_e32 v31, v28, v31
	;; [unrolled: 1-line block ×3, first 2 shown]
	v_add3_u32 v34, v34, v57, 0x7fff
	v_cndmask_b32_e32 v29, v36, v58, vcc_lo
	v_or_b32_e32 v36, 0x400000, v57
	v_bfe_u32 v58, v30, 16, 1
	v_cmp_u_f32_e32 vcc_lo, v57, v57
	v_or_b32_e32 v57, 0x400000, v30
	v_bfe_u32 v60, v31, 16, 1
	v_and_b32_e32 v29, 0xffff0000, v29
	v_and_b32_e32 v33, 0xffff0000, v33
	v_cndmask_b32_e32 v34, v34, v36, vcc_lo
	v_add3_u32 v36, v58, v30, 0x7fff
	v_bfe_u32 v58, v35, 16, 1
	v_cmp_u_f32_e32 vcc_lo, v30, v30
	v_add_f32_e32 v29, v29, v33
	v_and_b32_e32 v34, 0xffff0000, v34
	v_cndmask_b32_e32 v30, v36, v57, vcc_lo
	v_add3_u32 v36, v58, v35, 0x7fff
	v_mul_f32_e32 v57, v24, v59
	v_or_b32_e32 v58, 0x400000, v35
	v_cmp_u_f32_e32 vcc_lo, v35, v35
	v_add3_u32 v59, v60, v31, 0x7fff
	v_or_b32_e32 v60, 0x400000, v31
	v_bfe_u32 v61, v57, 16, 1
	v_and_b32_e32 v30, 0xffff0000, v30
	v_cndmask_b32_e32 v35, v36, v58, vcc_lo
	v_cmp_u_f32_e32 vcc_lo, v31, v31
	v_or_b32_e32 v58, 0x400000, v57
	v_add3_u32 v36, v61, v57, 0x7fff
	v_add_f32_e32 v30, v30, v34
	v_and_b32_e32 v34, 0xffff0000, v17
	v_cndmask_b32_e32 v31, v59, v60, vcc_lo
	v_bfe_u32 v59, v32, 16, 1
	v_cmp_u_f32_e32 vcc_lo, v57, v57
	v_and_b32_e32 v33, 0xffff0000, v35
	v_lshlrev_b32_e32 v17, 16, v17
	v_and_b32_e32 v31, 0xffff0000, v31
	v_add3_u32 v57, v59, v32, 0x7fff
	v_cndmask_b32_e32 v36, v36, v58, vcc_lo
	v_or_b32_e32 v58, 0x400000, v32
	v_cmp_u_f32_e32 vcc_lo, v32, v32
	v_add_f32_e32 v29, v30, v29
	v_mul_f32_e32 v30, v21, v34
	v_add_f32_e32 v31, v31, v33
	v_mul_f32_e32 v17, v26, v17
	v_cndmask_b32_e32 v32, v57, v58, vcc_lo
	v_and_b32_e32 v33, 0xffff0000, v36
	v_bfe_u32 v34, v30, 16, 1
	v_add_f32_e32 v29, v31, v29
	v_bfe_u32 v31, v17, 16, 1
	v_and_b32_e32 v32, 0xffff0000, v32
	v_and_b32_e32 v35, 0xffff0000, v18
	v_cmp_u_f32_e32 vcc_lo, v30, v30
	v_or_b32_e32 v36, 0x400000, v17
	v_add3_u32 v31, v31, v17, 0x7fff
	v_add_f32_e32 v32, v32, v33
	v_add3_u32 v33, v34, v30, 0x7fff
	v_or_b32_e32 v34, 0x400000, v30
	v_mul_f32_e32 v35, v22, v35
	v_lshlrev_b32_e32 v18, 16, v18
	v_and_b32_e32 v57, 0xffff0000, v20
	v_lshlrev_b32_e32 v20, 16, v20
	v_cndmask_b32_e32 v30, v33, v34, vcc_lo
	v_cmp_u_f32_e32 vcc_lo, v17, v17
	v_bfe_u32 v33, v35, 16, 1
	v_mul_f32_e32 v18, v27, v18
	v_or_b32_e32 v34, 0x400000, v35
	v_mul_f32_e32 v20, v25, v20
	v_cndmask_b32_e32 v17, v31, v36, vcc_lo
	v_and_b32_e32 v31, 0xffff0000, v19
	v_add3_u32 v33, v33, v35, 0x7fff
	v_lshlrev_b32_e32 v19, 16, v19
	v_bfe_u32 v36, v18, 16, 1
	v_cmp_u_f32_e32 vcc_lo, v35, v35
	v_mul_f32_e32 v31, v23, v31
	v_or_b32_e32 v35, 0x400000, v18
	v_mul_f32_e32 v19, v28, v19
	v_and_b32_e32 v17, 0xffff0000, v17
	v_cndmask_b32_e32 v33, v33, v34, vcc_lo
	v_add3_u32 v34, v36, v18, 0x7fff
	v_bfe_u32 v36, v31, 16, 1
	v_cmp_u_f32_e32 vcc_lo, v18, v18
	v_bfe_u32 v58, v19, 16, 1
	v_and_b32_e32 v30, 0xffff0000, v30
	v_and_b32_e32 v33, 0xffff0000, v33
	v_add_f32_e32 v29, v32, v29
	v_cndmask_b32_e32 v18, v34, v35, vcc_lo
	v_add3_u32 v34, v36, v31, 0x7fff
	v_mul_f32_e32 v35, v24, v57
	v_or_b32_e32 v36, 0x400000, v31
	v_cmp_u_f32_e32 vcc_lo, v31, v31
	v_add3_u32 v57, v58, v19, 0x7fff
	v_or_b32_e32 v58, 0x400000, v19
	v_bfe_u32 v59, v35, 16, 1
	v_and_b32_e32 v18, 0xffff0000, v18
	v_cndmask_b32_e32 v31, v34, v36, vcc_lo
	v_cmp_u_f32_e32 vcc_lo, v19, v19
	v_or_b32_e32 v36, 0x400000, v35
	v_add3_u32 v34, v59, v35, 0x7fff
	v_add_f32_e32 v17, v17, v30
	v_add_f32_e32 v18, v18, v33
	v_cndmask_b32_e32 v19, v57, v58, vcc_lo
	v_bfe_u32 v57, v20, 16, 1
	v_cmp_u_f32_e32 vcc_lo, v35, v35
	v_and_b32_e32 v30, 0xffff0000, v31
	v_add_f32_e32 v17, v18, v17
	v_and_b32_e32 v19, 0xffff0000, v19
	v_add3_u32 v35, v57, v20, 0x7fff
	v_cndmask_b32_e32 v34, v34, v36, vcc_lo
	v_or_b32_e32 v36, 0x400000, v20
	v_cmp_u_f32_e32 vcc_lo, v20, v20
	v_and_b32_e32 v18, 0xffff0000, v13
	v_add_f32_e32 v19, v19, v30
	v_lshlrev_b32_e32 v13, 16, v13
	v_and_b32_e32 v30, 0xffff0000, v34
	v_cndmask_b32_e32 v20, v35, v36, vcc_lo
	v_mul_f32_e32 v18, v21, v18
	v_add_f32_e32 v46, v46, v29
	v_mul_f32_e32 v31, v26, v13
	v_add_f32_e32 v13, v19, v17
	v_and_b32_e32 v20, 0xffff0000, v20
	v_bfe_u32 v19, v18, 16, 1
	v_and_b32_e32 v29, 0xffff0000, v14
	v_cmp_u_f32_e32 vcc_lo, v18, v18
	v_lshlrev_b32_e32 v14, 16, v14
	v_add_f32_e32 v17, v20, v30
	v_bfe_u32 v20, v31, 16, 1
	v_mul_f32_e32 v29, v22, v29
	v_or_b32_e32 v30, 0x400000, v31
	v_mul_f32_e32 v14, v27, v14
	v_add_f32_e32 v13, v17, v13
	v_add3_u32 v17, v19, v18, 0x7fff
	v_or_b32_e32 v19, 0x400000, v18
	v_add3_u32 v20, v20, v31, 0x7fff
	v_bfe_u32 v18, v29, 16, 1
	v_and_b32_e32 v32, 0xffff0000, v16
	v_lshlrev_b32_e32 v16, 16, v16
	v_cndmask_b32_e32 v17, v17, v19, vcc_lo
	v_cmp_u_f32_e32 vcc_lo, v31, v31
	v_add3_u32 v18, v18, v29, 0x7fff
	v_bfe_u32 v31, v14, 16, 1
	v_mul_f32_e32 v16, v25, v16
	v_and_b32_e32 v17, 0xffff0000, v17
	v_cndmask_b32_e32 v19, v20, v30, vcc_lo
	v_and_b32_e32 v20, 0xffff0000, v15
	v_or_b32_e32 v30, 0x400000, v29
	v_lshlrev_b32_e32 v15, 16, v15
	v_cmp_u_f32_e32 vcc_lo, v29, v29
	v_add3_u32 v29, v31, v14, 0x7fff
	v_mul_f32_e32 v20, v23, v20
	v_and_b32_e32 v19, 0xffff0000, v19
	v_mul_f32_e32 v15, v28, v15
	v_cndmask_b32_e32 v18, v18, v30, vcc_lo
	v_or_b32_e32 v30, 0x400000, v14
	v_bfe_u32 v31, v20, 16, 1
	v_cmp_u_f32_e32 vcc_lo, v14, v14
	v_bfe_u32 v33, v15, 16, 1
	v_and_b32_e32 v18, 0xffff0000, v18
	v_add_f32_e32 v17, v19, v17
	v_and_b32_e32 v19, 0xffff0000, v5
	v_cndmask_b32_e32 v14, v29, v30, vcc_lo
	v_add3_u32 v29, v31, v20, 0x7fff
	v_mul_f32_e32 v30, v24, v32
	v_or_b32_e32 v31, 0x400000, v20
	v_cmp_u_f32_e32 vcc_lo, v20, v20
	v_add3_u32 v32, v33, v15, 0x7fff
	v_or_b32_e32 v33, 0x400000, v15
	v_bfe_u32 v34, v30, 16, 1
	v_and_b32_e32 v14, 0xffff0000, v14
	v_cndmask_b32_e32 v20, v29, v31, vcc_lo
	v_cmp_u_f32_e32 vcc_lo, v15, v15
	v_or_b32_e32 v31, 0x400000, v30
	v_add3_u32 v29, v34, v30, 0x7fff
	v_add_f32_e32 v14, v14, v18
	v_and_b32_e32 v18, 0xffff0000, v20
	v_cndmask_b32_e32 v15, v32, v33, vcc_lo
	v_bfe_u32 v32, v16, 16, 1
	v_cmp_u_f32_e32 vcc_lo, v30, v30
	v_lshlrev_b32_e32 v5, 16, v5
	v_add_f32_e32 v14, v14, v17
	v_and_b32_e32 v15, 0xffff0000, v15
	v_add3_u32 v30, v32, v16, 0x7fff
	v_cndmask_b32_e32 v29, v29, v31, vcc_lo
	v_or_b32_e32 v31, 0x400000, v16
	v_cmp_u_f32_e32 vcc_lo, v16, v16
	v_mul_f32_e32 v17, v21, v19
	v_add_f32_e32 v15, v15, v18
	v_mul_f32_e32 v18, v26, v5
	v_and_b32_e32 v19, 0xffff0000, v29
	v_cndmask_b32_e32 v16, v30, v31, vcc_lo
	v_and_b32_e32 v20, 0xffff0000, v6
	v_bfe_u32 v29, v17, 16, 1
	v_add_f32_e32 v5, v15, v14
	v_bfe_u32 v15, v18, 16, 1
	v_and_b32_e32 v16, 0xffff0000, v16
	v_cmp_u_f32_e32 vcc_lo, v17, v17
	v_lshlrev_b32_e32 v6, 16, v6
	v_add_f32_e32 v47, v47, v13
	v_add3_u32 v15, v15, v18, 0x7fff
	v_add_f32_e32 v14, v16, v19
	v_mul_f32_e32 v16, v22, v20
	v_add3_u32 v19, v29, v17, 0x7fff
	v_or_b32_e32 v20, 0x400000, v17
	v_or_b32_e32 v29, 0x400000, v18
	v_mul_f32_e32 v6, v27, v6
	v_bfe_u32 v30, v16, 16, 1
	v_add_f32_e32 v5, v14, v5
	v_cndmask_b32_e32 v17, v19, v20, vcc_lo
	v_cmp_u_f32_e32 vcc_lo, v18, v18
	v_or_b32_e32 v19, 0x400000, v16
	v_add3_u32 v18, v30, v16, 0x7fff
	v_and_b32_e32 v20, 0xffff0000, v7
	v_lshlrev_b32_e32 v7, 16, v7
	v_cndmask_b32_e32 v15, v15, v29, vcc_lo
	v_cmp_u_f32_e32 vcc_lo, v16, v16
	v_bfe_u32 v29, v6, 16, 1
	v_and_b32_e32 v17, 0xffff0000, v17
	v_mul_f32_e32 v7, v28, v7
	v_and_b32_e32 v15, 0xffff0000, v15
	v_cndmask_b32_e32 v16, v18, v19, vcc_lo
	v_mul_f32_e32 v18, v23, v20
	v_add3_u32 v19, v29, v6, 0x7fff
	v_or_b32_e32 v20, 0x400000, v6
	v_and_b32_e32 v29, 0xffff0000, v8
	v_cmp_u_f32_e32 vcc_lo, v6, v6
	v_bfe_u32 v30, v18, 16, 1
	v_bfe_u32 v31, v7, 16, 1
	v_lshlrev_b32_e32 v8, 16, v8
	v_and_b32_e32 v16, 0xffff0000, v16
	v_cndmask_b32_e32 v6, v19, v20, vcc_lo
	v_mul_f32_e32 v19, v24, v29
	v_add3_u32 v20, v30, v18, 0x7fff
	v_or_b32_e32 v29, 0x400000, v18
	v_cmp_u_f32_e32 vcc_lo, v18, v18
	v_add3_u32 v30, v31, v7, 0x7fff
	v_or_b32_e32 v31, 0x400000, v7
	v_bfe_u32 v32, v19, 16, 1
	v_and_b32_e32 v6, 0xffff0000, v6
	v_cndmask_b32_e32 v18, v20, v29, vcc_lo
	v_cmp_u_f32_e32 vcc_lo, v7, v7
	v_or_b32_e32 v29, 0x400000, v19
	v_add3_u32 v20, v32, v19, 0x7fff
	v_mul_f32_e32 v8, v25, v8
	v_add_f32_e32 v15, v15, v17
	v_cndmask_b32_e32 v7, v30, v31, vcc_lo
	v_cmp_u_f32_e32 vcc_lo, v19, v19
	v_add_f32_e32 v6, v6, v16
	v_and_b32_e32 v16, 0xffff0000, v1
	v_and_b32_e32 v17, 0xffff0000, v18
	;; [unrolled: 1-line block ×3, first 2 shown]
	v_cndmask_b32_e32 v19, v20, v29, vcc_lo
	v_bfe_u32 v20, v8, 16, 1
	v_add_f32_e32 v6, v6, v15
	v_mul_f32_e32 v15, v21, v16
	v_add_f32_e32 v7, v7, v17
	v_lshlrev_b32_e32 v1, 16, v1
	v_add3_u32 v18, v20, v8, 0x7fff
	v_or_b32_e32 v20, 0x400000, v8
	v_cmp_u_f32_e32 vcc_lo, v8, v8
	v_bfe_u32 v16, v15, 16, 1
	v_add_f32_e32 v6, v7, v6
	v_and_b32_e32 v7, 0xffff0000, v2
	v_mul_f32_e32 v1, v26, v1
	v_cndmask_b32_e32 v8, v18, v20, vcc_lo
	v_add3_u32 v16, v16, v15, 0x7fff
	v_or_b32_e32 v17, 0x400000, v15
	v_mul_f32_e32 v7, v22, v7
	v_and_b32_e32 v18, 0xffff0000, v19
	v_bfe_u32 v19, v1, 16, 1
	v_cmp_u_f32_e32 vcc_lo, v15, v15
	v_lshlrev_b32_e32 v2, 16, v2
	v_or_b32_e32 v20, 0x400000, v1
	v_or_b32_e32 v29, 0x400000, v7
	v_and_b32_e32 v8, 0xffff0000, v8
	v_cndmask_b32_e32 v15, v16, v17, vcc_lo
	v_bfe_u32 v16, v7, 16, 1
	v_add3_u32 v17, v19, v1, 0x7fff
	v_and_b32_e32 v19, 0xffff0000, v3
	v_mul_f32_e32 v2, v27, v2
	v_cmp_u_f32_e32 vcc_lo, v1, v1
	v_add3_u32 v16, v16, v7, 0x7fff
	v_lshlrev_b32_e32 v3, 16, v3
	v_mul_f32_e32 v19, v23, v19
	v_and_b32_e32 v15, 0xffff0000, v15
	v_cndmask_b32_e32 v1, v17, v20, vcc_lo
	v_bfe_u32 v17, v2, 16, 1
	v_cmp_u_f32_e32 vcc_lo, v7, v7
	v_and_b32_e32 v20, 0xffff0000, v4
	v_mul_f32_e32 v3, v28, v3
	v_or_b32_e32 v30, 0x400000, v19
	v_add3_u32 v17, v17, v2, 0x7fff
	v_cndmask_b32_e32 v7, v16, v29, vcc_lo
	v_bfe_u32 v16, v19, 16, 1
	v_or_b32_e32 v29, 0x400000, v2
	v_cmp_u_f32_e32 vcc_lo, v2, v2
	v_mul_f32_e32 v20, v24, v20
	v_lshlrev_b32_e32 v4, 16, v4
	v_add3_u32 v16, v16, v19, 0x7fff
	v_and_b32_e32 v1, 0xffff0000, v1
	v_cndmask_b32_e32 v2, v17, v29, vcc_lo
	v_bfe_u32 v17, v3, 16, 1
	v_cmp_u_f32_e32 vcc_lo, v19, v19
	v_bfe_u32 v29, v20, 16, 1
	v_or_b32_e32 v19, 0x400000, v3
	v_mul_f32_e32 v4, v25, v4
	v_add3_u32 v17, v17, v3, 0x7fff
	v_cndmask_b32_e32 v16, v16, v30, vcc_lo
	v_cmp_u_f32_e32 vcc_lo, v3, v3
	v_add3_u32 v29, v29, v20, 0x7fff
	v_or_b32_e32 v30, 0x400000, v20
	v_and_b32_e32 v2, 0xffff0000, v2
	v_and_b32_e32 v7, 0xffff0000, v7
	v_cndmask_b32_e32 v3, v17, v19, vcc_lo
	v_cmp_u_f32_e32 vcc_lo, v20, v20
	v_bfe_u32 v19, v4, 16, 1
	v_add_f32_e32 v1, v1, v15
	v_add_f32_e32 v2, v2, v7
	v_and_b32_e32 v3, 0xffff0000, v3
	v_cndmask_b32_e32 v17, v29, v30, vcc_lo
	s_waitcnt vmcnt(0)
	v_lshlrev_b32_e32 v29, 16, v9
	v_and_b32_e32 v7, 0xffff0000, v16
	v_and_b32_e32 v9, 0xffff0000, v9
	v_add3_u32 v19, v19, v4, 0x7fff
	v_or_b32_e32 v20, 0x400000, v4
	v_mul_f32_e32 v15, v26, v29
	v_cmp_u_f32_e32 vcc_lo, v4, v4
	v_add_f32_e32 v1, v2, v1
	v_add_f32_e32 v3, v3, v7
	v_mul_f32_e32 v7, v21, v9
	v_bfe_u32 v2, v15, 16, 1
	v_lshlrev_b32_e32 v9, 16, v10
	v_cndmask_b32_e32 v4, v19, v20, vcc_lo
	v_or_b32_e32 v16, 0x400000, v15
	v_bfe_u32 v19, v7, 16, 1
	v_add3_u32 v2, v2, v15, 0x7fff
	v_mul_f32_e32 v9, v27, v9
	v_and_b32_e32 v10, 0xffff0000, v10
	v_cmp_u_f32_e32 vcc_lo, v15, v15
	v_add3_u32 v15, v19, v7, 0x7fff
	v_lshlrev_b32_e32 v20, 16, v11
	v_bfe_u32 v19, v9, 16, 1
	v_mul_f32_e32 v10, v22, v10
	v_cndmask_b32_e32 v2, v2, v16, vcc_lo
	v_or_b32_e32 v16, 0x400000, v7
	v_cmp_u_f32_e32 vcc_lo, v7, v7
	v_mul_f32_e32 v20, v28, v20
	v_and_b32_e32 v11, 0xffff0000, v11
	v_lshlrev_b32_e32 v21, 16, v12
	v_and_b32_e32 v12, 0xffff0000, v12
	v_cndmask_b32_e32 v7, v15, v16, vcc_lo
	v_add3_u32 v15, v19, v9, 0x7fff
	v_or_b32_e32 v16, 0x400000, v9
	v_bfe_u32 v19, v10, 16, 1
	v_cmp_u_f32_e32 vcc_lo, v9, v9
	v_mul_f32_e32 v11, v23, v11
	v_mul_f32_e32 v12, v24, v12
	v_and_b32_e32 v7, 0xffff0000, v7
	v_and_b32_e32 v2, 0xffff0000, v2
	v_cndmask_b32_e32 v9, v15, v16, vcc_lo
	v_add3_u32 v15, v19, v10, 0x7fff
	v_or_b32_e32 v16, 0x400000, v10
	v_bfe_u32 v19, v20, 16, 1
	v_cmp_u_f32_e32 vcc_lo, v10, v10
	v_or_b32_e32 v22, 0x400000, v11
	v_bfe_u32 v24, v12, 16, 1
	v_and_b32_e32 v9, 0xffff0000, v9
	v_add_f32_e32 v2, v2, v7
	v_cndmask_b32_e32 v10, v15, v16, vcc_lo
	v_bfe_u32 v15, v11, 16, 1
	v_add3_u32 v16, v19, v20, 0x7fff
	v_mul_f32_e32 v19, v25, v21
	v_or_b32_e32 v21, 0x400000, v20
	v_cmp_u_f32_e32 vcc_lo, v20, v20
	v_add3_u32 v15, v15, v11, 0x7fff
	v_add3_u32 v20, v24, v12, 0x7fff
	v_bfe_u32 v23, v19, 16, 1
	v_and_b32_e32 v10, 0xffff0000, v10
	v_cndmask_b32_e32 v16, v16, v21, vcc_lo
	v_cmp_u_f32_e32 vcc_lo, v11, v11
	v_or_b32_e32 v21, 0x400000, v12
	v_and_b32_e32 v4, 0xffff0000, v4
	v_add_f32_e32 v7, v9, v10
	v_and_b32_e32 v10, 0xffff0000, v16
	v_cndmask_b32_e32 v11, v15, v22, vcc_lo
	v_cmp_u_f32_e32 vcc_lo, v12, v12
	v_add3_u32 v15, v23, v19, 0x7fff
	v_or_b32_e32 v22, 0x400000, v19
	v_add_f32_e32 v2, v7, v2
	v_and_b32_e32 v9, 0xffff0000, v11
	v_cndmask_b32_e32 v12, v20, v21, vcc_lo
	v_cmp_u_f32_e32 vcc_lo, v19, v19
	v_add_f32_e32 v8, v8, v18
	v_add_f32_e32 v1, v3, v1
	;; [unrolled: 1-line block ×3, first 2 shown]
	v_and_b32_e32 v9, 0xffff0000, v12
	v_cndmask_b32_e32 v11, v15, v22, vcc_lo
	v_and_b32_e32 v15, 0xffff0000, v17
	v_add_f32_e32 v6, v8, v6
	v_add_f32_e32 v2, v7, v2
	v_cmp_le_i32_e32 vcc_lo, s12, v56
	v_and_b32_e32 v10, 0xffff0000, v11
	v_add_f32_e32 v3, v4, v15
	v_add_f32_e32 v48, v48, v5
	;; [unrolled: 1-line block ×3, first 2 shown]
	s_or_b32 s13, vcc_lo, s13
	v_add_f32_e32 v4, v10, v9
	v_add_f32_e32 v1, v3, v1
	;; [unrolled: 1-line block ×5, first 2 shown]
	s_andn2_b32 exec_lo, exec_lo, s13
	s_cbranch_execz .LBB139_44
.LBB139_30:                             ; =>This Inner Loop Header: Depth=1
	global_load_dword v1, v[37:38], off
	v_cmp_eq_u32_e64 s0, s4, v56
	v_add_nc_u32_e32 v63, 1, v54
	v_or_b32_e32 v61, 3, v54
	v_or_b32_e32 v62, 2, v54
	;; [unrolled: 1-line block ×6, first 2 shown]
	s_waitcnt vmcnt(0)
	v_mad_i64_i32 v[1:2], null, v1, s5, 0
	v_lshlrev_b64 v[1:2], 1, v[1:2]
	v_add_co_u32 v9, vcc_lo, v52, v1
	v_add_co_ci_u32_e64 v10, null, v53, v2, vcc_lo
	global_load_dwordx4 v[1:4], v[9:10], off
	ds_read2_b64 v[25:28], v55 offset1:1
	ds_read2_b64 v[21:24], v55 offset0:2 offset1:3
	s_and_saveexec_b32 s15, s0
	s_cbranch_execnz .LBB139_38
; %bb.31:                               ;   in Loop: Header=BB139_30 Depth=1
	s_or_b32 exec_lo, exec_lo, s15
	global_load_dwordx4 v[5:8], v[9:10], off offset:512
	s_and_saveexec_b32 s15, s0
	s_cbranch_execnz .LBB139_39
.LBB139_32:                             ;   in Loop: Header=BB139_30 Depth=1
	s_or_b32 exec_lo, exec_lo, s15
	global_load_dwordx4 v[13:16], v[9:10], off offset:1024
	s_and_saveexec_b32 s15, s0
	s_cbranch_execnz .LBB139_40
.LBB139_33:                             ;   in Loop: Header=BB139_30 Depth=1
	s_or_b32 exec_lo, exec_lo, s15
	global_load_dwordx4 v[17:20], v[9:10], off offset:1536
	s_and_saveexec_b32 s15, s0
	s_cbranch_execz .LBB139_35
.LBB139_34:                             ;   in Loop: Header=BB139_30 Depth=1
	v_cmp_gt_i32_e64 s1, s11, v54
	v_cmp_gt_i32_e32 vcc_lo, s14, v63
	v_cmp_gt_i32_e64 s2, s11, v62
	s_waitcnt vmcnt(0)
	v_cndmask_b32_e64 v11, 0, v17, s1
	v_cmp_gt_i32_e64 s1, s14, v61
	v_cndmask_b32_sdwa v17, v51, v17, vcc_lo dst_sel:DWORD dst_unused:UNUSED_PAD src0_sel:DWORD src1_sel:WORD_1
	v_cndmask_b32_e64 v12, 0, v18, s2
	v_cmp_gt_i32_e64 s2, s14, v60
	s_mov_b32 vcc_lo, s1
	v_cmp_gt_i32_e64 s1, s14, v58
	v_cndmask_b32_sdwa v18, v51, v18, vcc_lo dst_sel:DWORD dst_unused:UNUSED_PAD src0_sel:DWORD src1_sel:WORD_1
	v_cmp_gt_i32_e32 vcc_lo, s11, v59
	v_perm_b32 v17, v17, v11, 0x5040100
	v_perm_b32 v18, v18, v12, 0x5040100
	v_cndmask_b32_e32 v29, 0, v19, vcc_lo
	s_mov_b32 vcc_lo, s2
	v_cndmask_b32_sdwa v19, v51, v19, vcc_lo dst_sel:DWORD dst_unused:UNUSED_PAD src0_sel:DWORD src1_sel:WORD_1
	v_cmp_gt_i32_e32 vcc_lo, s11, v57
	v_perm_b32 v19, v19, v29, 0x5040100
	v_cndmask_b32_e32 v30, 0, v20, vcc_lo
	s_mov_b32 vcc_lo, s1
	v_cndmask_b32_sdwa v20, v51, v20, vcc_lo dst_sel:DWORD dst_unused:UNUSED_PAD src0_sel:DWORD src1_sel:WORD_1
	v_perm_b32 v20, v20, v30, 0x5040100
.LBB139_35:                             ;   in Loop: Header=BB139_30 Depth=1
	s_or_b32 exec_lo, exec_lo, s15
	v_add_co_u32 v9, vcc_lo, 0x800, v9
	v_add_co_ci_u32_e64 v10, null, 0, v10, vcc_lo
	global_load_dwordx4 v[29:32], v[9:10], off
	s_and_saveexec_b32 s15, s0
	s_cbranch_execnz .LBB139_41
; %bb.36:                               ;   in Loop: Header=BB139_30 Depth=1
	s_or_b32 exec_lo, exec_lo, s15
	global_load_dwordx4 v[33:36], v[9:10], off offset:512
	s_and_saveexec_b32 s15, s0
	s_cbranch_execnz .LBB139_42
.LBB139_37:                             ;   in Loop: Header=BB139_30 Depth=1
	s_or_b32 exec_lo, exec_lo, s15
	global_load_dwordx4 v[9:12], v[9:10], off offset:1024
	s_and_saveexec_b32 s2, s0
	s_cbranch_execz .LBB139_29
	s_branch .LBB139_43
.LBB139_38:                             ;   in Loop: Header=BB139_30 Depth=1
	v_cmp_gt_i32_e64 s1, s11, v54
	v_cmp_gt_i32_e32 vcc_lo, s14, v63
	v_cmp_gt_i32_e64 s2, s11, v62
	s_waitcnt vmcnt(0)
	v_cndmask_b32_e64 v5, 0, v1, s1
	v_cmp_gt_i32_e64 s1, s14, v61
	v_cndmask_b32_sdwa v1, v51, v1, vcc_lo dst_sel:DWORD dst_unused:UNUSED_PAD src0_sel:DWORD src1_sel:WORD_1
	v_cndmask_b32_e64 v6, 0, v2, s2
	v_cmp_gt_i32_e64 s2, s14, v60
	s_mov_b32 vcc_lo, s1
	v_cmp_gt_i32_e64 s1, s14, v58
	v_cndmask_b32_sdwa v2, v51, v2, vcc_lo dst_sel:DWORD dst_unused:UNUSED_PAD src0_sel:DWORD src1_sel:WORD_1
	v_cmp_gt_i32_e32 vcc_lo, s11, v59
	v_perm_b32 v1, v1, v5, 0x5040100
	v_perm_b32 v2, v2, v6, 0x5040100
	v_cndmask_b32_e32 v7, 0, v3, vcc_lo
	s_mov_b32 vcc_lo, s2
	v_cndmask_b32_sdwa v3, v51, v3, vcc_lo dst_sel:DWORD dst_unused:UNUSED_PAD src0_sel:DWORD src1_sel:WORD_1
	v_cmp_gt_i32_e32 vcc_lo, s11, v57
	v_perm_b32 v3, v3, v7, 0x5040100
	v_cndmask_b32_e32 v8, 0, v4, vcc_lo
	s_mov_b32 vcc_lo, s1
	v_cndmask_b32_sdwa v4, v51, v4, vcc_lo dst_sel:DWORD dst_unused:UNUSED_PAD src0_sel:DWORD src1_sel:WORD_1
	v_perm_b32 v4, v4, v8, 0x5040100
	s_or_b32 exec_lo, exec_lo, s15
	global_load_dwordx4 v[5:8], v[9:10], off offset:512
	s_and_saveexec_b32 s15, s0
	s_cbranch_execz .LBB139_32
.LBB139_39:                             ;   in Loop: Header=BB139_30 Depth=1
	v_cmp_gt_i32_e64 s1, s11, v54
	v_cmp_gt_i32_e32 vcc_lo, s14, v63
	v_cmp_gt_i32_e64 s2, s11, v62
	s_waitcnt vmcnt(0)
	v_cndmask_b32_e64 v11, 0, v5, s1
	v_cmp_gt_i32_e64 s1, s14, v61
	v_cndmask_b32_sdwa v5, v51, v5, vcc_lo dst_sel:DWORD dst_unused:UNUSED_PAD src0_sel:DWORD src1_sel:WORD_1
	v_cndmask_b32_e64 v12, 0, v6, s2
	v_cmp_gt_i32_e64 s2, s14, v60
	s_mov_b32 vcc_lo, s1
	v_cmp_gt_i32_e64 s1, s14, v58
	v_cndmask_b32_sdwa v6, v51, v6, vcc_lo dst_sel:DWORD dst_unused:UNUSED_PAD src0_sel:DWORD src1_sel:WORD_1
	v_cmp_gt_i32_e32 vcc_lo, s11, v59
	v_perm_b32 v5, v5, v11, 0x5040100
	v_perm_b32 v6, v6, v12, 0x5040100
	v_cndmask_b32_e32 v13, 0, v7, vcc_lo
	s_mov_b32 vcc_lo, s2
	v_cndmask_b32_sdwa v7, v51, v7, vcc_lo dst_sel:DWORD dst_unused:UNUSED_PAD src0_sel:DWORD src1_sel:WORD_1
	v_cmp_gt_i32_e32 vcc_lo, s11, v57
	v_perm_b32 v7, v7, v13, 0x5040100
	v_cndmask_b32_e32 v14, 0, v8, vcc_lo
	s_mov_b32 vcc_lo, s1
	v_cndmask_b32_sdwa v8, v51, v8, vcc_lo dst_sel:DWORD dst_unused:UNUSED_PAD src0_sel:DWORD src1_sel:WORD_1
	v_perm_b32 v8, v8, v14, 0x5040100
	s_or_b32 exec_lo, exec_lo, s15
	global_load_dwordx4 v[13:16], v[9:10], off offset:1024
	s_and_saveexec_b32 s15, s0
	s_cbranch_execz .LBB139_33
.LBB139_40:                             ;   in Loop: Header=BB139_30 Depth=1
	v_cmp_gt_i32_e64 s1, s11, v54
	v_cmp_gt_i32_e32 vcc_lo, s14, v63
	v_cmp_gt_i32_e64 s2, s11, v62
	s_waitcnt vmcnt(0)
	v_cndmask_b32_e64 v11, 0, v13, s1
	v_cmp_gt_i32_e64 s1, s14, v61
	v_cndmask_b32_sdwa v13, v51, v13, vcc_lo dst_sel:DWORD dst_unused:UNUSED_PAD src0_sel:DWORD src1_sel:WORD_1
	v_cndmask_b32_e64 v12, 0, v14, s2
	v_cmp_gt_i32_e64 s2, s14, v60
	s_mov_b32 vcc_lo, s1
	v_cmp_gt_i32_e64 s1, s14, v58
	v_cndmask_b32_sdwa v14, v51, v14, vcc_lo dst_sel:DWORD dst_unused:UNUSED_PAD src0_sel:DWORD src1_sel:WORD_1
	v_cmp_gt_i32_e32 vcc_lo, s11, v59
	v_perm_b32 v13, v13, v11, 0x5040100
	v_perm_b32 v14, v14, v12, 0x5040100
	v_cndmask_b32_e32 v17, 0, v15, vcc_lo
	s_mov_b32 vcc_lo, s2
	v_cndmask_b32_sdwa v15, v51, v15, vcc_lo dst_sel:DWORD dst_unused:UNUSED_PAD src0_sel:DWORD src1_sel:WORD_1
	v_cmp_gt_i32_e32 vcc_lo, s11, v57
	v_perm_b32 v15, v15, v17, 0x5040100
	v_cndmask_b32_e32 v18, 0, v16, vcc_lo
	s_mov_b32 vcc_lo, s1
	v_cndmask_b32_sdwa v16, v51, v16, vcc_lo dst_sel:DWORD dst_unused:UNUSED_PAD src0_sel:DWORD src1_sel:WORD_1
	v_perm_b32 v16, v16, v18, 0x5040100
	s_or_b32 exec_lo, exec_lo, s15
	global_load_dwordx4 v[17:20], v[9:10], off offset:1536
	s_and_saveexec_b32 s15, s0
	s_cbranch_execnz .LBB139_34
	s_branch .LBB139_35
.LBB139_41:                             ;   in Loop: Header=BB139_30 Depth=1
	v_cmp_gt_i32_e64 s1, s11, v54
	v_cmp_gt_i32_e32 vcc_lo, s14, v63
	v_cmp_gt_i32_e64 s2, s11, v62
	s_waitcnt vmcnt(0)
	v_cndmask_b32_e64 v11, 0, v29, s1
	v_cmp_gt_i32_e64 s1, s14, v61
	v_cndmask_b32_sdwa v29, v51, v29, vcc_lo dst_sel:DWORD dst_unused:UNUSED_PAD src0_sel:DWORD src1_sel:WORD_1
	v_cndmask_b32_e64 v12, 0, v30, s2
	v_cmp_gt_i32_e64 s2, s14, v60
	s_mov_b32 vcc_lo, s1
	v_cmp_gt_i32_e64 s1, s14, v58
	v_cndmask_b32_sdwa v30, v51, v30, vcc_lo dst_sel:DWORD dst_unused:UNUSED_PAD src0_sel:DWORD src1_sel:WORD_1
	v_cmp_gt_i32_e32 vcc_lo, s11, v59
	v_perm_b32 v29, v29, v11, 0x5040100
	v_perm_b32 v30, v30, v12, 0x5040100
	v_cndmask_b32_e32 v33, 0, v31, vcc_lo
	s_mov_b32 vcc_lo, s2
	v_cndmask_b32_sdwa v31, v51, v31, vcc_lo dst_sel:DWORD dst_unused:UNUSED_PAD src0_sel:DWORD src1_sel:WORD_1
	v_cmp_gt_i32_e32 vcc_lo, s11, v57
	v_perm_b32 v31, v31, v33, 0x5040100
	v_cndmask_b32_e32 v34, 0, v32, vcc_lo
	s_mov_b32 vcc_lo, s1
	v_cndmask_b32_sdwa v32, v51, v32, vcc_lo dst_sel:DWORD dst_unused:UNUSED_PAD src0_sel:DWORD src1_sel:WORD_1
	v_perm_b32 v32, v32, v34, 0x5040100
	s_or_b32 exec_lo, exec_lo, s15
	global_load_dwordx4 v[33:36], v[9:10], off offset:512
	s_and_saveexec_b32 s15, s0
	s_cbranch_execz .LBB139_37
.LBB139_42:                             ;   in Loop: Header=BB139_30 Depth=1
	v_cmp_gt_i32_e64 s1, s11, v54
	v_cmp_gt_i32_e32 vcc_lo, s14, v63
	v_cmp_gt_i32_e64 s2, s11, v62
	s_waitcnt vmcnt(0)
	v_cndmask_b32_e64 v11, 0, v33, s1
	v_cmp_gt_i32_e64 s1, s14, v61
	v_cndmask_b32_sdwa v33, v51, v33, vcc_lo dst_sel:DWORD dst_unused:UNUSED_PAD src0_sel:DWORD src1_sel:WORD_1
	v_cndmask_b32_e64 v12, 0, v34, s2
	v_cmp_gt_i32_e64 s2, s14, v60
	s_mov_b32 vcc_lo, s1
	v_cmp_gt_i32_e64 s1, s14, v58
	v_cndmask_b32_sdwa v34, v51, v34, vcc_lo dst_sel:DWORD dst_unused:UNUSED_PAD src0_sel:DWORD src1_sel:WORD_1
	v_cmp_gt_i32_e32 vcc_lo, s11, v59
	v_perm_b32 v33, v33, v11, 0x5040100
	v_perm_b32 v34, v34, v12, 0x5040100
	v_cndmask_b32_e32 v64, 0, v35, vcc_lo
	s_mov_b32 vcc_lo, s2
	v_cndmask_b32_sdwa v35, v51, v35, vcc_lo dst_sel:DWORD dst_unused:UNUSED_PAD src0_sel:DWORD src1_sel:WORD_1
	v_cmp_gt_i32_e32 vcc_lo, s11, v57
	v_perm_b32 v35, v35, v64, 0x5040100
	v_cndmask_b32_e32 v65, 0, v36, vcc_lo
	s_mov_b32 vcc_lo, s1
	v_cndmask_b32_sdwa v36, v51, v36, vcc_lo dst_sel:DWORD dst_unused:UNUSED_PAD src0_sel:DWORD src1_sel:WORD_1
	v_perm_b32 v36, v36, v65, 0x5040100
	s_or_b32 exec_lo, exec_lo, s15
	global_load_dwordx4 v[9:12], v[9:10], off offset:1024
	s_and_saveexec_b32 s2, s0
	s_cbranch_execz .LBB139_29
.LBB139_43:                             ;   in Loop: Header=BB139_30 Depth=1
	v_cmp_gt_i32_e64 s0, s11, v54
	v_cmp_gt_i32_e32 vcc_lo, s14, v63
	v_cmp_gt_i32_e64 s1, s11, v62
	s_waitcnt vmcnt(0)
	v_cndmask_b32_e64 v63, 0, v9, s0
	v_cmp_gt_i32_e64 s0, s14, v61
	v_cndmask_b32_sdwa v9, v51, v9, vcc_lo dst_sel:DWORD dst_unused:UNUSED_PAD src0_sel:DWORD src1_sel:WORD_1
	v_cndmask_b32_e64 v61, 0, v10, s1
	v_cmp_gt_i32_e64 s1, s14, v60
	s_mov_b32 vcc_lo, s0
	v_cmp_gt_i32_e64 s0, s14, v58
	v_cndmask_b32_sdwa v10, v51, v10, vcc_lo dst_sel:DWORD dst_unused:UNUSED_PAD src0_sel:DWORD src1_sel:WORD_1
	v_cmp_gt_i32_e32 vcc_lo, s11, v59
	v_perm_b32 v9, v9, v63, 0x5040100
	v_perm_b32 v10, v10, v61, 0x5040100
	v_cndmask_b32_e32 v59, 0, v11, vcc_lo
	s_mov_b32 vcc_lo, s1
	v_cndmask_b32_sdwa v11, v51, v11, vcc_lo dst_sel:DWORD dst_unused:UNUSED_PAD src0_sel:DWORD src1_sel:WORD_1
	v_cmp_gt_i32_e32 vcc_lo, s11, v57
	v_perm_b32 v11, v11, v59, 0x5040100
	v_cndmask_b32_e32 v57, 0, v12, vcc_lo
	s_mov_b32 vcc_lo, s0
	v_cndmask_b32_sdwa v12, v51, v12, vcc_lo dst_sel:DWORD dst_unused:UNUSED_PAD src0_sel:DWORD src1_sel:WORD_1
	v_perm_b32 v12, v12, v57, 0x5040100
	s_branch .LBB139_29
.LBB139_44:
	s_or_b32 exec_lo, exec_lo, s13
.LBB139_45:
	s_or_b32 exec_lo, exec_lo, s3
	ds_bpermute_b32 v1, v43, v49
	ds_bpermute_b32 v2, v43, v50
	;; [unrolled: 1-line block ×7, first 2 shown]
	v_lshrrev_b32_e32 v8, 1, v42
	v_mul_u32_u24_e32 v10, 0x1c0, v41
	v_and_b32_e32 v14, 0x3c1, v0
	s_mov_b32 s0, exec_lo
	s_waitcnt lgkmcnt(0)
	v_lshl_add_u32 v9, v8, 2, 0x100
	s_barrier
	buffer_gl0_inv
	v_add_f32_e32 v7, v49, v1
	v_add_f32_e32 v6, v50, v2
	;; [unrolled: 1-line block ×7, first 2 shown]
	v_cmpx_eq_u32_e32 64, v14
	s_cbranch_execz .LBB139_47
; %bb.46:
	v_add_nc_u32_e32 v11, v9, v10
	v_add_nc_u32_e32 v12, 0xfffffc80, v11
	;; [unrolled: 1-line block ×8, first 2 shown]
	ds_write_b32 v12, v7
	ds_write_b32 v13, v6
	ds_write_b32 v14, v5
	ds_write_b32 v15, v4
	ds_write_b32 v16, v3
	ds_write_b32 v17, v2
	ds_write_b32 v11, v1
.LBB139_47:
	s_or_b32 exec_lo, exec_lo, s0
	v_lshlrev_b32_e32 v8, 2, v8
	s_mov_b32 s1, exec_lo
	v_cmp_eq_u32_e32 vcc_lo, 0, v40
	s_waitcnt lgkmcnt(0)
	s_barrier
	v_add3_u32 v8, 0x100, v10, v8
	buffer_gl0_inv
	v_cmpx_gt_u32_e32 64, v0
	s_cbranch_execz .LBB139_57
; %bb.48:
	s_and_saveexec_b32 s0, vcc_lo
	s_cbranch_execnz .LBB139_72
; %bb.49:
	s_or_b32 exec_lo, exec_lo, s0
	s_and_saveexec_b32 s0, vcc_lo
	s_cbranch_execnz .LBB139_73
.LBB139_50:
	s_or_b32 exec_lo, exec_lo, s0
	s_and_saveexec_b32 s0, vcc_lo
	s_cbranch_execnz .LBB139_74
.LBB139_51:
	s_or_b32 exec_lo, exec_lo, s0
	s_and_saveexec_b32 s0, vcc_lo
	s_cbranch_execnz .LBB139_75
.LBB139_52:
	s_or_b32 exec_lo, exec_lo, s0
	s_and_saveexec_b32 s0, vcc_lo
	s_cbranch_execnz .LBB139_76
.LBB139_53:
	s_or_b32 exec_lo, exec_lo, s0
	s_and_saveexec_b32 s0, vcc_lo
	s_cbranch_execnz .LBB139_77
.LBB139_54:
	s_or_b32 exec_lo, exec_lo, s0
	s_and_saveexec_b32 s0, vcc_lo
	s_cbranch_execz .LBB139_56
.LBB139_55:
	ds_read_b32 v10, v8 offset:384
	s_waitcnt lgkmcnt(0)
	v_add_f32_e32 v1, v1, v10
.LBB139_56:
	s_or_b32 exec_lo, exec_lo, s0
.LBB139_57:
	s_or_b32 exec_lo, exec_lo, s1
	v_and_b32_e32 v10, 0x3e1, v0
	s_mov_b32 s1, exec_lo
	s_barrier
	buffer_gl0_inv
	v_cmpx_eq_u32_e32 32, v10
	s_cbranch_execz .LBB139_59
; %bb.58:
	ds_write2_b32 v9, v7, v6 offset1:16
	ds_write2_b32 v9, v5, v4 offset0:32 offset1:48
	ds_write2_b32 v9, v3, v2 offset0:64 offset1:80
	ds_write_b32 v9, v1 offset:384
.LBB139_59:
	s_or_b32 exec_lo, exec_lo, s1
	s_mov_b32 s1, exec_lo
	s_waitcnt lgkmcnt(0)
	s_barrier
	buffer_gl0_inv
	v_cmpx_gt_u32_e32 32, v0
	s_cbranch_execz .LBB139_69
; %bb.60:
	s_and_saveexec_b32 s0, vcc_lo
	s_cbranch_execnz .LBB139_78
; %bb.61:
	s_or_b32 exec_lo, exec_lo, s0
	s_and_saveexec_b32 s0, vcc_lo
	s_cbranch_execnz .LBB139_79
.LBB139_62:
	s_or_b32 exec_lo, exec_lo, s0
	s_and_saveexec_b32 s0, vcc_lo
	s_cbranch_execnz .LBB139_80
.LBB139_63:
	s_or_b32 exec_lo, exec_lo, s0
	s_and_saveexec_b32 s0, vcc_lo
	s_cbranch_execnz .LBB139_81
.LBB139_64:
	s_or_b32 exec_lo, exec_lo, s0
	s_and_saveexec_b32 s0, vcc_lo
	s_cbranch_execnz .LBB139_82
.LBB139_65:
	s_or_b32 exec_lo, exec_lo, s0
	s_and_saveexec_b32 s0, vcc_lo
	s_cbranch_execnz .LBB139_83
.LBB139_66:
	s_or_b32 exec_lo, exec_lo, s0
	s_and_saveexec_b32 s0, vcc_lo
	s_cbranch_execz .LBB139_68
.LBB139_67:
	ds_read_b32 v0, v8 offset:384
	s_waitcnt lgkmcnt(0)
	v_add_f32_e32 v1, v1, v0
.LBB139_68:
	s_or_b32 exec_lo, exec_lo, s0
.LBB139_69:
	s_or_b32 exec_lo, exec_lo, s1
	s_barrier
	buffer_gl0_inv
	s_mov_b32 s0, exec_lo
	v_cmpx_eq_u32_e32 0, v10
	s_cbranch_execz .LBB139_71
; %bb.70:
	s_mul_i32 s0, s10, s7
	v_bfe_u32 v8, v7, 16, 1
	s_mul_i32 s0, s0, s9
	s_mul_i32 s2, s7, s6
	s_mulk_i32 s0, 0x70
	v_or_b32_e32 v9, 0x400000, v7
	s_ashr_i32 s1, s0, 31
	v_bfe_u32 v10, v6, 16, 1
	s_lshl_b64 s[0:1], s[0:1], 1
	v_add3_u32 v8, v8, v7, 0x7fff
	s_add_u32 s5, s16, s0
	s_addc_u32 s6, s17, s1
	s_ashr_i32 s3, s2, 31
	v_cmp_u_f32_e32 vcc_lo, v7, v7
	s_lshl_b64 s[0:1], s[2:3], 1
	s_mul_i32 s4, s8, 0x70
	s_add_u32 s2, s5, s0
	s_addc_u32 s3, s6, s1
	s_ashr_i32 s5, s4, 31
	v_lshlrev_b32_e32 v0, 1, v39
	s_lshl_b64 s[0:1], s[4:5], 1
	v_add3_u32 v10, v10, v6, 0x7fff
	v_or_b32_e32 v11, 0x400000, v6
	v_cndmask_b32_e32 v7, v8, v9, vcc_lo
	v_bfe_u32 v8, v5, 16, 1
	v_cmp_u_f32_e32 vcc_lo, v6, v6
	s_add_u32 s0, s2, s0
	s_addc_u32 s1, s3, s1
	v_bfe_u32 v9, v4, 16, 1
	global_store_short_d16_hi v0, v7, s[0:1]
	v_cndmask_b32_e32 v6, v10, v11, vcc_lo
	v_add3_u32 v7, v8, v5, 0x7fff
	v_or_b32_e32 v8, 0x400000, v5
	v_cmp_u_f32_e32 vcc_lo, v5, v5
	v_or_b32_e32 v10, 0x400000, v2
	global_store_short_d16_hi v0, v6, s[0:1] offset:32
	v_add3_u32 v6, v9, v4, 0x7fff
	v_or_b32_e32 v9, 0x400000, v4
	v_cndmask_b32_e32 v5, v7, v8, vcc_lo
	v_bfe_u32 v7, v3, 16, 1
	v_cmp_u_f32_e32 vcc_lo, v4, v4
	v_bfe_u32 v8, v2, 16, 1
	v_or_b32_e32 v11, 0x400000, v1
	v_add3_u32 v7, v7, v3, 0x7fff
	v_cndmask_b32_e32 v4, v6, v9, vcc_lo
	v_or_b32_e32 v9, 0x400000, v3
	v_cmp_u_f32_e32 vcc_lo, v3, v3
	v_bfe_u32 v6, v1, 16, 1
	v_add3_u32 v8, v8, v2, 0x7fff
	v_cndmask_b32_e32 v3, v7, v9, vcc_lo
	v_cmp_u_f32_e32 vcc_lo, v2, v2
	v_add3_u32 v6, v6, v1, 0x7fff
	v_cndmask_b32_e32 v2, v8, v10, vcc_lo
	v_cmp_u_f32_e32 vcc_lo, v1, v1
	v_cndmask_b32_e32 v1, v6, v11, vcc_lo
	global_store_short_d16_hi v0, v5, s[0:1] offset:64
	global_store_short_d16_hi v0, v4, s[0:1] offset:96
	;; [unrolled: 1-line block ×5, first 2 shown]
.LBB139_71:
	s_endpgm
.LBB139_72:
	ds_read_b32 v10, v8
	s_waitcnt lgkmcnt(0)
	v_add_f32_e32 v7, v7, v10
	s_or_b32 exec_lo, exec_lo, s0
	s_and_saveexec_b32 s0, vcc_lo
	s_cbranch_execz .LBB139_50
.LBB139_73:
	ds_read_b32 v10, v8 offset:64
	s_waitcnt lgkmcnt(0)
	v_add_f32_e32 v6, v6, v10
	s_or_b32 exec_lo, exec_lo, s0
	s_and_saveexec_b32 s0, vcc_lo
	s_cbranch_execz .LBB139_51
.LBB139_74:
	ds_read_b32 v10, v8 offset:128
	s_waitcnt lgkmcnt(0)
	v_add_f32_e32 v5, v5, v10
	s_or_b32 exec_lo, exec_lo, s0
	s_and_saveexec_b32 s0, vcc_lo
	s_cbranch_execz .LBB139_52
.LBB139_75:
	ds_read_b32 v10, v8 offset:192
	s_waitcnt lgkmcnt(0)
	v_add_f32_e32 v4, v4, v10
	s_or_b32 exec_lo, exec_lo, s0
	s_and_saveexec_b32 s0, vcc_lo
	s_cbranch_execz .LBB139_53
.LBB139_76:
	ds_read_b32 v10, v8 offset:256
	s_waitcnt lgkmcnt(0)
	v_add_f32_e32 v3, v3, v10
	s_or_b32 exec_lo, exec_lo, s0
	s_and_saveexec_b32 s0, vcc_lo
	s_cbranch_execz .LBB139_54
.LBB139_77:
	ds_read_b32 v10, v8 offset:320
	s_waitcnt lgkmcnt(0)
	v_add_f32_e32 v2, v2, v10
	s_or_b32 exec_lo, exec_lo, s0
	s_and_saveexec_b32 s0, vcc_lo
	s_cbranch_execnz .LBB139_55
	s_branch .LBB139_56
.LBB139_78:
	ds_read_b32 v0, v8
	s_waitcnt lgkmcnt(0)
	v_add_f32_e32 v7, v7, v0
	s_or_b32 exec_lo, exec_lo, s0
	s_and_saveexec_b32 s0, vcc_lo
	s_cbranch_execz .LBB139_62
.LBB139_79:
	ds_read_b32 v0, v8 offset:64
	s_waitcnt lgkmcnt(0)
	v_add_f32_e32 v6, v6, v0
	s_or_b32 exec_lo, exec_lo, s0
	s_and_saveexec_b32 s0, vcc_lo
	s_cbranch_execz .LBB139_63
.LBB139_80:
	ds_read_b32 v0, v8 offset:128
	s_waitcnt lgkmcnt(0)
	v_add_f32_e32 v5, v5, v0
	s_or_b32 exec_lo, exec_lo, s0
	s_and_saveexec_b32 s0, vcc_lo
	s_cbranch_execz .LBB139_64
.LBB139_81:
	ds_read_b32 v0, v8 offset:192
	s_waitcnt lgkmcnt(0)
	v_add_f32_e32 v4, v4, v0
	s_or_b32 exec_lo, exec_lo, s0
	s_and_saveexec_b32 s0, vcc_lo
	s_cbranch_execz .LBB139_65
.LBB139_82:
	ds_read_b32 v0, v8 offset:256
	s_waitcnt lgkmcnt(0)
	v_add_f32_e32 v3, v3, v0
	s_or_b32 exec_lo, exec_lo, s0
	s_and_saveexec_b32 s0, vcc_lo
	s_cbranch_execz .LBB139_66
.LBB139_83:
	ds_read_b32 v0, v8 offset:320
	s_waitcnt lgkmcnt(0)
	v_add_f32_e32 v2, v2, v0
	s_or_b32 exec_lo, exec_lo, s0
	s_and_saveexec_b32 s0, vcc_lo
	s_cbranch_execnz .LBB139_67
	s_branch .LBB139_68
	.section	.rodata,"a",@progbits
	.p2align	6, 0x0
	.amdhsa_kernel _ZN4vllm25paged_attention_v1_kernelI14__hip_bfloat16S1_Li112ELi16ELi128ELNS_18Fp8KVCacheDataTypeE0ELb0EEEvPT_PKS3_PKT0_S9_ifPKiSB_iPKfiiiSD_SD_iiiii
		.amdhsa_group_segment_fixed_size 256
		.amdhsa_private_segment_fixed_size 0
		.amdhsa_kernarg_size 384
		.amdhsa_user_sgpr_count 6
		.amdhsa_user_sgpr_private_segment_buffer 1
		.amdhsa_user_sgpr_dispatch_ptr 0
		.amdhsa_user_sgpr_queue_ptr 0
		.amdhsa_user_sgpr_kernarg_segment_ptr 1
		.amdhsa_user_sgpr_dispatch_id 0
		.amdhsa_user_sgpr_flat_scratch_init 0
		.amdhsa_user_sgpr_private_segment_size 0
		.amdhsa_wavefront_size32 1
		.amdhsa_uses_dynamic_stack 0
		.amdhsa_system_sgpr_private_segment_wavefront_offset 0
		.amdhsa_system_sgpr_workgroup_id_x 1
		.amdhsa_system_sgpr_workgroup_id_y 1
		.amdhsa_system_sgpr_workgroup_id_z 1
		.amdhsa_system_sgpr_workgroup_info 0
		.amdhsa_system_vgpr_workitem_id 0
		.amdhsa_next_free_vgpr 125
		.amdhsa_next_free_sgpr 27
		.amdhsa_reserve_vcc 1
		.amdhsa_reserve_flat_scratch 0
		.amdhsa_float_round_mode_32 0
		.amdhsa_float_round_mode_16_64 0
		.amdhsa_float_denorm_mode_32 3
		.amdhsa_float_denorm_mode_16_64 3
		.amdhsa_dx10_clamp 1
		.amdhsa_ieee_mode 1
		.amdhsa_fp16_overflow 0
		.amdhsa_workgroup_processor_mode 1
		.amdhsa_memory_ordered 1
		.amdhsa_forward_progress 1
		.amdhsa_shared_vgpr_count 0
		.amdhsa_exception_fp_ieee_invalid_op 0
		.amdhsa_exception_fp_denorm_src 0
		.amdhsa_exception_fp_ieee_div_zero 0
		.amdhsa_exception_fp_ieee_overflow 0
		.amdhsa_exception_fp_ieee_underflow 0
		.amdhsa_exception_fp_ieee_inexact 0
		.amdhsa_exception_int_div_zero 0
	.end_amdhsa_kernel
	.section	.text._ZN4vllm25paged_attention_v1_kernelI14__hip_bfloat16S1_Li112ELi16ELi128ELNS_18Fp8KVCacheDataTypeE0ELb0EEEvPT_PKS3_PKT0_S9_ifPKiSB_iPKfiiiSD_SD_iiiii,"axG",@progbits,_ZN4vllm25paged_attention_v1_kernelI14__hip_bfloat16S1_Li112ELi16ELi128ELNS_18Fp8KVCacheDataTypeE0ELb0EEEvPT_PKS3_PKT0_S9_ifPKiSB_iPKfiiiSD_SD_iiiii,comdat
.Lfunc_end139:
	.size	_ZN4vllm25paged_attention_v1_kernelI14__hip_bfloat16S1_Li112ELi16ELi128ELNS_18Fp8KVCacheDataTypeE0ELb0EEEvPT_PKS3_PKT0_S9_ifPKiSB_iPKfiiiSD_SD_iiiii, .Lfunc_end139-_ZN4vllm25paged_attention_v1_kernelI14__hip_bfloat16S1_Li112ELi16ELi128ELNS_18Fp8KVCacheDataTypeE0ELb0EEEvPT_PKS3_PKT0_S9_ifPKiSB_iPKfiiiSD_SD_iiiii
                                        ; -- End function
	.set _ZN4vllm25paged_attention_v1_kernelI14__hip_bfloat16S1_Li112ELi16ELi128ELNS_18Fp8KVCacheDataTypeE0ELb0EEEvPT_PKS3_PKT0_S9_ifPKiSB_iPKfiiiSD_SD_iiiii.num_vgpr, 125
	.set _ZN4vllm25paged_attention_v1_kernelI14__hip_bfloat16S1_Li112ELi16ELi128ELNS_18Fp8KVCacheDataTypeE0ELb0EEEvPT_PKS3_PKT0_S9_ifPKiSB_iPKfiiiSD_SD_iiiii.num_agpr, 0
	.set _ZN4vllm25paged_attention_v1_kernelI14__hip_bfloat16S1_Li112ELi16ELi128ELNS_18Fp8KVCacheDataTypeE0ELb0EEEvPT_PKS3_PKT0_S9_ifPKiSB_iPKfiiiSD_SD_iiiii.numbered_sgpr, 27
	.set _ZN4vllm25paged_attention_v1_kernelI14__hip_bfloat16S1_Li112ELi16ELi128ELNS_18Fp8KVCacheDataTypeE0ELb0EEEvPT_PKS3_PKT0_S9_ifPKiSB_iPKfiiiSD_SD_iiiii.num_named_barrier, 0
	.set _ZN4vllm25paged_attention_v1_kernelI14__hip_bfloat16S1_Li112ELi16ELi128ELNS_18Fp8KVCacheDataTypeE0ELb0EEEvPT_PKS3_PKT0_S9_ifPKiSB_iPKfiiiSD_SD_iiiii.private_seg_size, 0
	.set _ZN4vllm25paged_attention_v1_kernelI14__hip_bfloat16S1_Li112ELi16ELi128ELNS_18Fp8KVCacheDataTypeE0ELb0EEEvPT_PKS3_PKT0_S9_ifPKiSB_iPKfiiiSD_SD_iiiii.uses_vcc, 1
	.set _ZN4vllm25paged_attention_v1_kernelI14__hip_bfloat16S1_Li112ELi16ELi128ELNS_18Fp8KVCacheDataTypeE0ELb0EEEvPT_PKS3_PKT0_S9_ifPKiSB_iPKfiiiSD_SD_iiiii.uses_flat_scratch, 0
	.set _ZN4vllm25paged_attention_v1_kernelI14__hip_bfloat16S1_Li112ELi16ELi128ELNS_18Fp8KVCacheDataTypeE0ELb0EEEvPT_PKS3_PKT0_S9_ifPKiSB_iPKfiiiSD_SD_iiiii.has_dyn_sized_stack, 0
	.set _ZN4vllm25paged_attention_v1_kernelI14__hip_bfloat16S1_Li112ELi16ELi128ELNS_18Fp8KVCacheDataTypeE0ELb0EEEvPT_PKS3_PKT0_S9_ifPKiSB_iPKfiiiSD_SD_iiiii.has_recursion, 0
	.set _ZN4vllm25paged_attention_v1_kernelI14__hip_bfloat16S1_Li112ELi16ELi128ELNS_18Fp8KVCacheDataTypeE0ELb0EEEvPT_PKS3_PKT0_S9_ifPKiSB_iPKfiiiSD_SD_iiiii.has_indirect_call, 0
	.section	.AMDGPU.csdata,"",@progbits
; Kernel info:
; codeLenInByte = 9888
; TotalNumSgprs: 29
; NumVgprs: 125
; ScratchSize: 0
; MemoryBound: 0
; FloatMode: 240
; IeeeMode: 1
; LDSByteSize: 256 bytes/workgroup (compile time only)
; SGPRBlocks: 0
; VGPRBlocks: 15
; NumSGPRsForWavesPerEU: 29
; NumVGPRsForWavesPerEU: 125
; Occupancy: 8
; WaveLimiterHint : 1
; COMPUTE_PGM_RSRC2:SCRATCH_EN: 0
; COMPUTE_PGM_RSRC2:USER_SGPR: 6
; COMPUTE_PGM_RSRC2:TRAP_HANDLER: 0
; COMPUTE_PGM_RSRC2:TGID_X_EN: 1
; COMPUTE_PGM_RSRC2:TGID_Y_EN: 1
; COMPUTE_PGM_RSRC2:TGID_Z_EN: 1
; COMPUTE_PGM_RSRC2:TIDIG_COMP_CNT: 0
	.section	.text._ZN4vllm25paged_attention_v1_kernelI14__hip_bfloat16S1_Li120ELi16ELi128ELNS_18Fp8KVCacheDataTypeE0ELb0EEEvPT_PKS3_PKT0_S9_ifPKiSB_iPKfiiiSD_SD_iiiii,"axG",@progbits,_ZN4vllm25paged_attention_v1_kernelI14__hip_bfloat16S1_Li120ELi16ELi128ELNS_18Fp8KVCacheDataTypeE0ELb0EEEvPT_PKS3_PKT0_S9_ifPKiSB_iPKfiiiSD_SD_iiiii,comdat
	.protected	_ZN4vllm25paged_attention_v1_kernelI14__hip_bfloat16S1_Li120ELi16ELi128ELNS_18Fp8KVCacheDataTypeE0ELb0EEEvPT_PKS3_PKT0_S9_ifPKiSB_iPKfiiiSD_SD_iiiii ; -- Begin function _ZN4vllm25paged_attention_v1_kernelI14__hip_bfloat16S1_Li120ELi16ELi128ELNS_18Fp8KVCacheDataTypeE0ELb0EEEvPT_PKS3_PKT0_S9_ifPKiSB_iPKfiiiSD_SD_iiiii
	.globl	_ZN4vllm25paged_attention_v1_kernelI14__hip_bfloat16S1_Li120ELi16ELi128ELNS_18Fp8KVCacheDataTypeE0ELb0EEEvPT_PKS3_PKT0_S9_ifPKiSB_iPKfiiiSD_SD_iiiii
	.p2align	8
	.type	_ZN4vllm25paged_attention_v1_kernelI14__hip_bfloat16S1_Li120ELi16ELi128ELNS_18Fp8KVCacheDataTypeE0ELb0EEEvPT_PKS3_PKT0_S9_ifPKiSB_iPKfiiiSD_SD_iiiii,@function
_ZN4vllm25paged_attention_v1_kernelI14__hip_bfloat16S1_Li120ELi16ELi128ELNS_18Fp8KVCacheDataTypeE0ELb0EEEvPT_PKS3_PKT0_S9_ifPKiSB_iPKfiiiSD_SD_iiiii: ; @_ZN4vllm25paged_attention_v1_kernelI14__hip_bfloat16S1_Li120ELi16ELi128ELNS_18Fp8KVCacheDataTypeE0ELb0EEEvPT_PKS3_PKT0_S9_ifPKiSB_iPKfiiiSD_SD_iiiii
; %bb.0:
	s_clause 0x2
	s_load_dword s9, s[4:5], 0x80
	s_load_dwordx2 s[0:1], s[4:5], 0x30
	s_load_dwordx2 s[24:25], s[4:5], 0x20
	s_mov_b32 s10, s7
	s_ashr_i32 s11, s7, 31
	s_lshl_b64 s[2:3], s[10:11], 2
	s_waitcnt lgkmcnt(0)
	s_add_u32 s0, s0, s2
	s_addc_u32 s1, s1, s3
	s_abs_i32 s2, s24
	s_abs_i32 s11, s9
	v_cvt_f32_u32_e32 v1, s2
	s_sub_i32 s7, 0, s2
	v_rcp_iflag_f32_e32 v1, v1
	v_mul_f32_e32 v1, 0x4f7ffffe, v1
	v_cvt_u32_f32_e32 v1, v1
	v_readfirstlane_b32 s3, v1
	s_mul_i32 s7, s7, s3
	s_mul_hi_u32 s7, s3, s7
	s_add_i32 s3, s3, s7
	s_xor_b32 s7, s9, s24
	s_mul_hi_u32 s3, s11, s3
	s_ashr_i32 s7, s7, 31
	s_mul_i32 s12, s3, s2
	s_mov_b32 s24, 0
	s_sub_i32 s11, s11, s12
	s_add_i32 s12, s3, 1
	s_sub_i32 s13, s11, s2
	s_cmp_ge_u32 s11, s2
	s_cselect_b32 s3, s12, s3
	s_cselect_b32 s11, s13, s11
	s_add_i32 s12, s3, 1
	s_cmp_ge_u32 s11, s2
	s_cselect_b32 s2, s12, s3
	s_abs_i32 s17, s6
	s_xor_b32 s2, s2, s7
	s_sub_i32 s18, s2, s7
	s_load_dwordx2 s[2:3], s[4:5], 0x40
	s_abs_i32 s16, s18
	v_cvt_f32_u32_e32 v1, s16
	s_sub_i32 s11, 0, s16
	v_rcp_iflag_f32_e32 v1, v1
	v_mul_f32_e32 v1, 0x4f7ffffe, v1
	v_cvt_u32_f32_e32 v1, v1
	v_readfirstlane_b32 s7, v1
	s_mul_i32 s11, s11, s7
	s_mul_hi_u32 s11, s7, s11
	s_add_i32 s7, s7, s11
	s_waitcnt lgkmcnt(0)
	s_cmp_eq_u64 s[2:3], 0
	s_mul_hi_u32 s20, s17, s7
	s_cbranch_scc1 .LBB140_2
; %bb.1:
	s_ashr_i32 s7, s6, 31
	s_lshl_b64 s[12:13], s[6:7], 2
	s_add_u32 s2, s2, s12
	s_addc_u32 s3, s3, s13
	s_load_dword s24, s[2:3], 0x0
.LBB140_2:
	s_load_dword s11, s[0:1], 0x0
	s_load_dwordx4 s[12:15], s[4:5], 0x48
	v_lshrrev_b32_e32 v39, 1, v0
	v_and_b32_e32 v75, 1, v0
	v_lshlrev_b32_e32 v3, 3, v0
	s_ashr_i32 s0, s6, 31
	s_ashr_i32 s1, s18, 31
	s_mulk_i32 s6, 0x78
	s_mov_b32 s2, exec_lo
	v_cmpx_gt_u32_e32 30, v0
	s_cbranch_execz .LBB140_4
; %bb.3:
	s_load_dwordx2 s[18:19], s[4:5], 0x8
	s_waitcnt lgkmcnt(0)
	s_mul_i32 s22, s12, s10
	v_lshlrev_b32_e32 v4, 3, v39
	s_ashr_i32 s23, s22, 31
	s_lshl_b64 s[22:23], s[22:23], 1
	v_mad_u32_u24 v4, 0x78, v75, v4
	s_add_u32 s3, s18, s22
	s_addc_u32 s12, s19, s23
	s_ashr_i32 s7, s6, 31
	s_lshl_b64 s[18:19], s[6:7], 1
	s_add_u32 s18, s3, s18
	s_addc_u32 s19, s12, s19
	global_load_dwordx2 v[1:2], v3, s[18:19]
	s_waitcnt vmcnt(0)
	ds_write_b64 v4, v[1:2]
.LBB140_4:
	s_or_b32 exec_lo, exec_lo, s2
	s_waitcnt lgkmcnt(0)
	s_add_i32 s2, s11, 15
	s_clause 0x1
	s_load_dwordx2 s[18:19], s[4:5], 0x28
	s_load_dword s7, s[4:5], 0x38
	s_ashr_i32 s3, s2, 31
	s_xor_b32 s0, s0, s1
	s_lshr_b32 s3, s3, 28
	s_mul_i32 s1, s20, s16
	s_add_i32 s2, s2, s3
	s_sub_i32 s1, s17, s1
	s_ashr_i32 s12, s2, 4
	s_add_i32 s2, s20, 1
	s_sub_i32 s3, s1, s16
	s_cmp_ge_u32 s1, s16
	v_lshrrev_b32_e32 v41, 5, v0
	s_cselect_b32 s2, s2, s20
	s_cselect_b32 s1, s3, s1
	s_add_i32 s3, s2, 1
	s_cmp_ge_u32 s1, s16
	v_mbcnt_lo_u32_b32 v5, -1, 0
	s_cselect_b32 s1, s3, s2
	s_waitcnt lgkmcnt(0)
	s_xor_b32 s1, s1, s0
	s_mul_i32 s20, s7, s10
	s_sub_i32 s1, s1, s0
	v_cmp_le_i32_e64 s0, s12, v41
	s_ashr_i32 s21, s20, 31
	s_barrier
	buffer_gl0_inv
                                        ; implicit-def: $vgpr27
                                        ; implicit-def: $vgpr31
	s_and_saveexec_b32 s2, s0
	s_xor_b32 s2, exec_lo, s2
; %bb.5:
	v_mov_b32_e32 v27, 0
	v_mbcnt_lo_u32_b32 v5, -1, 0
	v_mov_b32_e32 v31, 32
; %bb.6:
	s_or_saveexec_b32 s26, s2
	s_clause 0x2
	s_load_dwordx2 s[16:17], s[4:5], 0x0
	s_load_dwordx2 s[22:23], s[4:5], 0x18
	s_load_dword s7, s[4:5], 0x88
	v_mov_b32_e32 v68, 0xff7fffff
	v_lshrrev_b32_e32 v4, 3, v0
	s_mul_i32 s14, s1, s14
	s_xor_b32 exec_lo, exec_lo, s26
	s_cbranch_execz .LBB140_12
; %bb.7:
	v_mul_u32_u24_e32 v1, 0x78, v75
	s_load_dwordx2 s[2:3], s[4:5], 0x10
	v_xor_b32_e32 v72, 1, v5
	s_ashr_i32 s15, s14, 31
	v_and_b32_e32 v68, 8, v3
	ds_read2_b64 v[10:13], v1 offset1:1
	ds_read2_b64 v[18:21], v1 offset0:2 offset1:3
	ds_read2_b64 v[27:30], v1 offset0:4 offset1:5
	ds_read2_b64 v[42:45], v1 offset0:6 offset1:7
	ds_read2_b64 v[47:50], v1 offset0:8 offset1:9
	ds_read2_b64 v[55:58], v1 offset0:10 offset1:11
	ds_read2_b64 v[63:66], v1 offset0:12 offset1:13
	ds_read_b64 v[1:2], v1 offset:112
	v_cmp_gt_i32_e32 vcc_lo, 32, v72
	s_lshl_b64 s[4:5], s[14:15], 1
	v_mov_b32_e32 v77, v41
	s_mov_b32 s15, s13
	s_waitcnt lgkmcnt(0)
	s_add_u32 s1, s2, s4
	s_addc_u32 s2, s3, s5
	v_lshlrev_b32_e32 v22, 16, v27
	v_and_b32_e32 v23, 0xffff0000, v27
	v_bfe_u32 v27, v0, 1, 4
	s_sub_i32 s4, 1, s11
	v_lshlrev_b32_e32 v6, 16, v10
	v_lshlrev_b32_e32 v67, 16, v1
	v_and_b32_e32 v69, 0xffff0000, v1
	v_lshlrev_b32_e32 v31, 4, v27
	v_lshlrev_b32_e32 v70, 16, v2
	v_and_b32_e32 v71, 0xffff0000, v2
	v_cndmask_b32_e32 v1, v5, v72, vcc_lo
	v_lshlrev_b32_e32 v2, 2, v27
	v_add_co_u32 v31, s1, s1, v31
	v_add_co_ci_u32_e64 v73, null, s2, 0, s1
	v_lshlrev_b32_e32 v74, 2, v1
	v_lshl_or_b32 v1, v41, 6, v2
	v_and_b32_e32 v2, 0x7c, v4
	s_lshl_b64 s[2:3], s[20:21], 2
	v_add_co_u32 v72, vcc_lo, v31, v68
	s_add_u32 s2, s18, s2
	v_add_nc_u32_e32 v76, 0x110, v1
	s_addc_u32 s3, s19, s3
	v_add_co_u32 v1, s2, s2, v2
	v_and_b32_e32 v7, 0xffff0000, v10
	v_lshlrev_b32_e32 v8, 16, v11
	v_and_b32_e32 v9, 0xffff0000, v11
	v_lshlrev_b32_e32 v10, 16, v12
	;; [unrolled: 2-line block ×26, first 2 shown]
	v_and_b32_e32 v66, 0xffff0000, v66
	v_add_co_ci_u32_e64 v73, null, 0, v73, vcc_lo
	v_cmp_eq_u32_e32 vcc_lo, 0, v75
	v_cmp_neq_f32_e64 s1, s24, 0
	v_lshl_or_b32 v75, v41, 4, v27
	v_add_co_ci_u32_e64 v2, null, s3, 0, s2
	v_mov_b32_e32 v27, 0
	v_mov_b32_e32 v31, 32
	;; [unrolled: 1-line block ×3, first 2 shown]
	s_mov_b32 s5, 0
	s_branch .LBB140_9
.LBB140_8:                              ;   in Loop: Header=BB140_9 Depth=1
	s_or_b32 exec_lo, exec_lo, s3
	v_add_nc_u32_e32 v77, 4, v77
	v_add_co_u32 v1, s3, v1, 16
	v_add_nc_u32_e32 v75, 64, v75
	v_add_nc_u32_e32 v76, 0x100, v76
	v_cmp_le_i32_e64 s2, s12, v77
	v_add_co_ci_u32_e64 v2, null, 0, v2, s3
	s_or_b32 s5, s2, s5
	s_andn2_b32 exec_lo, exec_lo, s5
	s_cbranch_execz .LBB140_11
.LBB140_9:                              ; =>This Inner Loop Header: Depth=1
	global_load_dword v78, v[1:2], off
	s_waitcnt vmcnt(0) lgkmcnt(0)
	v_mad_i64_i32 v[78:79], null, v78, s15, 0
	v_lshlrev_b64 v[78:79], 1, v[78:79]
	v_add_co_u32 v78, s2, v72, v78
	v_add_co_ci_u32_e64 v79, null, v73, v79, s2
	s_clause 0x6
	global_load_dwordx2 v[80:81], v[78:79], off
	global_load_dwordx2 v[82:83], v[78:79], off offset:256
	global_load_dwordx2 v[84:85], v[78:79], off offset:512
	;; [unrolled: 1-line block ×6, first 2 shown]
	v_add_co_u32 v94, s2, 0x800, v78
	v_add_co_ci_u32_e64 v95, null, 0, v79, s2
	s_clause 0x4
	global_load_dwordx2 v[78:79], v[78:79], off offset:1792
	global_load_dwordx2 v[96:97], v[94:95], off
	global_load_dwordx2 v[98:99], v[94:95], off offset:256
	global_load_dwordx2 v[100:101], v[94:95], off offset:512
	;; [unrolled: 1-line block ×3, first 2 shown]
	s_waitcnt vmcnt(11)
	v_lshlrev_b32_e32 v104, 16, v80
	s_waitcnt vmcnt(10)
	v_lshlrev_b32_e32 v106, 16, v82
	v_lshlrev_b32_e32 v107, 16, v83
	;; [unrolled: 1-line block ×3, first 2 shown]
	v_and_b32_e32 v82, 0xffff0000, v82
	v_and_b32_e32 v83, 0xffff0000, v83
	v_mul_f32_e32 v106, v10, v106
	v_mul_f32_e32 v107, v12, v107
	v_and_b32_e32 v80, 0xffff0000, v80
	s_waitcnt vmcnt(4)
	v_lshlrev_b32_e32 v118, 16, v78
	v_and_b32_e32 v119, 0xffff0000, v78
	v_lshlrev_b32_e32 v120, 16, v79
	v_and_b32_e32 v121, 0xffff0000, v79
	global_load_dwordx2 v[78:79], v[94:95], off offset:1024
	v_and_b32_e32 v81, 0xffff0000, v81
	v_fmac_f32_e32 v106, v6, v104
	v_mul_f32_e32 v104, v11, v82
	v_fmac_f32_e32 v107, v8, v105
	v_mul_f32_e32 v105, v13, v83
	v_lshlrev_b32_e32 v108, 16, v84
	v_and_b32_e32 v84, 0xffff0000, v84
	v_fmac_f32_e32 v104, v7, v80
	v_lshlrev_b32_e32 v109, 16, v85
	v_fmac_f32_e32 v105, v9, v81
	s_clause 0x1
	global_load_dwordx2 v[80:81], v[94:95], off offset:1280
	global_load_dwordx2 v[82:83], v[94:95], off offset:1536
	v_lshlrev_b32_e32 v110, 16, v86
	v_and_b32_e32 v86, 0xffff0000, v86
	v_fmac_f32_e32 v106, v14, v108
	v_fmac_f32_e32 v104, v15, v84
	v_and_b32_e32 v85, 0xffff0000, v85
	v_lshlrev_b32_e32 v111, 16, v87
	v_lshlrev_b32_e32 v112, 16, v88
	v_and_b32_e32 v88, 0xffff0000, v88
	v_fmac_f32_e32 v107, v16, v109
	v_fmac_f32_e32 v106, v18, v110
	;; [unrolled: 1-line block ×3, first 2 shown]
	v_and_b32_e32 v87, 0xffff0000, v87
	v_lshlrev_b32_e32 v113, 16, v89
	v_lshlrev_b32_e32 v114, 16, v90
	v_and_b32_e32 v90, 0xffff0000, v90
	v_fmac_f32_e32 v105, v17, v85
	v_fmac_f32_e32 v107, v20, v111
	;; [unrolled: 1-line block ×4, first 2 shown]
	v_and_b32_e32 v89, 0xffff0000, v89
	v_lshlrev_b32_e32 v115, 16, v91
	v_lshlrev_b32_e32 v116, 16, v92
	v_and_b32_e32 v92, 0xffff0000, v92
	v_fmac_f32_e32 v105, v21, v87
	v_fmac_f32_e32 v107, v24, v113
	;; [unrolled: 1-line block ×4, first 2 shown]
	v_and_b32_e32 v91, 0xffff0000, v91
	v_lshlrev_b32_e32 v117, 16, v93
	v_fmac_f32_e32 v105, v25, v89
	v_fmac_f32_e32 v107, v29, v115
	;; [unrolled: 1-line block ×4, first 2 shown]
	v_and_b32_e32 v93, 0xffff0000, v93
	s_waitcnt vmcnt(6)
	v_lshlrev_b32_e32 v122, 16, v96
	v_and_b32_e32 v96, 0xffff0000, v96
	v_fmac_f32_e32 v105, v30, v91
	v_fmac_f32_e32 v107, v34, v117
	;; [unrolled: 1-line block ×4, first 2 shown]
	v_lshlrev_b32_e32 v123, 16, v97
	s_waitcnt vmcnt(5)
	v_lshlrev_b32_e32 v124, 16, v98
	v_and_b32_e32 v98, 0xffff0000, v98
	v_fmac_f32_e32 v105, v35, v93
	v_fmac_f32_e32 v107, v38, v120
	v_fmac_f32_e32 v106, v43, v122
	v_fmac_f32_e32 v104, v44, v96
	v_and_b32_e32 v97, 0xffff0000, v97
	v_lshlrev_b32_e32 v125, 16, v99
	s_waitcnt vmcnt(4)
	v_lshlrev_b32_e32 v126, 16, v100
	v_and_b32_e32 v100, 0xffff0000, v100
	v_fmac_f32_e32 v105, v42, v121
	v_fmac_f32_e32 v107, v45, v123
	v_fmac_f32_e32 v106, v47, v124
	v_fmac_f32_e32 v104, v48, v98
	v_and_b32_e32 v99, 0xffff0000, v99
	;; [unrolled: 9-line block ×3, first 2 shown]
	v_lshlrev_b32_e32 v40, 16, v103
	v_fmac_f32_e32 v105, v50, v99
	v_fmac_f32_e32 v107, v53, v127
	;; [unrolled: 1-line block ×4, first 2 shown]
	v_and_b32_e32 v103, 0xffff0000, v103
	v_fmac_f32_e32 v105, v54, v101
	v_fmac_f32_e32 v107, v57, v40
	;; [unrolled: 1-line block ×3, first 2 shown]
	s_waitcnt vmcnt(2)
	v_lshlrev_b32_e32 v84, 16, v78
	v_and_b32_e32 v78, 0xffff0000, v78
	v_lshlrev_b32_e32 v85, 16, v79
	v_and_b32_e32 v79, 0xffff0000, v79
	v_fmac_f32_e32 v106, v59, v84
	v_fmac_f32_e32 v104, v60, v78
	;; [unrolled: 1-line block ×4, first 2 shown]
	s_waitcnt vmcnt(1)
	v_lshlrev_b32_e32 v86, 16, v80
	v_and_b32_e32 v80, 0xffff0000, v80
	v_lshlrev_b32_e32 v87, 16, v81
	s_waitcnt vmcnt(0)
	v_lshlrev_b32_e32 v88, 16, v82
	v_and_b32_e32 v40, 0xffff0000, v82
	v_fmac_f32_e32 v106, v63, v86
	v_fmac_f32_e32 v104, v64, v80
	v_and_b32_e32 v81, 0xffff0000, v81
	v_lshlrev_b32_e32 v78, 16, v83
	v_fmac_f32_e32 v107, v65, v87
	v_fmac_f32_e32 v106, v67, v88
	;; [unrolled: 1-line block ×4, first 2 shown]
	v_and_b32_e32 v40, 0xffff0000, v83
	v_fmac_f32_e32 v107, v70, v78
	v_add_f32_e32 v78, v106, v104
	v_fmac_f32_e32 v105, v71, v40
	v_add_f32_e32 v40, v78, v107
	v_add_f32_e32 v78, v105, v40
	ds_bpermute_b32 v79, v74, v78
	s_and_saveexec_b32 s3, vcc_lo
	s_cbranch_execz .LBB140_8
; %bb.10:                               ;   in Loop: Header=BB140_9 Depth=1
	v_add_nc_u32_e32 v40, s4, v75
	s_waitcnt lgkmcnt(0)
	v_add_f32_e32 v78, v78, v79
	v_max_f32_e32 v79, v68, v68
	v_cmp_gt_i32_e64 s2, s11, v75
	v_cvt_f32_i32_e32 v40, v40
	v_mul_f32_e32 v40, s24, v40
	v_cndmask_b32_e64 v40, 0, v40, s1
	v_fmac_f32_e32 v40, s25, v78
	v_max_f32_e32 v78, v79, v40
	v_cndmask_b32_e64 v40, 0, v40, s2
	v_cndmask_b32_e64 v68, v68, v78, s2
	ds_write_b32 v76, v40
	s_branch .LBB140_8
.LBB140_11:
	s_or_b32 exec_lo, exec_lo, s5
	v_and_b32_e32 v75, 1, v0
.LBB140_12:
	s_or_b32 exec_lo, exec_lo, s26
	v_xor_b32_e32 v1, 16, v5
	v_xor_b32_e32 v2, 8, v5
	v_max_f32_e32 v7, v68, v68
	v_cmp_lt_i32_e32 vcc_lo, v1, v31
	v_cndmask_b32_e32 v1, v5, v1, vcc_lo
	v_cmp_lt_i32_e32 vcc_lo, v2, v31
	v_lshlrev_b32_e32 v6, 2, v1
	v_cndmask_b32_e32 v2, v5, v2, vcc_lo
	ds_bpermute_b32 v1, v6, v68
	v_lshlrev_b32_e32 v8, 2, v2
	s_waitcnt lgkmcnt(0)
	v_max_f32_e32 v1, v1, v1
	v_max_f32_e32 v1, v7, v1
	v_xor_b32_e32 v7, 4, v5
	ds_bpermute_b32 v2, v8, v1
	v_cmp_lt_i32_e32 vcc_lo, v7, v31
	v_cndmask_b32_e32 v7, v5, v7, vcc_lo
	v_lshlrev_b32_e32 v9, 2, v7
	v_xor_b32_e32 v7, 2, v5
	v_cmp_lt_i32_e32 vcc_lo, v7, v31
	s_waitcnt lgkmcnt(0)
	v_max_f32_e32 v2, v2, v2
	v_cndmask_b32_e32 v10, v5, v7, vcc_lo
	v_max_f32_e32 v1, v1, v2
	ds_bpermute_b32 v2, v9, v1
	s_waitcnt lgkmcnt(0)
	v_max_f32_e32 v2, v2, v2
	v_max_f32_e32 v7, v1, v2
	v_lshlrev_b32_e32 v2, 2, v10
	v_and_b32_e32 v1, 31, v0
	v_lshlrev_b32_e32 v10, 2, v41
	ds_bpermute_b32 v11, v2, v7
	v_cmp_eq_u32_e32 vcc_lo, 0, v1
	s_and_saveexec_b32 s1, vcc_lo
	s_cbranch_execz .LBB140_14
; %bb.13:
	s_waitcnt lgkmcnt(0)
	v_max_f32_e32 v11, v11, v11
	v_max_f32_e32 v7, v7, v7
	;; [unrolled: 1-line block ×3, first 2 shown]
	ds_write_b32 v10, v7 offset:240
.LBB140_14:
	s_or_b32 exec_lo, exec_lo, s1
	v_cmp_gt_u32_e64 s1, 4, v1
	v_mov_b32_e32 v7, 0xff7fffff
	s_waitcnt lgkmcnt(0)
	v_lshlrev_b32_e32 v11, 2, v1
	s_barrier
	buffer_gl0_inv
	s_and_saveexec_b32 s2, s1
; %bb.15:
	ds_read_b32 v7, v11 offset:240
; %bb.16:
	s_or_b32 exec_lo, exec_lo, s2
	s_waitcnt lgkmcnt(0)
	ds_bpermute_b32 v12, v2, v7
	v_xor_b32_e32 v13, 1, v5
	v_max_f32_e32 v7, v7, v7
	v_cmp_lt_i32_e64 s2, v13, v31
	v_cndmask_b32_e64 v13, v5, v13, s2
	s_lshl_b32 s2, s12, 4
	s_min_i32 s4, s2, s11
	v_lshlrev_b32_e32 v43, 2, v13
	v_cmp_gt_i32_e64 s2, s4, v0
	s_waitcnt lgkmcnt(0)
	v_max_f32_e32 v12, v12, v12
	v_max_f32_e32 v7, v7, v12
	ds_bpermute_b32 v12, v43, v7
	s_waitcnt lgkmcnt(0)
	v_max_f32_e32 v12, v12, v12
	v_max_f32_e32 v7, v7, v12
	v_lshlrev_b32_e32 v12, 2, v27
	ds_bpermute_b32 v13, v12, v7
	v_mov_b32_e32 v12, 0
	v_lshl_add_u32 v7, v0, 2, 0x110
	s_and_saveexec_b32 s5, s2
	s_cbranch_execz .LBB140_20
; %bb.17:
	v_lshl_add_u32 v14, v0, 2, 0x110
	v_mov_b32_e32 v12, 0
	v_mov_b32_e32 v15, v0
	s_mov_b32 s15, 0
	.p2align	6
.LBB140_18:                             ; =>This Inner Loop Header: Depth=1
	ds_read_b32 v16, v14
	v_add_nc_u32_e32 v15, 0x80, v15
	v_cmp_le_i32_e64 s3, s4, v15
	s_or_b32 s15, s3, s15
	s_waitcnt lgkmcnt(0)
	v_sub_f32_e32 v16, v16, v13
	v_mul_f32_e32 v16, 0x3fb8aa3b, v16
	v_exp_f32_e32 v16, v16
	ds_write_b32 v14, v16
	v_add_f32_e32 v12, v12, v16
	v_add_nc_u32_e32 v14, 0x200, v14
	s_andn2_b32 exec_lo, exec_lo, s15
	s_cbranch_execnz .LBB140_18
; %bb.19:
	s_or_b32 exec_lo, exec_lo, s15
.LBB140_20:
	s_or_b32 exec_lo, exec_lo, s5
	ds_bpermute_b32 v6, v6, v12
	s_waitcnt lgkmcnt(0)
	v_add_f32_e32 v6, v12, v6
	ds_bpermute_b32 v8, v8, v6
	s_waitcnt lgkmcnt(0)
	v_add_f32_e32 v6, v6, v8
	;; [unrolled: 3-line block ×5, first 2 shown]
	s_and_saveexec_b32 s3, vcc_lo
; %bb.21:
	ds_write_b32 v10, v6 offset:256
; %bb.22:
	s_or_b32 exec_lo, exec_lo, s3
	s_waitcnt lgkmcnt(0)
	s_barrier
	buffer_gl0_inv
	s_and_saveexec_b32 s3, s1
; %bb.23:
	ds_read_b32 v6, v11 offset:256
; %bb.24:
	s_or_b32 exec_lo, exec_lo, s3
	s_waitcnt lgkmcnt(0)
	ds_bpermute_b32 v2, v2, v6
	v_lshlrev_b32_e32 v5, 2, v5
	v_and_b32_e32 v5, 0xffffff80, v5
	s_waitcnt lgkmcnt(0)
	v_add_f32_e32 v2, v6, v2
	ds_bpermute_b32 v6, v43, v2
	s_waitcnt lgkmcnt(0)
	v_add_f32_e32 v2, v2, v6
	ds_bpermute_b32 v2, v5, v2
	s_and_saveexec_b32 s1, s2
	s_cbranch_execz .LBB140_27
; %bb.25:
	s_waitcnt lgkmcnt(0)
	v_add_f32_e32 v2, 0x358637bd, v2
	s_mov_b32 s2, 0
	v_div_scale_f32 v5, null, v2, v2, 1.0
	v_div_scale_f32 v9, vcc_lo, 1.0, v2, 1.0
	v_rcp_f32_e32 v6, v5
	v_fma_f32 v8, -v5, v6, 1.0
	v_fmac_f32_e32 v6, v8, v6
	v_mul_f32_e32 v8, v9, v6
	v_fma_f32 v10, -v5, v8, v9
	v_fmac_f32_e32 v8, v10, v6
	v_fma_f32 v5, -v5, v8, v9
	v_div_fmas_f32 v5, v5, v6, v8
	v_div_fixup_f32 v2, v5, v2, 1.0
	v_mov_b32_e32 v5, v0
.LBB140_26:                             ; =>This Inner Loop Header: Depth=1
	ds_read_b32 v6, v7
	v_add_nc_u32_e32 v5, 0x80, v5
	v_cmp_le_i32_e32 vcc_lo, s4, v5
	s_or_b32 s2, vcc_lo, s2
	s_waitcnt lgkmcnt(0)
	v_mul_f32_e32 v6, v2, v6
	ds_write_b32 v7, v6
	v_add_nc_u32_e32 v7, 0x200, v7
	s_andn2_b32 exec_lo, exec_lo, s2
	s_cbranch_execnz .LBB140_26
.LBB140_27:
	s_or_b32 exec_lo, exec_lo, s1
	v_lshrrev_b32_e32 v42, 1, v1
	s_waitcnt lgkmcnt(0)
	s_barrier
	buffer_gl0_inv
	s_and_saveexec_b32 s1, s0
	s_xor_b32 s0, exec_lo, s1
; %bb.28:
	v_lshrrev_b32_e32 v42, 1, v1
                                        ; implicit-def: $vgpr3
                                        ; implicit-def: $vgpr4
; %bb.29:
	s_or_saveexec_b32 s4, s0
	v_mov_b32_e32 v50, 0
	v_mov_b32_e32 v51, 0
	;; [unrolled: 1-line block ×8, first 2 shown]
	s_xor_b32 exec_lo, exec_lo, s4
	s_cbranch_execz .LBB140_51
; %bb.30:
	v_and_b32_e32 v1, 8, v3
	v_or_b32_e32 v2, 0x70, v42
	s_ashr_i32 s15, s14, 31
	v_lshlrev_b32_e32 v3, 5, v75
	s_lshl_b64 s[0:1], s[14:15], 1
	v_lshl_or_b32 v5, v42, 4, v1
	s_add_u32 s5, s22, s0
	v_cmp_gt_u32_e64 s0, 0x78, v2
	v_lshl_or_b32 v2, v2, 4, v1
	v_lshl_or_b32 v53, v41, 4, v1
	v_and_b32_e32 v1, 0x7c, v4
	s_addc_u32 s14, s23, s1
	s_lshl_b64 s[2:3], s[20:21], 2
	s_add_i32 s15, s12, -1
	v_lshl_or_b32 v3, v41, 6, v3
	s_add_u32 s1, s18, s2
	s_addc_u32 s2, s19, s3
	v_add_co_u32 v37, s1, s1, v1
	v_mov_b32_e32 v52, 0
	v_add_nc_u32_e32 v54, 0x110, v3
	v_add_co_ci_u32_e64 v38, null, s2, 0, s1
	v_lshlrev_b32_e32 v55, 1, v5
	v_lshlrev_b32_e32 v56, 1, v2
	v_mov_b32_e32 v44, 0
	v_mov_b32_e32 v45, 0
	;; [unrolled: 1-line block ×9, first 2 shown]
	s_mov_b32 s19, s11
	s_mov_b32 s18, 0
	s_branch .LBB140_33
.LBB140_31:                             ;   in Loop: Header=BB140_33 Depth=1
	s_or_b32 exec_lo, exec_lo, s20
	s_waitcnt vmcnt(0)
	v_lshlrev_b32_e32 v31, 16, v25
	v_lshlrev_b32_e32 v40, 16, v60
	v_and_b32_e32 v25, 0xffff0000, v25
	v_and_b32_e32 v58, 0xffff0000, v60
	v_lshlrev_b32_e32 v59, 16, v26
	v_and_b32_e32 v26, 0xffff0000, v26
	v_mul_f32_e32 v31, v40, v31
	v_lshlrev_b32_e32 v40, 16, v29
	v_and_b32_e32 v61, 0xffff0000, v29
	v_mul_f32_e32 v25, v58, v25
	v_and_b32_e32 v65, 0xffff0000, v32
	v_bfe_u32 v58, v31, 16, 1
	v_mul_f32_e32 v40, v40, v59
	v_mul_f32_e32 v26, v61, v26
	v_bfe_u32 v59, v25, 16, 1
	v_or_b32_e32 v61, 0x400000, v31
	v_add3_u32 v58, v58, v31, 0x7fff
	v_cmp_u_f32_e32 vcc_lo, v31, v31
	v_or_b32_e32 v62, 0x400000, v25
	v_bfe_u32 v63, v40, 16, 1
	v_add3_u32 v59, v59, v25, 0x7fff
	v_lshlrev_b32_e32 v64, 16, v32
	v_cndmask_b32_e32 v31, v58, v61, vcc_lo
	v_lshlrev_b32_e32 v58, 16, v27
	v_lshlrev_b32_e32 v61, 16, v30
	v_cmp_u_f32_e32 vcc_lo, v25, v25
	v_and_b32_e32 v27, 0xffff0000, v27
	v_and_b32_e32 v31, 0xffff0000, v31
	v_mul_f32_e32 v58, v61, v58
	v_cndmask_b32_e32 v25, v59, v62, vcc_lo
	v_add3_u32 v59, v63, v40, 0x7fff
	v_or_b32_e32 v62, 0x400000, v40
	v_bfe_u32 v63, v26, 16, 1
	v_and_b32_e32 v61, 0xffff0000, v30
	v_cmp_u_f32_e32 vcc_lo, v40, v40
	v_and_b32_e32 v25, 0xffff0000, v25
	v_mul_f32_e32 v27, v61, v27
	v_cndmask_b32_e32 v40, v59, v62, vcc_lo
	v_add3_u32 v59, v63, v26, 0x7fff
	v_or_b32_e32 v62, 0x400000, v26
	v_bfe_u32 v63, v58, 16, 1
	v_lshlrev_b32_e32 v61, 16, v28
	v_and_b32_e32 v28, 0xffff0000, v28
	v_cmp_u_f32_e32 vcc_lo, v26, v26
	v_and_b32_e32 v40, 0xffff0000, v40
	v_add_f32_e32 v25, v31, v25
	v_mul_f32_e32 v61, v64, v61
	v_mul_f32_e32 v28, v65, v28
	v_cndmask_b32_e32 v26, v59, v62, vcc_lo
	v_bfe_u32 v59, v27, 16, 1
	v_add3_u32 v62, v63, v58, 0x7fff
	v_or_b32_e32 v63, 0x400000, v58
	v_cmp_u_f32_e32 vcc_lo, v58, v58
	v_or_b32_e32 v64, 0x400000, v27
	v_add3_u32 v59, v59, v27, 0x7fff
	v_bfe_u32 v66, v28, 16, 1
	v_bfe_u32 v65, v61, 16, 1
	v_cndmask_b32_e32 v58, v62, v63, vcc_lo
	v_cmp_u_f32_e32 vcc_lo, v27, v27
	v_or_b32_e32 v63, 0x400000, v28
	v_add3_u32 v62, v66, v28, 0x7fff
	v_and_b32_e32 v26, 0xffff0000, v26
	v_and_b32_e32 v31, 0xffff0000, v58
	v_cndmask_b32_e32 v27, v59, v64, vcc_lo
	v_cmp_u_f32_e32 vcc_lo, v28, v28
	v_add3_u32 v59, v65, v61, 0x7fff
	v_or_b32_e32 v64, 0x400000, v61
	v_add_f32_e32 v26, v40, v26
	v_and_b32_e32 v27, 0xffff0000, v27
	v_cndmask_b32_e32 v28, v62, v63, vcc_lo
	v_cmp_u_f32_e32 vcc_lo, v61, v61
	v_add_f32_e32 v25, v26, v25
	v_add_f32_e32 v26, v31, v27
	v_and_b32_e32 v27, 0xffff0000, v28
	v_cndmask_b32_e32 v40, v59, v64, vcc_lo
	v_add_f32_e32 v25, v26, v25
	v_and_b32_e32 v28, 0xffff0000, v40
	v_add_f32_e32 v26, v28, v27
	v_add_f32_e32 v25, v26, v25
	;; [unrolled: 1-line block ×3, first 2 shown]
.LBB140_32:                             ;   in Loop: Header=BB140_33 Depth=1
	s_or_b32 exec_lo, exec_lo, s3
	s_waitcnt vmcnt(0)
	v_and_b32_e32 v25, 0xffff0000, v33
	v_and_b32_e32 v31, 0xffff0000, v60
	v_lshlrev_b32_e32 v26, 16, v33
	v_lshlrev_b32_e32 v28, 16, v60
	v_and_b32_e32 v33, 0xffff0000, v34
	v_and_b32_e32 v27, 0xffff0000, v29
	v_mul_f32_e32 v40, v31, v25
	v_lshlrev_b32_e32 v25, 16, v29
	v_mul_f32_e32 v26, v28, v26
	v_lshlrev_b32_e32 v34, 16, v34
	v_mul_f32_e32 v33, v27, v33
	v_bfe_u32 v29, v40, 16, 1
	v_or_b32_e32 v59, 0x400000, v40
	v_bfe_u32 v58, v26, 16, 1
	v_cmp_u_f32_e32 vcc_lo, v40, v40
	v_mul_f32_e32 v34, v25, v34
	v_add3_u32 v29, v29, v40, 0x7fff
	v_or_b32_e32 v60, 0x400000, v26
	v_bfe_u32 v61, v33, 16, 1
	v_add3_u32 v58, v58, v26, 0x7fff
	v_and_b32_e32 v63, 0xffff0000, v36
	v_cndmask_b32_e32 v40, v29, v59, vcc_lo
	v_and_b32_e32 v59, 0xffff0000, v35
	v_and_b32_e32 v29, 0xffff0000, v30
	v_cmp_u_f32_e32 vcc_lo, v26, v26
	v_add3_u32 v26, v61, v33, 0x7fff
	v_bfe_u32 v61, v34, 16, 1
	v_lshlrev_b32_e32 v35, 16, v35
	v_mul_f32_e32 v59, v29, v59
	v_cndmask_b32_e32 v58, v58, v60, vcc_lo
	v_or_b32_e32 v60, 0x400000, v33
	v_lshlrev_b32_e32 v30, 16, v30
	v_cmp_u_f32_e32 vcc_lo, v33, v33
	v_bfe_u32 v62, v59, 16, 1
	v_lshlrev_b32_e32 v36, 16, v36
	v_and_b32_e32 v58, 0xffff0000, v58
	v_mul_f32_e32 v35, v30, v35
	v_cndmask_b32_e32 v33, v26, v60, vcc_lo
	v_add3_u32 v60, v61, v34, 0x7fff
	v_or_b32_e32 v61, 0x400000, v34
	v_and_b32_e32 v26, 0xffff0000, v32
	v_lshlrev_b32_e32 v32, 16, v32
	v_cmp_u_f32_e32 vcc_lo, v34, v34
	v_or_b32_e32 v64, 0x400000, v35
	v_and_b32_e32 v40, 0xffff0000, v40
	v_and_b32_e32 v33, 0xffff0000, v33
	v_mul_f32_e32 v36, v32, v36
	v_cndmask_b32_e32 v34, v60, v61, vcc_lo
	v_bfe_u32 v60, v35, 16, 1
	v_add3_u32 v61, v62, v59, 0x7fff
	v_mul_f32_e32 v62, v26, v63
	v_or_b32_e32 v63, 0x400000, v59
	v_cmp_u_f32_e32 vcc_lo, v59, v59
	v_add3_u32 v60, v60, v35, 0x7fff
	v_bfe_u32 v66, v36, 16, 1
	v_bfe_u32 v65, v62, 16, 1
	v_and_b32_e32 v34, 0xffff0000, v34
	v_cndmask_b32_e32 v59, v61, v63, vcc_lo
	v_cmp_u_f32_e32 vcc_lo, v35, v35
	v_add3_u32 v61, v66, v36, 0x7fff
	v_or_b32_e32 v63, 0x400000, v36
	v_add_f32_e32 v40, v58, v40
	v_add_f32_e32 v33, v34, v33
	v_cndmask_b32_e32 v35, v60, v64, vcc_lo
	v_cmp_u_f32_e32 vcc_lo, v36, v36
	v_add3_u32 v60, v65, v62, 0x7fff
	v_or_b32_e32 v64, 0x400000, v62
	v_add_f32_e32 v33, v33, v40
	v_and_b32_e32 v34, 0xffff0000, v35
	v_cndmask_b32_e32 v36, v61, v63, vcc_lo
	v_cmp_u_f32_e32 vcc_lo, v62, v62
	v_and_b32_e32 v35, 0xffff0000, v59
	v_and_b32_e32 v40, 0xffff0000, v21
	v_lshlrev_b32_e32 v21, 16, v21
	v_and_b32_e32 v59, 0xffff0000, v24
	v_cndmask_b32_e32 v58, v60, v64, vcc_lo
	v_add_f32_e32 v34, v34, v35
	v_and_b32_e32 v35, 0xffff0000, v36
	v_mul_f32_e32 v21, v28, v21
	v_lshlrev_b32_e32 v24, 16, v24
	v_and_b32_e32 v36, 0xffff0000, v58
	v_add_f32_e32 v33, v34, v33
	v_add_nc_u32_e32 v57, 4, v57
	v_or_b32_e32 v58, 0x400000, v21
	v_mul_f32_e32 v24, v32, v24
	v_add_f32_e32 v34, v35, v36
	v_mul_f32_e32 v35, v31, v40
	v_and_b32_e32 v40, 0xffff0000, v22
	v_bfe_u32 v36, v21, 16, 1
	v_lshlrev_b32_e32 v22, 16, v22
	v_add_f32_e32 v33, v34, v33
	v_bfe_u32 v34, v35, 16, 1
	v_mul_f32_e32 v40, v27, v40
	v_cmp_u_f32_e32 vcc_lo, v35, v35
	v_add3_u32 v36, v36, v21, 0x7fff
	v_add_f32_e32 v45, v45, v33
	v_add3_u32 v33, v34, v35, 0x7fff
	v_or_b32_e32 v34, 0x400000, v35
	v_mul_f32_e32 v22, v25, v22
	v_and_b32_e32 v35, 0xffff0000, v23
	v_lshlrev_b32_e32 v23, 16, v23
	v_add_co_u32 v37, s1, v37, 16
	v_cndmask_b32_e32 v33, v33, v34, vcc_lo
	v_bfe_u32 v34, v40, 16, 1
	v_cmp_u_f32_e32 vcc_lo, v21, v21
	v_mul_f32_e32 v35, v29, v35
	v_mul_f32_e32 v23, v30, v23
	v_and_b32_e32 v33, 0xffff0000, v33
	v_add3_u32 v34, v34, v40, 0x7fff
	v_cndmask_b32_e32 v21, v36, v58, vcc_lo
	v_or_b32_e32 v36, 0x400000, v40
	v_bfe_u32 v58, v22, 16, 1
	v_cmp_u_f32_e32 vcc_lo, v40, v40
	v_or_b32_e32 v40, 0x400000, v22
	v_bfe_u32 v60, v23, 16, 1
	v_and_b32_e32 v21, 0xffff0000, v21
	v_add_nc_u32_e32 v53, 64, v53
	v_cndmask_b32_e32 v34, v34, v36, vcc_lo
	v_add3_u32 v36, v58, v22, 0x7fff
	v_bfe_u32 v58, v35, 16, 1
	v_cmp_u_f32_e32 vcc_lo, v22, v22
	v_add_f32_e32 v21, v21, v33
	v_and_b32_e32 v34, 0xffff0000, v34
	v_add_nc_u32_e32 v54, 0x100, v54
	v_add_co_ci_u32_e64 v38, null, 0, v38, s1
	v_cndmask_b32_e32 v22, v36, v40, vcc_lo
	v_add3_u32 v36, v58, v35, 0x7fff
	v_mul_f32_e32 v40, v26, v59
	v_or_b32_e32 v58, 0x400000, v35
	v_cmp_u_f32_e32 vcc_lo, v35, v35
	v_add3_u32 v59, v60, v23, 0x7fff
	v_or_b32_e32 v60, 0x400000, v23
	v_bfe_u32 v61, v40, 16, 1
	v_and_b32_e32 v22, 0xffff0000, v22
	v_cndmask_b32_e32 v35, v36, v58, vcc_lo
	v_cmp_u_f32_e32 vcc_lo, v23, v23
	v_or_b32_e32 v58, 0x400000, v40
	v_add3_u32 v36, v61, v40, 0x7fff
	v_add_f32_e32 v22, v22, v34
	v_and_b32_e32 v34, 0xffff0000, v17
	v_cndmask_b32_e32 v23, v59, v60, vcc_lo
	v_bfe_u32 v59, v24, 16, 1
	v_cmp_u_f32_e32 vcc_lo, v40, v40
	v_and_b32_e32 v33, 0xffff0000, v35
	v_lshlrev_b32_e32 v17, 16, v17
	v_and_b32_e32 v23, 0xffff0000, v23
	v_add3_u32 v40, v59, v24, 0x7fff
	v_cndmask_b32_e32 v36, v36, v58, vcc_lo
	v_or_b32_e32 v58, 0x400000, v24
	v_cmp_u_f32_e32 vcc_lo, v24, v24
	v_add_f32_e32 v21, v22, v21
	v_mul_f32_e32 v22, v31, v34
	v_add_f32_e32 v23, v23, v33
	v_mul_f32_e32 v17, v28, v17
	v_cndmask_b32_e32 v24, v40, v58, vcc_lo
	v_and_b32_e32 v33, 0xffff0000, v36
	v_bfe_u32 v34, v22, 16, 1
	v_add_f32_e32 v21, v23, v21
	v_bfe_u32 v23, v17, 16, 1
	v_and_b32_e32 v24, 0xffff0000, v24
	v_and_b32_e32 v35, 0xffff0000, v18
	v_cmp_u_f32_e32 vcc_lo, v22, v22
	v_or_b32_e32 v36, 0x400000, v17
	v_add3_u32 v23, v23, v17, 0x7fff
	v_add_f32_e32 v24, v24, v33
	v_add3_u32 v33, v34, v22, 0x7fff
	v_or_b32_e32 v34, 0x400000, v22
	v_mul_f32_e32 v35, v27, v35
	v_lshlrev_b32_e32 v18, 16, v18
	v_and_b32_e32 v40, 0xffff0000, v20
	v_lshlrev_b32_e32 v20, 16, v20
	v_cndmask_b32_e32 v22, v33, v34, vcc_lo
	v_cmp_u_f32_e32 vcc_lo, v17, v17
	v_bfe_u32 v33, v35, 16, 1
	v_mul_f32_e32 v18, v25, v18
	v_or_b32_e32 v34, 0x400000, v35
	v_mul_f32_e32 v20, v32, v20
	v_cndmask_b32_e32 v17, v23, v36, vcc_lo
	v_and_b32_e32 v23, 0xffff0000, v19
	v_add3_u32 v33, v33, v35, 0x7fff
	v_lshlrev_b32_e32 v19, 16, v19
	v_bfe_u32 v36, v18, 16, 1
	v_cmp_u_f32_e32 vcc_lo, v35, v35
	v_mul_f32_e32 v23, v29, v23
	v_or_b32_e32 v35, 0x400000, v18
	v_mul_f32_e32 v19, v30, v19
	v_and_b32_e32 v17, 0xffff0000, v17
	v_cndmask_b32_e32 v33, v33, v34, vcc_lo
	v_add3_u32 v34, v36, v18, 0x7fff
	v_bfe_u32 v36, v23, 16, 1
	v_cmp_u_f32_e32 vcc_lo, v18, v18
	v_bfe_u32 v58, v19, 16, 1
	v_and_b32_e32 v22, 0xffff0000, v22
	v_and_b32_e32 v33, 0xffff0000, v33
	v_add_f32_e32 v21, v24, v21
	v_cndmask_b32_e32 v18, v34, v35, vcc_lo
	v_add3_u32 v34, v36, v23, 0x7fff
	v_mul_f32_e32 v35, v26, v40
	v_or_b32_e32 v36, 0x400000, v23
	v_cmp_u_f32_e32 vcc_lo, v23, v23
	v_add3_u32 v40, v58, v19, 0x7fff
	v_or_b32_e32 v58, 0x400000, v19
	v_bfe_u32 v59, v35, 16, 1
	v_and_b32_e32 v18, 0xffff0000, v18
	v_cndmask_b32_e32 v23, v34, v36, vcc_lo
	v_cmp_u_f32_e32 vcc_lo, v19, v19
	v_or_b32_e32 v36, 0x400000, v35
	v_add3_u32 v34, v59, v35, 0x7fff
	v_add_f32_e32 v17, v17, v22
	v_add_f32_e32 v18, v18, v33
	v_cndmask_b32_e32 v19, v40, v58, vcc_lo
	v_bfe_u32 v40, v20, 16, 1
	v_cmp_u_f32_e32 vcc_lo, v35, v35
	v_and_b32_e32 v22, 0xffff0000, v23
	v_add_f32_e32 v17, v18, v17
	v_and_b32_e32 v19, 0xffff0000, v19
	v_add3_u32 v35, v40, v20, 0x7fff
	v_cndmask_b32_e32 v34, v34, v36, vcc_lo
	v_or_b32_e32 v36, 0x400000, v20
	v_cmp_u_f32_e32 vcc_lo, v20, v20
	v_and_b32_e32 v18, 0xffff0000, v13
	v_add_f32_e32 v19, v19, v22
	v_lshlrev_b32_e32 v13, 16, v13
	v_and_b32_e32 v22, 0xffff0000, v34
	v_cndmask_b32_e32 v20, v35, v36, vcc_lo
	v_mul_f32_e32 v18, v31, v18
	v_add_f32_e32 v46, v46, v21
	v_mul_f32_e32 v23, v28, v13
	v_add_f32_e32 v13, v19, v17
	v_and_b32_e32 v20, 0xffff0000, v20
	v_bfe_u32 v19, v18, 16, 1
	v_and_b32_e32 v21, 0xffff0000, v14
	v_cmp_u_f32_e32 vcc_lo, v18, v18
	v_lshlrev_b32_e32 v14, 16, v14
	v_add_f32_e32 v17, v20, v22
	v_bfe_u32 v20, v23, 16, 1
	v_mul_f32_e32 v21, v27, v21
	v_or_b32_e32 v22, 0x400000, v23
	v_mul_f32_e32 v14, v25, v14
	v_add_f32_e32 v13, v17, v13
	v_add3_u32 v17, v19, v18, 0x7fff
	v_or_b32_e32 v19, 0x400000, v18
	v_add3_u32 v20, v20, v23, 0x7fff
	v_bfe_u32 v18, v21, 16, 1
	v_and_b32_e32 v24, 0xffff0000, v16
	v_lshlrev_b32_e32 v16, 16, v16
	v_cndmask_b32_e32 v17, v17, v19, vcc_lo
	v_cmp_u_f32_e32 vcc_lo, v23, v23
	v_add3_u32 v18, v18, v21, 0x7fff
	v_bfe_u32 v23, v14, 16, 1
	v_mul_f32_e32 v16, v32, v16
	v_and_b32_e32 v17, 0xffff0000, v17
	v_cndmask_b32_e32 v19, v20, v22, vcc_lo
	v_and_b32_e32 v20, 0xffff0000, v15
	v_or_b32_e32 v22, 0x400000, v21
	v_lshlrev_b32_e32 v15, 16, v15
	v_cmp_u_f32_e32 vcc_lo, v21, v21
	v_add3_u32 v21, v23, v14, 0x7fff
	v_mul_f32_e32 v20, v29, v20
	v_and_b32_e32 v19, 0xffff0000, v19
	v_mul_f32_e32 v15, v30, v15
	v_cndmask_b32_e32 v18, v18, v22, vcc_lo
	v_or_b32_e32 v22, 0x400000, v14
	v_bfe_u32 v23, v20, 16, 1
	v_cmp_u_f32_e32 vcc_lo, v14, v14
	v_bfe_u32 v33, v15, 16, 1
	v_and_b32_e32 v18, 0xffff0000, v18
	v_add_f32_e32 v17, v19, v17
	v_and_b32_e32 v19, 0xffff0000, v9
	v_cndmask_b32_e32 v14, v21, v22, vcc_lo
	v_add3_u32 v21, v23, v20, 0x7fff
	v_mul_f32_e32 v22, v26, v24
	v_or_b32_e32 v23, 0x400000, v20
	v_cmp_u_f32_e32 vcc_lo, v20, v20
	v_add3_u32 v24, v33, v15, 0x7fff
	v_or_b32_e32 v33, 0x400000, v15
	v_bfe_u32 v34, v22, 16, 1
	v_and_b32_e32 v14, 0xffff0000, v14
	v_cndmask_b32_e32 v20, v21, v23, vcc_lo
	v_cmp_u_f32_e32 vcc_lo, v15, v15
	v_or_b32_e32 v23, 0x400000, v22
	v_add3_u32 v21, v34, v22, 0x7fff
	v_add_f32_e32 v14, v14, v18
	v_and_b32_e32 v18, 0xffff0000, v20
	v_cndmask_b32_e32 v15, v24, v33, vcc_lo
	v_bfe_u32 v24, v16, 16, 1
	v_cmp_u_f32_e32 vcc_lo, v22, v22
	v_lshlrev_b32_e32 v9, 16, v9
	v_add_f32_e32 v14, v14, v17
	v_and_b32_e32 v15, 0xffff0000, v15
	v_add3_u32 v22, v24, v16, 0x7fff
	v_cndmask_b32_e32 v21, v21, v23, vcc_lo
	v_or_b32_e32 v23, 0x400000, v16
	v_cmp_u_f32_e32 vcc_lo, v16, v16
	v_mul_f32_e32 v17, v31, v19
	v_add_f32_e32 v15, v15, v18
	v_mul_f32_e32 v18, v28, v9
	v_and_b32_e32 v19, 0xffff0000, v21
	v_cndmask_b32_e32 v16, v22, v23, vcc_lo
	v_and_b32_e32 v20, 0xffff0000, v10
	v_bfe_u32 v21, v17, 16, 1
	v_add_f32_e32 v9, v15, v14
	v_bfe_u32 v15, v18, 16, 1
	v_and_b32_e32 v16, 0xffff0000, v16
	v_cmp_u_f32_e32 vcc_lo, v17, v17
	v_lshlrev_b32_e32 v10, 16, v10
	v_add_f32_e32 v47, v47, v13
	v_add3_u32 v15, v15, v18, 0x7fff
	v_add_f32_e32 v14, v16, v19
	v_mul_f32_e32 v16, v27, v20
	v_add3_u32 v19, v21, v17, 0x7fff
	v_or_b32_e32 v20, 0x400000, v17
	v_or_b32_e32 v21, 0x400000, v18
	v_mul_f32_e32 v10, v25, v10
	v_bfe_u32 v22, v16, 16, 1
	v_cndmask_b32_e32 v17, v19, v20, vcc_lo
	v_cmp_u_f32_e32 vcc_lo, v18, v18
	v_or_b32_e32 v19, 0x400000, v16
	v_add3_u32 v18, v22, v16, 0x7fff
	v_and_b32_e32 v20, 0xffff0000, v11
	v_lshlrev_b32_e32 v11, 16, v11
	v_cndmask_b32_e32 v15, v15, v21, vcc_lo
	v_cmp_u_f32_e32 vcc_lo, v16, v16
	v_bfe_u32 v21, v10, 16, 1
	v_and_b32_e32 v17, 0xffff0000, v17
	v_mul_f32_e32 v11, v30, v11
	v_and_b32_e32 v15, 0xffff0000, v15
	v_cndmask_b32_e32 v16, v18, v19, vcc_lo
	v_mul_f32_e32 v18, v29, v20
	v_add3_u32 v19, v21, v10, 0x7fff
	v_or_b32_e32 v20, 0x400000, v10
	v_and_b32_e32 v21, 0xffff0000, v12
	v_cmp_u_f32_e32 vcc_lo, v10, v10
	v_bfe_u32 v22, v18, 16, 1
	v_bfe_u32 v23, v11, 16, 1
	v_lshlrev_b32_e32 v12, 16, v12
	v_and_b32_e32 v16, 0xffff0000, v16
	v_cndmask_b32_e32 v10, v19, v20, vcc_lo
	v_mul_f32_e32 v19, v26, v21
	v_add3_u32 v20, v22, v18, 0x7fff
	v_or_b32_e32 v21, 0x400000, v18
	v_cmp_u_f32_e32 vcc_lo, v18, v18
	v_add3_u32 v22, v23, v11, 0x7fff
	v_or_b32_e32 v23, 0x400000, v11
	v_bfe_u32 v24, v19, 16, 1
	v_and_b32_e32 v10, 0xffff0000, v10
	v_cndmask_b32_e32 v18, v20, v21, vcc_lo
	v_cmp_u_f32_e32 vcc_lo, v11, v11
	v_or_b32_e32 v21, 0x400000, v19
	v_add3_u32 v20, v24, v19, 0x7fff
	v_mul_f32_e32 v12, v32, v12
	v_add_f32_e32 v15, v15, v17
	v_cndmask_b32_e32 v11, v22, v23, vcc_lo
	v_cmp_u_f32_e32 vcc_lo, v19, v19
	v_add_f32_e32 v10, v10, v16
	v_and_b32_e32 v16, 0xffff0000, v5
	v_and_b32_e32 v17, 0xffff0000, v18
	;; [unrolled: 1-line block ×3, first 2 shown]
	v_cndmask_b32_e32 v19, v20, v21, vcc_lo
	v_bfe_u32 v20, v12, 16, 1
	v_add_f32_e32 v10, v10, v15
	v_mul_f32_e32 v15, v31, v16
	v_add_f32_e32 v11, v11, v17
	v_lshlrev_b32_e32 v5, 16, v5
	v_add3_u32 v18, v20, v12, 0x7fff
	v_or_b32_e32 v20, 0x400000, v12
	v_cmp_u_f32_e32 vcc_lo, v12, v12
	v_bfe_u32 v16, v15, 16, 1
	v_add_f32_e32 v10, v11, v10
	v_and_b32_e32 v11, 0xffff0000, v6
	v_mul_f32_e32 v5, v28, v5
	v_cndmask_b32_e32 v12, v18, v20, vcc_lo
	v_add3_u32 v16, v16, v15, 0x7fff
	v_or_b32_e32 v17, 0x400000, v15
	v_mul_f32_e32 v11, v27, v11
	v_and_b32_e32 v18, 0xffff0000, v19
	v_bfe_u32 v19, v5, 16, 1
	v_cmp_u_f32_e32 vcc_lo, v15, v15
	v_lshlrev_b32_e32 v6, 16, v6
	v_or_b32_e32 v20, 0x400000, v5
	v_or_b32_e32 v21, 0x400000, v11
	v_and_b32_e32 v12, 0xffff0000, v12
	v_cndmask_b32_e32 v15, v16, v17, vcc_lo
	v_bfe_u32 v16, v11, 16, 1
	v_add3_u32 v17, v19, v5, 0x7fff
	v_and_b32_e32 v19, 0xffff0000, v7
	v_mul_f32_e32 v6, v25, v6
	v_cmp_u_f32_e32 vcc_lo, v5, v5
	v_add3_u32 v16, v16, v11, 0x7fff
	v_lshlrev_b32_e32 v7, 16, v7
	v_mul_f32_e32 v19, v29, v19
	v_and_b32_e32 v15, 0xffff0000, v15
	v_cndmask_b32_e32 v5, v17, v20, vcc_lo
	v_bfe_u32 v17, v6, 16, 1
	v_cmp_u_f32_e32 vcc_lo, v11, v11
	v_and_b32_e32 v20, 0xffff0000, v8
	v_mul_f32_e32 v7, v30, v7
	v_or_b32_e32 v22, 0x400000, v19
	v_add3_u32 v17, v17, v6, 0x7fff
	v_cndmask_b32_e32 v11, v16, v21, vcc_lo
	v_bfe_u32 v16, v19, 16, 1
	v_or_b32_e32 v21, 0x400000, v6
	v_cmp_u_f32_e32 vcc_lo, v6, v6
	v_mul_f32_e32 v20, v26, v20
	v_lshlrev_b32_e32 v8, 16, v8
	v_add3_u32 v16, v16, v19, 0x7fff
	v_and_b32_e32 v5, 0xffff0000, v5
	v_cndmask_b32_e32 v6, v17, v21, vcc_lo
	v_bfe_u32 v17, v7, 16, 1
	v_cmp_u_f32_e32 vcc_lo, v19, v19
	v_bfe_u32 v21, v20, 16, 1
	v_or_b32_e32 v19, 0x400000, v7
	v_mul_f32_e32 v8, v32, v8
	v_add3_u32 v17, v17, v7, 0x7fff
	v_cndmask_b32_e32 v16, v16, v22, vcc_lo
	v_cmp_u_f32_e32 vcc_lo, v7, v7
	v_add3_u32 v21, v21, v20, 0x7fff
	v_or_b32_e32 v22, 0x400000, v20
	v_and_b32_e32 v6, 0xffff0000, v6
	v_and_b32_e32 v11, 0xffff0000, v11
	v_cndmask_b32_e32 v7, v17, v19, vcc_lo
	v_cmp_u_f32_e32 vcc_lo, v20, v20
	v_bfe_u32 v19, v8, 16, 1
	v_add_f32_e32 v5, v5, v15
	v_add_f32_e32 v6, v6, v11
	v_and_b32_e32 v7, 0xffff0000, v7
	v_cndmask_b32_e32 v17, v21, v22, vcc_lo
	v_and_b32_e32 v21, 0xffff0000, v1
	v_and_b32_e32 v11, 0xffff0000, v16
	v_lshlrev_b32_e32 v1, 16, v1
	v_add3_u32 v19, v19, v8, 0x7fff
	v_or_b32_e32 v20, 0x400000, v8
	v_mul_f32_e32 v15, v31, v21
	v_cmp_u_f32_e32 vcc_lo, v8, v8
	v_add_f32_e32 v5, v6, v5
	v_add_f32_e32 v7, v7, v11
	v_mul_f32_e32 v1, v28, v1
	v_bfe_u32 v6, v15, 16, 1
	v_and_b32_e32 v11, 0xffff0000, v2
	v_cndmask_b32_e32 v8, v19, v20, vcc_lo
	v_or_b32_e32 v16, 0x400000, v15
	v_bfe_u32 v19, v1, 16, 1
	v_add3_u32 v6, v6, v15, 0x7fff
	v_mul_f32_e32 v11, v27, v11
	v_lshlrev_b32_e32 v2, 16, v2
	v_cmp_u_f32_e32 vcc_lo, v15, v15
	v_add3_u32 v15, v19, v1, 0x7fff
	v_and_b32_e32 v20, 0xffff0000, v3
	v_bfe_u32 v19, v11, 16, 1
	v_mul_f32_e32 v2, v25, v2
	v_cndmask_b32_e32 v6, v6, v16, vcc_lo
	v_or_b32_e32 v16, 0x400000, v1
	v_cmp_u_f32_e32 vcc_lo, v1, v1
	v_mul_f32_e32 v20, v29, v20
	v_lshlrev_b32_e32 v3, 16, v3
	v_and_b32_e32 v21, 0xffff0000, v4
	v_lshlrev_b32_e32 v4, 16, v4
	v_cndmask_b32_e32 v1, v15, v16, vcc_lo
	v_add3_u32 v15, v19, v11, 0x7fff
	v_or_b32_e32 v16, 0x400000, v11
	v_bfe_u32 v19, v2, 16, 1
	v_cmp_u_f32_e32 vcc_lo, v11, v11
	v_mul_f32_e32 v3, v30, v3
	v_mul_f32_e32 v4, v32, v4
	v_and_b32_e32 v1, 0xffff0000, v1
	v_and_b32_e32 v6, 0xffff0000, v6
	v_cndmask_b32_e32 v11, v15, v16, vcc_lo
	v_add3_u32 v15, v19, v2, 0x7fff
	v_or_b32_e32 v16, 0x400000, v2
	v_bfe_u32 v19, v20, 16, 1
	v_cmp_u_f32_e32 vcc_lo, v2, v2
	v_or_b32_e32 v22, 0x400000, v3
	v_bfe_u32 v24, v4, 16, 1
	v_and_b32_e32 v11, 0xffff0000, v11
	v_add_f32_e32 v1, v1, v6
	v_cndmask_b32_e32 v2, v15, v16, vcc_lo
	v_bfe_u32 v15, v3, 16, 1
	v_add3_u32 v16, v19, v20, 0x7fff
	v_mul_f32_e32 v19, v26, v21
	v_or_b32_e32 v21, 0x400000, v20
	v_cmp_u_f32_e32 vcc_lo, v20, v20
	v_add3_u32 v15, v15, v3, 0x7fff
	v_add3_u32 v20, v24, v4, 0x7fff
	v_bfe_u32 v23, v19, 16, 1
	v_and_b32_e32 v2, 0xffff0000, v2
	v_cndmask_b32_e32 v16, v16, v21, vcc_lo
	v_cmp_u_f32_e32 vcc_lo, v3, v3
	v_or_b32_e32 v21, 0x400000, v4
	v_and_b32_e32 v8, 0xffff0000, v8
	v_add_f32_e32 v2, v2, v11
	v_and_b32_e32 v6, 0xffff0000, v16
	v_cndmask_b32_e32 v3, v15, v22, vcc_lo
	v_cmp_u_f32_e32 vcc_lo, v4, v4
	v_add3_u32 v15, v23, v19, 0x7fff
	v_or_b32_e32 v22, 0x400000, v19
	v_add_f32_e32 v1, v2, v1
	v_and_b32_e32 v3, 0xffff0000, v3
	v_cndmask_b32_e32 v4, v20, v21, vcc_lo
	v_cmp_u_f32_e32 vcc_lo, v19, v19
	v_add_f32_e32 v5, v7, v5
	v_add_f32_e32 v2, v3, v6
	v_and_b32_e32 v3, 0xffff0000, v4
	v_cndmask_b32_e32 v11, v15, v22, vcc_lo
	v_and_b32_e32 v15, 0xffff0000, v17
	v_add_f32_e32 v6, v12, v18
	v_add_f32_e32 v1, v2, v1
	v_cmp_le_i32_e32 vcc_lo, s12, v57
	v_and_b32_e32 v4, 0xffff0000, v11
	v_add_f32_e32 v7, v8, v15
	s_or_b32 s18, vcc_lo, s18
	v_add_f32_e32 v2, v3, v4
	v_add_f32_e32 v3, v14, v9
	;; [unrolled: 1-line block ×9, first 2 shown]
	s_andn2_b32 exec_lo, exec_lo, s18
	s_cbranch_execz .LBB140_50
.LBB140_33:                             ; =>This Inner Loop Header: Depth=1
	global_load_dword v1, v[37:38], off
	v_cmp_eq_u32_e64 s1, s15, v57
	s_waitcnt vmcnt(0)
	v_mad_i64_i32 v[1:2], null, v1, s13, 0
	v_lshlrev_b64 v[1:2], 1, v[1:2]
	v_add_co_u32 v58, vcc_lo, s5, v1
	v_add_co_ci_u32_e64 v59, null, s14, v2, vcc_lo
	v_add_co_u32 v17, vcc_lo, v58, v55
	v_add_co_ci_u32_e64 v18, null, 0, v59, vcc_lo
	global_load_dwordx4 v[1:4], v[17:18], off
	ds_read2_b64 v[29:32], v54 offset1:1
	ds_read2_b64 v[25:28], v54 offset0:2 offset1:3
	s_and_saveexec_b32 s20, s1
	s_cbranch_execnz .LBB140_45
; %bb.34:                               ;   in Loop: Header=BB140_33 Depth=1
	s_or_b32 exec_lo, exec_lo, s20
	global_load_dwordx4 v[5:8], v[17:18], off offset:512
	s_and_saveexec_b32 s20, s1
	s_cbranch_execnz .LBB140_46
.LBB140_35:                             ;   in Loop: Header=BB140_33 Depth=1
	s_or_b32 exec_lo, exec_lo, s20
	global_load_dwordx4 v[9:12], v[17:18], off offset:1024
	s_and_saveexec_b32 s20, s1
	s_cbranch_execnz .LBB140_47
.LBB140_36:                             ;   in Loop: Header=BB140_33 Depth=1
	s_or_b32 exec_lo, exec_lo, s20
	global_load_dwordx4 v[13:16], v[17:18], off offset:1536
	s_and_saveexec_b32 s20, s1
	s_cbranch_execz .LBB140_38
.LBB140_37:                             ;   in Loop: Header=BB140_33 Depth=1
	v_add_nc_u32_e32 v19, 1, v53
	v_or_b32_e32 v20, 3, v53
	v_cmp_gt_i32_e32 vcc_lo, s11, v53
	v_or_b32_e32 v21, 2, v53
	v_or_b32_e32 v23, 7, v53
	v_cmp_gt_i32_e64 s2, s19, v20
	s_waitcnt vmcnt(0)
	v_cndmask_b32_e32 v22, 0, v13, vcc_lo
	v_cmp_gt_i32_e32 vcc_lo, s19, v19
	v_cmp_gt_i32_e64 s3, s11, v21
	v_or_b32_e32 v20, 5, v53
	v_or_b32_e32 v21, 4, v53
	v_cndmask_b32_sdwa v13, v52, v13, vcc_lo dst_sel:DWORD dst_unused:UNUSED_PAD src0_sel:DWORD src1_sel:WORD_1
	s_mov_b32 vcc_lo, s2
	v_cndmask_b32_e64 v19, 0, v14, s3
	v_cndmask_b32_sdwa v14, v52, v14, vcc_lo dst_sel:DWORD dst_unused:UNUSED_PAD src0_sel:DWORD src1_sel:WORD_1
	v_cmp_gt_i32_e32 vcc_lo, s19, v20
	v_cmp_gt_i32_e64 s2, s11, v21
	v_or_b32_e32 v21, 6, v53
	v_perm_b32 v13, v13, v22, 0x5040100
	v_perm_b32 v14, v14, v19, 0x5040100
	v_cndmask_b32_e64 v20, 0, v15, s2
	v_cmp_gt_i32_e64 s2, s19, v23
	v_cndmask_b32_sdwa v15, v52, v15, vcc_lo dst_sel:DWORD dst_unused:UNUSED_PAD src0_sel:DWORD src1_sel:WORD_1
	v_cmp_gt_i32_e32 vcc_lo, s11, v21
	v_perm_b32 v15, v15, v20, 0x5040100
	v_cndmask_b32_e32 v21, 0, v16, vcc_lo
	s_mov_b32 vcc_lo, s2
	v_cndmask_b32_sdwa v16, v52, v16, vcc_lo dst_sel:DWORD dst_unused:UNUSED_PAD src0_sel:DWORD src1_sel:WORD_1
	v_perm_b32 v16, v16, v21, 0x5040100
.LBB140_38:                             ;   in Loop: Header=BB140_33 Depth=1
	s_or_b32 exec_lo, exec_lo, s20
	v_add_co_u32 v33, vcc_lo, 0x800, v17
	v_add_co_ci_u32_e64 v34, null, 0, v18, vcc_lo
	global_load_dwordx4 v[17:20], v[33:34], off
	s_and_saveexec_b32 s20, s1
	s_cbranch_execnz .LBB140_48
; %bb.39:                               ;   in Loop: Header=BB140_33 Depth=1
	s_or_b32 exec_lo, exec_lo, s20
	global_load_dwordx4 v[21:24], v[33:34], off offset:512
	s_and_saveexec_b32 s20, s1
	s_cbranch_execnz .LBB140_49
.LBB140_40:                             ;   in Loop: Header=BB140_33 Depth=1
	s_or_b32 exec_lo, exec_lo, s20
	global_load_dwordx4 v[33:36], v[33:34], off offset:1024
	s_and_saveexec_b32 s20, s1
	s_cbranch_execz .LBB140_42
.LBB140_41:                             ;   in Loop: Header=BB140_33 Depth=1
	v_add_nc_u32_e32 v40, 1, v53
	v_or_b32_e32 v60, 3, v53
	v_cmp_gt_i32_e32 vcc_lo, s11, v53
	v_or_b32_e32 v61, 2, v53
	v_or_b32_e32 v63, 7, v53
	v_cmp_gt_i32_e64 s2, s19, v60
	s_waitcnt vmcnt(0)
	v_cndmask_b32_e32 v62, 0, v33, vcc_lo
	v_cmp_gt_i32_e32 vcc_lo, s19, v40
	v_cmp_gt_i32_e64 s3, s11, v61
	v_or_b32_e32 v60, 5, v53
	v_or_b32_e32 v61, 4, v53
	v_cndmask_b32_sdwa v33, v52, v33, vcc_lo dst_sel:DWORD dst_unused:UNUSED_PAD src0_sel:DWORD src1_sel:WORD_1
	s_mov_b32 vcc_lo, s2
	v_cndmask_b32_e64 v40, 0, v34, s3
	v_cndmask_b32_sdwa v34, v52, v34, vcc_lo dst_sel:DWORD dst_unused:UNUSED_PAD src0_sel:DWORD src1_sel:WORD_1
	v_cmp_gt_i32_e32 vcc_lo, s19, v60
	v_cmp_gt_i32_e64 s2, s11, v61
	v_or_b32_e32 v61, 6, v53
	v_perm_b32 v33, v33, v62, 0x5040100
	v_perm_b32 v34, v34, v40, 0x5040100
	v_cndmask_b32_e64 v60, 0, v35, s2
	v_cmp_gt_i32_e64 s2, s19, v63
	v_cndmask_b32_sdwa v35, v52, v35, vcc_lo dst_sel:DWORD dst_unused:UNUSED_PAD src0_sel:DWORD src1_sel:WORD_1
	v_cmp_gt_i32_e32 vcc_lo, s11, v61
	v_perm_b32 v35, v35, v60, 0x5040100
	v_cndmask_b32_e32 v61, 0, v36, vcc_lo
	s_mov_b32 vcc_lo, s2
	v_cndmask_b32_sdwa v36, v52, v36, vcc_lo dst_sel:DWORD dst_unused:UNUSED_PAD src0_sel:DWORD src1_sel:WORD_1
	v_perm_b32 v36, v36, v61, 0x5040100
.LBB140_42:                             ;   in Loop: Header=BB140_33 Depth=1
	s_or_b32 exec_lo, exec_lo, s20
	s_waitcnt lgkmcnt(1)
	v_bfe_u32 v40, v29, 16, 1
	v_bfe_u32 v60, v30, 16, 1
	v_or_b32_e32 v61, 0x400000, v29
	v_cmp_u_f32_e32 vcc_lo, v29, v29
	v_or_b32_e32 v62, 0x400000, v30
	v_add3_u32 v40, v40, v29, 0x7fff
	v_bfe_u32 v63, v31, 16, 1
	v_add3_u32 v60, v60, v30, 0x7fff
	v_bfe_u32 v64, v32, 16, 1
	v_cndmask_b32_e32 v29, v40, v61, vcc_lo
	v_cmp_u_f32_e32 vcc_lo, v30, v30
	v_add3_u32 v40, v63, v31, 0x7fff
	s_waitcnt lgkmcnt(0)
	v_bfe_u32 v61, v25, 16, 1
	v_or_b32_e32 v63, 0x400000, v32
	v_cndmask_b32_e32 v30, v60, v62, vcc_lo
	v_or_b32_e32 v60, 0x400000, v31
	v_cmp_u_f32_e32 vcc_lo, v31, v31
	v_add3_u32 v62, v64, v32, 0x7fff
	v_or_b32_e32 v64, 0x400000, v28
	v_cndmask_b32_e32 v31, v40, v60, vcc_lo
	v_cmp_u_f32_e32 vcc_lo, v32, v32
	v_add3_u32 v40, v61, v25, 0x7fff
	v_or_b32_e32 v60, 0x400000, v25
	v_bfe_u32 v61, v26, 16, 1
	v_cndmask_b32_e32 v32, v62, v63, vcc_lo
	v_cmp_u_f32_e32 vcc_lo, v25, v25
	v_bfe_u32 v62, v27, 16, 1
	v_or_b32_e32 v63, 0x400000, v27
	v_cndmask_b32_e32 v25, v40, v60, vcc_lo
	v_add3_u32 v60, v61, v26, 0x7fff
	v_or_b32_e32 v61, 0x400000, v26
	v_cmp_u_f32_e32 vcc_lo, v26, v26
	v_bfe_u32 v40, v28, 16, 1
	v_add3_u32 v62, v62, v27, 0x7fff
	v_cndmask_b32_e32 v26, v60, v61, vcc_lo
	v_cmp_u_f32_e32 vcc_lo, v27, v27
	v_add3_u32 v40, v40, v28, 0x7fff
	v_perm_b32 v60, v30, v29, 0x7060302
	v_perm_b32 v29, v32, v31, 0x7060302
	;; [unrolled: 1-line block ×3, first 2 shown]
	v_cndmask_b32_e32 v27, v62, v63, vcc_lo
	v_cmp_u_f32_e32 vcc_lo, v28, v28
	v_cndmask_b32_e32 v28, v40, v64, vcc_lo
	v_perm_b32 v32, v28, v27, 0x7060302
	s_and_saveexec_b32 s3, s0
	s_cbranch_execz .LBB140_32
; %bb.43:                               ;   in Loop: Header=BB140_33 Depth=1
	v_add_co_u32 v25, vcc_lo, v58, v56
	v_add_co_ci_u32_e64 v26, null, 0, v59, vcc_lo
	global_load_dwordx4 v[25:28], v[25:26], off
	s_and_saveexec_b32 s20, s1
	s_cbranch_execz .LBB140_31
; %bb.44:                               ;   in Loop: Header=BB140_33 Depth=1
	v_add_nc_u32_e32 v31, 1, v53
	v_or_b32_e32 v40, 3, v53
	v_cmp_gt_i32_e32 vcc_lo, s11, v53
	v_or_b32_e32 v58, 2, v53
	v_or_b32_e32 v61, 7, v53
	v_cmp_gt_i32_e64 s1, s19, v40
	s_waitcnt vmcnt(0)
	v_cndmask_b32_e32 v59, 0, v25, vcc_lo
	v_cmp_gt_i32_e32 vcc_lo, s19, v31
	v_cmp_gt_i32_e64 s2, s11, v58
	v_or_b32_e32 v40, 5, v53
	v_or_b32_e32 v58, 4, v53
	v_cndmask_b32_sdwa v25, v52, v25, vcc_lo dst_sel:DWORD dst_unused:UNUSED_PAD src0_sel:DWORD src1_sel:WORD_1
	s_mov_b32 vcc_lo, s1
	v_cndmask_b32_e64 v31, 0, v26, s2
	v_cndmask_b32_sdwa v26, v52, v26, vcc_lo dst_sel:DWORD dst_unused:UNUSED_PAD src0_sel:DWORD src1_sel:WORD_1
	v_cmp_gt_i32_e32 vcc_lo, s19, v40
	v_cmp_gt_i32_e64 s1, s11, v58
	v_or_b32_e32 v58, 6, v53
	v_perm_b32 v25, v25, v59, 0x5040100
	v_perm_b32 v26, v26, v31, 0x5040100
	v_cndmask_b32_e64 v40, 0, v27, s1
	v_cmp_gt_i32_e64 s1, s19, v61
	v_cndmask_b32_sdwa v27, v52, v27, vcc_lo dst_sel:DWORD dst_unused:UNUSED_PAD src0_sel:DWORD src1_sel:WORD_1
	v_cmp_gt_i32_e32 vcc_lo, s11, v58
	v_perm_b32 v27, v27, v40, 0x5040100
	v_cndmask_b32_e32 v58, 0, v28, vcc_lo
	s_mov_b32 vcc_lo, s1
	v_cndmask_b32_sdwa v28, v52, v28, vcc_lo dst_sel:DWORD dst_unused:UNUSED_PAD src0_sel:DWORD src1_sel:WORD_1
	v_perm_b32 v28, v28, v58, 0x5040100
	s_branch .LBB140_31
.LBB140_45:                             ;   in Loop: Header=BB140_33 Depth=1
	v_add_nc_u32_e32 v5, 1, v53
	v_or_b32_e32 v6, 3, v53
	v_cmp_gt_i32_e32 vcc_lo, s11, v53
	v_or_b32_e32 v7, 2, v53
	v_or_b32_e32 v9, 7, v53
	v_cmp_gt_i32_e64 s2, s19, v6
	s_waitcnt vmcnt(0)
	v_cndmask_b32_e32 v8, 0, v1, vcc_lo
	v_cmp_gt_i32_e32 vcc_lo, s19, v5
	v_cmp_gt_i32_e64 s3, s11, v7
	v_or_b32_e32 v6, 5, v53
	v_or_b32_e32 v7, 4, v53
	v_cndmask_b32_sdwa v1, v52, v1, vcc_lo dst_sel:DWORD dst_unused:UNUSED_PAD src0_sel:DWORD src1_sel:WORD_1
	s_mov_b32 vcc_lo, s2
	v_cndmask_b32_e64 v5, 0, v2, s3
	v_cndmask_b32_sdwa v2, v52, v2, vcc_lo dst_sel:DWORD dst_unused:UNUSED_PAD src0_sel:DWORD src1_sel:WORD_1
	v_cmp_gt_i32_e32 vcc_lo, s19, v6
	v_cmp_gt_i32_e64 s2, s11, v7
	v_or_b32_e32 v7, 6, v53
	v_perm_b32 v1, v1, v8, 0x5040100
	v_perm_b32 v2, v2, v5, 0x5040100
	v_cndmask_b32_e64 v6, 0, v3, s2
	v_cmp_gt_i32_e64 s2, s19, v9
	v_cndmask_b32_sdwa v3, v52, v3, vcc_lo dst_sel:DWORD dst_unused:UNUSED_PAD src0_sel:DWORD src1_sel:WORD_1
	v_cmp_gt_i32_e32 vcc_lo, s11, v7
	v_perm_b32 v3, v3, v6, 0x5040100
	v_cndmask_b32_e32 v7, 0, v4, vcc_lo
	s_mov_b32 vcc_lo, s2
	v_cndmask_b32_sdwa v4, v52, v4, vcc_lo dst_sel:DWORD dst_unused:UNUSED_PAD src0_sel:DWORD src1_sel:WORD_1
	v_perm_b32 v4, v4, v7, 0x5040100
	s_or_b32 exec_lo, exec_lo, s20
	global_load_dwordx4 v[5:8], v[17:18], off offset:512
	s_and_saveexec_b32 s20, s1
	s_cbranch_execz .LBB140_35
.LBB140_46:                             ;   in Loop: Header=BB140_33 Depth=1
	v_add_nc_u32_e32 v9, 1, v53
	v_or_b32_e32 v10, 3, v53
	v_cmp_gt_i32_e32 vcc_lo, s11, v53
	v_or_b32_e32 v11, 2, v53
	v_or_b32_e32 v13, 7, v53
	v_cmp_gt_i32_e64 s2, s19, v10
	s_waitcnt vmcnt(0)
	v_cndmask_b32_e32 v12, 0, v5, vcc_lo
	v_cmp_gt_i32_e32 vcc_lo, s19, v9
	v_cmp_gt_i32_e64 s3, s11, v11
	v_or_b32_e32 v10, 5, v53
	v_or_b32_e32 v11, 4, v53
	v_cndmask_b32_sdwa v5, v52, v5, vcc_lo dst_sel:DWORD dst_unused:UNUSED_PAD src0_sel:DWORD src1_sel:WORD_1
	s_mov_b32 vcc_lo, s2
	v_cndmask_b32_e64 v9, 0, v6, s3
	v_cndmask_b32_sdwa v6, v52, v6, vcc_lo dst_sel:DWORD dst_unused:UNUSED_PAD src0_sel:DWORD src1_sel:WORD_1
	v_cmp_gt_i32_e32 vcc_lo, s19, v10
	v_cmp_gt_i32_e64 s2, s11, v11
	v_or_b32_e32 v11, 6, v53
	v_perm_b32 v5, v5, v12, 0x5040100
	v_perm_b32 v6, v6, v9, 0x5040100
	v_cndmask_b32_e64 v10, 0, v7, s2
	v_cmp_gt_i32_e64 s2, s19, v13
	v_cndmask_b32_sdwa v7, v52, v7, vcc_lo dst_sel:DWORD dst_unused:UNUSED_PAD src0_sel:DWORD src1_sel:WORD_1
	v_cmp_gt_i32_e32 vcc_lo, s11, v11
	v_perm_b32 v7, v7, v10, 0x5040100
	v_cndmask_b32_e32 v11, 0, v8, vcc_lo
	s_mov_b32 vcc_lo, s2
	v_cndmask_b32_sdwa v8, v52, v8, vcc_lo dst_sel:DWORD dst_unused:UNUSED_PAD src0_sel:DWORD src1_sel:WORD_1
	v_perm_b32 v8, v8, v11, 0x5040100
	s_or_b32 exec_lo, exec_lo, s20
	global_load_dwordx4 v[9:12], v[17:18], off offset:1024
	s_and_saveexec_b32 s20, s1
	s_cbranch_execz .LBB140_36
.LBB140_47:                             ;   in Loop: Header=BB140_33 Depth=1
	v_add_nc_u32_e32 v13, 1, v53
	v_or_b32_e32 v14, 3, v53
	v_cmp_gt_i32_e32 vcc_lo, s11, v53
	v_or_b32_e32 v15, 2, v53
	v_or_b32_e32 v19, 7, v53
	v_cmp_gt_i32_e64 s2, s19, v14
	s_waitcnt vmcnt(0)
	v_cndmask_b32_e32 v16, 0, v9, vcc_lo
	v_cmp_gt_i32_e32 vcc_lo, s19, v13
	v_cmp_gt_i32_e64 s3, s11, v15
	v_or_b32_e32 v14, 5, v53
	v_or_b32_e32 v15, 4, v53
	v_cndmask_b32_sdwa v9, v52, v9, vcc_lo dst_sel:DWORD dst_unused:UNUSED_PAD src0_sel:DWORD src1_sel:WORD_1
	s_mov_b32 vcc_lo, s2
	v_cndmask_b32_e64 v13, 0, v10, s3
	v_cndmask_b32_sdwa v10, v52, v10, vcc_lo dst_sel:DWORD dst_unused:UNUSED_PAD src0_sel:DWORD src1_sel:WORD_1
	v_cmp_gt_i32_e32 vcc_lo, s19, v14
	v_cmp_gt_i32_e64 s2, s11, v15
	v_or_b32_e32 v15, 6, v53
	v_perm_b32 v9, v9, v16, 0x5040100
	v_perm_b32 v10, v10, v13, 0x5040100
	v_cndmask_b32_e64 v14, 0, v11, s2
	v_cmp_gt_i32_e64 s2, s19, v19
	v_cndmask_b32_sdwa v11, v52, v11, vcc_lo dst_sel:DWORD dst_unused:UNUSED_PAD src0_sel:DWORD src1_sel:WORD_1
	v_cmp_gt_i32_e32 vcc_lo, s11, v15
	v_perm_b32 v11, v11, v14, 0x5040100
	v_cndmask_b32_e32 v15, 0, v12, vcc_lo
	s_mov_b32 vcc_lo, s2
	v_cndmask_b32_sdwa v12, v52, v12, vcc_lo dst_sel:DWORD dst_unused:UNUSED_PAD src0_sel:DWORD src1_sel:WORD_1
	v_perm_b32 v12, v12, v15, 0x5040100
	s_or_b32 exec_lo, exec_lo, s20
	global_load_dwordx4 v[13:16], v[17:18], off offset:1536
	s_and_saveexec_b32 s20, s1
	s_cbranch_execnz .LBB140_37
	s_branch .LBB140_38
.LBB140_48:                             ;   in Loop: Header=BB140_33 Depth=1
	v_add_nc_u32_e32 v21, 1, v53
	v_or_b32_e32 v22, 3, v53
	v_cmp_gt_i32_e32 vcc_lo, s11, v53
	v_or_b32_e32 v23, 2, v53
	v_or_b32_e32 v35, 7, v53
	v_cmp_gt_i32_e64 s2, s19, v22
	s_waitcnt vmcnt(0)
	v_cndmask_b32_e32 v24, 0, v17, vcc_lo
	v_cmp_gt_i32_e32 vcc_lo, s19, v21
	v_cmp_gt_i32_e64 s3, s11, v23
	v_or_b32_e32 v22, 5, v53
	v_or_b32_e32 v23, 4, v53
	v_cndmask_b32_sdwa v17, v52, v17, vcc_lo dst_sel:DWORD dst_unused:UNUSED_PAD src0_sel:DWORD src1_sel:WORD_1
	s_mov_b32 vcc_lo, s2
	v_cndmask_b32_e64 v21, 0, v18, s3
	v_cndmask_b32_sdwa v18, v52, v18, vcc_lo dst_sel:DWORD dst_unused:UNUSED_PAD src0_sel:DWORD src1_sel:WORD_1
	v_cmp_gt_i32_e32 vcc_lo, s19, v22
	v_cmp_gt_i32_e64 s2, s11, v23
	v_or_b32_e32 v23, 6, v53
	v_perm_b32 v17, v17, v24, 0x5040100
	v_perm_b32 v18, v18, v21, 0x5040100
	v_cndmask_b32_e64 v22, 0, v19, s2
	v_cmp_gt_i32_e64 s2, s19, v35
	v_cndmask_b32_sdwa v19, v52, v19, vcc_lo dst_sel:DWORD dst_unused:UNUSED_PAD src0_sel:DWORD src1_sel:WORD_1
	v_cmp_gt_i32_e32 vcc_lo, s11, v23
	v_perm_b32 v19, v19, v22, 0x5040100
	v_cndmask_b32_e32 v23, 0, v20, vcc_lo
	s_mov_b32 vcc_lo, s2
	v_cndmask_b32_sdwa v20, v52, v20, vcc_lo dst_sel:DWORD dst_unused:UNUSED_PAD src0_sel:DWORD src1_sel:WORD_1
	v_perm_b32 v20, v20, v23, 0x5040100
	s_or_b32 exec_lo, exec_lo, s20
	global_load_dwordx4 v[21:24], v[33:34], off offset:512
	s_and_saveexec_b32 s20, s1
	s_cbranch_execz .LBB140_40
.LBB140_49:                             ;   in Loop: Header=BB140_33 Depth=1
	v_add_nc_u32_e32 v35, 1, v53
	v_or_b32_e32 v36, 3, v53
	v_cmp_gt_i32_e32 vcc_lo, s11, v53
	v_or_b32_e32 v40, 2, v53
	v_or_b32_e32 v61, 7, v53
	v_cmp_gt_i32_e64 s2, s19, v36
	s_waitcnt vmcnt(0)
	v_cndmask_b32_e32 v60, 0, v21, vcc_lo
	v_cmp_gt_i32_e32 vcc_lo, s19, v35
	v_cmp_gt_i32_e64 s3, s11, v40
	v_or_b32_e32 v36, 5, v53
	v_or_b32_e32 v40, 4, v53
	v_cndmask_b32_sdwa v21, v52, v21, vcc_lo dst_sel:DWORD dst_unused:UNUSED_PAD src0_sel:DWORD src1_sel:WORD_1
	s_mov_b32 vcc_lo, s2
	v_cndmask_b32_e64 v35, 0, v22, s3
	v_cndmask_b32_sdwa v22, v52, v22, vcc_lo dst_sel:DWORD dst_unused:UNUSED_PAD src0_sel:DWORD src1_sel:WORD_1
	v_cmp_gt_i32_e32 vcc_lo, s19, v36
	v_cmp_gt_i32_e64 s2, s11, v40
	v_or_b32_e32 v40, 6, v53
	v_perm_b32 v21, v21, v60, 0x5040100
	v_perm_b32 v22, v22, v35, 0x5040100
	v_cndmask_b32_e64 v36, 0, v23, s2
	v_cmp_gt_i32_e64 s2, s19, v61
	v_cndmask_b32_sdwa v23, v52, v23, vcc_lo dst_sel:DWORD dst_unused:UNUSED_PAD src0_sel:DWORD src1_sel:WORD_1
	v_cmp_gt_i32_e32 vcc_lo, s11, v40
	v_perm_b32 v23, v23, v36, 0x5040100
	v_cndmask_b32_e32 v40, 0, v24, vcc_lo
	s_mov_b32 vcc_lo, s2
	v_cndmask_b32_sdwa v24, v52, v24, vcc_lo dst_sel:DWORD dst_unused:UNUSED_PAD src0_sel:DWORD src1_sel:WORD_1
	v_perm_b32 v24, v24, v40, 0x5040100
	s_or_b32 exec_lo, exec_lo, s20
	global_load_dwordx4 v[33:36], v[33:34], off offset:1024
	s_and_saveexec_b32 s20, s1
	s_cbranch_execnz .LBB140_41
	s_branch .LBB140_42
.LBB140_50:
	s_or_b32 exec_lo, exec_lo, s18
.LBB140_51:
	s_or_b32 exec_lo, exec_lo, s4
	ds_bpermute_b32 v1, v43, v50
	ds_bpermute_b32 v2, v43, v51
	;; [unrolled: 1-line block ×8, first 2 shown]
	s_movk_i32 s0, 0x1e0
	v_and_b32_e32 v14, 0x3c0, v0
	v_mad_u32_u24 v9, v41, s0, 0x110
	s_mov_b32 s1, exec_lo
	v_cmp_eq_u32_e32 vcc_lo, 0, v75
	s_waitcnt lgkmcnt(0)
	s_barrier
	buffer_gl0_inv
	v_add_f32_e32 v8, v50, v1
	v_add_f32_e32 v7, v51, v2
	;; [unrolled: 1-line block ×8, first 2 shown]
	v_cmpx_eq_u32_e32 64, v14
	s_cbranch_execz .LBB140_56
; %bb.52:
	v_add_nc_u32_e32 v10, 0xfffffc40, v9
	s_and_saveexec_b32 s0, vcc_lo
	s_cbranch_execz .LBB140_54
; %bb.53:
	v_lshl_add_u32 v11, v42, 2, v10
	ds_write2_b32 v11, v8, v7 offset1:16
	ds_write2_b32 v11, v6, v5 offset0:32 offset1:48
	ds_write2_b32 v11, v4, v3 offset0:64 offset1:80
	ds_write_b32 v11, v2 offset:384
.LBB140_54:
	s_or_b32 exec_lo, exec_lo, s0
	v_or_b32_e32 v11, 0x70, v42
	v_cmp_gt_u32_e64 s0, 0x78, v11
	s_and_b32 s0, vcc_lo, s0
	s_and_b32 exec_lo, exec_lo, s0
; %bb.55:
	v_lshl_add_u32 v10, v11, 2, v10
	ds_write_b32 v10, v1
.LBB140_56:
	s_or_b32 exec_lo, exec_lo, s1
	s_mov_b32 s1, exec_lo
	s_waitcnt lgkmcnt(0)
	s_barrier
	buffer_gl0_inv
	v_cmpx_gt_u32_e32 64, v0
	s_cbranch_execz .LBB140_68
; %bb.57:
	s_and_saveexec_b32 s0, vcc_lo
	s_cbranch_execnz .LBB140_103
; %bb.58:
	s_or_b32 exec_lo, exec_lo, s0
	s_and_saveexec_b32 s0, vcc_lo
	s_cbranch_execnz .LBB140_104
.LBB140_59:
	s_or_b32 exec_lo, exec_lo, s0
	s_and_saveexec_b32 s0, vcc_lo
	s_cbranch_execnz .LBB140_105
.LBB140_60:
	s_or_b32 exec_lo, exec_lo, s0
	s_and_saveexec_b32 s0, vcc_lo
	s_cbranch_execnz .LBB140_106
.LBB140_61:
	s_or_b32 exec_lo, exec_lo, s0
	s_and_saveexec_b32 s0, vcc_lo
	s_cbranch_execnz .LBB140_107
.LBB140_62:
	s_or_b32 exec_lo, exec_lo, s0
	s_and_saveexec_b32 s0, vcc_lo
	s_cbranch_execnz .LBB140_108
.LBB140_63:
	s_or_b32 exec_lo, exec_lo, s0
	s_and_saveexec_b32 s0, vcc_lo
	s_cbranch_execz .LBB140_65
.LBB140_64:
	v_lshl_add_u32 v10, v42, 2, v9
	ds_read_b32 v10, v10 offset:384
	s_waitcnt lgkmcnt(0)
	v_add_f32_e32 v2, v2, v10
.LBB140_65:
	s_or_b32 exec_lo, exec_lo, s0
	v_or_b32_e32 v10, 0x70, v42
	v_cmp_gt_u32_e64 s0, 0x78, v10
	s_and_b32 s2, vcc_lo, s0
	s_and_saveexec_b32 s0, s2
	s_cbranch_execz .LBB140_67
; %bb.66:
	v_lshl_add_u32 v10, v42, 2, v9
	ds_read_b32 v10, v10 offset:448
	s_waitcnt lgkmcnt(0)
	v_add_f32_e32 v1, v1, v10
.LBB140_67:
	s_or_b32 exec_lo, exec_lo, s0
.LBB140_68:
	s_or_b32 exec_lo, exec_lo, s1
	v_and_b32_e32 v10, 0x3e0, v0
	s_mov_b32 s1, exec_lo
	s_barrier
	buffer_gl0_inv
	v_cmpx_eq_u32_e32 32, v10
	s_cbranch_execz .LBB140_73
; %bb.69:
	v_lshl_add_u32 v10, v42, 2, 0x110
	s_and_saveexec_b32 s0, vcc_lo
	s_cbranch_execz .LBB140_71
; %bb.70:
	ds_write2_b32 v10, v8, v7 offset1:16
	ds_write2_b32 v10, v6, v5 offset0:32 offset1:48
	ds_write2_b32 v10, v4, v3 offset0:64 offset1:80
	ds_write_b32 v10, v2 offset:384
.LBB140_71:
	s_or_b32 exec_lo, exec_lo, s0
	v_or_b32_e32 v11, 0x70, v42
	v_cmp_gt_u32_e64 s0, 0x78, v11
	s_and_b32 s0, vcc_lo, s0
	s_and_b32 exec_lo, exec_lo, s0
; %bb.72:
	ds_write_b32 v10, v1 offset:448
.LBB140_73:
	s_or_b32 exec_lo, exec_lo, s1
	v_cmp_gt_u32_e64 s0, 32, v0
	s_waitcnt lgkmcnt(0)
	s_barrier
	buffer_gl0_inv
	s_and_saveexec_b32 s2, s0
	s_cbranch_execz .LBB140_85
; %bb.74:
	v_lshl_add_u32 v0, v42, 2, v9
	s_and_saveexec_b32 s1, vcc_lo
	s_cbranch_execnz .LBB140_109
; %bb.75:
	s_or_b32 exec_lo, exec_lo, s1
	s_and_saveexec_b32 s1, vcc_lo
	s_cbranch_execnz .LBB140_110
.LBB140_76:
	s_or_b32 exec_lo, exec_lo, s1
	s_and_saveexec_b32 s1, vcc_lo
	s_cbranch_execnz .LBB140_111
.LBB140_77:
	s_or_b32 exec_lo, exec_lo, s1
	s_and_saveexec_b32 s1, vcc_lo
	s_cbranch_execnz .LBB140_112
.LBB140_78:
	s_or_b32 exec_lo, exec_lo, s1
	s_and_saveexec_b32 s1, vcc_lo
	s_cbranch_execnz .LBB140_113
.LBB140_79:
	s_or_b32 exec_lo, exec_lo, s1
	s_and_saveexec_b32 s1, vcc_lo
	s_cbranch_execnz .LBB140_114
.LBB140_80:
	s_or_b32 exec_lo, exec_lo, s1
	s_and_saveexec_b32 s1, vcc_lo
	s_cbranch_execz .LBB140_82
.LBB140_81:
	ds_read_b32 v9, v0 offset:384
	s_waitcnt lgkmcnt(0)
	v_add_f32_e32 v2, v2, v9
.LBB140_82:
	s_or_b32 exec_lo, exec_lo, s1
	v_or_b32_e32 v9, 0x70, v42
	v_cmp_gt_u32_e64 s1, 0x78, v9
	s_and_b32 s3, vcc_lo, s1
	s_and_saveexec_b32 s1, s3
	s_cbranch_execz .LBB140_84
; %bb.83:
	ds_read_b32 v0, v0 offset:448
	s_waitcnt lgkmcnt(0)
	v_add_f32_e32 v1, v1, v0
.LBB140_84:
	s_or_b32 exec_lo, exec_lo, s1
.LBB140_85:
	s_or_b32 exec_lo, exec_lo, s2
	s_barrier
	buffer_gl0_inv
	s_and_saveexec_b32 s1, s0
	s_cbranch_execz .LBB140_102
; %bb.86:
	s_mul_i32 s0, s10, s7
	s_mul_i32 s2, s7, s6
	;; [unrolled: 1-line block ×3, first 2 shown]
	v_lshlrev_b32_e32 v0, 1, v39
	s_mulk_i32 s0, 0x78
	s_ashr_i32 s1, s0, 31
	s_lshl_b64 s[0:1], s[0:1], 1
	s_add_u32 s4, s16, s0
	s_addc_u32 s5, s17, s1
	s_ashr_i32 s3, s2, 31
	s_lshl_b64 s[0:1], s[2:3], 1
	s_mul_i32 s2, s8, 0x78
	s_add_u32 s4, s4, s0
	s_addc_u32 s5, s5, s1
	s_ashr_i32 s3, s2, 31
	s_lshl_b64 s[0:1], s[2:3], 1
	s_add_u32 s2, s4, s0
	s_addc_u32 s3, s5, s1
	s_and_saveexec_b32 s1, vcc_lo
	s_cbranch_execz .LBB140_88
; %bb.87:
	v_bfe_u32 v9, v8, 16, 1
	v_or_b32_e32 v10, 0x400000, v8
	v_cmp_u_f32_e64 s0, v8, v8
	v_add3_u32 v9, v9, v8, 0x7fff
	v_cndmask_b32_e64 v8, v9, v10, s0
	global_store_short_d16_hi v0, v8, s[2:3]
.LBB140_88:
	s_or_b32 exec_lo, exec_lo, s1
	v_or_b32_e32 v8, 16, v39
	v_cmp_gt_u32_e64 s0, 0x78, v8
	s_and_b32 s0, vcc_lo, s0
	s_and_saveexec_b32 s1, s0
	s_cbranch_execz .LBB140_90
; %bb.89:
	v_bfe_u32 v8, v7, 16, 1
	v_or_b32_e32 v9, 0x400000, v7
	v_cmp_u_f32_e64 s0, v7, v7
	v_add3_u32 v8, v8, v7, 0x7fff
	v_cndmask_b32_e64 v7, v8, v9, s0
	global_store_short_d16_hi v0, v7, s[2:3] offset:32
.LBB140_90:
	s_or_b32 exec_lo, exec_lo, s1
	v_or_b32_e32 v7, 32, v39
	v_cmp_gt_u32_e64 s0, 0x78, v7
	s_and_b32 s0, vcc_lo, s0
	s_and_saveexec_b32 s1, s0
	s_cbranch_execz .LBB140_92
; %bb.91:
	v_bfe_u32 v7, v6, 16, 1
	v_or_b32_e32 v8, 0x400000, v6
	v_cmp_u_f32_e64 s0, v6, v6
	v_add3_u32 v7, v7, v6, 0x7fff
	v_cndmask_b32_e64 v6, v7, v8, s0
	global_store_short_d16_hi v0, v6, s[2:3] offset:64
.LBB140_92:
	;; [unrolled: 14-line block ×6, first 2 shown]
	s_or_b32 exec_lo, exec_lo, s1
	v_or_b32_e32 v2, 0x70, v39
	v_cmp_gt_u32_e64 s0, 0x78, v2
	s_and_b32 s0, vcc_lo, s0
	s_and_b32 exec_lo, exec_lo, s0
	s_cbranch_execz .LBB140_102
; %bb.101:
	v_bfe_u32 v2, v1, 16, 1
	v_or_b32_e32 v3, 0x400000, v1
	v_cmp_u_f32_e32 vcc_lo, v1, v1
	v_add3_u32 v2, v2, v1, 0x7fff
	v_cndmask_b32_e32 v1, v2, v3, vcc_lo
	global_store_short_d16_hi v0, v1, s[2:3] offset:224
.LBB140_102:
	s_endpgm
.LBB140_103:
	v_lshl_add_u32 v10, v42, 2, v9
	ds_read_b32 v10, v10
	s_waitcnt lgkmcnt(0)
	v_add_f32_e32 v8, v8, v10
	s_or_b32 exec_lo, exec_lo, s0
	s_and_saveexec_b32 s0, vcc_lo
	s_cbranch_execz .LBB140_59
.LBB140_104:
	v_lshl_add_u32 v10, v42, 2, v9
	ds_read_b32 v10, v10 offset:64
	s_waitcnt lgkmcnt(0)
	v_add_f32_e32 v7, v7, v10
	s_or_b32 exec_lo, exec_lo, s0
	s_and_saveexec_b32 s0, vcc_lo
	s_cbranch_execz .LBB140_60
.LBB140_105:
	v_lshl_add_u32 v10, v42, 2, v9
	ds_read_b32 v10, v10 offset:128
	s_waitcnt lgkmcnt(0)
	v_add_f32_e32 v6, v6, v10
	s_or_b32 exec_lo, exec_lo, s0
	s_and_saveexec_b32 s0, vcc_lo
	s_cbranch_execz .LBB140_61
.LBB140_106:
	v_lshl_add_u32 v10, v42, 2, v9
	ds_read_b32 v10, v10 offset:192
	s_waitcnt lgkmcnt(0)
	v_add_f32_e32 v5, v5, v10
	s_or_b32 exec_lo, exec_lo, s0
	s_and_saveexec_b32 s0, vcc_lo
	s_cbranch_execz .LBB140_62
.LBB140_107:
	v_lshl_add_u32 v10, v42, 2, v9
	ds_read_b32 v10, v10 offset:256
	s_waitcnt lgkmcnt(0)
	v_add_f32_e32 v4, v4, v10
	s_or_b32 exec_lo, exec_lo, s0
	s_and_saveexec_b32 s0, vcc_lo
	s_cbranch_execz .LBB140_63
.LBB140_108:
	v_lshl_add_u32 v10, v42, 2, v9
	ds_read_b32 v10, v10 offset:320
	s_waitcnt lgkmcnt(0)
	v_add_f32_e32 v3, v3, v10
	s_or_b32 exec_lo, exec_lo, s0
	s_and_saveexec_b32 s0, vcc_lo
	s_cbranch_execnz .LBB140_64
	s_branch .LBB140_65
.LBB140_109:
	ds_read_b32 v9, v0
	s_waitcnt lgkmcnt(0)
	v_add_f32_e32 v8, v8, v9
	s_or_b32 exec_lo, exec_lo, s1
	s_and_saveexec_b32 s1, vcc_lo
	s_cbranch_execz .LBB140_76
.LBB140_110:
	ds_read_b32 v9, v0 offset:64
	s_waitcnt lgkmcnt(0)
	v_add_f32_e32 v7, v7, v9
	s_or_b32 exec_lo, exec_lo, s1
	s_and_saveexec_b32 s1, vcc_lo
	s_cbranch_execz .LBB140_77
.LBB140_111:
	ds_read_b32 v9, v0 offset:128
	s_waitcnt lgkmcnt(0)
	v_add_f32_e32 v6, v6, v9
	s_or_b32 exec_lo, exec_lo, s1
	s_and_saveexec_b32 s1, vcc_lo
	s_cbranch_execz .LBB140_78
.LBB140_112:
	ds_read_b32 v9, v0 offset:192
	s_waitcnt lgkmcnt(0)
	v_add_f32_e32 v5, v5, v9
	s_or_b32 exec_lo, exec_lo, s1
	s_and_saveexec_b32 s1, vcc_lo
	s_cbranch_execz .LBB140_79
.LBB140_113:
	ds_read_b32 v9, v0 offset:256
	s_waitcnt lgkmcnt(0)
	v_add_f32_e32 v4, v4, v9
	s_or_b32 exec_lo, exec_lo, s1
	s_and_saveexec_b32 s1, vcc_lo
	s_cbranch_execz .LBB140_80
.LBB140_114:
	ds_read_b32 v9, v0 offset:320
	s_waitcnt lgkmcnt(0)
	v_add_f32_e32 v3, v3, v9
	s_or_b32 exec_lo, exec_lo, s1
	s_and_saveexec_b32 s1, vcc_lo
	s_cbranch_execnz .LBB140_81
	s_branch .LBB140_82
	.section	.rodata,"a",@progbits
	.p2align	6, 0x0
	.amdhsa_kernel _ZN4vllm25paged_attention_v1_kernelI14__hip_bfloat16S1_Li120ELi16ELi128ELNS_18Fp8KVCacheDataTypeE0ELb0EEEvPT_PKS3_PKT0_S9_ifPKiSB_iPKfiiiSD_SD_iiiii
		.amdhsa_group_segment_fixed_size 272
		.amdhsa_private_segment_fixed_size 0
		.amdhsa_kernarg_size 384
		.amdhsa_user_sgpr_count 6
		.amdhsa_user_sgpr_private_segment_buffer 1
		.amdhsa_user_sgpr_dispatch_ptr 0
		.amdhsa_user_sgpr_queue_ptr 0
		.amdhsa_user_sgpr_kernarg_segment_ptr 1
		.amdhsa_user_sgpr_dispatch_id 0
		.amdhsa_user_sgpr_flat_scratch_init 0
		.amdhsa_user_sgpr_private_segment_size 0
		.amdhsa_wavefront_size32 1
		.amdhsa_uses_dynamic_stack 0
		.amdhsa_system_sgpr_private_segment_wavefront_offset 0
		.amdhsa_system_sgpr_workgroup_id_x 1
		.amdhsa_system_sgpr_workgroup_id_y 1
		.amdhsa_system_sgpr_workgroup_id_z 1
		.amdhsa_system_sgpr_workgroup_info 0
		.amdhsa_system_vgpr_workitem_id 0
		.amdhsa_next_free_vgpr 128
		.amdhsa_next_free_sgpr 27
		.amdhsa_reserve_vcc 1
		.amdhsa_reserve_flat_scratch 0
		.amdhsa_float_round_mode_32 0
		.amdhsa_float_round_mode_16_64 0
		.amdhsa_float_denorm_mode_32 3
		.amdhsa_float_denorm_mode_16_64 3
		.amdhsa_dx10_clamp 1
		.amdhsa_ieee_mode 1
		.amdhsa_fp16_overflow 0
		.amdhsa_workgroup_processor_mode 1
		.amdhsa_memory_ordered 1
		.amdhsa_forward_progress 1
		.amdhsa_shared_vgpr_count 0
		.amdhsa_exception_fp_ieee_invalid_op 0
		.amdhsa_exception_fp_denorm_src 0
		.amdhsa_exception_fp_ieee_div_zero 0
		.amdhsa_exception_fp_ieee_overflow 0
		.amdhsa_exception_fp_ieee_underflow 0
		.amdhsa_exception_fp_ieee_inexact 0
		.amdhsa_exception_int_div_zero 0
	.end_amdhsa_kernel
	.section	.text._ZN4vllm25paged_attention_v1_kernelI14__hip_bfloat16S1_Li120ELi16ELi128ELNS_18Fp8KVCacheDataTypeE0ELb0EEEvPT_PKS3_PKT0_S9_ifPKiSB_iPKfiiiSD_SD_iiiii,"axG",@progbits,_ZN4vllm25paged_attention_v1_kernelI14__hip_bfloat16S1_Li120ELi16ELi128ELNS_18Fp8KVCacheDataTypeE0ELb0EEEvPT_PKS3_PKT0_S9_ifPKiSB_iPKfiiiSD_SD_iiiii,comdat
.Lfunc_end140:
	.size	_ZN4vllm25paged_attention_v1_kernelI14__hip_bfloat16S1_Li120ELi16ELi128ELNS_18Fp8KVCacheDataTypeE0ELb0EEEvPT_PKS3_PKT0_S9_ifPKiSB_iPKfiiiSD_SD_iiiii, .Lfunc_end140-_ZN4vllm25paged_attention_v1_kernelI14__hip_bfloat16S1_Li120ELi16ELi128ELNS_18Fp8KVCacheDataTypeE0ELb0EEEvPT_PKS3_PKT0_S9_ifPKiSB_iPKfiiiSD_SD_iiiii
                                        ; -- End function
	.set _ZN4vllm25paged_attention_v1_kernelI14__hip_bfloat16S1_Li120ELi16ELi128ELNS_18Fp8KVCacheDataTypeE0ELb0EEEvPT_PKS3_PKT0_S9_ifPKiSB_iPKfiiiSD_SD_iiiii.num_vgpr, 128
	.set _ZN4vllm25paged_attention_v1_kernelI14__hip_bfloat16S1_Li120ELi16ELi128ELNS_18Fp8KVCacheDataTypeE0ELb0EEEvPT_PKS3_PKT0_S9_ifPKiSB_iPKfiiiSD_SD_iiiii.num_agpr, 0
	.set _ZN4vllm25paged_attention_v1_kernelI14__hip_bfloat16S1_Li120ELi16ELi128ELNS_18Fp8KVCacheDataTypeE0ELb0EEEvPT_PKS3_PKT0_S9_ifPKiSB_iPKfiiiSD_SD_iiiii.numbered_sgpr, 27
	.set _ZN4vllm25paged_attention_v1_kernelI14__hip_bfloat16S1_Li120ELi16ELi128ELNS_18Fp8KVCacheDataTypeE0ELb0EEEvPT_PKS3_PKT0_S9_ifPKiSB_iPKfiiiSD_SD_iiiii.num_named_barrier, 0
	.set _ZN4vllm25paged_attention_v1_kernelI14__hip_bfloat16S1_Li120ELi16ELi128ELNS_18Fp8KVCacheDataTypeE0ELb0EEEvPT_PKS3_PKT0_S9_ifPKiSB_iPKfiiiSD_SD_iiiii.private_seg_size, 0
	.set _ZN4vllm25paged_attention_v1_kernelI14__hip_bfloat16S1_Li120ELi16ELi128ELNS_18Fp8KVCacheDataTypeE0ELb0EEEvPT_PKS3_PKT0_S9_ifPKiSB_iPKfiiiSD_SD_iiiii.uses_vcc, 1
	.set _ZN4vllm25paged_attention_v1_kernelI14__hip_bfloat16S1_Li120ELi16ELi128ELNS_18Fp8KVCacheDataTypeE0ELb0EEEvPT_PKS3_PKT0_S9_ifPKiSB_iPKfiiiSD_SD_iiiii.uses_flat_scratch, 0
	.set _ZN4vllm25paged_attention_v1_kernelI14__hip_bfloat16S1_Li120ELi16ELi128ELNS_18Fp8KVCacheDataTypeE0ELb0EEEvPT_PKS3_PKT0_S9_ifPKiSB_iPKfiiiSD_SD_iiiii.has_dyn_sized_stack, 0
	.set _ZN4vllm25paged_attention_v1_kernelI14__hip_bfloat16S1_Li120ELi16ELi128ELNS_18Fp8KVCacheDataTypeE0ELb0EEEvPT_PKS3_PKT0_S9_ifPKiSB_iPKfiiiSD_SD_iiiii.has_recursion, 0
	.set _ZN4vllm25paged_attention_v1_kernelI14__hip_bfloat16S1_Li120ELi16ELi128ELNS_18Fp8KVCacheDataTypeE0ELb0EEEvPT_PKS3_PKT0_S9_ifPKiSB_iPKfiiiSD_SD_iiiii.has_indirect_call, 0
	.section	.AMDGPU.csdata,"",@progbits
; Kernel info:
; codeLenInByte = 11460
; TotalNumSgprs: 29
; NumVgprs: 128
; ScratchSize: 0
; MemoryBound: 0
; FloatMode: 240
; IeeeMode: 1
; LDSByteSize: 272 bytes/workgroup (compile time only)
; SGPRBlocks: 0
; VGPRBlocks: 15
; NumSGPRsForWavesPerEU: 29
; NumVGPRsForWavesPerEU: 128
; Occupancy: 8
; WaveLimiterHint : 1
; COMPUTE_PGM_RSRC2:SCRATCH_EN: 0
; COMPUTE_PGM_RSRC2:USER_SGPR: 6
; COMPUTE_PGM_RSRC2:TRAP_HANDLER: 0
; COMPUTE_PGM_RSRC2:TGID_X_EN: 1
; COMPUTE_PGM_RSRC2:TGID_Y_EN: 1
; COMPUTE_PGM_RSRC2:TGID_Z_EN: 1
; COMPUTE_PGM_RSRC2:TIDIG_COMP_CNT: 0
	.section	.text._ZN4vllm25paged_attention_v1_kernelI14__hip_bfloat16S1_Li128ELi16ELi128ELNS_18Fp8KVCacheDataTypeE0ELb0EEEvPT_PKS3_PKT0_S9_ifPKiSB_iPKfiiiSD_SD_iiiii,"axG",@progbits,_ZN4vllm25paged_attention_v1_kernelI14__hip_bfloat16S1_Li128ELi16ELi128ELNS_18Fp8KVCacheDataTypeE0ELb0EEEvPT_PKS3_PKT0_S9_ifPKiSB_iPKfiiiSD_SD_iiiii,comdat
	.protected	_ZN4vllm25paged_attention_v1_kernelI14__hip_bfloat16S1_Li128ELi16ELi128ELNS_18Fp8KVCacheDataTypeE0ELb0EEEvPT_PKS3_PKT0_S9_ifPKiSB_iPKfiiiSD_SD_iiiii ; -- Begin function _ZN4vllm25paged_attention_v1_kernelI14__hip_bfloat16S1_Li128ELi16ELi128ELNS_18Fp8KVCacheDataTypeE0ELb0EEEvPT_PKS3_PKT0_S9_ifPKiSB_iPKfiiiSD_SD_iiiii
	.globl	_ZN4vllm25paged_attention_v1_kernelI14__hip_bfloat16S1_Li128ELi16ELi128ELNS_18Fp8KVCacheDataTypeE0ELb0EEEvPT_PKS3_PKT0_S9_ifPKiSB_iPKfiiiSD_SD_iiiii
	.p2align	8
	.type	_ZN4vllm25paged_attention_v1_kernelI14__hip_bfloat16S1_Li128ELi16ELi128ELNS_18Fp8KVCacheDataTypeE0ELb0EEEvPT_PKS3_PKT0_S9_ifPKiSB_iPKfiiiSD_SD_iiiii,@function
_ZN4vllm25paged_attention_v1_kernelI14__hip_bfloat16S1_Li128ELi16ELi128ELNS_18Fp8KVCacheDataTypeE0ELb0EEEvPT_PKS3_PKT0_S9_ifPKiSB_iPKfiiiSD_SD_iiiii: ; @_ZN4vllm25paged_attention_v1_kernelI14__hip_bfloat16S1_Li128ELi16ELi128ELNS_18Fp8KVCacheDataTypeE0ELb0EEEvPT_PKS3_PKT0_S9_ifPKiSB_iPKfiiiSD_SD_iiiii
; %bb.0:
	s_clause 0x2
	s_load_dword s9, s[4:5], 0x80
	s_load_dwordx2 s[0:1], s[4:5], 0x30
	s_load_dwordx2 s[24:25], s[4:5], 0x20
	s_mov_b32 s10, s7
	s_ashr_i32 s11, s7, 31
	s_lshl_b64 s[2:3], s[10:11], 2
	s_waitcnt lgkmcnt(0)
	s_add_u32 s0, s0, s2
	s_addc_u32 s1, s1, s3
	s_abs_i32 s2, s24
	s_abs_i32 s11, s9
	v_cvt_f32_u32_e32 v1, s2
	s_sub_i32 s7, 0, s2
	v_rcp_iflag_f32_e32 v1, v1
	v_mul_f32_e32 v1, 0x4f7ffffe, v1
	v_cvt_u32_f32_e32 v1, v1
	v_readfirstlane_b32 s3, v1
	s_mul_i32 s7, s7, s3
	s_mul_hi_u32 s7, s3, s7
	s_add_i32 s3, s3, s7
	s_xor_b32 s7, s9, s24
	s_mul_hi_u32 s3, s11, s3
	s_ashr_i32 s7, s7, 31
	s_mul_i32 s12, s3, s2
	s_mov_b32 s24, 0
	s_sub_i32 s11, s11, s12
	s_add_i32 s12, s3, 1
	s_sub_i32 s13, s11, s2
	s_cmp_ge_u32 s11, s2
	s_cselect_b32 s3, s12, s3
	s_cselect_b32 s11, s13, s11
	s_add_i32 s12, s3, 1
	s_cmp_ge_u32 s11, s2
	s_cselect_b32 s2, s12, s3
	s_abs_i32 s17, s6
	s_xor_b32 s2, s2, s7
	s_sub_i32 s18, s2, s7
	s_load_dwordx2 s[2:3], s[4:5], 0x40
	s_abs_i32 s16, s18
	v_cvt_f32_u32_e32 v1, s16
	s_sub_i32 s11, 0, s16
	v_rcp_iflag_f32_e32 v1, v1
	v_mul_f32_e32 v1, 0x4f7ffffe, v1
	v_cvt_u32_f32_e32 v1, v1
	v_readfirstlane_b32 s7, v1
	s_mul_i32 s11, s11, s7
	s_mul_hi_u32 s11, s7, s11
	s_add_i32 s7, s7, s11
	s_waitcnt lgkmcnt(0)
	s_cmp_eq_u64 s[2:3], 0
	s_mul_hi_u32 s20, s17, s7
	s_cbranch_scc1 .LBB141_2
; %bb.1:
	s_ashr_i32 s7, s6, 31
	s_lshl_b64 s[12:13], s[6:7], 2
	s_add_u32 s2, s2, s12
	s_addc_u32 s3, s3, s13
	s_load_dword s24, s[2:3], 0x0
.LBB141_2:
	s_load_dword s11, s[0:1], 0x0
	s_load_dwordx4 s[12:15], s[4:5], 0x48
	v_lshrrev_b32_e32 v43, 1, v0
	v_and_b32_e32 v44, 1, v0
	v_cmp_gt_u32_e64 s0, 32, v0
	v_lshlrev_b32_e32 v5, 3, v0
	s_ashr_i32 s1, s6, 31
	s_ashr_i32 s2, s18, 31
	s_lshl_b32 s6, s6, 7
	s_and_saveexec_b32 s3, s0
	s_cbranch_execz .LBB141_4
; %bb.3:
	s_load_dwordx2 s[18:19], s[4:5], 0x8
	s_waitcnt lgkmcnt(0)
	s_mul_i32 s22, s12, s10
	v_lshlrev_b32_e32 v3, 3, v43
	s_ashr_i32 s23, s22, 31
	s_lshl_b64 s[22:23], s[22:23], 1
	v_lshl_add_u32 v3, v44, 7, v3
	s_add_u32 s12, s18, s22
	s_addc_u32 s15, s19, s23
	s_ashr_i32 s7, s6, 31
	s_lshl_b64 s[18:19], s[6:7], 1
	s_add_u32 s18, s12, s18
	s_addc_u32 s19, s15, s19
	global_load_dwordx2 v[1:2], v5, s[18:19]
	s_waitcnt vmcnt(0)
	ds_write_b64 v3, v[1:2]
.LBB141_4:
	s_or_b32 exec_lo, exec_lo, s3
	s_waitcnt lgkmcnt(0)
	s_add_i32 s3, s11, 15
	s_clause 0x1
	s_load_dwordx2 s[18:19], s[4:5], 0x28
	s_load_dword s15, s[4:5], 0x38
	s_ashr_i32 s7, s3, 31
	s_xor_b32 s1, s1, s2
	s_lshr_b32 s7, s7, 28
	s_mul_i32 s2, s20, s16
	s_add_i32 s3, s3, s7
	s_sub_i32 s2, s17, s2
	s_ashr_i32 s12, s3, 4
	s_add_i32 s3, s20, 1
	s_sub_i32 s7, s2, s16
	s_cmp_ge_u32 s2, s16
	v_lshrrev_b32_e32 v45, 5, v0
	s_cselect_b32 s3, s3, s20
	s_cselect_b32 s2, s7, s2
	s_add_i32 s7, s3, 1
	s_cmp_ge_u32 s2, s16
	v_mbcnt_lo_u32_b32 v7, -1, 0
	s_cselect_b32 s2, s7, s3
	s_mov_b32 s3, exec_lo
	s_xor_b32 s2, s2, s1
	s_waitcnt lgkmcnt(0)
	s_mul_i32 s20, s15, s10
	s_sub_i32 s2, s2, s1
	v_cmp_gt_i32_e64 s1, s12, v45
	s_ashr_i32 s21, s20, 31
	s_barrier
	buffer_gl0_inv
                                        ; implicit-def: $vgpr29
                                        ; implicit-def: $vgpr40
	v_cmpx_le_i32_e64 s12, v45
	s_xor_b32 s3, exec_lo, s3
; %bb.5:
	v_mov_b32_e32 v29, 0
	v_mbcnt_lo_u32_b32 v7, -1, 0
	v_mov_b32_e32 v40, 32
; %bb.6:
	s_or_saveexec_b32 s26, s3
	s_clause 0x2
	s_load_dwordx2 s[16:17], s[4:5], 0x0
	s_load_dwordx2 s[22:23], s[4:5], 0x18
	s_load_dword s7, s[4:5], 0x88
	v_mov_b32_e32 v77, 0xff7fffff
	v_lshrrev_b32_e32 v6, 3, v0
	s_mul_i32 s14, s2, s14
	s_xor_b32 exec_lo, exec_lo, s26
	s_cbranch_execz .LBB141_12
; %bb.7:
	v_lshlrev_b32_e32 v53, 7, v44
	s_load_dwordx2 s[2:3], s[4:5], 0x10
	s_ashr_i32 s15, s14, 31
	v_mov_b32_e32 v77, 0xff7fffff
	s_lshl_b64 s[4:5], s[14:15], 1
	ds_read_b128 v[1:4], v53
	ds_read_b128 v[20:23], v53 offset:16
	ds_read_b128 v[29:32], v53 offset:32
	;; [unrolled: 1-line block ×5, first 2 shown]
	v_mov_b32_e32 v83, v45
	s_mov_b32 s27, s13
	s_mov_b32 s15, 0
	ds_read_b128 v[65:68], v53 offset:96
	s_waitcnt lgkmcnt(0)
	v_lshlrev_b32_e32 v8, 16, v1
	v_and_b32_e32 v9, 0xffff0000, v1
	v_lshlrev_b32_e32 v10, 16, v2
	v_and_b32_e32 v11, 0xffff0000, v2
	;; [unrolled: 2-line block ×4, first 2 shown]
	ds_read_b128 v[1:4], v53 offset:80
	s_add_u32 s2, s2, s4
	v_lshlrev_b32_e32 v33, 16, v37
	v_and_b32_e32 v34, 0xffff0000, v37
	v_lshlrev_b32_e32 v35, 16, v38
	v_and_b32_e32 v36, 0xffff0000, v38
	;; [unrolled: 2-line block ×4, first 2 shown]
	s_addc_u32 s3, s3, s5
	s_lshl_b64 s[28:29], s[20:21], 2
	v_lshlrev_b32_e32 v24, 16, v29
	v_and_b32_e32 v25, 0xffff0000, v29
	s_sub_i32 s5, 1, s11
	v_lshlrev_b32_e32 v16, 16, v20
	v_and_b32_e32 v17, 0xffff0000, v20
	v_lshlrev_b32_e32 v18, 16, v21
	v_and_b32_e32 v19, 0xffff0000, v21
	v_lshlrev_b32_e32 v20, 16, v22
	s_waitcnt lgkmcnt(0)
	v_lshlrev_b32_e32 v53, 16, v1
	v_and_b32_e32 v54, 0xffff0000, v1
	v_bfe_u32 v1, v0, 1, 4
	v_lshlrev_b32_e32 v55, 16, v2
	v_and_b32_e32 v56, 0xffff0000, v2
	v_lshlrev_b32_e32 v59, 16, v4
	v_and_b32_e32 v60, 0xffff0000, v4
	v_lshlrev_b32_e32 v2, 4, v1
	v_xor_b32_e32 v4, 1, v7
	v_lshlrev_b32_e32 v57, 16, v3
	v_and_b32_e32 v58, 0xffff0000, v3
	v_and_b32_e32 v3, 8, v5
	v_add_co_u32 v2, s2, s2, v2
	v_cmp_gt_i32_e32 vcc_lo, 32, v4
	v_lshlrev_b32_e32 v40, 2, v1
	v_lshl_or_b32 v81, v45, 4, v1
	v_and_b32_e32 v1, 0x7c, v6
	v_add_co_ci_u32_e64 v29, null, s3, 0, s2
	v_cndmask_b32_e32 v4, v7, v4, vcc_lo
	v_add_co_u32 v78, vcc_lo, v2, v3
	v_lshl_or_b32 v2, v45, 6, v40
	s_add_u32 s3, s18, s28
	s_addc_u32 s4, s19, s29
	v_add_co_u32 v1, s3, s3, v1
	v_and_b32_e32 v21, 0xffff0000, v22
	v_lshlrev_b32_e32 v22, 16, v23
	v_and_b32_e32 v23, 0xffff0000, v23
	v_lshlrev_b32_e32 v26, 16, v30
	;; [unrolled: 2-line block ×16, first 2 shown]
	v_and_b32_e32 v76, 0xffff0000, v76
	v_add_co_ci_u32_e64 v79, null, 0, v29, vcc_lo
	v_lshlrev_b32_e32 v80, 2, v4
	v_cmp_neq_f32_e64 s2, s24, 0
	v_add_nc_u32_e32 v82, 0x120, v2
	v_add_co_ci_u32_e64 v2, null, s4, 0, s3
	v_mov_b32_e32 v29, 0
	v_mov_b32_e32 v40, 32
	v_cmp_eq_u32_e32 vcc_lo, 0, v44
	s_branch .LBB141_9
.LBB141_8:                              ;   in Loop: Header=BB141_9 Depth=1
	s_or_b32 exec_lo, exec_lo, s4
	v_add_nc_u32_e32 v83, 4, v83
	v_add_co_u32 v1, s4, v1, 16
	v_add_nc_u32_e32 v81, 64, v81
	v_add_nc_u32_e32 v82, 0x100, v82
	v_cmp_le_i32_e64 s3, s12, v83
	v_add_co_ci_u32_e64 v2, null, 0, v2, s4
	s_or_b32 s15, s3, s15
	s_andn2_b32 exec_lo, exec_lo, s15
	s_cbranch_execz .LBB141_11
.LBB141_9:                              ; =>This Inner Loop Header: Depth=1
	global_load_dword v3, v[1:2], off
	s_waitcnt vmcnt(0) lgkmcnt(0)
	v_mad_i64_i32 v[3:4], null, v3, s27, 0
	v_lshlrev_b64 v[3:4], 1, v[3:4]
	v_add_co_u32 v84, s3, v78, v3
	v_add_co_ci_u32_e64 v85, null, v79, v4, s3
	s_clause 0x6
	global_load_dwordx2 v[3:4], v[84:85], off
	global_load_dwordx2 v[86:87], v[84:85], off offset:256
	global_load_dwordx2 v[88:89], v[84:85], off offset:512
	;; [unrolled: 1-line block ×6, first 2 shown]
	s_waitcnt vmcnt(6)
	v_lshlrev_b32_e32 v98, 16, v3
	v_and_b32_e32 v99, 0xffff0000, v3
	v_add_co_u32 v3, s3, 0x800, v84
	v_lshlrev_b32_e32 v100, 16, v4
	v_and_b32_e32 v101, 0xffff0000, v4
	v_add_co_ci_u32_e64 v4, null, 0, v85, s3
	global_load_dwordx2 v[84:85], v[84:85], off offset:1792
	s_waitcnt vmcnt(5)
	v_lshlrev_b32_e32 v104, 16, v88
	v_and_b32_e32 v105, 0xffff0000, v88
	s_waitcnt vmcnt(3)
	v_lshlrev_b32_e32 v114, 16, v93
	v_and_b32_e32 v115, 0xffff0000, v93
	;; [unrolled: 3-line block ×3, first 2 shown]
	v_lshlrev_b32_e32 v116, 16, v94
	v_and_b32_e32 v117, 0xffff0000, v94
	v_lshlrev_b32_e32 v118, 16, v95
	v_and_b32_e32 v119, 0xffff0000, v95
	;; [unrolled: 2-line block ×3, first 2 shown]
	v_lshlrev_b32_e32 v103, 16, v87
	v_lshlrev_b32_e32 v106, 16, v89
	v_and_b32_e32 v107, 0xffff0000, v89
	v_lshlrev_b32_e32 v108, 16, v90
	v_and_b32_e32 v109, 0xffff0000, v90
	;; [unrolled: 2-line block ×4, first 2 shown]
	v_and_b32_e32 v87, 0xffff0000, v87
	v_lshlrev_b32_e32 v120, 16, v96
	v_and_b32_e32 v96, 0xffff0000, v96
	global_load_dwordx2 v[94:95], v[3:4], off offset:256
	v_mul_f32_e32 v87, v15, v87
	v_fmac_f32_e32 v87, v11, v101
	v_fmac_f32_e32 v87, v19, v107
	v_fmac_f32_e32 v87, v23, v111
	v_fmac_f32_e32 v87, v27, v115
	v_fmac_f32_e32 v87, v32, v119
	v_fmac_f32_e32 v87, v36, v93
	s_waitcnt vmcnt(1)
	v_lshlrev_b32_e32 v97, 16, v84
	v_and_b32_e32 v122, 0xffff0000, v84
	v_lshlrev_b32_e32 v123, 16, v85
	v_and_b32_e32 v88, 0xffff0000, v85
	global_load_dwordx2 v[84:85], v[3:4], off
	v_fmac_f32_e32 v87, v41, v88
	s_waitcnt vmcnt(1)
	v_and_b32_e32 v92, 0xffff0000, v95
	s_waitcnt vmcnt(0)
	v_lshlrev_b32_e32 v124, 16, v84
	v_and_b32_e32 v91, 0xffff0000, v84
	v_lshlrev_b32_e32 v90, 16, v85
	v_and_b32_e32 v89, 0xffff0000, v85
	v_mul_f32_e32 v84, v12, v102
	v_mul_f32_e32 v85, v13, v86
	;; [unrolled: 1-line block ×3, first 2 shown]
	v_fmac_f32_e32 v87, v48, v89
	v_fmac_f32_e32 v84, v8, v98
	v_fmac_f32_e32 v85, v9, v99
	v_fmac_f32_e32 v86, v10, v100
	v_lshlrev_b32_e32 v98, 16, v94
	v_and_b32_e32 v99, 0xffff0000, v94
	v_lshlrev_b32_e32 v100, 16, v95
	global_load_dwordx2 v[94:95], v[3:4], off offset:512
	v_fmac_f32_e32 v84, v16, v104
	v_fmac_f32_e32 v85, v17, v105
	;; [unrolled: 1-line block ×25, first 2 shown]
	s_waitcnt vmcnt(0)
	v_lshlrev_b32_e32 v101, 16, v94
	v_and_b32_e32 v102, 0xffff0000, v94
	v_lshlrev_b32_e32 v103, 16, v95
	v_and_b32_e32 v104, 0xffff0000, v95
	global_load_dwordx2 v[94:95], v[3:4], off offset:768
	v_fmac_f32_e32 v84, v53, v101
	v_fmac_f32_e32 v85, v54, v102
	v_fmac_f32_e32 v86, v55, v103
	v_fmac_f32_e32 v87, v56, v104
	s_waitcnt vmcnt(0)
	v_lshlrev_b32_e32 v105, 16, v94
	v_and_b32_e32 v106, 0xffff0000, v94
	v_lshlrev_b32_e32 v107, 16, v95
	v_and_b32_e32 v108, 0xffff0000, v95
	global_load_dwordx2 v[94:95], v[3:4], off offset:1024
	v_fmac_f32_e32 v84, v57, v105
	v_fmac_f32_e32 v85, v58, v106
	v_fmac_f32_e32 v86, v59, v107
	v_fmac_f32_e32 v87, v60, v108
	;; [unrolled: 10-line block ×3, first 2 shown]
	s_waitcnt vmcnt(0)
	v_lshlrev_b32_e32 v96, 16, v94
	v_and_b32_e32 v97, 0xffff0000, v94
	s_clause 0x1
	global_load_dwordx2 v[93:94], v[3:4], off offset:1536
	global_load_dwordx2 v[3:4], v[3:4], off offset:1792
	v_lshlrev_b32_e32 v113, 16, v95
	v_and_b32_e32 v95, 0xffff0000, v95
	v_fmac_f32_e32 v84, v65, v96
	v_fmac_f32_e32 v85, v66, v97
	v_fmac_f32_e32 v86, v67, v113
	v_fmac_f32_e32 v87, v68, v95
	s_waitcnt vmcnt(1)
	v_lshlrev_b32_e32 v91, 16, v93
	v_and_b32_e32 v88, 0xffff0000, v93
	v_lshlrev_b32_e32 v89, 16, v94
	s_waitcnt vmcnt(0)
	v_lshlrev_b32_e32 v92, 16, v3
	v_and_b32_e32 v3, 0xffff0000, v3
	v_fmac_f32_e32 v84, v69, v91
	v_fmac_f32_e32 v85, v70, v88
	v_and_b32_e32 v90, 0xffff0000, v94
	v_lshlrev_b32_e32 v88, 16, v4
	v_fmac_f32_e32 v86, v71, v89
	v_fmac_f32_e32 v84, v73, v92
	;; [unrolled: 1-line block ×4, first 2 shown]
	v_and_b32_e32 v3, 0xffff0000, v4
	v_fmac_f32_e32 v86, v75, v88
	v_add_f32_e32 v4, v84, v85
	v_fmac_f32_e32 v87, v76, v3
	v_add_f32_e32 v3, v4, v86
	v_add_f32_e32 v3, v87, v3
	ds_bpermute_b32 v4, v80, v3
	s_and_saveexec_b32 s4, vcc_lo
	s_cbranch_execz .LBB141_8
; %bb.10:                               ;   in Loop: Header=BB141_9 Depth=1
	v_add_nc_u32_e32 v84, s5, v81
	s_waitcnt lgkmcnt(0)
	v_add_f32_e32 v3, v3, v4
	v_cmp_gt_i32_e64 s3, s11, v81
	v_cvt_f32_i32_e32 v84, v84
	v_mul_f32_e32 v84, s24, v84
	v_cndmask_b32_e64 v4, 0, v84, s2
	v_max_f32_e32 v84, v77, v77
	v_fmac_f32_e32 v4, s25, v3
	v_max_f32_e32 v3, v84, v4
	v_cndmask_b32_e64 v4, 0, v4, s3
	v_cndmask_b32_e64 v77, v77, v3, s3
	ds_write_b32 v82, v4
	s_branch .LBB141_8
.LBB141_11:
	s_or_b32 exec_lo, exec_lo, s15
.LBB141_12:
	s_or_b32 exec_lo, exec_lo, s26
	v_xor_b32_e32 v1, 16, v7
	v_xor_b32_e32 v3, 8, v7
	v_max_f32_e32 v8, v77, v77
	v_xor_b32_e32 v9, 2, v7
	v_and_b32_e32 v46, 31, v0
	v_cmp_lt_i32_e32 vcc_lo, v1, v40
	v_cndmask_b32_e32 v1, v7, v1, vcc_lo
	v_cmp_lt_i32_e32 vcc_lo, v3, v40
	v_lshlrev_b32_e32 v2, 2, v1
	v_cndmask_b32_e32 v3, v7, v3, vcc_lo
	ds_bpermute_b32 v1, v2, v77
	s_waitcnt lgkmcnt(0)
	v_lshlrev_b32_e32 v4, 2, v3
	v_max_f32_e32 v1, v1, v1
	v_max_f32_e32 v1, v8, v1
	v_xor_b32_e32 v8, 4, v7
	ds_bpermute_b32 v3, v4, v1
	v_cmp_lt_i32_e32 vcc_lo, v8, v40
	v_cndmask_b32_e32 v8, v7, v8, vcc_lo
	v_cmp_lt_i32_e32 vcc_lo, v9, v40
	v_lshlrev_b32_e32 v8, 2, v8
	v_cndmask_b32_e32 v9, v7, v9, vcc_lo
	v_cmp_eq_u32_e32 vcc_lo, 0, v46
	s_waitcnt lgkmcnt(0)
	v_max_f32_e32 v3, v3, v3
	v_max_f32_e32 v1, v1, v3
	ds_bpermute_b32 v3, v8, v1
	s_waitcnt lgkmcnt(0)
	v_max_f32_e32 v3, v3, v3
	v_max_f32_e32 v3, v1, v3
	v_lshlrev_b32_e32 v1, 2, v9
	v_lshlrev_b32_e32 v9, 2, v45
	ds_bpermute_b32 v10, v1, v3
	s_and_saveexec_b32 s2, vcc_lo
	s_cbranch_execz .LBB141_14
; %bb.13:
	s_waitcnt lgkmcnt(0)
	v_max_f32_e32 v10, v10, v10
	v_max_f32_e32 v3, v3, v3
	;; [unrolled: 1-line block ×3, first 2 shown]
	ds_write_b32 v9, v3 offset:256
.LBB141_14:
	s_or_b32 exec_lo, exec_lo, s2
	v_cmp_gt_u32_e64 s2, 4, v46
	v_mov_b32_e32 v3, 0xff7fffff
	s_waitcnt lgkmcnt(0)
	v_lshlrev_b32_e32 v10, 2, v46
	s_barrier
	buffer_gl0_inv
	s_and_saveexec_b32 s3, s2
; %bb.15:
	ds_read_b32 v3, v10 offset:256
; %bb.16:
	s_or_b32 exec_lo, exec_lo, s3
	s_waitcnt lgkmcnt(0)
	ds_bpermute_b32 v11, v1, v3
	v_xor_b32_e32 v12, 1, v7
	v_max_f32_e32 v3, v3, v3
	v_cmp_lt_i32_e64 s3, v12, v40
	v_cndmask_b32_e64 v12, v7, v12, s3
	s_lshl_b32 s3, s12, 4
	s_min_i32 s5, s3, s11
	v_lshlrev_b32_e32 v47, 2, v12
	v_cmp_gt_i32_e64 s3, s5, v0
	s_waitcnt lgkmcnt(0)
	v_max_f32_e32 v11, v11, v11
	v_max_f32_e32 v3, v3, v11
	ds_bpermute_b32 v11, v47, v3
	s_waitcnt lgkmcnt(0)
	v_max_f32_e32 v11, v11, v11
	v_max_f32_e32 v3, v3, v11
	v_lshlrev_b32_e32 v11, 2, v29
	ds_bpermute_b32 v12, v11, v3
	v_mov_b32_e32 v11, 0
	v_lshl_add_u32 v3, v0, 2, 0x120
	s_and_saveexec_b32 s15, s3
	s_cbranch_execz .LBB141_20
; %bb.17:
	v_lshl_add_u32 v13, v0, 2, 0x120
	v_mov_b32_e32 v11, 0
	v_mov_b32_e32 v14, v0
	s_mov_b32 s24, 0
	.p2align	6
.LBB141_18:                             ; =>This Inner Loop Header: Depth=1
	ds_read_b32 v15, v13
	v_add_nc_u32_e32 v14, 0x80, v14
	v_cmp_le_i32_e64 s4, s5, v14
	s_or_b32 s24, s4, s24
	s_waitcnt lgkmcnt(0)
	v_sub_f32_e32 v15, v15, v12
	v_mul_f32_e32 v15, 0x3fb8aa3b, v15
	v_exp_f32_e32 v15, v15
	ds_write_b32 v13, v15
	v_add_f32_e32 v11, v11, v15
	v_add_nc_u32_e32 v13, 0x200, v13
	s_andn2_b32 exec_lo, exec_lo, s24
	s_cbranch_execnz .LBB141_18
; %bb.19:
	s_or_b32 exec_lo, exec_lo, s24
.LBB141_20:
	s_or_b32 exec_lo, exec_lo, s15
	ds_bpermute_b32 v2, v2, v11
	s_waitcnt lgkmcnt(0)
	v_add_f32_e32 v2, v11, v2
	ds_bpermute_b32 v4, v4, v2
	s_waitcnt lgkmcnt(0)
	v_add_f32_e32 v2, v2, v4
	ds_bpermute_b32 v4, v8, v2
	s_waitcnt lgkmcnt(0)
	v_add_f32_e32 v2, v2, v4
	ds_bpermute_b32 v4, v1, v2
	s_waitcnt lgkmcnt(0)
	v_add_f32_e32 v2, v2, v4
	ds_bpermute_b32 v4, v47, v2
	s_waitcnt lgkmcnt(0)
	v_add_f32_e32 v2, v2, v4
	s_and_saveexec_b32 s4, vcc_lo
; %bb.21:
	ds_write_b32 v9, v2 offset:272
; %bb.22:
	s_or_b32 exec_lo, exec_lo, s4
	s_waitcnt lgkmcnt(0)
	s_barrier
	buffer_gl0_inv
	s_and_saveexec_b32 s4, s2
; %bb.23:
	ds_read_b32 v2, v10 offset:272
; %bb.24:
	s_or_b32 exec_lo, exec_lo, s4
	s_waitcnt lgkmcnt(0)
	ds_bpermute_b32 v1, v1, v2
	v_lshlrev_b32_e32 v4, 2, v7
	s_waitcnt lgkmcnt(0)
	v_add_f32_e32 v1, v2, v1
	ds_bpermute_b32 v2, v47, v1
	s_waitcnt lgkmcnt(0)
	v_add_f32_e32 v1, v1, v2
	v_and_b32_e32 v2, 0xffffff80, v4
	ds_bpermute_b32 v1, v2, v1
	s_and_saveexec_b32 s2, s3
	s_cbranch_execz .LBB141_27
; %bb.25:
	s_waitcnt lgkmcnt(0)
	v_add_f32_e32 v1, 0x358637bd, v1
	s_mov_b32 s3, 0
	v_div_scale_f32 v2, null, v1, v1, 1.0
	v_div_scale_f32 v8, vcc_lo, 1.0, v1, 1.0
	v_rcp_f32_e32 v4, v2
	v_fma_f32 v7, -v2, v4, 1.0
	v_fmac_f32_e32 v4, v7, v4
	v_mul_f32_e32 v7, v8, v4
	v_fma_f32 v9, -v2, v7, v8
	v_fmac_f32_e32 v7, v9, v4
	v_fma_f32 v2, -v2, v7, v8
	v_div_fmas_f32 v2, v2, v4, v7
	v_div_fixup_f32 v1, v2, v1, 1.0
	v_mov_b32_e32 v2, v0
.LBB141_26:                             ; =>This Inner Loop Header: Depth=1
	ds_read_b32 v4, v3
	v_add_nc_u32_e32 v2, 0x80, v2
	v_cmp_le_i32_e32 vcc_lo, s5, v2
	s_or_b32 s3, vcc_lo, s3
	s_waitcnt lgkmcnt(0)
	v_mul_f32_e32 v4, v1, v4
	ds_write_b32 v3, v4
	v_add_nc_u32_e32 v3, 0x200, v3
	s_andn2_b32 exec_lo, exec_lo, s3
	s_cbranch_execnz .LBB141_26
.LBB141_27:
	s_or_b32 exec_lo, exec_lo, s2
	v_mov_b32_e32 v54, 0
	v_mov_b32_e32 v55, 0
	;; [unrolled: 1-line block ×8, first 2 shown]
	s_waitcnt lgkmcnt(0)
	s_barrier
	buffer_gl0_inv
	s_and_saveexec_b32 s4, s1
	s_cbranch_execz .LBB141_47
; %bb.28:
	v_lshlrev_b32_e32 v1, 4, v0
	s_ashr_i32 s15, s14, 31
	v_lshlrev_b32_e32 v3, 5, v44
	s_lshl_b64 s[2:3], s[14:15], 1
	v_and_b32_e32 v2, 8, v5
	v_and_b32_e32 v1, 0x1f0, v1
	s_add_u32 s1, s22, s2
	s_addc_u32 s2, s23, s3
	s_add_i32 s5, s12, -1
	v_lshl_or_b32 v3, v45, 6, v3
	v_add_co_u32 v57, s1, s1, v1
	v_and_b32_e32 v1, 0x7c, v6
	v_add_co_ci_u32_e64 v58, null, s2, 0, s1
	s_lshl_b64 s[2:3], s[20:21], 2
	v_mov_b32_e32 v56, 0
	s_add_u32 s1, s18, s2
	s_addc_u32 s2, s19, s3
	v_add_co_u32 v41, s1, s1, v1
	v_lshl_or_b32 v59, v45, 4, v2
	v_add_nc_u32_e32 v60, 0x120, v3
	v_add_co_ci_u32_e64 v42, null, s2, 0, s1
	v_mov_b32_e32 v48, 0
	v_mov_b32_e32 v49, 0
	;; [unrolled: 1-line block ×9, first 2 shown]
	s_mov_b32 s15, s11
	s_mov_b32 s14, 0
	s_branch .LBB141_30
.LBB141_29:                             ;   in Loop: Header=BB141_30 Depth=1
	s_or_b32 exec_lo, exec_lo, s3
	s_waitcnt lgkmcnt(1)
	v_bfe_u32 v62, v29, 16, 1
	v_bfe_u32 v63, v30, 16, 1
	v_or_b32_e32 v64, 0x400000, v29
	v_cmp_u_f32_e32 vcc_lo, v29, v29
	v_or_b32_e32 v65, 0x400000, v30
	v_add3_u32 v62, v62, v29, 0x7fff
	v_bfe_u32 v66, v31, 16, 1
	v_add3_u32 v63, v63, v30, 0x7fff
	v_bfe_u32 v67, v32, 16, 1
	v_add_nc_u32_e32 v61, 4, v61
	v_cndmask_b32_e32 v29, v62, v64, vcc_lo
	v_cmp_u_f32_e32 vcc_lo, v30, v30
	v_add3_u32 v62, v66, v31, 0x7fff
	s_waitcnt lgkmcnt(0)
	v_bfe_u32 v64, v25, 16, 1
	v_or_b32_e32 v66, 0x400000, v32
	v_and_b32_e32 v29, 0xffff0000, v29
	v_cndmask_b32_e32 v30, v63, v65, vcc_lo
	v_or_b32_e32 v63, 0x400000, v31
	v_cmp_u_f32_e32 vcc_lo, v31, v31
	v_add3_u32 v65, v67, v32, 0x7fff
	v_add_co_u32 v41, s1, v41, 16
	v_add_nc_u32_e32 v59, 64, v59
	v_cndmask_b32_e32 v31, v62, v63, vcc_lo
	v_cmp_u_f32_e32 vcc_lo, v32, v32
	v_add3_u32 v62, v64, v25, 0x7fff
	v_or_b32_e32 v63, 0x400000, v25
	v_bfe_u32 v64, v26, 16, 1
	v_add_nc_u32_e32 v60, 0x100, v60
	v_cndmask_b32_e32 v32, v65, v66, vcc_lo
	v_cmp_u_f32_e32 vcc_lo, v25, v25
	v_and_b32_e32 v25, 0xffff0000, v30
	s_waitcnt vmcnt(1)
	v_and_b32_e32 v30, 0xffff0000, v37
	v_add3_u32 v64, v64, v26, 0x7fff
	v_or_b32_e32 v65, 0x400000, v26
	v_cndmask_b32_e32 v62, v62, v63, vcc_lo
	v_bfe_u32 v63, v27, 16, 1
	v_cmp_u_f32_e32 vcc_lo, v26, v26
	v_or_b32_e32 v66, 0x400000, v27
	v_mul_f32_e32 v30, v25, v30
	v_lshlrev_b32_e32 v37, 16, v37
	v_add3_u32 v63, v63, v27, 0x7fff
	v_cndmask_b32_e32 v26, v64, v65, vcc_lo
	v_bfe_u32 v64, v28, 16, 1
	v_cmp_u_f32_e32 vcc_lo, v27, v27
	v_bfe_u32 v27, v30, 16, 1
	v_or_b32_e32 v65, 0x400000, v28
	v_or_b32_e32 v67, 0x400000, v30
	v_add3_u32 v64, v64, v28, 0x7fff
	v_cndmask_b32_e32 v63, v63, v66, vcc_lo
	v_cmp_u_f32_e32 vcc_lo, v28, v28
	v_add3_u32 v66, v27, v30, 0x7fff
	v_mul_f32_e32 v37, v29, v37
	v_and_b32_e32 v27, 0xffff0000, v32
	v_and_b32_e32 v32, 0xffff0000, v38
	v_cndmask_b32_e32 v28, v64, v65, vcc_lo
	v_cmp_u_f32_e32 vcc_lo, v30, v30
	v_bfe_u32 v65, v37, 16, 1
	v_and_b32_e32 v30, 0xffff0000, v31
	v_lshlrev_b32_e32 v31, 16, v38
	v_and_b32_e32 v26, 0xffff0000, v26
	v_cndmask_b32_e32 v64, v66, v67, vcc_lo
	v_mul_f32_e32 v66, v27, v32
	v_and_b32_e32 v32, 0xffff0000, v39
	v_add3_u32 v38, v65, v37, 0x7fff
	v_or_b32_e32 v65, 0x400000, v37
	v_mul_f32_e32 v31, v30, v31
	v_bfe_u32 v67, v66, 16, 1
	v_cmp_u_f32_e32 vcc_lo, v37, v37
	v_mul_f32_e32 v68, v26, v32
	v_and_b32_e32 v32, 0xffff0000, v62
	v_lshlrev_b32_e32 v39, 16, v39
	v_and_b32_e32 v28, 0xffff0000, v28
	v_cndmask_b32_e32 v37, v38, v65, vcc_lo
	v_add3_u32 v38, v67, v66, 0x7fff
	v_or_b32_e32 v65, 0x400000, v66
	v_bfe_u32 v67, v31, 16, 1
	v_cmp_u_f32_e32 vcc_lo, v66, v66
	v_bfe_u32 v69, v68, 16, 1
	v_mul_f32_e32 v39, v32, v39
	v_and_b32_e32 v37, 0xffff0000, v37
	v_add3_u32 v62, v67, v31, 0x7fff
	v_cndmask_b32_e32 v38, v38, v65, vcc_lo
	v_or_b32_e32 v65, 0x400000, v31
	v_cmp_u_f32_e32 vcc_lo, v31, v31
	v_add3_u32 v66, v69, v68, 0x7fff
	v_and_b32_e32 v67, 0xffff0000, v40
	v_or_b32_e32 v69, 0x400000, v68
	v_bfe_u32 v70, v39, 16, 1
	v_cndmask_b32_e32 v62, v62, v65, vcc_lo
	v_cmp_u_f32_e32 vcc_lo, v68, v68
	v_mul_f32_e32 v65, v28, v67
	v_or_b32_e32 v68, 0x400000, v39
	v_add3_u32 v67, v70, v39, 0x7fff
	v_and_b32_e32 v31, 0xffff0000, v63
	v_cndmask_b32_e32 v66, v66, v69, vcc_lo
	v_cmp_u_f32_e32 vcc_lo, v39, v39
	v_lshlrev_b32_e32 v40, 16, v40
	v_and_b32_e32 v64, 0xffff0000, v64
	v_and_b32_e32 v62, 0xffff0000, v62
	;; [unrolled: 1-line block ×3, first 2 shown]
	v_cndmask_b32_e32 v39, v67, v68, vcc_lo
	v_bfe_u32 v69, v65, 16, 1
	v_mul_f32_e32 v40, v31, v40
	v_add_f32_e32 v37, v37, v64
	v_add_f32_e32 v38, v62, v38
	v_and_b32_e32 v39, 0xffff0000, v39
	v_and_b32_e32 v62, 0xffff0000, v33
	;; [unrolled: 1-line block ×3, first 2 shown]
	v_add3_u32 v63, v69, v65, 0x7fff
	v_or_b32_e32 v67, 0x400000, v65
	v_cmp_u_f32_e32 vcc_lo, v65, v65
	v_bfe_u32 v65, v40, 16, 1
	v_add_f32_e32 v37, v38, v37
	v_mul_f32_e32 v38, v25, v62
	v_add_f32_e32 v39, v39, v64
	v_lshlrev_b32_e32 v33, 16, v33
	v_cndmask_b32_e32 v63, v63, v67, vcc_lo
	v_add3_u32 v65, v65, v40, 0x7fff
	v_or_b32_e32 v66, 0x400000, v40
	v_cmp_u_f32_e32 vcc_lo, v40, v40
	v_bfe_u32 v62, v38, 16, 1
	v_add_f32_e32 v37, v39, v37
	v_mul_f32_e32 v33, v29, v33
	v_and_b32_e32 v39, 0xffff0000, v34
	v_cndmask_b32_e32 v40, v65, v66, vcc_lo
	v_add3_u32 v62, v62, v38, 0x7fff
	v_or_b32_e32 v64, 0x400000, v38
	v_bfe_u32 v65, v33, 16, 1
	v_mul_f32_e32 v39, v27, v39
	v_lshlrev_b32_e32 v34, 16, v34
	v_cmp_u_f32_e32 vcc_lo, v38, v38
	v_and_b32_e32 v66, 0xffff0000, v35
	v_lshlrev_b32_e32 v35, 16, v35
	v_and_b32_e32 v67, 0xffff0000, v36
	v_mul_f32_e32 v34, v30, v34
	v_cndmask_b32_e32 v38, v62, v64, vcc_lo
	v_add3_u32 v62, v65, v33, 0x7fff
	v_or_b32_e32 v64, 0x400000, v33
	v_bfe_u32 v65, v39, 16, 1
	v_cmp_u_f32_e32 vcc_lo, v33, v33
	v_mul_f32_e32 v66, v26, v66
	v_mul_f32_e32 v35, v32, v35
	v_lshlrev_b32_e32 v36, 16, v36
	v_and_b32_e32 v38, 0xffff0000, v38
	v_cndmask_b32_e32 v33, v62, v64, vcc_lo
	v_add3_u32 v62, v65, v39, 0x7fff
	v_or_b32_e32 v64, 0x400000, v39
	v_bfe_u32 v65, v34, 16, 1
	v_cmp_u_f32_e32 vcc_lo, v39, v39
	v_mul_f32_e32 v36, v31, v36
	v_or_b32_e32 v68, 0x400000, v35
	v_and_b32_e32 v33, 0xffff0000, v33
	v_and_b32_e32 v40, 0xffff0000, v40
	v_cndmask_b32_e32 v39, v62, v64, vcc_lo
	v_add3_u32 v62, v65, v34, 0x7fff
	v_or_b32_e32 v64, 0x400000, v34
	v_bfe_u32 v65, v66, 16, 1
	v_cmp_u_f32_e32 vcc_lo, v34, v34
	v_bfe_u32 v70, v36, 16, 1
	v_and_b32_e32 v39, 0xffff0000, v39
	v_add_f32_e32 v33, v33, v38
	v_add_co_ci_u32_e64 v42, null, 0, v42, s1
	v_cndmask_b32_e32 v34, v62, v64, vcc_lo
	v_bfe_u32 v62, v35, 16, 1
	v_add3_u32 v64, v65, v66, 0x7fff
	v_mul_f32_e32 v65, v28, v67
	v_or_b32_e32 v67, 0x400000, v66
	v_cmp_u_f32_e32 vcc_lo, v66, v66
	v_add3_u32 v62, v62, v35, 0x7fff
	v_add3_u32 v66, v70, v36, 0x7fff
	v_bfe_u32 v69, v65, 16, 1
	v_and_b32_e32 v34, 0xffff0000, v34
	v_cndmask_b32_e32 v64, v64, v67, vcc_lo
	v_cmp_u_f32_e32 vcc_lo, v35, v35
	v_or_b32_e32 v67, 0x400000, v36
	v_add_f32_e32 v34, v34, v39
	v_and_b32_e32 v38, 0xffff0000, v64
	v_cndmask_b32_e32 v35, v62, v68, vcc_lo
	v_cmp_u_f32_e32 vcc_lo, v36, v36
	v_add3_u32 v62, v69, v65, 0x7fff
	v_or_b32_e32 v68, 0x400000, v65
	v_add_f32_e32 v33, v34, v33
	v_and_b32_e32 v35, 0xffff0000, v35
	v_cndmask_b32_e32 v36, v66, v67, vcc_lo
	v_cmp_u_f32_e32 vcc_lo, v65, v65
	v_add_f32_e32 v34, v35, v38
	v_and_b32_e32 v35, 0xffff0000, v36
	v_cndmask_b32_e32 v39, v62, v68, vcc_lo
	v_and_b32_e32 v62, 0xffff0000, v63
	v_and_b32_e32 v38, 0xffff0000, v21
	v_lshlrev_b32_e32 v21, 16, v21
	v_add_f32_e32 v33, v34, v33
	v_and_b32_e32 v36, 0xffff0000, v39
	v_add_f32_e32 v39, v40, v62
	v_mul_f32_e32 v21, v29, v21
	v_add_f32_e32 v34, v35, v36
	v_mul_f32_e32 v35, v25, v38
	v_add_f32_e32 v36, v39, v37
	v_and_b32_e32 v37, 0xffff0000, v22
	v_lshlrev_b32_e32 v22, 16, v22
	v_add_f32_e32 v33, v34, v33
	v_bfe_u32 v34, v35, 16, 1
	v_add_f32_e32 v49, v49, v36
	v_bfe_u32 v36, v21, 16, 1
	v_mul_f32_e32 v37, v27, v37
	v_add_f32_e32 v50, v50, v33
	v_add3_u32 v33, v34, v35, 0x7fff
	v_or_b32_e32 v34, 0x400000, v35
	v_cmp_u_f32_e32 vcc_lo, v35, v35
	v_add3_u32 v36, v36, v21, 0x7fff
	v_or_b32_e32 v38, 0x400000, v21
	v_mul_f32_e32 v22, v30, v22
	v_and_b32_e32 v35, 0xffff0000, v23
	v_cndmask_b32_e32 v33, v33, v34, vcc_lo
	v_bfe_u32 v34, v37, 16, 1
	v_cmp_u_f32_e32 vcc_lo, v21, v21
	v_lshlrev_b32_e32 v23, 16, v23
	v_mul_f32_e32 v35, v26, v35
	v_and_b32_e32 v39, 0xffff0000, v24
	v_add3_u32 v34, v34, v37, 0x7fff
	v_cndmask_b32_e32 v21, v36, v38, vcc_lo
	v_or_b32_e32 v36, 0x400000, v37
	v_bfe_u32 v38, v22, 16, 1
	v_cmp_u_f32_e32 vcc_lo, v37, v37
	v_mul_f32_e32 v23, v32, v23
	v_or_b32_e32 v37, 0x400000, v22
	v_lshlrev_b32_e32 v24, 16, v24
	v_and_b32_e32 v21, 0xffff0000, v21
	v_cndmask_b32_e32 v34, v34, v36, vcc_lo
	v_add3_u32 v36, v38, v22, 0x7fff
	v_bfe_u32 v38, v35, 16, 1
	v_cmp_u_f32_e32 vcc_lo, v22, v22
	v_bfe_u32 v40, v23, 16, 1
	v_mul_f32_e32 v24, v31, v24
	v_and_b32_e32 v33, 0xffff0000, v33
	v_and_b32_e32 v34, 0xffff0000, v34
	v_cndmask_b32_e32 v22, v36, v37, vcc_lo
	v_add3_u32 v36, v38, v35, 0x7fff
	v_mul_f32_e32 v37, v28, v39
	v_or_b32_e32 v38, 0x400000, v35
	v_cmp_u_f32_e32 vcc_lo, v35, v35
	v_add3_u32 v39, v40, v23, 0x7fff
	v_or_b32_e32 v40, 0x400000, v23
	v_bfe_u32 v62, v37, 16, 1
	v_and_b32_e32 v22, 0xffff0000, v22
	v_cndmask_b32_e32 v35, v36, v38, vcc_lo
	v_cmp_u_f32_e32 vcc_lo, v23, v23
	v_or_b32_e32 v38, 0x400000, v37
	v_add3_u32 v36, v62, v37, 0x7fff
	v_add_f32_e32 v21, v21, v33
	v_add_f32_e32 v22, v22, v34
	v_cndmask_b32_e32 v23, v39, v40, vcc_lo
	v_bfe_u32 v39, v24, 16, 1
	v_cmp_u_f32_e32 vcc_lo, v37, v37
	v_and_b32_e32 v34, 0xffff0000, v17
	v_and_b32_e32 v33, 0xffff0000, v35
	;; [unrolled: 1-line block ×3, first 2 shown]
	v_add3_u32 v37, v39, v24, 0x7fff
	v_cndmask_b32_e32 v36, v36, v38, vcc_lo
	v_or_b32_e32 v38, 0x400000, v24
	v_cmp_u_f32_e32 vcc_lo, v24, v24
	v_lshlrev_b32_e32 v17, 16, v17
	v_add_f32_e32 v21, v22, v21
	v_mul_f32_e32 v22, v25, v34
	v_add_f32_e32 v23, v23, v33
	v_cndmask_b32_e32 v24, v37, v38, vcc_lo
	v_mul_f32_e32 v17, v29, v17
	v_and_b32_e32 v33, 0xffff0000, v36
	v_bfe_u32 v34, v22, 16, 1
	v_add_f32_e32 v21, v23, v21
	v_and_b32_e32 v24, 0xffff0000, v24
	v_bfe_u32 v23, v17, 16, 1
	v_and_b32_e32 v35, 0xffff0000, v18
	v_cmp_u_f32_e32 vcc_lo, v22, v22
	v_or_b32_e32 v36, 0x400000, v17
	v_add_f32_e32 v24, v24, v33
	v_add3_u32 v33, v34, v22, 0x7fff
	v_or_b32_e32 v34, 0x400000, v22
	v_add3_u32 v23, v23, v17, 0x7fff
	v_mul_f32_e32 v35, v27, v35
	v_lshlrev_b32_e32 v18, 16, v18
	v_and_b32_e32 v37, 0xffff0000, v20
	v_cndmask_b32_e32 v22, v33, v34, vcc_lo
	v_cmp_u_f32_e32 vcc_lo, v17, v17
	v_bfe_u32 v33, v35, 16, 1
	v_mul_f32_e32 v18, v30, v18
	v_or_b32_e32 v34, 0x400000, v35
	v_lshlrev_b32_e32 v20, 16, v20
	v_cndmask_b32_e32 v17, v23, v36, vcc_lo
	v_and_b32_e32 v23, 0xffff0000, v19
	v_add3_u32 v33, v33, v35, 0x7fff
	v_lshlrev_b32_e32 v19, 16, v19
	v_bfe_u32 v36, v18, 16, 1
	v_cmp_u_f32_e32 vcc_lo, v35, v35
	v_mul_f32_e32 v23, v26, v23
	v_or_b32_e32 v35, 0x400000, v18
	v_mul_f32_e32 v19, v32, v19
	v_mul_f32_e32 v20, v31, v20
	v_cndmask_b32_e32 v33, v33, v34, vcc_lo
	v_add3_u32 v34, v36, v18, 0x7fff
	v_bfe_u32 v36, v23, 16, 1
	v_cmp_u_f32_e32 vcc_lo, v18, v18
	v_bfe_u32 v38, v19, 16, 1
	v_and_b32_e32 v17, 0xffff0000, v17
	v_and_b32_e32 v22, 0xffff0000, v22
	;; [unrolled: 1-line block ×3, first 2 shown]
	v_cndmask_b32_e32 v18, v34, v35, vcc_lo
	v_add3_u32 v34, v36, v23, 0x7fff
	v_mul_f32_e32 v35, v28, v37
	v_or_b32_e32 v36, 0x400000, v23
	v_cmp_u_f32_e32 vcc_lo, v23, v23
	v_add3_u32 v37, v38, v19, 0x7fff
	v_or_b32_e32 v38, 0x400000, v19
	v_bfe_u32 v39, v35, 16, 1
	v_and_b32_e32 v18, 0xffff0000, v18
	v_cndmask_b32_e32 v23, v34, v36, vcc_lo
	v_cmp_u_f32_e32 vcc_lo, v19, v19
	v_or_b32_e32 v36, 0x400000, v35
	v_add3_u32 v34, v39, v35, 0x7fff
	v_add_f32_e32 v17, v17, v22
	v_add_f32_e32 v18, v18, v33
	v_cndmask_b32_e32 v19, v37, v38, vcc_lo
	v_bfe_u32 v37, v20, 16, 1
	v_cmp_u_f32_e32 vcc_lo, v35, v35
	v_and_b32_e32 v22, 0xffff0000, v23
	v_add_f32_e32 v17, v18, v17
	v_and_b32_e32 v19, 0xffff0000, v19
	v_add3_u32 v35, v37, v20, 0x7fff
	v_cndmask_b32_e32 v34, v34, v36, vcc_lo
	v_or_b32_e32 v36, 0x400000, v20
	v_cmp_u_f32_e32 vcc_lo, v20, v20
	v_and_b32_e32 v18, 0xffff0000, v13
	v_add_f32_e32 v19, v19, v22
	v_lshlrev_b32_e32 v13, 16, v13
	v_and_b32_e32 v22, 0xffff0000, v34
	v_cndmask_b32_e32 v20, v35, v36, vcc_lo
	v_mul_f32_e32 v18, v25, v18
	v_add_f32_e32 v21, v24, v21
	v_mul_f32_e32 v23, v29, v13
	v_add_f32_e32 v13, v19, v17
	v_and_b32_e32 v20, 0xffff0000, v20
	v_bfe_u32 v19, v18, 16, 1
	v_add_f32_e32 v51, v51, v21
	v_and_b32_e32 v21, 0xffff0000, v14
	v_cmp_u_f32_e32 vcc_lo, v18, v18
	v_add_f32_e32 v17, v20, v22
	v_bfe_u32 v20, v23, 16, 1
	v_or_b32_e32 v22, 0x400000, v23
	v_mul_f32_e32 v21, v27, v21
	v_lshlrev_b32_e32 v14, 16, v14
	v_add_f32_e32 v13, v17, v13
	v_add3_u32 v17, v19, v18, 0x7fff
	v_or_b32_e32 v19, 0x400000, v18
	v_add3_u32 v20, v20, v23, 0x7fff
	v_bfe_u32 v18, v21, 16, 1
	v_mul_f32_e32 v14, v30, v14
	v_and_b32_e32 v24, 0xffff0000, v16
	v_cndmask_b32_e32 v17, v17, v19, vcc_lo
	v_cmp_u_f32_e32 vcc_lo, v23, v23
	v_add3_u32 v18, v18, v21, 0x7fff
	v_bfe_u32 v23, v14, 16, 1
	v_lshlrev_b32_e32 v16, 16, v16
	v_and_b32_e32 v17, 0xffff0000, v17
	v_cndmask_b32_e32 v19, v20, v22, vcc_lo
	v_and_b32_e32 v20, 0xffff0000, v15
	v_or_b32_e32 v22, 0x400000, v21
	v_lshlrev_b32_e32 v15, 16, v15
	v_cmp_u_f32_e32 vcc_lo, v21, v21
	v_add3_u32 v21, v23, v14, 0x7fff
	v_mul_f32_e32 v20, v26, v20
	v_mul_f32_e32 v16, v31, v16
	;; [unrolled: 1-line block ×3, first 2 shown]
	v_cndmask_b32_e32 v18, v18, v22, vcc_lo
	v_or_b32_e32 v22, 0x400000, v14
	v_bfe_u32 v23, v20, 16, 1
	v_cmp_u_f32_e32 vcc_lo, v14, v14
	v_bfe_u32 v33, v15, 16, 1
	v_and_b32_e32 v19, 0xffff0000, v19
	v_and_b32_e32 v18, 0xffff0000, v18
	v_add_f32_e32 v52, v52, v13
	v_cndmask_b32_e32 v14, v21, v22, vcc_lo
	v_add3_u32 v21, v23, v20, 0x7fff
	v_mul_f32_e32 v22, v28, v24
	v_or_b32_e32 v23, 0x400000, v20
	v_cmp_u_f32_e32 vcc_lo, v20, v20
	v_add3_u32 v24, v33, v15, 0x7fff
	v_or_b32_e32 v33, 0x400000, v15
	v_bfe_u32 v34, v22, 16, 1
	v_and_b32_e32 v14, 0xffff0000, v14
	v_cndmask_b32_e32 v20, v21, v23, vcc_lo
	v_cmp_u_f32_e32 vcc_lo, v15, v15
	v_or_b32_e32 v23, 0x400000, v22
	v_add3_u32 v21, v34, v22, 0x7fff
	v_add_f32_e32 v17, v19, v17
	v_add_f32_e32 v14, v14, v18
	v_cndmask_b32_e32 v15, v24, v33, vcc_lo
	v_bfe_u32 v24, v16, 16, 1
	v_cmp_u_f32_e32 vcc_lo, v22, v22
	v_and_b32_e32 v19, 0xffff0000, v5
	v_and_b32_e32 v18, 0xffff0000, v20
	v_and_b32_e32 v15, 0xffff0000, v15
	v_add3_u32 v22, v24, v16, 0x7fff
	v_cndmask_b32_e32 v21, v21, v23, vcc_lo
	v_or_b32_e32 v23, 0x400000, v16
	v_cmp_u_f32_e32 vcc_lo, v16, v16
	v_lshlrev_b32_e32 v5, 16, v5
	v_add_f32_e32 v14, v14, v17
	v_mul_f32_e32 v17, v25, v19
	v_add_f32_e32 v15, v15, v18
	v_cndmask_b32_e32 v16, v22, v23, vcc_lo
	v_mul_f32_e32 v18, v29, v5
	v_and_b32_e32 v19, 0xffff0000, v21
	v_and_b32_e32 v20, 0xffff0000, v6
	v_bfe_u32 v21, v17, 16, 1
	v_and_b32_e32 v16, 0xffff0000, v16
	v_add_f32_e32 v5, v15, v14
	v_bfe_u32 v15, v18, 16, 1
	v_cmp_u_f32_e32 vcc_lo, v17, v17
	v_lshlrev_b32_e32 v6, 16, v6
	v_add_f32_e32 v14, v16, v19
	v_mul_f32_e32 v16, v27, v20
	v_add3_u32 v19, v21, v17, 0x7fff
	v_or_b32_e32 v20, 0x400000, v17
	v_add3_u32 v15, v15, v18, 0x7fff
	v_or_b32_e32 v21, 0x400000, v18
	v_bfe_u32 v22, v16, 16, 1
	v_mul_f32_e32 v6, v30, v6
	v_cndmask_b32_e32 v17, v19, v20, vcc_lo
	v_cmp_u_f32_e32 vcc_lo, v18, v18
	v_or_b32_e32 v19, 0x400000, v16
	v_add3_u32 v18, v22, v16, 0x7fff
	v_and_b32_e32 v20, 0xffff0000, v7
	v_lshlrev_b32_e32 v7, 16, v7
	v_cndmask_b32_e32 v15, v15, v21, vcc_lo
	v_cmp_u_f32_e32 vcc_lo, v16, v16
	v_bfe_u32 v21, v6, 16, 1
	v_and_b32_e32 v17, 0xffff0000, v17
	v_mul_f32_e32 v7, v32, v7
	v_and_b32_e32 v15, 0xffff0000, v15
	v_cndmask_b32_e32 v16, v18, v19, vcc_lo
	v_mul_f32_e32 v18, v26, v20
	v_add3_u32 v19, v21, v6, 0x7fff
	v_or_b32_e32 v20, 0x400000, v6
	v_and_b32_e32 v21, 0xffff0000, v8
	v_cmp_u_f32_e32 vcc_lo, v6, v6
	v_bfe_u32 v22, v18, 16, 1
	v_bfe_u32 v23, v7, 16, 1
	v_lshlrev_b32_e32 v8, 16, v8
	v_and_b32_e32 v16, 0xffff0000, v16
	v_cndmask_b32_e32 v6, v19, v20, vcc_lo
	v_mul_f32_e32 v19, v28, v21
	v_add3_u32 v20, v22, v18, 0x7fff
	v_or_b32_e32 v21, 0x400000, v18
	v_cmp_u_f32_e32 vcc_lo, v18, v18
	v_add3_u32 v22, v23, v7, 0x7fff
	v_or_b32_e32 v23, 0x400000, v7
	v_bfe_u32 v24, v19, 16, 1
	v_and_b32_e32 v6, 0xffff0000, v6
	v_cndmask_b32_e32 v18, v20, v21, vcc_lo
	v_cmp_u_f32_e32 vcc_lo, v7, v7
	v_or_b32_e32 v21, 0x400000, v19
	v_add3_u32 v20, v24, v19, 0x7fff
	v_mul_f32_e32 v8, v31, v8
	v_add_f32_e32 v15, v15, v17
	v_cndmask_b32_e32 v7, v22, v23, vcc_lo
	v_cmp_u_f32_e32 vcc_lo, v19, v19
	v_add_f32_e32 v6, v6, v16
	v_and_b32_e32 v16, 0xffff0000, v1
	v_and_b32_e32 v17, 0xffff0000, v18
	;; [unrolled: 1-line block ×3, first 2 shown]
	v_cndmask_b32_e32 v19, v20, v21, vcc_lo
	v_bfe_u32 v20, v8, 16, 1
	v_add_f32_e32 v6, v6, v15
	v_mul_f32_e32 v15, v25, v16
	v_add_f32_e32 v7, v7, v17
	v_lshlrev_b32_e32 v1, 16, v1
	v_add3_u32 v18, v20, v8, 0x7fff
	v_or_b32_e32 v20, 0x400000, v8
	v_cmp_u_f32_e32 vcc_lo, v8, v8
	v_bfe_u32 v16, v15, 16, 1
	v_add_f32_e32 v6, v7, v6
	v_and_b32_e32 v7, 0xffff0000, v2
	v_mul_f32_e32 v1, v29, v1
	v_cndmask_b32_e32 v8, v18, v20, vcc_lo
	v_add3_u32 v16, v16, v15, 0x7fff
	v_or_b32_e32 v17, 0x400000, v15
	v_mul_f32_e32 v7, v27, v7
	v_and_b32_e32 v18, 0xffff0000, v19
	v_bfe_u32 v19, v1, 16, 1
	v_cmp_u_f32_e32 vcc_lo, v15, v15
	v_lshlrev_b32_e32 v2, 16, v2
	v_or_b32_e32 v20, 0x400000, v1
	v_or_b32_e32 v21, 0x400000, v7
	v_and_b32_e32 v8, 0xffff0000, v8
	v_cndmask_b32_e32 v15, v16, v17, vcc_lo
	v_bfe_u32 v16, v7, 16, 1
	v_add3_u32 v17, v19, v1, 0x7fff
	v_and_b32_e32 v19, 0xffff0000, v3
	v_mul_f32_e32 v2, v30, v2
	v_cmp_u_f32_e32 vcc_lo, v1, v1
	v_add3_u32 v16, v16, v7, 0x7fff
	v_lshlrev_b32_e32 v3, 16, v3
	v_mul_f32_e32 v19, v26, v19
	v_and_b32_e32 v15, 0xffff0000, v15
	v_cndmask_b32_e32 v1, v17, v20, vcc_lo
	v_bfe_u32 v17, v2, 16, 1
	v_cmp_u_f32_e32 vcc_lo, v7, v7
	v_and_b32_e32 v20, 0xffff0000, v4
	v_mul_f32_e32 v3, v32, v3
	v_or_b32_e32 v22, 0x400000, v19
	v_add3_u32 v17, v17, v2, 0x7fff
	v_cndmask_b32_e32 v7, v16, v21, vcc_lo
	v_bfe_u32 v16, v19, 16, 1
	v_or_b32_e32 v21, 0x400000, v2
	v_cmp_u_f32_e32 vcc_lo, v2, v2
	v_mul_f32_e32 v20, v28, v20
	v_lshlrev_b32_e32 v4, 16, v4
	v_add3_u32 v16, v16, v19, 0x7fff
	v_and_b32_e32 v1, 0xffff0000, v1
	v_cndmask_b32_e32 v2, v17, v21, vcc_lo
	v_bfe_u32 v17, v3, 16, 1
	v_cmp_u_f32_e32 vcc_lo, v19, v19
	v_bfe_u32 v21, v20, 16, 1
	v_or_b32_e32 v19, 0x400000, v3
	v_mul_f32_e32 v4, v31, v4
	v_add3_u32 v17, v17, v3, 0x7fff
	v_cndmask_b32_e32 v16, v16, v22, vcc_lo
	v_cmp_u_f32_e32 vcc_lo, v3, v3
	v_add3_u32 v21, v21, v20, 0x7fff
	v_or_b32_e32 v22, 0x400000, v20
	v_and_b32_e32 v2, 0xffff0000, v2
	v_and_b32_e32 v7, 0xffff0000, v7
	v_cndmask_b32_e32 v3, v17, v19, vcc_lo
	v_cmp_u_f32_e32 vcc_lo, v20, v20
	v_bfe_u32 v19, v4, 16, 1
	v_add_f32_e32 v1, v1, v15
	v_add_f32_e32 v2, v2, v7
	v_and_b32_e32 v3, 0xffff0000, v3
	v_cndmask_b32_e32 v17, v21, v22, vcc_lo
	s_waitcnt vmcnt(0)
	v_lshlrev_b32_e32 v21, 16, v9
	v_and_b32_e32 v7, 0xffff0000, v16
	v_and_b32_e32 v9, 0xffff0000, v9
	v_add3_u32 v19, v19, v4, 0x7fff
	v_or_b32_e32 v20, 0x400000, v4
	v_mul_f32_e32 v15, v29, v21
	v_cmp_u_f32_e32 vcc_lo, v4, v4
	v_add_f32_e32 v1, v2, v1
	v_add_f32_e32 v3, v3, v7
	v_mul_f32_e32 v7, v25, v9
	v_bfe_u32 v2, v15, 16, 1
	v_lshlrev_b32_e32 v9, 16, v10
	v_cndmask_b32_e32 v4, v19, v20, vcc_lo
	v_or_b32_e32 v16, 0x400000, v15
	v_bfe_u32 v19, v7, 16, 1
	v_add3_u32 v2, v2, v15, 0x7fff
	v_mul_f32_e32 v9, v30, v9
	v_and_b32_e32 v10, 0xffff0000, v10
	v_cmp_u_f32_e32 vcc_lo, v15, v15
	v_add3_u32 v15, v19, v7, 0x7fff
	v_lshlrev_b32_e32 v20, 16, v11
	v_bfe_u32 v19, v9, 16, 1
	v_mul_f32_e32 v10, v27, v10
	v_cndmask_b32_e32 v2, v2, v16, vcc_lo
	v_or_b32_e32 v16, 0x400000, v7
	v_cmp_u_f32_e32 vcc_lo, v7, v7
	v_mul_f32_e32 v20, v32, v20
	v_and_b32_e32 v11, 0xffff0000, v11
	v_lshlrev_b32_e32 v21, 16, v12
	v_and_b32_e32 v12, 0xffff0000, v12
	v_cndmask_b32_e32 v7, v15, v16, vcc_lo
	v_add3_u32 v15, v19, v9, 0x7fff
	v_or_b32_e32 v16, 0x400000, v9
	v_bfe_u32 v19, v10, 16, 1
	v_cmp_u_f32_e32 vcc_lo, v9, v9
	v_mul_f32_e32 v11, v26, v11
	v_mul_f32_e32 v12, v28, v12
	v_and_b32_e32 v7, 0xffff0000, v7
	v_and_b32_e32 v2, 0xffff0000, v2
	v_cndmask_b32_e32 v9, v15, v16, vcc_lo
	v_add3_u32 v15, v19, v10, 0x7fff
	v_or_b32_e32 v16, 0x400000, v10
	v_bfe_u32 v19, v20, 16, 1
	v_cmp_u_f32_e32 vcc_lo, v10, v10
	v_or_b32_e32 v22, 0x400000, v11
	v_bfe_u32 v24, v12, 16, 1
	v_and_b32_e32 v9, 0xffff0000, v9
	v_add_f32_e32 v2, v2, v7
	v_cndmask_b32_e32 v10, v15, v16, vcc_lo
	v_bfe_u32 v15, v11, 16, 1
	v_add3_u32 v16, v19, v20, 0x7fff
	v_mul_f32_e32 v19, v31, v21
	v_or_b32_e32 v21, 0x400000, v20
	v_cmp_u_f32_e32 vcc_lo, v20, v20
	v_add3_u32 v15, v15, v11, 0x7fff
	v_add3_u32 v20, v24, v12, 0x7fff
	v_bfe_u32 v23, v19, 16, 1
	v_and_b32_e32 v10, 0xffff0000, v10
	v_cndmask_b32_e32 v16, v16, v21, vcc_lo
	v_cmp_u_f32_e32 vcc_lo, v11, v11
	v_or_b32_e32 v21, 0x400000, v12
	v_and_b32_e32 v4, 0xffff0000, v4
	v_add_f32_e32 v7, v9, v10
	v_and_b32_e32 v10, 0xffff0000, v16
	v_cndmask_b32_e32 v11, v15, v22, vcc_lo
	v_cmp_u_f32_e32 vcc_lo, v12, v12
	v_add3_u32 v15, v23, v19, 0x7fff
	v_or_b32_e32 v22, 0x400000, v19
	v_add_f32_e32 v2, v7, v2
	v_and_b32_e32 v9, 0xffff0000, v11
	v_cndmask_b32_e32 v12, v20, v21, vcc_lo
	v_cmp_u_f32_e32 vcc_lo, v19, v19
	v_add_f32_e32 v8, v8, v18
	v_add_f32_e32 v1, v3, v1
	;; [unrolled: 1-line block ×3, first 2 shown]
	v_and_b32_e32 v9, 0xffff0000, v12
	v_cndmask_b32_e32 v11, v15, v22, vcc_lo
	v_and_b32_e32 v15, 0xffff0000, v17
	v_add_f32_e32 v5, v14, v5
	v_add_f32_e32 v2, v7, v2
	;; [unrolled: 1-line block ×3, first 2 shown]
	v_and_b32_e32 v10, 0xffff0000, v11
	v_add_f32_e32 v3, v4, v15
	v_cmp_le_i32_e32 vcc_lo, s12, v61
	v_add_f32_e32 v53, v53, v5
	v_add_f32_e32 v55, v55, v6
	;; [unrolled: 1-line block ×4, first 2 shown]
	s_or_b32 s14, vcc_lo, s14
	v_add_f32_e32 v2, v4, v2
	v_add_f32_e32 v54, v54, v1
	;; [unrolled: 1-line block ×3, first 2 shown]
	s_andn2_b32 exec_lo, exec_lo, s14
	s_cbranch_execz .LBB141_46
.LBB141_30:                             ; =>This Inner Loop Header: Depth=1
	global_load_dword v1, v[41:42], off
	v_cmp_eq_u32_e64 s1, s5, v61
	v_add_nc_u32_e32 v68, 1, v59
	v_or_b32_e32 v66, 3, v59
	v_or_b32_e32 v67, 2, v59
	;; [unrolled: 1-line block ×6, first 2 shown]
	s_waitcnt vmcnt(0)
	v_mad_i64_i32 v[1:2], null, v1, s13, 0
	v_lshlrev_b64 v[1:2], 1, v[1:2]
	v_add_co_u32 v9, vcc_lo, v57, v1
	v_add_co_ci_u32_e64 v10, null, v58, v2, vcc_lo
	global_load_dwordx4 v[1:4], v[9:10], off
	ds_read2_b64 v[29:32], v60 offset1:1
	ds_read2_b64 v[25:28], v60 offset0:2 offset1:3
	s_and_saveexec_b32 s18, s1
	s_cbranch_execnz .LBB141_39
; %bb.31:                               ;   in Loop: Header=BB141_30 Depth=1
	s_or_b32 exec_lo, exec_lo, s18
	global_load_dwordx4 v[5:8], v[9:10], off offset:512
	s_and_saveexec_b32 s18, s1
	s_cbranch_execnz .LBB141_40
.LBB141_32:                             ;   in Loop: Header=BB141_30 Depth=1
	s_or_b32 exec_lo, exec_lo, s18
	global_load_dwordx4 v[13:16], v[9:10], off offset:1024
	s_and_saveexec_b32 s18, s1
	s_cbranch_execnz .LBB141_41
.LBB141_33:                             ;   in Loop: Header=BB141_30 Depth=1
	s_or_b32 exec_lo, exec_lo, s18
	global_load_dwordx4 v[17:20], v[9:10], off offset:1536
	s_and_saveexec_b32 s18, s1
	s_cbranch_execz .LBB141_35
.LBB141_34:                             ;   in Loop: Header=BB141_30 Depth=1
	v_cmp_gt_i32_e64 s2, s11, v59
	v_cmp_gt_i32_e32 vcc_lo, s15, v68
	v_cmp_gt_i32_e64 s3, s11, v67
	s_waitcnt vmcnt(0)
	v_cndmask_b32_e64 v11, 0, v17, s2
	v_cmp_gt_i32_e64 s2, s15, v66
	v_cndmask_b32_sdwa v17, v56, v17, vcc_lo dst_sel:DWORD dst_unused:UNUSED_PAD src0_sel:DWORD src1_sel:WORD_1
	v_cndmask_b32_e64 v12, 0, v18, s3
	v_cmp_gt_i32_e64 s3, s15, v65
	s_mov_b32 vcc_lo, s2
	v_cmp_gt_i32_e64 s2, s15, v63
	v_cndmask_b32_sdwa v18, v56, v18, vcc_lo dst_sel:DWORD dst_unused:UNUSED_PAD src0_sel:DWORD src1_sel:WORD_1
	v_cmp_gt_i32_e32 vcc_lo, s11, v64
	v_perm_b32 v17, v17, v11, 0x5040100
	v_perm_b32 v18, v18, v12, 0x5040100
	v_cndmask_b32_e32 v21, 0, v19, vcc_lo
	s_mov_b32 vcc_lo, s3
	v_cndmask_b32_sdwa v19, v56, v19, vcc_lo dst_sel:DWORD dst_unused:UNUSED_PAD src0_sel:DWORD src1_sel:WORD_1
	v_cmp_gt_i32_e32 vcc_lo, s11, v62
	v_perm_b32 v19, v19, v21, 0x5040100
	v_cndmask_b32_e32 v22, 0, v20, vcc_lo
	s_mov_b32 vcc_lo, s2
	v_cndmask_b32_sdwa v20, v56, v20, vcc_lo dst_sel:DWORD dst_unused:UNUSED_PAD src0_sel:DWORD src1_sel:WORD_1
	v_perm_b32 v20, v20, v22, 0x5040100
.LBB141_35:                             ;   in Loop: Header=BB141_30 Depth=1
	s_or_b32 exec_lo, exec_lo, s18
	v_add_co_u32 v9, vcc_lo, 0x800, v9
	v_add_co_ci_u32_e64 v10, null, 0, v10, vcc_lo
	global_load_dwordx4 v[21:24], v[9:10], off
	s_and_saveexec_b32 s18, s1
	s_cbranch_execnz .LBB141_42
; %bb.36:                               ;   in Loop: Header=BB141_30 Depth=1
	s_or_b32 exec_lo, exec_lo, s18
	global_load_dwordx4 v[33:36], v[9:10], off offset:512
	s_and_saveexec_b32 s18, s1
	s_cbranch_execnz .LBB141_43
.LBB141_37:                             ;   in Loop: Header=BB141_30 Depth=1
	s_or_b32 exec_lo, exec_lo, s18
	global_load_dwordx4 v[37:40], v[9:10], off offset:1024
	s_and_saveexec_b32 s18, s1
	s_cbranch_execnz .LBB141_44
.LBB141_38:                             ;   in Loop: Header=BB141_30 Depth=1
	s_or_b32 exec_lo, exec_lo, s18
	global_load_dwordx4 v[9:12], v[9:10], off offset:1536
	s_and_saveexec_b32 s3, s1
	s_cbranch_execz .LBB141_29
	s_branch .LBB141_45
.LBB141_39:                             ;   in Loop: Header=BB141_30 Depth=1
	v_cmp_gt_i32_e64 s2, s11, v59
	v_cmp_gt_i32_e32 vcc_lo, s15, v68
	v_cmp_gt_i32_e64 s3, s11, v67
	s_waitcnt vmcnt(0)
	v_cndmask_b32_e64 v5, 0, v1, s2
	v_cmp_gt_i32_e64 s2, s15, v66
	v_cndmask_b32_sdwa v1, v56, v1, vcc_lo dst_sel:DWORD dst_unused:UNUSED_PAD src0_sel:DWORD src1_sel:WORD_1
	v_cndmask_b32_e64 v6, 0, v2, s3
	v_cmp_gt_i32_e64 s3, s15, v65
	s_mov_b32 vcc_lo, s2
	v_cmp_gt_i32_e64 s2, s15, v63
	v_cndmask_b32_sdwa v2, v56, v2, vcc_lo dst_sel:DWORD dst_unused:UNUSED_PAD src0_sel:DWORD src1_sel:WORD_1
	v_cmp_gt_i32_e32 vcc_lo, s11, v64
	v_perm_b32 v1, v1, v5, 0x5040100
	v_perm_b32 v2, v2, v6, 0x5040100
	v_cndmask_b32_e32 v7, 0, v3, vcc_lo
	s_mov_b32 vcc_lo, s3
	v_cndmask_b32_sdwa v3, v56, v3, vcc_lo dst_sel:DWORD dst_unused:UNUSED_PAD src0_sel:DWORD src1_sel:WORD_1
	v_cmp_gt_i32_e32 vcc_lo, s11, v62
	v_perm_b32 v3, v3, v7, 0x5040100
	v_cndmask_b32_e32 v8, 0, v4, vcc_lo
	s_mov_b32 vcc_lo, s2
	v_cndmask_b32_sdwa v4, v56, v4, vcc_lo dst_sel:DWORD dst_unused:UNUSED_PAD src0_sel:DWORD src1_sel:WORD_1
	v_perm_b32 v4, v4, v8, 0x5040100
	s_or_b32 exec_lo, exec_lo, s18
	global_load_dwordx4 v[5:8], v[9:10], off offset:512
	s_and_saveexec_b32 s18, s1
	s_cbranch_execz .LBB141_32
.LBB141_40:                             ;   in Loop: Header=BB141_30 Depth=1
	v_cmp_gt_i32_e64 s2, s11, v59
	v_cmp_gt_i32_e32 vcc_lo, s15, v68
	v_cmp_gt_i32_e64 s3, s11, v67
	s_waitcnt vmcnt(0)
	v_cndmask_b32_e64 v11, 0, v5, s2
	v_cmp_gt_i32_e64 s2, s15, v66
	v_cndmask_b32_sdwa v5, v56, v5, vcc_lo dst_sel:DWORD dst_unused:UNUSED_PAD src0_sel:DWORD src1_sel:WORD_1
	v_cndmask_b32_e64 v12, 0, v6, s3
	v_cmp_gt_i32_e64 s3, s15, v65
	s_mov_b32 vcc_lo, s2
	v_cmp_gt_i32_e64 s2, s15, v63
	v_cndmask_b32_sdwa v6, v56, v6, vcc_lo dst_sel:DWORD dst_unused:UNUSED_PAD src0_sel:DWORD src1_sel:WORD_1
	v_cmp_gt_i32_e32 vcc_lo, s11, v64
	v_perm_b32 v5, v5, v11, 0x5040100
	v_perm_b32 v6, v6, v12, 0x5040100
	v_cndmask_b32_e32 v13, 0, v7, vcc_lo
	s_mov_b32 vcc_lo, s3
	v_cndmask_b32_sdwa v7, v56, v7, vcc_lo dst_sel:DWORD dst_unused:UNUSED_PAD src0_sel:DWORD src1_sel:WORD_1
	v_cmp_gt_i32_e32 vcc_lo, s11, v62
	v_perm_b32 v7, v7, v13, 0x5040100
	v_cndmask_b32_e32 v14, 0, v8, vcc_lo
	s_mov_b32 vcc_lo, s2
	v_cndmask_b32_sdwa v8, v56, v8, vcc_lo dst_sel:DWORD dst_unused:UNUSED_PAD src0_sel:DWORD src1_sel:WORD_1
	v_perm_b32 v8, v8, v14, 0x5040100
	s_or_b32 exec_lo, exec_lo, s18
	global_load_dwordx4 v[13:16], v[9:10], off offset:1024
	s_and_saveexec_b32 s18, s1
	s_cbranch_execz .LBB141_33
.LBB141_41:                             ;   in Loop: Header=BB141_30 Depth=1
	v_cmp_gt_i32_e64 s2, s11, v59
	v_cmp_gt_i32_e32 vcc_lo, s15, v68
	v_cmp_gt_i32_e64 s3, s11, v67
	s_waitcnt vmcnt(0)
	v_cndmask_b32_e64 v11, 0, v13, s2
	v_cmp_gt_i32_e64 s2, s15, v66
	v_cndmask_b32_sdwa v13, v56, v13, vcc_lo dst_sel:DWORD dst_unused:UNUSED_PAD src0_sel:DWORD src1_sel:WORD_1
	v_cndmask_b32_e64 v12, 0, v14, s3
	v_cmp_gt_i32_e64 s3, s15, v65
	s_mov_b32 vcc_lo, s2
	v_cmp_gt_i32_e64 s2, s15, v63
	v_cndmask_b32_sdwa v14, v56, v14, vcc_lo dst_sel:DWORD dst_unused:UNUSED_PAD src0_sel:DWORD src1_sel:WORD_1
	v_cmp_gt_i32_e32 vcc_lo, s11, v64
	v_perm_b32 v13, v13, v11, 0x5040100
	v_perm_b32 v14, v14, v12, 0x5040100
	v_cndmask_b32_e32 v17, 0, v15, vcc_lo
	s_mov_b32 vcc_lo, s3
	v_cndmask_b32_sdwa v15, v56, v15, vcc_lo dst_sel:DWORD dst_unused:UNUSED_PAD src0_sel:DWORD src1_sel:WORD_1
	v_cmp_gt_i32_e32 vcc_lo, s11, v62
	v_perm_b32 v15, v15, v17, 0x5040100
	v_cndmask_b32_e32 v18, 0, v16, vcc_lo
	s_mov_b32 vcc_lo, s2
	v_cndmask_b32_sdwa v16, v56, v16, vcc_lo dst_sel:DWORD dst_unused:UNUSED_PAD src0_sel:DWORD src1_sel:WORD_1
	v_perm_b32 v16, v16, v18, 0x5040100
	s_or_b32 exec_lo, exec_lo, s18
	global_load_dwordx4 v[17:20], v[9:10], off offset:1536
	s_and_saveexec_b32 s18, s1
	s_cbranch_execnz .LBB141_34
	s_branch .LBB141_35
.LBB141_42:                             ;   in Loop: Header=BB141_30 Depth=1
	v_cmp_gt_i32_e64 s2, s11, v59
	v_cmp_gt_i32_e32 vcc_lo, s15, v68
	v_cmp_gt_i32_e64 s3, s11, v67
	s_waitcnt vmcnt(0)
	v_cndmask_b32_e64 v11, 0, v21, s2
	v_cmp_gt_i32_e64 s2, s15, v66
	v_cndmask_b32_sdwa v21, v56, v21, vcc_lo dst_sel:DWORD dst_unused:UNUSED_PAD src0_sel:DWORD src1_sel:WORD_1
	v_cndmask_b32_e64 v12, 0, v22, s3
	v_cmp_gt_i32_e64 s3, s15, v65
	s_mov_b32 vcc_lo, s2
	v_cmp_gt_i32_e64 s2, s15, v63
	v_cndmask_b32_sdwa v22, v56, v22, vcc_lo dst_sel:DWORD dst_unused:UNUSED_PAD src0_sel:DWORD src1_sel:WORD_1
	v_cmp_gt_i32_e32 vcc_lo, s11, v64
	v_perm_b32 v21, v21, v11, 0x5040100
	v_perm_b32 v22, v22, v12, 0x5040100
	v_cndmask_b32_e32 v33, 0, v23, vcc_lo
	s_mov_b32 vcc_lo, s3
	v_cndmask_b32_sdwa v23, v56, v23, vcc_lo dst_sel:DWORD dst_unused:UNUSED_PAD src0_sel:DWORD src1_sel:WORD_1
	v_cmp_gt_i32_e32 vcc_lo, s11, v62
	v_perm_b32 v23, v23, v33, 0x5040100
	v_cndmask_b32_e32 v34, 0, v24, vcc_lo
	s_mov_b32 vcc_lo, s2
	v_cndmask_b32_sdwa v24, v56, v24, vcc_lo dst_sel:DWORD dst_unused:UNUSED_PAD src0_sel:DWORD src1_sel:WORD_1
	v_perm_b32 v24, v24, v34, 0x5040100
	s_or_b32 exec_lo, exec_lo, s18
	global_load_dwordx4 v[33:36], v[9:10], off offset:512
	s_and_saveexec_b32 s18, s1
	s_cbranch_execz .LBB141_37
.LBB141_43:                             ;   in Loop: Header=BB141_30 Depth=1
	v_cmp_gt_i32_e64 s2, s11, v59
	v_cmp_gt_i32_e32 vcc_lo, s15, v68
	v_cmp_gt_i32_e64 s3, s11, v67
	s_waitcnt vmcnt(0)
	v_cndmask_b32_e64 v11, 0, v33, s2
	v_cmp_gt_i32_e64 s2, s15, v66
	v_cndmask_b32_sdwa v33, v56, v33, vcc_lo dst_sel:DWORD dst_unused:UNUSED_PAD src0_sel:DWORD src1_sel:WORD_1
	v_cndmask_b32_e64 v12, 0, v34, s3
	v_cmp_gt_i32_e64 s3, s15, v65
	s_mov_b32 vcc_lo, s2
	v_cmp_gt_i32_e64 s2, s15, v63
	v_cndmask_b32_sdwa v34, v56, v34, vcc_lo dst_sel:DWORD dst_unused:UNUSED_PAD src0_sel:DWORD src1_sel:WORD_1
	v_cmp_gt_i32_e32 vcc_lo, s11, v64
	v_perm_b32 v33, v33, v11, 0x5040100
	v_perm_b32 v34, v34, v12, 0x5040100
	v_cndmask_b32_e32 v37, 0, v35, vcc_lo
	s_mov_b32 vcc_lo, s3
	v_cndmask_b32_sdwa v35, v56, v35, vcc_lo dst_sel:DWORD dst_unused:UNUSED_PAD src0_sel:DWORD src1_sel:WORD_1
	v_cmp_gt_i32_e32 vcc_lo, s11, v62
	v_perm_b32 v35, v35, v37, 0x5040100
	v_cndmask_b32_e32 v38, 0, v36, vcc_lo
	s_mov_b32 vcc_lo, s2
	v_cndmask_b32_sdwa v36, v56, v36, vcc_lo dst_sel:DWORD dst_unused:UNUSED_PAD src0_sel:DWORD src1_sel:WORD_1
	v_perm_b32 v36, v36, v38, 0x5040100
	s_or_b32 exec_lo, exec_lo, s18
	global_load_dwordx4 v[37:40], v[9:10], off offset:1024
	s_and_saveexec_b32 s18, s1
	s_cbranch_execz .LBB141_38
.LBB141_44:                             ;   in Loop: Header=BB141_30 Depth=1
	v_cmp_gt_i32_e64 s2, s11, v59
	v_cmp_gt_i32_e32 vcc_lo, s15, v68
	v_cmp_gt_i32_e64 s3, s11, v67
	s_waitcnt vmcnt(0)
	v_cndmask_b32_e64 v11, 0, v37, s2
	v_cmp_gt_i32_e64 s2, s15, v66
	v_cndmask_b32_sdwa v37, v56, v37, vcc_lo dst_sel:DWORD dst_unused:UNUSED_PAD src0_sel:DWORD src1_sel:WORD_1
	v_cndmask_b32_e64 v12, 0, v38, s3
	v_cmp_gt_i32_e64 s3, s15, v65
	s_mov_b32 vcc_lo, s2
	v_cmp_gt_i32_e64 s2, s15, v63
	v_cndmask_b32_sdwa v38, v56, v38, vcc_lo dst_sel:DWORD dst_unused:UNUSED_PAD src0_sel:DWORD src1_sel:WORD_1
	v_cmp_gt_i32_e32 vcc_lo, s11, v64
	v_perm_b32 v37, v37, v11, 0x5040100
	v_perm_b32 v38, v38, v12, 0x5040100
	v_cndmask_b32_e32 v69, 0, v39, vcc_lo
	s_mov_b32 vcc_lo, s3
	v_cndmask_b32_sdwa v39, v56, v39, vcc_lo dst_sel:DWORD dst_unused:UNUSED_PAD src0_sel:DWORD src1_sel:WORD_1
	v_cmp_gt_i32_e32 vcc_lo, s11, v62
	v_perm_b32 v39, v39, v69, 0x5040100
	v_cndmask_b32_e32 v70, 0, v40, vcc_lo
	s_mov_b32 vcc_lo, s2
	v_cndmask_b32_sdwa v40, v56, v40, vcc_lo dst_sel:DWORD dst_unused:UNUSED_PAD src0_sel:DWORD src1_sel:WORD_1
	v_perm_b32 v40, v40, v70, 0x5040100
	s_or_b32 exec_lo, exec_lo, s18
	global_load_dwordx4 v[9:12], v[9:10], off offset:1536
	s_and_saveexec_b32 s3, s1
	s_cbranch_execz .LBB141_29
.LBB141_45:                             ;   in Loop: Header=BB141_30 Depth=1
	v_cmp_gt_i32_e64 s1, s11, v59
	v_cmp_gt_i32_e32 vcc_lo, s15, v68
	v_cmp_gt_i32_e64 s2, s11, v67
	s_waitcnt vmcnt(0)
	v_cndmask_b32_e64 v68, 0, v9, s1
	v_cmp_gt_i32_e64 s1, s15, v66
	v_cndmask_b32_sdwa v9, v56, v9, vcc_lo dst_sel:DWORD dst_unused:UNUSED_PAD src0_sel:DWORD src1_sel:WORD_1
	v_cndmask_b32_e64 v66, 0, v10, s2
	v_cmp_gt_i32_e64 s2, s15, v65
	s_mov_b32 vcc_lo, s1
	v_cmp_gt_i32_e64 s1, s15, v63
	v_cndmask_b32_sdwa v10, v56, v10, vcc_lo dst_sel:DWORD dst_unused:UNUSED_PAD src0_sel:DWORD src1_sel:WORD_1
	v_cmp_gt_i32_e32 vcc_lo, s11, v64
	v_perm_b32 v9, v9, v68, 0x5040100
	v_perm_b32 v10, v10, v66, 0x5040100
	v_cndmask_b32_e32 v64, 0, v11, vcc_lo
	s_mov_b32 vcc_lo, s2
	v_cndmask_b32_sdwa v11, v56, v11, vcc_lo dst_sel:DWORD dst_unused:UNUSED_PAD src0_sel:DWORD src1_sel:WORD_1
	v_cmp_gt_i32_e32 vcc_lo, s11, v62
	v_perm_b32 v11, v11, v64, 0x5040100
	v_cndmask_b32_e32 v62, 0, v12, vcc_lo
	s_mov_b32 vcc_lo, s1
	v_cndmask_b32_sdwa v12, v56, v12, vcc_lo dst_sel:DWORD dst_unused:UNUSED_PAD src0_sel:DWORD src1_sel:WORD_1
	v_perm_b32 v12, v12, v62, 0x5040100
	s_branch .LBB141_29
.LBB141_46:
	s_or_b32 exec_lo, exec_lo, s14
.LBB141_47:
	s_or_b32 exec_lo, exec_lo, s4
	ds_bpermute_b32 v1, v47, v54
	ds_bpermute_b32 v2, v47, v55
	ds_bpermute_b32 v3, v47, v53
	ds_bpermute_b32 v4, v47, v52
	ds_bpermute_b32 v12, v47, v51
	ds_bpermute_b32 v13, v47, v50
	ds_bpermute_b32 v14, v47, v49
	ds_bpermute_b32 v15, v47, v48
	v_lshrrev_b32_e32 v9, 1, v46
	v_lshlrev_b32_e32 v11, 9, v45
	v_and_b32_e32 v16, 0x3c1, v0
	s_mov_b32 s1, exec_lo
	s_waitcnt lgkmcnt(0)
	v_lshl_add_u32 v10, v9, 2, 0x120
	s_barrier
	buffer_gl0_inv
	v_add_f32_e32 v8, v54, v1
	v_add_f32_e32 v7, v55, v2
	;; [unrolled: 1-line block ×8, first 2 shown]
	v_cmpx_eq_u32_e32 64, v16
	s_cbranch_execz .LBB141_49
; %bb.48:
	v_add_nc_u32_e32 v12, v10, v11
	v_add_nc_u32_e32 v13, 0xfffffc00, v12
	;; [unrolled: 1-line block ×9, first 2 shown]
	ds_write_b32 v13, v8
	ds_write_b32 v14, v7
	;; [unrolled: 1-line block ×8, first 2 shown]
.LBB141_49:
	s_or_b32 exec_lo, exec_lo, s1
	v_lshlrev_b32_e32 v9, 2, v9
	s_mov_b32 s2, exec_lo
	v_cmp_eq_u32_e32 vcc_lo, 0, v44
	s_waitcnt lgkmcnt(0)
	s_barrier
	v_add3_u32 v9, 0x120, v11, v9
	buffer_gl0_inv
	v_cmpx_gt_u32_e32 64, v0
	s_cbranch_execz .LBB141_60
; %bb.50:
	s_and_saveexec_b32 s1, vcc_lo
	s_cbranch_execnz .LBB141_76
; %bb.51:
	s_or_b32 exec_lo, exec_lo, s1
	s_and_saveexec_b32 s1, vcc_lo
	s_cbranch_execnz .LBB141_77
.LBB141_52:
	s_or_b32 exec_lo, exec_lo, s1
	s_and_saveexec_b32 s1, vcc_lo
	s_cbranch_execnz .LBB141_78
.LBB141_53:
	s_or_b32 exec_lo, exec_lo, s1
	s_and_saveexec_b32 s1, vcc_lo
	s_cbranch_execnz .LBB141_79
.LBB141_54:
	s_or_b32 exec_lo, exec_lo, s1
	s_and_saveexec_b32 s1, vcc_lo
	s_cbranch_execnz .LBB141_80
.LBB141_55:
	s_or_b32 exec_lo, exec_lo, s1
	s_and_saveexec_b32 s1, vcc_lo
	s_cbranch_execnz .LBB141_81
.LBB141_56:
	s_or_b32 exec_lo, exec_lo, s1
	s_and_saveexec_b32 s1, vcc_lo
	s_cbranch_execnz .LBB141_82
.LBB141_57:
	s_or_b32 exec_lo, exec_lo, s1
	s_and_saveexec_b32 s1, vcc_lo
	s_cbranch_execz .LBB141_59
.LBB141_58:
	ds_read_b32 v11, v9 offset:448
	s_waitcnt lgkmcnt(0)
	v_add_f32_e32 v1, v1, v11
.LBB141_59:
	s_or_b32 exec_lo, exec_lo, s1
.LBB141_60:
	s_or_b32 exec_lo, exec_lo, s2
	v_and_b32_e32 v0, 0x3e1, v0
	s_mov_b32 s2, exec_lo
	s_barrier
	buffer_gl0_inv
	v_cmpx_eq_u32_e32 32, v0
	s_cbranch_execz .LBB141_62
; %bb.61:
	ds_write2_b32 v10, v8, v7 offset1:16
	ds_write2_b32 v10, v6, v5 offset0:32 offset1:48
	ds_write2_b32 v10, v4, v3 offset0:64 offset1:80
	;; [unrolled: 1-line block ×3, first 2 shown]
.LBB141_62:
	s_or_b32 exec_lo, exec_lo, s2
	s_waitcnt lgkmcnt(0)
	s_barrier
	buffer_gl0_inv
	s_and_saveexec_b32 s1, s0
	s_cbranch_execz .LBB141_73
; %bb.63:
	s_and_saveexec_b32 s0, vcc_lo
	s_cbranch_execnz .LBB141_83
; %bb.64:
	s_or_b32 exec_lo, exec_lo, s0
	s_and_saveexec_b32 s0, vcc_lo
	s_cbranch_execnz .LBB141_84
.LBB141_65:
	s_or_b32 exec_lo, exec_lo, s0
	s_and_saveexec_b32 s0, vcc_lo
	s_cbranch_execnz .LBB141_85
.LBB141_66:
	s_or_b32 exec_lo, exec_lo, s0
	s_and_saveexec_b32 s0, vcc_lo
	s_cbranch_execnz .LBB141_86
.LBB141_67:
	s_or_b32 exec_lo, exec_lo, s0
	s_and_saveexec_b32 s0, vcc_lo
	s_cbranch_execnz .LBB141_87
.LBB141_68:
	s_or_b32 exec_lo, exec_lo, s0
	s_and_saveexec_b32 s0, vcc_lo
	s_cbranch_execnz .LBB141_88
.LBB141_69:
	s_or_b32 exec_lo, exec_lo, s0
	s_and_saveexec_b32 s0, vcc_lo
	s_cbranch_execnz .LBB141_89
.LBB141_70:
	s_or_b32 exec_lo, exec_lo, s0
	s_and_saveexec_b32 s0, vcc_lo
	s_cbranch_execz .LBB141_72
.LBB141_71:
	ds_read_b32 v9, v9 offset:448
	s_waitcnt lgkmcnt(0)
	v_add_f32_e32 v1, v1, v9
.LBB141_72:
	s_or_b32 exec_lo, exec_lo, s0
.LBB141_73:
	s_or_b32 exec_lo, exec_lo, s1
	s_barrier
	buffer_gl0_inv
	s_mov_b32 s0, exec_lo
	v_cmpx_eq_u32_e32 0, v0
	s_cbranch_execz .LBB141_75
; %bb.74:
	s_mul_i32 s0, s10, s7
	s_mul_i32 s2, s7, s6
	;; [unrolled: 1-line block ×3, first 2 shown]
	v_bfe_u32 v9, v8, 16, 1
	s_lshl_b32 s0, s0, 7
	v_or_b32_e32 v10, 0x400000, v8
	s_ashr_i32 s1, s0, 31
	v_bfe_u32 v11, v7, 16, 1
	s_lshl_b64 s[0:1], s[0:1], 1
	v_add3_u32 v9, v9, v8, 0x7fff
	s_add_u32 s4, s16, s0
	s_addc_u32 s5, s17, s1
	s_ashr_i32 s3, s2, 31
	v_cmp_u_f32_e32 vcc_lo, v8, v8
	s_lshl_b64 s[0:1], s[2:3], 1
	v_lshlrev_b32_e32 v0, 1, v43
	s_add_u32 s2, s4, s0
	s_addc_u32 s3, s5, s1
	s_lshl_b32 s0, s8, 7
	v_cndmask_b32_e32 v8, v9, v10, vcc_lo
	s_ashr_i32 s1, s0, 31
	v_bfe_u32 v9, v6, 16, 1
	s_lshl_b64 s[0:1], s[0:1], 1
	v_add3_u32 v10, v11, v7, 0x7fff
	v_or_b32_e32 v11, 0x400000, v7
	v_cmp_u_f32_e32 vcc_lo, v7, v7
	s_add_u32 s0, s2, s0
	s_addc_u32 s1, s3, s1
	global_store_short_d16_hi v0, v8, s[0:1]
	v_add3_u32 v8, v9, v6, 0x7fff
	v_or_b32_e32 v9, 0x400000, v6
	v_cndmask_b32_e32 v7, v10, v11, vcc_lo
	v_bfe_u32 v10, v5, 16, 1
	v_cmp_u_f32_e32 vcc_lo, v6, v6
	v_or_b32_e32 v11, 0x400000, v1
	global_store_short_d16_hi v0, v7, s[0:1] offset:32
	v_add3_u32 v7, v10, v5, 0x7fff
	v_cndmask_b32_e32 v6, v8, v9, vcc_lo
	v_bfe_u32 v8, v4, 16, 1
	v_or_b32_e32 v9, 0x400000, v5
	v_cmp_u_f32_e32 vcc_lo, v5, v5
	v_or_b32_e32 v10, 0x400000, v2
	global_store_short_d16_hi v0, v6, s[0:1] offset:64
	v_add3_u32 v6, v8, v4, 0x7fff
	v_or_b32_e32 v8, 0x400000, v4
	v_cndmask_b32_e32 v5, v7, v9, vcc_lo
	v_bfe_u32 v7, v3, 16, 1
	v_cmp_u_f32_e32 vcc_lo, v4, v4
	v_bfe_u32 v9, v2, 16, 1
	v_add3_u32 v7, v7, v3, 0x7fff
	v_cndmask_b32_e32 v4, v6, v8, vcc_lo
	v_or_b32_e32 v8, 0x400000, v3
	v_cmp_u_f32_e32 vcc_lo, v3, v3
	v_bfe_u32 v6, v1, 16, 1
	v_add3_u32 v9, v9, v2, 0x7fff
	v_cndmask_b32_e32 v3, v7, v8, vcc_lo
	v_cmp_u_f32_e32 vcc_lo, v2, v2
	v_add3_u32 v6, v6, v1, 0x7fff
	v_cndmask_b32_e32 v2, v9, v10, vcc_lo
	v_cmp_u_f32_e32 vcc_lo, v1, v1
	v_cndmask_b32_e32 v1, v6, v11, vcc_lo
	global_store_short_d16_hi v0, v5, s[0:1] offset:96
	global_store_short_d16_hi v0, v4, s[0:1] offset:128
	;; [unrolled: 1-line block ×5, first 2 shown]
.LBB141_75:
	s_endpgm
.LBB141_76:
	ds_read_b32 v11, v9
	s_waitcnt lgkmcnt(0)
	v_add_f32_e32 v8, v8, v11
	s_or_b32 exec_lo, exec_lo, s1
	s_and_saveexec_b32 s1, vcc_lo
	s_cbranch_execz .LBB141_52
.LBB141_77:
	ds_read_b32 v11, v9 offset:64
	s_waitcnt lgkmcnt(0)
	v_add_f32_e32 v7, v7, v11
	s_or_b32 exec_lo, exec_lo, s1
	s_and_saveexec_b32 s1, vcc_lo
	s_cbranch_execz .LBB141_53
.LBB141_78:
	ds_read_b32 v11, v9 offset:128
	s_waitcnt lgkmcnt(0)
	v_add_f32_e32 v6, v6, v11
	s_or_b32 exec_lo, exec_lo, s1
	s_and_saveexec_b32 s1, vcc_lo
	s_cbranch_execz .LBB141_54
.LBB141_79:
	ds_read_b32 v11, v9 offset:192
	s_waitcnt lgkmcnt(0)
	v_add_f32_e32 v5, v5, v11
	s_or_b32 exec_lo, exec_lo, s1
	s_and_saveexec_b32 s1, vcc_lo
	s_cbranch_execz .LBB141_55
.LBB141_80:
	ds_read_b32 v11, v9 offset:256
	s_waitcnt lgkmcnt(0)
	v_add_f32_e32 v4, v4, v11
	s_or_b32 exec_lo, exec_lo, s1
	s_and_saveexec_b32 s1, vcc_lo
	s_cbranch_execz .LBB141_56
.LBB141_81:
	ds_read_b32 v11, v9 offset:320
	s_waitcnt lgkmcnt(0)
	v_add_f32_e32 v3, v3, v11
	s_or_b32 exec_lo, exec_lo, s1
	s_and_saveexec_b32 s1, vcc_lo
	s_cbranch_execz .LBB141_57
.LBB141_82:
	ds_read_b32 v11, v9 offset:384
	s_waitcnt lgkmcnt(0)
	v_add_f32_e32 v2, v2, v11
	s_or_b32 exec_lo, exec_lo, s1
	s_and_saveexec_b32 s1, vcc_lo
	s_cbranch_execnz .LBB141_58
	s_branch .LBB141_59
.LBB141_83:
	ds_read_b32 v10, v9
	s_waitcnt lgkmcnt(0)
	v_add_f32_e32 v8, v8, v10
	s_or_b32 exec_lo, exec_lo, s0
	s_and_saveexec_b32 s0, vcc_lo
	s_cbranch_execz .LBB141_65
.LBB141_84:
	ds_read_b32 v10, v9 offset:64
	s_waitcnt lgkmcnt(0)
	v_add_f32_e32 v7, v7, v10
	s_or_b32 exec_lo, exec_lo, s0
	s_and_saveexec_b32 s0, vcc_lo
	s_cbranch_execz .LBB141_66
.LBB141_85:
	ds_read_b32 v10, v9 offset:128
	s_waitcnt lgkmcnt(0)
	v_add_f32_e32 v6, v6, v10
	s_or_b32 exec_lo, exec_lo, s0
	s_and_saveexec_b32 s0, vcc_lo
	s_cbranch_execz .LBB141_67
.LBB141_86:
	ds_read_b32 v10, v9 offset:192
	s_waitcnt lgkmcnt(0)
	v_add_f32_e32 v5, v5, v10
	s_or_b32 exec_lo, exec_lo, s0
	s_and_saveexec_b32 s0, vcc_lo
	s_cbranch_execz .LBB141_68
.LBB141_87:
	ds_read_b32 v10, v9 offset:256
	s_waitcnt lgkmcnt(0)
	v_add_f32_e32 v4, v4, v10
	s_or_b32 exec_lo, exec_lo, s0
	s_and_saveexec_b32 s0, vcc_lo
	s_cbranch_execz .LBB141_69
.LBB141_88:
	ds_read_b32 v10, v9 offset:320
	s_waitcnt lgkmcnt(0)
	v_add_f32_e32 v3, v3, v10
	s_or_b32 exec_lo, exec_lo, s0
	s_and_saveexec_b32 s0, vcc_lo
	s_cbranch_execz .LBB141_70
.LBB141_89:
	ds_read_b32 v10, v9 offset:384
	s_waitcnt lgkmcnt(0)
	v_add_f32_e32 v2, v2, v10
	s_or_b32 exec_lo, exec_lo, s0
	s_and_saveexec_b32 s0, vcc_lo
	s_cbranch_execnz .LBB141_71
	s_branch .LBB141_72
	.section	.rodata,"a",@progbits
	.p2align	6, 0x0
	.amdhsa_kernel _ZN4vllm25paged_attention_v1_kernelI14__hip_bfloat16S1_Li128ELi16ELi128ELNS_18Fp8KVCacheDataTypeE0ELb0EEEvPT_PKS3_PKT0_S9_ifPKiSB_iPKfiiiSD_SD_iiiii
		.amdhsa_group_segment_fixed_size 288
		.amdhsa_private_segment_fixed_size 0
		.amdhsa_kernarg_size 384
		.amdhsa_user_sgpr_count 6
		.amdhsa_user_sgpr_private_segment_buffer 1
		.amdhsa_user_sgpr_dispatch_ptr 0
		.amdhsa_user_sgpr_queue_ptr 0
		.amdhsa_user_sgpr_kernarg_segment_ptr 1
		.amdhsa_user_sgpr_dispatch_id 0
		.amdhsa_user_sgpr_flat_scratch_init 0
		.amdhsa_user_sgpr_private_segment_size 0
		.amdhsa_wavefront_size32 1
		.amdhsa_uses_dynamic_stack 0
		.amdhsa_system_sgpr_private_segment_wavefront_offset 0
		.amdhsa_system_sgpr_workgroup_id_x 1
		.amdhsa_system_sgpr_workgroup_id_y 1
		.amdhsa_system_sgpr_workgroup_id_z 1
		.amdhsa_system_sgpr_workgroup_info 0
		.amdhsa_system_vgpr_workitem_id 0
		.amdhsa_next_free_vgpr 125
		.amdhsa_next_free_sgpr 30
		.amdhsa_reserve_vcc 1
		.amdhsa_reserve_flat_scratch 0
		.amdhsa_float_round_mode_32 0
		.amdhsa_float_round_mode_16_64 0
		.amdhsa_float_denorm_mode_32 3
		.amdhsa_float_denorm_mode_16_64 3
		.amdhsa_dx10_clamp 1
		.amdhsa_ieee_mode 1
		.amdhsa_fp16_overflow 0
		.amdhsa_workgroup_processor_mode 1
		.amdhsa_memory_ordered 1
		.amdhsa_forward_progress 1
		.amdhsa_shared_vgpr_count 0
		.amdhsa_exception_fp_ieee_invalid_op 0
		.amdhsa_exception_fp_denorm_src 0
		.amdhsa_exception_fp_ieee_div_zero 0
		.amdhsa_exception_fp_ieee_overflow 0
		.amdhsa_exception_fp_ieee_underflow 0
		.amdhsa_exception_fp_ieee_inexact 0
		.amdhsa_exception_int_div_zero 0
	.end_amdhsa_kernel
	.section	.text._ZN4vllm25paged_attention_v1_kernelI14__hip_bfloat16S1_Li128ELi16ELi128ELNS_18Fp8KVCacheDataTypeE0ELb0EEEvPT_PKS3_PKT0_S9_ifPKiSB_iPKfiiiSD_SD_iiiii,"axG",@progbits,_ZN4vllm25paged_attention_v1_kernelI14__hip_bfloat16S1_Li128ELi16ELi128ELNS_18Fp8KVCacheDataTypeE0ELb0EEEvPT_PKS3_PKT0_S9_ifPKiSB_iPKfiiiSD_SD_iiiii,comdat
.Lfunc_end141:
	.size	_ZN4vllm25paged_attention_v1_kernelI14__hip_bfloat16S1_Li128ELi16ELi128ELNS_18Fp8KVCacheDataTypeE0ELb0EEEvPT_PKS3_PKT0_S9_ifPKiSB_iPKfiiiSD_SD_iiiii, .Lfunc_end141-_ZN4vllm25paged_attention_v1_kernelI14__hip_bfloat16S1_Li128ELi16ELi128ELNS_18Fp8KVCacheDataTypeE0ELb0EEEvPT_PKS3_PKT0_S9_ifPKiSB_iPKfiiiSD_SD_iiiii
                                        ; -- End function
	.set _ZN4vllm25paged_attention_v1_kernelI14__hip_bfloat16S1_Li128ELi16ELi128ELNS_18Fp8KVCacheDataTypeE0ELb0EEEvPT_PKS3_PKT0_S9_ifPKiSB_iPKfiiiSD_SD_iiiii.num_vgpr, 125
	.set _ZN4vllm25paged_attention_v1_kernelI14__hip_bfloat16S1_Li128ELi16ELi128ELNS_18Fp8KVCacheDataTypeE0ELb0EEEvPT_PKS3_PKT0_S9_ifPKiSB_iPKfiiiSD_SD_iiiii.num_agpr, 0
	.set _ZN4vllm25paged_attention_v1_kernelI14__hip_bfloat16S1_Li128ELi16ELi128ELNS_18Fp8KVCacheDataTypeE0ELb0EEEvPT_PKS3_PKT0_S9_ifPKiSB_iPKfiiiSD_SD_iiiii.numbered_sgpr, 30
	.set _ZN4vllm25paged_attention_v1_kernelI14__hip_bfloat16S1_Li128ELi16ELi128ELNS_18Fp8KVCacheDataTypeE0ELb0EEEvPT_PKS3_PKT0_S9_ifPKiSB_iPKfiiiSD_SD_iiiii.num_named_barrier, 0
	.set _ZN4vllm25paged_attention_v1_kernelI14__hip_bfloat16S1_Li128ELi16ELi128ELNS_18Fp8KVCacheDataTypeE0ELb0EEEvPT_PKS3_PKT0_S9_ifPKiSB_iPKfiiiSD_SD_iiiii.private_seg_size, 0
	.set _ZN4vllm25paged_attention_v1_kernelI14__hip_bfloat16S1_Li128ELi16ELi128ELNS_18Fp8KVCacheDataTypeE0ELb0EEEvPT_PKS3_PKT0_S9_ifPKiSB_iPKfiiiSD_SD_iiiii.uses_vcc, 1
	.set _ZN4vllm25paged_attention_v1_kernelI14__hip_bfloat16S1_Li128ELi16ELi128ELNS_18Fp8KVCacheDataTypeE0ELb0EEEvPT_PKS3_PKT0_S9_ifPKiSB_iPKfiiiSD_SD_iiiii.uses_flat_scratch, 0
	.set _ZN4vllm25paged_attention_v1_kernelI14__hip_bfloat16S1_Li128ELi16ELi128ELNS_18Fp8KVCacheDataTypeE0ELb0EEEvPT_PKS3_PKT0_S9_ifPKiSB_iPKfiiiSD_SD_iiiii.has_dyn_sized_stack, 0
	.set _ZN4vllm25paged_attention_v1_kernelI14__hip_bfloat16S1_Li128ELi16ELi128ELNS_18Fp8KVCacheDataTypeE0ELb0EEEvPT_PKS3_PKT0_S9_ifPKiSB_iPKfiiiSD_SD_iiiii.has_recursion, 0
	.set _ZN4vllm25paged_attention_v1_kernelI14__hip_bfloat16S1_Li128ELi16ELi128ELNS_18Fp8KVCacheDataTypeE0ELb0EEEvPT_PKS3_PKT0_S9_ifPKiSB_iPKfiiiSD_SD_iiiii.has_indirect_call, 0
	.section	.AMDGPU.csdata,"",@progbits
; Kernel info:
; codeLenInByte = 10836
; TotalNumSgprs: 32
; NumVgprs: 125
; ScratchSize: 0
; MemoryBound: 0
; FloatMode: 240
; IeeeMode: 1
; LDSByteSize: 288 bytes/workgroup (compile time only)
; SGPRBlocks: 0
; VGPRBlocks: 15
; NumSGPRsForWavesPerEU: 32
; NumVGPRsForWavesPerEU: 125
; Occupancy: 8
; WaveLimiterHint : 1
; COMPUTE_PGM_RSRC2:SCRATCH_EN: 0
; COMPUTE_PGM_RSRC2:USER_SGPR: 6
; COMPUTE_PGM_RSRC2:TRAP_HANDLER: 0
; COMPUTE_PGM_RSRC2:TGID_X_EN: 1
; COMPUTE_PGM_RSRC2:TGID_Y_EN: 1
; COMPUTE_PGM_RSRC2:TGID_Z_EN: 1
; COMPUTE_PGM_RSRC2:TIDIG_COMP_CNT: 0
	.section	.text._ZN4vllm25paged_attention_v1_kernelI14__hip_bfloat16S1_Li192ELi16ELi128ELNS_18Fp8KVCacheDataTypeE0ELb0EEEvPT_PKS3_PKT0_S9_ifPKiSB_iPKfiiiSD_SD_iiiii,"axG",@progbits,_ZN4vllm25paged_attention_v1_kernelI14__hip_bfloat16S1_Li192ELi16ELi128ELNS_18Fp8KVCacheDataTypeE0ELb0EEEvPT_PKS3_PKT0_S9_ifPKiSB_iPKfiiiSD_SD_iiiii,comdat
	.protected	_ZN4vllm25paged_attention_v1_kernelI14__hip_bfloat16S1_Li192ELi16ELi128ELNS_18Fp8KVCacheDataTypeE0ELb0EEEvPT_PKS3_PKT0_S9_ifPKiSB_iPKfiiiSD_SD_iiiii ; -- Begin function _ZN4vllm25paged_attention_v1_kernelI14__hip_bfloat16S1_Li192ELi16ELi128ELNS_18Fp8KVCacheDataTypeE0ELb0EEEvPT_PKS3_PKT0_S9_ifPKiSB_iPKfiiiSD_SD_iiiii
	.globl	_ZN4vllm25paged_attention_v1_kernelI14__hip_bfloat16S1_Li192ELi16ELi128ELNS_18Fp8KVCacheDataTypeE0ELb0EEEvPT_PKS3_PKT0_S9_ifPKiSB_iPKfiiiSD_SD_iiiii
	.p2align	8
	.type	_ZN4vllm25paged_attention_v1_kernelI14__hip_bfloat16S1_Li192ELi16ELi128ELNS_18Fp8KVCacheDataTypeE0ELb0EEEvPT_PKS3_PKT0_S9_ifPKiSB_iPKfiiiSD_SD_iiiii,@function
_ZN4vllm25paged_attention_v1_kernelI14__hip_bfloat16S1_Li192ELi16ELi128ELNS_18Fp8KVCacheDataTypeE0ELb0EEEvPT_PKS3_PKT0_S9_ifPKiSB_iPKfiiiSD_SD_iiiii: ; @_ZN4vllm25paged_attention_v1_kernelI14__hip_bfloat16S1_Li192ELi16ELi128ELNS_18Fp8KVCacheDataTypeE0ELb0EEEvPT_PKS3_PKT0_S9_ifPKiSB_iPKfiiiSD_SD_iiiii
; %bb.0:
	s_clause 0x2
	s_load_dword s9, s[4:5], 0x80
	s_load_dwordx2 s[0:1], s[4:5], 0x30
	s_load_dwordx2 s[24:25], s[4:5], 0x20
	s_mov_b32 s10, s7
	s_ashr_i32 s11, s7, 31
	s_lshl_b64 s[2:3], s[10:11], 2
	s_waitcnt lgkmcnt(0)
	s_add_u32 s0, s0, s2
	s_addc_u32 s1, s1, s3
	s_abs_i32 s2, s24
	s_abs_i32 s11, s9
	v_cvt_f32_u32_e32 v1, s2
	s_sub_i32 s7, 0, s2
	v_rcp_iflag_f32_e32 v1, v1
	v_mul_f32_e32 v1, 0x4f7ffffe, v1
	v_cvt_u32_f32_e32 v1, v1
	v_readfirstlane_b32 s3, v1
	s_mul_i32 s7, s7, s3
	s_mul_hi_u32 s7, s3, s7
	s_add_i32 s3, s3, s7
	s_xor_b32 s7, s9, s24
	s_mul_hi_u32 s3, s11, s3
	s_ashr_i32 s7, s7, 31
	s_mul_i32 s12, s3, s2
	s_mov_b32 s24, 0
	s_sub_i32 s11, s11, s12
	s_add_i32 s12, s3, 1
	s_sub_i32 s13, s11, s2
	s_cmp_ge_u32 s11, s2
	s_cselect_b32 s3, s12, s3
	s_cselect_b32 s11, s13, s11
	s_add_i32 s12, s3, 1
	s_cmp_ge_u32 s11, s2
	s_cselect_b32 s2, s12, s3
	s_abs_i32 s17, s6
	s_xor_b32 s2, s2, s7
	s_sub_i32 s18, s2, s7
	s_load_dwordx2 s[2:3], s[4:5], 0x40
	s_abs_i32 s16, s18
	v_cvt_f32_u32_e32 v1, s16
	s_sub_i32 s11, 0, s16
	v_rcp_iflag_f32_e32 v1, v1
	v_mul_f32_e32 v1, 0x4f7ffffe, v1
	v_cvt_u32_f32_e32 v1, v1
	v_readfirstlane_b32 s7, v1
	s_mul_i32 s11, s11, s7
	s_mul_hi_u32 s11, s7, s11
	s_add_i32 s7, s7, s11
	s_waitcnt lgkmcnt(0)
	s_cmp_eq_u64 s[2:3], 0
	s_mul_hi_u32 s20, s17, s7
	s_cbranch_scc1 .LBB142_2
; %bb.1:
	s_ashr_i32 s7, s6, 31
	s_lshl_b64 s[12:13], s[6:7], 2
	s_add_u32 s2, s2, s12
	s_addc_u32 s3, s3, s13
	s_load_dword s24, s[2:3], 0x0
.LBB142_2:
	s_load_dword s11, s[0:1], 0x0
	s_load_dwordx4 s[12:15], s[4:5], 0x48
	v_lshrrev_b32_e32 v89, 1, v0
	v_and_b32_e32 v117, 1, v0
	v_lshlrev_b32_e32 v10, 3, v0
	s_ashr_i32 s0, s6, 31
	s_ashr_i32 s1, s18, 31
	s_mulk_i32 s6, 0xc0
	s_mov_b32 s2, exec_lo
	v_cmpx_gt_u32_e32 48, v0
	s_cbranch_execz .LBB142_4
; %bb.3:
	s_load_dwordx2 s[18:19], s[4:5], 0x8
	s_waitcnt lgkmcnt(0)
	s_mul_i32 s22, s12, s10
	v_lshlrev_b32_e32 v3, 3, v89
	s_ashr_i32 s23, s22, 31
	s_lshl_b64 s[22:23], s[22:23], 1
	v_mad_u32_u24 v3, 0xc0, v117, v3
	s_add_u32 s3, s18, s22
	s_addc_u32 s12, s19, s23
	s_ashr_i32 s7, s6, 31
	s_lshl_b64 s[18:19], s[6:7], 1
	s_add_u32 s18, s3, s18
	s_addc_u32 s19, s12, s19
	global_load_dwordx2 v[1:2], v10, s[18:19]
	s_waitcnt vmcnt(0)
	ds_write_b64 v3, v[1:2]
.LBB142_4:
	s_or_b32 exec_lo, exec_lo, s2
	s_waitcnt lgkmcnt(0)
	s_add_i32 s2, s11, 15
	s_clause 0x1
	s_load_dwordx2 s[18:19], s[4:5], 0x28
	s_load_dword s7, s[4:5], 0x38
	s_ashr_i32 s3, s2, 31
	s_xor_b32 s0, s0, s1
	s_lshr_b32 s3, s3, 28
	s_mul_i32 s1, s20, s16
	s_add_i32 s2, s2, s3
	s_sub_i32 s1, s17, s1
	s_ashr_i32 s12, s2, 4
	s_add_i32 s2, s20, 1
	s_sub_i32 s3, s1, s16
	s_cmp_ge_u32 s1, s16
	v_lshrrev_b32_e32 v119, 5, v0
	s_cselect_b32 s2, s2, s20
	s_cselect_b32 s1, s3, s1
	s_add_i32 s3, s2, 1
	s_cmp_ge_u32 s1, s16
	v_mbcnt_lo_u32_b32 v11, -1, 0
	s_cselect_b32 s1, s3, s2
	s_mov_b32 s2, exec_lo
	s_xor_b32 s1, s1, s0
	s_waitcnt lgkmcnt(0)
	s_mul_i32 s20, s7, s10
	s_sub_i32 s1, s1, s0
	v_cmp_gt_i32_e64 s0, s12, v119
	s_ashr_i32 s21, s20, 31
	s_barrier
	buffer_gl0_inv
                                        ; implicit-def: $vgpr12
                                        ; implicit-def: $vgpr71
	v_cmpx_le_i32_e64 s12, v119
	s_xor_b32 s2, exec_lo, s2
; %bb.5:
	v_mov_b32_e32 v12, 0
	v_mbcnt_lo_u32_b32 v11, -1, 0
	v_mov_b32_e32 v71, 32
; %bb.6:
	s_or_saveexec_b32 s26, s2
	s_clause 0x2
	s_load_dwordx2 s[16:17], s[4:5], 0x0
	s_load_dwordx2 s[22:23], s[4:5], 0x18
	s_load_dword s7, s[4:5], 0x88
	v_mov_b32_e32 v113, 0xff7fffff
	v_lshrrev_b32_e32 v59, 3, v0
	s_mul_i32 s14, s1, s14
	s_xor_b32 exec_lo, exec_lo, s26
	s_cbranch_execz .LBB142_12
; %bb.7:
	v_mul_u32_u24_e32 v66, 0xc0, v117
	s_load_dwordx2 s[2:3], s[4:5], 0x10
	s_ashr_i32 s15, s14, 31
	v_mov_b32_e32 v71, 32
	s_lshl_b64 s[4:5], s[14:15], 1
	ds_read_b128 v[1:4], v66
	ds_read_b128 v[5:8], v66 offset:16
	ds_read_b128 v[32:35], v66 offset:32
	;; [unrolled: 1-line block ×7, first 2 shown]
	v_mov_b32_e32 v113, 0xff7fffff
	s_mov_b32 s15, s13
	s_waitcnt lgkmcnt(0)
	s_add_u32 s1, s2, s4
	v_lshlrev_b32_e32 v12, 16, v1
	v_and_b32_e32 v13, 0xffff0000, v1
	v_lshlrev_b32_e32 v14, 16, v2
	v_and_b32_e32 v15, 0xffff0000, v2
	;; [unrolled: 2-line block ×4, first 2 shown]
	ds_read_b128 v[1:4], v66 offset:80
	v_lshlrev_b32_e32 v20, 16, v5
	v_and_b32_e32 v21, 0xffff0000, v5
	v_lshlrev_b32_e32 v22, 16, v6
	v_and_b32_e32 v23, 0xffff0000, v6
	;; [unrolled: 2-line block ×4, first 2 shown]
	ds_read_b128 v[5:8], v66 offset:96
	s_addc_u32 s2, s3, s5
	s_sub_i32 s4, 1, s11
	v_lshlrev_b32_e32 v28, 16, v32
	v_and_b32_e32 v29, 0xffff0000, v32
	v_lshlrev_b32_e32 v30, 16, v33
	v_and_b32_e32 v31, 0xffff0000, v33
	;; [unrolled: 2-line block ×4, first 2 shown]
	s_waitcnt lgkmcnt(1)
	v_lshlrev_b32_e32 v52, 16, v1
	v_and_b32_e32 v53, 0xffff0000, v1
	v_lshlrev_b32_e32 v54, 16, v2
	v_and_b32_e32 v55, 0xffff0000, v2
	;; [unrolled: 2-line block ×4, first 2 shown]
	ds_read_b128 v[1:4], v66 offset:144
	s_waitcnt lgkmcnt(1)
	v_lshlrev_b32_e32 v63, 16, v5
	v_and_b32_e32 v64, 0xffff0000, v5
	v_lshlrev_b32_e32 v65, 16, v6
	v_and_b32_e32 v67, 0xffff0000, v6
	v_lshlrev_b32_e32 v68, 16, v7
	v_and_b32_e32 v69, 0xffff0000, v7
	v_lshlrev_b32_e32 v70, 16, v8
	v_and_b32_e32 v72, 0xffff0000, v8
	ds_read_b128 v[5:8], v66 offset:160
	v_lshlrev_b32_e32 v36, 16, v40
	v_and_b32_e32 v37, 0xffff0000, v40
	v_lshlrev_b32_e32 v38, 16, v41
	v_and_b32_e32 v39, 0xffff0000, v41
	v_lshlrev_b32_e32 v40, 16, v42
	v_and_b32_e32 v41, 0xffff0000, v42
	v_lshlrev_b32_e32 v42, 16, v43
	v_and_b32_e32 v43, 0xffff0000, v43
	v_lshlrev_b32_e32 v44, 16, v48
	v_and_b32_e32 v45, 0xffff0000, v48
	s_waitcnt lgkmcnt(1)
	v_lshlrev_b32_e32 v89, 16, v1
	v_and_b32_e32 v90, 0xffff0000, v1
	v_bfe_u32 v1, v0, 1, 4
	v_lshlrev_b32_e32 v91, 16, v2
	v_and_b32_e32 v92, 0xffff0000, v2
	v_lshlrev_b32_e32 v95, 16, v4
	v_and_b32_e32 v96, 0xffff0000, v4
	v_lshlrev_b32_e32 v2, 4, v1
	v_xor_b32_e32 v4, 1, v11
	v_lshlrev_b32_e32 v93, 16, v3
	v_and_b32_e32 v94, 0xffff0000, v3
	v_and_b32_e32 v3, 8, v10
	v_add_co_u32 v2, s1, s1, v2
	v_cmp_gt_i32_e32 vcc_lo, 32, v4
	s_waitcnt lgkmcnt(0)
	v_lshlrev_b32_e32 v97, 16, v5
	v_and_b32_e32 v98, 0xffff0000, v5
	v_add_co_ci_u32_e64 v5, null, s2, 0, s1
	v_lshlrev_b32_e32 v99, 16, v6
	v_and_b32_e32 v100, 0xffff0000, v6
	v_lshlrev_b32_e32 v6, 2, v1
	v_cndmask_b32_e32 v4, v11, v4, vcc_lo
	v_add_co_u32 v114, vcc_lo, v2, v3
	v_add_co_ci_u32_e64 v115, null, 0, v5, vcc_lo
	v_cmp_eq_u32_e32 vcc_lo, 0, v117
	v_lshl_or_b32 v117, v119, 4, v1
	v_and_b32_e32 v1, 0x7c, v59
	s_lshl_b64 s[2:3], s[20:21], 2
	v_lshl_or_b32 v2, v119, 6, v6
	s_add_u32 s2, s18, s2
	s_addc_u32 s3, s19, s3
	v_add_co_u32 v1, s2, s2, v1
	v_lshlrev_b32_e32 v46, 16, v49
	v_and_b32_e32 v47, 0xffff0000, v49
	v_lshlrev_b32_e32 v48, 16, v50
	v_and_b32_e32 v49, 0xffff0000, v50
	v_lshlrev_b32_e32 v50, 16, v51
	v_and_b32_e32 v51, 0xffff0000, v51
	v_lshlrev_b32_e32 v73, 16, v77
	v_and_b32_e32 v74, 0xffff0000, v77
	v_lshlrev_b32_e32 v75, 16, v78
	v_and_b32_e32 v76, 0xffff0000, v78
	v_lshlrev_b32_e32 v77, 16, v79
	v_and_b32_e32 v78, 0xffff0000, v79
	v_lshlrev_b32_e32 v79, 16, v80
	v_and_b32_e32 v80, 0xffff0000, v80
	v_lshlrev_b32_e32 v81, 16, v85
	v_and_b32_e32 v82, 0xffff0000, v85
	v_lshlrev_b32_e32 v83, 16, v86
	v_and_b32_e32 v84, 0xffff0000, v86
	v_lshlrev_b32_e32 v85, 16, v87
	v_and_b32_e32 v86, 0xffff0000, v87
	v_lshlrev_b32_e32 v87, 16, v88
	v_and_b32_e32 v88, 0xffff0000, v88
	v_lshlrev_b32_e32 v101, 16, v7
	v_and_b32_e32 v102, 0xffff0000, v7
	v_lshlrev_b32_e32 v103, 16, v8
	v_and_b32_e32 v104, 0xffff0000, v8
	v_lshlrev_b32_e32 v105, 16, v109
	v_and_b32_e32 v106, 0xffff0000, v109
	v_lshlrev_b32_e32 v107, 16, v110
	v_and_b32_e32 v108, 0xffff0000, v110
	v_lshlrev_b32_e32 v109, 16, v111
	v_and_b32_e32 v110, 0xffff0000, v111
	v_lshlrev_b32_e32 v111, 16, v112
	v_and_b32_e32 v112, 0xffff0000, v112
	v_lshlrev_b32_e32 v116, 2, v4
	v_cmp_neq_f32_e64 s1, s24, 0
	v_add_nc_u32_e32 v118, 0x1a0, v2
	v_add_co_ci_u32_e64 v2, null, s3, 0, s2
	s_mov_b32 s5, 0
	s_branch .LBB142_9
.LBB142_8:                              ;   in Loop: Header=BB142_9 Depth=1
	s_or_b32 exec_lo, exec_lo, s3
	v_add_nc_u32_e32 v119, 4, v119
	v_add_co_u32 v1, s3, v1, 16
	v_add_nc_u32_e32 v117, 64, v117
	v_add_nc_u32_e32 v118, 0x100, v118
	v_cmp_le_i32_e64 s2, s12, v119
	v_add_co_ci_u32_e64 v2, null, 0, v2, s3
	s_or_b32 s5, s2, s5
	s_andn2_b32 exec_lo, exec_lo, s5
	s_cbranch_execz .LBB142_11
.LBB142_9:                              ; =>This Inner Loop Header: Depth=1
	global_load_dword v3, v[1:2], off
	s_waitcnt vmcnt(0) lgkmcnt(0)
	v_mad_i64_i32 v[3:4], null, v3, s15, 0
	v_lshlrev_b64 v[3:4], 1, v[3:4]
	v_add_co_u32 v7, s2, v114, v3
	v_add_co_ci_u32_e64 v8, null, v115, v4, s2
	global_load_dwordx2 v[3:4], v[7:8], off
	s_waitcnt vmcnt(0)
	v_lshlrev_b32_e32 v5, 16, v3
	v_and_b32_e32 v6, 0xffff0000, v3
	v_lshlrev_b32_e32 v123, 16, v4
	v_and_b32_e32 v124, 0xffff0000, v4
	global_load_dwordx2 v[3:4], v[7:8], off offset:256
	s_waitcnt vmcnt(0)
	v_lshlrev_b32_e32 v120, 16, v3
	v_and_b32_e32 v121, 0xffff0000, v3
	v_lshlrev_b32_e32 v122, 16, v4
	v_and_b32_e32 v125, 0xffff0000, v4
	global_load_dwordx2 v[3:4], v[7:8], off offset:512
	v_mul_f32_e32 v120, v16, v120
	v_mul_f32_e32 v121, v17, v121
	;; [unrolled: 1-line block ×3, first 2 shown]
	v_fmac_f32_e32 v120, v12, v5
	v_fmac_f32_e32 v121, v13, v6
	;; [unrolled: 1-line block ×3, first 2 shown]
	v_mul_f32_e32 v123, v19, v125
	v_fmac_f32_e32 v123, v15, v124
	s_waitcnt vmcnt(0)
	v_lshlrev_b32_e32 v126, 16, v3
	v_and_b32_e32 v127, 0xffff0000, v3
	v_lshlrev_b32_e32 v59, 16, v4
	v_and_b32_e32 v60, 0xffff0000, v4
	global_load_dwordx2 v[3:4], v[7:8], off offset:768
	v_fmac_f32_e32 v120, v20, v126
	v_fmac_f32_e32 v121, v21, v127
	v_fmac_f32_e32 v122, v22, v59
	v_fmac_f32_e32 v123, v23, v60
	s_waitcnt vmcnt(0)
	v_lshlrev_b32_e32 v5, 16, v3
	v_and_b32_e32 v6, 0xffff0000, v3
	v_lshlrev_b32_e32 v124, 16, v4
	v_and_b32_e32 v125, 0xffff0000, v4
	global_load_dwordx2 v[3:4], v[7:8], off offset:1024
	v_fmac_f32_e32 v120, v24, v5
	v_fmac_f32_e32 v121, v25, v6
	v_fmac_f32_e32 v122, v26, v124
	;; [unrolled: 10-line block ×4, first 2 shown]
	v_add_co_u32 v124, s2, 0x800, v7
	v_fmac_f32_e32 v123, v35, v125
	v_add_co_ci_u32_e64 v125, null, 0, v8, s2
	v_add_co_u32 v5, s2, v7, 0x1000
	v_add_co_ci_u32_e64 v6, null, 0, v8, s2
	s_waitcnt vmcnt(0)
	v_lshlrev_b32_e32 v59, 16, v3
	v_and_b32_e32 v60, 0xffff0000, v3
	v_add_co_u32 v3, s2, 0x1000, v7
	v_lshlrev_b32_e32 v126, 16, v4
	v_and_b32_e32 v127, 0xffff0000, v4
	v_add_co_ci_u32_e64 v4, null, 0, v8, s2
	global_load_dwordx2 v[7:8], v[7:8], off offset:1792
	v_fmac_f32_e32 v120, v36, v59
	v_fmac_f32_e32 v121, v37, v60
	;; [unrolled: 1-line block ×4, first 2 shown]
	s_waitcnt vmcnt(0)
	v_lshlrev_b32_e32 v10, 16, v7
	v_and_b32_e32 v9, 0xffff0000, v7
	v_lshlrev_b32_e32 v61, 16, v8
	v_and_b32_e32 v66, 0xffff0000, v8
	global_load_dwordx2 v[7:8], v[5:6], off offset:-2048
	v_fmac_f32_e32 v120, v40, v10
	v_fmac_f32_e32 v121, v41, v9
	;; [unrolled: 1-line block ×4, first 2 shown]
	global_load_dwordx2 v[5:6], v[5:6], off
	s_waitcnt vmcnt(1)
	v_lshlrev_b32_e32 v59, 16, v7
	v_and_b32_e32 v60, 0xffff0000, v7
	v_lshlrev_b32_e32 v126, 16, v8
	v_and_b32_e32 v127, 0xffff0000, v8
	global_load_dwordx2 v[7:8], v[124:125], off offset:256
	v_fmac_f32_e32 v120, v44, v59
	v_fmac_f32_e32 v121, v45, v60
	v_fmac_f32_e32 v122, v46, v126
	v_fmac_f32_e32 v123, v47, v127
	s_waitcnt vmcnt(0)
	v_lshlrev_b32_e32 v9, 16, v7
	v_and_b32_e32 v10, 0xffff0000, v7
	v_lshlrev_b32_e32 v61, 16, v8
	v_and_b32_e32 v66, 0xffff0000, v8
	global_load_dwordx2 v[7:8], v[124:125], off offset:512
	v_fmac_f32_e32 v120, v48, v9
	v_fmac_f32_e32 v121, v49, v10
	v_fmac_f32_e32 v122, v50, v61
	v_fmac_f32_e32 v123, v51, v66
	;; [unrolled: 10-line block ×6, first 2 shown]
	v_lshlrev_b32_e32 v61, 16, v6
	v_and_b32_e32 v66, 0xffff0000, v6
	s_waitcnt vmcnt(0)
	v_lshlrev_b32_e32 v59, 16, v7
	v_and_b32_e32 v60, 0xffff0000, v7
	v_lshlrev_b32_e32 v126, 16, v8
	v_and_b32_e32 v127, 0xffff0000, v8
	global_load_dwordx2 v[7:8], v[124:125], off offset:1792
	v_fmac_f32_e32 v120, v73, v59
	v_fmac_f32_e32 v121, v74, v60
	v_lshlrev_b32_e32 v59, 16, v5
	v_and_b32_e32 v60, 0xffff0000, v5
	global_load_dwordx2 v[5:6], v[3:4], off offset:256
	v_fmac_f32_e32 v122, v75, v126
	v_fmac_f32_e32 v123, v76, v127
	s_waitcnt vmcnt(1)
	v_lshlrev_b32_e32 v9, 16, v7
	v_and_b32_e32 v7, 0xffff0000, v7
	v_lshlrev_b32_e32 v10, 16, v8
	v_and_b32_e32 v8, 0xffff0000, v8
	v_fmac_f32_e32 v120, v77, v9
	v_fmac_f32_e32 v121, v78, v7
	;; [unrolled: 1-line block ×4, first 2 shown]
	s_waitcnt vmcnt(0)
	v_lshlrev_b32_e32 v7, 16, v5
	v_and_b32_e32 v8, 0xffff0000, v5
	v_lshlrev_b32_e32 v9, 16, v6
	v_and_b32_e32 v10, 0xffff0000, v6
	global_load_dwordx2 v[5:6], v[3:4], off offset:512
	v_fmac_f32_e32 v120, v81, v59
	v_fmac_f32_e32 v121, v82, v60
	;; [unrolled: 1-line block ×8, first 2 shown]
	s_waitcnt vmcnt(0)
	v_lshlrev_b32_e32 v59, 16, v5
	v_and_b32_e32 v60, 0xffff0000, v5
	v_lshlrev_b32_e32 v61, 16, v6
	v_and_b32_e32 v66, 0xffff0000, v6
	global_load_dwordx2 v[5:6], v[3:4], off offset:768
	v_fmac_f32_e32 v120, v89, v59
	v_fmac_f32_e32 v121, v90, v60
	v_fmac_f32_e32 v122, v91, v61
	v_fmac_f32_e32 v123, v92, v66
	s_waitcnt vmcnt(0)
	v_lshlrev_b32_e32 v7, 16, v5
	v_and_b32_e32 v8, 0xffff0000, v5
	v_lshlrev_b32_e32 v9, 16, v6
	v_and_b32_e32 v10, 0xffff0000, v6
	global_load_dwordx2 v[5:6], v[3:4], off offset:1024
	v_fmac_f32_e32 v120, v93, v7
	v_fmac_f32_e32 v121, v94, v8
	v_fmac_f32_e32 v122, v95, v9
	v_fmac_f32_e32 v123, v96, v10
	;; [unrolled: 10-line block ×3, first 2 shown]
	s_waitcnt vmcnt(0)
	v_lshlrev_b32_e32 v7, 16, v5
	v_and_b32_e32 v8, 0xffff0000, v5
	v_lshlrev_b32_e32 v9, 16, v6
	v_and_b32_e32 v10, 0xffff0000, v6
	s_clause 0x1
	global_load_dwordx2 v[5:6], v[3:4], off offset:1536
	global_load_dwordx2 v[3:4], v[3:4], off offset:1792
	v_fmac_f32_e32 v120, v101, v7
	v_fmac_f32_e32 v121, v102, v8
	;; [unrolled: 1-line block ×4, first 2 shown]
	s_waitcnt vmcnt(1)
	v_lshlrev_b32_e32 v59, 16, v5
	v_and_b32_e32 v5, 0xffff0000, v5
	v_lshlrev_b32_e32 v60, 16, v6
	v_and_b32_e32 v6, 0xffff0000, v6
	v_fmac_f32_e32 v120, v105, v59
	v_fmac_f32_e32 v121, v106, v5
	s_waitcnt vmcnt(0)
	v_lshlrev_b32_e32 v5, 16, v3
	v_and_b32_e32 v3, 0xffff0000, v3
	v_fmac_f32_e32 v122, v107, v60
	v_fmac_f32_e32 v123, v108, v6
	;; [unrolled: 1-line block ×4, first 2 shown]
	v_lshlrev_b32_e32 v3, 16, v4
	v_and_b32_e32 v4, 0xffff0000, v4
	v_fmac_f32_e32 v122, v111, v3
	v_add_f32_e32 v3, v120, v121
	v_fmac_f32_e32 v123, v112, v4
	v_add_f32_e32 v3, v3, v122
	v_add_f32_e32 v3, v123, v3
	ds_bpermute_b32 v4, v116, v3
	s_and_saveexec_b32 s3, vcc_lo
	s_cbranch_execz .LBB142_8
; %bb.10:                               ;   in Loop: Header=BB142_9 Depth=1
	v_add_nc_u32_e32 v5, s4, v117
	s_waitcnt lgkmcnt(0)
	v_add_f32_e32 v3, v3, v4
	v_cmp_gt_i32_e64 s2, s11, v117
	v_cvt_f32_i32_e32 v5, v5
	v_mul_f32_e32 v5, s24, v5
	v_cndmask_b32_e64 v4, 0, v5, s1
	v_max_f32_e32 v5, v113, v113
	v_fmac_f32_e32 v4, s25, v3
	v_max_f32_e32 v3, v5, v4
	v_cndmask_b32_e64 v4, 0, v4, s2
	v_cndmask_b32_e64 v113, v113, v3, s2
	ds_write_b32 v118, v4
	s_branch .LBB142_8
.LBB142_11:
	s_or_b32 exec_lo, exec_lo, s5
	v_lshrrev_b32_e32 v89, 1, v0
	v_and_b32_e32 v117, 1, v0
	v_lshrrev_b32_e32 v119, 5, v0
	v_lshlrev_b32_e32 v10, 3, v0
	v_lshrrev_b32_e32 v59, 3, v0
	v_mov_b32_e32 v12, 0
.LBB142_12:
	s_or_b32 exec_lo, exec_lo, s26
	v_xor_b32_e32 v1, 16, v11
	v_xor_b32_e32 v3, 8, v11
	v_max_f32_e32 v5, v113, v113
	v_xor_b32_e32 v6, 2, v11
	v_and_b32_e32 v62, 31, v0
	v_cmp_lt_i32_e32 vcc_lo, v1, v71
	v_cndmask_b32_e32 v1, v11, v1, vcc_lo
	v_cmp_lt_i32_e32 vcc_lo, v3, v71
	v_lshlrev_b32_e32 v2, 2, v1
	v_cndmask_b32_e32 v3, v11, v3, vcc_lo
	ds_bpermute_b32 v1, v2, v113
	s_waitcnt lgkmcnt(0)
	v_lshlrev_b32_e32 v4, 2, v3
	v_max_f32_e32 v1, v1, v1
	v_max_f32_e32 v1, v5, v1
	v_xor_b32_e32 v5, 4, v11
	ds_bpermute_b32 v3, v4, v1
	v_cmp_lt_i32_e32 vcc_lo, v5, v71
	v_cndmask_b32_e32 v5, v11, v5, vcc_lo
	v_cmp_lt_i32_e32 vcc_lo, v6, v71
	v_lshlrev_b32_e32 v5, 2, v5
	v_cndmask_b32_e32 v6, v11, v6, vcc_lo
	v_cmp_eq_u32_e32 vcc_lo, 0, v62
	s_waitcnt lgkmcnt(0)
	v_max_f32_e32 v3, v3, v3
	v_max_f32_e32 v1, v1, v3
	ds_bpermute_b32 v3, v5, v1
	s_waitcnt lgkmcnt(0)
	v_max_f32_e32 v3, v3, v3
	v_max_f32_e32 v3, v1, v3
	v_lshlrev_b32_e32 v1, 2, v6
	v_lshlrev_b32_e32 v6, 2, v119
	ds_bpermute_b32 v7, v1, v3
	s_and_saveexec_b32 s1, vcc_lo
	s_cbranch_execz .LBB142_14
; %bb.13:
	s_waitcnt lgkmcnt(0)
	v_max_f32_e32 v7, v7, v7
	v_max_f32_e32 v3, v3, v3
	;; [unrolled: 1-line block ×3, first 2 shown]
	ds_write_b32 v6, v3 offset:384
.LBB142_14:
	s_or_b32 exec_lo, exec_lo, s1
	v_cmp_gt_u32_e64 s1, 4, v62
	v_mov_b32_e32 v3, 0xff7fffff
	s_waitcnt lgkmcnt(0)
	v_lshlrev_b32_e32 v7, 2, v62
	s_barrier
	buffer_gl0_inv
	s_and_saveexec_b32 s2, s1
; %bb.15:
	ds_read_b32 v3, v7 offset:384
; %bb.16:
	s_or_b32 exec_lo, exec_lo, s2
	s_waitcnt lgkmcnt(0)
	ds_bpermute_b32 v8, v1, v3
	v_xor_b32_e32 v9, 1, v11
	v_max_f32_e32 v3, v3, v3
	v_cmp_lt_i32_e64 s2, v9, v71
	v_cndmask_b32_e64 v9, v11, v9, s2
	s_lshl_b32 s2, s12, 4
	s_min_i32 s4, s2, s11
	v_lshlrev_b32_e32 v63, 2, v9
	v_cmp_gt_i32_e64 s2, s4, v0
	s_waitcnt lgkmcnt(0)
	v_max_f32_e32 v8, v8, v8
	v_max_f32_e32 v3, v3, v8
	ds_bpermute_b32 v8, v63, v3
	s_waitcnt lgkmcnt(0)
	v_max_f32_e32 v8, v8, v8
	v_max_f32_e32 v3, v3, v8
	v_lshlrev_b32_e32 v8, 2, v12
	ds_bpermute_b32 v12, v8, v3
	v_mov_b32_e32 v8, 0
	v_lshl_add_u32 v3, v0, 2, 0x1a0
	s_and_saveexec_b32 s5, s2
	s_cbranch_execz .LBB142_20
; %bb.17:
	v_lshl_add_u32 v13, v0, 2, 0x1a0
	v_mov_b32_e32 v8, 0
	v_mov_b32_e32 v14, v0
	s_mov_b32 s15, 0
	.p2align	6
.LBB142_18:                             ; =>This Inner Loop Header: Depth=1
	ds_read_b32 v9, v13
	v_add_nc_u32_e32 v14, 0x80, v14
	v_cmp_le_i32_e64 s3, s4, v14
	s_or_b32 s15, s3, s15
	s_waitcnt lgkmcnt(0)
	v_sub_f32_e32 v9, v9, v12
	v_mul_f32_e32 v9, 0x3fb8aa3b, v9
	v_exp_f32_e32 v9, v9
	ds_write_b32 v13, v9
	v_add_f32_e32 v8, v8, v9
	v_add_nc_u32_e32 v13, 0x200, v13
	s_andn2_b32 exec_lo, exec_lo, s15
	s_cbranch_execnz .LBB142_18
; %bb.19:
	s_or_b32 exec_lo, exec_lo, s15
.LBB142_20:
	s_or_b32 exec_lo, exec_lo, s5
	ds_bpermute_b32 v2, v2, v8
	s_waitcnt lgkmcnt(0)
	v_add_f32_e32 v2, v8, v2
	ds_bpermute_b32 v4, v4, v2
	s_waitcnt lgkmcnt(0)
	v_add_f32_e32 v2, v2, v4
	;; [unrolled: 3-line block ×5, first 2 shown]
	s_and_saveexec_b32 s3, vcc_lo
; %bb.21:
	ds_write_b32 v6, v2 offset:400
; %bb.22:
	s_or_b32 exec_lo, exec_lo, s3
	s_waitcnt lgkmcnt(0)
	s_barrier
	buffer_gl0_inv
	s_and_saveexec_b32 s3, s1
; %bb.23:
	ds_read_b32 v2, v7 offset:400
; %bb.24:
	s_or_b32 exec_lo, exec_lo, s3
	s_waitcnt lgkmcnt(0)
	ds_bpermute_b32 v1, v1, v2
	v_lshlrev_b32_e32 v4, 2, v11
	s_waitcnt lgkmcnt(0)
	v_add_f32_e32 v1, v2, v1
	ds_bpermute_b32 v2, v63, v1
	s_waitcnt lgkmcnt(0)
	v_add_f32_e32 v1, v1, v2
	v_and_b32_e32 v2, 0xffffff80, v4
	ds_bpermute_b32 v1, v2, v1
	s_and_saveexec_b32 s1, s2
	s_cbranch_execz .LBB142_27
; %bb.25:
	s_waitcnt lgkmcnt(0)
	v_add_f32_e32 v1, 0x358637bd, v1
	s_mov_b32 s2, 0
	v_div_scale_f32 v2, null, v1, v1, 1.0
	v_div_scale_f32 v6, vcc_lo, 1.0, v1, 1.0
	v_rcp_f32_e32 v4, v2
	v_fma_f32 v5, -v2, v4, 1.0
	v_fmac_f32_e32 v4, v5, v4
	v_mul_f32_e32 v5, v6, v4
	v_fma_f32 v7, -v2, v5, v6
	v_fmac_f32_e32 v5, v7, v4
	v_fma_f32 v2, -v2, v5, v6
	v_div_fmas_f32 v2, v2, v4, v5
	v_div_fixup_f32 v1, v2, v1, 1.0
	v_mov_b32_e32 v2, v0
.LBB142_26:                             ; =>This Inner Loop Header: Depth=1
	ds_read_b32 v4, v3
	v_add_nc_u32_e32 v2, 0x80, v2
	v_cmp_le_i32_e32 vcc_lo, s4, v2
	s_or_b32 s2, vcc_lo, s2
	s_waitcnt lgkmcnt(0)
	v_mul_f32_e32 v4, v1, v4
	ds_write_b32 v3, v4
	v_add_nc_u32_e32 v3, 0x200, v3
	s_andn2_b32 exec_lo, exec_lo, s2
	s_cbranch_execnz .LBB142_26
.LBB142_27:
	s_or_b32 exec_lo, exec_lo, s1
	v_mov_b32_e32 v74, 0
	v_mov_b32_e32 v75, 0
	v_mov_b32_e32 v73, 0
	v_mov_b32_e32 v72, 0
	v_mov_b32_e32 v71, 0
	v_mov_b32_e32 v70, 0
	v_mov_b32_e32 v69, 0
	v_mov_b32_e32 v68, 0
	v_mov_b32_e32 v67, 0
	v_mov_b32_e32 v66, 0
	v_mov_b32_e32 v65, 0
	v_mov_b32_e32 v64, 0
	s_waitcnt lgkmcnt(0)
	s_barrier
	buffer_gl0_inv
	s_and_saveexec_b32 s3, s0
	s_cbranch_execz .LBB142_55
; %bb.28:
	v_lshlrev_b32_e32 v1, 4, v0
	s_ashr_i32 s15, s14, 31
	v_lshlrev_b32_e32 v3, 5, v117
	s_lshl_b64 s[0:1], s[14:15], 1
	v_and_b32_e32 v2, 8, v10
	v_and_b32_e32 v1, 0x1f0, v1
	s_add_u32 s0, s22, s0
	s_addc_u32 s1, s23, s1
	s_add_i32 s4, s12, -1
	v_lshl_or_b32 v3, v119, 6, v3
	v_add_co_u32 v77, s0, s0, v1
	v_and_b32_e32 v1, 0x7c, v59
	v_add_co_ci_u32_e64 v78, null, s1, 0, s0
	s_lshl_b64 s[0:1], s[20:21], 2
	v_mov_b32_e32 v76, 0
	s_add_u32 s0, s18, s0
	s_addc_u32 s1, s19, s1
	v_add_co_u32 v57, s0, s0, v1
	v_lshl_or_b32 v79, v119, 4, v2
	v_add_nc_u32_e32 v80, 0x1a0, v3
	v_add_co_ci_u32_e64 v58, null, s1, 0, s0
	v_mov_b32_e32 v64, 0
	v_mov_b32_e32 v65, 0
	;; [unrolled: 1-line block ×13, first 2 shown]
	s_mov_b32 s5, s13
	s_mov_b32 s14, s11
	s_mov_b32 s13, 0
	s_branch .LBB142_30
.LBB142_29:                             ;   in Loop: Header=BB142_30 Depth=1
	s_or_b32 exec_lo, exec_lo, s2
	s_waitcnt lgkmcnt(1)
	v_bfe_u32 v59, v41, 16, 1
	v_bfe_u32 v60, v42, 16, 1
	v_or_b32_e32 v61, 0x400000, v41
	v_cmp_u_f32_e32 vcc_lo, v41, v41
	v_or_b32_e32 v82, 0x400000, v42
	v_add3_u32 v59, v59, v41, 0x7fff
	v_bfe_u32 v83, v43, 16, 1
	v_add3_u32 v60, v60, v42, 0x7fff
	v_bfe_u32 v84, v44, 16, 1
	v_add_nc_u32_e32 v81, 4, v81
	v_cndmask_b32_e32 v41, v59, v61, vcc_lo
	v_cmp_u_f32_e32 vcc_lo, v42, v42
	v_add3_u32 v59, v83, v43, 0x7fff
	s_waitcnt lgkmcnt(0)
	v_bfe_u32 v61, v33, 16, 1
	v_or_b32_e32 v83, 0x400000, v44
	v_and_b32_e32 v41, 0xffff0000, v41
	v_cndmask_b32_e32 v42, v60, v82, vcc_lo
	v_or_b32_e32 v60, 0x400000, v43
	v_cmp_u_f32_e32 vcc_lo, v43, v43
	v_add3_u32 v82, v84, v44, 0x7fff
	v_add_co_u32 v57, s0, v57, 16
	v_add_nc_u32_e32 v79, 64, v79
	v_cndmask_b32_e32 v43, v59, v60, vcc_lo
	v_cmp_u_f32_e32 vcc_lo, v44, v44
	v_add3_u32 v59, v61, v33, 0x7fff
	v_or_b32_e32 v60, 0x400000, v33
	v_bfe_u32 v61, v34, 16, 1
	v_add_nc_u32_e32 v80, 0x100, v80
	v_cndmask_b32_e32 v44, v82, v83, vcc_lo
	v_cmp_u_f32_e32 vcc_lo, v33, v33
	v_and_b32_e32 v33, 0xffff0000, v42
	s_waitcnt vmcnt(1)
	v_and_b32_e32 v42, 0xffff0000, v53
	v_add3_u32 v61, v61, v34, 0x7fff
	v_or_b32_e32 v82, 0x400000, v34
	v_cndmask_b32_e32 v59, v59, v60, vcc_lo
	v_bfe_u32 v60, v35, 16, 1
	v_cmp_u_f32_e32 vcc_lo, v34, v34
	v_or_b32_e32 v83, 0x400000, v35
	v_mul_f32_e32 v42, v33, v42
	v_lshlrev_b32_e32 v53, 16, v53
	v_add3_u32 v60, v60, v35, 0x7fff
	v_cndmask_b32_e32 v34, v61, v82, vcc_lo
	v_bfe_u32 v61, v36, 16, 1
	v_cmp_u_f32_e32 vcc_lo, v35, v35
	v_bfe_u32 v35, v42, 16, 1
	v_or_b32_e32 v82, 0x400000, v36
	v_or_b32_e32 v84, 0x400000, v42
	v_add3_u32 v61, v61, v36, 0x7fff
	v_cndmask_b32_e32 v60, v60, v83, vcc_lo
	v_cmp_u_f32_e32 vcc_lo, v36, v36
	v_add3_u32 v83, v35, v42, 0x7fff
	v_mul_f32_e32 v53, v41, v53
	v_and_b32_e32 v35, 0xffff0000, v44
	v_and_b32_e32 v44, 0xffff0000, v54
	v_cndmask_b32_e32 v36, v61, v82, vcc_lo
	v_cmp_u_f32_e32 vcc_lo, v42, v42
	v_bfe_u32 v82, v53, 16, 1
	v_and_b32_e32 v42, 0xffff0000, v43
	v_lshlrev_b32_e32 v43, 16, v54
	v_and_b32_e32 v34, 0xffff0000, v34
	v_cndmask_b32_e32 v61, v83, v84, vcc_lo
	v_mul_f32_e32 v83, v35, v44
	v_and_b32_e32 v44, 0xffff0000, v55
	v_add3_u32 v54, v82, v53, 0x7fff
	v_or_b32_e32 v82, 0x400000, v53
	v_mul_f32_e32 v43, v42, v43
	v_bfe_u32 v84, v83, 16, 1
	v_cmp_u_f32_e32 vcc_lo, v53, v53
	v_mul_f32_e32 v85, v34, v44
	v_and_b32_e32 v44, 0xffff0000, v59
	v_lshlrev_b32_e32 v55, 16, v55
	v_and_b32_e32 v36, 0xffff0000, v36
	v_cndmask_b32_e32 v53, v54, v82, vcc_lo
	v_add3_u32 v54, v84, v83, 0x7fff
	v_or_b32_e32 v82, 0x400000, v83
	v_bfe_u32 v84, v43, 16, 1
	v_cmp_u_f32_e32 vcc_lo, v83, v83
	v_bfe_u32 v86, v85, 16, 1
	v_mul_f32_e32 v55, v44, v55
	v_and_b32_e32 v53, 0xffff0000, v53
	v_add3_u32 v59, v84, v43, 0x7fff
	v_cndmask_b32_e32 v54, v54, v82, vcc_lo
	v_or_b32_e32 v82, 0x400000, v43
	v_cmp_u_f32_e32 vcc_lo, v43, v43
	v_add3_u32 v83, v86, v85, 0x7fff
	v_and_b32_e32 v84, 0xffff0000, v56
	v_or_b32_e32 v86, 0x400000, v85
	v_bfe_u32 v87, v55, 16, 1
	v_cndmask_b32_e32 v59, v59, v82, vcc_lo
	v_cmp_u_f32_e32 vcc_lo, v85, v85
	v_mul_f32_e32 v82, v36, v84
	v_or_b32_e32 v85, 0x400000, v55
	v_add3_u32 v84, v87, v55, 0x7fff
	v_and_b32_e32 v43, 0xffff0000, v60
	v_cndmask_b32_e32 v83, v83, v86, vcc_lo
	v_cmp_u_f32_e32 vcc_lo, v55, v55
	v_lshlrev_b32_e32 v56, 16, v56
	v_and_b32_e32 v61, 0xffff0000, v61
	v_and_b32_e32 v59, 0xffff0000, v59
	;; [unrolled: 1-line block ×3, first 2 shown]
	v_cndmask_b32_e32 v55, v84, v85, vcc_lo
	v_bfe_u32 v86, v82, 16, 1
	v_mul_f32_e32 v56, v43, v56
	v_add_f32_e32 v53, v53, v61
	v_add_f32_e32 v54, v59, v54
	v_and_b32_e32 v55, 0xffff0000, v55
	v_and_b32_e32 v59, 0xffff0000, v49
	;; [unrolled: 1-line block ×3, first 2 shown]
	v_add3_u32 v60, v86, v82, 0x7fff
	v_or_b32_e32 v84, 0x400000, v82
	v_cmp_u_f32_e32 vcc_lo, v82, v82
	v_bfe_u32 v82, v56, 16, 1
	v_add_f32_e32 v53, v54, v53
	v_mul_f32_e32 v54, v33, v59
	v_add_f32_e32 v55, v55, v61
	v_lshlrev_b32_e32 v49, 16, v49
	v_cndmask_b32_e32 v60, v60, v84, vcc_lo
	v_add3_u32 v82, v82, v56, 0x7fff
	v_or_b32_e32 v83, 0x400000, v56
	v_cmp_u_f32_e32 vcc_lo, v56, v56
	v_bfe_u32 v59, v54, 16, 1
	v_add_f32_e32 v53, v55, v53
	v_mul_f32_e32 v49, v41, v49
	v_and_b32_e32 v55, 0xffff0000, v50
	v_cndmask_b32_e32 v56, v82, v83, vcc_lo
	v_add3_u32 v59, v59, v54, 0x7fff
	v_or_b32_e32 v61, 0x400000, v54
	v_bfe_u32 v82, v49, 16, 1
	v_mul_f32_e32 v55, v35, v55
	v_lshlrev_b32_e32 v50, 16, v50
	v_cmp_u_f32_e32 vcc_lo, v54, v54
	v_and_b32_e32 v83, 0xffff0000, v51
	v_lshlrev_b32_e32 v51, 16, v51
	v_and_b32_e32 v84, 0xffff0000, v52
	v_mul_f32_e32 v50, v42, v50
	v_cndmask_b32_e32 v54, v59, v61, vcc_lo
	v_add3_u32 v59, v82, v49, 0x7fff
	v_or_b32_e32 v61, 0x400000, v49
	v_bfe_u32 v82, v55, 16, 1
	v_cmp_u_f32_e32 vcc_lo, v49, v49
	v_mul_f32_e32 v83, v34, v83
	v_mul_f32_e32 v51, v44, v51
	v_lshlrev_b32_e32 v52, 16, v52
	v_and_b32_e32 v54, 0xffff0000, v54
	v_cndmask_b32_e32 v49, v59, v61, vcc_lo
	v_add3_u32 v59, v82, v55, 0x7fff
	v_or_b32_e32 v61, 0x400000, v55
	v_bfe_u32 v82, v50, 16, 1
	v_cmp_u_f32_e32 vcc_lo, v55, v55
	v_mul_f32_e32 v52, v43, v52
	v_or_b32_e32 v85, 0x400000, v51
	v_and_b32_e32 v49, 0xffff0000, v49
	v_and_b32_e32 v56, 0xffff0000, v56
	v_cndmask_b32_e32 v55, v59, v61, vcc_lo
	v_add3_u32 v59, v82, v50, 0x7fff
	v_or_b32_e32 v61, 0x400000, v50
	v_bfe_u32 v82, v83, 16, 1
	v_cmp_u_f32_e32 vcc_lo, v50, v50
	v_bfe_u32 v87, v52, 16, 1
	v_and_b32_e32 v55, 0xffff0000, v55
	v_add_f32_e32 v49, v49, v54
	v_add_co_ci_u32_e64 v58, null, 0, v58, s0
	v_cndmask_b32_e32 v50, v59, v61, vcc_lo
	v_bfe_u32 v59, v51, 16, 1
	v_add3_u32 v61, v82, v83, 0x7fff
	v_mul_f32_e32 v82, v36, v84
	v_or_b32_e32 v84, 0x400000, v83
	v_cmp_u_f32_e32 vcc_lo, v83, v83
	v_add3_u32 v59, v59, v51, 0x7fff
	v_add3_u32 v83, v87, v52, 0x7fff
	v_bfe_u32 v86, v82, 16, 1
	v_and_b32_e32 v50, 0xffff0000, v50
	v_cndmask_b32_e32 v61, v61, v84, vcc_lo
	v_cmp_u_f32_e32 vcc_lo, v51, v51
	v_or_b32_e32 v84, 0x400000, v52
	v_add_f32_e32 v50, v50, v55
	v_and_b32_e32 v54, 0xffff0000, v61
	v_cndmask_b32_e32 v51, v59, v85, vcc_lo
	v_cmp_u_f32_e32 vcc_lo, v52, v52
	v_add3_u32 v59, v86, v82, 0x7fff
	v_or_b32_e32 v85, 0x400000, v82
	v_add_f32_e32 v49, v50, v49
	v_and_b32_e32 v51, 0xffff0000, v51
	v_cndmask_b32_e32 v52, v83, v84, vcc_lo
	v_cmp_u_f32_e32 vcc_lo, v82, v82
	v_add_f32_e32 v50, v51, v54
	v_and_b32_e32 v51, 0xffff0000, v52
	v_cndmask_b32_e32 v55, v59, v85, vcc_lo
	v_and_b32_e32 v59, 0xffff0000, v60
	v_and_b32_e32 v54, 0xffff0000, v45
	v_lshlrev_b32_e32 v45, 16, v45
	v_add_f32_e32 v49, v50, v49
	v_and_b32_e32 v52, 0xffff0000, v55
	v_add_f32_e32 v55, v56, v59
	v_mul_f32_e32 v45, v41, v45
	v_add_f32_e32 v50, v51, v52
	v_mul_f32_e32 v51, v33, v54
	v_add_f32_e32 v52, v55, v53
	v_and_b32_e32 v53, 0xffff0000, v46
	v_lshlrev_b32_e32 v46, 16, v46
	v_add_f32_e32 v49, v50, v49
	v_bfe_u32 v50, v51, 16, 1
	v_add_f32_e32 v65, v65, v52
	v_bfe_u32 v52, v45, 16, 1
	v_mul_f32_e32 v53, v35, v53
	v_add_f32_e32 v66, v66, v49
	v_add3_u32 v49, v50, v51, 0x7fff
	v_or_b32_e32 v50, 0x400000, v51
	v_cmp_u_f32_e32 vcc_lo, v51, v51
	v_add3_u32 v52, v52, v45, 0x7fff
	v_or_b32_e32 v54, 0x400000, v45
	v_mul_f32_e32 v46, v42, v46
	v_and_b32_e32 v51, 0xffff0000, v47
	v_cndmask_b32_e32 v49, v49, v50, vcc_lo
	v_bfe_u32 v50, v53, 16, 1
	v_cmp_u_f32_e32 vcc_lo, v45, v45
	v_lshlrev_b32_e32 v47, 16, v47
	v_mul_f32_e32 v51, v34, v51
	v_and_b32_e32 v55, 0xffff0000, v48
	v_add3_u32 v50, v50, v53, 0x7fff
	v_cndmask_b32_e32 v45, v52, v54, vcc_lo
	v_or_b32_e32 v52, 0x400000, v53
	v_bfe_u32 v54, v46, 16, 1
	v_cmp_u_f32_e32 vcc_lo, v53, v53
	v_mul_f32_e32 v47, v44, v47
	v_or_b32_e32 v53, 0x400000, v46
	v_lshlrev_b32_e32 v48, 16, v48
	v_and_b32_e32 v45, 0xffff0000, v45
	v_cndmask_b32_e32 v50, v50, v52, vcc_lo
	v_add3_u32 v52, v54, v46, 0x7fff
	v_bfe_u32 v54, v51, 16, 1
	v_cmp_u_f32_e32 vcc_lo, v46, v46
	v_bfe_u32 v56, v47, 16, 1
	v_mul_f32_e32 v48, v43, v48
	v_and_b32_e32 v49, 0xffff0000, v49
	v_and_b32_e32 v50, 0xffff0000, v50
	v_cndmask_b32_e32 v46, v52, v53, vcc_lo
	v_add3_u32 v52, v54, v51, 0x7fff
	v_mul_f32_e32 v53, v36, v55
	v_or_b32_e32 v54, 0x400000, v51
	v_cmp_u_f32_e32 vcc_lo, v51, v51
	v_add3_u32 v55, v56, v47, 0x7fff
	v_or_b32_e32 v56, 0x400000, v47
	v_bfe_u32 v59, v53, 16, 1
	v_and_b32_e32 v46, 0xffff0000, v46
	v_cndmask_b32_e32 v51, v52, v54, vcc_lo
	v_cmp_u_f32_e32 vcc_lo, v47, v47
	v_or_b32_e32 v54, 0x400000, v53
	v_add3_u32 v52, v59, v53, 0x7fff
	v_add_f32_e32 v45, v45, v49
	v_add_f32_e32 v46, v46, v50
	v_cndmask_b32_e32 v47, v55, v56, vcc_lo
	v_bfe_u32 v55, v48, 16, 1
	v_cmp_u_f32_e32 vcc_lo, v53, v53
	v_and_b32_e32 v49, 0xffff0000, v37
	v_and_b32_e32 v50, 0xffff0000, v51
	;; [unrolled: 1-line block ×3, first 2 shown]
	v_add3_u32 v53, v55, v48, 0x7fff
	v_cndmask_b32_e32 v52, v52, v54, vcc_lo
	v_or_b32_e32 v54, 0x400000, v48
	v_cmp_u_f32_e32 vcc_lo, v48, v48
	v_add_f32_e32 v45, v46, v45
	v_mul_f32_e32 v46, v33, v49
	v_add_f32_e32 v47, v47, v50
	v_lshlrev_b32_e32 v37, 16, v37
	v_cndmask_b32_e32 v48, v53, v54, vcc_lo
	v_and_b32_e32 v49, 0xffff0000, v52
	v_bfe_u32 v50, v46, 16, 1
	v_add_f32_e32 v45, v47, v45
	v_mul_f32_e32 v37, v41, v37
	v_and_b32_e32 v48, 0xffff0000, v48
	v_and_b32_e32 v47, 0xffff0000, v38
	v_lshlrev_b32_e32 v38, 16, v38
	v_cmp_u_f32_e32 vcc_lo, v46, v46
	v_bfe_u32 v51, v37, 16, 1
	v_add_f32_e32 v48, v48, v49
	v_add3_u32 v49, v50, v46, 0x7fff
	v_or_b32_e32 v50, 0x400000, v46
	v_mul_f32_e32 v47, v35, v47
	v_mul_f32_e32 v38, v42, v38
	v_and_b32_e32 v52, 0xffff0000, v39
	v_lshlrev_b32_e32 v39, 16, v39
	v_cndmask_b32_e32 v46, v49, v50, vcc_lo
	v_add3_u32 v49, v51, v37, 0x7fff
	v_or_b32_e32 v50, 0x400000, v37
	v_bfe_u32 v51, v47, 16, 1
	v_cmp_u_f32_e32 vcc_lo, v37, v37
	v_mul_f32_e32 v52, v34, v52
	v_mul_f32_e32 v39, v44, v39
	v_and_b32_e32 v53, 0xffff0000, v40
	v_lshlrev_b32_e32 v40, 16, v40
	v_cndmask_b32_e32 v37, v49, v50, vcc_lo
	v_add3_u32 v49, v51, v47, 0x7fff
	v_or_b32_e32 v50, 0x400000, v47
	v_bfe_u32 v51, v38, 16, 1
	v_cmp_u_f32_e32 vcc_lo, v47, v47
	v_mul_f32_e32 v40, v43, v40
	v_or_b32_e32 v54, 0x400000, v39
	v_and_b32_e32 v37, 0xffff0000, v37
	v_and_b32_e32 v46, 0xffff0000, v46
	v_cndmask_b32_e32 v47, v49, v50, vcc_lo
	v_add3_u32 v49, v51, v38, 0x7fff
	v_or_b32_e32 v50, 0x400000, v38
	v_bfe_u32 v51, v52, 16, 1
	v_cmp_u_f32_e32 vcc_lo, v38, v38
	v_and_b32_e32 v47, 0xffff0000, v47
	v_add_f32_e32 v37, v37, v46
	v_add_f32_e32 v45, v48, v45
	v_cndmask_b32_e32 v38, v49, v50, vcc_lo
	v_bfe_u32 v49, v39, 16, 1
	v_add3_u32 v50, v51, v52, 0x7fff
	v_mul_f32_e32 v51, v36, v53
	v_or_b32_e32 v53, 0x400000, v52
	v_cmp_u_f32_e32 vcc_lo, v52, v52
	v_add3_u32 v49, v49, v39, 0x7fff
	v_bfe_u32 v52, v40, 16, 1
	v_bfe_u32 v55, v51, 16, 1
	v_and_b32_e32 v38, 0xffff0000, v38
	v_cndmask_b32_e32 v50, v50, v53, vcc_lo
	v_cmp_u_f32_e32 vcc_lo, v39, v39
	v_add3_u32 v52, v52, v40, 0x7fff
	v_or_b32_e32 v53, 0x400000, v51
	v_add_f32_e32 v38, v38, v47
	v_and_b32_e32 v46, 0xffff0000, v50
	v_cndmask_b32_e32 v39, v49, v54, vcc_lo
	v_or_b32_e32 v54, 0x400000, v40
	v_cmp_u_f32_e32 vcc_lo, v40, v40
	v_add3_u32 v49, v55, v51, 0x7fff
	v_add_f32_e32 v37, v38, v37
	v_and_b32_e32 v39, 0xffff0000, v39
	v_add_f32_e32 v67, v67, v45
	v_cndmask_b32_e32 v40, v52, v54, vcc_lo
	v_cmp_u_f32_e32 vcc_lo, v51, v51
	v_add_f32_e32 v38, v39, v46
	v_and_b32_e32 v39, 0xffff0000, v29
	v_and_b32_e32 v40, 0xffff0000, v40
	v_cndmask_b32_e32 v47, v49, v53, vcc_lo
	v_lshlrev_b32_e32 v29, 16, v29
	v_add_f32_e32 v37, v38, v37
	v_mul_f32_e32 v39, v33, v39
	v_and_b32_e32 v46, 0xffff0000, v47
	v_mul_f32_e32 v29, v41, v29
	v_cmp_u_f32_e32 vcc_lo, v39, v39
	v_add_f32_e32 v38, v40, v46
	v_and_b32_e32 v40, 0xffff0000, v30
	v_bfe_u32 v46, v39, 16, 1
	v_bfe_u32 v45, v29, 16, 1
	v_or_b32_e32 v47, 0x400000, v29
	v_add_f32_e32 v37, v38, v37
	v_mul_f32_e32 v38, v35, v40
	v_add3_u32 v40, v46, v39, 0x7fff
	v_or_b32_e32 v46, 0x400000, v39
	v_add3_u32 v45, v45, v29, 0x7fff
	v_lshlrev_b32_e32 v30, 16, v30
	v_bfe_u32 v48, v38, 16, 1
	v_add_f32_e32 v68, v68, v37
	v_cndmask_b32_e32 v39, v40, v46, vcc_lo
	v_cmp_u_f32_e32 vcc_lo, v29, v29
	v_mul_f32_e32 v30, v42, v30
	v_add3_u32 v40, v48, v38, 0x7fff
	v_and_b32_e32 v46, 0xffff0000, v31
	v_lshlrev_b32_e32 v31, 16, v31
	v_cndmask_b32_e32 v29, v45, v47, vcc_lo
	v_or_b32_e32 v45, 0x400000, v38
	v_cmp_u_f32_e32 vcc_lo, v38, v38
	v_bfe_u32 v47, v30, 16, 1
	v_mul_f32_e32 v31, v44, v31
	v_and_b32_e32 v29, 0xffff0000, v29
	v_and_b32_e32 v39, 0xffff0000, v39
	v_cndmask_b32_e32 v38, v40, v45, vcc_lo
	v_mul_f32_e32 v40, v34, v46
	v_add3_u32 v45, v47, v30, 0x7fff
	v_or_b32_e32 v46, 0x400000, v30
	v_and_b32_e32 v47, 0xffff0000, v32
	v_cmp_u_f32_e32 vcc_lo, v30, v30
	v_bfe_u32 v48, v40, 16, 1
	v_bfe_u32 v49, v31, 16, 1
	v_lshlrev_b32_e32 v32, 16, v32
	v_and_b32_e32 v38, 0xffff0000, v38
	v_cndmask_b32_e32 v30, v45, v46, vcc_lo
	v_mul_f32_e32 v45, v36, v47
	v_add3_u32 v46, v48, v40, 0x7fff
	v_or_b32_e32 v47, 0x400000, v40
	v_cmp_u_f32_e32 vcc_lo, v40, v40
	v_add3_u32 v48, v49, v31, 0x7fff
	v_or_b32_e32 v49, 0x400000, v31
	v_bfe_u32 v50, v45, 16, 1
	v_and_b32_e32 v30, 0xffff0000, v30
	v_cndmask_b32_e32 v40, v46, v47, vcc_lo
	v_cmp_u_f32_e32 vcc_lo, v31, v31
	v_or_b32_e32 v47, 0x400000, v45
	v_add3_u32 v46, v50, v45, 0x7fff
	v_mul_f32_e32 v32, v43, v32
	v_add_f32_e32 v29, v29, v39
	v_cndmask_b32_e32 v31, v48, v49, vcc_lo
	v_cmp_u_f32_e32 vcc_lo, v45, v45
	v_add_f32_e32 v30, v30, v38
	v_and_b32_e32 v38, 0xffff0000, v25
	v_and_b32_e32 v39, 0xffff0000, v40
	v_and_b32_e32 v31, 0xffff0000, v31
	v_cndmask_b32_e32 v45, v46, v47, vcc_lo
	v_bfe_u32 v46, v32, 16, 1
	v_add_f32_e32 v29, v30, v29
	v_mul_f32_e32 v30, v33, v38
	v_add_f32_e32 v31, v31, v39
	v_lshlrev_b32_e32 v25, 16, v25
	v_add3_u32 v40, v46, v32, 0x7fff
	v_or_b32_e32 v46, 0x400000, v32
	v_cmp_u_f32_e32 vcc_lo, v32, v32
	v_bfe_u32 v38, v30, 16, 1
	v_add_f32_e32 v29, v31, v29
	v_mul_f32_e32 v25, v41, v25
	v_and_b32_e32 v31, 0xffff0000, v26
	v_cndmask_b32_e32 v32, v40, v46, vcc_lo
	v_add3_u32 v38, v38, v30, 0x7fff
	v_or_b32_e32 v39, 0x400000, v30
	v_bfe_u32 v40, v25, 16, 1
	v_mul_f32_e32 v31, v35, v31
	v_lshlrev_b32_e32 v26, 16, v26
	v_cmp_u_f32_e32 vcc_lo, v30, v30
	v_and_b32_e32 v46, 0xffff0000, v27
	v_lshlrev_b32_e32 v27, 16, v27
	v_and_b32_e32 v47, 0xffff0000, v28
	v_mul_f32_e32 v26, v42, v26
	v_cndmask_b32_e32 v30, v38, v39, vcc_lo
	v_add3_u32 v38, v40, v25, 0x7fff
	v_or_b32_e32 v39, 0x400000, v25
	v_bfe_u32 v40, v31, 16, 1
	v_cmp_u_f32_e32 vcc_lo, v25, v25
	v_mul_f32_e32 v46, v34, v46
	v_mul_f32_e32 v27, v44, v27
	v_lshlrev_b32_e32 v28, 16, v28
	v_and_b32_e32 v30, 0xffff0000, v30
	v_cndmask_b32_e32 v25, v38, v39, vcc_lo
	v_add3_u32 v38, v40, v31, 0x7fff
	v_or_b32_e32 v39, 0x400000, v31
	v_bfe_u32 v40, v26, 16, 1
	v_cmp_u_f32_e32 vcc_lo, v31, v31
	v_mul_f32_e32 v28, v43, v28
	v_or_b32_e32 v48, 0x400000, v27
	v_and_b32_e32 v25, 0xffff0000, v25
	v_and_b32_e32 v32, 0xffff0000, v32
	v_cndmask_b32_e32 v31, v38, v39, vcc_lo
	v_add3_u32 v38, v40, v26, 0x7fff
	v_or_b32_e32 v39, 0x400000, v26
	v_bfe_u32 v40, v46, 16, 1
	v_cmp_u_f32_e32 vcc_lo, v26, v26
	v_bfe_u32 v50, v28, 16, 1
	v_and_b32_e32 v31, 0xffff0000, v31
	v_add_f32_e32 v25, v25, v30
	v_cndmask_b32_e32 v26, v38, v39, vcc_lo
	v_bfe_u32 v38, v27, 16, 1
	v_add3_u32 v39, v40, v46, 0x7fff
	v_mul_f32_e32 v40, v36, v47
	v_or_b32_e32 v47, 0x400000, v46
	v_cmp_u_f32_e32 vcc_lo, v46, v46
	v_add3_u32 v38, v38, v27, 0x7fff
	v_add3_u32 v46, v50, v28, 0x7fff
	v_bfe_u32 v49, v40, 16, 1
	v_and_b32_e32 v26, 0xffff0000, v26
	v_cndmask_b32_e32 v39, v39, v47, vcc_lo
	v_cmp_u_f32_e32 vcc_lo, v27, v27
	v_or_b32_e32 v47, 0x400000, v28
	v_add_f32_e32 v26, v26, v31
	v_and_b32_e32 v30, 0xffff0000, v39
	v_cndmask_b32_e32 v27, v38, v48, vcc_lo
	v_cmp_u_f32_e32 vcc_lo, v28, v28
	v_add3_u32 v38, v49, v40, 0x7fff
	v_or_b32_e32 v48, 0x400000, v40
	v_add_f32_e32 v25, v26, v25
	v_and_b32_e32 v27, 0xffff0000, v27
	v_cndmask_b32_e32 v28, v46, v47, vcc_lo
	v_cmp_u_f32_e32 vcc_lo, v40, v40
	v_add_f32_e32 v26, v27, v30
	v_and_b32_e32 v27, 0xffff0000, v28
	v_cndmask_b32_e32 v31, v38, v48, vcc_lo
	v_and_b32_e32 v38, 0xffff0000, v45
	v_and_b32_e32 v30, 0xffff0000, v21
	v_lshlrev_b32_e32 v21, 16, v21
	v_add_f32_e32 v25, v26, v25
	v_and_b32_e32 v28, 0xffff0000, v31
	v_add_f32_e32 v31, v32, v38
	v_mul_f32_e32 v21, v41, v21
	v_add_f32_e32 v26, v27, v28
	v_mul_f32_e32 v27, v33, v30
	v_add_f32_e32 v28, v31, v29
	v_and_b32_e32 v29, 0xffff0000, v22
	v_lshlrev_b32_e32 v22, 16, v22
	v_add_f32_e32 v25, v26, v25
	v_bfe_u32 v26, v27, 16, 1
	v_add_f32_e32 v69, v69, v28
	v_bfe_u32 v28, v21, 16, 1
	v_mul_f32_e32 v29, v35, v29
	v_add_f32_e32 v70, v70, v25
	v_add3_u32 v25, v26, v27, 0x7fff
	v_or_b32_e32 v26, 0x400000, v27
	v_cmp_u_f32_e32 vcc_lo, v27, v27
	v_add3_u32 v28, v28, v21, 0x7fff
	v_or_b32_e32 v30, 0x400000, v21
	v_mul_f32_e32 v22, v42, v22
	v_and_b32_e32 v27, 0xffff0000, v23
	v_cndmask_b32_e32 v25, v25, v26, vcc_lo
	v_bfe_u32 v26, v29, 16, 1
	v_cmp_u_f32_e32 vcc_lo, v21, v21
	v_lshlrev_b32_e32 v23, 16, v23
	v_mul_f32_e32 v27, v34, v27
	v_and_b32_e32 v31, 0xffff0000, v24
	v_add3_u32 v26, v26, v29, 0x7fff
	v_cndmask_b32_e32 v21, v28, v30, vcc_lo
	v_or_b32_e32 v28, 0x400000, v29
	v_bfe_u32 v30, v22, 16, 1
	v_cmp_u_f32_e32 vcc_lo, v29, v29
	v_mul_f32_e32 v23, v44, v23
	v_or_b32_e32 v29, 0x400000, v22
	v_lshlrev_b32_e32 v24, 16, v24
	v_and_b32_e32 v21, 0xffff0000, v21
	v_cndmask_b32_e32 v26, v26, v28, vcc_lo
	v_add3_u32 v28, v30, v22, 0x7fff
	v_bfe_u32 v30, v27, 16, 1
	v_cmp_u_f32_e32 vcc_lo, v22, v22
	v_bfe_u32 v32, v23, 16, 1
	v_mul_f32_e32 v24, v43, v24
	v_and_b32_e32 v25, 0xffff0000, v25
	v_and_b32_e32 v26, 0xffff0000, v26
	v_cndmask_b32_e32 v22, v28, v29, vcc_lo
	v_add3_u32 v28, v30, v27, 0x7fff
	v_mul_f32_e32 v29, v36, v31
	v_or_b32_e32 v30, 0x400000, v27
	v_cmp_u_f32_e32 vcc_lo, v27, v27
	v_add3_u32 v31, v32, v23, 0x7fff
	v_or_b32_e32 v32, 0x400000, v23
	v_bfe_u32 v37, v29, 16, 1
	v_and_b32_e32 v22, 0xffff0000, v22
	v_cndmask_b32_e32 v27, v28, v30, vcc_lo
	v_cmp_u_f32_e32 vcc_lo, v23, v23
	v_or_b32_e32 v30, 0x400000, v29
	v_add3_u32 v28, v37, v29, 0x7fff
	v_add_f32_e32 v21, v21, v25
	v_add_f32_e32 v22, v22, v26
	v_cndmask_b32_e32 v23, v31, v32, vcc_lo
	v_bfe_u32 v31, v24, 16, 1
	v_cmp_u_f32_e32 vcc_lo, v29, v29
	v_and_b32_e32 v26, 0xffff0000, v13
	v_and_b32_e32 v25, 0xffff0000, v27
	;; [unrolled: 1-line block ×3, first 2 shown]
	v_add3_u32 v29, v31, v24, 0x7fff
	v_cndmask_b32_e32 v28, v28, v30, vcc_lo
	v_or_b32_e32 v30, 0x400000, v24
	v_cmp_u_f32_e32 vcc_lo, v24, v24
	v_lshlrev_b32_e32 v13, 16, v13
	v_add_f32_e32 v21, v22, v21
	v_mul_f32_e32 v22, v33, v26
	v_add_f32_e32 v23, v23, v25
	v_cndmask_b32_e32 v24, v29, v30, vcc_lo
	v_mul_f32_e32 v13, v41, v13
	v_and_b32_e32 v25, 0xffff0000, v28
	v_bfe_u32 v26, v22, 16, 1
	v_add_f32_e32 v21, v23, v21
	v_and_b32_e32 v24, 0xffff0000, v24
	v_bfe_u32 v23, v13, 16, 1
	v_and_b32_e32 v27, 0xffff0000, v14
	v_cmp_u_f32_e32 vcc_lo, v22, v22
	v_or_b32_e32 v28, 0x400000, v13
	v_add_f32_e32 v24, v24, v25
	v_add3_u32 v25, v26, v22, 0x7fff
	v_or_b32_e32 v26, 0x400000, v22
	v_add3_u32 v23, v23, v13, 0x7fff
	v_mul_f32_e32 v27, v35, v27
	v_lshlrev_b32_e32 v14, 16, v14
	v_and_b32_e32 v29, 0xffff0000, v16
	v_cndmask_b32_e32 v22, v25, v26, vcc_lo
	v_cmp_u_f32_e32 vcc_lo, v13, v13
	v_bfe_u32 v25, v27, 16, 1
	v_mul_f32_e32 v14, v42, v14
	v_or_b32_e32 v26, 0x400000, v27
	v_lshlrev_b32_e32 v16, 16, v16
	v_cndmask_b32_e32 v13, v23, v28, vcc_lo
	v_and_b32_e32 v23, 0xffff0000, v15
	v_add3_u32 v25, v25, v27, 0x7fff
	v_lshlrev_b32_e32 v15, 16, v15
	v_bfe_u32 v28, v14, 16, 1
	v_cmp_u_f32_e32 vcc_lo, v27, v27
	v_mul_f32_e32 v23, v34, v23
	v_or_b32_e32 v27, 0x400000, v14
	v_mul_f32_e32 v15, v44, v15
	v_mul_f32_e32 v16, v43, v16
	v_cndmask_b32_e32 v25, v25, v26, vcc_lo
	v_add3_u32 v26, v28, v14, 0x7fff
	v_bfe_u32 v28, v23, 16, 1
	v_cmp_u_f32_e32 vcc_lo, v14, v14
	v_bfe_u32 v30, v15, 16, 1
	v_and_b32_e32 v13, 0xffff0000, v13
	v_and_b32_e32 v22, 0xffff0000, v22
	v_and_b32_e32 v25, 0xffff0000, v25
	v_cndmask_b32_e32 v14, v26, v27, vcc_lo
	v_add3_u32 v26, v28, v23, 0x7fff
	v_mul_f32_e32 v27, v36, v29
	v_or_b32_e32 v28, 0x400000, v23
	v_cmp_u_f32_e32 vcc_lo, v23, v23
	v_add3_u32 v29, v30, v15, 0x7fff
	v_or_b32_e32 v30, 0x400000, v15
	v_bfe_u32 v31, v27, 16, 1
	v_and_b32_e32 v14, 0xffff0000, v14
	v_cndmask_b32_e32 v23, v26, v28, vcc_lo
	v_cmp_u_f32_e32 vcc_lo, v15, v15
	v_or_b32_e32 v28, 0x400000, v27
	v_add3_u32 v26, v31, v27, 0x7fff
	v_add_f32_e32 v13, v13, v22
	v_add_f32_e32 v14, v14, v25
	v_cndmask_b32_e32 v15, v29, v30, vcc_lo
	v_bfe_u32 v29, v16, 16, 1
	v_cmp_u_f32_e32 vcc_lo, v27, v27
	v_and_b32_e32 v22, 0xffff0000, v23
	v_add_f32_e32 v13, v14, v13
	v_and_b32_e32 v15, 0xffff0000, v15
	v_add3_u32 v27, v29, v16, 0x7fff
	v_cndmask_b32_e32 v26, v26, v28, vcc_lo
	v_or_b32_e32 v28, 0x400000, v16
	v_cmp_u_f32_e32 vcc_lo, v16, v16
	v_and_b32_e32 v14, 0xffff0000, v9
	v_add_f32_e32 v15, v15, v22
	v_lshlrev_b32_e32 v9, 16, v9
	v_and_b32_e32 v22, 0xffff0000, v26
	v_cndmask_b32_e32 v16, v27, v28, vcc_lo
	v_mul_f32_e32 v14, v33, v14
	v_add_f32_e32 v21, v24, v21
	v_mul_f32_e32 v23, v41, v9
	v_add_f32_e32 v9, v15, v13
	v_and_b32_e32 v16, 0xffff0000, v16
	v_bfe_u32 v15, v14, 16, 1
	v_add_f32_e32 v71, v71, v21
	v_and_b32_e32 v21, 0xffff0000, v10
	v_cmp_u_f32_e32 vcc_lo, v14, v14
	v_add_f32_e32 v13, v16, v22
	v_bfe_u32 v16, v23, 16, 1
	v_or_b32_e32 v22, 0x400000, v23
	v_mul_f32_e32 v21, v35, v21
	v_lshlrev_b32_e32 v10, 16, v10
	v_add_f32_e32 v9, v13, v9
	v_add3_u32 v13, v15, v14, 0x7fff
	v_or_b32_e32 v15, 0x400000, v14
	v_add3_u32 v16, v16, v23, 0x7fff
	v_bfe_u32 v14, v21, 16, 1
	v_mul_f32_e32 v10, v42, v10
	v_and_b32_e32 v24, 0xffff0000, v12
	v_cndmask_b32_e32 v13, v13, v15, vcc_lo
	v_cmp_u_f32_e32 vcc_lo, v23, v23
	v_add3_u32 v14, v14, v21, 0x7fff
	v_bfe_u32 v23, v10, 16, 1
	v_lshlrev_b32_e32 v12, 16, v12
	v_and_b32_e32 v13, 0xffff0000, v13
	v_cndmask_b32_e32 v15, v16, v22, vcc_lo
	v_and_b32_e32 v16, 0xffff0000, v11
	v_or_b32_e32 v22, 0x400000, v21
	v_lshlrev_b32_e32 v11, 16, v11
	v_cmp_u_f32_e32 vcc_lo, v21, v21
	v_add3_u32 v21, v23, v10, 0x7fff
	v_mul_f32_e32 v16, v34, v16
	v_mul_f32_e32 v12, v43, v12
	;; [unrolled: 1-line block ×3, first 2 shown]
	v_cndmask_b32_e32 v14, v14, v22, vcc_lo
	v_or_b32_e32 v22, 0x400000, v10
	v_bfe_u32 v23, v16, 16, 1
	v_cmp_u_f32_e32 vcc_lo, v10, v10
	v_bfe_u32 v25, v11, 16, 1
	v_and_b32_e32 v15, 0xffff0000, v15
	v_and_b32_e32 v14, 0xffff0000, v14
	v_add_f32_e32 v72, v72, v9
	v_cndmask_b32_e32 v10, v21, v22, vcc_lo
	v_add3_u32 v21, v23, v16, 0x7fff
	v_mul_f32_e32 v22, v36, v24
	v_or_b32_e32 v23, 0x400000, v16
	v_cmp_u_f32_e32 vcc_lo, v16, v16
	v_add3_u32 v24, v25, v11, 0x7fff
	v_or_b32_e32 v25, 0x400000, v11
	v_bfe_u32 v26, v22, 16, 1
	v_and_b32_e32 v10, 0xffff0000, v10
	v_cndmask_b32_e32 v16, v21, v23, vcc_lo
	v_cmp_u_f32_e32 vcc_lo, v11, v11
	v_or_b32_e32 v23, 0x400000, v22
	v_add3_u32 v21, v26, v22, 0x7fff
	v_add_f32_e32 v13, v15, v13
	v_add_f32_e32 v10, v10, v14
	v_cndmask_b32_e32 v11, v24, v25, vcc_lo
	v_bfe_u32 v24, v12, 16, 1
	v_cmp_u_f32_e32 vcc_lo, v22, v22
	v_and_b32_e32 v15, 0xffff0000, v5
	v_and_b32_e32 v14, 0xffff0000, v16
	;; [unrolled: 1-line block ×3, first 2 shown]
	v_add3_u32 v22, v24, v12, 0x7fff
	v_cndmask_b32_e32 v21, v21, v23, vcc_lo
	v_or_b32_e32 v23, 0x400000, v12
	v_cmp_u_f32_e32 vcc_lo, v12, v12
	v_lshlrev_b32_e32 v5, 16, v5
	v_add_f32_e32 v10, v10, v13
	v_mul_f32_e32 v13, v33, v15
	v_add_f32_e32 v11, v11, v14
	v_cndmask_b32_e32 v12, v22, v23, vcc_lo
	v_mul_f32_e32 v14, v41, v5
	v_and_b32_e32 v15, 0xffff0000, v21
	v_and_b32_e32 v16, 0xffff0000, v6
	v_bfe_u32 v21, v13, 16, 1
	v_and_b32_e32 v12, 0xffff0000, v12
	v_add_f32_e32 v5, v11, v10
	v_bfe_u32 v11, v14, 16, 1
	v_cmp_u_f32_e32 vcc_lo, v13, v13
	v_lshlrev_b32_e32 v6, 16, v6
	v_add_f32_e32 v10, v12, v15
	v_mul_f32_e32 v12, v35, v16
	v_add3_u32 v15, v21, v13, 0x7fff
	v_or_b32_e32 v16, 0x400000, v13
	v_add3_u32 v11, v11, v14, 0x7fff
	v_or_b32_e32 v21, 0x400000, v14
	v_bfe_u32 v22, v12, 16, 1
	v_mul_f32_e32 v6, v42, v6
	v_cndmask_b32_e32 v13, v15, v16, vcc_lo
	v_cmp_u_f32_e32 vcc_lo, v14, v14
	v_or_b32_e32 v15, 0x400000, v12
	v_add3_u32 v14, v22, v12, 0x7fff
	v_and_b32_e32 v16, 0xffff0000, v7
	v_lshlrev_b32_e32 v7, 16, v7
	v_cndmask_b32_e32 v11, v11, v21, vcc_lo
	v_cmp_u_f32_e32 vcc_lo, v12, v12
	v_bfe_u32 v21, v6, 16, 1
	v_and_b32_e32 v13, 0xffff0000, v13
	v_mul_f32_e32 v7, v44, v7
	v_and_b32_e32 v11, 0xffff0000, v11
	v_cndmask_b32_e32 v12, v14, v15, vcc_lo
	v_mul_f32_e32 v14, v34, v16
	v_add3_u32 v15, v21, v6, 0x7fff
	v_or_b32_e32 v16, 0x400000, v6
	v_and_b32_e32 v21, 0xffff0000, v8
	v_cmp_u_f32_e32 vcc_lo, v6, v6
	v_bfe_u32 v22, v14, 16, 1
	v_bfe_u32 v23, v7, 16, 1
	v_lshlrev_b32_e32 v8, 16, v8
	v_and_b32_e32 v12, 0xffff0000, v12
	v_cndmask_b32_e32 v6, v15, v16, vcc_lo
	v_mul_f32_e32 v15, v36, v21
	v_add3_u32 v16, v22, v14, 0x7fff
	v_or_b32_e32 v21, 0x400000, v14
	v_cmp_u_f32_e32 vcc_lo, v14, v14
	v_add3_u32 v22, v23, v7, 0x7fff
	v_or_b32_e32 v23, 0x400000, v7
	v_bfe_u32 v24, v15, 16, 1
	v_and_b32_e32 v6, 0xffff0000, v6
	v_cndmask_b32_e32 v14, v16, v21, vcc_lo
	v_cmp_u_f32_e32 vcc_lo, v7, v7
	v_or_b32_e32 v21, 0x400000, v15
	v_add3_u32 v16, v24, v15, 0x7fff
	v_mul_f32_e32 v8, v43, v8
	v_add_f32_e32 v11, v11, v13
	v_cndmask_b32_e32 v7, v22, v23, vcc_lo
	v_cmp_u_f32_e32 vcc_lo, v15, v15
	v_add_f32_e32 v6, v6, v12
	v_and_b32_e32 v12, 0xffff0000, v1
	v_and_b32_e32 v13, 0xffff0000, v14
	;; [unrolled: 1-line block ×3, first 2 shown]
	v_cndmask_b32_e32 v15, v16, v21, vcc_lo
	v_bfe_u32 v16, v8, 16, 1
	v_add_f32_e32 v6, v6, v11
	v_mul_f32_e32 v11, v33, v12
	v_add_f32_e32 v7, v7, v13
	v_lshlrev_b32_e32 v1, 16, v1
	v_add3_u32 v14, v16, v8, 0x7fff
	v_or_b32_e32 v16, 0x400000, v8
	v_cmp_u_f32_e32 vcc_lo, v8, v8
	v_bfe_u32 v12, v11, 16, 1
	v_add_f32_e32 v6, v7, v6
	v_and_b32_e32 v7, 0xffff0000, v2
	v_mul_f32_e32 v1, v41, v1
	v_cndmask_b32_e32 v8, v14, v16, vcc_lo
	v_add3_u32 v12, v12, v11, 0x7fff
	v_or_b32_e32 v13, 0x400000, v11
	v_mul_f32_e32 v7, v35, v7
	v_and_b32_e32 v14, 0xffff0000, v15
	v_bfe_u32 v15, v1, 16, 1
	v_cmp_u_f32_e32 vcc_lo, v11, v11
	v_lshlrev_b32_e32 v2, 16, v2
	v_or_b32_e32 v16, 0x400000, v1
	v_or_b32_e32 v21, 0x400000, v7
	v_and_b32_e32 v8, 0xffff0000, v8
	v_cndmask_b32_e32 v11, v12, v13, vcc_lo
	v_bfe_u32 v12, v7, 16, 1
	v_add3_u32 v13, v15, v1, 0x7fff
	v_and_b32_e32 v15, 0xffff0000, v3
	v_mul_f32_e32 v2, v42, v2
	v_cmp_u_f32_e32 vcc_lo, v1, v1
	v_add3_u32 v12, v12, v7, 0x7fff
	v_lshlrev_b32_e32 v3, 16, v3
	v_mul_f32_e32 v15, v34, v15
	v_and_b32_e32 v11, 0xffff0000, v11
	v_cndmask_b32_e32 v1, v13, v16, vcc_lo
	v_bfe_u32 v13, v2, 16, 1
	v_cmp_u_f32_e32 vcc_lo, v7, v7
	v_and_b32_e32 v16, 0xffff0000, v4
	v_mul_f32_e32 v3, v44, v3
	v_or_b32_e32 v22, 0x400000, v15
	v_add3_u32 v13, v13, v2, 0x7fff
	v_cndmask_b32_e32 v7, v12, v21, vcc_lo
	v_bfe_u32 v12, v15, 16, 1
	v_or_b32_e32 v21, 0x400000, v2
	v_cmp_u_f32_e32 vcc_lo, v2, v2
	v_mul_f32_e32 v16, v36, v16
	v_lshlrev_b32_e32 v4, 16, v4
	v_add3_u32 v12, v12, v15, 0x7fff
	v_and_b32_e32 v1, 0xffff0000, v1
	v_cndmask_b32_e32 v2, v13, v21, vcc_lo
	v_bfe_u32 v13, v3, 16, 1
	v_cmp_u_f32_e32 vcc_lo, v15, v15
	v_bfe_u32 v21, v16, 16, 1
	v_or_b32_e32 v15, 0x400000, v3
	v_mul_f32_e32 v4, v43, v4
	v_add3_u32 v13, v13, v3, 0x7fff
	v_cndmask_b32_e32 v12, v12, v22, vcc_lo
	v_cmp_u_f32_e32 vcc_lo, v3, v3
	v_add3_u32 v21, v21, v16, 0x7fff
	v_or_b32_e32 v22, 0x400000, v16
	v_and_b32_e32 v2, 0xffff0000, v2
	v_and_b32_e32 v7, 0xffff0000, v7
	v_cndmask_b32_e32 v3, v13, v15, vcc_lo
	v_cmp_u_f32_e32 vcc_lo, v16, v16
	v_bfe_u32 v15, v4, 16, 1
	v_add_f32_e32 v1, v1, v11
	v_add_f32_e32 v2, v2, v7
	v_and_b32_e32 v3, 0xffff0000, v3
	v_cndmask_b32_e32 v13, v21, v22, vcc_lo
	s_waitcnt vmcnt(0)
	v_lshlrev_b32_e32 v21, 16, v17
	v_and_b32_e32 v7, 0xffff0000, v12
	v_and_b32_e32 v12, 0xffff0000, v17
	v_add3_u32 v15, v15, v4, 0x7fff
	v_or_b32_e32 v16, 0x400000, v4
	v_mul_f32_e32 v11, v41, v21
	v_cmp_u_f32_e32 vcc_lo, v4, v4
	v_add_f32_e32 v1, v2, v1
	v_add_f32_e32 v3, v3, v7
	v_mul_f32_e32 v7, v33, v12
	v_bfe_u32 v2, v11, 16, 1
	v_lshlrev_b32_e32 v12, 16, v18
	v_cndmask_b32_e32 v4, v15, v16, vcc_lo
	v_or_b32_e32 v15, 0x400000, v11
	v_bfe_u32 v16, v7, 16, 1
	v_add3_u32 v2, v2, v11, 0x7fff
	v_mul_f32_e32 v12, v42, v12
	v_and_b32_e32 v17, 0xffff0000, v18
	v_cmp_u_f32_e32 vcc_lo, v11, v11
	v_add3_u32 v11, v16, v7, 0x7fff
	v_lshlrev_b32_e32 v18, 16, v19
	v_bfe_u32 v16, v12, 16, 1
	v_mul_f32_e32 v17, v35, v17
	v_cndmask_b32_e32 v2, v2, v15, vcc_lo
	v_or_b32_e32 v15, 0x400000, v7
	v_cmp_u_f32_e32 vcc_lo, v7, v7
	v_mul_f32_e32 v18, v44, v18
	v_and_b32_e32 v19, 0xffff0000, v19
	v_lshlrev_b32_e32 v21, 16, v20
	v_and_b32_e32 v20, 0xffff0000, v20
	v_cndmask_b32_e32 v7, v11, v15, vcc_lo
	v_add3_u32 v11, v16, v12, 0x7fff
	v_or_b32_e32 v15, 0x400000, v12
	v_bfe_u32 v16, v17, 16, 1
	v_cmp_u_f32_e32 vcc_lo, v12, v12
	v_mul_f32_e32 v19, v34, v19
	v_mul_f32_e32 v20, v36, v20
	v_and_b32_e32 v7, 0xffff0000, v7
	v_add3_u32 v12, v16, v17, 0x7fff
	v_cndmask_b32_e32 v11, v11, v15, vcc_lo
	v_or_b32_e32 v15, 0x400000, v17
	v_bfe_u32 v16, v18, 16, 1
	v_cmp_u_f32_e32 vcc_lo, v17, v17
	v_mul_f32_e32 v17, v43, v21
	v_or_b32_e32 v21, 0x400000, v18
	v_or_b32_e32 v22, 0x400000, v19
	v_add3_u32 v16, v16, v18, 0x7fff
	v_cndmask_b32_e32 v12, v12, v15, vcc_lo
	v_bfe_u32 v15, v19, 16, 1
	v_cmp_u_f32_e32 vcc_lo, v18, v18
	v_bfe_u32 v24, v20, 16, 1
	v_bfe_u32 v23, v17, 16, 1
	v_and_b32_e32 v2, 0xffff0000, v2
	v_add3_u32 v15, v15, v19, 0x7fff
	v_cndmask_b32_e32 v16, v16, v21, vcc_lo
	v_cmp_u_f32_e32 vcc_lo, v19, v19
	v_add3_u32 v19, v24, v20, 0x7fff
	v_or_b32_e32 v21, 0x400000, v20
	v_add3_u32 v18, v23, v17, 0x7fff
	v_and_b32_e32 v12, 0xffff0000, v12
	v_cndmask_b32_e32 v15, v15, v22, vcc_lo
	v_cmp_u_f32_e32 vcc_lo, v20, v20
	v_and_b32_e32 v11, 0xffff0000, v11
	v_or_b32_e32 v22, 0x400000, v17
	v_add_f32_e32 v2, v2, v7
	v_and_b32_e32 v4, 0xffff0000, v4
	v_cndmask_b32_e32 v19, v19, v21, vcc_lo
	v_cmp_u_f32_e32 vcc_lo, v17, v17
	v_add_f32_e32 v7, v11, v12
	v_and_b32_e32 v11, 0xffff0000, v15
	v_and_b32_e32 v12, 0xffff0000, v16
	;; [unrolled: 1-line block ×3, first 2 shown]
	v_cndmask_b32_e32 v15, v18, v22, vcc_lo
	v_add_f32_e32 v2, v7, v2
	v_add_f32_e32 v8, v8, v14
	;; [unrolled: 1-line block ×3, first 2 shown]
	v_and_b32_e32 v11, 0xffff0000, v19
	v_and_b32_e32 v12, 0xffff0000, v15
	v_add_f32_e32 v1, v3, v1
	v_add_f32_e32 v3, v4, v13
	;; [unrolled: 1-line block ×7, first 2 shown]
	v_cmp_le_i32_e32 vcc_lo, s12, v81
	v_add_f32_e32 v73, v73, v5
	v_add_f32_e32 v2, v4, v2
	;; [unrolled: 1-line block ×4, first 2 shown]
	s_or_b32 s13, vcc_lo, s13
	v_add_f32_e32 v64, v64, v2
	s_andn2_b32 exec_lo, exec_lo, s13
	s_cbranch_execz .LBB142_54
.LBB142_30:                             ; =>This Inner Loop Header: Depth=1
	global_load_dword v1, v[57:58], off
	v_cmp_eq_u32_e64 s0, s4, v81
	v_add_nc_u32_e32 v88, 1, v79
	v_or_b32_e32 v86, 3, v79
	v_or_b32_e32 v87, 2, v79
	;; [unrolled: 1-line block ×6, first 2 shown]
	s_waitcnt vmcnt(0)
	v_mad_i64_i32 v[1:2], null, v1, s5, 0
	v_lshlrev_b64 v[1:2], 1, v[1:2]
	v_add_co_u32 v17, vcc_lo, v77, v1
	v_add_co_ci_u32_e64 v18, null, v78, v2, vcc_lo
	global_load_dwordx4 v[1:4], v[17:18], off
	ds_read2_b64 v[41:44], v80 offset1:1
	ds_read2_b64 v[33:36], v80 offset0:2 offset1:3
	s_and_saveexec_b32 s15, s0
	s_cbranch_execnz .LBB142_44
; %bb.31:                               ;   in Loop: Header=BB142_30 Depth=1
	s_or_b32 exec_lo, exec_lo, s15
	global_load_dwordx4 v[5:8], v[17:18], off offset:512
	s_and_saveexec_b32 s15, s0
	s_cbranch_execnz .LBB142_45
.LBB142_32:                             ;   in Loop: Header=BB142_30 Depth=1
	s_or_b32 exec_lo, exec_lo, s15
	global_load_dwordx4 v[9:12], v[17:18], off offset:1024
	s_and_saveexec_b32 s15, s0
	s_cbranch_execnz .LBB142_46
.LBB142_33:                             ;   in Loop: Header=BB142_30 Depth=1
	s_or_b32 exec_lo, exec_lo, s15
	global_load_dwordx4 v[13:16], v[17:18], off offset:1536
	s_and_saveexec_b32 s15, s0
	s_cbranch_execz .LBB142_35
.LBB142_34:                             ;   in Loop: Header=BB142_30 Depth=1
	v_cmp_gt_i32_e64 s1, s11, v79
	v_cmp_gt_i32_e32 vcc_lo, s14, v88
	v_cmp_gt_i32_e64 s2, s11, v87
	s_waitcnt vmcnt(0)
	v_cndmask_b32_e64 v19, 0, v13, s1
	v_cmp_gt_i32_e64 s1, s14, v86
	v_cndmask_b32_sdwa v13, v76, v13, vcc_lo dst_sel:DWORD dst_unused:UNUSED_PAD src0_sel:DWORD src1_sel:WORD_1
	v_cndmask_b32_e64 v20, 0, v14, s2
	v_cmp_gt_i32_e64 s2, s14, v85
	s_mov_b32 vcc_lo, s1
	v_cmp_gt_i32_e64 s1, s14, v83
	v_cndmask_b32_sdwa v14, v76, v14, vcc_lo dst_sel:DWORD dst_unused:UNUSED_PAD src0_sel:DWORD src1_sel:WORD_1
	v_cmp_gt_i32_e32 vcc_lo, s11, v84
	v_perm_b32 v13, v13, v19, 0x5040100
	v_perm_b32 v14, v14, v20, 0x5040100
	v_cndmask_b32_e32 v21, 0, v15, vcc_lo
	s_mov_b32 vcc_lo, s2
	v_cndmask_b32_sdwa v15, v76, v15, vcc_lo dst_sel:DWORD dst_unused:UNUSED_PAD src0_sel:DWORD src1_sel:WORD_1
	v_cmp_gt_i32_e32 vcc_lo, s11, v82
	v_perm_b32 v15, v15, v21, 0x5040100
	v_cndmask_b32_e32 v22, 0, v16, vcc_lo
	s_mov_b32 vcc_lo, s1
	v_cndmask_b32_sdwa v16, v76, v16, vcc_lo dst_sel:DWORD dst_unused:UNUSED_PAD src0_sel:DWORD src1_sel:WORD_1
	v_perm_b32 v16, v16, v22, 0x5040100
.LBB142_35:                             ;   in Loop: Header=BB142_30 Depth=1
	s_or_b32 exec_lo, exec_lo, s15
	v_add_co_u32 v19, vcc_lo, 0x800, v17
	v_add_co_ci_u32_e64 v20, null, 0, v18, vcc_lo
	global_load_dwordx4 v[21:24], v[19:20], off
	s_and_saveexec_b32 s15, s0
	s_cbranch_execnz .LBB142_47
; %bb.36:                               ;   in Loop: Header=BB142_30 Depth=1
	s_or_b32 exec_lo, exec_lo, s15
	global_load_dwordx4 v[25:28], v[19:20], off offset:512
	s_and_saveexec_b32 s15, s0
	s_cbranch_execnz .LBB142_48
.LBB142_37:                             ;   in Loop: Header=BB142_30 Depth=1
	s_or_b32 exec_lo, exec_lo, s15
	global_load_dwordx4 v[29:32], v[19:20], off offset:1024
	s_and_saveexec_b32 s15, s0
	s_cbranch_execnz .LBB142_49
.LBB142_38:                             ;   in Loop: Header=BB142_30 Depth=1
	s_or_b32 exec_lo, exec_lo, s15
	global_load_dwordx4 v[37:40], v[19:20], off offset:1536
	s_and_saveexec_b32 s15, s0
	s_cbranch_execz .LBB142_40
.LBB142_39:                             ;   in Loop: Header=BB142_30 Depth=1
	v_cmp_gt_i32_e64 s1, s11, v79
	v_cmp_gt_i32_e32 vcc_lo, s14, v88
	v_cmp_gt_i32_e64 s2, s11, v87
	s_waitcnt vmcnt(0)
	v_cndmask_b32_e64 v19, 0, v37, s1
	v_cmp_gt_i32_e64 s1, s14, v86
	v_cndmask_b32_sdwa v37, v76, v37, vcc_lo dst_sel:DWORD dst_unused:UNUSED_PAD src0_sel:DWORD src1_sel:WORD_1
	v_cndmask_b32_e64 v20, 0, v38, s2
	v_cmp_gt_i32_e64 s2, s14, v85
	s_mov_b32 vcc_lo, s1
	v_cmp_gt_i32_e64 s1, s14, v83
	v_cndmask_b32_sdwa v38, v76, v38, vcc_lo dst_sel:DWORD dst_unused:UNUSED_PAD src0_sel:DWORD src1_sel:WORD_1
	v_cmp_gt_i32_e32 vcc_lo, s11, v84
	v_perm_b32 v37, v37, v19, 0x5040100
	v_perm_b32 v38, v38, v20, 0x5040100
	v_cndmask_b32_e32 v45, 0, v39, vcc_lo
	s_mov_b32 vcc_lo, s2
	v_cndmask_b32_sdwa v39, v76, v39, vcc_lo dst_sel:DWORD dst_unused:UNUSED_PAD src0_sel:DWORD src1_sel:WORD_1
	v_cmp_gt_i32_e32 vcc_lo, s11, v82
	v_perm_b32 v39, v39, v45, 0x5040100
	v_cndmask_b32_e32 v46, 0, v40, vcc_lo
	s_mov_b32 vcc_lo, s1
	v_cndmask_b32_sdwa v40, v76, v40, vcc_lo dst_sel:DWORD dst_unused:UNUSED_PAD src0_sel:DWORD src1_sel:WORD_1
	v_perm_b32 v40, v40, v46, 0x5040100
.LBB142_40:                             ;   in Loop: Header=BB142_30 Depth=1
	s_or_b32 exec_lo, exec_lo, s15
	v_add_co_u32 v17, vcc_lo, 0x1000, v17
	v_add_co_ci_u32_e64 v18, null, 0, v18, vcc_lo
	global_load_dwordx4 v[45:48], v[17:18], off
	s_and_saveexec_b32 s15, s0
	s_cbranch_execnz .LBB142_50
; %bb.41:                               ;   in Loop: Header=BB142_30 Depth=1
	s_or_b32 exec_lo, exec_lo, s15
	global_load_dwordx4 v[49:52], v[17:18], off offset:512
	s_and_saveexec_b32 s15, s0
	s_cbranch_execnz .LBB142_51
.LBB142_42:                             ;   in Loop: Header=BB142_30 Depth=1
	s_or_b32 exec_lo, exec_lo, s15
	global_load_dwordx4 v[53:56], v[17:18], off offset:1024
	s_and_saveexec_b32 s15, s0
	s_cbranch_execnz .LBB142_52
.LBB142_43:                             ;   in Loop: Header=BB142_30 Depth=1
	s_or_b32 exec_lo, exec_lo, s15
	global_load_dwordx4 v[17:20], v[17:18], off offset:1536
	s_and_saveexec_b32 s2, s0
	s_cbranch_execz .LBB142_29
	s_branch .LBB142_53
.LBB142_44:                             ;   in Loop: Header=BB142_30 Depth=1
	v_cmp_gt_i32_e64 s1, s11, v79
	v_cmp_gt_i32_e32 vcc_lo, s14, v88
	v_cmp_gt_i32_e64 s2, s11, v87
	s_waitcnt vmcnt(0)
	v_cndmask_b32_e64 v5, 0, v1, s1
	v_cmp_gt_i32_e64 s1, s14, v86
	v_cndmask_b32_sdwa v1, v76, v1, vcc_lo dst_sel:DWORD dst_unused:UNUSED_PAD src0_sel:DWORD src1_sel:WORD_1
	v_cndmask_b32_e64 v6, 0, v2, s2
	v_cmp_gt_i32_e64 s2, s14, v85
	s_mov_b32 vcc_lo, s1
	v_cmp_gt_i32_e64 s1, s14, v83
	v_cndmask_b32_sdwa v2, v76, v2, vcc_lo dst_sel:DWORD dst_unused:UNUSED_PAD src0_sel:DWORD src1_sel:WORD_1
	v_cmp_gt_i32_e32 vcc_lo, s11, v84
	v_perm_b32 v1, v1, v5, 0x5040100
	v_perm_b32 v2, v2, v6, 0x5040100
	v_cndmask_b32_e32 v7, 0, v3, vcc_lo
	s_mov_b32 vcc_lo, s2
	v_cndmask_b32_sdwa v3, v76, v3, vcc_lo dst_sel:DWORD dst_unused:UNUSED_PAD src0_sel:DWORD src1_sel:WORD_1
	v_cmp_gt_i32_e32 vcc_lo, s11, v82
	v_perm_b32 v3, v3, v7, 0x5040100
	v_cndmask_b32_e32 v8, 0, v4, vcc_lo
	s_mov_b32 vcc_lo, s1
	v_cndmask_b32_sdwa v4, v76, v4, vcc_lo dst_sel:DWORD dst_unused:UNUSED_PAD src0_sel:DWORD src1_sel:WORD_1
	v_perm_b32 v4, v4, v8, 0x5040100
	s_or_b32 exec_lo, exec_lo, s15
	global_load_dwordx4 v[5:8], v[17:18], off offset:512
	s_and_saveexec_b32 s15, s0
	s_cbranch_execz .LBB142_32
.LBB142_45:                             ;   in Loop: Header=BB142_30 Depth=1
	v_cmp_gt_i32_e64 s1, s11, v79
	v_cmp_gt_i32_e32 vcc_lo, s14, v88
	v_cmp_gt_i32_e64 s2, s11, v87
	s_waitcnt vmcnt(0)
	v_cndmask_b32_e64 v9, 0, v5, s1
	v_cmp_gt_i32_e64 s1, s14, v86
	v_cndmask_b32_sdwa v5, v76, v5, vcc_lo dst_sel:DWORD dst_unused:UNUSED_PAD src0_sel:DWORD src1_sel:WORD_1
	v_cndmask_b32_e64 v10, 0, v6, s2
	v_cmp_gt_i32_e64 s2, s14, v85
	s_mov_b32 vcc_lo, s1
	v_cmp_gt_i32_e64 s1, s14, v83
	v_cndmask_b32_sdwa v6, v76, v6, vcc_lo dst_sel:DWORD dst_unused:UNUSED_PAD src0_sel:DWORD src1_sel:WORD_1
	v_cmp_gt_i32_e32 vcc_lo, s11, v84
	v_perm_b32 v5, v5, v9, 0x5040100
	v_perm_b32 v6, v6, v10, 0x5040100
	v_cndmask_b32_e32 v11, 0, v7, vcc_lo
	s_mov_b32 vcc_lo, s2
	v_cndmask_b32_sdwa v7, v76, v7, vcc_lo dst_sel:DWORD dst_unused:UNUSED_PAD src0_sel:DWORD src1_sel:WORD_1
	v_cmp_gt_i32_e32 vcc_lo, s11, v82
	v_perm_b32 v7, v7, v11, 0x5040100
	v_cndmask_b32_e32 v12, 0, v8, vcc_lo
	s_mov_b32 vcc_lo, s1
	v_cndmask_b32_sdwa v8, v76, v8, vcc_lo dst_sel:DWORD dst_unused:UNUSED_PAD src0_sel:DWORD src1_sel:WORD_1
	v_perm_b32 v8, v8, v12, 0x5040100
	s_or_b32 exec_lo, exec_lo, s15
	global_load_dwordx4 v[9:12], v[17:18], off offset:1024
	s_and_saveexec_b32 s15, s0
	s_cbranch_execz .LBB142_33
.LBB142_46:                             ;   in Loop: Header=BB142_30 Depth=1
	v_cmp_gt_i32_e64 s1, s11, v79
	v_cmp_gt_i32_e32 vcc_lo, s14, v88
	v_cmp_gt_i32_e64 s2, s11, v87
	s_waitcnt vmcnt(0)
	v_cndmask_b32_e64 v13, 0, v9, s1
	v_cmp_gt_i32_e64 s1, s14, v86
	v_cndmask_b32_sdwa v9, v76, v9, vcc_lo dst_sel:DWORD dst_unused:UNUSED_PAD src0_sel:DWORD src1_sel:WORD_1
	v_cndmask_b32_e64 v14, 0, v10, s2
	v_cmp_gt_i32_e64 s2, s14, v85
	s_mov_b32 vcc_lo, s1
	v_cmp_gt_i32_e64 s1, s14, v83
	v_cndmask_b32_sdwa v10, v76, v10, vcc_lo dst_sel:DWORD dst_unused:UNUSED_PAD src0_sel:DWORD src1_sel:WORD_1
	v_cmp_gt_i32_e32 vcc_lo, s11, v84
	v_perm_b32 v9, v9, v13, 0x5040100
	v_perm_b32 v10, v10, v14, 0x5040100
	v_cndmask_b32_e32 v15, 0, v11, vcc_lo
	s_mov_b32 vcc_lo, s2
	v_cndmask_b32_sdwa v11, v76, v11, vcc_lo dst_sel:DWORD dst_unused:UNUSED_PAD src0_sel:DWORD src1_sel:WORD_1
	v_cmp_gt_i32_e32 vcc_lo, s11, v82
	v_perm_b32 v11, v11, v15, 0x5040100
	v_cndmask_b32_e32 v16, 0, v12, vcc_lo
	s_mov_b32 vcc_lo, s1
	v_cndmask_b32_sdwa v12, v76, v12, vcc_lo dst_sel:DWORD dst_unused:UNUSED_PAD src0_sel:DWORD src1_sel:WORD_1
	v_perm_b32 v12, v12, v16, 0x5040100
	s_or_b32 exec_lo, exec_lo, s15
	global_load_dwordx4 v[13:16], v[17:18], off offset:1536
	s_and_saveexec_b32 s15, s0
	s_cbranch_execnz .LBB142_34
	s_branch .LBB142_35
.LBB142_47:                             ;   in Loop: Header=BB142_30 Depth=1
	v_cmp_gt_i32_e64 s1, s11, v79
	v_cmp_gt_i32_e32 vcc_lo, s14, v88
	v_cmp_gt_i32_e64 s2, s11, v87
	s_waitcnt vmcnt(0)
	v_cndmask_b32_e64 v25, 0, v21, s1
	v_cmp_gt_i32_e64 s1, s14, v86
	v_cndmask_b32_sdwa v21, v76, v21, vcc_lo dst_sel:DWORD dst_unused:UNUSED_PAD src0_sel:DWORD src1_sel:WORD_1
	v_cndmask_b32_e64 v26, 0, v22, s2
	v_cmp_gt_i32_e64 s2, s14, v85
	s_mov_b32 vcc_lo, s1
	v_cmp_gt_i32_e64 s1, s14, v83
	v_cndmask_b32_sdwa v22, v76, v22, vcc_lo dst_sel:DWORD dst_unused:UNUSED_PAD src0_sel:DWORD src1_sel:WORD_1
	v_cmp_gt_i32_e32 vcc_lo, s11, v84
	v_perm_b32 v21, v21, v25, 0x5040100
	v_perm_b32 v22, v22, v26, 0x5040100
	v_cndmask_b32_e32 v27, 0, v23, vcc_lo
	s_mov_b32 vcc_lo, s2
	v_cndmask_b32_sdwa v23, v76, v23, vcc_lo dst_sel:DWORD dst_unused:UNUSED_PAD src0_sel:DWORD src1_sel:WORD_1
	v_cmp_gt_i32_e32 vcc_lo, s11, v82
	v_perm_b32 v23, v23, v27, 0x5040100
	v_cndmask_b32_e32 v28, 0, v24, vcc_lo
	s_mov_b32 vcc_lo, s1
	v_cndmask_b32_sdwa v24, v76, v24, vcc_lo dst_sel:DWORD dst_unused:UNUSED_PAD src0_sel:DWORD src1_sel:WORD_1
	v_perm_b32 v24, v24, v28, 0x5040100
	s_or_b32 exec_lo, exec_lo, s15
	global_load_dwordx4 v[25:28], v[19:20], off offset:512
	s_and_saveexec_b32 s15, s0
	s_cbranch_execz .LBB142_37
.LBB142_48:                             ;   in Loop: Header=BB142_30 Depth=1
	v_cmp_gt_i32_e64 s1, s11, v79
	v_cmp_gt_i32_e32 vcc_lo, s14, v88
	v_cmp_gt_i32_e64 s2, s11, v87
	s_waitcnt vmcnt(0)
	v_cndmask_b32_e64 v29, 0, v25, s1
	v_cmp_gt_i32_e64 s1, s14, v86
	v_cndmask_b32_sdwa v25, v76, v25, vcc_lo dst_sel:DWORD dst_unused:UNUSED_PAD src0_sel:DWORD src1_sel:WORD_1
	v_cndmask_b32_e64 v30, 0, v26, s2
	v_cmp_gt_i32_e64 s2, s14, v85
	s_mov_b32 vcc_lo, s1
	v_cmp_gt_i32_e64 s1, s14, v83
	v_cndmask_b32_sdwa v26, v76, v26, vcc_lo dst_sel:DWORD dst_unused:UNUSED_PAD src0_sel:DWORD src1_sel:WORD_1
	v_cmp_gt_i32_e32 vcc_lo, s11, v84
	v_perm_b32 v25, v25, v29, 0x5040100
	v_perm_b32 v26, v26, v30, 0x5040100
	v_cndmask_b32_e32 v31, 0, v27, vcc_lo
	s_mov_b32 vcc_lo, s2
	v_cndmask_b32_sdwa v27, v76, v27, vcc_lo dst_sel:DWORD dst_unused:UNUSED_PAD src0_sel:DWORD src1_sel:WORD_1
	v_cmp_gt_i32_e32 vcc_lo, s11, v82
	v_perm_b32 v27, v27, v31, 0x5040100
	v_cndmask_b32_e32 v32, 0, v28, vcc_lo
	s_mov_b32 vcc_lo, s1
	v_cndmask_b32_sdwa v28, v76, v28, vcc_lo dst_sel:DWORD dst_unused:UNUSED_PAD src0_sel:DWORD src1_sel:WORD_1
	v_perm_b32 v28, v28, v32, 0x5040100
	s_or_b32 exec_lo, exec_lo, s15
	global_load_dwordx4 v[29:32], v[19:20], off offset:1024
	s_and_saveexec_b32 s15, s0
	s_cbranch_execz .LBB142_38
.LBB142_49:                             ;   in Loop: Header=BB142_30 Depth=1
	v_cmp_gt_i32_e64 s1, s11, v79
	v_cmp_gt_i32_e32 vcc_lo, s14, v88
	v_cmp_gt_i32_e64 s2, s11, v87
	s_waitcnt vmcnt(0)
	v_cndmask_b32_e64 v37, 0, v29, s1
	v_cmp_gt_i32_e64 s1, s14, v86
	v_cndmask_b32_sdwa v29, v76, v29, vcc_lo dst_sel:DWORD dst_unused:UNUSED_PAD src0_sel:DWORD src1_sel:WORD_1
	v_cndmask_b32_e64 v38, 0, v30, s2
	v_cmp_gt_i32_e64 s2, s14, v85
	s_mov_b32 vcc_lo, s1
	v_cmp_gt_i32_e64 s1, s14, v83
	v_cndmask_b32_sdwa v30, v76, v30, vcc_lo dst_sel:DWORD dst_unused:UNUSED_PAD src0_sel:DWORD src1_sel:WORD_1
	v_cmp_gt_i32_e32 vcc_lo, s11, v84
	v_perm_b32 v29, v29, v37, 0x5040100
	v_perm_b32 v30, v30, v38, 0x5040100
	v_cndmask_b32_e32 v39, 0, v31, vcc_lo
	s_mov_b32 vcc_lo, s2
	v_cndmask_b32_sdwa v31, v76, v31, vcc_lo dst_sel:DWORD dst_unused:UNUSED_PAD src0_sel:DWORD src1_sel:WORD_1
	v_cmp_gt_i32_e32 vcc_lo, s11, v82
	v_perm_b32 v31, v31, v39, 0x5040100
	v_cndmask_b32_e32 v40, 0, v32, vcc_lo
	s_mov_b32 vcc_lo, s1
	v_cndmask_b32_sdwa v32, v76, v32, vcc_lo dst_sel:DWORD dst_unused:UNUSED_PAD src0_sel:DWORD src1_sel:WORD_1
	v_perm_b32 v32, v32, v40, 0x5040100
	s_or_b32 exec_lo, exec_lo, s15
	global_load_dwordx4 v[37:40], v[19:20], off offset:1536
	s_and_saveexec_b32 s15, s0
	s_cbranch_execnz .LBB142_39
	s_branch .LBB142_40
.LBB142_50:                             ;   in Loop: Header=BB142_30 Depth=1
	v_cmp_gt_i32_e64 s1, s11, v79
	v_cmp_gt_i32_e32 vcc_lo, s14, v88
	v_cmp_gt_i32_e64 s2, s11, v87
	s_waitcnt vmcnt(0)
	v_cndmask_b32_e64 v19, 0, v45, s1
	v_cmp_gt_i32_e64 s1, s14, v86
	v_cndmask_b32_sdwa v45, v76, v45, vcc_lo dst_sel:DWORD dst_unused:UNUSED_PAD src0_sel:DWORD src1_sel:WORD_1
	v_cndmask_b32_e64 v20, 0, v46, s2
	v_cmp_gt_i32_e64 s2, s14, v85
	s_mov_b32 vcc_lo, s1
	v_cmp_gt_i32_e64 s1, s14, v83
	v_cndmask_b32_sdwa v46, v76, v46, vcc_lo dst_sel:DWORD dst_unused:UNUSED_PAD src0_sel:DWORD src1_sel:WORD_1
	v_cmp_gt_i32_e32 vcc_lo, s11, v84
	v_perm_b32 v45, v45, v19, 0x5040100
	v_perm_b32 v46, v46, v20, 0x5040100
	v_cndmask_b32_e32 v49, 0, v47, vcc_lo
	s_mov_b32 vcc_lo, s2
	v_cndmask_b32_sdwa v47, v76, v47, vcc_lo dst_sel:DWORD dst_unused:UNUSED_PAD src0_sel:DWORD src1_sel:WORD_1
	v_cmp_gt_i32_e32 vcc_lo, s11, v82
	v_perm_b32 v47, v47, v49, 0x5040100
	v_cndmask_b32_e32 v50, 0, v48, vcc_lo
	s_mov_b32 vcc_lo, s1
	v_cndmask_b32_sdwa v48, v76, v48, vcc_lo dst_sel:DWORD dst_unused:UNUSED_PAD src0_sel:DWORD src1_sel:WORD_1
	v_perm_b32 v48, v48, v50, 0x5040100
	s_or_b32 exec_lo, exec_lo, s15
	global_load_dwordx4 v[49:52], v[17:18], off offset:512
	s_and_saveexec_b32 s15, s0
	s_cbranch_execz .LBB142_42
.LBB142_51:                             ;   in Loop: Header=BB142_30 Depth=1
	v_cmp_gt_i32_e64 s1, s11, v79
	v_cmp_gt_i32_e32 vcc_lo, s14, v88
	v_cmp_gt_i32_e64 s2, s11, v87
	s_waitcnt vmcnt(0)
	v_cndmask_b32_e64 v19, 0, v49, s1
	v_cmp_gt_i32_e64 s1, s14, v86
	v_cndmask_b32_sdwa v49, v76, v49, vcc_lo dst_sel:DWORD dst_unused:UNUSED_PAD src0_sel:DWORD src1_sel:WORD_1
	v_cndmask_b32_e64 v20, 0, v50, s2
	v_cmp_gt_i32_e64 s2, s14, v85
	s_mov_b32 vcc_lo, s1
	v_cmp_gt_i32_e64 s1, s14, v83
	v_cndmask_b32_sdwa v50, v76, v50, vcc_lo dst_sel:DWORD dst_unused:UNUSED_PAD src0_sel:DWORD src1_sel:WORD_1
	v_cmp_gt_i32_e32 vcc_lo, s11, v84
	v_perm_b32 v49, v49, v19, 0x5040100
	v_perm_b32 v50, v50, v20, 0x5040100
	v_cndmask_b32_e32 v53, 0, v51, vcc_lo
	s_mov_b32 vcc_lo, s2
	v_cndmask_b32_sdwa v51, v76, v51, vcc_lo dst_sel:DWORD dst_unused:UNUSED_PAD src0_sel:DWORD src1_sel:WORD_1
	v_cmp_gt_i32_e32 vcc_lo, s11, v82
	v_perm_b32 v51, v51, v53, 0x5040100
	v_cndmask_b32_e32 v54, 0, v52, vcc_lo
	s_mov_b32 vcc_lo, s1
	v_cndmask_b32_sdwa v52, v76, v52, vcc_lo dst_sel:DWORD dst_unused:UNUSED_PAD src0_sel:DWORD src1_sel:WORD_1
	v_perm_b32 v52, v52, v54, 0x5040100
	s_or_b32 exec_lo, exec_lo, s15
	global_load_dwordx4 v[53:56], v[17:18], off offset:1024
	s_and_saveexec_b32 s15, s0
	s_cbranch_execz .LBB142_43
.LBB142_52:                             ;   in Loop: Header=BB142_30 Depth=1
	v_cmp_gt_i32_e64 s1, s11, v79
	v_cmp_gt_i32_e32 vcc_lo, s14, v88
	v_cmp_gt_i32_e64 s2, s11, v87
	s_waitcnt vmcnt(0)
	v_cndmask_b32_e64 v19, 0, v53, s1
	v_cmp_gt_i32_e64 s1, s14, v86
	v_cndmask_b32_sdwa v53, v76, v53, vcc_lo dst_sel:DWORD dst_unused:UNUSED_PAD src0_sel:DWORD src1_sel:WORD_1
	v_cndmask_b32_e64 v20, 0, v54, s2
	v_cmp_gt_i32_e64 s2, s14, v85
	s_mov_b32 vcc_lo, s1
	v_cmp_gt_i32_e64 s1, s14, v83
	v_cndmask_b32_sdwa v54, v76, v54, vcc_lo dst_sel:DWORD dst_unused:UNUSED_PAD src0_sel:DWORD src1_sel:WORD_1
	v_cmp_gt_i32_e32 vcc_lo, s11, v84
	v_perm_b32 v53, v53, v19, 0x5040100
	v_perm_b32 v54, v54, v20, 0x5040100
	v_cndmask_b32_e32 v59, 0, v55, vcc_lo
	s_mov_b32 vcc_lo, s2
	v_cndmask_b32_sdwa v55, v76, v55, vcc_lo dst_sel:DWORD dst_unused:UNUSED_PAD src0_sel:DWORD src1_sel:WORD_1
	v_cmp_gt_i32_e32 vcc_lo, s11, v82
	v_perm_b32 v55, v55, v59, 0x5040100
	v_cndmask_b32_e32 v60, 0, v56, vcc_lo
	s_mov_b32 vcc_lo, s1
	v_cndmask_b32_sdwa v56, v76, v56, vcc_lo dst_sel:DWORD dst_unused:UNUSED_PAD src0_sel:DWORD src1_sel:WORD_1
	v_perm_b32 v56, v56, v60, 0x5040100
	s_or_b32 exec_lo, exec_lo, s15
	global_load_dwordx4 v[17:20], v[17:18], off offset:1536
	s_and_saveexec_b32 s2, s0
	s_cbranch_execz .LBB142_29
.LBB142_53:                             ;   in Loop: Header=BB142_30 Depth=1
	v_cmp_gt_i32_e64 s0, s11, v79
	v_cmp_gt_i32_e32 vcc_lo, s14, v88
	v_cmp_gt_i32_e64 s1, s11, v87
	s_waitcnt vmcnt(0)
	v_cndmask_b32_e64 v59, 0, v17, s0
	v_cmp_gt_i32_e64 s0, s14, v86
	v_cndmask_b32_sdwa v17, v76, v17, vcc_lo dst_sel:DWORD dst_unused:UNUSED_PAD src0_sel:DWORD src1_sel:WORD_1
	v_cndmask_b32_e64 v60, 0, v18, s1
	v_cmp_gt_i32_e64 s1, s14, v85
	s_mov_b32 vcc_lo, s0
	v_cmp_gt_i32_e64 s0, s14, v83
	v_cndmask_b32_sdwa v18, v76, v18, vcc_lo dst_sel:DWORD dst_unused:UNUSED_PAD src0_sel:DWORD src1_sel:WORD_1
	v_cmp_gt_i32_e32 vcc_lo, s11, v84
	v_perm_b32 v17, v17, v59, 0x5040100
	v_perm_b32 v18, v18, v60, 0x5040100
	v_cndmask_b32_e32 v61, 0, v19, vcc_lo
	s_mov_b32 vcc_lo, s1
	v_cndmask_b32_sdwa v19, v76, v19, vcc_lo dst_sel:DWORD dst_unused:UNUSED_PAD src0_sel:DWORD src1_sel:WORD_1
	v_cmp_gt_i32_e32 vcc_lo, s11, v82
	v_perm_b32 v19, v19, v61, 0x5040100
	v_cndmask_b32_e32 v82, 0, v20, vcc_lo
	s_mov_b32 vcc_lo, s0
	v_cndmask_b32_sdwa v20, v76, v20, vcc_lo dst_sel:DWORD dst_unused:UNUSED_PAD src0_sel:DWORD src1_sel:WORD_1
	v_perm_b32 v20, v20, v82, 0x5040100
	s_branch .LBB142_29
.LBB142_54:
	s_or_b32 exec_lo, exec_lo, s13
.LBB142_55:
	s_or_b32 exec_lo, exec_lo, s3
	ds_bpermute_b32 v6, v63, v70
	ds_bpermute_b32 v13, v63, v69
	;; [unrolled: 1-line block ×12, first 2 shown]
	s_mov_b32 s0, exec_lo
	s_waitcnt lgkmcnt(0)
	s_barrier
	buffer_gl0_inv
	v_add_f32_e32 v7, v70, v6
	v_add_f32_e32 v6, v69, v13
	v_lshrrev_b32_e32 v13, 1, v62
	v_add_f32_e32 v12, v74, v1
	v_add_f32_e32 v11, v75, v2
	;; [unrolled: 1-line block ×8, first 2 shown]
	v_and_b32_e32 v16, 0x3c1, v0
	v_add_f32_e32 v3, v65, v17
	v_add_f32_e32 v2, v64, v18
	v_lshl_add_u32 v14, v13, 2, 0x1a0
	v_mul_u32_u24_e32 v15, 0x300, v119
	v_cmpx_eq_u32_e32 64, v16
	s_cbranch_execz .LBB142_57
; %bb.56:
	v_add_nc_u32_e32 v16, v14, v15
	v_add_nc_u32_e32 v17, 0xfffffa00, v16
	;; [unrolled: 1-line block ×8, first 2 shown]
	ds_write_b32 v17, v12
	ds_write_b32 v18, v11
	ds_write_b32 v19, v10
	ds_write_b32 v20, v9
	ds_write_b32 v21, v8
	ds_write_b32 v22, v7
	ds_write_b32 v23, v6
	v_add_nc_u32_e32 v17, 0xfffffbc0, v16
	v_add_nc_u32_e32 v18, 0xfffffc00, v16
	;; [unrolled: 1-line block ×5, first 2 shown]
	ds_write_b32 v17, v5
	ds_write_b32 v18, v4
	;; [unrolled: 1-line block ×5, first 2 shown]
.LBB142_57:
	s_or_b32 exec_lo, exec_lo, s0
	v_lshlrev_b32_e32 v13, 2, v13
	s_mov_b32 s1, exec_lo
	v_cmp_eq_u32_e32 vcc_lo, 0, v117
	s_waitcnt lgkmcnt(0)
	s_barrier
	v_add3_u32 v13, 0x1a0, v15, v13
	buffer_gl0_inv
	v_cmpx_gt_u32_e32 64, v0
	s_cbranch_execz .LBB142_72
; %bb.58:
	s_and_saveexec_b32 s0, vcc_lo
	s_cbranch_execnz .LBB142_92
; %bb.59:
	s_or_b32 exec_lo, exec_lo, s0
	s_and_saveexec_b32 s0, vcc_lo
	s_cbranch_execnz .LBB142_93
.LBB142_60:
	s_or_b32 exec_lo, exec_lo, s0
	s_and_saveexec_b32 s0, vcc_lo
	s_cbranch_execnz .LBB142_94
.LBB142_61:
	s_or_b32 exec_lo, exec_lo, s0
	s_and_saveexec_b32 s0, vcc_lo
	s_cbranch_execnz .LBB142_95
.LBB142_62:
	s_or_b32 exec_lo, exec_lo, s0
	s_and_saveexec_b32 s0, vcc_lo
	s_cbranch_execnz .LBB142_96
.LBB142_63:
	s_or_b32 exec_lo, exec_lo, s0
	s_and_saveexec_b32 s0, vcc_lo
	s_cbranch_execnz .LBB142_97
.LBB142_64:
	s_or_b32 exec_lo, exec_lo, s0
	s_and_saveexec_b32 s0, vcc_lo
	s_cbranch_execnz .LBB142_98
.LBB142_65:
	s_or_b32 exec_lo, exec_lo, s0
	s_and_saveexec_b32 s0, vcc_lo
	s_cbranch_execnz .LBB142_99
.LBB142_66:
	s_or_b32 exec_lo, exec_lo, s0
	s_and_saveexec_b32 s0, vcc_lo
	s_cbranch_execnz .LBB142_100
.LBB142_67:
	s_or_b32 exec_lo, exec_lo, s0
	s_and_saveexec_b32 s0, vcc_lo
	s_cbranch_execnz .LBB142_101
.LBB142_68:
	s_or_b32 exec_lo, exec_lo, s0
	s_and_saveexec_b32 s0, vcc_lo
	s_cbranch_execnz .LBB142_102
.LBB142_69:
	s_or_b32 exec_lo, exec_lo, s0
	s_and_saveexec_b32 s0, vcc_lo
	s_cbranch_execz .LBB142_71
.LBB142_70:
	ds_read_b32 v15, v13 offset:704
	s_waitcnt lgkmcnt(0)
	v_add_f32_e32 v2, v2, v15
.LBB142_71:
	s_or_b32 exec_lo, exec_lo, s0
.LBB142_72:
	s_or_b32 exec_lo, exec_lo, s1
	v_and_b32_e32 v15, 0x3e1, v0
	s_mov_b32 s1, exec_lo
	s_barrier
	buffer_gl0_inv
	v_cmpx_eq_u32_e32 32, v15
	s_cbranch_execz .LBB142_74
; %bb.73:
	ds_write2_b32 v14, v12, v11 offset1:16
	ds_write2_b32 v14, v10, v9 offset0:32 offset1:48
	ds_write2_b32 v14, v8, v7 offset0:64 offset1:80
	;; [unrolled: 1-line block ×5, first 2 shown]
.LBB142_74:
	s_or_b32 exec_lo, exec_lo, s1
	s_mov_b32 s1, exec_lo
	s_waitcnt lgkmcnt(0)
	s_barrier
	buffer_gl0_inv
	v_cmpx_gt_u32_e32 32, v0
	s_cbranch_execz .LBB142_89
; %bb.75:
	s_and_saveexec_b32 s0, vcc_lo
	s_cbranch_execnz .LBB142_103
; %bb.76:
	s_or_b32 exec_lo, exec_lo, s0
	s_and_saveexec_b32 s0, vcc_lo
	s_cbranch_execnz .LBB142_104
.LBB142_77:
	s_or_b32 exec_lo, exec_lo, s0
	s_and_saveexec_b32 s0, vcc_lo
	s_cbranch_execnz .LBB142_105
.LBB142_78:
	s_or_b32 exec_lo, exec_lo, s0
	s_and_saveexec_b32 s0, vcc_lo
	s_cbranch_execnz .LBB142_106
.LBB142_79:
	s_or_b32 exec_lo, exec_lo, s0
	s_and_saveexec_b32 s0, vcc_lo
	s_cbranch_execnz .LBB142_107
.LBB142_80:
	s_or_b32 exec_lo, exec_lo, s0
	s_and_saveexec_b32 s0, vcc_lo
	s_cbranch_execnz .LBB142_108
.LBB142_81:
	s_or_b32 exec_lo, exec_lo, s0
	s_and_saveexec_b32 s0, vcc_lo
	s_cbranch_execnz .LBB142_109
.LBB142_82:
	s_or_b32 exec_lo, exec_lo, s0
	s_and_saveexec_b32 s0, vcc_lo
	s_cbranch_execnz .LBB142_110
.LBB142_83:
	s_or_b32 exec_lo, exec_lo, s0
	s_and_saveexec_b32 s0, vcc_lo
	s_cbranch_execnz .LBB142_111
.LBB142_84:
	s_or_b32 exec_lo, exec_lo, s0
	s_and_saveexec_b32 s0, vcc_lo
	s_cbranch_execnz .LBB142_112
.LBB142_85:
	s_or_b32 exec_lo, exec_lo, s0
	s_and_saveexec_b32 s0, vcc_lo
	s_cbranch_execnz .LBB142_113
.LBB142_86:
	s_or_b32 exec_lo, exec_lo, s0
	s_and_saveexec_b32 s0, vcc_lo
	s_cbranch_execz .LBB142_88
.LBB142_87:
	ds_read_b32 v0, v13 offset:704
	s_waitcnt lgkmcnt(0)
	v_add_f32_e32 v2, v2, v0
.LBB142_88:
	s_or_b32 exec_lo, exec_lo, s0
.LBB142_89:
	s_or_b32 exec_lo, exec_lo, s1
	s_barrier
	buffer_gl0_inv
	s_mov_b32 s0, exec_lo
	v_cmpx_eq_u32_e32 0, v15
	s_cbranch_execz .LBB142_91
; %bb.90:
	s_mul_i32 s0, s10, s7
	v_bfe_u32 v13, v12, 16, 1
	s_mul_i32 s0, s0, s9
	s_mul_i32 s2, s7, s6
	s_mulk_i32 s0, 0xc0
	v_or_b32_e32 v14, 0x400000, v12
	s_ashr_i32 s1, s0, 31
	v_add3_u32 v13, v13, v12, 0x7fff
	s_lshl_b64 s[0:1], s[0:1], 1
	v_bfe_u32 v15, v11, 16, 1
	s_add_u32 s5, s16, s0
	s_addc_u32 s6, s17, s1
	s_ashr_i32 s3, s2, 31
	v_cmp_u_f32_e32 vcc_lo, v12, v12
	s_lshl_b64 s[0:1], s[2:3], 1
	s_mul_i32 s4, s8, 0xc0
	s_add_u32 s2, s5, s0
	s_addc_u32 s3, s6, s1
	s_ashr_i32 s5, s4, 31
	v_lshlrev_b32_e32 v0, 1, v89
	s_lshl_b64 s[0:1], s[4:5], 1
	v_cndmask_b32_e32 v12, v13, v14, vcc_lo
	v_bfe_u32 v13, v10, 16, 1
	v_add3_u32 v14, v15, v11, 0x7fff
	v_or_b32_e32 v15, 0x400000, v11
	v_cmp_u_f32_e32 vcc_lo, v11, v11
	s_add_u32 s0, s2, s0
	s_addc_u32 s1, s3, s1
	global_store_short_d16_hi v0, v12, s[0:1]
	v_add3_u32 v12, v13, v10, 0x7fff
	v_or_b32_e32 v13, 0x400000, v10
	v_cndmask_b32_e32 v11, v14, v15, vcc_lo
	v_bfe_u32 v14, v9, 16, 1
	v_cmp_u_f32_e32 vcc_lo, v10, v10
	global_store_short_d16_hi v0, v11, s[0:1] offset:32
	v_add3_u32 v11, v14, v9, 0x7fff
	v_cndmask_b32_e32 v10, v12, v13, vcc_lo
	v_bfe_u32 v12, v8, 16, 1
	v_or_b32_e32 v13, 0x400000, v9
	v_cmp_u_f32_e32 vcc_lo, v9, v9
	global_store_short_d16_hi v0, v10, s[0:1] offset:64
	v_add3_u32 v10, v12, v8, 0x7fff
	v_or_b32_e32 v12, 0x400000, v8
	v_cndmask_b32_e32 v9, v11, v13, vcc_lo
	v_bfe_u32 v11, v7, 16, 1
	v_cmp_u_f32_e32 vcc_lo, v8, v8
	global_store_short_d16_hi v0, v9, s[0:1] offset:96
	v_add3_u32 v9, v11, v7, 0x7fff
	v_cndmask_b32_e32 v8, v10, v12, vcc_lo
	v_bfe_u32 v10, v6, 16, 1
	v_or_b32_e32 v11, 0x400000, v7
	v_cmp_u_f32_e32 vcc_lo, v7, v7
	global_store_short_d16_hi v0, v8, s[0:1] offset:128
	v_add3_u32 v8, v10, v6, 0x7fff
	v_or_b32_e32 v10, 0x400000, v6
	v_cndmask_b32_e32 v7, v9, v11, vcc_lo
	v_bfe_u32 v9, v5, 16, 1
	v_cmp_u_f32_e32 vcc_lo, v6, v6
	v_or_b32_e32 v11, 0x400000, v2
	global_store_short_d16_hi v0, v7, s[0:1] offset:160
	v_add3_u32 v7, v9, v5, 0x7fff
	v_cndmask_b32_e32 v6, v8, v10, vcc_lo
	v_bfe_u32 v8, v4, 16, 1
	v_or_b32_e32 v9, 0x400000, v5
	v_cmp_u_f32_e32 vcc_lo, v5, v5
	v_or_b32_e32 v10, 0x400000, v3
	global_store_short_d16_hi v0, v6, s[0:1] offset:192
	v_add3_u32 v6, v8, v4, 0x7fff
	v_or_b32_e32 v8, 0x400000, v4
	v_cndmask_b32_e32 v5, v7, v9, vcc_lo
	v_bfe_u32 v7, v1, 16, 1
	v_cmp_u_f32_e32 vcc_lo, v4, v4
	v_bfe_u32 v9, v3, 16, 1
	v_add3_u32 v7, v7, v1, 0x7fff
	v_cndmask_b32_e32 v4, v6, v8, vcc_lo
	v_or_b32_e32 v8, 0x400000, v1
	v_cmp_u_f32_e32 vcc_lo, v1, v1
	v_bfe_u32 v6, v2, 16, 1
	v_add3_u32 v9, v9, v3, 0x7fff
	v_cndmask_b32_e32 v1, v7, v8, vcc_lo
	v_cmp_u_f32_e32 vcc_lo, v3, v3
	v_add3_u32 v6, v6, v2, 0x7fff
	v_cndmask_b32_e32 v3, v9, v10, vcc_lo
	v_cmp_u_f32_e32 vcc_lo, v2, v2
	v_cndmask_b32_e32 v2, v6, v11, vcc_lo
	global_store_short_d16_hi v0, v5, s[0:1] offset:224
	global_store_short_d16_hi v0, v4, s[0:1] offset:256
	;; [unrolled: 1-line block ×5, first 2 shown]
.LBB142_91:
	s_endpgm
.LBB142_92:
	ds_read_b32 v15, v13
	s_waitcnt lgkmcnt(0)
	v_add_f32_e32 v12, v12, v15
	s_or_b32 exec_lo, exec_lo, s0
	s_and_saveexec_b32 s0, vcc_lo
	s_cbranch_execz .LBB142_60
.LBB142_93:
	ds_read_b32 v15, v13 offset:64
	s_waitcnt lgkmcnt(0)
	v_add_f32_e32 v11, v11, v15
	s_or_b32 exec_lo, exec_lo, s0
	s_and_saveexec_b32 s0, vcc_lo
	s_cbranch_execz .LBB142_61
.LBB142_94:
	ds_read_b32 v15, v13 offset:128
	s_waitcnt lgkmcnt(0)
	v_add_f32_e32 v10, v10, v15
	s_or_b32 exec_lo, exec_lo, s0
	s_and_saveexec_b32 s0, vcc_lo
	s_cbranch_execz .LBB142_62
.LBB142_95:
	ds_read_b32 v15, v13 offset:192
	s_waitcnt lgkmcnt(0)
	v_add_f32_e32 v9, v9, v15
	s_or_b32 exec_lo, exec_lo, s0
	s_and_saveexec_b32 s0, vcc_lo
	s_cbranch_execz .LBB142_63
.LBB142_96:
	ds_read_b32 v15, v13 offset:256
	s_waitcnt lgkmcnt(0)
	v_add_f32_e32 v8, v8, v15
	s_or_b32 exec_lo, exec_lo, s0
	s_and_saveexec_b32 s0, vcc_lo
	s_cbranch_execz .LBB142_64
.LBB142_97:
	ds_read_b32 v15, v13 offset:320
	s_waitcnt lgkmcnt(0)
	v_add_f32_e32 v7, v7, v15
	s_or_b32 exec_lo, exec_lo, s0
	s_and_saveexec_b32 s0, vcc_lo
	s_cbranch_execz .LBB142_65
.LBB142_98:
	ds_read_b32 v15, v13 offset:384
	s_waitcnt lgkmcnt(0)
	v_add_f32_e32 v6, v6, v15
	s_or_b32 exec_lo, exec_lo, s0
	s_and_saveexec_b32 s0, vcc_lo
	s_cbranch_execz .LBB142_66
.LBB142_99:
	ds_read_b32 v15, v13 offset:448
	s_waitcnt lgkmcnt(0)
	v_add_f32_e32 v5, v5, v15
	s_or_b32 exec_lo, exec_lo, s0
	s_and_saveexec_b32 s0, vcc_lo
	s_cbranch_execz .LBB142_67
.LBB142_100:
	ds_read_b32 v15, v13 offset:512
	s_waitcnt lgkmcnt(0)
	v_add_f32_e32 v4, v4, v15
	s_or_b32 exec_lo, exec_lo, s0
	s_and_saveexec_b32 s0, vcc_lo
	s_cbranch_execz .LBB142_68
.LBB142_101:
	ds_read_b32 v15, v13 offset:576
	s_waitcnt lgkmcnt(0)
	v_add_f32_e32 v1, v1, v15
	s_or_b32 exec_lo, exec_lo, s0
	s_and_saveexec_b32 s0, vcc_lo
	s_cbranch_execz .LBB142_69
.LBB142_102:
	ds_read_b32 v15, v13 offset:640
	s_waitcnt lgkmcnt(0)
	v_add_f32_e32 v3, v3, v15
	s_or_b32 exec_lo, exec_lo, s0
	s_and_saveexec_b32 s0, vcc_lo
	s_cbranch_execnz .LBB142_70
	s_branch .LBB142_71
.LBB142_103:
	ds_read_b32 v0, v13
	s_waitcnt lgkmcnt(0)
	v_add_f32_e32 v12, v12, v0
	s_or_b32 exec_lo, exec_lo, s0
	s_and_saveexec_b32 s0, vcc_lo
	s_cbranch_execz .LBB142_77
.LBB142_104:
	ds_read_b32 v0, v13 offset:64
	s_waitcnt lgkmcnt(0)
	v_add_f32_e32 v11, v11, v0
	s_or_b32 exec_lo, exec_lo, s0
	s_and_saveexec_b32 s0, vcc_lo
	s_cbranch_execz .LBB142_78
.LBB142_105:
	ds_read_b32 v0, v13 offset:128
	s_waitcnt lgkmcnt(0)
	v_add_f32_e32 v10, v10, v0
	s_or_b32 exec_lo, exec_lo, s0
	s_and_saveexec_b32 s0, vcc_lo
	s_cbranch_execz .LBB142_79
.LBB142_106:
	ds_read_b32 v0, v13 offset:192
	s_waitcnt lgkmcnt(0)
	v_add_f32_e32 v9, v9, v0
	s_or_b32 exec_lo, exec_lo, s0
	s_and_saveexec_b32 s0, vcc_lo
	s_cbranch_execz .LBB142_80
.LBB142_107:
	ds_read_b32 v0, v13 offset:256
	s_waitcnt lgkmcnt(0)
	v_add_f32_e32 v8, v8, v0
	s_or_b32 exec_lo, exec_lo, s0
	s_and_saveexec_b32 s0, vcc_lo
	s_cbranch_execz .LBB142_81
.LBB142_108:
	ds_read_b32 v0, v13 offset:320
	s_waitcnt lgkmcnt(0)
	v_add_f32_e32 v7, v7, v0
	s_or_b32 exec_lo, exec_lo, s0
	s_and_saveexec_b32 s0, vcc_lo
	s_cbranch_execz .LBB142_82
.LBB142_109:
	ds_read_b32 v0, v13 offset:384
	s_waitcnt lgkmcnt(0)
	v_add_f32_e32 v6, v6, v0
	s_or_b32 exec_lo, exec_lo, s0
	s_and_saveexec_b32 s0, vcc_lo
	s_cbranch_execz .LBB142_83
.LBB142_110:
	ds_read_b32 v0, v13 offset:448
	s_waitcnt lgkmcnt(0)
	v_add_f32_e32 v5, v5, v0
	s_or_b32 exec_lo, exec_lo, s0
	s_and_saveexec_b32 s0, vcc_lo
	s_cbranch_execz .LBB142_84
.LBB142_111:
	ds_read_b32 v0, v13 offset:512
	s_waitcnt lgkmcnt(0)
	v_add_f32_e32 v4, v4, v0
	s_or_b32 exec_lo, exec_lo, s0
	s_and_saveexec_b32 s0, vcc_lo
	s_cbranch_execz .LBB142_85
.LBB142_112:
	ds_read_b32 v0, v13 offset:576
	s_waitcnt lgkmcnt(0)
	v_add_f32_e32 v1, v1, v0
	s_or_b32 exec_lo, exec_lo, s0
	s_and_saveexec_b32 s0, vcc_lo
	s_cbranch_execz .LBB142_86
.LBB142_113:
	ds_read_b32 v0, v13 offset:640
	s_waitcnt lgkmcnt(0)
	v_add_f32_e32 v3, v3, v0
	s_or_b32 exec_lo, exec_lo, s0
	s_and_saveexec_b32 s0, vcc_lo
	s_cbranch_execnz .LBB142_87
	s_branch .LBB142_88
	.section	.rodata,"a",@progbits
	.p2align	6, 0x0
	.amdhsa_kernel _ZN4vllm25paged_attention_v1_kernelI14__hip_bfloat16S1_Li192ELi16ELi128ELNS_18Fp8KVCacheDataTypeE0ELb0EEEvPT_PKS3_PKT0_S9_ifPKiSB_iPKfiiiSD_SD_iiiii
		.amdhsa_group_segment_fixed_size 416
		.amdhsa_private_segment_fixed_size 0
		.amdhsa_kernarg_size 384
		.amdhsa_user_sgpr_count 6
		.amdhsa_user_sgpr_private_segment_buffer 1
		.amdhsa_user_sgpr_dispatch_ptr 0
		.amdhsa_user_sgpr_queue_ptr 0
		.amdhsa_user_sgpr_kernarg_segment_ptr 1
		.amdhsa_user_sgpr_dispatch_id 0
		.amdhsa_user_sgpr_flat_scratch_init 0
		.amdhsa_user_sgpr_private_segment_size 0
		.amdhsa_wavefront_size32 1
		.amdhsa_uses_dynamic_stack 0
		.amdhsa_system_sgpr_private_segment_wavefront_offset 0
		.amdhsa_system_sgpr_workgroup_id_x 1
		.amdhsa_system_sgpr_workgroup_id_y 1
		.amdhsa_system_sgpr_workgroup_id_z 1
		.amdhsa_system_sgpr_workgroup_info 0
		.amdhsa_system_vgpr_workitem_id 0
		.amdhsa_next_free_vgpr 128
		.amdhsa_next_free_sgpr 27
		.amdhsa_reserve_vcc 1
		.amdhsa_reserve_flat_scratch 0
		.amdhsa_float_round_mode_32 0
		.amdhsa_float_round_mode_16_64 0
		.amdhsa_float_denorm_mode_32 3
		.amdhsa_float_denorm_mode_16_64 3
		.amdhsa_dx10_clamp 1
		.amdhsa_ieee_mode 1
		.amdhsa_fp16_overflow 0
		.amdhsa_workgroup_processor_mode 1
		.amdhsa_memory_ordered 1
		.amdhsa_forward_progress 1
		.amdhsa_shared_vgpr_count 0
		.amdhsa_exception_fp_ieee_invalid_op 0
		.amdhsa_exception_fp_denorm_src 0
		.amdhsa_exception_fp_ieee_div_zero 0
		.amdhsa_exception_fp_ieee_overflow 0
		.amdhsa_exception_fp_ieee_underflow 0
		.amdhsa_exception_fp_ieee_inexact 0
		.amdhsa_exception_int_div_zero 0
	.end_amdhsa_kernel
	.section	.text._ZN4vllm25paged_attention_v1_kernelI14__hip_bfloat16S1_Li192ELi16ELi128ELNS_18Fp8KVCacheDataTypeE0ELb0EEEvPT_PKS3_PKT0_S9_ifPKiSB_iPKfiiiSD_SD_iiiii,"axG",@progbits,_ZN4vllm25paged_attention_v1_kernelI14__hip_bfloat16S1_Li192ELi16ELi128ELNS_18Fp8KVCacheDataTypeE0ELb0EEEvPT_PKS3_PKT0_S9_ifPKiSB_iPKfiiiSD_SD_iiiii,comdat
.Lfunc_end142:
	.size	_ZN4vllm25paged_attention_v1_kernelI14__hip_bfloat16S1_Li192ELi16ELi128ELNS_18Fp8KVCacheDataTypeE0ELb0EEEvPT_PKS3_PKT0_S9_ifPKiSB_iPKfiiiSD_SD_iiiii, .Lfunc_end142-_ZN4vllm25paged_attention_v1_kernelI14__hip_bfloat16S1_Li192ELi16ELi128ELNS_18Fp8KVCacheDataTypeE0ELb0EEEvPT_PKS3_PKT0_S9_ifPKiSB_iPKfiiiSD_SD_iiiii
                                        ; -- End function
	.set _ZN4vllm25paged_attention_v1_kernelI14__hip_bfloat16S1_Li192ELi16ELi128ELNS_18Fp8KVCacheDataTypeE0ELb0EEEvPT_PKS3_PKT0_S9_ifPKiSB_iPKfiiiSD_SD_iiiii.num_vgpr, 128
	.set _ZN4vllm25paged_attention_v1_kernelI14__hip_bfloat16S1_Li192ELi16ELi128ELNS_18Fp8KVCacheDataTypeE0ELb0EEEvPT_PKS3_PKT0_S9_ifPKiSB_iPKfiiiSD_SD_iiiii.num_agpr, 0
	.set _ZN4vllm25paged_attention_v1_kernelI14__hip_bfloat16S1_Li192ELi16ELi128ELNS_18Fp8KVCacheDataTypeE0ELb0EEEvPT_PKS3_PKT0_S9_ifPKiSB_iPKfiiiSD_SD_iiiii.numbered_sgpr, 27
	.set _ZN4vllm25paged_attention_v1_kernelI14__hip_bfloat16S1_Li192ELi16ELi128ELNS_18Fp8KVCacheDataTypeE0ELb0EEEvPT_PKS3_PKT0_S9_ifPKiSB_iPKfiiiSD_SD_iiiii.num_named_barrier, 0
	.set _ZN4vllm25paged_attention_v1_kernelI14__hip_bfloat16S1_Li192ELi16ELi128ELNS_18Fp8KVCacheDataTypeE0ELb0EEEvPT_PKS3_PKT0_S9_ifPKiSB_iPKfiiiSD_SD_iiiii.private_seg_size, 0
	.set _ZN4vllm25paged_attention_v1_kernelI14__hip_bfloat16S1_Li192ELi16ELi128ELNS_18Fp8KVCacheDataTypeE0ELb0EEEvPT_PKS3_PKT0_S9_ifPKiSB_iPKfiiiSD_SD_iiiii.uses_vcc, 1
	.set _ZN4vllm25paged_attention_v1_kernelI14__hip_bfloat16S1_Li192ELi16ELi128ELNS_18Fp8KVCacheDataTypeE0ELb0EEEvPT_PKS3_PKT0_S9_ifPKiSB_iPKfiiiSD_SD_iiiii.uses_flat_scratch, 0
	.set _ZN4vllm25paged_attention_v1_kernelI14__hip_bfloat16S1_Li192ELi16ELi128ELNS_18Fp8KVCacheDataTypeE0ELb0EEEvPT_PKS3_PKT0_S9_ifPKiSB_iPKfiiiSD_SD_iiiii.has_dyn_sized_stack, 0
	.set _ZN4vllm25paged_attention_v1_kernelI14__hip_bfloat16S1_Li192ELi16ELi128ELNS_18Fp8KVCacheDataTypeE0ELb0EEEvPT_PKS3_PKT0_S9_ifPKiSB_iPKfiiiSD_SD_iiiii.has_recursion, 0
	.set _ZN4vllm25paged_attention_v1_kernelI14__hip_bfloat16S1_Li192ELi16ELi128ELNS_18Fp8KVCacheDataTypeE0ELb0EEEvPT_PKS3_PKT0_S9_ifPKiSB_iPKfiiiSD_SD_iiiii.has_indirect_call, 0
	.section	.AMDGPU.csdata,"",@progbits
; Kernel info:
; codeLenInByte = 14920
; TotalNumSgprs: 29
; NumVgprs: 128
; ScratchSize: 0
; MemoryBound: 0
; FloatMode: 240
; IeeeMode: 1
; LDSByteSize: 416 bytes/workgroup (compile time only)
; SGPRBlocks: 0
; VGPRBlocks: 15
; NumSGPRsForWavesPerEU: 29
; NumVGPRsForWavesPerEU: 128
; Occupancy: 8
; WaveLimiterHint : 1
; COMPUTE_PGM_RSRC2:SCRATCH_EN: 0
; COMPUTE_PGM_RSRC2:USER_SGPR: 6
; COMPUTE_PGM_RSRC2:TRAP_HANDLER: 0
; COMPUTE_PGM_RSRC2:TGID_X_EN: 1
; COMPUTE_PGM_RSRC2:TGID_Y_EN: 1
; COMPUTE_PGM_RSRC2:TGID_Z_EN: 1
; COMPUTE_PGM_RSRC2:TIDIG_COMP_CNT: 0
	.section	.text._ZN4vllm25paged_attention_v1_kernelI14__hip_bfloat16S1_Li256ELi16ELi128ELNS_18Fp8KVCacheDataTypeE0ELb0EEEvPT_PKS3_PKT0_S9_ifPKiSB_iPKfiiiSD_SD_iiiii,"axG",@progbits,_ZN4vllm25paged_attention_v1_kernelI14__hip_bfloat16S1_Li256ELi16ELi128ELNS_18Fp8KVCacheDataTypeE0ELb0EEEvPT_PKS3_PKT0_S9_ifPKiSB_iPKfiiiSD_SD_iiiii,comdat
	.protected	_ZN4vllm25paged_attention_v1_kernelI14__hip_bfloat16S1_Li256ELi16ELi128ELNS_18Fp8KVCacheDataTypeE0ELb0EEEvPT_PKS3_PKT0_S9_ifPKiSB_iPKfiiiSD_SD_iiiii ; -- Begin function _ZN4vllm25paged_attention_v1_kernelI14__hip_bfloat16S1_Li256ELi16ELi128ELNS_18Fp8KVCacheDataTypeE0ELb0EEEvPT_PKS3_PKT0_S9_ifPKiSB_iPKfiiiSD_SD_iiiii
	.globl	_ZN4vllm25paged_attention_v1_kernelI14__hip_bfloat16S1_Li256ELi16ELi128ELNS_18Fp8KVCacheDataTypeE0ELb0EEEvPT_PKS3_PKT0_S9_ifPKiSB_iPKfiiiSD_SD_iiiii
	.p2align	8
	.type	_ZN4vllm25paged_attention_v1_kernelI14__hip_bfloat16S1_Li256ELi16ELi128ELNS_18Fp8KVCacheDataTypeE0ELb0EEEvPT_PKS3_PKT0_S9_ifPKiSB_iPKfiiiSD_SD_iiiii,@function
_ZN4vllm25paged_attention_v1_kernelI14__hip_bfloat16S1_Li256ELi16ELi128ELNS_18Fp8KVCacheDataTypeE0ELb0EEEvPT_PKS3_PKT0_S9_ifPKiSB_iPKfiiiSD_SD_iiiii: ; @_ZN4vllm25paged_attention_v1_kernelI14__hip_bfloat16S1_Li256ELi16ELi128ELNS_18Fp8KVCacheDataTypeE0ELb0EEEvPT_PKS3_PKT0_S9_ifPKiSB_iPKfiiiSD_SD_iiiii
; %bb.0:
	s_mov_b64 s[38:39], s[2:3]
	s_mov_b64 s[36:37], s[0:1]
	s_mov_b32 s10, s7
	s_add_u32 s36, s36, s9
	s_clause 0x2
	s_load_dword s9, s[4:5], 0x80
	s_load_dwordx2 s[0:1], s[4:5], 0x30
	s_load_dwordx2 s[24:25], s[4:5], 0x20
	s_addc_u32 s37, s37, 0
	s_ashr_i32 s11, s7, 31
	v_mov_b32_e32 v108, v0
	s_lshl_b64 s[2:3], s[10:11], 2
	s_waitcnt lgkmcnt(0)
	s_add_u32 s0, s0, s2
	s_addc_u32 s1, s1, s3
	s_abs_i32 s2, s24
	s_abs_i32 s11, s9
	v_cvt_f32_u32_e32 v0, s2
	s_sub_i32 s7, 0, s2
	v_rcp_iflag_f32_e32 v0, v0
	v_mul_f32_e32 v0, 0x4f7ffffe, v0
	v_cvt_u32_f32_e32 v0, v0
	v_readfirstlane_b32 s3, v0
	s_mul_i32 s7, s7, s3
	s_mul_hi_u32 s7, s3, s7
	s_add_i32 s3, s3, s7
	s_xor_b32 s7, s9, s24
	s_mul_hi_u32 s3, s11, s3
	s_ashr_i32 s7, s7, 31
	s_mul_i32 s12, s3, s2
	s_mov_b32 s24, 0
	s_sub_i32 s11, s11, s12
	s_add_i32 s12, s3, 1
	s_sub_i32 s13, s11, s2
	s_cmp_ge_u32 s11, s2
	s_cselect_b32 s3, s12, s3
	s_cselect_b32 s11, s13, s11
	s_add_i32 s12, s3, 1
	s_cmp_ge_u32 s11, s2
	s_cselect_b32 s2, s12, s3
	s_abs_i32 s17, s6
	s_xor_b32 s2, s2, s7
	s_sub_i32 s18, s2, s7
	s_load_dwordx2 s[2:3], s[4:5], 0x40
	s_abs_i32 s16, s18
	v_cvt_f32_u32_e32 v0, s16
	s_sub_i32 s11, 0, s16
	v_rcp_iflag_f32_e32 v0, v0
	v_mul_f32_e32 v0, 0x4f7ffffe, v0
	v_cvt_u32_f32_e32 v0, v0
	v_readfirstlane_b32 s7, v0
	s_mul_i32 s11, s11, s7
	s_mul_hi_u32 s11, s7, s11
	s_add_i32 s7, s7, s11
	s_waitcnt lgkmcnt(0)
	s_cmp_eq_u64 s[2:3], 0
	s_mul_hi_u32 s20, s17, s7
	s_cbranch_scc1 .LBB143_2
; %bb.1:
	s_ashr_i32 s7, s6, 31
	s_lshl_b64 s[12:13], s[6:7], 2
	s_add_u32 s2, s2, s12
	s_addc_u32 s3, s3, s13
	s_load_dword s24, s[2:3], 0x0
.LBB143_2:
	s_load_dword s11, s[0:1], 0x0
	s_load_dwordx4 s[12:15], s[4:5], 0x48
	v_lshrrev_b32_e32 v107, 1, v108
	v_and_b32_e32 v109, 1, v108
	v_cmp_gt_u32_e64 s0, 64, v108
	v_lshlrev_b32_e32 v20, 3, v108
	s_ashr_i32 s1, s6, 31
	s_ashr_i32 s2, s18, 31
	s_lshl_b32 s6, s6, 8
	s_and_saveexec_b32 s3, s0
	s_cbranch_execz .LBB143_4
; %bb.3:
	s_load_dwordx2 s[18:19], s[4:5], 0x8
	s_waitcnt lgkmcnt(0)
	s_mul_i32 s22, s12, s10
	v_lshlrev_b32_e32 v2, 3, v107
	s_ashr_i32 s23, s22, 31
	s_lshl_b64 s[22:23], s[22:23], 1
	v_lshl_add_u32 v2, v109, 8, v2
	s_add_u32 s12, s18, s22
	s_addc_u32 s15, s19, s23
	s_ashr_i32 s7, s6, 31
	s_lshl_b64 s[18:19], s[6:7], 1
	s_add_u32 s18, s12, s18
	s_addc_u32 s19, s15, s19
	global_load_dwordx2 v[0:1], v20, s[18:19]
	s_waitcnt vmcnt(0)
	ds_write_b64 v2, v[0:1]
.LBB143_4:
	s_or_b32 exec_lo, exec_lo, s3
	s_waitcnt lgkmcnt(0)
	s_add_i32 s3, s11, 15
	s_clause 0x1
	s_load_dwordx2 s[18:19], s[4:5], 0x28
	s_load_dword s15, s[4:5], 0x38
	s_ashr_i32 s7, s3, 31
	s_xor_b32 s1, s1, s2
	s_lshr_b32 s7, s7, 28
	s_mul_i32 s2, s20, s16
	s_add_i32 s3, s3, s7
	s_sub_i32 s2, s17, s2
	s_ashr_i32 s12, s3, 4
	s_add_i32 s3, s20, 1
	s_sub_i32 s7, s2, s16
	s_cmp_ge_u32 s2, s16
	v_lshrrev_b32_e32 v110, 5, v108
	s_cselect_b32 s3, s3, s20
	s_cselect_b32 s2, s7, s2
	s_add_i32 s7, s3, 1
	s_cmp_ge_u32 s2, s16
	v_mbcnt_lo_u32_b32 v21, -1, 0
	s_cselect_b32 s2, s7, s3
	s_mov_b32 s3, exec_lo
	s_xor_b32 s2, s2, s1
	s_waitcnt lgkmcnt(0)
	s_mul_i32 s20, s15, s10
	s_sub_i32 s2, s2, s1
	v_cmp_gt_i32_e64 s1, s12, v110
	s_ashr_i32 s21, s20, 31
	s_barrier
	buffer_gl0_inv
                                        ; implicit-def: $vgpr9
                                        ; implicit-def: $vgpr10
	v_cmpx_le_i32_e64 s12, v110
	s_xor_b32 s3, exec_lo, s3
; %bb.5:
	v_mov_b32_e32 v9, 0
	v_mbcnt_lo_u32_b32 v21, -1, 0
	v_mov_b32_e32 v10, 32
; %bb.6:
	s_or_saveexec_b32 s26, s3
	s_clause 0x2
	s_load_dwordx2 s[16:17], s[4:5], 0x0
	s_load_dwordx2 s[22:23], s[4:5], 0x18
	s_load_dword s7, s[4:5], 0x88
	v_mov_b32_e32 v23, 0xff7fffff
	v_lshrrev_b32_e32 v27, 3, v108
	s_mul_i32 s14, s2, s14
	s_xor_b32 exec_lo, exec_lo, s26
	s_cbranch_execz .LBB143_12
; %bb.7:
	v_lshlrev_b32_e32 v1, 8, v109
	v_mov_b32_e32 v6, v108
	v_mov_b32_e32 v7, v109
	;; [unrolled: 1-line block ×3, first 2 shown]
	s_load_dwordx2 s[2:3], s[4:5], 0x10
	ds_read_b128 v[2:5], v1
	s_ashr_i32 s15, s14, 31
	buffer_store_dword v20, off, s[36:39], 0 offset:136 ; 4-byte Folded Spill
	s_lshl_b64 s[4:5], s[14:15], 1
	buffer_store_dword v21, off, s[36:39], 0 offset:144 ; 4-byte Folded Spill
	v_mov_b32_e32 v23, 0xff7fffff
	buffer_store_dword v6, off, s[36:39], 0 offset:124 ; 4-byte Folded Spill
	buffer_store_dword v7, off, s[36:39], 0 offset:128 ; 4-byte Folded Spill
	;; [unrolled: 1-line block ×4, first 2 shown]
	s_waitcnt lgkmcnt(0)
	s_add_u32 s2, s2, s4
	v_lshlrev_b32_e32 v0, 16, v2
	s_addc_u32 s3, s3, s5
	s_lshl_b64 s[28:29], s[20:21], 2
	s_mov_b32 s4, s13
	s_mov_b32 s5, 0
	buffer_store_dword v0, off, s[36:39], 0 ; 4-byte Folded Spill
	v_and_b32_e32 v0, 0xffff0000, v2
	buffer_store_dword v0, off, s[36:39], 0 offset:4 ; 4-byte Folded Spill
	v_lshlrev_b32_e32 v0, 16, v3
	buffer_store_dword v0, off, s[36:39], 0 offset:8 ; 4-byte Folded Spill
	v_and_b32_e32 v0, 0xffff0000, v3
	buffer_store_dword v0, off, s[36:39], 0 offset:12 ; 4-byte Folded Spill
	v_lshlrev_b32_e32 v0, 16, v4
	buffer_store_dword v0, off, s[36:39], 0 offset:16 ; 4-byte Folded Spill
	;; [unrolled: 4-line block ×3, first 2 shown]
	v_and_b32_e32 v0, 0xffff0000, v5
	ds_read_b128 v[2:5], v1 offset:16
	buffer_store_dword v0, off, s[36:39], 0 offset:28 ; 4-byte Folded Spill
	s_waitcnt lgkmcnt(0)
	v_lshlrev_b32_e32 v0, 16, v2
	buffer_store_dword v0, off, s[36:39], 0 offset:32 ; 4-byte Folded Spill
	v_and_b32_e32 v0, 0xffff0000, v2
	buffer_store_dword v0, off, s[36:39], 0 offset:36 ; 4-byte Folded Spill
	v_lshlrev_b32_e32 v0, 16, v3
	buffer_store_dword v0, off, s[36:39], 0 offset:40 ; 4-byte Folded Spill
	v_and_b32_e32 v0, 0xffff0000, v3
	buffer_store_dword v0, off, s[36:39], 0 offset:44 ; 4-byte Folded Spill
	v_lshlrev_b32_e32 v0, 16, v4
	buffer_store_dword v0, off, s[36:39], 0 offset:48 ; 4-byte Folded Spill
	v_and_b32_e32 v0, 0xffff0000, v4
	buffer_store_dword v0, off, s[36:39], 0 offset:52 ; 4-byte Folded Spill
	v_lshlrev_b32_e32 v0, 16, v5
	buffer_store_dword v0, off, s[36:39], 0 offset:56 ; 4-byte Folded Spill
	v_and_b32_e32 v0, 0xffff0000, v5
	ds_read_b128 v[2:5], v1 offset:32
	buffer_store_dword v0, off, s[36:39], 0 offset:60 ; 4-byte Folded Spill
	s_waitcnt lgkmcnt(0)
	v_lshlrev_b32_e32 v0, 16, v2
	buffer_store_dword v0, off, s[36:39], 0 offset:64 ; 4-byte Folded Spill
	v_and_b32_e32 v0, 0xffff0000, v2
	buffer_store_dword v0, off, s[36:39], 0 offset:68 ; 4-byte Folded Spill
	v_lshlrev_b32_e32 v0, 16, v3
	buffer_store_dword v0, off, s[36:39], 0 offset:72 ; 4-byte Folded Spill
	v_and_b32_e32 v0, 0xffff0000, v3
	buffer_store_dword v0, off, s[36:39], 0 offset:76 ; 4-byte Folded Spill
	;; [unrolled: 4-line block ×3, first 2 shown]
	v_lshlrev_b32_e32 v0, 16, v5
	buffer_store_dword v0, off, s[36:39], 0 offset:88 ; 4-byte Folded Spill
	v_and_b32_e32 v0, 0xffff0000, v5
	ds_read_b128 v[2:5], v1 offset:48
	buffer_store_dword v0, off, s[36:39], 0 offset:92 ; 4-byte Folded Spill
	s_waitcnt lgkmcnt(0)
	v_lshlrev_b32_e32 v0, 16, v2
	v_and_b32_e32 v43, 0xffff0000, v5
	buffer_store_dword v0, off, s[36:39], 0 offset:96 ; 4-byte Folded Spill
	v_and_b32_e32 v0, 0xffff0000, v2
	buffer_store_dword v0, off, s[36:39], 0 offset:100 ; 4-byte Folded Spill
	v_lshlrev_b32_e32 v0, 16, v3
	buffer_store_dword v0, off, s[36:39], 0 offset:104 ; 4-byte Folded Spill
	v_and_b32_e32 v0, 0xffff0000, v3
	buffer_store_dword v0, off, s[36:39], 0 offset:108 ; 4-byte Folded Spill
	v_lshlrev_b32_e32 v0, 16, v4
	;; [unrolled: 4-line block ×3, first 2 shown]
	ds_read_b128 v[2:5], v1 offset:64
	buffer_store_dword v0, off, s[36:39], 0 offset:120 ; 4-byte Folded Spill
	s_waitcnt lgkmcnt(0)
	v_lshlrev_b32_e32 v44, 16, v2
	v_and_b32_e32 v45, 0xffff0000, v2
	v_lshlrev_b32_e32 v46, 16, v3
	v_and_b32_e32 v47, 0xffff0000, v3
	v_lshlrev_b32_e32 v48, 16, v4
	v_and_b32_e32 v49, 0xffff0000, v4
	v_lshlrev_b32_e32 v50, 16, v5
	v_and_b32_e32 v51, 0xffff0000, v5
	ds_read_b128 v[2:5], v1 offset:80
	s_waitcnt lgkmcnt(0)
	v_lshlrev_b32_e32 v52, 16, v2
	v_and_b32_e32 v53, 0xffff0000, v2
	v_lshlrev_b32_e32 v54, 16, v3
	v_and_b32_e32 v55, 0xffff0000, v3
	v_lshlrev_b32_e32 v56, 16, v4
	v_and_b32_e32 v57, 0xffff0000, v4
	v_lshlrev_b32_e32 v58, 16, v5
	v_and_b32_e32 v59, 0xffff0000, v5
	ds_read_b128 v[2:5], v1 offset:96
	;; [unrolled: 10-line block ×10, first 2 shown]
	s_waitcnt lgkmcnt(0)
	v_lshlrev_b32_e32 v76, 16, v2
	v_and_b32_e32 v10, 0xffff0000, v2
	v_lshlrev_b32_e32 v9, 16, v3
	v_and_b32_e32 v77, 0xffff0000, v3
	;; [unrolled: 2-line block ×3, first 2 shown]
	ds_read_b128 v[1:4], v1 offset:240
	v_lshlrev_b32_e32 v0, 16, v5
	v_and_b32_e32 v11, 0xffff0000, v5
	s_waitcnt lgkmcnt(0)
	v_lshlrev_b32_e32 v12, 16, v1
	v_and_b32_e32 v13, 0xffff0000, v1
	v_bfe_u32 v1, v6, 1, 4
	v_lshlrev_b32_e32 v14, 16, v2
	v_and_b32_e32 v15, 0xffff0000, v2
	v_lshlrev_b32_e32 v16, 16, v3
	v_and_b32_e32 v17, 0xffff0000, v3
	;; [unrolled: 2-line block ×3, first 2 shown]
	v_lshl_or_b32 v24, v26, 4, v1
	v_lshlrev_b32_e32 v18, 16, v4
	v_and_b32_e32 v19, 0xffff0000, v4
	v_add_co_u32 v2, s15, s2, v2
	v_add_co_u32 v20, vcc_lo, v2, v3
	v_xor_b32_e32 v2, 1, v21
	v_add_co_ci_u32_e64 v3, null, s3, 0, s15
	s_sub_i32 s15, 1, s11
	s_add_u32 s3, s18, s28
	v_cmp_gt_i32_e64 s2, 32, v2
	s_addc_u32 s27, s19, s29
	v_cndmask_b32_e64 v2, v21, v2, s2
	v_add_co_ci_u32_e64 v21, null, 0, v3, vcc_lo
	v_cmp_neq_f32_e64 s2, s24, 0
	v_cmp_eq_u32_e32 vcc_lo, 0, v7
	v_lshlrev_b32_e32 v22, 2, v2
	v_lshlrev_b32_e32 v2, 2, v1
	v_and_b32_e32 v1, 0x7c, v27
	v_lshl_or_b32 v2, v26, 6, v2
	v_add_co_u32 v1, s3, s3, v1
	v_add_nc_u32_e32 v25, 0x220, v2
	v_add_co_ci_u32_e64 v2, null, s27, 0, s3
	s_branch .LBB143_9
.LBB143_8:                              ;   in Loop: Header=BB143_9 Depth=1
	s_or_b32 exec_lo, exec_lo, s27
	v_add_nc_u32_e32 v26, 4, v26
	v_add_co_u32 v1, s3, v1, 16
	v_add_co_ci_u32_e64 v2, null, 0, v2, s3
	v_cmp_le_i32_e64 s3, s12, v26
	v_add_nc_u32_e32 v24, 64, v24
	v_add_nc_u32_e32 v25, 0x100, v25
	s_or_b32 s5, s3, s5
	s_andn2_b32 exec_lo, exec_lo, s5
	s_cbranch_execz .LBB143_11
.LBB143_9:                              ; =>This Inner Loop Header: Depth=1
	global_load_dword v3, v[1:2], off
	s_waitcnt vmcnt(0) lgkmcnt(0)
	v_mad_i64_i32 v[3:4], null, v3, s4, 0
	v_lshlrev_b64 v[3:4], 1, v[3:4]
	v_add_co_u32 v31, s3, v20, v3
	v_add_co_ci_u32_e64 v32, null, v21, v4, s3
	global_load_dwordx2 v[3:4], v[31:32], off
	s_waitcnt vmcnt(0)
	v_lshlrev_b32_e32 v5, 16, v3
	v_and_b32_e32 v6, 0xffff0000, v3
	v_lshlrev_b32_e32 v7, 16, v4
	v_and_b32_e32 v8, 0xffff0000, v4
	global_load_dwordx2 v[3:4], v[31:32], off offset:256
	s_waitcnt vmcnt(0)
	v_lshlrev_b32_e32 v27, 16, v3
	v_and_b32_e32 v28, 0xffff0000, v3
	v_lshlrev_b32_e32 v29, 16, v4
	v_and_b32_e32 v30, 0xffff0000, v4
	global_load_dwordx2 v[3:4], v[31:32], off offset:512
	s_waitcnt vmcnt(0)
	v_lshlrev_b32_e32 v33, 16, v3
	v_and_b32_e32 v34, 0xffff0000, v3
	buffer_load_dword v3, off, s[36:39], 0 offset:16 ; 4-byte Folded Reload
	v_lshlrev_b32_e32 v35, 16, v4
	v_and_b32_e32 v36, 0xffff0000, v4
	s_waitcnt vmcnt(0)
	v_mul_f32_e32 v27, v3, v27
	buffer_load_dword v3, off, s[36:39], 0  ; 4-byte Folded Reload
	s_waitcnt vmcnt(0)
	v_fmac_f32_e32 v27, v3, v5
	buffer_load_dword v3, off, s[36:39], 0 offset:20 ; 4-byte Folded Reload
	s_waitcnt vmcnt(0)
	v_mul_f32_e32 v28, v3, v28
	buffer_load_dword v3, off, s[36:39], 0 offset:4 ; 4-byte Folded Reload
	s_waitcnt vmcnt(0)
	v_fmac_f32_e32 v28, v3, v6
	buffer_load_dword v3, off, s[36:39], 0 offset:24 ; 4-byte Folded Reload
	s_waitcnt vmcnt(0)
	v_mul_f32_e32 v29, v3, v29
	buffer_load_dword v3, off, s[36:39], 0 offset:8 ; 4-byte Folded Reload
	;; [unrolled: 6-line block ×3, first 2 shown]
	s_waitcnt vmcnt(0)
	v_fmac_f32_e32 v30, v3, v8
	global_load_dwordx2 v[3:4], v[31:32], off offset:768
	s_waitcnt vmcnt(0)
	v_lshlrev_b32_e32 v5, 16, v3
	v_and_b32_e32 v6, 0xffff0000, v3
	buffer_load_dword v3, off, s[36:39], 0 offset:32 ; 4-byte Folded Reload
	v_lshlrev_b32_e32 v7, 16, v4
	v_and_b32_e32 v8, 0xffff0000, v4
	s_waitcnt vmcnt(0)
	v_fmac_f32_e32 v27, v3, v33
	buffer_load_dword v3, off, s[36:39], 0 offset:36 ; 4-byte Folded Reload
	s_waitcnt vmcnt(0)
	v_fmac_f32_e32 v28, v3, v34
	buffer_load_dword v3, off, s[36:39], 0 offset:40 ; 4-byte Folded Reload
	s_waitcnt vmcnt(0)
	v_fmac_f32_e32 v29, v3, v35
	buffer_load_dword v3, off, s[36:39], 0 offset:44 ; 4-byte Folded Reload
	s_waitcnt vmcnt(0)
	v_fmac_f32_e32 v30, v3, v36
	global_load_dwordx2 v[3:4], v[31:32], off offset:1024
	s_waitcnt vmcnt(0)
	v_lshlrev_b32_e32 v33, 16, v3
	v_and_b32_e32 v34, 0xffff0000, v3
	buffer_load_dword v3, off, s[36:39], 0 offset:48 ; 4-byte Folded Reload
	v_lshlrev_b32_e32 v35, 16, v4
	v_and_b32_e32 v36, 0xffff0000, v4
	s_waitcnt vmcnt(0)
	v_fmac_f32_e32 v27, v3, v5
	buffer_load_dword v3, off, s[36:39], 0 offset:52 ; 4-byte Folded Reload
	s_waitcnt vmcnt(0)
	v_fmac_f32_e32 v28, v3, v6
	buffer_load_dword v3, off, s[36:39], 0 offset:56 ; 4-byte Folded Reload
	;; [unrolled: 3-line block ×3, first 2 shown]
	s_waitcnt vmcnt(0)
	v_fmac_f32_e32 v30, v3, v8
	global_load_dwordx2 v[3:4], v[31:32], off offset:1280
	s_waitcnt vmcnt(0)
	v_lshlrev_b32_e32 v5, 16, v3
	v_and_b32_e32 v6, 0xffff0000, v3
	buffer_load_dword v3, off, s[36:39], 0 offset:64 ; 4-byte Folded Reload
	v_lshlrev_b32_e32 v7, 16, v4
	v_and_b32_e32 v8, 0xffff0000, v4
	s_waitcnt vmcnt(0)
	v_fmac_f32_e32 v27, v3, v33
	buffer_load_dword v3, off, s[36:39], 0 offset:68 ; 4-byte Folded Reload
	v_add_co_u32 v33, s3, 0x800, v31
	s_waitcnt vmcnt(0)
	v_fmac_f32_e32 v28, v3, v34
	buffer_load_dword v3, off, s[36:39], 0 offset:72 ; 4-byte Folded Reload
	v_add_co_ci_u32_e64 v34, null, 0, v32, s3
	s_waitcnt vmcnt(0)
	v_fmac_f32_e32 v29, v3, v35
	buffer_load_dword v3, off, s[36:39], 0 offset:76 ; 4-byte Folded Reload
	s_waitcnt vmcnt(0)
	v_fmac_f32_e32 v30, v3, v36
	global_load_dwordx2 v[3:4], v[31:32], off offset:1536
	s_waitcnt vmcnt(0)
	v_lshlrev_b32_e32 v35, 16, v3
	v_and_b32_e32 v36, 0xffff0000, v3
	buffer_load_dword v3, off, s[36:39], 0 offset:80 ; 4-byte Folded Reload
	v_lshlrev_b32_e32 v37, 16, v4
	v_and_b32_e32 v38, 0xffff0000, v4
	s_waitcnt vmcnt(0)
	v_fmac_f32_e32 v27, v3, v5
	buffer_load_dword v3, off, s[36:39], 0 offset:84 ; 4-byte Folded Reload
	s_waitcnt vmcnt(0)
	v_fmac_f32_e32 v28, v3, v6
	buffer_load_dword v3, off, s[36:39], 0 offset:88 ; 4-byte Folded Reload
	;; [unrolled: 3-line block ×3, first 2 shown]
	v_add_co_u32 v7, s3, v31, 0x1000
	s_waitcnt vmcnt(0)
	v_fmac_f32_e32 v30, v3, v8
	v_add_co_ci_u32_e64 v8, null, 0, v32, s3
	v_add_co_u32 v5, s3, 0x1000, v31
	v_add_co_ci_u32_e64 v6, null, 0, v32, s3
	v_add_co_u32 v3, s3, 0x1800, v31
	v_add_co_ci_u32_e64 v4, null, 0, v32, s3
	global_load_dwordx2 v[31:32], v[31:32], off offset:1792
	s_waitcnt vmcnt(0)
	v_lshlrev_b32_e32 v39, 16, v31
	v_and_b32_e32 v40, 0xffff0000, v31
	buffer_load_dword v31, off, s[36:39], 0 offset:96 ; 4-byte Folded Reload
	v_lshlrev_b32_e32 v41, 16, v32
	v_and_b32_e32 v42, 0xffff0000, v32
	s_waitcnt vmcnt(0)
	v_fmac_f32_e32 v27, v31, v35
	buffer_load_dword v31, off, s[36:39], 0 offset:100 ; 4-byte Folded Reload
	s_waitcnt vmcnt(0)
	v_fmac_f32_e32 v28, v31, v36
	buffer_load_dword v31, off, s[36:39], 0 offset:104 ; 4-byte Folded Reload
	;; [unrolled: 3-line block ×3, first 2 shown]
	s_waitcnt vmcnt(0)
	v_fmac_f32_e32 v30, v31, v38
	s_clause 0x1
	global_load_dwordx2 v[31:32], v[7:8], off offset:-2048
	global_load_dwordx2 v[7:8], v[7:8], off
	v_fmac_f32_e32 v30, v43, v42
	s_waitcnt vmcnt(1)
	v_lshlrev_b32_e32 v35, 16, v31
	v_and_b32_e32 v36, 0xffff0000, v31
	buffer_load_dword v31, off, s[36:39], 0 offset:112 ; 4-byte Folded Reload
	v_lshlrev_b32_e32 v37, 16, v32
	v_and_b32_e32 v38, 0xffff0000, v32
	v_fmac_f32_e32 v30, v47, v38
	s_waitcnt vmcnt(0)
	v_fmac_f32_e32 v27, v31, v39
	buffer_load_dword v31, off, s[36:39], 0 offset:116 ; 4-byte Folded Reload
	v_fmac_f32_e32 v27, v44, v35
	s_waitcnt vmcnt(0)
	v_fmac_f32_e32 v28, v31, v40
	buffer_load_dword v31, off, s[36:39], 0 offset:120 ; 4-byte Folded Reload
	v_fmac_f32_e32 v28, v45, v36
	s_waitcnt vmcnt(0)
	v_fmac_f32_e32 v29, v31, v41
	global_load_dwordx2 v[31:32], v[33:34], off offset:256
	v_fmac_f32_e32 v29, v46, v37
	s_waitcnt vmcnt(0)
	v_lshlrev_b32_e32 v39, 16, v31
	v_and_b32_e32 v40, 0xffff0000, v31
	v_lshlrev_b32_e32 v41, 16, v32
	v_and_b32_e32 v42, 0xffff0000, v32
	global_load_dwordx2 v[31:32], v[33:34], off offset:512
	v_fmac_f32_e32 v27, v48, v39
	v_fmac_f32_e32 v28, v49, v40
	v_fmac_f32_e32 v29, v50, v41
	v_fmac_f32_e32 v30, v51, v42
	s_waitcnt vmcnt(0)
	v_lshlrev_b32_e32 v35, 16, v31
	v_and_b32_e32 v36, 0xffff0000, v31
	v_lshlrev_b32_e32 v37, 16, v32
	v_and_b32_e32 v38, 0xffff0000, v32
	global_load_dwordx2 v[31:32], v[33:34], off offset:768
	v_fmac_f32_e32 v27, v52, v35
	v_fmac_f32_e32 v28, v53, v36
	v_fmac_f32_e32 v29, v54, v37
	;; [unrolled: 10-line block ×6, first 2 shown]
	v_fmac_f32_e32 v30, v71, v38
	v_lshlrev_b32_e32 v35, 16, v7
	v_and_b32_e32 v36, 0xffff0000, v7
	v_lshlrev_b32_e32 v37, 16, v8
	v_and_b32_e32 v38, 0xffff0000, v8
	global_load_dwordx2 v[7:8], v[5:6], off offset:256
	s_waitcnt vmcnt(1)
	v_lshlrev_b32_e32 v33, 16, v31
	v_and_b32_e32 v31, 0xffff0000, v31
	v_lshlrev_b32_e32 v34, 16, v32
	v_and_b32_e32 v32, 0xffff0000, v32
	v_fmac_f32_e32 v27, v72, v33
	v_fmac_f32_e32 v28, v73, v31
	;; [unrolled: 1-line block ×4, first 2 shown]
	s_waitcnt vmcnt(0)
	v_lshlrev_b32_e32 v31, 16, v7
	v_and_b32_e32 v32, 0xffff0000, v7
	v_lshlrev_b32_e32 v33, 16, v8
	v_and_b32_e32 v34, 0xffff0000, v8
	global_load_dwordx2 v[7:8], v[5:6], off offset:512
	v_fmac_f32_e32 v27, v79, v35
	v_fmac_f32_e32 v28, v80, v36
	;; [unrolled: 1-line block ×8, first 2 shown]
	s_waitcnt vmcnt(0)
	v_lshlrev_b32_e32 v35, 16, v7
	v_and_b32_e32 v36, 0xffff0000, v7
	v_lshlrev_b32_e32 v37, 16, v8
	v_and_b32_e32 v38, 0xffff0000, v8
	global_load_dwordx2 v[7:8], v[5:6], off offset:768
	v_fmac_f32_e32 v27, v87, v35
	v_fmac_f32_e32 v28, v88, v36
	v_fmac_f32_e32 v29, v89, v37
	v_fmac_f32_e32 v30, v90, v38
	s_waitcnt vmcnt(0)
	v_lshlrev_b32_e32 v31, 16, v7
	v_and_b32_e32 v32, 0xffff0000, v7
	v_lshlrev_b32_e32 v33, 16, v8
	v_and_b32_e32 v34, 0xffff0000, v8
	global_load_dwordx2 v[7:8], v[5:6], off offset:1024
	v_fmac_f32_e32 v27, v91, v31
	v_fmac_f32_e32 v28, v92, v32
	v_fmac_f32_e32 v29, v93, v33
	v_fmac_f32_e32 v30, v94, v34
	;; [unrolled: 10-line block ×3, first 2 shown]
	s_waitcnt vmcnt(0)
	v_lshlrev_b32_e32 v31, 16, v7
	v_and_b32_e32 v32, 0xffff0000, v7
	v_lshlrev_b32_e32 v33, 16, v8
	v_and_b32_e32 v34, 0xffff0000, v8
	s_clause 0x1
	global_load_dwordx2 v[7:8], v[5:6], off offset:1536
	global_load_dwordx2 v[5:6], v[5:6], off offset:1792
	v_fmac_f32_e32 v27, v99, v31
	v_fmac_f32_e32 v28, v100, v32
	;; [unrolled: 1-line block ×4, first 2 shown]
	s_waitcnt vmcnt(1)
	v_lshlrev_b32_e32 v35, 16, v7
	s_waitcnt vmcnt(0)
	v_lshlrev_b32_e32 v31, 16, v5
	v_and_b32_e32 v32, 0xffff0000, v5
	v_lshlrev_b32_e32 v33, 16, v6
	v_and_b32_e32 v34, 0xffff0000, v6
	global_load_dwordx2 v[5:6], v[3:4], off
	v_and_b32_e32 v7, 0xffff0000, v7
	v_lshlrev_b32_e32 v36, 16, v8
	v_and_b32_e32 v8, 0xffff0000, v8
	v_fmac_f32_e32 v27, v103, v35
	v_fmac_f32_e32 v28, v104, v7
	;; [unrolled: 1-line block ×8, first 2 shown]
	s_waitcnt vmcnt(0)
	v_lshlrev_b32_e32 v7, 16, v5
	v_and_b32_e32 v8, 0xffff0000, v5
	v_lshlrev_b32_e32 v35, 16, v6
	v_and_b32_e32 v36, 0xffff0000, v6
	global_load_dwordx2 v[5:6], v[3:4], off offset:256
	v_fmac_f32_e32 v27, v111, v7
	v_fmac_f32_e32 v28, v112, v8
	v_fmac_f32_e32 v29, v113, v35
	v_fmac_f32_e32 v30, v114, v36
	s_waitcnt vmcnt(0)
	v_lshlrev_b32_e32 v31, 16, v5
	v_and_b32_e32 v32, 0xffff0000, v5
	v_lshlrev_b32_e32 v33, 16, v6
	v_and_b32_e32 v34, 0xffff0000, v6
	global_load_dwordx2 v[5:6], v[3:4], off offset:512
	v_fmac_f32_e32 v27, v115, v31
	v_fmac_f32_e32 v28, v116, v32
	v_fmac_f32_e32 v29, v117, v33
	v_fmac_f32_e32 v30, v118, v34
	;; [unrolled: 10-line block ×5, first 2 shown]
	s_waitcnt vmcnt(0)
	v_lshlrev_b32_e32 v31, 16, v5
	v_and_b32_e32 v32, 0xffff0000, v5
	v_lshlrev_b32_e32 v33, 16, v6
	v_and_b32_e32 v34, 0xffff0000, v6
	s_clause 0x1
	global_load_dwordx2 v[5:6], v[3:4], off offset:1536
	global_load_dwordx2 v[3:4], v[3:4], off offset:1792
	v_fmac_f32_e32 v27, v119, v31
	v_fmac_f32_e32 v28, v75, v32
	;; [unrolled: 1-line block ×4, first 2 shown]
	s_waitcnt vmcnt(1)
	v_lshlrev_b32_e32 v7, 16, v5
	v_and_b32_e32 v5, 0xffff0000, v5
	v_lshlrev_b32_e32 v8, 16, v6
	v_and_b32_e32 v6, 0xffff0000, v6
	v_fmac_f32_e32 v27, v12, v7
	v_fmac_f32_e32 v28, v13, v5
	s_waitcnt vmcnt(0)
	v_lshlrev_b32_e32 v5, 16, v3
	v_and_b32_e32 v3, 0xffff0000, v3
	v_fmac_f32_e32 v29, v14, v8
	v_fmac_f32_e32 v30, v15, v6
	;; [unrolled: 1-line block ×4, first 2 shown]
	v_lshlrev_b32_e32 v3, 16, v4
	v_and_b32_e32 v4, 0xffff0000, v4
	v_fmac_f32_e32 v29, v18, v3
	v_add_f32_e32 v3, v27, v28
	v_fmac_f32_e32 v30, v19, v4
	v_add_f32_e32 v3, v3, v29
	v_add_f32_e32 v3, v30, v3
	ds_bpermute_b32 v4, v22, v3
	s_and_saveexec_b32 s27, vcc_lo
	s_cbranch_execz .LBB143_8
; %bb.10:                               ;   in Loop: Header=BB143_9 Depth=1
	v_add_nc_u32_e32 v5, s15, v24
	s_waitcnt lgkmcnt(0)
	v_add_f32_e32 v3, v3, v4
	v_cmp_gt_i32_e64 s3, s11, v24
	v_cvt_f32_i32_e32 v5, v5
	v_mul_f32_e32 v5, s24, v5
	v_cndmask_b32_e64 v4, 0, v5, s2
	v_max_f32_e32 v5, v23, v23
	v_fmac_f32_e32 v4, s25, v3
	v_max_f32_e32 v3, v5, v4
	v_cndmask_b32_e64 v4, 0, v4, s3
	v_cndmask_b32_e64 v23, v23, v3, s3
	ds_write_b32 v25, v4
	s_branch .LBB143_8
.LBB143_11:
	s_or_b32 exec_lo, exec_lo, s5
	s_clause 0x5
	buffer_load_dword v108, off, s[36:39], 0 offset:124
	buffer_load_dword v109, off, s[36:39], 0 offset:128
	buffer_load_dword v110, off, s[36:39], 0 offset:132
	buffer_load_dword v20, off, s[36:39], 0 offset:136
	buffer_load_dword v27, off, s[36:39], 0 offset:140
	buffer_load_dword v21, off, s[36:39], 0 offset:144
	v_mov_b32_e32 v9, 0
	v_mov_b32_e32 v10, 32
	s_waitcnt vmcnt(5)
	v_lshrrev_b32_e32 v107, 1, v108
.LBB143_12:
	s_or_b32 exec_lo, exec_lo, s26
	s_waitcnt vmcnt(0)
	v_xor_b32_e32 v0, 16, v21
	v_xor_b32_e32 v2, 8, v21
	s_waitcnt lgkmcnt(0)
	v_max_f32_e32 v4, v23, v23
	v_xor_b32_e32 v5, 2, v21
	v_and_b32_e32 v78, 31, v108
	v_cmp_lt_i32_e32 vcc_lo, v0, v10
	v_cndmask_b32_e32 v0, v21, v0, vcc_lo
	v_cmp_lt_i32_e32 vcc_lo, v2, v10
	v_lshlrev_b32_e32 v1, 2, v0
	v_cndmask_b32_e32 v2, v21, v2, vcc_lo
	ds_bpermute_b32 v0, v1, v23
	v_lshlrev_b32_e32 v3, 2, v2
	s_waitcnt lgkmcnt(0)
	v_max_f32_e32 v0, v0, v0
	v_max_f32_e32 v0, v4, v0
	v_xor_b32_e32 v4, 4, v21
	ds_bpermute_b32 v2, v3, v0
	v_cmp_lt_i32_e32 vcc_lo, v4, v10
	v_cndmask_b32_e32 v4, v21, v4, vcc_lo
	v_cmp_lt_i32_e32 vcc_lo, v5, v10
	v_lshlrev_b32_e32 v4, 2, v4
	v_cndmask_b32_e32 v5, v21, v5, vcc_lo
	v_cmp_eq_u32_e32 vcc_lo, 0, v78
	s_waitcnt lgkmcnt(0)
	v_max_f32_e32 v2, v2, v2
	v_max_f32_e32 v0, v0, v2
	ds_bpermute_b32 v2, v4, v0
	s_waitcnt lgkmcnt(0)
	v_max_f32_e32 v2, v2, v2
	v_max_f32_e32 v2, v0, v2
	v_lshlrev_b32_e32 v0, 2, v5
	v_lshlrev_b32_e32 v5, 2, v110
	ds_bpermute_b32 v6, v0, v2
	s_and_saveexec_b32 s2, vcc_lo
	s_cbranch_execz .LBB143_14
; %bb.13:
	s_waitcnt lgkmcnt(0)
	v_max_f32_e32 v6, v6, v6
	v_max_f32_e32 v2, v2, v2
	;; [unrolled: 1-line block ×3, first 2 shown]
	ds_write_b32 v5, v2 offset:512
.LBB143_14:
	s_or_b32 exec_lo, exec_lo, s2
	v_cmp_gt_u32_e64 s2, 4, v78
	v_mov_b32_e32 v2, 0xff7fffff
	s_waitcnt lgkmcnt(0)
	v_lshlrev_b32_e32 v6, 2, v78
	s_waitcnt_vscnt null, 0x0
	s_barrier
	buffer_gl0_inv
	s_and_saveexec_b32 s3, s2
; %bb.15:
	ds_read_b32 v2, v6 offset:512
; %bb.16:
	s_or_b32 exec_lo, exec_lo, s3
	s_waitcnt lgkmcnt(0)
	ds_bpermute_b32 v7, v0, v2
	v_xor_b32_e32 v8, 1, v21
	v_max_f32_e32 v2, v2, v2
	v_cmp_lt_i32_e64 s3, v8, v10
	v_cndmask_b32_e64 v8, v21, v8, s3
	s_lshl_b32 s3, s12, 4
	s_min_i32 s5, s3, s11
	v_lshlrev_b32_e32 v79, 2, v8
	v_cmp_gt_i32_e64 s3, s5, v108
	s_waitcnt lgkmcnt(0)
	v_max_f32_e32 v7, v7, v7
	v_max_f32_e32 v2, v2, v7
	ds_bpermute_b32 v7, v79, v2
	s_waitcnt lgkmcnt(0)
	v_max_f32_e32 v7, v7, v7
	v_max_f32_e32 v2, v2, v7
	v_lshlrev_b32_e32 v7, 2, v9
	ds_bpermute_b32 v8, v7, v2
	v_mov_b32_e32 v7, 0
	v_lshl_add_u32 v2, v108, 2, 0x220
	s_and_saveexec_b32 s15, s3
	s_cbranch_execz .LBB143_20
; %bb.17:
	v_lshl_add_u32 v9, v108, 2, 0x220
	v_mov_b32_e32 v7, 0
	v_mov_b32_e32 v10, v108
	s_mov_b32 s24, 0
	.p2align	6
.LBB143_18:                             ; =>This Inner Loop Header: Depth=1
	ds_read_b32 v11, v9
	v_add_nc_u32_e32 v10, 0x80, v10
	v_cmp_le_i32_e64 s4, s5, v10
	s_or_b32 s24, s4, s24
	s_waitcnt lgkmcnt(0)
	v_sub_f32_e32 v11, v11, v8
	v_mul_f32_e32 v11, 0x3fb8aa3b, v11
	v_exp_f32_e32 v11, v11
	ds_write_b32 v9, v11
	v_add_f32_e32 v7, v7, v11
	v_add_nc_u32_e32 v9, 0x200, v9
	s_andn2_b32 exec_lo, exec_lo, s24
	s_cbranch_execnz .LBB143_18
; %bb.19:
	s_or_b32 exec_lo, exec_lo, s24
.LBB143_20:
	s_or_b32 exec_lo, exec_lo, s15
	ds_bpermute_b32 v1, v1, v7
	s_waitcnt lgkmcnt(0)
	v_add_f32_e32 v1, v7, v1
	ds_bpermute_b32 v3, v3, v1
	s_waitcnt lgkmcnt(0)
	v_add_f32_e32 v1, v1, v3
	;; [unrolled: 3-line block ×5, first 2 shown]
	s_and_saveexec_b32 s4, vcc_lo
; %bb.21:
	ds_write_b32 v5, v1 offset:528
; %bb.22:
	s_or_b32 exec_lo, exec_lo, s4
	s_waitcnt lgkmcnt(0)
	s_barrier
	buffer_gl0_inv
	s_and_saveexec_b32 s4, s2
; %bb.23:
	ds_read_b32 v1, v6 offset:528
; %bb.24:
	s_or_b32 exec_lo, exec_lo, s4
	s_waitcnt lgkmcnt(0)
	ds_bpermute_b32 v0, v0, v1
	v_lshlrev_b32_e32 v3, 2, v21
	s_waitcnt lgkmcnt(0)
	v_add_f32_e32 v0, v1, v0
	ds_bpermute_b32 v1, v79, v0
	s_waitcnt lgkmcnt(0)
	v_add_f32_e32 v0, v0, v1
	v_and_b32_e32 v1, 0xffffff80, v3
	ds_bpermute_b32 v0, v1, v0
	s_and_saveexec_b32 s2, s3
	s_cbranch_execz .LBB143_27
; %bb.25:
	s_waitcnt lgkmcnt(0)
	v_add_f32_e32 v0, 0x358637bd, v0
	s_mov_b32 s3, 0
	v_div_scale_f32 v1, null, v0, v0, 1.0
	v_div_scale_f32 v5, vcc_lo, 1.0, v0, 1.0
	v_rcp_f32_e32 v3, v1
	v_fma_f32 v4, -v1, v3, 1.0
	v_fmac_f32_e32 v3, v4, v3
	v_mul_f32_e32 v4, v5, v3
	v_fma_f32 v6, -v1, v4, v5
	v_fmac_f32_e32 v4, v6, v3
	v_fma_f32 v1, -v1, v4, v5
	v_div_fmas_f32 v1, v1, v3, v4
	v_div_fixup_f32 v0, v1, v0, 1.0
	v_mov_b32_e32 v1, v108
.LBB143_26:                             ; =>This Inner Loop Header: Depth=1
	ds_read_b32 v3, v2
	v_add_nc_u32_e32 v1, 0x80, v1
	v_cmp_le_i32_e32 vcc_lo, s5, v1
	s_or_b32 s3, vcc_lo, s3
	s_waitcnt lgkmcnt(0)
	v_mul_f32_e32 v3, v0, v3
	ds_write_b32 v2, v3
	v_add_nc_u32_e32 v2, 0x200, v2
	s_andn2_b32 exec_lo, exec_lo, s3
	s_cbranch_execnz .LBB143_26
.LBB143_27:
	s_or_b32 exec_lo, exec_lo, s2
	v_mov_b32_e32 v94, 0
	v_mov_b32_e32 v95, 0
	;; [unrolled: 1-line block ×16, first 2 shown]
	s_waitcnt lgkmcnt(0)
	s_barrier
	buffer_gl0_inv
	s_and_saveexec_b32 s4, s1
	s_cbranch_execz .LBB143_63
; %bb.28:
	v_lshlrev_b32_e32 v0, 4, v108
	s_ashr_i32 s15, s14, 31
	v_lshlrev_b32_e32 v2, 5, v109
	s_lshl_b64 s[2:3], s[14:15], 1
	v_and_b32_e32 v1, 8, v20
	v_and_b32_e32 v0, 0x1f0, v0
	s_add_u32 s1, s22, s2
	s_addc_u32 s2, s23, s3
	s_add_i32 s5, s12, -1
	v_lshl_or_b32 v2, v110, 6, v2
	v_add_co_u32 v97, s1, s1, v0
	v_and_b32_e32 v0, 0x7c, v27
	v_add_co_ci_u32_e64 v98, null, s2, 0, s1
	s_lshl_b64 s[2:3], s[20:21], 2
	v_mov_b32_e32 v96, 0
	s_add_u32 s1, s18, s2
	s_addc_u32 s2, s19, s3
	v_add_co_u32 v73, s1, s1, v0
	v_lshl_or_b32 v99, v110, 4, v1
	v_add_nc_u32_e32 v100, 0x220, v2
	v_add_co_ci_u32_e64 v74, null, s2, 0, s1
	v_mov_b32_e32 v80, 0
	v_mov_b32_e32 v81, 0
	;; [unrolled: 1-line block ×17, first 2 shown]
	s_mov_b32 s15, s11
	s_mov_b32 s14, 0
	s_branch .LBB143_30
.LBB143_29:                             ;   in Loop: Header=BB143_30 Depth=1
	s_or_b32 exec_lo, exec_lo, s3
	s_waitcnt lgkmcnt(1)
	v_bfe_u32 v0, v49, 16, 1
	v_bfe_u32 v75, v50, 16, 1
	v_or_b32_e32 v76, 0x400000, v49
	v_cmp_u_f32_e32 vcc_lo, v49, v49
	v_or_b32_e32 v77, 0x400000, v50
	v_add3_u32 v0, v0, v49, 0x7fff
	v_bfe_u32 v102, v51, 16, 1
	v_add3_u32 v75, v75, v50, 0x7fff
	v_bfe_u32 v103, v52, 16, 1
	v_add_nc_u32_e32 v101, 4, v101
	v_cndmask_b32_e32 v0, v0, v76, vcc_lo
	v_cmp_u_f32_e32 vcc_lo, v50, v50
	v_add3_u32 v50, v102, v51, 0x7fff
	s_waitcnt lgkmcnt(0)
	v_bfe_u32 v76, v45, 16, 1
	v_or_b32_e32 v102, 0x400000, v52
	v_add_co_u32 v73, s1, v73, 16
	v_cndmask_b32_e32 v49, v75, v77, vcc_lo
	v_or_b32_e32 v75, 0x400000, v51
	v_cmp_u_f32_e32 vcc_lo, v51, v51
	v_add3_u32 v77, v103, v52, 0x7fff
	v_add3_u32 v51, v76, v45, 0x7fff
	v_bfe_u32 v76, v46, 16, 1
	v_add_nc_u32_e32 v99, 64, v99
	v_cndmask_b32_e32 v50, v50, v75, vcc_lo
	v_cmp_u_f32_e32 vcc_lo, v52, v52
	v_or_b32_e32 v75, 0x400000, v45
	v_add3_u32 v76, v76, v46, 0x7fff
	v_add_nc_u32_e32 v100, 0x100, v100
	v_and_b32_e32 v50, 0xffff0000, v50
	v_cndmask_b32_e32 v52, v77, v102, vcc_lo
	v_cmp_u_f32_e32 vcc_lo, v45, v45
	v_and_b32_e32 v45, 0xffff0000, v49
	s_waitcnt vmcnt(1)
	v_and_b32_e32 v49, 0xffff0000, v69
	v_or_b32_e32 v77, 0x400000, v46
	v_or_b32_e32 v102, 0x400000, v47
	v_cndmask_b32_e32 v51, v51, v75, vcc_lo
	v_bfe_u32 v75, v47, 16, 1
	v_cmp_u_f32_e32 vcc_lo, v46, v46
	v_mul_f32_e32 v103, v45, v49
	v_and_b32_e32 v49, 0xffff0000, v0
	v_lshlrev_b32_e32 v0, 16, v69
	v_add3_u32 v75, v75, v47, 0x7fff
	v_cndmask_b32_e32 v46, v76, v77, vcc_lo
	v_bfe_u32 v76, v48, 16, 1
	v_cmp_u_f32_e32 vcc_lo, v47, v47
	v_bfe_u32 v47, v103, 16, 1
	v_mul_f32_e32 v0, v49, v0
	v_and_b32_e32 v46, 0xffff0000, v46
	v_add3_u32 v69, v76, v48, 0x7fff
	v_cndmask_b32_e32 v75, v75, v102, vcc_lo
	v_or_b32_e32 v76, 0x400000, v48
	v_cmp_u_f32_e32 vcc_lo, v48, v48
	v_add3_u32 v77, v47, v103, 0x7fff
	v_or_b32_e32 v102, 0x400000, v103
	v_and_b32_e32 v47, 0xffff0000, v52
	v_and_b32_e32 v52, 0xffff0000, v70
	v_cndmask_b32_e32 v48, v69, v76, vcc_lo
	v_cmp_u_f32_e32 vcc_lo, v103, v103
	v_bfe_u32 v76, v0, 16, 1
	v_add_co_ci_u32_e64 v74, null, 0, v74, s1
	v_and_b32_e32 v48, 0xffff0000, v48
	v_cndmask_b32_e32 v69, v77, v102, vcc_lo
	v_mul_f32_e32 v77, v47, v52
	v_lshlrev_b32_e32 v52, 16, v70
	v_and_b32_e32 v70, 0xffff0000, v71
	v_add3_u32 v76, v76, v0, 0x7fff
	v_or_b32_e32 v102, 0x400000, v0
	v_bfe_u32 v103, v77, 16, 1
	v_mul_f32_e32 v104, v50, v52
	v_cmp_u_f32_e32 vcc_lo, v0, v0
	v_mul_f32_e32 v70, v46, v70
	v_and_b32_e32 v52, 0xffff0000, v51
	v_lshlrev_b32_e32 v51, 16, v71
	v_and_b32_e32 v69, 0xffff0000, v69
	v_cndmask_b32_e32 v0, v76, v102, vcc_lo
	v_add3_u32 v76, v103, v77, 0x7fff
	v_or_b32_e32 v102, 0x400000, v77
	v_bfe_u32 v103, v104, 16, 1
	v_cmp_u_f32_e32 vcc_lo, v77, v77
	v_bfe_u32 v105, v70, 16, 1
	v_or_b32_e32 v77, 0x400000, v104
	v_and_b32_e32 v0, 0xffff0000, v0
	v_cndmask_b32_e32 v71, v76, v102, vcc_lo
	v_add3_u32 v76, v103, v104, 0x7fff
	v_mul_f32_e32 v102, v52, v51
	v_cmp_u_f32_e32 vcc_lo, v104, v104
	v_add3_u32 v51, v105, v70, 0x7fff
	v_and_b32_e32 v103, 0xffff0000, v72
	v_or_b32_e32 v105, 0x400000, v70
	v_bfe_u32 v106, v102, 16, 1
	v_cndmask_b32_e32 v76, v76, v77, vcc_lo
	v_cmp_u_f32_e32 vcc_lo, v70, v70
	v_mul_f32_e32 v77, v48, v103
	v_or_b32_e32 v104, 0x400000, v102
	v_add3_u32 v103, v106, v102, 0x7fff
	v_lshlrev_b32_e32 v72, 16, v72
	v_cndmask_b32_e32 v70, v51, v105, vcc_lo
	v_cmp_u_f32_e32 vcc_lo, v102, v102
	v_bfe_u32 v105, v77, 16, 1
	v_and_b32_e32 v51, 0xffff0000, v75
	v_and_b32_e32 v76, 0xffff0000, v76
	;; [unrolled: 1-line block ×3, first 2 shown]
	v_cndmask_b32_e32 v75, v103, v104, vcc_lo
	v_add3_u32 v102, v105, v77, 0x7fff
	v_or_b32_e32 v103, 0x400000, v77
	v_mul_f32_e32 v72, v51, v72
	v_cmp_u_f32_e32 vcc_lo, v77, v77
	v_add_f32_e32 v0, v0, v69
	v_add_f32_e32 v69, v76, v71
	v_and_b32_e32 v71, 0xffff0000, v75
	v_and_b32_e32 v75, 0xffff0000, v65
	;; [unrolled: 1-line block ×3, first 2 shown]
	v_cndmask_b32_e32 v77, v102, v103, vcc_lo
	v_bfe_u32 v102, v72, 16, 1
	v_add_f32_e32 v0, v69, v0
	v_mul_f32_e32 v69, v45, v75
	v_add_f32_e32 v70, v71, v70
	v_lshlrev_b32_e32 v65, 16, v65
	v_add3_u32 v76, v102, v72, 0x7fff
	v_or_b32_e32 v102, 0x400000, v72
	v_cmp_u_f32_e32 vcc_lo, v72, v72
	v_bfe_u32 v72, v69, 16, 1
	v_add_f32_e32 v0, v70, v0
	v_mul_f32_e32 v65, v49, v65
	v_and_b32_e32 v70, 0xffff0000, v66
	v_cndmask_b32_e32 v71, v76, v102, vcc_lo
	v_add3_u32 v72, v72, v69, 0x7fff
	v_or_b32_e32 v75, 0x400000, v69
	v_bfe_u32 v76, v65, 16, 1
	v_mul_f32_e32 v70, v47, v70
	v_lshlrev_b32_e32 v66, 16, v66
	v_cmp_u_f32_e32 vcc_lo, v69, v69
	v_and_b32_e32 v102, 0xffff0000, v67
	v_lshlrev_b32_e32 v67, 16, v67
	v_and_b32_e32 v103, 0xffff0000, v68
	v_mul_f32_e32 v66, v50, v66
	v_cndmask_b32_e32 v69, v72, v75, vcc_lo
	v_add3_u32 v72, v76, v65, 0x7fff
	v_or_b32_e32 v75, 0x400000, v65
	v_bfe_u32 v76, v70, 16, 1
	v_cmp_u_f32_e32 vcc_lo, v65, v65
	v_mul_f32_e32 v102, v46, v102
	v_mul_f32_e32 v67, v52, v67
	v_lshlrev_b32_e32 v68, 16, v68
	v_and_b32_e32 v69, 0xffff0000, v69
	v_cndmask_b32_e32 v65, v72, v75, vcc_lo
	v_add3_u32 v72, v76, v70, 0x7fff
	v_or_b32_e32 v75, 0x400000, v70
	v_bfe_u32 v76, v66, 16, 1
	v_cmp_u_f32_e32 vcc_lo, v70, v70
	v_mul_f32_e32 v68, v51, v68
	v_or_b32_e32 v104, 0x400000, v67
	v_and_b32_e32 v65, 0xffff0000, v65
	v_and_b32_e32 v71, 0xffff0000, v71
	v_cndmask_b32_e32 v70, v72, v75, vcc_lo
	v_add3_u32 v72, v76, v66, 0x7fff
	v_or_b32_e32 v75, 0x400000, v66
	v_bfe_u32 v76, v102, 16, 1
	v_cmp_u_f32_e32 vcc_lo, v66, v66
	v_bfe_u32 v106, v68, 16, 1
	v_and_b32_e32 v70, 0xffff0000, v70
	v_add_f32_e32 v65, v65, v69
	v_cndmask_b32_e32 v66, v72, v75, vcc_lo
	v_bfe_u32 v72, v67, 16, 1
	v_add3_u32 v75, v76, v102, 0x7fff
	v_mul_f32_e32 v76, v48, v103
	v_or_b32_e32 v103, 0x400000, v102
	v_cmp_u_f32_e32 vcc_lo, v102, v102
	v_add3_u32 v72, v72, v67, 0x7fff
	v_add3_u32 v102, v106, v68, 0x7fff
	v_bfe_u32 v105, v76, 16, 1
	v_and_b32_e32 v66, 0xffff0000, v66
	v_cndmask_b32_e32 v75, v75, v103, vcc_lo
	v_cmp_u_f32_e32 vcc_lo, v67, v67
	v_or_b32_e32 v103, 0x400000, v68
	v_add_f32_e32 v66, v66, v70
	v_and_b32_e32 v69, 0xffff0000, v75
	v_cndmask_b32_e32 v67, v72, v104, vcc_lo
	v_cmp_u_f32_e32 vcc_lo, v68, v68
	v_add3_u32 v72, v105, v76, 0x7fff
	v_or_b32_e32 v104, 0x400000, v76
	v_add_f32_e32 v65, v66, v65
	v_and_b32_e32 v67, 0xffff0000, v67
	v_cndmask_b32_e32 v68, v102, v103, vcc_lo
	v_cmp_u_f32_e32 vcc_lo, v76, v76
	v_add_f32_e32 v66, v67, v69
	v_and_b32_e32 v67, 0xffff0000, v68
	v_cndmask_b32_e32 v70, v72, v104, vcc_lo
	v_and_b32_e32 v72, 0xffff0000, v77
	v_and_b32_e32 v69, 0xffff0000, v61
	v_lshlrev_b32_e32 v61, 16, v61
	v_add_f32_e32 v65, v66, v65
	v_and_b32_e32 v68, 0xffff0000, v70
	v_add_f32_e32 v70, v71, v72
	v_mul_f32_e32 v61, v49, v61
	v_add_f32_e32 v66, v67, v68
	v_mul_f32_e32 v67, v45, v69
	v_add_f32_e32 v0, v70, v0
	v_and_b32_e32 v68, 0xffff0000, v62
	v_lshlrev_b32_e32 v62, 16, v62
	v_add_f32_e32 v65, v66, v65
	v_bfe_u32 v66, v67, 16, 1
	v_add_f32_e32 v81, v81, v0
	v_bfe_u32 v0, v61, 16, 1
	v_mul_f32_e32 v68, v47, v68
	v_add_f32_e32 v82, v82, v65
	v_add3_u32 v65, v66, v67, 0x7fff
	v_or_b32_e32 v66, 0x400000, v67
	v_cmp_u_f32_e32 vcc_lo, v67, v67
	v_add3_u32 v0, v0, v61, 0x7fff
	v_or_b32_e32 v69, 0x400000, v61
	v_or_b32_e32 v67, 0x400000, v68
	v_and_b32_e32 v70, 0xffff0000, v64
	v_cndmask_b32_e32 v65, v65, v66, vcc_lo
	v_bfe_u32 v66, v68, 16, 1
	v_cmp_u_f32_e32 vcc_lo, v61, v61
	v_mul_f32_e32 v61, v50, v62
	v_and_b32_e32 v62, 0xffff0000, v63
	v_lshlrev_b32_e32 v63, 16, v63
	v_add3_u32 v66, v66, v68, 0x7fff
	v_cndmask_b32_e32 v0, v0, v69, vcc_lo
	v_bfe_u32 v69, v61, 16, 1
	v_mul_f32_e32 v62, v46, v62
	v_cmp_u_f32_e32 vcc_lo, v68, v68
	v_mul_f32_e32 v63, v52, v63
	v_or_b32_e32 v68, 0x400000, v61
	v_lshlrev_b32_e32 v64, 16, v64
	v_and_b32_e32 v0, 0xffff0000, v0
	v_cndmask_b32_e32 v66, v66, v67, vcc_lo
	v_add3_u32 v67, v69, v61, 0x7fff
	v_bfe_u32 v69, v62, 16, 1
	v_cmp_u_f32_e32 vcc_lo, v61, v61
	v_bfe_u32 v71, v63, 16, 1
	v_mul_f32_e32 v64, v51, v64
	v_and_b32_e32 v65, 0xffff0000, v65
	v_and_b32_e32 v66, 0xffff0000, v66
	v_cndmask_b32_e32 v61, v67, v68, vcc_lo
	v_add3_u32 v67, v69, v62, 0x7fff
	v_mul_f32_e32 v68, v48, v70
	v_or_b32_e32 v69, 0x400000, v62
	v_cmp_u_f32_e32 vcc_lo, v62, v62
	v_add3_u32 v70, v71, v63, 0x7fff
	v_or_b32_e32 v71, 0x400000, v63
	v_bfe_u32 v72, v68, 16, 1
	v_and_b32_e32 v61, 0xffff0000, v61
	v_cndmask_b32_e32 v62, v67, v69, vcc_lo
	v_cmp_u_f32_e32 vcc_lo, v63, v63
	v_or_b32_e32 v69, 0x400000, v68
	v_add3_u32 v67, v72, v68, 0x7fff
	v_add_f32_e32 v0, v0, v65
	v_add_f32_e32 v61, v61, v66
	v_cndmask_b32_e32 v63, v70, v71, vcc_lo
	v_bfe_u32 v70, v64, 16, 1
	v_cmp_u_f32_e32 vcc_lo, v68, v68
	v_and_b32_e32 v65, 0xffff0000, v57
	v_and_b32_e32 v62, 0xffff0000, v62
	;; [unrolled: 1-line block ×3, first 2 shown]
	v_add3_u32 v68, v70, v64, 0x7fff
	v_cndmask_b32_e32 v67, v67, v69, vcc_lo
	v_or_b32_e32 v69, 0x400000, v64
	v_cmp_u_f32_e32 vcc_lo, v64, v64
	v_add_f32_e32 v0, v61, v0
	v_mul_f32_e32 v61, v45, v65
	v_add_f32_e32 v62, v63, v62
	v_lshlrev_b32_e32 v57, 16, v57
	v_cndmask_b32_e32 v64, v68, v69, vcc_lo
	v_and_b32_e32 v68, 0xffff0000, v60
	v_bfe_u32 v65, v61, 16, 1
	v_add_f32_e32 v0, v62, v0
	v_mul_f32_e32 v57, v49, v57
	v_and_b32_e32 v63, 0xffff0000, v64
	v_and_b32_e32 v64, 0xffff0000, v67
	;; [unrolled: 1-line block ×3, first 2 shown]
	v_lshlrev_b32_e32 v58, 16, v58
	v_bfe_u32 v66, v57, 16, 1
	v_cmp_u_f32_e32 vcc_lo, v61, v61
	v_add_f32_e32 v63, v63, v64
	v_add3_u32 v64, v65, v61, 0x7fff
	v_or_b32_e32 v65, 0x400000, v61
	v_mul_f32_e32 v62, v47, v62
	v_mul_f32_e32 v58, v50, v58
	v_and_b32_e32 v67, 0xffff0000, v59
	v_lshlrev_b32_e32 v59, 16, v59
	v_cndmask_b32_e32 v61, v64, v65, vcc_lo
	v_add3_u32 v64, v66, v57, 0x7fff
	v_or_b32_e32 v65, 0x400000, v57
	v_bfe_u32 v66, v62, 16, 1
	v_cmp_u_f32_e32 vcc_lo, v57, v57
	v_mul_f32_e32 v67, v46, v67
	v_mul_f32_e32 v59, v52, v59
	v_lshlrev_b32_e32 v60, 16, v60
	v_and_b32_e32 v61, 0xffff0000, v61
	v_cndmask_b32_e32 v57, v64, v65, vcc_lo
	v_add3_u32 v64, v66, v62, 0x7fff
	v_or_b32_e32 v65, 0x400000, v62
	v_bfe_u32 v66, v58, 16, 1
	v_cmp_u_f32_e32 vcc_lo, v62, v62
	v_mul_f32_e32 v60, v51, v60
	v_or_b32_e32 v69, 0x400000, v59
	v_and_b32_e32 v57, 0xffff0000, v57
	v_add_f32_e32 v0, v63, v0
	v_cndmask_b32_e32 v62, v64, v65, vcc_lo
	v_add3_u32 v64, v66, v58, 0x7fff
	v_or_b32_e32 v65, 0x400000, v58
	v_bfe_u32 v66, v67, 16, 1
	v_cmp_u_f32_e32 vcc_lo, v58, v58
	v_and_b32_e32 v62, 0xffff0000, v62
	v_add_f32_e32 v57, v57, v61
	v_add_f32_e32 v83, v83, v0
	v_cndmask_b32_e32 v58, v64, v65, vcc_lo
	v_bfe_u32 v64, v59, 16, 1
	v_add3_u32 v65, v66, v67, 0x7fff
	v_mul_f32_e32 v66, v48, v68
	v_or_b32_e32 v68, 0x400000, v67
	v_cmp_u_f32_e32 vcc_lo, v67, v67
	v_add3_u32 v64, v64, v59, 0x7fff
	v_bfe_u32 v67, v60, 16, 1
	v_bfe_u32 v70, v66, 16, 1
	v_and_b32_e32 v58, 0xffff0000, v58
	v_cndmask_b32_e32 v65, v65, v68, vcc_lo
	v_cmp_u_f32_e32 vcc_lo, v59, v59
	v_add3_u32 v67, v67, v60, 0x7fff
	v_or_b32_e32 v68, 0x400000, v66
	v_add_f32_e32 v58, v58, v62
	v_and_b32_e32 v61, 0xffff0000, v65
	v_cndmask_b32_e32 v59, v64, v69, vcc_lo
	v_or_b32_e32 v69, 0x400000, v60
	v_cmp_u_f32_e32 vcc_lo, v60, v60
	v_add3_u32 v64, v70, v66, 0x7fff
	v_add_f32_e32 v57, v58, v57
	v_and_b32_e32 v59, 0xffff0000, v59
	v_cndmask_b32_e32 v60, v67, v69, vcc_lo
	v_cmp_u_f32_e32 vcc_lo, v66, v66
	v_add_f32_e32 v58, v59, v61
	v_and_b32_e32 v59, 0xffff0000, v53
	v_and_b32_e32 v60, 0xffff0000, v60
	v_cndmask_b32_e32 v62, v64, v68, vcc_lo
	v_lshlrev_b32_e32 v53, 16, v53
	v_add_f32_e32 v57, v58, v57
	v_mul_f32_e32 v59, v45, v59
	v_and_b32_e32 v61, 0xffff0000, v62
	v_mul_f32_e32 v53, v49, v53
	v_cmp_u_f32_e32 vcc_lo, v59, v59
	v_add_f32_e32 v58, v60, v61
	v_and_b32_e32 v60, 0xffff0000, v54
	v_bfe_u32 v61, v59, 16, 1
	v_bfe_u32 v0, v53, 16, 1
	v_lshlrev_b32_e32 v54, 16, v54
	v_add_f32_e32 v57, v58, v57
	v_mul_f32_e32 v58, v47, v60
	v_add3_u32 v60, v61, v59, 0x7fff
	v_or_b32_e32 v61, 0x400000, v59
	v_add3_u32 v0, v0, v53, 0x7fff
	v_or_b32_e32 v62, 0x400000, v53
	v_bfe_u32 v63, v58, 16, 1
	v_add_f32_e32 v84, v84, v57
	v_cndmask_b32_e32 v59, v60, v61, vcc_lo
	v_cmp_u_f32_e32 vcc_lo, v53, v53
	v_mul_f32_e32 v53, v50, v54
	v_and_b32_e32 v61, 0xffff0000, v55
	v_add3_u32 v54, v63, v58, 0x7fff
	v_or_b32_e32 v60, 0x400000, v58
	v_cndmask_b32_e32 v0, v0, v62, vcc_lo
	v_lshlrev_b32_e32 v55, 16, v55
	v_bfe_u32 v62, v53, 16, 1
	v_cmp_u_f32_e32 vcc_lo, v58, v58
	v_mul_f32_e32 v58, v46, v61
	v_or_b32_e32 v61, 0x400000, v53
	v_mul_f32_e32 v55, v52, v55
	v_and_b32_e32 v0, 0xffff0000, v0
	v_cndmask_b32_e32 v54, v54, v60, vcc_lo
	v_add3_u32 v60, v62, v53, 0x7fff
	v_and_b32_e32 v62, 0xffff0000, v56
	v_bfe_u32 v63, v58, 16, 1
	v_cmp_u_f32_e32 vcc_lo, v53, v53
	v_bfe_u32 v64, v55, 16, 1
	v_lshlrev_b32_e32 v56, 16, v56
	v_and_b32_e32 v59, 0xffff0000, v59
	v_and_b32_e32 v54, 0xffff0000, v54
	v_cndmask_b32_e32 v53, v60, v61, vcc_lo
	v_mul_f32_e32 v60, v48, v62
	v_add3_u32 v61, v63, v58, 0x7fff
	v_or_b32_e32 v62, 0x400000, v58
	v_cmp_u_f32_e32 vcc_lo, v58, v58
	v_add3_u32 v63, v64, v55, 0x7fff
	v_or_b32_e32 v64, 0x400000, v55
	v_bfe_u32 v65, v60, 16, 1
	v_and_b32_e32 v53, 0xffff0000, v53
	v_cndmask_b32_e32 v58, v61, v62, vcc_lo
	v_cmp_u_f32_e32 vcc_lo, v55, v55
	v_or_b32_e32 v62, 0x400000, v60
	v_add3_u32 v61, v65, v60, 0x7fff
	v_mul_f32_e32 v56, v51, v56
	v_add_f32_e32 v0, v0, v59
	v_cndmask_b32_e32 v55, v63, v64, vcc_lo
	v_cmp_u_f32_e32 vcc_lo, v60, v60
	v_add_f32_e32 v53, v53, v54
	v_and_b32_e32 v58, 0xffff0000, v58
	v_and_b32_e32 v54, 0xffff0000, v55
	;; [unrolled: 1-line block ×3, first 2 shown]
	v_cndmask_b32_e32 v60, v61, v62, vcc_lo
	v_bfe_u32 v61, v56, 16, 1
	v_add_f32_e32 v0, v53, v0
	v_add_f32_e32 v54, v54, v58
	v_mul_f32_e32 v53, v45, v55
	v_lshlrev_b32_e32 v41, 16, v41
	v_add3_u32 v59, v61, v56, 0x7fff
	v_or_b32_e32 v61, 0x400000, v56
	v_cmp_u_f32_e32 vcc_lo, v56, v56
	v_bfe_u32 v56, v53, 16, 1
	v_add_f32_e32 v0, v54, v0
	v_mul_f32_e32 v41, v49, v41
	v_and_b32_e32 v54, 0xffff0000, v42
	v_cndmask_b32_e32 v55, v59, v61, vcc_lo
	v_add3_u32 v56, v56, v53, 0x7fff
	v_or_b32_e32 v58, 0x400000, v53
	v_bfe_u32 v59, v41, 16, 1
	v_mul_f32_e32 v54, v47, v54
	v_lshlrev_b32_e32 v42, 16, v42
	v_cmp_u_f32_e32 vcc_lo, v53, v53
	v_and_b32_e32 v61, 0xffff0000, v43
	v_lshlrev_b32_e32 v43, 16, v43
	v_and_b32_e32 v62, 0xffff0000, v44
	v_mul_f32_e32 v42, v50, v42
	v_cndmask_b32_e32 v53, v56, v58, vcc_lo
	v_add3_u32 v56, v59, v41, 0x7fff
	v_or_b32_e32 v58, 0x400000, v41
	v_bfe_u32 v59, v54, 16, 1
	v_cmp_u_f32_e32 vcc_lo, v41, v41
	v_mul_f32_e32 v61, v46, v61
	v_mul_f32_e32 v43, v52, v43
	v_lshlrev_b32_e32 v44, 16, v44
	v_and_b32_e32 v53, 0xffff0000, v53
	v_cndmask_b32_e32 v41, v56, v58, vcc_lo
	v_add3_u32 v56, v59, v54, 0x7fff
	v_or_b32_e32 v58, 0x400000, v54
	v_bfe_u32 v59, v42, 16, 1
	v_cmp_u_f32_e32 vcc_lo, v54, v54
	v_mul_f32_e32 v44, v51, v44
	v_or_b32_e32 v63, 0x400000, v43
	v_and_b32_e32 v41, 0xffff0000, v41
	v_and_b32_e32 v55, 0xffff0000, v55
	v_cndmask_b32_e32 v54, v56, v58, vcc_lo
	v_add3_u32 v56, v59, v42, 0x7fff
	v_or_b32_e32 v58, 0x400000, v42
	v_bfe_u32 v59, v61, 16, 1
	v_cmp_u_f32_e32 vcc_lo, v42, v42
	v_bfe_u32 v65, v44, 16, 1
	v_and_b32_e32 v54, 0xffff0000, v54
	v_add_f32_e32 v41, v41, v53
	v_cndmask_b32_e32 v42, v56, v58, vcc_lo
	v_bfe_u32 v56, v43, 16, 1
	v_add3_u32 v58, v59, v61, 0x7fff
	v_mul_f32_e32 v59, v48, v62
	v_or_b32_e32 v62, 0x400000, v61
	v_cmp_u_f32_e32 vcc_lo, v61, v61
	v_add3_u32 v56, v56, v43, 0x7fff
	v_add3_u32 v61, v65, v44, 0x7fff
	v_bfe_u32 v64, v59, 16, 1
	v_and_b32_e32 v42, 0xffff0000, v42
	v_cndmask_b32_e32 v58, v58, v62, vcc_lo
	v_cmp_u_f32_e32 vcc_lo, v43, v43
	v_or_b32_e32 v62, 0x400000, v44
	v_add_f32_e32 v42, v42, v54
	v_and_b32_e32 v53, 0xffff0000, v58
	v_cndmask_b32_e32 v43, v56, v63, vcc_lo
	v_cmp_u_f32_e32 vcc_lo, v44, v44
	v_add3_u32 v56, v64, v59, 0x7fff
	v_or_b32_e32 v63, 0x400000, v59
	v_add_f32_e32 v41, v42, v41
	v_and_b32_e32 v43, 0xffff0000, v43
	v_cndmask_b32_e32 v44, v61, v62, vcc_lo
	v_cmp_u_f32_e32 vcc_lo, v59, v59
	v_add_f32_e32 v42, v43, v53
	v_and_b32_e32 v43, 0xffff0000, v44
	v_cndmask_b32_e32 v54, v56, v63, vcc_lo
	v_and_b32_e32 v56, 0xffff0000, v60
	v_and_b32_e32 v53, 0xffff0000, v37
	v_lshlrev_b32_e32 v37, 16, v37
	v_add_f32_e32 v41, v42, v41
	v_and_b32_e32 v44, 0xffff0000, v54
	v_add_f32_e32 v54, v55, v56
	v_mul_f32_e32 v37, v49, v37
	v_add_f32_e32 v42, v43, v44
	v_mul_f32_e32 v43, v45, v53
	v_add_f32_e32 v0, v54, v0
	v_and_b32_e32 v44, 0xffff0000, v38
	v_lshlrev_b32_e32 v38, 16, v38
	v_add_f32_e32 v41, v42, v41
	v_bfe_u32 v42, v43, 16, 1
	v_add_f32_e32 v85, v85, v0
	v_bfe_u32 v0, v37, 16, 1
	v_mul_f32_e32 v44, v47, v44
	v_add_f32_e32 v86, v86, v41
	v_add3_u32 v41, v42, v43, 0x7fff
	v_or_b32_e32 v42, 0x400000, v43
	v_cmp_u_f32_e32 vcc_lo, v43, v43
	v_add3_u32 v0, v0, v37, 0x7fff
	v_or_b32_e32 v53, 0x400000, v37
	v_or_b32_e32 v43, 0x400000, v44
	v_and_b32_e32 v54, 0xffff0000, v40
	v_cndmask_b32_e32 v41, v41, v42, vcc_lo
	v_bfe_u32 v42, v44, 16, 1
	v_cmp_u_f32_e32 vcc_lo, v37, v37
	v_mul_f32_e32 v37, v50, v38
	v_and_b32_e32 v38, 0xffff0000, v39
	v_lshlrev_b32_e32 v39, 16, v39
	v_add3_u32 v42, v42, v44, 0x7fff
	v_cndmask_b32_e32 v0, v0, v53, vcc_lo
	v_bfe_u32 v53, v37, 16, 1
	v_mul_f32_e32 v38, v46, v38
	v_cmp_u_f32_e32 vcc_lo, v44, v44
	v_mul_f32_e32 v39, v52, v39
	v_or_b32_e32 v44, 0x400000, v37
	v_lshlrev_b32_e32 v40, 16, v40
	v_and_b32_e32 v0, 0xffff0000, v0
	v_cndmask_b32_e32 v42, v42, v43, vcc_lo
	v_add3_u32 v43, v53, v37, 0x7fff
	v_bfe_u32 v53, v38, 16, 1
	v_cmp_u_f32_e32 vcc_lo, v37, v37
	v_bfe_u32 v55, v39, 16, 1
	v_mul_f32_e32 v40, v51, v40
	v_and_b32_e32 v41, 0xffff0000, v41
	v_and_b32_e32 v42, 0xffff0000, v42
	v_cndmask_b32_e32 v37, v43, v44, vcc_lo
	v_add3_u32 v43, v53, v38, 0x7fff
	v_mul_f32_e32 v44, v48, v54
	v_or_b32_e32 v53, 0x400000, v38
	v_cmp_u_f32_e32 vcc_lo, v38, v38
	v_add3_u32 v54, v55, v39, 0x7fff
	v_or_b32_e32 v55, 0x400000, v39
	v_bfe_u32 v56, v44, 16, 1
	v_and_b32_e32 v37, 0xffff0000, v37
	v_cndmask_b32_e32 v38, v43, v53, vcc_lo
	v_cmp_u_f32_e32 vcc_lo, v39, v39
	v_or_b32_e32 v53, 0x400000, v44
	v_add3_u32 v43, v56, v44, 0x7fff
	v_add_f32_e32 v0, v0, v41
	v_add_f32_e32 v37, v37, v42
	v_cndmask_b32_e32 v39, v54, v55, vcc_lo
	v_bfe_u32 v54, v40, 16, 1
	v_cmp_u_f32_e32 vcc_lo, v44, v44
	v_and_b32_e32 v41, 0xffff0000, v33
	v_and_b32_e32 v38, 0xffff0000, v38
	;; [unrolled: 1-line block ×3, first 2 shown]
	v_add3_u32 v44, v54, v40, 0x7fff
	v_cndmask_b32_e32 v43, v43, v53, vcc_lo
	v_or_b32_e32 v53, 0x400000, v40
	v_cmp_u_f32_e32 vcc_lo, v40, v40
	v_add_f32_e32 v0, v37, v0
	v_mul_f32_e32 v37, v45, v41
	v_add_f32_e32 v38, v39, v38
	v_lshlrev_b32_e32 v33, 16, v33
	v_cndmask_b32_e32 v40, v44, v53, vcc_lo
	v_and_b32_e32 v44, 0xffff0000, v36
	v_bfe_u32 v41, v37, 16, 1
	v_add_f32_e32 v0, v38, v0
	v_mul_f32_e32 v33, v49, v33
	v_and_b32_e32 v39, 0xffff0000, v40
	v_and_b32_e32 v40, 0xffff0000, v43
	;; [unrolled: 1-line block ×3, first 2 shown]
	v_lshlrev_b32_e32 v34, 16, v34
	v_bfe_u32 v42, v33, 16, 1
	v_cmp_u_f32_e32 vcc_lo, v37, v37
	v_add_f32_e32 v39, v39, v40
	v_add3_u32 v40, v41, v37, 0x7fff
	v_or_b32_e32 v41, 0x400000, v37
	v_mul_f32_e32 v38, v47, v38
	v_mul_f32_e32 v34, v50, v34
	v_and_b32_e32 v43, 0xffff0000, v35
	v_lshlrev_b32_e32 v35, 16, v35
	v_cndmask_b32_e32 v37, v40, v41, vcc_lo
	v_add3_u32 v40, v42, v33, 0x7fff
	v_or_b32_e32 v41, 0x400000, v33
	v_bfe_u32 v42, v38, 16, 1
	v_cmp_u_f32_e32 vcc_lo, v33, v33
	v_mul_f32_e32 v43, v46, v43
	v_mul_f32_e32 v35, v52, v35
	v_lshlrev_b32_e32 v36, 16, v36
	v_and_b32_e32 v37, 0xffff0000, v37
	v_cndmask_b32_e32 v33, v40, v41, vcc_lo
	v_add3_u32 v40, v42, v38, 0x7fff
	v_or_b32_e32 v41, 0x400000, v38
	v_bfe_u32 v42, v34, 16, 1
	v_cmp_u_f32_e32 vcc_lo, v38, v38
	v_mul_f32_e32 v36, v51, v36
	v_or_b32_e32 v53, 0x400000, v35
	v_and_b32_e32 v33, 0xffff0000, v33
	v_add_f32_e32 v0, v39, v0
	v_cndmask_b32_e32 v38, v40, v41, vcc_lo
	v_add3_u32 v40, v42, v34, 0x7fff
	v_or_b32_e32 v41, 0x400000, v34
	v_bfe_u32 v42, v43, 16, 1
	v_cmp_u_f32_e32 vcc_lo, v34, v34
	v_and_b32_e32 v38, 0xffff0000, v38
	v_add_f32_e32 v33, v33, v37
	v_add_f32_e32 v87, v87, v0
	v_cndmask_b32_e32 v34, v40, v41, vcc_lo
	v_bfe_u32 v40, v35, 16, 1
	v_add3_u32 v41, v42, v43, 0x7fff
	v_mul_f32_e32 v42, v48, v44
	v_or_b32_e32 v44, 0x400000, v43
	v_cmp_u_f32_e32 vcc_lo, v43, v43
	v_add3_u32 v40, v40, v35, 0x7fff
	v_bfe_u32 v43, v36, 16, 1
	v_bfe_u32 v54, v42, 16, 1
	v_and_b32_e32 v34, 0xffff0000, v34
	v_cndmask_b32_e32 v41, v41, v44, vcc_lo
	v_cmp_u_f32_e32 vcc_lo, v35, v35
	v_add3_u32 v43, v43, v36, 0x7fff
	v_or_b32_e32 v44, 0x400000, v42
	v_add_f32_e32 v34, v34, v38
	v_and_b32_e32 v37, 0xffff0000, v41
	v_cndmask_b32_e32 v35, v40, v53, vcc_lo
	v_or_b32_e32 v53, 0x400000, v36
	v_cmp_u_f32_e32 vcc_lo, v36, v36
	v_add3_u32 v40, v54, v42, 0x7fff
	v_add_f32_e32 v33, v34, v33
	v_and_b32_e32 v35, 0xffff0000, v35
	v_cndmask_b32_e32 v36, v43, v53, vcc_lo
	v_cmp_u_f32_e32 vcc_lo, v42, v42
	v_add_f32_e32 v34, v35, v37
	v_and_b32_e32 v35, 0xffff0000, v29
	v_and_b32_e32 v36, 0xffff0000, v36
	v_cndmask_b32_e32 v38, v40, v44, vcc_lo
	v_lshlrev_b32_e32 v29, 16, v29
	v_add_f32_e32 v33, v34, v33
	v_mul_f32_e32 v35, v45, v35
	v_and_b32_e32 v37, 0xffff0000, v38
	v_mul_f32_e32 v29, v49, v29
	v_cmp_u_f32_e32 vcc_lo, v35, v35
	v_add_f32_e32 v34, v36, v37
	v_and_b32_e32 v36, 0xffff0000, v30
	v_bfe_u32 v37, v35, 16, 1
	v_bfe_u32 v0, v29, 16, 1
	v_lshlrev_b32_e32 v30, 16, v30
	v_add_f32_e32 v33, v34, v33
	v_mul_f32_e32 v34, v47, v36
	v_add3_u32 v36, v37, v35, 0x7fff
	v_or_b32_e32 v37, 0x400000, v35
	v_add3_u32 v0, v0, v29, 0x7fff
	v_or_b32_e32 v38, 0x400000, v29
	v_bfe_u32 v39, v34, 16, 1
	v_add_f32_e32 v88, v88, v33
	v_cndmask_b32_e32 v35, v36, v37, vcc_lo
	v_cmp_u_f32_e32 vcc_lo, v29, v29
	v_mul_f32_e32 v29, v50, v30
	v_and_b32_e32 v37, 0xffff0000, v31
	v_add3_u32 v30, v39, v34, 0x7fff
	v_or_b32_e32 v36, 0x400000, v34
	v_cndmask_b32_e32 v0, v0, v38, vcc_lo
	v_lshlrev_b32_e32 v31, 16, v31
	v_bfe_u32 v38, v29, 16, 1
	v_cmp_u_f32_e32 vcc_lo, v34, v34
	v_mul_f32_e32 v34, v46, v37
	v_or_b32_e32 v37, 0x400000, v29
	v_mul_f32_e32 v31, v52, v31
	v_and_b32_e32 v0, 0xffff0000, v0
	v_cndmask_b32_e32 v30, v30, v36, vcc_lo
	v_add3_u32 v36, v38, v29, 0x7fff
	v_and_b32_e32 v38, 0xffff0000, v32
	v_bfe_u32 v39, v34, 16, 1
	v_cmp_u_f32_e32 vcc_lo, v29, v29
	v_bfe_u32 v40, v31, 16, 1
	v_lshlrev_b32_e32 v32, 16, v32
	v_and_b32_e32 v35, 0xffff0000, v35
	v_and_b32_e32 v30, 0xffff0000, v30
	v_cndmask_b32_e32 v29, v36, v37, vcc_lo
	v_mul_f32_e32 v36, v48, v38
	v_add3_u32 v37, v39, v34, 0x7fff
	v_or_b32_e32 v38, 0x400000, v34
	v_cmp_u_f32_e32 vcc_lo, v34, v34
	v_add3_u32 v39, v40, v31, 0x7fff
	v_or_b32_e32 v40, 0x400000, v31
	v_bfe_u32 v41, v36, 16, 1
	v_and_b32_e32 v29, 0xffff0000, v29
	v_cndmask_b32_e32 v34, v37, v38, vcc_lo
	v_cmp_u_f32_e32 vcc_lo, v31, v31
	v_or_b32_e32 v38, 0x400000, v36
	v_add3_u32 v37, v41, v36, 0x7fff
	v_mul_f32_e32 v32, v51, v32
	v_add_f32_e32 v0, v0, v35
	v_cndmask_b32_e32 v31, v39, v40, vcc_lo
	v_cmp_u_f32_e32 vcc_lo, v36, v36
	v_add_f32_e32 v29, v29, v30
	v_and_b32_e32 v34, 0xffff0000, v34
	v_and_b32_e32 v30, 0xffff0000, v31
	;; [unrolled: 1-line block ×3, first 2 shown]
	v_cndmask_b32_e32 v36, v37, v38, vcc_lo
	v_bfe_u32 v37, v32, 16, 1
	v_add_f32_e32 v0, v29, v0
	v_add_f32_e32 v30, v30, v34
	v_mul_f32_e32 v29, v45, v31
	v_lshlrev_b32_e32 v25, 16, v25
	v_add3_u32 v35, v37, v32, 0x7fff
	v_or_b32_e32 v37, 0x400000, v32
	v_cmp_u_f32_e32 vcc_lo, v32, v32
	v_bfe_u32 v32, v29, 16, 1
	v_add_f32_e32 v0, v30, v0
	v_mul_f32_e32 v25, v49, v25
	v_and_b32_e32 v30, 0xffff0000, v26
	v_cndmask_b32_e32 v31, v35, v37, vcc_lo
	v_add3_u32 v32, v32, v29, 0x7fff
	v_or_b32_e32 v34, 0x400000, v29
	v_bfe_u32 v35, v25, 16, 1
	v_mul_f32_e32 v30, v47, v30
	v_lshlrev_b32_e32 v26, 16, v26
	v_cmp_u_f32_e32 vcc_lo, v29, v29
	v_and_b32_e32 v37, 0xffff0000, v27
	v_lshlrev_b32_e32 v27, 16, v27
	v_and_b32_e32 v38, 0xffff0000, v28
	v_mul_f32_e32 v26, v50, v26
	v_cndmask_b32_e32 v29, v32, v34, vcc_lo
	v_add3_u32 v32, v35, v25, 0x7fff
	v_or_b32_e32 v34, 0x400000, v25
	v_bfe_u32 v35, v30, 16, 1
	v_cmp_u_f32_e32 vcc_lo, v25, v25
	v_mul_f32_e32 v37, v46, v37
	v_mul_f32_e32 v27, v52, v27
	v_lshlrev_b32_e32 v28, 16, v28
	v_and_b32_e32 v29, 0xffff0000, v29
	v_cndmask_b32_e32 v25, v32, v34, vcc_lo
	v_add3_u32 v32, v35, v30, 0x7fff
	v_or_b32_e32 v34, 0x400000, v30
	v_bfe_u32 v35, v26, 16, 1
	v_cmp_u_f32_e32 vcc_lo, v30, v30
	v_mul_f32_e32 v28, v51, v28
	v_or_b32_e32 v39, 0x400000, v27
	v_and_b32_e32 v25, 0xffff0000, v25
	v_and_b32_e32 v31, 0xffff0000, v31
	v_cndmask_b32_e32 v30, v32, v34, vcc_lo
	v_add3_u32 v32, v35, v26, 0x7fff
	v_or_b32_e32 v34, 0x400000, v26
	v_bfe_u32 v35, v37, 16, 1
	v_cmp_u_f32_e32 vcc_lo, v26, v26
	v_bfe_u32 v41, v28, 16, 1
	v_and_b32_e32 v30, 0xffff0000, v30
	v_add_f32_e32 v25, v25, v29
	v_cndmask_b32_e32 v26, v32, v34, vcc_lo
	v_bfe_u32 v32, v27, 16, 1
	v_add3_u32 v34, v35, v37, 0x7fff
	v_mul_f32_e32 v35, v48, v38
	v_or_b32_e32 v38, 0x400000, v37
	v_cmp_u_f32_e32 vcc_lo, v37, v37
	v_add3_u32 v32, v32, v27, 0x7fff
	v_add3_u32 v37, v41, v28, 0x7fff
	v_bfe_u32 v40, v35, 16, 1
	v_and_b32_e32 v26, 0xffff0000, v26
	v_cndmask_b32_e32 v34, v34, v38, vcc_lo
	v_cmp_u_f32_e32 vcc_lo, v27, v27
	v_or_b32_e32 v38, 0x400000, v28
	v_add_f32_e32 v26, v26, v30
	v_and_b32_e32 v29, 0xffff0000, v34
	v_cndmask_b32_e32 v27, v32, v39, vcc_lo
	v_cmp_u_f32_e32 vcc_lo, v28, v28
	v_add3_u32 v32, v40, v35, 0x7fff
	v_or_b32_e32 v39, 0x400000, v35
	v_add_f32_e32 v25, v26, v25
	v_and_b32_e32 v27, 0xffff0000, v27
	v_cndmask_b32_e32 v28, v37, v38, vcc_lo
	v_cmp_u_f32_e32 vcc_lo, v35, v35
	v_add_f32_e32 v26, v27, v29
	v_and_b32_e32 v27, 0xffff0000, v28
	v_cndmask_b32_e32 v30, v32, v39, vcc_lo
	v_and_b32_e32 v32, 0xffff0000, v36
	v_and_b32_e32 v29, 0xffff0000, v17
	v_lshlrev_b32_e32 v17, 16, v17
	v_add_f32_e32 v25, v26, v25
	v_and_b32_e32 v28, 0xffff0000, v30
	v_add_f32_e32 v30, v31, v32
	v_mul_f32_e32 v17, v49, v17
	v_add_f32_e32 v26, v27, v28
	v_mul_f32_e32 v27, v45, v29
	v_add_f32_e32 v0, v30, v0
	v_and_b32_e32 v28, 0xffff0000, v18
	v_lshlrev_b32_e32 v18, 16, v18
	v_add_f32_e32 v25, v26, v25
	v_bfe_u32 v26, v27, 16, 1
	v_add_f32_e32 v89, v89, v0
	v_bfe_u32 v0, v17, 16, 1
	v_mul_f32_e32 v28, v47, v28
	v_add_f32_e32 v90, v90, v25
	v_add3_u32 v25, v26, v27, 0x7fff
	v_or_b32_e32 v26, 0x400000, v27
	v_cmp_u_f32_e32 vcc_lo, v27, v27
	v_add3_u32 v0, v0, v17, 0x7fff
	v_or_b32_e32 v29, 0x400000, v17
	v_or_b32_e32 v27, 0x400000, v28
	v_and_b32_e32 v30, 0xffff0000, v20
	v_cndmask_b32_e32 v25, v25, v26, vcc_lo
	v_bfe_u32 v26, v28, 16, 1
	v_cmp_u_f32_e32 vcc_lo, v17, v17
	v_mul_f32_e32 v17, v50, v18
	v_and_b32_e32 v18, 0xffff0000, v19
	v_lshlrev_b32_e32 v19, 16, v19
	v_add3_u32 v26, v26, v28, 0x7fff
	v_cndmask_b32_e32 v0, v0, v29, vcc_lo
	v_bfe_u32 v29, v17, 16, 1
	v_mul_f32_e32 v18, v46, v18
	v_cmp_u_f32_e32 vcc_lo, v28, v28
	v_mul_f32_e32 v19, v52, v19
	v_or_b32_e32 v28, 0x400000, v17
	v_lshlrev_b32_e32 v20, 16, v20
	v_and_b32_e32 v0, 0xffff0000, v0
	v_cndmask_b32_e32 v26, v26, v27, vcc_lo
	v_add3_u32 v27, v29, v17, 0x7fff
	v_bfe_u32 v29, v18, 16, 1
	v_cmp_u_f32_e32 vcc_lo, v17, v17
	v_bfe_u32 v31, v19, 16, 1
	v_mul_f32_e32 v20, v51, v20
	v_and_b32_e32 v25, 0xffff0000, v25
	v_and_b32_e32 v26, 0xffff0000, v26
	v_cndmask_b32_e32 v17, v27, v28, vcc_lo
	v_add3_u32 v27, v29, v18, 0x7fff
	v_mul_f32_e32 v28, v48, v30
	v_or_b32_e32 v29, 0x400000, v18
	v_cmp_u_f32_e32 vcc_lo, v18, v18
	v_add3_u32 v30, v31, v19, 0x7fff
	v_or_b32_e32 v31, 0x400000, v19
	v_bfe_u32 v32, v28, 16, 1
	v_and_b32_e32 v17, 0xffff0000, v17
	v_cndmask_b32_e32 v18, v27, v29, vcc_lo
	v_cmp_u_f32_e32 vcc_lo, v19, v19
	v_or_b32_e32 v29, 0x400000, v28
	v_add3_u32 v27, v32, v28, 0x7fff
	v_add_f32_e32 v0, v0, v25
	v_add_f32_e32 v17, v17, v26
	v_cndmask_b32_e32 v19, v30, v31, vcc_lo
	v_bfe_u32 v30, v20, 16, 1
	v_cmp_u_f32_e32 vcc_lo, v28, v28
	v_and_b32_e32 v25, 0xffff0000, v13
	v_and_b32_e32 v18, 0xffff0000, v18
	v_and_b32_e32 v19, 0xffff0000, v19
	v_add3_u32 v28, v30, v20, 0x7fff
	v_cndmask_b32_e32 v27, v27, v29, vcc_lo
	v_or_b32_e32 v29, 0x400000, v20
	v_cmp_u_f32_e32 vcc_lo, v20, v20
	v_lshlrev_b32_e32 v13, 16, v13
	v_add_f32_e32 v0, v17, v0
	v_mul_f32_e32 v17, v45, v25
	v_add_f32_e32 v18, v19, v18
	v_cndmask_b32_e32 v20, v28, v29, vcc_lo
	v_mul_f32_e32 v13, v49, v13
	v_and_b32_e32 v26, 0xffff0000, v14
	v_bfe_u32 v25, v17, 16, 1
	v_add_f32_e32 v0, v18, v0
	v_and_b32_e32 v19, 0xffff0000, v20
	v_and_b32_e32 v20, 0xffff0000, v27
	v_bfe_u32 v18, v13, 16, 1
	v_cmp_u_f32_e32 vcc_lo, v17, v17
	v_mul_f32_e32 v26, v47, v26
	v_or_b32_e32 v27, 0x400000, v13
	v_add_f32_e32 v19, v19, v20
	v_add3_u32 v20, v25, v17, 0x7fff
	v_or_b32_e32 v25, 0x400000, v17
	v_add3_u32 v18, v18, v13, 0x7fff
	v_lshlrev_b32_e32 v14, 16, v14
	v_and_b32_e32 v28, 0xffff0000, v16
	v_lshlrev_b32_e32 v16, 16, v16
	v_cndmask_b32_e32 v17, v20, v25, vcc_lo
	v_cmp_u_f32_e32 vcc_lo, v13, v13
	v_bfe_u32 v20, v26, 16, 1
	v_mul_f32_e32 v14, v50, v14
	v_or_b32_e32 v25, 0x400000, v26
	v_mul_f32_e32 v16, v51, v16
	v_cndmask_b32_e32 v13, v18, v27, vcc_lo
	v_and_b32_e32 v18, 0xffff0000, v15
	v_add3_u32 v20, v20, v26, 0x7fff
	v_lshlrev_b32_e32 v15, 16, v15
	v_bfe_u32 v27, v14, 16, 1
	v_cmp_u_f32_e32 vcc_lo, v26, v26
	v_mul_f32_e32 v18, v46, v18
	v_or_b32_e32 v26, 0x400000, v14
	v_mul_f32_e32 v15, v52, v15
	v_and_b32_e32 v13, 0xffff0000, v13
	v_cndmask_b32_e32 v20, v20, v25, vcc_lo
	v_add3_u32 v25, v27, v14, 0x7fff
	v_bfe_u32 v27, v18, 16, 1
	v_cmp_u_f32_e32 vcc_lo, v14, v14
	v_bfe_u32 v29, v15, 16, 1
	v_and_b32_e32 v17, 0xffff0000, v17
	v_and_b32_e32 v20, 0xffff0000, v20
	v_add_f32_e32 v0, v19, v0
	v_cndmask_b32_e32 v14, v25, v26, vcc_lo
	v_add3_u32 v25, v27, v18, 0x7fff
	v_mul_f32_e32 v26, v48, v28
	v_or_b32_e32 v27, 0x400000, v18
	v_cmp_u_f32_e32 vcc_lo, v18, v18
	v_add3_u32 v28, v29, v15, 0x7fff
	v_or_b32_e32 v29, 0x400000, v15
	v_bfe_u32 v30, v26, 16, 1
	v_and_b32_e32 v14, 0xffff0000, v14
	v_cndmask_b32_e32 v18, v25, v27, vcc_lo
	v_cmp_u_f32_e32 vcc_lo, v15, v15
	v_or_b32_e32 v27, 0x400000, v26
	v_add3_u32 v25, v30, v26, 0x7fff
	v_add_f32_e32 v13, v13, v17
	v_add_f32_e32 v14, v14, v20
	v_cndmask_b32_e32 v15, v28, v29, vcc_lo
	v_bfe_u32 v28, v16, 16, 1
	v_cmp_u_f32_e32 vcc_lo, v26, v26
	v_and_b32_e32 v17, 0xffff0000, v18
	v_add_f32_e32 v13, v14, v13
	v_and_b32_e32 v15, 0xffff0000, v15
	v_add3_u32 v26, v28, v16, 0x7fff
	v_cndmask_b32_e32 v25, v25, v27, vcc_lo
	v_or_b32_e32 v27, 0x400000, v16
	v_cmp_u_f32_e32 vcc_lo, v16, v16
	v_and_b32_e32 v14, 0xffff0000, v9
	v_lshlrev_b32_e32 v9, 16, v9
	v_add_f32_e32 v15, v15, v17
	v_and_b32_e32 v17, 0xffff0000, v25
	v_cndmask_b32_e32 v16, v26, v27, vcc_lo
	v_mul_f32_e32 v14, v45, v14
	v_mul_f32_e32 v9, v49, v9
	v_add_f32_e32 v13, v15, v13
	v_and_b32_e32 v18, 0xffff0000, v10
	v_and_b32_e32 v16, 0xffff0000, v16
	v_add_f32_e32 v91, v91, v0
	v_lshlrev_b32_e32 v10, 16, v10
	v_cmp_u_f32_e32 vcc_lo, v14, v14
	v_and_b32_e32 v19, 0xffff0000, v12
	v_add_f32_e32 v15, v16, v17
	v_bfe_u32 v16, v14, 16, 1
	v_bfe_u32 v17, v9, 16, 1
	v_mul_f32_e32 v10, v50, v10
	v_lshlrev_b32_e32 v12, 16, v12
	v_add_f32_e32 v0, v15, v13
	v_add3_u32 v13, v16, v14, 0x7fff
	v_or_b32_e32 v15, 0x400000, v14
	v_add3_u32 v16, v17, v9, 0x7fff
	v_mul_f32_e32 v17, v47, v18
	v_or_b32_e32 v18, 0x400000, v9
	v_mul_f32_e32 v12, v51, v12
	v_cndmask_b32_e32 v13, v13, v15, vcc_lo
	v_cmp_u_f32_e32 vcc_lo, v9, v9
	v_bfe_u32 v14, v17, 16, 1
	v_and_b32_e32 v15, 0xffff0000, v11
	v_lshlrev_b32_e32 v11, 16, v11
	v_and_b32_e32 v13, 0xffff0000, v13
	v_cndmask_b32_e32 v9, v16, v18, vcc_lo
	v_add3_u32 v14, v14, v17, 0x7fff
	v_or_b32_e32 v16, 0x400000, v17
	v_bfe_u32 v18, v10, 16, 1
	v_mul_f32_e32 v15, v46, v15
	v_cmp_u_f32_e32 vcc_lo, v17, v17
	v_mul_f32_e32 v11, v52, v11
	v_or_b32_e32 v17, 0x400000, v10
	v_and_b32_e32 v9, 0xffff0000, v9
	v_add_f32_e32 v92, v92, v0
	v_cndmask_b32_e32 v14, v14, v16, vcc_lo
	v_add3_u32 v16, v18, v10, 0x7fff
	v_bfe_u32 v18, v15, 16, 1
	v_cmp_u_f32_e32 vcc_lo, v10, v10
	v_bfe_u32 v20, v11, 16, 1
	v_and_b32_e32 v14, 0xffff0000, v14
	v_add_f32_e32 v9, v9, v13
	v_cndmask_b32_e32 v10, v16, v17, vcc_lo
	v_add3_u32 v16, v18, v15, 0x7fff
	v_mul_f32_e32 v17, v48, v19
	v_or_b32_e32 v18, 0x400000, v15
	v_cmp_u_f32_e32 vcc_lo, v15, v15
	v_add3_u32 v19, v20, v11, 0x7fff
	v_or_b32_e32 v20, 0x400000, v11
	v_bfe_u32 v25, v17, 16, 1
	v_and_b32_e32 v10, 0xffff0000, v10
	v_cndmask_b32_e32 v15, v16, v18, vcc_lo
	v_cmp_u_f32_e32 vcc_lo, v11, v11
	v_or_b32_e32 v18, 0x400000, v17
	v_add3_u32 v16, v25, v17, 0x7fff
	v_add_f32_e32 v10, v10, v14
	v_and_b32_e32 v13, 0xffff0000, v15
	v_cndmask_b32_e32 v11, v19, v20, vcc_lo
	v_bfe_u32 v19, v12, 16, 1
	v_cmp_u_f32_e32 vcc_lo, v17, v17
	v_and_b32_e32 v14, 0xffff0000, v5
	v_lshlrev_b32_e32 v5, 16, v5
	v_and_b32_e32 v11, 0xffff0000, v11
	v_add3_u32 v17, v19, v12, 0x7fff
	v_cndmask_b32_e32 v16, v16, v18, vcc_lo
	v_or_b32_e32 v18, 0x400000, v12
	v_cmp_u_f32_e32 vcc_lo, v12, v12
	v_add_f32_e32 v9, v10, v9
	v_add_f32_e32 v10, v11, v13
	v_mul_f32_e32 v11, v45, v14
	v_mul_f32_e32 v13, v49, v5
	v_cndmask_b32_e32 v12, v17, v18, vcc_lo
	v_and_b32_e32 v14, 0xffff0000, v16
	v_and_b32_e32 v15, 0xffff0000, v6
	v_bfe_u32 v16, v11, 16, 1
	v_add_f32_e32 v5, v10, v9
	v_and_b32_e32 v12, 0xffff0000, v12
	v_bfe_u32 v10, v13, 16, 1
	v_cmp_u_f32_e32 vcc_lo, v11, v11
	v_lshlrev_b32_e32 v6, 16, v6
	s_waitcnt vmcnt(0)
	v_and_b32_e32 v20, 0xffff0000, v24
	v_add_f32_e32 v9, v12, v14
	v_mul_f32_e32 v12, v47, v15
	v_add3_u32 v14, v16, v11, 0x7fff
	v_or_b32_e32 v15, 0x400000, v11
	v_add3_u32 v10, v10, v13, 0x7fff
	v_or_b32_e32 v16, 0x400000, v13
	v_bfe_u32 v17, v12, 16, 1
	v_mul_f32_e32 v6, v50, v6
	v_cndmask_b32_e32 v11, v14, v15, vcc_lo
	v_cmp_u_f32_e32 vcc_lo, v13, v13
	v_or_b32_e32 v14, 0x400000, v12
	v_add3_u32 v13, v17, v12, 0x7fff
	v_and_b32_e32 v15, 0xffff0000, v7
	v_lshlrev_b32_e32 v7, 16, v7
	v_cndmask_b32_e32 v10, v10, v16, vcc_lo
	v_cmp_u_f32_e32 vcc_lo, v12, v12
	v_bfe_u32 v16, v6, 16, 1
	v_and_b32_e32 v11, 0xffff0000, v11
	v_mul_f32_e32 v7, v52, v7
	v_and_b32_e32 v10, 0xffff0000, v10
	v_cndmask_b32_e32 v12, v13, v14, vcc_lo
	v_mul_f32_e32 v13, v46, v15
	v_add3_u32 v14, v16, v6, 0x7fff
	v_or_b32_e32 v15, 0x400000, v6
	v_and_b32_e32 v16, 0xffff0000, v8
	v_cmp_u_f32_e32 vcc_lo, v6, v6
	v_bfe_u32 v17, v13, 16, 1
	v_bfe_u32 v18, v7, 16, 1
	v_lshlrev_b32_e32 v8, 16, v8
	v_and_b32_e32 v12, 0xffff0000, v12
	v_cndmask_b32_e32 v6, v14, v15, vcc_lo
	v_mul_f32_e32 v14, v48, v16
	v_add3_u32 v15, v17, v13, 0x7fff
	v_or_b32_e32 v16, 0x400000, v13
	v_cmp_u_f32_e32 vcc_lo, v13, v13
	v_add3_u32 v17, v18, v7, 0x7fff
	v_or_b32_e32 v18, 0x400000, v7
	v_bfe_u32 v19, v14, 16, 1
	v_and_b32_e32 v6, 0xffff0000, v6
	v_cndmask_b32_e32 v13, v15, v16, vcc_lo
	v_cmp_u_f32_e32 vcc_lo, v7, v7
	v_or_b32_e32 v16, 0x400000, v14
	v_add3_u32 v15, v19, v14, 0x7fff
	v_mul_f32_e32 v8, v51, v8
	v_add_f32_e32 v10, v10, v11
	v_cndmask_b32_e32 v7, v17, v18, vcc_lo
	v_cmp_u_f32_e32 vcc_lo, v14, v14
	v_add_f32_e32 v6, v6, v12
	v_and_b32_e32 v11, 0xffff0000, v1
	v_and_b32_e32 v12, 0xffff0000, v13
	;; [unrolled: 1-line block ×3, first 2 shown]
	v_cndmask_b32_e32 v14, v15, v16, vcc_lo
	v_bfe_u32 v15, v8, 16, 1
	v_add_f32_e32 v6, v6, v10
	v_mul_f32_e32 v10, v45, v11
	v_add_f32_e32 v7, v7, v12
	v_lshlrev_b32_e32 v1, 16, v1
	v_add3_u32 v13, v15, v8, 0x7fff
	v_or_b32_e32 v15, 0x400000, v8
	v_cmp_u_f32_e32 vcc_lo, v8, v8
	v_bfe_u32 v11, v10, 16, 1
	v_add_f32_e32 v6, v7, v6
	v_and_b32_e32 v7, 0xffff0000, v2
	v_mul_f32_e32 v1, v49, v1
	v_cndmask_b32_e32 v8, v13, v15, vcc_lo
	v_add3_u32 v11, v11, v10, 0x7fff
	v_or_b32_e32 v12, 0x400000, v10
	v_mul_f32_e32 v7, v47, v7
	v_and_b32_e32 v13, 0xffff0000, v14
	v_bfe_u32 v14, v1, 16, 1
	v_cmp_u_f32_e32 vcc_lo, v10, v10
	v_lshlrev_b32_e32 v2, 16, v2
	v_or_b32_e32 v15, 0x400000, v1
	v_or_b32_e32 v16, 0x400000, v7
	v_and_b32_e32 v18, 0xffff0000, v23
	v_cndmask_b32_e32 v10, v11, v12, vcc_lo
	v_bfe_u32 v11, v7, 16, 1
	v_add3_u32 v12, v14, v1, 0x7fff
	v_and_b32_e32 v14, 0xffff0000, v3
	v_mul_f32_e32 v2, v50, v2
	v_cmp_u_f32_e32 vcc_lo, v1, v1
	v_add3_u32 v11, v11, v7, 0x7fff
	v_lshlrev_b32_e32 v3, 16, v3
	v_mul_f32_e32 v14, v46, v14
	v_and_b32_e32 v10, 0xffff0000, v10
	v_cndmask_b32_e32 v1, v12, v15, vcc_lo
	v_bfe_u32 v12, v2, 16, 1
	v_cmp_u_f32_e32 vcc_lo, v7, v7
	v_and_b32_e32 v15, 0xffff0000, v4
	v_mul_f32_e32 v3, v52, v3
	v_or_b32_e32 v17, 0x400000, v14
	v_add3_u32 v12, v12, v2, 0x7fff
	v_cndmask_b32_e32 v7, v11, v16, vcc_lo
	v_bfe_u32 v11, v14, 16, 1
	v_or_b32_e32 v16, 0x400000, v2
	v_cmp_u_f32_e32 vcc_lo, v2, v2
	v_mul_f32_e32 v15, v48, v15
	v_lshlrev_b32_e32 v4, 16, v4
	v_add3_u32 v11, v11, v14, 0x7fff
	v_and_b32_e32 v1, 0xffff0000, v1
	v_cndmask_b32_e32 v2, v12, v16, vcc_lo
	v_bfe_u32 v12, v3, 16, 1
	v_cmp_u_f32_e32 vcc_lo, v14, v14
	v_bfe_u32 v16, v15, 16, 1
	v_or_b32_e32 v14, 0x400000, v3
	v_mul_f32_e32 v4, v51, v4
	v_add3_u32 v12, v12, v3, 0x7fff
	v_cndmask_b32_e32 v11, v11, v17, vcc_lo
	v_cmp_u_f32_e32 vcc_lo, v3, v3
	v_add3_u32 v16, v16, v15, 0x7fff
	v_or_b32_e32 v17, 0x400000, v15
	v_and_b32_e32 v2, 0xffff0000, v2
	v_and_b32_e32 v7, 0xffff0000, v7
	v_cndmask_b32_e32 v3, v12, v14, vcc_lo
	v_cmp_u_f32_e32 vcc_lo, v15, v15
	v_bfe_u32 v14, v4, 16, 1
	v_add_f32_e32 v1, v1, v10
	v_add_f32_e32 v2, v2, v7
	v_and_b32_e32 v3, 0xffff0000, v3
	v_cndmask_b32_e32 v12, v16, v17, vcc_lo
	v_lshlrev_b32_e32 v16, 16, v21
	v_and_b32_e32 v7, 0xffff0000, v11
	v_and_b32_e32 v11, 0xffff0000, v21
	v_add3_u32 v14, v14, v4, 0x7fff
	v_or_b32_e32 v15, 0x400000, v4
	v_mul_f32_e32 v10, v49, v16
	v_cmp_u_f32_e32 vcc_lo, v4, v4
	v_add_f32_e32 v1, v2, v1
	v_add_f32_e32 v3, v3, v7
	v_mul_f32_e32 v7, v45, v11
	v_bfe_u32 v2, v10, 16, 1
	v_lshlrev_b32_e32 v11, 16, v22
	v_cndmask_b32_e32 v4, v14, v15, vcc_lo
	v_or_b32_e32 v14, 0x400000, v10
	v_bfe_u32 v15, v7, 16, 1
	v_add3_u32 v2, v2, v10, 0x7fff
	v_mul_f32_e32 v11, v50, v11
	v_and_b32_e32 v16, 0xffff0000, v22
	v_cmp_u_f32_e32 vcc_lo, v10, v10
	v_add3_u32 v10, v15, v7, 0x7fff
	v_lshlrev_b32_e32 v17, 16, v23
	v_bfe_u32 v15, v11, 16, 1
	v_mul_f32_e32 v16, v47, v16
	v_cndmask_b32_e32 v2, v2, v14, vcc_lo
	v_or_b32_e32 v14, 0x400000, v7
	v_cmp_u_f32_e32 vcc_lo, v7, v7
	v_mul_f32_e32 v17, v52, v17
	v_mul_f32_e32 v18, v46, v18
	v_lshlrev_b32_e32 v19, 16, v24
	v_and_b32_e32 v2, 0xffff0000, v2
	v_cndmask_b32_e32 v7, v10, v14, vcc_lo
	v_add3_u32 v10, v15, v11, 0x7fff
	v_or_b32_e32 v14, 0x400000, v11
	v_bfe_u32 v15, v16, 16, 1
	v_cmp_u_f32_e32 vcc_lo, v11, v11
	v_or_b32_e32 v21, 0x400000, v18
	v_and_b32_e32 v7, 0xffff0000, v7
	v_and_b32_e32 v8, 0xffff0000, v8
	v_add3_u32 v11, v15, v16, 0x7fff
	v_cndmask_b32_e32 v10, v10, v14, vcc_lo
	v_or_b32_e32 v14, 0x400000, v16
	v_bfe_u32 v15, v17, 16, 1
	v_cmp_u_f32_e32 vcc_lo, v16, v16
	v_mul_f32_e32 v16, v51, v19
	v_mul_f32_e32 v19, v48, v20
	v_or_b32_e32 v20, 0x400000, v17
	v_add3_u32 v15, v15, v17, 0x7fff
	v_cndmask_b32_e32 v11, v11, v14, vcc_lo
	v_bfe_u32 v14, v18, 16, 1
	v_cmp_u_f32_e32 vcc_lo, v17, v17
	v_bfe_u32 v23, v19, 16, 1
	v_bfe_u32 v22, v16, 16, 1
	v_and_b32_e32 v11, 0xffff0000, v11
	v_add3_u32 v14, v14, v18, 0x7fff
	v_cndmask_b32_e32 v15, v15, v20, vcc_lo
	v_cmp_u_f32_e32 vcc_lo, v18, v18
	v_add3_u32 v18, v23, v19, 0x7fff
	v_or_b32_e32 v20, 0x400000, v19
	v_add3_u32 v17, v22, v16, 0x7fff
	v_and_b32_e32 v10, 0xffff0000, v10
	v_cndmask_b32_e32 v14, v14, v21, vcc_lo
	v_cmp_u_f32_e32 vcc_lo, v19, v19
	v_or_b32_e32 v21, 0x400000, v16
	v_add_f32_e32 v2, v2, v7
	v_add_f32_e32 v7, v10, v11
	v_and_b32_e32 v10, 0xffff0000, v14
	v_cndmask_b32_e32 v18, v18, v20, vcc_lo
	v_cmp_u_f32_e32 vcc_lo, v16, v16
	v_and_b32_e32 v11, 0xffff0000, v15
	v_and_b32_e32 v4, 0xffff0000, v4
	;; [unrolled: 1-line block ×3, first 2 shown]
	v_add_f32_e32 v2, v7, v2
	v_cndmask_b32_e32 v14, v17, v21, vcc_lo
	v_add_f32_e32 v7, v11, v10
	v_and_b32_e32 v10, 0xffff0000, v18
	v_add_f32_e32 v8, v8, v13
	v_add_f32_e32 v1, v3, v1
	v_and_b32_e32 v11, 0xffff0000, v14
	v_add_f32_e32 v3, v4, v12
	v_add_f32_e32 v2, v7, v2
	;; [unrolled: 1-line block ×6, first 2 shown]
	v_cmp_le_i32_e32 vcc_lo, s12, v101
	v_add_f32_e32 v93, v93, v5
	v_add_f32_e32 v95, v95, v6
	;; [unrolled: 1-line block ×4, first 2 shown]
	s_or_b32 s14, vcc_lo, s14
	v_add_f32_e32 v80, v80, v1
	s_andn2_b32 exec_lo, exec_lo, s14
	s_cbranch_execz .LBB143_62
.LBB143_30:                             ; =>This Inner Loop Header: Depth=1
	global_load_dword v0, v[73:74], off
	v_cmp_eq_u32_e64 s1, s5, v101
	v_add_nc_u32_e32 v104, 1, v99
	v_or_b32_e32 v102, 3, v99
	v_or_b32_e32 v103, 2, v99
	;; [unrolled: 1-line block ×5, first 2 shown]
	s_waitcnt vmcnt(0)
	v_mad_i64_i32 v[0:1], null, v0, s13, 0
	v_lshlrev_b64 v[0:1], 1, v[0:1]
	v_add_co_u32 v21, vcc_lo, v97, v0
	v_add_co_ci_u32_e64 v22, null, v98, v1, vcc_lo
	v_or_b32_e32 v0, 6, v99
	global_load_dwordx4 v[1:4], v[21:22], off
	ds_read2_b64 v[49:52], v100 offset1:1
	ds_read2_b64 v[45:48], v100 offset0:2 offset1:3
	s_and_saveexec_b32 s18, s1
	s_cbranch_execnz .LBB143_49
; %bb.31:                               ;   in Loop: Header=BB143_30 Depth=1
	s_or_b32 exec_lo, exec_lo, s18
	global_load_dwordx4 v[5:8], v[21:22], off offset:512
	s_and_saveexec_b32 s18, s1
	s_cbranch_execnz .LBB143_50
.LBB143_32:                             ;   in Loop: Header=BB143_30 Depth=1
	s_or_b32 exec_lo, exec_lo, s18
	global_load_dwordx4 v[9:12], v[21:22], off offset:1024
	s_and_saveexec_b32 s18, s1
	s_cbranch_execnz .LBB143_51
.LBB143_33:                             ;   in Loop: Header=BB143_30 Depth=1
	s_or_b32 exec_lo, exec_lo, s18
	global_load_dwordx4 v[13:16], v[21:22], off offset:1536
	s_and_saveexec_b32 s18, s1
	s_cbranch_execz .LBB143_35
.LBB143_34:                             ;   in Loop: Header=BB143_30 Depth=1
	v_cmp_gt_i32_e64 s2, s11, v99
	v_cmp_gt_i32_e32 vcc_lo, s15, v104
	v_cmp_gt_i32_e64 s3, s11, v103
	s_waitcnt vmcnt(0)
	v_cndmask_b32_e64 v17, 0, v13, s2
	v_cmp_gt_i32_e64 s2, s15, v102
	v_cndmask_b32_sdwa v13, v96, v13, vcc_lo dst_sel:DWORD dst_unused:UNUSED_PAD src0_sel:DWORD src1_sel:WORD_1
	v_cndmask_b32_e64 v18, 0, v14, s3
	v_cmp_gt_i32_e64 s3, s15, v77
	s_mov_b32 vcc_lo, s2
	v_cmp_gt_i32_e64 s2, s15, v75
	v_cndmask_b32_sdwa v14, v96, v14, vcc_lo dst_sel:DWORD dst_unused:UNUSED_PAD src0_sel:DWORD src1_sel:WORD_1
	v_cmp_gt_i32_e32 vcc_lo, s11, v76
	v_perm_b32 v13, v13, v17, 0x5040100
	v_perm_b32 v14, v14, v18, 0x5040100
	v_cndmask_b32_e32 v19, 0, v15, vcc_lo
	s_mov_b32 vcc_lo, s3
	v_cndmask_b32_sdwa v15, v96, v15, vcc_lo dst_sel:DWORD dst_unused:UNUSED_PAD src0_sel:DWORD src1_sel:WORD_1
	v_cmp_gt_i32_e32 vcc_lo, s11, v0
	v_perm_b32 v15, v15, v19, 0x5040100
	v_cndmask_b32_e32 v20, 0, v16, vcc_lo
	s_mov_b32 vcc_lo, s2
	v_cndmask_b32_sdwa v16, v96, v16, vcc_lo dst_sel:DWORD dst_unused:UNUSED_PAD src0_sel:DWORD src1_sel:WORD_1
	v_perm_b32 v16, v16, v20, 0x5040100
.LBB143_35:                             ;   in Loop: Header=BB143_30 Depth=1
	s_or_b32 exec_lo, exec_lo, s18
	v_add_co_u32 v23, vcc_lo, 0x800, v21
	v_add_co_ci_u32_e64 v24, null, 0, v22, vcc_lo
	global_load_dwordx4 v[17:20], v[23:24], off
	s_and_saveexec_b32 s18, s1
	s_cbranch_execnz .LBB143_52
; %bb.36:                               ;   in Loop: Header=BB143_30 Depth=1
	s_or_b32 exec_lo, exec_lo, s18
	global_load_dwordx4 v[25:28], v[23:24], off offset:512
	s_and_saveexec_b32 s18, s1
	s_cbranch_execnz .LBB143_53
.LBB143_37:                             ;   in Loop: Header=BB143_30 Depth=1
	s_or_b32 exec_lo, exec_lo, s18
	global_load_dwordx4 v[29:32], v[23:24], off offset:1024
	s_and_saveexec_b32 s18, s1
	s_cbranch_execnz .LBB143_54
.LBB143_38:                             ;   in Loop: Header=BB143_30 Depth=1
	s_or_b32 exec_lo, exec_lo, s18
	global_load_dwordx4 v[33:36], v[23:24], off offset:1536
	s_and_saveexec_b32 s18, s1
	s_cbranch_execz .LBB143_40
.LBB143_39:                             ;   in Loop: Header=BB143_30 Depth=1
	v_cmp_gt_i32_e64 s2, s11, v99
	v_cmp_gt_i32_e32 vcc_lo, s15, v104
	v_cmp_gt_i32_e64 s3, s11, v103
	s_waitcnt vmcnt(0)
	v_cndmask_b32_e64 v23, 0, v33, s2
	v_cmp_gt_i32_e64 s2, s15, v102
	v_cndmask_b32_sdwa v33, v96, v33, vcc_lo dst_sel:DWORD dst_unused:UNUSED_PAD src0_sel:DWORD src1_sel:WORD_1
	v_cndmask_b32_e64 v24, 0, v34, s3
	v_cmp_gt_i32_e64 s3, s15, v77
	s_mov_b32 vcc_lo, s2
	v_cmp_gt_i32_e64 s2, s15, v75
	v_cndmask_b32_sdwa v34, v96, v34, vcc_lo dst_sel:DWORD dst_unused:UNUSED_PAD src0_sel:DWORD src1_sel:WORD_1
	v_cmp_gt_i32_e32 vcc_lo, s11, v76
	v_perm_b32 v33, v33, v23, 0x5040100
	v_perm_b32 v34, v34, v24, 0x5040100
	v_cndmask_b32_e32 v37, 0, v35, vcc_lo
	s_mov_b32 vcc_lo, s3
	v_cndmask_b32_sdwa v35, v96, v35, vcc_lo dst_sel:DWORD dst_unused:UNUSED_PAD src0_sel:DWORD src1_sel:WORD_1
	v_cmp_gt_i32_e32 vcc_lo, s11, v0
	v_perm_b32 v35, v35, v37, 0x5040100
	v_cndmask_b32_e32 v38, 0, v36, vcc_lo
	s_mov_b32 vcc_lo, s2
	v_cndmask_b32_sdwa v36, v96, v36, vcc_lo dst_sel:DWORD dst_unused:UNUSED_PAD src0_sel:DWORD src1_sel:WORD_1
	v_perm_b32 v36, v36, v38, 0x5040100
.LBB143_40:                             ;   in Loop: Header=BB143_30 Depth=1
	s_or_b32 exec_lo, exec_lo, s18
	v_add_co_u32 v23, vcc_lo, 0x1000, v21
	v_add_co_ci_u32_e64 v24, null, 0, v22, vcc_lo
	global_load_dwordx4 v[37:40], v[23:24], off
	s_and_saveexec_b32 s18, s1
	s_cbranch_execnz .LBB143_55
; %bb.41:                               ;   in Loop: Header=BB143_30 Depth=1
	s_or_b32 exec_lo, exec_lo, s18
	global_load_dwordx4 v[41:44], v[23:24], off offset:512
	s_and_saveexec_b32 s18, s1
	s_cbranch_execnz .LBB143_56
.LBB143_42:                             ;   in Loop: Header=BB143_30 Depth=1
	s_or_b32 exec_lo, exec_lo, s18
	global_load_dwordx4 v[53:56], v[23:24], off offset:1024
	s_and_saveexec_b32 s18, s1
	s_cbranch_execnz .LBB143_57
.LBB143_43:                             ;   in Loop: Header=BB143_30 Depth=1
	s_or_b32 exec_lo, exec_lo, s18
	global_load_dwordx4 v[57:60], v[23:24], off offset:1536
	s_and_saveexec_b32 s18, s1
	s_cbranch_execz .LBB143_45
.LBB143_44:                             ;   in Loop: Header=BB143_30 Depth=1
	v_cmp_gt_i32_e64 s2, s11, v99
	v_cmp_gt_i32_e32 vcc_lo, s15, v104
	v_cmp_gt_i32_e64 s3, s11, v103
	s_waitcnt vmcnt(0)
	v_cndmask_b32_e64 v23, 0, v57, s2
	v_cmp_gt_i32_e64 s2, s15, v102
	v_cndmask_b32_sdwa v57, v96, v57, vcc_lo dst_sel:DWORD dst_unused:UNUSED_PAD src0_sel:DWORD src1_sel:WORD_1
	v_cndmask_b32_e64 v24, 0, v58, s3
	v_cmp_gt_i32_e64 s3, s15, v77
	s_mov_b32 vcc_lo, s2
	v_cmp_gt_i32_e64 s2, s15, v75
	v_cndmask_b32_sdwa v58, v96, v58, vcc_lo dst_sel:DWORD dst_unused:UNUSED_PAD src0_sel:DWORD src1_sel:WORD_1
	v_cmp_gt_i32_e32 vcc_lo, s11, v76
	v_perm_b32 v57, v57, v23, 0x5040100
	v_perm_b32 v58, v58, v24, 0x5040100
	v_cndmask_b32_e32 v61, 0, v59, vcc_lo
	s_mov_b32 vcc_lo, s3
	v_cndmask_b32_sdwa v59, v96, v59, vcc_lo dst_sel:DWORD dst_unused:UNUSED_PAD src0_sel:DWORD src1_sel:WORD_1
	v_cmp_gt_i32_e32 vcc_lo, s11, v0
	v_perm_b32 v59, v59, v61, 0x5040100
	v_cndmask_b32_e32 v62, 0, v60, vcc_lo
	s_mov_b32 vcc_lo, s2
	v_cndmask_b32_sdwa v60, v96, v60, vcc_lo dst_sel:DWORD dst_unused:UNUSED_PAD src0_sel:DWORD src1_sel:WORD_1
	v_perm_b32 v60, v60, v62, 0x5040100
.LBB143_45:                             ;   in Loop: Header=BB143_30 Depth=1
	s_or_b32 exec_lo, exec_lo, s18
	v_add_co_u32 v21, vcc_lo, 0x1800, v21
	v_add_co_ci_u32_e64 v22, null, 0, v22, vcc_lo
	global_load_dwordx4 v[61:64], v[21:22], off
	s_and_saveexec_b32 s18, s1
	s_cbranch_execnz .LBB143_58
; %bb.46:                               ;   in Loop: Header=BB143_30 Depth=1
	s_or_b32 exec_lo, exec_lo, s18
	global_load_dwordx4 v[65:68], v[21:22], off offset:512
	s_and_saveexec_b32 s18, s1
	s_cbranch_execnz .LBB143_59
.LBB143_47:                             ;   in Loop: Header=BB143_30 Depth=1
	s_or_b32 exec_lo, exec_lo, s18
	global_load_dwordx4 v[69:72], v[21:22], off offset:1024
	s_and_saveexec_b32 s18, s1
	s_cbranch_execnz .LBB143_60
.LBB143_48:                             ;   in Loop: Header=BB143_30 Depth=1
	s_or_b32 exec_lo, exec_lo, s18
	global_load_dwordx4 v[21:24], v[21:22], off offset:1536
	s_and_saveexec_b32 s3, s1
	s_cbranch_execz .LBB143_29
	s_branch .LBB143_61
.LBB143_49:                             ;   in Loop: Header=BB143_30 Depth=1
	v_cmp_gt_i32_e64 s2, s11, v99
	v_cmp_gt_i32_e32 vcc_lo, s15, v104
	v_cmp_gt_i32_e64 s3, s11, v103
	s_waitcnt vmcnt(0)
	v_cndmask_b32_e64 v5, 0, v1, s2
	v_cmp_gt_i32_e64 s2, s15, v102
	v_cndmask_b32_sdwa v1, v96, v1, vcc_lo dst_sel:DWORD dst_unused:UNUSED_PAD src0_sel:DWORD src1_sel:WORD_1
	v_cndmask_b32_e64 v6, 0, v2, s3
	v_cmp_gt_i32_e64 s3, s15, v77
	s_mov_b32 vcc_lo, s2
	v_cmp_gt_i32_e64 s2, s15, v75
	v_cndmask_b32_sdwa v2, v96, v2, vcc_lo dst_sel:DWORD dst_unused:UNUSED_PAD src0_sel:DWORD src1_sel:WORD_1
	v_cmp_gt_i32_e32 vcc_lo, s11, v76
	v_perm_b32 v1, v1, v5, 0x5040100
	v_perm_b32 v2, v2, v6, 0x5040100
	v_cndmask_b32_e32 v7, 0, v3, vcc_lo
	s_mov_b32 vcc_lo, s3
	v_cndmask_b32_sdwa v3, v96, v3, vcc_lo dst_sel:DWORD dst_unused:UNUSED_PAD src0_sel:DWORD src1_sel:WORD_1
	v_cmp_gt_i32_e32 vcc_lo, s11, v0
	v_perm_b32 v3, v3, v7, 0x5040100
	v_cndmask_b32_e32 v8, 0, v4, vcc_lo
	s_mov_b32 vcc_lo, s2
	v_cndmask_b32_sdwa v4, v96, v4, vcc_lo dst_sel:DWORD dst_unused:UNUSED_PAD src0_sel:DWORD src1_sel:WORD_1
	v_perm_b32 v4, v4, v8, 0x5040100
	s_or_b32 exec_lo, exec_lo, s18
	global_load_dwordx4 v[5:8], v[21:22], off offset:512
	s_and_saveexec_b32 s18, s1
	s_cbranch_execz .LBB143_32
.LBB143_50:                             ;   in Loop: Header=BB143_30 Depth=1
	v_cmp_gt_i32_e64 s2, s11, v99
	v_cmp_gt_i32_e32 vcc_lo, s15, v104
	v_cmp_gt_i32_e64 s3, s11, v103
	s_waitcnt vmcnt(0)
	v_cndmask_b32_e64 v9, 0, v5, s2
	v_cmp_gt_i32_e64 s2, s15, v102
	v_cndmask_b32_sdwa v5, v96, v5, vcc_lo dst_sel:DWORD dst_unused:UNUSED_PAD src0_sel:DWORD src1_sel:WORD_1
	v_cndmask_b32_e64 v10, 0, v6, s3
	v_cmp_gt_i32_e64 s3, s15, v77
	s_mov_b32 vcc_lo, s2
	v_cmp_gt_i32_e64 s2, s15, v75
	v_cndmask_b32_sdwa v6, v96, v6, vcc_lo dst_sel:DWORD dst_unused:UNUSED_PAD src0_sel:DWORD src1_sel:WORD_1
	v_cmp_gt_i32_e32 vcc_lo, s11, v76
	v_perm_b32 v5, v5, v9, 0x5040100
	v_perm_b32 v6, v6, v10, 0x5040100
	v_cndmask_b32_e32 v11, 0, v7, vcc_lo
	s_mov_b32 vcc_lo, s3
	v_cndmask_b32_sdwa v7, v96, v7, vcc_lo dst_sel:DWORD dst_unused:UNUSED_PAD src0_sel:DWORD src1_sel:WORD_1
	v_cmp_gt_i32_e32 vcc_lo, s11, v0
	v_perm_b32 v7, v7, v11, 0x5040100
	v_cndmask_b32_e32 v12, 0, v8, vcc_lo
	s_mov_b32 vcc_lo, s2
	v_cndmask_b32_sdwa v8, v96, v8, vcc_lo dst_sel:DWORD dst_unused:UNUSED_PAD src0_sel:DWORD src1_sel:WORD_1
	v_perm_b32 v8, v8, v12, 0x5040100
	s_or_b32 exec_lo, exec_lo, s18
	global_load_dwordx4 v[9:12], v[21:22], off offset:1024
	s_and_saveexec_b32 s18, s1
	s_cbranch_execz .LBB143_33
.LBB143_51:                             ;   in Loop: Header=BB143_30 Depth=1
	v_cmp_gt_i32_e64 s2, s11, v99
	v_cmp_gt_i32_e32 vcc_lo, s15, v104
	v_cmp_gt_i32_e64 s3, s11, v103
	s_waitcnt vmcnt(0)
	v_cndmask_b32_e64 v13, 0, v9, s2
	v_cmp_gt_i32_e64 s2, s15, v102
	v_cndmask_b32_sdwa v9, v96, v9, vcc_lo dst_sel:DWORD dst_unused:UNUSED_PAD src0_sel:DWORD src1_sel:WORD_1
	v_cndmask_b32_e64 v14, 0, v10, s3
	v_cmp_gt_i32_e64 s3, s15, v77
	s_mov_b32 vcc_lo, s2
	v_cmp_gt_i32_e64 s2, s15, v75
	v_cndmask_b32_sdwa v10, v96, v10, vcc_lo dst_sel:DWORD dst_unused:UNUSED_PAD src0_sel:DWORD src1_sel:WORD_1
	v_cmp_gt_i32_e32 vcc_lo, s11, v76
	v_perm_b32 v9, v9, v13, 0x5040100
	v_perm_b32 v10, v10, v14, 0x5040100
	v_cndmask_b32_e32 v15, 0, v11, vcc_lo
	s_mov_b32 vcc_lo, s3
	v_cndmask_b32_sdwa v11, v96, v11, vcc_lo dst_sel:DWORD dst_unused:UNUSED_PAD src0_sel:DWORD src1_sel:WORD_1
	v_cmp_gt_i32_e32 vcc_lo, s11, v0
	v_perm_b32 v11, v11, v15, 0x5040100
	v_cndmask_b32_e32 v16, 0, v12, vcc_lo
	s_mov_b32 vcc_lo, s2
	v_cndmask_b32_sdwa v12, v96, v12, vcc_lo dst_sel:DWORD dst_unused:UNUSED_PAD src0_sel:DWORD src1_sel:WORD_1
	v_perm_b32 v12, v12, v16, 0x5040100
	s_or_b32 exec_lo, exec_lo, s18
	global_load_dwordx4 v[13:16], v[21:22], off offset:1536
	s_and_saveexec_b32 s18, s1
	s_cbranch_execnz .LBB143_34
	s_branch .LBB143_35
.LBB143_52:                             ;   in Loop: Header=BB143_30 Depth=1
	v_cmp_gt_i32_e64 s2, s11, v99
	v_cmp_gt_i32_e32 vcc_lo, s15, v104
	v_cmp_gt_i32_e64 s3, s11, v103
	s_waitcnt vmcnt(0)
	v_cndmask_b32_e64 v25, 0, v17, s2
	v_cmp_gt_i32_e64 s2, s15, v102
	v_cndmask_b32_sdwa v17, v96, v17, vcc_lo dst_sel:DWORD dst_unused:UNUSED_PAD src0_sel:DWORD src1_sel:WORD_1
	v_cndmask_b32_e64 v26, 0, v18, s3
	v_cmp_gt_i32_e64 s3, s15, v77
	s_mov_b32 vcc_lo, s2
	v_cmp_gt_i32_e64 s2, s15, v75
	v_cndmask_b32_sdwa v18, v96, v18, vcc_lo dst_sel:DWORD dst_unused:UNUSED_PAD src0_sel:DWORD src1_sel:WORD_1
	v_cmp_gt_i32_e32 vcc_lo, s11, v76
	v_perm_b32 v17, v17, v25, 0x5040100
	v_perm_b32 v18, v18, v26, 0x5040100
	v_cndmask_b32_e32 v27, 0, v19, vcc_lo
	s_mov_b32 vcc_lo, s3
	v_cndmask_b32_sdwa v19, v96, v19, vcc_lo dst_sel:DWORD dst_unused:UNUSED_PAD src0_sel:DWORD src1_sel:WORD_1
	v_cmp_gt_i32_e32 vcc_lo, s11, v0
	v_perm_b32 v19, v19, v27, 0x5040100
	v_cndmask_b32_e32 v28, 0, v20, vcc_lo
	s_mov_b32 vcc_lo, s2
	v_cndmask_b32_sdwa v20, v96, v20, vcc_lo dst_sel:DWORD dst_unused:UNUSED_PAD src0_sel:DWORD src1_sel:WORD_1
	v_perm_b32 v20, v20, v28, 0x5040100
	s_or_b32 exec_lo, exec_lo, s18
	global_load_dwordx4 v[25:28], v[23:24], off offset:512
	s_and_saveexec_b32 s18, s1
	s_cbranch_execz .LBB143_37
.LBB143_53:                             ;   in Loop: Header=BB143_30 Depth=1
	v_cmp_gt_i32_e64 s2, s11, v99
	v_cmp_gt_i32_e32 vcc_lo, s15, v104
	v_cmp_gt_i32_e64 s3, s11, v103
	s_waitcnt vmcnt(0)
	v_cndmask_b32_e64 v29, 0, v25, s2
	v_cmp_gt_i32_e64 s2, s15, v102
	v_cndmask_b32_sdwa v25, v96, v25, vcc_lo dst_sel:DWORD dst_unused:UNUSED_PAD src0_sel:DWORD src1_sel:WORD_1
	v_cndmask_b32_e64 v30, 0, v26, s3
	v_cmp_gt_i32_e64 s3, s15, v77
	s_mov_b32 vcc_lo, s2
	v_cmp_gt_i32_e64 s2, s15, v75
	v_cndmask_b32_sdwa v26, v96, v26, vcc_lo dst_sel:DWORD dst_unused:UNUSED_PAD src0_sel:DWORD src1_sel:WORD_1
	v_cmp_gt_i32_e32 vcc_lo, s11, v76
	v_perm_b32 v25, v25, v29, 0x5040100
	v_perm_b32 v26, v26, v30, 0x5040100
	v_cndmask_b32_e32 v31, 0, v27, vcc_lo
	s_mov_b32 vcc_lo, s3
	v_cndmask_b32_sdwa v27, v96, v27, vcc_lo dst_sel:DWORD dst_unused:UNUSED_PAD src0_sel:DWORD src1_sel:WORD_1
	v_cmp_gt_i32_e32 vcc_lo, s11, v0
	v_perm_b32 v27, v27, v31, 0x5040100
	v_cndmask_b32_e32 v32, 0, v28, vcc_lo
	s_mov_b32 vcc_lo, s2
	v_cndmask_b32_sdwa v28, v96, v28, vcc_lo dst_sel:DWORD dst_unused:UNUSED_PAD src0_sel:DWORD src1_sel:WORD_1
	v_perm_b32 v28, v28, v32, 0x5040100
	s_or_b32 exec_lo, exec_lo, s18
	global_load_dwordx4 v[29:32], v[23:24], off offset:1024
	s_and_saveexec_b32 s18, s1
	s_cbranch_execz .LBB143_38
.LBB143_54:                             ;   in Loop: Header=BB143_30 Depth=1
	v_cmp_gt_i32_e64 s2, s11, v99
	v_cmp_gt_i32_e32 vcc_lo, s15, v104
	v_cmp_gt_i32_e64 s3, s11, v103
	s_waitcnt vmcnt(0)
	v_cndmask_b32_e64 v33, 0, v29, s2
	v_cmp_gt_i32_e64 s2, s15, v102
	v_cndmask_b32_sdwa v29, v96, v29, vcc_lo dst_sel:DWORD dst_unused:UNUSED_PAD src0_sel:DWORD src1_sel:WORD_1
	v_cndmask_b32_e64 v34, 0, v30, s3
	v_cmp_gt_i32_e64 s3, s15, v77
	s_mov_b32 vcc_lo, s2
	v_cmp_gt_i32_e64 s2, s15, v75
	v_cndmask_b32_sdwa v30, v96, v30, vcc_lo dst_sel:DWORD dst_unused:UNUSED_PAD src0_sel:DWORD src1_sel:WORD_1
	v_cmp_gt_i32_e32 vcc_lo, s11, v76
	v_perm_b32 v29, v29, v33, 0x5040100
	v_perm_b32 v30, v30, v34, 0x5040100
	v_cndmask_b32_e32 v35, 0, v31, vcc_lo
	s_mov_b32 vcc_lo, s3
	v_cndmask_b32_sdwa v31, v96, v31, vcc_lo dst_sel:DWORD dst_unused:UNUSED_PAD src0_sel:DWORD src1_sel:WORD_1
	v_cmp_gt_i32_e32 vcc_lo, s11, v0
	v_perm_b32 v31, v31, v35, 0x5040100
	v_cndmask_b32_e32 v36, 0, v32, vcc_lo
	s_mov_b32 vcc_lo, s2
	v_cndmask_b32_sdwa v32, v96, v32, vcc_lo dst_sel:DWORD dst_unused:UNUSED_PAD src0_sel:DWORD src1_sel:WORD_1
	v_perm_b32 v32, v32, v36, 0x5040100
	s_or_b32 exec_lo, exec_lo, s18
	global_load_dwordx4 v[33:36], v[23:24], off offset:1536
	s_and_saveexec_b32 s18, s1
	s_cbranch_execnz .LBB143_39
	s_branch .LBB143_40
.LBB143_55:                             ;   in Loop: Header=BB143_30 Depth=1
	v_cmp_gt_i32_e64 s2, s11, v99
	v_cmp_gt_i32_e32 vcc_lo, s15, v104
	v_cmp_gt_i32_e64 s3, s11, v103
	s_waitcnt vmcnt(0)
	v_cndmask_b32_e64 v41, 0, v37, s2
	v_cmp_gt_i32_e64 s2, s15, v102
	v_cndmask_b32_sdwa v37, v96, v37, vcc_lo dst_sel:DWORD dst_unused:UNUSED_PAD src0_sel:DWORD src1_sel:WORD_1
	v_cndmask_b32_e64 v42, 0, v38, s3
	v_cmp_gt_i32_e64 s3, s15, v77
	s_mov_b32 vcc_lo, s2
	v_cmp_gt_i32_e64 s2, s15, v75
	v_cndmask_b32_sdwa v38, v96, v38, vcc_lo dst_sel:DWORD dst_unused:UNUSED_PAD src0_sel:DWORD src1_sel:WORD_1
	v_cmp_gt_i32_e32 vcc_lo, s11, v76
	v_perm_b32 v37, v37, v41, 0x5040100
	v_perm_b32 v38, v38, v42, 0x5040100
	v_cndmask_b32_e32 v43, 0, v39, vcc_lo
	s_mov_b32 vcc_lo, s3
	v_cndmask_b32_sdwa v39, v96, v39, vcc_lo dst_sel:DWORD dst_unused:UNUSED_PAD src0_sel:DWORD src1_sel:WORD_1
	v_cmp_gt_i32_e32 vcc_lo, s11, v0
	v_perm_b32 v39, v39, v43, 0x5040100
	v_cndmask_b32_e32 v44, 0, v40, vcc_lo
	s_mov_b32 vcc_lo, s2
	v_cndmask_b32_sdwa v40, v96, v40, vcc_lo dst_sel:DWORD dst_unused:UNUSED_PAD src0_sel:DWORD src1_sel:WORD_1
	v_perm_b32 v40, v40, v44, 0x5040100
	s_or_b32 exec_lo, exec_lo, s18
	global_load_dwordx4 v[41:44], v[23:24], off offset:512
	s_and_saveexec_b32 s18, s1
	s_cbranch_execz .LBB143_42
.LBB143_56:                             ;   in Loop: Header=BB143_30 Depth=1
	v_cmp_gt_i32_e64 s2, s11, v99
	v_cmp_gt_i32_e32 vcc_lo, s15, v104
	v_cmp_gt_i32_e64 s3, s11, v103
	s_waitcnt vmcnt(0)
	v_cndmask_b32_e64 v53, 0, v41, s2
	v_cmp_gt_i32_e64 s2, s15, v102
	v_cndmask_b32_sdwa v41, v96, v41, vcc_lo dst_sel:DWORD dst_unused:UNUSED_PAD src0_sel:DWORD src1_sel:WORD_1
	v_cndmask_b32_e64 v54, 0, v42, s3
	v_cmp_gt_i32_e64 s3, s15, v77
	s_mov_b32 vcc_lo, s2
	v_cmp_gt_i32_e64 s2, s15, v75
	v_cndmask_b32_sdwa v42, v96, v42, vcc_lo dst_sel:DWORD dst_unused:UNUSED_PAD src0_sel:DWORD src1_sel:WORD_1
	v_cmp_gt_i32_e32 vcc_lo, s11, v76
	v_perm_b32 v41, v41, v53, 0x5040100
	v_perm_b32 v42, v42, v54, 0x5040100
	v_cndmask_b32_e32 v55, 0, v43, vcc_lo
	s_mov_b32 vcc_lo, s3
	v_cndmask_b32_sdwa v43, v96, v43, vcc_lo dst_sel:DWORD dst_unused:UNUSED_PAD src0_sel:DWORD src1_sel:WORD_1
	v_cmp_gt_i32_e32 vcc_lo, s11, v0
	v_perm_b32 v43, v43, v55, 0x5040100
	v_cndmask_b32_e32 v56, 0, v44, vcc_lo
	s_mov_b32 vcc_lo, s2
	v_cndmask_b32_sdwa v44, v96, v44, vcc_lo dst_sel:DWORD dst_unused:UNUSED_PAD src0_sel:DWORD src1_sel:WORD_1
	v_perm_b32 v44, v44, v56, 0x5040100
	s_or_b32 exec_lo, exec_lo, s18
	global_load_dwordx4 v[53:56], v[23:24], off offset:1024
	s_and_saveexec_b32 s18, s1
	s_cbranch_execz .LBB143_43
.LBB143_57:                             ;   in Loop: Header=BB143_30 Depth=1
	v_cmp_gt_i32_e64 s2, s11, v99
	v_cmp_gt_i32_e32 vcc_lo, s15, v104
	v_cmp_gt_i32_e64 s3, s11, v103
	s_waitcnt vmcnt(0)
	v_cndmask_b32_e64 v57, 0, v53, s2
	v_cmp_gt_i32_e64 s2, s15, v102
	v_cndmask_b32_sdwa v53, v96, v53, vcc_lo dst_sel:DWORD dst_unused:UNUSED_PAD src0_sel:DWORD src1_sel:WORD_1
	v_cndmask_b32_e64 v58, 0, v54, s3
	v_cmp_gt_i32_e64 s3, s15, v77
	s_mov_b32 vcc_lo, s2
	v_cmp_gt_i32_e64 s2, s15, v75
	v_cndmask_b32_sdwa v54, v96, v54, vcc_lo dst_sel:DWORD dst_unused:UNUSED_PAD src0_sel:DWORD src1_sel:WORD_1
	v_cmp_gt_i32_e32 vcc_lo, s11, v76
	v_perm_b32 v53, v53, v57, 0x5040100
	v_perm_b32 v54, v54, v58, 0x5040100
	v_cndmask_b32_e32 v59, 0, v55, vcc_lo
	s_mov_b32 vcc_lo, s3
	v_cndmask_b32_sdwa v55, v96, v55, vcc_lo dst_sel:DWORD dst_unused:UNUSED_PAD src0_sel:DWORD src1_sel:WORD_1
	v_cmp_gt_i32_e32 vcc_lo, s11, v0
	v_perm_b32 v55, v55, v59, 0x5040100
	v_cndmask_b32_e32 v60, 0, v56, vcc_lo
	s_mov_b32 vcc_lo, s2
	v_cndmask_b32_sdwa v56, v96, v56, vcc_lo dst_sel:DWORD dst_unused:UNUSED_PAD src0_sel:DWORD src1_sel:WORD_1
	v_perm_b32 v56, v56, v60, 0x5040100
	s_or_b32 exec_lo, exec_lo, s18
	global_load_dwordx4 v[57:60], v[23:24], off offset:1536
	s_and_saveexec_b32 s18, s1
	s_cbranch_execnz .LBB143_44
	s_branch .LBB143_45
.LBB143_58:                             ;   in Loop: Header=BB143_30 Depth=1
	v_cmp_gt_i32_e64 s2, s11, v99
	v_cmp_gt_i32_e32 vcc_lo, s15, v104
	v_cmp_gt_i32_e64 s3, s11, v103
	s_waitcnt vmcnt(0)
	v_cndmask_b32_e64 v23, 0, v61, s2
	v_cmp_gt_i32_e64 s2, s15, v102
	v_cndmask_b32_sdwa v61, v96, v61, vcc_lo dst_sel:DWORD dst_unused:UNUSED_PAD src0_sel:DWORD src1_sel:WORD_1
	v_cndmask_b32_e64 v24, 0, v62, s3
	v_cmp_gt_i32_e64 s3, s15, v77
	s_mov_b32 vcc_lo, s2
	v_cmp_gt_i32_e64 s2, s15, v75
	v_cndmask_b32_sdwa v62, v96, v62, vcc_lo dst_sel:DWORD dst_unused:UNUSED_PAD src0_sel:DWORD src1_sel:WORD_1
	v_cmp_gt_i32_e32 vcc_lo, s11, v76
	v_perm_b32 v61, v61, v23, 0x5040100
	v_perm_b32 v62, v62, v24, 0x5040100
	v_cndmask_b32_e32 v65, 0, v63, vcc_lo
	s_mov_b32 vcc_lo, s3
	v_cndmask_b32_sdwa v63, v96, v63, vcc_lo dst_sel:DWORD dst_unused:UNUSED_PAD src0_sel:DWORD src1_sel:WORD_1
	v_cmp_gt_i32_e32 vcc_lo, s11, v0
	v_perm_b32 v63, v63, v65, 0x5040100
	v_cndmask_b32_e32 v66, 0, v64, vcc_lo
	s_mov_b32 vcc_lo, s2
	v_cndmask_b32_sdwa v64, v96, v64, vcc_lo dst_sel:DWORD dst_unused:UNUSED_PAD src0_sel:DWORD src1_sel:WORD_1
	v_perm_b32 v64, v64, v66, 0x5040100
	s_or_b32 exec_lo, exec_lo, s18
	global_load_dwordx4 v[65:68], v[21:22], off offset:512
	s_and_saveexec_b32 s18, s1
	s_cbranch_execz .LBB143_47
.LBB143_59:                             ;   in Loop: Header=BB143_30 Depth=1
	v_cmp_gt_i32_e64 s2, s11, v99
	v_cmp_gt_i32_e32 vcc_lo, s15, v104
	v_cmp_gt_i32_e64 s3, s11, v103
	s_waitcnt vmcnt(0)
	v_cndmask_b32_e64 v23, 0, v65, s2
	v_cmp_gt_i32_e64 s2, s15, v102
	v_cndmask_b32_sdwa v65, v96, v65, vcc_lo dst_sel:DWORD dst_unused:UNUSED_PAD src0_sel:DWORD src1_sel:WORD_1
	v_cndmask_b32_e64 v24, 0, v66, s3
	v_cmp_gt_i32_e64 s3, s15, v77
	s_mov_b32 vcc_lo, s2
	v_cmp_gt_i32_e64 s2, s15, v75
	v_cndmask_b32_sdwa v66, v96, v66, vcc_lo dst_sel:DWORD dst_unused:UNUSED_PAD src0_sel:DWORD src1_sel:WORD_1
	v_cmp_gt_i32_e32 vcc_lo, s11, v76
	v_perm_b32 v65, v65, v23, 0x5040100
	v_perm_b32 v66, v66, v24, 0x5040100
	v_cndmask_b32_e32 v69, 0, v67, vcc_lo
	s_mov_b32 vcc_lo, s3
	v_cndmask_b32_sdwa v67, v96, v67, vcc_lo dst_sel:DWORD dst_unused:UNUSED_PAD src0_sel:DWORD src1_sel:WORD_1
	v_cmp_gt_i32_e32 vcc_lo, s11, v0
	v_perm_b32 v67, v67, v69, 0x5040100
	v_cndmask_b32_e32 v70, 0, v68, vcc_lo
	s_mov_b32 vcc_lo, s2
	v_cndmask_b32_sdwa v68, v96, v68, vcc_lo dst_sel:DWORD dst_unused:UNUSED_PAD src0_sel:DWORD src1_sel:WORD_1
	v_perm_b32 v68, v68, v70, 0x5040100
	s_or_b32 exec_lo, exec_lo, s18
	global_load_dwordx4 v[69:72], v[21:22], off offset:1024
	s_and_saveexec_b32 s18, s1
	s_cbranch_execz .LBB143_48
.LBB143_60:                             ;   in Loop: Header=BB143_30 Depth=1
	v_cmp_gt_i32_e64 s2, s11, v99
	v_cmp_gt_i32_e32 vcc_lo, s15, v104
	v_cmp_gt_i32_e64 s3, s11, v103
	s_waitcnt vmcnt(0)
	v_cndmask_b32_e64 v23, 0, v69, s2
	v_cmp_gt_i32_e64 s2, s15, v102
	v_cndmask_b32_sdwa v69, v96, v69, vcc_lo dst_sel:DWORD dst_unused:UNUSED_PAD src0_sel:DWORD src1_sel:WORD_1
	v_cndmask_b32_e64 v24, 0, v70, s3
	v_cmp_gt_i32_e64 s3, s15, v77
	s_mov_b32 vcc_lo, s2
	v_cmp_gt_i32_e64 s2, s15, v75
	v_cndmask_b32_sdwa v70, v96, v70, vcc_lo dst_sel:DWORD dst_unused:UNUSED_PAD src0_sel:DWORD src1_sel:WORD_1
	v_cmp_gt_i32_e32 vcc_lo, s11, v76
	v_perm_b32 v69, v69, v23, 0x5040100
	v_perm_b32 v70, v70, v24, 0x5040100
	v_cndmask_b32_e32 v105, 0, v71, vcc_lo
	s_mov_b32 vcc_lo, s3
	v_cndmask_b32_sdwa v71, v96, v71, vcc_lo dst_sel:DWORD dst_unused:UNUSED_PAD src0_sel:DWORD src1_sel:WORD_1
	v_cmp_gt_i32_e32 vcc_lo, s11, v0
	v_perm_b32 v71, v71, v105, 0x5040100
	v_cndmask_b32_e32 v106, 0, v72, vcc_lo
	s_mov_b32 vcc_lo, s2
	v_cndmask_b32_sdwa v72, v96, v72, vcc_lo dst_sel:DWORD dst_unused:UNUSED_PAD src0_sel:DWORD src1_sel:WORD_1
	v_perm_b32 v72, v72, v106, 0x5040100
	s_or_b32 exec_lo, exec_lo, s18
	global_load_dwordx4 v[21:24], v[21:22], off offset:1536
	s_and_saveexec_b32 s3, s1
	s_cbranch_execz .LBB143_29
.LBB143_61:                             ;   in Loop: Header=BB143_30 Depth=1
	v_cmp_gt_i32_e64 s1, s11, v99
	v_cmp_gt_i32_e32 vcc_lo, s15, v104
	v_cmp_gt_i32_e64 s2, s11, v103
	s_waitcnt vmcnt(0)
	v_cndmask_b32_e64 v104, 0, v21, s1
	v_cmp_gt_i32_e64 s1, s15, v102
	v_cndmask_b32_sdwa v21, v96, v21, vcc_lo dst_sel:DWORD dst_unused:UNUSED_PAD src0_sel:DWORD src1_sel:WORD_1
	v_cndmask_b32_e64 v102, 0, v22, s2
	v_cmp_gt_i32_e64 s2, s15, v77
	s_mov_b32 vcc_lo, s1
	v_cmp_gt_i32_e64 s1, s15, v75
	v_cndmask_b32_sdwa v22, v96, v22, vcc_lo dst_sel:DWORD dst_unused:UNUSED_PAD src0_sel:DWORD src1_sel:WORD_1
	v_cmp_gt_i32_e32 vcc_lo, s11, v76
	v_perm_b32 v21, v21, v104, 0x5040100
	v_perm_b32 v22, v22, v102, 0x5040100
	v_cndmask_b32_e32 v76, 0, v23, vcc_lo
	s_mov_b32 vcc_lo, s2
	v_cndmask_b32_sdwa v23, v96, v23, vcc_lo dst_sel:DWORD dst_unused:UNUSED_PAD src0_sel:DWORD src1_sel:WORD_1
	v_cmp_gt_i32_e32 vcc_lo, s11, v0
	v_perm_b32 v23, v23, v76, 0x5040100
	v_cndmask_b32_e32 v0, 0, v24, vcc_lo
	s_mov_b32 vcc_lo, s1
	v_cndmask_b32_sdwa v24, v96, v24, vcc_lo dst_sel:DWORD dst_unused:UNUSED_PAD src0_sel:DWORD src1_sel:WORD_1
	v_perm_b32 v24, v24, v0, 0x5040100
	s_branch .LBB143_29
.LBB143_62:
	s_or_b32 exec_lo, exec_lo, s14
.LBB143_63:
	s_or_b32 exec_lo, exec_lo, s4
	ds_bpermute_b32 v7, v79, v88
	ds_bpermute_b32 v16, v79, v87
	;; [unrolled: 1-line block ×16, first 2 shown]
	s_mov_b32 s1, exec_lo
	s_waitcnt lgkmcnt(0)
	s_barrier
	buffer_gl0_inv
	v_add_f32_e32 v8, v88, v7
	v_add_f32_e32 v7, v87, v16
	v_lshrrev_b32_e32 v16, 1, v78
	v_add_f32_e32 v15, v94, v0
	v_add_f32_e32 v14, v95, v1
	;; [unrolled: 1-line block ×12, first 2 shown]
	v_and_b32_e32 v19, 0x3c1, v108
	v_add_f32_e32 v2, v81, v22
	v_add_f32_e32 v1, v80, v23
	v_lshl_add_u32 v17, v16, 2, 0x220
	v_lshlrev_b32_e32 v18, 10, v110
	v_cmpx_eq_u32_e32 64, v19
	s_cbranch_execz .LBB143_65
; %bb.64:
	v_add_nc_u32_e32 v19, v17, v18
	v_add_nc_u32_e32 v20, 0xfffff800, v19
	;; [unrolled: 1-line block ×7, first 2 shown]
	ds_write_b32 v20, v15
	ds_write_b32 v21, v14
	;; [unrolled: 1-line block ×6, first 2 shown]
	v_add_nc_u32_e32 v20, 0xfffff980, v19
	v_add_nc_u32_e32 v21, 0xfffff9c0, v19
	;; [unrolled: 1-line block ×5, first 2 shown]
	ds_write_b32 v20, v9
	ds_write_b32 v21, v8
	;; [unrolled: 1-line block ×5, first 2 shown]
	v_add_nc_u32_e32 v20, 0xfffffac0, v19
	v_add_nc_u32_e32 v21, 0xfffffb00, v19
	;; [unrolled: 1-line block ×5, first 2 shown]
	ds_write_b32 v20, v4
	ds_write_b32 v21, v3
	ds_write_b32 v22, v0
	ds_write_b32 v23, v2
	ds_write_b32 v19, v1
.LBB143_65:
	s_or_b32 exec_lo, exec_lo, s1
	v_lshlrev_b32_e32 v16, 2, v16
	v_cmp_eq_u32_e32 vcc_lo, 0, v109
	s_waitcnt lgkmcnt(0)
	s_barrier
	buffer_gl0_inv
	v_add3_u32 v16, 0x220, v18, v16
	s_and_saveexec_b32 s1, s0
	s_cbranch_execz .LBB143_84
; %bb.66:
	s_and_saveexec_b32 s0, vcc_lo
	s_cbranch_execnz .LBB143_108
; %bb.67:
	s_or_b32 exec_lo, exec_lo, s0
	s_and_saveexec_b32 s0, vcc_lo
	s_cbranch_execnz .LBB143_109
.LBB143_68:
	s_or_b32 exec_lo, exec_lo, s0
	s_and_saveexec_b32 s0, vcc_lo
	s_cbranch_execnz .LBB143_110
.LBB143_69:
	s_or_b32 exec_lo, exec_lo, s0
	s_and_saveexec_b32 s0, vcc_lo
	s_cbranch_execnz .LBB143_111
.LBB143_70:
	s_or_b32 exec_lo, exec_lo, s0
	s_and_saveexec_b32 s0, vcc_lo
	s_cbranch_execnz .LBB143_112
.LBB143_71:
	s_or_b32 exec_lo, exec_lo, s0
	s_and_saveexec_b32 s0, vcc_lo
	s_cbranch_execnz .LBB143_113
.LBB143_72:
	s_or_b32 exec_lo, exec_lo, s0
	s_and_saveexec_b32 s0, vcc_lo
	s_cbranch_execnz .LBB143_114
.LBB143_73:
	s_or_b32 exec_lo, exec_lo, s0
	s_and_saveexec_b32 s0, vcc_lo
	s_cbranch_execnz .LBB143_115
.LBB143_74:
	s_or_b32 exec_lo, exec_lo, s0
	s_and_saveexec_b32 s0, vcc_lo
	s_cbranch_execnz .LBB143_116
.LBB143_75:
	s_or_b32 exec_lo, exec_lo, s0
	s_and_saveexec_b32 s0, vcc_lo
	s_cbranch_execnz .LBB143_117
.LBB143_76:
	s_or_b32 exec_lo, exec_lo, s0
	s_and_saveexec_b32 s0, vcc_lo
	s_cbranch_execnz .LBB143_118
.LBB143_77:
	s_or_b32 exec_lo, exec_lo, s0
	s_and_saveexec_b32 s0, vcc_lo
	s_cbranch_execnz .LBB143_119
.LBB143_78:
	s_or_b32 exec_lo, exec_lo, s0
	s_and_saveexec_b32 s0, vcc_lo
	s_cbranch_execnz .LBB143_120
.LBB143_79:
	s_or_b32 exec_lo, exec_lo, s0
	s_and_saveexec_b32 s0, vcc_lo
	s_cbranch_execnz .LBB143_121
.LBB143_80:
	s_or_b32 exec_lo, exec_lo, s0
	s_and_saveexec_b32 s0, vcc_lo
	s_cbranch_execnz .LBB143_122
.LBB143_81:
	s_or_b32 exec_lo, exec_lo, s0
	s_and_saveexec_b32 s0, vcc_lo
	s_cbranch_execz .LBB143_83
.LBB143_82:
	ds_read_b32 v18, v16 offset:960
	s_waitcnt lgkmcnt(0)
	v_add_f32_e32 v1, v1, v18
.LBB143_83:
	s_or_b32 exec_lo, exec_lo, s0
.LBB143_84:
	s_or_b32 exec_lo, exec_lo, s1
	v_and_b32_e32 v18, 0x3e1, v108
	s_mov_b32 s1, exec_lo
	s_barrier
	buffer_gl0_inv
	v_cmpx_eq_u32_e32 32, v18
	s_cbranch_execz .LBB143_86
; %bb.85:
	ds_write2_b32 v17, v15, v14 offset1:16
	ds_write2_b32 v17, v13, v12 offset0:32 offset1:48
	ds_write2_b32 v17, v11, v10 offset0:64 offset1:80
	;; [unrolled: 1-line block ×7, first 2 shown]
.LBB143_86:
	s_or_b32 exec_lo, exec_lo, s1
	s_mov_b32 s1, exec_lo
	s_waitcnt lgkmcnt(0)
	s_barrier
	buffer_gl0_inv
	v_cmpx_gt_u32_e32 32, v108
	s_cbranch_execz .LBB143_105
; %bb.87:
	s_and_saveexec_b32 s0, vcc_lo
	s_cbranch_execnz .LBB143_123
; %bb.88:
	s_or_b32 exec_lo, exec_lo, s0
	s_and_saveexec_b32 s0, vcc_lo
	s_cbranch_execnz .LBB143_124
.LBB143_89:
	s_or_b32 exec_lo, exec_lo, s0
	s_and_saveexec_b32 s0, vcc_lo
	s_cbranch_execnz .LBB143_125
.LBB143_90:
	s_or_b32 exec_lo, exec_lo, s0
	s_and_saveexec_b32 s0, vcc_lo
	s_cbranch_execnz .LBB143_126
.LBB143_91:
	s_or_b32 exec_lo, exec_lo, s0
	s_and_saveexec_b32 s0, vcc_lo
	s_cbranch_execnz .LBB143_127
.LBB143_92:
	s_or_b32 exec_lo, exec_lo, s0
	s_and_saveexec_b32 s0, vcc_lo
	s_cbranch_execnz .LBB143_128
.LBB143_93:
	s_or_b32 exec_lo, exec_lo, s0
	s_and_saveexec_b32 s0, vcc_lo
	s_cbranch_execnz .LBB143_129
.LBB143_94:
	s_or_b32 exec_lo, exec_lo, s0
	s_and_saveexec_b32 s0, vcc_lo
	s_cbranch_execnz .LBB143_130
.LBB143_95:
	s_or_b32 exec_lo, exec_lo, s0
	s_and_saveexec_b32 s0, vcc_lo
	s_cbranch_execnz .LBB143_131
.LBB143_96:
	s_or_b32 exec_lo, exec_lo, s0
	s_and_saveexec_b32 s0, vcc_lo
	s_cbranch_execnz .LBB143_132
.LBB143_97:
	s_or_b32 exec_lo, exec_lo, s0
	s_and_saveexec_b32 s0, vcc_lo
	s_cbranch_execnz .LBB143_133
.LBB143_98:
	s_or_b32 exec_lo, exec_lo, s0
	s_and_saveexec_b32 s0, vcc_lo
	s_cbranch_execnz .LBB143_134
.LBB143_99:
	s_or_b32 exec_lo, exec_lo, s0
	s_and_saveexec_b32 s0, vcc_lo
	s_cbranch_execnz .LBB143_135
.LBB143_100:
	s_or_b32 exec_lo, exec_lo, s0
	s_and_saveexec_b32 s0, vcc_lo
	s_cbranch_execnz .LBB143_136
.LBB143_101:
	s_or_b32 exec_lo, exec_lo, s0
	s_and_saveexec_b32 s0, vcc_lo
	s_cbranch_execnz .LBB143_137
.LBB143_102:
	s_or_b32 exec_lo, exec_lo, s0
	s_and_saveexec_b32 s0, vcc_lo
	s_cbranch_execz .LBB143_104
.LBB143_103:
	ds_read_b32 v16, v16 offset:960
	s_waitcnt lgkmcnt(0)
	v_add_f32_e32 v1, v1, v16
.LBB143_104:
	s_or_b32 exec_lo, exec_lo, s0
.LBB143_105:
	s_or_b32 exec_lo, exec_lo, s1
	s_barrier
	buffer_gl0_inv
	s_mov_b32 s0, exec_lo
	v_cmpx_eq_u32_e32 0, v18
	s_cbranch_execz .LBB143_107
; %bb.106:
	s_mul_i32 s0, s10, s7
	s_mul_i32 s2, s7, s6
	;; [unrolled: 1-line block ×3, first 2 shown]
	v_bfe_u32 v17, v15, 16, 1
	s_lshl_b32 s0, s0, 8
	v_or_b32_e32 v18, 0x400000, v15
	s_ashr_i32 s1, s0, 31
	v_bfe_u32 v19, v14, 16, 1
	s_lshl_b64 s[0:1], s[0:1], 1
	v_add3_u32 v17, v17, v15, 0x7fff
	s_add_u32 s4, s16, s0
	s_addc_u32 s5, s17, s1
	s_ashr_i32 s3, s2, 31
	v_cmp_u_f32_e32 vcc_lo, v15, v15
	s_lshl_b64 s[0:1], s[2:3], 1
	v_lshlrev_b32_e32 v16, 1, v107
	s_add_u32 s2, s4, s0
	s_addc_u32 s3, s5, s1
	s_lshl_b32 s0, s8, 8
	v_cndmask_b32_e32 v15, v17, v18, vcc_lo
	s_ashr_i32 s1, s0, 31
	v_bfe_u32 v17, v13, 16, 1
	s_lshl_b64 s[0:1], s[0:1], 1
	v_add3_u32 v18, v19, v14, 0x7fff
	v_or_b32_e32 v19, 0x400000, v14
	v_cmp_u_f32_e32 vcc_lo, v14, v14
	s_add_u32 s0, s2, s0
	s_addc_u32 s1, s3, s1
	global_store_short_d16_hi v16, v15, s[0:1]
	v_add3_u32 v15, v17, v13, 0x7fff
	v_or_b32_e32 v17, 0x400000, v13
	v_cndmask_b32_e32 v14, v18, v19, vcc_lo
	v_bfe_u32 v18, v12, 16, 1
	v_cmp_u_f32_e32 vcc_lo, v13, v13
	global_store_short_d16_hi v16, v14, s[0:1] offset:32
	v_add3_u32 v14, v18, v12, 0x7fff
	v_cndmask_b32_e32 v13, v15, v17, vcc_lo
	v_bfe_u32 v15, v11, 16, 1
	v_or_b32_e32 v17, 0x400000, v12
	v_cmp_u_f32_e32 vcc_lo, v12, v12
	global_store_short_d16_hi v16, v13, s[0:1] offset:64
	v_add3_u32 v13, v15, v11, 0x7fff
	v_or_b32_e32 v15, 0x400000, v11
	v_cndmask_b32_e32 v12, v14, v17, vcc_lo
	v_bfe_u32 v14, v10, 16, 1
	v_cmp_u_f32_e32 vcc_lo, v11, v11
	global_store_short_d16_hi v16, v12, s[0:1] offset:96
	v_add3_u32 v12, v14, v10, 0x7fff
	v_cndmask_b32_e32 v11, v13, v15, vcc_lo
	v_bfe_u32 v13, v9, 16, 1
	v_or_b32_e32 v14, 0x400000, v10
	v_cmp_u_f32_e32 vcc_lo, v10, v10
	global_store_short_d16_hi v16, v11, s[0:1] offset:128
	;; [unrolled: 12-line block ×4, first 2 shown]
	v_add3_u32 v7, v9, v5, 0x7fff
	v_or_b32_e32 v9, 0x400000, v5
	v_cndmask_b32_e32 v6, v8, v10, vcc_lo
	v_bfe_u32 v8, v4, 16, 1
	v_cmp_u_f32_e32 vcc_lo, v5, v5
	v_or_b32_e32 v10, 0x400000, v1
	global_store_short_d16_hi v16, v6, s[0:1] offset:288
	v_add3_u32 v6, v8, v4, 0x7fff
	v_cndmask_b32_e32 v5, v7, v9, vcc_lo
	v_bfe_u32 v7, v3, 16, 1
	v_or_b32_e32 v8, 0x400000, v4
	v_cmp_u_f32_e32 vcc_lo, v4, v4
	v_or_b32_e32 v9, 0x400000, v2
	global_store_short_d16_hi v16, v5, s[0:1] offset:320
	v_add3_u32 v5, v7, v3, 0x7fff
	v_or_b32_e32 v7, 0x400000, v3
	v_cndmask_b32_e32 v4, v6, v8, vcc_lo
	v_bfe_u32 v6, v0, 16, 1
	v_cmp_u_f32_e32 vcc_lo, v3, v3
	v_bfe_u32 v8, v2, 16, 1
	v_add3_u32 v6, v6, v0, 0x7fff
	v_cndmask_b32_e32 v3, v5, v7, vcc_lo
	v_or_b32_e32 v7, 0x400000, v0
	v_cmp_u_f32_e32 vcc_lo, v0, v0
	v_bfe_u32 v5, v1, 16, 1
	v_add3_u32 v8, v8, v2, 0x7fff
	v_cndmask_b32_e32 v0, v6, v7, vcc_lo
	v_cmp_u_f32_e32 vcc_lo, v2, v2
	v_add3_u32 v5, v5, v1, 0x7fff
	v_cndmask_b32_e32 v2, v8, v9, vcc_lo
	v_cmp_u_f32_e32 vcc_lo, v1, v1
	v_cndmask_b32_e32 v1, v5, v10, vcc_lo
	global_store_short_d16_hi v16, v4, s[0:1] offset:352
	global_store_short_d16_hi v16, v3, s[0:1] offset:384
	;; [unrolled: 1-line block ×5, first 2 shown]
.LBB143_107:
	s_endpgm
.LBB143_108:
	ds_read_b32 v18, v16
	s_waitcnt lgkmcnt(0)
	v_add_f32_e32 v15, v15, v18
	s_or_b32 exec_lo, exec_lo, s0
	s_and_saveexec_b32 s0, vcc_lo
	s_cbranch_execz .LBB143_68
.LBB143_109:
	ds_read_b32 v18, v16 offset:64
	s_waitcnt lgkmcnt(0)
	v_add_f32_e32 v14, v14, v18
	s_or_b32 exec_lo, exec_lo, s0
	s_and_saveexec_b32 s0, vcc_lo
	s_cbranch_execz .LBB143_69
.LBB143_110:
	ds_read_b32 v18, v16 offset:128
	s_waitcnt lgkmcnt(0)
	v_add_f32_e32 v13, v13, v18
	s_or_b32 exec_lo, exec_lo, s0
	s_and_saveexec_b32 s0, vcc_lo
	s_cbranch_execz .LBB143_70
.LBB143_111:
	ds_read_b32 v18, v16 offset:192
	s_waitcnt lgkmcnt(0)
	v_add_f32_e32 v12, v12, v18
	s_or_b32 exec_lo, exec_lo, s0
	s_and_saveexec_b32 s0, vcc_lo
	s_cbranch_execz .LBB143_71
.LBB143_112:
	ds_read_b32 v18, v16 offset:256
	s_waitcnt lgkmcnt(0)
	v_add_f32_e32 v11, v11, v18
	s_or_b32 exec_lo, exec_lo, s0
	s_and_saveexec_b32 s0, vcc_lo
	s_cbranch_execz .LBB143_72
.LBB143_113:
	ds_read_b32 v18, v16 offset:320
	s_waitcnt lgkmcnt(0)
	v_add_f32_e32 v10, v10, v18
	s_or_b32 exec_lo, exec_lo, s0
	s_and_saveexec_b32 s0, vcc_lo
	s_cbranch_execz .LBB143_73
.LBB143_114:
	ds_read_b32 v18, v16 offset:384
	s_waitcnt lgkmcnt(0)
	v_add_f32_e32 v9, v9, v18
	s_or_b32 exec_lo, exec_lo, s0
	s_and_saveexec_b32 s0, vcc_lo
	s_cbranch_execz .LBB143_74
.LBB143_115:
	ds_read_b32 v18, v16 offset:448
	s_waitcnt lgkmcnt(0)
	v_add_f32_e32 v8, v8, v18
	s_or_b32 exec_lo, exec_lo, s0
	s_and_saveexec_b32 s0, vcc_lo
	s_cbranch_execz .LBB143_75
.LBB143_116:
	ds_read_b32 v18, v16 offset:512
	s_waitcnt lgkmcnt(0)
	v_add_f32_e32 v7, v7, v18
	s_or_b32 exec_lo, exec_lo, s0
	s_and_saveexec_b32 s0, vcc_lo
	s_cbranch_execz .LBB143_76
.LBB143_117:
	ds_read_b32 v18, v16 offset:576
	s_waitcnt lgkmcnt(0)
	v_add_f32_e32 v6, v6, v18
	s_or_b32 exec_lo, exec_lo, s0
	s_and_saveexec_b32 s0, vcc_lo
	s_cbranch_execz .LBB143_77
.LBB143_118:
	ds_read_b32 v18, v16 offset:640
	s_waitcnt lgkmcnt(0)
	v_add_f32_e32 v5, v5, v18
	s_or_b32 exec_lo, exec_lo, s0
	s_and_saveexec_b32 s0, vcc_lo
	s_cbranch_execz .LBB143_78
.LBB143_119:
	ds_read_b32 v18, v16 offset:704
	s_waitcnt lgkmcnt(0)
	v_add_f32_e32 v4, v4, v18
	s_or_b32 exec_lo, exec_lo, s0
	s_and_saveexec_b32 s0, vcc_lo
	s_cbranch_execz .LBB143_79
.LBB143_120:
	ds_read_b32 v18, v16 offset:768
	s_waitcnt lgkmcnt(0)
	v_add_f32_e32 v3, v3, v18
	s_or_b32 exec_lo, exec_lo, s0
	s_and_saveexec_b32 s0, vcc_lo
	s_cbranch_execz .LBB143_80
.LBB143_121:
	ds_read_b32 v18, v16 offset:832
	s_waitcnt lgkmcnt(0)
	v_add_f32_e32 v0, v0, v18
	s_or_b32 exec_lo, exec_lo, s0
	s_and_saveexec_b32 s0, vcc_lo
	s_cbranch_execz .LBB143_81
.LBB143_122:
	ds_read_b32 v18, v16 offset:896
	s_waitcnt lgkmcnt(0)
	v_add_f32_e32 v2, v2, v18
	s_or_b32 exec_lo, exec_lo, s0
	s_and_saveexec_b32 s0, vcc_lo
	s_cbranch_execnz .LBB143_82
	s_branch .LBB143_83
.LBB143_123:
	ds_read_b32 v17, v16
	s_waitcnt lgkmcnt(0)
	v_add_f32_e32 v15, v15, v17
	s_or_b32 exec_lo, exec_lo, s0
	s_and_saveexec_b32 s0, vcc_lo
	s_cbranch_execz .LBB143_89
.LBB143_124:
	ds_read_b32 v17, v16 offset:64
	s_waitcnt lgkmcnt(0)
	v_add_f32_e32 v14, v14, v17
	s_or_b32 exec_lo, exec_lo, s0
	s_and_saveexec_b32 s0, vcc_lo
	s_cbranch_execz .LBB143_90
.LBB143_125:
	ds_read_b32 v17, v16 offset:128
	s_waitcnt lgkmcnt(0)
	v_add_f32_e32 v13, v13, v17
	s_or_b32 exec_lo, exec_lo, s0
	s_and_saveexec_b32 s0, vcc_lo
	s_cbranch_execz .LBB143_91
.LBB143_126:
	ds_read_b32 v17, v16 offset:192
	s_waitcnt lgkmcnt(0)
	v_add_f32_e32 v12, v12, v17
	s_or_b32 exec_lo, exec_lo, s0
	s_and_saveexec_b32 s0, vcc_lo
	s_cbranch_execz .LBB143_92
.LBB143_127:
	ds_read_b32 v17, v16 offset:256
	s_waitcnt lgkmcnt(0)
	v_add_f32_e32 v11, v11, v17
	s_or_b32 exec_lo, exec_lo, s0
	s_and_saveexec_b32 s0, vcc_lo
	s_cbranch_execz .LBB143_93
.LBB143_128:
	ds_read_b32 v17, v16 offset:320
	s_waitcnt lgkmcnt(0)
	v_add_f32_e32 v10, v10, v17
	s_or_b32 exec_lo, exec_lo, s0
	s_and_saveexec_b32 s0, vcc_lo
	s_cbranch_execz .LBB143_94
.LBB143_129:
	ds_read_b32 v17, v16 offset:384
	s_waitcnt lgkmcnt(0)
	v_add_f32_e32 v9, v9, v17
	s_or_b32 exec_lo, exec_lo, s0
	s_and_saveexec_b32 s0, vcc_lo
	s_cbranch_execz .LBB143_95
.LBB143_130:
	ds_read_b32 v17, v16 offset:448
	s_waitcnt lgkmcnt(0)
	v_add_f32_e32 v8, v8, v17
	s_or_b32 exec_lo, exec_lo, s0
	s_and_saveexec_b32 s0, vcc_lo
	s_cbranch_execz .LBB143_96
.LBB143_131:
	ds_read_b32 v17, v16 offset:512
	s_waitcnt lgkmcnt(0)
	v_add_f32_e32 v7, v7, v17
	s_or_b32 exec_lo, exec_lo, s0
	s_and_saveexec_b32 s0, vcc_lo
	s_cbranch_execz .LBB143_97
.LBB143_132:
	ds_read_b32 v17, v16 offset:576
	s_waitcnt lgkmcnt(0)
	v_add_f32_e32 v6, v6, v17
	s_or_b32 exec_lo, exec_lo, s0
	s_and_saveexec_b32 s0, vcc_lo
	s_cbranch_execz .LBB143_98
.LBB143_133:
	ds_read_b32 v17, v16 offset:640
	s_waitcnt lgkmcnt(0)
	v_add_f32_e32 v5, v5, v17
	s_or_b32 exec_lo, exec_lo, s0
	s_and_saveexec_b32 s0, vcc_lo
	s_cbranch_execz .LBB143_99
.LBB143_134:
	ds_read_b32 v17, v16 offset:704
	s_waitcnt lgkmcnt(0)
	v_add_f32_e32 v4, v4, v17
	s_or_b32 exec_lo, exec_lo, s0
	s_and_saveexec_b32 s0, vcc_lo
	s_cbranch_execz .LBB143_100
.LBB143_135:
	ds_read_b32 v17, v16 offset:768
	s_waitcnt lgkmcnt(0)
	v_add_f32_e32 v3, v3, v17
	s_or_b32 exec_lo, exec_lo, s0
	s_and_saveexec_b32 s0, vcc_lo
	s_cbranch_execz .LBB143_101
.LBB143_136:
	ds_read_b32 v17, v16 offset:832
	s_waitcnt lgkmcnt(0)
	v_add_f32_e32 v0, v0, v17
	s_or_b32 exec_lo, exec_lo, s0
	s_and_saveexec_b32 s0, vcc_lo
	s_cbranch_execz .LBB143_102
.LBB143_137:
	ds_read_b32 v17, v16 offset:896
	s_waitcnt lgkmcnt(0)
	v_add_f32_e32 v2, v2, v17
	s_or_b32 exec_lo, exec_lo, s0
	s_and_saveexec_b32 s0, vcc_lo
	s_cbranch_execnz .LBB143_103
	s_branch .LBB143_104
	.section	.rodata,"a",@progbits
	.p2align	6, 0x0
	.amdhsa_kernel _ZN4vllm25paged_attention_v1_kernelI14__hip_bfloat16S1_Li256ELi16ELi128ELNS_18Fp8KVCacheDataTypeE0ELb0EEEvPT_PKS3_PKT0_S9_ifPKiSB_iPKfiiiSD_SD_iiiii
		.amdhsa_group_segment_fixed_size 544
		.amdhsa_private_segment_fixed_size 152
		.amdhsa_kernarg_size 384
		.amdhsa_user_sgpr_count 6
		.amdhsa_user_sgpr_private_segment_buffer 1
		.amdhsa_user_sgpr_dispatch_ptr 0
		.amdhsa_user_sgpr_queue_ptr 0
		.amdhsa_user_sgpr_kernarg_segment_ptr 1
		.amdhsa_user_sgpr_dispatch_id 0
		.amdhsa_user_sgpr_flat_scratch_init 0
		.amdhsa_user_sgpr_private_segment_size 0
		.amdhsa_wavefront_size32 1
		.amdhsa_uses_dynamic_stack 0
		.amdhsa_system_sgpr_private_segment_wavefront_offset 1
		.amdhsa_system_sgpr_workgroup_id_x 1
		.amdhsa_system_sgpr_workgroup_id_y 1
		.amdhsa_system_sgpr_workgroup_id_z 1
		.amdhsa_system_sgpr_workgroup_info 0
		.amdhsa_system_vgpr_workitem_id 0
		.amdhsa_next_free_vgpr 128
		.amdhsa_next_free_sgpr 40
		.amdhsa_reserve_vcc 1
		.amdhsa_reserve_flat_scratch 0
		.amdhsa_float_round_mode_32 0
		.amdhsa_float_round_mode_16_64 0
		.amdhsa_float_denorm_mode_32 3
		.amdhsa_float_denorm_mode_16_64 3
		.amdhsa_dx10_clamp 1
		.amdhsa_ieee_mode 1
		.amdhsa_fp16_overflow 0
		.amdhsa_workgroup_processor_mode 1
		.amdhsa_memory_ordered 1
		.amdhsa_forward_progress 1
		.amdhsa_shared_vgpr_count 0
		.amdhsa_exception_fp_ieee_invalid_op 0
		.amdhsa_exception_fp_denorm_src 0
		.amdhsa_exception_fp_ieee_div_zero 0
		.amdhsa_exception_fp_ieee_overflow 0
		.amdhsa_exception_fp_ieee_underflow 0
		.amdhsa_exception_fp_ieee_inexact 0
		.amdhsa_exception_int_div_zero 0
	.end_amdhsa_kernel
	.section	.text._ZN4vllm25paged_attention_v1_kernelI14__hip_bfloat16S1_Li256ELi16ELi128ELNS_18Fp8KVCacheDataTypeE0ELb0EEEvPT_PKS3_PKT0_S9_ifPKiSB_iPKfiiiSD_SD_iiiii,"axG",@progbits,_ZN4vllm25paged_attention_v1_kernelI14__hip_bfloat16S1_Li256ELi16ELi128ELNS_18Fp8KVCacheDataTypeE0ELb0EEEvPT_PKS3_PKT0_S9_ifPKiSB_iPKfiiiSD_SD_iiiii,comdat
.Lfunc_end143:
	.size	_ZN4vllm25paged_attention_v1_kernelI14__hip_bfloat16S1_Li256ELi16ELi128ELNS_18Fp8KVCacheDataTypeE0ELb0EEEvPT_PKS3_PKT0_S9_ifPKiSB_iPKfiiiSD_SD_iiiii, .Lfunc_end143-_ZN4vllm25paged_attention_v1_kernelI14__hip_bfloat16S1_Li256ELi16ELi128ELNS_18Fp8KVCacheDataTypeE0ELb0EEEvPT_PKS3_PKT0_S9_ifPKiSB_iPKfiiiSD_SD_iiiii
                                        ; -- End function
	.set _ZN4vllm25paged_attention_v1_kernelI14__hip_bfloat16S1_Li256ELi16ELi128ELNS_18Fp8KVCacheDataTypeE0ELb0EEEvPT_PKS3_PKT0_S9_ifPKiSB_iPKfiiiSD_SD_iiiii.num_vgpr, 128
	.set _ZN4vllm25paged_attention_v1_kernelI14__hip_bfloat16S1_Li256ELi16ELi128ELNS_18Fp8KVCacheDataTypeE0ELb0EEEvPT_PKS3_PKT0_S9_ifPKiSB_iPKfiiiSD_SD_iiiii.num_agpr, 0
	.set _ZN4vllm25paged_attention_v1_kernelI14__hip_bfloat16S1_Li256ELi16ELi128ELNS_18Fp8KVCacheDataTypeE0ELb0EEEvPT_PKS3_PKT0_S9_ifPKiSB_iPKfiiiSD_SD_iiiii.numbered_sgpr, 40
	.set _ZN4vllm25paged_attention_v1_kernelI14__hip_bfloat16S1_Li256ELi16ELi128ELNS_18Fp8KVCacheDataTypeE0ELb0EEEvPT_PKS3_PKT0_S9_ifPKiSB_iPKfiiiSD_SD_iiiii.num_named_barrier, 0
	.set _ZN4vllm25paged_attention_v1_kernelI14__hip_bfloat16S1_Li256ELi16ELi128ELNS_18Fp8KVCacheDataTypeE0ELb0EEEvPT_PKS3_PKT0_S9_ifPKiSB_iPKfiiiSD_SD_iiiii.private_seg_size, 152
	.set _ZN4vllm25paged_attention_v1_kernelI14__hip_bfloat16S1_Li256ELi16ELi128ELNS_18Fp8KVCacheDataTypeE0ELb0EEEvPT_PKS3_PKT0_S9_ifPKiSB_iPKfiiiSD_SD_iiiii.uses_vcc, 1
	.set _ZN4vllm25paged_attention_v1_kernelI14__hip_bfloat16S1_Li256ELi16ELi128ELNS_18Fp8KVCacheDataTypeE0ELb0EEEvPT_PKS3_PKT0_S9_ifPKiSB_iPKfiiiSD_SD_iiiii.uses_flat_scratch, 0
	.set _ZN4vllm25paged_attention_v1_kernelI14__hip_bfloat16S1_Li256ELi16ELi128ELNS_18Fp8KVCacheDataTypeE0ELb0EEEvPT_PKS3_PKT0_S9_ifPKiSB_iPKfiiiSD_SD_iiiii.has_dyn_sized_stack, 0
	.set _ZN4vllm25paged_attention_v1_kernelI14__hip_bfloat16S1_Li256ELi16ELi128ELNS_18Fp8KVCacheDataTypeE0ELb0EEEvPT_PKS3_PKT0_S9_ifPKiSB_iPKfiiiSD_SD_iiiii.has_recursion, 0
	.set _ZN4vllm25paged_attention_v1_kernelI14__hip_bfloat16S1_Li256ELi16ELi128ELNS_18Fp8KVCacheDataTypeE0ELb0EEEvPT_PKS3_PKT0_S9_ifPKiSB_iPKfiiiSD_SD_iiiii.has_indirect_call, 0
	.section	.AMDGPU.csdata,"",@progbits
; Kernel info:
; codeLenInByte = 19740
; TotalNumSgprs: 42
; NumVgprs: 128
; ScratchSize: 152
; MemoryBound: 0
; FloatMode: 240
; IeeeMode: 1
; LDSByteSize: 544 bytes/workgroup (compile time only)
; SGPRBlocks: 0
; VGPRBlocks: 15
; NumSGPRsForWavesPerEU: 42
; NumVGPRsForWavesPerEU: 128
; Occupancy: 8
; WaveLimiterHint : 1
; COMPUTE_PGM_RSRC2:SCRATCH_EN: 1
; COMPUTE_PGM_RSRC2:USER_SGPR: 6
; COMPUTE_PGM_RSRC2:TRAP_HANDLER: 0
; COMPUTE_PGM_RSRC2:TGID_X_EN: 1
; COMPUTE_PGM_RSRC2:TGID_Y_EN: 1
; COMPUTE_PGM_RSRC2:TGID_Z_EN: 1
; COMPUTE_PGM_RSRC2:TIDIG_COMP_CNT: 0
	.section	.text._ZN4vllm25paged_attention_v1_kernelI14__hip_bfloat16S1_Li32ELi32ELi128ELNS_18Fp8KVCacheDataTypeE0ELb1EEEvPT_PKS3_PKT0_S9_ifPKiSB_iPKfiiiSD_SD_iiiii,"axG",@progbits,_ZN4vllm25paged_attention_v1_kernelI14__hip_bfloat16S1_Li32ELi32ELi128ELNS_18Fp8KVCacheDataTypeE0ELb1EEEvPT_PKS3_PKT0_S9_ifPKiSB_iPKfiiiSD_SD_iiiii,comdat
	.protected	_ZN4vllm25paged_attention_v1_kernelI14__hip_bfloat16S1_Li32ELi32ELi128ELNS_18Fp8KVCacheDataTypeE0ELb1EEEvPT_PKS3_PKT0_S9_ifPKiSB_iPKfiiiSD_SD_iiiii ; -- Begin function _ZN4vllm25paged_attention_v1_kernelI14__hip_bfloat16S1_Li32ELi32ELi128ELNS_18Fp8KVCacheDataTypeE0ELb1EEEvPT_PKS3_PKT0_S9_ifPKiSB_iPKfiiiSD_SD_iiiii
	.globl	_ZN4vllm25paged_attention_v1_kernelI14__hip_bfloat16S1_Li32ELi32ELi128ELNS_18Fp8KVCacheDataTypeE0ELb1EEEvPT_PKS3_PKT0_S9_ifPKiSB_iPKfiiiSD_SD_iiiii
	.p2align	8
	.type	_ZN4vllm25paged_attention_v1_kernelI14__hip_bfloat16S1_Li32ELi32ELi128ELNS_18Fp8KVCacheDataTypeE0ELb1EEEvPT_PKS3_PKT0_S9_ifPKiSB_iPKfiiiSD_SD_iiiii,@function
_ZN4vllm25paged_attention_v1_kernelI14__hip_bfloat16S1_Li32ELi32ELi128ELNS_18Fp8KVCacheDataTypeE0ELb1EEEvPT_PKS3_PKT0_S9_ifPKiSB_iPKfiiiSD_SD_iiiii: ; @_ZN4vllm25paged_attention_v1_kernelI14__hip_bfloat16S1_Li32ELi32ELi128ELNS_18Fp8KVCacheDataTypeE0ELb1EEEvPT_PKS3_PKT0_S9_ifPKiSB_iPKfiiiSD_SD_iiiii
; %bb.0:
	s_clause 0x2
	s_load_dword s9, s[4:5], 0x80
	s_load_dwordx2 s[0:1], s[4:5], 0x30
	s_load_dwordx2 s[2:3], s[4:5], 0x20
	s_mov_b32 s10, s7
	s_ashr_i32 s11, s7, 31
	s_mov_b32 s31, 0
	s_lshl_b64 s[12:13], s[10:11], 2
	s_waitcnt lgkmcnt(0)
	s_add_u32 s0, s0, s12
	s_addc_u32 s1, s1, s13
	s_abs_i32 s7, s2
	s_abs_i32 s13, s9
	v_cvt_f32_u32_e32 v1, s7
	s_sub_i32 s12, 0, s7
	v_rcp_iflag_f32_e32 v1, v1
	v_mul_f32_e32 v1, 0x4f7ffffe, v1
	v_cvt_u32_f32_e32 v1, v1
	v_readfirstlane_b32 s11, v1
	s_mul_i32 s12, s12, s11
	s_mul_hi_u32 s12, s11, s12
	s_add_i32 s11, s11, s12
	s_xor_b32 s12, s9, s2
	s_mul_hi_u32 s11, s13, s11
	s_ashr_i32 s12, s12, 31
	s_mul_i32 s14, s11, s7
	s_sub_i32 s13, s13, s14
	s_add_i32 s14, s11, 1
	s_sub_i32 s15, s13, s7
	s_cmp_ge_u32 s13, s7
	s_cselect_b32 s11, s14, s11
	s_cselect_b32 s13, s15, s13
	s_add_i32 s14, s11, 1
	s_cmp_ge_u32 s13, s7
	s_cselect_b32 s7, s14, s11
	s_abs_i32 s22, s6
	s_xor_b32 s7, s7, s12
	s_sub_i32 s16, s7, s12
	s_load_dwordx2 s[12:13], s[4:5], 0x40
	s_abs_i32 s11, s16
	v_cvt_f32_u32_e32 v1, s11
	s_sub_i32 s14, 0, s11
	v_rcp_iflag_f32_e32 v1, v1
	v_mul_f32_e32 v1, 0x4f7ffffe, v1
	v_cvt_u32_f32_e32 v1, v1
	v_readfirstlane_b32 s7, v1
	s_mul_i32 s14, s14, s7
	s_mul_hi_u32 s14, s7, s14
	s_add_i32 s7, s7, s14
	s_waitcnt lgkmcnt(0)
	s_cmp_eq_u64 s[12:13], 0
	s_mul_hi_u32 s23, s22, s7
	s_cbranch_scc1 .LBB144_2
; %bb.1:
	s_ashr_i32 s7, s6, 31
	s_lshl_b64 s[14:15], s[6:7], 2
	s_add_u32 s12, s12, s14
	s_addc_u32 s13, s13, s15
	s_load_dword s31, s[12:13], 0x0
.LBB144_2:
	s_load_dword s28, s[0:1], 0x0
	s_load_dwordx4 s[12:15], s[4:5], 0x48
	v_lshlrev_b32_e32 v3, 4, v0
	s_ashr_i32 s0, s6, 31
	s_ashr_i32 s1, s16, 31
	s_lshl_b32 s20, s6, 5
	s_mov_b32 s7, exec_lo
	v_cmpx_gt_u32_e32 4, v0
	s_cbranch_execz .LBB144_4
; %bb.3:
	s_load_dwordx2 s[16:17], s[4:5], 0x8
	s_waitcnt lgkmcnt(0)
	s_mul_i32 s18, s12, s10
	s_ashr_i32 s19, s18, 31
	s_lshl_b64 s[18:19], s[18:19], 1
	s_add_u32 s12, s16, s18
	s_addc_u32 s15, s17, s19
	s_ashr_i32 s21, s20, 31
	s_lshl_b64 s[16:17], s[20:21], 1
	s_add_u32 s16, s12, s16
	s_addc_u32 s17, s15, s17
	global_load_dwordx4 v[4:7], v3, s[16:17]
	s_waitcnt vmcnt(0)
	ds_write_b128 v3, v[4:7]
.LBB144_4:
	s_or_b32 exec_lo, exec_lo, s7
	s_load_dwordx4 s[16:19], s[4:5], 0x68
	s_mul_i32 s7, s23, s11
	s_xor_b32 s1, s0, s1
	s_sub_i32 s0, s22, s7
	s_add_i32 s7, s23, 1
	s_waitcnt lgkmcnt(0)
	s_sub_i32 s12, s0, s11
	s_cmp_ge_u32 s0, s11
	s_mov_b32 s24, -1
	s_cselect_b32 s7, s7, s23
	s_cselect_b32 s0, s12, s0
	s_add_i32 s12, s7, 1
	s_cmp_ge_u32 s0, s11
	s_load_dword s0, s[4:5], 0x78
	s_cselect_b32 s7, s12, s7
	s_add_i32 s11, s28, -1
	s_xor_b32 s7, s7, s1
	s_waitcnt lgkmcnt(0)
	s_sub_i32 s1, s7, s1
	s_barrier
	buffer_gl0_inv
	s_abs_i32 s12, s19
                                        ; implicit-def: $sgpr29
	v_cvt_f32_u32_e32 v1, s12
	s_sub_i32 s7, 0, s12
	v_rcp_iflag_f32_e32 v1, v1
	v_mul_f32_e32 v1, 0x4f7ffffe, v1
	v_cvt_u32_f32_e32 v1, v1
	v_readfirstlane_b32 s21, v1
	s_mul_i32 s7, s7, s21
	s_mul_hi_u32 s15, s21, s7
	s_abs_i32 s7, s11
	s_add_i32 s21, s21, s15
	s_cmp_lt_i32 s0, 0
	s_mul_hi_u32 s15, s7, s21
	s_cbranch_scc0 .LBB144_6
; %bb.5:
	s_mul_i32 s2, s16, s2
	s_mov_b32 s24, 0
	s_add_i32 s2, s1, s2
	s_mul_i32 s2, s2, s0
	s_sub_i32 s29, 1, s2
.LBB144_6:
	s_load_dwordx2 s[22:23], s[4:5], 0x28
	s_ashr_i32 s2, s11, 31
	s_andn2_b32 vcc_lo, exec_lo, s24
	s_ashr_i32 s19, s19, 31
	s_cbranch_vccnz .LBB144_8
; %bb.7:
	s_mul_i32 s11, s9, s16
	s_add_i32 s6, s11, s6
	s_mul_i32 s0, s6, s0
	s_add_i32 s29, s0, 1
.LBB144_8:
	s_load_dword s0, s[4:5], 0x38
	s_mul_i32 s6, s15, s12
	s_xor_b32 s2, s2, s19
	s_sub_i32 s30, s7, s6
	s_add_i32 s16, s15, 1
	s_clause 0x2
	s_load_dwordx2 s[6:7], s[4:5], 0x0
	s_load_dwordx2 s[26:27], s[4:5], 0x18
	s_load_dword s11, s[4:5], 0x88
	v_lshrrev_b32_e32 v27, 5, v0
	v_and_b32_e32 v28, 31, v0
	v_mov_b32_e32 v19, 0xff7fffff
	v_lshrrev_b32_e32 v4, 3, v0
	s_mul_i32 s14, s1, s14
	v_lshlrev_b32_e32 v29, 5, v27
	v_lshlrev_b32_e32 v5, 2, v28
	s_waitcnt lgkmcnt(0)
	s_mul_i32 s24, s0, s10
	s_sub_i32 s0, s30, s12
	s_ashr_i32 s25, s24, 31
	s_cmp_ge_u32 s30, s12
	s_cselect_b32 s15, s16, s15
	s_cselect_b32 s0, s0, s30
	s_add_i32 s16, s15, 1
	s_cmp_ge_u32 s0, s12
	s_cselect_b32 s0, s16, s15
	s_add_i32 s15, s28, 31
	s_ashr_i32 s16, s15, 31
	s_lshr_b32 s16, s16, 27
	s_add_i32 s15, s15, s16
	s_ashr_i32 s16, s15, 5
	s_xor_b32 s15, s0, s2
	v_cmp_gt_i32_e64 s0, s16, v27
	s_sub_i32 s30, s15, s2
	s_and_saveexec_b32 s33, s0
	s_cbranch_execz .LBB144_16
; %bb.9:
	s_load_dwordx2 s[34:35], s[4:5], 0x10
	s_ashr_i32 s15, s14, 31
	v_mov_b32_e32 v1, 0
	s_lshl_b64 s[36:37], s[14:15], 1
	s_sub_i32 s4, s30, s17
	v_lshlrev_b32_e32 v2, 4, v28
	v_and_b32_e32 v19, 0x7c, v4
	ds_read_b128 v[30:33], v1
	ds_read_b128 v[34:37], v1 offset:16
	ds_read_b128 v[38:41], v1 offset:32
	;; [unrolled: 1-line block ×3, first 2 shown]
	v_subrev_nc_u32_e32 v46, s28, v28
	v_lshl_or_b32 v47, v27, 7, v5
	v_cmp_neq_f32_e64 vcc_lo, s31, 0
	v_mov_b32_e32 v48, 0xff7fffff
	v_mov_b32_e32 v49, v27
	v_add_nc_u32_e32 v46, 1, v46
	v_add_nc_u32_e32 v47, 0x60, v47
	s_mov_b32 s15, 0
	s_waitcnt lgkmcnt(0)
	s_add_u32 s1, s34, s36
	s_addc_u32 s2, s35, s37
	s_abs_i32 s5, s18
	v_add_co_u32 v6, s1, s1, v2
	v_cvt_f32_u32_e32 v1, s5
	v_add_co_ci_u32_e64 v7, null, s2, 0, s1
	s_sub_i32 s1, 0, s5
	s_lshl_b64 s[34:35], s[24:25], 2
	v_rcp_iflag_f32_e32 v1, v1
	s_add_u32 s2, s22, s34
	v_and_b32_e32 v10, 0xffff0000, v34
	v_lshlrev_b32_e32 v11, 16, v34
	v_and_b32_e32 v16, 0xffff0000, v35
	v_lshlrev_b32_e32 v17, 16, v35
	;; [unrolled: 2-line block ×4, first 2 shown]
	v_mul_f32_e32 v1, 0x4f7ffffe, v1
	v_and_b32_e32 v40, 0xffff0000, v44
	v_lshlrev_b32_e32 v41, 16, v44
	v_and_b32_e32 v8, 0xffff0000, v30
	v_lshlrev_b32_e32 v9, 16, v30
	v_cvt_u32_f32_e32 v1, v1
	v_and_b32_e32 v12, 0xffff0000, v38
	v_lshlrev_b32_e32 v13, 16, v38
	v_and_b32_e32 v14, 0xffff0000, v31
	v_lshlrev_b32_e32 v15, 16, v31
	v_mul_lo_u32 v2, s1, v1
	s_addc_u32 s1, s23, s35
	v_and_b32_e32 v18, 0xffff0000, v39
	v_lshlrev_b32_e32 v20, 16, v39
	v_and_b32_e32 v21, 0xffff0000, v32
	v_lshlrev_b32_e32 v22, 16, v32
	;; [unrolled: 2-line block ×3, first 2 shown]
	v_mul_hi_u32 v2, v1, v2
	v_and_b32_e32 v30, 0xffff0000, v33
	v_lshlrev_b32_e32 v31, 16, v33
	v_and_b32_e32 v32, 0xffff0000, v37
	v_lshlrev_b32_e32 v33, 16, v37
	;; [unrolled: 2-line block ×3, first 2 shown]
	v_and_b32_e32 v38, 0xffff0000, v43
	v_add_nc_u32_e32 v44, v1, v2
	v_add_co_u32 v1, s2, s2, v19
	v_lshlrev_b32_e32 v39, 16, v43
	v_and_b32_e32 v42, 0xffff0000, v45
	v_lshlrev_b32_e32 v43, 16, v45
	v_add_co_ci_u32_e64 v2, null, s1, 0, s2
	v_lshlrev_b32_e32 v45, 5, v27
	v_mov_b32_e32 v19, 0xff7fffff
	s_mov_b32 s34, s13
	s_branch .LBB144_11
.LBB144_10:                             ;   in Loop: Header=BB144_11 Depth=1
	s_or_b32 exec_lo, exec_lo, s2
	v_add_nc_u32_e32 v49, 4, v49
	v_add_co_u32 v1, s2, v1, 16
	v_add_co_ci_u32_e64 v2, null, 0, v2, s2
	v_cmp_le_i32_e64 s1, s16, v49
	v_add_nc_u32_e32 v45, 0x80, v45
	v_add_nc_u32_e32 v47, 0x200, v47
	s_or_b32 s15, s1, s15
	s_andn2_b32 exec_lo, exec_lo, s15
	s_cbranch_execz .LBB144_15
.LBB144_11:                             ; =>This Inner Loop Header: Depth=1
	v_mul_hi_u32 v50, v45, s21
	v_mul_lo_u32 v51, v50, s12
	v_add_nc_u32_e32 v52, 1, v50
	v_sub_nc_u32_e32 v51, v45, v51
	v_subrev_nc_u32_e32 v53, s12, v51
	v_cmp_le_u32_e64 s1, s12, v51
	v_cndmask_b32_e64 v50, v50, v52, s1
	v_cndmask_b32_e64 v51, v51, v53, s1
	v_add_nc_u32_e32 v52, 1, v50
	v_cmp_le_u32_e64 s1, s12, v51
	v_cndmask_b32_e64 v50, v50, v52, s1
	v_xor_b32_e32 v50, s19, v50
	v_subrev_nc_u32_e32 v50, s19, v50
	v_add_nc_u32_e32 v51, s29, v50
	v_cmp_ge_i32_e64 s2, s4, v50
	v_sub_nc_u32_e32 v52, 0, v51
	v_max_i32_e32 v52, v51, v52
	v_ashrrev_i32_e32 v51, 31, v51
	v_mul_hi_u32 v53, v52, v44
	v_mul_lo_u32 v53, v53, s5
	v_sub_nc_u32_e32 v52, v52, v53
	v_subrev_nc_u32_e32 v53, s5, v52
	v_cmp_le_u32_e64 s1, s5, v52
	v_cndmask_b32_e64 v52, v52, v53, s1
	v_subrev_nc_u32_e32 v53, s5, v52
	v_cmp_le_u32_e64 s1, s5, v52
	v_cndmask_b32_e64 v52, v52, v53, s1
	v_xor_b32_e32 v52, v52, v51
	v_sub_nc_u32_e32 v51, v52, v51
	v_cmp_ne_u32_e64 s1, 0, v51
	s_and_b32 s1, s1, s2
	s_and_saveexec_b32 s2, s1
	s_xor_b32 s1, exec_lo, s2
; %bb.12:                               ;   in Loop: Header=BB144_11 Depth=1
	ds_write_b32 v47, v48
; %bb.13:                               ;   in Loop: Header=BB144_11 Depth=1
	s_andn2_saveexec_b32 s2, s1
	s_cbranch_execz .LBB144_10
; %bb.14:                               ;   in Loop: Header=BB144_11 Depth=1
	global_load_dword v50, v[1:2], off
	v_add_nc_u32_e32 v66, v46, v45
	s_waitcnt vmcnt(0)
	v_mad_i64_i32 v[50:51], null, v50, s34, 0
	v_lshlrev_b64 v[50:51], 1, v[50:51]
	v_add_co_u32 v62, s1, v6, v50
	v_add_co_ci_u32_e64 v63, null, v7, v51, s1
	s_clause 0x3
	global_load_dwordx4 v[50:53], v[62:63], off
	global_load_dwordx4 v[54:57], v[62:63], off offset:512
	global_load_dwordx4 v[58:61], v[62:63], off offset:1024
	;; [unrolled: 1-line block ×3, first 2 shown]
	s_waitcnt vmcnt(3)
	v_lshlrev_b32_e32 v67, 16, v50
	s_waitcnt vmcnt(2)
	v_and_b32_e32 v71, 0xffff0000, v54
	v_lshlrev_b32_e32 v54, 16, v54
	v_and_b32_e32 v50, 0xffff0000, v50
	v_and_b32_e32 v72, 0xffff0000, v55
	v_lshlrev_b32_e32 v55, 16, v55
	v_mul_f32_e32 v71, v10, v71
	v_mul_f32_e32 v54, v11, v54
	v_lshlrev_b32_e32 v68, 16, v51
	s_waitcnt vmcnt(1)
	v_and_b32_e32 v75, 0xffff0000, v58
	v_lshlrev_b32_e32 v58, 16, v58
	v_mul_f32_e32 v55, v17, v55
	v_fmac_f32_e32 v71, v8, v50
	v_fmac_f32_e32 v54, v9, v67
	v_and_b32_e32 v51, 0xffff0000, v51
	v_and_b32_e32 v73, 0xffff0000, v56
	v_lshlrev_b32_e32 v56, 16, v56
	v_and_b32_e32 v76, 0xffff0000, v59
	v_lshlrev_b32_e32 v59, 16, v59
	s_waitcnt vmcnt(0)
	v_and_b32_e32 v79, 0xffff0000, v62
	v_lshlrev_b32_e32 v62, 16, v62
	v_lshlrev_b32_e32 v81, 16, v64
	v_and_b32_e32 v50, 0xffff0000, v64
	v_mul_f32_e32 v64, v16, v72
	v_fmac_f32_e32 v55, v15, v68
	v_fmac_f32_e32 v71, v12, v75
	;; [unrolled: 1-line block ×3, first 2 shown]
	v_lshlrev_b32_e32 v69, 16, v52
	v_lshlrev_b32_e32 v80, 16, v63
	v_mul_f32_e32 v56, v24, v56
	v_fmac_f32_e32 v64, v14, v51
	v_fmac_f32_e32 v55, v20, v59
	;; [unrolled: 1-line block ×4, first 2 shown]
	v_and_b32_e32 v52, 0xffff0000, v52
	v_and_b32_e32 v74, 0xffff0000, v57
	v_lshlrev_b32_e32 v57, 16, v57
	v_and_b32_e32 v77, 0xffff0000, v60
	v_lshlrev_b32_e32 v60, 16, v60
	v_and_b32_e32 v63, 0xffff0000, v63
	v_mul_f32_e32 v51, v23, v73
	v_fmac_f32_e32 v56, v22, v69
	v_fmac_f32_e32 v64, v18, v76
	;; [unrolled: 1-line block ×3, first 2 shown]
	v_add_f32_e32 v54, v54, v71
	v_lshlrev_b32_e32 v70, 16, v53
	v_mul_f32_e32 v57, v33, v57
	v_fmac_f32_e32 v51, v21, v52
	v_fmac_f32_e32 v56, v26, v60
	;; [unrolled: 1-line block ×3, first 2 shown]
	v_add_f32_e32 v52, v54, v55
	v_and_b32_e32 v53, 0xffff0000, v53
	v_and_b32_e32 v78, 0xffff0000, v61
	v_lshlrev_b32_e32 v61, 16, v61
	v_mul_f32_e32 v54, v32, v74
	v_fmac_f32_e32 v57, v31, v70
	v_fmac_f32_e32 v51, v25, v77
	;; [unrolled: 1-line block ×3, first 2 shown]
	v_add_f32_e32 v52, v64, v52
	v_lshlrev_b32_e32 v55, 16, v65
	v_fmac_f32_e32 v54, v30, v53
	v_fmac_f32_e32 v57, v35, v61
	;; [unrolled: 1-line block ×3, first 2 shown]
	v_add_f32_e32 v50, v56, v52
	v_cvt_f32_i32_e32 v52, v66
	v_and_b32_e32 v53, 0xffff0000, v65
	v_fmac_f32_e32 v54, v34, v78
	v_fmac_f32_e32 v57, v43, v55
	v_add_f32_e32 v50, v51, v50
	v_mul_f32_e32 v51, s31, v52
	v_max_f32_e32 v52, v19, v19
	v_fmac_f32_e32 v54, v42, v53
	v_add_f32_e32 v50, v57, v50
	v_cndmask_b32_e32 v51, 0, v51, vcc_lo
	v_add_f32_e32 v50, v54, v50
	v_fmac_f32_e32 v51, s3, v50
	v_add_nc_u32_e32 v50, v28, v45
	v_max_f32_e32 v52, v52, v51
	v_cmp_gt_i32_e64 s1, s28, v50
	v_cndmask_b32_e64 v50, 0, v51, s1
	v_cndmask_b32_e64 v19, v19, v52, s1
	ds_write_b32 v47, v50
	s_branch .LBB144_10
.LBB144_15:
	s_or_b32 exec_lo, exec_lo, s15
.LBB144_16:
	s_or_b32 exec_lo, exec_lo, s33
	v_mbcnt_lo_u32_b32 v2, -1, 0
	v_max_f32_e32 v8, v19, v19
	v_xor_b32_e32 v1, 16, v2
	v_xor_b32_e32 v7, 8, v2
	v_cmp_gt_i32_e32 vcc_lo, 32, v1
	v_cndmask_b32_e32 v1, v2, v1, vcc_lo
	v_cmp_gt_i32_e32 vcc_lo, 32, v7
	v_lshlrev_b32_e32 v1, 2, v1
	v_cndmask_b32_e32 v7, v2, v7, vcc_lo
	ds_bpermute_b32 v6, v1, v19
	s_waitcnt lgkmcnt(0)
	v_max_f32_e32 v9, v6, v6
	v_lshlrev_b32_e32 v6, 2, v7
	v_max_f32_e32 v8, v8, v9
	v_xor_b32_e32 v9, 4, v2
	ds_bpermute_b32 v7, v6, v8
	v_cmp_gt_i32_e32 vcc_lo, 32, v9
	v_cndmask_b32_e32 v9, v2, v9, vcc_lo
	s_waitcnt lgkmcnt(0)
	v_max_f32_e32 v10, v7, v7
	v_lshlrev_b32_e32 v7, 2, v9
	v_max_f32_e32 v8, v8, v10
	v_xor_b32_e32 v10, 2, v2
	ds_bpermute_b32 v9, v7, v8
	v_cmp_gt_i32_e32 vcc_lo, 32, v10
	v_cndmask_b32_e32 v10, v2, v10, vcc_lo
	v_lshlrev_b32_e32 v30, 2, v10
	v_xor_b32_e32 v10, 1, v2
	v_cmp_gt_i32_e32 vcc_lo, 32, v10
	s_waitcnt lgkmcnt(0)
	v_max_f32_e32 v9, v9, v9
	v_cndmask_b32_e32 v10, v2, v10, vcc_lo
	v_cmp_eq_u32_e32 vcc_lo, 0, v28
	v_max_f32_e32 v8, v8, v9
	v_lshlrev_b32_e32 v31, 2, v10
	ds_bpermute_b32 v9, v30, v8
	s_waitcnt lgkmcnt(0)
	v_max_f32_e32 v9, v9, v9
	v_max_f32_e32 v2, v8, v9
	v_lshlrev_b32_e32 v8, 2, v27
	ds_bpermute_b32 v9, v31, v2
	s_and_saveexec_b32 s1, vcc_lo
	s_cbranch_execz .LBB144_18
; %bb.17:
	s_waitcnt lgkmcnt(0)
	v_max_f32_e32 v9, v9, v9
	v_max_f32_e32 v2, v2, v2
	;; [unrolled: 1-line block ×3, first 2 shown]
	ds_write_b32 v8, v2 offset:64
.LBB144_18:
	s_or_b32 exec_lo, exec_lo, s1
	v_cmp_gt_u32_e64 s1, 4, v28
	v_mov_b32_e32 v2, 0xff7fffff
	s_waitcnt lgkmcnt(0)
	s_barrier
	buffer_gl0_inv
	s_and_saveexec_b32 s2, s1
; %bb.19:
	ds_read_b32 v2, v5 offset:64
; %bb.20:
	s_or_b32 exec_lo, exec_lo, s2
	s_waitcnt lgkmcnt(0)
	ds_bpermute_b32 v9, v30, v2
	v_max_f32_e32 v2, v2, v2
	s_lshl_b32 s2, s16, 5
	s_min_i32 s4, s2, s28
	v_cmp_gt_i32_e64 s2, s4, v0
	s_waitcnt lgkmcnt(0)
	v_max_f32_e32 v9, v9, v9
	v_max_f32_e32 v2, v2, v9
	ds_bpermute_b32 v9, v31, v2
	s_waitcnt lgkmcnt(0)
	v_max_f32_e32 v9, v9, v9
	v_max_f32_e32 v2, v2, v9
	v_mov_b32_e32 v9, 0
	ds_bpermute_b32 v10, v9, v2
	v_lshl_add_u32 v2, v0, 2, 0x60
	s_and_saveexec_b32 s5, s2
	s_cbranch_execz .LBB144_24
; %bb.21:
	v_lshl_add_u32 v11, v0, 2, 0x60
	v_mov_b32_e32 v9, 0
	v_mov_b32_e32 v12, v0
	s_mov_b32 s15, 0
	.p2align	6
.LBB144_22:                             ; =>This Inner Loop Header: Depth=1
	ds_read_b32 v13, v11
	v_add_nc_u32_e32 v12, 0x80, v12
	v_cmp_le_i32_e64 s3, s4, v12
	s_or_b32 s15, s3, s15
	s_waitcnt lgkmcnt(0)
	v_sub_f32_e32 v13, v13, v10
	v_mul_f32_e32 v13, 0x3fb8aa3b, v13
	v_exp_f32_e32 v13, v13
	ds_write_b32 v11, v13
	v_add_f32_e32 v9, v9, v13
	v_add_nc_u32_e32 v11, 0x200, v11
	s_andn2_b32 exec_lo, exec_lo, s15
	s_cbranch_execnz .LBB144_22
; %bb.23:
	s_or_b32 exec_lo, exec_lo, s15
.LBB144_24:
	s_or_b32 exec_lo, exec_lo, s5
	ds_bpermute_b32 v1, v1, v9
	s_waitcnt lgkmcnt(0)
	v_add_f32_e32 v1, v9, v1
	ds_bpermute_b32 v6, v6, v1
	s_waitcnt lgkmcnt(0)
	v_add_f32_e32 v1, v1, v6
	;; [unrolled: 3-line block ×5, first 2 shown]
	s_and_saveexec_b32 s3, vcc_lo
; %bb.25:
	ds_write_b32 v8, v1 offset:80
; %bb.26:
	s_or_b32 exec_lo, exec_lo, s3
	s_waitcnt lgkmcnt(0)
	s_barrier
	buffer_gl0_inv
	s_and_saveexec_b32 s3, s1
; %bb.27:
	ds_read_b32 v1, v5 offset:80
; %bb.28:
	s_or_b32 exec_lo, exec_lo, s3
	s_waitcnt lgkmcnt(0)
	ds_bpermute_b32 v5, v30, v1
	s_waitcnt lgkmcnt(0)
	v_add_f32_e32 v1, v1, v5
	ds_bpermute_b32 v5, v31, v1
	s_waitcnt lgkmcnt(0)
	v_add_f32_e32 v1, v1, v5
	v_mov_b32_e32 v5, 0
	ds_bpermute_b32 v1, v5, v1
	s_and_saveexec_b32 s1, s2
	s_cbranch_execz .LBB144_31
; %bb.29:
	s_waitcnt lgkmcnt(0)
	v_add_f32_e32 v1, 0x358637bd, v1
	s_mov_b32 s2, 0
	v_div_scale_f32 v5, null, v1, v1, 1.0
	v_div_scale_f32 v8, vcc_lo, 1.0, v1, 1.0
	v_rcp_f32_e32 v6, v5
	v_fma_f32 v7, -v5, v6, 1.0
	v_fmac_f32_e32 v6, v7, v6
	v_mul_f32_e32 v7, v8, v6
	v_fma_f32 v9, -v5, v7, v8
	v_fmac_f32_e32 v7, v9, v6
	v_fma_f32 v5, -v5, v7, v8
	v_div_fmas_f32 v5, v5, v6, v7
	v_div_fixup_f32 v1, v5, v1, 1.0
	v_mov_b32_e32 v5, v0
.LBB144_30:                             ; =>This Inner Loop Header: Depth=1
	ds_read_b32 v6, v2
	v_add_nc_u32_e32 v5, 0x80, v5
	v_cmp_le_i32_e32 vcc_lo, s4, v5
	s_or_b32 s2, vcc_lo, s2
	s_waitcnt lgkmcnt(0)
	v_mul_f32_e32 v6, v1, v6
	ds_write_b32 v2, v6
	v_add_nc_u32_e32 v2, 0x200, v2
	s_andn2_b32 exec_lo, exec_lo, s2
	s_cbranch_execnz .LBB144_30
.LBB144_31:
	s_or_b32 exec_lo, exec_lo, s1
	v_mov_b32_e32 v35, 0
	v_and_b32_e32 v32, 3, v0
	v_mov_b32_e32 v36, 0
	v_mov_b32_e32 v34, 0
	;; [unrolled: 1-line block ×3, first 2 shown]
	s_waitcnt lgkmcnt(0)
	s_barrier
	buffer_gl0_inv
	s_and_saveexec_b32 s3, s0
	s_cbranch_execz .LBB144_45
; %bb.32:
	s_ashr_i32 s15, s14, 31
	s_sub_i32 s4, s30, s17
	s_lshl_b64 s[0:1], s[14:15], 1
	v_lshlrev_b32_e32 v2, 3, v0
	s_add_u32 s2, s26, s0
	s_addc_u32 s15, s27, s1
	s_abs_i32 s5, s18
	v_lshlrev_b32_e32 v5, 5, v32
	v_cvt_f32_u32_e32 v1, s5
	s_sub_i32 s0, 0, s5
	v_and_b32_e32 v38, 24, v2
	v_and_b32_e32 v3, 0x1f0, v3
	;; [unrolled: 1-line block ×3, first 2 shown]
	v_rcp_iflag_f32_e32 v1, v1
	s_add_i32 s14, s16, -1
	v_lshl_or_b32 v5, v27, 7, v5
	v_add_co_u32 v39, s2, s2, v3
	v_mov_b32_e32 v37, 0
	v_mov_b32_e32 v33, 0
	;; [unrolled: 1-line block ×5, first 2 shown]
	v_mul_f32_e32 v1, 0x4f7ffffe, v1
	v_add_co_ci_u32_e64 v40, null, s15, 0, s2
	v_add_nc_u32_e32 v41, 0x60, v5
	v_mov_b32_e32 v43, v27
	v_cvt_u32_f32_e32 v1, v1
	s_mov_b32 s17, s28
	s_mov_b32 s15, 0
	v_mul_lo_u32 v2, s0, v1
	s_lshl_b64 s[0:1], s[24:25], 2
	s_add_u32 s0, s22, s0
	s_addc_u32 s1, s23, s1
	v_add_co_u32 v25, s0, s0, v4
	v_add_co_ci_u32_e64 v26, null, s1, 0, s0
	v_mul_hi_u32 v2, v1, v2
	v_add_nc_u32_e32 v42, v1, v2
	s_branch .LBB144_35
.LBB144_33:                             ;   in Loop: Header=BB144_35 Depth=1
	s_or_b32 exec_lo, exec_lo, s2
	s_waitcnt lgkmcnt(1)
	v_bfe_u32 v44, v17, 16, 1
	v_bfe_u32 v45, v18, 16, 1
	v_or_b32_e32 v46, 0x400000, v17
	v_cmp_u_f32_e32 vcc_lo, v17, v17
	v_or_b32_e32 v47, 0x400000, v18
	v_add3_u32 v44, v44, v17, 0x7fff
	v_bfe_u32 v48, v19, 16, 1
	v_add3_u32 v45, v45, v18, 0x7fff
	v_bfe_u32 v49, v20, 16, 1
	s_waitcnt vmcnt(1)
	v_and_b32_e32 v51, 0xffff0000, v24
	v_cndmask_b32_e32 v17, v44, v46, vcc_lo
	v_cmp_u_f32_e32 vcc_lo, v18, v18
	v_add3_u32 v44, v48, v19, 0x7fff
	v_add3_u32 v46, v49, v20, 0x7fff
	s_waitcnt lgkmcnt(0)
	v_bfe_u32 v48, v13, 16, 1
	v_and_b32_e32 v17, 0xffff0000, v17
	v_cndmask_b32_e32 v18, v45, v47, vcc_lo
	v_or_b32_e32 v45, 0x400000, v19
	v_cmp_u_f32_e32 vcc_lo, v19, v19
	v_or_b32_e32 v47, 0x400000, v20
	v_lshlrev_b32_e32 v24, 16, v24
	v_cndmask_b32_e32 v19, v44, v45, vcc_lo
	v_cmp_u_f32_e32 vcc_lo, v20, v20
	v_bfe_u32 v44, v14, 16, 1
	v_add3_u32 v45, v48, v13, 0x7fff
	v_bfe_u32 v48, v15, 16, 1
	v_cndmask_b32_e32 v20, v46, v47, vcc_lo
	v_or_b32_e32 v46, 0x400000, v13
	v_cmp_u_f32_e32 vcc_lo, v13, v13
	v_add3_u32 v44, v44, v14, 0x7fff
	v_or_b32_e32 v47, 0x400000, v14
	v_and_b32_e32 v13, 0xffff0000, v18
	v_and_b32_e32 v18, 0xffff0000, v21
	v_cndmask_b32_e32 v45, v45, v46, vcc_lo
	v_cmp_u_f32_e32 vcc_lo, v14, v14
	v_add3_u32 v14, v48, v15, 0x7fff
	v_bfe_u32 v46, v16, 16, 1
	v_lshlrev_b32_e32 v21, 16, v21
	v_mul_f32_e32 v18, v13, v18
	v_cndmask_b32_e32 v44, v44, v47, vcc_lo
	v_or_b32_e32 v47, 0x400000, v15
	v_cmp_u_f32_e32 vcc_lo, v15, v15
	v_add3_u32 v46, v46, v16, 0x7fff
	v_or_b32_e32 v48, 0x400000, v16
	v_mul_f32_e32 v21, v17, v21
	v_bfe_u32 v15, v18, 16, 1
	v_cndmask_b32_e32 v47, v14, v47, vcc_lo
	v_cmp_u_f32_e32 vcc_lo, v16, v16
	v_and_b32_e32 v14, 0xffff0000, v20
	v_and_b32_e32 v20, 0xffff0000, v22
	v_add3_u32 v15, v15, v18, 0x7fff
	v_or_b32_e32 v49, 0x400000, v21
	v_cndmask_b32_e32 v16, v46, v48, vcc_lo
	v_bfe_u32 v46, v21, 16, 1
	v_or_b32_e32 v48, 0x400000, v18
	v_cmp_u_f32_e32 vcc_lo, v18, v18
	v_mul_f32_e32 v50, v14, v20
	v_and_b32_e32 v20, 0xffff0000, v19
	v_add3_u32 v46, v46, v21, 0x7fff
	v_lshlrev_b32_e32 v19, 16, v22
	v_cndmask_b32_e32 v22, v15, v48, vcc_lo
	v_cmp_u_f32_e32 vcc_lo, v21, v21
	v_and_b32_e32 v15, 0xffff0000, v44
	v_and_b32_e32 v44, 0xffff0000, v23
	v_mul_f32_e32 v19, v20, v19
	v_and_b32_e32 v18, 0xffff0000, v45
	v_cndmask_b32_e32 v21, v46, v49, vcc_lo
	v_bfe_u32 v46, v50, 16, 1
	v_lshlrev_b32_e32 v23, 16, v23
	v_bfe_u32 v48, v19, 16, 1
	v_mul_f32_e32 v44, v15, v44
	v_cmp_u_f32_e32 vcc_lo, v50, v50
	v_add3_u32 v45, v46, v50, 0x7fff
	v_or_b32_e32 v46, 0x400000, v50
	v_mul_f32_e32 v23, v18, v23
	v_bfe_u32 v49, v44, 16, 1
	v_and_b32_e32 v16, 0xffff0000, v16
	v_and_b32_e32 v21, 0xffff0000, v21
	v_cndmask_b32_e32 v45, v45, v46, vcc_lo
	v_add3_u32 v46, v48, v19, 0x7fff
	v_or_b32_e32 v48, 0x400000, v19
	v_cmp_u_f32_e32 vcc_lo, v19, v19
	v_bfe_u32 v50, v23, 16, 1
	v_mul_f32_e32 v51, v16, v51
	v_and_b32_e32 v19, 0xffff0000, v47
	v_or_b32_e32 v47, 0x400000, v23
	v_cndmask_b32_e32 v46, v46, v48, vcc_lo
	v_add3_u32 v48, v49, v44, 0x7fff
	v_or_b32_e32 v49, 0x400000, v44
	v_cmp_u_f32_e32 vcc_lo, v44, v44
	v_add3_u32 v50, v50, v23, 0x7fff
	v_bfe_u32 v52, v51, 16, 1
	v_mul_f32_e32 v24, v19, v24
	v_and_b32_e32 v22, 0xffff0000, v22
	v_cndmask_b32_e32 v44, v48, v49, vcc_lo
	v_cmp_u_f32_e32 vcc_lo, v23, v23
	v_or_b32_e32 v48, 0x400000, v51
	v_bfe_u32 v49, v24, 16, 1
	v_and_b32_e32 v46, 0xffff0000, v46
	v_and_b32_e32 v45, 0xffff0000, v45
	v_cndmask_b32_e32 v23, v50, v47, vcc_lo
	v_add3_u32 v47, v52, v51, 0x7fff
	v_cmp_u_f32_e32 vcc_lo, v51, v51
	v_add_f32_e32 v21, v21, v22
	v_add_f32_e32 v22, v46, v45
	v_and_b32_e32 v23, 0xffff0000, v23
	v_and_b32_e32 v44, 0xffff0000, v44
	v_cndmask_b32_e32 v47, v47, v48, vcc_lo
	v_add3_u32 v48, v49, v24, 0x7fff
	v_or_b32_e32 v49, 0x400000, v24
	v_and_b32_e32 v45, 0xffff0000, v9
	v_cmp_u_f32_e32 vcc_lo, v24, v24
	v_lshlrev_b32_e32 v9, 16, v9
	v_add_f32_e32 v21, v22, v21
	v_add_f32_e32 v22, v23, v44
	v_mul_f32_e32 v23, v13, v45
	v_cndmask_b32_e32 v24, v48, v49, vcc_lo
	v_mul_f32_e32 v44, v17, v9
	v_and_b32_e32 v45, 0xffff0000, v47
	v_and_b32_e32 v46, 0xffff0000, v10
	v_bfe_u32 v47, v23, 16, 1
	v_and_b32_e32 v24, 0xffff0000, v24
	v_add_f32_e32 v9, v22, v21
	v_bfe_u32 v22, v44, 16, 1
	v_cmp_u_f32_e32 vcc_lo, v23, v23
	v_lshlrev_b32_e32 v10, 16, v10
	v_add_f32_e32 v21, v24, v45
	v_mul_f32_e32 v24, v14, v46
	v_add3_u32 v45, v47, v23, 0x7fff
	v_or_b32_e32 v46, 0x400000, v23
	v_add3_u32 v22, v22, v44, 0x7fff
	v_or_b32_e32 v47, 0x400000, v44
	v_bfe_u32 v48, v24, 16, 1
	v_mul_f32_e32 v10, v20, v10
	v_cndmask_b32_e32 v23, v45, v46, vcc_lo
	v_cmp_u_f32_e32 vcc_lo, v44, v44
	v_or_b32_e32 v45, 0x400000, v24
	v_add3_u32 v44, v48, v24, 0x7fff
	v_and_b32_e32 v46, 0xffff0000, v11
	v_lshlrev_b32_e32 v11, 16, v11
	v_cndmask_b32_e32 v22, v22, v47, vcc_lo
	v_cmp_u_f32_e32 vcc_lo, v24, v24
	v_bfe_u32 v47, v10, 16, 1
	v_and_b32_e32 v23, 0xffff0000, v23
	v_mul_f32_e32 v11, v18, v11
	v_and_b32_e32 v22, 0xffff0000, v22
	v_cndmask_b32_e32 v24, v44, v45, vcc_lo
	v_mul_f32_e32 v44, v15, v46
	v_add3_u32 v45, v47, v10, 0x7fff
	v_or_b32_e32 v46, 0x400000, v10
	v_and_b32_e32 v47, 0xffff0000, v12
	v_cmp_u_f32_e32 vcc_lo, v10, v10
	v_bfe_u32 v48, v44, 16, 1
	v_bfe_u32 v49, v11, 16, 1
	v_lshlrev_b32_e32 v12, 16, v12
	v_and_b32_e32 v24, 0xffff0000, v24
	v_cndmask_b32_e32 v10, v45, v46, vcc_lo
	v_mul_f32_e32 v45, v16, v47
	v_add3_u32 v46, v48, v44, 0x7fff
	v_or_b32_e32 v47, 0x400000, v44
	v_cmp_u_f32_e32 vcc_lo, v44, v44
	v_add3_u32 v48, v49, v11, 0x7fff
	v_or_b32_e32 v49, 0x400000, v11
	v_bfe_u32 v50, v45, 16, 1
	v_and_b32_e32 v10, 0xffff0000, v10
	v_cndmask_b32_e32 v44, v46, v47, vcc_lo
	v_cmp_u_f32_e32 vcc_lo, v11, v11
	v_or_b32_e32 v47, 0x400000, v45
	v_add3_u32 v46, v50, v45, 0x7fff
	v_mul_f32_e32 v12, v19, v12
	v_add_f32_e32 v22, v22, v23
	v_cndmask_b32_e32 v11, v48, v49, vcc_lo
	v_cmp_u_f32_e32 vcc_lo, v45, v45
	v_add_f32_e32 v10, v10, v24
	v_and_b32_e32 v23, 0xffff0000, v1
	v_and_b32_e32 v24, 0xffff0000, v44
	v_and_b32_e32 v11, 0xffff0000, v11
	v_cndmask_b32_e32 v45, v46, v47, vcc_lo
	v_bfe_u32 v46, v12, 16, 1
	v_add_f32_e32 v10, v10, v22
	v_mul_f32_e32 v22, v13, v23
	v_add_f32_e32 v11, v11, v24
	v_lshlrev_b32_e32 v1, 16, v1
	v_add3_u32 v44, v46, v12, 0x7fff
	v_or_b32_e32 v46, 0x400000, v12
	v_cmp_u_f32_e32 vcc_lo, v12, v12
	v_bfe_u32 v23, v22, 16, 1
	v_add_f32_e32 v10, v11, v10
	v_and_b32_e32 v11, 0xffff0000, v2
	v_mul_f32_e32 v1, v17, v1
	v_cndmask_b32_e32 v12, v44, v46, vcc_lo
	v_add3_u32 v23, v23, v22, 0x7fff
	v_or_b32_e32 v24, 0x400000, v22
	v_mul_f32_e32 v11, v14, v11
	v_and_b32_e32 v44, 0xffff0000, v45
	v_bfe_u32 v45, v1, 16, 1
	v_cmp_u_f32_e32 vcc_lo, v22, v22
	v_lshlrev_b32_e32 v2, 16, v2
	v_or_b32_e32 v46, 0x400000, v1
	v_or_b32_e32 v47, 0x400000, v11
	v_and_b32_e32 v12, 0xffff0000, v12
	v_cndmask_b32_e32 v22, v23, v24, vcc_lo
	v_bfe_u32 v23, v11, 16, 1
	v_add3_u32 v24, v45, v1, 0x7fff
	v_and_b32_e32 v45, 0xffff0000, v3
	v_mul_f32_e32 v2, v20, v2
	v_cmp_u_f32_e32 vcc_lo, v1, v1
	v_add3_u32 v23, v23, v11, 0x7fff
	v_lshlrev_b32_e32 v3, 16, v3
	v_mul_f32_e32 v45, v15, v45
	v_and_b32_e32 v22, 0xffff0000, v22
	v_cndmask_b32_e32 v1, v24, v46, vcc_lo
	v_bfe_u32 v24, v2, 16, 1
	v_cmp_u_f32_e32 vcc_lo, v11, v11
	v_and_b32_e32 v46, 0xffff0000, v4
	v_mul_f32_e32 v3, v18, v3
	v_or_b32_e32 v48, 0x400000, v45
	v_add3_u32 v24, v24, v2, 0x7fff
	v_cndmask_b32_e32 v11, v23, v47, vcc_lo
	v_bfe_u32 v23, v45, 16, 1
	v_or_b32_e32 v47, 0x400000, v2
	v_cmp_u_f32_e32 vcc_lo, v2, v2
	v_mul_f32_e32 v46, v16, v46
	v_lshlrev_b32_e32 v4, 16, v4
	v_add3_u32 v23, v23, v45, 0x7fff
	v_and_b32_e32 v1, 0xffff0000, v1
	v_cndmask_b32_e32 v2, v24, v47, vcc_lo
	v_bfe_u32 v24, v3, 16, 1
	v_cmp_u_f32_e32 vcc_lo, v45, v45
	v_bfe_u32 v47, v46, 16, 1
	v_or_b32_e32 v45, 0x400000, v3
	v_mul_f32_e32 v4, v19, v4
	v_add3_u32 v24, v24, v3, 0x7fff
	v_cndmask_b32_e32 v23, v23, v48, vcc_lo
	v_cmp_u_f32_e32 vcc_lo, v3, v3
	v_add3_u32 v47, v47, v46, 0x7fff
	v_or_b32_e32 v48, 0x400000, v46
	v_and_b32_e32 v2, 0xffff0000, v2
	v_and_b32_e32 v11, 0xffff0000, v11
	v_cndmask_b32_e32 v3, v24, v45, vcc_lo
	v_cmp_u_f32_e32 vcc_lo, v46, v46
	v_bfe_u32 v45, v4, 16, 1
	v_add_f32_e32 v1, v1, v22
	v_add_f32_e32 v2, v2, v11
	v_and_b32_e32 v3, 0xffff0000, v3
	v_cndmask_b32_e32 v24, v47, v48, vcc_lo
	s_waitcnt vmcnt(0)
	v_lshlrev_b32_e32 v47, 16, v5
	v_and_b32_e32 v11, 0xffff0000, v23
	v_and_b32_e32 v5, 0xffff0000, v5
	v_add3_u32 v45, v45, v4, 0x7fff
	v_or_b32_e32 v46, 0x400000, v4
	v_mul_f32_e32 v17, v17, v47
	v_cmp_u_f32_e32 vcc_lo, v4, v4
	v_add_f32_e32 v1, v2, v1
	v_add_f32_e32 v3, v3, v11
	v_mul_f32_e32 v5, v13, v5
	v_bfe_u32 v2, v17, 16, 1
	v_lshlrev_b32_e32 v11, 16, v6
	v_cndmask_b32_e32 v4, v45, v46, vcc_lo
	v_or_b32_e32 v13, 0x400000, v17
	v_bfe_u32 v22, v5, 16, 1
	v_add3_u32 v2, v2, v17, 0x7fff
	v_mul_f32_e32 v11, v20, v11
	v_and_b32_e32 v6, 0xffff0000, v6
	v_cmp_u_f32_e32 vcc_lo, v17, v17
	v_or_b32_e32 v17, 0x400000, v5
	v_and_b32_e32 v4, 0xffff0000, v4
	v_bfe_u32 v20, v11, 16, 1
	v_mul_f32_e32 v6, v14, v6
	v_cndmask_b32_e32 v2, v2, v13, vcc_lo
	v_add3_u32 v13, v22, v5, 0x7fff
	v_lshlrev_b32_e32 v14, 16, v7
	v_cmp_u_f32_e32 vcc_lo, v5, v5
	v_and_b32_e32 v7, 0xffff0000, v7
	v_and_b32_e32 v2, 0xffff0000, v2
	v_add_f32_e32 v1, v3, v1
	v_mul_f32_e32 v14, v18, v14
	v_cndmask_b32_e32 v5, v13, v17, vcc_lo
	v_add3_u32 v13, v20, v11, 0x7fff
	v_or_b32_e32 v17, 0x400000, v11
	v_bfe_u32 v20, v6, 16, 1
	v_cmp_u_f32_e32 vcc_lo, v11, v11
	v_bfe_u32 v18, v14, 16, 1
	v_mul_f32_e32 v7, v15, v7
	v_lshlrev_b32_e32 v15, 16, v8
	v_and_b32_e32 v8, 0xffff0000, v8
	v_cndmask_b32_e32 v11, v13, v17, vcc_lo
	v_add3_u32 v13, v20, v6, 0x7fff
	v_or_b32_e32 v17, 0x400000, v6
	v_cmp_u_f32_e32 vcc_lo, v6, v6
	v_mul_f32_e32 v8, v16, v8
	v_or_b32_e32 v16, 0x400000, v14
	v_mul_f32_e32 v15, v19, v15
	v_and_b32_e32 v5, 0xffff0000, v5
	v_cndmask_b32_e32 v6, v13, v17, vcc_lo
	v_bfe_u32 v13, v7, 16, 1
	v_add3_u32 v17, v18, v14, 0x7fff
	v_cmp_u_f32_e32 vcc_lo, v14, v14
	v_or_b32_e32 v18, 0x400000, v7
	v_bfe_u32 v20, v8, 16, 1
	v_add3_u32 v13, v13, v7, 0x7fff
	v_bfe_u32 v19, v15, 16, 1
	v_cndmask_b32_e32 v14, v17, v16, vcc_lo
	v_cmp_u_f32_e32 vcc_lo, v7, v7
	v_add3_u32 v16, v20, v8, 0x7fff
	v_or_b32_e32 v17, 0x400000, v8
	v_and_b32_e32 v6, 0xffff0000, v6
	v_and_b32_e32 v11, 0xffff0000, v11
	v_cndmask_b32_e32 v7, v13, v18, vcc_lo
	v_cmp_u_f32_e32 vcc_lo, v8, v8
	v_add3_u32 v13, v19, v15, 0x7fff
	v_or_b32_e32 v18, 0x400000, v15
	v_add_f32_e32 v2, v2, v5
	v_add_f32_e32 v5, v11, v6
	v_cndmask_b32_e32 v8, v16, v17, vcc_lo
	v_cmp_u_f32_e32 vcc_lo, v15, v15
	v_and_b32_e32 v6, 0xffff0000, v7
	v_and_b32_e32 v7, 0xffff0000, v14
	v_add_f32_e32 v2, v5, v2
	v_cndmask_b32_e32 v11, v13, v18, vcc_lo
	v_and_b32_e32 v13, 0xffff0000, v24
	v_add_f32_e32 v5, v7, v6
	v_and_b32_e32 v6, 0xffff0000, v8
	v_add_f32_e32 v8, v12, v44
	;; [unrolled: 2-line block ×3, first 2 shown]
	v_add_f32_e32 v2, v5, v2
	v_add_f32_e32 v5, v21, v9
	;; [unrolled: 1-line block ×10, first 2 shown]
.LBB144_34:                             ;   in Loop: Header=BB144_35 Depth=1
	s_or_b32 exec_lo, exec_lo, s18
	v_add_nc_u32_e32 v43, 4, v43
	v_add_co_u32 v25, s0, v25, 16
	v_add_co_ci_u32_e64 v26, null, 0, v26, s0
	v_cmp_le_i32_e32 vcc_lo, s16, v43
	v_add_nc_u32_e32 v29, 0x80, v29
	v_add_nc_u32_e32 v41, 0x200, v41
	s_or_b32 s15, vcc_lo, s15
	s_andn2_b32 exec_lo, exec_lo, s15
	s_cbranch_execz .LBB144_44
.LBB144_35:                             ; =>This Inner Loop Header: Depth=1
	v_mul_hi_u32 v1, v29, s21
	v_mul_lo_u32 v2, v1, s12
	v_add_nc_u32_e32 v3, 1, v1
	v_sub_nc_u32_e32 v2, v29, v2
	v_subrev_nc_u32_e32 v4, s12, v2
	v_cmp_le_u32_e32 vcc_lo, s12, v2
	v_cndmask_b32_e32 v1, v1, v3, vcc_lo
	v_cndmask_b32_e32 v2, v2, v4, vcc_lo
	v_add_nc_u32_e32 v3, 1, v1
	v_cmp_le_u32_e32 vcc_lo, s12, v2
	v_cndmask_b32_e32 v1, v1, v3, vcc_lo
	v_xor_b32_e32 v1, s19, v1
	v_subrev_nc_u32_e32 v1, s19, v1
	v_add_nc_u32_e32 v2, s29, v1
	v_cmp_lt_i32_e64 s0, s4, v1
	v_sub_nc_u32_e32 v3, 0, v2
	v_max_i32_e32 v3, v2, v3
	v_ashrrev_i32_e32 v2, 31, v2
	v_mul_hi_u32 v4, v3, v42
	v_mul_lo_u32 v4, v4, s5
	v_sub_nc_u32_e32 v3, v3, v4
	v_subrev_nc_u32_e32 v4, s5, v3
	v_cmp_le_u32_e32 vcc_lo, s5, v3
	v_cndmask_b32_e32 v3, v3, v4, vcc_lo
	v_subrev_nc_u32_e32 v4, s5, v3
	v_cmp_le_u32_e32 vcc_lo, s5, v3
	v_cndmask_b32_e32 v3, v3, v4, vcc_lo
	v_xor_b32_e32 v3, v3, v2
	v_sub_nc_u32_e32 v2, v3, v2
	v_cmp_eq_u32_e32 vcc_lo, 0, v2
	s_or_b32 s0, vcc_lo, s0
	s_and_saveexec_b32 s18, s0
	s_cbranch_execz .LBB144_34
; %bb.36:                               ;   in Loop: Header=BB144_35 Depth=1
	global_load_dword v1, v[25:26], off
	v_add_nc_u32_e32 v48, v38, v29
	v_cmp_eq_u32_e64 s0, s14, v43
	v_add_nc_u32_e32 v51, 1, v48
	v_or_b32_e32 v49, 3, v48
	v_or_b32_e32 v50, 2, v48
	;; [unrolled: 1-line block ×6, first 2 shown]
	s_waitcnt vmcnt(0)
	v_mad_i64_i32 v[1:2], null, v1, s13, 0
	v_lshlrev_b64 v[1:2], 1, v[1:2]
	v_add_co_u32 v5, vcc_lo, v39, v1
	v_add_co_ci_u32_e64 v6, null, v40, v2, vcc_lo
	global_load_dwordx4 v[1:4], v[5:6], off
	ds_read2_b64 v[17:20], v41 offset1:1
	ds_read2_b64 v[13:16], v41 offset0:2 offset1:3
	s_and_saveexec_b32 s22, s0
	s_cbranch_execnz .LBB144_40
; %bb.37:                               ;   in Loop: Header=BB144_35 Depth=1
	s_or_b32 exec_lo, exec_lo, s22
	global_load_dwordx4 v[9:12], v[5:6], off offset:512
	s_and_saveexec_b32 s22, s0
	s_cbranch_execnz .LBB144_41
.LBB144_38:                             ;   in Loop: Header=BB144_35 Depth=1
	s_or_b32 exec_lo, exec_lo, s22
	global_load_dwordx4 v[21:24], v[5:6], off offset:1024
	s_and_saveexec_b32 s22, s0
	s_cbranch_execnz .LBB144_42
.LBB144_39:                             ;   in Loop: Header=BB144_35 Depth=1
	s_or_b32 exec_lo, exec_lo, s22
	global_load_dwordx4 v[5:8], v[5:6], off offset:1536
	s_and_saveexec_b32 s2, s0
	s_cbranch_execz .LBB144_33
	s_branch .LBB144_43
.LBB144_40:                             ;   in Loop: Header=BB144_35 Depth=1
	v_cmp_gt_i32_e64 s1, s28, v48
	v_cmp_gt_i32_e32 vcc_lo, s17, v51
	v_cmp_gt_i32_e64 s2, s28, v50
	s_waitcnt vmcnt(0)
	v_cndmask_b32_e64 v7, 0, v1, s1
	v_cmp_gt_i32_e64 s1, s17, v49
	v_cndmask_b32_sdwa v1, v37, v1, vcc_lo dst_sel:DWORD dst_unused:UNUSED_PAD src0_sel:DWORD src1_sel:WORD_1
	v_cndmask_b32_e64 v8, 0, v2, s2
	v_cmp_gt_i32_e64 s2, s17, v47
	s_mov_b32 vcc_lo, s1
	v_cmp_gt_i32_e64 s1, s17, v45
	v_cndmask_b32_sdwa v2, v37, v2, vcc_lo dst_sel:DWORD dst_unused:UNUSED_PAD src0_sel:DWORD src1_sel:WORD_1
	v_cmp_gt_i32_e32 vcc_lo, s28, v46
	v_perm_b32 v1, v1, v7, 0x5040100
	v_perm_b32 v2, v2, v8, 0x5040100
	v_cndmask_b32_e32 v9, 0, v3, vcc_lo
	s_mov_b32 vcc_lo, s2
	v_cndmask_b32_sdwa v3, v37, v3, vcc_lo dst_sel:DWORD dst_unused:UNUSED_PAD src0_sel:DWORD src1_sel:WORD_1
	v_cmp_gt_i32_e32 vcc_lo, s28, v44
	v_perm_b32 v3, v3, v9, 0x5040100
	v_cndmask_b32_e32 v10, 0, v4, vcc_lo
	s_mov_b32 vcc_lo, s1
	v_cndmask_b32_sdwa v4, v37, v4, vcc_lo dst_sel:DWORD dst_unused:UNUSED_PAD src0_sel:DWORD src1_sel:WORD_1
	v_perm_b32 v4, v4, v10, 0x5040100
	s_or_b32 exec_lo, exec_lo, s22
	global_load_dwordx4 v[9:12], v[5:6], off offset:512
	s_and_saveexec_b32 s22, s0
	s_cbranch_execz .LBB144_38
.LBB144_41:                             ;   in Loop: Header=BB144_35 Depth=1
	v_cmp_gt_i32_e64 s1, s28, v48
	v_cmp_gt_i32_e32 vcc_lo, s17, v51
	v_cmp_gt_i32_e64 s2, s28, v50
	s_waitcnt vmcnt(0)
	v_cndmask_b32_e64 v7, 0, v9, s1
	v_cmp_gt_i32_e64 s1, s17, v49
	v_cndmask_b32_sdwa v9, v37, v9, vcc_lo dst_sel:DWORD dst_unused:UNUSED_PAD src0_sel:DWORD src1_sel:WORD_1
	v_cndmask_b32_e64 v8, 0, v10, s2
	v_cmp_gt_i32_e64 s2, s17, v47
	s_mov_b32 vcc_lo, s1
	v_cmp_gt_i32_e64 s1, s17, v45
	v_cndmask_b32_sdwa v10, v37, v10, vcc_lo dst_sel:DWORD dst_unused:UNUSED_PAD src0_sel:DWORD src1_sel:WORD_1
	v_cmp_gt_i32_e32 vcc_lo, s28, v46
	v_perm_b32 v9, v9, v7, 0x5040100
	v_perm_b32 v10, v10, v8, 0x5040100
	v_cndmask_b32_e32 v21, 0, v11, vcc_lo
	s_mov_b32 vcc_lo, s2
	v_cndmask_b32_sdwa v11, v37, v11, vcc_lo dst_sel:DWORD dst_unused:UNUSED_PAD src0_sel:DWORD src1_sel:WORD_1
	v_cmp_gt_i32_e32 vcc_lo, s28, v44
	v_perm_b32 v11, v11, v21, 0x5040100
	v_cndmask_b32_e32 v22, 0, v12, vcc_lo
	s_mov_b32 vcc_lo, s1
	v_cndmask_b32_sdwa v12, v37, v12, vcc_lo dst_sel:DWORD dst_unused:UNUSED_PAD src0_sel:DWORD src1_sel:WORD_1
	v_perm_b32 v12, v12, v22, 0x5040100
	s_or_b32 exec_lo, exec_lo, s22
	global_load_dwordx4 v[21:24], v[5:6], off offset:1024
	s_and_saveexec_b32 s22, s0
	s_cbranch_execz .LBB144_39
.LBB144_42:                             ;   in Loop: Header=BB144_35 Depth=1
	v_cmp_gt_i32_e64 s1, s28, v48
	v_cmp_gt_i32_e32 vcc_lo, s17, v51
	v_cmp_gt_i32_e64 s2, s28, v50
	s_waitcnt vmcnt(0)
	v_cndmask_b32_e64 v7, 0, v21, s1
	v_cmp_gt_i32_e64 s1, s17, v49
	v_cndmask_b32_sdwa v21, v37, v21, vcc_lo dst_sel:DWORD dst_unused:UNUSED_PAD src0_sel:DWORD src1_sel:WORD_1
	v_cndmask_b32_e64 v8, 0, v22, s2
	v_cmp_gt_i32_e64 s2, s17, v47
	s_mov_b32 vcc_lo, s1
	v_cmp_gt_i32_e64 s1, s17, v45
	v_cndmask_b32_sdwa v22, v37, v22, vcc_lo dst_sel:DWORD dst_unused:UNUSED_PAD src0_sel:DWORD src1_sel:WORD_1
	v_cmp_gt_i32_e32 vcc_lo, s28, v46
	v_perm_b32 v21, v21, v7, 0x5040100
	v_perm_b32 v22, v22, v8, 0x5040100
	v_cndmask_b32_e32 v52, 0, v23, vcc_lo
	s_mov_b32 vcc_lo, s2
	v_cndmask_b32_sdwa v23, v37, v23, vcc_lo dst_sel:DWORD dst_unused:UNUSED_PAD src0_sel:DWORD src1_sel:WORD_1
	v_cmp_gt_i32_e32 vcc_lo, s28, v44
	v_perm_b32 v23, v23, v52, 0x5040100
	v_cndmask_b32_e32 v53, 0, v24, vcc_lo
	s_mov_b32 vcc_lo, s1
	v_cndmask_b32_sdwa v24, v37, v24, vcc_lo dst_sel:DWORD dst_unused:UNUSED_PAD src0_sel:DWORD src1_sel:WORD_1
	v_perm_b32 v24, v24, v53, 0x5040100
	s_or_b32 exec_lo, exec_lo, s22
	global_load_dwordx4 v[5:8], v[5:6], off offset:1536
	s_and_saveexec_b32 s2, s0
	s_cbranch_execz .LBB144_33
.LBB144_43:                             ;   in Loop: Header=BB144_35 Depth=1
	v_cmp_gt_i32_e64 s0, s28, v48
	v_cmp_gt_i32_e32 vcc_lo, s17, v51
	v_cmp_gt_i32_e64 s1, s28, v50
	s_waitcnt vmcnt(0)
	v_cndmask_b32_e64 v48, 0, v5, s0
	v_cmp_gt_i32_e64 s0, s17, v49
	v_cndmask_b32_sdwa v5, v37, v5, vcc_lo dst_sel:DWORD dst_unused:UNUSED_PAD src0_sel:DWORD src1_sel:WORD_1
	v_cndmask_b32_e64 v49, 0, v6, s1
	v_cmp_gt_i32_e64 s1, s17, v47
	s_mov_b32 vcc_lo, s0
	v_cmp_gt_i32_e64 s0, s17, v45
	v_cndmask_b32_sdwa v6, v37, v6, vcc_lo dst_sel:DWORD dst_unused:UNUSED_PAD src0_sel:DWORD src1_sel:WORD_1
	v_cmp_gt_i32_e32 vcc_lo, s28, v46
	v_perm_b32 v5, v5, v48, 0x5040100
	v_perm_b32 v6, v6, v49, 0x5040100
	v_cndmask_b32_e32 v46, 0, v7, vcc_lo
	s_mov_b32 vcc_lo, s1
	v_cndmask_b32_sdwa v7, v37, v7, vcc_lo dst_sel:DWORD dst_unused:UNUSED_PAD src0_sel:DWORD src1_sel:WORD_1
	v_cmp_gt_i32_e32 vcc_lo, s28, v44
	v_perm_b32 v7, v7, v46, 0x5040100
	v_cndmask_b32_e32 v44, 0, v8, vcc_lo
	s_mov_b32 vcc_lo, s0
	v_cndmask_b32_sdwa v8, v37, v8, vcc_lo dst_sel:DWORD dst_unused:UNUSED_PAD src0_sel:DWORD src1_sel:WORD_1
	v_perm_b32 v8, v8, v44, 0x5040100
	s_branch .LBB144_33
.LBB144_44:
	s_or_b32 exec_lo, exec_lo, s15
.LBB144_45:
	s_or_b32 exec_lo, exec_lo, s3
	ds_bpermute_b32 v1, v30, v35
	ds_bpermute_b32 v2, v30, v36
	;; [unrolled: 1-line block ×4, first 2 shown]
	v_lshrrev_b32_e32 v5, 2, v28
	v_and_b32_e32 v12, 0x3c3, v0
	s_mov_b32 s0, exec_lo
	s_waitcnt lgkmcnt(0)
	s_barrier
	buffer_gl0_inv
	v_add_f32_e32 v1, v35, v1
	v_add_f32_e32 v2, v36, v2
	;; [unrolled: 1-line block ×4, first 2 shown]
	v_and_b32_e32 v4, 28, v28
	ds_bpermute_b32 v3, v31, v1
	ds_bpermute_b32 v9, v31, v2
	;; [unrolled: 1-line block ×4, first 2 shown]
	v_add_nc_u32_e32 v6, 0x60, v4
	s_waitcnt lgkmcnt(3)
	v_add_f32_e32 v4, v1, v3
	s_waitcnt lgkmcnt(2)
	v_add_f32_e32 v3, v2, v9
	;; [unrolled: 2-line block ×4, first 2 shown]
	v_cmpx_eq_u32_e32 64, v12
	s_cbranch_execz .LBB144_47
; %bb.46:
	v_lshl_add_u32 v7, v27, 7, v6
	v_add_nc_u32_e32 v8, 0xffffff00, v7
	v_add_nc_u32_e32 v9, 0xffffff20, v7
	;; [unrolled: 1-line block ×4, first 2 shown]
	ds_write_b32 v8, v4
	ds_write_b32 v9, v3
	;; [unrolled: 1-line block ×4, first 2 shown]
.LBB144_47:
	s_or_b32 exec_lo, exec_lo, s0
	v_and_b32_e32 v7, 0x3e0, v0
	v_lshlrev_b32_e32 v5, 2, v5
	s_mov_b32 s1, exec_lo
	v_cmp_eq_u32_e32 vcc_lo, 0, v32
	s_waitcnt lgkmcnt(0)
	v_lshlrev_b32_e32 v7, 2, v7
	s_barrier
	buffer_gl0_inv
	v_add3_u32 v5, 0x60, v7, v5
	v_cmpx_gt_u32_e32 64, v0
	s_cbranch_execz .LBB144_54
; %bb.48:
	s_and_saveexec_b32 s0, vcc_lo
	s_cbranch_execnz .LBB144_66
; %bb.49:
	s_or_b32 exec_lo, exec_lo, s0
	s_and_saveexec_b32 s0, vcc_lo
	s_cbranch_execnz .LBB144_67
.LBB144_50:
	s_or_b32 exec_lo, exec_lo, s0
	s_and_saveexec_b32 s0, vcc_lo
	s_cbranch_execnz .LBB144_68
.LBB144_51:
	s_or_b32 exec_lo, exec_lo, s0
	s_and_saveexec_b32 s0, vcc_lo
	s_cbranch_execz .LBB144_53
.LBB144_52:
	ds_read_b32 v7, v5 offset:96
	s_waitcnt lgkmcnt(0)
	v_add_f32_e32 v1, v1, v7
.LBB144_53:
	s_or_b32 exec_lo, exec_lo, s0
.LBB144_54:
	s_or_b32 exec_lo, exec_lo, s1
	v_and_b32_e32 v7, 0x3e3, v0
	s_mov_b32 s1, exec_lo
	s_barrier
	buffer_gl0_inv
	v_cmpx_eq_u32_e32 32, v7
	s_cbranch_execz .LBB144_56
; %bb.55:
	ds_write2_b32 v6, v4, v3 offset1:8
	ds_write2_b32 v6, v2, v1 offset0:16 offset1:24
.LBB144_56:
	s_or_b32 exec_lo, exec_lo, s1
	s_mov_b32 s1, exec_lo
	s_waitcnt lgkmcnt(0)
	s_barrier
	buffer_gl0_inv
	v_cmpx_gt_u32_e32 32, v0
	s_cbranch_execz .LBB144_63
; %bb.57:
	s_and_saveexec_b32 s0, vcc_lo
	s_cbranch_execnz .LBB144_69
; %bb.58:
	s_or_b32 exec_lo, exec_lo, s0
	s_and_saveexec_b32 s0, vcc_lo
	s_cbranch_execnz .LBB144_70
.LBB144_59:
	s_or_b32 exec_lo, exec_lo, s0
	s_and_saveexec_b32 s0, vcc_lo
	s_cbranch_execnz .LBB144_71
.LBB144_60:
	s_or_b32 exec_lo, exec_lo, s0
	s_and_saveexec_b32 s0, vcc_lo
	s_cbranch_execz .LBB144_62
.LBB144_61:
	ds_read_b32 v5, v5 offset:96
	s_waitcnt lgkmcnt(0)
	v_add_f32_e32 v1, v1, v5
.LBB144_62:
	s_or_b32 exec_lo, exec_lo, s0
.LBB144_63:
	s_or_b32 exec_lo, exec_lo, s1
	s_barrier
	buffer_gl0_inv
	s_mov_b32 s0, exec_lo
	v_cmpx_eq_u32_e32 0, v7
	s_cbranch_execz .LBB144_65
; %bb.64:
	v_bfe_u32 v5, v4, 16, 1
	s_mul_i32 s0, s10, s11
	v_or_b32_e32 v6, 0x400000, v4
	s_mul_i32 s0, s0, s9
	v_bfe_u32 v7, v3, 16, 1
	v_add3_u32 v5, v5, v4, 0x7fff
	v_cmp_u_f32_e32 vcc_lo, v4, v4
	s_lshl_b32 s0, s0, 5
	v_bfe_u32 v8, v2, 16, 1
	s_ashr_i32 s1, s0, 31
	s_mul_i32 s2, s11, s20
	s_lshl_b64 s[0:1], s[0:1], 1
	v_cndmask_b32_e32 v4, v5, v6, vcc_lo
	v_add3_u32 v6, v7, v3, 0x7fff
	v_or_b32_e32 v7, 0x400000, v3
	v_cmp_u_f32_e32 vcc_lo, v3, v3
	s_add_u32 s4, s6, s0
	s_addc_u32 s5, s7, s1
	s_ashr_i32 s3, s2, 31
	v_bfe_u32 v5, v1, 16, 1
	s_lshl_b64 s[0:1], s[2:3], 1
	v_add3_u32 v8, v8, v2, 0x7fff
	v_or_b32_e32 v9, 0x400000, v2
	v_cndmask_b32_e32 v3, v6, v7, vcc_lo
	v_cmp_u_f32_e32 vcc_lo, v2, v2
	s_add_u32 s2, s4, s0
	s_addc_u32 s3, s5, s1
	s_lshl_b32 s0, s8, 5
	v_add3_u32 v5, v5, v1, 0x7fff
	s_ashr_i32 s1, s0, 31
	v_or_b32_e32 v10, 0x400000, v1
	v_cndmask_b32_e32 v2, v8, v9, vcc_lo
	v_cmp_u_f32_e32 vcc_lo, v1, v1
	v_lshrrev_b32_e32 v0, 1, v0
	s_lshl_b64 s[0:1], s[0:1], 1
	s_add_u32 s0, s2, s0
	s_addc_u32 s1, s3, s1
	v_cndmask_b32_e32 v1, v5, v10, vcc_lo
	global_store_short_d16_hi v0, v4, s[0:1]
	global_store_short_d16_hi v0, v3, s[0:1] offset:16
	global_store_short_d16_hi v0, v2, s[0:1] offset:32
	;; [unrolled: 1-line block ×3, first 2 shown]
.LBB144_65:
	s_endpgm
.LBB144_66:
	ds_read_b32 v7, v5
	s_waitcnt lgkmcnt(0)
	v_add_f32_e32 v4, v4, v7
	s_or_b32 exec_lo, exec_lo, s0
	s_and_saveexec_b32 s0, vcc_lo
	s_cbranch_execz .LBB144_50
.LBB144_67:
	ds_read_b32 v7, v5 offset:32
	s_waitcnt lgkmcnt(0)
	v_add_f32_e32 v3, v3, v7
	s_or_b32 exec_lo, exec_lo, s0
	s_and_saveexec_b32 s0, vcc_lo
	s_cbranch_execz .LBB144_51
.LBB144_68:
	ds_read_b32 v7, v5 offset:64
	s_waitcnt lgkmcnt(0)
	v_add_f32_e32 v2, v2, v7
	s_or_b32 exec_lo, exec_lo, s0
	s_and_saveexec_b32 s0, vcc_lo
	s_cbranch_execnz .LBB144_52
	s_branch .LBB144_53
.LBB144_69:
	ds_read_b32 v6, v5
	s_waitcnt lgkmcnt(0)
	v_add_f32_e32 v4, v4, v6
	s_or_b32 exec_lo, exec_lo, s0
	s_and_saveexec_b32 s0, vcc_lo
	s_cbranch_execz .LBB144_59
.LBB144_70:
	ds_read_b32 v6, v5 offset:32
	s_waitcnt lgkmcnt(0)
	v_add_f32_e32 v3, v3, v6
	s_or_b32 exec_lo, exec_lo, s0
	s_and_saveexec_b32 s0, vcc_lo
	s_cbranch_execz .LBB144_60
.LBB144_71:
	ds_read_b32 v6, v5 offset:64
	s_waitcnt lgkmcnt(0)
	v_add_f32_e32 v2, v2, v6
	s_or_b32 exec_lo, exec_lo, s0
	s_and_saveexec_b32 s0, vcc_lo
	s_cbranch_execnz .LBB144_61
	s_branch .LBB144_62
	.section	.rodata,"a",@progbits
	.p2align	6, 0x0
	.amdhsa_kernel _ZN4vllm25paged_attention_v1_kernelI14__hip_bfloat16S1_Li32ELi32ELi128ELNS_18Fp8KVCacheDataTypeE0ELb1EEEvPT_PKS3_PKT0_S9_ifPKiSB_iPKfiiiSD_SD_iiiii
		.amdhsa_group_segment_fixed_size 96
		.amdhsa_private_segment_fixed_size 0
		.amdhsa_kernarg_size 384
		.amdhsa_user_sgpr_count 6
		.amdhsa_user_sgpr_private_segment_buffer 1
		.amdhsa_user_sgpr_dispatch_ptr 0
		.amdhsa_user_sgpr_queue_ptr 0
		.amdhsa_user_sgpr_kernarg_segment_ptr 1
		.amdhsa_user_sgpr_dispatch_id 0
		.amdhsa_user_sgpr_flat_scratch_init 0
		.amdhsa_user_sgpr_private_segment_size 0
		.amdhsa_wavefront_size32 1
		.amdhsa_uses_dynamic_stack 0
		.amdhsa_system_sgpr_private_segment_wavefront_offset 0
		.amdhsa_system_sgpr_workgroup_id_x 1
		.amdhsa_system_sgpr_workgroup_id_y 1
		.amdhsa_system_sgpr_workgroup_id_z 1
		.amdhsa_system_sgpr_workgroup_info 0
		.amdhsa_system_vgpr_workitem_id 0
		.amdhsa_next_free_vgpr 82
		.amdhsa_next_free_sgpr 38
		.amdhsa_reserve_vcc 1
		.amdhsa_reserve_flat_scratch 0
		.amdhsa_float_round_mode_32 0
		.amdhsa_float_round_mode_16_64 0
		.amdhsa_float_denorm_mode_32 3
		.amdhsa_float_denorm_mode_16_64 3
		.amdhsa_dx10_clamp 1
		.amdhsa_ieee_mode 1
		.amdhsa_fp16_overflow 0
		.amdhsa_workgroup_processor_mode 1
		.amdhsa_memory_ordered 1
		.amdhsa_forward_progress 1
		.amdhsa_shared_vgpr_count 0
		.amdhsa_exception_fp_ieee_invalid_op 0
		.amdhsa_exception_fp_denorm_src 0
		.amdhsa_exception_fp_ieee_div_zero 0
		.amdhsa_exception_fp_ieee_overflow 0
		.amdhsa_exception_fp_ieee_underflow 0
		.amdhsa_exception_fp_ieee_inexact 0
		.amdhsa_exception_int_div_zero 0
	.end_amdhsa_kernel
	.section	.text._ZN4vllm25paged_attention_v1_kernelI14__hip_bfloat16S1_Li32ELi32ELi128ELNS_18Fp8KVCacheDataTypeE0ELb1EEEvPT_PKS3_PKT0_S9_ifPKiSB_iPKfiiiSD_SD_iiiii,"axG",@progbits,_ZN4vllm25paged_attention_v1_kernelI14__hip_bfloat16S1_Li32ELi32ELi128ELNS_18Fp8KVCacheDataTypeE0ELb1EEEvPT_PKS3_PKT0_S9_ifPKiSB_iPKfiiiSD_SD_iiiii,comdat
.Lfunc_end144:
	.size	_ZN4vllm25paged_attention_v1_kernelI14__hip_bfloat16S1_Li32ELi32ELi128ELNS_18Fp8KVCacheDataTypeE0ELb1EEEvPT_PKS3_PKT0_S9_ifPKiSB_iPKfiiiSD_SD_iiiii, .Lfunc_end144-_ZN4vllm25paged_attention_v1_kernelI14__hip_bfloat16S1_Li32ELi32ELi128ELNS_18Fp8KVCacheDataTypeE0ELb1EEEvPT_PKS3_PKT0_S9_ifPKiSB_iPKfiiiSD_SD_iiiii
                                        ; -- End function
	.set _ZN4vllm25paged_attention_v1_kernelI14__hip_bfloat16S1_Li32ELi32ELi128ELNS_18Fp8KVCacheDataTypeE0ELb1EEEvPT_PKS3_PKT0_S9_ifPKiSB_iPKfiiiSD_SD_iiiii.num_vgpr, 82
	.set _ZN4vllm25paged_attention_v1_kernelI14__hip_bfloat16S1_Li32ELi32ELi128ELNS_18Fp8KVCacheDataTypeE0ELb1EEEvPT_PKS3_PKT0_S9_ifPKiSB_iPKfiiiSD_SD_iiiii.num_agpr, 0
	.set _ZN4vllm25paged_attention_v1_kernelI14__hip_bfloat16S1_Li32ELi32ELi128ELNS_18Fp8KVCacheDataTypeE0ELb1EEEvPT_PKS3_PKT0_S9_ifPKiSB_iPKfiiiSD_SD_iiiii.numbered_sgpr, 38
	.set _ZN4vllm25paged_attention_v1_kernelI14__hip_bfloat16S1_Li32ELi32ELi128ELNS_18Fp8KVCacheDataTypeE0ELb1EEEvPT_PKS3_PKT0_S9_ifPKiSB_iPKfiiiSD_SD_iiiii.num_named_barrier, 0
	.set _ZN4vllm25paged_attention_v1_kernelI14__hip_bfloat16S1_Li32ELi32ELi128ELNS_18Fp8KVCacheDataTypeE0ELb1EEEvPT_PKS3_PKT0_S9_ifPKiSB_iPKfiiiSD_SD_iiiii.private_seg_size, 0
	.set _ZN4vllm25paged_attention_v1_kernelI14__hip_bfloat16S1_Li32ELi32ELi128ELNS_18Fp8KVCacheDataTypeE0ELb1EEEvPT_PKS3_PKT0_S9_ifPKiSB_iPKfiiiSD_SD_iiiii.uses_vcc, 1
	.set _ZN4vllm25paged_attention_v1_kernelI14__hip_bfloat16S1_Li32ELi32ELi128ELNS_18Fp8KVCacheDataTypeE0ELb1EEEvPT_PKS3_PKT0_S9_ifPKiSB_iPKfiiiSD_SD_iiiii.uses_flat_scratch, 0
	.set _ZN4vllm25paged_attention_v1_kernelI14__hip_bfloat16S1_Li32ELi32ELi128ELNS_18Fp8KVCacheDataTypeE0ELb1EEEvPT_PKS3_PKT0_S9_ifPKiSB_iPKfiiiSD_SD_iiiii.has_dyn_sized_stack, 0
	.set _ZN4vllm25paged_attention_v1_kernelI14__hip_bfloat16S1_Li32ELi32ELi128ELNS_18Fp8KVCacheDataTypeE0ELb1EEEvPT_PKS3_PKT0_S9_ifPKiSB_iPKfiiiSD_SD_iiiii.has_recursion, 0
	.set _ZN4vllm25paged_attention_v1_kernelI14__hip_bfloat16S1_Li32ELi32ELi128ELNS_18Fp8KVCacheDataTypeE0ELb1EEEvPT_PKS3_PKT0_S9_ifPKiSB_iPKfiiiSD_SD_iiiii.has_indirect_call, 0
	.section	.AMDGPU.csdata,"",@progbits
; Kernel info:
; codeLenInByte = 7436
; TotalNumSgprs: 40
; NumVgprs: 82
; ScratchSize: 0
; MemoryBound: 0
; FloatMode: 240
; IeeeMode: 1
; LDSByteSize: 96 bytes/workgroup (compile time only)
; SGPRBlocks: 0
; VGPRBlocks: 10
; NumSGPRsForWavesPerEU: 40
; NumVGPRsForWavesPerEU: 82
; Occupancy: 10
; WaveLimiterHint : 1
; COMPUTE_PGM_RSRC2:SCRATCH_EN: 0
; COMPUTE_PGM_RSRC2:USER_SGPR: 6
; COMPUTE_PGM_RSRC2:TRAP_HANDLER: 0
; COMPUTE_PGM_RSRC2:TGID_X_EN: 1
; COMPUTE_PGM_RSRC2:TGID_Y_EN: 1
; COMPUTE_PGM_RSRC2:TGID_Z_EN: 1
; COMPUTE_PGM_RSRC2:TIDIG_COMP_CNT: 0
	.section	.text._ZN4vllm25paged_attention_v1_kernelI14__hip_bfloat16S1_Li64ELi32ELi128ELNS_18Fp8KVCacheDataTypeE0ELb1EEEvPT_PKS3_PKT0_S9_ifPKiSB_iPKfiiiSD_SD_iiiii,"axG",@progbits,_ZN4vllm25paged_attention_v1_kernelI14__hip_bfloat16S1_Li64ELi32ELi128ELNS_18Fp8KVCacheDataTypeE0ELb1EEEvPT_PKS3_PKT0_S9_ifPKiSB_iPKfiiiSD_SD_iiiii,comdat
	.protected	_ZN4vllm25paged_attention_v1_kernelI14__hip_bfloat16S1_Li64ELi32ELi128ELNS_18Fp8KVCacheDataTypeE0ELb1EEEvPT_PKS3_PKT0_S9_ifPKiSB_iPKfiiiSD_SD_iiiii ; -- Begin function _ZN4vllm25paged_attention_v1_kernelI14__hip_bfloat16S1_Li64ELi32ELi128ELNS_18Fp8KVCacheDataTypeE0ELb1EEEvPT_PKS3_PKT0_S9_ifPKiSB_iPKfiiiSD_SD_iiiii
	.globl	_ZN4vllm25paged_attention_v1_kernelI14__hip_bfloat16S1_Li64ELi32ELi128ELNS_18Fp8KVCacheDataTypeE0ELb1EEEvPT_PKS3_PKT0_S9_ifPKiSB_iPKfiiiSD_SD_iiiii
	.p2align	8
	.type	_ZN4vllm25paged_attention_v1_kernelI14__hip_bfloat16S1_Li64ELi32ELi128ELNS_18Fp8KVCacheDataTypeE0ELb1EEEvPT_PKS3_PKT0_S9_ifPKiSB_iPKfiiiSD_SD_iiiii,@function
_ZN4vllm25paged_attention_v1_kernelI14__hip_bfloat16S1_Li64ELi32ELi128ELNS_18Fp8KVCacheDataTypeE0ELb1EEEvPT_PKS3_PKT0_S9_ifPKiSB_iPKfiiiSD_SD_iiiii: ; @_ZN4vllm25paged_attention_v1_kernelI14__hip_bfloat16S1_Li64ELi32ELi128ELNS_18Fp8KVCacheDataTypeE0ELb1EEEvPT_PKS3_PKT0_S9_ifPKiSB_iPKfiiiSD_SD_iiiii
; %bb.0:
	s_clause 0x2
	s_load_dword s9, s[4:5], 0x80
	s_load_dwordx2 s[0:1], s[4:5], 0x30
	s_load_dwordx2 s[2:3], s[4:5], 0x20
	s_mov_b32 s10, s7
	s_ashr_i32 s11, s7, 31
	s_mov_b32 s31, 0
	s_lshl_b64 s[12:13], s[10:11], 2
	s_waitcnt lgkmcnt(0)
	s_add_u32 s0, s0, s12
	s_addc_u32 s1, s1, s13
	s_abs_i32 s7, s2
	s_abs_i32 s13, s9
	v_cvt_f32_u32_e32 v1, s7
	s_sub_i32 s12, 0, s7
	v_rcp_iflag_f32_e32 v1, v1
	v_mul_f32_e32 v1, 0x4f7ffffe, v1
	v_cvt_u32_f32_e32 v1, v1
	v_readfirstlane_b32 s11, v1
	s_mul_i32 s12, s12, s11
	s_mul_hi_u32 s12, s11, s12
	s_add_i32 s11, s11, s12
	s_xor_b32 s12, s9, s2
	s_mul_hi_u32 s11, s13, s11
	s_ashr_i32 s12, s12, 31
	s_mul_i32 s14, s11, s7
	s_sub_i32 s13, s13, s14
	s_add_i32 s14, s11, 1
	s_sub_i32 s15, s13, s7
	s_cmp_ge_u32 s13, s7
	s_cselect_b32 s11, s14, s11
	s_cselect_b32 s13, s15, s13
	s_add_i32 s14, s11, 1
	s_cmp_ge_u32 s13, s7
	s_cselect_b32 s7, s14, s11
	s_abs_i32 s22, s6
	s_xor_b32 s7, s7, s12
	s_sub_i32 s16, s7, s12
	s_load_dwordx2 s[12:13], s[4:5], 0x40
	s_abs_i32 s11, s16
	v_cvt_f32_u32_e32 v1, s11
	s_sub_i32 s14, 0, s11
	v_rcp_iflag_f32_e32 v1, v1
	v_mul_f32_e32 v1, 0x4f7ffffe, v1
	v_cvt_u32_f32_e32 v1, v1
	v_readfirstlane_b32 s7, v1
	s_mul_i32 s14, s14, s7
	s_mul_hi_u32 s14, s7, s14
	s_add_i32 s7, s7, s14
	s_waitcnt lgkmcnt(0)
	s_cmp_eq_u64 s[12:13], 0
	s_mul_hi_u32 s23, s22, s7
	s_cbranch_scc1 .LBB145_2
; %bb.1:
	s_ashr_i32 s7, s6, 31
	s_lshl_b64 s[14:15], s[6:7], 2
	s_add_u32 s12, s12, s14
	s_addc_u32 s13, s13, s15
	s_load_dword s31, s[12:13], 0x0
.LBB145_2:
	s_load_dword s28, s[0:1], 0x0
	s_load_dwordx4 s[12:15], s[4:5], 0x48
	v_lshlrev_b32_e32 v35, 4, v0
	s_ashr_i32 s0, s6, 31
	s_ashr_i32 s1, s16, 31
	s_lshl_b32 s20, s6, 6
	s_mov_b32 s7, exec_lo
	v_cmpx_gt_u32_e32 8, v0
	s_cbranch_execz .LBB145_4
; %bb.3:
	s_load_dwordx2 s[16:17], s[4:5], 0x8
	s_waitcnt lgkmcnt(0)
	s_mul_i32 s18, s12, s10
	s_ashr_i32 s19, s18, 31
	s_lshl_b64 s[18:19], s[18:19], 1
	s_add_u32 s12, s16, s18
	s_addc_u32 s15, s17, s19
	s_ashr_i32 s21, s20, 31
	s_lshl_b64 s[16:17], s[20:21], 1
	s_add_u32 s16, s12, s16
	s_addc_u32 s17, s15, s17
	global_load_dwordx4 v[1:4], v35, s[16:17]
	s_waitcnt vmcnt(0)
	ds_write_b128 v35, v[1:4]
.LBB145_4:
	s_or_b32 exec_lo, exec_lo, s7
	s_load_dwordx4 s[16:19], s[4:5], 0x68
	s_mul_i32 s7, s23, s11
	s_xor_b32 s1, s0, s1
	s_sub_i32 s0, s22, s7
	s_add_i32 s7, s23, 1
	s_waitcnt lgkmcnt(0)
	s_sub_i32 s12, s0, s11
	s_cmp_ge_u32 s0, s11
	s_mov_b32 s24, -1
	s_cselect_b32 s7, s7, s23
	s_cselect_b32 s0, s12, s0
	s_add_i32 s12, s7, 1
	s_cmp_ge_u32 s0, s11
	s_load_dword s0, s[4:5], 0x78
	s_cselect_b32 s7, s12, s7
	s_add_i32 s11, s28, -1
	s_xor_b32 s7, s7, s1
	s_waitcnt lgkmcnt(0)
	s_sub_i32 s1, s7, s1
	s_barrier
	buffer_gl0_inv
	s_abs_i32 s12, s19
                                        ; implicit-def: $sgpr29
	v_cvt_f32_u32_e32 v1, s12
	s_sub_i32 s7, 0, s12
	v_rcp_iflag_f32_e32 v1, v1
	v_mul_f32_e32 v1, 0x4f7ffffe, v1
	v_cvt_u32_f32_e32 v1, v1
	v_readfirstlane_b32 s21, v1
	s_mul_i32 s7, s7, s21
	s_mul_hi_u32 s15, s21, s7
	s_abs_i32 s7, s11
	s_add_i32 s21, s21, s15
	s_cmp_lt_i32 s0, 0
	s_mul_hi_u32 s15, s7, s21
	s_cbranch_scc0 .LBB145_6
; %bb.5:
	s_mul_i32 s2, s16, s2
	s_mov_b32 s24, 0
	s_add_i32 s2, s1, s2
	s_mul_i32 s2, s2, s0
	s_sub_i32 s29, 1, s2
.LBB145_6:
	s_load_dwordx2 s[22:23], s[4:5], 0x28
	s_ashr_i32 s2, s11, 31
	s_andn2_b32 vcc_lo, exec_lo, s24
	s_ashr_i32 s19, s19, 31
	s_cbranch_vccnz .LBB145_8
; %bb.7:
	s_mul_i32 s11, s9, s16
	s_add_i32 s6, s11, s6
	s_mul_i32 s0, s6, s0
	s_add_i32 s29, s0, 1
.LBB145_8:
	s_load_dword s0, s[4:5], 0x38
	s_mul_i32 s6, s15, s12
	s_xor_b32 s2, s2, s19
	s_sub_i32 s30, s7, s6
	s_add_i32 s16, s15, 1
	s_clause 0x2
	s_load_dwordx2 s[6:7], s[4:5], 0x0
	s_load_dwordx2 s[26:27], s[4:5], 0x18
	s_load_dword s11, s[4:5], 0x88
	v_lshrrev_b32_e32 v43, 5, v0
	v_and_b32_e32 v44, 31, v0
	v_mov_b32_e32 v99, 0xff7fffff
	v_lshrrev_b32_e32 v36, 3, v0
	s_mul_i32 s14, s1, s14
	v_lshlrev_b32_e32 v45, 5, v43
	v_lshlrev_b32_e32 v37, 2, v44
	s_waitcnt lgkmcnt(0)
	s_mul_i32 s24, s0, s10
	s_sub_i32 s0, s30, s12
	s_ashr_i32 s25, s24, 31
	s_cmp_ge_u32 s30, s12
	s_cselect_b32 s15, s16, s15
	s_cselect_b32 s0, s0, s30
	s_add_i32 s16, s15, 1
	s_cmp_ge_u32 s0, s12
	s_cselect_b32 s0, s16, s15
	s_add_i32 s15, s28, 31
	s_ashr_i32 s16, s15, 31
	s_lshr_b32 s16, s16, 27
	s_add_i32 s15, s15, s16
	s_ashr_i32 s16, s15, 5
	s_xor_b32 s15, s0, s2
	v_cmp_gt_i32_e64 s0, s16, v43
	s_sub_i32 s30, s15, s2
	s_and_saveexec_b32 s33, s0
	s_cbranch_execz .LBB145_16
; %bb.9:
	s_load_dwordx2 s[34:35], s[4:5], 0x10
	v_mov_b32_e32 v29, 0
	s_ashr_i32 s15, s14, 31
	s_sub_i32 s4, s30, s17
	s_lshl_b64 s[36:37], s[14:15], 1
	ds_read_b128 v[1:4], v29
	ds_read_b128 v[5:8], v29 offset:16
	ds_read_b128 v[9:12], v29 offset:32
	;; [unrolled: 1-line block ×6, first 2 shown]
	v_cmp_neq_f32_e64 vcc_lo, s31, 0
	v_lshlrev_b32_e32 v111, 5, v43
	v_mov_b32_e32 v112, 0xff7fffff
	v_mov_b32_e32 v99, 0xff7fffff
	;; [unrolled: 1-line block ×3, first 2 shown]
	s_waitcnt lgkmcnt(0)
	s_add_u32 s1, s34, s36
	s_addc_u32 s2, s35, s37
	s_abs_i32 s5, s18
	v_and_b32_e32 v38, 0xffff0000, v1
	v_lshlrev_b32_e32 v39, 16, v1
	v_cvt_f32_u32_e32 v1, s5
	v_and_b32_e32 v40, 0xffff0000, v5
	v_lshlrev_b32_e32 v41, 16, v5
	v_and_b32_e32 v53, 0xffff0000, v2
	v_lshlrev_b32_e32 v54, 16, v2
	v_rcp_iflag_f32_e32 v5, v1
	v_and_b32_e32 v65, 0xffff0000, v3
	v_lshlrev_b32_e32 v66, 16, v3
	v_and_b32_e32 v67, 0xffff0000, v4
	v_lshlrev_b32_e32 v68, 16, v4
	ds_read_b128 v[1:4], v29 offset:112
	s_sub_i32 s15, 0, s5
	v_and_b32_e32 v55, 0xffff0000, v6
	v_lshlrev_b32_e32 v56, 16, v6
	s_lshl_b64 s[34:35], s[24:25], 2
	v_mul_f32_e32 v5, 0x4f7ffffe, v5
	v_and_b32_e32 v42, 0xffff0000, v9
	v_lshlrev_b32_e32 v46, 16, v9
	v_and_b32_e32 v47, 0xffff0000, v13
	v_lshlrev_b32_e32 v48, 16, v13
	v_cvt_u32_f32_e32 v5, v5
	v_and_b32_e32 v49, 0xffff0000, v17
	v_lshlrev_b32_e32 v50, 16, v17
	v_and_b32_e32 v51, 0xffff0000, v21
	v_lshlrev_b32_e32 v52, 16, v21
	v_mul_lo_u32 v6, s15, v5
	s_add_u32 s15, s22, s34
	s_addc_u32 s34, s23, s35
	v_and_b32_e32 v57, 0xffff0000, v10
	v_lshlrev_b32_e32 v58, 16, v10
	s_waitcnt lgkmcnt(0)
	v_and_b32_e32 v97, 0xffff0000, v1
	v_lshlrev_b32_e32 v98, 16, v1
	v_and_b32_e32 v104, 0xffff0000, v4
	v_mul_hi_u32 v6, v5, v6
	v_lshlrev_b32_e32 v105, 16, v4
	v_and_b32_e32 v1, 0x7c, v36
	v_lshlrev_b32_e32 v4, 4, v44
	v_and_b32_e32 v100, 0xffff0000, v2
	;; [unrolled: 2-line block ×3, first 2 shown]
	v_lshlrev_b32_e32 v103, 16, v3
	v_subrev_nc_u32_e32 v2, s28, v44
	v_lshl_or_b32 v3, v43, 7, v37
	v_add_co_u32 v33, s15, s15, v1
	v_add_co_u32 v109, s1, s1, v4
	v_and_b32_e32 v59, 0xffff0000, v14
	v_lshlrev_b32_e32 v60, 16, v14
	v_and_b32_e32 v61, 0xffff0000, v18
	v_lshlrev_b32_e32 v62, 16, v18
	;; [unrolled: 2-line block ×17, first 2 shown]
	v_add_nc_u32_e32 v106, v5, v6
	v_add_co_ci_u32_e64 v34, null, s34, 0, s15
	v_add_nc_u32_e32 v107, 1, v2
	v_add_nc_u32_e32 v108, 0xa0, v3
	v_add_co_ci_u32_e64 v110, null, s2, 0, s1
	s_mov_b32 s34, s13
	s_mov_b32 s15, 0
	s_branch .LBB145_11
.LBB145_10:                             ;   in Loop: Header=BB145_11 Depth=1
	s_or_b32 exec_lo, exec_lo, s35
	v_add_nc_u32_e32 v113, 4, v113
	v_add_co_u32 v33, s2, v33, 16
	v_add_co_ci_u32_e64 v34, null, 0, v34, s2
	v_cmp_le_i32_e64 s1, s16, v113
	v_add_nc_u32_e32 v111, 0x80, v111
	v_add_nc_u32_e32 v108, 0x200, v108
	s_or_b32 s15, s1, s15
	s_andn2_b32 exec_lo, exec_lo, s15
	s_cbranch_execz .LBB145_15
.LBB145_11:                             ; =>This Inner Loop Header: Depth=1
	v_mul_hi_u32 v1, v111, s21
	v_mul_lo_u32 v2, v1, s12
	v_add_nc_u32_e32 v3, 1, v1
	v_sub_nc_u32_e32 v2, v111, v2
	v_subrev_nc_u32_e32 v4, s12, v2
	v_cmp_le_u32_e64 s1, s12, v2
	v_cndmask_b32_e64 v1, v1, v3, s1
	v_cndmask_b32_e64 v2, v2, v4, s1
	v_add_nc_u32_e32 v3, 1, v1
	v_cmp_le_u32_e64 s1, s12, v2
	v_cndmask_b32_e64 v1, v1, v3, s1
	v_xor_b32_e32 v1, s19, v1
	v_subrev_nc_u32_e32 v1, s19, v1
	v_add_nc_u32_e32 v2, s29, v1
	v_cmp_ge_i32_e64 s2, s4, v1
	v_sub_nc_u32_e32 v3, 0, v2
	v_max_i32_e32 v3, v2, v3
	v_ashrrev_i32_e32 v2, 31, v2
	v_mul_hi_u32 v4, v3, v106
	v_mul_lo_u32 v4, v4, s5
	v_sub_nc_u32_e32 v3, v3, v4
	v_subrev_nc_u32_e32 v4, s5, v3
	v_cmp_le_u32_e64 s1, s5, v3
	v_cndmask_b32_e64 v3, v3, v4, s1
	v_subrev_nc_u32_e32 v4, s5, v3
	v_cmp_le_u32_e64 s1, s5, v3
	v_cndmask_b32_e64 v3, v3, v4, s1
	v_xor_b32_e32 v3, v3, v2
	v_sub_nc_u32_e32 v2, v3, v2
	v_cmp_ne_u32_e64 s1, 0, v2
	s_and_b32 s1, s1, s2
	s_and_saveexec_b32 s2, s1
	s_xor_b32 s1, exec_lo, s2
; %bb.12:                               ;   in Loop: Header=BB145_11 Depth=1
	ds_write_b32 v108, v112
; %bb.13:                               ;   in Loop: Header=BB145_11 Depth=1
	s_andn2_saveexec_b32 s35, s1
	s_cbranch_execz .LBB145_10
; %bb.14:                               ;   in Loop: Header=BB145_11 Depth=1
	global_load_dword v1, v[33:34], off
	v_add_nc_u32_e32 v4, v107, v111
	v_add_nc_u32_e32 v3, v44, v111
	v_cvt_f32_i32_e32 v4, v4
	v_mul_f32_e32 v4, s31, v4
	v_cndmask_b32_e32 v114, 0, v4, vcc_lo
	s_waitcnt vmcnt(0)
	v_mad_i64_i32 v[1:2], null, v1, s34, 0
	v_lshlrev_b64 v[1:2], 1, v[1:2]
	v_add_co_u32 v1, s1, v109, v1
	v_add_co_ci_u32_e64 v2, null, v110, v2, s1
	v_cmp_gt_i32_e64 s1, s28, v3
	s_clause 0x3
	global_load_dwordx4 v[29:32], v[1:2], off
	global_load_dwordx4 v[25:28], v[1:2], off offset:512
	global_load_dwordx4 v[21:24], v[1:2], off offset:1024
	;; [unrolled: 1-line block ×3, first 2 shown]
	v_add_co_u32 v1, s2, 0x800, v1
	v_add_co_ci_u32_e64 v2, null, 0, v2, s2
	s_clause 0x3
	global_load_dwordx4 v[13:16], v[1:2], off
	global_load_dwordx4 v[9:12], v[1:2], off offset:512
	global_load_dwordx4 v[5:8], v[1:2], off offset:1024
	;; [unrolled: 1-line block ×3, first 2 shown]
	s_waitcnt vmcnt(7)
	v_lshlrev_b32_e32 v115, 16, v29
	v_and_b32_e32 v116, 0xffff0000, v29
	s_waitcnt vmcnt(6)
	v_and_b32_e32 v29, 0xffff0000, v25
	v_lshlrev_b32_e32 v25, 16, v25
	v_mul_f32_e32 v29, v40, v29
	v_mul_f32_e32 v25, v41, v25
	v_fmac_f32_e32 v29, v38, v116
	v_fmac_f32_e32 v25, v39, v115
	s_waitcnt vmcnt(5)
	v_and_b32_e32 v115, 0xffff0000, v21
	v_lshlrev_b32_e32 v21, 16, v21
	v_fmac_f32_e32 v29, v42, v115
	v_fmac_f32_e32 v25, v46, v21
	s_waitcnt vmcnt(4)
	v_lshlrev_b32_e32 v21, 16, v17
	v_and_b32_e32 v17, 0xffff0000, v17
	v_fmac_f32_e32 v25, v48, v21
	v_fmac_f32_e32 v29, v47, v17
	s_waitcnt vmcnt(3)
	v_and_b32_e32 v17, 0xffff0000, v13
	v_lshlrev_b32_e32 v13, 16, v13
	v_fmac_f32_e32 v29, v49, v17
	v_fmac_f32_e32 v25, v50, v13
	s_waitcnt vmcnt(2)
	v_lshlrev_b32_e32 v13, 16, v9
	v_and_b32_e32 v9, 0xffff0000, v9
	v_fmac_f32_e32 v25, v52, v13
	v_fmac_f32_e32 v29, v51, v9
	s_waitcnt vmcnt(1)
	v_and_b32_e32 v9, 0xffff0000, v5
	v_lshlrev_b32_e32 v5, 16, v5
	v_and_b32_e32 v13, 0xffff0000, v30
	v_fmac_f32_e32 v29, v89, v9
	v_fmac_f32_e32 v25, v90, v5
	s_waitcnt vmcnt(0)
	v_lshlrev_b32_e32 v5, 16, v1
	v_and_b32_e32 v1, 0xffff0000, v1
	v_lshlrev_b32_e32 v9, 16, v30
	v_fmac_f32_e32 v25, v98, v5
	v_fmac_f32_e32 v29, v97, v1
	v_and_b32_e32 v1, 0xffff0000, v26
	v_lshlrev_b32_e32 v5, 16, v26
	v_mul_f32_e32 v1, v55, v1
	v_mul_f32_e32 v5, v56, v5
	v_fmac_f32_e32 v1, v53, v13
	v_fmac_f32_e32 v5, v54, v9
	v_and_b32_e32 v9, 0xffff0000, v22
	v_lshlrev_b32_e32 v13, 16, v22
	v_fmac_f32_e32 v1, v57, v9
	v_fmac_f32_e32 v5, v58, v13
	v_lshlrev_b32_e32 v9, 16, v18
	v_and_b32_e32 v13, 0xffff0000, v18
	v_fmac_f32_e32 v5, v60, v9
	v_fmac_f32_e32 v1, v59, v13
	v_and_b32_e32 v9, 0xffff0000, v14
	v_lshlrev_b32_e32 v13, 16, v14
	v_fmac_f32_e32 v1, v61, v9
	v_fmac_f32_e32 v5, v62, v13
	v_lshlrev_b32_e32 v9, 16, v10
	v_and_b32_e32 v10, 0xffff0000, v10
	v_fmac_f32_e32 v5, v64, v9
	v_fmac_f32_e32 v1, v63, v10
	v_and_b32_e32 v9, 0xffff0000, v6
	v_lshlrev_b32_e32 v6, 16, v6
	v_and_b32_e32 v10, 0xffff0000, v31
	v_fmac_f32_e32 v1, v91, v9
	v_fmac_f32_e32 v5, v92, v6
	v_lshlrev_b32_e32 v6, 16, v2
	v_and_b32_e32 v2, 0xffff0000, v2
	v_lshlrev_b32_e32 v9, 16, v31
	v_fmac_f32_e32 v5, v101, v6
	v_fmac_f32_e32 v1, v100, v2
	v_and_b32_e32 v2, 0xffff0000, v27
	v_lshlrev_b32_e32 v6, 16, v27
	v_mul_f32_e32 v2, v69, v2
	v_mul_f32_e32 v6, v70, v6
	v_fmac_f32_e32 v2, v65, v10
	v_fmac_f32_e32 v6, v66, v9
	v_and_b32_e32 v9, 0xffff0000, v23
	v_lshlrev_b32_e32 v10, 16, v23
	v_fmac_f32_e32 v2, v73, v9
	v_fmac_f32_e32 v6, v74, v10
	v_lshlrev_b32_e32 v9, 16, v19
	v_and_b32_e32 v10, 0xffff0000, v19
	v_fmac_f32_e32 v6, v78, v9
	v_fmac_f32_e32 v2, v77, v10
	v_and_b32_e32 v9, 0xffff0000, v15
	v_lshlrev_b32_e32 v10, 16, v15
	v_fmac_f32_e32 v2, v81, v9
	v_fmac_f32_e32 v6, v82, v10
	v_lshlrev_b32_e32 v9, 16, v11
	v_and_b32_e32 v10, 0xffff0000, v11
	v_fmac_f32_e32 v6, v86, v9
	v_fmac_f32_e32 v2, v85, v10
	v_and_b32_e32 v9, 0xffff0000, v7
	v_lshlrev_b32_e32 v7, 16, v7
	v_and_b32_e32 v10, 0xffff0000, v32
	v_fmac_f32_e32 v2, v93, v9
	v_fmac_f32_e32 v6, v94, v7
	v_lshlrev_b32_e32 v7, 16, v3
	v_and_b32_e32 v3, 0xffff0000, v3
	v_lshlrev_b32_e32 v9, 16, v32
	v_fmac_f32_e32 v6, v103, v7
	v_fmac_f32_e32 v2, v102, v3
	v_and_b32_e32 v3, 0xffff0000, v28
	v_lshlrev_b32_e32 v7, 16, v28
	v_mul_f32_e32 v3, v71, v3
	v_mul_f32_e32 v7, v72, v7
	v_fmac_f32_e32 v3, v67, v10
	v_fmac_f32_e32 v7, v68, v9
	v_and_b32_e32 v9, 0xffff0000, v24
	v_lshlrev_b32_e32 v10, 16, v24
	v_fmac_f32_e32 v3, v75, v9
	v_fmac_f32_e32 v7, v76, v10
	v_lshlrev_b32_e32 v9, 16, v20
	v_and_b32_e32 v10, 0xffff0000, v20
	v_fmac_f32_e32 v7, v80, v9
	v_fmac_f32_e32 v3, v79, v10
	v_and_b32_e32 v9, 0xffff0000, v16
	v_lshlrev_b32_e32 v10, 16, v16
	v_fmac_f32_e32 v3, v83, v9
	v_fmac_f32_e32 v7, v84, v10
	v_lshlrev_b32_e32 v9, 16, v12
	v_and_b32_e32 v10, 0xffff0000, v12
	v_fmac_f32_e32 v7, v88, v9
	v_fmac_f32_e32 v3, v87, v10
	v_and_b32_e32 v9, 0xffff0000, v8
	v_lshlrev_b32_e32 v8, 16, v8
	v_fmac_f32_e32 v3, v95, v9
	v_fmac_f32_e32 v7, v96, v8
	v_lshlrev_b32_e32 v8, 16, v4
	v_and_b32_e32 v4, 0xffff0000, v4
	v_fmac_f32_e32 v7, v105, v8
	v_fmac_f32_e32 v3, v104, v4
	v_add_f32_e32 v4, v25, v29
	v_add_f32_e32 v4, v4, v5
	;; [unrolled: 1-line block ×5, first 2 shown]
	v_max_f32_e32 v2, v99, v99
	v_add_f32_e32 v1, v7, v1
	v_add_f32_e32 v1, v3, v1
	v_fmac_f32_e32 v114, s3, v1
	v_max_f32_e32 v2, v2, v114
	v_cndmask_b32_e64 v1, 0, v114, s1
	v_cndmask_b32_e64 v99, v99, v2, s1
	ds_write_b32 v108, v1
	s_branch .LBB145_10
.LBB145_15:
	s_or_b32 exec_lo, exec_lo, s15
.LBB145_16:
	s_or_b32 exec_lo, exec_lo, s33
	v_mbcnt_lo_u32_b32 v2, -1, 0
	v_max_f32_e32 v5, v99, v99
	v_xor_b32_e32 v1, 16, v2
	v_xor_b32_e32 v4, 8, v2
	v_cmp_gt_i32_e32 vcc_lo, 32, v1
	v_cndmask_b32_e32 v1, v2, v1, vcc_lo
	v_cmp_gt_i32_e32 vcc_lo, 32, v4
	v_lshlrev_b32_e32 v1, 2, v1
	v_cndmask_b32_e32 v4, v2, v4, vcc_lo
	ds_bpermute_b32 v3, v1, v99
	s_waitcnt lgkmcnt(0)
	v_max_f32_e32 v6, v3, v3
	v_lshlrev_b32_e32 v3, 2, v4
	v_max_f32_e32 v5, v5, v6
	v_xor_b32_e32 v6, 4, v2
	ds_bpermute_b32 v4, v3, v5
	v_cmp_gt_i32_e32 vcc_lo, 32, v6
	v_cndmask_b32_e32 v6, v2, v6, vcc_lo
	s_waitcnt lgkmcnt(0)
	v_max_f32_e32 v7, v4, v4
	v_lshlrev_b32_e32 v4, 2, v6
	v_max_f32_e32 v5, v5, v7
	v_xor_b32_e32 v7, 2, v2
	ds_bpermute_b32 v6, v4, v5
	v_cmp_gt_i32_e32 vcc_lo, 32, v7
	v_cndmask_b32_e32 v7, v2, v7, vcc_lo
	v_lshlrev_b32_e32 v47, 2, v7
	v_xor_b32_e32 v7, 1, v2
	v_cmp_gt_i32_e32 vcc_lo, 32, v7
	s_waitcnt lgkmcnt(0)
	v_max_f32_e32 v6, v6, v6
	v_cndmask_b32_e32 v7, v2, v7, vcc_lo
	v_cmp_eq_u32_e32 vcc_lo, 0, v44
	v_max_f32_e32 v5, v5, v6
	v_lshlrev_b32_e32 v46, 2, v7
	ds_bpermute_b32 v6, v47, v5
	s_waitcnt lgkmcnt(0)
	v_max_f32_e32 v6, v6, v6
	v_max_f32_e32 v2, v5, v6
	v_lshlrev_b32_e32 v5, 2, v43
	ds_bpermute_b32 v6, v46, v2
	s_and_saveexec_b32 s1, vcc_lo
	s_cbranch_execz .LBB145_18
; %bb.17:
	s_waitcnt lgkmcnt(0)
	v_max_f32_e32 v6, v6, v6
	v_max_f32_e32 v2, v2, v2
	;; [unrolled: 1-line block ×3, first 2 shown]
	ds_write_b32 v5, v2 offset:128
.LBB145_18:
	s_or_b32 exec_lo, exec_lo, s1
	v_cmp_gt_u32_e64 s1, 4, v44
	v_mov_b32_e32 v2, 0xff7fffff
	s_waitcnt lgkmcnt(0)
	s_barrier
	buffer_gl0_inv
	s_and_saveexec_b32 s2, s1
; %bb.19:
	ds_read_b32 v2, v37 offset:128
; %bb.20:
	s_or_b32 exec_lo, exec_lo, s2
	s_waitcnt lgkmcnt(0)
	ds_bpermute_b32 v6, v47, v2
	v_max_f32_e32 v2, v2, v2
	s_lshl_b32 s2, s16, 5
	s_min_i32 s4, s2, s28
	v_cmp_gt_i32_e64 s2, s4, v0
	s_waitcnt lgkmcnt(0)
	v_max_f32_e32 v6, v6, v6
	v_max_f32_e32 v2, v2, v6
	ds_bpermute_b32 v6, v46, v2
	s_waitcnt lgkmcnt(0)
	v_max_f32_e32 v6, v6, v6
	v_max_f32_e32 v2, v2, v6
	v_mov_b32_e32 v6, 0
	ds_bpermute_b32 v7, v6, v2
	v_lshl_add_u32 v2, v0, 2, 0xa0
	s_and_saveexec_b32 s5, s2
	s_cbranch_execz .LBB145_24
; %bb.21:
	v_lshl_add_u32 v8, v0, 2, 0xa0
	v_mov_b32_e32 v6, 0
	v_mov_b32_e32 v9, v0
	s_mov_b32 s15, 0
	.p2align	6
.LBB145_22:                             ; =>This Inner Loop Header: Depth=1
	ds_read_b32 v10, v8
	v_add_nc_u32_e32 v9, 0x80, v9
	v_cmp_le_i32_e64 s3, s4, v9
	s_or_b32 s15, s3, s15
	s_waitcnt lgkmcnt(0)
	v_sub_f32_e32 v10, v10, v7
	v_mul_f32_e32 v10, 0x3fb8aa3b, v10
	v_exp_f32_e32 v10, v10
	ds_write_b32 v8, v10
	v_add_f32_e32 v6, v6, v10
	v_add_nc_u32_e32 v8, 0x200, v8
	s_andn2_b32 exec_lo, exec_lo, s15
	s_cbranch_execnz .LBB145_22
; %bb.23:
	s_or_b32 exec_lo, exec_lo, s15
.LBB145_24:
	s_or_b32 exec_lo, exec_lo, s5
	ds_bpermute_b32 v1, v1, v6
	s_waitcnt lgkmcnt(0)
	v_add_f32_e32 v1, v6, v1
	ds_bpermute_b32 v3, v3, v1
	s_waitcnt lgkmcnt(0)
	v_add_f32_e32 v1, v1, v3
	;; [unrolled: 3-line block ×5, first 2 shown]
	s_and_saveexec_b32 s3, vcc_lo
; %bb.25:
	ds_write_b32 v5, v1 offset:144
; %bb.26:
	s_or_b32 exec_lo, exec_lo, s3
	s_waitcnt lgkmcnt(0)
	s_barrier
	buffer_gl0_inv
	s_and_saveexec_b32 s3, s1
; %bb.27:
	ds_read_b32 v1, v37 offset:144
; %bb.28:
	s_or_b32 exec_lo, exec_lo, s3
	s_waitcnt lgkmcnt(0)
	ds_bpermute_b32 v3, v47, v1
	s_waitcnt lgkmcnt(0)
	v_add_f32_e32 v1, v1, v3
	ds_bpermute_b32 v3, v46, v1
	s_waitcnt lgkmcnt(0)
	v_add_f32_e32 v1, v1, v3
	v_mov_b32_e32 v3, 0
	ds_bpermute_b32 v1, v3, v1
	s_and_saveexec_b32 s1, s2
	s_cbranch_execz .LBB145_31
; %bb.29:
	s_waitcnt lgkmcnt(0)
	v_add_f32_e32 v1, 0x358637bd, v1
	s_mov_b32 s2, 0
	v_div_scale_f32 v3, null, v1, v1, 1.0
	v_div_scale_f32 v6, vcc_lo, 1.0, v1, 1.0
	v_rcp_f32_e32 v4, v3
	v_fma_f32 v5, -v3, v4, 1.0
	v_fmac_f32_e32 v4, v5, v4
	v_mul_f32_e32 v5, v6, v4
	v_fma_f32 v7, -v3, v5, v6
	v_fmac_f32_e32 v5, v7, v4
	v_fma_f32 v3, -v3, v5, v6
	v_div_fmas_f32 v3, v3, v4, v5
	v_div_fixup_f32 v1, v3, v1, 1.0
	v_mov_b32_e32 v3, v0
.LBB145_30:                             ; =>This Inner Loop Header: Depth=1
	ds_read_b32 v4, v2
	v_add_nc_u32_e32 v3, 0x80, v3
	v_cmp_le_i32_e32 vcc_lo, s4, v3
	s_or_b32 s2, vcc_lo, s2
	s_waitcnt lgkmcnt(0)
	v_mul_f32_e32 v4, v1, v4
	ds_write_b32 v2, v4
	v_add_nc_u32_e32 v2, 0x200, v2
	s_andn2_b32 exec_lo, exec_lo, s2
	s_cbranch_execnz .LBB145_30
.LBB145_31:
	s_or_b32 exec_lo, exec_lo, s1
	v_mov_b32_e32 v55, 0
	v_and_b32_e32 v48, 3, v0
	v_mov_b32_e32 v56, 0
	v_mov_b32_e32 v54, 0
	;; [unrolled: 1-line block ×7, first 2 shown]
	s_waitcnt lgkmcnt(0)
	s_barrier
	buffer_gl0_inv
	s_and_saveexec_b32 s3, s0
	s_cbranch_execz .LBB145_53
; %bb.32:
	s_ashr_i32 s15, s14, 31
	s_sub_i32 s4, s30, s17
	s_lshl_b64 s[0:1], s[14:15], 1
	v_lshlrev_b32_e32 v2, 3, v0
	s_add_u32 s2, s26, s0
	s_addc_u32 s15, s27, s1
	s_abs_i32 s5, s18
	v_lshlrev_b32_e32 v5, 5, v48
	v_cvt_f32_u32_e32 v1, s5
	s_sub_i32 s0, 0, s5
	v_and_b32_e32 v58, 24, v2
	v_and_b32_e32 v3, 0x1f0, v35
	v_and_b32_e32 v4, 0x7c, v36
	v_rcp_iflag_f32_e32 v1, v1
	s_add_i32 s14, s16, -1
	v_lshl_or_b32 v5, v43, 7, v5
	v_add_co_u32 v59, s2, s2, v3
	v_mov_b32_e32 v57, 0
	v_mov_b32_e32 v49, 0
	;; [unrolled: 1-line block ×5, first 2 shown]
	v_mul_f32_e32 v1, 0x4f7ffffe, v1
	v_mov_b32_e32 v53, 0
	v_mov_b32_e32 v54, 0
	;; [unrolled: 1-line block ×4, first 2 shown]
	v_cvt_u32_f32_e32 v1, v1
	v_add_co_ci_u32_e64 v60, null, s15, 0, s2
	v_add_nc_u32_e32 v61, 0xa0, v5
	v_mov_b32_e32 v63, v43
	v_mul_lo_u32 v2, s0, v1
	s_lshl_b64 s[0:1], s[24:25], 2
	s_mov_b32 s17, s28
	s_add_u32 s0, s22, s0
	s_addc_u32 s1, s23, s1
	v_add_co_u32 v41, s0, s0, v4
	v_add_co_ci_u32_e64 v42, null, s1, 0, s0
	v_mul_hi_u32 v2, v1, v2
	s_mov_b32 s15, 0
	v_add_nc_u32_e32 v62, v1, v2
	s_branch .LBB145_35
.LBB145_33:                             ;   in Loop: Header=BB145_35 Depth=1
	s_or_b32 exec_lo, exec_lo, s2
	s_waitcnt lgkmcnt(1)
	v_bfe_u32 v64, v29, 16, 1
	v_or_b32_e32 v65, 0x400000, v29
	v_bfe_u32 v66, v30, 16, 1
	v_cmp_u_f32_e32 vcc_lo, v29, v29
	v_bfe_u32 v67, v31, 16, 1
	v_add3_u32 v64, v64, v29, 0x7fff
	v_or_b32_e32 v68, 0x400000, v30
	v_add3_u32 v66, v66, v30, 0x7fff
	v_or_b32_e32 v69, 0x400000, v31
	v_add3_u32 v67, v67, v31, 0x7fff
	v_cndmask_b32_e32 v29, v64, v65, vcc_lo
	v_cmp_u_f32_e32 vcc_lo, v30, v30
	v_bfe_u32 v64, v32, 16, 1
	s_waitcnt lgkmcnt(0)
	v_bfe_u32 v65, v25, 16, 1
	v_and_b32_e32 v29, 0xffff0000, v29
	v_cndmask_b32_e32 v30, v66, v68, vcc_lo
	v_cmp_u_f32_e32 vcc_lo, v31, v31
	v_add3_u32 v64, v64, v32, 0x7fff
	v_or_b32_e32 v66, 0x400000, v32
	v_add3_u32 v65, v65, v25, 0x7fff
	v_bfe_u32 v68, v26, 16, 1
	v_cndmask_b32_e32 v31, v67, v69, vcc_lo
	v_cmp_u_f32_e32 vcc_lo, v32, v32
	v_or_b32_e32 v67, 0x400000, v25
	v_and_b32_e32 v31, 0xffff0000, v31
	v_cndmask_b32_e32 v32, v64, v66, vcc_lo
	v_cmp_u_f32_e32 vcc_lo, v25, v25
	v_or_b32_e32 v66, 0x400000, v26
	v_and_b32_e32 v25, 0xffff0000, v30
	s_waitcnt vmcnt(1)
	v_and_b32_e32 v30, 0xffff0000, v37
	v_lshlrev_b32_e32 v37, 16, v37
	v_cndmask_b32_e32 v64, v65, v67, vcc_lo
	v_add3_u32 v65, v68, v26, 0x7fff
	v_bfe_u32 v67, v27, 16, 1
	v_cmp_u_f32_e32 vcc_lo, v26, v26
	v_mul_f32_e32 v30, v25, v30
	v_mul_f32_e32 v37, v29, v37
	v_add3_u32 v26, v67, v27, 0x7fff
	v_cndmask_b32_e32 v65, v65, v66, vcc_lo
	v_or_b32_e32 v66, 0x400000, v27
	v_bfe_u32 v67, v28, 16, 1
	v_cmp_u_f32_e32 vcc_lo, v27, v27
	v_bfe_u32 v68, v30, 16, 1
	v_add3_u32 v27, v67, v28, 0x7fff
	v_cndmask_b32_e32 v66, v26, v66, vcc_lo
	v_or_b32_e32 v67, 0x400000, v28
	v_and_b32_e32 v26, 0xffff0000, v32
	v_and_b32_e32 v32, 0xffff0000, v38
	v_cmp_u_f32_e32 vcc_lo, v28, v28
	v_mul_f32_e32 v69, v26, v32
	v_cndmask_b32_e32 v28, v27, v67, vcc_lo
	v_add3_u32 v27, v68, v30, 0x7fff
	v_or_b32_e32 v67, 0x400000, v30
	v_bfe_u32 v68, v37, 16, 1
	v_lshlrev_b32_e32 v32, 16, v38
	v_cmp_u_f32_e32 vcc_lo, v30, v30
	v_and_b32_e32 v28, 0xffff0000, v28
	v_add3_u32 v30, v68, v37, 0x7fff
	v_bfe_u32 v68, v69, 16, 1
	v_cndmask_b32_e32 v38, v27, v67, vcc_lo
	v_or_b32_e32 v67, 0x400000, v37
	v_mul_f32_e32 v70, v31, v32
	v_cmp_u_f32_e32 vcc_lo, v37, v37
	v_and_b32_e32 v27, 0xffff0000, v65
	v_and_b32_e32 v32, 0xffff0000, v39
	v_or_b32_e32 v65, 0x400000, v69
	v_lshlrev_b32_e32 v39, 16, v39
	v_cndmask_b32_e32 v37, v30, v67, vcc_lo
	v_add3_u32 v30, v68, v69, 0x7fff
	v_bfe_u32 v67, v70, 16, 1
	v_cmp_u_f32_e32 vcc_lo, v69, v69
	v_mul_f32_e32 v68, v27, v32
	v_and_b32_e32 v32, 0xffff0000, v64
	v_and_b32_e32 v69, 0xffff0000, v40
	v_lshlrev_b32_e32 v40, 16, v40
	v_cndmask_b32_e32 v64, v30, v65, vcc_lo
	v_add3_u32 v30, v67, v70, 0x7fff
	v_or_b32_e32 v65, 0x400000, v70
	v_cmp_u_f32_e32 vcc_lo, v70, v70
	v_bfe_u32 v67, v68, 16, 1
	v_mul_f32_e32 v39, v32, v39
	v_mul_f32_e32 v69, v28, v69
	v_and_b32_e32 v37, 0xffff0000, v37
	v_cndmask_b32_e32 v65, v30, v65, vcc_lo
	v_and_b32_e32 v30, 0xffff0000, v66
	v_add3_u32 v67, v67, v68, 0x7fff
	v_bfe_u32 v70, v39, 16, 1
	v_or_b32_e32 v66, 0x400000, v68
	v_cmp_u_f32_e32 vcc_lo, v68, v68
	v_mul_f32_e32 v40, v30, v40
	v_or_b32_e32 v71, 0x400000, v39
	v_add3_u32 v70, v70, v39, 0x7fff
	v_bfe_u32 v72, v69, 16, 1
	v_cndmask_b32_e32 v66, v67, v66, vcc_lo
	v_cmp_u_f32_e32 vcc_lo, v39, v39
	v_bfe_u32 v68, v40, 16, 1
	v_and_b32_e32 v38, 0xffff0000, v38
	v_and_b32_e32 v65, 0xffff0000, v65
	;; [unrolled: 1-line block ×3, first 2 shown]
	v_cndmask_b32_e32 v39, v70, v71, vcc_lo
	v_add3_u32 v68, v68, v40, 0x7fff
	v_or_b32_e32 v71, 0x400000, v40
	v_cmp_u_f32_e32 vcc_lo, v40, v40
	v_add3_u32 v67, v72, v69, 0x7fff
	v_or_b32_e32 v70, 0x400000, v69
	v_add_f32_e32 v37, v37, v38
	v_add_f32_e32 v38, v65, v64
	v_and_b32_e32 v39, 0xffff0000, v39
	v_and_b32_e32 v64, 0xffff0000, v66
	v_cndmask_b32_e32 v40, v68, v71, vcc_lo
	v_cmp_u_f32_e32 vcc_lo, v69, v69
	v_add_f32_e32 v37, v38, v37
	v_add_f32_e32 v38, v39, v64
	v_and_b32_e32 v39, 0xffff0000, v33
	v_cndmask_b32_e32 v65, v67, v70, vcc_lo
	v_and_b32_e32 v40, 0xffff0000, v40
	v_lshlrev_b32_e32 v33, 16, v33
	v_add_f32_e32 v37, v38, v37
	v_mul_f32_e32 v39, v25, v39
	v_and_b32_e32 v64, 0xffff0000, v65
	v_mul_f32_e32 v33, v29, v33
	v_cmp_u_f32_e32 vcc_lo, v39, v39
	v_add_f32_e32 v38, v40, v64
	v_and_b32_e32 v40, 0xffff0000, v34
	v_bfe_u32 v64, v39, 16, 1
	v_bfe_u32 v65, v33, 16, 1
	v_or_b32_e32 v66, 0x400000, v33
	v_add_f32_e32 v37, v38, v37
	v_mul_f32_e32 v38, v26, v40
	v_add3_u32 v40, v64, v39, 0x7fff
	v_or_b32_e32 v64, 0x400000, v39
	v_add3_u32 v65, v65, v33, 0x7fff
	v_lshlrev_b32_e32 v34, 16, v34
	v_bfe_u32 v67, v38, 16, 1
	v_add_f32_e32 v50, v50, v37
	v_cndmask_b32_e32 v39, v40, v64, vcc_lo
	v_cmp_u_f32_e32 vcc_lo, v33, v33
	v_mul_f32_e32 v34, v31, v34
	v_add3_u32 v40, v67, v38, 0x7fff
	v_or_b32_e32 v64, 0x400000, v38
	v_and_b32_e32 v39, 0xffff0000, v39
	v_cndmask_b32_e32 v33, v65, v66, vcc_lo
	v_and_b32_e32 v65, 0xffff0000, v35
	v_cmp_u_f32_e32 vcc_lo, v38, v38
	v_lshlrev_b32_e32 v35, 16, v35
	v_bfe_u32 v66, v34, 16, 1
	v_and_b32_e32 v33, 0xffff0000, v33
	v_cndmask_b32_e32 v38, v40, v64, vcc_lo
	v_mul_f32_e32 v40, v27, v65
	v_mul_f32_e32 v35, v32, v35
	v_add3_u32 v64, v66, v34, 0x7fff
	v_or_b32_e32 v65, 0x400000, v34
	v_and_b32_e32 v66, 0xffff0000, v36
	v_bfe_u32 v67, v40, 16, 1
	v_cmp_u_f32_e32 vcc_lo, v34, v34
	v_bfe_u32 v68, v35, 16, 1
	v_lshlrev_b32_e32 v36, 16, v36
	v_and_b32_e32 v38, 0xffff0000, v38
	v_add_f32_e32 v33, v33, v39
	v_cndmask_b32_e32 v34, v64, v65, vcc_lo
	v_mul_f32_e32 v64, v28, v66
	v_add3_u32 v65, v67, v40, 0x7fff
	v_or_b32_e32 v66, 0x400000, v40
	v_cmp_u_f32_e32 vcc_lo, v40, v40
	v_add3_u32 v67, v68, v35, 0x7fff
	v_or_b32_e32 v68, 0x400000, v35
	v_bfe_u32 v69, v64, 16, 1
	v_and_b32_e32 v34, 0xffff0000, v34
	v_cndmask_b32_e32 v40, v65, v66, vcc_lo
	v_cmp_u_f32_e32 vcc_lo, v35, v35
	v_or_b32_e32 v66, 0x400000, v64
	v_add3_u32 v65, v69, v64, 0x7fff
	v_mul_f32_e32 v36, v30, v36
	v_add_f32_e32 v34, v34, v38
	v_cndmask_b32_e32 v35, v67, v68, vcc_lo
	v_cmp_u_f32_e32 vcc_lo, v64, v64
	v_and_b32_e32 v38, 0xffff0000, v21
	v_and_b32_e32 v39, 0xffff0000, v40
	v_add_f32_e32 v33, v34, v33
	v_and_b32_e32 v35, 0xffff0000, v35
	v_cndmask_b32_e32 v64, v65, v66, vcc_lo
	v_bfe_u32 v65, v36, 16, 1
	v_mul_f32_e32 v34, v25, v38
	v_lshlrev_b32_e32 v21, 16, v21
	v_add_f32_e32 v35, v35, v39
	v_cmp_u_f32_e32 vcc_lo, v36, v36
	v_add3_u32 v40, v65, v36, 0x7fff
	v_or_b32_e32 v65, 0x400000, v36
	v_bfe_u32 v38, v34, 16, 1
	v_add_f32_e32 v33, v35, v33
	v_mul_f32_e32 v21, v29, v21
	v_and_b32_e32 v35, 0xffff0000, v22
	v_cndmask_b32_e32 v36, v40, v65, vcc_lo
	v_add3_u32 v38, v38, v34, 0x7fff
	v_or_b32_e32 v39, 0x400000, v34
	v_bfe_u32 v40, v21, 16, 1
	v_mul_f32_e32 v35, v26, v35
	v_lshlrev_b32_e32 v22, 16, v22
	v_cmp_u_f32_e32 vcc_lo, v34, v34
	v_and_b32_e32 v65, 0xffff0000, v23
	v_lshlrev_b32_e32 v23, 16, v23
	v_and_b32_e32 v66, 0xffff0000, v24
	v_mul_f32_e32 v22, v31, v22
	v_cndmask_b32_e32 v34, v38, v39, vcc_lo
	v_add3_u32 v38, v40, v21, 0x7fff
	v_or_b32_e32 v39, 0x400000, v21
	v_bfe_u32 v40, v35, 16, 1
	v_cmp_u_f32_e32 vcc_lo, v21, v21
	v_mul_f32_e32 v65, v27, v65
	v_mul_f32_e32 v23, v32, v23
	v_lshlrev_b32_e32 v24, 16, v24
	v_and_b32_e32 v34, 0xffff0000, v34
	v_cndmask_b32_e32 v21, v38, v39, vcc_lo
	v_add3_u32 v38, v40, v35, 0x7fff
	v_or_b32_e32 v39, 0x400000, v35
	v_bfe_u32 v40, v22, 16, 1
	v_cmp_u_f32_e32 vcc_lo, v35, v35
	v_mul_f32_e32 v24, v30, v24
	v_or_b32_e32 v67, 0x400000, v23
	v_and_b32_e32 v21, 0xffff0000, v21
	v_and_b32_e32 v36, 0xffff0000, v36
	v_cndmask_b32_e32 v35, v38, v39, vcc_lo
	v_add3_u32 v38, v40, v22, 0x7fff
	v_or_b32_e32 v39, 0x400000, v22
	v_bfe_u32 v40, v65, 16, 1
	v_cmp_u_f32_e32 vcc_lo, v22, v22
	v_bfe_u32 v69, v24, 16, 1
	v_and_b32_e32 v35, 0xffff0000, v35
	v_add_f32_e32 v21, v21, v34
	v_cndmask_b32_e32 v22, v38, v39, vcc_lo
	v_bfe_u32 v38, v23, 16, 1
	v_add3_u32 v39, v40, v65, 0x7fff
	v_mul_f32_e32 v40, v28, v66
	v_or_b32_e32 v66, 0x400000, v65
	v_cmp_u_f32_e32 vcc_lo, v65, v65
	v_add3_u32 v38, v38, v23, 0x7fff
	v_add3_u32 v65, v69, v24, 0x7fff
	v_bfe_u32 v68, v40, 16, 1
	v_and_b32_e32 v22, 0xffff0000, v22
	v_cndmask_b32_e32 v39, v39, v66, vcc_lo
	v_cmp_u_f32_e32 vcc_lo, v23, v23
	v_or_b32_e32 v66, 0x400000, v24
	v_add_f32_e32 v22, v22, v35
	v_and_b32_e32 v34, 0xffff0000, v39
	v_cndmask_b32_e32 v23, v38, v67, vcc_lo
	v_cmp_u_f32_e32 vcc_lo, v24, v24
	v_add3_u32 v38, v68, v40, 0x7fff
	v_or_b32_e32 v67, 0x400000, v40
	v_add_f32_e32 v21, v22, v21
	v_and_b32_e32 v23, 0xffff0000, v23
	v_cndmask_b32_e32 v24, v65, v66, vcc_lo
	v_cmp_u_f32_e32 vcc_lo, v40, v40
	v_add_f32_e32 v22, v23, v34
	v_and_b32_e32 v23, 0xffff0000, v24
	v_cndmask_b32_e32 v35, v38, v67, vcc_lo
	v_and_b32_e32 v38, 0xffff0000, v64
	v_and_b32_e32 v34, 0xffff0000, v17
	v_lshlrev_b32_e32 v17, 16, v17
	v_add_f32_e32 v21, v22, v21
	v_and_b32_e32 v24, 0xffff0000, v35
	v_add_f32_e32 v35, v36, v38
	v_mul_f32_e32 v17, v29, v17
	v_add_f32_e32 v22, v23, v24
	v_mul_f32_e32 v23, v25, v34
	v_add_f32_e32 v24, v35, v33
	v_and_b32_e32 v33, 0xffff0000, v18
	v_lshlrev_b32_e32 v18, 16, v18
	v_add_f32_e32 v21, v22, v21
	v_bfe_u32 v22, v23, 16, 1
	v_add_f32_e32 v51, v51, v24
	v_bfe_u32 v24, v17, 16, 1
	v_mul_f32_e32 v33, v26, v33
	v_add_f32_e32 v52, v52, v21
	v_add3_u32 v21, v22, v23, 0x7fff
	v_or_b32_e32 v22, 0x400000, v23
	v_cmp_u_f32_e32 vcc_lo, v23, v23
	v_add3_u32 v24, v24, v17, 0x7fff
	v_or_b32_e32 v34, 0x400000, v17
	v_mul_f32_e32 v18, v31, v18
	v_and_b32_e32 v23, 0xffff0000, v19
	v_cndmask_b32_e32 v21, v21, v22, vcc_lo
	v_bfe_u32 v22, v33, 16, 1
	v_cmp_u_f32_e32 vcc_lo, v17, v17
	v_lshlrev_b32_e32 v19, 16, v19
	v_mul_f32_e32 v23, v27, v23
	v_and_b32_e32 v35, 0xffff0000, v20
	v_add3_u32 v22, v22, v33, 0x7fff
	v_cndmask_b32_e32 v17, v24, v34, vcc_lo
	v_or_b32_e32 v24, 0x400000, v33
	v_bfe_u32 v34, v18, 16, 1
	v_cmp_u_f32_e32 vcc_lo, v33, v33
	v_mul_f32_e32 v19, v32, v19
	v_or_b32_e32 v33, 0x400000, v18
	v_lshlrev_b32_e32 v20, 16, v20
	v_and_b32_e32 v17, 0xffff0000, v17
	v_cndmask_b32_e32 v22, v22, v24, vcc_lo
	v_add3_u32 v24, v34, v18, 0x7fff
	v_bfe_u32 v34, v23, 16, 1
	v_cmp_u_f32_e32 vcc_lo, v18, v18
	v_bfe_u32 v36, v19, 16, 1
	v_mul_f32_e32 v20, v30, v20
	v_and_b32_e32 v21, 0xffff0000, v21
	v_and_b32_e32 v22, 0xffff0000, v22
	v_cndmask_b32_e32 v18, v24, v33, vcc_lo
	v_add3_u32 v24, v34, v23, 0x7fff
	v_mul_f32_e32 v33, v28, v35
	v_or_b32_e32 v34, 0x400000, v23
	v_cmp_u_f32_e32 vcc_lo, v23, v23
	v_add3_u32 v35, v36, v19, 0x7fff
	v_or_b32_e32 v36, 0x400000, v19
	v_bfe_u32 v37, v33, 16, 1
	v_and_b32_e32 v18, 0xffff0000, v18
	v_cndmask_b32_e32 v23, v24, v34, vcc_lo
	v_cmp_u_f32_e32 vcc_lo, v19, v19
	v_or_b32_e32 v34, 0x400000, v33
	v_add3_u32 v24, v37, v33, 0x7fff
	v_add_f32_e32 v17, v17, v21
	v_add_f32_e32 v18, v18, v22
	v_cndmask_b32_e32 v19, v35, v36, vcc_lo
	v_bfe_u32 v35, v20, 16, 1
	v_cmp_u_f32_e32 vcc_lo, v33, v33
	v_and_b32_e32 v22, 0xffff0000, v13
	v_and_b32_e32 v21, 0xffff0000, v23
	;; [unrolled: 1-line block ×3, first 2 shown]
	v_add3_u32 v33, v35, v20, 0x7fff
	v_cndmask_b32_e32 v24, v24, v34, vcc_lo
	v_or_b32_e32 v34, 0x400000, v20
	v_cmp_u_f32_e32 vcc_lo, v20, v20
	v_lshlrev_b32_e32 v13, 16, v13
	v_add_f32_e32 v17, v18, v17
	v_mul_f32_e32 v18, v25, v22
	v_add_f32_e32 v19, v19, v21
	v_cndmask_b32_e32 v20, v33, v34, vcc_lo
	v_mul_f32_e32 v21, v29, v13
	v_and_b32_e32 v22, 0xffff0000, v24
	v_bfe_u32 v23, v18, 16, 1
	v_and_b32_e32 v24, 0xffff0000, v14
	v_and_b32_e32 v20, 0xffff0000, v20
	v_add_f32_e32 v13, v19, v17
	v_bfe_u32 v19, v21, 16, 1
	v_lshlrev_b32_e32 v14, 16, v14
	v_cmp_u_f32_e32 vcc_lo, v18, v18
	v_add_f32_e32 v17, v20, v22
	v_add3_u32 v20, v23, v18, 0x7fff
	v_or_b32_e32 v22, 0x400000, v18
	v_mul_f32_e32 v23, v26, v24
	v_add3_u32 v19, v19, v21, 0x7fff
	v_or_b32_e32 v24, 0x400000, v21
	v_mul_f32_e32 v14, v31, v14
	v_cndmask_b32_e32 v18, v20, v22, vcc_lo
	v_bfe_u32 v20, v23, 16, 1
	v_cmp_u_f32_e32 vcc_lo, v21, v21
	v_and_b32_e32 v21, 0xffff0000, v15
	v_or_b32_e32 v22, 0x400000, v23
	v_lshlrev_b32_e32 v15, 16, v15
	v_add3_u32 v20, v20, v23, 0x7fff
	v_cndmask_b32_e32 v19, v19, v24, vcc_lo
	v_bfe_u32 v24, v14, 16, 1
	v_mul_f32_e32 v21, v27, v21
	v_cmp_u_f32_e32 vcc_lo, v23, v23
	v_mul_f32_e32 v15, v32, v15
	v_or_b32_e32 v23, 0x400000, v14
	v_and_b32_e32 v33, 0xffff0000, v16
	v_lshlrev_b32_e32 v16, 16, v16
	v_cndmask_b32_e32 v20, v20, v22, vcc_lo
	v_add3_u32 v22, v24, v14, 0x7fff
	v_bfe_u32 v24, v21, 16, 1
	v_cmp_u_f32_e32 vcc_lo, v14, v14
	v_bfe_u32 v34, v15, 16, 1
	v_mul_f32_e32 v16, v30, v16
	v_and_b32_e32 v19, 0xffff0000, v19
	v_and_b32_e32 v18, 0xffff0000, v18
	v_cndmask_b32_e32 v14, v22, v23, vcc_lo
	v_add3_u32 v22, v24, v21, 0x7fff
	v_mul_f32_e32 v23, v28, v33
	v_or_b32_e32 v24, 0x400000, v21
	v_cmp_u_f32_e32 vcc_lo, v21, v21
	v_add3_u32 v33, v34, v15, 0x7fff
	v_or_b32_e32 v34, 0x400000, v15
	v_bfe_u32 v35, v23, 16, 1
	v_and_b32_e32 v14, 0xffff0000, v14
	v_cndmask_b32_e32 v21, v22, v24, vcc_lo
	v_cmp_u_f32_e32 vcc_lo, v15, v15
	v_or_b32_e32 v24, 0x400000, v23
	v_add3_u32 v22, v35, v23, 0x7fff
	v_and_b32_e32 v20, 0xffff0000, v20
	v_add_f32_e32 v18, v19, v18
	v_cndmask_b32_e32 v15, v33, v34, vcc_lo
	v_bfe_u32 v33, v16, 16, 1
	v_cmp_u_f32_e32 vcc_lo, v23, v23
	v_add_f32_e32 v14, v14, v20
	v_and_b32_e32 v20, 0xffff0000, v5
	v_and_b32_e32 v15, 0xffff0000, v15
	v_add3_u32 v23, v33, v16, 0x7fff
	v_cndmask_b32_e32 v22, v22, v24, vcc_lo
	v_or_b32_e32 v24, 0x400000, v16
	v_cmp_u_f32_e32 vcc_lo, v16, v16
	v_and_b32_e32 v19, 0xffff0000, v21
	v_lshlrev_b32_e32 v5, 16, v5
	v_add_f32_e32 v14, v14, v18
	v_mul_f32_e32 v18, v25, v20
	v_cndmask_b32_e32 v16, v23, v24, vcc_lo
	v_add_f32_e32 v15, v15, v19
	v_mul_f32_e32 v19, v29, v5
	v_and_b32_e32 v20, 0xffff0000, v22
	v_and_b32_e32 v21, 0xffff0000, v6
	;; [unrolled: 1-line block ×3, first 2 shown]
	v_bfe_u32 v22, v18, 16, 1
	v_add_f32_e32 v5, v15, v14
	v_bfe_u32 v15, v19, 16, 1
	v_cmp_u_f32_e32 vcc_lo, v18, v18
	v_add_f32_e32 v14, v16, v20
	v_mul_f32_e32 v16, v26, v21
	v_add3_u32 v20, v22, v18, 0x7fff
	v_or_b32_e32 v21, 0x400000, v18
	v_add3_u32 v15, v15, v19, 0x7fff
	v_or_b32_e32 v22, 0x400000, v19
	v_bfe_u32 v23, v16, 16, 1
	v_lshlrev_b32_e32 v6, 16, v6
	v_cndmask_b32_e32 v18, v20, v21, vcc_lo
	v_cmp_u_f32_e32 vcc_lo, v19, v19
	v_or_b32_e32 v20, 0x400000, v16
	v_add3_u32 v19, v23, v16, 0x7fff
	v_mul_f32_e32 v6, v31, v6
	v_and_b32_e32 v21, 0xffff0000, v7
	v_cndmask_b32_e32 v15, v15, v22, vcc_lo
	v_cmp_u_f32_e32 vcc_lo, v16, v16
	v_lshlrev_b32_e32 v7, 16, v7
	v_bfe_u32 v22, v6, 16, 1
	v_and_b32_e32 v18, 0xffff0000, v18
	v_and_b32_e32 v15, 0xffff0000, v15
	v_cndmask_b32_e32 v16, v19, v20, vcc_lo
	v_mul_f32_e32 v19, v27, v21
	v_mul_f32_e32 v7, v32, v7
	v_add3_u32 v20, v22, v6, 0x7fff
	v_or_b32_e32 v21, 0x400000, v6
	v_and_b32_e32 v22, 0xffff0000, v8
	v_bfe_u32 v23, v19, 16, 1
	v_cmp_u_f32_e32 vcc_lo, v6, v6
	v_bfe_u32 v24, v7, 16, 1
	v_lshlrev_b32_e32 v8, 16, v8
	v_and_b32_e32 v16, 0xffff0000, v16
	v_add_f32_e32 v15, v15, v18
	v_cndmask_b32_e32 v6, v20, v21, vcc_lo
	v_mul_f32_e32 v20, v28, v22
	v_add3_u32 v21, v23, v19, 0x7fff
	v_or_b32_e32 v22, 0x400000, v19
	v_cmp_u_f32_e32 vcc_lo, v19, v19
	v_add3_u32 v23, v24, v7, 0x7fff
	v_or_b32_e32 v24, 0x400000, v7
	v_bfe_u32 v33, v20, 16, 1
	v_and_b32_e32 v6, 0xffff0000, v6
	v_cndmask_b32_e32 v19, v21, v22, vcc_lo
	v_cmp_u_f32_e32 vcc_lo, v7, v7
	v_or_b32_e32 v22, 0x400000, v20
	v_add3_u32 v21, v33, v20, 0x7fff
	v_mul_f32_e32 v8, v30, v8
	v_add_f32_e32 v6, v6, v16
	v_cndmask_b32_e32 v7, v23, v24, vcc_lo
	v_cmp_u_f32_e32 vcc_lo, v20, v20
	v_and_b32_e32 v16, 0xffff0000, v1
	v_and_b32_e32 v18, 0xffff0000, v19
	v_add_f32_e32 v6, v6, v15
	v_and_b32_e32 v7, 0xffff0000, v7
	v_cndmask_b32_e32 v20, v21, v22, vcc_lo
	v_bfe_u32 v21, v8, 16, 1
	v_mul_f32_e32 v15, v25, v16
	v_lshlrev_b32_e32 v1, 16, v1
	v_add_f32_e32 v7, v7, v18
	v_cmp_u_f32_e32 vcc_lo, v8, v8
	v_add3_u32 v19, v21, v8, 0x7fff
	v_or_b32_e32 v21, 0x400000, v8
	v_bfe_u32 v16, v15, 16, 1
	v_add_f32_e32 v6, v7, v6
	v_and_b32_e32 v7, 0xffff0000, v2
	v_mul_f32_e32 v1, v29, v1
	v_cndmask_b32_e32 v8, v19, v21, vcc_lo
	v_add3_u32 v16, v16, v15, 0x7fff
	v_or_b32_e32 v18, 0x400000, v15
	v_mul_f32_e32 v7, v26, v7
	v_and_b32_e32 v19, 0xffff0000, v20
	v_bfe_u32 v20, v1, 16, 1
	v_cmp_u_f32_e32 vcc_lo, v15, v15
	v_lshlrev_b32_e32 v2, 16, v2
	v_or_b32_e32 v21, 0x400000, v1
	v_or_b32_e32 v22, 0x400000, v7
	v_and_b32_e32 v8, 0xffff0000, v8
	v_cndmask_b32_e32 v15, v16, v18, vcc_lo
	v_bfe_u32 v16, v7, 16, 1
	v_add3_u32 v18, v20, v1, 0x7fff
	v_and_b32_e32 v20, 0xffff0000, v3
	v_mul_f32_e32 v2, v31, v2
	v_cmp_u_f32_e32 vcc_lo, v1, v1
	v_add3_u32 v16, v16, v7, 0x7fff
	v_lshlrev_b32_e32 v3, 16, v3
	v_mul_f32_e32 v20, v27, v20
	v_and_b32_e32 v15, 0xffff0000, v15
	v_cndmask_b32_e32 v1, v18, v21, vcc_lo
	v_bfe_u32 v18, v2, 16, 1
	v_cmp_u_f32_e32 vcc_lo, v7, v7
	v_and_b32_e32 v21, 0xffff0000, v4
	v_mul_f32_e32 v3, v32, v3
	v_or_b32_e32 v23, 0x400000, v20
	v_add3_u32 v18, v18, v2, 0x7fff
	v_cndmask_b32_e32 v7, v16, v22, vcc_lo
	v_bfe_u32 v16, v20, 16, 1
	v_or_b32_e32 v22, 0x400000, v2
	v_cmp_u_f32_e32 vcc_lo, v2, v2
	v_mul_f32_e32 v21, v28, v21
	v_lshlrev_b32_e32 v4, 16, v4
	v_add3_u32 v16, v16, v20, 0x7fff
	v_and_b32_e32 v1, 0xffff0000, v1
	v_cndmask_b32_e32 v2, v18, v22, vcc_lo
	v_bfe_u32 v18, v3, 16, 1
	v_cmp_u_f32_e32 vcc_lo, v20, v20
	v_bfe_u32 v22, v21, 16, 1
	v_or_b32_e32 v20, 0x400000, v3
	v_mul_f32_e32 v4, v30, v4
	v_add3_u32 v18, v18, v3, 0x7fff
	v_cndmask_b32_e32 v16, v16, v23, vcc_lo
	v_cmp_u_f32_e32 vcc_lo, v3, v3
	v_add3_u32 v22, v22, v21, 0x7fff
	v_or_b32_e32 v23, 0x400000, v21
	v_and_b32_e32 v2, 0xffff0000, v2
	v_and_b32_e32 v7, 0xffff0000, v7
	v_cndmask_b32_e32 v3, v18, v20, vcc_lo
	v_cmp_u_f32_e32 vcc_lo, v21, v21
	v_bfe_u32 v20, v4, 16, 1
	v_add_f32_e32 v1, v1, v15
	v_add_f32_e32 v2, v2, v7
	v_and_b32_e32 v3, 0xffff0000, v3
	v_cndmask_b32_e32 v18, v22, v23, vcc_lo
	s_waitcnt vmcnt(0)
	v_lshlrev_b32_e32 v22, 16, v9
	v_and_b32_e32 v7, 0xffff0000, v16
	v_and_b32_e32 v9, 0xffff0000, v9
	v_add3_u32 v20, v20, v4, 0x7fff
	v_or_b32_e32 v21, 0x400000, v4
	v_mul_f32_e32 v15, v29, v22
	v_cmp_u_f32_e32 vcc_lo, v4, v4
	v_add_f32_e32 v1, v2, v1
	v_add_f32_e32 v3, v3, v7
	v_mul_f32_e32 v7, v25, v9
	v_bfe_u32 v2, v15, 16, 1
	v_lshlrev_b32_e32 v9, 16, v10
	v_cndmask_b32_e32 v4, v20, v21, vcc_lo
	v_or_b32_e32 v16, 0x400000, v15
	v_bfe_u32 v20, v7, 16, 1
	v_add3_u32 v2, v2, v15, 0x7fff
	v_mul_f32_e32 v9, v31, v9
	v_and_b32_e32 v10, 0xffff0000, v10
	v_cmp_u_f32_e32 vcc_lo, v15, v15
	v_add3_u32 v15, v20, v7, 0x7fff
	v_lshlrev_b32_e32 v21, 16, v11
	v_bfe_u32 v20, v9, 16, 1
	v_mul_f32_e32 v10, v26, v10
	v_cndmask_b32_e32 v2, v2, v16, vcc_lo
	v_or_b32_e32 v16, 0x400000, v7
	v_cmp_u_f32_e32 vcc_lo, v7, v7
	v_mul_f32_e32 v21, v32, v21
	v_and_b32_e32 v11, 0xffff0000, v11
	v_lshlrev_b32_e32 v22, 16, v12
	v_and_b32_e32 v12, 0xffff0000, v12
	v_cndmask_b32_e32 v7, v15, v16, vcc_lo
	v_add3_u32 v15, v20, v9, 0x7fff
	v_or_b32_e32 v16, 0x400000, v9
	v_bfe_u32 v20, v10, 16, 1
	v_cmp_u_f32_e32 vcc_lo, v9, v9
	v_mul_f32_e32 v11, v27, v11
	v_mul_f32_e32 v12, v28, v12
	v_and_b32_e32 v7, 0xffff0000, v7
	v_and_b32_e32 v2, 0xffff0000, v2
	v_cndmask_b32_e32 v9, v15, v16, vcc_lo
	v_add3_u32 v15, v20, v10, 0x7fff
	v_or_b32_e32 v16, 0x400000, v10
	v_bfe_u32 v20, v21, 16, 1
	v_cmp_u_f32_e32 vcc_lo, v10, v10
	v_or_b32_e32 v23, 0x400000, v11
	v_bfe_u32 v25, v12, 16, 1
	v_and_b32_e32 v9, 0xffff0000, v9
	v_add_f32_e32 v2, v2, v7
	v_cndmask_b32_e32 v10, v15, v16, vcc_lo
	v_bfe_u32 v15, v11, 16, 1
	v_add3_u32 v16, v20, v21, 0x7fff
	v_mul_f32_e32 v20, v30, v22
	v_or_b32_e32 v22, 0x400000, v21
	v_cmp_u_f32_e32 vcc_lo, v21, v21
	v_add3_u32 v15, v15, v11, 0x7fff
	v_add3_u32 v21, v25, v12, 0x7fff
	v_bfe_u32 v24, v20, 16, 1
	v_and_b32_e32 v10, 0xffff0000, v10
	v_cndmask_b32_e32 v16, v16, v22, vcc_lo
	v_cmp_u_f32_e32 vcc_lo, v11, v11
	v_or_b32_e32 v22, 0x400000, v12
	v_and_b32_e32 v4, 0xffff0000, v4
	v_add_f32_e32 v7, v9, v10
	v_and_b32_e32 v10, 0xffff0000, v16
	v_cndmask_b32_e32 v11, v15, v23, vcc_lo
	v_cmp_u_f32_e32 vcc_lo, v12, v12
	v_add3_u32 v15, v24, v20, 0x7fff
	v_or_b32_e32 v23, 0x400000, v20
	v_add_f32_e32 v2, v7, v2
	v_and_b32_e32 v9, 0xffff0000, v11
	v_cndmask_b32_e32 v12, v21, v22, vcc_lo
	v_cmp_u_f32_e32 vcc_lo, v20, v20
	v_add_f32_e32 v8, v8, v19
	v_add_f32_e32 v1, v3, v1
	;; [unrolled: 1-line block ×3, first 2 shown]
	v_and_b32_e32 v9, 0xffff0000, v12
	v_cndmask_b32_e32 v11, v15, v23, vcc_lo
	v_and_b32_e32 v15, 0xffff0000, v18
	v_add_f32_e32 v5, v14, v5
	v_add_f32_e32 v2, v7, v2
	;; [unrolled: 1-line block ×3, first 2 shown]
	v_and_b32_e32 v10, 0xffff0000, v11
	v_add_f32_e32 v3, v4, v15
	v_add_f32_e32 v6, v8, v6
	;; [unrolled: 1-line block ×10, first 2 shown]
.LBB145_34:                             ;   in Loop: Header=BB145_35 Depth=1
	s_or_b32 exec_lo, exec_lo, s18
	v_add_nc_u32_e32 v63, 4, v63
	v_add_co_u32 v41, s0, v41, 16
	v_add_co_ci_u32_e64 v42, null, 0, v42, s0
	v_cmp_le_i32_e32 vcc_lo, s16, v63
	v_add_nc_u32_e32 v45, 0x80, v45
	v_add_nc_u32_e32 v61, 0x200, v61
	s_or_b32 s15, vcc_lo, s15
	s_andn2_b32 exec_lo, exec_lo, s15
	s_cbranch_execz .LBB145_52
.LBB145_35:                             ; =>This Inner Loop Header: Depth=1
	v_mul_hi_u32 v1, v45, s21
	v_mul_lo_u32 v2, v1, s12
	v_add_nc_u32_e32 v3, 1, v1
	v_sub_nc_u32_e32 v2, v45, v2
	v_subrev_nc_u32_e32 v4, s12, v2
	v_cmp_le_u32_e32 vcc_lo, s12, v2
	v_cndmask_b32_e32 v1, v1, v3, vcc_lo
	v_cndmask_b32_e32 v2, v2, v4, vcc_lo
	v_add_nc_u32_e32 v3, 1, v1
	v_cmp_le_u32_e32 vcc_lo, s12, v2
	v_cndmask_b32_e32 v1, v1, v3, vcc_lo
	v_xor_b32_e32 v1, s19, v1
	v_subrev_nc_u32_e32 v1, s19, v1
	v_add_nc_u32_e32 v2, s29, v1
	v_cmp_lt_i32_e64 s0, s4, v1
	v_sub_nc_u32_e32 v3, 0, v2
	v_max_i32_e32 v3, v2, v3
	v_ashrrev_i32_e32 v2, 31, v2
	v_mul_hi_u32 v4, v3, v62
	v_mul_lo_u32 v4, v4, s5
	v_sub_nc_u32_e32 v3, v3, v4
	v_subrev_nc_u32_e32 v4, s5, v3
	v_cmp_le_u32_e32 vcc_lo, s5, v3
	v_cndmask_b32_e32 v3, v3, v4, vcc_lo
	v_subrev_nc_u32_e32 v4, s5, v3
	v_cmp_le_u32_e32 vcc_lo, s5, v3
	v_cndmask_b32_e32 v3, v3, v4, vcc_lo
	v_xor_b32_e32 v3, v3, v2
	v_sub_nc_u32_e32 v2, v3, v2
	v_cmp_eq_u32_e32 vcc_lo, 0, v2
	s_or_b32 s0, vcc_lo, s0
	s_and_saveexec_b32 s18, s0
	s_cbranch_execz .LBB145_34
; %bb.36:                               ;   in Loop: Header=BB145_35 Depth=1
	global_load_dword v1, v[41:42], off
	v_add_nc_u32_e32 v68, v58, v45
	v_cmp_eq_u32_e64 s0, s14, v63
	v_add_nc_u32_e32 v71, 1, v68
	v_or_b32_e32 v69, 3, v68
	v_or_b32_e32 v70, 2, v68
	;; [unrolled: 1-line block ×6, first 2 shown]
	s_waitcnt vmcnt(0)
	v_mad_i64_i32 v[1:2], null, v1, s13, 0
	v_lshlrev_b64 v[1:2], 1, v[1:2]
	v_add_co_u32 v9, vcc_lo, v59, v1
	v_add_co_ci_u32_e64 v10, null, v60, v2, vcc_lo
	global_load_dwordx4 v[1:4], v[9:10], off
	ds_read2_b64 v[29:32], v61 offset1:1
	ds_read2_b64 v[25:28], v61 offset0:2 offset1:3
	s_and_saveexec_b32 s22, s0
	s_cbranch_execnz .LBB145_45
; %bb.37:                               ;   in Loop: Header=BB145_35 Depth=1
	s_or_b32 exec_lo, exec_lo, s22
	global_load_dwordx4 v[5:8], v[9:10], off offset:512
	s_and_saveexec_b32 s22, s0
	s_cbranch_execnz .LBB145_46
.LBB145_38:                             ;   in Loop: Header=BB145_35 Depth=1
	s_or_b32 exec_lo, exec_lo, s22
	global_load_dwordx4 v[13:16], v[9:10], off offset:1024
	s_and_saveexec_b32 s22, s0
	s_cbranch_execnz .LBB145_47
.LBB145_39:                             ;   in Loop: Header=BB145_35 Depth=1
	s_or_b32 exec_lo, exec_lo, s22
	global_load_dwordx4 v[17:20], v[9:10], off offset:1536
	s_and_saveexec_b32 s22, s0
	s_cbranch_execz .LBB145_41
.LBB145_40:                             ;   in Loop: Header=BB145_35 Depth=1
	v_cmp_gt_i32_e64 s1, s28, v68
	v_cmp_gt_i32_e32 vcc_lo, s17, v71
	v_cmp_gt_i32_e64 s2, s28, v70
	s_waitcnt vmcnt(0)
	v_cndmask_b32_e64 v11, 0, v17, s1
	v_cmp_gt_i32_e64 s1, s17, v69
	v_cndmask_b32_sdwa v17, v57, v17, vcc_lo dst_sel:DWORD dst_unused:UNUSED_PAD src0_sel:DWORD src1_sel:WORD_1
	v_cndmask_b32_e64 v12, 0, v18, s2
	v_cmp_gt_i32_e64 s2, s17, v67
	s_mov_b32 vcc_lo, s1
	v_cmp_gt_i32_e64 s1, s17, v65
	v_cndmask_b32_sdwa v18, v57, v18, vcc_lo dst_sel:DWORD dst_unused:UNUSED_PAD src0_sel:DWORD src1_sel:WORD_1
	v_cmp_gt_i32_e32 vcc_lo, s28, v66
	v_perm_b32 v17, v17, v11, 0x5040100
	v_perm_b32 v18, v18, v12, 0x5040100
	v_cndmask_b32_e32 v21, 0, v19, vcc_lo
	s_mov_b32 vcc_lo, s2
	v_cndmask_b32_sdwa v19, v57, v19, vcc_lo dst_sel:DWORD dst_unused:UNUSED_PAD src0_sel:DWORD src1_sel:WORD_1
	v_cmp_gt_i32_e32 vcc_lo, s28, v64
	v_perm_b32 v19, v19, v21, 0x5040100
	v_cndmask_b32_e32 v22, 0, v20, vcc_lo
	s_mov_b32 vcc_lo, s1
	v_cndmask_b32_sdwa v20, v57, v20, vcc_lo dst_sel:DWORD dst_unused:UNUSED_PAD src0_sel:DWORD src1_sel:WORD_1
	v_perm_b32 v20, v20, v22, 0x5040100
.LBB145_41:                             ;   in Loop: Header=BB145_35 Depth=1
	s_or_b32 exec_lo, exec_lo, s22
	v_add_co_u32 v9, vcc_lo, 0x800, v9
	v_add_co_ci_u32_e64 v10, null, 0, v10, vcc_lo
	global_load_dwordx4 v[21:24], v[9:10], off
	s_and_saveexec_b32 s22, s0
	s_cbranch_execnz .LBB145_48
; %bb.42:                               ;   in Loop: Header=BB145_35 Depth=1
	s_or_b32 exec_lo, exec_lo, s22
	global_load_dwordx4 v[33:36], v[9:10], off offset:512
	s_and_saveexec_b32 s22, s0
	s_cbranch_execnz .LBB145_49
.LBB145_43:                             ;   in Loop: Header=BB145_35 Depth=1
	s_or_b32 exec_lo, exec_lo, s22
	global_load_dwordx4 v[37:40], v[9:10], off offset:1024
	s_and_saveexec_b32 s22, s0
	s_cbranch_execnz .LBB145_50
.LBB145_44:                             ;   in Loop: Header=BB145_35 Depth=1
	s_or_b32 exec_lo, exec_lo, s22
	global_load_dwordx4 v[9:12], v[9:10], off offset:1536
	s_and_saveexec_b32 s2, s0
	s_cbranch_execz .LBB145_33
	s_branch .LBB145_51
.LBB145_45:                             ;   in Loop: Header=BB145_35 Depth=1
	v_cmp_gt_i32_e64 s1, s28, v68
	v_cmp_gt_i32_e32 vcc_lo, s17, v71
	v_cmp_gt_i32_e64 s2, s28, v70
	s_waitcnt vmcnt(0)
	v_cndmask_b32_e64 v5, 0, v1, s1
	v_cmp_gt_i32_e64 s1, s17, v69
	v_cndmask_b32_sdwa v1, v57, v1, vcc_lo dst_sel:DWORD dst_unused:UNUSED_PAD src0_sel:DWORD src1_sel:WORD_1
	v_cndmask_b32_e64 v6, 0, v2, s2
	v_cmp_gt_i32_e64 s2, s17, v67
	s_mov_b32 vcc_lo, s1
	v_cmp_gt_i32_e64 s1, s17, v65
	v_cndmask_b32_sdwa v2, v57, v2, vcc_lo dst_sel:DWORD dst_unused:UNUSED_PAD src0_sel:DWORD src1_sel:WORD_1
	v_cmp_gt_i32_e32 vcc_lo, s28, v66
	v_perm_b32 v1, v1, v5, 0x5040100
	v_perm_b32 v2, v2, v6, 0x5040100
	v_cndmask_b32_e32 v7, 0, v3, vcc_lo
	s_mov_b32 vcc_lo, s2
	v_cndmask_b32_sdwa v3, v57, v3, vcc_lo dst_sel:DWORD dst_unused:UNUSED_PAD src0_sel:DWORD src1_sel:WORD_1
	v_cmp_gt_i32_e32 vcc_lo, s28, v64
	v_perm_b32 v3, v3, v7, 0x5040100
	v_cndmask_b32_e32 v8, 0, v4, vcc_lo
	s_mov_b32 vcc_lo, s1
	v_cndmask_b32_sdwa v4, v57, v4, vcc_lo dst_sel:DWORD dst_unused:UNUSED_PAD src0_sel:DWORD src1_sel:WORD_1
	v_perm_b32 v4, v4, v8, 0x5040100
	s_or_b32 exec_lo, exec_lo, s22
	global_load_dwordx4 v[5:8], v[9:10], off offset:512
	s_and_saveexec_b32 s22, s0
	s_cbranch_execz .LBB145_38
.LBB145_46:                             ;   in Loop: Header=BB145_35 Depth=1
	v_cmp_gt_i32_e64 s1, s28, v68
	v_cmp_gt_i32_e32 vcc_lo, s17, v71
	v_cmp_gt_i32_e64 s2, s28, v70
	s_waitcnt vmcnt(0)
	v_cndmask_b32_e64 v11, 0, v5, s1
	v_cmp_gt_i32_e64 s1, s17, v69
	v_cndmask_b32_sdwa v5, v57, v5, vcc_lo dst_sel:DWORD dst_unused:UNUSED_PAD src0_sel:DWORD src1_sel:WORD_1
	v_cndmask_b32_e64 v12, 0, v6, s2
	v_cmp_gt_i32_e64 s2, s17, v67
	s_mov_b32 vcc_lo, s1
	v_cmp_gt_i32_e64 s1, s17, v65
	v_cndmask_b32_sdwa v6, v57, v6, vcc_lo dst_sel:DWORD dst_unused:UNUSED_PAD src0_sel:DWORD src1_sel:WORD_1
	v_cmp_gt_i32_e32 vcc_lo, s28, v66
	v_perm_b32 v5, v5, v11, 0x5040100
	v_perm_b32 v6, v6, v12, 0x5040100
	v_cndmask_b32_e32 v13, 0, v7, vcc_lo
	s_mov_b32 vcc_lo, s2
	v_cndmask_b32_sdwa v7, v57, v7, vcc_lo dst_sel:DWORD dst_unused:UNUSED_PAD src0_sel:DWORD src1_sel:WORD_1
	v_cmp_gt_i32_e32 vcc_lo, s28, v64
	v_perm_b32 v7, v7, v13, 0x5040100
	v_cndmask_b32_e32 v14, 0, v8, vcc_lo
	s_mov_b32 vcc_lo, s1
	v_cndmask_b32_sdwa v8, v57, v8, vcc_lo dst_sel:DWORD dst_unused:UNUSED_PAD src0_sel:DWORD src1_sel:WORD_1
	v_perm_b32 v8, v8, v14, 0x5040100
	s_or_b32 exec_lo, exec_lo, s22
	global_load_dwordx4 v[13:16], v[9:10], off offset:1024
	s_and_saveexec_b32 s22, s0
	s_cbranch_execz .LBB145_39
.LBB145_47:                             ;   in Loop: Header=BB145_35 Depth=1
	v_cmp_gt_i32_e64 s1, s28, v68
	v_cmp_gt_i32_e32 vcc_lo, s17, v71
	v_cmp_gt_i32_e64 s2, s28, v70
	s_waitcnt vmcnt(0)
	v_cndmask_b32_e64 v11, 0, v13, s1
	v_cmp_gt_i32_e64 s1, s17, v69
	v_cndmask_b32_sdwa v13, v57, v13, vcc_lo dst_sel:DWORD dst_unused:UNUSED_PAD src0_sel:DWORD src1_sel:WORD_1
	v_cndmask_b32_e64 v12, 0, v14, s2
	v_cmp_gt_i32_e64 s2, s17, v67
	s_mov_b32 vcc_lo, s1
	v_cmp_gt_i32_e64 s1, s17, v65
	v_cndmask_b32_sdwa v14, v57, v14, vcc_lo dst_sel:DWORD dst_unused:UNUSED_PAD src0_sel:DWORD src1_sel:WORD_1
	v_cmp_gt_i32_e32 vcc_lo, s28, v66
	v_perm_b32 v13, v13, v11, 0x5040100
	v_perm_b32 v14, v14, v12, 0x5040100
	v_cndmask_b32_e32 v17, 0, v15, vcc_lo
	s_mov_b32 vcc_lo, s2
	v_cndmask_b32_sdwa v15, v57, v15, vcc_lo dst_sel:DWORD dst_unused:UNUSED_PAD src0_sel:DWORD src1_sel:WORD_1
	v_cmp_gt_i32_e32 vcc_lo, s28, v64
	v_perm_b32 v15, v15, v17, 0x5040100
	v_cndmask_b32_e32 v18, 0, v16, vcc_lo
	s_mov_b32 vcc_lo, s1
	v_cndmask_b32_sdwa v16, v57, v16, vcc_lo dst_sel:DWORD dst_unused:UNUSED_PAD src0_sel:DWORD src1_sel:WORD_1
	v_perm_b32 v16, v16, v18, 0x5040100
	s_or_b32 exec_lo, exec_lo, s22
	global_load_dwordx4 v[17:20], v[9:10], off offset:1536
	s_and_saveexec_b32 s22, s0
	s_cbranch_execnz .LBB145_40
	s_branch .LBB145_41
.LBB145_48:                             ;   in Loop: Header=BB145_35 Depth=1
	v_cmp_gt_i32_e64 s1, s28, v68
	v_cmp_gt_i32_e32 vcc_lo, s17, v71
	v_cmp_gt_i32_e64 s2, s28, v70
	s_waitcnt vmcnt(0)
	v_cndmask_b32_e64 v11, 0, v21, s1
	v_cmp_gt_i32_e64 s1, s17, v69
	v_cndmask_b32_sdwa v21, v57, v21, vcc_lo dst_sel:DWORD dst_unused:UNUSED_PAD src0_sel:DWORD src1_sel:WORD_1
	v_cndmask_b32_e64 v12, 0, v22, s2
	v_cmp_gt_i32_e64 s2, s17, v67
	s_mov_b32 vcc_lo, s1
	v_cmp_gt_i32_e64 s1, s17, v65
	v_cndmask_b32_sdwa v22, v57, v22, vcc_lo dst_sel:DWORD dst_unused:UNUSED_PAD src0_sel:DWORD src1_sel:WORD_1
	v_cmp_gt_i32_e32 vcc_lo, s28, v66
	v_perm_b32 v21, v21, v11, 0x5040100
	v_perm_b32 v22, v22, v12, 0x5040100
	v_cndmask_b32_e32 v33, 0, v23, vcc_lo
	s_mov_b32 vcc_lo, s2
	v_cndmask_b32_sdwa v23, v57, v23, vcc_lo dst_sel:DWORD dst_unused:UNUSED_PAD src0_sel:DWORD src1_sel:WORD_1
	v_cmp_gt_i32_e32 vcc_lo, s28, v64
	v_perm_b32 v23, v23, v33, 0x5040100
	v_cndmask_b32_e32 v34, 0, v24, vcc_lo
	s_mov_b32 vcc_lo, s1
	v_cndmask_b32_sdwa v24, v57, v24, vcc_lo dst_sel:DWORD dst_unused:UNUSED_PAD src0_sel:DWORD src1_sel:WORD_1
	v_perm_b32 v24, v24, v34, 0x5040100
	s_or_b32 exec_lo, exec_lo, s22
	global_load_dwordx4 v[33:36], v[9:10], off offset:512
	s_and_saveexec_b32 s22, s0
	s_cbranch_execz .LBB145_43
.LBB145_49:                             ;   in Loop: Header=BB145_35 Depth=1
	v_cmp_gt_i32_e64 s1, s28, v68
	v_cmp_gt_i32_e32 vcc_lo, s17, v71
	v_cmp_gt_i32_e64 s2, s28, v70
	s_waitcnt vmcnt(0)
	v_cndmask_b32_e64 v11, 0, v33, s1
	v_cmp_gt_i32_e64 s1, s17, v69
	v_cndmask_b32_sdwa v33, v57, v33, vcc_lo dst_sel:DWORD dst_unused:UNUSED_PAD src0_sel:DWORD src1_sel:WORD_1
	v_cndmask_b32_e64 v12, 0, v34, s2
	v_cmp_gt_i32_e64 s2, s17, v67
	s_mov_b32 vcc_lo, s1
	v_cmp_gt_i32_e64 s1, s17, v65
	v_cndmask_b32_sdwa v34, v57, v34, vcc_lo dst_sel:DWORD dst_unused:UNUSED_PAD src0_sel:DWORD src1_sel:WORD_1
	v_cmp_gt_i32_e32 vcc_lo, s28, v66
	v_perm_b32 v33, v33, v11, 0x5040100
	v_perm_b32 v34, v34, v12, 0x5040100
	v_cndmask_b32_e32 v37, 0, v35, vcc_lo
	s_mov_b32 vcc_lo, s2
	v_cndmask_b32_sdwa v35, v57, v35, vcc_lo dst_sel:DWORD dst_unused:UNUSED_PAD src0_sel:DWORD src1_sel:WORD_1
	v_cmp_gt_i32_e32 vcc_lo, s28, v64
	v_perm_b32 v35, v35, v37, 0x5040100
	v_cndmask_b32_e32 v38, 0, v36, vcc_lo
	s_mov_b32 vcc_lo, s1
	v_cndmask_b32_sdwa v36, v57, v36, vcc_lo dst_sel:DWORD dst_unused:UNUSED_PAD src0_sel:DWORD src1_sel:WORD_1
	v_perm_b32 v36, v36, v38, 0x5040100
	s_or_b32 exec_lo, exec_lo, s22
	global_load_dwordx4 v[37:40], v[9:10], off offset:1024
	s_and_saveexec_b32 s22, s0
	s_cbranch_execz .LBB145_44
.LBB145_50:                             ;   in Loop: Header=BB145_35 Depth=1
	v_cmp_gt_i32_e64 s1, s28, v68
	v_cmp_gt_i32_e32 vcc_lo, s17, v71
	v_cmp_gt_i32_e64 s2, s28, v70
	s_waitcnt vmcnt(0)
	v_cndmask_b32_e64 v11, 0, v37, s1
	v_cmp_gt_i32_e64 s1, s17, v69
	v_cndmask_b32_sdwa v37, v57, v37, vcc_lo dst_sel:DWORD dst_unused:UNUSED_PAD src0_sel:DWORD src1_sel:WORD_1
	v_cndmask_b32_e64 v12, 0, v38, s2
	v_cmp_gt_i32_e64 s2, s17, v67
	s_mov_b32 vcc_lo, s1
	v_cmp_gt_i32_e64 s1, s17, v65
	v_cndmask_b32_sdwa v38, v57, v38, vcc_lo dst_sel:DWORD dst_unused:UNUSED_PAD src0_sel:DWORD src1_sel:WORD_1
	v_cmp_gt_i32_e32 vcc_lo, s28, v66
	v_perm_b32 v37, v37, v11, 0x5040100
	v_perm_b32 v38, v38, v12, 0x5040100
	v_cndmask_b32_e32 v72, 0, v39, vcc_lo
	s_mov_b32 vcc_lo, s2
	v_cndmask_b32_sdwa v39, v57, v39, vcc_lo dst_sel:DWORD dst_unused:UNUSED_PAD src0_sel:DWORD src1_sel:WORD_1
	v_cmp_gt_i32_e32 vcc_lo, s28, v64
	v_perm_b32 v39, v39, v72, 0x5040100
	v_cndmask_b32_e32 v73, 0, v40, vcc_lo
	s_mov_b32 vcc_lo, s1
	v_cndmask_b32_sdwa v40, v57, v40, vcc_lo dst_sel:DWORD dst_unused:UNUSED_PAD src0_sel:DWORD src1_sel:WORD_1
	v_perm_b32 v40, v40, v73, 0x5040100
	s_or_b32 exec_lo, exec_lo, s22
	global_load_dwordx4 v[9:12], v[9:10], off offset:1536
	s_and_saveexec_b32 s2, s0
	s_cbranch_execz .LBB145_33
.LBB145_51:                             ;   in Loop: Header=BB145_35 Depth=1
	v_cmp_gt_i32_e64 s0, s28, v68
	v_cmp_gt_i32_e32 vcc_lo, s17, v71
	v_cmp_gt_i32_e64 s1, s28, v70
	s_waitcnt vmcnt(0)
	v_cndmask_b32_e64 v68, 0, v9, s0
	v_cmp_gt_i32_e64 s0, s17, v69
	v_cndmask_b32_sdwa v9, v57, v9, vcc_lo dst_sel:DWORD dst_unused:UNUSED_PAD src0_sel:DWORD src1_sel:WORD_1
	v_cndmask_b32_e64 v69, 0, v10, s1
	v_cmp_gt_i32_e64 s1, s17, v67
	s_mov_b32 vcc_lo, s0
	v_cmp_gt_i32_e64 s0, s17, v65
	v_cndmask_b32_sdwa v10, v57, v10, vcc_lo dst_sel:DWORD dst_unused:UNUSED_PAD src0_sel:DWORD src1_sel:WORD_1
	v_cmp_gt_i32_e32 vcc_lo, s28, v66
	v_perm_b32 v9, v9, v68, 0x5040100
	v_perm_b32 v10, v10, v69, 0x5040100
	v_cndmask_b32_e32 v66, 0, v11, vcc_lo
	s_mov_b32 vcc_lo, s1
	v_cndmask_b32_sdwa v11, v57, v11, vcc_lo dst_sel:DWORD dst_unused:UNUSED_PAD src0_sel:DWORD src1_sel:WORD_1
	v_cmp_gt_i32_e32 vcc_lo, s28, v64
	v_perm_b32 v11, v11, v66, 0x5040100
	v_cndmask_b32_e32 v64, 0, v12, vcc_lo
	s_mov_b32 vcc_lo, s0
	v_cndmask_b32_sdwa v12, v57, v12, vcc_lo dst_sel:DWORD dst_unused:UNUSED_PAD src0_sel:DWORD src1_sel:WORD_1
	v_perm_b32 v12, v12, v64, 0x5040100
	s_branch .LBB145_33
.LBB145_52:
	s_or_b32 exec_lo, exec_lo, s15
.LBB145_53:
	s_or_b32 exec_lo, exec_lo, s3
	ds_bpermute_b32 v1, v47, v55
	ds_bpermute_b32 v2, v47, v56
	;; [unrolled: 1-line block ×8, first 2 shown]
	v_lshrrev_b32_e32 v9, 2, v44
	v_lshlrev_b32_e32 v11, 8, v43
	v_and_b32_e32 v22, 0x3c3, v0
	s_mov_b32 s0, exec_lo
	s_waitcnt lgkmcnt(0)
	s_barrier
	buffer_gl0_inv
	v_add_f32_e32 v1, v55, v1
	v_add_f32_e32 v2, v56, v2
	;; [unrolled: 1-line block ×8, first 2 shown]
	ds_bpermute_b32 v5, v46, v1
	ds_bpermute_b32 v6, v46, v2
	;; [unrolled: 1-line block ×8, first 2 shown]
	v_and_b32_e32 v7, 28, v44
	v_add_nc_u32_e32 v10, 0xa0, v7
	s_waitcnt lgkmcnt(7)
	v_add_f32_e32 v8, v1, v5
	s_waitcnt lgkmcnt(6)
	v_add_f32_e32 v7, v2, v6
	;; [unrolled: 2-line block ×8, first 2 shown]
	v_cmpx_eq_u32_e32 64, v22
	s_cbranch_execz .LBB145_55
; %bb.54:
	v_add_nc_u32_e32 v12, v10, v11
	v_add_nc_u32_e32 v13, 0xfffffe00, v12
	;; [unrolled: 1-line block ×9, first 2 shown]
	ds_write_b32 v13, v8
	ds_write_b32 v14, v7
	;; [unrolled: 1-line block ×8, first 2 shown]
.LBB145_55:
	s_or_b32 exec_lo, exec_lo, s0
	v_lshlrev_b32_e32 v9, 2, v9
	s_mov_b32 s1, exec_lo
	v_cmp_eq_u32_e32 vcc_lo, 0, v48
	s_waitcnt lgkmcnt(0)
	s_barrier
	v_add3_u32 v9, 0xa0, v11, v9
	buffer_gl0_inv
	v_cmpx_gt_u32_e32 64, v0
	s_cbranch_execz .LBB145_66
; %bb.56:
	s_and_saveexec_b32 s0, vcc_lo
	s_cbranch_execnz .LBB145_82
; %bb.57:
	s_or_b32 exec_lo, exec_lo, s0
	s_and_saveexec_b32 s0, vcc_lo
	s_cbranch_execnz .LBB145_83
.LBB145_58:
	s_or_b32 exec_lo, exec_lo, s0
	s_and_saveexec_b32 s0, vcc_lo
	s_cbranch_execnz .LBB145_84
.LBB145_59:
	s_or_b32 exec_lo, exec_lo, s0
	s_and_saveexec_b32 s0, vcc_lo
	s_cbranch_execnz .LBB145_85
.LBB145_60:
	s_or_b32 exec_lo, exec_lo, s0
	s_and_saveexec_b32 s0, vcc_lo
	s_cbranch_execnz .LBB145_86
.LBB145_61:
	s_or_b32 exec_lo, exec_lo, s0
	s_and_saveexec_b32 s0, vcc_lo
	s_cbranch_execnz .LBB145_87
.LBB145_62:
	s_or_b32 exec_lo, exec_lo, s0
	s_and_saveexec_b32 s0, vcc_lo
	s_cbranch_execnz .LBB145_88
.LBB145_63:
	s_or_b32 exec_lo, exec_lo, s0
	s_and_saveexec_b32 s0, vcc_lo
	s_cbranch_execz .LBB145_65
.LBB145_64:
	ds_read_b32 v11, v9 offset:224
	s_waitcnt lgkmcnt(0)
	v_add_f32_e32 v1, v1, v11
.LBB145_65:
	s_or_b32 exec_lo, exec_lo, s0
.LBB145_66:
	s_or_b32 exec_lo, exec_lo, s1
	v_and_b32_e32 v11, 0x3e3, v0
	s_mov_b32 s1, exec_lo
	s_barrier
	buffer_gl0_inv
	v_cmpx_eq_u32_e32 32, v11
	s_cbranch_execz .LBB145_68
; %bb.67:
	ds_write2_b32 v10, v8, v7 offset1:8
	ds_write2_b32 v10, v6, v5 offset0:16 offset1:24
	ds_write2_b32 v10, v4, v3 offset0:32 offset1:40
	;; [unrolled: 1-line block ×3, first 2 shown]
.LBB145_68:
	s_or_b32 exec_lo, exec_lo, s1
	s_mov_b32 s1, exec_lo
	s_waitcnt lgkmcnt(0)
	s_barrier
	buffer_gl0_inv
	v_cmpx_gt_u32_e32 32, v0
	s_cbranch_execz .LBB145_79
; %bb.69:
	s_and_saveexec_b32 s0, vcc_lo
	s_cbranch_execnz .LBB145_89
; %bb.70:
	s_or_b32 exec_lo, exec_lo, s0
	s_and_saveexec_b32 s0, vcc_lo
	s_cbranch_execnz .LBB145_90
.LBB145_71:
	s_or_b32 exec_lo, exec_lo, s0
	s_and_saveexec_b32 s0, vcc_lo
	s_cbranch_execnz .LBB145_91
.LBB145_72:
	s_or_b32 exec_lo, exec_lo, s0
	s_and_saveexec_b32 s0, vcc_lo
	s_cbranch_execnz .LBB145_92
.LBB145_73:
	s_or_b32 exec_lo, exec_lo, s0
	s_and_saveexec_b32 s0, vcc_lo
	s_cbranch_execnz .LBB145_93
.LBB145_74:
	s_or_b32 exec_lo, exec_lo, s0
	s_and_saveexec_b32 s0, vcc_lo
	s_cbranch_execnz .LBB145_94
.LBB145_75:
	s_or_b32 exec_lo, exec_lo, s0
	s_and_saveexec_b32 s0, vcc_lo
	s_cbranch_execnz .LBB145_95
.LBB145_76:
	s_or_b32 exec_lo, exec_lo, s0
	s_and_saveexec_b32 s0, vcc_lo
	s_cbranch_execz .LBB145_78
.LBB145_77:
	ds_read_b32 v9, v9 offset:224
	s_waitcnt lgkmcnt(0)
	v_add_f32_e32 v1, v1, v9
.LBB145_78:
	s_or_b32 exec_lo, exec_lo, s0
.LBB145_79:
	s_or_b32 exec_lo, exec_lo, s1
	s_barrier
	buffer_gl0_inv
	s_mov_b32 s0, exec_lo
	v_cmpx_eq_u32_e32 0, v11
	s_cbranch_execz .LBB145_81
; %bb.80:
	s_mul_i32 s0, s10, s11
	s_mul_i32 s2, s11, s20
	;; [unrolled: 1-line block ×3, first 2 shown]
	v_bfe_u32 v9, v8, 16, 1
	s_lshl_b32 s0, s0, 6
	v_or_b32_e32 v10, 0x400000, v8
	s_ashr_i32 s1, s0, 31
	v_bfe_u32 v11, v7, 16, 1
	s_lshl_b64 s[0:1], s[0:1], 1
	v_add3_u32 v9, v9, v8, 0x7fff
	s_add_u32 s4, s6, s0
	s_addc_u32 s5, s7, s1
	s_ashr_i32 s3, s2, 31
	v_cmp_u_f32_e32 vcc_lo, v8, v8
	s_lshl_b64 s[0:1], s[2:3], 1
	v_lshrrev_b32_e32 v0, 1, v0
	s_add_u32 s2, s4, s0
	s_addc_u32 s3, s5, s1
	s_lshl_b32 s0, s8, 6
	v_cndmask_b32_e32 v8, v9, v10, vcc_lo
	s_ashr_i32 s1, s0, 31
	v_bfe_u32 v9, v6, 16, 1
	s_lshl_b64 s[0:1], s[0:1], 1
	v_add3_u32 v10, v11, v7, 0x7fff
	v_or_b32_e32 v11, 0x400000, v7
	v_cmp_u_f32_e32 vcc_lo, v7, v7
	s_add_u32 s0, s2, s0
	s_addc_u32 s1, s3, s1
	global_store_short_d16_hi v0, v8, s[0:1]
	v_add3_u32 v8, v9, v6, 0x7fff
	v_or_b32_e32 v9, 0x400000, v6
	v_cndmask_b32_e32 v7, v10, v11, vcc_lo
	v_bfe_u32 v10, v5, 16, 1
	v_cmp_u_f32_e32 vcc_lo, v6, v6
	v_or_b32_e32 v11, 0x400000, v1
	global_store_short_d16_hi v0, v7, s[0:1] offset:16
	v_add3_u32 v7, v10, v5, 0x7fff
	v_cndmask_b32_e32 v6, v8, v9, vcc_lo
	v_bfe_u32 v8, v4, 16, 1
	v_or_b32_e32 v9, 0x400000, v5
	v_cmp_u_f32_e32 vcc_lo, v5, v5
	v_or_b32_e32 v10, 0x400000, v2
	global_store_short_d16_hi v0, v6, s[0:1] offset:32
	v_add3_u32 v6, v8, v4, 0x7fff
	v_or_b32_e32 v8, 0x400000, v4
	v_cndmask_b32_e32 v5, v7, v9, vcc_lo
	v_bfe_u32 v7, v3, 16, 1
	v_cmp_u_f32_e32 vcc_lo, v4, v4
	v_bfe_u32 v9, v2, 16, 1
	v_add3_u32 v7, v7, v3, 0x7fff
	v_cndmask_b32_e32 v4, v6, v8, vcc_lo
	v_or_b32_e32 v8, 0x400000, v3
	v_cmp_u_f32_e32 vcc_lo, v3, v3
	v_bfe_u32 v6, v1, 16, 1
	v_add3_u32 v9, v9, v2, 0x7fff
	v_cndmask_b32_e32 v3, v7, v8, vcc_lo
	v_cmp_u_f32_e32 vcc_lo, v2, v2
	v_add3_u32 v6, v6, v1, 0x7fff
	v_cndmask_b32_e32 v2, v9, v10, vcc_lo
	v_cmp_u_f32_e32 vcc_lo, v1, v1
	v_cndmask_b32_e32 v1, v6, v11, vcc_lo
	global_store_short_d16_hi v0, v5, s[0:1] offset:48
	global_store_short_d16_hi v0, v4, s[0:1] offset:64
	;; [unrolled: 1-line block ×5, first 2 shown]
.LBB145_81:
	s_endpgm
.LBB145_82:
	ds_read_b32 v11, v9
	s_waitcnt lgkmcnt(0)
	v_add_f32_e32 v8, v8, v11
	s_or_b32 exec_lo, exec_lo, s0
	s_and_saveexec_b32 s0, vcc_lo
	s_cbranch_execz .LBB145_58
.LBB145_83:
	ds_read_b32 v11, v9 offset:32
	s_waitcnt lgkmcnt(0)
	v_add_f32_e32 v7, v7, v11
	s_or_b32 exec_lo, exec_lo, s0
	s_and_saveexec_b32 s0, vcc_lo
	s_cbranch_execz .LBB145_59
.LBB145_84:
	ds_read_b32 v11, v9 offset:64
	s_waitcnt lgkmcnt(0)
	v_add_f32_e32 v6, v6, v11
	s_or_b32 exec_lo, exec_lo, s0
	s_and_saveexec_b32 s0, vcc_lo
	s_cbranch_execz .LBB145_60
.LBB145_85:
	ds_read_b32 v11, v9 offset:96
	s_waitcnt lgkmcnt(0)
	v_add_f32_e32 v5, v5, v11
	s_or_b32 exec_lo, exec_lo, s0
	s_and_saveexec_b32 s0, vcc_lo
	s_cbranch_execz .LBB145_61
.LBB145_86:
	ds_read_b32 v11, v9 offset:128
	s_waitcnt lgkmcnt(0)
	v_add_f32_e32 v4, v4, v11
	s_or_b32 exec_lo, exec_lo, s0
	s_and_saveexec_b32 s0, vcc_lo
	s_cbranch_execz .LBB145_62
.LBB145_87:
	ds_read_b32 v11, v9 offset:160
	s_waitcnt lgkmcnt(0)
	v_add_f32_e32 v3, v3, v11
	s_or_b32 exec_lo, exec_lo, s0
	s_and_saveexec_b32 s0, vcc_lo
	s_cbranch_execz .LBB145_63
.LBB145_88:
	ds_read_b32 v11, v9 offset:192
	s_waitcnt lgkmcnt(0)
	v_add_f32_e32 v2, v2, v11
	s_or_b32 exec_lo, exec_lo, s0
	s_and_saveexec_b32 s0, vcc_lo
	s_cbranch_execnz .LBB145_64
	s_branch .LBB145_65
.LBB145_89:
	ds_read_b32 v10, v9
	s_waitcnt lgkmcnt(0)
	v_add_f32_e32 v8, v8, v10
	s_or_b32 exec_lo, exec_lo, s0
	s_and_saveexec_b32 s0, vcc_lo
	s_cbranch_execz .LBB145_71
.LBB145_90:
	ds_read_b32 v10, v9 offset:32
	s_waitcnt lgkmcnt(0)
	v_add_f32_e32 v7, v7, v10
	s_or_b32 exec_lo, exec_lo, s0
	s_and_saveexec_b32 s0, vcc_lo
	s_cbranch_execz .LBB145_72
.LBB145_91:
	ds_read_b32 v10, v9 offset:64
	s_waitcnt lgkmcnt(0)
	v_add_f32_e32 v6, v6, v10
	s_or_b32 exec_lo, exec_lo, s0
	s_and_saveexec_b32 s0, vcc_lo
	s_cbranch_execz .LBB145_73
.LBB145_92:
	ds_read_b32 v10, v9 offset:96
	s_waitcnt lgkmcnt(0)
	v_add_f32_e32 v5, v5, v10
	s_or_b32 exec_lo, exec_lo, s0
	s_and_saveexec_b32 s0, vcc_lo
	s_cbranch_execz .LBB145_74
.LBB145_93:
	ds_read_b32 v10, v9 offset:128
	s_waitcnt lgkmcnt(0)
	v_add_f32_e32 v4, v4, v10
	s_or_b32 exec_lo, exec_lo, s0
	s_and_saveexec_b32 s0, vcc_lo
	s_cbranch_execz .LBB145_75
.LBB145_94:
	ds_read_b32 v10, v9 offset:160
	s_waitcnt lgkmcnt(0)
	v_add_f32_e32 v3, v3, v10
	s_or_b32 exec_lo, exec_lo, s0
	s_and_saveexec_b32 s0, vcc_lo
	s_cbranch_execz .LBB145_76
.LBB145_95:
	ds_read_b32 v10, v9 offset:192
	s_waitcnt lgkmcnt(0)
	v_add_f32_e32 v2, v2, v10
	s_or_b32 exec_lo, exec_lo, s0
	s_and_saveexec_b32 s0, vcc_lo
	s_cbranch_execnz .LBB145_77
	s_branch .LBB145_78
	.section	.rodata,"a",@progbits
	.p2align	6, 0x0
	.amdhsa_kernel _ZN4vllm25paged_attention_v1_kernelI14__hip_bfloat16S1_Li64ELi32ELi128ELNS_18Fp8KVCacheDataTypeE0ELb1EEEvPT_PKS3_PKT0_S9_ifPKiSB_iPKfiiiSD_SD_iiiii
		.amdhsa_group_segment_fixed_size 160
		.amdhsa_private_segment_fixed_size 0
		.amdhsa_kernarg_size 384
		.amdhsa_user_sgpr_count 6
		.amdhsa_user_sgpr_private_segment_buffer 1
		.amdhsa_user_sgpr_dispatch_ptr 0
		.amdhsa_user_sgpr_queue_ptr 0
		.amdhsa_user_sgpr_kernarg_segment_ptr 1
		.amdhsa_user_sgpr_dispatch_id 0
		.amdhsa_user_sgpr_flat_scratch_init 0
		.amdhsa_user_sgpr_private_segment_size 0
		.amdhsa_wavefront_size32 1
		.amdhsa_uses_dynamic_stack 0
		.amdhsa_system_sgpr_private_segment_wavefront_offset 0
		.amdhsa_system_sgpr_workgroup_id_x 1
		.amdhsa_system_sgpr_workgroup_id_y 1
		.amdhsa_system_sgpr_workgroup_id_z 1
		.amdhsa_system_sgpr_workgroup_info 0
		.amdhsa_system_vgpr_workitem_id 0
		.amdhsa_next_free_vgpr 117
		.amdhsa_next_free_sgpr 38
		.amdhsa_reserve_vcc 1
		.amdhsa_reserve_flat_scratch 0
		.amdhsa_float_round_mode_32 0
		.amdhsa_float_round_mode_16_64 0
		.amdhsa_float_denorm_mode_32 3
		.amdhsa_float_denorm_mode_16_64 3
		.amdhsa_dx10_clamp 1
		.amdhsa_ieee_mode 1
		.amdhsa_fp16_overflow 0
		.amdhsa_workgroup_processor_mode 1
		.amdhsa_memory_ordered 1
		.amdhsa_forward_progress 1
		.amdhsa_shared_vgpr_count 0
		.amdhsa_exception_fp_ieee_invalid_op 0
		.amdhsa_exception_fp_denorm_src 0
		.amdhsa_exception_fp_ieee_div_zero 0
		.amdhsa_exception_fp_ieee_overflow 0
		.amdhsa_exception_fp_ieee_underflow 0
		.amdhsa_exception_fp_ieee_inexact 0
		.amdhsa_exception_int_div_zero 0
	.end_amdhsa_kernel
	.section	.text._ZN4vllm25paged_attention_v1_kernelI14__hip_bfloat16S1_Li64ELi32ELi128ELNS_18Fp8KVCacheDataTypeE0ELb1EEEvPT_PKS3_PKT0_S9_ifPKiSB_iPKfiiiSD_SD_iiiii,"axG",@progbits,_ZN4vllm25paged_attention_v1_kernelI14__hip_bfloat16S1_Li64ELi32ELi128ELNS_18Fp8KVCacheDataTypeE0ELb1EEEvPT_PKS3_PKT0_S9_ifPKiSB_iPKfiiiSD_SD_iiiii,comdat
.Lfunc_end145:
	.size	_ZN4vllm25paged_attention_v1_kernelI14__hip_bfloat16S1_Li64ELi32ELi128ELNS_18Fp8KVCacheDataTypeE0ELb1EEEvPT_PKS3_PKT0_S9_ifPKiSB_iPKfiiiSD_SD_iiiii, .Lfunc_end145-_ZN4vllm25paged_attention_v1_kernelI14__hip_bfloat16S1_Li64ELi32ELi128ELNS_18Fp8KVCacheDataTypeE0ELb1EEEvPT_PKS3_PKT0_S9_ifPKiSB_iPKfiiiSD_SD_iiiii
                                        ; -- End function
	.set _ZN4vllm25paged_attention_v1_kernelI14__hip_bfloat16S1_Li64ELi32ELi128ELNS_18Fp8KVCacheDataTypeE0ELb1EEEvPT_PKS3_PKT0_S9_ifPKiSB_iPKfiiiSD_SD_iiiii.num_vgpr, 117
	.set _ZN4vllm25paged_attention_v1_kernelI14__hip_bfloat16S1_Li64ELi32ELi128ELNS_18Fp8KVCacheDataTypeE0ELb1EEEvPT_PKS3_PKT0_S9_ifPKiSB_iPKfiiiSD_SD_iiiii.num_agpr, 0
	.set _ZN4vllm25paged_attention_v1_kernelI14__hip_bfloat16S1_Li64ELi32ELi128ELNS_18Fp8KVCacheDataTypeE0ELb1EEEvPT_PKS3_PKT0_S9_ifPKiSB_iPKfiiiSD_SD_iiiii.numbered_sgpr, 38
	.set _ZN4vllm25paged_attention_v1_kernelI14__hip_bfloat16S1_Li64ELi32ELi128ELNS_18Fp8KVCacheDataTypeE0ELb1EEEvPT_PKS3_PKT0_S9_ifPKiSB_iPKfiiiSD_SD_iiiii.num_named_barrier, 0
	.set _ZN4vllm25paged_attention_v1_kernelI14__hip_bfloat16S1_Li64ELi32ELi128ELNS_18Fp8KVCacheDataTypeE0ELb1EEEvPT_PKS3_PKT0_S9_ifPKiSB_iPKfiiiSD_SD_iiiii.private_seg_size, 0
	.set _ZN4vllm25paged_attention_v1_kernelI14__hip_bfloat16S1_Li64ELi32ELi128ELNS_18Fp8KVCacheDataTypeE0ELb1EEEvPT_PKS3_PKT0_S9_ifPKiSB_iPKfiiiSD_SD_iiiii.uses_vcc, 1
	.set _ZN4vllm25paged_attention_v1_kernelI14__hip_bfloat16S1_Li64ELi32ELi128ELNS_18Fp8KVCacheDataTypeE0ELb1EEEvPT_PKS3_PKT0_S9_ifPKiSB_iPKfiiiSD_SD_iiiii.uses_flat_scratch, 0
	.set _ZN4vllm25paged_attention_v1_kernelI14__hip_bfloat16S1_Li64ELi32ELi128ELNS_18Fp8KVCacheDataTypeE0ELb1EEEvPT_PKS3_PKT0_S9_ifPKiSB_iPKfiiiSD_SD_iiiii.has_dyn_sized_stack, 0
	.set _ZN4vllm25paged_attention_v1_kernelI14__hip_bfloat16S1_Li64ELi32ELi128ELNS_18Fp8KVCacheDataTypeE0ELb1EEEvPT_PKS3_PKT0_S9_ifPKiSB_iPKfiiiSD_SD_iiiii.has_recursion, 0
	.set _ZN4vllm25paged_attention_v1_kernelI14__hip_bfloat16S1_Li64ELi32ELi128ELNS_18Fp8KVCacheDataTypeE0ELb1EEEvPT_PKS3_PKT0_S9_ifPKiSB_iPKfiiiSD_SD_iiiii.has_indirect_call, 0
	.section	.AMDGPU.csdata,"",@progbits
; Kernel info:
; codeLenInByte = 11428
; TotalNumSgprs: 40
; NumVgprs: 117
; ScratchSize: 0
; MemoryBound: 0
; FloatMode: 240
; IeeeMode: 1
; LDSByteSize: 160 bytes/workgroup (compile time only)
; SGPRBlocks: 0
; VGPRBlocks: 14
; NumSGPRsForWavesPerEU: 40
; NumVGPRsForWavesPerEU: 117
; Occupancy: 8
; WaveLimiterHint : 1
; COMPUTE_PGM_RSRC2:SCRATCH_EN: 0
; COMPUTE_PGM_RSRC2:USER_SGPR: 6
; COMPUTE_PGM_RSRC2:TRAP_HANDLER: 0
; COMPUTE_PGM_RSRC2:TGID_X_EN: 1
; COMPUTE_PGM_RSRC2:TGID_Y_EN: 1
; COMPUTE_PGM_RSRC2:TGID_Z_EN: 1
; COMPUTE_PGM_RSRC2:TIDIG_COMP_CNT: 0
	.section	.text._ZN4vllm25paged_attention_v1_kernelI14__hip_bfloat16S1_Li80ELi32ELi128ELNS_18Fp8KVCacheDataTypeE0ELb1EEEvPT_PKS3_PKT0_S9_ifPKiSB_iPKfiiiSD_SD_iiiii,"axG",@progbits,_ZN4vllm25paged_attention_v1_kernelI14__hip_bfloat16S1_Li80ELi32ELi128ELNS_18Fp8KVCacheDataTypeE0ELb1EEEvPT_PKS3_PKT0_S9_ifPKiSB_iPKfiiiSD_SD_iiiii,comdat
	.protected	_ZN4vllm25paged_attention_v1_kernelI14__hip_bfloat16S1_Li80ELi32ELi128ELNS_18Fp8KVCacheDataTypeE0ELb1EEEvPT_PKS3_PKT0_S9_ifPKiSB_iPKfiiiSD_SD_iiiii ; -- Begin function _ZN4vllm25paged_attention_v1_kernelI14__hip_bfloat16S1_Li80ELi32ELi128ELNS_18Fp8KVCacheDataTypeE0ELb1EEEvPT_PKS3_PKT0_S9_ifPKiSB_iPKfiiiSD_SD_iiiii
	.globl	_ZN4vllm25paged_attention_v1_kernelI14__hip_bfloat16S1_Li80ELi32ELi128ELNS_18Fp8KVCacheDataTypeE0ELb1EEEvPT_PKS3_PKT0_S9_ifPKiSB_iPKfiiiSD_SD_iiiii
	.p2align	8
	.type	_ZN4vllm25paged_attention_v1_kernelI14__hip_bfloat16S1_Li80ELi32ELi128ELNS_18Fp8KVCacheDataTypeE0ELb1EEEvPT_PKS3_PKT0_S9_ifPKiSB_iPKfiiiSD_SD_iiiii,@function
_ZN4vllm25paged_attention_v1_kernelI14__hip_bfloat16S1_Li80ELi32ELi128ELNS_18Fp8KVCacheDataTypeE0ELb1EEEvPT_PKS3_PKT0_S9_ifPKiSB_iPKfiiiSD_SD_iiiii: ; @_ZN4vllm25paged_attention_v1_kernelI14__hip_bfloat16S1_Li80ELi32ELi128ELNS_18Fp8KVCacheDataTypeE0ELb1EEEvPT_PKS3_PKT0_S9_ifPKiSB_iPKfiiiSD_SD_iiiii
; %bb.0:
	s_mov_b64 s[42:43], s[2:3]
	s_mov_b64 s[40:41], s[0:1]
	s_mov_b32 s10, s7
	s_add_u32 s40, s40, s9
	s_clause 0x2
	s_load_dword s9, s[4:5], 0x80
	s_load_dwordx2 s[0:1], s[4:5], 0x30
	s_load_dwordx2 s[2:3], s[4:5], 0x20
	s_addc_u32 s41, s41, 0
	s_ashr_i32 s11, s7, 31
	v_mov_b32_e32 v81, v0
	s_lshl_b64 s[12:13], s[10:11], 2
	s_mov_b32 s31, 0
	s_waitcnt lgkmcnt(0)
	s_add_u32 s0, s0, s12
	s_addc_u32 s1, s1, s13
	s_abs_i32 s7, s2
	s_abs_i32 s13, s9
	v_cvt_f32_u32_e32 v0, s7
	s_sub_i32 s12, 0, s7
	v_rcp_iflag_f32_e32 v0, v0
	v_mul_f32_e32 v0, 0x4f7ffffe, v0
	v_cvt_u32_f32_e32 v0, v0
	v_readfirstlane_b32 s11, v0
	s_mul_i32 s12, s12, s11
	s_mul_hi_u32 s12, s11, s12
	s_add_i32 s11, s11, s12
	s_xor_b32 s12, s9, s2
	s_mul_hi_u32 s11, s13, s11
	s_ashr_i32 s12, s12, 31
	s_mul_i32 s14, s11, s7
	s_sub_i32 s13, s13, s14
	s_add_i32 s14, s11, 1
	s_sub_i32 s15, s13, s7
	s_cmp_ge_u32 s13, s7
	s_cselect_b32 s11, s14, s11
	s_cselect_b32 s13, s15, s13
	s_add_i32 s14, s11, 1
	s_cmp_ge_u32 s13, s7
	s_cselect_b32 s7, s14, s11
	s_abs_i32 s22, s6
	s_xor_b32 s7, s7, s12
	s_sub_i32 s16, s7, s12
	s_load_dwordx2 s[12:13], s[4:5], 0x40
	s_abs_i32 s11, s16
	v_cvt_f32_u32_e32 v0, s11
	s_sub_i32 s14, 0, s11
	v_rcp_iflag_f32_e32 v0, v0
	v_mul_f32_e32 v0, 0x4f7ffffe, v0
	v_cvt_u32_f32_e32 v0, v0
	v_readfirstlane_b32 s7, v0
	s_mul_i32 s14, s14, s7
	s_mul_hi_u32 s14, s7, s14
	s_add_i32 s7, s7, s14
	s_waitcnt lgkmcnt(0)
	s_cmp_eq_u64 s[12:13], 0
	s_mul_hi_u32 s23, s22, s7
	s_cbranch_scc1 .LBB146_2
; %bb.1:
	s_ashr_i32 s7, s6, 31
	s_lshl_b64 s[14:15], s[6:7], 2
	s_add_u32 s12, s12, s14
	s_addc_u32 s13, s13, s15
	s_load_dword s31, s[12:13], 0x0
.LBB146_2:
	s_load_dword s28, s[0:1], 0x0
	s_load_dwordx4 s[12:15], s[4:5], 0x48
	v_lshlrev_b32_e32 v10, 4, v81
	s_ashr_i32 s0, s6, 31
	s_ashr_i32 s1, s16, 31
	s_mul_i32 s20, s6, 0x50
	s_mov_b32 s7, exec_lo
	v_cmpx_gt_u32_e32 10, v81
	s_cbranch_execz .LBB146_4
; %bb.3:
	s_load_dwordx2 s[16:17], s[4:5], 0x8
	s_waitcnt lgkmcnt(0)
	s_mul_i32 s18, s12, s10
	s_ashr_i32 s19, s18, 31
	s_lshl_b64 s[18:19], s[18:19], 1
	s_add_u32 s12, s16, s18
	s_addc_u32 s15, s17, s19
	s_ashr_i32 s21, s20, 31
	s_lshl_b64 s[16:17], s[20:21], 1
	s_add_u32 s16, s12, s16
	s_addc_u32 s17, s15, s17
	global_load_dwordx4 v[0:3], v10, s[16:17]
	s_waitcnt vmcnt(0)
	ds_write_b128 v10, v[0:3]
.LBB146_4:
	s_or_b32 exec_lo, exec_lo, s7
	s_load_dwordx4 s[16:19], s[4:5], 0x68
	s_mul_i32 s7, s23, s11
	s_xor_b32 s1, s0, s1
	s_sub_i32 s0, s22, s7
	s_add_i32 s7, s23, 1
	s_waitcnt lgkmcnt(0)
	s_sub_i32 s12, s0, s11
	s_cmp_ge_u32 s0, s11
	s_mov_b32 s24, -1
	s_cselect_b32 s7, s7, s23
	s_cselect_b32 s0, s12, s0
	s_add_i32 s12, s7, 1
	s_cmp_ge_u32 s0, s11
	s_load_dword s0, s[4:5], 0x78
	s_cselect_b32 s7, s12, s7
	s_add_i32 s11, s28, -1
	s_xor_b32 s7, s7, s1
	s_waitcnt lgkmcnt(0)
	s_sub_i32 s1, s7, s1
	s_barrier
	buffer_gl0_inv
	s_abs_i32 s12, s19
                                        ; implicit-def: $sgpr29
	v_cvt_f32_u32_e32 v0, s12
	s_sub_i32 s7, 0, s12
	v_rcp_iflag_f32_e32 v0, v0
	v_mul_f32_e32 v0, 0x4f7ffffe, v0
	v_cvt_u32_f32_e32 v0, v0
	v_readfirstlane_b32 s21, v0
	s_mul_i32 s7, s7, s21
	s_mul_hi_u32 s15, s21, s7
	s_abs_i32 s7, s11
	s_add_i32 s21, s21, s15
	s_cmp_lt_i32 s0, 0
	s_mul_hi_u32 s15, s7, s21
	s_cbranch_scc0 .LBB146_6
; %bb.5:
	s_mul_i32 s2, s16, s2
	s_mov_b32 s24, 0
	s_add_i32 s2, s1, s2
	s_mul_i32 s2, s2, s0
	s_sub_i32 s29, 1, s2
.LBB146_6:
	s_load_dwordx2 s[22:23], s[4:5], 0x28
	s_ashr_i32 s2, s11, 31
	s_andn2_b32 vcc_lo, exec_lo, s24
	s_ashr_i32 s19, s19, 31
	s_cbranch_vccnz .LBB146_8
; %bb.7:
	s_mul_i32 s11, s9, s16
	s_add_i32 s6, s11, s6
	s_mul_i32 s0, s6, s0
	s_add_i32 s29, s0, 1
.LBB146_8:
	s_load_dword s0, s[4:5], 0x38
	s_mul_i32 s6, s15, s12
	s_xor_b32 s2, s2, s19
	s_sub_i32 s30, s7, s6
	s_add_i32 s16, s15, 1
	s_clause 0x2
	s_load_dwordx2 s[6:7], s[4:5], 0x0
	s_load_dwordx2 s[26:27], s[4:5], 0x18
	s_load_dword s11, s[4:5], 0x88
	v_lshrrev_b32_e32 v82, 5, v81
	v_and_b32_e32 v0, 31, v81
	v_mov_b32_e32 v123, 0xff7fffff
	v_lshrrev_b32_e32 v29, 3, v81
	s_mul_i32 s14, s1, s14
	v_lshlrev_b32_e32 v53, 5, v82
	v_lshlrev_b32_e32 v30, 2, v0
	buffer_store_dword v0, off, s[40:43], 0 ; 4-byte Folded Spill
	s_waitcnt lgkmcnt(0)
	s_mul_i32 s24, s0, s10
	s_sub_i32 s0, s30, s12
	s_ashr_i32 s25, s24, 31
	s_cmp_ge_u32 s30, s12
	s_cselect_b32 s15, s16, s15
	s_cselect_b32 s0, s0, s30
	s_add_i32 s16, s15, 1
	s_cmp_ge_u32 s0, s12
	s_cselect_b32 s0, s16, s15
	s_add_i32 s15, s28, 31
	s_ashr_i32 s16, s15, 31
	s_lshr_b32 s16, s16, 27
	s_add_i32 s15, s15, s16
	s_ashr_i32 s16, s15, 5
	s_xor_b32 s15, s0, s2
	v_cmp_gt_i32_e64 s0, s16, v82
	s_sub_i32 s30, s15, s2
	s_and_saveexec_b32 s33, s0
	s_cbranch_execz .LBB146_16
; %bb.9:
	v_mov_b32_e32 v28, 0
	buffer_store_dword v10, off, s[40:43], 0 offset:40 ; 4-byte Folded Spill
	buffer_store_dword v81, off, s[40:43], 0 offset:32 ; 4-byte Folded Spill
	s_load_dwordx2 s[34:35], s[4:5], 0x10
	s_ashr_i32 s15, s14, 31
	s_sub_i32 s4, s30, s17
	ds_read_b128 v[0:3], v28
	ds_read_b128 v[4:7], v28 offset:16
	ds_read_b128 v[8:11], v28 offset:32
	;; [unrolled: 1-line block ×6, first 2 shown]
	s_lshl_b64 s[36:37], s[14:15], 1
	v_mov_b32_e32 v48, v82
	v_cmp_neq_f32_e64 vcc_lo, s31, 0
	v_mov_b32_e32 v123, 0xff7fffff
	buffer_store_dword v29, off, s[40:43], 0 offset:44 ; 4-byte Folded Spill
	buffer_store_dword v30, off, s[40:43], 0 offset:48 ; 4-byte Folded Spill
	v_lshlrev_b32_e32 v47, 5, v48
	buffer_store_dword v48, off, s[40:43], 0 offset:36 ; 4-byte Folded Spill
	s_waitcnt lgkmcnt(0)
	v_and_b32_e32 v31, 0xffff0000, v0
	v_lshlrev_b32_e32 v0, 16, v0
	v_and_b32_e32 v61, 0xffff0000, v1
	v_lshlrev_b32_e32 v62, 16, v1
	;; [unrolled: 2-line block ×3, first 2 shown]
	buffer_store_dword v0, off, s[40:43], 0 offset:8 ; 4-byte Folded Spill
	v_and_b32_e32 v0, 0xffff0000, v4
	v_and_b32_e32 v75, 0xffff0000, v3
	v_lshlrev_b32_e32 v76, 16, v3
	v_and_b32_e32 v63, 0xffff0000, v5
	v_lshlrev_b32_e32 v64, 16, v5
	buffer_store_dword v0, off, s[40:43], 0 offset:12 ; 4-byte Folded Spill
	v_lshlrev_b32_e32 v0, 16, v4
	v_and_b32_e32 v77, 0xffff0000, v6
	v_lshlrev_b32_e32 v78, 16, v6
	v_and_b32_e32 v79, 0xffff0000, v7
	v_lshlrev_b32_e32 v80, 16, v7
	buffer_store_dword v0, off, s[40:43], 0 offset:16 ; 4-byte Folded Spill
	v_and_b32_e32 v0, 0xffff0000, v8
	s_add_u32 s1, s34, s36
	s_addc_u32 s2, s35, s37
	s_abs_i32 s5, s18
	v_lshlrev_b32_e32 v56, 16, v12
	buffer_store_dword v0, off, s[40:43], 0 offset:20 ; 4-byte Folded Spill
	v_lshlrev_b32_e32 v0, 16, v8
	v_cvt_f32_u32_e32 v8, s5
	s_sub_i32 s15, 0, s5
	v_and_b32_e32 v65, 0xffff0000, v9
	v_lshlrev_b32_e32 v66, 16, v9
	buffer_store_dword v0, off, s[40:43], 0 offset:24 ; 4-byte Folded Spill
	v_and_b32_e32 v0, 0xffff0000, v12
	ds_read_b128 v[4:7], v28 offset:128
	v_rcp_iflag_f32_e32 v12, v8
	v_and_b32_e32 v81, 0xffff0000, v10
	v_lshlrev_b32_e32 v82, 16, v10
	buffer_store_dword v0, off, s[40:43], 0 offset:28 ; 4-byte Folded Spill
	ds_read_b128 v[0:3], v28 offset:112
	v_and_b32_e32 v83, 0xffff0000, v11
	v_lshlrev_b32_e32 v84, 16, v11
	ds_read_b128 v[8:11], v28 offset:144
	s_lshl_b64 s[34:35], s[24:25], 2
	v_and_b32_e32 v57, 0xffff0000, v16
	v_lshlrev_b32_e32 v58, 16, v16
	v_and_b32_e32 v59, 0xffff0000, v20
	v_lshlrev_b32_e32 v60, 16, v20
	;; [unrolled: 2-line block ×7, first 2 shown]
	v_and_b32_e32 v89, 0xffff0000, v18
	s_waitcnt lgkmcnt(1)
	v_and_b32_e32 v111, 0xffff0000, v3
	v_lshlrev_b32_e32 v112, 16, v3
	buffer_load_dword v3, off, s[40:43], 0  ; 4-byte Folded Reload
	v_and_b32_e32 v105, 0xffff0000, v0
	v_lshlrev_b32_e32 v106, 16, v0
	v_mul_f32_e32 v0, 0x4f7ffffe, v12
	v_and_b32_e32 v107, 0xffff0000, v1
	v_lshlrev_b32_e32 v108, 16, v1
	v_and_b32_e32 v109, 0xffff0000, v2
	v_lshlrev_b32_e32 v110, 16, v2
	v_cvt_u32_f32_e32 v0, v0
	v_lshl_or_b32 v2, v48, 7, v30
	v_lshlrev_b32_e32 v90, 16, v18
	v_and_b32_e32 v91, 0xffff0000, v19
	v_lshlrev_b32_e32 v92, 16, v19
	v_mul_lo_u32 v1, s15, v0
	s_add_u32 s15, s22, s34
	s_addc_u32 s34, s23, s35
	v_and_b32_e32 v93, 0xffff0000, v22
	v_lshlrev_b32_e32 v94, 16, v22
	v_and_b32_e32 v95, 0xffff0000, v23
	v_lshlrev_b32_e32 v96, 16, v23
	v_and_b32_e32 v97, 0xffff0000, v24
	v_mul_hi_u32 v1, v0, v1
	v_lshlrev_b32_e32 v98, 16, v24
	v_and_b32_e32 v99, 0xffff0000, v25
	v_lshlrev_b32_e32 v100, 16, v25
	v_and_b32_e32 v101, 0xffff0000, v26
	;; [unrolled: 2-line block ×3, first 2 shown]
	v_lshlrev_b32_e32 v104, 16, v27
	v_add_nc_u32_e32 v45, v0, v1
	v_and_b32_e32 v0, 0x7c, v29
	v_and_b32_e32 v113, 0xffff0000, v4
	v_lshlrev_b32_e32 v114, 16, v4
	v_and_b32_e32 v115, 0xffff0000, v5
	v_lshlrev_b32_e32 v116, 16, v5
	v_add_co_u32 v41, s15, s15, v0
	v_and_b32_e32 v117, 0xffff0000, v6
	v_lshlrev_b32_e32 v118, 16, v6
	v_and_b32_e32 v119, 0xffff0000, v7
	v_lshlrev_b32_e32 v120, 16, v7
	s_waitcnt lgkmcnt(0)
	v_and_b32_e32 v121, 0xffff0000, v8
	v_lshlrev_b32_e32 v122, 16, v8
	v_and_b32_e32 v124, 0xffff0000, v9
	v_lshlrev_b32_e32 v125, 16, v9
	;; [unrolled: 2-line block ×4, first 2 shown]
	v_add_co_ci_u32_e64 v42, null, s34, 0, s15
	v_add_nc_u32_e32 v52, 0xc0, v2
	s_mov_b32 s34, s13
	s_mov_b32 s15, 0
	buffer_store_dword v31, off, s[40:43], 0 offset:4 ; 4-byte Folded Spill
	s_waitcnt vmcnt(0)
	v_subrev_nc_u32_e32 v1, s28, v3
	v_lshlrev_b32_e32 v3, 4, v3
	v_add_nc_u32_e32 v51, 1, v1
	v_add_co_u32 v46, s1, s1, v3
	v_add_co_ci_u32_e64 v0, null, s2, 0, s1
	s_branch .LBB146_11
.LBB146_10:                             ;   in Loop: Header=BB146_11 Depth=1
	s_or_b32 exec_lo, exec_lo, s35
	v_add_nc_u32_e32 v48, 4, v48
	v_add_co_u32 v41, s2, v41, 16
	v_add_co_ci_u32_e64 v42, null, 0, v42, s2
	v_cmp_le_i32_e64 s1, s16, v48
	v_add_nc_u32_e32 v47, 0x80, v47
	v_add_nc_u32_e32 v52, 0x200, v52
	s_or_b32 s15, s1, s15
	s_andn2_b32 exec_lo, exec_lo, s15
	s_cbranch_execz .LBB146_15
.LBB146_11:                             ; =>This Inner Loop Header: Depth=1
	v_mul_hi_u32 v1, v47, s21
	v_mul_lo_u32 v2, v1, s12
	v_add_nc_u32_e32 v3, 1, v1
	v_sub_nc_u32_e32 v2, v47, v2
	v_subrev_nc_u32_e32 v4, s12, v2
	v_cmp_le_u32_e64 s1, s12, v2
	v_cndmask_b32_e64 v1, v1, v3, s1
	v_cndmask_b32_e64 v2, v2, v4, s1
	v_add_nc_u32_e32 v3, 1, v1
	v_cmp_le_u32_e64 s1, s12, v2
	v_cndmask_b32_e64 v1, v1, v3, s1
	v_xor_b32_e32 v1, s19, v1
	v_subrev_nc_u32_e32 v1, s19, v1
	v_add_nc_u32_e32 v2, s29, v1
	v_cmp_ge_i32_e64 s2, s4, v1
	v_sub_nc_u32_e32 v3, 0, v2
	v_max_i32_e32 v3, v2, v3
	v_ashrrev_i32_e32 v2, 31, v2
	v_mul_hi_u32 v4, v3, v45
	v_mul_lo_u32 v4, v4, s5
	v_sub_nc_u32_e32 v3, v3, v4
	v_subrev_nc_u32_e32 v4, s5, v3
	v_cmp_le_u32_e64 s1, s5, v3
	v_cndmask_b32_e64 v3, v3, v4, s1
	v_subrev_nc_u32_e32 v4, s5, v3
	v_cmp_le_u32_e64 s1, s5, v3
	v_cndmask_b32_e64 v3, v3, v4, s1
	v_xor_b32_e32 v3, v3, v2
	v_sub_nc_u32_e32 v2, v3, v2
	v_cmp_ne_u32_e64 s1, 0, v2
	s_and_b32 s1, s1, s2
	s_and_saveexec_b32 s2, s1
	s_xor_b32 s1, exec_lo, s2
; %bb.12:                               ;   in Loop: Header=BB146_11 Depth=1
	v_mov_b32_e32 v1, 0xff7fffff
	ds_write_b32 v52, v1
; %bb.13:                               ;   in Loop: Header=BB146_11 Depth=1
	s_andn2_saveexec_b32 s35, s1
	s_cbranch_execz .LBB146_10
; %bb.14:                               ;   in Loop: Header=BB146_11 Depth=1
	global_load_dword v1, v[41:42], off
	buffer_load_dword v2, off, s[40:43], 0  ; 4-byte Folded Reload
	v_add_nc_u32_e32 v4, v51, v47
	v_cvt_f32_i32_e32 v4, v4
	v_mul_f32_e32 v4, s31, v4
	v_cndmask_b32_e32 v49, 0, v4, vcc_lo
	s_waitcnt vmcnt(0)
	v_add_nc_u32_e32 v3, v2, v47
	v_mad_i64_i32 v[1:2], null, v1, s34, 0
	v_lshlrev_b64 v[1:2], 1, v[1:2]
	v_add_co_u32 v1, s1, v46, v1
	v_add_co_ci_u32_e64 v2, null, v0, v2, s1
	v_cmp_gt_i32_e64 s1, s28, v3
	v_add_co_u32 v3, s2, 0x800, v1
	v_add_co_ci_u32_e64 v4, null, 0, v2, s2
	v_add_co_u32 v5, s2, v1, 0x1000
	s_clause 0x3
	global_load_dwordx4 v[37:40], v[1:2], off
	global_load_dwordx4 v[33:36], v[1:2], off offset:512
	global_load_dwordx4 v[29:32], v[1:2], off offset:1024
	global_load_dwordx4 v[25:28], v[1:2], off offset:1536
	v_add_co_ci_u32_e64 v6, null, 0, v2, s2
	v_add_co_u32 v1, s2, 0x1000, v1
	v_add_co_ci_u32_e64 v2, null, 0, v2, s2
	s_clause 0x5
	global_load_dwordx4 v[21:24], v[5:6], off offset:-2048
	global_load_dwordx4 v[17:20], v[3:4], off offset:512
	global_load_dwordx4 v[13:16], v[3:4], off offset:1024
	;; [unrolled: 1-line block ×3, first 2 shown]
	global_load_dwordx4 v[5:8], v[5:6], off
	global_load_dwordx4 v[1:4], v[1:2], off offset:512
	buffer_load_dword v55, off, s[40:43], 0 offset:16 ; 4-byte Folded Reload
	s_waitcnt vmcnt(10)
	v_lshlrev_b32_e32 v50, 16, v37
	v_and_b32_e32 v54, 0xffff0000, v37
	s_waitcnt vmcnt(9)
	v_and_b32_e32 v37, 0xffff0000, v33
	v_lshlrev_b32_e32 v33, 16, v33
	s_waitcnt vmcnt(0)
	v_mul_f32_e32 v33, v55, v33
	buffer_load_dword v55, off, s[40:43], 0 offset:12 ; 4-byte Folded Reload
	s_waitcnt vmcnt(0)
	v_mul_f32_e32 v37, v55, v37
	buffer_load_dword v55, off, s[40:43], 0 offset:4 ; 4-byte Folded Reload
	s_waitcnt vmcnt(0)
	v_fmac_f32_e32 v37, v55, v54
	buffer_load_dword v54, off, s[40:43], 0 offset:8 ; 4-byte Folded Reload
	s_waitcnt vmcnt(0)
	v_fmac_f32_e32 v33, v54, v50
	buffer_load_dword v54, off, s[40:43], 0 offset:24 ; 4-byte Folded Reload
	v_and_b32_e32 v50, 0xffff0000, v29
	v_lshlrev_b32_e32 v29, 16, v29
	s_waitcnt vmcnt(0)
	v_fmac_f32_e32 v33, v54, v29
	buffer_load_dword v29, off, s[40:43], 0 offset:20 ; 4-byte Folded Reload
	s_waitcnt vmcnt(0)
	v_fmac_f32_e32 v37, v29, v50
	buffer_load_dword v50, off, s[40:43], 0 offset:28 ; 4-byte Folded Reload
	v_lshlrev_b32_e32 v29, 16, v25
	v_and_b32_e32 v25, 0xffff0000, v25
	v_fmac_f32_e32 v33, v56, v29
	s_waitcnt vmcnt(0)
	v_fmac_f32_e32 v37, v50, v25
	v_and_b32_e32 v25, 0xffff0000, v21
	v_lshlrev_b32_e32 v21, 16, v21
	v_fmac_f32_e32 v37, v57, v25
	v_fmac_f32_e32 v33, v58, v21
	v_lshlrev_b32_e32 v21, 16, v17
	v_and_b32_e32 v17, 0xffff0000, v17
	v_fmac_f32_e32 v33, v60, v21
	v_fmac_f32_e32 v37, v59, v17
	v_and_b32_e32 v17, 0xffff0000, v13
	v_lshlrev_b32_e32 v13, 16, v13
	v_fmac_f32_e32 v37, v97, v17
	v_fmac_f32_e32 v33, v98, v13
	v_lshlrev_b32_e32 v13, 16, v9
	v_and_b32_e32 v9, 0xffff0000, v9
	v_fmac_f32_e32 v33, v106, v13
	v_fmac_f32_e32 v37, v105, v9
	v_and_b32_e32 v9, 0xffff0000, v5
	v_lshlrev_b32_e32 v5, 16, v5
	v_and_b32_e32 v13, 0xffff0000, v38
	v_fmac_f32_e32 v37, v113, v9
	v_fmac_f32_e32 v33, v114, v5
	v_lshlrev_b32_e32 v5, 16, v1
	v_and_b32_e32 v1, 0xffff0000, v1
	v_lshlrev_b32_e32 v9, 16, v38
	v_fmac_f32_e32 v33, v122, v5
	v_fmac_f32_e32 v37, v121, v1
	v_and_b32_e32 v1, 0xffff0000, v34
	v_lshlrev_b32_e32 v5, 16, v34
	v_mul_f32_e32 v1, v63, v1
	v_mul_f32_e32 v5, v64, v5
	v_fmac_f32_e32 v1, v61, v13
	v_fmac_f32_e32 v5, v62, v9
	v_and_b32_e32 v9, 0xffff0000, v30
	v_lshlrev_b32_e32 v13, 16, v30
	v_fmac_f32_e32 v1, v65, v9
	v_fmac_f32_e32 v5, v66, v13
	v_lshlrev_b32_e32 v9, 16, v26
	v_and_b32_e32 v13, 0xffff0000, v26
	v_fmac_f32_e32 v5, v68, v9
	v_fmac_f32_e32 v1, v67, v13
	v_and_b32_e32 v9, 0xffff0000, v22
	v_lshlrev_b32_e32 v13, 16, v22
	v_fmac_f32_e32 v1, v69, v9
	v_fmac_f32_e32 v5, v70, v13
	v_lshlrev_b32_e32 v9, 16, v18
	v_and_b32_e32 v13, 0xffff0000, v18
	v_fmac_f32_e32 v5, v72, v9
	v_fmac_f32_e32 v1, v71, v13
	v_and_b32_e32 v9, 0xffff0000, v14
	v_lshlrev_b32_e32 v13, 16, v14
	v_fmac_f32_e32 v1, v99, v9
	v_fmac_f32_e32 v5, v100, v13
	v_lshlrev_b32_e32 v9, 16, v10
	v_and_b32_e32 v10, 0xffff0000, v10
	v_fmac_f32_e32 v5, v108, v9
	v_fmac_f32_e32 v1, v107, v10
	v_and_b32_e32 v9, 0xffff0000, v6
	v_lshlrev_b32_e32 v6, 16, v6
	v_and_b32_e32 v10, 0xffff0000, v39
	v_fmac_f32_e32 v1, v115, v9
	v_fmac_f32_e32 v5, v116, v6
	v_lshlrev_b32_e32 v6, 16, v2
	v_and_b32_e32 v2, 0xffff0000, v2
	v_lshlrev_b32_e32 v9, 16, v39
	v_fmac_f32_e32 v5, v125, v6
	v_fmac_f32_e32 v1, v124, v2
	v_and_b32_e32 v2, 0xffff0000, v35
	v_lshlrev_b32_e32 v6, 16, v35
	v_mul_f32_e32 v2, v77, v2
	v_mul_f32_e32 v6, v78, v6
	v_fmac_f32_e32 v2, v73, v10
	v_fmac_f32_e32 v6, v74, v9
	v_and_b32_e32 v9, 0xffff0000, v31
	v_lshlrev_b32_e32 v10, 16, v31
	v_fmac_f32_e32 v2, v81, v9
	v_fmac_f32_e32 v6, v82, v10
	v_lshlrev_b32_e32 v9, 16, v27
	v_and_b32_e32 v10, 0xffff0000, v27
	v_fmac_f32_e32 v6, v86, v9
	;; [unrolled: 40-line block ×3, first 2 shown]
	v_fmac_f32_e32 v3, v87, v10
	v_and_b32_e32 v9, 0xffff0000, v24
	v_lshlrev_b32_e32 v10, 16, v24
	v_fmac_f32_e32 v3, v91, v9
	v_fmac_f32_e32 v7, v92, v10
	v_lshlrev_b32_e32 v9, 16, v20
	v_and_b32_e32 v10, 0xffff0000, v20
	v_fmac_f32_e32 v7, v96, v9
	v_fmac_f32_e32 v3, v95, v10
	v_and_b32_e32 v9, 0xffff0000, v16
	v_lshlrev_b32_e32 v10, 16, v16
	v_fmac_f32_e32 v3, v103, v9
	v_fmac_f32_e32 v7, v104, v10
	v_lshlrev_b32_e32 v9, 16, v12
	v_and_b32_e32 v10, 0xffff0000, v12
	v_fmac_f32_e32 v7, v112, v9
	;; [unrolled: 8-line block ×3, first 2 shown]
	v_fmac_f32_e32 v3, v44, v4
	v_add_f32_e32 v4, v33, v37
	v_add_f32_e32 v4, v4, v5
	;; [unrolled: 1-line block ×5, first 2 shown]
	v_max_f32_e32 v2, v123, v123
	v_add_f32_e32 v1, v7, v1
	v_add_f32_e32 v1, v3, v1
	v_fmac_f32_e32 v49, s3, v1
	v_max_f32_e32 v2, v2, v49
	v_cndmask_b32_e64 v1, 0, v49, s1
	v_cndmask_b32_e64 v123, v123, v2, s1
	ds_write_b32 v52, v1
	s_branch .LBB146_10
.LBB146_15:
	s_or_b32 exec_lo, exec_lo, s15
	s_clause 0x4
	buffer_load_dword v81, off, s[40:43], 0 offset:32
	buffer_load_dword v82, off, s[40:43], 0 offset:36
	;; [unrolled: 1-line block ×5, first 2 shown]
.LBB146_16:
	s_or_b32 exec_lo, exec_lo, s33
	v_mbcnt_lo_u32_b32 v1, -1, 0
	v_max_f32_e32 v4, v123, v123
	v_xor_b32_e32 v0, 16, v1
	v_xor_b32_e32 v3, 8, v1
	v_cmp_gt_i32_e32 vcc_lo, 32, v0
	v_cndmask_b32_e32 v0, v1, v0, vcc_lo
	v_cmp_gt_i32_e32 vcc_lo, 32, v3
	v_lshlrev_b32_e32 v0, 2, v0
	v_cndmask_b32_e32 v3, v1, v3, vcc_lo
	ds_bpermute_b32 v2, v0, v123
	s_waitcnt lgkmcnt(0)
	v_max_f32_e32 v5, v2, v2
	v_lshlrev_b32_e32 v2, 2, v3
	v_max_f32_e32 v4, v4, v5
	v_xor_b32_e32 v5, 4, v1
	ds_bpermute_b32 v3, v2, v4
	v_cmp_gt_i32_e32 vcc_lo, 32, v5
	v_cndmask_b32_e32 v5, v1, v5, vcc_lo
	s_waitcnt lgkmcnt(0)
	v_max_f32_e32 v6, v3, v3
	v_lshlrev_b32_e32 v3, 2, v5
	v_max_f32_e32 v4, v4, v6
	v_xor_b32_e32 v6, 2, v1
	ds_bpermute_b32 v5, v3, v4
	v_cmp_gt_i32_e32 vcc_lo, 32, v6
	v_cndmask_b32_e32 v6, v1, v6, vcc_lo
	v_lshlrev_b32_e32 v55, 2, v6
	v_xor_b32_e32 v6, 1, v1
	v_cmp_gt_i32_e32 vcc_lo, 32, v6
	s_waitcnt lgkmcnt(0)
	v_max_f32_e32 v5, v5, v5
	v_cndmask_b32_e32 v6, v1, v6, vcc_lo
	v_max_f32_e32 v4, v4, v5
	v_lshlrev_b32_e32 v54, 2, v6
	ds_bpermute_b32 v5, v55, v4
	s_waitcnt lgkmcnt(0)
	v_max_f32_e32 v5, v5, v5
	v_max_f32_e32 v1, v4, v5
	buffer_load_dword v4, off, s[40:43], 0  ; 4-byte Folded Reload
	ds_bpermute_b32 v5, v54, v1
	s_waitcnt vmcnt(0)
	v_cmp_eq_u32_e32 vcc_lo, 0, v4
	v_lshlrev_b32_e32 v4, 2, v82
	s_and_saveexec_b32 s1, vcc_lo
	s_cbranch_execz .LBB146_18
; %bb.17:
	s_waitcnt lgkmcnt(0)
	v_max_f32_e32 v5, v5, v5
	v_max_f32_e32 v1, v1, v1
	;; [unrolled: 1-line block ×3, first 2 shown]
	ds_write_b32 v4, v1 offset:160
.LBB146_18:
	s_or_b32 exec_lo, exec_lo, s1
	buffer_load_dword v1, off, s[40:43], 0  ; 4-byte Folded Reload
	s_waitcnt vmcnt(0) lgkmcnt(0)
	s_waitcnt_vscnt null, 0x0
	s_barrier
	buffer_gl0_inv
	v_cmp_gt_u32_e64 s1, 4, v1
	v_mov_b32_e32 v1, 0xff7fffff
	s_and_saveexec_b32 s2, s1
; %bb.19:
	ds_read_b32 v1, v30 offset:160
; %bb.20:
	s_or_b32 exec_lo, exec_lo, s2
	s_waitcnt lgkmcnt(0)
	ds_bpermute_b32 v5, v55, v1
	v_max_f32_e32 v1, v1, v1
	s_lshl_b32 s2, s16, 5
	s_min_i32 s4, s2, s28
	v_cmp_gt_i32_e64 s2, s4, v81
	s_waitcnt lgkmcnt(0)
	v_max_f32_e32 v5, v5, v5
	v_max_f32_e32 v1, v1, v5
	ds_bpermute_b32 v5, v54, v1
	s_waitcnt lgkmcnt(0)
	v_max_f32_e32 v5, v5, v5
	v_max_f32_e32 v1, v1, v5
	v_mov_b32_e32 v5, 0
	ds_bpermute_b32 v6, v5, v1
	v_lshl_add_u32 v1, v81, 2, 0xc0
	s_and_saveexec_b32 s5, s2
	s_cbranch_execz .LBB146_24
; %bb.21:
	v_lshl_add_u32 v7, v81, 2, 0xc0
	v_mov_b32_e32 v5, 0
	v_mov_b32_e32 v8, v81
	s_mov_b32 s15, 0
	.p2align	6
.LBB146_22:                             ; =>This Inner Loop Header: Depth=1
	ds_read_b32 v9, v7
	v_add_nc_u32_e32 v8, 0x80, v8
	v_cmp_le_i32_e64 s3, s4, v8
	s_or_b32 s15, s3, s15
	s_waitcnt lgkmcnt(0)
	v_sub_f32_e32 v9, v9, v6
	v_mul_f32_e32 v9, 0x3fb8aa3b, v9
	v_exp_f32_e32 v9, v9
	ds_write_b32 v7, v9
	v_add_f32_e32 v5, v5, v9
	v_add_nc_u32_e32 v7, 0x200, v7
	s_andn2_b32 exec_lo, exec_lo, s15
	s_cbranch_execnz .LBB146_22
; %bb.23:
	s_or_b32 exec_lo, exec_lo, s15
.LBB146_24:
	s_or_b32 exec_lo, exec_lo, s5
	ds_bpermute_b32 v0, v0, v5
	s_waitcnt lgkmcnt(0)
	v_add_f32_e32 v0, v5, v0
	ds_bpermute_b32 v2, v2, v0
	s_waitcnt lgkmcnt(0)
	v_add_f32_e32 v0, v0, v2
	;; [unrolled: 3-line block ×5, first 2 shown]
	s_and_saveexec_b32 s3, vcc_lo
; %bb.25:
	ds_write_b32 v4, v0 offset:176
; %bb.26:
	s_or_b32 exec_lo, exec_lo, s3
	s_waitcnt lgkmcnt(0)
	s_barrier
	buffer_gl0_inv
	s_and_saveexec_b32 s3, s1
; %bb.27:
	ds_read_b32 v0, v30 offset:176
; %bb.28:
	s_or_b32 exec_lo, exec_lo, s3
	s_waitcnt lgkmcnt(0)
	ds_bpermute_b32 v2, v55, v0
	s_waitcnt lgkmcnt(0)
	v_add_f32_e32 v0, v0, v2
	ds_bpermute_b32 v2, v54, v0
	s_waitcnt lgkmcnt(0)
	v_add_f32_e32 v0, v0, v2
	v_mov_b32_e32 v2, 0
	ds_bpermute_b32 v0, v2, v0
	s_and_saveexec_b32 s1, s2
	s_cbranch_execz .LBB146_31
; %bb.29:
	s_waitcnt lgkmcnt(0)
	v_add_f32_e32 v0, 0x358637bd, v0
	s_mov_b32 s2, 0
	v_div_scale_f32 v2, null, v0, v0, 1.0
	v_div_scale_f32 v5, vcc_lo, 1.0, v0, 1.0
	v_rcp_f32_e32 v3, v2
	v_fma_f32 v4, -v2, v3, 1.0
	v_fmac_f32_e32 v3, v4, v3
	v_mul_f32_e32 v4, v5, v3
	v_fma_f32 v6, -v2, v4, v5
	v_fmac_f32_e32 v4, v6, v3
	v_fma_f32 v2, -v2, v4, v5
	v_div_fmas_f32 v2, v2, v3, v4
	v_div_fixup_f32 v0, v2, v0, 1.0
	v_mov_b32_e32 v2, v81
.LBB146_30:                             ; =>This Inner Loop Header: Depth=1
	ds_read_b32 v3, v1
	v_add_nc_u32_e32 v2, 0x80, v2
	v_cmp_le_i32_e32 vcc_lo, s4, v2
	s_or_b32 s2, vcc_lo, s2
	s_waitcnt lgkmcnt(0)
	v_mul_f32_e32 v3, v0, v3
	ds_write_b32 v1, v3
	v_add_nc_u32_e32 v1, 0x200, v1
	s_andn2_b32 exec_lo, exec_lo, s2
	s_cbranch_execnz .LBB146_30
.LBB146_31:
	s_or_b32 exec_lo, exec_lo, s1
	v_mov_b32_e32 v65, 0
	v_and_b32_e32 v56, 3, v81
	v_mov_b32_e32 v66, 0
	v_mov_b32_e32 v64, 0
	;; [unrolled: 1-line block ×9, first 2 shown]
	s_waitcnt lgkmcnt(0)
	s_barrier
	buffer_gl0_inv
	s_and_saveexec_b32 s3, s0
	s_cbranch_execz .LBB146_57
; %bb.32:
	s_ashr_i32 s15, s14, 31
	s_sub_i32 s4, s30, s17
	s_lshl_b64 s[0:1], s[14:15], 1
	v_lshlrev_b32_e32 v1, 3, v81
	s_add_u32 s2, s26, s0
	s_addc_u32 s15, s27, s1
	s_abs_i32 s5, s18
	v_lshlrev_b32_e32 v4, 5, v56
	v_cvt_f32_u32_e32 v0, s5
	s_sub_i32 s0, 0, s5
	v_and_b32_e32 v68, 24, v1
	v_and_b32_e32 v2, 0x1f0, v10
	;; [unrolled: 1-line block ×3, first 2 shown]
	v_rcp_iflag_f32_e32 v0, v0
	s_add_i32 s14, s16, -1
	v_lshl_or_b32 v4, v82, 7, v4
	v_add_co_u32 v69, s2, s2, v2
	v_mov_b32_e32 v67, 0
	v_mov_b32_e32 v57, 0
	;; [unrolled: 1-line block ×5, first 2 shown]
	v_mul_f32_e32 v0, 0x4f7ffffe, v0
	v_mov_b32_e32 v61, 0
	v_mov_b32_e32 v62, 0
	;; [unrolled: 1-line block ×4, first 2 shown]
	v_cvt_u32_f32_e32 v0, v0
	v_mov_b32_e32 v66, 0
	v_mov_b32_e32 v65, 0
	v_add_co_ci_u32_e64 v70, null, s15, 0, s2
	v_mul_lo_u32 v1, s0, v0
	s_lshl_b64 s[0:1], s[24:25], 2
	v_add_nc_u32_e32 v71, 0xc0, v4
	s_add_u32 s0, s22, s0
	s_addc_u32 s1, s23, s1
	v_add_co_u32 v49, s0, s0, v3
	v_add_co_ci_u32_e64 v50, null, s1, 0, s0
	v_mul_hi_u32 v1, v0, v1
	v_mov_b32_e32 v73, v82
	s_mov_b32 s17, s28
	s_mov_b32 s15, 0
	v_add_nc_u32_e32 v72, v0, v1
	s_branch .LBB146_35
.LBB146_33:                             ;   in Loop: Header=BB146_35 Depth=1
	s_or_b32 exec_lo, exec_lo, s2
	s_waitcnt lgkmcnt(1)
	v_bfe_u32 v0, v33, 16, 1
	v_or_b32_e32 v51, 0x400000, v33
	v_bfe_u32 v52, v34, 16, 1
	v_cmp_u_f32_e32 vcc_lo, v33, v33
	v_bfe_u32 v74, v35, 16, 1
	v_add3_u32 v0, v0, v33, 0x7fff
	v_or_b32_e32 v75, 0x400000, v34
	v_add3_u32 v52, v52, v34, 0x7fff
	v_or_b32_e32 v76, 0x400000, v35
	v_add3_u32 v74, v74, v35, 0x7fff
	v_cndmask_b32_e32 v33, v0, v51, vcc_lo
	v_cmp_u_f32_e32 vcc_lo, v34, v34
	v_bfe_u32 v0, v36, 16, 1
	s_waitcnt lgkmcnt(0)
	v_bfe_u32 v51, v29, 16, 1
	s_waitcnt vmcnt(1)
	v_and_b32_e32 v78, 0xffff0000, v48
	v_and_b32_e32 v33, 0xffff0000, v33
	v_cndmask_b32_e32 v34, v52, v75, vcc_lo
	v_cmp_u_f32_e32 vcc_lo, v35, v35
	v_add3_u32 v0, v0, v36, 0x7fff
	v_or_b32_e32 v52, 0x400000, v36
	v_add3_u32 v51, v51, v29, 0x7fff
	v_bfe_u32 v75, v30, 16, 1
	v_cndmask_b32_e32 v35, v74, v76, vcc_lo
	v_cmp_u_f32_e32 vcc_lo, v36, v36
	v_or_b32_e32 v74, 0x400000, v29
	v_cndmask_b32_e32 v36, v0, v52, vcc_lo
	v_cmp_u_f32_e32 vcc_lo, v29, v29
	v_add3_u32 v29, v75, v30, 0x7fff
	v_or_b32_e32 v52, 0x400000, v30
	v_and_b32_e32 v0, 0xffff0000, v34
	v_and_b32_e32 v34, 0xffff0000, v45
	v_cndmask_b32_e32 v51, v51, v74, vcc_lo
	v_bfe_u32 v74, v31, 16, 1
	v_cmp_u_f32_e32 vcc_lo, v30, v30
	v_mul_f32_e32 v75, v0, v34
	v_lshlrev_b32_e32 v34, 16, v45
	v_cndmask_b32_e32 v30, v29, v52, vcc_lo
	v_add3_u32 v29, v74, v31, 0x7fff
	v_or_b32_e32 v52, 0x400000, v31
	v_bfe_u32 v74, v32, 16, 1
	v_cmp_u_f32_e32 vcc_lo, v31, v31
	v_mul_f32_e32 v76, v33, v34
	v_and_b32_e32 v34, 0xffff0000, v46
	v_and_b32_e32 v30, 0xffff0000, v30
	v_add3_u32 v31, v74, v32, 0x7fff
	v_cndmask_b32_e32 v45, v29, v52, vcc_lo
	v_or_b32_e32 v52, 0x400000, v32
	v_bfe_u32 v74, v75, 16, 1
	v_and_b32_e32 v29, 0xffff0000, v36
	v_cmp_u_f32_e32 vcc_lo, v32, v32
	v_or_b32_e32 v36, 0x400000, v75
	v_add3_u32 v32, v74, v75, 0x7fff
	v_mul_f32_e32 v74, v29, v34
	v_cndmask_b32_e32 v31, v31, v52, vcc_lo
	v_bfe_u32 v52, v76, 16, 1
	v_and_b32_e32 v34, 0xffff0000, v35
	v_lshlrev_b32_e32 v35, 16, v46
	v_cmp_u_f32_e32 vcc_lo, v75, v75
	v_or_b32_e32 v46, 0x400000, v76
	v_and_b32_e32 v31, 0xffff0000, v31
	v_mul_f32_e32 v75, v34, v35
	v_cndmask_b32_e32 v36, v32, v36, vcc_lo
	v_add3_u32 v32, v52, v76, 0x7fff
	v_bfe_u32 v52, v74, 16, 1
	v_and_b32_e32 v35, 0xffff0000, v47
	v_cmp_u_f32_e32 vcc_lo, v76, v76
	v_bfe_u32 v76, v75, 16, 1
	v_lshlrev_b32_e32 v47, 16, v47
	v_and_b32_e32 v36, 0xffff0000, v36
	v_mul_f32_e32 v77, v30, v35
	v_cndmask_b32_e32 v46, v32, v46, vcc_lo
	v_add3_u32 v32, v52, v74, 0x7fff
	v_or_b32_e32 v52, 0x400000, v74
	v_and_b32_e32 v35, 0xffff0000, v51
	v_cmp_u_f32_e32 vcc_lo, v74, v74
	v_or_b32_e32 v74, 0x400000, v75
	v_and_b32_e32 v46, 0xffff0000, v46
	v_mul_f32_e32 v47, v35, v47
	v_cndmask_b32_e32 v51, v32, v52, vcc_lo
	v_add3_u32 v52, v76, v75, 0x7fff
	v_bfe_u32 v76, v77, 16, 1
	v_and_b32_e32 v32, 0xffff0000, v45
	v_lshlrev_b32_e32 v45, 16, v48
	v_cmp_u_f32_e32 vcc_lo, v75, v75
	v_mul_f32_e32 v75, v31, v78
	v_or_b32_e32 v78, 0x400000, v47
	v_and_b32_e32 v51, 0xffff0000, v51
	v_mul_f32_e32 v45, v32, v45
	v_cndmask_b32_e32 v48, v52, v74, vcc_lo
	v_bfe_u32 v52, v47, 16, 1
	v_add3_u32 v74, v76, v77, 0x7fff
	v_or_b32_e32 v76, 0x400000, v77
	v_cmp_u_f32_e32 vcc_lo, v77, v77
	v_bfe_u32 v80, v45, 16, 1
	v_add3_u32 v52, v52, v47, 0x7fff
	v_bfe_u32 v79, v75, 16, 1
	v_or_b32_e32 v77, 0x400000, v45
	v_cndmask_b32_e32 v74, v74, v76, vcc_lo
	v_cmp_u_f32_e32 vcc_lo, v47, v47
	v_add3_u32 v76, v80, v45, 0x7fff
	v_and_b32_e32 v48, 0xffff0000, v48
	v_add_f32_e32 v36, v46, v36
	v_cndmask_b32_e32 v47, v52, v78, vcc_lo
	v_cmp_u_f32_e32 vcc_lo, v45, v45
	v_add3_u32 v52, v79, v75, 0x7fff
	v_or_b32_e32 v78, 0x400000, v75
	v_add_f32_e32 v46, v48, v51
	v_and_b32_e32 v47, 0xffff0000, v47
	v_cndmask_b32_e32 v45, v76, v77, vcc_lo
	v_cmp_u_f32_e32 vcc_lo, v75, v75
	v_and_b32_e32 v48, 0xffff0000, v74
	v_add_f32_e32 v36, v46, v36
	v_and_b32_e32 v45, 0xffff0000, v45
	v_cndmask_b32_e32 v51, v52, v78, vcc_lo
	v_add_f32_e32 v46, v47, v48
	v_and_b32_e32 v48, 0xffff0000, v41
	v_lshlrev_b32_e32 v41, 16, v41
	v_and_b32_e32 v52, 0xffff0000, v44
	v_and_b32_e32 v47, 0xffff0000, v51
	v_add_f32_e32 v36, v46, v36
	v_mul_f32_e32 v46, v0, v48
	v_mul_f32_e32 v41, v33, v41
	v_and_b32_e32 v48, 0xffff0000, v42
	v_add_f32_e32 v45, v45, v47
	v_lshlrev_b32_e32 v42, 16, v42
	v_cmp_u_f32_e32 vcc_lo, v46, v46
	v_bfe_u32 v47, v41, 16, 1
	v_mul_f32_e32 v48, v29, v48
	v_add_f32_e32 v36, v45, v36
	v_bfe_u32 v45, v46, 16, 1
	v_or_b32_e32 v51, 0x400000, v41
	v_add3_u32 v47, v47, v41, 0x7fff
	v_mul_f32_e32 v42, v34, v42
	v_add_f32_e32 v58, v58, v36
	v_add3_u32 v36, v45, v46, 0x7fff
	v_or_b32_e32 v45, 0x400000, v46
	v_and_b32_e32 v46, 0xffff0000, v43
	v_lshlrev_b32_e32 v43, 16, v43
	v_lshlrev_b32_e32 v44, 16, v44
	v_cndmask_b32_e32 v36, v36, v45, vcc_lo
	v_bfe_u32 v45, v48, 16, 1
	v_cmp_u_f32_e32 vcc_lo, v41, v41
	v_mul_f32_e32 v46, v30, v46
	v_mul_f32_e32 v43, v35, v43
	;; [unrolled: 1-line block ×3, first 2 shown]
	v_add3_u32 v45, v45, v48, 0x7fff
	v_cndmask_b32_e32 v41, v47, v51, vcc_lo
	v_or_b32_e32 v47, 0x400000, v48
	v_bfe_u32 v51, v42, 16, 1
	v_cmp_u_f32_e32 vcc_lo, v48, v48
	v_or_b32_e32 v48, 0x400000, v42
	v_bfe_u32 v74, v43, 16, 1
	v_and_b32_e32 v41, 0xffff0000, v41
	v_and_b32_e32 v36, 0xffff0000, v36
	v_cndmask_b32_e32 v45, v45, v47, vcc_lo
	v_add3_u32 v47, v51, v42, 0x7fff
	v_bfe_u32 v51, v46, 16, 1
	v_cmp_u_f32_e32 vcc_lo, v42, v42
	v_add_f32_e32 v36, v41, v36
	v_and_b32_e32 v45, 0xffff0000, v45
	v_cndmask_b32_e32 v42, v47, v48, vcc_lo
	v_add3_u32 v47, v51, v46, 0x7fff
	v_mul_f32_e32 v48, v31, v52
	v_or_b32_e32 v51, 0x400000, v46
	v_cmp_u_f32_e32 vcc_lo, v46, v46
	v_add3_u32 v52, v74, v43, 0x7fff
	v_or_b32_e32 v74, 0x400000, v43
	v_bfe_u32 v75, v48, 16, 1
	v_and_b32_e32 v42, 0xffff0000, v42
	v_cndmask_b32_e32 v46, v47, v51, vcc_lo
	v_cmp_u_f32_e32 vcc_lo, v43, v43
	v_or_b32_e32 v51, 0x400000, v48
	v_add3_u32 v47, v75, v48, 0x7fff
	v_add_f32_e32 v41, v42, v45
	v_and_b32_e32 v45, 0xffff0000, v46
	v_cndmask_b32_e32 v43, v52, v74, vcc_lo
	v_bfe_u32 v52, v44, 16, 1
	v_cmp_u_f32_e32 vcc_lo, v48, v48
	v_add_f32_e32 v36, v41, v36
	v_and_b32_e32 v42, 0xffff0000, v43
	v_add3_u32 v48, v52, v44, 0x7fff
	v_cndmask_b32_e32 v47, v47, v51, vcc_lo
	v_or_b32_e32 v51, 0x400000, v44
	v_and_b32_e32 v43, 0xffff0000, v37
	v_cmp_u_f32_e32 vcc_lo, v44, v44
	v_add_f32_e32 v42, v42, v45
	v_lshlrev_b32_e32 v37, 16, v37
	v_mul_f32_e32 v41, v0, v43
	v_cndmask_b32_e32 v44, v48, v51, vcc_lo
	v_add_f32_e32 v36, v42, v36
	v_mul_f32_e32 v37, v33, v37
	v_and_b32_e32 v42, 0xffff0000, v38
	v_bfe_u32 v45, v41, 16, 1
	v_and_b32_e32 v43, 0xffff0000, v44
	v_and_b32_e32 v44, 0xffff0000, v47
	v_bfe_u32 v46, v37, 16, 1
	v_mul_f32_e32 v42, v29, v42
	v_lshlrev_b32_e32 v38, 16, v38
	v_cmp_u_f32_e32 vcc_lo, v41, v41
	v_add_f32_e32 v43, v43, v44
	v_add3_u32 v44, v45, v41, 0x7fff
	v_or_b32_e32 v45, 0x400000, v41
	v_mul_f32_e32 v38, v34, v38
	v_and_b32_e32 v47, 0xffff0000, v39
	v_lshlrev_b32_e32 v39, 16, v39
	v_and_b32_e32 v48, 0xffff0000, v40
	v_cndmask_b32_e32 v41, v44, v45, vcc_lo
	v_add3_u32 v44, v46, v37, 0x7fff
	v_or_b32_e32 v45, 0x400000, v37
	v_bfe_u32 v46, v42, 16, 1
	v_cmp_u_f32_e32 vcc_lo, v37, v37
	v_mul_f32_e32 v47, v30, v47
	v_mul_f32_e32 v39, v35, v39
	v_lshlrev_b32_e32 v40, 16, v40
	v_and_b32_e32 v41, 0xffff0000, v41
	v_cndmask_b32_e32 v37, v44, v45, vcc_lo
	v_add3_u32 v44, v46, v42, 0x7fff
	v_or_b32_e32 v45, 0x400000, v42
	v_bfe_u32 v46, v38, 16, 1
	v_cmp_u_f32_e32 vcc_lo, v42, v42
	v_mul_f32_e32 v40, v32, v40
	v_or_b32_e32 v51, 0x400000, v39
	v_and_b32_e32 v37, 0xffff0000, v37
	v_add_f32_e32 v36, v43, v36
	v_cndmask_b32_e32 v42, v44, v45, vcc_lo
	v_add3_u32 v44, v46, v38, 0x7fff
	v_or_b32_e32 v45, 0x400000, v38
	v_bfe_u32 v46, v47, 16, 1
	v_cmp_u_f32_e32 vcc_lo, v38, v38
	v_and_b32_e32 v42, 0xffff0000, v42
	v_add_f32_e32 v37, v37, v41
	v_add_f32_e32 v59, v59, v36
	v_cndmask_b32_e32 v38, v44, v45, vcc_lo
	v_bfe_u32 v44, v39, 16, 1
	v_add3_u32 v45, v46, v47, 0x7fff
	v_mul_f32_e32 v46, v31, v48
	v_or_b32_e32 v48, 0x400000, v47
	v_cmp_u_f32_e32 vcc_lo, v47, v47
	v_add3_u32 v44, v44, v39, 0x7fff
	v_bfe_u32 v47, v40, 16, 1
	v_bfe_u32 v52, v46, 16, 1
	v_and_b32_e32 v38, 0xffff0000, v38
	v_cndmask_b32_e32 v45, v45, v48, vcc_lo
	v_cmp_u_f32_e32 vcc_lo, v39, v39
	v_add3_u32 v47, v47, v40, 0x7fff
	v_or_b32_e32 v48, 0x400000, v46
	v_add_f32_e32 v38, v38, v42
	v_and_b32_e32 v41, 0xffff0000, v45
	v_cndmask_b32_e32 v39, v44, v51, vcc_lo
	v_or_b32_e32 v51, 0x400000, v40
	v_cmp_u_f32_e32 vcc_lo, v40, v40
	v_add3_u32 v44, v52, v46, 0x7fff
	v_add_f32_e32 v37, v38, v37
	v_and_b32_e32 v39, 0xffff0000, v39
	v_cndmask_b32_e32 v40, v47, v51, vcc_lo
	v_cmp_u_f32_e32 vcc_lo, v46, v46
	v_add_f32_e32 v38, v39, v41
	v_and_b32_e32 v39, 0xffff0000, v25
	v_and_b32_e32 v40, 0xffff0000, v40
	v_cndmask_b32_e32 v42, v44, v48, vcc_lo
	v_lshlrev_b32_e32 v25, 16, v25
	v_add_f32_e32 v37, v38, v37
	v_mul_f32_e32 v39, v0, v39
	v_and_b32_e32 v41, 0xffff0000, v42
	v_mul_f32_e32 v25, v33, v25
	v_cmp_u_f32_e32 vcc_lo, v39, v39
	v_add_f32_e32 v38, v40, v41
	v_and_b32_e32 v40, 0xffff0000, v26
	v_bfe_u32 v41, v39, 16, 1
	v_bfe_u32 v36, v25, 16, 1
	v_lshlrev_b32_e32 v26, 16, v26
	v_add_f32_e32 v37, v38, v37
	v_mul_f32_e32 v38, v29, v40
	v_add3_u32 v40, v41, v39, 0x7fff
	v_or_b32_e32 v41, 0x400000, v39
	v_add3_u32 v36, v36, v25, 0x7fff
	v_or_b32_e32 v42, 0x400000, v25
	v_bfe_u32 v43, v38, 16, 1
	v_mul_f32_e32 v26, v34, v26
	v_cndmask_b32_e32 v39, v40, v41, vcc_lo
	v_cmp_u_f32_e32 vcc_lo, v25, v25
	v_and_b32_e32 v41, 0xffff0000, v27
	v_or_b32_e32 v40, 0x400000, v38
	v_lshlrev_b32_e32 v27, 16, v27
	v_and_b32_e32 v39, 0xffff0000, v39
	v_cndmask_b32_e32 v25, v36, v42, vcc_lo
	v_add3_u32 v36, v43, v38, 0x7fff
	v_bfe_u32 v42, v26, 16, 1
	v_cmp_u_f32_e32 vcc_lo, v38, v38
	v_mul_f32_e32 v38, v30, v41
	v_mul_f32_e32 v27, v35, v27
	v_or_b32_e32 v41, 0x400000, v26
	v_and_b32_e32 v25, 0xffff0000, v25
	v_cndmask_b32_e32 v36, v36, v40, vcc_lo
	v_add3_u32 v40, v42, v26, 0x7fff
	v_and_b32_e32 v42, 0xffff0000, v28
	v_bfe_u32 v43, v38, 16, 1
	v_cmp_u_f32_e32 vcc_lo, v26, v26
	v_bfe_u32 v44, v27, 16, 1
	v_lshlrev_b32_e32 v28, 16, v28
	v_and_b32_e32 v36, 0xffff0000, v36
	v_add_f32_e32 v25, v25, v39
	v_cndmask_b32_e32 v26, v40, v41, vcc_lo
	v_mul_f32_e32 v40, v31, v42
	v_add3_u32 v41, v43, v38, 0x7fff
	v_or_b32_e32 v42, 0x400000, v38
	v_cmp_u_f32_e32 vcc_lo, v38, v38
	v_add3_u32 v43, v44, v27, 0x7fff
	v_or_b32_e32 v44, 0x400000, v27
	v_bfe_u32 v45, v40, 16, 1
	v_and_b32_e32 v26, 0xffff0000, v26
	v_cndmask_b32_e32 v38, v41, v42, vcc_lo
	v_cmp_u_f32_e32 vcc_lo, v27, v27
	v_or_b32_e32 v42, 0x400000, v40
	v_add3_u32 v41, v45, v40, 0x7fff
	v_mul_f32_e32 v28, v32, v28
	v_add_f32_e32 v26, v26, v36
	v_cndmask_b32_e32 v27, v43, v44, vcc_lo
	v_cmp_u_f32_e32 vcc_lo, v40, v40
	v_and_b32_e32 v36, 0xffff0000, v21
	v_and_b32_e32 v38, 0xffff0000, v38
	v_add_f32_e32 v25, v26, v25
	v_and_b32_e32 v27, 0xffff0000, v27
	v_cndmask_b32_e32 v40, v41, v42, vcc_lo
	v_bfe_u32 v41, v28, 16, 1
	v_mul_f32_e32 v26, v0, v36
	v_lshlrev_b32_e32 v21, 16, v21
	v_add_f32_e32 v27, v27, v38
	v_cmp_u_f32_e32 vcc_lo, v28, v28
	v_add3_u32 v39, v41, v28, 0x7fff
	v_or_b32_e32 v41, 0x400000, v28
	v_bfe_u32 v36, v26, 16, 1
	v_add_f32_e32 v25, v27, v25
	v_mul_f32_e32 v21, v33, v21
	v_and_b32_e32 v27, 0xffff0000, v22
	v_cndmask_b32_e32 v28, v39, v41, vcc_lo
	v_add3_u32 v36, v36, v26, 0x7fff
	v_or_b32_e32 v38, 0x400000, v26
	v_bfe_u32 v39, v21, 16, 1
	v_mul_f32_e32 v27, v29, v27
	v_lshlrev_b32_e32 v22, 16, v22
	v_cmp_u_f32_e32 vcc_lo, v26, v26
	v_and_b32_e32 v41, 0xffff0000, v23
	v_lshlrev_b32_e32 v23, 16, v23
	v_and_b32_e32 v42, 0xffff0000, v24
	v_mul_f32_e32 v22, v34, v22
	v_cndmask_b32_e32 v26, v36, v38, vcc_lo
	v_add3_u32 v36, v39, v21, 0x7fff
	v_or_b32_e32 v38, 0x400000, v21
	v_bfe_u32 v39, v27, 16, 1
	v_cmp_u_f32_e32 vcc_lo, v21, v21
	v_mul_f32_e32 v41, v30, v41
	v_mul_f32_e32 v23, v35, v23
	v_lshlrev_b32_e32 v24, 16, v24
	v_and_b32_e32 v26, 0xffff0000, v26
	v_cndmask_b32_e32 v21, v36, v38, vcc_lo
	v_add3_u32 v36, v39, v27, 0x7fff
	v_or_b32_e32 v38, 0x400000, v27
	v_bfe_u32 v39, v22, 16, 1
	v_cmp_u_f32_e32 vcc_lo, v27, v27
	v_mul_f32_e32 v24, v32, v24
	v_or_b32_e32 v43, 0x400000, v23
	v_and_b32_e32 v21, 0xffff0000, v21
	v_and_b32_e32 v28, 0xffff0000, v28
	v_cndmask_b32_e32 v27, v36, v38, vcc_lo
	v_add3_u32 v36, v39, v22, 0x7fff
	v_or_b32_e32 v38, 0x400000, v22
	v_bfe_u32 v39, v41, 16, 1
	v_cmp_u_f32_e32 vcc_lo, v22, v22
	v_bfe_u32 v45, v24, 16, 1
	v_and_b32_e32 v27, 0xffff0000, v27
	v_add_f32_e32 v21, v21, v26
	v_add_f32_e32 v60, v60, v37
	v_cndmask_b32_e32 v22, v36, v38, vcc_lo
	v_bfe_u32 v36, v23, 16, 1
	v_add3_u32 v38, v39, v41, 0x7fff
	v_mul_f32_e32 v39, v31, v42
	v_or_b32_e32 v42, 0x400000, v41
	v_cmp_u_f32_e32 vcc_lo, v41, v41
	v_add3_u32 v36, v36, v23, 0x7fff
	v_add3_u32 v41, v45, v24, 0x7fff
	v_bfe_u32 v44, v39, 16, 1
	v_and_b32_e32 v22, 0xffff0000, v22
	v_cndmask_b32_e32 v38, v38, v42, vcc_lo
	v_cmp_u_f32_e32 vcc_lo, v23, v23
	v_or_b32_e32 v42, 0x400000, v24
	v_add_f32_e32 v22, v22, v27
	v_and_b32_e32 v26, 0xffff0000, v38
	v_cndmask_b32_e32 v23, v36, v43, vcc_lo
	v_cmp_u_f32_e32 vcc_lo, v24, v24
	v_add3_u32 v36, v44, v39, 0x7fff
	v_or_b32_e32 v43, 0x400000, v39
	v_add_f32_e32 v21, v22, v21
	v_and_b32_e32 v23, 0xffff0000, v23
	v_cndmask_b32_e32 v24, v41, v42, vcc_lo
	v_cmp_u_f32_e32 vcc_lo, v39, v39
	v_add_f32_e32 v22, v23, v26
	v_and_b32_e32 v23, 0xffff0000, v24
	v_cndmask_b32_e32 v27, v36, v43, vcc_lo
	v_and_b32_e32 v36, 0xffff0000, v40
	v_and_b32_e32 v26, 0xffff0000, v17
	v_lshlrev_b32_e32 v17, 16, v17
	v_add_f32_e32 v21, v22, v21
	v_and_b32_e32 v24, 0xffff0000, v27
	v_add_f32_e32 v27, v28, v36
	v_mul_f32_e32 v17, v33, v17
	v_add_f32_e32 v22, v23, v24
	v_mul_f32_e32 v23, v0, v26
	v_add_f32_e32 v24, v27, v25
	v_and_b32_e32 v25, 0xffff0000, v18
	v_lshlrev_b32_e32 v18, 16, v18
	v_add_f32_e32 v21, v22, v21
	v_bfe_u32 v22, v23, 16, 1
	v_add_f32_e32 v61, v61, v24
	v_bfe_u32 v24, v17, 16, 1
	v_mul_f32_e32 v25, v29, v25
	v_add_f32_e32 v62, v62, v21
	v_add3_u32 v21, v22, v23, 0x7fff
	v_or_b32_e32 v22, 0x400000, v23
	v_cmp_u_f32_e32 vcc_lo, v23, v23
	v_add3_u32 v24, v24, v17, 0x7fff
	v_or_b32_e32 v26, 0x400000, v17
	v_mul_f32_e32 v18, v34, v18
	v_and_b32_e32 v23, 0xffff0000, v19
	v_cndmask_b32_e32 v21, v21, v22, vcc_lo
	v_bfe_u32 v22, v25, 16, 1
	v_cmp_u_f32_e32 vcc_lo, v17, v17
	v_lshlrev_b32_e32 v19, 16, v19
	v_mul_f32_e32 v23, v30, v23
	v_and_b32_e32 v27, 0xffff0000, v20
	v_add3_u32 v22, v22, v25, 0x7fff
	v_cndmask_b32_e32 v17, v24, v26, vcc_lo
	v_or_b32_e32 v24, 0x400000, v25
	v_bfe_u32 v26, v18, 16, 1
	v_cmp_u_f32_e32 vcc_lo, v25, v25
	v_mul_f32_e32 v19, v35, v19
	v_or_b32_e32 v25, 0x400000, v18
	v_lshlrev_b32_e32 v20, 16, v20
	v_and_b32_e32 v17, 0xffff0000, v17
	v_cndmask_b32_e32 v22, v22, v24, vcc_lo
	v_add3_u32 v24, v26, v18, 0x7fff
	v_bfe_u32 v26, v23, 16, 1
	v_cmp_u_f32_e32 vcc_lo, v18, v18
	v_bfe_u32 v28, v19, 16, 1
	v_mul_f32_e32 v20, v32, v20
	v_and_b32_e32 v21, 0xffff0000, v21
	v_and_b32_e32 v22, 0xffff0000, v22
	v_cndmask_b32_e32 v18, v24, v25, vcc_lo
	v_add3_u32 v24, v26, v23, 0x7fff
	v_mul_f32_e32 v25, v31, v27
	v_or_b32_e32 v26, 0x400000, v23
	v_cmp_u_f32_e32 vcc_lo, v23, v23
	v_add3_u32 v27, v28, v19, 0x7fff
	v_or_b32_e32 v28, 0x400000, v19
	v_bfe_u32 v36, v25, 16, 1
	v_and_b32_e32 v18, 0xffff0000, v18
	v_cndmask_b32_e32 v23, v24, v26, vcc_lo
	v_cmp_u_f32_e32 vcc_lo, v19, v19
	v_or_b32_e32 v26, 0x400000, v25
	v_add3_u32 v24, v36, v25, 0x7fff
	v_add_f32_e32 v17, v17, v21
	v_add_f32_e32 v18, v18, v22
	v_cndmask_b32_e32 v19, v27, v28, vcc_lo
	v_bfe_u32 v27, v20, 16, 1
	v_cmp_u_f32_e32 vcc_lo, v25, v25
	v_and_b32_e32 v22, 0xffff0000, v9
	v_and_b32_e32 v21, 0xffff0000, v23
	;; [unrolled: 1-line block ×3, first 2 shown]
	v_add3_u32 v25, v27, v20, 0x7fff
	v_cndmask_b32_e32 v24, v24, v26, vcc_lo
	v_or_b32_e32 v26, 0x400000, v20
	v_cmp_u_f32_e32 vcc_lo, v20, v20
	v_lshlrev_b32_e32 v9, 16, v9
	v_add_f32_e32 v17, v18, v17
	v_mul_f32_e32 v18, v0, v22
	v_add_f32_e32 v19, v19, v21
	v_cndmask_b32_e32 v20, v25, v26, vcc_lo
	v_mul_f32_e32 v21, v33, v9
	v_and_b32_e32 v22, 0xffff0000, v24
	v_bfe_u32 v23, v18, 16, 1
	v_and_b32_e32 v24, 0xffff0000, v10
	v_and_b32_e32 v20, 0xffff0000, v20
	v_add_f32_e32 v9, v19, v17
	v_bfe_u32 v19, v21, 16, 1
	v_lshlrev_b32_e32 v10, 16, v10
	v_cmp_u_f32_e32 vcc_lo, v18, v18
	v_add_f32_e32 v17, v20, v22
	v_add3_u32 v20, v23, v18, 0x7fff
	v_or_b32_e32 v22, 0x400000, v18
	v_mul_f32_e32 v23, v29, v24
	v_add3_u32 v19, v19, v21, 0x7fff
	v_or_b32_e32 v24, 0x400000, v21
	v_mul_f32_e32 v10, v34, v10
	v_cndmask_b32_e32 v18, v20, v22, vcc_lo
	v_bfe_u32 v20, v23, 16, 1
	v_cmp_u_f32_e32 vcc_lo, v21, v21
	v_and_b32_e32 v21, 0xffff0000, v11
	v_or_b32_e32 v22, 0x400000, v23
	v_lshlrev_b32_e32 v11, 16, v11
	v_add3_u32 v20, v20, v23, 0x7fff
	v_cndmask_b32_e32 v19, v19, v24, vcc_lo
	v_bfe_u32 v24, v10, 16, 1
	v_mul_f32_e32 v21, v30, v21
	v_cmp_u_f32_e32 vcc_lo, v23, v23
	v_mul_f32_e32 v11, v35, v11
	v_or_b32_e32 v23, 0x400000, v10
	v_and_b32_e32 v25, 0xffff0000, v12
	v_lshlrev_b32_e32 v12, 16, v12
	v_cndmask_b32_e32 v20, v20, v22, vcc_lo
	v_add3_u32 v22, v24, v10, 0x7fff
	v_bfe_u32 v24, v21, 16, 1
	v_cmp_u_f32_e32 vcc_lo, v10, v10
	v_bfe_u32 v26, v11, 16, 1
	v_mul_f32_e32 v12, v32, v12
	v_and_b32_e32 v19, 0xffff0000, v19
	v_and_b32_e32 v18, 0xffff0000, v18
	v_cndmask_b32_e32 v10, v22, v23, vcc_lo
	v_add3_u32 v22, v24, v21, 0x7fff
	v_mul_f32_e32 v23, v31, v25
	v_or_b32_e32 v24, 0x400000, v21
	v_cmp_u_f32_e32 vcc_lo, v21, v21
	v_add3_u32 v25, v26, v11, 0x7fff
	v_or_b32_e32 v26, 0x400000, v11
	v_bfe_u32 v27, v23, 16, 1
	v_and_b32_e32 v10, 0xffff0000, v10
	v_cndmask_b32_e32 v21, v22, v24, vcc_lo
	v_cmp_u_f32_e32 vcc_lo, v11, v11
	v_or_b32_e32 v24, 0x400000, v23
	v_add3_u32 v22, v27, v23, 0x7fff
	v_and_b32_e32 v20, 0xffff0000, v20
	v_add_f32_e32 v18, v19, v18
	v_cndmask_b32_e32 v11, v25, v26, vcc_lo
	v_bfe_u32 v25, v12, 16, 1
	v_cmp_u_f32_e32 vcc_lo, v23, v23
	v_add_f32_e32 v10, v10, v20
	v_and_b32_e32 v20, 0xffff0000, v5
	v_and_b32_e32 v11, 0xffff0000, v11
	v_add3_u32 v23, v25, v12, 0x7fff
	v_cndmask_b32_e32 v22, v22, v24, vcc_lo
	v_or_b32_e32 v24, 0x400000, v12
	v_cmp_u_f32_e32 vcc_lo, v12, v12
	v_and_b32_e32 v19, 0xffff0000, v21
	v_lshlrev_b32_e32 v5, 16, v5
	v_add_f32_e32 v10, v10, v18
	v_mul_f32_e32 v18, v0, v20
	v_cndmask_b32_e32 v12, v23, v24, vcc_lo
	v_add_f32_e32 v11, v11, v19
	v_mul_f32_e32 v19, v33, v5
	v_and_b32_e32 v20, 0xffff0000, v22
	v_and_b32_e32 v21, 0xffff0000, v6
	;; [unrolled: 1-line block ×3, first 2 shown]
	v_bfe_u32 v22, v18, 16, 1
	v_add_f32_e32 v5, v11, v10
	v_bfe_u32 v11, v19, 16, 1
	v_cmp_u_f32_e32 vcc_lo, v18, v18
	v_add_f32_e32 v10, v12, v20
	v_mul_f32_e32 v12, v29, v21
	v_add3_u32 v20, v22, v18, 0x7fff
	v_or_b32_e32 v21, 0x400000, v18
	v_add3_u32 v11, v11, v19, 0x7fff
	v_or_b32_e32 v22, 0x400000, v19
	v_bfe_u32 v23, v12, 16, 1
	v_lshlrev_b32_e32 v6, 16, v6
	v_cndmask_b32_e32 v18, v20, v21, vcc_lo
	v_cmp_u_f32_e32 vcc_lo, v19, v19
	v_or_b32_e32 v20, 0x400000, v12
	v_add3_u32 v19, v23, v12, 0x7fff
	v_mul_f32_e32 v6, v34, v6
	v_and_b32_e32 v21, 0xffff0000, v7
	v_cndmask_b32_e32 v11, v11, v22, vcc_lo
	v_cmp_u_f32_e32 vcc_lo, v12, v12
	v_lshlrev_b32_e32 v7, 16, v7
	v_bfe_u32 v22, v6, 16, 1
	v_and_b32_e32 v18, 0xffff0000, v18
	v_and_b32_e32 v11, 0xffff0000, v11
	v_cndmask_b32_e32 v12, v19, v20, vcc_lo
	v_mul_f32_e32 v19, v30, v21
	v_mul_f32_e32 v7, v35, v7
	v_add3_u32 v20, v22, v6, 0x7fff
	v_or_b32_e32 v21, 0x400000, v6
	v_and_b32_e32 v22, 0xffff0000, v8
	v_bfe_u32 v23, v19, 16, 1
	v_cmp_u_f32_e32 vcc_lo, v6, v6
	v_bfe_u32 v24, v7, 16, 1
	v_lshlrev_b32_e32 v8, 16, v8
	v_and_b32_e32 v12, 0xffff0000, v12
	v_add_f32_e32 v11, v11, v18
	v_cndmask_b32_e32 v6, v20, v21, vcc_lo
	v_mul_f32_e32 v20, v31, v22
	v_add3_u32 v21, v23, v19, 0x7fff
	v_or_b32_e32 v22, 0x400000, v19
	v_cmp_u_f32_e32 vcc_lo, v19, v19
	v_add3_u32 v23, v24, v7, 0x7fff
	v_or_b32_e32 v24, 0x400000, v7
	v_bfe_u32 v25, v20, 16, 1
	v_and_b32_e32 v6, 0xffff0000, v6
	v_cndmask_b32_e32 v19, v21, v22, vcc_lo
	v_cmp_u_f32_e32 vcc_lo, v7, v7
	v_or_b32_e32 v22, 0x400000, v20
	v_add3_u32 v21, v25, v20, 0x7fff
	v_mul_f32_e32 v8, v32, v8
	v_add_f32_e32 v6, v6, v12
	v_cndmask_b32_e32 v7, v23, v24, vcc_lo
	v_cmp_u_f32_e32 vcc_lo, v20, v20
	v_and_b32_e32 v12, 0xffff0000, v1
	v_and_b32_e32 v18, 0xffff0000, v19
	v_add_f32_e32 v6, v6, v11
	v_and_b32_e32 v7, 0xffff0000, v7
	v_cndmask_b32_e32 v20, v21, v22, vcc_lo
	v_bfe_u32 v21, v8, 16, 1
	v_mul_f32_e32 v11, v0, v12
	v_lshlrev_b32_e32 v1, 16, v1
	v_add_f32_e32 v7, v7, v18
	v_cmp_u_f32_e32 vcc_lo, v8, v8
	v_add3_u32 v19, v21, v8, 0x7fff
	v_or_b32_e32 v21, 0x400000, v8
	v_bfe_u32 v12, v11, 16, 1
	v_add_f32_e32 v6, v7, v6
	v_and_b32_e32 v7, 0xffff0000, v2
	v_mul_f32_e32 v1, v33, v1
	v_cndmask_b32_e32 v8, v19, v21, vcc_lo
	v_add3_u32 v12, v12, v11, 0x7fff
	v_or_b32_e32 v18, 0x400000, v11
	v_mul_f32_e32 v7, v29, v7
	v_and_b32_e32 v19, 0xffff0000, v20
	v_bfe_u32 v20, v1, 16, 1
	v_cmp_u_f32_e32 vcc_lo, v11, v11
	v_lshlrev_b32_e32 v2, 16, v2
	v_or_b32_e32 v21, 0x400000, v1
	v_or_b32_e32 v22, 0x400000, v7
	v_and_b32_e32 v8, 0xffff0000, v8
	v_cndmask_b32_e32 v11, v12, v18, vcc_lo
	v_bfe_u32 v12, v7, 16, 1
	v_add3_u32 v18, v20, v1, 0x7fff
	v_and_b32_e32 v20, 0xffff0000, v3
	v_mul_f32_e32 v2, v34, v2
	v_cmp_u_f32_e32 vcc_lo, v1, v1
	v_add3_u32 v12, v12, v7, 0x7fff
	v_lshlrev_b32_e32 v3, 16, v3
	v_mul_f32_e32 v20, v30, v20
	v_and_b32_e32 v11, 0xffff0000, v11
	v_cndmask_b32_e32 v1, v18, v21, vcc_lo
	v_bfe_u32 v18, v2, 16, 1
	v_cmp_u_f32_e32 vcc_lo, v7, v7
	v_and_b32_e32 v21, 0xffff0000, v4
	v_mul_f32_e32 v3, v35, v3
	v_or_b32_e32 v23, 0x400000, v20
	v_add3_u32 v18, v18, v2, 0x7fff
	v_cndmask_b32_e32 v7, v12, v22, vcc_lo
	v_bfe_u32 v12, v20, 16, 1
	v_or_b32_e32 v22, 0x400000, v2
	v_cmp_u_f32_e32 vcc_lo, v2, v2
	v_mul_f32_e32 v21, v31, v21
	v_lshlrev_b32_e32 v4, 16, v4
	v_add3_u32 v12, v12, v20, 0x7fff
	v_and_b32_e32 v1, 0xffff0000, v1
	v_cndmask_b32_e32 v2, v18, v22, vcc_lo
	v_bfe_u32 v18, v3, 16, 1
	v_cmp_u_f32_e32 vcc_lo, v20, v20
	v_bfe_u32 v22, v21, 16, 1
	v_or_b32_e32 v20, 0x400000, v3
	v_mul_f32_e32 v4, v32, v4
	v_add3_u32 v18, v18, v3, 0x7fff
	v_cndmask_b32_e32 v12, v12, v23, vcc_lo
	v_cmp_u_f32_e32 vcc_lo, v3, v3
	v_add3_u32 v22, v22, v21, 0x7fff
	v_or_b32_e32 v23, 0x400000, v21
	v_and_b32_e32 v2, 0xffff0000, v2
	v_and_b32_e32 v7, 0xffff0000, v7
	v_cndmask_b32_e32 v3, v18, v20, vcc_lo
	v_cmp_u_f32_e32 vcc_lo, v21, v21
	v_bfe_u32 v20, v4, 16, 1
	v_add_f32_e32 v1, v1, v11
	v_add_f32_e32 v2, v2, v7
	v_and_b32_e32 v3, 0xffff0000, v3
	v_cndmask_b32_e32 v18, v22, v23, vcc_lo
	s_waitcnt vmcnt(0)
	v_lshlrev_b32_e32 v22, 16, v13
	v_and_b32_e32 v7, 0xffff0000, v12
	v_and_b32_e32 v12, 0xffff0000, v13
	v_add3_u32 v20, v20, v4, 0x7fff
	v_or_b32_e32 v21, 0x400000, v4
	v_mul_f32_e32 v11, v33, v22
	v_cmp_u_f32_e32 vcc_lo, v4, v4
	v_add_f32_e32 v1, v2, v1
	v_add_f32_e32 v3, v3, v7
	v_mul_f32_e32 v0, v0, v12
	v_bfe_u32 v2, v11, 16, 1
	v_lshlrev_b32_e32 v7, 16, v14
	v_cndmask_b32_e32 v4, v20, v21, vcc_lo
	v_or_b32_e32 v12, 0x400000, v11
	v_bfe_u32 v13, v0, 16, 1
	v_add3_u32 v2, v2, v11, 0x7fff
	v_mul_f32_e32 v7, v34, v7
	v_and_b32_e32 v14, 0xffff0000, v14
	v_cmp_u_f32_e32 vcc_lo, v11, v11
	v_add3_u32 v11, v13, v0, 0x7fff
	v_lshlrev_b32_e32 v20, 16, v15
	v_bfe_u32 v13, v7, 16, 1
	v_mul_f32_e32 v14, v29, v14
	v_cndmask_b32_e32 v2, v2, v12, vcc_lo
	v_or_b32_e32 v12, 0x400000, v0
	v_cmp_u_f32_e32 vcc_lo, v0, v0
	v_mul_f32_e32 v20, v35, v20
	v_and_b32_e32 v15, 0xffff0000, v15
	v_lshlrev_b32_e32 v21, 16, v16
	v_and_b32_e32 v16, 0xffff0000, v16
	v_cndmask_b32_e32 v0, v11, v12, vcc_lo
	v_add3_u32 v11, v13, v7, 0x7fff
	v_or_b32_e32 v12, 0x400000, v7
	v_bfe_u32 v13, v14, 16, 1
	v_cmp_u_f32_e32 vcc_lo, v7, v7
	v_mul_f32_e32 v15, v30, v15
	v_mul_f32_e32 v16, v31, v16
	v_and_b32_e32 v0, 0xffff0000, v0
	v_and_b32_e32 v2, 0xffff0000, v2
	v_cndmask_b32_e32 v7, v11, v12, vcc_lo
	v_add3_u32 v11, v13, v14, 0x7fff
	v_or_b32_e32 v12, 0x400000, v14
	v_bfe_u32 v13, v20, 16, 1
	v_cmp_u_f32_e32 vcc_lo, v14, v14
	v_mul_f32_e32 v14, v32, v21
	v_or_b32_e32 v21, 0x400000, v20
	v_or_b32_e32 v22, 0x400000, v15
	v_add3_u32 v13, v13, v20, 0x7fff
	v_cndmask_b32_e32 v11, v11, v12, vcc_lo
	v_bfe_u32 v12, v15, 16, 1
	v_cmp_u_f32_e32 vcc_lo, v20, v20
	v_bfe_u32 v24, v16, 16, 1
	v_bfe_u32 v23, v14, 16, 1
	v_and_b32_e32 v11, 0xffff0000, v11
	v_add3_u32 v12, v12, v15, 0x7fff
	v_cndmask_b32_e32 v13, v13, v21, vcc_lo
	v_cmp_u_f32_e32 vcc_lo, v15, v15
	v_add3_u32 v20, v24, v16, 0x7fff
	v_or_b32_e32 v21, 0x400000, v16
	v_add3_u32 v15, v23, v14, 0x7fff
	v_and_b32_e32 v7, 0xffff0000, v7
	v_cndmask_b32_e32 v12, v12, v22, vcc_lo
	v_cmp_u_f32_e32 vcc_lo, v16, v16
	v_or_b32_e32 v22, 0x400000, v14
	v_add_f32_e32 v0, v2, v0
	v_add_f32_e32 v2, v7, v11
	v_and_b32_e32 v7, 0xffff0000, v12
	v_cndmask_b32_e32 v16, v20, v21, vcc_lo
	v_cmp_u_f32_e32 vcc_lo, v14, v14
	v_and_b32_e32 v11, 0xffff0000, v13
	v_and_b32_e32 v4, 0xffff0000, v4
	;; [unrolled: 1-line block ×3, first 2 shown]
	v_add_f32_e32 v0, v2, v0
	v_cndmask_b32_e32 v12, v15, v22, vcc_lo
	v_add_f32_e32 v2, v11, v7
	v_and_b32_e32 v7, 0xffff0000, v16
	v_add_f32_e32 v8, v8, v19
	v_add_f32_e32 v1, v3, v1
	v_and_b32_e32 v11, 0xffff0000, v12
	v_add_f32_e32 v3, v4, v13
	v_add_f32_e32 v0, v2, v0
	;; [unrolled: 1-line block ×13, first 2 shown]
.LBB146_34:                             ;   in Loop: Header=BB146_35 Depth=1
	s_or_b32 exec_lo, exec_lo, s18
	v_add_nc_u32_e32 v73, 4, v73
	v_add_co_u32 v49, s0, v49, 16
	v_add_co_ci_u32_e64 v50, null, 0, v50, s0
	v_cmp_le_i32_e32 vcc_lo, s16, v73
	v_add_nc_u32_e32 v53, 0x80, v53
	v_add_nc_u32_e32 v71, 0x200, v71
	s_or_b32 s15, vcc_lo, s15
	s_andn2_b32 exec_lo, exec_lo, s15
	s_cbranch_execz .LBB146_56
.LBB146_35:                             ; =>This Inner Loop Header: Depth=1
	v_mul_hi_u32 v0, v53, s21
	v_mul_lo_u32 v1, v0, s12
	v_add_nc_u32_e32 v2, 1, v0
	v_sub_nc_u32_e32 v1, v53, v1
	v_subrev_nc_u32_e32 v3, s12, v1
	v_cmp_le_u32_e32 vcc_lo, s12, v1
	v_cndmask_b32_e32 v0, v0, v2, vcc_lo
	v_cndmask_b32_e32 v1, v1, v3, vcc_lo
	v_add_nc_u32_e32 v2, 1, v0
	v_cmp_le_u32_e32 vcc_lo, s12, v1
	v_cndmask_b32_e32 v0, v0, v2, vcc_lo
	v_xor_b32_e32 v0, s19, v0
	v_subrev_nc_u32_e32 v0, s19, v0
	v_add_nc_u32_e32 v1, s29, v0
	v_cmp_lt_i32_e64 s0, s4, v0
	v_sub_nc_u32_e32 v2, 0, v1
	v_max_i32_e32 v2, v1, v2
	v_ashrrev_i32_e32 v1, 31, v1
	v_mul_hi_u32 v3, v2, v72
	v_mul_lo_u32 v3, v3, s5
	v_sub_nc_u32_e32 v2, v2, v3
	v_subrev_nc_u32_e32 v3, s5, v2
	v_cmp_le_u32_e32 vcc_lo, s5, v2
	v_cndmask_b32_e32 v2, v2, v3, vcc_lo
	v_subrev_nc_u32_e32 v3, s5, v2
	v_cmp_le_u32_e32 vcc_lo, s5, v2
	v_cndmask_b32_e32 v2, v2, v3, vcc_lo
	v_xor_b32_e32 v2, v2, v1
	v_sub_nc_u32_e32 v1, v2, v1
	v_cmp_eq_u32_e32 vcc_lo, 0, v1
	s_or_b32 s0, vcc_lo, s0
	s_and_saveexec_b32 s18, s0
	s_cbranch_execz .LBB146_34
; %bb.36:                               ;   in Loop: Header=BB146_35 Depth=1
	global_load_dword v0, v[49:50], off
	v_add_nc_u32_e32 v75, v68, v53
	v_cmp_eq_u32_e64 s0, s14, v73
	v_add_nc_u32_e32 v78, 1, v75
	v_or_b32_e32 v76, 3, v75
	v_or_b32_e32 v77, 2, v75
	;; [unrolled: 1-line block ×5, first 2 shown]
	s_waitcnt vmcnt(0)
	v_mad_i64_i32 v[0:1], null, v0, s13, 0
	v_lshlrev_b64 v[0:1], 1, v[0:1]
	v_add_co_u32 v13, vcc_lo, v69, v0
	v_add_co_ci_u32_e64 v14, null, v70, v1, vcc_lo
	v_or_b32_e32 v0, 6, v75
	global_load_dwordx4 v[1:4], v[13:14], off
	ds_read2_b64 v[33:36], v71 offset1:1
	ds_read2_b64 v[29:32], v71 offset0:2 offset1:3
	s_and_saveexec_b32 s22, s0
	s_cbranch_execnz .LBB146_50
; %bb.37:                               ;   in Loop: Header=BB146_35 Depth=1
	s_or_b32 exec_lo, exec_lo, s22
	global_load_dwordx4 v[5:8], v[13:14], off offset:512
	s_and_saveexec_b32 s22, s0
	s_cbranch_execnz .LBB146_51
.LBB146_38:                             ;   in Loop: Header=BB146_35 Depth=1
	s_or_b32 exec_lo, exec_lo, s22
	global_load_dwordx4 v[9:12], v[13:14], off offset:1024
	s_and_saveexec_b32 s22, s0
	s_cbranch_execnz .LBB146_52
.LBB146_39:                             ;   in Loop: Header=BB146_35 Depth=1
	s_or_b32 exec_lo, exec_lo, s22
	global_load_dwordx4 v[17:20], v[13:14], off offset:1536
	s_and_saveexec_b32 s22, s0
	s_cbranch_execz .LBB146_41
.LBB146_40:                             ;   in Loop: Header=BB146_35 Depth=1
	v_cmp_gt_i32_e64 s1, s28, v75
	v_cmp_gt_i32_e32 vcc_lo, s17, v78
	v_cmp_gt_i32_e64 s2, s28, v77
	s_waitcnt vmcnt(0)
	v_cndmask_b32_e64 v15, 0, v17, s1
	v_cmp_gt_i32_e64 s1, s17, v76
	v_cndmask_b32_sdwa v17, v67, v17, vcc_lo dst_sel:DWORD dst_unused:UNUSED_PAD src0_sel:DWORD src1_sel:WORD_1
	v_cndmask_b32_e64 v16, 0, v18, s2
	v_cmp_gt_i32_e64 s2, s17, v74
	s_mov_b32 vcc_lo, s1
	v_cmp_gt_i32_e64 s1, s17, v51
	v_cndmask_b32_sdwa v18, v67, v18, vcc_lo dst_sel:DWORD dst_unused:UNUSED_PAD src0_sel:DWORD src1_sel:WORD_1
	v_cmp_gt_i32_e32 vcc_lo, s28, v52
	v_perm_b32 v17, v17, v15, 0x5040100
	v_perm_b32 v18, v18, v16, 0x5040100
	v_cndmask_b32_e32 v21, 0, v19, vcc_lo
	s_mov_b32 vcc_lo, s2
	v_cndmask_b32_sdwa v19, v67, v19, vcc_lo dst_sel:DWORD dst_unused:UNUSED_PAD src0_sel:DWORD src1_sel:WORD_1
	v_cmp_gt_i32_e32 vcc_lo, s28, v0
	v_perm_b32 v19, v19, v21, 0x5040100
	v_cndmask_b32_e32 v22, 0, v20, vcc_lo
	s_mov_b32 vcc_lo, s1
	v_cndmask_b32_sdwa v20, v67, v20, vcc_lo dst_sel:DWORD dst_unused:UNUSED_PAD src0_sel:DWORD src1_sel:WORD_1
	v_perm_b32 v20, v20, v22, 0x5040100
.LBB146_41:                             ;   in Loop: Header=BB146_35 Depth=1
	s_or_b32 exec_lo, exec_lo, s22
	v_add_co_u32 v15, vcc_lo, 0x800, v13
	v_add_co_ci_u32_e64 v16, null, 0, v14, vcc_lo
	global_load_dwordx4 v[21:24], v[15:16], off
	s_and_saveexec_b32 s22, s0
	s_cbranch_execnz .LBB146_53
; %bb.42:                               ;   in Loop: Header=BB146_35 Depth=1
	s_or_b32 exec_lo, exec_lo, s22
	global_load_dwordx4 v[25:28], v[15:16], off offset:512
	s_and_saveexec_b32 s22, s0
	s_cbranch_execnz .LBB146_54
.LBB146_43:                             ;   in Loop: Header=BB146_35 Depth=1
	s_or_b32 exec_lo, exec_lo, s22
	global_load_dwordx4 v[37:40], v[15:16], off offset:1024
	s_and_saveexec_b32 s22, s0
	s_cbranch_execnz .LBB146_55
.LBB146_44:                             ;   in Loop: Header=BB146_35 Depth=1
	s_or_b32 exec_lo, exec_lo, s22
	global_load_dwordx4 v[41:44], v[15:16], off offset:1536
	s_and_saveexec_b32 s22, s0
	s_cbranch_execz .LBB146_46
.LBB146_45:                             ;   in Loop: Header=BB146_35 Depth=1
	v_cmp_gt_i32_e64 s1, s28, v75
	v_cmp_gt_i32_e32 vcc_lo, s17, v78
	v_cmp_gt_i32_e64 s2, s28, v77
	s_waitcnt vmcnt(0)
	v_cndmask_b32_e64 v15, 0, v41, s1
	v_cmp_gt_i32_e64 s1, s17, v76
	v_cndmask_b32_sdwa v41, v67, v41, vcc_lo dst_sel:DWORD dst_unused:UNUSED_PAD src0_sel:DWORD src1_sel:WORD_1
	v_cndmask_b32_e64 v16, 0, v42, s2
	v_cmp_gt_i32_e64 s2, s17, v74
	s_mov_b32 vcc_lo, s1
	v_cmp_gt_i32_e64 s1, s17, v51
	v_cndmask_b32_sdwa v42, v67, v42, vcc_lo dst_sel:DWORD dst_unused:UNUSED_PAD src0_sel:DWORD src1_sel:WORD_1
	v_cmp_gt_i32_e32 vcc_lo, s28, v52
	v_perm_b32 v41, v41, v15, 0x5040100
	v_perm_b32 v42, v42, v16, 0x5040100
	v_cndmask_b32_e32 v45, 0, v43, vcc_lo
	s_mov_b32 vcc_lo, s2
	v_cndmask_b32_sdwa v43, v67, v43, vcc_lo dst_sel:DWORD dst_unused:UNUSED_PAD src0_sel:DWORD src1_sel:WORD_1
	v_cmp_gt_i32_e32 vcc_lo, s28, v0
	v_perm_b32 v43, v43, v45, 0x5040100
	v_cndmask_b32_e32 v46, 0, v44, vcc_lo
	s_mov_b32 vcc_lo, s1
	v_cndmask_b32_sdwa v44, v67, v44, vcc_lo dst_sel:DWORD dst_unused:UNUSED_PAD src0_sel:DWORD src1_sel:WORD_1
	v_perm_b32 v44, v44, v46, 0x5040100
.LBB146_46:                             ;   in Loop: Header=BB146_35 Depth=1
	s_or_b32 exec_lo, exec_lo, s22
	v_add_co_u32 v13, vcc_lo, 0x1000, v13
	v_add_co_ci_u32_e64 v14, null, 0, v14, vcc_lo
	global_load_dwordx4 v[45:48], v[13:14], off
	s_and_saveexec_b32 s22, s0
	s_cbranch_execz .LBB146_48
; %bb.47:                               ;   in Loop: Header=BB146_35 Depth=1
	v_cmp_gt_i32_e64 s1, s28, v75
	v_cmp_gt_i32_e32 vcc_lo, s17, v78
	v_cmp_gt_i32_e64 s2, s28, v77
	s_waitcnt vmcnt(0)
	v_cndmask_b32_e64 v15, 0, v45, s1
	v_cmp_gt_i32_e64 s1, s17, v76
	v_cndmask_b32_sdwa v45, v67, v45, vcc_lo dst_sel:DWORD dst_unused:UNUSED_PAD src0_sel:DWORD src1_sel:WORD_1
	v_cndmask_b32_e64 v16, 0, v46, s2
	v_cmp_gt_i32_e64 s2, s17, v74
	s_mov_b32 vcc_lo, s1
	v_cmp_gt_i32_e64 s1, s17, v51
	v_cndmask_b32_sdwa v46, v67, v46, vcc_lo dst_sel:DWORD dst_unused:UNUSED_PAD src0_sel:DWORD src1_sel:WORD_1
	v_cmp_gt_i32_e32 vcc_lo, s28, v52
	v_perm_b32 v45, v45, v15, 0x5040100
	v_perm_b32 v46, v46, v16, 0x5040100
	v_cndmask_b32_e32 v79, 0, v47, vcc_lo
	s_mov_b32 vcc_lo, s2
	v_cndmask_b32_sdwa v47, v67, v47, vcc_lo dst_sel:DWORD dst_unused:UNUSED_PAD src0_sel:DWORD src1_sel:WORD_1
	v_cmp_gt_i32_e32 vcc_lo, s28, v0
	v_perm_b32 v47, v47, v79, 0x5040100
	v_cndmask_b32_e32 v80, 0, v48, vcc_lo
	s_mov_b32 vcc_lo, s1
	v_cndmask_b32_sdwa v48, v67, v48, vcc_lo dst_sel:DWORD dst_unused:UNUSED_PAD src0_sel:DWORD src1_sel:WORD_1
	v_perm_b32 v48, v48, v80, 0x5040100
.LBB146_48:                             ;   in Loop: Header=BB146_35 Depth=1
	s_or_b32 exec_lo, exec_lo, s22
	global_load_dwordx4 v[13:16], v[13:14], off offset:512
	s_and_saveexec_b32 s2, s0
	s_cbranch_execz .LBB146_33
; %bb.49:                               ;   in Loop: Header=BB146_35 Depth=1
	v_cmp_gt_i32_e64 s0, s28, v75
	v_cmp_gt_i32_e32 vcc_lo, s17, v78
	v_cmp_gt_i32_e64 s1, s28, v77
	s_waitcnt vmcnt(0)
	v_cndmask_b32_e64 v75, 0, v13, s0
	v_cmp_gt_i32_e64 s0, s17, v76
	v_cndmask_b32_sdwa v13, v67, v13, vcc_lo dst_sel:DWORD dst_unused:UNUSED_PAD src0_sel:DWORD src1_sel:WORD_1
	v_cndmask_b32_e64 v76, 0, v14, s1
	v_cmp_gt_i32_e64 s1, s17, v74
	s_mov_b32 vcc_lo, s0
	v_cmp_gt_i32_e64 s0, s17, v51
	v_cndmask_b32_sdwa v14, v67, v14, vcc_lo dst_sel:DWORD dst_unused:UNUSED_PAD src0_sel:DWORD src1_sel:WORD_1
	v_cmp_gt_i32_e32 vcc_lo, s28, v52
	v_perm_b32 v13, v13, v75, 0x5040100
	v_perm_b32 v14, v14, v76, 0x5040100
	v_cndmask_b32_e32 v52, 0, v15, vcc_lo
	s_mov_b32 vcc_lo, s1
	v_cndmask_b32_sdwa v15, v67, v15, vcc_lo dst_sel:DWORD dst_unused:UNUSED_PAD src0_sel:DWORD src1_sel:WORD_1
	v_cmp_gt_i32_e32 vcc_lo, s28, v0
	v_perm_b32 v15, v15, v52, 0x5040100
	v_cndmask_b32_e32 v0, 0, v16, vcc_lo
	s_mov_b32 vcc_lo, s0
	v_cndmask_b32_sdwa v16, v67, v16, vcc_lo dst_sel:DWORD dst_unused:UNUSED_PAD src0_sel:DWORD src1_sel:WORD_1
	v_perm_b32 v16, v16, v0, 0x5040100
	s_branch .LBB146_33
.LBB146_50:                             ;   in Loop: Header=BB146_35 Depth=1
	v_cmp_gt_i32_e64 s1, s28, v75
	v_cmp_gt_i32_e32 vcc_lo, s17, v78
	v_cmp_gt_i32_e64 s2, s28, v77
	s_waitcnt vmcnt(0)
	v_cndmask_b32_e64 v5, 0, v1, s1
	v_cmp_gt_i32_e64 s1, s17, v76
	v_cndmask_b32_sdwa v1, v67, v1, vcc_lo dst_sel:DWORD dst_unused:UNUSED_PAD src0_sel:DWORD src1_sel:WORD_1
	v_cndmask_b32_e64 v6, 0, v2, s2
	v_cmp_gt_i32_e64 s2, s17, v74
	s_mov_b32 vcc_lo, s1
	v_cmp_gt_i32_e64 s1, s17, v51
	v_cndmask_b32_sdwa v2, v67, v2, vcc_lo dst_sel:DWORD dst_unused:UNUSED_PAD src0_sel:DWORD src1_sel:WORD_1
	v_cmp_gt_i32_e32 vcc_lo, s28, v52
	v_perm_b32 v1, v1, v5, 0x5040100
	v_perm_b32 v2, v2, v6, 0x5040100
	v_cndmask_b32_e32 v7, 0, v3, vcc_lo
	s_mov_b32 vcc_lo, s2
	v_cndmask_b32_sdwa v3, v67, v3, vcc_lo dst_sel:DWORD dst_unused:UNUSED_PAD src0_sel:DWORD src1_sel:WORD_1
	v_cmp_gt_i32_e32 vcc_lo, s28, v0
	v_perm_b32 v3, v3, v7, 0x5040100
	v_cndmask_b32_e32 v8, 0, v4, vcc_lo
	s_mov_b32 vcc_lo, s1
	v_cndmask_b32_sdwa v4, v67, v4, vcc_lo dst_sel:DWORD dst_unused:UNUSED_PAD src0_sel:DWORD src1_sel:WORD_1
	v_perm_b32 v4, v4, v8, 0x5040100
	s_or_b32 exec_lo, exec_lo, s22
	global_load_dwordx4 v[5:8], v[13:14], off offset:512
	s_and_saveexec_b32 s22, s0
	s_cbranch_execz .LBB146_38
.LBB146_51:                             ;   in Loop: Header=BB146_35 Depth=1
	v_cmp_gt_i32_e64 s1, s28, v75
	v_cmp_gt_i32_e32 vcc_lo, s17, v78
	v_cmp_gt_i32_e64 s2, s28, v77
	s_waitcnt vmcnt(0)
	v_cndmask_b32_e64 v9, 0, v5, s1
	v_cmp_gt_i32_e64 s1, s17, v76
	v_cndmask_b32_sdwa v5, v67, v5, vcc_lo dst_sel:DWORD dst_unused:UNUSED_PAD src0_sel:DWORD src1_sel:WORD_1
	v_cndmask_b32_e64 v10, 0, v6, s2
	v_cmp_gt_i32_e64 s2, s17, v74
	s_mov_b32 vcc_lo, s1
	v_cmp_gt_i32_e64 s1, s17, v51
	v_cndmask_b32_sdwa v6, v67, v6, vcc_lo dst_sel:DWORD dst_unused:UNUSED_PAD src0_sel:DWORD src1_sel:WORD_1
	v_cmp_gt_i32_e32 vcc_lo, s28, v52
	v_perm_b32 v5, v5, v9, 0x5040100
	v_perm_b32 v6, v6, v10, 0x5040100
	v_cndmask_b32_e32 v11, 0, v7, vcc_lo
	s_mov_b32 vcc_lo, s2
	v_cndmask_b32_sdwa v7, v67, v7, vcc_lo dst_sel:DWORD dst_unused:UNUSED_PAD src0_sel:DWORD src1_sel:WORD_1
	v_cmp_gt_i32_e32 vcc_lo, s28, v0
	v_perm_b32 v7, v7, v11, 0x5040100
	v_cndmask_b32_e32 v12, 0, v8, vcc_lo
	s_mov_b32 vcc_lo, s1
	v_cndmask_b32_sdwa v8, v67, v8, vcc_lo dst_sel:DWORD dst_unused:UNUSED_PAD src0_sel:DWORD src1_sel:WORD_1
	v_perm_b32 v8, v8, v12, 0x5040100
	s_or_b32 exec_lo, exec_lo, s22
	global_load_dwordx4 v[9:12], v[13:14], off offset:1024
	s_and_saveexec_b32 s22, s0
	s_cbranch_execz .LBB146_39
.LBB146_52:                             ;   in Loop: Header=BB146_35 Depth=1
	v_cmp_gt_i32_e64 s1, s28, v75
	v_cmp_gt_i32_e32 vcc_lo, s17, v78
	v_cmp_gt_i32_e64 s2, s28, v77
	s_waitcnt vmcnt(0)
	v_cndmask_b32_e64 v15, 0, v9, s1
	v_cmp_gt_i32_e64 s1, s17, v76
	v_cndmask_b32_sdwa v9, v67, v9, vcc_lo dst_sel:DWORD dst_unused:UNUSED_PAD src0_sel:DWORD src1_sel:WORD_1
	v_cndmask_b32_e64 v16, 0, v10, s2
	v_cmp_gt_i32_e64 s2, s17, v74
	s_mov_b32 vcc_lo, s1
	v_cmp_gt_i32_e64 s1, s17, v51
	v_cndmask_b32_sdwa v10, v67, v10, vcc_lo dst_sel:DWORD dst_unused:UNUSED_PAD src0_sel:DWORD src1_sel:WORD_1
	v_cmp_gt_i32_e32 vcc_lo, s28, v52
	v_perm_b32 v9, v9, v15, 0x5040100
	v_perm_b32 v10, v10, v16, 0x5040100
	v_cndmask_b32_e32 v17, 0, v11, vcc_lo
	s_mov_b32 vcc_lo, s2
	v_cndmask_b32_sdwa v11, v67, v11, vcc_lo dst_sel:DWORD dst_unused:UNUSED_PAD src0_sel:DWORD src1_sel:WORD_1
	v_cmp_gt_i32_e32 vcc_lo, s28, v0
	v_perm_b32 v11, v11, v17, 0x5040100
	v_cndmask_b32_e32 v18, 0, v12, vcc_lo
	s_mov_b32 vcc_lo, s1
	v_cndmask_b32_sdwa v12, v67, v12, vcc_lo dst_sel:DWORD dst_unused:UNUSED_PAD src0_sel:DWORD src1_sel:WORD_1
	v_perm_b32 v12, v12, v18, 0x5040100
	s_or_b32 exec_lo, exec_lo, s22
	global_load_dwordx4 v[17:20], v[13:14], off offset:1536
	s_and_saveexec_b32 s22, s0
	s_cbranch_execnz .LBB146_40
	s_branch .LBB146_41
.LBB146_53:                             ;   in Loop: Header=BB146_35 Depth=1
	v_cmp_gt_i32_e64 s1, s28, v75
	v_cmp_gt_i32_e32 vcc_lo, s17, v78
	v_cmp_gt_i32_e64 s2, s28, v77
	s_waitcnt vmcnt(0)
	v_cndmask_b32_e64 v25, 0, v21, s1
	v_cmp_gt_i32_e64 s1, s17, v76
	v_cndmask_b32_sdwa v21, v67, v21, vcc_lo dst_sel:DWORD dst_unused:UNUSED_PAD src0_sel:DWORD src1_sel:WORD_1
	v_cndmask_b32_e64 v26, 0, v22, s2
	v_cmp_gt_i32_e64 s2, s17, v74
	s_mov_b32 vcc_lo, s1
	v_cmp_gt_i32_e64 s1, s17, v51
	v_cndmask_b32_sdwa v22, v67, v22, vcc_lo dst_sel:DWORD dst_unused:UNUSED_PAD src0_sel:DWORD src1_sel:WORD_1
	v_cmp_gt_i32_e32 vcc_lo, s28, v52
	v_perm_b32 v21, v21, v25, 0x5040100
	v_perm_b32 v22, v22, v26, 0x5040100
	v_cndmask_b32_e32 v27, 0, v23, vcc_lo
	s_mov_b32 vcc_lo, s2
	v_cndmask_b32_sdwa v23, v67, v23, vcc_lo dst_sel:DWORD dst_unused:UNUSED_PAD src0_sel:DWORD src1_sel:WORD_1
	v_cmp_gt_i32_e32 vcc_lo, s28, v0
	v_perm_b32 v23, v23, v27, 0x5040100
	v_cndmask_b32_e32 v28, 0, v24, vcc_lo
	s_mov_b32 vcc_lo, s1
	v_cndmask_b32_sdwa v24, v67, v24, vcc_lo dst_sel:DWORD dst_unused:UNUSED_PAD src0_sel:DWORD src1_sel:WORD_1
	v_perm_b32 v24, v24, v28, 0x5040100
	s_or_b32 exec_lo, exec_lo, s22
	global_load_dwordx4 v[25:28], v[15:16], off offset:512
	s_and_saveexec_b32 s22, s0
	s_cbranch_execz .LBB146_43
.LBB146_54:                             ;   in Loop: Header=BB146_35 Depth=1
	v_cmp_gt_i32_e64 s1, s28, v75
	v_cmp_gt_i32_e32 vcc_lo, s17, v78
	v_cmp_gt_i32_e64 s2, s28, v77
	s_waitcnt vmcnt(0)
	v_cndmask_b32_e64 v37, 0, v25, s1
	v_cmp_gt_i32_e64 s1, s17, v76
	v_cndmask_b32_sdwa v25, v67, v25, vcc_lo dst_sel:DWORD dst_unused:UNUSED_PAD src0_sel:DWORD src1_sel:WORD_1
	v_cndmask_b32_e64 v38, 0, v26, s2
	v_cmp_gt_i32_e64 s2, s17, v74
	s_mov_b32 vcc_lo, s1
	v_cmp_gt_i32_e64 s1, s17, v51
	v_cndmask_b32_sdwa v26, v67, v26, vcc_lo dst_sel:DWORD dst_unused:UNUSED_PAD src0_sel:DWORD src1_sel:WORD_1
	v_cmp_gt_i32_e32 vcc_lo, s28, v52
	v_perm_b32 v25, v25, v37, 0x5040100
	v_perm_b32 v26, v26, v38, 0x5040100
	v_cndmask_b32_e32 v39, 0, v27, vcc_lo
	s_mov_b32 vcc_lo, s2
	v_cndmask_b32_sdwa v27, v67, v27, vcc_lo dst_sel:DWORD dst_unused:UNUSED_PAD src0_sel:DWORD src1_sel:WORD_1
	v_cmp_gt_i32_e32 vcc_lo, s28, v0
	v_perm_b32 v27, v27, v39, 0x5040100
	v_cndmask_b32_e32 v40, 0, v28, vcc_lo
	s_mov_b32 vcc_lo, s1
	v_cndmask_b32_sdwa v28, v67, v28, vcc_lo dst_sel:DWORD dst_unused:UNUSED_PAD src0_sel:DWORD src1_sel:WORD_1
	v_perm_b32 v28, v28, v40, 0x5040100
	s_or_b32 exec_lo, exec_lo, s22
	global_load_dwordx4 v[37:40], v[15:16], off offset:1024
	s_and_saveexec_b32 s22, s0
	s_cbranch_execz .LBB146_44
.LBB146_55:                             ;   in Loop: Header=BB146_35 Depth=1
	v_cmp_gt_i32_e64 s1, s28, v75
	v_cmp_gt_i32_e32 vcc_lo, s17, v78
	v_cmp_gt_i32_e64 s2, s28, v77
	s_waitcnt vmcnt(0)
	v_cndmask_b32_e64 v41, 0, v37, s1
	v_cmp_gt_i32_e64 s1, s17, v76
	v_cndmask_b32_sdwa v37, v67, v37, vcc_lo dst_sel:DWORD dst_unused:UNUSED_PAD src0_sel:DWORD src1_sel:WORD_1
	v_cndmask_b32_e64 v42, 0, v38, s2
	v_cmp_gt_i32_e64 s2, s17, v74
	s_mov_b32 vcc_lo, s1
	v_cmp_gt_i32_e64 s1, s17, v51
	v_cndmask_b32_sdwa v38, v67, v38, vcc_lo dst_sel:DWORD dst_unused:UNUSED_PAD src0_sel:DWORD src1_sel:WORD_1
	v_cmp_gt_i32_e32 vcc_lo, s28, v52
	v_perm_b32 v37, v37, v41, 0x5040100
	v_perm_b32 v38, v38, v42, 0x5040100
	v_cndmask_b32_e32 v43, 0, v39, vcc_lo
	s_mov_b32 vcc_lo, s2
	v_cndmask_b32_sdwa v39, v67, v39, vcc_lo dst_sel:DWORD dst_unused:UNUSED_PAD src0_sel:DWORD src1_sel:WORD_1
	v_cmp_gt_i32_e32 vcc_lo, s28, v0
	v_perm_b32 v39, v39, v43, 0x5040100
	v_cndmask_b32_e32 v44, 0, v40, vcc_lo
	s_mov_b32 vcc_lo, s1
	v_cndmask_b32_sdwa v40, v67, v40, vcc_lo dst_sel:DWORD dst_unused:UNUSED_PAD src0_sel:DWORD src1_sel:WORD_1
	v_perm_b32 v40, v40, v44, 0x5040100
	s_or_b32 exec_lo, exec_lo, s22
	global_load_dwordx4 v[41:44], v[15:16], off offset:1536
	s_and_saveexec_b32 s22, s0
	s_cbranch_execnz .LBB146_45
	s_branch .LBB146_46
.LBB146_56:
	s_or_b32 exec_lo, exec_lo, s15
.LBB146_57:
	s_or_b32 exec_lo, exec_lo, s3
	ds_bpermute_b32 v9, v55, v57
	ds_bpermute_b32 v0, v55, v65
	;; [unrolled: 1-line block ×10, first 2 shown]
	v_mul_u32_u24_e32 v12, 0x140, v82
	v_and_b32_e32 v25, 0x3c3, v81
	s_mov_b32 s0, exec_lo
	s_waitcnt lgkmcnt(9)
	v_add_f32_e32 v17, v57, v9
	buffer_load_dword v9, off, s[40:43], 0  ; 4-byte Folded Reload
	s_waitcnt lgkmcnt(8)
	v_add_f32_e32 v0, v65, v0
	s_waitcnt lgkmcnt(7)
	v_add_f32_e32 v1, v66, v1
	;; [unrolled: 2-line block ×9, first 2 shown]
	ds_bpermute_b32 v5, v54, v0
	ds_bpermute_b32 v6, v54, v1
	;; [unrolled: 1-line block ×10, first 2 shown]
	s_waitcnt vmcnt(0) lgkmcnt(0)
	s_barrier
	buffer_gl0_inv
	v_add_f32_e32 v7, v2, v7
	v_add_f32_e32 v2, v15, v22
	v_and_b32_e32 v8, 28, v9
	v_lshrrev_b32_e32 v10, 2, v9
	v_add_f32_e32 v9, v0, v5
	v_add_f32_e32 v5, v4, v19
	;; [unrolled: 1-line block ×3, first 2 shown]
	v_add_nc_u32_e32 v11, 0xc0, v8
	v_add_f32_e32 v8, v1, v6
	v_add_f32_e32 v6, v3, v18
	;; [unrolled: 1-line block ×5, first 2 shown]
	v_cmpx_eq_u32_e32 64, v25
	s_cbranch_execz .LBB146_59
; %bb.58:
	v_add_nc_u32_e32 v13, v11, v12
	v_add_nc_u32_e32 v14, 0xfffffd80, v13
	;; [unrolled: 1-line block ×6, first 2 shown]
	ds_write_b32 v14, v9
	ds_write_b32 v15, v8
	;; [unrolled: 1-line block ×5, first 2 shown]
	v_add_nc_u32_e32 v14, 0xfffffe20, v13
	v_add_nc_u32_e32 v15, 0xfffffe40, v13
	;; [unrolled: 1-line block ×5, first 2 shown]
	ds_write_b32 v14, v4
	ds_write_b32 v15, v3
	;; [unrolled: 1-line block ×5, first 2 shown]
.LBB146_59:
	s_or_b32 exec_lo, exec_lo, s0
	v_lshlrev_b32_e32 v10, 2, v10
	s_mov_b32 s1, exec_lo
	v_cmp_eq_u32_e32 vcc_lo, 0, v56
	s_waitcnt lgkmcnt(0)
	s_barrier
	v_add3_u32 v10, 0xc0, v12, v10
	buffer_gl0_inv
	v_cmpx_gt_u32_e32 64, v81
	s_cbranch_execz .LBB146_72
; %bb.60:
	s_and_saveexec_b32 s0, vcc_lo
	s_cbranch_execnz .LBB146_90
; %bb.61:
	s_or_b32 exec_lo, exec_lo, s0
	s_and_saveexec_b32 s0, vcc_lo
	s_cbranch_execnz .LBB146_91
.LBB146_62:
	s_or_b32 exec_lo, exec_lo, s0
	s_and_saveexec_b32 s0, vcc_lo
	s_cbranch_execnz .LBB146_92
.LBB146_63:
	s_or_b32 exec_lo, exec_lo, s0
	s_and_saveexec_b32 s0, vcc_lo
	s_cbranch_execnz .LBB146_93
.LBB146_64:
	s_or_b32 exec_lo, exec_lo, s0
	s_and_saveexec_b32 s0, vcc_lo
	s_cbranch_execnz .LBB146_94
.LBB146_65:
	s_or_b32 exec_lo, exec_lo, s0
	s_and_saveexec_b32 s0, vcc_lo
	s_cbranch_execnz .LBB146_95
.LBB146_66:
	s_or_b32 exec_lo, exec_lo, s0
	s_and_saveexec_b32 s0, vcc_lo
	s_cbranch_execnz .LBB146_96
.LBB146_67:
	s_or_b32 exec_lo, exec_lo, s0
	s_and_saveexec_b32 s0, vcc_lo
	s_cbranch_execnz .LBB146_97
.LBB146_68:
	s_or_b32 exec_lo, exec_lo, s0
	s_and_saveexec_b32 s0, vcc_lo
	s_cbranch_execnz .LBB146_98
.LBB146_69:
	s_or_b32 exec_lo, exec_lo, s0
	s_and_saveexec_b32 s0, vcc_lo
	s_cbranch_execz .LBB146_71
.LBB146_70:
	ds_read_b32 v12, v10 offset:288
	s_waitcnt lgkmcnt(0)
	v_add_f32_e32 v0, v0, v12
.LBB146_71:
	s_or_b32 exec_lo, exec_lo, s0
.LBB146_72:
	s_or_b32 exec_lo, exec_lo, s1
	v_and_b32_e32 v12, 0x3e3, v81
	s_mov_b32 s1, exec_lo
	s_barrier
	buffer_gl0_inv
	v_cmpx_eq_u32_e32 32, v12
	s_cbranch_execz .LBB146_74
; %bb.73:
	ds_write2_b32 v11, v9, v8 offset1:8
	ds_write2_b32 v11, v7, v6 offset0:16 offset1:24
	ds_write2_b32 v11, v5, v4 offset0:32 offset1:40
	;; [unrolled: 1-line block ×4, first 2 shown]
.LBB146_74:
	s_or_b32 exec_lo, exec_lo, s1
	s_mov_b32 s1, exec_lo
	s_waitcnt lgkmcnt(0)
	s_barrier
	buffer_gl0_inv
	v_cmpx_gt_u32_e32 32, v81
	s_cbranch_execz .LBB146_87
; %bb.75:
	s_and_saveexec_b32 s0, vcc_lo
	s_cbranch_execnz .LBB146_99
; %bb.76:
	s_or_b32 exec_lo, exec_lo, s0
	s_and_saveexec_b32 s0, vcc_lo
	s_cbranch_execnz .LBB146_100
.LBB146_77:
	s_or_b32 exec_lo, exec_lo, s0
	s_and_saveexec_b32 s0, vcc_lo
	s_cbranch_execnz .LBB146_101
.LBB146_78:
	s_or_b32 exec_lo, exec_lo, s0
	s_and_saveexec_b32 s0, vcc_lo
	s_cbranch_execnz .LBB146_102
.LBB146_79:
	s_or_b32 exec_lo, exec_lo, s0
	s_and_saveexec_b32 s0, vcc_lo
	s_cbranch_execnz .LBB146_103
.LBB146_80:
	s_or_b32 exec_lo, exec_lo, s0
	s_and_saveexec_b32 s0, vcc_lo
	s_cbranch_execnz .LBB146_104
.LBB146_81:
	s_or_b32 exec_lo, exec_lo, s0
	s_and_saveexec_b32 s0, vcc_lo
	s_cbranch_execnz .LBB146_105
.LBB146_82:
	s_or_b32 exec_lo, exec_lo, s0
	s_and_saveexec_b32 s0, vcc_lo
	s_cbranch_execnz .LBB146_106
.LBB146_83:
	s_or_b32 exec_lo, exec_lo, s0
	s_and_saveexec_b32 s0, vcc_lo
	s_cbranch_execnz .LBB146_107
.LBB146_84:
	s_or_b32 exec_lo, exec_lo, s0
	s_and_saveexec_b32 s0, vcc_lo
	s_cbranch_execz .LBB146_86
.LBB146_85:
	ds_read_b32 v10, v10 offset:288
	s_waitcnt lgkmcnt(0)
	v_add_f32_e32 v0, v0, v10
.LBB146_86:
	s_or_b32 exec_lo, exec_lo, s0
.LBB146_87:
	s_or_b32 exec_lo, exec_lo, s1
	s_barrier
	buffer_gl0_inv
	s_mov_b32 s0, exec_lo
	v_cmpx_eq_u32_e32 0, v12
	s_cbranch_execz .LBB146_89
; %bb.88:
	s_mul_i32 s0, s10, s11
	v_bfe_u32 v11, v9, 16, 1
	s_mul_i32 s0, s0, s9
	s_mul_i32 s2, s11, s20
	s_mulk_i32 s0, 0x50
	v_or_b32_e32 v12, 0x400000, v9
	s_ashr_i32 s1, s0, 31
	v_add3_u32 v11, v11, v9, 0x7fff
	s_lshl_b64 s[0:1], s[0:1], 1
	v_bfe_u32 v13, v8, 16, 1
	s_add_u32 s5, s6, s0
	s_addc_u32 s6, s7, s1
	s_ashr_i32 s3, s2, 31
	v_cmp_u_f32_e32 vcc_lo, v9, v9
	s_lshl_b64 s[0:1], s[2:3], 1
	s_mul_i32 s4, s8, 0x50
	s_add_u32 s2, s5, s0
	s_addc_u32 s3, s6, s1
	s_ashr_i32 s5, s4, 31
	v_lshrrev_b32_e32 v10, 1, v81
	s_lshl_b64 s[0:1], s[4:5], 1
	v_cndmask_b32_e32 v9, v11, v12, vcc_lo
	v_bfe_u32 v11, v7, 16, 1
	v_add3_u32 v12, v13, v8, 0x7fff
	v_or_b32_e32 v13, 0x400000, v8
	v_cmp_u_f32_e32 vcc_lo, v8, v8
	s_add_u32 s0, s2, s0
	s_addc_u32 s1, s3, s1
	global_store_short_d16_hi v10, v9, s[0:1]
	v_add3_u32 v9, v11, v7, 0x7fff
	v_or_b32_e32 v11, 0x400000, v7
	v_cndmask_b32_e32 v8, v12, v13, vcc_lo
	v_bfe_u32 v12, v6, 16, 1
	v_cmp_u_f32_e32 vcc_lo, v7, v7
	global_store_short_d16_hi v10, v8, s[0:1] offset:16
	v_add3_u32 v8, v12, v6, 0x7fff
	v_cndmask_b32_e32 v7, v9, v11, vcc_lo
	v_bfe_u32 v9, v5, 16, 1
	v_or_b32_e32 v11, 0x400000, v6
	v_cmp_u_f32_e32 vcc_lo, v6, v6
	global_store_short_d16_hi v10, v7, s[0:1] offset:32
	v_add3_u32 v7, v9, v5, 0x7fff
	v_or_b32_e32 v9, 0x400000, v5
	v_cndmask_b32_e32 v6, v8, v11, vcc_lo
	v_bfe_u32 v8, v4, 16, 1
	v_cmp_u_f32_e32 vcc_lo, v5, v5
	v_or_b32_e32 v11, 0x400000, v0
	global_store_short_d16_hi v10, v6, s[0:1] offset:48
	v_add3_u32 v6, v8, v4, 0x7fff
	v_cndmask_b32_e32 v5, v7, v9, vcc_lo
	v_bfe_u32 v7, v3, 16, 1
	v_or_b32_e32 v8, 0x400000, v4
	v_cmp_u_f32_e32 vcc_lo, v4, v4
	v_or_b32_e32 v9, 0x400000, v1
	global_store_short_d16_hi v10, v5, s[0:1] offset:64
	v_add3_u32 v5, v7, v3, 0x7fff
	v_or_b32_e32 v7, 0x400000, v3
	v_cndmask_b32_e32 v4, v6, v8, vcc_lo
	v_bfe_u32 v6, v2, 16, 1
	v_cmp_u_f32_e32 vcc_lo, v3, v3
	v_bfe_u32 v8, v1, 16, 1
	v_add3_u32 v6, v6, v2, 0x7fff
	v_cndmask_b32_e32 v3, v5, v7, vcc_lo
	v_or_b32_e32 v7, 0x400000, v2
	v_cmp_u_f32_e32 vcc_lo, v2, v2
	v_bfe_u32 v5, v0, 16, 1
	v_add3_u32 v8, v8, v1, 0x7fff
	v_cndmask_b32_e32 v2, v6, v7, vcc_lo
	v_cmp_u_f32_e32 vcc_lo, v1, v1
	v_add3_u32 v5, v5, v0, 0x7fff
	v_cndmask_b32_e32 v1, v8, v9, vcc_lo
	v_cmp_u_f32_e32 vcc_lo, v0, v0
	v_cndmask_b32_e32 v0, v5, v11, vcc_lo
	global_store_short_d16_hi v10, v4, s[0:1] offset:80
	global_store_short_d16_hi v10, v3, s[0:1] offset:96
	;; [unrolled: 1-line block ×5, first 2 shown]
.LBB146_89:
	s_endpgm
.LBB146_90:
	ds_read_b32 v12, v10
	s_waitcnt lgkmcnt(0)
	v_add_f32_e32 v9, v9, v12
	s_or_b32 exec_lo, exec_lo, s0
	s_and_saveexec_b32 s0, vcc_lo
	s_cbranch_execz .LBB146_62
.LBB146_91:
	ds_read_b32 v12, v10 offset:32
	s_waitcnt lgkmcnt(0)
	v_add_f32_e32 v8, v8, v12
	s_or_b32 exec_lo, exec_lo, s0
	s_and_saveexec_b32 s0, vcc_lo
	s_cbranch_execz .LBB146_63
.LBB146_92:
	ds_read_b32 v12, v10 offset:64
	s_waitcnt lgkmcnt(0)
	v_add_f32_e32 v7, v7, v12
	s_or_b32 exec_lo, exec_lo, s0
	s_and_saveexec_b32 s0, vcc_lo
	s_cbranch_execz .LBB146_64
.LBB146_93:
	ds_read_b32 v12, v10 offset:96
	s_waitcnt lgkmcnt(0)
	v_add_f32_e32 v6, v6, v12
	s_or_b32 exec_lo, exec_lo, s0
	s_and_saveexec_b32 s0, vcc_lo
	s_cbranch_execz .LBB146_65
.LBB146_94:
	ds_read_b32 v12, v10 offset:128
	s_waitcnt lgkmcnt(0)
	v_add_f32_e32 v5, v5, v12
	s_or_b32 exec_lo, exec_lo, s0
	s_and_saveexec_b32 s0, vcc_lo
	s_cbranch_execz .LBB146_66
.LBB146_95:
	ds_read_b32 v12, v10 offset:160
	s_waitcnt lgkmcnt(0)
	v_add_f32_e32 v4, v4, v12
	s_or_b32 exec_lo, exec_lo, s0
	s_and_saveexec_b32 s0, vcc_lo
	s_cbranch_execz .LBB146_67
.LBB146_96:
	ds_read_b32 v12, v10 offset:192
	s_waitcnt lgkmcnt(0)
	v_add_f32_e32 v3, v3, v12
	s_or_b32 exec_lo, exec_lo, s0
	s_and_saveexec_b32 s0, vcc_lo
	s_cbranch_execz .LBB146_68
.LBB146_97:
	ds_read_b32 v12, v10 offset:224
	s_waitcnt lgkmcnt(0)
	v_add_f32_e32 v2, v2, v12
	s_or_b32 exec_lo, exec_lo, s0
	s_and_saveexec_b32 s0, vcc_lo
	s_cbranch_execz .LBB146_69
.LBB146_98:
	ds_read_b32 v12, v10 offset:256
	s_waitcnt lgkmcnt(0)
	v_add_f32_e32 v1, v1, v12
	s_or_b32 exec_lo, exec_lo, s0
	s_and_saveexec_b32 s0, vcc_lo
	s_cbranch_execnz .LBB146_70
	s_branch .LBB146_71
.LBB146_99:
	ds_read_b32 v11, v10
	s_waitcnt lgkmcnt(0)
	v_add_f32_e32 v9, v9, v11
	s_or_b32 exec_lo, exec_lo, s0
	s_and_saveexec_b32 s0, vcc_lo
	s_cbranch_execz .LBB146_77
.LBB146_100:
	ds_read_b32 v11, v10 offset:32
	s_waitcnt lgkmcnt(0)
	v_add_f32_e32 v8, v8, v11
	s_or_b32 exec_lo, exec_lo, s0
	s_and_saveexec_b32 s0, vcc_lo
	s_cbranch_execz .LBB146_78
.LBB146_101:
	ds_read_b32 v11, v10 offset:64
	s_waitcnt lgkmcnt(0)
	v_add_f32_e32 v7, v7, v11
	s_or_b32 exec_lo, exec_lo, s0
	s_and_saveexec_b32 s0, vcc_lo
	s_cbranch_execz .LBB146_79
.LBB146_102:
	ds_read_b32 v11, v10 offset:96
	s_waitcnt lgkmcnt(0)
	v_add_f32_e32 v6, v6, v11
	s_or_b32 exec_lo, exec_lo, s0
	s_and_saveexec_b32 s0, vcc_lo
	s_cbranch_execz .LBB146_80
.LBB146_103:
	ds_read_b32 v11, v10 offset:128
	s_waitcnt lgkmcnt(0)
	v_add_f32_e32 v5, v5, v11
	s_or_b32 exec_lo, exec_lo, s0
	s_and_saveexec_b32 s0, vcc_lo
	s_cbranch_execz .LBB146_81
.LBB146_104:
	ds_read_b32 v11, v10 offset:160
	s_waitcnt lgkmcnt(0)
	v_add_f32_e32 v4, v4, v11
	s_or_b32 exec_lo, exec_lo, s0
	s_and_saveexec_b32 s0, vcc_lo
	s_cbranch_execz .LBB146_82
.LBB146_105:
	ds_read_b32 v11, v10 offset:192
	s_waitcnt lgkmcnt(0)
	v_add_f32_e32 v3, v3, v11
	s_or_b32 exec_lo, exec_lo, s0
	s_and_saveexec_b32 s0, vcc_lo
	s_cbranch_execz .LBB146_83
.LBB146_106:
	ds_read_b32 v11, v10 offset:224
	s_waitcnt lgkmcnt(0)
	v_add_f32_e32 v2, v2, v11
	s_or_b32 exec_lo, exec_lo, s0
	s_and_saveexec_b32 s0, vcc_lo
	s_cbranch_execz .LBB146_84
.LBB146_107:
	ds_read_b32 v11, v10 offset:256
	s_waitcnt lgkmcnt(0)
	v_add_f32_e32 v1, v1, v11
	s_or_b32 exec_lo, exec_lo, s0
	s_and_saveexec_b32 s0, vcc_lo
	s_cbranch_execnz .LBB146_85
	s_branch .LBB146_86
	.section	.rodata,"a",@progbits
	.p2align	6, 0x0
	.amdhsa_kernel _ZN4vllm25paged_attention_v1_kernelI14__hip_bfloat16S1_Li80ELi32ELi128ELNS_18Fp8KVCacheDataTypeE0ELb1EEEvPT_PKS3_PKT0_S9_ifPKiSB_iPKfiiiSD_SD_iiiii
		.amdhsa_group_segment_fixed_size 192
		.amdhsa_private_segment_fixed_size 56
		.amdhsa_kernarg_size 384
		.amdhsa_user_sgpr_count 6
		.amdhsa_user_sgpr_private_segment_buffer 1
		.amdhsa_user_sgpr_dispatch_ptr 0
		.amdhsa_user_sgpr_queue_ptr 0
		.amdhsa_user_sgpr_kernarg_segment_ptr 1
		.amdhsa_user_sgpr_dispatch_id 0
		.amdhsa_user_sgpr_flat_scratch_init 0
		.amdhsa_user_sgpr_private_segment_size 0
		.amdhsa_wavefront_size32 1
		.amdhsa_uses_dynamic_stack 0
		.amdhsa_system_sgpr_private_segment_wavefront_offset 1
		.amdhsa_system_sgpr_workgroup_id_x 1
		.amdhsa_system_sgpr_workgroup_id_y 1
		.amdhsa_system_sgpr_workgroup_id_z 1
		.amdhsa_system_sgpr_workgroup_info 0
		.amdhsa_system_vgpr_workitem_id 0
		.amdhsa_next_free_vgpr 128
		.amdhsa_next_free_sgpr 44
		.amdhsa_reserve_vcc 1
		.amdhsa_reserve_flat_scratch 0
		.amdhsa_float_round_mode_32 0
		.amdhsa_float_round_mode_16_64 0
		.amdhsa_float_denorm_mode_32 3
		.amdhsa_float_denorm_mode_16_64 3
		.amdhsa_dx10_clamp 1
		.amdhsa_ieee_mode 1
		.amdhsa_fp16_overflow 0
		.amdhsa_workgroup_processor_mode 1
		.amdhsa_memory_ordered 1
		.amdhsa_forward_progress 1
		.amdhsa_shared_vgpr_count 0
		.amdhsa_exception_fp_ieee_invalid_op 0
		.amdhsa_exception_fp_denorm_src 0
		.amdhsa_exception_fp_ieee_div_zero 0
		.amdhsa_exception_fp_ieee_overflow 0
		.amdhsa_exception_fp_ieee_underflow 0
		.amdhsa_exception_fp_ieee_inexact 0
		.amdhsa_exception_int_div_zero 0
	.end_amdhsa_kernel
	.section	.text._ZN4vllm25paged_attention_v1_kernelI14__hip_bfloat16S1_Li80ELi32ELi128ELNS_18Fp8KVCacheDataTypeE0ELb1EEEvPT_PKS3_PKT0_S9_ifPKiSB_iPKfiiiSD_SD_iiiii,"axG",@progbits,_ZN4vllm25paged_attention_v1_kernelI14__hip_bfloat16S1_Li80ELi32ELi128ELNS_18Fp8KVCacheDataTypeE0ELb1EEEvPT_PKS3_PKT0_S9_ifPKiSB_iPKfiiiSD_SD_iiiii,comdat
.Lfunc_end146:
	.size	_ZN4vllm25paged_attention_v1_kernelI14__hip_bfloat16S1_Li80ELi32ELi128ELNS_18Fp8KVCacheDataTypeE0ELb1EEEvPT_PKS3_PKT0_S9_ifPKiSB_iPKfiiiSD_SD_iiiii, .Lfunc_end146-_ZN4vllm25paged_attention_v1_kernelI14__hip_bfloat16S1_Li80ELi32ELi128ELNS_18Fp8KVCacheDataTypeE0ELb1EEEvPT_PKS3_PKT0_S9_ifPKiSB_iPKfiiiSD_SD_iiiii
                                        ; -- End function
	.set _ZN4vllm25paged_attention_v1_kernelI14__hip_bfloat16S1_Li80ELi32ELi128ELNS_18Fp8KVCacheDataTypeE0ELb1EEEvPT_PKS3_PKT0_S9_ifPKiSB_iPKfiiiSD_SD_iiiii.num_vgpr, 128
	.set _ZN4vllm25paged_attention_v1_kernelI14__hip_bfloat16S1_Li80ELi32ELi128ELNS_18Fp8KVCacheDataTypeE0ELb1EEEvPT_PKS3_PKT0_S9_ifPKiSB_iPKfiiiSD_SD_iiiii.num_agpr, 0
	.set _ZN4vllm25paged_attention_v1_kernelI14__hip_bfloat16S1_Li80ELi32ELi128ELNS_18Fp8KVCacheDataTypeE0ELb1EEEvPT_PKS3_PKT0_S9_ifPKiSB_iPKfiiiSD_SD_iiiii.numbered_sgpr, 44
	.set _ZN4vllm25paged_attention_v1_kernelI14__hip_bfloat16S1_Li80ELi32ELi128ELNS_18Fp8KVCacheDataTypeE0ELb1EEEvPT_PKS3_PKT0_S9_ifPKiSB_iPKfiiiSD_SD_iiiii.num_named_barrier, 0
	.set _ZN4vllm25paged_attention_v1_kernelI14__hip_bfloat16S1_Li80ELi32ELi128ELNS_18Fp8KVCacheDataTypeE0ELb1EEEvPT_PKS3_PKT0_S9_ifPKiSB_iPKfiiiSD_SD_iiiii.private_seg_size, 56
	.set _ZN4vllm25paged_attention_v1_kernelI14__hip_bfloat16S1_Li80ELi32ELi128ELNS_18Fp8KVCacheDataTypeE0ELb1EEEvPT_PKS3_PKT0_S9_ifPKiSB_iPKfiiiSD_SD_iiiii.uses_vcc, 1
	.set _ZN4vllm25paged_attention_v1_kernelI14__hip_bfloat16S1_Li80ELi32ELi128ELNS_18Fp8KVCacheDataTypeE0ELb1EEEvPT_PKS3_PKT0_S9_ifPKiSB_iPKfiiiSD_SD_iiiii.uses_flat_scratch, 0
	.set _ZN4vllm25paged_attention_v1_kernelI14__hip_bfloat16S1_Li80ELi32ELi128ELNS_18Fp8KVCacheDataTypeE0ELb1EEEvPT_PKS3_PKT0_S9_ifPKiSB_iPKfiiiSD_SD_iiiii.has_dyn_sized_stack, 0
	.set _ZN4vllm25paged_attention_v1_kernelI14__hip_bfloat16S1_Li80ELi32ELi128ELNS_18Fp8KVCacheDataTypeE0ELb1EEEvPT_PKS3_PKT0_S9_ifPKiSB_iPKfiiiSD_SD_iiiii.has_recursion, 0
	.set _ZN4vllm25paged_attention_v1_kernelI14__hip_bfloat16S1_Li80ELi32ELi128ELNS_18Fp8KVCacheDataTypeE0ELb1EEEvPT_PKS3_PKT0_S9_ifPKiSB_iPKfiiiSD_SD_iiiii.has_indirect_call, 0
	.section	.AMDGPU.csdata,"",@progbits
; Kernel info:
; codeLenInByte = 13776
; TotalNumSgprs: 46
; NumVgprs: 128
; ScratchSize: 56
; MemoryBound: 0
; FloatMode: 240
; IeeeMode: 1
; LDSByteSize: 192 bytes/workgroup (compile time only)
; SGPRBlocks: 0
; VGPRBlocks: 15
; NumSGPRsForWavesPerEU: 46
; NumVGPRsForWavesPerEU: 128
; Occupancy: 8
; WaveLimiterHint : 1
; COMPUTE_PGM_RSRC2:SCRATCH_EN: 1
; COMPUTE_PGM_RSRC2:USER_SGPR: 6
; COMPUTE_PGM_RSRC2:TRAP_HANDLER: 0
; COMPUTE_PGM_RSRC2:TGID_X_EN: 1
; COMPUTE_PGM_RSRC2:TGID_Y_EN: 1
; COMPUTE_PGM_RSRC2:TGID_Z_EN: 1
; COMPUTE_PGM_RSRC2:TIDIG_COMP_CNT: 0
	.section	.text._ZN4vllm25paged_attention_v1_kernelI14__hip_bfloat16S1_Li96ELi32ELi128ELNS_18Fp8KVCacheDataTypeE0ELb1EEEvPT_PKS3_PKT0_S9_ifPKiSB_iPKfiiiSD_SD_iiiii,"axG",@progbits,_ZN4vllm25paged_attention_v1_kernelI14__hip_bfloat16S1_Li96ELi32ELi128ELNS_18Fp8KVCacheDataTypeE0ELb1EEEvPT_PKS3_PKT0_S9_ifPKiSB_iPKfiiiSD_SD_iiiii,comdat
	.protected	_ZN4vllm25paged_attention_v1_kernelI14__hip_bfloat16S1_Li96ELi32ELi128ELNS_18Fp8KVCacheDataTypeE0ELb1EEEvPT_PKS3_PKT0_S9_ifPKiSB_iPKfiiiSD_SD_iiiii ; -- Begin function _ZN4vllm25paged_attention_v1_kernelI14__hip_bfloat16S1_Li96ELi32ELi128ELNS_18Fp8KVCacheDataTypeE0ELb1EEEvPT_PKS3_PKT0_S9_ifPKiSB_iPKfiiiSD_SD_iiiii
	.globl	_ZN4vllm25paged_attention_v1_kernelI14__hip_bfloat16S1_Li96ELi32ELi128ELNS_18Fp8KVCacheDataTypeE0ELb1EEEvPT_PKS3_PKT0_S9_ifPKiSB_iPKfiiiSD_SD_iiiii
	.p2align	8
	.type	_ZN4vllm25paged_attention_v1_kernelI14__hip_bfloat16S1_Li96ELi32ELi128ELNS_18Fp8KVCacheDataTypeE0ELb1EEEvPT_PKS3_PKT0_S9_ifPKiSB_iPKfiiiSD_SD_iiiii,@function
_ZN4vllm25paged_attention_v1_kernelI14__hip_bfloat16S1_Li96ELi32ELi128ELNS_18Fp8KVCacheDataTypeE0ELb1EEEvPT_PKS3_PKT0_S9_ifPKiSB_iPKfiiiSD_SD_iiiii: ; @_ZN4vllm25paged_attention_v1_kernelI14__hip_bfloat16S1_Li96ELi32ELi128ELNS_18Fp8KVCacheDataTypeE0ELb1EEEvPT_PKS3_PKT0_S9_ifPKiSB_iPKfiiiSD_SD_iiiii
; %bb.0:
	s_mov_b64 s[42:43], s[2:3]
	s_mov_b64 s[40:41], s[0:1]
	s_mov_b32 s10, s7
	s_add_u32 s40, s40, s9
	s_clause 0x2
	s_load_dword s9, s[4:5], 0x80
	s_load_dwordx2 s[0:1], s[4:5], 0x30
	s_load_dwordx2 s[2:3], s[4:5], 0x20
	s_addc_u32 s41, s41, 0
	s_ashr_i32 s11, s7, 31
	v_mov_b32_e32 v91, v0
	s_lshl_b64 s[12:13], s[10:11], 2
	s_mov_b32 s31, 0
	s_waitcnt lgkmcnt(0)
	s_add_u32 s0, s0, s12
	s_addc_u32 s1, s1, s13
	s_abs_i32 s7, s2
	s_abs_i32 s13, s9
	v_cvt_f32_u32_e32 v0, s7
	s_sub_i32 s12, 0, s7
	v_rcp_iflag_f32_e32 v0, v0
	v_mul_f32_e32 v0, 0x4f7ffffe, v0
	v_cvt_u32_f32_e32 v0, v0
	v_readfirstlane_b32 s11, v0
	s_mul_i32 s12, s12, s11
	s_mul_hi_u32 s12, s11, s12
	s_add_i32 s11, s11, s12
	s_xor_b32 s12, s9, s2
	s_mul_hi_u32 s11, s13, s11
	s_ashr_i32 s12, s12, 31
	s_mul_i32 s14, s11, s7
	s_sub_i32 s13, s13, s14
	s_add_i32 s14, s11, 1
	s_sub_i32 s15, s13, s7
	s_cmp_ge_u32 s13, s7
	s_cselect_b32 s11, s14, s11
	s_cselect_b32 s13, s15, s13
	s_add_i32 s14, s11, 1
	s_cmp_ge_u32 s13, s7
	s_cselect_b32 s7, s14, s11
	s_abs_i32 s22, s6
	s_xor_b32 s7, s7, s12
	s_sub_i32 s16, s7, s12
	s_load_dwordx2 s[12:13], s[4:5], 0x40
	s_abs_i32 s11, s16
	v_cvt_f32_u32_e32 v0, s11
	s_sub_i32 s14, 0, s11
	v_rcp_iflag_f32_e32 v0, v0
	v_mul_f32_e32 v0, 0x4f7ffffe, v0
	v_cvt_u32_f32_e32 v0, v0
	v_readfirstlane_b32 s7, v0
	s_mul_i32 s14, s14, s7
	s_mul_hi_u32 s14, s7, s14
	s_add_i32 s7, s7, s14
	s_waitcnt lgkmcnt(0)
	s_cmp_eq_u64 s[12:13], 0
	s_mul_hi_u32 s23, s22, s7
	s_cbranch_scc1 .LBB147_2
; %bb.1:
	s_ashr_i32 s7, s6, 31
	s_lshl_b64 s[14:15], s[6:7], 2
	s_add_u32 s12, s12, s14
	s_addc_u32 s13, s13, s15
	s_load_dword s31, s[12:13], 0x0
.LBB147_2:
	s_load_dword s28, s[0:1], 0x0
	s_load_dwordx4 s[12:15], s[4:5], 0x48
	v_lshlrev_b32_e32 v10, 4, v91
	s_ashr_i32 s0, s6, 31
	s_ashr_i32 s1, s16, 31
	s_mul_i32 s20, s6, 0x60
	s_mov_b32 s7, exec_lo
	v_cmpx_gt_u32_e32 12, v91
	s_cbranch_execz .LBB147_4
; %bb.3:
	s_load_dwordx2 s[16:17], s[4:5], 0x8
	s_waitcnt lgkmcnt(0)
	s_mul_i32 s18, s12, s10
	s_ashr_i32 s19, s18, 31
	s_lshl_b64 s[18:19], s[18:19], 1
	s_add_u32 s12, s16, s18
	s_addc_u32 s15, s17, s19
	s_ashr_i32 s21, s20, 31
	s_lshl_b64 s[16:17], s[20:21], 1
	s_add_u32 s16, s12, s16
	s_addc_u32 s17, s15, s17
	global_load_dwordx4 v[0:3], v10, s[16:17]
	s_waitcnt vmcnt(0)
	ds_write_b128 v10, v[0:3]
.LBB147_4:
	s_or_b32 exec_lo, exec_lo, s7
	s_load_dwordx4 s[16:19], s[4:5], 0x68
	s_mul_i32 s7, s23, s11
	s_xor_b32 s1, s0, s1
	s_sub_i32 s0, s22, s7
	s_add_i32 s7, s23, 1
	s_waitcnt lgkmcnt(0)
	s_sub_i32 s12, s0, s11
	s_cmp_ge_u32 s0, s11
	s_mov_b32 s24, -1
	s_cselect_b32 s7, s7, s23
	s_cselect_b32 s0, s12, s0
	s_add_i32 s12, s7, 1
	s_cmp_ge_u32 s0, s11
	s_load_dword s0, s[4:5], 0x78
	s_cselect_b32 s7, s12, s7
	s_add_i32 s11, s28, -1
	s_xor_b32 s7, s7, s1
	s_waitcnt lgkmcnt(0)
	s_sub_i32 s1, s7, s1
	s_barrier
	buffer_gl0_inv
	s_abs_i32 s12, s19
                                        ; implicit-def: $sgpr29
	v_cvt_f32_u32_e32 v0, s12
	s_sub_i32 s7, 0, s12
	v_rcp_iflag_f32_e32 v0, v0
	v_mul_f32_e32 v0, 0x4f7ffffe, v0
	v_cvt_u32_f32_e32 v0, v0
	v_readfirstlane_b32 s21, v0
	s_mul_i32 s7, s7, s21
	s_mul_hi_u32 s15, s21, s7
	s_abs_i32 s7, s11
	s_add_i32 s21, s21, s15
	s_cmp_lt_i32 s0, 0
	s_mul_hi_u32 s15, s7, s21
	s_cbranch_scc0 .LBB147_6
; %bb.5:
	s_mul_i32 s2, s16, s2
	s_mov_b32 s24, 0
	s_add_i32 s2, s1, s2
	s_mul_i32 s2, s2, s0
	s_sub_i32 s29, 1, s2
.LBB147_6:
	s_load_dwordx2 s[22:23], s[4:5], 0x28
	s_ashr_i32 s2, s11, 31
	s_andn2_b32 vcc_lo, exec_lo, s24
	s_ashr_i32 s19, s19, 31
	s_cbranch_vccnz .LBB147_8
; %bb.7:
	s_mul_i32 s11, s9, s16
	s_add_i32 s6, s11, s6
	s_mul_i32 s0, s6, s0
	s_add_i32 s29, s0, 1
.LBB147_8:
	s_load_dword s0, s[4:5], 0x38
	s_mul_i32 s6, s15, s12
	s_xor_b32 s2, s2, s19
	s_sub_i32 s30, s7, s6
	s_add_i32 s16, s15, 1
	s_clause 0x2
	s_load_dwordx2 s[6:7], s[4:5], 0x0
	s_load_dwordx2 s[26:27], s[4:5], 0x18
	s_load_dword s11, s[4:5], 0x88
	v_lshrrev_b32_e32 v92, 5, v91
	v_and_b32_e32 v0, 31, v91
	v_mov_b32_e32 v51, 0xff7fffff
	v_lshrrev_b32_e32 v25, 3, v91
	s_mul_i32 s14, s1, s14
	v_lshlrev_b32_e32 v61, 5, v92
	v_lshlrev_b32_e32 v26, 2, v0
	buffer_store_dword v0, off, s[40:43], 0 ; 4-byte Folded Spill
	s_waitcnt lgkmcnt(0)
	s_mul_i32 s24, s0, s10
	s_sub_i32 s0, s30, s12
	s_ashr_i32 s25, s24, 31
	s_cmp_ge_u32 s30, s12
	s_cselect_b32 s15, s16, s15
	s_cselect_b32 s0, s0, s30
	s_add_i32 s16, s15, 1
	s_cmp_ge_u32 s0, s12
	s_cselect_b32 s0, s16, s15
	s_add_i32 s15, s28, 31
	s_ashr_i32 s16, s15, 31
	s_lshr_b32 s16, s16, 27
	s_add_i32 s15, s15, s16
	s_ashr_i32 s16, s15, 5
	s_xor_b32 s15, s0, s2
	v_cmp_gt_i32_e64 s0, s16, v92
	s_sub_i32 s30, s15, s2
	s_and_saveexec_b32 s33, s0
	s_cbranch_execz .LBB147_16
; %bb.9:
	v_mov_b32_e32 v24, 0
	buffer_store_dword v10, off, s[40:43], 0 offset:160 ; 4-byte Folded Spill
	buffer_store_dword v91, off, s[40:43], 0 offset:152 ; 4-byte Folded Spill
	s_load_dwordx2 s[34:35], s[4:5], 0x10
	s_ashr_i32 s15, s14, 31
	s_sub_i32 s4, s30, s17
	ds_read_b128 v[0:3], v24
	ds_read_b128 v[4:7], v24 offset:16
	ds_read_b128 v[8:11], v24 offset:32
	;; [unrolled: 1-line block ×5, first 2 shown]
	s_lshl_b64 s[36:37], s[14:15], 1
	v_mov_b32_e32 v67, v92
	v_cmp_neq_f32_e64 vcc_lo, s31, 0
	v_mov_b32_e32 v51, 0xff7fffff
	buffer_store_dword v25, off, s[40:43], 0 offset:164 ; 4-byte Folded Spill
	buffer_store_dword v26, off, s[40:43], 0 offset:168 ; 4-byte Folded Spill
	v_lshlrev_b32_e32 v66, 5, v67
	buffer_store_dword v67, off, s[40:43], 0 offset:156 ; 4-byte Folded Spill
	s_waitcnt lgkmcnt(0)
	v_and_b32_e32 v27, 0xffff0000, v0
	v_lshlrev_b32_e32 v0, 16, v0
	s_add_u32 s1, s34, s36
	s_addc_u32 s2, s35, s37
	s_abs_i32 s5, s18
	s_lshl_b64 s[34:35], s[24:25], 2
	buffer_store_dword v0, off, s[40:43], 0 offset:8 ; 4-byte Folded Spill
	v_and_b32_e32 v0, 0xffff0000, v1
	s_sub_i32 s15, 0, s5
	v_lshlrev_b32_e32 v86, 16, v14
	v_and_b32_e32 v87, 0xffff0000, v15
	v_lshlrev_b32_e32 v88, 16, v15
	buffer_store_dword v0, off, s[40:43], 0 offset:12 ; 4-byte Folded Spill
	v_lshlrev_b32_e32 v0, 16, v1
	v_and_b32_e32 v89, 0xffff0000, v18
	v_lshlrev_b32_e32 v90, 16, v18
	v_and_b32_e32 v91, 0xffff0000, v19
	v_lshlrev_b32_e32 v92, 16, v19
	buffer_store_dword v0, off, s[40:43], 0 offset:16 ; 4-byte Folded Spill
	v_and_b32_e32 v0, 0xffff0000, v2
	v_and_b32_e32 v93, 0xffff0000, v22
	v_lshlrev_b32_e32 v94, 16, v22
	v_and_b32_e32 v95, 0xffff0000, v23
	v_lshlrev_b32_e32 v96, 16, v23
	buffer_store_dword v0, off, s[40:43], 0 offset:20 ; 4-byte Folded Spill
	v_lshlrev_b32_e32 v0, 16, v2
	buffer_store_dword v27, off, s[40:43], 0 offset:4 ; 4-byte Folded Spill
	buffer_store_dword v0, off, s[40:43], 0 offset:24 ; 4-byte Folded Spill
	v_and_b32_e32 v0, 0xffff0000, v3
	buffer_store_dword v0, off, s[40:43], 0 offset:28 ; 4-byte Folded Spill
	v_lshlrev_b32_e32 v0, 16, v3
	buffer_store_dword v0, off, s[40:43], 0 offset:32 ; 4-byte Folded Spill
	v_and_b32_e32 v0, 0xffff0000, v4
	buffer_store_dword v0, off, s[40:43], 0 offset:36 ; 4-byte Folded Spill
	v_lshlrev_b32_e32 v0, 16, v4
	v_and_b32_e32 v4, 0xffff0000, v9
	buffer_store_dword v0, off, s[40:43], 0 offset:40 ; 4-byte Folded Spill
	v_and_b32_e32 v0, 0xffff0000, v5
	buffer_store_dword v4, off, s[40:43], 0 offset:100 ; 4-byte Folded Spill
	v_lshlrev_b32_e32 v4, 16, v9
	buffer_store_dword v0, off, s[40:43], 0 offset:44 ; 4-byte Folded Spill
	v_lshlrev_b32_e32 v0, 16, v5
	buffer_store_dword v4, off, s[40:43], 0 offset:104 ; 4-byte Folded Spill
	v_and_b32_e32 v4, 0xffff0000, v13
	buffer_store_dword v0, off, s[40:43], 0 offset:48 ; 4-byte Folded Spill
	v_and_b32_e32 v0, 0xffff0000, v6
	buffer_store_dword v4, off, s[40:43], 0 offset:108 ; 4-byte Folded Spill
	v_lshlrev_b32_e32 v4, 16, v13
	buffer_store_dword v0, off, s[40:43], 0 offset:52 ; 4-byte Folded Spill
	v_lshlrev_b32_e32 v0, 16, v6
	buffer_store_dword v4, off, s[40:43], 0 offset:112 ; 4-byte Folded Spill
	;; [unrolled: 8-line block ×5, first 2 shown]
	v_and_b32_e32 v4, 0xffff0000, v11
	v_cvt_f32_u32_e32 v12, s5
	buffer_store_dword v0, off, s[40:43], 0 offset:80 ; 4-byte Folded Spill
	v_and_b32_e32 v0, 0xffff0000, v16
	buffer_store_dword v4, off, s[40:43], 0 offset:140 ; 4-byte Folded Spill
	v_lshlrev_b32_e32 v4, 16, v11
	ds_read_b128 v[8:11], v24 offset:128
	v_rcp_iflag_f32_e32 v12, v12
	buffer_store_dword v0, off, s[40:43], 0 offset:84 ; 4-byte Folded Spill
	v_lshlrev_b32_e32 v0, 16, v16
	buffer_store_dword v4, off, s[40:43], 0 offset:144 ; 4-byte Folded Spill
	v_and_b32_e32 v4, 0xffff0000, v14
	buffer_store_dword v0, off, s[40:43], 0 offset:88 ; 4-byte Folded Spill
	v_and_b32_e32 v0, 0xffff0000, v20
	buffer_store_dword v4, off, s[40:43], 0 offset:148 ; 4-byte Folded Spill
	ds_read_b128 v[4:7], v24 offset:112
	buffer_store_dword v0, off, s[40:43], 0 offset:92 ; 4-byte Folded Spill
	v_lshlrev_b32_e32 v0, 16, v20
	buffer_store_dword v0, off, s[40:43], 0 offset:96 ; 4-byte Folded Spill
	ds_read_b128 v[0:3], v24 offset:96
	s_waitcnt lgkmcnt(1)
	v_and_b32_e32 v105, 0xffff0000, v4
	v_lshlrev_b32_e32 v106, 16, v4
	v_and_b32_e32 v107, 0xffff0000, v5
	v_lshlrev_b32_e32 v108, 16, v5
	;; [unrolled: 2-line block ×4, first 2 shown]
	ds_read_b128 v[4:7], v24 offset:160
	s_waitcnt lgkmcnt(1)
	v_and_b32_e32 v97, 0xffff0000, v0
	v_lshlrev_b32_e32 v98, 16, v0
	v_and_b32_e32 v99, 0xffff0000, v1
	v_lshlrev_b32_e32 v100, 16, v1
	;; [unrolled: 2-line block ×4, first 2 shown]
	ds_read_b128 v[0:3], v24 offset:144
	v_and_b32_e32 v113, 0xffff0000, v8
	v_lshlrev_b32_e32 v114, 16, v8
	v_and_b32_e32 v115, 0xffff0000, v9
	v_lshlrev_b32_e32 v116, 16, v9
	;; [unrolled: 2-line block ×4, first 2 shown]
	ds_read_b128 v[8:11], v24 offset:176
	s_waitcnt lgkmcnt(2)
	v_and_b32_e32 v43, 0xffff0000, v4
	v_lshlrev_b32_e32 v45, 16, v4
	buffer_load_dword v4, off, s[40:43], 0  ; 4-byte Folded Reload
	v_and_b32_e32 v59, 0xffff0000, v5
	v_lshlrev_b32_e32 v60, 16, v5
	v_and_b32_e32 v46, 0xffff0000, v6
	v_and_b32_e32 v47, 0xffff0000, v7
	v_lshlrev_b32_e32 v48, 16, v7
	s_waitcnt lgkmcnt(1)
	v_and_b32_e32 v121, 0xffff0000, v0
	v_lshlrev_b32_e32 v122, 16, v0
	v_mul_f32_e32 v0, 0x4f7ffffe, v12
	v_and_b32_e32 v123, 0xffff0000, v1
	v_lshlrev_b32_e32 v124, 16, v1
	v_and_b32_e32 v125, 0xffff0000, v2
	v_lshlrev_b32_e32 v126, 16, v2
	v_cvt_u32_f32_e32 v1, v0
	v_and_b32_e32 v127, 0xffff0000, v3
	v_lshlrev_b32_e32 v44, 16, v3
	v_lshl_or_b32 v3, v67, 7, v26
	v_lshlrev_b32_e32 v0, 16, v6
	v_mul_lo_u32 v2, s15, v1
	s_add_u32 s15, s22, s34
	s_addc_u32 s34, s23, s35
	s_waitcnt lgkmcnt(0)
	v_and_b32_e32 v49, 0xffff0000, v8
	v_lshlrev_b32_e32 v50, 16, v8
	v_and_b32_e32 v52, 0xffff0000, v9
	v_lshlrev_b32_e32 v53, 16, v9
	v_and_b32_e32 v54, 0xffff0000, v10
	v_mul_hi_u32 v2, v1, v2
	v_lshlrev_b32_e32 v55, 16, v10
	v_and_b32_e32 v56, 0xffff0000, v11
	v_lshlrev_b32_e32 v57, 16, v11
	v_add_nc_u32_e32 v63, 0xe0, v3
	v_add_nc_u32_e32 v58, v1, v2
	v_and_b32_e32 v1, 0x7c, v25
	v_add_co_u32 v41, s15, s15, v1
	v_add_co_ci_u32_e64 v42, null, s34, 0, s15
	s_mov_b32 s34, s13
	s_mov_b32 s15, 0
	s_waitcnt vmcnt(0)
	v_subrev_nc_u32_e32 v2, s28, v4
	v_lshlrev_b32_e32 v4, 4, v4
	v_add_nc_u32_e32 v62, 1, v2
	v_add_co_u32 v64, s1, s1, v4
	v_add_co_ci_u32_e64 v65, null, s2, 0, s1
	s_branch .LBB147_11
.LBB147_10:                             ;   in Loop: Header=BB147_11 Depth=1
	s_or_b32 exec_lo, exec_lo, s35
	v_add_nc_u32_e32 v67, 4, v67
	v_add_co_u32 v41, s2, v41, 16
	v_add_co_ci_u32_e64 v42, null, 0, v42, s2
	v_cmp_le_i32_e64 s1, s16, v67
	v_add_nc_u32_e32 v66, 0x80, v66
	v_add_nc_u32_e32 v63, 0x200, v63
	s_or_b32 s15, s1, s15
	s_andn2_b32 exec_lo, exec_lo, s15
	s_cbranch_execz .LBB147_15
.LBB147_11:                             ; =>This Inner Loop Header: Depth=1
	v_mul_hi_u32 v1, v66, s21
	v_mul_lo_u32 v2, v1, s12
	v_add_nc_u32_e32 v3, 1, v1
	v_sub_nc_u32_e32 v2, v66, v2
	v_subrev_nc_u32_e32 v4, s12, v2
	v_cmp_le_u32_e64 s1, s12, v2
	v_cndmask_b32_e64 v1, v1, v3, s1
	v_cndmask_b32_e64 v2, v2, v4, s1
	v_add_nc_u32_e32 v3, 1, v1
	v_cmp_le_u32_e64 s1, s12, v2
	v_cndmask_b32_e64 v1, v1, v3, s1
	v_xor_b32_e32 v1, s19, v1
	v_subrev_nc_u32_e32 v1, s19, v1
	v_add_nc_u32_e32 v2, s29, v1
	v_cmp_ge_i32_e64 s2, s4, v1
	v_sub_nc_u32_e32 v3, 0, v2
	v_max_i32_e32 v3, v2, v3
	v_ashrrev_i32_e32 v2, 31, v2
	v_mul_hi_u32 v4, v3, v58
	v_mul_lo_u32 v4, v4, s5
	v_sub_nc_u32_e32 v3, v3, v4
	v_subrev_nc_u32_e32 v4, s5, v3
	v_cmp_le_u32_e64 s1, s5, v3
	v_cndmask_b32_e64 v3, v3, v4, s1
	v_subrev_nc_u32_e32 v4, s5, v3
	v_cmp_le_u32_e64 s1, s5, v3
	v_cndmask_b32_e64 v3, v3, v4, s1
	v_xor_b32_e32 v3, v3, v2
	v_sub_nc_u32_e32 v2, v3, v2
	v_cmp_ne_u32_e64 s1, 0, v2
	s_and_b32 s1, s1, s2
	s_and_saveexec_b32 s2, s1
	s_xor_b32 s1, exec_lo, s2
; %bb.12:                               ;   in Loop: Header=BB147_11 Depth=1
	v_mov_b32_e32 v1, 0xff7fffff
	ds_write_b32 v63, v1
; %bb.13:                               ;   in Loop: Header=BB147_11 Depth=1
	s_andn2_saveexec_b32 s35, s1
	s_cbranch_execz .LBB147_10
; %bb.14:                               ;   in Loop: Header=BB147_11 Depth=1
	global_load_dword v1, v[41:42], off
	buffer_load_dword v2, off, s[40:43], 0  ; 4-byte Folded Reload
	s_waitcnt vmcnt(0)
	v_add_nc_u32_e32 v3, v2, v66
	v_mad_i64_i32 v[1:2], null, v1, s34, 0
	v_lshlrev_b64 v[1:2], 1, v[1:2]
	v_add_co_u32 v5, s1, v64, v1
	v_add_nc_u32_e32 v1, v62, v66
	v_add_co_ci_u32_e64 v6, null, v65, v2, s1
	v_cmp_gt_i32_e64 s1, s28, v3
	v_cvt_f32_i32_e32 v1, v1
	v_mul_f32_e32 v1, s31, v1
	v_cndmask_b32_e32 v68, 0, v1, vcc_lo
	global_load_dwordx4 v[1:4], v[5:6], off
	s_waitcnt vmcnt(0)
	v_lshlrev_b32_e32 v79, 16, v1
	v_and_b32_e32 v80, 0xffff0000, v1
	v_lshlrev_b32_e32 v81, 16, v2
	v_and_b32_e32 v82, 0xffff0000, v2
	;; [unrolled: 2-line block ×4, first 2 shown]
	s_clause 0x2
	global_load_dwordx4 v[1:4], v[5:6], off offset:512
	global_load_dwordx4 v[37:40], v[5:6], off offset:1024
	;; [unrolled: 1-line block ×3, first 2 shown]
	s_waitcnt vmcnt(2)
	v_and_b32_e32 v70, 0xffff0000, v1
	v_lshlrev_b32_e32 v69, 16, v1
	v_add_co_u32 v1, s2, 0x800, v5
	v_and_b32_e32 v83, 0xffff0000, v2
	v_lshlrev_b32_e32 v84, 16, v2
	v_and_b32_e32 v77, 0xffff0000, v3
	v_lshlrev_b32_e32 v78, 16, v3
	v_add_co_ci_u32_e64 v2, null, 0, v6, s2
	v_add_co_u32 v3, s2, v5, 0x1000
	v_and_b32_e32 v73, 0xffff0000, v4
	v_lshlrev_b32_e32 v74, 16, v4
	v_add_co_ci_u32_e64 v4, null, 0, v6, s2
	s_clause 0x3
	global_load_dwordx4 v[29:32], v[3:4], off offset:-2048
	global_load_dwordx4 v[25:28], v[1:2], off offset:512
	global_load_dwordx4 v[21:24], v[1:2], off offset:1024
	;; [unrolled: 1-line block ×3, first 2 shown]
	v_add_co_u32 v1, s2, 0x1000, v5
	v_add_co_ci_u32_e64 v2, null, 0, v6, s2
	s_clause 0x3
	global_load_dwordx4 v[13:16], v[3:4], off
	global_load_dwordx4 v[9:12], v[1:2], off offset:512
	global_load_dwordx4 v[5:8], v[1:2], off offset:1024
	;; [unrolled: 1-line block ×3, first 2 shown]
	buffer_load_dword v85, off, s[40:43], 0 offset:40 ; 4-byte Folded Reload
	s_waitcnt vmcnt(0)
	v_mul_f32_e32 v69, v85, v69
	buffer_load_dword v85, off, s[40:43], 0 offset:36 ; 4-byte Folded Reload
	s_waitcnt vmcnt(0)
	v_mul_f32_e32 v70, v85, v70
	buffer_load_dword v85, off, s[40:43], 0 offset:4 ; 4-byte Folded Reload
	s_waitcnt vmcnt(0)
	v_fmac_f32_e32 v70, v85, v80
	buffer_load_dword v80, off, s[40:43], 0 offset:8 ; 4-byte Folded Reload
	s_waitcnt vmcnt(0)
	v_fmac_f32_e32 v69, v80, v79
	buffer_load_dword v80, off, s[40:43], 0 offset:72 ; 4-byte Folded Reload
	v_and_b32_e32 v79, 0xffff0000, v37
	v_lshlrev_b32_e32 v37, 16, v37
	s_waitcnt vmcnt(0)
	v_fmac_f32_e32 v69, v80, v37
	buffer_load_dword v37, off, s[40:43], 0 offset:68 ; 4-byte Folded Reload
	s_waitcnt vmcnt(0)
	v_fmac_f32_e32 v70, v37, v79
	buffer_load_dword v79, off, s[40:43], 0 offset:76 ; 4-byte Folded Reload
	v_lshlrev_b32_e32 v37, 16, v33
	v_and_b32_e32 v33, 0xffff0000, v33
	s_waitcnt vmcnt(0)
	v_fmac_f32_e32 v70, v79, v33
	buffer_load_dword v33, off, s[40:43], 0 offset:80 ; 4-byte Folded Reload
	s_waitcnt vmcnt(0)
	v_fmac_f32_e32 v69, v33, v37
	buffer_load_dword v37, off, s[40:43], 0 offset:88 ; 4-byte Folded Reload
	v_and_b32_e32 v33, 0xffff0000, v29
	v_lshlrev_b32_e32 v29, 16, v29
	s_waitcnt vmcnt(0)
	v_fmac_f32_e32 v69, v37, v29
	buffer_load_dword v29, off, s[40:43], 0 offset:84 ; 4-byte Folded Reload
	s_waitcnt vmcnt(0)
	v_fmac_f32_e32 v70, v29, v33
	buffer_load_dword v33, off, s[40:43], 0 offset:92 ; 4-byte Folded Reload
	v_lshlrev_b32_e32 v29, 16, v25
	v_and_b32_e32 v25, 0xffff0000, v25
	s_waitcnt vmcnt(0)
	v_fmac_f32_e32 v70, v33, v25
	buffer_load_dword v25, off, s[40:43], 0 offset:96 ; 4-byte Folded Reload
	s_waitcnt vmcnt(0)
	v_fmac_f32_e32 v69, v25, v29
	v_and_b32_e32 v25, 0xffff0000, v21
	v_lshlrev_b32_e32 v21, 16, v21
	v_fmac_f32_e32 v70, v97, v25
	v_fmac_f32_e32 v69, v98, v21
	v_lshlrev_b32_e32 v21, 16, v17
	v_and_b32_e32 v17, 0xffff0000, v17
	v_fmac_f32_e32 v69, v106, v21
	v_fmac_f32_e32 v70, v105, v17
	v_and_b32_e32 v17, 0xffff0000, v13
	v_lshlrev_b32_e32 v13, 16, v13
	v_fmac_f32_e32 v70, v113, v17
	v_fmac_f32_e32 v69, v114, v13
	v_lshlrev_b32_e32 v13, 16, v9
	v_and_b32_e32 v9, 0xffff0000, v9
	buffer_load_dword v17, off, s[40:43], 0 offset:104 ; 4-byte Folded Reload
	v_fmac_f32_e32 v69, v122, v13
	v_fmac_f32_e32 v70, v121, v9
	v_and_b32_e32 v9, 0xffff0000, v5
	v_lshlrev_b32_e32 v5, 16, v5
	v_lshlrev_b32_e32 v13, 16, v38
	v_fmac_f32_e32 v70, v43, v9
	v_fmac_f32_e32 v69, v45, v5
	v_lshlrev_b32_e32 v5, 16, v1
	v_and_b32_e32 v1, 0xffff0000, v1
	buffer_load_dword v9, off, s[40:43], 0 offset:12 ; 4-byte Folded Reload
	v_fmac_f32_e32 v69, v50, v5
	v_fmac_f32_e32 v70, v49, v1
	buffer_load_dword v1, off, s[40:43], 0 offset:48 ; 4-byte Folded Reload
	s_waitcnt vmcnt(0)
	v_mul_f32_e32 v5, v1, v84
	buffer_load_dword v1, off, s[40:43], 0 offset:44 ; 4-byte Folded Reload
	s_waitcnt vmcnt(0)
	v_mul_f32_e32 v1, v1, v83
	v_fmac_f32_e32 v1, v9, v82
	buffer_load_dword v9, off, s[40:43], 0 offset:16 ; 4-byte Folded Reload
	s_waitcnt vmcnt(0)
	v_fmac_f32_e32 v5, v9, v81
	v_and_b32_e32 v9, 0xffff0000, v38
	v_fmac_f32_e32 v5, v17, v13
	s_clause 0x1
	buffer_load_dword v13, off, s[40:43], 0 offset:100
	buffer_load_dword v17, off, s[40:43], 0 offset:108
	s_waitcnt vmcnt(1)
	v_fmac_f32_e32 v1, v13, v9
	v_and_b32_e32 v13, 0xffff0000, v34
	v_lshlrev_b32_e32 v9, 16, v34
	s_waitcnt vmcnt(0)
	v_fmac_f32_e32 v1, v17, v13
	s_clause 0x1
	buffer_load_dword v13, off, s[40:43], 0 offset:112
	buffer_load_dword v17, off, s[40:43], 0 offset:120
	s_waitcnt vmcnt(1)
	v_fmac_f32_e32 v5, v13, v9
	v_lshlrev_b32_e32 v13, 16, v30
	v_and_b32_e32 v9, 0xffff0000, v30
	s_waitcnt vmcnt(0)
	v_fmac_f32_e32 v5, v17, v13
	s_clause 0x1
	buffer_load_dword v13, off, s[40:43], 0 offset:116
	buffer_load_dword v17, off, s[40:43], 0 offset:124
	s_waitcnt vmcnt(1)
	v_fmac_f32_e32 v1, v13, v9
	v_and_b32_e32 v13, 0xffff0000, v26
	v_lshlrev_b32_e32 v9, 16, v26
	s_waitcnt vmcnt(0)
	v_fmac_f32_e32 v1, v17, v13
	buffer_load_dword v13, off, s[40:43], 0 offset:128 ; 4-byte Folded Reload
	s_waitcnt vmcnt(0)
	v_fmac_f32_e32 v5, v13, v9
	v_and_b32_e32 v9, 0xffff0000, v22
	v_lshlrev_b32_e32 v13, 16, v22
	v_fmac_f32_e32 v1, v99, v9
	v_fmac_f32_e32 v5, v100, v13
	v_lshlrev_b32_e32 v9, 16, v18
	v_and_b32_e32 v13, 0xffff0000, v18
	v_fmac_f32_e32 v5, v108, v9
	v_fmac_f32_e32 v1, v107, v13
	v_and_b32_e32 v9, 0xffff0000, v14
	v_lshlrev_b32_e32 v13, 16, v14
	v_fmac_f32_e32 v1, v115, v9
	v_fmac_f32_e32 v5, v116, v13
	v_lshlrev_b32_e32 v9, 16, v10
	v_and_b32_e32 v10, 0xffff0000, v10
	buffer_load_dword v13, off, s[40:43], 0 offset:136 ; 4-byte Folded Reload
	v_fmac_f32_e32 v5, v124, v9
	v_fmac_f32_e32 v1, v123, v10
	v_and_b32_e32 v9, 0xffff0000, v6
	v_lshlrev_b32_e32 v6, 16, v6
	v_lshlrev_b32_e32 v10, 16, v39
	v_fmac_f32_e32 v1, v59, v9
	v_fmac_f32_e32 v5, v60, v6
	v_lshlrev_b32_e32 v6, 16, v2
	v_and_b32_e32 v2, 0xffff0000, v2
	buffer_load_dword v9, off, s[40:43], 0 offset:20 ; 4-byte Folded Reload
	v_fmac_f32_e32 v5, v53, v6
	v_fmac_f32_e32 v1, v52, v2
	buffer_load_dword v2, off, s[40:43], 0 offset:56 ; 4-byte Folded Reload
	s_waitcnt vmcnt(0)
	v_mul_f32_e32 v6, v2, v78
	buffer_load_dword v2, off, s[40:43], 0 offset:52 ; 4-byte Folded Reload
	s_waitcnt vmcnt(0)
	v_mul_f32_e32 v2, v2, v77
	v_fmac_f32_e32 v2, v9, v76
	buffer_load_dword v9, off, s[40:43], 0 offset:24 ; 4-byte Folded Reload
	s_waitcnt vmcnt(0)
	v_fmac_f32_e32 v6, v9, v75
	v_and_b32_e32 v9, 0xffff0000, v39
	v_fmac_f32_e32 v6, v13, v10
	s_clause 0x1
	buffer_load_dword v10, off, s[40:43], 0 offset:132
	buffer_load_dword v13, off, s[40:43], 0 offset:148
	s_waitcnt vmcnt(1)
	v_fmac_f32_e32 v2, v10, v9
	v_lshlrev_b32_e32 v9, 16, v35
	v_and_b32_e32 v10, 0xffff0000, v35
	v_fmac_f32_e32 v6, v86, v9
	s_waitcnt vmcnt(0)
	v_fmac_f32_e32 v2, v13, v10
	v_and_b32_e32 v9, 0xffff0000, v31
	v_lshlrev_b32_e32 v10, 16, v31
	v_fmac_f32_e32 v2, v89, v9
	v_fmac_f32_e32 v6, v90, v10
	v_lshlrev_b32_e32 v9, 16, v27
	v_and_b32_e32 v10, 0xffff0000, v27
	v_fmac_f32_e32 v6, v94, v9
	v_fmac_f32_e32 v2, v93, v10
	v_and_b32_e32 v9, 0xffff0000, v23
	v_lshlrev_b32_e32 v10, 16, v23
	v_fmac_f32_e32 v2, v101, v9
	v_fmac_f32_e32 v6, v102, v10
	v_lshlrev_b32_e32 v9, 16, v19
	v_and_b32_e32 v10, 0xffff0000, v19
	v_fmac_f32_e32 v6, v110, v9
	v_fmac_f32_e32 v2, v109, v10
	v_and_b32_e32 v9, 0xffff0000, v15
	v_lshlrev_b32_e32 v10, 16, v15
	v_fmac_f32_e32 v2, v117, v9
	v_fmac_f32_e32 v6, v118, v10
	v_lshlrev_b32_e32 v9, 16, v11
	v_and_b32_e32 v10, 0xffff0000, v11
	buffer_load_dword v11, off, s[40:43], 0 offset:144 ; 4-byte Folded Reload
	v_fmac_f32_e32 v6, v126, v9
	v_fmac_f32_e32 v2, v125, v10
	v_and_b32_e32 v9, 0xffff0000, v7
	v_lshlrev_b32_e32 v7, 16, v7
	v_lshlrev_b32_e32 v10, 16, v40
	v_fmac_f32_e32 v2, v46, v9
	v_fmac_f32_e32 v6, v0, v7
	v_lshlrev_b32_e32 v7, 16, v3
	v_and_b32_e32 v3, 0xffff0000, v3
	buffer_load_dword v9, off, s[40:43], 0 offset:28 ; 4-byte Folded Reload
	v_fmac_f32_e32 v6, v55, v7
	v_fmac_f32_e32 v2, v54, v3
	buffer_load_dword v3, off, s[40:43], 0 offset:64 ; 4-byte Folded Reload
	s_waitcnt vmcnt(0)
	v_mul_f32_e32 v7, v3, v74
	buffer_load_dword v3, off, s[40:43], 0 offset:60 ; 4-byte Folded Reload
	s_waitcnt vmcnt(0)
	v_mul_f32_e32 v3, v3, v73
	v_fmac_f32_e32 v3, v9, v72
	buffer_load_dword v9, off, s[40:43], 0 offset:32 ; 4-byte Folded Reload
	s_waitcnt vmcnt(0)
	v_fmac_f32_e32 v7, v9, v71
	v_and_b32_e32 v9, 0xffff0000, v40
	v_fmac_f32_e32 v7, v11, v10
	buffer_load_dword v10, off, s[40:43], 0 offset:140 ; 4-byte Folded Reload
	s_waitcnt vmcnt(0)
	v_fmac_f32_e32 v3, v10, v9
	v_lshlrev_b32_e32 v9, 16, v36
	v_and_b32_e32 v10, 0xffff0000, v36
	v_fmac_f32_e32 v7, v88, v9
	v_fmac_f32_e32 v3, v87, v10
	v_and_b32_e32 v9, 0xffff0000, v32
	v_lshlrev_b32_e32 v10, 16, v32
	v_fmac_f32_e32 v3, v91, v9
	v_fmac_f32_e32 v7, v92, v10
	v_lshlrev_b32_e32 v9, 16, v28
	v_and_b32_e32 v10, 0xffff0000, v28
	v_fmac_f32_e32 v7, v96, v9
	v_fmac_f32_e32 v3, v95, v10
	v_and_b32_e32 v9, 0xffff0000, v24
	v_lshlrev_b32_e32 v10, 16, v24
	v_fmac_f32_e32 v3, v103, v9
	;; [unrolled: 8-line block ×4, first 2 shown]
	v_fmac_f32_e32 v7, v48, v8
	v_lshlrev_b32_e32 v8, 16, v4
	v_and_b32_e32 v4, 0xffff0000, v4
	v_fmac_f32_e32 v7, v57, v8
	v_fmac_f32_e32 v3, v56, v4
	v_add_f32_e32 v4, v69, v70
	v_add_f32_e32 v4, v4, v5
	;; [unrolled: 1-line block ×5, first 2 shown]
	v_max_f32_e32 v2, v51, v51
	v_add_f32_e32 v1, v7, v1
	v_add_f32_e32 v1, v3, v1
	v_fmac_f32_e32 v68, s3, v1
	v_max_f32_e32 v2, v2, v68
	v_cndmask_b32_e64 v1, 0, v68, s1
	v_cndmask_b32_e64 v51, v51, v2, s1
	ds_write_b32 v63, v1
	s_branch .LBB147_10
.LBB147_15:
	s_or_b32 exec_lo, exec_lo, s15
	s_clause 0x4
	buffer_load_dword v91, off, s[40:43], 0 offset:152
	buffer_load_dword v92, off, s[40:43], 0 offset:156
	;; [unrolled: 1-line block ×5, first 2 shown]
.LBB147_16:
	s_or_b32 exec_lo, exec_lo, s33
	v_mbcnt_lo_u32_b32 v1, -1, 0
	v_max_f32_e32 v4, v51, v51
	v_xor_b32_e32 v0, 16, v1
	v_xor_b32_e32 v3, 8, v1
	v_cmp_gt_i32_e32 vcc_lo, 32, v0
	v_cndmask_b32_e32 v0, v1, v0, vcc_lo
	v_cmp_gt_i32_e32 vcc_lo, 32, v3
	v_lshlrev_b32_e32 v0, 2, v0
	v_cndmask_b32_e32 v3, v1, v3, vcc_lo
	ds_bpermute_b32 v2, v0, v51
	s_waitcnt lgkmcnt(0)
	v_max_f32_e32 v5, v2, v2
	v_lshlrev_b32_e32 v2, 2, v3
	v_max_f32_e32 v4, v4, v5
	v_xor_b32_e32 v5, 4, v1
	ds_bpermute_b32 v3, v2, v4
	v_cmp_gt_i32_e32 vcc_lo, 32, v5
	v_cndmask_b32_e32 v5, v1, v5, vcc_lo
	s_waitcnt lgkmcnt(0)
	v_max_f32_e32 v6, v3, v3
	v_lshlrev_b32_e32 v3, 2, v5
	v_max_f32_e32 v4, v4, v6
	v_xor_b32_e32 v6, 2, v1
	ds_bpermute_b32 v5, v3, v4
	v_cmp_gt_i32_e32 vcc_lo, 32, v6
	v_cndmask_b32_e32 v6, v1, v6, vcc_lo
	v_lshlrev_b32_e32 v63, 2, v6
	v_xor_b32_e32 v6, 1, v1
	v_cmp_gt_i32_e32 vcc_lo, 32, v6
	s_waitcnt lgkmcnt(0)
	v_max_f32_e32 v5, v5, v5
	v_cndmask_b32_e32 v6, v1, v6, vcc_lo
	v_max_f32_e32 v4, v4, v5
	v_lshlrev_b32_e32 v62, 2, v6
	ds_bpermute_b32 v5, v63, v4
	s_waitcnt lgkmcnt(0)
	v_max_f32_e32 v5, v5, v5
	v_max_f32_e32 v1, v4, v5
	buffer_load_dword v4, off, s[40:43], 0  ; 4-byte Folded Reload
	ds_bpermute_b32 v5, v62, v1
	s_waitcnt vmcnt(0)
	v_cmp_eq_u32_e32 vcc_lo, 0, v4
	v_lshlrev_b32_e32 v4, 2, v92
	s_and_saveexec_b32 s1, vcc_lo
	s_cbranch_execz .LBB147_18
; %bb.17:
	s_waitcnt lgkmcnt(0)
	v_max_f32_e32 v5, v5, v5
	v_max_f32_e32 v1, v1, v1
	;; [unrolled: 1-line block ×3, first 2 shown]
	ds_write_b32 v4, v1 offset:192
.LBB147_18:
	s_or_b32 exec_lo, exec_lo, s1
	buffer_load_dword v1, off, s[40:43], 0  ; 4-byte Folded Reload
	s_waitcnt vmcnt(0) lgkmcnt(0)
	s_waitcnt_vscnt null, 0x0
	s_barrier
	buffer_gl0_inv
	v_cmp_gt_u32_e64 s1, 4, v1
	v_mov_b32_e32 v1, 0xff7fffff
	s_and_saveexec_b32 s2, s1
; %bb.19:
	ds_read_b32 v1, v26 offset:192
; %bb.20:
	s_or_b32 exec_lo, exec_lo, s2
	s_waitcnt lgkmcnt(0)
	ds_bpermute_b32 v5, v63, v1
	v_max_f32_e32 v1, v1, v1
	s_lshl_b32 s2, s16, 5
	s_min_i32 s4, s2, s28
	v_cmp_gt_i32_e64 s2, s4, v91
	s_waitcnt lgkmcnt(0)
	v_max_f32_e32 v5, v5, v5
	v_max_f32_e32 v1, v1, v5
	ds_bpermute_b32 v5, v62, v1
	s_waitcnt lgkmcnt(0)
	v_max_f32_e32 v5, v5, v5
	v_max_f32_e32 v1, v1, v5
	v_mov_b32_e32 v5, 0
	ds_bpermute_b32 v6, v5, v1
	v_lshl_add_u32 v1, v91, 2, 0xe0
	s_and_saveexec_b32 s5, s2
	s_cbranch_execz .LBB147_24
; %bb.21:
	v_lshl_add_u32 v7, v91, 2, 0xe0
	v_mov_b32_e32 v5, 0
	v_mov_b32_e32 v8, v91
	s_mov_b32 s15, 0
	.p2align	6
.LBB147_22:                             ; =>This Inner Loop Header: Depth=1
	ds_read_b32 v9, v7
	v_add_nc_u32_e32 v8, 0x80, v8
	v_cmp_le_i32_e64 s3, s4, v8
	s_or_b32 s15, s3, s15
	s_waitcnt lgkmcnt(0)
	v_sub_f32_e32 v9, v9, v6
	v_mul_f32_e32 v9, 0x3fb8aa3b, v9
	v_exp_f32_e32 v9, v9
	ds_write_b32 v7, v9
	v_add_f32_e32 v5, v5, v9
	v_add_nc_u32_e32 v7, 0x200, v7
	s_andn2_b32 exec_lo, exec_lo, s15
	s_cbranch_execnz .LBB147_22
; %bb.23:
	s_or_b32 exec_lo, exec_lo, s15
.LBB147_24:
	s_or_b32 exec_lo, exec_lo, s5
	ds_bpermute_b32 v0, v0, v5
	s_waitcnt lgkmcnt(0)
	v_add_f32_e32 v0, v5, v0
	ds_bpermute_b32 v2, v2, v0
	s_waitcnt lgkmcnt(0)
	v_add_f32_e32 v0, v0, v2
	;; [unrolled: 3-line block ×5, first 2 shown]
	s_and_saveexec_b32 s3, vcc_lo
; %bb.25:
	ds_write_b32 v4, v0 offset:208
; %bb.26:
	s_or_b32 exec_lo, exec_lo, s3
	s_waitcnt lgkmcnt(0)
	s_barrier
	buffer_gl0_inv
	s_and_saveexec_b32 s3, s1
; %bb.27:
	ds_read_b32 v0, v26 offset:208
; %bb.28:
	s_or_b32 exec_lo, exec_lo, s3
	s_waitcnt lgkmcnt(0)
	ds_bpermute_b32 v2, v63, v0
	s_waitcnt lgkmcnt(0)
	v_add_f32_e32 v0, v0, v2
	ds_bpermute_b32 v2, v62, v0
	s_waitcnt lgkmcnt(0)
	v_add_f32_e32 v0, v0, v2
	v_mov_b32_e32 v2, 0
	ds_bpermute_b32 v0, v2, v0
	s_and_saveexec_b32 s1, s2
	s_cbranch_execz .LBB147_31
; %bb.29:
	s_waitcnt lgkmcnt(0)
	v_add_f32_e32 v0, 0x358637bd, v0
	s_mov_b32 s2, 0
	v_div_scale_f32 v2, null, v0, v0, 1.0
	v_div_scale_f32 v5, vcc_lo, 1.0, v0, 1.0
	v_rcp_f32_e32 v3, v2
	v_fma_f32 v4, -v2, v3, 1.0
	v_fmac_f32_e32 v3, v4, v3
	v_mul_f32_e32 v4, v5, v3
	v_fma_f32 v6, -v2, v4, v5
	v_fmac_f32_e32 v4, v6, v3
	v_fma_f32 v2, -v2, v4, v5
	v_div_fmas_f32 v2, v2, v3, v4
	v_div_fixup_f32 v0, v2, v0, 1.0
	v_mov_b32_e32 v2, v91
.LBB147_30:                             ; =>This Inner Loop Header: Depth=1
	ds_read_b32 v3, v1
	v_add_nc_u32_e32 v2, 0x80, v2
	v_cmp_le_i32_e32 vcc_lo, s4, v2
	s_or_b32 s2, vcc_lo, s2
	s_waitcnt lgkmcnt(0)
	v_mul_f32_e32 v3, v0, v3
	ds_write_b32 v1, v3
	v_add_nc_u32_e32 v1, 0x200, v1
	s_andn2_b32 exec_lo, exec_lo, s2
	s_cbranch_execnz .LBB147_30
.LBB147_31:
	s_or_b32 exec_lo, exec_lo, s1
	v_mov_b32_e32 v75, 0
	v_and_b32_e32 v64, 3, v91
	v_mov_b32_e32 v76, 0
	v_mov_b32_e32 v74, 0
	;; [unrolled: 1-line block ×11, first 2 shown]
	s_waitcnt lgkmcnt(0)
	s_barrier
	buffer_gl0_inv
	s_and_saveexec_b32 s3, s0
	s_cbranch_execz .LBB147_61
; %bb.32:
	s_ashr_i32 s15, s14, 31
	s_sub_i32 s4, s30, s17
	s_lshl_b64 s[0:1], s[14:15], 1
	v_lshlrev_b32_e32 v1, 3, v91
	s_add_u32 s2, s26, s0
	s_addc_u32 s15, s27, s1
	s_abs_i32 s5, s18
	v_lshlrev_b32_e32 v4, 5, v64
	v_cvt_f32_u32_e32 v0, s5
	s_sub_i32 s0, 0, s5
	v_and_b32_e32 v78, 24, v1
	v_and_b32_e32 v2, 0x1f0, v10
	;; [unrolled: 1-line block ×3, first 2 shown]
	v_rcp_iflag_f32_e32 v0, v0
	s_add_i32 s14, s16, -1
	v_lshl_or_b32 v4, v92, 7, v4
	v_add_co_u32 v79, s2, s2, v2
	v_mov_b32_e32 v77, 0
	v_mov_b32_e32 v65, 0
	v_mov_b32_e32 v66, 0
	v_mov_b32_e32 v67, 0
	v_mov_b32_e32 v68, 0
	v_mul_f32_e32 v0, 0x4f7ffffe, v0
	v_mov_b32_e32 v69, 0
	v_mov_b32_e32 v70, 0
	;; [unrolled: 1-line block ×4, first 2 shown]
	v_cvt_u32_f32_e32 v0, v0
	v_mov_b32_e32 v73, 0
	v_mov_b32_e32 v74, 0
	v_mov_b32_e32 v76, 0
	v_mov_b32_e32 v75, 0
	v_mul_lo_u32 v1, s0, v0
	s_lshl_b64 s[0:1], s[24:25], 2
	v_add_co_ci_u32_e64 v80, null, s15, 0, s2
	s_add_u32 s0, s22, s0
	s_addc_u32 s1, s23, s1
	v_add_co_u32 v57, s0, s0, v3
	v_mul_hi_u32 v1, v0, v1
	v_add_nc_u32_e32 v81, 0xe0, v4
	v_add_co_ci_u32_e64 v58, null, s1, 0, s0
	v_mov_b32_e32 v83, v92
	s_mov_b32 s17, s28
	s_mov_b32 s15, 0
	v_add_nc_u32_e32 v82, v0, v1
	s_branch .LBB147_35
.LBB147_33:                             ;   in Loop: Header=BB147_35 Depth=1
	s_or_b32 exec_lo, exec_lo, s2
	s_waitcnt lgkmcnt(1)
	v_bfe_u32 v0, v41, 16, 1
	v_or_b32_e32 v59, 0x400000, v41
	v_bfe_u32 v60, v42, 16, 1
	v_cmp_u_f32_e32 vcc_lo, v41, v41
	v_bfe_u32 v84, v43, 16, 1
	v_add3_u32 v0, v0, v41, 0x7fff
	v_or_b32_e32 v85, 0x400000, v42
	v_add3_u32 v60, v60, v42, 0x7fff
	v_or_b32_e32 v86, 0x400000, v43
	v_add3_u32 v84, v84, v43, 0x7fff
	v_cndmask_b32_e32 v41, v0, v59, vcc_lo
	v_cmp_u_f32_e32 vcc_lo, v42, v42
	v_bfe_u32 v0, v44, 16, 1
	s_waitcnt lgkmcnt(0)
	v_bfe_u32 v59, v33, 16, 1
	v_and_b32_e32 v41, 0xffff0000, v41
	v_cndmask_b32_e32 v42, v60, v85, vcc_lo
	v_cmp_u_f32_e32 vcc_lo, v43, v43
	v_add3_u32 v0, v0, v44, 0x7fff
	v_or_b32_e32 v60, 0x400000, v44
	v_add3_u32 v59, v59, v33, 0x7fff
	v_bfe_u32 v85, v34, 16, 1
	v_cndmask_b32_e32 v43, v84, v86, vcc_lo
	v_cmp_u_f32_e32 vcc_lo, v44, v44
	v_or_b32_e32 v84, 0x400000, v33
	v_cndmask_b32_e32 v44, v0, v60, vcc_lo
	v_cmp_u_f32_e32 vcc_lo, v33, v33
	v_add3_u32 v33, v85, v34, 0x7fff
	v_or_b32_e32 v60, 0x400000, v34
	v_and_b32_e32 v0, 0xffff0000, v42
	s_waitcnt vmcnt(1)
	v_and_b32_e32 v42, 0xffff0000, v53
	v_cndmask_b32_e32 v59, v59, v84, vcc_lo
	v_bfe_u32 v84, v35, 16, 1
	v_cmp_u_f32_e32 vcc_lo, v34, v34
	v_mul_f32_e32 v85, v0, v42
	v_lshlrev_b32_e32 v42, 16, v53
	v_cndmask_b32_e32 v34, v33, v60, vcc_lo
	v_add3_u32 v33, v84, v35, 0x7fff
	v_or_b32_e32 v60, 0x400000, v35
	v_bfe_u32 v84, v36, 16, 1
	v_cmp_u_f32_e32 vcc_lo, v35, v35
	v_mul_f32_e32 v86, v41, v42
	v_and_b32_e32 v42, 0xffff0000, v54
	v_and_b32_e32 v34, 0xffff0000, v34
	v_add3_u32 v35, v84, v36, 0x7fff
	v_cndmask_b32_e32 v53, v33, v60, vcc_lo
	v_or_b32_e32 v60, 0x400000, v36
	v_bfe_u32 v84, v85, 16, 1
	v_and_b32_e32 v33, 0xffff0000, v44
	v_cmp_u_f32_e32 vcc_lo, v36, v36
	v_or_b32_e32 v44, 0x400000, v85
	v_add3_u32 v36, v84, v85, 0x7fff
	v_mul_f32_e32 v84, v33, v42
	v_cndmask_b32_e32 v35, v35, v60, vcc_lo
	v_bfe_u32 v60, v86, 16, 1
	v_and_b32_e32 v42, 0xffff0000, v43
	v_lshlrev_b32_e32 v43, 16, v54
	v_cmp_u_f32_e32 vcc_lo, v85, v85
	v_or_b32_e32 v54, 0x400000, v86
	v_and_b32_e32 v35, 0xffff0000, v35
	v_mul_f32_e32 v85, v42, v43
	v_cndmask_b32_e32 v44, v36, v44, vcc_lo
	v_add3_u32 v36, v60, v86, 0x7fff
	v_bfe_u32 v60, v84, 16, 1
	v_and_b32_e32 v43, 0xffff0000, v55
	v_cmp_u_f32_e32 vcc_lo, v86, v86
	v_bfe_u32 v86, v85, 16, 1
	v_lshlrev_b32_e32 v55, 16, v55
	v_and_b32_e32 v44, 0xffff0000, v44
	v_mul_f32_e32 v87, v34, v43
	v_cndmask_b32_e32 v54, v36, v54, vcc_lo
	v_add3_u32 v36, v60, v84, 0x7fff
	v_or_b32_e32 v60, 0x400000, v84
	v_and_b32_e32 v43, 0xffff0000, v59
	v_cmp_u_f32_e32 vcc_lo, v84, v84
	v_bfe_u32 v84, v87, 16, 1
	v_and_b32_e32 v54, 0xffff0000, v54
	v_mul_f32_e32 v55, v43, v55
	v_cndmask_b32_e32 v59, v36, v60, vcc_lo
	v_add3_u32 v36, v86, v85, 0x7fff
	v_or_b32_e32 v60, 0x400000, v85
	v_cmp_u_f32_e32 vcc_lo, v85, v85
	v_and_b32_e32 v86, 0xffff0000, v56
	v_add3_u32 v84, v84, v87, 0x7fff
	v_bfe_u32 v85, v55, 16, 1
	v_or_b32_e32 v88, 0x400000, v55
	v_cndmask_b32_e32 v60, v36, v60, vcc_lo
	v_and_b32_e32 v36, 0xffff0000, v53
	v_lshlrev_b32_e32 v53, 16, v56
	v_or_b32_e32 v56, 0x400000, v87
	v_cmp_u_f32_e32 vcc_lo, v87, v87
	v_add3_u32 v85, v85, v55, 0x7fff
	v_mul_f32_e32 v86, v35, v86
	v_mul_f32_e32 v53, v36, v53
	v_and_b32_e32 v60, 0xffff0000, v60
	v_cndmask_b32_e32 v56, v84, v56, vcc_lo
	v_cmp_u_f32_e32 vcc_lo, v55, v55
	v_bfe_u32 v89, v86, 16, 1
	v_and_b32_e32 v59, 0xffff0000, v59
	v_or_b32_e32 v87, 0x400000, v86
	v_add_f32_e32 v44, v54, v44
	v_cndmask_b32_e32 v55, v85, v88, vcc_lo
	v_bfe_u32 v85, v53, 16, 1
	v_or_b32_e32 v88, 0x400000, v53
	v_cmp_u_f32_e32 vcc_lo, v53, v53
	v_add3_u32 v84, v89, v86, 0x7fff
	v_add_f32_e32 v54, v60, v59
	v_add3_u32 v85, v85, v53, 0x7fff
	v_and_b32_e32 v55, 0xffff0000, v55
	v_and_b32_e32 v56, 0xffff0000, v56
	v_add_f32_e32 v44, v54, v44
	v_cndmask_b32_e32 v53, v85, v88, vcc_lo
	v_cmp_u_f32_e32 vcc_lo, v86, v86
	v_add_f32_e32 v54, v55, v56
	v_and_b32_e32 v55, 0xffff0000, v49
	v_lshlrev_b32_e32 v49, 16, v49
	v_and_b32_e32 v53, 0xffff0000, v53
	v_cndmask_b32_e32 v59, v84, v87, vcc_lo
	v_add_f32_e32 v44, v54, v44
	v_mul_f32_e32 v55, v0, v55
	v_mul_f32_e32 v49, v41, v49
	v_and_b32_e32 v54, 0xffff0000, v50
	v_and_b32_e32 v56, 0xffff0000, v59
	v_lshlrev_b32_e32 v50, 16, v50
	v_cmp_u_f32_e32 vcc_lo, v55, v55
	v_bfe_u32 v59, v49, 16, 1
	v_or_b32_e32 v60, 0x400000, v49
	v_add_f32_e32 v53, v53, v56
	v_bfe_u32 v56, v55, 16, 1
	v_mul_f32_e32 v50, v42, v50
	v_add3_u32 v59, v59, v49, 0x7fff
	v_add_f32_e32 v44, v53, v44
	v_mul_f32_e32 v53, v33, v54
	v_add3_u32 v54, v56, v55, 0x7fff
	v_or_b32_e32 v56, 0x400000, v55
	v_add_f32_e32 v66, v66, v44
	v_bfe_u32 v84, v53, 16, 1
	v_cndmask_b32_e32 v54, v54, v56, vcc_lo
	v_cmp_u_f32_e32 vcc_lo, v49, v49
	v_or_b32_e32 v56, 0x400000, v53
	v_add3_u32 v55, v84, v53, 0x7fff
	v_and_b32_e32 v54, 0xffff0000, v54
	v_cndmask_b32_e32 v49, v59, v60, vcc_lo
	v_and_b32_e32 v59, 0xffff0000, v51
	v_cmp_u_f32_e32 vcc_lo, v53, v53
	v_lshlrev_b32_e32 v51, 16, v51
	v_bfe_u32 v60, v50, 16, 1
	v_and_b32_e32 v49, 0xffff0000, v49
	v_cndmask_b32_e32 v53, v55, v56, vcc_lo
	v_mul_f32_e32 v55, v34, v59
	v_mul_f32_e32 v51, v43, v51
	v_add3_u32 v56, v60, v50, 0x7fff
	v_or_b32_e32 v59, 0x400000, v50
	v_and_b32_e32 v60, 0xffff0000, v52
	v_bfe_u32 v84, v55, 16, 1
	v_cmp_u_f32_e32 vcc_lo, v50, v50
	v_bfe_u32 v85, v51, 16, 1
	v_lshlrev_b32_e32 v52, 16, v52
	v_and_b32_e32 v53, 0xffff0000, v53
	v_add_f32_e32 v49, v49, v54
	v_cndmask_b32_e32 v50, v56, v59, vcc_lo
	v_mul_f32_e32 v56, v35, v60
	v_add3_u32 v59, v84, v55, 0x7fff
	v_or_b32_e32 v60, 0x400000, v55
	v_cmp_u_f32_e32 vcc_lo, v55, v55
	v_add3_u32 v84, v85, v51, 0x7fff
	v_or_b32_e32 v85, 0x400000, v51
	v_bfe_u32 v86, v56, 16, 1
	v_and_b32_e32 v50, 0xffff0000, v50
	v_cndmask_b32_e32 v55, v59, v60, vcc_lo
	v_cmp_u_f32_e32 vcc_lo, v51, v51
	v_or_b32_e32 v60, 0x400000, v56
	v_add3_u32 v59, v86, v56, 0x7fff
	v_mul_f32_e32 v52, v36, v52
	v_add_f32_e32 v50, v50, v53
	v_cndmask_b32_e32 v51, v84, v85, vcc_lo
	v_cmp_u_f32_e32 vcc_lo, v56, v56
	v_and_b32_e32 v53, 0xffff0000, v45
	v_and_b32_e32 v54, 0xffff0000, v55
	v_add_f32_e32 v49, v50, v49
	v_and_b32_e32 v51, 0xffff0000, v51
	v_cndmask_b32_e32 v56, v59, v60, vcc_lo
	v_bfe_u32 v59, v52, 16, 1
	v_mul_f32_e32 v50, v0, v53
	v_lshlrev_b32_e32 v45, 16, v45
	v_add_f32_e32 v51, v51, v54
	v_cmp_u_f32_e32 vcc_lo, v52, v52
	v_add3_u32 v55, v59, v52, 0x7fff
	v_or_b32_e32 v59, 0x400000, v52
	v_bfe_u32 v53, v50, 16, 1
	v_add_f32_e32 v49, v51, v49
	v_mul_f32_e32 v45, v41, v45
	v_and_b32_e32 v51, 0xffff0000, v46
	v_cndmask_b32_e32 v52, v55, v59, vcc_lo
	v_add3_u32 v53, v53, v50, 0x7fff
	v_or_b32_e32 v54, 0x400000, v50
	v_bfe_u32 v55, v45, 16, 1
	v_mul_f32_e32 v51, v33, v51
	v_lshlrev_b32_e32 v46, 16, v46
	v_cmp_u_f32_e32 vcc_lo, v50, v50
	v_and_b32_e32 v59, 0xffff0000, v47
	v_lshlrev_b32_e32 v47, 16, v47
	v_and_b32_e32 v60, 0xffff0000, v48
	v_mul_f32_e32 v46, v42, v46
	v_cndmask_b32_e32 v50, v53, v54, vcc_lo
	v_add3_u32 v53, v55, v45, 0x7fff
	v_or_b32_e32 v54, 0x400000, v45
	v_bfe_u32 v55, v51, 16, 1
	v_cmp_u_f32_e32 vcc_lo, v45, v45
	v_mul_f32_e32 v59, v34, v59
	v_mul_f32_e32 v47, v43, v47
	v_lshlrev_b32_e32 v48, 16, v48
	v_and_b32_e32 v50, 0xffff0000, v50
	v_cndmask_b32_e32 v45, v53, v54, vcc_lo
	v_add3_u32 v53, v55, v51, 0x7fff
	v_or_b32_e32 v54, 0x400000, v51
	v_bfe_u32 v55, v46, 16, 1
	v_cmp_u_f32_e32 vcc_lo, v51, v51
	v_mul_f32_e32 v48, v36, v48
	v_or_b32_e32 v84, 0x400000, v47
	v_and_b32_e32 v45, 0xffff0000, v45
	v_and_b32_e32 v52, 0xffff0000, v52
	v_cndmask_b32_e32 v51, v53, v54, vcc_lo
	v_add3_u32 v53, v55, v46, 0x7fff
	v_or_b32_e32 v54, 0x400000, v46
	v_bfe_u32 v55, v59, 16, 1
	v_cmp_u_f32_e32 vcc_lo, v46, v46
	v_bfe_u32 v86, v48, 16, 1
	v_and_b32_e32 v51, 0xffff0000, v51
	v_add_f32_e32 v45, v45, v50
	v_cndmask_b32_e32 v46, v53, v54, vcc_lo
	v_bfe_u32 v53, v47, 16, 1
	v_add3_u32 v54, v55, v59, 0x7fff
	v_mul_f32_e32 v55, v35, v60
	v_or_b32_e32 v60, 0x400000, v59
	v_cmp_u_f32_e32 vcc_lo, v59, v59
	v_add3_u32 v53, v53, v47, 0x7fff
	v_add3_u32 v59, v86, v48, 0x7fff
	v_bfe_u32 v85, v55, 16, 1
	v_and_b32_e32 v46, 0xffff0000, v46
	v_cndmask_b32_e32 v54, v54, v60, vcc_lo
	v_cmp_u_f32_e32 vcc_lo, v47, v47
	v_or_b32_e32 v60, 0x400000, v48
	v_add_f32_e32 v46, v46, v51
	v_and_b32_e32 v50, 0xffff0000, v54
	v_cndmask_b32_e32 v47, v53, v84, vcc_lo
	v_cmp_u_f32_e32 vcc_lo, v48, v48
	v_add3_u32 v53, v85, v55, 0x7fff
	v_or_b32_e32 v84, 0x400000, v55
	v_add_f32_e32 v45, v46, v45
	v_and_b32_e32 v47, 0xffff0000, v47
	v_cndmask_b32_e32 v48, v59, v60, vcc_lo
	v_cmp_u_f32_e32 vcc_lo, v55, v55
	v_add_f32_e32 v46, v47, v50
	v_and_b32_e32 v47, 0xffff0000, v48
	v_cndmask_b32_e32 v51, v53, v84, vcc_lo
	v_and_b32_e32 v53, 0xffff0000, v56
	v_and_b32_e32 v50, 0xffff0000, v37
	v_lshlrev_b32_e32 v37, 16, v37
	v_add_f32_e32 v45, v46, v45
	v_and_b32_e32 v48, 0xffff0000, v51
	v_add_f32_e32 v51, v52, v53
	v_mul_f32_e32 v37, v41, v37
	v_add_f32_e32 v46, v47, v48
	v_mul_f32_e32 v47, v0, v50
	v_add_f32_e32 v48, v51, v49
	v_or_b32_e32 v49, 0x400000, v37
	v_and_b32_e32 v50, 0xffff0000, v40
	v_add_f32_e32 v44, v46, v45
	v_bfe_u32 v45, v47, 16, 1
	v_add_f32_e32 v67, v67, v48
	v_bfe_u32 v46, v37, 16, 1
	v_and_b32_e32 v48, 0xffff0000, v38
	v_add_f32_e32 v68, v68, v44
	v_add3_u32 v44, v45, v47, 0x7fff
	v_or_b32_e32 v45, 0x400000, v47
	v_cmp_u_f32_e32 vcc_lo, v47, v47
	v_add3_u32 v46, v46, v37, 0x7fff
	v_mul_f32_e32 v48, v33, v48
	v_lshlrev_b32_e32 v38, 16, v38
	v_lshlrev_b32_e32 v40, 16, v40
	v_cndmask_b32_e32 v44, v44, v45, vcc_lo
	v_cmp_u_f32_e32 vcc_lo, v37, v37
	v_bfe_u32 v45, v48, 16, 1
	v_mul_f32_e32 v38, v42, v38
	v_or_b32_e32 v47, 0x400000, v48
	v_mul_f32_e32 v40, v36, v40
	v_cndmask_b32_e32 v37, v46, v49, vcc_lo
	v_and_b32_e32 v46, 0xffff0000, v39
	v_add3_u32 v45, v45, v48, 0x7fff
	v_lshlrev_b32_e32 v39, 16, v39
	v_bfe_u32 v49, v38, 16, 1
	v_cmp_u_f32_e32 vcc_lo, v48, v48
	v_mul_f32_e32 v46, v34, v46
	v_or_b32_e32 v48, 0x400000, v38
	v_mul_f32_e32 v39, v43, v39
	v_and_b32_e32 v37, 0xffff0000, v37
	v_cndmask_b32_e32 v45, v45, v47, vcc_lo
	v_add3_u32 v47, v49, v38, 0x7fff
	v_bfe_u32 v49, v46, 16, 1
	v_cmp_u_f32_e32 vcc_lo, v38, v38
	v_bfe_u32 v51, v39, 16, 1
	v_and_b32_e32 v44, 0xffff0000, v44
	v_and_b32_e32 v45, 0xffff0000, v45
	v_cndmask_b32_e32 v38, v47, v48, vcc_lo
	v_add3_u32 v47, v49, v46, 0x7fff
	v_mul_f32_e32 v48, v35, v50
	v_or_b32_e32 v49, 0x400000, v46
	v_cmp_u_f32_e32 vcc_lo, v46, v46
	v_add3_u32 v50, v51, v39, 0x7fff
	v_or_b32_e32 v51, 0x400000, v39
	v_bfe_u32 v52, v48, 16, 1
	v_and_b32_e32 v38, 0xffff0000, v38
	v_cndmask_b32_e32 v46, v47, v49, vcc_lo
	v_cmp_u_f32_e32 vcc_lo, v39, v39
	v_or_b32_e32 v49, 0x400000, v48
	v_add3_u32 v47, v52, v48, 0x7fff
	v_add_f32_e32 v37, v37, v44
	v_add_f32_e32 v38, v38, v45
	v_cndmask_b32_e32 v39, v50, v51, vcc_lo
	v_bfe_u32 v50, v40, 16, 1
	v_cmp_u_f32_e32 vcc_lo, v48, v48
	v_and_b32_e32 v44, 0xffff0000, v29
	v_and_b32_e32 v45, 0xffff0000, v46
	;; [unrolled: 1-line block ×3, first 2 shown]
	v_add3_u32 v48, v50, v40, 0x7fff
	v_cndmask_b32_e32 v47, v47, v49, vcc_lo
	v_or_b32_e32 v49, 0x400000, v40
	v_cmp_u_f32_e32 vcc_lo, v40, v40
	v_add_f32_e32 v37, v38, v37
	v_mul_f32_e32 v38, v0, v44
	v_add_f32_e32 v39, v39, v45
	v_lshlrev_b32_e32 v29, 16, v29
	v_cndmask_b32_e32 v40, v48, v49, vcc_lo
	v_and_b32_e32 v44, 0xffff0000, v47
	v_bfe_u32 v45, v38, 16, 1
	v_add_f32_e32 v37, v39, v37
	v_mul_f32_e32 v29, v41, v29
	v_and_b32_e32 v40, 0xffff0000, v40
	v_and_b32_e32 v39, 0xffff0000, v30
	v_lshlrev_b32_e32 v30, 16, v30
	v_cmp_u_f32_e32 vcc_lo, v38, v38
	v_bfe_u32 v46, v29, 16, 1
	v_add_f32_e32 v40, v40, v44
	v_add3_u32 v44, v45, v38, 0x7fff
	v_or_b32_e32 v45, 0x400000, v38
	v_mul_f32_e32 v39, v33, v39
	v_mul_f32_e32 v30, v42, v30
	v_and_b32_e32 v47, 0xffff0000, v31
	v_lshlrev_b32_e32 v31, 16, v31
	v_cndmask_b32_e32 v38, v44, v45, vcc_lo
	v_add3_u32 v44, v46, v29, 0x7fff
	v_or_b32_e32 v45, 0x400000, v29
	v_bfe_u32 v46, v39, 16, 1
	v_cmp_u_f32_e32 vcc_lo, v29, v29
	v_mul_f32_e32 v47, v34, v47
	v_mul_f32_e32 v31, v43, v31
	v_and_b32_e32 v48, 0xffff0000, v32
	v_lshlrev_b32_e32 v32, 16, v32
	v_cndmask_b32_e32 v29, v44, v45, vcc_lo
	v_add3_u32 v44, v46, v39, 0x7fff
	v_or_b32_e32 v45, 0x400000, v39
	v_bfe_u32 v46, v30, 16, 1
	v_cmp_u_f32_e32 vcc_lo, v39, v39
	v_mul_f32_e32 v32, v36, v32
	v_or_b32_e32 v49, 0x400000, v31
	v_and_b32_e32 v29, 0xffff0000, v29
	v_and_b32_e32 v38, 0xffff0000, v38
	v_cndmask_b32_e32 v39, v44, v45, vcc_lo
	v_add3_u32 v44, v46, v30, 0x7fff
	v_or_b32_e32 v45, 0x400000, v30
	v_bfe_u32 v46, v47, 16, 1
	v_cmp_u_f32_e32 vcc_lo, v30, v30
	v_and_b32_e32 v39, 0xffff0000, v39
	v_add_f32_e32 v29, v29, v38
	v_add_f32_e32 v37, v40, v37
	v_cndmask_b32_e32 v30, v44, v45, vcc_lo
	v_bfe_u32 v44, v31, 16, 1
	v_add3_u32 v45, v46, v47, 0x7fff
	v_mul_f32_e32 v46, v35, v48
	v_or_b32_e32 v48, 0x400000, v47
	v_cmp_u_f32_e32 vcc_lo, v47, v47
	v_add3_u32 v44, v44, v31, 0x7fff
	v_bfe_u32 v47, v32, 16, 1
	v_bfe_u32 v50, v46, 16, 1
	v_and_b32_e32 v30, 0xffff0000, v30
	v_cndmask_b32_e32 v45, v45, v48, vcc_lo
	v_cmp_u_f32_e32 vcc_lo, v31, v31
	v_add3_u32 v47, v47, v32, 0x7fff
	v_or_b32_e32 v48, 0x400000, v46
	v_add_f32_e32 v30, v30, v39
	v_and_b32_e32 v38, 0xffff0000, v45
	v_cndmask_b32_e32 v31, v44, v49, vcc_lo
	v_or_b32_e32 v49, 0x400000, v32
	v_cmp_u_f32_e32 vcc_lo, v32, v32
	v_add3_u32 v44, v50, v46, 0x7fff
	v_add_f32_e32 v29, v30, v29
	v_and_b32_e32 v31, 0xffff0000, v31
	v_add_f32_e32 v69, v69, v37
	v_cndmask_b32_e32 v32, v47, v49, vcc_lo
	v_cmp_u_f32_e32 vcc_lo, v46, v46
	v_add_f32_e32 v30, v31, v38
	v_and_b32_e32 v31, 0xffff0000, v25
	v_and_b32_e32 v32, 0xffff0000, v32
	v_cndmask_b32_e32 v39, v44, v48, vcc_lo
	v_lshlrev_b32_e32 v25, 16, v25
	v_add_f32_e32 v29, v30, v29
	v_mul_f32_e32 v31, v0, v31
	v_and_b32_e32 v38, 0xffff0000, v39
	v_mul_f32_e32 v25, v41, v25
	v_cmp_u_f32_e32 vcc_lo, v31, v31
	v_add_f32_e32 v30, v32, v38
	v_and_b32_e32 v32, 0xffff0000, v26
	v_bfe_u32 v38, v31, 16, 1
	v_bfe_u32 v37, v25, 16, 1
	v_or_b32_e32 v39, 0x400000, v25
	v_add_f32_e32 v29, v30, v29
	v_mul_f32_e32 v30, v33, v32
	v_add3_u32 v32, v38, v31, 0x7fff
	v_or_b32_e32 v38, 0x400000, v31
	v_add3_u32 v37, v37, v25, 0x7fff
	v_lshlrev_b32_e32 v26, 16, v26
	v_bfe_u32 v40, v30, 16, 1
	v_add_f32_e32 v70, v70, v29
	v_cndmask_b32_e32 v31, v32, v38, vcc_lo
	v_cmp_u_f32_e32 vcc_lo, v25, v25
	v_mul_f32_e32 v26, v42, v26
	v_add3_u32 v32, v40, v30, 0x7fff
	v_and_b32_e32 v38, 0xffff0000, v27
	v_lshlrev_b32_e32 v27, 16, v27
	v_cndmask_b32_e32 v25, v37, v39, vcc_lo
	v_or_b32_e32 v37, 0x400000, v30
	v_cmp_u_f32_e32 vcc_lo, v30, v30
	v_bfe_u32 v39, v26, 16, 1
	v_mul_f32_e32 v27, v43, v27
	v_and_b32_e32 v25, 0xffff0000, v25
	v_and_b32_e32 v31, 0xffff0000, v31
	v_cndmask_b32_e32 v30, v32, v37, vcc_lo
	v_mul_f32_e32 v32, v34, v38
	v_add3_u32 v37, v39, v26, 0x7fff
	v_or_b32_e32 v38, 0x400000, v26
	v_and_b32_e32 v39, 0xffff0000, v28
	v_cmp_u_f32_e32 vcc_lo, v26, v26
	v_bfe_u32 v40, v32, 16, 1
	v_bfe_u32 v44, v27, 16, 1
	v_lshlrev_b32_e32 v28, 16, v28
	v_and_b32_e32 v30, 0xffff0000, v30
	v_cndmask_b32_e32 v26, v37, v38, vcc_lo
	v_mul_f32_e32 v37, v35, v39
	v_add3_u32 v38, v40, v32, 0x7fff
	v_or_b32_e32 v39, 0x400000, v32
	v_cmp_u_f32_e32 vcc_lo, v32, v32
	v_add3_u32 v40, v44, v27, 0x7fff
	v_or_b32_e32 v44, 0x400000, v27
	v_bfe_u32 v45, v37, 16, 1
	v_and_b32_e32 v26, 0xffff0000, v26
	v_cndmask_b32_e32 v32, v38, v39, vcc_lo
	v_cmp_u_f32_e32 vcc_lo, v27, v27
	v_or_b32_e32 v39, 0x400000, v37
	v_add3_u32 v38, v45, v37, 0x7fff
	v_mul_f32_e32 v28, v36, v28
	v_add_f32_e32 v25, v25, v31
	v_cndmask_b32_e32 v27, v40, v44, vcc_lo
	v_cmp_u_f32_e32 vcc_lo, v37, v37
	v_add_f32_e32 v26, v26, v30
	v_and_b32_e32 v30, 0xffff0000, v21
	v_and_b32_e32 v31, 0xffff0000, v32
	;; [unrolled: 1-line block ×3, first 2 shown]
	v_cndmask_b32_e32 v37, v38, v39, vcc_lo
	v_bfe_u32 v38, v28, 16, 1
	v_add_f32_e32 v25, v26, v25
	v_mul_f32_e32 v26, v0, v30
	v_add_f32_e32 v27, v27, v31
	v_lshlrev_b32_e32 v21, 16, v21
	v_add3_u32 v32, v38, v28, 0x7fff
	v_or_b32_e32 v38, 0x400000, v28
	v_cmp_u_f32_e32 vcc_lo, v28, v28
	v_bfe_u32 v30, v26, 16, 1
	v_add_f32_e32 v25, v27, v25
	v_mul_f32_e32 v21, v41, v21
	v_and_b32_e32 v27, 0xffff0000, v22
	v_cndmask_b32_e32 v28, v32, v38, vcc_lo
	v_add3_u32 v30, v30, v26, 0x7fff
	v_or_b32_e32 v31, 0x400000, v26
	v_bfe_u32 v32, v21, 16, 1
	v_mul_f32_e32 v27, v33, v27
	v_lshlrev_b32_e32 v22, 16, v22
	v_cmp_u_f32_e32 vcc_lo, v26, v26
	v_and_b32_e32 v38, 0xffff0000, v23
	v_lshlrev_b32_e32 v23, 16, v23
	v_and_b32_e32 v39, 0xffff0000, v24
	v_mul_f32_e32 v22, v42, v22
	v_cndmask_b32_e32 v26, v30, v31, vcc_lo
	v_add3_u32 v30, v32, v21, 0x7fff
	v_or_b32_e32 v31, 0x400000, v21
	v_bfe_u32 v32, v27, 16, 1
	v_cmp_u_f32_e32 vcc_lo, v21, v21
	v_mul_f32_e32 v38, v34, v38
	v_mul_f32_e32 v23, v43, v23
	v_lshlrev_b32_e32 v24, 16, v24
	v_and_b32_e32 v26, 0xffff0000, v26
	v_cndmask_b32_e32 v21, v30, v31, vcc_lo
	v_add3_u32 v30, v32, v27, 0x7fff
	v_or_b32_e32 v31, 0x400000, v27
	v_bfe_u32 v32, v22, 16, 1
	v_cmp_u_f32_e32 vcc_lo, v27, v27
	v_mul_f32_e32 v24, v36, v24
	v_or_b32_e32 v40, 0x400000, v23
	v_and_b32_e32 v21, 0xffff0000, v21
	v_and_b32_e32 v28, 0xffff0000, v28
	v_cndmask_b32_e32 v27, v30, v31, vcc_lo
	v_add3_u32 v30, v32, v22, 0x7fff
	v_or_b32_e32 v31, 0x400000, v22
	v_bfe_u32 v32, v38, 16, 1
	v_cmp_u_f32_e32 vcc_lo, v22, v22
	v_bfe_u32 v45, v24, 16, 1
	v_and_b32_e32 v27, 0xffff0000, v27
	v_add_f32_e32 v21, v21, v26
	v_cndmask_b32_e32 v22, v30, v31, vcc_lo
	v_bfe_u32 v30, v23, 16, 1
	v_add3_u32 v31, v32, v38, 0x7fff
	v_mul_f32_e32 v32, v35, v39
	v_or_b32_e32 v39, 0x400000, v38
	v_cmp_u_f32_e32 vcc_lo, v38, v38
	v_add3_u32 v30, v30, v23, 0x7fff
	v_add3_u32 v38, v45, v24, 0x7fff
	v_bfe_u32 v44, v32, 16, 1
	v_and_b32_e32 v22, 0xffff0000, v22
	v_cndmask_b32_e32 v31, v31, v39, vcc_lo
	v_cmp_u_f32_e32 vcc_lo, v23, v23
	v_or_b32_e32 v39, 0x400000, v24
	v_add_f32_e32 v22, v22, v27
	v_and_b32_e32 v26, 0xffff0000, v31
	v_cndmask_b32_e32 v23, v30, v40, vcc_lo
	v_cmp_u_f32_e32 vcc_lo, v24, v24
	v_add3_u32 v30, v44, v32, 0x7fff
	v_or_b32_e32 v40, 0x400000, v32
	v_add_f32_e32 v21, v22, v21
	v_and_b32_e32 v23, 0xffff0000, v23
	v_cndmask_b32_e32 v24, v38, v39, vcc_lo
	v_cmp_u_f32_e32 vcc_lo, v32, v32
	v_add_f32_e32 v22, v23, v26
	v_and_b32_e32 v23, 0xffff0000, v24
	v_cndmask_b32_e32 v27, v30, v40, vcc_lo
	v_and_b32_e32 v30, 0xffff0000, v37
	v_and_b32_e32 v26, 0xffff0000, v13
	v_lshlrev_b32_e32 v13, 16, v13
	v_add_f32_e32 v21, v22, v21
	v_and_b32_e32 v24, 0xffff0000, v27
	v_add_f32_e32 v27, v28, v30
	v_mul_f32_e32 v13, v41, v13
	v_add_f32_e32 v22, v23, v24
	v_mul_f32_e32 v23, v0, v26
	v_add_f32_e32 v24, v27, v25
	v_and_b32_e32 v25, 0xffff0000, v14
	v_lshlrev_b32_e32 v14, 16, v14
	v_add_f32_e32 v21, v22, v21
	v_bfe_u32 v22, v23, 16, 1
	v_add_f32_e32 v71, v71, v24
	v_bfe_u32 v24, v13, 16, 1
	v_mul_f32_e32 v25, v33, v25
	v_add_f32_e32 v72, v72, v21
	v_add3_u32 v21, v22, v23, 0x7fff
	v_or_b32_e32 v22, 0x400000, v23
	v_cmp_u_f32_e32 vcc_lo, v23, v23
	v_add3_u32 v24, v24, v13, 0x7fff
	v_or_b32_e32 v26, 0x400000, v13
	v_mul_f32_e32 v14, v42, v14
	v_and_b32_e32 v23, 0xffff0000, v15
	v_cndmask_b32_e32 v21, v21, v22, vcc_lo
	v_bfe_u32 v22, v25, 16, 1
	v_cmp_u_f32_e32 vcc_lo, v13, v13
	v_lshlrev_b32_e32 v15, 16, v15
	v_mul_f32_e32 v23, v34, v23
	v_and_b32_e32 v27, 0xffff0000, v16
	v_add3_u32 v22, v22, v25, 0x7fff
	v_cndmask_b32_e32 v13, v24, v26, vcc_lo
	v_or_b32_e32 v24, 0x400000, v25
	v_bfe_u32 v26, v14, 16, 1
	v_cmp_u_f32_e32 vcc_lo, v25, v25
	v_mul_f32_e32 v15, v43, v15
	v_or_b32_e32 v25, 0x400000, v14
	v_lshlrev_b32_e32 v16, 16, v16
	v_and_b32_e32 v13, 0xffff0000, v13
	v_cndmask_b32_e32 v22, v22, v24, vcc_lo
	v_add3_u32 v24, v26, v14, 0x7fff
	v_bfe_u32 v26, v23, 16, 1
	v_cmp_u_f32_e32 vcc_lo, v14, v14
	v_bfe_u32 v28, v15, 16, 1
	v_mul_f32_e32 v16, v36, v16
	v_and_b32_e32 v21, 0xffff0000, v21
	v_and_b32_e32 v22, 0xffff0000, v22
	v_cndmask_b32_e32 v14, v24, v25, vcc_lo
	v_add3_u32 v24, v26, v23, 0x7fff
	v_mul_f32_e32 v25, v35, v27
	v_or_b32_e32 v26, 0x400000, v23
	v_cmp_u_f32_e32 vcc_lo, v23, v23
	v_add3_u32 v27, v28, v15, 0x7fff
	v_or_b32_e32 v28, 0x400000, v15
	v_bfe_u32 v29, v25, 16, 1
	v_and_b32_e32 v14, 0xffff0000, v14
	v_cndmask_b32_e32 v23, v24, v26, vcc_lo
	v_cmp_u_f32_e32 vcc_lo, v15, v15
	v_or_b32_e32 v26, 0x400000, v25
	v_add3_u32 v24, v29, v25, 0x7fff
	v_add_f32_e32 v13, v13, v21
	v_add_f32_e32 v14, v14, v22
	v_cndmask_b32_e32 v15, v27, v28, vcc_lo
	v_bfe_u32 v27, v16, 16, 1
	v_cmp_u_f32_e32 vcc_lo, v25, v25
	v_and_b32_e32 v22, 0xffff0000, v9
	v_and_b32_e32 v21, 0xffff0000, v23
	;; [unrolled: 1-line block ×3, first 2 shown]
	v_add3_u32 v25, v27, v16, 0x7fff
	v_cndmask_b32_e32 v24, v24, v26, vcc_lo
	v_or_b32_e32 v26, 0x400000, v16
	v_cmp_u_f32_e32 vcc_lo, v16, v16
	v_lshlrev_b32_e32 v9, 16, v9
	v_add_f32_e32 v13, v14, v13
	v_mul_f32_e32 v14, v0, v22
	v_add_f32_e32 v15, v15, v21
	v_cndmask_b32_e32 v16, v25, v26, vcc_lo
	v_mul_f32_e32 v21, v41, v9
	v_and_b32_e32 v22, 0xffff0000, v24
	v_bfe_u32 v23, v14, 16, 1
	v_and_b32_e32 v24, 0xffff0000, v10
	v_and_b32_e32 v16, 0xffff0000, v16
	v_add_f32_e32 v9, v15, v13
	v_bfe_u32 v15, v21, 16, 1
	v_lshlrev_b32_e32 v10, 16, v10
	v_cmp_u_f32_e32 vcc_lo, v14, v14
	v_add_f32_e32 v13, v16, v22
	v_add3_u32 v16, v23, v14, 0x7fff
	v_or_b32_e32 v22, 0x400000, v14
	v_mul_f32_e32 v23, v33, v24
	v_add3_u32 v15, v15, v21, 0x7fff
	v_or_b32_e32 v24, 0x400000, v21
	v_mul_f32_e32 v10, v42, v10
	v_cndmask_b32_e32 v14, v16, v22, vcc_lo
	v_bfe_u32 v16, v23, 16, 1
	v_cmp_u_f32_e32 vcc_lo, v21, v21
	v_and_b32_e32 v21, 0xffff0000, v11
	v_or_b32_e32 v22, 0x400000, v23
	v_lshlrev_b32_e32 v11, 16, v11
	v_add3_u32 v16, v16, v23, 0x7fff
	v_cndmask_b32_e32 v15, v15, v24, vcc_lo
	v_bfe_u32 v24, v10, 16, 1
	v_mul_f32_e32 v21, v34, v21
	v_cmp_u_f32_e32 vcc_lo, v23, v23
	v_mul_f32_e32 v11, v43, v11
	v_or_b32_e32 v23, 0x400000, v10
	v_and_b32_e32 v25, 0xffff0000, v12
	v_lshlrev_b32_e32 v12, 16, v12
	v_cndmask_b32_e32 v16, v16, v22, vcc_lo
	v_add3_u32 v22, v24, v10, 0x7fff
	v_bfe_u32 v24, v21, 16, 1
	v_cmp_u_f32_e32 vcc_lo, v10, v10
	v_bfe_u32 v26, v11, 16, 1
	v_mul_f32_e32 v12, v36, v12
	v_and_b32_e32 v15, 0xffff0000, v15
	v_and_b32_e32 v14, 0xffff0000, v14
	v_cndmask_b32_e32 v10, v22, v23, vcc_lo
	v_add3_u32 v22, v24, v21, 0x7fff
	v_mul_f32_e32 v23, v35, v25
	v_or_b32_e32 v24, 0x400000, v21
	v_cmp_u_f32_e32 vcc_lo, v21, v21
	v_add3_u32 v25, v26, v11, 0x7fff
	v_or_b32_e32 v26, 0x400000, v11
	v_bfe_u32 v27, v23, 16, 1
	v_and_b32_e32 v10, 0xffff0000, v10
	v_cndmask_b32_e32 v21, v22, v24, vcc_lo
	v_cmp_u_f32_e32 vcc_lo, v11, v11
	v_or_b32_e32 v24, 0x400000, v23
	v_add3_u32 v22, v27, v23, 0x7fff
	v_and_b32_e32 v16, 0xffff0000, v16
	v_add_f32_e32 v14, v15, v14
	v_cndmask_b32_e32 v11, v25, v26, vcc_lo
	v_bfe_u32 v25, v12, 16, 1
	v_cmp_u_f32_e32 vcc_lo, v23, v23
	v_add_f32_e32 v10, v10, v16
	v_and_b32_e32 v16, 0xffff0000, v5
	v_and_b32_e32 v11, 0xffff0000, v11
	v_add3_u32 v23, v25, v12, 0x7fff
	v_cndmask_b32_e32 v22, v22, v24, vcc_lo
	v_or_b32_e32 v24, 0x400000, v12
	v_cmp_u_f32_e32 vcc_lo, v12, v12
	v_and_b32_e32 v15, 0xffff0000, v21
	v_lshlrev_b32_e32 v5, 16, v5
	v_add_f32_e32 v10, v10, v14
	v_mul_f32_e32 v14, v0, v16
	v_cndmask_b32_e32 v12, v23, v24, vcc_lo
	v_add_f32_e32 v11, v11, v15
	v_mul_f32_e32 v15, v41, v5
	v_and_b32_e32 v16, 0xffff0000, v22
	v_and_b32_e32 v21, 0xffff0000, v6
	v_and_b32_e32 v12, 0xffff0000, v12
	v_bfe_u32 v22, v14, 16, 1
	v_add_f32_e32 v5, v11, v10
	v_bfe_u32 v11, v15, 16, 1
	v_cmp_u_f32_e32 vcc_lo, v14, v14
	v_add_f32_e32 v10, v12, v16
	v_mul_f32_e32 v12, v33, v21
	v_add3_u32 v16, v22, v14, 0x7fff
	v_or_b32_e32 v21, 0x400000, v14
	v_add3_u32 v11, v11, v15, 0x7fff
	v_or_b32_e32 v22, 0x400000, v15
	v_bfe_u32 v23, v12, 16, 1
	v_lshlrev_b32_e32 v6, 16, v6
	v_cndmask_b32_e32 v14, v16, v21, vcc_lo
	v_cmp_u_f32_e32 vcc_lo, v15, v15
	v_or_b32_e32 v16, 0x400000, v12
	v_add3_u32 v15, v23, v12, 0x7fff
	v_mul_f32_e32 v6, v42, v6
	v_and_b32_e32 v21, 0xffff0000, v7
	v_cndmask_b32_e32 v11, v11, v22, vcc_lo
	v_cmp_u_f32_e32 vcc_lo, v12, v12
	v_lshlrev_b32_e32 v7, 16, v7
	v_bfe_u32 v22, v6, 16, 1
	v_and_b32_e32 v14, 0xffff0000, v14
	v_and_b32_e32 v11, 0xffff0000, v11
	v_cndmask_b32_e32 v12, v15, v16, vcc_lo
	v_mul_f32_e32 v15, v34, v21
	v_mul_f32_e32 v7, v43, v7
	v_add3_u32 v16, v22, v6, 0x7fff
	v_or_b32_e32 v21, 0x400000, v6
	v_and_b32_e32 v22, 0xffff0000, v8
	v_bfe_u32 v23, v15, 16, 1
	v_cmp_u_f32_e32 vcc_lo, v6, v6
	v_bfe_u32 v24, v7, 16, 1
	v_lshlrev_b32_e32 v8, 16, v8
	v_and_b32_e32 v12, 0xffff0000, v12
	v_add_f32_e32 v11, v11, v14
	v_cndmask_b32_e32 v6, v16, v21, vcc_lo
	v_mul_f32_e32 v16, v35, v22
	v_add3_u32 v21, v23, v15, 0x7fff
	v_or_b32_e32 v22, 0x400000, v15
	v_cmp_u_f32_e32 vcc_lo, v15, v15
	v_add3_u32 v23, v24, v7, 0x7fff
	v_or_b32_e32 v24, 0x400000, v7
	v_bfe_u32 v25, v16, 16, 1
	v_and_b32_e32 v6, 0xffff0000, v6
	v_cndmask_b32_e32 v15, v21, v22, vcc_lo
	v_cmp_u_f32_e32 vcc_lo, v7, v7
	v_or_b32_e32 v22, 0x400000, v16
	v_add3_u32 v21, v25, v16, 0x7fff
	v_mul_f32_e32 v8, v36, v8
	v_add_f32_e32 v6, v6, v12
	v_cndmask_b32_e32 v7, v23, v24, vcc_lo
	v_cmp_u_f32_e32 vcc_lo, v16, v16
	v_and_b32_e32 v12, 0xffff0000, v1
	v_and_b32_e32 v14, 0xffff0000, v15
	v_add_f32_e32 v6, v6, v11
	v_and_b32_e32 v7, 0xffff0000, v7
	v_cndmask_b32_e32 v16, v21, v22, vcc_lo
	v_bfe_u32 v21, v8, 16, 1
	v_mul_f32_e32 v11, v0, v12
	v_lshlrev_b32_e32 v1, 16, v1
	v_add_f32_e32 v7, v7, v14
	v_cmp_u_f32_e32 vcc_lo, v8, v8
	v_add3_u32 v15, v21, v8, 0x7fff
	v_or_b32_e32 v21, 0x400000, v8
	v_bfe_u32 v12, v11, 16, 1
	v_add_f32_e32 v6, v7, v6
	v_and_b32_e32 v7, 0xffff0000, v2
	v_mul_f32_e32 v1, v41, v1
	v_cndmask_b32_e32 v8, v15, v21, vcc_lo
	v_add3_u32 v12, v12, v11, 0x7fff
	v_or_b32_e32 v14, 0x400000, v11
	v_mul_f32_e32 v7, v33, v7
	v_and_b32_e32 v15, 0xffff0000, v16
	v_bfe_u32 v16, v1, 16, 1
	v_cmp_u_f32_e32 vcc_lo, v11, v11
	v_lshlrev_b32_e32 v2, 16, v2
	v_or_b32_e32 v21, 0x400000, v1
	v_or_b32_e32 v22, 0x400000, v7
	v_and_b32_e32 v8, 0xffff0000, v8
	v_cndmask_b32_e32 v11, v12, v14, vcc_lo
	v_bfe_u32 v12, v7, 16, 1
	v_add3_u32 v14, v16, v1, 0x7fff
	v_and_b32_e32 v16, 0xffff0000, v3
	v_mul_f32_e32 v2, v42, v2
	v_cmp_u_f32_e32 vcc_lo, v1, v1
	v_add3_u32 v12, v12, v7, 0x7fff
	v_lshlrev_b32_e32 v3, 16, v3
	v_mul_f32_e32 v16, v34, v16
	v_and_b32_e32 v11, 0xffff0000, v11
	v_cndmask_b32_e32 v1, v14, v21, vcc_lo
	v_bfe_u32 v14, v2, 16, 1
	v_cmp_u_f32_e32 vcc_lo, v7, v7
	v_and_b32_e32 v21, 0xffff0000, v4
	v_mul_f32_e32 v3, v43, v3
	v_or_b32_e32 v23, 0x400000, v16
	v_add3_u32 v14, v14, v2, 0x7fff
	v_cndmask_b32_e32 v7, v12, v22, vcc_lo
	v_bfe_u32 v12, v16, 16, 1
	v_or_b32_e32 v22, 0x400000, v2
	v_cmp_u_f32_e32 vcc_lo, v2, v2
	v_mul_f32_e32 v21, v35, v21
	v_lshlrev_b32_e32 v4, 16, v4
	v_add3_u32 v12, v12, v16, 0x7fff
	v_and_b32_e32 v1, 0xffff0000, v1
	v_cndmask_b32_e32 v2, v14, v22, vcc_lo
	v_bfe_u32 v14, v3, 16, 1
	v_cmp_u_f32_e32 vcc_lo, v16, v16
	v_bfe_u32 v22, v21, 16, 1
	v_or_b32_e32 v16, 0x400000, v3
	v_mul_f32_e32 v4, v36, v4
	v_add3_u32 v14, v14, v3, 0x7fff
	v_cndmask_b32_e32 v12, v12, v23, vcc_lo
	v_cmp_u_f32_e32 vcc_lo, v3, v3
	v_add3_u32 v22, v22, v21, 0x7fff
	v_or_b32_e32 v23, 0x400000, v21
	v_and_b32_e32 v2, 0xffff0000, v2
	v_and_b32_e32 v7, 0xffff0000, v7
	v_cndmask_b32_e32 v3, v14, v16, vcc_lo
	v_cmp_u_f32_e32 vcc_lo, v21, v21
	v_bfe_u32 v16, v4, 16, 1
	v_add_f32_e32 v1, v1, v11
	v_add_f32_e32 v2, v2, v7
	v_and_b32_e32 v3, 0xffff0000, v3
	v_cndmask_b32_e32 v14, v22, v23, vcc_lo
	s_waitcnt vmcnt(0)
	v_lshlrev_b32_e32 v22, 16, v17
	v_and_b32_e32 v7, 0xffff0000, v12
	v_and_b32_e32 v12, 0xffff0000, v17
	v_add3_u32 v16, v16, v4, 0x7fff
	v_or_b32_e32 v21, 0x400000, v4
	v_mul_f32_e32 v11, v41, v22
	v_cmp_u_f32_e32 vcc_lo, v4, v4
	v_add_f32_e32 v1, v2, v1
	v_add_f32_e32 v3, v3, v7
	v_mul_f32_e32 v0, v0, v12
	v_bfe_u32 v2, v11, 16, 1
	v_lshlrev_b32_e32 v7, 16, v18
	v_cndmask_b32_e32 v4, v16, v21, vcc_lo
	v_or_b32_e32 v12, 0x400000, v11
	v_bfe_u32 v16, v0, 16, 1
	v_add3_u32 v2, v2, v11, 0x7fff
	v_mul_f32_e32 v7, v42, v7
	v_and_b32_e32 v17, 0xffff0000, v18
	v_cmp_u_f32_e32 vcc_lo, v11, v11
	v_add3_u32 v11, v16, v0, 0x7fff
	v_lshlrev_b32_e32 v18, 16, v19
	v_bfe_u32 v16, v7, 16, 1
	v_mul_f32_e32 v17, v33, v17
	v_cndmask_b32_e32 v2, v2, v12, vcc_lo
	v_or_b32_e32 v12, 0x400000, v0
	v_cmp_u_f32_e32 vcc_lo, v0, v0
	v_mul_f32_e32 v18, v43, v18
	v_and_b32_e32 v19, 0xffff0000, v19
	v_lshlrev_b32_e32 v21, 16, v20
	v_and_b32_e32 v20, 0xffff0000, v20
	v_cndmask_b32_e32 v0, v11, v12, vcc_lo
	v_add3_u32 v11, v16, v7, 0x7fff
	v_or_b32_e32 v12, 0x400000, v7
	v_bfe_u32 v16, v17, 16, 1
	v_cmp_u_f32_e32 vcc_lo, v7, v7
	v_mul_f32_e32 v19, v34, v19
	v_mul_f32_e32 v20, v35, v20
	v_and_b32_e32 v0, 0xffff0000, v0
	v_and_b32_e32 v2, 0xffff0000, v2
	v_cndmask_b32_e32 v7, v11, v12, vcc_lo
	v_add3_u32 v11, v16, v17, 0x7fff
	v_or_b32_e32 v12, 0x400000, v17
	v_bfe_u32 v16, v18, 16, 1
	v_cmp_u_f32_e32 vcc_lo, v17, v17
	v_mul_f32_e32 v17, v36, v21
	v_or_b32_e32 v21, 0x400000, v18
	v_or_b32_e32 v22, 0x400000, v19
	v_add3_u32 v16, v16, v18, 0x7fff
	v_cndmask_b32_e32 v11, v11, v12, vcc_lo
	v_bfe_u32 v12, v19, 16, 1
	v_cmp_u_f32_e32 vcc_lo, v18, v18
	v_bfe_u32 v24, v20, 16, 1
	v_bfe_u32 v23, v17, 16, 1
	v_and_b32_e32 v11, 0xffff0000, v11
	v_add3_u32 v12, v12, v19, 0x7fff
	v_cndmask_b32_e32 v16, v16, v21, vcc_lo
	v_cmp_u_f32_e32 vcc_lo, v19, v19
	v_add3_u32 v19, v24, v20, 0x7fff
	v_or_b32_e32 v21, 0x400000, v20
	v_add3_u32 v18, v23, v17, 0x7fff
	v_and_b32_e32 v7, 0xffff0000, v7
	v_cndmask_b32_e32 v12, v12, v22, vcc_lo
	v_cmp_u_f32_e32 vcc_lo, v20, v20
	v_or_b32_e32 v22, 0x400000, v17
	v_add_f32_e32 v0, v2, v0
	v_add_f32_e32 v2, v7, v11
	v_and_b32_e32 v7, 0xffff0000, v12
	v_cndmask_b32_e32 v19, v19, v21, vcc_lo
	v_cmp_u_f32_e32 vcc_lo, v17, v17
	v_and_b32_e32 v11, 0xffff0000, v16
	v_and_b32_e32 v4, 0xffff0000, v4
	;; [unrolled: 1-line block ×3, first 2 shown]
	v_add_f32_e32 v0, v2, v0
	v_cndmask_b32_e32 v12, v18, v22, vcc_lo
	v_add_f32_e32 v2, v11, v7
	v_and_b32_e32 v7, 0xffff0000, v19
	v_add_f32_e32 v8, v8, v15
	v_add_f32_e32 v1, v3, v1
	v_and_b32_e32 v11, 0xffff0000, v12
	v_add_f32_e32 v3, v4, v14
	v_add_f32_e32 v0, v2, v0
	;; [unrolled: 1-line block ×13, first 2 shown]
.LBB147_34:                             ;   in Loop: Header=BB147_35 Depth=1
	s_or_b32 exec_lo, exec_lo, s18
	v_add_nc_u32_e32 v83, 4, v83
	v_add_co_u32 v57, s0, v57, 16
	v_add_co_ci_u32_e64 v58, null, 0, v58, s0
	v_cmp_le_i32_e32 vcc_lo, s16, v83
	v_add_nc_u32_e32 v61, 0x80, v61
	v_add_nc_u32_e32 v81, 0x200, v81
	s_or_b32 s15, vcc_lo, s15
	s_andn2_b32 exec_lo, exec_lo, s15
	s_cbranch_execz .LBB147_60
.LBB147_35:                             ; =>This Inner Loop Header: Depth=1
	v_mul_hi_u32 v0, v61, s21
	v_mul_lo_u32 v1, v0, s12
	v_add_nc_u32_e32 v2, 1, v0
	v_sub_nc_u32_e32 v1, v61, v1
	v_subrev_nc_u32_e32 v3, s12, v1
	v_cmp_le_u32_e32 vcc_lo, s12, v1
	v_cndmask_b32_e32 v0, v0, v2, vcc_lo
	v_cndmask_b32_e32 v1, v1, v3, vcc_lo
	v_add_nc_u32_e32 v2, 1, v0
	v_cmp_le_u32_e32 vcc_lo, s12, v1
	v_cndmask_b32_e32 v0, v0, v2, vcc_lo
	v_xor_b32_e32 v0, s19, v0
	v_subrev_nc_u32_e32 v0, s19, v0
	v_add_nc_u32_e32 v1, s29, v0
	v_cmp_lt_i32_e64 s0, s4, v0
	v_sub_nc_u32_e32 v2, 0, v1
	v_max_i32_e32 v2, v1, v2
	v_ashrrev_i32_e32 v1, 31, v1
	v_mul_hi_u32 v3, v2, v82
	v_mul_lo_u32 v3, v3, s5
	v_sub_nc_u32_e32 v2, v2, v3
	v_subrev_nc_u32_e32 v3, s5, v2
	v_cmp_le_u32_e32 vcc_lo, s5, v2
	v_cndmask_b32_e32 v2, v2, v3, vcc_lo
	v_subrev_nc_u32_e32 v3, s5, v2
	v_cmp_le_u32_e32 vcc_lo, s5, v2
	v_cndmask_b32_e32 v2, v2, v3, vcc_lo
	v_xor_b32_e32 v2, v2, v1
	v_sub_nc_u32_e32 v1, v2, v1
	v_cmp_eq_u32_e32 vcc_lo, 0, v1
	s_or_b32 s0, vcc_lo, s0
	s_and_saveexec_b32 s18, s0
	s_cbranch_execz .LBB147_34
; %bb.36:                               ;   in Loop: Header=BB147_35 Depth=1
	global_load_dword v0, v[57:58], off
	v_add_nc_u32_e32 v85, v78, v61
	v_cmp_eq_u32_e64 s0, s14, v83
	v_add_nc_u32_e32 v88, 1, v85
	v_or_b32_e32 v86, 3, v85
	v_or_b32_e32 v87, 2, v85
	v_or_b32_e32 v84, 5, v85
	v_or_b32_e32 v60, 4, v85
	v_or_b32_e32 v59, 7, v85
	s_waitcnt vmcnt(0)
	v_mad_i64_i32 v[0:1], null, v0, s13, 0
	v_lshlrev_b64 v[0:1], 1, v[0:1]
	v_add_co_u32 v17, vcc_lo, v79, v0
	v_add_co_ci_u32_e64 v18, null, v80, v1, vcc_lo
	v_or_b32_e32 v0, 6, v85
	global_load_dwordx4 v[1:4], v[17:18], off
	ds_read2_b64 v[41:44], v81 offset1:1
	ds_read2_b64 v[33:36], v81 offset0:2 offset1:3
	s_and_saveexec_b32 s22, s0
	s_cbranch_execnz .LBB147_50
; %bb.37:                               ;   in Loop: Header=BB147_35 Depth=1
	s_or_b32 exec_lo, exec_lo, s22
	global_load_dwordx4 v[5:8], v[17:18], off offset:512
	s_and_saveexec_b32 s22, s0
	s_cbranch_execnz .LBB147_51
.LBB147_38:                             ;   in Loop: Header=BB147_35 Depth=1
	s_or_b32 exec_lo, exec_lo, s22
	global_load_dwordx4 v[9:12], v[17:18], off offset:1024
	s_and_saveexec_b32 s22, s0
	s_cbranch_execnz .LBB147_52
.LBB147_39:                             ;   in Loop: Header=BB147_35 Depth=1
	s_or_b32 exec_lo, exec_lo, s22
	global_load_dwordx4 v[13:16], v[17:18], off offset:1536
	s_and_saveexec_b32 s22, s0
	s_cbranch_execz .LBB147_41
.LBB147_40:                             ;   in Loop: Header=BB147_35 Depth=1
	v_cmp_gt_i32_e64 s1, s28, v85
	v_cmp_gt_i32_e32 vcc_lo, s17, v88
	v_cmp_gt_i32_e64 s2, s28, v87
	s_waitcnt vmcnt(0)
	v_cndmask_b32_e64 v19, 0, v13, s1
	v_cmp_gt_i32_e64 s1, s17, v86
	v_cndmask_b32_sdwa v13, v77, v13, vcc_lo dst_sel:DWORD dst_unused:UNUSED_PAD src0_sel:DWORD src1_sel:WORD_1
	v_cndmask_b32_e64 v20, 0, v14, s2
	v_cmp_gt_i32_e64 s2, s17, v84
	s_mov_b32 vcc_lo, s1
	v_cmp_gt_i32_e64 s1, s17, v59
	v_cndmask_b32_sdwa v14, v77, v14, vcc_lo dst_sel:DWORD dst_unused:UNUSED_PAD src0_sel:DWORD src1_sel:WORD_1
	v_cmp_gt_i32_e32 vcc_lo, s28, v60
	v_perm_b32 v13, v13, v19, 0x5040100
	v_perm_b32 v14, v14, v20, 0x5040100
	v_cndmask_b32_e32 v21, 0, v15, vcc_lo
	s_mov_b32 vcc_lo, s2
	v_cndmask_b32_sdwa v15, v77, v15, vcc_lo dst_sel:DWORD dst_unused:UNUSED_PAD src0_sel:DWORD src1_sel:WORD_1
	v_cmp_gt_i32_e32 vcc_lo, s28, v0
	v_perm_b32 v15, v15, v21, 0x5040100
	v_cndmask_b32_e32 v22, 0, v16, vcc_lo
	s_mov_b32 vcc_lo, s1
	v_cndmask_b32_sdwa v16, v77, v16, vcc_lo dst_sel:DWORD dst_unused:UNUSED_PAD src0_sel:DWORD src1_sel:WORD_1
	v_perm_b32 v16, v16, v22, 0x5040100
.LBB147_41:                             ;   in Loop: Header=BB147_35 Depth=1
	s_or_b32 exec_lo, exec_lo, s22
	v_add_co_u32 v19, vcc_lo, 0x800, v17
	v_add_co_ci_u32_e64 v20, null, 0, v18, vcc_lo
	global_load_dwordx4 v[21:24], v[19:20], off
	s_and_saveexec_b32 s22, s0
	s_cbranch_execnz .LBB147_53
; %bb.42:                               ;   in Loop: Header=BB147_35 Depth=1
	s_or_b32 exec_lo, exec_lo, s22
	global_load_dwordx4 v[25:28], v[19:20], off offset:512
	s_and_saveexec_b32 s22, s0
	s_cbranch_execnz .LBB147_54
.LBB147_43:                             ;   in Loop: Header=BB147_35 Depth=1
	s_or_b32 exec_lo, exec_lo, s22
	global_load_dwordx4 v[29:32], v[19:20], off offset:1024
	s_and_saveexec_b32 s22, s0
	s_cbranch_execnz .LBB147_55
.LBB147_44:                             ;   in Loop: Header=BB147_35 Depth=1
	s_or_b32 exec_lo, exec_lo, s22
	global_load_dwordx4 v[37:40], v[19:20], off offset:1536
	s_and_saveexec_b32 s22, s0
	s_cbranch_execz .LBB147_46
.LBB147_45:                             ;   in Loop: Header=BB147_35 Depth=1
	v_cmp_gt_i32_e64 s1, s28, v85
	v_cmp_gt_i32_e32 vcc_lo, s17, v88
	v_cmp_gt_i32_e64 s2, s28, v87
	s_waitcnt vmcnt(0)
	v_cndmask_b32_e64 v19, 0, v37, s1
	v_cmp_gt_i32_e64 s1, s17, v86
	v_cndmask_b32_sdwa v37, v77, v37, vcc_lo dst_sel:DWORD dst_unused:UNUSED_PAD src0_sel:DWORD src1_sel:WORD_1
	v_cndmask_b32_e64 v20, 0, v38, s2
	v_cmp_gt_i32_e64 s2, s17, v84
	s_mov_b32 vcc_lo, s1
	v_cmp_gt_i32_e64 s1, s17, v59
	v_cndmask_b32_sdwa v38, v77, v38, vcc_lo dst_sel:DWORD dst_unused:UNUSED_PAD src0_sel:DWORD src1_sel:WORD_1
	v_cmp_gt_i32_e32 vcc_lo, s28, v60
	v_perm_b32 v37, v37, v19, 0x5040100
	v_perm_b32 v38, v38, v20, 0x5040100
	v_cndmask_b32_e32 v45, 0, v39, vcc_lo
	s_mov_b32 vcc_lo, s2
	v_cndmask_b32_sdwa v39, v77, v39, vcc_lo dst_sel:DWORD dst_unused:UNUSED_PAD src0_sel:DWORD src1_sel:WORD_1
	v_cmp_gt_i32_e32 vcc_lo, s28, v0
	v_perm_b32 v39, v39, v45, 0x5040100
	v_cndmask_b32_e32 v46, 0, v40, vcc_lo
	s_mov_b32 vcc_lo, s1
	v_cndmask_b32_sdwa v40, v77, v40, vcc_lo dst_sel:DWORD dst_unused:UNUSED_PAD src0_sel:DWORD src1_sel:WORD_1
	v_perm_b32 v40, v40, v46, 0x5040100
.LBB147_46:                             ;   in Loop: Header=BB147_35 Depth=1
	s_or_b32 exec_lo, exec_lo, s22
	v_add_co_u32 v17, vcc_lo, 0x1000, v17
	v_add_co_ci_u32_e64 v18, null, 0, v18, vcc_lo
	global_load_dwordx4 v[45:48], v[17:18], off
	s_and_saveexec_b32 s22, s0
	s_cbranch_execnz .LBB147_56
; %bb.47:                               ;   in Loop: Header=BB147_35 Depth=1
	s_or_b32 exec_lo, exec_lo, s22
	global_load_dwordx4 v[49:52], v[17:18], off offset:512
	s_and_saveexec_b32 s22, s0
	s_cbranch_execnz .LBB147_57
.LBB147_48:                             ;   in Loop: Header=BB147_35 Depth=1
	s_or_b32 exec_lo, exec_lo, s22
	global_load_dwordx4 v[53:56], v[17:18], off offset:1024
	s_and_saveexec_b32 s22, s0
	s_cbranch_execnz .LBB147_58
.LBB147_49:                             ;   in Loop: Header=BB147_35 Depth=1
	s_or_b32 exec_lo, exec_lo, s22
	global_load_dwordx4 v[17:20], v[17:18], off offset:1536
	s_and_saveexec_b32 s2, s0
	s_cbranch_execz .LBB147_33
	s_branch .LBB147_59
.LBB147_50:                             ;   in Loop: Header=BB147_35 Depth=1
	v_cmp_gt_i32_e64 s1, s28, v85
	v_cmp_gt_i32_e32 vcc_lo, s17, v88
	v_cmp_gt_i32_e64 s2, s28, v87
	s_waitcnt vmcnt(0)
	v_cndmask_b32_e64 v5, 0, v1, s1
	v_cmp_gt_i32_e64 s1, s17, v86
	v_cndmask_b32_sdwa v1, v77, v1, vcc_lo dst_sel:DWORD dst_unused:UNUSED_PAD src0_sel:DWORD src1_sel:WORD_1
	v_cndmask_b32_e64 v6, 0, v2, s2
	v_cmp_gt_i32_e64 s2, s17, v84
	s_mov_b32 vcc_lo, s1
	v_cmp_gt_i32_e64 s1, s17, v59
	v_cndmask_b32_sdwa v2, v77, v2, vcc_lo dst_sel:DWORD dst_unused:UNUSED_PAD src0_sel:DWORD src1_sel:WORD_1
	v_cmp_gt_i32_e32 vcc_lo, s28, v60
	v_perm_b32 v1, v1, v5, 0x5040100
	v_perm_b32 v2, v2, v6, 0x5040100
	v_cndmask_b32_e32 v7, 0, v3, vcc_lo
	s_mov_b32 vcc_lo, s2
	v_cndmask_b32_sdwa v3, v77, v3, vcc_lo dst_sel:DWORD dst_unused:UNUSED_PAD src0_sel:DWORD src1_sel:WORD_1
	v_cmp_gt_i32_e32 vcc_lo, s28, v0
	v_perm_b32 v3, v3, v7, 0x5040100
	v_cndmask_b32_e32 v8, 0, v4, vcc_lo
	s_mov_b32 vcc_lo, s1
	v_cndmask_b32_sdwa v4, v77, v4, vcc_lo dst_sel:DWORD dst_unused:UNUSED_PAD src0_sel:DWORD src1_sel:WORD_1
	v_perm_b32 v4, v4, v8, 0x5040100
	s_or_b32 exec_lo, exec_lo, s22
	global_load_dwordx4 v[5:8], v[17:18], off offset:512
	s_and_saveexec_b32 s22, s0
	s_cbranch_execz .LBB147_38
.LBB147_51:                             ;   in Loop: Header=BB147_35 Depth=1
	v_cmp_gt_i32_e64 s1, s28, v85
	v_cmp_gt_i32_e32 vcc_lo, s17, v88
	v_cmp_gt_i32_e64 s2, s28, v87
	s_waitcnt vmcnt(0)
	v_cndmask_b32_e64 v9, 0, v5, s1
	v_cmp_gt_i32_e64 s1, s17, v86
	v_cndmask_b32_sdwa v5, v77, v5, vcc_lo dst_sel:DWORD dst_unused:UNUSED_PAD src0_sel:DWORD src1_sel:WORD_1
	v_cndmask_b32_e64 v10, 0, v6, s2
	v_cmp_gt_i32_e64 s2, s17, v84
	s_mov_b32 vcc_lo, s1
	v_cmp_gt_i32_e64 s1, s17, v59
	v_cndmask_b32_sdwa v6, v77, v6, vcc_lo dst_sel:DWORD dst_unused:UNUSED_PAD src0_sel:DWORD src1_sel:WORD_1
	v_cmp_gt_i32_e32 vcc_lo, s28, v60
	v_perm_b32 v5, v5, v9, 0x5040100
	v_perm_b32 v6, v6, v10, 0x5040100
	v_cndmask_b32_e32 v11, 0, v7, vcc_lo
	s_mov_b32 vcc_lo, s2
	v_cndmask_b32_sdwa v7, v77, v7, vcc_lo dst_sel:DWORD dst_unused:UNUSED_PAD src0_sel:DWORD src1_sel:WORD_1
	v_cmp_gt_i32_e32 vcc_lo, s28, v0
	v_perm_b32 v7, v7, v11, 0x5040100
	v_cndmask_b32_e32 v12, 0, v8, vcc_lo
	s_mov_b32 vcc_lo, s1
	v_cndmask_b32_sdwa v8, v77, v8, vcc_lo dst_sel:DWORD dst_unused:UNUSED_PAD src0_sel:DWORD src1_sel:WORD_1
	v_perm_b32 v8, v8, v12, 0x5040100
	s_or_b32 exec_lo, exec_lo, s22
	global_load_dwordx4 v[9:12], v[17:18], off offset:1024
	s_and_saveexec_b32 s22, s0
	s_cbranch_execz .LBB147_39
.LBB147_52:                             ;   in Loop: Header=BB147_35 Depth=1
	v_cmp_gt_i32_e64 s1, s28, v85
	v_cmp_gt_i32_e32 vcc_lo, s17, v88
	v_cmp_gt_i32_e64 s2, s28, v87
	s_waitcnt vmcnt(0)
	v_cndmask_b32_e64 v13, 0, v9, s1
	v_cmp_gt_i32_e64 s1, s17, v86
	v_cndmask_b32_sdwa v9, v77, v9, vcc_lo dst_sel:DWORD dst_unused:UNUSED_PAD src0_sel:DWORD src1_sel:WORD_1
	v_cndmask_b32_e64 v14, 0, v10, s2
	v_cmp_gt_i32_e64 s2, s17, v84
	s_mov_b32 vcc_lo, s1
	v_cmp_gt_i32_e64 s1, s17, v59
	v_cndmask_b32_sdwa v10, v77, v10, vcc_lo dst_sel:DWORD dst_unused:UNUSED_PAD src0_sel:DWORD src1_sel:WORD_1
	v_cmp_gt_i32_e32 vcc_lo, s28, v60
	v_perm_b32 v9, v9, v13, 0x5040100
	v_perm_b32 v10, v10, v14, 0x5040100
	v_cndmask_b32_e32 v15, 0, v11, vcc_lo
	s_mov_b32 vcc_lo, s2
	v_cndmask_b32_sdwa v11, v77, v11, vcc_lo dst_sel:DWORD dst_unused:UNUSED_PAD src0_sel:DWORD src1_sel:WORD_1
	v_cmp_gt_i32_e32 vcc_lo, s28, v0
	v_perm_b32 v11, v11, v15, 0x5040100
	v_cndmask_b32_e32 v16, 0, v12, vcc_lo
	s_mov_b32 vcc_lo, s1
	v_cndmask_b32_sdwa v12, v77, v12, vcc_lo dst_sel:DWORD dst_unused:UNUSED_PAD src0_sel:DWORD src1_sel:WORD_1
	v_perm_b32 v12, v12, v16, 0x5040100
	s_or_b32 exec_lo, exec_lo, s22
	global_load_dwordx4 v[13:16], v[17:18], off offset:1536
	s_and_saveexec_b32 s22, s0
	s_cbranch_execnz .LBB147_40
	s_branch .LBB147_41
.LBB147_53:                             ;   in Loop: Header=BB147_35 Depth=1
	v_cmp_gt_i32_e64 s1, s28, v85
	v_cmp_gt_i32_e32 vcc_lo, s17, v88
	v_cmp_gt_i32_e64 s2, s28, v87
	s_waitcnt vmcnt(0)
	v_cndmask_b32_e64 v25, 0, v21, s1
	v_cmp_gt_i32_e64 s1, s17, v86
	v_cndmask_b32_sdwa v21, v77, v21, vcc_lo dst_sel:DWORD dst_unused:UNUSED_PAD src0_sel:DWORD src1_sel:WORD_1
	v_cndmask_b32_e64 v26, 0, v22, s2
	v_cmp_gt_i32_e64 s2, s17, v84
	s_mov_b32 vcc_lo, s1
	v_cmp_gt_i32_e64 s1, s17, v59
	v_cndmask_b32_sdwa v22, v77, v22, vcc_lo dst_sel:DWORD dst_unused:UNUSED_PAD src0_sel:DWORD src1_sel:WORD_1
	v_cmp_gt_i32_e32 vcc_lo, s28, v60
	v_perm_b32 v21, v21, v25, 0x5040100
	v_perm_b32 v22, v22, v26, 0x5040100
	v_cndmask_b32_e32 v27, 0, v23, vcc_lo
	s_mov_b32 vcc_lo, s2
	v_cndmask_b32_sdwa v23, v77, v23, vcc_lo dst_sel:DWORD dst_unused:UNUSED_PAD src0_sel:DWORD src1_sel:WORD_1
	v_cmp_gt_i32_e32 vcc_lo, s28, v0
	v_perm_b32 v23, v23, v27, 0x5040100
	v_cndmask_b32_e32 v28, 0, v24, vcc_lo
	s_mov_b32 vcc_lo, s1
	v_cndmask_b32_sdwa v24, v77, v24, vcc_lo dst_sel:DWORD dst_unused:UNUSED_PAD src0_sel:DWORD src1_sel:WORD_1
	v_perm_b32 v24, v24, v28, 0x5040100
	s_or_b32 exec_lo, exec_lo, s22
	global_load_dwordx4 v[25:28], v[19:20], off offset:512
	s_and_saveexec_b32 s22, s0
	s_cbranch_execz .LBB147_43
.LBB147_54:                             ;   in Loop: Header=BB147_35 Depth=1
	v_cmp_gt_i32_e64 s1, s28, v85
	v_cmp_gt_i32_e32 vcc_lo, s17, v88
	v_cmp_gt_i32_e64 s2, s28, v87
	s_waitcnt vmcnt(0)
	v_cndmask_b32_e64 v29, 0, v25, s1
	v_cmp_gt_i32_e64 s1, s17, v86
	v_cndmask_b32_sdwa v25, v77, v25, vcc_lo dst_sel:DWORD dst_unused:UNUSED_PAD src0_sel:DWORD src1_sel:WORD_1
	v_cndmask_b32_e64 v30, 0, v26, s2
	v_cmp_gt_i32_e64 s2, s17, v84
	s_mov_b32 vcc_lo, s1
	v_cmp_gt_i32_e64 s1, s17, v59
	v_cndmask_b32_sdwa v26, v77, v26, vcc_lo dst_sel:DWORD dst_unused:UNUSED_PAD src0_sel:DWORD src1_sel:WORD_1
	v_cmp_gt_i32_e32 vcc_lo, s28, v60
	v_perm_b32 v25, v25, v29, 0x5040100
	v_perm_b32 v26, v26, v30, 0x5040100
	v_cndmask_b32_e32 v31, 0, v27, vcc_lo
	s_mov_b32 vcc_lo, s2
	v_cndmask_b32_sdwa v27, v77, v27, vcc_lo dst_sel:DWORD dst_unused:UNUSED_PAD src0_sel:DWORD src1_sel:WORD_1
	v_cmp_gt_i32_e32 vcc_lo, s28, v0
	v_perm_b32 v27, v27, v31, 0x5040100
	v_cndmask_b32_e32 v32, 0, v28, vcc_lo
	s_mov_b32 vcc_lo, s1
	v_cndmask_b32_sdwa v28, v77, v28, vcc_lo dst_sel:DWORD dst_unused:UNUSED_PAD src0_sel:DWORD src1_sel:WORD_1
	v_perm_b32 v28, v28, v32, 0x5040100
	s_or_b32 exec_lo, exec_lo, s22
	global_load_dwordx4 v[29:32], v[19:20], off offset:1024
	s_and_saveexec_b32 s22, s0
	s_cbranch_execz .LBB147_44
.LBB147_55:                             ;   in Loop: Header=BB147_35 Depth=1
	v_cmp_gt_i32_e64 s1, s28, v85
	v_cmp_gt_i32_e32 vcc_lo, s17, v88
	v_cmp_gt_i32_e64 s2, s28, v87
	s_waitcnt vmcnt(0)
	v_cndmask_b32_e64 v37, 0, v29, s1
	v_cmp_gt_i32_e64 s1, s17, v86
	v_cndmask_b32_sdwa v29, v77, v29, vcc_lo dst_sel:DWORD dst_unused:UNUSED_PAD src0_sel:DWORD src1_sel:WORD_1
	v_cndmask_b32_e64 v38, 0, v30, s2
	v_cmp_gt_i32_e64 s2, s17, v84
	s_mov_b32 vcc_lo, s1
	v_cmp_gt_i32_e64 s1, s17, v59
	v_cndmask_b32_sdwa v30, v77, v30, vcc_lo dst_sel:DWORD dst_unused:UNUSED_PAD src0_sel:DWORD src1_sel:WORD_1
	v_cmp_gt_i32_e32 vcc_lo, s28, v60
	v_perm_b32 v29, v29, v37, 0x5040100
	v_perm_b32 v30, v30, v38, 0x5040100
	v_cndmask_b32_e32 v39, 0, v31, vcc_lo
	s_mov_b32 vcc_lo, s2
	v_cndmask_b32_sdwa v31, v77, v31, vcc_lo dst_sel:DWORD dst_unused:UNUSED_PAD src0_sel:DWORD src1_sel:WORD_1
	v_cmp_gt_i32_e32 vcc_lo, s28, v0
	v_perm_b32 v31, v31, v39, 0x5040100
	v_cndmask_b32_e32 v40, 0, v32, vcc_lo
	s_mov_b32 vcc_lo, s1
	v_cndmask_b32_sdwa v32, v77, v32, vcc_lo dst_sel:DWORD dst_unused:UNUSED_PAD src0_sel:DWORD src1_sel:WORD_1
	v_perm_b32 v32, v32, v40, 0x5040100
	s_or_b32 exec_lo, exec_lo, s22
	global_load_dwordx4 v[37:40], v[19:20], off offset:1536
	s_and_saveexec_b32 s22, s0
	s_cbranch_execnz .LBB147_45
	s_branch .LBB147_46
.LBB147_56:                             ;   in Loop: Header=BB147_35 Depth=1
	v_cmp_gt_i32_e64 s1, s28, v85
	v_cmp_gt_i32_e32 vcc_lo, s17, v88
	v_cmp_gt_i32_e64 s2, s28, v87
	s_waitcnt vmcnt(0)
	v_cndmask_b32_e64 v19, 0, v45, s1
	v_cmp_gt_i32_e64 s1, s17, v86
	v_cndmask_b32_sdwa v45, v77, v45, vcc_lo dst_sel:DWORD dst_unused:UNUSED_PAD src0_sel:DWORD src1_sel:WORD_1
	v_cndmask_b32_e64 v20, 0, v46, s2
	v_cmp_gt_i32_e64 s2, s17, v84
	s_mov_b32 vcc_lo, s1
	v_cmp_gt_i32_e64 s1, s17, v59
	v_cndmask_b32_sdwa v46, v77, v46, vcc_lo dst_sel:DWORD dst_unused:UNUSED_PAD src0_sel:DWORD src1_sel:WORD_1
	v_cmp_gt_i32_e32 vcc_lo, s28, v60
	v_perm_b32 v45, v45, v19, 0x5040100
	v_perm_b32 v46, v46, v20, 0x5040100
	v_cndmask_b32_e32 v49, 0, v47, vcc_lo
	s_mov_b32 vcc_lo, s2
	v_cndmask_b32_sdwa v47, v77, v47, vcc_lo dst_sel:DWORD dst_unused:UNUSED_PAD src0_sel:DWORD src1_sel:WORD_1
	v_cmp_gt_i32_e32 vcc_lo, s28, v0
	v_perm_b32 v47, v47, v49, 0x5040100
	v_cndmask_b32_e32 v50, 0, v48, vcc_lo
	s_mov_b32 vcc_lo, s1
	v_cndmask_b32_sdwa v48, v77, v48, vcc_lo dst_sel:DWORD dst_unused:UNUSED_PAD src0_sel:DWORD src1_sel:WORD_1
	v_perm_b32 v48, v48, v50, 0x5040100
	s_or_b32 exec_lo, exec_lo, s22
	global_load_dwordx4 v[49:52], v[17:18], off offset:512
	s_and_saveexec_b32 s22, s0
	s_cbranch_execz .LBB147_48
.LBB147_57:                             ;   in Loop: Header=BB147_35 Depth=1
	v_cmp_gt_i32_e64 s1, s28, v85
	v_cmp_gt_i32_e32 vcc_lo, s17, v88
	v_cmp_gt_i32_e64 s2, s28, v87
	s_waitcnt vmcnt(0)
	v_cndmask_b32_e64 v19, 0, v49, s1
	v_cmp_gt_i32_e64 s1, s17, v86
	v_cndmask_b32_sdwa v49, v77, v49, vcc_lo dst_sel:DWORD dst_unused:UNUSED_PAD src0_sel:DWORD src1_sel:WORD_1
	v_cndmask_b32_e64 v20, 0, v50, s2
	v_cmp_gt_i32_e64 s2, s17, v84
	s_mov_b32 vcc_lo, s1
	v_cmp_gt_i32_e64 s1, s17, v59
	v_cndmask_b32_sdwa v50, v77, v50, vcc_lo dst_sel:DWORD dst_unused:UNUSED_PAD src0_sel:DWORD src1_sel:WORD_1
	v_cmp_gt_i32_e32 vcc_lo, s28, v60
	v_perm_b32 v49, v49, v19, 0x5040100
	v_perm_b32 v50, v50, v20, 0x5040100
	v_cndmask_b32_e32 v53, 0, v51, vcc_lo
	s_mov_b32 vcc_lo, s2
	v_cndmask_b32_sdwa v51, v77, v51, vcc_lo dst_sel:DWORD dst_unused:UNUSED_PAD src0_sel:DWORD src1_sel:WORD_1
	v_cmp_gt_i32_e32 vcc_lo, s28, v0
	v_perm_b32 v51, v51, v53, 0x5040100
	v_cndmask_b32_e32 v54, 0, v52, vcc_lo
	s_mov_b32 vcc_lo, s1
	v_cndmask_b32_sdwa v52, v77, v52, vcc_lo dst_sel:DWORD dst_unused:UNUSED_PAD src0_sel:DWORD src1_sel:WORD_1
	v_perm_b32 v52, v52, v54, 0x5040100
	s_or_b32 exec_lo, exec_lo, s22
	global_load_dwordx4 v[53:56], v[17:18], off offset:1024
	s_and_saveexec_b32 s22, s0
	s_cbranch_execz .LBB147_49
.LBB147_58:                             ;   in Loop: Header=BB147_35 Depth=1
	v_cmp_gt_i32_e64 s1, s28, v85
	v_cmp_gt_i32_e32 vcc_lo, s17, v88
	v_cmp_gt_i32_e64 s2, s28, v87
	s_waitcnt vmcnt(0)
	v_cndmask_b32_e64 v19, 0, v53, s1
	v_cmp_gt_i32_e64 s1, s17, v86
	v_cndmask_b32_sdwa v53, v77, v53, vcc_lo dst_sel:DWORD dst_unused:UNUSED_PAD src0_sel:DWORD src1_sel:WORD_1
	v_cndmask_b32_e64 v20, 0, v54, s2
	v_cmp_gt_i32_e64 s2, s17, v84
	s_mov_b32 vcc_lo, s1
	v_cmp_gt_i32_e64 s1, s17, v59
	v_cndmask_b32_sdwa v54, v77, v54, vcc_lo dst_sel:DWORD dst_unused:UNUSED_PAD src0_sel:DWORD src1_sel:WORD_1
	v_cmp_gt_i32_e32 vcc_lo, s28, v60
	v_perm_b32 v53, v53, v19, 0x5040100
	v_perm_b32 v54, v54, v20, 0x5040100
	v_cndmask_b32_e32 v89, 0, v55, vcc_lo
	s_mov_b32 vcc_lo, s2
	v_cndmask_b32_sdwa v55, v77, v55, vcc_lo dst_sel:DWORD dst_unused:UNUSED_PAD src0_sel:DWORD src1_sel:WORD_1
	v_cmp_gt_i32_e32 vcc_lo, s28, v0
	v_perm_b32 v55, v55, v89, 0x5040100
	v_cndmask_b32_e32 v90, 0, v56, vcc_lo
	s_mov_b32 vcc_lo, s1
	v_cndmask_b32_sdwa v56, v77, v56, vcc_lo dst_sel:DWORD dst_unused:UNUSED_PAD src0_sel:DWORD src1_sel:WORD_1
	v_perm_b32 v56, v56, v90, 0x5040100
	s_or_b32 exec_lo, exec_lo, s22
	global_load_dwordx4 v[17:20], v[17:18], off offset:1536
	s_and_saveexec_b32 s2, s0
	s_cbranch_execz .LBB147_33
.LBB147_59:                             ;   in Loop: Header=BB147_35 Depth=1
	v_cmp_gt_i32_e64 s0, s28, v85
	v_cmp_gt_i32_e32 vcc_lo, s17, v88
	v_cmp_gt_i32_e64 s1, s28, v87
	s_waitcnt vmcnt(0)
	v_cndmask_b32_e64 v85, 0, v17, s0
	v_cmp_gt_i32_e64 s0, s17, v86
	v_cndmask_b32_sdwa v17, v77, v17, vcc_lo dst_sel:DWORD dst_unused:UNUSED_PAD src0_sel:DWORD src1_sel:WORD_1
	v_cndmask_b32_e64 v86, 0, v18, s1
	v_cmp_gt_i32_e64 s1, s17, v84
	s_mov_b32 vcc_lo, s0
	v_cmp_gt_i32_e64 s0, s17, v59
	v_cndmask_b32_sdwa v18, v77, v18, vcc_lo dst_sel:DWORD dst_unused:UNUSED_PAD src0_sel:DWORD src1_sel:WORD_1
	v_cmp_gt_i32_e32 vcc_lo, s28, v60
	v_perm_b32 v17, v17, v85, 0x5040100
	v_perm_b32 v18, v18, v86, 0x5040100
	v_cndmask_b32_e32 v60, 0, v19, vcc_lo
	s_mov_b32 vcc_lo, s1
	v_cndmask_b32_sdwa v19, v77, v19, vcc_lo dst_sel:DWORD dst_unused:UNUSED_PAD src0_sel:DWORD src1_sel:WORD_1
	v_cmp_gt_i32_e32 vcc_lo, s28, v0
	v_perm_b32 v19, v19, v60, 0x5040100
	v_cndmask_b32_e32 v0, 0, v20, vcc_lo
	s_mov_b32 vcc_lo, s0
	v_cndmask_b32_sdwa v20, v77, v20, vcc_lo dst_sel:DWORD dst_unused:UNUSED_PAD src0_sel:DWORD src1_sel:WORD_1
	v_perm_b32 v20, v20, v0, 0x5040100
	s_branch .LBB147_33
.LBB147_60:
	s_or_b32 exec_lo, exec_lo, s15
.LBB147_61:
	s_or_b32 exec_lo, exec_lo, s3
	ds_bpermute_b32 v0, v63, v75
	ds_bpermute_b32 v5, v63, v71
	;; [unrolled: 1-line block ×12, first 2 shown]
	s_mov_b32 s0, exec_lo
	s_waitcnt lgkmcnt(11)
	v_add_f32_e32 v0, v75, v0
	s_waitcnt lgkmcnt(10)
	v_add_f32_e32 v5, v71, v5
	;; [unrolled: 2-line block ×5, first 2 shown]
	ds_bpermute_b32 v6, v62, v0
	ds_bpermute_b32 v20, v62, v5
	;; [unrolled: 1-line block ×3, first 2 shown]
	s_waitcnt lgkmcnt(9)
	v_add_f32_e32 v4, v72, v4
	s_waitcnt lgkmcnt(8)
	v_add_f32_e32 v13, v69, v7
	;; [unrolled: 2-line block ×7, first 2 shown]
	ds_bpermute_b32 v7, v62, v1
	ds_bpermute_b32 v19, v62, v4
	;; [unrolled: 1-line block ×9, first 2 shown]
	s_waitcnt lgkmcnt(11)
	v_add_f32_e32 v11, v0, v6
	s_waitcnt lgkmcnt(10)
	v_add_f32_e32 v6, v5, v20
	;; [unrolled: 2-line block ×3, first 2 shown]
	buffer_load_dword v12, off, s[40:43], 0 ; 4-byte Folded Reload
	s_waitcnt vmcnt(0) lgkmcnt(0)
	s_barrier
	buffer_gl0_inv
	v_add_f32_e32 v10, v1, v7
	v_add_f32_e32 v7, v4, v19
	;; [unrolled: 1-line block ×8, first 2 shown]
	v_and_b32_e32 v15, 0x3c3, v91
	v_add_f32_e32 v2, v17, v26
	v_mul_u32_u24_e32 v14, 0x180, v92
	v_and_b32_e32 v13, 28, v12
	v_lshrrev_b32_e32 v12, 2, v12
	v_add_nc_u32_e32 v13, 0xe0, v13
	v_cmpx_eq_u32_e32 64, v15
	s_cbranch_execz .LBB147_63
; %bb.62:
	v_add_nc_u32_e32 v15, v13, v14
	v_add_nc_u32_e32 v16, 0xfffffd00, v15
	;; [unrolled: 1-line block ×8, first 2 shown]
	ds_write_b32 v16, v11
	ds_write_b32 v17, v10
	;; [unrolled: 1-line block ×7, first 2 shown]
	v_add_nc_u32_e32 v16, 0xfffffde0, v15
	v_add_nc_u32_e32 v17, 0xfffffe00, v15
	;; [unrolled: 1-line block ×5, first 2 shown]
	ds_write_b32 v16, v4
	ds_write_b32 v17, v3
	;; [unrolled: 1-line block ×5, first 2 shown]
.LBB147_63:
	s_or_b32 exec_lo, exec_lo, s0
	v_lshlrev_b32_e32 v12, 2, v12
	s_mov_b32 s1, exec_lo
	v_cmp_eq_u32_e32 vcc_lo, 0, v64
	s_waitcnt lgkmcnt(0)
	s_barrier
	v_add3_u32 v12, 0xe0, v14, v12
	buffer_gl0_inv
	v_cmpx_gt_u32_e32 64, v91
	s_cbranch_execz .LBB147_78
; %bb.64:
	s_and_saveexec_b32 s0, vcc_lo
	s_cbranch_execnz .LBB147_98
; %bb.65:
	s_or_b32 exec_lo, exec_lo, s0
	s_and_saveexec_b32 s0, vcc_lo
	s_cbranch_execnz .LBB147_99
.LBB147_66:
	s_or_b32 exec_lo, exec_lo, s0
	s_and_saveexec_b32 s0, vcc_lo
	s_cbranch_execnz .LBB147_100
.LBB147_67:
	s_or_b32 exec_lo, exec_lo, s0
	s_and_saveexec_b32 s0, vcc_lo
	s_cbranch_execnz .LBB147_101
.LBB147_68:
	s_or_b32 exec_lo, exec_lo, s0
	s_and_saveexec_b32 s0, vcc_lo
	s_cbranch_execnz .LBB147_102
.LBB147_69:
	s_or_b32 exec_lo, exec_lo, s0
	s_and_saveexec_b32 s0, vcc_lo
	s_cbranch_execnz .LBB147_103
.LBB147_70:
	s_or_b32 exec_lo, exec_lo, s0
	s_and_saveexec_b32 s0, vcc_lo
	s_cbranch_execnz .LBB147_104
.LBB147_71:
	s_or_b32 exec_lo, exec_lo, s0
	s_and_saveexec_b32 s0, vcc_lo
	s_cbranch_execnz .LBB147_105
.LBB147_72:
	s_or_b32 exec_lo, exec_lo, s0
	s_and_saveexec_b32 s0, vcc_lo
	s_cbranch_execnz .LBB147_106
.LBB147_73:
	s_or_b32 exec_lo, exec_lo, s0
	s_and_saveexec_b32 s0, vcc_lo
	s_cbranch_execnz .LBB147_107
.LBB147_74:
	s_or_b32 exec_lo, exec_lo, s0
	s_and_saveexec_b32 s0, vcc_lo
	s_cbranch_execnz .LBB147_108
.LBB147_75:
	s_or_b32 exec_lo, exec_lo, s0
	s_and_saveexec_b32 s0, vcc_lo
	s_cbranch_execz .LBB147_77
.LBB147_76:
	ds_read_b32 v14, v12 offset:352
	s_waitcnt lgkmcnt(0)
	v_add_f32_e32 v2, v2, v14
.LBB147_77:
	s_or_b32 exec_lo, exec_lo, s0
.LBB147_78:
	s_or_b32 exec_lo, exec_lo, s1
	v_and_b32_e32 v14, 0x3e3, v91
	s_mov_b32 s1, exec_lo
	s_barrier
	buffer_gl0_inv
	v_cmpx_eq_u32_e32 32, v14
	s_cbranch_execz .LBB147_80
; %bb.79:
	ds_write2_b32 v13, v11, v10 offset1:8
	ds_write2_b32 v13, v9, v8 offset0:16 offset1:24
	ds_write2_b32 v13, v7, v6 offset0:32 offset1:40
	;; [unrolled: 1-line block ×5, first 2 shown]
.LBB147_80:
	s_or_b32 exec_lo, exec_lo, s1
	s_mov_b32 s1, exec_lo
	s_waitcnt lgkmcnt(0)
	s_barrier
	buffer_gl0_inv
	v_cmpx_gt_u32_e32 32, v91
	s_cbranch_execz .LBB147_95
; %bb.81:
	s_and_saveexec_b32 s0, vcc_lo
	s_cbranch_execnz .LBB147_109
; %bb.82:
	s_or_b32 exec_lo, exec_lo, s0
	s_and_saveexec_b32 s0, vcc_lo
	s_cbranch_execnz .LBB147_110
.LBB147_83:
	s_or_b32 exec_lo, exec_lo, s0
	s_and_saveexec_b32 s0, vcc_lo
	s_cbranch_execnz .LBB147_111
.LBB147_84:
	s_or_b32 exec_lo, exec_lo, s0
	s_and_saveexec_b32 s0, vcc_lo
	s_cbranch_execnz .LBB147_112
.LBB147_85:
	s_or_b32 exec_lo, exec_lo, s0
	s_and_saveexec_b32 s0, vcc_lo
	s_cbranch_execnz .LBB147_113
.LBB147_86:
	s_or_b32 exec_lo, exec_lo, s0
	s_and_saveexec_b32 s0, vcc_lo
	s_cbranch_execnz .LBB147_114
.LBB147_87:
	s_or_b32 exec_lo, exec_lo, s0
	s_and_saveexec_b32 s0, vcc_lo
	s_cbranch_execnz .LBB147_115
.LBB147_88:
	s_or_b32 exec_lo, exec_lo, s0
	s_and_saveexec_b32 s0, vcc_lo
	s_cbranch_execnz .LBB147_116
.LBB147_89:
	s_or_b32 exec_lo, exec_lo, s0
	s_and_saveexec_b32 s0, vcc_lo
	s_cbranch_execnz .LBB147_117
.LBB147_90:
	s_or_b32 exec_lo, exec_lo, s0
	s_and_saveexec_b32 s0, vcc_lo
	s_cbranch_execnz .LBB147_118
.LBB147_91:
	s_or_b32 exec_lo, exec_lo, s0
	s_and_saveexec_b32 s0, vcc_lo
	s_cbranch_execnz .LBB147_119
.LBB147_92:
	s_or_b32 exec_lo, exec_lo, s0
	s_and_saveexec_b32 s0, vcc_lo
	s_cbranch_execz .LBB147_94
.LBB147_93:
	ds_read_b32 v12, v12 offset:352
	s_waitcnt lgkmcnt(0)
	v_add_f32_e32 v2, v2, v12
.LBB147_94:
	s_or_b32 exec_lo, exec_lo, s0
.LBB147_95:
	s_or_b32 exec_lo, exec_lo, s1
	s_barrier
	buffer_gl0_inv
	s_mov_b32 s0, exec_lo
	v_cmpx_eq_u32_e32 0, v14
	s_cbranch_execz .LBB147_97
; %bb.96:
	s_mul_i32 s0, s10, s11
	v_bfe_u32 v13, v11, 16, 1
	s_mul_i32 s0, s0, s9
	s_mul_i32 s2, s11, s20
	s_mulk_i32 s0, 0x60
	v_or_b32_e32 v14, 0x400000, v11
	s_ashr_i32 s1, s0, 31
	v_add3_u32 v13, v13, v11, 0x7fff
	s_lshl_b64 s[0:1], s[0:1], 1
	v_bfe_u32 v15, v10, 16, 1
	s_add_u32 s5, s6, s0
	s_addc_u32 s6, s7, s1
	s_ashr_i32 s3, s2, 31
	v_cmp_u_f32_e32 vcc_lo, v11, v11
	s_lshl_b64 s[0:1], s[2:3], 1
	s_mul_i32 s4, s8, 0x60
	s_add_u32 s2, s5, s0
	s_addc_u32 s3, s6, s1
	s_ashr_i32 s5, s4, 31
	v_lshrrev_b32_e32 v12, 1, v91
	s_lshl_b64 s[0:1], s[4:5], 1
	v_cndmask_b32_e32 v11, v13, v14, vcc_lo
	v_bfe_u32 v13, v9, 16, 1
	v_add3_u32 v14, v15, v10, 0x7fff
	v_or_b32_e32 v15, 0x400000, v10
	v_cmp_u_f32_e32 vcc_lo, v10, v10
	s_add_u32 s0, s2, s0
	s_addc_u32 s1, s3, s1
	global_store_short_d16_hi v12, v11, s[0:1]
	v_add3_u32 v11, v13, v9, 0x7fff
	v_or_b32_e32 v13, 0x400000, v9
	v_cndmask_b32_e32 v10, v14, v15, vcc_lo
	v_bfe_u32 v14, v8, 16, 1
	v_cmp_u_f32_e32 vcc_lo, v9, v9
	global_store_short_d16_hi v12, v10, s[0:1] offset:16
	v_add3_u32 v10, v14, v8, 0x7fff
	v_cndmask_b32_e32 v9, v11, v13, vcc_lo
	v_bfe_u32 v11, v7, 16, 1
	v_or_b32_e32 v13, 0x400000, v8
	v_cmp_u_f32_e32 vcc_lo, v8, v8
	global_store_short_d16_hi v12, v9, s[0:1] offset:32
	v_add3_u32 v9, v11, v7, 0x7fff
	v_or_b32_e32 v11, 0x400000, v7
	v_cndmask_b32_e32 v8, v10, v13, vcc_lo
	v_bfe_u32 v10, v6, 16, 1
	v_cmp_u_f32_e32 vcc_lo, v7, v7
	global_store_short_d16_hi v12, v8, s[0:1] offset:48
	v_add3_u32 v8, v10, v6, 0x7fff
	v_cndmask_b32_e32 v7, v9, v11, vcc_lo
	v_bfe_u32 v9, v5, 16, 1
	v_or_b32_e32 v10, 0x400000, v6
	v_cmp_u_f32_e32 vcc_lo, v6, v6
	global_store_short_d16_hi v12, v7, s[0:1] offset:64
	v_add3_u32 v7, v9, v5, 0x7fff
	v_or_b32_e32 v9, 0x400000, v5
	v_cndmask_b32_e32 v6, v8, v10, vcc_lo
	v_bfe_u32 v8, v4, 16, 1
	v_cmp_u_f32_e32 vcc_lo, v5, v5
	v_or_b32_e32 v10, 0x400000, v2
	global_store_short_d16_hi v12, v6, s[0:1] offset:80
	v_add3_u32 v6, v8, v4, 0x7fff
	v_cndmask_b32_e32 v5, v7, v9, vcc_lo
	v_bfe_u32 v7, v3, 16, 1
	v_or_b32_e32 v8, 0x400000, v4
	v_cmp_u_f32_e32 vcc_lo, v4, v4
	v_or_b32_e32 v9, 0x400000, v1
	global_store_short_d16_hi v12, v5, s[0:1] offset:96
	v_add3_u32 v5, v7, v3, 0x7fff
	v_or_b32_e32 v7, 0x400000, v3
	v_cndmask_b32_e32 v4, v6, v8, vcc_lo
	v_bfe_u32 v6, v0, 16, 1
	v_cmp_u_f32_e32 vcc_lo, v3, v3
	v_bfe_u32 v8, v1, 16, 1
	v_add3_u32 v6, v6, v0, 0x7fff
	v_cndmask_b32_e32 v3, v5, v7, vcc_lo
	v_or_b32_e32 v7, 0x400000, v0
	v_cmp_u_f32_e32 vcc_lo, v0, v0
	v_bfe_u32 v5, v2, 16, 1
	v_add3_u32 v8, v8, v1, 0x7fff
	v_cndmask_b32_e32 v0, v6, v7, vcc_lo
	v_cmp_u_f32_e32 vcc_lo, v1, v1
	v_add3_u32 v5, v5, v2, 0x7fff
	v_cndmask_b32_e32 v1, v8, v9, vcc_lo
	v_cmp_u_f32_e32 vcc_lo, v2, v2
	v_cndmask_b32_e32 v2, v5, v10, vcc_lo
	global_store_short_d16_hi v12, v4, s[0:1] offset:112
	global_store_short_d16_hi v12, v3, s[0:1] offset:128
	;; [unrolled: 1-line block ×5, first 2 shown]
.LBB147_97:
	s_endpgm
.LBB147_98:
	ds_read_b32 v14, v12
	s_waitcnt lgkmcnt(0)
	v_add_f32_e32 v11, v11, v14
	s_or_b32 exec_lo, exec_lo, s0
	s_and_saveexec_b32 s0, vcc_lo
	s_cbranch_execz .LBB147_66
.LBB147_99:
	ds_read_b32 v14, v12 offset:32
	s_waitcnt lgkmcnt(0)
	v_add_f32_e32 v10, v10, v14
	s_or_b32 exec_lo, exec_lo, s0
	s_and_saveexec_b32 s0, vcc_lo
	s_cbranch_execz .LBB147_67
.LBB147_100:
	ds_read_b32 v14, v12 offset:64
	s_waitcnt lgkmcnt(0)
	v_add_f32_e32 v9, v9, v14
	s_or_b32 exec_lo, exec_lo, s0
	s_and_saveexec_b32 s0, vcc_lo
	s_cbranch_execz .LBB147_68
.LBB147_101:
	ds_read_b32 v14, v12 offset:96
	s_waitcnt lgkmcnt(0)
	v_add_f32_e32 v8, v8, v14
	s_or_b32 exec_lo, exec_lo, s0
	s_and_saveexec_b32 s0, vcc_lo
	s_cbranch_execz .LBB147_69
.LBB147_102:
	ds_read_b32 v14, v12 offset:128
	s_waitcnt lgkmcnt(0)
	v_add_f32_e32 v7, v7, v14
	s_or_b32 exec_lo, exec_lo, s0
	s_and_saveexec_b32 s0, vcc_lo
	s_cbranch_execz .LBB147_70
.LBB147_103:
	ds_read_b32 v14, v12 offset:160
	s_waitcnt lgkmcnt(0)
	v_add_f32_e32 v6, v6, v14
	s_or_b32 exec_lo, exec_lo, s0
	s_and_saveexec_b32 s0, vcc_lo
	s_cbranch_execz .LBB147_71
.LBB147_104:
	ds_read_b32 v14, v12 offset:192
	s_waitcnt lgkmcnt(0)
	v_add_f32_e32 v5, v5, v14
	s_or_b32 exec_lo, exec_lo, s0
	s_and_saveexec_b32 s0, vcc_lo
	s_cbranch_execz .LBB147_72
.LBB147_105:
	ds_read_b32 v14, v12 offset:224
	s_waitcnt lgkmcnt(0)
	v_add_f32_e32 v4, v4, v14
	s_or_b32 exec_lo, exec_lo, s0
	s_and_saveexec_b32 s0, vcc_lo
	s_cbranch_execz .LBB147_73
.LBB147_106:
	ds_read_b32 v14, v12 offset:256
	s_waitcnt lgkmcnt(0)
	v_add_f32_e32 v3, v3, v14
	s_or_b32 exec_lo, exec_lo, s0
	s_and_saveexec_b32 s0, vcc_lo
	s_cbranch_execz .LBB147_74
.LBB147_107:
	ds_read_b32 v14, v12 offset:288
	s_waitcnt lgkmcnt(0)
	v_add_f32_e32 v0, v0, v14
	s_or_b32 exec_lo, exec_lo, s0
	s_and_saveexec_b32 s0, vcc_lo
	s_cbranch_execz .LBB147_75
.LBB147_108:
	ds_read_b32 v14, v12 offset:320
	s_waitcnt lgkmcnt(0)
	v_add_f32_e32 v1, v1, v14
	s_or_b32 exec_lo, exec_lo, s0
	s_and_saveexec_b32 s0, vcc_lo
	s_cbranch_execnz .LBB147_76
	s_branch .LBB147_77
.LBB147_109:
	ds_read_b32 v13, v12
	s_waitcnt lgkmcnt(0)
	v_add_f32_e32 v11, v11, v13
	s_or_b32 exec_lo, exec_lo, s0
	s_and_saveexec_b32 s0, vcc_lo
	s_cbranch_execz .LBB147_83
.LBB147_110:
	ds_read_b32 v13, v12 offset:32
	s_waitcnt lgkmcnt(0)
	v_add_f32_e32 v10, v10, v13
	s_or_b32 exec_lo, exec_lo, s0
	s_and_saveexec_b32 s0, vcc_lo
	s_cbranch_execz .LBB147_84
.LBB147_111:
	ds_read_b32 v13, v12 offset:64
	s_waitcnt lgkmcnt(0)
	v_add_f32_e32 v9, v9, v13
	s_or_b32 exec_lo, exec_lo, s0
	s_and_saveexec_b32 s0, vcc_lo
	s_cbranch_execz .LBB147_85
.LBB147_112:
	ds_read_b32 v13, v12 offset:96
	s_waitcnt lgkmcnt(0)
	v_add_f32_e32 v8, v8, v13
	s_or_b32 exec_lo, exec_lo, s0
	s_and_saveexec_b32 s0, vcc_lo
	s_cbranch_execz .LBB147_86
.LBB147_113:
	ds_read_b32 v13, v12 offset:128
	s_waitcnt lgkmcnt(0)
	v_add_f32_e32 v7, v7, v13
	s_or_b32 exec_lo, exec_lo, s0
	s_and_saveexec_b32 s0, vcc_lo
	s_cbranch_execz .LBB147_87
.LBB147_114:
	ds_read_b32 v13, v12 offset:160
	s_waitcnt lgkmcnt(0)
	v_add_f32_e32 v6, v6, v13
	s_or_b32 exec_lo, exec_lo, s0
	s_and_saveexec_b32 s0, vcc_lo
	s_cbranch_execz .LBB147_88
.LBB147_115:
	ds_read_b32 v13, v12 offset:192
	s_waitcnt lgkmcnt(0)
	v_add_f32_e32 v5, v5, v13
	s_or_b32 exec_lo, exec_lo, s0
	s_and_saveexec_b32 s0, vcc_lo
	s_cbranch_execz .LBB147_89
.LBB147_116:
	ds_read_b32 v13, v12 offset:224
	s_waitcnt lgkmcnt(0)
	v_add_f32_e32 v4, v4, v13
	s_or_b32 exec_lo, exec_lo, s0
	s_and_saveexec_b32 s0, vcc_lo
	s_cbranch_execz .LBB147_90
.LBB147_117:
	ds_read_b32 v13, v12 offset:256
	s_waitcnt lgkmcnt(0)
	v_add_f32_e32 v3, v3, v13
	s_or_b32 exec_lo, exec_lo, s0
	s_and_saveexec_b32 s0, vcc_lo
	s_cbranch_execz .LBB147_91
.LBB147_118:
	ds_read_b32 v13, v12 offset:288
	s_waitcnt lgkmcnt(0)
	v_add_f32_e32 v0, v0, v13
	s_or_b32 exec_lo, exec_lo, s0
	s_and_saveexec_b32 s0, vcc_lo
	s_cbranch_execz .LBB147_92
.LBB147_119:
	ds_read_b32 v13, v12 offset:320
	s_waitcnt lgkmcnt(0)
	v_add_f32_e32 v1, v1, v13
	s_or_b32 exec_lo, exec_lo, s0
	s_and_saveexec_b32 s0, vcc_lo
	s_cbranch_execnz .LBB147_93
	s_branch .LBB147_94
	.section	.rodata,"a",@progbits
	.p2align	6, 0x0
	.amdhsa_kernel _ZN4vllm25paged_attention_v1_kernelI14__hip_bfloat16S1_Li96ELi32ELi128ELNS_18Fp8KVCacheDataTypeE0ELb1EEEvPT_PKS3_PKT0_S9_ifPKiSB_iPKfiiiSD_SD_iiiii
		.amdhsa_group_segment_fixed_size 224
		.amdhsa_private_segment_fixed_size 176
		.amdhsa_kernarg_size 384
		.amdhsa_user_sgpr_count 6
		.amdhsa_user_sgpr_private_segment_buffer 1
		.amdhsa_user_sgpr_dispatch_ptr 0
		.amdhsa_user_sgpr_queue_ptr 0
		.amdhsa_user_sgpr_kernarg_segment_ptr 1
		.amdhsa_user_sgpr_dispatch_id 0
		.amdhsa_user_sgpr_flat_scratch_init 0
		.amdhsa_user_sgpr_private_segment_size 0
		.amdhsa_wavefront_size32 1
		.amdhsa_uses_dynamic_stack 0
		.amdhsa_system_sgpr_private_segment_wavefront_offset 1
		.amdhsa_system_sgpr_workgroup_id_x 1
		.amdhsa_system_sgpr_workgroup_id_y 1
		.amdhsa_system_sgpr_workgroup_id_z 1
		.amdhsa_system_sgpr_workgroup_info 0
		.amdhsa_system_vgpr_workitem_id 0
		.amdhsa_next_free_vgpr 128
		.amdhsa_next_free_sgpr 44
		.amdhsa_reserve_vcc 1
		.amdhsa_reserve_flat_scratch 0
		.amdhsa_float_round_mode_32 0
		.amdhsa_float_round_mode_16_64 0
		.amdhsa_float_denorm_mode_32 3
		.amdhsa_float_denorm_mode_16_64 3
		.amdhsa_dx10_clamp 1
		.amdhsa_ieee_mode 1
		.amdhsa_fp16_overflow 0
		.amdhsa_workgroup_processor_mode 1
		.amdhsa_memory_ordered 1
		.amdhsa_forward_progress 1
		.amdhsa_shared_vgpr_count 0
		.amdhsa_exception_fp_ieee_invalid_op 0
		.amdhsa_exception_fp_denorm_src 0
		.amdhsa_exception_fp_ieee_div_zero 0
		.amdhsa_exception_fp_ieee_overflow 0
		.amdhsa_exception_fp_ieee_underflow 0
		.amdhsa_exception_fp_ieee_inexact 0
		.amdhsa_exception_int_div_zero 0
	.end_amdhsa_kernel
	.section	.text._ZN4vllm25paged_attention_v1_kernelI14__hip_bfloat16S1_Li96ELi32ELi128ELNS_18Fp8KVCacheDataTypeE0ELb1EEEvPT_PKS3_PKT0_S9_ifPKiSB_iPKfiiiSD_SD_iiiii,"axG",@progbits,_ZN4vllm25paged_attention_v1_kernelI14__hip_bfloat16S1_Li96ELi32ELi128ELNS_18Fp8KVCacheDataTypeE0ELb1EEEvPT_PKS3_PKT0_S9_ifPKiSB_iPKfiiiSD_SD_iiiii,comdat
.Lfunc_end147:
	.size	_ZN4vllm25paged_attention_v1_kernelI14__hip_bfloat16S1_Li96ELi32ELi128ELNS_18Fp8KVCacheDataTypeE0ELb1EEEvPT_PKS3_PKT0_S9_ifPKiSB_iPKfiiiSD_SD_iiiii, .Lfunc_end147-_ZN4vllm25paged_attention_v1_kernelI14__hip_bfloat16S1_Li96ELi32ELi128ELNS_18Fp8KVCacheDataTypeE0ELb1EEEvPT_PKS3_PKT0_S9_ifPKiSB_iPKfiiiSD_SD_iiiii
                                        ; -- End function
	.set _ZN4vllm25paged_attention_v1_kernelI14__hip_bfloat16S1_Li96ELi32ELi128ELNS_18Fp8KVCacheDataTypeE0ELb1EEEvPT_PKS3_PKT0_S9_ifPKiSB_iPKfiiiSD_SD_iiiii.num_vgpr, 128
	.set _ZN4vllm25paged_attention_v1_kernelI14__hip_bfloat16S1_Li96ELi32ELi128ELNS_18Fp8KVCacheDataTypeE0ELb1EEEvPT_PKS3_PKT0_S9_ifPKiSB_iPKfiiiSD_SD_iiiii.num_agpr, 0
	.set _ZN4vllm25paged_attention_v1_kernelI14__hip_bfloat16S1_Li96ELi32ELi128ELNS_18Fp8KVCacheDataTypeE0ELb1EEEvPT_PKS3_PKT0_S9_ifPKiSB_iPKfiiiSD_SD_iiiii.numbered_sgpr, 44
	.set _ZN4vllm25paged_attention_v1_kernelI14__hip_bfloat16S1_Li96ELi32ELi128ELNS_18Fp8KVCacheDataTypeE0ELb1EEEvPT_PKS3_PKT0_S9_ifPKiSB_iPKfiiiSD_SD_iiiii.num_named_barrier, 0
	.set _ZN4vllm25paged_attention_v1_kernelI14__hip_bfloat16S1_Li96ELi32ELi128ELNS_18Fp8KVCacheDataTypeE0ELb1EEEvPT_PKS3_PKT0_S9_ifPKiSB_iPKfiiiSD_SD_iiiii.private_seg_size, 176
	.set _ZN4vllm25paged_attention_v1_kernelI14__hip_bfloat16S1_Li96ELi32ELi128ELNS_18Fp8KVCacheDataTypeE0ELb1EEEvPT_PKS3_PKT0_S9_ifPKiSB_iPKfiiiSD_SD_iiiii.uses_vcc, 1
	.set _ZN4vllm25paged_attention_v1_kernelI14__hip_bfloat16S1_Li96ELi32ELi128ELNS_18Fp8KVCacheDataTypeE0ELb1EEEvPT_PKS3_PKT0_S9_ifPKiSB_iPKfiiiSD_SD_iiiii.uses_flat_scratch, 0
	.set _ZN4vllm25paged_attention_v1_kernelI14__hip_bfloat16S1_Li96ELi32ELi128ELNS_18Fp8KVCacheDataTypeE0ELb1EEEvPT_PKS3_PKT0_S9_ifPKiSB_iPKfiiiSD_SD_iiiii.has_dyn_sized_stack, 0
	.set _ZN4vllm25paged_attention_v1_kernelI14__hip_bfloat16S1_Li96ELi32ELi128ELNS_18Fp8KVCacheDataTypeE0ELb1EEEvPT_PKS3_PKT0_S9_ifPKiSB_iPKfiiiSD_SD_iiiii.has_recursion, 0
	.set _ZN4vllm25paged_attention_v1_kernelI14__hip_bfloat16S1_Li96ELi32ELi128ELNS_18Fp8KVCacheDataTypeE0ELb1EEEvPT_PKS3_PKT0_S9_ifPKiSB_iPKfiiiSD_SD_iiiii.has_indirect_call, 0
	.section	.AMDGPU.csdata,"",@progbits
; Kernel info:
; codeLenInByte = 16420
; TotalNumSgprs: 46
; NumVgprs: 128
; ScratchSize: 176
; MemoryBound: 0
; FloatMode: 240
; IeeeMode: 1
; LDSByteSize: 224 bytes/workgroup (compile time only)
; SGPRBlocks: 0
; VGPRBlocks: 15
; NumSGPRsForWavesPerEU: 46
; NumVGPRsForWavesPerEU: 128
; Occupancy: 8
; WaveLimiterHint : 1
; COMPUTE_PGM_RSRC2:SCRATCH_EN: 1
; COMPUTE_PGM_RSRC2:USER_SGPR: 6
; COMPUTE_PGM_RSRC2:TRAP_HANDLER: 0
; COMPUTE_PGM_RSRC2:TGID_X_EN: 1
; COMPUTE_PGM_RSRC2:TGID_Y_EN: 1
; COMPUTE_PGM_RSRC2:TGID_Z_EN: 1
; COMPUTE_PGM_RSRC2:TIDIG_COMP_CNT: 0
	.section	.text._ZN4vllm25paged_attention_v1_kernelI14__hip_bfloat16S1_Li112ELi32ELi128ELNS_18Fp8KVCacheDataTypeE0ELb1EEEvPT_PKS3_PKT0_S9_ifPKiSB_iPKfiiiSD_SD_iiiii,"axG",@progbits,_ZN4vllm25paged_attention_v1_kernelI14__hip_bfloat16S1_Li112ELi32ELi128ELNS_18Fp8KVCacheDataTypeE0ELb1EEEvPT_PKS3_PKT0_S9_ifPKiSB_iPKfiiiSD_SD_iiiii,comdat
	.protected	_ZN4vllm25paged_attention_v1_kernelI14__hip_bfloat16S1_Li112ELi32ELi128ELNS_18Fp8KVCacheDataTypeE0ELb1EEEvPT_PKS3_PKT0_S9_ifPKiSB_iPKfiiiSD_SD_iiiii ; -- Begin function _ZN4vllm25paged_attention_v1_kernelI14__hip_bfloat16S1_Li112ELi32ELi128ELNS_18Fp8KVCacheDataTypeE0ELb1EEEvPT_PKS3_PKT0_S9_ifPKiSB_iPKfiiiSD_SD_iiiii
	.globl	_ZN4vllm25paged_attention_v1_kernelI14__hip_bfloat16S1_Li112ELi32ELi128ELNS_18Fp8KVCacheDataTypeE0ELb1EEEvPT_PKS3_PKT0_S9_ifPKiSB_iPKfiiiSD_SD_iiiii
	.p2align	8
	.type	_ZN4vllm25paged_attention_v1_kernelI14__hip_bfloat16S1_Li112ELi32ELi128ELNS_18Fp8KVCacheDataTypeE0ELb1EEEvPT_PKS3_PKT0_S9_ifPKiSB_iPKfiiiSD_SD_iiiii,@function
_ZN4vllm25paged_attention_v1_kernelI14__hip_bfloat16S1_Li112ELi32ELi128ELNS_18Fp8KVCacheDataTypeE0ELb1EEEvPT_PKS3_PKT0_S9_ifPKiSB_iPKfiiiSD_SD_iiiii: ; @_ZN4vllm25paged_attention_v1_kernelI14__hip_bfloat16S1_Li112ELi32ELi128ELNS_18Fp8KVCacheDataTypeE0ELb1EEEvPT_PKS3_PKT0_S9_ifPKiSB_iPKfiiiSD_SD_iiiii
; %bb.0:
	s_mov_b64 s[42:43], s[2:3]
	s_mov_b64 s[40:41], s[0:1]
	s_mov_b32 s10, s7
	s_add_u32 s40, s40, s9
	s_clause 0x2
	s_load_dword s9, s[4:5], 0x80
	s_load_dwordx2 s[0:1], s[4:5], 0x30
	s_load_dwordx2 s[2:3], s[4:5], 0x20
	s_addc_u32 s41, s41, 0
	s_ashr_i32 s11, s7, 31
	v_mov_b32_e32 v101, v0
	s_lshl_b64 s[12:13], s[10:11], 2
	s_mov_b32 s31, 0
	s_waitcnt lgkmcnt(0)
	s_add_u32 s0, s0, s12
	s_addc_u32 s1, s1, s13
	s_abs_i32 s7, s2
	s_abs_i32 s13, s9
	v_cvt_f32_u32_e32 v0, s7
	s_sub_i32 s12, 0, s7
	v_rcp_iflag_f32_e32 v0, v0
	v_mul_f32_e32 v0, 0x4f7ffffe, v0
	v_cvt_u32_f32_e32 v0, v0
	v_readfirstlane_b32 s11, v0
	s_mul_i32 s12, s12, s11
	s_mul_hi_u32 s12, s11, s12
	s_add_i32 s11, s11, s12
	s_xor_b32 s12, s9, s2
	s_mul_hi_u32 s11, s13, s11
	s_ashr_i32 s12, s12, 31
	s_mul_i32 s14, s11, s7
	s_sub_i32 s13, s13, s14
	s_add_i32 s14, s11, 1
	s_sub_i32 s15, s13, s7
	s_cmp_ge_u32 s13, s7
	s_cselect_b32 s11, s14, s11
	s_cselect_b32 s13, s15, s13
	s_add_i32 s14, s11, 1
	s_cmp_ge_u32 s13, s7
	s_cselect_b32 s7, s14, s11
	s_abs_i32 s22, s6
	s_xor_b32 s7, s7, s12
	s_sub_i32 s16, s7, s12
	s_load_dwordx2 s[12:13], s[4:5], 0x40
	s_abs_i32 s11, s16
	v_cvt_f32_u32_e32 v0, s11
	s_sub_i32 s14, 0, s11
	v_rcp_iflag_f32_e32 v0, v0
	v_mul_f32_e32 v0, 0x4f7ffffe, v0
	v_cvt_u32_f32_e32 v0, v0
	v_readfirstlane_b32 s7, v0
	s_mul_i32 s14, s14, s7
	s_mul_hi_u32 s14, s7, s14
	s_add_i32 s7, s7, s14
	s_waitcnt lgkmcnt(0)
	s_cmp_eq_u64 s[12:13], 0
	s_mul_hi_u32 s23, s22, s7
	s_cbranch_scc1 .LBB148_2
; %bb.1:
	s_ashr_i32 s7, s6, 31
	s_lshl_b64 s[14:15], s[6:7], 2
	s_add_u32 s12, s12, s14
	s_addc_u32 s13, s13, s15
	s_load_dword s31, s[12:13], 0x0
.LBB148_2:
	s_load_dword s28, s[0:1], 0x0
	s_load_dwordx4 s[12:15], s[4:5], 0x48
	v_lshlrev_b32_e32 v10, 4, v101
	s_ashr_i32 s0, s6, 31
	s_ashr_i32 s1, s16, 31
	s_mul_i32 s20, s6, 0x70
	s_mov_b32 s7, exec_lo
	v_cmpx_gt_u32_e32 14, v101
	s_cbranch_execz .LBB148_4
; %bb.3:
	s_load_dwordx2 s[16:17], s[4:5], 0x8
	s_waitcnt lgkmcnt(0)
	s_mul_i32 s18, s12, s10
	s_ashr_i32 s19, s18, 31
	s_lshl_b64 s[18:19], s[18:19], 1
	s_add_u32 s12, s16, s18
	s_addc_u32 s15, s17, s19
	s_ashr_i32 s21, s20, 31
	s_lshl_b64 s[16:17], s[20:21], 1
	s_add_u32 s16, s12, s16
	s_addc_u32 s17, s15, s17
	global_load_dwordx4 v[0:3], v10, s[16:17]
	s_waitcnt vmcnt(0)
	ds_write_b128 v10, v[0:3]
.LBB148_4:
	s_or_b32 exec_lo, exec_lo, s7
	s_load_dwordx4 s[16:19], s[4:5], 0x68
	s_mul_i32 s7, s23, s11
	s_xor_b32 s1, s0, s1
	s_sub_i32 s0, s22, s7
	s_add_i32 s7, s23, 1
	s_waitcnt lgkmcnt(0)
	s_sub_i32 s12, s0, s11
	s_cmp_ge_u32 s0, s11
	s_mov_b32 s24, -1
	s_cselect_b32 s7, s7, s23
	s_cselect_b32 s0, s12, s0
	s_add_i32 s12, s7, 1
	s_cmp_ge_u32 s0, s11
	s_load_dword s0, s[4:5], 0x78
	s_cselect_b32 s7, s12, s7
	s_add_i32 s11, s28, -1
	s_xor_b32 s7, s7, s1
	s_waitcnt lgkmcnt(0)
	s_sub_i32 s1, s7, s1
	s_barrier
	buffer_gl0_inv
	s_abs_i32 s12, s19
                                        ; implicit-def: $sgpr29
	v_cvt_f32_u32_e32 v0, s12
	s_sub_i32 s7, 0, s12
	v_rcp_iflag_f32_e32 v0, v0
	v_mul_f32_e32 v0, 0x4f7ffffe, v0
	v_cvt_u32_f32_e32 v0, v0
	v_readfirstlane_b32 s21, v0
	s_mul_i32 s7, s7, s21
	s_mul_hi_u32 s15, s21, s7
	s_abs_i32 s7, s11
	s_add_i32 s21, s21, s15
	s_cmp_lt_i32 s0, 0
	s_mul_hi_u32 s15, s7, s21
	s_cbranch_scc0 .LBB148_6
; %bb.5:
	s_mul_i32 s2, s16, s2
	s_mov_b32 s24, 0
	s_add_i32 s2, s1, s2
	s_mul_i32 s2, s2, s0
	s_sub_i32 s29, 1, s2
.LBB148_6:
	s_load_dwordx2 s[22:23], s[4:5], 0x28
	s_ashr_i32 s2, s11, 31
	s_andn2_b32 vcc_lo, exec_lo, s24
	s_ashr_i32 s19, s19, 31
	s_cbranch_vccnz .LBB148_8
; %bb.7:
	s_mul_i32 s11, s9, s16
	s_add_i32 s6, s11, s6
	s_mul_i32 s0, s6, s0
	s_add_i32 s29, s0, 1
.LBB148_8:
	s_load_dword s0, s[4:5], 0x38
	s_mul_i32 s6, s15, s12
	s_xor_b32 s2, s2, s19
	s_sub_i32 s30, s7, s6
	s_add_i32 s16, s15, 1
	s_clause 0x2
	s_load_dwordx2 s[6:7], s[4:5], 0x0
	s_load_dwordx2 s[26:27], s[4:5], 0x18
	s_load_dword s11, s[4:5], 0x88
	v_lshrrev_b32_e32 v102, 5, v101
	v_and_b32_e32 v0, 31, v101
	v_mov_b32_e32 v76, 0xff7fffff
	v_lshrrev_b32_e32 v14, 3, v101
	s_mul_i32 s14, s1, s14
	v_lshlrev_b32_e32 v69, 5, v102
	v_lshlrev_b32_e32 v15, 2, v0
	buffer_store_dword v0, off, s[40:43], 0 ; 4-byte Folded Spill
	s_waitcnt lgkmcnt(0)
	s_mul_i32 s24, s0, s10
	s_sub_i32 s0, s30, s12
	s_ashr_i32 s25, s24, 31
	s_cmp_ge_u32 s30, s12
	s_cselect_b32 s15, s16, s15
	s_cselect_b32 s0, s0, s30
	s_add_i32 s16, s15, 1
	s_cmp_ge_u32 s0, s12
	s_cselect_b32 s0, s16, s15
	s_add_i32 s15, s28, 31
	s_ashr_i32 s16, s15, 31
	s_lshr_b32 s16, s16, 27
	s_add_i32 s15, s15, s16
	s_ashr_i32 s16, s15, 5
	s_xor_b32 s15, s0, s2
	v_cmp_gt_i32_e64 s0, s16, v102
	s_sub_i32 s30, s15, s2
	s_and_saveexec_b32 s33, s0
	s_cbranch_execz .LBB148_16
; %bb.9:
	v_mov_b32_e32 v1, 0
	buffer_store_dword v10, off, s[40:43], 0 offset:256 ; 4-byte Folded Spill
	buffer_store_dword v101, off, s[40:43], 0 offset:248 ; 4-byte Folded Spill
	s_load_dwordx2 s[34:35], s[4:5], 0x10
	s_ashr_i32 s15, s14, 31
	s_sub_i32 s4, s30, s17
	ds_read_b128 v[2:5], v1
	ds_read_b128 v[6:9], v1 offset:16
	ds_read_b128 v[10:13], v1 offset:32
	s_lshl_b64 s[36:37], s[14:15], 1
	v_mov_b32_e32 v83, v102
	v_cmp_neq_f32_e64 vcc_lo, s31, 0
	v_mov_b32_e32 v76, 0xff7fffff
	v_lshlrev_b32_e32 v82, 5, v83
	s_waitcnt lgkmcnt(0)
	s_add_u32 s1, s34, s36
	v_and_b32_e32 v0, 0xffff0000, v2
	s_addc_u32 s2, s35, s37
	s_abs_i32 s5, s18
	s_lshl_b64 s[36:37], s[24:25], 2
	s_sub_i32 s15, 0, s5
	buffer_store_dword v0, off, s[40:43], 0 offset:4 ; 4-byte Folded Spill
	v_lshlrev_b32_e32 v0, 16, v2
	s_add_u32 s35, s22, s36
	s_addc_u32 s36, s23, s37
	s_mov_b32 s34, s13
	buffer_store_dword v0, off, s[40:43], 0 offset:8 ; 4-byte Folded Spill
	v_and_b32_e32 v0, 0xffff0000, v3
	buffer_store_dword v0, off, s[40:43], 0 offset:12 ; 4-byte Folded Spill
	v_lshlrev_b32_e32 v0, 16, v3
	buffer_store_dword v0, off, s[40:43], 0 offset:16 ; 4-byte Folded Spill
	v_and_b32_e32 v0, 0xffff0000, v4
	buffer_store_dword v0, off, s[40:43], 0 offset:20 ; 4-byte Folded Spill
	v_lshlrev_b32_e32 v0, 16, v4
	;; [unrolled: 4-line block ×3, first 2 shown]
	ds_read_b128 v[2:5], v1 offset:48
	buffer_store_dword v0, off, s[40:43], 0 offset:32 ; 4-byte Folded Spill
	v_and_b32_e32 v0, 0xffff0000, v6
	buffer_store_dword v0, off, s[40:43], 0 offset:36 ; 4-byte Folded Spill
	v_lshlrev_b32_e32 v0, 16, v6
	buffer_store_dword v0, off, s[40:43], 0 offset:40 ; 4-byte Folded Spill
	v_and_b32_e32 v0, 0xffff0000, v7
	buffer_store_dword v0, off, s[40:43], 0 offset:44 ; 4-byte Folded Spill
	v_lshlrev_b32_e32 v0, 16, v7
	;; [unrolled: 4-line block ×8, first 2 shown]
	buffer_store_dword v0, off, s[40:43], 0 offset:96 ; 4-byte Folded Spill
	s_waitcnt lgkmcnt(0)
	v_and_b32_e32 v0, 0xffff0000, v2
	buffer_store_dword v0, off, s[40:43], 0 offset:100 ; 4-byte Folded Spill
	v_lshlrev_b32_e32 v0, 16, v2
	buffer_store_dword v0, off, s[40:43], 0 offset:104 ; 4-byte Folded Spill
	v_and_b32_e32 v0, 0xffff0000, v3
	buffer_store_dword v0, off, s[40:43], 0 offset:108 ; 4-byte Folded Spill
	v_lshlrev_b32_e32 v0, 16, v3
	buffer_store_dword v0, off, s[40:43], 0 offset:112 ; 4-byte Folded Spill
	;; [unrolled: 4-line block ×4, first 2 shown]
	ds_read_b128 v[2:5], v1 offset:64
	ds_read_b128 v[6:9], v1 offset:80
	s_waitcnt lgkmcnt(1)
	v_and_b32_e32 v0, 0xffff0000, v2
	buffer_store_dword v0, off, s[40:43], 0 offset:132 ; 4-byte Folded Spill
	v_lshlrev_b32_e32 v0, 16, v2
	buffer_store_dword v0, off, s[40:43], 0 offset:136 ; 4-byte Folded Spill
	v_and_b32_e32 v0, 0xffff0000, v3
	buffer_store_dword v0, off, s[40:43], 0 offset:140 ; 4-byte Folded Spill
	v_lshlrev_b32_e32 v0, 16, v3
	buffer_store_dword v0, off, s[40:43], 0 offset:144 ; 4-byte Folded Spill
	;; [unrolled: 4-line block ×4, first 2 shown]
	s_waitcnt lgkmcnt(0)
	v_and_b32_e32 v0, 0xffff0000, v6
	buffer_store_dword v0, off, s[40:43], 0 offset:164 ; 4-byte Folded Spill
	v_lshlrev_b32_e32 v0, 16, v6
	buffer_store_dword v0, off, s[40:43], 0 offset:168 ; 4-byte Folded Spill
	v_and_b32_e32 v0, 0xffff0000, v7
	buffer_store_dword v0, off, s[40:43], 0 offset:172 ; 4-byte Folded Spill
	v_lshlrev_b32_e32 v0, 16, v7
	buffer_store_dword v0, off, s[40:43], 0 offset:176 ; 4-byte Folded Spill
	;; [unrolled: 4-line block ×4, first 2 shown]
	ds_read_b128 v[2:5], v1 offset:96
	ds_read_b128 v[6:9], v1 offset:112
	s_waitcnt lgkmcnt(1)
	v_and_b32_e32 v0, 0xffff0000, v2
	s_waitcnt lgkmcnt(0)
	v_lshlrev_b32_e32 v110, 16, v8
	v_and_b32_e32 v111, 0xffff0000, v9
	v_lshlrev_b32_e32 v112, 16, v9
	buffer_store_dword v0, off, s[40:43], 0 offset:196 ; 4-byte Folded Spill
	v_lshlrev_b32_e32 v0, 16, v2
	buffer_store_dword v0, off, s[40:43], 0 offset:200 ; 4-byte Folded Spill
	v_and_b32_e32 v0, 0xffff0000, v3
	buffer_store_dword v0, off, s[40:43], 0 offset:204 ; 4-byte Folded Spill
	v_lshlrev_b32_e32 v0, 16, v3
	buffer_store_dword v0, off, s[40:43], 0 offset:208 ; 4-byte Folded Spill
	v_and_b32_e32 v0, 0xffff0000, v4
	;; [unrolled: 4-line block ×6, first 2 shown]
	buffer_store_dword v0, off, s[40:43], 0 offset:244 ; 4-byte Folded Spill
	ds_read_b128 v[2:5], v1 offset:128
	ds_read_b128 v[6:9], v1 offset:144
	s_waitcnt lgkmcnt(1)
	v_and_b32_e32 v113, 0xffff0000, v2
	v_lshlrev_b32_e32 v114, 16, v2
	v_and_b32_e32 v115, 0xffff0000, v3
	v_lshlrev_b32_e32 v116, 16, v3
	;; [unrolled: 2-line block ×4, first 2 shown]
	s_waitcnt lgkmcnt(0)
	v_and_b32_e32 v121, 0xffff0000, v6
	v_lshlrev_b32_e32 v122, 16, v6
	v_and_b32_e32 v123, 0xffff0000, v7
	v_lshlrev_b32_e32 v124, 16, v7
	;; [unrolled: 2-line block ×4, first 2 shown]
	ds_read_b128 v[2:5], v1 offset:160
	ds_read_b128 v[6:9], v1 offset:176
	s_waitcnt lgkmcnt(1)
	v_and_b32_e32 v43, 0xffff0000, v2
	v_lshlrev_b32_e32 v45, 16, v2
	v_and_b32_e32 v67, 0xffff0000, v3
	v_lshlrev_b32_e32 v68, 16, v3
	v_and_b32_e32 v46, 0xffff0000, v4
	v_lshlrev_b32_e32 v0, 16, v4
	v_and_b32_e32 v47, 0xffff0000, v5
	v_lshlrev_b32_e32 v48, 16, v5
	s_waitcnt lgkmcnt(0)
	v_and_b32_e32 v49, 0xffff0000, v6
	v_lshlrev_b32_e32 v50, 16, v6
	v_and_b32_e32 v51, 0xffff0000, v7
	v_lshlrev_b32_e32 v52, 16, v7
	;; [unrolled: 2-line block ×4, first 2 shown]
	ds_read_b128 v[2:5], v1 offset:192
	ds_read_b128 v[6:9], v1 offset:208
	v_cvt_f32_u32_e32 v1, s5
	buffer_store_dword v14, off, s[40:43], 0 offset:260 ; 4-byte Folded Spill
	buffer_store_dword v15, off, s[40:43], 0 offset:264 ; 4-byte Folded Spill
	buffer_store_dword v83, off, s[40:43], 0 offset:252 ; 4-byte Folded Spill
	v_rcp_iflag_f32_e32 v1, v1
	v_mul_f32_e32 v1, 0x4f7ffffe, v1
	s_waitcnt lgkmcnt(1)
	v_and_b32_e32 v57, 0xffff0000, v2
	v_lshlrev_b32_e32 v58, 16, v2
	v_cvt_u32_f32_e32 v1, v1
	v_and_b32_e32 v59, 0xffff0000, v3
	v_lshlrev_b32_e32 v60, 16, v3
	v_and_b32_e32 v61, 0xffff0000, v4
	v_lshlrev_b32_e32 v62, 16, v4
	v_mul_lo_u32 v2, s15, v1
	v_and_b32_e32 v63, 0xffff0000, v5
	v_lshlrev_b32_e32 v64, 16, v5
	s_waitcnt lgkmcnt(0)
	v_and_b32_e32 v65, 0xffff0000, v6
	v_lshlrev_b32_e32 v66, 16, v6
	v_and_b32_e32 v70, 0xffff0000, v7
	v_lshlrev_b32_e32 v71, 16, v7
	v_and_b32_e32 v72, 0xffff0000, v8
	v_mul_hi_u32 v2, v1, v2
	v_lshlrev_b32_e32 v73, 16, v8
	v_and_b32_e32 v74, 0xffff0000, v9
	v_lshlrev_b32_e32 v75, 16, v9
	s_mov_b32 s15, 0
	v_add_nc_u32_e32 v77, v1, v2
	buffer_load_dword v2, off, s[40:43], 0  ; 4-byte Folded Reload
	v_and_b32_e32 v1, 0x7c, v14
	v_add_co_u32 v41, s35, s35, v1
	v_add_co_ci_u32_e64 v42, null, s36, 0, s35
	s_waitcnt vmcnt(0)
	v_subrev_nc_u32_e32 v1, s28, v2
	v_add_nc_u32_e32 v78, 1, v1
	v_lshl_or_b32 v1, v83, 7, v15
	v_add_nc_u32_e32 v79, 0x100, v1
	v_lshlrev_b32_e32 v1, 4, v2
	v_add_co_u32 v80, s1, s1, v1
	v_add_co_ci_u32_e64 v81, null, s2, 0, s1
	s_branch .LBB148_11
.LBB148_10:                             ;   in Loop: Header=BB148_11 Depth=1
	s_or_b32 exec_lo, exec_lo, s35
	v_add_nc_u32_e32 v83, 4, v83
	v_add_co_u32 v41, s1, v41, 16
	v_add_co_ci_u32_e64 v42, null, 0, v42, s1
	v_cmp_le_i32_e64 s1, s16, v83
	v_add_nc_u32_e32 v82, 0x80, v82
	v_add_nc_u32_e32 v79, 0x200, v79
	s_or_b32 s15, s1, s15
	s_andn2_b32 exec_lo, exec_lo, s15
	s_cbranch_execz .LBB148_15
.LBB148_11:                             ; =>This Inner Loop Header: Depth=1
	v_mul_hi_u32 v1, v82, s21
	v_mul_lo_u32 v2, v1, s12
	v_add_nc_u32_e32 v3, 1, v1
	v_sub_nc_u32_e32 v2, v82, v2
	v_subrev_nc_u32_e32 v4, s12, v2
	v_cmp_le_u32_e64 s1, s12, v2
	v_cndmask_b32_e64 v1, v1, v3, s1
	v_cndmask_b32_e64 v2, v2, v4, s1
	v_add_nc_u32_e32 v3, 1, v1
	v_cmp_le_u32_e64 s1, s12, v2
	v_cndmask_b32_e64 v1, v1, v3, s1
	v_xor_b32_e32 v1, s19, v1
	v_subrev_nc_u32_e32 v1, s19, v1
	v_add_nc_u32_e32 v2, s29, v1
	v_cmp_ge_i32_e64 s2, s4, v1
	v_sub_nc_u32_e32 v3, 0, v2
	v_max_i32_e32 v3, v2, v3
	v_ashrrev_i32_e32 v2, 31, v2
	v_mul_hi_u32 v4, v3, v77
	v_mul_lo_u32 v4, v4, s5
	v_sub_nc_u32_e32 v3, v3, v4
	v_subrev_nc_u32_e32 v4, s5, v3
	v_cmp_le_u32_e64 s1, s5, v3
	v_cndmask_b32_e64 v3, v3, v4, s1
	v_subrev_nc_u32_e32 v4, s5, v3
	v_cmp_le_u32_e64 s1, s5, v3
	v_cndmask_b32_e64 v3, v3, v4, s1
	v_xor_b32_e32 v3, v3, v2
	v_sub_nc_u32_e32 v2, v3, v2
	v_cmp_ne_u32_e64 s1, 0, v2
	s_and_b32 s1, s1, s2
	s_and_saveexec_b32 s2, s1
	s_xor_b32 s1, exec_lo, s2
; %bb.12:                               ;   in Loop: Header=BB148_11 Depth=1
	v_mov_b32_e32 v1, 0xff7fffff
	ds_write_b32 v79, v1
; %bb.13:                               ;   in Loop: Header=BB148_11 Depth=1
	s_andn2_saveexec_b32 s35, s1
	s_cbranch_execz .LBB148_10
; %bb.14:                               ;   in Loop: Header=BB148_11 Depth=1
	global_load_dword v1, v[41:42], off
	buffer_load_dword v2, off, s[40:43], 0  ; 4-byte Folded Reload
	v_add_nc_u32_e32 v4, v78, v82
	v_cvt_f32_i32_e32 v4, v4
	v_mul_f32_e32 v4, s31, v4
	v_cndmask_b32_e32 v84, 0, v4, vcc_lo
	s_waitcnt vmcnt(0)
	v_add_nc_u32_e32 v3, v2, v82
	v_mad_i64_i32 v[1:2], null, v1, s34, 0
	v_lshlrev_b64 v[1:2], 1, v[1:2]
	v_add_co_u32 v1, s1, v80, v1
	v_add_co_ci_u32_e64 v2, null, v81, v2, s1
	v_cmp_gt_i32_e64 s1, s28, v3
	s_clause 0x1
	global_load_dwordx4 v[3:6], v[1:2], off
	global_load_dwordx4 v[7:10], v[1:2], off offset:512
	buffer_load_dword v13, off, s[40:43], 0 offset:40 ; 4-byte Folded Reload
	s_waitcnt vmcnt(2)
	v_lshlrev_b32_e32 v11, 16, v3
	s_waitcnt vmcnt(1)
	v_and_b32_e32 v12, 0xffff0000, v7
	v_lshlrev_b32_e32 v7, 16, v7
	v_and_b32_e32 v3, 0xffff0000, v3
	s_waitcnt vmcnt(0)
	v_mul_f32_e32 v85, v13, v7
	buffer_load_dword v7, off, s[40:43], 0 offset:36 ; 4-byte Folded Reload
	s_waitcnt vmcnt(0)
	v_mul_f32_e32 v86, v7, v12
	buffer_load_dword v7, off, s[40:43], 0 offset:4 ; 4-byte Folded Reload
	s_waitcnt vmcnt(0)
	v_fmac_f32_e32 v86, v7, v3
	buffer_load_dword v3, off, s[40:43], 0 offset:8 ; 4-byte Folded Reload
	v_and_b32_e32 v7, 0xffff0000, v8
	v_lshlrev_b32_e32 v8, 16, v8
	s_waitcnt vmcnt(0)
	v_fmac_f32_e32 v85, v3, v11
	buffer_load_dword v11, off, s[40:43], 0 offset:48 ; 4-byte Folded Reload
	v_lshlrev_b32_e32 v3, 16, v4
	v_and_b32_e32 v4, 0xffff0000, v4
	s_waitcnt vmcnt(0)
	v_mul_f32_e32 v89, v11, v8
	buffer_load_dword v8, off, s[40:43], 0 offset:44 ; 4-byte Folded Reload
	s_waitcnt vmcnt(0)
	v_mul_f32_e32 v87, v8, v7
	s_clause 0x1
	buffer_load_dword v7, off, s[40:43], 0 offset:12
	buffer_load_dword v8, off, s[40:43], 0 offset:56
	s_waitcnt vmcnt(1)
	v_fmac_f32_e32 v87, v7, v4
	buffer_load_dword v4, off, s[40:43], 0 offset:16 ; 4-byte Folded Reload
	v_lshlrev_b32_e32 v7, 16, v9
	s_waitcnt vmcnt(1)
	v_mul_f32_e32 v90, v8, v7
	buffer_load_dword v7, off, s[40:43], 0 offset:52 ; 4-byte Folded Reload
	s_waitcnt vmcnt(1)
	v_fmac_f32_e32 v89, v4, v3
	v_lshlrev_b32_e32 v3, 16, v5
	v_and_b32_e32 v4, 0xffff0000, v5
	v_and_b32_e32 v5, 0xffff0000, v9
	s_waitcnt vmcnt(0)
	v_mul_f32_e32 v88, v7, v5
	s_clause 0x1
	buffer_load_dword v5, off, s[40:43], 0 offset:20
	buffer_load_dword v7, off, s[40:43], 0 offset:64
	s_waitcnt vmcnt(1)
	v_fmac_f32_e32 v88, v5, v4
	buffer_load_dword v4, off, s[40:43], 0 offset:24 ; 4-byte Folded Reload
	v_and_b32_e32 v5, 0xffff0000, v10
	s_waitcnt vmcnt(0)
	v_fmac_f32_e32 v90, v4, v3
	v_lshlrev_b32_e32 v3, 16, v6
	v_and_b32_e32 v4, 0xffff0000, v6
	v_lshlrev_b32_e32 v6, 16, v10
	v_mul_f32_e32 v92, v7, v6
	buffer_load_dword v6, off, s[40:43], 0 offset:60 ; 4-byte Folded Reload
	s_waitcnt vmcnt(0)
	v_mul_f32_e32 v91, v6, v5
	buffer_load_dword v5, off, s[40:43], 0 offset:28 ; 4-byte Folded Reload
	s_waitcnt vmcnt(0)
	v_fmac_f32_e32 v91, v5, v4
	buffer_load_dword v4, off, s[40:43], 0 offset:32 ; 4-byte Folded Reload
	s_waitcnt vmcnt(0)
	v_fmac_f32_e32 v92, v4, v3
	global_load_dwordx4 v[3:6], v[1:2], off offset:1024
	s_waitcnt vmcnt(0)
	v_and_b32_e32 v101, 0xffff0000, v3
	v_lshlrev_b32_e32 v102, 16, v3
	v_and_b32_e32 v103, 0xffff0000, v4
	v_lshlrev_b32_e32 v104, 16, v4
	;; [unrolled: 2-line block ×4, first 2 shown]
	global_load_dwordx4 v[3:6], v[1:2], off offset:1536
	s_waitcnt vmcnt(0)
	v_lshlrev_b32_e32 v105, 16, v3
	v_and_b32_e32 v106, 0xffff0000, v3
	v_add_co_u32 v3, s2, 0x800, v1
	v_lshlrev_b32_e32 v107, 16, v4
	v_and_b32_e32 v108, 0xffff0000, v4
	v_lshlrev_b32_e32 v99, 16, v5
	v_and_b32_e32 v100, 0xffff0000, v5
	v_add_co_ci_u32_e64 v4, null, 0, v2, s2
	v_add_co_u32 v5, s2, v1, 0x1000
	v_lshlrev_b32_e32 v95, 16, v6
	v_and_b32_e32 v96, 0xffff0000, v6
	v_add_co_ci_u32_e64 v6, null, 0, v2, s2
	s_clause 0x3
	global_load_dwordx4 v[37:40], v[5:6], off offset:-2048
	global_load_dwordx4 v[33:36], v[3:4], off offset:512
	global_load_dwordx4 v[29:32], v[3:4], off offset:1024
	;; [unrolled: 1-line block ×3, first 2 shown]
	v_add_co_u32 v3, s2, 0x1000, v1
	v_add_co_ci_u32_e64 v4, null, 0, v2, s2
	v_add_co_u32 v1, s2, 0x1800, v1
	v_add_co_ci_u32_e64 v2, null, 0, v2, s2
	s_clause 0x5
	global_load_dwordx4 v[21:24], v[5:6], off
	global_load_dwordx4 v[17:20], v[3:4], off offset:512
	global_load_dwordx4 v[13:16], v[3:4], off offset:1024
	global_load_dwordx4 v[9:12], v[3:4], off offset:1536
	global_load_dwordx4 v[5:8], v[1:2], off
	global_load_dwordx4 v[1:4], v[1:2], off offset:512
	buffer_load_dword v109, off, s[40:43], 0 offset:72 ; 4-byte Folded Reload
	s_waitcnt vmcnt(0)
	v_fmac_f32_e32 v85, v109, v102
	buffer_load_dword v102, off, s[40:43], 0 offset:68 ; 4-byte Folded Reload
	s_waitcnt vmcnt(0)
	v_fmac_f32_e32 v86, v102, v101
	s_clause 0x1
	buffer_load_dword v101, off, s[40:43], 0 offset:100
	buffer_load_dword v102, off, s[40:43], 0 offset:136
	s_waitcnt vmcnt(1)
	v_fmac_f32_e32 v86, v101, v106
	buffer_load_dword v101, off, s[40:43], 0 offset:104 ; 4-byte Folded Reload
	s_waitcnt vmcnt(0)
	v_fmac_f32_e32 v85, v101, v105
	v_and_b32_e32 v101, 0xffff0000, v37
	v_lshlrev_b32_e32 v37, 16, v37
	v_fmac_f32_e32 v85, v102, v37
	buffer_load_dword v37, off, s[40:43], 0 offset:132 ; 4-byte Folded Reload
	s_waitcnt vmcnt(0)
	v_fmac_f32_e32 v86, v37, v101
	buffer_load_dword v101, off, s[40:43], 0 offset:164 ; 4-byte Folded Reload
	v_lshlrev_b32_e32 v37, 16, v33
	v_and_b32_e32 v33, 0xffff0000, v33
	s_waitcnt vmcnt(0)
	v_fmac_f32_e32 v86, v101, v33
	buffer_load_dword v33, off, s[40:43], 0 offset:168 ; 4-byte Folded Reload
	s_waitcnt vmcnt(0)
	v_fmac_f32_e32 v85, v33, v37
	buffer_load_dword v37, off, s[40:43], 0 offset:200 ; 4-byte Folded Reload
	v_and_b32_e32 v33, 0xffff0000, v29
	v_lshlrev_b32_e32 v29, 16, v29
	s_waitcnt vmcnt(0)
	v_fmac_f32_e32 v85, v37, v29
	buffer_load_dword v29, off, s[40:43], 0 offset:196 ; 4-byte Folded Reload
	s_waitcnt vmcnt(0)
	v_fmac_f32_e32 v86, v29, v33
	buffer_load_dword v33, off, s[40:43], 0 offset:228 ; 4-byte Folded Reload
	v_lshlrev_b32_e32 v29, 16, v25
	v_and_b32_e32 v25, 0xffff0000, v25
	s_waitcnt vmcnt(0)
	v_fmac_f32_e32 v86, v33, v25
	buffer_load_dword v25, off, s[40:43], 0 offset:232 ; 4-byte Folded Reload
	s_waitcnt vmcnt(0)
	v_fmac_f32_e32 v85, v25, v29
	v_and_b32_e32 v25, 0xffff0000, v21
	v_lshlrev_b32_e32 v21, 16, v21
	v_fmac_f32_e32 v86, v113, v25
	v_fmac_f32_e32 v85, v114, v21
	v_lshlrev_b32_e32 v21, 16, v17
	v_and_b32_e32 v17, 0xffff0000, v17
	v_fmac_f32_e32 v85, v122, v21
	v_fmac_f32_e32 v86, v121, v17
	v_and_b32_e32 v17, 0xffff0000, v13
	v_lshlrev_b32_e32 v13, 16, v13
	v_fmac_f32_e32 v86, v43, v17
	v_fmac_f32_e32 v85, v45, v13
	v_lshlrev_b32_e32 v13, 16, v9
	v_and_b32_e32 v9, 0xffff0000, v9
	v_fmac_f32_e32 v85, v50, v13
	v_fmac_f32_e32 v86, v49, v9
	v_and_b32_e32 v9, 0xffff0000, v5
	v_lshlrev_b32_e32 v5, 16, v5
	v_fmac_f32_e32 v86, v57, v9
	v_fmac_f32_e32 v85, v58, v5
	v_lshlrev_b32_e32 v5, 16, v1
	v_and_b32_e32 v1, 0xffff0000, v1
	buffer_load_dword v9, off, s[40:43], 0 offset:144 ; 4-byte Folded Reload
	v_fmac_f32_e32 v85, v66, v5
	v_fmac_f32_e32 v86, v65, v1
	buffer_load_dword v1, off, s[40:43], 0 offset:80 ; 4-byte Folded Reload
	v_lshlrev_b32_e32 v5, 16, v38
	s_waitcnt vmcnt(0)
	v_fmac_f32_e32 v89, v1, v104
	buffer_load_dword v1, off, s[40:43], 0 offset:76 ; 4-byte Folded Reload
	s_waitcnt vmcnt(0)
	v_fmac_f32_e32 v87, v1, v103
	buffer_load_dword v1, off, s[40:43], 0 offset:108 ; 4-byte Folded Reload
	;; [unrolled: 3-line block ×3, first 2 shown]
	s_waitcnt vmcnt(0)
	v_fmac_f32_e32 v89, v1, v107
	v_and_b32_e32 v1, 0xffff0000, v38
	v_fmac_f32_e32 v89, v9, v5
	s_clause 0x1
	buffer_load_dword v5, off, s[40:43], 0 offset:140
	buffer_load_dword v9, off, s[40:43], 0 offset:172
	s_waitcnt vmcnt(1)
	v_fmac_f32_e32 v87, v5, v1
	v_and_b32_e32 v5, 0xffff0000, v34
	v_lshlrev_b32_e32 v1, 16, v34
	s_waitcnt vmcnt(0)
	v_fmac_f32_e32 v87, v9, v5
	s_clause 0x1
	buffer_load_dword v5, off, s[40:43], 0 offset:176
	buffer_load_dword v9, off, s[40:43], 0 offset:208
	s_waitcnt vmcnt(1)
	v_fmac_f32_e32 v89, v5, v1
	v_lshlrev_b32_e32 v5, 16, v30
	v_and_b32_e32 v1, 0xffff0000, v30
	s_waitcnt vmcnt(0)
	v_fmac_f32_e32 v89, v9, v5
	s_clause 0x1
	buffer_load_dword v5, off, s[40:43], 0 offset:204
	buffer_load_dword v9, off, s[40:43], 0 offset:236
	s_waitcnt vmcnt(1)
	v_fmac_f32_e32 v87, v5, v1
	v_and_b32_e32 v5, 0xffff0000, v26
	v_lshlrev_b32_e32 v1, 16, v26
	s_waitcnt vmcnt(0)
	v_fmac_f32_e32 v87, v9, v5
	buffer_load_dword v5, off, s[40:43], 0 offset:240 ; 4-byte Folded Reload
	s_waitcnt vmcnt(0)
	v_fmac_f32_e32 v89, v5, v1
	v_and_b32_e32 v1, 0xffff0000, v22
	v_lshlrev_b32_e32 v5, 16, v22
	v_fmac_f32_e32 v87, v115, v1
	v_fmac_f32_e32 v89, v116, v5
	v_lshlrev_b32_e32 v1, 16, v18
	v_and_b32_e32 v5, 0xffff0000, v18
	v_fmac_f32_e32 v89, v124, v1
	v_fmac_f32_e32 v87, v123, v5
	v_and_b32_e32 v1, 0xffff0000, v14
	v_lshlrev_b32_e32 v5, 16, v14
	v_fmac_f32_e32 v87, v67, v1
	v_fmac_f32_e32 v89, v68, v5
	v_lshlrev_b32_e32 v1, 16, v10
	v_and_b32_e32 v5, 0xffff0000, v10
	v_fmac_f32_e32 v89, v52, v1
	v_fmac_f32_e32 v87, v51, v5
	v_and_b32_e32 v1, 0xffff0000, v6
	v_lshlrev_b32_e32 v5, 16, v6
	v_fmac_f32_e32 v87, v59, v1
	v_fmac_f32_e32 v89, v60, v5
	v_lshlrev_b32_e32 v1, 16, v2
	v_and_b32_e32 v2, 0xffff0000, v2
	buffer_load_dword v5, off, s[40:43], 0 offset:152 ; 4-byte Folded Reload
	v_fmac_f32_e32 v89, v71, v1
	buffer_load_dword v1, off, s[40:43], 0 offset:88 ; 4-byte Folded Reload
	v_fmac_f32_e32 v87, v70, v2
	v_lshlrev_b32_e32 v2, 16, v39
	s_waitcnt vmcnt(0)
	v_fmac_f32_e32 v90, v1, v98
	buffer_load_dword v1, off, s[40:43], 0 offset:84 ; 4-byte Folded Reload
	s_waitcnt vmcnt(0)
	v_fmac_f32_e32 v88, v1, v97
	buffer_load_dword v1, off, s[40:43], 0 offset:116 ; 4-byte Folded Reload
	;; [unrolled: 3-line block ×3, first 2 shown]
	s_waitcnt vmcnt(0)
	v_fmac_f32_e32 v90, v1, v99
	v_and_b32_e32 v1, 0xffff0000, v39
	v_fmac_f32_e32 v90, v5, v2
	s_clause 0x1
	buffer_load_dword v2, off, s[40:43], 0 offset:148
	buffer_load_dword v5, off, s[40:43], 0 offset:180
	s_waitcnt vmcnt(1)
	v_fmac_f32_e32 v88, v2, v1
	v_and_b32_e32 v2, 0xffff0000, v35
	v_lshlrev_b32_e32 v1, 16, v35
	s_waitcnt vmcnt(0)
	v_fmac_f32_e32 v88, v5, v2
	s_clause 0x1
	buffer_load_dword v2, off, s[40:43], 0 offset:184
	buffer_load_dword v5, off, s[40:43], 0 offset:216
	s_waitcnt vmcnt(1)
	v_fmac_f32_e32 v90, v2, v1
	v_lshlrev_b32_e32 v2, 16, v31
	v_and_b32_e32 v1, 0xffff0000, v31
	s_waitcnt vmcnt(0)
	v_fmac_f32_e32 v90, v5, v2
	s_clause 0x1
	buffer_load_dword v2, off, s[40:43], 0 offset:212
	buffer_load_dword v5, off, s[40:43], 0 offset:244
	s_waitcnt vmcnt(1)
	v_fmac_f32_e32 v88, v2, v1
	v_lshlrev_b32_e32 v1, 16, v27
	v_and_b32_e32 v2, 0xffff0000, v27
	v_fmac_f32_e32 v90, v110, v1
	s_waitcnt vmcnt(0)
	v_fmac_f32_e32 v88, v5, v2
	v_and_b32_e32 v1, 0xffff0000, v23
	v_lshlrev_b32_e32 v2, 16, v23
	v_fmac_f32_e32 v88, v117, v1
	v_fmac_f32_e32 v90, v118, v2
	v_lshlrev_b32_e32 v1, 16, v19
	v_and_b32_e32 v2, 0xffff0000, v19
	v_fmac_f32_e32 v90, v126, v1
	v_fmac_f32_e32 v88, v125, v2
	v_and_b32_e32 v1, 0xffff0000, v15
	v_lshlrev_b32_e32 v2, 16, v15
	v_fmac_f32_e32 v88, v46, v1
	v_fmac_f32_e32 v90, v0, v2
	v_lshlrev_b32_e32 v1, 16, v11
	v_and_b32_e32 v2, 0xffff0000, v11
	v_fmac_f32_e32 v90, v54, v1
	v_fmac_f32_e32 v88, v53, v2
	v_and_b32_e32 v1, 0xffff0000, v7
	v_lshlrev_b32_e32 v2, 16, v7
	v_fmac_f32_e32 v88, v61, v1
	v_fmac_f32_e32 v90, v62, v2
	v_lshlrev_b32_e32 v1, 16, v3
	v_and_b32_e32 v2, 0xffff0000, v3
	buffer_load_dword v3, off, s[40:43], 0 offset:160 ; 4-byte Folded Reload
	v_fmac_f32_e32 v90, v73, v1
	buffer_load_dword v1, off, s[40:43], 0 offset:96 ; 4-byte Folded Reload
	v_fmac_f32_e32 v88, v72, v2
	v_lshlrev_b32_e32 v2, 16, v40
	s_waitcnt vmcnt(0)
	v_fmac_f32_e32 v92, v1, v94
	buffer_load_dword v1, off, s[40:43], 0 offset:92 ; 4-byte Folded Reload
	s_waitcnt vmcnt(0)
	v_fmac_f32_e32 v91, v1, v93
	buffer_load_dword v1, off, s[40:43], 0 offset:124 ; 4-byte Folded Reload
	;; [unrolled: 3-line block ×3, first 2 shown]
	s_waitcnt vmcnt(0)
	v_fmac_f32_e32 v92, v1, v95
	v_and_b32_e32 v1, 0xffff0000, v40
	v_fmac_f32_e32 v92, v3, v2
	s_clause 0x1
	buffer_load_dword v2, off, s[40:43], 0 offset:156
	buffer_load_dword v3, off, s[40:43], 0 offset:188
	s_waitcnt vmcnt(1)
	v_fmac_f32_e32 v91, v2, v1
	v_and_b32_e32 v2, 0xffff0000, v36
	v_lshlrev_b32_e32 v1, 16, v36
	s_waitcnt vmcnt(0)
	v_fmac_f32_e32 v91, v3, v2
	s_clause 0x1
	buffer_load_dword v2, off, s[40:43], 0 offset:192
	buffer_load_dword v3, off, s[40:43], 0 offset:224
	s_waitcnt vmcnt(1)
	v_fmac_f32_e32 v92, v2, v1
	v_lshlrev_b32_e32 v2, 16, v32
	v_and_b32_e32 v1, 0xffff0000, v32
	s_waitcnt vmcnt(0)
	v_fmac_f32_e32 v92, v3, v2
	buffer_load_dword v2, off, s[40:43], 0 offset:220 ; 4-byte Folded Reload
	s_waitcnt vmcnt(0)
	v_fmac_f32_e32 v91, v2, v1
	v_lshlrev_b32_e32 v1, 16, v28
	v_and_b32_e32 v2, 0xffff0000, v28
	v_fmac_f32_e32 v92, v112, v1
	v_fmac_f32_e32 v91, v111, v2
	v_and_b32_e32 v1, 0xffff0000, v24
	v_lshlrev_b32_e32 v2, 16, v24
	v_fmac_f32_e32 v91, v119, v1
	v_fmac_f32_e32 v92, v120, v2
	v_lshlrev_b32_e32 v1, 16, v20
	v_and_b32_e32 v2, 0xffff0000, v20
	v_fmac_f32_e32 v92, v44, v1
	v_fmac_f32_e32 v91, v127, v2
	v_and_b32_e32 v1, 0xffff0000, v16
	v_lshlrev_b32_e32 v2, 16, v16
	v_fmac_f32_e32 v91, v47, v1
	;; [unrolled: 8-line block ×3, first 2 shown]
	v_fmac_f32_e32 v92, v64, v2
	v_lshlrev_b32_e32 v1, 16, v4
	v_and_b32_e32 v2, 0xffff0000, v4
	v_fmac_f32_e32 v92, v75, v1
	v_add_f32_e32 v1, v85, v86
	v_fmac_f32_e32 v91, v74, v2
	v_max_f32_e32 v2, v76, v76
	v_add_f32_e32 v1, v1, v89
	v_add_f32_e32 v1, v87, v1
	;; [unrolled: 1-line block ×6, first 2 shown]
	v_fmac_f32_e32 v84, s3, v1
	v_max_f32_e32 v2, v2, v84
	v_cndmask_b32_e64 v1, 0, v84, s1
	v_cndmask_b32_e64 v76, v76, v2, s1
	ds_write_b32 v79, v1
	s_branch .LBB148_10
.LBB148_15:
	s_or_b32 exec_lo, exec_lo, s15
	s_clause 0x4
	buffer_load_dword v101, off, s[40:43], 0 offset:248
	buffer_load_dword v102, off, s[40:43], 0 offset:252
	buffer_load_dword v10, off, s[40:43], 0 offset:256
	buffer_load_dword v14, off, s[40:43], 0 offset:260
	buffer_load_dword v15, off, s[40:43], 0 offset:264
.LBB148_16:
	s_or_b32 exec_lo, exec_lo, s33
	v_mbcnt_lo_u32_b32 v1, -1, 0
	v_max_f32_e32 v4, v76, v76
	v_xor_b32_e32 v0, 16, v1
	v_xor_b32_e32 v3, 8, v1
	v_cmp_gt_i32_e32 vcc_lo, 32, v0
	v_cndmask_b32_e32 v0, v1, v0, vcc_lo
	v_cmp_gt_i32_e32 vcc_lo, 32, v3
	v_lshlrev_b32_e32 v0, 2, v0
	v_cndmask_b32_e32 v3, v1, v3, vcc_lo
	ds_bpermute_b32 v2, v0, v76
	s_waitcnt lgkmcnt(0)
	v_max_f32_e32 v5, v2, v2
	v_lshlrev_b32_e32 v2, 2, v3
	v_max_f32_e32 v4, v4, v5
	v_xor_b32_e32 v5, 4, v1
	ds_bpermute_b32 v3, v2, v4
	v_cmp_gt_i32_e32 vcc_lo, 32, v5
	v_cndmask_b32_e32 v5, v1, v5, vcc_lo
	s_waitcnt lgkmcnt(0)
	v_max_f32_e32 v6, v3, v3
	v_lshlrev_b32_e32 v3, 2, v5
	v_max_f32_e32 v4, v4, v6
	v_xor_b32_e32 v6, 2, v1
	ds_bpermute_b32 v5, v3, v4
	v_cmp_gt_i32_e32 vcc_lo, 32, v6
	v_cndmask_b32_e32 v6, v1, v6, vcc_lo
	v_lshlrev_b32_e32 v71, 2, v6
	v_xor_b32_e32 v6, 1, v1
	v_cmp_gt_i32_e32 vcc_lo, 32, v6
	s_waitcnt lgkmcnt(0)
	v_max_f32_e32 v5, v5, v5
	v_cndmask_b32_e32 v6, v1, v6, vcc_lo
	v_max_f32_e32 v4, v4, v5
	v_lshlrev_b32_e32 v70, 2, v6
	ds_bpermute_b32 v5, v71, v4
	s_waitcnt lgkmcnt(0)
	v_max_f32_e32 v5, v5, v5
	v_max_f32_e32 v1, v4, v5
	buffer_load_dword v4, off, s[40:43], 0  ; 4-byte Folded Reload
	ds_bpermute_b32 v5, v70, v1
	s_waitcnt vmcnt(0)
	v_cmp_eq_u32_e32 vcc_lo, 0, v4
	v_lshlrev_b32_e32 v4, 2, v102
	s_and_saveexec_b32 s1, vcc_lo
	s_cbranch_execz .LBB148_18
; %bb.17:
	s_waitcnt lgkmcnt(0)
	v_max_f32_e32 v5, v5, v5
	v_max_f32_e32 v1, v1, v1
	;; [unrolled: 1-line block ×3, first 2 shown]
	ds_write_b32 v4, v1 offset:224
.LBB148_18:
	s_or_b32 exec_lo, exec_lo, s1
	buffer_load_dword v1, off, s[40:43], 0  ; 4-byte Folded Reload
	s_waitcnt vmcnt(0) lgkmcnt(0)
	s_waitcnt_vscnt null, 0x0
	s_barrier
	buffer_gl0_inv
	v_cmp_gt_u32_e64 s1, 4, v1
	v_mov_b32_e32 v1, 0xff7fffff
	s_and_saveexec_b32 s2, s1
; %bb.19:
	ds_read_b32 v1, v15 offset:224
; %bb.20:
	s_or_b32 exec_lo, exec_lo, s2
	s_waitcnt lgkmcnt(0)
	ds_bpermute_b32 v5, v71, v1
	v_max_f32_e32 v1, v1, v1
	s_lshl_b32 s2, s16, 5
	s_min_i32 s4, s2, s28
	v_cmp_gt_i32_e64 s2, s4, v101
	s_waitcnt lgkmcnt(0)
	v_max_f32_e32 v5, v5, v5
	v_max_f32_e32 v1, v1, v5
	ds_bpermute_b32 v5, v70, v1
	s_waitcnt lgkmcnt(0)
	v_max_f32_e32 v5, v5, v5
	v_max_f32_e32 v1, v1, v5
	v_mov_b32_e32 v5, 0
	ds_bpermute_b32 v6, v5, v1
	v_lshl_add_u32 v1, v101, 2, 0x100
	s_and_saveexec_b32 s5, s2
	s_cbranch_execz .LBB148_24
; %bb.21:
	v_lshl_add_u32 v7, v101, 2, 0x100
	v_mov_b32_e32 v5, 0
	v_mov_b32_e32 v8, v101
	s_mov_b32 s15, 0
	.p2align	6
.LBB148_22:                             ; =>This Inner Loop Header: Depth=1
	ds_read_b32 v9, v7
	v_add_nc_u32_e32 v8, 0x80, v8
	v_cmp_le_i32_e64 s3, s4, v8
	s_or_b32 s15, s3, s15
	s_waitcnt lgkmcnt(0)
	v_sub_f32_e32 v9, v9, v6
	v_mul_f32_e32 v9, 0x3fb8aa3b, v9
	v_exp_f32_e32 v9, v9
	ds_write_b32 v7, v9
	v_add_f32_e32 v5, v5, v9
	v_add_nc_u32_e32 v7, 0x200, v7
	s_andn2_b32 exec_lo, exec_lo, s15
	s_cbranch_execnz .LBB148_22
; %bb.23:
	s_or_b32 exec_lo, exec_lo, s15
.LBB148_24:
	s_or_b32 exec_lo, exec_lo, s5
	ds_bpermute_b32 v0, v0, v5
	s_waitcnt lgkmcnt(0)
	v_add_f32_e32 v0, v5, v0
	ds_bpermute_b32 v2, v2, v0
	s_waitcnt lgkmcnt(0)
	v_add_f32_e32 v0, v0, v2
	;; [unrolled: 3-line block ×5, first 2 shown]
	s_and_saveexec_b32 s3, vcc_lo
; %bb.25:
	ds_write_b32 v4, v0 offset:240
; %bb.26:
	s_or_b32 exec_lo, exec_lo, s3
	s_waitcnt lgkmcnt(0)
	s_barrier
	buffer_gl0_inv
	s_and_saveexec_b32 s3, s1
; %bb.27:
	ds_read_b32 v0, v15 offset:240
; %bb.28:
	s_or_b32 exec_lo, exec_lo, s3
	s_waitcnt lgkmcnt(0)
	ds_bpermute_b32 v2, v71, v0
	s_waitcnt lgkmcnt(0)
	v_add_f32_e32 v0, v0, v2
	ds_bpermute_b32 v2, v70, v0
	s_waitcnt lgkmcnt(0)
	v_add_f32_e32 v0, v0, v2
	v_mov_b32_e32 v2, 0
	ds_bpermute_b32 v0, v2, v0
	s_and_saveexec_b32 s1, s2
	s_cbranch_execz .LBB148_31
; %bb.29:
	s_waitcnt lgkmcnt(0)
	v_add_f32_e32 v0, 0x358637bd, v0
	s_mov_b32 s2, 0
	v_div_scale_f32 v2, null, v0, v0, 1.0
	v_div_scale_f32 v5, vcc_lo, 1.0, v0, 1.0
	v_rcp_f32_e32 v3, v2
	v_fma_f32 v4, -v2, v3, 1.0
	v_fmac_f32_e32 v3, v4, v3
	v_mul_f32_e32 v4, v5, v3
	v_fma_f32 v6, -v2, v4, v5
	v_fmac_f32_e32 v4, v6, v3
	v_fma_f32 v2, -v2, v4, v5
	v_div_fmas_f32 v2, v2, v3, v4
	v_div_fixup_f32 v0, v2, v0, 1.0
	v_mov_b32_e32 v2, v101
.LBB148_30:                             ; =>This Inner Loop Header: Depth=1
	ds_read_b32 v3, v1
	v_add_nc_u32_e32 v2, 0x80, v2
	v_cmp_le_i32_e32 vcc_lo, s4, v2
	s_or_b32 s2, vcc_lo, s2
	s_waitcnt lgkmcnt(0)
	v_mul_f32_e32 v3, v0, v3
	ds_write_b32 v1, v3
	v_add_nc_u32_e32 v1, 0x200, v1
	s_andn2_b32 exec_lo, exec_lo, s2
	s_cbranch_execnz .LBB148_30
.LBB148_31:
	s_or_b32 exec_lo, exec_lo, s1
	v_mov_b32_e32 v85, 0
	v_and_b32_e32 v72, 3, v101
	v_mov_b32_e32 v86, 0
	v_mov_b32_e32 v84, 0
	;; [unrolled: 1-line block ×13, first 2 shown]
	s_waitcnt lgkmcnt(0)
	s_barrier
	buffer_gl0_inv
	s_and_saveexec_b32 s3, s0
	s_cbranch_execz .LBB148_65
; %bb.32:
	s_ashr_i32 s15, s14, 31
	s_sub_i32 s4, s30, s17
	s_lshl_b64 s[0:1], s[14:15], 1
	v_lshlrev_b32_e32 v1, 3, v101
	s_add_u32 s2, s26, s0
	s_addc_u32 s15, s27, s1
	s_abs_i32 s5, s18
	v_lshlrev_b32_e32 v4, 5, v72
	v_cvt_f32_u32_e32 v0, s5
	s_sub_i32 s0, 0, s5
	v_and_b32_e32 v88, 24, v1
	v_and_b32_e32 v2, 0x1f0, v10
	;; [unrolled: 1-line block ×3, first 2 shown]
	v_rcp_iflag_f32_e32 v0, v0
	s_add_i32 s14, s16, -1
	v_lshl_or_b32 v4, v102, 7, v4
	v_add_co_u32 v89, s2, s2, v2
	v_mov_b32_e32 v87, 0
	v_mov_b32_e32 v73, 0
	;; [unrolled: 1-line block ×5, first 2 shown]
	v_mul_f32_e32 v0, 0x4f7ffffe, v0
	v_mov_b32_e32 v77, 0
	v_mov_b32_e32 v78, 0
	;; [unrolled: 1-line block ×4, first 2 shown]
	v_cvt_u32_f32_e32 v0, v0
	v_mov_b32_e32 v81, 0
	v_mov_b32_e32 v82, 0
	v_mov_b32_e32 v83, 0
	v_mov_b32_e32 v84, 0
	v_mul_lo_u32 v1, s0, v0
	s_lshl_b64 s[0:1], s[24:25], 2
	v_mov_b32_e32 v86, 0
	s_add_u32 s0, s22, s0
	s_addc_u32 s1, s23, s1
	v_add_co_u32 v65, s0, s0, v3
	v_mov_b32_e32 v85, 0
	v_mul_hi_u32 v1, v0, v1
	v_add_co_ci_u32_e64 v90, null, s15, 0, s2
	v_add_nc_u32_e32 v91, 0x100, v4
	v_add_co_ci_u32_e64 v66, null, s1, 0, s0
	v_mov_b32_e32 v93, v102
	s_mov_b32 s17, s28
	v_add_nc_u32_e32 v92, v0, v1
	s_mov_b32 s15, 0
	s_branch .LBB148_35
.LBB148_33:                             ;   in Loop: Header=BB148_35 Depth=1
	s_or_b32 exec_lo, exec_lo, s2
	s_waitcnt lgkmcnt(1)
	v_bfe_u32 v0, v45, 16, 1
	v_or_b32_e32 v67, 0x400000, v45
	v_bfe_u32 v68, v46, 16, 1
	v_cmp_u_f32_e32 vcc_lo, v45, v45
	v_bfe_u32 v94, v47, 16, 1
	v_add3_u32 v0, v0, v45, 0x7fff
	v_or_b32_e32 v95, 0x400000, v46
	v_add3_u32 v68, v68, v46, 0x7fff
	v_or_b32_e32 v96, 0x400000, v47
	v_add3_u32 v94, v94, v47, 0x7fff
	v_cndmask_b32_e32 v45, v0, v67, vcc_lo
	v_cmp_u_f32_e32 vcc_lo, v46, v46
	v_bfe_u32 v0, v48, 16, 1
	s_waitcnt lgkmcnt(0)
	v_bfe_u32 v67, v41, 16, 1
	s_waitcnt vmcnt(1)
	v_and_b32_e32 v98, 0xffff0000, v64
	v_and_b32_e32 v45, 0xffff0000, v45
	v_cndmask_b32_e32 v46, v68, v95, vcc_lo
	v_cmp_u_f32_e32 vcc_lo, v47, v47
	v_add3_u32 v0, v0, v48, 0x7fff
	v_or_b32_e32 v68, 0x400000, v48
	v_add3_u32 v67, v67, v41, 0x7fff
	v_bfe_u32 v95, v42, 16, 1
	v_cndmask_b32_e32 v47, v94, v96, vcc_lo
	v_cmp_u_f32_e32 vcc_lo, v48, v48
	v_or_b32_e32 v94, 0x400000, v41
	v_cndmask_b32_e32 v48, v0, v68, vcc_lo
	v_cmp_u_f32_e32 vcc_lo, v41, v41
	v_add3_u32 v41, v95, v42, 0x7fff
	v_or_b32_e32 v68, 0x400000, v42
	v_and_b32_e32 v0, 0xffff0000, v46
	v_and_b32_e32 v46, 0xffff0000, v61
	v_cndmask_b32_e32 v67, v67, v94, vcc_lo
	v_bfe_u32 v94, v43, 16, 1
	v_cmp_u_f32_e32 vcc_lo, v42, v42
	v_mul_f32_e32 v95, v0, v46
	v_lshlrev_b32_e32 v46, 16, v61
	v_cndmask_b32_e32 v42, v41, v68, vcc_lo
	v_add3_u32 v41, v94, v43, 0x7fff
	v_or_b32_e32 v68, 0x400000, v43
	v_bfe_u32 v94, v44, 16, 1
	v_cmp_u_f32_e32 vcc_lo, v43, v43
	v_mul_f32_e32 v96, v45, v46
	v_and_b32_e32 v46, 0xffff0000, v62
	v_and_b32_e32 v42, 0xffff0000, v42
	v_add3_u32 v43, v94, v44, 0x7fff
	v_cndmask_b32_e32 v61, v41, v68, vcc_lo
	v_or_b32_e32 v68, 0x400000, v44
	v_bfe_u32 v94, v95, 16, 1
	v_and_b32_e32 v41, 0xffff0000, v48
	v_cmp_u_f32_e32 vcc_lo, v44, v44
	v_or_b32_e32 v48, 0x400000, v95
	v_add3_u32 v44, v94, v95, 0x7fff
	v_mul_f32_e32 v94, v41, v46
	v_cndmask_b32_e32 v43, v43, v68, vcc_lo
	v_bfe_u32 v68, v96, 16, 1
	v_and_b32_e32 v46, 0xffff0000, v47
	v_lshlrev_b32_e32 v47, 16, v62
	v_cmp_u_f32_e32 vcc_lo, v95, v95
	v_or_b32_e32 v62, 0x400000, v96
	v_and_b32_e32 v43, 0xffff0000, v43
	v_mul_f32_e32 v95, v46, v47
	v_cndmask_b32_e32 v48, v44, v48, vcc_lo
	v_add3_u32 v44, v68, v96, 0x7fff
	v_bfe_u32 v68, v94, 16, 1
	v_and_b32_e32 v47, 0xffff0000, v63
	v_cmp_u_f32_e32 vcc_lo, v96, v96
	v_bfe_u32 v96, v95, 16, 1
	v_lshlrev_b32_e32 v63, 16, v63
	v_and_b32_e32 v48, 0xffff0000, v48
	v_mul_f32_e32 v97, v42, v47
	v_cndmask_b32_e32 v62, v44, v62, vcc_lo
	v_add3_u32 v44, v68, v94, 0x7fff
	v_or_b32_e32 v68, 0x400000, v94
	v_and_b32_e32 v47, 0xffff0000, v67
	v_cmp_u_f32_e32 vcc_lo, v94, v94
	v_or_b32_e32 v94, 0x400000, v95
	v_and_b32_e32 v62, 0xffff0000, v62
	v_mul_f32_e32 v63, v47, v63
	v_cndmask_b32_e32 v67, v44, v68, vcc_lo
	v_add3_u32 v68, v96, v95, 0x7fff
	v_bfe_u32 v96, v97, 16, 1
	v_and_b32_e32 v44, 0xffff0000, v61
	v_lshlrev_b32_e32 v61, 16, v64
	v_cmp_u_f32_e32 vcc_lo, v95, v95
	v_mul_f32_e32 v95, v43, v98
	v_or_b32_e32 v98, 0x400000, v63
	v_and_b32_e32 v67, 0xffff0000, v67
	v_mul_f32_e32 v61, v44, v61
	v_cndmask_b32_e32 v64, v68, v94, vcc_lo
	v_bfe_u32 v68, v63, 16, 1
	v_add3_u32 v94, v96, v97, 0x7fff
	v_or_b32_e32 v96, 0x400000, v97
	v_cmp_u_f32_e32 vcc_lo, v97, v97
	v_bfe_u32 v100, v61, 16, 1
	v_add3_u32 v68, v68, v63, 0x7fff
	v_bfe_u32 v99, v95, 16, 1
	v_or_b32_e32 v97, 0x400000, v61
	v_cndmask_b32_e32 v94, v94, v96, vcc_lo
	v_cmp_u_f32_e32 vcc_lo, v63, v63
	v_add3_u32 v96, v100, v61, 0x7fff
	v_and_b32_e32 v64, 0xffff0000, v64
	v_add_f32_e32 v48, v62, v48
	v_cndmask_b32_e32 v63, v68, v98, vcc_lo
	v_cmp_u_f32_e32 vcc_lo, v61, v61
	v_add3_u32 v68, v99, v95, 0x7fff
	v_or_b32_e32 v98, 0x400000, v95
	v_add_f32_e32 v62, v64, v67
	v_and_b32_e32 v63, 0xffff0000, v63
	v_cndmask_b32_e32 v61, v96, v97, vcc_lo
	v_cmp_u_f32_e32 vcc_lo, v95, v95
	v_and_b32_e32 v64, 0xffff0000, v94
	v_add_f32_e32 v48, v62, v48
	v_and_b32_e32 v61, 0xffff0000, v61
	v_cndmask_b32_e32 v67, v68, v98, vcc_lo
	v_add_f32_e32 v62, v63, v64
	v_and_b32_e32 v64, 0xffff0000, v57
	v_lshlrev_b32_e32 v57, 16, v57
	v_and_b32_e32 v68, 0xffff0000, v60
	v_and_b32_e32 v63, 0xffff0000, v67
	v_add_f32_e32 v48, v62, v48
	v_mul_f32_e32 v62, v0, v64
	v_mul_f32_e32 v57, v45, v57
	v_and_b32_e32 v64, 0xffff0000, v58
	v_add_f32_e32 v61, v61, v63
	v_lshlrev_b32_e32 v58, 16, v58
	v_cmp_u_f32_e32 vcc_lo, v62, v62
	v_bfe_u32 v63, v57, 16, 1
	v_mul_f32_e32 v64, v41, v64
	v_add_f32_e32 v48, v61, v48
	v_bfe_u32 v61, v62, 16, 1
	v_or_b32_e32 v67, 0x400000, v57
	v_add3_u32 v63, v63, v57, 0x7fff
	v_mul_f32_e32 v58, v46, v58
	v_add_f32_e32 v74, v74, v48
	v_add3_u32 v48, v61, v62, 0x7fff
	v_or_b32_e32 v61, 0x400000, v62
	v_and_b32_e32 v62, 0xffff0000, v59
	v_lshlrev_b32_e32 v59, 16, v59
	v_lshlrev_b32_e32 v60, 16, v60
	v_cndmask_b32_e32 v48, v48, v61, vcc_lo
	v_bfe_u32 v61, v64, 16, 1
	v_cmp_u_f32_e32 vcc_lo, v57, v57
	v_mul_f32_e32 v62, v42, v62
	v_mul_f32_e32 v59, v47, v59
	;; [unrolled: 1-line block ×3, first 2 shown]
	v_add3_u32 v61, v61, v64, 0x7fff
	v_cndmask_b32_e32 v57, v63, v67, vcc_lo
	v_or_b32_e32 v63, 0x400000, v64
	v_bfe_u32 v67, v58, 16, 1
	v_cmp_u_f32_e32 vcc_lo, v64, v64
	v_or_b32_e32 v64, 0x400000, v58
	v_bfe_u32 v94, v59, 16, 1
	v_and_b32_e32 v57, 0xffff0000, v57
	v_and_b32_e32 v48, 0xffff0000, v48
	v_cndmask_b32_e32 v61, v61, v63, vcc_lo
	v_add3_u32 v63, v67, v58, 0x7fff
	v_bfe_u32 v67, v62, 16, 1
	v_cmp_u_f32_e32 vcc_lo, v58, v58
	v_add_f32_e32 v48, v57, v48
	v_and_b32_e32 v61, 0xffff0000, v61
	v_cndmask_b32_e32 v58, v63, v64, vcc_lo
	v_add3_u32 v63, v67, v62, 0x7fff
	v_mul_f32_e32 v64, v43, v68
	v_or_b32_e32 v67, 0x400000, v62
	v_cmp_u_f32_e32 vcc_lo, v62, v62
	v_add3_u32 v68, v94, v59, 0x7fff
	v_or_b32_e32 v94, 0x400000, v59
	v_bfe_u32 v95, v64, 16, 1
	v_and_b32_e32 v58, 0xffff0000, v58
	v_cndmask_b32_e32 v62, v63, v67, vcc_lo
	v_cmp_u_f32_e32 vcc_lo, v59, v59
	v_or_b32_e32 v67, 0x400000, v64
	v_add3_u32 v63, v95, v64, 0x7fff
	v_add_f32_e32 v57, v58, v61
	v_and_b32_e32 v61, 0xffff0000, v62
	v_cndmask_b32_e32 v59, v68, v94, vcc_lo
	v_bfe_u32 v68, v60, 16, 1
	v_cmp_u_f32_e32 vcc_lo, v64, v64
	v_add_f32_e32 v48, v57, v48
	v_and_b32_e32 v58, 0xffff0000, v59
	v_add3_u32 v64, v68, v60, 0x7fff
	v_cndmask_b32_e32 v63, v63, v67, vcc_lo
	v_or_b32_e32 v67, 0x400000, v60
	v_and_b32_e32 v59, 0xffff0000, v53
	v_cmp_u_f32_e32 vcc_lo, v60, v60
	v_add_f32_e32 v58, v58, v61
	v_lshlrev_b32_e32 v53, 16, v53
	v_mul_f32_e32 v57, v0, v59
	v_cndmask_b32_e32 v60, v64, v67, vcc_lo
	v_add_f32_e32 v48, v58, v48
	v_mul_f32_e32 v53, v45, v53
	v_and_b32_e32 v58, 0xffff0000, v54
	v_bfe_u32 v61, v57, 16, 1
	v_and_b32_e32 v59, 0xffff0000, v60
	v_and_b32_e32 v60, 0xffff0000, v63
	v_bfe_u32 v62, v53, 16, 1
	v_mul_f32_e32 v58, v41, v58
	v_lshlrev_b32_e32 v54, 16, v54
	v_cmp_u_f32_e32 vcc_lo, v57, v57
	v_add_f32_e32 v59, v59, v60
	v_add3_u32 v60, v61, v57, 0x7fff
	v_or_b32_e32 v61, 0x400000, v57
	v_mul_f32_e32 v54, v46, v54
	v_and_b32_e32 v63, 0xffff0000, v55
	v_lshlrev_b32_e32 v55, 16, v55
	v_and_b32_e32 v64, 0xffff0000, v56
	v_cndmask_b32_e32 v57, v60, v61, vcc_lo
	v_add3_u32 v60, v62, v53, 0x7fff
	v_or_b32_e32 v61, 0x400000, v53
	v_bfe_u32 v62, v58, 16, 1
	v_cmp_u_f32_e32 vcc_lo, v53, v53
	v_mul_f32_e32 v63, v42, v63
	v_mul_f32_e32 v55, v47, v55
	v_lshlrev_b32_e32 v56, 16, v56
	v_and_b32_e32 v57, 0xffff0000, v57
	v_cndmask_b32_e32 v53, v60, v61, vcc_lo
	v_add3_u32 v60, v62, v58, 0x7fff
	v_or_b32_e32 v61, 0x400000, v58
	v_bfe_u32 v62, v54, 16, 1
	v_cmp_u_f32_e32 vcc_lo, v58, v58
	v_mul_f32_e32 v56, v44, v56
	v_or_b32_e32 v67, 0x400000, v55
	v_and_b32_e32 v53, 0xffff0000, v53
	v_add_f32_e32 v48, v59, v48
	v_cndmask_b32_e32 v58, v60, v61, vcc_lo
	v_add3_u32 v60, v62, v54, 0x7fff
	v_or_b32_e32 v61, 0x400000, v54
	v_bfe_u32 v62, v63, 16, 1
	v_cmp_u_f32_e32 vcc_lo, v54, v54
	v_and_b32_e32 v58, 0xffff0000, v58
	v_add_f32_e32 v53, v53, v57
	v_add_f32_e32 v75, v75, v48
	v_cndmask_b32_e32 v54, v60, v61, vcc_lo
	v_bfe_u32 v60, v55, 16, 1
	v_add3_u32 v61, v62, v63, 0x7fff
	v_mul_f32_e32 v62, v43, v64
	v_or_b32_e32 v64, 0x400000, v63
	v_cmp_u_f32_e32 vcc_lo, v63, v63
	v_add3_u32 v60, v60, v55, 0x7fff
	v_bfe_u32 v63, v56, 16, 1
	v_bfe_u32 v68, v62, 16, 1
	v_and_b32_e32 v54, 0xffff0000, v54
	v_cndmask_b32_e32 v61, v61, v64, vcc_lo
	v_cmp_u_f32_e32 vcc_lo, v55, v55
	v_add3_u32 v63, v63, v56, 0x7fff
	v_or_b32_e32 v64, 0x400000, v62
	v_add_f32_e32 v54, v54, v58
	v_and_b32_e32 v57, 0xffff0000, v61
	v_cndmask_b32_e32 v55, v60, v67, vcc_lo
	v_or_b32_e32 v67, 0x400000, v56
	v_cmp_u_f32_e32 vcc_lo, v56, v56
	v_add3_u32 v60, v68, v62, 0x7fff
	v_add_f32_e32 v53, v54, v53
	v_and_b32_e32 v55, 0xffff0000, v55
	v_cndmask_b32_e32 v56, v63, v67, vcc_lo
	v_cmp_u_f32_e32 vcc_lo, v62, v62
	v_add_f32_e32 v54, v55, v57
	v_and_b32_e32 v55, 0xffff0000, v49
	v_and_b32_e32 v56, 0xffff0000, v56
	v_cndmask_b32_e32 v58, v60, v64, vcc_lo
	v_lshlrev_b32_e32 v49, 16, v49
	v_add_f32_e32 v53, v54, v53
	v_mul_f32_e32 v55, v0, v55
	v_and_b32_e32 v57, 0xffff0000, v58
	v_mul_f32_e32 v49, v45, v49
	v_cmp_u_f32_e32 vcc_lo, v55, v55
	v_add_f32_e32 v54, v56, v57
	v_and_b32_e32 v56, 0xffff0000, v50
	v_bfe_u32 v57, v55, 16, 1
	v_bfe_u32 v48, v49, 16, 1
	v_lshlrev_b32_e32 v50, 16, v50
	v_add_f32_e32 v53, v54, v53
	v_mul_f32_e32 v54, v41, v56
	v_add3_u32 v56, v57, v55, 0x7fff
	v_or_b32_e32 v57, 0x400000, v55
	v_add3_u32 v48, v48, v49, 0x7fff
	v_or_b32_e32 v58, 0x400000, v49
	v_bfe_u32 v59, v54, 16, 1
	v_add_f32_e32 v76, v76, v53
	v_cndmask_b32_e32 v55, v56, v57, vcc_lo
	v_cmp_u_f32_e32 vcc_lo, v49, v49
	v_mul_f32_e32 v49, v46, v50
	v_and_b32_e32 v57, 0xffff0000, v51
	v_add3_u32 v50, v59, v54, 0x7fff
	v_or_b32_e32 v56, 0x400000, v54
	v_cndmask_b32_e32 v48, v48, v58, vcc_lo
	v_lshlrev_b32_e32 v51, 16, v51
	v_bfe_u32 v58, v49, 16, 1
	v_cmp_u_f32_e32 vcc_lo, v54, v54
	v_mul_f32_e32 v54, v42, v57
	v_or_b32_e32 v57, 0x400000, v49
	v_mul_f32_e32 v51, v47, v51
	v_and_b32_e32 v48, 0xffff0000, v48
	v_cndmask_b32_e32 v50, v50, v56, vcc_lo
	v_add3_u32 v56, v58, v49, 0x7fff
	v_and_b32_e32 v58, 0xffff0000, v52
	v_bfe_u32 v59, v54, 16, 1
	v_cmp_u_f32_e32 vcc_lo, v49, v49
	v_bfe_u32 v60, v51, 16, 1
	v_lshlrev_b32_e32 v52, 16, v52
	v_and_b32_e32 v55, 0xffff0000, v55
	v_and_b32_e32 v50, 0xffff0000, v50
	v_cndmask_b32_e32 v49, v56, v57, vcc_lo
	v_mul_f32_e32 v56, v43, v58
	v_add3_u32 v57, v59, v54, 0x7fff
	v_or_b32_e32 v58, 0x400000, v54
	v_cmp_u_f32_e32 vcc_lo, v54, v54
	v_add3_u32 v59, v60, v51, 0x7fff
	v_or_b32_e32 v60, 0x400000, v51
	v_bfe_u32 v61, v56, 16, 1
	v_and_b32_e32 v49, 0xffff0000, v49
	v_cndmask_b32_e32 v54, v57, v58, vcc_lo
	v_cmp_u_f32_e32 vcc_lo, v51, v51
	v_or_b32_e32 v58, 0x400000, v56
	v_add3_u32 v57, v61, v56, 0x7fff
	v_mul_f32_e32 v52, v44, v52
	v_add_f32_e32 v48, v48, v55
	v_cndmask_b32_e32 v51, v59, v60, vcc_lo
	v_cmp_u_f32_e32 vcc_lo, v56, v56
	v_add_f32_e32 v49, v49, v50
	v_and_b32_e32 v54, 0xffff0000, v54
	v_and_b32_e32 v50, 0xffff0000, v51
	;; [unrolled: 1-line block ×3, first 2 shown]
	v_cndmask_b32_e32 v56, v57, v58, vcc_lo
	v_bfe_u32 v57, v52, 16, 1
	v_add_f32_e32 v48, v49, v48
	v_add_f32_e32 v50, v50, v54
	v_mul_f32_e32 v49, v0, v51
	v_lshlrev_b32_e32 v37, 16, v37
	v_add3_u32 v55, v57, v52, 0x7fff
	v_or_b32_e32 v57, 0x400000, v52
	v_cmp_u_f32_e32 vcc_lo, v52, v52
	v_bfe_u32 v52, v49, 16, 1
	v_add_f32_e32 v48, v50, v48
	v_mul_f32_e32 v37, v45, v37
	v_and_b32_e32 v50, 0xffff0000, v38
	v_cndmask_b32_e32 v51, v55, v57, vcc_lo
	v_add3_u32 v52, v52, v49, 0x7fff
	v_or_b32_e32 v54, 0x400000, v49
	v_bfe_u32 v55, v37, 16, 1
	v_mul_f32_e32 v50, v41, v50
	v_lshlrev_b32_e32 v38, 16, v38
	v_cmp_u_f32_e32 vcc_lo, v49, v49
	v_and_b32_e32 v57, 0xffff0000, v39
	v_lshlrev_b32_e32 v39, 16, v39
	v_and_b32_e32 v58, 0xffff0000, v40
	v_mul_f32_e32 v38, v46, v38
	v_cndmask_b32_e32 v49, v52, v54, vcc_lo
	v_add3_u32 v52, v55, v37, 0x7fff
	v_or_b32_e32 v54, 0x400000, v37
	v_bfe_u32 v55, v50, 16, 1
	v_cmp_u_f32_e32 vcc_lo, v37, v37
	v_mul_f32_e32 v57, v42, v57
	v_mul_f32_e32 v39, v47, v39
	v_lshlrev_b32_e32 v40, 16, v40
	v_and_b32_e32 v49, 0xffff0000, v49
	v_cndmask_b32_e32 v37, v52, v54, vcc_lo
	v_add3_u32 v52, v55, v50, 0x7fff
	v_or_b32_e32 v54, 0x400000, v50
	v_bfe_u32 v55, v38, 16, 1
	v_cmp_u_f32_e32 vcc_lo, v50, v50
	v_mul_f32_e32 v40, v44, v40
	v_or_b32_e32 v59, 0x400000, v39
	v_and_b32_e32 v37, 0xffff0000, v37
	v_and_b32_e32 v51, 0xffff0000, v51
	v_cndmask_b32_e32 v50, v52, v54, vcc_lo
	v_add3_u32 v52, v55, v38, 0x7fff
	v_or_b32_e32 v54, 0x400000, v38
	v_bfe_u32 v55, v57, 16, 1
	v_cmp_u_f32_e32 vcc_lo, v38, v38
	v_bfe_u32 v61, v40, 16, 1
	v_and_b32_e32 v50, 0xffff0000, v50
	v_add_f32_e32 v37, v37, v49
	v_cndmask_b32_e32 v38, v52, v54, vcc_lo
	v_bfe_u32 v52, v39, 16, 1
	v_add3_u32 v54, v55, v57, 0x7fff
	v_mul_f32_e32 v55, v43, v58
	v_or_b32_e32 v58, 0x400000, v57
	v_cmp_u_f32_e32 vcc_lo, v57, v57
	v_add3_u32 v52, v52, v39, 0x7fff
	v_add3_u32 v57, v61, v40, 0x7fff
	v_bfe_u32 v60, v55, 16, 1
	v_and_b32_e32 v38, 0xffff0000, v38
	v_cndmask_b32_e32 v54, v54, v58, vcc_lo
	v_cmp_u_f32_e32 vcc_lo, v39, v39
	v_or_b32_e32 v58, 0x400000, v40
	v_add_f32_e32 v38, v38, v50
	v_and_b32_e32 v49, 0xffff0000, v54
	v_cndmask_b32_e32 v39, v52, v59, vcc_lo
	v_cmp_u_f32_e32 vcc_lo, v40, v40
	v_add3_u32 v52, v60, v55, 0x7fff
	v_or_b32_e32 v59, 0x400000, v55
	v_add_f32_e32 v37, v38, v37
	v_and_b32_e32 v39, 0xffff0000, v39
	v_cndmask_b32_e32 v40, v57, v58, vcc_lo
	v_cmp_u_f32_e32 vcc_lo, v55, v55
	v_add_f32_e32 v38, v39, v49
	v_and_b32_e32 v39, 0xffff0000, v40
	v_cndmask_b32_e32 v50, v52, v59, vcc_lo
	v_and_b32_e32 v52, 0xffff0000, v56
	v_and_b32_e32 v49, 0xffff0000, v33
	v_lshlrev_b32_e32 v33, 16, v33
	v_add_f32_e32 v37, v38, v37
	v_and_b32_e32 v40, 0xffff0000, v50
	v_add_f32_e32 v50, v51, v52
	v_mul_f32_e32 v33, v45, v33
	v_add_f32_e32 v38, v39, v40
	v_mul_f32_e32 v39, v0, v49
	v_add_f32_e32 v40, v50, v48
	v_and_b32_e32 v48, 0xffff0000, v34
	v_lshlrev_b32_e32 v34, 16, v34
	v_add_f32_e32 v37, v38, v37
	v_bfe_u32 v38, v39, 16, 1
	v_add_f32_e32 v77, v77, v40
	v_bfe_u32 v40, v33, 16, 1
	v_mul_f32_e32 v48, v41, v48
	v_add_f32_e32 v78, v78, v37
	v_add3_u32 v37, v38, v39, 0x7fff
	v_or_b32_e32 v38, 0x400000, v39
	v_cmp_u_f32_e32 vcc_lo, v39, v39
	v_add3_u32 v40, v40, v33, 0x7fff
	v_or_b32_e32 v49, 0x400000, v33
	v_mul_f32_e32 v34, v46, v34
	v_and_b32_e32 v39, 0xffff0000, v35
	v_cndmask_b32_e32 v37, v37, v38, vcc_lo
	v_bfe_u32 v38, v48, 16, 1
	v_cmp_u_f32_e32 vcc_lo, v33, v33
	v_lshlrev_b32_e32 v35, 16, v35
	v_mul_f32_e32 v39, v42, v39
	v_and_b32_e32 v50, 0xffff0000, v36
	v_add3_u32 v38, v38, v48, 0x7fff
	v_cndmask_b32_e32 v33, v40, v49, vcc_lo
	v_or_b32_e32 v40, 0x400000, v48
	v_bfe_u32 v49, v34, 16, 1
	v_cmp_u_f32_e32 vcc_lo, v48, v48
	v_mul_f32_e32 v35, v47, v35
	v_or_b32_e32 v48, 0x400000, v34
	v_lshlrev_b32_e32 v36, 16, v36
	v_and_b32_e32 v33, 0xffff0000, v33
	v_cndmask_b32_e32 v38, v38, v40, vcc_lo
	v_add3_u32 v40, v49, v34, 0x7fff
	v_bfe_u32 v49, v39, 16, 1
	v_cmp_u_f32_e32 vcc_lo, v34, v34
	v_bfe_u32 v51, v35, 16, 1
	v_mul_f32_e32 v36, v44, v36
	v_and_b32_e32 v37, 0xffff0000, v37
	v_and_b32_e32 v38, 0xffff0000, v38
	v_cndmask_b32_e32 v34, v40, v48, vcc_lo
	v_add3_u32 v40, v49, v39, 0x7fff
	v_mul_f32_e32 v48, v43, v50
	v_or_b32_e32 v49, 0x400000, v39
	v_cmp_u_f32_e32 vcc_lo, v39, v39
	v_add3_u32 v50, v51, v35, 0x7fff
	v_or_b32_e32 v51, 0x400000, v35
	v_bfe_u32 v52, v48, 16, 1
	v_and_b32_e32 v34, 0xffff0000, v34
	v_cndmask_b32_e32 v39, v40, v49, vcc_lo
	v_cmp_u_f32_e32 vcc_lo, v35, v35
	v_or_b32_e32 v49, 0x400000, v48
	v_add3_u32 v40, v52, v48, 0x7fff
	v_add_f32_e32 v33, v33, v37
	v_add_f32_e32 v34, v34, v38
	v_cndmask_b32_e32 v35, v50, v51, vcc_lo
	v_bfe_u32 v50, v36, 16, 1
	v_cmp_u_f32_e32 vcc_lo, v48, v48
	v_and_b32_e32 v37, 0xffff0000, v29
	v_and_b32_e32 v38, 0xffff0000, v39
	;; [unrolled: 1-line block ×3, first 2 shown]
	v_add3_u32 v48, v50, v36, 0x7fff
	v_cndmask_b32_e32 v40, v40, v49, vcc_lo
	v_or_b32_e32 v49, 0x400000, v36
	v_cmp_u_f32_e32 vcc_lo, v36, v36
	v_add_f32_e32 v33, v34, v33
	v_mul_f32_e32 v34, v0, v37
	v_add_f32_e32 v35, v35, v38
	v_lshlrev_b32_e32 v29, 16, v29
	v_cndmask_b32_e32 v36, v48, v49, vcc_lo
	v_and_b32_e32 v37, 0xffff0000, v40
	v_bfe_u32 v38, v34, 16, 1
	v_add_f32_e32 v33, v35, v33
	v_mul_f32_e32 v29, v45, v29
	v_and_b32_e32 v36, 0xffff0000, v36
	v_and_b32_e32 v35, 0xffff0000, v30
	v_lshlrev_b32_e32 v30, 16, v30
	v_cmp_u_f32_e32 vcc_lo, v34, v34
	v_bfe_u32 v39, v29, 16, 1
	v_add_f32_e32 v36, v36, v37
	v_add3_u32 v37, v38, v34, 0x7fff
	v_or_b32_e32 v38, 0x400000, v34
	v_mul_f32_e32 v35, v41, v35
	v_mul_f32_e32 v30, v46, v30
	v_and_b32_e32 v40, 0xffff0000, v31
	v_lshlrev_b32_e32 v31, 16, v31
	v_cndmask_b32_e32 v34, v37, v38, vcc_lo
	v_add3_u32 v37, v39, v29, 0x7fff
	v_or_b32_e32 v38, 0x400000, v29
	v_bfe_u32 v39, v35, 16, 1
	v_cmp_u_f32_e32 vcc_lo, v29, v29
	v_mul_f32_e32 v40, v42, v40
	v_mul_f32_e32 v31, v47, v31
	v_and_b32_e32 v48, 0xffff0000, v32
	v_lshlrev_b32_e32 v32, 16, v32
	v_cndmask_b32_e32 v29, v37, v38, vcc_lo
	v_add3_u32 v37, v39, v35, 0x7fff
	v_or_b32_e32 v38, 0x400000, v35
	v_bfe_u32 v39, v30, 16, 1
	v_cmp_u_f32_e32 vcc_lo, v35, v35
	v_mul_f32_e32 v32, v44, v32
	v_or_b32_e32 v49, 0x400000, v31
	v_and_b32_e32 v29, 0xffff0000, v29
	v_and_b32_e32 v34, 0xffff0000, v34
	v_cndmask_b32_e32 v35, v37, v38, vcc_lo
	v_add3_u32 v37, v39, v30, 0x7fff
	v_or_b32_e32 v38, 0x400000, v30
	v_bfe_u32 v39, v40, 16, 1
	v_cmp_u_f32_e32 vcc_lo, v30, v30
	v_and_b32_e32 v35, 0xffff0000, v35
	v_add_f32_e32 v29, v29, v34
	v_add_f32_e32 v33, v36, v33
	v_cndmask_b32_e32 v30, v37, v38, vcc_lo
	v_bfe_u32 v37, v31, 16, 1
	v_add3_u32 v38, v39, v40, 0x7fff
	v_mul_f32_e32 v39, v43, v48
	v_or_b32_e32 v48, 0x400000, v40
	v_cmp_u_f32_e32 vcc_lo, v40, v40
	v_add3_u32 v37, v37, v31, 0x7fff
	v_bfe_u32 v40, v32, 16, 1
	v_bfe_u32 v50, v39, 16, 1
	v_and_b32_e32 v30, 0xffff0000, v30
	v_cndmask_b32_e32 v38, v38, v48, vcc_lo
	v_cmp_u_f32_e32 vcc_lo, v31, v31
	v_add3_u32 v40, v40, v32, 0x7fff
	v_or_b32_e32 v48, 0x400000, v39
	v_add_f32_e32 v30, v30, v35
	v_and_b32_e32 v34, 0xffff0000, v38
	v_cndmask_b32_e32 v31, v37, v49, vcc_lo
	v_or_b32_e32 v49, 0x400000, v32
	v_cmp_u_f32_e32 vcc_lo, v32, v32
	v_add3_u32 v37, v50, v39, 0x7fff
	v_add_f32_e32 v29, v30, v29
	v_and_b32_e32 v31, 0xffff0000, v31
	v_add_f32_e32 v79, v79, v33
	v_cndmask_b32_e32 v32, v40, v49, vcc_lo
	v_cmp_u_f32_e32 vcc_lo, v39, v39
	v_add_f32_e32 v30, v31, v34
	v_and_b32_e32 v31, 0xffff0000, v25
	v_and_b32_e32 v32, 0xffff0000, v32
	v_cndmask_b32_e32 v35, v37, v48, vcc_lo
	v_lshlrev_b32_e32 v25, 16, v25
	v_add_f32_e32 v29, v30, v29
	v_mul_f32_e32 v31, v0, v31
	v_and_b32_e32 v34, 0xffff0000, v35
	v_mul_f32_e32 v25, v45, v25
	v_cmp_u_f32_e32 vcc_lo, v31, v31
	v_add_f32_e32 v30, v32, v34
	v_and_b32_e32 v32, 0xffff0000, v26
	v_bfe_u32 v34, v31, 16, 1
	v_bfe_u32 v33, v25, 16, 1
	v_or_b32_e32 v35, 0x400000, v25
	v_add_f32_e32 v29, v30, v29
	v_mul_f32_e32 v30, v41, v32
	v_add3_u32 v32, v34, v31, 0x7fff
	v_or_b32_e32 v34, 0x400000, v31
	v_add3_u32 v33, v33, v25, 0x7fff
	v_lshlrev_b32_e32 v26, 16, v26
	v_bfe_u32 v36, v30, 16, 1
	v_add_f32_e32 v80, v80, v29
	v_cndmask_b32_e32 v31, v32, v34, vcc_lo
	v_cmp_u_f32_e32 vcc_lo, v25, v25
	v_mul_f32_e32 v26, v46, v26
	v_add3_u32 v32, v36, v30, 0x7fff
	v_and_b32_e32 v34, 0xffff0000, v27
	v_lshlrev_b32_e32 v27, 16, v27
	v_cndmask_b32_e32 v25, v33, v35, vcc_lo
	v_or_b32_e32 v33, 0x400000, v30
	v_cmp_u_f32_e32 vcc_lo, v30, v30
	v_bfe_u32 v35, v26, 16, 1
	v_mul_f32_e32 v27, v47, v27
	v_and_b32_e32 v25, 0xffff0000, v25
	v_and_b32_e32 v31, 0xffff0000, v31
	v_cndmask_b32_e32 v30, v32, v33, vcc_lo
	v_mul_f32_e32 v32, v42, v34
	v_add3_u32 v33, v35, v26, 0x7fff
	v_or_b32_e32 v34, 0x400000, v26
	v_and_b32_e32 v35, 0xffff0000, v28
	v_cmp_u_f32_e32 vcc_lo, v26, v26
	v_bfe_u32 v36, v32, 16, 1
	v_bfe_u32 v37, v27, 16, 1
	v_lshlrev_b32_e32 v28, 16, v28
	v_and_b32_e32 v30, 0xffff0000, v30
	v_cndmask_b32_e32 v26, v33, v34, vcc_lo
	v_mul_f32_e32 v33, v43, v35
	v_add3_u32 v34, v36, v32, 0x7fff
	v_or_b32_e32 v35, 0x400000, v32
	v_cmp_u_f32_e32 vcc_lo, v32, v32
	v_add3_u32 v36, v37, v27, 0x7fff
	v_or_b32_e32 v37, 0x400000, v27
	v_bfe_u32 v38, v33, 16, 1
	v_and_b32_e32 v26, 0xffff0000, v26
	v_cndmask_b32_e32 v32, v34, v35, vcc_lo
	v_cmp_u_f32_e32 vcc_lo, v27, v27
	v_or_b32_e32 v35, 0x400000, v33
	v_add3_u32 v34, v38, v33, 0x7fff
	v_mul_f32_e32 v28, v44, v28
	v_add_f32_e32 v25, v25, v31
	v_cndmask_b32_e32 v27, v36, v37, vcc_lo
	v_cmp_u_f32_e32 vcc_lo, v33, v33
	v_add_f32_e32 v26, v26, v30
	v_and_b32_e32 v30, 0xffff0000, v21
	v_and_b32_e32 v31, 0xffff0000, v32
	;; [unrolled: 1-line block ×3, first 2 shown]
	v_cndmask_b32_e32 v33, v34, v35, vcc_lo
	v_bfe_u32 v34, v28, 16, 1
	v_add_f32_e32 v25, v26, v25
	v_mul_f32_e32 v26, v0, v30
	v_add_f32_e32 v27, v27, v31
	v_lshlrev_b32_e32 v21, 16, v21
	v_add3_u32 v32, v34, v28, 0x7fff
	v_or_b32_e32 v34, 0x400000, v28
	v_cmp_u_f32_e32 vcc_lo, v28, v28
	v_bfe_u32 v30, v26, 16, 1
	v_add_f32_e32 v25, v27, v25
	v_mul_f32_e32 v21, v45, v21
	v_and_b32_e32 v27, 0xffff0000, v22
	v_cndmask_b32_e32 v28, v32, v34, vcc_lo
	v_add3_u32 v30, v30, v26, 0x7fff
	v_or_b32_e32 v31, 0x400000, v26
	v_bfe_u32 v32, v21, 16, 1
	v_mul_f32_e32 v27, v41, v27
	v_lshlrev_b32_e32 v22, 16, v22
	v_cmp_u_f32_e32 vcc_lo, v26, v26
	v_and_b32_e32 v34, 0xffff0000, v23
	v_lshlrev_b32_e32 v23, 16, v23
	v_and_b32_e32 v35, 0xffff0000, v24
	v_mul_f32_e32 v22, v46, v22
	v_cndmask_b32_e32 v26, v30, v31, vcc_lo
	v_add3_u32 v30, v32, v21, 0x7fff
	v_or_b32_e32 v31, 0x400000, v21
	v_bfe_u32 v32, v27, 16, 1
	v_cmp_u_f32_e32 vcc_lo, v21, v21
	v_mul_f32_e32 v34, v42, v34
	v_mul_f32_e32 v23, v47, v23
	v_lshlrev_b32_e32 v24, 16, v24
	v_and_b32_e32 v26, 0xffff0000, v26
	v_cndmask_b32_e32 v21, v30, v31, vcc_lo
	v_add3_u32 v30, v32, v27, 0x7fff
	v_or_b32_e32 v31, 0x400000, v27
	v_bfe_u32 v32, v22, 16, 1
	v_cmp_u_f32_e32 vcc_lo, v27, v27
	v_mul_f32_e32 v24, v44, v24
	v_or_b32_e32 v36, 0x400000, v23
	v_and_b32_e32 v21, 0xffff0000, v21
	v_and_b32_e32 v28, 0xffff0000, v28
	v_cndmask_b32_e32 v27, v30, v31, vcc_lo
	v_add3_u32 v30, v32, v22, 0x7fff
	v_or_b32_e32 v31, 0x400000, v22
	v_bfe_u32 v32, v34, 16, 1
	v_cmp_u_f32_e32 vcc_lo, v22, v22
	v_bfe_u32 v38, v24, 16, 1
	v_and_b32_e32 v27, 0xffff0000, v27
	v_add_f32_e32 v21, v21, v26
	v_cndmask_b32_e32 v22, v30, v31, vcc_lo
	v_bfe_u32 v30, v23, 16, 1
	v_add3_u32 v31, v32, v34, 0x7fff
	v_mul_f32_e32 v32, v43, v35
	v_or_b32_e32 v35, 0x400000, v34
	v_cmp_u_f32_e32 vcc_lo, v34, v34
	v_add3_u32 v30, v30, v23, 0x7fff
	v_add3_u32 v34, v38, v24, 0x7fff
	v_bfe_u32 v37, v32, 16, 1
	v_and_b32_e32 v22, 0xffff0000, v22
	v_cndmask_b32_e32 v31, v31, v35, vcc_lo
	v_cmp_u_f32_e32 vcc_lo, v23, v23
	v_or_b32_e32 v35, 0x400000, v24
	v_add_f32_e32 v22, v22, v27
	v_and_b32_e32 v26, 0xffff0000, v31
	v_cndmask_b32_e32 v23, v30, v36, vcc_lo
	v_cmp_u_f32_e32 vcc_lo, v24, v24
	v_add3_u32 v30, v37, v32, 0x7fff
	v_or_b32_e32 v36, 0x400000, v32
	v_add_f32_e32 v21, v22, v21
	v_and_b32_e32 v23, 0xffff0000, v23
	v_cndmask_b32_e32 v24, v34, v35, vcc_lo
	v_cmp_u_f32_e32 vcc_lo, v32, v32
	v_add_f32_e32 v22, v23, v26
	v_and_b32_e32 v23, 0xffff0000, v24
	v_cndmask_b32_e32 v27, v30, v36, vcc_lo
	v_and_b32_e32 v30, 0xffff0000, v33
	v_and_b32_e32 v26, 0xffff0000, v13
	v_lshlrev_b32_e32 v13, 16, v13
	v_add_f32_e32 v21, v22, v21
	v_and_b32_e32 v24, 0xffff0000, v27
	v_add_f32_e32 v27, v28, v30
	v_mul_f32_e32 v13, v45, v13
	v_add_f32_e32 v22, v23, v24
	v_mul_f32_e32 v23, v0, v26
	v_add_f32_e32 v24, v27, v25
	v_and_b32_e32 v25, 0xffff0000, v14
	v_lshlrev_b32_e32 v14, 16, v14
	v_add_f32_e32 v21, v22, v21
	v_bfe_u32 v22, v23, 16, 1
	v_add_f32_e32 v81, v81, v24
	v_bfe_u32 v24, v13, 16, 1
	v_mul_f32_e32 v25, v41, v25
	v_add_f32_e32 v82, v82, v21
	v_add3_u32 v21, v22, v23, 0x7fff
	v_or_b32_e32 v22, 0x400000, v23
	v_cmp_u_f32_e32 vcc_lo, v23, v23
	v_add3_u32 v24, v24, v13, 0x7fff
	v_or_b32_e32 v26, 0x400000, v13
	v_mul_f32_e32 v14, v46, v14
	v_and_b32_e32 v23, 0xffff0000, v15
	v_cndmask_b32_e32 v21, v21, v22, vcc_lo
	v_bfe_u32 v22, v25, 16, 1
	v_cmp_u_f32_e32 vcc_lo, v13, v13
	v_lshlrev_b32_e32 v15, 16, v15
	v_mul_f32_e32 v23, v42, v23
	v_and_b32_e32 v27, 0xffff0000, v16
	v_add3_u32 v22, v22, v25, 0x7fff
	v_cndmask_b32_e32 v13, v24, v26, vcc_lo
	v_or_b32_e32 v24, 0x400000, v25
	v_bfe_u32 v26, v14, 16, 1
	v_cmp_u_f32_e32 vcc_lo, v25, v25
	v_mul_f32_e32 v15, v47, v15
	v_or_b32_e32 v25, 0x400000, v14
	v_lshlrev_b32_e32 v16, 16, v16
	v_and_b32_e32 v13, 0xffff0000, v13
	v_cndmask_b32_e32 v22, v22, v24, vcc_lo
	v_add3_u32 v24, v26, v14, 0x7fff
	v_bfe_u32 v26, v23, 16, 1
	v_cmp_u_f32_e32 vcc_lo, v14, v14
	v_bfe_u32 v28, v15, 16, 1
	v_mul_f32_e32 v16, v44, v16
	v_and_b32_e32 v21, 0xffff0000, v21
	v_and_b32_e32 v22, 0xffff0000, v22
	v_cndmask_b32_e32 v14, v24, v25, vcc_lo
	v_add3_u32 v24, v26, v23, 0x7fff
	v_mul_f32_e32 v25, v43, v27
	v_or_b32_e32 v26, 0x400000, v23
	v_cmp_u_f32_e32 vcc_lo, v23, v23
	v_add3_u32 v27, v28, v15, 0x7fff
	v_or_b32_e32 v28, 0x400000, v15
	v_bfe_u32 v29, v25, 16, 1
	v_and_b32_e32 v14, 0xffff0000, v14
	v_cndmask_b32_e32 v23, v24, v26, vcc_lo
	v_cmp_u_f32_e32 vcc_lo, v15, v15
	v_or_b32_e32 v26, 0x400000, v25
	v_add3_u32 v24, v29, v25, 0x7fff
	v_add_f32_e32 v13, v13, v21
	v_add_f32_e32 v14, v14, v22
	v_cndmask_b32_e32 v15, v27, v28, vcc_lo
	v_bfe_u32 v27, v16, 16, 1
	v_cmp_u_f32_e32 vcc_lo, v25, v25
	v_and_b32_e32 v22, 0xffff0000, v9
	v_and_b32_e32 v21, 0xffff0000, v23
	;; [unrolled: 1-line block ×3, first 2 shown]
	v_add3_u32 v25, v27, v16, 0x7fff
	v_cndmask_b32_e32 v24, v24, v26, vcc_lo
	v_or_b32_e32 v26, 0x400000, v16
	v_cmp_u_f32_e32 vcc_lo, v16, v16
	v_lshlrev_b32_e32 v9, 16, v9
	v_add_f32_e32 v13, v14, v13
	v_mul_f32_e32 v14, v0, v22
	v_add_f32_e32 v15, v15, v21
	v_cndmask_b32_e32 v16, v25, v26, vcc_lo
	v_mul_f32_e32 v21, v45, v9
	v_and_b32_e32 v22, 0xffff0000, v24
	v_bfe_u32 v23, v14, 16, 1
	v_and_b32_e32 v24, 0xffff0000, v10
	v_and_b32_e32 v16, 0xffff0000, v16
	v_add_f32_e32 v9, v15, v13
	v_bfe_u32 v15, v21, 16, 1
	v_lshlrev_b32_e32 v10, 16, v10
	v_cmp_u_f32_e32 vcc_lo, v14, v14
	v_add_f32_e32 v13, v16, v22
	v_add3_u32 v16, v23, v14, 0x7fff
	v_or_b32_e32 v22, 0x400000, v14
	v_mul_f32_e32 v23, v41, v24
	v_add3_u32 v15, v15, v21, 0x7fff
	v_or_b32_e32 v24, 0x400000, v21
	v_mul_f32_e32 v10, v46, v10
	v_cndmask_b32_e32 v14, v16, v22, vcc_lo
	v_bfe_u32 v16, v23, 16, 1
	v_cmp_u_f32_e32 vcc_lo, v21, v21
	v_and_b32_e32 v21, 0xffff0000, v11
	v_or_b32_e32 v22, 0x400000, v23
	v_lshlrev_b32_e32 v11, 16, v11
	v_add3_u32 v16, v16, v23, 0x7fff
	v_cndmask_b32_e32 v15, v15, v24, vcc_lo
	v_bfe_u32 v24, v10, 16, 1
	v_mul_f32_e32 v21, v42, v21
	v_cmp_u_f32_e32 vcc_lo, v23, v23
	v_mul_f32_e32 v11, v47, v11
	v_or_b32_e32 v23, 0x400000, v10
	v_and_b32_e32 v25, 0xffff0000, v12
	v_lshlrev_b32_e32 v12, 16, v12
	v_cndmask_b32_e32 v16, v16, v22, vcc_lo
	v_add3_u32 v22, v24, v10, 0x7fff
	v_bfe_u32 v24, v21, 16, 1
	v_cmp_u_f32_e32 vcc_lo, v10, v10
	v_bfe_u32 v26, v11, 16, 1
	v_mul_f32_e32 v12, v44, v12
	v_and_b32_e32 v15, 0xffff0000, v15
	v_and_b32_e32 v14, 0xffff0000, v14
	v_cndmask_b32_e32 v10, v22, v23, vcc_lo
	v_add3_u32 v22, v24, v21, 0x7fff
	v_mul_f32_e32 v23, v43, v25
	v_or_b32_e32 v24, 0x400000, v21
	v_cmp_u_f32_e32 vcc_lo, v21, v21
	v_add3_u32 v25, v26, v11, 0x7fff
	v_or_b32_e32 v26, 0x400000, v11
	v_bfe_u32 v27, v23, 16, 1
	v_and_b32_e32 v10, 0xffff0000, v10
	v_cndmask_b32_e32 v21, v22, v24, vcc_lo
	v_cmp_u_f32_e32 vcc_lo, v11, v11
	v_or_b32_e32 v24, 0x400000, v23
	v_add3_u32 v22, v27, v23, 0x7fff
	v_and_b32_e32 v16, 0xffff0000, v16
	v_add_f32_e32 v14, v15, v14
	v_cndmask_b32_e32 v11, v25, v26, vcc_lo
	v_bfe_u32 v25, v12, 16, 1
	v_cmp_u_f32_e32 vcc_lo, v23, v23
	v_add_f32_e32 v10, v10, v16
	v_and_b32_e32 v16, 0xffff0000, v5
	v_and_b32_e32 v11, 0xffff0000, v11
	v_add3_u32 v23, v25, v12, 0x7fff
	v_cndmask_b32_e32 v22, v22, v24, vcc_lo
	v_or_b32_e32 v24, 0x400000, v12
	v_cmp_u_f32_e32 vcc_lo, v12, v12
	v_and_b32_e32 v15, 0xffff0000, v21
	v_lshlrev_b32_e32 v5, 16, v5
	v_add_f32_e32 v10, v10, v14
	v_mul_f32_e32 v14, v0, v16
	v_cndmask_b32_e32 v12, v23, v24, vcc_lo
	v_add_f32_e32 v11, v11, v15
	v_mul_f32_e32 v15, v45, v5
	v_and_b32_e32 v16, 0xffff0000, v22
	v_and_b32_e32 v21, 0xffff0000, v6
	;; [unrolled: 1-line block ×3, first 2 shown]
	v_bfe_u32 v22, v14, 16, 1
	v_add_f32_e32 v5, v11, v10
	v_bfe_u32 v11, v15, 16, 1
	v_cmp_u_f32_e32 vcc_lo, v14, v14
	v_add_f32_e32 v10, v12, v16
	v_mul_f32_e32 v12, v41, v21
	v_add3_u32 v16, v22, v14, 0x7fff
	v_or_b32_e32 v21, 0x400000, v14
	v_add3_u32 v11, v11, v15, 0x7fff
	v_or_b32_e32 v22, 0x400000, v15
	v_bfe_u32 v23, v12, 16, 1
	v_lshlrev_b32_e32 v6, 16, v6
	v_cndmask_b32_e32 v14, v16, v21, vcc_lo
	v_cmp_u_f32_e32 vcc_lo, v15, v15
	v_or_b32_e32 v16, 0x400000, v12
	v_add3_u32 v15, v23, v12, 0x7fff
	v_mul_f32_e32 v6, v46, v6
	v_and_b32_e32 v21, 0xffff0000, v7
	v_cndmask_b32_e32 v11, v11, v22, vcc_lo
	v_cmp_u_f32_e32 vcc_lo, v12, v12
	v_lshlrev_b32_e32 v7, 16, v7
	v_bfe_u32 v22, v6, 16, 1
	v_and_b32_e32 v14, 0xffff0000, v14
	v_and_b32_e32 v11, 0xffff0000, v11
	v_cndmask_b32_e32 v12, v15, v16, vcc_lo
	v_mul_f32_e32 v15, v42, v21
	v_mul_f32_e32 v7, v47, v7
	v_add3_u32 v16, v22, v6, 0x7fff
	v_or_b32_e32 v21, 0x400000, v6
	v_and_b32_e32 v22, 0xffff0000, v8
	v_bfe_u32 v23, v15, 16, 1
	v_cmp_u_f32_e32 vcc_lo, v6, v6
	v_bfe_u32 v24, v7, 16, 1
	v_lshlrev_b32_e32 v8, 16, v8
	v_and_b32_e32 v12, 0xffff0000, v12
	v_add_f32_e32 v11, v11, v14
	v_cndmask_b32_e32 v6, v16, v21, vcc_lo
	v_mul_f32_e32 v16, v43, v22
	v_add3_u32 v21, v23, v15, 0x7fff
	v_or_b32_e32 v22, 0x400000, v15
	v_cmp_u_f32_e32 vcc_lo, v15, v15
	v_add3_u32 v23, v24, v7, 0x7fff
	v_or_b32_e32 v24, 0x400000, v7
	v_bfe_u32 v25, v16, 16, 1
	v_and_b32_e32 v6, 0xffff0000, v6
	v_cndmask_b32_e32 v15, v21, v22, vcc_lo
	v_cmp_u_f32_e32 vcc_lo, v7, v7
	v_or_b32_e32 v22, 0x400000, v16
	v_add3_u32 v21, v25, v16, 0x7fff
	v_mul_f32_e32 v8, v44, v8
	v_add_f32_e32 v6, v6, v12
	v_cndmask_b32_e32 v7, v23, v24, vcc_lo
	v_cmp_u_f32_e32 vcc_lo, v16, v16
	v_and_b32_e32 v12, 0xffff0000, v1
	v_and_b32_e32 v14, 0xffff0000, v15
	v_add_f32_e32 v6, v6, v11
	v_and_b32_e32 v7, 0xffff0000, v7
	v_cndmask_b32_e32 v16, v21, v22, vcc_lo
	v_bfe_u32 v21, v8, 16, 1
	v_mul_f32_e32 v11, v0, v12
	v_lshlrev_b32_e32 v1, 16, v1
	v_add_f32_e32 v7, v7, v14
	v_cmp_u_f32_e32 vcc_lo, v8, v8
	v_add3_u32 v15, v21, v8, 0x7fff
	v_or_b32_e32 v21, 0x400000, v8
	v_bfe_u32 v12, v11, 16, 1
	v_add_f32_e32 v6, v7, v6
	v_and_b32_e32 v7, 0xffff0000, v2
	v_mul_f32_e32 v1, v45, v1
	v_cndmask_b32_e32 v8, v15, v21, vcc_lo
	v_add3_u32 v12, v12, v11, 0x7fff
	v_or_b32_e32 v14, 0x400000, v11
	v_mul_f32_e32 v7, v41, v7
	v_and_b32_e32 v15, 0xffff0000, v16
	v_bfe_u32 v16, v1, 16, 1
	v_cmp_u_f32_e32 vcc_lo, v11, v11
	v_lshlrev_b32_e32 v2, 16, v2
	v_or_b32_e32 v21, 0x400000, v1
	v_or_b32_e32 v22, 0x400000, v7
	v_and_b32_e32 v8, 0xffff0000, v8
	v_cndmask_b32_e32 v11, v12, v14, vcc_lo
	v_bfe_u32 v12, v7, 16, 1
	v_add3_u32 v14, v16, v1, 0x7fff
	v_and_b32_e32 v16, 0xffff0000, v3
	v_mul_f32_e32 v2, v46, v2
	v_cmp_u_f32_e32 vcc_lo, v1, v1
	v_add3_u32 v12, v12, v7, 0x7fff
	v_lshlrev_b32_e32 v3, 16, v3
	v_mul_f32_e32 v16, v42, v16
	v_and_b32_e32 v11, 0xffff0000, v11
	v_cndmask_b32_e32 v1, v14, v21, vcc_lo
	v_bfe_u32 v14, v2, 16, 1
	v_cmp_u_f32_e32 vcc_lo, v7, v7
	v_and_b32_e32 v21, 0xffff0000, v4
	v_mul_f32_e32 v3, v47, v3
	v_or_b32_e32 v23, 0x400000, v16
	v_add3_u32 v14, v14, v2, 0x7fff
	v_cndmask_b32_e32 v7, v12, v22, vcc_lo
	v_bfe_u32 v12, v16, 16, 1
	v_or_b32_e32 v22, 0x400000, v2
	v_cmp_u_f32_e32 vcc_lo, v2, v2
	v_mul_f32_e32 v21, v43, v21
	v_lshlrev_b32_e32 v4, 16, v4
	v_add3_u32 v12, v12, v16, 0x7fff
	v_and_b32_e32 v1, 0xffff0000, v1
	v_cndmask_b32_e32 v2, v14, v22, vcc_lo
	v_bfe_u32 v14, v3, 16, 1
	v_cmp_u_f32_e32 vcc_lo, v16, v16
	v_bfe_u32 v22, v21, 16, 1
	v_or_b32_e32 v16, 0x400000, v3
	v_mul_f32_e32 v4, v44, v4
	v_add3_u32 v14, v14, v3, 0x7fff
	v_cndmask_b32_e32 v12, v12, v23, vcc_lo
	v_cmp_u_f32_e32 vcc_lo, v3, v3
	v_add3_u32 v22, v22, v21, 0x7fff
	v_or_b32_e32 v23, 0x400000, v21
	v_and_b32_e32 v2, 0xffff0000, v2
	v_and_b32_e32 v7, 0xffff0000, v7
	v_cndmask_b32_e32 v3, v14, v16, vcc_lo
	v_cmp_u_f32_e32 vcc_lo, v21, v21
	v_bfe_u32 v16, v4, 16, 1
	v_add_f32_e32 v1, v1, v11
	v_add_f32_e32 v2, v2, v7
	v_and_b32_e32 v3, 0xffff0000, v3
	v_cndmask_b32_e32 v14, v22, v23, vcc_lo
	s_waitcnt vmcnt(0)
	v_lshlrev_b32_e32 v22, 16, v17
	v_and_b32_e32 v7, 0xffff0000, v12
	v_and_b32_e32 v12, 0xffff0000, v17
	v_add3_u32 v16, v16, v4, 0x7fff
	v_or_b32_e32 v21, 0x400000, v4
	v_mul_f32_e32 v11, v45, v22
	v_cmp_u_f32_e32 vcc_lo, v4, v4
	v_add_f32_e32 v1, v2, v1
	v_add_f32_e32 v3, v3, v7
	v_mul_f32_e32 v0, v0, v12
	v_bfe_u32 v2, v11, 16, 1
	v_lshlrev_b32_e32 v7, 16, v18
	v_cndmask_b32_e32 v4, v16, v21, vcc_lo
	v_or_b32_e32 v12, 0x400000, v11
	v_bfe_u32 v16, v0, 16, 1
	v_add3_u32 v2, v2, v11, 0x7fff
	v_mul_f32_e32 v7, v46, v7
	v_and_b32_e32 v17, 0xffff0000, v18
	v_cmp_u_f32_e32 vcc_lo, v11, v11
	v_add3_u32 v11, v16, v0, 0x7fff
	v_lshlrev_b32_e32 v18, 16, v19
	v_bfe_u32 v16, v7, 16, 1
	v_mul_f32_e32 v17, v41, v17
	v_cndmask_b32_e32 v2, v2, v12, vcc_lo
	v_or_b32_e32 v12, 0x400000, v0
	v_cmp_u_f32_e32 vcc_lo, v0, v0
	v_mul_f32_e32 v18, v47, v18
	v_and_b32_e32 v19, 0xffff0000, v19
	v_lshlrev_b32_e32 v21, 16, v20
	v_and_b32_e32 v20, 0xffff0000, v20
	v_cndmask_b32_e32 v0, v11, v12, vcc_lo
	v_add3_u32 v11, v16, v7, 0x7fff
	v_or_b32_e32 v12, 0x400000, v7
	v_bfe_u32 v16, v17, 16, 1
	v_cmp_u_f32_e32 vcc_lo, v7, v7
	v_mul_f32_e32 v19, v42, v19
	v_mul_f32_e32 v20, v43, v20
	v_and_b32_e32 v0, 0xffff0000, v0
	v_and_b32_e32 v2, 0xffff0000, v2
	v_cndmask_b32_e32 v7, v11, v12, vcc_lo
	v_add3_u32 v11, v16, v17, 0x7fff
	v_or_b32_e32 v12, 0x400000, v17
	v_bfe_u32 v16, v18, 16, 1
	v_cmp_u_f32_e32 vcc_lo, v17, v17
	v_mul_f32_e32 v17, v44, v21
	v_or_b32_e32 v21, 0x400000, v18
	v_or_b32_e32 v22, 0x400000, v19
	v_add3_u32 v16, v16, v18, 0x7fff
	v_cndmask_b32_e32 v11, v11, v12, vcc_lo
	v_bfe_u32 v12, v19, 16, 1
	v_cmp_u_f32_e32 vcc_lo, v18, v18
	v_bfe_u32 v24, v20, 16, 1
	v_bfe_u32 v23, v17, 16, 1
	v_and_b32_e32 v11, 0xffff0000, v11
	v_add3_u32 v12, v12, v19, 0x7fff
	v_cndmask_b32_e32 v16, v16, v21, vcc_lo
	v_cmp_u_f32_e32 vcc_lo, v19, v19
	v_add3_u32 v19, v24, v20, 0x7fff
	v_or_b32_e32 v21, 0x400000, v20
	v_add3_u32 v18, v23, v17, 0x7fff
	v_and_b32_e32 v7, 0xffff0000, v7
	v_cndmask_b32_e32 v12, v12, v22, vcc_lo
	v_cmp_u_f32_e32 vcc_lo, v20, v20
	v_or_b32_e32 v22, 0x400000, v17
	v_add_f32_e32 v0, v2, v0
	v_add_f32_e32 v2, v7, v11
	v_and_b32_e32 v7, 0xffff0000, v12
	v_cndmask_b32_e32 v19, v19, v21, vcc_lo
	v_cmp_u_f32_e32 vcc_lo, v17, v17
	v_and_b32_e32 v11, 0xffff0000, v16
	v_and_b32_e32 v4, 0xffff0000, v4
	;; [unrolled: 1-line block ×3, first 2 shown]
	v_add_f32_e32 v0, v2, v0
	v_cndmask_b32_e32 v12, v18, v22, vcc_lo
	v_add_f32_e32 v2, v11, v7
	v_and_b32_e32 v7, 0xffff0000, v19
	v_add_f32_e32 v8, v8, v15
	v_add_f32_e32 v1, v3, v1
	v_and_b32_e32 v11, 0xffff0000, v12
	v_add_f32_e32 v3, v4, v14
	v_add_f32_e32 v0, v2, v0
	;; [unrolled: 1-line block ×13, first 2 shown]
.LBB148_34:                             ;   in Loop: Header=BB148_35 Depth=1
	s_or_b32 exec_lo, exec_lo, s18
	v_add_nc_u32_e32 v93, 4, v93
	v_add_co_u32 v65, s0, v65, 16
	v_add_co_ci_u32_e64 v66, null, 0, v66, s0
	v_cmp_le_i32_e32 vcc_lo, s16, v93
	v_add_nc_u32_e32 v69, 0x80, v69
	v_add_nc_u32_e32 v91, 0x200, v91
	s_or_b32 s15, vcc_lo, s15
	s_andn2_b32 exec_lo, exec_lo, s15
	s_cbranch_execz .LBB148_64
.LBB148_35:                             ; =>This Inner Loop Header: Depth=1
	v_mul_hi_u32 v0, v69, s21
	v_mul_lo_u32 v1, v0, s12
	v_add_nc_u32_e32 v2, 1, v0
	v_sub_nc_u32_e32 v1, v69, v1
	v_subrev_nc_u32_e32 v3, s12, v1
	v_cmp_le_u32_e32 vcc_lo, s12, v1
	v_cndmask_b32_e32 v0, v0, v2, vcc_lo
	v_cndmask_b32_e32 v1, v1, v3, vcc_lo
	v_add_nc_u32_e32 v2, 1, v0
	v_cmp_le_u32_e32 vcc_lo, s12, v1
	v_cndmask_b32_e32 v0, v0, v2, vcc_lo
	v_xor_b32_e32 v0, s19, v0
	v_subrev_nc_u32_e32 v0, s19, v0
	v_add_nc_u32_e32 v1, s29, v0
	v_cmp_lt_i32_e64 s0, s4, v0
	v_sub_nc_u32_e32 v2, 0, v1
	v_max_i32_e32 v2, v1, v2
	v_ashrrev_i32_e32 v1, 31, v1
	v_mul_hi_u32 v3, v2, v92
	v_mul_lo_u32 v3, v3, s5
	v_sub_nc_u32_e32 v2, v2, v3
	v_subrev_nc_u32_e32 v3, s5, v2
	v_cmp_le_u32_e32 vcc_lo, s5, v2
	v_cndmask_b32_e32 v2, v2, v3, vcc_lo
	v_subrev_nc_u32_e32 v3, s5, v2
	v_cmp_le_u32_e32 vcc_lo, s5, v2
	v_cndmask_b32_e32 v2, v2, v3, vcc_lo
	v_xor_b32_e32 v2, v2, v1
	v_sub_nc_u32_e32 v1, v2, v1
	v_cmp_eq_u32_e32 vcc_lo, 0, v1
	s_or_b32 s0, vcc_lo, s0
	s_and_saveexec_b32 s18, s0
	s_cbranch_execz .LBB148_34
; %bb.36:                               ;   in Loop: Header=BB148_35 Depth=1
	global_load_dword v0, v[65:66], off
	v_add_nc_u32_e32 v95, v88, v69
	v_cmp_eq_u32_e64 s0, s14, v93
	v_add_nc_u32_e32 v98, 1, v95
	v_or_b32_e32 v96, 3, v95
	v_or_b32_e32 v97, 2, v95
	;; [unrolled: 1-line block ×5, first 2 shown]
	s_waitcnt vmcnt(0)
	v_mad_i64_i32 v[0:1], null, v0, s13, 0
	v_lshlrev_b64 v[0:1], 1, v[0:1]
	v_add_co_u32 v17, vcc_lo, v89, v0
	v_add_co_ci_u32_e64 v18, null, v90, v1, vcc_lo
	v_or_b32_e32 v0, 6, v95
	global_load_dwordx4 v[1:4], v[17:18], off
	ds_read2_b64 v[45:48], v91 offset1:1
	ds_read2_b64 v[41:44], v91 offset0:2 offset1:3
	s_and_saveexec_b32 s22, s0
	s_cbranch_execnz .LBB148_55
; %bb.37:                               ;   in Loop: Header=BB148_35 Depth=1
	s_or_b32 exec_lo, exec_lo, s22
	global_load_dwordx4 v[5:8], v[17:18], off offset:512
	s_and_saveexec_b32 s22, s0
	s_cbranch_execnz .LBB148_56
.LBB148_38:                             ;   in Loop: Header=BB148_35 Depth=1
	s_or_b32 exec_lo, exec_lo, s22
	global_load_dwordx4 v[9:12], v[17:18], off offset:1024
	s_and_saveexec_b32 s22, s0
	s_cbranch_execnz .LBB148_57
.LBB148_39:                             ;   in Loop: Header=BB148_35 Depth=1
	s_or_b32 exec_lo, exec_lo, s22
	global_load_dwordx4 v[13:16], v[17:18], off offset:1536
	s_and_saveexec_b32 s22, s0
	s_cbranch_execz .LBB148_41
.LBB148_40:                             ;   in Loop: Header=BB148_35 Depth=1
	v_cmp_gt_i32_e64 s1, s28, v95
	v_cmp_gt_i32_e32 vcc_lo, s17, v98
	v_cmp_gt_i32_e64 s2, s28, v97
	s_waitcnt vmcnt(0)
	v_cndmask_b32_e64 v19, 0, v13, s1
	v_cmp_gt_i32_e64 s1, s17, v96
	v_cndmask_b32_sdwa v13, v87, v13, vcc_lo dst_sel:DWORD dst_unused:UNUSED_PAD src0_sel:DWORD src1_sel:WORD_1
	v_cndmask_b32_e64 v20, 0, v14, s2
	v_cmp_gt_i32_e64 s2, s17, v94
	s_mov_b32 vcc_lo, s1
	v_cmp_gt_i32_e64 s1, s17, v67
	v_cndmask_b32_sdwa v14, v87, v14, vcc_lo dst_sel:DWORD dst_unused:UNUSED_PAD src0_sel:DWORD src1_sel:WORD_1
	v_cmp_gt_i32_e32 vcc_lo, s28, v68
	v_perm_b32 v13, v13, v19, 0x5040100
	v_perm_b32 v14, v14, v20, 0x5040100
	v_cndmask_b32_e32 v21, 0, v15, vcc_lo
	s_mov_b32 vcc_lo, s2
	v_cndmask_b32_sdwa v15, v87, v15, vcc_lo dst_sel:DWORD dst_unused:UNUSED_PAD src0_sel:DWORD src1_sel:WORD_1
	v_cmp_gt_i32_e32 vcc_lo, s28, v0
	v_perm_b32 v15, v15, v21, 0x5040100
	v_cndmask_b32_e32 v22, 0, v16, vcc_lo
	s_mov_b32 vcc_lo, s1
	v_cndmask_b32_sdwa v16, v87, v16, vcc_lo dst_sel:DWORD dst_unused:UNUSED_PAD src0_sel:DWORD src1_sel:WORD_1
	v_perm_b32 v16, v16, v22, 0x5040100
.LBB148_41:                             ;   in Loop: Header=BB148_35 Depth=1
	s_or_b32 exec_lo, exec_lo, s22
	v_add_co_u32 v19, vcc_lo, 0x800, v17
	v_add_co_ci_u32_e64 v20, null, 0, v18, vcc_lo
	global_load_dwordx4 v[21:24], v[19:20], off
	s_and_saveexec_b32 s22, s0
	s_cbranch_execnz .LBB148_58
; %bb.42:                               ;   in Loop: Header=BB148_35 Depth=1
	s_or_b32 exec_lo, exec_lo, s22
	global_load_dwordx4 v[25:28], v[19:20], off offset:512
	s_and_saveexec_b32 s22, s0
	s_cbranch_execnz .LBB148_59
.LBB148_43:                             ;   in Loop: Header=BB148_35 Depth=1
	s_or_b32 exec_lo, exec_lo, s22
	global_load_dwordx4 v[29:32], v[19:20], off offset:1024
	s_and_saveexec_b32 s22, s0
	s_cbranch_execnz .LBB148_60
.LBB148_44:                             ;   in Loop: Header=BB148_35 Depth=1
	s_or_b32 exec_lo, exec_lo, s22
	global_load_dwordx4 v[33:36], v[19:20], off offset:1536
	s_and_saveexec_b32 s22, s0
	s_cbranch_execz .LBB148_46
.LBB148_45:                             ;   in Loop: Header=BB148_35 Depth=1
	v_cmp_gt_i32_e64 s1, s28, v95
	v_cmp_gt_i32_e32 vcc_lo, s17, v98
	v_cmp_gt_i32_e64 s2, s28, v97
	s_waitcnt vmcnt(0)
	v_cndmask_b32_e64 v19, 0, v33, s1
	v_cmp_gt_i32_e64 s1, s17, v96
	v_cndmask_b32_sdwa v33, v87, v33, vcc_lo dst_sel:DWORD dst_unused:UNUSED_PAD src0_sel:DWORD src1_sel:WORD_1
	v_cndmask_b32_e64 v20, 0, v34, s2
	v_cmp_gt_i32_e64 s2, s17, v94
	s_mov_b32 vcc_lo, s1
	v_cmp_gt_i32_e64 s1, s17, v67
	v_cndmask_b32_sdwa v34, v87, v34, vcc_lo dst_sel:DWORD dst_unused:UNUSED_PAD src0_sel:DWORD src1_sel:WORD_1
	v_cmp_gt_i32_e32 vcc_lo, s28, v68
	v_perm_b32 v33, v33, v19, 0x5040100
	v_perm_b32 v34, v34, v20, 0x5040100
	v_cndmask_b32_e32 v37, 0, v35, vcc_lo
	s_mov_b32 vcc_lo, s2
	v_cndmask_b32_sdwa v35, v87, v35, vcc_lo dst_sel:DWORD dst_unused:UNUSED_PAD src0_sel:DWORD src1_sel:WORD_1
	v_cmp_gt_i32_e32 vcc_lo, s28, v0
	v_perm_b32 v35, v35, v37, 0x5040100
	v_cndmask_b32_e32 v38, 0, v36, vcc_lo
	s_mov_b32 vcc_lo, s1
	v_cndmask_b32_sdwa v36, v87, v36, vcc_lo dst_sel:DWORD dst_unused:UNUSED_PAD src0_sel:DWORD src1_sel:WORD_1
	v_perm_b32 v36, v36, v38, 0x5040100
.LBB148_46:                             ;   in Loop: Header=BB148_35 Depth=1
	s_or_b32 exec_lo, exec_lo, s22
	v_add_co_u32 v19, vcc_lo, 0x1000, v17
	v_add_co_ci_u32_e64 v20, null, 0, v18, vcc_lo
	global_load_dwordx4 v[37:40], v[19:20], off
	s_and_saveexec_b32 s22, s0
	s_cbranch_execnz .LBB148_61
; %bb.47:                               ;   in Loop: Header=BB148_35 Depth=1
	s_or_b32 exec_lo, exec_lo, s22
	global_load_dwordx4 v[49:52], v[19:20], off offset:512
	s_and_saveexec_b32 s22, s0
	s_cbranch_execnz .LBB148_62
.LBB148_48:                             ;   in Loop: Header=BB148_35 Depth=1
	s_or_b32 exec_lo, exec_lo, s22
	global_load_dwordx4 v[53:56], v[19:20], off offset:1024
	s_and_saveexec_b32 s22, s0
	s_cbranch_execnz .LBB148_63
.LBB148_49:                             ;   in Loop: Header=BB148_35 Depth=1
	s_or_b32 exec_lo, exec_lo, s22
	global_load_dwordx4 v[57:60], v[19:20], off offset:1536
	s_and_saveexec_b32 s22, s0
	s_cbranch_execz .LBB148_51
.LBB148_50:                             ;   in Loop: Header=BB148_35 Depth=1
	v_cmp_gt_i32_e64 s1, s28, v95
	v_cmp_gt_i32_e32 vcc_lo, s17, v98
	v_cmp_gt_i32_e64 s2, s28, v97
	s_waitcnt vmcnt(0)
	v_cndmask_b32_e64 v19, 0, v57, s1
	v_cmp_gt_i32_e64 s1, s17, v96
	v_cndmask_b32_sdwa v57, v87, v57, vcc_lo dst_sel:DWORD dst_unused:UNUSED_PAD src0_sel:DWORD src1_sel:WORD_1
	v_cndmask_b32_e64 v20, 0, v58, s2
	v_cmp_gt_i32_e64 s2, s17, v94
	s_mov_b32 vcc_lo, s1
	v_cmp_gt_i32_e64 s1, s17, v67
	v_cndmask_b32_sdwa v58, v87, v58, vcc_lo dst_sel:DWORD dst_unused:UNUSED_PAD src0_sel:DWORD src1_sel:WORD_1
	v_cmp_gt_i32_e32 vcc_lo, s28, v68
	v_perm_b32 v57, v57, v19, 0x5040100
	v_perm_b32 v58, v58, v20, 0x5040100
	v_cndmask_b32_e32 v61, 0, v59, vcc_lo
	s_mov_b32 vcc_lo, s2
	v_cndmask_b32_sdwa v59, v87, v59, vcc_lo dst_sel:DWORD dst_unused:UNUSED_PAD src0_sel:DWORD src1_sel:WORD_1
	v_cmp_gt_i32_e32 vcc_lo, s28, v0
	v_perm_b32 v59, v59, v61, 0x5040100
	v_cndmask_b32_e32 v62, 0, v60, vcc_lo
	s_mov_b32 vcc_lo, s1
	v_cndmask_b32_sdwa v60, v87, v60, vcc_lo dst_sel:DWORD dst_unused:UNUSED_PAD src0_sel:DWORD src1_sel:WORD_1
	v_perm_b32 v60, v60, v62, 0x5040100
.LBB148_51:                             ;   in Loop: Header=BB148_35 Depth=1
	s_or_b32 exec_lo, exec_lo, s22
	v_add_co_u32 v17, vcc_lo, 0x1800, v17
	v_add_co_ci_u32_e64 v18, null, 0, v18, vcc_lo
	global_load_dwordx4 v[61:64], v[17:18], off
	s_and_saveexec_b32 s22, s0
	s_cbranch_execz .LBB148_53
; %bb.52:                               ;   in Loop: Header=BB148_35 Depth=1
	v_cmp_gt_i32_e64 s1, s28, v95
	v_cmp_gt_i32_e32 vcc_lo, s17, v98
	v_cmp_gt_i32_e64 s2, s28, v97
	s_waitcnt vmcnt(0)
	v_cndmask_b32_e64 v19, 0, v61, s1
	v_cmp_gt_i32_e64 s1, s17, v96
	v_cndmask_b32_sdwa v61, v87, v61, vcc_lo dst_sel:DWORD dst_unused:UNUSED_PAD src0_sel:DWORD src1_sel:WORD_1
	v_cndmask_b32_e64 v20, 0, v62, s2
	v_cmp_gt_i32_e64 s2, s17, v94
	s_mov_b32 vcc_lo, s1
	v_cmp_gt_i32_e64 s1, s17, v67
	v_cndmask_b32_sdwa v62, v87, v62, vcc_lo dst_sel:DWORD dst_unused:UNUSED_PAD src0_sel:DWORD src1_sel:WORD_1
	v_cmp_gt_i32_e32 vcc_lo, s28, v68
	v_perm_b32 v61, v61, v19, 0x5040100
	v_perm_b32 v62, v62, v20, 0x5040100
	v_cndmask_b32_e32 v99, 0, v63, vcc_lo
	s_mov_b32 vcc_lo, s2
	v_cndmask_b32_sdwa v63, v87, v63, vcc_lo dst_sel:DWORD dst_unused:UNUSED_PAD src0_sel:DWORD src1_sel:WORD_1
	v_cmp_gt_i32_e32 vcc_lo, s28, v0
	v_perm_b32 v63, v63, v99, 0x5040100
	v_cndmask_b32_e32 v100, 0, v64, vcc_lo
	s_mov_b32 vcc_lo, s1
	v_cndmask_b32_sdwa v64, v87, v64, vcc_lo dst_sel:DWORD dst_unused:UNUSED_PAD src0_sel:DWORD src1_sel:WORD_1
	v_perm_b32 v64, v64, v100, 0x5040100
.LBB148_53:                             ;   in Loop: Header=BB148_35 Depth=1
	s_or_b32 exec_lo, exec_lo, s22
	global_load_dwordx4 v[17:20], v[17:18], off offset:512
	s_and_saveexec_b32 s2, s0
	s_cbranch_execz .LBB148_33
; %bb.54:                               ;   in Loop: Header=BB148_35 Depth=1
	v_cmp_gt_i32_e64 s0, s28, v95
	v_cmp_gt_i32_e32 vcc_lo, s17, v98
	v_cmp_gt_i32_e64 s1, s28, v97
	s_waitcnt vmcnt(0)
	v_cndmask_b32_e64 v95, 0, v17, s0
	v_cmp_gt_i32_e64 s0, s17, v96
	v_cndmask_b32_sdwa v17, v87, v17, vcc_lo dst_sel:DWORD dst_unused:UNUSED_PAD src0_sel:DWORD src1_sel:WORD_1
	v_cndmask_b32_e64 v96, 0, v18, s1
	v_cmp_gt_i32_e64 s1, s17, v94
	s_mov_b32 vcc_lo, s0
	v_cmp_gt_i32_e64 s0, s17, v67
	v_cndmask_b32_sdwa v18, v87, v18, vcc_lo dst_sel:DWORD dst_unused:UNUSED_PAD src0_sel:DWORD src1_sel:WORD_1
	v_cmp_gt_i32_e32 vcc_lo, s28, v68
	v_perm_b32 v17, v17, v95, 0x5040100
	v_perm_b32 v18, v18, v96, 0x5040100
	v_cndmask_b32_e32 v68, 0, v19, vcc_lo
	s_mov_b32 vcc_lo, s1
	v_cndmask_b32_sdwa v19, v87, v19, vcc_lo dst_sel:DWORD dst_unused:UNUSED_PAD src0_sel:DWORD src1_sel:WORD_1
	v_cmp_gt_i32_e32 vcc_lo, s28, v0
	v_perm_b32 v19, v19, v68, 0x5040100
	v_cndmask_b32_e32 v0, 0, v20, vcc_lo
	s_mov_b32 vcc_lo, s0
	v_cndmask_b32_sdwa v20, v87, v20, vcc_lo dst_sel:DWORD dst_unused:UNUSED_PAD src0_sel:DWORD src1_sel:WORD_1
	v_perm_b32 v20, v20, v0, 0x5040100
	s_branch .LBB148_33
.LBB148_55:                             ;   in Loop: Header=BB148_35 Depth=1
	v_cmp_gt_i32_e64 s1, s28, v95
	v_cmp_gt_i32_e32 vcc_lo, s17, v98
	v_cmp_gt_i32_e64 s2, s28, v97
	s_waitcnt vmcnt(0)
	v_cndmask_b32_e64 v5, 0, v1, s1
	v_cmp_gt_i32_e64 s1, s17, v96
	v_cndmask_b32_sdwa v1, v87, v1, vcc_lo dst_sel:DWORD dst_unused:UNUSED_PAD src0_sel:DWORD src1_sel:WORD_1
	v_cndmask_b32_e64 v6, 0, v2, s2
	v_cmp_gt_i32_e64 s2, s17, v94
	s_mov_b32 vcc_lo, s1
	v_cmp_gt_i32_e64 s1, s17, v67
	v_cndmask_b32_sdwa v2, v87, v2, vcc_lo dst_sel:DWORD dst_unused:UNUSED_PAD src0_sel:DWORD src1_sel:WORD_1
	v_cmp_gt_i32_e32 vcc_lo, s28, v68
	v_perm_b32 v1, v1, v5, 0x5040100
	v_perm_b32 v2, v2, v6, 0x5040100
	v_cndmask_b32_e32 v7, 0, v3, vcc_lo
	s_mov_b32 vcc_lo, s2
	v_cndmask_b32_sdwa v3, v87, v3, vcc_lo dst_sel:DWORD dst_unused:UNUSED_PAD src0_sel:DWORD src1_sel:WORD_1
	v_cmp_gt_i32_e32 vcc_lo, s28, v0
	v_perm_b32 v3, v3, v7, 0x5040100
	v_cndmask_b32_e32 v8, 0, v4, vcc_lo
	s_mov_b32 vcc_lo, s1
	v_cndmask_b32_sdwa v4, v87, v4, vcc_lo dst_sel:DWORD dst_unused:UNUSED_PAD src0_sel:DWORD src1_sel:WORD_1
	v_perm_b32 v4, v4, v8, 0x5040100
	s_or_b32 exec_lo, exec_lo, s22
	global_load_dwordx4 v[5:8], v[17:18], off offset:512
	s_and_saveexec_b32 s22, s0
	s_cbranch_execz .LBB148_38
.LBB148_56:                             ;   in Loop: Header=BB148_35 Depth=1
	v_cmp_gt_i32_e64 s1, s28, v95
	v_cmp_gt_i32_e32 vcc_lo, s17, v98
	v_cmp_gt_i32_e64 s2, s28, v97
	s_waitcnt vmcnt(0)
	v_cndmask_b32_e64 v9, 0, v5, s1
	v_cmp_gt_i32_e64 s1, s17, v96
	v_cndmask_b32_sdwa v5, v87, v5, vcc_lo dst_sel:DWORD dst_unused:UNUSED_PAD src0_sel:DWORD src1_sel:WORD_1
	v_cndmask_b32_e64 v10, 0, v6, s2
	v_cmp_gt_i32_e64 s2, s17, v94
	s_mov_b32 vcc_lo, s1
	v_cmp_gt_i32_e64 s1, s17, v67
	v_cndmask_b32_sdwa v6, v87, v6, vcc_lo dst_sel:DWORD dst_unused:UNUSED_PAD src0_sel:DWORD src1_sel:WORD_1
	v_cmp_gt_i32_e32 vcc_lo, s28, v68
	v_perm_b32 v5, v5, v9, 0x5040100
	v_perm_b32 v6, v6, v10, 0x5040100
	v_cndmask_b32_e32 v11, 0, v7, vcc_lo
	s_mov_b32 vcc_lo, s2
	v_cndmask_b32_sdwa v7, v87, v7, vcc_lo dst_sel:DWORD dst_unused:UNUSED_PAD src0_sel:DWORD src1_sel:WORD_1
	v_cmp_gt_i32_e32 vcc_lo, s28, v0
	v_perm_b32 v7, v7, v11, 0x5040100
	v_cndmask_b32_e32 v12, 0, v8, vcc_lo
	s_mov_b32 vcc_lo, s1
	v_cndmask_b32_sdwa v8, v87, v8, vcc_lo dst_sel:DWORD dst_unused:UNUSED_PAD src0_sel:DWORD src1_sel:WORD_1
	v_perm_b32 v8, v8, v12, 0x5040100
	s_or_b32 exec_lo, exec_lo, s22
	global_load_dwordx4 v[9:12], v[17:18], off offset:1024
	s_and_saveexec_b32 s22, s0
	s_cbranch_execz .LBB148_39
.LBB148_57:                             ;   in Loop: Header=BB148_35 Depth=1
	v_cmp_gt_i32_e64 s1, s28, v95
	v_cmp_gt_i32_e32 vcc_lo, s17, v98
	v_cmp_gt_i32_e64 s2, s28, v97
	s_waitcnt vmcnt(0)
	v_cndmask_b32_e64 v13, 0, v9, s1
	v_cmp_gt_i32_e64 s1, s17, v96
	v_cndmask_b32_sdwa v9, v87, v9, vcc_lo dst_sel:DWORD dst_unused:UNUSED_PAD src0_sel:DWORD src1_sel:WORD_1
	v_cndmask_b32_e64 v14, 0, v10, s2
	v_cmp_gt_i32_e64 s2, s17, v94
	s_mov_b32 vcc_lo, s1
	v_cmp_gt_i32_e64 s1, s17, v67
	v_cndmask_b32_sdwa v10, v87, v10, vcc_lo dst_sel:DWORD dst_unused:UNUSED_PAD src0_sel:DWORD src1_sel:WORD_1
	v_cmp_gt_i32_e32 vcc_lo, s28, v68
	v_perm_b32 v9, v9, v13, 0x5040100
	v_perm_b32 v10, v10, v14, 0x5040100
	v_cndmask_b32_e32 v15, 0, v11, vcc_lo
	s_mov_b32 vcc_lo, s2
	v_cndmask_b32_sdwa v11, v87, v11, vcc_lo dst_sel:DWORD dst_unused:UNUSED_PAD src0_sel:DWORD src1_sel:WORD_1
	v_cmp_gt_i32_e32 vcc_lo, s28, v0
	v_perm_b32 v11, v11, v15, 0x5040100
	v_cndmask_b32_e32 v16, 0, v12, vcc_lo
	s_mov_b32 vcc_lo, s1
	v_cndmask_b32_sdwa v12, v87, v12, vcc_lo dst_sel:DWORD dst_unused:UNUSED_PAD src0_sel:DWORD src1_sel:WORD_1
	v_perm_b32 v12, v12, v16, 0x5040100
	s_or_b32 exec_lo, exec_lo, s22
	global_load_dwordx4 v[13:16], v[17:18], off offset:1536
	s_and_saveexec_b32 s22, s0
	s_cbranch_execnz .LBB148_40
	s_branch .LBB148_41
.LBB148_58:                             ;   in Loop: Header=BB148_35 Depth=1
	v_cmp_gt_i32_e64 s1, s28, v95
	v_cmp_gt_i32_e32 vcc_lo, s17, v98
	v_cmp_gt_i32_e64 s2, s28, v97
	s_waitcnt vmcnt(0)
	v_cndmask_b32_e64 v25, 0, v21, s1
	v_cmp_gt_i32_e64 s1, s17, v96
	v_cndmask_b32_sdwa v21, v87, v21, vcc_lo dst_sel:DWORD dst_unused:UNUSED_PAD src0_sel:DWORD src1_sel:WORD_1
	v_cndmask_b32_e64 v26, 0, v22, s2
	v_cmp_gt_i32_e64 s2, s17, v94
	s_mov_b32 vcc_lo, s1
	v_cmp_gt_i32_e64 s1, s17, v67
	v_cndmask_b32_sdwa v22, v87, v22, vcc_lo dst_sel:DWORD dst_unused:UNUSED_PAD src0_sel:DWORD src1_sel:WORD_1
	v_cmp_gt_i32_e32 vcc_lo, s28, v68
	v_perm_b32 v21, v21, v25, 0x5040100
	v_perm_b32 v22, v22, v26, 0x5040100
	v_cndmask_b32_e32 v27, 0, v23, vcc_lo
	s_mov_b32 vcc_lo, s2
	v_cndmask_b32_sdwa v23, v87, v23, vcc_lo dst_sel:DWORD dst_unused:UNUSED_PAD src0_sel:DWORD src1_sel:WORD_1
	v_cmp_gt_i32_e32 vcc_lo, s28, v0
	v_perm_b32 v23, v23, v27, 0x5040100
	v_cndmask_b32_e32 v28, 0, v24, vcc_lo
	s_mov_b32 vcc_lo, s1
	v_cndmask_b32_sdwa v24, v87, v24, vcc_lo dst_sel:DWORD dst_unused:UNUSED_PAD src0_sel:DWORD src1_sel:WORD_1
	v_perm_b32 v24, v24, v28, 0x5040100
	s_or_b32 exec_lo, exec_lo, s22
	global_load_dwordx4 v[25:28], v[19:20], off offset:512
	s_and_saveexec_b32 s22, s0
	s_cbranch_execz .LBB148_43
.LBB148_59:                             ;   in Loop: Header=BB148_35 Depth=1
	v_cmp_gt_i32_e64 s1, s28, v95
	v_cmp_gt_i32_e32 vcc_lo, s17, v98
	v_cmp_gt_i32_e64 s2, s28, v97
	s_waitcnt vmcnt(0)
	v_cndmask_b32_e64 v29, 0, v25, s1
	v_cmp_gt_i32_e64 s1, s17, v96
	v_cndmask_b32_sdwa v25, v87, v25, vcc_lo dst_sel:DWORD dst_unused:UNUSED_PAD src0_sel:DWORD src1_sel:WORD_1
	v_cndmask_b32_e64 v30, 0, v26, s2
	v_cmp_gt_i32_e64 s2, s17, v94
	s_mov_b32 vcc_lo, s1
	v_cmp_gt_i32_e64 s1, s17, v67
	v_cndmask_b32_sdwa v26, v87, v26, vcc_lo dst_sel:DWORD dst_unused:UNUSED_PAD src0_sel:DWORD src1_sel:WORD_1
	v_cmp_gt_i32_e32 vcc_lo, s28, v68
	v_perm_b32 v25, v25, v29, 0x5040100
	v_perm_b32 v26, v26, v30, 0x5040100
	v_cndmask_b32_e32 v31, 0, v27, vcc_lo
	s_mov_b32 vcc_lo, s2
	v_cndmask_b32_sdwa v27, v87, v27, vcc_lo dst_sel:DWORD dst_unused:UNUSED_PAD src0_sel:DWORD src1_sel:WORD_1
	v_cmp_gt_i32_e32 vcc_lo, s28, v0
	v_perm_b32 v27, v27, v31, 0x5040100
	v_cndmask_b32_e32 v32, 0, v28, vcc_lo
	s_mov_b32 vcc_lo, s1
	v_cndmask_b32_sdwa v28, v87, v28, vcc_lo dst_sel:DWORD dst_unused:UNUSED_PAD src0_sel:DWORD src1_sel:WORD_1
	v_perm_b32 v28, v28, v32, 0x5040100
	s_or_b32 exec_lo, exec_lo, s22
	global_load_dwordx4 v[29:32], v[19:20], off offset:1024
	s_and_saveexec_b32 s22, s0
	s_cbranch_execz .LBB148_44
.LBB148_60:                             ;   in Loop: Header=BB148_35 Depth=1
	v_cmp_gt_i32_e64 s1, s28, v95
	v_cmp_gt_i32_e32 vcc_lo, s17, v98
	v_cmp_gt_i32_e64 s2, s28, v97
	s_waitcnt vmcnt(0)
	v_cndmask_b32_e64 v33, 0, v29, s1
	v_cmp_gt_i32_e64 s1, s17, v96
	v_cndmask_b32_sdwa v29, v87, v29, vcc_lo dst_sel:DWORD dst_unused:UNUSED_PAD src0_sel:DWORD src1_sel:WORD_1
	v_cndmask_b32_e64 v34, 0, v30, s2
	v_cmp_gt_i32_e64 s2, s17, v94
	s_mov_b32 vcc_lo, s1
	v_cmp_gt_i32_e64 s1, s17, v67
	v_cndmask_b32_sdwa v30, v87, v30, vcc_lo dst_sel:DWORD dst_unused:UNUSED_PAD src0_sel:DWORD src1_sel:WORD_1
	v_cmp_gt_i32_e32 vcc_lo, s28, v68
	v_perm_b32 v29, v29, v33, 0x5040100
	v_perm_b32 v30, v30, v34, 0x5040100
	v_cndmask_b32_e32 v35, 0, v31, vcc_lo
	s_mov_b32 vcc_lo, s2
	v_cndmask_b32_sdwa v31, v87, v31, vcc_lo dst_sel:DWORD dst_unused:UNUSED_PAD src0_sel:DWORD src1_sel:WORD_1
	v_cmp_gt_i32_e32 vcc_lo, s28, v0
	v_perm_b32 v31, v31, v35, 0x5040100
	v_cndmask_b32_e32 v36, 0, v32, vcc_lo
	s_mov_b32 vcc_lo, s1
	v_cndmask_b32_sdwa v32, v87, v32, vcc_lo dst_sel:DWORD dst_unused:UNUSED_PAD src0_sel:DWORD src1_sel:WORD_1
	v_perm_b32 v32, v32, v36, 0x5040100
	s_or_b32 exec_lo, exec_lo, s22
	global_load_dwordx4 v[33:36], v[19:20], off offset:1536
	s_and_saveexec_b32 s22, s0
	s_cbranch_execnz .LBB148_45
	s_branch .LBB148_46
.LBB148_61:                             ;   in Loop: Header=BB148_35 Depth=1
	v_cmp_gt_i32_e64 s1, s28, v95
	v_cmp_gt_i32_e32 vcc_lo, s17, v98
	v_cmp_gt_i32_e64 s2, s28, v97
	s_waitcnt vmcnt(0)
	v_cndmask_b32_e64 v49, 0, v37, s1
	v_cmp_gt_i32_e64 s1, s17, v96
	v_cndmask_b32_sdwa v37, v87, v37, vcc_lo dst_sel:DWORD dst_unused:UNUSED_PAD src0_sel:DWORD src1_sel:WORD_1
	v_cndmask_b32_e64 v50, 0, v38, s2
	v_cmp_gt_i32_e64 s2, s17, v94
	s_mov_b32 vcc_lo, s1
	v_cmp_gt_i32_e64 s1, s17, v67
	v_cndmask_b32_sdwa v38, v87, v38, vcc_lo dst_sel:DWORD dst_unused:UNUSED_PAD src0_sel:DWORD src1_sel:WORD_1
	v_cmp_gt_i32_e32 vcc_lo, s28, v68
	v_perm_b32 v37, v37, v49, 0x5040100
	v_perm_b32 v38, v38, v50, 0x5040100
	v_cndmask_b32_e32 v51, 0, v39, vcc_lo
	s_mov_b32 vcc_lo, s2
	v_cndmask_b32_sdwa v39, v87, v39, vcc_lo dst_sel:DWORD dst_unused:UNUSED_PAD src0_sel:DWORD src1_sel:WORD_1
	v_cmp_gt_i32_e32 vcc_lo, s28, v0
	v_perm_b32 v39, v39, v51, 0x5040100
	v_cndmask_b32_e32 v52, 0, v40, vcc_lo
	s_mov_b32 vcc_lo, s1
	v_cndmask_b32_sdwa v40, v87, v40, vcc_lo dst_sel:DWORD dst_unused:UNUSED_PAD src0_sel:DWORD src1_sel:WORD_1
	v_perm_b32 v40, v40, v52, 0x5040100
	s_or_b32 exec_lo, exec_lo, s22
	global_load_dwordx4 v[49:52], v[19:20], off offset:512
	s_and_saveexec_b32 s22, s0
	s_cbranch_execz .LBB148_48
.LBB148_62:                             ;   in Loop: Header=BB148_35 Depth=1
	v_cmp_gt_i32_e64 s1, s28, v95
	v_cmp_gt_i32_e32 vcc_lo, s17, v98
	v_cmp_gt_i32_e64 s2, s28, v97
	s_waitcnt vmcnt(0)
	v_cndmask_b32_e64 v53, 0, v49, s1
	v_cmp_gt_i32_e64 s1, s17, v96
	v_cndmask_b32_sdwa v49, v87, v49, vcc_lo dst_sel:DWORD dst_unused:UNUSED_PAD src0_sel:DWORD src1_sel:WORD_1
	v_cndmask_b32_e64 v54, 0, v50, s2
	v_cmp_gt_i32_e64 s2, s17, v94
	s_mov_b32 vcc_lo, s1
	v_cmp_gt_i32_e64 s1, s17, v67
	v_cndmask_b32_sdwa v50, v87, v50, vcc_lo dst_sel:DWORD dst_unused:UNUSED_PAD src0_sel:DWORD src1_sel:WORD_1
	v_cmp_gt_i32_e32 vcc_lo, s28, v68
	v_perm_b32 v49, v49, v53, 0x5040100
	v_perm_b32 v50, v50, v54, 0x5040100
	v_cndmask_b32_e32 v55, 0, v51, vcc_lo
	s_mov_b32 vcc_lo, s2
	v_cndmask_b32_sdwa v51, v87, v51, vcc_lo dst_sel:DWORD dst_unused:UNUSED_PAD src0_sel:DWORD src1_sel:WORD_1
	v_cmp_gt_i32_e32 vcc_lo, s28, v0
	v_perm_b32 v51, v51, v55, 0x5040100
	v_cndmask_b32_e32 v56, 0, v52, vcc_lo
	s_mov_b32 vcc_lo, s1
	v_cndmask_b32_sdwa v52, v87, v52, vcc_lo dst_sel:DWORD dst_unused:UNUSED_PAD src0_sel:DWORD src1_sel:WORD_1
	v_perm_b32 v52, v52, v56, 0x5040100
	s_or_b32 exec_lo, exec_lo, s22
	global_load_dwordx4 v[53:56], v[19:20], off offset:1024
	s_and_saveexec_b32 s22, s0
	s_cbranch_execz .LBB148_49
.LBB148_63:                             ;   in Loop: Header=BB148_35 Depth=1
	v_cmp_gt_i32_e64 s1, s28, v95
	v_cmp_gt_i32_e32 vcc_lo, s17, v98
	v_cmp_gt_i32_e64 s2, s28, v97
	s_waitcnt vmcnt(0)
	v_cndmask_b32_e64 v57, 0, v53, s1
	v_cmp_gt_i32_e64 s1, s17, v96
	v_cndmask_b32_sdwa v53, v87, v53, vcc_lo dst_sel:DWORD dst_unused:UNUSED_PAD src0_sel:DWORD src1_sel:WORD_1
	v_cndmask_b32_e64 v58, 0, v54, s2
	v_cmp_gt_i32_e64 s2, s17, v94
	s_mov_b32 vcc_lo, s1
	v_cmp_gt_i32_e64 s1, s17, v67
	v_cndmask_b32_sdwa v54, v87, v54, vcc_lo dst_sel:DWORD dst_unused:UNUSED_PAD src0_sel:DWORD src1_sel:WORD_1
	v_cmp_gt_i32_e32 vcc_lo, s28, v68
	v_perm_b32 v53, v53, v57, 0x5040100
	v_perm_b32 v54, v54, v58, 0x5040100
	v_cndmask_b32_e32 v59, 0, v55, vcc_lo
	s_mov_b32 vcc_lo, s2
	v_cndmask_b32_sdwa v55, v87, v55, vcc_lo dst_sel:DWORD dst_unused:UNUSED_PAD src0_sel:DWORD src1_sel:WORD_1
	v_cmp_gt_i32_e32 vcc_lo, s28, v0
	v_perm_b32 v55, v55, v59, 0x5040100
	v_cndmask_b32_e32 v60, 0, v56, vcc_lo
	s_mov_b32 vcc_lo, s1
	v_cndmask_b32_sdwa v56, v87, v56, vcc_lo dst_sel:DWORD dst_unused:UNUSED_PAD src0_sel:DWORD src1_sel:WORD_1
	v_perm_b32 v56, v56, v60, 0x5040100
	s_or_b32 exec_lo, exec_lo, s22
	global_load_dwordx4 v[57:60], v[19:20], off offset:1536
	s_and_saveexec_b32 s22, s0
	s_cbranch_execnz .LBB148_50
	s_branch .LBB148_51
.LBB148_64:
	s_or_b32 exec_lo, exec_lo, s15
.LBB148_65:
	s_or_b32 exec_lo, exec_lo, s3
	ds_bpermute_b32 v0, v71, v85
	ds_bpermute_b32 v13, v71, v73
	;; [unrolled: 1-line block ×14, first 2 shown]
	s_mov_b32 s0, exec_lo
	s_waitcnt lgkmcnt(13)
	v_add_f32_e32 v0, v85, v0
	s_waitcnt lgkmcnt(12)
	v_add_f32_e32 v30, v73, v13
	s_waitcnt lgkmcnt(11)
	v_add_f32_e32 v1, v86, v1
	s_waitcnt lgkmcnt(10)
	v_add_f32_e32 v2, v84, v2
	s_waitcnt lgkmcnt(9)
	v_add_f32_e32 v3, v83, v3
	ds_bpermute_b32 v14, v70, v0
	s_waitcnt lgkmcnt(9)
	v_add_f32_e32 v4, v82, v4
	s_waitcnt lgkmcnt(8)
	v_add_f32_e32 v5, v81, v5
	;; [unrolled: 2-line block ×3, first 2 shown]
	ds_bpermute_b32 v15, v70, v1
	s_waitcnt lgkmcnt(7)
	v_add_f32_e32 v19, v79, v7
	s_waitcnt lgkmcnt(6)
	v_add_f32_e32 v20, v78, v8
	;; [unrolled: 2-line block ×6, first 2 shown]
	ds_bpermute_b32 v16, v70, v2
	ds_bpermute_b32 v17, v70, v3
	;; [unrolled: 1-line block ×9, first 2 shown]
	s_waitcnt lgkmcnt(10)
	v_add_f32_e32 v13, v0, v14
	buffer_load_dword v14, off, s[40:43], 0 ; 4-byte Folded Reload
	ds_bpermute_b32 v31, v70, v26
	ds_bpermute_b32 v32, v70, v28
	;; [unrolled: 1-line block ×3, first 2 shown]
	s_waitcnt lgkmcnt(12)
	v_add_f32_e32 v12, v1, v15
	s_waitcnt vmcnt(0) lgkmcnt(0)
	s_barrier
	buffer_gl0_inv
	v_add_f32_e32 v11, v2, v16
	v_add_f32_e32 v10, v3, v17
	;; [unrolled: 1-line block ×9, first 2 shown]
	v_and_b32_e32 v17, 0x3c3, v101
	v_mul_u32_u24_e32 v16, 0x1c0, v102
	v_add_f32_e32 v0, v26, v31
	v_add_f32_e32 v1, v28, v32
	;; [unrolled: 1-line block ×3, first 2 shown]
	v_and_b32_e32 v15, 28, v14
	v_lshrrev_b32_e32 v14, 2, v14
	v_add_nc_u32_e32 v15, 0x100, v15
	v_cmpx_eq_u32_e32 64, v17
	s_cbranch_execz .LBB148_67
; %bb.66:
	v_add_nc_u32_e32 v17, v15, v16
	v_add_nc_u32_e32 v18, 0xfffffc80, v17
	;; [unrolled: 1-line block ×7, first 2 shown]
	ds_write_b32 v18, v13
	ds_write_b32 v19, v12
	;; [unrolled: 1-line block ×4, first 2 shown]
	v_add_nc_u32_e32 v18, 0xfffffd40, v17
	v_add_nc_u32_e32 v19, 0xfffffd60, v17
	;; [unrolled: 1-line block ×3, first 2 shown]
	ds_write_b32 v22, v9
	ds_write_b32 v23, v8
	;; [unrolled: 1-line block ×5, first 2 shown]
	v_add_nc_u32_e32 v18, 0xfffffda0, v17
	v_add_nc_u32_e32 v19, 0xfffffdc0, v17
	;; [unrolled: 1-line block ×5, first 2 shown]
	ds_write_b32 v18, v4
	ds_write_b32 v19, v3
	ds_write_b32 v20, v0
	ds_write_b32 v21, v1
	ds_write_b32 v17, v2
.LBB148_67:
	s_or_b32 exec_lo, exec_lo, s0
	v_lshlrev_b32_e32 v14, 2, v14
	s_mov_b32 s1, exec_lo
	v_cmp_eq_u32_e32 vcc_lo, 0, v72
	s_waitcnt lgkmcnt(0)
	s_barrier
	v_add3_u32 v14, 0x100, v16, v14
	buffer_gl0_inv
	v_cmpx_gt_u32_e32 64, v101
	s_cbranch_execz .LBB148_84
; %bb.68:
	s_and_saveexec_b32 s0, vcc_lo
	s_cbranch_execnz .LBB148_106
; %bb.69:
	s_or_b32 exec_lo, exec_lo, s0
	s_and_saveexec_b32 s0, vcc_lo
	s_cbranch_execnz .LBB148_107
.LBB148_70:
	s_or_b32 exec_lo, exec_lo, s0
	s_and_saveexec_b32 s0, vcc_lo
	s_cbranch_execnz .LBB148_108
.LBB148_71:
	s_or_b32 exec_lo, exec_lo, s0
	s_and_saveexec_b32 s0, vcc_lo
	s_cbranch_execnz .LBB148_109
.LBB148_72:
	s_or_b32 exec_lo, exec_lo, s0
	s_and_saveexec_b32 s0, vcc_lo
	s_cbranch_execnz .LBB148_110
.LBB148_73:
	s_or_b32 exec_lo, exec_lo, s0
	s_and_saveexec_b32 s0, vcc_lo
	s_cbranch_execnz .LBB148_111
.LBB148_74:
	s_or_b32 exec_lo, exec_lo, s0
	s_and_saveexec_b32 s0, vcc_lo
	s_cbranch_execnz .LBB148_112
.LBB148_75:
	s_or_b32 exec_lo, exec_lo, s0
	s_and_saveexec_b32 s0, vcc_lo
	s_cbranch_execnz .LBB148_113
.LBB148_76:
	s_or_b32 exec_lo, exec_lo, s0
	s_and_saveexec_b32 s0, vcc_lo
	s_cbranch_execnz .LBB148_114
.LBB148_77:
	s_or_b32 exec_lo, exec_lo, s0
	s_and_saveexec_b32 s0, vcc_lo
	s_cbranch_execnz .LBB148_115
.LBB148_78:
	s_or_b32 exec_lo, exec_lo, s0
	s_and_saveexec_b32 s0, vcc_lo
	s_cbranch_execnz .LBB148_116
.LBB148_79:
	s_or_b32 exec_lo, exec_lo, s0
	s_and_saveexec_b32 s0, vcc_lo
	s_cbranch_execnz .LBB148_117
.LBB148_80:
	s_or_b32 exec_lo, exec_lo, s0
	s_and_saveexec_b32 s0, vcc_lo
	s_cbranch_execnz .LBB148_118
.LBB148_81:
	s_or_b32 exec_lo, exec_lo, s0
	s_and_saveexec_b32 s0, vcc_lo
	s_cbranch_execz .LBB148_83
.LBB148_82:
	ds_read_b32 v16, v14 offset:416
	s_waitcnt lgkmcnt(0)
	v_add_f32_e32 v2, v2, v16
.LBB148_83:
	s_or_b32 exec_lo, exec_lo, s0
.LBB148_84:
	s_or_b32 exec_lo, exec_lo, s1
	v_and_b32_e32 v16, 0x3e3, v101
	s_mov_b32 s1, exec_lo
	s_barrier
	buffer_gl0_inv
	v_cmpx_eq_u32_e32 32, v16
	s_cbranch_execz .LBB148_86
; %bb.85:
	ds_write2_b32 v15, v13, v12 offset1:8
	ds_write2_b32 v15, v11, v10 offset0:16 offset1:24
	ds_write2_b32 v15, v9, v8 offset0:32 offset1:40
	ds_write2_b32 v15, v7, v6 offset0:48 offset1:56
	ds_write2_b32 v15, v5, v4 offset0:64 offset1:72
	ds_write2_b32 v15, v3, v0 offset0:80 offset1:88
	ds_write2_b32 v15, v1, v2 offset0:96 offset1:104
.LBB148_86:
	s_or_b32 exec_lo, exec_lo, s1
	s_mov_b32 s1, exec_lo
	s_waitcnt lgkmcnt(0)
	s_barrier
	buffer_gl0_inv
	v_cmpx_gt_u32_e32 32, v101
	s_cbranch_execz .LBB148_103
; %bb.87:
	s_and_saveexec_b32 s0, vcc_lo
	s_cbranch_execnz .LBB148_119
; %bb.88:
	s_or_b32 exec_lo, exec_lo, s0
	s_and_saveexec_b32 s0, vcc_lo
	s_cbranch_execnz .LBB148_120
.LBB148_89:
	s_or_b32 exec_lo, exec_lo, s0
	s_and_saveexec_b32 s0, vcc_lo
	s_cbranch_execnz .LBB148_121
.LBB148_90:
	s_or_b32 exec_lo, exec_lo, s0
	s_and_saveexec_b32 s0, vcc_lo
	s_cbranch_execnz .LBB148_122
.LBB148_91:
	s_or_b32 exec_lo, exec_lo, s0
	s_and_saveexec_b32 s0, vcc_lo
	s_cbranch_execnz .LBB148_123
.LBB148_92:
	s_or_b32 exec_lo, exec_lo, s0
	s_and_saveexec_b32 s0, vcc_lo
	s_cbranch_execnz .LBB148_124
.LBB148_93:
	s_or_b32 exec_lo, exec_lo, s0
	s_and_saveexec_b32 s0, vcc_lo
	s_cbranch_execnz .LBB148_125
.LBB148_94:
	s_or_b32 exec_lo, exec_lo, s0
	s_and_saveexec_b32 s0, vcc_lo
	s_cbranch_execnz .LBB148_126
.LBB148_95:
	s_or_b32 exec_lo, exec_lo, s0
	s_and_saveexec_b32 s0, vcc_lo
	s_cbranch_execnz .LBB148_127
.LBB148_96:
	s_or_b32 exec_lo, exec_lo, s0
	s_and_saveexec_b32 s0, vcc_lo
	s_cbranch_execnz .LBB148_128
.LBB148_97:
	s_or_b32 exec_lo, exec_lo, s0
	s_and_saveexec_b32 s0, vcc_lo
	s_cbranch_execnz .LBB148_129
.LBB148_98:
	s_or_b32 exec_lo, exec_lo, s0
	s_and_saveexec_b32 s0, vcc_lo
	s_cbranch_execnz .LBB148_130
.LBB148_99:
	s_or_b32 exec_lo, exec_lo, s0
	s_and_saveexec_b32 s0, vcc_lo
	s_cbranch_execnz .LBB148_131
.LBB148_100:
	s_or_b32 exec_lo, exec_lo, s0
	s_and_saveexec_b32 s0, vcc_lo
	s_cbranch_execz .LBB148_102
.LBB148_101:
	ds_read_b32 v14, v14 offset:416
	s_waitcnt lgkmcnt(0)
	v_add_f32_e32 v2, v2, v14
.LBB148_102:
	s_or_b32 exec_lo, exec_lo, s0
.LBB148_103:
	s_or_b32 exec_lo, exec_lo, s1
	s_barrier
	buffer_gl0_inv
	s_mov_b32 s0, exec_lo
	v_cmpx_eq_u32_e32 0, v16
	s_cbranch_execz .LBB148_105
; %bb.104:
	s_mul_i32 s0, s10, s11
	v_bfe_u32 v15, v13, 16, 1
	s_mul_i32 s0, s0, s9
	s_mul_i32 s2, s11, s20
	s_mulk_i32 s0, 0x70
	v_or_b32_e32 v16, 0x400000, v13
	s_ashr_i32 s1, s0, 31
	v_add3_u32 v15, v15, v13, 0x7fff
	s_lshl_b64 s[0:1], s[0:1], 1
	v_bfe_u32 v17, v12, 16, 1
	s_add_u32 s5, s6, s0
	s_addc_u32 s6, s7, s1
	s_ashr_i32 s3, s2, 31
	v_cmp_u_f32_e32 vcc_lo, v13, v13
	s_lshl_b64 s[0:1], s[2:3], 1
	s_mul_i32 s4, s8, 0x70
	s_add_u32 s2, s5, s0
	s_addc_u32 s3, s6, s1
	s_ashr_i32 s5, s4, 31
	v_lshrrev_b32_e32 v14, 1, v101
	s_lshl_b64 s[0:1], s[4:5], 1
	v_cndmask_b32_e32 v13, v15, v16, vcc_lo
	v_bfe_u32 v15, v11, 16, 1
	v_add3_u32 v16, v17, v12, 0x7fff
	v_or_b32_e32 v17, 0x400000, v12
	v_cmp_u_f32_e32 vcc_lo, v12, v12
	s_add_u32 s0, s2, s0
	s_addc_u32 s1, s3, s1
	global_store_short_d16_hi v14, v13, s[0:1]
	v_add3_u32 v13, v15, v11, 0x7fff
	v_or_b32_e32 v15, 0x400000, v11
	v_cndmask_b32_e32 v12, v16, v17, vcc_lo
	v_bfe_u32 v16, v10, 16, 1
	v_cmp_u_f32_e32 vcc_lo, v11, v11
	global_store_short_d16_hi v14, v12, s[0:1] offset:16
	v_add3_u32 v12, v16, v10, 0x7fff
	v_cndmask_b32_e32 v11, v13, v15, vcc_lo
	v_bfe_u32 v13, v9, 16, 1
	v_or_b32_e32 v15, 0x400000, v10
	v_cmp_u_f32_e32 vcc_lo, v10, v10
	global_store_short_d16_hi v14, v11, s[0:1] offset:32
	v_add3_u32 v11, v13, v9, 0x7fff
	v_or_b32_e32 v13, 0x400000, v9
	v_cndmask_b32_e32 v10, v12, v15, vcc_lo
	v_bfe_u32 v12, v8, 16, 1
	v_cmp_u_f32_e32 vcc_lo, v9, v9
	global_store_short_d16_hi v14, v10, s[0:1] offset:48
	v_add3_u32 v10, v12, v8, 0x7fff
	v_cndmask_b32_e32 v9, v11, v13, vcc_lo
	v_bfe_u32 v11, v7, 16, 1
	v_or_b32_e32 v12, 0x400000, v8
	v_cmp_u_f32_e32 vcc_lo, v8, v8
	global_store_short_d16_hi v14, v9, s[0:1] offset:64
	;; [unrolled: 12-line block ×3, first 2 shown]
	v_add3_u32 v7, v9, v5, 0x7fff
	v_or_b32_e32 v9, 0x400000, v5
	v_cndmask_b32_e32 v6, v8, v10, vcc_lo
	v_bfe_u32 v8, v4, 16, 1
	v_cmp_u_f32_e32 vcc_lo, v5, v5
	v_or_b32_e32 v10, 0x400000, v2
	global_store_short_d16_hi v14, v6, s[0:1] offset:112
	v_add3_u32 v6, v8, v4, 0x7fff
	v_cndmask_b32_e32 v5, v7, v9, vcc_lo
	v_bfe_u32 v7, v3, 16, 1
	v_or_b32_e32 v8, 0x400000, v4
	v_cmp_u_f32_e32 vcc_lo, v4, v4
	v_or_b32_e32 v9, 0x400000, v1
	global_store_short_d16_hi v14, v5, s[0:1] offset:128
	v_add3_u32 v5, v7, v3, 0x7fff
	v_or_b32_e32 v7, 0x400000, v3
	v_cndmask_b32_e32 v4, v6, v8, vcc_lo
	v_bfe_u32 v6, v0, 16, 1
	v_cmp_u_f32_e32 vcc_lo, v3, v3
	v_bfe_u32 v8, v1, 16, 1
	v_add3_u32 v6, v6, v0, 0x7fff
	v_cndmask_b32_e32 v3, v5, v7, vcc_lo
	v_or_b32_e32 v7, 0x400000, v0
	v_cmp_u_f32_e32 vcc_lo, v0, v0
	v_bfe_u32 v5, v2, 16, 1
	v_add3_u32 v8, v8, v1, 0x7fff
	v_cndmask_b32_e32 v0, v6, v7, vcc_lo
	v_cmp_u_f32_e32 vcc_lo, v1, v1
	v_add3_u32 v5, v5, v2, 0x7fff
	v_cndmask_b32_e32 v1, v8, v9, vcc_lo
	v_cmp_u_f32_e32 vcc_lo, v2, v2
	v_cndmask_b32_e32 v2, v5, v10, vcc_lo
	global_store_short_d16_hi v14, v4, s[0:1] offset:144
	global_store_short_d16_hi v14, v3, s[0:1] offset:160
	;; [unrolled: 1-line block ×5, first 2 shown]
.LBB148_105:
	s_endpgm
.LBB148_106:
	ds_read_b32 v16, v14
	s_waitcnt lgkmcnt(0)
	v_add_f32_e32 v13, v13, v16
	s_or_b32 exec_lo, exec_lo, s0
	s_and_saveexec_b32 s0, vcc_lo
	s_cbranch_execz .LBB148_70
.LBB148_107:
	ds_read_b32 v16, v14 offset:32
	s_waitcnt lgkmcnt(0)
	v_add_f32_e32 v12, v12, v16
	s_or_b32 exec_lo, exec_lo, s0
	s_and_saveexec_b32 s0, vcc_lo
	s_cbranch_execz .LBB148_71
.LBB148_108:
	ds_read_b32 v16, v14 offset:64
	s_waitcnt lgkmcnt(0)
	v_add_f32_e32 v11, v11, v16
	s_or_b32 exec_lo, exec_lo, s0
	s_and_saveexec_b32 s0, vcc_lo
	s_cbranch_execz .LBB148_72
.LBB148_109:
	ds_read_b32 v16, v14 offset:96
	s_waitcnt lgkmcnt(0)
	v_add_f32_e32 v10, v10, v16
	s_or_b32 exec_lo, exec_lo, s0
	s_and_saveexec_b32 s0, vcc_lo
	s_cbranch_execz .LBB148_73
.LBB148_110:
	ds_read_b32 v16, v14 offset:128
	s_waitcnt lgkmcnt(0)
	v_add_f32_e32 v9, v9, v16
	s_or_b32 exec_lo, exec_lo, s0
	s_and_saveexec_b32 s0, vcc_lo
	s_cbranch_execz .LBB148_74
.LBB148_111:
	ds_read_b32 v16, v14 offset:160
	s_waitcnt lgkmcnt(0)
	v_add_f32_e32 v8, v8, v16
	s_or_b32 exec_lo, exec_lo, s0
	s_and_saveexec_b32 s0, vcc_lo
	s_cbranch_execz .LBB148_75
.LBB148_112:
	ds_read_b32 v16, v14 offset:192
	s_waitcnt lgkmcnt(0)
	v_add_f32_e32 v7, v7, v16
	s_or_b32 exec_lo, exec_lo, s0
	s_and_saveexec_b32 s0, vcc_lo
	s_cbranch_execz .LBB148_76
.LBB148_113:
	ds_read_b32 v16, v14 offset:224
	s_waitcnt lgkmcnt(0)
	v_add_f32_e32 v6, v6, v16
	s_or_b32 exec_lo, exec_lo, s0
	s_and_saveexec_b32 s0, vcc_lo
	s_cbranch_execz .LBB148_77
.LBB148_114:
	ds_read_b32 v16, v14 offset:256
	s_waitcnt lgkmcnt(0)
	v_add_f32_e32 v5, v5, v16
	s_or_b32 exec_lo, exec_lo, s0
	s_and_saveexec_b32 s0, vcc_lo
	s_cbranch_execz .LBB148_78
.LBB148_115:
	ds_read_b32 v16, v14 offset:288
	s_waitcnt lgkmcnt(0)
	v_add_f32_e32 v4, v4, v16
	s_or_b32 exec_lo, exec_lo, s0
	s_and_saveexec_b32 s0, vcc_lo
	s_cbranch_execz .LBB148_79
.LBB148_116:
	ds_read_b32 v16, v14 offset:320
	s_waitcnt lgkmcnt(0)
	v_add_f32_e32 v3, v3, v16
	s_or_b32 exec_lo, exec_lo, s0
	s_and_saveexec_b32 s0, vcc_lo
	s_cbranch_execz .LBB148_80
.LBB148_117:
	ds_read_b32 v16, v14 offset:352
	s_waitcnt lgkmcnt(0)
	v_add_f32_e32 v0, v0, v16
	s_or_b32 exec_lo, exec_lo, s0
	s_and_saveexec_b32 s0, vcc_lo
	s_cbranch_execz .LBB148_81
.LBB148_118:
	ds_read_b32 v16, v14 offset:384
	s_waitcnt lgkmcnt(0)
	v_add_f32_e32 v1, v1, v16
	s_or_b32 exec_lo, exec_lo, s0
	s_and_saveexec_b32 s0, vcc_lo
	s_cbranch_execnz .LBB148_82
	s_branch .LBB148_83
.LBB148_119:
	ds_read_b32 v15, v14
	s_waitcnt lgkmcnt(0)
	v_add_f32_e32 v13, v13, v15
	s_or_b32 exec_lo, exec_lo, s0
	s_and_saveexec_b32 s0, vcc_lo
	s_cbranch_execz .LBB148_89
.LBB148_120:
	ds_read_b32 v15, v14 offset:32
	s_waitcnt lgkmcnt(0)
	v_add_f32_e32 v12, v12, v15
	s_or_b32 exec_lo, exec_lo, s0
	s_and_saveexec_b32 s0, vcc_lo
	s_cbranch_execz .LBB148_90
.LBB148_121:
	ds_read_b32 v15, v14 offset:64
	s_waitcnt lgkmcnt(0)
	v_add_f32_e32 v11, v11, v15
	s_or_b32 exec_lo, exec_lo, s0
	s_and_saveexec_b32 s0, vcc_lo
	s_cbranch_execz .LBB148_91
.LBB148_122:
	ds_read_b32 v15, v14 offset:96
	s_waitcnt lgkmcnt(0)
	v_add_f32_e32 v10, v10, v15
	s_or_b32 exec_lo, exec_lo, s0
	s_and_saveexec_b32 s0, vcc_lo
	s_cbranch_execz .LBB148_92
.LBB148_123:
	ds_read_b32 v15, v14 offset:128
	s_waitcnt lgkmcnt(0)
	v_add_f32_e32 v9, v9, v15
	s_or_b32 exec_lo, exec_lo, s0
	s_and_saveexec_b32 s0, vcc_lo
	s_cbranch_execz .LBB148_93
.LBB148_124:
	ds_read_b32 v15, v14 offset:160
	s_waitcnt lgkmcnt(0)
	v_add_f32_e32 v8, v8, v15
	s_or_b32 exec_lo, exec_lo, s0
	s_and_saveexec_b32 s0, vcc_lo
	s_cbranch_execz .LBB148_94
.LBB148_125:
	ds_read_b32 v15, v14 offset:192
	s_waitcnt lgkmcnt(0)
	v_add_f32_e32 v7, v7, v15
	s_or_b32 exec_lo, exec_lo, s0
	s_and_saveexec_b32 s0, vcc_lo
	s_cbranch_execz .LBB148_95
.LBB148_126:
	ds_read_b32 v15, v14 offset:224
	s_waitcnt lgkmcnt(0)
	v_add_f32_e32 v6, v6, v15
	s_or_b32 exec_lo, exec_lo, s0
	s_and_saveexec_b32 s0, vcc_lo
	s_cbranch_execz .LBB148_96
.LBB148_127:
	ds_read_b32 v15, v14 offset:256
	s_waitcnt lgkmcnt(0)
	v_add_f32_e32 v5, v5, v15
	s_or_b32 exec_lo, exec_lo, s0
	s_and_saveexec_b32 s0, vcc_lo
	s_cbranch_execz .LBB148_97
.LBB148_128:
	ds_read_b32 v15, v14 offset:288
	s_waitcnt lgkmcnt(0)
	v_add_f32_e32 v4, v4, v15
	s_or_b32 exec_lo, exec_lo, s0
	s_and_saveexec_b32 s0, vcc_lo
	s_cbranch_execz .LBB148_98
.LBB148_129:
	ds_read_b32 v15, v14 offset:320
	s_waitcnt lgkmcnt(0)
	v_add_f32_e32 v3, v3, v15
	s_or_b32 exec_lo, exec_lo, s0
	s_and_saveexec_b32 s0, vcc_lo
	s_cbranch_execz .LBB148_99
.LBB148_130:
	ds_read_b32 v15, v14 offset:352
	s_waitcnt lgkmcnt(0)
	v_add_f32_e32 v0, v0, v15
	s_or_b32 exec_lo, exec_lo, s0
	s_and_saveexec_b32 s0, vcc_lo
	s_cbranch_execz .LBB148_100
.LBB148_131:
	ds_read_b32 v15, v14 offset:384
	s_waitcnt lgkmcnt(0)
	v_add_f32_e32 v1, v1, v15
	s_or_b32 exec_lo, exec_lo, s0
	s_and_saveexec_b32 s0, vcc_lo
	s_cbranch_execnz .LBB148_101
	s_branch .LBB148_102
	.section	.rodata,"a",@progbits
	.p2align	6, 0x0
	.amdhsa_kernel _ZN4vllm25paged_attention_v1_kernelI14__hip_bfloat16S1_Li112ELi32ELi128ELNS_18Fp8KVCacheDataTypeE0ELb1EEEvPT_PKS3_PKT0_S9_ifPKiSB_iPKfiiiSD_SD_iiiii
		.amdhsa_group_segment_fixed_size 256
		.amdhsa_private_segment_fixed_size 272
		.amdhsa_kernarg_size 384
		.amdhsa_user_sgpr_count 6
		.amdhsa_user_sgpr_private_segment_buffer 1
		.amdhsa_user_sgpr_dispatch_ptr 0
		.amdhsa_user_sgpr_queue_ptr 0
		.amdhsa_user_sgpr_kernarg_segment_ptr 1
		.amdhsa_user_sgpr_dispatch_id 0
		.amdhsa_user_sgpr_flat_scratch_init 0
		.amdhsa_user_sgpr_private_segment_size 0
		.amdhsa_wavefront_size32 1
		.amdhsa_uses_dynamic_stack 0
		.amdhsa_system_sgpr_private_segment_wavefront_offset 1
		.amdhsa_system_sgpr_workgroup_id_x 1
		.amdhsa_system_sgpr_workgroup_id_y 1
		.amdhsa_system_sgpr_workgroup_id_z 1
		.amdhsa_system_sgpr_workgroup_info 0
		.amdhsa_system_vgpr_workitem_id 0
		.amdhsa_next_free_vgpr 128
		.amdhsa_next_free_sgpr 44
		.amdhsa_reserve_vcc 1
		.amdhsa_reserve_flat_scratch 0
		.amdhsa_float_round_mode_32 0
		.amdhsa_float_round_mode_16_64 0
		.amdhsa_float_denorm_mode_32 3
		.amdhsa_float_denorm_mode_16_64 3
		.amdhsa_dx10_clamp 1
		.amdhsa_ieee_mode 1
		.amdhsa_fp16_overflow 0
		.amdhsa_workgroup_processor_mode 1
		.amdhsa_memory_ordered 1
		.amdhsa_forward_progress 1
		.amdhsa_shared_vgpr_count 0
		.amdhsa_exception_fp_ieee_invalid_op 0
		.amdhsa_exception_fp_denorm_src 0
		.amdhsa_exception_fp_ieee_div_zero 0
		.amdhsa_exception_fp_ieee_overflow 0
		.amdhsa_exception_fp_ieee_underflow 0
		.amdhsa_exception_fp_ieee_inexact 0
		.amdhsa_exception_int_div_zero 0
	.end_amdhsa_kernel
	.section	.text._ZN4vllm25paged_attention_v1_kernelI14__hip_bfloat16S1_Li112ELi32ELi128ELNS_18Fp8KVCacheDataTypeE0ELb1EEEvPT_PKS3_PKT0_S9_ifPKiSB_iPKfiiiSD_SD_iiiii,"axG",@progbits,_ZN4vllm25paged_attention_v1_kernelI14__hip_bfloat16S1_Li112ELi32ELi128ELNS_18Fp8KVCacheDataTypeE0ELb1EEEvPT_PKS3_PKT0_S9_ifPKiSB_iPKfiiiSD_SD_iiiii,comdat
.Lfunc_end148:
	.size	_ZN4vllm25paged_attention_v1_kernelI14__hip_bfloat16S1_Li112ELi32ELi128ELNS_18Fp8KVCacheDataTypeE0ELb1EEEvPT_PKS3_PKT0_S9_ifPKiSB_iPKfiiiSD_SD_iiiii, .Lfunc_end148-_ZN4vllm25paged_attention_v1_kernelI14__hip_bfloat16S1_Li112ELi32ELi128ELNS_18Fp8KVCacheDataTypeE0ELb1EEEvPT_PKS3_PKT0_S9_ifPKiSB_iPKfiiiSD_SD_iiiii
                                        ; -- End function
	.set _ZN4vllm25paged_attention_v1_kernelI14__hip_bfloat16S1_Li112ELi32ELi128ELNS_18Fp8KVCacheDataTypeE0ELb1EEEvPT_PKS3_PKT0_S9_ifPKiSB_iPKfiiiSD_SD_iiiii.num_vgpr, 128
	.set _ZN4vllm25paged_attention_v1_kernelI14__hip_bfloat16S1_Li112ELi32ELi128ELNS_18Fp8KVCacheDataTypeE0ELb1EEEvPT_PKS3_PKT0_S9_ifPKiSB_iPKfiiiSD_SD_iiiii.num_agpr, 0
	.set _ZN4vllm25paged_attention_v1_kernelI14__hip_bfloat16S1_Li112ELi32ELi128ELNS_18Fp8KVCacheDataTypeE0ELb1EEEvPT_PKS3_PKT0_S9_ifPKiSB_iPKfiiiSD_SD_iiiii.numbered_sgpr, 44
	.set _ZN4vllm25paged_attention_v1_kernelI14__hip_bfloat16S1_Li112ELi32ELi128ELNS_18Fp8KVCacheDataTypeE0ELb1EEEvPT_PKS3_PKT0_S9_ifPKiSB_iPKfiiiSD_SD_iiiii.num_named_barrier, 0
	.set _ZN4vllm25paged_attention_v1_kernelI14__hip_bfloat16S1_Li112ELi32ELi128ELNS_18Fp8KVCacheDataTypeE0ELb1EEEvPT_PKS3_PKT0_S9_ifPKiSB_iPKfiiiSD_SD_iiiii.private_seg_size, 272
	.set _ZN4vllm25paged_attention_v1_kernelI14__hip_bfloat16S1_Li112ELi32ELi128ELNS_18Fp8KVCacheDataTypeE0ELb1EEEvPT_PKS3_PKT0_S9_ifPKiSB_iPKfiiiSD_SD_iiiii.uses_vcc, 1
	.set _ZN4vllm25paged_attention_v1_kernelI14__hip_bfloat16S1_Li112ELi32ELi128ELNS_18Fp8KVCacheDataTypeE0ELb1EEEvPT_PKS3_PKT0_S9_ifPKiSB_iPKfiiiSD_SD_iiiii.uses_flat_scratch, 0
	.set _ZN4vllm25paged_attention_v1_kernelI14__hip_bfloat16S1_Li112ELi32ELi128ELNS_18Fp8KVCacheDataTypeE0ELb1EEEvPT_PKS3_PKT0_S9_ifPKiSB_iPKfiiiSD_SD_iiiii.has_dyn_sized_stack, 0
	.set _ZN4vllm25paged_attention_v1_kernelI14__hip_bfloat16S1_Li112ELi32ELi128ELNS_18Fp8KVCacheDataTypeE0ELb1EEEvPT_PKS3_PKT0_S9_ifPKiSB_iPKfiiiSD_SD_iiiii.has_recursion, 0
	.set _ZN4vllm25paged_attention_v1_kernelI14__hip_bfloat16S1_Li112ELi32ELi128ELNS_18Fp8KVCacheDataTypeE0ELb1EEEvPT_PKS3_PKT0_S9_ifPKiSB_iPKfiiiSD_SD_iiiii.has_indirect_call, 0
	.section	.AMDGPU.csdata,"",@progbits
; Kernel info:
; codeLenInByte = 18940
; TotalNumSgprs: 46
; NumVgprs: 128
; ScratchSize: 272
; MemoryBound: 0
; FloatMode: 240
; IeeeMode: 1
; LDSByteSize: 256 bytes/workgroup (compile time only)
; SGPRBlocks: 0
; VGPRBlocks: 15
; NumSGPRsForWavesPerEU: 46
; NumVGPRsForWavesPerEU: 128
; Occupancy: 8
; WaveLimiterHint : 1
; COMPUTE_PGM_RSRC2:SCRATCH_EN: 1
; COMPUTE_PGM_RSRC2:USER_SGPR: 6
; COMPUTE_PGM_RSRC2:TRAP_HANDLER: 0
; COMPUTE_PGM_RSRC2:TGID_X_EN: 1
; COMPUTE_PGM_RSRC2:TGID_Y_EN: 1
; COMPUTE_PGM_RSRC2:TGID_Z_EN: 1
; COMPUTE_PGM_RSRC2:TIDIG_COMP_CNT: 0
	.section	.text._ZN4vllm25paged_attention_v1_kernelI14__hip_bfloat16S1_Li120ELi32ELi128ELNS_18Fp8KVCacheDataTypeE0ELb1EEEvPT_PKS3_PKT0_S9_ifPKiSB_iPKfiiiSD_SD_iiiii,"axG",@progbits,_ZN4vllm25paged_attention_v1_kernelI14__hip_bfloat16S1_Li120ELi32ELi128ELNS_18Fp8KVCacheDataTypeE0ELb1EEEvPT_PKS3_PKT0_S9_ifPKiSB_iPKfiiiSD_SD_iiiii,comdat
	.protected	_ZN4vllm25paged_attention_v1_kernelI14__hip_bfloat16S1_Li120ELi32ELi128ELNS_18Fp8KVCacheDataTypeE0ELb1EEEvPT_PKS3_PKT0_S9_ifPKiSB_iPKfiiiSD_SD_iiiii ; -- Begin function _ZN4vllm25paged_attention_v1_kernelI14__hip_bfloat16S1_Li120ELi32ELi128ELNS_18Fp8KVCacheDataTypeE0ELb1EEEvPT_PKS3_PKT0_S9_ifPKiSB_iPKfiiiSD_SD_iiiii
	.globl	_ZN4vllm25paged_attention_v1_kernelI14__hip_bfloat16S1_Li120ELi32ELi128ELNS_18Fp8KVCacheDataTypeE0ELb1EEEvPT_PKS3_PKT0_S9_ifPKiSB_iPKfiiiSD_SD_iiiii
	.p2align	8
	.type	_ZN4vllm25paged_attention_v1_kernelI14__hip_bfloat16S1_Li120ELi32ELi128ELNS_18Fp8KVCacheDataTypeE0ELb1EEEvPT_PKS3_PKT0_S9_ifPKiSB_iPKfiiiSD_SD_iiiii,@function
_ZN4vllm25paged_attention_v1_kernelI14__hip_bfloat16S1_Li120ELi32ELi128ELNS_18Fp8KVCacheDataTypeE0ELb1EEEvPT_PKS3_PKT0_S9_ifPKiSB_iPKfiiiSD_SD_iiiii: ; @_ZN4vllm25paged_attention_v1_kernelI14__hip_bfloat16S1_Li120ELi32ELi128ELNS_18Fp8KVCacheDataTypeE0ELb1EEEvPT_PKS3_PKT0_S9_ifPKiSB_iPKfiiiSD_SD_iiiii
; %bb.0:
	s_mov_b64 s[42:43], s[2:3]
	s_mov_b64 s[40:41], s[0:1]
	s_mov_b32 s10, s7
	s_add_u32 s40, s40, s9
	s_clause 0x2
	s_load_dword s9, s[4:5], 0x80
	s_load_dwordx2 s[0:1], s[4:5], 0x30
	s_load_dwordx2 s[2:3], s[4:5], 0x20
	s_addc_u32 s41, s41, 0
	s_ashr_i32 s11, s7, 31
	v_mov_b32_e32 v106, v0
	s_lshl_b64 s[12:13], s[10:11], 2
	s_mov_b32 s31, 0
	s_waitcnt lgkmcnt(0)
	s_add_u32 s0, s0, s12
	s_addc_u32 s1, s1, s13
	s_abs_i32 s7, s2
	s_abs_i32 s13, s9
	v_cvt_f32_u32_e32 v0, s7
	s_sub_i32 s12, 0, s7
	v_rcp_iflag_f32_e32 v0, v0
	v_mul_f32_e32 v0, 0x4f7ffffe, v0
	v_cvt_u32_f32_e32 v0, v0
	v_readfirstlane_b32 s11, v0
	s_mul_i32 s12, s12, s11
	s_mul_hi_u32 s12, s11, s12
	s_add_i32 s11, s11, s12
	s_xor_b32 s12, s9, s2
	s_mul_hi_u32 s11, s13, s11
	s_ashr_i32 s12, s12, 31
	s_mul_i32 s14, s11, s7
	s_sub_i32 s13, s13, s14
	s_add_i32 s14, s11, 1
	s_sub_i32 s15, s13, s7
	s_cmp_ge_u32 s13, s7
	s_cselect_b32 s11, s14, s11
	s_cselect_b32 s13, s15, s13
	s_add_i32 s14, s11, 1
	s_cmp_ge_u32 s13, s7
	s_cselect_b32 s7, s14, s11
	s_abs_i32 s22, s6
	s_xor_b32 s7, s7, s12
	s_sub_i32 s16, s7, s12
	s_load_dwordx2 s[12:13], s[4:5], 0x40
	s_abs_i32 s11, s16
	v_cvt_f32_u32_e32 v0, s11
	s_sub_i32 s14, 0, s11
	v_rcp_iflag_f32_e32 v0, v0
	v_mul_f32_e32 v0, 0x4f7ffffe, v0
	v_cvt_u32_f32_e32 v0, v0
	v_readfirstlane_b32 s7, v0
	s_mul_i32 s14, s14, s7
	s_mul_hi_u32 s14, s7, s14
	s_add_i32 s7, s7, s14
	s_waitcnt lgkmcnt(0)
	s_cmp_eq_u64 s[12:13], 0
	s_mul_hi_u32 s23, s22, s7
	s_cbranch_scc1 .LBB149_2
; %bb.1:
	s_ashr_i32 s7, s6, 31
	s_lshl_b64 s[14:15], s[6:7], 2
	s_add_u32 s12, s12, s14
	s_addc_u32 s13, s13, s15
	s_load_dword s31, s[12:13], 0x0
.LBB149_2:
	s_load_dword s28, s[0:1], 0x0
	s_load_dwordx4 s[12:15], s[4:5], 0x48
	v_lshlrev_b32_e32 v10, 4, v106
	s_ashr_i32 s0, s6, 31
	s_ashr_i32 s1, s16, 31
	s_mul_i32 s20, s6, 0x78
	s_mov_b32 s7, exec_lo
	v_cmpx_gt_u32_e32 15, v106
	s_cbranch_execz .LBB149_4
; %bb.3:
	s_load_dwordx2 s[16:17], s[4:5], 0x8
	s_waitcnt lgkmcnt(0)
	s_mul_i32 s18, s12, s10
	s_ashr_i32 s19, s18, 31
	s_lshl_b64 s[18:19], s[18:19], 1
	s_add_u32 s12, s16, s18
	s_addc_u32 s15, s17, s19
	s_ashr_i32 s21, s20, 31
	s_lshl_b64 s[16:17], s[20:21], 1
	s_add_u32 s16, s12, s16
	s_addc_u32 s17, s15, s17
	global_load_dwordx4 v[0:3], v10, s[16:17]
	s_waitcnt vmcnt(0)
	ds_write_b128 v10, v[0:3]
.LBB149_4:
	s_or_b32 exec_lo, exec_lo, s7
	s_load_dwordx4 s[16:19], s[4:5], 0x68
	s_mul_i32 s7, s23, s11
	s_xor_b32 s1, s0, s1
	s_sub_i32 s0, s22, s7
	s_add_i32 s7, s23, 1
	s_waitcnt lgkmcnt(0)
	s_sub_i32 s12, s0, s11
	s_cmp_ge_u32 s0, s11
	s_mov_b32 s24, -1
	s_cselect_b32 s7, s7, s23
	s_cselect_b32 s0, s12, s0
	s_add_i32 s12, s7, 1
	s_cmp_ge_u32 s0, s11
	s_load_dword s0, s[4:5], 0x78
	s_cselect_b32 s7, s12, s7
	s_add_i32 s11, s28, -1
	s_xor_b32 s7, s7, s1
	s_waitcnt lgkmcnt(0)
	s_sub_i32 s1, s7, s1
	s_barrier
	buffer_gl0_inv
	s_abs_i32 s12, s19
                                        ; implicit-def: $sgpr29
	v_cvt_f32_u32_e32 v0, s12
	s_sub_i32 s7, 0, s12
	v_rcp_iflag_f32_e32 v0, v0
	v_mul_f32_e32 v0, 0x4f7ffffe, v0
	v_cvt_u32_f32_e32 v0, v0
	v_readfirstlane_b32 s21, v0
	s_mul_i32 s7, s7, s21
	s_mul_hi_u32 s15, s21, s7
	s_abs_i32 s7, s11
	s_add_i32 s21, s21, s15
	s_cmp_lt_i32 s0, 0
	s_mul_hi_u32 s15, s7, s21
	s_cbranch_scc0 .LBB149_6
; %bb.5:
	s_mul_i32 s2, s16, s2
	s_mov_b32 s24, 0
	s_add_i32 s2, s1, s2
	s_mul_i32 s2, s2, s0
	s_sub_i32 s29, 1, s2
.LBB149_6:
	s_load_dwordx2 s[22:23], s[4:5], 0x28
	s_ashr_i32 s2, s11, 31
	s_andn2_b32 vcc_lo, exec_lo, s24
	s_ashr_i32 s19, s19, 31
	s_cbranch_vccnz .LBB149_8
; %bb.7:
	s_mul_i32 s11, s9, s16
	s_add_i32 s6, s11, s6
	s_mul_i32 s0, s6, s0
	s_add_i32 s29, s0, 1
.LBB149_8:
	s_load_dword s0, s[4:5], 0x38
	s_mul_i32 s6, s15, s12
	s_xor_b32 s2, s2, s19
	s_sub_i32 s30, s7, s6
	s_add_i32 s16, s15, 1
	s_clause 0x2
	s_load_dwordx2 s[6:7], s[4:5], 0x0
	s_load_dwordx2 s[26:27], s[4:5], 0x18
	s_load_dword s11, s[4:5], 0x88
	v_lshrrev_b32_e32 v107, 5, v106
	v_and_b32_e32 v0, 31, v106
	v_mov_b32_e32 v84, 0xff7fffff
	v_lshrrev_b32_e32 v14, 3, v106
	s_mul_i32 s14, s1, s14
	v_lshlrev_b32_e32 v73, 5, v107
	v_lshlrev_b32_e32 v15, 2, v0
	buffer_store_dword v0, off, s[40:43], 0 ; 4-byte Folded Spill
	s_waitcnt lgkmcnt(0)
	s_mul_i32 s24, s0, s10
	s_sub_i32 s0, s30, s12
	s_ashr_i32 s25, s24, 31
	s_cmp_ge_u32 s30, s12
	s_cselect_b32 s15, s16, s15
	s_cselect_b32 s0, s0, s30
	s_add_i32 s16, s15, 1
	s_cmp_ge_u32 s0, s12
	s_cselect_b32 s0, s16, s15
	s_add_i32 s15, s28, 31
	s_ashr_i32 s16, s15, 31
	s_lshr_b32 s16, s16, 27
	s_add_i32 s15, s15, s16
	s_ashr_i32 s16, s15, 5
	s_xor_b32 s15, s0, s2
	v_cmp_gt_i32_e64 s0, s16, v107
	s_sub_i32 s30, s15, s2
	s_and_saveexec_b32 s33, s0
	s_cbranch_execz .LBB149_16
; %bb.9:
	v_mov_b32_e32 v1, 0
	buffer_store_dword v10, off, s[40:43], 0 offset:288 ; 4-byte Folded Spill
	buffer_store_dword v106, off, s[40:43], 0 offset:280 ; 4-byte Folded Spill
	s_load_dwordx2 s[34:35], s[4:5], 0x10
	s_ashr_i32 s15, s14, 31
	s_sub_i32 s4, s30, s17
	ds_read_b128 v[2:5], v1
	ds_read_b128 v[6:9], v1 offset:16
	ds_read_b128 v[10:13], v1 offset:32
	s_lshl_b64 s[36:37], s[14:15], 1
	v_mov_b32_e32 v91, v107
	v_cmp_neq_f32_e64 vcc_lo, s31, 0
	v_mov_b32_e32 v84, 0xff7fffff
	v_lshlrev_b32_e32 v90, 5, v91
	s_waitcnt lgkmcnt(0)
	s_add_u32 s1, s34, s36
	v_and_b32_e32 v0, 0xffff0000, v2
	s_addc_u32 s2, s35, s37
	s_abs_i32 s5, s18
	s_lshl_b64 s[36:37], s[24:25], 2
	s_sub_i32 s15, 0, s5
	buffer_store_dword v0, off, s[40:43], 0 offset:4 ; 4-byte Folded Spill
	v_lshlrev_b32_e32 v0, 16, v2
	s_add_u32 s35, s22, s36
	s_addc_u32 s36, s23, s37
	s_mov_b32 s34, s13
	buffer_store_dword v0, off, s[40:43], 0 offset:8 ; 4-byte Folded Spill
	v_and_b32_e32 v0, 0xffff0000, v6
	buffer_store_dword v0, off, s[40:43], 0 offset:12 ; 4-byte Folded Spill
	v_lshlrev_b32_e32 v0, 16, v6
	buffer_store_dword v0, off, s[40:43], 0 offset:16 ; 4-byte Folded Spill
	v_and_b32_e32 v0, 0xffff0000, v3
	buffer_store_dword v0, off, s[40:43], 0 offset:20 ; 4-byte Folded Spill
	v_lshlrev_b32_e32 v0, 16, v3
	;; [unrolled: 4-line block ×5, first 2 shown]
	ds_read_b128 v[2:5], v1 offset:48
	buffer_store_dword v0, off, s[40:43], 0 offset:48 ; 4-byte Folded Spill
	v_and_b32_e32 v0, 0xffff0000, v8
	buffer_store_dword v0, off, s[40:43], 0 offset:52 ; 4-byte Folded Spill
	v_lshlrev_b32_e32 v0, 16, v8
	buffer_store_dword v0, off, s[40:43], 0 offset:56 ; 4-byte Folded Spill
	v_and_b32_e32 v0, 0xffff0000, v9
	buffer_store_dword v0, off, s[40:43], 0 offset:60 ; 4-byte Folded Spill
	v_lshlrev_b32_e32 v0, 16, v9
	;; [unrolled: 4-line block ×6, first 2 shown]
	buffer_store_dword v0, off, s[40:43], 0 offset:96 ; 4-byte Folded Spill
	s_waitcnt lgkmcnt(0)
	v_and_b32_e32 v0, 0xffff0000, v2
	buffer_store_dword v0, off, s[40:43], 0 offset:100 ; 4-byte Folded Spill
	v_lshlrev_b32_e32 v0, 16, v2
	buffer_store_dword v0, off, s[40:43], 0 offset:104 ; 4-byte Folded Spill
	v_and_b32_e32 v0, 0xffff0000, v3
	buffer_store_dword v0, off, s[40:43], 0 offset:108 ; 4-byte Folded Spill
	v_lshlrev_b32_e32 v0, 16, v3
	buffer_store_dword v0, off, s[40:43], 0 offset:112 ; 4-byte Folded Spill
	;; [unrolled: 4-line block ×4, first 2 shown]
	ds_read_b128 v[2:5], v1 offset:64
	ds_read_b128 v[6:9], v1 offset:80
	s_waitcnt lgkmcnt(1)
	v_and_b32_e32 v0, 0xffff0000, v2
	buffer_store_dword v0, off, s[40:43], 0 offset:132 ; 4-byte Folded Spill
	v_lshlrev_b32_e32 v0, 16, v2
	buffer_store_dword v0, off, s[40:43], 0 offset:136 ; 4-byte Folded Spill
	v_and_b32_e32 v0, 0xffff0000, v3
	buffer_store_dword v0, off, s[40:43], 0 offset:140 ; 4-byte Folded Spill
	v_lshlrev_b32_e32 v0, 16, v3
	buffer_store_dword v0, off, s[40:43], 0 offset:144 ; 4-byte Folded Spill
	;; [unrolled: 4-line block ×4, first 2 shown]
	s_waitcnt lgkmcnt(0)
	v_and_b32_e32 v0, 0xffff0000, v6
	buffer_store_dword v0, off, s[40:43], 0 offset:164 ; 4-byte Folded Spill
	v_lshlrev_b32_e32 v0, 16, v6
	buffer_store_dword v0, off, s[40:43], 0 offset:168 ; 4-byte Folded Spill
	v_and_b32_e32 v0, 0xffff0000, v7
	buffer_store_dword v0, off, s[40:43], 0 offset:172 ; 4-byte Folded Spill
	v_lshlrev_b32_e32 v0, 16, v7
	buffer_store_dword v0, off, s[40:43], 0 offset:176 ; 4-byte Folded Spill
	;; [unrolled: 4-line block ×4, first 2 shown]
	ds_read_b128 v[2:5], v1 offset:96
	ds_read_b128 v[6:9], v1 offset:112
	s_waitcnt lgkmcnt(1)
	v_and_b32_e32 v0, 0xffff0000, v2
	buffer_store_dword v0, off, s[40:43], 0 offset:196 ; 4-byte Folded Spill
	v_lshlrev_b32_e32 v0, 16, v2
	buffer_store_dword v0, off, s[40:43], 0 offset:200 ; 4-byte Folded Spill
	v_and_b32_e32 v0, 0xffff0000, v3
	buffer_store_dword v0, off, s[40:43], 0 offset:204 ; 4-byte Folded Spill
	v_lshlrev_b32_e32 v0, 16, v3
	buffer_store_dword v0, off, s[40:43], 0 offset:208 ; 4-byte Folded Spill
	;; [unrolled: 4-line block ×4, first 2 shown]
	s_waitcnt lgkmcnt(0)
	v_and_b32_e32 v0, 0xffff0000, v6
	buffer_store_dword v0, off, s[40:43], 0 offset:228 ; 4-byte Folded Spill
	v_lshlrev_b32_e32 v0, 16, v6
	buffer_store_dword v0, off, s[40:43], 0 offset:232 ; 4-byte Folded Spill
	v_and_b32_e32 v0, 0xffff0000, v7
	buffer_store_dword v0, off, s[40:43], 0 offset:236 ; 4-byte Folded Spill
	v_lshlrev_b32_e32 v0, 16, v7
	buffer_store_dword v0, off, s[40:43], 0 offset:240 ; 4-byte Folded Spill
	;; [unrolled: 4-line block ×4, first 2 shown]
	ds_read_b128 v[2:5], v1 offset:128
	ds_read_b128 v[6:9], v1 offset:144
	s_waitcnt lgkmcnt(1)
	v_and_b32_e32 v0, 0xffff0000, v2
	v_lshlrev_b32_e32 v118, 16, v4
	v_and_b32_e32 v119, 0xffff0000, v5
	v_lshlrev_b32_e32 v120, 16, v5
	s_waitcnt lgkmcnt(0)
	v_and_b32_e32 v121, 0xffff0000, v6
	buffer_store_dword v0, off, s[40:43], 0 offset:260 ; 4-byte Folded Spill
	v_lshlrev_b32_e32 v0, 16, v2
	v_lshlrev_b32_e32 v122, 16, v6
	v_and_b32_e32 v123, 0xffff0000, v7
	v_lshlrev_b32_e32 v124, 16, v7
	v_and_b32_e32 v125, 0xffff0000, v8
	buffer_store_dword v0, off, s[40:43], 0 offset:264 ; 4-byte Folded Spill
	v_and_b32_e32 v0, 0xffff0000, v3
	v_lshlrev_b32_e32 v126, 16, v8
	v_and_b32_e32 v127, 0xffff0000, v9
	v_lshlrev_b32_e32 v44, 16, v9
	buffer_store_dword v0, off, s[40:43], 0 offset:268 ; 4-byte Folded Spill
	v_lshlrev_b32_e32 v0, 16, v3
	buffer_store_dword v0, off, s[40:43], 0 offset:272 ; 4-byte Folded Spill
	v_and_b32_e32 v0, 0xffff0000, v4
	buffer_store_dword v0, off, s[40:43], 0 offset:276 ; 4-byte Folded Spill
	ds_read_b128 v[2:5], v1 offset:160
	ds_read_b128 v[6:9], v1 offset:176
	s_waitcnt lgkmcnt(1)
	v_and_b32_e32 v43, 0xffff0000, v2
	v_lshlrev_b32_e32 v45, 16, v2
	v_and_b32_e32 v71, 0xffff0000, v3
	v_lshlrev_b32_e32 v72, 16, v3
	;; [unrolled: 2-line block ×4, first 2 shown]
	s_waitcnt lgkmcnt(0)
	v_and_b32_e32 v49, 0xffff0000, v6
	v_lshlrev_b32_e32 v50, 16, v6
	v_and_b32_e32 v51, 0xffff0000, v7
	v_lshlrev_b32_e32 v52, 16, v7
	;; [unrolled: 2-line block ×4, first 2 shown]
	ds_read_b128 v[2:5], v1 offset:192
	ds_read_b128 v[6:9], v1 offset:208
	buffer_store_dword v14, off, s[40:43], 0 offset:292 ; 4-byte Folded Spill
	buffer_store_dword v15, off, s[40:43], 0 offset:296 ; 4-byte Folded Spill
	;; [unrolled: 1-line block ×3, first 2 shown]
	s_waitcnt lgkmcnt(1)
	v_and_b32_e32 v57, 0xffff0000, v2
	v_lshlrev_b32_e32 v58, 16, v2
	v_and_b32_e32 v59, 0xffff0000, v3
	v_lshlrev_b32_e32 v60, 16, v3
	;; [unrolled: 2-line block ×3, first 2 shown]
	ds_read_b128 v[1:4], v1 offset:224
	v_and_b32_e32 v63, 0xffff0000, v5
	v_lshlrev_b32_e32 v64, 16, v5
	s_waitcnt lgkmcnt(1)
	v_and_b32_e32 v65, 0xffff0000, v6
	v_lshlrev_b32_e32 v66, 16, v6
	v_and_b32_e32 v67, 0xffff0000, v7
	v_lshlrev_b32_e32 v68, 16, v7
	v_and_b32_e32 v69, 0xffff0000, v8
	v_lshlrev_b32_e32 v70, 16, v8
	v_and_b32_e32 v74, 0xffff0000, v9
	v_lshlrev_b32_e32 v75, 16, v9
	s_waitcnt lgkmcnt(0)
	v_and_b32_e32 v76, 0xffff0000, v1
	v_lshlrev_b32_e32 v77, 16, v1
	v_cvt_f32_u32_e32 v1, s5
	v_and_b32_e32 v78, 0xffff0000, v2
	v_lshlrev_b32_e32 v79, 16, v2
	v_and_b32_e32 v80, 0xffff0000, v3
	v_lshlrev_b32_e32 v81, 16, v3
	v_rcp_iflag_f32_e32 v1, v1
	v_and_b32_e32 v82, 0xffff0000, v4
	v_lshlrev_b32_e32 v83, 16, v4
	v_mul_f32_e32 v1, 0x4f7ffffe, v1
	v_cvt_u32_f32_e32 v1, v1
	v_mul_lo_u32 v2, s15, v1
	s_mov_b32 s15, 0
	v_mul_hi_u32 v2, v1, v2
	v_add_nc_u32_e32 v85, v1, v2
	buffer_load_dword v2, off, s[40:43], 0  ; 4-byte Folded Reload
	v_and_b32_e32 v1, 0x7c, v14
	v_add_co_u32 v41, s35, s35, v1
	v_add_co_ci_u32_e64 v42, null, s36, 0, s35
	s_waitcnt vmcnt(0)
	v_subrev_nc_u32_e32 v1, s28, v2
	v_add_nc_u32_e32 v86, 1, v1
	v_lshl_or_b32 v1, v91, 7, v15
	v_add_nc_u32_e32 v87, 0x110, v1
	v_lshlrev_b32_e32 v1, 4, v2
	v_add_co_u32 v88, s1, s1, v1
	v_add_co_ci_u32_e64 v89, null, s2, 0, s1
	s_branch .LBB149_11
.LBB149_10:                             ;   in Loop: Header=BB149_11 Depth=1
	s_or_b32 exec_lo, exec_lo, s35
	v_add_nc_u32_e32 v91, 4, v91
	v_add_co_u32 v41, s1, v41, 16
	v_add_co_ci_u32_e64 v42, null, 0, v42, s1
	v_cmp_le_i32_e64 s1, s16, v91
	v_add_nc_u32_e32 v90, 0x80, v90
	v_add_nc_u32_e32 v87, 0x200, v87
	s_or_b32 s15, s1, s15
	s_andn2_b32 exec_lo, exec_lo, s15
	s_cbranch_execz .LBB149_15
.LBB149_11:                             ; =>This Inner Loop Header: Depth=1
	v_mul_hi_u32 v1, v90, s21
	v_mul_lo_u32 v2, v1, s12
	v_add_nc_u32_e32 v3, 1, v1
	v_sub_nc_u32_e32 v2, v90, v2
	v_subrev_nc_u32_e32 v4, s12, v2
	v_cmp_le_u32_e64 s1, s12, v2
	v_cndmask_b32_e64 v1, v1, v3, s1
	v_cndmask_b32_e64 v2, v2, v4, s1
	v_add_nc_u32_e32 v3, 1, v1
	v_cmp_le_u32_e64 s1, s12, v2
	v_cndmask_b32_e64 v1, v1, v3, s1
	v_xor_b32_e32 v1, s19, v1
	v_subrev_nc_u32_e32 v1, s19, v1
	v_add_nc_u32_e32 v2, s29, v1
	v_cmp_ge_i32_e64 s2, s4, v1
	v_sub_nc_u32_e32 v3, 0, v2
	v_max_i32_e32 v3, v2, v3
	v_ashrrev_i32_e32 v2, 31, v2
	v_mul_hi_u32 v4, v3, v85
	v_mul_lo_u32 v4, v4, s5
	v_sub_nc_u32_e32 v3, v3, v4
	v_subrev_nc_u32_e32 v4, s5, v3
	v_cmp_le_u32_e64 s1, s5, v3
	v_cndmask_b32_e64 v3, v3, v4, s1
	v_subrev_nc_u32_e32 v4, s5, v3
	v_cmp_le_u32_e64 s1, s5, v3
	v_cndmask_b32_e64 v3, v3, v4, s1
	v_xor_b32_e32 v3, v3, v2
	v_sub_nc_u32_e32 v2, v3, v2
	v_cmp_ne_u32_e64 s1, 0, v2
	s_and_b32 s1, s1, s2
	s_and_saveexec_b32 s2, s1
	s_xor_b32 s1, exec_lo, s2
; %bb.12:                               ;   in Loop: Header=BB149_11 Depth=1
	v_mov_b32_e32 v1, 0xff7fffff
	ds_write_b32 v87, v1
; %bb.13:                               ;   in Loop: Header=BB149_11 Depth=1
	s_andn2_saveexec_b32 s35, s1
	s_cbranch_execz .LBB149_10
; %bb.14:                               ;   in Loop: Header=BB149_11 Depth=1
	global_load_dword v1, v[41:42], off
	buffer_load_dword v2, off, s[40:43], 0  ; 4-byte Folded Reload
	v_add_nc_u32_e32 v4, v86, v90
	v_cvt_f32_i32_e32 v4, v4
	v_mul_f32_e32 v4, s31, v4
	v_cndmask_b32_e32 v92, 0, v4, vcc_lo
	s_waitcnt vmcnt(0)
	v_add_nc_u32_e32 v3, v2, v90
	v_mad_i64_i32 v[1:2], null, v1, s34, 0
	v_lshlrev_b64 v[1:2], 1, v[1:2]
	v_add_co_u32 v1, s1, v88, v1
	v_add_co_ci_u32_e64 v2, null, v89, v2, s1
	v_cmp_gt_i32_e64 s1, s28, v3
	s_clause 0x2
	global_load_dwordx4 v[3:6], v[1:2], off
	global_load_dwordx4 v[7:10], v[1:2], off offset:512
	global_load_dwordx4 v[11:14], v[1:2], off offset:1024
	buffer_load_dword v17, off, s[40:43], 0 offset:12 ; 4-byte Folded Reload
	s_waitcnt vmcnt(3)
	v_and_b32_e32 v15, 0xffff0000, v3
	s_waitcnt vmcnt(2)
	v_lshlrev_b32_e32 v16, 16, v7
	v_and_b32_e32 v7, 0xffff0000, v7
	v_lshlrev_b32_e32 v3, 16, v3
	s_waitcnt vmcnt(0)
	v_mul_f32_e32 v93, v17, v7
	buffer_load_dword v7, off, s[40:43], 0 offset:16 ; 4-byte Folded Reload
	s_waitcnt vmcnt(0)
	v_mul_f32_e32 v94, v7, v16
	buffer_load_dword v7, off, s[40:43], 0 offset:8 ; 4-byte Folded Reload
	s_waitcnt vmcnt(0)
	v_fmac_f32_e32 v94, v7, v3
	buffer_load_dword v3, off, s[40:43], 0 offset:4 ; 4-byte Folded Reload
	v_and_b32_e32 v7, 0xffff0000, v11
	s_waitcnt vmcnt(0)
	v_fmac_f32_e32 v93, v3, v15
	v_lshlrev_b32_e32 v3, 16, v11
	buffer_load_dword v11, off, s[40:43], 0 offset:68 ; 4-byte Folded Reload
	s_waitcnt vmcnt(0)
	v_fmac_f32_e32 v93, v11, v7
	s_clause 0x1
	buffer_load_dword v7, off, s[40:43], 0 offset:72
	buffer_load_dword v11, off, s[40:43], 0 offset:28
	s_waitcnt vmcnt(1)
	v_fmac_f32_e32 v94, v7, v3
	v_lshlrev_b32_e32 v7, 16, v8
	v_and_b32_e32 v8, 0xffff0000, v8
	v_and_b32_e32 v3, 0xffff0000, v4
	v_lshlrev_b32_e32 v4, 16, v4
	s_waitcnt vmcnt(0)
	v_mul_f32_e32 v95, v11, v8
	buffer_load_dword v8, off, s[40:43], 0 offset:32 ; 4-byte Folded Reload
	s_waitcnt vmcnt(0)
	v_mul_f32_e32 v96, v8, v7
	s_clause 0x1
	buffer_load_dword v7, off, s[40:43], 0 offset:24
	buffer_load_dword v8, off, s[40:43], 0 offset:52
	s_waitcnt vmcnt(1)
	v_fmac_f32_e32 v96, v7, v4
	s_clause 0x1
	buffer_load_dword v4, off, s[40:43], 0 offset:20
	buffer_load_dword v7, off, s[40:43], 0 offset:76
	s_waitcnt vmcnt(1)
	v_fmac_f32_e32 v95, v4, v3
	v_and_b32_e32 v4, 0xffff0000, v12
	v_lshlrev_b32_e32 v3, 16, v12
	s_waitcnt vmcnt(0)
	v_fmac_f32_e32 v95, v7, v4
	buffer_load_dword v4, off, s[40:43], 0 offset:80 ; 4-byte Folded Reload
	v_and_b32_e32 v7, 0xffff0000, v9
	v_mul_f32_e32 v97, v8, v7
	buffer_load_dword v7, off, s[40:43], 0 offset:56 ; 4-byte Folded Reload
	s_waitcnt vmcnt(1)
	v_fmac_f32_e32 v96, v4, v3
	v_and_b32_e32 v3, 0xffff0000, v5
	v_lshlrev_b32_e32 v4, 16, v5
	v_lshlrev_b32_e32 v5, 16, v9
	s_waitcnt vmcnt(0)
	v_mul_f32_e32 v98, v7, v5
	s_clause 0x1
	buffer_load_dword v5, off, s[40:43], 0 offset:40
	buffer_load_dword v7, off, s[40:43], 0 offset:60
	s_waitcnt vmcnt(1)
	v_fmac_f32_e32 v98, v5, v4
	s_clause 0x1
	buffer_load_dword v4, off, s[40:43], 0 offset:36
	buffer_load_dword v5, off, s[40:43], 0 offset:84
	s_waitcnt vmcnt(1)
	v_fmac_f32_e32 v97, v4, v3
	v_and_b32_e32 v4, 0xffff0000, v13
	v_lshlrev_b32_e32 v3, 16, v13
	s_waitcnt vmcnt(0)
	v_fmac_f32_e32 v97, v5, v4
	buffer_load_dword v4, off, s[40:43], 0 offset:88 ; 4-byte Folded Reload
	v_lshlrev_b32_e32 v5, 16, v10
	s_waitcnt vmcnt(0)
	v_fmac_f32_e32 v98, v4, v3
	v_and_b32_e32 v3, 0xffff0000, v6
	v_lshlrev_b32_e32 v4, 16, v6
	v_and_b32_e32 v6, 0xffff0000, v10
	v_mul_f32_e32 v99, v7, v6
	buffer_load_dword v6, off, s[40:43], 0 offset:64 ; 4-byte Folded Reload
	v_add_co_u32 v7, s2, 0x800, v1
	v_add_co_ci_u32_e64 v8, null, 0, v2, s2
	v_add_co_u32 v9, s2, v1, 0x1000
	v_add_co_ci_u32_e64 v10, null, 0, v2, s2
	s_waitcnt vmcnt(0)
	v_mul_f32_e32 v100, v6, v5
	buffer_load_dword v5, off, s[40:43], 0 offset:48 ; 4-byte Folded Reload
	s_waitcnt vmcnt(0)
	v_fmac_f32_e32 v100, v5, v4
	s_clause 0x1
	buffer_load_dword v4, off, s[40:43], 0 offset:44
	buffer_load_dword v5, off, s[40:43], 0 offset:92
	s_waitcnt vmcnt(1)
	v_fmac_f32_e32 v99, v4, v3
	v_and_b32_e32 v4, 0xffff0000, v14
	v_lshlrev_b32_e32 v3, 16, v14
	s_waitcnt vmcnt(0)
	v_fmac_f32_e32 v99, v5, v4
	buffer_load_dword v4, off, s[40:43], 0 offset:96 ; 4-byte Folded Reload
	s_waitcnt vmcnt(0)
	v_fmac_f32_e32 v100, v4, v3
	global_load_dwordx4 v[3:6], v[1:2], off offset:1536
	s_waitcnt vmcnt(0)
	v_and_b32_e32 v109, 0xffff0000, v3
	v_lshlrev_b32_e32 v110, 16, v3
	v_and_b32_e32 v111, 0xffff0000, v4
	v_lshlrev_b32_e32 v112, 16, v4
	;; [unrolled: 2-line block ×4, first 2 shown]
	s_clause 0x3
	global_load_dwordx4 v[3:6], v[9:10], off offset:-2048
	global_load_dwordx4 v[37:40], v[7:8], off offset:512
	global_load_dwordx4 v[33:36], v[7:8], off offset:1024
	;; [unrolled: 1-line block ×3, first 2 shown]
	s_waitcnt vmcnt(3)
	v_lshlrev_b32_e32 v113, 16, v3
	v_and_b32_e32 v114, 0xffff0000, v3
	v_add_co_u32 v3, s2, 0x1000, v1
	v_lshlrev_b32_e32 v115, 16, v4
	v_and_b32_e32 v116, 0xffff0000, v4
	v_add_co_ci_u32_e64 v4, null, 0, v2, s2
	v_add_co_u32 v1, s2, 0x1800, v1
	v_add_co_ci_u32_e64 v2, null, 0, v2, s2
	v_lshlrev_b32_e32 v107, 16, v5
	v_and_b32_e32 v108, 0xffff0000, v5
	v_lshlrev_b32_e32 v103, 16, v6
	v_and_b32_e32 v104, 0xffff0000, v6
	s_clause 0x6
	global_load_dwordx4 v[25:28], v[9:10], off
	global_load_dwordx4 v[21:24], v[3:4], off offset:512
	global_load_dwordx4 v[17:20], v[3:4], off offset:1024
	;; [unrolled: 1-line block ×3, first 2 shown]
	global_load_dwordx4 v[9:12], v[1:2], off
	global_load_dwordx4 v[5:8], v[1:2], off offset:512
	global_load_dwordx4 v[1:4], v[1:2], off offset:1024
	buffer_load_dword v117, off, s[40:43], 0 offset:104 ; 4-byte Folded Reload
	s_waitcnt vmcnt(0)
	v_fmac_f32_e32 v94, v117, v110
	buffer_load_dword v110, off, s[40:43], 0 offset:100 ; 4-byte Folded Reload
	s_waitcnt vmcnt(0)
	v_fmac_f32_e32 v93, v110, v109
	s_clause 0x1
	buffer_load_dword v109, off, s[40:43], 0 offset:132
	buffer_load_dword v110, off, s[40:43], 0 offset:168
	s_waitcnt vmcnt(1)
	v_fmac_f32_e32 v93, v109, v114
	buffer_load_dword v109, off, s[40:43], 0 offset:136 ; 4-byte Folded Reload
	s_waitcnt vmcnt(0)
	v_fmac_f32_e32 v94, v109, v113
	v_and_b32_e32 v109, 0xffff0000, v37
	v_lshlrev_b32_e32 v37, 16, v37
	v_fmac_f32_e32 v94, v110, v37
	buffer_load_dword v37, off, s[40:43], 0 offset:164 ; 4-byte Folded Reload
	s_waitcnt vmcnt(0)
	v_fmac_f32_e32 v93, v37, v109
	buffer_load_dword v109, off, s[40:43], 0 offset:196 ; 4-byte Folded Reload
	v_lshlrev_b32_e32 v37, 16, v33
	v_and_b32_e32 v33, 0xffff0000, v33
	s_waitcnt vmcnt(0)
	v_fmac_f32_e32 v93, v109, v33
	buffer_load_dword v33, off, s[40:43], 0 offset:200 ; 4-byte Folded Reload
	s_waitcnt vmcnt(0)
	v_fmac_f32_e32 v94, v33, v37
	buffer_load_dword v37, off, s[40:43], 0 offset:232 ; 4-byte Folded Reload
	v_and_b32_e32 v33, 0xffff0000, v29
	v_lshlrev_b32_e32 v29, 16, v29
	s_waitcnt vmcnt(0)
	v_fmac_f32_e32 v94, v37, v29
	buffer_load_dword v29, off, s[40:43], 0 offset:228 ; 4-byte Folded Reload
	s_waitcnt vmcnt(0)
	v_fmac_f32_e32 v93, v29, v33
	buffer_load_dword v33, off, s[40:43], 0 offset:260 ; 4-byte Folded Reload
	v_lshlrev_b32_e32 v29, 16, v25
	v_and_b32_e32 v25, 0xffff0000, v25
	s_waitcnt vmcnt(0)
	v_fmac_f32_e32 v93, v33, v25
	buffer_load_dword v25, off, s[40:43], 0 offset:264 ; 4-byte Folded Reload
	s_waitcnt vmcnt(0)
	v_fmac_f32_e32 v94, v25, v29
	v_and_b32_e32 v25, 0xffff0000, v21
	v_lshlrev_b32_e32 v21, 16, v21
	v_fmac_f32_e32 v93, v121, v25
	v_fmac_f32_e32 v94, v122, v21
	v_lshlrev_b32_e32 v21, 16, v17
	v_and_b32_e32 v17, 0xffff0000, v17
	v_fmac_f32_e32 v94, v45, v21
	v_fmac_f32_e32 v93, v43, v17
	v_and_b32_e32 v17, 0xffff0000, v13
	v_lshlrev_b32_e32 v13, 16, v13
	v_fmac_f32_e32 v93, v49, v17
	v_fmac_f32_e32 v94, v50, v13
	v_lshlrev_b32_e32 v13, 16, v9
	v_and_b32_e32 v9, 0xffff0000, v9
	v_fmac_f32_e32 v94, v58, v13
	v_fmac_f32_e32 v93, v57, v9
	v_and_b32_e32 v9, 0xffff0000, v5
	v_lshlrev_b32_e32 v5, 16, v5
	v_fmac_f32_e32 v93, v65, v9
	v_fmac_f32_e32 v94, v66, v5
	v_lshlrev_b32_e32 v5, 16, v1
	v_and_b32_e32 v1, 0xffff0000, v1
	buffer_load_dword v9, off, s[40:43], 0 offset:176 ; 4-byte Folded Reload
	v_fmac_f32_e32 v94, v77, v5
	v_fmac_f32_e32 v93, v76, v1
	buffer_load_dword v1, off, s[40:43], 0 offset:112 ; 4-byte Folded Reload
	v_lshlrev_b32_e32 v5, 16, v38
	s_waitcnt vmcnt(0)
	v_fmac_f32_e32 v96, v1, v112
	buffer_load_dword v1, off, s[40:43], 0 offset:108 ; 4-byte Folded Reload
	s_waitcnt vmcnt(0)
	v_fmac_f32_e32 v95, v1, v111
	buffer_load_dword v1, off, s[40:43], 0 offset:140 ; 4-byte Folded Reload
	;; [unrolled: 3-line block ×3, first 2 shown]
	s_waitcnt vmcnt(0)
	v_fmac_f32_e32 v96, v1, v115
	v_and_b32_e32 v1, 0xffff0000, v38
	v_fmac_f32_e32 v96, v9, v5
	s_clause 0x1
	buffer_load_dword v5, off, s[40:43], 0 offset:172
	buffer_load_dword v9, off, s[40:43], 0 offset:204
	s_waitcnt vmcnt(1)
	v_fmac_f32_e32 v95, v5, v1
	v_and_b32_e32 v5, 0xffff0000, v34
	v_lshlrev_b32_e32 v1, 16, v34
	s_waitcnt vmcnt(0)
	v_fmac_f32_e32 v95, v9, v5
	s_clause 0x1
	buffer_load_dword v5, off, s[40:43], 0 offset:208
	buffer_load_dword v9, off, s[40:43], 0 offset:240
	s_waitcnt vmcnt(1)
	v_fmac_f32_e32 v96, v5, v1
	v_lshlrev_b32_e32 v5, 16, v30
	v_and_b32_e32 v1, 0xffff0000, v30
	s_waitcnt vmcnt(0)
	v_fmac_f32_e32 v96, v9, v5
	s_clause 0x1
	buffer_load_dword v5, off, s[40:43], 0 offset:236
	buffer_load_dword v9, off, s[40:43], 0 offset:268
	s_waitcnt vmcnt(1)
	v_fmac_f32_e32 v95, v5, v1
	v_and_b32_e32 v5, 0xffff0000, v26
	v_lshlrev_b32_e32 v1, 16, v26
	s_waitcnt vmcnt(0)
	v_fmac_f32_e32 v95, v9, v5
	buffer_load_dword v5, off, s[40:43], 0 offset:272 ; 4-byte Folded Reload
	s_waitcnt vmcnt(0)
	v_fmac_f32_e32 v96, v5, v1
	v_and_b32_e32 v1, 0xffff0000, v22
	v_lshlrev_b32_e32 v5, 16, v22
	v_fmac_f32_e32 v95, v123, v1
	v_fmac_f32_e32 v96, v124, v5
	v_lshlrev_b32_e32 v1, 16, v18
	v_and_b32_e32 v5, 0xffff0000, v18
	v_fmac_f32_e32 v96, v72, v1
	v_fmac_f32_e32 v95, v71, v5
	v_and_b32_e32 v1, 0xffff0000, v14
	v_lshlrev_b32_e32 v5, 16, v14
	v_fmac_f32_e32 v95, v51, v1
	v_fmac_f32_e32 v96, v52, v5
	v_lshlrev_b32_e32 v1, 16, v10
	v_and_b32_e32 v5, 0xffff0000, v10
	v_fmac_f32_e32 v96, v60, v1
	v_fmac_f32_e32 v95, v59, v5
	v_and_b32_e32 v1, 0xffff0000, v6
	v_lshlrev_b32_e32 v5, 16, v6
	v_fmac_f32_e32 v95, v67, v1
	v_fmac_f32_e32 v96, v68, v5
	v_lshlrev_b32_e32 v1, 16, v2
	v_and_b32_e32 v2, 0xffff0000, v2
	buffer_load_dword v5, off, s[40:43], 0 offset:184 ; 4-byte Folded Reload
	v_fmac_f32_e32 v96, v79, v1
	buffer_load_dword v1, off, s[40:43], 0 offset:120 ; 4-byte Folded Reload
	v_fmac_f32_e32 v95, v78, v2
	v_lshlrev_b32_e32 v2, 16, v39
	s_waitcnt vmcnt(0)
	v_fmac_f32_e32 v98, v1, v106
	buffer_load_dword v1, off, s[40:43], 0 offset:116 ; 4-byte Folded Reload
	s_waitcnt vmcnt(0)
	v_fmac_f32_e32 v97, v1, v105
	buffer_load_dword v1, off, s[40:43], 0 offset:148 ; 4-byte Folded Reload
	;; [unrolled: 3-line block ×3, first 2 shown]
	s_waitcnt vmcnt(0)
	v_fmac_f32_e32 v98, v1, v107
	v_and_b32_e32 v1, 0xffff0000, v39
	v_fmac_f32_e32 v98, v5, v2
	s_clause 0x1
	buffer_load_dword v2, off, s[40:43], 0 offset:180
	buffer_load_dword v5, off, s[40:43], 0 offset:212
	s_waitcnt vmcnt(1)
	v_fmac_f32_e32 v97, v2, v1
	v_and_b32_e32 v2, 0xffff0000, v35
	v_lshlrev_b32_e32 v1, 16, v35
	s_waitcnt vmcnt(0)
	v_fmac_f32_e32 v97, v5, v2
	s_clause 0x1
	buffer_load_dword v2, off, s[40:43], 0 offset:216
	buffer_load_dword v5, off, s[40:43], 0 offset:248
	s_waitcnt vmcnt(1)
	v_fmac_f32_e32 v98, v2, v1
	v_lshlrev_b32_e32 v2, 16, v31
	v_and_b32_e32 v1, 0xffff0000, v31
	s_waitcnt vmcnt(0)
	v_fmac_f32_e32 v98, v5, v2
	s_clause 0x1
	buffer_load_dword v2, off, s[40:43], 0 offset:244
	buffer_load_dword v5, off, s[40:43], 0 offset:276
	s_waitcnt vmcnt(1)
	v_fmac_f32_e32 v97, v2, v1
	v_lshlrev_b32_e32 v1, 16, v27
	v_and_b32_e32 v2, 0xffff0000, v27
	v_fmac_f32_e32 v98, v118, v1
	s_waitcnt vmcnt(0)
	v_fmac_f32_e32 v97, v5, v2
	v_and_b32_e32 v1, 0xffff0000, v23
	v_lshlrev_b32_e32 v2, 16, v23
	v_fmac_f32_e32 v97, v125, v1
	v_fmac_f32_e32 v98, v126, v2
	v_lshlrev_b32_e32 v1, 16, v19
	v_and_b32_e32 v2, 0xffff0000, v19
	v_fmac_f32_e32 v98, v0, v1
	v_fmac_f32_e32 v97, v46, v2
	v_and_b32_e32 v1, 0xffff0000, v15
	v_lshlrev_b32_e32 v2, 16, v15
	v_fmac_f32_e32 v97, v53, v1
	v_fmac_f32_e32 v98, v54, v2
	v_lshlrev_b32_e32 v1, 16, v11
	v_and_b32_e32 v2, 0xffff0000, v11
	v_fmac_f32_e32 v98, v62, v1
	v_fmac_f32_e32 v97, v61, v2
	v_and_b32_e32 v1, 0xffff0000, v7
	v_lshlrev_b32_e32 v2, 16, v7
	v_fmac_f32_e32 v97, v69, v1
	v_fmac_f32_e32 v98, v70, v2
	v_lshlrev_b32_e32 v1, 16, v3
	v_and_b32_e32 v2, 0xffff0000, v3
	buffer_load_dword v3, off, s[40:43], 0 offset:192 ; 4-byte Folded Reload
	v_fmac_f32_e32 v98, v81, v1
	buffer_load_dword v1, off, s[40:43], 0 offset:128 ; 4-byte Folded Reload
	v_fmac_f32_e32 v97, v80, v2
	v_lshlrev_b32_e32 v2, 16, v40
	s_waitcnt vmcnt(0)
	v_fmac_f32_e32 v100, v1, v102
	buffer_load_dword v1, off, s[40:43], 0 offset:124 ; 4-byte Folded Reload
	s_waitcnt vmcnt(0)
	v_fmac_f32_e32 v99, v1, v101
	buffer_load_dword v1, off, s[40:43], 0 offset:156 ; 4-byte Folded Reload
	;; [unrolled: 3-line block ×3, first 2 shown]
	s_waitcnt vmcnt(0)
	v_fmac_f32_e32 v100, v1, v103
	v_and_b32_e32 v1, 0xffff0000, v40
	v_fmac_f32_e32 v100, v3, v2
	s_clause 0x1
	buffer_load_dword v2, off, s[40:43], 0 offset:188
	buffer_load_dword v3, off, s[40:43], 0 offset:220
	s_waitcnt vmcnt(1)
	v_fmac_f32_e32 v99, v2, v1
	v_and_b32_e32 v2, 0xffff0000, v36
	v_lshlrev_b32_e32 v1, 16, v36
	s_waitcnt vmcnt(0)
	v_fmac_f32_e32 v99, v3, v2
	s_clause 0x1
	buffer_load_dword v2, off, s[40:43], 0 offset:224
	buffer_load_dword v3, off, s[40:43], 0 offset:256
	s_waitcnt vmcnt(1)
	v_fmac_f32_e32 v100, v2, v1
	v_lshlrev_b32_e32 v2, 16, v32
	v_and_b32_e32 v1, 0xffff0000, v32
	s_waitcnt vmcnt(0)
	v_fmac_f32_e32 v100, v3, v2
	buffer_load_dword v2, off, s[40:43], 0 offset:252 ; 4-byte Folded Reload
	s_waitcnt vmcnt(0)
	v_fmac_f32_e32 v99, v2, v1
	v_lshlrev_b32_e32 v1, 16, v28
	v_and_b32_e32 v2, 0xffff0000, v28
	v_fmac_f32_e32 v100, v120, v1
	v_fmac_f32_e32 v99, v119, v2
	v_and_b32_e32 v1, 0xffff0000, v24
	v_lshlrev_b32_e32 v2, 16, v24
	v_fmac_f32_e32 v99, v127, v1
	v_fmac_f32_e32 v100, v44, v2
	v_lshlrev_b32_e32 v1, 16, v20
	v_and_b32_e32 v2, 0xffff0000, v20
	v_fmac_f32_e32 v100, v48, v1
	v_fmac_f32_e32 v99, v47, v2
	v_and_b32_e32 v1, 0xffff0000, v16
	v_lshlrev_b32_e32 v2, 16, v16
	v_fmac_f32_e32 v99, v55, v1
	;; [unrolled: 8-line block ×3, first 2 shown]
	v_fmac_f32_e32 v100, v75, v2
	v_lshlrev_b32_e32 v1, 16, v4
	v_and_b32_e32 v2, 0xffff0000, v4
	v_fmac_f32_e32 v100, v83, v1
	v_add_f32_e32 v1, v94, v93
	v_fmac_f32_e32 v99, v82, v2
	v_add_f32_e32 v1, v1, v96
	v_add_f32_e32 v1, v95, v1
	;; [unrolled: 1-line block ×6, first 2 shown]
	v_fmac_f32_e32 v92, s3, v1
	v_cndmask_b32_e64 v1, 0, v92, s1
	ds_write_b32 v87, v1
	v_max_f32_e32 v1, v84, v84
	v_max_f32_e32 v1, v1, v92
	v_cndmask_b32_e64 v84, v84, v1, s1
	s_branch .LBB149_10
.LBB149_15:
	s_or_b32 exec_lo, exec_lo, s15
	s_clause 0x4
	buffer_load_dword v106, off, s[40:43], 0 offset:280
	buffer_load_dword v107, off, s[40:43], 0 offset:284
	;; [unrolled: 1-line block ×5, first 2 shown]
.LBB149_16:
	s_or_b32 exec_lo, exec_lo, s33
	v_mbcnt_lo_u32_b32 v1, -1, 0
	v_max_f32_e32 v4, v84, v84
	v_xor_b32_e32 v0, 16, v1
	v_xor_b32_e32 v3, 8, v1
	v_cmp_gt_i32_e32 vcc_lo, 32, v0
	v_cndmask_b32_e32 v0, v1, v0, vcc_lo
	v_cmp_gt_i32_e32 vcc_lo, 32, v3
	v_lshlrev_b32_e32 v0, 2, v0
	v_cndmask_b32_e32 v3, v1, v3, vcc_lo
	ds_bpermute_b32 v2, v0, v84
	s_waitcnt lgkmcnt(0)
	v_max_f32_e32 v5, v2, v2
	v_lshlrev_b32_e32 v2, 2, v3
	v_max_f32_e32 v4, v4, v5
	v_xor_b32_e32 v5, 4, v1
	ds_bpermute_b32 v3, v2, v4
	v_cmp_gt_i32_e32 vcc_lo, 32, v5
	v_cndmask_b32_e32 v5, v1, v5, vcc_lo
	s_waitcnt lgkmcnt(0)
	v_max_f32_e32 v6, v3, v3
	v_lshlrev_b32_e32 v3, 2, v5
	v_max_f32_e32 v4, v4, v6
	v_xor_b32_e32 v6, 2, v1
	ds_bpermute_b32 v5, v3, v4
	v_cmp_gt_i32_e32 vcc_lo, 32, v6
	v_cndmask_b32_e32 v6, v1, v6, vcc_lo
	v_lshlrev_b32_e32 v75, 2, v6
	v_xor_b32_e32 v6, 1, v1
	v_cmp_gt_i32_e32 vcc_lo, 32, v6
	s_waitcnt lgkmcnt(0)
	v_max_f32_e32 v5, v5, v5
	v_cndmask_b32_e32 v6, v1, v6, vcc_lo
	v_max_f32_e32 v4, v4, v5
	v_lshlrev_b32_e32 v74, 2, v6
	ds_bpermute_b32 v5, v75, v4
	s_waitcnt lgkmcnt(0)
	v_max_f32_e32 v5, v5, v5
	v_max_f32_e32 v1, v4, v5
	buffer_load_dword v4, off, s[40:43], 0  ; 4-byte Folded Reload
	ds_bpermute_b32 v5, v74, v1
	s_waitcnt vmcnt(0)
	v_cmp_eq_u32_e32 vcc_lo, 0, v4
	v_lshlrev_b32_e32 v4, 2, v107
	s_and_saveexec_b32 s1, vcc_lo
	s_cbranch_execz .LBB149_18
; %bb.17:
	s_waitcnt lgkmcnt(0)
	v_max_f32_e32 v5, v5, v5
	v_max_f32_e32 v1, v1, v1
	;; [unrolled: 1-line block ×3, first 2 shown]
	ds_write_b32 v4, v1 offset:240
.LBB149_18:
	s_or_b32 exec_lo, exec_lo, s1
	buffer_load_dword v1, off, s[40:43], 0  ; 4-byte Folded Reload
	s_waitcnt vmcnt(0) lgkmcnt(0)
	s_waitcnt_vscnt null, 0x0
	s_barrier
	buffer_gl0_inv
	v_cmp_gt_u32_e64 s1, 4, v1
	v_mov_b32_e32 v1, 0xff7fffff
	s_and_saveexec_b32 s2, s1
; %bb.19:
	ds_read_b32 v1, v15 offset:240
; %bb.20:
	s_or_b32 exec_lo, exec_lo, s2
	s_waitcnt lgkmcnt(0)
	ds_bpermute_b32 v5, v75, v1
	v_max_f32_e32 v1, v1, v1
	s_lshl_b32 s2, s16, 5
	s_min_i32 s4, s2, s28
	v_cmp_gt_i32_e64 s2, s4, v106
	s_waitcnt lgkmcnt(0)
	v_max_f32_e32 v5, v5, v5
	v_max_f32_e32 v1, v1, v5
	ds_bpermute_b32 v5, v74, v1
	s_waitcnt lgkmcnt(0)
	v_max_f32_e32 v5, v5, v5
	v_max_f32_e32 v1, v1, v5
	v_mov_b32_e32 v5, 0
	ds_bpermute_b32 v6, v5, v1
	v_lshl_add_u32 v1, v106, 2, 0x110
	s_and_saveexec_b32 s5, s2
	s_cbranch_execz .LBB149_24
; %bb.21:
	v_lshl_add_u32 v7, v106, 2, 0x110
	v_mov_b32_e32 v5, 0
	v_mov_b32_e32 v8, v106
	s_mov_b32 s15, 0
	.p2align	6
.LBB149_22:                             ; =>This Inner Loop Header: Depth=1
	ds_read_b32 v9, v7
	v_add_nc_u32_e32 v8, 0x80, v8
	v_cmp_le_i32_e64 s3, s4, v8
	s_or_b32 s15, s3, s15
	s_waitcnt lgkmcnt(0)
	v_sub_f32_e32 v9, v9, v6
	v_mul_f32_e32 v9, 0x3fb8aa3b, v9
	v_exp_f32_e32 v9, v9
	ds_write_b32 v7, v9
	v_add_f32_e32 v5, v5, v9
	v_add_nc_u32_e32 v7, 0x200, v7
	s_andn2_b32 exec_lo, exec_lo, s15
	s_cbranch_execnz .LBB149_22
; %bb.23:
	s_or_b32 exec_lo, exec_lo, s15
.LBB149_24:
	s_or_b32 exec_lo, exec_lo, s5
	ds_bpermute_b32 v0, v0, v5
	s_waitcnt lgkmcnt(0)
	v_add_f32_e32 v0, v5, v0
	ds_bpermute_b32 v2, v2, v0
	s_waitcnt lgkmcnt(0)
	v_add_f32_e32 v0, v0, v2
	;; [unrolled: 3-line block ×5, first 2 shown]
	s_and_saveexec_b32 s3, vcc_lo
; %bb.25:
	ds_write_b32 v4, v0 offset:256
; %bb.26:
	s_or_b32 exec_lo, exec_lo, s3
	s_waitcnt lgkmcnt(0)
	s_barrier
	buffer_gl0_inv
	s_and_saveexec_b32 s3, s1
; %bb.27:
	ds_read_b32 v0, v15 offset:256
; %bb.28:
	s_or_b32 exec_lo, exec_lo, s3
	s_waitcnt lgkmcnt(0)
	ds_bpermute_b32 v2, v75, v0
	s_waitcnt lgkmcnt(0)
	v_add_f32_e32 v0, v0, v2
	ds_bpermute_b32 v2, v74, v0
	s_waitcnt lgkmcnt(0)
	v_add_f32_e32 v0, v0, v2
	v_mov_b32_e32 v2, 0
	ds_bpermute_b32 v0, v2, v0
	s_and_saveexec_b32 s1, s2
	s_cbranch_execz .LBB149_31
; %bb.29:
	s_waitcnt lgkmcnt(0)
	v_add_f32_e32 v0, 0x358637bd, v0
	s_mov_b32 s2, 0
	v_div_scale_f32 v2, null, v0, v0, 1.0
	v_div_scale_f32 v5, vcc_lo, 1.0, v0, 1.0
	v_rcp_f32_e32 v3, v2
	v_fma_f32 v4, -v2, v3, 1.0
	v_fmac_f32_e32 v3, v4, v3
	v_mul_f32_e32 v4, v5, v3
	v_fma_f32 v6, -v2, v4, v5
	v_fmac_f32_e32 v4, v6, v3
	v_fma_f32 v2, -v2, v4, v5
	v_div_fmas_f32 v2, v2, v3, v4
	v_div_fixup_f32 v0, v2, v0, 1.0
	v_mov_b32_e32 v2, v106
.LBB149_30:                             ; =>This Inner Loop Header: Depth=1
	ds_read_b32 v3, v1
	v_add_nc_u32_e32 v2, 0x80, v2
	v_cmp_le_i32_e32 vcc_lo, s4, v2
	s_or_b32 s2, vcc_lo, s2
	s_waitcnt lgkmcnt(0)
	v_mul_f32_e32 v3, v0, v3
	ds_write_b32 v1, v3
	v_add_nc_u32_e32 v1, 0x200, v1
	s_andn2_b32 exec_lo, exec_lo, s2
	s_cbranch_execnz .LBB149_30
.LBB149_31:
	s_or_b32 exec_lo, exec_lo, s1
	v_mov_b32_e32 v90, 0
	v_and_b32_e32 v76, 3, v106
	v_mov_b32_e32 v91, 0
	v_mov_b32_e32 v89, 0
	;; [unrolled: 1-line block ×14, first 2 shown]
	s_waitcnt lgkmcnt(0)
	s_barrier
	buffer_gl0_inv
	s_and_saveexec_b32 s3, s0
	s_cbranch_execz .LBB149_67
; %bb.32:
	s_ashr_i32 s15, s14, 31
	s_sub_i32 s4, s30, s17
	s_lshl_b64 s[0:1], s[14:15], 1
	v_lshlrev_b32_e32 v0, 3, v106
	s_add_u32 s2, s26, s0
	s_addc_u32 s15, s27, s1
	s_abs_i32 s5, s18
	v_lshlrev_b32_e32 v4, 5, v76
	v_cvt_f32_u32_e32 v1, s5
	s_sub_i32 s0, 0, s5
	v_and_b32_e32 v93, 24, v0
	v_and_b32_e32 v2, 0x1f0, v10
	;; [unrolled: 1-line block ×3, first 2 shown]
	v_rcp_iflag_f32_e32 v1, v1
	s_add_i32 s14, s16, -1
	v_lshl_or_b32 v4, v107, 7, v4
	v_add_co_u32 v94, s2, s2, v2
	v_mov_b32_e32 v92, 0
	v_mov_b32_e32 v77, 0
	;; [unrolled: 1-line block ×5, first 2 shown]
	v_mul_f32_e32 v1, 0x4f7ffffe, v1
	v_mov_b32_e32 v81, 0
	v_mov_b32_e32 v82, 0
	;; [unrolled: 1-line block ×4, first 2 shown]
	v_cvt_u32_f32_e32 v1, v1
	v_mov_b32_e32 v85, 0
	v_mov_b32_e32 v86, 0
	;; [unrolled: 1-line block ×4, first 2 shown]
	v_mul_lo_u32 v0, s0, v1
	s_lshl_b64 s[0:1], s[24:25], 2
	v_mov_b32_e32 v89, 0
	s_add_u32 s0, s22, s0
	s_addc_u32 s1, s23, s1
	v_add_co_u32 v69, s0, s0, v3
	v_mov_b32_e32 v91, 0
	v_mul_hi_u32 v0, v1, v0
	v_mov_b32_e32 v90, 0
	v_add_co_ci_u32_e64 v95, null, s15, 0, s2
	v_add_nc_u32_e32 v96, 0x110, v4
	v_add_co_ci_u32_e64 v70, null, s1, 0, s0
	v_mov_b32_e32 v98, v107
	v_add_nc_u32_e32 v97, v1, v0
	s_mov_b32 s17, s28
	s_mov_b32 s15, 0
	s_branch .LBB149_35
.LBB149_33:                             ;   in Loop: Header=BB149_35 Depth=1
	s_or_b32 exec_lo, exec_lo, s2
	s_waitcnt lgkmcnt(1)
	v_bfe_u32 v0, v49, 16, 1
	v_bfe_u32 v71, v50, 16, 1
	v_or_b32_e32 v72, 0x400000, v49
	v_cmp_u_f32_e32 vcc_lo, v49, v49
	v_or_b32_e32 v99, 0x400000, v50
	v_add3_u32 v0, v0, v49, 0x7fff
	v_bfe_u32 v100, v51, 16, 1
	v_add3_u32 v71, v71, v50, 0x7fff
	v_bfe_u32 v101, v52, 16, 1
	v_cndmask_b32_e32 v49, v0, v72, vcc_lo
	v_cmp_u_f32_e32 vcc_lo, v50, v50
	v_add3_u32 v50, v100, v51, 0x7fff
	s_waitcnt lgkmcnt(0)
	v_bfe_u32 v72, v41, 16, 1
	v_or_b32_e32 v100, 0x400000, v52
	v_and_b32_e32 v49, 0xffff0000, v49
	v_cndmask_b32_e32 v0, v71, v99, vcc_lo
	v_or_b32_e32 v71, 0x400000, v51
	v_cmp_u_f32_e32 vcc_lo, v51, v51
	v_add3_u32 v99, v101, v52, 0x7fff
	v_add3_u32 v51, v72, v41, 0x7fff
	v_bfe_u32 v72, v42, 16, 1
	v_and_b32_e32 v0, 0xffff0000, v0
	v_cndmask_b32_e32 v50, v50, v71, vcc_lo
	v_cmp_u_f32_e32 vcc_lo, v52, v52
	v_or_b32_e32 v71, 0x400000, v41
	v_add3_u32 v72, v72, v42, 0x7fff
	v_cndmask_b32_e32 v52, v99, v100, vcc_lo
	v_cmp_u_f32_e32 vcc_lo, v41, v41
	v_bfe_u32 v41, v43, 16, 1
	v_or_b32_e32 v99, 0x400000, v42
	v_or_b32_e32 v100, 0x400000, v43
	v_cndmask_b32_e32 v51, v51, v71, vcc_lo
	s_waitcnt vmcnt(1)
	v_and_b32_e32 v71, 0xffff0000, v65
	v_cmp_u_f32_e32 vcc_lo, v42, v42
	v_add3_u32 v41, v41, v43, 0x7fff
	v_bfe_u32 v42, v44, 16, 1
	v_and_b32_e32 v51, 0xffff0000, v51
	v_mul_f32_e32 v71, v0, v71
	v_cndmask_b32_e32 v72, v72, v99, vcc_lo
	v_cmp_u_f32_e32 vcc_lo, v43, v43
	v_lshlrev_b32_e32 v43, 16, v65
	v_add3_u32 v65, v42, v44, 0x7fff
	v_and_b32_e32 v42, 0xffff0000, v52
	v_and_b32_e32 v52, 0xffff0000, v66
	v_cndmask_b32_e32 v99, v41, v100, vcc_lo
	v_bfe_u32 v41, v71, 16, 1
	v_or_b32_e32 v100, 0x400000, v44
	v_mul_f32_e32 v43, v49, v43
	v_cmp_u_f32_e32 vcc_lo, v44, v44
	v_or_b32_e32 v101, 0x400000, v71
	v_add3_u32 v41, v41, v71, 0x7fff
	v_mul_f32_e32 v52, v42, v52
	v_and_b32_e32 v44, 0xffff0000, v50
	v_cndmask_b32_e32 v65, v65, v100, vcc_lo
	v_cmp_u_f32_e32 vcc_lo, v71, v71
	v_bfe_u32 v100, v43, 16, 1
	v_lshlrev_b32_e32 v50, 16, v66
	v_and_b32_e32 v66, 0xffff0000, v67
	v_lshlrev_b32_e32 v67, 16, v67
	v_cndmask_b32_e32 v71, v41, v101, vcc_lo
	v_and_b32_e32 v41, 0xffff0000, v72
	v_add3_u32 v72, v100, v43, 0x7fff
	v_or_b32_e32 v100, 0x400000, v43
	v_bfe_u32 v101, v52, 16, 1
	v_mul_f32_e32 v50, v44, v50
	v_cmp_u_f32_e32 vcc_lo, v43, v43
	v_mul_f32_e32 v66, v41, v66
	v_mul_f32_e32 v67, v51, v67
	v_add3_u32 v43, v101, v52, 0x7fff
	v_bfe_u32 v101, v50, 16, 1
	v_cndmask_b32_e32 v72, v72, v100, vcc_lo
	v_or_b32_e32 v100, 0x400000, v52
	v_cmp_u_f32_e32 vcc_lo, v52, v52
	v_bfe_u32 v102, v66, 16, 1
	v_or_b32_e32 v103, 0x400000, v66
	v_bfe_u32 v104, v67, 16, 1
	v_and_b32_e32 v72, 0xffff0000, v72
	v_cndmask_b32_e32 v52, v43, v100, vcc_lo
	v_add3_u32 v100, v101, v50, 0x7fff
	v_or_b32_e32 v101, 0x400000, v50
	v_cmp_u_f32_e32 vcc_lo, v50, v50
	v_add3_u32 v102, v102, v66, 0x7fff
	v_and_b32_e32 v43, 0xffff0000, v65
	v_and_b32_e32 v65, 0xffff0000, v68
	;; [unrolled: 1-line block ×3, first 2 shown]
	v_cndmask_b32_e32 v100, v100, v101, vcc_lo
	v_cmp_u_f32_e32 vcc_lo, v66, v66
	v_add3_u32 v101, v104, v67, 0x7fff
	v_mul_f32_e32 v65, v43, v65
	v_lshlrev_b32_e32 v68, 16, v68
	v_and_b32_e32 v71, 0xffff0000, v71
	v_cndmask_b32_e32 v66, v102, v103, vcc_lo
	v_or_b32_e32 v102, 0x400000, v67
	v_cmp_u_f32_e32 vcc_lo, v67, v67
	v_bfe_u32 v103, v65, 16, 1
	v_and_b32_e32 v100, 0xffff0000, v100
	v_and_b32_e32 v52, 0xffff0000, v52
	v_mul_f32_e32 v68, v50, v68
	v_cndmask_b32_e32 v67, v101, v102, vcc_lo
	v_add3_u32 v99, v103, v65, 0x7fff
	v_or_b32_e32 v101, 0x400000, v65
	v_cmp_u_f32_e32 vcc_lo, v65, v65
	v_add_f32_e32 v71, v72, v71
	v_add_f32_e32 v52, v100, v52
	v_and_b32_e32 v67, 0xffff0000, v67
	v_and_b32_e32 v72, 0xffff0000, v61
	;; [unrolled: 1-line block ×3, first 2 shown]
	v_cndmask_b32_e32 v65, v99, v101, vcc_lo
	v_bfe_u32 v99, v68, 16, 1
	v_add_f32_e32 v52, v52, v71
	v_mul_f32_e32 v71, v0, v72
	v_add_f32_e32 v66, v67, v66
	v_lshlrev_b32_e32 v61, 16, v61
	v_add3_u32 v99, v99, v68, 0x7fff
	v_or_b32_e32 v100, 0x400000, v68
	v_cmp_u_f32_e32 vcc_lo, v68, v68
	v_bfe_u32 v68, v71, 16, 1
	v_add_f32_e32 v52, v66, v52
	v_mul_f32_e32 v61, v49, v61
	v_and_b32_e32 v66, 0xffff0000, v62
	v_cndmask_b32_e32 v67, v99, v100, vcc_lo
	v_add3_u32 v68, v68, v71, 0x7fff
	v_or_b32_e32 v72, 0x400000, v71
	v_bfe_u32 v99, v61, 16, 1
	v_mul_f32_e32 v66, v42, v66
	v_lshlrev_b32_e32 v62, 16, v62
	v_cmp_u_f32_e32 vcc_lo, v71, v71
	v_and_b32_e32 v100, 0xffff0000, v63
	v_add3_u32 v71, v99, v61, 0x7fff
	v_bfe_u32 v99, v66, 16, 1
	v_mul_f32_e32 v62, v44, v62
	v_cndmask_b32_e32 v68, v68, v72, vcc_lo
	v_or_b32_e32 v72, 0x400000, v61
	v_cmp_u_f32_e32 vcc_lo, v61, v61
	v_mul_f32_e32 v100, v41, v100
	v_lshlrev_b32_e32 v63, 16, v63
	v_and_b32_e32 v101, 0xffff0000, v64
	v_lshlrev_b32_e32 v64, 16, v64
	v_cndmask_b32_e32 v61, v71, v72, vcc_lo
	v_add3_u32 v71, v99, v66, 0x7fff
	v_or_b32_e32 v72, 0x400000, v66
	v_bfe_u32 v99, v62, 16, 1
	v_cmp_u_f32_e32 vcc_lo, v66, v66
	v_mul_f32_e32 v63, v51, v63
	v_mul_f32_e32 v64, v50, v64
	v_and_b32_e32 v61, 0xffff0000, v61
	v_and_b32_e32 v68, 0xffff0000, v68
	v_cndmask_b32_e32 v66, v71, v72, vcc_lo
	v_add3_u32 v71, v99, v62, 0x7fff
	v_or_b32_e32 v72, 0x400000, v62
	v_bfe_u32 v99, v100, 16, 1
	v_cmp_u_f32_e32 vcc_lo, v62, v62
	v_or_b32_e32 v102, 0x400000, v63
	v_bfe_u32 v104, v64, 16, 1
	v_and_b32_e32 v66, 0xffff0000, v66
	v_add_f32_e32 v61, v61, v68
	v_cndmask_b32_e32 v62, v71, v72, vcc_lo
	v_bfe_u32 v71, v63, 16, 1
	v_add3_u32 v72, v99, v100, 0x7fff
	v_mul_f32_e32 v99, v43, v101
	v_or_b32_e32 v101, 0x400000, v100
	v_cmp_u_f32_e32 vcc_lo, v100, v100
	v_add3_u32 v71, v71, v63, 0x7fff
	v_add3_u32 v100, v104, v64, 0x7fff
	v_bfe_u32 v103, v99, 16, 1
	v_and_b32_e32 v62, 0xffff0000, v62
	v_cndmask_b32_e32 v72, v72, v101, vcc_lo
	v_cmp_u_f32_e32 vcc_lo, v63, v63
	v_or_b32_e32 v101, 0x400000, v64
	v_and_b32_e32 v67, 0xffff0000, v67
	v_add_f32_e32 v62, v62, v66
	v_and_b32_e32 v66, 0xffff0000, v72
	v_cndmask_b32_e32 v63, v71, v102, vcc_lo
	v_cmp_u_f32_e32 vcc_lo, v64, v64
	v_add3_u32 v71, v103, v99, 0x7fff
	v_or_b32_e32 v102, 0x400000, v99
	v_and_b32_e32 v65, 0xffff0000, v65
	v_and_b32_e32 v63, 0xffff0000, v63
	v_cndmask_b32_e32 v64, v100, v101, vcc_lo
	v_cmp_u_f32_e32 vcc_lo, v99, v99
	v_add_f32_e32 v61, v62, v61
	v_add_f32_e32 v65, v67, v65
	;; [unrolled: 1-line block ×3, first 2 shown]
	v_and_b32_e32 v63, 0xffff0000, v64
	v_cndmask_b32_e32 v68, v71, v102, vcc_lo
	v_and_b32_e32 v66, 0xffff0000, v57
	v_lshlrev_b32_e32 v57, 16, v57
	v_add_f32_e32 v61, v62, v61
	v_add_f32_e32 v52, v65, v52
	v_and_b32_e32 v64, 0xffff0000, v68
	v_mul_f32_e32 v57, v49, v57
	v_add_f32_e32 v78, v78, v52
	v_add_f32_e32 v62, v63, v64
	v_mul_f32_e32 v63, v0, v66
	v_and_b32_e32 v64, 0xffff0000, v58
	v_bfe_u32 v52, v57, 16, 1
	v_lshlrev_b32_e32 v58, 16, v58
	v_add_f32_e32 v61, v62, v61
	v_bfe_u32 v62, v63, 16, 1
	v_mul_f32_e32 v64, v42, v64
	v_cmp_u_f32_e32 vcc_lo, v63, v63
	v_add3_u32 v52, v52, v57, 0x7fff
	v_add_f32_e32 v79, v79, v61
	v_add3_u32 v61, v62, v63, 0x7fff
	v_or_b32_e32 v62, 0x400000, v63
	v_or_b32_e32 v65, 0x400000, v57
	;; [unrolled: 1-line block ×3, first 2 shown]
	v_and_b32_e32 v66, 0xffff0000, v60
	v_lshlrev_b32_e32 v60, 16, v60
	v_cndmask_b32_e32 v61, v61, v62, vcc_lo
	v_bfe_u32 v62, v64, 16, 1
	v_cmp_u_f32_e32 vcc_lo, v57, v57
	v_mul_f32_e32 v57, v44, v58
	v_and_b32_e32 v58, 0xffff0000, v59
	v_lshlrev_b32_e32 v59, 16, v59
	v_add3_u32 v62, v62, v64, 0x7fff
	v_cndmask_b32_e32 v52, v52, v65, vcc_lo
	v_bfe_u32 v65, v57, 16, 1
	v_mul_f32_e32 v58, v41, v58
	v_cmp_u_f32_e32 vcc_lo, v64, v64
	v_mul_f32_e32 v59, v51, v59
	v_or_b32_e32 v64, 0x400000, v57
	v_mul_f32_e32 v60, v50, v60
	v_and_b32_e32 v52, 0xffff0000, v52
	v_cndmask_b32_e32 v62, v62, v63, vcc_lo
	v_add3_u32 v63, v65, v57, 0x7fff
	v_bfe_u32 v65, v58, 16, 1
	v_cmp_u_f32_e32 vcc_lo, v57, v57
	v_bfe_u32 v67, v59, 16, 1
	v_and_b32_e32 v61, 0xffff0000, v61
	v_and_b32_e32 v62, 0xffff0000, v62
	v_cndmask_b32_e32 v57, v63, v64, vcc_lo
	v_add3_u32 v63, v65, v58, 0x7fff
	v_mul_f32_e32 v64, v43, v66
	v_or_b32_e32 v65, 0x400000, v58
	v_cmp_u_f32_e32 vcc_lo, v58, v58
	v_add3_u32 v66, v67, v59, 0x7fff
	v_or_b32_e32 v67, 0x400000, v59
	v_bfe_u32 v68, v64, 16, 1
	v_and_b32_e32 v57, 0xffff0000, v57
	v_cndmask_b32_e32 v58, v63, v65, vcc_lo
	v_cmp_u_f32_e32 vcc_lo, v59, v59
	v_or_b32_e32 v65, 0x400000, v64
	v_add3_u32 v63, v68, v64, 0x7fff
	v_add_f32_e32 v52, v52, v61
	v_add_f32_e32 v57, v57, v62
	v_cndmask_b32_e32 v59, v66, v67, vcc_lo
	v_bfe_u32 v66, v60, 16, 1
	v_cmp_u_f32_e32 vcc_lo, v64, v64
	v_and_b32_e32 v61, 0xffff0000, v53
	v_and_b32_e32 v58, 0xffff0000, v58
	;; [unrolled: 1-line block ×3, first 2 shown]
	v_add3_u32 v64, v66, v60, 0x7fff
	v_cndmask_b32_e32 v63, v63, v65, vcc_lo
	v_or_b32_e32 v65, 0x400000, v60
	v_cmp_u_f32_e32 vcc_lo, v60, v60
	v_add_f32_e32 v52, v57, v52
	v_mul_f32_e32 v57, v0, v61
	v_add_f32_e32 v58, v59, v58
	v_lshlrev_b32_e32 v53, 16, v53
	v_cndmask_b32_e32 v60, v64, v65, vcc_lo
	v_and_b32_e32 v64, 0xffff0000, v56
	v_bfe_u32 v61, v57, 16, 1
	v_add_f32_e32 v52, v58, v52
	v_mul_f32_e32 v53, v49, v53
	v_and_b32_e32 v59, 0xffff0000, v60
	v_and_b32_e32 v60, 0xffff0000, v63
	;; [unrolled: 1-line block ×3, first 2 shown]
	v_lshlrev_b32_e32 v54, 16, v54
	v_bfe_u32 v62, v53, 16, 1
	v_cmp_u_f32_e32 vcc_lo, v57, v57
	v_add_f32_e32 v59, v59, v60
	v_add3_u32 v60, v61, v57, 0x7fff
	v_or_b32_e32 v61, 0x400000, v57
	v_mul_f32_e32 v58, v42, v58
	v_mul_f32_e32 v54, v44, v54
	v_and_b32_e32 v63, 0xffff0000, v55
	v_lshlrev_b32_e32 v55, 16, v55
	v_cndmask_b32_e32 v57, v60, v61, vcc_lo
	v_add3_u32 v60, v62, v53, 0x7fff
	v_or_b32_e32 v61, 0x400000, v53
	v_bfe_u32 v62, v58, 16, 1
	v_cmp_u_f32_e32 vcc_lo, v53, v53
	v_mul_f32_e32 v63, v41, v63
	v_mul_f32_e32 v55, v51, v55
	v_lshlrev_b32_e32 v56, 16, v56
	v_and_b32_e32 v57, 0xffff0000, v57
	v_cndmask_b32_e32 v53, v60, v61, vcc_lo
	v_add3_u32 v60, v62, v58, 0x7fff
	v_or_b32_e32 v61, 0x400000, v58
	v_bfe_u32 v62, v54, 16, 1
	v_cmp_u_f32_e32 vcc_lo, v58, v58
	v_mul_f32_e32 v56, v50, v56
	v_or_b32_e32 v65, 0x400000, v55
	v_and_b32_e32 v53, 0xffff0000, v53
	v_add_f32_e32 v52, v59, v52
	v_cndmask_b32_e32 v58, v60, v61, vcc_lo
	v_add3_u32 v60, v62, v54, 0x7fff
	v_or_b32_e32 v61, 0x400000, v54
	v_bfe_u32 v62, v63, 16, 1
	v_cmp_u_f32_e32 vcc_lo, v54, v54
	v_and_b32_e32 v58, 0xffff0000, v58
	v_add_f32_e32 v53, v53, v57
	v_add_f32_e32 v80, v80, v52
	v_cndmask_b32_e32 v54, v60, v61, vcc_lo
	v_bfe_u32 v60, v55, 16, 1
	v_add3_u32 v61, v62, v63, 0x7fff
	v_mul_f32_e32 v62, v43, v64
	v_or_b32_e32 v64, 0x400000, v63
	v_cmp_u_f32_e32 vcc_lo, v63, v63
	v_add3_u32 v60, v60, v55, 0x7fff
	v_bfe_u32 v63, v56, 16, 1
	v_bfe_u32 v66, v62, 16, 1
	v_and_b32_e32 v54, 0xffff0000, v54
	v_cndmask_b32_e32 v61, v61, v64, vcc_lo
	v_cmp_u_f32_e32 vcc_lo, v55, v55
	v_add3_u32 v63, v63, v56, 0x7fff
	v_or_b32_e32 v64, 0x400000, v62
	v_add_f32_e32 v54, v54, v58
	v_and_b32_e32 v57, 0xffff0000, v61
	v_cndmask_b32_e32 v55, v60, v65, vcc_lo
	v_or_b32_e32 v65, 0x400000, v56
	v_cmp_u_f32_e32 vcc_lo, v56, v56
	v_add3_u32 v60, v66, v62, 0x7fff
	v_add_f32_e32 v53, v54, v53
	v_and_b32_e32 v55, 0xffff0000, v55
	v_cndmask_b32_e32 v56, v63, v65, vcc_lo
	v_cmp_u_f32_e32 vcc_lo, v62, v62
	v_add_f32_e32 v54, v55, v57
	v_and_b32_e32 v55, 0xffff0000, v45
	v_and_b32_e32 v56, 0xffff0000, v56
	v_cndmask_b32_e32 v58, v60, v64, vcc_lo
	v_lshlrev_b32_e32 v45, 16, v45
	v_add_f32_e32 v53, v54, v53
	v_mul_f32_e32 v55, v0, v55
	v_and_b32_e32 v57, 0xffff0000, v58
	v_mul_f32_e32 v45, v49, v45
	v_cmp_u_f32_e32 vcc_lo, v55, v55
	v_add_f32_e32 v54, v56, v57
	v_and_b32_e32 v56, 0xffff0000, v46
	v_bfe_u32 v57, v55, 16, 1
	v_bfe_u32 v52, v45, 16, 1
	v_lshlrev_b32_e32 v46, 16, v46
	v_add_f32_e32 v53, v54, v53
	v_mul_f32_e32 v54, v42, v56
	v_add3_u32 v56, v57, v55, 0x7fff
	v_or_b32_e32 v57, 0x400000, v55
	v_add3_u32 v52, v52, v45, 0x7fff
	v_or_b32_e32 v58, 0x400000, v45
	v_bfe_u32 v59, v54, 16, 1
	v_mul_f32_e32 v46, v44, v46
	v_cndmask_b32_e32 v55, v56, v57, vcc_lo
	v_cmp_u_f32_e32 vcc_lo, v45, v45
	v_and_b32_e32 v57, 0xffff0000, v47
	v_or_b32_e32 v56, 0x400000, v54
	v_lshlrev_b32_e32 v47, 16, v47
	v_and_b32_e32 v55, 0xffff0000, v55
	v_cndmask_b32_e32 v45, v52, v58, vcc_lo
	v_add3_u32 v52, v59, v54, 0x7fff
	v_bfe_u32 v58, v46, 16, 1
	v_cmp_u_f32_e32 vcc_lo, v54, v54
	v_mul_f32_e32 v54, v41, v57
	v_mul_f32_e32 v47, v51, v47
	v_or_b32_e32 v57, 0x400000, v46
	v_and_b32_e32 v45, 0xffff0000, v45
	v_cndmask_b32_e32 v52, v52, v56, vcc_lo
	v_add3_u32 v56, v58, v46, 0x7fff
	v_and_b32_e32 v58, 0xffff0000, v48
	v_bfe_u32 v59, v54, 16, 1
	v_cmp_u_f32_e32 vcc_lo, v46, v46
	v_bfe_u32 v60, v47, 16, 1
	v_lshlrev_b32_e32 v48, 16, v48
	v_and_b32_e32 v52, 0xffff0000, v52
	v_add_f32_e32 v45, v45, v55
	v_cndmask_b32_e32 v46, v56, v57, vcc_lo
	v_mul_f32_e32 v56, v43, v58
	v_add3_u32 v57, v59, v54, 0x7fff
	v_or_b32_e32 v58, 0x400000, v54
	v_cmp_u_f32_e32 vcc_lo, v54, v54
	v_add3_u32 v59, v60, v47, 0x7fff
	v_or_b32_e32 v60, 0x400000, v47
	v_bfe_u32 v61, v56, 16, 1
	v_and_b32_e32 v46, 0xffff0000, v46
	v_cndmask_b32_e32 v54, v57, v58, vcc_lo
	v_cmp_u_f32_e32 vcc_lo, v47, v47
	v_or_b32_e32 v58, 0x400000, v56
	v_add3_u32 v57, v61, v56, 0x7fff
	v_mul_f32_e32 v48, v50, v48
	v_add_f32_e32 v46, v46, v52
	v_cndmask_b32_e32 v47, v59, v60, vcc_lo
	v_cmp_u_f32_e32 vcc_lo, v56, v56
	v_and_b32_e32 v52, 0xffff0000, v37
	v_and_b32_e32 v54, 0xffff0000, v54
	v_add_f32_e32 v45, v46, v45
	v_and_b32_e32 v47, 0xffff0000, v47
	v_cndmask_b32_e32 v56, v57, v58, vcc_lo
	v_bfe_u32 v57, v48, 16, 1
	v_mul_f32_e32 v46, v0, v52
	v_lshlrev_b32_e32 v37, 16, v37
	v_add_f32_e32 v47, v47, v54
	v_cmp_u_f32_e32 vcc_lo, v48, v48
	v_add3_u32 v55, v57, v48, 0x7fff
	v_or_b32_e32 v57, 0x400000, v48
	v_bfe_u32 v52, v46, 16, 1
	v_add_f32_e32 v45, v47, v45
	v_mul_f32_e32 v37, v49, v37
	v_and_b32_e32 v47, 0xffff0000, v38
	v_cndmask_b32_e32 v48, v55, v57, vcc_lo
	v_add3_u32 v52, v52, v46, 0x7fff
	v_or_b32_e32 v54, 0x400000, v46
	v_bfe_u32 v55, v37, 16, 1
	v_mul_f32_e32 v47, v42, v47
	v_lshlrev_b32_e32 v38, 16, v38
	v_cmp_u_f32_e32 vcc_lo, v46, v46
	v_and_b32_e32 v57, 0xffff0000, v39
	v_lshlrev_b32_e32 v39, 16, v39
	v_and_b32_e32 v58, 0xffff0000, v40
	v_mul_f32_e32 v38, v44, v38
	v_cndmask_b32_e32 v46, v52, v54, vcc_lo
	v_add3_u32 v52, v55, v37, 0x7fff
	v_or_b32_e32 v54, 0x400000, v37
	v_bfe_u32 v55, v47, 16, 1
	v_cmp_u_f32_e32 vcc_lo, v37, v37
	v_mul_f32_e32 v57, v41, v57
	v_mul_f32_e32 v39, v51, v39
	v_lshlrev_b32_e32 v40, 16, v40
	v_and_b32_e32 v46, 0xffff0000, v46
	v_cndmask_b32_e32 v37, v52, v54, vcc_lo
	v_add3_u32 v52, v55, v47, 0x7fff
	v_or_b32_e32 v54, 0x400000, v47
	v_bfe_u32 v55, v38, 16, 1
	v_cmp_u_f32_e32 vcc_lo, v47, v47
	v_mul_f32_e32 v40, v50, v40
	v_or_b32_e32 v59, 0x400000, v39
	v_and_b32_e32 v37, 0xffff0000, v37
	v_and_b32_e32 v48, 0xffff0000, v48
	v_cndmask_b32_e32 v47, v52, v54, vcc_lo
	v_add3_u32 v52, v55, v38, 0x7fff
	v_or_b32_e32 v54, 0x400000, v38
	v_bfe_u32 v55, v57, 16, 1
	v_cmp_u_f32_e32 vcc_lo, v38, v38
	v_bfe_u32 v61, v40, 16, 1
	v_and_b32_e32 v47, 0xffff0000, v47
	v_add_f32_e32 v37, v37, v46
	v_add_f32_e32 v81, v81, v53
	v_cndmask_b32_e32 v38, v52, v54, vcc_lo
	v_bfe_u32 v52, v39, 16, 1
	v_add3_u32 v54, v55, v57, 0x7fff
	v_mul_f32_e32 v55, v43, v58
	v_or_b32_e32 v58, 0x400000, v57
	v_cmp_u_f32_e32 vcc_lo, v57, v57
	v_add3_u32 v52, v52, v39, 0x7fff
	v_add3_u32 v57, v61, v40, 0x7fff
	v_bfe_u32 v60, v55, 16, 1
	v_and_b32_e32 v38, 0xffff0000, v38
	v_cndmask_b32_e32 v54, v54, v58, vcc_lo
	v_cmp_u_f32_e32 vcc_lo, v39, v39
	v_or_b32_e32 v58, 0x400000, v40
	v_add_f32_e32 v38, v38, v47
	v_and_b32_e32 v46, 0xffff0000, v54
	v_cndmask_b32_e32 v39, v52, v59, vcc_lo
	v_cmp_u_f32_e32 vcc_lo, v40, v40
	v_add3_u32 v52, v60, v55, 0x7fff
	v_or_b32_e32 v59, 0x400000, v55
	v_add_f32_e32 v37, v38, v37
	v_and_b32_e32 v39, 0xffff0000, v39
	v_cndmask_b32_e32 v40, v57, v58, vcc_lo
	v_cmp_u_f32_e32 vcc_lo, v55, v55
	v_add_f32_e32 v38, v39, v46
	v_and_b32_e32 v39, 0xffff0000, v40
	v_cndmask_b32_e32 v47, v52, v59, vcc_lo
	v_and_b32_e32 v52, 0xffff0000, v56
	v_and_b32_e32 v46, 0xffff0000, v33
	v_lshlrev_b32_e32 v33, 16, v33
	v_add_f32_e32 v37, v38, v37
	v_and_b32_e32 v40, 0xffff0000, v47
	v_add_f32_e32 v47, v48, v52
	v_mul_f32_e32 v33, v49, v33
	v_add_f32_e32 v38, v39, v40
	v_mul_f32_e32 v39, v0, v46
	v_add_f32_e32 v40, v47, v45
	v_and_b32_e32 v45, 0xffff0000, v34
	v_lshlrev_b32_e32 v34, 16, v34
	v_add_f32_e32 v37, v38, v37
	v_bfe_u32 v38, v39, 16, 1
	v_add_f32_e32 v82, v82, v40
	v_bfe_u32 v40, v33, 16, 1
	v_mul_f32_e32 v45, v42, v45
	v_add_f32_e32 v83, v83, v37
	v_add3_u32 v37, v38, v39, 0x7fff
	v_or_b32_e32 v38, 0x400000, v39
	v_cmp_u_f32_e32 vcc_lo, v39, v39
	v_add3_u32 v40, v40, v33, 0x7fff
	v_or_b32_e32 v46, 0x400000, v33
	v_mul_f32_e32 v34, v44, v34
	v_and_b32_e32 v39, 0xffff0000, v35
	v_cndmask_b32_e32 v37, v37, v38, vcc_lo
	v_bfe_u32 v38, v45, 16, 1
	v_cmp_u_f32_e32 vcc_lo, v33, v33
	v_lshlrev_b32_e32 v35, 16, v35
	v_mul_f32_e32 v39, v41, v39
	v_and_b32_e32 v47, 0xffff0000, v36
	v_add3_u32 v38, v38, v45, 0x7fff
	v_cndmask_b32_e32 v33, v40, v46, vcc_lo
	v_or_b32_e32 v40, 0x400000, v45
	v_bfe_u32 v46, v34, 16, 1
	v_cmp_u_f32_e32 vcc_lo, v45, v45
	v_mul_f32_e32 v35, v51, v35
	v_or_b32_e32 v45, 0x400000, v34
	v_lshlrev_b32_e32 v36, 16, v36
	v_and_b32_e32 v33, 0xffff0000, v33
	v_cndmask_b32_e32 v38, v38, v40, vcc_lo
	v_add3_u32 v40, v46, v34, 0x7fff
	v_bfe_u32 v46, v39, 16, 1
	v_cmp_u_f32_e32 vcc_lo, v34, v34
	v_bfe_u32 v48, v35, 16, 1
	v_mul_f32_e32 v36, v50, v36
	v_and_b32_e32 v37, 0xffff0000, v37
	v_and_b32_e32 v38, 0xffff0000, v38
	v_cndmask_b32_e32 v34, v40, v45, vcc_lo
	v_add3_u32 v40, v46, v39, 0x7fff
	v_mul_f32_e32 v45, v43, v47
	v_or_b32_e32 v46, 0x400000, v39
	v_cmp_u_f32_e32 vcc_lo, v39, v39
	v_add3_u32 v47, v48, v35, 0x7fff
	v_or_b32_e32 v48, 0x400000, v35
	v_bfe_u32 v52, v45, 16, 1
	v_and_b32_e32 v34, 0xffff0000, v34
	v_cndmask_b32_e32 v39, v40, v46, vcc_lo
	v_cmp_u_f32_e32 vcc_lo, v35, v35
	v_or_b32_e32 v46, 0x400000, v45
	v_add3_u32 v40, v52, v45, 0x7fff
	v_add_f32_e32 v33, v33, v37
	v_add_f32_e32 v34, v34, v38
	v_cndmask_b32_e32 v35, v47, v48, vcc_lo
	v_bfe_u32 v47, v36, 16, 1
	v_cmp_u_f32_e32 vcc_lo, v45, v45
	v_and_b32_e32 v37, 0xffff0000, v29
	v_and_b32_e32 v38, 0xffff0000, v39
	;; [unrolled: 1-line block ×3, first 2 shown]
	v_add3_u32 v45, v47, v36, 0x7fff
	v_cndmask_b32_e32 v40, v40, v46, vcc_lo
	v_or_b32_e32 v46, 0x400000, v36
	v_cmp_u_f32_e32 vcc_lo, v36, v36
	v_add_f32_e32 v33, v34, v33
	v_mul_f32_e32 v34, v0, v37
	v_add_f32_e32 v35, v35, v38
	v_lshlrev_b32_e32 v29, 16, v29
	v_cndmask_b32_e32 v36, v45, v46, vcc_lo
	v_and_b32_e32 v37, 0xffff0000, v40
	v_bfe_u32 v38, v34, 16, 1
	v_add_f32_e32 v33, v35, v33
	v_mul_f32_e32 v29, v49, v29
	v_and_b32_e32 v36, 0xffff0000, v36
	v_and_b32_e32 v35, 0xffff0000, v30
	v_lshlrev_b32_e32 v30, 16, v30
	v_cmp_u_f32_e32 vcc_lo, v34, v34
	v_bfe_u32 v39, v29, 16, 1
	v_add_f32_e32 v36, v36, v37
	v_add3_u32 v37, v38, v34, 0x7fff
	v_or_b32_e32 v38, 0x400000, v34
	v_mul_f32_e32 v35, v42, v35
	v_mul_f32_e32 v30, v44, v30
	v_and_b32_e32 v40, 0xffff0000, v31
	v_lshlrev_b32_e32 v31, 16, v31
	v_cndmask_b32_e32 v34, v37, v38, vcc_lo
	v_add3_u32 v37, v39, v29, 0x7fff
	v_or_b32_e32 v38, 0x400000, v29
	v_bfe_u32 v39, v35, 16, 1
	v_cmp_u_f32_e32 vcc_lo, v29, v29
	v_mul_f32_e32 v40, v41, v40
	v_mul_f32_e32 v31, v51, v31
	v_and_b32_e32 v45, 0xffff0000, v32
	v_lshlrev_b32_e32 v32, 16, v32
	v_cndmask_b32_e32 v29, v37, v38, vcc_lo
	v_add3_u32 v37, v39, v35, 0x7fff
	v_or_b32_e32 v38, 0x400000, v35
	v_bfe_u32 v39, v30, 16, 1
	v_cmp_u_f32_e32 vcc_lo, v35, v35
	v_mul_f32_e32 v32, v50, v32
	v_or_b32_e32 v46, 0x400000, v31
	v_and_b32_e32 v29, 0xffff0000, v29
	v_and_b32_e32 v34, 0xffff0000, v34
	v_cndmask_b32_e32 v35, v37, v38, vcc_lo
	v_add3_u32 v37, v39, v30, 0x7fff
	v_or_b32_e32 v38, 0x400000, v30
	v_bfe_u32 v39, v40, 16, 1
	v_cmp_u_f32_e32 vcc_lo, v30, v30
	v_and_b32_e32 v35, 0xffff0000, v35
	v_add_f32_e32 v29, v29, v34
	v_add_f32_e32 v33, v36, v33
	v_cndmask_b32_e32 v30, v37, v38, vcc_lo
	v_bfe_u32 v37, v31, 16, 1
	v_add3_u32 v38, v39, v40, 0x7fff
	v_mul_f32_e32 v39, v43, v45
	v_or_b32_e32 v45, 0x400000, v40
	v_cmp_u_f32_e32 vcc_lo, v40, v40
	v_add3_u32 v37, v37, v31, 0x7fff
	v_bfe_u32 v40, v32, 16, 1
	v_bfe_u32 v47, v39, 16, 1
	v_and_b32_e32 v30, 0xffff0000, v30
	v_cndmask_b32_e32 v38, v38, v45, vcc_lo
	v_cmp_u_f32_e32 vcc_lo, v31, v31
	v_add3_u32 v40, v40, v32, 0x7fff
	v_or_b32_e32 v45, 0x400000, v39
	v_add_f32_e32 v30, v30, v35
	v_and_b32_e32 v34, 0xffff0000, v38
	v_cndmask_b32_e32 v31, v37, v46, vcc_lo
	v_or_b32_e32 v46, 0x400000, v32
	v_cmp_u_f32_e32 vcc_lo, v32, v32
	v_add3_u32 v37, v47, v39, 0x7fff
	v_add_f32_e32 v29, v30, v29
	v_and_b32_e32 v31, 0xffff0000, v31
	v_add_f32_e32 v84, v84, v33
	v_cndmask_b32_e32 v32, v40, v46, vcc_lo
	v_cmp_u_f32_e32 vcc_lo, v39, v39
	v_add_f32_e32 v30, v31, v34
	v_and_b32_e32 v31, 0xffff0000, v25
	v_and_b32_e32 v32, 0xffff0000, v32
	v_cndmask_b32_e32 v35, v37, v45, vcc_lo
	v_lshlrev_b32_e32 v25, 16, v25
	v_add_f32_e32 v29, v30, v29
	v_mul_f32_e32 v31, v0, v31
	v_and_b32_e32 v34, 0xffff0000, v35
	v_mul_f32_e32 v25, v49, v25
	v_cmp_u_f32_e32 vcc_lo, v31, v31
	v_add_f32_e32 v30, v32, v34
	v_and_b32_e32 v32, 0xffff0000, v26
	v_bfe_u32 v34, v31, 16, 1
	v_bfe_u32 v33, v25, 16, 1
	v_or_b32_e32 v35, 0x400000, v25
	v_add_f32_e32 v29, v30, v29
	v_mul_f32_e32 v30, v42, v32
	v_add3_u32 v32, v34, v31, 0x7fff
	v_or_b32_e32 v34, 0x400000, v31
	v_add3_u32 v33, v33, v25, 0x7fff
	v_lshlrev_b32_e32 v26, 16, v26
	v_bfe_u32 v36, v30, 16, 1
	v_add_f32_e32 v85, v85, v29
	v_cndmask_b32_e32 v31, v32, v34, vcc_lo
	v_cmp_u_f32_e32 vcc_lo, v25, v25
	v_mul_f32_e32 v26, v44, v26
	v_add3_u32 v32, v36, v30, 0x7fff
	v_and_b32_e32 v34, 0xffff0000, v27
	v_lshlrev_b32_e32 v27, 16, v27
	v_cndmask_b32_e32 v25, v33, v35, vcc_lo
	v_or_b32_e32 v33, 0x400000, v30
	v_cmp_u_f32_e32 vcc_lo, v30, v30
	v_bfe_u32 v35, v26, 16, 1
	v_mul_f32_e32 v27, v51, v27
	v_and_b32_e32 v25, 0xffff0000, v25
	v_and_b32_e32 v31, 0xffff0000, v31
	v_cndmask_b32_e32 v30, v32, v33, vcc_lo
	v_mul_f32_e32 v32, v41, v34
	v_add3_u32 v33, v35, v26, 0x7fff
	v_or_b32_e32 v34, 0x400000, v26
	v_and_b32_e32 v35, 0xffff0000, v28
	v_cmp_u_f32_e32 vcc_lo, v26, v26
	v_bfe_u32 v36, v32, 16, 1
	v_bfe_u32 v37, v27, 16, 1
	v_lshlrev_b32_e32 v28, 16, v28
	v_and_b32_e32 v30, 0xffff0000, v30
	v_cndmask_b32_e32 v26, v33, v34, vcc_lo
	v_mul_f32_e32 v33, v43, v35
	v_add3_u32 v34, v36, v32, 0x7fff
	v_or_b32_e32 v35, 0x400000, v32
	v_cmp_u_f32_e32 vcc_lo, v32, v32
	v_add3_u32 v36, v37, v27, 0x7fff
	v_or_b32_e32 v37, 0x400000, v27
	v_bfe_u32 v38, v33, 16, 1
	v_and_b32_e32 v26, 0xffff0000, v26
	v_cndmask_b32_e32 v32, v34, v35, vcc_lo
	v_cmp_u_f32_e32 vcc_lo, v27, v27
	v_or_b32_e32 v35, 0x400000, v33
	v_add3_u32 v34, v38, v33, 0x7fff
	v_mul_f32_e32 v28, v50, v28
	v_add_f32_e32 v25, v25, v31
	v_cndmask_b32_e32 v27, v36, v37, vcc_lo
	v_cmp_u_f32_e32 vcc_lo, v33, v33
	v_add_f32_e32 v26, v26, v30
	v_and_b32_e32 v30, 0xffff0000, v17
	v_and_b32_e32 v31, 0xffff0000, v32
	;; [unrolled: 1-line block ×3, first 2 shown]
	v_cndmask_b32_e32 v33, v34, v35, vcc_lo
	v_bfe_u32 v34, v28, 16, 1
	v_add_f32_e32 v25, v26, v25
	v_mul_f32_e32 v26, v0, v30
	v_add_f32_e32 v27, v27, v31
	v_lshlrev_b32_e32 v17, 16, v17
	v_add3_u32 v32, v34, v28, 0x7fff
	v_or_b32_e32 v34, 0x400000, v28
	v_cmp_u_f32_e32 vcc_lo, v28, v28
	v_bfe_u32 v30, v26, 16, 1
	v_add_f32_e32 v25, v27, v25
	v_mul_f32_e32 v17, v49, v17
	v_and_b32_e32 v27, 0xffff0000, v18
	v_cndmask_b32_e32 v28, v32, v34, vcc_lo
	v_add3_u32 v30, v30, v26, 0x7fff
	v_or_b32_e32 v31, 0x400000, v26
	v_bfe_u32 v32, v17, 16, 1
	v_mul_f32_e32 v27, v42, v27
	v_lshlrev_b32_e32 v18, 16, v18
	v_cmp_u_f32_e32 vcc_lo, v26, v26
	v_and_b32_e32 v34, 0xffff0000, v19
	v_lshlrev_b32_e32 v19, 16, v19
	v_and_b32_e32 v35, 0xffff0000, v20
	v_mul_f32_e32 v18, v44, v18
	v_cndmask_b32_e32 v26, v30, v31, vcc_lo
	v_add3_u32 v30, v32, v17, 0x7fff
	v_or_b32_e32 v31, 0x400000, v17
	v_bfe_u32 v32, v27, 16, 1
	v_cmp_u_f32_e32 vcc_lo, v17, v17
	v_mul_f32_e32 v34, v41, v34
	v_mul_f32_e32 v19, v51, v19
	v_lshlrev_b32_e32 v20, 16, v20
	v_and_b32_e32 v26, 0xffff0000, v26
	v_cndmask_b32_e32 v17, v30, v31, vcc_lo
	v_add3_u32 v30, v32, v27, 0x7fff
	v_or_b32_e32 v31, 0x400000, v27
	v_bfe_u32 v32, v18, 16, 1
	v_cmp_u_f32_e32 vcc_lo, v27, v27
	v_mul_f32_e32 v20, v50, v20
	v_or_b32_e32 v36, 0x400000, v19
	v_and_b32_e32 v17, 0xffff0000, v17
	v_and_b32_e32 v28, 0xffff0000, v28
	v_cndmask_b32_e32 v27, v30, v31, vcc_lo
	v_add3_u32 v30, v32, v18, 0x7fff
	v_or_b32_e32 v31, 0x400000, v18
	v_bfe_u32 v32, v34, 16, 1
	v_cmp_u_f32_e32 vcc_lo, v18, v18
	v_bfe_u32 v38, v20, 16, 1
	v_and_b32_e32 v27, 0xffff0000, v27
	v_add_f32_e32 v17, v17, v26
	v_cndmask_b32_e32 v18, v30, v31, vcc_lo
	v_bfe_u32 v30, v19, 16, 1
	v_add3_u32 v31, v32, v34, 0x7fff
	v_mul_f32_e32 v32, v43, v35
	v_or_b32_e32 v35, 0x400000, v34
	v_cmp_u_f32_e32 vcc_lo, v34, v34
	v_add3_u32 v30, v30, v19, 0x7fff
	v_add3_u32 v34, v38, v20, 0x7fff
	v_bfe_u32 v37, v32, 16, 1
	v_and_b32_e32 v18, 0xffff0000, v18
	v_cndmask_b32_e32 v31, v31, v35, vcc_lo
	v_cmp_u_f32_e32 vcc_lo, v19, v19
	v_or_b32_e32 v35, 0x400000, v20
	v_add_f32_e32 v18, v18, v27
	v_and_b32_e32 v26, 0xffff0000, v31
	v_cndmask_b32_e32 v19, v30, v36, vcc_lo
	v_cmp_u_f32_e32 vcc_lo, v20, v20
	v_add3_u32 v30, v37, v32, 0x7fff
	v_or_b32_e32 v36, 0x400000, v32
	v_add_f32_e32 v17, v18, v17
	v_and_b32_e32 v19, 0xffff0000, v19
	v_cndmask_b32_e32 v20, v34, v35, vcc_lo
	v_cmp_u_f32_e32 vcc_lo, v32, v32
	v_add_f32_e32 v18, v19, v26
	v_and_b32_e32 v19, 0xffff0000, v20
	v_cndmask_b32_e32 v27, v30, v36, vcc_lo
	v_and_b32_e32 v30, 0xffff0000, v33
	v_and_b32_e32 v26, 0xffff0000, v13
	v_lshlrev_b32_e32 v13, 16, v13
	v_add_f32_e32 v17, v18, v17
	v_and_b32_e32 v20, 0xffff0000, v27
	v_add_f32_e32 v27, v28, v30
	v_mul_f32_e32 v13, v49, v13
	v_add_f32_e32 v18, v19, v20
	v_mul_f32_e32 v19, v0, v26
	v_add_f32_e32 v20, v27, v25
	v_and_b32_e32 v25, 0xffff0000, v14
	v_lshlrev_b32_e32 v14, 16, v14
	v_add_f32_e32 v17, v18, v17
	v_bfe_u32 v18, v19, 16, 1
	v_add_f32_e32 v86, v86, v20
	v_bfe_u32 v20, v13, 16, 1
	v_mul_f32_e32 v25, v42, v25
	v_add_f32_e32 v87, v87, v17
	v_add3_u32 v17, v18, v19, 0x7fff
	v_or_b32_e32 v18, 0x400000, v19
	v_cmp_u_f32_e32 vcc_lo, v19, v19
	v_add3_u32 v20, v20, v13, 0x7fff
	v_or_b32_e32 v26, 0x400000, v13
	v_mul_f32_e32 v14, v44, v14
	v_and_b32_e32 v19, 0xffff0000, v15
	v_cndmask_b32_e32 v17, v17, v18, vcc_lo
	v_bfe_u32 v18, v25, 16, 1
	v_cmp_u_f32_e32 vcc_lo, v13, v13
	v_lshlrev_b32_e32 v15, 16, v15
	v_mul_f32_e32 v19, v41, v19
	v_and_b32_e32 v27, 0xffff0000, v16
	v_add3_u32 v18, v18, v25, 0x7fff
	v_cndmask_b32_e32 v13, v20, v26, vcc_lo
	v_or_b32_e32 v20, 0x400000, v25
	v_bfe_u32 v26, v14, 16, 1
	v_cmp_u_f32_e32 vcc_lo, v25, v25
	v_mul_f32_e32 v15, v51, v15
	v_or_b32_e32 v25, 0x400000, v14
	v_lshlrev_b32_e32 v16, 16, v16
	v_and_b32_e32 v13, 0xffff0000, v13
	v_cndmask_b32_e32 v18, v18, v20, vcc_lo
	v_add3_u32 v20, v26, v14, 0x7fff
	v_bfe_u32 v26, v19, 16, 1
	v_cmp_u_f32_e32 vcc_lo, v14, v14
	v_bfe_u32 v28, v15, 16, 1
	v_mul_f32_e32 v16, v50, v16
	v_and_b32_e32 v17, 0xffff0000, v17
	v_and_b32_e32 v18, 0xffff0000, v18
	v_cndmask_b32_e32 v14, v20, v25, vcc_lo
	v_add3_u32 v20, v26, v19, 0x7fff
	v_mul_f32_e32 v25, v43, v27
	v_or_b32_e32 v26, 0x400000, v19
	v_cmp_u_f32_e32 vcc_lo, v19, v19
	v_add3_u32 v27, v28, v15, 0x7fff
	v_or_b32_e32 v28, 0x400000, v15
	v_bfe_u32 v29, v25, 16, 1
	v_and_b32_e32 v14, 0xffff0000, v14
	v_cndmask_b32_e32 v19, v20, v26, vcc_lo
	v_cmp_u_f32_e32 vcc_lo, v15, v15
	v_or_b32_e32 v26, 0x400000, v25
	v_add3_u32 v20, v29, v25, 0x7fff
	v_add_f32_e32 v13, v13, v17
	v_add_f32_e32 v14, v14, v18
	v_cndmask_b32_e32 v15, v27, v28, vcc_lo
	v_bfe_u32 v27, v16, 16, 1
	v_cmp_u_f32_e32 vcc_lo, v25, v25
	v_and_b32_e32 v18, 0xffff0000, v9
	v_and_b32_e32 v17, 0xffff0000, v19
	;; [unrolled: 1-line block ×3, first 2 shown]
	v_add3_u32 v25, v27, v16, 0x7fff
	v_cndmask_b32_e32 v20, v20, v26, vcc_lo
	v_or_b32_e32 v26, 0x400000, v16
	v_cmp_u_f32_e32 vcc_lo, v16, v16
	v_lshlrev_b32_e32 v9, 16, v9
	v_add_f32_e32 v13, v14, v13
	v_mul_f32_e32 v14, v0, v18
	v_add_f32_e32 v15, v15, v17
	v_cndmask_b32_e32 v16, v25, v26, vcc_lo
	v_mul_f32_e32 v17, v49, v9
	v_and_b32_e32 v18, 0xffff0000, v20
	v_bfe_u32 v19, v14, 16, 1
	v_and_b32_e32 v20, 0xffff0000, v10
	v_and_b32_e32 v16, 0xffff0000, v16
	v_add_f32_e32 v9, v15, v13
	v_bfe_u32 v15, v17, 16, 1
	v_lshlrev_b32_e32 v10, 16, v10
	v_cmp_u_f32_e32 vcc_lo, v14, v14
	v_add_f32_e32 v13, v16, v18
	v_add3_u32 v16, v19, v14, 0x7fff
	v_or_b32_e32 v18, 0x400000, v14
	v_mul_f32_e32 v19, v42, v20
	v_add3_u32 v15, v15, v17, 0x7fff
	v_or_b32_e32 v20, 0x400000, v17
	v_mul_f32_e32 v10, v44, v10
	v_cndmask_b32_e32 v14, v16, v18, vcc_lo
	v_bfe_u32 v16, v19, 16, 1
	v_cmp_u_f32_e32 vcc_lo, v17, v17
	v_and_b32_e32 v17, 0xffff0000, v11
	v_or_b32_e32 v18, 0x400000, v19
	v_lshlrev_b32_e32 v11, 16, v11
	v_add3_u32 v16, v16, v19, 0x7fff
	v_cndmask_b32_e32 v15, v15, v20, vcc_lo
	v_bfe_u32 v20, v10, 16, 1
	v_mul_f32_e32 v17, v41, v17
	v_cmp_u_f32_e32 vcc_lo, v19, v19
	v_mul_f32_e32 v11, v51, v11
	v_or_b32_e32 v19, 0x400000, v10
	v_and_b32_e32 v25, 0xffff0000, v12
	v_lshlrev_b32_e32 v12, 16, v12
	v_cndmask_b32_e32 v16, v16, v18, vcc_lo
	v_add3_u32 v18, v20, v10, 0x7fff
	v_bfe_u32 v20, v17, 16, 1
	v_cmp_u_f32_e32 vcc_lo, v10, v10
	v_bfe_u32 v26, v11, 16, 1
	v_mul_f32_e32 v12, v50, v12
	v_and_b32_e32 v15, 0xffff0000, v15
	v_and_b32_e32 v14, 0xffff0000, v14
	v_cndmask_b32_e32 v10, v18, v19, vcc_lo
	v_add3_u32 v18, v20, v17, 0x7fff
	v_mul_f32_e32 v19, v43, v25
	v_or_b32_e32 v20, 0x400000, v17
	v_cmp_u_f32_e32 vcc_lo, v17, v17
	v_add3_u32 v25, v26, v11, 0x7fff
	v_or_b32_e32 v26, 0x400000, v11
	v_bfe_u32 v27, v19, 16, 1
	v_and_b32_e32 v10, 0xffff0000, v10
	v_cndmask_b32_e32 v17, v18, v20, vcc_lo
	v_cmp_u_f32_e32 vcc_lo, v11, v11
	v_or_b32_e32 v20, 0x400000, v19
	v_add3_u32 v18, v27, v19, 0x7fff
	v_and_b32_e32 v16, 0xffff0000, v16
	v_add_f32_e32 v14, v15, v14
	v_cndmask_b32_e32 v11, v25, v26, vcc_lo
	v_bfe_u32 v25, v12, 16, 1
	v_cmp_u_f32_e32 vcc_lo, v19, v19
	v_add_f32_e32 v10, v10, v16
	v_and_b32_e32 v16, 0xffff0000, v5
	v_and_b32_e32 v11, 0xffff0000, v11
	v_add3_u32 v19, v25, v12, 0x7fff
	v_cndmask_b32_e32 v18, v18, v20, vcc_lo
	v_or_b32_e32 v20, 0x400000, v12
	v_cmp_u_f32_e32 vcc_lo, v12, v12
	v_and_b32_e32 v15, 0xffff0000, v17
	v_lshlrev_b32_e32 v5, 16, v5
	v_add_f32_e32 v10, v10, v14
	v_mul_f32_e32 v14, v0, v16
	v_cndmask_b32_e32 v12, v19, v20, vcc_lo
	v_add_f32_e32 v11, v11, v15
	v_mul_f32_e32 v15, v49, v5
	v_and_b32_e32 v16, 0xffff0000, v18
	v_and_b32_e32 v17, 0xffff0000, v6
	;; [unrolled: 1-line block ×3, first 2 shown]
	v_bfe_u32 v18, v14, 16, 1
	v_add_f32_e32 v5, v11, v10
	v_bfe_u32 v11, v15, 16, 1
	v_cmp_u_f32_e32 vcc_lo, v14, v14
	v_add_f32_e32 v10, v12, v16
	v_mul_f32_e32 v12, v42, v17
	v_add3_u32 v16, v18, v14, 0x7fff
	v_or_b32_e32 v17, 0x400000, v14
	v_add3_u32 v11, v11, v15, 0x7fff
	v_or_b32_e32 v18, 0x400000, v15
	v_bfe_u32 v19, v12, 16, 1
	v_lshlrev_b32_e32 v6, 16, v6
	v_cndmask_b32_e32 v14, v16, v17, vcc_lo
	v_cmp_u_f32_e32 vcc_lo, v15, v15
	v_or_b32_e32 v16, 0x400000, v12
	v_add3_u32 v15, v19, v12, 0x7fff
	v_mul_f32_e32 v6, v44, v6
	v_and_b32_e32 v17, 0xffff0000, v7
	v_cndmask_b32_e32 v11, v11, v18, vcc_lo
	v_cmp_u_f32_e32 vcc_lo, v12, v12
	v_lshlrev_b32_e32 v7, 16, v7
	v_bfe_u32 v18, v6, 16, 1
	v_and_b32_e32 v14, 0xffff0000, v14
	v_and_b32_e32 v11, 0xffff0000, v11
	v_cndmask_b32_e32 v12, v15, v16, vcc_lo
	v_mul_f32_e32 v15, v41, v17
	v_mul_f32_e32 v7, v51, v7
	v_add3_u32 v16, v18, v6, 0x7fff
	v_or_b32_e32 v17, 0x400000, v6
	v_and_b32_e32 v18, 0xffff0000, v8
	v_bfe_u32 v19, v15, 16, 1
	v_cmp_u_f32_e32 vcc_lo, v6, v6
	v_bfe_u32 v20, v7, 16, 1
	v_lshlrev_b32_e32 v8, 16, v8
	v_and_b32_e32 v12, 0xffff0000, v12
	v_add_f32_e32 v11, v11, v14
	v_cndmask_b32_e32 v6, v16, v17, vcc_lo
	v_mul_f32_e32 v16, v43, v18
	v_add3_u32 v17, v19, v15, 0x7fff
	v_or_b32_e32 v18, 0x400000, v15
	v_cmp_u_f32_e32 vcc_lo, v15, v15
	v_add3_u32 v19, v20, v7, 0x7fff
	v_or_b32_e32 v20, 0x400000, v7
	v_bfe_u32 v25, v16, 16, 1
	v_and_b32_e32 v6, 0xffff0000, v6
	v_cndmask_b32_e32 v15, v17, v18, vcc_lo
	v_cmp_u_f32_e32 vcc_lo, v7, v7
	v_or_b32_e32 v18, 0x400000, v16
	v_add3_u32 v17, v25, v16, 0x7fff
	v_mul_f32_e32 v8, v50, v8
	v_add_f32_e32 v6, v6, v12
	v_cndmask_b32_e32 v7, v19, v20, vcc_lo
	v_cmp_u_f32_e32 vcc_lo, v16, v16
	v_and_b32_e32 v12, 0xffff0000, v1
	v_and_b32_e32 v14, 0xffff0000, v15
	v_add_f32_e32 v6, v6, v11
	v_and_b32_e32 v7, 0xffff0000, v7
	v_cndmask_b32_e32 v16, v17, v18, vcc_lo
	v_bfe_u32 v17, v8, 16, 1
	v_mul_f32_e32 v11, v0, v12
	v_lshlrev_b32_e32 v1, 16, v1
	v_add_f32_e32 v7, v7, v14
	v_cmp_u_f32_e32 vcc_lo, v8, v8
	v_add3_u32 v15, v17, v8, 0x7fff
	v_or_b32_e32 v17, 0x400000, v8
	v_bfe_u32 v12, v11, 16, 1
	v_add_f32_e32 v6, v7, v6
	v_and_b32_e32 v7, 0xffff0000, v2
	v_mul_f32_e32 v1, v49, v1
	v_cndmask_b32_e32 v8, v15, v17, vcc_lo
	v_add3_u32 v12, v12, v11, 0x7fff
	v_or_b32_e32 v14, 0x400000, v11
	v_mul_f32_e32 v7, v42, v7
	v_and_b32_e32 v15, 0xffff0000, v16
	v_bfe_u32 v16, v1, 16, 1
	v_cmp_u_f32_e32 vcc_lo, v11, v11
	v_lshlrev_b32_e32 v2, 16, v2
	v_or_b32_e32 v17, 0x400000, v1
	v_or_b32_e32 v18, 0x400000, v7
	s_waitcnt vmcnt(0)
	v_lshlrev_b32_e32 v20, 16, v24
	v_cndmask_b32_e32 v11, v12, v14, vcc_lo
	v_bfe_u32 v12, v7, 16, 1
	v_add3_u32 v14, v16, v1, 0x7fff
	v_and_b32_e32 v16, 0xffff0000, v3
	v_mul_f32_e32 v2, v44, v2
	v_cmp_u_f32_e32 vcc_lo, v1, v1
	v_add3_u32 v12, v12, v7, 0x7fff
	v_lshlrev_b32_e32 v3, 16, v3
	v_mul_f32_e32 v16, v41, v16
	v_and_b32_e32 v11, 0xffff0000, v11
	v_cndmask_b32_e32 v1, v14, v17, vcc_lo
	v_bfe_u32 v14, v2, 16, 1
	v_cmp_u_f32_e32 vcc_lo, v7, v7
	v_and_b32_e32 v17, 0xffff0000, v4
	v_mul_f32_e32 v3, v51, v3
	v_or_b32_e32 v19, 0x400000, v16
	v_add3_u32 v14, v14, v2, 0x7fff
	v_cndmask_b32_e32 v7, v12, v18, vcc_lo
	v_bfe_u32 v12, v16, 16, 1
	v_or_b32_e32 v18, 0x400000, v2
	v_cmp_u_f32_e32 vcc_lo, v2, v2
	v_mul_f32_e32 v17, v43, v17
	v_lshlrev_b32_e32 v4, 16, v4
	v_add3_u32 v12, v12, v16, 0x7fff
	v_and_b32_e32 v1, 0xffff0000, v1
	v_cndmask_b32_e32 v2, v14, v18, vcc_lo
	v_bfe_u32 v14, v3, 16, 1
	v_cmp_u_f32_e32 vcc_lo, v16, v16
	v_bfe_u32 v18, v17, 16, 1
	v_or_b32_e32 v16, 0x400000, v3
	v_mul_f32_e32 v4, v50, v4
	v_add3_u32 v14, v14, v3, 0x7fff
	v_cndmask_b32_e32 v12, v12, v19, vcc_lo
	v_cmp_u_f32_e32 vcc_lo, v3, v3
	v_add3_u32 v18, v18, v17, 0x7fff
	v_or_b32_e32 v19, 0x400000, v17
	v_and_b32_e32 v2, 0xffff0000, v2
	v_and_b32_e32 v7, 0xffff0000, v7
	v_cndmask_b32_e32 v3, v14, v16, vcc_lo
	v_cmp_u_f32_e32 vcc_lo, v17, v17
	v_bfe_u32 v16, v4, 16, 1
	v_add_f32_e32 v1, v1, v11
	v_add_f32_e32 v2, v2, v7
	v_and_b32_e32 v3, 0xffff0000, v3
	v_cndmask_b32_e32 v14, v18, v19, vcc_lo
	v_lshlrev_b32_e32 v18, 16, v21
	v_and_b32_e32 v7, 0xffff0000, v12
	v_and_b32_e32 v12, 0xffff0000, v21
	v_add3_u32 v16, v16, v4, 0x7fff
	v_or_b32_e32 v17, 0x400000, v4
	v_mul_f32_e32 v11, v49, v18
	v_cmp_u_f32_e32 vcc_lo, v4, v4
	v_add_f32_e32 v1, v2, v1
	v_add_f32_e32 v3, v3, v7
	v_mul_f32_e32 v0, v0, v12
	v_bfe_u32 v2, v11, 16, 1
	v_lshlrev_b32_e32 v7, 16, v22
	v_cndmask_b32_e32 v4, v16, v17, vcc_lo
	v_or_b32_e32 v12, 0x400000, v11
	v_bfe_u32 v16, v0, 16, 1
	v_add3_u32 v2, v2, v11, 0x7fff
	v_mul_f32_e32 v7, v44, v7
	v_and_b32_e32 v17, 0xffff0000, v22
	v_cmp_u_f32_e32 vcc_lo, v11, v11
	v_add3_u32 v11, v16, v0, 0x7fff
	v_lshlrev_b32_e32 v18, 16, v23
	v_bfe_u32 v16, v7, 16, 1
	v_mul_f32_e32 v17, v42, v17
	v_cndmask_b32_e32 v2, v2, v12, vcc_lo
	v_or_b32_e32 v12, 0x400000, v0
	v_cmp_u_f32_e32 vcc_lo, v0, v0
	v_mul_f32_e32 v18, v51, v18
	v_and_b32_e32 v19, 0xffff0000, v23
	v_and_b32_e32 v21, 0xffff0000, v24
	;; [unrolled: 1-line block ×3, first 2 shown]
	v_cndmask_b32_e32 v0, v11, v12, vcc_lo
	v_add3_u32 v11, v16, v7, 0x7fff
	v_or_b32_e32 v12, 0x400000, v7
	v_bfe_u32 v16, v17, 16, 1
	v_cmp_u_f32_e32 vcc_lo, v7, v7
	v_mul_f32_e32 v19, v41, v19
	v_and_b32_e32 v0, 0xffff0000, v0
	v_and_b32_e32 v8, 0xffff0000, v8
	;; [unrolled: 1-line block ×3, first 2 shown]
	v_cndmask_b32_e32 v7, v11, v12, vcc_lo
	v_add3_u32 v11, v16, v17, 0x7fff
	v_or_b32_e32 v12, 0x400000, v17
	v_bfe_u32 v16, v18, 16, 1
	v_cmp_u_f32_e32 vcc_lo, v17, v17
	v_mul_f32_e32 v17, v50, v20
	v_mul_f32_e32 v20, v43, v21
	v_or_b32_e32 v21, 0x400000, v18
	v_add3_u32 v16, v16, v18, 0x7fff
	v_cndmask_b32_e32 v11, v11, v12, vcc_lo
	v_bfe_u32 v12, v19, 16, 1
	v_cmp_u_f32_e32 vcc_lo, v18, v18
	v_or_b32_e32 v22, 0x400000, v19
	v_bfe_u32 v24, v20, 16, 1
	v_bfe_u32 v23, v17, 16, 1
	v_add3_u32 v12, v12, v19, 0x7fff
	v_cndmask_b32_e32 v16, v16, v21, vcc_lo
	v_cmp_u_f32_e32 vcc_lo, v19, v19
	v_add3_u32 v19, v24, v20, 0x7fff
	v_or_b32_e32 v21, 0x400000, v20
	v_add3_u32 v18, v23, v17, 0x7fff
	v_and_b32_e32 v11, 0xffff0000, v11
	v_cndmask_b32_e32 v12, v12, v22, vcc_lo
	v_cmp_u_f32_e32 vcc_lo, v20, v20
	v_and_b32_e32 v7, 0xffff0000, v7
	v_or_b32_e32 v22, 0x400000, v17
	v_add_f32_e32 v0, v2, v0
	v_and_b32_e32 v14, 0xffff0000, v14
	v_cndmask_b32_e32 v19, v19, v21, vcc_lo
	v_cmp_u_f32_e32 vcc_lo, v17, v17
	v_add_f32_e32 v2, v7, v11
	v_and_b32_e32 v7, 0xffff0000, v12
	v_and_b32_e32 v11, 0xffff0000, v16
	v_add_f32_e32 v8, v8, v15
	v_cndmask_b32_e32 v12, v18, v22, vcc_lo
	v_add_f32_e32 v0, v2, v0
	v_add_f32_e32 v1, v3, v1
	;; [unrolled: 1-line block ×3, first 2 shown]
	v_and_b32_e32 v7, 0xffff0000, v19
	v_and_b32_e32 v11, 0xffff0000, v12
	v_add_f32_e32 v3, v4, v14
	v_add_f32_e32 v4, v13, v9
	;; [unrolled: 1-line block ×13, first 2 shown]
.LBB149_34:                             ;   in Loop: Header=BB149_35 Depth=1
	s_or_b32 exec_lo, exec_lo, s18
	v_add_nc_u32_e32 v98, 4, v98
	v_add_co_u32 v69, s0, v69, 16
	v_add_co_ci_u32_e64 v70, null, 0, v70, s0
	v_cmp_le_i32_e32 vcc_lo, s16, v98
	v_add_nc_u32_e32 v73, 0x80, v73
	v_add_nc_u32_e32 v96, 0x200, v96
	s_or_b32 s15, vcc_lo, s15
	s_andn2_b32 exec_lo, exec_lo, s15
	s_cbranch_execz .LBB149_66
.LBB149_35:                             ; =>This Inner Loop Header: Depth=1
	v_mul_hi_u32 v0, v73, s21
	v_mul_lo_u32 v1, v0, s12
	v_add_nc_u32_e32 v2, 1, v0
	v_sub_nc_u32_e32 v1, v73, v1
	v_subrev_nc_u32_e32 v3, s12, v1
	v_cmp_le_u32_e32 vcc_lo, s12, v1
	v_cndmask_b32_e32 v0, v0, v2, vcc_lo
	v_cndmask_b32_e32 v1, v1, v3, vcc_lo
	v_add_nc_u32_e32 v2, 1, v0
	v_cmp_le_u32_e32 vcc_lo, s12, v1
	v_cndmask_b32_e32 v0, v0, v2, vcc_lo
	v_xor_b32_e32 v0, s19, v0
	v_subrev_nc_u32_e32 v0, s19, v0
	v_add_nc_u32_e32 v1, s29, v0
	v_cmp_lt_i32_e64 s0, s4, v0
	v_sub_nc_u32_e32 v2, 0, v1
	v_max_i32_e32 v2, v1, v2
	v_ashrrev_i32_e32 v1, 31, v1
	v_mul_hi_u32 v3, v2, v97
	v_mul_lo_u32 v3, v3, s5
	v_sub_nc_u32_e32 v2, v2, v3
	v_subrev_nc_u32_e32 v3, s5, v2
	v_cmp_le_u32_e32 vcc_lo, s5, v2
	v_cndmask_b32_e32 v2, v2, v3, vcc_lo
	v_subrev_nc_u32_e32 v3, s5, v2
	v_cmp_le_u32_e32 vcc_lo, s5, v2
	v_cndmask_b32_e32 v2, v2, v3, vcc_lo
	v_xor_b32_e32 v2, v2, v1
	v_sub_nc_u32_e32 v1, v2, v1
	v_cmp_eq_u32_e32 vcc_lo, 0, v1
	s_or_b32 s0, vcc_lo, s0
	s_and_saveexec_b32 s18, s0
	s_cbranch_execz .LBB149_34
; %bb.36:                               ;   in Loop: Header=BB149_35 Depth=1
	global_load_dword v0, v[69:70], off
	v_add_nc_u32_e32 v100, v93, v73
	v_cmp_eq_u32_e64 s0, s14, v98
	v_add_nc_u32_e32 v103, 1, v100
	v_or_b32_e32 v101, 3, v100
	v_or_b32_e32 v102, 2, v100
	;; [unrolled: 1-line block ×5, first 2 shown]
	s_waitcnt vmcnt(0)
	v_mad_i64_i32 v[0:1], null, v0, s13, 0
	v_lshlrev_b64 v[0:1], 1, v[0:1]
	v_add_co_u32 v21, vcc_lo, v94, v0
	v_add_co_ci_u32_e64 v22, null, v95, v1, vcc_lo
	v_or_b32_e32 v0, 6, v100
	global_load_dwordx4 v[1:4], v[21:22], off
	ds_read2_b64 v[49:52], v96 offset1:1
	ds_read2_b64 v[41:44], v96 offset0:2 offset1:3
	s_and_saveexec_b32 s22, s0
	s_cbranch_execnz .LBB149_54
; %bb.37:                               ;   in Loop: Header=BB149_35 Depth=1
	s_or_b32 exec_lo, exec_lo, s22
	global_load_dwordx4 v[5:8], v[21:22], off offset:512
	s_and_saveexec_b32 s22, s0
	s_cbranch_execnz .LBB149_55
.LBB149_38:                             ;   in Loop: Header=BB149_35 Depth=1
	s_or_b32 exec_lo, exec_lo, s22
	global_load_dwordx4 v[9:12], v[21:22], off offset:1024
	s_and_saveexec_b32 s22, s0
	s_cbranch_execnz .LBB149_56
.LBB149_39:                             ;   in Loop: Header=BB149_35 Depth=1
	s_or_b32 exec_lo, exec_lo, s22
	global_load_dwordx4 v[13:16], v[21:22], off offset:1536
	s_and_saveexec_b32 s22, s0
	s_cbranch_execz .LBB149_41
.LBB149_40:                             ;   in Loop: Header=BB149_35 Depth=1
	v_cmp_gt_i32_e64 s1, s28, v100
	v_cmp_gt_i32_e32 vcc_lo, s17, v103
	v_cmp_gt_i32_e64 s2, s28, v102
	s_waitcnt vmcnt(0)
	v_cndmask_b32_e64 v17, 0, v13, s1
	v_cmp_gt_i32_e64 s1, s17, v101
	v_cndmask_b32_sdwa v13, v92, v13, vcc_lo dst_sel:DWORD dst_unused:UNUSED_PAD src0_sel:DWORD src1_sel:WORD_1
	v_cndmask_b32_e64 v18, 0, v14, s2
	v_cmp_gt_i32_e64 s2, s17, v99
	s_mov_b32 vcc_lo, s1
	v_cmp_gt_i32_e64 s1, s17, v71
	v_cndmask_b32_sdwa v14, v92, v14, vcc_lo dst_sel:DWORD dst_unused:UNUSED_PAD src0_sel:DWORD src1_sel:WORD_1
	v_cmp_gt_i32_e32 vcc_lo, s28, v72
	v_perm_b32 v13, v13, v17, 0x5040100
	v_perm_b32 v14, v14, v18, 0x5040100
	v_cndmask_b32_e32 v19, 0, v15, vcc_lo
	s_mov_b32 vcc_lo, s2
	v_cndmask_b32_sdwa v15, v92, v15, vcc_lo dst_sel:DWORD dst_unused:UNUSED_PAD src0_sel:DWORD src1_sel:WORD_1
	v_cmp_gt_i32_e32 vcc_lo, s28, v0
	v_perm_b32 v15, v15, v19, 0x5040100
	v_cndmask_b32_e32 v20, 0, v16, vcc_lo
	s_mov_b32 vcc_lo, s1
	v_cndmask_b32_sdwa v16, v92, v16, vcc_lo dst_sel:DWORD dst_unused:UNUSED_PAD src0_sel:DWORD src1_sel:WORD_1
	v_perm_b32 v16, v16, v20, 0x5040100
.LBB149_41:                             ;   in Loop: Header=BB149_35 Depth=1
	s_or_b32 exec_lo, exec_lo, s22
	v_add_co_u32 v23, vcc_lo, 0x800, v21
	v_add_co_ci_u32_e64 v24, null, 0, v22, vcc_lo
	global_load_dwordx4 v[17:20], v[23:24], off
	s_and_saveexec_b32 s22, s0
	s_cbranch_execnz .LBB149_57
; %bb.42:                               ;   in Loop: Header=BB149_35 Depth=1
	s_or_b32 exec_lo, exec_lo, s22
	global_load_dwordx4 v[25:28], v[23:24], off offset:512
	s_and_saveexec_b32 s22, s0
	s_cbranch_execnz .LBB149_58
.LBB149_43:                             ;   in Loop: Header=BB149_35 Depth=1
	s_or_b32 exec_lo, exec_lo, s22
	global_load_dwordx4 v[29:32], v[23:24], off offset:1024
	s_and_saveexec_b32 s22, s0
	s_cbranch_execnz .LBB149_59
.LBB149_44:                             ;   in Loop: Header=BB149_35 Depth=1
	s_or_b32 exec_lo, exec_lo, s22
	global_load_dwordx4 v[33:36], v[23:24], off offset:1536
	s_and_saveexec_b32 s22, s0
	s_cbranch_execz .LBB149_46
.LBB149_45:                             ;   in Loop: Header=BB149_35 Depth=1
	v_cmp_gt_i32_e64 s1, s28, v100
	v_cmp_gt_i32_e32 vcc_lo, s17, v103
	v_cmp_gt_i32_e64 s2, s28, v102
	s_waitcnt vmcnt(0)
	v_cndmask_b32_e64 v23, 0, v33, s1
	v_cmp_gt_i32_e64 s1, s17, v101
	v_cndmask_b32_sdwa v33, v92, v33, vcc_lo dst_sel:DWORD dst_unused:UNUSED_PAD src0_sel:DWORD src1_sel:WORD_1
	v_cndmask_b32_e64 v24, 0, v34, s2
	v_cmp_gt_i32_e64 s2, s17, v99
	s_mov_b32 vcc_lo, s1
	v_cmp_gt_i32_e64 s1, s17, v71
	v_cndmask_b32_sdwa v34, v92, v34, vcc_lo dst_sel:DWORD dst_unused:UNUSED_PAD src0_sel:DWORD src1_sel:WORD_1
	v_cmp_gt_i32_e32 vcc_lo, s28, v72
	v_perm_b32 v33, v33, v23, 0x5040100
	v_perm_b32 v34, v34, v24, 0x5040100
	v_cndmask_b32_e32 v37, 0, v35, vcc_lo
	s_mov_b32 vcc_lo, s2
	v_cndmask_b32_sdwa v35, v92, v35, vcc_lo dst_sel:DWORD dst_unused:UNUSED_PAD src0_sel:DWORD src1_sel:WORD_1
	v_cmp_gt_i32_e32 vcc_lo, s28, v0
	v_perm_b32 v35, v35, v37, 0x5040100
	v_cndmask_b32_e32 v38, 0, v36, vcc_lo
	s_mov_b32 vcc_lo, s1
	v_cndmask_b32_sdwa v36, v92, v36, vcc_lo dst_sel:DWORD dst_unused:UNUSED_PAD src0_sel:DWORD src1_sel:WORD_1
	v_perm_b32 v36, v36, v38, 0x5040100
.LBB149_46:                             ;   in Loop: Header=BB149_35 Depth=1
	s_or_b32 exec_lo, exec_lo, s22
	v_add_co_u32 v23, vcc_lo, 0x1000, v21
	v_add_co_ci_u32_e64 v24, null, 0, v22, vcc_lo
	global_load_dwordx4 v[37:40], v[23:24], off
	s_and_saveexec_b32 s22, s0
	s_cbranch_execnz .LBB149_60
; %bb.47:                               ;   in Loop: Header=BB149_35 Depth=1
	s_or_b32 exec_lo, exec_lo, s22
	global_load_dwordx4 v[45:48], v[23:24], off offset:512
	s_and_saveexec_b32 s22, s0
	s_cbranch_execnz .LBB149_61
.LBB149_48:                             ;   in Loop: Header=BB149_35 Depth=1
	s_or_b32 exec_lo, exec_lo, s22
	global_load_dwordx4 v[53:56], v[23:24], off offset:1024
	s_and_saveexec_b32 s22, s0
	s_cbranch_execnz .LBB149_62
.LBB149_49:                             ;   in Loop: Header=BB149_35 Depth=1
	s_or_b32 exec_lo, exec_lo, s22
	global_load_dwordx4 v[57:60], v[23:24], off offset:1536
	s_and_saveexec_b32 s22, s0
	s_cbranch_execz .LBB149_51
.LBB149_50:                             ;   in Loop: Header=BB149_35 Depth=1
	v_cmp_gt_i32_e64 s1, s28, v100
	v_cmp_gt_i32_e32 vcc_lo, s17, v103
	v_cmp_gt_i32_e64 s2, s28, v102
	s_waitcnt vmcnt(0)
	v_cndmask_b32_e64 v23, 0, v57, s1
	v_cmp_gt_i32_e64 s1, s17, v101
	v_cndmask_b32_sdwa v57, v92, v57, vcc_lo dst_sel:DWORD dst_unused:UNUSED_PAD src0_sel:DWORD src1_sel:WORD_1
	v_cndmask_b32_e64 v24, 0, v58, s2
	v_cmp_gt_i32_e64 s2, s17, v99
	s_mov_b32 vcc_lo, s1
	v_cmp_gt_i32_e64 s1, s17, v71
	v_cndmask_b32_sdwa v58, v92, v58, vcc_lo dst_sel:DWORD dst_unused:UNUSED_PAD src0_sel:DWORD src1_sel:WORD_1
	v_cmp_gt_i32_e32 vcc_lo, s28, v72
	v_perm_b32 v57, v57, v23, 0x5040100
	v_perm_b32 v58, v58, v24, 0x5040100
	v_cndmask_b32_e32 v61, 0, v59, vcc_lo
	s_mov_b32 vcc_lo, s2
	v_cndmask_b32_sdwa v59, v92, v59, vcc_lo dst_sel:DWORD dst_unused:UNUSED_PAD src0_sel:DWORD src1_sel:WORD_1
	v_cmp_gt_i32_e32 vcc_lo, s28, v0
	v_perm_b32 v59, v59, v61, 0x5040100
	v_cndmask_b32_e32 v62, 0, v60, vcc_lo
	s_mov_b32 vcc_lo, s1
	v_cndmask_b32_sdwa v60, v92, v60, vcc_lo dst_sel:DWORD dst_unused:UNUSED_PAD src0_sel:DWORD src1_sel:WORD_1
	v_perm_b32 v60, v60, v62, 0x5040100
.LBB149_51:                             ;   in Loop: Header=BB149_35 Depth=1
	s_or_b32 exec_lo, exec_lo, s22
	v_add_co_u32 v21, vcc_lo, 0x1800, v21
	v_add_co_ci_u32_e64 v22, null, 0, v22, vcc_lo
	global_load_dwordx4 v[61:64], v[21:22], off
	s_and_saveexec_b32 s22, s0
	s_cbranch_execnz .LBB149_63
; %bb.52:                               ;   in Loop: Header=BB149_35 Depth=1
	s_or_b32 exec_lo, exec_lo, s22
	global_load_dwordx4 v[65:68], v[21:22], off offset:512
	s_and_saveexec_b32 s22, s0
	s_cbranch_execnz .LBB149_64
.LBB149_53:                             ;   in Loop: Header=BB149_35 Depth=1
	s_or_b32 exec_lo, exec_lo, s22
	global_load_dwordx4 v[21:24], v[21:22], off offset:1024
	s_and_saveexec_b32 s2, s0
	s_cbranch_execz .LBB149_33
	s_branch .LBB149_65
.LBB149_54:                             ;   in Loop: Header=BB149_35 Depth=1
	v_cmp_gt_i32_e64 s1, s28, v100
	v_cmp_gt_i32_e32 vcc_lo, s17, v103
	v_cmp_gt_i32_e64 s2, s28, v102
	s_waitcnt vmcnt(0)
	v_cndmask_b32_e64 v5, 0, v1, s1
	v_cmp_gt_i32_e64 s1, s17, v101
	v_cndmask_b32_sdwa v1, v92, v1, vcc_lo dst_sel:DWORD dst_unused:UNUSED_PAD src0_sel:DWORD src1_sel:WORD_1
	v_cndmask_b32_e64 v6, 0, v2, s2
	v_cmp_gt_i32_e64 s2, s17, v99
	s_mov_b32 vcc_lo, s1
	v_cmp_gt_i32_e64 s1, s17, v71
	v_cndmask_b32_sdwa v2, v92, v2, vcc_lo dst_sel:DWORD dst_unused:UNUSED_PAD src0_sel:DWORD src1_sel:WORD_1
	v_cmp_gt_i32_e32 vcc_lo, s28, v72
	v_perm_b32 v1, v1, v5, 0x5040100
	v_perm_b32 v2, v2, v6, 0x5040100
	v_cndmask_b32_e32 v7, 0, v3, vcc_lo
	s_mov_b32 vcc_lo, s2
	v_cndmask_b32_sdwa v3, v92, v3, vcc_lo dst_sel:DWORD dst_unused:UNUSED_PAD src0_sel:DWORD src1_sel:WORD_1
	v_cmp_gt_i32_e32 vcc_lo, s28, v0
	v_perm_b32 v3, v3, v7, 0x5040100
	v_cndmask_b32_e32 v8, 0, v4, vcc_lo
	s_mov_b32 vcc_lo, s1
	v_cndmask_b32_sdwa v4, v92, v4, vcc_lo dst_sel:DWORD dst_unused:UNUSED_PAD src0_sel:DWORD src1_sel:WORD_1
	v_perm_b32 v4, v4, v8, 0x5040100
	s_or_b32 exec_lo, exec_lo, s22
	global_load_dwordx4 v[5:8], v[21:22], off offset:512
	s_and_saveexec_b32 s22, s0
	s_cbranch_execz .LBB149_38
.LBB149_55:                             ;   in Loop: Header=BB149_35 Depth=1
	v_cmp_gt_i32_e64 s1, s28, v100
	v_cmp_gt_i32_e32 vcc_lo, s17, v103
	v_cmp_gt_i32_e64 s2, s28, v102
	s_waitcnt vmcnt(0)
	v_cndmask_b32_e64 v9, 0, v5, s1
	v_cmp_gt_i32_e64 s1, s17, v101
	v_cndmask_b32_sdwa v5, v92, v5, vcc_lo dst_sel:DWORD dst_unused:UNUSED_PAD src0_sel:DWORD src1_sel:WORD_1
	v_cndmask_b32_e64 v10, 0, v6, s2
	v_cmp_gt_i32_e64 s2, s17, v99
	s_mov_b32 vcc_lo, s1
	v_cmp_gt_i32_e64 s1, s17, v71
	v_cndmask_b32_sdwa v6, v92, v6, vcc_lo dst_sel:DWORD dst_unused:UNUSED_PAD src0_sel:DWORD src1_sel:WORD_1
	v_cmp_gt_i32_e32 vcc_lo, s28, v72
	v_perm_b32 v5, v5, v9, 0x5040100
	v_perm_b32 v6, v6, v10, 0x5040100
	v_cndmask_b32_e32 v11, 0, v7, vcc_lo
	s_mov_b32 vcc_lo, s2
	v_cndmask_b32_sdwa v7, v92, v7, vcc_lo dst_sel:DWORD dst_unused:UNUSED_PAD src0_sel:DWORD src1_sel:WORD_1
	v_cmp_gt_i32_e32 vcc_lo, s28, v0
	v_perm_b32 v7, v7, v11, 0x5040100
	v_cndmask_b32_e32 v12, 0, v8, vcc_lo
	s_mov_b32 vcc_lo, s1
	v_cndmask_b32_sdwa v8, v92, v8, vcc_lo dst_sel:DWORD dst_unused:UNUSED_PAD src0_sel:DWORD src1_sel:WORD_1
	v_perm_b32 v8, v8, v12, 0x5040100
	s_or_b32 exec_lo, exec_lo, s22
	global_load_dwordx4 v[9:12], v[21:22], off offset:1024
	s_and_saveexec_b32 s22, s0
	s_cbranch_execz .LBB149_39
.LBB149_56:                             ;   in Loop: Header=BB149_35 Depth=1
	v_cmp_gt_i32_e64 s1, s28, v100
	v_cmp_gt_i32_e32 vcc_lo, s17, v103
	v_cmp_gt_i32_e64 s2, s28, v102
	s_waitcnt vmcnt(0)
	v_cndmask_b32_e64 v13, 0, v9, s1
	v_cmp_gt_i32_e64 s1, s17, v101
	v_cndmask_b32_sdwa v9, v92, v9, vcc_lo dst_sel:DWORD dst_unused:UNUSED_PAD src0_sel:DWORD src1_sel:WORD_1
	v_cndmask_b32_e64 v14, 0, v10, s2
	v_cmp_gt_i32_e64 s2, s17, v99
	s_mov_b32 vcc_lo, s1
	v_cmp_gt_i32_e64 s1, s17, v71
	v_cndmask_b32_sdwa v10, v92, v10, vcc_lo dst_sel:DWORD dst_unused:UNUSED_PAD src0_sel:DWORD src1_sel:WORD_1
	v_cmp_gt_i32_e32 vcc_lo, s28, v72
	v_perm_b32 v9, v9, v13, 0x5040100
	v_perm_b32 v10, v10, v14, 0x5040100
	v_cndmask_b32_e32 v15, 0, v11, vcc_lo
	s_mov_b32 vcc_lo, s2
	v_cndmask_b32_sdwa v11, v92, v11, vcc_lo dst_sel:DWORD dst_unused:UNUSED_PAD src0_sel:DWORD src1_sel:WORD_1
	v_cmp_gt_i32_e32 vcc_lo, s28, v0
	v_perm_b32 v11, v11, v15, 0x5040100
	v_cndmask_b32_e32 v16, 0, v12, vcc_lo
	s_mov_b32 vcc_lo, s1
	v_cndmask_b32_sdwa v12, v92, v12, vcc_lo dst_sel:DWORD dst_unused:UNUSED_PAD src0_sel:DWORD src1_sel:WORD_1
	v_perm_b32 v12, v12, v16, 0x5040100
	s_or_b32 exec_lo, exec_lo, s22
	global_load_dwordx4 v[13:16], v[21:22], off offset:1536
	s_and_saveexec_b32 s22, s0
	s_cbranch_execnz .LBB149_40
	s_branch .LBB149_41
.LBB149_57:                             ;   in Loop: Header=BB149_35 Depth=1
	v_cmp_gt_i32_e64 s1, s28, v100
	v_cmp_gt_i32_e32 vcc_lo, s17, v103
	v_cmp_gt_i32_e64 s2, s28, v102
	s_waitcnt vmcnt(0)
	v_cndmask_b32_e64 v25, 0, v17, s1
	v_cmp_gt_i32_e64 s1, s17, v101
	v_cndmask_b32_sdwa v17, v92, v17, vcc_lo dst_sel:DWORD dst_unused:UNUSED_PAD src0_sel:DWORD src1_sel:WORD_1
	v_cndmask_b32_e64 v26, 0, v18, s2
	v_cmp_gt_i32_e64 s2, s17, v99
	s_mov_b32 vcc_lo, s1
	v_cmp_gt_i32_e64 s1, s17, v71
	v_cndmask_b32_sdwa v18, v92, v18, vcc_lo dst_sel:DWORD dst_unused:UNUSED_PAD src0_sel:DWORD src1_sel:WORD_1
	v_cmp_gt_i32_e32 vcc_lo, s28, v72
	v_perm_b32 v17, v17, v25, 0x5040100
	v_perm_b32 v18, v18, v26, 0x5040100
	v_cndmask_b32_e32 v27, 0, v19, vcc_lo
	s_mov_b32 vcc_lo, s2
	v_cndmask_b32_sdwa v19, v92, v19, vcc_lo dst_sel:DWORD dst_unused:UNUSED_PAD src0_sel:DWORD src1_sel:WORD_1
	v_cmp_gt_i32_e32 vcc_lo, s28, v0
	v_perm_b32 v19, v19, v27, 0x5040100
	v_cndmask_b32_e32 v28, 0, v20, vcc_lo
	s_mov_b32 vcc_lo, s1
	v_cndmask_b32_sdwa v20, v92, v20, vcc_lo dst_sel:DWORD dst_unused:UNUSED_PAD src0_sel:DWORD src1_sel:WORD_1
	v_perm_b32 v20, v20, v28, 0x5040100
	s_or_b32 exec_lo, exec_lo, s22
	global_load_dwordx4 v[25:28], v[23:24], off offset:512
	s_and_saveexec_b32 s22, s0
	s_cbranch_execz .LBB149_43
.LBB149_58:                             ;   in Loop: Header=BB149_35 Depth=1
	v_cmp_gt_i32_e64 s1, s28, v100
	v_cmp_gt_i32_e32 vcc_lo, s17, v103
	v_cmp_gt_i32_e64 s2, s28, v102
	s_waitcnt vmcnt(0)
	v_cndmask_b32_e64 v29, 0, v25, s1
	v_cmp_gt_i32_e64 s1, s17, v101
	v_cndmask_b32_sdwa v25, v92, v25, vcc_lo dst_sel:DWORD dst_unused:UNUSED_PAD src0_sel:DWORD src1_sel:WORD_1
	v_cndmask_b32_e64 v30, 0, v26, s2
	v_cmp_gt_i32_e64 s2, s17, v99
	s_mov_b32 vcc_lo, s1
	v_cmp_gt_i32_e64 s1, s17, v71
	v_cndmask_b32_sdwa v26, v92, v26, vcc_lo dst_sel:DWORD dst_unused:UNUSED_PAD src0_sel:DWORD src1_sel:WORD_1
	v_cmp_gt_i32_e32 vcc_lo, s28, v72
	v_perm_b32 v25, v25, v29, 0x5040100
	v_perm_b32 v26, v26, v30, 0x5040100
	v_cndmask_b32_e32 v31, 0, v27, vcc_lo
	s_mov_b32 vcc_lo, s2
	v_cndmask_b32_sdwa v27, v92, v27, vcc_lo dst_sel:DWORD dst_unused:UNUSED_PAD src0_sel:DWORD src1_sel:WORD_1
	v_cmp_gt_i32_e32 vcc_lo, s28, v0
	v_perm_b32 v27, v27, v31, 0x5040100
	v_cndmask_b32_e32 v32, 0, v28, vcc_lo
	s_mov_b32 vcc_lo, s1
	v_cndmask_b32_sdwa v28, v92, v28, vcc_lo dst_sel:DWORD dst_unused:UNUSED_PAD src0_sel:DWORD src1_sel:WORD_1
	v_perm_b32 v28, v28, v32, 0x5040100
	s_or_b32 exec_lo, exec_lo, s22
	global_load_dwordx4 v[29:32], v[23:24], off offset:1024
	s_and_saveexec_b32 s22, s0
	s_cbranch_execz .LBB149_44
.LBB149_59:                             ;   in Loop: Header=BB149_35 Depth=1
	v_cmp_gt_i32_e64 s1, s28, v100
	v_cmp_gt_i32_e32 vcc_lo, s17, v103
	v_cmp_gt_i32_e64 s2, s28, v102
	s_waitcnt vmcnt(0)
	v_cndmask_b32_e64 v33, 0, v29, s1
	v_cmp_gt_i32_e64 s1, s17, v101
	v_cndmask_b32_sdwa v29, v92, v29, vcc_lo dst_sel:DWORD dst_unused:UNUSED_PAD src0_sel:DWORD src1_sel:WORD_1
	v_cndmask_b32_e64 v34, 0, v30, s2
	v_cmp_gt_i32_e64 s2, s17, v99
	s_mov_b32 vcc_lo, s1
	v_cmp_gt_i32_e64 s1, s17, v71
	v_cndmask_b32_sdwa v30, v92, v30, vcc_lo dst_sel:DWORD dst_unused:UNUSED_PAD src0_sel:DWORD src1_sel:WORD_1
	v_cmp_gt_i32_e32 vcc_lo, s28, v72
	v_perm_b32 v29, v29, v33, 0x5040100
	v_perm_b32 v30, v30, v34, 0x5040100
	v_cndmask_b32_e32 v35, 0, v31, vcc_lo
	s_mov_b32 vcc_lo, s2
	v_cndmask_b32_sdwa v31, v92, v31, vcc_lo dst_sel:DWORD dst_unused:UNUSED_PAD src0_sel:DWORD src1_sel:WORD_1
	v_cmp_gt_i32_e32 vcc_lo, s28, v0
	v_perm_b32 v31, v31, v35, 0x5040100
	v_cndmask_b32_e32 v36, 0, v32, vcc_lo
	s_mov_b32 vcc_lo, s1
	v_cndmask_b32_sdwa v32, v92, v32, vcc_lo dst_sel:DWORD dst_unused:UNUSED_PAD src0_sel:DWORD src1_sel:WORD_1
	v_perm_b32 v32, v32, v36, 0x5040100
	s_or_b32 exec_lo, exec_lo, s22
	global_load_dwordx4 v[33:36], v[23:24], off offset:1536
	s_and_saveexec_b32 s22, s0
	s_cbranch_execnz .LBB149_45
	s_branch .LBB149_46
.LBB149_60:                             ;   in Loop: Header=BB149_35 Depth=1
	v_cmp_gt_i32_e64 s1, s28, v100
	v_cmp_gt_i32_e32 vcc_lo, s17, v103
	v_cmp_gt_i32_e64 s2, s28, v102
	s_waitcnt vmcnt(0)
	v_cndmask_b32_e64 v45, 0, v37, s1
	v_cmp_gt_i32_e64 s1, s17, v101
	v_cndmask_b32_sdwa v37, v92, v37, vcc_lo dst_sel:DWORD dst_unused:UNUSED_PAD src0_sel:DWORD src1_sel:WORD_1
	v_cndmask_b32_e64 v46, 0, v38, s2
	v_cmp_gt_i32_e64 s2, s17, v99
	s_mov_b32 vcc_lo, s1
	v_cmp_gt_i32_e64 s1, s17, v71
	v_cndmask_b32_sdwa v38, v92, v38, vcc_lo dst_sel:DWORD dst_unused:UNUSED_PAD src0_sel:DWORD src1_sel:WORD_1
	v_cmp_gt_i32_e32 vcc_lo, s28, v72
	v_perm_b32 v37, v37, v45, 0x5040100
	v_perm_b32 v38, v38, v46, 0x5040100
	v_cndmask_b32_e32 v47, 0, v39, vcc_lo
	s_mov_b32 vcc_lo, s2
	v_cndmask_b32_sdwa v39, v92, v39, vcc_lo dst_sel:DWORD dst_unused:UNUSED_PAD src0_sel:DWORD src1_sel:WORD_1
	v_cmp_gt_i32_e32 vcc_lo, s28, v0
	v_perm_b32 v39, v39, v47, 0x5040100
	v_cndmask_b32_e32 v48, 0, v40, vcc_lo
	s_mov_b32 vcc_lo, s1
	v_cndmask_b32_sdwa v40, v92, v40, vcc_lo dst_sel:DWORD dst_unused:UNUSED_PAD src0_sel:DWORD src1_sel:WORD_1
	v_perm_b32 v40, v40, v48, 0x5040100
	s_or_b32 exec_lo, exec_lo, s22
	global_load_dwordx4 v[45:48], v[23:24], off offset:512
	s_and_saveexec_b32 s22, s0
	s_cbranch_execz .LBB149_48
.LBB149_61:                             ;   in Loop: Header=BB149_35 Depth=1
	v_cmp_gt_i32_e64 s1, s28, v100
	v_cmp_gt_i32_e32 vcc_lo, s17, v103
	v_cmp_gt_i32_e64 s2, s28, v102
	s_waitcnt vmcnt(0)
	v_cndmask_b32_e64 v53, 0, v45, s1
	v_cmp_gt_i32_e64 s1, s17, v101
	v_cndmask_b32_sdwa v45, v92, v45, vcc_lo dst_sel:DWORD dst_unused:UNUSED_PAD src0_sel:DWORD src1_sel:WORD_1
	v_cndmask_b32_e64 v54, 0, v46, s2
	v_cmp_gt_i32_e64 s2, s17, v99
	s_mov_b32 vcc_lo, s1
	v_cmp_gt_i32_e64 s1, s17, v71
	v_cndmask_b32_sdwa v46, v92, v46, vcc_lo dst_sel:DWORD dst_unused:UNUSED_PAD src0_sel:DWORD src1_sel:WORD_1
	v_cmp_gt_i32_e32 vcc_lo, s28, v72
	v_perm_b32 v45, v45, v53, 0x5040100
	v_perm_b32 v46, v46, v54, 0x5040100
	v_cndmask_b32_e32 v55, 0, v47, vcc_lo
	s_mov_b32 vcc_lo, s2
	v_cndmask_b32_sdwa v47, v92, v47, vcc_lo dst_sel:DWORD dst_unused:UNUSED_PAD src0_sel:DWORD src1_sel:WORD_1
	v_cmp_gt_i32_e32 vcc_lo, s28, v0
	v_perm_b32 v47, v47, v55, 0x5040100
	v_cndmask_b32_e32 v56, 0, v48, vcc_lo
	s_mov_b32 vcc_lo, s1
	v_cndmask_b32_sdwa v48, v92, v48, vcc_lo dst_sel:DWORD dst_unused:UNUSED_PAD src0_sel:DWORD src1_sel:WORD_1
	v_perm_b32 v48, v48, v56, 0x5040100
	s_or_b32 exec_lo, exec_lo, s22
	global_load_dwordx4 v[53:56], v[23:24], off offset:1024
	s_and_saveexec_b32 s22, s0
	s_cbranch_execz .LBB149_49
.LBB149_62:                             ;   in Loop: Header=BB149_35 Depth=1
	v_cmp_gt_i32_e64 s1, s28, v100
	v_cmp_gt_i32_e32 vcc_lo, s17, v103
	v_cmp_gt_i32_e64 s2, s28, v102
	s_waitcnt vmcnt(0)
	v_cndmask_b32_e64 v57, 0, v53, s1
	v_cmp_gt_i32_e64 s1, s17, v101
	v_cndmask_b32_sdwa v53, v92, v53, vcc_lo dst_sel:DWORD dst_unused:UNUSED_PAD src0_sel:DWORD src1_sel:WORD_1
	v_cndmask_b32_e64 v58, 0, v54, s2
	v_cmp_gt_i32_e64 s2, s17, v99
	s_mov_b32 vcc_lo, s1
	v_cmp_gt_i32_e64 s1, s17, v71
	v_cndmask_b32_sdwa v54, v92, v54, vcc_lo dst_sel:DWORD dst_unused:UNUSED_PAD src0_sel:DWORD src1_sel:WORD_1
	v_cmp_gt_i32_e32 vcc_lo, s28, v72
	v_perm_b32 v53, v53, v57, 0x5040100
	v_perm_b32 v54, v54, v58, 0x5040100
	v_cndmask_b32_e32 v59, 0, v55, vcc_lo
	s_mov_b32 vcc_lo, s2
	v_cndmask_b32_sdwa v55, v92, v55, vcc_lo dst_sel:DWORD dst_unused:UNUSED_PAD src0_sel:DWORD src1_sel:WORD_1
	v_cmp_gt_i32_e32 vcc_lo, s28, v0
	v_perm_b32 v55, v55, v59, 0x5040100
	v_cndmask_b32_e32 v60, 0, v56, vcc_lo
	s_mov_b32 vcc_lo, s1
	v_cndmask_b32_sdwa v56, v92, v56, vcc_lo dst_sel:DWORD dst_unused:UNUSED_PAD src0_sel:DWORD src1_sel:WORD_1
	v_perm_b32 v56, v56, v60, 0x5040100
	s_or_b32 exec_lo, exec_lo, s22
	global_load_dwordx4 v[57:60], v[23:24], off offset:1536
	s_and_saveexec_b32 s22, s0
	s_cbranch_execnz .LBB149_50
	s_branch .LBB149_51
.LBB149_63:                             ;   in Loop: Header=BB149_35 Depth=1
	v_cmp_gt_i32_e64 s1, s28, v100
	v_cmp_gt_i32_e32 vcc_lo, s17, v103
	v_cmp_gt_i32_e64 s2, s28, v102
	s_waitcnt vmcnt(0)
	v_cndmask_b32_e64 v23, 0, v61, s1
	v_cmp_gt_i32_e64 s1, s17, v101
	v_cndmask_b32_sdwa v61, v92, v61, vcc_lo dst_sel:DWORD dst_unused:UNUSED_PAD src0_sel:DWORD src1_sel:WORD_1
	v_cndmask_b32_e64 v24, 0, v62, s2
	v_cmp_gt_i32_e64 s2, s17, v99
	s_mov_b32 vcc_lo, s1
	v_cmp_gt_i32_e64 s1, s17, v71
	v_cndmask_b32_sdwa v62, v92, v62, vcc_lo dst_sel:DWORD dst_unused:UNUSED_PAD src0_sel:DWORD src1_sel:WORD_1
	v_cmp_gt_i32_e32 vcc_lo, s28, v72
	v_perm_b32 v61, v61, v23, 0x5040100
	v_perm_b32 v62, v62, v24, 0x5040100
	v_cndmask_b32_e32 v65, 0, v63, vcc_lo
	s_mov_b32 vcc_lo, s2
	v_cndmask_b32_sdwa v63, v92, v63, vcc_lo dst_sel:DWORD dst_unused:UNUSED_PAD src0_sel:DWORD src1_sel:WORD_1
	v_cmp_gt_i32_e32 vcc_lo, s28, v0
	v_perm_b32 v63, v63, v65, 0x5040100
	v_cndmask_b32_e32 v66, 0, v64, vcc_lo
	s_mov_b32 vcc_lo, s1
	v_cndmask_b32_sdwa v64, v92, v64, vcc_lo dst_sel:DWORD dst_unused:UNUSED_PAD src0_sel:DWORD src1_sel:WORD_1
	v_perm_b32 v64, v64, v66, 0x5040100
	s_or_b32 exec_lo, exec_lo, s22
	global_load_dwordx4 v[65:68], v[21:22], off offset:512
	s_and_saveexec_b32 s22, s0
	s_cbranch_execz .LBB149_53
.LBB149_64:                             ;   in Loop: Header=BB149_35 Depth=1
	v_cmp_gt_i32_e64 s1, s28, v100
	v_cmp_gt_i32_e32 vcc_lo, s17, v103
	v_cmp_gt_i32_e64 s2, s28, v102
	s_waitcnt vmcnt(0)
	v_cndmask_b32_e64 v23, 0, v65, s1
	v_cmp_gt_i32_e64 s1, s17, v101
	v_cndmask_b32_sdwa v65, v92, v65, vcc_lo dst_sel:DWORD dst_unused:UNUSED_PAD src0_sel:DWORD src1_sel:WORD_1
	v_cndmask_b32_e64 v24, 0, v66, s2
	v_cmp_gt_i32_e64 s2, s17, v99
	s_mov_b32 vcc_lo, s1
	v_cmp_gt_i32_e64 s1, s17, v71
	v_cndmask_b32_sdwa v66, v92, v66, vcc_lo dst_sel:DWORD dst_unused:UNUSED_PAD src0_sel:DWORD src1_sel:WORD_1
	v_cmp_gt_i32_e32 vcc_lo, s28, v72
	v_perm_b32 v65, v65, v23, 0x5040100
	v_perm_b32 v66, v66, v24, 0x5040100
	v_cndmask_b32_e32 v104, 0, v67, vcc_lo
	s_mov_b32 vcc_lo, s2
	v_cndmask_b32_sdwa v67, v92, v67, vcc_lo dst_sel:DWORD dst_unused:UNUSED_PAD src0_sel:DWORD src1_sel:WORD_1
	v_cmp_gt_i32_e32 vcc_lo, s28, v0
	v_perm_b32 v67, v67, v104, 0x5040100
	v_cndmask_b32_e32 v105, 0, v68, vcc_lo
	s_mov_b32 vcc_lo, s1
	v_cndmask_b32_sdwa v68, v92, v68, vcc_lo dst_sel:DWORD dst_unused:UNUSED_PAD src0_sel:DWORD src1_sel:WORD_1
	v_perm_b32 v68, v68, v105, 0x5040100
	s_or_b32 exec_lo, exec_lo, s22
	global_load_dwordx4 v[21:24], v[21:22], off offset:1024
	s_and_saveexec_b32 s2, s0
	s_cbranch_execz .LBB149_33
.LBB149_65:                             ;   in Loop: Header=BB149_35 Depth=1
	v_cmp_gt_i32_e64 s0, s28, v100
	v_cmp_gt_i32_e32 vcc_lo, s17, v103
	v_cmp_gt_i32_e64 s1, s28, v102
	s_waitcnt vmcnt(0)
	v_cndmask_b32_e64 v100, 0, v21, s0
	v_cmp_gt_i32_e64 s0, s17, v101
	v_cndmask_b32_sdwa v21, v92, v21, vcc_lo dst_sel:DWORD dst_unused:UNUSED_PAD src0_sel:DWORD src1_sel:WORD_1
	v_cndmask_b32_e64 v101, 0, v22, s1
	v_cmp_gt_i32_e64 s1, s17, v99
	s_mov_b32 vcc_lo, s0
	v_cmp_gt_i32_e64 s0, s17, v71
	v_cndmask_b32_sdwa v22, v92, v22, vcc_lo dst_sel:DWORD dst_unused:UNUSED_PAD src0_sel:DWORD src1_sel:WORD_1
	v_cmp_gt_i32_e32 vcc_lo, s28, v72
	v_perm_b32 v21, v21, v100, 0x5040100
	v_perm_b32 v22, v22, v101, 0x5040100
	v_cndmask_b32_e32 v72, 0, v23, vcc_lo
	s_mov_b32 vcc_lo, s1
	v_cndmask_b32_sdwa v23, v92, v23, vcc_lo dst_sel:DWORD dst_unused:UNUSED_PAD src0_sel:DWORD src1_sel:WORD_1
	v_cmp_gt_i32_e32 vcc_lo, s28, v0
	v_perm_b32 v23, v23, v72, 0x5040100
	v_cndmask_b32_e32 v0, 0, v24, vcc_lo
	s_mov_b32 vcc_lo, s0
	v_cndmask_b32_sdwa v24, v92, v24, vcc_lo dst_sel:DWORD dst_unused:UNUSED_PAD src0_sel:DWORD src1_sel:WORD_1
	v_perm_b32 v24, v24, v0, 0x5040100
	s_branch .LBB149_33
.LBB149_66:
	s_or_b32 exec_lo, exec_lo, s15
.LBB149_67:
	s_or_b32 exec_lo, exec_lo, s3
	ds_bpermute_b32 v0, v75, v90
	ds_bpermute_b32 v14, v75, v77
	;; [unrolled: 1-line block ×15, first 2 shown]
	s_mov_b32 s0, exec_lo
	s_waitcnt lgkmcnt(14)
	v_add_f32_e32 v0, v90, v0
	s_waitcnt lgkmcnt(13)
	v_add_f32_e32 v32, v77, v14
	;; [unrolled: 2-line block ×5, first 2 shown]
	ds_bpermute_b32 v15, v74, v0
	s_waitcnt lgkmcnt(10)
	v_add_f32_e32 v4, v87, v4
	s_waitcnt lgkmcnt(9)
	v_add_f32_e32 v5, v86, v5
	;; [unrolled: 2-line block ×3, first 2 shown]
	ds_bpermute_b32 v16, v74, v1
	s_waitcnt lgkmcnt(8)
	v_add_f32_e32 v7, v84, v7
	s_waitcnt lgkmcnt(7)
	v_add_f32_e32 v21, v83, v8
	;; [unrolled: 2-line block ×7, first 2 shown]
	ds_bpermute_b32 v17, v74, v2
	ds_bpermute_b32 v18, v74, v3
	;; [unrolled: 1-line block ×8, first 2 shown]
	s_waitcnt lgkmcnt(9)
	v_add_f32_e32 v14, v0, v15
	buffer_load_dword v15, off, s[40:43], 0 ; 4-byte Folded Reload
	ds_bpermute_b32 v29, v74, v24
	ds_bpermute_b32 v31, v74, v26
	;; [unrolled: 1-line block ×5, first 2 shown]
	s_waitcnt lgkmcnt(13)
	v_add_f32_e32 v13, v1, v16
	s_waitcnt vmcnt(0) lgkmcnt(0)
	s_barrier
	buffer_gl0_inv
	v_add_f32_e32 v12, v2, v17
	v_add_f32_e32 v11, v3, v18
	;; [unrolled: 1-line block ×8, first 2 shown]
	v_and_b32_e32 v18, 0x3c3, v106
	v_mul_u32_u24_e32 v17, 0x1e0, v107
	v_add_f32_e32 v4, v24, v29
	v_add_f32_e32 v3, v26, v31
	;; [unrolled: 1-line block ×5, first 2 shown]
	v_and_b32_e32 v16, 28, v15
	v_lshrrev_b32_e32 v15, 2, v15
	v_add_nc_u32_e32 v16, 0x110, v16
	v_cmpx_eq_u32_e32 64, v18
	s_cbranch_execz .LBB149_69
; %bb.68:
	v_add_nc_u32_e32 v18, v16, v17
	v_add_nc_u32_e32 v19, 0xfffffc40, v18
	;; [unrolled: 1-line block ×6, first 2 shown]
	ds_write_b32 v19, v14
	ds_write_b32 v20, v13
	;; [unrolled: 1-line block ×5, first 2 shown]
	v_add_nc_u32_e32 v19, 0xfffffce0, v18
	v_add_nc_u32_e32 v20, 0xfffffd00, v18
	;; [unrolled: 1-line block ×5, first 2 shown]
	ds_write_b32 v19, v9
	ds_write_b32 v20, v8
	;; [unrolled: 1-line block ×5, first 2 shown]
	v_add_nc_u32_e32 v19, 0xfffffd80, v18
	v_add_nc_u32_e32 v20, 0xfffffda0, v18
	;; [unrolled: 1-line block ×5, first 2 shown]
	ds_write_b32 v19, v4
	ds_write_b32 v20, v3
	;; [unrolled: 1-line block ×5, first 2 shown]
.LBB149_69:
	s_or_b32 exec_lo, exec_lo, s0
	v_lshlrev_b32_e32 v15, 2, v15
	s_mov_b32 s1, exec_lo
	v_cmp_eq_u32_e32 vcc_lo, 0, v76
	s_waitcnt lgkmcnt(0)
	s_barrier
	v_add3_u32 v15, 0x110, v17, v15
	buffer_gl0_inv
	v_cmpx_gt_u32_e32 64, v106
	s_cbranch_execz .LBB149_87
; %bb.70:
	s_and_saveexec_b32 s0, vcc_lo
	s_cbranch_execnz .LBB149_110
; %bb.71:
	s_or_b32 exec_lo, exec_lo, s0
	s_and_saveexec_b32 s0, vcc_lo
	s_cbranch_execnz .LBB149_111
.LBB149_72:
	s_or_b32 exec_lo, exec_lo, s0
	s_and_saveexec_b32 s0, vcc_lo
	s_cbranch_execnz .LBB149_112
.LBB149_73:
	s_or_b32 exec_lo, exec_lo, s0
	s_and_saveexec_b32 s0, vcc_lo
	s_cbranch_execnz .LBB149_113
.LBB149_74:
	s_or_b32 exec_lo, exec_lo, s0
	s_and_saveexec_b32 s0, vcc_lo
	s_cbranch_execnz .LBB149_114
.LBB149_75:
	s_or_b32 exec_lo, exec_lo, s0
	s_and_saveexec_b32 s0, vcc_lo
	s_cbranch_execnz .LBB149_115
.LBB149_76:
	s_or_b32 exec_lo, exec_lo, s0
	s_and_saveexec_b32 s0, vcc_lo
	s_cbranch_execnz .LBB149_116
.LBB149_77:
	s_or_b32 exec_lo, exec_lo, s0
	s_and_saveexec_b32 s0, vcc_lo
	s_cbranch_execnz .LBB149_117
.LBB149_78:
	s_or_b32 exec_lo, exec_lo, s0
	s_and_saveexec_b32 s0, vcc_lo
	s_cbranch_execnz .LBB149_118
.LBB149_79:
	s_or_b32 exec_lo, exec_lo, s0
	s_and_saveexec_b32 s0, vcc_lo
	s_cbranch_execnz .LBB149_119
.LBB149_80:
	s_or_b32 exec_lo, exec_lo, s0
	s_and_saveexec_b32 s0, vcc_lo
	s_cbranch_execnz .LBB149_120
.LBB149_81:
	s_or_b32 exec_lo, exec_lo, s0
	s_and_saveexec_b32 s0, vcc_lo
	s_cbranch_execnz .LBB149_121
.LBB149_82:
	s_or_b32 exec_lo, exec_lo, s0
	s_and_saveexec_b32 s0, vcc_lo
	s_cbranch_execnz .LBB149_122
.LBB149_83:
	s_or_b32 exec_lo, exec_lo, s0
	s_and_saveexec_b32 s0, vcc_lo
	s_cbranch_execnz .LBB149_123
.LBB149_84:
	s_or_b32 exec_lo, exec_lo, s0
	s_and_saveexec_b32 s0, vcc_lo
	s_cbranch_execz .LBB149_86
.LBB149_85:
	ds_read_b32 v17, v15 offset:448
	s_waitcnt lgkmcnt(0)
	v_add_f32_e32 v2, v2, v17
.LBB149_86:
	s_or_b32 exec_lo, exec_lo, s0
.LBB149_87:
	s_or_b32 exec_lo, exec_lo, s1
	v_and_b32_e32 v17, 0x3e3, v106
	s_mov_b32 s1, exec_lo
	s_barrier
	buffer_gl0_inv
	v_cmpx_eq_u32_e32 32, v17
	s_cbranch_execz .LBB149_89
; %bb.88:
	ds_write2_b32 v16, v14, v13 offset1:8
	ds_write2_b32 v16, v12, v11 offset0:16 offset1:24
	ds_write2_b32 v16, v10, v9 offset0:32 offset1:40
	;; [unrolled: 1-line block ×6, first 2 shown]
	ds_write_b32 v16, v2 offset:448
.LBB149_89:
	s_or_b32 exec_lo, exec_lo, s1
	s_mov_b32 s1, exec_lo
	s_waitcnt lgkmcnt(0)
	s_barrier
	buffer_gl0_inv
	v_cmpx_gt_u32_e32 32, v106
	s_cbranch_execz .LBB149_107
; %bb.90:
	s_and_saveexec_b32 s0, vcc_lo
	s_cbranch_execnz .LBB149_124
; %bb.91:
	s_or_b32 exec_lo, exec_lo, s0
	s_and_saveexec_b32 s0, vcc_lo
	s_cbranch_execnz .LBB149_125
.LBB149_92:
	s_or_b32 exec_lo, exec_lo, s0
	s_and_saveexec_b32 s0, vcc_lo
	s_cbranch_execnz .LBB149_126
.LBB149_93:
	s_or_b32 exec_lo, exec_lo, s0
	s_and_saveexec_b32 s0, vcc_lo
	s_cbranch_execnz .LBB149_127
.LBB149_94:
	s_or_b32 exec_lo, exec_lo, s0
	s_and_saveexec_b32 s0, vcc_lo
	s_cbranch_execnz .LBB149_128
.LBB149_95:
	s_or_b32 exec_lo, exec_lo, s0
	s_and_saveexec_b32 s0, vcc_lo
	s_cbranch_execnz .LBB149_129
.LBB149_96:
	s_or_b32 exec_lo, exec_lo, s0
	s_and_saveexec_b32 s0, vcc_lo
	s_cbranch_execnz .LBB149_130
.LBB149_97:
	s_or_b32 exec_lo, exec_lo, s0
	s_and_saveexec_b32 s0, vcc_lo
	s_cbranch_execnz .LBB149_131
.LBB149_98:
	s_or_b32 exec_lo, exec_lo, s0
	s_and_saveexec_b32 s0, vcc_lo
	s_cbranch_execnz .LBB149_132
.LBB149_99:
	s_or_b32 exec_lo, exec_lo, s0
	s_and_saveexec_b32 s0, vcc_lo
	s_cbranch_execnz .LBB149_133
.LBB149_100:
	s_or_b32 exec_lo, exec_lo, s0
	s_and_saveexec_b32 s0, vcc_lo
	s_cbranch_execnz .LBB149_134
.LBB149_101:
	s_or_b32 exec_lo, exec_lo, s0
	s_and_saveexec_b32 s0, vcc_lo
	s_cbranch_execnz .LBB149_135
.LBB149_102:
	s_or_b32 exec_lo, exec_lo, s0
	s_and_saveexec_b32 s0, vcc_lo
	s_cbranch_execnz .LBB149_136
.LBB149_103:
	s_or_b32 exec_lo, exec_lo, s0
	s_and_saveexec_b32 s0, vcc_lo
	s_cbranch_execnz .LBB149_137
.LBB149_104:
	s_or_b32 exec_lo, exec_lo, s0
	s_and_saveexec_b32 s0, vcc_lo
	s_cbranch_execz .LBB149_106
.LBB149_105:
	ds_read_b32 v15, v15 offset:448
	s_waitcnt lgkmcnt(0)
	v_add_f32_e32 v2, v2, v15
.LBB149_106:
	s_or_b32 exec_lo, exec_lo, s0
.LBB149_107:
	s_or_b32 exec_lo, exec_lo, s1
	s_barrier
	buffer_gl0_inv
	s_mov_b32 s0, exec_lo
	v_cmpx_eq_u32_e32 0, v17
	s_cbranch_execz .LBB149_109
; %bb.108:
	s_mul_i32 s0, s10, s11
	v_bfe_u32 v16, v14, 16, 1
	s_mul_i32 s0, s0, s9
	s_mul_i32 s2, s11, s20
	s_mulk_i32 s0, 0x78
	v_or_b32_e32 v17, 0x400000, v14
	s_ashr_i32 s1, s0, 31
	v_bfe_u32 v18, v13, 16, 1
	s_lshl_b64 s[0:1], s[0:1], 1
	v_add3_u32 v16, v16, v14, 0x7fff
	s_add_u32 s5, s6, s0
	s_addc_u32 s6, s7, s1
	s_ashr_i32 s3, s2, 31
	v_cmp_u_f32_e32 vcc_lo, v14, v14
	s_lshl_b64 s[0:1], s[2:3], 1
	s_mul_i32 s4, s8, 0x78
	s_add_u32 s2, s5, s0
	s_addc_u32 s3, s6, s1
	s_ashr_i32 s5, s4, 31
	v_lshrrev_b32_e32 v15, 1, v106
	s_lshl_b64 s[0:1], s[4:5], 1
	v_add3_u32 v18, v18, v13, 0x7fff
	v_or_b32_e32 v19, 0x400000, v13
	v_cndmask_b32_e32 v14, v16, v17, vcc_lo
	v_bfe_u32 v16, v12, 16, 1
	v_cmp_u_f32_e32 vcc_lo, v13, v13
	s_add_u32 s0, s2, s0
	s_addc_u32 s1, s3, s1
	v_bfe_u32 v17, v11, 16, 1
	global_store_short_d16_hi v15, v14, s[0:1]
	v_cndmask_b32_e32 v13, v18, v19, vcc_lo
	v_add3_u32 v14, v16, v12, 0x7fff
	v_or_b32_e32 v16, 0x400000, v12
	v_cmp_u_f32_e32 vcc_lo, v12, v12
	global_store_short_d16_hi v15, v13, s[0:1] offset:16
	v_add3_u32 v13, v17, v11, 0x7fff
	v_or_b32_e32 v17, 0x400000, v11
	v_cndmask_b32_e32 v12, v14, v16, vcc_lo
	v_bfe_u32 v14, v10, 16, 1
	v_cmp_u_f32_e32 vcc_lo, v11, v11
	global_store_short_d16_hi v15, v12, s[0:1] offset:32
	v_add3_u32 v12, v14, v10, 0x7fff
	v_cndmask_b32_e32 v11, v13, v17, vcc_lo
	v_bfe_u32 v13, v9, 16, 1
	v_or_b32_e32 v14, 0x400000, v10
	v_cmp_u_f32_e32 vcc_lo, v10, v10
	global_store_short_d16_hi v15, v11, s[0:1] offset:48
	v_add3_u32 v11, v13, v9, 0x7fff
	v_or_b32_e32 v13, 0x400000, v9
	v_cndmask_b32_e32 v10, v12, v14, vcc_lo
	v_bfe_u32 v12, v8, 16, 1
	v_cmp_u_f32_e32 vcc_lo, v9, v9
	global_store_short_d16_hi v15, v10, s[0:1] offset:64
	v_add3_u32 v10, v12, v8, 0x7fff
	v_cndmask_b32_e32 v9, v11, v13, vcc_lo
	v_bfe_u32 v11, v7, 16, 1
	;; [unrolled: 12-line block ×3, first 2 shown]
	v_or_b32_e32 v10, 0x400000, v6
	v_cmp_u_f32_e32 vcc_lo, v6, v6
	global_store_short_d16_hi v15, v7, s[0:1] offset:112
	v_add3_u32 v7, v9, v5, 0x7fff
	v_or_b32_e32 v9, 0x400000, v5
	v_cndmask_b32_e32 v6, v8, v10, vcc_lo
	v_bfe_u32 v8, v4, 16, 1
	v_cmp_u_f32_e32 vcc_lo, v5, v5
	v_or_b32_e32 v10, 0x400000, v2
	global_store_short_d16_hi v15, v6, s[0:1] offset:128
	v_add3_u32 v6, v8, v4, 0x7fff
	v_cndmask_b32_e32 v5, v7, v9, vcc_lo
	v_bfe_u32 v7, v3, 16, 1
	v_or_b32_e32 v8, 0x400000, v4
	v_cmp_u_f32_e32 vcc_lo, v4, v4
	v_or_b32_e32 v9, 0x400000, v1
	global_store_short_d16_hi v15, v5, s[0:1] offset:144
	v_add3_u32 v5, v7, v3, 0x7fff
	v_or_b32_e32 v7, 0x400000, v3
	v_cndmask_b32_e32 v4, v6, v8, vcc_lo
	v_bfe_u32 v6, v0, 16, 1
	v_cmp_u_f32_e32 vcc_lo, v3, v3
	v_bfe_u32 v8, v1, 16, 1
	v_add3_u32 v6, v6, v0, 0x7fff
	v_cndmask_b32_e32 v3, v5, v7, vcc_lo
	v_or_b32_e32 v7, 0x400000, v0
	v_cmp_u_f32_e32 vcc_lo, v0, v0
	v_bfe_u32 v5, v2, 16, 1
	v_add3_u32 v8, v8, v1, 0x7fff
	v_cndmask_b32_e32 v0, v6, v7, vcc_lo
	v_cmp_u_f32_e32 vcc_lo, v1, v1
	v_add3_u32 v5, v5, v2, 0x7fff
	v_cndmask_b32_e32 v1, v8, v9, vcc_lo
	v_cmp_u_f32_e32 vcc_lo, v2, v2
	v_cndmask_b32_e32 v2, v5, v10, vcc_lo
	global_store_short_d16_hi v15, v4, s[0:1] offset:160
	global_store_short_d16_hi v15, v3, s[0:1] offset:176
	;; [unrolled: 1-line block ×5, first 2 shown]
.LBB149_109:
	s_endpgm
.LBB149_110:
	ds_read_b32 v17, v15
	s_waitcnt lgkmcnt(0)
	v_add_f32_e32 v14, v14, v17
	s_or_b32 exec_lo, exec_lo, s0
	s_and_saveexec_b32 s0, vcc_lo
	s_cbranch_execz .LBB149_72
.LBB149_111:
	ds_read_b32 v17, v15 offset:32
	s_waitcnt lgkmcnt(0)
	v_add_f32_e32 v13, v13, v17
	s_or_b32 exec_lo, exec_lo, s0
	s_and_saveexec_b32 s0, vcc_lo
	s_cbranch_execz .LBB149_73
.LBB149_112:
	ds_read_b32 v17, v15 offset:64
	s_waitcnt lgkmcnt(0)
	v_add_f32_e32 v12, v12, v17
	s_or_b32 exec_lo, exec_lo, s0
	s_and_saveexec_b32 s0, vcc_lo
	s_cbranch_execz .LBB149_74
.LBB149_113:
	ds_read_b32 v17, v15 offset:96
	s_waitcnt lgkmcnt(0)
	v_add_f32_e32 v11, v11, v17
	s_or_b32 exec_lo, exec_lo, s0
	s_and_saveexec_b32 s0, vcc_lo
	s_cbranch_execz .LBB149_75
.LBB149_114:
	ds_read_b32 v17, v15 offset:128
	s_waitcnt lgkmcnt(0)
	v_add_f32_e32 v10, v10, v17
	s_or_b32 exec_lo, exec_lo, s0
	s_and_saveexec_b32 s0, vcc_lo
	s_cbranch_execz .LBB149_76
.LBB149_115:
	ds_read_b32 v17, v15 offset:160
	s_waitcnt lgkmcnt(0)
	v_add_f32_e32 v9, v9, v17
	s_or_b32 exec_lo, exec_lo, s0
	s_and_saveexec_b32 s0, vcc_lo
	s_cbranch_execz .LBB149_77
.LBB149_116:
	ds_read_b32 v17, v15 offset:192
	s_waitcnt lgkmcnt(0)
	v_add_f32_e32 v8, v8, v17
	s_or_b32 exec_lo, exec_lo, s0
	s_and_saveexec_b32 s0, vcc_lo
	s_cbranch_execz .LBB149_78
.LBB149_117:
	ds_read_b32 v17, v15 offset:224
	s_waitcnt lgkmcnt(0)
	v_add_f32_e32 v7, v7, v17
	s_or_b32 exec_lo, exec_lo, s0
	s_and_saveexec_b32 s0, vcc_lo
	s_cbranch_execz .LBB149_79
.LBB149_118:
	ds_read_b32 v17, v15 offset:256
	s_waitcnt lgkmcnt(0)
	v_add_f32_e32 v6, v6, v17
	s_or_b32 exec_lo, exec_lo, s0
	s_and_saveexec_b32 s0, vcc_lo
	s_cbranch_execz .LBB149_80
.LBB149_119:
	ds_read_b32 v17, v15 offset:288
	s_waitcnt lgkmcnt(0)
	v_add_f32_e32 v5, v5, v17
	s_or_b32 exec_lo, exec_lo, s0
	s_and_saveexec_b32 s0, vcc_lo
	s_cbranch_execz .LBB149_81
.LBB149_120:
	ds_read_b32 v17, v15 offset:320
	s_waitcnt lgkmcnt(0)
	v_add_f32_e32 v4, v4, v17
	s_or_b32 exec_lo, exec_lo, s0
	s_and_saveexec_b32 s0, vcc_lo
	s_cbranch_execz .LBB149_82
.LBB149_121:
	ds_read_b32 v17, v15 offset:352
	s_waitcnt lgkmcnt(0)
	v_add_f32_e32 v3, v3, v17
	s_or_b32 exec_lo, exec_lo, s0
	s_and_saveexec_b32 s0, vcc_lo
	s_cbranch_execz .LBB149_83
.LBB149_122:
	ds_read_b32 v17, v15 offset:384
	s_waitcnt lgkmcnt(0)
	v_add_f32_e32 v0, v0, v17
	s_or_b32 exec_lo, exec_lo, s0
	s_and_saveexec_b32 s0, vcc_lo
	s_cbranch_execz .LBB149_84
.LBB149_123:
	ds_read_b32 v17, v15 offset:416
	s_waitcnt lgkmcnt(0)
	v_add_f32_e32 v1, v1, v17
	s_or_b32 exec_lo, exec_lo, s0
	s_and_saveexec_b32 s0, vcc_lo
	s_cbranch_execnz .LBB149_85
	s_branch .LBB149_86
.LBB149_124:
	ds_read_b32 v16, v15
	s_waitcnt lgkmcnt(0)
	v_add_f32_e32 v14, v14, v16
	s_or_b32 exec_lo, exec_lo, s0
	s_and_saveexec_b32 s0, vcc_lo
	s_cbranch_execz .LBB149_92
.LBB149_125:
	ds_read_b32 v16, v15 offset:32
	s_waitcnt lgkmcnt(0)
	v_add_f32_e32 v13, v13, v16
	s_or_b32 exec_lo, exec_lo, s0
	s_and_saveexec_b32 s0, vcc_lo
	s_cbranch_execz .LBB149_93
.LBB149_126:
	ds_read_b32 v16, v15 offset:64
	s_waitcnt lgkmcnt(0)
	v_add_f32_e32 v12, v12, v16
	s_or_b32 exec_lo, exec_lo, s0
	s_and_saveexec_b32 s0, vcc_lo
	s_cbranch_execz .LBB149_94
.LBB149_127:
	ds_read_b32 v16, v15 offset:96
	s_waitcnt lgkmcnt(0)
	v_add_f32_e32 v11, v11, v16
	s_or_b32 exec_lo, exec_lo, s0
	s_and_saveexec_b32 s0, vcc_lo
	s_cbranch_execz .LBB149_95
.LBB149_128:
	ds_read_b32 v16, v15 offset:128
	s_waitcnt lgkmcnt(0)
	v_add_f32_e32 v10, v10, v16
	s_or_b32 exec_lo, exec_lo, s0
	s_and_saveexec_b32 s0, vcc_lo
	s_cbranch_execz .LBB149_96
.LBB149_129:
	ds_read_b32 v16, v15 offset:160
	s_waitcnt lgkmcnt(0)
	v_add_f32_e32 v9, v9, v16
	s_or_b32 exec_lo, exec_lo, s0
	s_and_saveexec_b32 s0, vcc_lo
	s_cbranch_execz .LBB149_97
.LBB149_130:
	ds_read_b32 v16, v15 offset:192
	s_waitcnt lgkmcnt(0)
	v_add_f32_e32 v8, v8, v16
	s_or_b32 exec_lo, exec_lo, s0
	s_and_saveexec_b32 s0, vcc_lo
	s_cbranch_execz .LBB149_98
.LBB149_131:
	ds_read_b32 v16, v15 offset:224
	s_waitcnt lgkmcnt(0)
	v_add_f32_e32 v7, v7, v16
	s_or_b32 exec_lo, exec_lo, s0
	s_and_saveexec_b32 s0, vcc_lo
	s_cbranch_execz .LBB149_99
.LBB149_132:
	ds_read_b32 v16, v15 offset:256
	s_waitcnt lgkmcnt(0)
	v_add_f32_e32 v6, v6, v16
	s_or_b32 exec_lo, exec_lo, s0
	s_and_saveexec_b32 s0, vcc_lo
	s_cbranch_execz .LBB149_100
.LBB149_133:
	ds_read_b32 v16, v15 offset:288
	s_waitcnt lgkmcnt(0)
	v_add_f32_e32 v5, v5, v16
	s_or_b32 exec_lo, exec_lo, s0
	s_and_saveexec_b32 s0, vcc_lo
	s_cbranch_execz .LBB149_101
.LBB149_134:
	ds_read_b32 v16, v15 offset:320
	s_waitcnt lgkmcnt(0)
	v_add_f32_e32 v4, v4, v16
	s_or_b32 exec_lo, exec_lo, s0
	s_and_saveexec_b32 s0, vcc_lo
	s_cbranch_execz .LBB149_102
.LBB149_135:
	ds_read_b32 v16, v15 offset:352
	s_waitcnt lgkmcnt(0)
	v_add_f32_e32 v3, v3, v16
	s_or_b32 exec_lo, exec_lo, s0
	s_and_saveexec_b32 s0, vcc_lo
	s_cbranch_execz .LBB149_103
.LBB149_136:
	ds_read_b32 v16, v15 offset:384
	s_waitcnt lgkmcnt(0)
	v_add_f32_e32 v0, v0, v16
	s_or_b32 exec_lo, exec_lo, s0
	s_and_saveexec_b32 s0, vcc_lo
	s_cbranch_execz .LBB149_104
.LBB149_137:
	ds_read_b32 v16, v15 offset:416
	s_waitcnt lgkmcnt(0)
	v_add_f32_e32 v1, v1, v16
	s_or_b32 exec_lo, exec_lo, s0
	s_and_saveexec_b32 s0, vcc_lo
	s_cbranch_execnz .LBB149_105
	s_branch .LBB149_106
	.section	.rodata,"a",@progbits
	.p2align	6, 0x0
	.amdhsa_kernel _ZN4vllm25paged_attention_v1_kernelI14__hip_bfloat16S1_Li120ELi32ELi128ELNS_18Fp8KVCacheDataTypeE0ELb1EEEvPT_PKS3_PKT0_S9_ifPKiSB_iPKfiiiSD_SD_iiiii
		.amdhsa_group_segment_fixed_size 272
		.amdhsa_private_segment_fixed_size 304
		.amdhsa_kernarg_size 384
		.amdhsa_user_sgpr_count 6
		.amdhsa_user_sgpr_private_segment_buffer 1
		.amdhsa_user_sgpr_dispatch_ptr 0
		.amdhsa_user_sgpr_queue_ptr 0
		.amdhsa_user_sgpr_kernarg_segment_ptr 1
		.amdhsa_user_sgpr_dispatch_id 0
		.amdhsa_user_sgpr_flat_scratch_init 0
		.amdhsa_user_sgpr_private_segment_size 0
		.amdhsa_wavefront_size32 1
		.amdhsa_uses_dynamic_stack 0
		.amdhsa_system_sgpr_private_segment_wavefront_offset 1
		.amdhsa_system_sgpr_workgroup_id_x 1
		.amdhsa_system_sgpr_workgroup_id_y 1
		.amdhsa_system_sgpr_workgroup_id_z 1
		.amdhsa_system_sgpr_workgroup_info 0
		.amdhsa_system_vgpr_workitem_id 0
		.amdhsa_next_free_vgpr 128
		.amdhsa_next_free_sgpr 44
		.amdhsa_reserve_vcc 1
		.amdhsa_reserve_flat_scratch 0
		.amdhsa_float_round_mode_32 0
		.amdhsa_float_round_mode_16_64 0
		.amdhsa_float_denorm_mode_32 3
		.amdhsa_float_denorm_mode_16_64 3
		.amdhsa_dx10_clamp 1
		.amdhsa_ieee_mode 1
		.amdhsa_fp16_overflow 0
		.amdhsa_workgroup_processor_mode 1
		.amdhsa_memory_ordered 1
		.amdhsa_forward_progress 1
		.amdhsa_shared_vgpr_count 0
		.amdhsa_exception_fp_ieee_invalid_op 0
		.amdhsa_exception_fp_denorm_src 0
		.amdhsa_exception_fp_ieee_div_zero 0
		.amdhsa_exception_fp_ieee_overflow 0
		.amdhsa_exception_fp_ieee_underflow 0
		.amdhsa_exception_fp_ieee_inexact 0
		.amdhsa_exception_int_div_zero 0
	.end_amdhsa_kernel
	.section	.text._ZN4vllm25paged_attention_v1_kernelI14__hip_bfloat16S1_Li120ELi32ELi128ELNS_18Fp8KVCacheDataTypeE0ELb1EEEvPT_PKS3_PKT0_S9_ifPKiSB_iPKfiiiSD_SD_iiiii,"axG",@progbits,_ZN4vllm25paged_attention_v1_kernelI14__hip_bfloat16S1_Li120ELi32ELi128ELNS_18Fp8KVCacheDataTypeE0ELb1EEEvPT_PKS3_PKT0_S9_ifPKiSB_iPKfiiiSD_SD_iiiii,comdat
.Lfunc_end149:
	.size	_ZN4vllm25paged_attention_v1_kernelI14__hip_bfloat16S1_Li120ELi32ELi128ELNS_18Fp8KVCacheDataTypeE0ELb1EEEvPT_PKS3_PKT0_S9_ifPKiSB_iPKfiiiSD_SD_iiiii, .Lfunc_end149-_ZN4vllm25paged_attention_v1_kernelI14__hip_bfloat16S1_Li120ELi32ELi128ELNS_18Fp8KVCacheDataTypeE0ELb1EEEvPT_PKS3_PKT0_S9_ifPKiSB_iPKfiiiSD_SD_iiiii
                                        ; -- End function
	.set _ZN4vllm25paged_attention_v1_kernelI14__hip_bfloat16S1_Li120ELi32ELi128ELNS_18Fp8KVCacheDataTypeE0ELb1EEEvPT_PKS3_PKT0_S9_ifPKiSB_iPKfiiiSD_SD_iiiii.num_vgpr, 128
	.set _ZN4vllm25paged_attention_v1_kernelI14__hip_bfloat16S1_Li120ELi32ELi128ELNS_18Fp8KVCacheDataTypeE0ELb1EEEvPT_PKS3_PKT0_S9_ifPKiSB_iPKfiiiSD_SD_iiiii.num_agpr, 0
	.set _ZN4vllm25paged_attention_v1_kernelI14__hip_bfloat16S1_Li120ELi32ELi128ELNS_18Fp8KVCacheDataTypeE0ELb1EEEvPT_PKS3_PKT0_S9_ifPKiSB_iPKfiiiSD_SD_iiiii.numbered_sgpr, 44
	.set _ZN4vllm25paged_attention_v1_kernelI14__hip_bfloat16S1_Li120ELi32ELi128ELNS_18Fp8KVCacheDataTypeE0ELb1EEEvPT_PKS3_PKT0_S9_ifPKiSB_iPKfiiiSD_SD_iiiii.num_named_barrier, 0
	.set _ZN4vllm25paged_attention_v1_kernelI14__hip_bfloat16S1_Li120ELi32ELi128ELNS_18Fp8KVCacheDataTypeE0ELb1EEEvPT_PKS3_PKT0_S9_ifPKiSB_iPKfiiiSD_SD_iiiii.private_seg_size, 304
	.set _ZN4vllm25paged_attention_v1_kernelI14__hip_bfloat16S1_Li120ELi32ELi128ELNS_18Fp8KVCacheDataTypeE0ELb1EEEvPT_PKS3_PKT0_S9_ifPKiSB_iPKfiiiSD_SD_iiiii.uses_vcc, 1
	.set _ZN4vllm25paged_attention_v1_kernelI14__hip_bfloat16S1_Li120ELi32ELi128ELNS_18Fp8KVCacheDataTypeE0ELb1EEEvPT_PKS3_PKT0_S9_ifPKiSB_iPKfiiiSD_SD_iiiii.uses_flat_scratch, 0
	.set _ZN4vllm25paged_attention_v1_kernelI14__hip_bfloat16S1_Li120ELi32ELi128ELNS_18Fp8KVCacheDataTypeE0ELb1EEEvPT_PKS3_PKT0_S9_ifPKiSB_iPKfiiiSD_SD_iiiii.has_dyn_sized_stack, 0
	.set _ZN4vllm25paged_attention_v1_kernelI14__hip_bfloat16S1_Li120ELi32ELi128ELNS_18Fp8KVCacheDataTypeE0ELb1EEEvPT_PKS3_PKT0_S9_ifPKiSB_iPKfiiiSD_SD_iiiii.has_recursion, 0
	.set _ZN4vllm25paged_attention_v1_kernelI14__hip_bfloat16S1_Li120ELi32ELi128ELNS_18Fp8KVCacheDataTypeE0ELb1EEEvPT_PKS3_PKT0_S9_ifPKiSB_iPKfiiiSD_SD_iiiii.has_indirect_call, 0
	.section	.AMDGPU.csdata,"",@progbits
; Kernel info:
; codeLenInByte = 20144
; TotalNumSgprs: 46
; NumVgprs: 128
; ScratchSize: 304
; MemoryBound: 0
; FloatMode: 240
; IeeeMode: 1
; LDSByteSize: 272 bytes/workgroup (compile time only)
; SGPRBlocks: 0
; VGPRBlocks: 15
; NumSGPRsForWavesPerEU: 46
; NumVGPRsForWavesPerEU: 128
; Occupancy: 8
; WaveLimiterHint : 1
; COMPUTE_PGM_RSRC2:SCRATCH_EN: 1
; COMPUTE_PGM_RSRC2:USER_SGPR: 6
; COMPUTE_PGM_RSRC2:TRAP_HANDLER: 0
; COMPUTE_PGM_RSRC2:TGID_X_EN: 1
; COMPUTE_PGM_RSRC2:TGID_Y_EN: 1
; COMPUTE_PGM_RSRC2:TGID_Z_EN: 1
; COMPUTE_PGM_RSRC2:TIDIG_COMP_CNT: 0
	.section	.text._ZN4vllm25paged_attention_v1_kernelI14__hip_bfloat16S1_Li128ELi32ELi128ELNS_18Fp8KVCacheDataTypeE0ELb1EEEvPT_PKS3_PKT0_S9_ifPKiSB_iPKfiiiSD_SD_iiiii,"axG",@progbits,_ZN4vllm25paged_attention_v1_kernelI14__hip_bfloat16S1_Li128ELi32ELi128ELNS_18Fp8KVCacheDataTypeE0ELb1EEEvPT_PKS3_PKT0_S9_ifPKiSB_iPKfiiiSD_SD_iiiii,comdat
	.protected	_ZN4vllm25paged_attention_v1_kernelI14__hip_bfloat16S1_Li128ELi32ELi128ELNS_18Fp8KVCacheDataTypeE0ELb1EEEvPT_PKS3_PKT0_S9_ifPKiSB_iPKfiiiSD_SD_iiiii ; -- Begin function _ZN4vllm25paged_attention_v1_kernelI14__hip_bfloat16S1_Li128ELi32ELi128ELNS_18Fp8KVCacheDataTypeE0ELb1EEEvPT_PKS3_PKT0_S9_ifPKiSB_iPKfiiiSD_SD_iiiii
	.globl	_ZN4vllm25paged_attention_v1_kernelI14__hip_bfloat16S1_Li128ELi32ELi128ELNS_18Fp8KVCacheDataTypeE0ELb1EEEvPT_PKS3_PKT0_S9_ifPKiSB_iPKfiiiSD_SD_iiiii
	.p2align	8
	.type	_ZN4vllm25paged_attention_v1_kernelI14__hip_bfloat16S1_Li128ELi32ELi128ELNS_18Fp8KVCacheDataTypeE0ELb1EEEvPT_PKS3_PKT0_S9_ifPKiSB_iPKfiiiSD_SD_iiiii,@function
_ZN4vllm25paged_attention_v1_kernelI14__hip_bfloat16S1_Li128ELi32ELi128ELNS_18Fp8KVCacheDataTypeE0ELb1EEEvPT_PKS3_PKT0_S9_ifPKiSB_iPKfiiiSD_SD_iiiii: ; @_ZN4vllm25paged_attention_v1_kernelI14__hip_bfloat16S1_Li128ELi32ELi128ELNS_18Fp8KVCacheDataTypeE0ELb1EEEvPT_PKS3_PKT0_S9_ifPKiSB_iPKfiiiSD_SD_iiiii
; %bb.0:
	s_mov_b64 s[42:43], s[2:3]
	s_mov_b64 s[40:41], s[0:1]
	s_mov_b32 s10, s7
	s_add_u32 s40, s40, s9
	s_clause 0x2
	s_load_dword s9, s[4:5], 0x80
	s_load_dwordx2 s[0:1], s[4:5], 0x30
	s_load_dwordx2 s[2:3], s[4:5], 0x20
	s_addc_u32 s41, s41, 0
	s_ashr_i32 s11, s7, 31
	v_mov_b32_e32 v111, v0
	s_lshl_b64 s[12:13], s[10:11], 2
	s_mov_b32 s31, 0
	s_waitcnt lgkmcnt(0)
	s_add_u32 s0, s0, s12
	s_addc_u32 s1, s1, s13
	s_abs_i32 s7, s2
	s_abs_i32 s13, s9
	v_cvt_f32_u32_e32 v0, s7
	s_sub_i32 s12, 0, s7
	v_rcp_iflag_f32_e32 v0, v0
	v_mul_f32_e32 v0, 0x4f7ffffe, v0
	v_cvt_u32_f32_e32 v0, v0
	v_readfirstlane_b32 s11, v0
	s_mul_i32 s12, s12, s11
	s_mul_hi_u32 s12, s11, s12
	s_add_i32 s11, s11, s12
	s_xor_b32 s12, s9, s2
	s_mul_hi_u32 s11, s13, s11
	s_ashr_i32 s12, s12, 31
	s_mul_i32 s14, s11, s7
	s_sub_i32 s13, s13, s14
	s_add_i32 s14, s11, 1
	s_sub_i32 s15, s13, s7
	s_cmp_ge_u32 s13, s7
	s_cselect_b32 s11, s14, s11
	s_cselect_b32 s13, s15, s13
	s_add_i32 s14, s11, 1
	s_cmp_ge_u32 s13, s7
	s_cselect_b32 s7, s14, s11
	s_abs_i32 s22, s6
	s_xor_b32 s7, s7, s12
	s_sub_i32 s16, s7, s12
	s_load_dwordx2 s[12:13], s[4:5], 0x40
	s_abs_i32 s11, s16
	v_cvt_f32_u32_e32 v0, s11
	s_sub_i32 s14, 0, s11
	v_rcp_iflag_f32_e32 v0, v0
	v_mul_f32_e32 v0, 0x4f7ffffe, v0
	v_cvt_u32_f32_e32 v0, v0
	v_readfirstlane_b32 s7, v0
	s_mul_i32 s14, s14, s7
	s_mul_hi_u32 s14, s7, s14
	s_add_i32 s7, s7, s14
	s_waitcnt lgkmcnt(0)
	s_cmp_eq_u64 s[12:13], 0
	s_mul_hi_u32 s23, s22, s7
	s_cbranch_scc1 .LBB150_2
; %bb.1:
	s_ashr_i32 s7, s6, 31
	s_lshl_b64 s[14:15], s[6:7], 2
	s_add_u32 s12, s12, s14
	s_addc_u32 s13, s13, s15
	s_load_dword s31, s[12:13], 0x0
.LBB150_2:
	s_load_dword s28, s[0:1], 0x0
	s_load_dwordx4 s[12:15], s[4:5], 0x48
	v_lshlrev_b32_e32 v10, 4, v111
	s_ashr_i32 s0, s6, 31
	s_ashr_i32 s1, s16, 31
	s_lshl_b32 s20, s6, 7
	s_mov_b32 s7, exec_lo
	v_cmpx_gt_u32_e32 16, v111
	s_cbranch_execz .LBB150_4
; %bb.3:
	s_load_dwordx2 s[16:17], s[4:5], 0x8
	s_waitcnt lgkmcnt(0)
	s_mul_i32 s18, s12, s10
	s_ashr_i32 s19, s18, 31
	s_lshl_b64 s[18:19], s[18:19], 1
	s_add_u32 s12, s16, s18
	s_addc_u32 s15, s17, s19
	s_ashr_i32 s21, s20, 31
	s_lshl_b64 s[16:17], s[20:21], 1
	s_add_u32 s16, s12, s16
	s_addc_u32 s17, s15, s17
	global_load_dwordx4 v[0:3], v10, s[16:17]
	s_waitcnt vmcnt(0)
	ds_write_b128 v10, v[0:3]
.LBB150_4:
	s_or_b32 exec_lo, exec_lo, s7
	s_load_dwordx4 s[16:19], s[4:5], 0x68
	s_mul_i32 s7, s23, s11
	s_xor_b32 s1, s0, s1
	s_sub_i32 s0, s22, s7
	s_add_i32 s7, s23, 1
	s_waitcnt lgkmcnt(0)
	s_sub_i32 s12, s0, s11
	s_cmp_ge_u32 s0, s11
	s_mov_b32 s24, -1
	s_cselect_b32 s7, s7, s23
	s_cselect_b32 s0, s12, s0
	s_add_i32 s12, s7, 1
	s_cmp_ge_u32 s0, s11
	s_load_dword s0, s[4:5], 0x78
	s_cselect_b32 s7, s12, s7
	s_add_i32 s11, s28, -1
	s_xor_b32 s7, s7, s1
	s_waitcnt lgkmcnt(0)
	s_sub_i32 s1, s7, s1
	s_barrier
	buffer_gl0_inv
	s_abs_i32 s12, s19
                                        ; implicit-def: $sgpr29
	v_cvt_f32_u32_e32 v0, s12
	s_sub_i32 s7, 0, s12
	v_rcp_iflag_f32_e32 v0, v0
	v_mul_f32_e32 v0, 0x4f7ffffe, v0
	v_cvt_u32_f32_e32 v0, v0
	v_readfirstlane_b32 s21, v0
	s_mul_i32 s7, s7, s21
	s_mul_hi_u32 s15, s21, s7
	s_abs_i32 s7, s11
	s_add_i32 s21, s21, s15
	s_cmp_lt_i32 s0, 0
	s_mul_hi_u32 s15, s7, s21
	s_cbranch_scc0 .LBB150_6
; %bb.5:
	s_mul_i32 s2, s16, s2
	s_mov_b32 s24, 0
	s_add_i32 s2, s1, s2
	s_mul_i32 s2, s2, s0
	s_sub_i32 s29, 1, s2
.LBB150_6:
	s_load_dwordx2 s[22:23], s[4:5], 0x28
	s_ashr_i32 s2, s11, 31
	s_andn2_b32 vcc_lo, exec_lo, s24
	s_ashr_i32 s19, s19, 31
	s_cbranch_vccnz .LBB150_8
; %bb.7:
	s_mul_i32 s11, s9, s16
	s_add_i32 s6, s11, s6
	s_mul_i32 s0, s6, s0
	s_add_i32 s29, s0, 1
.LBB150_8:
	s_load_dword s0, s[4:5], 0x38
	s_mul_i32 s6, s15, s12
	s_xor_b32 s2, s2, s19
	s_sub_i32 s30, s7, s6
	s_add_i32 s16, s15, 1
	s_clause 0x2
	s_load_dwordx2 s[6:7], s[4:5], 0x0
	s_load_dwordx2 s[26:27], s[4:5], 0x18
	s_load_dword s11, s[4:5], 0x88
	v_lshrrev_b32_e32 v112, 5, v111
	v_and_b32_e32 v0, 31, v111
	v_mov_b32_e32 v92, 0xff7fffff
	v_lshrrev_b32_e32 v14, 3, v111
	s_mul_i32 s14, s1, s14
	v_lshlrev_b32_e32 v77, 5, v112
	v_lshlrev_b32_e32 v15, 2, v0
	buffer_store_dword v0, off, s[40:43], 0 ; 4-byte Folded Spill
	s_waitcnt lgkmcnt(0)
	s_mul_i32 s24, s0, s10
	s_sub_i32 s0, s30, s12
	s_ashr_i32 s25, s24, 31
	s_cmp_ge_u32 s30, s12
	s_cselect_b32 s15, s16, s15
	s_cselect_b32 s0, s0, s30
	s_add_i32 s16, s15, 1
	s_cmp_ge_u32 s0, s12
	s_cselect_b32 s0, s16, s15
	s_add_i32 s15, s28, 31
	s_ashr_i32 s16, s15, 31
	s_lshr_b32 s16, s16, 27
	s_add_i32 s15, s15, s16
	s_ashr_i32 s16, s15, 5
	s_xor_b32 s15, s0, s2
	v_cmp_gt_i32_e64 s0, s16, v112
	s_sub_i32 s30, s15, s2
	s_and_saveexec_b32 s33, s0
	s_cbranch_execz .LBB150_16
; %bb.9:
	v_mov_b32_e32 v1, 0
	buffer_store_dword v10, off, s[40:43], 0 offset:320 ; 4-byte Folded Spill
	buffer_store_dword v111, off, s[40:43], 0 offset:312 ; 4-byte Folded Spill
	s_load_dwordx2 s[34:35], s[4:5], 0x10
	s_ashr_i32 s15, s14, 31
	s_sub_i32 s4, s30, s17
	ds_read_b128 v[2:5], v1
	ds_read_b128 v[6:9], v1 offset:16
	ds_read_b128 v[10:13], v1 offset:32
	s_lshl_b64 s[36:37], s[14:15], 1
	v_mov_b32_e32 v99, v112
	v_cmp_neq_f32_e64 vcc_lo, s31, 0
	v_mov_b32_e32 v92, 0xff7fffff
	v_lshlrev_b32_e32 v98, 5, v99
	s_waitcnt lgkmcnt(0)
	s_add_u32 s1, s34, s36
	v_and_b32_e32 v0, 0xffff0000, v2
	s_addc_u32 s2, s35, s37
	s_abs_i32 s5, s18
	s_lshl_b64 s[36:37], s[24:25], 2
	s_sub_i32 s15, 0, s5
	buffer_store_dword v0, off, s[40:43], 0 offset:4 ; 4-byte Folded Spill
	v_lshlrev_b32_e32 v0, 16, v2
	s_add_u32 s35, s22, s36
	s_addc_u32 s36, s23, s37
	s_mov_b32 s34, s13
	buffer_store_dword v0, off, s[40:43], 0 offset:8 ; 4-byte Folded Spill
	v_and_b32_e32 v0, 0xffff0000, v6
	buffer_store_dword v0, off, s[40:43], 0 offset:12 ; 4-byte Folded Spill
	v_lshlrev_b32_e32 v0, 16, v6
	buffer_store_dword v0, off, s[40:43], 0 offset:16 ; 4-byte Folded Spill
	v_and_b32_e32 v0, 0xffff0000, v3
	buffer_store_dword v0, off, s[40:43], 0 offset:20 ; 4-byte Folded Spill
	v_lshlrev_b32_e32 v0, 16, v3
	;; [unrolled: 4-line block ×5, first 2 shown]
	ds_read_b128 v[2:5], v1 offset:48
	buffer_store_dword v0, off, s[40:43], 0 offset:48 ; 4-byte Folded Spill
	v_and_b32_e32 v0, 0xffff0000, v8
	buffer_store_dword v0, off, s[40:43], 0 offset:52 ; 4-byte Folded Spill
	v_lshlrev_b32_e32 v0, 16, v8
	buffer_store_dword v0, off, s[40:43], 0 offset:56 ; 4-byte Folded Spill
	v_and_b32_e32 v0, 0xffff0000, v9
	buffer_store_dword v0, off, s[40:43], 0 offset:60 ; 4-byte Folded Spill
	v_lshlrev_b32_e32 v0, 16, v9
	;; [unrolled: 4-line block ×6, first 2 shown]
	buffer_store_dword v0, off, s[40:43], 0 offset:96 ; 4-byte Folded Spill
	s_waitcnt lgkmcnt(0)
	v_and_b32_e32 v0, 0xffff0000, v2
	buffer_store_dword v0, off, s[40:43], 0 offset:100 ; 4-byte Folded Spill
	v_lshlrev_b32_e32 v0, 16, v2
	buffer_store_dword v0, off, s[40:43], 0 offset:104 ; 4-byte Folded Spill
	v_and_b32_e32 v0, 0xffff0000, v3
	buffer_store_dword v0, off, s[40:43], 0 offset:108 ; 4-byte Folded Spill
	v_lshlrev_b32_e32 v0, 16, v3
	buffer_store_dword v0, off, s[40:43], 0 offset:112 ; 4-byte Folded Spill
	v_and_b32_e32 v0, 0xffff0000, v4
	buffer_store_dword v0, off, s[40:43], 0 offset:116 ; 4-byte Folded Spill
	v_lshlrev_b32_e32 v0, 16, v4
	buffer_store_dword v0, off, s[40:43], 0 offset:120 ; 4-byte Folded Spill
	v_and_b32_e32 v0, 0xffff0000, v5
	buffer_store_dword v0, off, s[40:43], 0 offset:124 ; 4-byte Folded Spill
	v_lshlrev_b32_e32 v0, 16, v5
	buffer_store_dword v0, off, s[40:43], 0 offset:128 ; 4-byte Folded Spill
	ds_read_b128 v[2:5], v1 offset:64
	ds_read_b128 v[6:9], v1 offset:80
	s_waitcnt lgkmcnt(1)
	v_and_b32_e32 v0, 0xffff0000, v2
	buffer_store_dword v0, off, s[40:43], 0 offset:132 ; 4-byte Folded Spill
	v_lshlrev_b32_e32 v0, 16, v2
	buffer_store_dword v0, off, s[40:43], 0 offset:136 ; 4-byte Folded Spill
	v_and_b32_e32 v0, 0xffff0000, v3
	buffer_store_dword v0, off, s[40:43], 0 offset:140 ; 4-byte Folded Spill
	v_lshlrev_b32_e32 v0, 16, v3
	buffer_store_dword v0, off, s[40:43], 0 offset:144 ; 4-byte Folded Spill
	;; [unrolled: 4-line block ×4, first 2 shown]
	s_waitcnt lgkmcnt(0)
	v_and_b32_e32 v0, 0xffff0000, v6
	buffer_store_dword v0, off, s[40:43], 0 offset:164 ; 4-byte Folded Spill
	v_lshlrev_b32_e32 v0, 16, v6
	buffer_store_dword v0, off, s[40:43], 0 offset:168 ; 4-byte Folded Spill
	v_and_b32_e32 v0, 0xffff0000, v7
	buffer_store_dword v0, off, s[40:43], 0 offset:172 ; 4-byte Folded Spill
	v_lshlrev_b32_e32 v0, 16, v7
	buffer_store_dword v0, off, s[40:43], 0 offset:176 ; 4-byte Folded Spill
	;; [unrolled: 4-line block ×4, first 2 shown]
	ds_read_b128 v[2:5], v1 offset:96
	ds_read_b128 v[6:9], v1 offset:112
	s_waitcnt lgkmcnt(1)
	v_and_b32_e32 v0, 0xffff0000, v2
	buffer_store_dword v0, off, s[40:43], 0 offset:196 ; 4-byte Folded Spill
	v_lshlrev_b32_e32 v0, 16, v2
	buffer_store_dword v0, off, s[40:43], 0 offset:200 ; 4-byte Folded Spill
	v_and_b32_e32 v0, 0xffff0000, v3
	buffer_store_dword v0, off, s[40:43], 0 offset:204 ; 4-byte Folded Spill
	v_lshlrev_b32_e32 v0, 16, v3
	buffer_store_dword v0, off, s[40:43], 0 offset:208 ; 4-byte Folded Spill
	;; [unrolled: 4-line block ×4, first 2 shown]
	s_waitcnt lgkmcnt(0)
	v_and_b32_e32 v0, 0xffff0000, v6
	buffer_store_dword v0, off, s[40:43], 0 offset:228 ; 4-byte Folded Spill
	v_lshlrev_b32_e32 v0, 16, v6
	buffer_store_dword v0, off, s[40:43], 0 offset:232 ; 4-byte Folded Spill
	v_and_b32_e32 v0, 0xffff0000, v7
	buffer_store_dword v0, off, s[40:43], 0 offset:236 ; 4-byte Folded Spill
	v_lshlrev_b32_e32 v0, 16, v7
	buffer_store_dword v0, off, s[40:43], 0 offset:240 ; 4-byte Folded Spill
	;; [unrolled: 4-line block ×4, first 2 shown]
	ds_read_b128 v[2:5], v1 offset:128
	ds_read_b128 v[6:9], v1 offset:144
	s_waitcnt lgkmcnt(1)
	v_and_b32_e32 v0, 0xffff0000, v2
	s_waitcnt lgkmcnt(0)
	v_lshlrev_b32_e32 v126, 16, v8
	v_and_b32_e32 v127, 0xffff0000, v9
	v_lshlrev_b32_e32 v44, 16, v9
	buffer_store_dword v0, off, s[40:43], 0 offset:260 ; 4-byte Folded Spill
	v_lshlrev_b32_e32 v0, 16, v2
	buffer_store_dword v0, off, s[40:43], 0 offset:264 ; 4-byte Folded Spill
	v_and_b32_e32 v0, 0xffff0000, v3
	buffer_store_dword v0, off, s[40:43], 0 offset:268 ; 4-byte Folded Spill
	v_lshlrev_b32_e32 v0, 16, v3
	buffer_store_dword v0, off, s[40:43], 0 offset:272 ; 4-byte Folded Spill
	v_and_b32_e32 v0, 0xffff0000, v4
	buffer_store_dword v0, off, s[40:43], 0 offset:276 ; 4-byte Folded Spill
	v_lshlrev_b32_e32 v0, 16, v4
	buffer_store_dword v0, off, s[40:43], 0 offset:280 ; 4-byte Folded Spill
	v_and_b32_e32 v0, 0xffff0000, v5
	buffer_store_dword v0, off, s[40:43], 0 offset:284 ; 4-byte Folded Spill
	v_lshlrev_b32_e32 v0, 16, v5
	buffer_store_dword v0, off, s[40:43], 0 offset:288 ; 4-byte Folded Spill
	v_and_b32_e32 v0, 0xffff0000, v6
	buffer_store_dword v0, off, s[40:43], 0 offset:292 ; 4-byte Folded Spill
	v_lshlrev_b32_e32 v0, 16, v6
	buffer_store_dword v0, off, s[40:43], 0 offset:296 ; 4-byte Folded Spill
	v_and_b32_e32 v0, 0xffff0000, v7
	buffer_store_dword v0, off, s[40:43], 0 offset:300 ; 4-byte Folded Spill
	v_lshlrev_b32_e32 v0, 16, v7
	buffer_store_dword v0, off, s[40:43], 0 offset:304 ; 4-byte Folded Spill
	v_and_b32_e32 v0, 0xffff0000, v8
	buffer_store_dword v0, off, s[40:43], 0 offset:308 ; 4-byte Folded Spill
	ds_read_b128 v[2:5], v1 offset:160
	ds_read_b128 v[6:9], v1 offset:176
	s_waitcnt lgkmcnt(1)
	v_and_b32_e32 v43, 0xffff0000, v2
	v_lshlrev_b32_e32 v45, 16, v2
	v_and_b32_e32 v75, 0xffff0000, v3
	v_lshlrev_b32_e32 v76, 16, v3
	;; [unrolled: 2-line block ×4, first 2 shown]
	s_waitcnt lgkmcnt(0)
	v_and_b32_e32 v49, 0xffff0000, v6
	v_lshlrev_b32_e32 v50, 16, v6
	v_and_b32_e32 v51, 0xffff0000, v7
	v_lshlrev_b32_e32 v52, 16, v7
	;; [unrolled: 2-line block ×4, first 2 shown]
	ds_read_b128 v[2:5], v1 offset:192
	ds_read_b128 v[6:9], v1 offset:208
	s_waitcnt lgkmcnt(1)
	v_and_b32_e32 v57, 0xffff0000, v2
	v_lshlrev_b32_e32 v58, 16, v2
	v_and_b32_e32 v59, 0xffff0000, v3
	v_lshlrev_b32_e32 v60, 16, v3
	;; [unrolled: 2-line block ×4, first 2 shown]
	s_waitcnt lgkmcnt(0)
	v_and_b32_e32 v65, 0xffff0000, v6
	v_lshlrev_b32_e32 v66, 16, v6
	v_and_b32_e32 v67, 0xffff0000, v7
	v_lshlrev_b32_e32 v68, 16, v7
	;; [unrolled: 2-line block ×4, first 2 shown]
	ds_read_b128 v[2:5], v1 offset:224
	ds_read_b128 v[6:9], v1 offset:240
	v_cvt_f32_u32_e32 v1, s5
	buffer_store_dword v14, off, s[40:43], 0 offset:324 ; 4-byte Folded Spill
	buffer_store_dword v15, off, s[40:43], 0 offset:328 ; 4-byte Folded Spill
	;; [unrolled: 1-line block ×3, first 2 shown]
	v_rcp_iflag_f32_e32 v1, v1
	v_mul_f32_e32 v1, 0x4f7ffffe, v1
	s_waitcnt lgkmcnt(1)
	v_and_b32_e32 v73, 0xffff0000, v2
	v_lshlrev_b32_e32 v74, 16, v2
	v_cvt_u32_f32_e32 v1, v1
	v_and_b32_e32 v78, 0xffff0000, v3
	v_lshlrev_b32_e32 v79, 16, v3
	v_and_b32_e32 v80, 0xffff0000, v4
	v_lshlrev_b32_e32 v81, 16, v4
	v_mul_lo_u32 v2, s15, v1
	v_and_b32_e32 v82, 0xffff0000, v5
	v_lshlrev_b32_e32 v83, 16, v5
	s_waitcnt lgkmcnt(0)
	v_and_b32_e32 v84, 0xffff0000, v6
	v_lshlrev_b32_e32 v85, 16, v6
	v_and_b32_e32 v86, 0xffff0000, v7
	v_lshlrev_b32_e32 v87, 16, v7
	v_and_b32_e32 v88, 0xffff0000, v8
	v_mul_hi_u32 v2, v1, v2
	v_lshlrev_b32_e32 v89, 16, v8
	v_and_b32_e32 v90, 0xffff0000, v9
	v_lshlrev_b32_e32 v91, 16, v9
	s_mov_b32 s15, 0
	v_add_nc_u32_e32 v93, v1, v2
	buffer_load_dword v2, off, s[40:43], 0  ; 4-byte Folded Reload
	v_and_b32_e32 v1, 0x7c, v14
	v_add_co_u32 v41, s35, s35, v1
	v_add_co_ci_u32_e64 v42, null, s36, 0, s35
	s_waitcnt vmcnt(0)
	v_subrev_nc_u32_e32 v1, s28, v2
	v_add_nc_u32_e32 v94, 1, v1
	v_lshl_or_b32 v1, v99, 7, v15
	v_add_nc_u32_e32 v95, 0x120, v1
	v_lshlrev_b32_e32 v1, 4, v2
	v_add_co_u32 v96, s1, s1, v1
	v_add_co_ci_u32_e64 v97, null, s2, 0, s1
	s_branch .LBB150_11
.LBB150_10:                             ;   in Loop: Header=BB150_11 Depth=1
	s_or_b32 exec_lo, exec_lo, s35
	v_add_nc_u32_e32 v99, 4, v99
	v_add_co_u32 v41, s1, v41, 16
	v_add_co_ci_u32_e64 v42, null, 0, v42, s1
	v_cmp_le_i32_e64 s1, s16, v99
	v_add_nc_u32_e32 v98, 0x80, v98
	v_add_nc_u32_e32 v95, 0x200, v95
	s_or_b32 s15, s1, s15
	s_andn2_b32 exec_lo, exec_lo, s15
	s_cbranch_execz .LBB150_15
.LBB150_11:                             ; =>This Inner Loop Header: Depth=1
	v_mul_hi_u32 v1, v98, s21
	v_mul_lo_u32 v2, v1, s12
	v_add_nc_u32_e32 v3, 1, v1
	v_sub_nc_u32_e32 v2, v98, v2
	v_subrev_nc_u32_e32 v4, s12, v2
	v_cmp_le_u32_e64 s1, s12, v2
	v_cndmask_b32_e64 v1, v1, v3, s1
	v_cndmask_b32_e64 v2, v2, v4, s1
	v_add_nc_u32_e32 v3, 1, v1
	v_cmp_le_u32_e64 s1, s12, v2
	v_cndmask_b32_e64 v1, v1, v3, s1
	v_xor_b32_e32 v1, s19, v1
	v_subrev_nc_u32_e32 v1, s19, v1
	v_add_nc_u32_e32 v2, s29, v1
	v_cmp_ge_i32_e64 s2, s4, v1
	v_sub_nc_u32_e32 v3, 0, v2
	v_max_i32_e32 v3, v2, v3
	v_ashrrev_i32_e32 v2, 31, v2
	v_mul_hi_u32 v4, v3, v93
	v_mul_lo_u32 v4, v4, s5
	v_sub_nc_u32_e32 v3, v3, v4
	v_subrev_nc_u32_e32 v4, s5, v3
	v_cmp_le_u32_e64 s1, s5, v3
	v_cndmask_b32_e64 v3, v3, v4, s1
	v_subrev_nc_u32_e32 v4, s5, v3
	v_cmp_le_u32_e64 s1, s5, v3
	v_cndmask_b32_e64 v3, v3, v4, s1
	v_xor_b32_e32 v3, v3, v2
	v_sub_nc_u32_e32 v2, v3, v2
	v_cmp_ne_u32_e64 s1, 0, v2
	s_and_b32 s1, s1, s2
	s_and_saveexec_b32 s2, s1
	s_xor_b32 s1, exec_lo, s2
; %bb.12:                               ;   in Loop: Header=BB150_11 Depth=1
	v_mov_b32_e32 v1, 0xff7fffff
	ds_write_b32 v95, v1
; %bb.13:                               ;   in Loop: Header=BB150_11 Depth=1
	s_andn2_saveexec_b32 s35, s1
	s_cbranch_execz .LBB150_10
; %bb.14:                               ;   in Loop: Header=BB150_11 Depth=1
	global_load_dword v1, v[41:42], off
	buffer_load_dword v2, off, s[40:43], 0  ; 4-byte Folded Reload
	s_waitcnt vmcnt(0)
	v_add_nc_u32_e32 v3, v2, v98
	v_mad_i64_i32 v[1:2], null, v1, s34, 0
	v_lshlrev_b64 v[1:2], 1, v[1:2]
	v_add_co_u32 v13, s1, v96, v1
	v_add_nc_u32_e32 v1, v94, v98
	v_add_co_ci_u32_e64 v14, null, v97, v2, s1
	v_cmp_gt_i32_e64 s1, s28, v3
	v_cvt_f32_i32_e32 v1, v1
	v_mul_f32_e32 v1, s31, v1
	v_cndmask_b32_e32 v100, 0, v1, vcc_lo
	s_clause 0x3
	global_load_dwordx4 v[15:18], v[13:14], off
	global_load_dwordx4 v[9:12], v[13:14], off offset:512
	global_load_dwordx4 v[5:8], v[13:14], off offset:1024
	global_load_dwordx4 v[1:4], v[13:14], off offset:1536
	buffer_load_dword v21, off, s[40:43], 0 offset:16 ; 4-byte Folded Reload
	s_waitcnt vmcnt(4)
	v_lshlrev_b32_e32 v19, 16, v15
	s_waitcnt vmcnt(3)
	v_and_b32_e32 v20, 0xffff0000, v9
	v_lshlrev_b32_e32 v9, 16, v9
	v_and_b32_e32 v15, 0xffff0000, v15
	s_waitcnt vmcnt(0)
	v_mul_f32_e32 v101, v21, v9
	buffer_load_dword v9, off, s[40:43], 0 offset:12 ; 4-byte Folded Reload
	s_waitcnt vmcnt(0)
	v_mul_f32_e32 v102, v9, v20
	buffer_load_dword v9, off, s[40:43], 0 offset:4 ; 4-byte Folded Reload
	s_waitcnt vmcnt(0)
	v_fmac_f32_e32 v102, v9, v15
	s_clause 0x1
	buffer_load_dword v9, off, s[40:43], 0 offset:8
	buffer_load_dword v15, off, s[40:43], 0 offset:72
	s_waitcnt vmcnt(1)
	v_fmac_f32_e32 v101, v9, v19
	v_and_b32_e32 v9, 0xffff0000, v5
	v_lshlrev_b32_e32 v5, 16, v5
	s_waitcnt vmcnt(0)
	v_fmac_f32_e32 v101, v15, v5
	s_clause 0x1
	buffer_load_dword v5, off, s[40:43], 0 offset:68
	buffer_load_dword v15, off, s[40:43], 0 offset:32
	s_waitcnt vmcnt(1)
	v_fmac_f32_e32 v102, v5, v9
	buffer_load_dword v9, off, s[40:43], 0 offset:100 ; 4-byte Folded Reload
	v_lshlrev_b32_e32 v5, 16, v1
	v_and_b32_e32 v1, 0xffff0000, v1
	s_waitcnt vmcnt(0)
	v_fmac_f32_e32 v102, v9, v1
	v_and_b32_e32 v9, 0xffff0000, v10
	v_lshlrev_b32_e32 v10, 16, v10
	buffer_load_dword v1, off, s[40:43], 0 offset:104 ; 4-byte Folded Reload
	v_mul_f32_e32 v104, v15, v10
	buffer_load_dword v10, off, s[40:43], 0 offset:28 ; 4-byte Folded Reload
	s_waitcnt vmcnt(0)
	v_mul_f32_e32 v103, v10, v9
	buffer_load_dword v9, off, s[40:43], 0 offset:20 ; 4-byte Folded Reload
	v_fmac_f32_e32 v101, v1, v5
	v_and_b32_e32 v5, 0xffff0000, v16
	v_lshlrev_b32_e32 v1, 16, v16
	s_waitcnt vmcnt(0)
	v_fmac_f32_e32 v103, v9, v5
	s_clause 0x1
	buffer_load_dword v5, off, s[40:43], 0 offset:24
	buffer_load_dword v9, off, s[40:43], 0 offset:56
	s_waitcnt vmcnt(1)
	v_fmac_f32_e32 v104, v5, v1
	v_and_b32_e32 v1, 0xffff0000, v6
	v_lshlrev_b32_e32 v5, 16, v6
	buffer_load_dword v6, off, s[40:43], 0 offset:80 ; 4-byte Folded Reload
	s_waitcnt vmcnt(0)
	v_fmac_f32_e32 v104, v6, v5
	buffer_load_dword v5, off, s[40:43], 0 offset:76 ; 4-byte Folded Reload
	v_lshlrev_b32_e32 v6, 16, v11
	v_mul_f32_e32 v106, v9, v6
	buffer_load_dword v6, off, s[40:43], 0 offset:52 ; 4-byte Folded Reload
	s_waitcnt vmcnt(1)
	v_fmac_f32_e32 v103, v5, v1
	buffer_load_dword v5, off, s[40:43], 0 offset:108 ; 4-byte Folded Reload
	v_lshlrev_b32_e32 v1, 16, v2
	v_and_b32_e32 v2, 0xffff0000, v2
	s_waitcnt vmcnt(0)
	v_fmac_f32_e32 v103, v5, v2
	buffer_load_dword v2, off, s[40:43], 0 offset:112 ; 4-byte Folded Reload
	v_and_b32_e32 v5, 0xffff0000, v11
	v_mul_f32_e32 v105, v6, v5
	s_clause 0x1
	buffer_load_dword v5, off, s[40:43], 0 offset:36
	buffer_load_dword v6, off, s[40:43], 0 offset:64
	s_waitcnt vmcnt(2)
	v_fmac_f32_e32 v104, v2, v1
	v_and_b32_e32 v2, 0xffff0000, v17
	v_lshlrev_b32_e32 v1, 16, v17
	s_waitcnt vmcnt(1)
	v_fmac_f32_e32 v105, v5, v2
	s_clause 0x1
	buffer_load_dword v2, off, s[40:43], 0 offset:40
	buffer_load_dword v5, off, s[40:43], 0 offset:88
	s_waitcnt vmcnt(1)
	v_fmac_f32_e32 v106, v2, v1
	v_lshlrev_b32_e32 v2, 16, v7
	v_and_b32_e32 v1, 0xffff0000, v7
	s_waitcnt vmcnt(0)
	v_fmac_f32_e32 v106, v5, v2
	buffer_load_dword v2, off, s[40:43], 0 offset:84 ; 4-byte Folded Reload
	v_lshlrev_b32_e32 v5, 16, v12
	v_mul_f32_e32 v108, v6, v5
	buffer_load_dword v5, off, s[40:43], 0 offset:60 ; 4-byte Folded Reload
	s_waitcnt vmcnt(1)
	v_fmac_f32_e32 v105, v2, v1
	v_lshlrev_b32_e32 v1, 16, v3
	v_and_b32_e32 v2, 0xffff0000, v3
	buffer_load_dword v3, off, s[40:43], 0 offset:116 ; 4-byte Folded Reload
	s_waitcnt vmcnt(0)
	v_fmac_f32_e32 v105, v3, v2
	buffer_load_dword v2, off, s[40:43], 0 offset:120 ; 4-byte Folded Reload
	v_and_b32_e32 v3, 0xffff0000, v12
	v_mul_f32_e32 v107, v5, v3
	buffer_load_dword v3, off, s[40:43], 0 offset:44 ; 4-byte Folded Reload
	v_add_co_u32 v5, s2, 0x800, v13
	v_add_co_ci_u32_e64 v6, null, 0, v14, s2
	v_add_co_u32 v7, s2, v13, 0x1000
	s_waitcnt vmcnt(1)
	v_fmac_f32_e32 v106, v2, v1
	v_and_b32_e32 v2, 0xffff0000, v18
	v_lshlrev_b32_e32 v1, 16, v18
	s_waitcnt vmcnt(0)
	v_fmac_f32_e32 v107, v3, v2
	s_clause 0x1
	buffer_load_dword v2, off, s[40:43], 0 offset:48
	buffer_load_dword v3, off, s[40:43], 0 offset:96
	s_waitcnt vmcnt(1)
	v_fmac_f32_e32 v108, v2, v1
	v_lshlrev_b32_e32 v2, 16, v8
	v_and_b32_e32 v1, 0xffff0000, v8
	v_add_co_ci_u32_e64 v8, null, 0, v14, s2
	s_waitcnt vmcnt(0)
	v_fmac_f32_e32 v108, v3, v2
	s_clause 0x1
	buffer_load_dword v2, off, s[40:43], 0 offset:92
	buffer_load_dword v3, off, s[40:43], 0 offset:124
	s_waitcnt vmcnt(1)
	v_fmac_f32_e32 v107, v2, v1
	v_and_b32_e32 v2, 0xffff0000, v4
	v_lshlrev_b32_e32 v1, 16, v4
	s_waitcnt vmcnt(0)
	v_fmac_f32_e32 v107, v3, v2
	buffer_load_dword v2, off, s[40:43], 0 offset:128 ; 4-byte Folded Reload
	s_waitcnt vmcnt(0)
	v_fmac_f32_e32 v108, v2, v1
	global_load_dwordx4 v[1:4], v[7:8], off offset:-2048
	s_waitcnt vmcnt(0)
	v_and_b32_e32 v119, 0xffff0000, v1
	v_lshlrev_b32_e32 v120, 16, v1
	v_and_b32_e32 v117, 0xffff0000, v2
	v_lshlrev_b32_e32 v118, 16, v2
	;; [unrolled: 2-line block ×4, first 2 shown]
	s_clause 0x2
	global_load_dwordx4 v[1:4], v[5:6], off offset:512
	global_load_dwordx4 v[37:40], v[5:6], off offset:1024
	;; [unrolled: 1-line block ×3, first 2 shown]
	s_waitcnt vmcnt(2)
	v_lshlrev_b32_e32 v121, 16, v1
	v_and_b32_e32 v122, 0xffff0000, v1
	v_add_co_u32 v1, s2, 0x1000, v13
	v_lshlrev_b32_e32 v123, 16, v2
	v_and_b32_e32 v124, 0xffff0000, v2
	v_add_co_ci_u32_e64 v2, null, 0, v14, s2
	s_clause 0x3
	global_load_dwordx4 v[33:36], v[7:8], off
	global_load_dwordx4 v[25:28], v[1:2], off offset:512
	global_load_dwordx4 v[21:24], v[1:2], off offset:1024
	;; [unrolled: 1-line block ×3, first 2 shown]
	v_add_co_u32 v1, s2, 0x1800, v13
	v_add_co_ci_u32_e64 v2, null, 0, v14, s2
	v_lshlrev_b32_e32 v115, 16, v3
	v_and_b32_e32 v116, 0xffff0000, v3
	v_lshlrev_b32_e32 v111, 16, v4
	v_and_b32_e32 v112, 0xffff0000, v4
	s_clause 0x3
	global_load_dwordx4 v[13:16], v[1:2], off
	global_load_dwordx4 v[9:12], v[1:2], off offset:512
	global_load_dwordx4 v[5:8], v[1:2], off offset:1024
	;; [unrolled: 1-line block ×3, first 2 shown]
	buffer_load_dword v125, off, s[40:43], 0 offset:136 ; 4-byte Folded Reload
	s_waitcnt vmcnt(0)
	v_fmac_f32_e32 v101, v125, v120
	buffer_load_dword v120, off, s[40:43], 0 offset:132 ; 4-byte Folded Reload
	s_waitcnt vmcnt(0)
	v_fmac_f32_e32 v102, v120, v119
	s_clause 0x1
	buffer_load_dword v119, off, s[40:43], 0 offset:164
	buffer_load_dword v120, off, s[40:43], 0 offset:200
	s_waitcnt vmcnt(1)
	v_fmac_f32_e32 v102, v119, v122
	buffer_load_dword v119, off, s[40:43], 0 offset:168 ; 4-byte Folded Reload
	s_waitcnt vmcnt(0)
	v_fmac_f32_e32 v101, v119, v121
	v_and_b32_e32 v119, 0xffff0000, v37
	v_lshlrev_b32_e32 v37, 16, v37
	v_fmac_f32_e32 v101, v120, v37
	buffer_load_dword v37, off, s[40:43], 0 offset:196 ; 4-byte Folded Reload
	s_waitcnt vmcnt(0)
	v_fmac_f32_e32 v102, v37, v119
	buffer_load_dword v119, off, s[40:43], 0 offset:228 ; 4-byte Folded Reload
	v_lshlrev_b32_e32 v37, 16, v29
	v_and_b32_e32 v29, 0xffff0000, v29
	s_waitcnt vmcnt(0)
	v_fmac_f32_e32 v102, v119, v29
	buffer_load_dword v29, off, s[40:43], 0 offset:232 ; 4-byte Folded Reload
	s_waitcnt vmcnt(0)
	v_fmac_f32_e32 v101, v29, v37
	buffer_load_dword v37, off, s[40:43], 0 offset:264 ; 4-byte Folded Reload
	v_and_b32_e32 v29, 0xffff0000, v33
	v_lshlrev_b32_e32 v33, 16, v33
	s_waitcnt vmcnt(0)
	v_fmac_f32_e32 v101, v37, v33
	buffer_load_dword v33, off, s[40:43], 0 offset:260 ; 4-byte Folded Reload
	s_waitcnt vmcnt(0)
	v_fmac_f32_e32 v102, v33, v29
	buffer_load_dword v33, off, s[40:43], 0 offset:292 ; 4-byte Folded Reload
	v_lshlrev_b32_e32 v29, 16, v25
	v_and_b32_e32 v25, 0xffff0000, v25
	s_waitcnt vmcnt(0)
	v_fmac_f32_e32 v102, v33, v25
	buffer_load_dword v25, off, s[40:43], 0 offset:296 ; 4-byte Folded Reload
	s_waitcnt vmcnt(0)
	v_fmac_f32_e32 v101, v25, v29
	v_and_b32_e32 v25, 0xffff0000, v21
	v_lshlrev_b32_e32 v21, 16, v21
	v_fmac_f32_e32 v102, v43, v25
	v_fmac_f32_e32 v101, v45, v21
	v_lshlrev_b32_e32 v21, 16, v17
	v_and_b32_e32 v17, 0xffff0000, v17
	v_fmac_f32_e32 v101, v50, v21
	v_fmac_f32_e32 v102, v49, v17
	v_and_b32_e32 v17, 0xffff0000, v13
	v_lshlrev_b32_e32 v13, 16, v13
	v_fmac_f32_e32 v102, v57, v17
	v_fmac_f32_e32 v101, v58, v13
	v_lshlrev_b32_e32 v13, 16, v9
	v_and_b32_e32 v9, 0xffff0000, v9
	v_fmac_f32_e32 v101, v66, v13
	v_fmac_f32_e32 v102, v65, v9
	v_and_b32_e32 v9, 0xffff0000, v5
	v_lshlrev_b32_e32 v5, 16, v5
	v_fmac_f32_e32 v102, v73, v9
	v_fmac_f32_e32 v101, v74, v5
	v_lshlrev_b32_e32 v5, 16, v1
	v_and_b32_e32 v1, 0xffff0000, v1
	buffer_load_dword v9, off, s[40:43], 0 offset:208 ; 4-byte Folded Reload
	v_fmac_f32_e32 v101, v85, v5
	v_fmac_f32_e32 v102, v84, v1
	buffer_load_dword v1, off, s[40:43], 0 offset:144 ; 4-byte Folded Reload
	v_lshlrev_b32_e32 v5, 16, v38
	s_waitcnt vmcnt(0)
	v_fmac_f32_e32 v104, v1, v118
	buffer_load_dword v1, off, s[40:43], 0 offset:140 ; 4-byte Folded Reload
	s_waitcnt vmcnt(0)
	v_fmac_f32_e32 v103, v1, v117
	buffer_load_dword v1, off, s[40:43], 0 offset:172 ; 4-byte Folded Reload
	;; [unrolled: 3-line block ×3, first 2 shown]
	s_waitcnt vmcnt(0)
	v_fmac_f32_e32 v104, v1, v123
	v_and_b32_e32 v1, 0xffff0000, v38
	v_fmac_f32_e32 v104, v9, v5
	s_clause 0x1
	buffer_load_dword v5, off, s[40:43], 0 offset:204
	buffer_load_dword v9, off, s[40:43], 0 offset:236
	s_waitcnt vmcnt(1)
	v_fmac_f32_e32 v103, v5, v1
	v_and_b32_e32 v5, 0xffff0000, v30
	v_lshlrev_b32_e32 v1, 16, v30
	s_waitcnt vmcnt(0)
	v_fmac_f32_e32 v103, v9, v5
	s_clause 0x1
	buffer_load_dword v5, off, s[40:43], 0 offset:240
	buffer_load_dword v9, off, s[40:43], 0 offset:272
	s_waitcnt vmcnt(1)
	v_fmac_f32_e32 v104, v5, v1
	v_lshlrev_b32_e32 v5, 16, v34
	v_and_b32_e32 v1, 0xffff0000, v34
	s_waitcnt vmcnt(0)
	v_fmac_f32_e32 v104, v9, v5
	s_clause 0x1
	buffer_load_dword v5, off, s[40:43], 0 offset:268
	buffer_load_dword v9, off, s[40:43], 0 offset:300
	s_waitcnt vmcnt(1)
	v_fmac_f32_e32 v103, v5, v1
	v_and_b32_e32 v5, 0xffff0000, v26
	v_lshlrev_b32_e32 v1, 16, v26
	s_waitcnt vmcnt(0)
	v_fmac_f32_e32 v103, v9, v5
	buffer_load_dword v5, off, s[40:43], 0 offset:304 ; 4-byte Folded Reload
	s_waitcnt vmcnt(0)
	v_fmac_f32_e32 v104, v5, v1
	v_and_b32_e32 v1, 0xffff0000, v22
	v_lshlrev_b32_e32 v5, 16, v22
	v_fmac_f32_e32 v103, v75, v1
	v_fmac_f32_e32 v104, v76, v5
	v_lshlrev_b32_e32 v1, 16, v18
	v_and_b32_e32 v5, 0xffff0000, v18
	v_fmac_f32_e32 v104, v52, v1
	v_fmac_f32_e32 v103, v51, v5
	v_and_b32_e32 v1, 0xffff0000, v14
	v_lshlrev_b32_e32 v5, 16, v14
	v_fmac_f32_e32 v103, v59, v1
	v_fmac_f32_e32 v104, v60, v5
	v_lshlrev_b32_e32 v1, 16, v10
	v_and_b32_e32 v5, 0xffff0000, v10
	v_fmac_f32_e32 v104, v68, v1
	v_fmac_f32_e32 v103, v67, v5
	v_and_b32_e32 v1, 0xffff0000, v6
	v_lshlrev_b32_e32 v5, 16, v6
	v_fmac_f32_e32 v103, v78, v1
	v_fmac_f32_e32 v104, v79, v5
	v_lshlrev_b32_e32 v1, 16, v2
	v_and_b32_e32 v2, 0xffff0000, v2
	buffer_load_dword v5, off, s[40:43], 0 offset:216 ; 4-byte Folded Reload
	v_fmac_f32_e32 v104, v87, v1
	buffer_load_dword v1, off, s[40:43], 0 offset:152 ; 4-byte Folded Reload
	v_fmac_f32_e32 v103, v86, v2
	v_lshlrev_b32_e32 v2, 16, v39
	s_waitcnt vmcnt(0)
	v_fmac_f32_e32 v106, v1, v114
	buffer_load_dword v1, off, s[40:43], 0 offset:148 ; 4-byte Folded Reload
	s_waitcnt vmcnt(0)
	v_fmac_f32_e32 v105, v1, v113
	buffer_load_dword v1, off, s[40:43], 0 offset:180 ; 4-byte Folded Reload
	;; [unrolled: 3-line block ×3, first 2 shown]
	s_waitcnt vmcnt(0)
	v_fmac_f32_e32 v106, v1, v115
	v_and_b32_e32 v1, 0xffff0000, v39
	v_fmac_f32_e32 v106, v5, v2
	s_clause 0x1
	buffer_load_dword v2, off, s[40:43], 0 offset:212
	buffer_load_dword v5, off, s[40:43], 0 offset:244
	s_waitcnt vmcnt(1)
	v_fmac_f32_e32 v105, v2, v1
	v_and_b32_e32 v2, 0xffff0000, v31
	v_lshlrev_b32_e32 v1, 16, v31
	s_waitcnt vmcnt(0)
	v_fmac_f32_e32 v105, v5, v2
	s_clause 0x1
	buffer_load_dword v2, off, s[40:43], 0 offset:248
	buffer_load_dword v5, off, s[40:43], 0 offset:280
	s_waitcnt vmcnt(1)
	v_fmac_f32_e32 v106, v2, v1
	v_lshlrev_b32_e32 v2, 16, v35
	v_and_b32_e32 v1, 0xffff0000, v35
	s_waitcnt vmcnt(0)
	v_fmac_f32_e32 v106, v5, v2
	s_clause 0x1
	buffer_load_dword v2, off, s[40:43], 0 offset:276
	buffer_load_dword v5, off, s[40:43], 0 offset:308
	s_waitcnt vmcnt(1)
	v_fmac_f32_e32 v105, v2, v1
	v_lshlrev_b32_e32 v1, 16, v27
	v_and_b32_e32 v2, 0xffff0000, v27
	v_fmac_f32_e32 v106, v126, v1
	s_waitcnt vmcnt(0)
	v_fmac_f32_e32 v105, v5, v2
	v_and_b32_e32 v1, 0xffff0000, v23
	v_lshlrev_b32_e32 v2, 16, v23
	v_fmac_f32_e32 v105, v46, v1
	v_fmac_f32_e32 v106, v0, v2
	v_lshlrev_b32_e32 v1, 16, v19
	v_and_b32_e32 v2, 0xffff0000, v19
	v_fmac_f32_e32 v106, v54, v1
	v_fmac_f32_e32 v105, v53, v2
	v_and_b32_e32 v1, 0xffff0000, v15
	v_lshlrev_b32_e32 v2, 16, v15
	v_fmac_f32_e32 v105, v61, v1
	v_fmac_f32_e32 v106, v62, v2
	v_lshlrev_b32_e32 v1, 16, v11
	v_and_b32_e32 v2, 0xffff0000, v11
	v_fmac_f32_e32 v106, v70, v1
	v_fmac_f32_e32 v105, v69, v2
	v_and_b32_e32 v1, 0xffff0000, v7
	v_lshlrev_b32_e32 v2, 16, v7
	v_fmac_f32_e32 v105, v80, v1
	v_fmac_f32_e32 v106, v81, v2
	v_lshlrev_b32_e32 v1, 16, v3
	v_and_b32_e32 v2, 0xffff0000, v3
	buffer_load_dword v3, off, s[40:43], 0 offset:224 ; 4-byte Folded Reload
	v_fmac_f32_e32 v106, v89, v1
	buffer_load_dword v1, off, s[40:43], 0 offset:160 ; 4-byte Folded Reload
	v_fmac_f32_e32 v105, v88, v2
	v_lshlrev_b32_e32 v2, 16, v40
	s_waitcnt vmcnt(0)
	v_fmac_f32_e32 v108, v1, v110
	buffer_load_dword v1, off, s[40:43], 0 offset:156 ; 4-byte Folded Reload
	s_waitcnt vmcnt(0)
	v_fmac_f32_e32 v107, v1, v109
	buffer_load_dword v1, off, s[40:43], 0 offset:188 ; 4-byte Folded Reload
	;; [unrolled: 3-line block ×3, first 2 shown]
	s_waitcnt vmcnt(0)
	v_fmac_f32_e32 v108, v1, v111
	v_and_b32_e32 v1, 0xffff0000, v40
	v_fmac_f32_e32 v108, v3, v2
	s_clause 0x1
	buffer_load_dword v2, off, s[40:43], 0 offset:220
	buffer_load_dword v3, off, s[40:43], 0 offset:252
	s_waitcnt vmcnt(1)
	v_fmac_f32_e32 v107, v2, v1
	v_and_b32_e32 v2, 0xffff0000, v32
	v_lshlrev_b32_e32 v1, 16, v32
	s_waitcnt vmcnt(0)
	v_fmac_f32_e32 v107, v3, v2
	s_clause 0x1
	buffer_load_dword v2, off, s[40:43], 0 offset:256
	buffer_load_dword v3, off, s[40:43], 0 offset:288
	s_waitcnt vmcnt(1)
	v_fmac_f32_e32 v108, v2, v1
	v_lshlrev_b32_e32 v2, 16, v36
	v_and_b32_e32 v1, 0xffff0000, v36
	s_waitcnt vmcnt(0)
	v_fmac_f32_e32 v108, v3, v2
	buffer_load_dword v2, off, s[40:43], 0 offset:284 ; 4-byte Folded Reload
	s_waitcnt vmcnt(0)
	v_fmac_f32_e32 v107, v2, v1
	v_lshlrev_b32_e32 v1, 16, v28
	v_and_b32_e32 v2, 0xffff0000, v28
	v_fmac_f32_e32 v108, v44, v1
	v_fmac_f32_e32 v107, v127, v2
	v_and_b32_e32 v1, 0xffff0000, v24
	v_lshlrev_b32_e32 v2, 16, v24
	v_fmac_f32_e32 v107, v47, v1
	v_fmac_f32_e32 v108, v48, v2
	v_lshlrev_b32_e32 v1, 16, v20
	v_and_b32_e32 v2, 0xffff0000, v20
	v_fmac_f32_e32 v108, v56, v1
	v_fmac_f32_e32 v107, v55, v2
	v_and_b32_e32 v1, 0xffff0000, v16
	v_lshlrev_b32_e32 v2, 16, v16
	v_fmac_f32_e32 v107, v63, v1
	;; [unrolled: 8-line block ×3, first 2 shown]
	v_fmac_f32_e32 v108, v83, v2
	v_lshlrev_b32_e32 v1, 16, v4
	v_and_b32_e32 v2, 0xffff0000, v4
	v_fmac_f32_e32 v108, v91, v1
	v_add_f32_e32 v1, v101, v102
	v_fmac_f32_e32 v107, v90, v2
	v_add_f32_e32 v1, v1, v104
	v_add_f32_e32 v1, v103, v1
	;; [unrolled: 1-line block ×6, first 2 shown]
	v_fmac_f32_e32 v100, s3, v1
	v_cndmask_b32_e64 v1, 0, v100, s1
	ds_write_b32 v95, v1
	v_max_f32_e32 v1, v92, v92
	v_max_f32_e32 v1, v1, v100
	v_cndmask_b32_e64 v92, v92, v1, s1
	s_branch .LBB150_10
.LBB150_15:
	s_or_b32 exec_lo, exec_lo, s15
	s_clause 0x4
	buffer_load_dword v111, off, s[40:43], 0 offset:312
	buffer_load_dword v112, off, s[40:43], 0 offset:316
	;; [unrolled: 1-line block ×5, first 2 shown]
.LBB150_16:
	s_or_b32 exec_lo, exec_lo, s33
	v_mbcnt_lo_u32_b32 v1, -1, 0
	v_max_f32_e32 v4, v92, v92
	v_xor_b32_e32 v0, 16, v1
	v_xor_b32_e32 v3, 8, v1
	v_cmp_gt_i32_e32 vcc_lo, 32, v0
	v_cndmask_b32_e32 v0, v1, v0, vcc_lo
	v_cmp_gt_i32_e32 vcc_lo, 32, v3
	v_lshlrev_b32_e32 v0, 2, v0
	v_cndmask_b32_e32 v3, v1, v3, vcc_lo
	ds_bpermute_b32 v2, v0, v92
	s_waitcnt lgkmcnt(0)
	v_max_f32_e32 v5, v2, v2
	v_lshlrev_b32_e32 v2, 2, v3
	v_max_f32_e32 v4, v4, v5
	v_xor_b32_e32 v5, 4, v1
	ds_bpermute_b32 v3, v2, v4
	v_cmp_gt_i32_e32 vcc_lo, 32, v5
	v_cndmask_b32_e32 v5, v1, v5, vcc_lo
	s_waitcnt lgkmcnt(0)
	v_max_f32_e32 v6, v3, v3
	v_lshlrev_b32_e32 v3, 2, v5
	v_max_f32_e32 v4, v4, v6
	v_xor_b32_e32 v6, 2, v1
	ds_bpermute_b32 v5, v3, v4
	v_cmp_gt_i32_e32 vcc_lo, 32, v6
	v_cndmask_b32_e32 v6, v1, v6, vcc_lo
	v_lshlrev_b32_e32 v79, 2, v6
	v_xor_b32_e32 v6, 1, v1
	v_cmp_gt_i32_e32 vcc_lo, 32, v6
	s_waitcnt lgkmcnt(0)
	v_max_f32_e32 v5, v5, v5
	v_cndmask_b32_e32 v6, v1, v6, vcc_lo
	v_max_f32_e32 v4, v4, v5
	v_lshlrev_b32_e32 v78, 2, v6
	ds_bpermute_b32 v5, v79, v4
	s_waitcnt lgkmcnt(0)
	v_max_f32_e32 v5, v5, v5
	v_max_f32_e32 v1, v4, v5
	buffer_load_dword v4, off, s[40:43], 0  ; 4-byte Folded Reload
	ds_bpermute_b32 v5, v78, v1
	s_waitcnt vmcnt(0)
	v_cmp_eq_u32_e32 vcc_lo, 0, v4
	v_lshlrev_b32_e32 v4, 2, v112
	s_and_saveexec_b32 s1, vcc_lo
	s_cbranch_execz .LBB150_18
; %bb.17:
	s_waitcnt lgkmcnt(0)
	v_max_f32_e32 v5, v5, v5
	v_max_f32_e32 v1, v1, v1
	;; [unrolled: 1-line block ×3, first 2 shown]
	ds_write_b32 v4, v1 offset:256
.LBB150_18:
	s_or_b32 exec_lo, exec_lo, s1
	buffer_load_dword v1, off, s[40:43], 0  ; 4-byte Folded Reload
	s_waitcnt vmcnt(0) lgkmcnt(0)
	s_waitcnt_vscnt null, 0x0
	s_barrier
	buffer_gl0_inv
	v_cmp_gt_u32_e64 s1, 4, v1
	v_mov_b32_e32 v1, 0xff7fffff
	s_and_saveexec_b32 s2, s1
; %bb.19:
	ds_read_b32 v1, v15 offset:256
; %bb.20:
	s_or_b32 exec_lo, exec_lo, s2
	s_waitcnt lgkmcnt(0)
	ds_bpermute_b32 v5, v79, v1
	v_max_f32_e32 v1, v1, v1
	s_lshl_b32 s2, s16, 5
	s_min_i32 s4, s2, s28
	v_cmp_gt_i32_e64 s2, s4, v111
	s_waitcnt lgkmcnt(0)
	v_max_f32_e32 v5, v5, v5
	v_max_f32_e32 v1, v1, v5
	ds_bpermute_b32 v5, v78, v1
	s_waitcnt lgkmcnt(0)
	v_max_f32_e32 v5, v5, v5
	v_max_f32_e32 v1, v1, v5
	v_mov_b32_e32 v5, 0
	ds_bpermute_b32 v6, v5, v1
	v_lshl_add_u32 v1, v111, 2, 0x120
	s_and_saveexec_b32 s5, s2
	s_cbranch_execz .LBB150_24
; %bb.21:
	v_lshl_add_u32 v7, v111, 2, 0x120
	v_mov_b32_e32 v5, 0
	v_mov_b32_e32 v8, v111
	s_mov_b32 s15, 0
	.p2align	6
.LBB150_22:                             ; =>This Inner Loop Header: Depth=1
	ds_read_b32 v9, v7
	v_add_nc_u32_e32 v8, 0x80, v8
	v_cmp_le_i32_e64 s3, s4, v8
	s_or_b32 s15, s3, s15
	s_waitcnt lgkmcnt(0)
	v_sub_f32_e32 v9, v9, v6
	v_mul_f32_e32 v9, 0x3fb8aa3b, v9
	v_exp_f32_e32 v9, v9
	ds_write_b32 v7, v9
	v_add_f32_e32 v5, v5, v9
	v_add_nc_u32_e32 v7, 0x200, v7
	s_andn2_b32 exec_lo, exec_lo, s15
	s_cbranch_execnz .LBB150_22
; %bb.23:
	s_or_b32 exec_lo, exec_lo, s15
.LBB150_24:
	s_or_b32 exec_lo, exec_lo, s5
	ds_bpermute_b32 v0, v0, v5
	s_waitcnt lgkmcnt(0)
	v_add_f32_e32 v0, v5, v0
	ds_bpermute_b32 v2, v2, v0
	s_waitcnt lgkmcnt(0)
	v_add_f32_e32 v0, v0, v2
	;; [unrolled: 3-line block ×5, first 2 shown]
	s_and_saveexec_b32 s3, vcc_lo
; %bb.25:
	ds_write_b32 v4, v0 offset:272
; %bb.26:
	s_or_b32 exec_lo, exec_lo, s3
	s_waitcnt lgkmcnt(0)
	s_barrier
	buffer_gl0_inv
	s_and_saveexec_b32 s3, s1
; %bb.27:
	ds_read_b32 v0, v15 offset:272
; %bb.28:
	s_or_b32 exec_lo, exec_lo, s3
	s_waitcnt lgkmcnt(0)
	ds_bpermute_b32 v2, v79, v0
	s_waitcnt lgkmcnt(0)
	v_add_f32_e32 v0, v0, v2
	ds_bpermute_b32 v2, v78, v0
	s_waitcnt lgkmcnt(0)
	v_add_f32_e32 v0, v0, v2
	v_mov_b32_e32 v2, 0
	ds_bpermute_b32 v0, v2, v0
	s_and_saveexec_b32 s1, s2
	s_cbranch_execz .LBB150_31
; %bb.29:
	s_waitcnt lgkmcnt(0)
	v_add_f32_e32 v0, 0x358637bd, v0
	s_mov_b32 s2, 0
	v_div_scale_f32 v2, null, v0, v0, 1.0
	v_div_scale_f32 v5, vcc_lo, 1.0, v0, 1.0
	v_rcp_f32_e32 v3, v2
	v_fma_f32 v4, -v2, v3, 1.0
	v_fmac_f32_e32 v3, v4, v3
	v_mul_f32_e32 v4, v5, v3
	v_fma_f32 v6, -v2, v4, v5
	v_fmac_f32_e32 v4, v6, v3
	v_fma_f32 v2, -v2, v4, v5
	v_div_fmas_f32 v2, v2, v3, v4
	v_div_fixup_f32 v0, v2, v0, 1.0
	v_mov_b32_e32 v2, v111
.LBB150_30:                             ; =>This Inner Loop Header: Depth=1
	ds_read_b32 v3, v1
	v_add_nc_u32_e32 v2, 0x80, v2
	v_cmp_le_i32_e32 vcc_lo, s4, v2
	s_or_b32 s2, vcc_lo, s2
	s_waitcnt lgkmcnt(0)
	v_mul_f32_e32 v3, v0, v3
	ds_write_b32 v1, v3
	v_add_nc_u32_e32 v1, 0x200, v1
	s_andn2_b32 exec_lo, exec_lo, s2
	s_cbranch_execnz .LBB150_30
.LBB150_31:
	s_or_b32 exec_lo, exec_lo, s1
	v_mov_b32_e32 v96, 0
	v_and_b32_e32 v80, 3, v111
	v_mov_b32_e32 v95, 0
	v_mov_b32_e32 v94, 0
	v_mov_b32_e32 v93, 0
	v_mov_b32_e32 v92, 0
	v_mov_b32_e32 v91, 0
	v_mov_b32_e32 v90, 0
	v_mov_b32_e32 v89, 0
	v_mov_b32_e32 v88, 0
	v_mov_b32_e32 v87, 0
	v_mov_b32_e32 v86, 0
	v_mov_b32_e32 v85, 0
	v_mov_b32_e32 v84, 0
	v_mov_b32_e32 v83, 0
	v_mov_b32_e32 v82, 0
	v_mov_b32_e32 v81, 0
	s_waitcnt lgkmcnt(0)
	s_barrier
	buffer_gl0_inv
	s_and_saveexec_b32 s3, s0
	s_cbranch_execz .LBB150_69
; %bb.32:
	s_ashr_i32 s15, s14, 31
	s_sub_i32 s4, s30, s17
	s_lshl_b64 s[0:1], s[14:15], 1
	v_lshlrev_b32_e32 v0, 3, v111
	s_add_u32 s2, s26, s0
	s_addc_u32 s15, s27, s1
	s_abs_i32 s5, s18
	v_lshlrev_b32_e32 v4, 5, v80
	v_cvt_f32_u32_e32 v1, s5
	s_sub_i32 s0, 0, s5
	v_and_b32_e32 v98, 24, v0
	v_and_b32_e32 v2, 0x1f0, v10
	;; [unrolled: 1-line block ×3, first 2 shown]
	v_rcp_iflag_f32_e32 v1, v1
	s_add_i32 s14, s16, -1
	v_lshl_or_b32 v4, v112, 7, v4
	v_add_co_u32 v99, s2, s2, v2
	v_mov_b32_e32 v97, 0
	v_mov_b32_e32 v81, 0
	;; [unrolled: 1-line block ×5, first 2 shown]
	v_mul_f32_e32 v1, 0x4f7ffffe, v1
	v_mov_b32_e32 v85, 0
	v_mov_b32_e32 v86, 0
	;; [unrolled: 1-line block ×4, first 2 shown]
	v_cvt_u32_f32_e32 v1, v1
	v_mov_b32_e32 v89, 0
	v_mov_b32_e32 v90, 0
	;; [unrolled: 1-line block ×4, first 2 shown]
	v_mul_lo_u32 v0, s0, v1
	s_lshl_b64 s[0:1], s[24:25], 2
	v_mov_b32_e32 v93, 0
	s_add_u32 s0, s22, s0
	s_addc_u32 s1, s23, s1
	v_add_co_u32 v73, s0, s0, v3
	v_mov_b32_e32 v94, 0
	v_mul_hi_u32 v0, v1, v0
	v_mov_b32_e32 v95, 0
	v_add_co_ci_u32_e64 v100, null, s15, 0, s2
	v_add_nc_u32_e32 v101, 0x120, v4
	v_add_co_ci_u32_e64 v74, null, s1, 0, s0
	v_mov_b32_e32 v96, 0
	v_add_nc_u32_e32 v102, v1, v0
	v_mov_b32_e32 v103, v112
	s_mov_b32 s17, s28
	s_mov_b32 s15, 0
	s_branch .LBB150_35
.LBB150_33:                             ;   in Loop: Header=BB150_35 Depth=1
	s_or_b32 exec_lo, exec_lo, s2
	s_waitcnt lgkmcnt(1)
	v_bfe_u32 v0, v49, 16, 1
	v_or_b32_e32 v75, 0x400000, v49
	v_bfe_u32 v76, v50, 16, 1
	v_cmp_u_f32_e32 vcc_lo, v49, v49
	v_bfe_u32 v104, v51, 16, 1
	v_add3_u32 v0, v0, v49, 0x7fff
	v_or_b32_e32 v105, 0x400000, v50
	v_add3_u32 v76, v76, v50, 0x7fff
	v_or_b32_e32 v106, 0x400000, v51
	v_add3_u32 v104, v104, v51, 0x7fff
	v_cndmask_b32_e32 v49, v0, v75, vcc_lo
	v_cmp_u_f32_e32 vcc_lo, v50, v50
	v_bfe_u32 v0, v52, 16, 1
	s_waitcnt lgkmcnt(0)
	v_bfe_u32 v75, v45, 16, 1
	v_and_b32_e32 v49, 0xffff0000, v49
	v_cndmask_b32_e32 v50, v76, v105, vcc_lo
	v_cmp_u_f32_e32 vcc_lo, v51, v51
	v_add3_u32 v0, v0, v52, 0x7fff
	v_or_b32_e32 v76, 0x400000, v52
	v_add3_u32 v75, v75, v45, 0x7fff
	v_bfe_u32 v105, v46, 16, 1
	v_cndmask_b32_e32 v51, v104, v106, vcc_lo
	v_cmp_u_f32_e32 vcc_lo, v52, v52
	v_or_b32_e32 v104, 0x400000, v45
	v_cndmask_b32_e32 v52, v0, v76, vcc_lo
	v_cmp_u_f32_e32 vcc_lo, v45, v45
	v_add3_u32 v45, v105, v46, 0x7fff
	v_or_b32_e32 v76, 0x400000, v46
	v_and_b32_e32 v0, 0xffff0000, v50
	s_waitcnt vmcnt(1)
	v_and_b32_e32 v50, 0xffff0000, v69
	v_cndmask_b32_e32 v75, v75, v104, vcc_lo
	v_bfe_u32 v104, v47, 16, 1
	v_cmp_u_f32_e32 vcc_lo, v46, v46
	v_mul_f32_e32 v105, v0, v50
	v_lshlrev_b32_e32 v50, 16, v69
	v_cndmask_b32_e32 v46, v45, v76, vcc_lo
	v_add3_u32 v45, v104, v47, 0x7fff
	v_or_b32_e32 v76, 0x400000, v47
	v_bfe_u32 v104, v48, 16, 1
	v_cmp_u_f32_e32 vcc_lo, v47, v47
	v_mul_f32_e32 v106, v49, v50
	v_and_b32_e32 v50, 0xffff0000, v70
	v_and_b32_e32 v46, 0xffff0000, v46
	v_add3_u32 v47, v104, v48, 0x7fff
	v_cndmask_b32_e32 v69, v45, v76, vcc_lo
	v_or_b32_e32 v76, 0x400000, v48
	v_bfe_u32 v104, v105, 16, 1
	v_and_b32_e32 v45, 0xffff0000, v52
	v_cmp_u_f32_e32 vcc_lo, v48, v48
	v_or_b32_e32 v52, 0x400000, v105
	v_add3_u32 v48, v104, v105, 0x7fff
	v_mul_f32_e32 v104, v45, v50
	v_cndmask_b32_e32 v47, v47, v76, vcc_lo
	v_bfe_u32 v76, v106, 16, 1
	v_and_b32_e32 v50, 0xffff0000, v51
	v_lshlrev_b32_e32 v51, 16, v70
	v_cmp_u_f32_e32 vcc_lo, v105, v105
	v_or_b32_e32 v70, 0x400000, v106
	v_and_b32_e32 v47, 0xffff0000, v47
	v_mul_f32_e32 v105, v50, v51
	v_cndmask_b32_e32 v52, v48, v52, vcc_lo
	v_add3_u32 v48, v76, v106, 0x7fff
	v_bfe_u32 v76, v104, 16, 1
	v_and_b32_e32 v51, 0xffff0000, v71
	v_cmp_u_f32_e32 vcc_lo, v106, v106
	v_bfe_u32 v106, v105, 16, 1
	v_lshlrev_b32_e32 v71, 16, v71
	v_and_b32_e32 v52, 0xffff0000, v52
	v_mul_f32_e32 v107, v46, v51
	v_cndmask_b32_e32 v70, v48, v70, vcc_lo
	v_add3_u32 v48, v76, v104, 0x7fff
	v_or_b32_e32 v76, 0x400000, v104
	v_and_b32_e32 v51, 0xffff0000, v75
	v_cmp_u_f32_e32 vcc_lo, v104, v104
	v_bfe_u32 v104, v107, 16, 1
	v_and_b32_e32 v70, 0xffff0000, v70
	v_mul_f32_e32 v71, v51, v71
	v_cndmask_b32_e32 v75, v48, v76, vcc_lo
	v_add3_u32 v48, v106, v105, 0x7fff
	v_or_b32_e32 v76, 0x400000, v105
	v_cmp_u_f32_e32 vcc_lo, v105, v105
	v_and_b32_e32 v106, 0xffff0000, v72
	v_add3_u32 v104, v104, v107, 0x7fff
	v_bfe_u32 v105, v71, 16, 1
	v_or_b32_e32 v108, 0x400000, v71
	v_cndmask_b32_e32 v76, v48, v76, vcc_lo
	v_and_b32_e32 v48, 0xffff0000, v69
	v_lshlrev_b32_e32 v69, 16, v72
	v_or_b32_e32 v72, 0x400000, v107
	v_cmp_u_f32_e32 vcc_lo, v107, v107
	v_add3_u32 v105, v105, v71, 0x7fff
	v_mul_f32_e32 v106, v47, v106
	v_mul_f32_e32 v69, v48, v69
	v_and_b32_e32 v76, 0xffff0000, v76
	v_cndmask_b32_e32 v72, v104, v72, vcc_lo
	v_cmp_u_f32_e32 vcc_lo, v71, v71
	v_bfe_u32 v109, v106, 16, 1
	v_and_b32_e32 v75, 0xffff0000, v75
	v_or_b32_e32 v107, 0x400000, v106
	v_add_f32_e32 v52, v70, v52
	v_cndmask_b32_e32 v71, v105, v108, vcc_lo
	v_bfe_u32 v105, v69, 16, 1
	v_or_b32_e32 v108, 0x400000, v69
	v_cmp_u_f32_e32 vcc_lo, v69, v69
	v_add3_u32 v104, v109, v106, 0x7fff
	v_add_f32_e32 v70, v76, v75
	v_add3_u32 v105, v105, v69, 0x7fff
	v_and_b32_e32 v71, 0xffff0000, v71
	v_and_b32_e32 v72, 0xffff0000, v72
	v_add_f32_e32 v52, v70, v52
	v_cndmask_b32_e32 v69, v105, v108, vcc_lo
	v_cmp_u_f32_e32 vcc_lo, v106, v106
	v_add_f32_e32 v70, v71, v72
	v_and_b32_e32 v71, 0xffff0000, v65
	v_lshlrev_b32_e32 v65, 16, v65
	v_and_b32_e32 v69, 0xffff0000, v69
	v_cndmask_b32_e32 v75, v104, v107, vcc_lo
	v_add_f32_e32 v52, v70, v52
	v_mul_f32_e32 v71, v0, v71
	v_mul_f32_e32 v65, v49, v65
	v_and_b32_e32 v70, 0xffff0000, v66
	v_and_b32_e32 v72, 0xffff0000, v75
	v_lshlrev_b32_e32 v66, 16, v66
	v_cmp_u_f32_e32 vcc_lo, v71, v71
	v_bfe_u32 v75, v65, 16, 1
	v_or_b32_e32 v76, 0x400000, v65
	v_add_f32_e32 v69, v69, v72
	v_bfe_u32 v72, v71, 16, 1
	v_mul_f32_e32 v66, v50, v66
	v_add3_u32 v75, v75, v65, 0x7fff
	v_add_f32_e32 v52, v69, v52
	v_mul_f32_e32 v69, v45, v70
	v_add3_u32 v70, v72, v71, 0x7fff
	v_or_b32_e32 v72, 0x400000, v71
	v_add_f32_e32 v82, v82, v52
	v_bfe_u32 v104, v69, 16, 1
	v_cndmask_b32_e32 v70, v70, v72, vcc_lo
	v_cmp_u_f32_e32 vcc_lo, v65, v65
	v_or_b32_e32 v72, 0x400000, v69
	v_add3_u32 v71, v104, v69, 0x7fff
	v_and_b32_e32 v70, 0xffff0000, v70
	v_cndmask_b32_e32 v65, v75, v76, vcc_lo
	v_and_b32_e32 v75, 0xffff0000, v67
	v_cmp_u_f32_e32 vcc_lo, v69, v69
	v_lshlrev_b32_e32 v67, 16, v67
	v_bfe_u32 v76, v66, 16, 1
	v_and_b32_e32 v65, 0xffff0000, v65
	v_cndmask_b32_e32 v69, v71, v72, vcc_lo
	v_mul_f32_e32 v71, v46, v75
	v_mul_f32_e32 v67, v51, v67
	v_add3_u32 v72, v76, v66, 0x7fff
	v_or_b32_e32 v75, 0x400000, v66
	v_and_b32_e32 v76, 0xffff0000, v68
	v_bfe_u32 v104, v71, 16, 1
	v_cmp_u_f32_e32 vcc_lo, v66, v66
	v_bfe_u32 v105, v67, 16, 1
	v_lshlrev_b32_e32 v68, 16, v68
	v_and_b32_e32 v69, 0xffff0000, v69
	v_add_f32_e32 v65, v65, v70
	v_cndmask_b32_e32 v66, v72, v75, vcc_lo
	v_mul_f32_e32 v72, v47, v76
	v_add3_u32 v75, v104, v71, 0x7fff
	v_or_b32_e32 v76, 0x400000, v71
	v_cmp_u_f32_e32 vcc_lo, v71, v71
	v_add3_u32 v104, v105, v67, 0x7fff
	v_or_b32_e32 v105, 0x400000, v67
	v_bfe_u32 v106, v72, 16, 1
	v_and_b32_e32 v66, 0xffff0000, v66
	v_cndmask_b32_e32 v71, v75, v76, vcc_lo
	v_cmp_u_f32_e32 vcc_lo, v67, v67
	v_or_b32_e32 v76, 0x400000, v72
	v_add3_u32 v75, v106, v72, 0x7fff
	v_mul_f32_e32 v68, v48, v68
	v_add_f32_e32 v66, v66, v69
	v_cndmask_b32_e32 v67, v104, v105, vcc_lo
	v_cmp_u_f32_e32 vcc_lo, v72, v72
	v_and_b32_e32 v69, 0xffff0000, v61
	v_and_b32_e32 v70, 0xffff0000, v71
	v_add_f32_e32 v65, v66, v65
	v_and_b32_e32 v67, 0xffff0000, v67
	v_cndmask_b32_e32 v72, v75, v76, vcc_lo
	v_bfe_u32 v75, v68, 16, 1
	v_mul_f32_e32 v66, v0, v69
	v_lshlrev_b32_e32 v61, 16, v61
	v_add_f32_e32 v67, v67, v70
	v_cmp_u_f32_e32 vcc_lo, v68, v68
	v_add3_u32 v71, v75, v68, 0x7fff
	v_or_b32_e32 v75, 0x400000, v68
	v_bfe_u32 v69, v66, 16, 1
	v_add_f32_e32 v65, v67, v65
	v_mul_f32_e32 v61, v49, v61
	v_and_b32_e32 v67, 0xffff0000, v62
	v_cndmask_b32_e32 v68, v71, v75, vcc_lo
	v_add3_u32 v69, v69, v66, 0x7fff
	v_or_b32_e32 v70, 0x400000, v66
	v_bfe_u32 v71, v61, 16, 1
	v_mul_f32_e32 v67, v45, v67
	v_lshlrev_b32_e32 v62, 16, v62
	v_cmp_u_f32_e32 vcc_lo, v66, v66
	v_and_b32_e32 v75, 0xffff0000, v63
	v_lshlrev_b32_e32 v63, 16, v63
	v_and_b32_e32 v76, 0xffff0000, v64
	v_mul_f32_e32 v62, v50, v62
	v_cndmask_b32_e32 v66, v69, v70, vcc_lo
	v_add3_u32 v69, v71, v61, 0x7fff
	v_or_b32_e32 v70, 0x400000, v61
	v_bfe_u32 v71, v67, 16, 1
	v_cmp_u_f32_e32 vcc_lo, v61, v61
	v_mul_f32_e32 v75, v46, v75
	v_mul_f32_e32 v63, v51, v63
	v_lshlrev_b32_e32 v64, 16, v64
	v_and_b32_e32 v66, 0xffff0000, v66
	v_cndmask_b32_e32 v61, v69, v70, vcc_lo
	v_add3_u32 v69, v71, v67, 0x7fff
	v_or_b32_e32 v70, 0x400000, v67
	v_bfe_u32 v71, v62, 16, 1
	v_cmp_u_f32_e32 vcc_lo, v67, v67
	v_mul_f32_e32 v64, v48, v64
	v_or_b32_e32 v104, 0x400000, v63
	v_and_b32_e32 v61, 0xffff0000, v61
	v_and_b32_e32 v68, 0xffff0000, v68
	v_cndmask_b32_e32 v67, v69, v70, vcc_lo
	v_add3_u32 v69, v71, v62, 0x7fff
	v_or_b32_e32 v70, 0x400000, v62
	v_bfe_u32 v71, v75, 16, 1
	v_cmp_u_f32_e32 vcc_lo, v62, v62
	v_bfe_u32 v106, v64, 16, 1
	v_and_b32_e32 v67, 0xffff0000, v67
	v_add_f32_e32 v61, v61, v66
	v_cndmask_b32_e32 v62, v69, v70, vcc_lo
	v_bfe_u32 v69, v63, 16, 1
	v_add3_u32 v70, v71, v75, 0x7fff
	v_mul_f32_e32 v71, v47, v76
	v_or_b32_e32 v76, 0x400000, v75
	v_cmp_u_f32_e32 vcc_lo, v75, v75
	v_add3_u32 v69, v69, v63, 0x7fff
	v_add3_u32 v75, v106, v64, 0x7fff
	v_bfe_u32 v105, v71, 16, 1
	v_and_b32_e32 v62, 0xffff0000, v62
	v_cndmask_b32_e32 v70, v70, v76, vcc_lo
	v_cmp_u_f32_e32 vcc_lo, v63, v63
	v_or_b32_e32 v76, 0x400000, v64
	v_add_f32_e32 v62, v62, v67
	v_and_b32_e32 v66, 0xffff0000, v70
	v_cndmask_b32_e32 v63, v69, v104, vcc_lo
	v_cmp_u_f32_e32 vcc_lo, v64, v64
	v_add3_u32 v69, v105, v71, 0x7fff
	v_or_b32_e32 v104, 0x400000, v71
	v_add_f32_e32 v61, v62, v61
	v_and_b32_e32 v63, 0xffff0000, v63
	v_cndmask_b32_e32 v64, v75, v76, vcc_lo
	v_cmp_u_f32_e32 vcc_lo, v71, v71
	v_add_f32_e32 v62, v63, v66
	v_and_b32_e32 v63, 0xffff0000, v64
	v_cndmask_b32_e32 v67, v69, v104, vcc_lo
	v_and_b32_e32 v69, 0xffff0000, v72
	v_and_b32_e32 v66, 0xffff0000, v57
	v_lshlrev_b32_e32 v57, 16, v57
	v_add_f32_e32 v61, v62, v61
	v_and_b32_e32 v64, 0xffff0000, v67
	v_add_f32_e32 v67, v68, v69
	v_mul_f32_e32 v57, v49, v57
	v_add_f32_e32 v62, v63, v64
	v_mul_f32_e32 v63, v0, v66
	v_add_f32_e32 v64, v67, v65
	v_or_b32_e32 v65, 0x400000, v57
	v_and_b32_e32 v66, 0xffff0000, v60
	v_add_f32_e32 v52, v62, v61
	v_bfe_u32 v61, v63, 16, 1
	v_add_f32_e32 v83, v83, v64
	v_bfe_u32 v62, v57, 16, 1
	v_and_b32_e32 v64, 0xffff0000, v58
	v_add_f32_e32 v84, v84, v52
	v_add3_u32 v52, v61, v63, 0x7fff
	v_or_b32_e32 v61, 0x400000, v63
	v_cmp_u_f32_e32 vcc_lo, v63, v63
	v_add3_u32 v62, v62, v57, 0x7fff
	v_mul_f32_e32 v64, v45, v64
	v_lshlrev_b32_e32 v58, 16, v58
	v_lshlrev_b32_e32 v60, 16, v60
	v_cndmask_b32_e32 v52, v52, v61, vcc_lo
	v_cmp_u_f32_e32 vcc_lo, v57, v57
	v_bfe_u32 v61, v64, 16, 1
	v_mul_f32_e32 v58, v50, v58
	v_or_b32_e32 v63, 0x400000, v64
	v_mul_f32_e32 v60, v48, v60
	v_cndmask_b32_e32 v57, v62, v65, vcc_lo
	v_and_b32_e32 v62, 0xffff0000, v59
	v_add3_u32 v61, v61, v64, 0x7fff
	v_lshlrev_b32_e32 v59, 16, v59
	v_bfe_u32 v65, v58, 16, 1
	v_cmp_u_f32_e32 vcc_lo, v64, v64
	v_mul_f32_e32 v62, v46, v62
	v_or_b32_e32 v64, 0x400000, v58
	v_mul_f32_e32 v59, v51, v59
	v_and_b32_e32 v57, 0xffff0000, v57
	v_cndmask_b32_e32 v61, v61, v63, vcc_lo
	v_add3_u32 v63, v65, v58, 0x7fff
	v_bfe_u32 v65, v62, 16, 1
	v_cmp_u_f32_e32 vcc_lo, v58, v58
	v_bfe_u32 v67, v59, 16, 1
	v_and_b32_e32 v52, 0xffff0000, v52
	v_and_b32_e32 v61, 0xffff0000, v61
	v_cndmask_b32_e32 v58, v63, v64, vcc_lo
	v_add3_u32 v63, v65, v62, 0x7fff
	v_mul_f32_e32 v64, v47, v66
	v_or_b32_e32 v65, 0x400000, v62
	v_cmp_u_f32_e32 vcc_lo, v62, v62
	v_add3_u32 v66, v67, v59, 0x7fff
	v_or_b32_e32 v67, 0x400000, v59
	v_bfe_u32 v68, v64, 16, 1
	v_and_b32_e32 v58, 0xffff0000, v58
	v_cndmask_b32_e32 v62, v63, v65, vcc_lo
	v_cmp_u_f32_e32 vcc_lo, v59, v59
	v_or_b32_e32 v65, 0x400000, v64
	v_add3_u32 v63, v68, v64, 0x7fff
	v_add_f32_e32 v52, v57, v52
	v_add_f32_e32 v57, v58, v61
	v_cndmask_b32_e32 v59, v66, v67, vcc_lo
	v_bfe_u32 v66, v60, 16, 1
	v_cmp_u_f32_e32 vcc_lo, v64, v64
	v_and_b32_e32 v61, 0xffff0000, v62
	v_add_f32_e32 v52, v57, v52
	v_and_b32_e32 v58, 0xffff0000, v59
	v_add3_u32 v64, v66, v60, 0x7fff
	v_cndmask_b32_e32 v63, v63, v65, vcc_lo
	v_or_b32_e32 v65, 0x400000, v60
	v_and_b32_e32 v59, 0xffff0000, v53
	v_cmp_u_f32_e32 vcc_lo, v60, v60
	v_add_f32_e32 v58, v58, v61
	v_lshlrev_b32_e32 v53, 16, v53
	v_mul_f32_e32 v57, v0, v59
	v_cndmask_b32_e32 v60, v64, v65, vcc_lo
	v_add_f32_e32 v52, v58, v52
	v_mul_f32_e32 v53, v49, v53
	v_and_b32_e32 v58, 0xffff0000, v54
	v_bfe_u32 v61, v57, 16, 1
	v_and_b32_e32 v59, 0xffff0000, v60
	v_and_b32_e32 v60, 0xffff0000, v63
	v_bfe_u32 v62, v53, 16, 1
	v_mul_f32_e32 v58, v45, v58
	v_lshlrev_b32_e32 v54, 16, v54
	v_cmp_u_f32_e32 vcc_lo, v57, v57
	v_add_f32_e32 v59, v59, v60
	v_add3_u32 v60, v61, v57, 0x7fff
	v_or_b32_e32 v61, 0x400000, v57
	v_mul_f32_e32 v54, v50, v54
	v_and_b32_e32 v63, 0xffff0000, v55
	v_lshlrev_b32_e32 v55, 16, v55
	v_and_b32_e32 v64, 0xffff0000, v56
	v_cndmask_b32_e32 v57, v60, v61, vcc_lo
	v_add3_u32 v60, v62, v53, 0x7fff
	v_or_b32_e32 v61, 0x400000, v53
	v_bfe_u32 v62, v58, 16, 1
	v_cmp_u_f32_e32 vcc_lo, v53, v53
	v_mul_f32_e32 v63, v46, v63
	v_mul_f32_e32 v55, v51, v55
	v_lshlrev_b32_e32 v56, 16, v56
	v_and_b32_e32 v57, 0xffff0000, v57
	v_cndmask_b32_e32 v53, v60, v61, vcc_lo
	v_add3_u32 v60, v62, v58, 0x7fff
	v_or_b32_e32 v61, 0x400000, v58
	v_bfe_u32 v62, v54, 16, 1
	v_cmp_u_f32_e32 vcc_lo, v58, v58
	v_mul_f32_e32 v56, v48, v56
	v_or_b32_e32 v65, 0x400000, v55
	v_and_b32_e32 v53, 0xffff0000, v53
	v_add_f32_e32 v52, v59, v52
	v_cndmask_b32_e32 v58, v60, v61, vcc_lo
	v_add3_u32 v60, v62, v54, 0x7fff
	v_or_b32_e32 v61, 0x400000, v54
	v_bfe_u32 v62, v63, 16, 1
	v_cmp_u_f32_e32 vcc_lo, v54, v54
	v_and_b32_e32 v58, 0xffff0000, v58
	v_add_f32_e32 v53, v53, v57
	v_add_f32_e32 v85, v85, v52
	v_cndmask_b32_e32 v54, v60, v61, vcc_lo
	v_bfe_u32 v60, v55, 16, 1
	v_add3_u32 v61, v62, v63, 0x7fff
	v_mul_f32_e32 v62, v47, v64
	v_or_b32_e32 v64, 0x400000, v63
	v_cmp_u_f32_e32 vcc_lo, v63, v63
	v_add3_u32 v60, v60, v55, 0x7fff
	v_bfe_u32 v63, v56, 16, 1
	v_bfe_u32 v66, v62, 16, 1
	v_and_b32_e32 v54, 0xffff0000, v54
	v_cndmask_b32_e32 v61, v61, v64, vcc_lo
	v_cmp_u_f32_e32 vcc_lo, v55, v55
	v_add3_u32 v63, v63, v56, 0x7fff
	v_or_b32_e32 v64, 0x400000, v62
	v_add_f32_e32 v54, v54, v58
	v_and_b32_e32 v57, 0xffff0000, v61
	v_cndmask_b32_e32 v55, v60, v65, vcc_lo
	v_or_b32_e32 v65, 0x400000, v56
	v_cmp_u_f32_e32 vcc_lo, v56, v56
	v_add3_u32 v60, v66, v62, 0x7fff
	v_add_f32_e32 v53, v54, v53
	v_and_b32_e32 v55, 0xffff0000, v55
	v_cndmask_b32_e32 v56, v63, v65, vcc_lo
	v_cmp_u_f32_e32 vcc_lo, v62, v62
	v_add_f32_e32 v54, v55, v57
	v_and_b32_e32 v55, 0xffff0000, v41
	v_and_b32_e32 v56, 0xffff0000, v56
	v_cndmask_b32_e32 v58, v60, v64, vcc_lo
	v_lshlrev_b32_e32 v41, 16, v41
	v_add_f32_e32 v53, v54, v53
	v_mul_f32_e32 v55, v0, v55
	v_and_b32_e32 v57, 0xffff0000, v58
	v_mul_f32_e32 v41, v49, v41
	v_cmp_u_f32_e32 vcc_lo, v55, v55
	v_add_f32_e32 v54, v56, v57
	v_and_b32_e32 v56, 0xffff0000, v42
	v_bfe_u32 v57, v55, 16, 1
	v_bfe_u32 v52, v41, 16, 1
	v_lshlrev_b32_e32 v42, 16, v42
	v_add_f32_e32 v53, v54, v53
	v_mul_f32_e32 v54, v45, v56
	v_add3_u32 v56, v57, v55, 0x7fff
	v_or_b32_e32 v57, 0x400000, v55
	v_add3_u32 v52, v52, v41, 0x7fff
	v_or_b32_e32 v58, 0x400000, v41
	v_bfe_u32 v59, v54, 16, 1
	v_mul_f32_e32 v42, v50, v42
	v_cndmask_b32_e32 v55, v56, v57, vcc_lo
	v_cmp_u_f32_e32 vcc_lo, v41, v41
	v_and_b32_e32 v57, 0xffff0000, v43
	v_or_b32_e32 v56, 0x400000, v54
	v_lshlrev_b32_e32 v43, 16, v43
	v_and_b32_e32 v55, 0xffff0000, v55
	v_cndmask_b32_e32 v41, v52, v58, vcc_lo
	v_add3_u32 v52, v59, v54, 0x7fff
	v_bfe_u32 v58, v42, 16, 1
	v_cmp_u_f32_e32 vcc_lo, v54, v54
	v_mul_f32_e32 v54, v46, v57
	v_mul_f32_e32 v43, v51, v43
	v_or_b32_e32 v57, 0x400000, v42
	v_and_b32_e32 v41, 0xffff0000, v41
	v_cndmask_b32_e32 v52, v52, v56, vcc_lo
	v_add3_u32 v56, v58, v42, 0x7fff
	v_and_b32_e32 v58, 0xffff0000, v44
	v_bfe_u32 v59, v54, 16, 1
	v_cmp_u_f32_e32 vcc_lo, v42, v42
	v_bfe_u32 v60, v43, 16, 1
	v_lshlrev_b32_e32 v44, 16, v44
	v_and_b32_e32 v52, 0xffff0000, v52
	v_add_f32_e32 v41, v41, v55
	v_cndmask_b32_e32 v42, v56, v57, vcc_lo
	v_mul_f32_e32 v56, v47, v58
	v_add3_u32 v57, v59, v54, 0x7fff
	v_or_b32_e32 v58, 0x400000, v54
	v_cmp_u_f32_e32 vcc_lo, v54, v54
	v_add3_u32 v59, v60, v43, 0x7fff
	v_or_b32_e32 v60, 0x400000, v43
	v_bfe_u32 v61, v56, 16, 1
	v_and_b32_e32 v42, 0xffff0000, v42
	v_cndmask_b32_e32 v54, v57, v58, vcc_lo
	v_cmp_u_f32_e32 vcc_lo, v43, v43
	v_or_b32_e32 v58, 0x400000, v56
	v_add3_u32 v57, v61, v56, 0x7fff
	v_mul_f32_e32 v44, v48, v44
	v_add_f32_e32 v42, v42, v52
	v_cndmask_b32_e32 v43, v59, v60, vcc_lo
	v_cmp_u_f32_e32 vcc_lo, v56, v56
	v_and_b32_e32 v52, 0xffff0000, v37
	v_and_b32_e32 v54, 0xffff0000, v54
	v_add_f32_e32 v41, v42, v41
	v_and_b32_e32 v43, 0xffff0000, v43
	v_cndmask_b32_e32 v56, v57, v58, vcc_lo
	v_bfe_u32 v57, v44, 16, 1
	v_mul_f32_e32 v42, v0, v52
	v_lshlrev_b32_e32 v37, 16, v37
	v_add_f32_e32 v43, v43, v54
	v_cmp_u_f32_e32 vcc_lo, v44, v44
	v_add3_u32 v55, v57, v44, 0x7fff
	v_or_b32_e32 v57, 0x400000, v44
	v_bfe_u32 v52, v42, 16, 1
	v_add_f32_e32 v41, v43, v41
	v_mul_f32_e32 v37, v49, v37
	v_and_b32_e32 v43, 0xffff0000, v38
	v_cndmask_b32_e32 v44, v55, v57, vcc_lo
	v_add3_u32 v52, v52, v42, 0x7fff
	v_or_b32_e32 v54, 0x400000, v42
	v_bfe_u32 v55, v37, 16, 1
	v_mul_f32_e32 v43, v45, v43
	v_lshlrev_b32_e32 v38, 16, v38
	v_cmp_u_f32_e32 vcc_lo, v42, v42
	v_and_b32_e32 v57, 0xffff0000, v39
	v_lshlrev_b32_e32 v39, 16, v39
	v_and_b32_e32 v58, 0xffff0000, v40
	v_mul_f32_e32 v38, v50, v38
	v_cndmask_b32_e32 v42, v52, v54, vcc_lo
	v_add3_u32 v52, v55, v37, 0x7fff
	v_or_b32_e32 v54, 0x400000, v37
	v_bfe_u32 v55, v43, 16, 1
	v_cmp_u_f32_e32 vcc_lo, v37, v37
	v_mul_f32_e32 v57, v46, v57
	v_mul_f32_e32 v39, v51, v39
	v_lshlrev_b32_e32 v40, 16, v40
	v_and_b32_e32 v42, 0xffff0000, v42
	v_cndmask_b32_e32 v37, v52, v54, vcc_lo
	v_add3_u32 v52, v55, v43, 0x7fff
	v_or_b32_e32 v54, 0x400000, v43
	v_bfe_u32 v55, v38, 16, 1
	v_cmp_u_f32_e32 vcc_lo, v43, v43
	v_mul_f32_e32 v40, v48, v40
	v_or_b32_e32 v59, 0x400000, v39
	v_and_b32_e32 v37, 0xffff0000, v37
	v_and_b32_e32 v44, 0xffff0000, v44
	v_cndmask_b32_e32 v43, v52, v54, vcc_lo
	v_add3_u32 v52, v55, v38, 0x7fff
	v_or_b32_e32 v54, 0x400000, v38
	v_bfe_u32 v55, v57, 16, 1
	v_cmp_u_f32_e32 vcc_lo, v38, v38
	v_bfe_u32 v61, v40, 16, 1
	v_and_b32_e32 v43, 0xffff0000, v43
	v_add_f32_e32 v37, v37, v42
	v_add_f32_e32 v86, v86, v53
	v_cndmask_b32_e32 v38, v52, v54, vcc_lo
	v_bfe_u32 v52, v39, 16, 1
	v_add3_u32 v54, v55, v57, 0x7fff
	v_mul_f32_e32 v55, v47, v58
	v_or_b32_e32 v58, 0x400000, v57
	v_cmp_u_f32_e32 vcc_lo, v57, v57
	v_add3_u32 v52, v52, v39, 0x7fff
	v_add3_u32 v57, v61, v40, 0x7fff
	v_bfe_u32 v60, v55, 16, 1
	v_and_b32_e32 v38, 0xffff0000, v38
	v_cndmask_b32_e32 v54, v54, v58, vcc_lo
	v_cmp_u_f32_e32 vcc_lo, v39, v39
	v_or_b32_e32 v58, 0x400000, v40
	v_add_f32_e32 v38, v38, v43
	v_and_b32_e32 v42, 0xffff0000, v54
	v_cndmask_b32_e32 v39, v52, v59, vcc_lo
	v_cmp_u_f32_e32 vcc_lo, v40, v40
	v_add3_u32 v52, v60, v55, 0x7fff
	v_or_b32_e32 v59, 0x400000, v55
	v_add_f32_e32 v37, v38, v37
	v_and_b32_e32 v39, 0xffff0000, v39
	v_cndmask_b32_e32 v40, v57, v58, vcc_lo
	v_cmp_u_f32_e32 vcc_lo, v55, v55
	v_add_f32_e32 v38, v39, v42
	v_and_b32_e32 v39, 0xffff0000, v40
	v_cndmask_b32_e32 v43, v52, v59, vcc_lo
	v_and_b32_e32 v52, 0xffff0000, v56
	v_and_b32_e32 v42, 0xffff0000, v33
	v_lshlrev_b32_e32 v33, 16, v33
	v_add_f32_e32 v37, v38, v37
	v_and_b32_e32 v40, 0xffff0000, v43
	v_add_f32_e32 v43, v44, v52
	v_mul_f32_e32 v33, v49, v33
	v_add_f32_e32 v38, v39, v40
	v_mul_f32_e32 v39, v0, v42
	v_add_f32_e32 v40, v43, v41
	v_and_b32_e32 v41, 0xffff0000, v34
	v_lshlrev_b32_e32 v34, 16, v34
	v_add_f32_e32 v37, v38, v37
	v_bfe_u32 v38, v39, 16, 1
	v_add_f32_e32 v87, v87, v40
	v_bfe_u32 v40, v33, 16, 1
	v_mul_f32_e32 v41, v45, v41
	v_add_f32_e32 v88, v88, v37
	v_add3_u32 v37, v38, v39, 0x7fff
	v_or_b32_e32 v38, 0x400000, v39
	v_cmp_u_f32_e32 vcc_lo, v39, v39
	v_add3_u32 v40, v40, v33, 0x7fff
	v_or_b32_e32 v42, 0x400000, v33
	v_mul_f32_e32 v34, v50, v34
	v_and_b32_e32 v39, 0xffff0000, v35
	v_cndmask_b32_e32 v37, v37, v38, vcc_lo
	v_bfe_u32 v38, v41, 16, 1
	v_cmp_u_f32_e32 vcc_lo, v33, v33
	v_lshlrev_b32_e32 v35, 16, v35
	v_mul_f32_e32 v39, v46, v39
	v_and_b32_e32 v43, 0xffff0000, v36
	v_add3_u32 v38, v38, v41, 0x7fff
	v_cndmask_b32_e32 v33, v40, v42, vcc_lo
	v_or_b32_e32 v40, 0x400000, v41
	v_bfe_u32 v42, v34, 16, 1
	v_cmp_u_f32_e32 vcc_lo, v41, v41
	v_mul_f32_e32 v35, v51, v35
	v_or_b32_e32 v41, 0x400000, v34
	v_lshlrev_b32_e32 v36, 16, v36
	v_and_b32_e32 v33, 0xffff0000, v33
	v_cndmask_b32_e32 v38, v38, v40, vcc_lo
	v_add3_u32 v40, v42, v34, 0x7fff
	v_bfe_u32 v42, v39, 16, 1
	v_cmp_u_f32_e32 vcc_lo, v34, v34
	v_bfe_u32 v44, v35, 16, 1
	v_mul_f32_e32 v36, v48, v36
	v_and_b32_e32 v37, 0xffff0000, v37
	v_and_b32_e32 v38, 0xffff0000, v38
	v_cndmask_b32_e32 v34, v40, v41, vcc_lo
	v_add3_u32 v40, v42, v39, 0x7fff
	v_mul_f32_e32 v41, v47, v43
	v_or_b32_e32 v42, 0x400000, v39
	v_cmp_u_f32_e32 vcc_lo, v39, v39
	v_add3_u32 v43, v44, v35, 0x7fff
	v_or_b32_e32 v44, 0x400000, v35
	v_bfe_u32 v52, v41, 16, 1
	v_and_b32_e32 v34, 0xffff0000, v34
	v_cndmask_b32_e32 v39, v40, v42, vcc_lo
	v_cmp_u_f32_e32 vcc_lo, v35, v35
	v_or_b32_e32 v42, 0x400000, v41
	v_add3_u32 v40, v52, v41, 0x7fff
	v_add_f32_e32 v33, v33, v37
	v_add_f32_e32 v34, v34, v38
	v_cndmask_b32_e32 v35, v43, v44, vcc_lo
	v_bfe_u32 v43, v36, 16, 1
	v_cmp_u_f32_e32 vcc_lo, v41, v41
	v_and_b32_e32 v37, 0xffff0000, v29
	v_and_b32_e32 v38, 0xffff0000, v39
	v_and_b32_e32 v35, 0xffff0000, v35
	v_add3_u32 v41, v43, v36, 0x7fff
	v_cndmask_b32_e32 v40, v40, v42, vcc_lo
	v_or_b32_e32 v42, 0x400000, v36
	v_cmp_u_f32_e32 vcc_lo, v36, v36
	v_add_f32_e32 v33, v34, v33
	v_mul_f32_e32 v34, v0, v37
	v_add_f32_e32 v35, v35, v38
	v_lshlrev_b32_e32 v29, 16, v29
	v_cndmask_b32_e32 v36, v41, v42, vcc_lo
	v_and_b32_e32 v37, 0xffff0000, v40
	v_bfe_u32 v38, v34, 16, 1
	v_add_f32_e32 v33, v35, v33
	v_mul_f32_e32 v29, v49, v29
	v_and_b32_e32 v36, 0xffff0000, v36
	v_and_b32_e32 v35, 0xffff0000, v30
	v_lshlrev_b32_e32 v30, 16, v30
	v_cmp_u_f32_e32 vcc_lo, v34, v34
	v_bfe_u32 v39, v29, 16, 1
	v_add_f32_e32 v36, v36, v37
	v_add3_u32 v37, v38, v34, 0x7fff
	v_or_b32_e32 v38, 0x400000, v34
	v_mul_f32_e32 v35, v45, v35
	v_mul_f32_e32 v30, v50, v30
	v_and_b32_e32 v40, 0xffff0000, v31
	v_lshlrev_b32_e32 v31, 16, v31
	v_cndmask_b32_e32 v34, v37, v38, vcc_lo
	v_add3_u32 v37, v39, v29, 0x7fff
	v_or_b32_e32 v38, 0x400000, v29
	v_bfe_u32 v39, v35, 16, 1
	v_cmp_u_f32_e32 vcc_lo, v29, v29
	v_mul_f32_e32 v40, v46, v40
	v_mul_f32_e32 v31, v51, v31
	v_and_b32_e32 v41, 0xffff0000, v32
	v_lshlrev_b32_e32 v32, 16, v32
	v_cndmask_b32_e32 v29, v37, v38, vcc_lo
	v_add3_u32 v37, v39, v35, 0x7fff
	v_or_b32_e32 v38, 0x400000, v35
	v_bfe_u32 v39, v30, 16, 1
	v_cmp_u_f32_e32 vcc_lo, v35, v35
	v_mul_f32_e32 v32, v48, v32
	v_or_b32_e32 v42, 0x400000, v31
	v_and_b32_e32 v29, 0xffff0000, v29
	v_and_b32_e32 v34, 0xffff0000, v34
	v_cndmask_b32_e32 v35, v37, v38, vcc_lo
	v_add3_u32 v37, v39, v30, 0x7fff
	v_or_b32_e32 v38, 0x400000, v30
	v_bfe_u32 v39, v40, 16, 1
	v_cmp_u_f32_e32 vcc_lo, v30, v30
	v_and_b32_e32 v35, 0xffff0000, v35
	v_add_f32_e32 v29, v29, v34
	v_add_f32_e32 v33, v36, v33
	v_cndmask_b32_e32 v30, v37, v38, vcc_lo
	v_bfe_u32 v37, v31, 16, 1
	v_add3_u32 v38, v39, v40, 0x7fff
	v_mul_f32_e32 v39, v47, v41
	v_or_b32_e32 v41, 0x400000, v40
	v_cmp_u_f32_e32 vcc_lo, v40, v40
	v_add3_u32 v37, v37, v31, 0x7fff
	v_bfe_u32 v40, v32, 16, 1
	v_bfe_u32 v43, v39, 16, 1
	v_and_b32_e32 v30, 0xffff0000, v30
	v_cndmask_b32_e32 v38, v38, v41, vcc_lo
	v_cmp_u_f32_e32 vcc_lo, v31, v31
	v_add3_u32 v40, v40, v32, 0x7fff
	v_or_b32_e32 v41, 0x400000, v39
	v_add_f32_e32 v30, v30, v35
	v_and_b32_e32 v34, 0xffff0000, v38
	v_cndmask_b32_e32 v31, v37, v42, vcc_lo
	v_or_b32_e32 v42, 0x400000, v32
	v_cmp_u_f32_e32 vcc_lo, v32, v32
	v_add3_u32 v37, v43, v39, 0x7fff
	v_add_f32_e32 v29, v30, v29
	v_and_b32_e32 v31, 0xffff0000, v31
	v_add_f32_e32 v89, v89, v33
	v_cndmask_b32_e32 v32, v40, v42, vcc_lo
	v_cmp_u_f32_e32 vcc_lo, v39, v39
	v_add_f32_e32 v30, v31, v34
	v_and_b32_e32 v31, 0xffff0000, v25
	v_and_b32_e32 v32, 0xffff0000, v32
	v_cndmask_b32_e32 v35, v37, v41, vcc_lo
	v_lshlrev_b32_e32 v25, 16, v25
	v_add_f32_e32 v29, v30, v29
	v_mul_f32_e32 v31, v0, v31
	v_and_b32_e32 v34, 0xffff0000, v35
	v_mul_f32_e32 v25, v49, v25
	v_cmp_u_f32_e32 vcc_lo, v31, v31
	v_add_f32_e32 v30, v32, v34
	v_and_b32_e32 v32, 0xffff0000, v26
	v_bfe_u32 v34, v31, 16, 1
	v_bfe_u32 v33, v25, 16, 1
	v_or_b32_e32 v35, 0x400000, v25
	v_add_f32_e32 v29, v30, v29
	v_mul_f32_e32 v30, v45, v32
	v_add3_u32 v32, v34, v31, 0x7fff
	v_or_b32_e32 v34, 0x400000, v31
	v_add3_u32 v33, v33, v25, 0x7fff
	v_lshlrev_b32_e32 v26, 16, v26
	v_bfe_u32 v36, v30, 16, 1
	v_add_f32_e32 v90, v90, v29
	v_cndmask_b32_e32 v31, v32, v34, vcc_lo
	v_cmp_u_f32_e32 vcc_lo, v25, v25
	v_mul_f32_e32 v26, v50, v26
	v_add3_u32 v32, v36, v30, 0x7fff
	v_and_b32_e32 v34, 0xffff0000, v27
	v_lshlrev_b32_e32 v27, 16, v27
	v_cndmask_b32_e32 v25, v33, v35, vcc_lo
	v_or_b32_e32 v33, 0x400000, v30
	v_cmp_u_f32_e32 vcc_lo, v30, v30
	v_bfe_u32 v35, v26, 16, 1
	v_mul_f32_e32 v27, v51, v27
	v_and_b32_e32 v25, 0xffff0000, v25
	v_and_b32_e32 v31, 0xffff0000, v31
	v_cndmask_b32_e32 v30, v32, v33, vcc_lo
	v_mul_f32_e32 v32, v46, v34
	v_add3_u32 v33, v35, v26, 0x7fff
	v_or_b32_e32 v34, 0x400000, v26
	v_and_b32_e32 v35, 0xffff0000, v28
	v_cmp_u_f32_e32 vcc_lo, v26, v26
	v_bfe_u32 v36, v32, 16, 1
	v_bfe_u32 v37, v27, 16, 1
	v_lshlrev_b32_e32 v28, 16, v28
	v_and_b32_e32 v30, 0xffff0000, v30
	v_cndmask_b32_e32 v26, v33, v34, vcc_lo
	v_mul_f32_e32 v33, v47, v35
	v_add3_u32 v34, v36, v32, 0x7fff
	v_or_b32_e32 v35, 0x400000, v32
	v_cmp_u_f32_e32 vcc_lo, v32, v32
	v_add3_u32 v36, v37, v27, 0x7fff
	v_or_b32_e32 v37, 0x400000, v27
	v_bfe_u32 v38, v33, 16, 1
	v_and_b32_e32 v26, 0xffff0000, v26
	v_cndmask_b32_e32 v32, v34, v35, vcc_lo
	v_cmp_u_f32_e32 vcc_lo, v27, v27
	v_or_b32_e32 v35, 0x400000, v33
	v_add3_u32 v34, v38, v33, 0x7fff
	v_mul_f32_e32 v28, v48, v28
	v_add_f32_e32 v25, v25, v31
	v_cndmask_b32_e32 v27, v36, v37, vcc_lo
	v_cmp_u_f32_e32 vcc_lo, v33, v33
	v_add_f32_e32 v26, v26, v30
	v_and_b32_e32 v30, 0xffff0000, v17
	v_and_b32_e32 v31, 0xffff0000, v32
	;; [unrolled: 1-line block ×3, first 2 shown]
	v_cndmask_b32_e32 v33, v34, v35, vcc_lo
	v_bfe_u32 v34, v28, 16, 1
	v_add_f32_e32 v25, v26, v25
	v_mul_f32_e32 v26, v0, v30
	v_add_f32_e32 v27, v27, v31
	v_lshlrev_b32_e32 v17, 16, v17
	v_add3_u32 v32, v34, v28, 0x7fff
	v_or_b32_e32 v34, 0x400000, v28
	v_cmp_u_f32_e32 vcc_lo, v28, v28
	v_bfe_u32 v30, v26, 16, 1
	v_add_f32_e32 v25, v27, v25
	v_mul_f32_e32 v17, v49, v17
	v_and_b32_e32 v27, 0xffff0000, v18
	v_cndmask_b32_e32 v28, v32, v34, vcc_lo
	v_add3_u32 v30, v30, v26, 0x7fff
	v_or_b32_e32 v31, 0x400000, v26
	v_bfe_u32 v32, v17, 16, 1
	v_mul_f32_e32 v27, v45, v27
	v_lshlrev_b32_e32 v18, 16, v18
	v_cmp_u_f32_e32 vcc_lo, v26, v26
	v_and_b32_e32 v34, 0xffff0000, v19
	v_lshlrev_b32_e32 v19, 16, v19
	v_and_b32_e32 v35, 0xffff0000, v20
	v_mul_f32_e32 v18, v50, v18
	v_cndmask_b32_e32 v26, v30, v31, vcc_lo
	v_add3_u32 v30, v32, v17, 0x7fff
	v_or_b32_e32 v31, 0x400000, v17
	v_bfe_u32 v32, v27, 16, 1
	v_cmp_u_f32_e32 vcc_lo, v17, v17
	v_mul_f32_e32 v34, v46, v34
	v_mul_f32_e32 v19, v51, v19
	v_lshlrev_b32_e32 v20, 16, v20
	v_and_b32_e32 v26, 0xffff0000, v26
	v_cndmask_b32_e32 v17, v30, v31, vcc_lo
	v_add3_u32 v30, v32, v27, 0x7fff
	v_or_b32_e32 v31, 0x400000, v27
	v_bfe_u32 v32, v18, 16, 1
	v_cmp_u_f32_e32 vcc_lo, v27, v27
	v_mul_f32_e32 v20, v48, v20
	v_or_b32_e32 v36, 0x400000, v19
	v_and_b32_e32 v17, 0xffff0000, v17
	v_and_b32_e32 v28, 0xffff0000, v28
	v_cndmask_b32_e32 v27, v30, v31, vcc_lo
	v_add3_u32 v30, v32, v18, 0x7fff
	v_or_b32_e32 v31, 0x400000, v18
	v_bfe_u32 v32, v34, 16, 1
	v_cmp_u_f32_e32 vcc_lo, v18, v18
	v_bfe_u32 v38, v20, 16, 1
	v_and_b32_e32 v27, 0xffff0000, v27
	v_add_f32_e32 v17, v17, v26
	v_cndmask_b32_e32 v18, v30, v31, vcc_lo
	v_bfe_u32 v30, v19, 16, 1
	v_add3_u32 v31, v32, v34, 0x7fff
	v_mul_f32_e32 v32, v47, v35
	v_or_b32_e32 v35, 0x400000, v34
	v_cmp_u_f32_e32 vcc_lo, v34, v34
	v_add3_u32 v30, v30, v19, 0x7fff
	v_add3_u32 v34, v38, v20, 0x7fff
	v_bfe_u32 v37, v32, 16, 1
	v_and_b32_e32 v18, 0xffff0000, v18
	v_cndmask_b32_e32 v31, v31, v35, vcc_lo
	v_cmp_u_f32_e32 vcc_lo, v19, v19
	v_or_b32_e32 v35, 0x400000, v20
	v_add_f32_e32 v18, v18, v27
	v_and_b32_e32 v26, 0xffff0000, v31
	v_cndmask_b32_e32 v19, v30, v36, vcc_lo
	v_cmp_u_f32_e32 vcc_lo, v20, v20
	v_add3_u32 v30, v37, v32, 0x7fff
	v_or_b32_e32 v36, 0x400000, v32
	v_add_f32_e32 v17, v18, v17
	v_and_b32_e32 v19, 0xffff0000, v19
	v_cndmask_b32_e32 v20, v34, v35, vcc_lo
	v_cmp_u_f32_e32 vcc_lo, v32, v32
	v_add_f32_e32 v18, v19, v26
	v_and_b32_e32 v19, 0xffff0000, v20
	v_cndmask_b32_e32 v27, v30, v36, vcc_lo
	v_and_b32_e32 v30, 0xffff0000, v33
	v_and_b32_e32 v26, 0xffff0000, v13
	v_lshlrev_b32_e32 v13, 16, v13
	v_add_f32_e32 v17, v18, v17
	v_and_b32_e32 v20, 0xffff0000, v27
	v_add_f32_e32 v27, v28, v30
	v_mul_f32_e32 v13, v49, v13
	v_add_f32_e32 v18, v19, v20
	v_mul_f32_e32 v19, v0, v26
	v_add_f32_e32 v20, v27, v25
	v_and_b32_e32 v25, 0xffff0000, v14
	v_lshlrev_b32_e32 v14, 16, v14
	v_add_f32_e32 v17, v18, v17
	v_bfe_u32 v18, v19, 16, 1
	v_add_f32_e32 v91, v91, v20
	v_bfe_u32 v20, v13, 16, 1
	v_mul_f32_e32 v25, v45, v25
	v_add_f32_e32 v92, v92, v17
	v_add3_u32 v17, v18, v19, 0x7fff
	v_or_b32_e32 v18, 0x400000, v19
	v_cmp_u_f32_e32 vcc_lo, v19, v19
	v_add3_u32 v20, v20, v13, 0x7fff
	v_or_b32_e32 v26, 0x400000, v13
	v_mul_f32_e32 v14, v50, v14
	v_and_b32_e32 v19, 0xffff0000, v15
	v_cndmask_b32_e32 v17, v17, v18, vcc_lo
	v_bfe_u32 v18, v25, 16, 1
	v_cmp_u_f32_e32 vcc_lo, v13, v13
	v_lshlrev_b32_e32 v15, 16, v15
	v_mul_f32_e32 v19, v46, v19
	v_and_b32_e32 v27, 0xffff0000, v16
	v_add3_u32 v18, v18, v25, 0x7fff
	v_cndmask_b32_e32 v13, v20, v26, vcc_lo
	v_or_b32_e32 v20, 0x400000, v25
	v_bfe_u32 v26, v14, 16, 1
	v_cmp_u_f32_e32 vcc_lo, v25, v25
	v_mul_f32_e32 v15, v51, v15
	v_or_b32_e32 v25, 0x400000, v14
	v_lshlrev_b32_e32 v16, 16, v16
	v_and_b32_e32 v13, 0xffff0000, v13
	v_cndmask_b32_e32 v18, v18, v20, vcc_lo
	v_add3_u32 v20, v26, v14, 0x7fff
	v_bfe_u32 v26, v19, 16, 1
	v_cmp_u_f32_e32 vcc_lo, v14, v14
	v_bfe_u32 v28, v15, 16, 1
	v_mul_f32_e32 v16, v48, v16
	v_and_b32_e32 v17, 0xffff0000, v17
	v_and_b32_e32 v18, 0xffff0000, v18
	v_cndmask_b32_e32 v14, v20, v25, vcc_lo
	v_add3_u32 v20, v26, v19, 0x7fff
	v_mul_f32_e32 v25, v47, v27
	v_or_b32_e32 v26, 0x400000, v19
	v_cmp_u_f32_e32 vcc_lo, v19, v19
	v_add3_u32 v27, v28, v15, 0x7fff
	v_or_b32_e32 v28, 0x400000, v15
	v_bfe_u32 v29, v25, 16, 1
	v_and_b32_e32 v14, 0xffff0000, v14
	v_cndmask_b32_e32 v19, v20, v26, vcc_lo
	v_cmp_u_f32_e32 vcc_lo, v15, v15
	v_or_b32_e32 v26, 0x400000, v25
	v_add3_u32 v20, v29, v25, 0x7fff
	v_add_f32_e32 v13, v13, v17
	v_add_f32_e32 v14, v14, v18
	v_cndmask_b32_e32 v15, v27, v28, vcc_lo
	v_bfe_u32 v27, v16, 16, 1
	v_cmp_u_f32_e32 vcc_lo, v25, v25
	v_and_b32_e32 v18, 0xffff0000, v9
	v_and_b32_e32 v17, 0xffff0000, v19
	;; [unrolled: 1-line block ×3, first 2 shown]
	v_add3_u32 v25, v27, v16, 0x7fff
	v_cndmask_b32_e32 v20, v20, v26, vcc_lo
	v_or_b32_e32 v26, 0x400000, v16
	v_cmp_u_f32_e32 vcc_lo, v16, v16
	v_lshlrev_b32_e32 v9, 16, v9
	v_add_f32_e32 v13, v14, v13
	v_mul_f32_e32 v14, v0, v18
	v_add_f32_e32 v15, v15, v17
	v_cndmask_b32_e32 v16, v25, v26, vcc_lo
	v_mul_f32_e32 v17, v49, v9
	v_and_b32_e32 v18, 0xffff0000, v20
	v_bfe_u32 v19, v14, 16, 1
	v_and_b32_e32 v20, 0xffff0000, v10
	v_and_b32_e32 v16, 0xffff0000, v16
	v_add_f32_e32 v9, v15, v13
	v_bfe_u32 v15, v17, 16, 1
	v_lshlrev_b32_e32 v10, 16, v10
	v_cmp_u_f32_e32 vcc_lo, v14, v14
	v_add_f32_e32 v13, v16, v18
	v_add3_u32 v16, v19, v14, 0x7fff
	v_or_b32_e32 v18, 0x400000, v14
	v_mul_f32_e32 v19, v45, v20
	v_add3_u32 v15, v15, v17, 0x7fff
	v_or_b32_e32 v20, 0x400000, v17
	v_mul_f32_e32 v10, v50, v10
	v_cndmask_b32_e32 v14, v16, v18, vcc_lo
	v_bfe_u32 v16, v19, 16, 1
	v_cmp_u_f32_e32 vcc_lo, v17, v17
	v_and_b32_e32 v17, 0xffff0000, v11
	v_or_b32_e32 v18, 0x400000, v19
	v_lshlrev_b32_e32 v11, 16, v11
	v_add3_u32 v16, v16, v19, 0x7fff
	v_cndmask_b32_e32 v15, v15, v20, vcc_lo
	v_bfe_u32 v20, v10, 16, 1
	v_mul_f32_e32 v17, v46, v17
	v_cmp_u_f32_e32 vcc_lo, v19, v19
	v_mul_f32_e32 v11, v51, v11
	v_or_b32_e32 v19, 0x400000, v10
	v_and_b32_e32 v25, 0xffff0000, v12
	v_lshlrev_b32_e32 v12, 16, v12
	v_cndmask_b32_e32 v16, v16, v18, vcc_lo
	v_add3_u32 v18, v20, v10, 0x7fff
	v_bfe_u32 v20, v17, 16, 1
	v_cmp_u_f32_e32 vcc_lo, v10, v10
	v_bfe_u32 v26, v11, 16, 1
	v_mul_f32_e32 v12, v48, v12
	v_and_b32_e32 v15, 0xffff0000, v15
	v_and_b32_e32 v14, 0xffff0000, v14
	v_cndmask_b32_e32 v10, v18, v19, vcc_lo
	v_add3_u32 v18, v20, v17, 0x7fff
	v_mul_f32_e32 v19, v47, v25
	v_or_b32_e32 v20, 0x400000, v17
	v_cmp_u_f32_e32 vcc_lo, v17, v17
	v_add3_u32 v25, v26, v11, 0x7fff
	v_or_b32_e32 v26, 0x400000, v11
	v_bfe_u32 v27, v19, 16, 1
	v_and_b32_e32 v10, 0xffff0000, v10
	v_cndmask_b32_e32 v17, v18, v20, vcc_lo
	v_cmp_u_f32_e32 vcc_lo, v11, v11
	v_or_b32_e32 v20, 0x400000, v19
	v_add3_u32 v18, v27, v19, 0x7fff
	v_and_b32_e32 v16, 0xffff0000, v16
	v_add_f32_e32 v14, v15, v14
	v_cndmask_b32_e32 v11, v25, v26, vcc_lo
	v_bfe_u32 v25, v12, 16, 1
	v_cmp_u_f32_e32 vcc_lo, v19, v19
	v_add_f32_e32 v10, v10, v16
	v_and_b32_e32 v16, 0xffff0000, v5
	v_and_b32_e32 v11, 0xffff0000, v11
	v_add3_u32 v19, v25, v12, 0x7fff
	v_cndmask_b32_e32 v18, v18, v20, vcc_lo
	v_or_b32_e32 v20, 0x400000, v12
	v_cmp_u_f32_e32 vcc_lo, v12, v12
	v_and_b32_e32 v15, 0xffff0000, v17
	v_lshlrev_b32_e32 v5, 16, v5
	v_add_f32_e32 v10, v10, v14
	v_mul_f32_e32 v14, v0, v16
	v_cndmask_b32_e32 v12, v19, v20, vcc_lo
	v_add_f32_e32 v11, v11, v15
	v_mul_f32_e32 v15, v49, v5
	v_and_b32_e32 v16, 0xffff0000, v18
	v_and_b32_e32 v17, 0xffff0000, v6
	;; [unrolled: 1-line block ×3, first 2 shown]
	v_bfe_u32 v18, v14, 16, 1
	v_add_f32_e32 v5, v11, v10
	v_bfe_u32 v11, v15, 16, 1
	v_cmp_u_f32_e32 vcc_lo, v14, v14
	v_add_f32_e32 v10, v12, v16
	v_mul_f32_e32 v12, v45, v17
	v_add3_u32 v16, v18, v14, 0x7fff
	v_or_b32_e32 v17, 0x400000, v14
	v_add3_u32 v11, v11, v15, 0x7fff
	v_or_b32_e32 v18, 0x400000, v15
	v_bfe_u32 v19, v12, 16, 1
	v_lshlrev_b32_e32 v6, 16, v6
	v_cndmask_b32_e32 v14, v16, v17, vcc_lo
	v_cmp_u_f32_e32 vcc_lo, v15, v15
	v_or_b32_e32 v16, 0x400000, v12
	v_add3_u32 v15, v19, v12, 0x7fff
	v_mul_f32_e32 v6, v50, v6
	v_and_b32_e32 v17, 0xffff0000, v7
	v_cndmask_b32_e32 v11, v11, v18, vcc_lo
	v_cmp_u_f32_e32 vcc_lo, v12, v12
	v_lshlrev_b32_e32 v7, 16, v7
	v_bfe_u32 v18, v6, 16, 1
	v_and_b32_e32 v14, 0xffff0000, v14
	v_and_b32_e32 v11, 0xffff0000, v11
	v_cndmask_b32_e32 v12, v15, v16, vcc_lo
	v_mul_f32_e32 v15, v46, v17
	v_mul_f32_e32 v7, v51, v7
	v_add3_u32 v16, v18, v6, 0x7fff
	v_or_b32_e32 v17, 0x400000, v6
	v_and_b32_e32 v18, 0xffff0000, v8
	v_bfe_u32 v19, v15, 16, 1
	v_cmp_u_f32_e32 vcc_lo, v6, v6
	v_bfe_u32 v20, v7, 16, 1
	v_lshlrev_b32_e32 v8, 16, v8
	v_and_b32_e32 v12, 0xffff0000, v12
	v_add_f32_e32 v11, v11, v14
	v_cndmask_b32_e32 v6, v16, v17, vcc_lo
	v_mul_f32_e32 v16, v47, v18
	v_add3_u32 v17, v19, v15, 0x7fff
	v_or_b32_e32 v18, 0x400000, v15
	v_cmp_u_f32_e32 vcc_lo, v15, v15
	v_add3_u32 v19, v20, v7, 0x7fff
	v_or_b32_e32 v20, 0x400000, v7
	v_bfe_u32 v25, v16, 16, 1
	v_and_b32_e32 v6, 0xffff0000, v6
	v_cndmask_b32_e32 v15, v17, v18, vcc_lo
	v_cmp_u_f32_e32 vcc_lo, v7, v7
	v_or_b32_e32 v18, 0x400000, v16
	v_add3_u32 v17, v25, v16, 0x7fff
	v_mul_f32_e32 v8, v48, v8
	v_add_f32_e32 v6, v6, v12
	v_cndmask_b32_e32 v7, v19, v20, vcc_lo
	v_cmp_u_f32_e32 vcc_lo, v16, v16
	v_and_b32_e32 v12, 0xffff0000, v1
	v_and_b32_e32 v14, 0xffff0000, v15
	v_add_f32_e32 v6, v6, v11
	v_and_b32_e32 v7, 0xffff0000, v7
	v_cndmask_b32_e32 v16, v17, v18, vcc_lo
	v_bfe_u32 v17, v8, 16, 1
	v_mul_f32_e32 v11, v0, v12
	v_lshlrev_b32_e32 v1, 16, v1
	v_add_f32_e32 v7, v7, v14
	v_cmp_u_f32_e32 vcc_lo, v8, v8
	v_add3_u32 v15, v17, v8, 0x7fff
	v_or_b32_e32 v17, 0x400000, v8
	v_bfe_u32 v12, v11, 16, 1
	v_add_f32_e32 v6, v7, v6
	v_and_b32_e32 v7, 0xffff0000, v2
	v_mul_f32_e32 v1, v49, v1
	v_cndmask_b32_e32 v8, v15, v17, vcc_lo
	v_add3_u32 v12, v12, v11, 0x7fff
	v_or_b32_e32 v14, 0x400000, v11
	v_mul_f32_e32 v7, v45, v7
	v_and_b32_e32 v15, 0xffff0000, v16
	v_bfe_u32 v16, v1, 16, 1
	v_cmp_u_f32_e32 vcc_lo, v11, v11
	v_lshlrev_b32_e32 v2, 16, v2
	v_or_b32_e32 v17, 0x400000, v1
	v_or_b32_e32 v18, 0x400000, v7
	s_waitcnt vmcnt(0)
	v_lshlrev_b32_e32 v20, 16, v24
	v_cndmask_b32_e32 v11, v12, v14, vcc_lo
	v_bfe_u32 v12, v7, 16, 1
	v_add3_u32 v14, v16, v1, 0x7fff
	v_and_b32_e32 v16, 0xffff0000, v3
	v_mul_f32_e32 v2, v50, v2
	v_cmp_u_f32_e32 vcc_lo, v1, v1
	v_add3_u32 v12, v12, v7, 0x7fff
	v_lshlrev_b32_e32 v3, 16, v3
	v_mul_f32_e32 v16, v46, v16
	v_and_b32_e32 v11, 0xffff0000, v11
	v_cndmask_b32_e32 v1, v14, v17, vcc_lo
	v_bfe_u32 v14, v2, 16, 1
	v_cmp_u_f32_e32 vcc_lo, v7, v7
	v_and_b32_e32 v17, 0xffff0000, v4
	v_mul_f32_e32 v3, v51, v3
	v_or_b32_e32 v19, 0x400000, v16
	v_add3_u32 v14, v14, v2, 0x7fff
	v_cndmask_b32_e32 v7, v12, v18, vcc_lo
	v_bfe_u32 v12, v16, 16, 1
	v_or_b32_e32 v18, 0x400000, v2
	v_cmp_u_f32_e32 vcc_lo, v2, v2
	v_mul_f32_e32 v17, v47, v17
	v_lshlrev_b32_e32 v4, 16, v4
	v_add3_u32 v12, v12, v16, 0x7fff
	v_and_b32_e32 v1, 0xffff0000, v1
	v_cndmask_b32_e32 v2, v14, v18, vcc_lo
	v_bfe_u32 v14, v3, 16, 1
	v_cmp_u_f32_e32 vcc_lo, v16, v16
	v_bfe_u32 v18, v17, 16, 1
	v_or_b32_e32 v16, 0x400000, v3
	v_mul_f32_e32 v4, v48, v4
	v_add3_u32 v14, v14, v3, 0x7fff
	v_cndmask_b32_e32 v12, v12, v19, vcc_lo
	v_cmp_u_f32_e32 vcc_lo, v3, v3
	v_add3_u32 v18, v18, v17, 0x7fff
	v_or_b32_e32 v19, 0x400000, v17
	v_and_b32_e32 v2, 0xffff0000, v2
	v_and_b32_e32 v7, 0xffff0000, v7
	v_cndmask_b32_e32 v3, v14, v16, vcc_lo
	v_cmp_u_f32_e32 vcc_lo, v17, v17
	v_bfe_u32 v16, v4, 16, 1
	v_add_f32_e32 v1, v1, v11
	v_add_f32_e32 v2, v2, v7
	v_and_b32_e32 v3, 0xffff0000, v3
	v_cndmask_b32_e32 v14, v18, v19, vcc_lo
	v_lshlrev_b32_e32 v18, 16, v21
	v_and_b32_e32 v7, 0xffff0000, v12
	v_and_b32_e32 v12, 0xffff0000, v21
	v_add3_u32 v16, v16, v4, 0x7fff
	v_or_b32_e32 v17, 0x400000, v4
	v_mul_f32_e32 v11, v49, v18
	v_cmp_u_f32_e32 vcc_lo, v4, v4
	v_add_f32_e32 v1, v2, v1
	v_add_f32_e32 v3, v3, v7
	v_mul_f32_e32 v0, v0, v12
	v_bfe_u32 v2, v11, 16, 1
	v_lshlrev_b32_e32 v7, 16, v22
	v_cndmask_b32_e32 v4, v16, v17, vcc_lo
	v_or_b32_e32 v12, 0x400000, v11
	v_bfe_u32 v16, v0, 16, 1
	v_add3_u32 v2, v2, v11, 0x7fff
	v_mul_f32_e32 v7, v50, v7
	v_and_b32_e32 v17, 0xffff0000, v22
	v_cmp_u_f32_e32 vcc_lo, v11, v11
	v_add3_u32 v11, v16, v0, 0x7fff
	v_lshlrev_b32_e32 v18, 16, v23
	v_bfe_u32 v16, v7, 16, 1
	v_mul_f32_e32 v17, v45, v17
	v_cndmask_b32_e32 v2, v2, v12, vcc_lo
	v_or_b32_e32 v12, 0x400000, v0
	v_cmp_u_f32_e32 vcc_lo, v0, v0
	v_mul_f32_e32 v18, v51, v18
	v_and_b32_e32 v19, 0xffff0000, v23
	v_and_b32_e32 v21, 0xffff0000, v24
	;; [unrolled: 1-line block ×3, first 2 shown]
	v_cndmask_b32_e32 v0, v11, v12, vcc_lo
	v_add3_u32 v11, v16, v7, 0x7fff
	v_or_b32_e32 v12, 0x400000, v7
	v_bfe_u32 v16, v17, 16, 1
	v_cmp_u_f32_e32 vcc_lo, v7, v7
	v_mul_f32_e32 v19, v46, v19
	v_and_b32_e32 v0, 0xffff0000, v0
	v_and_b32_e32 v8, 0xffff0000, v8
	;; [unrolled: 1-line block ×3, first 2 shown]
	v_cndmask_b32_e32 v7, v11, v12, vcc_lo
	v_add3_u32 v11, v16, v17, 0x7fff
	v_or_b32_e32 v12, 0x400000, v17
	v_bfe_u32 v16, v18, 16, 1
	v_cmp_u_f32_e32 vcc_lo, v17, v17
	v_mul_f32_e32 v17, v48, v20
	v_mul_f32_e32 v20, v47, v21
	v_or_b32_e32 v21, 0x400000, v18
	v_add3_u32 v16, v16, v18, 0x7fff
	v_cndmask_b32_e32 v11, v11, v12, vcc_lo
	v_bfe_u32 v12, v19, 16, 1
	v_cmp_u_f32_e32 vcc_lo, v18, v18
	v_or_b32_e32 v22, 0x400000, v19
	v_bfe_u32 v24, v20, 16, 1
	v_bfe_u32 v23, v17, 16, 1
	v_add3_u32 v12, v12, v19, 0x7fff
	v_cndmask_b32_e32 v16, v16, v21, vcc_lo
	v_cmp_u_f32_e32 vcc_lo, v19, v19
	v_add3_u32 v19, v24, v20, 0x7fff
	v_or_b32_e32 v21, 0x400000, v20
	v_add3_u32 v18, v23, v17, 0x7fff
	v_and_b32_e32 v11, 0xffff0000, v11
	v_cndmask_b32_e32 v12, v12, v22, vcc_lo
	v_cmp_u_f32_e32 vcc_lo, v20, v20
	v_and_b32_e32 v7, 0xffff0000, v7
	v_or_b32_e32 v22, 0x400000, v17
	v_add_f32_e32 v0, v2, v0
	v_and_b32_e32 v14, 0xffff0000, v14
	v_cndmask_b32_e32 v19, v19, v21, vcc_lo
	v_cmp_u_f32_e32 vcc_lo, v17, v17
	v_add_f32_e32 v2, v7, v11
	v_and_b32_e32 v7, 0xffff0000, v12
	v_and_b32_e32 v11, 0xffff0000, v16
	v_add_f32_e32 v8, v8, v15
	v_cndmask_b32_e32 v12, v18, v22, vcc_lo
	v_add_f32_e32 v0, v2, v0
	v_add_f32_e32 v1, v3, v1
	;; [unrolled: 1-line block ×3, first 2 shown]
	v_and_b32_e32 v7, 0xffff0000, v19
	v_and_b32_e32 v11, 0xffff0000, v12
	v_add_f32_e32 v3, v4, v14
	v_add_f32_e32 v4, v13, v9
	;; [unrolled: 1-line block ×13, first 2 shown]
.LBB150_34:                             ;   in Loop: Header=BB150_35 Depth=1
	s_or_b32 exec_lo, exec_lo, s18
	v_add_nc_u32_e32 v103, 4, v103
	v_add_co_u32 v73, s0, v73, 16
	v_add_co_ci_u32_e64 v74, null, 0, v74, s0
	v_cmp_le_i32_e32 vcc_lo, s16, v103
	v_add_nc_u32_e32 v77, 0x80, v77
	v_add_nc_u32_e32 v101, 0x200, v101
	s_or_b32 s15, vcc_lo, s15
	s_andn2_b32 exec_lo, exec_lo, s15
	s_cbranch_execz .LBB150_68
.LBB150_35:                             ; =>This Inner Loop Header: Depth=1
	v_mul_hi_u32 v0, v77, s21
	v_mul_lo_u32 v1, v0, s12
	v_add_nc_u32_e32 v2, 1, v0
	v_sub_nc_u32_e32 v1, v77, v1
	v_subrev_nc_u32_e32 v3, s12, v1
	v_cmp_le_u32_e32 vcc_lo, s12, v1
	v_cndmask_b32_e32 v0, v0, v2, vcc_lo
	v_cndmask_b32_e32 v1, v1, v3, vcc_lo
	v_add_nc_u32_e32 v2, 1, v0
	v_cmp_le_u32_e32 vcc_lo, s12, v1
	v_cndmask_b32_e32 v0, v0, v2, vcc_lo
	v_xor_b32_e32 v0, s19, v0
	v_subrev_nc_u32_e32 v0, s19, v0
	v_add_nc_u32_e32 v1, s29, v0
	v_cmp_lt_i32_e64 s0, s4, v0
	v_sub_nc_u32_e32 v2, 0, v1
	v_max_i32_e32 v2, v1, v2
	v_ashrrev_i32_e32 v1, 31, v1
	v_mul_hi_u32 v3, v2, v102
	v_mul_lo_u32 v3, v3, s5
	v_sub_nc_u32_e32 v2, v2, v3
	v_subrev_nc_u32_e32 v3, s5, v2
	v_cmp_le_u32_e32 vcc_lo, s5, v2
	v_cndmask_b32_e32 v2, v2, v3, vcc_lo
	v_subrev_nc_u32_e32 v3, s5, v2
	v_cmp_le_u32_e32 vcc_lo, s5, v2
	v_cndmask_b32_e32 v2, v2, v3, vcc_lo
	v_xor_b32_e32 v2, v2, v1
	v_sub_nc_u32_e32 v1, v2, v1
	v_cmp_eq_u32_e32 vcc_lo, 0, v1
	s_or_b32 s0, vcc_lo, s0
	s_and_saveexec_b32 s18, s0
	s_cbranch_execz .LBB150_34
; %bb.36:                               ;   in Loop: Header=BB150_35 Depth=1
	global_load_dword v0, v[73:74], off
	v_add_nc_u32_e32 v105, v98, v77
	v_cmp_eq_u32_e64 s0, s14, v103
	v_add_nc_u32_e32 v108, 1, v105
	v_or_b32_e32 v106, 3, v105
	v_or_b32_e32 v107, 2, v105
	;; [unrolled: 1-line block ×5, first 2 shown]
	s_waitcnt vmcnt(0)
	v_mad_i64_i32 v[0:1], null, v0, s13, 0
	v_lshlrev_b64 v[0:1], 1, v[0:1]
	v_add_co_u32 v21, vcc_lo, v99, v0
	v_add_co_ci_u32_e64 v22, null, v100, v1, vcc_lo
	v_or_b32_e32 v0, 6, v105
	global_load_dwordx4 v[1:4], v[21:22], off
	ds_read2_b64 v[49:52], v101 offset1:1
	ds_read2_b64 v[45:48], v101 offset0:2 offset1:3
	s_and_saveexec_b32 s22, s0
	s_cbranch_execnz .LBB150_55
; %bb.37:                               ;   in Loop: Header=BB150_35 Depth=1
	s_or_b32 exec_lo, exec_lo, s22
	global_load_dwordx4 v[5:8], v[21:22], off offset:512
	s_and_saveexec_b32 s22, s0
	s_cbranch_execnz .LBB150_56
.LBB150_38:                             ;   in Loop: Header=BB150_35 Depth=1
	s_or_b32 exec_lo, exec_lo, s22
	global_load_dwordx4 v[9:12], v[21:22], off offset:1024
	s_and_saveexec_b32 s22, s0
	s_cbranch_execnz .LBB150_57
.LBB150_39:                             ;   in Loop: Header=BB150_35 Depth=1
	s_or_b32 exec_lo, exec_lo, s22
	global_load_dwordx4 v[13:16], v[21:22], off offset:1536
	s_and_saveexec_b32 s22, s0
	s_cbranch_execz .LBB150_41
.LBB150_40:                             ;   in Loop: Header=BB150_35 Depth=1
	v_cmp_gt_i32_e64 s1, s28, v105
	v_cmp_gt_i32_e32 vcc_lo, s17, v108
	v_cmp_gt_i32_e64 s2, s28, v107
	s_waitcnt vmcnt(0)
	v_cndmask_b32_e64 v17, 0, v13, s1
	v_cmp_gt_i32_e64 s1, s17, v106
	v_cndmask_b32_sdwa v13, v97, v13, vcc_lo dst_sel:DWORD dst_unused:UNUSED_PAD src0_sel:DWORD src1_sel:WORD_1
	v_cndmask_b32_e64 v18, 0, v14, s2
	v_cmp_gt_i32_e64 s2, s17, v104
	s_mov_b32 vcc_lo, s1
	v_cmp_gt_i32_e64 s1, s17, v75
	v_cndmask_b32_sdwa v14, v97, v14, vcc_lo dst_sel:DWORD dst_unused:UNUSED_PAD src0_sel:DWORD src1_sel:WORD_1
	v_cmp_gt_i32_e32 vcc_lo, s28, v76
	v_perm_b32 v13, v13, v17, 0x5040100
	v_perm_b32 v14, v14, v18, 0x5040100
	v_cndmask_b32_e32 v19, 0, v15, vcc_lo
	s_mov_b32 vcc_lo, s2
	v_cndmask_b32_sdwa v15, v97, v15, vcc_lo dst_sel:DWORD dst_unused:UNUSED_PAD src0_sel:DWORD src1_sel:WORD_1
	v_cmp_gt_i32_e32 vcc_lo, s28, v0
	v_perm_b32 v15, v15, v19, 0x5040100
	v_cndmask_b32_e32 v20, 0, v16, vcc_lo
	s_mov_b32 vcc_lo, s1
	v_cndmask_b32_sdwa v16, v97, v16, vcc_lo dst_sel:DWORD dst_unused:UNUSED_PAD src0_sel:DWORD src1_sel:WORD_1
	v_perm_b32 v16, v16, v20, 0x5040100
.LBB150_41:                             ;   in Loop: Header=BB150_35 Depth=1
	s_or_b32 exec_lo, exec_lo, s22
	v_add_co_u32 v23, vcc_lo, 0x800, v21
	v_add_co_ci_u32_e64 v24, null, 0, v22, vcc_lo
	global_load_dwordx4 v[17:20], v[23:24], off
	s_and_saveexec_b32 s22, s0
	s_cbranch_execnz .LBB150_58
; %bb.42:                               ;   in Loop: Header=BB150_35 Depth=1
	s_or_b32 exec_lo, exec_lo, s22
	global_load_dwordx4 v[25:28], v[23:24], off offset:512
	s_and_saveexec_b32 s22, s0
	s_cbranch_execnz .LBB150_59
.LBB150_43:                             ;   in Loop: Header=BB150_35 Depth=1
	s_or_b32 exec_lo, exec_lo, s22
	global_load_dwordx4 v[29:32], v[23:24], off offset:1024
	s_and_saveexec_b32 s22, s0
	s_cbranch_execnz .LBB150_60
.LBB150_44:                             ;   in Loop: Header=BB150_35 Depth=1
	s_or_b32 exec_lo, exec_lo, s22
	global_load_dwordx4 v[33:36], v[23:24], off offset:1536
	s_and_saveexec_b32 s22, s0
	s_cbranch_execz .LBB150_46
.LBB150_45:                             ;   in Loop: Header=BB150_35 Depth=1
	v_cmp_gt_i32_e64 s1, s28, v105
	v_cmp_gt_i32_e32 vcc_lo, s17, v108
	v_cmp_gt_i32_e64 s2, s28, v107
	s_waitcnt vmcnt(0)
	v_cndmask_b32_e64 v23, 0, v33, s1
	v_cmp_gt_i32_e64 s1, s17, v106
	v_cndmask_b32_sdwa v33, v97, v33, vcc_lo dst_sel:DWORD dst_unused:UNUSED_PAD src0_sel:DWORD src1_sel:WORD_1
	v_cndmask_b32_e64 v24, 0, v34, s2
	v_cmp_gt_i32_e64 s2, s17, v104
	s_mov_b32 vcc_lo, s1
	v_cmp_gt_i32_e64 s1, s17, v75
	v_cndmask_b32_sdwa v34, v97, v34, vcc_lo dst_sel:DWORD dst_unused:UNUSED_PAD src0_sel:DWORD src1_sel:WORD_1
	v_cmp_gt_i32_e32 vcc_lo, s28, v76
	v_perm_b32 v33, v33, v23, 0x5040100
	v_perm_b32 v34, v34, v24, 0x5040100
	v_cndmask_b32_e32 v37, 0, v35, vcc_lo
	s_mov_b32 vcc_lo, s2
	v_cndmask_b32_sdwa v35, v97, v35, vcc_lo dst_sel:DWORD dst_unused:UNUSED_PAD src0_sel:DWORD src1_sel:WORD_1
	v_cmp_gt_i32_e32 vcc_lo, s28, v0
	v_perm_b32 v35, v35, v37, 0x5040100
	v_cndmask_b32_e32 v38, 0, v36, vcc_lo
	s_mov_b32 vcc_lo, s1
	v_cndmask_b32_sdwa v36, v97, v36, vcc_lo dst_sel:DWORD dst_unused:UNUSED_PAD src0_sel:DWORD src1_sel:WORD_1
	v_perm_b32 v36, v36, v38, 0x5040100
.LBB150_46:                             ;   in Loop: Header=BB150_35 Depth=1
	s_or_b32 exec_lo, exec_lo, s22
	v_add_co_u32 v23, vcc_lo, 0x1000, v21
	v_add_co_ci_u32_e64 v24, null, 0, v22, vcc_lo
	global_load_dwordx4 v[37:40], v[23:24], off
	s_and_saveexec_b32 s22, s0
	s_cbranch_execnz .LBB150_61
; %bb.47:                               ;   in Loop: Header=BB150_35 Depth=1
	s_or_b32 exec_lo, exec_lo, s22
	global_load_dwordx4 v[41:44], v[23:24], off offset:512
	s_and_saveexec_b32 s22, s0
	s_cbranch_execnz .LBB150_62
.LBB150_48:                             ;   in Loop: Header=BB150_35 Depth=1
	s_or_b32 exec_lo, exec_lo, s22
	global_load_dwordx4 v[53:56], v[23:24], off offset:1024
	s_and_saveexec_b32 s22, s0
	s_cbranch_execnz .LBB150_63
.LBB150_49:                             ;   in Loop: Header=BB150_35 Depth=1
	s_or_b32 exec_lo, exec_lo, s22
	global_load_dwordx4 v[57:60], v[23:24], off offset:1536
	s_and_saveexec_b32 s22, s0
	s_cbranch_execz .LBB150_51
.LBB150_50:                             ;   in Loop: Header=BB150_35 Depth=1
	v_cmp_gt_i32_e64 s1, s28, v105
	v_cmp_gt_i32_e32 vcc_lo, s17, v108
	v_cmp_gt_i32_e64 s2, s28, v107
	s_waitcnt vmcnt(0)
	v_cndmask_b32_e64 v23, 0, v57, s1
	v_cmp_gt_i32_e64 s1, s17, v106
	v_cndmask_b32_sdwa v57, v97, v57, vcc_lo dst_sel:DWORD dst_unused:UNUSED_PAD src0_sel:DWORD src1_sel:WORD_1
	v_cndmask_b32_e64 v24, 0, v58, s2
	v_cmp_gt_i32_e64 s2, s17, v104
	s_mov_b32 vcc_lo, s1
	v_cmp_gt_i32_e64 s1, s17, v75
	v_cndmask_b32_sdwa v58, v97, v58, vcc_lo dst_sel:DWORD dst_unused:UNUSED_PAD src0_sel:DWORD src1_sel:WORD_1
	v_cmp_gt_i32_e32 vcc_lo, s28, v76
	v_perm_b32 v57, v57, v23, 0x5040100
	v_perm_b32 v58, v58, v24, 0x5040100
	v_cndmask_b32_e32 v61, 0, v59, vcc_lo
	s_mov_b32 vcc_lo, s2
	v_cndmask_b32_sdwa v59, v97, v59, vcc_lo dst_sel:DWORD dst_unused:UNUSED_PAD src0_sel:DWORD src1_sel:WORD_1
	v_cmp_gt_i32_e32 vcc_lo, s28, v0
	v_perm_b32 v59, v59, v61, 0x5040100
	v_cndmask_b32_e32 v62, 0, v60, vcc_lo
	s_mov_b32 vcc_lo, s1
	v_cndmask_b32_sdwa v60, v97, v60, vcc_lo dst_sel:DWORD dst_unused:UNUSED_PAD src0_sel:DWORD src1_sel:WORD_1
	v_perm_b32 v60, v60, v62, 0x5040100
.LBB150_51:                             ;   in Loop: Header=BB150_35 Depth=1
	s_or_b32 exec_lo, exec_lo, s22
	v_add_co_u32 v21, vcc_lo, 0x1800, v21
	v_add_co_ci_u32_e64 v22, null, 0, v22, vcc_lo
	global_load_dwordx4 v[61:64], v[21:22], off
	s_and_saveexec_b32 s22, s0
	s_cbranch_execnz .LBB150_64
; %bb.52:                               ;   in Loop: Header=BB150_35 Depth=1
	s_or_b32 exec_lo, exec_lo, s22
	global_load_dwordx4 v[65:68], v[21:22], off offset:512
	s_and_saveexec_b32 s22, s0
	s_cbranch_execnz .LBB150_65
.LBB150_53:                             ;   in Loop: Header=BB150_35 Depth=1
	s_or_b32 exec_lo, exec_lo, s22
	global_load_dwordx4 v[69:72], v[21:22], off offset:1024
	s_and_saveexec_b32 s22, s0
	s_cbranch_execnz .LBB150_66
.LBB150_54:                             ;   in Loop: Header=BB150_35 Depth=1
	s_or_b32 exec_lo, exec_lo, s22
	global_load_dwordx4 v[21:24], v[21:22], off offset:1536
	s_and_saveexec_b32 s2, s0
	s_cbranch_execz .LBB150_33
	s_branch .LBB150_67
.LBB150_55:                             ;   in Loop: Header=BB150_35 Depth=1
	v_cmp_gt_i32_e64 s1, s28, v105
	v_cmp_gt_i32_e32 vcc_lo, s17, v108
	v_cmp_gt_i32_e64 s2, s28, v107
	s_waitcnt vmcnt(0)
	v_cndmask_b32_e64 v5, 0, v1, s1
	v_cmp_gt_i32_e64 s1, s17, v106
	v_cndmask_b32_sdwa v1, v97, v1, vcc_lo dst_sel:DWORD dst_unused:UNUSED_PAD src0_sel:DWORD src1_sel:WORD_1
	v_cndmask_b32_e64 v6, 0, v2, s2
	v_cmp_gt_i32_e64 s2, s17, v104
	s_mov_b32 vcc_lo, s1
	v_cmp_gt_i32_e64 s1, s17, v75
	v_cndmask_b32_sdwa v2, v97, v2, vcc_lo dst_sel:DWORD dst_unused:UNUSED_PAD src0_sel:DWORD src1_sel:WORD_1
	v_cmp_gt_i32_e32 vcc_lo, s28, v76
	v_perm_b32 v1, v1, v5, 0x5040100
	v_perm_b32 v2, v2, v6, 0x5040100
	v_cndmask_b32_e32 v7, 0, v3, vcc_lo
	s_mov_b32 vcc_lo, s2
	v_cndmask_b32_sdwa v3, v97, v3, vcc_lo dst_sel:DWORD dst_unused:UNUSED_PAD src0_sel:DWORD src1_sel:WORD_1
	v_cmp_gt_i32_e32 vcc_lo, s28, v0
	v_perm_b32 v3, v3, v7, 0x5040100
	v_cndmask_b32_e32 v8, 0, v4, vcc_lo
	s_mov_b32 vcc_lo, s1
	v_cndmask_b32_sdwa v4, v97, v4, vcc_lo dst_sel:DWORD dst_unused:UNUSED_PAD src0_sel:DWORD src1_sel:WORD_1
	v_perm_b32 v4, v4, v8, 0x5040100
	s_or_b32 exec_lo, exec_lo, s22
	global_load_dwordx4 v[5:8], v[21:22], off offset:512
	s_and_saveexec_b32 s22, s0
	s_cbranch_execz .LBB150_38
.LBB150_56:                             ;   in Loop: Header=BB150_35 Depth=1
	v_cmp_gt_i32_e64 s1, s28, v105
	v_cmp_gt_i32_e32 vcc_lo, s17, v108
	v_cmp_gt_i32_e64 s2, s28, v107
	s_waitcnt vmcnt(0)
	v_cndmask_b32_e64 v9, 0, v5, s1
	v_cmp_gt_i32_e64 s1, s17, v106
	v_cndmask_b32_sdwa v5, v97, v5, vcc_lo dst_sel:DWORD dst_unused:UNUSED_PAD src0_sel:DWORD src1_sel:WORD_1
	v_cndmask_b32_e64 v10, 0, v6, s2
	v_cmp_gt_i32_e64 s2, s17, v104
	s_mov_b32 vcc_lo, s1
	v_cmp_gt_i32_e64 s1, s17, v75
	v_cndmask_b32_sdwa v6, v97, v6, vcc_lo dst_sel:DWORD dst_unused:UNUSED_PAD src0_sel:DWORD src1_sel:WORD_1
	v_cmp_gt_i32_e32 vcc_lo, s28, v76
	v_perm_b32 v5, v5, v9, 0x5040100
	v_perm_b32 v6, v6, v10, 0x5040100
	v_cndmask_b32_e32 v11, 0, v7, vcc_lo
	s_mov_b32 vcc_lo, s2
	v_cndmask_b32_sdwa v7, v97, v7, vcc_lo dst_sel:DWORD dst_unused:UNUSED_PAD src0_sel:DWORD src1_sel:WORD_1
	v_cmp_gt_i32_e32 vcc_lo, s28, v0
	v_perm_b32 v7, v7, v11, 0x5040100
	v_cndmask_b32_e32 v12, 0, v8, vcc_lo
	s_mov_b32 vcc_lo, s1
	v_cndmask_b32_sdwa v8, v97, v8, vcc_lo dst_sel:DWORD dst_unused:UNUSED_PAD src0_sel:DWORD src1_sel:WORD_1
	v_perm_b32 v8, v8, v12, 0x5040100
	s_or_b32 exec_lo, exec_lo, s22
	global_load_dwordx4 v[9:12], v[21:22], off offset:1024
	s_and_saveexec_b32 s22, s0
	s_cbranch_execz .LBB150_39
.LBB150_57:                             ;   in Loop: Header=BB150_35 Depth=1
	v_cmp_gt_i32_e64 s1, s28, v105
	v_cmp_gt_i32_e32 vcc_lo, s17, v108
	v_cmp_gt_i32_e64 s2, s28, v107
	s_waitcnt vmcnt(0)
	v_cndmask_b32_e64 v13, 0, v9, s1
	v_cmp_gt_i32_e64 s1, s17, v106
	v_cndmask_b32_sdwa v9, v97, v9, vcc_lo dst_sel:DWORD dst_unused:UNUSED_PAD src0_sel:DWORD src1_sel:WORD_1
	v_cndmask_b32_e64 v14, 0, v10, s2
	v_cmp_gt_i32_e64 s2, s17, v104
	s_mov_b32 vcc_lo, s1
	v_cmp_gt_i32_e64 s1, s17, v75
	v_cndmask_b32_sdwa v10, v97, v10, vcc_lo dst_sel:DWORD dst_unused:UNUSED_PAD src0_sel:DWORD src1_sel:WORD_1
	v_cmp_gt_i32_e32 vcc_lo, s28, v76
	v_perm_b32 v9, v9, v13, 0x5040100
	v_perm_b32 v10, v10, v14, 0x5040100
	v_cndmask_b32_e32 v15, 0, v11, vcc_lo
	s_mov_b32 vcc_lo, s2
	v_cndmask_b32_sdwa v11, v97, v11, vcc_lo dst_sel:DWORD dst_unused:UNUSED_PAD src0_sel:DWORD src1_sel:WORD_1
	v_cmp_gt_i32_e32 vcc_lo, s28, v0
	v_perm_b32 v11, v11, v15, 0x5040100
	v_cndmask_b32_e32 v16, 0, v12, vcc_lo
	s_mov_b32 vcc_lo, s1
	v_cndmask_b32_sdwa v12, v97, v12, vcc_lo dst_sel:DWORD dst_unused:UNUSED_PAD src0_sel:DWORD src1_sel:WORD_1
	v_perm_b32 v12, v12, v16, 0x5040100
	s_or_b32 exec_lo, exec_lo, s22
	global_load_dwordx4 v[13:16], v[21:22], off offset:1536
	s_and_saveexec_b32 s22, s0
	s_cbranch_execnz .LBB150_40
	s_branch .LBB150_41
.LBB150_58:                             ;   in Loop: Header=BB150_35 Depth=1
	v_cmp_gt_i32_e64 s1, s28, v105
	v_cmp_gt_i32_e32 vcc_lo, s17, v108
	v_cmp_gt_i32_e64 s2, s28, v107
	s_waitcnt vmcnt(0)
	v_cndmask_b32_e64 v25, 0, v17, s1
	v_cmp_gt_i32_e64 s1, s17, v106
	v_cndmask_b32_sdwa v17, v97, v17, vcc_lo dst_sel:DWORD dst_unused:UNUSED_PAD src0_sel:DWORD src1_sel:WORD_1
	v_cndmask_b32_e64 v26, 0, v18, s2
	v_cmp_gt_i32_e64 s2, s17, v104
	s_mov_b32 vcc_lo, s1
	v_cmp_gt_i32_e64 s1, s17, v75
	v_cndmask_b32_sdwa v18, v97, v18, vcc_lo dst_sel:DWORD dst_unused:UNUSED_PAD src0_sel:DWORD src1_sel:WORD_1
	v_cmp_gt_i32_e32 vcc_lo, s28, v76
	v_perm_b32 v17, v17, v25, 0x5040100
	v_perm_b32 v18, v18, v26, 0x5040100
	v_cndmask_b32_e32 v27, 0, v19, vcc_lo
	s_mov_b32 vcc_lo, s2
	v_cndmask_b32_sdwa v19, v97, v19, vcc_lo dst_sel:DWORD dst_unused:UNUSED_PAD src0_sel:DWORD src1_sel:WORD_1
	v_cmp_gt_i32_e32 vcc_lo, s28, v0
	v_perm_b32 v19, v19, v27, 0x5040100
	v_cndmask_b32_e32 v28, 0, v20, vcc_lo
	s_mov_b32 vcc_lo, s1
	v_cndmask_b32_sdwa v20, v97, v20, vcc_lo dst_sel:DWORD dst_unused:UNUSED_PAD src0_sel:DWORD src1_sel:WORD_1
	v_perm_b32 v20, v20, v28, 0x5040100
	s_or_b32 exec_lo, exec_lo, s22
	global_load_dwordx4 v[25:28], v[23:24], off offset:512
	s_and_saveexec_b32 s22, s0
	s_cbranch_execz .LBB150_43
.LBB150_59:                             ;   in Loop: Header=BB150_35 Depth=1
	v_cmp_gt_i32_e64 s1, s28, v105
	v_cmp_gt_i32_e32 vcc_lo, s17, v108
	v_cmp_gt_i32_e64 s2, s28, v107
	s_waitcnt vmcnt(0)
	v_cndmask_b32_e64 v29, 0, v25, s1
	v_cmp_gt_i32_e64 s1, s17, v106
	v_cndmask_b32_sdwa v25, v97, v25, vcc_lo dst_sel:DWORD dst_unused:UNUSED_PAD src0_sel:DWORD src1_sel:WORD_1
	v_cndmask_b32_e64 v30, 0, v26, s2
	v_cmp_gt_i32_e64 s2, s17, v104
	s_mov_b32 vcc_lo, s1
	v_cmp_gt_i32_e64 s1, s17, v75
	v_cndmask_b32_sdwa v26, v97, v26, vcc_lo dst_sel:DWORD dst_unused:UNUSED_PAD src0_sel:DWORD src1_sel:WORD_1
	v_cmp_gt_i32_e32 vcc_lo, s28, v76
	v_perm_b32 v25, v25, v29, 0x5040100
	v_perm_b32 v26, v26, v30, 0x5040100
	v_cndmask_b32_e32 v31, 0, v27, vcc_lo
	s_mov_b32 vcc_lo, s2
	v_cndmask_b32_sdwa v27, v97, v27, vcc_lo dst_sel:DWORD dst_unused:UNUSED_PAD src0_sel:DWORD src1_sel:WORD_1
	v_cmp_gt_i32_e32 vcc_lo, s28, v0
	v_perm_b32 v27, v27, v31, 0x5040100
	v_cndmask_b32_e32 v32, 0, v28, vcc_lo
	s_mov_b32 vcc_lo, s1
	v_cndmask_b32_sdwa v28, v97, v28, vcc_lo dst_sel:DWORD dst_unused:UNUSED_PAD src0_sel:DWORD src1_sel:WORD_1
	v_perm_b32 v28, v28, v32, 0x5040100
	s_or_b32 exec_lo, exec_lo, s22
	global_load_dwordx4 v[29:32], v[23:24], off offset:1024
	s_and_saveexec_b32 s22, s0
	s_cbranch_execz .LBB150_44
.LBB150_60:                             ;   in Loop: Header=BB150_35 Depth=1
	v_cmp_gt_i32_e64 s1, s28, v105
	v_cmp_gt_i32_e32 vcc_lo, s17, v108
	v_cmp_gt_i32_e64 s2, s28, v107
	s_waitcnt vmcnt(0)
	v_cndmask_b32_e64 v33, 0, v29, s1
	v_cmp_gt_i32_e64 s1, s17, v106
	v_cndmask_b32_sdwa v29, v97, v29, vcc_lo dst_sel:DWORD dst_unused:UNUSED_PAD src0_sel:DWORD src1_sel:WORD_1
	v_cndmask_b32_e64 v34, 0, v30, s2
	v_cmp_gt_i32_e64 s2, s17, v104
	s_mov_b32 vcc_lo, s1
	v_cmp_gt_i32_e64 s1, s17, v75
	v_cndmask_b32_sdwa v30, v97, v30, vcc_lo dst_sel:DWORD dst_unused:UNUSED_PAD src0_sel:DWORD src1_sel:WORD_1
	v_cmp_gt_i32_e32 vcc_lo, s28, v76
	v_perm_b32 v29, v29, v33, 0x5040100
	v_perm_b32 v30, v30, v34, 0x5040100
	v_cndmask_b32_e32 v35, 0, v31, vcc_lo
	s_mov_b32 vcc_lo, s2
	v_cndmask_b32_sdwa v31, v97, v31, vcc_lo dst_sel:DWORD dst_unused:UNUSED_PAD src0_sel:DWORD src1_sel:WORD_1
	v_cmp_gt_i32_e32 vcc_lo, s28, v0
	v_perm_b32 v31, v31, v35, 0x5040100
	v_cndmask_b32_e32 v36, 0, v32, vcc_lo
	s_mov_b32 vcc_lo, s1
	v_cndmask_b32_sdwa v32, v97, v32, vcc_lo dst_sel:DWORD dst_unused:UNUSED_PAD src0_sel:DWORD src1_sel:WORD_1
	v_perm_b32 v32, v32, v36, 0x5040100
	s_or_b32 exec_lo, exec_lo, s22
	global_load_dwordx4 v[33:36], v[23:24], off offset:1536
	s_and_saveexec_b32 s22, s0
	s_cbranch_execnz .LBB150_45
	s_branch .LBB150_46
.LBB150_61:                             ;   in Loop: Header=BB150_35 Depth=1
	v_cmp_gt_i32_e64 s1, s28, v105
	v_cmp_gt_i32_e32 vcc_lo, s17, v108
	v_cmp_gt_i32_e64 s2, s28, v107
	s_waitcnt vmcnt(0)
	v_cndmask_b32_e64 v41, 0, v37, s1
	v_cmp_gt_i32_e64 s1, s17, v106
	v_cndmask_b32_sdwa v37, v97, v37, vcc_lo dst_sel:DWORD dst_unused:UNUSED_PAD src0_sel:DWORD src1_sel:WORD_1
	v_cndmask_b32_e64 v42, 0, v38, s2
	v_cmp_gt_i32_e64 s2, s17, v104
	s_mov_b32 vcc_lo, s1
	v_cmp_gt_i32_e64 s1, s17, v75
	v_cndmask_b32_sdwa v38, v97, v38, vcc_lo dst_sel:DWORD dst_unused:UNUSED_PAD src0_sel:DWORD src1_sel:WORD_1
	v_cmp_gt_i32_e32 vcc_lo, s28, v76
	v_perm_b32 v37, v37, v41, 0x5040100
	v_perm_b32 v38, v38, v42, 0x5040100
	v_cndmask_b32_e32 v43, 0, v39, vcc_lo
	s_mov_b32 vcc_lo, s2
	v_cndmask_b32_sdwa v39, v97, v39, vcc_lo dst_sel:DWORD dst_unused:UNUSED_PAD src0_sel:DWORD src1_sel:WORD_1
	v_cmp_gt_i32_e32 vcc_lo, s28, v0
	v_perm_b32 v39, v39, v43, 0x5040100
	v_cndmask_b32_e32 v44, 0, v40, vcc_lo
	s_mov_b32 vcc_lo, s1
	v_cndmask_b32_sdwa v40, v97, v40, vcc_lo dst_sel:DWORD dst_unused:UNUSED_PAD src0_sel:DWORD src1_sel:WORD_1
	v_perm_b32 v40, v40, v44, 0x5040100
	s_or_b32 exec_lo, exec_lo, s22
	global_load_dwordx4 v[41:44], v[23:24], off offset:512
	s_and_saveexec_b32 s22, s0
	s_cbranch_execz .LBB150_48
.LBB150_62:                             ;   in Loop: Header=BB150_35 Depth=1
	v_cmp_gt_i32_e64 s1, s28, v105
	v_cmp_gt_i32_e32 vcc_lo, s17, v108
	v_cmp_gt_i32_e64 s2, s28, v107
	s_waitcnt vmcnt(0)
	v_cndmask_b32_e64 v53, 0, v41, s1
	v_cmp_gt_i32_e64 s1, s17, v106
	v_cndmask_b32_sdwa v41, v97, v41, vcc_lo dst_sel:DWORD dst_unused:UNUSED_PAD src0_sel:DWORD src1_sel:WORD_1
	v_cndmask_b32_e64 v54, 0, v42, s2
	v_cmp_gt_i32_e64 s2, s17, v104
	s_mov_b32 vcc_lo, s1
	v_cmp_gt_i32_e64 s1, s17, v75
	v_cndmask_b32_sdwa v42, v97, v42, vcc_lo dst_sel:DWORD dst_unused:UNUSED_PAD src0_sel:DWORD src1_sel:WORD_1
	v_cmp_gt_i32_e32 vcc_lo, s28, v76
	v_perm_b32 v41, v41, v53, 0x5040100
	v_perm_b32 v42, v42, v54, 0x5040100
	v_cndmask_b32_e32 v55, 0, v43, vcc_lo
	s_mov_b32 vcc_lo, s2
	v_cndmask_b32_sdwa v43, v97, v43, vcc_lo dst_sel:DWORD dst_unused:UNUSED_PAD src0_sel:DWORD src1_sel:WORD_1
	v_cmp_gt_i32_e32 vcc_lo, s28, v0
	v_perm_b32 v43, v43, v55, 0x5040100
	v_cndmask_b32_e32 v56, 0, v44, vcc_lo
	s_mov_b32 vcc_lo, s1
	v_cndmask_b32_sdwa v44, v97, v44, vcc_lo dst_sel:DWORD dst_unused:UNUSED_PAD src0_sel:DWORD src1_sel:WORD_1
	v_perm_b32 v44, v44, v56, 0x5040100
	s_or_b32 exec_lo, exec_lo, s22
	global_load_dwordx4 v[53:56], v[23:24], off offset:1024
	s_and_saveexec_b32 s22, s0
	s_cbranch_execz .LBB150_49
.LBB150_63:                             ;   in Loop: Header=BB150_35 Depth=1
	v_cmp_gt_i32_e64 s1, s28, v105
	v_cmp_gt_i32_e32 vcc_lo, s17, v108
	v_cmp_gt_i32_e64 s2, s28, v107
	s_waitcnt vmcnt(0)
	v_cndmask_b32_e64 v57, 0, v53, s1
	v_cmp_gt_i32_e64 s1, s17, v106
	v_cndmask_b32_sdwa v53, v97, v53, vcc_lo dst_sel:DWORD dst_unused:UNUSED_PAD src0_sel:DWORD src1_sel:WORD_1
	v_cndmask_b32_e64 v58, 0, v54, s2
	v_cmp_gt_i32_e64 s2, s17, v104
	s_mov_b32 vcc_lo, s1
	v_cmp_gt_i32_e64 s1, s17, v75
	v_cndmask_b32_sdwa v54, v97, v54, vcc_lo dst_sel:DWORD dst_unused:UNUSED_PAD src0_sel:DWORD src1_sel:WORD_1
	v_cmp_gt_i32_e32 vcc_lo, s28, v76
	v_perm_b32 v53, v53, v57, 0x5040100
	v_perm_b32 v54, v54, v58, 0x5040100
	v_cndmask_b32_e32 v59, 0, v55, vcc_lo
	s_mov_b32 vcc_lo, s2
	v_cndmask_b32_sdwa v55, v97, v55, vcc_lo dst_sel:DWORD dst_unused:UNUSED_PAD src0_sel:DWORD src1_sel:WORD_1
	v_cmp_gt_i32_e32 vcc_lo, s28, v0
	v_perm_b32 v55, v55, v59, 0x5040100
	v_cndmask_b32_e32 v60, 0, v56, vcc_lo
	s_mov_b32 vcc_lo, s1
	v_cndmask_b32_sdwa v56, v97, v56, vcc_lo dst_sel:DWORD dst_unused:UNUSED_PAD src0_sel:DWORD src1_sel:WORD_1
	v_perm_b32 v56, v56, v60, 0x5040100
	s_or_b32 exec_lo, exec_lo, s22
	global_load_dwordx4 v[57:60], v[23:24], off offset:1536
	s_and_saveexec_b32 s22, s0
	s_cbranch_execnz .LBB150_50
	s_branch .LBB150_51
.LBB150_64:                             ;   in Loop: Header=BB150_35 Depth=1
	v_cmp_gt_i32_e64 s1, s28, v105
	v_cmp_gt_i32_e32 vcc_lo, s17, v108
	v_cmp_gt_i32_e64 s2, s28, v107
	s_waitcnt vmcnt(0)
	v_cndmask_b32_e64 v23, 0, v61, s1
	v_cmp_gt_i32_e64 s1, s17, v106
	v_cndmask_b32_sdwa v61, v97, v61, vcc_lo dst_sel:DWORD dst_unused:UNUSED_PAD src0_sel:DWORD src1_sel:WORD_1
	v_cndmask_b32_e64 v24, 0, v62, s2
	v_cmp_gt_i32_e64 s2, s17, v104
	s_mov_b32 vcc_lo, s1
	v_cmp_gt_i32_e64 s1, s17, v75
	v_cndmask_b32_sdwa v62, v97, v62, vcc_lo dst_sel:DWORD dst_unused:UNUSED_PAD src0_sel:DWORD src1_sel:WORD_1
	v_cmp_gt_i32_e32 vcc_lo, s28, v76
	v_perm_b32 v61, v61, v23, 0x5040100
	v_perm_b32 v62, v62, v24, 0x5040100
	v_cndmask_b32_e32 v65, 0, v63, vcc_lo
	s_mov_b32 vcc_lo, s2
	v_cndmask_b32_sdwa v63, v97, v63, vcc_lo dst_sel:DWORD dst_unused:UNUSED_PAD src0_sel:DWORD src1_sel:WORD_1
	v_cmp_gt_i32_e32 vcc_lo, s28, v0
	v_perm_b32 v63, v63, v65, 0x5040100
	v_cndmask_b32_e32 v66, 0, v64, vcc_lo
	s_mov_b32 vcc_lo, s1
	v_cndmask_b32_sdwa v64, v97, v64, vcc_lo dst_sel:DWORD dst_unused:UNUSED_PAD src0_sel:DWORD src1_sel:WORD_1
	v_perm_b32 v64, v64, v66, 0x5040100
	s_or_b32 exec_lo, exec_lo, s22
	global_load_dwordx4 v[65:68], v[21:22], off offset:512
	s_and_saveexec_b32 s22, s0
	s_cbranch_execz .LBB150_53
.LBB150_65:                             ;   in Loop: Header=BB150_35 Depth=1
	v_cmp_gt_i32_e64 s1, s28, v105
	v_cmp_gt_i32_e32 vcc_lo, s17, v108
	v_cmp_gt_i32_e64 s2, s28, v107
	s_waitcnt vmcnt(0)
	v_cndmask_b32_e64 v23, 0, v65, s1
	v_cmp_gt_i32_e64 s1, s17, v106
	v_cndmask_b32_sdwa v65, v97, v65, vcc_lo dst_sel:DWORD dst_unused:UNUSED_PAD src0_sel:DWORD src1_sel:WORD_1
	v_cndmask_b32_e64 v24, 0, v66, s2
	v_cmp_gt_i32_e64 s2, s17, v104
	s_mov_b32 vcc_lo, s1
	v_cmp_gt_i32_e64 s1, s17, v75
	v_cndmask_b32_sdwa v66, v97, v66, vcc_lo dst_sel:DWORD dst_unused:UNUSED_PAD src0_sel:DWORD src1_sel:WORD_1
	v_cmp_gt_i32_e32 vcc_lo, s28, v76
	v_perm_b32 v65, v65, v23, 0x5040100
	v_perm_b32 v66, v66, v24, 0x5040100
	v_cndmask_b32_e32 v69, 0, v67, vcc_lo
	s_mov_b32 vcc_lo, s2
	v_cndmask_b32_sdwa v67, v97, v67, vcc_lo dst_sel:DWORD dst_unused:UNUSED_PAD src0_sel:DWORD src1_sel:WORD_1
	v_cmp_gt_i32_e32 vcc_lo, s28, v0
	v_perm_b32 v67, v67, v69, 0x5040100
	v_cndmask_b32_e32 v70, 0, v68, vcc_lo
	s_mov_b32 vcc_lo, s1
	v_cndmask_b32_sdwa v68, v97, v68, vcc_lo dst_sel:DWORD dst_unused:UNUSED_PAD src0_sel:DWORD src1_sel:WORD_1
	v_perm_b32 v68, v68, v70, 0x5040100
	s_or_b32 exec_lo, exec_lo, s22
	global_load_dwordx4 v[69:72], v[21:22], off offset:1024
	s_and_saveexec_b32 s22, s0
	s_cbranch_execz .LBB150_54
.LBB150_66:                             ;   in Loop: Header=BB150_35 Depth=1
	v_cmp_gt_i32_e64 s1, s28, v105
	v_cmp_gt_i32_e32 vcc_lo, s17, v108
	v_cmp_gt_i32_e64 s2, s28, v107
	s_waitcnt vmcnt(0)
	v_cndmask_b32_e64 v23, 0, v69, s1
	v_cmp_gt_i32_e64 s1, s17, v106
	v_cndmask_b32_sdwa v69, v97, v69, vcc_lo dst_sel:DWORD dst_unused:UNUSED_PAD src0_sel:DWORD src1_sel:WORD_1
	v_cndmask_b32_e64 v24, 0, v70, s2
	v_cmp_gt_i32_e64 s2, s17, v104
	s_mov_b32 vcc_lo, s1
	v_cmp_gt_i32_e64 s1, s17, v75
	v_cndmask_b32_sdwa v70, v97, v70, vcc_lo dst_sel:DWORD dst_unused:UNUSED_PAD src0_sel:DWORD src1_sel:WORD_1
	v_cmp_gt_i32_e32 vcc_lo, s28, v76
	v_perm_b32 v69, v69, v23, 0x5040100
	v_perm_b32 v70, v70, v24, 0x5040100
	v_cndmask_b32_e32 v109, 0, v71, vcc_lo
	s_mov_b32 vcc_lo, s2
	v_cndmask_b32_sdwa v71, v97, v71, vcc_lo dst_sel:DWORD dst_unused:UNUSED_PAD src0_sel:DWORD src1_sel:WORD_1
	v_cmp_gt_i32_e32 vcc_lo, s28, v0
	v_perm_b32 v71, v71, v109, 0x5040100
	v_cndmask_b32_e32 v110, 0, v72, vcc_lo
	s_mov_b32 vcc_lo, s1
	v_cndmask_b32_sdwa v72, v97, v72, vcc_lo dst_sel:DWORD dst_unused:UNUSED_PAD src0_sel:DWORD src1_sel:WORD_1
	v_perm_b32 v72, v72, v110, 0x5040100
	s_or_b32 exec_lo, exec_lo, s22
	global_load_dwordx4 v[21:24], v[21:22], off offset:1536
	s_and_saveexec_b32 s2, s0
	s_cbranch_execz .LBB150_33
.LBB150_67:                             ;   in Loop: Header=BB150_35 Depth=1
	v_cmp_gt_i32_e64 s0, s28, v105
	v_cmp_gt_i32_e32 vcc_lo, s17, v108
	v_cmp_gt_i32_e64 s1, s28, v107
	s_waitcnt vmcnt(0)
	v_cndmask_b32_e64 v105, 0, v21, s0
	v_cmp_gt_i32_e64 s0, s17, v106
	v_cndmask_b32_sdwa v21, v97, v21, vcc_lo dst_sel:DWORD dst_unused:UNUSED_PAD src0_sel:DWORD src1_sel:WORD_1
	v_cndmask_b32_e64 v106, 0, v22, s1
	v_cmp_gt_i32_e64 s1, s17, v104
	s_mov_b32 vcc_lo, s0
	v_cmp_gt_i32_e64 s0, s17, v75
	v_cndmask_b32_sdwa v22, v97, v22, vcc_lo dst_sel:DWORD dst_unused:UNUSED_PAD src0_sel:DWORD src1_sel:WORD_1
	v_cmp_gt_i32_e32 vcc_lo, s28, v76
	v_perm_b32 v21, v21, v105, 0x5040100
	v_perm_b32 v22, v22, v106, 0x5040100
	v_cndmask_b32_e32 v76, 0, v23, vcc_lo
	s_mov_b32 vcc_lo, s1
	v_cndmask_b32_sdwa v23, v97, v23, vcc_lo dst_sel:DWORD dst_unused:UNUSED_PAD src0_sel:DWORD src1_sel:WORD_1
	v_cmp_gt_i32_e32 vcc_lo, s28, v0
	v_perm_b32 v23, v23, v76, 0x5040100
	v_cndmask_b32_e32 v0, 0, v24, vcc_lo
	s_mov_b32 vcc_lo, s0
	v_cndmask_b32_sdwa v24, v97, v24, vcc_lo dst_sel:DWORD dst_unused:UNUSED_PAD src0_sel:DWORD src1_sel:WORD_1
	v_perm_b32 v24, v24, v0, 0x5040100
	s_branch .LBB150_33
.LBB150_68:
	s_or_b32 exec_lo, exec_lo, s15
.LBB150_69:
	s_or_b32 exec_lo, exec_lo, s3
	ds_bpermute_b32 v0, v79, v96
	ds_bpermute_b32 v15, v79, v81
	;; [unrolled: 1-line block ×16, first 2 shown]
	s_mov_b32 s0, exec_lo
	s_waitcnt lgkmcnt(15)
	v_add_f32_e32 v0, v96, v0
	s_waitcnt lgkmcnt(14)
	v_add_f32_e32 v35, v81, v15
	;; [unrolled: 2-line block ×5, first 2 shown]
	ds_bpermute_b32 v16, v78, v0
	s_waitcnt lgkmcnt(11)
	v_add_f32_e32 v4, v92, v4
	s_waitcnt lgkmcnt(10)
	v_add_f32_e32 v5, v91, v5
	ds_bpermute_b32 v17, v78, v1
	s_waitcnt lgkmcnt(10)
	v_add_f32_e32 v6, v90, v6
	s_waitcnt lgkmcnt(9)
	v_add_f32_e32 v7, v89, v7
	s_waitcnt lgkmcnt(8)
	v_add_f32_e32 v22, v88, v8
	s_waitcnt lgkmcnt(7)
	v_add_f32_e32 v23, v87, v9
	s_waitcnt lgkmcnt(6)
	v_add_f32_e32 v25, v86, v10
	s_waitcnt lgkmcnt(5)
	v_add_f32_e32 v27, v85, v11
	s_waitcnt lgkmcnt(4)
	v_add_f32_e32 v29, v84, v12
	s_waitcnt lgkmcnt(3)
	v_add_f32_e32 v31, v83, v13
	s_waitcnt lgkmcnt(2)
	v_add_f32_e32 v33, v82, v14
	ds_bpermute_b32 v18, v78, v2
	ds_bpermute_b32 v19, v78, v3
	;; [unrolled: 1-line block ×7, first 2 shown]
	s_waitcnt lgkmcnt(8)
	v_add_f32_e32 v15, v0, v16
	buffer_load_dword v16, off, s[40:43], 0 ; 4-byte Folded Reload
	ds_bpermute_b32 v28, v78, v23
	ds_bpermute_b32 v30, v78, v25
	;; [unrolled: 1-line block ×7, first 2 shown]
	s_waitcnt lgkmcnt(14)
	v_add_f32_e32 v14, v1, v17
	s_waitcnt vmcnt(0) lgkmcnt(0)
	s_barrier
	buffer_gl0_inv
	v_add_f32_e32 v13, v2, v18
	v_add_f32_e32 v12, v3, v19
	;; [unrolled: 1-line block ×7, first 2 shown]
	v_and_b32_e32 v19, 0x3c3, v111
	v_lshlrev_b32_e32 v18, 9, v112
	v_add_f32_e32 v6, v23, v28
	v_add_f32_e32 v5, v25, v30
	;; [unrolled: 1-line block ×7, first 2 shown]
	v_and_b32_e32 v17, 28, v16
	v_lshrrev_b32_e32 v16, 2, v16
	v_add_nc_u32_e32 v17, 0x120, v17
	v_cmpx_eq_u32_e32 64, v19
	s_cbranch_execz .LBB150_71
; %bb.70:
	v_add_nc_u32_e32 v19, v17, v18
	v_add_nc_u32_e32 v20, 0xfffffc00, v19
	v_add_nc_u32_e32 v21, 0xfffffc20, v19
	v_add_nc_u32_e32 v22, 0xfffffc40, v19
	v_add_nc_u32_e32 v23, 0xfffffc60, v19
	v_add_nc_u32_e32 v24, 0xfffffc80, v19
	v_add_nc_u32_e32 v25, 0xfffffca0, v19
	ds_write_b32 v20, v15
	ds_write_b32 v21, v14
	;; [unrolled: 1-line block ×6, first 2 shown]
	v_add_nc_u32_e32 v20, 0xfffffcc0, v19
	v_add_nc_u32_e32 v21, 0xfffffce0, v19
	;; [unrolled: 1-line block ×5, first 2 shown]
	ds_write_b32 v20, v9
	ds_write_b32 v21, v8
	;; [unrolled: 1-line block ×5, first 2 shown]
	v_add_nc_u32_e32 v20, 0xfffffd60, v19
	v_add_nc_u32_e32 v21, 0xfffffd80, v19
	;; [unrolled: 1-line block ×5, first 2 shown]
	ds_write_b32 v20, v4
	ds_write_b32 v21, v3
	;; [unrolled: 1-line block ×5, first 2 shown]
.LBB150_71:
	s_or_b32 exec_lo, exec_lo, s0
	v_lshlrev_b32_e32 v16, 2, v16
	s_mov_b32 s1, exec_lo
	v_cmp_eq_u32_e32 vcc_lo, 0, v80
	s_waitcnt lgkmcnt(0)
	s_barrier
	v_add3_u32 v16, 0x120, v18, v16
	buffer_gl0_inv
	v_cmpx_gt_u32_e32 64, v111
	s_cbranch_execz .LBB150_90
; %bb.72:
	s_and_saveexec_b32 s0, vcc_lo
	s_cbranch_execnz .LBB150_114
; %bb.73:
	s_or_b32 exec_lo, exec_lo, s0
	s_and_saveexec_b32 s0, vcc_lo
	s_cbranch_execnz .LBB150_115
.LBB150_74:
	s_or_b32 exec_lo, exec_lo, s0
	s_and_saveexec_b32 s0, vcc_lo
	s_cbranch_execnz .LBB150_116
.LBB150_75:
	s_or_b32 exec_lo, exec_lo, s0
	s_and_saveexec_b32 s0, vcc_lo
	s_cbranch_execnz .LBB150_117
.LBB150_76:
	s_or_b32 exec_lo, exec_lo, s0
	s_and_saveexec_b32 s0, vcc_lo
	s_cbranch_execnz .LBB150_118
.LBB150_77:
	s_or_b32 exec_lo, exec_lo, s0
	s_and_saveexec_b32 s0, vcc_lo
	s_cbranch_execnz .LBB150_119
.LBB150_78:
	s_or_b32 exec_lo, exec_lo, s0
	s_and_saveexec_b32 s0, vcc_lo
	s_cbranch_execnz .LBB150_120
.LBB150_79:
	s_or_b32 exec_lo, exec_lo, s0
	s_and_saveexec_b32 s0, vcc_lo
	s_cbranch_execnz .LBB150_121
.LBB150_80:
	s_or_b32 exec_lo, exec_lo, s0
	s_and_saveexec_b32 s0, vcc_lo
	s_cbranch_execnz .LBB150_122
.LBB150_81:
	s_or_b32 exec_lo, exec_lo, s0
	s_and_saveexec_b32 s0, vcc_lo
	s_cbranch_execnz .LBB150_123
.LBB150_82:
	s_or_b32 exec_lo, exec_lo, s0
	s_and_saveexec_b32 s0, vcc_lo
	s_cbranch_execnz .LBB150_124
.LBB150_83:
	s_or_b32 exec_lo, exec_lo, s0
	s_and_saveexec_b32 s0, vcc_lo
	s_cbranch_execnz .LBB150_125
.LBB150_84:
	s_or_b32 exec_lo, exec_lo, s0
	s_and_saveexec_b32 s0, vcc_lo
	s_cbranch_execnz .LBB150_126
.LBB150_85:
	s_or_b32 exec_lo, exec_lo, s0
	s_and_saveexec_b32 s0, vcc_lo
	s_cbranch_execnz .LBB150_127
.LBB150_86:
	s_or_b32 exec_lo, exec_lo, s0
	s_and_saveexec_b32 s0, vcc_lo
	s_cbranch_execnz .LBB150_128
.LBB150_87:
	s_or_b32 exec_lo, exec_lo, s0
	s_and_saveexec_b32 s0, vcc_lo
	s_cbranch_execz .LBB150_89
.LBB150_88:
	ds_read_b32 v18, v16 offset:480
	s_waitcnt lgkmcnt(0)
	v_add_f32_e32 v2, v2, v18
.LBB150_89:
	s_or_b32 exec_lo, exec_lo, s0
.LBB150_90:
	s_or_b32 exec_lo, exec_lo, s1
	v_and_b32_e32 v18, 0x3e3, v111
	s_mov_b32 s1, exec_lo
	s_barrier
	buffer_gl0_inv
	v_cmpx_eq_u32_e32 32, v18
	s_cbranch_execz .LBB150_92
; %bb.91:
	ds_write2_b32 v17, v15, v14 offset1:8
	ds_write2_b32 v17, v13, v12 offset0:16 offset1:24
	ds_write2_b32 v17, v11, v10 offset0:32 offset1:40
	ds_write2_b32 v17, v9, v8 offset0:48 offset1:56
	ds_write2_b32 v17, v7, v6 offset0:64 offset1:72
	ds_write2_b32 v17, v5, v4 offset0:80 offset1:88
	ds_write2_b32 v17, v3, v0 offset0:96 offset1:104
	ds_write2_b32 v17, v1, v2 offset0:112 offset1:120
.LBB150_92:
	s_or_b32 exec_lo, exec_lo, s1
	s_mov_b32 s1, exec_lo
	s_waitcnt lgkmcnt(0)
	s_barrier
	buffer_gl0_inv
	v_cmpx_gt_u32_e32 32, v111
	s_cbranch_execz .LBB150_111
; %bb.93:
	s_and_saveexec_b32 s0, vcc_lo
	s_cbranch_execnz .LBB150_129
; %bb.94:
	s_or_b32 exec_lo, exec_lo, s0
	s_and_saveexec_b32 s0, vcc_lo
	s_cbranch_execnz .LBB150_130
.LBB150_95:
	s_or_b32 exec_lo, exec_lo, s0
	s_and_saveexec_b32 s0, vcc_lo
	s_cbranch_execnz .LBB150_131
.LBB150_96:
	s_or_b32 exec_lo, exec_lo, s0
	s_and_saveexec_b32 s0, vcc_lo
	s_cbranch_execnz .LBB150_132
.LBB150_97:
	s_or_b32 exec_lo, exec_lo, s0
	s_and_saveexec_b32 s0, vcc_lo
	s_cbranch_execnz .LBB150_133
.LBB150_98:
	s_or_b32 exec_lo, exec_lo, s0
	s_and_saveexec_b32 s0, vcc_lo
	s_cbranch_execnz .LBB150_134
.LBB150_99:
	s_or_b32 exec_lo, exec_lo, s0
	s_and_saveexec_b32 s0, vcc_lo
	s_cbranch_execnz .LBB150_135
.LBB150_100:
	s_or_b32 exec_lo, exec_lo, s0
	s_and_saveexec_b32 s0, vcc_lo
	s_cbranch_execnz .LBB150_136
.LBB150_101:
	s_or_b32 exec_lo, exec_lo, s0
	s_and_saveexec_b32 s0, vcc_lo
	s_cbranch_execnz .LBB150_137
.LBB150_102:
	s_or_b32 exec_lo, exec_lo, s0
	s_and_saveexec_b32 s0, vcc_lo
	s_cbranch_execnz .LBB150_138
.LBB150_103:
	s_or_b32 exec_lo, exec_lo, s0
	s_and_saveexec_b32 s0, vcc_lo
	s_cbranch_execnz .LBB150_139
.LBB150_104:
	s_or_b32 exec_lo, exec_lo, s0
	s_and_saveexec_b32 s0, vcc_lo
	s_cbranch_execnz .LBB150_140
.LBB150_105:
	s_or_b32 exec_lo, exec_lo, s0
	s_and_saveexec_b32 s0, vcc_lo
	s_cbranch_execnz .LBB150_141
.LBB150_106:
	s_or_b32 exec_lo, exec_lo, s0
	s_and_saveexec_b32 s0, vcc_lo
	s_cbranch_execnz .LBB150_142
.LBB150_107:
	s_or_b32 exec_lo, exec_lo, s0
	s_and_saveexec_b32 s0, vcc_lo
	s_cbranch_execnz .LBB150_143
.LBB150_108:
	s_or_b32 exec_lo, exec_lo, s0
	s_and_saveexec_b32 s0, vcc_lo
	s_cbranch_execz .LBB150_110
.LBB150_109:
	ds_read_b32 v16, v16 offset:480
	s_waitcnt lgkmcnt(0)
	v_add_f32_e32 v2, v2, v16
.LBB150_110:
	s_or_b32 exec_lo, exec_lo, s0
.LBB150_111:
	s_or_b32 exec_lo, exec_lo, s1
	s_barrier
	buffer_gl0_inv
	s_mov_b32 s0, exec_lo
	v_cmpx_eq_u32_e32 0, v18
	s_cbranch_execz .LBB150_113
; %bb.112:
	s_mul_i32 s0, s10, s11
	s_mul_i32 s2, s11, s20
	;; [unrolled: 1-line block ×3, first 2 shown]
	v_bfe_u32 v17, v15, 16, 1
	s_lshl_b32 s0, s0, 7
	v_or_b32_e32 v18, 0x400000, v15
	s_ashr_i32 s1, s0, 31
	v_bfe_u32 v19, v14, 16, 1
	s_lshl_b64 s[0:1], s[0:1], 1
	v_add3_u32 v17, v17, v15, 0x7fff
	s_add_u32 s4, s6, s0
	s_addc_u32 s5, s7, s1
	s_ashr_i32 s3, s2, 31
	v_cmp_u_f32_e32 vcc_lo, v15, v15
	s_lshl_b64 s[0:1], s[2:3], 1
	v_lshrrev_b32_e32 v16, 1, v111
	s_add_u32 s2, s4, s0
	s_addc_u32 s3, s5, s1
	s_lshl_b32 s0, s8, 7
	v_cndmask_b32_e32 v15, v17, v18, vcc_lo
	s_ashr_i32 s1, s0, 31
	v_bfe_u32 v17, v13, 16, 1
	s_lshl_b64 s[0:1], s[0:1], 1
	v_add3_u32 v18, v19, v14, 0x7fff
	v_or_b32_e32 v19, 0x400000, v14
	v_cmp_u_f32_e32 vcc_lo, v14, v14
	s_add_u32 s0, s2, s0
	s_addc_u32 s1, s3, s1
	global_store_short_d16_hi v16, v15, s[0:1]
	v_add3_u32 v15, v17, v13, 0x7fff
	v_or_b32_e32 v17, 0x400000, v13
	v_cndmask_b32_e32 v14, v18, v19, vcc_lo
	v_bfe_u32 v18, v12, 16, 1
	v_cmp_u_f32_e32 vcc_lo, v13, v13
	global_store_short_d16_hi v16, v14, s[0:1] offset:16
	v_add3_u32 v14, v18, v12, 0x7fff
	v_cndmask_b32_e32 v13, v15, v17, vcc_lo
	v_bfe_u32 v15, v11, 16, 1
	v_or_b32_e32 v17, 0x400000, v12
	v_cmp_u_f32_e32 vcc_lo, v12, v12
	global_store_short_d16_hi v16, v13, s[0:1] offset:32
	v_add3_u32 v13, v15, v11, 0x7fff
	v_or_b32_e32 v15, 0x400000, v11
	v_cndmask_b32_e32 v12, v14, v17, vcc_lo
	v_bfe_u32 v14, v10, 16, 1
	v_cmp_u_f32_e32 vcc_lo, v11, v11
	global_store_short_d16_hi v16, v12, s[0:1] offset:48
	v_add3_u32 v12, v14, v10, 0x7fff
	v_cndmask_b32_e32 v11, v13, v15, vcc_lo
	v_bfe_u32 v13, v9, 16, 1
	v_or_b32_e32 v14, 0x400000, v10
	v_cmp_u_f32_e32 vcc_lo, v10, v10
	global_store_short_d16_hi v16, v11, s[0:1] offset:64
	;; [unrolled: 12-line block ×4, first 2 shown]
	v_add3_u32 v7, v9, v5, 0x7fff
	v_or_b32_e32 v9, 0x400000, v5
	v_cndmask_b32_e32 v6, v8, v10, vcc_lo
	v_bfe_u32 v8, v4, 16, 1
	v_cmp_u_f32_e32 vcc_lo, v5, v5
	v_or_b32_e32 v10, 0x400000, v2
	global_store_short_d16_hi v16, v6, s[0:1] offset:144
	v_add3_u32 v6, v8, v4, 0x7fff
	v_cndmask_b32_e32 v5, v7, v9, vcc_lo
	v_bfe_u32 v7, v3, 16, 1
	v_or_b32_e32 v8, 0x400000, v4
	v_cmp_u_f32_e32 vcc_lo, v4, v4
	v_or_b32_e32 v9, 0x400000, v1
	global_store_short_d16_hi v16, v5, s[0:1] offset:160
	v_add3_u32 v5, v7, v3, 0x7fff
	v_or_b32_e32 v7, 0x400000, v3
	v_cndmask_b32_e32 v4, v6, v8, vcc_lo
	v_bfe_u32 v6, v0, 16, 1
	v_cmp_u_f32_e32 vcc_lo, v3, v3
	v_bfe_u32 v8, v1, 16, 1
	v_add3_u32 v6, v6, v0, 0x7fff
	v_cndmask_b32_e32 v3, v5, v7, vcc_lo
	v_or_b32_e32 v7, 0x400000, v0
	v_cmp_u_f32_e32 vcc_lo, v0, v0
	v_bfe_u32 v5, v2, 16, 1
	v_add3_u32 v8, v8, v1, 0x7fff
	v_cndmask_b32_e32 v0, v6, v7, vcc_lo
	v_cmp_u_f32_e32 vcc_lo, v1, v1
	v_add3_u32 v5, v5, v2, 0x7fff
	v_cndmask_b32_e32 v1, v8, v9, vcc_lo
	v_cmp_u_f32_e32 vcc_lo, v2, v2
	v_cndmask_b32_e32 v2, v5, v10, vcc_lo
	global_store_short_d16_hi v16, v4, s[0:1] offset:176
	global_store_short_d16_hi v16, v3, s[0:1] offset:192
	;; [unrolled: 1-line block ×5, first 2 shown]
.LBB150_113:
	s_endpgm
.LBB150_114:
	ds_read_b32 v18, v16
	s_waitcnt lgkmcnt(0)
	v_add_f32_e32 v15, v15, v18
	s_or_b32 exec_lo, exec_lo, s0
	s_and_saveexec_b32 s0, vcc_lo
	s_cbranch_execz .LBB150_74
.LBB150_115:
	ds_read_b32 v18, v16 offset:32
	s_waitcnt lgkmcnt(0)
	v_add_f32_e32 v14, v14, v18
	s_or_b32 exec_lo, exec_lo, s0
	s_and_saveexec_b32 s0, vcc_lo
	s_cbranch_execz .LBB150_75
.LBB150_116:
	ds_read_b32 v18, v16 offset:64
	s_waitcnt lgkmcnt(0)
	v_add_f32_e32 v13, v13, v18
	s_or_b32 exec_lo, exec_lo, s0
	s_and_saveexec_b32 s0, vcc_lo
	s_cbranch_execz .LBB150_76
.LBB150_117:
	ds_read_b32 v18, v16 offset:96
	s_waitcnt lgkmcnt(0)
	v_add_f32_e32 v12, v12, v18
	s_or_b32 exec_lo, exec_lo, s0
	s_and_saveexec_b32 s0, vcc_lo
	s_cbranch_execz .LBB150_77
.LBB150_118:
	ds_read_b32 v18, v16 offset:128
	s_waitcnt lgkmcnt(0)
	v_add_f32_e32 v11, v11, v18
	s_or_b32 exec_lo, exec_lo, s0
	s_and_saveexec_b32 s0, vcc_lo
	s_cbranch_execz .LBB150_78
.LBB150_119:
	ds_read_b32 v18, v16 offset:160
	s_waitcnt lgkmcnt(0)
	v_add_f32_e32 v10, v10, v18
	s_or_b32 exec_lo, exec_lo, s0
	s_and_saveexec_b32 s0, vcc_lo
	s_cbranch_execz .LBB150_79
.LBB150_120:
	ds_read_b32 v18, v16 offset:192
	s_waitcnt lgkmcnt(0)
	v_add_f32_e32 v9, v9, v18
	s_or_b32 exec_lo, exec_lo, s0
	s_and_saveexec_b32 s0, vcc_lo
	s_cbranch_execz .LBB150_80
.LBB150_121:
	ds_read_b32 v18, v16 offset:224
	s_waitcnt lgkmcnt(0)
	v_add_f32_e32 v8, v8, v18
	s_or_b32 exec_lo, exec_lo, s0
	s_and_saveexec_b32 s0, vcc_lo
	s_cbranch_execz .LBB150_81
.LBB150_122:
	ds_read_b32 v18, v16 offset:256
	s_waitcnt lgkmcnt(0)
	v_add_f32_e32 v7, v7, v18
	s_or_b32 exec_lo, exec_lo, s0
	s_and_saveexec_b32 s0, vcc_lo
	s_cbranch_execz .LBB150_82
.LBB150_123:
	ds_read_b32 v18, v16 offset:288
	s_waitcnt lgkmcnt(0)
	v_add_f32_e32 v6, v6, v18
	s_or_b32 exec_lo, exec_lo, s0
	s_and_saveexec_b32 s0, vcc_lo
	s_cbranch_execz .LBB150_83
.LBB150_124:
	ds_read_b32 v18, v16 offset:320
	s_waitcnt lgkmcnt(0)
	v_add_f32_e32 v5, v5, v18
	s_or_b32 exec_lo, exec_lo, s0
	s_and_saveexec_b32 s0, vcc_lo
	s_cbranch_execz .LBB150_84
.LBB150_125:
	ds_read_b32 v18, v16 offset:352
	s_waitcnt lgkmcnt(0)
	v_add_f32_e32 v4, v4, v18
	s_or_b32 exec_lo, exec_lo, s0
	s_and_saveexec_b32 s0, vcc_lo
	s_cbranch_execz .LBB150_85
.LBB150_126:
	ds_read_b32 v18, v16 offset:384
	s_waitcnt lgkmcnt(0)
	v_add_f32_e32 v3, v3, v18
	s_or_b32 exec_lo, exec_lo, s0
	s_and_saveexec_b32 s0, vcc_lo
	s_cbranch_execz .LBB150_86
.LBB150_127:
	ds_read_b32 v18, v16 offset:416
	s_waitcnt lgkmcnt(0)
	v_add_f32_e32 v0, v0, v18
	s_or_b32 exec_lo, exec_lo, s0
	s_and_saveexec_b32 s0, vcc_lo
	s_cbranch_execz .LBB150_87
.LBB150_128:
	ds_read_b32 v18, v16 offset:448
	s_waitcnt lgkmcnt(0)
	v_add_f32_e32 v1, v1, v18
	s_or_b32 exec_lo, exec_lo, s0
	s_and_saveexec_b32 s0, vcc_lo
	s_cbranch_execnz .LBB150_88
	s_branch .LBB150_89
.LBB150_129:
	ds_read_b32 v17, v16
	s_waitcnt lgkmcnt(0)
	v_add_f32_e32 v15, v15, v17
	s_or_b32 exec_lo, exec_lo, s0
	s_and_saveexec_b32 s0, vcc_lo
	s_cbranch_execz .LBB150_95
.LBB150_130:
	ds_read_b32 v17, v16 offset:32
	s_waitcnt lgkmcnt(0)
	v_add_f32_e32 v14, v14, v17
	s_or_b32 exec_lo, exec_lo, s0
	s_and_saveexec_b32 s0, vcc_lo
	s_cbranch_execz .LBB150_96
.LBB150_131:
	ds_read_b32 v17, v16 offset:64
	s_waitcnt lgkmcnt(0)
	v_add_f32_e32 v13, v13, v17
	s_or_b32 exec_lo, exec_lo, s0
	s_and_saveexec_b32 s0, vcc_lo
	s_cbranch_execz .LBB150_97
.LBB150_132:
	ds_read_b32 v17, v16 offset:96
	s_waitcnt lgkmcnt(0)
	v_add_f32_e32 v12, v12, v17
	s_or_b32 exec_lo, exec_lo, s0
	s_and_saveexec_b32 s0, vcc_lo
	s_cbranch_execz .LBB150_98
.LBB150_133:
	ds_read_b32 v17, v16 offset:128
	s_waitcnt lgkmcnt(0)
	v_add_f32_e32 v11, v11, v17
	s_or_b32 exec_lo, exec_lo, s0
	s_and_saveexec_b32 s0, vcc_lo
	s_cbranch_execz .LBB150_99
.LBB150_134:
	ds_read_b32 v17, v16 offset:160
	s_waitcnt lgkmcnt(0)
	v_add_f32_e32 v10, v10, v17
	s_or_b32 exec_lo, exec_lo, s0
	s_and_saveexec_b32 s0, vcc_lo
	s_cbranch_execz .LBB150_100
.LBB150_135:
	ds_read_b32 v17, v16 offset:192
	s_waitcnt lgkmcnt(0)
	v_add_f32_e32 v9, v9, v17
	s_or_b32 exec_lo, exec_lo, s0
	s_and_saveexec_b32 s0, vcc_lo
	s_cbranch_execz .LBB150_101
.LBB150_136:
	ds_read_b32 v17, v16 offset:224
	s_waitcnt lgkmcnt(0)
	v_add_f32_e32 v8, v8, v17
	s_or_b32 exec_lo, exec_lo, s0
	s_and_saveexec_b32 s0, vcc_lo
	s_cbranch_execz .LBB150_102
.LBB150_137:
	ds_read_b32 v17, v16 offset:256
	s_waitcnt lgkmcnt(0)
	v_add_f32_e32 v7, v7, v17
	s_or_b32 exec_lo, exec_lo, s0
	s_and_saveexec_b32 s0, vcc_lo
	s_cbranch_execz .LBB150_103
.LBB150_138:
	ds_read_b32 v17, v16 offset:288
	s_waitcnt lgkmcnt(0)
	v_add_f32_e32 v6, v6, v17
	s_or_b32 exec_lo, exec_lo, s0
	s_and_saveexec_b32 s0, vcc_lo
	s_cbranch_execz .LBB150_104
.LBB150_139:
	ds_read_b32 v17, v16 offset:320
	s_waitcnt lgkmcnt(0)
	v_add_f32_e32 v5, v5, v17
	s_or_b32 exec_lo, exec_lo, s0
	s_and_saveexec_b32 s0, vcc_lo
	s_cbranch_execz .LBB150_105
.LBB150_140:
	ds_read_b32 v17, v16 offset:352
	s_waitcnt lgkmcnt(0)
	v_add_f32_e32 v4, v4, v17
	s_or_b32 exec_lo, exec_lo, s0
	s_and_saveexec_b32 s0, vcc_lo
	s_cbranch_execz .LBB150_106
.LBB150_141:
	ds_read_b32 v17, v16 offset:384
	s_waitcnt lgkmcnt(0)
	v_add_f32_e32 v3, v3, v17
	s_or_b32 exec_lo, exec_lo, s0
	s_and_saveexec_b32 s0, vcc_lo
	s_cbranch_execz .LBB150_107
.LBB150_142:
	ds_read_b32 v17, v16 offset:416
	s_waitcnt lgkmcnt(0)
	v_add_f32_e32 v0, v0, v17
	s_or_b32 exec_lo, exec_lo, s0
	s_and_saveexec_b32 s0, vcc_lo
	s_cbranch_execz .LBB150_108
.LBB150_143:
	ds_read_b32 v17, v16 offset:448
	s_waitcnt lgkmcnt(0)
	v_add_f32_e32 v1, v1, v17
	s_or_b32 exec_lo, exec_lo, s0
	s_and_saveexec_b32 s0, vcc_lo
	s_cbranch_execnz .LBB150_109
	s_branch .LBB150_110
	.section	.rodata,"a",@progbits
	.p2align	6, 0x0
	.amdhsa_kernel _ZN4vllm25paged_attention_v1_kernelI14__hip_bfloat16S1_Li128ELi32ELi128ELNS_18Fp8KVCacheDataTypeE0ELb1EEEvPT_PKS3_PKT0_S9_ifPKiSB_iPKfiiiSD_SD_iiiii
		.amdhsa_group_segment_fixed_size 288
		.amdhsa_private_segment_fixed_size 336
		.amdhsa_kernarg_size 384
		.amdhsa_user_sgpr_count 6
		.amdhsa_user_sgpr_private_segment_buffer 1
		.amdhsa_user_sgpr_dispatch_ptr 0
		.amdhsa_user_sgpr_queue_ptr 0
		.amdhsa_user_sgpr_kernarg_segment_ptr 1
		.amdhsa_user_sgpr_dispatch_id 0
		.amdhsa_user_sgpr_flat_scratch_init 0
		.amdhsa_user_sgpr_private_segment_size 0
		.amdhsa_wavefront_size32 1
		.amdhsa_uses_dynamic_stack 0
		.amdhsa_system_sgpr_private_segment_wavefront_offset 1
		.amdhsa_system_sgpr_workgroup_id_x 1
		.amdhsa_system_sgpr_workgroup_id_y 1
		.amdhsa_system_sgpr_workgroup_id_z 1
		.amdhsa_system_sgpr_workgroup_info 0
		.amdhsa_system_vgpr_workitem_id 0
		.amdhsa_next_free_vgpr 128
		.amdhsa_next_free_sgpr 44
		.amdhsa_reserve_vcc 1
		.amdhsa_reserve_flat_scratch 0
		.amdhsa_float_round_mode_32 0
		.amdhsa_float_round_mode_16_64 0
		.amdhsa_float_denorm_mode_32 3
		.amdhsa_float_denorm_mode_16_64 3
		.amdhsa_dx10_clamp 1
		.amdhsa_ieee_mode 1
		.amdhsa_fp16_overflow 0
		.amdhsa_workgroup_processor_mode 1
		.amdhsa_memory_ordered 1
		.amdhsa_forward_progress 1
		.amdhsa_shared_vgpr_count 0
		.amdhsa_exception_fp_ieee_invalid_op 0
		.amdhsa_exception_fp_denorm_src 0
		.amdhsa_exception_fp_ieee_div_zero 0
		.amdhsa_exception_fp_ieee_overflow 0
		.amdhsa_exception_fp_ieee_underflow 0
		.amdhsa_exception_fp_ieee_inexact 0
		.amdhsa_exception_int_div_zero 0
	.end_amdhsa_kernel
	.section	.text._ZN4vllm25paged_attention_v1_kernelI14__hip_bfloat16S1_Li128ELi32ELi128ELNS_18Fp8KVCacheDataTypeE0ELb1EEEvPT_PKS3_PKT0_S9_ifPKiSB_iPKfiiiSD_SD_iiiii,"axG",@progbits,_ZN4vllm25paged_attention_v1_kernelI14__hip_bfloat16S1_Li128ELi32ELi128ELNS_18Fp8KVCacheDataTypeE0ELb1EEEvPT_PKS3_PKT0_S9_ifPKiSB_iPKfiiiSD_SD_iiiii,comdat
.Lfunc_end150:
	.size	_ZN4vllm25paged_attention_v1_kernelI14__hip_bfloat16S1_Li128ELi32ELi128ELNS_18Fp8KVCacheDataTypeE0ELb1EEEvPT_PKS3_PKT0_S9_ifPKiSB_iPKfiiiSD_SD_iiiii, .Lfunc_end150-_ZN4vllm25paged_attention_v1_kernelI14__hip_bfloat16S1_Li128ELi32ELi128ELNS_18Fp8KVCacheDataTypeE0ELb1EEEvPT_PKS3_PKT0_S9_ifPKiSB_iPKfiiiSD_SD_iiiii
                                        ; -- End function
	.set _ZN4vllm25paged_attention_v1_kernelI14__hip_bfloat16S1_Li128ELi32ELi128ELNS_18Fp8KVCacheDataTypeE0ELb1EEEvPT_PKS3_PKT0_S9_ifPKiSB_iPKfiiiSD_SD_iiiii.num_vgpr, 128
	.set _ZN4vllm25paged_attention_v1_kernelI14__hip_bfloat16S1_Li128ELi32ELi128ELNS_18Fp8KVCacheDataTypeE0ELb1EEEvPT_PKS3_PKT0_S9_ifPKiSB_iPKfiiiSD_SD_iiiii.num_agpr, 0
	.set _ZN4vllm25paged_attention_v1_kernelI14__hip_bfloat16S1_Li128ELi32ELi128ELNS_18Fp8KVCacheDataTypeE0ELb1EEEvPT_PKS3_PKT0_S9_ifPKiSB_iPKfiiiSD_SD_iiiii.numbered_sgpr, 44
	.set _ZN4vllm25paged_attention_v1_kernelI14__hip_bfloat16S1_Li128ELi32ELi128ELNS_18Fp8KVCacheDataTypeE0ELb1EEEvPT_PKS3_PKT0_S9_ifPKiSB_iPKfiiiSD_SD_iiiii.num_named_barrier, 0
	.set _ZN4vllm25paged_attention_v1_kernelI14__hip_bfloat16S1_Li128ELi32ELi128ELNS_18Fp8KVCacheDataTypeE0ELb1EEEvPT_PKS3_PKT0_S9_ifPKiSB_iPKfiiiSD_SD_iiiii.private_seg_size, 336
	.set _ZN4vllm25paged_attention_v1_kernelI14__hip_bfloat16S1_Li128ELi32ELi128ELNS_18Fp8KVCacheDataTypeE0ELb1EEEvPT_PKS3_PKT0_S9_ifPKiSB_iPKfiiiSD_SD_iiiii.uses_vcc, 1
	.set _ZN4vllm25paged_attention_v1_kernelI14__hip_bfloat16S1_Li128ELi32ELi128ELNS_18Fp8KVCacheDataTypeE0ELb1EEEvPT_PKS3_PKT0_S9_ifPKiSB_iPKfiiiSD_SD_iiiii.uses_flat_scratch, 0
	.set _ZN4vllm25paged_attention_v1_kernelI14__hip_bfloat16S1_Li128ELi32ELi128ELNS_18Fp8KVCacheDataTypeE0ELb1EEEvPT_PKS3_PKT0_S9_ifPKiSB_iPKfiiiSD_SD_iiiii.has_dyn_sized_stack, 0
	.set _ZN4vllm25paged_attention_v1_kernelI14__hip_bfloat16S1_Li128ELi32ELi128ELNS_18Fp8KVCacheDataTypeE0ELb1EEEvPT_PKS3_PKT0_S9_ifPKiSB_iPKfiiiSD_SD_iiiii.has_recursion, 0
	.set _ZN4vllm25paged_attention_v1_kernelI14__hip_bfloat16S1_Li128ELi32ELi128ELNS_18Fp8KVCacheDataTypeE0ELb1EEEvPT_PKS3_PKT0_S9_ifPKiSB_iPKfiiiSD_SD_iiiii.has_indirect_call, 0
	.section	.AMDGPU.csdata,"",@progbits
; Kernel info:
; codeLenInByte = 21308
; TotalNumSgprs: 46
; NumVgprs: 128
; ScratchSize: 336
; MemoryBound: 0
; FloatMode: 240
; IeeeMode: 1
; LDSByteSize: 288 bytes/workgroup (compile time only)
; SGPRBlocks: 0
; VGPRBlocks: 15
; NumSGPRsForWavesPerEU: 46
; NumVGPRsForWavesPerEU: 128
; Occupancy: 8
; WaveLimiterHint : 1
; COMPUTE_PGM_RSRC2:SCRATCH_EN: 1
; COMPUTE_PGM_RSRC2:USER_SGPR: 6
; COMPUTE_PGM_RSRC2:TRAP_HANDLER: 0
; COMPUTE_PGM_RSRC2:TGID_X_EN: 1
; COMPUTE_PGM_RSRC2:TGID_Y_EN: 1
; COMPUTE_PGM_RSRC2:TGID_Z_EN: 1
; COMPUTE_PGM_RSRC2:TIDIG_COMP_CNT: 0
	.section	.text._ZN4vllm25paged_attention_v1_kernelI14__hip_bfloat16S1_Li192ELi32ELi128ELNS_18Fp8KVCacheDataTypeE0ELb1EEEvPT_PKS3_PKT0_S9_ifPKiSB_iPKfiiiSD_SD_iiiii,"axG",@progbits,_ZN4vllm25paged_attention_v1_kernelI14__hip_bfloat16S1_Li192ELi32ELi128ELNS_18Fp8KVCacheDataTypeE0ELb1EEEvPT_PKS3_PKT0_S9_ifPKiSB_iPKfiiiSD_SD_iiiii,comdat
	.protected	_ZN4vllm25paged_attention_v1_kernelI14__hip_bfloat16S1_Li192ELi32ELi128ELNS_18Fp8KVCacheDataTypeE0ELb1EEEvPT_PKS3_PKT0_S9_ifPKiSB_iPKfiiiSD_SD_iiiii ; -- Begin function _ZN4vllm25paged_attention_v1_kernelI14__hip_bfloat16S1_Li192ELi32ELi128ELNS_18Fp8KVCacheDataTypeE0ELb1EEEvPT_PKS3_PKT0_S9_ifPKiSB_iPKfiiiSD_SD_iiiii
	.globl	_ZN4vllm25paged_attention_v1_kernelI14__hip_bfloat16S1_Li192ELi32ELi128ELNS_18Fp8KVCacheDataTypeE0ELb1EEEvPT_PKS3_PKT0_S9_ifPKiSB_iPKfiiiSD_SD_iiiii
	.p2align	8
	.type	_ZN4vllm25paged_attention_v1_kernelI14__hip_bfloat16S1_Li192ELi32ELi128ELNS_18Fp8KVCacheDataTypeE0ELb1EEEvPT_PKS3_PKT0_S9_ifPKiSB_iPKfiiiSD_SD_iiiii,@function
_ZN4vllm25paged_attention_v1_kernelI14__hip_bfloat16S1_Li192ELi32ELi128ELNS_18Fp8KVCacheDataTypeE0ELb1EEEvPT_PKS3_PKT0_S9_ifPKiSB_iPKfiiiSD_SD_iiiii: ; @_ZN4vllm25paged_attention_v1_kernelI14__hip_bfloat16S1_Li192ELi32ELi128ELNS_18Fp8KVCacheDataTypeE0ELb1EEEvPT_PKS3_PKT0_S9_ifPKiSB_iPKfiiiSD_SD_iiiii
; %bb.0:
	s_mov_b64 s[42:43], s[2:3]
	s_mov_b64 s[40:41], s[0:1]
	s_mov_b32 s10, s7
	s_add_u32 s40, s40, s9
	s_clause 0x2
	s_load_dword s9, s[4:5], 0x80
	s_load_dwordx2 s[0:1], s[4:5], 0x30
	s_load_dwordx2 s[2:3], s[4:5], 0x20
	s_addc_u32 s41, s41, 0
	s_ashr_i32 s11, s7, 31
	v_mov_b32_e32 v51, v0
	s_lshl_b64 s[12:13], s[10:11], 2
	s_mov_b32 s31, 0
	s_waitcnt lgkmcnt(0)
	s_add_u32 s0, s0, s12
	s_addc_u32 s1, s1, s13
	s_abs_i32 s7, s2
	s_abs_i32 s13, s9
	v_cvt_f32_u32_e32 v0, s7
	s_sub_i32 s12, 0, s7
	v_rcp_iflag_f32_e32 v0, v0
	v_mul_f32_e32 v0, 0x4f7ffffe, v0
	v_cvt_u32_f32_e32 v0, v0
	v_readfirstlane_b32 s11, v0
	s_mul_i32 s12, s12, s11
	s_mul_hi_u32 s12, s11, s12
	s_add_i32 s11, s11, s12
	s_xor_b32 s12, s9, s2
	s_mul_hi_u32 s11, s13, s11
	s_ashr_i32 s12, s12, 31
	s_mul_i32 s14, s11, s7
	s_sub_i32 s13, s13, s14
	s_add_i32 s14, s11, 1
	s_sub_i32 s15, s13, s7
	s_cmp_ge_u32 s13, s7
	s_cselect_b32 s11, s14, s11
	s_cselect_b32 s13, s15, s13
	s_add_i32 s14, s11, 1
	s_cmp_ge_u32 s13, s7
	s_cselect_b32 s7, s14, s11
	s_abs_i32 s22, s6
	s_xor_b32 s7, s7, s12
	s_sub_i32 s16, s7, s12
	s_load_dwordx2 s[12:13], s[4:5], 0x40
	s_abs_i32 s11, s16
	v_cvt_f32_u32_e32 v0, s11
	s_sub_i32 s14, 0, s11
	v_rcp_iflag_f32_e32 v0, v0
	v_mul_f32_e32 v0, 0x4f7ffffe, v0
	v_cvt_u32_f32_e32 v0, v0
	v_readfirstlane_b32 s7, v0
	s_mul_i32 s14, s14, s7
	s_mul_hi_u32 s14, s7, s14
	s_add_i32 s7, s7, s14
	s_waitcnt lgkmcnt(0)
	s_cmp_eq_u64 s[12:13], 0
	s_mul_hi_u32 s23, s22, s7
	s_cbranch_scc1 .LBB151_2
; %bb.1:
	s_ashr_i32 s7, s6, 31
	s_lshl_b64 s[14:15], s[6:7], 2
	s_add_u32 s12, s12, s14
	s_addc_u32 s13, s13, s15
	s_load_dword s31, s[12:13], 0x0
.LBB151_2:
	s_load_dword s28, s[0:1], 0x0
	s_load_dwordx4 s[12:15], s[4:5], 0x48
	v_lshlrev_b32_e32 v10, 4, v51
	s_ashr_i32 s0, s6, 31
	s_ashr_i32 s1, s16, 31
	s_mul_i32 s20, s6, 0xc0
	s_mov_b32 s7, exec_lo
	v_cmpx_gt_u32_e32 24, v51
	s_cbranch_execz .LBB151_4
; %bb.3:
	s_load_dwordx2 s[16:17], s[4:5], 0x8
	s_waitcnt lgkmcnt(0)
	s_mul_i32 s18, s12, s10
	s_ashr_i32 s19, s18, 31
	s_lshl_b64 s[18:19], s[18:19], 1
	s_add_u32 s12, s16, s18
	s_addc_u32 s15, s17, s19
	s_ashr_i32 s21, s20, 31
	s_lshl_b64 s[16:17], s[20:21], 1
	s_add_u32 s16, s12, s16
	s_addc_u32 s17, s15, s17
	global_load_dwordx4 v[0:3], v10, s[16:17]
	s_waitcnt vmcnt(0)
	ds_write_b128 v10, v[0:3]
.LBB151_4:
	s_or_b32 exec_lo, exec_lo, s7
	s_load_dwordx4 s[16:19], s[4:5], 0x68
	s_mul_i32 s7, s23, s11
	s_xor_b32 s1, s0, s1
	s_sub_i32 s0, s22, s7
	s_add_i32 s7, s23, 1
	s_waitcnt lgkmcnt(0)
	s_sub_i32 s12, s0, s11
	s_cmp_ge_u32 s0, s11
	s_mov_b32 s24, -1
	s_cselect_b32 s7, s7, s23
	s_cselect_b32 s0, s12, s0
	s_add_i32 s12, s7, 1
	s_cmp_ge_u32 s0, s11
	s_load_dword s0, s[4:5], 0x78
	s_cselect_b32 s7, s12, s7
	s_add_i32 s11, s28, -1
	s_xor_b32 s7, s7, s1
	s_waitcnt lgkmcnt(0)
	s_sub_i32 s1, s7, s1
	s_barrier
	buffer_gl0_inv
	s_abs_i32 s12, s19
                                        ; implicit-def: $sgpr29
	v_cvt_f32_u32_e32 v0, s12
	s_sub_i32 s7, 0, s12
	v_rcp_iflag_f32_e32 v0, v0
	v_mul_f32_e32 v0, 0x4f7ffffe, v0
	v_cvt_u32_f32_e32 v0, v0
	v_readfirstlane_b32 s21, v0
	s_mul_i32 s7, s7, s21
	s_mul_hi_u32 s15, s21, s7
	s_abs_i32 s7, s11
	s_add_i32 s21, s21, s15
	s_cmp_lt_i32 s0, 0
	s_mul_hi_u32 s15, s7, s21
	s_cbranch_scc0 .LBB151_6
; %bb.5:
	s_mul_i32 s2, s16, s2
	s_mov_b32 s24, 0
	s_add_i32 s2, s1, s2
	s_mul_i32 s2, s2, s0
	s_sub_i32 s29, 1, s2
.LBB151_6:
	s_load_dwordx2 s[22:23], s[4:5], 0x28
	s_ashr_i32 s2, s11, 31
	s_andn2_b32 vcc_lo, exec_lo, s24
	s_ashr_i32 s19, s19, 31
	s_cbranch_vccnz .LBB151_8
; %bb.7:
	s_mul_i32 s11, s9, s16
	s_add_i32 s6, s11, s6
	s_mul_i32 s0, s6, s0
	s_add_i32 s29, s0, 1
.LBB151_8:
	s_load_dword s0, s[4:5], 0x38
	s_mul_i32 s6, s15, s12
	s_xor_b32 s2, s2, s19
	s_sub_i32 s30, s7, s6
	s_add_i32 s16, s15, 1
	s_clause 0x2
	s_load_dwordx2 s[6:7], s[4:5], 0x0
	s_load_dwordx2 s[26:27], s[4:5], 0x18
	s_load_dword s11, s[4:5], 0x88
	v_lshrrev_b32_e32 v80, 5, v51
	v_and_b32_e32 v0, 31, v51
	v_mov_b32_e32 v73, 0xff7fffff
	v_lshrrev_b32_e32 v26, 3, v51
	s_mul_i32 s14, s1, s14
	v_lshlrev_b32_e32 v109, 5, v80
	v_lshlrev_b32_e32 v27, 2, v0
	buffer_store_dword v0, off, s[40:43], 0 offset:60 ; 4-byte Folded Spill
	s_waitcnt lgkmcnt(0)
	s_mul_i32 s24, s0, s10
	s_sub_i32 s0, s30, s12
	s_ashr_i32 s25, s24, 31
	s_cmp_ge_u32 s30, s12
	s_cselect_b32 s15, s16, s15
	s_cselect_b32 s0, s0, s30
	s_add_i32 s16, s15, 1
	s_cmp_ge_u32 s0, s12
	s_cselect_b32 s0, s16, s15
	s_add_i32 s15, s28, 31
	s_ashr_i32 s16, s15, 31
	s_lshr_b32 s16, s16, 27
	s_add_i32 s15, s15, s16
	s_ashr_i32 s16, s15, 5
	s_xor_b32 s15, s0, s2
	v_cmp_gt_i32_e64 s0, s16, v80
	s_sub_i32 s30, s15, s2
	s_mov_b32 s33, exec_lo
	s_and_b32 s1, s33, s0
	buffer_store_dword v51, off, s[40:43], 0 offset:572 ; 4-byte Folded Spill
	buffer_store_dword v80, off, s[40:43], 0 offset:576 ; 4-byte Folded Spill
	s_mov_b32 exec_lo, s1
	s_cbranch_execz .LBB151_16
; %bb.9:
	v_mov_b32_e32 v1, 0
	buffer_store_dword v10, off, s[40:43], 0 offset:580 ; 4-byte Folded Spill
	s_load_dwordx2 s[34:35], s[4:5], 0x10
	s_ashr_i32 s15, s14, 31
	s_sub_i32 s4, s30, s17
	ds_read_b128 v[2:5], v1
	ds_read_b128 v[6:9], v1 offset:16
	ds_read_b128 v[10:13], v1 offset:32
	ds_read_b128 v[14:17], v1 offset:48
	ds_read_b128 v[18:21], v1 offset:64
	ds_read_b128 v[22:25], v1 offset:80
	s_lshl_b64 s[36:37], s[14:15], 1
	v_cmp_neq_f32_e64 vcc_lo, s31, 0
	v_lshlrev_b32_e32 v79, 5, v80
	v_mov_b32_e32 v73, 0xff7fffff
	s_waitcnt lgkmcnt(0)
	v_and_b32_e32 v0, 0xffff0000, v2
	s_add_u32 s1, s34, s36
	s_addc_u32 s2, s35, s37
	s_abs_i32 s5, s18
	buffer_store_dword v0, off, s[40:43], 0 ; 4-byte Folded Spill
	v_lshlrev_b32_e32 v0, 16, v2
	s_sub_i32 s15, 0, s5
	s_lshl_b64 s[36:37], s[24:25], 2
	s_mov_b32 s34, s13
	s_add_u32 s35, s22, s36
	buffer_store_dword v0, off, s[40:43], 0 offset:4 ; 4-byte Folded Spill
	v_and_b32_e32 v0, 0xffff0000, v3
	s_addc_u32 s36, s23, s37
	buffer_store_dword v0, off, s[40:43], 0 offset:8 ; 4-byte Folded Spill
	v_lshlrev_b32_e32 v0, 16, v3
	buffer_store_dword v0, off, s[40:43], 0 offset:12 ; 4-byte Folded Spill
	v_and_b32_e32 v0, 0xffff0000, v4
	buffer_store_dword v0, off, s[40:43], 0 offset:16 ; 4-byte Folded Spill
	v_lshlrev_b32_e32 v0, 16, v4
	buffer_store_dword v0, off, s[40:43], 0 offset:20 ; 4-byte Folded Spill
	v_and_b32_e32 v0, 0xffff0000, v5
	buffer_store_dword v0, off, s[40:43], 0 offset:24 ; 4-byte Folded Spill
	v_lshlrev_b32_e32 v0, 16, v5
	ds_read_b128 v[2:5], v1 offset:96
	buffer_store_dword v0, off, s[40:43], 0 offset:28 ; 4-byte Folded Spill
	v_and_b32_e32 v0, 0xffff0000, v6
	buffer_store_dword v0, off, s[40:43], 0 offset:32 ; 4-byte Folded Spill
	v_lshlrev_b32_e32 v0, 16, v6
	buffer_store_dword v0, off, s[40:43], 0 offset:36 ; 4-byte Folded Spill
	v_and_b32_e32 v0, 0xffff0000, v7
	buffer_store_dword v0, off, s[40:43], 0 offset:40 ; 4-byte Folded Spill
	v_lshlrev_b32_e32 v0, 16, v7
	buffer_store_dword v0, off, s[40:43], 0 offset:44 ; 4-byte Folded Spill
	v_and_b32_e32 v0, 0xffff0000, v8
	buffer_store_dword v0, off, s[40:43], 0 offset:48 ; 4-byte Folded Spill
	v_lshlrev_b32_e32 v0, 16, v8
	buffer_store_dword v0, off, s[40:43], 0 offset:52 ; 4-byte Folded Spill
	v_and_b32_e32 v0, 0xffff0000, v9
	buffer_store_dword v0, off, s[40:43], 0 offset:56 ; 4-byte Folded Spill
	v_lshlrev_b32_e32 v0, 16, v9
	ds_read_b128 v[6:9], v1 offset:112
	buffer_store_dword v0, off, s[40:43], 0 offset:64 ; 4-byte Folded Spill
	v_and_b32_e32 v0, 0xffff0000, v10
	buffer_store_dword v0, off, s[40:43], 0 offset:68 ; 4-byte Folded Spill
	v_lshlrev_b32_e32 v0, 16, v10
	buffer_store_dword v0, off, s[40:43], 0 offset:72 ; 4-byte Folded Spill
	v_and_b32_e32 v0, 0xffff0000, v11
	buffer_store_dword v0, off, s[40:43], 0 offset:76 ; 4-byte Folded Spill
	v_lshlrev_b32_e32 v0, 16, v11
	;; [unrolled: 4-line block ×16, first 2 shown]
	buffer_store_dword v0, off, s[40:43], 0 offset:192 ; 4-byte Folded Spill
	s_waitcnt lgkmcnt(1)
	v_and_b32_e32 v0, 0xffff0000, v2
	buffer_store_dword v0, off, s[40:43], 0 offset:196 ; 4-byte Folded Spill
	v_lshlrev_b32_e32 v0, 16, v2
	buffer_store_dword v0, off, s[40:43], 0 offset:200 ; 4-byte Folded Spill
	v_and_b32_e32 v0, 0xffff0000, v3
	buffer_store_dword v0, off, s[40:43], 0 offset:204 ; 4-byte Folded Spill
	v_lshlrev_b32_e32 v0, 16, v3
	buffer_store_dword v0, off, s[40:43], 0 offset:208 ; 4-byte Folded Spill
	;; [unrolled: 4-line block ×3, first 2 shown]
	v_and_b32_e32 v0, 0xffff0000, v5
	buffer_store_dword v0, off, s[40:43], 0 offset:220 ; 4-byte Folded Spill
	v_lshlrev_b32_e32 v0, 16, v5
	ds_read_b128 v[2:5], v1 offset:128
	buffer_store_dword v0, off, s[40:43], 0 offset:224 ; 4-byte Folded Spill
	s_waitcnt lgkmcnt(1)
	v_and_b32_e32 v0, 0xffff0000, v6
	buffer_store_dword v0, off, s[40:43], 0 offset:228 ; 4-byte Folded Spill
	v_lshlrev_b32_e32 v0, 16, v6
	buffer_store_dword v0, off, s[40:43], 0 offset:232 ; 4-byte Folded Spill
	v_and_b32_e32 v0, 0xffff0000, v7
	buffer_store_dword v0, off, s[40:43], 0 offset:236 ; 4-byte Folded Spill
	v_lshlrev_b32_e32 v0, 16, v7
	buffer_store_dword v0, off, s[40:43], 0 offset:240 ; 4-byte Folded Spill
	;; [unrolled: 4-line block ×3, first 2 shown]
	v_and_b32_e32 v0, 0xffff0000, v9
	buffer_store_dword v0, off, s[40:43], 0 offset:252 ; 4-byte Folded Spill
	v_lshlrev_b32_e32 v0, 16, v9
	ds_read_b128 v[6:9], v1 offset:144
	buffer_store_dword v0, off, s[40:43], 0 offset:256 ; 4-byte Folded Spill
	s_waitcnt lgkmcnt(1)
	v_and_b32_e32 v0, 0xffff0000, v2
	buffer_store_dword v0, off, s[40:43], 0 offset:260 ; 4-byte Folded Spill
	v_lshlrev_b32_e32 v0, 16, v2
	buffer_store_dword v0, off, s[40:43], 0 offset:264 ; 4-byte Folded Spill
	v_and_b32_e32 v0, 0xffff0000, v3
	buffer_store_dword v0, off, s[40:43], 0 offset:268 ; 4-byte Folded Spill
	v_lshlrev_b32_e32 v0, 16, v3
	buffer_store_dword v0, off, s[40:43], 0 offset:272 ; 4-byte Folded Spill
	v_and_b32_e32 v0, 0xffff0000, v4
	buffer_store_dword v0, off, s[40:43], 0 offset:276 ; 4-byte Folded Spill
	v_lshlrev_b32_e32 v0, 16, v4
	buffer_store_dword v0, off, s[40:43], 0 offset:280 ; 4-byte Folded Spill
	v_and_b32_e32 v0, 0xffff0000, v5
	buffer_store_dword v0, off, s[40:43], 0 offset:284 ; 4-byte Folded Spill
	v_lshlrev_b32_e32 v0, 16, v5
	buffer_store_dword v0, off, s[40:43], 0 offset:288 ; 4-byte Folded Spill
	s_waitcnt lgkmcnt(0)
	v_and_b32_e32 v0, 0xffff0000, v6
	buffer_store_dword v0, off, s[40:43], 0 offset:292 ; 4-byte Folded Spill
	v_lshlrev_b32_e32 v0, 16, v6
	buffer_store_dword v0, off, s[40:43], 0 offset:296 ; 4-byte Folded Spill
	v_and_b32_e32 v0, 0xffff0000, v7
	buffer_store_dword v0, off, s[40:43], 0 offset:300 ; 4-byte Folded Spill
	v_lshlrev_b32_e32 v0, 16, v7
	buffer_store_dword v0, off, s[40:43], 0 offset:304 ; 4-byte Folded Spill
	v_and_b32_e32 v0, 0xffff0000, v8
	buffer_store_dword v0, off, s[40:43], 0 offset:308 ; 4-byte Folded Spill
	v_lshlrev_b32_e32 v0, 16, v8
	buffer_store_dword v0, off, s[40:43], 0 offset:312 ; 4-byte Folded Spill
	v_and_b32_e32 v0, 0xffff0000, v9
	buffer_store_dword v0, off, s[40:43], 0 offset:316 ; 4-byte Folded Spill
	v_lshlrev_b32_e32 v0, 16, v9
	buffer_store_dword v0, off, s[40:43], 0 offset:320 ; 4-byte Folded Spill
	ds_read_b128 v[2:5], v1 offset:160
	ds_read_b128 v[6:9], v1 offset:176
	s_waitcnt lgkmcnt(1)
	v_and_b32_e32 v0, 0xffff0000, v2
	buffer_store_dword v0, off, s[40:43], 0 offset:324 ; 4-byte Folded Spill
	v_lshlrev_b32_e32 v0, 16, v2
	buffer_store_dword v0, off, s[40:43], 0 offset:328 ; 4-byte Folded Spill
	v_and_b32_e32 v0, 0xffff0000, v3
	buffer_store_dword v0, off, s[40:43], 0 offset:332 ; 4-byte Folded Spill
	v_lshlrev_b32_e32 v0, 16, v3
	buffer_store_dword v0, off, s[40:43], 0 offset:336 ; 4-byte Folded Spill
	v_and_b32_e32 v0, 0xffff0000, v4
	buffer_store_dword v0, off, s[40:43], 0 offset:340 ; 4-byte Folded Spill
	v_lshlrev_b32_e32 v0, 16, v4
	buffer_store_dword v0, off, s[40:43], 0 offset:344 ; 4-byte Folded Spill
	v_and_b32_e32 v0, 0xffff0000, v5
	buffer_store_dword v0, off, s[40:43], 0 offset:348 ; 4-byte Folded Spill
	v_lshlrev_b32_e32 v0, 16, v5
	buffer_store_dword v0, off, s[40:43], 0 offset:352 ; 4-byte Folded Spill
	s_waitcnt lgkmcnt(0)
	v_and_b32_e32 v0, 0xffff0000, v6
	buffer_store_dword v0, off, s[40:43], 0 offset:356 ; 4-byte Folded Spill
	v_lshlrev_b32_e32 v0, 16, v6
	buffer_store_dword v0, off, s[40:43], 0 offset:360 ; 4-byte Folded Spill
	v_and_b32_e32 v0, 0xffff0000, v7
	buffer_store_dword v0, off, s[40:43], 0 offset:364 ; 4-byte Folded Spill
	v_lshlrev_b32_e32 v0, 16, v7
	buffer_store_dword v0, off, s[40:43], 0 offset:368 ; 4-byte Folded Spill
	v_and_b32_e32 v0, 0xffff0000, v8
	buffer_store_dword v0, off, s[40:43], 0 offset:372 ; 4-byte Folded Spill
	v_lshlrev_b32_e32 v0, 16, v8
	buffer_store_dword v0, off, s[40:43], 0 offset:376 ; 4-byte Folded Spill
	v_and_b32_e32 v0, 0xffff0000, v9
	buffer_store_dword v0, off, s[40:43], 0 offset:380 ; 4-byte Folded Spill
	v_lshlrev_b32_e32 v0, 16, v9
	buffer_store_dword v0, off, s[40:43], 0 offset:384 ; 4-byte Folded Spill
	ds_read_b128 v[2:5], v1 offset:192
	ds_read_b128 v[6:9], v1 offset:208
	s_waitcnt lgkmcnt(1)
	v_and_b32_e32 v0, 0xffff0000, v2
	buffer_store_dword v0, off, s[40:43], 0 offset:388 ; 4-byte Folded Spill
	v_lshlrev_b32_e32 v0, 16, v2
	buffer_store_dword v0, off, s[40:43], 0 offset:392 ; 4-byte Folded Spill
	v_and_b32_e32 v0, 0xffff0000, v3
	buffer_store_dword v0, off, s[40:43], 0 offset:396 ; 4-byte Folded Spill
	v_lshlrev_b32_e32 v0, 16, v3
	buffer_store_dword v0, off, s[40:43], 0 offset:400 ; 4-byte Folded Spill
	v_and_b32_e32 v0, 0xffff0000, v4
	buffer_store_dword v0, off, s[40:43], 0 offset:404 ; 4-byte Folded Spill
	v_lshlrev_b32_e32 v0, 16, v4
	buffer_store_dword v0, off, s[40:43], 0 offset:408 ; 4-byte Folded Spill
	v_and_b32_e32 v0, 0xffff0000, v5
	buffer_store_dword v0, off, s[40:43], 0 offset:412 ; 4-byte Folded Spill
	v_lshlrev_b32_e32 v0, 16, v5
	buffer_store_dword v0, off, s[40:43], 0 offset:416 ; 4-byte Folded Spill
	s_waitcnt lgkmcnt(0)
	v_and_b32_e32 v0, 0xffff0000, v6
	buffer_store_dword v0, off, s[40:43], 0 offset:420 ; 4-byte Folded Spill
	v_lshlrev_b32_e32 v0, 16, v6
	buffer_store_dword v0, off, s[40:43], 0 offset:424 ; 4-byte Folded Spill
	v_and_b32_e32 v0, 0xffff0000, v7
	buffer_store_dword v0, off, s[40:43], 0 offset:428 ; 4-byte Folded Spill
	v_lshlrev_b32_e32 v0, 16, v7
	buffer_store_dword v0, off, s[40:43], 0 offset:432 ; 4-byte Folded Spill
	v_and_b32_e32 v0, 0xffff0000, v8
	buffer_store_dword v0, off, s[40:43], 0 offset:436 ; 4-byte Folded Spill
	v_lshlrev_b32_e32 v0, 16, v8
	buffer_store_dword v0, off, s[40:43], 0 offset:440 ; 4-byte Folded Spill
	v_and_b32_e32 v0, 0xffff0000, v9
	buffer_store_dword v0, off, s[40:43], 0 offset:444 ; 4-byte Folded Spill
	v_lshlrev_b32_e32 v0, 16, v9
	buffer_store_dword v0, off, s[40:43], 0 offset:448 ; 4-byte Folded Spill
	ds_read_b128 v[2:5], v1 offset:224
	ds_read_b128 v[6:9], v1 offset:240
	s_waitcnt lgkmcnt(1)
	v_and_b32_e32 v0, 0xffff0000, v2
	buffer_store_dword v0, off, s[40:43], 0 offset:452 ; 4-byte Folded Spill
	v_lshlrev_b32_e32 v0, 16, v2
	buffer_store_dword v0, off, s[40:43], 0 offset:456 ; 4-byte Folded Spill
	v_and_b32_e32 v0, 0xffff0000, v3
	buffer_store_dword v0, off, s[40:43], 0 offset:460 ; 4-byte Folded Spill
	v_lshlrev_b32_e32 v0, 16, v3
	buffer_store_dword v0, off, s[40:43], 0 offset:464 ; 4-byte Folded Spill
	v_and_b32_e32 v0, 0xffff0000, v4
	buffer_store_dword v0, off, s[40:43], 0 offset:468 ; 4-byte Folded Spill
	v_lshlrev_b32_e32 v0, 16, v4
	buffer_store_dword v0, off, s[40:43], 0 offset:472 ; 4-byte Folded Spill
	v_and_b32_e32 v0, 0xffff0000, v5
	buffer_store_dword v0, off, s[40:43], 0 offset:476 ; 4-byte Folded Spill
	v_lshlrev_b32_e32 v0, 16, v5
	buffer_store_dword v0, off, s[40:43], 0 offset:480 ; 4-byte Folded Spill
	s_waitcnt lgkmcnt(0)
	v_and_b32_e32 v0, 0xffff0000, v6
	buffer_store_dword v0, off, s[40:43], 0 offset:484 ; 4-byte Folded Spill
	v_lshlrev_b32_e32 v0, 16, v6
	buffer_store_dword v0, off, s[40:43], 0 offset:488 ; 4-byte Folded Spill
	v_and_b32_e32 v0, 0xffff0000, v7
	buffer_store_dword v0, off, s[40:43], 0 offset:492 ; 4-byte Folded Spill
	v_lshlrev_b32_e32 v0, 16, v7
	buffer_store_dword v0, off, s[40:43], 0 offset:496 ; 4-byte Folded Spill
	v_and_b32_e32 v0, 0xffff0000, v8
	buffer_store_dword v0, off, s[40:43], 0 offset:500 ; 4-byte Folded Spill
	v_lshlrev_b32_e32 v0, 16, v8
	buffer_store_dword v0, off, s[40:43], 0 offset:504 ; 4-byte Folded Spill
	v_and_b32_e32 v0, 0xffff0000, v9
	buffer_store_dword v0, off, s[40:43], 0 offset:508 ; 4-byte Folded Spill
	v_lshlrev_b32_e32 v0, 16, v9
	buffer_store_dword v0, off, s[40:43], 0 offset:512 ; 4-byte Folded Spill
	ds_read_b128 v[2:5], v1 offset:256
	ds_read_b128 v[6:9], v1 offset:272
	s_waitcnt lgkmcnt(1)
	v_and_b32_e32 v0, 0xffff0000, v2
	s_waitcnt lgkmcnt(0)
	v_and_b32_e32 v106, 0xffff0000, v9
	v_lshlrev_b32_e32 v107, 16, v9
	buffer_store_dword v0, off, s[40:43], 0 offset:516 ; 4-byte Folded Spill
	v_lshlrev_b32_e32 v0, 16, v2
	buffer_store_dword v0, off, s[40:43], 0 offset:520 ; 4-byte Folded Spill
	v_and_b32_e32 v0, 0xffff0000, v3
	buffer_store_dword v0, off, s[40:43], 0 offset:524 ; 4-byte Folded Spill
	v_lshlrev_b32_e32 v0, 16, v3
	buffer_store_dword v0, off, s[40:43], 0 offset:528 ; 4-byte Folded Spill
	v_and_b32_e32 v0, 0xffff0000, v4
	;; [unrolled: 4-line block ×6, first 2 shown]
	buffer_store_dword v0, off, s[40:43], 0 offset:564 ; 4-byte Folded Spill
	v_lshlrev_b32_e32 v0, 16, v8
	buffer_store_dword v0, off, s[40:43], 0 offset:568 ; 4-byte Folded Spill
	ds_read_b128 v[2:5], v1 offset:288
	ds_read_b128 v[6:9], v1 offset:304
	s_waitcnt lgkmcnt(1)
	v_and_b32_e32 v108, 0xffff0000, v2
	v_lshlrev_b32_e32 v110, 16, v2
	v_and_b32_e32 v111, 0xffff0000, v3
	v_lshlrev_b32_e32 v112, 16, v3
	;; [unrolled: 2-line block ×4, first 2 shown]
	s_waitcnt lgkmcnt(0)
	v_and_b32_e32 v117, 0xffff0000, v6
	v_lshlrev_b32_e32 v118, 16, v6
	v_and_b32_e32 v119, 0xffff0000, v7
	v_lshlrev_b32_e32 v120, 16, v7
	;; [unrolled: 2-line block ×4, first 2 shown]
	ds_read_b128 v[2:5], v1 offset:320
	ds_read_b128 v[6:9], v1 offset:336
	s_waitcnt lgkmcnt(1)
	v_and_b32_e32 v125, 0xffff0000, v2
	v_lshlrev_b32_e32 v126, 16, v2
	v_and_b32_e32 v127, 0xffff0000, v3
	v_lshlrev_b32_e32 v46, 16, v3
	;; [unrolled: 2-line block ×4, first 2 shown]
	s_waitcnt lgkmcnt(0)
	v_and_b32_e32 v49, 0xffff0000, v6
	v_lshlrev_b32_e32 v50, 16, v6
	v_and_b32_e32 v51, 0xffff0000, v7
	v_lshlrev_b32_e32 v52, 16, v7
	;; [unrolled: 2-line block ×4, first 2 shown]
	ds_read_b128 v[2:5], v1 offset:352
	ds_read_b128 v[6:9], v1 offset:368
	v_cvt_f32_u32_e32 v1, s5
	buffer_store_dword v26, off, s[40:43], 0 offset:584 ; 4-byte Folded Spill
	buffer_store_dword v27, off, s[40:43], 0 offset:588 ; 4-byte Folded Spill
	v_rcp_iflag_f32_e32 v1, v1
	v_mul_f32_e32 v1, 0x4f7ffffe, v1
	s_waitcnt lgkmcnt(1)
	v_and_b32_e32 v57, 0xffff0000, v2
	v_lshlrev_b32_e32 v58, 16, v2
	v_cvt_u32_f32_e32 v1, v1
	v_and_b32_e32 v59, 0xffff0000, v3
	v_lshlrev_b32_e32 v60, 16, v3
	v_and_b32_e32 v61, 0xffff0000, v4
	v_lshlrev_b32_e32 v62, 16, v4
	v_mul_lo_u32 v2, s15, v1
	v_and_b32_e32 v63, 0xffff0000, v5
	v_lshlrev_b32_e32 v64, 16, v5
	s_waitcnt lgkmcnt(0)
	v_and_b32_e32 v65, 0xffff0000, v6
	v_lshlrev_b32_e32 v66, 16, v6
	v_and_b32_e32 v67, 0xffff0000, v7
	v_lshlrev_b32_e32 v68, 16, v7
	v_and_b32_e32 v69, 0xffff0000, v8
	v_mul_hi_u32 v2, v1, v2
	v_lshlrev_b32_e32 v70, 16, v8
	v_and_b32_e32 v71, 0xffff0000, v9
	v_lshlrev_b32_e32 v72, 16, v9
	s_mov_b32 s15, 0
	v_add_nc_u32_e32 v74, v1, v2
	buffer_load_dword v2, off, s[40:43], 0 offset:60 ; 4-byte Folded Reload
	v_and_b32_e32 v1, 0x7c, v26
	v_add_co_u32 v41, s35, s35, v1
	v_add_co_ci_u32_e64 v42, null, s36, 0, s35
	s_waitcnt vmcnt(0)
	v_subrev_nc_u32_e32 v1, s28, v2
	v_add_nc_u32_e32 v75, 1, v1
	v_lshl_or_b32 v1, v80, 7, v27
	v_add_nc_u32_e32 v76, 0x1a0, v1
	v_lshlrev_b32_e32 v1, 4, v2
	v_add_co_u32 v77, s1, s1, v1
	v_add_co_ci_u32_e64 v78, null, s2, 0, s1
	s_branch .LBB151_11
.LBB151_10:                             ;   in Loop: Header=BB151_11 Depth=1
	s_or_b32 exec_lo, exec_lo, s35
	v_add_nc_u32_e32 v80, 4, v80
	v_add_co_u32 v41, s1, v41, 16
	v_add_co_ci_u32_e64 v42, null, 0, v42, s1
	v_cmp_le_i32_e64 s1, s16, v80
	v_add_nc_u32_e32 v79, 0x80, v79
	v_add_nc_u32_e32 v76, 0x200, v76
	s_or_b32 s15, s1, s15
	s_andn2_b32 exec_lo, exec_lo, s15
	s_cbranch_execz .LBB151_15
.LBB151_11:                             ; =>This Inner Loop Header: Depth=1
	v_mul_hi_u32 v1, v79, s21
	v_mul_lo_u32 v2, v1, s12
	v_add_nc_u32_e32 v3, 1, v1
	v_sub_nc_u32_e32 v2, v79, v2
	v_subrev_nc_u32_e32 v4, s12, v2
	v_cmp_le_u32_e64 s1, s12, v2
	v_cndmask_b32_e64 v1, v1, v3, s1
	v_cndmask_b32_e64 v2, v2, v4, s1
	v_add_nc_u32_e32 v3, 1, v1
	v_cmp_le_u32_e64 s1, s12, v2
	v_cndmask_b32_e64 v1, v1, v3, s1
	v_xor_b32_e32 v1, s19, v1
	v_subrev_nc_u32_e32 v1, s19, v1
	v_add_nc_u32_e32 v2, s29, v1
	v_cmp_ge_i32_e64 s2, s4, v1
	v_sub_nc_u32_e32 v3, 0, v2
	v_max_i32_e32 v3, v2, v3
	v_ashrrev_i32_e32 v2, 31, v2
	v_mul_hi_u32 v4, v3, v74
	v_mul_lo_u32 v4, v4, s5
	v_sub_nc_u32_e32 v3, v3, v4
	v_subrev_nc_u32_e32 v4, s5, v3
	v_cmp_le_u32_e64 s1, s5, v3
	v_cndmask_b32_e64 v3, v3, v4, s1
	v_subrev_nc_u32_e32 v4, s5, v3
	v_cmp_le_u32_e64 s1, s5, v3
	v_cndmask_b32_e64 v3, v3, v4, s1
	v_xor_b32_e32 v3, v3, v2
	v_sub_nc_u32_e32 v2, v3, v2
	v_cmp_ne_u32_e64 s1, 0, v2
	s_and_b32 s1, s1, s2
	s_and_saveexec_b32 s2, s1
	s_xor_b32 s1, exec_lo, s2
; %bb.12:                               ;   in Loop: Header=BB151_11 Depth=1
	v_mov_b32_e32 v1, 0xff7fffff
	ds_write_b32 v76, v1
; %bb.13:                               ;   in Loop: Header=BB151_11 Depth=1
	s_andn2_saveexec_b32 s35, s1
	s_cbranch_execz .LBB151_10
; %bb.14:                               ;   in Loop: Header=BB151_11 Depth=1
	global_load_dword v1, v[41:42], off
	s_clause 0x1
	buffer_load_dword v2, off, s[40:43], 0 offset:60
	buffer_load_dword v6, off, s[40:43], 0 offset:36
	s_waitcnt vmcnt(1)
	v_add_nc_u32_e32 v3, v2, v79
	v_mad_i64_i32 v[1:2], null, v1, s34, 0
	v_lshlrev_b64 v[1:2], 1, v[1:2]
	v_add_co_u32 v43, s1, v77, v1
	v_add_nc_u32_e32 v1, v75, v79
	v_add_co_ci_u32_e64 v44, null, v78, v2, s1
	v_cmp_gt_i32_e64 s1, s28, v3
	v_cvt_f32_i32_e32 v1, v1
	global_load_dwordx4 v[33:36], v[43:44], off offset:1536
	v_mul_f32_e32 v1, s31, v1
	v_cndmask_b32_e32 v81, 0, v1, vcc_lo
	global_load_dwordx4 v[1:4], v[43:44], off
	s_waitcnt vmcnt(0)
	v_lshlrev_b32_e32 v96, 16, v1
	v_and_b32_e32 v97, 0xffff0000, v1
	v_lshlrev_b32_e32 v94, 16, v2
	v_and_b32_e32 v95, 0xffff0000, v2
	;; [unrolled: 2-line block ×4, first 2 shown]
	global_load_dwordx4 v[1:4], v[43:44], off offset:512
	s_waitcnt vmcnt(0)
	v_and_b32_e32 v5, 0xffff0000, v1
	v_lshlrev_b32_e32 v1, 16, v1
	v_mul_f32_e32 v88, v6, v1
	buffer_load_dword v1, off, s[40:43], 0 offset:32 ; 4-byte Folded Reload
	s_waitcnt vmcnt(0)
	v_mul_f32_e32 v89, v1, v5
	buffer_load_dword v5, off, s[40:43], 0 offset:44 ; 4-byte Folded Reload
	v_and_b32_e32 v1, 0xffff0000, v2
	v_lshlrev_b32_e32 v2, 16, v2
	s_waitcnt vmcnt(0)
	v_mul_f32_e32 v87, v5, v2
	buffer_load_dword v2, off, s[40:43], 0 offset:40 ; 4-byte Folded Reload
	s_waitcnt vmcnt(0)
	v_mul_f32_e32 v86, v2, v1
	v_and_b32_e32 v1, 0xffff0000, v3
	v_lshlrev_b32_e32 v2, 16, v3
	buffer_load_dword v3, off, s[40:43], 0 offset:52 ; 4-byte Folded Reload
	s_waitcnt vmcnt(0)
	v_mul_f32_e32 v85, v3, v2
	s_clause 0x1
	buffer_load_dword v2, off, s[40:43], 0 offset:48
	buffer_load_dword v3, off, s[40:43], 0 offset:64
	s_waitcnt vmcnt(1)
	v_mul_f32_e32 v82, v2, v1
	v_lshlrev_b32_e32 v2, 16, v4
	v_and_b32_e32 v1, 0xffff0000, v4
	s_waitcnt vmcnt(0)
	v_mul_f32_e32 v84, v3, v2
	buffer_load_dword v2, off, s[40:43], 0 offset:56 ; 4-byte Folded Reload
	s_waitcnt vmcnt(0)
	v_mul_f32_e32 v83, v2, v1
	global_load_dwordx4 v[1:4], v[43:44], off offset:1024
	s_waitcnt vmcnt(0)
	v_and_b32_e32 v98, 0xffff0000, v1
	v_lshlrev_b32_e32 v99, 16, v1
	v_add_co_u32 v1, s2, 0x800, v43
	v_and_b32_e32 v100, 0xffff0000, v2
	v_lshlrev_b32_e32 v101, 16, v2
	v_and_b32_e32 v92, 0xffff0000, v3
	v_lshlrev_b32_e32 v93, 16, v3
	v_add_co_ci_u32_e64 v2, null, 0, v44, s2
	v_add_co_u32 v3, s2, v43, 0x1000
	v_and_b32_e32 v39, 0xffff0000, v4
	v_lshlrev_b32_e32 v40, 16, v4
	v_add_co_ci_u32_e64 v4, null, 0, v44, s2
	s_clause 0x3
	global_load_dwordx4 v[29:32], v[3:4], off offset:-2048
	global_load_dwordx4 v[25:28], v[1:2], off offset:512
	global_load_dwordx4 v[21:24], v[1:2], off offset:1024
	;; [unrolled: 1-line block ×3, first 2 shown]
	v_add_co_u32 v1, s2, 0x1000, v43
	v_add_co_ci_u32_e64 v2, null, 0, v44, s2
	s_clause 0x3
	global_load_dwordx4 v[13:16], v[3:4], off
	global_load_dwordx4 v[9:12], v[1:2], off offset:512
	global_load_dwordx4 v[5:8], v[1:2], off offset:1024
	;; [unrolled: 1-line block ×3, first 2 shown]
	buffer_load_dword v102, off, s[40:43], 0 ; 4-byte Folded Reload
	s_waitcnt vmcnt(0)
	v_fmac_f32_e32 v89, v102, v97
	buffer_load_dword v97, off, s[40:43], 0 offset:4 ; 4-byte Folded Reload
	s_waitcnt vmcnt(0)
	v_fmac_f32_e32 v88, v97, v96
	s_clause 0x1
	buffer_load_dword v96, off, s[40:43], 0 offset:72
	buffer_load_dword v97, off, s[40:43], 0 offset:100
	s_waitcnt vmcnt(1)
	v_fmac_f32_e32 v88, v96, v99
	buffer_load_dword v96, off, s[40:43], 0 offset:68 ; 4-byte Folded Reload
	s_waitcnt vmcnt(0)
	v_fmac_f32_e32 v89, v96, v98
	v_lshlrev_b32_e32 v96, 16, v33
	v_and_b32_e32 v33, 0xffff0000, v33
	v_fmac_f32_e32 v89, v97, v33
	buffer_load_dword v33, off, s[40:43], 0 offset:104 ; 4-byte Folded Reload
	s_waitcnt vmcnt(0)
	v_fmac_f32_e32 v88, v33, v96
	buffer_load_dword v96, off, s[40:43], 0 offset:112 ; 4-byte Folded Reload
	v_and_b32_e32 v33, 0xffff0000, v29
	v_lshlrev_b32_e32 v29, 16, v29
	s_waitcnt vmcnt(0)
	v_fmac_f32_e32 v88, v96, v29
	buffer_load_dword v29, off, s[40:43], 0 offset:108 ; 4-byte Folded Reload
	s_waitcnt vmcnt(0)
	v_fmac_f32_e32 v89, v29, v33
	buffer_load_dword v33, off, s[40:43], 0 offset:116 ; 4-byte Folded Reload
	v_lshlrev_b32_e32 v29, 16, v25
	v_and_b32_e32 v25, 0xffff0000, v25
	s_waitcnt vmcnt(0)
	v_fmac_f32_e32 v89, v33, v25
	buffer_load_dword v25, off, s[40:43], 0 offset:120 ; 4-byte Folded Reload
	s_waitcnt vmcnt(0)
	v_fmac_f32_e32 v88, v25, v29
	buffer_load_dword v29, off, s[40:43], 0 offset:200 ; 4-byte Folded Reload
	v_and_b32_e32 v25, 0xffff0000, v21
	v_lshlrev_b32_e32 v21, 16, v21
	s_waitcnt vmcnt(0)
	v_fmac_f32_e32 v88, v29, v21
	buffer_load_dword v21, off, s[40:43], 0 offset:196 ; 4-byte Folded Reload
	s_waitcnt vmcnt(0)
	v_fmac_f32_e32 v89, v21, v25
	buffer_load_dword v25, off, s[40:43], 0 offset:228 ; 4-byte Folded Reload
	v_lshlrev_b32_e32 v21, 16, v17
	v_and_b32_e32 v17, 0xffff0000, v17
	s_waitcnt vmcnt(0)
	;; [unrolled: 16-line block ×4, first 2 shown]
	v_fmac_f32_e32 v89, v9, v1
	s_clause 0x1
	buffer_load_dword v1, off, s[40:43], 0 offset:360
	buffer_load_dword v9, off, s[40:43], 0 offset:124
	s_waitcnt vmcnt(1)
	v_fmac_f32_e32 v88, v1, v5
	buffer_load_dword v1, off, s[40:43], 0 offset:8 ; 4-byte Folded Reload
	v_and_b32_e32 v5, 0xffff0000, v34
	s_waitcnt vmcnt(0)
	v_fmac_f32_e32 v86, v1, v95
	buffer_load_dword v1, off, s[40:43], 0 offset:12 ; 4-byte Folded Reload
	s_waitcnt vmcnt(0)
	v_fmac_f32_e32 v87, v1, v94
	buffer_load_dword v1, off, s[40:43], 0 offset:80 ; 4-byte Folded Reload
	;; [unrolled: 3-line block ×3, first 2 shown]
	s_waitcnt vmcnt(0)
	v_fmac_f32_e32 v86, v1, v100
	v_lshlrev_b32_e32 v1, 16, v34
	v_fmac_f32_e32 v86, v9, v5
	s_clause 0x1
	buffer_load_dword v5, off, s[40:43], 0 offset:128
	buffer_load_dword v9, off, s[40:43], 0 offset:136
	s_waitcnt vmcnt(1)
	v_fmac_f32_e32 v87, v5, v1
	v_lshlrev_b32_e32 v5, 16, v30
	v_and_b32_e32 v1, 0xffff0000, v30
	s_waitcnt vmcnt(0)
	v_fmac_f32_e32 v87, v9, v5
	s_clause 0x1
	buffer_load_dword v5, off, s[40:43], 0 offset:132
	buffer_load_dword v9, off, s[40:43], 0 offset:140
	s_waitcnt vmcnt(1)
	v_fmac_f32_e32 v86, v5, v1
	v_and_b32_e32 v5, 0xffff0000, v26
	v_lshlrev_b32_e32 v1, 16, v26
	s_waitcnt vmcnt(0)
	v_fmac_f32_e32 v86, v9, v5
	s_clause 0x1
	buffer_load_dword v5, off, s[40:43], 0 offset:144
	buffer_load_dword v9, off, s[40:43], 0 offset:208
	s_waitcnt vmcnt(1)
	v_fmac_f32_e32 v87, v5, v1
	v_lshlrev_b32_e32 v5, 16, v22
	v_and_b32_e32 v1, 0xffff0000, v22
	s_waitcnt vmcnt(0)
	v_fmac_f32_e32 v87, v9, v5
	s_clause 0x1
	buffer_load_dword v5, off, s[40:43], 0 offset:204
	buffer_load_dword v9, off, s[40:43], 0 offset:236
	s_waitcnt vmcnt(1)
	v_fmac_f32_e32 v86, v5, v1
	v_and_b32_e32 v5, 0xffff0000, v18
	v_lshlrev_b32_e32 v1, 16, v18
	s_waitcnt vmcnt(0)
	;; [unrolled: 18-line block ×3, first 2 shown]
	v_fmac_f32_e32 v86, v9, v5
	buffer_load_dword v5, off, s[40:43], 0 offset:304 ; 4-byte Folded Reload
	s_waitcnt vmcnt(0)
	v_fmac_f32_e32 v87, v5, v1
	v_and_b32_e32 v1, 0xffff0000, v6
	v_lshlrev_b32_e32 v5, 16, v6
	buffer_load_dword v6, off, s[40:43], 0 offset:336 ; 4-byte Folded Reload
	s_waitcnt vmcnt(0)
	v_fmac_f32_e32 v87, v6, v5
	buffer_load_dword v5, off, s[40:43], 0 offset:332 ; 4-byte Folded Reload
	s_waitcnt vmcnt(0)
	v_fmac_f32_e32 v86, v5, v1
	buffer_load_dword v5, off, s[40:43], 0 offset:364 ; 4-byte Folded Reload
	v_lshlrev_b32_e32 v1, 16, v2
	v_and_b32_e32 v2, 0xffff0000, v2
	s_waitcnt vmcnt(0)
	v_fmac_f32_e32 v86, v5, v2
	s_clause 0x1
	buffer_load_dword v2, off, s[40:43], 0 offset:368
	buffer_load_dword v5, off, s[40:43], 0 offset:148
	s_waitcnt vmcnt(1)
	v_fmac_f32_e32 v87, v2, v1
	buffer_load_dword v1, off, s[40:43], 0 offset:16 ; 4-byte Folded Reload
	v_and_b32_e32 v2, 0xffff0000, v35
	s_waitcnt vmcnt(0)
	v_fmac_f32_e32 v82, v1, v91
	buffer_load_dword v1, off, s[40:43], 0 offset:20 ; 4-byte Folded Reload
	s_waitcnt vmcnt(0)
	v_fmac_f32_e32 v85, v1, v90
	buffer_load_dword v1, off, s[40:43], 0 offset:88 ; 4-byte Folded Reload
	;; [unrolled: 3-line block ×3, first 2 shown]
	s_waitcnt vmcnt(0)
	v_fmac_f32_e32 v82, v1, v92
	v_lshlrev_b32_e32 v1, 16, v35
	v_fmac_f32_e32 v82, v5, v2
	s_clause 0x1
	buffer_load_dword v2, off, s[40:43], 0 offset:152
	buffer_load_dword v5, off, s[40:43], 0 offset:168
	s_waitcnt vmcnt(1)
	v_fmac_f32_e32 v85, v2, v1
	v_lshlrev_b32_e32 v2, 16, v31
	v_and_b32_e32 v1, 0xffff0000, v31
	s_waitcnt vmcnt(0)
	v_fmac_f32_e32 v85, v5, v2
	s_clause 0x1
	buffer_load_dword v2, off, s[40:43], 0 offset:164
	buffer_load_dword v5, off, s[40:43], 0 offset:180
	s_waitcnt vmcnt(1)
	v_fmac_f32_e32 v82, v2, v1
	v_and_b32_e32 v2, 0xffff0000, v27
	v_lshlrev_b32_e32 v1, 16, v27
	s_waitcnt vmcnt(0)
	v_fmac_f32_e32 v82, v5, v2
	s_clause 0x1
	buffer_load_dword v2, off, s[40:43], 0 offset:184
	buffer_load_dword v5, off, s[40:43], 0 offset:216
	s_waitcnt vmcnt(1)
	v_fmac_f32_e32 v85, v2, v1
	v_lshlrev_b32_e32 v2, 16, v23
	v_and_b32_e32 v1, 0xffff0000, v23
	s_waitcnt vmcnt(0)
	v_fmac_f32_e32 v85, v5, v2
	s_clause 0x1
	buffer_load_dword v2, off, s[40:43], 0 offset:212
	buffer_load_dword v5, off, s[40:43], 0 offset:244
	s_waitcnt vmcnt(1)
	v_fmac_f32_e32 v82, v2, v1
	v_and_b32_e32 v2, 0xffff0000, v19
	v_lshlrev_b32_e32 v1, 16, v19
	s_waitcnt vmcnt(0)
	;; [unrolled: 18-line block ×3, first 2 shown]
	v_fmac_f32_e32 v82, v5, v2
	s_clause 0x1
	buffer_load_dword v2, off, s[40:43], 0 offset:312
	buffer_load_dword v5, off, s[40:43], 0 offset:344
	s_waitcnt vmcnt(1)
	v_fmac_f32_e32 v85, v2, v1
	v_lshlrev_b32_e32 v2, 16, v7
	v_and_b32_e32 v1, 0xffff0000, v7
	s_waitcnt vmcnt(0)
	v_fmac_f32_e32 v85, v5, v2
	buffer_load_dword v2, off, s[40:43], 0 offset:340 ; 4-byte Folded Reload
	v_add_co_u32 v5, s2, 0x1800, v43
	v_add_co_ci_u32_e64 v6, null, 0, v44, s2
	v_add_co_u32 v7, s2, v43, 0x2000
	s_waitcnt vmcnt(0)
	v_fmac_f32_e32 v82, v2, v1
	v_lshlrev_b32_e32 v1, 16, v3
	v_and_b32_e32 v2, 0xffff0000, v3
	buffer_load_dword v3, off, s[40:43], 0 offset:372 ; 4-byte Folded Reload
	s_waitcnt vmcnt(0)
	v_fmac_f32_e32 v82, v3, v2
	s_clause 0x1
	buffer_load_dword v2, off, s[40:43], 0 offset:376
	buffer_load_dword v3, off, s[40:43], 0 offset:156
	s_waitcnt vmcnt(1)
	v_fmac_f32_e32 v85, v2, v1
	buffer_load_dword v1, off, s[40:43], 0 offset:24 ; 4-byte Folded Reload
	v_and_b32_e32 v2, 0xffff0000, v36
	s_waitcnt vmcnt(0)
	v_fmac_f32_e32 v83, v1, v38
	buffer_load_dword v1, off, s[40:43], 0 offset:28 ; 4-byte Folded Reload
	s_waitcnt vmcnt(0)
	v_fmac_f32_e32 v84, v1, v37
	buffer_load_dword v1, off, s[40:43], 0 offset:96 ; 4-byte Folded Reload
	;; [unrolled: 3-line block ×3, first 2 shown]
	s_waitcnt vmcnt(0)
	v_fmac_f32_e32 v83, v1, v39
	v_lshlrev_b32_e32 v1, 16, v36
	v_fmac_f32_e32 v83, v3, v2
	s_clause 0x1
	buffer_load_dword v2, off, s[40:43], 0 offset:160
	buffer_load_dword v3, off, s[40:43], 0 offset:176
	s_waitcnt vmcnt(1)
	v_fmac_f32_e32 v84, v2, v1
	v_lshlrev_b32_e32 v2, 16, v32
	v_and_b32_e32 v1, 0xffff0000, v32
	s_waitcnt vmcnt(0)
	v_fmac_f32_e32 v84, v3, v2
	s_clause 0x1
	buffer_load_dword v2, off, s[40:43], 0 offset:172
	buffer_load_dword v3, off, s[40:43], 0 offset:188
	s_waitcnt vmcnt(1)
	v_fmac_f32_e32 v83, v2, v1
	v_and_b32_e32 v2, 0xffff0000, v28
	v_lshlrev_b32_e32 v1, 16, v28
	s_waitcnt vmcnt(0)
	v_fmac_f32_e32 v83, v3, v2
	s_clause 0x1
	buffer_load_dword v2, off, s[40:43], 0 offset:192
	buffer_load_dword v3, off, s[40:43], 0 offset:224
	s_waitcnt vmcnt(1)
	v_fmac_f32_e32 v84, v2, v1
	v_lshlrev_b32_e32 v2, 16, v24
	v_and_b32_e32 v1, 0xffff0000, v24
	s_waitcnt vmcnt(0)
	v_fmac_f32_e32 v84, v3, v2
	s_clause 0x1
	buffer_load_dword v2, off, s[40:43], 0 offset:220
	buffer_load_dword v3, off, s[40:43], 0 offset:252
	s_waitcnt vmcnt(1)
	v_fmac_f32_e32 v83, v2, v1
	v_and_b32_e32 v2, 0xffff0000, v20
	v_lshlrev_b32_e32 v1, 16, v20
	s_waitcnt vmcnt(0)
	;; [unrolled: 18-line block ×3, first 2 shown]
	v_fmac_f32_e32 v83, v3, v2
	s_clause 0x1
	buffer_load_dword v2, off, s[40:43], 0 offset:320
	buffer_load_dword v3, off, s[40:43], 0 offset:352
	s_waitcnt vmcnt(1)
	v_fmac_f32_e32 v84, v2, v1
	v_lshlrev_b32_e32 v2, 16, v8
	v_and_b32_e32 v1, 0xffff0000, v8
	v_add_co_ci_u32_e64 v8, null, 0, v44, s2
	s_waitcnt vmcnt(0)
	v_fmac_f32_e32 v84, v3, v2
	s_clause 0x1
	buffer_load_dword v2, off, s[40:43], 0 offset:348
	buffer_load_dword v3, off, s[40:43], 0 offset:380
	s_waitcnt vmcnt(1)
	v_fmac_f32_e32 v83, v2, v1
	v_and_b32_e32 v2, 0xffff0000, v4
	v_lshlrev_b32_e32 v1, 16, v4
	s_waitcnt vmcnt(0)
	v_fmac_f32_e32 v83, v3, v2
	buffer_load_dword v2, off, s[40:43], 0 offset:384 ; 4-byte Folded Reload
	s_waitcnt vmcnt(0)
	v_fmac_f32_e32 v84, v2, v1
	global_load_dwordx4 v[1:4], v[7:8], off offset:-2048
	s_waitcnt vmcnt(0)
	v_and_b32_e32 v100, 0xffff0000, v1
	v_lshlrev_b32_e32 v101, 16, v1
	v_and_b32_e32 v98, 0xffff0000, v2
	v_lshlrev_b32_e32 v99, 16, v2
	;; [unrolled: 2-line block ×4, first 2 shown]
	s_clause 0x2
	global_load_dwordx4 v[1:4], v[5:6], off offset:512
	global_load_dwordx4 v[37:40], v[5:6], off offset:1024
	;; [unrolled: 1-line block ×3, first 2 shown]
	s_waitcnt vmcnt(2)
	v_lshlrev_b32_e32 v102, 16, v1
	v_and_b32_e32 v103, 0xffff0000, v1
	v_add_co_u32 v1, s2, 0x2000, v43
	v_lshlrev_b32_e32 v104, 16, v2
	v_and_b32_e32 v105, 0xffff0000, v2
	v_add_co_ci_u32_e64 v2, null, 0, v44, s2
	s_clause 0x3
	global_load_dwordx4 v[33:36], v[7:8], off
	global_load_dwordx4 v[25:28], v[1:2], off offset:512
	global_load_dwordx4 v[21:24], v[1:2], off offset:1024
	;; [unrolled: 1-line block ×3, first 2 shown]
	v_add_co_u32 v1, s2, 0x2800, v43
	v_add_co_ci_u32_e64 v2, null, 0, v44, s2
	v_lshlrev_b32_e32 v96, 16, v3
	v_and_b32_e32 v97, 0xffff0000, v3
	v_lshlrev_b32_e32 v92, 16, v4
	v_and_b32_e32 v93, 0xffff0000, v4
	s_clause 0x3
	global_load_dwordx4 v[13:16], v[1:2], off
	global_load_dwordx4 v[9:12], v[1:2], off offset:512
	global_load_dwordx4 v[5:8], v[1:2], off offset:1024
	;; [unrolled: 1-line block ×3, first 2 shown]
	s_clause 0x1
	buffer_load_dword v43, off, s[40:43], 0 offset:392
	buffer_load_dword v44, off, s[40:43], 0 offset:456
	s_waitcnt vmcnt(1)
	v_fmac_f32_e32 v88, v43, v101
	buffer_load_dword v43, off, s[40:43], 0 offset:388 ; 4-byte Folded Reload
	s_waitcnt vmcnt(0)
	v_fmac_f32_e32 v89, v43, v100
	buffer_load_dword v43, off, s[40:43], 0 offset:420 ; 4-byte Folded Reload
	;; [unrolled: 3-line block ×3, first 2 shown]
	s_waitcnt vmcnt(0)
	v_fmac_f32_e32 v88, v43, v102
	v_and_b32_e32 v43, 0xffff0000, v37
	v_lshlrev_b32_e32 v37, 16, v37
	v_fmac_f32_e32 v88, v44, v37
	buffer_load_dword v37, off, s[40:43], 0 offset:452 ; 4-byte Folded Reload
	s_waitcnt vmcnt(0)
	v_fmac_f32_e32 v89, v37, v43
	buffer_load_dword v43, off, s[40:43], 0 offset:484 ; 4-byte Folded Reload
	v_lshlrev_b32_e32 v37, 16, v29
	v_and_b32_e32 v29, 0xffff0000, v29
	s_waitcnt vmcnt(0)
	v_fmac_f32_e32 v89, v43, v29
	buffer_load_dword v29, off, s[40:43], 0 offset:488 ; 4-byte Folded Reload
	s_waitcnt vmcnt(0)
	v_fmac_f32_e32 v88, v29, v37
	buffer_load_dword v37, off, s[40:43], 0 offset:520 ; 4-byte Folded Reload
	v_and_b32_e32 v29, 0xffff0000, v33
	v_lshlrev_b32_e32 v33, 16, v33
	s_waitcnt vmcnt(0)
	v_fmac_f32_e32 v88, v37, v33
	buffer_load_dword v33, off, s[40:43], 0 offset:516 ; 4-byte Folded Reload
	s_waitcnt vmcnt(0)
	v_fmac_f32_e32 v89, v33, v29
	buffer_load_dword v33, off, s[40:43], 0 offset:548 ; 4-byte Folded Reload
	v_lshlrev_b32_e32 v29, 16, v25
	v_and_b32_e32 v25, 0xffff0000, v25
	s_waitcnt vmcnt(0)
	v_fmac_f32_e32 v89, v33, v25
	buffer_load_dword v25, off, s[40:43], 0 offset:552 ; 4-byte Folded Reload
	s_waitcnt vmcnt(0)
	v_fmac_f32_e32 v88, v25, v29
	v_and_b32_e32 v25, 0xffff0000, v21
	v_lshlrev_b32_e32 v21, 16, v21
	v_fmac_f32_e32 v89, v108, v25
	v_fmac_f32_e32 v88, v110, v21
	v_lshlrev_b32_e32 v21, 16, v17
	v_and_b32_e32 v17, 0xffff0000, v17
	v_fmac_f32_e32 v88, v118, v21
	v_fmac_f32_e32 v89, v117, v17
	v_and_b32_e32 v17, 0xffff0000, v13
	v_lshlrev_b32_e32 v13, 16, v13
	v_fmac_f32_e32 v89, v125, v17
	v_fmac_f32_e32 v88, v126, v13
	v_lshlrev_b32_e32 v13, 16, v9
	v_and_b32_e32 v9, 0xffff0000, v9
	v_fmac_f32_e32 v88, v50, v13
	v_fmac_f32_e32 v89, v49, v9
	v_and_b32_e32 v9, 0xffff0000, v5
	v_lshlrev_b32_e32 v5, 16, v5
	v_fmac_f32_e32 v89, v57, v9
	v_fmac_f32_e32 v88, v58, v5
	v_lshlrev_b32_e32 v5, 16, v1
	v_and_b32_e32 v1, 0xffff0000, v1
	buffer_load_dword v9, off, s[40:43], 0 offset:464 ; 4-byte Folded Reload
	v_fmac_f32_e32 v88, v66, v5
	v_fmac_f32_e32 v89, v65, v1
	buffer_load_dword v1, off, s[40:43], 0 offset:400 ; 4-byte Folded Reload
	v_lshlrev_b32_e32 v5, 16, v38
	s_waitcnt vmcnt(0)
	v_fmac_f32_e32 v87, v1, v99
	buffer_load_dword v1, off, s[40:43], 0 offset:396 ; 4-byte Folded Reload
	s_waitcnt vmcnt(0)
	v_fmac_f32_e32 v86, v1, v98
	buffer_load_dword v1, off, s[40:43], 0 offset:428 ; 4-byte Folded Reload
	s_waitcnt vmcnt(0)
	v_fmac_f32_e32 v86, v1, v105
	buffer_load_dword v1, off, s[40:43], 0 offset:432 ; 4-byte Folded Reload
	s_waitcnt vmcnt(0)
	v_fmac_f32_e32 v87, v1, v104
	v_and_b32_e32 v1, 0xffff0000, v38
	v_fmac_f32_e32 v87, v9, v5
	s_clause 0x1
	buffer_load_dword v5, off, s[40:43], 0 offset:460
	buffer_load_dword v9, off, s[40:43], 0 offset:492
	s_waitcnt vmcnt(1)
	v_fmac_f32_e32 v86, v5, v1
	v_and_b32_e32 v5, 0xffff0000, v30
	v_lshlrev_b32_e32 v1, 16, v30
	s_waitcnt vmcnt(0)
	v_fmac_f32_e32 v86, v9, v5
	s_clause 0x1
	buffer_load_dword v5, off, s[40:43], 0 offset:496
	buffer_load_dword v9, off, s[40:43], 0 offset:528
	s_waitcnt vmcnt(1)
	v_fmac_f32_e32 v87, v5, v1
	v_lshlrev_b32_e32 v5, 16, v34
	v_and_b32_e32 v1, 0xffff0000, v34
	s_waitcnt vmcnt(0)
	v_fmac_f32_e32 v87, v9, v5
	s_clause 0x1
	buffer_load_dword v5, off, s[40:43], 0 offset:524
	buffer_load_dword v9, off, s[40:43], 0 offset:556
	s_waitcnt vmcnt(1)
	v_fmac_f32_e32 v86, v5, v1
	v_and_b32_e32 v5, 0xffff0000, v26
	v_lshlrev_b32_e32 v1, 16, v26
	s_waitcnt vmcnt(0)
	v_fmac_f32_e32 v86, v9, v5
	buffer_load_dword v5, off, s[40:43], 0 offset:560 ; 4-byte Folded Reload
	s_waitcnt vmcnt(0)
	v_fmac_f32_e32 v87, v5, v1
	v_and_b32_e32 v1, 0xffff0000, v22
	v_lshlrev_b32_e32 v5, 16, v22
	v_fmac_f32_e32 v86, v111, v1
	v_fmac_f32_e32 v87, v112, v5
	v_lshlrev_b32_e32 v1, 16, v18
	v_and_b32_e32 v5, 0xffff0000, v18
	v_fmac_f32_e32 v87, v120, v1
	v_fmac_f32_e32 v86, v119, v5
	v_and_b32_e32 v1, 0xffff0000, v14
	v_lshlrev_b32_e32 v5, 16, v14
	v_fmac_f32_e32 v86, v127, v1
	v_fmac_f32_e32 v87, v46, v5
	v_lshlrev_b32_e32 v1, 16, v10
	v_and_b32_e32 v5, 0xffff0000, v10
	v_fmac_f32_e32 v87, v52, v1
	v_fmac_f32_e32 v86, v51, v5
	v_and_b32_e32 v1, 0xffff0000, v6
	v_lshlrev_b32_e32 v5, 16, v6
	v_fmac_f32_e32 v86, v59, v1
	v_fmac_f32_e32 v87, v60, v5
	v_lshlrev_b32_e32 v1, 16, v2
	v_and_b32_e32 v2, 0xffff0000, v2
	buffer_load_dword v5, off, s[40:43], 0 offset:472 ; 4-byte Folded Reload
	v_fmac_f32_e32 v87, v68, v1
	buffer_load_dword v1, off, s[40:43], 0 offset:408 ; 4-byte Folded Reload
	v_fmac_f32_e32 v86, v67, v2
	v_lshlrev_b32_e32 v2, 16, v39
	s_waitcnt vmcnt(0)
	v_fmac_f32_e32 v85, v1, v95
	buffer_load_dword v1, off, s[40:43], 0 offset:404 ; 4-byte Folded Reload
	s_waitcnt vmcnt(0)
	v_fmac_f32_e32 v82, v1, v94
	buffer_load_dword v1, off, s[40:43], 0 offset:436 ; 4-byte Folded Reload
	;; [unrolled: 3-line block ×3, first 2 shown]
	s_waitcnt vmcnt(0)
	v_fmac_f32_e32 v85, v1, v96
	v_and_b32_e32 v1, 0xffff0000, v39
	v_fmac_f32_e32 v85, v5, v2
	s_clause 0x1
	buffer_load_dword v2, off, s[40:43], 0 offset:468
	buffer_load_dword v5, off, s[40:43], 0 offset:500
	s_waitcnt vmcnt(1)
	v_fmac_f32_e32 v82, v2, v1
	v_and_b32_e32 v2, 0xffff0000, v31
	v_lshlrev_b32_e32 v1, 16, v31
	s_waitcnt vmcnt(0)
	v_fmac_f32_e32 v82, v5, v2
	s_clause 0x1
	buffer_load_dword v2, off, s[40:43], 0 offset:504
	buffer_load_dword v5, off, s[40:43], 0 offset:536
	s_waitcnt vmcnt(1)
	v_fmac_f32_e32 v85, v2, v1
	v_lshlrev_b32_e32 v2, 16, v35
	v_and_b32_e32 v1, 0xffff0000, v35
	s_waitcnt vmcnt(0)
	v_fmac_f32_e32 v85, v5, v2
	s_clause 0x1
	buffer_load_dword v2, off, s[40:43], 0 offset:532
	buffer_load_dword v5, off, s[40:43], 0 offset:564
	s_waitcnt vmcnt(1)
	v_fmac_f32_e32 v82, v2, v1
	v_and_b32_e32 v2, 0xffff0000, v27
	v_lshlrev_b32_e32 v1, 16, v27
	s_waitcnt vmcnt(0)
	v_fmac_f32_e32 v82, v5, v2
	buffer_load_dword v2, off, s[40:43], 0 offset:568 ; 4-byte Folded Reload
	s_waitcnt vmcnt(0)
	v_fmac_f32_e32 v85, v2, v1
	v_and_b32_e32 v1, 0xffff0000, v23
	v_lshlrev_b32_e32 v2, 16, v23
	v_fmac_f32_e32 v82, v113, v1
	v_fmac_f32_e32 v85, v114, v2
	v_lshlrev_b32_e32 v1, 16, v19
	v_and_b32_e32 v2, 0xffff0000, v19
	v_fmac_f32_e32 v85, v122, v1
	v_fmac_f32_e32 v82, v121, v2
	v_and_b32_e32 v1, 0xffff0000, v15
	v_lshlrev_b32_e32 v2, 16, v15
	v_fmac_f32_e32 v82, v45, v1
	v_fmac_f32_e32 v85, v0, v2
	v_lshlrev_b32_e32 v1, 16, v11
	v_and_b32_e32 v2, 0xffff0000, v11
	v_fmac_f32_e32 v85, v54, v1
	v_fmac_f32_e32 v82, v53, v2
	v_and_b32_e32 v1, 0xffff0000, v7
	v_lshlrev_b32_e32 v2, 16, v7
	v_fmac_f32_e32 v82, v61, v1
	v_fmac_f32_e32 v85, v62, v2
	v_lshlrev_b32_e32 v1, 16, v3
	v_and_b32_e32 v2, 0xffff0000, v3
	buffer_load_dword v3, off, s[40:43], 0 offset:480 ; 4-byte Folded Reload
	v_fmac_f32_e32 v85, v70, v1
	buffer_load_dword v1, off, s[40:43], 0 offset:416 ; 4-byte Folded Reload
	v_fmac_f32_e32 v82, v69, v2
	v_lshlrev_b32_e32 v2, 16, v40
	s_waitcnt vmcnt(0)
	v_fmac_f32_e32 v84, v1, v91
	buffer_load_dword v1, off, s[40:43], 0 offset:412 ; 4-byte Folded Reload
	s_waitcnt vmcnt(0)
	v_fmac_f32_e32 v83, v1, v90
	buffer_load_dword v1, off, s[40:43], 0 offset:444 ; 4-byte Folded Reload
	;; [unrolled: 3-line block ×3, first 2 shown]
	s_waitcnt vmcnt(0)
	v_fmac_f32_e32 v84, v1, v92
	v_and_b32_e32 v1, 0xffff0000, v40
	v_fmac_f32_e32 v84, v3, v2
	s_clause 0x1
	buffer_load_dword v2, off, s[40:43], 0 offset:476
	buffer_load_dword v3, off, s[40:43], 0 offset:508
	s_waitcnt vmcnt(1)
	v_fmac_f32_e32 v83, v2, v1
	v_and_b32_e32 v2, 0xffff0000, v32
	v_lshlrev_b32_e32 v1, 16, v32
	s_waitcnt vmcnt(0)
	v_fmac_f32_e32 v83, v3, v2
	s_clause 0x1
	buffer_load_dword v2, off, s[40:43], 0 offset:512
	buffer_load_dword v3, off, s[40:43], 0 offset:544
	s_waitcnt vmcnt(1)
	v_fmac_f32_e32 v84, v2, v1
	v_lshlrev_b32_e32 v2, 16, v36
	v_and_b32_e32 v1, 0xffff0000, v36
	s_waitcnt vmcnt(0)
	v_fmac_f32_e32 v84, v3, v2
	buffer_load_dword v2, off, s[40:43], 0 offset:540 ; 4-byte Folded Reload
	s_waitcnt vmcnt(0)
	v_fmac_f32_e32 v83, v2, v1
	v_lshlrev_b32_e32 v1, 16, v28
	v_and_b32_e32 v2, 0xffff0000, v28
	v_fmac_f32_e32 v84, v107, v1
	v_fmac_f32_e32 v83, v106, v2
	v_and_b32_e32 v1, 0xffff0000, v24
	v_lshlrev_b32_e32 v2, 16, v24
	v_fmac_f32_e32 v83, v115, v1
	v_fmac_f32_e32 v84, v116, v2
	v_lshlrev_b32_e32 v1, 16, v20
	v_and_b32_e32 v2, 0xffff0000, v20
	v_fmac_f32_e32 v84, v124, v1
	v_fmac_f32_e32 v83, v123, v2
	v_and_b32_e32 v1, 0xffff0000, v16
	v_lshlrev_b32_e32 v2, 16, v16
	v_fmac_f32_e32 v83, v47, v1
	;; [unrolled: 8-line block ×3, first 2 shown]
	v_fmac_f32_e32 v84, v64, v2
	v_lshlrev_b32_e32 v1, 16, v4
	v_and_b32_e32 v2, 0xffff0000, v4
	v_fmac_f32_e32 v84, v72, v1
	v_add_f32_e32 v1, v88, v89
	v_fmac_f32_e32 v83, v71, v2
	v_add_f32_e32 v1, v1, v87
	v_add_f32_e32 v1, v86, v1
	;; [unrolled: 1-line block ×6, first 2 shown]
	v_fmac_f32_e32 v81, s3, v1
	v_cndmask_b32_e64 v1, 0, v81, s1
	ds_write_b32 v76, v1
	v_max_f32_e32 v1, v73, v73
	v_max_f32_e32 v1, v1, v81
	v_cndmask_b32_e64 v73, v73, v1, s1
	s_branch .LBB151_10
.LBB151_15:
	s_or_b32 exec_lo, exec_lo, s15
	s_clause 0x4
	buffer_load_dword v51, off, s[40:43], 0 offset:572
	buffer_load_dword v80, off, s[40:43], 0 offset:576
	;; [unrolled: 1-line block ×5, first 2 shown]
.LBB151_16:
	s_or_b32 exec_lo, exec_lo, s33
	v_mbcnt_lo_u32_b32 v1, -1, 0
	v_max_f32_e32 v4, v73, v73
	v_xor_b32_e32 v0, 16, v1
	v_xor_b32_e32 v3, 8, v1
	v_cmp_gt_i32_e32 vcc_lo, 32, v0
	v_cndmask_b32_e32 v0, v1, v0, vcc_lo
	v_cmp_gt_i32_e32 vcc_lo, 32, v3
	v_lshlrev_b32_e32 v0, 2, v0
	v_cndmask_b32_e32 v3, v1, v3, vcc_lo
	ds_bpermute_b32 v2, v0, v73
	s_waitcnt lgkmcnt(0)
	v_max_f32_e32 v5, v2, v2
	v_lshlrev_b32_e32 v2, 2, v3
	v_max_f32_e32 v4, v4, v5
	v_xor_b32_e32 v5, 4, v1
	ds_bpermute_b32 v3, v2, v4
	v_cmp_gt_i32_e32 vcc_lo, 32, v5
	v_cndmask_b32_e32 v5, v1, v5, vcc_lo
	s_waitcnt lgkmcnt(0)
	v_max_f32_e32 v6, v3, v3
	v_lshlrev_b32_e32 v3, 2, v5
	v_max_f32_e32 v4, v4, v6
	v_xor_b32_e32 v6, 2, v1
	ds_bpermute_b32 v5, v3, v4
	v_cmp_gt_i32_e32 vcc_lo, 32, v6
	v_cndmask_b32_e32 v6, v1, v6, vcc_lo
	v_lshlrev_b32_e32 v33, 2, v6
	v_xor_b32_e32 v6, 1, v1
	v_cmp_gt_i32_e32 vcc_lo, 32, v6
	s_waitcnt lgkmcnt(0)
	v_max_f32_e32 v5, v5, v5
	v_cndmask_b32_e32 v6, v1, v6, vcc_lo
	v_max_f32_e32 v4, v4, v5
	v_lshlrev_b32_e32 v53, 2, v6
	ds_bpermute_b32 v5, v33, v4
	s_waitcnt lgkmcnt(0)
	v_max_f32_e32 v5, v5, v5
	v_max_f32_e32 v1, v4, v5
	buffer_load_dword v4, off, s[40:43], 0 offset:60 ; 4-byte Folded Reload
	ds_bpermute_b32 v5, v53, v1
	s_waitcnt vmcnt(0)
	v_cmp_eq_u32_e32 vcc_lo, 0, v4
	v_lshlrev_b32_e32 v4, 2, v80
	s_and_saveexec_b32 s1, vcc_lo
	s_cbranch_execz .LBB151_18
; %bb.17:
	s_waitcnt lgkmcnt(0)
	v_max_f32_e32 v5, v5, v5
	v_max_f32_e32 v1, v1, v1
	v_max_f32_e32 v1, v1, v5
	ds_write_b32 v4, v1 offset:384
.LBB151_18:
	s_or_b32 exec_lo, exec_lo, s1
	buffer_load_dword v1, off, s[40:43], 0 offset:60 ; 4-byte Folded Reload
	s_waitcnt vmcnt(0) lgkmcnt(0)
	s_waitcnt_vscnt null, 0x0
	s_barrier
	buffer_gl0_inv
	v_cmp_gt_u32_e64 s1, 4, v1
	v_mov_b32_e32 v1, 0xff7fffff
	s_and_saveexec_b32 s2, s1
; %bb.19:
	ds_read_b32 v1, v27 offset:384
; %bb.20:
	s_or_b32 exec_lo, exec_lo, s2
	s_waitcnt lgkmcnt(0)
	ds_bpermute_b32 v5, v33, v1
	v_max_f32_e32 v1, v1, v1
	s_lshl_b32 s2, s16, 5
	s_min_i32 s4, s2, s28
	v_cmp_gt_i32_e64 s2, s4, v51
	s_waitcnt lgkmcnt(0)
	v_max_f32_e32 v5, v5, v5
	v_max_f32_e32 v1, v1, v5
	ds_bpermute_b32 v5, v53, v1
	s_waitcnt lgkmcnt(0)
	v_max_f32_e32 v5, v5, v5
	v_max_f32_e32 v1, v1, v5
	v_mov_b32_e32 v5, 0
	ds_bpermute_b32 v6, v5, v1
	v_lshl_add_u32 v1, v51, 2, 0x1a0
	s_and_saveexec_b32 s5, s2
	s_cbranch_execz .LBB151_24
; %bb.21:
	v_lshl_add_u32 v7, v51, 2, 0x1a0
	v_mov_b32_e32 v5, 0
	v_mov_b32_e32 v8, v51
	s_mov_b32 s15, 0
	.p2align	6
.LBB151_22:                             ; =>This Inner Loop Header: Depth=1
	ds_read_b32 v9, v7
	v_add_nc_u32_e32 v8, 0x80, v8
	v_cmp_le_i32_e64 s3, s4, v8
	s_or_b32 s15, s3, s15
	s_waitcnt lgkmcnt(0)
	v_sub_f32_e32 v9, v9, v6
	v_mul_f32_e32 v9, 0x3fb8aa3b, v9
	v_exp_f32_e32 v9, v9
	ds_write_b32 v7, v9
	v_add_f32_e32 v5, v5, v9
	v_add_nc_u32_e32 v7, 0x200, v7
	s_andn2_b32 exec_lo, exec_lo, s15
	s_cbranch_execnz .LBB151_22
; %bb.23:
	s_or_b32 exec_lo, exec_lo, s15
.LBB151_24:
	s_or_b32 exec_lo, exec_lo, s5
	ds_bpermute_b32 v0, v0, v5
	s_waitcnt lgkmcnt(0)
	v_add_f32_e32 v0, v5, v0
	ds_bpermute_b32 v2, v2, v0
	s_waitcnt lgkmcnt(0)
	v_add_f32_e32 v0, v0, v2
	ds_bpermute_b32 v2, v3, v0
	s_waitcnt lgkmcnt(0)
	v_add_f32_e32 v0, v0, v2
	ds_bpermute_b32 v2, v33, v0
	s_waitcnt lgkmcnt(0)
	v_add_f32_e32 v0, v0, v2
	ds_bpermute_b32 v2, v53, v0
	s_waitcnt lgkmcnt(0)
	v_add_f32_e32 v0, v0, v2
	s_and_saveexec_b32 s3, vcc_lo
; %bb.25:
	ds_write_b32 v4, v0 offset:400
; %bb.26:
	s_or_b32 exec_lo, exec_lo, s3
	s_waitcnt lgkmcnt(0)
	s_barrier
	buffer_gl0_inv
	s_and_saveexec_b32 s3, s1
; %bb.27:
	ds_read_b32 v0, v27 offset:400
; %bb.28:
	s_or_b32 exec_lo, exec_lo, s3
	s_waitcnt lgkmcnt(0)
	ds_bpermute_b32 v2, v33, v0
	s_waitcnt lgkmcnt(0)
	v_add_f32_e32 v0, v0, v2
	ds_bpermute_b32 v2, v53, v0
	s_waitcnt lgkmcnt(0)
	v_add_f32_e32 v0, v0, v2
	v_mov_b32_e32 v2, 0
	ds_bpermute_b32 v0, v2, v0
	s_and_saveexec_b32 s1, s2
	s_cbranch_execz .LBB151_31
; %bb.29:
	s_waitcnt lgkmcnt(0)
	v_add_f32_e32 v0, 0x358637bd, v0
	s_mov_b32 s2, 0
	v_div_scale_f32 v2, null, v0, v0, 1.0
	v_div_scale_f32 v5, vcc_lo, 1.0, v0, 1.0
	v_rcp_f32_e32 v3, v2
	v_fma_f32 v4, -v2, v3, 1.0
	v_fmac_f32_e32 v3, v4, v3
	v_mul_f32_e32 v4, v5, v3
	v_fma_f32 v6, -v2, v4, v5
	v_fmac_f32_e32 v4, v6, v3
	v_fma_f32 v2, -v2, v4, v5
	v_div_fmas_f32 v2, v2, v3, v4
	v_div_fixup_f32 v0, v2, v0, 1.0
	v_mov_b32_e32 v2, v51
.LBB151_30:                             ; =>This Inner Loop Header: Depth=1
	ds_read_b32 v3, v1
	v_add_nc_u32_e32 v2, 0x80, v2
	v_cmp_le_i32_e32 vcc_lo, s4, v2
	s_or_b32 s2, vcc_lo, s2
	s_waitcnt lgkmcnt(0)
	v_mul_f32_e32 v3, v0, v3
	ds_write_b32 v1, v3
	v_add_nc_u32_e32 v1, 0x200, v1
	s_andn2_b32 exec_lo, exec_lo, s2
	s_cbranch_execnz .LBB151_30
.LBB151_31:
	s_or_b32 exec_lo, exec_lo, s1
	v_mov_b32_e32 v21, 0
	v_and_b32_e32 v52, 3, v51
	v_mov_b32_e32 v22, 0
	v_mov_b32_e32 v15, 0
	;; [unrolled: 1-line block ×3, first 2 shown]
	s_waitcnt lgkmcnt(0)
	v_mov_b32_e32 v0, 0
	v_mov_b32_e32 v31, 0
	;; [unrolled: 1-line block ×20, first 2 shown]
	s_barrier
	buffer_gl0_inv
	s_and_saveexec_b32 s3, s0
	s_cbranch_execz .LBB151_85
; %bb.32:
	s_ashr_i32 s15, s14, 31
	s_sub_i32 s4, s30, s17
	s_lshl_b64 s[0:1], s[14:15], 1
	v_lshlrev_b32_e32 v0, 3, v51
	s_add_u32 s2, s26, s0
	s_addc_u32 s15, s27, s1
	s_abs_i32 s5, s18
	buffer_store_dword v33, off, s[40:43], 0 offset:84 ; 4-byte Folded Spill
	buffer_store_dword v53, off, s[40:43], 0 offset:80 ; 4-byte Folded Spill
	v_cvt_f32_u32_e32 v1, s5
	v_and_b32_e32 v0, 24, v0
	s_sub_i32 s0, 0, s5
	v_and_b32_e32 v2, 0x1f0, v10
	v_lshlrev_b32_e32 v4, 5, v52
	v_rcp_iflag_f32_e32 v1, v1
	buffer_store_dword v0, off, s[40:43], 0 offset:64 ; 4-byte Folded Spill
	v_and_b32_e32 v3, 0x7c, v26
	s_add_i32 s14, s16, -1
	v_lshl_or_b32 v4, v80, 7, v4
	v_add_co_u32 v2, s2, s2, v2
	v_mov_b32_e32 v118, 0
	v_mov_b32_e32 v48, 0
	v_mov_b32_e32 v107, 0
	v_mul_f32_e32 v1, 0x4f7ffffe, v1
	v_mov_b32_e32 v108, 0
	v_mov_b32_e32 v113, 0
	;; [unrolled: 1-line block ×4, first 2 shown]
	v_cvt_u32_f32_e32 v1, v1
	v_mov_b32_e32 v115, 0
	v_mov_b32_e32 v116, 0
	;; [unrolled: 1-line block ×4, first 2 shown]
	v_mul_lo_u32 v0, s0, v1
	s_lshl_b64 s[0:1], s[24:25], 2
	v_mov_b32_e32 v111, 0
	s_add_u32 s0, s22, s0
	s_addc_u32 s1, s23, s1
	v_add_co_u32 v105, s0, s0, v3
	v_mov_b32_e32 v59, 0
	v_mul_hi_u32 v0, v1, v0
	v_mov_b32_e32 v55, 0
	v_mov_b32_e32 v54, 0
	;; [unrolled: 1-line block ×3, first 2 shown]
	buffer_store_dword v2, off, s[40:43], 0 offset:68 ; 4-byte Folded Spill
	v_add_co_ci_u32_e64 v2, null, s15, 0, s2
	v_add_nc_u32_e32 v119, 0x1a0, v4
	v_add_nc_u32_e32 v0, v1, v0
	v_add_co_ci_u32_e64 v106, null, s1, 0, s0
	v_mov_b32_e32 v43, 0
	v_mov_b32_e32 v39, 0
	buffer_store_dword v0, off, s[40:43], 0 ; 4-byte Folded Spill
	v_mov_b32_e32 v35, 0
	v_mov_b32_e32 v31, 0
	;; [unrolled: 1-line block ×8, first 2 shown]
	s_mov_b32 s17, s28
	s_mov_b32 s15, 0
	buffer_store_dword v52, off, s[40:43], 0 offset:76 ; 4-byte Folded Spill
	buffer_store_dword v2, off, s[40:43], 0 offset:72 ; 4-byte Folded Spill
	s_branch .LBB151_35
.LBB151_33:                             ;   in Loop: Header=BB151_35 Depth=1
	s_or_b32 exec_lo, exec_lo, s1
	s_waitcnt lgkmcnt(1)
	v_bfe_u32 v112, v85, 16, 1
	v_or_b32_e32 v121, 0x400000, v85
	v_cmp_u_f32_e32 vcc_lo, v85, v85
	v_add3_u32 v112, v112, v85, 0x7fff
	v_cndmask_b32_e32 v85, v112, v121, vcc_lo
	v_bfe_u32 v112, v86, 16, 1
	v_or_b32_e32 v121, 0x400000, v86
	v_cmp_u_f32_e32 vcc_lo, v86, v86
	v_add3_u32 v112, v112, v86, 0x7fff
	v_cndmask_b32_e32 v86, v112, v121, vcc_lo
	;; [unrolled: 5-line block ×3, first 2 shown]
	v_bfe_u32 v112, v88, 16, 1
	v_or_b32_e32 v121, 0x400000, v88
	v_cmp_u_f32_e32 vcc_lo, v88, v88
	v_and_b32_e32 v87, 0xffff0000, v87
	v_add3_u32 v112, v112, v88, 0x7fff
	s_waitcnt lgkmcnt(0)
	v_bfe_u32 v88, v81, 16, 1
	v_cndmask_b32_e32 v112, v112, v121, vcc_lo
	v_add3_u32 v88, v88, v81, 0x7fff
	v_or_b32_e32 v121, 0x400000, v81
	v_cmp_u_f32_e32 vcc_lo, v81, v81
	v_cndmask_b32_e32 v81, v88, v121, vcc_lo
	v_bfe_u32 v88, v82, 16, 1
	v_or_b32_e32 v121, 0x400000, v82
	v_cmp_u_f32_e32 vcc_lo, v82, v82
	v_add3_u32 v88, v88, v82, 0x7fff
	v_cndmask_b32_e32 v82, v88, v121, vcc_lo
	v_bfe_u32 v88, v83, 16, 1
	v_or_b32_e32 v121, 0x400000, v83
	v_cmp_u_f32_e32 vcc_lo, v83, v83
	v_and_b32_e32 v82, 0xffff0000, v82
	v_add3_u32 v88, v88, v83, 0x7fff
	v_bfe_u32 v83, v84, 16, 1
	v_cndmask_b32_e32 v121, v88, v121, vcc_lo
	v_add3_u32 v83, v83, v84, 0x7fff
	v_or_b32_e32 v88, 0x400000, v84
	v_cmp_u_f32_e32 vcc_lo, v84, v84
	v_and_b32_e32 v84, 0xffff0000, v86
	v_cndmask_b32_e32 v122, v83, v88, vcc_lo
	s_waitcnt vmcnt(1)
	v_and_b32_e32 v83, 0xffff0000, v101
	v_mul_f32_e32 v83, v84, v83
	v_bfe_u32 v86, v83, 16, 1
	v_or_b32_e32 v88, 0x400000, v83
	v_cmp_u_f32_e32 vcc_lo, v83, v83
	v_add3_u32 v86, v86, v83, 0x7fff
	v_lshlrev_b32_e32 v83, 16, v101
	v_cndmask_b32_e32 v123, v86, v88, vcc_lo
	v_and_b32_e32 v88, 0xffff0000, v85
	v_mul_f32_e32 v83, v88, v83
	v_bfe_u32 v85, v83, 16, 1
	v_or_b32_e32 v86, 0x400000, v83
	v_cmp_u_f32_e32 vcc_lo, v83, v83
	v_add3_u32 v85, v85, v83, 0x7fff
	v_and_b32_e32 v83, 0xffff0000, v112
	v_cndmask_b32_e32 v101, v85, v86, vcc_lo
	v_and_b32_e32 v85, 0xffff0000, v102
	v_and_b32_e32 v101, 0xffff0000, v101
	v_mul_f32_e32 v85, v83, v85
	v_bfe_u32 v86, v85, 16, 1
	v_or_b32_e32 v112, 0x400000, v85
	v_cmp_u_f32_e32 vcc_lo, v85, v85
	v_add3_u32 v86, v86, v85, 0x7fff
	v_lshlrev_b32_e32 v85, 16, v102
	v_cndmask_b32_e32 v112, v86, v112, vcc_lo
	v_mul_f32_e32 v85, v87, v85
	v_and_b32_e32 v112, 0xffff0000, v112
	v_bfe_u32 v86, v85, 16, 1
	v_or_b32_e32 v102, 0x400000, v85
	v_cmp_u_f32_e32 vcc_lo, v85, v85
	v_add3_u32 v86, v86, v85, 0x7fff
	v_and_b32_e32 v85, 0xffff0000, v103
	v_cndmask_b32_e32 v102, v86, v102, vcc_lo
	v_mul_f32_e32 v85, v82, v85
	v_and_b32_e32 v102, 0xffff0000, v102
	v_bfe_u32 v86, v85, 16, 1
	v_or_b32_e32 v124, 0x400000, v85
	v_cmp_u_f32_e32 vcc_lo, v85, v85
	v_add_f32_e32 v102, v102, v112
	v_add3_u32 v86, v86, v85, 0x7fff
	v_cndmask_b32_e32 v124, v86, v124, vcc_lo
	v_and_b32_e32 v86, 0xffff0000, v81
	v_lshlrev_b32_e32 v81, 16, v103
	v_mul_f32_e32 v81, v86, v81
	v_bfe_u32 v85, v81, 16, 1
	v_or_b32_e32 v103, 0x400000, v81
	v_cmp_u_f32_e32 vcc_lo, v81, v81
	v_add3_u32 v85, v85, v81, 0x7fff
	v_and_b32_e32 v81, 0xffff0000, v122
	v_cndmask_b32_e32 v103, v85, v103, vcc_lo
	v_and_b32_e32 v85, 0xffff0000, v104
	v_lshlrev_b32_e32 v104, 16, v104
	v_mul_f32_e32 v85, v81, v85
	v_bfe_u32 v122, v85, 16, 1
	v_or_b32_e32 v125, 0x400000, v85
	v_cmp_u_f32_e32 vcc_lo, v85, v85
	v_add3_u32 v122, v122, v85, 0x7fff
	v_and_b32_e32 v85, 0xffff0000, v121
	v_cndmask_b32_e32 v122, v122, v125, vcc_lo
	v_mul_f32_e32 v104, v85, v104
	v_bfe_u32 v121, v104, 16, 1
	v_or_b32_e32 v125, 0x400000, v104
	v_cmp_u_f32_e32 vcc_lo, v104, v104
	v_add3_u32 v121, v121, v104, 0x7fff
	v_cndmask_b32_e32 v104, v121, v125, vcc_lo
	v_and_b32_e32 v121, 0xffff0000, v123
	v_add_f32_e32 v101, v101, v121
	v_add_f32_e32 v101, v102, v101
	v_and_b32_e32 v102, 0xffff0000, v103
	v_and_b32_e32 v103, 0xffff0000, v124
	v_add_f32_e32 v102, v102, v103
	v_and_b32_e32 v103, 0xffff0000, v122
	v_add_f32_e32 v101, v102, v101
	;; [unrolled: 2-line block ×3, first 2 shown]
	v_add_f32_e32 v101, v102, v101
	v_add_f32_e32 v107, v107, v101
	v_and_b32_e32 v101, 0xffff0000, v97
	v_lshlrev_b32_e32 v97, 16, v97
	v_mul_f32_e32 v101, v84, v101
	v_mul_f32_e32 v97, v88, v97
	v_bfe_u32 v102, v101, 16, 1
	v_or_b32_e32 v103, 0x400000, v101
	v_cmp_u_f32_e32 vcc_lo, v101, v101
	v_add3_u32 v102, v102, v101, 0x7fff
	v_cndmask_b32_e32 v101, v102, v103, vcc_lo
	v_bfe_u32 v102, v97, 16, 1
	v_or_b32_e32 v103, 0x400000, v97
	v_cmp_u_f32_e32 vcc_lo, v97, v97
	v_and_b32_e32 v101, 0xffff0000, v101
	v_add3_u32 v102, v102, v97, 0x7fff
	v_cndmask_b32_e32 v97, v102, v103, vcc_lo
	v_and_b32_e32 v102, 0xffff0000, v98
	v_lshlrev_b32_e32 v98, 16, v98
	v_and_b32_e32 v97, 0xffff0000, v97
	v_mul_f32_e32 v102, v83, v102
	v_mul_f32_e32 v98, v87, v98
	v_add_f32_e32 v97, v97, v101
	v_bfe_u32 v103, v102, 16, 1
	v_or_b32_e32 v104, 0x400000, v102
	v_cmp_u_f32_e32 vcc_lo, v102, v102
	v_add3_u32 v103, v103, v102, 0x7fff
	v_cndmask_b32_e32 v102, v103, v104, vcc_lo
	v_bfe_u32 v103, v98, 16, 1
	v_or_b32_e32 v104, 0x400000, v98
	v_cmp_u_f32_e32 vcc_lo, v98, v98
	v_and_b32_e32 v101, 0xffff0000, v102
	v_add3_u32 v103, v103, v98, 0x7fff
	v_cndmask_b32_e32 v98, v103, v104, vcc_lo
	v_and_b32_e32 v103, 0xffff0000, v99
	v_lshlrev_b32_e32 v99, 16, v99
	v_and_b32_e32 v98, 0xffff0000, v98
	v_mul_f32_e32 v103, v82, v103
	v_mul_f32_e32 v99, v86, v99
	v_add_f32_e32 v98, v98, v101
	v_bfe_u32 v104, v103, 16, 1
	v_or_b32_e32 v112, 0x400000, v103
	v_cmp_u_f32_e32 vcc_lo, v103, v103
	v_add_f32_e32 v97, v98, v97
	v_add3_u32 v104, v104, v103, 0x7fff
	v_cndmask_b32_e32 v103, v104, v112, vcc_lo
	v_bfe_u32 v104, v99, 16, 1
	v_or_b32_e32 v112, 0x400000, v99
	v_cmp_u_f32_e32 vcc_lo, v99, v99
	v_add3_u32 v104, v104, v99, 0x7fff
	v_cndmask_b32_e32 v99, v104, v112, vcc_lo
	v_and_b32_e32 v104, 0xffff0000, v100
	v_lshlrev_b32_e32 v100, 16, v100
	v_and_b32_e32 v98, 0xffff0000, v99
	v_mul_f32_e32 v104, v81, v104
	v_mul_f32_e32 v100, v85, v100
	v_and_b32_e32 v99, 0xffff0000, v103
	v_bfe_u32 v112, v104, 16, 1
	v_or_b32_e32 v121, 0x400000, v104
	v_cmp_u_f32_e32 vcc_lo, v104, v104
	v_add_f32_e32 v98, v98, v99
	v_add3_u32 v112, v112, v104, 0x7fff
	v_add_f32_e32 v97, v98, v97
	v_cndmask_b32_e32 v104, v112, v121, vcc_lo
	v_bfe_u32 v112, v100, 16, 1
	v_or_b32_e32 v121, 0x400000, v100
	v_cmp_u_f32_e32 vcc_lo, v100, v100
	v_and_b32_e32 v99, 0xffff0000, v104
	v_add3_u32 v112, v112, v100, 0x7fff
	v_cndmask_b32_e32 v100, v112, v121, vcc_lo
	v_and_b32_e32 v98, 0xffff0000, v100
	v_add_f32_e32 v98, v98, v99
	v_add_f32_e32 v97, v98, v97
	;; [unrolled: 1-line block ×3, first 2 shown]
	v_and_b32_e32 v97, 0xffff0000, v93
	v_lshlrev_b32_e32 v93, 16, v93
	v_mul_f32_e32 v97, v84, v97
	v_mul_f32_e32 v93, v88, v93
	v_bfe_u32 v98, v97, 16, 1
	v_or_b32_e32 v99, 0x400000, v97
	v_cmp_u_f32_e32 vcc_lo, v97, v97
	v_add3_u32 v98, v98, v97, 0x7fff
	v_cndmask_b32_e32 v97, v98, v99, vcc_lo
	v_bfe_u32 v98, v93, 16, 1
	v_or_b32_e32 v99, 0x400000, v93
	v_cmp_u_f32_e32 vcc_lo, v93, v93
	v_and_b32_e32 v97, 0xffff0000, v97
	v_add3_u32 v98, v98, v93, 0x7fff
	v_cndmask_b32_e32 v93, v98, v99, vcc_lo
	v_and_b32_e32 v98, 0xffff0000, v94
	v_lshlrev_b32_e32 v94, 16, v94
	v_and_b32_e32 v93, 0xffff0000, v93
	v_mul_f32_e32 v98, v83, v98
	v_mul_f32_e32 v94, v87, v94
	v_add_f32_e32 v93, v93, v97
	v_bfe_u32 v99, v98, 16, 1
	v_or_b32_e32 v100, 0x400000, v98
	v_cmp_u_f32_e32 vcc_lo, v98, v98
	v_add3_u32 v99, v99, v98, 0x7fff
	v_cndmask_b32_e32 v98, v99, v100, vcc_lo
	v_bfe_u32 v99, v94, 16, 1
	v_or_b32_e32 v100, 0x400000, v94
	v_cmp_u_f32_e32 vcc_lo, v94, v94
	v_and_b32_e32 v97, 0xffff0000, v98
	v_add3_u32 v99, v99, v94, 0x7fff
	v_cndmask_b32_e32 v94, v99, v100, vcc_lo
	v_and_b32_e32 v99, 0xffff0000, v95
	v_lshlrev_b32_e32 v95, 16, v95
	v_and_b32_e32 v94, 0xffff0000, v94
	v_mul_f32_e32 v99, v82, v99
	v_mul_f32_e32 v95, v86, v95
	v_add_f32_e32 v94, v94, v97
	v_bfe_u32 v100, v99, 16, 1
	v_or_b32_e32 v101, 0x400000, v99
	v_cmp_u_f32_e32 vcc_lo, v99, v99
	v_add_f32_e32 v93, v94, v93
	v_add3_u32 v100, v100, v99, 0x7fff
	v_cndmask_b32_e32 v99, v100, v101, vcc_lo
	v_bfe_u32 v100, v95, 16, 1
	v_or_b32_e32 v101, 0x400000, v95
	v_cmp_u_f32_e32 vcc_lo, v95, v95
	v_add3_u32 v100, v100, v95, 0x7fff
	v_cndmask_b32_e32 v95, v100, v101, vcc_lo
	v_and_b32_e32 v100, 0xffff0000, v96
	v_lshlrev_b32_e32 v96, 16, v96
	v_and_b32_e32 v94, 0xffff0000, v95
	v_mul_f32_e32 v100, v81, v100
	v_mul_f32_e32 v96, v85, v96
	v_and_b32_e32 v95, 0xffff0000, v99
	v_bfe_u32 v101, v100, 16, 1
	v_or_b32_e32 v102, 0x400000, v100
	v_cmp_u_f32_e32 vcc_lo, v100, v100
	v_add_f32_e32 v94, v94, v95
	v_add3_u32 v101, v101, v100, 0x7fff
	v_add_f32_e32 v93, v94, v93
	v_cndmask_b32_e32 v100, v101, v102, vcc_lo
	v_bfe_u32 v101, v96, 16, 1
	v_or_b32_e32 v102, 0x400000, v96
	v_cmp_u_f32_e32 vcc_lo, v96, v96
	v_and_b32_e32 v95, 0xffff0000, v100
	v_add3_u32 v101, v101, v96, 0x7fff
	v_cndmask_b32_e32 v96, v101, v102, vcc_lo
	v_and_b32_e32 v94, 0xffff0000, v96
	v_add_f32_e32 v94, v94, v95
	v_add_f32_e32 v93, v94, v93
	;; [unrolled: 1-line block ×3, first 2 shown]
	v_and_b32_e32 v93, 0xffff0000, v89
	v_lshlrev_b32_e32 v89, 16, v89
	v_mul_f32_e32 v93, v84, v93
	v_mul_f32_e32 v89, v88, v89
	v_bfe_u32 v94, v93, 16, 1
	v_or_b32_e32 v95, 0x400000, v93
	v_cmp_u_f32_e32 vcc_lo, v93, v93
	v_add3_u32 v94, v94, v93, 0x7fff
	v_cndmask_b32_e32 v93, v94, v95, vcc_lo
	v_bfe_u32 v94, v89, 16, 1
	v_or_b32_e32 v95, 0x400000, v89
	v_cmp_u_f32_e32 vcc_lo, v89, v89
	v_and_b32_e32 v93, 0xffff0000, v93
	v_add3_u32 v94, v94, v89, 0x7fff
	v_cndmask_b32_e32 v89, v94, v95, vcc_lo
	v_and_b32_e32 v94, 0xffff0000, v90
	v_lshlrev_b32_e32 v90, 16, v90
	v_and_b32_e32 v89, 0xffff0000, v89
	v_mul_f32_e32 v94, v83, v94
	v_mul_f32_e32 v90, v87, v90
	v_add_f32_e32 v89, v89, v93
	v_bfe_u32 v95, v94, 16, 1
	v_or_b32_e32 v96, 0x400000, v94
	v_cmp_u_f32_e32 vcc_lo, v94, v94
	v_add3_u32 v95, v95, v94, 0x7fff
	v_cndmask_b32_e32 v94, v95, v96, vcc_lo
	v_bfe_u32 v95, v90, 16, 1
	v_or_b32_e32 v96, 0x400000, v90
	v_cmp_u_f32_e32 vcc_lo, v90, v90
	v_and_b32_e32 v93, 0xffff0000, v94
	v_add3_u32 v95, v95, v90, 0x7fff
	v_cndmask_b32_e32 v90, v95, v96, vcc_lo
	v_and_b32_e32 v95, 0xffff0000, v91
	v_lshlrev_b32_e32 v91, 16, v91
	v_and_b32_e32 v90, 0xffff0000, v90
	v_mul_f32_e32 v95, v82, v95
	v_mul_f32_e32 v91, v86, v91
	v_add_f32_e32 v90, v90, v93
	v_bfe_u32 v96, v95, 16, 1
	v_or_b32_e32 v97, 0x400000, v95
	v_cmp_u_f32_e32 vcc_lo, v95, v95
	v_add_f32_e32 v89, v90, v89
	v_add3_u32 v96, v96, v95, 0x7fff
	v_cndmask_b32_e32 v95, v96, v97, vcc_lo
	v_bfe_u32 v96, v91, 16, 1
	v_or_b32_e32 v97, 0x400000, v91
	v_cmp_u_f32_e32 vcc_lo, v91, v91
	v_add3_u32 v96, v96, v91, 0x7fff
	v_cndmask_b32_e32 v91, v96, v97, vcc_lo
	v_and_b32_e32 v96, 0xffff0000, v92
	v_lshlrev_b32_e32 v92, 16, v92
	v_and_b32_e32 v90, 0xffff0000, v91
	v_mul_f32_e32 v96, v81, v96
	v_mul_f32_e32 v92, v85, v92
	v_and_b32_e32 v91, 0xffff0000, v95
	v_mov_b32_e32 v95, v0
	buffer_load_dword v0, off, s[40:43], 0 offset:40 ; 4-byte Folded Reload
	v_bfe_u32 v97, v96, 16, 1
	v_or_b32_e32 v98, 0x400000, v96
	v_cmp_u_f32_e32 vcc_lo, v96, v96
	v_add_f32_e32 v90, v90, v91
	v_add3_u32 v97, v97, v96, 0x7fff
	v_add_f32_e32 v89, v90, v89
	v_cndmask_b32_e32 v96, v97, v98, vcc_lo
	v_bfe_u32 v97, v92, 16, 1
	v_or_b32_e32 v98, 0x400000, v92
	v_cmp_u_f32_e32 vcc_lo, v92, v92
	v_and_b32_e32 v91, 0xffff0000, v96
	v_add3_u32 v97, v97, v92, 0x7fff
	v_cndmask_b32_e32 v92, v97, v98, vcc_lo
	v_and_b32_e32 v90, 0xffff0000, v92
	v_add_f32_e32 v90, v90, v91
	v_add_f32_e32 v89, v90, v89
	;; [unrolled: 1-line block ×3, first 2 shown]
	v_and_b32_e32 v89, 0xffff0000, v77
	v_lshlrev_b32_e32 v77, 16, v77
	v_mul_f32_e32 v89, v84, v89
	v_mul_f32_e32 v77, v88, v77
	v_bfe_u32 v90, v89, 16, 1
	v_or_b32_e32 v91, 0x400000, v89
	v_cmp_u_f32_e32 vcc_lo, v89, v89
	v_add3_u32 v90, v90, v89, 0x7fff
	v_cndmask_b32_e32 v89, v90, v91, vcc_lo
	v_bfe_u32 v90, v77, 16, 1
	v_or_b32_e32 v91, 0x400000, v77
	v_cmp_u_f32_e32 vcc_lo, v77, v77
	v_and_b32_e32 v89, 0xffff0000, v89
	v_add3_u32 v90, v90, v77, 0x7fff
	v_cndmask_b32_e32 v77, v90, v91, vcc_lo
	v_and_b32_e32 v90, 0xffff0000, v78
	v_lshlrev_b32_e32 v78, 16, v78
	v_and_b32_e32 v77, 0xffff0000, v77
	v_mul_f32_e32 v90, v83, v90
	v_mul_f32_e32 v78, v87, v78
	v_add_f32_e32 v77, v77, v89
	v_bfe_u32 v91, v90, 16, 1
	v_or_b32_e32 v92, 0x400000, v90
	v_cmp_u_f32_e32 vcc_lo, v90, v90
	v_add3_u32 v91, v91, v90, 0x7fff
	v_cndmask_b32_e32 v90, v91, v92, vcc_lo
	v_bfe_u32 v91, v78, 16, 1
	v_or_b32_e32 v92, 0x400000, v78
	v_cmp_u_f32_e32 vcc_lo, v78, v78
	v_and_b32_e32 v89, 0xffff0000, v90
	v_add3_u32 v91, v91, v78, 0x7fff
	v_cndmask_b32_e32 v78, v91, v92, vcc_lo
	v_and_b32_e32 v91, 0xffff0000, v79
	v_lshlrev_b32_e32 v79, 16, v79
	v_and_b32_e32 v78, 0xffff0000, v78
	v_mul_f32_e32 v91, v82, v91
	v_mul_f32_e32 v79, v86, v79
	v_add_f32_e32 v78, v78, v89
	v_bfe_u32 v92, v91, 16, 1
	v_or_b32_e32 v93, 0x400000, v91
	v_cmp_u_f32_e32 vcc_lo, v91, v91
	v_add_f32_e32 v77, v78, v77
	v_add3_u32 v92, v92, v91, 0x7fff
	v_cndmask_b32_e32 v91, v92, v93, vcc_lo
	v_bfe_u32 v92, v79, 16, 1
	v_or_b32_e32 v93, 0x400000, v79
	v_cmp_u_f32_e32 vcc_lo, v79, v79
	v_add3_u32 v92, v92, v79, 0x7fff
	v_cndmask_b32_e32 v79, v92, v93, vcc_lo
	v_and_b32_e32 v92, 0xffff0000, v80
	v_lshlrev_b32_e32 v80, 16, v80
	v_and_b32_e32 v78, 0xffff0000, v79
	v_mul_f32_e32 v92, v81, v92
	v_mul_f32_e32 v80, v85, v80
	v_and_b32_e32 v79, 0xffff0000, v91
	v_bfe_u32 v93, v92, 16, 1
	v_or_b32_e32 v94, 0x400000, v92
	v_cmp_u_f32_e32 vcc_lo, v92, v92
	v_add_f32_e32 v78, v78, v79
	v_add3_u32 v93, v93, v92, 0x7fff
	v_add_f32_e32 v77, v78, v77
	v_cndmask_b32_e32 v92, v93, v94, vcc_lo
	v_bfe_u32 v93, v80, 16, 1
	v_or_b32_e32 v94, 0x400000, v80
	v_cmp_u_f32_e32 vcc_lo, v80, v80
	v_and_b32_e32 v79, 0xffff0000, v92
	v_add3_u32 v93, v93, v80, 0x7fff
	v_cndmask_b32_e32 v80, v93, v94, vcc_lo
	v_and_b32_e32 v78, 0xffff0000, v80
	v_add_f32_e32 v78, v78, v79
	v_add_f32_e32 v77, v78, v77
	;; [unrolled: 1-line block ×3, first 2 shown]
	v_and_b32_e32 v77, 0xffff0000, v73
	v_lshlrev_b32_e32 v73, 16, v73
	v_mul_f32_e32 v77, v84, v77
	v_mul_f32_e32 v73, v88, v73
	v_bfe_u32 v78, v77, 16, 1
	v_or_b32_e32 v79, 0x400000, v77
	v_cmp_u_f32_e32 vcc_lo, v77, v77
	v_add3_u32 v78, v78, v77, 0x7fff
	v_cndmask_b32_e32 v77, v78, v79, vcc_lo
	v_bfe_u32 v78, v73, 16, 1
	v_or_b32_e32 v79, 0x400000, v73
	v_cmp_u_f32_e32 vcc_lo, v73, v73
	v_and_b32_e32 v77, 0xffff0000, v77
	v_add3_u32 v78, v78, v73, 0x7fff
	v_cndmask_b32_e32 v73, v78, v79, vcc_lo
	v_and_b32_e32 v78, 0xffff0000, v74
	v_lshlrev_b32_e32 v74, 16, v74
	v_and_b32_e32 v73, 0xffff0000, v73
	v_mul_f32_e32 v78, v83, v78
	v_mul_f32_e32 v74, v87, v74
	v_add_f32_e32 v73, v73, v77
	v_bfe_u32 v79, v78, 16, 1
	v_or_b32_e32 v80, 0x400000, v78
	v_cmp_u_f32_e32 vcc_lo, v78, v78
	v_add3_u32 v79, v79, v78, 0x7fff
	v_cndmask_b32_e32 v78, v79, v80, vcc_lo
	v_bfe_u32 v79, v74, 16, 1
	v_or_b32_e32 v80, 0x400000, v74
	v_cmp_u_f32_e32 vcc_lo, v74, v74
	v_and_b32_e32 v77, 0xffff0000, v78
	v_add3_u32 v79, v79, v74, 0x7fff
	v_cndmask_b32_e32 v74, v79, v80, vcc_lo
	v_and_b32_e32 v79, 0xffff0000, v75
	v_lshlrev_b32_e32 v75, 16, v75
	v_and_b32_e32 v74, 0xffff0000, v74
	v_mul_f32_e32 v79, v82, v79
	v_mul_f32_e32 v75, v86, v75
	v_add_f32_e32 v74, v74, v77
	v_bfe_u32 v80, v79, 16, 1
	v_or_b32_e32 v89, 0x400000, v79
	v_cmp_u_f32_e32 vcc_lo, v79, v79
	v_add_f32_e32 v73, v74, v73
	v_add3_u32 v80, v80, v79, 0x7fff
	v_cndmask_b32_e32 v79, v80, v89, vcc_lo
	v_bfe_u32 v80, v75, 16, 1
	v_or_b32_e32 v89, 0x400000, v75
	v_cmp_u_f32_e32 vcc_lo, v75, v75
	v_add3_u32 v80, v80, v75, 0x7fff
	v_cndmask_b32_e32 v75, v80, v89, vcc_lo
	v_and_b32_e32 v80, 0xffff0000, v76
	v_lshlrev_b32_e32 v76, 16, v76
	v_and_b32_e32 v74, 0xffff0000, v75
	v_mul_f32_e32 v80, v81, v80
	v_mul_f32_e32 v76, v85, v76
	v_and_b32_e32 v75, 0xffff0000, v79
	v_bfe_u32 v89, v80, 16, 1
	v_or_b32_e32 v90, 0x400000, v80
	v_cmp_u_f32_e32 vcc_lo, v80, v80
	v_add_f32_e32 v74, v74, v75
	v_add3_u32 v89, v89, v80, 0x7fff
	v_add_f32_e32 v73, v74, v73
	v_cndmask_b32_e32 v80, v89, v90, vcc_lo
	v_bfe_u32 v89, v76, 16, 1
	v_or_b32_e32 v90, 0x400000, v76
	v_cmp_u_f32_e32 vcc_lo, v76, v76
	v_and_b32_e32 v75, 0xffff0000, v80
	v_add3_u32 v89, v89, v76, 0x7fff
	v_cndmask_b32_e32 v76, v89, v90, vcc_lo
	v_and_b32_e32 v74, 0xffff0000, v76
	v_add_f32_e32 v74, v74, v75
	v_add_f32_e32 v73, v74, v73
	;; [unrolled: 1-line block ×3, first 2 shown]
	v_and_b32_e32 v73, 0xffff0000, v69
	v_lshlrev_b32_e32 v69, 16, v69
	v_mul_f32_e32 v73, v84, v73
	v_mul_f32_e32 v69, v88, v69
	v_bfe_u32 v74, v73, 16, 1
	v_or_b32_e32 v75, 0x400000, v73
	v_cmp_u_f32_e32 vcc_lo, v73, v73
	v_add3_u32 v74, v74, v73, 0x7fff
	v_cndmask_b32_e32 v73, v74, v75, vcc_lo
	v_bfe_u32 v74, v69, 16, 1
	v_or_b32_e32 v75, 0x400000, v69
	v_cmp_u_f32_e32 vcc_lo, v69, v69
	v_and_b32_e32 v73, 0xffff0000, v73
	v_add3_u32 v74, v74, v69, 0x7fff
	v_cndmask_b32_e32 v69, v74, v75, vcc_lo
	v_and_b32_e32 v74, 0xffff0000, v70
	v_lshlrev_b32_e32 v70, 16, v70
	v_and_b32_e32 v69, 0xffff0000, v69
	v_mul_f32_e32 v74, v83, v74
	v_mul_f32_e32 v70, v87, v70
	v_add_f32_e32 v69, v69, v73
	v_bfe_u32 v75, v74, 16, 1
	v_or_b32_e32 v76, 0x400000, v74
	v_cmp_u_f32_e32 vcc_lo, v74, v74
	v_add3_u32 v75, v75, v74, 0x7fff
	v_cndmask_b32_e32 v74, v75, v76, vcc_lo
	v_bfe_u32 v75, v70, 16, 1
	v_or_b32_e32 v76, 0x400000, v70
	v_cmp_u_f32_e32 vcc_lo, v70, v70
	v_and_b32_e32 v73, 0xffff0000, v74
	v_add3_u32 v75, v75, v70, 0x7fff
	v_cndmask_b32_e32 v70, v75, v76, vcc_lo
	v_and_b32_e32 v75, 0xffff0000, v71
	v_lshlrev_b32_e32 v71, 16, v71
	v_and_b32_e32 v70, 0xffff0000, v70
	v_mul_f32_e32 v75, v82, v75
	v_mul_f32_e32 v71, v86, v71
	v_add_f32_e32 v70, v70, v73
	v_bfe_u32 v76, v75, 16, 1
	v_or_b32_e32 v77, 0x400000, v75
	v_cmp_u_f32_e32 vcc_lo, v75, v75
	v_add_f32_e32 v69, v70, v69
	v_add3_u32 v76, v76, v75, 0x7fff
	v_cndmask_b32_e32 v75, v76, v77, vcc_lo
	v_bfe_u32 v76, v71, 16, 1
	v_or_b32_e32 v77, 0x400000, v71
	v_cmp_u_f32_e32 vcc_lo, v71, v71
	v_add3_u32 v76, v76, v71, 0x7fff
	v_cndmask_b32_e32 v71, v76, v77, vcc_lo
	v_and_b32_e32 v76, 0xffff0000, v72
	v_lshlrev_b32_e32 v72, 16, v72
	v_and_b32_e32 v70, 0xffff0000, v71
	v_mul_f32_e32 v76, v81, v76
	v_mul_f32_e32 v72, v85, v72
	v_and_b32_e32 v71, 0xffff0000, v75
	v_bfe_u32 v77, v76, 16, 1
	v_or_b32_e32 v78, 0x400000, v76
	v_cmp_u_f32_e32 vcc_lo, v76, v76
	v_add_f32_e32 v70, v70, v71
	v_add3_u32 v77, v77, v76, 0x7fff
	v_add_f32_e32 v69, v70, v69
	v_cndmask_b32_e32 v76, v77, v78, vcc_lo
	v_bfe_u32 v77, v72, 16, 1
	v_or_b32_e32 v78, 0x400000, v72
	v_cmp_u_f32_e32 vcc_lo, v72, v72
	v_and_b32_e32 v71, 0xffff0000, v76
	v_add3_u32 v77, v77, v72, 0x7fff
	v_cndmask_b32_e32 v72, v77, v78, vcc_lo
	v_and_b32_e32 v70, 0xffff0000, v72
	v_add_f32_e32 v70, v70, v71
	v_add_f32_e32 v69, v70, v69
	;; [unrolled: 1-line block ×3, first 2 shown]
	v_and_b32_e32 v69, 0xffff0000, v65
	v_lshlrev_b32_e32 v65, 16, v65
	v_mul_f32_e32 v69, v84, v69
	v_mul_f32_e32 v65, v88, v65
	v_bfe_u32 v70, v69, 16, 1
	v_or_b32_e32 v71, 0x400000, v69
	v_cmp_u_f32_e32 vcc_lo, v69, v69
	v_add3_u32 v70, v70, v69, 0x7fff
	v_cndmask_b32_e32 v69, v70, v71, vcc_lo
	v_bfe_u32 v70, v65, 16, 1
	v_or_b32_e32 v71, 0x400000, v65
	v_cmp_u_f32_e32 vcc_lo, v65, v65
	v_and_b32_e32 v69, 0xffff0000, v69
	v_add3_u32 v70, v70, v65, 0x7fff
	v_cndmask_b32_e32 v65, v70, v71, vcc_lo
	v_and_b32_e32 v70, 0xffff0000, v66
	v_lshlrev_b32_e32 v66, 16, v66
	v_and_b32_e32 v65, 0xffff0000, v65
	v_mul_f32_e32 v70, v83, v70
	v_mul_f32_e32 v66, v87, v66
	v_add_f32_e32 v65, v65, v69
	v_bfe_u32 v71, v70, 16, 1
	v_or_b32_e32 v72, 0x400000, v70
	v_cmp_u_f32_e32 vcc_lo, v70, v70
	v_add3_u32 v71, v71, v70, 0x7fff
	v_cndmask_b32_e32 v70, v71, v72, vcc_lo
	v_bfe_u32 v71, v66, 16, 1
	v_or_b32_e32 v72, 0x400000, v66
	v_cmp_u_f32_e32 vcc_lo, v66, v66
	v_and_b32_e32 v69, 0xffff0000, v70
	v_add3_u32 v71, v71, v66, 0x7fff
	v_cndmask_b32_e32 v66, v71, v72, vcc_lo
	v_and_b32_e32 v71, 0xffff0000, v67
	v_lshlrev_b32_e32 v67, 16, v67
	v_and_b32_e32 v66, 0xffff0000, v66
	v_mul_f32_e32 v71, v82, v71
	v_mul_f32_e32 v67, v86, v67
	v_add_f32_e32 v66, v66, v69
	v_bfe_u32 v72, v71, 16, 1
	v_or_b32_e32 v73, 0x400000, v71
	v_cmp_u_f32_e32 vcc_lo, v71, v71
	v_add_f32_e32 v65, v66, v65
	v_add3_u32 v72, v72, v71, 0x7fff
	v_cndmask_b32_e32 v71, v72, v73, vcc_lo
	v_bfe_u32 v72, v67, 16, 1
	v_or_b32_e32 v73, 0x400000, v67
	v_cmp_u_f32_e32 vcc_lo, v67, v67
	v_add3_u32 v72, v72, v67, 0x7fff
	v_cndmask_b32_e32 v67, v72, v73, vcc_lo
	v_and_b32_e32 v72, 0xffff0000, v68
	v_lshlrev_b32_e32 v68, 16, v68
	v_and_b32_e32 v66, 0xffff0000, v67
	v_mul_f32_e32 v72, v81, v72
	v_mul_f32_e32 v68, v85, v68
	v_and_b32_e32 v67, 0xffff0000, v71
	v_bfe_u32 v73, v72, 16, 1
	v_or_b32_e32 v74, 0x400000, v72
	v_cmp_u_f32_e32 vcc_lo, v72, v72
	v_add_f32_e32 v66, v66, v67
	v_add3_u32 v73, v73, v72, 0x7fff
	v_add_f32_e32 v65, v66, v65
	v_cndmask_b32_e32 v72, v73, v74, vcc_lo
	v_bfe_u32 v73, v68, 16, 1
	v_or_b32_e32 v74, 0x400000, v68
	v_cmp_u_f32_e32 vcc_lo, v68, v68
	v_and_b32_e32 v67, 0xffff0000, v72
	v_add3_u32 v73, v73, v68, 0x7fff
	v_cndmask_b32_e32 v68, v73, v74, vcc_lo
	v_and_b32_e32 v66, 0xffff0000, v68
	v_add_f32_e32 v66, v66, v67
	v_add_f32_e32 v65, v66, v65
	;; [unrolled: 1-line block ×3, first 2 shown]
	v_and_b32_e32 v65, 0xffff0000, v61
	v_lshlrev_b32_e32 v61, 16, v61
	v_mul_f32_e32 v65, v84, v65
	v_mul_f32_e32 v61, v88, v61
	v_bfe_u32 v66, v65, 16, 1
	v_or_b32_e32 v67, 0x400000, v65
	v_cmp_u_f32_e32 vcc_lo, v65, v65
	v_add3_u32 v66, v66, v65, 0x7fff
	v_cndmask_b32_e32 v65, v66, v67, vcc_lo
	v_bfe_u32 v66, v61, 16, 1
	v_or_b32_e32 v67, 0x400000, v61
	v_cmp_u_f32_e32 vcc_lo, v61, v61
	v_and_b32_e32 v65, 0xffff0000, v65
	v_add3_u32 v66, v66, v61, 0x7fff
	v_cndmask_b32_e32 v61, v66, v67, vcc_lo
	v_and_b32_e32 v66, 0xffff0000, v62
	v_lshlrev_b32_e32 v62, 16, v62
	v_and_b32_e32 v61, 0xffff0000, v61
	v_mul_f32_e32 v66, v83, v66
	v_mul_f32_e32 v62, v87, v62
	v_add_f32_e32 v61, v61, v65
	v_bfe_u32 v67, v66, 16, 1
	v_or_b32_e32 v68, 0x400000, v66
	v_cmp_u_f32_e32 vcc_lo, v66, v66
	v_add3_u32 v67, v67, v66, 0x7fff
	v_cndmask_b32_e32 v66, v67, v68, vcc_lo
	v_bfe_u32 v67, v62, 16, 1
	v_or_b32_e32 v68, 0x400000, v62
	v_cmp_u_f32_e32 vcc_lo, v62, v62
	v_and_b32_e32 v65, 0xffff0000, v66
	v_add3_u32 v67, v67, v62, 0x7fff
	v_cndmask_b32_e32 v62, v67, v68, vcc_lo
	v_and_b32_e32 v67, 0xffff0000, v63
	v_lshlrev_b32_e32 v63, 16, v63
	v_and_b32_e32 v62, 0xffff0000, v62
	v_mul_f32_e32 v67, v82, v67
	v_mul_f32_e32 v63, v86, v63
	v_add_f32_e32 v62, v62, v65
	v_bfe_u32 v68, v67, 16, 1
	v_or_b32_e32 v69, 0x400000, v67
	v_cmp_u_f32_e32 vcc_lo, v67, v67
	v_add_f32_e32 v61, v62, v61
	v_add3_u32 v68, v68, v67, 0x7fff
	v_cndmask_b32_e32 v67, v68, v69, vcc_lo
	v_bfe_u32 v68, v63, 16, 1
	v_or_b32_e32 v69, 0x400000, v63
	v_cmp_u_f32_e32 vcc_lo, v63, v63
	v_add3_u32 v68, v68, v63, 0x7fff
	v_cndmask_b32_e32 v63, v68, v69, vcc_lo
	v_and_b32_e32 v68, 0xffff0000, v64
	v_lshlrev_b32_e32 v64, 16, v64
	v_and_b32_e32 v62, 0xffff0000, v63
	v_mul_f32_e32 v68, v81, v68
	v_mul_f32_e32 v64, v85, v64
	v_and_b32_e32 v63, 0xffff0000, v67
	v_bfe_u32 v69, v68, 16, 1
	v_or_b32_e32 v70, 0x400000, v68
	v_cmp_u_f32_e32 vcc_lo, v68, v68
	v_add_f32_e32 v62, v62, v63
	v_add3_u32 v69, v69, v68, 0x7fff
	v_add_f32_e32 v61, v62, v61
	v_cndmask_b32_e32 v68, v69, v70, vcc_lo
	v_bfe_u32 v69, v64, 16, 1
	v_or_b32_e32 v70, 0x400000, v64
	v_cmp_u_f32_e32 vcc_lo, v64, v64
	v_and_b32_e32 v63, 0xffff0000, v68
	v_add3_u32 v69, v69, v64, 0x7fff
	v_cndmask_b32_e32 v64, v69, v70, vcc_lo
	v_and_b32_e32 v62, 0xffff0000, v64
	v_add_f32_e32 v62, v62, v63
	v_add_f32_e32 v61, v62, v61
	;; [unrolled: 1-line block ×3, first 2 shown]
	v_and_b32_e32 v61, 0xffff0000, v57
	v_lshlrev_b32_e32 v57, 16, v57
	v_mul_f32_e32 v61, v84, v61
	v_mul_f32_e32 v57, v88, v57
	v_bfe_u32 v62, v61, 16, 1
	v_or_b32_e32 v63, 0x400000, v61
	v_cmp_u_f32_e32 vcc_lo, v61, v61
	v_add3_u32 v62, v62, v61, 0x7fff
	v_cndmask_b32_e32 v61, v62, v63, vcc_lo
	v_bfe_u32 v62, v57, 16, 1
	v_or_b32_e32 v63, 0x400000, v57
	v_cmp_u_f32_e32 vcc_lo, v57, v57
	v_and_b32_e32 v61, 0xffff0000, v61
	v_add3_u32 v62, v62, v57, 0x7fff
	v_cndmask_b32_e32 v57, v62, v63, vcc_lo
	v_and_b32_e32 v62, 0xffff0000, v58
	v_lshlrev_b32_e32 v58, 16, v58
	v_and_b32_e32 v57, 0xffff0000, v57
	v_mul_f32_e32 v62, v83, v62
	v_mul_f32_e32 v58, v87, v58
	v_add_f32_e32 v57, v57, v61
	v_bfe_u32 v63, v62, 16, 1
	v_or_b32_e32 v64, 0x400000, v62
	v_cmp_u_f32_e32 vcc_lo, v62, v62
	v_add3_u32 v63, v63, v62, 0x7fff
	v_cndmask_b32_e32 v62, v63, v64, vcc_lo
	v_bfe_u32 v63, v58, 16, 1
	v_or_b32_e32 v64, 0x400000, v58
	v_cmp_u_f32_e32 vcc_lo, v58, v58
	v_and_b32_e32 v61, 0xffff0000, v62
	v_add3_u32 v63, v63, v58, 0x7fff
	v_cndmask_b32_e32 v58, v63, v64, vcc_lo
	v_and_b32_e32 v63, 0xffff0000, v59
	v_lshlrev_b32_e32 v59, 16, v59
	v_and_b32_e32 v58, 0xffff0000, v58
	v_mul_f32_e32 v63, v82, v63
	v_mul_f32_e32 v59, v86, v59
	v_add_f32_e32 v58, v58, v61
	v_bfe_u32 v64, v63, 16, 1
	v_or_b32_e32 v65, 0x400000, v63
	v_cmp_u_f32_e32 vcc_lo, v63, v63
	v_add_f32_e32 v57, v58, v57
	v_add3_u32 v64, v64, v63, 0x7fff
	v_cndmask_b32_e32 v63, v64, v65, vcc_lo
	v_bfe_u32 v64, v59, 16, 1
	v_or_b32_e32 v65, 0x400000, v59
	v_cmp_u_f32_e32 vcc_lo, v59, v59
	v_add3_u32 v64, v64, v59, 0x7fff
	v_cndmask_b32_e32 v59, v64, v65, vcc_lo
	v_and_b32_e32 v64, 0xffff0000, v60
	v_lshlrev_b32_e32 v60, 16, v60
	v_and_b32_e32 v58, 0xffff0000, v59
	v_mul_f32_e32 v64, v81, v64
	v_mul_f32_e32 v60, v85, v60
	v_and_b32_e32 v59, 0xffff0000, v63
	v_bfe_u32 v65, v64, 16, 1
	v_or_b32_e32 v66, 0x400000, v64
	v_cmp_u_f32_e32 vcc_lo, v64, v64
	v_add_f32_e32 v58, v58, v59
	v_add3_u32 v65, v65, v64, 0x7fff
	v_add_f32_e32 v57, v58, v57
	v_cndmask_b32_e32 v64, v65, v66, vcc_lo
	v_bfe_u32 v65, v60, 16, 1
	v_or_b32_e32 v66, 0x400000, v60
	v_cmp_u_f32_e32 vcc_lo, v60, v60
	v_and_b32_e32 v59, 0xffff0000, v64
	v_add3_u32 v65, v65, v60, 0x7fff
	v_cndmask_b32_e32 v60, v65, v66, vcc_lo
	v_and_b32_e32 v58, 0xffff0000, v60
	v_add_f32_e32 v58, v58, v59
	v_add_f32_e32 v57, v58, v57
	;; [unrolled: 1-line block ×3, first 2 shown]
	v_and_b32_e32 v57, 0xffff0000, v53
	v_lshlrev_b32_e32 v53, 16, v53
	v_mul_f32_e32 v57, v84, v57
	v_mul_f32_e32 v53, v88, v53
	v_bfe_u32 v58, v57, 16, 1
	v_or_b32_e32 v59, 0x400000, v57
	v_cmp_u_f32_e32 vcc_lo, v57, v57
	v_add3_u32 v58, v58, v57, 0x7fff
	v_cndmask_b32_e32 v57, v58, v59, vcc_lo
	v_bfe_u32 v58, v53, 16, 1
	v_or_b32_e32 v59, 0x400000, v53
	v_cmp_u_f32_e32 vcc_lo, v53, v53
	v_and_b32_e32 v57, 0xffff0000, v57
	v_add3_u32 v58, v58, v53, 0x7fff
	v_cndmask_b32_e32 v53, v58, v59, vcc_lo
	v_and_b32_e32 v58, 0xffff0000, v54
	v_lshlrev_b32_e32 v54, 16, v54
	v_and_b32_e32 v53, 0xffff0000, v53
	v_mul_f32_e32 v58, v83, v58
	v_mul_f32_e32 v54, v87, v54
	v_add_f32_e32 v53, v53, v57
	v_bfe_u32 v59, v58, 16, 1
	v_or_b32_e32 v60, 0x400000, v58
	v_cmp_u_f32_e32 vcc_lo, v58, v58
	v_add3_u32 v59, v59, v58, 0x7fff
	v_cndmask_b32_e32 v58, v59, v60, vcc_lo
	v_bfe_u32 v59, v54, 16, 1
	v_or_b32_e32 v60, 0x400000, v54
	v_cmp_u_f32_e32 vcc_lo, v54, v54
	v_and_b32_e32 v57, 0xffff0000, v58
	v_add3_u32 v59, v59, v54, 0x7fff
	v_cndmask_b32_e32 v54, v59, v60, vcc_lo
	v_and_b32_e32 v59, 0xffff0000, v55
	v_lshlrev_b32_e32 v55, 16, v55
	v_and_b32_e32 v54, 0xffff0000, v54
	v_mul_f32_e32 v59, v82, v59
	v_mul_f32_e32 v55, v86, v55
	v_add_f32_e32 v54, v54, v57
	v_bfe_u32 v60, v59, 16, 1
	v_or_b32_e32 v61, 0x400000, v59
	v_cmp_u_f32_e32 vcc_lo, v59, v59
	v_add_f32_e32 v53, v54, v53
	v_add3_u32 v60, v60, v59, 0x7fff
	v_cndmask_b32_e32 v59, v60, v61, vcc_lo
	v_bfe_u32 v60, v55, 16, 1
	v_or_b32_e32 v61, 0x400000, v55
	v_cmp_u_f32_e32 vcc_lo, v55, v55
	v_add3_u32 v60, v60, v55, 0x7fff
	v_cndmask_b32_e32 v55, v60, v61, vcc_lo
	v_and_b32_e32 v60, 0xffff0000, v56
	v_lshlrev_b32_e32 v56, 16, v56
	v_and_b32_e32 v54, 0xffff0000, v55
	v_and_b32_e32 v55, 0xffff0000, v59
	buffer_load_dword v59, off, s[40:43], 0 offset:8 ; 4-byte Folded Reload
	v_mul_f32_e32 v60, v81, v60
	v_mul_f32_e32 v56, v85, v56
	v_add_f32_e32 v54, v54, v55
	v_bfe_u32 v61, v60, 16, 1
	v_or_b32_e32 v62, 0x400000, v60
	v_cmp_u_f32_e32 vcc_lo, v60, v60
	v_add_f32_e32 v53, v54, v53
	v_add3_u32 v61, v61, v60, 0x7fff
	v_cndmask_b32_e32 v60, v61, v62, vcc_lo
	v_bfe_u32 v61, v56, 16, 1
	v_or_b32_e32 v62, 0x400000, v56
	v_cmp_u_f32_e32 vcc_lo, v56, v56
	v_and_b32_e32 v55, 0xffff0000, v60
	v_add3_u32 v61, v61, v56, 0x7fff
	v_cndmask_b32_e32 v56, v61, v62, vcc_lo
	v_and_b32_e32 v54, 0xffff0000, v56
	v_add_f32_e32 v54, v54, v55
	v_add_f32_e32 v53, v54, v53
	s_waitcnt vmcnt(0)
	v_add_f32_e32 v59, v59, v53
	v_and_b32_e32 v53, 0xffff0000, v49
	v_lshlrev_b32_e32 v49, 16, v49
	v_mul_f32_e32 v53, v84, v53
	v_mul_f32_e32 v49, v88, v49
	v_bfe_u32 v54, v53, 16, 1
	v_or_b32_e32 v55, 0x400000, v53
	v_cmp_u_f32_e32 vcc_lo, v53, v53
	v_add3_u32 v54, v54, v53, 0x7fff
	v_cndmask_b32_e32 v53, v54, v55, vcc_lo
	v_bfe_u32 v54, v49, 16, 1
	v_or_b32_e32 v55, 0x400000, v49
	v_cmp_u_f32_e32 vcc_lo, v49, v49
	v_and_b32_e32 v53, 0xffff0000, v53
	v_add3_u32 v54, v54, v49, 0x7fff
	v_cndmask_b32_e32 v49, v54, v55, vcc_lo
	v_and_b32_e32 v54, 0xffff0000, v50
	v_lshlrev_b32_e32 v50, 16, v50
	v_and_b32_e32 v49, 0xffff0000, v49
	v_mul_f32_e32 v54, v83, v54
	v_mul_f32_e32 v50, v87, v50
	v_add_f32_e32 v49, v49, v53
	v_bfe_u32 v55, v54, 16, 1
	v_or_b32_e32 v56, 0x400000, v54
	v_cmp_u_f32_e32 vcc_lo, v54, v54
	v_add3_u32 v55, v55, v54, 0x7fff
	v_cndmask_b32_e32 v54, v55, v56, vcc_lo
	v_bfe_u32 v55, v50, 16, 1
	v_or_b32_e32 v56, 0x400000, v50
	v_cmp_u_f32_e32 vcc_lo, v50, v50
	v_and_b32_e32 v53, 0xffff0000, v54
	v_add3_u32 v55, v55, v50, 0x7fff
	v_cndmask_b32_e32 v50, v55, v56, vcc_lo
	v_and_b32_e32 v55, 0xffff0000, v51
	v_lshlrev_b32_e32 v51, 16, v51
	v_and_b32_e32 v50, 0xffff0000, v50
	v_mul_f32_e32 v55, v82, v55
	v_mul_f32_e32 v51, v86, v51
	v_add_f32_e32 v50, v50, v53
	v_bfe_u32 v56, v55, 16, 1
	v_or_b32_e32 v57, 0x400000, v55
	v_cmp_u_f32_e32 vcc_lo, v55, v55
	v_add_f32_e32 v49, v50, v49
	v_add3_u32 v56, v56, v55, 0x7fff
	v_cndmask_b32_e32 v55, v56, v57, vcc_lo
	v_bfe_u32 v56, v51, 16, 1
	v_or_b32_e32 v57, 0x400000, v51
	v_cmp_u_f32_e32 vcc_lo, v51, v51
	v_add3_u32 v56, v56, v51, 0x7fff
	v_cndmask_b32_e32 v51, v56, v57, vcc_lo
	v_and_b32_e32 v56, 0xffff0000, v52
	v_lshlrev_b32_e32 v52, 16, v52
	v_and_b32_e32 v50, 0xffff0000, v51
	v_and_b32_e32 v51, 0xffff0000, v55
	buffer_load_dword v55, off, s[40:43], 0 offset:12 ; 4-byte Folded Reload
	v_mul_f32_e32 v56, v81, v56
	v_mul_f32_e32 v52, v85, v52
	v_add_f32_e32 v50, v50, v51
	v_bfe_u32 v57, v56, 16, 1
	v_or_b32_e32 v58, 0x400000, v56
	v_cmp_u_f32_e32 vcc_lo, v56, v56
	v_add_f32_e32 v49, v50, v49
	v_add3_u32 v57, v57, v56, 0x7fff
	v_cndmask_b32_e32 v56, v57, v58, vcc_lo
	v_bfe_u32 v57, v52, 16, 1
	v_or_b32_e32 v58, 0x400000, v52
	v_cmp_u_f32_e32 vcc_lo, v52, v52
	v_and_b32_e32 v51, 0xffff0000, v56
	v_add3_u32 v57, v57, v52, 0x7fff
	v_cndmask_b32_e32 v52, v57, v58, vcc_lo
	v_and_b32_e32 v50, 0xffff0000, v52
	v_add_f32_e32 v50, v50, v51
	v_add_f32_e32 v49, v50, v49
	s_waitcnt vmcnt(0)
	v_add_f32_e32 v55, v55, v49
	v_and_b32_e32 v49, 0xffff0000, v45
	v_lshlrev_b32_e32 v45, 16, v45
	v_mul_f32_e32 v49, v84, v49
	v_mul_f32_e32 v45, v88, v45
	v_bfe_u32 v50, v49, 16, 1
	v_or_b32_e32 v51, 0x400000, v49
	v_cmp_u_f32_e32 vcc_lo, v49, v49
	v_add3_u32 v50, v50, v49, 0x7fff
	v_cndmask_b32_e32 v49, v50, v51, vcc_lo
	v_bfe_u32 v50, v45, 16, 1
	v_or_b32_e32 v51, 0x400000, v45
	v_cmp_u_f32_e32 vcc_lo, v45, v45
	v_and_b32_e32 v49, 0xffff0000, v49
	v_add3_u32 v50, v50, v45, 0x7fff
	v_cndmask_b32_e32 v45, v50, v51, vcc_lo
	v_and_b32_e32 v50, 0xffff0000, v46
	v_lshlrev_b32_e32 v46, 16, v46
	v_and_b32_e32 v45, 0xffff0000, v45
	v_mul_f32_e32 v50, v83, v50
	v_mul_f32_e32 v46, v87, v46
	v_add_f32_e32 v45, v45, v49
	v_bfe_u32 v51, v50, 16, 1
	v_or_b32_e32 v52, 0x400000, v50
	v_cmp_u_f32_e32 vcc_lo, v50, v50
	v_add3_u32 v51, v51, v50, 0x7fff
	v_cndmask_b32_e32 v50, v51, v52, vcc_lo
	v_bfe_u32 v51, v46, 16, 1
	v_or_b32_e32 v52, 0x400000, v46
	v_cmp_u_f32_e32 vcc_lo, v46, v46
	v_and_b32_e32 v49, 0xffff0000, v50
	v_add3_u32 v51, v51, v46, 0x7fff
	v_cndmask_b32_e32 v46, v51, v52, vcc_lo
	v_and_b32_e32 v51, 0xffff0000, v47
	v_lshlrev_b32_e32 v47, 16, v47
	v_and_b32_e32 v46, 0xffff0000, v46
	v_mul_f32_e32 v51, v82, v51
	v_mul_f32_e32 v47, v86, v47
	v_add_f32_e32 v46, v46, v49
	v_bfe_u32 v52, v51, 16, 1
	v_or_b32_e32 v53, 0x400000, v51
	v_cmp_u_f32_e32 vcc_lo, v51, v51
	v_add_f32_e32 v45, v46, v45
	v_add3_u32 v52, v52, v51, 0x7fff
	v_cndmask_b32_e32 v51, v52, v53, vcc_lo
	v_bfe_u32 v52, v47, 16, 1
	v_or_b32_e32 v53, 0x400000, v47
	v_cmp_u_f32_e32 vcc_lo, v47, v47
	v_add3_u32 v52, v52, v47, 0x7fff
	v_cndmask_b32_e32 v47, v52, v53, vcc_lo
	v_and_b32_e32 v52, 0xffff0000, v48
	v_lshlrev_b32_e32 v48, 16, v48
	v_and_b32_e32 v46, 0xffff0000, v47
	v_mul_f32_e32 v52, v81, v52
	v_mul_f32_e32 v48, v85, v48
	v_and_b32_e32 v47, 0xffff0000, v51
	v_bfe_u32 v53, v52, 16, 1
	v_or_b32_e32 v54, 0x400000, v52
	v_cmp_u_f32_e32 vcc_lo, v52, v52
	v_add_f32_e32 v46, v46, v47
	v_add3_u32 v53, v53, v52, 0x7fff
	v_add_f32_e32 v45, v46, v45
	v_cndmask_b32_e32 v52, v53, v54, vcc_lo
	v_bfe_u32 v53, v48, 16, 1
	v_or_b32_e32 v54, 0x400000, v48
	v_cmp_u_f32_e32 vcc_lo, v48, v48
	v_and_b32_e32 v47, 0xffff0000, v52
	v_add3_u32 v53, v53, v48, 0x7fff
	v_cndmask_b32_e32 v48, v53, v54, vcc_lo
	buffer_load_dword v54, off, s[40:43], 0 offset:16 ; 4-byte Folded Reload
	v_and_b32_e32 v46, 0xffff0000, v48
	v_add_f32_e32 v46, v46, v47
	v_add_f32_e32 v45, v46, v45
	s_waitcnt vmcnt(0)
	v_add_f32_e32 v54, v54, v45
	v_and_b32_e32 v45, 0xffff0000, v41
	v_lshlrev_b32_e32 v41, 16, v41
	v_mul_f32_e32 v45, v84, v45
	v_mul_f32_e32 v41, v88, v41
	v_bfe_u32 v46, v45, 16, 1
	v_or_b32_e32 v47, 0x400000, v45
	v_cmp_u_f32_e32 vcc_lo, v45, v45
	v_add3_u32 v46, v46, v45, 0x7fff
	v_cndmask_b32_e32 v45, v46, v47, vcc_lo
	v_bfe_u32 v46, v41, 16, 1
	v_or_b32_e32 v47, 0x400000, v41
	v_cmp_u_f32_e32 vcc_lo, v41, v41
	v_and_b32_e32 v45, 0xffff0000, v45
	v_add3_u32 v46, v46, v41, 0x7fff
	v_cndmask_b32_e32 v41, v46, v47, vcc_lo
	v_and_b32_e32 v46, 0xffff0000, v42
	v_lshlrev_b32_e32 v42, 16, v42
	v_and_b32_e32 v41, 0xffff0000, v41
	v_mul_f32_e32 v46, v83, v46
	v_mul_f32_e32 v42, v87, v42
	v_add_f32_e32 v41, v41, v45
	v_bfe_u32 v47, v46, 16, 1
	v_or_b32_e32 v48, 0x400000, v46
	v_cmp_u_f32_e32 vcc_lo, v46, v46
	v_add3_u32 v47, v47, v46, 0x7fff
	v_cndmask_b32_e32 v46, v47, v48, vcc_lo
	v_bfe_u32 v47, v42, 16, 1
	v_or_b32_e32 v48, 0x400000, v42
	v_cmp_u_f32_e32 vcc_lo, v42, v42
	v_and_b32_e32 v45, 0xffff0000, v46
	v_add3_u32 v47, v47, v42, 0x7fff
	v_cndmask_b32_e32 v42, v47, v48, vcc_lo
	v_and_b32_e32 v47, 0xffff0000, v43
	v_lshlrev_b32_e32 v43, 16, v43
	v_and_b32_e32 v42, 0xffff0000, v42
	v_mul_f32_e32 v47, v82, v47
	v_mul_f32_e32 v43, v86, v43
	v_add_f32_e32 v42, v42, v45
	v_bfe_u32 v48, v47, 16, 1
	v_or_b32_e32 v49, 0x400000, v47
	v_cmp_u_f32_e32 vcc_lo, v47, v47
	v_add_f32_e32 v41, v42, v41
	v_add3_u32 v48, v48, v47, 0x7fff
	v_cndmask_b32_e32 v47, v48, v49, vcc_lo
	v_bfe_u32 v48, v43, 16, 1
	v_or_b32_e32 v49, 0x400000, v43
	v_cmp_u_f32_e32 vcc_lo, v43, v43
	v_add3_u32 v48, v48, v43, 0x7fff
	v_cndmask_b32_e32 v43, v48, v49, vcc_lo
	v_and_b32_e32 v48, 0xffff0000, v44
	v_lshlrev_b32_e32 v44, 16, v44
	v_and_b32_e32 v42, 0xffff0000, v43
	v_and_b32_e32 v43, 0xffff0000, v47
	buffer_load_dword v47, off, s[40:43], 0 offset:20 ; 4-byte Folded Reload
	v_mul_f32_e32 v48, v81, v48
	v_mul_f32_e32 v44, v85, v44
	v_add_f32_e32 v42, v42, v43
	v_bfe_u32 v49, v48, 16, 1
	v_or_b32_e32 v50, 0x400000, v48
	v_cmp_u_f32_e32 vcc_lo, v48, v48
	v_add_f32_e32 v41, v42, v41
	v_add3_u32 v49, v49, v48, 0x7fff
	v_cndmask_b32_e32 v48, v49, v50, vcc_lo
	v_bfe_u32 v49, v44, 16, 1
	v_or_b32_e32 v50, 0x400000, v44
	v_cmp_u_f32_e32 vcc_lo, v44, v44
	v_and_b32_e32 v43, 0xffff0000, v48
	v_add3_u32 v49, v49, v44, 0x7fff
	buffer_load_dword v48, off, s[40:43], 0 offset:4 ; 4-byte Folded Reload
	v_cndmask_b32_e32 v44, v49, v50, vcc_lo
	v_and_b32_e32 v42, 0xffff0000, v44
	v_add_f32_e32 v42, v42, v43
	v_add_f32_e32 v41, v42, v41
	s_waitcnt vmcnt(1)
	v_add_f32_e32 v47, v47, v41
	v_and_b32_e32 v41, 0xffff0000, v37
	v_lshlrev_b32_e32 v37, 16, v37
	v_mul_f32_e32 v41, v84, v41
	v_mul_f32_e32 v37, v88, v37
	v_bfe_u32 v42, v41, 16, 1
	v_or_b32_e32 v43, 0x400000, v41
	v_cmp_u_f32_e32 vcc_lo, v41, v41
	v_add3_u32 v42, v42, v41, 0x7fff
	v_cndmask_b32_e32 v41, v42, v43, vcc_lo
	v_bfe_u32 v42, v37, 16, 1
	v_or_b32_e32 v43, 0x400000, v37
	v_cmp_u_f32_e32 vcc_lo, v37, v37
	v_and_b32_e32 v41, 0xffff0000, v41
	v_add3_u32 v42, v42, v37, 0x7fff
	v_cndmask_b32_e32 v37, v42, v43, vcc_lo
	v_and_b32_e32 v42, 0xffff0000, v38
	v_lshlrev_b32_e32 v38, 16, v38
	v_and_b32_e32 v37, 0xffff0000, v37
	v_mul_f32_e32 v42, v83, v42
	v_mul_f32_e32 v38, v87, v38
	v_add_f32_e32 v37, v37, v41
	v_bfe_u32 v43, v42, 16, 1
	v_or_b32_e32 v44, 0x400000, v42
	v_cmp_u_f32_e32 vcc_lo, v42, v42
	v_add3_u32 v43, v43, v42, 0x7fff
	v_cndmask_b32_e32 v42, v43, v44, vcc_lo
	v_bfe_u32 v43, v38, 16, 1
	v_or_b32_e32 v44, 0x400000, v38
	v_cmp_u_f32_e32 vcc_lo, v38, v38
	v_and_b32_e32 v41, 0xffff0000, v42
	v_add3_u32 v43, v43, v38, 0x7fff
	v_cndmask_b32_e32 v38, v43, v44, vcc_lo
	v_and_b32_e32 v43, 0xffff0000, v39
	v_lshlrev_b32_e32 v39, 16, v39
	v_and_b32_e32 v38, 0xffff0000, v38
	v_mul_f32_e32 v43, v82, v43
	v_mul_f32_e32 v39, v86, v39
	v_add_f32_e32 v38, v38, v41
	v_bfe_u32 v44, v43, 16, 1
	v_or_b32_e32 v45, 0x400000, v43
	v_cmp_u_f32_e32 vcc_lo, v43, v43
	v_add_f32_e32 v37, v38, v37
	v_add3_u32 v44, v44, v43, 0x7fff
	v_cndmask_b32_e32 v43, v44, v45, vcc_lo
	v_bfe_u32 v44, v39, 16, 1
	v_or_b32_e32 v45, 0x400000, v39
	v_cmp_u_f32_e32 vcc_lo, v39, v39
	v_add3_u32 v44, v44, v39, 0x7fff
	v_cndmask_b32_e32 v39, v44, v45, vcc_lo
	v_and_b32_e32 v44, 0xffff0000, v40
	v_lshlrev_b32_e32 v40, 16, v40
	v_and_b32_e32 v38, 0xffff0000, v39
	v_and_b32_e32 v39, 0xffff0000, v43
	buffer_load_dword v43, off, s[40:43], 0 offset:24 ; 4-byte Folded Reload
	v_mul_f32_e32 v44, v81, v44
	v_mul_f32_e32 v40, v85, v40
	v_add_f32_e32 v38, v38, v39
	v_bfe_u32 v45, v44, 16, 1
	v_or_b32_e32 v46, 0x400000, v44
	v_cmp_u_f32_e32 vcc_lo, v44, v44
	v_add_f32_e32 v37, v38, v37
	v_add3_u32 v45, v45, v44, 0x7fff
	v_cndmask_b32_e32 v44, v45, v46, vcc_lo
	v_bfe_u32 v45, v40, 16, 1
	v_or_b32_e32 v46, 0x400000, v40
	v_cmp_u_f32_e32 vcc_lo, v40, v40
	v_and_b32_e32 v39, 0xffff0000, v44
	v_add3_u32 v45, v45, v40, 0x7fff
	v_cndmask_b32_e32 v40, v45, v46, vcc_lo
	v_and_b32_e32 v38, 0xffff0000, v40
	v_add_f32_e32 v38, v38, v39
	v_add_f32_e32 v37, v38, v37
	s_waitcnt vmcnt(0)
	v_add_f32_e32 v43, v43, v37
	v_and_b32_e32 v37, 0xffff0000, v33
	v_lshlrev_b32_e32 v33, 16, v33
	v_mul_f32_e32 v37, v84, v37
	v_mul_f32_e32 v33, v88, v33
	v_bfe_u32 v38, v37, 16, 1
	v_or_b32_e32 v39, 0x400000, v37
	v_cmp_u_f32_e32 vcc_lo, v37, v37
	v_add3_u32 v38, v38, v37, 0x7fff
	v_cndmask_b32_e32 v37, v38, v39, vcc_lo
	v_bfe_u32 v38, v33, 16, 1
	v_or_b32_e32 v39, 0x400000, v33
	v_cmp_u_f32_e32 vcc_lo, v33, v33
	v_and_b32_e32 v37, 0xffff0000, v37
	v_add3_u32 v38, v38, v33, 0x7fff
	v_cndmask_b32_e32 v33, v38, v39, vcc_lo
	v_and_b32_e32 v38, 0xffff0000, v34
	v_lshlrev_b32_e32 v34, 16, v34
	v_and_b32_e32 v33, 0xffff0000, v33
	v_mul_f32_e32 v38, v83, v38
	v_mul_f32_e32 v34, v87, v34
	v_add_f32_e32 v33, v33, v37
	v_bfe_u32 v39, v38, 16, 1
	v_or_b32_e32 v40, 0x400000, v38
	v_cmp_u_f32_e32 vcc_lo, v38, v38
	v_add3_u32 v39, v39, v38, 0x7fff
	v_cndmask_b32_e32 v38, v39, v40, vcc_lo
	v_bfe_u32 v39, v34, 16, 1
	v_or_b32_e32 v40, 0x400000, v34
	v_cmp_u_f32_e32 vcc_lo, v34, v34
	v_and_b32_e32 v37, 0xffff0000, v38
	v_add3_u32 v39, v39, v34, 0x7fff
	v_cndmask_b32_e32 v34, v39, v40, vcc_lo
	v_and_b32_e32 v39, 0xffff0000, v35
	v_lshlrev_b32_e32 v35, 16, v35
	v_and_b32_e32 v34, 0xffff0000, v34
	v_mul_f32_e32 v39, v82, v39
	v_mul_f32_e32 v35, v86, v35
	v_add_f32_e32 v34, v34, v37
	v_bfe_u32 v40, v39, 16, 1
	v_or_b32_e32 v41, 0x400000, v39
	v_cmp_u_f32_e32 vcc_lo, v39, v39
	v_add_f32_e32 v33, v34, v33
	v_add3_u32 v40, v40, v39, 0x7fff
	v_cndmask_b32_e32 v39, v40, v41, vcc_lo
	v_bfe_u32 v40, v35, 16, 1
	v_or_b32_e32 v41, 0x400000, v35
	v_cmp_u_f32_e32 vcc_lo, v35, v35
	v_add3_u32 v40, v40, v35, 0x7fff
	v_cndmask_b32_e32 v35, v40, v41, vcc_lo
	v_and_b32_e32 v40, 0xffff0000, v36
	v_lshlrev_b32_e32 v36, 16, v36
	v_and_b32_e32 v34, 0xffff0000, v35
	v_and_b32_e32 v35, 0xffff0000, v39
	buffer_load_dword v39, off, s[40:43], 0 offset:28 ; 4-byte Folded Reload
	v_mul_f32_e32 v40, v81, v40
	v_mul_f32_e32 v36, v85, v36
	v_add_f32_e32 v34, v34, v35
	v_bfe_u32 v41, v40, 16, 1
	v_or_b32_e32 v42, 0x400000, v40
	v_cmp_u_f32_e32 vcc_lo, v40, v40
	v_add_f32_e32 v33, v34, v33
	v_add3_u32 v41, v41, v40, 0x7fff
	v_cndmask_b32_e32 v40, v41, v42, vcc_lo
	v_bfe_u32 v41, v36, 16, 1
	v_or_b32_e32 v42, 0x400000, v36
	v_cmp_u_f32_e32 vcc_lo, v36, v36
	v_and_b32_e32 v35, 0xffff0000, v40
	v_add3_u32 v41, v41, v36, 0x7fff
	v_cndmask_b32_e32 v36, v41, v42, vcc_lo
	v_and_b32_e32 v34, 0xffff0000, v36
	v_add_f32_e32 v34, v34, v35
	v_add_f32_e32 v33, v34, v33
	s_waitcnt vmcnt(0)
	v_add_f32_e32 v39, v39, v33
	v_and_b32_e32 v33, 0xffff0000, v29
	v_lshlrev_b32_e32 v29, 16, v29
	v_mul_f32_e32 v33, v84, v33
	v_mul_f32_e32 v29, v88, v29
	v_bfe_u32 v34, v33, 16, 1
	v_or_b32_e32 v35, 0x400000, v33
	v_cmp_u_f32_e32 vcc_lo, v33, v33
	v_add3_u32 v34, v34, v33, 0x7fff
	v_cndmask_b32_e32 v33, v34, v35, vcc_lo
	v_bfe_u32 v34, v29, 16, 1
	v_or_b32_e32 v35, 0x400000, v29
	v_cmp_u_f32_e32 vcc_lo, v29, v29
	v_and_b32_e32 v33, 0xffff0000, v33
	v_add3_u32 v34, v34, v29, 0x7fff
	v_cndmask_b32_e32 v29, v34, v35, vcc_lo
	v_and_b32_e32 v34, 0xffff0000, v30
	v_lshlrev_b32_e32 v30, 16, v30
	v_and_b32_e32 v29, 0xffff0000, v29
	v_mul_f32_e32 v34, v83, v34
	v_mul_f32_e32 v30, v87, v30
	v_add_f32_e32 v29, v29, v33
	v_bfe_u32 v35, v34, 16, 1
	v_or_b32_e32 v36, 0x400000, v34
	v_cmp_u_f32_e32 vcc_lo, v34, v34
	v_add3_u32 v35, v35, v34, 0x7fff
	v_cndmask_b32_e32 v34, v35, v36, vcc_lo
	v_bfe_u32 v35, v30, 16, 1
	v_or_b32_e32 v36, 0x400000, v30
	v_cmp_u_f32_e32 vcc_lo, v30, v30
	v_and_b32_e32 v33, 0xffff0000, v34
	v_add3_u32 v35, v35, v30, 0x7fff
	v_cndmask_b32_e32 v30, v35, v36, vcc_lo
	v_and_b32_e32 v35, 0xffff0000, v31
	v_lshlrev_b32_e32 v31, 16, v31
	v_and_b32_e32 v30, 0xffff0000, v30
	v_mul_f32_e32 v35, v82, v35
	v_mul_f32_e32 v31, v86, v31
	v_add_f32_e32 v30, v30, v33
	v_bfe_u32 v36, v35, 16, 1
	v_or_b32_e32 v37, 0x400000, v35
	v_cmp_u_f32_e32 vcc_lo, v35, v35
	v_add_f32_e32 v29, v30, v29
	v_add3_u32 v36, v36, v35, 0x7fff
	v_cndmask_b32_e32 v35, v36, v37, vcc_lo
	v_bfe_u32 v36, v31, 16, 1
	v_or_b32_e32 v37, 0x400000, v31
	v_cmp_u_f32_e32 vcc_lo, v31, v31
	v_add3_u32 v36, v36, v31, 0x7fff
	v_cndmask_b32_e32 v31, v36, v37, vcc_lo
	v_and_b32_e32 v36, 0xffff0000, v32
	v_lshlrev_b32_e32 v32, 16, v32
	v_and_b32_e32 v30, 0xffff0000, v31
	v_and_b32_e32 v31, 0xffff0000, v35
	buffer_load_dword v35, off, s[40:43], 0 offset:32 ; 4-byte Folded Reload
	v_mul_f32_e32 v36, v81, v36
	v_mul_f32_e32 v32, v85, v32
	v_add_f32_e32 v30, v30, v31
	v_bfe_u32 v37, v36, 16, 1
	v_or_b32_e32 v38, 0x400000, v36
	v_cmp_u_f32_e32 vcc_lo, v36, v36
	v_add_f32_e32 v29, v30, v29
	v_add3_u32 v37, v37, v36, 0x7fff
	v_cndmask_b32_e32 v36, v37, v38, vcc_lo
	v_bfe_u32 v37, v32, 16, 1
	v_or_b32_e32 v38, 0x400000, v32
	v_cmp_u_f32_e32 vcc_lo, v32, v32
	v_and_b32_e32 v31, 0xffff0000, v36
	v_add3_u32 v37, v37, v32, 0x7fff
	v_cndmask_b32_e32 v32, v37, v38, vcc_lo
	v_and_b32_e32 v30, 0xffff0000, v32
	v_add_f32_e32 v30, v30, v31
	v_add_f32_e32 v29, v30, v29
	s_waitcnt vmcnt(0)
	v_add_f32_e32 v35, v35, v29
	v_and_b32_e32 v29, 0xffff0000, v25
	v_lshlrev_b32_e32 v25, 16, v25
	v_mul_f32_e32 v29, v84, v29
	v_mul_f32_e32 v25, v88, v25
	v_bfe_u32 v30, v29, 16, 1
	v_or_b32_e32 v31, 0x400000, v29
	v_cmp_u_f32_e32 vcc_lo, v29, v29
	v_add3_u32 v30, v30, v29, 0x7fff
	v_cndmask_b32_e32 v29, v30, v31, vcc_lo
	v_bfe_u32 v30, v25, 16, 1
	v_or_b32_e32 v31, 0x400000, v25
	v_cmp_u_f32_e32 vcc_lo, v25, v25
	v_and_b32_e32 v29, 0xffff0000, v29
	v_add3_u32 v30, v30, v25, 0x7fff
	v_cndmask_b32_e32 v25, v30, v31, vcc_lo
	v_and_b32_e32 v30, 0xffff0000, v26
	v_lshlrev_b32_e32 v26, 16, v26
	v_and_b32_e32 v25, 0xffff0000, v25
	v_mul_f32_e32 v30, v83, v30
	v_mul_f32_e32 v26, v87, v26
	v_add_f32_e32 v25, v25, v29
	v_bfe_u32 v31, v30, 16, 1
	v_or_b32_e32 v32, 0x400000, v30
	v_cmp_u_f32_e32 vcc_lo, v30, v30
	v_add3_u32 v31, v31, v30, 0x7fff
	v_cndmask_b32_e32 v30, v31, v32, vcc_lo
	v_bfe_u32 v31, v26, 16, 1
	v_or_b32_e32 v32, 0x400000, v26
	v_cmp_u_f32_e32 vcc_lo, v26, v26
	v_and_b32_e32 v29, 0xffff0000, v30
	v_add3_u32 v31, v31, v26, 0x7fff
	v_cndmask_b32_e32 v26, v31, v32, vcc_lo
	v_and_b32_e32 v31, 0xffff0000, v27
	v_lshlrev_b32_e32 v27, 16, v27
	v_and_b32_e32 v26, 0xffff0000, v26
	v_mul_f32_e32 v31, v82, v31
	v_mul_f32_e32 v27, v86, v27
	v_add_f32_e32 v26, v26, v29
	v_bfe_u32 v32, v31, 16, 1
	v_or_b32_e32 v33, 0x400000, v31
	v_cmp_u_f32_e32 vcc_lo, v31, v31
	v_add_f32_e32 v25, v26, v25
	v_add3_u32 v32, v32, v31, 0x7fff
	v_cndmask_b32_e32 v31, v32, v33, vcc_lo
	v_bfe_u32 v32, v27, 16, 1
	v_or_b32_e32 v33, 0x400000, v27
	v_cmp_u_f32_e32 vcc_lo, v27, v27
	v_add3_u32 v32, v32, v27, 0x7fff
	v_cndmask_b32_e32 v27, v32, v33, vcc_lo
	v_and_b32_e32 v32, 0xffff0000, v28
	v_lshlrev_b32_e32 v28, 16, v28
	v_and_b32_e32 v26, 0xffff0000, v27
	v_and_b32_e32 v27, 0xffff0000, v31
	buffer_load_dword v31, off, s[40:43], 0 offset:36 ; 4-byte Folded Reload
	v_mul_f32_e32 v32, v81, v32
	v_mul_f32_e32 v28, v85, v28
	v_add_f32_e32 v26, v26, v27
	v_bfe_u32 v33, v32, 16, 1
	v_or_b32_e32 v34, 0x400000, v32
	v_cmp_u_f32_e32 vcc_lo, v32, v32
	v_add_f32_e32 v25, v26, v25
	v_add3_u32 v33, v33, v32, 0x7fff
	v_cndmask_b32_e32 v32, v33, v34, vcc_lo
	v_bfe_u32 v33, v28, 16, 1
	v_or_b32_e32 v34, 0x400000, v28
	v_cmp_u_f32_e32 vcc_lo, v28, v28
	v_and_b32_e32 v27, 0xffff0000, v32
	v_add3_u32 v33, v33, v28, 0x7fff
	v_cndmask_b32_e32 v28, v33, v34, vcc_lo
	v_and_b32_e32 v26, 0xffff0000, v28
	v_add_f32_e32 v26, v26, v27
	v_add_f32_e32 v25, v26, v25
	s_waitcnt vmcnt(0)
	v_add_f32_e32 v31, v31, v25
	v_and_b32_e32 v25, 0xffff0000, v21
	v_lshlrev_b32_e32 v21, 16, v21
	v_mul_f32_e32 v25, v84, v25
	v_mul_f32_e32 v21, v88, v21
	v_bfe_u32 v26, v25, 16, 1
	v_or_b32_e32 v27, 0x400000, v25
	v_cmp_u_f32_e32 vcc_lo, v25, v25
	v_add3_u32 v26, v26, v25, 0x7fff
	v_cndmask_b32_e32 v25, v26, v27, vcc_lo
	v_bfe_u32 v26, v21, 16, 1
	v_or_b32_e32 v27, 0x400000, v21
	v_cmp_u_f32_e32 vcc_lo, v21, v21
	v_and_b32_e32 v25, 0xffff0000, v25
	v_add3_u32 v26, v26, v21, 0x7fff
	v_cndmask_b32_e32 v21, v26, v27, vcc_lo
	v_and_b32_e32 v26, 0xffff0000, v22
	v_lshlrev_b32_e32 v22, 16, v22
	v_and_b32_e32 v21, 0xffff0000, v21
	v_mul_f32_e32 v26, v83, v26
	v_mul_f32_e32 v22, v87, v22
	v_add_f32_e32 v21, v21, v25
	v_bfe_u32 v27, v26, 16, 1
	v_or_b32_e32 v28, 0x400000, v26
	v_cmp_u_f32_e32 vcc_lo, v26, v26
	v_add3_u32 v27, v27, v26, 0x7fff
	v_cndmask_b32_e32 v26, v27, v28, vcc_lo
	v_bfe_u32 v27, v22, 16, 1
	v_or_b32_e32 v28, 0x400000, v22
	v_cmp_u_f32_e32 vcc_lo, v22, v22
	v_and_b32_e32 v25, 0xffff0000, v26
	v_add3_u32 v27, v27, v22, 0x7fff
	v_cndmask_b32_e32 v22, v27, v28, vcc_lo
	v_and_b32_e32 v27, 0xffff0000, v23
	v_lshlrev_b32_e32 v23, 16, v23
	v_and_b32_e32 v22, 0xffff0000, v22
	v_mul_f32_e32 v27, v82, v27
	v_mul_f32_e32 v23, v86, v23
	v_add_f32_e32 v22, v22, v25
	v_bfe_u32 v28, v27, 16, 1
	v_or_b32_e32 v29, 0x400000, v27
	v_cmp_u_f32_e32 vcc_lo, v27, v27
	v_add_f32_e32 v21, v22, v21
	v_add3_u32 v28, v28, v27, 0x7fff
	v_cndmask_b32_e32 v27, v28, v29, vcc_lo
	v_bfe_u32 v28, v23, 16, 1
	v_or_b32_e32 v29, 0x400000, v23
	v_cmp_u_f32_e32 vcc_lo, v23, v23
	v_add3_u32 v28, v28, v23, 0x7fff
	v_cndmask_b32_e32 v23, v28, v29, vcc_lo
	v_and_b32_e32 v28, 0xffff0000, v24
	v_lshlrev_b32_e32 v24, 16, v24
	v_and_b32_e32 v22, 0xffff0000, v23
	v_mul_f32_e32 v28, v81, v28
	v_mul_f32_e32 v24, v85, v24
	v_and_b32_e32 v23, 0xffff0000, v27
	v_bfe_u32 v29, v28, 16, 1
	v_or_b32_e32 v30, 0x400000, v28
	v_cmp_u_f32_e32 vcc_lo, v28, v28
	v_add_f32_e32 v22, v22, v23
	v_add3_u32 v29, v29, v28, 0x7fff
	v_add_f32_e32 v21, v22, v21
	v_cndmask_b32_e32 v28, v29, v30, vcc_lo
	v_bfe_u32 v29, v24, 16, 1
	v_or_b32_e32 v30, 0x400000, v24
	v_cmp_u_f32_e32 vcc_lo, v24, v24
	v_and_b32_e32 v23, 0xffff0000, v28
	v_add3_u32 v29, v29, v24, 0x7fff
	v_cndmask_b32_e32 v24, v29, v30, vcc_lo
	v_and_b32_e32 v22, 0xffff0000, v24
	v_add_f32_e32 v22, v22, v23
	v_add_f32_e32 v21, v22, v21
	;; [unrolled: 1-line block ×3, first 2 shown]
	v_and_b32_e32 v21, 0xffff0000, v13
	v_lshlrev_b32_e32 v13, 16, v13
	v_mul_f32_e32 v21, v84, v21
	v_mul_f32_e32 v13, v88, v13
	v_bfe_u32 v22, v21, 16, 1
	v_or_b32_e32 v23, 0x400000, v21
	v_cmp_u_f32_e32 vcc_lo, v21, v21
	v_add3_u32 v22, v22, v21, 0x7fff
	v_cndmask_b32_e32 v21, v22, v23, vcc_lo
	v_bfe_u32 v22, v13, 16, 1
	v_or_b32_e32 v23, 0x400000, v13
	v_cmp_u_f32_e32 vcc_lo, v13, v13
	v_and_b32_e32 v21, 0xffff0000, v21
	v_add3_u32 v22, v22, v13, 0x7fff
	v_cndmask_b32_e32 v13, v22, v23, vcc_lo
	v_and_b32_e32 v22, 0xffff0000, v14
	v_lshlrev_b32_e32 v14, 16, v14
	v_and_b32_e32 v13, 0xffff0000, v13
	v_mul_f32_e32 v22, v83, v22
	v_mul_f32_e32 v14, v87, v14
	v_add_f32_e32 v13, v13, v21
	v_bfe_u32 v23, v22, 16, 1
	v_or_b32_e32 v24, 0x400000, v22
	v_cmp_u_f32_e32 vcc_lo, v22, v22
	v_add3_u32 v23, v23, v22, 0x7fff
	v_cndmask_b32_e32 v22, v23, v24, vcc_lo
	v_bfe_u32 v23, v14, 16, 1
	v_or_b32_e32 v24, 0x400000, v14
	v_cmp_u_f32_e32 vcc_lo, v14, v14
	v_and_b32_e32 v21, 0xffff0000, v22
	v_add3_u32 v23, v23, v14, 0x7fff
	v_cndmask_b32_e32 v14, v23, v24, vcc_lo
	v_and_b32_e32 v23, 0xffff0000, v15
	v_lshlrev_b32_e32 v15, 16, v15
	v_and_b32_e32 v14, 0xffff0000, v14
	v_mul_f32_e32 v23, v82, v23
	v_mul_f32_e32 v15, v86, v15
	v_add_f32_e32 v14, v14, v21
	v_bfe_u32 v24, v23, 16, 1
	v_or_b32_e32 v25, 0x400000, v23
	v_cmp_u_f32_e32 vcc_lo, v23, v23
	v_add_f32_e32 v13, v14, v13
	v_add3_u32 v24, v24, v23, 0x7fff
	v_cndmask_b32_e32 v23, v24, v25, vcc_lo
	v_bfe_u32 v24, v15, 16, 1
	v_or_b32_e32 v25, 0x400000, v15
	v_cmp_u_f32_e32 vcc_lo, v15, v15
	v_add3_u32 v24, v24, v15, 0x7fff
	v_cndmask_b32_e32 v15, v24, v25, vcc_lo
	v_and_b32_e32 v24, 0xffff0000, v16
	v_lshlrev_b32_e32 v16, 16, v16
	v_and_b32_e32 v14, 0xffff0000, v15
	v_and_b32_e32 v15, 0xffff0000, v23
	buffer_load_dword v23, off, s[40:43], 0 offset:44 ; 4-byte Folded Reload
	v_mul_f32_e32 v24, v81, v24
	v_mul_f32_e32 v16, v85, v16
	v_add_f32_e32 v14, v14, v15
	v_bfe_u32 v25, v24, 16, 1
	v_or_b32_e32 v26, 0x400000, v24
	v_cmp_u_f32_e32 vcc_lo, v24, v24
	v_add_f32_e32 v13, v14, v13
	v_add3_u32 v25, v25, v24, 0x7fff
	v_cndmask_b32_e32 v24, v25, v26, vcc_lo
	v_bfe_u32 v25, v16, 16, 1
	v_or_b32_e32 v26, 0x400000, v16
	v_cmp_u_f32_e32 vcc_lo, v16, v16
	v_and_b32_e32 v15, 0xffff0000, v24
	v_add3_u32 v25, v25, v16, 0x7fff
	v_cndmask_b32_e32 v16, v25, v26, vcc_lo
	v_and_b32_e32 v14, 0xffff0000, v16
	v_add_f32_e32 v14, v14, v15
	v_add_f32_e32 v13, v14, v13
	s_waitcnt vmcnt(0)
	v_add_f32_e32 v23, v23, v13
	v_and_b32_e32 v13, 0xffff0000, v9
	v_lshlrev_b32_e32 v9, 16, v9
	v_mul_f32_e32 v13, v84, v13
	v_mul_f32_e32 v9, v88, v9
	v_bfe_u32 v14, v13, 16, 1
	v_or_b32_e32 v15, 0x400000, v13
	v_cmp_u_f32_e32 vcc_lo, v13, v13
	v_add3_u32 v14, v14, v13, 0x7fff
	v_cndmask_b32_e32 v13, v14, v15, vcc_lo
	v_bfe_u32 v14, v9, 16, 1
	v_or_b32_e32 v15, 0x400000, v9
	v_cmp_u_f32_e32 vcc_lo, v9, v9
	v_and_b32_e32 v13, 0xffff0000, v13
	v_add3_u32 v14, v14, v9, 0x7fff
	v_cndmask_b32_e32 v9, v14, v15, vcc_lo
	v_and_b32_e32 v14, 0xffff0000, v10
	v_lshlrev_b32_e32 v10, 16, v10
	v_and_b32_e32 v9, 0xffff0000, v9
	v_mul_f32_e32 v14, v83, v14
	v_mul_f32_e32 v10, v87, v10
	v_add_f32_e32 v9, v9, v13
	v_bfe_u32 v15, v14, 16, 1
	v_or_b32_e32 v16, 0x400000, v14
	v_cmp_u_f32_e32 vcc_lo, v14, v14
	v_add3_u32 v15, v15, v14, 0x7fff
	v_cndmask_b32_e32 v14, v15, v16, vcc_lo
	v_bfe_u32 v15, v10, 16, 1
	v_or_b32_e32 v16, 0x400000, v10
	v_cmp_u_f32_e32 vcc_lo, v10, v10
	v_and_b32_e32 v13, 0xffff0000, v14
	v_add3_u32 v15, v15, v10, 0x7fff
	v_cndmask_b32_e32 v10, v15, v16, vcc_lo
	v_and_b32_e32 v15, 0xffff0000, v11
	v_lshlrev_b32_e32 v11, 16, v11
	v_and_b32_e32 v10, 0xffff0000, v10
	v_mul_f32_e32 v15, v82, v15
	v_mul_f32_e32 v11, v86, v11
	v_add_f32_e32 v10, v10, v13
	v_bfe_u32 v16, v15, 16, 1
	v_or_b32_e32 v21, 0x400000, v15
	v_cmp_u_f32_e32 vcc_lo, v15, v15
	v_add_f32_e32 v9, v10, v9
	v_add3_u32 v16, v16, v15, 0x7fff
	v_cndmask_b32_e32 v15, v16, v21, vcc_lo
	v_bfe_u32 v16, v11, 16, 1
	v_or_b32_e32 v21, 0x400000, v11
	v_cmp_u_f32_e32 vcc_lo, v11, v11
	v_add3_u32 v16, v16, v11, 0x7fff
	v_cndmask_b32_e32 v11, v16, v21, vcc_lo
	v_and_b32_e32 v16, 0xffff0000, v12
	v_lshlrev_b32_e32 v12, 16, v12
	v_and_b32_e32 v10, 0xffff0000, v11
	v_and_b32_e32 v11, 0xffff0000, v15
	buffer_load_dword v15, off, s[40:43], 0 offset:48 ; 4-byte Folded Reload
	v_mul_f32_e32 v16, v81, v16
	v_mul_f32_e32 v12, v85, v12
	v_add_f32_e32 v10, v10, v11
	v_bfe_u32 v21, v16, 16, 1
	v_or_b32_e32 v22, 0x400000, v16
	v_cmp_u_f32_e32 vcc_lo, v16, v16
	v_add_f32_e32 v9, v10, v9
	v_add3_u32 v21, v21, v16, 0x7fff
	v_cndmask_b32_e32 v16, v21, v22, vcc_lo
	v_bfe_u32 v21, v12, 16, 1
	v_or_b32_e32 v22, 0x400000, v12
	v_cmp_u_f32_e32 vcc_lo, v12, v12
	v_and_b32_e32 v11, 0xffff0000, v16
	v_add3_u32 v21, v21, v12, 0x7fff
	v_cndmask_b32_e32 v12, v21, v22, vcc_lo
	s_clause 0x1
	buffer_load_dword v22, off, s[40:43], 0 offset:56
	buffer_load_dword v21, off, s[40:43], 0 offset:52
	v_and_b32_e32 v10, 0xffff0000, v12
	v_add_f32_e32 v10, v10, v11
	v_add_f32_e32 v9, v10, v9
	s_waitcnt vmcnt(2)
	v_add_f32_e32 v15, v15, v9
	v_and_b32_e32 v9, 0xffff0000, v5
	v_lshlrev_b32_e32 v5, 16, v5
	v_mul_f32_e32 v9, v84, v9
	v_mul_f32_e32 v5, v88, v5
	v_bfe_u32 v10, v9, 16, 1
	v_or_b32_e32 v11, 0x400000, v9
	v_cmp_u_f32_e32 vcc_lo, v9, v9
	v_add3_u32 v10, v10, v9, 0x7fff
	v_cndmask_b32_e32 v9, v10, v11, vcc_lo
	v_bfe_u32 v10, v5, 16, 1
	v_or_b32_e32 v11, 0x400000, v5
	v_cmp_u_f32_e32 vcc_lo, v5, v5
	v_and_b32_e32 v9, 0xffff0000, v9
	v_add3_u32 v10, v10, v5, 0x7fff
	v_cndmask_b32_e32 v5, v10, v11, vcc_lo
	v_and_b32_e32 v10, 0xffff0000, v6
	v_lshlrev_b32_e32 v6, 16, v6
	v_and_b32_e32 v5, 0xffff0000, v5
	v_mul_f32_e32 v10, v83, v10
	v_mul_f32_e32 v6, v87, v6
	v_add_f32_e32 v5, v5, v9
	v_bfe_u32 v11, v10, 16, 1
	v_or_b32_e32 v12, 0x400000, v10
	v_cmp_u_f32_e32 vcc_lo, v10, v10
	v_add3_u32 v11, v11, v10, 0x7fff
	v_cndmask_b32_e32 v10, v11, v12, vcc_lo
	v_bfe_u32 v11, v6, 16, 1
	v_or_b32_e32 v12, 0x400000, v6
	v_cmp_u_f32_e32 vcc_lo, v6, v6
	v_and_b32_e32 v9, 0xffff0000, v10
	v_add3_u32 v11, v11, v6, 0x7fff
	v_cndmask_b32_e32 v6, v11, v12, vcc_lo
	v_and_b32_e32 v11, 0xffff0000, v7
	v_lshlrev_b32_e32 v7, 16, v7
	v_and_b32_e32 v6, 0xffff0000, v6
	v_mul_f32_e32 v11, v82, v11
	v_mul_f32_e32 v7, v86, v7
	v_add_f32_e32 v6, v6, v9
	v_bfe_u32 v12, v11, 16, 1
	v_or_b32_e32 v13, 0x400000, v11
	v_cmp_u_f32_e32 vcc_lo, v11, v11
	v_add_f32_e32 v5, v6, v5
	v_add3_u32 v12, v12, v11, 0x7fff
	v_cndmask_b32_e32 v11, v12, v13, vcc_lo
	v_bfe_u32 v12, v7, 16, 1
	v_or_b32_e32 v13, 0x400000, v7
	v_cmp_u_f32_e32 vcc_lo, v7, v7
	v_add3_u32 v12, v12, v7, 0x7fff
	v_cndmask_b32_e32 v7, v12, v13, vcc_lo
	v_and_b32_e32 v12, 0xffff0000, v8
	v_lshlrev_b32_e32 v8, 16, v8
	v_and_b32_e32 v6, 0xffff0000, v7
	v_mul_f32_e32 v12, v81, v12
	v_mul_f32_e32 v8, v85, v8
	v_and_b32_e32 v7, 0xffff0000, v11
	v_bfe_u32 v13, v12, 16, 1
	v_or_b32_e32 v14, 0x400000, v12
	v_cmp_u_f32_e32 vcc_lo, v12, v12
	v_add_f32_e32 v6, v6, v7
	v_add3_u32 v13, v13, v12, 0x7fff
	v_add_f32_e32 v5, v6, v5
	v_cndmask_b32_e32 v12, v13, v14, vcc_lo
	v_bfe_u32 v13, v8, 16, 1
	v_or_b32_e32 v14, 0x400000, v8
	v_cmp_u_f32_e32 vcc_lo, v8, v8
	v_and_b32_e32 v7, 0xffff0000, v12
	v_add3_u32 v13, v13, v8, 0x7fff
	v_cndmask_b32_e32 v8, v13, v14, vcc_lo
	v_and_b32_e32 v6, 0xffff0000, v8
	v_add_f32_e32 v6, v6, v7
	v_add_f32_e32 v5, v6, v5
	s_waitcnt vmcnt(1)
	v_add_f32_e32 v22, v22, v5
	v_and_b32_e32 v5, 0xffff0000, v1
	v_lshlrev_b32_e32 v1, 16, v1
	v_mul_f32_e32 v5, v84, v5
	v_mul_f32_e32 v1, v88, v1
	v_bfe_u32 v6, v5, 16, 1
	v_or_b32_e32 v7, 0x400000, v5
	v_cmp_u_f32_e32 vcc_lo, v5, v5
	v_add3_u32 v6, v6, v5, 0x7fff
	v_cndmask_b32_e32 v5, v6, v7, vcc_lo
	v_bfe_u32 v6, v1, 16, 1
	v_or_b32_e32 v7, 0x400000, v1
	v_cmp_u_f32_e32 vcc_lo, v1, v1
	v_and_b32_e32 v5, 0xffff0000, v5
	v_add3_u32 v6, v6, v1, 0x7fff
	v_cndmask_b32_e32 v1, v6, v7, vcc_lo
	v_and_b32_e32 v6, 0xffff0000, v2
	v_lshlrev_b32_e32 v2, 16, v2
	v_and_b32_e32 v1, 0xffff0000, v1
	v_mul_f32_e32 v6, v83, v6
	v_mul_f32_e32 v2, v87, v2
	v_add_f32_e32 v1, v1, v5
	v_bfe_u32 v7, v6, 16, 1
	v_or_b32_e32 v8, 0x400000, v6
	v_cmp_u_f32_e32 vcc_lo, v6, v6
	v_add3_u32 v7, v7, v6, 0x7fff
	v_cndmask_b32_e32 v6, v7, v8, vcc_lo
	v_bfe_u32 v7, v2, 16, 1
	v_or_b32_e32 v8, 0x400000, v2
	v_cmp_u_f32_e32 vcc_lo, v2, v2
	v_and_b32_e32 v5, 0xffff0000, v6
	v_add3_u32 v7, v7, v2, 0x7fff
	v_cndmask_b32_e32 v2, v7, v8, vcc_lo
	v_and_b32_e32 v7, 0xffff0000, v3
	v_lshlrev_b32_e32 v3, 16, v3
	v_and_b32_e32 v2, 0xffff0000, v2
	v_mul_f32_e32 v7, v82, v7
	v_mul_f32_e32 v3, v86, v3
	v_add_f32_e32 v2, v2, v5
	v_bfe_u32 v8, v7, 16, 1
	v_or_b32_e32 v9, 0x400000, v7
	v_cmp_u_f32_e32 vcc_lo, v7, v7
	v_add_f32_e32 v1, v2, v1
	v_add3_u32 v8, v8, v7, 0x7fff
	v_cndmask_b32_e32 v7, v8, v9, vcc_lo
	v_bfe_u32 v8, v3, 16, 1
	v_or_b32_e32 v9, 0x400000, v3
	v_cmp_u_f32_e32 vcc_lo, v3, v3
	v_add3_u32 v8, v8, v3, 0x7fff
	v_cndmask_b32_e32 v3, v8, v9, vcc_lo
	v_and_b32_e32 v8, 0xffff0000, v4
	v_lshlrev_b32_e32 v4, 16, v4
	v_and_b32_e32 v2, 0xffff0000, v3
	v_mul_f32_e32 v8, v81, v8
	v_mul_f32_e32 v4, v85, v4
	v_and_b32_e32 v3, 0xffff0000, v7
	v_bfe_u32 v9, v8, 16, 1
	v_or_b32_e32 v10, 0x400000, v8
	v_cmp_u_f32_e32 vcc_lo, v8, v8
	v_add_f32_e32 v2, v2, v3
	v_add3_u32 v9, v9, v8, 0x7fff
	v_add_f32_e32 v1, v2, v1
	v_cndmask_b32_e32 v8, v9, v10, vcc_lo
	v_bfe_u32 v9, v4, 16, 1
	v_or_b32_e32 v10, 0x400000, v4
	v_cmp_u_f32_e32 vcc_lo, v4, v4
	v_and_b32_e32 v3, 0xffff0000, v8
	v_add3_u32 v9, v9, v4, 0x7fff
	v_cndmask_b32_e32 v4, v9, v10, vcc_lo
	v_and_b32_e32 v2, 0xffff0000, v4
	v_add_f32_e32 v2, v2, v3
	v_add_f32_e32 v1, v2, v1
	s_waitcnt vmcnt(0)
	v_add_f32_e32 v21, v21, v1
	v_lshlrev_b32_e32 v1, 16, v17
	v_mul_f32_e32 v1, v88, v1
	v_bfe_u32 v2, v1, 16, 1
	v_or_b32_e32 v3, 0x400000, v1
	v_cmp_u_f32_e32 vcc_lo, v1, v1
	v_add3_u32 v2, v2, v1, 0x7fff
	v_cndmask_b32_e32 v1, v2, v3, vcc_lo
	v_and_b32_e32 v2, 0xffff0000, v17
	v_and_b32_e32 v1, 0xffff0000, v1
	v_mul_f32_e32 v2, v84, v2
	v_bfe_u32 v3, v2, 16, 1
	v_or_b32_e32 v4, 0x400000, v2
	v_cmp_u_f32_e32 vcc_lo, v2, v2
	v_add3_u32 v3, v3, v2, 0x7fff
	v_cndmask_b32_e32 v2, v3, v4, vcc_lo
	v_lshlrev_b32_e32 v3, 16, v18
	v_and_b32_e32 v2, 0xffff0000, v2
	v_mul_f32_e32 v3, v87, v3
	v_add_f32_e32 v1, v1, v2
	v_bfe_u32 v4, v3, 16, 1
	v_or_b32_e32 v5, 0x400000, v3
	v_cmp_u_f32_e32 vcc_lo, v3, v3
	v_add3_u32 v4, v4, v3, 0x7fff
	v_cndmask_b32_e32 v3, v4, v5, vcc_lo
	v_and_b32_e32 v4, 0xffff0000, v18
	v_and_b32_e32 v3, 0xffff0000, v3
	v_mul_f32_e32 v4, v83, v4
	v_bfe_u32 v5, v4, 16, 1
	v_or_b32_e32 v6, 0x400000, v4
	v_cmp_u_f32_e32 vcc_lo, v4, v4
	v_add3_u32 v5, v5, v4, 0x7fff
	v_cndmask_b32_e32 v4, v5, v6, vcc_lo
	v_lshlrev_b32_e32 v5, 16, v19
	v_and_b32_e32 v2, 0xffff0000, v4
	v_mul_f32_e32 v5, v86, v5
	v_add_f32_e32 v2, v3, v2
	v_bfe_u32 v6, v5, 16, 1
	v_or_b32_e32 v7, 0x400000, v5
	v_cmp_u_f32_e32 vcc_lo, v5, v5
	v_add_f32_e32 v1, v2, v1
	v_add3_u32 v6, v6, v5, 0x7fff
	v_cndmask_b32_e32 v5, v6, v7, vcc_lo
	v_and_b32_e32 v6, 0xffff0000, v19
	v_and_b32_e32 v3, 0xffff0000, v5
	v_mul_f32_e32 v6, v82, v6
	v_bfe_u32 v7, v6, 16, 1
	v_or_b32_e32 v8, 0x400000, v6
	v_cmp_u_f32_e32 vcc_lo, v6, v6
	v_add3_u32 v7, v7, v6, 0x7fff
	v_cndmask_b32_e32 v6, v7, v8, vcc_lo
	v_lshlrev_b32_e32 v7, 16, v20
	v_and_b32_e32 v2, 0xffff0000, v6
	v_mul_f32_e32 v7, v85, v7
	v_add_f32_e32 v2, v3, v2
	v_bfe_u32 v8, v7, 16, 1
	v_or_b32_e32 v9, 0x400000, v7
	v_cmp_u_f32_e32 vcc_lo, v7, v7
	v_add_f32_e32 v1, v2, v1
	v_add3_u32 v8, v8, v7, 0x7fff
	v_cndmask_b32_e32 v7, v8, v9, vcc_lo
	v_and_b32_e32 v8, 0xffff0000, v20
	v_and_b32_e32 v3, 0xffff0000, v7
	v_mul_f32_e32 v8, v81, v8
	v_bfe_u32 v9, v8, 16, 1
	v_or_b32_e32 v10, 0x400000, v8
	v_cmp_u_f32_e32 vcc_lo, v8, v8
	v_add3_u32 v9, v9, v8, 0x7fff
	v_cndmask_b32_e32 v8, v9, v10, vcc_lo
	v_and_b32_e32 v2, 0xffff0000, v8
	v_add_f32_e32 v2, v3, v2
	v_add_f32_e32 v1, v2, v1
	;; [unrolled: 1-line block ×3, first 2 shown]
.LBB151_34:                             ;   in Loop: Header=BB151_35 Depth=1
	s_or_b32 exec_lo, exec_lo, s18
	v_add_nc_u32_e32 v120, 4, v120
	v_add_co_u32 v105, s0, v105, 16
	v_add_co_ci_u32_e64 v106, null, 0, v106, s0
	v_cmp_le_i32_e32 vcc_lo, s16, v120
	v_add_nc_u32_e32 v109, 0x80, v109
	v_add_nc_u32_e32 v119, 0x200, v119
	s_or_b32 s15, vcc_lo, s15
	s_andn2_b32 exec_lo, exec_lo, s15
	s_cbranch_execz .LBB151_84
.LBB151_35:                             ; =>This Inner Loop Header: Depth=1
	v_mul_hi_u32 v1, v109, s21
	v_mul_lo_u32 v2, v1, s12
	v_add_nc_u32_e32 v3, 1, v1
	v_sub_nc_u32_e32 v2, v109, v2
	v_subrev_nc_u32_e32 v4, s12, v2
	v_cmp_le_u32_e32 vcc_lo, s12, v2
	v_cndmask_b32_e32 v2, v2, v4, vcc_lo
	buffer_load_dword v4, off, s[40:43], 0  ; 4-byte Folded Reload
	v_cndmask_b32_e32 v1, v1, v3, vcc_lo
	v_cmp_le_u32_e32 vcc_lo, s12, v2
	v_add_nc_u32_e32 v3, 1, v1
	v_cndmask_b32_e32 v1, v1, v3, vcc_lo
	v_xor_b32_e32 v1, s19, v1
	v_subrev_nc_u32_e32 v1, s19, v1
	v_add_nc_u32_e32 v2, s29, v1
	v_cmp_lt_i32_e64 s0, s4, v1
	v_sub_nc_u32_e32 v3, 0, v2
	v_max_i32_e32 v3, v2, v3
	v_ashrrev_i32_e32 v2, 31, v2
	s_waitcnt vmcnt(0)
	v_mul_hi_u32 v4, v3, v4
	v_mul_lo_u32 v4, v4, s5
	v_sub_nc_u32_e32 v3, v3, v4
	v_subrev_nc_u32_e32 v4, s5, v3
	v_cmp_le_u32_e32 vcc_lo, s5, v3
	v_cndmask_b32_e32 v3, v3, v4, vcc_lo
	v_subrev_nc_u32_e32 v4, s5, v3
	v_cmp_le_u32_e32 vcc_lo, s5, v3
	v_cndmask_b32_e32 v3, v3, v4, vcc_lo
	v_xor_b32_e32 v3, v3, v2
	v_sub_nc_u32_e32 v2, v3, v2
	v_cmp_eq_u32_e32 vcc_lo, 0, v2
	s_or_b32 s0, vcc_lo, s0
	s_and_saveexec_b32 s18, s0
	s_cbranch_execz .LBB151_34
; %bb.36:                               ;   in Loop: Header=BB151_35 Depth=1
	buffer_store_dword v22, off, s[40:43], 0 offset:56 ; 4-byte Folded Spill
	buffer_store_dword v21, off, s[40:43], 0 offset:52 ; 4-byte Folded Spill
	;; [unrolled: 1-line block ×13, first 2 shown]
	global_load_dword v1, v[105:106], off
	buffer_load_dword v3, off, s[40:43], 0 offset:68 ; 4-byte Folded Reload
	buffer_store_dword v48, off, s[40:43], 0 offset:4 ; 4-byte Folded Spill
	v_mov_b32_e32 v0, v95
	v_cmp_eq_u32_e64 s0, s14, v120
	s_waitcnt vmcnt(1)
	v_mad_i64_i32 v[1:2], null, v1, s13, 0
	v_lshlrev_b64 v[1:2], 1, v[1:2]
	s_waitcnt vmcnt(0)
	v_add_co_u32 v17, vcc_lo, v3, v1
	buffer_load_dword v1, off, s[40:43], 0 offset:72 ; 4-byte Folded Reload
	s_waitcnt vmcnt(0)
	v_add_co_ci_u32_e64 v18, null, v1, v2, vcc_lo
	global_load_dwordx4 v[1:4], v[17:18], off
	ds_read2_b64 v[85:88], v119 offset1:1
	ds_read2_b64 v[81:84], v119 offset0:2 offset1:3
	buffer_load_dword v5, off, s[40:43], 0 offset:64 ; 4-byte Folded Reload
	s_waitcnt vmcnt(0)
	v_add_nc_u32_e32 v127, v5, v109
	v_add_nc_u32_e32 v112, 1, v127
	v_or_b32_e32 v126, 3, v127
	v_or_b32_e32 v125, 2, v127
	;; [unrolled: 1-line block ×6, first 2 shown]
	s_and_saveexec_b32 s22, s0
	s_cbranch_execnz .LBB151_65
; %bb.37:                               ;   in Loop: Header=BB151_35 Depth=1
	s_or_b32 exec_lo, exec_lo, s22
	global_load_dwordx4 v[5:8], v[17:18], off offset:512
	s_and_saveexec_b32 s22, s0
	s_cbranch_execnz .LBB151_66
.LBB151_38:                             ;   in Loop: Header=BB151_35 Depth=1
	s_or_b32 exec_lo, exec_lo, s22
	global_load_dwordx4 v[9:12], v[17:18], off offset:1024
	s_and_saveexec_b32 s22, s0
	s_cbranch_execnz .LBB151_67
.LBB151_39:                             ;   in Loop: Header=BB151_35 Depth=1
	s_or_b32 exec_lo, exec_lo, s22
	global_load_dwordx4 v[13:16], v[17:18], off offset:1536
	s_and_saveexec_b32 s22, s0
	s_cbranch_execz .LBB151_41
.LBB151_40:                             ;   in Loop: Header=BB151_35 Depth=1
	v_cmp_gt_i32_e64 s1, s28, v127
	v_cmp_gt_i32_e32 vcc_lo, s17, v112
	v_cmp_gt_i32_e64 s2, s28, v125
	s_waitcnt vmcnt(0)
	v_cndmask_b32_e64 v19, 0, v13, s1
	v_cmp_gt_i32_e64 s1, s17, v126
	v_cndmask_b32_sdwa v13, v118, v13, vcc_lo dst_sel:DWORD dst_unused:UNUSED_PAD src0_sel:DWORD src1_sel:WORD_1
	v_cndmask_b32_e64 v20, 0, v14, s2
	v_cmp_gt_i32_e64 s2, s17, v124
	s_mov_b32 vcc_lo, s1
	v_cmp_gt_i32_e64 s1, s17, v122
	v_cndmask_b32_sdwa v14, v118, v14, vcc_lo dst_sel:DWORD dst_unused:UNUSED_PAD src0_sel:DWORD src1_sel:WORD_1
	v_cmp_gt_i32_e32 vcc_lo, s28, v123
	v_perm_b32 v13, v13, v19, 0x5040100
	v_perm_b32 v14, v14, v20, 0x5040100
	v_cndmask_b32_e32 v21, 0, v15, vcc_lo
	s_mov_b32 vcc_lo, s2
	v_cndmask_b32_sdwa v15, v118, v15, vcc_lo dst_sel:DWORD dst_unused:UNUSED_PAD src0_sel:DWORD src1_sel:WORD_1
	v_cmp_gt_i32_e32 vcc_lo, s28, v121
	v_perm_b32 v15, v15, v21, 0x5040100
	v_cndmask_b32_e32 v22, 0, v16, vcc_lo
	s_mov_b32 vcc_lo, s1
	v_cndmask_b32_sdwa v16, v118, v16, vcc_lo dst_sel:DWORD dst_unused:UNUSED_PAD src0_sel:DWORD src1_sel:WORD_1
	v_perm_b32 v16, v16, v22, 0x5040100
.LBB151_41:                             ;   in Loop: Header=BB151_35 Depth=1
	s_or_b32 exec_lo, exec_lo, s22
	v_add_co_u32 v19, vcc_lo, 0x800, v17
	v_add_co_ci_u32_e64 v20, null, 0, v18, vcc_lo
	global_load_dwordx4 v[21:24], v[19:20], off
	s_and_saveexec_b32 s22, s0
	s_cbranch_execnz .LBB151_68
; %bb.42:                               ;   in Loop: Header=BB151_35 Depth=1
	s_or_b32 exec_lo, exec_lo, s22
	global_load_dwordx4 v[25:28], v[19:20], off offset:512
	s_and_saveexec_b32 s22, s0
	s_cbranch_execnz .LBB151_69
.LBB151_43:                             ;   in Loop: Header=BB151_35 Depth=1
	s_or_b32 exec_lo, exec_lo, s22
	global_load_dwordx4 v[29:32], v[19:20], off offset:1024
	s_and_saveexec_b32 s22, s0
	s_cbranch_execnz .LBB151_70
.LBB151_44:                             ;   in Loop: Header=BB151_35 Depth=1
	s_or_b32 exec_lo, exec_lo, s22
	global_load_dwordx4 v[33:36], v[19:20], off offset:1536
	s_and_saveexec_b32 s22, s0
	s_cbranch_execz .LBB151_46
.LBB151_45:                             ;   in Loop: Header=BB151_35 Depth=1
	v_cmp_gt_i32_e64 s1, s28, v127
	v_cmp_gt_i32_e32 vcc_lo, s17, v112
	v_cmp_gt_i32_e64 s2, s28, v125
	s_waitcnt vmcnt(0)
	v_cndmask_b32_e64 v19, 0, v33, s1
	v_cmp_gt_i32_e64 s1, s17, v126
	v_cndmask_b32_sdwa v33, v118, v33, vcc_lo dst_sel:DWORD dst_unused:UNUSED_PAD src0_sel:DWORD src1_sel:WORD_1
	v_cndmask_b32_e64 v20, 0, v34, s2
	v_cmp_gt_i32_e64 s2, s17, v124
	s_mov_b32 vcc_lo, s1
	v_cmp_gt_i32_e64 s1, s17, v122
	v_cndmask_b32_sdwa v34, v118, v34, vcc_lo dst_sel:DWORD dst_unused:UNUSED_PAD src0_sel:DWORD src1_sel:WORD_1
	v_cmp_gt_i32_e32 vcc_lo, s28, v123
	v_perm_b32 v33, v33, v19, 0x5040100
	v_perm_b32 v34, v34, v20, 0x5040100
	v_cndmask_b32_e32 v37, 0, v35, vcc_lo
	s_mov_b32 vcc_lo, s2
	v_cndmask_b32_sdwa v35, v118, v35, vcc_lo dst_sel:DWORD dst_unused:UNUSED_PAD src0_sel:DWORD src1_sel:WORD_1
	v_cmp_gt_i32_e32 vcc_lo, s28, v121
	v_perm_b32 v35, v35, v37, 0x5040100
	v_cndmask_b32_e32 v38, 0, v36, vcc_lo
	s_mov_b32 vcc_lo, s1
	v_cndmask_b32_sdwa v36, v118, v36, vcc_lo dst_sel:DWORD dst_unused:UNUSED_PAD src0_sel:DWORD src1_sel:WORD_1
	v_perm_b32 v36, v36, v38, 0x5040100
.LBB151_46:                             ;   in Loop: Header=BB151_35 Depth=1
	s_or_b32 exec_lo, exec_lo, s22
	v_add_co_u32 v19, vcc_lo, 0x1000, v17
	v_add_co_ci_u32_e64 v20, null, 0, v18, vcc_lo
	global_load_dwordx4 v[37:40], v[19:20], off
	s_and_saveexec_b32 s22, s0
	s_cbranch_execnz .LBB151_71
; %bb.47:                               ;   in Loop: Header=BB151_35 Depth=1
	s_or_b32 exec_lo, exec_lo, s22
	global_load_dwordx4 v[41:44], v[19:20], off offset:512
	s_and_saveexec_b32 s22, s0
	s_cbranch_execnz .LBB151_72
.LBB151_48:                             ;   in Loop: Header=BB151_35 Depth=1
	s_or_b32 exec_lo, exec_lo, s22
	global_load_dwordx4 v[45:48], v[19:20], off offset:1024
	s_and_saveexec_b32 s22, s0
	s_cbranch_execnz .LBB151_73
.LBB151_49:                             ;   in Loop: Header=BB151_35 Depth=1
	s_or_b32 exec_lo, exec_lo, s22
	global_load_dwordx4 v[49:52], v[19:20], off offset:1536
	s_and_saveexec_b32 s22, s0
	s_cbranch_execz .LBB151_51
.LBB151_50:                             ;   in Loop: Header=BB151_35 Depth=1
	v_cmp_gt_i32_e64 s1, s28, v127
	v_cmp_gt_i32_e32 vcc_lo, s17, v112
	v_cmp_gt_i32_e64 s2, s28, v125
	s_waitcnt vmcnt(0)
	v_cndmask_b32_e64 v19, 0, v49, s1
	v_cmp_gt_i32_e64 s1, s17, v126
	v_cndmask_b32_sdwa v49, v118, v49, vcc_lo dst_sel:DWORD dst_unused:UNUSED_PAD src0_sel:DWORD src1_sel:WORD_1
	v_cndmask_b32_e64 v20, 0, v50, s2
	v_cmp_gt_i32_e64 s2, s17, v124
	s_mov_b32 vcc_lo, s1
	v_cmp_gt_i32_e64 s1, s17, v122
	v_cndmask_b32_sdwa v50, v118, v50, vcc_lo dst_sel:DWORD dst_unused:UNUSED_PAD src0_sel:DWORD src1_sel:WORD_1
	v_cmp_gt_i32_e32 vcc_lo, s28, v123
	v_perm_b32 v49, v49, v19, 0x5040100
	v_perm_b32 v50, v50, v20, 0x5040100
	v_cndmask_b32_e32 v53, 0, v51, vcc_lo
	s_mov_b32 vcc_lo, s2
	v_cndmask_b32_sdwa v51, v118, v51, vcc_lo dst_sel:DWORD dst_unused:UNUSED_PAD src0_sel:DWORD src1_sel:WORD_1
	v_cmp_gt_i32_e32 vcc_lo, s28, v121
	v_perm_b32 v51, v51, v53, 0x5040100
	v_cndmask_b32_e32 v54, 0, v52, vcc_lo
	s_mov_b32 vcc_lo, s1
	v_cndmask_b32_sdwa v52, v118, v52, vcc_lo dst_sel:DWORD dst_unused:UNUSED_PAD src0_sel:DWORD src1_sel:WORD_1
	v_perm_b32 v52, v52, v54, 0x5040100
.LBB151_51:                             ;   in Loop: Header=BB151_35 Depth=1
	s_or_b32 exec_lo, exec_lo, s22
	v_add_co_u32 v19, vcc_lo, 0x1800, v17
	v_add_co_ci_u32_e64 v20, null, 0, v18, vcc_lo
	global_load_dwordx4 v[53:56], v[19:20], off
	s_and_saveexec_b32 s22, s0
	s_cbranch_execnz .LBB151_74
; %bb.52:                               ;   in Loop: Header=BB151_35 Depth=1
	s_or_b32 exec_lo, exec_lo, s22
	global_load_dwordx4 v[57:60], v[19:20], off offset:512
	s_and_saveexec_b32 s22, s0
	s_cbranch_execnz .LBB151_75
.LBB151_53:                             ;   in Loop: Header=BB151_35 Depth=1
	s_or_b32 exec_lo, exec_lo, s22
	global_load_dwordx4 v[61:64], v[19:20], off offset:1024
	s_and_saveexec_b32 s22, s0
	s_cbranch_execnz .LBB151_76
.LBB151_54:                             ;   in Loop: Header=BB151_35 Depth=1
	s_or_b32 exec_lo, exec_lo, s22
	global_load_dwordx4 v[65:68], v[19:20], off offset:1536
	s_and_saveexec_b32 s22, s0
	s_cbranch_execz .LBB151_56
.LBB151_55:                             ;   in Loop: Header=BB151_35 Depth=1
	v_cmp_gt_i32_e64 s1, s28, v127
	v_cmp_gt_i32_e32 vcc_lo, s17, v112
	v_cmp_gt_i32_e64 s2, s28, v125
	s_waitcnt vmcnt(0)
	v_cndmask_b32_e64 v19, 0, v65, s1
	v_cmp_gt_i32_e64 s1, s17, v126
	v_cndmask_b32_sdwa v65, v118, v65, vcc_lo dst_sel:DWORD dst_unused:UNUSED_PAD src0_sel:DWORD src1_sel:WORD_1
	v_cndmask_b32_e64 v20, 0, v66, s2
	v_cmp_gt_i32_e64 s2, s17, v124
	s_mov_b32 vcc_lo, s1
	v_cmp_gt_i32_e64 s1, s17, v122
	v_cndmask_b32_sdwa v66, v118, v66, vcc_lo dst_sel:DWORD dst_unused:UNUSED_PAD src0_sel:DWORD src1_sel:WORD_1
	v_cmp_gt_i32_e32 vcc_lo, s28, v123
	v_perm_b32 v65, v65, v19, 0x5040100
	v_perm_b32 v66, v66, v20, 0x5040100
	v_cndmask_b32_e32 v69, 0, v67, vcc_lo
	s_mov_b32 vcc_lo, s2
	v_cndmask_b32_sdwa v67, v118, v67, vcc_lo dst_sel:DWORD dst_unused:UNUSED_PAD src0_sel:DWORD src1_sel:WORD_1
	v_cmp_gt_i32_e32 vcc_lo, s28, v121
	v_perm_b32 v67, v67, v69, 0x5040100
	v_cndmask_b32_e32 v70, 0, v68, vcc_lo
	s_mov_b32 vcc_lo, s1
	v_cndmask_b32_sdwa v68, v118, v68, vcc_lo dst_sel:DWORD dst_unused:UNUSED_PAD src0_sel:DWORD src1_sel:WORD_1
	v_perm_b32 v68, v68, v70, 0x5040100
.LBB151_56:                             ;   in Loop: Header=BB151_35 Depth=1
	s_or_b32 exec_lo, exec_lo, s22
	v_add_co_u32 v19, vcc_lo, 0x2000, v17
	v_add_co_ci_u32_e64 v20, null, 0, v18, vcc_lo
	global_load_dwordx4 v[69:72], v[19:20], off
	s_and_saveexec_b32 s2, s0
	s_cbranch_execnz .LBB151_77
; %bb.57:                               ;   in Loop: Header=BB151_35 Depth=1
	s_or_b32 exec_lo, exec_lo, s2
	global_load_dwordx4 v[73:76], v[19:20], off offset:512
	s_and_saveexec_b32 s2, s0
	s_cbranch_execnz .LBB151_78
.LBB151_58:                             ;   in Loop: Header=BB151_35 Depth=1
	s_or_b32 exec_lo, exec_lo, s2
	global_load_dwordx4 v[77:80], v[19:20], off offset:1024
	s_and_saveexec_b32 s2, s0
	s_cbranch_execnz .LBB151_79
.LBB151_59:                             ;   in Loop: Header=BB151_35 Depth=1
	s_or_b32 exec_lo, exec_lo, s2
	global_load_dwordx4 v[89:92], v[19:20], off offset:1536
	s_and_saveexec_b32 s2, s0
	s_cbranch_execz .LBB151_61
.LBB151_60:                             ;   in Loop: Header=BB151_35 Depth=1
	v_cmp_gt_i32_e64 s1, s28, v127
	v_cmp_gt_i32_e32 vcc_lo, s17, v112
	s_waitcnt vmcnt(0)
	v_cndmask_b32_e64 v20, 0, v89, s1
	v_cndmask_b32_sdwa v19, v118, v89, vcc_lo dst_sel:DWORD dst_unused:UNUSED_PAD src0_sel:DWORD src1_sel:WORD_1
	v_cmp_gt_i32_e32 vcc_lo, s17, v126
	v_cmp_gt_i32_e64 s1, s28, v125
	v_perm_b32 v89, v19, v20, 0x5040100
	v_cndmask_b32_sdwa v20, v118, v90, vcc_lo dst_sel:DWORD dst_unused:UNUSED_PAD src0_sel:DWORD src1_sel:WORD_1
	v_cndmask_b32_e64 v19, 0, v90, s1
	v_cmp_gt_i32_e32 vcc_lo, s17, v124
	v_cmp_gt_i32_e64 s1, s28, v123
	v_perm_b32 v90, v20, v19, 0x5040100
	v_cndmask_b32_sdwa v20, v118, v91, vcc_lo dst_sel:DWORD dst_unused:UNUSED_PAD src0_sel:DWORD src1_sel:WORD_1
	v_cndmask_b32_e64 v19, 0, v91, s1
	v_cmp_gt_i32_e32 vcc_lo, s17, v122
	v_cmp_gt_i32_e64 s1, s28, v121
	v_perm_b32 v91, v20, v19, 0x5040100
	v_cndmask_b32_sdwa v20, v118, v92, vcc_lo dst_sel:DWORD dst_unused:UNUSED_PAD src0_sel:DWORD src1_sel:WORD_1
	v_cndmask_b32_e64 v19, 0, v92, s1
	v_perm_b32 v92, v20, v19, 0x5040100
.LBB151_61:                             ;   in Loop: Header=BB151_35 Depth=1
	s_or_b32 exec_lo, exec_lo, s2
	v_add_co_u32 v17, vcc_lo, 0x2800, v17
	v_add_co_ci_u32_e64 v18, null, 0, v18, vcc_lo
	global_load_dwordx4 v[93:96], v[17:18], off
	s_and_saveexec_b32 s2, s0
	s_cbranch_execnz .LBB151_80
; %bb.62:                               ;   in Loop: Header=BB151_35 Depth=1
	s_or_b32 exec_lo, exec_lo, s2
	global_load_dwordx4 v[97:100], v[17:18], off offset:512
	s_and_saveexec_b32 s2, s0
	s_cbranch_execnz .LBB151_81
.LBB151_63:                             ;   in Loop: Header=BB151_35 Depth=1
	s_or_b32 exec_lo, exec_lo, s2
	global_load_dwordx4 v[101:104], v[17:18], off offset:1024
	s_and_saveexec_b32 s2, s0
	s_cbranch_execnz .LBB151_82
.LBB151_64:                             ;   in Loop: Header=BB151_35 Depth=1
	s_or_b32 exec_lo, exec_lo, s2
	global_load_dwordx4 v[17:20], v[17:18], off offset:1536
	s_and_saveexec_b32 s1, s0
	s_cbranch_execz .LBB151_33
	s_branch .LBB151_83
.LBB151_65:                             ;   in Loop: Header=BB151_35 Depth=1
	v_cmp_gt_i32_e64 s1, s28, v127
	v_cmp_gt_i32_e32 vcc_lo, s17, v112
	v_cmp_gt_i32_e64 s2, s28, v125
	v_cndmask_b32_e64 v5, 0, v1, s1
	v_cmp_gt_i32_e64 s1, s17, v126
	v_cndmask_b32_sdwa v1, v118, v1, vcc_lo dst_sel:DWORD dst_unused:UNUSED_PAD src0_sel:DWORD src1_sel:WORD_1
	v_cndmask_b32_e64 v6, 0, v2, s2
	v_cmp_gt_i32_e64 s2, s17, v124
	s_mov_b32 vcc_lo, s1
	v_cmp_gt_i32_e64 s1, s17, v122
	v_cndmask_b32_sdwa v2, v118, v2, vcc_lo dst_sel:DWORD dst_unused:UNUSED_PAD src0_sel:DWORD src1_sel:WORD_1
	v_cmp_gt_i32_e32 vcc_lo, s28, v123
	v_perm_b32 v1, v1, v5, 0x5040100
	v_perm_b32 v2, v2, v6, 0x5040100
	v_cndmask_b32_e32 v7, 0, v3, vcc_lo
	s_mov_b32 vcc_lo, s2
	v_cndmask_b32_sdwa v3, v118, v3, vcc_lo dst_sel:DWORD dst_unused:UNUSED_PAD src0_sel:DWORD src1_sel:WORD_1
	v_cmp_gt_i32_e32 vcc_lo, s28, v121
	v_perm_b32 v3, v3, v7, 0x5040100
	v_cndmask_b32_e32 v8, 0, v4, vcc_lo
	s_mov_b32 vcc_lo, s1
	v_cndmask_b32_sdwa v4, v118, v4, vcc_lo dst_sel:DWORD dst_unused:UNUSED_PAD src0_sel:DWORD src1_sel:WORD_1
	v_perm_b32 v4, v4, v8, 0x5040100
	s_or_b32 exec_lo, exec_lo, s22
	global_load_dwordx4 v[5:8], v[17:18], off offset:512
	s_and_saveexec_b32 s22, s0
	s_cbranch_execz .LBB151_38
.LBB151_66:                             ;   in Loop: Header=BB151_35 Depth=1
	v_cmp_gt_i32_e64 s1, s28, v127
	v_cmp_gt_i32_e32 vcc_lo, s17, v112
	v_cmp_gt_i32_e64 s2, s28, v125
	s_waitcnt vmcnt(0)
	v_cndmask_b32_e64 v9, 0, v5, s1
	v_cmp_gt_i32_e64 s1, s17, v126
	v_cndmask_b32_sdwa v5, v118, v5, vcc_lo dst_sel:DWORD dst_unused:UNUSED_PAD src0_sel:DWORD src1_sel:WORD_1
	v_cndmask_b32_e64 v10, 0, v6, s2
	v_cmp_gt_i32_e64 s2, s17, v124
	s_mov_b32 vcc_lo, s1
	v_cmp_gt_i32_e64 s1, s17, v122
	v_cndmask_b32_sdwa v6, v118, v6, vcc_lo dst_sel:DWORD dst_unused:UNUSED_PAD src0_sel:DWORD src1_sel:WORD_1
	v_cmp_gt_i32_e32 vcc_lo, s28, v123
	v_perm_b32 v5, v5, v9, 0x5040100
	v_perm_b32 v6, v6, v10, 0x5040100
	v_cndmask_b32_e32 v11, 0, v7, vcc_lo
	s_mov_b32 vcc_lo, s2
	v_cndmask_b32_sdwa v7, v118, v7, vcc_lo dst_sel:DWORD dst_unused:UNUSED_PAD src0_sel:DWORD src1_sel:WORD_1
	v_cmp_gt_i32_e32 vcc_lo, s28, v121
	v_perm_b32 v7, v7, v11, 0x5040100
	v_cndmask_b32_e32 v12, 0, v8, vcc_lo
	s_mov_b32 vcc_lo, s1
	v_cndmask_b32_sdwa v8, v118, v8, vcc_lo dst_sel:DWORD dst_unused:UNUSED_PAD src0_sel:DWORD src1_sel:WORD_1
	v_perm_b32 v8, v8, v12, 0x5040100
	s_or_b32 exec_lo, exec_lo, s22
	global_load_dwordx4 v[9:12], v[17:18], off offset:1024
	s_and_saveexec_b32 s22, s0
	s_cbranch_execz .LBB151_39
.LBB151_67:                             ;   in Loop: Header=BB151_35 Depth=1
	v_cmp_gt_i32_e64 s1, s28, v127
	v_cmp_gt_i32_e32 vcc_lo, s17, v112
	v_cmp_gt_i32_e64 s2, s28, v125
	s_waitcnt vmcnt(0)
	v_cndmask_b32_e64 v13, 0, v9, s1
	v_cmp_gt_i32_e64 s1, s17, v126
	v_cndmask_b32_sdwa v9, v118, v9, vcc_lo dst_sel:DWORD dst_unused:UNUSED_PAD src0_sel:DWORD src1_sel:WORD_1
	v_cndmask_b32_e64 v14, 0, v10, s2
	v_cmp_gt_i32_e64 s2, s17, v124
	s_mov_b32 vcc_lo, s1
	v_cmp_gt_i32_e64 s1, s17, v122
	v_cndmask_b32_sdwa v10, v118, v10, vcc_lo dst_sel:DWORD dst_unused:UNUSED_PAD src0_sel:DWORD src1_sel:WORD_1
	v_cmp_gt_i32_e32 vcc_lo, s28, v123
	v_perm_b32 v9, v9, v13, 0x5040100
	v_perm_b32 v10, v10, v14, 0x5040100
	v_cndmask_b32_e32 v15, 0, v11, vcc_lo
	s_mov_b32 vcc_lo, s2
	v_cndmask_b32_sdwa v11, v118, v11, vcc_lo dst_sel:DWORD dst_unused:UNUSED_PAD src0_sel:DWORD src1_sel:WORD_1
	v_cmp_gt_i32_e32 vcc_lo, s28, v121
	v_perm_b32 v11, v11, v15, 0x5040100
	v_cndmask_b32_e32 v16, 0, v12, vcc_lo
	s_mov_b32 vcc_lo, s1
	v_cndmask_b32_sdwa v12, v118, v12, vcc_lo dst_sel:DWORD dst_unused:UNUSED_PAD src0_sel:DWORD src1_sel:WORD_1
	v_perm_b32 v12, v12, v16, 0x5040100
	s_or_b32 exec_lo, exec_lo, s22
	global_load_dwordx4 v[13:16], v[17:18], off offset:1536
	s_and_saveexec_b32 s22, s0
	s_cbranch_execnz .LBB151_40
	s_branch .LBB151_41
.LBB151_68:                             ;   in Loop: Header=BB151_35 Depth=1
	v_cmp_gt_i32_e64 s1, s28, v127
	v_cmp_gt_i32_e32 vcc_lo, s17, v112
	v_cmp_gt_i32_e64 s2, s28, v125
	s_waitcnt vmcnt(0)
	v_cndmask_b32_e64 v25, 0, v21, s1
	v_cmp_gt_i32_e64 s1, s17, v126
	v_cndmask_b32_sdwa v21, v118, v21, vcc_lo dst_sel:DWORD dst_unused:UNUSED_PAD src0_sel:DWORD src1_sel:WORD_1
	v_cndmask_b32_e64 v26, 0, v22, s2
	v_cmp_gt_i32_e64 s2, s17, v124
	s_mov_b32 vcc_lo, s1
	v_cmp_gt_i32_e64 s1, s17, v122
	v_cndmask_b32_sdwa v22, v118, v22, vcc_lo dst_sel:DWORD dst_unused:UNUSED_PAD src0_sel:DWORD src1_sel:WORD_1
	v_cmp_gt_i32_e32 vcc_lo, s28, v123
	v_perm_b32 v21, v21, v25, 0x5040100
	v_perm_b32 v22, v22, v26, 0x5040100
	v_cndmask_b32_e32 v27, 0, v23, vcc_lo
	s_mov_b32 vcc_lo, s2
	v_cndmask_b32_sdwa v23, v118, v23, vcc_lo dst_sel:DWORD dst_unused:UNUSED_PAD src0_sel:DWORD src1_sel:WORD_1
	v_cmp_gt_i32_e32 vcc_lo, s28, v121
	v_perm_b32 v23, v23, v27, 0x5040100
	v_cndmask_b32_e32 v28, 0, v24, vcc_lo
	s_mov_b32 vcc_lo, s1
	v_cndmask_b32_sdwa v24, v118, v24, vcc_lo dst_sel:DWORD dst_unused:UNUSED_PAD src0_sel:DWORD src1_sel:WORD_1
	v_perm_b32 v24, v24, v28, 0x5040100
	s_or_b32 exec_lo, exec_lo, s22
	global_load_dwordx4 v[25:28], v[19:20], off offset:512
	s_and_saveexec_b32 s22, s0
	s_cbranch_execz .LBB151_43
.LBB151_69:                             ;   in Loop: Header=BB151_35 Depth=1
	v_cmp_gt_i32_e64 s1, s28, v127
	v_cmp_gt_i32_e32 vcc_lo, s17, v112
	v_cmp_gt_i32_e64 s2, s28, v125
	s_waitcnt vmcnt(0)
	v_cndmask_b32_e64 v29, 0, v25, s1
	v_cmp_gt_i32_e64 s1, s17, v126
	v_cndmask_b32_sdwa v25, v118, v25, vcc_lo dst_sel:DWORD dst_unused:UNUSED_PAD src0_sel:DWORD src1_sel:WORD_1
	v_cndmask_b32_e64 v30, 0, v26, s2
	v_cmp_gt_i32_e64 s2, s17, v124
	s_mov_b32 vcc_lo, s1
	v_cmp_gt_i32_e64 s1, s17, v122
	v_cndmask_b32_sdwa v26, v118, v26, vcc_lo dst_sel:DWORD dst_unused:UNUSED_PAD src0_sel:DWORD src1_sel:WORD_1
	v_cmp_gt_i32_e32 vcc_lo, s28, v123
	v_perm_b32 v25, v25, v29, 0x5040100
	v_perm_b32 v26, v26, v30, 0x5040100
	v_cndmask_b32_e32 v31, 0, v27, vcc_lo
	s_mov_b32 vcc_lo, s2
	v_cndmask_b32_sdwa v27, v118, v27, vcc_lo dst_sel:DWORD dst_unused:UNUSED_PAD src0_sel:DWORD src1_sel:WORD_1
	v_cmp_gt_i32_e32 vcc_lo, s28, v121
	v_perm_b32 v27, v27, v31, 0x5040100
	v_cndmask_b32_e32 v32, 0, v28, vcc_lo
	s_mov_b32 vcc_lo, s1
	v_cndmask_b32_sdwa v28, v118, v28, vcc_lo dst_sel:DWORD dst_unused:UNUSED_PAD src0_sel:DWORD src1_sel:WORD_1
	v_perm_b32 v28, v28, v32, 0x5040100
	s_or_b32 exec_lo, exec_lo, s22
	global_load_dwordx4 v[29:32], v[19:20], off offset:1024
	s_and_saveexec_b32 s22, s0
	s_cbranch_execz .LBB151_44
.LBB151_70:                             ;   in Loop: Header=BB151_35 Depth=1
	v_cmp_gt_i32_e64 s1, s28, v127
	v_cmp_gt_i32_e32 vcc_lo, s17, v112
	v_cmp_gt_i32_e64 s2, s28, v125
	s_waitcnt vmcnt(0)
	v_cndmask_b32_e64 v33, 0, v29, s1
	v_cmp_gt_i32_e64 s1, s17, v126
	v_cndmask_b32_sdwa v29, v118, v29, vcc_lo dst_sel:DWORD dst_unused:UNUSED_PAD src0_sel:DWORD src1_sel:WORD_1
	v_cndmask_b32_e64 v34, 0, v30, s2
	v_cmp_gt_i32_e64 s2, s17, v124
	s_mov_b32 vcc_lo, s1
	v_cmp_gt_i32_e64 s1, s17, v122
	v_cndmask_b32_sdwa v30, v118, v30, vcc_lo dst_sel:DWORD dst_unused:UNUSED_PAD src0_sel:DWORD src1_sel:WORD_1
	v_cmp_gt_i32_e32 vcc_lo, s28, v123
	v_perm_b32 v29, v29, v33, 0x5040100
	v_perm_b32 v30, v30, v34, 0x5040100
	v_cndmask_b32_e32 v35, 0, v31, vcc_lo
	s_mov_b32 vcc_lo, s2
	v_cndmask_b32_sdwa v31, v118, v31, vcc_lo dst_sel:DWORD dst_unused:UNUSED_PAD src0_sel:DWORD src1_sel:WORD_1
	v_cmp_gt_i32_e32 vcc_lo, s28, v121
	v_perm_b32 v31, v31, v35, 0x5040100
	v_cndmask_b32_e32 v36, 0, v32, vcc_lo
	s_mov_b32 vcc_lo, s1
	v_cndmask_b32_sdwa v32, v118, v32, vcc_lo dst_sel:DWORD dst_unused:UNUSED_PAD src0_sel:DWORD src1_sel:WORD_1
	v_perm_b32 v32, v32, v36, 0x5040100
	s_or_b32 exec_lo, exec_lo, s22
	global_load_dwordx4 v[33:36], v[19:20], off offset:1536
	s_and_saveexec_b32 s22, s0
	s_cbranch_execnz .LBB151_45
	s_branch .LBB151_46
.LBB151_71:                             ;   in Loop: Header=BB151_35 Depth=1
	v_cmp_gt_i32_e64 s1, s28, v127
	v_cmp_gt_i32_e32 vcc_lo, s17, v112
	v_cmp_gt_i32_e64 s2, s28, v125
	s_waitcnt vmcnt(0)
	v_cndmask_b32_e64 v41, 0, v37, s1
	v_cmp_gt_i32_e64 s1, s17, v126
	v_cndmask_b32_sdwa v37, v118, v37, vcc_lo dst_sel:DWORD dst_unused:UNUSED_PAD src0_sel:DWORD src1_sel:WORD_1
	v_cndmask_b32_e64 v42, 0, v38, s2
	v_cmp_gt_i32_e64 s2, s17, v124
	s_mov_b32 vcc_lo, s1
	v_cmp_gt_i32_e64 s1, s17, v122
	v_cndmask_b32_sdwa v38, v118, v38, vcc_lo dst_sel:DWORD dst_unused:UNUSED_PAD src0_sel:DWORD src1_sel:WORD_1
	v_cmp_gt_i32_e32 vcc_lo, s28, v123
	v_perm_b32 v37, v37, v41, 0x5040100
	v_perm_b32 v38, v38, v42, 0x5040100
	v_cndmask_b32_e32 v43, 0, v39, vcc_lo
	s_mov_b32 vcc_lo, s2
	v_cndmask_b32_sdwa v39, v118, v39, vcc_lo dst_sel:DWORD dst_unused:UNUSED_PAD src0_sel:DWORD src1_sel:WORD_1
	v_cmp_gt_i32_e32 vcc_lo, s28, v121
	v_perm_b32 v39, v39, v43, 0x5040100
	v_cndmask_b32_e32 v44, 0, v40, vcc_lo
	s_mov_b32 vcc_lo, s1
	v_cndmask_b32_sdwa v40, v118, v40, vcc_lo dst_sel:DWORD dst_unused:UNUSED_PAD src0_sel:DWORD src1_sel:WORD_1
	v_perm_b32 v40, v40, v44, 0x5040100
	s_or_b32 exec_lo, exec_lo, s22
	global_load_dwordx4 v[41:44], v[19:20], off offset:512
	s_and_saveexec_b32 s22, s0
	s_cbranch_execz .LBB151_48
.LBB151_72:                             ;   in Loop: Header=BB151_35 Depth=1
	v_cmp_gt_i32_e64 s1, s28, v127
	v_cmp_gt_i32_e32 vcc_lo, s17, v112
	v_cmp_gt_i32_e64 s2, s28, v125
	s_waitcnt vmcnt(0)
	v_cndmask_b32_e64 v45, 0, v41, s1
	v_cmp_gt_i32_e64 s1, s17, v126
	v_cndmask_b32_sdwa v41, v118, v41, vcc_lo dst_sel:DWORD dst_unused:UNUSED_PAD src0_sel:DWORD src1_sel:WORD_1
	v_cndmask_b32_e64 v46, 0, v42, s2
	v_cmp_gt_i32_e64 s2, s17, v124
	s_mov_b32 vcc_lo, s1
	v_cmp_gt_i32_e64 s1, s17, v122
	v_cndmask_b32_sdwa v42, v118, v42, vcc_lo dst_sel:DWORD dst_unused:UNUSED_PAD src0_sel:DWORD src1_sel:WORD_1
	v_cmp_gt_i32_e32 vcc_lo, s28, v123
	v_perm_b32 v41, v41, v45, 0x5040100
	v_perm_b32 v42, v42, v46, 0x5040100
	v_cndmask_b32_e32 v47, 0, v43, vcc_lo
	s_mov_b32 vcc_lo, s2
	v_cndmask_b32_sdwa v43, v118, v43, vcc_lo dst_sel:DWORD dst_unused:UNUSED_PAD src0_sel:DWORD src1_sel:WORD_1
	v_cmp_gt_i32_e32 vcc_lo, s28, v121
	v_perm_b32 v43, v43, v47, 0x5040100
	v_cndmask_b32_e32 v48, 0, v44, vcc_lo
	s_mov_b32 vcc_lo, s1
	v_cndmask_b32_sdwa v44, v118, v44, vcc_lo dst_sel:DWORD dst_unused:UNUSED_PAD src0_sel:DWORD src1_sel:WORD_1
	v_perm_b32 v44, v44, v48, 0x5040100
	s_or_b32 exec_lo, exec_lo, s22
	global_load_dwordx4 v[45:48], v[19:20], off offset:1024
	s_and_saveexec_b32 s22, s0
	s_cbranch_execz .LBB151_49
.LBB151_73:                             ;   in Loop: Header=BB151_35 Depth=1
	v_cmp_gt_i32_e64 s1, s28, v127
	v_cmp_gt_i32_e32 vcc_lo, s17, v112
	v_cmp_gt_i32_e64 s2, s28, v125
	s_waitcnt vmcnt(0)
	v_cndmask_b32_e64 v49, 0, v45, s1
	v_cmp_gt_i32_e64 s1, s17, v126
	v_cndmask_b32_sdwa v45, v118, v45, vcc_lo dst_sel:DWORD dst_unused:UNUSED_PAD src0_sel:DWORD src1_sel:WORD_1
	v_cndmask_b32_e64 v50, 0, v46, s2
	v_cmp_gt_i32_e64 s2, s17, v124
	s_mov_b32 vcc_lo, s1
	v_cmp_gt_i32_e64 s1, s17, v122
	v_cndmask_b32_sdwa v46, v118, v46, vcc_lo dst_sel:DWORD dst_unused:UNUSED_PAD src0_sel:DWORD src1_sel:WORD_1
	v_cmp_gt_i32_e32 vcc_lo, s28, v123
	v_perm_b32 v45, v45, v49, 0x5040100
	v_perm_b32 v46, v46, v50, 0x5040100
	v_cndmask_b32_e32 v51, 0, v47, vcc_lo
	s_mov_b32 vcc_lo, s2
	v_cndmask_b32_sdwa v47, v118, v47, vcc_lo dst_sel:DWORD dst_unused:UNUSED_PAD src0_sel:DWORD src1_sel:WORD_1
	v_cmp_gt_i32_e32 vcc_lo, s28, v121
	v_perm_b32 v47, v47, v51, 0x5040100
	v_cndmask_b32_e32 v52, 0, v48, vcc_lo
	s_mov_b32 vcc_lo, s1
	v_cndmask_b32_sdwa v48, v118, v48, vcc_lo dst_sel:DWORD dst_unused:UNUSED_PAD src0_sel:DWORD src1_sel:WORD_1
	v_perm_b32 v48, v48, v52, 0x5040100
	s_or_b32 exec_lo, exec_lo, s22
	global_load_dwordx4 v[49:52], v[19:20], off offset:1536
	s_and_saveexec_b32 s22, s0
	s_cbranch_execnz .LBB151_50
	s_branch .LBB151_51
.LBB151_74:                             ;   in Loop: Header=BB151_35 Depth=1
	v_cmp_gt_i32_e64 s1, s28, v127
	v_cmp_gt_i32_e32 vcc_lo, s17, v112
	v_cmp_gt_i32_e64 s2, s28, v125
	s_waitcnt vmcnt(0)
	v_cndmask_b32_e64 v57, 0, v53, s1
	v_cmp_gt_i32_e64 s1, s17, v126
	v_cndmask_b32_sdwa v53, v118, v53, vcc_lo dst_sel:DWORD dst_unused:UNUSED_PAD src0_sel:DWORD src1_sel:WORD_1
	v_cndmask_b32_e64 v58, 0, v54, s2
	v_cmp_gt_i32_e64 s2, s17, v124
	s_mov_b32 vcc_lo, s1
	v_cmp_gt_i32_e64 s1, s17, v122
	v_cndmask_b32_sdwa v54, v118, v54, vcc_lo dst_sel:DWORD dst_unused:UNUSED_PAD src0_sel:DWORD src1_sel:WORD_1
	v_cmp_gt_i32_e32 vcc_lo, s28, v123
	v_perm_b32 v53, v53, v57, 0x5040100
	v_perm_b32 v54, v54, v58, 0x5040100
	v_cndmask_b32_e32 v59, 0, v55, vcc_lo
	s_mov_b32 vcc_lo, s2
	v_cndmask_b32_sdwa v55, v118, v55, vcc_lo dst_sel:DWORD dst_unused:UNUSED_PAD src0_sel:DWORD src1_sel:WORD_1
	v_cmp_gt_i32_e32 vcc_lo, s28, v121
	v_perm_b32 v55, v55, v59, 0x5040100
	v_cndmask_b32_e32 v60, 0, v56, vcc_lo
	s_mov_b32 vcc_lo, s1
	v_cndmask_b32_sdwa v56, v118, v56, vcc_lo dst_sel:DWORD dst_unused:UNUSED_PAD src0_sel:DWORD src1_sel:WORD_1
	v_perm_b32 v56, v56, v60, 0x5040100
	s_or_b32 exec_lo, exec_lo, s22
	global_load_dwordx4 v[57:60], v[19:20], off offset:512
	s_and_saveexec_b32 s22, s0
	s_cbranch_execz .LBB151_53
.LBB151_75:                             ;   in Loop: Header=BB151_35 Depth=1
	v_cmp_gt_i32_e64 s1, s28, v127
	v_cmp_gt_i32_e32 vcc_lo, s17, v112
	v_cmp_gt_i32_e64 s2, s28, v125
	s_waitcnt vmcnt(0)
	v_cndmask_b32_e64 v61, 0, v57, s1
	v_cmp_gt_i32_e64 s1, s17, v126
	v_cndmask_b32_sdwa v57, v118, v57, vcc_lo dst_sel:DWORD dst_unused:UNUSED_PAD src0_sel:DWORD src1_sel:WORD_1
	v_cndmask_b32_e64 v62, 0, v58, s2
	v_cmp_gt_i32_e64 s2, s17, v124
	s_mov_b32 vcc_lo, s1
	v_cmp_gt_i32_e64 s1, s17, v122
	v_cndmask_b32_sdwa v58, v118, v58, vcc_lo dst_sel:DWORD dst_unused:UNUSED_PAD src0_sel:DWORD src1_sel:WORD_1
	v_cmp_gt_i32_e32 vcc_lo, s28, v123
	v_perm_b32 v57, v57, v61, 0x5040100
	v_perm_b32 v58, v58, v62, 0x5040100
	v_cndmask_b32_e32 v63, 0, v59, vcc_lo
	s_mov_b32 vcc_lo, s2
	v_cndmask_b32_sdwa v59, v118, v59, vcc_lo dst_sel:DWORD dst_unused:UNUSED_PAD src0_sel:DWORD src1_sel:WORD_1
	v_cmp_gt_i32_e32 vcc_lo, s28, v121
	v_perm_b32 v59, v59, v63, 0x5040100
	v_cndmask_b32_e32 v64, 0, v60, vcc_lo
	s_mov_b32 vcc_lo, s1
	v_cndmask_b32_sdwa v60, v118, v60, vcc_lo dst_sel:DWORD dst_unused:UNUSED_PAD src0_sel:DWORD src1_sel:WORD_1
	v_perm_b32 v60, v60, v64, 0x5040100
	s_or_b32 exec_lo, exec_lo, s22
	global_load_dwordx4 v[61:64], v[19:20], off offset:1024
	s_and_saveexec_b32 s22, s0
	s_cbranch_execz .LBB151_54
.LBB151_76:                             ;   in Loop: Header=BB151_35 Depth=1
	v_cmp_gt_i32_e64 s1, s28, v127
	v_cmp_gt_i32_e32 vcc_lo, s17, v112
	v_cmp_gt_i32_e64 s2, s28, v125
	s_waitcnt vmcnt(0)
	v_cndmask_b32_e64 v65, 0, v61, s1
	v_cmp_gt_i32_e64 s1, s17, v126
	v_cndmask_b32_sdwa v61, v118, v61, vcc_lo dst_sel:DWORD dst_unused:UNUSED_PAD src0_sel:DWORD src1_sel:WORD_1
	v_cndmask_b32_e64 v66, 0, v62, s2
	v_cmp_gt_i32_e64 s2, s17, v124
	s_mov_b32 vcc_lo, s1
	v_cmp_gt_i32_e64 s1, s17, v122
	v_cndmask_b32_sdwa v62, v118, v62, vcc_lo dst_sel:DWORD dst_unused:UNUSED_PAD src0_sel:DWORD src1_sel:WORD_1
	v_cmp_gt_i32_e32 vcc_lo, s28, v123
	v_perm_b32 v61, v61, v65, 0x5040100
	v_perm_b32 v62, v62, v66, 0x5040100
	v_cndmask_b32_e32 v67, 0, v63, vcc_lo
	s_mov_b32 vcc_lo, s2
	v_cndmask_b32_sdwa v63, v118, v63, vcc_lo dst_sel:DWORD dst_unused:UNUSED_PAD src0_sel:DWORD src1_sel:WORD_1
	v_cmp_gt_i32_e32 vcc_lo, s28, v121
	v_perm_b32 v63, v63, v67, 0x5040100
	v_cndmask_b32_e32 v68, 0, v64, vcc_lo
	s_mov_b32 vcc_lo, s1
	v_cndmask_b32_sdwa v64, v118, v64, vcc_lo dst_sel:DWORD dst_unused:UNUSED_PAD src0_sel:DWORD src1_sel:WORD_1
	v_perm_b32 v64, v64, v68, 0x5040100
	s_or_b32 exec_lo, exec_lo, s22
	global_load_dwordx4 v[65:68], v[19:20], off offset:1536
	s_and_saveexec_b32 s22, s0
	s_cbranch_execnz .LBB151_55
	s_branch .LBB151_56
.LBB151_77:                             ;   in Loop: Header=BB151_35 Depth=1
	v_cmp_gt_i32_e64 s1, s28, v127
	v_cmp_gt_i32_e32 vcc_lo, s17, v112
	s_waitcnt vmcnt(0)
	v_cndmask_b32_sdwa v73, v118, v69, vcc_lo dst_sel:DWORD dst_unused:UNUSED_PAD src0_sel:DWORD src1_sel:WORD_1
	v_cndmask_b32_e64 v69, 0, v69, s1
	v_cmp_gt_i32_e32 vcc_lo, s17, v126
	v_cmp_gt_i32_e64 s1, s28, v125
	v_perm_b32 v69, v73, v69, 0x5040100
	v_cndmask_b32_e64 v73, 0, v70, s1
	v_cndmask_b32_sdwa v70, v118, v70, vcc_lo dst_sel:DWORD dst_unused:UNUSED_PAD src0_sel:DWORD src1_sel:WORD_1
	v_cmp_gt_i32_e32 vcc_lo, s17, v124
	v_cmp_gt_i32_e64 s1, s28, v123
	v_perm_b32 v70, v70, v73, 0x5040100
	v_cndmask_b32_e64 v73, 0, v71, s1
	v_cndmask_b32_sdwa v71, v118, v71, vcc_lo dst_sel:DWORD dst_unused:UNUSED_PAD src0_sel:DWORD src1_sel:WORD_1
	;; [unrolled: 5-line block ×3, first 2 shown]
	v_perm_b32 v72, v72, v73, 0x5040100
	s_or_b32 exec_lo, exec_lo, s2
	global_load_dwordx4 v[73:76], v[19:20], off offset:512
	s_and_saveexec_b32 s2, s0
	s_cbranch_execz .LBB151_58
.LBB151_78:                             ;   in Loop: Header=BB151_35 Depth=1
	v_cmp_gt_i32_e64 s1, s28, v127
	v_cmp_gt_i32_e32 vcc_lo, s17, v112
	s_waitcnt vmcnt(0)
	v_cndmask_b32_sdwa v77, v118, v73, vcc_lo dst_sel:DWORD dst_unused:UNUSED_PAD src0_sel:DWORD src1_sel:WORD_1
	v_cndmask_b32_e64 v73, 0, v73, s1
	v_cmp_gt_i32_e32 vcc_lo, s17, v126
	v_cmp_gt_i32_e64 s1, s28, v125
	v_perm_b32 v73, v77, v73, 0x5040100
	v_cndmask_b32_e64 v77, 0, v74, s1
	v_cndmask_b32_sdwa v74, v118, v74, vcc_lo dst_sel:DWORD dst_unused:UNUSED_PAD src0_sel:DWORD src1_sel:WORD_1
	v_cmp_gt_i32_e32 vcc_lo, s17, v124
	v_cmp_gt_i32_e64 s1, s28, v123
	v_perm_b32 v74, v74, v77, 0x5040100
	v_cndmask_b32_e64 v77, 0, v75, s1
	v_cndmask_b32_sdwa v75, v118, v75, vcc_lo dst_sel:DWORD dst_unused:UNUSED_PAD src0_sel:DWORD src1_sel:WORD_1
	;; [unrolled: 5-line block ×3, first 2 shown]
	v_perm_b32 v76, v76, v77, 0x5040100
	s_or_b32 exec_lo, exec_lo, s2
	global_load_dwordx4 v[77:80], v[19:20], off offset:1024
	s_and_saveexec_b32 s2, s0
	s_cbranch_execz .LBB151_59
.LBB151_79:                             ;   in Loop: Header=BB151_35 Depth=1
	v_cmp_gt_i32_e64 s1, s28, v127
	v_cmp_gt_i32_e32 vcc_lo, s17, v112
	s_waitcnt vmcnt(0)
	v_cndmask_b32_sdwa v89, v118, v77, vcc_lo dst_sel:DWORD dst_unused:UNUSED_PAD src0_sel:DWORD src1_sel:WORD_1
	v_cndmask_b32_e64 v77, 0, v77, s1
	v_cmp_gt_i32_e32 vcc_lo, s17, v126
	v_cmp_gt_i32_e64 s1, s28, v125
	v_perm_b32 v77, v89, v77, 0x5040100
	v_cndmask_b32_e64 v89, 0, v78, s1
	v_cndmask_b32_sdwa v78, v118, v78, vcc_lo dst_sel:DWORD dst_unused:UNUSED_PAD src0_sel:DWORD src1_sel:WORD_1
	v_cmp_gt_i32_e32 vcc_lo, s17, v124
	v_cmp_gt_i32_e64 s1, s28, v123
	v_perm_b32 v78, v78, v89, 0x5040100
	v_cndmask_b32_e64 v89, 0, v79, s1
	v_cndmask_b32_sdwa v79, v118, v79, vcc_lo dst_sel:DWORD dst_unused:UNUSED_PAD src0_sel:DWORD src1_sel:WORD_1
	;; [unrolled: 5-line block ×3, first 2 shown]
	v_perm_b32 v80, v80, v89, 0x5040100
	s_or_b32 exec_lo, exec_lo, s2
	global_load_dwordx4 v[89:92], v[19:20], off offset:1536
	s_and_saveexec_b32 s2, s0
	s_cbranch_execnz .LBB151_60
	s_branch .LBB151_61
.LBB151_80:                             ;   in Loop: Header=BB151_35 Depth=1
	v_cmp_gt_i32_e64 s1, s28, v127
	v_cmp_gt_i32_e32 vcc_lo, s17, v112
	s_waitcnt vmcnt(0)
	v_cndmask_b32_e64 v20, 0, v93, s1
	v_cndmask_b32_sdwa v19, v118, v93, vcc_lo dst_sel:DWORD dst_unused:UNUSED_PAD src0_sel:DWORD src1_sel:WORD_1
	v_cmp_gt_i32_e32 vcc_lo, s17, v126
	v_cmp_gt_i32_e64 s1, s28, v125
	v_perm_b32 v93, v19, v20, 0x5040100
	v_cndmask_b32_sdwa v20, v118, v94, vcc_lo dst_sel:DWORD dst_unused:UNUSED_PAD src0_sel:DWORD src1_sel:WORD_1
	v_cndmask_b32_e64 v19, 0, v94, s1
	v_cmp_gt_i32_e32 vcc_lo, s17, v124
	v_cmp_gt_i32_e64 s1, s28, v123
	v_perm_b32 v94, v20, v19, 0x5040100
	v_cndmask_b32_sdwa v20, v118, v95, vcc_lo dst_sel:DWORD dst_unused:UNUSED_PAD src0_sel:DWORD src1_sel:WORD_1
	v_cndmask_b32_e64 v19, 0, v95, s1
	;; [unrolled: 5-line block ×3, first 2 shown]
	v_perm_b32 v96, v20, v19, 0x5040100
	s_or_b32 exec_lo, exec_lo, s2
	global_load_dwordx4 v[97:100], v[17:18], off offset:512
	s_and_saveexec_b32 s2, s0
	s_cbranch_execz .LBB151_63
.LBB151_81:                             ;   in Loop: Header=BB151_35 Depth=1
	v_cmp_gt_i32_e64 s1, s28, v127
	v_cmp_gt_i32_e32 vcc_lo, s17, v112
	s_waitcnt vmcnt(0)
	v_cndmask_b32_e64 v20, 0, v97, s1
	v_cndmask_b32_sdwa v19, v118, v97, vcc_lo dst_sel:DWORD dst_unused:UNUSED_PAD src0_sel:DWORD src1_sel:WORD_1
	v_cmp_gt_i32_e32 vcc_lo, s17, v126
	v_cmp_gt_i32_e64 s1, s28, v125
	v_perm_b32 v97, v19, v20, 0x5040100
	v_cndmask_b32_sdwa v20, v118, v98, vcc_lo dst_sel:DWORD dst_unused:UNUSED_PAD src0_sel:DWORD src1_sel:WORD_1
	v_cndmask_b32_e64 v19, 0, v98, s1
	v_cmp_gt_i32_e32 vcc_lo, s17, v124
	v_cmp_gt_i32_e64 s1, s28, v123
	v_perm_b32 v98, v20, v19, 0x5040100
	v_cndmask_b32_sdwa v20, v118, v99, vcc_lo dst_sel:DWORD dst_unused:UNUSED_PAD src0_sel:DWORD src1_sel:WORD_1
	v_cndmask_b32_e64 v19, 0, v99, s1
	v_cmp_gt_i32_e32 vcc_lo, s17, v122
	v_cmp_gt_i32_e64 s1, s28, v121
	v_perm_b32 v99, v20, v19, 0x5040100
	v_cndmask_b32_sdwa v20, v118, v100, vcc_lo dst_sel:DWORD dst_unused:UNUSED_PAD src0_sel:DWORD src1_sel:WORD_1
	v_cndmask_b32_e64 v19, 0, v100, s1
	v_perm_b32 v100, v20, v19, 0x5040100
	s_or_b32 exec_lo, exec_lo, s2
	global_load_dwordx4 v[101:104], v[17:18], off offset:1024
	s_and_saveexec_b32 s2, s0
	s_cbranch_execz .LBB151_64
.LBB151_82:                             ;   in Loop: Header=BB151_35 Depth=1
	v_cmp_gt_i32_e64 s1, s28, v127
	v_cmp_gt_i32_e32 vcc_lo, s17, v112
	s_waitcnt vmcnt(0)
	v_cndmask_b32_e64 v20, 0, v101, s1
	v_cndmask_b32_sdwa v19, v118, v101, vcc_lo dst_sel:DWORD dst_unused:UNUSED_PAD src0_sel:DWORD src1_sel:WORD_1
	v_cmp_gt_i32_e32 vcc_lo, s17, v126
	v_cmp_gt_i32_e64 s1, s28, v125
	v_perm_b32 v101, v19, v20, 0x5040100
	v_cndmask_b32_sdwa v20, v118, v102, vcc_lo dst_sel:DWORD dst_unused:UNUSED_PAD src0_sel:DWORD src1_sel:WORD_1
	v_cndmask_b32_e64 v19, 0, v102, s1
	v_cmp_gt_i32_e32 vcc_lo, s17, v124
	v_cmp_gt_i32_e64 s1, s28, v123
	v_perm_b32 v102, v20, v19, 0x5040100
	v_cndmask_b32_sdwa v20, v118, v103, vcc_lo dst_sel:DWORD dst_unused:UNUSED_PAD src0_sel:DWORD src1_sel:WORD_1
	v_cndmask_b32_e64 v19, 0, v103, s1
	;; [unrolled: 5-line block ×3, first 2 shown]
	v_perm_b32 v104, v20, v19, 0x5040100
	s_or_b32 exec_lo, exec_lo, s2
	global_load_dwordx4 v[17:20], v[17:18], off offset:1536
	s_and_saveexec_b32 s1, s0
	s_cbranch_execz .LBB151_33
.LBB151_83:                             ;   in Loop: Header=BB151_35 Depth=1
	v_cmp_gt_i32_e64 s0, s28, v127
	v_cmp_gt_i32_e32 vcc_lo, s17, v112
	s_waitcnt vmcnt(0)
	v_cndmask_b32_sdwa v112, v118, v17, vcc_lo dst_sel:DWORD dst_unused:UNUSED_PAD src0_sel:DWORD src1_sel:WORD_1
	v_cndmask_b32_e64 v17, 0, v17, s0
	v_cmp_gt_i32_e32 vcc_lo, s17, v126
	v_cmp_gt_i32_e64 s0, s28, v125
	v_perm_b32 v17, v112, v17, 0x5040100
	v_cndmask_b32_e64 v112, 0, v18, s0
	v_cndmask_b32_sdwa v18, v118, v18, vcc_lo dst_sel:DWORD dst_unused:UNUSED_PAD src0_sel:DWORD src1_sel:WORD_1
	v_cmp_gt_i32_e32 vcc_lo, s17, v124
	v_cmp_gt_i32_e64 s0, s28, v123
	v_perm_b32 v18, v18, v112, 0x5040100
	v_cndmask_b32_e64 v112, 0, v19, s0
	v_cndmask_b32_sdwa v19, v118, v19, vcc_lo dst_sel:DWORD dst_unused:UNUSED_PAD src0_sel:DWORD src1_sel:WORD_1
	;; [unrolled: 5-line block ×3, first 2 shown]
	v_perm_b32 v20, v20, v112, 0x5040100
	s_branch .LBB151_33
.LBB151_84:
	s_or_b32 exec_lo, exec_lo, s15
	s_clause 0x4
	buffer_load_dword v51, off, s[40:43], 0 offset:572
	buffer_load_dword v80, off, s[40:43], 0 offset:576
	;; [unrolled: 1-line block ×5, first 2 shown]
.LBB151_85:
	s_or_b32 exec_lo, exec_lo, s3
	s_waitcnt vmcnt(0)
	ds_bpermute_b32 v1, v33, v21
	ds_bpermute_b32 v4, v33, v23
	;; [unrolled: 1-line block ×19, first 2 shown]
	s_mov_b32 s0, exec_lo
	s_waitcnt lgkmcnt(18)
	v_add_f32_e32 v1, v21, v1
	s_waitcnt lgkmcnt(17)
	v_add_f32_e32 v4, v23, v4
	s_waitcnt lgkmcnt(16)
	v_add_f32_e32 v3, v15, v3
	s_waitcnt lgkmcnt(15)
	v_add_f32_e32 v2, v22, v2
	s_waitcnt lgkmcnt(14)
	v_add_f32_e32 v0, v0, v5
	ds_bpermute_b32 v15, v53, v1
	ds_bpermute_b32 v24, v53, v4
	s_waitcnt lgkmcnt(15)
	v_add_f32_e32 v5, v31, v6
	s_waitcnt lgkmcnt(14)
	v_add_f32_e32 v6, v35, v7
	;; [unrolled: 2-line block ×6, first 2 shown]
	ds_bpermute_b32 v18, v53, v2
	ds_bpermute_b32 v23, v53, v3
	ds_bpermute_b32 v21, v33, v115
	ds_bpermute_b32 v27, v53, v5
	ds_bpermute_b32 v32, v53, v10
	s_waitcnt lgkmcnt(11)
	v_add_f32_e32 v25, v114, v25
	s_waitcnt lgkmcnt(10)
	v_add_f32_e32 v34, v110, v16
	;; [unrolled: 2-line block ×5, first 2 shown]
	ds_bpermute_b32 v44, v53, v25
	ds_bpermute_b32 v11, v53, v0
	s_waitcnt lgkmcnt(8)
	v_add_f32_e32 v22, v1, v15
	s_waitcnt lgkmcnt(7)
	v_add_f32_e32 v15, v4, v24
	v_add_f32_e32 v24, v111, v14
	;; [unrolled: 1-line block ×3, first 2 shown]
	ds_bpermute_b32 v13, v33, v48
	ds_bpermute_b32 v1, v33, v113
	;; [unrolled: 1-line block ×4, first 2 shown]
	s_waitcnt lgkmcnt(10)
	v_add_f32_e32 v19, v2, v18
	s_waitcnt lgkmcnt(9)
	v_add_f32_e32 v18, v3, v23
	v_add_f32_e32 v2, v55, v12
	ds_bpermute_b32 v3, v33, v108
	ds_bpermute_b32 v12, v33, v107
	s_waitcnt lgkmcnt(10)
	v_add_f32_e32 v40, v115, v21
	ds_bpermute_b32 v29, v53, v7
	ds_bpermute_b32 v30, v53, v8
	;; [unrolled: 1-line block ×9, first 2 shown]
	s_waitcnt lgkmcnt(18)
	v_add_f32_e32 v21, v5, v27
	s_waitcnt lgkmcnt(14)
	v_add_f32_e32 v48, v48, v13
	v_add_f32_e32 v13, v10, v32
	s_waitcnt lgkmcnt(13)
	v_add_f32_e32 v1, v113, v1
	s_waitcnt lgkmcnt(11)
	v_add_f32_e32 v10, v24, v37
	buffer_load_dword v24, off, s[40:43], 0 offset:60 ; 4-byte Folded Reload
	ds_bpermute_b32 v27, v53, v48
	v_add_f32_e32 v5, v25, v44
	s_waitcnt lgkmcnt(11)
	v_add_f32_e32 v45, v108, v3
	s_waitcnt lgkmcnt(10)
	v_add_f32_e32 v46, v107, v12
	ds_bpermute_b32 v3, v53, v26
	ds_bpermute_b32 v47, v53, v1
	v_add_f32_e32 v23, v0, v11
	ds_bpermute_b32 v49, v53, v45
	ds_bpermute_b32 v50, v53, v46
	v_add_f32_e32 v20, v6, v28
	s_waitcnt lgkmcnt(13)
	v_add_f32_e32 v17, v7, v29
	s_waitcnt lgkmcnt(12)
	;; [unrolled: 2-line block ×9, first 2 shown]
	v_add_f32_e32 v6, v40, v43
	v_and_b32_e32 v28, 0x3c3, v51
	s_waitcnt lgkmcnt(4)
	v_add_f32_e32 v2, v48, v27
	s_waitcnt vmcnt(0) lgkmcnt(0)
	s_waitcnt_vscnt null, 0x0
	s_barrier
	buffer_gl0_inv
	v_add_f32_e32 v4, v26, v3
	v_add_f32_e32 v3, v1, v47
	v_mul_u32_u24_e32 v26, 0x300, v80
	v_add_f32_e32 v0, v45, v49
	v_add_f32_e32 v1, v46, v50
	v_and_b32_e32 v25, 28, v24
	v_lshrrev_b32_e32 v24, 2, v24
	v_add_nc_u32_e32 v25, 0x1a0, v25
	v_cmpx_eq_u32_e32 64, v28
	s_cbranch_execz .LBB151_87
; %bb.86:
	v_add_nc_u32_e32 v27, v25, v26
	v_add_nc_u32_e32 v28, 0xfffffa00, v27
	;; [unrolled: 1-line block ×7, first 2 shown]
	ds_write_b32 v28, v22
	ds_write_b32 v29, v19
	;; [unrolled: 1-line block ×4, first 2 shown]
	v_add_nc_u32_e32 v28, 0xfffffac0, v27
	v_add_nc_u32_e32 v29, 0xfffffae0, v27
	v_add_nc_u32_e32 v30, 0xfffffb00, v27
	ds_write_b32 v32, v23
	ds_write_b32 v33, v21
	ds_write_b32 v28, v20
	ds_write_b32 v29, v17
	ds_write_b32 v30, v16
	v_add_nc_u32_e32 v28, 0xfffffb20, v27
	v_add_nc_u32_e32 v29, 0xfffffb40, v27
	v_add_nc_u32_e32 v30, 0xfffffb60, v27
	v_add_nc_u32_e32 v31, 0xfffffb80, v27
	v_add_nc_u32_e32 v32, 0xfffffba0, v27
	ds_write_b32 v28, v14
	ds_write_b32 v29, v13
	ds_write_b32 v30, v12
	ds_write_b32 v31, v11
	ds_write_b32 v32, v10
	v_add_nc_u32_e32 v28, 0xfffffbc0, v27
	v_add_nc_u32_e32 v29, 0xfffffbe0, v27
	v_add_nc_u32_e32 v30, 0xfffffc00, v27
	v_add_nc_u32_e32 v31, 0xfffffc20, v27
	v_add_nc_u32_e32 v32, 0xfffffc40, v27
	ds_write_b32 v28, v9
	ds_write_b32 v29, v8
	ds_write_b32 v30, v7
	ds_write_b32 v31, v6
	ds_write_b32 v32, v5
	v_add_nc_u32_e32 v28, 0xfffffc60, v27
	v_add_nc_u32_e32 v29, 0xfffffc80, v27
	v_add_nc_u32_e32 v30, 0xfffffca0, v27
	v_add_nc_u32_e32 v31, 0xfffffcc0, v27
	;; [unrolled: 1-line block ×3, first 2 shown]
	ds_write_b32 v28, v4
	ds_write_b32 v29, v3
	;; [unrolled: 1-line block ×5, first 2 shown]
.LBB151_87:
	s_or_b32 exec_lo, exec_lo, s0
	v_lshlrev_b32_e32 v24, 2, v24
	s_mov_b32 s1, exec_lo
	v_cmp_eq_u32_e32 vcc_lo, 0, v52
	s_waitcnt lgkmcnt(0)
	s_barrier
	v_add3_u32 v24, 0x1a0, v26, v24
	buffer_gl0_inv
	v_cmpx_gt_u32_e32 64, v51
	s_cbranch_execz .LBB151_114
; %bb.88:
	s_and_saveexec_b32 s0, vcc_lo
	s_cbranch_execnz .LBB151_146
; %bb.89:
	s_or_b32 exec_lo, exec_lo, s0
	s_and_saveexec_b32 s0, vcc_lo
	s_cbranch_execnz .LBB151_147
.LBB151_90:
	s_or_b32 exec_lo, exec_lo, s0
	s_and_saveexec_b32 s0, vcc_lo
	s_cbranch_execnz .LBB151_148
.LBB151_91:
	s_or_b32 exec_lo, exec_lo, s0
	s_and_saveexec_b32 s0, vcc_lo
	s_cbranch_execnz .LBB151_149
.LBB151_92:
	s_or_b32 exec_lo, exec_lo, s0
	s_and_saveexec_b32 s0, vcc_lo
	s_cbranch_execnz .LBB151_150
.LBB151_93:
	s_or_b32 exec_lo, exec_lo, s0
	s_and_saveexec_b32 s0, vcc_lo
	s_cbranch_execnz .LBB151_151
.LBB151_94:
	s_or_b32 exec_lo, exec_lo, s0
	s_and_saveexec_b32 s0, vcc_lo
	s_cbranch_execnz .LBB151_152
.LBB151_95:
	s_or_b32 exec_lo, exec_lo, s0
	s_and_saveexec_b32 s0, vcc_lo
	s_cbranch_execnz .LBB151_153
.LBB151_96:
	s_or_b32 exec_lo, exec_lo, s0
	s_and_saveexec_b32 s0, vcc_lo
	s_cbranch_execnz .LBB151_154
.LBB151_97:
	s_or_b32 exec_lo, exec_lo, s0
	s_and_saveexec_b32 s0, vcc_lo
	s_cbranch_execnz .LBB151_155
.LBB151_98:
	s_or_b32 exec_lo, exec_lo, s0
	s_and_saveexec_b32 s0, vcc_lo
	s_cbranch_execnz .LBB151_156
.LBB151_99:
	s_or_b32 exec_lo, exec_lo, s0
	s_and_saveexec_b32 s0, vcc_lo
	s_cbranch_execnz .LBB151_157
.LBB151_100:
	s_or_b32 exec_lo, exec_lo, s0
	s_and_saveexec_b32 s0, vcc_lo
	s_cbranch_execnz .LBB151_158
.LBB151_101:
	s_or_b32 exec_lo, exec_lo, s0
	s_and_saveexec_b32 s0, vcc_lo
	s_cbranch_execnz .LBB151_159
.LBB151_102:
	s_or_b32 exec_lo, exec_lo, s0
	s_and_saveexec_b32 s0, vcc_lo
	s_cbranch_execnz .LBB151_160
.LBB151_103:
	s_or_b32 exec_lo, exec_lo, s0
	s_and_saveexec_b32 s0, vcc_lo
	s_cbranch_execnz .LBB151_161
.LBB151_104:
	s_or_b32 exec_lo, exec_lo, s0
	s_and_saveexec_b32 s0, vcc_lo
	s_cbranch_execnz .LBB151_162
.LBB151_105:
	s_or_b32 exec_lo, exec_lo, s0
	s_and_saveexec_b32 s0, vcc_lo
	s_cbranch_execnz .LBB151_163
.LBB151_106:
	s_or_b32 exec_lo, exec_lo, s0
	s_and_saveexec_b32 s0, vcc_lo
	s_cbranch_execnz .LBB151_164
.LBB151_107:
	s_or_b32 exec_lo, exec_lo, s0
	s_and_saveexec_b32 s0, vcc_lo
	s_cbranch_execnz .LBB151_165
.LBB151_108:
	s_or_b32 exec_lo, exec_lo, s0
	s_and_saveexec_b32 s0, vcc_lo
	s_cbranch_execnz .LBB151_166
.LBB151_109:
	s_or_b32 exec_lo, exec_lo, s0
	s_and_saveexec_b32 s0, vcc_lo
	s_cbranch_execnz .LBB151_167
.LBB151_110:
	s_or_b32 exec_lo, exec_lo, s0
	s_and_saveexec_b32 s0, vcc_lo
	s_cbranch_execnz .LBB151_168
.LBB151_111:
	s_or_b32 exec_lo, exec_lo, s0
	s_and_saveexec_b32 s0, vcc_lo
	s_cbranch_execz .LBB151_113
.LBB151_112:
	ds_read_b32 v26, v24 offset:736
	s_waitcnt lgkmcnt(0)
	v_add_f32_e32 v2, v2, v26
.LBB151_113:
	s_or_b32 exec_lo, exec_lo, s0
.LBB151_114:
	s_or_b32 exec_lo, exec_lo, s1
	v_and_b32_e32 v26, 0x3e3, v51
	s_mov_b32 s1, exec_lo
	s_barrier
	buffer_gl0_inv
	v_cmpx_eq_u32_e32 32, v26
	s_cbranch_execz .LBB151_116
; %bb.115:
	ds_write2_b32 v25, v22, v19 offset1:8
	ds_write2_b32 v25, v18, v15 offset0:16 offset1:24
	ds_write2_b32 v25, v23, v21 offset0:32 offset1:40
	;; [unrolled: 1-line block ×11, first 2 shown]
.LBB151_116:
	s_or_b32 exec_lo, exec_lo, s1
	s_mov_b32 s1, exec_lo
	s_waitcnt lgkmcnt(0)
	s_barrier
	buffer_gl0_inv
	v_cmpx_gt_u32_e32 32, v51
	s_cbranch_execz .LBB151_143
; %bb.117:
	s_and_saveexec_b32 s0, vcc_lo
	s_cbranch_execnz .LBB151_169
; %bb.118:
	s_or_b32 exec_lo, exec_lo, s0
	s_and_saveexec_b32 s0, vcc_lo
	s_cbranch_execnz .LBB151_170
.LBB151_119:
	s_or_b32 exec_lo, exec_lo, s0
	s_and_saveexec_b32 s0, vcc_lo
	s_cbranch_execnz .LBB151_171
.LBB151_120:
	s_or_b32 exec_lo, exec_lo, s0
	s_and_saveexec_b32 s0, vcc_lo
	s_cbranch_execnz .LBB151_172
.LBB151_121:
	s_or_b32 exec_lo, exec_lo, s0
	s_and_saveexec_b32 s0, vcc_lo
	s_cbranch_execnz .LBB151_173
.LBB151_122:
	s_or_b32 exec_lo, exec_lo, s0
	s_and_saveexec_b32 s0, vcc_lo
	s_cbranch_execnz .LBB151_174
.LBB151_123:
	s_or_b32 exec_lo, exec_lo, s0
	s_and_saveexec_b32 s0, vcc_lo
	s_cbranch_execnz .LBB151_175
.LBB151_124:
	s_or_b32 exec_lo, exec_lo, s0
	s_and_saveexec_b32 s0, vcc_lo
	s_cbranch_execnz .LBB151_176
.LBB151_125:
	s_or_b32 exec_lo, exec_lo, s0
	s_and_saveexec_b32 s0, vcc_lo
	s_cbranch_execnz .LBB151_177
.LBB151_126:
	s_or_b32 exec_lo, exec_lo, s0
	s_and_saveexec_b32 s0, vcc_lo
	s_cbranch_execnz .LBB151_178
.LBB151_127:
	s_or_b32 exec_lo, exec_lo, s0
	s_and_saveexec_b32 s0, vcc_lo
	s_cbranch_execnz .LBB151_179
.LBB151_128:
	s_or_b32 exec_lo, exec_lo, s0
	s_and_saveexec_b32 s0, vcc_lo
	s_cbranch_execnz .LBB151_180
.LBB151_129:
	s_or_b32 exec_lo, exec_lo, s0
	s_and_saveexec_b32 s0, vcc_lo
	s_cbranch_execnz .LBB151_181
.LBB151_130:
	s_or_b32 exec_lo, exec_lo, s0
	s_and_saveexec_b32 s0, vcc_lo
	s_cbranch_execnz .LBB151_182
.LBB151_131:
	s_or_b32 exec_lo, exec_lo, s0
	s_and_saveexec_b32 s0, vcc_lo
	s_cbranch_execnz .LBB151_183
.LBB151_132:
	s_or_b32 exec_lo, exec_lo, s0
	s_and_saveexec_b32 s0, vcc_lo
	s_cbranch_execnz .LBB151_184
.LBB151_133:
	s_or_b32 exec_lo, exec_lo, s0
	s_and_saveexec_b32 s0, vcc_lo
	s_cbranch_execnz .LBB151_185
.LBB151_134:
	s_or_b32 exec_lo, exec_lo, s0
	s_and_saveexec_b32 s0, vcc_lo
	s_cbranch_execnz .LBB151_186
.LBB151_135:
	s_or_b32 exec_lo, exec_lo, s0
	s_and_saveexec_b32 s0, vcc_lo
	s_cbranch_execnz .LBB151_187
.LBB151_136:
	s_or_b32 exec_lo, exec_lo, s0
	s_and_saveexec_b32 s0, vcc_lo
	s_cbranch_execnz .LBB151_188
.LBB151_137:
	s_or_b32 exec_lo, exec_lo, s0
	s_and_saveexec_b32 s0, vcc_lo
	s_cbranch_execnz .LBB151_189
.LBB151_138:
	s_or_b32 exec_lo, exec_lo, s0
	s_and_saveexec_b32 s0, vcc_lo
	s_cbranch_execnz .LBB151_190
.LBB151_139:
	s_or_b32 exec_lo, exec_lo, s0
	s_and_saveexec_b32 s0, vcc_lo
	s_cbranch_execnz .LBB151_191
.LBB151_140:
	s_or_b32 exec_lo, exec_lo, s0
	s_and_saveexec_b32 s0, vcc_lo
	s_cbranch_execz .LBB151_142
.LBB151_141:
	ds_read_b32 v24, v24 offset:736
	s_waitcnt lgkmcnt(0)
	v_add_f32_e32 v2, v2, v24
.LBB151_142:
	s_or_b32 exec_lo, exec_lo, s0
.LBB151_143:
	s_or_b32 exec_lo, exec_lo, s1
	s_barrier
	buffer_gl0_inv
	s_mov_b32 s0, exec_lo
	v_cmpx_eq_u32_e32 0, v26
	s_cbranch_execz .LBB151_145
; %bb.144:
	s_mul_i32 s0, s10, s11
	v_bfe_u32 v25, v22, 16, 1
	s_mul_i32 s0, s0, s9
	s_mul_i32 s2, s11, s20
	s_mulk_i32 s0, 0xc0
	v_or_b32_e32 v26, 0x400000, v22
	s_ashr_i32 s1, s0, 31
	v_add3_u32 v25, v25, v22, 0x7fff
	s_lshl_b64 s[0:1], s[0:1], 1
	v_bfe_u32 v27, v19, 16, 1
	s_add_u32 s5, s6, s0
	s_addc_u32 s6, s7, s1
	s_ashr_i32 s3, s2, 31
	v_cmp_u_f32_e32 vcc_lo, v22, v22
	s_lshl_b64 s[0:1], s[2:3], 1
	s_mul_i32 s4, s8, 0xc0
	s_add_u32 s2, s5, s0
	s_addc_u32 s3, s6, s1
	s_ashr_i32 s5, s4, 31
	v_lshrrev_b32_e32 v24, 1, v51
	s_lshl_b64 s[0:1], s[4:5], 1
	v_cndmask_b32_e32 v22, v25, v26, vcc_lo
	v_bfe_u32 v25, v18, 16, 1
	v_add3_u32 v26, v27, v19, 0x7fff
	v_or_b32_e32 v27, 0x400000, v19
	v_cmp_u_f32_e32 vcc_lo, v19, v19
	s_add_u32 s0, s2, s0
	s_addc_u32 s1, s3, s1
	global_store_short_d16_hi v24, v22, s[0:1]
	v_add3_u32 v22, v25, v18, 0x7fff
	v_or_b32_e32 v25, 0x400000, v18
	v_cndmask_b32_e32 v19, v26, v27, vcc_lo
	v_bfe_u32 v26, v15, 16, 1
	v_cmp_u_f32_e32 vcc_lo, v18, v18
	global_store_short_d16_hi v24, v19, s[0:1] offset:16
	v_add3_u32 v19, v26, v15, 0x7fff
	v_cndmask_b32_e32 v18, v22, v25, vcc_lo
	v_bfe_u32 v22, v23, 16, 1
	v_or_b32_e32 v25, 0x400000, v15
	v_cmp_u_f32_e32 vcc_lo, v15, v15
	global_store_short_d16_hi v24, v18, s[0:1] offset:32
	v_add3_u32 v18, v22, v23, 0x7fff
	v_or_b32_e32 v22, 0x400000, v23
	v_cndmask_b32_e32 v15, v19, v25, vcc_lo
	v_bfe_u32 v19, v21, 16, 1
	v_cmp_u_f32_e32 vcc_lo, v23, v23
	global_store_short_d16_hi v24, v15, s[0:1] offset:48
	v_add3_u32 v15, v19, v21, 0x7fff
	v_cndmask_b32_e32 v18, v18, v22, vcc_lo
	v_bfe_u32 v22, v20, 16, 1
	v_or_b32_e32 v19, 0x400000, v21
	v_cmp_u_f32_e32 vcc_lo, v21, v21
	global_store_short_d16_hi v24, v18, s[0:1] offset:64
	v_add3_u32 v18, v22, v20, 0x7fff
	v_or_b32_e32 v22, 0x400000, v20
	v_cndmask_b32_e32 v15, v15, v19, vcc_lo
	v_bfe_u32 v19, v17, 16, 1
	v_cmp_u_f32_e32 vcc_lo, v20, v20
	v_bfe_u32 v20, v16, 16, 1
	global_store_short_d16_hi v24, v15, s[0:1] offset:80
	v_add3_u32 v15, v19, v17, 0x7fff
	v_cndmask_b32_e32 v18, v18, v22, vcc_lo
	v_or_b32_e32 v19, 0x400000, v17
	v_cmp_u_f32_e32 vcc_lo, v17, v17
	v_bfe_u32 v17, v14, 16, 1
	global_store_short_d16_hi v24, v18, s[0:1] offset:96
	v_add3_u32 v18, v20, v16, 0x7fff
	v_or_b32_e32 v20, 0x400000, v16
	v_cndmask_b32_e32 v15, v15, v19, vcc_lo
	v_cmp_u_f32_e32 vcc_lo, v16, v16
	global_store_short_d16_hi v24, v15, s[0:1] offset:112
	v_cndmask_b32_e32 v16, v18, v20, vcc_lo
	v_bfe_u32 v18, v13, 16, 1
	v_add3_u32 v15, v17, v14, 0x7fff
	v_or_b32_e32 v17, 0x400000, v14
	v_cmp_u_f32_e32 vcc_lo, v14, v14
	global_store_short_d16_hi v24, v16, s[0:1] offset:128
	v_add3_u32 v16, v18, v13, 0x7fff
	v_or_b32_e32 v18, 0x400000, v13
	v_cndmask_b32_e32 v14, v15, v17, vcc_lo
	v_bfe_u32 v15, v12, 16, 1
	v_cmp_u_f32_e32 vcc_lo, v13, v13
	global_store_short_d16_hi v24, v14, s[0:1] offset:144
	v_add3_u32 v14, v15, v12, 0x7fff
	v_cndmask_b32_e32 v13, v16, v18, vcc_lo
	v_bfe_u32 v16, v11, 16, 1
	v_or_b32_e32 v15, 0x400000, v12
	v_cmp_u_f32_e32 vcc_lo, v12, v12
	global_store_short_d16_hi v24, v13, s[0:1] offset:160
	v_add3_u32 v13, v16, v11, 0x7fff
	v_or_b32_e32 v16, 0x400000, v11
	v_cndmask_b32_e32 v12, v14, v15, vcc_lo
	v_bfe_u32 v14, v10, 16, 1
	v_cmp_u_f32_e32 vcc_lo, v11, v11
	global_store_short_d16_hi v24, v12, s[0:1] offset:176
	v_add3_u32 v12, v14, v10, 0x7fff
	v_cndmask_b32_e32 v11, v13, v16, vcc_lo
	v_bfe_u32 v13, v9, 16, 1
	;; [unrolled: 12-line block ×4, first 2 shown]
	v_or_b32_e32 v10, 0x400000, v6
	v_cmp_u_f32_e32 vcc_lo, v6, v6
	global_store_short_d16_hi v24, v7, s[0:1] offset:256
	v_add3_u32 v7, v9, v5, 0x7fff
	v_or_b32_e32 v9, 0x400000, v5
	v_cndmask_b32_e32 v6, v8, v10, vcc_lo
	v_bfe_u32 v8, v4, 16, 1
	v_cmp_u_f32_e32 vcc_lo, v5, v5
	v_or_b32_e32 v10, 0x400000, v2
	global_store_short_d16_hi v24, v6, s[0:1] offset:272
	v_add3_u32 v6, v8, v4, 0x7fff
	v_cndmask_b32_e32 v5, v7, v9, vcc_lo
	v_bfe_u32 v7, v3, 16, 1
	v_or_b32_e32 v8, 0x400000, v4
	v_cmp_u_f32_e32 vcc_lo, v4, v4
	v_or_b32_e32 v9, 0x400000, v1
	global_store_short_d16_hi v24, v5, s[0:1] offset:288
	v_add3_u32 v5, v7, v3, 0x7fff
	v_or_b32_e32 v7, 0x400000, v3
	v_cndmask_b32_e32 v4, v6, v8, vcc_lo
	v_bfe_u32 v6, v0, 16, 1
	v_cmp_u_f32_e32 vcc_lo, v3, v3
	v_bfe_u32 v8, v1, 16, 1
	v_add3_u32 v6, v6, v0, 0x7fff
	v_cndmask_b32_e32 v3, v5, v7, vcc_lo
	v_or_b32_e32 v7, 0x400000, v0
	v_cmp_u_f32_e32 vcc_lo, v0, v0
	v_bfe_u32 v5, v2, 16, 1
	v_add3_u32 v8, v8, v1, 0x7fff
	v_cndmask_b32_e32 v0, v6, v7, vcc_lo
	v_cmp_u_f32_e32 vcc_lo, v1, v1
	v_add3_u32 v5, v5, v2, 0x7fff
	v_cndmask_b32_e32 v1, v8, v9, vcc_lo
	v_cmp_u_f32_e32 vcc_lo, v2, v2
	v_cndmask_b32_e32 v2, v5, v10, vcc_lo
	global_store_short_d16_hi v24, v4, s[0:1] offset:304
	global_store_short_d16_hi v24, v3, s[0:1] offset:320
	;; [unrolled: 1-line block ×5, first 2 shown]
.LBB151_145:
	s_endpgm
.LBB151_146:
	ds_read_b32 v26, v24
	s_waitcnt lgkmcnt(0)
	v_add_f32_e32 v22, v22, v26
	s_or_b32 exec_lo, exec_lo, s0
	s_and_saveexec_b32 s0, vcc_lo
	s_cbranch_execz .LBB151_90
.LBB151_147:
	ds_read_b32 v26, v24 offset:32
	s_waitcnt lgkmcnt(0)
	v_add_f32_e32 v19, v19, v26
	s_or_b32 exec_lo, exec_lo, s0
	s_and_saveexec_b32 s0, vcc_lo
	s_cbranch_execz .LBB151_91
.LBB151_148:
	ds_read_b32 v26, v24 offset:64
	s_waitcnt lgkmcnt(0)
	v_add_f32_e32 v18, v18, v26
	s_or_b32 exec_lo, exec_lo, s0
	s_and_saveexec_b32 s0, vcc_lo
	s_cbranch_execz .LBB151_92
.LBB151_149:
	ds_read_b32 v26, v24 offset:96
	s_waitcnt lgkmcnt(0)
	v_add_f32_e32 v15, v15, v26
	s_or_b32 exec_lo, exec_lo, s0
	s_and_saveexec_b32 s0, vcc_lo
	s_cbranch_execz .LBB151_93
.LBB151_150:
	ds_read_b32 v26, v24 offset:128
	s_waitcnt lgkmcnt(0)
	v_add_f32_e32 v23, v23, v26
	s_or_b32 exec_lo, exec_lo, s0
	s_and_saveexec_b32 s0, vcc_lo
	s_cbranch_execz .LBB151_94
.LBB151_151:
	ds_read_b32 v26, v24 offset:160
	s_waitcnt lgkmcnt(0)
	v_add_f32_e32 v21, v21, v26
	s_or_b32 exec_lo, exec_lo, s0
	s_and_saveexec_b32 s0, vcc_lo
	s_cbranch_execz .LBB151_95
.LBB151_152:
	ds_read_b32 v26, v24 offset:192
	s_waitcnt lgkmcnt(0)
	v_add_f32_e32 v20, v20, v26
	s_or_b32 exec_lo, exec_lo, s0
	s_and_saveexec_b32 s0, vcc_lo
	s_cbranch_execz .LBB151_96
.LBB151_153:
	ds_read_b32 v26, v24 offset:224
	s_waitcnt lgkmcnt(0)
	v_add_f32_e32 v17, v17, v26
	s_or_b32 exec_lo, exec_lo, s0
	s_and_saveexec_b32 s0, vcc_lo
	s_cbranch_execz .LBB151_97
.LBB151_154:
	ds_read_b32 v26, v24 offset:256
	s_waitcnt lgkmcnt(0)
	v_add_f32_e32 v16, v16, v26
	s_or_b32 exec_lo, exec_lo, s0
	s_and_saveexec_b32 s0, vcc_lo
	s_cbranch_execz .LBB151_98
.LBB151_155:
	ds_read_b32 v26, v24 offset:288
	s_waitcnt lgkmcnt(0)
	v_add_f32_e32 v14, v14, v26
	s_or_b32 exec_lo, exec_lo, s0
	s_and_saveexec_b32 s0, vcc_lo
	s_cbranch_execz .LBB151_99
.LBB151_156:
	ds_read_b32 v26, v24 offset:320
	s_waitcnt lgkmcnt(0)
	v_add_f32_e32 v13, v13, v26
	s_or_b32 exec_lo, exec_lo, s0
	s_and_saveexec_b32 s0, vcc_lo
	s_cbranch_execz .LBB151_100
.LBB151_157:
	ds_read_b32 v26, v24 offset:352
	s_waitcnt lgkmcnt(0)
	v_add_f32_e32 v12, v12, v26
	s_or_b32 exec_lo, exec_lo, s0
	s_and_saveexec_b32 s0, vcc_lo
	s_cbranch_execz .LBB151_101
.LBB151_158:
	ds_read_b32 v26, v24 offset:384
	s_waitcnt lgkmcnt(0)
	v_add_f32_e32 v11, v11, v26
	s_or_b32 exec_lo, exec_lo, s0
	s_and_saveexec_b32 s0, vcc_lo
	s_cbranch_execz .LBB151_102
.LBB151_159:
	ds_read_b32 v26, v24 offset:416
	s_waitcnt lgkmcnt(0)
	v_add_f32_e32 v10, v10, v26
	s_or_b32 exec_lo, exec_lo, s0
	s_and_saveexec_b32 s0, vcc_lo
	s_cbranch_execz .LBB151_103
.LBB151_160:
	ds_read_b32 v26, v24 offset:448
	s_waitcnt lgkmcnt(0)
	v_add_f32_e32 v9, v9, v26
	s_or_b32 exec_lo, exec_lo, s0
	s_and_saveexec_b32 s0, vcc_lo
	s_cbranch_execz .LBB151_104
.LBB151_161:
	ds_read_b32 v26, v24 offset:480
	s_waitcnt lgkmcnt(0)
	v_add_f32_e32 v8, v8, v26
	s_or_b32 exec_lo, exec_lo, s0
	s_and_saveexec_b32 s0, vcc_lo
	s_cbranch_execz .LBB151_105
.LBB151_162:
	ds_read_b32 v26, v24 offset:512
	s_waitcnt lgkmcnt(0)
	v_add_f32_e32 v7, v7, v26
	s_or_b32 exec_lo, exec_lo, s0
	s_and_saveexec_b32 s0, vcc_lo
	s_cbranch_execz .LBB151_106
.LBB151_163:
	ds_read_b32 v26, v24 offset:544
	s_waitcnt lgkmcnt(0)
	v_add_f32_e32 v6, v6, v26
	s_or_b32 exec_lo, exec_lo, s0
	s_and_saveexec_b32 s0, vcc_lo
	s_cbranch_execz .LBB151_107
.LBB151_164:
	ds_read_b32 v26, v24 offset:576
	s_waitcnt lgkmcnt(0)
	v_add_f32_e32 v5, v5, v26
	s_or_b32 exec_lo, exec_lo, s0
	s_and_saveexec_b32 s0, vcc_lo
	s_cbranch_execz .LBB151_108
.LBB151_165:
	ds_read_b32 v26, v24 offset:608
	s_waitcnt lgkmcnt(0)
	v_add_f32_e32 v4, v4, v26
	s_or_b32 exec_lo, exec_lo, s0
	s_and_saveexec_b32 s0, vcc_lo
	s_cbranch_execz .LBB151_109
.LBB151_166:
	ds_read_b32 v26, v24 offset:640
	s_waitcnt lgkmcnt(0)
	v_add_f32_e32 v3, v3, v26
	s_or_b32 exec_lo, exec_lo, s0
	s_and_saveexec_b32 s0, vcc_lo
	s_cbranch_execz .LBB151_110
.LBB151_167:
	ds_read_b32 v26, v24 offset:672
	s_waitcnt lgkmcnt(0)
	v_add_f32_e32 v0, v0, v26
	s_or_b32 exec_lo, exec_lo, s0
	s_and_saveexec_b32 s0, vcc_lo
	s_cbranch_execz .LBB151_111
.LBB151_168:
	ds_read_b32 v26, v24 offset:704
	s_waitcnt lgkmcnt(0)
	v_add_f32_e32 v1, v1, v26
	s_or_b32 exec_lo, exec_lo, s0
	s_and_saveexec_b32 s0, vcc_lo
	s_cbranch_execnz .LBB151_112
	s_branch .LBB151_113
.LBB151_169:
	ds_read_b32 v25, v24
	s_waitcnt lgkmcnt(0)
	v_add_f32_e32 v22, v22, v25
	s_or_b32 exec_lo, exec_lo, s0
	s_and_saveexec_b32 s0, vcc_lo
	s_cbranch_execz .LBB151_119
.LBB151_170:
	ds_read_b32 v25, v24 offset:32
	s_waitcnt lgkmcnt(0)
	v_add_f32_e32 v19, v19, v25
	s_or_b32 exec_lo, exec_lo, s0
	s_and_saveexec_b32 s0, vcc_lo
	s_cbranch_execz .LBB151_120
.LBB151_171:
	ds_read_b32 v25, v24 offset:64
	s_waitcnt lgkmcnt(0)
	v_add_f32_e32 v18, v18, v25
	s_or_b32 exec_lo, exec_lo, s0
	s_and_saveexec_b32 s0, vcc_lo
	s_cbranch_execz .LBB151_121
.LBB151_172:
	ds_read_b32 v25, v24 offset:96
	s_waitcnt lgkmcnt(0)
	v_add_f32_e32 v15, v15, v25
	s_or_b32 exec_lo, exec_lo, s0
	s_and_saveexec_b32 s0, vcc_lo
	s_cbranch_execz .LBB151_122
.LBB151_173:
	ds_read_b32 v25, v24 offset:128
	s_waitcnt lgkmcnt(0)
	v_add_f32_e32 v23, v23, v25
	s_or_b32 exec_lo, exec_lo, s0
	s_and_saveexec_b32 s0, vcc_lo
	s_cbranch_execz .LBB151_123
.LBB151_174:
	ds_read_b32 v25, v24 offset:160
	s_waitcnt lgkmcnt(0)
	v_add_f32_e32 v21, v21, v25
	s_or_b32 exec_lo, exec_lo, s0
	s_and_saveexec_b32 s0, vcc_lo
	s_cbranch_execz .LBB151_124
.LBB151_175:
	ds_read_b32 v25, v24 offset:192
	s_waitcnt lgkmcnt(0)
	v_add_f32_e32 v20, v20, v25
	s_or_b32 exec_lo, exec_lo, s0
	s_and_saveexec_b32 s0, vcc_lo
	s_cbranch_execz .LBB151_125
.LBB151_176:
	ds_read_b32 v25, v24 offset:224
	s_waitcnt lgkmcnt(0)
	v_add_f32_e32 v17, v17, v25
	s_or_b32 exec_lo, exec_lo, s0
	s_and_saveexec_b32 s0, vcc_lo
	s_cbranch_execz .LBB151_126
.LBB151_177:
	ds_read_b32 v25, v24 offset:256
	s_waitcnt lgkmcnt(0)
	v_add_f32_e32 v16, v16, v25
	s_or_b32 exec_lo, exec_lo, s0
	s_and_saveexec_b32 s0, vcc_lo
	s_cbranch_execz .LBB151_127
.LBB151_178:
	ds_read_b32 v25, v24 offset:288
	s_waitcnt lgkmcnt(0)
	v_add_f32_e32 v14, v14, v25
	s_or_b32 exec_lo, exec_lo, s0
	s_and_saveexec_b32 s0, vcc_lo
	s_cbranch_execz .LBB151_128
.LBB151_179:
	ds_read_b32 v25, v24 offset:320
	s_waitcnt lgkmcnt(0)
	v_add_f32_e32 v13, v13, v25
	s_or_b32 exec_lo, exec_lo, s0
	s_and_saveexec_b32 s0, vcc_lo
	s_cbranch_execz .LBB151_129
.LBB151_180:
	ds_read_b32 v25, v24 offset:352
	s_waitcnt lgkmcnt(0)
	v_add_f32_e32 v12, v12, v25
	s_or_b32 exec_lo, exec_lo, s0
	s_and_saveexec_b32 s0, vcc_lo
	s_cbranch_execz .LBB151_130
.LBB151_181:
	ds_read_b32 v25, v24 offset:384
	s_waitcnt lgkmcnt(0)
	v_add_f32_e32 v11, v11, v25
	s_or_b32 exec_lo, exec_lo, s0
	s_and_saveexec_b32 s0, vcc_lo
	s_cbranch_execz .LBB151_131
.LBB151_182:
	ds_read_b32 v25, v24 offset:416
	s_waitcnt lgkmcnt(0)
	v_add_f32_e32 v10, v10, v25
	s_or_b32 exec_lo, exec_lo, s0
	s_and_saveexec_b32 s0, vcc_lo
	s_cbranch_execz .LBB151_132
.LBB151_183:
	ds_read_b32 v25, v24 offset:448
	s_waitcnt lgkmcnt(0)
	v_add_f32_e32 v9, v9, v25
	s_or_b32 exec_lo, exec_lo, s0
	s_and_saveexec_b32 s0, vcc_lo
	s_cbranch_execz .LBB151_133
.LBB151_184:
	ds_read_b32 v25, v24 offset:480
	s_waitcnt lgkmcnt(0)
	v_add_f32_e32 v8, v8, v25
	s_or_b32 exec_lo, exec_lo, s0
	s_and_saveexec_b32 s0, vcc_lo
	s_cbranch_execz .LBB151_134
.LBB151_185:
	ds_read_b32 v25, v24 offset:512
	s_waitcnt lgkmcnt(0)
	v_add_f32_e32 v7, v7, v25
	s_or_b32 exec_lo, exec_lo, s0
	s_and_saveexec_b32 s0, vcc_lo
	s_cbranch_execz .LBB151_135
.LBB151_186:
	ds_read_b32 v25, v24 offset:544
	s_waitcnt lgkmcnt(0)
	v_add_f32_e32 v6, v6, v25
	s_or_b32 exec_lo, exec_lo, s0
	s_and_saveexec_b32 s0, vcc_lo
	s_cbranch_execz .LBB151_136
.LBB151_187:
	ds_read_b32 v25, v24 offset:576
	s_waitcnt lgkmcnt(0)
	v_add_f32_e32 v5, v5, v25
	s_or_b32 exec_lo, exec_lo, s0
	s_and_saveexec_b32 s0, vcc_lo
	s_cbranch_execz .LBB151_137
.LBB151_188:
	ds_read_b32 v25, v24 offset:608
	s_waitcnt lgkmcnt(0)
	v_add_f32_e32 v4, v4, v25
	s_or_b32 exec_lo, exec_lo, s0
	s_and_saveexec_b32 s0, vcc_lo
	s_cbranch_execz .LBB151_138
.LBB151_189:
	ds_read_b32 v25, v24 offset:640
	s_waitcnt lgkmcnt(0)
	v_add_f32_e32 v3, v3, v25
	s_or_b32 exec_lo, exec_lo, s0
	s_and_saveexec_b32 s0, vcc_lo
	s_cbranch_execz .LBB151_139
.LBB151_190:
	ds_read_b32 v25, v24 offset:672
	s_waitcnt lgkmcnt(0)
	v_add_f32_e32 v0, v0, v25
	s_or_b32 exec_lo, exec_lo, s0
	s_and_saveexec_b32 s0, vcc_lo
	s_cbranch_execz .LBB151_140
.LBB151_191:
	ds_read_b32 v25, v24 offset:704
	s_waitcnt lgkmcnt(0)
	v_add_f32_e32 v1, v1, v25
	s_or_b32 exec_lo, exec_lo, s0
	s_and_saveexec_b32 s0, vcc_lo
	s_cbranch_execnz .LBB151_141
	s_branch .LBB151_142
	.section	.rodata,"a",@progbits
	.p2align	6, 0x0
	.amdhsa_kernel _ZN4vllm25paged_attention_v1_kernelI14__hip_bfloat16S1_Li192ELi32ELi128ELNS_18Fp8KVCacheDataTypeE0ELb1EEEvPT_PKS3_PKT0_S9_ifPKiSB_iPKfiiiSD_SD_iiiii
		.amdhsa_group_segment_fixed_size 416
		.amdhsa_private_segment_fixed_size 596
		.amdhsa_kernarg_size 384
		.amdhsa_user_sgpr_count 6
		.amdhsa_user_sgpr_private_segment_buffer 1
		.amdhsa_user_sgpr_dispatch_ptr 0
		.amdhsa_user_sgpr_queue_ptr 0
		.amdhsa_user_sgpr_kernarg_segment_ptr 1
		.amdhsa_user_sgpr_dispatch_id 0
		.amdhsa_user_sgpr_flat_scratch_init 0
		.amdhsa_user_sgpr_private_segment_size 0
		.amdhsa_wavefront_size32 1
		.amdhsa_uses_dynamic_stack 0
		.amdhsa_system_sgpr_private_segment_wavefront_offset 1
		.amdhsa_system_sgpr_workgroup_id_x 1
		.amdhsa_system_sgpr_workgroup_id_y 1
		.amdhsa_system_sgpr_workgroup_id_z 1
		.amdhsa_system_sgpr_workgroup_info 0
		.amdhsa_system_vgpr_workitem_id 0
		.amdhsa_next_free_vgpr 128
		.amdhsa_next_free_sgpr 44
		.amdhsa_reserve_vcc 1
		.amdhsa_reserve_flat_scratch 0
		.amdhsa_float_round_mode_32 0
		.amdhsa_float_round_mode_16_64 0
		.amdhsa_float_denorm_mode_32 3
		.amdhsa_float_denorm_mode_16_64 3
		.amdhsa_dx10_clamp 1
		.amdhsa_ieee_mode 1
		.amdhsa_fp16_overflow 0
		.amdhsa_workgroup_processor_mode 1
		.amdhsa_memory_ordered 1
		.amdhsa_forward_progress 1
		.amdhsa_shared_vgpr_count 0
		.amdhsa_exception_fp_ieee_invalid_op 0
		.amdhsa_exception_fp_denorm_src 0
		.amdhsa_exception_fp_ieee_div_zero 0
		.amdhsa_exception_fp_ieee_overflow 0
		.amdhsa_exception_fp_ieee_underflow 0
		.amdhsa_exception_fp_ieee_inexact 0
		.amdhsa_exception_int_div_zero 0
	.end_amdhsa_kernel
	.section	.text._ZN4vllm25paged_attention_v1_kernelI14__hip_bfloat16S1_Li192ELi32ELi128ELNS_18Fp8KVCacheDataTypeE0ELb1EEEvPT_PKS3_PKT0_S9_ifPKiSB_iPKfiiiSD_SD_iiiii,"axG",@progbits,_ZN4vllm25paged_attention_v1_kernelI14__hip_bfloat16S1_Li192ELi32ELi128ELNS_18Fp8KVCacheDataTypeE0ELb1EEEvPT_PKS3_PKT0_S9_ifPKiSB_iPKfiiiSD_SD_iiiii,comdat
.Lfunc_end151:
	.size	_ZN4vllm25paged_attention_v1_kernelI14__hip_bfloat16S1_Li192ELi32ELi128ELNS_18Fp8KVCacheDataTypeE0ELb1EEEvPT_PKS3_PKT0_S9_ifPKiSB_iPKfiiiSD_SD_iiiii, .Lfunc_end151-_ZN4vllm25paged_attention_v1_kernelI14__hip_bfloat16S1_Li192ELi32ELi128ELNS_18Fp8KVCacheDataTypeE0ELb1EEEvPT_PKS3_PKT0_S9_ifPKiSB_iPKfiiiSD_SD_iiiii
                                        ; -- End function
	.set _ZN4vllm25paged_attention_v1_kernelI14__hip_bfloat16S1_Li192ELi32ELi128ELNS_18Fp8KVCacheDataTypeE0ELb1EEEvPT_PKS3_PKT0_S9_ifPKiSB_iPKfiiiSD_SD_iiiii.num_vgpr, 128
	.set _ZN4vllm25paged_attention_v1_kernelI14__hip_bfloat16S1_Li192ELi32ELi128ELNS_18Fp8KVCacheDataTypeE0ELb1EEEvPT_PKS3_PKT0_S9_ifPKiSB_iPKfiiiSD_SD_iiiii.num_agpr, 0
	.set _ZN4vllm25paged_attention_v1_kernelI14__hip_bfloat16S1_Li192ELi32ELi128ELNS_18Fp8KVCacheDataTypeE0ELb1EEEvPT_PKS3_PKT0_S9_ifPKiSB_iPKfiiiSD_SD_iiiii.numbered_sgpr, 44
	.set _ZN4vllm25paged_attention_v1_kernelI14__hip_bfloat16S1_Li192ELi32ELi128ELNS_18Fp8KVCacheDataTypeE0ELb1EEEvPT_PKS3_PKT0_S9_ifPKiSB_iPKfiiiSD_SD_iiiii.num_named_barrier, 0
	.set _ZN4vllm25paged_attention_v1_kernelI14__hip_bfloat16S1_Li192ELi32ELi128ELNS_18Fp8KVCacheDataTypeE0ELb1EEEvPT_PKS3_PKT0_S9_ifPKiSB_iPKfiiiSD_SD_iiiii.private_seg_size, 596
	.set _ZN4vllm25paged_attention_v1_kernelI14__hip_bfloat16S1_Li192ELi32ELi128ELNS_18Fp8KVCacheDataTypeE0ELb1EEEvPT_PKS3_PKT0_S9_ifPKiSB_iPKfiiiSD_SD_iiiii.uses_vcc, 1
	.set _ZN4vllm25paged_attention_v1_kernelI14__hip_bfloat16S1_Li192ELi32ELi128ELNS_18Fp8KVCacheDataTypeE0ELb1EEEvPT_PKS3_PKT0_S9_ifPKiSB_iPKfiiiSD_SD_iiiii.uses_flat_scratch, 0
	.set _ZN4vllm25paged_attention_v1_kernelI14__hip_bfloat16S1_Li192ELi32ELi128ELNS_18Fp8KVCacheDataTypeE0ELb1EEEvPT_PKS3_PKT0_S9_ifPKiSB_iPKfiiiSD_SD_iiiii.has_dyn_sized_stack, 0
	.set _ZN4vllm25paged_attention_v1_kernelI14__hip_bfloat16S1_Li192ELi32ELi128ELNS_18Fp8KVCacheDataTypeE0ELb1EEEvPT_PKS3_PKT0_S9_ifPKiSB_iPKfiiiSD_SD_iiiii.has_recursion, 0
	.set _ZN4vllm25paged_attention_v1_kernelI14__hip_bfloat16S1_Li192ELi32ELi128ELNS_18Fp8KVCacheDataTypeE0ELb1EEEvPT_PKS3_PKT0_S9_ifPKiSB_iPKfiiiSD_SD_iiiii.has_indirect_call, 0
	.section	.AMDGPU.csdata,"",@progbits
; Kernel info:
; codeLenInByte = 31208
; TotalNumSgprs: 46
; NumVgprs: 128
; ScratchSize: 596
; MemoryBound: 0
; FloatMode: 240
; IeeeMode: 1
; LDSByteSize: 416 bytes/workgroup (compile time only)
; SGPRBlocks: 0
; VGPRBlocks: 15
; NumSGPRsForWavesPerEU: 46
; NumVGPRsForWavesPerEU: 128
; Occupancy: 8
; WaveLimiterHint : 1
; COMPUTE_PGM_RSRC2:SCRATCH_EN: 1
; COMPUTE_PGM_RSRC2:USER_SGPR: 6
; COMPUTE_PGM_RSRC2:TRAP_HANDLER: 0
; COMPUTE_PGM_RSRC2:TGID_X_EN: 1
; COMPUTE_PGM_RSRC2:TGID_Y_EN: 1
; COMPUTE_PGM_RSRC2:TGID_Z_EN: 1
; COMPUTE_PGM_RSRC2:TIDIG_COMP_CNT: 0
	.section	.text._ZN4vllm25paged_attention_v1_kernelI14__hip_bfloat16S1_Li256ELi32ELi128ELNS_18Fp8KVCacheDataTypeE0ELb1EEEvPT_PKS3_PKT0_S9_ifPKiSB_iPKfiiiSD_SD_iiiii,"axG",@progbits,_ZN4vllm25paged_attention_v1_kernelI14__hip_bfloat16S1_Li256ELi32ELi128ELNS_18Fp8KVCacheDataTypeE0ELb1EEEvPT_PKS3_PKT0_S9_ifPKiSB_iPKfiiiSD_SD_iiiii,comdat
	.protected	_ZN4vllm25paged_attention_v1_kernelI14__hip_bfloat16S1_Li256ELi32ELi128ELNS_18Fp8KVCacheDataTypeE0ELb1EEEvPT_PKS3_PKT0_S9_ifPKiSB_iPKfiiiSD_SD_iiiii ; -- Begin function _ZN4vllm25paged_attention_v1_kernelI14__hip_bfloat16S1_Li256ELi32ELi128ELNS_18Fp8KVCacheDataTypeE0ELb1EEEvPT_PKS3_PKT0_S9_ifPKiSB_iPKfiiiSD_SD_iiiii
	.globl	_ZN4vllm25paged_attention_v1_kernelI14__hip_bfloat16S1_Li256ELi32ELi128ELNS_18Fp8KVCacheDataTypeE0ELb1EEEvPT_PKS3_PKT0_S9_ifPKiSB_iPKfiiiSD_SD_iiiii
	.p2align	8
	.type	_ZN4vllm25paged_attention_v1_kernelI14__hip_bfloat16S1_Li256ELi32ELi128ELNS_18Fp8KVCacheDataTypeE0ELb1EEEvPT_PKS3_PKT0_S9_ifPKiSB_iPKfiiiSD_SD_iiiii,@function
_ZN4vllm25paged_attention_v1_kernelI14__hip_bfloat16S1_Li256ELi32ELi128ELNS_18Fp8KVCacheDataTypeE0ELb1EEEvPT_PKS3_PKT0_S9_ifPKiSB_iPKfiiiSD_SD_iiiii: ; @_ZN4vllm25paged_attention_v1_kernelI14__hip_bfloat16S1_Li256ELi32ELi128ELNS_18Fp8KVCacheDataTypeE0ELb1EEEvPT_PKS3_PKT0_S9_ifPKiSB_iPKfiiiSD_SD_iiiii
; %bb.0:
	s_mov_b64 s[42:43], s[2:3]
	s_mov_b64 s[40:41], s[0:1]
	s_mov_b32 s10, s7
	s_add_u32 s40, s40, s9
	s_clause 0x2
	s_load_dword s9, s[4:5], 0x80
	s_load_dwordx2 s[0:1], s[4:5], 0x30
	s_load_dwordx2 s[28:29], s[4:5], 0x20
	s_addc_u32 s41, s41, 0
	s_ashr_i32 s11, s7, 31
	v_mov_b32_e32 v58, v0
	s_lshl_b64 s[2:3], s[10:11], 2
	s_mov_b32 s33, 0
	s_waitcnt lgkmcnt(0)
	s_add_u32 s0, s0, s2
	s_addc_u32 s1, s1, s3
	s_abs_i32 s2, s28
	s_abs_i32 s11, s9
	v_cvt_f32_u32_e32 v0, s2
	s_sub_i32 s7, 0, s2
	v_rcp_iflag_f32_e32 v0, v0
	v_mul_f32_e32 v0, 0x4f7ffffe, v0
	v_cvt_u32_f32_e32 v0, v0
	v_readfirstlane_b32 s3, v0
	s_mul_i32 s7, s7, s3
	s_mul_hi_u32 s7, s3, s7
	s_add_i32 s3, s3, s7
	s_xor_b32 s7, s9, s28
	s_mul_hi_u32 s3, s11, s3
	s_ashr_i32 s7, s7, 31
	s_mul_i32 s12, s3, s2
	s_sub_i32 s11, s11, s12
	s_add_i32 s12, s3, 1
	s_sub_i32 s13, s11, s2
	s_cmp_ge_u32 s11, s2
	s_cselect_b32 s3, s12, s3
	s_cselect_b32 s11, s13, s11
	s_add_i32 s12, s3, 1
	s_cmp_ge_u32 s11, s2
	s_cselect_b32 s2, s12, s3
	s_abs_i32 s22, s6
	s_xor_b32 s2, s2, s7
	s_sub_i32 s16, s2, s7
	s_load_dwordx2 s[2:3], s[4:5], 0x40
	s_abs_i32 s11, s16
	v_cvt_f32_u32_e32 v0, s11
	s_sub_i32 s12, 0, s11
	v_rcp_iflag_f32_e32 v0, v0
	v_mul_f32_e32 v0, 0x4f7ffffe, v0
	v_cvt_u32_f32_e32 v0, v0
	v_readfirstlane_b32 s7, v0
	s_mul_i32 s12, s12, s7
	s_mul_hi_u32 s12, s7, s12
	s_add_i32 s7, s7, s12
	s_waitcnt lgkmcnt(0)
	s_cmp_eq_u64 s[2:3], 0
	s_mul_hi_u32 s23, s22, s7
	s_cbranch_scc1 .LBB152_2
; %bb.1:
	s_ashr_i32 s7, s6, 31
	s_lshl_b64 s[12:13], s[6:7], 2
	s_add_u32 s2, s2, s12
	s_addc_u32 s3, s3, s13
	s_load_dword s33, s[2:3], 0x0
.LBB152_2:
	s_load_dword s30, s[0:1], 0x0
	s_load_dwordx4 s[12:15], s[4:5], 0x48
	v_cmp_gt_u32_e64 s0, 32, v58
	s_ashr_i32 s1, s6, 31
	s_ashr_i32 s2, s16, 31
	s_lshl_b32 s20, s6, 8
	s_and_saveexec_b32 s3, s0
	s_cbranch_execz .LBB152_4
; %bb.3:
	s_load_dwordx2 s[16:17], s[4:5], 0x8
	s_waitcnt lgkmcnt(0)
	s_mul_i32 s18, s12, s10
	v_lshlrev_b32_e32 v4, 4, v58
	s_ashr_i32 s19, s18, 31
	s_lshl_b64 s[18:19], s[18:19], 1
	s_add_u32 s7, s16, s18
	s_addc_u32 s12, s17, s19
	s_ashr_i32 s21, s20, 31
	s_lshl_b64 s[16:17], s[20:21], 1
	s_add_u32 s16, s7, s16
	s_addc_u32 s17, s12, s17
	global_load_dwordx4 v[0:3], v4, s[16:17]
	s_waitcnt vmcnt(0)
	ds_write_b128 v4, v[0:3]
.LBB152_4:
	s_or_b32 exec_lo, exec_lo, s3
	s_load_dwordx4 s[16:19], s[4:5], 0x68
	s_mul_i32 s3, s23, s11
	s_xor_b32 s2, s1, s2
	s_sub_i32 s1, s22, s3
	s_add_i32 s3, s23, 1
	s_sub_i32 s7, s1, s11
	s_cmp_ge_u32 s1, s11
	s_waitcnt lgkmcnt(0)
	s_mov_b32 s15, -1
	s_cselect_b32 s3, s3, s23
	s_cselect_b32 s1, s7, s1
	s_add_i32 s7, s3, 1
	s_cmp_ge_u32 s1, s11
	s_load_dword s1, s[4:5], 0x78
	s_cselect_b32 s3, s7, s3
	s_add_i32 s11, s30, -1
	s_xor_b32 s3, s3, s2
	s_abs_i32 s7, s11
	s_sub_i32 s2, s3, s2
	s_waitcnt lgkmcnt(0)
	s_barrier
	s_abs_i32 s12, s19
	buffer_gl0_inv
	v_cvt_f32_u32_e32 v0, s12
	s_sub_i32 s3, 0, s12
                                        ; implicit-def: $sgpr31
	v_rcp_iflag_f32_e32 v0, v0
	v_mul_f32_e32 v0, 0x4f7ffffe, v0
	v_cvt_u32_f32_e32 v0, v0
	v_readfirstlane_b32 s21, v0
	s_mul_i32 s3, s3, s21
	s_mul_hi_u32 s3, s21, s3
	s_add_i32 s21, s21, s3
	s_cmp_lt_i32 s1, 0
	s_mul_hi_u32 s3, s7, s21
	s_cbranch_scc0 .LBB152_6
; %bb.5:
	s_mul_i32 s15, s16, s28
	s_add_i32 s15, s2, s15
	s_mul_i32 s15, s15, s1
	s_sub_i32 s31, 1, s15
	s_mov_b32 s15, 0
.LBB152_6:
	s_load_dwordx2 s[22:23], s[4:5], 0x28
	s_ashr_i32 s11, s11, 31
	s_andn2_b32 vcc_lo, exec_lo, s15
	s_ashr_i32 s19, s19, 31
	s_cbranch_vccnz .LBB152_8
; %bb.7:
	s_mul_i32 s15, s9, s16
	s_add_i32 s6, s15, s6
	s_mul_i32 s1, s6, s1
	s_add_i32 s31, s1, 1
.LBB152_8:
	s_load_dword s1, s[4:5], 0x38
	s_mul_i32 s6, s3, s12
	s_xor_b32 s15, s11, s19
	s_sub_i32 s28, s7, s6
	s_add_i32 s16, s3, 1
	s_clause 0x2
	s_load_dwordx2 s[6:7], s[4:5], 0x0
	s_load_dwordx2 s[26:27], s[4:5], 0x18
	s_load_dword s11, s[4:5], 0x88
	v_lshrrev_b32_e32 v59, 5, v58
	v_and_b32_e32 v0, 31, v58
	v_mov_b32_e32 v46, 0xff7fffff
	v_lshrrev_b32_e32 v29, 3, v58
	s_mul_i32 s14, s2, s14
	v_lshlrev_b32_e32 v1, 5, v59
	v_lshlrev_b32_e32 v30, 2, v0
	buffer_store_dword v0, off, s[40:43], 0 offset:224 ; 4-byte Folded Spill
	buffer_store_dword v1, off, s[40:43], 0 ; 4-byte Folded Spill
	s_waitcnt lgkmcnt(0)
	s_mul_i32 s24, s1, s10
	s_sub_i32 s1, s28, s12
	s_ashr_i32 s25, s24, 31
	s_cmp_ge_u32 s28, s12
	s_cselect_b32 s3, s16, s3
	s_cselect_b32 s1, s1, s28
	s_add_i32 s16, s3, 1
	s_cmp_ge_u32 s1, s12
	s_cselect_b32 s1, s16, s3
	s_add_i32 s3, s30, 31
	s_ashr_i32 s16, s3, 31
	s_lshr_b32 s16, s16, 27
	s_add_i32 s3, s3, s16
	s_ashr_i32 s16, s3, 5
	s_xor_b32 s3, s1, s15
	v_cmp_gt_i32_e64 s1, s16, v59
	s_sub_i32 s28, s3, s15
	s_mov_b32 s34, exec_lo
	s_and_b32 s2, s34, s1
	buffer_store_dword v58, off, s[40:43], 0 offset:888 ; 4-byte Folded Spill
	buffer_store_dword v59, off, s[40:43], 0 offset:892 ; 4-byte Folded Spill
	s_mov_b32 exec_lo, s2
	s_cbranch_execz .LBB152_16
; %bb.9:
	v_mov_b32_e32 v0, 0
	s_load_dwordx2 s[2:3], s[4:5], 0x10
	s_ashr_i32 s15, s14, 31
	s_sub_i32 s4, s28, s17
	s_lshl_b64 s[36:37], s[14:15], 1
	ds_read_b128 v[1:4], v0
	ds_read_b128 v[5:8], v0 offset:16
	ds_read_b128 v[9:12], v0 offset:32
	;; [unrolled: 1-line block ×6, first 2 shown]
	v_mov_b32_e32 v57, v59
	v_cmp_neq_f32_e64 vcc_lo, s33, 0
	v_mov_b32_e32 v46, 0xff7fffff
	s_mov_b32 s15, s13
	s_mov_b32 s35, 0
	v_lshlrev_b32_e32 v56, 5, v57
	s_waitcnt lgkmcnt(0)
	v_and_b32_e32 v31, 0xffff0000, v1
	v_lshlrev_b32_e32 v1, 16, v1
	s_add_u32 s36, s2, s36
	s_addc_u32 s37, s3, s37
	s_abs_i32 s5, s18
	buffer_store_dword v31, off, s[40:43], 0 offset:4 ; 4-byte Folded Spill
	buffer_store_dword v1, off, s[40:43], 0 offset:8 ; 4-byte Folded Spill
	v_and_b32_e32 v1, 0xffff0000, v5
	s_sub_i32 s2, 0, s5
	buffer_store_dword v1, off, s[40:43], 0 offset:12 ; 4-byte Folded Spill
	v_lshlrev_b32_e32 v1, 16, v5
	v_lshlrev_b32_e32 v5, 16, v16
	buffer_store_dword v1, off, s[40:43], 0 offset:28 ; 4-byte Folded Spill
	v_and_b32_e32 v1, 0xffff0000, v9
	buffer_store_dword v5, off, s[40:43], 0 offset:220 ; 4-byte Folded Spill
	v_and_b32_e32 v5, 0xffff0000, v19
	buffer_store_dword v1, off, s[40:43], 0 offset:44 ; 4-byte Folded Spill
	v_lshlrev_b32_e32 v1, 16, v9
	buffer_store_dword v5, off, s[40:43], 0 offset:228 ; 4-byte Folded Spill
	v_lshlrev_b32_e32 v5, 16, v19
	v_lshlrev_b32_e32 v9, 16, v24
	buffer_store_dword v1, off, s[40:43], 0 offset:60 ; 4-byte Folded Spill
	v_and_b32_e32 v1, 0xffff0000, v13
	buffer_store_dword v5, off, s[40:43], 0 offset:232 ; 4-byte Folded Spill
	v_and_b32_e32 v5, 0xffff0000, v20
	;; [unrolled: 2-line block ×3, first 2 shown]
	buffer_store_dword v1, off, s[40:43], 0 offset:76 ; 4-byte Folded Spill
	v_lshlrev_b32_e32 v1, 16, v13
	buffer_store_dword v5, off, s[40:43], 0 offset:236 ; 4-byte Folded Spill
	v_lshlrev_b32_e32 v5, 16, v20
	v_lshlrev_b32_e32 v13, 16, v28
	buffer_store_dword v9, off, s[40:43], 0 offset:260 ; 4-byte Folded Spill
	buffer_store_dword v1, off, s[40:43], 0 offset:92 ; 4-byte Folded Spill
	v_and_b32_e32 v1, 0xffff0000, v17
	buffer_store_dword v5, off, s[40:43], 0 offset:240 ; 4-byte Folded Spill
	v_and_b32_e32 v5, 0xffff0000, v23
	buffer_store_dword v13, off, s[40:43], 0 offset:288 ; 4-byte Folded Spill
	v_lshlrev_b32_e32 v9, 16, v25
	buffer_store_dword v1, off, s[40:43], 0 offset:96 ; 4-byte Folded Spill
	v_lshlrev_b32_e32 v1, 16, v17
	buffer_store_dword v5, off, s[40:43], 0 offset:244 ; 4-byte Folded Spill
	v_lshlrev_b32_e32 v5, 16, v23
	buffer_store_dword v9, off, s[40:43], 0 offset:264 ; 4-byte Folded Spill
	v_and_b32_e32 v9, 0xffff0000, v26
	buffer_store_dword v1, off, s[40:43], 0 offset:100 ; 4-byte Folded Spill
	v_and_b32_e32 v1, 0xffff0000, v21
	;; [unrolled: 2-line block ×3, first 2 shown]
	buffer_store_dword v9, off, s[40:43], 0 offset:268 ; 4-byte Folded Spill
	v_lshlrev_b32_e32 v9, 16, v26
	buffer_store_dword v1, off, s[40:43], 0 offset:104 ; 4-byte Folded Spill
	v_lshlrev_b32_e32 v1, 16, v21
	buffer_store_dword v5, off, s[40:43], 0 offset:252 ; 4-byte Folded Spill
	buffer_store_dword v9, off, s[40:43], 0 offset:272 ; 4-byte Folded Spill
	v_and_b32_e32 v9, 0xffff0000, v27
	buffer_store_dword v1, off, s[40:43], 0 offset:108 ; 4-byte Folded Spill
	v_and_b32_e32 v1, 0xffff0000, v2
	buffer_store_dword v9, off, s[40:43], 0 offset:276 ; 4-byte Folded Spill
	v_lshlrev_b32_e32 v9, 16, v27
	buffer_store_dword v1, off, s[40:43], 0 offset:112 ; 4-byte Folded Spill
	v_lshlrev_b32_e32 v1, 16, v2
	buffer_store_dword v9, off, s[40:43], 0 offset:280 ; 4-byte Folded Spill
	v_and_b32_e32 v9, 0xffff0000, v28
	buffer_store_dword v1, off, s[40:43], 0 offset:116 ; 4-byte Folded Spill
	v_and_b32_e32 v1, 0xffff0000, v6
	buffer_store_dword v9, off, s[40:43], 0 offset:284 ; 4-byte Folded Spill
	buffer_store_dword v1, off, s[40:43], 0 offset:120 ; 4-byte Folded Spill
	v_lshlrev_b32_e32 v1, 16, v6
	buffer_store_dword v1, off, s[40:43], 0 offset:124 ; 4-byte Folded Spill
	v_and_b32_e32 v1, 0xffff0000, v10
	buffer_store_dword v1, off, s[40:43], 0 offset:128 ; 4-byte Folded Spill
	v_lshlrev_b32_e32 v1, 16, v10
	buffer_store_dword v1, off, s[40:43], 0 offset:132 ; 4-byte Folded Spill
	v_and_b32_e32 v1, 0xffff0000, v14
	;; [unrolled: 4-line block ×8, first 2 shown]
	buffer_store_dword v1, off, s[40:43], 0 offset:184 ; 4-byte Folded Spill
	v_lshlrev_b32_e32 v1, 16, v8
	ds_read_b128 v[5:8], v0 offset:128
	buffer_store_dword v1, off, s[40:43], 0 offset:188 ; 4-byte Folded Spill
	v_and_b32_e32 v1, 0xffff0000, v11
	buffer_store_dword v1, off, s[40:43], 0 offset:192 ; 4-byte Folded Spill
	v_lshlrev_b32_e32 v1, 16, v11
	buffer_store_dword v1, off, s[40:43], 0 offset:196 ; 4-byte Folded Spill
	v_and_b32_e32 v1, 0xffff0000, v12
	buffer_store_dword v1, off, s[40:43], 0 offset:200 ; 4-byte Folded Spill
	v_lshlrev_b32_e32 v1, 16, v12
	ds_read_b128 v[9:12], v0 offset:144
	buffer_store_dword v1, off, s[40:43], 0 offset:204 ; 4-byte Folded Spill
	v_and_b32_e32 v1, 0xffff0000, v15
	buffer_store_dword v1, off, s[40:43], 0 offset:208 ; 4-byte Folded Spill
	v_lshlrev_b32_e32 v1, 16, v15
	buffer_store_dword v1, off, s[40:43], 0 offset:212 ; 4-byte Folded Spill
	v_and_b32_e32 v1, 0xffff0000, v16
	buffer_store_dword v1, off, s[40:43], 0 offset:216 ; 4-byte Folded Spill
	ds_read_b128 v[1:4], v0 offset:112
	s_waitcnt lgkmcnt(0)
	v_and_b32_e32 v13, 0xffff0000, v1
	v_lshlrev_b32_e32 v1, 16, v1
	buffer_store_dword v13, off, s[40:43], 0 offset:292 ; 4-byte Folded Spill
	buffer_store_dword v1, off, s[40:43], 0 offset:296 ; 4-byte Folded Spill
	v_and_b32_e32 v1, 0xffff0000, v2
	ds_read_b128 v[13:16], v0 offset:160
	buffer_store_dword v1, off, s[40:43], 0 offset:300 ; 4-byte Folded Spill
	v_lshlrev_b32_e32 v1, 16, v2
	buffer_store_dword v1, off, s[40:43], 0 offset:304 ; 4-byte Folded Spill
	v_and_b32_e32 v1, 0xffff0000, v3
	buffer_store_dword v1, off, s[40:43], 0 offset:308 ; 4-byte Folded Spill
	v_lshlrev_b32_e32 v1, 16, v3
	buffer_store_dword v1, off, s[40:43], 0 offset:312 ; 4-byte Folded Spill
	v_and_b32_e32 v1, 0xffff0000, v4
	;; [unrolled: 4-line block ×3, first 2 shown]
	buffer_store_dword v1, off, s[40:43], 0 offset:324 ; 4-byte Folded Spill
	v_lshlrev_b32_e32 v1, 16, v5
	v_lshlrev_b32_e32 v5, 16, v8
	buffer_store_dword v1, off, s[40:43], 0 offset:328 ; 4-byte Folded Spill
	v_and_b32_e32 v1, 0xffff0000, v6
	buffer_store_dword v5, off, s[40:43], 0 offset:352 ; 4-byte Folded Spill
	v_and_b32_e32 v5, 0xffff0000, v9
	buffer_store_dword v1, off, s[40:43], 0 offset:332 ; 4-byte Folded Spill
	v_lshlrev_b32_e32 v1, 16, v6
	buffer_store_dword v5, off, s[40:43], 0 offset:356 ; 4-byte Folded Spill
	v_lshlrev_b32_e32 v5, 16, v9
	v_and_b32_e32 v9, 0xffff0000, v12
	buffer_store_dword v1, off, s[40:43], 0 offset:336 ; 4-byte Folded Spill
	v_and_b32_e32 v1, 0xffff0000, v7
	buffer_store_dword v5, off, s[40:43], 0 offset:360 ; 4-byte Folded Spill
	buffer_store_dword v9, off, s[40:43], 0 offset:380 ; 4-byte Folded Spill
	v_lshlrev_b32_e32 v9, 16, v12
	v_and_b32_e32 v5, 0xffff0000, v10
	buffer_store_dword v1, off, s[40:43], 0 offset:340 ; 4-byte Folded Spill
	v_lshlrev_b32_e32 v1, 16, v7
	buffer_store_dword v9, off, s[40:43], 0 offset:384 ; 4-byte Folded Spill
	s_waitcnt lgkmcnt(0)
	v_and_b32_e32 v9, 0xffff0000, v13
	buffer_store_dword v5, off, s[40:43], 0 offset:364 ; 4-byte Folded Spill
	buffer_store_dword v1, off, s[40:43], 0 offset:344 ; 4-byte Folded Spill
	v_and_b32_e32 v1, 0xffff0000, v8
	v_lshlrev_b32_e32 v5, 16, v10
	buffer_store_dword v9, off, s[40:43], 0 offset:388 ; 4-byte Folded Spill
	v_lshlrev_b32_e32 v9, 16, v13
	v_lshlrev_b32_e32 v13, 16, v15
	buffer_store_dword v1, off, s[40:43], 0 offset:348 ; 4-byte Folded Spill
	ds_read_b128 v[1:4], v0 offset:176
	buffer_store_dword v5, off, s[40:43], 0 offset:368 ; 4-byte Folded Spill
	v_and_b32_e32 v5, 0xffff0000, v11
	buffer_store_dword v13, off, s[40:43], 0 offset:408 ; 4-byte Folded Spill
	v_and_b32_e32 v13, 0xffff0000, v16
	;; [unrolled: 2-line block ×3, first 2 shown]
	buffer_store_dword v5, off, s[40:43], 0 offset:372 ; 4-byte Folded Spill
	v_lshlrev_b32_e32 v5, 16, v11
	buffer_store_dword v13, off, s[40:43], 0 offset:412 ; 4-byte Folded Spill
	v_lshlrev_b32_e32 v13, 16, v16
	;; [unrolled: 2-line block ×3, first 2 shown]
	buffer_store_dword v5, off, s[40:43], 0 offset:376 ; 4-byte Folded Spill
	ds_read_b128 v[5:8], v0 offset:192
	buffer_store_dword v13, off, s[40:43], 0 offset:416 ; 4-byte Folded Spill
	buffer_store_dword v9, off, s[40:43], 0 offset:400 ; 4-byte Folded Spill
	v_and_b32_e32 v9, 0xffff0000, v15
	s_waitcnt lgkmcnt(1)
	v_and_b32_e32 v13, 0xffff0000, v1
	v_lshlrev_b32_e32 v1, 16, v1
	buffer_store_dword v9, off, s[40:43], 0 offset:404 ; 4-byte Folded Spill
	ds_read_b128 v[9:12], v0 offset:208
	buffer_store_dword v13, off, s[40:43], 0 offset:420 ; 4-byte Folded Spill
	buffer_store_dword v1, off, s[40:43], 0 offset:424 ; 4-byte Folded Spill
	v_and_b32_e32 v1, 0xffff0000, v2
	buffer_store_dword v1, off, s[40:43], 0 offset:428 ; 4-byte Folded Spill
	v_lshlrev_b32_e32 v1, 16, v2
	buffer_store_dword v1, off, s[40:43], 0 offset:432 ; 4-byte Folded Spill
	v_and_b32_e32 v1, 0xffff0000, v3
	buffer_store_dword v1, off, s[40:43], 0 offset:436 ; 4-byte Folded Spill
	v_lshlrev_b32_e32 v1, 16, v3
	;; [unrolled: 4-line block ×3, first 2 shown]
	buffer_store_dword v1, off, s[40:43], 0 offset:448 ; 4-byte Folded Spill
	s_waitcnt lgkmcnt(1)
	v_and_b32_e32 v1, 0xffff0000, v5
	buffer_store_dword v1, off, s[40:43], 0 offset:452 ; 4-byte Folded Spill
	v_lshlrev_b32_e32 v1, 16, v5
	s_waitcnt lgkmcnt(0)
	v_lshlrev_b32_e32 v5, 16, v9
	buffer_store_dword v1, off, s[40:43], 0 offset:456 ; 4-byte Folded Spill
	v_and_b32_e32 v1, 0xffff0000, v6
	buffer_store_dword v5, off, s[40:43], 0 offset:488 ; 4-byte Folded Spill
	v_and_b32_e32 v5, 0xffff0000, v10
	buffer_store_dword v1, off, s[40:43], 0 offset:460 ; 4-byte Folded Spill
	v_lshlrev_b32_e32 v1, 16, v6
	buffer_store_dword v5, off, s[40:43], 0 offset:492 ; 4-byte Folded Spill
	v_lshlrev_b32_e32 v5, 16, v10
	buffer_store_dword v1, off, s[40:43], 0 offset:464 ; 4-byte Folded Spill
	v_and_b32_e32 v1, 0xffff0000, v7
	buffer_store_dword v5, off, s[40:43], 0 offset:496 ; 4-byte Folded Spill
	v_and_b32_e32 v5, 0xffff0000, v11
	buffer_store_dword v1, off, s[40:43], 0 offset:468 ; 4-byte Folded Spill
	v_lshlrev_b32_e32 v1, 16, v7
	buffer_store_dword v5, off, s[40:43], 0 offset:500 ; 4-byte Folded Spill
	v_lshlrev_b32_e32 v5, 16, v11
	buffer_store_dword v1, off, s[40:43], 0 offset:472 ; 4-byte Folded Spill
	v_and_b32_e32 v1, 0xffff0000, v8
	buffer_store_dword v5, off, s[40:43], 0 offset:504 ; 4-byte Folded Spill
	v_and_b32_e32 v5, 0xffff0000, v12
	buffer_store_dword v1, off, s[40:43], 0 offset:476 ; 4-byte Folded Spill
	v_lshlrev_b32_e32 v1, 16, v8
	buffer_store_dword v5, off, s[40:43], 0 offset:508 ; 4-byte Folded Spill
	v_lshlrev_b32_e32 v5, 16, v12
	buffer_store_dword v1, off, s[40:43], 0 offset:480 ; 4-byte Folded Spill
	v_and_b32_e32 v1, 0xffff0000, v9
	buffer_store_dword v5, off, s[40:43], 0 offset:512 ; 4-byte Folded Spill
	ds_read_b128 v[5:8], v0 offset:240
	buffer_store_dword v1, off, s[40:43], 0 offset:484 ; 4-byte Folded Spill
	ds_read_b128 v[1:4], v0 offset:224
	s_waitcnt lgkmcnt(0)
	v_and_b32_e32 v9, 0xffff0000, v1
	v_lshlrev_b32_e32 v1, 16, v1
	buffer_store_dword v9, off, s[40:43], 0 offset:516 ; 4-byte Folded Spill
	buffer_store_dword v1, off, s[40:43], 0 offset:520 ; 4-byte Folded Spill
	v_and_b32_e32 v1, 0xffff0000, v2
	buffer_store_dword v1, off, s[40:43], 0 offset:524 ; 4-byte Folded Spill
	v_lshlrev_b32_e32 v1, 16, v2
	buffer_store_dword v1, off, s[40:43], 0 offset:528 ; 4-byte Folded Spill
	v_and_b32_e32 v1, 0xffff0000, v3
	buffer_store_dword v1, off, s[40:43], 0 offset:532 ; 4-byte Folded Spill
	v_lshlrev_b32_e32 v1, 16, v3
	;; [unrolled: 4-line block ×7, first 2 shown]
	buffer_store_dword v1, off, s[40:43], 0 offset:576 ; 4-byte Folded Spill
	ds_read_b128 v[1:4], v0 offset:256
	ds_read_b128 v[5:8], v0 offset:272
	s_waitcnt lgkmcnt(1)
	v_and_b32_e32 v9, 0xffff0000, v1
	v_lshlrev_b32_e32 v1, 16, v1
	buffer_store_dword v9, off, s[40:43], 0 offset:580 ; 4-byte Folded Spill
	buffer_store_dword v1, off, s[40:43], 0 offset:584 ; 4-byte Folded Spill
	v_and_b32_e32 v1, 0xffff0000, v2
	buffer_store_dword v1, off, s[40:43], 0 offset:588 ; 4-byte Folded Spill
	v_lshlrev_b32_e32 v1, 16, v2
	buffer_store_dword v1, off, s[40:43], 0 offset:592 ; 4-byte Folded Spill
	v_and_b32_e32 v1, 0xffff0000, v3
	buffer_store_dword v1, off, s[40:43], 0 offset:596 ; 4-byte Folded Spill
	v_lshlrev_b32_e32 v1, 16, v3
	buffer_store_dword v1, off, s[40:43], 0 offset:600 ; 4-byte Folded Spill
	v_and_b32_e32 v1, 0xffff0000, v4
	buffer_store_dword v1, off, s[40:43], 0 offset:604 ; 4-byte Folded Spill
	v_lshlrev_b32_e32 v1, 16, v4
	buffer_store_dword v1, off, s[40:43], 0 offset:608 ; 4-byte Folded Spill
	s_waitcnt lgkmcnt(0)
	v_and_b32_e32 v1, 0xffff0000, v5
	buffer_store_dword v1, off, s[40:43], 0 offset:612 ; 4-byte Folded Spill
	v_lshlrev_b32_e32 v1, 16, v5
	buffer_store_dword v1, off, s[40:43], 0 offset:616 ; 4-byte Folded Spill
	v_and_b32_e32 v1, 0xffff0000, v6
	buffer_store_dword v1, off, s[40:43], 0 offset:620 ; 4-byte Folded Spill
	v_lshlrev_b32_e32 v1, 16, v6
	buffer_store_dword v1, off, s[40:43], 0 offset:624 ; 4-byte Folded Spill
	v_and_b32_e32 v1, 0xffff0000, v7
	buffer_store_dword v1, off, s[40:43], 0 offset:628 ; 4-byte Folded Spill
	v_lshlrev_b32_e32 v1, 16, v7
	buffer_store_dword v1, off, s[40:43], 0 offset:632 ; 4-byte Folded Spill
	v_and_b32_e32 v1, 0xffff0000, v8
	buffer_store_dword v1, off, s[40:43], 0 offset:636 ; 4-byte Folded Spill
	v_lshlrev_b32_e32 v1, 16, v8
	buffer_store_dword v1, off, s[40:43], 0 offset:640 ; 4-byte Folded Spill
	ds_read_b128 v[1:4], v0 offset:288
	ds_read_b128 v[5:8], v0 offset:304
	s_waitcnt lgkmcnt(1)
	v_and_b32_e32 v9, 0xffff0000, v1
	v_lshlrev_b32_e32 v1, 16, v1
	buffer_store_dword v9, off, s[40:43], 0 offset:644 ; 4-byte Folded Spill
	buffer_store_dword v1, off, s[40:43], 0 offset:648 ; 4-byte Folded Spill
	v_and_b32_e32 v1, 0xffff0000, v2
	buffer_store_dword v1, off, s[40:43], 0 offset:652 ; 4-byte Folded Spill
	v_lshlrev_b32_e32 v1, 16, v2
	buffer_store_dword v1, off, s[40:43], 0 offset:656 ; 4-byte Folded Spill
	v_and_b32_e32 v1, 0xffff0000, v3
	buffer_store_dword v1, off, s[40:43], 0 offset:660 ; 4-byte Folded Spill
	v_lshlrev_b32_e32 v1, 16, v3
	buffer_store_dword v1, off, s[40:43], 0 offset:664 ; 4-byte Folded Spill
	v_and_b32_e32 v1, 0xffff0000, v4
	buffer_store_dword v1, off, s[40:43], 0 offset:668 ; 4-byte Folded Spill
	v_lshlrev_b32_e32 v1, 16, v4
	buffer_store_dword v1, off, s[40:43], 0 offset:672 ; 4-byte Folded Spill
	s_waitcnt lgkmcnt(0)
	v_and_b32_e32 v1, 0xffff0000, v5
	buffer_store_dword v1, off, s[40:43], 0 offset:676 ; 4-byte Folded Spill
	v_lshlrev_b32_e32 v1, 16, v5
	buffer_store_dword v1, off, s[40:43], 0 offset:680 ; 4-byte Folded Spill
	v_and_b32_e32 v1, 0xffff0000, v6
	buffer_store_dword v1, off, s[40:43], 0 offset:684 ; 4-byte Folded Spill
	v_lshlrev_b32_e32 v1, 16, v6
	buffer_store_dword v1, off, s[40:43], 0 offset:688 ; 4-byte Folded Spill
	v_and_b32_e32 v1, 0xffff0000, v7
	buffer_store_dword v1, off, s[40:43], 0 offset:692 ; 4-byte Folded Spill
	v_lshlrev_b32_e32 v1, 16, v7
	buffer_store_dword v1, off, s[40:43], 0 offset:696 ; 4-byte Folded Spill
	v_and_b32_e32 v1, 0xffff0000, v8
	buffer_store_dword v1, off, s[40:43], 0 offset:700 ; 4-byte Folded Spill
	v_lshlrev_b32_e32 v1, 16, v8
	;; [unrolled: 36-line block ×4, first 2 shown]
	buffer_store_dword v1, off, s[40:43], 0 offset:832 ; 4-byte Folded Spill
	ds_read_b128 v[1:4], v0 offset:384
	ds_read_b128 v[5:8], v0 offset:400
	s_waitcnt lgkmcnt(1)
	v_and_b32_e32 v9, 0xffff0000, v1
	v_lshlrev_b32_e32 v1, 16, v1
	s_waitcnt lgkmcnt(0)
	v_lshlrev_b32_e32 v83, 16, v7
	v_and_b32_e32 v84, 0xffff0000, v8
	v_lshlrev_b32_e32 v85, 16, v8
	buffer_store_dword v9, off, s[40:43], 0 offset:836 ; 4-byte Folded Spill
	buffer_store_dword v1, off, s[40:43], 0 offset:840 ; 4-byte Folded Spill
	v_and_b32_e32 v1, 0xffff0000, v2
	buffer_store_dword v1, off, s[40:43], 0 offset:844 ; 4-byte Folded Spill
	v_lshlrev_b32_e32 v1, 16, v2
	buffer_store_dword v1, off, s[40:43], 0 offset:848 ; 4-byte Folded Spill
	v_and_b32_e32 v1, 0xffff0000, v3
	buffer_store_dword v1, off, s[40:43], 0 offset:852 ; 4-byte Folded Spill
	v_lshlrev_b32_e32 v1, 16, v3
	;; [unrolled: 4-line block ×5, first 2 shown]
	buffer_store_dword v1, off, s[40:43], 0 offset:880 ; 4-byte Folded Spill
	v_and_b32_e32 v1, 0xffff0000, v7
	buffer_store_dword v1, off, s[40:43], 0 offset:884 ; 4-byte Folded Spill
	ds_read_b128 v[1:4], v0 offset:416
	ds_read_b128 v[5:8], v0 offset:432
	s_waitcnt lgkmcnt(1)
	v_and_b32_e32 v86, 0xffff0000, v1
	v_lshlrev_b32_e32 v87, 16, v1
	v_and_b32_e32 v88, 0xffff0000, v2
	v_lshlrev_b32_e32 v89, 16, v2
	;; [unrolled: 2-line block ×4, first 2 shown]
	s_waitcnt lgkmcnt(0)
	v_and_b32_e32 v94, 0xffff0000, v5
	v_lshlrev_b32_e32 v95, 16, v5
	v_and_b32_e32 v96, 0xffff0000, v6
	v_lshlrev_b32_e32 v97, 16, v6
	v_and_b32_e32 v98, 0xffff0000, v7
	v_lshlrev_b32_e32 v99, 16, v7
	v_and_b32_e32 v100, 0xffff0000, v8
	v_lshlrev_b32_e32 v101, 16, v8
	ds_read_b128 v[1:4], v0 offset:448
	ds_read_b128 v[5:8], v0 offset:464
	s_waitcnt lgkmcnt(1)
	v_and_b32_e32 v102, 0xffff0000, v1
	v_lshlrev_b32_e32 v103, 16, v1
	v_and_b32_e32 v104, 0xffff0000, v2
	v_lshlrev_b32_e32 v105, 16, v2
	;; [unrolled: 2-line block ×4, first 2 shown]
	s_waitcnt lgkmcnt(0)
	v_and_b32_e32 v110, 0xffff0000, v5
	v_lshlrev_b32_e32 v111, 16, v5
	v_and_b32_e32 v112, 0xffff0000, v6
	v_lshlrev_b32_e32 v113, 16, v6
	;; [unrolled: 2-line block ×4, first 2 shown]
	ds_read_b128 v[1:4], v0 offset:480
	ds_read_b128 v[5:8], v0 offset:496
	buffer_store_dword v29, off, s[40:43], 0 offset:896 ; 4-byte Folded Spill
	buffer_store_dword v30, off, s[40:43], 0 offset:900 ; 4-byte Folded Spill
	s_waitcnt lgkmcnt(1)
	v_and_b32_e32 v118, 0xffff0000, v1
	v_lshlrev_b32_e32 v119, 16, v1
	v_cvt_f32_u32_e32 v1, s5
	v_and_b32_e32 v120, 0xffff0000, v2
	v_lshlrev_b32_e32 v121, 16, v2
	v_and_b32_e32 v122, 0xffff0000, v3
	v_lshlrev_b32_e32 v123, 16, v3
	v_rcp_iflag_f32_e32 v1, v1
	v_and_b32_e32 v124, 0xffff0000, v4
	v_lshlrev_b32_e32 v125, 16, v4
	s_waitcnt lgkmcnt(0)
	v_and_b32_e32 v126, 0xffff0000, v5
	v_lshlrev_b32_e32 v127, 16, v5
	v_and_b32_e32 v45, 0xffff0000, v6
	v_lshlrev_b32_e32 v0, 16, v6
	v_and_b32_e32 v47, 0xffff0000, v7
	v_lshlrev_b32_e32 v48, 16, v7
	v_and_b32_e32 v49, 0xffff0000, v8
	v_mul_f32_e32 v1, 0x4f7ffffe, v1
	v_lshlrev_b32_e32 v50, 16, v8
	v_cvt_u32_f32_e32 v1, v1
	v_mul_lo_u32 v2, s2, v1
	s_lshl_b64 s[2:3], s[24:25], 2
	s_add_u32 s2, s22, s2
	s_addc_u32 s3, s23, s3
	v_mul_hi_u32 v2, v1, v2
	v_add_nc_u32_e32 v51, v1, v2
	buffer_load_dword v2, off, s[40:43], 0 offset:224 ; 4-byte Folded Reload
	v_and_b32_e32 v1, 0x7c, v29
	v_add_co_u32 v41, s2, s2, v1
	v_add_co_ci_u32_e64 v42, null, s3, 0, s2
	s_waitcnt vmcnt(0)
	v_subrev_nc_u32_e32 v1, s30, v2
	v_add_nc_u32_e32 v52, 1, v1
	v_lshl_or_b32 v1, v57, 7, v30
	v_add_nc_u32_e32 v53, 0x220, v1
	v_lshlrev_b32_e32 v1, 4, v2
	v_add_co_u32 v54, s2, s36, v1
	v_add_co_ci_u32_e64 v55, null, s37, 0, s2
	s_branch .LBB152_11
.LBB152_10:                             ;   in Loop: Header=BB152_11 Depth=1
	s_or_b32 exec_lo, exec_lo, s36
	v_add_nc_u32_e32 v57, 4, v57
	v_add_co_u32 v41, s2, v41, 16
	v_add_co_ci_u32_e64 v42, null, 0, v42, s2
	v_cmp_le_i32_e64 s2, s16, v57
	v_add_nc_u32_e32 v56, 0x80, v56
	v_add_nc_u32_e32 v53, 0x200, v53
	s_or_b32 s35, s2, s35
	s_andn2_b32 exec_lo, exec_lo, s35
	s_cbranch_execz .LBB152_15
.LBB152_11:                             ; =>This Inner Loop Header: Depth=1
	v_mul_hi_u32 v1, v56, s21
	v_mul_lo_u32 v2, v1, s12
	v_add_nc_u32_e32 v3, 1, v1
	v_sub_nc_u32_e32 v2, v56, v2
	v_subrev_nc_u32_e32 v4, s12, v2
	v_cmp_le_u32_e64 s2, s12, v2
	v_cndmask_b32_e64 v1, v1, v3, s2
	v_cndmask_b32_e64 v2, v2, v4, s2
	v_add_nc_u32_e32 v3, 1, v1
	v_cmp_le_u32_e64 s2, s12, v2
	v_cndmask_b32_e64 v1, v1, v3, s2
	v_xor_b32_e32 v1, s19, v1
	v_subrev_nc_u32_e32 v1, s19, v1
	v_add_nc_u32_e32 v2, s31, v1
	v_cmp_ge_i32_e64 s3, s4, v1
	v_sub_nc_u32_e32 v3, 0, v2
	v_max_i32_e32 v3, v2, v3
	v_ashrrev_i32_e32 v2, 31, v2
	v_mul_hi_u32 v4, v3, v51
	v_mul_lo_u32 v4, v4, s5
	v_sub_nc_u32_e32 v3, v3, v4
	v_subrev_nc_u32_e32 v4, s5, v3
	v_cmp_le_u32_e64 s2, s5, v3
	v_cndmask_b32_e64 v3, v3, v4, s2
	v_subrev_nc_u32_e32 v4, s5, v3
	v_cmp_le_u32_e64 s2, s5, v3
	v_cndmask_b32_e64 v3, v3, v4, s2
	v_xor_b32_e32 v3, v3, v2
	v_sub_nc_u32_e32 v2, v3, v2
	v_cmp_ne_u32_e64 s2, 0, v2
	s_and_b32 s2, s2, s3
	s_and_saveexec_b32 s3, s2
	s_xor_b32 s2, exec_lo, s3
; %bb.12:                               ;   in Loop: Header=BB152_11 Depth=1
	v_mov_b32_e32 v1, 0xff7fffff
	ds_write_b32 v53, v1
; %bb.13:                               ;   in Loop: Header=BB152_11 Depth=1
	s_andn2_saveexec_b32 s36, s2
	s_cbranch_execz .LBB152_10
; %bb.14:                               ;   in Loop: Header=BB152_11 Depth=1
	global_load_dword v1, v[41:42], off
	buffer_load_dword v2, off, s[40:43], 0 offset:224 ; 4-byte Folded Reload
	s_waitcnt vmcnt(0)
	v_add_nc_u32_e32 v3, v2, v56
	v_mad_i64_i32 v[1:2], null, v1, s15, 0
	v_lshlrev_b64 v[1:2], 1, v[1:2]
	v_add_co_u32 v43, s2, v54, v1
	v_add_nc_u32_e32 v1, v52, v56
	v_add_co_ci_u32_e64 v44, null, v55, v2, s2
	v_cmp_gt_i32_e64 s2, s30, v3
	s_clause 0x3
	global_load_dwordx4 v[33:36], v[43:44], off
	global_load_dwordx4 v[29:32], v[43:44], off offset:512
	global_load_dwordx4 v[25:28], v[43:44], off offset:1024
	;; [unrolled: 1-line block ×3, first 2 shown]
	v_cvt_f32_i32_e32 v1, v1
	v_mul_f32_e32 v1, s33, v1
	v_cndmask_b32_e32 v58, 0, v1, vcc_lo
	v_add_co_u32 v1, s3, 0x800, v43
	v_add_co_ci_u32_e64 v2, null, 0, v44, s3
	v_add_co_u32 v3, s3, v43, 0x1000
	v_add_co_ci_u32_e64 v4, null, 0, v44, s3
	s_clause 0x3
	global_load_dwordx4 v[17:20], v[3:4], off offset:-2048
	global_load_dwordx4 v[13:16], v[1:2], off offset:512
	global_load_dwordx4 v[9:12], v[1:2], off offset:1024
	;; [unrolled: 1-line block ×3, first 2 shown]
	buffer_load_dword v59, off, s[40:43], 0 offset:28 ; 4-byte Folded Reload
	global_load_dwordx4 v[1:4], v[3:4], off
	v_add_co_u32 v37, s3, 0x1000, v43
	v_add_co_ci_u32_e64 v38, null, 0, v44, s3
	s_waitcnt vmcnt(9)
	v_lshlrev_b32_e32 v39, 16, v33
	s_waitcnt vmcnt(8)
	v_and_b32_e32 v40, 0xffff0000, v29
	v_lshlrev_b32_e32 v29, 16, v29
	v_and_b32_e32 v33, 0xffff0000, v33
	s_waitcnt vmcnt(1)
	v_mul_f32_e32 v59, v59, v29
	buffer_load_dword v29, off, s[40:43], 0 offset:12 ; 4-byte Folded Reload
	s_waitcnt vmcnt(0)
	v_mul_f32_e32 v60, v29, v40
	buffer_load_dword v29, off, s[40:43], 0 offset:4 ; 4-byte Folded Reload
	s_waitcnt vmcnt(0)
	v_fmac_f32_e32 v60, v29, v33
	s_clause 0x1
	buffer_load_dword v29, off, s[40:43], 0 offset:8
	buffer_load_dword v33, off, s[40:43], 0 offset:60
	s_waitcnt vmcnt(1)
	v_fmac_f32_e32 v59, v29, v39
	v_and_b32_e32 v29, 0xffff0000, v25
	v_lshlrev_b32_e32 v25, 16, v25
	s_waitcnt vmcnt(0)
	v_fmac_f32_e32 v59, v33, v25
	buffer_load_dword v25, off, s[40:43], 0 offset:44 ; 4-byte Folded Reload
	s_waitcnt vmcnt(0)
	v_fmac_f32_e32 v60, v25, v29
	buffer_load_dword v29, off, s[40:43], 0 offset:76 ; 4-byte Folded Reload
	v_lshlrev_b32_e32 v25, 16, v21
	v_and_b32_e32 v21, 0xffff0000, v21
	s_waitcnt vmcnt(0)
	v_fmac_f32_e32 v60, v29, v21
	buffer_load_dword v21, off, s[40:43], 0 offset:92 ; 4-byte Folded Reload
	s_waitcnt vmcnt(0)
	v_fmac_f32_e32 v59, v21, v25
	buffer_load_dword v25, off, s[40:43], 0 offset:100 ; 4-byte Folded Reload
	v_and_b32_e32 v21, 0xffff0000, v17
	v_lshlrev_b32_e32 v17, 16, v17
	s_waitcnt vmcnt(0)
	v_fmac_f32_e32 v59, v25, v17
	buffer_load_dword v17, off, s[40:43], 0 offset:96 ; 4-byte Folded Reload
	s_waitcnt vmcnt(0)
	v_fmac_f32_e32 v60, v17, v21
	buffer_load_dword v21, off, s[40:43], 0 offset:104 ; 4-byte Folded Reload
	v_lshlrev_b32_e32 v17, 16, v13
	v_and_b32_e32 v13, 0xffff0000, v13
	s_waitcnt vmcnt(0)
	v_fmac_f32_e32 v60, v21, v13
	buffer_load_dword v13, off, s[40:43], 0 offset:108 ; 4-byte Folded Reload
	s_waitcnt vmcnt(0)
	v_fmac_f32_e32 v59, v13, v17
	buffer_load_dword v17, off, s[40:43], 0 offset:264 ; 4-byte Folded Reload
	v_and_b32_e32 v13, 0xffff0000, v9
	v_lshlrev_b32_e32 v9, 16, v9
	s_waitcnt vmcnt(0)
	v_fmac_f32_e32 v59, v17, v9
	s_clause 0x1
	buffer_load_dword v9, off, s[40:43], 0 offset:260
	buffer_load_dword v17, off, s[40:43], 0 offset:124
	s_waitcnt vmcnt(1)
	v_fmac_f32_e32 v60, v9, v13
	buffer_load_dword v13, off, s[40:43], 0 offset:292 ; 4-byte Folded Reload
	v_lshlrev_b32_e32 v9, 16, v5
	v_and_b32_e32 v5, 0xffff0000, v5
	s_waitcnt vmcnt(0)
	v_fmac_f32_e32 v60, v13, v5
	buffer_load_dword v5, off, s[40:43], 0 offset:296 ; 4-byte Folded Reload
	v_lshlrev_b32_e32 v13, 16, v30
	v_mul_f32_e32 v62, v17, v13
	buffer_load_dword v13, off, s[40:43], 0 offset:120 ; 4-byte Folded Reload
	s_waitcnt vmcnt(1)
	v_fmac_f32_e32 v59, v5, v9
	buffer_load_dword v9, off, s[40:43], 0 offset:328 ; 4-byte Folded Reload
	v_and_b32_e32 v5, 0xffff0000, v1
	v_lshlrev_b32_e32 v1, 16, v1
	s_waitcnt vmcnt(0)
	v_fmac_f32_e32 v59, v9, v1
	buffer_load_dword v1, off, s[40:43], 0 offset:324 ; 4-byte Folded Reload
	v_and_b32_e32 v9, 0xffff0000, v30
	v_mul_f32_e32 v61, v13, v9
	buffer_load_dword v9, off, s[40:43], 0 offset:112 ; 4-byte Folded Reload
	s_waitcnt vmcnt(1)
	v_fmac_f32_e32 v60, v1, v5
	v_and_b32_e32 v5, 0xffff0000, v34
	v_lshlrev_b32_e32 v1, 16, v34
	s_waitcnt vmcnt(0)
	v_fmac_f32_e32 v61, v9, v5
	s_clause 0x1
	buffer_load_dword v5, off, s[40:43], 0 offset:116
	buffer_load_dword v9, off, s[40:43], 0 offset:132
	s_waitcnt vmcnt(1)
	v_fmac_f32_e32 v62, v5, v1
	v_lshlrev_b32_e32 v5, 16, v26
	v_and_b32_e32 v1, 0xffff0000, v26
	s_waitcnt vmcnt(0)
	v_fmac_f32_e32 v62, v9, v5
	s_clause 0x1
	buffer_load_dword v5, off, s[40:43], 0 offset:128
	buffer_load_dword v9, off, s[40:43], 0 offset:136
	s_waitcnt vmcnt(1)
	v_fmac_f32_e32 v61, v5, v1
	v_and_b32_e32 v5, 0xffff0000, v22
	v_lshlrev_b32_e32 v1, 16, v22
	s_waitcnt vmcnt(0)
	v_fmac_f32_e32 v61, v9, v5
	s_clause 0x1
	buffer_load_dword v5, off, s[40:43], 0 offset:140
	buffer_load_dword v9, off, s[40:43], 0 offset:148
	s_waitcnt vmcnt(1)
	v_fmac_f32_e32 v62, v5, v1
	v_lshlrev_b32_e32 v5, 16, v18
	v_and_b32_e32 v1, 0xffff0000, v18
	s_waitcnt vmcnt(0)
	v_fmac_f32_e32 v62, v9, v5
	s_clause 0x1
	buffer_load_dword v5, off, s[40:43], 0 offset:144
	buffer_load_dword v9, off, s[40:43], 0 offset:152
	;; [unrolled: 18-line block ×3, first 2 shown]
	s_waitcnt vmcnt(1)
	v_fmac_f32_e32 v61, v5, v1
	v_lshlrev_b32_e32 v1, 16, v6
	v_and_b32_e32 v5, 0xffff0000, v6
	buffer_load_dword v6, off, s[40:43], 0 offset:300 ; 4-byte Folded Reload
	s_waitcnt vmcnt(0)
	v_fmac_f32_e32 v61, v6, v5
	buffer_load_dword v5, off, s[40:43], 0 offset:304 ; 4-byte Folded Reload
	v_lshlrev_b32_e32 v6, 16, v31
	v_mul_f32_e32 v64, v9, v6
	buffer_load_dword v6, off, s[40:43], 0 offset:176 ; 4-byte Folded Reload
	s_waitcnt vmcnt(1)
	v_fmac_f32_e32 v62, v5, v1
	buffer_load_dword v5, off, s[40:43], 0 offset:336 ; 4-byte Folded Reload
	v_and_b32_e32 v1, 0xffff0000, v2
	v_lshlrev_b32_e32 v2, 16, v2
	s_waitcnt vmcnt(0)
	v_fmac_f32_e32 v62, v5, v2
	buffer_load_dword v2, off, s[40:43], 0 offset:332 ; 4-byte Folded Reload
	v_and_b32_e32 v5, 0xffff0000, v31
	v_mul_f32_e32 v63, v6, v5
	s_clause 0x1
	buffer_load_dword v5, off, s[40:43], 0 offset:160
	buffer_load_dword v6, off, s[40:43], 0 offset:188
	s_waitcnt vmcnt(2)
	v_fmac_f32_e32 v61, v2, v1
	v_and_b32_e32 v2, 0xffff0000, v35
	v_lshlrev_b32_e32 v1, 16, v35
	s_waitcnt vmcnt(1)
	v_fmac_f32_e32 v63, v5, v2
	s_clause 0x1
	buffer_load_dword v2, off, s[40:43], 0 offset:164
	buffer_load_dword v5, off, s[40:43], 0 offset:196
	s_waitcnt vmcnt(1)
	v_fmac_f32_e32 v64, v2, v1
	v_lshlrev_b32_e32 v2, 16, v27
	v_and_b32_e32 v1, 0xffff0000, v27
	s_waitcnt vmcnt(0)
	v_fmac_f32_e32 v64, v5, v2
	s_clause 0x1
	buffer_load_dword v2, off, s[40:43], 0 offset:192
	buffer_load_dword v5, off, s[40:43], 0 offset:208
	s_waitcnt vmcnt(1)
	v_fmac_f32_e32 v63, v2, v1
	v_and_b32_e32 v2, 0xffff0000, v23
	v_lshlrev_b32_e32 v1, 16, v23
	s_waitcnt vmcnt(0)
	v_fmac_f32_e32 v63, v5, v2
	s_clause 0x1
	buffer_load_dword v2, off, s[40:43], 0 offset:212
	buffer_load_dword v5, off, s[40:43], 0 offset:232
	s_waitcnt vmcnt(1)
	v_fmac_f32_e32 v64, v2, v1
	v_lshlrev_b32_e32 v2, 16, v19
	v_and_b32_e32 v1, 0xffff0000, v19
	s_waitcnt vmcnt(0)
	v_fmac_f32_e32 v64, v5, v2
	;; [unrolled: 18-line block ×3, first 2 shown]
	s_clause 0x1
	buffer_load_dword v2, off, s[40:43], 0 offset:276
	buffer_load_dword v5, off, s[40:43], 0 offset:308
	s_waitcnt vmcnt(1)
	v_fmac_f32_e32 v63, v2, v1
	v_and_b32_e32 v2, 0xffff0000, v7
	v_lshlrev_b32_e32 v1, 16, v7
	s_waitcnt vmcnt(0)
	v_fmac_f32_e32 v63, v5, v2
	buffer_load_dword v2, off, s[40:43], 0 offset:312 ; 4-byte Folded Reload
	v_lshlrev_b32_e32 v5, 16, v32
	v_mul_f32_e32 v66, v6, v5
	buffer_load_dword v5, off, s[40:43], 0 offset:184 ; 4-byte Folded Reload
	s_waitcnt vmcnt(1)
	v_fmac_f32_e32 v64, v2, v1
	v_and_b32_e32 v1, 0xffff0000, v3
	v_lshlrev_b32_e32 v2, 16, v3
	buffer_load_dword v3, off, s[40:43], 0 offset:344 ; 4-byte Folded Reload
	s_waitcnt vmcnt(0)
	v_fmac_f32_e32 v64, v3, v2
	buffer_load_dword v2, off, s[40:43], 0 offset:340 ; 4-byte Folded Reload
	v_and_b32_e32 v3, 0xffff0000, v32
	v_mul_f32_e32 v65, v5, v3
	buffer_load_dword v3, off, s[40:43], 0 offset:168 ; 4-byte Folded Reload
	s_waitcnt vmcnt(1)
	v_fmac_f32_e32 v63, v2, v1
	v_and_b32_e32 v2, 0xffff0000, v36
	v_lshlrev_b32_e32 v1, 16, v36
	global_load_dwordx4 v[33:36], v[37:38], off offset:1536
	s_waitcnt vmcnt(1)
	v_fmac_f32_e32 v65, v3, v2
	s_clause 0x1
	buffer_load_dword v2, off, s[40:43], 0 offset:172
	buffer_load_dword v3, off, s[40:43], 0 offset:204
	s_waitcnt vmcnt(1)
	v_fmac_f32_e32 v66, v2, v1
	v_lshlrev_b32_e32 v2, 16, v28
	v_and_b32_e32 v1, 0xffff0000, v28
	s_waitcnt vmcnt(0)
	v_fmac_f32_e32 v66, v3, v2
	s_clause 0x1
	buffer_load_dword v2, off, s[40:43], 0 offset:200
	buffer_load_dword v3, off, s[40:43], 0 offset:216
	s_waitcnt vmcnt(1)
	v_fmac_f32_e32 v65, v2, v1
	v_and_b32_e32 v2, 0xffff0000, v24
	v_lshlrev_b32_e32 v1, 16, v24
	s_waitcnt vmcnt(0)
	v_fmac_f32_e32 v65, v3, v2
	s_clause 0x1
	buffer_load_dword v2, off, s[40:43], 0 offset:220
	buffer_load_dword v3, off, s[40:43], 0 offset:240
	s_waitcnt vmcnt(1)
	v_fmac_f32_e32 v66, v2, v1
	v_lshlrev_b32_e32 v2, 16, v20
	v_and_b32_e32 v1, 0xffff0000, v20
	s_waitcnt vmcnt(0)
	v_fmac_f32_e32 v66, v3, v2
	s_clause 0x1
	buffer_load_dword v2, off, s[40:43], 0 offset:236
	buffer_load_dword v3, off, s[40:43], 0 offset:252
	s_waitcnt vmcnt(1)
	v_fmac_f32_e32 v65, v2, v1
	v_and_b32_e32 v2, 0xffff0000, v16
	v_lshlrev_b32_e32 v1, 16, v16
	;; [unrolled: 18-line block ×3, first 2 shown]
	s_waitcnt vmcnt(0)
	v_fmac_f32_e32 v65, v3, v2
	s_clause 0x1
	buffer_load_dword v2, off, s[40:43], 0 offset:320
	buffer_load_dword v3, off, s[40:43], 0 offset:352
	s_waitcnt vmcnt(1)
	v_fmac_f32_e32 v66, v2, v1
	v_lshlrev_b32_e32 v2, 16, v4
	v_and_b32_e32 v1, 0xffff0000, v4
	s_waitcnt vmcnt(0)
	v_fmac_f32_e32 v66, v3, v2
	buffer_load_dword v2, off, s[40:43], 0 offset:348 ; 4-byte Folded Reload
	s_waitcnt vmcnt(0)
	v_fmac_f32_e32 v65, v2, v1
	global_load_dwordx4 v[1:4], v[37:38], off offset:512
	s_waitcnt vmcnt(0)
	v_lshlrev_b32_e32 v73, 16, v1
	v_and_b32_e32 v74, 0xffff0000, v1
	v_lshlrev_b32_e32 v75, 16, v2
	v_and_b32_e32 v76, 0xffff0000, v2
	v_lshlrev_b32_e32 v69, 16, v3
	v_and_b32_e32 v70, 0xffff0000, v3
	v_lshlrev_b32_e32 v39, 16, v4
	v_and_b32_e32 v40, 0xffff0000, v4
	global_load_dwordx4 v[1:4], v[37:38], off offset:1024
	s_waitcnt vmcnt(0)
	v_and_b32_e32 v77, 0xffff0000, v1
	v_lshlrev_b32_e32 v78, 16, v1
	v_add_co_u32 v1, s3, 0x1800, v43
	v_and_b32_e32 v79, 0xffff0000, v2
	v_lshlrev_b32_e32 v80, 16, v2
	v_and_b32_e32 v71, 0xffff0000, v3
	v_lshlrev_b32_e32 v72, 16, v3
	v_add_co_ci_u32_e64 v2, null, 0, v44, s3
	v_add_co_u32 v3, s3, v43, 0x2000
	v_and_b32_e32 v67, 0xffff0000, v4
	v_lshlrev_b32_e32 v68, 16, v4
	v_add_co_ci_u32_e64 v4, null, 0, v44, s3
	s_clause 0x3
	global_load_dwordx4 v[29:32], v[3:4], off offset:-2048
	global_load_dwordx4 v[25:28], v[1:2], off offset:512
	global_load_dwordx4 v[21:24], v[1:2], off offset:1024
	global_load_dwordx4 v[17:20], v[1:2], off offset:1536
	v_add_co_u32 v1, s3, 0x2000, v43
	v_add_co_ci_u32_e64 v2, null, 0, v44, s3
	s_clause 0x3
	global_load_dwordx4 v[13:16], v[3:4], off
	global_load_dwordx4 v[9:12], v[1:2], off offset:512
	global_load_dwordx4 v[5:8], v[1:2], off offset:1024
	global_load_dwordx4 v[1:4], v[1:2], off offset:1536
	s_clause 0x1
	buffer_load_dword v37, off, s[40:43], 0 offset:356
	buffer_load_dword v38, off, s[40:43], 0 offset:420
	s_waitcnt vmcnt(1)
	v_fmac_f32_e32 v60, v37, v74
	buffer_load_dword v37, off, s[40:43], 0 offset:360 ; 4-byte Folded Reload
	s_waitcnt vmcnt(0)
	v_fmac_f32_e32 v59, v37, v73
	buffer_load_dword v37, off, s[40:43], 0 offset:392 ; 4-byte Folded Reload
	;; [unrolled: 3-line block ×3, first 2 shown]
	s_waitcnt vmcnt(0)
	v_fmac_f32_e32 v60, v37, v77
	v_lshlrev_b32_e32 v37, 16, v33
	v_and_b32_e32 v33, 0xffff0000, v33
	v_fmac_f32_e32 v60, v38, v33
	buffer_load_dword v33, off, s[40:43], 0 offset:424 ; 4-byte Folded Reload
	s_waitcnt vmcnt(0)
	v_fmac_f32_e32 v59, v33, v37
	buffer_load_dword v37, off, s[40:43], 0 offset:456 ; 4-byte Folded Reload
	v_and_b32_e32 v33, 0xffff0000, v29
	v_lshlrev_b32_e32 v29, 16, v29
	s_waitcnt vmcnt(0)
	v_fmac_f32_e32 v59, v37, v29
	buffer_load_dword v29, off, s[40:43], 0 offset:452 ; 4-byte Folded Reload
	s_waitcnt vmcnt(0)
	v_fmac_f32_e32 v60, v29, v33
	buffer_load_dword v33, off, s[40:43], 0 offset:484 ; 4-byte Folded Reload
	v_lshlrev_b32_e32 v29, 16, v25
	v_and_b32_e32 v25, 0xffff0000, v25
	s_waitcnt vmcnt(0)
	v_fmac_f32_e32 v60, v33, v25
	buffer_load_dword v25, off, s[40:43], 0 offset:488 ; 4-byte Folded Reload
	s_waitcnt vmcnt(0)
	v_fmac_f32_e32 v59, v25, v29
	buffer_load_dword v29, off, s[40:43], 0 offset:520 ; 4-byte Folded Reload
	v_and_b32_e32 v25, 0xffff0000, v21
	v_lshlrev_b32_e32 v21, 16, v21
	s_waitcnt vmcnt(0)
	v_fmac_f32_e32 v59, v29, v21
	buffer_load_dword v21, off, s[40:43], 0 offset:516 ; 4-byte Folded Reload
	s_waitcnt vmcnt(0)
	v_fmac_f32_e32 v60, v21, v25
	buffer_load_dword v25, off, s[40:43], 0 offset:548 ; 4-byte Folded Reload
	v_lshlrev_b32_e32 v21, 16, v17
	v_and_b32_e32 v17, 0xffff0000, v17
	s_waitcnt vmcnt(0)
	;; [unrolled: 16-line block ×4, first 2 shown]
	v_fmac_f32_e32 v60, v9, v1
	s_clause 0x1
	buffer_load_dword v1, off, s[40:43], 0 offset:680
	buffer_load_dword v9, off, s[40:43], 0 offset:428
	s_waitcnt vmcnt(1)
	v_fmac_f32_e32 v59, v1, v5
	buffer_load_dword v1, off, s[40:43], 0 offset:364 ; 4-byte Folded Reload
	v_and_b32_e32 v5, 0xffff0000, v34
	s_waitcnt vmcnt(0)
	v_fmac_f32_e32 v61, v1, v76
	buffer_load_dword v1, off, s[40:43], 0 offset:368 ; 4-byte Folded Reload
	s_waitcnt vmcnt(0)
	v_fmac_f32_e32 v62, v1, v75
	buffer_load_dword v1, off, s[40:43], 0 offset:400 ; 4-byte Folded Reload
	;; [unrolled: 3-line block ×3, first 2 shown]
	s_waitcnt vmcnt(0)
	v_fmac_f32_e32 v61, v1, v79
	v_lshlrev_b32_e32 v1, 16, v34
	v_fmac_f32_e32 v61, v9, v5
	s_clause 0x1
	buffer_load_dword v5, off, s[40:43], 0 offset:432
	buffer_load_dword v9, off, s[40:43], 0 offset:464
	s_waitcnt vmcnt(1)
	v_fmac_f32_e32 v62, v5, v1
	v_lshlrev_b32_e32 v5, 16, v30
	v_and_b32_e32 v1, 0xffff0000, v30
	s_waitcnt vmcnt(0)
	v_fmac_f32_e32 v62, v9, v5
	s_clause 0x1
	buffer_load_dword v5, off, s[40:43], 0 offset:460
	buffer_load_dword v9, off, s[40:43], 0 offset:492
	s_waitcnt vmcnt(1)
	v_fmac_f32_e32 v61, v5, v1
	v_and_b32_e32 v5, 0xffff0000, v26
	v_lshlrev_b32_e32 v1, 16, v26
	s_waitcnt vmcnt(0)
	v_fmac_f32_e32 v61, v9, v5
	s_clause 0x1
	buffer_load_dword v5, off, s[40:43], 0 offset:496
	buffer_load_dword v9, off, s[40:43], 0 offset:528
	s_waitcnt vmcnt(1)
	v_fmac_f32_e32 v62, v5, v1
	v_lshlrev_b32_e32 v5, 16, v22
	v_and_b32_e32 v1, 0xffff0000, v22
	s_waitcnt vmcnt(0)
	v_fmac_f32_e32 v62, v9, v5
	s_clause 0x1
	buffer_load_dword v5, off, s[40:43], 0 offset:524
	buffer_load_dword v9, off, s[40:43], 0 offset:556
	s_waitcnt vmcnt(1)
	v_fmac_f32_e32 v61, v5, v1
	v_and_b32_e32 v5, 0xffff0000, v18
	v_lshlrev_b32_e32 v1, 16, v18
	s_waitcnt vmcnt(0)
	;; [unrolled: 18-line block ×3, first 2 shown]
	v_fmac_f32_e32 v61, v9, v5
	buffer_load_dword v5, off, s[40:43], 0 offset:624 ; 4-byte Folded Reload
	s_waitcnt vmcnt(0)
	v_fmac_f32_e32 v62, v5, v1
	v_and_b32_e32 v1, 0xffff0000, v6
	v_lshlrev_b32_e32 v5, 16, v6
	buffer_load_dword v6, off, s[40:43], 0 offset:656 ; 4-byte Folded Reload
	s_waitcnt vmcnt(0)
	v_fmac_f32_e32 v62, v6, v5
	buffer_load_dword v5, off, s[40:43], 0 offset:652 ; 4-byte Folded Reload
	s_waitcnt vmcnt(0)
	v_fmac_f32_e32 v61, v5, v1
	buffer_load_dword v5, off, s[40:43], 0 offset:684 ; 4-byte Folded Reload
	v_lshlrev_b32_e32 v1, 16, v2
	v_and_b32_e32 v2, 0xffff0000, v2
	s_waitcnt vmcnt(0)
	v_fmac_f32_e32 v61, v5, v2
	s_clause 0x1
	buffer_load_dword v2, off, s[40:43], 0 offset:688
	buffer_load_dword v5, off, s[40:43], 0 offset:436
	s_waitcnt vmcnt(1)
	v_fmac_f32_e32 v62, v2, v1
	buffer_load_dword v1, off, s[40:43], 0 offset:372 ; 4-byte Folded Reload
	v_and_b32_e32 v2, 0xffff0000, v35
	s_waitcnt vmcnt(0)
	v_fmac_f32_e32 v63, v1, v70
	buffer_load_dword v1, off, s[40:43], 0 offset:376 ; 4-byte Folded Reload
	s_waitcnt vmcnt(0)
	v_fmac_f32_e32 v64, v1, v69
	buffer_load_dword v1, off, s[40:43], 0 offset:408 ; 4-byte Folded Reload
	;; [unrolled: 3-line block ×3, first 2 shown]
	s_waitcnt vmcnt(0)
	v_fmac_f32_e32 v63, v1, v71
	v_lshlrev_b32_e32 v1, 16, v35
	v_fmac_f32_e32 v63, v5, v2
	s_clause 0x1
	buffer_load_dword v2, off, s[40:43], 0 offset:440
	buffer_load_dword v5, off, s[40:43], 0 offset:472
	s_waitcnt vmcnt(1)
	v_fmac_f32_e32 v64, v2, v1
	v_lshlrev_b32_e32 v2, 16, v31
	v_and_b32_e32 v1, 0xffff0000, v31
	s_waitcnt vmcnt(0)
	v_fmac_f32_e32 v64, v5, v2
	s_clause 0x1
	buffer_load_dword v2, off, s[40:43], 0 offset:468
	buffer_load_dword v5, off, s[40:43], 0 offset:500
	s_waitcnt vmcnt(1)
	v_fmac_f32_e32 v63, v2, v1
	v_and_b32_e32 v2, 0xffff0000, v27
	v_lshlrev_b32_e32 v1, 16, v27
	s_waitcnt vmcnt(0)
	v_fmac_f32_e32 v63, v5, v2
	s_clause 0x1
	buffer_load_dword v2, off, s[40:43], 0 offset:504
	buffer_load_dword v5, off, s[40:43], 0 offset:536
	s_waitcnt vmcnt(1)
	v_fmac_f32_e32 v64, v2, v1
	v_lshlrev_b32_e32 v2, 16, v23
	v_and_b32_e32 v1, 0xffff0000, v23
	s_waitcnt vmcnt(0)
	v_fmac_f32_e32 v64, v5, v2
	s_clause 0x1
	buffer_load_dword v2, off, s[40:43], 0 offset:532
	buffer_load_dword v5, off, s[40:43], 0 offset:564
	s_waitcnt vmcnt(1)
	v_fmac_f32_e32 v63, v2, v1
	v_and_b32_e32 v2, 0xffff0000, v19
	v_lshlrev_b32_e32 v1, 16, v19
	s_waitcnt vmcnt(0)
	;; [unrolled: 18-line block ×3, first 2 shown]
	v_fmac_f32_e32 v63, v5, v2
	s_clause 0x1
	buffer_load_dword v2, off, s[40:43], 0 offset:632
	buffer_load_dword v5, off, s[40:43], 0 offset:664
	s_waitcnt vmcnt(1)
	v_fmac_f32_e32 v64, v2, v1
	v_lshlrev_b32_e32 v2, 16, v7
	v_and_b32_e32 v1, 0xffff0000, v7
	s_waitcnt vmcnt(0)
	v_fmac_f32_e32 v64, v5, v2
	buffer_load_dword v2, off, s[40:43], 0 offset:660 ; 4-byte Folded Reload
	v_add_co_u32 v5, s3, 0x2800, v43
	v_add_co_ci_u32_e64 v6, null, 0, v44, s3
	v_add_co_u32 v7, s3, v43, 0x3000
	s_waitcnt vmcnt(0)
	v_fmac_f32_e32 v63, v2, v1
	v_lshlrev_b32_e32 v1, 16, v3
	v_and_b32_e32 v2, 0xffff0000, v3
	buffer_load_dword v3, off, s[40:43], 0 offset:692 ; 4-byte Folded Reload
	s_waitcnt vmcnt(0)
	v_fmac_f32_e32 v63, v3, v2
	s_clause 0x1
	buffer_load_dword v2, off, s[40:43], 0 offset:696
	buffer_load_dword v3, off, s[40:43], 0 offset:444
	s_waitcnt vmcnt(1)
	v_fmac_f32_e32 v64, v2, v1
	buffer_load_dword v1, off, s[40:43], 0 offset:380 ; 4-byte Folded Reload
	v_and_b32_e32 v2, 0xffff0000, v36
	s_waitcnt vmcnt(0)
	v_fmac_f32_e32 v65, v1, v40
	buffer_load_dword v1, off, s[40:43], 0 offset:384 ; 4-byte Folded Reload
	s_waitcnt vmcnt(0)
	v_fmac_f32_e32 v66, v1, v39
	buffer_load_dword v1, off, s[40:43], 0 offset:416 ; 4-byte Folded Reload
	;; [unrolled: 3-line block ×3, first 2 shown]
	s_waitcnt vmcnt(0)
	v_fmac_f32_e32 v65, v1, v67
	v_lshlrev_b32_e32 v1, 16, v36
	v_fmac_f32_e32 v65, v3, v2
	s_clause 0x1
	buffer_load_dword v2, off, s[40:43], 0 offset:448
	buffer_load_dword v3, off, s[40:43], 0 offset:480
	s_waitcnt vmcnt(1)
	v_fmac_f32_e32 v66, v2, v1
	v_lshlrev_b32_e32 v2, 16, v32
	v_and_b32_e32 v1, 0xffff0000, v32
	s_waitcnt vmcnt(0)
	v_fmac_f32_e32 v66, v3, v2
	s_clause 0x1
	buffer_load_dword v2, off, s[40:43], 0 offset:476
	buffer_load_dword v3, off, s[40:43], 0 offset:508
	s_waitcnt vmcnt(1)
	v_fmac_f32_e32 v65, v2, v1
	v_and_b32_e32 v2, 0xffff0000, v28
	v_lshlrev_b32_e32 v1, 16, v28
	s_waitcnt vmcnt(0)
	v_fmac_f32_e32 v65, v3, v2
	s_clause 0x1
	buffer_load_dword v2, off, s[40:43], 0 offset:512
	buffer_load_dword v3, off, s[40:43], 0 offset:544
	s_waitcnt vmcnt(1)
	v_fmac_f32_e32 v66, v2, v1
	v_lshlrev_b32_e32 v2, 16, v24
	v_and_b32_e32 v1, 0xffff0000, v24
	s_waitcnt vmcnt(0)
	v_fmac_f32_e32 v66, v3, v2
	s_clause 0x1
	buffer_load_dword v2, off, s[40:43], 0 offset:540
	buffer_load_dword v3, off, s[40:43], 0 offset:572
	s_waitcnt vmcnt(1)
	v_fmac_f32_e32 v65, v2, v1
	v_and_b32_e32 v2, 0xffff0000, v20
	v_lshlrev_b32_e32 v1, 16, v20
	s_waitcnt vmcnt(0)
	;; [unrolled: 18-line block ×3, first 2 shown]
	v_fmac_f32_e32 v65, v3, v2
	s_clause 0x1
	buffer_load_dword v2, off, s[40:43], 0 offset:640
	buffer_load_dword v3, off, s[40:43], 0 offset:672
	s_waitcnt vmcnt(1)
	v_fmac_f32_e32 v66, v2, v1
	v_lshlrev_b32_e32 v2, 16, v8
	v_and_b32_e32 v1, 0xffff0000, v8
	v_add_co_ci_u32_e64 v8, null, 0, v44, s3
	s_waitcnt vmcnt(0)
	v_fmac_f32_e32 v66, v3, v2
	s_clause 0x1
	buffer_load_dword v2, off, s[40:43], 0 offset:668
	buffer_load_dword v3, off, s[40:43], 0 offset:700
	s_waitcnt vmcnt(1)
	v_fmac_f32_e32 v65, v2, v1
	v_and_b32_e32 v2, 0xffff0000, v4
	v_lshlrev_b32_e32 v1, 16, v4
	s_waitcnt vmcnt(0)
	v_fmac_f32_e32 v65, v3, v2
	buffer_load_dword v2, off, s[40:43], 0 offset:704 ; 4-byte Folded Reload
	s_waitcnt vmcnt(0)
	v_fmac_f32_e32 v66, v2, v1
	global_load_dwordx4 v[1:4], v[7:8], off offset:-2048
	s_waitcnt vmcnt(0)
	v_and_b32_e32 v77, 0xffff0000, v1
	v_lshlrev_b32_e32 v78, 16, v1
	v_and_b32_e32 v75, 0xffff0000, v2
	v_lshlrev_b32_e32 v76, 16, v2
	;; [unrolled: 2-line block ×4, first 2 shown]
	s_clause 0x2
	global_load_dwordx4 v[1:4], v[5:6], off offset:512
	global_load_dwordx4 v[37:40], v[5:6], off offset:1024
	;; [unrolled: 1-line block ×3, first 2 shown]
	s_waitcnt vmcnt(2)
	v_lshlrev_b32_e32 v79, 16, v1
	v_and_b32_e32 v80, 0xffff0000, v1
	v_add_co_u32 v1, s3, 0x3000, v43
	v_lshlrev_b32_e32 v81, 16, v2
	v_and_b32_e32 v82, 0xffff0000, v2
	v_add_co_ci_u32_e64 v2, null, 0, v44, s3
	s_clause 0x3
	global_load_dwordx4 v[33:36], v[7:8], off
	global_load_dwordx4 v[25:28], v[1:2], off offset:512
	global_load_dwordx4 v[21:24], v[1:2], off offset:1024
	;; [unrolled: 1-line block ×3, first 2 shown]
	v_add_co_u32 v1, s3, 0x3800, v43
	v_add_co_ci_u32_e64 v2, null, 0, v44, s3
	v_lshlrev_b32_e32 v73, 16, v3
	v_and_b32_e32 v74, 0xffff0000, v3
	v_lshlrev_b32_e32 v69, 16, v4
	v_and_b32_e32 v70, 0xffff0000, v4
	s_clause 0x3
	global_load_dwordx4 v[13:16], v[1:2], off
	global_load_dwordx4 v[9:12], v[1:2], off offset:512
	global_load_dwordx4 v[5:8], v[1:2], off offset:1024
	;; [unrolled: 1-line block ×3, first 2 shown]
	s_clause 0x1
	buffer_load_dword v43, off, s[40:43], 0 offset:712
	buffer_load_dword v44, off, s[40:43], 0 offset:776
	s_waitcnt vmcnt(1)
	v_fmac_f32_e32 v59, v43, v78
	buffer_load_dword v43, off, s[40:43], 0 offset:708 ; 4-byte Folded Reload
	s_waitcnt vmcnt(0)
	v_fmac_f32_e32 v60, v43, v77
	buffer_load_dword v43, off, s[40:43], 0 offset:740 ; 4-byte Folded Reload
	;; [unrolled: 3-line block ×3, first 2 shown]
	s_waitcnt vmcnt(0)
	v_fmac_f32_e32 v59, v43, v79
	v_and_b32_e32 v43, 0xffff0000, v37
	v_lshlrev_b32_e32 v37, 16, v37
	v_fmac_f32_e32 v59, v44, v37
	buffer_load_dword v37, off, s[40:43], 0 offset:772 ; 4-byte Folded Reload
	s_waitcnt vmcnt(0)
	v_fmac_f32_e32 v60, v37, v43
	buffer_load_dword v43, off, s[40:43], 0 offset:804 ; 4-byte Folded Reload
	v_lshlrev_b32_e32 v37, 16, v29
	v_and_b32_e32 v29, 0xffff0000, v29
	s_waitcnt vmcnt(0)
	v_fmac_f32_e32 v60, v43, v29
	buffer_load_dword v29, off, s[40:43], 0 offset:808 ; 4-byte Folded Reload
	s_waitcnt vmcnt(0)
	v_fmac_f32_e32 v59, v29, v37
	buffer_load_dword v37, off, s[40:43], 0 offset:840 ; 4-byte Folded Reload
	v_and_b32_e32 v29, 0xffff0000, v33
	v_lshlrev_b32_e32 v33, 16, v33
	s_waitcnt vmcnt(0)
	v_fmac_f32_e32 v59, v37, v33
	buffer_load_dword v33, off, s[40:43], 0 offset:836 ; 4-byte Folded Reload
	s_waitcnt vmcnt(0)
	v_fmac_f32_e32 v60, v33, v29
	buffer_load_dword v33, off, s[40:43], 0 offset:868 ; 4-byte Folded Reload
	v_lshlrev_b32_e32 v29, 16, v25
	v_and_b32_e32 v25, 0xffff0000, v25
	s_waitcnt vmcnt(0)
	v_fmac_f32_e32 v60, v25, v33
	buffer_load_dword v25, off, s[40:43], 0 offset:872 ; 4-byte Folded Reload
	s_waitcnt vmcnt(0)
	v_fmac_f32_e32 v59, v29, v25
	v_and_b32_e32 v25, 0xffff0000, v21
	v_lshlrev_b32_e32 v21, 16, v21
	v_fmac_f32_e32 v60, v25, v86
	v_fmac_f32_e32 v59, v21, v87
	v_lshlrev_b32_e32 v21, 16, v17
	v_and_b32_e32 v17, 0xffff0000, v17
	v_fmac_f32_e32 v59, v21, v95
	v_fmac_f32_e32 v60, v17, v94
	v_and_b32_e32 v17, 0xffff0000, v13
	v_lshlrev_b32_e32 v13, 16, v13
	v_fmac_f32_e32 v60, v17, v102
	v_fmac_f32_e32 v59, v13, v103
	v_lshlrev_b32_e32 v13, 16, v9
	v_and_b32_e32 v9, 0xffff0000, v9
	v_fmac_f32_e32 v59, v13, v111
	v_fmac_f32_e32 v60, v9, v110
	v_and_b32_e32 v9, 0xffff0000, v5
	v_lshlrev_b32_e32 v5, 16, v5
	v_fmac_f32_e32 v60, v9, v118
	v_fmac_f32_e32 v59, v5, v119
	v_lshlrev_b32_e32 v5, 16, v1
	v_and_b32_e32 v1, 0xffff0000, v1
	buffer_load_dword v9, off, s[40:43], 0 offset:784 ; 4-byte Folded Reload
	v_fmac_f32_e32 v59, v5, v127
	v_fmac_f32_e32 v60, v1, v126
	buffer_load_dword v1, off, s[40:43], 0 offset:720 ; 4-byte Folded Reload
	v_lshlrev_b32_e32 v5, 16, v38
	s_waitcnt vmcnt(0)
	v_fmac_f32_e32 v62, v1, v76
	buffer_load_dword v1, off, s[40:43], 0 offset:716 ; 4-byte Folded Reload
	s_waitcnt vmcnt(0)
	v_fmac_f32_e32 v61, v1, v75
	buffer_load_dword v1, off, s[40:43], 0 offset:748 ; 4-byte Folded Reload
	;; [unrolled: 3-line block ×3, first 2 shown]
	s_waitcnt vmcnt(0)
	v_fmac_f32_e32 v62, v1, v81
	v_and_b32_e32 v1, 0xffff0000, v38
	v_fmac_f32_e32 v62, v9, v5
	s_clause 0x1
	buffer_load_dword v5, off, s[40:43], 0 offset:780
	buffer_load_dword v9, off, s[40:43], 0 offset:812
	s_waitcnt vmcnt(1)
	v_fmac_f32_e32 v61, v5, v1
	v_and_b32_e32 v5, 0xffff0000, v30
	v_lshlrev_b32_e32 v1, 16, v30
	s_waitcnt vmcnt(0)
	v_fmac_f32_e32 v61, v9, v5
	s_clause 0x1
	buffer_load_dword v5, off, s[40:43], 0 offset:816
	buffer_load_dword v9, off, s[40:43], 0 offset:848
	s_waitcnt vmcnt(1)
	v_fmac_f32_e32 v62, v5, v1
	v_lshlrev_b32_e32 v5, 16, v34
	v_and_b32_e32 v1, 0xffff0000, v34
	s_waitcnt vmcnt(0)
	v_fmac_f32_e32 v62, v9, v5
	s_clause 0x1
	buffer_load_dword v5, off, s[40:43], 0 offset:844
	buffer_load_dword v9, off, s[40:43], 0 offset:876
	s_waitcnt vmcnt(1)
	v_fmac_f32_e32 v61, v5, v1
	v_and_b32_e32 v5, 0xffff0000, v26
	v_lshlrev_b32_e32 v1, 16, v26
	s_waitcnt vmcnt(0)
	v_fmac_f32_e32 v61, v5, v9
	buffer_load_dword v5, off, s[40:43], 0 offset:880 ; 4-byte Folded Reload
	s_waitcnt vmcnt(0)
	v_fmac_f32_e32 v62, v1, v5
	v_and_b32_e32 v1, 0xffff0000, v22
	v_lshlrev_b32_e32 v5, 16, v22
	v_fmac_f32_e32 v61, v1, v88
	v_fmac_f32_e32 v62, v5, v89
	v_lshlrev_b32_e32 v1, 16, v18
	v_and_b32_e32 v5, 0xffff0000, v18
	v_fmac_f32_e32 v62, v1, v97
	v_fmac_f32_e32 v61, v5, v96
	v_and_b32_e32 v1, 0xffff0000, v14
	v_lshlrev_b32_e32 v5, 16, v14
	v_fmac_f32_e32 v61, v1, v104
	v_fmac_f32_e32 v62, v5, v105
	v_lshlrev_b32_e32 v1, 16, v10
	v_and_b32_e32 v5, 0xffff0000, v10
	v_fmac_f32_e32 v62, v1, v113
	v_fmac_f32_e32 v61, v5, v112
	v_and_b32_e32 v1, 0xffff0000, v6
	v_lshlrev_b32_e32 v5, 16, v6
	v_fmac_f32_e32 v61, v1, v120
	v_fmac_f32_e32 v62, v5, v121
	v_lshlrev_b32_e32 v1, 16, v2
	v_and_b32_e32 v2, 0xffff0000, v2
	buffer_load_dword v5, off, s[40:43], 0 offset:792 ; 4-byte Folded Reload
	v_fmac_f32_e32 v62, v1, v0
	buffer_load_dword v1, off, s[40:43], 0 offset:728 ; 4-byte Folded Reload
	v_fmac_f32_e32 v61, v2, v45
	v_lshlrev_b32_e32 v2, 16, v39
	s_waitcnt vmcnt(0)
	v_fmac_f32_e32 v64, v1, v72
	buffer_load_dword v1, off, s[40:43], 0 offset:724 ; 4-byte Folded Reload
	s_waitcnt vmcnt(0)
	v_fmac_f32_e32 v63, v1, v71
	buffer_load_dword v1, off, s[40:43], 0 offset:756 ; 4-byte Folded Reload
	;; [unrolled: 3-line block ×3, first 2 shown]
	s_waitcnt vmcnt(0)
	v_fmac_f32_e32 v64, v1, v73
	v_and_b32_e32 v1, 0xffff0000, v39
	v_fmac_f32_e32 v64, v5, v2
	s_clause 0x1
	buffer_load_dword v2, off, s[40:43], 0 offset:788
	buffer_load_dword v5, off, s[40:43], 0 offset:820
	s_waitcnt vmcnt(1)
	v_fmac_f32_e32 v63, v2, v1
	v_and_b32_e32 v2, 0xffff0000, v31
	v_lshlrev_b32_e32 v1, 16, v31
	s_waitcnt vmcnt(0)
	v_fmac_f32_e32 v63, v5, v2
	s_clause 0x1
	buffer_load_dword v2, off, s[40:43], 0 offset:824
	buffer_load_dword v5, off, s[40:43], 0 offset:856
	s_waitcnt vmcnt(1)
	v_fmac_f32_e32 v64, v2, v1
	v_lshlrev_b32_e32 v2, 16, v35
	v_and_b32_e32 v1, 0xffff0000, v35
	s_waitcnt vmcnt(0)
	v_fmac_f32_e32 v64, v5, v2
	s_clause 0x1
	buffer_load_dword v2, off, s[40:43], 0 offset:852
	buffer_load_dword v5, off, s[40:43], 0 offset:884
	s_waitcnt vmcnt(1)
	v_fmac_f32_e32 v63, v2, v1
	v_lshlrev_b32_e32 v1, 16, v27
	v_and_b32_e32 v2, 0xffff0000, v27
	v_fmac_f32_e32 v64, v1, v83
	s_waitcnt vmcnt(0)
	v_fmac_f32_e32 v63, v2, v5
	v_and_b32_e32 v1, 0xffff0000, v23
	v_lshlrev_b32_e32 v2, 16, v23
	v_fmac_f32_e32 v63, v1, v90
	v_fmac_f32_e32 v64, v2, v91
	v_lshlrev_b32_e32 v1, 16, v19
	v_and_b32_e32 v2, 0xffff0000, v19
	v_fmac_f32_e32 v64, v1, v99
	v_fmac_f32_e32 v63, v2, v98
	v_and_b32_e32 v1, 0xffff0000, v15
	v_lshlrev_b32_e32 v2, 16, v15
	v_fmac_f32_e32 v63, v1, v106
	v_fmac_f32_e32 v64, v2, v107
	v_lshlrev_b32_e32 v1, 16, v11
	v_and_b32_e32 v2, 0xffff0000, v11
	v_fmac_f32_e32 v64, v1, v115
	v_fmac_f32_e32 v63, v2, v114
	v_and_b32_e32 v1, 0xffff0000, v7
	v_lshlrev_b32_e32 v2, 16, v7
	v_fmac_f32_e32 v63, v1, v122
	v_fmac_f32_e32 v64, v2, v123
	v_lshlrev_b32_e32 v1, 16, v3
	v_and_b32_e32 v2, 0xffff0000, v3
	buffer_load_dword v3, off, s[40:43], 0 offset:800 ; 4-byte Folded Reload
	v_fmac_f32_e32 v64, v1, v48
	buffer_load_dword v1, off, s[40:43], 0 offset:736 ; 4-byte Folded Reload
	v_fmac_f32_e32 v63, v2, v47
	v_lshlrev_b32_e32 v2, 16, v40
	s_waitcnt vmcnt(0)
	v_fmac_f32_e32 v66, v1, v68
	buffer_load_dword v1, off, s[40:43], 0 offset:732 ; 4-byte Folded Reload
	s_waitcnt vmcnt(0)
	v_fmac_f32_e32 v65, v1, v67
	buffer_load_dword v1, off, s[40:43], 0 offset:764 ; 4-byte Folded Reload
	s_waitcnt vmcnt(0)
	v_fmac_f32_e32 v65, v1, v70
	buffer_load_dword v1, off, s[40:43], 0 offset:768 ; 4-byte Folded Reload
	s_waitcnt vmcnt(0)
	v_fmac_f32_e32 v66, v1, v69
	v_and_b32_e32 v1, 0xffff0000, v40
	v_fmac_f32_e32 v66, v3, v2
	s_clause 0x1
	buffer_load_dword v2, off, s[40:43], 0 offset:796
	buffer_load_dword v3, off, s[40:43], 0 offset:828
	s_waitcnt vmcnt(1)
	v_fmac_f32_e32 v65, v2, v1
	v_and_b32_e32 v2, 0xffff0000, v32
	v_lshlrev_b32_e32 v1, 16, v32
	s_waitcnt vmcnt(0)
	v_fmac_f32_e32 v65, v3, v2
	s_clause 0x1
	buffer_load_dword v2, off, s[40:43], 0 offset:832
	buffer_load_dword v3, off, s[40:43], 0 offset:864
	s_waitcnt vmcnt(1)
	v_fmac_f32_e32 v66, v2, v1
	v_lshlrev_b32_e32 v2, 16, v36
	v_and_b32_e32 v1, 0xffff0000, v36
	s_waitcnt vmcnt(0)
	v_fmac_f32_e32 v66, v3, v2
	buffer_load_dword v2, off, s[40:43], 0 offset:860 ; 4-byte Folded Reload
	s_waitcnt vmcnt(0)
	v_fmac_f32_e32 v65, v2, v1
	v_lshlrev_b32_e32 v1, 16, v28
	v_and_b32_e32 v2, 0xffff0000, v28
	v_fmac_f32_e32 v66, v1, v85
	v_fmac_f32_e32 v65, v2, v84
	v_and_b32_e32 v1, 0xffff0000, v24
	v_lshlrev_b32_e32 v2, 16, v24
	v_fmac_f32_e32 v65, v1, v92
	v_fmac_f32_e32 v66, v2, v93
	v_lshlrev_b32_e32 v1, 16, v20
	v_and_b32_e32 v2, 0xffff0000, v20
	v_fmac_f32_e32 v66, v1, v101
	v_fmac_f32_e32 v65, v2, v100
	v_and_b32_e32 v1, 0xffff0000, v16
	v_lshlrev_b32_e32 v2, 16, v16
	v_fmac_f32_e32 v65, v1, v108
	;; [unrolled: 8-line block ×3, first 2 shown]
	v_fmac_f32_e32 v66, v2, v125
	v_lshlrev_b32_e32 v1, 16, v4
	v_and_b32_e32 v2, 0xffff0000, v4
	v_fmac_f32_e32 v66, v1, v50
	v_add_f32_e32 v1, v59, v60
	v_fmac_f32_e32 v65, v2, v49
	v_add_f32_e32 v1, v1, v62
	v_add_f32_e32 v1, v61, v1
	;; [unrolled: 1-line block ×6, first 2 shown]
	v_fmac_f32_e32 v58, s29, v1
	v_cndmask_b32_e64 v1, 0, v58, s2
	ds_write_b32 v53, v1
	v_max_f32_e32 v1, v46, v46
	v_max_f32_e32 v1, v1, v58
	v_cndmask_b32_e64 v46, v46, v1, s2
	s_branch .LBB152_10
.LBB152_15:
	s_or_b32 exec_lo, exec_lo, s35
	s_clause 0x3
	buffer_load_dword v58, off, s[40:43], 0 offset:888
	buffer_load_dword v59, off, s[40:43], 0 offset:892
	;; [unrolled: 1-line block ×4, first 2 shown]
.LBB152_16:
	s_or_b32 exec_lo, exec_lo, s34
	v_mbcnt_lo_u32_b32 v1, -1, 0
	v_max_f32_e32 v4, v46, v46
	v_xor_b32_e32 v0, 16, v1
	v_xor_b32_e32 v3, 8, v1
	v_cmp_gt_i32_e32 vcc_lo, 32, v0
	v_cndmask_b32_e32 v0, v1, v0, vcc_lo
	v_cmp_gt_i32_e32 vcc_lo, 32, v3
	v_lshlrev_b32_e32 v0, 2, v0
	v_cndmask_b32_e32 v3, v1, v3, vcc_lo
	ds_bpermute_b32 v2, v0, v46
	s_waitcnt lgkmcnt(0)
	v_max_f32_e32 v5, v2, v2
	v_lshlrev_b32_e32 v2, 2, v3
	v_max_f32_e32 v4, v4, v5
	v_xor_b32_e32 v5, 4, v1
	ds_bpermute_b32 v3, v2, v4
	v_cmp_gt_i32_e32 vcc_lo, 32, v5
	v_cndmask_b32_e32 v5, v1, v5, vcc_lo
	s_waitcnt lgkmcnt(0)
	v_max_f32_e32 v6, v3, v3
	v_lshlrev_b32_e32 v3, 2, v5
	v_max_f32_e32 v4, v4, v6
	v_xor_b32_e32 v6, 2, v1
	ds_bpermute_b32 v5, v3, v4
	v_cmp_gt_i32_e32 vcc_lo, 32, v6
	v_cndmask_b32_e32 v6, v1, v6, vcc_lo
	v_lshlrev_b32_e32 v39, 2, v6
	v_xor_b32_e32 v6, 1, v1
	v_cmp_gt_i32_e32 vcc_lo, 32, v6
	s_waitcnt lgkmcnt(0)
	v_max_f32_e32 v5, v5, v5
	v_cndmask_b32_e32 v6, v1, v6, vcc_lo
	v_max_f32_e32 v4, v4, v5
	v_lshlrev_b32_e32 v57, 2, v6
	ds_bpermute_b32 v5, v39, v4
	s_waitcnt lgkmcnt(0)
	v_max_f32_e32 v5, v5, v5
	v_max_f32_e32 v1, v4, v5
	buffer_load_dword v4, off, s[40:43], 0 offset:224 ; 4-byte Folded Reload
	ds_bpermute_b32 v5, v57, v1
	s_waitcnt vmcnt(0)
	v_cmp_eq_u32_e32 vcc_lo, 0, v4
	v_lshlrev_b32_e32 v4, 2, v59
	s_and_saveexec_b32 s2, vcc_lo
	s_cbranch_execz .LBB152_18
; %bb.17:
	s_waitcnt lgkmcnt(0)
	v_max_f32_e32 v5, v5, v5
	v_max_f32_e32 v1, v1, v1
	;; [unrolled: 1-line block ×3, first 2 shown]
	ds_write_b32 v4, v1 offset:512
.LBB152_18:
	s_or_b32 exec_lo, exec_lo, s2
	buffer_load_dword v1, off, s[40:43], 0 offset:224 ; 4-byte Folded Reload
	s_waitcnt vmcnt(0) lgkmcnt(0)
	s_waitcnt_vscnt null, 0x0
	s_barrier
	buffer_gl0_inv
	v_cmp_gt_u32_e64 s2, 4, v1
	v_mov_b32_e32 v1, 0xff7fffff
	s_and_saveexec_b32 s3, s2
; %bb.19:
	ds_read_b32 v1, v30 offset:512
; %bb.20:
	s_or_b32 exec_lo, exec_lo, s3
	s_waitcnt lgkmcnt(0)
	ds_bpermute_b32 v5, v39, v1
	v_max_f32_e32 v1, v1, v1
	s_lshl_b32 s3, s16, 5
	s_min_i32 s5, s3, s30
	v_cmp_gt_i32_e64 s3, s5, v58
	s_waitcnt lgkmcnt(0)
	v_max_f32_e32 v5, v5, v5
	v_max_f32_e32 v1, v1, v5
	ds_bpermute_b32 v5, v57, v1
	s_waitcnt lgkmcnt(0)
	v_max_f32_e32 v5, v5, v5
	v_max_f32_e32 v1, v1, v5
	v_mov_b32_e32 v5, 0
	ds_bpermute_b32 v6, v5, v1
	v_lshl_add_u32 v1, v58, 2, 0x220
	s_and_saveexec_b32 s15, s3
	s_cbranch_execz .LBB152_24
; %bb.21:
	v_lshl_add_u32 v7, v58, 2, 0x220
	v_mov_b32_e32 v5, 0
	v_mov_b32_e32 v8, v58
	s_mov_b32 s29, 0
	.p2align	6
.LBB152_22:                             ; =>This Inner Loop Header: Depth=1
	ds_read_b32 v9, v7
	v_add_nc_u32_e32 v8, 0x80, v8
	v_cmp_le_i32_e64 s4, s5, v8
	s_or_b32 s29, s4, s29
	s_waitcnt lgkmcnt(0)
	v_sub_f32_e32 v9, v9, v6
	v_mul_f32_e32 v9, 0x3fb8aa3b, v9
	v_exp_f32_e32 v9, v9
	ds_write_b32 v7, v9
	v_add_f32_e32 v5, v5, v9
	v_add_nc_u32_e32 v7, 0x200, v7
	s_andn2_b32 exec_lo, exec_lo, s29
	s_cbranch_execnz .LBB152_22
; %bb.23:
	s_or_b32 exec_lo, exec_lo, s29
.LBB152_24:
	s_or_b32 exec_lo, exec_lo, s15
	ds_bpermute_b32 v0, v0, v5
	s_waitcnt lgkmcnt(0)
	v_add_f32_e32 v0, v5, v0
	ds_bpermute_b32 v2, v2, v0
	s_waitcnt lgkmcnt(0)
	v_add_f32_e32 v0, v0, v2
	;; [unrolled: 3-line block ×5, first 2 shown]
	s_and_saveexec_b32 s4, vcc_lo
; %bb.25:
	ds_write_b32 v4, v0 offset:528
; %bb.26:
	s_or_b32 exec_lo, exec_lo, s4
	s_waitcnt lgkmcnt(0)
	s_barrier
	buffer_gl0_inv
	s_and_saveexec_b32 s4, s2
; %bb.27:
	ds_read_b32 v0, v30 offset:528
; %bb.28:
	s_or_b32 exec_lo, exec_lo, s4
	s_waitcnt lgkmcnt(0)
	ds_bpermute_b32 v2, v39, v0
	s_waitcnt lgkmcnt(0)
	v_add_f32_e32 v0, v0, v2
	ds_bpermute_b32 v2, v57, v0
	s_waitcnt lgkmcnt(0)
	v_add_f32_e32 v0, v0, v2
	v_mov_b32_e32 v2, 0
	ds_bpermute_b32 v0, v2, v0
	s_and_saveexec_b32 s2, s3
	s_cbranch_execz .LBB152_31
; %bb.29:
	s_waitcnt lgkmcnt(0)
	v_add_f32_e32 v0, 0x358637bd, v0
	s_mov_b32 s3, 0
	v_div_scale_f32 v2, null, v0, v0, 1.0
	v_div_scale_f32 v5, vcc_lo, 1.0, v0, 1.0
	v_rcp_f32_e32 v3, v2
	v_fma_f32 v4, -v2, v3, 1.0
	v_fmac_f32_e32 v3, v4, v3
	v_mul_f32_e32 v4, v5, v3
	v_fma_f32 v6, -v2, v4, v5
	v_fmac_f32_e32 v4, v6, v3
	v_fma_f32 v2, -v2, v4, v5
	v_div_fmas_f32 v2, v2, v3, v4
	v_div_fixup_f32 v0, v2, v0, 1.0
	v_mov_b32_e32 v2, v58
.LBB152_30:                             ; =>This Inner Loop Header: Depth=1
	ds_read_b32 v3, v1
	v_add_nc_u32_e32 v2, 0x80, v2
	v_cmp_le_i32_e32 vcc_lo, s5, v2
	s_or_b32 s3, vcc_lo, s3
	s_waitcnt lgkmcnt(0)
	v_mul_f32_e32 v3, v0, v3
	ds_write_b32 v1, v3
	v_add_nc_u32_e32 v1, 0x200, v1
	s_andn2_b32 exec_lo, exec_lo, s3
	s_cbranch_execnz .LBB152_30
.LBB152_31:
	s_or_b32 exec_lo, exec_lo, s2
	v_mov_b32_e32 v24, 0
	v_and_b32_e32 v60, 3, v58
	v_mov_b32_e32 v25, 0
	v_mov_b32_e32 v23, 0
	;; [unrolled: 1-line block ×31, first 2 shown]
	s_waitcnt lgkmcnt(0)
	s_barrier
	buffer_gl0_inv
	s_and_saveexec_b32 s4, s1
	s_cbranch_execz .LBB152_101
; %bb.32:
	v_mov_b32_e32 v5, 0
	buffer_store_dword v39, off, s[40:43], 0 offset:244 ; 4-byte Folded Spill
	buffer_store_dword v57, off, s[40:43], 0 offset:240 ; 4-byte Folded Spill
	s_ashr_i32 s15, s14, 31
	s_sub_i32 s5, s28, s17
	s_lshl_b64 s[2:3], s[14:15], 1
	buffer_store_dword v5, off, s[40:43], 0 offset:92 ; 4-byte Folded Spill
	v_mov_b32_e32 v5, 0
	s_add_u32 s14, s26, s2
	s_addc_u32 s15, s27, s3
	s_abs_i32 s17, s18
	v_lshlrev_b32_e32 v1, 3, v58
	buffer_store_dword v5, off, s[40:43], 0 offset:96 ; 4-byte Folded Spill
	v_mov_b32_e32 v5, 0
	v_cvt_f32_u32_e32 v2, s17
	s_sub_i32 s1, 0, s17
	v_and_b32_e32 v6, 0xf8, v1
	v_lshlrev_b32_e32 v4, 5, v60
	buffer_store_dword v5, off, s[40:43], 0 offset:100 ; 4-byte Folded Spill
	v_mov_b32_e32 v5, 0
	v_rcp_iflag_f32_e32 v2, v2
	buffer_store_dword v60, off, s[40:43], 0 offset:248 ; 4-byte Folded Spill
	v_lshl_or_b32 v4, v59, 7, v4
	v_and_b32_e32 v3, 0x7c, v29
	buffer_store_dword v5, off, s[40:43], 0 offset:104 ; 4-byte Folded Spill
	v_mov_b32_e32 v5, 0
	s_lshl_b64 s[2:3], s[24:25], 2
	v_add_nc_u32_e32 v4, 0x220, v4
	s_add_i32 s18, s16, -1
	v_mov_b32_e32 v0, 0
	buffer_store_dword v5, off, s[40:43], 0 offset:108 ; 4-byte Folded Spill
	v_mov_b32_e32 v5, 0
	v_mul_f32_e32 v2, 0x4f7ffffe, v2
	buffer_store_dword v4, off, s[40:43], 0 offset:4 ; 4-byte Folded Spill
	v_lshlrev_b32_e32 v4, 1, v6
	v_mov_b32_e32 v55, 0
	buffer_store_dword v5, off, s[40:43], 0 offset:112 ; 4-byte Folded Spill
	v_mov_b32_e32 v5, 0
	v_cvt_u32_f32_e32 v2, v2
	buffer_store_dword v4, off, s[40:43], 0 offset:232 ; 4-byte Folded Spill
	v_mov_b32_e32 v106, 0
	v_mov_b32_e32 v107, 0
	buffer_store_dword v5, off, s[40:43], 0 offset:116 ; 4-byte Folded Spill
	v_mov_b32_e32 v5, 0
	v_mov_b32_e32 v108, 0
	;; [unrolled: 1-line block ×5, first 2 shown]
	buffer_store_dword v5, off, s[40:43], 0 offset:120 ; 4-byte Folded Spill
	v_mov_b32_e32 v5, 0
	v_mov_b32_e32 v20, 0
	;; [unrolled: 1-line block ×5, first 2 shown]
	buffer_store_dword v5, off, s[40:43], 0 offset:124 ; 4-byte Folded Spill
	v_mov_b32_e32 v5, 0
	buffer_store_dword v5, off, s[40:43], 0 offset:128 ; 4-byte Folded Spill
	v_mov_b32_e32 v5, 0
	;; [unrolled: 2-line block ×3, first 2 shown]
	buffer_store_dword v5, off, s[40:43], 0 offset:136 ; 4-byte Folded Spill
	v_and_b32_e32 v5, 24, v1
	v_or_b32_e32 v1, 0x1f00, v1
	buffer_store_dword v5, off, s[40:43], 0 offset:228 ; 4-byte Folded Spill
	v_mul_lo_u32 v5, s1, v2
	v_lshlrev_b32_e32 v1, 1, v1
	s_add_u32 s1, s22, s2
	s_addc_u32 s2, s23, s3
	v_add_co_u32 v125, s1, s1, v3
	buffer_store_dword v1, off, s[40:43], 0 offset:236 ; 4-byte Folded Spill
	v_add_co_ci_u32_e64 v126, null, s2, 0, s1
	v_mul_hi_u32 v5, v2, v5
	s_mov_b32 s23, s30
	s_mov_b32 s22, 0
	v_add_nc_u32_e32 v1, v2, v5
	buffer_store_dword v1, off, s[40:43], 0 offset:176 ; 4-byte Folded Spill
	v_mov_b32_e32 v1, 0
	buffer_store_dword v1, off, s[40:43], 0 offset:140 ; 4-byte Folded Spill
	v_mov_b32_e32 v1, 0
	buffer_store_dword v1, off, s[40:43], 0 offset:144 ; 4-byte Folded Spill
	v_mov_b32_e32 v1, 0
	buffer_store_dword v1, off, s[40:43], 0 offset:148 ; 4-byte Folded Spill
	v_mov_b32_e32 v1, 0
	buffer_store_dword v1, off, s[40:43], 0 offset:152 ; 4-byte Folded Spill
	v_mov_b32_e32 v1, 0
	buffer_store_dword v1, off, s[40:43], 0 offset:156 ; 4-byte Folded Spill
	v_mov_b32_e32 v1, 0
	buffer_store_dword v1, off, s[40:43], 0 offset:160 ; 4-byte Folded Spill
	v_mov_b32_e32 v1, 0
	buffer_store_dword v1, off, s[40:43], 0 offset:164 ; 4-byte Folded Spill
	v_mov_b32_e32 v1, 0
	buffer_store_dword v1, off, s[40:43], 0 offset:172 ; 4-byte Folded Spill
	v_mov_b32_e32 v1, 0
	buffer_store_dword v1, off, s[40:43], 0 offset:168 ; 4-byte Folded Spill
	buffer_store_dword v59, off, s[40:43], 0 offset:8 ; 4-byte Folded Spill
	buffer_load_dword v1, off, s[40:43], 0  ; 4-byte Folded Reload
	s_branch .LBB152_35
.LBB152_33:                             ;   in Loop: Header=BB152_35 Depth=1
	s_or_b32 exec_lo, exec_lo, s2
	s_waitcnt lgkmcnt(1)
	v_bfe_u32 v13, v105, 16, 1
	v_or_b32_e32 v14, 0x400000, v105
	v_cmp_u_f32_e32 vcc_lo, v105, v105
	v_or_b32_e32 v15, 0x400000, v106
	v_or_b32_e32 v16, 0x400000, v107
	v_add3_u32 v13, v13, v105, 0x7fff
	v_or_b32_e32 v17, 0x400000, v108
	s_waitcnt lgkmcnt(0)
	v_or_b32_e32 v18, 0x400000, v101
	v_or_b32_e32 v19, 0x400000, v102
	;; [unrolled: 1-line block ×3, first 2 shown]
	v_cndmask_b32_e32 v13, v13, v14, vcc_lo
	v_bfe_u32 v14, v106, 16, 1
	v_cmp_u_f32_e32 vcc_lo, v106, v106
	v_and_b32_e32 v105, 0xffff0000, v13
	v_add3_u32 v14, v14, v106, 0x7fff
	v_cndmask_b32_e32 v14, v14, v15, vcc_lo
	v_bfe_u32 v15, v107, 16, 1
	v_cmp_u_f32_e32 vcc_lo, v107, v107
	v_add3_u32 v15, v15, v107, 0x7fff
	buffer_load_dword v107, off, s[40:43], 0 offset:188 ; 4-byte Folded Reload
	v_cndmask_b32_e32 v15, v15, v16, vcc_lo
	v_bfe_u32 v16, v108, 16, 1
	v_cmp_u_f32_e32 vcc_lo, v108, v108
	v_add3_u32 v16, v16, v108, 0x7fff
	buffer_load_dword v108, off, s[40:43], 0 offset:192 ; 4-byte Folded Reload
	v_cndmask_b32_e32 v16, v16, v17, vcc_lo
	v_bfe_u32 v17, v101, 16, 1
	v_cmp_u_f32_e32 vcc_lo, v101, v101
	v_add3_u32 v17, v17, v101, 0x7fff
	v_or_b32_e32 v101, 0x400000, v104
	v_cndmask_b32_e32 v17, v17, v18, vcc_lo
	v_bfe_u32 v18, v102, 16, 1
	v_cmp_u_f32_e32 vcc_lo, v102, v102
	v_add3_u32 v18, v18, v102, 0x7fff
	v_and_b32_e32 v102, 0xffff0000, v14
	v_and_b32_e32 v14, 0xffff0000, v9
	v_lshlrev_b32_e32 v9, 16, v9
	v_cndmask_b32_e32 v18, v18, v19, vcc_lo
	v_bfe_u32 v19, v103, 16, 1
	v_cmp_u_f32_e32 vcc_lo, v103, v103
	v_mul_f32_e32 v14, v102, v14
	v_mul_f32_e32 v9, v105, v9
	v_add3_u32 v19, v19, v103, 0x7fff
	v_or_b32_e32 v103, 0x400000, v14
	v_bfe_u32 v13, v9, 16, 1
	v_cndmask_b32_e32 v19, v19, v20, vcc_lo
	v_bfe_u32 v20, v104, 16, 1
	v_cmp_u_f32_e32 vcc_lo, v104, v104
	v_add3_u32 v13, v13, v9, 0x7fff
	v_add3_u32 v20, v20, v104, 0x7fff
	v_and_b32_e32 v104, 0xffff0000, v15
	v_cndmask_b32_e32 v20, v20, v101, vcc_lo
	v_bfe_u32 v101, v14, 16, 1
	v_cmp_u_f32_e32 vcc_lo, v14, v14
	v_add3_u32 v101, v101, v14, 0x7fff
	v_cndmask_b32_e32 v14, v101, v103, vcc_lo
	v_or_b32_e32 v101, 0x400000, v9
	v_cmp_u_f32_e32 vcc_lo, v9, v9
	v_and_b32_e32 v9, 0xffff0000, v10
	v_and_b32_e32 v14, 0xffff0000, v14
	v_cndmask_b32_e32 v13, v13, v101, vcc_lo
	v_and_b32_e32 v101, 0xffff0000, v16
	v_and_b32_e32 v13, 0xffff0000, v13
	v_mul_f32_e32 v9, v101, v9
	v_add_f32_e32 v13, v13, v14
	v_bfe_u32 v16, v9, 16, 1
	v_or_b32_e32 v103, 0x400000, v9
	v_cmp_u_f32_e32 vcc_lo, v9, v9
	v_add3_u32 v16, v16, v9, 0x7fff
	v_lshlrev_b32_e32 v9, 16, v10
	v_cndmask_b32_e32 v16, v16, v103, vcc_lo
	v_mul_f32_e32 v9, v104, v9
	v_bfe_u32 v10, v9, 16, 1
	v_or_b32_e32 v15, 0x400000, v9
	v_cmp_u_f32_e32 vcc_lo, v9, v9
	v_add3_u32 v10, v10, v9, 0x7fff
	v_and_b32_e32 v9, 0xffff0000, v11
	v_cndmask_b32_e32 v15, v10, v15, vcc_lo
	v_and_b32_e32 v10, 0xffff0000, v18
	v_and_b32_e32 v14, 0xffff0000, v15
	v_mul_f32_e32 v9, v10, v9
	v_and_b32_e32 v15, 0xffff0000, v16
	v_bfe_u32 v18, v9, 16, 1
	v_or_b32_e32 v103, 0x400000, v9
	v_cmp_u_f32_e32 vcc_lo, v9, v9
	v_add_f32_e32 v14, v14, v15
	v_add3_u32 v18, v18, v9, 0x7fff
	v_lshlrev_b32_e32 v9, 16, v11
	v_add_f32_e32 v13, v14, v13
	v_cndmask_b32_e32 v18, v18, v103, vcc_lo
	v_and_b32_e32 v103, 0xffff0000, v17
	v_and_b32_e32 v15, 0xffff0000, v18
	v_mul_f32_e32 v9, v103, v9
	buffer_load_dword v18, off, s[40:43], 0 offset:216 ; 4-byte Folded Reload
	v_bfe_u32 v11, v9, 16, 1
	v_or_b32_e32 v17, 0x400000, v9
	v_cmp_u_f32_e32 vcc_lo, v9, v9
	v_add3_u32 v11, v11, v9, 0x7fff
	v_and_b32_e32 v9, 0xffff0000, v20
	v_cndmask_b32_e32 v17, v11, v17, vcc_lo
	v_and_b32_e32 v11, 0xffff0000, v12
	v_lshlrev_b32_e32 v12, 16, v12
	v_and_b32_e32 v14, 0xffff0000, v17
	v_mul_f32_e32 v11, v9, v11
	v_add_f32_e32 v14, v14, v15
	v_bfe_u32 v20, v11, 16, 1
	v_or_b32_e32 v106, 0x400000, v11
	v_cmp_u_f32_e32 vcc_lo, v11, v11
	v_add_f32_e32 v13, v14, v13
	v_add3_u32 v20, v20, v11, 0x7fff
	v_and_b32_e32 v11, 0xffff0000, v19
	v_cndmask_b32_e32 v20, v20, v106, vcc_lo
	v_mul_f32_e32 v12, v11, v12
	v_and_b32_e32 v14, 0xffff0000, v20
	v_bfe_u32 v19, v12, 16, 1
	v_or_b32_e32 v106, 0x400000, v12
	v_cmp_u_f32_e32 vcc_lo, v12, v12
	buffer_load_dword v20, off, s[40:43], 0 offset:208 ; 4-byte Folded Reload
	v_add3_u32 v19, v19, v12, 0x7fff
	v_cndmask_b32_e32 v12, v19, v106, vcc_lo
	s_clause 0x1
	buffer_load_dword v106, off, s[40:43], 0 offset:184
	buffer_load_dword v19, off, s[40:43], 0 offset:220
	v_and_b32_e32 v12, 0xffff0000, v12
	v_add_f32_e32 v12, v12, v14
	v_add_f32_e32 v12, v12, v13
	s_waitcnt vmcnt(1)
	v_add_f32_e32 v106, v106, v12
	v_and_b32_e32 v12, 0xffff0000, v5
	v_lshlrev_b32_e32 v5, 16, v5
	v_mul_f32_e32 v12, v102, v12
	v_mul_f32_e32 v5, v105, v5
	v_bfe_u32 v13, v12, 16, 1
	v_or_b32_e32 v14, 0x400000, v12
	v_cmp_u_f32_e32 vcc_lo, v12, v12
	v_add3_u32 v13, v13, v12, 0x7fff
	v_cndmask_b32_e32 v12, v13, v14, vcc_lo
	v_bfe_u32 v13, v5, 16, 1
	v_or_b32_e32 v14, 0x400000, v5
	v_cmp_u_f32_e32 vcc_lo, v5, v5
	v_and_b32_e32 v12, 0xffff0000, v12
	v_add3_u32 v13, v13, v5, 0x7fff
	v_cndmask_b32_e32 v5, v13, v14, vcc_lo
	v_and_b32_e32 v13, 0xffff0000, v6
	v_lshlrev_b32_e32 v6, 16, v6
	v_and_b32_e32 v5, 0xffff0000, v5
	v_mul_f32_e32 v13, v101, v13
	v_mul_f32_e32 v6, v104, v6
	v_add_f32_e32 v5, v5, v12
	v_bfe_u32 v14, v13, 16, 1
	v_or_b32_e32 v15, 0x400000, v13
	v_cmp_u_f32_e32 vcc_lo, v13, v13
	v_add3_u32 v14, v14, v13, 0x7fff
	v_cndmask_b32_e32 v13, v14, v15, vcc_lo
	v_bfe_u32 v14, v6, 16, 1
	v_or_b32_e32 v15, 0x400000, v6
	v_cmp_u_f32_e32 vcc_lo, v6, v6
	v_and_b32_e32 v12, 0xffff0000, v13
	v_add3_u32 v14, v14, v6, 0x7fff
	v_cndmask_b32_e32 v6, v14, v15, vcc_lo
	v_and_b32_e32 v14, 0xffff0000, v7
	v_lshlrev_b32_e32 v7, 16, v7
	v_and_b32_e32 v6, 0xffff0000, v6
	v_mul_f32_e32 v14, v10, v14
	v_mul_f32_e32 v7, v103, v7
	v_add_f32_e32 v6, v6, v12
	v_bfe_u32 v15, v14, 16, 1
	v_or_b32_e32 v16, 0x400000, v14
	v_cmp_u_f32_e32 vcc_lo, v14, v14
	v_add_f32_e32 v5, v6, v5
	v_add3_u32 v15, v15, v14, 0x7fff
	v_cndmask_b32_e32 v14, v15, v16, vcc_lo
	v_bfe_u32 v15, v7, 16, 1
	v_or_b32_e32 v16, 0x400000, v7
	v_cmp_u_f32_e32 vcc_lo, v7, v7
	v_add3_u32 v15, v15, v7, 0x7fff
	v_cndmask_b32_e32 v7, v15, v16, vcc_lo
	v_and_b32_e32 v15, 0xffff0000, v8
	v_lshlrev_b32_e32 v8, 16, v8
	v_and_b32_e32 v6, 0xffff0000, v7
	v_mul_f32_e32 v15, v9, v15
	v_mul_f32_e32 v8, v11, v8
	v_and_b32_e32 v7, 0xffff0000, v14
	buffer_load_dword v14, off, s[40:43], 0 offset:196 ; 4-byte Folded Reload
	v_bfe_u32 v16, v15, 16, 1
	v_or_b32_e32 v17, 0x400000, v15
	v_cmp_u_f32_e32 vcc_lo, v15, v15
	v_add_f32_e32 v6, v6, v7
	v_add3_u32 v16, v16, v15, 0x7fff
	v_add_f32_e32 v5, v6, v5
	v_cndmask_b32_e32 v15, v16, v17, vcc_lo
	v_bfe_u32 v16, v8, 16, 1
	v_or_b32_e32 v17, 0x400000, v8
	v_cmp_u_f32_e32 vcc_lo, v8, v8
	v_and_b32_e32 v7, 0xffff0000, v15
	v_add3_u32 v16, v16, v8, 0x7fff
	buffer_load_dword v15, off, s[40:43], 0 offset:200 ; 4-byte Folded Reload
	v_cndmask_b32_e32 v8, v16, v17, vcc_lo
	s_clause 0x1
	buffer_load_dword v16, off, s[40:43], 0 offset:204
	buffer_load_dword v17, off, s[40:43], 0 offset:212
	v_and_b32_e32 v6, 0xffff0000, v8
	v_add_f32_e32 v6, v6, v7
	v_add_f32_e32 v5, v6, v5
	;; [unrolled: 1-line block ×3, first 2 shown]
	v_and_b32_e32 v5, 0xffff0000, v1
	v_lshlrev_b32_e32 v1, 16, v1
	v_mul_f32_e32 v5, v102, v5
	v_mul_f32_e32 v1, v105, v1
	v_bfe_u32 v6, v5, 16, 1
	v_or_b32_e32 v7, 0x400000, v5
	v_cmp_u_f32_e32 vcc_lo, v5, v5
	v_add3_u32 v6, v6, v5, 0x7fff
	v_cndmask_b32_e32 v5, v6, v7, vcc_lo
	v_bfe_u32 v6, v1, 16, 1
	v_or_b32_e32 v7, 0x400000, v1
	v_cmp_u_f32_e32 vcc_lo, v1, v1
	v_and_b32_e32 v5, 0xffff0000, v5
	v_add3_u32 v6, v6, v1, 0x7fff
	v_cndmask_b32_e32 v1, v6, v7, vcc_lo
	v_and_b32_e32 v6, 0xffff0000, v2
	v_lshlrev_b32_e32 v2, 16, v2
	v_and_b32_e32 v1, 0xffff0000, v1
	v_mul_f32_e32 v6, v101, v6
	v_mul_f32_e32 v2, v104, v2
	v_add_f32_e32 v1, v1, v5
	v_bfe_u32 v7, v6, 16, 1
	v_or_b32_e32 v8, 0x400000, v6
	v_cmp_u_f32_e32 vcc_lo, v6, v6
	v_add3_u32 v7, v7, v6, 0x7fff
	v_cndmask_b32_e32 v6, v7, v8, vcc_lo
	v_bfe_u32 v7, v2, 16, 1
	v_or_b32_e32 v8, 0x400000, v2
	v_cmp_u_f32_e32 vcc_lo, v2, v2
	v_and_b32_e32 v5, 0xffff0000, v6
	v_add3_u32 v7, v7, v2, 0x7fff
	v_cndmask_b32_e32 v2, v7, v8, vcc_lo
	v_and_b32_e32 v7, 0xffff0000, v3
	v_lshlrev_b32_e32 v3, 16, v3
	v_and_b32_e32 v2, 0xffff0000, v2
	v_mul_f32_e32 v7, v10, v7
	v_mul_f32_e32 v3, v103, v3
	v_add_f32_e32 v2, v2, v5
	v_bfe_u32 v8, v7, 16, 1
	v_or_b32_e32 v12, 0x400000, v7
	v_cmp_u_f32_e32 vcc_lo, v7, v7
	v_add_f32_e32 v1, v2, v1
	v_add3_u32 v8, v8, v7, 0x7fff
	v_cndmask_b32_e32 v7, v8, v12, vcc_lo
	v_bfe_u32 v8, v3, 16, 1
	v_or_b32_e32 v12, 0x400000, v3
	v_cmp_u_f32_e32 vcc_lo, v3, v3
	v_add3_u32 v8, v8, v3, 0x7fff
	v_cndmask_b32_e32 v3, v8, v12, vcc_lo
	v_and_b32_e32 v8, 0xffff0000, v4
	v_lshlrev_b32_e32 v4, 16, v4
	v_and_b32_e32 v2, 0xffff0000, v3
	v_mul_f32_e32 v8, v9, v8
	v_mul_f32_e32 v4, v11, v4
	v_and_b32_e32 v3, 0xffff0000, v7
	v_bfe_u32 v12, v8, 16, 1
	v_or_b32_e32 v13, 0x400000, v8
	v_cmp_u_f32_e32 vcc_lo, v8, v8
	v_add_f32_e32 v2, v2, v3
	v_add3_u32 v12, v12, v8, 0x7fff
	v_add_f32_e32 v1, v2, v1
	v_cndmask_b32_e32 v8, v12, v13, vcc_lo
	v_bfe_u32 v12, v4, 16, 1
	v_or_b32_e32 v13, 0x400000, v4
	v_cmp_u_f32_e32 vcc_lo, v4, v4
	v_and_b32_e32 v3, 0xffff0000, v8
	v_add3_u32 v12, v12, v4, 0x7fff
	v_cndmask_b32_e32 v4, v12, v13, vcc_lo
	v_and_b32_e32 v2, 0xffff0000, v4
	v_add_f32_e32 v2, v2, v3
	v_add_f32_e32 v1, v2, v1
	;; [unrolled: 1-line block ×3, first 2 shown]
	v_and_b32_e32 v1, 0xffff0000, v121
	v_mul_f32_e32 v1, v102, v1
	v_bfe_u32 v2, v1, 16, 1
	v_or_b32_e32 v3, 0x400000, v1
	v_cmp_u_f32_e32 vcc_lo, v1, v1
	v_add3_u32 v2, v2, v1, 0x7fff
	v_cndmask_b32_e32 v1, v2, v3, vcc_lo
	v_lshlrev_b32_e32 v2, 16, v121
	v_and_b32_e32 v1, 0xffff0000, v1
	v_mul_f32_e32 v2, v105, v2
	v_bfe_u32 v3, v2, 16, 1
	v_or_b32_e32 v4, 0x400000, v2
	v_cmp_u_f32_e32 vcc_lo, v2, v2
	v_add3_u32 v3, v3, v2, 0x7fff
	v_cndmask_b32_e32 v2, v3, v4, vcc_lo
	v_and_b32_e32 v3, 0xffff0000, v122
	v_and_b32_e32 v2, 0xffff0000, v2
	v_mul_f32_e32 v3, v101, v3
	v_add_f32_e32 v1, v2, v1
	v_bfe_u32 v4, v3, 16, 1
	v_or_b32_e32 v5, 0x400000, v3
	v_cmp_u_f32_e32 vcc_lo, v3, v3
	v_add3_u32 v4, v4, v3, 0x7fff
	v_cndmask_b32_e32 v3, v4, v5, vcc_lo
	v_lshlrev_b32_e32 v4, 16, v122
	v_and_b32_e32 v3, 0xffff0000, v3
	v_mul_f32_e32 v4, v104, v4
	v_bfe_u32 v5, v4, 16, 1
	v_or_b32_e32 v6, 0x400000, v4
	v_cmp_u_f32_e32 vcc_lo, v4, v4
	v_add3_u32 v5, v5, v4, 0x7fff
	v_cndmask_b32_e32 v4, v5, v6, vcc_lo
	v_and_b32_e32 v5, 0xffff0000, v123
	v_and_b32_e32 v2, 0xffff0000, v4
	v_mul_f32_e32 v5, v10, v5
	v_add_f32_e32 v2, v2, v3
	v_bfe_u32 v6, v5, 16, 1
	v_or_b32_e32 v7, 0x400000, v5
	v_cmp_u_f32_e32 vcc_lo, v5, v5
	v_add_f32_e32 v1, v2, v1
	v_add3_u32 v6, v6, v5, 0x7fff
	v_cndmask_b32_e32 v5, v6, v7, vcc_lo
	v_lshlrev_b32_e32 v6, 16, v123
	v_and_b32_e32 v3, 0xffff0000, v5
	v_mul_f32_e32 v6, v103, v6
	v_bfe_u32 v7, v6, 16, 1
	v_or_b32_e32 v8, 0x400000, v6
	v_cmp_u_f32_e32 vcc_lo, v6, v6
	v_add3_u32 v7, v7, v6, 0x7fff
	v_cndmask_b32_e32 v6, v7, v8, vcc_lo
	v_and_b32_e32 v7, 0xffff0000, v124
	v_and_b32_e32 v2, 0xffff0000, v6
	v_mul_f32_e32 v7, v9, v7
	v_add_f32_e32 v2, v2, v3
	v_bfe_u32 v8, v7, 16, 1
	v_or_b32_e32 v12, 0x400000, v7
	v_cmp_u_f32_e32 vcc_lo, v7, v7
	v_add_f32_e32 v1, v2, v1
	v_add3_u32 v8, v8, v7, 0x7fff
	v_cndmask_b32_e32 v7, v8, v12, vcc_lo
	v_lshlrev_b32_e32 v8, 16, v124
	v_and_b32_e32 v3, 0xffff0000, v7
	v_mul_f32_e32 v8, v11, v8
	v_bfe_u32 v12, v8, 16, 1
	v_or_b32_e32 v13, 0x400000, v8
	v_cmp_u_f32_e32 vcc_lo, v8, v8
	v_add3_u32 v12, v12, v8, 0x7fff
	v_cndmask_b32_e32 v8, v12, v13, vcc_lo
	v_and_b32_e32 v2, 0xffff0000, v8
	v_add_f32_e32 v2, v2, v3
	v_add_f32_e32 v1, v2, v1
	buffer_load_dword v2, off, s[40:43], 0 offset:92 ; 4-byte Folded Reload
	s_waitcnt vmcnt(0)
	v_add_f32_e32 v2, v2, v1
	v_and_b32_e32 v1, 0xffff0000, v117
	buffer_store_dword v2, off, s[40:43], 0 offset:92 ; 4-byte Folded Spill
	v_mul_f32_e32 v1, v102, v1
	v_bfe_u32 v2, v1, 16, 1
	v_or_b32_e32 v3, 0x400000, v1
	v_cmp_u_f32_e32 vcc_lo, v1, v1
	v_add3_u32 v2, v2, v1, 0x7fff
	v_cndmask_b32_e32 v1, v2, v3, vcc_lo
	v_lshlrev_b32_e32 v2, 16, v117
	v_and_b32_e32 v1, 0xffff0000, v1
	v_mul_f32_e32 v2, v105, v2
	v_bfe_u32 v3, v2, 16, 1
	v_or_b32_e32 v4, 0x400000, v2
	v_cmp_u_f32_e32 vcc_lo, v2, v2
	v_add3_u32 v3, v3, v2, 0x7fff
	v_cndmask_b32_e32 v2, v3, v4, vcc_lo
	v_and_b32_e32 v3, 0xffff0000, v118
	v_and_b32_e32 v2, 0xffff0000, v2
	v_mul_f32_e32 v3, v101, v3
	v_add_f32_e32 v1, v2, v1
	v_bfe_u32 v4, v3, 16, 1
	v_or_b32_e32 v5, 0x400000, v3
	v_cmp_u_f32_e32 vcc_lo, v3, v3
	v_add3_u32 v4, v4, v3, 0x7fff
	v_cndmask_b32_e32 v3, v4, v5, vcc_lo
	v_lshlrev_b32_e32 v4, 16, v118
	v_and_b32_e32 v3, 0xffff0000, v3
	v_mul_f32_e32 v4, v104, v4
	v_bfe_u32 v5, v4, 16, 1
	v_or_b32_e32 v6, 0x400000, v4
	v_cmp_u_f32_e32 vcc_lo, v4, v4
	v_add3_u32 v5, v5, v4, 0x7fff
	v_cndmask_b32_e32 v4, v5, v6, vcc_lo
	v_and_b32_e32 v5, 0xffff0000, v119
	v_and_b32_e32 v2, 0xffff0000, v4
	v_mul_f32_e32 v5, v10, v5
	v_add_f32_e32 v2, v2, v3
	v_bfe_u32 v6, v5, 16, 1
	v_or_b32_e32 v7, 0x400000, v5
	v_cmp_u_f32_e32 vcc_lo, v5, v5
	v_add_f32_e32 v1, v2, v1
	v_add3_u32 v6, v6, v5, 0x7fff
	v_cndmask_b32_e32 v5, v6, v7, vcc_lo
	v_lshlrev_b32_e32 v6, 16, v119
	v_and_b32_e32 v3, 0xffff0000, v5
	v_mul_f32_e32 v6, v103, v6
	v_bfe_u32 v7, v6, 16, 1
	v_or_b32_e32 v8, 0x400000, v6
	v_cmp_u_f32_e32 vcc_lo, v6, v6
	v_add3_u32 v7, v7, v6, 0x7fff
	v_cndmask_b32_e32 v6, v7, v8, vcc_lo
	v_and_b32_e32 v7, 0xffff0000, v120
	v_and_b32_e32 v2, 0xffff0000, v6
	v_mul_f32_e32 v7, v9, v7
	v_add_f32_e32 v2, v2, v3
	v_bfe_u32 v8, v7, 16, 1
	v_or_b32_e32 v12, 0x400000, v7
	v_cmp_u_f32_e32 vcc_lo, v7, v7
	v_add_f32_e32 v1, v2, v1
	v_add3_u32 v8, v8, v7, 0x7fff
	v_cndmask_b32_e32 v7, v8, v12, vcc_lo
	v_lshlrev_b32_e32 v8, 16, v120
	v_and_b32_e32 v3, 0xffff0000, v7
	v_mul_f32_e32 v8, v11, v8
	v_bfe_u32 v12, v8, 16, 1
	v_or_b32_e32 v13, 0x400000, v8
	v_cmp_u_f32_e32 vcc_lo, v8, v8
	v_add3_u32 v12, v12, v8, 0x7fff
	v_cndmask_b32_e32 v8, v12, v13, vcc_lo
	v_and_b32_e32 v2, 0xffff0000, v8
	v_add_f32_e32 v2, v2, v3
	v_add_f32_e32 v1, v2, v1
	buffer_load_dword v2, off, s[40:43], 0 offset:96 ; 4-byte Folded Reload
	s_waitcnt vmcnt(0)
	v_add_f32_e32 v2, v2, v1
	v_and_b32_e32 v1, 0xffff0000, v113
	buffer_store_dword v2, off, s[40:43], 0 offset:96 ; 4-byte Folded Spill
	v_mul_f32_e32 v1, v102, v1
	v_bfe_u32 v2, v1, 16, 1
	v_or_b32_e32 v3, 0x400000, v1
	v_cmp_u_f32_e32 vcc_lo, v1, v1
	v_add3_u32 v2, v2, v1, 0x7fff
	v_cndmask_b32_e32 v1, v2, v3, vcc_lo
	v_lshlrev_b32_e32 v2, 16, v113
	v_and_b32_e32 v1, 0xffff0000, v1
	v_mul_f32_e32 v2, v105, v2
	v_bfe_u32 v3, v2, 16, 1
	v_or_b32_e32 v4, 0x400000, v2
	v_cmp_u_f32_e32 vcc_lo, v2, v2
	v_add3_u32 v3, v3, v2, 0x7fff
	v_cndmask_b32_e32 v2, v3, v4, vcc_lo
	v_and_b32_e32 v3, 0xffff0000, v114
	v_and_b32_e32 v2, 0xffff0000, v2
	v_mul_f32_e32 v3, v101, v3
	v_add_f32_e32 v1, v2, v1
	v_bfe_u32 v4, v3, 16, 1
	v_or_b32_e32 v5, 0x400000, v3
	v_cmp_u_f32_e32 vcc_lo, v3, v3
	v_add3_u32 v4, v4, v3, 0x7fff
	v_cndmask_b32_e32 v3, v4, v5, vcc_lo
	v_lshlrev_b32_e32 v4, 16, v114
	v_and_b32_e32 v3, 0xffff0000, v3
	v_mul_f32_e32 v4, v104, v4
	v_bfe_u32 v5, v4, 16, 1
	v_or_b32_e32 v6, 0x400000, v4
	v_cmp_u_f32_e32 vcc_lo, v4, v4
	v_add3_u32 v5, v5, v4, 0x7fff
	v_cndmask_b32_e32 v4, v5, v6, vcc_lo
	v_and_b32_e32 v5, 0xffff0000, v115
	v_and_b32_e32 v2, 0xffff0000, v4
	v_mul_f32_e32 v5, v10, v5
	v_add_f32_e32 v2, v2, v3
	v_bfe_u32 v6, v5, 16, 1
	v_or_b32_e32 v7, 0x400000, v5
	v_cmp_u_f32_e32 vcc_lo, v5, v5
	v_add_f32_e32 v1, v2, v1
	v_add3_u32 v6, v6, v5, 0x7fff
	v_cndmask_b32_e32 v5, v6, v7, vcc_lo
	v_lshlrev_b32_e32 v6, 16, v115
	v_and_b32_e32 v3, 0xffff0000, v5
	v_mul_f32_e32 v6, v103, v6
	v_bfe_u32 v7, v6, 16, 1
	v_or_b32_e32 v8, 0x400000, v6
	v_cmp_u_f32_e32 vcc_lo, v6, v6
	v_add3_u32 v7, v7, v6, 0x7fff
	v_cndmask_b32_e32 v6, v7, v8, vcc_lo
	v_and_b32_e32 v7, 0xffff0000, v116
	v_and_b32_e32 v2, 0xffff0000, v6
	v_mul_f32_e32 v7, v9, v7
	v_add_f32_e32 v2, v2, v3
	v_bfe_u32 v8, v7, 16, 1
	v_or_b32_e32 v12, 0x400000, v7
	v_cmp_u_f32_e32 vcc_lo, v7, v7
	v_add_f32_e32 v1, v2, v1
	v_add3_u32 v8, v8, v7, 0x7fff
	v_cndmask_b32_e32 v7, v8, v12, vcc_lo
	v_lshlrev_b32_e32 v8, 16, v116
	v_and_b32_e32 v3, 0xffff0000, v7
	v_mul_f32_e32 v8, v11, v8
	v_bfe_u32 v12, v8, 16, 1
	v_or_b32_e32 v13, 0x400000, v8
	v_cmp_u_f32_e32 vcc_lo, v8, v8
	v_add3_u32 v12, v12, v8, 0x7fff
	v_cndmask_b32_e32 v8, v12, v13, vcc_lo
	v_and_b32_e32 v2, 0xffff0000, v8
	v_add_f32_e32 v2, v2, v3
	v_add_f32_e32 v1, v2, v1
	buffer_load_dword v2, off, s[40:43], 0 offset:100 ; 4-byte Folded Reload
	s_waitcnt vmcnt(0)
	v_add_f32_e32 v2, v2, v1
	v_and_b32_e32 v1, 0xffff0000, v109
	buffer_store_dword v2, off, s[40:43], 0 offset:100 ; 4-byte Folded Spill
	v_mul_f32_e32 v1, v102, v1
	v_bfe_u32 v2, v1, 16, 1
	v_or_b32_e32 v3, 0x400000, v1
	v_cmp_u_f32_e32 vcc_lo, v1, v1
	v_add3_u32 v2, v2, v1, 0x7fff
	v_cndmask_b32_e32 v1, v2, v3, vcc_lo
	v_lshlrev_b32_e32 v2, 16, v109
	v_and_b32_e32 v1, 0xffff0000, v1
	v_mul_f32_e32 v2, v105, v2
	v_bfe_u32 v3, v2, 16, 1
	v_or_b32_e32 v4, 0x400000, v2
	v_cmp_u_f32_e32 vcc_lo, v2, v2
	v_add3_u32 v3, v3, v2, 0x7fff
	v_cndmask_b32_e32 v2, v3, v4, vcc_lo
	v_and_b32_e32 v3, 0xffff0000, v110
	v_and_b32_e32 v2, 0xffff0000, v2
	v_mul_f32_e32 v3, v101, v3
	v_add_f32_e32 v1, v2, v1
	v_bfe_u32 v4, v3, 16, 1
	v_or_b32_e32 v5, 0x400000, v3
	v_cmp_u_f32_e32 vcc_lo, v3, v3
	v_add3_u32 v4, v4, v3, 0x7fff
	v_cndmask_b32_e32 v3, v4, v5, vcc_lo
	v_lshlrev_b32_e32 v4, 16, v110
	v_and_b32_e32 v3, 0xffff0000, v3
	v_mul_f32_e32 v4, v104, v4
	v_bfe_u32 v5, v4, 16, 1
	v_or_b32_e32 v6, 0x400000, v4
	v_cmp_u_f32_e32 vcc_lo, v4, v4
	v_add3_u32 v5, v5, v4, 0x7fff
	v_cndmask_b32_e32 v4, v5, v6, vcc_lo
	v_and_b32_e32 v5, 0xffff0000, v111
	v_and_b32_e32 v2, 0xffff0000, v4
	v_mul_f32_e32 v5, v10, v5
	v_add_f32_e32 v2, v2, v3
	v_bfe_u32 v6, v5, 16, 1
	v_or_b32_e32 v7, 0x400000, v5
	v_cmp_u_f32_e32 vcc_lo, v5, v5
	v_add_f32_e32 v1, v2, v1
	v_add3_u32 v6, v6, v5, 0x7fff
	v_cndmask_b32_e32 v5, v6, v7, vcc_lo
	v_lshlrev_b32_e32 v6, 16, v111
	v_and_b32_e32 v3, 0xffff0000, v5
	v_mul_f32_e32 v6, v103, v6
	v_bfe_u32 v7, v6, 16, 1
	v_or_b32_e32 v8, 0x400000, v6
	v_cmp_u_f32_e32 vcc_lo, v6, v6
	v_add3_u32 v7, v7, v6, 0x7fff
	v_cndmask_b32_e32 v6, v7, v8, vcc_lo
	v_and_b32_e32 v7, 0xffff0000, v112
	v_and_b32_e32 v2, 0xffff0000, v6
	v_mul_f32_e32 v7, v9, v7
	v_add_f32_e32 v2, v2, v3
	v_bfe_u32 v8, v7, 16, 1
	v_or_b32_e32 v12, 0x400000, v7
	v_cmp_u_f32_e32 vcc_lo, v7, v7
	v_add_f32_e32 v1, v2, v1
	v_add3_u32 v8, v8, v7, 0x7fff
	v_cndmask_b32_e32 v7, v8, v12, vcc_lo
	v_lshlrev_b32_e32 v8, 16, v112
	v_and_b32_e32 v3, 0xffff0000, v7
	v_mul_f32_e32 v8, v11, v8
	v_bfe_u32 v12, v8, 16, 1
	v_or_b32_e32 v13, 0x400000, v8
	v_cmp_u_f32_e32 vcc_lo, v8, v8
	v_add3_u32 v12, v12, v8, 0x7fff
	v_cndmask_b32_e32 v8, v12, v13, vcc_lo
	v_and_b32_e32 v2, 0xffff0000, v8
	v_add_f32_e32 v2, v2, v3
	v_add_f32_e32 v1, v2, v1
	buffer_load_dword v2, off, s[40:43], 0 offset:104 ; 4-byte Folded Reload
	s_waitcnt vmcnt(0)
	v_add_f32_e32 v2, v2, v1
	v_and_b32_e32 v1, 0xffff0000, v97
	buffer_store_dword v2, off, s[40:43], 0 offset:104 ; 4-byte Folded Spill
	v_mul_f32_e32 v1, v102, v1
	v_bfe_u32 v2, v1, 16, 1
	v_or_b32_e32 v3, 0x400000, v1
	v_cmp_u_f32_e32 vcc_lo, v1, v1
	v_add3_u32 v2, v2, v1, 0x7fff
	v_cndmask_b32_e32 v1, v2, v3, vcc_lo
	v_lshlrev_b32_e32 v2, 16, v97
	v_and_b32_e32 v1, 0xffff0000, v1
	v_mul_f32_e32 v2, v105, v2
	v_bfe_u32 v3, v2, 16, 1
	v_or_b32_e32 v4, 0x400000, v2
	v_cmp_u_f32_e32 vcc_lo, v2, v2
	v_add3_u32 v3, v3, v2, 0x7fff
	v_cndmask_b32_e32 v2, v3, v4, vcc_lo
	v_and_b32_e32 v3, 0xffff0000, v98
	v_and_b32_e32 v2, 0xffff0000, v2
	v_mul_f32_e32 v3, v101, v3
	v_add_f32_e32 v1, v2, v1
	v_bfe_u32 v4, v3, 16, 1
	v_or_b32_e32 v5, 0x400000, v3
	v_cmp_u_f32_e32 vcc_lo, v3, v3
	v_add3_u32 v4, v4, v3, 0x7fff
	v_cndmask_b32_e32 v3, v4, v5, vcc_lo
	v_lshlrev_b32_e32 v4, 16, v98
	v_and_b32_e32 v3, 0xffff0000, v3
	v_mul_f32_e32 v4, v104, v4
	v_bfe_u32 v5, v4, 16, 1
	v_or_b32_e32 v6, 0x400000, v4
	v_cmp_u_f32_e32 vcc_lo, v4, v4
	v_add3_u32 v5, v5, v4, 0x7fff
	v_cndmask_b32_e32 v4, v5, v6, vcc_lo
	v_and_b32_e32 v5, 0xffff0000, v99
	v_and_b32_e32 v2, 0xffff0000, v4
	v_mul_f32_e32 v5, v10, v5
	v_add_f32_e32 v2, v2, v3
	v_bfe_u32 v6, v5, 16, 1
	v_or_b32_e32 v7, 0x400000, v5
	v_cmp_u_f32_e32 vcc_lo, v5, v5
	v_add_f32_e32 v1, v2, v1
	v_add3_u32 v6, v6, v5, 0x7fff
	v_cndmask_b32_e32 v5, v6, v7, vcc_lo
	v_lshlrev_b32_e32 v6, 16, v99
	v_and_b32_e32 v3, 0xffff0000, v5
	v_mul_f32_e32 v6, v103, v6
	v_bfe_u32 v7, v6, 16, 1
	v_or_b32_e32 v8, 0x400000, v6
	v_cmp_u_f32_e32 vcc_lo, v6, v6
	v_add3_u32 v7, v7, v6, 0x7fff
	v_cndmask_b32_e32 v6, v7, v8, vcc_lo
	v_and_b32_e32 v7, 0xffff0000, v100
	v_and_b32_e32 v2, 0xffff0000, v6
	v_mul_f32_e32 v7, v9, v7
	v_add_f32_e32 v2, v2, v3
	v_bfe_u32 v8, v7, 16, 1
	v_or_b32_e32 v12, 0x400000, v7
	v_cmp_u_f32_e32 vcc_lo, v7, v7
	v_add_f32_e32 v1, v2, v1
	v_add3_u32 v8, v8, v7, 0x7fff
	v_cndmask_b32_e32 v7, v8, v12, vcc_lo
	v_lshlrev_b32_e32 v8, 16, v100
	v_and_b32_e32 v3, 0xffff0000, v7
	v_mul_f32_e32 v8, v11, v8
	v_bfe_u32 v12, v8, 16, 1
	v_or_b32_e32 v13, 0x400000, v8
	v_cmp_u_f32_e32 vcc_lo, v8, v8
	v_add3_u32 v12, v12, v8, 0x7fff
	v_cndmask_b32_e32 v8, v12, v13, vcc_lo
	v_and_b32_e32 v2, 0xffff0000, v8
	v_add_f32_e32 v2, v2, v3
	v_add_f32_e32 v1, v2, v1
	buffer_load_dword v2, off, s[40:43], 0 offset:108 ; 4-byte Folded Reload
	s_waitcnt vmcnt(0)
	v_add_f32_e32 v2, v2, v1
	v_and_b32_e32 v1, 0xffff0000, v93
	buffer_store_dword v2, off, s[40:43], 0 offset:108 ; 4-byte Folded Spill
	v_mul_f32_e32 v1, v102, v1
	v_bfe_u32 v2, v1, 16, 1
	v_or_b32_e32 v3, 0x400000, v1
	v_cmp_u_f32_e32 vcc_lo, v1, v1
	v_add3_u32 v2, v2, v1, 0x7fff
	v_cndmask_b32_e32 v1, v2, v3, vcc_lo
	v_lshlrev_b32_e32 v2, 16, v93
	v_and_b32_e32 v1, 0xffff0000, v1
	v_mul_f32_e32 v2, v105, v2
	v_bfe_u32 v3, v2, 16, 1
	v_or_b32_e32 v4, 0x400000, v2
	v_cmp_u_f32_e32 vcc_lo, v2, v2
	v_add3_u32 v3, v3, v2, 0x7fff
	v_cndmask_b32_e32 v2, v3, v4, vcc_lo
	v_and_b32_e32 v3, 0xffff0000, v94
	v_and_b32_e32 v2, 0xffff0000, v2
	v_mul_f32_e32 v3, v101, v3
	v_add_f32_e32 v1, v2, v1
	v_bfe_u32 v4, v3, 16, 1
	v_or_b32_e32 v5, 0x400000, v3
	v_cmp_u_f32_e32 vcc_lo, v3, v3
	v_add3_u32 v4, v4, v3, 0x7fff
	v_cndmask_b32_e32 v3, v4, v5, vcc_lo
	v_lshlrev_b32_e32 v4, 16, v94
	v_and_b32_e32 v3, 0xffff0000, v3
	v_mul_f32_e32 v4, v104, v4
	v_bfe_u32 v5, v4, 16, 1
	v_or_b32_e32 v6, 0x400000, v4
	v_cmp_u_f32_e32 vcc_lo, v4, v4
	v_add3_u32 v5, v5, v4, 0x7fff
	v_cndmask_b32_e32 v4, v5, v6, vcc_lo
	v_and_b32_e32 v5, 0xffff0000, v95
	v_and_b32_e32 v2, 0xffff0000, v4
	v_mul_f32_e32 v5, v10, v5
	v_add_f32_e32 v2, v2, v3
	v_bfe_u32 v6, v5, 16, 1
	v_or_b32_e32 v7, 0x400000, v5
	v_cmp_u_f32_e32 vcc_lo, v5, v5
	v_add_f32_e32 v1, v2, v1
	v_add3_u32 v6, v6, v5, 0x7fff
	v_cndmask_b32_e32 v5, v6, v7, vcc_lo
	v_lshlrev_b32_e32 v6, 16, v95
	v_and_b32_e32 v3, 0xffff0000, v5
	v_mul_f32_e32 v6, v103, v6
	v_bfe_u32 v7, v6, 16, 1
	v_or_b32_e32 v8, 0x400000, v6
	v_cmp_u_f32_e32 vcc_lo, v6, v6
	v_add3_u32 v7, v7, v6, 0x7fff
	v_cndmask_b32_e32 v6, v7, v8, vcc_lo
	v_and_b32_e32 v7, 0xffff0000, v96
	v_and_b32_e32 v2, 0xffff0000, v6
	v_mul_f32_e32 v7, v9, v7
	v_add_f32_e32 v2, v2, v3
	v_bfe_u32 v8, v7, 16, 1
	v_or_b32_e32 v12, 0x400000, v7
	v_cmp_u_f32_e32 vcc_lo, v7, v7
	v_add_f32_e32 v1, v2, v1
	v_add3_u32 v8, v8, v7, 0x7fff
	v_cndmask_b32_e32 v7, v8, v12, vcc_lo
	v_lshlrev_b32_e32 v8, 16, v96
	v_and_b32_e32 v3, 0xffff0000, v7
	v_mul_f32_e32 v8, v11, v8
	v_bfe_u32 v12, v8, 16, 1
	v_or_b32_e32 v13, 0x400000, v8
	v_cmp_u_f32_e32 vcc_lo, v8, v8
	v_add3_u32 v12, v12, v8, 0x7fff
	v_cndmask_b32_e32 v8, v12, v13, vcc_lo
	v_and_b32_e32 v2, 0xffff0000, v8
	v_add_f32_e32 v2, v2, v3
	v_add_f32_e32 v1, v2, v1
	buffer_load_dword v2, off, s[40:43], 0 offset:112 ; 4-byte Folded Reload
	s_waitcnt vmcnt(0)
	v_add_f32_e32 v2, v2, v1
	v_and_b32_e32 v1, 0xffff0000, v89
	buffer_store_dword v2, off, s[40:43], 0 offset:112 ; 4-byte Folded Spill
	v_mul_f32_e32 v1, v102, v1
	v_bfe_u32 v2, v1, 16, 1
	v_or_b32_e32 v3, 0x400000, v1
	v_cmp_u_f32_e32 vcc_lo, v1, v1
	v_add3_u32 v2, v2, v1, 0x7fff
	v_cndmask_b32_e32 v1, v2, v3, vcc_lo
	v_lshlrev_b32_e32 v2, 16, v89
	v_and_b32_e32 v1, 0xffff0000, v1
	v_mul_f32_e32 v2, v105, v2
	v_bfe_u32 v3, v2, 16, 1
	v_or_b32_e32 v4, 0x400000, v2
	v_cmp_u_f32_e32 vcc_lo, v2, v2
	v_add3_u32 v3, v3, v2, 0x7fff
	v_cndmask_b32_e32 v2, v3, v4, vcc_lo
	v_and_b32_e32 v3, 0xffff0000, v90
	v_and_b32_e32 v2, 0xffff0000, v2
	v_mul_f32_e32 v3, v101, v3
	v_add_f32_e32 v1, v2, v1
	v_bfe_u32 v4, v3, 16, 1
	v_or_b32_e32 v5, 0x400000, v3
	v_cmp_u_f32_e32 vcc_lo, v3, v3
	v_add3_u32 v4, v4, v3, 0x7fff
	v_cndmask_b32_e32 v3, v4, v5, vcc_lo
	v_lshlrev_b32_e32 v4, 16, v90
	v_and_b32_e32 v3, 0xffff0000, v3
	v_mul_f32_e32 v4, v104, v4
	v_bfe_u32 v5, v4, 16, 1
	v_or_b32_e32 v6, 0x400000, v4
	v_cmp_u_f32_e32 vcc_lo, v4, v4
	v_add3_u32 v5, v5, v4, 0x7fff
	v_cndmask_b32_e32 v4, v5, v6, vcc_lo
	v_and_b32_e32 v5, 0xffff0000, v91
	v_and_b32_e32 v2, 0xffff0000, v4
	v_mul_f32_e32 v5, v10, v5
	v_add_f32_e32 v2, v2, v3
	v_bfe_u32 v6, v5, 16, 1
	v_or_b32_e32 v7, 0x400000, v5
	v_cmp_u_f32_e32 vcc_lo, v5, v5
	v_add_f32_e32 v1, v2, v1
	v_add3_u32 v6, v6, v5, 0x7fff
	v_cndmask_b32_e32 v5, v6, v7, vcc_lo
	v_lshlrev_b32_e32 v6, 16, v91
	v_and_b32_e32 v3, 0xffff0000, v5
	v_mul_f32_e32 v6, v103, v6
	v_bfe_u32 v7, v6, 16, 1
	v_or_b32_e32 v8, 0x400000, v6
	v_cmp_u_f32_e32 vcc_lo, v6, v6
	v_add3_u32 v7, v7, v6, 0x7fff
	v_cndmask_b32_e32 v6, v7, v8, vcc_lo
	v_and_b32_e32 v7, 0xffff0000, v92
	v_and_b32_e32 v2, 0xffff0000, v6
	v_mul_f32_e32 v7, v9, v7
	v_add_f32_e32 v2, v2, v3
	v_bfe_u32 v8, v7, 16, 1
	v_or_b32_e32 v12, 0x400000, v7
	v_cmp_u_f32_e32 vcc_lo, v7, v7
	v_add_f32_e32 v1, v2, v1
	v_add3_u32 v8, v8, v7, 0x7fff
	v_cndmask_b32_e32 v7, v8, v12, vcc_lo
	v_lshlrev_b32_e32 v8, 16, v92
	v_and_b32_e32 v3, 0xffff0000, v7
	v_mul_f32_e32 v8, v11, v8
	v_bfe_u32 v12, v8, 16, 1
	v_or_b32_e32 v13, 0x400000, v8
	v_cmp_u_f32_e32 vcc_lo, v8, v8
	v_add3_u32 v12, v12, v8, 0x7fff
	v_cndmask_b32_e32 v8, v12, v13, vcc_lo
	v_and_b32_e32 v2, 0xffff0000, v8
	v_add_f32_e32 v2, v2, v3
	v_add_f32_e32 v1, v2, v1
	buffer_load_dword v2, off, s[40:43], 0 offset:116 ; 4-byte Folded Reload
	s_waitcnt vmcnt(0)
	v_add_f32_e32 v2, v2, v1
	v_and_b32_e32 v1, 0xffff0000, v85
	buffer_store_dword v2, off, s[40:43], 0 offset:116 ; 4-byte Folded Spill
	v_mul_f32_e32 v1, v102, v1
	v_bfe_u32 v2, v1, 16, 1
	v_or_b32_e32 v3, 0x400000, v1
	v_cmp_u_f32_e32 vcc_lo, v1, v1
	v_add3_u32 v2, v2, v1, 0x7fff
	v_cndmask_b32_e32 v1, v2, v3, vcc_lo
	v_lshlrev_b32_e32 v2, 16, v85
	v_and_b32_e32 v1, 0xffff0000, v1
	v_mul_f32_e32 v2, v105, v2
	v_bfe_u32 v3, v2, 16, 1
	v_or_b32_e32 v4, 0x400000, v2
	v_cmp_u_f32_e32 vcc_lo, v2, v2
	v_add3_u32 v3, v3, v2, 0x7fff
	v_cndmask_b32_e32 v2, v3, v4, vcc_lo
	v_and_b32_e32 v3, 0xffff0000, v86
	v_and_b32_e32 v2, 0xffff0000, v2
	v_mul_f32_e32 v3, v101, v3
	v_add_f32_e32 v1, v2, v1
	v_bfe_u32 v4, v3, 16, 1
	v_or_b32_e32 v5, 0x400000, v3
	v_cmp_u_f32_e32 vcc_lo, v3, v3
	v_add3_u32 v4, v4, v3, 0x7fff
	v_cndmask_b32_e32 v3, v4, v5, vcc_lo
	v_lshlrev_b32_e32 v4, 16, v86
	v_and_b32_e32 v3, 0xffff0000, v3
	v_mul_f32_e32 v4, v104, v4
	v_bfe_u32 v5, v4, 16, 1
	v_or_b32_e32 v6, 0x400000, v4
	v_cmp_u_f32_e32 vcc_lo, v4, v4
	v_add3_u32 v5, v5, v4, 0x7fff
	v_cndmask_b32_e32 v4, v5, v6, vcc_lo
	v_and_b32_e32 v5, 0xffff0000, v87
	v_and_b32_e32 v2, 0xffff0000, v4
	v_mul_f32_e32 v5, v10, v5
	v_add_f32_e32 v2, v2, v3
	v_bfe_u32 v6, v5, 16, 1
	v_or_b32_e32 v7, 0x400000, v5
	v_cmp_u_f32_e32 vcc_lo, v5, v5
	v_add_f32_e32 v1, v2, v1
	v_add3_u32 v6, v6, v5, 0x7fff
	v_cndmask_b32_e32 v5, v6, v7, vcc_lo
	v_lshlrev_b32_e32 v6, 16, v87
	v_and_b32_e32 v3, 0xffff0000, v5
	v_mul_f32_e32 v6, v103, v6
	v_bfe_u32 v7, v6, 16, 1
	v_or_b32_e32 v8, 0x400000, v6
	v_cmp_u_f32_e32 vcc_lo, v6, v6
	v_add3_u32 v7, v7, v6, 0x7fff
	v_cndmask_b32_e32 v6, v7, v8, vcc_lo
	v_and_b32_e32 v7, 0xffff0000, v88
	v_and_b32_e32 v2, 0xffff0000, v6
	v_mul_f32_e32 v7, v9, v7
	v_add_f32_e32 v2, v2, v3
	v_bfe_u32 v8, v7, 16, 1
	v_or_b32_e32 v12, 0x400000, v7
	v_cmp_u_f32_e32 vcc_lo, v7, v7
	v_add_f32_e32 v1, v2, v1
	v_add3_u32 v8, v8, v7, 0x7fff
	v_cndmask_b32_e32 v7, v8, v12, vcc_lo
	v_lshlrev_b32_e32 v8, 16, v88
	v_and_b32_e32 v3, 0xffff0000, v7
	v_mul_f32_e32 v8, v11, v8
	v_bfe_u32 v12, v8, 16, 1
	v_or_b32_e32 v13, 0x400000, v8
	v_cmp_u_f32_e32 vcc_lo, v8, v8
	v_add3_u32 v12, v12, v8, 0x7fff
	v_cndmask_b32_e32 v8, v12, v13, vcc_lo
	v_and_b32_e32 v2, 0xffff0000, v8
	v_add_f32_e32 v2, v2, v3
	v_add_f32_e32 v1, v2, v1
	buffer_load_dword v2, off, s[40:43], 0 offset:120 ; 4-byte Folded Reload
	s_waitcnt vmcnt(0)
	v_add_f32_e32 v2, v2, v1
	v_and_b32_e32 v1, 0xffff0000, v81
	buffer_store_dword v2, off, s[40:43], 0 offset:120 ; 4-byte Folded Spill
	v_mul_f32_e32 v1, v102, v1
	v_bfe_u32 v2, v1, 16, 1
	v_or_b32_e32 v3, 0x400000, v1
	v_cmp_u_f32_e32 vcc_lo, v1, v1
	v_add3_u32 v2, v2, v1, 0x7fff
	v_cndmask_b32_e32 v1, v2, v3, vcc_lo
	v_lshlrev_b32_e32 v2, 16, v81
	v_and_b32_e32 v1, 0xffff0000, v1
	v_mul_f32_e32 v2, v105, v2
	v_bfe_u32 v3, v2, 16, 1
	v_or_b32_e32 v4, 0x400000, v2
	v_cmp_u_f32_e32 vcc_lo, v2, v2
	v_add3_u32 v3, v3, v2, 0x7fff
	v_cndmask_b32_e32 v2, v3, v4, vcc_lo
	v_and_b32_e32 v3, 0xffff0000, v82
	v_and_b32_e32 v2, 0xffff0000, v2
	v_mul_f32_e32 v3, v101, v3
	v_add_f32_e32 v1, v2, v1
	v_bfe_u32 v4, v3, 16, 1
	v_or_b32_e32 v5, 0x400000, v3
	v_cmp_u_f32_e32 vcc_lo, v3, v3
	v_add3_u32 v4, v4, v3, 0x7fff
	v_cndmask_b32_e32 v3, v4, v5, vcc_lo
	v_lshlrev_b32_e32 v4, 16, v82
	v_and_b32_e32 v3, 0xffff0000, v3
	v_mul_f32_e32 v4, v104, v4
	v_bfe_u32 v5, v4, 16, 1
	v_or_b32_e32 v6, 0x400000, v4
	v_cmp_u_f32_e32 vcc_lo, v4, v4
	v_add3_u32 v5, v5, v4, 0x7fff
	v_cndmask_b32_e32 v4, v5, v6, vcc_lo
	v_and_b32_e32 v5, 0xffff0000, v83
	v_and_b32_e32 v2, 0xffff0000, v4
	v_mul_f32_e32 v5, v10, v5
	v_add_f32_e32 v2, v2, v3
	v_bfe_u32 v6, v5, 16, 1
	v_or_b32_e32 v7, 0x400000, v5
	v_cmp_u_f32_e32 vcc_lo, v5, v5
	v_add_f32_e32 v1, v2, v1
	v_add3_u32 v6, v6, v5, 0x7fff
	v_cndmask_b32_e32 v5, v6, v7, vcc_lo
	v_lshlrev_b32_e32 v6, 16, v83
	v_and_b32_e32 v3, 0xffff0000, v5
	v_mul_f32_e32 v6, v103, v6
	v_bfe_u32 v7, v6, 16, 1
	v_or_b32_e32 v8, 0x400000, v6
	v_cmp_u_f32_e32 vcc_lo, v6, v6
	v_add3_u32 v7, v7, v6, 0x7fff
	v_cndmask_b32_e32 v6, v7, v8, vcc_lo
	v_and_b32_e32 v7, 0xffff0000, v84
	v_and_b32_e32 v2, 0xffff0000, v6
	v_mul_f32_e32 v7, v9, v7
	v_add_f32_e32 v2, v2, v3
	v_bfe_u32 v8, v7, 16, 1
	v_or_b32_e32 v12, 0x400000, v7
	v_cmp_u_f32_e32 vcc_lo, v7, v7
	v_add_f32_e32 v1, v2, v1
	v_add3_u32 v8, v8, v7, 0x7fff
	v_cndmask_b32_e32 v7, v8, v12, vcc_lo
	v_lshlrev_b32_e32 v8, 16, v84
	v_and_b32_e32 v3, 0xffff0000, v7
	v_mul_f32_e32 v8, v11, v8
	v_bfe_u32 v12, v8, 16, 1
	v_or_b32_e32 v13, 0x400000, v8
	v_cmp_u_f32_e32 vcc_lo, v8, v8
	v_add3_u32 v12, v12, v8, 0x7fff
	v_cndmask_b32_e32 v8, v12, v13, vcc_lo
	v_and_b32_e32 v2, 0xffff0000, v8
	v_add_f32_e32 v2, v2, v3
	v_add_f32_e32 v1, v2, v1
	buffer_load_dword v2, off, s[40:43], 0 offset:124 ; 4-byte Folded Reload
	s_waitcnt vmcnt(0)
	v_add_f32_e32 v2, v2, v1
	v_and_b32_e32 v1, 0xffff0000, v77
	buffer_store_dword v2, off, s[40:43], 0 offset:124 ; 4-byte Folded Spill
	v_mul_f32_e32 v1, v102, v1
	v_bfe_u32 v2, v1, 16, 1
	v_or_b32_e32 v3, 0x400000, v1
	v_cmp_u_f32_e32 vcc_lo, v1, v1
	v_add3_u32 v2, v2, v1, 0x7fff
	v_cndmask_b32_e32 v1, v2, v3, vcc_lo
	v_lshlrev_b32_e32 v2, 16, v77
	v_and_b32_e32 v1, 0xffff0000, v1
	v_mul_f32_e32 v2, v105, v2
	v_bfe_u32 v3, v2, 16, 1
	v_or_b32_e32 v4, 0x400000, v2
	v_cmp_u_f32_e32 vcc_lo, v2, v2
	v_add3_u32 v3, v3, v2, 0x7fff
	v_cndmask_b32_e32 v2, v3, v4, vcc_lo
	v_and_b32_e32 v3, 0xffff0000, v78
	v_and_b32_e32 v2, 0xffff0000, v2
	v_mul_f32_e32 v3, v101, v3
	v_add_f32_e32 v1, v2, v1
	v_bfe_u32 v4, v3, 16, 1
	v_or_b32_e32 v5, 0x400000, v3
	v_cmp_u_f32_e32 vcc_lo, v3, v3
	v_add3_u32 v4, v4, v3, 0x7fff
	v_cndmask_b32_e32 v3, v4, v5, vcc_lo
	v_lshlrev_b32_e32 v4, 16, v78
	v_and_b32_e32 v3, 0xffff0000, v3
	v_mul_f32_e32 v4, v104, v4
	v_bfe_u32 v5, v4, 16, 1
	v_or_b32_e32 v6, 0x400000, v4
	v_cmp_u_f32_e32 vcc_lo, v4, v4
	v_add3_u32 v5, v5, v4, 0x7fff
	v_cndmask_b32_e32 v4, v5, v6, vcc_lo
	v_and_b32_e32 v5, 0xffff0000, v79
	v_and_b32_e32 v2, 0xffff0000, v4
	v_mul_f32_e32 v5, v10, v5
	v_add_f32_e32 v2, v2, v3
	v_bfe_u32 v6, v5, 16, 1
	v_or_b32_e32 v7, 0x400000, v5
	v_cmp_u_f32_e32 vcc_lo, v5, v5
	v_add_f32_e32 v1, v2, v1
	v_add3_u32 v6, v6, v5, 0x7fff
	v_cndmask_b32_e32 v5, v6, v7, vcc_lo
	v_lshlrev_b32_e32 v6, 16, v79
	v_and_b32_e32 v3, 0xffff0000, v5
	v_mul_f32_e32 v6, v103, v6
	v_bfe_u32 v7, v6, 16, 1
	v_or_b32_e32 v8, 0x400000, v6
	v_cmp_u_f32_e32 vcc_lo, v6, v6
	v_add3_u32 v7, v7, v6, 0x7fff
	v_cndmask_b32_e32 v6, v7, v8, vcc_lo
	v_and_b32_e32 v7, 0xffff0000, v80
	v_and_b32_e32 v2, 0xffff0000, v6
	v_mul_f32_e32 v7, v9, v7
	v_add_f32_e32 v2, v2, v3
	v_bfe_u32 v8, v7, 16, 1
	v_or_b32_e32 v12, 0x400000, v7
	v_cmp_u_f32_e32 vcc_lo, v7, v7
	v_add_f32_e32 v1, v2, v1
	v_add3_u32 v8, v8, v7, 0x7fff
	v_cndmask_b32_e32 v7, v8, v12, vcc_lo
	v_lshlrev_b32_e32 v8, 16, v80
	v_and_b32_e32 v3, 0xffff0000, v7
	v_mul_f32_e32 v8, v11, v8
	v_bfe_u32 v12, v8, 16, 1
	v_or_b32_e32 v13, 0x400000, v8
	v_cmp_u_f32_e32 vcc_lo, v8, v8
	v_add3_u32 v12, v12, v8, 0x7fff
	v_cndmask_b32_e32 v8, v12, v13, vcc_lo
	v_and_b32_e32 v2, 0xffff0000, v8
	v_add_f32_e32 v2, v2, v3
	v_add_f32_e32 v1, v2, v1
	buffer_load_dword v2, off, s[40:43], 0 offset:128 ; 4-byte Folded Reload
	s_waitcnt vmcnt(0)
	v_add_f32_e32 v2, v2, v1
	v_and_b32_e32 v1, 0xffff0000, v73
	buffer_store_dword v2, off, s[40:43], 0 offset:128 ; 4-byte Folded Spill
	v_mul_f32_e32 v1, v102, v1
	v_bfe_u32 v2, v1, 16, 1
	v_or_b32_e32 v3, 0x400000, v1
	v_cmp_u_f32_e32 vcc_lo, v1, v1
	v_add3_u32 v2, v2, v1, 0x7fff
	v_cndmask_b32_e32 v1, v2, v3, vcc_lo
	v_lshlrev_b32_e32 v2, 16, v73
	v_and_b32_e32 v1, 0xffff0000, v1
	v_mul_f32_e32 v2, v105, v2
	v_bfe_u32 v3, v2, 16, 1
	v_or_b32_e32 v4, 0x400000, v2
	v_cmp_u_f32_e32 vcc_lo, v2, v2
	v_add3_u32 v3, v3, v2, 0x7fff
	v_cndmask_b32_e32 v2, v3, v4, vcc_lo
	v_and_b32_e32 v3, 0xffff0000, v74
	v_and_b32_e32 v2, 0xffff0000, v2
	v_mul_f32_e32 v3, v101, v3
	v_add_f32_e32 v1, v2, v1
	v_bfe_u32 v4, v3, 16, 1
	v_or_b32_e32 v5, 0x400000, v3
	v_cmp_u_f32_e32 vcc_lo, v3, v3
	v_add3_u32 v4, v4, v3, 0x7fff
	v_cndmask_b32_e32 v3, v4, v5, vcc_lo
	v_lshlrev_b32_e32 v4, 16, v74
	v_and_b32_e32 v3, 0xffff0000, v3
	v_mul_f32_e32 v4, v104, v4
	v_bfe_u32 v5, v4, 16, 1
	v_or_b32_e32 v6, 0x400000, v4
	v_cmp_u_f32_e32 vcc_lo, v4, v4
	v_add3_u32 v5, v5, v4, 0x7fff
	v_cndmask_b32_e32 v4, v5, v6, vcc_lo
	v_and_b32_e32 v5, 0xffff0000, v75
	v_and_b32_e32 v2, 0xffff0000, v4
	v_mul_f32_e32 v5, v10, v5
	v_add_f32_e32 v2, v2, v3
	v_bfe_u32 v6, v5, 16, 1
	v_or_b32_e32 v7, 0x400000, v5
	v_cmp_u_f32_e32 vcc_lo, v5, v5
	v_add_f32_e32 v1, v2, v1
	v_add3_u32 v6, v6, v5, 0x7fff
	v_cndmask_b32_e32 v5, v6, v7, vcc_lo
	v_lshlrev_b32_e32 v6, 16, v75
	v_and_b32_e32 v3, 0xffff0000, v5
	v_mul_f32_e32 v6, v103, v6
	v_bfe_u32 v7, v6, 16, 1
	v_or_b32_e32 v8, 0x400000, v6
	v_cmp_u_f32_e32 vcc_lo, v6, v6
	v_add3_u32 v7, v7, v6, 0x7fff
	v_cndmask_b32_e32 v6, v7, v8, vcc_lo
	v_and_b32_e32 v7, 0xffff0000, v76
	v_and_b32_e32 v2, 0xffff0000, v6
	v_mul_f32_e32 v7, v9, v7
	v_add_f32_e32 v2, v2, v3
	v_bfe_u32 v8, v7, 16, 1
	v_or_b32_e32 v12, 0x400000, v7
	v_cmp_u_f32_e32 vcc_lo, v7, v7
	v_add_f32_e32 v1, v2, v1
	v_add3_u32 v8, v8, v7, 0x7fff
	v_cndmask_b32_e32 v7, v8, v12, vcc_lo
	v_lshlrev_b32_e32 v8, 16, v76
	v_and_b32_e32 v3, 0xffff0000, v7
	v_mul_f32_e32 v8, v11, v8
	v_bfe_u32 v12, v8, 16, 1
	v_or_b32_e32 v13, 0x400000, v8
	v_cmp_u_f32_e32 vcc_lo, v8, v8
	v_add3_u32 v12, v12, v8, 0x7fff
	v_cndmask_b32_e32 v8, v12, v13, vcc_lo
	v_and_b32_e32 v2, 0xffff0000, v8
	v_add_f32_e32 v2, v2, v3
	v_add_f32_e32 v1, v2, v1
	buffer_load_dword v2, off, s[40:43], 0 offset:132 ; 4-byte Folded Reload
	s_waitcnt vmcnt(0)
	v_add_f32_e32 v2, v2, v1
	v_and_b32_e32 v1, 0xffff0000, v69
	buffer_store_dword v2, off, s[40:43], 0 offset:132 ; 4-byte Folded Spill
	v_mul_f32_e32 v1, v102, v1
	v_bfe_u32 v2, v1, 16, 1
	v_or_b32_e32 v3, 0x400000, v1
	v_cmp_u_f32_e32 vcc_lo, v1, v1
	v_add3_u32 v2, v2, v1, 0x7fff
	v_cndmask_b32_e32 v1, v2, v3, vcc_lo
	v_lshlrev_b32_e32 v2, 16, v69
	v_and_b32_e32 v1, 0xffff0000, v1
	v_mul_f32_e32 v2, v105, v2
	v_bfe_u32 v3, v2, 16, 1
	v_or_b32_e32 v4, 0x400000, v2
	v_cmp_u_f32_e32 vcc_lo, v2, v2
	v_add3_u32 v3, v3, v2, 0x7fff
	v_cndmask_b32_e32 v2, v3, v4, vcc_lo
	v_and_b32_e32 v3, 0xffff0000, v70
	v_and_b32_e32 v2, 0xffff0000, v2
	v_mul_f32_e32 v3, v101, v3
	v_add_f32_e32 v1, v2, v1
	v_bfe_u32 v4, v3, 16, 1
	v_or_b32_e32 v5, 0x400000, v3
	v_cmp_u_f32_e32 vcc_lo, v3, v3
	v_add3_u32 v4, v4, v3, 0x7fff
	v_cndmask_b32_e32 v3, v4, v5, vcc_lo
	v_lshlrev_b32_e32 v4, 16, v70
	v_and_b32_e32 v3, 0xffff0000, v3
	v_mul_f32_e32 v4, v104, v4
	v_bfe_u32 v5, v4, 16, 1
	v_or_b32_e32 v6, 0x400000, v4
	v_cmp_u_f32_e32 vcc_lo, v4, v4
	v_add3_u32 v5, v5, v4, 0x7fff
	v_cndmask_b32_e32 v4, v5, v6, vcc_lo
	v_and_b32_e32 v5, 0xffff0000, v71
	v_and_b32_e32 v2, 0xffff0000, v4
	v_mul_f32_e32 v5, v10, v5
	v_add_f32_e32 v2, v2, v3
	v_bfe_u32 v6, v5, 16, 1
	v_or_b32_e32 v7, 0x400000, v5
	v_cmp_u_f32_e32 vcc_lo, v5, v5
	v_add_f32_e32 v1, v2, v1
	v_add3_u32 v6, v6, v5, 0x7fff
	v_cndmask_b32_e32 v5, v6, v7, vcc_lo
	v_lshlrev_b32_e32 v6, 16, v71
	v_and_b32_e32 v3, 0xffff0000, v5
	v_mul_f32_e32 v6, v103, v6
	v_bfe_u32 v7, v6, 16, 1
	v_or_b32_e32 v8, 0x400000, v6
	v_cmp_u_f32_e32 vcc_lo, v6, v6
	v_add3_u32 v7, v7, v6, 0x7fff
	v_cndmask_b32_e32 v6, v7, v8, vcc_lo
	v_and_b32_e32 v7, 0xffff0000, v72
	v_and_b32_e32 v2, 0xffff0000, v6
	v_mul_f32_e32 v7, v9, v7
	v_add_f32_e32 v2, v2, v3
	v_bfe_u32 v8, v7, 16, 1
	v_or_b32_e32 v12, 0x400000, v7
	v_cmp_u_f32_e32 vcc_lo, v7, v7
	v_add_f32_e32 v1, v2, v1
	v_add3_u32 v8, v8, v7, 0x7fff
	v_cndmask_b32_e32 v7, v8, v12, vcc_lo
	v_lshlrev_b32_e32 v8, 16, v72
	v_and_b32_e32 v3, 0xffff0000, v7
	v_mul_f32_e32 v8, v11, v8
	v_bfe_u32 v12, v8, 16, 1
	v_or_b32_e32 v13, 0x400000, v8
	v_cmp_u_f32_e32 vcc_lo, v8, v8
	v_add3_u32 v12, v12, v8, 0x7fff
	v_cndmask_b32_e32 v8, v12, v13, vcc_lo
	v_and_b32_e32 v2, 0xffff0000, v8
	v_add_f32_e32 v2, v2, v3
	v_add_f32_e32 v1, v2, v1
	buffer_load_dword v2, off, s[40:43], 0 offset:136 ; 4-byte Folded Reload
	s_waitcnt vmcnt(0)
	v_add_f32_e32 v2, v2, v1
	v_and_b32_e32 v1, 0xffff0000, v65
	buffer_store_dword v2, off, s[40:43], 0 offset:136 ; 4-byte Folded Spill
	v_mul_f32_e32 v1, v102, v1
	v_bfe_u32 v2, v1, 16, 1
	v_or_b32_e32 v3, 0x400000, v1
	v_cmp_u_f32_e32 vcc_lo, v1, v1
	v_add3_u32 v2, v2, v1, 0x7fff
	v_cndmask_b32_e32 v1, v2, v3, vcc_lo
	v_lshlrev_b32_e32 v2, 16, v65
	v_and_b32_e32 v1, 0xffff0000, v1
	v_mul_f32_e32 v2, v105, v2
	v_bfe_u32 v3, v2, 16, 1
	v_or_b32_e32 v4, 0x400000, v2
	v_cmp_u_f32_e32 vcc_lo, v2, v2
	v_add3_u32 v3, v3, v2, 0x7fff
	v_cndmask_b32_e32 v2, v3, v4, vcc_lo
	v_and_b32_e32 v3, 0xffff0000, v66
	v_and_b32_e32 v2, 0xffff0000, v2
	v_mul_f32_e32 v3, v101, v3
	v_add_f32_e32 v1, v2, v1
	v_bfe_u32 v4, v3, 16, 1
	v_or_b32_e32 v5, 0x400000, v3
	v_cmp_u_f32_e32 vcc_lo, v3, v3
	v_add3_u32 v4, v4, v3, 0x7fff
	v_cndmask_b32_e32 v3, v4, v5, vcc_lo
	v_lshlrev_b32_e32 v4, 16, v66
	v_and_b32_e32 v3, 0xffff0000, v3
	v_mul_f32_e32 v4, v104, v4
	v_bfe_u32 v5, v4, 16, 1
	v_or_b32_e32 v6, 0x400000, v4
	v_cmp_u_f32_e32 vcc_lo, v4, v4
	v_add3_u32 v5, v5, v4, 0x7fff
	v_cndmask_b32_e32 v4, v5, v6, vcc_lo
	v_and_b32_e32 v5, 0xffff0000, v67
	v_and_b32_e32 v2, 0xffff0000, v4
	v_mul_f32_e32 v5, v10, v5
	v_add_f32_e32 v2, v2, v3
	v_bfe_u32 v6, v5, 16, 1
	v_or_b32_e32 v7, 0x400000, v5
	v_cmp_u_f32_e32 vcc_lo, v5, v5
	v_add_f32_e32 v1, v2, v1
	v_add3_u32 v6, v6, v5, 0x7fff
	v_cndmask_b32_e32 v5, v6, v7, vcc_lo
	v_lshlrev_b32_e32 v6, 16, v67
	v_and_b32_e32 v3, 0xffff0000, v5
	v_mul_f32_e32 v6, v103, v6
	v_bfe_u32 v7, v6, 16, 1
	v_or_b32_e32 v8, 0x400000, v6
	v_cmp_u_f32_e32 vcc_lo, v6, v6
	v_add3_u32 v7, v7, v6, 0x7fff
	v_cndmask_b32_e32 v6, v7, v8, vcc_lo
	v_and_b32_e32 v7, 0xffff0000, v68
	v_and_b32_e32 v2, 0xffff0000, v6
	v_mul_f32_e32 v7, v9, v7
	v_add_f32_e32 v2, v2, v3
	v_bfe_u32 v8, v7, 16, 1
	v_or_b32_e32 v12, 0x400000, v7
	v_cmp_u_f32_e32 vcc_lo, v7, v7
	v_add_f32_e32 v1, v2, v1
	v_add3_u32 v8, v8, v7, 0x7fff
	v_cndmask_b32_e32 v7, v8, v12, vcc_lo
	v_lshlrev_b32_e32 v8, 16, v68
	v_and_b32_e32 v3, 0xffff0000, v7
	v_mul_f32_e32 v8, v11, v8
	v_bfe_u32 v12, v8, 16, 1
	v_or_b32_e32 v13, 0x400000, v8
	v_cmp_u_f32_e32 vcc_lo, v8, v8
	v_add3_u32 v12, v12, v8, 0x7fff
	v_cndmask_b32_e32 v8, v12, v13, vcc_lo
	v_and_b32_e32 v2, 0xffff0000, v8
	v_add_f32_e32 v2, v2, v3
	v_add_f32_e32 v1, v2, v1
	buffer_load_dword v2, off, s[40:43], 0 offset:140 ; 4-byte Folded Reload
	s_waitcnt vmcnt(0)
	v_add_f32_e32 v2, v2, v1
	v_and_b32_e32 v1, 0xffff0000, v61
	buffer_store_dword v2, off, s[40:43], 0 offset:140 ; 4-byte Folded Spill
	v_mul_f32_e32 v1, v102, v1
	v_bfe_u32 v2, v1, 16, 1
	v_or_b32_e32 v3, 0x400000, v1
	v_cmp_u_f32_e32 vcc_lo, v1, v1
	v_add3_u32 v2, v2, v1, 0x7fff
	v_cndmask_b32_e32 v1, v2, v3, vcc_lo
	v_lshlrev_b32_e32 v2, 16, v61
	v_and_b32_e32 v1, 0xffff0000, v1
	v_mul_f32_e32 v2, v105, v2
	v_bfe_u32 v3, v2, 16, 1
	v_or_b32_e32 v4, 0x400000, v2
	v_cmp_u_f32_e32 vcc_lo, v2, v2
	v_add3_u32 v3, v3, v2, 0x7fff
	v_cndmask_b32_e32 v2, v3, v4, vcc_lo
	v_and_b32_e32 v3, 0xffff0000, v62
	v_and_b32_e32 v2, 0xffff0000, v2
	v_mul_f32_e32 v3, v101, v3
	v_add_f32_e32 v1, v2, v1
	v_bfe_u32 v4, v3, 16, 1
	v_or_b32_e32 v5, 0x400000, v3
	v_cmp_u_f32_e32 vcc_lo, v3, v3
	v_add3_u32 v4, v4, v3, 0x7fff
	v_cndmask_b32_e32 v3, v4, v5, vcc_lo
	v_lshlrev_b32_e32 v4, 16, v62
	v_and_b32_e32 v3, 0xffff0000, v3
	v_mul_f32_e32 v4, v104, v4
	v_bfe_u32 v5, v4, 16, 1
	v_or_b32_e32 v6, 0x400000, v4
	v_cmp_u_f32_e32 vcc_lo, v4, v4
	v_add3_u32 v5, v5, v4, 0x7fff
	v_cndmask_b32_e32 v4, v5, v6, vcc_lo
	v_and_b32_e32 v5, 0xffff0000, v63
	v_and_b32_e32 v2, 0xffff0000, v4
	v_mul_f32_e32 v5, v10, v5
	v_add_f32_e32 v2, v2, v3
	v_bfe_u32 v6, v5, 16, 1
	v_or_b32_e32 v7, 0x400000, v5
	v_cmp_u_f32_e32 vcc_lo, v5, v5
	v_add_f32_e32 v1, v2, v1
	v_add3_u32 v6, v6, v5, 0x7fff
	v_cndmask_b32_e32 v5, v6, v7, vcc_lo
	v_lshlrev_b32_e32 v6, 16, v63
	v_and_b32_e32 v3, 0xffff0000, v5
	v_mul_f32_e32 v6, v103, v6
	v_bfe_u32 v7, v6, 16, 1
	v_or_b32_e32 v8, 0x400000, v6
	v_cmp_u_f32_e32 vcc_lo, v6, v6
	v_add3_u32 v7, v7, v6, 0x7fff
	v_cndmask_b32_e32 v6, v7, v8, vcc_lo
	v_and_b32_e32 v7, 0xffff0000, v64
	v_and_b32_e32 v2, 0xffff0000, v6
	v_mul_f32_e32 v7, v9, v7
	v_add_f32_e32 v2, v2, v3
	v_bfe_u32 v8, v7, 16, 1
	v_or_b32_e32 v12, 0x400000, v7
	v_cmp_u_f32_e32 vcc_lo, v7, v7
	v_add_f32_e32 v1, v2, v1
	v_add3_u32 v8, v8, v7, 0x7fff
	v_cndmask_b32_e32 v7, v8, v12, vcc_lo
	v_lshlrev_b32_e32 v8, 16, v64
	v_and_b32_e32 v3, 0xffff0000, v7
	v_mul_f32_e32 v8, v11, v8
	v_bfe_u32 v12, v8, 16, 1
	v_or_b32_e32 v13, 0x400000, v8
	v_cmp_u_f32_e32 vcc_lo, v8, v8
	v_add3_u32 v12, v12, v8, 0x7fff
	v_cndmask_b32_e32 v8, v12, v13, vcc_lo
	v_and_b32_e32 v2, 0xffff0000, v8
	v_add_f32_e32 v2, v2, v3
	v_add_f32_e32 v1, v2, v1
	buffer_load_dword v2, off, s[40:43], 0 offset:144 ; 4-byte Folded Reload
	s_waitcnt vmcnt(0)
	v_add_f32_e32 v2, v2, v1
	v_and_b32_e32 v1, 0xffff0000, v57
	buffer_store_dword v2, off, s[40:43], 0 offset:144 ; 4-byte Folded Spill
	v_mul_f32_e32 v1, v102, v1
	v_bfe_u32 v2, v1, 16, 1
	v_or_b32_e32 v3, 0x400000, v1
	v_cmp_u_f32_e32 vcc_lo, v1, v1
	v_add3_u32 v2, v2, v1, 0x7fff
	v_cndmask_b32_e32 v1, v2, v3, vcc_lo
	v_lshlrev_b32_e32 v2, 16, v57
	v_and_b32_e32 v1, 0xffff0000, v1
	v_mul_f32_e32 v2, v105, v2
	v_bfe_u32 v3, v2, 16, 1
	v_or_b32_e32 v4, 0x400000, v2
	v_cmp_u_f32_e32 vcc_lo, v2, v2
	v_add3_u32 v3, v3, v2, 0x7fff
	v_cndmask_b32_e32 v2, v3, v4, vcc_lo
	v_and_b32_e32 v3, 0xffff0000, v58
	v_and_b32_e32 v2, 0xffff0000, v2
	v_mul_f32_e32 v3, v101, v3
	v_add_f32_e32 v1, v2, v1
	v_bfe_u32 v4, v3, 16, 1
	v_or_b32_e32 v5, 0x400000, v3
	v_cmp_u_f32_e32 vcc_lo, v3, v3
	v_add3_u32 v4, v4, v3, 0x7fff
	v_cndmask_b32_e32 v3, v4, v5, vcc_lo
	v_lshlrev_b32_e32 v4, 16, v58
	v_and_b32_e32 v3, 0xffff0000, v3
	v_mul_f32_e32 v4, v104, v4
	v_bfe_u32 v5, v4, 16, 1
	v_or_b32_e32 v6, 0x400000, v4
	v_cmp_u_f32_e32 vcc_lo, v4, v4
	v_add3_u32 v5, v5, v4, 0x7fff
	v_cndmask_b32_e32 v4, v5, v6, vcc_lo
	v_and_b32_e32 v5, 0xffff0000, v59
	v_and_b32_e32 v2, 0xffff0000, v4
	v_mul_f32_e32 v5, v10, v5
	v_add_f32_e32 v2, v2, v3
	v_bfe_u32 v6, v5, 16, 1
	v_or_b32_e32 v7, 0x400000, v5
	v_cmp_u_f32_e32 vcc_lo, v5, v5
	v_add_f32_e32 v1, v2, v1
	v_add3_u32 v6, v6, v5, 0x7fff
	v_cndmask_b32_e32 v5, v6, v7, vcc_lo
	v_lshlrev_b32_e32 v6, 16, v59
	v_and_b32_e32 v3, 0xffff0000, v5
	v_mul_f32_e32 v6, v103, v6
	v_bfe_u32 v7, v6, 16, 1
	v_or_b32_e32 v8, 0x400000, v6
	v_cmp_u_f32_e32 vcc_lo, v6, v6
	v_add3_u32 v7, v7, v6, 0x7fff
	v_cndmask_b32_e32 v6, v7, v8, vcc_lo
	v_and_b32_e32 v7, 0xffff0000, v60
	v_and_b32_e32 v2, 0xffff0000, v6
	v_mul_f32_e32 v7, v9, v7
	v_add_f32_e32 v2, v2, v3
	v_bfe_u32 v8, v7, 16, 1
	v_or_b32_e32 v12, 0x400000, v7
	v_cmp_u_f32_e32 vcc_lo, v7, v7
	v_add_f32_e32 v1, v2, v1
	v_add3_u32 v8, v8, v7, 0x7fff
	v_cndmask_b32_e32 v7, v8, v12, vcc_lo
	v_lshlrev_b32_e32 v8, 16, v60
	v_and_b32_e32 v3, 0xffff0000, v7
	v_mul_f32_e32 v8, v11, v8
	v_bfe_u32 v12, v8, 16, 1
	v_or_b32_e32 v13, 0x400000, v8
	v_cmp_u_f32_e32 vcc_lo, v8, v8
	v_add3_u32 v12, v12, v8, 0x7fff
	v_cndmask_b32_e32 v8, v12, v13, vcc_lo
	v_and_b32_e32 v2, 0xffff0000, v8
	v_add_f32_e32 v2, v2, v3
	v_add_f32_e32 v1, v2, v1
	buffer_load_dword v2, off, s[40:43], 0 offset:148 ; 4-byte Folded Reload
	s_waitcnt vmcnt(0)
	v_add_f32_e32 v2, v2, v1
	v_and_b32_e32 v1, 0xffff0000, v53
	buffer_store_dword v2, off, s[40:43], 0 offset:148 ; 4-byte Folded Spill
	v_mul_f32_e32 v1, v102, v1
	v_bfe_u32 v2, v1, 16, 1
	v_or_b32_e32 v3, 0x400000, v1
	v_cmp_u_f32_e32 vcc_lo, v1, v1
	v_add3_u32 v2, v2, v1, 0x7fff
	v_cndmask_b32_e32 v1, v2, v3, vcc_lo
	v_lshlrev_b32_e32 v2, 16, v53
	v_and_b32_e32 v1, 0xffff0000, v1
	v_mul_f32_e32 v2, v105, v2
	v_bfe_u32 v3, v2, 16, 1
	v_or_b32_e32 v4, 0x400000, v2
	v_cmp_u_f32_e32 vcc_lo, v2, v2
	v_add3_u32 v3, v3, v2, 0x7fff
	v_cndmask_b32_e32 v2, v3, v4, vcc_lo
	v_and_b32_e32 v3, 0xffff0000, v54
	v_and_b32_e32 v2, 0xffff0000, v2
	v_mul_f32_e32 v3, v101, v3
	v_add_f32_e32 v1, v2, v1
	v_bfe_u32 v4, v3, 16, 1
	v_or_b32_e32 v5, 0x400000, v3
	v_cmp_u_f32_e32 vcc_lo, v3, v3
	v_add3_u32 v4, v4, v3, 0x7fff
	v_cndmask_b32_e32 v3, v4, v5, vcc_lo
	v_lshlrev_b32_e32 v4, 16, v54
	v_and_b32_e32 v3, 0xffff0000, v3
	v_mul_f32_e32 v4, v104, v4
	v_bfe_u32 v5, v4, 16, 1
	v_or_b32_e32 v6, 0x400000, v4
	v_cmp_u_f32_e32 vcc_lo, v4, v4
	v_add3_u32 v5, v5, v4, 0x7fff
	v_cndmask_b32_e32 v4, v5, v6, vcc_lo
	v_and_b32_e32 v5, 0xffff0000, v55
	v_and_b32_e32 v2, 0xffff0000, v4
	v_mul_f32_e32 v5, v10, v5
	v_add_f32_e32 v2, v2, v3
	v_bfe_u32 v6, v5, 16, 1
	v_or_b32_e32 v7, 0x400000, v5
	v_cmp_u_f32_e32 vcc_lo, v5, v5
	v_add_f32_e32 v1, v2, v1
	v_add3_u32 v6, v6, v5, 0x7fff
	v_cndmask_b32_e32 v5, v6, v7, vcc_lo
	v_lshlrev_b32_e32 v6, 16, v55
	v_and_b32_e32 v3, 0xffff0000, v5
	v_mul_f32_e32 v6, v103, v6
	v_bfe_u32 v7, v6, 16, 1
	v_or_b32_e32 v8, 0x400000, v6
	v_cmp_u_f32_e32 vcc_lo, v6, v6
	v_add3_u32 v7, v7, v6, 0x7fff
	v_cndmask_b32_e32 v6, v7, v8, vcc_lo
	v_and_b32_e32 v7, 0xffff0000, v56
	v_and_b32_e32 v2, 0xffff0000, v6
	v_mul_f32_e32 v7, v9, v7
	v_add_f32_e32 v2, v2, v3
	v_bfe_u32 v8, v7, 16, 1
	v_or_b32_e32 v12, 0x400000, v7
	v_cmp_u_f32_e32 vcc_lo, v7, v7
	v_add_f32_e32 v1, v2, v1
	v_add3_u32 v8, v8, v7, 0x7fff
	v_cndmask_b32_e32 v7, v8, v12, vcc_lo
	v_lshlrev_b32_e32 v8, 16, v56
	v_and_b32_e32 v3, 0xffff0000, v7
	v_mul_f32_e32 v8, v11, v8
	v_bfe_u32 v12, v8, 16, 1
	v_or_b32_e32 v13, 0x400000, v8
	v_cmp_u_f32_e32 vcc_lo, v8, v8
	v_add3_u32 v12, v12, v8, 0x7fff
	v_cndmask_b32_e32 v8, v12, v13, vcc_lo
	v_and_b32_e32 v2, 0xffff0000, v8
	v_add_f32_e32 v2, v2, v3
	v_add_f32_e32 v1, v2, v1
	v_add_f32_e32 v14, v14, v1
	v_and_b32_e32 v1, 0xffff0000, v49
	v_mul_f32_e32 v1, v102, v1
	v_bfe_u32 v2, v1, 16, 1
	v_or_b32_e32 v3, 0x400000, v1
	v_cmp_u_f32_e32 vcc_lo, v1, v1
	v_add3_u32 v2, v2, v1, 0x7fff
	v_cndmask_b32_e32 v1, v2, v3, vcc_lo
	v_lshlrev_b32_e32 v2, 16, v49
	v_and_b32_e32 v1, 0xffff0000, v1
	v_mul_f32_e32 v2, v105, v2
	v_bfe_u32 v3, v2, 16, 1
	v_or_b32_e32 v4, 0x400000, v2
	v_cmp_u_f32_e32 vcc_lo, v2, v2
	v_add3_u32 v3, v3, v2, 0x7fff
	v_cndmask_b32_e32 v2, v3, v4, vcc_lo
	v_and_b32_e32 v3, 0xffff0000, v50
	v_and_b32_e32 v2, 0xffff0000, v2
	v_mul_f32_e32 v3, v101, v3
	v_add_f32_e32 v1, v2, v1
	v_bfe_u32 v4, v3, 16, 1
	v_or_b32_e32 v5, 0x400000, v3
	v_cmp_u_f32_e32 vcc_lo, v3, v3
	v_add3_u32 v4, v4, v3, 0x7fff
	v_cndmask_b32_e32 v3, v4, v5, vcc_lo
	v_lshlrev_b32_e32 v4, 16, v50
	v_and_b32_e32 v3, 0xffff0000, v3
	v_mul_f32_e32 v4, v104, v4
	v_bfe_u32 v5, v4, 16, 1
	v_or_b32_e32 v6, 0x400000, v4
	v_cmp_u_f32_e32 vcc_lo, v4, v4
	v_add3_u32 v5, v5, v4, 0x7fff
	v_cndmask_b32_e32 v4, v5, v6, vcc_lo
	v_and_b32_e32 v5, 0xffff0000, v51
	v_and_b32_e32 v2, 0xffff0000, v4
	v_mul_f32_e32 v5, v10, v5
	v_add_f32_e32 v2, v2, v3
	v_bfe_u32 v6, v5, 16, 1
	v_or_b32_e32 v7, 0x400000, v5
	v_cmp_u_f32_e32 vcc_lo, v5, v5
	v_add_f32_e32 v1, v2, v1
	v_add3_u32 v6, v6, v5, 0x7fff
	v_cndmask_b32_e32 v5, v6, v7, vcc_lo
	v_lshlrev_b32_e32 v6, 16, v51
	v_and_b32_e32 v3, 0xffff0000, v5
	v_mul_f32_e32 v6, v103, v6
	v_bfe_u32 v7, v6, 16, 1
	v_or_b32_e32 v8, 0x400000, v6
	v_cmp_u_f32_e32 vcc_lo, v6, v6
	v_add3_u32 v7, v7, v6, 0x7fff
	v_cndmask_b32_e32 v6, v7, v8, vcc_lo
	v_and_b32_e32 v7, 0xffff0000, v52
	v_and_b32_e32 v2, 0xffff0000, v6
	v_mul_f32_e32 v7, v9, v7
	v_add_f32_e32 v2, v2, v3
	v_bfe_u32 v8, v7, 16, 1
	v_or_b32_e32 v12, 0x400000, v7
	v_cmp_u_f32_e32 vcc_lo, v7, v7
	v_add_f32_e32 v1, v2, v1
	v_add3_u32 v8, v8, v7, 0x7fff
	v_cndmask_b32_e32 v7, v8, v12, vcc_lo
	v_lshlrev_b32_e32 v8, 16, v52
	v_and_b32_e32 v3, 0xffff0000, v7
	v_mul_f32_e32 v8, v11, v8
	v_bfe_u32 v12, v8, 16, 1
	v_or_b32_e32 v13, 0x400000, v8
	v_cmp_u_f32_e32 vcc_lo, v8, v8
	v_add3_u32 v12, v12, v8, 0x7fff
	v_cndmask_b32_e32 v8, v12, v13, vcc_lo
	v_and_b32_e32 v2, 0xffff0000, v8
	v_add_f32_e32 v2, v2, v3
	v_add_f32_e32 v1, v2, v1
	;; [unrolled: 1-line block ×3, first 2 shown]
	v_and_b32_e32 v1, 0xffff0000, v45
	v_mul_f32_e32 v1, v102, v1
	v_bfe_u32 v2, v1, 16, 1
	v_or_b32_e32 v3, 0x400000, v1
	v_cmp_u_f32_e32 vcc_lo, v1, v1
	v_add3_u32 v2, v2, v1, 0x7fff
	v_cndmask_b32_e32 v1, v2, v3, vcc_lo
	v_lshlrev_b32_e32 v2, 16, v45
	v_and_b32_e32 v1, 0xffff0000, v1
	v_mul_f32_e32 v2, v105, v2
	v_bfe_u32 v3, v2, 16, 1
	v_or_b32_e32 v4, 0x400000, v2
	v_cmp_u_f32_e32 vcc_lo, v2, v2
	v_add3_u32 v3, v3, v2, 0x7fff
	v_cndmask_b32_e32 v2, v3, v4, vcc_lo
	v_and_b32_e32 v3, 0xffff0000, v46
	v_and_b32_e32 v2, 0xffff0000, v2
	v_mul_f32_e32 v3, v101, v3
	v_add_f32_e32 v1, v2, v1
	v_bfe_u32 v4, v3, 16, 1
	v_or_b32_e32 v5, 0x400000, v3
	v_cmp_u_f32_e32 vcc_lo, v3, v3
	v_add3_u32 v4, v4, v3, 0x7fff
	v_cndmask_b32_e32 v3, v4, v5, vcc_lo
	v_lshlrev_b32_e32 v4, 16, v46
	v_and_b32_e32 v3, 0xffff0000, v3
	v_mul_f32_e32 v4, v104, v4
	v_bfe_u32 v5, v4, 16, 1
	v_or_b32_e32 v6, 0x400000, v4
	v_cmp_u_f32_e32 vcc_lo, v4, v4
	v_add3_u32 v5, v5, v4, 0x7fff
	v_cndmask_b32_e32 v4, v5, v6, vcc_lo
	v_and_b32_e32 v5, 0xffff0000, v47
	v_and_b32_e32 v2, 0xffff0000, v4
	v_mul_f32_e32 v5, v10, v5
	v_add_f32_e32 v2, v2, v3
	v_bfe_u32 v6, v5, 16, 1
	v_or_b32_e32 v7, 0x400000, v5
	v_cmp_u_f32_e32 vcc_lo, v5, v5
	v_add_f32_e32 v1, v2, v1
	v_add3_u32 v6, v6, v5, 0x7fff
	v_cndmask_b32_e32 v5, v6, v7, vcc_lo
	v_lshlrev_b32_e32 v6, 16, v47
	v_and_b32_e32 v3, 0xffff0000, v5
	v_mul_f32_e32 v6, v103, v6
	v_bfe_u32 v7, v6, 16, 1
	v_or_b32_e32 v8, 0x400000, v6
	v_cmp_u_f32_e32 vcc_lo, v6, v6
	v_add3_u32 v7, v7, v6, 0x7fff
	v_cndmask_b32_e32 v6, v7, v8, vcc_lo
	v_and_b32_e32 v7, 0xffff0000, v48
	v_and_b32_e32 v2, 0xffff0000, v6
	v_mul_f32_e32 v7, v9, v7
	v_add_f32_e32 v2, v2, v3
	v_bfe_u32 v8, v7, 16, 1
	v_or_b32_e32 v12, 0x400000, v7
	v_cmp_u_f32_e32 vcc_lo, v7, v7
	v_add_f32_e32 v1, v2, v1
	v_add3_u32 v8, v8, v7, 0x7fff
	v_cndmask_b32_e32 v7, v8, v12, vcc_lo
	v_lshlrev_b32_e32 v8, 16, v48
	v_and_b32_e32 v3, 0xffff0000, v7
	v_mul_f32_e32 v8, v11, v8
	v_bfe_u32 v12, v8, 16, 1
	v_or_b32_e32 v13, 0x400000, v8
	v_cmp_u_f32_e32 vcc_lo, v8, v8
	v_add3_u32 v12, v12, v8, 0x7fff
	v_cndmask_b32_e32 v8, v12, v13, vcc_lo
	v_and_b32_e32 v2, 0xffff0000, v8
	v_add_f32_e32 v2, v2, v3
	v_add_f32_e32 v1, v2, v1
	;; [unrolled: 1-line block ×3, first 2 shown]
	v_and_b32_e32 v1, 0xffff0000, v41
	v_mul_f32_e32 v1, v102, v1
	v_bfe_u32 v2, v1, 16, 1
	v_or_b32_e32 v3, 0x400000, v1
	v_cmp_u_f32_e32 vcc_lo, v1, v1
	v_add3_u32 v2, v2, v1, 0x7fff
	v_cndmask_b32_e32 v1, v2, v3, vcc_lo
	v_lshlrev_b32_e32 v2, 16, v41
	v_and_b32_e32 v1, 0xffff0000, v1
	v_mul_f32_e32 v2, v105, v2
	v_bfe_u32 v3, v2, 16, 1
	v_or_b32_e32 v4, 0x400000, v2
	v_cmp_u_f32_e32 vcc_lo, v2, v2
	v_add3_u32 v3, v3, v2, 0x7fff
	v_cndmask_b32_e32 v2, v3, v4, vcc_lo
	v_and_b32_e32 v3, 0xffff0000, v42
	v_and_b32_e32 v2, 0xffff0000, v2
	v_mul_f32_e32 v3, v101, v3
	v_add_f32_e32 v1, v2, v1
	v_bfe_u32 v4, v3, 16, 1
	v_or_b32_e32 v5, 0x400000, v3
	v_cmp_u_f32_e32 vcc_lo, v3, v3
	v_add3_u32 v4, v4, v3, 0x7fff
	v_cndmask_b32_e32 v3, v4, v5, vcc_lo
	v_lshlrev_b32_e32 v4, 16, v42
	v_and_b32_e32 v3, 0xffff0000, v3
	v_mul_f32_e32 v4, v104, v4
	v_bfe_u32 v5, v4, 16, 1
	v_or_b32_e32 v6, 0x400000, v4
	v_cmp_u_f32_e32 vcc_lo, v4, v4
	v_add3_u32 v5, v5, v4, 0x7fff
	v_cndmask_b32_e32 v4, v5, v6, vcc_lo
	v_and_b32_e32 v5, 0xffff0000, v43
	v_and_b32_e32 v2, 0xffff0000, v4
	v_mul_f32_e32 v5, v10, v5
	v_add_f32_e32 v2, v2, v3
	v_bfe_u32 v6, v5, 16, 1
	v_or_b32_e32 v7, 0x400000, v5
	v_cmp_u_f32_e32 vcc_lo, v5, v5
	v_add_f32_e32 v1, v2, v1
	v_add3_u32 v6, v6, v5, 0x7fff
	v_cndmask_b32_e32 v5, v6, v7, vcc_lo
	v_lshlrev_b32_e32 v6, 16, v43
	v_and_b32_e32 v3, 0xffff0000, v5
	v_mul_f32_e32 v6, v103, v6
	v_bfe_u32 v7, v6, 16, 1
	v_or_b32_e32 v8, 0x400000, v6
	v_cmp_u_f32_e32 vcc_lo, v6, v6
	v_add3_u32 v7, v7, v6, 0x7fff
	v_cndmask_b32_e32 v6, v7, v8, vcc_lo
	v_and_b32_e32 v7, 0xffff0000, v44
	v_and_b32_e32 v2, 0xffff0000, v6
	v_mul_f32_e32 v7, v9, v7
	v_add_f32_e32 v2, v2, v3
	v_bfe_u32 v8, v7, 16, 1
	v_or_b32_e32 v12, 0x400000, v7
	v_cmp_u_f32_e32 vcc_lo, v7, v7
	v_add_f32_e32 v1, v2, v1
	v_add3_u32 v8, v8, v7, 0x7fff
	v_cndmask_b32_e32 v7, v8, v12, vcc_lo
	v_lshlrev_b32_e32 v8, 16, v44
	v_and_b32_e32 v3, 0xffff0000, v7
	v_mul_f32_e32 v8, v11, v8
	v_bfe_u32 v12, v8, 16, 1
	v_or_b32_e32 v13, 0x400000, v8
	v_cmp_u_f32_e32 vcc_lo, v8, v8
	v_add3_u32 v12, v12, v8, 0x7fff
	v_cndmask_b32_e32 v8, v12, v13, vcc_lo
	v_and_b32_e32 v2, 0xffff0000, v8
	v_add_f32_e32 v2, v2, v3
	v_add_f32_e32 v1, v2, v1
	v_add_f32_e32 v20, v20, v1
	v_and_b32_e32 v1, 0xffff0000, v37
	v_mul_f32_e32 v1, v102, v1
	v_bfe_u32 v2, v1, 16, 1
	v_or_b32_e32 v3, 0x400000, v1
	v_cmp_u_f32_e32 vcc_lo, v1, v1
	v_add3_u32 v2, v2, v1, 0x7fff
	v_cndmask_b32_e32 v1, v2, v3, vcc_lo
	v_lshlrev_b32_e32 v2, 16, v37
	v_and_b32_e32 v1, 0xffff0000, v1
	v_mul_f32_e32 v2, v105, v2
	v_bfe_u32 v3, v2, 16, 1
	v_or_b32_e32 v4, 0x400000, v2
	v_cmp_u_f32_e32 vcc_lo, v2, v2
	v_add3_u32 v3, v3, v2, 0x7fff
	v_cndmask_b32_e32 v2, v3, v4, vcc_lo
	v_and_b32_e32 v3, 0xffff0000, v38
	v_and_b32_e32 v2, 0xffff0000, v2
	v_mul_f32_e32 v3, v101, v3
	v_add_f32_e32 v1, v2, v1
	v_bfe_u32 v4, v3, 16, 1
	v_or_b32_e32 v5, 0x400000, v3
	v_cmp_u_f32_e32 vcc_lo, v3, v3
	v_add3_u32 v4, v4, v3, 0x7fff
	v_cndmask_b32_e32 v3, v4, v5, vcc_lo
	v_lshlrev_b32_e32 v4, 16, v38
	v_and_b32_e32 v3, 0xffff0000, v3
	v_mul_f32_e32 v4, v104, v4
	v_bfe_u32 v5, v4, 16, 1
	v_or_b32_e32 v6, 0x400000, v4
	v_cmp_u_f32_e32 vcc_lo, v4, v4
	v_add3_u32 v5, v5, v4, 0x7fff
	v_cndmask_b32_e32 v4, v5, v6, vcc_lo
	v_and_b32_e32 v5, 0xffff0000, v39
	v_and_b32_e32 v2, 0xffff0000, v4
	v_mul_f32_e32 v5, v10, v5
	v_add_f32_e32 v2, v2, v3
	v_bfe_u32 v6, v5, 16, 1
	v_or_b32_e32 v7, 0x400000, v5
	v_cmp_u_f32_e32 vcc_lo, v5, v5
	v_add_f32_e32 v1, v2, v1
	v_add3_u32 v6, v6, v5, 0x7fff
	v_cndmask_b32_e32 v5, v6, v7, vcc_lo
	v_lshlrev_b32_e32 v6, 16, v39
	v_and_b32_e32 v3, 0xffff0000, v5
	v_mul_f32_e32 v6, v103, v6
	v_bfe_u32 v7, v6, 16, 1
	v_or_b32_e32 v8, 0x400000, v6
	v_cmp_u_f32_e32 vcc_lo, v6, v6
	v_add3_u32 v7, v7, v6, 0x7fff
	v_cndmask_b32_e32 v6, v7, v8, vcc_lo
	v_and_b32_e32 v7, 0xffff0000, v40
	v_and_b32_e32 v2, 0xffff0000, v6
	v_mul_f32_e32 v7, v9, v7
	v_add_f32_e32 v2, v2, v3
	v_bfe_u32 v8, v7, 16, 1
	v_or_b32_e32 v12, 0x400000, v7
	v_cmp_u_f32_e32 vcc_lo, v7, v7
	v_add_f32_e32 v1, v2, v1
	v_add3_u32 v8, v8, v7, 0x7fff
	v_cndmask_b32_e32 v7, v8, v12, vcc_lo
	v_lshlrev_b32_e32 v8, 16, v40
	v_and_b32_e32 v3, 0xffff0000, v7
	v_mul_f32_e32 v8, v11, v8
	v_bfe_u32 v12, v8, 16, 1
	v_or_b32_e32 v13, 0x400000, v8
	v_cmp_u_f32_e32 vcc_lo, v8, v8
	v_add3_u32 v12, v12, v8, 0x7fff
	v_cndmask_b32_e32 v8, v12, v13, vcc_lo
	v_and_b32_e32 v2, 0xffff0000, v8
	v_add_f32_e32 v2, v2, v3
	v_add_f32_e32 v1, v2, v1
	;; [unrolled: 1-line block ×3, first 2 shown]
	v_and_b32_e32 v1, 0xffff0000, v33
	v_mul_f32_e32 v1, v102, v1
	v_bfe_u32 v2, v1, 16, 1
	v_or_b32_e32 v3, 0x400000, v1
	v_cmp_u_f32_e32 vcc_lo, v1, v1
	v_add3_u32 v2, v2, v1, 0x7fff
	v_cndmask_b32_e32 v1, v2, v3, vcc_lo
	v_lshlrev_b32_e32 v2, 16, v33
	v_and_b32_e32 v1, 0xffff0000, v1
	v_mul_f32_e32 v2, v105, v2
	v_bfe_u32 v3, v2, 16, 1
	v_or_b32_e32 v4, 0x400000, v2
	v_cmp_u_f32_e32 vcc_lo, v2, v2
	v_add3_u32 v3, v3, v2, 0x7fff
	v_cndmask_b32_e32 v2, v3, v4, vcc_lo
	v_and_b32_e32 v3, 0xffff0000, v34
	v_and_b32_e32 v2, 0xffff0000, v2
	v_mul_f32_e32 v3, v101, v3
	v_add_f32_e32 v1, v2, v1
	v_bfe_u32 v4, v3, 16, 1
	v_or_b32_e32 v5, 0x400000, v3
	v_cmp_u_f32_e32 vcc_lo, v3, v3
	v_add3_u32 v4, v4, v3, 0x7fff
	v_cndmask_b32_e32 v3, v4, v5, vcc_lo
	v_lshlrev_b32_e32 v4, 16, v34
	v_and_b32_e32 v3, 0xffff0000, v3
	v_mul_f32_e32 v4, v104, v4
	v_bfe_u32 v5, v4, 16, 1
	v_or_b32_e32 v6, 0x400000, v4
	v_cmp_u_f32_e32 vcc_lo, v4, v4
	v_add3_u32 v5, v5, v4, 0x7fff
	v_cndmask_b32_e32 v4, v5, v6, vcc_lo
	v_and_b32_e32 v5, 0xffff0000, v35
	v_and_b32_e32 v2, 0xffff0000, v4
	v_mul_f32_e32 v5, v10, v5
	v_add_f32_e32 v2, v2, v3
	v_bfe_u32 v6, v5, 16, 1
	v_or_b32_e32 v7, 0x400000, v5
	v_cmp_u_f32_e32 vcc_lo, v5, v5
	v_add_f32_e32 v1, v2, v1
	v_add3_u32 v6, v6, v5, 0x7fff
	v_cndmask_b32_e32 v5, v6, v7, vcc_lo
	v_lshlrev_b32_e32 v6, 16, v35
	v_and_b32_e32 v3, 0xffff0000, v5
	v_mul_f32_e32 v6, v103, v6
	v_bfe_u32 v7, v6, 16, 1
	v_or_b32_e32 v8, 0x400000, v6
	v_cmp_u_f32_e32 vcc_lo, v6, v6
	v_add3_u32 v7, v7, v6, 0x7fff
	v_cndmask_b32_e32 v6, v7, v8, vcc_lo
	v_and_b32_e32 v7, 0xffff0000, v36
	v_and_b32_e32 v2, 0xffff0000, v6
	v_mul_f32_e32 v7, v9, v7
	v_add_f32_e32 v2, v2, v3
	v_bfe_u32 v8, v7, 16, 1
	v_or_b32_e32 v12, 0x400000, v7
	v_cmp_u_f32_e32 vcc_lo, v7, v7
	v_add_f32_e32 v1, v2, v1
	v_add3_u32 v8, v8, v7, 0x7fff
	v_cndmask_b32_e32 v7, v8, v12, vcc_lo
	v_lshlrev_b32_e32 v8, 16, v36
	v_and_b32_e32 v3, 0xffff0000, v7
	v_mul_f32_e32 v8, v11, v8
	v_bfe_u32 v12, v8, 16, 1
	v_or_b32_e32 v13, 0x400000, v8
	v_cmp_u_f32_e32 vcc_lo, v8, v8
	v_add3_u32 v12, v12, v8, 0x7fff
	v_cndmask_b32_e32 v8, v12, v13, vcc_lo
	v_and_b32_e32 v2, 0xffff0000, v8
	v_add_f32_e32 v2, v2, v3
	v_add_f32_e32 v1, v2, v1
	;; [unrolled: 1-line block ×3, first 2 shown]
	v_and_b32_e32 v1, 0xffff0000, v25
	v_mul_f32_e32 v1, v102, v1
	v_bfe_u32 v2, v1, 16, 1
	v_or_b32_e32 v3, 0x400000, v1
	v_cmp_u_f32_e32 vcc_lo, v1, v1
	v_add3_u32 v2, v2, v1, 0x7fff
	v_cndmask_b32_e32 v1, v2, v3, vcc_lo
	v_lshlrev_b32_e32 v2, 16, v25
	v_and_b32_e32 v1, 0xffff0000, v1
	v_mul_f32_e32 v2, v105, v2
	v_bfe_u32 v3, v2, 16, 1
	v_or_b32_e32 v4, 0x400000, v2
	v_cmp_u_f32_e32 vcc_lo, v2, v2
	v_add3_u32 v3, v3, v2, 0x7fff
	v_cndmask_b32_e32 v2, v3, v4, vcc_lo
	v_and_b32_e32 v3, 0xffff0000, v26
	v_and_b32_e32 v2, 0xffff0000, v2
	v_mul_f32_e32 v3, v101, v3
	v_add_f32_e32 v1, v2, v1
	v_bfe_u32 v4, v3, 16, 1
	v_or_b32_e32 v5, 0x400000, v3
	v_cmp_u_f32_e32 vcc_lo, v3, v3
	v_add3_u32 v4, v4, v3, 0x7fff
	v_cndmask_b32_e32 v3, v4, v5, vcc_lo
	v_lshlrev_b32_e32 v4, 16, v26
	v_and_b32_e32 v3, 0xffff0000, v3
	v_mul_f32_e32 v4, v104, v4
	v_bfe_u32 v5, v4, 16, 1
	v_or_b32_e32 v6, 0x400000, v4
	v_cmp_u_f32_e32 vcc_lo, v4, v4
	v_add3_u32 v5, v5, v4, 0x7fff
	v_cndmask_b32_e32 v4, v5, v6, vcc_lo
	v_and_b32_e32 v5, 0xffff0000, v27
	v_and_b32_e32 v2, 0xffff0000, v4
	v_mul_f32_e32 v5, v10, v5
	v_add_f32_e32 v2, v2, v3
	v_bfe_u32 v6, v5, 16, 1
	v_or_b32_e32 v7, 0x400000, v5
	v_cmp_u_f32_e32 vcc_lo, v5, v5
	v_add_f32_e32 v1, v2, v1
	v_add3_u32 v6, v6, v5, 0x7fff
	v_cndmask_b32_e32 v5, v6, v7, vcc_lo
	v_lshlrev_b32_e32 v6, 16, v27
	v_and_b32_e32 v3, 0xffff0000, v5
	v_mul_f32_e32 v6, v103, v6
	v_bfe_u32 v7, v6, 16, 1
	v_or_b32_e32 v8, 0x400000, v6
	v_cmp_u_f32_e32 vcc_lo, v6, v6
	v_add3_u32 v7, v7, v6, 0x7fff
	v_cndmask_b32_e32 v6, v7, v8, vcc_lo
	v_and_b32_e32 v7, 0xffff0000, v28
	v_and_b32_e32 v2, 0xffff0000, v6
	v_mul_f32_e32 v7, v9, v7
	v_add_f32_e32 v2, v2, v3
	v_bfe_u32 v8, v7, 16, 1
	v_or_b32_e32 v12, 0x400000, v7
	v_cmp_u_f32_e32 vcc_lo, v7, v7
	v_add_f32_e32 v1, v2, v1
	v_add3_u32 v8, v8, v7, 0x7fff
	v_cndmask_b32_e32 v7, v8, v12, vcc_lo
	v_lshlrev_b32_e32 v8, 16, v28
	v_and_b32_e32 v3, 0xffff0000, v7
	v_mul_f32_e32 v8, v11, v8
	v_bfe_u32 v12, v8, 16, 1
	v_or_b32_e32 v13, 0x400000, v8
	v_cmp_u_f32_e32 vcc_lo, v8, v8
	v_add3_u32 v12, v12, v8, 0x7fff
	v_cndmask_b32_e32 v8, v12, v13, vcc_lo
	v_and_b32_e32 v2, 0xffff0000, v8
	v_add_f32_e32 v2, v2, v3
	v_add_f32_e32 v1, v2, v1
	;; [unrolled: 1-line block ×3, first 2 shown]
	v_and_b32_e32 v1, 0xffff0000, v21
	v_mul_f32_e32 v1, v102, v1
	v_bfe_u32 v2, v1, 16, 1
	v_or_b32_e32 v3, 0x400000, v1
	v_cmp_u_f32_e32 vcc_lo, v1, v1
	v_add3_u32 v2, v2, v1, 0x7fff
	v_cndmask_b32_e32 v1, v2, v3, vcc_lo
	v_lshlrev_b32_e32 v2, 16, v21
	v_and_b32_e32 v1, 0xffff0000, v1
	v_mul_f32_e32 v2, v105, v2
	v_bfe_u32 v3, v2, 16, 1
	v_or_b32_e32 v4, 0x400000, v2
	v_cmp_u_f32_e32 vcc_lo, v2, v2
	v_add3_u32 v3, v3, v2, 0x7fff
	v_cndmask_b32_e32 v2, v3, v4, vcc_lo
	v_and_b32_e32 v3, 0xffff0000, v22
	v_and_b32_e32 v2, 0xffff0000, v2
	v_mul_f32_e32 v3, v101, v3
	v_add_f32_e32 v1, v2, v1
	v_bfe_u32 v4, v3, 16, 1
	v_or_b32_e32 v5, 0x400000, v3
	v_cmp_u_f32_e32 vcc_lo, v3, v3
	v_add3_u32 v4, v4, v3, 0x7fff
	v_cndmask_b32_e32 v3, v4, v5, vcc_lo
	v_lshlrev_b32_e32 v4, 16, v22
	v_and_b32_e32 v3, 0xffff0000, v3
	v_mul_f32_e32 v4, v104, v4
	v_bfe_u32 v5, v4, 16, 1
	v_or_b32_e32 v6, 0x400000, v4
	v_cmp_u_f32_e32 vcc_lo, v4, v4
	v_add3_u32 v5, v5, v4, 0x7fff
	v_cndmask_b32_e32 v4, v5, v6, vcc_lo
	v_and_b32_e32 v5, 0xffff0000, v23
	v_and_b32_e32 v2, 0xffff0000, v4
	v_mul_f32_e32 v5, v10, v5
	v_add_f32_e32 v2, v2, v3
	v_bfe_u32 v6, v5, 16, 1
	v_or_b32_e32 v7, 0x400000, v5
	v_cmp_u_f32_e32 vcc_lo, v5, v5
	v_add_f32_e32 v1, v2, v1
	v_add3_u32 v6, v6, v5, 0x7fff
	v_cndmask_b32_e32 v5, v6, v7, vcc_lo
	v_lshlrev_b32_e32 v6, 16, v23
	v_and_b32_e32 v3, 0xffff0000, v5
	v_mul_f32_e32 v6, v103, v6
	v_bfe_u32 v7, v6, 16, 1
	v_or_b32_e32 v8, 0x400000, v6
	v_cmp_u_f32_e32 vcc_lo, v6, v6
	v_add3_u32 v7, v7, v6, 0x7fff
	v_cndmask_b32_e32 v6, v7, v8, vcc_lo
	v_and_b32_e32 v7, 0xffff0000, v24
	v_and_b32_e32 v2, 0xffff0000, v6
	v_mul_f32_e32 v7, v9, v7
	v_add_f32_e32 v2, v2, v3
	v_bfe_u32 v8, v7, 16, 1
	v_or_b32_e32 v12, 0x400000, v7
	v_cmp_u_f32_e32 vcc_lo, v7, v7
	v_add_f32_e32 v1, v2, v1
	v_add3_u32 v8, v8, v7, 0x7fff
	v_cndmask_b32_e32 v7, v8, v12, vcc_lo
	v_lshlrev_b32_e32 v8, 16, v24
	v_and_b32_e32 v3, 0xffff0000, v7
	v_mul_f32_e32 v8, v11, v8
	v_bfe_u32 v12, v8, 16, 1
	v_or_b32_e32 v13, 0x400000, v8
	v_cmp_u_f32_e32 vcc_lo, v8, v8
	v_add3_u32 v12, v12, v8, 0x7fff
	v_cndmask_b32_e32 v8, v12, v13, vcc_lo
	v_and_b32_e32 v2, 0xffff0000, v8
	v_add_f32_e32 v2, v2, v3
	v_add_f32_e32 v1, v2, v1
	buffer_load_dword v2, off, s[40:43], 0 offset:152 ; 4-byte Folded Reload
	s_waitcnt vmcnt(0)
	v_add_f32_e32 v2, v2, v1
	buffer_store_dword v2, off, s[40:43], 0 offset:152 ; 4-byte Folded Spill
	s_clause 0x3
	buffer_load_dword v21, off, s[40:43], 0 offset:76
	buffer_load_dword v22, off, s[40:43], 0 offset:80
	;; [unrolled: 1-line block ×4, first 2 shown]
	s_waitcnt vmcnt(3)
	v_and_b32_e32 v1, 0xffff0000, v21
	v_mul_f32_e32 v1, v102, v1
	v_bfe_u32 v2, v1, 16, 1
	v_or_b32_e32 v3, 0x400000, v1
	v_cmp_u_f32_e32 vcc_lo, v1, v1
	v_add3_u32 v2, v2, v1, 0x7fff
	v_cndmask_b32_e32 v1, v2, v3, vcc_lo
	v_lshlrev_b32_e32 v2, 16, v21
	v_and_b32_e32 v1, 0xffff0000, v1
	v_mul_f32_e32 v2, v105, v2
	v_bfe_u32 v3, v2, 16, 1
	v_or_b32_e32 v4, 0x400000, v2
	v_cmp_u_f32_e32 vcc_lo, v2, v2
	v_add3_u32 v3, v3, v2, 0x7fff
	v_cndmask_b32_e32 v2, v3, v4, vcc_lo
	s_waitcnt vmcnt(2)
	v_and_b32_e32 v3, 0xffff0000, v22
	v_and_b32_e32 v2, 0xffff0000, v2
	v_mul_f32_e32 v3, v101, v3
	v_add_f32_e32 v1, v2, v1
	v_bfe_u32 v4, v3, 16, 1
	v_or_b32_e32 v5, 0x400000, v3
	v_cmp_u_f32_e32 vcc_lo, v3, v3
	v_add3_u32 v4, v4, v3, 0x7fff
	v_cndmask_b32_e32 v3, v4, v5, vcc_lo
	v_lshlrev_b32_e32 v4, 16, v22
	v_and_b32_e32 v3, 0xffff0000, v3
	v_mul_f32_e32 v4, v104, v4
	v_bfe_u32 v5, v4, 16, 1
	v_or_b32_e32 v6, 0x400000, v4
	v_cmp_u_f32_e32 vcc_lo, v4, v4
	v_add3_u32 v5, v5, v4, 0x7fff
	v_cndmask_b32_e32 v4, v5, v6, vcc_lo
	s_waitcnt vmcnt(1)
	v_and_b32_e32 v5, 0xffff0000, v23
	v_and_b32_e32 v2, 0xffff0000, v4
	v_mul_f32_e32 v5, v10, v5
	v_add_f32_e32 v2, v2, v3
	v_bfe_u32 v6, v5, 16, 1
	v_or_b32_e32 v7, 0x400000, v5
	v_cmp_u_f32_e32 vcc_lo, v5, v5
	v_add_f32_e32 v1, v2, v1
	v_add3_u32 v6, v6, v5, 0x7fff
	v_cndmask_b32_e32 v5, v6, v7, vcc_lo
	v_lshlrev_b32_e32 v6, 16, v23
	v_and_b32_e32 v3, 0xffff0000, v5
	v_mul_f32_e32 v6, v103, v6
	v_bfe_u32 v7, v6, 16, 1
	v_or_b32_e32 v8, 0x400000, v6
	v_cmp_u_f32_e32 vcc_lo, v6, v6
	v_add3_u32 v7, v7, v6, 0x7fff
	v_cndmask_b32_e32 v6, v7, v8, vcc_lo
	s_waitcnt vmcnt(0)
	v_and_b32_e32 v7, 0xffff0000, v24
	v_and_b32_e32 v2, 0xffff0000, v6
	v_mul_f32_e32 v7, v9, v7
	v_add_f32_e32 v2, v2, v3
	v_bfe_u32 v8, v7, 16, 1
	v_or_b32_e32 v12, 0x400000, v7
	v_cmp_u_f32_e32 vcc_lo, v7, v7
	v_add_f32_e32 v1, v2, v1
	v_add3_u32 v8, v8, v7, 0x7fff
	v_cndmask_b32_e32 v7, v8, v12, vcc_lo
	v_lshlrev_b32_e32 v8, 16, v24
	v_and_b32_e32 v3, 0xffff0000, v7
	v_mul_f32_e32 v8, v11, v8
	v_bfe_u32 v12, v8, 16, 1
	v_or_b32_e32 v13, 0x400000, v8
	v_cmp_u_f32_e32 vcc_lo, v8, v8
	v_add3_u32 v12, v12, v8, 0x7fff
	v_cndmask_b32_e32 v8, v12, v13, vcc_lo
	v_and_b32_e32 v2, 0xffff0000, v8
	v_add_f32_e32 v2, v2, v3
	v_add_f32_e32 v1, v2, v1
	buffer_load_dword v2, off, s[40:43], 0 offset:156 ; 4-byte Folded Reload
	s_waitcnt vmcnt(0)
	v_add_f32_e32 v2, v2, v1
	buffer_store_dword v2, off, s[40:43], 0 offset:156 ; 4-byte Folded Spill
	s_clause 0x3
	buffer_load_dword v21, off, s[40:43], 0 offset:60
	buffer_load_dword v22, off, s[40:43], 0 offset:64
	;; [unrolled: 1-line block ×4, first 2 shown]
	s_waitcnt vmcnt(3)
	v_and_b32_e32 v1, 0xffff0000, v21
	v_mul_f32_e32 v1, v102, v1
	v_bfe_u32 v2, v1, 16, 1
	v_or_b32_e32 v3, 0x400000, v1
	v_cmp_u_f32_e32 vcc_lo, v1, v1
	v_add3_u32 v2, v2, v1, 0x7fff
	v_cndmask_b32_e32 v1, v2, v3, vcc_lo
	v_lshlrev_b32_e32 v2, 16, v21
	v_and_b32_e32 v1, 0xffff0000, v1
	v_mul_f32_e32 v2, v105, v2
	v_bfe_u32 v3, v2, 16, 1
	v_or_b32_e32 v4, 0x400000, v2
	v_cmp_u_f32_e32 vcc_lo, v2, v2
	v_add3_u32 v3, v3, v2, 0x7fff
	v_cndmask_b32_e32 v2, v3, v4, vcc_lo
	s_waitcnt vmcnt(2)
	v_and_b32_e32 v3, 0xffff0000, v22
	v_and_b32_e32 v2, 0xffff0000, v2
	v_mul_f32_e32 v3, v101, v3
	v_add_f32_e32 v1, v2, v1
	v_bfe_u32 v4, v3, 16, 1
	v_or_b32_e32 v5, 0x400000, v3
	v_cmp_u_f32_e32 vcc_lo, v3, v3
	v_add3_u32 v4, v4, v3, 0x7fff
	v_cndmask_b32_e32 v3, v4, v5, vcc_lo
	v_lshlrev_b32_e32 v4, 16, v22
	v_and_b32_e32 v3, 0xffff0000, v3
	v_mul_f32_e32 v4, v104, v4
	v_bfe_u32 v5, v4, 16, 1
	v_or_b32_e32 v6, 0x400000, v4
	v_cmp_u_f32_e32 vcc_lo, v4, v4
	v_add3_u32 v5, v5, v4, 0x7fff
	v_cndmask_b32_e32 v4, v5, v6, vcc_lo
	s_waitcnt vmcnt(1)
	v_and_b32_e32 v5, 0xffff0000, v23
	v_and_b32_e32 v2, 0xffff0000, v4
	v_mul_f32_e32 v5, v10, v5
	v_add_f32_e32 v2, v2, v3
	v_bfe_u32 v6, v5, 16, 1
	v_or_b32_e32 v7, 0x400000, v5
	v_cmp_u_f32_e32 vcc_lo, v5, v5
	v_add_f32_e32 v1, v2, v1
	v_add3_u32 v6, v6, v5, 0x7fff
	v_cndmask_b32_e32 v5, v6, v7, vcc_lo
	v_lshlrev_b32_e32 v6, 16, v23
	v_and_b32_e32 v3, 0xffff0000, v5
	v_mul_f32_e32 v6, v103, v6
	v_bfe_u32 v7, v6, 16, 1
	v_or_b32_e32 v8, 0x400000, v6
	v_cmp_u_f32_e32 vcc_lo, v6, v6
	v_add3_u32 v7, v7, v6, 0x7fff
	v_cndmask_b32_e32 v6, v7, v8, vcc_lo
	s_waitcnt vmcnt(0)
	v_and_b32_e32 v7, 0xffff0000, v24
	v_and_b32_e32 v2, 0xffff0000, v6
	v_mul_f32_e32 v7, v9, v7
	v_add_f32_e32 v2, v2, v3
	v_bfe_u32 v8, v7, 16, 1
	v_or_b32_e32 v12, 0x400000, v7
	v_cmp_u_f32_e32 vcc_lo, v7, v7
	v_add_f32_e32 v1, v2, v1
	v_add3_u32 v8, v8, v7, 0x7fff
	v_cndmask_b32_e32 v7, v8, v12, vcc_lo
	v_lshlrev_b32_e32 v8, 16, v24
	v_and_b32_e32 v3, 0xffff0000, v7
	v_mul_f32_e32 v8, v11, v8
	v_bfe_u32 v12, v8, 16, 1
	v_or_b32_e32 v13, 0x400000, v8
	v_cmp_u_f32_e32 vcc_lo, v8, v8
	v_add3_u32 v12, v12, v8, 0x7fff
	v_cndmask_b32_e32 v8, v12, v13, vcc_lo
	v_and_b32_e32 v2, 0xffff0000, v8
	v_add_f32_e32 v2, v2, v3
	v_add_f32_e32 v1, v2, v1
	buffer_load_dword v2, off, s[40:43], 0 offset:160 ; 4-byte Folded Reload
	s_waitcnt vmcnt(0)
	v_add_f32_e32 v2, v2, v1
	buffer_store_dword v2, off, s[40:43], 0 offset:160 ; 4-byte Folded Spill
	s_clause 0x3
	buffer_load_dword v21, off, s[40:43], 0 offset:44
	buffer_load_dword v22, off, s[40:43], 0 offset:48
	;; [unrolled: 1-line block ×4, first 2 shown]
	s_waitcnt vmcnt(3)
	v_and_b32_e32 v1, 0xffff0000, v21
	v_mul_f32_e32 v1, v102, v1
	v_bfe_u32 v2, v1, 16, 1
	v_or_b32_e32 v3, 0x400000, v1
	v_cmp_u_f32_e32 vcc_lo, v1, v1
	v_add3_u32 v2, v2, v1, 0x7fff
	v_cndmask_b32_e32 v1, v2, v3, vcc_lo
	v_lshlrev_b32_e32 v2, 16, v21
	v_and_b32_e32 v1, 0xffff0000, v1
	v_mul_f32_e32 v2, v105, v2
	v_bfe_u32 v3, v2, 16, 1
	v_or_b32_e32 v4, 0x400000, v2
	v_cmp_u_f32_e32 vcc_lo, v2, v2
	v_add3_u32 v3, v3, v2, 0x7fff
	v_cndmask_b32_e32 v2, v3, v4, vcc_lo
	s_waitcnt vmcnt(2)
	v_and_b32_e32 v3, 0xffff0000, v22
	v_and_b32_e32 v2, 0xffff0000, v2
	v_mul_f32_e32 v3, v101, v3
	v_add_f32_e32 v1, v2, v1
	v_bfe_u32 v4, v3, 16, 1
	v_or_b32_e32 v5, 0x400000, v3
	v_cmp_u_f32_e32 vcc_lo, v3, v3
	v_add3_u32 v4, v4, v3, 0x7fff
	v_cndmask_b32_e32 v3, v4, v5, vcc_lo
	v_lshlrev_b32_e32 v4, 16, v22
	v_and_b32_e32 v3, 0xffff0000, v3
	v_mul_f32_e32 v4, v104, v4
	v_bfe_u32 v5, v4, 16, 1
	v_or_b32_e32 v6, 0x400000, v4
	v_cmp_u_f32_e32 vcc_lo, v4, v4
	v_add3_u32 v5, v5, v4, 0x7fff
	v_cndmask_b32_e32 v4, v5, v6, vcc_lo
	s_waitcnt vmcnt(1)
	v_and_b32_e32 v5, 0xffff0000, v23
	v_and_b32_e32 v2, 0xffff0000, v4
	v_mul_f32_e32 v5, v10, v5
	v_add_f32_e32 v2, v2, v3
	v_bfe_u32 v6, v5, 16, 1
	v_or_b32_e32 v7, 0x400000, v5
	v_cmp_u_f32_e32 vcc_lo, v5, v5
	v_add_f32_e32 v1, v2, v1
	v_add3_u32 v6, v6, v5, 0x7fff
	v_cndmask_b32_e32 v5, v6, v7, vcc_lo
	v_lshlrev_b32_e32 v6, 16, v23
	v_and_b32_e32 v3, 0xffff0000, v5
	v_mul_f32_e32 v6, v103, v6
	v_bfe_u32 v7, v6, 16, 1
	v_or_b32_e32 v8, 0x400000, v6
	v_cmp_u_f32_e32 vcc_lo, v6, v6
	v_add3_u32 v7, v7, v6, 0x7fff
	v_cndmask_b32_e32 v6, v7, v8, vcc_lo
	s_waitcnt vmcnt(0)
	v_and_b32_e32 v7, 0xffff0000, v24
	v_and_b32_e32 v2, 0xffff0000, v6
	v_mul_f32_e32 v7, v9, v7
	v_add_f32_e32 v2, v2, v3
	v_bfe_u32 v8, v7, 16, 1
	v_or_b32_e32 v12, 0x400000, v7
	v_cmp_u_f32_e32 vcc_lo, v7, v7
	v_add_f32_e32 v1, v2, v1
	v_add3_u32 v8, v8, v7, 0x7fff
	v_cndmask_b32_e32 v7, v8, v12, vcc_lo
	v_lshlrev_b32_e32 v8, 16, v24
	v_and_b32_e32 v3, 0xffff0000, v7
	v_mul_f32_e32 v8, v11, v8
	v_bfe_u32 v12, v8, 16, 1
	v_or_b32_e32 v13, 0x400000, v8
	v_cmp_u_f32_e32 vcc_lo, v8, v8
	v_add3_u32 v12, v12, v8, 0x7fff
	v_cndmask_b32_e32 v8, v12, v13, vcc_lo
	v_and_b32_e32 v2, 0xffff0000, v8
	v_add_f32_e32 v2, v2, v3
	v_add_f32_e32 v1, v2, v1
	buffer_load_dword v2, off, s[40:43], 0 offset:164 ; 4-byte Folded Reload
	s_waitcnt vmcnt(0)
	v_add_f32_e32 v2, v2, v1
	buffer_store_dword v2, off, s[40:43], 0 offset:164 ; 4-byte Folded Spill
	s_clause 0x3
	buffer_load_dword v21, off, s[40:43], 0 offset:28
	buffer_load_dword v22, off, s[40:43], 0 offset:32
	;; [unrolled: 1-line block ×4, first 2 shown]
	s_waitcnt vmcnt(3)
	v_and_b32_e32 v1, 0xffff0000, v21
	v_mul_f32_e32 v1, v102, v1
	v_bfe_u32 v2, v1, 16, 1
	v_or_b32_e32 v3, 0x400000, v1
	v_cmp_u_f32_e32 vcc_lo, v1, v1
	v_add3_u32 v2, v2, v1, 0x7fff
	v_cndmask_b32_e32 v1, v2, v3, vcc_lo
	v_lshlrev_b32_e32 v2, 16, v21
	v_and_b32_e32 v1, 0xffff0000, v1
	v_mul_f32_e32 v2, v105, v2
	v_bfe_u32 v3, v2, 16, 1
	v_or_b32_e32 v4, 0x400000, v2
	v_cmp_u_f32_e32 vcc_lo, v2, v2
	v_add3_u32 v3, v3, v2, 0x7fff
	v_cndmask_b32_e32 v2, v3, v4, vcc_lo
	s_waitcnt vmcnt(2)
	v_and_b32_e32 v3, 0xffff0000, v22
	v_and_b32_e32 v2, 0xffff0000, v2
	v_mul_f32_e32 v3, v101, v3
	v_add_f32_e32 v1, v2, v1
	v_bfe_u32 v4, v3, 16, 1
	v_or_b32_e32 v5, 0x400000, v3
	v_cmp_u_f32_e32 vcc_lo, v3, v3
	v_add3_u32 v4, v4, v3, 0x7fff
	v_cndmask_b32_e32 v3, v4, v5, vcc_lo
	v_lshlrev_b32_e32 v4, 16, v22
	v_and_b32_e32 v3, 0xffff0000, v3
	v_mul_f32_e32 v4, v104, v4
	v_bfe_u32 v5, v4, 16, 1
	v_or_b32_e32 v6, 0x400000, v4
	v_cmp_u_f32_e32 vcc_lo, v4, v4
	v_add3_u32 v5, v5, v4, 0x7fff
	v_cndmask_b32_e32 v4, v5, v6, vcc_lo
	s_waitcnt vmcnt(1)
	v_and_b32_e32 v5, 0xffff0000, v23
	v_and_b32_e32 v2, 0xffff0000, v4
	v_mul_f32_e32 v5, v10, v5
	v_add_f32_e32 v2, v2, v3
	v_bfe_u32 v6, v5, 16, 1
	v_or_b32_e32 v7, 0x400000, v5
	v_cmp_u_f32_e32 vcc_lo, v5, v5
	v_add_f32_e32 v1, v2, v1
	v_add3_u32 v6, v6, v5, 0x7fff
	v_cndmask_b32_e32 v5, v6, v7, vcc_lo
	v_lshlrev_b32_e32 v6, 16, v23
	v_and_b32_e32 v3, 0xffff0000, v5
	v_mul_f32_e32 v6, v103, v6
	v_bfe_u32 v7, v6, 16, 1
	v_or_b32_e32 v8, 0x400000, v6
	v_cmp_u_f32_e32 vcc_lo, v6, v6
	v_add3_u32 v7, v7, v6, 0x7fff
	v_cndmask_b32_e32 v6, v7, v8, vcc_lo
	s_waitcnt vmcnt(0)
	v_and_b32_e32 v7, 0xffff0000, v24
	v_and_b32_e32 v2, 0xffff0000, v6
	v_mul_f32_e32 v7, v9, v7
	v_add_f32_e32 v2, v2, v3
	v_bfe_u32 v8, v7, 16, 1
	v_or_b32_e32 v12, 0x400000, v7
	v_cmp_u_f32_e32 vcc_lo, v7, v7
	v_add_f32_e32 v1, v2, v1
	v_add3_u32 v8, v8, v7, 0x7fff
	v_cndmask_b32_e32 v7, v8, v12, vcc_lo
	v_lshlrev_b32_e32 v8, 16, v24
	v_and_b32_e32 v3, 0xffff0000, v7
	v_mul_f32_e32 v8, v11, v8
	v_bfe_u32 v12, v8, 16, 1
	v_or_b32_e32 v13, 0x400000, v8
	v_cmp_u_f32_e32 vcc_lo, v8, v8
	v_add3_u32 v12, v12, v8, 0x7fff
	v_cndmask_b32_e32 v8, v12, v13, vcc_lo
	v_and_b32_e32 v2, 0xffff0000, v8
	v_add_f32_e32 v2, v2, v3
	v_add_f32_e32 v1, v2, v1
	buffer_load_dword v2, off, s[40:43], 0 offset:172 ; 4-byte Folded Reload
	s_waitcnt vmcnt(0)
	v_add_f32_e32 v2, v2, v1
	buffer_store_dword v2, off, s[40:43], 0 offset:172 ; 4-byte Folded Spill
	s_clause 0x4
	buffer_load_dword v21, off, s[40:43], 0 offset:12
	buffer_load_dword v22, off, s[40:43], 0 offset:16
	;; [unrolled: 1-line block ×5, first 2 shown]
	s_waitcnt vmcnt(4)
	v_and_b32_e32 v1, 0xffff0000, v21
	v_mul_f32_e32 v1, v102, v1
	v_bfe_u32 v2, v1, 16, 1
	v_or_b32_e32 v3, 0x400000, v1
	v_cmp_u_f32_e32 vcc_lo, v1, v1
	v_add3_u32 v2, v2, v1, 0x7fff
	v_cndmask_b32_e32 v1, v2, v3, vcc_lo
	v_lshlrev_b32_e32 v2, 16, v21
	v_and_b32_e32 v1, 0xffff0000, v1
	v_mul_f32_e32 v2, v105, v2
	v_bfe_u32 v3, v2, 16, 1
	v_or_b32_e32 v4, 0x400000, v2
	v_cmp_u_f32_e32 vcc_lo, v2, v2
	v_add3_u32 v3, v3, v2, 0x7fff
	v_cndmask_b32_e32 v2, v3, v4, vcc_lo
	s_waitcnt vmcnt(3)
	v_and_b32_e32 v3, 0xffff0000, v22
	v_and_b32_e32 v2, 0xffff0000, v2
	v_mul_f32_e32 v3, v101, v3
	v_add_f32_e32 v1, v2, v1
	v_bfe_u32 v4, v3, 16, 1
	v_or_b32_e32 v5, 0x400000, v3
	v_cmp_u_f32_e32 vcc_lo, v3, v3
	v_add3_u32 v4, v4, v3, 0x7fff
	v_cndmask_b32_e32 v3, v4, v5, vcc_lo
	v_lshlrev_b32_e32 v4, 16, v22
	v_and_b32_e32 v3, 0xffff0000, v3
	v_mul_f32_e32 v4, v104, v4
	v_bfe_u32 v5, v4, 16, 1
	v_or_b32_e32 v6, 0x400000, v4
	v_cmp_u_f32_e32 vcc_lo, v4, v4
	v_add3_u32 v5, v5, v4, 0x7fff
	v_cndmask_b32_e32 v4, v5, v6, vcc_lo
	s_waitcnt vmcnt(2)
	v_and_b32_e32 v5, 0xffff0000, v23
	v_and_b32_e32 v2, 0xffff0000, v4
	v_mul_f32_e32 v5, v10, v5
	v_add_f32_e32 v2, v2, v3
	v_bfe_u32 v6, v5, 16, 1
	v_or_b32_e32 v7, 0x400000, v5
	v_cmp_u_f32_e32 vcc_lo, v5, v5
	v_add_f32_e32 v1, v2, v1
	v_add3_u32 v6, v6, v5, 0x7fff
	v_cndmask_b32_e32 v5, v6, v7, vcc_lo
	v_lshlrev_b32_e32 v6, 16, v23
	v_and_b32_e32 v3, 0xffff0000, v5
	v_mul_f32_e32 v6, v103, v6
	v_bfe_u32 v7, v6, 16, 1
	v_or_b32_e32 v8, 0x400000, v6
	v_cmp_u_f32_e32 vcc_lo, v6, v6
	v_add3_u32 v7, v7, v6, 0x7fff
	v_cndmask_b32_e32 v6, v7, v8, vcc_lo
	s_waitcnt vmcnt(1)
	v_and_b32_e32 v7, 0xffff0000, v24
	v_and_b32_e32 v2, 0xffff0000, v6
	v_mul_f32_e32 v7, v9, v7
	v_add_f32_e32 v2, v2, v3
	v_bfe_u32 v8, v7, 16, 1
	v_or_b32_e32 v12, 0x400000, v7
	v_cmp_u_f32_e32 vcc_lo, v7, v7
	v_add_f32_e32 v1, v2, v1
	v_add3_u32 v8, v8, v7, 0x7fff
	v_cndmask_b32_e32 v7, v8, v12, vcc_lo
	v_lshlrev_b32_e32 v8, 16, v24
	v_and_b32_e32 v3, 0xffff0000, v7
	v_mul_f32_e32 v8, v11, v8
	v_bfe_u32 v12, v8, 16, 1
	v_or_b32_e32 v13, 0x400000, v8
	v_cmp_u_f32_e32 vcc_lo, v8, v8
	v_add3_u32 v12, v12, v8, 0x7fff
	v_cndmask_b32_e32 v8, v12, v13, vcc_lo
	v_and_b32_e32 v2, 0xffff0000, v8
	v_add_f32_e32 v2, v2, v3
	v_add_f32_e32 v1, v2, v1
	buffer_load_dword v2, off, s[40:43], 0 offset:168 ; 4-byte Folded Reload
	s_waitcnt vmcnt(0)
	v_add_f32_e32 v2, v2, v1
	v_lshlrev_b32_e32 v1, 16, v29
	buffer_store_dword v2, off, s[40:43], 0 offset:168 ; 4-byte Folded Spill
	v_mul_f32_e32 v1, v105, v1
	v_bfe_u32 v2, v1, 16, 1
	v_or_b32_e32 v3, 0x400000, v1
	v_cmp_u_f32_e32 vcc_lo, v1, v1
	v_add3_u32 v2, v2, v1, 0x7fff
	v_cndmask_b32_e32 v1, v2, v3, vcc_lo
	v_and_b32_e32 v2, 0xffff0000, v29
	v_and_b32_e32 v1, 0xffff0000, v1
	v_mul_f32_e32 v2, v102, v2
	v_bfe_u32 v3, v2, 16, 1
	v_or_b32_e32 v4, 0x400000, v2
	v_cmp_u_f32_e32 vcc_lo, v2, v2
	v_add3_u32 v3, v3, v2, 0x7fff
	v_cndmask_b32_e32 v2, v3, v4, vcc_lo
	v_lshlrev_b32_e32 v3, 16, v30
	v_and_b32_e32 v2, 0xffff0000, v2
	v_mul_f32_e32 v3, v104, v3
	v_add_f32_e32 v1, v1, v2
	v_bfe_u32 v4, v3, 16, 1
	v_or_b32_e32 v5, 0x400000, v3
	v_cmp_u_f32_e32 vcc_lo, v3, v3
	v_add3_u32 v4, v4, v3, 0x7fff
	v_cndmask_b32_e32 v3, v4, v5, vcc_lo
	v_and_b32_e32 v4, 0xffff0000, v30
	v_and_b32_e32 v3, 0xffff0000, v3
	v_mul_f32_e32 v4, v101, v4
	v_bfe_u32 v5, v4, 16, 1
	v_or_b32_e32 v6, 0x400000, v4
	v_cmp_u_f32_e32 vcc_lo, v4, v4
	v_add3_u32 v5, v5, v4, 0x7fff
	v_cndmask_b32_e32 v4, v5, v6, vcc_lo
	v_lshlrev_b32_e32 v5, 16, v31
	v_and_b32_e32 v2, 0xffff0000, v4
	v_mul_f32_e32 v5, v103, v5
	v_add_f32_e32 v2, v3, v2
	v_bfe_u32 v6, v5, 16, 1
	v_or_b32_e32 v7, 0x400000, v5
	v_cmp_u_f32_e32 vcc_lo, v5, v5
	v_add_f32_e32 v1, v2, v1
	v_add3_u32 v6, v6, v5, 0x7fff
	v_cndmask_b32_e32 v5, v6, v7, vcc_lo
	v_and_b32_e32 v6, 0xffff0000, v31
	v_and_b32_e32 v3, 0xffff0000, v5
	v_mul_f32_e32 v6, v10, v6
	v_bfe_u32 v7, v6, 16, 1
	v_or_b32_e32 v8, 0x400000, v6
	v_cmp_u_f32_e32 vcc_lo, v6, v6
	v_add3_u32 v7, v7, v6, 0x7fff
	v_cndmask_b32_e32 v6, v7, v8, vcc_lo
	v_lshlrev_b32_e32 v7, 16, v32
	v_and_b32_e32 v2, 0xffff0000, v6
	v_mul_f32_e32 v7, v11, v7
	v_add_f32_e32 v2, v3, v2
	v_bfe_u32 v8, v7, 16, 1
	v_or_b32_e32 v10, 0x400000, v7
	v_cmp_u_f32_e32 vcc_lo, v7, v7
	v_add_f32_e32 v1, v2, v1
	v_add3_u32 v8, v8, v7, 0x7fff
	v_cndmask_b32_e32 v7, v8, v10, vcc_lo
	v_and_b32_e32 v8, 0xffff0000, v32
	v_and_b32_e32 v3, 0xffff0000, v7
	v_mul_f32_e32 v8, v9, v8
	v_bfe_u32 v9, v8, 16, 1
	v_or_b32_e32 v10, 0x400000, v8
	v_cmp_u_f32_e32 vcc_lo, v8, v8
	v_add3_u32 v9, v9, v8, 0x7fff
	v_cndmask_b32_e32 v8, v9, v10, vcc_lo
	v_and_b32_e32 v2, 0xffff0000, v8
	v_add_f32_e32 v2, v3, v2
	v_add_f32_e32 v1, v2, v1
	;; [unrolled: 1-line block ×3, first 2 shown]
.LBB152_34:                             ;   in Loop: Header=BB152_35 Depth=1
	s_or_b32 exec_lo, exec_lo, s24
	buffer_load_dword v1, off, s[40:43], 0 offset:8 ; 4-byte Folded Reload
	v_add_co_u32 v125, s1, v125, 16
	v_add_co_ci_u32_e64 v126, null, 0, v126, s1
	buffer_load_dword v2, off, s[40:43], 0 offset:4 ; 4-byte Folded Reload
	s_waitcnt vmcnt(1)
	v_add_nc_u32_e32 v1, 4, v1
	buffer_store_dword v1, off, s[40:43], 0 offset:8 ; 4-byte Folded Spill
	v_cmp_le_i32_e32 vcc_lo, s16, v1
	buffer_load_dword v1, off, s[40:43], 0  ; 4-byte Folded Reload
	s_waitcnt vmcnt(1)
	v_add_nc_u32_e32 v2, 0x200, v2
	s_or_b32 s22, vcc_lo, s22
	buffer_store_dword v2, off, s[40:43], 0 offset:4 ; 4-byte Folded Spill
	s_waitcnt vmcnt(0)
	v_add_nc_u32_e32 v1, 0x80, v1
	s_andn2_b32 exec_lo, exec_lo, s22
	s_cbranch_execz .LBB152_100
.LBB152_35:                             ; =>This Inner Loop Header: Depth=1
	s_waitcnt vmcnt(0)
	v_mov_b32_e32 v3, v1
	v_mul_hi_u32 v1, v3, s21
	buffer_store_dword v3, off, s[40:43], 0 ; 4-byte Folded Spill
	v_mul_lo_u32 v2, v1, s12
	v_sub_nc_u32_e32 v2, v3, v2
	v_add_nc_u32_e32 v3, 1, v1
	v_subrev_nc_u32_e32 v4, s12, v2
	v_cmp_le_u32_e32 vcc_lo, s12, v2
	v_cndmask_b32_e32 v2, v2, v4, vcc_lo
	buffer_load_dword v4, off, s[40:43], 0 offset:176 ; 4-byte Folded Reload
	v_cndmask_b32_e32 v1, v1, v3, vcc_lo
	v_cmp_le_u32_e32 vcc_lo, s12, v2
	v_add_nc_u32_e32 v3, 1, v1
	v_cndmask_b32_e32 v1, v1, v3, vcc_lo
	v_xor_b32_e32 v1, s19, v1
	v_subrev_nc_u32_e32 v1, s19, v1
	v_add_nc_u32_e32 v2, s31, v1
	v_cmp_lt_i32_e64 s1, s5, v1
	v_sub_nc_u32_e32 v3, 0, v2
	v_max_i32_e32 v3, v2, v3
	v_ashrrev_i32_e32 v2, 31, v2
	s_waitcnt vmcnt(0)
	v_mul_hi_u32 v4, v3, v4
	v_mul_lo_u32 v4, v4, s17
	v_sub_nc_u32_e32 v3, v3, v4
	v_subrev_nc_u32_e32 v4, s17, v3
	v_cmp_le_u32_e32 vcc_lo, s17, v3
	v_cndmask_b32_e32 v3, v3, v4, vcc_lo
	v_subrev_nc_u32_e32 v4, s17, v3
	v_cmp_le_u32_e32 vcc_lo, s17, v3
	v_cndmask_b32_e32 v3, v3, v4, vcc_lo
	v_xor_b32_e32 v3, v3, v2
	v_sub_nc_u32_e32 v2, v3, v2
	v_cmp_eq_u32_e32 vcc_lo, 0, v2
	s_or_b32 s1, vcc_lo, s1
	s_and_saveexec_b32 s24, s1
	s_cbranch_execz .LBB152_34
; %bb.36:                               ;   in Loop: Header=BB152_35 Depth=1
	buffer_store_dword v19, off, s[40:43], 0 offset:220 ; 4-byte Folded Spill
	buffer_store_dword v18, off, s[40:43], 0 offset:216 ; 4-byte Folded Spill
	;; [unrolled: 1-line block ×11, first 2 shown]
	global_load_dword v1, v[125:126], off
	s_waitcnt vmcnt(0)
	v_mad_i64_i32 v[1:2], null, v1, s13, 0
	v_lshlrev_b64 v[1:2], 1, v[1:2]
	v_add_co_u32 v20, vcc_lo, s14, v1
	buffer_load_dword v1, off, s[40:43], 0 offset:232 ; 4-byte Folded Reload
	v_add_co_ci_u32_e64 v29, null, s15, v2, vcc_lo
	s_waitcnt vmcnt(0)
	v_add_co_u32 v1, vcc_lo, v20, v1
	v_add_co_ci_u32_e64 v2, null, 0, v29, vcc_lo
	global_load_dwordx4 v[3:6], v[1:2], off
	s_waitcnt vmcnt(0)
	buffer_store_dword v3, off, s[40:43], 0 offset:12 ; 4-byte Folded Spill
	buffer_store_dword v4, off, s[40:43], 0 offset:16 ; 4-byte Folded Spill
	;; [unrolled: 1-line block ×4, first 2 shown]
	buffer_load_dword v3, off, s[40:43], 0 offset:4 ; 4-byte Folded Reload
	s_waitcnt vmcnt(0)
	ds_read2_b64 v[105:108], v3 offset1:1
	ds_read2_b64 v[101:104], v3 offset0:2 offset1:3
	s_clause 0x1
	buffer_load_dword v3, off, s[40:43], 0
	buffer_load_dword v4, off, s[40:43], 0 offset:228
	s_waitcnt vmcnt(0)
	v_add_nc_u32_e32 v18, v4, v3
	buffer_load_dword v3, off, s[40:43], 0 offset:8 ; 4-byte Folded Reload
	v_add_nc_u32_e32 v19, 1, v18
	v_or_b32_e32 v17, 3, v18
	v_or_b32_e32 v16, 2, v18
	;; [unrolled: 1-line block ×6, first 2 shown]
	s_waitcnt vmcnt(0)
	v_cmp_eq_u32_e64 s1, s18, v3
	s_and_saveexec_b32 s25, s1
	s_cbranch_execz .LBB152_38
; %bb.37:                               ;   in Loop: Header=BB152_35 Depth=1
	s_clause 0x3
	buffer_load_dword v7, off, s[40:43], 0 offset:12
	buffer_load_dword v8, off, s[40:43], 0 offset:16
	buffer_load_dword v9, off, s[40:43], 0 offset:20
	buffer_load_dword v10, off, s[40:43], 0 offset:24
	v_cmp_gt_i32_e64 s2, s30, v18
	v_cmp_gt_i32_e32 vcc_lo, s23, v19
	v_cmp_gt_i32_e64 s3, s30, v16
	s_waitcnt vmcnt(3)
	v_cndmask_b32_e64 v3, 0, v7, s2
	v_cmp_gt_i32_e64 s2, s23, v17
	v_cndmask_b32_sdwa v5, v0, v7, vcc_lo dst_sel:DWORD dst_unused:UNUSED_PAD src0_sel:DWORD src1_sel:WORD_1
	s_waitcnt vmcnt(2)
	v_cndmask_b32_e64 v4, 0, v8, s3
	v_cmp_gt_i32_e64 s3, s23, v15
	s_mov_b32 vcc_lo, s2
	v_cmp_gt_i32_e64 s2, s23, v13
	v_cndmask_b32_sdwa v6, v0, v8, vcc_lo dst_sel:DWORD dst_unused:UNUSED_PAD src0_sel:DWORD src1_sel:WORD_1
	v_cmp_gt_i32_e32 vcc_lo, s30, v14
	v_perm_b32 v3, v5, v3, 0x5040100
	v_perm_b32 v4, v6, v4, 0x5040100
	s_waitcnt vmcnt(1)
	v_cndmask_b32_e32 v7, 0, v9, vcc_lo
	s_mov_b32 vcc_lo, s3
	v_cndmask_b32_sdwa v8, v0, v9, vcc_lo dst_sel:DWORD dst_unused:UNUSED_PAD src0_sel:DWORD src1_sel:WORD_1
	v_cmp_gt_i32_e32 vcc_lo, s30, v127
	v_perm_b32 v5, v8, v7, 0x5040100
	s_waitcnt vmcnt(0)
	v_cndmask_b32_e32 v9, 0, v10, vcc_lo
	s_mov_b32 vcc_lo, s2
	v_cndmask_b32_sdwa v10, v0, v10, vcc_lo dst_sel:DWORD dst_unused:UNUSED_PAD src0_sel:DWORD src1_sel:WORD_1
	v_perm_b32 v6, v10, v9, 0x5040100
	buffer_store_dword v3, off, s[40:43], 0 offset:12 ; 4-byte Folded Spill
	buffer_store_dword v4, off, s[40:43], 0 offset:16 ; 4-byte Folded Spill
	buffer_store_dword v5, off, s[40:43], 0 offset:20 ; 4-byte Folded Spill
	buffer_store_dword v6, off, s[40:43], 0 offset:24 ; 4-byte Folded Spill
.LBB152_38:                             ;   in Loop: Header=BB152_35 Depth=1
	s_or_b32 exec_lo, exec_lo, s25
	global_load_dwordx4 v[3:6], v[1:2], off offset:512
	s_waitcnt vmcnt(0)
	buffer_store_dword v3, off, s[40:43], 0 offset:28 ; 4-byte Folded Spill
	buffer_store_dword v4, off, s[40:43], 0 offset:32 ; 4-byte Folded Spill
	buffer_store_dword v5, off, s[40:43], 0 offset:36 ; 4-byte Folded Spill
	buffer_store_dword v6, off, s[40:43], 0 offset:40 ; 4-byte Folded Spill
	s_and_saveexec_b32 s25, s1
	s_cbranch_execz .LBB152_40
; %bb.39:                               ;   in Loop: Header=BB152_35 Depth=1
	s_clause 0x3
	buffer_load_dword v7, off, s[40:43], 0 offset:28
	buffer_load_dword v8, off, s[40:43], 0 offset:32
	buffer_load_dword v9, off, s[40:43], 0 offset:36
	buffer_load_dword v10, off, s[40:43], 0 offset:40
	v_cmp_gt_i32_e64 s2, s30, v18
	v_cmp_gt_i32_e32 vcc_lo, s23, v19
	v_cmp_gt_i32_e64 s3, s30, v16
	s_waitcnt vmcnt(3)
	v_cndmask_b32_e64 v3, 0, v7, s2
	v_cmp_gt_i32_e64 s2, s23, v17
	v_cndmask_b32_sdwa v5, v0, v7, vcc_lo dst_sel:DWORD dst_unused:UNUSED_PAD src0_sel:DWORD src1_sel:WORD_1
	s_waitcnt vmcnt(2)
	v_cndmask_b32_e64 v4, 0, v8, s3
	v_cmp_gt_i32_e64 s3, s23, v15
	s_mov_b32 vcc_lo, s2
	v_cmp_gt_i32_e64 s2, s23, v13
	v_cndmask_b32_sdwa v6, v0, v8, vcc_lo dst_sel:DWORD dst_unused:UNUSED_PAD src0_sel:DWORD src1_sel:WORD_1
	v_cmp_gt_i32_e32 vcc_lo, s30, v14
	v_perm_b32 v3, v5, v3, 0x5040100
	v_perm_b32 v4, v6, v4, 0x5040100
	s_waitcnt vmcnt(1)
	v_cndmask_b32_e32 v7, 0, v9, vcc_lo
	s_mov_b32 vcc_lo, s3
	v_cndmask_b32_sdwa v8, v0, v9, vcc_lo dst_sel:DWORD dst_unused:UNUSED_PAD src0_sel:DWORD src1_sel:WORD_1
	v_cmp_gt_i32_e32 vcc_lo, s30, v127
	v_perm_b32 v5, v8, v7, 0x5040100
	s_waitcnt vmcnt(0)
	v_cndmask_b32_e32 v9, 0, v10, vcc_lo
	s_mov_b32 vcc_lo, s2
	v_cndmask_b32_sdwa v10, v0, v10, vcc_lo dst_sel:DWORD dst_unused:UNUSED_PAD src0_sel:DWORD src1_sel:WORD_1
	v_perm_b32 v6, v10, v9, 0x5040100
	buffer_store_dword v3, off, s[40:43], 0 offset:28 ; 4-byte Folded Spill
	buffer_store_dword v4, off, s[40:43], 0 offset:32 ; 4-byte Folded Spill
	buffer_store_dword v5, off, s[40:43], 0 offset:36 ; 4-byte Folded Spill
	buffer_store_dword v6, off, s[40:43], 0 offset:40 ; 4-byte Folded Spill
.LBB152_40:                             ;   in Loop: Header=BB152_35 Depth=1
	s_or_b32 exec_lo, exec_lo, s25
	global_load_dwordx4 v[3:6], v[1:2], off offset:1024
	s_waitcnt vmcnt(0)
	buffer_store_dword v3, off, s[40:43], 0 offset:44 ; 4-byte Folded Spill
	buffer_store_dword v4, off, s[40:43], 0 offset:48 ; 4-byte Folded Spill
	buffer_store_dword v5, off, s[40:43], 0 offset:52 ; 4-byte Folded Spill
	buffer_store_dword v6, off, s[40:43], 0 offset:56 ; 4-byte Folded Spill
	;; [unrolled: 47-line block ×3, first 2 shown]
	s_and_saveexec_b32 s25, s1
	s_cbranch_execz .LBB152_44
; %bb.43:                               ;   in Loop: Header=BB152_35 Depth=1
	s_clause 0x3
	buffer_load_dword v7, off, s[40:43], 0 offset:60
	buffer_load_dword v8, off, s[40:43], 0 offset:64
	;; [unrolled: 1-line block ×4, first 2 shown]
	v_cmp_gt_i32_e64 s2, s30, v18
	v_cmp_gt_i32_e32 vcc_lo, s23, v19
	v_cmp_gt_i32_e64 s3, s30, v16
	s_waitcnt vmcnt(3)
	v_cndmask_b32_e64 v3, 0, v7, s2
	v_cmp_gt_i32_e64 s2, s23, v17
	v_cndmask_b32_sdwa v5, v0, v7, vcc_lo dst_sel:DWORD dst_unused:UNUSED_PAD src0_sel:DWORD src1_sel:WORD_1
	s_waitcnt vmcnt(2)
	v_cndmask_b32_e64 v4, 0, v8, s3
	v_cmp_gt_i32_e64 s3, s23, v15
	s_mov_b32 vcc_lo, s2
	v_cmp_gt_i32_e64 s2, s23, v13
	v_cndmask_b32_sdwa v6, v0, v8, vcc_lo dst_sel:DWORD dst_unused:UNUSED_PAD src0_sel:DWORD src1_sel:WORD_1
	v_cmp_gt_i32_e32 vcc_lo, s30, v14
	v_perm_b32 v3, v5, v3, 0x5040100
	v_perm_b32 v4, v6, v4, 0x5040100
	s_waitcnt vmcnt(1)
	v_cndmask_b32_e32 v7, 0, v9, vcc_lo
	s_mov_b32 vcc_lo, s3
	v_cndmask_b32_sdwa v8, v0, v9, vcc_lo dst_sel:DWORD dst_unused:UNUSED_PAD src0_sel:DWORD src1_sel:WORD_1
	v_cmp_gt_i32_e32 vcc_lo, s30, v127
	v_perm_b32 v5, v8, v7, 0x5040100
	s_waitcnt vmcnt(0)
	v_cndmask_b32_e32 v9, 0, v10, vcc_lo
	s_mov_b32 vcc_lo, s2
	v_cndmask_b32_sdwa v10, v0, v10, vcc_lo dst_sel:DWORD dst_unused:UNUSED_PAD src0_sel:DWORD src1_sel:WORD_1
	v_perm_b32 v6, v10, v9, 0x5040100
	buffer_store_dword v3, off, s[40:43], 0 offset:60 ; 4-byte Folded Spill
	buffer_store_dword v4, off, s[40:43], 0 offset:64 ; 4-byte Folded Spill
	;; [unrolled: 1-line block ×4, first 2 shown]
.LBB152_44:                             ;   in Loop: Header=BB152_35 Depth=1
	s_or_b32 exec_lo, exec_lo, s25
	v_add_co_u32 v3, vcc_lo, 0x800, v1
	v_add_co_ci_u32_e64 v4, null, 0, v2, vcc_lo
	global_load_dwordx4 v[5:8], v[3:4], off
	s_waitcnt vmcnt(0)
	buffer_store_dword v5, off, s[40:43], 0 offset:76 ; 4-byte Folded Spill
	buffer_store_dword v6, off, s[40:43], 0 offset:80 ; 4-byte Folded Spill
	;; [unrolled: 1-line block ×4, first 2 shown]
	s_and_saveexec_b32 s25, s1
	s_cbranch_execnz .LBB152_80
; %bb.45:                               ;   in Loop: Header=BB152_35 Depth=1
	s_or_b32 exec_lo, exec_lo, s25
	global_load_dwordx4 v[21:24], v[3:4], off offset:512
	s_and_saveexec_b32 s25, s1
	s_cbranch_execnz .LBB152_81
.LBB152_46:                             ;   in Loop: Header=BB152_35 Depth=1
	s_or_b32 exec_lo, exec_lo, s25
	global_load_dwordx4 v[25:28], v[3:4], off offset:1024
	s_and_saveexec_b32 s25, s1
	s_cbranch_execnz .LBB152_82
.LBB152_47:                             ;   in Loop: Header=BB152_35 Depth=1
	s_or_b32 exec_lo, exec_lo, s25
	global_load_dwordx4 v[33:36], v[3:4], off offset:1536
	s_and_saveexec_b32 s25, s1
	s_cbranch_execz .LBB152_49
.LBB152_48:                             ;   in Loop: Header=BB152_35 Depth=1
	v_cmp_gt_i32_e64 s2, s30, v18
	v_cmp_gt_i32_e32 vcc_lo, s23, v19
	v_cmp_gt_i32_e64 s3, s30, v16
	s_waitcnt vmcnt(0)
	v_cndmask_b32_e64 v3, 0, v33, s2
	v_cmp_gt_i32_e64 s2, s23, v17
	v_cndmask_b32_sdwa v5, v0, v33, vcc_lo dst_sel:DWORD dst_unused:UNUSED_PAD src0_sel:DWORD src1_sel:WORD_1
	v_cndmask_b32_e64 v4, 0, v34, s3
	v_cmp_gt_i32_e64 s3, s23, v15
	s_mov_b32 vcc_lo, s2
	v_cmp_gt_i32_e64 s2, s23, v13
	v_cndmask_b32_sdwa v6, v0, v34, vcc_lo dst_sel:DWORD dst_unused:UNUSED_PAD src0_sel:DWORD src1_sel:WORD_1
	v_cmp_gt_i32_e32 vcc_lo, s30, v14
	v_perm_b32 v33, v5, v3, 0x5040100
	v_perm_b32 v34, v6, v4, 0x5040100
	v_cndmask_b32_e32 v7, 0, v35, vcc_lo
	s_mov_b32 vcc_lo, s3
	v_cndmask_b32_sdwa v8, v0, v35, vcc_lo dst_sel:DWORD dst_unused:UNUSED_PAD src0_sel:DWORD src1_sel:WORD_1
	v_cmp_gt_i32_e32 vcc_lo, s30, v127
	v_perm_b32 v35, v8, v7, 0x5040100
	v_cndmask_b32_e32 v9, 0, v36, vcc_lo
	s_mov_b32 vcc_lo, s2
	v_cndmask_b32_sdwa v10, v0, v36, vcc_lo dst_sel:DWORD dst_unused:UNUSED_PAD src0_sel:DWORD src1_sel:WORD_1
	v_perm_b32 v36, v10, v9, 0x5040100
.LBB152_49:                             ;   in Loop: Header=BB152_35 Depth=1
	s_or_b32 exec_lo, exec_lo, s25
	v_add_co_u32 v3, vcc_lo, 0x1000, v1
	v_add_co_ci_u32_e64 v4, null, 0, v2, vcc_lo
	global_load_dwordx4 v[37:40], v[3:4], off
	s_and_saveexec_b32 s25, s1
	s_cbranch_execnz .LBB152_83
; %bb.50:                               ;   in Loop: Header=BB152_35 Depth=1
	s_or_b32 exec_lo, exec_lo, s25
	global_load_dwordx4 v[41:44], v[3:4], off offset:512
	s_and_saveexec_b32 s25, s1
	s_cbranch_execnz .LBB152_84
.LBB152_51:                             ;   in Loop: Header=BB152_35 Depth=1
	s_or_b32 exec_lo, exec_lo, s25
	global_load_dwordx4 v[45:48], v[3:4], off offset:1024
	s_and_saveexec_b32 s25, s1
	s_cbranch_execnz .LBB152_85
.LBB152_52:                             ;   in Loop: Header=BB152_35 Depth=1
	s_or_b32 exec_lo, exec_lo, s25
	global_load_dwordx4 v[49:52], v[3:4], off offset:1536
	s_and_saveexec_b32 s25, s1
	s_cbranch_execz .LBB152_54
.LBB152_53:                             ;   in Loop: Header=BB152_35 Depth=1
	v_cmp_gt_i32_e64 s2, s30, v18
	v_cmp_gt_i32_e32 vcc_lo, s23, v19
	v_cmp_gt_i32_e64 s3, s30, v16
	s_waitcnt vmcnt(0)
	v_cndmask_b32_e64 v3, 0, v49, s2
	v_cmp_gt_i32_e64 s2, s23, v17
	v_cndmask_b32_sdwa v5, v0, v49, vcc_lo dst_sel:DWORD dst_unused:UNUSED_PAD src0_sel:DWORD src1_sel:WORD_1
	v_cndmask_b32_e64 v4, 0, v50, s3
	v_cmp_gt_i32_e64 s3, s23, v15
	s_mov_b32 vcc_lo, s2
	v_cmp_gt_i32_e64 s2, s23, v13
	v_cndmask_b32_sdwa v6, v0, v50, vcc_lo dst_sel:DWORD dst_unused:UNUSED_PAD src0_sel:DWORD src1_sel:WORD_1
	v_cmp_gt_i32_e32 vcc_lo, s30, v14
	v_perm_b32 v49, v5, v3, 0x5040100
	v_perm_b32 v50, v6, v4, 0x5040100
	v_cndmask_b32_e32 v7, 0, v51, vcc_lo
	s_mov_b32 vcc_lo, s3
	v_cndmask_b32_sdwa v8, v0, v51, vcc_lo dst_sel:DWORD dst_unused:UNUSED_PAD src0_sel:DWORD src1_sel:WORD_1
	v_cmp_gt_i32_e32 vcc_lo, s30, v127
	v_perm_b32 v51, v8, v7, 0x5040100
	v_cndmask_b32_e32 v9, 0, v52, vcc_lo
	s_mov_b32 vcc_lo, s2
	v_cndmask_b32_sdwa v10, v0, v52, vcc_lo dst_sel:DWORD dst_unused:UNUSED_PAD src0_sel:DWORD src1_sel:WORD_1
	v_perm_b32 v52, v10, v9, 0x5040100
.LBB152_54:                             ;   in Loop: Header=BB152_35 Depth=1
	s_or_b32 exec_lo, exec_lo, s25
	v_add_co_u32 v3, vcc_lo, 0x1800, v1
	v_add_co_ci_u32_e64 v4, null, 0, v2, vcc_lo
	global_load_dwordx4 v[53:56], v[3:4], off
	s_and_saveexec_b32 s25, s1
	s_cbranch_execnz .LBB152_86
; %bb.55:                               ;   in Loop: Header=BB152_35 Depth=1
	s_or_b32 exec_lo, exec_lo, s25
	global_load_dwordx4 v[57:60], v[3:4], off offset:512
	s_and_saveexec_b32 s3, s1
	s_cbranch_execnz .LBB152_87
.LBB152_56:                             ;   in Loop: Header=BB152_35 Depth=1
	s_or_b32 exec_lo, exec_lo, s3
	global_load_dwordx4 v[61:64], v[3:4], off offset:1024
	s_and_saveexec_b32 s3, s1
	s_cbranch_execnz .LBB152_88
.LBB152_57:                             ;   in Loop: Header=BB152_35 Depth=1
	s_or_b32 exec_lo, exec_lo, s3
	global_load_dwordx4 v[65:68], v[3:4], off offset:1536
	s_and_saveexec_b32 s3, s1
	s_cbranch_execz .LBB152_59
.LBB152_58:                             ;   in Loop: Header=BB152_35 Depth=1
	v_cmp_gt_i32_e64 s2, s30, v18
	v_cmp_gt_i32_e32 vcc_lo, s23, v19
	s_waitcnt vmcnt(0)
	v_cndmask_b32_e64 v4, 0, v65, s2
	v_cndmask_b32_sdwa v3, v0, v65, vcc_lo dst_sel:DWORD dst_unused:UNUSED_PAD src0_sel:DWORD src1_sel:WORD_1
	v_cmp_gt_i32_e32 vcc_lo, s23, v17
	v_cmp_gt_i32_e64 s2, s30, v16
	v_perm_b32 v65, v3, v4, 0x5040100
	v_cndmask_b32_sdwa v4, v0, v66, vcc_lo dst_sel:DWORD dst_unused:UNUSED_PAD src0_sel:DWORD src1_sel:WORD_1
	v_cndmask_b32_e64 v3, 0, v66, s2
	v_cmp_gt_i32_e32 vcc_lo, s23, v15
	v_cmp_gt_i32_e64 s2, s30, v14
	v_perm_b32 v66, v4, v3, 0x5040100
	v_cndmask_b32_sdwa v4, v0, v67, vcc_lo dst_sel:DWORD dst_unused:UNUSED_PAD src0_sel:DWORD src1_sel:WORD_1
	v_cndmask_b32_e64 v3, 0, v67, s2
	;; [unrolled: 5-line block ×3, first 2 shown]
	v_perm_b32 v68, v4, v3, 0x5040100
.LBB152_59:                             ;   in Loop: Header=BB152_35 Depth=1
	s_or_b32 exec_lo, exec_lo, s3
	v_add_co_u32 v3, vcc_lo, 0x2000, v1
	v_add_co_ci_u32_e64 v4, null, 0, v2, vcc_lo
	global_load_dwordx4 v[69:72], v[3:4], off
	s_and_saveexec_b32 s3, s1
	s_cbranch_execnz .LBB152_89
; %bb.60:                               ;   in Loop: Header=BB152_35 Depth=1
	s_or_b32 exec_lo, exec_lo, s3
	global_load_dwordx4 v[73:76], v[3:4], off offset:512
	s_and_saveexec_b32 s3, s1
	s_cbranch_execnz .LBB152_90
.LBB152_61:                             ;   in Loop: Header=BB152_35 Depth=1
	s_or_b32 exec_lo, exec_lo, s3
	global_load_dwordx4 v[77:80], v[3:4], off offset:1024
	s_and_saveexec_b32 s3, s1
	s_cbranch_execnz .LBB152_91
.LBB152_62:                             ;   in Loop: Header=BB152_35 Depth=1
	s_or_b32 exec_lo, exec_lo, s3
	global_load_dwordx4 v[81:84], v[3:4], off offset:1536
	s_and_saveexec_b32 s3, s1
	s_cbranch_execz .LBB152_64
.LBB152_63:                             ;   in Loop: Header=BB152_35 Depth=1
	v_cmp_gt_i32_e64 s2, s30, v18
	v_cmp_gt_i32_e32 vcc_lo, s23, v19
	s_waitcnt vmcnt(0)
	v_cndmask_b32_e64 v4, 0, v81, s2
	v_cndmask_b32_sdwa v3, v0, v81, vcc_lo dst_sel:DWORD dst_unused:UNUSED_PAD src0_sel:DWORD src1_sel:WORD_1
	v_cmp_gt_i32_e32 vcc_lo, s23, v17
	v_cmp_gt_i32_e64 s2, s30, v16
	v_perm_b32 v81, v3, v4, 0x5040100
	v_cndmask_b32_sdwa v4, v0, v82, vcc_lo dst_sel:DWORD dst_unused:UNUSED_PAD src0_sel:DWORD src1_sel:WORD_1
	v_cndmask_b32_e64 v3, 0, v82, s2
	v_cmp_gt_i32_e32 vcc_lo, s23, v15
	v_cmp_gt_i32_e64 s2, s30, v14
	v_perm_b32 v82, v4, v3, 0x5040100
	v_cndmask_b32_sdwa v4, v0, v83, vcc_lo dst_sel:DWORD dst_unused:UNUSED_PAD src0_sel:DWORD src1_sel:WORD_1
	v_cndmask_b32_e64 v3, 0, v83, s2
	;; [unrolled: 5-line block ×3, first 2 shown]
	v_perm_b32 v84, v4, v3, 0x5040100
.LBB152_64:                             ;   in Loop: Header=BB152_35 Depth=1
	s_or_b32 exec_lo, exec_lo, s3
	v_add_co_u32 v3, vcc_lo, 0x2800, v1
	v_add_co_ci_u32_e64 v4, null, 0, v2, vcc_lo
	global_load_dwordx4 v[85:88], v[3:4], off
	s_and_saveexec_b32 s3, s1
	s_cbranch_execnz .LBB152_92
; %bb.65:                               ;   in Loop: Header=BB152_35 Depth=1
	s_or_b32 exec_lo, exec_lo, s3
	global_load_dwordx4 v[89:92], v[3:4], off offset:512
	s_and_saveexec_b32 s3, s1
	s_cbranch_execnz .LBB152_93
.LBB152_66:                             ;   in Loop: Header=BB152_35 Depth=1
	s_or_b32 exec_lo, exec_lo, s3
	global_load_dwordx4 v[93:96], v[3:4], off offset:1024
	s_and_saveexec_b32 s3, s1
	s_cbranch_execnz .LBB152_94
.LBB152_67:                             ;   in Loop: Header=BB152_35 Depth=1
	s_or_b32 exec_lo, exec_lo, s3
	global_load_dwordx4 v[97:100], v[3:4], off offset:1536
	s_and_saveexec_b32 s3, s1
	s_cbranch_execz .LBB152_69
.LBB152_68:                             ;   in Loop: Header=BB152_35 Depth=1
	v_cmp_gt_i32_e64 s2, s30, v18
	v_cmp_gt_i32_e32 vcc_lo, s23, v19
	s_waitcnt vmcnt(0)
	v_cndmask_b32_e64 v4, 0, v97, s2
	v_cndmask_b32_sdwa v3, v0, v97, vcc_lo dst_sel:DWORD dst_unused:UNUSED_PAD src0_sel:DWORD src1_sel:WORD_1
	v_cmp_gt_i32_e32 vcc_lo, s23, v17
	v_cmp_gt_i32_e64 s2, s30, v16
	v_perm_b32 v97, v3, v4, 0x5040100
	v_cndmask_b32_sdwa v4, v0, v98, vcc_lo dst_sel:DWORD dst_unused:UNUSED_PAD src0_sel:DWORD src1_sel:WORD_1
	v_cndmask_b32_e64 v3, 0, v98, s2
	v_cmp_gt_i32_e32 vcc_lo, s23, v15
	v_cmp_gt_i32_e64 s2, s30, v14
	v_perm_b32 v98, v4, v3, 0x5040100
	v_cndmask_b32_sdwa v4, v0, v99, vcc_lo dst_sel:DWORD dst_unused:UNUSED_PAD src0_sel:DWORD src1_sel:WORD_1
	v_cndmask_b32_e64 v3, 0, v99, s2
	;; [unrolled: 5-line block ×3, first 2 shown]
	v_perm_b32 v100, v4, v3, 0x5040100
.LBB152_69:                             ;   in Loop: Header=BB152_35 Depth=1
	s_or_b32 exec_lo, exec_lo, s3
	v_add_co_u32 v3, vcc_lo, 0x3000, v1
	v_add_co_ci_u32_e64 v4, null, 0, v2, vcc_lo
	global_load_dwordx4 v[109:112], v[3:4], off
	s_and_saveexec_b32 s3, s1
	s_cbranch_execnz .LBB152_95
; %bb.70:                               ;   in Loop: Header=BB152_35 Depth=1
	s_or_b32 exec_lo, exec_lo, s3
	global_load_dwordx4 v[113:116], v[3:4], off offset:512
	s_and_saveexec_b32 s3, s1
	s_cbranch_execnz .LBB152_96
.LBB152_71:                             ;   in Loop: Header=BB152_35 Depth=1
	s_or_b32 exec_lo, exec_lo, s3
	global_load_dwordx4 v[117:120], v[3:4], off offset:1024
	s_and_saveexec_b32 s3, s1
	s_cbranch_execnz .LBB152_97
.LBB152_72:                             ;   in Loop: Header=BB152_35 Depth=1
	s_or_b32 exec_lo, exec_lo, s3
	global_load_dwordx4 v[121:124], v[3:4], off offset:1536
	s_and_saveexec_b32 s3, s1
	s_cbranch_execz .LBB152_74
.LBB152_73:                             ;   in Loop: Header=BB152_35 Depth=1
	v_cmp_gt_i32_e64 s2, s30, v18
	v_cmp_gt_i32_e32 vcc_lo, s23, v19
	s_waitcnt vmcnt(0)
	v_cndmask_b32_e64 v4, 0, v121, s2
	v_cndmask_b32_sdwa v3, v0, v121, vcc_lo dst_sel:DWORD dst_unused:UNUSED_PAD src0_sel:DWORD src1_sel:WORD_1
	v_cmp_gt_i32_e32 vcc_lo, s23, v17
	v_cmp_gt_i32_e64 s2, s30, v16
	v_perm_b32 v121, v3, v4, 0x5040100
	v_cndmask_b32_sdwa v4, v0, v122, vcc_lo dst_sel:DWORD dst_unused:UNUSED_PAD src0_sel:DWORD src1_sel:WORD_1
	v_cndmask_b32_e64 v3, 0, v122, s2
	v_cmp_gt_i32_e32 vcc_lo, s23, v15
	v_cmp_gt_i32_e64 s2, s30, v14
	v_perm_b32 v122, v4, v3, 0x5040100
	v_cndmask_b32_sdwa v4, v0, v123, vcc_lo dst_sel:DWORD dst_unused:UNUSED_PAD src0_sel:DWORD src1_sel:WORD_1
	v_cndmask_b32_e64 v3, 0, v123, s2
	v_cmp_gt_i32_e32 vcc_lo, s23, v13
	v_cmp_gt_i32_e64 s2, s30, v127
	v_perm_b32 v123, v4, v3, 0x5040100
	v_cndmask_b32_sdwa v4, v0, v124, vcc_lo dst_sel:DWORD dst_unused:UNUSED_PAD src0_sel:DWORD src1_sel:WORD_1
	v_cndmask_b32_e64 v3, 0, v124, s2
	v_perm_b32 v124, v4, v3, 0x5040100
.LBB152_74:                             ;   in Loop: Header=BB152_35 Depth=1
	s_or_b32 exec_lo, exec_lo, s3
	v_add_co_u32 v9, vcc_lo, 0x3800, v1
	v_add_co_ci_u32_e64 v10, null, 0, v2, vcc_lo
	global_load_dwordx4 v[1:4], v[9:10], off
	s_and_saveexec_b32 s3, s1
	s_cbranch_execnz .LBB152_98
; %bb.75:                               ;   in Loop: Header=BB152_35 Depth=1
	s_or_b32 exec_lo, exec_lo, s3
	global_load_dwordx4 v[5:8], v[9:10], off offset:512
	s_and_saveexec_b32 s3, s1
	s_cbranch_execnz .LBB152_99
.LBB152_76:                             ;   in Loop: Header=BB152_35 Depth=1
	s_or_b32 exec_lo, exec_lo, s3
	global_load_dwordx4 v[9:12], v[9:10], off offset:1024
	s_and_saveexec_b32 s3, s1
	s_cbranch_execz .LBB152_78
.LBB152_77:                             ;   in Loop: Header=BB152_35 Depth=1
	v_cmp_gt_i32_e64 s2, s30, v18
	v_cmp_gt_i32_e32 vcc_lo, s23, v19
	s_waitcnt vmcnt(0)
	v_cndmask_b32_sdwa v30, v0, v9, vcc_lo dst_sel:DWORD dst_unused:UNUSED_PAD src0_sel:DWORD src1_sel:WORD_1
	v_cndmask_b32_e64 v9, 0, v9, s2
	v_cmp_gt_i32_e32 vcc_lo, s23, v17
	v_cmp_gt_i32_e64 s2, s30, v16
	v_perm_b32 v9, v30, v9, 0x5040100
	v_cndmask_b32_e64 v30, 0, v10, s2
	v_cndmask_b32_sdwa v10, v0, v10, vcc_lo dst_sel:DWORD dst_unused:UNUSED_PAD src0_sel:DWORD src1_sel:WORD_1
	v_cmp_gt_i32_e32 vcc_lo, s23, v15
	v_cmp_gt_i32_e64 s2, s30, v14
	v_perm_b32 v10, v10, v30, 0x5040100
	v_cndmask_b32_e64 v30, 0, v11, s2
	v_cndmask_b32_sdwa v11, v0, v11, vcc_lo dst_sel:DWORD dst_unused:UNUSED_PAD src0_sel:DWORD src1_sel:WORD_1
	v_cmp_gt_i32_e32 vcc_lo, s23, v13
	v_cmp_gt_i32_e64 s2, s30, v127
	v_perm_b32 v11, v11, v30, 0x5040100
	v_cndmask_b32_e64 v30, 0, v12, s2
	v_cndmask_b32_sdwa v12, v0, v12, vcc_lo dst_sel:DWORD dst_unused:UNUSED_PAD src0_sel:DWORD src1_sel:WORD_1
	v_perm_b32 v12, v12, v30, 0x5040100
.LBB152_78:                             ;   in Loop: Header=BB152_35 Depth=1
	s_or_b32 exec_lo, exec_lo, s3
	buffer_load_dword v30, off, s[40:43], 0 offset:236 ; 4-byte Folded Reload
	s_waitcnt vmcnt(0)
	v_add_co_u32 v30, vcc_lo, v20, v30
	v_add_co_ci_u32_e64 v31, null, 0, v29, vcc_lo
	global_load_dwordx4 v[29:32], v[30:31], off
	s_and_saveexec_b32 s2, s1
	s_cbranch_execz .LBB152_33
; %bb.79:                               ;   in Loop: Header=BB152_35 Depth=1
	v_cmp_gt_i32_e64 s1, s30, v18
	v_cmp_gt_i32_e32 vcc_lo, s23, v19
	s_waitcnt vmcnt(0)
	v_cndmask_b32_e64 v19, 0, v29, s1
	v_cndmask_b32_sdwa v18, v0, v29, vcc_lo dst_sel:DWORD dst_unused:UNUSED_PAD src0_sel:DWORD src1_sel:WORD_1
	v_cmp_gt_i32_e32 vcc_lo, s23, v17
	v_cmp_gt_i32_e64 s1, s30, v16
	v_perm_b32 v29, v18, v19, 0x5040100
	v_cndmask_b32_sdwa v17, v0, v30, vcc_lo dst_sel:DWORD dst_unused:UNUSED_PAD src0_sel:DWORD src1_sel:WORD_1
	v_cndmask_b32_e64 v16, 0, v30, s1
	v_cmp_gt_i32_e32 vcc_lo, s23, v15
	v_cmp_gt_i32_e64 s1, s30, v14
	v_perm_b32 v30, v17, v16, 0x5040100
	v_cndmask_b32_sdwa v15, v0, v31, vcc_lo dst_sel:DWORD dst_unused:UNUSED_PAD src0_sel:DWORD src1_sel:WORD_1
	v_cndmask_b32_e64 v14, 0, v31, s1
	;; [unrolled: 5-line block ×3, first 2 shown]
	v_perm_b32 v32, v14, v13, 0x5040100
	s_branch .LBB152_33
.LBB152_80:                             ;   in Loop: Header=BB152_35 Depth=1
	s_clause 0x3
	buffer_load_dword v9, off, s[40:43], 0 offset:76
	buffer_load_dword v10, off, s[40:43], 0 offset:80
	;; [unrolled: 1-line block ×4, first 2 shown]
	v_cmp_gt_i32_e64 s2, s30, v18
	v_cmp_gt_i32_e32 vcc_lo, s23, v19
	v_cmp_gt_i32_e64 s3, s30, v16
	s_waitcnt vmcnt(3)
	v_cndmask_b32_e64 v5, 0, v9, s2
	v_cmp_gt_i32_e64 s2, s23, v17
	v_cndmask_b32_sdwa v7, v0, v9, vcc_lo dst_sel:DWORD dst_unused:UNUSED_PAD src0_sel:DWORD src1_sel:WORD_1
	s_waitcnt vmcnt(2)
	v_cndmask_b32_e64 v6, 0, v10, s3
	v_cmp_gt_i32_e64 s3, s23, v15
	s_mov_b32 vcc_lo, s2
	v_cmp_gt_i32_e64 s2, s23, v13
	v_cndmask_b32_sdwa v8, v0, v10, vcc_lo dst_sel:DWORD dst_unused:UNUSED_PAD src0_sel:DWORD src1_sel:WORD_1
	v_cmp_gt_i32_e32 vcc_lo, s30, v14
	v_perm_b32 v5, v7, v5, 0x5040100
	v_perm_b32 v6, v8, v6, 0x5040100
	s_waitcnt vmcnt(1)
	v_cndmask_b32_e32 v9, 0, v11, vcc_lo
	s_mov_b32 vcc_lo, s3
	v_cndmask_b32_sdwa v10, v0, v11, vcc_lo dst_sel:DWORD dst_unused:UNUSED_PAD src0_sel:DWORD src1_sel:WORD_1
	v_cmp_gt_i32_e32 vcc_lo, s30, v127
	v_perm_b32 v7, v10, v9, 0x5040100
	s_waitcnt vmcnt(0)
	v_cndmask_b32_e32 v11, 0, v12, vcc_lo
	s_mov_b32 vcc_lo, s2
	v_cndmask_b32_sdwa v12, v0, v12, vcc_lo dst_sel:DWORD dst_unused:UNUSED_PAD src0_sel:DWORD src1_sel:WORD_1
	v_perm_b32 v8, v12, v11, 0x5040100
	buffer_store_dword v5, off, s[40:43], 0 offset:76 ; 4-byte Folded Spill
	buffer_store_dword v6, off, s[40:43], 0 offset:80 ; 4-byte Folded Spill
	buffer_store_dword v7, off, s[40:43], 0 offset:84 ; 4-byte Folded Spill
	buffer_store_dword v8, off, s[40:43], 0 offset:88 ; 4-byte Folded Spill
	s_or_b32 exec_lo, exec_lo, s25
	global_load_dwordx4 v[21:24], v[3:4], off offset:512
	s_and_saveexec_b32 s25, s1
	s_cbranch_execz .LBB152_46
.LBB152_81:                             ;   in Loop: Header=BB152_35 Depth=1
	v_cmp_gt_i32_e64 s2, s30, v18
	v_cmp_gt_i32_e32 vcc_lo, s23, v19
	v_cmp_gt_i32_e64 s3, s30, v16
	s_waitcnt vmcnt(0)
	v_cndmask_b32_e64 v5, 0, v21, s2
	v_cmp_gt_i32_e64 s2, s23, v17
	v_cndmask_b32_sdwa v7, v0, v21, vcc_lo dst_sel:DWORD dst_unused:UNUSED_PAD src0_sel:DWORD src1_sel:WORD_1
	v_cndmask_b32_e64 v6, 0, v22, s3
	v_cmp_gt_i32_e64 s3, s23, v15
	s_mov_b32 vcc_lo, s2
	v_cmp_gt_i32_e64 s2, s23, v13
	v_cndmask_b32_sdwa v8, v0, v22, vcc_lo dst_sel:DWORD dst_unused:UNUSED_PAD src0_sel:DWORD src1_sel:WORD_1
	v_cmp_gt_i32_e32 vcc_lo, s30, v14
	v_perm_b32 v21, v7, v5, 0x5040100
	v_perm_b32 v22, v8, v6, 0x5040100
	v_cndmask_b32_e32 v9, 0, v23, vcc_lo
	s_mov_b32 vcc_lo, s3
	v_cndmask_b32_sdwa v10, v0, v23, vcc_lo dst_sel:DWORD dst_unused:UNUSED_PAD src0_sel:DWORD src1_sel:WORD_1
	v_cmp_gt_i32_e32 vcc_lo, s30, v127
	v_perm_b32 v23, v10, v9, 0x5040100
	v_cndmask_b32_e32 v11, 0, v24, vcc_lo
	s_mov_b32 vcc_lo, s2
	v_cndmask_b32_sdwa v12, v0, v24, vcc_lo dst_sel:DWORD dst_unused:UNUSED_PAD src0_sel:DWORD src1_sel:WORD_1
	v_perm_b32 v24, v12, v11, 0x5040100
	s_or_b32 exec_lo, exec_lo, s25
	global_load_dwordx4 v[25:28], v[3:4], off offset:1024
	s_and_saveexec_b32 s25, s1
	s_cbranch_execz .LBB152_47
.LBB152_82:                             ;   in Loop: Header=BB152_35 Depth=1
	v_cmp_gt_i32_e64 s2, s30, v18
	v_cmp_gt_i32_e32 vcc_lo, s23, v19
	v_cmp_gt_i32_e64 s3, s30, v16
	s_waitcnt vmcnt(0)
	v_cndmask_b32_e64 v5, 0, v25, s2
	v_cmp_gt_i32_e64 s2, s23, v17
	v_cndmask_b32_sdwa v7, v0, v25, vcc_lo dst_sel:DWORD dst_unused:UNUSED_PAD src0_sel:DWORD src1_sel:WORD_1
	v_cndmask_b32_e64 v6, 0, v26, s3
	v_cmp_gt_i32_e64 s3, s23, v15
	s_mov_b32 vcc_lo, s2
	v_cmp_gt_i32_e64 s2, s23, v13
	v_cndmask_b32_sdwa v8, v0, v26, vcc_lo dst_sel:DWORD dst_unused:UNUSED_PAD src0_sel:DWORD src1_sel:WORD_1
	v_cmp_gt_i32_e32 vcc_lo, s30, v14
	v_perm_b32 v25, v7, v5, 0x5040100
	v_perm_b32 v26, v8, v6, 0x5040100
	v_cndmask_b32_e32 v9, 0, v27, vcc_lo
	s_mov_b32 vcc_lo, s3
	v_cndmask_b32_sdwa v10, v0, v27, vcc_lo dst_sel:DWORD dst_unused:UNUSED_PAD src0_sel:DWORD src1_sel:WORD_1
	v_cmp_gt_i32_e32 vcc_lo, s30, v127
	v_perm_b32 v27, v10, v9, 0x5040100
	v_cndmask_b32_e32 v11, 0, v28, vcc_lo
	s_mov_b32 vcc_lo, s2
	v_cndmask_b32_sdwa v12, v0, v28, vcc_lo dst_sel:DWORD dst_unused:UNUSED_PAD src0_sel:DWORD src1_sel:WORD_1
	v_perm_b32 v28, v12, v11, 0x5040100
	s_or_b32 exec_lo, exec_lo, s25
	global_load_dwordx4 v[33:36], v[3:4], off offset:1536
	s_and_saveexec_b32 s25, s1
	s_cbranch_execnz .LBB152_48
	s_branch .LBB152_49
.LBB152_83:                             ;   in Loop: Header=BB152_35 Depth=1
	v_cmp_gt_i32_e64 s2, s30, v18
	v_cmp_gt_i32_e32 vcc_lo, s23, v19
	v_cmp_gt_i32_e64 s3, s30, v16
	s_waitcnt vmcnt(0)
	v_cndmask_b32_e64 v5, 0, v37, s2
	v_cmp_gt_i32_e64 s2, s23, v17
	v_cndmask_b32_sdwa v7, v0, v37, vcc_lo dst_sel:DWORD dst_unused:UNUSED_PAD src0_sel:DWORD src1_sel:WORD_1
	v_cndmask_b32_e64 v6, 0, v38, s3
	v_cmp_gt_i32_e64 s3, s23, v15
	s_mov_b32 vcc_lo, s2
	v_cmp_gt_i32_e64 s2, s23, v13
	v_cndmask_b32_sdwa v8, v0, v38, vcc_lo dst_sel:DWORD dst_unused:UNUSED_PAD src0_sel:DWORD src1_sel:WORD_1
	v_cmp_gt_i32_e32 vcc_lo, s30, v14
	v_perm_b32 v37, v7, v5, 0x5040100
	v_perm_b32 v38, v8, v6, 0x5040100
	v_cndmask_b32_e32 v9, 0, v39, vcc_lo
	s_mov_b32 vcc_lo, s3
	v_cndmask_b32_sdwa v10, v0, v39, vcc_lo dst_sel:DWORD dst_unused:UNUSED_PAD src0_sel:DWORD src1_sel:WORD_1
	v_cmp_gt_i32_e32 vcc_lo, s30, v127
	v_perm_b32 v39, v10, v9, 0x5040100
	v_cndmask_b32_e32 v11, 0, v40, vcc_lo
	s_mov_b32 vcc_lo, s2
	v_cndmask_b32_sdwa v12, v0, v40, vcc_lo dst_sel:DWORD dst_unused:UNUSED_PAD src0_sel:DWORD src1_sel:WORD_1
	v_perm_b32 v40, v12, v11, 0x5040100
	s_or_b32 exec_lo, exec_lo, s25
	global_load_dwordx4 v[41:44], v[3:4], off offset:512
	s_and_saveexec_b32 s25, s1
	s_cbranch_execz .LBB152_51
.LBB152_84:                             ;   in Loop: Header=BB152_35 Depth=1
	v_cmp_gt_i32_e64 s2, s30, v18
	v_cmp_gt_i32_e32 vcc_lo, s23, v19
	v_cmp_gt_i32_e64 s3, s30, v16
	s_waitcnt vmcnt(0)
	v_cndmask_b32_e64 v5, 0, v41, s2
	v_cmp_gt_i32_e64 s2, s23, v17
	v_cndmask_b32_sdwa v7, v0, v41, vcc_lo dst_sel:DWORD dst_unused:UNUSED_PAD src0_sel:DWORD src1_sel:WORD_1
	v_cndmask_b32_e64 v6, 0, v42, s3
	v_cmp_gt_i32_e64 s3, s23, v15
	s_mov_b32 vcc_lo, s2
	v_cmp_gt_i32_e64 s2, s23, v13
	v_cndmask_b32_sdwa v8, v0, v42, vcc_lo dst_sel:DWORD dst_unused:UNUSED_PAD src0_sel:DWORD src1_sel:WORD_1
	v_cmp_gt_i32_e32 vcc_lo, s30, v14
	v_perm_b32 v41, v7, v5, 0x5040100
	v_perm_b32 v42, v8, v6, 0x5040100
	v_cndmask_b32_e32 v9, 0, v43, vcc_lo
	s_mov_b32 vcc_lo, s3
	v_cndmask_b32_sdwa v10, v0, v43, vcc_lo dst_sel:DWORD dst_unused:UNUSED_PAD src0_sel:DWORD src1_sel:WORD_1
	v_cmp_gt_i32_e32 vcc_lo, s30, v127
	v_perm_b32 v43, v10, v9, 0x5040100
	v_cndmask_b32_e32 v11, 0, v44, vcc_lo
	s_mov_b32 vcc_lo, s2
	v_cndmask_b32_sdwa v12, v0, v44, vcc_lo dst_sel:DWORD dst_unused:UNUSED_PAD src0_sel:DWORD src1_sel:WORD_1
	v_perm_b32 v44, v12, v11, 0x5040100
	s_or_b32 exec_lo, exec_lo, s25
	global_load_dwordx4 v[45:48], v[3:4], off offset:1024
	s_and_saveexec_b32 s25, s1
	s_cbranch_execz .LBB152_52
.LBB152_85:                             ;   in Loop: Header=BB152_35 Depth=1
	v_cmp_gt_i32_e64 s2, s30, v18
	v_cmp_gt_i32_e32 vcc_lo, s23, v19
	v_cmp_gt_i32_e64 s3, s30, v16
	s_waitcnt vmcnt(0)
	v_cndmask_b32_e64 v5, 0, v45, s2
	v_cmp_gt_i32_e64 s2, s23, v17
	v_cndmask_b32_sdwa v7, v0, v45, vcc_lo dst_sel:DWORD dst_unused:UNUSED_PAD src0_sel:DWORD src1_sel:WORD_1
	v_cndmask_b32_e64 v6, 0, v46, s3
	v_cmp_gt_i32_e64 s3, s23, v15
	s_mov_b32 vcc_lo, s2
	v_cmp_gt_i32_e64 s2, s23, v13
	v_cndmask_b32_sdwa v8, v0, v46, vcc_lo dst_sel:DWORD dst_unused:UNUSED_PAD src0_sel:DWORD src1_sel:WORD_1
	v_cmp_gt_i32_e32 vcc_lo, s30, v14
	v_perm_b32 v45, v7, v5, 0x5040100
	v_perm_b32 v46, v8, v6, 0x5040100
	v_cndmask_b32_e32 v9, 0, v47, vcc_lo
	s_mov_b32 vcc_lo, s3
	v_cndmask_b32_sdwa v10, v0, v47, vcc_lo dst_sel:DWORD dst_unused:UNUSED_PAD src0_sel:DWORD src1_sel:WORD_1
	v_cmp_gt_i32_e32 vcc_lo, s30, v127
	v_perm_b32 v47, v10, v9, 0x5040100
	v_cndmask_b32_e32 v11, 0, v48, vcc_lo
	s_mov_b32 vcc_lo, s2
	v_cndmask_b32_sdwa v12, v0, v48, vcc_lo dst_sel:DWORD dst_unused:UNUSED_PAD src0_sel:DWORD src1_sel:WORD_1
	v_perm_b32 v48, v12, v11, 0x5040100
	s_or_b32 exec_lo, exec_lo, s25
	global_load_dwordx4 v[49:52], v[3:4], off offset:1536
	s_and_saveexec_b32 s25, s1
	s_cbranch_execnz .LBB152_53
	s_branch .LBB152_54
.LBB152_86:                             ;   in Loop: Header=BB152_35 Depth=1
	v_cmp_gt_i32_e64 s2, s30, v18
	v_cmp_gt_i32_e32 vcc_lo, s23, v19
	v_cmp_gt_i32_e64 s3, s30, v16
	s_waitcnt vmcnt(0)
	v_cndmask_b32_e64 v5, 0, v53, s2
	v_cmp_gt_i32_e64 s2, s23, v17
	v_cndmask_b32_sdwa v7, v0, v53, vcc_lo dst_sel:DWORD dst_unused:UNUSED_PAD src0_sel:DWORD src1_sel:WORD_1
	v_cndmask_b32_e64 v6, 0, v54, s3
	v_cmp_gt_i32_e64 s3, s23, v15
	s_mov_b32 vcc_lo, s2
	v_cmp_gt_i32_e64 s2, s23, v13
	v_cndmask_b32_sdwa v8, v0, v54, vcc_lo dst_sel:DWORD dst_unused:UNUSED_PAD src0_sel:DWORD src1_sel:WORD_1
	v_cmp_gt_i32_e32 vcc_lo, s30, v14
	v_perm_b32 v53, v7, v5, 0x5040100
	v_perm_b32 v54, v8, v6, 0x5040100
	v_cndmask_b32_e32 v9, 0, v55, vcc_lo
	s_mov_b32 vcc_lo, s3
	v_cndmask_b32_sdwa v10, v0, v55, vcc_lo dst_sel:DWORD dst_unused:UNUSED_PAD src0_sel:DWORD src1_sel:WORD_1
	v_cmp_gt_i32_e32 vcc_lo, s30, v127
	v_perm_b32 v55, v10, v9, 0x5040100
	v_cndmask_b32_e32 v11, 0, v56, vcc_lo
	s_mov_b32 vcc_lo, s2
	v_cndmask_b32_sdwa v12, v0, v56, vcc_lo dst_sel:DWORD dst_unused:UNUSED_PAD src0_sel:DWORD src1_sel:WORD_1
	v_perm_b32 v56, v12, v11, 0x5040100
	s_or_b32 exec_lo, exec_lo, s25
	global_load_dwordx4 v[57:60], v[3:4], off offset:512
	s_and_saveexec_b32 s3, s1
	s_cbranch_execz .LBB152_56
.LBB152_87:                             ;   in Loop: Header=BB152_35 Depth=1
	v_cmp_gt_i32_e64 s2, s30, v18
	v_cmp_gt_i32_e32 vcc_lo, s23, v19
	s_waitcnt vmcnt(0)
	v_cndmask_b32_e64 v6, 0, v57, s2
	v_cndmask_b32_sdwa v5, v0, v57, vcc_lo dst_sel:DWORD dst_unused:UNUSED_PAD src0_sel:DWORD src1_sel:WORD_1
	v_cmp_gt_i32_e32 vcc_lo, s23, v17
	v_cmp_gt_i32_e64 s2, s30, v16
	v_perm_b32 v57, v5, v6, 0x5040100
	v_cndmask_b32_sdwa v6, v0, v58, vcc_lo dst_sel:DWORD dst_unused:UNUSED_PAD src0_sel:DWORD src1_sel:WORD_1
	v_cndmask_b32_e64 v5, 0, v58, s2
	v_cmp_gt_i32_e32 vcc_lo, s23, v15
	v_cmp_gt_i32_e64 s2, s30, v14
	v_perm_b32 v58, v6, v5, 0x5040100
	v_cndmask_b32_sdwa v6, v0, v59, vcc_lo dst_sel:DWORD dst_unused:UNUSED_PAD src0_sel:DWORD src1_sel:WORD_1
	v_cndmask_b32_e64 v5, 0, v59, s2
	;; [unrolled: 5-line block ×3, first 2 shown]
	v_perm_b32 v60, v6, v5, 0x5040100
	s_or_b32 exec_lo, exec_lo, s3
	global_load_dwordx4 v[61:64], v[3:4], off offset:1024
	s_and_saveexec_b32 s3, s1
	s_cbranch_execz .LBB152_57
.LBB152_88:                             ;   in Loop: Header=BB152_35 Depth=1
	v_cmp_gt_i32_e64 s2, s30, v18
	v_cmp_gt_i32_e32 vcc_lo, s23, v19
	s_waitcnt vmcnt(0)
	v_cndmask_b32_e64 v6, 0, v61, s2
	v_cndmask_b32_sdwa v5, v0, v61, vcc_lo dst_sel:DWORD dst_unused:UNUSED_PAD src0_sel:DWORD src1_sel:WORD_1
	v_cmp_gt_i32_e32 vcc_lo, s23, v17
	v_cmp_gt_i32_e64 s2, s30, v16
	v_perm_b32 v61, v5, v6, 0x5040100
	v_cndmask_b32_sdwa v6, v0, v62, vcc_lo dst_sel:DWORD dst_unused:UNUSED_PAD src0_sel:DWORD src1_sel:WORD_1
	v_cndmask_b32_e64 v5, 0, v62, s2
	v_cmp_gt_i32_e32 vcc_lo, s23, v15
	v_cmp_gt_i32_e64 s2, s30, v14
	v_perm_b32 v62, v6, v5, 0x5040100
	v_cndmask_b32_sdwa v6, v0, v63, vcc_lo dst_sel:DWORD dst_unused:UNUSED_PAD src0_sel:DWORD src1_sel:WORD_1
	v_cndmask_b32_e64 v5, 0, v63, s2
	;; [unrolled: 5-line block ×3, first 2 shown]
	v_perm_b32 v64, v6, v5, 0x5040100
	s_or_b32 exec_lo, exec_lo, s3
	global_load_dwordx4 v[65:68], v[3:4], off offset:1536
	s_and_saveexec_b32 s3, s1
	s_cbranch_execnz .LBB152_58
	s_branch .LBB152_59
.LBB152_89:                             ;   in Loop: Header=BB152_35 Depth=1
	v_cmp_gt_i32_e64 s2, s30, v18
	v_cmp_gt_i32_e32 vcc_lo, s23, v19
	s_waitcnt vmcnt(0)
	v_cndmask_b32_e64 v6, 0, v69, s2
	v_cndmask_b32_sdwa v5, v0, v69, vcc_lo dst_sel:DWORD dst_unused:UNUSED_PAD src0_sel:DWORD src1_sel:WORD_1
	v_cmp_gt_i32_e32 vcc_lo, s23, v17
	v_cmp_gt_i32_e64 s2, s30, v16
	v_perm_b32 v69, v5, v6, 0x5040100
	v_cndmask_b32_sdwa v6, v0, v70, vcc_lo dst_sel:DWORD dst_unused:UNUSED_PAD src0_sel:DWORD src1_sel:WORD_1
	v_cndmask_b32_e64 v5, 0, v70, s2
	v_cmp_gt_i32_e32 vcc_lo, s23, v15
	v_cmp_gt_i32_e64 s2, s30, v14
	v_perm_b32 v70, v6, v5, 0x5040100
	v_cndmask_b32_sdwa v6, v0, v71, vcc_lo dst_sel:DWORD dst_unused:UNUSED_PAD src0_sel:DWORD src1_sel:WORD_1
	v_cndmask_b32_e64 v5, 0, v71, s2
	;; [unrolled: 5-line block ×3, first 2 shown]
	v_perm_b32 v72, v6, v5, 0x5040100
	s_or_b32 exec_lo, exec_lo, s3
	global_load_dwordx4 v[73:76], v[3:4], off offset:512
	s_and_saveexec_b32 s3, s1
	s_cbranch_execz .LBB152_61
.LBB152_90:                             ;   in Loop: Header=BB152_35 Depth=1
	v_cmp_gt_i32_e64 s2, s30, v18
	v_cmp_gt_i32_e32 vcc_lo, s23, v19
	s_waitcnt vmcnt(0)
	v_cndmask_b32_e64 v6, 0, v73, s2
	v_cndmask_b32_sdwa v5, v0, v73, vcc_lo dst_sel:DWORD dst_unused:UNUSED_PAD src0_sel:DWORD src1_sel:WORD_1
	v_cmp_gt_i32_e32 vcc_lo, s23, v17
	v_cmp_gt_i32_e64 s2, s30, v16
	v_perm_b32 v73, v5, v6, 0x5040100
	v_cndmask_b32_sdwa v6, v0, v74, vcc_lo dst_sel:DWORD dst_unused:UNUSED_PAD src0_sel:DWORD src1_sel:WORD_1
	v_cndmask_b32_e64 v5, 0, v74, s2
	v_cmp_gt_i32_e32 vcc_lo, s23, v15
	v_cmp_gt_i32_e64 s2, s30, v14
	v_perm_b32 v74, v6, v5, 0x5040100
	v_cndmask_b32_sdwa v6, v0, v75, vcc_lo dst_sel:DWORD dst_unused:UNUSED_PAD src0_sel:DWORD src1_sel:WORD_1
	v_cndmask_b32_e64 v5, 0, v75, s2
	v_cmp_gt_i32_e32 vcc_lo, s23, v13
	v_cmp_gt_i32_e64 s2, s30, v127
	v_perm_b32 v75, v6, v5, 0x5040100
	v_cndmask_b32_sdwa v6, v0, v76, vcc_lo dst_sel:DWORD dst_unused:UNUSED_PAD src0_sel:DWORD src1_sel:WORD_1
	v_cndmask_b32_e64 v5, 0, v76, s2
	v_perm_b32 v76, v6, v5, 0x5040100
	s_or_b32 exec_lo, exec_lo, s3
	global_load_dwordx4 v[77:80], v[3:4], off offset:1024
	s_and_saveexec_b32 s3, s1
	s_cbranch_execz .LBB152_62
.LBB152_91:                             ;   in Loop: Header=BB152_35 Depth=1
	v_cmp_gt_i32_e64 s2, s30, v18
	v_cmp_gt_i32_e32 vcc_lo, s23, v19
	s_waitcnt vmcnt(0)
	v_cndmask_b32_e64 v6, 0, v77, s2
	v_cndmask_b32_sdwa v5, v0, v77, vcc_lo dst_sel:DWORD dst_unused:UNUSED_PAD src0_sel:DWORD src1_sel:WORD_1
	v_cmp_gt_i32_e32 vcc_lo, s23, v17
	v_cmp_gt_i32_e64 s2, s30, v16
	v_perm_b32 v77, v5, v6, 0x5040100
	v_cndmask_b32_sdwa v6, v0, v78, vcc_lo dst_sel:DWORD dst_unused:UNUSED_PAD src0_sel:DWORD src1_sel:WORD_1
	v_cndmask_b32_e64 v5, 0, v78, s2
	v_cmp_gt_i32_e32 vcc_lo, s23, v15
	v_cmp_gt_i32_e64 s2, s30, v14
	v_perm_b32 v78, v6, v5, 0x5040100
	v_cndmask_b32_sdwa v6, v0, v79, vcc_lo dst_sel:DWORD dst_unused:UNUSED_PAD src0_sel:DWORD src1_sel:WORD_1
	v_cndmask_b32_e64 v5, 0, v79, s2
	;; [unrolled: 5-line block ×3, first 2 shown]
	v_perm_b32 v80, v6, v5, 0x5040100
	s_or_b32 exec_lo, exec_lo, s3
	global_load_dwordx4 v[81:84], v[3:4], off offset:1536
	s_and_saveexec_b32 s3, s1
	s_cbranch_execnz .LBB152_63
	s_branch .LBB152_64
.LBB152_92:                             ;   in Loop: Header=BB152_35 Depth=1
	v_cmp_gt_i32_e64 s2, s30, v18
	v_cmp_gt_i32_e32 vcc_lo, s23, v19
	s_waitcnt vmcnt(0)
	v_cndmask_b32_e64 v6, 0, v85, s2
	v_cndmask_b32_sdwa v5, v0, v85, vcc_lo dst_sel:DWORD dst_unused:UNUSED_PAD src0_sel:DWORD src1_sel:WORD_1
	v_cmp_gt_i32_e32 vcc_lo, s23, v17
	v_cmp_gt_i32_e64 s2, s30, v16
	v_perm_b32 v85, v5, v6, 0x5040100
	v_cndmask_b32_sdwa v6, v0, v86, vcc_lo dst_sel:DWORD dst_unused:UNUSED_PAD src0_sel:DWORD src1_sel:WORD_1
	v_cndmask_b32_e64 v5, 0, v86, s2
	v_cmp_gt_i32_e32 vcc_lo, s23, v15
	v_cmp_gt_i32_e64 s2, s30, v14
	v_perm_b32 v86, v6, v5, 0x5040100
	v_cndmask_b32_sdwa v6, v0, v87, vcc_lo dst_sel:DWORD dst_unused:UNUSED_PAD src0_sel:DWORD src1_sel:WORD_1
	v_cndmask_b32_e64 v5, 0, v87, s2
	v_cmp_gt_i32_e32 vcc_lo, s23, v13
	v_cmp_gt_i32_e64 s2, s30, v127
	v_perm_b32 v87, v6, v5, 0x5040100
	v_cndmask_b32_sdwa v6, v0, v88, vcc_lo dst_sel:DWORD dst_unused:UNUSED_PAD src0_sel:DWORD src1_sel:WORD_1
	v_cndmask_b32_e64 v5, 0, v88, s2
	v_perm_b32 v88, v6, v5, 0x5040100
	s_or_b32 exec_lo, exec_lo, s3
	global_load_dwordx4 v[89:92], v[3:4], off offset:512
	s_and_saveexec_b32 s3, s1
	s_cbranch_execz .LBB152_66
.LBB152_93:                             ;   in Loop: Header=BB152_35 Depth=1
	v_cmp_gt_i32_e64 s2, s30, v18
	v_cmp_gt_i32_e32 vcc_lo, s23, v19
	s_waitcnt vmcnt(0)
	v_cndmask_b32_e64 v6, 0, v89, s2
	v_cndmask_b32_sdwa v5, v0, v89, vcc_lo dst_sel:DWORD dst_unused:UNUSED_PAD src0_sel:DWORD src1_sel:WORD_1
	v_cmp_gt_i32_e32 vcc_lo, s23, v17
	v_cmp_gt_i32_e64 s2, s30, v16
	v_perm_b32 v89, v5, v6, 0x5040100
	v_cndmask_b32_sdwa v6, v0, v90, vcc_lo dst_sel:DWORD dst_unused:UNUSED_PAD src0_sel:DWORD src1_sel:WORD_1
	v_cndmask_b32_e64 v5, 0, v90, s2
	v_cmp_gt_i32_e32 vcc_lo, s23, v15
	v_cmp_gt_i32_e64 s2, s30, v14
	v_perm_b32 v90, v6, v5, 0x5040100
	v_cndmask_b32_sdwa v6, v0, v91, vcc_lo dst_sel:DWORD dst_unused:UNUSED_PAD src0_sel:DWORD src1_sel:WORD_1
	v_cndmask_b32_e64 v5, 0, v91, s2
	;; [unrolled: 5-line block ×3, first 2 shown]
	v_perm_b32 v92, v6, v5, 0x5040100
	s_or_b32 exec_lo, exec_lo, s3
	global_load_dwordx4 v[93:96], v[3:4], off offset:1024
	s_and_saveexec_b32 s3, s1
	s_cbranch_execz .LBB152_67
.LBB152_94:                             ;   in Loop: Header=BB152_35 Depth=1
	v_cmp_gt_i32_e64 s2, s30, v18
	v_cmp_gt_i32_e32 vcc_lo, s23, v19
	s_waitcnt vmcnt(0)
	v_cndmask_b32_e64 v6, 0, v93, s2
	v_cndmask_b32_sdwa v5, v0, v93, vcc_lo dst_sel:DWORD dst_unused:UNUSED_PAD src0_sel:DWORD src1_sel:WORD_1
	v_cmp_gt_i32_e32 vcc_lo, s23, v17
	v_cmp_gt_i32_e64 s2, s30, v16
	v_perm_b32 v93, v5, v6, 0x5040100
	v_cndmask_b32_sdwa v6, v0, v94, vcc_lo dst_sel:DWORD dst_unused:UNUSED_PAD src0_sel:DWORD src1_sel:WORD_1
	v_cndmask_b32_e64 v5, 0, v94, s2
	v_cmp_gt_i32_e32 vcc_lo, s23, v15
	v_cmp_gt_i32_e64 s2, s30, v14
	v_perm_b32 v94, v6, v5, 0x5040100
	v_cndmask_b32_sdwa v6, v0, v95, vcc_lo dst_sel:DWORD dst_unused:UNUSED_PAD src0_sel:DWORD src1_sel:WORD_1
	v_cndmask_b32_e64 v5, 0, v95, s2
	v_cmp_gt_i32_e32 vcc_lo, s23, v13
	v_cmp_gt_i32_e64 s2, s30, v127
	v_perm_b32 v95, v6, v5, 0x5040100
	v_cndmask_b32_sdwa v6, v0, v96, vcc_lo dst_sel:DWORD dst_unused:UNUSED_PAD src0_sel:DWORD src1_sel:WORD_1
	v_cndmask_b32_e64 v5, 0, v96, s2
	v_perm_b32 v96, v6, v5, 0x5040100
	s_or_b32 exec_lo, exec_lo, s3
	global_load_dwordx4 v[97:100], v[3:4], off offset:1536
	s_and_saveexec_b32 s3, s1
	s_cbranch_execnz .LBB152_68
	s_branch .LBB152_69
.LBB152_95:                             ;   in Loop: Header=BB152_35 Depth=1
	v_cmp_gt_i32_e64 s2, s30, v18
	v_cmp_gt_i32_e32 vcc_lo, s23, v19
	s_waitcnt vmcnt(0)
	v_cndmask_b32_e64 v6, 0, v109, s2
	v_cndmask_b32_sdwa v5, v0, v109, vcc_lo dst_sel:DWORD dst_unused:UNUSED_PAD src0_sel:DWORD src1_sel:WORD_1
	v_cmp_gt_i32_e32 vcc_lo, s23, v17
	v_cmp_gt_i32_e64 s2, s30, v16
	v_perm_b32 v109, v5, v6, 0x5040100
	v_cndmask_b32_sdwa v6, v0, v110, vcc_lo dst_sel:DWORD dst_unused:UNUSED_PAD src0_sel:DWORD src1_sel:WORD_1
	v_cndmask_b32_e64 v5, 0, v110, s2
	v_cmp_gt_i32_e32 vcc_lo, s23, v15
	v_cmp_gt_i32_e64 s2, s30, v14
	v_perm_b32 v110, v6, v5, 0x5040100
	v_cndmask_b32_sdwa v6, v0, v111, vcc_lo dst_sel:DWORD dst_unused:UNUSED_PAD src0_sel:DWORD src1_sel:WORD_1
	v_cndmask_b32_e64 v5, 0, v111, s2
	;; [unrolled: 5-line block ×3, first 2 shown]
	v_perm_b32 v112, v6, v5, 0x5040100
	s_or_b32 exec_lo, exec_lo, s3
	global_load_dwordx4 v[113:116], v[3:4], off offset:512
	s_and_saveexec_b32 s3, s1
	s_cbranch_execz .LBB152_71
.LBB152_96:                             ;   in Loop: Header=BB152_35 Depth=1
	v_cmp_gt_i32_e64 s2, s30, v18
	v_cmp_gt_i32_e32 vcc_lo, s23, v19
	s_waitcnt vmcnt(0)
	v_cndmask_b32_e64 v6, 0, v113, s2
	v_cndmask_b32_sdwa v5, v0, v113, vcc_lo dst_sel:DWORD dst_unused:UNUSED_PAD src0_sel:DWORD src1_sel:WORD_1
	v_cmp_gt_i32_e32 vcc_lo, s23, v17
	v_cmp_gt_i32_e64 s2, s30, v16
	v_perm_b32 v113, v5, v6, 0x5040100
	v_cndmask_b32_sdwa v6, v0, v114, vcc_lo dst_sel:DWORD dst_unused:UNUSED_PAD src0_sel:DWORD src1_sel:WORD_1
	v_cndmask_b32_e64 v5, 0, v114, s2
	v_cmp_gt_i32_e32 vcc_lo, s23, v15
	v_cmp_gt_i32_e64 s2, s30, v14
	v_perm_b32 v114, v6, v5, 0x5040100
	v_cndmask_b32_sdwa v6, v0, v115, vcc_lo dst_sel:DWORD dst_unused:UNUSED_PAD src0_sel:DWORD src1_sel:WORD_1
	v_cndmask_b32_e64 v5, 0, v115, s2
	;; [unrolled: 5-line block ×3, first 2 shown]
	v_perm_b32 v116, v6, v5, 0x5040100
	s_or_b32 exec_lo, exec_lo, s3
	global_load_dwordx4 v[117:120], v[3:4], off offset:1024
	s_and_saveexec_b32 s3, s1
	s_cbranch_execz .LBB152_72
.LBB152_97:                             ;   in Loop: Header=BB152_35 Depth=1
	v_cmp_gt_i32_e64 s2, s30, v18
	v_cmp_gt_i32_e32 vcc_lo, s23, v19
	s_waitcnt vmcnt(0)
	v_cndmask_b32_e64 v6, 0, v117, s2
	v_cndmask_b32_sdwa v5, v0, v117, vcc_lo dst_sel:DWORD dst_unused:UNUSED_PAD src0_sel:DWORD src1_sel:WORD_1
	v_cmp_gt_i32_e32 vcc_lo, s23, v17
	v_cmp_gt_i32_e64 s2, s30, v16
	v_perm_b32 v117, v5, v6, 0x5040100
	v_cndmask_b32_sdwa v6, v0, v118, vcc_lo dst_sel:DWORD dst_unused:UNUSED_PAD src0_sel:DWORD src1_sel:WORD_1
	v_cndmask_b32_e64 v5, 0, v118, s2
	v_cmp_gt_i32_e32 vcc_lo, s23, v15
	v_cmp_gt_i32_e64 s2, s30, v14
	v_perm_b32 v118, v6, v5, 0x5040100
	v_cndmask_b32_sdwa v6, v0, v119, vcc_lo dst_sel:DWORD dst_unused:UNUSED_PAD src0_sel:DWORD src1_sel:WORD_1
	v_cndmask_b32_e64 v5, 0, v119, s2
	;; [unrolled: 5-line block ×3, first 2 shown]
	v_perm_b32 v120, v6, v5, 0x5040100
	s_or_b32 exec_lo, exec_lo, s3
	global_load_dwordx4 v[121:124], v[3:4], off offset:1536
	s_and_saveexec_b32 s3, s1
	s_cbranch_execnz .LBB152_73
	s_branch .LBB152_74
.LBB152_98:                             ;   in Loop: Header=BB152_35 Depth=1
	v_cmp_gt_i32_e64 s2, s30, v18
	v_cmp_gt_i32_e32 vcc_lo, s23, v19
	s_waitcnt vmcnt(0)
	v_cndmask_b32_sdwa v5, v0, v1, vcc_lo dst_sel:DWORD dst_unused:UNUSED_PAD src0_sel:DWORD src1_sel:WORD_1
	v_cndmask_b32_e64 v1, 0, v1, s2
	v_cmp_gt_i32_e32 vcc_lo, s23, v17
	v_cmp_gt_i32_e64 s2, s30, v16
	v_perm_b32 v1, v5, v1, 0x5040100
	v_cndmask_b32_e64 v5, 0, v2, s2
	v_cndmask_b32_sdwa v2, v0, v2, vcc_lo dst_sel:DWORD dst_unused:UNUSED_PAD src0_sel:DWORD src1_sel:WORD_1
	v_cmp_gt_i32_e32 vcc_lo, s23, v15
	v_cmp_gt_i32_e64 s2, s30, v14
	v_perm_b32 v2, v2, v5, 0x5040100
	v_cndmask_b32_e64 v5, 0, v3, s2
	v_cndmask_b32_sdwa v3, v0, v3, vcc_lo dst_sel:DWORD dst_unused:UNUSED_PAD src0_sel:DWORD src1_sel:WORD_1
	;; [unrolled: 5-line block ×3, first 2 shown]
	v_perm_b32 v4, v4, v5, 0x5040100
	s_or_b32 exec_lo, exec_lo, s3
	global_load_dwordx4 v[5:8], v[9:10], off offset:512
	s_and_saveexec_b32 s3, s1
	s_cbranch_execz .LBB152_76
.LBB152_99:                             ;   in Loop: Header=BB152_35 Depth=1
	v_cmp_gt_i32_e64 s2, s30, v18
	v_cmp_gt_i32_e32 vcc_lo, s23, v19
	s_waitcnt vmcnt(0)
	v_cndmask_b32_sdwa v11, v0, v5, vcc_lo dst_sel:DWORD dst_unused:UNUSED_PAD src0_sel:DWORD src1_sel:WORD_1
	v_cndmask_b32_e64 v5, 0, v5, s2
	v_cmp_gt_i32_e32 vcc_lo, s23, v17
	v_cmp_gt_i32_e64 s2, s30, v16
	v_perm_b32 v5, v11, v5, 0x5040100
	v_cndmask_b32_e64 v11, 0, v6, s2
	v_cndmask_b32_sdwa v6, v0, v6, vcc_lo dst_sel:DWORD dst_unused:UNUSED_PAD src0_sel:DWORD src1_sel:WORD_1
	v_cmp_gt_i32_e32 vcc_lo, s23, v15
	v_cmp_gt_i32_e64 s2, s30, v14
	v_perm_b32 v6, v6, v11, 0x5040100
	v_cndmask_b32_e64 v11, 0, v7, s2
	v_cndmask_b32_sdwa v7, v0, v7, vcc_lo dst_sel:DWORD dst_unused:UNUSED_PAD src0_sel:DWORD src1_sel:WORD_1
	;; [unrolled: 5-line block ×3, first 2 shown]
	v_perm_b32 v8, v8, v11, 0x5040100
	s_or_b32 exec_lo, exec_lo, s3
	global_load_dwordx4 v[9:12], v[9:10], off offset:1024
	s_and_saveexec_b32 s3, s1
	s_cbranch_execnz .LBB152_77
	s_branch .LBB152_78
.LBB152_100:
	s_or_b32 exec_lo, exec_lo, s22
	s_clause 0x19
	buffer_load_dword v58, off, s[40:43], 0 offset:888
	buffer_load_dword v59, off, s[40:43], 0 offset:892
	;; [unrolled: 1-line block ×26, first 2 shown]
.LBB152_101:
	s_or_b32 exec_lo, exec_lo, s4
	s_waitcnt vmcnt(1)
	ds_bpermute_b32 v0, v39, v24
	ds_bpermute_b32 v5, v39, v13
	ds_bpermute_b32 v3, v39, v22
	ds_bpermute_b32 v4, v39, v21
	ds_bpermute_b32 v6, v39, v19
	ds_bpermute_b32 v8, v39, v17
	ds_bpermute_b32 v10, v39, v16
	ds_bpermute_b32 v2, v39, v23
	ds_bpermute_b32 v32, v39, v45
	s_waitcnt vmcnt(0)
	ds_bpermute_b32 v1, v39, v25
	ds_bpermute_b32 v7, v39, v18
	;; [unrolled: 1-line block ×5, first 2 shown]
	v_mov_b32_e32 v49, v14
	ds_bpermute_b32 v30, v39, v47
	ds_bpermute_b32 v33, v39, v43
	s_mov_b32 s1, exec_lo
	s_waitcnt lgkmcnt(15)
	v_add_f32_e32 v0, v24, v0
	s_waitcnt lgkmcnt(14)
	v_add_f32_e32 v5, v13, v5
	s_waitcnt lgkmcnt(13)
	v_add_f32_e32 v3, v22, v3
	s_waitcnt lgkmcnt(12)
	v_add_f32_e32 v4, v21, v4
	s_waitcnt lgkmcnt(11)
	v_add_f32_e32 v6, v19, v6
	ds_bpermute_b32 v13, v57, v0
	s_waitcnt lgkmcnt(11)
	v_add_f32_e32 v8, v17, v8
	v_mov_b32_e32 v22, v16
	ds_bpermute_b32 v17, v57, v4
	ds_bpermute_b32 v19, v57, v6
	s_waitcnt lgkmcnt(11)
	v_add_f32_e32 v2, v23, v2
	s_waitcnt lgkmcnt(9)
	v_add_f32_e32 v1, v25, v1
	v_add_f32_e32 v10, v22, v10
	ds_bpermute_b32 v22, v57, v8
	s_waitcnt lgkmcnt(9)
	v_add_f32_e32 v7, v18, v7
	s_waitcnt lgkmcnt(8)
	v_add_f32_e32 v9, v20, v9
	ds_bpermute_b32 v14, v57, v1
	ds_bpermute_b32 v16, v57, v3
	v_mov_b32_e32 v21, v15
	ds_bpermute_b32 v20, v57, v7
	ds_bpermute_b32 v24, v57, v9
	;; [unrolled: 1-line block ×4, first 2 shown]
	s_waitcnt lgkmcnt(13)
	v_add_f32_e32 v11, v21, v11
	ds_bpermute_b32 v26, v57, v10
	s_waitcnt lgkmcnt(10)
	v_add_f32_e32 v31, v0, v13
	ds_bpermute_b32 v0, v39, v41
	ds_bpermute_b32 v13, v39, v38
	s_waitcnt lgkmcnt(11)
	v_add_f32_e32 v23, v4, v17
	s_waitcnt lgkmcnt(10)
	v_add_f32_e32 v19, v6, v19
	v_add_f32_e32 v6, v45, v32
	ds_bpermute_b32 v28, v57, v11
	s_waitcnt lgkmcnt(10)
	v_add_f32_e32 v17, v8, v22
	ds_bpermute_b32 v22, v39, v42
	v_add_f32_e32 v8, v43, v33
	s_waitcnt lgkmcnt(10)
	v_add_f32_e32 v29, v1, v14
	s_waitcnt lgkmcnt(9)
	v_add_f32_e32 v25, v3, v16
	ds_bpermute_b32 v1, v39, v35
	s_waitcnt lgkmcnt(9)
	v_add_f32_e32 v16, v7, v20
	s_waitcnt lgkmcnt(8)
	v_add_f32_e32 v14, v9, v24
	ds_bpermute_b32 v7, v39, v36
	ds_bpermute_b32 v9, v39, v37
	s_waitcnt lgkmcnt(9)
	v_add_f32_e32 v27, v2, v15
	s_waitcnt lgkmcnt(8)
	v_add_f32_e32 v21, v5, v18
	v_add_f32_e32 v2, v49, v12
	s_waitcnt lgkmcnt(6)
	v_add_f32_e32 v0, v41, v0
	ds_bpermute_b32 v3, v39, v34
	v_add_f32_e32 v12, v10, v26
	v_add_f32_e32 v5, v47, v30
	ds_bpermute_b32 v20, v39, v40
	ds_bpermute_b32 v32, v57, v0
	s_waitcnt lgkmcnt(7)
	v_add_f32_e32 v10, v11, v28
	ds_bpermute_b32 v24, v39, v44
	s_waitcnt lgkmcnt(7)
	v_add_f32_e32 v42, v42, v22
	ds_bpermute_b32 v26, v39, v46
	ds_bpermute_b32 v28, v39, v48
	;; [unrolled: 1-line block ×3, first 2 shown]
	s_waitcnt lgkmcnt(9)
	v_add_f32_e32 v1, v35, v1
	ds_bpermute_b32 v35, v39, v108
	v_add_f32_e32 v38, v38, v13
	s_waitcnt lgkmcnt(9)
	v_add_f32_e32 v7, v36, v7
	ds_bpermute_b32 v36, v39, v107
	s_waitcnt lgkmcnt(9)
	v_add_f32_e32 v9, v37, v9
	ds_bpermute_b32 v37, v39, v106
	ds_bpermute_b32 v13, v39, v55
	ds_bpermute_b32 v4, v57, v2
	s_waitcnt lgkmcnt(11)
	v_add_f32_e32 v3, v34, v3
	ds_bpermute_b32 v33, v57, v1
	ds_bpermute_b32 v11, v57, v5
	s_waitcnt lgkmcnt(12)
	v_add_f32_e32 v40, v40, v20
	s_waitcnt lgkmcnt(11)
	v_add_f32_e32 v22, v0, v32
	buffer_load_dword v32, off, s[40:43], 0 offset:224 ; 4-byte Folded Reload
	s_waitcnt lgkmcnt(10)
	v_add_f32_e32 v44, v44, v24
	ds_bpermute_b32 v15, v57, v6
	s_waitcnt lgkmcnt(10)
	v_add_f32_e32 v46, v46, v26
	s_waitcnt lgkmcnt(9)
	v_add_f32_e32 v48, v48, v28
	;; [unrolled: 2-line block ×3, first 2 shown]
	ds_bpermute_b32 v18, v57, v8
	s_waitcnt lgkmcnt(8)
	v_add_f32_e32 v35, v108, v35
	ds_bpermute_b32 v34, v57, v3
	ds_bpermute_b32 v39, v57, v7
	s_waitcnt lgkmcnt(9)
	v_add_f32_e32 v36, v107, v36
	ds_bpermute_b32 v41, v57, v9
	s_waitcnt lgkmcnt(9)
	v_add_f32_e32 v37, v106, v37
	s_waitcnt lgkmcnt(8)
	v_add_f32_e32 v55, v55, v13
	ds_bpermute_b32 v43, v57, v38
	ds_bpermute_b32 v45, v57, v40
	;; [unrolled: 1-line block ×9, first 2 shown]
	s_waitcnt lgkmcnt(16)
	v_add_f32_e32 v30, v2, v4
	ds_bpermute_b32 v2, v57, v37
	ds_bpermute_b32 v57, v57, v55
	s_waitcnt lgkmcnt(17)
	v_add_f32_e32 v20, v1, v33
	s_waitcnt lgkmcnt(16)
	v_add_f32_e32 v28, v5, v11
	;; [unrolled: 2-line block ×7, first 2 shown]
	v_lshlrev_b32_e32 v34, 10, v59
	s_waitcnt lgkmcnt(10)
	v_add_f32_e32 v11, v38, v43
	s_waitcnt lgkmcnt(9)
	v_add_f32_e32 v9, v40, v45
	;; [unrolled: 2-line block ×9, first 2 shown]
	v_and_b32_e32 v35, 0x3c3, v58
	s_waitcnt lgkmcnt(1)
	v_add_f32_e32 v1, v37, v2
	s_waitcnt lgkmcnt(0)
	v_add_f32_e32 v2, v55, v57
	s_waitcnt vmcnt(0)
	s_waitcnt_vscnt null, 0x0
	s_barrier
	buffer_gl0_inv
	v_and_b32_e32 v33, 28, v32
	v_lshrrev_b32_e32 v32, 2, v32
	v_add_nc_u32_e32 v33, 0x220, v33
	v_cmpx_eq_u32_e32 64, v35
	s_cbranch_execz .LBB152_103
; %bb.102:
	v_add_nc_u32_e32 v35, v33, v34
	v_add_nc_u32_e32 v36, 0xfffff800, v35
	;; [unrolled: 1-line block ×8, first 2 shown]
	ds_write_b32 v36, v31
	ds_write_b32 v37, v29
	;; [unrolled: 1-line block ×7, first 2 shown]
	v_add_nc_u32_e32 v36, 0xfffff8e0, v35
	v_add_nc_u32_e32 v37, 0xfffff900, v35
	v_add_nc_u32_e32 v38, 0xfffff920, v35
	v_add_nc_u32_e32 v39, 0xfffff940, v35
	v_add_nc_u32_e32 v40, 0xfffff960, v35
	ds_write_b32 v36, v16
	ds_write_b32 v37, v17
	ds_write_b32 v38, v14
	ds_write_b32 v39, v12
	ds_write_b32 v40, v10
	v_add_nc_u32_e32 v36, 0xfffff980, v35
	v_add_nc_u32_e32 v37, 0xfffff9a0, v35
	v_add_nc_u32_e32 v38, 0xfffff9c0, v35
	v_add_nc_u32_e32 v39, 0xfffff9e0, v35
	v_add_nc_u32_e32 v40, 0xfffffa00, v35
	ds_write_b32 v36, v30
	ds_write_b32 v37, v28
	ds_write_b32 v38, v26
	ds_write_b32 v39, v24
	ds_write_b32 v40, v22
	;; [unrolled: 10-line block ×5, first 2 shown]
.LBB152_103:
	s_or_b32 exec_lo, exec_lo, s1
	v_lshlrev_b32_e32 v32, 2, v32
	s_mov_b32 s2, exec_lo
	v_cmp_eq_u32_e32 vcc_lo, 0, v60
	s_waitcnt lgkmcnt(0)
	s_barrier
	v_add3_u32 v32, 0x220, v34, v32
	buffer_gl0_inv
	v_cmpx_gt_u32_e32 64, v58
	s_cbranch_execz .LBB152_138
; %bb.104:
	s_and_saveexec_b32 s1, vcc_lo
	s_cbranch_execnz .LBB152_178
; %bb.105:
	s_or_b32 exec_lo, exec_lo, s1
	s_and_saveexec_b32 s1, vcc_lo
	s_cbranch_execnz .LBB152_179
.LBB152_106:
	s_or_b32 exec_lo, exec_lo, s1
	s_and_saveexec_b32 s1, vcc_lo
	s_cbranch_execnz .LBB152_180
.LBB152_107:
	s_or_b32 exec_lo, exec_lo, s1
	s_and_saveexec_b32 s1, vcc_lo
	s_cbranch_execnz .LBB152_181
.LBB152_108:
	s_or_b32 exec_lo, exec_lo, s1
	s_and_saveexec_b32 s1, vcc_lo
	s_cbranch_execnz .LBB152_182
.LBB152_109:
	s_or_b32 exec_lo, exec_lo, s1
	s_and_saveexec_b32 s1, vcc_lo
	s_cbranch_execnz .LBB152_183
.LBB152_110:
	s_or_b32 exec_lo, exec_lo, s1
	s_and_saveexec_b32 s1, vcc_lo
	s_cbranch_execnz .LBB152_184
.LBB152_111:
	s_or_b32 exec_lo, exec_lo, s1
	s_and_saveexec_b32 s1, vcc_lo
	s_cbranch_execnz .LBB152_185
.LBB152_112:
	s_or_b32 exec_lo, exec_lo, s1
	s_and_saveexec_b32 s1, vcc_lo
	s_cbranch_execnz .LBB152_186
.LBB152_113:
	s_or_b32 exec_lo, exec_lo, s1
	s_and_saveexec_b32 s1, vcc_lo
	s_cbranch_execnz .LBB152_187
.LBB152_114:
	s_or_b32 exec_lo, exec_lo, s1
	s_and_saveexec_b32 s1, vcc_lo
	s_cbranch_execnz .LBB152_188
.LBB152_115:
	s_or_b32 exec_lo, exec_lo, s1
	s_and_saveexec_b32 s1, vcc_lo
	s_cbranch_execnz .LBB152_189
.LBB152_116:
	s_or_b32 exec_lo, exec_lo, s1
	s_and_saveexec_b32 s1, vcc_lo
	s_cbranch_execnz .LBB152_190
.LBB152_117:
	s_or_b32 exec_lo, exec_lo, s1
	s_and_saveexec_b32 s1, vcc_lo
	s_cbranch_execnz .LBB152_191
.LBB152_118:
	s_or_b32 exec_lo, exec_lo, s1
	s_and_saveexec_b32 s1, vcc_lo
	s_cbranch_execnz .LBB152_192
.LBB152_119:
	s_or_b32 exec_lo, exec_lo, s1
	s_and_saveexec_b32 s1, vcc_lo
	s_cbranch_execnz .LBB152_193
.LBB152_120:
	s_or_b32 exec_lo, exec_lo, s1
	s_and_saveexec_b32 s1, vcc_lo
	s_cbranch_execnz .LBB152_194
.LBB152_121:
	s_or_b32 exec_lo, exec_lo, s1
	s_and_saveexec_b32 s1, vcc_lo
	s_cbranch_execnz .LBB152_195
.LBB152_122:
	s_or_b32 exec_lo, exec_lo, s1
	s_and_saveexec_b32 s1, vcc_lo
	s_cbranch_execnz .LBB152_196
.LBB152_123:
	s_or_b32 exec_lo, exec_lo, s1
	s_and_saveexec_b32 s1, vcc_lo
	s_cbranch_execnz .LBB152_197
.LBB152_124:
	s_or_b32 exec_lo, exec_lo, s1
	s_and_saveexec_b32 s1, vcc_lo
	s_cbranch_execnz .LBB152_198
.LBB152_125:
	s_or_b32 exec_lo, exec_lo, s1
	s_and_saveexec_b32 s1, vcc_lo
	s_cbranch_execnz .LBB152_199
.LBB152_126:
	s_or_b32 exec_lo, exec_lo, s1
	s_and_saveexec_b32 s1, vcc_lo
	s_cbranch_execnz .LBB152_200
.LBB152_127:
	s_or_b32 exec_lo, exec_lo, s1
	s_and_saveexec_b32 s1, vcc_lo
	s_cbranch_execnz .LBB152_201
.LBB152_128:
	s_or_b32 exec_lo, exec_lo, s1
	s_and_saveexec_b32 s1, vcc_lo
	s_cbranch_execnz .LBB152_202
.LBB152_129:
	s_or_b32 exec_lo, exec_lo, s1
	s_and_saveexec_b32 s1, vcc_lo
	s_cbranch_execnz .LBB152_203
.LBB152_130:
	s_or_b32 exec_lo, exec_lo, s1
	s_and_saveexec_b32 s1, vcc_lo
	s_cbranch_execnz .LBB152_204
.LBB152_131:
	s_or_b32 exec_lo, exec_lo, s1
	s_and_saveexec_b32 s1, vcc_lo
	s_cbranch_execnz .LBB152_205
.LBB152_132:
	s_or_b32 exec_lo, exec_lo, s1
	s_and_saveexec_b32 s1, vcc_lo
	s_cbranch_execnz .LBB152_206
.LBB152_133:
	s_or_b32 exec_lo, exec_lo, s1
	s_and_saveexec_b32 s1, vcc_lo
	s_cbranch_execnz .LBB152_207
.LBB152_134:
	s_or_b32 exec_lo, exec_lo, s1
	s_and_saveexec_b32 s1, vcc_lo
	s_cbranch_execnz .LBB152_208
.LBB152_135:
	s_or_b32 exec_lo, exec_lo, s1
	s_and_saveexec_b32 s1, vcc_lo
	s_cbranch_execz .LBB152_137
.LBB152_136:
	ds_read_b32 v34, v32 offset:992
	s_waitcnt lgkmcnt(0)
	v_add_f32_e32 v2, v2, v34
.LBB152_137:
	s_or_b32 exec_lo, exec_lo, s1
.LBB152_138:
	s_or_b32 exec_lo, exec_lo, s2
	v_and_b32_e32 v34, 0x3e3, v58
	s_mov_b32 s2, exec_lo
	s_barrier
	buffer_gl0_inv
	v_cmpx_eq_u32_e32 32, v34
	s_cbranch_execz .LBB152_140
; %bb.139:
	ds_write2_b32 v33, v31, v29 offset1:8
	ds_write2_b32 v33, v27, v25 offset0:16 offset1:24
	ds_write2_b32 v33, v23, v21 offset0:32 offset1:40
	;; [unrolled: 1-line block ×15, first 2 shown]
.LBB152_140:
	s_or_b32 exec_lo, exec_lo, s2
	s_waitcnt lgkmcnt(0)
	s_barrier
	buffer_gl0_inv
	s_and_saveexec_b32 s1, s0
	s_cbranch_execz .LBB152_175
; %bb.141:
	s_and_saveexec_b32 s0, vcc_lo
	s_cbranch_execnz .LBB152_209
; %bb.142:
	s_or_b32 exec_lo, exec_lo, s0
	s_and_saveexec_b32 s0, vcc_lo
	s_cbranch_execnz .LBB152_210
.LBB152_143:
	s_or_b32 exec_lo, exec_lo, s0
	s_and_saveexec_b32 s0, vcc_lo
	s_cbranch_execnz .LBB152_211
.LBB152_144:
	s_or_b32 exec_lo, exec_lo, s0
	s_and_saveexec_b32 s0, vcc_lo
	s_cbranch_execnz .LBB152_212
.LBB152_145:
	s_or_b32 exec_lo, exec_lo, s0
	s_and_saveexec_b32 s0, vcc_lo
	s_cbranch_execnz .LBB152_213
.LBB152_146:
	s_or_b32 exec_lo, exec_lo, s0
	s_and_saveexec_b32 s0, vcc_lo
	s_cbranch_execnz .LBB152_214
.LBB152_147:
	s_or_b32 exec_lo, exec_lo, s0
	s_and_saveexec_b32 s0, vcc_lo
	s_cbranch_execnz .LBB152_215
.LBB152_148:
	s_or_b32 exec_lo, exec_lo, s0
	s_and_saveexec_b32 s0, vcc_lo
	s_cbranch_execnz .LBB152_216
.LBB152_149:
	s_or_b32 exec_lo, exec_lo, s0
	s_and_saveexec_b32 s0, vcc_lo
	s_cbranch_execnz .LBB152_217
.LBB152_150:
	s_or_b32 exec_lo, exec_lo, s0
	s_and_saveexec_b32 s0, vcc_lo
	s_cbranch_execnz .LBB152_218
.LBB152_151:
	s_or_b32 exec_lo, exec_lo, s0
	s_and_saveexec_b32 s0, vcc_lo
	s_cbranch_execnz .LBB152_219
.LBB152_152:
	s_or_b32 exec_lo, exec_lo, s0
	s_and_saveexec_b32 s0, vcc_lo
	s_cbranch_execnz .LBB152_220
.LBB152_153:
	s_or_b32 exec_lo, exec_lo, s0
	s_and_saveexec_b32 s0, vcc_lo
	s_cbranch_execnz .LBB152_221
.LBB152_154:
	s_or_b32 exec_lo, exec_lo, s0
	s_and_saveexec_b32 s0, vcc_lo
	s_cbranch_execnz .LBB152_222
.LBB152_155:
	s_or_b32 exec_lo, exec_lo, s0
	s_and_saveexec_b32 s0, vcc_lo
	s_cbranch_execnz .LBB152_223
.LBB152_156:
	s_or_b32 exec_lo, exec_lo, s0
	s_and_saveexec_b32 s0, vcc_lo
	s_cbranch_execnz .LBB152_224
.LBB152_157:
	s_or_b32 exec_lo, exec_lo, s0
	s_and_saveexec_b32 s0, vcc_lo
	s_cbranch_execnz .LBB152_225
.LBB152_158:
	s_or_b32 exec_lo, exec_lo, s0
	s_and_saveexec_b32 s0, vcc_lo
	s_cbranch_execnz .LBB152_226
.LBB152_159:
	s_or_b32 exec_lo, exec_lo, s0
	s_and_saveexec_b32 s0, vcc_lo
	s_cbranch_execnz .LBB152_227
.LBB152_160:
	s_or_b32 exec_lo, exec_lo, s0
	s_and_saveexec_b32 s0, vcc_lo
	s_cbranch_execnz .LBB152_228
.LBB152_161:
	s_or_b32 exec_lo, exec_lo, s0
	s_and_saveexec_b32 s0, vcc_lo
	s_cbranch_execnz .LBB152_229
.LBB152_162:
	s_or_b32 exec_lo, exec_lo, s0
	s_and_saveexec_b32 s0, vcc_lo
	s_cbranch_execnz .LBB152_230
.LBB152_163:
	s_or_b32 exec_lo, exec_lo, s0
	s_and_saveexec_b32 s0, vcc_lo
	s_cbranch_execnz .LBB152_231
.LBB152_164:
	s_or_b32 exec_lo, exec_lo, s0
	s_and_saveexec_b32 s0, vcc_lo
	s_cbranch_execnz .LBB152_232
.LBB152_165:
	s_or_b32 exec_lo, exec_lo, s0
	s_and_saveexec_b32 s0, vcc_lo
	s_cbranch_execnz .LBB152_233
.LBB152_166:
	s_or_b32 exec_lo, exec_lo, s0
	s_and_saveexec_b32 s0, vcc_lo
	s_cbranch_execnz .LBB152_234
.LBB152_167:
	s_or_b32 exec_lo, exec_lo, s0
	s_and_saveexec_b32 s0, vcc_lo
	s_cbranch_execnz .LBB152_235
.LBB152_168:
	s_or_b32 exec_lo, exec_lo, s0
	s_and_saveexec_b32 s0, vcc_lo
	s_cbranch_execnz .LBB152_236
.LBB152_169:
	s_or_b32 exec_lo, exec_lo, s0
	s_and_saveexec_b32 s0, vcc_lo
	s_cbranch_execnz .LBB152_237
.LBB152_170:
	s_or_b32 exec_lo, exec_lo, s0
	s_and_saveexec_b32 s0, vcc_lo
	s_cbranch_execnz .LBB152_238
.LBB152_171:
	s_or_b32 exec_lo, exec_lo, s0
	s_and_saveexec_b32 s0, vcc_lo
	s_cbranch_execnz .LBB152_239
.LBB152_172:
	s_or_b32 exec_lo, exec_lo, s0
	s_and_saveexec_b32 s0, vcc_lo
	s_cbranch_execz .LBB152_174
.LBB152_173:
	ds_read_b32 v32, v32 offset:992
	s_waitcnt lgkmcnt(0)
	v_add_f32_e32 v2, v2, v32
.LBB152_174:
	s_or_b32 exec_lo, exec_lo, s0
.LBB152_175:
	s_or_b32 exec_lo, exec_lo, s1
	s_barrier
	buffer_gl0_inv
	s_mov_b32 s0, exec_lo
	v_cmpx_eq_u32_e32 0, v34
	s_cbranch_execz .LBB152_177
; %bb.176:
	s_mul_i32 s0, s10, s11
	s_mul_i32 s2, s11, s20
	;; [unrolled: 1-line block ×3, first 2 shown]
	v_bfe_u32 v33, v31, 16, 1
	s_lshl_b32 s0, s0, 8
	v_or_b32_e32 v34, 0x400000, v31
	s_ashr_i32 s1, s0, 31
	v_bfe_u32 v35, v29, 16, 1
	s_lshl_b64 s[0:1], s[0:1], 1
	v_add3_u32 v33, v33, v31, 0x7fff
	s_add_u32 s4, s6, s0
	s_addc_u32 s5, s7, s1
	s_ashr_i32 s3, s2, 31
	v_cmp_u_f32_e32 vcc_lo, v31, v31
	s_lshl_b64 s[0:1], s[2:3], 1
	v_lshrrev_b32_e32 v32, 1, v58
	s_add_u32 s2, s4, s0
	s_addc_u32 s3, s5, s1
	s_lshl_b32 s0, s8, 8
	v_cndmask_b32_e32 v31, v33, v34, vcc_lo
	s_ashr_i32 s1, s0, 31
	v_bfe_u32 v33, v27, 16, 1
	s_lshl_b64 s[0:1], s[0:1], 1
	v_add3_u32 v34, v35, v29, 0x7fff
	v_or_b32_e32 v35, 0x400000, v29
	v_cmp_u_f32_e32 vcc_lo, v29, v29
	s_add_u32 s0, s2, s0
	s_addc_u32 s1, s3, s1
	global_store_short_d16_hi v32, v31, s[0:1]
	v_add3_u32 v31, v33, v27, 0x7fff
	v_or_b32_e32 v33, 0x400000, v27
	v_cndmask_b32_e32 v29, v34, v35, vcc_lo
	v_bfe_u32 v34, v25, 16, 1
	v_cmp_u_f32_e32 vcc_lo, v27, v27
	global_store_short_d16_hi v32, v29, s[0:1] offset:16
	v_add3_u32 v29, v34, v25, 0x7fff
	v_cndmask_b32_e32 v27, v31, v33, vcc_lo
	v_bfe_u32 v31, v23, 16, 1
	v_or_b32_e32 v33, 0x400000, v25
	v_cmp_u_f32_e32 vcc_lo, v25, v25
	global_store_short_d16_hi v32, v27, s[0:1] offset:32
	v_add3_u32 v27, v31, v23, 0x7fff
	v_or_b32_e32 v31, 0x400000, v23
	v_cndmask_b32_e32 v25, v29, v33, vcc_lo
	v_bfe_u32 v29, v21, 16, 1
	v_cmp_u_f32_e32 vcc_lo, v23, v23
	global_store_short_d16_hi v32, v25, s[0:1] offset:48
	v_add3_u32 v25, v29, v21, 0x7fff
	v_cndmask_b32_e32 v23, v27, v31, vcc_lo
	v_bfe_u32 v27, v19, 16, 1
	v_or_b32_e32 v29, 0x400000, v21
	v_cmp_u_f32_e32 vcc_lo, v21, v21
	global_store_short_d16_hi v32, v23, s[0:1] offset:64
	;; [unrolled: 12-line block ×5, first 2 shown]
	v_add3_u32 v12, v17, v30, 0x7fff
	v_or_b32_e32 v17, 0x400000, v30
	v_cndmask_b32_e32 v10, v14, v16, vcc_lo
	v_bfe_u32 v14, v28, 16, 1
	v_cmp_u_f32_e32 vcc_lo, v30, v30
	v_bfe_u32 v16, v26, 16, 1
	global_store_short_d16_hi v32, v10, s[0:1] offset:176
	v_add3_u32 v10, v14, v28, 0x7fff
	v_cndmask_b32_e32 v12, v12, v17, vcc_lo
	v_or_b32_e32 v14, 0x400000, v28
	v_cmp_u_f32_e32 vcc_lo, v28, v28
	global_store_short_d16_hi v32, v12, s[0:1] offset:192
	v_add3_u32 v12, v16, v26, 0x7fff
	v_or_b32_e32 v16, 0x400000, v26
	v_cndmask_b32_e32 v10, v10, v14, vcc_lo
	v_bfe_u32 v14, v24, 16, 1
	v_cmp_u_f32_e32 vcc_lo, v26, v26
	global_store_short_d16_hi v32, v10, s[0:1] offset:208
	v_add3_u32 v10, v14, v24, 0x7fff
	v_cndmask_b32_e32 v12, v12, v16, vcc_lo
	v_bfe_u32 v16, v22, 16, 1
	v_or_b32_e32 v14, 0x400000, v24
	v_cmp_u_f32_e32 vcc_lo, v24, v24
	global_store_short_d16_hi v32, v12, s[0:1] offset:224
	v_add3_u32 v12, v16, v22, 0x7fff
	v_or_b32_e32 v16, 0x400000, v22
	v_cndmask_b32_e32 v10, v10, v14, vcc_lo
	v_bfe_u32 v14, v20, 16, 1
	v_cmp_u_f32_e32 vcc_lo, v22, v22
	global_store_short_d16_hi v32, v10, s[0:1] offset:240
	v_add3_u32 v10, v14, v20, 0x7fff
	v_cndmask_b32_e32 v12, v12, v16, vcc_lo
	v_bfe_u32 v16, v18, 16, 1
	;; [unrolled: 12-line block ×3, first 2 shown]
	v_or_b32_e32 v14, 0x400000, v15
	v_cmp_u_f32_e32 vcc_lo, v15, v15
	global_store_short_d16_hi v32, v12, s[0:1] offset:288
	v_add3_u32 v12, v16, v13, 0x7fff
	v_or_b32_e32 v16, 0x400000, v13
	v_cndmask_b32_e32 v10, v10, v14, vcc_lo
	v_bfe_u32 v14, v11, 16, 1
	v_cmp_u_f32_e32 vcc_lo, v13, v13
	v_bfe_u32 v13, v9, 16, 1
	global_store_short_d16_hi v32, v10, s[0:1] offset:304
	v_add3_u32 v10, v14, v11, 0x7fff
	v_cndmask_b32_e32 v12, v12, v16, vcc_lo
	v_or_b32_e32 v14, 0x400000, v11
	v_cmp_u_f32_e32 vcc_lo, v11, v11
	v_bfe_u32 v11, v8, 16, 1
	global_store_short_d16_hi v32, v12, s[0:1] offset:320
	v_add3_u32 v12, v13, v9, 0x7fff
	v_or_b32_e32 v13, 0x400000, v9
	v_cndmask_b32_e32 v10, v10, v14, vcc_lo
	v_cmp_u_f32_e32 vcc_lo, v9, v9
	global_store_short_d16_hi v32, v10, s[0:1] offset:336
	v_cndmask_b32_e32 v9, v12, v13, vcc_lo
	v_bfe_u32 v12, v7, 16, 1
	v_add3_u32 v10, v11, v8, 0x7fff
	v_or_b32_e32 v11, 0x400000, v8
	v_cmp_u_f32_e32 vcc_lo, v8, v8
	global_store_short_d16_hi v32, v9, s[0:1] offset:352
	v_add3_u32 v9, v12, v7, 0x7fff
	v_or_b32_e32 v12, 0x400000, v7
	v_cndmask_b32_e32 v8, v10, v11, vcc_lo
	v_bfe_u32 v10, v6, 16, 1
	v_cmp_u_f32_e32 vcc_lo, v7, v7
	global_store_short_d16_hi v32, v8, s[0:1] offset:368
	v_add3_u32 v8, v10, v6, 0x7fff
	v_cndmask_b32_e32 v7, v9, v12, vcc_lo
	v_bfe_u32 v9, v5, 16, 1
	v_or_b32_e32 v10, 0x400000, v6
	v_cmp_u_f32_e32 vcc_lo, v6, v6
	global_store_short_d16_hi v32, v7, s[0:1] offset:384
	v_add3_u32 v7, v9, v5, 0x7fff
	v_or_b32_e32 v9, 0x400000, v5
	v_cndmask_b32_e32 v6, v8, v10, vcc_lo
	v_bfe_u32 v8, v4, 16, 1
	v_cmp_u_f32_e32 vcc_lo, v5, v5
	v_or_b32_e32 v10, 0x400000, v2
	global_store_short_d16_hi v32, v6, s[0:1] offset:400
	v_add3_u32 v6, v8, v4, 0x7fff
	v_cndmask_b32_e32 v5, v7, v9, vcc_lo
	v_bfe_u32 v7, v3, 16, 1
	v_or_b32_e32 v8, 0x400000, v4
	v_cmp_u_f32_e32 vcc_lo, v4, v4
	v_or_b32_e32 v9, 0x400000, v1
	global_store_short_d16_hi v32, v5, s[0:1] offset:416
	v_add3_u32 v5, v7, v3, 0x7fff
	v_or_b32_e32 v7, 0x400000, v3
	v_cndmask_b32_e32 v4, v6, v8, vcc_lo
	v_bfe_u32 v6, v0, 16, 1
	v_cmp_u_f32_e32 vcc_lo, v3, v3
	v_bfe_u32 v8, v1, 16, 1
	v_add3_u32 v6, v6, v0, 0x7fff
	v_cndmask_b32_e32 v3, v5, v7, vcc_lo
	v_or_b32_e32 v7, 0x400000, v0
	v_cmp_u_f32_e32 vcc_lo, v0, v0
	v_bfe_u32 v5, v2, 16, 1
	v_add3_u32 v8, v8, v1, 0x7fff
	v_cndmask_b32_e32 v0, v6, v7, vcc_lo
	v_cmp_u_f32_e32 vcc_lo, v1, v1
	v_add3_u32 v5, v5, v2, 0x7fff
	v_cndmask_b32_e32 v1, v8, v9, vcc_lo
	v_cmp_u_f32_e32 vcc_lo, v2, v2
	v_cndmask_b32_e32 v2, v5, v10, vcc_lo
	global_store_short_d16_hi v32, v4, s[0:1] offset:432
	global_store_short_d16_hi v32, v3, s[0:1] offset:448
	;; [unrolled: 1-line block ×5, first 2 shown]
.LBB152_177:
	s_endpgm
.LBB152_178:
	ds_read_b32 v34, v32
	s_waitcnt lgkmcnt(0)
	v_add_f32_e32 v31, v31, v34
	s_or_b32 exec_lo, exec_lo, s1
	s_and_saveexec_b32 s1, vcc_lo
	s_cbranch_execz .LBB152_106
.LBB152_179:
	ds_read_b32 v34, v32 offset:32
	s_waitcnt lgkmcnt(0)
	v_add_f32_e32 v29, v29, v34
	s_or_b32 exec_lo, exec_lo, s1
	s_and_saveexec_b32 s1, vcc_lo
	s_cbranch_execz .LBB152_107
.LBB152_180:
	ds_read_b32 v34, v32 offset:64
	s_waitcnt lgkmcnt(0)
	v_add_f32_e32 v27, v27, v34
	s_or_b32 exec_lo, exec_lo, s1
	s_and_saveexec_b32 s1, vcc_lo
	s_cbranch_execz .LBB152_108
.LBB152_181:
	ds_read_b32 v34, v32 offset:96
	s_waitcnt lgkmcnt(0)
	v_add_f32_e32 v25, v25, v34
	s_or_b32 exec_lo, exec_lo, s1
	s_and_saveexec_b32 s1, vcc_lo
	s_cbranch_execz .LBB152_109
.LBB152_182:
	ds_read_b32 v34, v32 offset:128
	s_waitcnt lgkmcnt(0)
	v_add_f32_e32 v23, v23, v34
	s_or_b32 exec_lo, exec_lo, s1
	s_and_saveexec_b32 s1, vcc_lo
	s_cbranch_execz .LBB152_110
.LBB152_183:
	ds_read_b32 v34, v32 offset:160
	s_waitcnt lgkmcnt(0)
	v_add_f32_e32 v21, v21, v34
	s_or_b32 exec_lo, exec_lo, s1
	s_and_saveexec_b32 s1, vcc_lo
	s_cbranch_execz .LBB152_111
.LBB152_184:
	ds_read_b32 v34, v32 offset:192
	s_waitcnt lgkmcnt(0)
	v_add_f32_e32 v19, v19, v34
	s_or_b32 exec_lo, exec_lo, s1
	s_and_saveexec_b32 s1, vcc_lo
	s_cbranch_execz .LBB152_112
.LBB152_185:
	ds_read_b32 v34, v32 offset:224
	s_waitcnt lgkmcnt(0)
	v_add_f32_e32 v16, v16, v34
	s_or_b32 exec_lo, exec_lo, s1
	s_and_saveexec_b32 s1, vcc_lo
	s_cbranch_execz .LBB152_113
.LBB152_186:
	ds_read_b32 v34, v32 offset:256
	s_waitcnt lgkmcnt(0)
	v_add_f32_e32 v17, v17, v34
	s_or_b32 exec_lo, exec_lo, s1
	s_and_saveexec_b32 s1, vcc_lo
	s_cbranch_execz .LBB152_114
.LBB152_187:
	ds_read_b32 v34, v32 offset:288
	s_waitcnt lgkmcnt(0)
	v_add_f32_e32 v14, v14, v34
	s_or_b32 exec_lo, exec_lo, s1
	s_and_saveexec_b32 s1, vcc_lo
	s_cbranch_execz .LBB152_115
.LBB152_188:
	ds_read_b32 v34, v32 offset:320
	s_waitcnt lgkmcnt(0)
	v_add_f32_e32 v12, v12, v34
	s_or_b32 exec_lo, exec_lo, s1
	s_and_saveexec_b32 s1, vcc_lo
	s_cbranch_execz .LBB152_116
.LBB152_189:
	ds_read_b32 v34, v32 offset:352
	s_waitcnt lgkmcnt(0)
	v_add_f32_e32 v10, v10, v34
	s_or_b32 exec_lo, exec_lo, s1
	s_and_saveexec_b32 s1, vcc_lo
	s_cbranch_execz .LBB152_117
.LBB152_190:
	ds_read_b32 v34, v32 offset:384
	s_waitcnt lgkmcnt(0)
	v_add_f32_e32 v30, v30, v34
	s_or_b32 exec_lo, exec_lo, s1
	s_and_saveexec_b32 s1, vcc_lo
	s_cbranch_execz .LBB152_118
.LBB152_191:
	ds_read_b32 v34, v32 offset:416
	s_waitcnt lgkmcnt(0)
	v_add_f32_e32 v28, v28, v34
	s_or_b32 exec_lo, exec_lo, s1
	s_and_saveexec_b32 s1, vcc_lo
	s_cbranch_execz .LBB152_119
.LBB152_192:
	ds_read_b32 v34, v32 offset:448
	s_waitcnt lgkmcnt(0)
	v_add_f32_e32 v26, v26, v34
	s_or_b32 exec_lo, exec_lo, s1
	s_and_saveexec_b32 s1, vcc_lo
	s_cbranch_execz .LBB152_120
.LBB152_193:
	ds_read_b32 v34, v32 offset:480
	s_waitcnt lgkmcnt(0)
	v_add_f32_e32 v24, v24, v34
	s_or_b32 exec_lo, exec_lo, s1
	s_and_saveexec_b32 s1, vcc_lo
	s_cbranch_execz .LBB152_121
.LBB152_194:
	ds_read_b32 v34, v32 offset:512
	s_waitcnt lgkmcnt(0)
	v_add_f32_e32 v22, v22, v34
	s_or_b32 exec_lo, exec_lo, s1
	s_and_saveexec_b32 s1, vcc_lo
	s_cbranch_execz .LBB152_122
.LBB152_195:
	ds_read_b32 v34, v32 offset:544
	s_waitcnt lgkmcnt(0)
	v_add_f32_e32 v20, v20, v34
	s_or_b32 exec_lo, exec_lo, s1
	s_and_saveexec_b32 s1, vcc_lo
	s_cbranch_execz .LBB152_123
.LBB152_196:
	ds_read_b32 v34, v32 offset:576
	s_waitcnt lgkmcnt(0)
	v_add_f32_e32 v18, v18, v34
	s_or_b32 exec_lo, exec_lo, s1
	s_and_saveexec_b32 s1, vcc_lo
	s_cbranch_execz .LBB152_124
.LBB152_197:
	ds_read_b32 v34, v32 offset:608
	s_waitcnt lgkmcnt(0)
	v_add_f32_e32 v15, v15, v34
	s_or_b32 exec_lo, exec_lo, s1
	s_and_saveexec_b32 s1, vcc_lo
	s_cbranch_execz .LBB152_125
.LBB152_198:
	ds_read_b32 v34, v32 offset:640
	s_waitcnt lgkmcnt(0)
	v_add_f32_e32 v13, v13, v34
	s_or_b32 exec_lo, exec_lo, s1
	s_and_saveexec_b32 s1, vcc_lo
	s_cbranch_execz .LBB152_126
.LBB152_199:
	ds_read_b32 v34, v32 offset:672
	s_waitcnt lgkmcnt(0)
	v_add_f32_e32 v11, v11, v34
	s_or_b32 exec_lo, exec_lo, s1
	s_and_saveexec_b32 s1, vcc_lo
	s_cbranch_execz .LBB152_127
.LBB152_200:
	ds_read_b32 v34, v32 offset:704
	s_waitcnt lgkmcnt(0)
	v_add_f32_e32 v9, v9, v34
	s_or_b32 exec_lo, exec_lo, s1
	s_and_saveexec_b32 s1, vcc_lo
	s_cbranch_execz .LBB152_128
.LBB152_201:
	ds_read_b32 v34, v32 offset:736
	s_waitcnt lgkmcnt(0)
	v_add_f32_e32 v8, v8, v34
	s_or_b32 exec_lo, exec_lo, s1
	s_and_saveexec_b32 s1, vcc_lo
	s_cbranch_execz .LBB152_129
.LBB152_202:
	ds_read_b32 v34, v32 offset:768
	s_waitcnt lgkmcnt(0)
	v_add_f32_e32 v7, v7, v34
	s_or_b32 exec_lo, exec_lo, s1
	s_and_saveexec_b32 s1, vcc_lo
	s_cbranch_execz .LBB152_130
.LBB152_203:
	ds_read_b32 v34, v32 offset:800
	s_waitcnt lgkmcnt(0)
	v_add_f32_e32 v6, v6, v34
	s_or_b32 exec_lo, exec_lo, s1
	s_and_saveexec_b32 s1, vcc_lo
	s_cbranch_execz .LBB152_131
.LBB152_204:
	ds_read_b32 v34, v32 offset:832
	s_waitcnt lgkmcnt(0)
	v_add_f32_e32 v5, v5, v34
	s_or_b32 exec_lo, exec_lo, s1
	s_and_saveexec_b32 s1, vcc_lo
	s_cbranch_execz .LBB152_132
.LBB152_205:
	ds_read_b32 v34, v32 offset:864
	s_waitcnt lgkmcnt(0)
	v_add_f32_e32 v4, v4, v34
	s_or_b32 exec_lo, exec_lo, s1
	s_and_saveexec_b32 s1, vcc_lo
	s_cbranch_execz .LBB152_133
.LBB152_206:
	ds_read_b32 v34, v32 offset:896
	s_waitcnt lgkmcnt(0)
	v_add_f32_e32 v3, v3, v34
	s_or_b32 exec_lo, exec_lo, s1
	s_and_saveexec_b32 s1, vcc_lo
	s_cbranch_execz .LBB152_134
.LBB152_207:
	ds_read_b32 v34, v32 offset:928
	s_waitcnt lgkmcnt(0)
	v_add_f32_e32 v0, v0, v34
	s_or_b32 exec_lo, exec_lo, s1
	s_and_saveexec_b32 s1, vcc_lo
	s_cbranch_execz .LBB152_135
.LBB152_208:
	ds_read_b32 v34, v32 offset:960
	s_waitcnt lgkmcnt(0)
	v_add_f32_e32 v1, v1, v34
	s_or_b32 exec_lo, exec_lo, s1
	s_and_saveexec_b32 s1, vcc_lo
	s_cbranch_execnz .LBB152_136
	s_branch .LBB152_137
.LBB152_209:
	ds_read_b32 v33, v32
	s_waitcnt lgkmcnt(0)
	v_add_f32_e32 v31, v31, v33
	s_or_b32 exec_lo, exec_lo, s0
	s_and_saveexec_b32 s0, vcc_lo
	s_cbranch_execz .LBB152_143
.LBB152_210:
	ds_read_b32 v33, v32 offset:32
	s_waitcnt lgkmcnt(0)
	v_add_f32_e32 v29, v29, v33
	s_or_b32 exec_lo, exec_lo, s0
	s_and_saveexec_b32 s0, vcc_lo
	s_cbranch_execz .LBB152_144
.LBB152_211:
	ds_read_b32 v33, v32 offset:64
	s_waitcnt lgkmcnt(0)
	v_add_f32_e32 v27, v27, v33
	s_or_b32 exec_lo, exec_lo, s0
	s_and_saveexec_b32 s0, vcc_lo
	s_cbranch_execz .LBB152_145
.LBB152_212:
	ds_read_b32 v33, v32 offset:96
	s_waitcnt lgkmcnt(0)
	v_add_f32_e32 v25, v25, v33
	s_or_b32 exec_lo, exec_lo, s0
	s_and_saveexec_b32 s0, vcc_lo
	s_cbranch_execz .LBB152_146
.LBB152_213:
	ds_read_b32 v33, v32 offset:128
	s_waitcnt lgkmcnt(0)
	v_add_f32_e32 v23, v23, v33
	s_or_b32 exec_lo, exec_lo, s0
	s_and_saveexec_b32 s0, vcc_lo
	s_cbranch_execz .LBB152_147
.LBB152_214:
	ds_read_b32 v33, v32 offset:160
	s_waitcnt lgkmcnt(0)
	v_add_f32_e32 v21, v21, v33
	s_or_b32 exec_lo, exec_lo, s0
	s_and_saveexec_b32 s0, vcc_lo
	s_cbranch_execz .LBB152_148
.LBB152_215:
	ds_read_b32 v33, v32 offset:192
	s_waitcnt lgkmcnt(0)
	v_add_f32_e32 v19, v19, v33
	s_or_b32 exec_lo, exec_lo, s0
	s_and_saveexec_b32 s0, vcc_lo
	s_cbranch_execz .LBB152_149
.LBB152_216:
	ds_read_b32 v33, v32 offset:224
	s_waitcnt lgkmcnt(0)
	v_add_f32_e32 v16, v16, v33
	s_or_b32 exec_lo, exec_lo, s0
	s_and_saveexec_b32 s0, vcc_lo
	s_cbranch_execz .LBB152_150
.LBB152_217:
	ds_read_b32 v33, v32 offset:256
	s_waitcnt lgkmcnt(0)
	v_add_f32_e32 v17, v17, v33
	s_or_b32 exec_lo, exec_lo, s0
	s_and_saveexec_b32 s0, vcc_lo
	s_cbranch_execz .LBB152_151
.LBB152_218:
	ds_read_b32 v33, v32 offset:288
	s_waitcnt lgkmcnt(0)
	v_add_f32_e32 v14, v14, v33
	s_or_b32 exec_lo, exec_lo, s0
	s_and_saveexec_b32 s0, vcc_lo
	s_cbranch_execz .LBB152_152
.LBB152_219:
	ds_read_b32 v33, v32 offset:320
	s_waitcnt lgkmcnt(0)
	v_add_f32_e32 v12, v12, v33
	s_or_b32 exec_lo, exec_lo, s0
	s_and_saveexec_b32 s0, vcc_lo
	s_cbranch_execz .LBB152_153
.LBB152_220:
	ds_read_b32 v33, v32 offset:352
	s_waitcnt lgkmcnt(0)
	v_add_f32_e32 v10, v10, v33
	s_or_b32 exec_lo, exec_lo, s0
	s_and_saveexec_b32 s0, vcc_lo
	s_cbranch_execz .LBB152_154
.LBB152_221:
	ds_read_b32 v33, v32 offset:384
	s_waitcnt lgkmcnt(0)
	v_add_f32_e32 v30, v30, v33
	s_or_b32 exec_lo, exec_lo, s0
	s_and_saveexec_b32 s0, vcc_lo
	s_cbranch_execz .LBB152_155
.LBB152_222:
	ds_read_b32 v33, v32 offset:416
	s_waitcnt lgkmcnt(0)
	v_add_f32_e32 v28, v28, v33
	s_or_b32 exec_lo, exec_lo, s0
	s_and_saveexec_b32 s0, vcc_lo
	s_cbranch_execz .LBB152_156
.LBB152_223:
	ds_read_b32 v33, v32 offset:448
	s_waitcnt lgkmcnt(0)
	v_add_f32_e32 v26, v26, v33
	s_or_b32 exec_lo, exec_lo, s0
	s_and_saveexec_b32 s0, vcc_lo
	s_cbranch_execz .LBB152_157
.LBB152_224:
	ds_read_b32 v33, v32 offset:480
	s_waitcnt lgkmcnt(0)
	v_add_f32_e32 v24, v24, v33
	s_or_b32 exec_lo, exec_lo, s0
	s_and_saveexec_b32 s0, vcc_lo
	s_cbranch_execz .LBB152_158
.LBB152_225:
	ds_read_b32 v33, v32 offset:512
	s_waitcnt lgkmcnt(0)
	v_add_f32_e32 v22, v22, v33
	s_or_b32 exec_lo, exec_lo, s0
	s_and_saveexec_b32 s0, vcc_lo
	s_cbranch_execz .LBB152_159
.LBB152_226:
	ds_read_b32 v33, v32 offset:544
	s_waitcnt lgkmcnt(0)
	v_add_f32_e32 v20, v20, v33
	s_or_b32 exec_lo, exec_lo, s0
	s_and_saveexec_b32 s0, vcc_lo
	s_cbranch_execz .LBB152_160
.LBB152_227:
	ds_read_b32 v33, v32 offset:576
	s_waitcnt lgkmcnt(0)
	v_add_f32_e32 v18, v18, v33
	s_or_b32 exec_lo, exec_lo, s0
	s_and_saveexec_b32 s0, vcc_lo
	s_cbranch_execz .LBB152_161
.LBB152_228:
	ds_read_b32 v33, v32 offset:608
	s_waitcnt lgkmcnt(0)
	v_add_f32_e32 v15, v15, v33
	s_or_b32 exec_lo, exec_lo, s0
	s_and_saveexec_b32 s0, vcc_lo
	s_cbranch_execz .LBB152_162
.LBB152_229:
	ds_read_b32 v33, v32 offset:640
	s_waitcnt lgkmcnt(0)
	v_add_f32_e32 v13, v13, v33
	s_or_b32 exec_lo, exec_lo, s0
	s_and_saveexec_b32 s0, vcc_lo
	s_cbranch_execz .LBB152_163
.LBB152_230:
	ds_read_b32 v33, v32 offset:672
	s_waitcnt lgkmcnt(0)
	v_add_f32_e32 v11, v11, v33
	s_or_b32 exec_lo, exec_lo, s0
	s_and_saveexec_b32 s0, vcc_lo
	s_cbranch_execz .LBB152_164
.LBB152_231:
	ds_read_b32 v33, v32 offset:704
	s_waitcnt lgkmcnt(0)
	v_add_f32_e32 v9, v9, v33
	s_or_b32 exec_lo, exec_lo, s0
	s_and_saveexec_b32 s0, vcc_lo
	s_cbranch_execz .LBB152_165
.LBB152_232:
	ds_read_b32 v33, v32 offset:736
	s_waitcnt lgkmcnt(0)
	v_add_f32_e32 v8, v8, v33
	s_or_b32 exec_lo, exec_lo, s0
	s_and_saveexec_b32 s0, vcc_lo
	s_cbranch_execz .LBB152_166
.LBB152_233:
	ds_read_b32 v33, v32 offset:768
	s_waitcnt lgkmcnt(0)
	v_add_f32_e32 v7, v7, v33
	s_or_b32 exec_lo, exec_lo, s0
	s_and_saveexec_b32 s0, vcc_lo
	s_cbranch_execz .LBB152_167
.LBB152_234:
	ds_read_b32 v33, v32 offset:800
	s_waitcnt lgkmcnt(0)
	v_add_f32_e32 v6, v6, v33
	s_or_b32 exec_lo, exec_lo, s0
	s_and_saveexec_b32 s0, vcc_lo
	s_cbranch_execz .LBB152_168
.LBB152_235:
	ds_read_b32 v33, v32 offset:832
	s_waitcnt lgkmcnt(0)
	v_add_f32_e32 v5, v5, v33
	s_or_b32 exec_lo, exec_lo, s0
	s_and_saveexec_b32 s0, vcc_lo
	s_cbranch_execz .LBB152_169
.LBB152_236:
	ds_read_b32 v33, v32 offset:864
	s_waitcnt lgkmcnt(0)
	v_add_f32_e32 v4, v4, v33
	s_or_b32 exec_lo, exec_lo, s0
	s_and_saveexec_b32 s0, vcc_lo
	s_cbranch_execz .LBB152_170
.LBB152_237:
	ds_read_b32 v33, v32 offset:896
	s_waitcnt lgkmcnt(0)
	v_add_f32_e32 v3, v3, v33
	s_or_b32 exec_lo, exec_lo, s0
	s_and_saveexec_b32 s0, vcc_lo
	s_cbranch_execz .LBB152_171
.LBB152_238:
	ds_read_b32 v33, v32 offset:928
	s_waitcnt lgkmcnt(0)
	v_add_f32_e32 v0, v0, v33
	s_or_b32 exec_lo, exec_lo, s0
	s_and_saveexec_b32 s0, vcc_lo
	s_cbranch_execz .LBB152_172
.LBB152_239:
	ds_read_b32 v33, v32 offset:960
	s_waitcnt lgkmcnt(0)
	v_add_f32_e32 v1, v1, v33
	s_or_b32 exec_lo, exec_lo, s0
	s_and_saveexec_b32 s0, vcc_lo
	s_cbranch_execnz .LBB152_173
	s_branch .LBB152_174
	.section	.rodata,"a",@progbits
	.p2align	6, 0x0
	.amdhsa_kernel _ZN4vllm25paged_attention_v1_kernelI14__hip_bfloat16S1_Li256ELi32ELi128ELNS_18Fp8KVCacheDataTypeE0ELb1EEEvPT_PKS3_PKT0_S9_ifPKiSB_iPKfiiiSD_SD_iiiii
		.amdhsa_group_segment_fixed_size 544
		.amdhsa_private_segment_fixed_size 908
		.amdhsa_kernarg_size 384
		.amdhsa_user_sgpr_count 6
		.amdhsa_user_sgpr_private_segment_buffer 1
		.amdhsa_user_sgpr_dispatch_ptr 0
		.amdhsa_user_sgpr_queue_ptr 0
		.amdhsa_user_sgpr_kernarg_segment_ptr 1
		.amdhsa_user_sgpr_dispatch_id 0
		.amdhsa_user_sgpr_flat_scratch_init 0
		.amdhsa_user_sgpr_private_segment_size 0
		.amdhsa_wavefront_size32 1
		.amdhsa_uses_dynamic_stack 0
		.amdhsa_system_sgpr_private_segment_wavefront_offset 1
		.amdhsa_system_sgpr_workgroup_id_x 1
		.amdhsa_system_sgpr_workgroup_id_y 1
		.amdhsa_system_sgpr_workgroup_id_z 1
		.amdhsa_system_sgpr_workgroup_info 0
		.amdhsa_system_vgpr_workitem_id 0
		.amdhsa_next_free_vgpr 128
		.amdhsa_next_free_sgpr 44
		.amdhsa_reserve_vcc 1
		.amdhsa_reserve_flat_scratch 0
		.amdhsa_float_round_mode_32 0
		.amdhsa_float_round_mode_16_64 0
		.amdhsa_float_denorm_mode_32 3
		.amdhsa_float_denorm_mode_16_64 3
		.amdhsa_dx10_clamp 1
		.amdhsa_ieee_mode 1
		.amdhsa_fp16_overflow 0
		.amdhsa_workgroup_processor_mode 1
		.amdhsa_memory_ordered 1
		.amdhsa_forward_progress 1
		.amdhsa_shared_vgpr_count 0
		.amdhsa_exception_fp_ieee_invalid_op 0
		.amdhsa_exception_fp_denorm_src 0
		.amdhsa_exception_fp_ieee_div_zero 0
		.amdhsa_exception_fp_ieee_overflow 0
		.amdhsa_exception_fp_ieee_underflow 0
		.amdhsa_exception_fp_ieee_inexact 0
		.amdhsa_exception_int_div_zero 0
	.end_amdhsa_kernel
	.section	.text._ZN4vllm25paged_attention_v1_kernelI14__hip_bfloat16S1_Li256ELi32ELi128ELNS_18Fp8KVCacheDataTypeE0ELb1EEEvPT_PKS3_PKT0_S9_ifPKiSB_iPKfiiiSD_SD_iiiii,"axG",@progbits,_ZN4vllm25paged_attention_v1_kernelI14__hip_bfloat16S1_Li256ELi32ELi128ELNS_18Fp8KVCacheDataTypeE0ELb1EEEvPT_PKS3_PKT0_S9_ifPKiSB_iPKfiiiSD_SD_iiiii,comdat
.Lfunc_end152:
	.size	_ZN4vllm25paged_attention_v1_kernelI14__hip_bfloat16S1_Li256ELi32ELi128ELNS_18Fp8KVCacheDataTypeE0ELb1EEEvPT_PKS3_PKT0_S9_ifPKiSB_iPKfiiiSD_SD_iiiii, .Lfunc_end152-_ZN4vllm25paged_attention_v1_kernelI14__hip_bfloat16S1_Li256ELi32ELi128ELNS_18Fp8KVCacheDataTypeE0ELb1EEEvPT_PKS3_PKT0_S9_ifPKiSB_iPKfiiiSD_SD_iiiii
                                        ; -- End function
	.set _ZN4vllm25paged_attention_v1_kernelI14__hip_bfloat16S1_Li256ELi32ELi128ELNS_18Fp8KVCacheDataTypeE0ELb1EEEvPT_PKS3_PKT0_S9_ifPKiSB_iPKfiiiSD_SD_iiiii.num_vgpr, 128
	.set _ZN4vllm25paged_attention_v1_kernelI14__hip_bfloat16S1_Li256ELi32ELi128ELNS_18Fp8KVCacheDataTypeE0ELb1EEEvPT_PKS3_PKT0_S9_ifPKiSB_iPKfiiiSD_SD_iiiii.num_agpr, 0
	.set _ZN4vllm25paged_attention_v1_kernelI14__hip_bfloat16S1_Li256ELi32ELi128ELNS_18Fp8KVCacheDataTypeE0ELb1EEEvPT_PKS3_PKT0_S9_ifPKiSB_iPKfiiiSD_SD_iiiii.numbered_sgpr, 44
	.set _ZN4vllm25paged_attention_v1_kernelI14__hip_bfloat16S1_Li256ELi32ELi128ELNS_18Fp8KVCacheDataTypeE0ELb1EEEvPT_PKS3_PKT0_S9_ifPKiSB_iPKfiiiSD_SD_iiiii.num_named_barrier, 0
	.set _ZN4vllm25paged_attention_v1_kernelI14__hip_bfloat16S1_Li256ELi32ELi128ELNS_18Fp8KVCacheDataTypeE0ELb1EEEvPT_PKS3_PKT0_S9_ifPKiSB_iPKfiiiSD_SD_iiiii.private_seg_size, 908
	.set _ZN4vllm25paged_attention_v1_kernelI14__hip_bfloat16S1_Li256ELi32ELi128ELNS_18Fp8KVCacheDataTypeE0ELb1EEEvPT_PKS3_PKT0_S9_ifPKiSB_iPKfiiiSD_SD_iiiii.uses_vcc, 1
	.set _ZN4vllm25paged_attention_v1_kernelI14__hip_bfloat16S1_Li256ELi32ELi128ELNS_18Fp8KVCacheDataTypeE0ELb1EEEvPT_PKS3_PKT0_S9_ifPKiSB_iPKfiiiSD_SD_iiiii.uses_flat_scratch, 0
	.set _ZN4vllm25paged_attention_v1_kernelI14__hip_bfloat16S1_Li256ELi32ELi128ELNS_18Fp8KVCacheDataTypeE0ELb1EEEvPT_PKS3_PKT0_S9_ifPKiSB_iPKfiiiSD_SD_iiiii.has_dyn_sized_stack, 0
	.set _ZN4vllm25paged_attention_v1_kernelI14__hip_bfloat16S1_Li256ELi32ELi128ELNS_18Fp8KVCacheDataTypeE0ELb1EEEvPT_PKS3_PKT0_S9_ifPKiSB_iPKfiiiSD_SD_iiiii.has_recursion, 0
	.set _ZN4vllm25paged_attention_v1_kernelI14__hip_bfloat16S1_Li256ELi32ELi128ELNS_18Fp8KVCacheDataTypeE0ELb1EEEvPT_PKS3_PKT0_S9_ifPKiSB_iPKfiiiSD_SD_iiiii.has_indirect_call, 0
	.section	.AMDGPU.csdata,"",@progbits
; Kernel info:
; codeLenInByte = 42160
; TotalNumSgprs: 46
; NumVgprs: 128
; ScratchSize: 908
; MemoryBound: 0
; FloatMode: 240
; IeeeMode: 1
; LDSByteSize: 544 bytes/workgroup (compile time only)
; SGPRBlocks: 0
; VGPRBlocks: 15
; NumSGPRsForWavesPerEU: 46
; NumVGPRsForWavesPerEU: 128
; Occupancy: 8
; WaveLimiterHint : 1
; COMPUTE_PGM_RSRC2:SCRATCH_EN: 1
; COMPUTE_PGM_RSRC2:USER_SGPR: 6
; COMPUTE_PGM_RSRC2:TRAP_HANDLER: 0
; COMPUTE_PGM_RSRC2:TGID_X_EN: 1
; COMPUTE_PGM_RSRC2:TGID_Y_EN: 1
; COMPUTE_PGM_RSRC2:TGID_Z_EN: 1
; COMPUTE_PGM_RSRC2:TIDIG_COMP_CNT: 0
	.section	.text._ZN4vllm25paged_attention_v1_kernelI14__hip_bfloat16S1_Li32ELi32ELi128ELNS_18Fp8KVCacheDataTypeE0ELb0EEEvPT_PKS3_PKT0_S9_ifPKiSB_iPKfiiiSD_SD_iiiii,"axG",@progbits,_ZN4vllm25paged_attention_v1_kernelI14__hip_bfloat16S1_Li32ELi32ELi128ELNS_18Fp8KVCacheDataTypeE0ELb0EEEvPT_PKS3_PKT0_S9_ifPKiSB_iPKfiiiSD_SD_iiiii,comdat
	.protected	_ZN4vllm25paged_attention_v1_kernelI14__hip_bfloat16S1_Li32ELi32ELi128ELNS_18Fp8KVCacheDataTypeE0ELb0EEEvPT_PKS3_PKT0_S9_ifPKiSB_iPKfiiiSD_SD_iiiii ; -- Begin function _ZN4vllm25paged_attention_v1_kernelI14__hip_bfloat16S1_Li32ELi32ELi128ELNS_18Fp8KVCacheDataTypeE0ELb0EEEvPT_PKS3_PKT0_S9_ifPKiSB_iPKfiiiSD_SD_iiiii
	.globl	_ZN4vllm25paged_attention_v1_kernelI14__hip_bfloat16S1_Li32ELi32ELi128ELNS_18Fp8KVCacheDataTypeE0ELb0EEEvPT_PKS3_PKT0_S9_ifPKiSB_iPKfiiiSD_SD_iiiii
	.p2align	8
	.type	_ZN4vllm25paged_attention_v1_kernelI14__hip_bfloat16S1_Li32ELi32ELi128ELNS_18Fp8KVCacheDataTypeE0ELb0EEEvPT_PKS3_PKT0_S9_ifPKiSB_iPKfiiiSD_SD_iiiii,@function
_ZN4vllm25paged_attention_v1_kernelI14__hip_bfloat16S1_Li32ELi32ELi128ELNS_18Fp8KVCacheDataTypeE0ELb0EEEvPT_PKS3_PKT0_S9_ifPKiSB_iPKfiiiSD_SD_iiiii: ; @_ZN4vllm25paged_attention_v1_kernelI14__hip_bfloat16S1_Li32ELi32ELi128ELNS_18Fp8KVCacheDataTypeE0ELb0EEEvPT_PKS3_PKT0_S9_ifPKiSB_iPKfiiiSD_SD_iiiii
; %bb.0:
	s_clause 0x2
	s_load_dword s9, s[4:5], 0x80
	s_load_dwordx2 s[0:1], s[4:5], 0x30
	s_load_dwordx2 s[2:3], s[4:5], 0x20
	s_mov_b32 s10, s7
	s_ashr_i32 s11, s7, 31
	s_mov_b32 s24, 0
	s_lshl_b64 s[12:13], s[10:11], 2
	s_waitcnt lgkmcnt(0)
	s_add_u32 s0, s0, s12
	s_addc_u32 s1, s1, s13
	s_abs_i32 s7, s2
	s_abs_i32 s13, s9
	v_cvt_f32_u32_e32 v1, s7
	s_sub_i32 s12, 0, s7
	s_xor_b32 s2, s9, s2
	s_ashr_i32 s2, s2, 31
	v_rcp_iflag_f32_e32 v1, v1
	v_mul_f32_e32 v1, 0x4f7ffffe, v1
	v_cvt_u32_f32_e32 v1, v1
	v_readfirstlane_b32 s11, v1
	s_mul_i32 s12, s12, s11
	s_mul_hi_u32 s12, s11, s12
	s_add_i32 s11, s11, s12
	s_mul_hi_u32 s11, s13, s11
	s_mul_i32 s12, s11, s7
	s_sub_i32 s12, s13, s12
	s_add_i32 s13, s11, 1
	s_sub_i32 s14, s12, s7
	s_cmp_ge_u32 s12, s7
	s_cselect_b32 s11, s13, s11
	s_cselect_b32 s12, s14, s12
	s_add_i32 s13, s11, 1
	s_cmp_ge_u32 s12, s7
	s_cselect_b32 s7, s13, s11
	s_load_dwordx2 s[12:13], s[4:5], 0x40
	s_xor_b32 s7, s7, s2
	s_abs_i32 s16, s6
	s_sub_i32 s17, s7, s2
	s_abs_i32 s2, s17
	v_cvt_f32_u32_e32 v1, s2
	s_sub_i32 s11, 0, s2
	v_rcp_iflag_f32_e32 v1, v1
	v_mul_f32_e32 v1, 0x4f7ffffe, v1
	v_cvt_u32_f32_e32 v1, v1
	v_readfirstlane_b32 s7, v1
	s_mul_i32 s11, s11, s7
	s_mul_hi_u32 s11, s7, s11
	s_add_i32 s7, s7, s11
	s_waitcnt lgkmcnt(0)
	s_cmp_eq_u64 s[12:13], 0
	s_mul_hi_u32 s22, s16, s7
	s_cbranch_scc1 .LBB153_2
; %bb.1:
	s_ashr_i32 s7, s6, 31
	s_lshl_b64 s[14:15], s[6:7], 2
	s_add_u32 s12, s12, s14
	s_addc_u32 s13, s13, s15
	s_load_dword s24, s[12:13], 0x0
.LBB153_2:
	s_load_dword s11, s[0:1], 0x0
	s_clause 0x1
	s_load_dwordx2 s[18:19], s[4:5], 0x28
	s_load_dwordx4 s[12:15], s[4:5], 0x48
	v_lshlrev_b32_e32 v3, 4, v0
	s_ashr_i32 s0, s6, 31
	s_ashr_i32 s1, s17, 31
	s_lshl_b32 s6, s6, 5
	s_waitcnt lgkmcnt(0)
	s_mov_b32 s15, exec_lo
	v_cmpx_gt_u32_e32 4, v0
	s_cbranch_execz .LBB153_4
; %bb.3:
	s_load_dwordx2 s[20:21], s[4:5], 0x8
	s_mul_i32 s26, s12, s10
	s_ashr_i32 s27, s26, 31
	s_lshl_b64 s[26:27], s[26:27], 1
	s_waitcnt lgkmcnt(0)
	s_add_u32 s12, s20, s26
	s_addc_u32 s17, s21, s27
	s_ashr_i32 s7, s6, 31
	s_lshl_b64 s[20:21], s[6:7], 1
	s_add_u32 s20, s12, s20
	s_addc_u32 s21, s17, s21
	global_load_dwordx4 v[4:7], v3, s[20:21]
	s_waitcnt vmcnt(0)
	ds_write_b128 v3, v[4:7]
.LBB153_4:
	s_or_b32 exec_lo, exec_lo, s15
	s_add_i32 s7, s11, 31
	s_xor_b32 s0, s0, s1
	s_ashr_i32 s12, s7, 31
	s_load_dword s15, s[4:5], 0x38
	s_lshr_b32 s1, s12, 27
	s_mul_i32 s12, s22, s2
	s_add_i32 s7, s7, s1
	s_sub_i32 s1, s16, s12
	s_ashr_i32 s12, s7, 5
	s_clause 0x2
	s_load_dwordx2 s[16:17], s[4:5], 0x0
	s_load_dwordx2 s[20:21], s[4:5], 0x18
	s_load_dword s7, s[4:5], 0x88
	s_add_i32 s23, s22, 1
	s_sub_i32 s25, s1, s2
	s_cmp_ge_u32 s1, s2
	v_lshrrev_b32_e32 v27, 5, v0
	s_cselect_b32 s22, s23, s22
	s_cselect_b32 s1, s25, s1
	s_add_i32 s23, s22, 1
	s_cmp_ge_u32 s1, s2
	v_and_b32_e32 v28, 31, v0
	s_cselect_b32 s1, s23, s22
	v_mov_b32_e32 v24, 0xff7fffff
	s_xor_b32 s1, s1, s0
	v_lshrrev_b32_e32 v4, 3, v0
	s_sub_i32 s1, s1, s0
	v_cmp_gt_i32_e64 s0, s12, v27
	v_lshlrev_b32_e32 v5, 2, v28
	s_waitcnt lgkmcnt(0)
	s_mul_i32 s22, s15, s10
	s_mul_i32 s14, s1, s14
	s_ashr_i32 s23, s22, 31
	s_barrier
	buffer_gl0_inv
	s_and_saveexec_b32 s25, s0
	s_cbranch_execz .LBB153_8
; %bb.5:
	s_load_dwordx2 s[4:5], s[4:5], 0x10
	v_mov_b32_e32 v1, 0
	s_ashr_i32 s15, s14, 31
	v_lshlrev_b32_e32 v2, 4, v28
	s_lshl_b64 s[26:27], s[14:15], 1
	ds_read_b128 v[21:24], v1
	ds_read_b128 v[29:32], v1 offset:16
	ds_read_b128 v[33:36], v1 offset:32
	;; [unrolled: 1-line block ×3, first 2 shown]
	v_lshl_or_b32 v1, v27, 7, v5
	v_cmp_neq_f32_e64 vcc_lo, s24, 0
	v_lshl_or_b32 v43, v27, 5, v28
	v_mov_b32_e32 v45, v27
	s_mov_b32 s15, s13
	v_add_nc_u32_e32 v44, 0x60, v1
	s_waitcnt lgkmcnt(0)
	s_add_u32 s1, s4, s26
	s_addc_u32 s2, s5, s27
	v_add_co_u32 v6, s1, s1, v2
	v_and_b32_e32 v2, 0x7c, v4
	s_lshl_b64 s[26:27], s[22:23], 2
	s_sub_i32 s4, 1, s11
	v_add_co_ci_u32_e64 v7, null, s2, 0, s1
	s_add_u32 s1, s18, s26
	s_addc_u32 s2, s19, s27
	v_add_co_u32 v1, s1, s1, v2
	v_and_b32_e32 v8, 0xffff0000, v21
	v_lshlrev_b32_e32 v9, 16, v21
	v_and_b32_e32 v10, 0xffff0000, v29
	v_lshlrev_b32_e32 v11, 16, v29
	;; [unrolled: 2-line block ×16, first 2 shown]
	v_add_co_ci_u32_e64 v2, null, s2, 0, s1
	v_mov_b32_e32 v24, 0xff7fffff
	s_mov_b32 s5, 0
.LBB153_6:                              ; =>This Inner Loop Header: Depth=1
	global_load_dword v46, v[1:2], off
	v_add_nc_u32_e32 v62, s4, v43
	v_max_f32_e32 v79, v24, v24
	v_add_nc_u32_e32 v45, 4, v45
	v_cvt_f32_i32_e32 v62, v62
	v_cmp_le_i32_e64 s2, s12, v45
	s_or_b32 s5, s2, s5
	s_waitcnt vmcnt(0)
	v_mad_i64_i32 v[46:47], null, v46, s15, 0
	v_lshlrev_b64 v[46:47], 1, v[46:47]
	v_add_co_u32 v58, s1, v6, v46
	v_add_co_ci_u32_e64 v59, null, v7, v47, s1
	v_add_co_u32 v1, s1, v1, 16
	v_add_co_ci_u32_e64 v2, null, 0, v2, s1
	s_clause 0x3
	global_load_dwordx4 v[46:49], v[58:59], off
	global_load_dwordx4 v[50:53], v[58:59], off offset:512
	global_load_dwordx4 v[54:57], v[58:59], off offset:1024
	;; [unrolled: 1-line block ×3, first 2 shown]
	v_cmp_gt_i32_e64 s1, s11, v43
	v_add_nc_u32_e32 v43, 0x80, v43
	s_waitcnt vmcnt(3)
	v_lshlrev_b32_e32 v63, 16, v46
	s_waitcnt vmcnt(2)
	v_and_b32_e32 v67, 0xffff0000, v50
	v_lshlrev_b32_e32 v50, 16, v50
	v_and_b32_e32 v46, 0xffff0000, v46
	v_and_b32_e32 v68, 0xffff0000, v51
	v_lshlrev_b32_e32 v51, 16, v51
	v_mul_f32_e32 v67, v10, v67
	v_mul_f32_e32 v50, v11, v50
	v_lshlrev_b32_e32 v64, 16, v47
	s_waitcnt vmcnt(1)
	v_and_b32_e32 v71, 0xffff0000, v54
	v_lshlrev_b32_e32 v54, 16, v54
	v_mul_f32_e32 v51, v17, v51
	v_fmac_f32_e32 v67, v8, v46
	v_fmac_f32_e32 v50, v9, v63
	v_and_b32_e32 v47, 0xffff0000, v47
	v_and_b32_e32 v69, 0xffff0000, v52
	v_lshlrev_b32_e32 v52, 16, v52
	v_and_b32_e32 v72, 0xffff0000, v55
	v_lshlrev_b32_e32 v55, 16, v55
	s_waitcnt vmcnt(0)
	v_lshlrev_b32_e32 v75, 16, v58
	v_and_b32_e32 v58, 0xffff0000, v58
	v_mul_f32_e32 v68, v16, v68
	v_fmac_f32_e32 v51, v15, v64
	v_fmac_f32_e32 v67, v12, v71
	;; [unrolled: 1-line block ×3, first 2 shown]
	v_lshlrev_b32_e32 v65, 16, v48
	v_lshlrev_b32_e32 v76, 16, v59
	v_mul_f32_e32 v52, v23, v52
	v_fmac_f32_e32 v68, v14, v47
	v_fmac_f32_e32 v51, v19, v55
	;; [unrolled: 1-line block ×4, first 2 shown]
	v_and_b32_e32 v48, 0xffff0000, v48
	v_and_b32_e32 v70, 0xffff0000, v53
	v_lshlrev_b32_e32 v53, 16, v53
	v_and_b32_e32 v73, 0xffff0000, v56
	v_lshlrev_b32_e32 v56, 16, v56
	v_and_b32_e32 v59, 0xffff0000, v59
	v_mul_f32_e32 v69, v22, v69
	v_fmac_f32_e32 v52, v21, v65
	v_fmac_f32_e32 v68, v18, v72
	;; [unrolled: 1-line block ×3, first 2 shown]
	v_add_f32_e32 v46, v50, v67
	v_lshlrev_b32_e32 v66, 16, v49
	v_lshlrev_b32_e32 v77, 16, v60
	v_mul_f32_e32 v53, v32, v53
	v_fmac_f32_e32 v69, v20, v48
	v_fmac_f32_e32 v52, v26, v56
	;; [unrolled: 1-line block ×3, first 2 shown]
	v_add_f32_e32 v46, v46, v51
	v_and_b32_e32 v49, 0xffff0000, v49
	v_and_b32_e32 v74, 0xffff0000, v57
	v_lshlrev_b32_e32 v57, 16, v57
	v_and_b32_e32 v60, 0xffff0000, v60
	v_mul_f32_e32 v70, v31, v70
	v_fmac_f32_e32 v53, v30, v66
	v_fmac_f32_e32 v69, v25, v73
	;; [unrolled: 1-line block ×3, first 2 shown]
	v_add_f32_e32 v46, v68, v46
	v_lshlrev_b32_e32 v78, 16, v61
	v_fmac_f32_e32 v70, v29, v49
	v_fmac_f32_e32 v53, v34, v57
	;; [unrolled: 1-line block ×3, first 2 shown]
	v_add_f32_e32 v46, v52, v46
	v_and_b32_e32 v61, 0xffff0000, v61
	v_fmac_f32_e32 v70, v33, v74
	v_fmac_f32_e32 v53, v42, v78
	v_mul_f32_e32 v47, s24, v62
	v_add_f32_e32 v46, v69, v46
	v_fmac_f32_e32 v70, v41, v61
	v_cndmask_b32_e32 v47, 0, v47, vcc_lo
	v_add_f32_e32 v46, v53, v46
	v_add_f32_e32 v46, v70, v46
	v_fmac_f32_e32 v47, s3, v46
	v_max_f32_e32 v46, v79, v47
	v_cndmask_b32_e64 v47, 0, v47, s1
	v_cndmask_b32_e64 v24, v24, v46, s1
	ds_write_b32 v44, v47
	v_add_nc_u32_e32 v44, 0x200, v44
	s_andn2_b32 exec_lo, exec_lo, s5
	s_cbranch_execnz .LBB153_6
; %bb.7:
	s_or_b32 exec_lo, exec_lo, s5
.LBB153_8:
	s_or_b32 exec_lo, exec_lo, s25
	v_mbcnt_lo_u32_b32 v2, -1, 0
	v_max_f32_e32 v8, v24, v24
	v_xor_b32_e32 v1, 16, v2
	v_xor_b32_e32 v7, 8, v2
	v_cmp_gt_i32_e32 vcc_lo, 32, v1
	v_cndmask_b32_e32 v1, v2, v1, vcc_lo
	v_cmp_gt_i32_e32 vcc_lo, 32, v7
	v_lshlrev_b32_e32 v1, 2, v1
	v_cndmask_b32_e32 v7, v2, v7, vcc_lo
	ds_bpermute_b32 v6, v1, v24
	s_waitcnt lgkmcnt(0)
	v_max_f32_e32 v9, v6, v6
	v_lshlrev_b32_e32 v6, 2, v7
	v_max_f32_e32 v8, v8, v9
	v_xor_b32_e32 v9, 4, v2
	ds_bpermute_b32 v7, v6, v8
	v_cmp_gt_i32_e32 vcc_lo, 32, v9
	v_cndmask_b32_e32 v9, v2, v9, vcc_lo
	s_waitcnt lgkmcnt(0)
	v_max_f32_e32 v10, v7, v7
	v_lshlrev_b32_e32 v7, 2, v9
	v_max_f32_e32 v8, v8, v10
	v_xor_b32_e32 v10, 2, v2
	ds_bpermute_b32 v9, v7, v8
	v_cmp_gt_i32_e32 vcc_lo, 32, v10
	v_cndmask_b32_e32 v10, v2, v10, vcc_lo
	v_lshlrev_b32_e32 v29, 2, v10
	v_xor_b32_e32 v10, 1, v2
	v_cmp_gt_i32_e32 vcc_lo, 32, v10
	s_waitcnt lgkmcnt(0)
	v_max_f32_e32 v9, v9, v9
	v_cndmask_b32_e32 v10, v2, v10, vcc_lo
	v_cmp_eq_u32_e32 vcc_lo, 0, v28
	v_max_f32_e32 v8, v8, v9
	v_lshlrev_b32_e32 v30, 2, v10
	ds_bpermute_b32 v9, v29, v8
	s_waitcnt lgkmcnt(0)
	v_max_f32_e32 v9, v9, v9
	v_max_f32_e32 v2, v8, v9
	v_lshlrev_b32_e32 v8, 2, v27
	ds_bpermute_b32 v9, v30, v2
	s_and_saveexec_b32 s1, vcc_lo
	s_cbranch_execz .LBB153_10
; %bb.9:
	s_waitcnt lgkmcnt(0)
	v_max_f32_e32 v9, v9, v9
	v_max_f32_e32 v2, v2, v2
	;; [unrolled: 1-line block ×3, first 2 shown]
	ds_write_b32 v8, v2 offset:64
.LBB153_10:
	s_or_b32 exec_lo, exec_lo, s1
	v_cmp_gt_u32_e64 s1, 4, v28
	v_mov_b32_e32 v2, 0xff7fffff
	s_waitcnt lgkmcnt(0)
	s_barrier
	buffer_gl0_inv
	s_and_saveexec_b32 s2, s1
; %bb.11:
	ds_read_b32 v2, v5 offset:64
; %bb.12:
	s_or_b32 exec_lo, exec_lo, s2
	s_waitcnt lgkmcnt(0)
	ds_bpermute_b32 v9, v29, v2
	v_max_f32_e32 v2, v2, v2
	s_lshl_b32 s2, s12, 5
	s_min_i32 s4, s2, s11
	v_cmp_gt_i32_e64 s2, s4, v0
	s_waitcnt lgkmcnt(0)
	v_max_f32_e32 v9, v9, v9
	v_max_f32_e32 v2, v2, v9
	ds_bpermute_b32 v9, v30, v2
	s_waitcnt lgkmcnt(0)
	v_max_f32_e32 v9, v9, v9
	v_max_f32_e32 v2, v2, v9
	v_mov_b32_e32 v9, 0
	ds_bpermute_b32 v10, v9, v2
	v_lshl_add_u32 v2, v0, 2, 0x60
	s_and_saveexec_b32 s5, s2
	s_cbranch_execz .LBB153_16
; %bb.13:
	v_lshl_add_u32 v11, v0, 2, 0x60
	v_mov_b32_e32 v9, 0
	v_mov_b32_e32 v12, v0
	s_mov_b32 s15, 0
	.p2align	6
.LBB153_14:                             ; =>This Inner Loop Header: Depth=1
	ds_read_b32 v13, v11
	v_add_nc_u32_e32 v12, 0x80, v12
	v_cmp_le_i32_e64 s3, s4, v12
	s_or_b32 s15, s3, s15
	s_waitcnt lgkmcnt(0)
	v_sub_f32_e32 v13, v13, v10
	v_mul_f32_e32 v13, 0x3fb8aa3b, v13
	v_exp_f32_e32 v13, v13
	ds_write_b32 v11, v13
	v_add_f32_e32 v9, v9, v13
	v_add_nc_u32_e32 v11, 0x200, v11
	s_andn2_b32 exec_lo, exec_lo, s15
	s_cbranch_execnz .LBB153_14
; %bb.15:
	s_or_b32 exec_lo, exec_lo, s15
.LBB153_16:
	s_or_b32 exec_lo, exec_lo, s5
	ds_bpermute_b32 v1, v1, v9
	s_waitcnt lgkmcnt(0)
	v_add_f32_e32 v1, v9, v1
	ds_bpermute_b32 v6, v6, v1
	s_waitcnt lgkmcnt(0)
	v_add_f32_e32 v1, v1, v6
	;; [unrolled: 3-line block ×5, first 2 shown]
	s_and_saveexec_b32 s3, vcc_lo
; %bb.17:
	ds_write_b32 v8, v1 offset:80
; %bb.18:
	s_or_b32 exec_lo, exec_lo, s3
	s_waitcnt lgkmcnt(0)
	s_barrier
	buffer_gl0_inv
	s_and_saveexec_b32 s3, s1
; %bb.19:
	ds_read_b32 v1, v5 offset:80
; %bb.20:
	s_or_b32 exec_lo, exec_lo, s3
	s_waitcnt lgkmcnt(0)
	ds_bpermute_b32 v5, v29, v1
	s_waitcnt lgkmcnt(0)
	v_add_f32_e32 v1, v1, v5
	ds_bpermute_b32 v5, v30, v1
	s_waitcnt lgkmcnt(0)
	v_add_f32_e32 v1, v1, v5
	v_mov_b32_e32 v5, 0
	ds_bpermute_b32 v1, v5, v1
	s_and_saveexec_b32 s1, s2
	s_cbranch_execz .LBB153_23
; %bb.21:
	s_waitcnt lgkmcnt(0)
	v_add_f32_e32 v1, 0x358637bd, v1
	s_mov_b32 s2, 0
	v_div_scale_f32 v5, null, v1, v1, 1.0
	v_div_scale_f32 v8, vcc_lo, 1.0, v1, 1.0
	v_rcp_f32_e32 v6, v5
	v_fma_f32 v7, -v5, v6, 1.0
	v_fmac_f32_e32 v6, v7, v6
	v_mul_f32_e32 v7, v8, v6
	v_fma_f32 v9, -v5, v7, v8
	v_fmac_f32_e32 v7, v9, v6
	v_fma_f32 v5, -v5, v7, v8
	v_div_fmas_f32 v5, v5, v6, v7
	v_div_fixup_f32 v1, v5, v1, 1.0
	v_mov_b32_e32 v5, v0
.LBB153_22:                             ; =>This Inner Loop Header: Depth=1
	ds_read_b32 v6, v2
	v_add_nc_u32_e32 v5, 0x80, v5
	v_cmp_le_i32_e32 vcc_lo, s4, v5
	s_or_b32 s2, vcc_lo, s2
	s_waitcnt lgkmcnt(0)
	v_mul_f32_e32 v6, v1, v6
	ds_write_b32 v2, v6
	v_add_nc_u32_e32 v2, 0x200, v2
	s_andn2_b32 exec_lo, exec_lo, s2
	s_cbranch_execnz .LBB153_22
.LBB153_23:
	s_or_b32 exec_lo, exec_lo, s1
	v_mov_b32_e32 v33, 0
	v_and_b32_e32 v31, 3, v0
	v_mov_b32_e32 v35, 0
	v_mov_b32_e32 v34, 0
	;; [unrolled: 1-line block ×3, first 2 shown]
	s_waitcnt lgkmcnt(0)
	s_barrier
	buffer_gl0_inv
	s_and_saveexec_b32 s3, s0
	s_cbranch_execz .LBB153_35
; %bb.24:
	v_lshlrev_b32_e32 v1, 3, v0
	s_ashr_i32 s15, s14, 31
	v_and_b32_e32 v3, 0x1f0, v3
	s_lshl_b64 s[0:1], s[14:15], 1
	v_lshlrev_b32_e32 v2, 5, v31
	v_and_b32_e32 v1, 24, v1
	s_add_u32 s0, s20, s0
	s_addc_u32 s1, s21, s1
	v_add_co_u32 v37, s0, s0, v3
	v_lshl_or_b32 v39, v27, 5, v1
	v_and_b32_e32 v1, 0x7c, v4
	v_add_co_ci_u32_e64 v38, null, s1, 0, s0
	s_lshl_b64 s[0:1], s[22:23], 2
	s_add_i32 s4, s12, -1
	v_lshl_or_b32 v2, v27, 7, v2
	s_add_u32 s0, s18, s0
	s_addc_u32 s1, s19, s1
	v_add_co_u32 v25, s0, s0, v1
	v_mov_b32_e32 v36, 0
	v_add_nc_u32_e32 v40, 0x60, v2
	v_add_co_ci_u32_e64 v26, null, s1, 0, s0
	v_mov_b32_e32 v32, 0
	v_mov_b32_e32 v34, 0
	;; [unrolled: 1-line block ×5, first 2 shown]
	s_mov_b32 s5, s13
	s_mov_b32 s14, s11
	;; [unrolled: 1-line block ×3, first 2 shown]
	s_branch .LBB153_26
.LBB153_25:                             ;   in Loop: Header=BB153_26 Depth=1
	s_or_b32 exec_lo, exec_lo, s2
	s_waitcnt lgkmcnt(1)
	v_bfe_u32 v42, v17, 16, 1
	v_bfe_u32 v43, v18, 16, 1
	v_or_b32_e32 v44, 0x400000, v17
	v_cmp_u_f32_e32 vcc_lo, v17, v17
	v_or_b32_e32 v45, 0x400000, v18
	v_add3_u32 v42, v42, v17, 0x7fff
	v_bfe_u32 v46, v19, 16, 1
	v_add3_u32 v43, v43, v18, 0x7fff
	v_bfe_u32 v47, v20, 16, 1
	s_waitcnt vmcnt(1)
	v_and_b32_e32 v49, 0xffff0000, v24
	v_cndmask_b32_e32 v17, v42, v44, vcc_lo
	v_cmp_u_f32_e32 vcc_lo, v18, v18
	v_add3_u32 v42, v46, v19, 0x7fff
	v_add3_u32 v44, v47, v20, 0x7fff
	s_waitcnt lgkmcnt(0)
	v_bfe_u32 v46, v13, 16, 1
	v_and_b32_e32 v17, 0xffff0000, v17
	v_cndmask_b32_e32 v18, v43, v45, vcc_lo
	v_or_b32_e32 v43, 0x400000, v19
	v_cmp_u_f32_e32 vcc_lo, v19, v19
	v_or_b32_e32 v45, 0x400000, v20
	v_lshlrev_b32_e32 v24, 16, v24
	v_add_nc_u32_e32 v41, 4, v41
	v_add_co_u32 v25, s0, v25, 16
	v_cndmask_b32_e32 v19, v42, v43, vcc_lo
	v_cmp_u_f32_e32 vcc_lo, v20, v20
	v_bfe_u32 v42, v14, 16, 1
	v_add3_u32 v43, v46, v13, 0x7fff
	v_bfe_u32 v46, v15, 16, 1
	v_add_nc_u32_e32 v39, 0x80, v39
	v_cndmask_b32_e32 v20, v44, v45, vcc_lo
	v_or_b32_e32 v44, 0x400000, v13
	v_cmp_u_f32_e32 vcc_lo, v13, v13
	v_add3_u32 v42, v42, v14, 0x7fff
	v_or_b32_e32 v45, 0x400000, v14
	v_and_b32_e32 v13, 0xffff0000, v18
	v_and_b32_e32 v18, 0xffff0000, v21
	v_cndmask_b32_e32 v43, v43, v44, vcc_lo
	v_cmp_u_f32_e32 vcc_lo, v14, v14
	v_add3_u32 v14, v46, v15, 0x7fff
	v_bfe_u32 v44, v16, 16, 1
	v_lshlrev_b32_e32 v21, 16, v21
	v_mul_f32_e32 v18, v13, v18
	v_cndmask_b32_e32 v42, v42, v45, vcc_lo
	v_or_b32_e32 v45, 0x400000, v15
	v_cmp_u_f32_e32 vcc_lo, v15, v15
	v_add3_u32 v44, v44, v16, 0x7fff
	v_or_b32_e32 v46, 0x400000, v16
	v_mul_f32_e32 v21, v17, v21
	v_bfe_u32 v15, v18, 16, 1
	v_cndmask_b32_e32 v45, v14, v45, vcc_lo
	v_cmp_u_f32_e32 vcc_lo, v16, v16
	v_and_b32_e32 v14, 0xffff0000, v20
	v_and_b32_e32 v20, 0xffff0000, v22
	v_add3_u32 v15, v15, v18, 0x7fff
	v_or_b32_e32 v47, 0x400000, v21
	v_cndmask_b32_e32 v16, v44, v46, vcc_lo
	v_bfe_u32 v44, v21, 16, 1
	v_or_b32_e32 v46, 0x400000, v18
	v_cmp_u_f32_e32 vcc_lo, v18, v18
	v_mul_f32_e32 v48, v14, v20
	v_and_b32_e32 v20, 0xffff0000, v19
	v_add3_u32 v44, v44, v21, 0x7fff
	v_lshlrev_b32_e32 v19, 16, v22
	v_cndmask_b32_e32 v22, v15, v46, vcc_lo
	v_cmp_u_f32_e32 vcc_lo, v21, v21
	v_and_b32_e32 v15, 0xffff0000, v42
	v_and_b32_e32 v42, 0xffff0000, v23
	v_mul_f32_e32 v19, v20, v19
	v_and_b32_e32 v18, 0xffff0000, v43
	v_cndmask_b32_e32 v21, v44, v47, vcc_lo
	v_bfe_u32 v44, v48, 16, 1
	v_lshlrev_b32_e32 v23, 16, v23
	v_bfe_u32 v46, v19, 16, 1
	v_mul_f32_e32 v42, v15, v42
	v_cmp_u_f32_e32 vcc_lo, v48, v48
	v_add3_u32 v43, v44, v48, 0x7fff
	v_or_b32_e32 v44, 0x400000, v48
	v_mul_f32_e32 v23, v18, v23
	v_bfe_u32 v47, v42, 16, 1
	v_and_b32_e32 v16, 0xffff0000, v16
	v_and_b32_e32 v21, 0xffff0000, v21
	v_cndmask_b32_e32 v43, v43, v44, vcc_lo
	v_add3_u32 v44, v46, v19, 0x7fff
	v_or_b32_e32 v46, 0x400000, v19
	v_cmp_u_f32_e32 vcc_lo, v19, v19
	v_bfe_u32 v48, v23, 16, 1
	v_mul_f32_e32 v49, v16, v49
	v_and_b32_e32 v19, 0xffff0000, v45
	v_or_b32_e32 v45, 0x400000, v23
	v_cndmask_b32_e32 v44, v44, v46, vcc_lo
	v_add3_u32 v46, v47, v42, 0x7fff
	v_or_b32_e32 v47, 0x400000, v42
	v_cmp_u_f32_e32 vcc_lo, v42, v42
	v_add3_u32 v48, v48, v23, 0x7fff
	v_bfe_u32 v50, v49, 16, 1
	v_mul_f32_e32 v24, v19, v24
	v_and_b32_e32 v22, 0xffff0000, v22
	v_cndmask_b32_e32 v42, v46, v47, vcc_lo
	v_cmp_u_f32_e32 vcc_lo, v23, v23
	v_or_b32_e32 v46, 0x400000, v49
	v_bfe_u32 v47, v24, 16, 1
	v_and_b32_e32 v44, 0xffff0000, v44
	v_and_b32_e32 v43, 0xffff0000, v43
	v_cndmask_b32_e32 v23, v48, v45, vcc_lo
	v_add3_u32 v45, v50, v49, 0x7fff
	v_cmp_u_f32_e32 vcc_lo, v49, v49
	v_add_f32_e32 v21, v21, v22
	v_add_f32_e32 v22, v44, v43
	v_and_b32_e32 v23, 0xffff0000, v23
	v_and_b32_e32 v42, 0xffff0000, v42
	v_cndmask_b32_e32 v45, v45, v46, vcc_lo
	v_add3_u32 v46, v47, v24, 0x7fff
	v_or_b32_e32 v47, 0x400000, v24
	v_and_b32_e32 v43, 0xffff0000, v9
	v_cmp_u_f32_e32 vcc_lo, v24, v24
	v_lshlrev_b32_e32 v9, 16, v9
	v_add_f32_e32 v21, v22, v21
	v_add_f32_e32 v22, v23, v42
	v_mul_f32_e32 v23, v13, v43
	v_cndmask_b32_e32 v24, v46, v47, vcc_lo
	v_mul_f32_e32 v42, v17, v9
	v_and_b32_e32 v43, 0xffff0000, v45
	v_and_b32_e32 v44, 0xffff0000, v10
	v_bfe_u32 v45, v23, 16, 1
	v_and_b32_e32 v24, 0xffff0000, v24
	v_add_f32_e32 v9, v22, v21
	v_bfe_u32 v22, v42, 16, 1
	v_cmp_u_f32_e32 vcc_lo, v23, v23
	v_lshlrev_b32_e32 v10, 16, v10
	v_add_f32_e32 v21, v24, v43
	v_mul_f32_e32 v24, v14, v44
	v_add3_u32 v43, v45, v23, 0x7fff
	v_or_b32_e32 v44, 0x400000, v23
	v_add3_u32 v22, v22, v42, 0x7fff
	v_or_b32_e32 v45, 0x400000, v42
	v_bfe_u32 v46, v24, 16, 1
	v_mul_f32_e32 v10, v20, v10
	v_cndmask_b32_e32 v23, v43, v44, vcc_lo
	v_cmp_u_f32_e32 vcc_lo, v42, v42
	v_or_b32_e32 v43, 0x400000, v24
	v_add3_u32 v42, v46, v24, 0x7fff
	v_and_b32_e32 v44, 0xffff0000, v11
	v_lshlrev_b32_e32 v11, 16, v11
	v_cndmask_b32_e32 v22, v22, v45, vcc_lo
	v_cmp_u_f32_e32 vcc_lo, v24, v24
	v_bfe_u32 v45, v10, 16, 1
	v_and_b32_e32 v23, 0xffff0000, v23
	v_mul_f32_e32 v11, v18, v11
	v_and_b32_e32 v22, 0xffff0000, v22
	v_cndmask_b32_e32 v24, v42, v43, vcc_lo
	v_mul_f32_e32 v42, v15, v44
	v_add3_u32 v43, v45, v10, 0x7fff
	v_or_b32_e32 v44, 0x400000, v10
	v_and_b32_e32 v45, 0xffff0000, v12
	v_cmp_u_f32_e32 vcc_lo, v10, v10
	v_bfe_u32 v46, v42, 16, 1
	v_bfe_u32 v47, v11, 16, 1
	v_lshlrev_b32_e32 v12, 16, v12
	v_and_b32_e32 v24, 0xffff0000, v24
	v_cndmask_b32_e32 v10, v43, v44, vcc_lo
	v_mul_f32_e32 v43, v16, v45
	v_add3_u32 v44, v46, v42, 0x7fff
	v_or_b32_e32 v45, 0x400000, v42
	v_cmp_u_f32_e32 vcc_lo, v42, v42
	v_add3_u32 v46, v47, v11, 0x7fff
	v_or_b32_e32 v47, 0x400000, v11
	v_bfe_u32 v48, v43, 16, 1
	v_and_b32_e32 v10, 0xffff0000, v10
	v_cndmask_b32_e32 v42, v44, v45, vcc_lo
	v_cmp_u_f32_e32 vcc_lo, v11, v11
	v_or_b32_e32 v45, 0x400000, v43
	v_add3_u32 v44, v48, v43, 0x7fff
	v_mul_f32_e32 v12, v19, v12
	v_add_f32_e32 v22, v22, v23
	v_cndmask_b32_e32 v11, v46, v47, vcc_lo
	v_cmp_u_f32_e32 vcc_lo, v43, v43
	v_add_f32_e32 v10, v10, v24
	v_and_b32_e32 v23, 0xffff0000, v1
	v_and_b32_e32 v24, 0xffff0000, v42
	;; [unrolled: 1-line block ×3, first 2 shown]
	v_cndmask_b32_e32 v43, v44, v45, vcc_lo
	v_bfe_u32 v44, v12, 16, 1
	v_add_f32_e32 v10, v10, v22
	v_mul_f32_e32 v22, v13, v23
	v_add_f32_e32 v11, v11, v24
	v_lshlrev_b32_e32 v1, 16, v1
	v_add3_u32 v42, v44, v12, 0x7fff
	v_or_b32_e32 v44, 0x400000, v12
	v_cmp_u_f32_e32 vcc_lo, v12, v12
	v_bfe_u32 v23, v22, 16, 1
	v_add_f32_e32 v10, v11, v10
	v_and_b32_e32 v11, 0xffff0000, v2
	v_mul_f32_e32 v1, v17, v1
	v_cndmask_b32_e32 v12, v42, v44, vcc_lo
	v_add3_u32 v23, v23, v22, 0x7fff
	v_or_b32_e32 v24, 0x400000, v22
	v_mul_f32_e32 v11, v14, v11
	v_and_b32_e32 v42, 0xffff0000, v43
	v_bfe_u32 v43, v1, 16, 1
	v_cmp_u_f32_e32 vcc_lo, v22, v22
	v_lshlrev_b32_e32 v2, 16, v2
	v_or_b32_e32 v44, 0x400000, v1
	v_or_b32_e32 v45, 0x400000, v11
	v_and_b32_e32 v12, 0xffff0000, v12
	v_cndmask_b32_e32 v22, v23, v24, vcc_lo
	v_bfe_u32 v23, v11, 16, 1
	v_add3_u32 v24, v43, v1, 0x7fff
	v_and_b32_e32 v43, 0xffff0000, v3
	v_mul_f32_e32 v2, v20, v2
	v_cmp_u_f32_e32 vcc_lo, v1, v1
	v_add3_u32 v23, v23, v11, 0x7fff
	v_lshlrev_b32_e32 v3, 16, v3
	v_mul_f32_e32 v43, v15, v43
	v_and_b32_e32 v22, 0xffff0000, v22
	v_cndmask_b32_e32 v1, v24, v44, vcc_lo
	v_bfe_u32 v24, v2, 16, 1
	v_cmp_u_f32_e32 vcc_lo, v11, v11
	v_and_b32_e32 v44, 0xffff0000, v4
	v_mul_f32_e32 v3, v18, v3
	v_or_b32_e32 v46, 0x400000, v43
	v_add3_u32 v24, v24, v2, 0x7fff
	v_cndmask_b32_e32 v11, v23, v45, vcc_lo
	v_bfe_u32 v23, v43, 16, 1
	v_or_b32_e32 v45, 0x400000, v2
	v_cmp_u_f32_e32 vcc_lo, v2, v2
	v_mul_f32_e32 v44, v16, v44
	v_lshlrev_b32_e32 v4, 16, v4
	v_add3_u32 v23, v23, v43, 0x7fff
	v_and_b32_e32 v1, 0xffff0000, v1
	v_cndmask_b32_e32 v2, v24, v45, vcc_lo
	v_bfe_u32 v24, v3, 16, 1
	v_cmp_u_f32_e32 vcc_lo, v43, v43
	v_bfe_u32 v45, v44, 16, 1
	v_or_b32_e32 v43, 0x400000, v3
	v_mul_f32_e32 v4, v19, v4
	v_add3_u32 v24, v24, v3, 0x7fff
	v_cndmask_b32_e32 v23, v23, v46, vcc_lo
	v_cmp_u_f32_e32 vcc_lo, v3, v3
	v_add3_u32 v45, v45, v44, 0x7fff
	v_or_b32_e32 v46, 0x400000, v44
	v_and_b32_e32 v2, 0xffff0000, v2
	v_and_b32_e32 v11, 0xffff0000, v11
	v_cndmask_b32_e32 v3, v24, v43, vcc_lo
	v_cmp_u_f32_e32 vcc_lo, v44, v44
	v_bfe_u32 v43, v4, 16, 1
	v_add_f32_e32 v1, v1, v22
	v_add_f32_e32 v2, v2, v11
	v_and_b32_e32 v3, 0xffff0000, v3
	v_cndmask_b32_e32 v24, v45, v46, vcc_lo
	s_waitcnt vmcnt(0)
	v_lshlrev_b32_e32 v45, 16, v5
	v_and_b32_e32 v11, 0xffff0000, v23
	v_and_b32_e32 v5, 0xffff0000, v5
	v_add3_u32 v43, v43, v4, 0x7fff
	v_or_b32_e32 v44, 0x400000, v4
	v_mul_f32_e32 v17, v17, v45
	v_cmp_u_f32_e32 vcc_lo, v4, v4
	v_add_f32_e32 v1, v2, v1
	v_add_f32_e32 v3, v3, v11
	v_mul_f32_e32 v5, v13, v5
	v_bfe_u32 v2, v17, 16, 1
	v_lshlrev_b32_e32 v11, 16, v6
	v_cndmask_b32_e32 v4, v43, v44, vcc_lo
	v_or_b32_e32 v13, 0x400000, v17
	v_bfe_u32 v22, v5, 16, 1
	v_add3_u32 v2, v2, v17, 0x7fff
	v_mul_f32_e32 v11, v20, v11
	v_and_b32_e32 v6, 0xffff0000, v6
	v_cmp_u_f32_e32 vcc_lo, v17, v17
	v_or_b32_e32 v17, 0x400000, v5
	v_and_b32_e32 v4, 0xffff0000, v4
	v_bfe_u32 v20, v11, 16, 1
	v_mul_f32_e32 v6, v14, v6
	v_cndmask_b32_e32 v2, v2, v13, vcc_lo
	v_add3_u32 v13, v22, v5, 0x7fff
	v_lshlrev_b32_e32 v14, 16, v7
	v_cmp_u_f32_e32 vcc_lo, v5, v5
	v_and_b32_e32 v7, 0xffff0000, v7
	v_and_b32_e32 v2, 0xffff0000, v2
	v_add_f32_e32 v1, v3, v1
	v_mul_f32_e32 v14, v18, v14
	v_cndmask_b32_e32 v5, v13, v17, vcc_lo
	v_add3_u32 v13, v20, v11, 0x7fff
	v_or_b32_e32 v17, 0x400000, v11
	v_bfe_u32 v20, v6, 16, 1
	v_cmp_u_f32_e32 vcc_lo, v11, v11
	v_bfe_u32 v18, v14, 16, 1
	v_mul_f32_e32 v7, v15, v7
	v_lshlrev_b32_e32 v15, 16, v8
	v_and_b32_e32 v8, 0xffff0000, v8
	v_cndmask_b32_e32 v11, v13, v17, vcc_lo
	v_add3_u32 v13, v20, v6, 0x7fff
	v_or_b32_e32 v17, 0x400000, v6
	v_cmp_u_f32_e32 vcc_lo, v6, v6
	v_mul_f32_e32 v8, v16, v8
	v_or_b32_e32 v16, 0x400000, v14
	v_mul_f32_e32 v15, v19, v15
	v_and_b32_e32 v5, 0xffff0000, v5
	v_cndmask_b32_e32 v6, v13, v17, vcc_lo
	v_bfe_u32 v13, v7, 16, 1
	v_add3_u32 v17, v18, v14, 0x7fff
	v_cmp_u_f32_e32 vcc_lo, v14, v14
	v_or_b32_e32 v18, 0x400000, v7
	v_bfe_u32 v20, v8, 16, 1
	v_add3_u32 v13, v13, v7, 0x7fff
	v_bfe_u32 v19, v15, 16, 1
	v_cndmask_b32_e32 v14, v17, v16, vcc_lo
	v_cmp_u_f32_e32 vcc_lo, v7, v7
	v_add3_u32 v16, v20, v8, 0x7fff
	v_or_b32_e32 v17, 0x400000, v8
	v_and_b32_e32 v6, 0xffff0000, v6
	v_and_b32_e32 v11, 0xffff0000, v11
	v_cndmask_b32_e32 v7, v13, v18, vcc_lo
	v_cmp_u_f32_e32 vcc_lo, v8, v8
	v_add3_u32 v13, v19, v15, 0x7fff
	v_or_b32_e32 v18, 0x400000, v15
	v_add_f32_e32 v2, v2, v5
	v_add_f32_e32 v5, v11, v6
	v_cndmask_b32_e32 v8, v16, v17, vcc_lo
	v_cmp_u_f32_e32 vcc_lo, v15, v15
	v_and_b32_e32 v6, 0xffff0000, v7
	v_and_b32_e32 v7, 0xffff0000, v14
	v_add_f32_e32 v2, v5, v2
	v_add_nc_u32_e32 v40, 0x200, v40
	v_cndmask_b32_e32 v11, v13, v18, vcc_lo
	v_and_b32_e32 v13, 0xffff0000, v24
	v_add_f32_e32 v5, v7, v6
	v_and_b32_e32 v6, 0xffff0000, v8
	v_add_f32_e32 v8, v12, v42
	;; [unrolled: 2-line block ×3, first 2 shown]
	v_add_f32_e32 v2, v5, v2
	v_add_f32_e32 v5, v21, v9
	v_cmp_le_i32_e32 vcc_lo, s12, v41
	v_add_f32_e32 v4, v7, v6
	v_add_f32_e32 v6, v8, v10
	;; [unrolled: 1-line block ×4, first 2 shown]
	v_add_co_ci_u32_e64 v26, null, 0, v26, s0
	v_add_f32_e32 v2, v4, v2
	v_add_f32_e32 v35, v35, v6
	;; [unrolled: 1-line block ×3, first 2 shown]
	s_or_b32 s13, vcc_lo, s13
	v_add_f32_e32 v32, v32, v2
	s_andn2_b32 exec_lo, exec_lo, s13
	s_cbranch_execz .LBB153_34
.LBB153_26:                             ; =>This Inner Loop Header: Depth=1
	global_load_dword v1, v[25:26], off
	v_cmp_eq_u32_e64 s0, s4, v41
	v_add_nc_u32_e32 v48, 1, v39
	v_or_b32_e32 v46, 3, v39
	v_or_b32_e32 v47, 2, v39
	;; [unrolled: 1-line block ×6, first 2 shown]
	s_waitcnt vmcnt(0)
	v_mad_i64_i32 v[1:2], null, v1, s5, 0
	v_lshlrev_b64 v[1:2], 1, v[1:2]
	v_add_co_u32 v5, vcc_lo, v37, v1
	v_add_co_ci_u32_e64 v6, null, v38, v2, vcc_lo
	global_load_dwordx4 v[1:4], v[5:6], off
	ds_read2_b64 v[17:20], v40 offset1:1
	ds_read2_b64 v[13:16], v40 offset0:2 offset1:3
	s_and_saveexec_b32 s15, s0
	s_cbranch_execnz .LBB153_30
; %bb.27:                               ;   in Loop: Header=BB153_26 Depth=1
	s_or_b32 exec_lo, exec_lo, s15
	global_load_dwordx4 v[9:12], v[5:6], off offset:512
	s_and_saveexec_b32 s15, s0
	s_cbranch_execnz .LBB153_31
.LBB153_28:                             ;   in Loop: Header=BB153_26 Depth=1
	s_or_b32 exec_lo, exec_lo, s15
	global_load_dwordx4 v[21:24], v[5:6], off offset:1024
	s_and_saveexec_b32 s15, s0
	s_cbranch_execnz .LBB153_32
.LBB153_29:                             ;   in Loop: Header=BB153_26 Depth=1
	s_or_b32 exec_lo, exec_lo, s15
	global_load_dwordx4 v[5:8], v[5:6], off offset:1536
	s_and_saveexec_b32 s2, s0
	s_cbranch_execz .LBB153_25
	s_branch .LBB153_33
.LBB153_30:                             ;   in Loop: Header=BB153_26 Depth=1
	v_cmp_gt_i32_e64 s1, s11, v39
	v_cmp_gt_i32_e32 vcc_lo, s14, v48
	v_cmp_gt_i32_e64 s2, s11, v47
	s_waitcnt vmcnt(0)
	v_cndmask_b32_e64 v7, 0, v1, s1
	v_cmp_gt_i32_e64 s1, s14, v46
	v_cndmask_b32_sdwa v1, v36, v1, vcc_lo dst_sel:DWORD dst_unused:UNUSED_PAD src0_sel:DWORD src1_sel:WORD_1
	v_cndmask_b32_e64 v8, 0, v2, s2
	v_cmp_gt_i32_e64 s2, s14, v45
	s_mov_b32 vcc_lo, s1
	v_cmp_gt_i32_e64 s1, s14, v43
	v_cndmask_b32_sdwa v2, v36, v2, vcc_lo dst_sel:DWORD dst_unused:UNUSED_PAD src0_sel:DWORD src1_sel:WORD_1
	v_cmp_gt_i32_e32 vcc_lo, s11, v44
	v_perm_b32 v1, v1, v7, 0x5040100
	v_perm_b32 v2, v2, v8, 0x5040100
	v_cndmask_b32_e32 v9, 0, v3, vcc_lo
	s_mov_b32 vcc_lo, s2
	v_cndmask_b32_sdwa v3, v36, v3, vcc_lo dst_sel:DWORD dst_unused:UNUSED_PAD src0_sel:DWORD src1_sel:WORD_1
	v_cmp_gt_i32_e32 vcc_lo, s11, v42
	v_perm_b32 v3, v3, v9, 0x5040100
	v_cndmask_b32_e32 v10, 0, v4, vcc_lo
	s_mov_b32 vcc_lo, s1
	v_cndmask_b32_sdwa v4, v36, v4, vcc_lo dst_sel:DWORD dst_unused:UNUSED_PAD src0_sel:DWORD src1_sel:WORD_1
	v_perm_b32 v4, v4, v10, 0x5040100
	s_or_b32 exec_lo, exec_lo, s15
	global_load_dwordx4 v[9:12], v[5:6], off offset:512
	s_and_saveexec_b32 s15, s0
	s_cbranch_execz .LBB153_28
.LBB153_31:                             ;   in Loop: Header=BB153_26 Depth=1
	v_cmp_gt_i32_e64 s1, s11, v39
	v_cmp_gt_i32_e32 vcc_lo, s14, v48
	v_cmp_gt_i32_e64 s2, s11, v47
	s_waitcnt vmcnt(0)
	v_cndmask_b32_e64 v7, 0, v9, s1
	v_cmp_gt_i32_e64 s1, s14, v46
	v_cndmask_b32_sdwa v9, v36, v9, vcc_lo dst_sel:DWORD dst_unused:UNUSED_PAD src0_sel:DWORD src1_sel:WORD_1
	v_cndmask_b32_e64 v8, 0, v10, s2
	v_cmp_gt_i32_e64 s2, s14, v45
	s_mov_b32 vcc_lo, s1
	v_cmp_gt_i32_e64 s1, s14, v43
	v_cndmask_b32_sdwa v10, v36, v10, vcc_lo dst_sel:DWORD dst_unused:UNUSED_PAD src0_sel:DWORD src1_sel:WORD_1
	v_cmp_gt_i32_e32 vcc_lo, s11, v44
	v_perm_b32 v9, v9, v7, 0x5040100
	v_perm_b32 v10, v10, v8, 0x5040100
	v_cndmask_b32_e32 v21, 0, v11, vcc_lo
	s_mov_b32 vcc_lo, s2
	v_cndmask_b32_sdwa v11, v36, v11, vcc_lo dst_sel:DWORD dst_unused:UNUSED_PAD src0_sel:DWORD src1_sel:WORD_1
	v_cmp_gt_i32_e32 vcc_lo, s11, v42
	v_perm_b32 v11, v11, v21, 0x5040100
	v_cndmask_b32_e32 v22, 0, v12, vcc_lo
	s_mov_b32 vcc_lo, s1
	v_cndmask_b32_sdwa v12, v36, v12, vcc_lo dst_sel:DWORD dst_unused:UNUSED_PAD src0_sel:DWORD src1_sel:WORD_1
	v_perm_b32 v12, v12, v22, 0x5040100
	s_or_b32 exec_lo, exec_lo, s15
	global_load_dwordx4 v[21:24], v[5:6], off offset:1024
	s_and_saveexec_b32 s15, s0
	s_cbranch_execz .LBB153_29
.LBB153_32:                             ;   in Loop: Header=BB153_26 Depth=1
	v_cmp_gt_i32_e64 s1, s11, v39
	v_cmp_gt_i32_e32 vcc_lo, s14, v48
	v_cmp_gt_i32_e64 s2, s11, v47
	s_waitcnt vmcnt(0)
	v_cndmask_b32_e64 v7, 0, v21, s1
	v_cmp_gt_i32_e64 s1, s14, v46
	v_cndmask_b32_sdwa v21, v36, v21, vcc_lo dst_sel:DWORD dst_unused:UNUSED_PAD src0_sel:DWORD src1_sel:WORD_1
	v_cndmask_b32_e64 v8, 0, v22, s2
	v_cmp_gt_i32_e64 s2, s14, v45
	s_mov_b32 vcc_lo, s1
	v_cmp_gt_i32_e64 s1, s14, v43
	v_cndmask_b32_sdwa v22, v36, v22, vcc_lo dst_sel:DWORD dst_unused:UNUSED_PAD src0_sel:DWORD src1_sel:WORD_1
	v_cmp_gt_i32_e32 vcc_lo, s11, v44
	v_perm_b32 v21, v21, v7, 0x5040100
	v_perm_b32 v22, v22, v8, 0x5040100
	v_cndmask_b32_e32 v49, 0, v23, vcc_lo
	s_mov_b32 vcc_lo, s2
	v_cndmask_b32_sdwa v23, v36, v23, vcc_lo dst_sel:DWORD dst_unused:UNUSED_PAD src0_sel:DWORD src1_sel:WORD_1
	v_cmp_gt_i32_e32 vcc_lo, s11, v42
	v_perm_b32 v23, v23, v49, 0x5040100
	v_cndmask_b32_e32 v50, 0, v24, vcc_lo
	s_mov_b32 vcc_lo, s1
	v_cndmask_b32_sdwa v24, v36, v24, vcc_lo dst_sel:DWORD dst_unused:UNUSED_PAD src0_sel:DWORD src1_sel:WORD_1
	v_perm_b32 v24, v24, v50, 0x5040100
	s_or_b32 exec_lo, exec_lo, s15
	global_load_dwordx4 v[5:8], v[5:6], off offset:1536
	s_and_saveexec_b32 s2, s0
	s_cbranch_execz .LBB153_25
.LBB153_33:                             ;   in Loop: Header=BB153_26 Depth=1
	v_cmp_gt_i32_e64 s0, s11, v39
	v_cmp_gt_i32_e32 vcc_lo, s14, v48
	v_cmp_gt_i32_e64 s1, s11, v47
	s_waitcnt vmcnt(0)
	v_cndmask_b32_e64 v48, 0, v5, s0
	v_cmp_gt_i32_e64 s0, s14, v46
	v_cndmask_b32_sdwa v5, v36, v5, vcc_lo dst_sel:DWORD dst_unused:UNUSED_PAD src0_sel:DWORD src1_sel:WORD_1
	v_cndmask_b32_e64 v46, 0, v6, s1
	v_cmp_gt_i32_e64 s1, s14, v45
	s_mov_b32 vcc_lo, s0
	v_cmp_gt_i32_e64 s0, s14, v43
	v_cndmask_b32_sdwa v6, v36, v6, vcc_lo dst_sel:DWORD dst_unused:UNUSED_PAD src0_sel:DWORD src1_sel:WORD_1
	v_cmp_gt_i32_e32 vcc_lo, s11, v44
	v_perm_b32 v5, v5, v48, 0x5040100
	v_perm_b32 v6, v6, v46, 0x5040100
	v_cndmask_b32_e32 v44, 0, v7, vcc_lo
	s_mov_b32 vcc_lo, s1
	v_cndmask_b32_sdwa v7, v36, v7, vcc_lo dst_sel:DWORD dst_unused:UNUSED_PAD src0_sel:DWORD src1_sel:WORD_1
	v_cmp_gt_i32_e32 vcc_lo, s11, v42
	v_perm_b32 v7, v7, v44, 0x5040100
	v_cndmask_b32_e32 v42, 0, v8, vcc_lo
	s_mov_b32 vcc_lo, s0
	v_cndmask_b32_sdwa v8, v36, v8, vcc_lo dst_sel:DWORD dst_unused:UNUSED_PAD src0_sel:DWORD src1_sel:WORD_1
	v_perm_b32 v8, v8, v42, 0x5040100
	s_branch .LBB153_25
.LBB153_34:
	s_or_b32 exec_lo, exec_lo, s13
.LBB153_35:
	s_or_b32 exec_lo, exec_lo, s3
	ds_bpermute_b32 v1, v29, v33
	ds_bpermute_b32 v2, v29, v35
	;; [unrolled: 1-line block ×4, first 2 shown]
	v_lshrrev_b32_e32 v5, 2, v28
	v_and_b32_e32 v12, 0x3c3, v0
	s_mov_b32 s0, exec_lo
	s_waitcnt lgkmcnt(0)
	s_barrier
	buffer_gl0_inv
	v_add_f32_e32 v1, v33, v1
	v_add_f32_e32 v2, v35, v2
	;; [unrolled: 1-line block ×4, first 2 shown]
	v_and_b32_e32 v4, 28, v28
	ds_bpermute_b32 v3, v30, v1
	ds_bpermute_b32 v9, v30, v2
	;; [unrolled: 1-line block ×4, first 2 shown]
	v_add_nc_u32_e32 v6, 0x60, v4
	s_waitcnt lgkmcnt(3)
	v_add_f32_e32 v4, v1, v3
	s_waitcnt lgkmcnt(2)
	v_add_f32_e32 v3, v2, v9
	;; [unrolled: 2-line block ×4, first 2 shown]
	v_cmpx_eq_u32_e32 64, v12
	s_cbranch_execz .LBB153_37
; %bb.36:
	v_lshl_add_u32 v7, v27, 7, v6
	v_add_nc_u32_e32 v8, 0xffffff00, v7
	v_add_nc_u32_e32 v9, 0xffffff20, v7
	;; [unrolled: 1-line block ×4, first 2 shown]
	ds_write_b32 v8, v4
	ds_write_b32 v9, v3
	ds_write_b32 v10, v2
	ds_write_b32 v7, v1
.LBB153_37:
	s_or_b32 exec_lo, exec_lo, s0
	v_and_b32_e32 v7, 0x3e0, v0
	v_lshlrev_b32_e32 v5, 2, v5
	s_mov_b32 s1, exec_lo
	v_cmp_eq_u32_e32 vcc_lo, 0, v31
	s_waitcnt lgkmcnt(0)
	v_lshlrev_b32_e32 v7, 2, v7
	s_barrier
	buffer_gl0_inv
	v_add3_u32 v5, 0x60, v7, v5
	v_cmpx_gt_u32_e32 64, v0
	s_cbranch_execz .LBB153_44
; %bb.38:
	s_and_saveexec_b32 s0, vcc_lo
	s_cbranch_execnz .LBB153_56
; %bb.39:
	s_or_b32 exec_lo, exec_lo, s0
	s_and_saveexec_b32 s0, vcc_lo
	s_cbranch_execnz .LBB153_57
.LBB153_40:
	s_or_b32 exec_lo, exec_lo, s0
	s_and_saveexec_b32 s0, vcc_lo
	s_cbranch_execnz .LBB153_58
.LBB153_41:
	s_or_b32 exec_lo, exec_lo, s0
	s_and_saveexec_b32 s0, vcc_lo
	s_cbranch_execz .LBB153_43
.LBB153_42:
	ds_read_b32 v7, v5 offset:96
	s_waitcnt lgkmcnt(0)
	v_add_f32_e32 v1, v1, v7
.LBB153_43:
	s_or_b32 exec_lo, exec_lo, s0
.LBB153_44:
	s_or_b32 exec_lo, exec_lo, s1
	v_and_b32_e32 v7, 0x3e3, v0
	s_mov_b32 s1, exec_lo
	s_barrier
	buffer_gl0_inv
	v_cmpx_eq_u32_e32 32, v7
	s_cbranch_execz .LBB153_46
; %bb.45:
	ds_write2_b32 v6, v4, v3 offset1:8
	ds_write2_b32 v6, v2, v1 offset0:16 offset1:24
.LBB153_46:
	s_or_b32 exec_lo, exec_lo, s1
	s_mov_b32 s1, exec_lo
	s_waitcnt lgkmcnt(0)
	s_barrier
	buffer_gl0_inv
	v_cmpx_gt_u32_e32 32, v0
	s_cbranch_execz .LBB153_53
; %bb.47:
	s_and_saveexec_b32 s0, vcc_lo
	s_cbranch_execnz .LBB153_59
; %bb.48:
	s_or_b32 exec_lo, exec_lo, s0
	s_and_saveexec_b32 s0, vcc_lo
	s_cbranch_execnz .LBB153_60
.LBB153_49:
	s_or_b32 exec_lo, exec_lo, s0
	s_and_saveexec_b32 s0, vcc_lo
	s_cbranch_execnz .LBB153_61
.LBB153_50:
	s_or_b32 exec_lo, exec_lo, s0
	s_and_saveexec_b32 s0, vcc_lo
	s_cbranch_execz .LBB153_52
.LBB153_51:
	ds_read_b32 v5, v5 offset:96
	s_waitcnt lgkmcnt(0)
	v_add_f32_e32 v1, v1, v5
.LBB153_52:
	s_or_b32 exec_lo, exec_lo, s0
.LBB153_53:
	s_or_b32 exec_lo, exec_lo, s1
	s_barrier
	buffer_gl0_inv
	s_mov_b32 s0, exec_lo
	v_cmpx_eq_u32_e32 0, v7
	s_cbranch_execz .LBB153_55
; %bb.54:
	v_bfe_u32 v5, v4, 16, 1
	s_mul_i32 s0, s10, s7
	v_or_b32_e32 v6, 0x400000, v4
	s_mul_i32 s0, s0, s9
	v_bfe_u32 v7, v3, 16, 1
	v_add3_u32 v5, v5, v4, 0x7fff
	v_cmp_u_f32_e32 vcc_lo, v4, v4
	s_lshl_b32 s0, s0, 5
	v_bfe_u32 v8, v2, 16, 1
	s_ashr_i32 s1, s0, 31
	s_mul_i32 s2, s7, s6
	s_lshl_b64 s[0:1], s[0:1], 1
	v_cndmask_b32_e32 v4, v5, v6, vcc_lo
	v_add3_u32 v6, v7, v3, 0x7fff
	v_or_b32_e32 v7, 0x400000, v3
	v_cmp_u_f32_e32 vcc_lo, v3, v3
	s_add_u32 s4, s16, s0
	s_addc_u32 s5, s17, s1
	s_ashr_i32 s3, s2, 31
	v_bfe_u32 v5, v1, 16, 1
	s_lshl_b64 s[0:1], s[2:3], 1
	v_add3_u32 v8, v8, v2, 0x7fff
	v_or_b32_e32 v9, 0x400000, v2
	v_cndmask_b32_e32 v3, v6, v7, vcc_lo
	v_cmp_u_f32_e32 vcc_lo, v2, v2
	s_add_u32 s2, s4, s0
	s_addc_u32 s3, s5, s1
	s_lshl_b32 s0, s8, 5
	v_add3_u32 v5, v5, v1, 0x7fff
	s_ashr_i32 s1, s0, 31
	v_or_b32_e32 v10, 0x400000, v1
	v_cndmask_b32_e32 v2, v8, v9, vcc_lo
	v_cmp_u_f32_e32 vcc_lo, v1, v1
	v_lshrrev_b32_e32 v0, 1, v0
	s_lshl_b64 s[0:1], s[0:1], 1
	s_add_u32 s0, s2, s0
	s_addc_u32 s1, s3, s1
	v_cndmask_b32_e32 v1, v5, v10, vcc_lo
	global_store_short_d16_hi v0, v4, s[0:1]
	global_store_short_d16_hi v0, v3, s[0:1] offset:16
	global_store_short_d16_hi v0, v2, s[0:1] offset:32
	;; [unrolled: 1-line block ×3, first 2 shown]
.LBB153_55:
	s_endpgm
.LBB153_56:
	ds_read_b32 v7, v5
	s_waitcnt lgkmcnt(0)
	v_add_f32_e32 v4, v4, v7
	s_or_b32 exec_lo, exec_lo, s0
	s_and_saveexec_b32 s0, vcc_lo
	s_cbranch_execz .LBB153_40
.LBB153_57:
	ds_read_b32 v7, v5 offset:32
	s_waitcnt lgkmcnt(0)
	v_add_f32_e32 v3, v3, v7
	s_or_b32 exec_lo, exec_lo, s0
	s_and_saveexec_b32 s0, vcc_lo
	s_cbranch_execz .LBB153_41
.LBB153_58:
	ds_read_b32 v7, v5 offset:64
	s_waitcnt lgkmcnt(0)
	v_add_f32_e32 v2, v2, v7
	s_or_b32 exec_lo, exec_lo, s0
	s_and_saveexec_b32 s0, vcc_lo
	s_cbranch_execnz .LBB153_42
	s_branch .LBB153_43
.LBB153_59:
	ds_read_b32 v6, v5
	s_waitcnt lgkmcnt(0)
	v_add_f32_e32 v4, v4, v6
	s_or_b32 exec_lo, exec_lo, s0
	s_and_saveexec_b32 s0, vcc_lo
	s_cbranch_execz .LBB153_49
.LBB153_60:
	ds_read_b32 v6, v5 offset:32
	s_waitcnt lgkmcnt(0)
	v_add_f32_e32 v3, v3, v6
	s_or_b32 exec_lo, exec_lo, s0
	s_and_saveexec_b32 s0, vcc_lo
	s_cbranch_execz .LBB153_50
.LBB153_61:
	ds_read_b32 v6, v5 offset:64
	s_waitcnt lgkmcnt(0)
	v_add_f32_e32 v2, v2, v6
	s_or_b32 exec_lo, exec_lo, s0
	s_and_saveexec_b32 s0, vcc_lo
	s_cbranch_execnz .LBB153_51
	s_branch .LBB153_52
	.section	.rodata,"a",@progbits
	.p2align	6, 0x0
	.amdhsa_kernel _ZN4vllm25paged_attention_v1_kernelI14__hip_bfloat16S1_Li32ELi32ELi128ELNS_18Fp8KVCacheDataTypeE0ELb0EEEvPT_PKS3_PKT0_S9_ifPKiSB_iPKfiiiSD_SD_iiiii
		.amdhsa_group_segment_fixed_size 96
		.amdhsa_private_segment_fixed_size 0
		.amdhsa_kernarg_size 384
		.amdhsa_user_sgpr_count 6
		.amdhsa_user_sgpr_private_segment_buffer 1
		.amdhsa_user_sgpr_dispatch_ptr 0
		.amdhsa_user_sgpr_queue_ptr 0
		.amdhsa_user_sgpr_kernarg_segment_ptr 1
		.amdhsa_user_sgpr_dispatch_id 0
		.amdhsa_user_sgpr_flat_scratch_init 0
		.amdhsa_user_sgpr_private_segment_size 0
		.amdhsa_wavefront_size32 1
		.amdhsa_uses_dynamic_stack 0
		.amdhsa_system_sgpr_private_segment_wavefront_offset 0
		.amdhsa_system_sgpr_workgroup_id_x 1
		.amdhsa_system_sgpr_workgroup_id_y 1
		.amdhsa_system_sgpr_workgroup_id_z 1
		.amdhsa_system_sgpr_workgroup_info 0
		.amdhsa_system_vgpr_workitem_id 0
		.amdhsa_next_free_vgpr 80
		.amdhsa_next_free_sgpr 28
		.amdhsa_reserve_vcc 1
		.amdhsa_reserve_flat_scratch 0
		.amdhsa_float_round_mode_32 0
		.amdhsa_float_round_mode_16_64 0
		.amdhsa_float_denorm_mode_32 3
		.amdhsa_float_denorm_mode_16_64 3
		.amdhsa_dx10_clamp 1
		.amdhsa_ieee_mode 1
		.amdhsa_fp16_overflow 0
		.amdhsa_workgroup_processor_mode 1
		.amdhsa_memory_ordered 1
		.amdhsa_forward_progress 1
		.amdhsa_shared_vgpr_count 0
		.amdhsa_exception_fp_ieee_invalid_op 0
		.amdhsa_exception_fp_denorm_src 0
		.amdhsa_exception_fp_ieee_div_zero 0
		.amdhsa_exception_fp_ieee_overflow 0
		.amdhsa_exception_fp_ieee_underflow 0
		.amdhsa_exception_fp_ieee_inexact 0
		.amdhsa_exception_int_div_zero 0
	.end_amdhsa_kernel
	.section	.text._ZN4vllm25paged_attention_v1_kernelI14__hip_bfloat16S1_Li32ELi32ELi128ELNS_18Fp8KVCacheDataTypeE0ELb0EEEvPT_PKS3_PKT0_S9_ifPKiSB_iPKfiiiSD_SD_iiiii,"axG",@progbits,_ZN4vllm25paged_attention_v1_kernelI14__hip_bfloat16S1_Li32ELi32ELi128ELNS_18Fp8KVCacheDataTypeE0ELb0EEEvPT_PKS3_PKT0_S9_ifPKiSB_iPKfiiiSD_SD_iiiii,comdat
.Lfunc_end153:
	.size	_ZN4vllm25paged_attention_v1_kernelI14__hip_bfloat16S1_Li32ELi32ELi128ELNS_18Fp8KVCacheDataTypeE0ELb0EEEvPT_PKS3_PKT0_S9_ifPKiSB_iPKfiiiSD_SD_iiiii, .Lfunc_end153-_ZN4vllm25paged_attention_v1_kernelI14__hip_bfloat16S1_Li32ELi32ELi128ELNS_18Fp8KVCacheDataTypeE0ELb0EEEvPT_PKS3_PKT0_S9_ifPKiSB_iPKfiiiSD_SD_iiiii
                                        ; -- End function
	.set _ZN4vllm25paged_attention_v1_kernelI14__hip_bfloat16S1_Li32ELi32ELi128ELNS_18Fp8KVCacheDataTypeE0ELb0EEEvPT_PKS3_PKT0_S9_ifPKiSB_iPKfiiiSD_SD_iiiii.num_vgpr, 80
	.set _ZN4vllm25paged_attention_v1_kernelI14__hip_bfloat16S1_Li32ELi32ELi128ELNS_18Fp8KVCacheDataTypeE0ELb0EEEvPT_PKS3_PKT0_S9_ifPKiSB_iPKfiiiSD_SD_iiiii.num_agpr, 0
	.set _ZN4vllm25paged_attention_v1_kernelI14__hip_bfloat16S1_Li32ELi32ELi128ELNS_18Fp8KVCacheDataTypeE0ELb0EEEvPT_PKS3_PKT0_S9_ifPKiSB_iPKfiiiSD_SD_iiiii.numbered_sgpr, 28
	.set _ZN4vllm25paged_attention_v1_kernelI14__hip_bfloat16S1_Li32ELi32ELi128ELNS_18Fp8KVCacheDataTypeE0ELb0EEEvPT_PKS3_PKT0_S9_ifPKiSB_iPKfiiiSD_SD_iiiii.num_named_barrier, 0
	.set _ZN4vllm25paged_attention_v1_kernelI14__hip_bfloat16S1_Li32ELi32ELi128ELNS_18Fp8KVCacheDataTypeE0ELb0EEEvPT_PKS3_PKT0_S9_ifPKiSB_iPKfiiiSD_SD_iiiii.private_seg_size, 0
	.set _ZN4vllm25paged_attention_v1_kernelI14__hip_bfloat16S1_Li32ELi32ELi128ELNS_18Fp8KVCacheDataTypeE0ELb0EEEvPT_PKS3_PKT0_S9_ifPKiSB_iPKfiiiSD_SD_iiiii.uses_vcc, 1
	.set _ZN4vllm25paged_attention_v1_kernelI14__hip_bfloat16S1_Li32ELi32ELi128ELNS_18Fp8KVCacheDataTypeE0ELb0EEEvPT_PKS3_PKT0_S9_ifPKiSB_iPKfiiiSD_SD_iiiii.uses_flat_scratch, 0
	.set _ZN4vllm25paged_attention_v1_kernelI14__hip_bfloat16S1_Li32ELi32ELi128ELNS_18Fp8KVCacheDataTypeE0ELb0EEEvPT_PKS3_PKT0_S9_ifPKiSB_iPKfiiiSD_SD_iiiii.has_dyn_sized_stack, 0
	.set _ZN4vllm25paged_attention_v1_kernelI14__hip_bfloat16S1_Li32ELi32ELi128ELNS_18Fp8KVCacheDataTypeE0ELb0EEEvPT_PKS3_PKT0_S9_ifPKiSB_iPKfiiiSD_SD_iiiii.has_recursion, 0
	.set _ZN4vllm25paged_attention_v1_kernelI14__hip_bfloat16S1_Li32ELi32ELi128ELNS_18Fp8KVCacheDataTypeE0ELb0EEEvPT_PKS3_PKT0_S9_ifPKiSB_iPKfiiiSD_SD_iiiii.has_indirect_call, 0
	.section	.AMDGPU.csdata,"",@progbits
; Kernel info:
; codeLenInByte = 6724
; TotalNumSgprs: 30
; NumVgprs: 80
; ScratchSize: 0
; MemoryBound: 0
; FloatMode: 240
; IeeeMode: 1
; LDSByteSize: 96 bytes/workgroup (compile time only)
; SGPRBlocks: 0
; VGPRBlocks: 9
; NumSGPRsForWavesPerEU: 30
; NumVGPRsForWavesPerEU: 80
; Occupancy: 12
; WaveLimiterHint : 1
; COMPUTE_PGM_RSRC2:SCRATCH_EN: 0
; COMPUTE_PGM_RSRC2:USER_SGPR: 6
; COMPUTE_PGM_RSRC2:TRAP_HANDLER: 0
; COMPUTE_PGM_RSRC2:TGID_X_EN: 1
; COMPUTE_PGM_RSRC2:TGID_Y_EN: 1
; COMPUTE_PGM_RSRC2:TGID_Z_EN: 1
; COMPUTE_PGM_RSRC2:TIDIG_COMP_CNT: 0
	.section	.text._ZN4vllm25paged_attention_v1_kernelI14__hip_bfloat16S1_Li64ELi32ELi128ELNS_18Fp8KVCacheDataTypeE0ELb0EEEvPT_PKS3_PKT0_S9_ifPKiSB_iPKfiiiSD_SD_iiiii,"axG",@progbits,_ZN4vllm25paged_attention_v1_kernelI14__hip_bfloat16S1_Li64ELi32ELi128ELNS_18Fp8KVCacheDataTypeE0ELb0EEEvPT_PKS3_PKT0_S9_ifPKiSB_iPKfiiiSD_SD_iiiii,comdat
	.protected	_ZN4vllm25paged_attention_v1_kernelI14__hip_bfloat16S1_Li64ELi32ELi128ELNS_18Fp8KVCacheDataTypeE0ELb0EEEvPT_PKS3_PKT0_S9_ifPKiSB_iPKfiiiSD_SD_iiiii ; -- Begin function _ZN4vllm25paged_attention_v1_kernelI14__hip_bfloat16S1_Li64ELi32ELi128ELNS_18Fp8KVCacheDataTypeE0ELb0EEEvPT_PKS3_PKT0_S9_ifPKiSB_iPKfiiiSD_SD_iiiii
	.globl	_ZN4vllm25paged_attention_v1_kernelI14__hip_bfloat16S1_Li64ELi32ELi128ELNS_18Fp8KVCacheDataTypeE0ELb0EEEvPT_PKS3_PKT0_S9_ifPKiSB_iPKfiiiSD_SD_iiiii
	.p2align	8
	.type	_ZN4vllm25paged_attention_v1_kernelI14__hip_bfloat16S1_Li64ELi32ELi128ELNS_18Fp8KVCacheDataTypeE0ELb0EEEvPT_PKS3_PKT0_S9_ifPKiSB_iPKfiiiSD_SD_iiiii,@function
_ZN4vllm25paged_attention_v1_kernelI14__hip_bfloat16S1_Li64ELi32ELi128ELNS_18Fp8KVCacheDataTypeE0ELb0EEEvPT_PKS3_PKT0_S9_ifPKiSB_iPKfiiiSD_SD_iiiii: ; @_ZN4vllm25paged_attention_v1_kernelI14__hip_bfloat16S1_Li64ELi32ELi128ELNS_18Fp8KVCacheDataTypeE0ELb0EEEvPT_PKS3_PKT0_S9_ifPKiSB_iPKfiiiSD_SD_iiiii
; %bb.0:
	s_clause 0x2
	s_load_dword s9, s[4:5], 0x80
	s_load_dwordx2 s[0:1], s[4:5], 0x30
	s_load_dwordx2 s[2:3], s[4:5], 0x20
	s_mov_b32 s10, s7
	s_ashr_i32 s11, s7, 31
	s_mov_b32 s24, 0
	s_lshl_b64 s[12:13], s[10:11], 2
	s_waitcnt lgkmcnt(0)
	s_add_u32 s0, s0, s12
	s_addc_u32 s1, s1, s13
	s_abs_i32 s7, s2
	s_abs_i32 s13, s9
	v_cvt_f32_u32_e32 v1, s7
	s_sub_i32 s12, 0, s7
	s_xor_b32 s2, s9, s2
	s_ashr_i32 s2, s2, 31
	v_rcp_iflag_f32_e32 v1, v1
	v_mul_f32_e32 v1, 0x4f7ffffe, v1
	v_cvt_u32_f32_e32 v1, v1
	v_readfirstlane_b32 s11, v1
	s_mul_i32 s12, s12, s11
	s_mul_hi_u32 s12, s11, s12
	s_add_i32 s11, s11, s12
	s_mul_hi_u32 s11, s13, s11
	s_mul_i32 s12, s11, s7
	s_sub_i32 s12, s13, s12
	s_add_i32 s13, s11, 1
	s_sub_i32 s14, s12, s7
	s_cmp_ge_u32 s12, s7
	s_cselect_b32 s11, s13, s11
	s_cselect_b32 s12, s14, s12
	s_add_i32 s13, s11, 1
	s_cmp_ge_u32 s12, s7
	s_cselect_b32 s7, s13, s11
	s_load_dwordx2 s[12:13], s[4:5], 0x40
	s_xor_b32 s7, s7, s2
	s_abs_i32 s16, s6
	s_sub_i32 s17, s7, s2
	s_abs_i32 s2, s17
	v_cvt_f32_u32_e32 v1, s2
	s_sub_i32 s11, 0, s2
	v_rcp_iflag_f32_e32 v1, v1
	v_mul_f32_e32 v1, 0x4f7ffffe, v1
	v_cvt_u32_f32_e32 v1, v1
	v_readfirstlane_b32 s7, v1
	s_mul_i32 s11, s11, s7
	s_mul_hi_u32 s11, s7, s11
	s_add_i32 s7, s7, s11
	s_waitcnt lgkmcnt(0)
	s_cmp_eq_u64 s[12:13], 0
	s_mul_hi_u32 s22, s16, s7
	s_cbranch_scc1 .LBB154_2
; %bb.1:
	s_ashr_i32 s7, s6, 31
	s_lshl_b64 s[14:15], s[6:7], 2
	s_add_u32 s12, s12, s14
	s_addc_u32 s13, s13, s15
	s_load_dword s24, s[12:13], 0x0
.LBB154_2:
	s_load_dword s11, s[0:1], 0x0
	s_clause 0x1
	s_load_dwordx2 s[18:19], s[4:5], 0x28
	s_load_dwordx4 s[12:15], s[4:5], 0x48
	v_lshlrev_b32_e32 v35, 4, v0
	s_ashr_i32 s0, s6, 31
	s_ashr_i32 s1, s17, 31
	s_lshl_b32 s6, s6, 6
	s_waitcnt lgkmcnt(0)
	s_mov_b32 s15, exec_lo
	v_cmpx_gt_u32_e32 8, v0
	s_cbranch_execz .LBB154_4
; %bb.3:
	s_load_dwordx2 s[20:21], s[4:5], 0x8
	s_mul_i32 s26, s12, s10
	s_ashr_i32 s27, s26, 31
	s_lshl_b64 s[26:27], s[26:27], 1
	s_waitcnt lgkmcnt(0)
	s_add_u32 s12, s20, s26
	s_addc_u32 s17, s21, s27
	s_ashr_i32 s7, s6, 31
	s_lshl_b64 s[20:21], s[6:7], 1
	s_add_u32 s20, s12, s20
	s_addc_u32 s21, s17, s21
	global_load_dwordx4 v[1:4], v35, s[20:21]
	s_waitcnt vmcnt(0)
	ds_write_b128 v35, v[1:4]
.LBB154_4:
	s_or_b32 exec_lo, exec_lo, s15
	s_add_i32 s7, s11, 31
	s_xor_b32 s0, s0, s1
	s_ashr_i32 s12, s7, 31
	s_load_dword s15, s[4:5], 0x38
	s_lshr_b32 s1, s12, 27
	s_mul_i32 s12, s22, s2
	s_add_i32 s7, s7, s1
	s_sub_i32 s1, s16, s12
	s_ashr_i32 s12, s7, 5
	s_clause 0x2
	s_load_dwordx2 s[16:17], s[4:5], 0x0
	s_load_dwordx2 s[20:21], s[4:5], 0x18
	s_load_dword s7, s[4:5], 0x88
	s_add_i32 s23, s22, 1
	s_sub_i32 s25, s1, s2
	s_cmp_ge_u32 s1, s2
	v_lshrrev_b32_e32 v43, 5, v0
	s_cselect_b32 s22, s23, s22
	s_cselect_b32 s1, s25, s1
	s_add_i32 s23, s22, 1
	s_cmp_ge_u32 s1, s2
	v_and_b32_e32 v44, 31, v0
	s_cselect_b32 s1, s23, s22
	v_mov_b32_e32 v103, 0xff7fffff
	s_xor_b32 s1, s1, s0
	v_lshrrev_b32_e32 v36, 3, v0
	s_sub_i32 s1, s1, s0
	v_cmp_gt_i32_e64 s0, s12, v43
	v_lshlrev_b32_e32 v37, 2, v44
	s_waitcnt lgkmcnt(0)
	s_mul_i32 s22, s15, s10
	s_mul_i32 s14, s1, s14
	s_ashr_i32 s23, s22, 31
	s_barrier
	buffer_gl0_inv
	s_and_saveexec_b32 s25, s0
	s_cbranch_execz .LBB154_8
; %bb.5:
	v_mov_b32_e32 v29, 0
	s_load_dwordx2 s[4:5], s[4:5], 0x10
	s_ashr_i32 s15, s14, 31
	v_cmp_neq_f32_e64 vcc_lo, s24, 0
	s_lshl_b64 s[26:27], s[14:15], 1
	ds_read_b128 v[1:4], v29
	ds_read_b128 v[5:8], v29 offset:16
	ds_read_b128 v[9:12], v29 offset:32
	;; [unrolled: 1-line block ×6, first 2 shown]
	v_lshl_or_b32 v108, v43, 5, v44
	v_mov_b32_e32 v103, 0xff7fffff
	v_mov_b32_e32 v109, v43
	s_waitcnt lgkmcnt(0)
	v_and_b32_e32 v38, 0xffff0000, v1
	v_lshlrev_b32_e32 v39, 16, v1
	v_and_b32_e32 v52, 0xffff0000, v2
	v_lshlrev_b32_e32 v53, 16, v2
	;; [unrolled: 2-line block ×4, first 2 shown]
	ds_read_b128 v[1:4], v29 offset:112
	s_add_u32 s1, s4, s26
	s_addc_u32 s2, s5, s27
	s_lshl_b64 s[26:27], s[22:23], 2
	s_sub_i32 s4, 1, s11
	s_add_u32 s5, s18, s26
	s_addc_u32 s15, s19, s27
	v_and_b32_e32 v40, 0xffff0000, v5
	v_lshlrev_b32_e32 v41, 16, v5
	v_and_b32_e32 v42, 0xffff0000, v9
	v_lshlrev_b32_e32 v45, 16, v9
	;; [unrolled: 2-line block ×6, first 2 shown]
	v_and_b32_e32 v56, 0xffff0000, v10
	s_waitcnt lgkmcnt(0)
	v_and_b32_e32 v96, 0xffff0000, v1
	v_lshlrev_b32_e32 v97, 16, v1
	v_lshl_or_b32 v1, v43, 7, v37
	v_and_b32_e32 v98, 0xffff0000, v2
	v_lshlrev_b32_e32 v99, 16, v2
	v_lshlrev_b32_e32 v2, 4, v44
	;; [unrolled: 1-line block ×3, first 2 shown]
	v_add_nc_u32_e32 v105, 0xa0, v1
	v_and_b32_e32 v1, 0x7c, v36
	v_and_b32_e32 v58, 0xffff0000, v14
	v_add_co_u32 v106, s1, s1, v2
	v_lshlrev_b32_e32 v59, 16, v14
	v_add_co_u32 v33, s5, s5, v1
	v_and_b32_e32 v60, 0xffff0000, v18
	v_lshlrev_b32_e32 v61, 16, v18
	v_and_b32_e32 v62, 0xffff0000, v22
	v_lshlrev_b32_e32 v63, 16, v22
	;; [unrolled: 2-line block ×18, first 2 shown]
	v_add_co_ci_u32_e64 v34, null, s15, 0, s5
	v_add_co_ci_u32_e64 v107, null, s2, 0, s1
	s_mov_b32 s15, s13
	s_mov_b32 s5, 0
.LBB154_6:                              ; =>This Inner Loop Header: Depth=1
	global_load_dword v1, v[33:34], off
	v_add_nc_u32_e32 v3, s4, v108
	v_add_nc_u32_e32 v109, 4, v109
	v_cvt_f32_i32_e32 v3, v3
	v_mul_f32_e32 v3, s24, v3
	v_cndmask_b32_e32 v110, 0, v3, vcc_lo
	s_waitcnt vmcnt(0)
	v_mad_i64_i32 v[1:2], null, v1, s15, 0
	v_lshlrev_b64 v[1:2], 1, v[1:2]
	v_add_co_u32 v1, s1, v106, v1
	v_add_co_ci_u32_e64 v2, null, v107, v2, s1
	v_cmp_gt_i32_e64 s1, s11, v108
	v_add_nc_u32_e32 v108, 0x80, v108
	s_clause 0x3
	global_load_dwordx4 v[29:32], v[1:2], off
	global_load_dwordx4 v[25:28], v[1:2], off offset:512
	global_load_dwordx4 v[21:24], v[1:2], off offset:1024
	;; [unrolled: 1-line block ×3, first 2 shown]
	v_add_co_u32 v1, s2, 0x800, v1
	v_add_co_ci_u32_e64 v2, null, 0, v2, s2
	s_clause 0x3
	global_load_dwordx4 v[13:16], v[1:2], off
	global_load_dwordx4 v[9:12], v[1:2], off offset:512
	global_load_dwordx4 v[5:8], v[1:2], off offset:1024
	;; [unrolled: 1-line block ×3, first 2 shown]
	s_waitcnt vmcnt(7)
	v_lshlrev_b32_e32 v111, 16, v29
	v_and_b32_e32 v112, 0xffff0000, v29
	s_waitcnt vmcnt(6)
	v_and_b32_e32 v29, 0xffff0000, v25
	v_lshlrev_b32_e32 v25, 16, v25
	v_mul_f32_e32 v29, v40, v29
	v_mul_f32_e32 v25, v41, v25
	v_fmac_f32_e32 v29, v38, v112
	v_fmac_f32_e32 v25, v39, v111
	s_waitcnt vmcnt(5)
	v_and_b32_e32 v111, 0xffff0000, v21
	v_lshlrev_b32_e32 v21, 16, v21
	v_fmac_f32_e32 v29, v42, v111
	v_fmac_f32_e32 v25, v45, v21
	s_waitcnt vmcnt(4)
	v_lshlrev_b32_e32 v21, 16, v17
	v_and_b32_e32 v17, 0xffff0000, v17
	v_fmac_f32_e32 v25, v47, v21
	v_fmac_f32_e32 v29, v46, v17
	s_waitcnt vmcnt(3)
	v_and_b32_e32 v17, 0xffff0000, v13
	v_lshlrev_b32_e32 v13, 16, v13
	v_fmac_f32_e32 v29, v48, v17
	v_fmac_f32_e32 v25, v49, v13
	s_waitcnt vmcnt(2)
	v_lshlrev_b32_e32 v13, 16, v9
	v_and_b32_e32 v9, 0xffff0000, v9
	v_fmac_f32_e32 v25, v51, v13
	v_fmac_f32_e32 v29, v50, v9
	s_waitcnt vmcnt(1)
	v_and_b32_e32 v9, 0xffff0000, v5
	v_lshlrev_b32_e32 v5, 16, v5
	v_and_b32_e32 v13, 0xffff0000, v30
	v_fmac_f32_e32 v29, v88, v9
	v_fmac_f32_e32 v25, v89, v5
	s_waitcnt vmcnt(0)
	v_lshlrev_b32_e32 v5, 16, v1
	v_and_b32_e32 v1, 0xffff0000, v1
	v_lshlrev_b32_e32 v9, 16, v30
	v_fmac_f32_e32 v25, v97, v5
	v_fmac_f32_e32 v29, v96, v1
	v_and_b32_e32 v5, 0xffff0000, v26
	v_lshlrev_b32_e32 v1, 16, v26
	v_mul_f32_e32 v5, v54, v5
	v_mul_f32_e32 v1, v55, v1
	v_fmac_f32_e32 v5, v52, v13
	v_fmac_f32_e32 v1, v53, v9
	v_and_b32_e32 v9, 0xffff0000, v22
	v_lshlrev_b32_e32 v13, 16, v22
	v_fmac_f32_e32 v5, v56, v9
	v_fmac_f32_e32 v1, v57, v13
	v_lshlrev_b32_e32 v9, 16, v18
	v_and_b32_e32 v13, 0xffff0000, v18
	v_fmac_f32_e32 v1, v59, v9
	v_fmac_f32_e32 v5, v58, v13
	v_and_b32_e32 v9, 0xffff0000, v14
	v_lshlrev_b32_e32 v13, 16, v14
	v_fmac_f32_e32 v5, v60, v9
	v_fmac_f32_e32 v1, v61, v13
	v_lshlrev_b32_e32 v9, 16, v10
	v_and_b32_e32 v10, 0xffff0000, v10
	v_fmac_f32_e32 v1, v63, v9
	v_fmac_f32_e32 v5, v62, v10
	v_and_b32_e32 v9, 0xffff0000, v6
	v_lshlrev_b32_e32 v6, 16, v6
	v_and_b32_e32 v10, 0xffff0000, v31
	v_fmac_f32_e32 v5, v90, v9
	v_fmac_f32_e32 v1, v91, v6
	v_lshlrev_b32_e32 v6, 16, v2
	v_and_b32_e32 v2, 0xffff0000, v2
	v_lshlrev_b32_e32 v9, 16, v31
	v_fmac_f32_e32 v1, v99, v6
	v_fmac_f32_e32 v5, v98, v2
	v_and_b32_e32 v6, 0xffff0000, v27
	v_lshlrev_b32_e32 v2, 16, v27
	v_mul_f32_e32 v6, v68, v6
	v_mul_f32_e32 v2, v69, v2
	v_fmac_f32_e32 v6, v64, v10
	v_fmac_f32_e32 v2, v65, v9
	v_and_b32_e32 v9, 0xffff0000, v23
	v_lshlrev_b32_e32 v10, 16, v23
	v_fmac_f32_e32 v6, v72, v9
	v_fmac_f32_e32 v2, v73, v10
	v_lshlrev_b32_e32 v9, 16, v19
	v_and_b32_e32 v10, 0xffff0000, v19
	v_fmac_f32_e32 v2, v77, v9
	v_fmac_f32_e32 v6, v76, v10
	v_and_b32_e32 v9, 0xffff0000, v15
	v_lshlrev_b32_e32 v10, 16, v15
	v_fmac_f32_e32 v6, v80, v9
	v_fmac_f32_e32 v2, v81, v10
	v_lshlrev_b32_e32 v9, 16, v11
	v_and_b32_e32 v10, 0xffff0000, v11
	v_fmac_f32_e32 v2, v85, v9
	v_fmac_f32_e32 v6, v84, v10
	v_and_b32_e32 v9, 0xffff0000, v7
	v_lshlrev_b32_e32 v7, 16, v7
	v_and_b32_e32 v10, 0xffff0000, v32
	v_fmac_f32_e32 v6, v92, v9
	v_fmac_f32_e32 v2, v93, v7
	v_lshlrev_b32_e32 v7, 16, v3
	v_and_b32_e32 v3, 0xffff0000, v3
	v_lshlrev_b32_e32 v9, 16, v32
	v_fmac_f32_e32 v2, v101, v7
	v_fmac_f32_e32 v6, v100, v3
	v_and_b32_e32 v7, 0xffff0000, v28
	v_lshlrev_b32_e32 v3, 16, v28
	v_mul_f32_e32 v7, v70, v7
	v_mul_f32_e32 v3, v71, v3
	v_fmac_f32_e32 v7, v66, v10
	v_fmac_f32_e32 v3, v67, v9
	v_and_b32_e32 v9, 0xffff0000, v24
	v_lshlrev_b32_e32 v10, 16, v24
	v_fmac_f32_e32 v7, v74, v9
	v_fmac_f32_e32 v3, v75, v10
	v_lshlrev_b32_e32 v9, 16, v20
	v_and_b32_e32 v10, 0xffff0000, v20
	v_fmac_f32_e32 v3, v79, v9
	v_fmac_f32_e32 v7, v78, v10
	v_and_b32_e32 v9, 0xffff0000, v16
	v_lshlrev_b32_e32 v10, 16, v16
	v_fmac_f32_e32 v7, v82, v9
	v_fmac_f32_e32 v3, v83, v10
	v_lshlrev_b32_e32 v9, 16, v12
	v_and_b32_e32 v10, 0xffff0000, v12
	;; [unrolled: 8-line block ×3, first 2 shown]
	v_fmac_f32_e32 v3, v104, v8
	v_fmac_f32_e32 v7, v102, v4
	v_add_f32_e32 v4, v25, v29
	v_add_f32_e32 v1, v4, v1
	;; [unrolled: 1-line block ×4, first 2 shown]
	v_max_f32_e32 v2, v103, v103
	v_add_f32_e32 v1, v6, v1
	v_add_f32_e32 v1, v3, v1
	;; [unrolled: 1-line block ×3, first 2 shown]
	v_fmac_f32_e32 v110, s3, v1
	v_max_f32_e32 v2, v2, v110
	v_cndmask_b32_e64 v1, 0, v110, s1
	v_cndmask_b32_e64 v103, v103, v2, s1
	v_add_co_u32 v33, s1, v33, 16
	v_add_co_ci_u32_e64 v34, null, 0, v34, s1
	v_cmp_le_i32_e64 s1, s12, v109
	ds_write_b32 v105, v1
	v_add_nc_u32_e32 v105, 0x200, v105
	s_or_b32 s5, s1, s5
	s_andn2_b32 exec_lo, exec_lo, s5
	s_cbranch_execnz .LBB154_6
; %bb.7:
	s_or_b32 exec_lo, exec_lo, s5
.LBB154_8:
	s_or_b32 exec_lo, exec_lo, s25
	v_mbcnt_lo_u32_b32 v2, -1, 0
	v_max_f32_e32 v5, v103, v103
	v_xor_b32_e32 v1, 16, v2
	v_xor_b32_e32 v4, 8, v2
	v_cmp_gt_i32_e32 vcc_lo, 32, v1
	v_cndmask_b32_e32 v1, v2, v1, vcc_lo
	v_cmp_gt_i32_e32 vcc_lo, 32, v4
	v_lshlrev_b32_e32 v1, 2, v1
	v_cndmask_b32_e32 v4, v2, v4, vcc_lo
	ds_bpermute_b32 v3, v1, v103
	s_waitcnt lgkmcnt(0)
	v_max_f32_e32 v6, v3, v3
	v_lshlrev_b32_e32 v3, 2, v4
	v_max_f32_e32 v5, v5, v6
	v_xor_b32_e32 v6, 4, v2
	ds_bpermute_b32 v4, v3, v5
	v_cmp_gt_i32_e32 vcc_lo, 32, v6
	v_cndmask_b32_e32 v6, v2, v6, vcc_lo
	s_waitcnt lgkmcnt(0)
	v_max_f32_e32 v7, v4, v4
	v_lshlrev_b32_e32 v4, 2, v6
	v_max_f32_e32 v5, v5, v7
	v_xor_b32_e32 v7, 2, v2
	ds_bpermute_b32 v6, v4, v5
	v_cmp_gt_i32_e32 vcc_lo, 32, v7
	v_cndmask_b32_e32 v7, v2, v7, vcc_lo
	v_lshlrev_b32_e32 v46, 2, v7
	v_xor_b32_e32 v7, 1, v2
	v_cmp_gt_i32_e32 vcc_lo, 32, v7
	s_waitcnt lgkmcnt(0)
	v_max_f32_e32 v6, v6, v6
	v_cndmask_b32_e32 v7, v2, v7, vcc_lo
	v_cmp_eq_u32_e32 vcc_lo, 0, v44
	v_max_f32_e32 v5, v5, v6
	v_lshlrev_b32_e32 v45, 2, v7
	ds_bpermute_b32 v6, v46, v5
	s_waitcnt lgkmcnt(0)
	v_max_f32_e32 v6, v6, v6
	v_max_f32_e32 v2, v5, v6
	v_lshlrev_b32_e32 v5, 2, v43
	ds_bpermute_b32 v6, v45, v2
	s_and_saveexec_b32 s1, vcc_lo
	s_cbranch_execz .LBB154_10
; %bb.9:
	s_waitcnt lgkmcnt(0)
	v_max_f32_e32 v6, v6, v6
	v_max_f32_e32 v2, v2, v2
	;; [unrolled: 1-line block ×3, first 2 shown]
	ds_write_b32 v5, v2 offset:128
.LBB154_10:
	s_or_b32 exec_lo, exec_lo, s1
	v_cmp_gt_u32_e64 s1, 4, v44
	v_mov_b32_e32 v2, 0xff7fffff
	s_waitcnt lgkmcnt(0)
	s_barrier
	buffer_gl0_inv
	s_and_saveexec_b32 s2, s1
; %bb.11:
	ds_read_b32 v2, v37 offset:128
; %bb.12:
	s_or_b32 exec_lo, exec_lo, s2
	s_waitcnt lgkmcnt(0)
	ds_bpermute_b32 v6, v46, v2
	v_max_f32_e32 v2, v2, v2
	s_lshl_b32 s2, s12, 5
	s_min_i32 s4, s2, s11
	v_cmp_gt_i32_e64 s2, s4, v0
	s_waitcnt lgkmcnt(0)
	v_max_f32_e32 v6, v6, v6
	v_max_f32_e32 v2, v2, v6
	ds_bpermute_b32 v6, v45, v2
	s_waitcnt lgkmcnt(0)
	v_max_f32_e32 v6, v6, v6
	v_max_f32_e32 v2, v2, v6
	v_mov_b32_e32 v6, 0
	ds_bpermute_b32 v7, v6, v2
	v_lshl_add_u32 v2, v0, 2, 0xa0
	s_and_saveexec_b32 s5, s2
	s_cbranch_execz .LBB154_16
; %bb.13:
	v_lshl_add_u32 v8, v0, 2, 0xa0
	v_mov_b32_e32 v6, 0
	v_mov_b32_e32 v9, v0
	s_mov_b32 s15, 0
	.p2align	6
.LBB154_14:                             ; =>This Inner Loop Header: Depth=1
	ds_read_b32 v10, v8
	v_add_nc_u32_e32 v9, 0x80, v9
	v_cmp_le_i32_e64 s3, s4, v9
	s_or_b32 s15, s3, s15
	s_waitcnt lgkmcnt(0)
	v_sub_f32_e32 v10, v10, v7
	v_mul_f32_e32 v10, 0x3fb8aa3b, v10
	v_exp_f32_e32 v10, v10
	ds_write_b32 v8, v10
	v_add_f32_e32 v6, v6, v10
	v_add_nc_u32_e32 v8, 0x200, v8
	s_andn2_b32 exec_lo, exec_lo, s15
	s_cbranch_execnz .LBB154_14
; %bb.15:
	s_or_b32 exec_lo, exec_lo, s15
.LBB154_16:
	s_or_b32 exec_lo, exec_lo, s5
	ds_bpermute_b32 v1, v1, v6
	s_waitcnt lgkmcnt(0)
	v_add_f32_e32 v1, v6, v1
	ds_bpermute_b32 v3, v3, v1
	s_waitcnt lgkmcnt(0)
	v_add_f32_e32 v1, v1, v3
	;; [unrolled: 3-line block ×5, first 2 shown]
	s_and_saveexec_b32 s3, vcc_lo
; %bb.17:
	ds_write_b32 v5, v1 offset:144
; %bb.18:
	s_or_b32 exec_lo, exec_lo, s3
	s_waitcnt lgkmcnt(0)
	s_barrier
	buffer_gl0_inv
	s_and_saveexec_b32 s3, s1
; %bb.19:
	ds_read_b32 v1, v37 offset:144
; %bb.20:
	s_or_b32 exec_lo, exec_lo, s3
	s_waitcnt lgkmcnt(0)
	ds_bpermute_b32 v3, v46, v1
	s_waitcnt lgkmcnt(0)
	v_add_f32_e32 v1, v1, v3
	ds_bpermute_b32 v3, v45, v1
	s_waitcnt lgkmcnt(0)
	v_add_f32_e32 v1, v1, v3
	v_mov_b32_e32 v3, 0
	ds_bpermute_b32 v1, v3, v1
	s_and_saveexec_b32 s1, s2
	s_cbranch_execz .LBB154_23
; %bb.21:
	s_waitcnt lgkmcnt(0)
	v_add_f32_e32 v1, 0x358637bd, v1
	s_mov_b32 s2, 0
	v_div_scale_f32 v3, null, v1, v1, 1.0
	v_div_scale_f32 v6, vcc_lo, 1.0, v1, 1.0
	v_rcp_f32_e32 v4, v3
	v_fma_f32 v5, -v3, v4, 1.0
	v_fmac_f32_e32 v4, v5, v4
	v_mul_f32_e32 v5, v6, v4
	v_fma_f32 v7, -v3, v5, v6
	v_fmac_f32_e32 v5, v7, v4
	v_fma_f32 v3, -v3, v5, v6
	v_div_fmas_f32 v3, v3, v4, v5
	v_div_fixup_f32 v1, v3, v1, 1.0
	v_mov_b32_e32 v3, v0
.LBB154_22:                             ; =>This Inner Loop Header: Depth=1
	ds_read_b32 v4, v2
	v_add_nc_u32_e32 v3, 0x80, v3
	v_cmp_le_i32_e32 vcc_lo, s4, v3
	s_or_b32 s2, vcc_lo, s2
	s_waitcnt lgkmcnt(0)
	v_mul_f32_e32 v4, v1, v4
	ds_write_b32 v2, v4
	v_add_nc_u32_e32 v2, 0x200, v2
	s_andn2_b32 exec_lo, exec_lo, s2
	s_cbranch_execnz .LBB154_22
.LBB154_23:
	s_or_b32 exec_lo, exec_lo, s1
	v_mov_b32_e32 v53, 0
	v_and_b32_e32 v47, 3, v0
	v_mov_b32_e32 v55, 0
	v_mov_b32_e32 v54, 0
	;; [unrolled: 1-line block ×7, first 2 shown]
	s_waitcnt lgkmcnt(0)
	s_barrier
	buffer_gl0_inv
	s_and_saveexec_b32 s3, s0
	s_cbranch_execz .LBB154_43
; %bb.24:
	v_lshlrev_b32_e32 v1, 3, v0
	s_ashr_i32 s15, s14, 31
	v_and_b32_e32 v3, 0x1f0, v35
	s_lshl_b64 s[0:1], s[14:15], 1
	v_lshlrev_b32_e32 v2, 5, v47
	v_and_b32_e32 v1, 24, v1
	s_add_u32 s0, s20, s0
	s_addc_u32 s1, s21, s1
	v_add_co_u32 v57, s0, s0, v3
	v_lshl_or_b32 v59, v43, 5, v1
	v_and_b32_e32 v1, 0x7c, v36
	v_add_co_ci_u32_e64 v58, null, s1, 0, s0
	s_lshl_b64 s[0:1], s[22:23], 2
	s_add_i32 s4, s12, -1
	v_lshl_or_b32 v2, v43, 7, v2
	s_add_u32 s0, s18, s0
	s_addc_u32 s1, s19, s1
	v_add_co_u32 v41, s0, s0, v1
	v_mov_b32_e32 v56, 0
	v_add_nc_u32_e32 v60, 0xa0, v2
	v_add_co_ci_u32_e64 v42, null, s1, 0, s0
	v_mov_b32_e32 v48, 0
	v_mov_b32_e32 v49, 0
	;; [unrolled: 1-line block ×9, first 2 shown]
	s_mov_b32 s5, s13
	s_mov_b32 s14, s11
	;; [unrolled: 1-line block ×3, first 2 shown]
	s_branch .LBB154_26
.LBB154_25:                             ;   in Loop: Header=BB154_26 Depth=1
	s_or_b32 exec_lo, exec_lo, s2
	s_waitcnt lgkmcnt(1)
	v_bfe_u32 v62, v29, 16, 1
	v_bfe_u32 v63, v30, 16, 1
	v_or_b32_e32 v64, 0x400000, v29
	v_cmp_u_f32_e32 vcc_lo, v29, v29
	v_or_b32_e32 v65, 0x400000, v30
	v_add3_u32 v62, v62, v29, 0x7fff
	v_bfe_u32 v66, v31, 16, 1
	v_add3_u32 v63, v63, v30, 0x7fff
	v_bfe_u32 v67, v32, 16, 1
	v_add_nc_u32_e32 v61, 4, v61
	v_cndmask_b32_e32 v29, v62, v64, vcc_lo
	v_cmp_u_f32_e32 vcc_lo, v30, v30
	v_add3_u32 v62, v66, v31, 0x7fff
	s_waitcnt lgkmcnt(0)
	v_bfe_u32 v64, v25, 16, 1
	v_or_b32_e32 v66, 0x400000, v32
	v_and_b32_e32 v29, 0xffff0000, v29
	v_cndmask_b32_e32 v30, v63, v65, vcc_lo
	v_or_b32_e32 v63, 0x400000, v31
	v_cmp_u_f32_e32 vcc_lo, v31, v31
	v_add3_u32 v65, v67, v32, 0x7fff
	v_add_co_u32 v41, s0, v41, 16
	v_add_nc_u32_e32 v59, 0x80, v59
	v_cndmask_b32_e32 v31, v62, v63, vcc_lo
	v_cmp_u_f32_e32 vcc_lo, v32, v32
	v_add3_u32 v62, v64, v25, 0x7fff
	v_or_b32_e32 v63, 0x400000, v25
	v_bfe_u32 v64, v26, 16, 1
	v_add_nc_u32_e32 v60, 0x200, v60
	v_cndmask_b32_e32 v32, v65, v66, vcc_lo
	v_cmp_u_f32_e32 vcc_lo, v25, v25
	v_and_b32_e32 v25, 0xffff0000, v30
	s_waitcnt vmcnt(1)
	v_and_b32_e32 v30, 0xffff0000, v37
	v_add3_u32 v64, v64, v26, 0x7fff
	v_or_b32_e32 v65, 0x400000, v26
	v_cndmask_b32_e32 v62, v62, v63, vcc_lo
	v_bfe_u32 v63, v27, 16, 1
	v_cmp_u_f32_e32 vcc_lo, v26, v26
	v_or_b32_e32 v66, 0x400000, v27
	v_mul_f32_e32 v30, v25, v30
	v_lshlrev_b32_e32 v37, 16, v37
	v_add3_u32 v63, v63, v27, 0x7fff
	v_cndmask_b32_e32 v26, v64, v65, vcc_lo
	v_bfe_u32 v64, v28, 16, 1
	v_cmp_u_f32_e32 vcc_lo, v27, v27
	v_bfe_u32 v27, v30, 16, 1
	v_or_b32_e32 v65, 0x400000, v28
	v_or_b32_e32 v67, 0x400000, v30
	v_add3_u32 v64, v64, v28, 0x7fff
	v_cndmask_b32_e32 v63, v63, v66, vcc_lo
	v_cmp_u_f32_e32 vcc_lo, v28, v28
	v_add3_u32 v66, v27, v30, 0x7fff
	v_mul_f32_e32 v37, v29, v37
	v_and_b32_e32 v27, 0xffff0000, v32
	v_and_b32_e32 v32, 0xffff0000, v38
	v_cndmask_b32_e32 v28, v64, v65, vcc_lo
	v_cmp_u_f32_e32 vcc_lo, v30, v30
	v_bfe_u32 v65, v37, 16, 1
	v_and_b32_e32 v30, 0xffff0000, v31
	v_lshlrev_b32_e32 v31, 16, v38
	v_and_b32_e32 v26, 0xffff0000, v26
	v_cndmask_b32_e32 v64, v66, v67, vcc_lo
	v_mul_f32_e32 v66, v27, v32
	v_and_b32_e32 v32, 0xffff0000, v39
	v_add3_u32 v38, v65, v37, 0x7fff
	v_or_b32_e32 v65, 0x400000, v37
	v_mul_f32_e32 v31, v30, v31
	v_bfe_u32 v67, v66, 16, 1
	v_cmp_u_f32_e32 vcc_lo, v37, v37
	v_mul_f32_e32 v68, v26, v32
	v_and_b32_e32 v32, 0xffff0000, v62
	v_lshlrev_b32_e32 v39, 16, v39
	v_and_b32_e32 v28, 0xffff0000, v28
	v_cndmask_b32_e32 v37, v38, v65, vcc_lo
	v_add3_u32 v38, v67, v66, 0x7fff
	v_or_b32_e32 v65, 0x400000, v66
	v_bfe_u32 v67, v31, 16, 1
	v_cmp_u_f32_e32 vcc_lo, v66, v66
	v_bfe_u32 v69, v68, 16, 1
	v_mul_f32_e32 v39, v32, v39
	v_and_b32_e32 v37, 0xffff0000, v37
	v_add3_u32 v62, v67, v31, 0x7fff
	v_cndmask_b32_e32 v38, v38, v65, vcc_lo
	v_or_b32_e32 v65, 0x400000, v31
	v_cmp_u_f32_e32 vcc_lo, v31, v31
	v_add3_u32 v66, v69, v68, 0x7fff
	v_and_b32_e32 v67, 0xffff0000, v40
	v_or_b32_e32 v69, 0x400000, v68
	v_bfe_u32 v70, v39, 16, 1
	v_cndmask_b32_e32 v62, v62, v65, vcc_lo
	v_cmp_u_f32_e32 vcc_lo, v68, v68
	v_mul_f32_e32 v65, v28, v67
	v_or_b32_e32 v68, 0x400000, v39
	v_add3_u32 v67, v70, v39, 0x7fff
	v_and_b32_e32 v31, 0xffff0000, v63
	v_cndmask_b32_e32 v66, v66, v69, vcc_lo
	v_cmp_u_f32_e32 vcc_lo, v39, v39
	v_lshlrev_b32_e32 v40, 16, v40
	v_and_b32_e32 v64, 0xffff0000, v64
	v_and_b32_e32 v62, 0xffff0000, v62
	v_and_b32_e32 v38, 0xffff0000, v38
	v_cndmask_b32_e32 v39, v67, v68, vcc_lo
	v_bfe_u32 v69, v65, 16, 1
	v_mul_f32_e32 v40, v31, v40
	v_add_f32_e32 v37, v37, v64
	v_add_f32_e32 v38, v62, v38
	v_and_b32_e32 v39, 0xffff0000, v39
	v_and_b32_e32 v62, 0xffff0000, v33
	;; [unrolled: 1-line block ×3, first 2 shown]
	v_add3_u32 v63, v69, v65, 0x7fff
	v_or_b32_e32 v67, 0x400000, v65
	v_cmp_u_f32_e32 vcc_lo, v65, v65
	v_bfe_u32 v65, v40, 16, 1
	v_add_f32_e32 v37, v38, v37
	v_mul_f32_e32 v38, v25, v62
	v_add_f32_e32 v39, v39, v64
	v_lshlrev_b32_e32 v33, 16, v33
	v_cndmask_b32_e32 v63, v63, v67, vcc_lo
	v_add3_u32 v65, v65, v40, 0x7fff
	v_or_b32_e32 v66, 0x400000, v40
	v_cmp_u_f32_e32 vcc_lo, v40, v40
	v_bfe_u32 v62, v38, 16, 1
	v_add_f32_e32 v37, v39, v37
	v_mul_f32_e32 v33, v29, v33
	v_and_b32_e32 v39, 0xffff0000, v34
	v_cndmask_b32_e32 v40, v65, v66, vcc_lo
	v_add3_u32 v62, v62, v38, 0x7fff
	v_or_b32_e32 v64, 0x400000, v38
	v_bfe_u32 v65, v33, 16, 1
	v_mul_f32_e32 v39, v27, v39
	v_lshlrev_b32_e32 v34, 16, v34
	v_cmp_u_f32_e32 vcc_lo, v38, v38
	v_and_b32_e32 v66, 0xffff0000, v35
	v_lshlrev_b32_e32 v35, 16, v35
	v_and_b32_e32 v67, 0xffff0000, v36
	v_mul_f32_e32 v34, v30, v34
	v_cndmask_b32_e32 v38, v62, v64, vcc_lo
	v_add3_u32 v62, v65, v33, 0x7fff
	v_or_b32_e32 v64, 0x400000, v33
	v_bfe_u32 v65, v39, 16, 1
	v_cmp_u_f32_e32 vcc_lo, v33, v33
	v_mul_f32_e32 v66, v26, v66
	v_mul_f32_e32 v35, v32, v35
	v_lshlrev_b32_e32 v36, 16, v36
	v_and_b32_e32 v38, 0xffff0000, v38
	v_cndmask_b32_e32 v33, v62, v64, vcc_lo
	v_add3_u32 v62, v65, v39, 0x7fff
	v_or_b32_e32 v64, 0x400000, v39
	v_bfe_u32 v65, v34, 16, 1
	v_cmp_u_f32_e32 vcc_lo, v39, v39
	v_mul_f32_e32 v36, v31, v36
	v_or_b32_e32 v68, 0x400000, v35
	v_and_b32_e32 v33, 0xffff0000, v33
	v_and_b32_e32 v40, 0xffff0000, v40
	v_cndmask_b32_e32 v39, v62, v64, vcc_lo
	v_add3_u32 v62, v65, v34, 0x7fff
	v_or_b32_e32 v64, 0x400000, v34
	v_bfe_u32 v65, v66, 16, 1
	v_cmp_u_f32_e32 vcc_lo, v34, v34
	v_bfe_u32 v70, v36, 16, 1
	v_and_b32_e32 v39, 0xffff0000, v39
	v_add_f32_e32 v33, v33, v38
	v_add_co_ci_u32_e64 v42, null, 0, v42, s0
	v_cndmask_b32_e32 v34, v62, v64, vcc_lo
	v_bfe_u32 v62, v35, 16, 1
	v_add3_u32 v64, v65, v66, 0x7fff
	v_mul_f32_e32 v65, v28, v67
	v_or_b32_e32 v67, 0x400000, v66
	v_cmp_u_f32_e32 vcc_lo, v66, v66
	v_add3_u32 v62, v62, v35, 0x7fff
	v_add3_u32 v66, v70, v36, 0x7fff
	v_bfe_u32 v69, v65, 16, 1
	v_and_b32_e32 v34, 0xffff0000, v34
	v_cndmask_b32_e32 v64, v64, v67, vcc_lo
	v_cmp_u_f32_e32 vcc_lo, v35, v35
	v_or_b32_e32 v67, 0x400000, v36
	v_add_f32_e32 v34, v34, v39
	v_and_b32_e32 v38, 0xffff0000, v64
	v_cndmask_b32_e32 v35, v62, v68, vcc_lo
	v_cmp_u_f32_e32 vcc_lo, v36, v36
	v_add3_u32 v62, v69, v65, 0x7fff
	v_or_b32_e32 v68, 0x400000, v65
	v_add_f32_e32 v33, v34, v33
	v_and_b32_e32 v35, 0xffff0000, v35
	v_cndmask_b32_e32 v36, v66, v67, vcc_lo
	v_cmp_u_f32_e32 vcc_lo, v65, v65
	v_add_f32_e32 v34, v35, v38
	v_and_b32_e32 v35, 0xffff0000, v36
	v_cndmask_b32_e32 v39, v62, v68, vcc_lo
	v_and_b32_e32 v62, 0xffff0000, v63
	v_and_b32_e32 v38, 0xffff0000, v21
	v_lshlrev_b32_e32 v21, 16, v21
	v_add_f32_e32 v33, v34, v33
	v_and_b32_e32 v36, 0xffff0000, v39
	v_add_f32_e32 v39, v40, v62
	v_mul_f32_e32 v21, v29, v21
	v_add_f32_e32 v34, v35, v36
	v_mul_f32_e32 v35, v25, v38
	v_add_f32_e32 v36, v39, v37
	v_and_b32_e32 v37, 0xffff0000, v22
	v_lshlrev_b32_e32 v22, 16, v22
	v_add_f32_e32 v33, v34, v33
	v_bfe_u32 v34, v35, 16, 1
	v_add_f32_e32 v49, v49, v36
	v_bfe_u32 v36, v21, 16, 1
	v_mul_f32_e32 v37, v27, v37
	v_add_f32_e32 v50, v50, v33
	v_add3_u32 v33, v34, v35, 0x7fff
	v_or_b32_e32 v34, 0x400000, v35
	v_cmp_u_f32_e32 vcc_lo, v35, v35
	v_add3_u32 v36, v36, v21, 0x7fff
	v_or_b32_e32 v38, 0x400000, v21
	v_mul_f32_e32 v22, v30, v22
	v_and_b32_e32 v35, 0xffff0000, v23
	v_cndmask_b32_e32 v33, v33, v34, vcc_lo
	v_bfe_u32 v34, v37, 16, 1
	v_cmp_u_f32_e32 vcc_lo, v21, v21
	v_lshlrev_b32_e32 v23, 16, v23
	v_mul_f32_e32 v35, v26, v35
	v_and_b32_e32 v39, 0xffff0000, v24
	v_add3_u32 v34, v34, v37, 0x7fff
	v_cndmask_b32_e32 v21, v36, v38, vcc_lo
	v_or_b32_e32 v36, 0x400000, v37
	v_bfe_u32 v38, v22, 16, 1
	v_cmp_u_f32_e32 vcc_lo, v37, v37
	v_mul_f32_e32 v23, v32, v23
	v_or_b32_e32 v37, 0x400000, v22
	v_lshlrev_b32_e32 v24, 16, v24
	v_and_b32_e32 v21, 0xffff0000, v21
	v_cndmask_b32_e32 v34, v34, v36, vcc_lo
	v_add3_u32 v36, v38, v22, 0x7fff
	v_bfe_u32 v38, v35, 16, 1
	v_cmp_u_f32_e32 vcc_lo, v22, v22
	v_bfe_u32 v40, v23, 16, 1
	v_mul_f32_e32 v24, v31, v24
	v_and_b32_e32 v33, 0xffff0000, v33
	v_and_b32_e32 v34, 0xffff0000, v34
	v_cndmask_b32_e32 v22, v36, v37, vcc_lo
	v_add3_u32 v36, v38, v35, 0x7fff
	v_mul_f32_e32 v37, v28, v39
	v_or_b32_e32 v38, 0x400000, v35
	v_cmp_u_f32_e32 vcc_lo, v35, v35
	v_add3_u32 v39, v40, v23, 0x7fff
	v_or_b32_e32 v40, 0x400000, v23
	v_bfe_u32 v62, v37, 16, 1
	v_and_b32_e32 v22, 0xffff0000, v22
	v_cndmask_b32_e32 v35, v36, v38, vcc_lo
	v_cmp_u_f32_e32 vcc_lo, v23, v23
	v_or_b32_e32 v38, 0x400000, v37
	v_add3_u32 v36, v62, v37, 0x7fff
	v_add_f32_e32 v21, v21, v33
	v_add_f32_e32 v22, v22, v34
	v_cndmask_b32_e32 v23, v39, v40, vcc_lo
	v_bfe_u32 v39, v24, 16, 1
	v_cmp_u_f32_e32 vcc_lo, v37, v37
	v_and_b32_e32 v34, 0xffff0000, v17
	v_and_b32_e32 v33, 0xffff0000, v35
	;; [unrolled: 1-line block ×3, first 2 shown]
	v_add3_u32 v37, v39, v24, 0x7fff
	v_cndmask_b32_e32 v36, v36, v38, vcc_lo
	v_or_b32_e32 v38, 0x400000, v24
	v_cmp_u_f32_e32 vcc_lo, v24, v24
	v_lshlrev_b32_e32 v17, 16, v17
	v_add_f32_e32 v21, v22, v21
	v_mul_f32_e32 v22, v25, v34
	v_add_f32_e32 v23, v23, v33
	v_cndmask_b32_e32 v24, v37, v38, vcc_lo
	v_mul_f32_e32 v17, v29, v17
	v_and_b32_e32 v33, 0xffff0000, v36
	v_bfe_u32 v34, v22, 16, 1
	v_add_f32_e32 v21, v23, v21
	v_and_b32_e32 v24, 0xffff0000, v24
	v_bfe_u32 v23, v17, 16, 1
	v_and_b32_e32 v35, 0xffff0000, v18
	v_cmp_u_f32_e32 vcc_lo, v22, v22
	v_or_b32_e32 v36, 0x400000, v17
	v_add_f32_e32 v24, v24, v33
	v_add3_u32 v33, v34, v22, 0x7fff
	v_or_b32_e32 v34, 0x400000, v22
	v_add3_u32 v23, v23, v17, 0x7fff
	v_mul_f32_e32 v35, v27, v35
	v_lshlrev_b32_e32 v18, 16, v18
	v_and_b32_e32 v37, 0xffff0000, v20
	v_cndmask_b32_e32 v22, v33, v34, vcc_lo
	v_cmp_u_f32_e32 vcc_lo, v17, v17
	v_bfe_u32 v33, v35, 16, 1
	v_mul_f32_e32 v18, v30, v18
	v_or_b32_e32 v34, 0x400000, v35
	v_lshlrev_b32_e32 v20, 16, v20
	v_cndmask_b32_e32 v17, v23, v36, vcc_lo
	v_and_b32_e32 v23, 0xffff0000, v19
	v_add3_u32 v33, v33, v35, 0x7fff
	v_lshlrev_b32_e32 v19, 16, v19
	v_bfe_u32 v36, v18, 16, 1
	v_cmp_u_f32_e32 vcc_lo, v35, v35
	v_mul_f32_e32 v23, v26, v23
	v_or_b32_e32 v35, 0x400000, v18
	v_mul_f32_e32 v19, v32, v19
	v_mul_f32_e32 v20, v31, v20
	v_cndmask_b32_e32 v33, v33, v34, vcc_lo
	v_add3_u32 v34, v36, v18, 0x7fff
	v_bfe_u32 v36, v23, 16, 1
	v_cmp_u_f32_e32 vcc_lo, v18, v18
	v_bfe_u32 v38, v19, 16, 1
	v_and_b32_e32 v17, 0xffff0000, v17
	v_and_b32_e32 v22, 0xffff0000, v22
	;; [unrolled: 1-line block ×3, first 2 shown]
	v_cndmask_b32_e32 v18, v34, v35, vcc_lo
	v_add3_u32 v34, v36, v23, 0x7fff
	v_mul_f32_e32 v35, v28, v37
	v_or_b32_e32 v36, 0x400000, v23
	v_cmp_u_f32_e32 vcc_lo, v23, v23
	v_add3_u32 v37, v38, v19, 0x7fff
	v_or_b32_e32 v38, 0x400000, v19
	v_bfe_u32 v39, v35, 16, 1
	v_and_b32_e32 v18, 0xffff0000, v18
	v_cndmask_b32_e32 v23, v34, v36, vcc_lo
	v_cmp_u_f32_e32 vcc_lo, v19, v19
	v_or_b32_e32 v36, 0x400000, v35
	v_add3_u32 v34, v39, v35, 0x7fff
	v_add_f32_e32 v17, v17, v22
	v_add_f32_e32 v18, v18, v33
	v_cndmask_b32_e32 v19, v37, v38, vcc_lo
	v_bfe_u32 v37, v20, 16, 1
	v_cmp_u_f32_e32 vcc_lo, v35, v35
	v_and_b32_e32 v22, 0xffff0000, v23
	v_add_f32_e32 v17, v18, v17
	v_and_b32_e32 v19, 0xffff0000, v19
	v_add3_u32 v35, v37, v20, 0x7fff
	v_cndmask_b32_e32 v34, v34, v36, vcc_lo
	v_or_b32_e32 v36, 0x400000, v20
	v_cmp_u_f32_e32 vcc_lo, v20, v20
	v_and_b32_e32 v18, 0xffff0000, v13
	v_add_f32_e32 v19, v19, v22
	v_lshlrev_b32_e32 v13, 16, v13
	v_and_b32_e32 v22, 0xffff0000, v34
	v_cndmask_b32_e32 v20, v35, v36, vcc_lo
	v_mul_f32_e32 v18, v25, v18
	v_add_f32_e32 v21, v24, v21
	v_mul_f32_e32 v23, v29, v13
	v_add_f32_e32 v13, v19, v17
	v_and_b32_e32 v20, 0xffff0000, v20
	v_bfe_u32 v19, v18, 16, 1
	v_add_f32_e32 v51, v51, v21
	v_and_b32_e32 v21, 0xffff0000, v14
	v_cmp_u_f32_e32 vcc_lo, v18, v18
	v_add_f32_e32 v17, v20, v22
	v_bfe_u32 v20, v23, 16, 1
	v_or_b32_e32 v22, 0x400000, v23
	v_mul_f32_e32 v21, v27, v21
	v_lshlrev_b32_e32 v14, 16, v14
	v_add_f32_e32 v13, v17, v13
	v_add3_u32 v17, v19, v18, 0x7fff
	v_or_b32_e32 v19, 0x400000, v18
	v_add3_u32 v20, v20, v23, 0x7fff
	v_bfe_u32 v18, v21, 16, 1
	v_mul_f32_e32 v14, v30, v14
	v_and_b32_e32 v24, 0xffff0000, v16
	v_cndmask_b32_e32 v17, v17, v19, vcc_lo
	v_cmp_u_f32_e32 vcc_lo, v23, v23
	v_add3_u32 v18, v18, v21, 0x7fff
	v_bfe_u32 v23, v14, 16, 1
	v_lshlrev_b32_e32 v16, 16, v16
	v_and_b32_e32 v17, 0xffff0000, v17
	v_cndmask_b32_e32 v19, v20, v22, vcc_lo
	v_and_b32_e32 v20, 0xffff0000, v15
	v_or_b32_e32 v22, 0x400000, v21
	v_lshlrev_b32_e32 v15, 16, v15
	v_cmp_u_f32_e32 vcc_lo, v21, v21
	v_add3_u32 v21, v23, v14, 0x7fff
	v_mul_f32_e32 v20, v26, v20
	v_mul_f32_e32 v16, v31, v16
	;; [unrolled: 1-line block ×3, first 2 shown]
	v_cndmask_b32_e32 v18, v18, v22, vcc_lo
	v_or_b32_e32 v22, 0x400000, v14
	v_bfe_u32 v23, v20, 16, 1
	v_cmp_u_f32_e32 vcc_lo, v14, v14
	v_bfe_u32 v33, v15, 16, 1
	v_and_b32_e32 v19, 0xffff0000, v19
	v_and_b32_e32 v18, 0xffff0000, v18
	v_add_f32_e32 v52, v52, v13
	v_cndmask_b32_e32 v14, v21, v22, vcc_lo
	v_add3_u32 v21, v23, v20, 0x7fff
	v_mul_f32_e32 v22, v28, v24
	v_or_b32_e32 v23, 0x400000, v20
	v_cmp_u_f32_e32 vcc_lo, v20, v20
	v_add3_u32 v24, v33, v15, 0x7fff
	v_or_b32_e32 v33, 0x400000, v15
	v_bfe_u32 v34, v22, 16, 1
	v_and_b32_e32 v14, 0xffff0000, v14
	v_cndmask_b32_e32 v20, v21, v23, vcc_lo
	v_cmp_u_f32_e32 vcc_lo, v15, v15
	v_or_b32_e32 v23, 0x400000, v22
	v_add3_u32 v21, v34, v22, 0x7fff
	v_add_f32_e32 v17, v19, v17
	v_add_f32_e32 v14, v14, v18
	v_cndmask_b32_e32 v15, v24, v33, vcc_lo
	v_bfe_u32 v24, v16, 16, 1
	v_cmp_u_f32_e32 vcc_lo, v22, v22
	v_and_b32_e32 v19, 0xffff0000, v5
	v_and_b32_e32 v18, 0xffff0000, v20
	;; [unrolled: 1-line block ×3, first 2 shown]
	v_add3_u32 v22, v24, v16, 0x7fff
	v_cndmask_b32_e32 v21, v21, v23, vcc_lo
	v_or_b32_e32 v23, 0x400000, v16
	v_cmp_u_f32_e32 vcc_lo, v16, v16
	v_lshlrev_b32_e32 v5, 16, v5
	v_add_f32_e32 v14, v14, v17
	v_mul_f32_e32 v17, v25, v19
	v_add_f32_e32 v15, v15, v18
	v_cndmask_b32_e32 v16, v22, v23, vcc_lo
	v_mul_f32_e32 v18, v29, v5
	v_and_b32_e32 v19, 0xffff0000, v21
	v_and_b32_e32 v20, 0xffff0000, v6
	v_bfe_u32 v21, v17, 16, 1
	v_and_b32_e32 v16, 0xffff0000, v16
	v_add_f32_e32 v5, v15, v14
	v_bfe_u32 v15, v18, 16, 1
	v_cmp_u_f32_e32 vcc_lo, v17, v17
	v_lshlrev_b32_e32 v6, 16, v6
	v_add_f32_e32 v14, v16, v19
	v_mul_f32_e32 v16, v27, v20
	v_add3_u32 v19, v21, v17, 0x7fff
	v_or_b32_e32 v20, 0x400000, v17
	v_add3_u32 v15, v15, v18, 0x7fff
	v_or_b32_e32 v21, 0x400000, v18
	v_bfe_u32 v22, v16, 16, 1
	v_mul_f32_e32 v6, v30, v6
	v_cndmask_b32_e32 v17, v19, v20, vcc_lo
	v_cmp_u_f32_e32 vcc_lo, v18, v18
	v_or_b32_e32 v19, 0x400000, v16
	v_add3_u32 v18, v22, v16, 0x7fff
	v_and_b32_e32 v20, 0xffff0000, v7
	v_lshlrev_b32_e32 v7, 16, v7
	v_cndmask_b32_e32 v15, v15, v21, vcc_lo
	v_cmp_u_f32_e32 vcc_lo, v16, v16
	v_bfe_u32 v21, v6, 16, 1
	v_and_b32_e32 v17, 0xffff0000, v17
	v_mul_f32_e32 v7, v32, v7
	v_and_b32_e32 v15, 0xffff0000, v15
	v_cndmask_b32_e32 v16, v18, v19, vcc_lo
	v_mul_f32_e32 v18, v26, v20
	v_add3_u32 v19, v21, v6, 0x7fff
	v_or_b32_e32 v20, 0x400000, v6
	v_and_b32_e32 v21, 0xffff0000, v8
	v_cmp_u_f32_e32 vcc_lo, v6, v6
	v_bfe_u32 v22, v18, 16, 1
	v_bfe_u32 v23, v7, 16, 1
	v_lshlrev_b32_e32 v8, 16, v8
	v_and_b32_e32 v16, 0xffff0000, v16
	v_cndmask_b32_e32 v6, v19, v20, vcc_lo
	v_mul_f32_e32 v19, v28, v21
	v_add3_u32 v20, v22, v18, 0x7fff
	v_or_b32_e32 v21, 0x400000, v18
	v_cmp_u_f32_e32 vcc_lo, v18, v18
	v_add3_u32 v22, v23, v7, 0x7fff
	v_or_b32_e32 v23, 0x400000, v7
	v_bfe_u32 v24, v19, 16, 1
	v_and_b32_e32 v6, 0xffff0000, v6
	v_cndmask_b32_e32 v18, v20, v21, vcc_lo
	v_cmp_u_f32_e32 vcc_lo, v7, v7
	v_or_b32_e32 v21, 0x400000, v19
	v_add3_u32 v20, v24, v19, 0x7fff
	v_mul_f32_e32 v8, v31, v8
	v_add_f32_e32 v15, v15, v17
	v_cndmask_b32_e32 v7, v22, v23, vcc_lo
	v_cmp_u_f32_e32 vcc_lo, v19, v19
	v_add_f32_e32 v6, v6, v16
	v_and_b32_e32 v16, 0xffff0000, v1
	v_and_b32_e32 v17, 0xffff0000, v18
	;; [unrolled: 1-line block ×3, first 2 shown]
	v_cndmask_b32_e32 v19, v20, v21, vcc_lo
	v_bfe_u32 v20, v8, 16, 1
	v_add_f32_e32 v6, v6, v15
	v_mul_f32_e32 v15, v25, v16
	v_add_f32_e32 v7, v7, v17
	v_lshlrev_b32_e32 v1, 16, v1
	v_add3_u32 v18, v20, v8, 0x7fff
	v_or_b32_e32 v20, 0x400000, v8
	v_cmp_u_f32_e32 vcc_lo, v8, v8
	v_bfe_u32 v16, v15, 16, 1
	v_add_f32_e32 v6, v7, v6
	v_and_b32_e32 v7, 0xffff0000, v2
	v_mul_f32_e32 v1, v29, v1
	v_cndmask_b32_e32 v8, v18, v20, vcc_lo
	v_add3_u32 v16, v16, v15, 0x7fff
	v_or_b32_e32 v17, 0x400000, v15
	v_mul_f32_e32 v7, v27, v7
	v_and_b32_e32 v18, 0xffff0000, v19
	v_bfe_u32 v19, v1, 16, 1
	v_cmp_u_f32_e32 vcc_lo, v15, v15
	v_lshlrev_b32_e32 v2, 16, v2
	v_or_b32_e32 v20, 0x400000, v1
	v_or_b32_e32 v21, 0x400000, v7
	v_and_b32_e32 v8, 0xffff0000, v8
	v_cndmask_b32_e32 v15, v16, v17, vcc_lo
	v_bfe_u32 v16, v7, 16, 1
	v_add3_u32 v17, v19, v1, 0x7fff
	v_and_b32_e32 v19, 0xffff0000, v3
	v_mul_f32_e32 v2, v30, v2
	v_cmp_u_f32_e32 vcc_lo, v1, v1
	v_add3_u32 v16, v16, v7, 0x7fff
	v_lshlrev_b32_e32 v3, 16, v3
	v_mul_f32_e32 v19, v26, v19
	v_and_b32_e32 v15, 0xffff0000, v15
	v_cndmask_b32_e32 v1, v17, v20, vcc_lo
	v_bfe_u32 v17, v2, 16, 1
	v_cmp_u_f32_e32 vcc_lo, v7, v7
	v_and_b32_e32 v20, 0xffff0000, v4
	v_mul_f32_e32 v3, v32, v3
	v_or_b32_e32 v22, 0x400000, v19
	v_add3_u32 v17, v17, v2, 0x7fff
	v_cndmask_b32_e32 v7, v16, v21, vcc_lo
	v_bfe_u32 v16, v19, 16, 1
	v_or_b32_e32 v21, 0x400000, v2
	v_cmp_u_f32_e32 vcc_lo, v2, v2
	v_mul_f32_e32 v20, v28, v20
	v_lshlrev_b32_e32 v4, 16, v4
	v_add3_u32 v16, v16, v19, 0x7fff
	v_and_b32_e32 v1, 0xffff0000, v1
	v_cndmask_b32_e32 v2, v17, v21, vcc_lo
	v_bfe_u32 v17, v3, 16, 1
	v_cmp_u_f32_e32 vcc_lo, v19, v19
	v_bfe_u32 v21, v20, 16, 1
	v_or_b32_e32 v19, 0x400000, v3
	v_mul_f32_e32 v4, v31, v4
	v_add3_u32 v17, v17, v3, 0x7fff
	v_cndmask_b32_e32 v16, v16, v22, vcc_lo
	v_cmp_u_f32_e32 vcc_lo, v3, v3
	v_add3_u32 v21, v21, v20, 0x7fff
	v_or_b32_e32 v22, 0x400000, v20
	v_and_b32_e32 v2, 0xffff0000, v2
	v_and_b32_e32 v7, 0xffff0000, v7
	v_cndmask_b32_e32 v3, v17, v19, vcc_lo
	v_cmp_u_f32_e32 vcc_lo, v20, v20
	v_bfe_u32 v19, v4, 16, 1
	v_add_f32_e32 v1, v1, v15
	v_add_f32_e32 v2, v2, v7
	v_and_b32_e32 v3, 0xffff0000, v3
	v_cndmask_b32_e32 v17, v21, v22, vcc_lo
	s_waitcnt vmcnt(0)
	v_lshlrev_b32_e32 v21, 16, v9
	v_and_b32_e32 v7, 0xffff0000, v16
	v_and_b32_e32 v9, 0xffff0000, v9
	v_add3_u32 v19, v19, v4, 0x7fff
	v_or_b32_e32 v20, 0x400000, v4
	v_mul_f32_e32 v15, v29, v21
	v_cmp_u_f32_e32 vcc_lo, v4, v4
	v_add_f32_e32 v1, v2, v1
	v_add_f32_e32 v3, v3, v7
	v_mul_f32_e32 v7, v25, v9
	v_bfe_u32 v2, v15, 16, 1
	v_lshlrev_b32_e32 v9, 16, v10
	v_cndmask_b32_e32 v4, v19, v20, vcc_lo
	v_or_b32_e32 v16, 0x400000, v15
	v_bfe_u32 v19, v7, 16, 1
	v_add3_u32 v2, v2, v15, 0x7fff
	v_mul_f32_e32 v9, v30, v9
	v_and_b32_e32 v10, 0xffff0000, v10
	v_cmp_u_f32_e32 vcc_lo, v15, v15
	v_add3_u32 v15, v19, v7, 0x7fff
	v_lshlrev_b32_e32 v20, 16, v11
	v_bfe_u32 v19, v9, 16, 1
	v_mul_f32_e32 v10, v27, v10
	v_cndmask_b32_e32 v2, v2, v16, vcc_lo
	v_or_b32_e32 v16, 0x400000, v7
	v_cmp_u_f32_e32 vcc_lo, v7, v7
	v_mul_f32_e32 v20, v32, v20
	v_and_b32_e32 v11, 0xffff0000, v11
	v_lshlrev_b32_e32 v21, 16, v12
	v_and_b32_e32 v12, 0xffff0000, v12
	v_cndmask_b32_e32 v7, v15, v16, vcc_lo
	v_add3_u32 v15, v19, v9, 0x7fff
	v_or_b32_e32 v16, 0x400000, v9
	v_bfe_u32 v19, v10, 16, 1
	v_cmp_u_f32_e32 vcc_lo, v9, v9
	v_mul_f32_e32 v11, v26, v11
	v_mul_f32_e32 v12, v28, v12
	v_and_b32_e32 v7, 0xffff0000, v7
	v_and_b32_e32 v2, 0xffff0000, v2
	v_cndmask_b32_e32 v9, v15, v16, vcc_lo
	v_add3_u32 v15, v19, v10, 0x7fff
	v_or_b32_e32 v16, 0x400000, v10
	v_bfe_u32 v19, v20, 16, 1
	v_cmp_u_f32_e32 vcc_lo, v10, v10
	v_or_b32_e32 v22, 0x400000, v11
	v_bfe_u32 v24, v12, 16, 1
	v_and_b32_e32 v9, 0xffff0000, v9
	v_add_f32_e32 v2, v2, v7
	v_cndmask_b32_e32 v10, v15, v16, vcc_lo
	v_bfe_u32 v15, v11, 16, 1
	v_add3_u32 v16, v19, v20, 0x7fff
	v_mul_f32_e32 v19, v31, v21
	v_or_b32_e32 v21, 0x400000, v20
	v_cmp_u_f32_e32 vcc_lo, v20, v20
	v_add3_u32 v15, v15, v11, 0x7fff
	v_add3_u32 v20, v24, v12, 0x7fff
	v_bfe_u32 v23, v19, 16, 1
	v_and_b32_e32 v10, 0xffff0000, v10
	v_cndmask_b32_e32 v16, v16, v21, vcc_lo
	v_cmp_u_f32_e32 vcc_lo, v11, v11
	v_or_b32_e32 v21, 0x400000, v12
	v_and_b32_e32 v4, 0xffff0000, v4
	v_add_f32_e32 v7, v9, v10
	v_and_b32_e32 v10, 0xffff0000, v16
	v_cndmask_b32_e32 v11, v15, v22, vcc_lo
	v_cmp_u_f32_e32 vcc_lo, v12, v12
	v_add3_u32 v15, v23, v19, 0x7fff
	v_or_b32_e32 v22, 0x400000, v19
	v_add_f32_e32 v2, v7, v2
	v_and_b32_e32 v9, 0xffff0000, v11
	v_cndmask_b32_e32 v12, v20, v21, vcc_lo
	v_cmp_u_f32_e32 vcc_lo, v19, v19
	v_add_f32_e32 v8, v8, v18
	v_add_f32_e32 v1, v3, v1
	;; [unrolled: 1-line block ×3, first 2 shown]
	v_and_b32_e32 v9, 0xffff0000, v12
	v_cndmask_b32_e32 v11, v15, v22, vcc_lo
	v_and_b32_e32 v15, 0xffff0000, v17
	v_add_f32_e32 v5, v14, v5
	v_add_f32_e32 v2, v7, v2
	;; [unrolled: 1-line block ×3, first 2 shown]
	v_and_b32_e32 v10, 0xffff0000, v11
	v_add_f32_e32 v3, v4, v15
	v_cmp_le_i32_e32 vcc_lo, s12, v61
	v_add_f32_e32 v54, v54, v5
	v_add_f32_e32 v55, v55, v6
	;; [unrolled: 1-line block ×4, first 2 shown]
	s_or_b32 s13, vcc_lo, s13
	v_add_f32_e32 v2, v4, v2
	v_add_f32_e32 v53, v53, v1
	;; [unrolled: 1-line block ×3, first 2 shown]
	s_andn2_b32 exec_lo, exec_lo, s13
	s_cbranch_execz .LBB154_42
.LBB154_26:                             ; =>This Inner Loop Header: Depth=1
	global_load_dword v1, v[41:42], off
	v_cmp_eq_u32_e64 s0, s4, v61
	v_add_nc_u32_e32 v68, 1, v59
	v_or_b32_e32 v66, 3, v59
	v_or_b32_e32 v67, 2, v59
	v_or_b32_e32 v65, 5, v59
	v_or_b32_e32 v64, 4, v59
	v_or_b32_e32 v63, 7, v59
	v_or_b32_e32 v62, 6, v59
	s_waitcnt vmcnt(0)
	v_mad_i64_i32 v[1:2], null, v1, s5, 0
	v_lshlrev_b64 v[1:2], 1, v[1:2]
	v_add_co_u32 v9, vcc_lo, v57, v1
	v_add_co_ci_u32_e64 v10, null, v58, v2, vcc_lo
	global_load_dwordx4 v[1:4], v[9:10], off
	ds_read2_b64 v[29:32], v60 offset1:1
	ds_read2_b64 v[25:28], v60 offset0:2 offset1:3
	s_and_saveexec_b32 s15, s0
	s_cbranch_execnz .LBB154_35
; %bb.27:                               ;   in Loop: Header=BB154_26 Depth=1
	s_or_b32 exec_lo, exec_lo, s15
	global_load_dwordx4 v[5:8], v[9:10], off offset:512
	s_and_saveexec_b32 s15, s0
	s_cbranch_execnz .LBB154_36
.LBB154_28:                             ;   in Loop: Header=BB154_26 Depth=1
	s_or_b32 exec_lo, exec_lo, s15
	global_load_dwordx4 v[13:16], v[9:10], off offset:1024
	s_and_saveexec_b32 s15, s0
	s_cbranch_execnz .LBB154_37
.LBB154_29:                             ;   in Loop: Header=BB154_26 Depth=1
	s_or_b32 exec_lo, exec_lo, s15
	global_load_dwordx4 v[17:20], v[9:10], off offset:1536
	s_and_saveexec_b32 s15, s0
	s_cbranch_execz .LBB154_31
.LBB154_30:                             ;   in Loop: Header=BB154_26 Depth=1
	v_cmp_gt_i32_e64 s1, s11, v59
	v_cmp_gt_i32_e32 vcc_lo, s14, v68
	v_cmp_gt_i32_e64 s2, s11, v67
	s_waitcnt vmcnt(0)
	v_cndmask_b32_e64 v11, 0, v17, s1
	v_cmp_gt_i32_e64 s1, s14, v66
	v_cndmask_b32_sdwa v17, v56, v17, vcc_lo dst_sel:DWORD dst_unused:UNUSED_PAD src0_sel:DWORD src1_sel:WORD_1
	v_cndmask_b32_e64 v12, 0, v18, s2
	v_cmp_gt_i32_e64 s2, s14, v65
	s_mov_b32 vcc_lo, s1
	v_cmp_gt_i32_e64 s1, s14, v63
	v_cndmask_b32_sdwa v18, v56, v18, vcc_lo dst_sel:DWORD dst_unused:UNUSED_PAD src0_sel:DWORD src1_sel:WORD_1
	v_cmp_gt_i32_e32 vcc_lo, s11, v64
	v_perm_b32 v17, v17, v11, 0x5040100
	v_perm_b32 v18, v18, v12, 0x5040100
	v_cndmask_b32_e32 v21, 0, v19, vcc_lo
	s_mov_b32 vcc_lo, s2
	v_cndmask_b32_sdwa v19, v56, v19, vcc_lo dst_sel:DWORD dst_unused:UNUSED_PAD src0_sel:DWORD src1_sel:WORD_1
	v_cmp_gt_i32_e32 vcc_lo, s11, v62
	v_perm_b32 v19, v19, v21, 0x5040100
	v_cndmask_b32_e32 v22, 0, v20, vcc_lo
	s_mov_b32 vcc_lo, s1
	v_cndmask_b32_sdwa v20, v56, v20, vcc_lo dst_sel:DWORD dst_unused:UNUSED_PAD src0_sel:DWORD src1_sel:WORD_1
	v_perm_b32 v20, v20, v22, 0x5040100
.LBB154_31:                             ;   in Loop: Header=BB154_26 Depth=1
	s_or_b32 exec_lo, exec_lo, s15
	v_add_co_u32 v9, vcc_lo, 0x800, v9
	v_add_co_ci_u32_e64 v10, null, 0, v10, vcc_lo
	global_load_dwordx4 v[21:24], v[9:10], off
	s_and_saveexec_b32 s15, s0
	s_cbranch_execnz .LBB154_38
; %bb.32:                               ;   in Loop: Header=BB154_26 Depth=1
	s_or_b32 exec_lo, exec_lo, s15
	global_load_dwordx4 v[33:36], v[9:10], off offset:512
	s_and_saveexec_b32 s15, s0
	s_cbranch_execnz .LBB154_39
.LBB154_33:                             ;   in Loop: Header=BB154_26 Depth=1
	s_or_b32 exec_lo, exec_lo, s15
	global_load_dwordx4 v[37:40], v[9:10], off offset:1024
	s_and_saveexec_b32 s15, s0
	s_cbranch_execnz .LBB154_40
.LBB154_34:                             ;   in Loop: Header=BB154_26 Depth=1
	s_or_b32 exec_lo, exec_lo, s15
	global_load_dwordx4 v[9:12], v[9:10], off offset:1536
	s_and_saveexec_b32 s2, s0
	s_cbranch_execz .LBB154_25
	s_branch .LBB154_41
.LBB154_35:                             ;   in Loop: Header=BB154_26 Depth=1
	v_cmp_gt_i32_e64 s1, s11, v59
	v_cmp_gt_i32_e32 vcc_lo, s14, v68
	v_cmp_gt_i32_e64 s2, s11, v67
	s_waitcnt vmcnt(0)
	v_cndmask_b32_e64 v5, 0, v1, s1
	v_cmp_gt_i32_e64 s1, s14, v66
	v_cndmask_b32_sdwa v1, v56, v1, vcc_lo dst_sel:DWORD dst_unused:UNUSED_PAD src0_sel:DWORD src1_sel:WORD_1
	v_cndmask_b32_e64 v6, 0, v2, s2
	v_cmp_gt_i32_e64 s2, s14, v65
	s_mov_b32 vcc_lo, s1
	v_cmp_gt_i32_e64 s1, s14, v63
	v_cndmask_b32_sdwa v2, v56, v2, vcc_lo dst_sel:DWORD dst_unused:UNUSED_PAD src0_sel:DWORD src1_sel:WORD_1
	v_cmp_gt_i32_e32 vcc_lo, s11, v64
	v_perm_b32 v1, v1, v5, 0x5040100
	v_perm_b32 v2, v2, v6, 0x5040100
	v_cndmask_b32_e32 v7, 0, v3, vcc_lo
	s_mov_b32 vcc_lo, s2
	v_cndmask_b32_sdwa v3, v56, v3, vcc_lo dst_sel:DWORD dst_unused:UNUSED_PAD src0_sel:DWORD src1_sel:WORD_1
	v_cmp_gt_i32_e32 vcc_lo, s11, v62
	v_perm_b32 v3, v3, v7, 0x5040100
	v_cndmask_b32_e32 v8, 0, v4, vcc_lo
	s_mov_b32 vcc_lo, s1
	v_cndmask_b32_sdwa v4, v56, v4, vcc_lo dst_sel:DWORD dst_unused:UNUSED_PAD src0_sel:DWORD src1_sel:WORD_1
	v_perm_b32 v4, v4, v8, 0x5040100
	s_or_b32 exec_lo, exec_lo, s15
	global_load_dwordx4 v[5:8], v[9:10], off offset:512
	s_and_saveexec_b32 s15, s0
	s_cbranch_execz .LBB154_28
.LBB154_36:                             ;   in Loop: Header=BB154_26 Depth=1
	v_cmp_gt_i32_e64 s1, s11, v59
	v_cmp_gt_i32_e32 vcc_lo, s14, v68
	v_cmp_gt_i32_e64 s2, s11, v67
	s_waitcnt vmcnt(0)
	v_cndmask_b32_e64 v11, 0, v5, s1
	v_cmp_gt_i32_e64 s1, s14, v66
	v_cndmask_b32_sdwa v5, v56, v5, vcc_lo dst_sel:DWORD dst_unused:UNUSED_PAD src0_sel:DWORD src1_sel:WORD_1
	v_cndmask_b32_e64 v12, 0, v6, s2
	v_cmp_gt_i32_e64 s2, s14, v65
	s_mov_b32 vcc_lo, s1
	v_cmp_gt_i32_e64 s1, s14, v63
	v_cndmask_b32_sdwa v6, v56, v6, vcc_lo dst_sel:DWORD dst_unused:UNUSED_PAD src0_sel:DWORD src1_sel:WORD_1
	v_cmp_gt_i32_e32 vcc_lo, s11, v64
	v_perm_b32 v5, v5, v11, 0x5040100
	v_perm_b32 v6, v6, v12, 0x5040100
	v_cndmask_b32_e32 v13, 0, v7, vcc_lo
	s_mov_b32 vcc_lo, s2
	v_cndmask_b32_sdwa v7, v56, v7, vcc_lo dst_sel:DWORD dst_unused:UNUSED_PAD src0_sel:DWORD src1_sel:WORD_1
	v_cmp_gt_i32_e32 vcc_lo, s11, v62
	v_perm_b32 v7, v7, v13, 0x5040100
	v_cndmask_b32_e32 v14, 0, v8, vcc_lo
	s_mov_b32 vcc_lo, s1
	v_cndmask_b32_sdwa v8, v56, v8, vcc_lo dst_sel:DWORD dst_unused:UNUSED_PAD src0_sel:DWORD src1_sel:WORD_1
	v_perm_b32 v8, v8, v14, 0x5040100
	s_or_b32 exec_lo, exec_lo, s15
	global_load_dwordx4 v[13:16], v[9:10], off offset:1024
	s_and_saveexec_b32 s15, s0
	s_cbranch_execz .LBB154_29
.LBB154_37:                             ;   in Loop: Header=BB154_26 Depth=1
	v_cmp_gt_i32_e64 s1, s11, v59
	v_cmp_gt_i32_e32 vcc_lo, s14, v68
	v_cmp_gt_i32_e64 s2, s11, v67
	s_waitcnt vmcnt(0)
	v_cndmask_b32_e64 v11, 0, v13, s1
	v_cmp_gt_i32_e64 s1, s14, v66
	v_cndmask_b32_sdwa v13, v56, v13, vcc_lo dst_sel:DWORD dst_unused:UNUSED_PAD src0_sel:DWORD src1_sel:WORD_1
	v_cndmask_b32_e64 v12, 0, v14, s2
	v_cmp_gt_i32_e64 s2, s14, v65
	s_mov_b32 vcc_lo, s1
	v_cmp_gt_i32_e64 s1, s14, v63
	v_cndmask_b32_sdwa v14, v56, v14, vcc_lo dst_sel:DWORD dst_unused:UNUSED_PAD src0_sel:DWORD src1_sel:WORD_1
	v_cmp_gt_i32_e32 vcc_lo, s11, v64
	v_perm_b32 v13, v13, v11, 0x5040100
	v_perm_b32 v14, v14, v12, 0x5040100
	v_cndmask_b32_e32 v17, 0, v15, vcc_lo
	s_mov_b32 vcc_lo, s2
	v_cndmask_b32_sdwa v15, v56, v15, vcc_lo dst_sel:DWORD dst_unused:UNUSED_PAD src0_sel:DWORD src1_sel:WORD_1
	v_cmp_gt_i32_e32 vcc_lo, s11, v62
	v_perm_b32 v15, v15, v17, 0x5040100
	v_cndmask_b32_e32 v18, 0, v16, vcc_lo
	s_mov_b32 vcc_lo, s1
	v_cndmask_b32_sdwa v16, v56, v16, vcc_lo dst_sel:DWORD dst_unused:UNUSED_PAD src0_sel:DWORD src1_sel:WORD_1
	v_perm_b32 v16, v16, v18, 0x5040100
	s_or_b32 exec_lo, exec_lo, s15
	global_load_dwordx4 v[17:20], v[9:10], off offset:1536
	s_and_saveexec_b32 s15, s0
	s_cbranch_execnz .LBB154_30
	s_branch .LBB154_31
.LBB154_38:                             ;   in Loop: Header=BB154_26 Depth=1
	v_cmp_gt_i32_e64 s1, s11, v59
	v_cmp_gt_i32_e32 vcc_lo, s14, v68
	v_cmp_gt_i32_e64 s2, s11, v67
	s_waitcnt vmcnt(0)
	v_cndmask_b32_e64 v11, 0, v21, s1
	v_cmp_gt_i32_e64 s1, s14, v66
	v_cndmask_b32_sdwa v21, v56, v21, vcc_lo dst_sel:DWORD dst_unused:UNUSED_PAD src0_sel:DWORD src1_sel:WORD_1
	v_cndmask_b32_e64 v12, 0, v22, s2
	v_cmp_gt_i32_e64 s2, s14, v65
	s_mov_b32 vcc_lo, s1
	v_cmp_gt_i32_e64 s1, s14, v63
	v_cndmask_b32_sdwa v22, v56, v22, vcc_lo dst_sel:DWORD dst_unused:UNUSED_PAD src0_sel:DWORD src1_sel:WORD_1
	v_cmp_gt_i32_e32 vcc_lo, s11, v64
	v_perm_b32 v21, v21, v11, 0x5040100
	v_perm_b32 v22, v22, v12, 0x5040100
	v_cndmask_b32_e32 v33, 0, v23, vcc_lo
	s_mov_b32 vcc_lo, s2
	v_cndmask_b32_sdwa v23, v56, v23, vcc_lo dst_sel:DWORD dst_unused:UNUSED_PAD src0_sel:DWORD src1_sel:WORD_1
	v_cmp_gt_i32_e32 vcc_lo, s11, v62
	v_perm_b32 v23, v23, v33, 0x5040100
	v_cndmask_b32_e32 v34, 0, v24, vcc_lo
	s_mov_b32 vcc_lo, s1
	v_cndmask_b32_sdwa v24, v56, v24, vcc_lo dst_sel:DWORD dst_unused:UNUSED_PAD src0_sel:DWORD src1_sel:WORD_1
	v_perm_b32 v24, v24, v34, 0x5040100
	s_or_b32 exec_lo, exec_lo, s15
	global_load_dwordx4 v[33:36], v[9:10], off offset:512
	s_and_saveexec_b32 s15, s0
	s_cbranch_execz .LBB154_33
.LBB154_39:                             ;   in Loop: Header=BB154_26 Depth=1
	v_cmp_gt_i32_e64 s1, s11, v59
	v_cmp_gt_i32_e32 vcc_lo, s14, v68
	v_cmp_gt_i32_e64 s2, s11, v67
	s_waitcnt vmcnt(0)
	v_cndmask_b32_e64 v11, 0, v33, s1
	v_cmp_gt_i32_e64 s1, s14, v66
	v_cndmask_b32_sdwa v33, v56, v33, vcc_lo dst_sel:DWORD dst_unused:UNUSED_PAD src0_sel:DWORD src1_sel:WORD_1
	v_cndmask_b32_e64 v12, 0, v34, s2
	v_cmp_gt_i32_e64 s2, s14, v65
	s_mov_b32 vcc_lo, s1
	v_cmp_gt_i32_e64 s1, s14, v63
	v_cndmask_b32_sdwa v34, v56, v34, vcc_lo dst_sel:DWORD dst_unused:UNUSED_PAD src0_sel:DWORD src1_sel:WORD_1
	v_cmp_gt_i32_e32 vcc_lo, s11, v64
	v_perm_b32 v33, v33, v11, 0x5040100
	v_perm_b32 v34, v34, v12, 0x5040100
	v_cndmask_b32_e32 v37, 0, v35, vcc_lo
	s_mov_b32 vcc_lo, s2
	v_cndmask_b32_sdwa v35, v56, v35, vcc_lo dst_sel:DWORD dst_unused:UNUSED_PAD src0_sel:DWORD src1_sel:WORD_1
	v_cmp_gt_i32_e32 vcc_lo, s11, v62
	v_perm_b32 v35, v35, v37, 0x5040100
	v_cndmask_b32_e32 v38, 0, v36, vcc_lo
	s_mov_b32 vcc_lo, s1
	v_cndmask_b32_sdwa v36, v56, v36, vcc_lo dst_sel:DWORD dst_unused:UNUSED_PAD src0_sel:DWORD src1_sel:WORD_1
	v_perm_b32 v36, v36, v38, 0x5040100
	s_or_b32 exec_lo, exec_lo, s15
	global_load_dwordx4 v[37:40], v[9:10], off offset:1024
	s_and_saveexec_b32 s15, s0
	s_cbranch_execz .LBB154_34
.LBB154_40:                             ;   in Loop: Header=BB154_26 Depth=1
	v_cmp_gt_i32_e64 s1, s11, v59
	v_cmp_gt_i32_e32 vcc_lo, s14, v68
	v_cmp_gt_i32_e64 s2, s11, v67
	s_waitcnt vmcnt(0)
	v_cndmask_b32_e64 v11, 0, v37, s1
	v_cmp_gt_i32_e64 s1, s14, v66
	v_cndmask_b32_sdwa v37, v56, v37, vcc_lo dst_sel:DWORD dst_unused:UNUSED_PAD src0_sel:DWORD src1_sel:WORD_1
	v_cndmask_b32_e64 v12, 0, v38, s2
	v_cmp_gt_i32_e64 s2, s14, v65
	s_mov_b32 vcc_lo, s1
	v_cmp_gt_i32_e64 s1, s14, v63
	v_cndmask_b32_sdwa v38, v56, v38, vcc_lo dst_sel:DWORD dst_unused:UNUSED_PAD src0_sel:DWORD src1_sel:WORD_1
	v_cmp_gt_i32_e32 vcc_lo, s11, v64
	v_perm_b32 v37, v37, v11, 0x5040100
	v_perm_b32 v38, v38, v12, 0x5040100
	v_cndmask_b32_e32 v69, 0, v39, vcc_lo
	s_mov_b32 vcc_lo, s2
	v_cndmask_b32_sdwa v39, v56, v39, vcc_lo dst_sel:DWORD dst_unused:UNUSED_PAD src0_sel:DWORD src1_sel:WORD_1
	v_cmp_gt_i32_e32 vcc_lo, s11, v62
	v_perm_b32 v39, v39, v69, 0x5040100
	v_cndmask_b32_e32 v70, 0, v40, vcc_lo
	s_mov_b32 vcc_lo, s1
	v_cndmask_b32_sdwa v40, v56, v40, vcc_lo dst_sel:DWORD dst_unused:UNUSED_PAD src0_sel:DWORD src1_sel:WORD_1
	v_perm_b32 v40, v40, v70, 0x5040100
	s_or_b32 exec_lo, exec_lo, s15
	global_load_dwordx4 v[9:12], v[9:10], off offset:1536
	s_and_saveexec_b32 s2, s0
	s_cbranch_execz .LBB154_25
.LBB154_41:                             ;   in Loop: Header=BB154_26 Depth=1
	v_cmp_gt_i32_e64 s0, s11, v59
	v_cmp_gt_i32_e32 vcc_lo, s14, v68
	v_cmp_gt_i32_e64 s1, s11, v67
	s_waitcnt vmcnt(0)
	v_cndmask_b32_e64 v68, 0, v9, s0
	v_cmp_gt_i32_e64 s0, s14, v66
	v_cndmask_b32_sdwa v9, v56, v9, vcc_lo dst_sel:DWORD dst_unused:UNUSED_PAD src0_sel:DWORD src1_sel:WORD_1
	v_cndmask_b32_e64 v66, 0, v10, s1
	v_cmp_gt_i32_e64 s1, s14, v65
	s_mov_b32 vcc_lo, s0
	v_cmp_gt_i32_e64 s0, s14, v63
	v_cndmask_b32_sdwa v10, v56, v10, vcc_lo dst_sel:DWORD dst_unused:UNUSED_PAD src0_sel:DWORD src1_sel:WORD_1
	v_cmp_gt_i32_e32 vcc_lo, s11, v64
	v_perm_b32 v9, v9, v68, 0x5040100
	v_perm_b32 v10, v10, v66, 0x5040100
	v_cndmask_b32_e32 v64, 0, v11, vcc_lo
	s_mov_b32 vcc_lo, s1
	v_cndmask_b32_sdwa v11, v56, v11, vcc_lo dst_sel:DWORD dst_unused:UNUSED_PAD src0_sel:DWORD src1_sel:WORD_1
	v_cmp_gt_i32_e32 vcc_lo, s11, v62
	v_perm_b32 v11, v11, v64, 0x5040100
	v_cndmask_b32_e32 v62, 0, v12, vcc_lo
	s_mov_b32 vcc_lo, s0
	v_cndmask_b32_sdwa v12, v56, v12, vcc_lo dst_sel:DWORD dst_unused:UNUSED_PAD src0_sel:DWORD src1_sel:WORD_1
	v_perm_b32 v12, v12, v62, 0x5040100
	s_branch .LBB154_25
.LBB154_42:
	s_or_b32 exec_lo, exec_lo, s13
.LBB154_43:
	s_or_b32 exec_lo, exec_lo, s3
	ds_bpermute_b32 v1, v46, v53
	ds_bpermute_b32 v2, v46, v55
	ds_bpermute_b32 v3, v46, v54
	ds_bpermute_b32 v4, v46, v52
	ds_bpermute_b32 v5, v46, v51
	ds_bpermute_b32 v6, v46, v50
	ds_bpermute_b32 v7, v46, v49
	ds_bpermute_b32 v8, v46, v48
	v_lshrrev_b32_e32 v9, 2, v44
	v_lshlrev_b32_e32 v11, 8, v43
	v_and_b32_e32 v22, 0x3c3, v0
	s_mov_b32 s0, exec_lo
	s_waitcnt lgkmcnt(0)
	s_barrier
	buffer_gl0_inv
	v_add_f32_e32 v1, v53, v1
	v_add_f32_e32 v2, v55, v2
	;; [unrolled: 1-line block ×8, first 2 shown]
	ds_bpermute_b32 v5, v45, v1
	ds_bpermute_b32 v6, v45, v2
	;; [unrolled: 1-line block ×8, first 2 shown]
	v_and_b32_e32 v7, 28, v44
	v_add_nc_u32_e32 v10, 0xa0, v7
	s_waitcnt lgkmcnt(7)
	v_add_f32_e32 v8, v1, v5
	s_waitcnt lgkmcnt(6)
	v_add_f32_e32 v7, v2, v6
	;; [unrolled: 2-line block ×8, first 2 shown]
	v_cmpx_eq_u32_e32 64, v22
	s_cbranch_execz .LBB154_45
; %bb.44:
	v_add_nc_u32_e32 v12, v10, v11
	v_add_nc_u32_e32 v13, 0xfffffe00, v12
	;; [unrolled: 1-line block ×9, first 2 shown]
	ds_write_b32 v13, v8
	ds_write_b32 v14, v7
	ds_write_b32 v15, v6
	ds_write_b32 v16, v5
	ds_write_b32 v17, v4
	ds_write_b32 v18, v3
	ds_write_b32 v19, v2
	ds_write_b32 v12, v1
.LBB154_45:
	s_or_b32 exec_lo, exec_lo, s0
	v_lshlrev_b32_e32 v9, 2, v9
	s_mov_b32 s1, exec_lo
	v_cmp_eq_u32_e32 vcc_lo, 0, v47
	s_waitcnt lgkmcnt(0)
	s_barrier
	v_add3_u32 v9, 0xa0, v11, v9
	buffer_gl0_inv
	v_cmpx_gt_u32_e32 64, v0
	s_cbranch_execz .LBB154_56
; %bb.46:
	s_and_saveexec_b32 s0, vcc_lo
	s_cbranch_execnz .LBB154_72
; %bb.47:
	s_or_b32 exec_lo, exec_lo, s0
	s_and_saveexec_b32 s0, vcc_lo
	s_cbranch_execnz .LBB154_73
.LBB154_48:
	s_or_b32 exec_lo, exec_lo, s0
	s_and_saveexec_b32 s0, vcc_lo
	s_cbranch_execnz .LBB154_74
.LBB154_49:
	s_or_b32 exec_lo, exec_lo, s0
	s_and_saveexec_b32 s0, vcc_lo
	s_cbranch_execnz .LBB154_75
.LBB154_50:
	s_or_b32 exec_lo, exec_lo, s0
	s_and_saveexec_b32 s0, vcc_lo
	s_cbranch_execnz .LBB154_76
.LBB154_51:
	s_or_b32 exec_lo, exec_lo, s0
	s_and_saveexec_b32 s0, vcc_lo
	s_cbranch_execnz .LBB154_77
.LBB154_52:
	s_or_b32 exec_lo, exec_lo, s0
	s_and_saveexec_b32 s0, vcc_lo
	s_cbranch_execnz .LBB154_78
.LBB154_53:
	s_or_b32 exec_lo, exec_lo, s0
	s_and_saveexec_b32 s0, vcc_lo
	s_cbranch_execz .LBB154_55
.LBB154_54:
	ds_read_b32 v11, v9 offset:224
	s_waitcnt lgkmcnt(0)
	v_add_f32_e32 v1, v1, v11
.LBB154_55:
	s_or_b32 exec_lo, exec_lo, s0
.LBB154_56:
	s_or_b32 exec_lo, exec_lo, s1
	v_and_b32_e32 v11, 0x3e3, v0
	s_mov_b32 s1, exec_lo
	s_barrier
	buffer_gl0_inv
	v_cmpx_eq_u32_e32 32, v11
	s_cbranch_execz .LBB154_58
; %bb.57:
	ds_write2_b32 v10, v8, v7 offset1:8
	ds_write2_b32 v10, v6, v5 offset0:16 offset1:24
	ds_write2_b32 v10, v4, v3 offset0:32 offset1:40
	;; [unrolled: 1-line block ×3, first 2 shown]
.LBB154_58:
	s_or_b32 exec_lo, exec_lo, s1
	s_mov_b32 s1, exec_lo
	s_waitcnt lgkmcnt(0)
	s_barrier
	buffer_gl0_inv
	v_cmpx_gt_u32_e32 32, v0
	s_cbranch_execz .LBB154_69
; %bb.59:
	s_and_saveexec_b32 s0, vcc_lo
	s_cbranch_execnz .LBB154_79
; %bb.60:
	s_or_b32 exec_lo, exec_lo, s0
	s_and_saveexec_b32 s0, vcc_lo
	s_cbranch_execnz .LBB154_80
.LBB154_61:
	s_or_b32 exec_lo, exec_lo, s0
	s_and_saveexec_b32 s0, vcc_lo
	s_cbranch_execnz .LBB154_81
.LBB154_62:
	s_or_b32 exec_lo, exec_lo, s0
	s_and_saveexec_b32 s0, vcc_lo
	s_cbranch_execnz .LBB154_82
.LBB154_63:
	s_or_b32 exec_lo, exec_lo, s0
	s_and_saveexec_b32 s0, vcc_lo
	s_cbranch_execnz .LBB154_83
.LBB154_64:
	s_or_b32 exec_lo, exec_lo, s0
	s_and_saveexec_b32 s0, vcc_lo
	s_cbranch_execnz .LBB154_84
.LBB154_65:
	s_or_b32 exec_lo, exec_lo, s0
	s_and_saveexec_b32 s0, vcc_lo
	s_cbranch_execnz .LBB154_85
.LBB154_66:
	s_or_b32 exec_lo, exec_lo, s0
	s_and_saveexec_b32 s0, vcc_lo
	s_cbranch_execz .LBB154_68
.LBB154_67:
	ds_read_b32 v9, v9 offset:224
	s_waitcnt lgkmcnt(0)
	v_add_f32_e32 v1, v1, v9
.LBB154_68:
	s_or_b32 exec_lo, exec_lo, s0
.LBB154_69:
	s_or_b32 exec_lo, exec_lo, s1
	s_barrier
	buffer_gl0_inv
	s_mov_b32 s0, exec_lo
	v_cmpx_eq_u32_e32 0, v11
	s_cbranch_execz .LBB154_71
; %bb.70:
	s_mul_i32 s0, s10, s7
	s_mul_i32 s2, s7, s6
	;; [unrolled: 1-line block ×3, first 2 shown]
	v_bfe_u32 v9, v8, 16, 1
	s_lshl_b32 s0, s0, 6
	v_or_b32_e32 v10, 0x400000, v8
	s_ashr_i32 s1, s0, 31
	v_bfe_u32 v11, v7, 16, 1
	s_lshl_b64 s[0:1], s[0:1], 1
	v_add3_u32 v9, v9, v8, 0x7fff
	s_add_u32 s4, s16, s0
	s_addc_u32 s5, s17, s1
	s_ashr_i32 s3, s2, 31
	v_cmp_u_f32_e32 vcc_lo, v8, v8
	s_lshl_b64 s[0:1], s[2:3], 1
	v_lshrrev_b32_e32 v0, 1, v0
	s_add_u32 s2, s4, s0
	s_addc_u32 s3, s5, s1
	s_lshl_b32 s0, s8, 6
	v_cndmask_b32_e32 v8, v9, v10, vcc_lo
	s_ashr_i32 s1, s0, 31
	v_bfe_u32 v9, v6, 16, 1
	s_lshl_b64 s[0:1], s[0:1], 1
	v_add3_u32 v10, v11, v7, 0x7fff
	v_or_b32_e32 v11, 0x400000, v7
	v_cmp_u_f32_e32 vcc_lo, v7, v7
	s_add_u32 s0, s2, s0
	s_addc_u32 s1, s3, s1
	global_store_short_d16_hi v0, v8, s[0:1]
	v_add3_u32 v8, v9, v6, 0x7fff
	v_or_b32_e32 v9, 0x400000, v6
	v_cndmask_b32_e32 v7, v10, v11, vcc_lo
	v_bfe_u32 v10, v5, 16, 1
	v_cmp_u_f32_e32 vcc_lo, v6, v6
	v_or_b32_e32 v11, 0x400000, v1
	global_store_short_d16_hi v0, v7, s[0:1] offset:16
	v_add3_u32 v7, v10, v5, 0x7fff
	v_cndmask_b32_e32 v6, v8, v9, vcc_lo
	v_bfe_u32 v8, v4, 16, 1
	v_or_b32_e32 v9, 0x400000, v5
	v_cmp_u_f32_e32 vcc_lo, v5, v5
	v_or_b32_e32 v10, 0x400000, v2
	global_store_short_d16_hi v0, v6, s[0:1] offset:32
	v_add3_u32 v6, v8, v4, 0x7fff
	v_or_b32_e32 v8, 0x400000, v4
	v_cndmask_b32_e32 v5, v7, v9, vcc_lo
	v_bfe_u32 v7, v3, 16, 1
	v_cmp_u_f32_e32 vcc_lo, v4, v4
	v_bfe_u32 v9, v2, 16, 1
	v_add3_u32 v7, v7, v3, 0x7fff
	v_cndmask_b32_e32 v4, v6, v8, vcc_lo
	v_or_b32_e32 v8, 0x400000, v3
	v_cmp_u_f32_e32 vcc_lo, v3, v3
	v_bfe_u32 v6, v1, 16, 1
	v_add3_u32 v9, v9, v2, 0x7fff
	v_cndmask_b32_e32 v3, v7, v8, vcc_lo
	v_cmp_u_f32_e32 vcc_lo, v2, v2
	v_add3_u32 v6, v6, v1, 0x7fff
	v_cndmask_b32_e32 v2, v9, v10, vcc_lo
	v_cmp_u_f32_e32 vcc_lo, v1, v1
	v_cndmask_b32_e32 v1, v6, v11, vcc_lo
	global_store_short_d16_hi v0, v5, s[0:1] offset:48
	global_store_short_d16_hi v0, v4, s[0:1] offset:64
	;; [unrolled: 1-line block ×5, first 2 shown]
.LBB154_71:
	s_endpgm
.LBB154_72:
	ds_read_b32 v11, v9
	s_waitcnt lgkmcnt(0)
	v_add_f32_e32 v8, v8, v11
	s_or_b32 exec_lo, exec_lo, s0
	s_and_saveexec_b32 s0, vcc_lo
	s_cbranch_execz .LBB154_48
.LBB154_73:
	ds_read_b32 v11, v9 offset:32
	s_waitcnt lgkmcnt(0)
	v_add_f32_e32 v7, v7, v11
	s_or_b32 exec_lo, exec_lo, s0
	s_and_saveexec_b32 s0, vcc_lo
	s_cbranch_execz .LBB154_49
.LBB154_74:
	ds_read_b32 v11, v9 offset:64
	s_waitcnt lgkmcnt(0)
	v_add_f32_e32 v6, v6, v11
	s_or_b32 exec_lo, exec_lo, s0
	s_and_saveexec_b32 s0, vcc_lo
	s_cbranch_execz .LBB154_50
.LBB154_75:
	ds_read_b32 v11, v9 offset:96
	s_waitcnt lgkmcnt(0)
	v_add_f32_e32 v5, v5, v11
	s_or_b32 exec_lo, exec_lo, s0
	s_and_saveexec_b32 s0, vcc_lo
	s_cbranch_execz .LBB154_51
.LBB154_76:
	ds_read_b32 v11, v9 offset:128
	s_waitcnt lgkmcnt(0)
	v_add_f32_e32 v4, v4, v11
	s_or_b32 exec_lo, exec_lo, s0
	s_and_saveexec_b32 s0, vcc_lo
	s_cbranch_execz .LBB154_52
.LBB154_77:
	ds_read_b32 v11, v9 offset:160
	s_waitcnt lgkmcnt(0)
	v_add_f32_e32 v3, v3, v11
	s_or_b32 exec_lo, exec_lo, s0
	s_and_saveexec_b32 s0, vcc_lo
	s_cbranch_execz .LBB154_53
.LBB154_78:
	ds_read_b32 v11, v9 offset:192
	s_waitcnt lgkmcnt(0)
	v_add_f32_e32 v2, v2, v11
	s_or_b32 exec_lo, exec_lo, s0
	s_and_saveexec_b32 s0, vcc_lo
	s_cbranch_execnz .LBB154_54
	s_branch .LBB154_55
.LBB154_79:
	ds_read_b32 v10, v9
	s_waitcnt lgkmcnt(0)
	v_add_f32_e32 v8, v8, v10
	s_or_b32 exec_lo, exec_lo, s0
	s_and_saveexec_b32 s0, vcc_lo
	s_cbranch_execz .LBB154_61
.LBB154_80:
	ds_read_b32 v10, v9 offset:32
	s_waitcnt lgkmcnt(0)
	v_add_f32_e32 v7, v7, v10
	s_or_b32 exec_lo, exec_lo, s0
	s_and_saveexec_b32 s0, vcc_lo
	s_cbranch_execz .LBB154_62
.LBB154_81:
	ds_read_b32 v10, v9 offset:64
	s_waitcnt lgkmcnt(0)
	v_add_f32_e32 v6, v6, v10
	s_or_b32 exec_lo, exec_lo, s0
	s_and_saveexec_b32 s0, vcc_lo
	s_cbranch_execz .LBB154_63
.LBB154_82:
	ds_read_b32 v10, v9 offset:96
	s_waitcnt lgkmcnt(0)
	v_add_f32_e32 v5, v5, v10
	s_or_b32 exec_lo, exec_lo, s0
	s_and_saveexec_b32 s0, vcc_lo
	s_cbranch_execz .LBB154_64
.LBB154_83:
	ds_read_b32 v10, v9 offset:128
	s_waitcnt lgkmcnt(0)
	v_add_f32_e32 v4, v4, v10
	s_or_b32 exec_lo, exec_lo, s0
	s_and_saveexec_b32 s0, vcc_lo
	s_cbranch_execz .LBB154_65
.LBB154_84:
	ds_read_b32 v10, v9 offset:160
	s_waitcnt lgkmcnt(0)
	v_add_f32_e32 v3, v3, v10
	s_or_b32 exec_lo, exec_lo, s0
	s_and_saveexec_b32 s0, vcc_lo
	s_cbranch_execz .LBB154_66
.LBB154_85:
	ds_read_b32 v10, v9 offset:192
	s_waitcnt lgkmcnt(0)
	v_add_f32_e32 v2, v2, v10
	s_or_b32 exec_lo, exec_lo, s0
	s_and_saveexec_b32 s0, vcc_lo
	s_cbranch_execnz .LBB154_67
	s_branch .LBB154_68
	.section	.rodata,"a",@progbits
	.p2align	6, 0x0
	.amdhsa_kernel _ZN4vllm25paged_attention_v1_kernelI14__hip_bfloat16S1_Li64ELi32ELi128ELNS_18Fp8KVCacheDataTypeE0ELb0EEEvPT_PKS3_PKT0_S9_ifPKiSB_iPKfiiiSD_SD_iiiii
		.amdhsa_group_segment_fixed_size 160
		.amdhsa_private_segment_fixed_size 0
		.amdhsa_kernarg_size 384
		.amdhsa_user_sgpr_count 6
		.amdhsa_user_sgpr_private_segment_buffer 1
		.amdhsa_user_sgpr_dispatch_ptr 0
		.amdhsa_user_sgpr_queue_ptr 0
		.amdhsa_user_sgpr_kernarg_segment_ptr 1
		.amdhsa_user_sgpr_dispatch_id 0
		.amdhsa_user_sgpr_flat_scratch_init 0
		.amdhsa_user_sgpr_private_segment_size 0
		.amdhsa_wavefront_size32 1
		.amdhsa_uses_dynamic_stack 0
		.amdhsa_system_sgpr_private_segment_wavefront_offset 0
		.amdhsa_system_sgpr_workgroup_id_x 1
		.amdhsa_system_sgpr_workgroup_id_y 1
		.amdhsa_system_sgpr_workgroup_id_z 1
		.amdhsa_system_sgpr_workgroup_info 0
		.amdhsa_system_vgpr_workitem_id 0
		.amdhsa_next_free_vgpr 113
		.amdhsa_next_free_sgpr 28
		.amdhsa_reserve_vcc 1
		.amdhsa_reserve_flat_scratch 0
		.amdhsa_float_round_mode_32 0
		.amdhsa_float_round_mode_16_64 0
		.amdhsa_float_denorm_mode_32 3
		.amdhsa_float_denorm_mode_16_64 3
		.amdhsa_dx10_clamp 1
		.amdhsa_ieee_mode 1
		.amdhsa_fp16_overflow 0
		.amdhsa_workgroup_processor_mode 1
		.amdhsa_memory_ordered 1
		.amdhsa_forward_progress 1
		.amdhsa_shared_vgpr_count 0
		.amdhsa_exception_fp_ieee_invalid_op 0
		.amdhsa_exception_fp_denorm_src 0
		.amdhsa_exception_fp_ieee_div_zero 0
		.amdhsa_exception_fp_ieee_overflow 0
		.amdhsa_exception_fp_ieee_underflow 0
		.amdhsa_exception_fp_ieee_inexact 0
		.amdhsa_exception_int_div_zero 0
	.end_amdhsa_kernel
	.section	.text._ZN4vllm25paged_attention_v1_kernelI14__hip_bfloat16S1_Li64ELi32ELi128ELNS_18Fp8KVCacheDataTypeE0ELb0EEEvPT_PKS3_PKT0_S9_ifPKiSB_iPKfiiiSD_SD_iiiii,"axG",@progbits,_ZN4vllm25paged_attention_v1_kernelI14__hip_bfloat16S1_Li64ELi32ELi128ELNS_18Fp8KVCacheDataTypeE0ELb0EEEvPT_PKS3_PKT0_S9_ifPKiSB_iPKfiiiSD_SD_iiiii,comdat
.Lfunc_end154:
	.size	_ZN4vllm25paged_attention_v1_kernelI14__hip_bfloat16S1_Li64ELi32ELi128ELNS_18Fp8KVCacheDataTypeE0ELb0EEEvPT_PKS3_PKT0_S9_ifPKiSB_iPKfiiiSD_SD_iiiii, .Lfunc_end154-_ZN4vllm25paged_attention_v1_kernelI14__hip_bfloat16S1_Li64ELi32ELi128ELNS_18Fp8KVCacheDataTypeE0ELb0EEEvPT_PKS3_PKT0_S9_ifPKiSB_iPKfiiiSD_SD_iiiii
                                        ; -- End function
	.set _ZN4vllm25paged_attention_v1_kernelI14__hip_bfloat16S1_Li64ELi32ELi128ELNS_18Fp8KVCacheDataTypeE0ELb0EEEvPT_PKS3_PKT0_S9_ifPKiSB_iPKfiiiSD_SD_iiiii.num_vgpr, 113
	.set _ZN4vllm25paged_attention_v1_kernelI14__hip_bfloat16S1_Li64ELi32ELi128ELNS_18Fp8KVCacheDataTypeE0ELb0EEEvPT_PKS3_PKT0_S9_ifPKiSB_iPKfiiiSD_SD_iiiii.num_agpr, 0
	.set _ZN4vllm25paged_attention_v1_kernelI14__hip_bfloat16S1_Li64ELi32ELi128ELNS_18Fp8KVCacheDataTypeE0ELb0EEEvPT_PKS3_PKT0_S9_ifPKiSB_iPKfiiiSD_SD_iiiii.numbered_sgpr, 28
	.set _ZN4vllm25paged_attention_v1_kernelI14__hip_bfloat16S1_Li64ELi32ELi128ELNS_18Fp8KVCacheDataTypeE0ELb0EEEvPT_PKS3_PKT0_S9_ifPKiSB_iPKfiiiSD_SD_iiiii.num_named_barrier, 0
	.set _ZN4vllm25paged_attention_v1_kernelI14__hip_bfloat16S1_Li64ELi32ELi128ELNS_18Fp8KVCacheDataTypeE0ELb0EEEvPT_PKS3_PKT0_S9_ifPKiSB_iPKfiiiSD_SD_iiiii.private_seg_size, 0
	.set _ZN4vllm25paged_attention_v1_kernelI14__hip_bfloat16S1_Li64ELi32ELi128ELNS_18Fp8KVCacheDataTypeE0ELb0EEEvPT_PKS3_PKT0_S9_ifPKiSB_iPKfiiiSD_SD_iiiii.uses_vcc, 1
	.set _ZN4vllm25paged_attention_v1_kernelI14__hip_bfloat16S1_Li64ELi32ELi128ELNS_18Fp8KVCacheDataTypeE0ELb0EEEvPT_PKS3_PKT0_S9_ifPKiSB_iPKfiiiSD_SD_iiiii.uses_flat_scratch, 0
	.set _ZN4vllm25paged_attention_v1_kernelI14__hip_bfloat16S1_Li64ELi32ELi128ELNS_18Fp8KVCacheDataTypeE0ELb0EEEvPT_PKS3_PKT0_S9_ifPKiSB_iPKfiiiSD_SD_iiiii.has_dyn_sized_stack, 0
	.set _ZN4vllm25paged_attention_v1_kernelI14__hip_bfloat16S1_Li64ELi32ELi128ELNS_18Fp8KVCacheDataTypeE0ELb0EEEvPT_PKS3_PKT0_S9_ifPKiSB_iPKfiiiSD_SD_iiiii.has_recursion, 0
	.set _ZN4vllm25paged_attention_v1_kernelI14__hip_bfloat16S1_Li64ELi32ELi128ELNS_18Fp8KVCacheDataTypeE0ELb0EEEvPT_PKS3_PKT0_S9_ifPKiSB_iPKfiiiSD_SD_iiiii.has_indirect_call, 0
	.section	.AMDGPU.csdata,"",@progbits
; Kernel info:
; codeLenInByte = 10780
; TotalNumSgprs: 30
; NumVgprs: 113
; ScratchSize: 0
; MemoryBound: 0
; FloatMode: 240
; IeeeMode: 1
; LDSByteSize: 160 bytes/workgroup (compile time only)
; SGPRBlocks: 0
; VGPRBlocks: 14
; NumSGPRsForWavesPerEU: 30
; NumVGPRsForWavesPerEU: 113
; Occupancy: 8
; WaveLimiterHint : 1
; COMPUTE_PGM_RSRC2:SCRATCH_EN: 0
; COMPUTE_PGM_RSRC2:USER_SGPR: 6
; COMPUTE_PGM_RSRC2:TRAP_HANDLER: 0
; COMPUTE_PGM_RSRC2:TGID_X_EN: 1
; COMPUTE_PGM_RSRC2:TGID_Y_EN: 1
; COMPUTE_PGM_RSRC2:TGID_Z_EN: 1
; COMPUTE_PGM_RSRC2:TIDIG_COMP_CNT: 0
	.section	.text._ZN4vllm25paged_attention_v1_kernelI14__hip_bfloat16S1_Li80ELi32ELi128ELNS_18Fp8KVCacheDataTypeE0ELb0EEEvPT_PKS3_PKT0_S9_ifPKiSB_iPKfiiiSD_SD_iiiii,"axG",@progbits,_ZN4vllm25paged_attention_v1_kernelI14__hip_bfloat16S1_Li80ELi32ELi128ELNS_18Fp8KVCacheDataTypeE0ELb0EEEvPT_PKS3_PKT0_S9_ifPKiSB_iPKfiiiSD_SD_iiiii,comdat
	.protected	_ZN4vllm25paged_attention_v1_kernelI14__hip_bfloat16S1_Li80ELi32ELi128ELNS_18Fp8KVCacheDataTypeE0ELb0EEEvPT_PKS3_PKT0_S9_ifPKiSB_iPKfiiiSD_SD_iiiii ; -- Begin function _ZN4vllm25paged_attention_v1_kernelI14__hip_bfloat16S1_Li80ELi32ELi128ELNS_18Fp8KVCacheDataTypeE0ELb0EEEvPT_PKS3_PKT0_S9_ifPKiSB_iPKfiiiSD_SD_iiiii
	.globl	_ZN4vllm25paged_attention_v1_kernelI14__hip_bfloat16S1_Li80ELi32ELi128ELNS_18Fp8KVCacheDataTypeE0ELb0EEEvPT_PKS3_PKT0_S9_ifPKiSB_iPKfiiiSD_SD_iiiii
	.p2align	8
	.type	_ZN4vllm25paged_attention_v1_kernelI14__hip_bfloat16S1_Li80ELi32ELi128ELNS_18Fp8KVCacheDataTypeE0ELb0EEEvPT_PKS3_PKT0_S9_ifPKiSB_iPKfiiiSD_SD_iiiii,@function
_ZN4vllm25paged_attention_v1_kernelI14__hip_bfloat16S1_Li80ELi32ELi128ELNS_18Fp8KVCacheDataTypeE0ELb0EEEvPT_PKS3_PKT0_S9_ifPKiSB_iPKfiiiSD_SD_iiiii: ; @_ZN4vllm25paged_attention_v1_kernelI14__hip_bfloat16S1_Li80ELi32ELi128ELNS_18Fp8KVCacheDataTypeE0ELb0EEEvPT_PKS3_PKT0_S9_ifPKiSB_iPKfiiiSD_SD_iiiii
; %bb.0:
	s_mov_b64 s[30:31], s[2:3]
	s_mov_b64 s[28:29], s[0:1]
	s_mov_b32 s10, s7
	s_add_u32 s28, s28, s9
	s_clause 0x2
	s_load_dword s9, s[4:5], 0x80
	s_load_dwordx2 s[0:1], s[4:5], 0x30
	s_load_dwordx2 s[2:3], s[4:5], 0x20
	s_addc_u32 s29, s29, 0
	s_ashr_i32 s11, s7, 31
	v_mov_b32_e32 v78, v0
	s_lshl_b64 s[12:13], s[10:11], 2
	s_mov_b32 s24, 0
	s_waitcnt lgkmcnt(0)
	s_add_u32 s0, s0, s12
	s_addc_u32 s1, s1, s13
	s_abs_i32 s7, s2
	s_abs_i32 s13, s9
	v_cvt_f32_u32_e32 v0, s7
	s_sub_i32 s12, 0, s7
	s_xor_b32 s2, s9, s2
	s_ashr_i32 s2, s2, 31
	v_rcp_iflag_f32_e32 v0, v0
	v_mul_f32_e32 v0, 0x4f7ffffe, v0
	v_cvt_u32_f32_e32 v0, v0
	v_readfirstlane_b32 s11, v0
	s_mul_i32 s12, s12, s11
	s_mul_hi_u32 s12, s11, s12
	s_add_i32 s11, s11, s12
	s_mul_hi_u32 s11, s13, s11
	s_mul_i32 s12, s11, s7
	s_sub_i32 s12, s13, s12
	s_add_i32 s13, s11, 1
	s_sub_i32 s14, s12, s7
	s_cmp_ge_u32 s12, s7
	s_cselect_b32 s11, s13, s11
	s_cselect_b32 s12, s14, s12
	s_add_i32 s13, s11, 1
	s_cmp_ge_u32 s12, s7
	s_cselect_b32 s7, s13, s11
	s_load_dwordx2 s[12:13], s[4:5], 0x40
	s_xor_b32 s7, s7, s2
	s_abs_i32 s16, s6
	s_sub_i32 s17, s7, s2
	s_abs_i32 s2, s17
	v_cvt_f32_u32_e32 v0, s2
	s_sub_i32 s11, 0, s2
	v_rcp_iflag_f32_e32 v0, v0
	v_mul_f32_e32 v0, 0x4f7ffffe, v0
	v_cvt_u32_f32_e32 v0, v0
	v_readfirstlane_b32 s7, v0
	s_mul_i32 s11, s11, s7
	s_mul_hi_u32 s11, s7, s11
	s_add_i32 s7, s7, s11
	s_waitcnt lgkmcnt(0)
	s_cmp_eq_u64 s[12:13], 0
	s_mul_hi_u32 s22, s16, s7
	s_cbranch_scc1 .LBB155_2
; %bb.1:
	s_ashr_i32 s7, s6, 31
	s_lshl_b64 s[14:15], s[6:7], 2
	s_add_u32 s12, s12, s14
	s_addc_u32 s13, s13, s15
	s_load_dword s24, s[12:13], 0x0
.LBB155_2:
	s_load_dword s11, s[0:1], 0x0
	s_clause 0x1
	s_load_dwordx2 s[18:19], s[4:5], 0x28
	s_load_dwordx4 s[12:15], s[4:5], 0x48
	v_lshlrev_b32_e32 v10, 4, v78
	s_ashr_i32 s0, s6, 31
	s_ashr_i32 s1, s17, 31
	s_mulk_i32 s6, 0x50
	s_waitcnt lgkmcnt(0)
	s_mov_b32 s15, exec_lo
	v_cmpx_gt_u32_e32 10, v78
	s_cbranch_execz .LBB155_4
; %bb.3:
	s_load_dwordx2 s[20:21], s[4:5], 0x8
	s_mul_i32 s26, s12, s10
	s_ashr_i32 s27, s26, 31
	s_lshl_b64 s[26:27], s[26:27], 1
	s_waitcnt lgkmcnt(0)
	s_add_u32 s12, s20, s26
	s_addc_u32 s17, s21, s27
	s_ashr_i32 s7, s6, 31
	s_lshl_b64 s[20:21], s[6:7], 1
	s_add_u32 s20, s12, s20
	s_addc_u32 s21, s17, s21
	global_load_dwordx4 v[0:3], v10, s[20:21]
	s_waitcnt vmcnt(0)
	ds_write_b128 v10, v[0:3]
.LBB155_4:
	s_or_b32 exec_lo, exec_lo, s15
	s_add_i32 s7, s11, 31
	s_xor_b32 s0, s0, s1
	s_ashr_i32 s12, s7, 31
	s_load_dword s15, s[4:5], 0x38
	s_lshr_b32 s1, s12, 27
	s_mul_i32 s12, s22, s2
	s_add_i32 s7, s7, s1
	s_sub_i32 s1, s16, s12
	s_ashr_i32 s12, s7, 5
	s_clause 0x2
	s_load_dwordx2 s[16:17], s[4:5], 0x0
	s_load_dwordx2 s[20:21], s[4:5], 0x18
	s_load_dword s7, s[4:5], 0x88
	s_add_i32 s23, s22, 1
	s_sub_i32 s25, s1, s2
	s_cmp_ge_u32 s1, s2
	v_lshrrev_b32_e32 v79, 5, v78
	s_cselect_b32 s22, s23, s22
	s_cselect_b32 s1, s25, s1
	s_add_i32 s23, s22, 1
	s_cmp_ge_u32 s1, s2
	v_and_b32_e32 v80, 31, v78
	s_cselect_b32 s1, s23, s22
	v_mov_b32_e32 v127, 0xff7fffff
	s_xor_b32 s1, s1, s0
	v_lshrrev_b32_e32 v29, 3, v78
	s_sub_i32 s1, s1, s0
	v_cmp_gt_i32_e64 s0, s12, v79
	v_lshlrev_b32_e32 v30, 2, v80
	s_waitcnt lgkmcnt(0)
	s_mul_i32 s22, s15, s10
	s_mul_i32 s14, s1, s14
	s_ashr_i32 s23, s22, 31
	s_barrier
	buffer_gl0_inv
	s_and_saveexec_b32 s25, s0
	s_cbranch_execz .LBB155_8
; %bb.5:
	v_mov_b32_e32 v28, 0
	buffer_store_dword v10, off, s[28:31], 0 offset:28 ; 4-byte Folded Spill
	buffer_store_dword v78, off, s[28:31], 0 offset:16 ; 4-byte Folded Spill
	s_load_dwordx2 s[4:5], s[4:5], 0x10
	v_mov_b32_e32 v46, v79
	s_ashr_i32 s15, s14, 31
	ds_read_b128 v[0:3], v28
	ds_read_b128 v[4:7], v28 offset:16
	ds_read_b128 v[8:11], v28 offset:32
	;; [unrolled: 1-line block ×6, first 2 shown]
	s_lshl_b64 s[26:27], s[14:15], 1
	v_cmp_neq_f32_e64 vcc_lo, s24, 0
	v_mov_b32_e32 v127, 0xff7fffff
	buffer_store_dword v30, off, s[28:31], 0 offset:36 ; 4-byte Folded Spill
	buffer_store_dword v29, off, s[28:31], 0 offset:32 ; 4-byte Folded Spill
	;; [unrolled: 1-line block ×3, first 2 shown]
	s_waitcnt lgkmcnt(0)
	v_and_b32_e32 v31, 0xffff0000, v0
	v_lshlrev_b32_e32 v0, 16, v0
	v_and_b32_e32 v60, 0xffff0000, v1
	v_lshlrev_b32_e32 v61, 16, v1
	;; [unrolled: 2-line block ×3, first 2 shown]
	buffer_store_dword v0, off, s[28:31], 0 offset:4 ; 4-byte Folded Spill
	v_and_b32_e32 v0, 0xffff0000, v4
	v_and_b32_e32 v74, 0xffff0000, v3
	v_lshlrev_b32_e32 v75, 16, v3
	v_and_b32_e32 v50, 0xffff0000, v8
	v_lshlrev_b32_e32 v53, 16, v8
	buffer_store_dword v0, off, s[28:31], 0 offset:8 ; 4-byte Folded Spill
	v_lshlrev_b32_e32 v0, 16, v4
	v_and_b32_e32 v54, 0xffff0000, v12
	v_lshlrev_b32_e32 v55, 16, v12
	v_and_b32_e32 v62, 0xffff0000, v5
	v_lshlrev_b32_e32 v63, 16, v5
	buffer_store_dword v0, off, s[28:31], 0 offset:12 ; 4-byte Folded Spill
	ds_read_b128 v[0:3], v28 offset:112
	v_and_b32_e32 v64, 0xffff0000, v9
	v_lshlrev_b32_e32 v65, 16, v9
	v_and_b32_e32 v76, 0xffff0000, v6
	v_lshlrev_b32_e32 v77, 16, v6
	;; [unrolled: 2-line block ×3, first 2 shown]
	v_mov_b32_e32 v12, v80
	v_and_b32_e32 v80, 0xffff0000, v10
	v_lshlrev_b32_e32 v81, 16, v10
	v_and_b32_e32 v82, 0xffff0000, v11
	v_lshlrev_b32_e32 v83, 16, v11
	ds_read_b128 v[4:7], v28 offset:128
	ds_read_b128 v[8:11], v28 offset:144
	s_add_u32 s1, s4, s26
	s_addc_u32 s2, s5, s27
	s_lshl_b64 s[26:27], s[22:23], 2
	s_sub_i32 s4, 1, s11
	s_add_u32 s5, s18, s26
	s_addc_u32 s15, s19, s27
	s_waitcnt lgkmcnt(2)
	v_and_b32_e32 v104, 0xffff0000, v0
	v_lshlrev_b32_e32 v105, 16, v0
	v_lshl_or_b32 v0, v46, 7, v30
	v_and_b32_e32 v106, 0xffff0000, v1
	v_lshlrev_b32_e32 v107, 16, v1
	v_lshlrev_b32_e32 v1, 4, v12
	v_and_b32_e32 v56, 0xffff0000, v16
	v_add_nc_u32_e32 v43, 0xc0, v0
	v_and_b32_e32 v0, 0x7c, v29
	v_lshlrev_b32_e32 v57, 16, v16
	v_add_co_u32 v45, s1, s1, v1
	v_and_b32_e32 v58, 0xffff0000, v20
	v_add_co_u32 v41, s5, s5, v0
	v_lshlrev_b32_e32 v59, 16, v20
	v_and_b32_e32 v66, 0xffff0000, v13
	v_lshlrev_b32_e32 v67, 16, v13
	v_and_b32_e32 v68, 0xffff0000, v17
	;; [unrolled: 2-line block ×15, first 2 shown]
	v_lshlrev_b32_e32 v111, 16, v3
	s_waitcnt lgkmcnt(1)
	v_and_b32_e32 v112, 0xffff0000, v4
	v_lshlrev_b32_e32 v113, 16, v4
	v_and_b32_e32 v114, 0xffff0000, v5
	v_lshlrev_b32_e32 v115, 16, v5
	;; [unrolled: 2-line block ×4, first 2 shown]
	s_waitcnt lgkmcnt(0)
	v_and_b32_e32 v120, 0xffff0000, v8
	v_lshlrev_b32_e32 v121, 16, v8
	v_and_b32_e32 v122, 0xffff0000, v9
	v_lshlrev_b32_e32 v123, 16, v9
	;; [unrolled: 2-line block ×4, first 2 shown]
	v_add_co_ci_u32_e64 v42, null, s15, 0, s5
	v_add_co_ci_u32_e64 v52, null, s2, 0, s1
	v_lshl_or_b32 v51, v46, 5, v12
	s_mov_b32 s15, s13
	s_mov_b32 s5, 0
	buffer_store_dword v31, off, s[28:31], 0 ; 4-byte Folded Spill
	buffer_store_dword v12, off, s[28:31], 0 offset:24 ; 4-byte Folded Spill
.LBB155_6:                              ; =>This Inner Loop Header: Depth=1
	global_load_dword v0, v[41:42], off
	v_add_nc_u32_e32 v46, 4, v46
	s_waitcnt vmcnt(0)
	v_mad_i64_i32 v[0:1], null, v0, s15, 0
	v_lshlrev_b64 v[0:1], 1, v[0:1]
	v_add_co_u32 v2, s1, v45, v0
	v_add_co_ci_u32_e64 v3, null, v52, v1, s1
	v_add_nc_u32_e32 v0, s4, v51
	v_add_co_u32 v4, s2, 0x800, v2
	v_add_co_ci_u32_e64 v5, null, 0, v3, s2
	v_add_co_u32 v6, s2, v2, 0x1000
	v_add_co_ci_u32_e64 v7, null, 0, v3, s2
	v_add_co_u32 v1, s2, 0x1000, v2
	s_clause 0x3
	global_load_dwordx4 v[37:40], v[2:3], off
	global_load_dwordx4 v[33:36], v[2:3], off offset:512
	global_load_dwordx4 v[29:32], v[2:3], off offset:1024
	;; [unrolled: 1-line block ×3, first 2 shown]
	v_add_co_ci_u32_e64 v2, null, 0, v3, s2
	s_clause 0x5
	global_load_dwordx4 v[21:24], v[6:7], off offset:-2048
	global_load_dwordx4 v[17:20], v[4:5], off offset:512
	global_load_dwordx4 v[13:16], v[4:5], off offset:1024
	;; [unrolled: 1-line block ×3, first 2 shown]
	global_load_dwordx4 v[5:8], v[6:7], off
	global_load_dwordx4 v[1:4], v[1:2], off offset:512
	buffer_load_dword v49, off, s[28:31], 0 offset:12 ; 4-byte Folded Reload
	v_cvt_f32_i32_e32 v0, v0
	v_cmp_gt_i32_e64 s1, s11, v51
	v_add_nc_u32_e32 v51, 0x80, v51
	v_mul_f32_e32 v0, s24, v0
	v_cndmask_b32_e32 v0, 0, v0, vcc_lo
	s_waitcnt vmcnt(10)
	v_lshlrev_b32_e32 v47, 16, v37
	v_and_b32_e32 v48, 0xffff0000, v37
	s_waitcnt vmcnt(9)
	v_and_b32_e32 v37, 0xffff0000, v33
	v_lshlrev_b32_e32 v33, 16, v33
	s_waitcnt vmcnt(0)
	v_mul_f32_e32 v33, v49, v33
	buffer_load_dword v49, off, s[28:31], 0 offset:8 ; 4-byte Folded Reload
	s_waitcnt vmcnt(0)
	v_mul_f32_e32 v37, v49, v37
	buffer_load_dword v49, off, s[28:31], 0 ; 4-byte Folded Reload
	s_waitcnt vmcnt(0)
	v_fmac_f32_e32 v37, v49, v48
	buffer_load_dword v48, off, s[28:31], 0 offset:4 ; 4-byte Folded Reload
	s_waitcnt vmcnt(0)
	v_fmac_f32_e32 v33, v48, v47
	v_and_b32_e32 v47, 0xffff0000, v29
	v_lshlrev_b32_e32 v29, 16, v29
	v_fmac_f32_e32 v37, v50, v47
	v_fmac_f32_e32 v33, v53, v29
	v_lshlrev_b32_e32 v29, 16, v25
	v_and_b32_e32 v25, 0xffff0000, v25
	v_fmac_f32_e32 v33, v55, v29
	v_fmac_f32_e32 v37, v54, v25
	v_and_b32_e32 v25, 0xffff0000, v21
	v_lshlrev_b32_e32 v21, 16, v21
	v_fmac_f32_e32 v37, v56, v25
	v_fmac_f32_e32 v33, v57, v21
	v_lshlrev_b32_e32 v21, 16, v17
	v_and_b32_e32 v17, 0xffff0000, v17
	v_fmac_f32_e32 v33, v59, v21
	v_fmac_f32_e32 v37, v58, v17
	v_and_b32_e32 v17, 0xffff0000, v13
	v_lshlrev_b32_e32 v13, 16, v13
	v_fmac_f32_e32 v37, v96, v17
	v_fmac_f32_e32 v33, v97, v13
	v_lshlrev_b32_e32 v13, 16, v9
	v_and_b32_e32 v9, 0xffff0000, v9
	v_fmac_f32_e32 v33, v105, v13
	v_fmac_f32_e32 v37, v104, v9
	v_and_b32_e32 v9, 0xffff0000, v5
	v_lshlrev_b32_e32 v5, 16, v5
	v_and_b32_e32 v13, 0xffff0000, v38
	v_fmac_f32_e32 v37, v112, v9
	v_fmac_f32_e32 v33, v113, v5
	v_lshlrev_b32_e32 v5, 16, v1
	v_and_b32_e32 v1, 0xffff0000, v1
	v_lshlrev_b32_e32 v9, 16, v38
	v_fmac_f32_e32 v33, v121, v5
	v_fmac_f32_e32 v37, v120, v1
	v_and_b32_e32 v5, 0xffff0000, v34
	v_lshlrev_b32_e32 v1, 16, v34
	v_mul_f32_e32 v5, v62, v5
	v_mul_f32_e32 v1, v63, v1
	v_fmac_f32_e32 v5, v60, v13
	v_fmac_f32_e32 v1, v61, v9
	v_and_b32_e32 v9, 0xffff0000, v30
	v_lshlrev_b32_e32 v13, 16, v30
	v_fmac_f32_e32 v5, v64, v9
	v_fmac_f32_e32 v1, v65, v13
	v_lshlrev_b32_e32 v9, 16, v26
	v_and_b32_e32 v13, 0xffff0000, v26
	v_fmac_f32_e32 v1, v67, v9
	v_fmac_f32_e32 v5, v66, v13
	v_and_b32_e32 v9, 0xffff0000, v22
	v_lshlrev_b32_e32 v13, 16, v22
	v_fmac_f32_e32 v5, v68, v9
	v_fmac_f32_e32 v1, v69, v13
	v_lshlrev_b32_e32 v9, 16, v18
	v_and_b32_e32 v13, 0xffff0000, v18
	v_fmac_f32_e32 v1, v71, v9
	v_fmac_f32_e32 v5, v70, v13
	v_and_b32_e32 v9, 0xffff0000, v14
	v_lshlrev_b32_e32 v13, 16, v14
	v_fmac_f32_e32 v5, v98, v9
	v_fmac_f32_e32 v1, v99, v13
	v_lshlrev_b32_e32 v9, 16, v10
	v_and_b32_e32 v10, 0xffff0000, v10
	v_fmac_f32_e32 v1, v107, v9
	v_fmac_f32_e32 v5, v106, v10
	v_and_b32_e32 v9, 0xffff0000, v6
	v_lshlrev_b32_e32 v6, 16, v6
	v_and_b32_e32 v10, 0xffff0000, v39
	v_fmac_f32_e32 v5, v114, v9
	v_fmac_f32_e32 v1, v115, v6
	v_lshlrev_b32_e32 v6, 16, v2
	v_and_b32_e32 v2, 0xffff0000, v2
	v_lshlrev_b32_e32 v9, 16, v39
	v_fmac_f32_e32 v1, v123, v6
	v_fmac_f32_e32 v5, v122, v2
	v_and_b32_e32 v6, 0xffff0000, v35
	v_lshlrev_b32_e32 v2, 16, v35
	v_mul_f32_e32 v6, v76, v6
	v_mul_f32_e32 v2, v77, v2
	v_fmac_f32_e32 v6, v72, v10
	;; [unrolled: 40-line block ×3, first 2 shown]
	v_fmac_f32_e32 v3, v75, v9
	v_and_b32_e32 v9, 0xffff0000, v32
	v_lshlrev_b32_e32 v10, 16, v32
	v_fmac_f32_e32 v7, v82, v9
	v_fmac_f32_e32 v3, v83, v10
	v_lshlrev_b32_e32 v9, 16, v28
	v_and_b32_e32 v10, 0xffff0000, v28
	v_fmac_f32_e32 v3, v87, v9
	v_fmac_f32_e32 v7, v86, v10
	v_and_b32_e32 v9, 0xffff0000, v24
	v_lshlrev_b32_e32 v10, 16, v24
	v_fmac_f32_e32 v7, v90, v9
	v_fmac_f32_e32 v3, v91, v10
	v_lshlrev_b32_e32 v9, 16, v20
	v_and_b32_e32 v10, 0xffff0000, v20
	v_fmac_f32_e32 v3, v95, v9
	;; [unrolled: 8-line block ×4, first 2 shown]
	v_fmac_f32_e32 v7, v126, v4
	v_add_f32_e32 v4, v33, v37
	v_add_f32_e32 v1, v4, v1
	;; [unrolled: 1-line block ×4, first 2 shown]
	v_max_f32_e32 v2, v127, v127
	v_add_f32_e32 v1, v6, v1
	v_add_f32_e32 v1, v3, v1
	;; [unrolled: 1-line block ×3, first 2 shown]
	v_fmac_f32_e32 v0, s3, v1
	v_cndmask_b32_e64 v1, 0, v0, s1
	v_max_f32_e32 v0, v2, v0
	ds_write_b32 v43, v1
	v_cndmask_b32_e64 v127, v127, v0, s1
	v_add_co_u32 v41, s1, v41, 16
	v_add_co_ci_u32_e64 v42, null, 0, v42, s1
	v_cmp_le_i32_e64 s1, s12, v46
	v_add_nc_u32_e32 v43, 0x200, v43
	s_or_b32 s5, s1, s5
	s_andn2_b32 exec_lo, exec_lo, s5
	s_cbranch_execnz .LBB155_6
; %bb.7:
	s_or_b32 exec_lo, exec_lo, s5
	s_clause 0x5
	buffer_load_dword v78, off, s[28:31], 0 offset:16
	buffer_load_dword v79, off, s[28:31], 0 offset:20
	;; [unrolled: 1-line block ×6, first 2 shown]
.LBB155_8:
	s_or_b32 exec_lo, exec_lo, s25
	v_mbcnt_lo_u32_b32 v1, -1, 0
	v_max_f32_e32 v4, v127, v127
	v_xor_b32_e32 v0, 16, v1
	v_xor_b32_e32 v3, 8, v1
	v_cmp_gt_i32_e32 vcc_lo, 32, v0
	v_cndmask_b32_e32 v0, v1, v0, vcc_lo
	v_cmp_gt_i32_e32 vcc_lo, 32, v3
	v_lshlrev_b32_e32 v0, 2, v0
	v_cndmask_b32_e32 v3, v1, v3, vcc_lo
	ds_bpermute_b32 v2, v0, v127
	s_waitcnt lgkmcnt(0)
	v_max_f32_e32 v5, v2, v2
	v_lshlrev_b32_e32 v2, 2, v3
	v_max_f32_e32 v4, v4, v5
	v_xor_b32_e32 v5, 4, v1
	ds_bpermute_b32 v3, v2, v4
	v_cmp_gt_i32_e32 vcc_lo, 32, v5
	v_cndmask_b32_e32 v5, v1, v5, vcc_lo
	s_waitcnt lgkmcnt(0)
	v_max_f32_e32 v6, v3, v3
	v_lshlrev_b32_e32 v3, 2, v5
	v_max_f32_e32 v4, v4, v6
	v_xor_b32_e32 v6, 2, v1
	ds_bpermute_b32 v5, v3, v4
	v_cmp_gt_i32_e32 vcc_lo, 32, v6
	v_cndmask_b32_e32 v6, v1, v6, vcc_lo
	v_lshlrev_b32_e32 v54, 2, v6
	v_xor_b32_e32 v6, 1, v1
	v_cmp_gt_i32_e32 vcc_lo, 32, v6
	s_waitcnt lgkmcnt(0)
	v_max_f32_e32 v5, v5, v5
	v_cndmask_b32_e32 v6, v1, v6, vcc_lo
	s_waitcnt vmcnt(3)
	v_cmp_eq_u32_e32 vcc_lo, 0, v80
	v_max_f32_e32 v4, v4, v5
	v_lshlrev_b32_e32 v53, 2, v6
	ds_bpermute_b32 v5, v54, v4
	s_waitcnt lgkmcnt(0)
	v_max_f32_e32 v5, v5, v5
	v_max_f32_e32 v1, v4, v5
	v_lshlrev_b32_e32 v4, 2, v79
	ds_bpermute_b32 v5, v53, v1
	s_and_saveexec_b32 s1, vcc_lo
	s_cbranch_execz .LBB155_10
; %bb.9:
	s_waitcnt lgkmcnt(0)
	v_max_f32_e32 v5, v5, v5
	v_max_f32_e32 v1, v1, v1
	;; [unrolled: 1-line block ×3, first 2 shown]
	ds_write_b32 v4, v1 offset:160
.LBB155_10:
	s_or_b32 exec_lo, exec_lo, s1
	v_cmp_gt_u32_e64 s1, 4, v80
	v_mov_b32_e32 v1, 0xff7fffff
	s_waitcnt vmcnt(0) lgkmcnt(0)
	s_waitcnt_vscnt null, 0x0
	s_barrier
	buffer_gl0_inv
	s_and_saveexec_b32 s2, s1
; %bb.11:
	ds_read_b32 v1, v30 offset:160
; %bb.12:
	s_or_b32 exec_lo, exec_lo, s2
	s_waitcnt lgkmcnt(0)
	ds_bpermute_b32 v5, v54, v1
	v_max_f32_e32 v1, v1, v1
	s_lshl_b32 s2, s12, 5
	s_min_i32 s4, s2, s11
	v_cmp_gt_i32_e64 s2, s4, v78
	s_waitcnt lgkmcnt(0)
	v_max_f32_e32 v5, v5, v5
	v_max_f32_e32 v1, v1, v5
	ds_bpermute_b32 v5, v53, v1
	s_waitcnt lgkmcnt(0)
	v_max_f32_e32 v5, v5, v5
	v_max_f32_e32 v1, v1, v5
	v_mov_b32_e32 v5, 0
	ds_bpermute_b32 v6, v5, v1
	v_lshl_add_u32 v1, v78, 2, 0xc0
	s_and_saveexec_b32 s5, s2
	s_cbranch_execz .LBB155_16
; %bb.13:
	v_lshl_add_u32 v7, v78, 2, 0xc0
	v_mov_b32_e32 v5, 0
	v_mov_b32_e32 v8, v78
	s_mov_b32 s15, 0
	.p2align	6
.LBB155_14:                             ; =>This Inner Loop Header: Depth=1
	ds_read_b32 v9, v7
	v_add_nc_u32_e32 v8, 0x80, v8
	v_cmp_le_i32_e64 s3, s4, v8
	s_or_b32 s15, s3, s15
	s_waitcnt lgkmcnt(0)
	v_sub_f32_e32 v9, v9, v6
	v_mul_f32_e32 v9, 0x3fb8aa3b, v9
	v_exp_f32_e32 v9, v9
	ds_write_b32 v7, v9
	v_add_f32_e32 v5, v5, v9
	v_add_nc_u32_e32 v7, 0x200, v7
	s_andn2_b32 exec_lo, exec_lo, s15
	s_cbranch_execnz .LBB155_14
; %bb.15:
	s_or_b32 exec_lo, exec_lo, s15
.LBB155_16:
	s_or_b32 exec_lo, exec_lo, s5
	ds_bpermute_b32 v0, v0, v5
	s_waitcnt lgkmcnt(0)
	v_add_f32_e32 v0, v5, v0
	ds_bpermute_b32 v2, v2, v0
	s_waitcnt lgkmcnt(0)
	v_add_f32_e32 v0, v0, v2
	;; [unrolled: 3-line block ×5, first 2 shown]
	s_and_saveexec_b32 s3, vcc_lo
; %bb.17:
	ds_write_b32 v4, v0 offset:176
; %bb.18:
	s_or_b32 exec_lo, exec_lo, s3
	s_waitcnt lgkmcnt(0)
	s_barrier
	buffer_gl0_inv
	s_and_saveexec_b32 s3, s1
; %bb.19:
	ds_read_b32 v0, v30 offset:176
; %bb.20:
	s_or_b32 exec_lo, exec_lo, s3
	s_waitcnt lgkmcnt(0)
	ds_bpermute_b32 v2, v54, v0
	s_waitcnt lgkmcnt(0)
	v_add_f32_e32 v0, v0, v2
	ds_bpermute_b32 v2, v53, v0
	s_waitcnt lgkmcnt(0)
	v_add_f32_e32 v0, v0, v2
	v_mov_b32_e32 v2, 0
	ds_bpermute_b32 v0, v2, v0
	s_and_saveexec_b32 s1, s2
	s_cbranch_execz .LBB155_23
; %bb.21:
	s_waitcnt lgkmcnt(0)
	v_add_f32_e32 v0, 0x358637bd, v0
	s_mov_b32 s2, 0
	v_div_scale_f32 v2, null, v0, v0, 1.0
	v_div_scale_f32 v5, vcc_lo, 1.0, v0, 1.0
	v_rcp_f32_e32 v3, v2
	v_fma_f32 v4, -v2, v3, 1.0
	v_fmac_f32_e32 v3, v4, v3
	v_mul_f32_e32 v4, v5, v3
	v_fma_f32 v6, -v2, v4, v5
	v_fmac_f32_e32 v4, v6, v3
	v_fma_f32 v2, -v2, v4, v5
	v_div_fmas_f32 v2, v2, v3, v4
	v_div_fixup_f32 v0, v2, v0, 1.0
	v_mov_b32_e32 v2, v78
.LBB155_22:                             ; =>This Inner Loop Header: Depth=1
	ds_read_b32 v3, v1
	v_add_nc_u32_e32 v2, 0x80, v2
	v_cmp_le_i32_e32 vcc_lo, s4, v2
	s_or_b32 s2, vcc_lo, s2
	s_waitcnt lgkmcnt(0)
	v_mul_f32_e32 v3, v0, v3
	ds_write_b32 v1, v3
	v_add_nc_u32_e32 v1, 0x200, v1
	s_andn2_b32 exec_lo, exec_lo, s2
	s_cbranch_execnz .LBB155_22
.LBB155_23:
	s_or_b32 exec_lo, exec_lo, s1
	v_mov_b32_e32 v63, 0
	v_and_b32_e32 v55, 3, v78
	v_mov_b32_e32 v65, 0
	v_mov_b32_e32 v64, 0
	v_mov_b32_e32 v62, 0
	v_mov_b32_e32 v61, 0
	v_mov_b32_e32 v60, 0
	v_mov_b32_e32 v59, 0
	v_mov_b32_e32 v58, 0
	v_mov_b32_e32 v57, 0
	v_mov_b32_e32 v56, 0
	s_waitcnt lgkmcnt(0)
	s_barrier
	buffer_gl0_inv
	s_and_saveexec_b32 s3, s0
	s_cbranch_execz .LBB155_47
; %bb.24:
	v_lshlrev_b32_e32 v0, 3, v78
	s_ashr_i32 s15, s14, 31
	v_and_b32_e32 v2, 0x1f0, v10
	s_lshl_b64 s[0:1], s[14:15], 1
	v_lshlrev_b32_e32 v1, 5, v55
	v_and_b32_e32 v0, 24, v0
	s_add_u32 s0, s20, s0
	s_addc_u32 s1, s21, s1
	v_add_co_u32 v67, s0, s0, v2
	v_lshl_or_b32 v69, v79, 5, v0
	v_and_b32_e32 v0, 0x7c, v29
	v_add_co_ci_u32_e64 v68, null, s1, 0, s0
	s_lshl_b64 s[0:1], s[22:23], 2
	s_add_i32 s4, s12, -1
	v_lshl_or_b32 v1, v79, 7, v1
	s_add_u32 s0, s18, s0
	s_addc_u32 s1, s19, s1
	v_add_co_u32 v49, s0, s0, v0
	v_mov_b32_e32 v66, 0
	v_add_nc_u32_e32 v70, 0xc0, v1
	v_add_co_ci_u32_e64 v50, null, s1, 0, s0
	v_mov_b32_e32 v56, 0
	v_mov_b32_e32 v57, 0
	;; [unrolled: 1-line block ×11, first 2 shown]
	s_mov_b32 s5, s13
	s_mov_b32 s14, s11
	s_mov_b32 s13, 0
	s_branch .LBB155_26
.LBB155_25:                             ;   in Loop: Header=BB155_26 Depth=1
	s_or_b32 exec_lo, exec_lo, s2
	s_waitcnt lgkmcnt(1)
	v_bfe_u32 v0, v33, 16, 1
	v_bfe_u32 v51, v34, 16, 1
	v_or_b32_e32 v52, 0x400000, v33
	v_cmp_u_f32_e32 vcc_lo, v33, v33
	v_or_b32_e32 v72, 0x400000, v34
	v_add3_u32 v0, v0, v33, 0x7fff
	v_bfe_u32 v73, v35, 16, 1
	v_add3_u32 v51, v51, v34, 0x7fff
	v_bfe_u32 v74, v36, 16, 1
	v_add_nc_u32_e32 v71, 4, v71
	v_cndmask_b32_e32 v33, v0, v52, vcc_lo
	v_cmp_u_f32_e32 vcc_lo, v34, v34
	v_add3_u32 v34, v73, v35, 0x7fff
	v_add3_u32 v52, v74, v36, 0x7fff
	s_waitcnt lgkmcnt(0)
	v_bfe_u32 v73, v29, 16, 1
	v_and_b32_e32 v33, 0xffff0000, v33
	v_cndmask_b32_e32 v0, v51, v72, vcc_lo
	v_or_b32_e32 v51, 0x400000, v35
	v_cmp_u_f32_e32 vcc_lo, v35, v35
	v_or_b32_e32 v72, 0x400000, v36
	v_bfe_u32 v35, v30, 16, 1
	v_and_b32_e32 v0, 0xffff0000, v0
	v_add_co_u32 v49, s0, v49, 16
	v_cndmask_b32_e32 v34, v34, v51, vcc_lo
	v_cmp_u_f32_e32 vcc_lo, v36, v36
	v_add3_u32 v51, v73, v29, 0x7fff
	v_add3_u32 v35, v35, v30, 0x7fff
	v_bfe_u32 v73, v31, 16, 1
	v_add_nc_u32_e32 v69, 0x80, v69
	v_cndmask_b32_e32 v36, v52, v72, vcc_lo
	v_or_b32_e32 v52, 0x400000, v29
	v_cmp_u_f32_e32 vcc_lo, v29, v29
	v_or_b32_e32 v72, 0x400000, v30
	v_add3_u32 v29, v73, v31, 0x7fff
	v_or_b32_e32 v73, 0x400000, v32
	v_add_nc_u32_e32 v70, 0x200, v70
	v_cndmask_b32_e32 v51, v51, v52, vcc_lo
	v_cmp_u_f32_e32 vcc_lo, v30, v30
	s_waitcnt vmcnt(1)
	v_and_b32_e32 v52, 0xffff0000, v45
	v_lshlrev_b32_e32 v45, 16, v45
	v_add_co_ci_u32_e64 v50, null, 0, v50, s0
	v_cndmask_b32_e32 v30, v35, v72, vcc_lo
	v_bfe_u32 v35, v32, 16, 1
	v_or_b32_e32 v72, 0x400000, v31
	v_cmp_u_f32_e32 vcc_lo, v31, v31
	v_mul_f32_e32 v52, v0, v52
	v_mul_f32_e32 v45, v33, v45
	v_add3_u32 v35, v35, v32, 0x7fff
	v_and_b32_e32 v30, 0xffff0000, v30
	v_cndmask_b32_e32 v72, v29, v72, vcc_lo
	v_cmp_u_f32_e32 vcc_lo, v32, v32
	v_bfe_u32 v31, v52, 16, 1
	v_and_b32_e32 v29, 0xffff0000, v36
	v_bfe_u32 v32, v45, 16, 1
	v_or_b32_e32 v36, 0x400000, v52
	v_cndmask_b32_e32 v73, v35, v73, vcc_lo
	v_and_b32_e32 v35, 0xffff0000, v46
	v_add3_u32 v31, v31, v52, 0x7fff
	v_cmp_u_f32_e32 vcc_lo, v52, v52
	v_add3_u32 v32, v32, v45, 0x7fff
	v_or_b32_e32 v74, 0x400000, v45
	v_mul_f32_e32 v75, v29, v35
	v_and_b32_e32 v35, 0xffff0000, v34
	v_lshlrev_b32_e32 v34, 16, v46
	v_cndmask_b32_e32 v36, v31, v36, vcc_lo
	v_cmp_u_f32_e32 vcc_lo, v45, v45
	v_bfe_u32 v31, v75, 16, 1
	v_and_b32_e32 v46, 0xffff0000, v47
	v_mul_f32_e32 v34, v35, v34
	v_lshlrev_b32_e32 v47, 16, v47
	v_cndmask_b32_e32 v45, v32, v74, vcc_lo
	v_and_b32_e32 v32, 0xffff0000, v51
	v_add3_u32 v31, v31, v75, 0x7fff
	v_or_b32_e32 v51, 0x400000, v75
	v_bfe_u32 v52, v34, 16, 1
	v_mul_f32_e32 v46, v30, v46
	v_cmp_u_f32_e32 vcc_lo, v75, v75
	v_mul_f32_e32 v47, v32, v47
	v_or_b32_e32 v74, 0x400000, v34
	v_add3_u32 v52, v52, v34, 0x7fff
	v_bfe_u32 v75, v46, 16, 1
	v_cndmask_b32_e32 v51, v31, v51, vcc_lo
	v_and_b32_e32 v31, 0xffff0000, v73
	v_and_b32_e32 v73, 0xffff0000, v48
	v_cmp_u_f32_e32 vcc_lo, v34, v34
	v_bfe_u32 v76, v47, 16, 1
	v_and_b32_e32 v34, 0xffff0000, v72
	v_lshlrev_b32_e32 v48, 16, v48
	v_mul_f32_e32 v73, v31, v73
	v_cndmask_b32_e32 v52, v52, v74, vcc_lo
	v_add3_u32 v74, v75, v46, 0x7fff
	v_or_b32_e32 v75, 0x400000, v46
	v_cmp_u_f32_e32 vcc_lo, v46, v46
	v_add3_u32 v76, v76, v47, 0x7fff
	v_or_b32_e32 v72, 0x400000, v47
	v_bfe_u32 v77, v73, 16, 1
	v_mul_f32_e32 v48, v34, v48
	v_cndmask_b32_e32 v46, v74, v75, vcc_lo
	v_cmp_u_f32_e32 vcc_lo, v47, v47
	v_or_b32_e32 v74, 0x400000, v73
	v_and_b32_e32 v45, 0xffff0000, v45
	v_bfe_u32 v75, v48, 16, 1
	v_and_b32_e32 v36, 0xffff0000, v36
	v_cndmask_b32_e32 v47, v76, v72, vcc_lo
	v_add3_u32 v72, v77, v73, 0x7fff
	v_and_b32_e32 v52, 0xffff0000, v52
	v_and_b32_e32 v51, 0xffff0000, v51
	v_cmp_u_f32_e32 vcc_lo, v73, v73
	v_add3_u32 v73, v75, v48, 0x7fff
	v_add_f32_e32 v36, v45, v36
	v_and_b32_e32 v47, 0xffff0000, v47
	v_add_f32_e32 v45, v52, v51
	v_cndmask_b32_e32 v72, v72, v74, vcc_lo
	v_or_b32_e32 v74, 0x400000, v48
	v_and_b32_e32 v51, 0xffff0000, v41
	v_and_b32_e32 v46, 0xffff0000, v46
	v_cmp_u_f32_e32 vcc_lo, v48, v48
	v_add_f32_e32 v36, v45, v36
	v_lshlrev_b32_e32 v41, 16, v41
	v_mul_f32_e32 v45, v0, v51
	v_add_f32_e32 v46, v47, v46
	v_cndmask_b32_e32 v48, v73, v74, vcc_lo
	v_and_b32_e32 v73, 0xffff0000, v44
	v_mul_f32_e32 v41, v33, v41
	v_bfe_u32 v51, v45, 16, 1
	v_add_f32_e32 v36, v46, v36
	v_and_b32_e32 v47, 0xffff0000, v48
	v_and_b32_e32 v48, 0xffff0000, v72
	;; [unrolled: 1-line block ×3, first 2 shown]
	v_bfe_u32 v52, v41, 16, 1
	v_lshlrev_b32_e32 v42, 16, v42
	v_cmp_u_f32_e32 vcc_lo, v45, v45
	v_add_f32_e32 v47, v47, v48
	v_add3_u32 v48, v51, v45, 0x7fff
	v_or_b32_e32 v51, 0x400000, v45
	v_mul_f32_e32 v46, v29, v46
	v_mul_f32_e32 v42, v35, v42
	v_and_b32_e32 v72, 0xffff0000, v43
	v_lshlrev_b32_e32 v43, 16, v43
	v_cndmask_b32_e32 v45, v48, v51, vcc_lo
	v_add3_u32 v48, v52, v41, 0x7fff
	v_or_b32_e32 v51, 0x400000, v41
	v_bfe_u32 v52, v46, 16, 1
	v_cmp_u_f32_e32 vcc_lo, v41, v41
	v_mul_f32_e32 v72, v30, v72
	v_mul_f32_e32 v43, v32, v43
	v_lshlrev_b32_e32 v44, 16, v44
	v_and_b32_e32 v45, 0xffff0000, v45
	v_cndmask_b32_e32 v41, v48, v51, vcc_lo
	v_add3_u32 v48, v52, v46, 0x7fff
	v_or_b32_e32 v51, 0x400000, v46
	v_bfe_u32 v52, v42, 16, 1
	v_cmp_u_f32_e32 vcc_lo, v46, v46
	v_mul_f32_e32 v44, v34, v44
	v_or_b32_e32 v74, 0x400000, v43
	v_and_b32_e32 v41, 0xffff0000, v41
	v_add_f32_e32 v36, v47, v36
	v_cndmask_b32_e32 v46, v48, v51, vcc_lo
	v_add3_u32 v48, v52, v42, 0x7fff
	v_or_b32_e32 v51, 0x400000, v42
	v_bfe_u32 v52, v72, 16, 1
	v_cmp_u_f32_e32 vcc_lo, v42, v42
	v_and_b32_e32 v46, 0xffff0000, v46
	v_add_f32_e32 v41, v41, v45
	v_add_f32_e32 v57, v57, v36
	v_cndmask_b32_e32 v42, v48, v51, vcc_lo
	v_bfe_u32 v48, v43, 16, 1
	v_add3_u32 v51, v52, v72, 0x7fff
	v_mul_f32_e32 v52, v31, v73
	v_or_b32_e32 v73, 0x400000, v72
	v_cmp_u_f32_e32 vcc_lo, v72, v72
	v_add3_u32 v48, v48, v43, 0x7fff
	v_bfe_u32 v72, v44, 16, 1
	v_bfe_u32 v75, v52, 16, 1
	v_and_b32_e32 v42, 0xffff0000, v42
	v_cndmask_b32_e32 v51, v51, v73, vcc_lo
	v_cmp_u_f32_e32 vcc_lo, v43, v43
	v_add3_u32 v72, v72, v44, 0x7fff
	v_or_b32_e32 v73, 0x400000, v52
	v_add_f32_e32 v42, v42, v46
	v_and_b32_e32 v45, 0xffff0000, v51
	v_cndmask_b32_e32 v43, v48, v74, vcc_lo
	v_or_b32_e32 v74, 0x400000, v44
	v_cmp_u_f32_e32 vcc_lo, v44, v44
	v_add3_u32 v48, v75, v52, 0x7fff
	v_add_f32_e32 v41, v42, v41
	v_and_b32_e32 v43, 0xffff0000, v43
	v_cndmask_b32_e32 v44, v72, v74, vcc_lo
	v_cmp_u_f32_e32 vcc_lo, v52, v52
	v_add_f32_e32 v42, v43, v45
	v_and_b32_e32 v43, 0xffff0000, v37
	v_and_b32_e32 v44, 0xffff0000, v44
	v_cndmask_b32_e32 v46, v48, v73, vcc_lo
	v_lshlrev_b32_e32 v37, 16, v37
	v_add_f32_e32 v41, v42, v41
	v_mul_f32_e32 v43, v0, v43
	v_and_b32_e32 v45, 0xffff0000, v46
	v_mul_f32_e32 v37, v33, v37
	v_cmp_u_f32_e32 vcc_lo, v43, v43
	v_add_f32_e32 v42, v44, v45
	v_and_b32_e32 v44, 0xffff0000, v38
	v_bfe_u32 v45, v43, 16, 1
	v_bfe_u32 v36, v37, 16, 1
	v_lshlrev_b32_e32 v38, 16, v38
	v_add_f32_e32 v41, v42, v41
	v_mul_f32_e32 v42, v29, v44
	v_add3_u32 v44, v45, v43, 0x7fff
	v_or_b32_e32 v45, 0x400000, v43
	v_add3_u32 v36, v36, v37, 0x7fff
	v_or_b32_e32 v46, 0x400000, v37
	v_bfe_u32 v47, v42, 16, 1
	v_add_f32_e32 v58, v58, v41
	v_cndmask_b32_e32 v43, v44, v45, vcc_lo
	v_cmp_u_f32_e32 vcc_lo, v37, v37
	v_mul_f32_e32 v37, v35, v38
	v_and_b32_e32 v45, 0xffff0000, v39
	v_add3_u32 v38, v47, v42, 0x7fff
	v_or_b32_e32 v44, 0x400000, v42
	v_cndmask_b32_e32 v36, v36, v46, vcc_lo
	v_lshlrev_b32_e32 v39, 16, v39
	v_bfe_u32 v46, v37, 16, 1
	v_cmp_u_f32_e32 vcc_lo, v42, v42
	v_mul_f32_e32 v42, v30, v45
	v_or_b32_e32 v45, 0x400000, v37
	v_mul_f32_e32 v39, v32, v39
	v_and_b32_e32 v36, 0xffff0000, v36
	v_cndmask_b32_e32 v38, v38, v44, vcc_lo
	v_add3_u32 v44, v46, v37, 0x7fff
	v_and_b32_e32 v46, 0xffff0000, v40
	v_bfe_u32 v47, v42, 16, 1
	v_cmp_u_f32_e32 vcc_lo, v37, v37
	v_bfe_u32 v48, v39, 16, 1
	v_lshlrev_b32_e32 v40, 16, v40
	v_and_b32_e32 v43, 0xffff0000, v43
	v_and_b32_e32 v38, 0xffff0000, v38
	v_cndmask_b32_e32 v37, v44, v45, vcc_lo
	v_mul_f32_e32 v44, v31, v46
	v_add3_u32 v45, v47, v42, 0x7fff
	v_or_b32_e32 v46, 0x400000, v42
	v_cmp_u_f32_e32 vcc_lo, v42, v42
	v_add3_u32 v47, v48, v39, 0x7fff
	v_or_b32_e32 v48, 0x400000, v39
	v_bfe_u32 v51, v44, 16, 1
	v_and_b32_e32 v37, 0xffff0000, v37
	v_cndmask_b32_e32 v42, v45, v46, vcc_lo
	v_cmp_u_f32_e32 vcc_lo, v39, v39
	v_or_b32_e32 v46, 0x400000, v44
	v_add3_u32 v45, v51, v44, 0x7fff
	v_mul_f32_e32 v40, v34, v40
	v_add_f32_e32 v36, v36, v43
	v_cndmask_b32_e32 v39, v47, v48, vcc_lo
	v_cmp_u_f32_e32 vcc_lo, v44, v44
	v_add_f32_e32 v37, v37, v38
	v_and_b32_e32 v42, 0xffff0000, v42
	v_and_b32_e32 v38, 0xffff0000, v39
	;; [unrolled: 1-line block ×3, first 2 shown]
	v_cndmask_b32_e32 v44, v45, v46, vcc_lo
	v_bfe_u32 v45, v40, 16, 1
	v_add_f32_e32 v36, v37, v36
	v_add_f32_e32 v38, v38, v42
	v_mul_f32_e32 v37, v0, v39
	v_lshlrev_b32_e32 v25, 16, v25
	v_add3_u32 v43, v45, v40, 0x7fff
	v_or_b32_e32 v45, 0x400000, v40
	v_cmp_u_f32_e32 vcc_lo, v40, v40
	v_bfe_u32 v40, v37, 16, 1
	v_add_f32_e32 v36, v38, v36
	v_mul_f32_e32 v25, v33, v25
	v_and_b32_e32 v38, 0xffff0000, v26
	v_cndmask_b32_e32 v39, v43, v45, vcc_lo
	v_add3_u32 v40, v40, v37, 0x7fff
	v_or_b32_e32 v42, 0x400000, v37
	v_bfe_u32 v43, v25, 16, 1
	v_mul_f32_e32 v38, v29, v38
	v_lshlrev_b32_e32 v26, 16, v26
	v_cmp_u_f32_e32 vcc_lo, v37, v37
	v_and_b32_e32 v45, 0xffff0000, v27
	v_lshlrev_b32_e32 v27, 16, v27
	v_and_b32_e32 v46, 0xffff0000, v28
	v_mul_f32_e32 v26, v35, v26
	v_cndmask_b32_e32 v37, v40, v42, vcc_lo
	v_add3_u32 v40, v43, v25, 0x7fff
	v_or_b32_e32 v42, 0x400000, v25
	v_bfe_u32 v43, v38, 16, 1
	v_cmp_u_f32_e32 vcc_lo, v25, v25
	v_mul_f32_e32 v45, v30, v45
	v_mul_f32_e32 v27, v32, v27
	v_lshlrev_b32_e32 v28, 16, v28
	v_and_b32_e32 v37, 0xffff0000, v37
	v_cndmask_b32_e32 v25, v40, v42, vcc_lo
	v_add3_u32 v40, v43, v38, 0x7fff
	v_or_b32_e32 v42, 0x400000, v38
	v_bfe_u32 v43, v26, 16, 1
	v_cmp_u_f32_e32 vcc_lo, v38, v38
	v_mul_f32_e32 v28, v34, v28
	v_or_b32_e32 v47, 0x400000, v27
	v_and_b32_e32 v25, 0xffff0000, v25
	v_and_b32_e32 v39, 0xffff0000, v39
	v_cndmask_b32_e32 v38, v40, v42, vcc_lo
	v_add3_u32 v40, v43, v26, 0x7fff
	v_or_b32_e32 v42, 0x400000, v26
	v_bfe_u32 v43, v45, 16, 1
	v_cmp_u_f32_e32 vcc_lo, v26, v26
	v_bfe_u32 v51, v28, 16, 1
	v_and_b32_e32 v38, 0xffff0000, v38
	v_add_f32_e32 v25, v25, v37
	v_cndmask_b32_e32 v26, v40, v42, vcc_lo
	v_bfe_u32 v40, v27, 16, 1
	v_add3_u32 v42, v43, v45, 0x7fff
	v_mul_f32_e32 v43, v31, v46
	v_or_b32_e32 v46, 0x400000, v45
	v_cmp_u_f32_e32 vcc_lo, v45, v45
	v_add3_u32 v40, v40, v27, 0x7fff
	v_add3_u32 v45, v51, v28, 0x7fff
	v_bfe_u32 v48, v43, 16, 1
	v_and_b32_e32 v26, 0xffff0000, v26
	v_cndmask_b32_e32 v42, v42, v46, vcc_lo
	v_cmp_u_f32_e32 vcc_lo, v27, v27
	v_or_b32_e32 v46, 0x400000, v28
	v_add_f32_e32 v26, v26, v38
	v_and_b32_e32 v37, 0xffff0000, v42
	v_cndmask_b32_e32 v27, v40, v47, vcc_lo
	v_cmp_u_f32_e32 vcc_lo, v28, v28
	v_add3_u32 v40, v48, v43, 0x7fff
	v_or_b32_e32 v47, 0x400000, v43
	v_add_f32_e32 v25, v26, v25
	v_and_b32_e32 v27, 0xffff0000, v27
	v_cndmask_b32_e32 v28, v45, v46, vcc_lo
	v_cmp_u_f32_e32 vcc_lo, v43, v43
	v_add_f32_e32 v26, v27, v37
	v_and_b32_e32 v27, 0xffff0000, v28
	v_cndmask_b32_e32 v38, v40, v47, vcc_lo
	v_and_b32_e32 v40, 0xffff0000, v44
	v_and_b32_e32 v37, 0xffff0000, v21
	v_lshlrev_b32_e32 v21, 16, v21
	v_add_f32_e32 v25, v26, v25
	v_and_b32_e32 v28, 0xffff0000, v38
	v_add_f32_e32 v38, v39, v40
	v_mul_f32_e32 v21, v33, v21
	v_add_f32_e32 v26, v27, v28
	v_mul_f32_e32 v27, v0, v37
	v_add_f32_e32 v28, v38, v36
	v_and_b32_e32 v36, 0xffff0000, v22
	v_lshlrev_b32_e32 v22, 16, v22
	v_add_f32_e32 v25, v26, v25
	v_bfe_u32 v26, v27, 16, 1
	v_add_f32_e32 v59, v59, v28
	v_bfe_u32 v28, v21, 16, 1
	v_mul_f32_e32 v36, v29, v36
	v_add_f32_e32 v60, v60, v25
	v_add3_u32 v25, v26, v27, 0x7fff
	v_or_b32_e32 v26, 0x400000, v27
	v_cmp_u_f32_e32 vcc_lo, v27, v27
	v_add3_u32 v28, v28, v21, 0x7fff
	v_or_b32_e32 v37, 0x400000, v21
	v_mul_f32_e32 v22, v35, v22
	v_and_b32_e32 v27, 0xffff0000, v23
	v_cndmask_b32_e32 v25, v25, v26, vcc_lo
	v_bfe_u32 v26, v36, 16, 1
	v_cmp_u_f32_e32 vcc_lo, v21, v21
	v_lshlrev_b32_e32 v23, 16, v23
	v_mul_f32_e32 v27, v30, v27
	v_and_b32_e32 v38, 0xffff0000, v24
	v_add3_u32 v26, v26, v36, 0x7fff
	v_cndmask_b32_e32 v21, v28, v37, vcc_lo
	v_or_b32_e32 v28, 0x400000, v36
	v_bfe_u32 v37, v22, 16, 1
	v_cmp_u_f32_e32 vcc_lo, v36, v36
	v_mul_f32_e32 v23, v32, v23
	v_or_b32_e32 v36, 0x400000, v22
	v_lshlrev_b32_e32 v24, 16, v24
	v_and_b32_e32 v21, 0xffff0000, v21
	v_cndmask_b32_e32 v26, v26, v28, vcc_lo
	v_add3_u32 v28, v37, v22, 0x7fff
	v_bfe_u32 v37, v27, 16, 1
	v_cmp_u_f32_e32 vcc_lo, v22, v22
	v_bfe_u32 v39, v23, 16, 1
	v_mul_f32_e32 v24, v34, v24
	v_and_b32_e32 v25, 0xffff0000, v25
	v_and_b32_e32 v26, 0xffff0000, v26
	v_cndmask_b32_e32 v22, v28, v36, vcc_lo
	v_add3_u32 v28, v37, v27, 0x7fff
	v_mul_f32_e32 v36, v31, v38
	v_or_b32_e32 v37, 0x400000, v27
	v_cmp_u_f32_e32 vcc_lo, v27, v27
	v_add3_u32 v38, v39, v23, 0x7fff
	v_or_b32_e32 v39, 0x400000, v23
	v_bfe_u32 v40, v36, 16, 1
	v_and_b32_e32 v22, 0xffff0000, v22
	v_cndmask_b32_e32 v27, v28, v37, vcc_lo
	v_cmp_u_f32_e32 vcc_lo, v23, v23
	v_or_b32_e32 v37, 0x400000, v36
	v_add3_u32 v28, v40, v36, 0x7fff
	v_add_f32_e32 v21, v21, v25
	v_add_f32_e32 v22, v22, v26
	v_cndmask_b32_e32 v23, v38, v39, vcc_lo
	v_bfe_u32 v38, v24, 16, 1
	v_cmp_u_f32_e32 vcc_lo, v36, v36
	v_and_b32_e32 v26, 0xffff0000, v17
	v_and_b32_e32 v25, 0xffff0000, v27
	;; [unrolled: 1-line block ×3, first 2 shown]
	v_add3_u32 v36, v38, v24, 0x7fff
	v_cndmask_b32_e32 v28, v28, v37, vcc_lo
	v_or_b32_e32 v37, 0x400000, v24
	v_cmp_u_f32_e32 vcc_lo, v24, v24
	v_lshlrev_b32_e32 v17, 16, v17
	v_add_f32_e32 v21, v22, v21
	v_mul_f32_e32 v22, v0, v26
	v_add_f32_e32 v23, v23, v25
	v_cndmask_b32_e32 v24, v36, v37, vcc_lo
	v_mul_f32_e32 v17, v33, v17
	v_and_b32_e32 v25, 0xffff0000, v28
	v_bfe_u32 v26, v22, 16, 1
	v_add_f32_e32 v21, v23, v21
	v_and_b32_e32 v24, 0xffff0000, v24
	v_bfe_u32 v23, v17, 16, 1
	v_and_b32_e32 v27, 0xffff0000, v18
	v_cmp_u_f32_e32 vcc_lo, v22, v22
	v_or_b32_e32 v28, 0x400000, v17
	v_add_f32_e32 v24, v24, v25
	v_add3_u32 v25, v26, v22, 0x7fff
	v_or_b32_e32 v26, 0x400000, v22
	v_add3_u32 v23, v23, v17, 0x7fff
	v_mul_f32_e32 v27, v29, v27
	v_lshlrev_b32_e32 v18, 16, v18
	v_and_b32_e32 v36, 0xffff0000, v20
	v_cndmask_b32_e32 v22, v25, v26, vcc_lo
	v_cmp_u_f32_e32 vcc_lo, v17, v17
	v_bfe_u32 v25, v27, 16, 1
	v_mul_f32_e32 v18, v35, v18
	v_or_b32_e32 v26, 0x400000, v27
	v_lshlrev_b32_e32 v20, 16, v20
	v_cndmask_b32_e32 v17, v23, v28, vcc_lo
	v_and_b32_e32 v23, 0xffff0000, v19
	v_add3_u32 v25, v25, v27, 0x7fff
	v_lshlrev_b32_e32 v19, 16, v19
	v_bfe_u32 v28, v18, 16, 1
	v_cmp_u_f32_e32 vcc_lo, v27, v27
	v_mul_f32_e32 v23, v30, v23
	v_or_b32_e32 v27, 0x400000, v18
	v_mul_f32_e32 v19, v32, v19
	v_mul_f32_e32 v20, v34, v20
	v_cndmask_b32_e32 v25, v25, v26, vcc_lo
	v_add3_u32 v26, v28, v18, 0x7fff
	v_bfe_u32 v28, v23, 16, 1
	v_cmp_u_f32_e32 vcc_lo, v18, v18
	v_bfe_u32 v37, v19, 16, 1
	v_and_b32_e32 v17, 0xffff0000, v17
	v_and_b32_e32 v22, 0xffff0000, v22
	;; [unrolled: 1-line block ×3, first 2 shown]
	v_cndmask_b32_e32 v18, v26, v27, vcc_lo
	v_add3_u32 v26, v28, v23, 0x7fff
	v_mul_f32_e32 v27, v31, v36
	v_or_b32_e32 v28, 0x400000, v23
	v_cmp_u_f32_e32 vcc_lo, v23, v23
	v_add3_u32 v36, v37, v19, 0x7fff
	v_or_b32_e32 v37, 0x400000, v19
	v_bfe_u32 v38, v27, 16, 1
	v_and_b32_e32 v18, 0xffff0000, v18
	v_cndmask_b32_e32 v23, v26, v28, vcc_lo
	v_cmp_u_f32_e32 vcc_lo, v19, v19
	v_or_b32_e32 v28, 0x400000, v27
	v_add3_u32 v26, v38, v27, 0x7fff
	v_add_f32_e32 v17, v17, v22
	v_add_f32_e32 v18, v18, v25
	v_cndmask_b32_e32 v19, v36, v37, vcc_lo
	v_bfe_u32 v36, v20, 16, 1
	v_cmp_u_f32_e32 vcc_lo, v27, v27
	v_and_b32_e32 v22, 0xffff0000, v23
	v_add_f32_e32 v17, v18, v17
	v_and_b32_e32 v19, 0xffff0000, v19
	v_add3_u32 v27, v36, v20, 0x7fff
	v_cndmask_b32_e32 v26, v26, v28, vcc_lo
	v_or_b32_e32 v28, 0x400000, v20
	v_cmp_u_f32_e32 vcc_lo, v20, v20
	v_and_b32_e32 v18, 0xffff0000, v9
	v_add_f32_e32 v19, v19, v22
	v_lshlrev_b32_e32 v9, 16, v9
	v_and_b32_e32 v22, 0xffff0000, v26
	v_cndmask_b32_e32 v20, v27, v28, vcc_lo
	v_mul_f32_e32 v18, v0, v18
	v_add_f32_e32 v21, v24, v21
	v_mul_f32_e32 v23, v33, v9
	v_add_f32_e32 v9, v19, v17
	v_and_b32_e32 v20, 0xffff0000, v20
	v_bfe_u32 v19, v18, 16, 1
	v_add_f32_e32 v61, v61, v21
	v_and_b32_e32 v21, 0xffff0000, v10
	v_cmp_u_f32_e32 vcc_lo, v18, v18
	v_add_f32_e32 v17, v20, v22
	v_bfe_u32 v20, v23, 16, 1
	v_or_b32_e32 v22, 0x400000, v23
	v_mul_f32_e32 v21, v29, v21
	v_lshlrev_b32_e32 v10, 16, v10
	v_add_f32_e32 v9, v17, v9
	v_add3_u32 v17, v19, v18, 0x7fff
	v_or_b32_e32 v19, 0x400000, v18
	v_add3_u32 v20, v20, v23, 0x7fff
	v_bfe_u32 v18, v21, 16, 1
	v_mul_f32_e32 v10, v35, v10
	v_and_b32_e32 v24, 0xffff0000, v12
	v_cndmask_b32_e32 v17, v17, v19, vcc_lo
	v_cmp_u_f32_e32 vcc_lo, v23, v23
	v_add3_u32 v18, v18, v21, 0x7fff
	v_bfe_u32 v23, v10, 16, 1
	v_lshlrev_b32_e32 v12, 16, v12
	v_and_b32_e32 v17, 0xffff0000, v17
	v_cndmask_b32_e32 v19, v20, v22, vcc_lo
	v_and_b32_e32 v20, 0xffff0000, v11
	v_or_b32_e32 v22, 0x400000, v21
	v_lshlrev_b32_e32 v11, 16, v11
	v_cmp_u_f32_e32 vcc_lo, v21, v21
	v_add3_u32 v21, v23, v10, 0x7fff
	v_mul_f32_e32 v20, v30, v20
	v_mul_f32_e32 v12, v34, v12
	;; [unrolled: 1-line block ×3, first 2 shown]
	v_cndmask_b32_e32 v18, v18, v22, vcc_lo
	v_or_b32_e32 v22, 0x400000, v10
	v_bfe_u32 v23, v20, 16, 1
	v_cmp_u_f32_e32 vcc_lo, v10, v10
	v_bfe_u32 v25, v11, 16, 1
	v_and_b32_e32 v19, 0xffff0000, v19
	v_and_b32_e32 v18, 0xffff0000, v18
	v_add_f32_e32 v62, v62, v9
	v_cndmask_b32_e32 v10, v21, v22, vcc_lo
	v_add3_u32 v21, v23, v20, 0x7fff
	v_mul_f32_e32 v22, v31, v24
	v_or_b32_e32 v23, 0x400000, v20
	v_cmp_u_f32_e32 vcc_lo, v20, v20
	v_add3_u32 v24, v25, v11, 0x7fff
	v_or_b32_e32 v25, 0x400000, v11
	v_bfe_u32 v26, v22, 16, 1
	v_and_b32_e32 v10, 0xffff0000, v10
	v_cndmask_b32_e32 v20, v21, v23, vcc_lo
	v_cmp_u_f32_e32 vcc_lo, v11, v11
	v_or_b32_e32 v23, 0x400000, v22
	v_add3_u32 v21, v26, v22, 0x7fff
	v_add_f32_e32 v17, v19, v17
	v_add_f32_e32 v10, v10, v18
	v_cndmask_b32_e32 v11, v24, v25, vcc_lo
	v_bfe_u32 v24, v12, 16, 1
	v_cmp_u_f32_e32 vcc_lo, v22, v22
	v_and_b32_e32 v19, 0xffff0000, v5
	v_and_b32_e32 v18, 0xffff0000, v20
	;; [unrolled: 1-line block ×3, first 2 shown]
	v_add3_u32 v22, v24, v12, 0x7fff
	v_cndmask_b32_e32 v21, v21, v23, vcc_lo
	v_or_b32_e32 v23, 0x400000, v12
	v_cmp_u_f32_e32 vcc_lo, v12, v12
	v_lshlrev_b32_e32 v5, 16, v5
	v_add_f32_e32 v10, v10, v17
	v_mul_f32_e32 v17, v0, v19
	v_add_f32_e32 v11, v11, v18
	v_cndmask_b32_e32 v12, v22, v23, vcc_lo
	v_mul_f32_e32 v18, v33, v5
	v_and_b32_e32 v19, 0xffff0000, v21
	v_and_b32_e32 v20, 0xffff0000, v6
	v_bfe_u32 v21, v17, 16, 1
	v_and_b32_e32 v12, 0xffff0000, v12
	v_add_f32_e32 v5, v11, v10
	v_bfe_u32 v11, v18, 16, 1
	v_cmp_u_f32_e32 vcc_lo, v17, v17
	v_lshlrev_b32_e32 v6, 16, v6
	v_add_f32_e32 v10, v12, v19
	v_mul_f32_e32 v12, v29, v20
	v_add3_u32 v19, v21, v17, 0x7fff
	v_or_b32_e32 v20, 0x400000, v17
	v_add3_u32 v11, v11, v18, 0x7fff
	v_or_b32_e32 v21, 0x400000, v18
	v_bfe_u32 v22, v12, 16, 1
	v_mul_f32_e32 v6, v35, v6
	v_cndmask_b32_e32 v17, v19, v20, vcc_lo
	v_cmp_u_f32_e32 vcc_lo, v18, v18
	v_or_b32_e32 v19, 0x400000, v12
	v_add3_u32 v18, v22, v12, 0x7fff
	v_and_b32_e32 v20, 0xffff0000, v7
	v_lshlrev_b32_e32 v7, 16, v7
	v_cndmask_b32_e32 v11, v11, v21, vcc_lo
	v_cmp_u_f32_e32 vcc_lo, v12, v12
	v_bfe_u32 v21, v6, 16, 1
	v_and_b32_e32 v17, 0xffff0000, v17
	v_mul_f32_e32 v7, v32, v7
	v_and_b32_e32 v11, 0xffff0000, v11
	v_cndmask_b32_e32 v12, v18, v19, vcc_lo
	v_mul_f32_e32 v18, v30, v20
	v_add3_u32 v19, v21, v6, 0x7fff
	v_or_b32_e32 v20, 0x400000, v6
	v_and_b32_e32 v21, 0xffff0000, v8
	v_cmp_u_f32_e32 vcc_lo, v6, v6
	v_bfe_u32 v22, v18, 16, 1
	v_bfe_u32 v23, v7, 16, 1
	v_lshlrev_b32_e32 v8, 16, v8
	v_and_b32_e32 v12, 0xffff0000, v12
	v_cndmask_b32_e32 v6, v19, v20, vcc_lo
	v_mul_f32_e32 v19, v31, v21
	v_add3_u32 v20, v22, v18, 0x7fff
	v_or_b32_e32 v21, 0x400000, v18
	v_cmp_u_f32_e32 vcc_lo, v18, v18
	v_add3_u32 v22, v23, v7, 0x7fff
	v_or_b32_e32 v23, 0x400000, v7
	v_bfe_u32 v24, v19, 16, 1
	v_and_b32_e32 v6, 0xffff0000, v6
	v_cndmask_b32_e32 v18, v20, v21, vcc_lo
	v_cmp_u_f32_e32 vcc_lo, v7, v7
	v_or_b32_e32 v21, 0x400000, v19
	v_add3_u32 v20, v24, v19, 0x7fff
	v_mul_f32_e32 v8, v34, v8
	v_add_f32_e32 v11, v11, v17
	v_cndmask_b32_e32 v7, v22, v23, vcc_lo
	v_cmp_u_f32_e32 vcc_lo, v19, v19
	v_add_f32_e32 v6, v6, v12
	v_and_b32_e32 v12, 0xffff0000, v1
	v_and_b32_e32 v17, 0xffff0000, v18
	;; [unrolled: 1-line block ×3, first 2 shown]
	v_cndmask_b32_e32 v19, v20, v21, vcc_lo
	v_bfe_u32 v20, v8, 16, 1
	v_add_f32_e32 v6, v6, v11
	v_mul_f32_e32 v11, v0, v12
	v_add_f32_e32 v7, v7, v17
	v_lshlrev_b32_e32 v1, 16, v1
	v_add3_u32 v18, v20, v8, 0x7fff
	v_or_b32_e32 v20, 0x400000, v8
	v_cmp_u_f32_e32 vcc_lo, v8, v8
	v_bfe_u32 v12, v11, 16, 1
	v_add_f32_e32 v6, v7, v6
	v_and_b32_e32 v7, 0xffff0000, v2
	v_mul_f32_e32 v1, v33, v1
	v_cndmask_b32_e32 v8, v18, v20, vcc_lo
	v_add3_u32 v12, v12, v11, 0x7fff
	v_or_b32_e32 v17, 0x400000, v11
	v_mul_f32_e32 v7, v29, v7
	v_and_b32_e32 v18, 0xffff0000, v19
	v_bfe_u32 v19, v1, 16, 1
	v_cmp_u_f32_e32 vcc_lo, v11, v11
	v_lshlrev_b32_e32 v2, 16, v2
	v_or_b32_e32 v20, 0x400000, v1
	v_or_b32_e32 v21, 0x400000, v7
	v_and_b32_e32 v8, 0xffff0000, v8
	v_cndmask_b32_e32 v11, v12, v17, vcc_lo
	v_bfe_u32 v12, v7, 16, 1
	v_add3_u32 v17, v19, v1, 0x7fff
	v_and_b32_e32 v19, 0xffff0000, v3
	v_mul_f32_e32 v2, v35, v2
	v_cmp_u_f32_e32 vcc_lo, v1, v1
	v_add3_u32 v12, v12, v7, 0x7fff
	v_lshlrev_b32_e32 v3, 16, v3
	v_mul_f32_e32 v19, v30, v19
	v_and_b32_e32 v11, 0xffff0000, v11
	v_cndmask_b32_e32 v1, v17, v20, vcc_lo
	v_bfe_u32 v17, v2, 16, 1
	v_cmp_u_f32_e32 vcc_lo, v7, v7
	v_and_b32_e32 v20, 0xffff0000, v4
	v_mul_f32_e32 v3, v32, v3
	v_or_b32_e32 v22, 0x400000, v19
	v_add3_u32 v17, v17, v2, 0x7fff
	v_cndmask_b32_e32 v7, v12, v21, vcc_lo
	v_bfe_u32 v12, v19, 16, 1
	v_or_b32_e32 v21, 0x400000, v2
	v_cmp_u_f32_e32 vcc_lo, v2, v2
	v_mul_f32_e32 v20, v31, v20
	v_lshlrev_b32_e32 v4, 16, v4
	v_add3_u32 v12, v12, v19, 0x7fff
	v_and_b32_e32 v1, 0xffff0000, v1
	v_cndmask_b32_e32 v2, v17, v21, vcc_lo
	v_bfe_u32 v17, v3, 16, 1
	v_cmp_u_f32_e32 vcc_lo, v19, v19
	v_bfe_u32 v21, v20, 16, 1
	v_or_b32_e32 v19, 0x400000, v3
	v_mul_f32_e32 v4, v34, v4
	v_add3_u32 v17, v17, v3, 0x7fff
	v_cndmask_b32_e32 v12, v12, v22, vcc_lo
	v_cmp_u_f32_e32 vcc_lo, v3, v3
	v_add3_u32 v21, v21, v20, 0x7fff
	v_or_b32_e32 v22, 0x400000, v20
	v_and_b32_e32 v2, 0xffff0000, v2
	v_and_b32_e32 v7, 0xffff0000, v7
	v_cndmask_b32_e32 v3, v17, v19, vcc_lo
	v_cmp_u_f32_e32 vcc_lo, v20, v20
	v_bfe_u32 v19, v4, 16, 1
	v_add_f32_e32 v1, v1, v11
	v_add_f32_e32 v2, v2, v7
	v_and_b32_e32 v3, 0xffff0000, v3
	v_cndmask_b32_e32 v17, v21, v22, vcc_lo
	s_waitcnt vmcnt(0)
	v_lshlrev_b32_e32 v21, 16, v13
	v_and_b32_e32 v7, 0xffff0000, v12
	v_and_b32_e32 v12, 0xffff0000, v13
	v_add3_u32 v19, v19, v4, 0x7fff
	v_or_b32_e32 v20, 0x400000, v4
	v_mul_f32_e32 v11, v33, v21
	v_cmp_u_f32_e32 vcc_lo, v4, v4
	v_add_f32_e32 v1, v2, v1
	v_add_f32_e32 v3, v3, v7
	v_mul_f32_e32 v0, v0, v12
	v_bfe_u32 v2, v11, 16, 1
	v_lshlrev_b32_e32 v7, 16, v14
	v_cndmask_b32_e32 v4, v19, v20, vcc_lo
	v_or_b32_e32 v12, 0x400000, v11
	v_bfe_u32 v13, v0, 16, 1
	v_add3_u32 v2, v2, v11, 0x7fff
	v_mul_f32_e32 v7, v35, v7
	v_and_b32_e32 v14, 0xffff0000, v14
	v_cmp_u_f32_e32 vcc_lo, v11, v11
	v_add3_u32 v11, v13, v0, 0x7fff
	v_lshlrev_b32_e32 v19, 16, v15
	v_bfe_u32 v13, v7, 16, 1
	v_mul_f32_e32 v14, v29, v14
	v_cndmask_b32_e32 v2, v2, v12, vcc_lo
	v_or_b32_e32 v12, 0x400000, v0
	v_cmp_u_f32_e32 vcc_lo, v0, v0
	v_mul_f32_e32 v19, v32, v19
	v_and_b32_e32 v15, 0xffff0000, v15
	v_lshlrev_b32_e32 v20, 16, v16
	v_and_b32_e32 v16, 0xffff0000, v16
	v_cndmask_b32_e32 v0, v11, v12, vcc_lo
	v_add3_u32 v11, v13, v7, 0x7fff
	v_or_b32_e32 v12, 0x400000, v7
	v_bfe_u32 v13, v14, 16, 1
	v_cmp_u_f32_e32 vcc_lo, v7, v7
	v_mul_f32_e32 v15, v30, v15
	v_mul_f32_e32 v16, v31, v16
	v_and_b32_e32 v0, 0xffff0000, v0
	v_and_b32_e32 v2, 0xffff0000, v2
	v_cndmask_b32_e32 v7, v11, v12, vcc_lo
	v_add3_u32 v11, v13, v14, 0x7fff
	v_or_b32_e32 v12, 0x400000, v14
	v_bfe_u32 v13, v19, 16, 1
	v_cmp_u_f32_e32 vcc_lo, v14, v14
	v_mul_f32_e32 v14, v34, v20
	v_or_b32_e32 v20, 0x400000, v19
	v_or_b32_e32 v21, 0x400000, v15
	v_add3_u32 v13, v13, v19, 0x7fff
	v_cndmask_b32_e32 v11, v11, v12, vcc_lo
	v_bfe_u32 v12, v15, 16, 1
	v_cmp_u_f32_e32 vcc_lo, v19, v19
	v_bfe_u32 v23, v16, 16, 1
	v_bfe_u32 v22, v14, 16, 1
	v_and_b32_e32 v11, 0xffff0000, v11
	v_add3_u32 v12, v12, v15, 0x7fff
	v_cndmask_b32_e32 v13, v13, v20, vcc_lo
	v_cmp_u_f32_e32 vcc_lo, v15, v15
	v_add3_u32 v19, v23, v16, 0x7fff
	v_or_b32_e32 v20, 0x400000, v16
	v_add3_u32 v15, v22, v14, 0x7fff
	v_and_b32_e32 v7, 0xffff0000, v7
	v_cndmask_b32_e32 v12, v12, v21, vcc_lo
	v_cmp_u_f32_e32 vcc_lo, v16, v16
	v_or_b32_e32 v21, 0x400000, v14
	v_add_f32_e32 v0, v2, v0
	v_add_f32_e32 v2, v7, v11
	v_and_b32_e32 v7, 0xffff0000, v12
	v_cndmask_b32_e32 v16, v19, v20, vcc_lo
	v_cmp_u_f32_e32 vcc_lo, v14, v14
	v_and_b32_e32 v11, 0xffff0000, v13
	v_and_b32_e32 v4, 0xffff0000, v4
	;; [unrolled: 1-line block ×3, first 2 shown]
	v_add_f32_e32 v0, v2, v0
	v_cndmask_b32_e32 v12, v15, v21, vcc_lo
	v_add_f32_e32 v2, v11, v7
	v_and_b32_e32 v7, 0xffff0000, v16
	v_add_f32_e32 v8, v8, v18
	v_add_f32_e32 v1, v3, v1
	v_and_b32_e32 v11, 0xffff0000, v12
	v_add_f32_e32 v3, v4, v13
	v_add_f32_e32 v0, v2, v0
	v_add_f32_e32 v4, v10, v5
	v_add_f32_e32 v5, v8, v6
	v_add_f32_e32 v2, v11, v7
	v_add_f32_e32 v1, v3, v1
	v_cmp_le_i32_e32 vcc_lo, s12, v71
	v_add_f32_e32 v64, v64, v4
	v_add_f32_e32 v65, v65, v5
	;; [unrolled: 1-line block ×4, first 2 shown]
	s_or_b32 s13, vcc_lo, s13
	v_add_f32_e32 v56, v56, v0
	s_andn2_b32 exec_lo, exec_lo, s13
	s_cbranch_execz .LBB155_46
.LBB155_26:                             ; =>This Inner Loop Header: Depth=1
	global_load_dword v0, v[49:50], off
	v_cmp_eq_u32_e64 s0, s4, v71
	v_add_nc_u32_e32 v75, 1, v69
	v_or_b32_e32 v73, 3, v69
	v_or_b32_e32 v74, 2, v69
	;; [unrolled: 1-line block ×5, first 2 shown]
	s_waitcnt vmcnt(0)
	v_mad_i64_i32 v[0:1], null, v0, s5, 0
	v_lshlrev_b64 v[0:1], 1, v[0:1]
	v_add_co_u32 v13, vcc_lo, v67, v0
	v_add_co_ci_u32_e64 v14, null, v68, v1, vcc_lo
	v_or_b32_e32 v0, 6, v69
	global_load_dwordx4 v[1:4], v[13:14], off
	ds_read2_b64 v[33:36], v70 offset1:1
	ds_read2_b64 v[29:32], v70 offset0:2 offset1:3
	s_and_saveexec_b32 s15, s0
	s_cbranch_execnz .LBB155_40
; %bb.27:                               ;   in Loop: Header=BB155_26 Depth=1
	s_or_b32 exec_lo, exec_lo, s15
	global_load_dwordx4 v[5:8], v[13:14], off offset:512
	s_and_saveexec_b32 s15, s0
	s_cbranch_execnz .LBB155_41
.LBB155_28:                             ;   in Loop: Header=BB155_26 Depth=1
	s_or_b32 exec_lo, exec_lo, s15
	global_load_dwordx4 v[9:12], v[13:14], off offset:1024
	s_and_saveexec_b32 s15, s0
	s_cbranch_execnz .LBB155_42
.LBB155_29:                             ;   in Loop: Header=BB155_26 Depth=1
	s_or_b32 exec_lo, exec_lo, s15
	global_load_dwordx4 v[17:20], v[13:14], off offset:1536
	s_and_saveexec_b32 s15, s0
	s_cbranch_execz .LBB155_31
.LBB155_30:                             ;   in Loop: Header=BB155_26 Depth=1
	v_cmp_gt_i32_e64 s1, s11, v69
	v_cmp_gt_i32_e32 vcc_lo, s14, v75
	v_cmp_gt_i32_e64 s2, s11, v74
	s_waitcnt vmcnt(0)
	v_cndmask_b32_e64 v15, 0, v17, s1
	v_cmp_gt_i32_e64 s1, s14, v73
	v_cndmask_b32_sdwa v17, v66, v17, vcc_lo dst_sel:DWORD dst_unused:UNUSED_PAD src0_sel:DWORD src1_sel:WORD_1
	v_cndmask_b32_e64 v16, 0, v18, s2
	v_cmp_gt_i32_e64 s2, s14, v72
	s_mov_b32 vcc_lo, s1
	v_cmp_gt_i32_e64 s1, s14, v51
	v_cndmask_b32_sdwa v18, v66, v18, vcc_lo dst_sel:DWORD dst_unused:UNUSED_PAD src0_sel:DWORD src1_sel:WORD_1
	v_cmp_gt_i32_e32 vcc_lo, s11, v52
	v_perm_b32 v17, v17, v15, 0x5040100
	v_perm_b32 v18, v18, v16, 0x5040100
	v_cndmask_b32_e32 v21, 0, v19, vcc_lo
	s_mov_b32 vcc_lo, s2
	v_cndmask_b32_sdwa v19, v66, v19, vcc_lo dst_sel:DWORD dst_unused:UNUSED_PAD src0_sel:DWORD src1_sel:WORD_1
	v_cmp_gt_i32_e32 vcc_lo, s11, v0
	v_perm_b32 v19, v19, v21, 0x5040100
	v_cndmask_b32_e32 v22, 0, v20, vcc_lo
	s_mov_b32 vcc_lo, s1
	v_cndmask_b32_sdwa v20, v66, v20, vcc_lo dst_sel:DWORD dst_unused:UNUSED_PAD src0_sel:DWORD src1_sel:WORD_1
	v_perm_b32 v20, v20, v22, 0x5040100
.LBB155_31:                             ;   in Loop: Header=BB155_26 Depth=1
	s_or_b32 exec_lo, exec_lo, s15
	v_add_co_u32 v15, vcc_lo, 0x800, v13
	v_add_co_ci_u32_e64 v16, null, 0, v14, vcc_lo
	global_load_dwordx4 v[21:24], v[15:16], off
	s_and_saveexec_b32 s15, s0
	s_cbranch_execnz .LBB155_43
; %bb.32:                               ;   in Loop: Header=BB155_26 Depth=1
	s_or_b32 exec_lo, exec_lo, s15
	global_load_dwordx4 v[25:28], v[15:16], off offset:512
	s_and_saveexec_b32 s15, s0
	s_cbranch_execnz .LBB155_44
.LBB155_33:                             ;   in Loop: Header=BB155_26 Depth=1
	s_or_b32 exec_lo, exec_lo, s15
	global_load_dwordx4 v[37:40], v[15:16], off offset:1024
	s_and_saveexec_b32 s15, s0
	s_cbranch_execnz .LBB155_45
.LBB155_34:                             ;   in Loop: Header=BB155_26 Depth=1
	s_or_b32 exec_lo, exec_lo, s15
	global_load_dwordx4 v[41:44], v[15:16], off offset:1536
	s_and_saveexec_b32 s15, s0
	s_cbranch_execz .LBB155_36
.LBB155_35:                             ;   in Loop: Header=BB155_26 Depth=1
	v_cmp_gt_i32_e64 s1, s11, v69
	v_cmp_gt_i32_e32 vcc_lo, s14, v75
	v_cmp_gt_i32_e64 s2, s11, v74
	s_waitcnt vmcnt(0)
	v_cndmask_b32_e64 v15, 0, v41, s1
	v_cmp_gt_i32_e64 s1, s14, v73
	v_cndmask_b32_sdwa v41, v66, v41, vcc_lo dst_sel:DWORD dst_unused:UNUSED_PAD src0_sel:DWORD src1_sel:WORD_1
	v_cndmask_b32_e64 v16, 0, v42, s2
	v_cmp_gt_i32_e64 s2, s14, v72
	s_mov_b32 vcc_lo, s1
	v_cmp_gt_i32_e64 s1, s14, v51
	v_cndmask_b32_sdwa v42, v66, v42, vcc_lo dst_sel:DWORD dst_unused:UNUSED_PAD src0_sel:DWORD src1_sel:WORD_1
	v_cmp_gt_i32_e32 vcc_lo, s11, v52
	v_perm_b32 v41, v41, v15, 0x5040100
	v_perm_b32 v42, v42, v16, 0x5040100
	v_cndmask_b32_e32 v45, 0, v43, vcc_lo
	s_mov_b32 vcc_lo, s2
	v_cndmask_b32_sdwa v43, v66, v43, vcc_lo dst_sel:DWORD dst_unused:UNUSED_PAD src0_sel:DWORD src1_sel:WORD_1
	v_cmp_gt_i32_e32 vcc_lo, s11, v0
	v_perm_b32 v43, v43, v45, 0x5040100
	v_cndmask_b32_e32 v46, 0, v44, vcc_lo
	s_mov_b32 vcc_lo, s1
	v_cndmask_b32_sdwa v44, v66, v44, vcc_lo dst_sel:DWORD dst_unused:UNUSED_PAD src0_sel:DWORD src1_sel:WORD_1
	v_perm_b32 v44, v44, v46, 0x5040100
.LBB155_36:                             ;   in Loop: Header=BB155_26 Depth=1
	s_or_b32 exec_lo, exec_lo, s15
	v_add_co_u32 v13, vcc_lo, 0x1000, v13
	v_add_co_ci_u32_e64 v14, null, 0, v14, vcc_lo
	global_load_dwordx4 v[45:48], v[13:14], off
	s_and_saveexec_b32 s15, s0
	s_cbranch_execz .LBB155_38
; %bb.37:                               ;   in Loop: Header=BB155_26 Depth=1
	v_cmp_gt_i32_e64 s1, s11, v69
	v_cmp_gt_i32_e32 vcc_lo, s14, v75
	v_cmp_gt_i32_e64 s2, s11, v74
	s_waitcnt vmcnt(0)
	v_cndmask_b32_e64 v15, 0, v45, s1
	v_cmp_gt_i32_e64 s1, s14, v73
	v_cndmask_b32_sdwa v45, v66, v45, vcc_lo dst_sel:DWORD dst_unused:UNUSED_PAD src0_sel:DWORD src1_sel:WORD_1
	v_cndmask_b32_e64 v16, 0, v46, s2
	v_cmp_gt_i32_e64 s2, s14, v72
	s_mov_b32 vcc_lo, s1
	v_cmp_gt_i32_e64 s1, s14, v51
	v_cndmask_b32_sdwa v46, v66, v46, vcc_lo dst_sel:DWORD dst_unused:UNUSED_PAD src0_sel:DWORD src1_sel:WORD_1
	v_cmp_gt_i32_e32 vcc_lo, s11, v52
	v_perm_b32 v45, v45, v15, 0x5040100
	v_perm_b32 v46, v46, v16, 0x5040100
	v_cndmask_b32_e32 v76, 0, v47, vcc_lo
	s_mov_b32 vcc_lo, s2
	v_cndmask_b32_sdwa v47, v66, v47, vcc_lo dst_sel:DWORD dst_unused:UNUSED_PAD src0_sel:DWORD src1_sel:WORD_1
	v_cmp_gt_i32_e32 vcc_lo, s11, v0
	v_perm_b32 v47, v47, v76, 0x5040100
	v_cndmask_b32_e32 v77, 0, v48, vcc_lo
	s_mov_b32 vcc_lo, s1
	v_cndmask_b32_sdwa v48, v66, v48, vcc_lo dst_sel:DWORD dst_unused:UNUSED_PAD src0_sel:DWORD src1_sel:WORD_1
	v_perm_b32 v48, v48, v77, 0x5040100
.LBB155_38:                             ;   in Loop: Header=BB155_26 Depth=1
	s_or_b32 exec_lo, exec_lo, s15
	global_load_dwordx4 v[13:16], v[13:14], off offset:512
	s_and_saveexec_b32 s2, s0
	s_cbranch_execz .LBB155_25
; %bb.39:                               ;   in Loop: Header=BB155_26 Depth=1
	v_cmp_gt_i32_e64 s0, s11, v69
	v_cmp_gt_i32_e32 vcc_lo, s14, v75
	v_cmp_gt_i32_e64 s1, s11, v74
	s_waitcnt vmcnt(0)
	v_cndmask_b32_e64 v75, 0, v13, s0
	v_cmp_gt_i32_e64 s0, s14, v73
	v_cndmask_b32_sdwa v13, v66, v13, vcc_lo dst_sel:DWORD dst_unused:UNUSED_PAD src0_sel:DWORD src1_sel:WORD_1
	v_cndmask_b32_e64 v73, 0, v14, s1
	v_cmp_gt_i32_e64 s1, s14, v72
	s_mov_b32 vcc_lo, s0
	v_cmp_gt_i32_e64 s0, s14, v51
	v_cndmask_b32_sdwa v14, v66, v14, vcc_lo dst_sel:DWORD dst_unused:UNUSED_PAD src0_sel:DWORD src1_sel:WORD_1
	v_cmp_gt_i32_e32 vcc_lo, s11, v52
	v_perm_b32 v13, v13, v75, 0x5040100
	v_perm_b32 v14, v14, v73, 0x5040100
	v_cndmask_b32_e32 v52, 0, v15, vcc_lo
	s_mov_b32 vcc_lo, s1
	v_cndmask_b32_sdwa v15, v66, v15, vcc_lo dst_sel:DWORD dst_unused:UNUSED_PAD src0_sel:DWORD src1_sel:WORD_1
	v_cmp_gt_i32_e32 vcc_lo, s11, v0
	v_perm_b32 v15, v15, v52, 0x5040100
	v_cndmask_b32_e32 v0, 0, v16, vcc_lo
	s_mov_b32 vcc_lo, s0
	v_cndmask_b32_sdwa v16, v66, v16, vcc_lo dst_sel:DWORD dst_unused:UNUSED_PAD src0_sel:DWORD src1_sel:WORD_1
	v_perm_b32 v16, v16, v0, 0x5040100
	s_branch .LBB155_25
.LBB155_40:                             ;   in Loop: Header=BB155_26 Depth=1
	v_cmp_gt_i32_e64 s1, s11, v69
	v_cmp_gt_i32_e32 vcc_lo, s14, v75
	v_cmp_gt_i32_e64 s2, s11, v74
	s_waitcnt vmcnt(0)
	v_cndmask_b32_e64 v5, 0, v1, s1
	v_cmp_gt_i32_e64 s1, s14, v73
	v_cndmask_b32_sdwa v1, v66, v1, vcc_lo dst_sel:DWORD dst_unused:UNUSED_PAD src0_sel:DWORD src1_sel:WORD_1
	v_cndmask_b32_e64 v6, 0, v2, s2
	v_cmp_gt_i32_e64 s2, s14, v72
	s_mov_b32 vcc_lo, s1
	v_cmp_gt_i32_e64 s1, s14, v51
	v_cndmask_b32_sdwa v2, v66, v2, vcc_lo dst_sel:DWORD dst_unused:UNUSED_PAD src0_sel:DWORD src1_sel:WORD_1
	v_cmp_gt_i32_e32 vcc_lo, s11, v52
	v_perm_b32 v1, v1, v5, 0x5040100
	v_perm_b32 v2, v2, v6, 0x5040100
	v_cndmask_b32_e32 v7, 0, v3, vcc_lo
	s_mov_b32 vcc_lo, s2
	v_cndmask_b32_sdwa v3, v66, v3, vcc_lo dst_sel:DWORD dst_unused:UNUSED_PAD src0_sel:DWORD src1_sel:WORD_1
	v_cmp_gt_i32_e32 vcc_lo, s11, v0
	v_perm_b32 v3, v3, v7, 0x5040100
	v_cndmask_b32_e32 v8, 0, v4, vcc_lo
	s_mov_b32 vcc_lo, s1
	v_cndmask_b32_sdwa v4, v66, v4, vcc_lo dst_sel:DWORD dst_unused:UNUSED_PAD src0_sel:DWORD src1_sel:WORD_1
	v_perm_b32 v4, v4, v8, 0x5040100
	s_or_b32 exec_lo, exec_lo, s15
	global_load_dwordx4 v[5:8], v[13:14], off offset:512
	s_and_saveexec_b32 s15, s0
	s_cbranch_execz .LBB155_28
.LBB155_41:                             ;   in Loop: Header=BB155_26 Depth=1
	v_cmp_gt_i32_e64 s1, s11, v69
	v_cmp_gt_i32_e32 vcc_lo, s14, v75
	v_cmp_gt_i32_e64 s2, s11, v74
	s_waitcnt vmcnt(0)
	v_cndmask_b32_e64 v9, 0, v5, s1
	v_cmp_gt_i32_e64 s1, s14, v73
	v_cndmask_b32_sdwa v5, v66, v5, vcc_lo dst_sel:DWORD dst_unused:UNUSED_PAD src0_sel:DWORD src1_sel:WORD_1
	v_cndmask_b32_e64 v10, 0, v6, s2
	v_cmp_gt_i32_e64 s2, s14, v72
	s_mov_b32 vcc_lo, s1
	v_cmp_gt_i32_e64 s1, s14, v51
	v_cndmask_b32_sdwa v6, v66, v6, vcc_lo dst_sel:DWORD dst_unused:UNUSED_PAD src0_sel:DWORD src1_sel:WORD_1
	v_cmp_gt_i32_e32 vcc_lo, s11, v52
	v_perm_b32 v5, v5, v9, 0x5040100
	v_perm_b32 v6, v6, v10, 0x5040100
	v_cndmask_b32_e32 v11, 0, v7, vcc_lo
	s_mov_b32 vcc_lo, s2
	v_cndmask_b32_sdwa v7, v66, v7, vcc_lo dst_sel:DWORD dst_unused:UNUSED_PAD src0_sel:DWORD src1_sel:WORD_1
	v_cmp_gt_i32_e32 vcc_lo, s11, v0
	v_perm_b32 v7, v7, v11, 0x5040100
	v_cndmask_b32_e32 v12, 0, v8, vcc_lo
	s_mov_b32 vcc_lo, s1
	v_cndmask_b32_sdwa v8, v66, v8, vcc_lo dst_sel:DWORD dst_unused:UNUSED_PAD src0_sel:DWORD src1_sel:WORD_1
	v_perm_b32 v8, v8, v12, 0x5040100
	s_or_b32 exec_lo, exec_lo, s15
	global_load_dwordx4 v[9:12], v[13:14], off offset:1024
	s_and_saveexec_b32 s15, s0
	s_cbranch_execz .LBB155_29
.LBB155_42:                             ;   in Loop: Header=BB155_26 Depth=1
	v_cmp_gt_i32_e64 s1, s11, v69
	v_cmp_gt_i32_e32 vcc_lo, s14, v75
	v_cmp_gt_i32_e64 s2, s11, v74
	s_waitcnt vmcnt(0)
	v_cndmask_b32_e64 v15, 0, v9, s1
	v_cmp_gt_i32_e64 s1, s14, v73
	v_cndmask_b32_sdwa v9, v66, v9, vcc_lo dst_sel:DWORD dst_unused:UNUSED_PAD src0_sel:DWORD src1_sel:WORD_1
	v_cndmask_b32_e64 v16, 0, v10, s2
	v_cmp_gt_i32_e64 s2, s14, v72
	s_mov_b32 vcc_lo, s1
	v_cmp_gt_i32_e64 s1, s14, v51
	v_cndmask_b32_sdwa v10, v66, v10, vcc_lo dst_sel:DWORD dst_unused:UNUSED_PAD src0_sel:DWORD src1_sel:WORD_1
	v_cmp_gt_i32_e32 vcc_lo, s11, v52
	v_perm_b32 v9, v9, v15, 0x5040100
	v_perm_b32 v10, v10, v16, 0x5040100
	v_cndmask_b32_e32 v17, 0, v11, vcc_lo
	s_mov_b32 vcc_lo, s2
	v_cndmask_b32_sdwa v11, v66, v11, vcc_lo dst_sel:DWORD dst_unused:UNUSED_PAD src0_sel:DWORD src1_sel:WORD_1
	v_cmp_gt_i32_e32 vcc_lo, s11, v0
	v_perm_b32 v11, v11, v17, 0x5040100
	v_cndmask_b32_e32 v18, 0, v12, vcc_lo
	s_mov_b32 vcc_lo, s1
	v_cndmask_b32_sdwa v12, v66, v12, vcc_lo dst_sel:DWORD dst_unused:UNUSED_PAD src0_sel:DWORD src1_sel:WORD_1
	v_perm_b32 v12, v12, v18, 0x5040100
	s_or_b32 exec_lo, exec_lo, s15
	global_load_dwordx4 v[17:20], v[13:14], off offset:1536
	s_and_saveexec_b32 s15, s0
	s_cbranch_execnz .LBB155_30
	s_branch .LBB155_31
.LBB155_43:                             ;   in Loop: Header=BB155_26 Depth=1
	v_cmp_gt_i32_e64 s1, s11, v69
	v_cmp_gt_i32_e32 vcc_lo, s14, v75
	v_cmp_gt_i32_e64 s2, s11, v74
	s_waitcnt vmcnt(0)
	v_cndmask_b32_e64 v25, 0, v21, s1
	v_cmp_gt_i32_e64 s1, s14, v73
	v_cndmask_b32_sdwa v21, v66, v21, vcc_lo dst_sel:DWORD dst_unused:UNUSED_PAD src0_sel:DWORD src1_sel:WORD_1
	v_cndmask_b32_e64 v26, 0, v22, s2
	v_cmp_gt_i32_e64 s2, s14, v72
	s_mov_b32 vcc_lo, s1
	v_cmp_gt_i32_e64 s1, s14, v51
	v_cndmask_b32_sdwa v22, v66, v22, vcc_lo dst_sel:DWORD dst_unused:UNUSED_PAD src0_sel:DWORD src1_sel:WORD_1
	v_cmp_gt_i32_e32 vcc_lo, s11, v52
	v_perm_b32 v21, v21, v25, 0x5040100
	v_perm_b32 v22, v22, v26, 0x5040100
	v_cndmask_b32_e32 v27, 0, v23, vcc_lo
	s_mov_b32 vcc_lo, s2
	v_cndmask_b32_sdwa v23, v66, v23, vcc_lo dst_sel:DWORD dst_unused:UNUSED_PAD src0_sel:DWORD src1_sel:WORD_1
	v_cmp_gt_i32_e32 vcc_lo, s11, v0
	v_perm_b32 v23, v23, v27, 0x5040100
	v_cndmask_b32_e32 v28, 0, v24, vcc_lo
	s_mov_b32 vcc_lo, s1
	v_cndmask_b32_sdwa v24, v66, v24, vcc_lo dst_sel:DWORD dst_unused:UNUSED_PAD src0_sel:DWORD src1_sel:WORD_1
	v_perm_b32 v24, v24, v28, 0x5040100
	s_or_b32 exec_lo, exec_lo, s15
	global_load_dwordx4 v[25:28], v[15:16], off offset:512
	s_and_saveexec_b32 s15, s0
	s_cbranch_execz .LBB155_33
.LBB155_44:                             ;   in Loop: Header=BB155_26 Depth=1
	v_cmp_gt_i32_e64 s1, s11, v69
	v_cmp_gt_i32_e32 vcc_lo, s14, v75
	v_cmp_gt_i32_e64 s2, s11, v74
	s_waitcnt vmcnt(0)
	v_cndmask_b32_e64 v37, 0, v25, s1
	v_cmp_gt_i32_e64 s1, s14, v73
	v_cndmask_b32_sdwa v25, v66, v25, vcc_lo dst_sel:DWORD dst_unused:UNUSED_PAD src0_sel:DWORD src1_sel:WORD_1
	v_cndmask_b32_e64 v38, 0, v26, s2
	v_cmp_gt_i32_e64 s2, s14, v72
	s_mov_b32 vcc_lo, s1
	v_cmp_gt_i32_e64 s1, s14, v51
	v_cndmask_b32_sdwa v26, v66, v26, vcc_lo dst_sel:DWORD dst_unused:UNUSED_PAD src0_sel:DWORD src1_sel:WORD_1
	v_cmp_gt_i32_e32 vcc_lo, s11, v52
	v_perm_b32 v25, v25, v37, 0x5040100
	v_perm_b32 v26, v26, v38, 0x5040100
	v_cndmask_b32_e32 v39, 0, v27, vcc_lo
	s_mov_b32 vcc_lo, s2
	v_cndmask_b32_sdwa v27, v66, v27, vcc_lo dst_sel:DWORD dst_unused:UNUSED_PAD src0_sel:DWORD src1_sel:WORD_1
	v_cmp_gt_i32_e32 vcc_lo, s11, v0
	v_perm_b32 v27, v27, v39, 0x5040100
	v_cndmask_b32_e32 v40, 0, v28, vcc_lo
	s_mov_b32 vcc_lo, s1
	v_cndmask_b32_sdwa v28, v66, v28, vcc_lo dst_sel:DWORD dst_unused:UNUSED_PAD src0_sel:DWORD src1_sel:WORD_1
	v_perm_b32 v28, v28, v40, 0x5040100
	s_or_b32 exec_lo, exec_lo, s15
	global_load_dwordx4 v[37:40], v[15:16], off offset:1024
	s_and_saveexec_b32 s15, s0
	s_cbranch_execz .LBB155_34
.LBB155_45:                             ;   in Loop: Header=BB155_26 Depth=1
	v_cmp_gt_i32_e64 s1, s11, v69
	v_cmp_gt_i32_e32 vcc_lo, s14, v75
	v_cmp_gt_i32_e64 s2, s11, v74
	s_waitcnt vmcnt(0)
	v_cndmask_b32_e64 v41, 0, v37, s1
	v_cmp_gt_i32_e64 s1, s14, v73
	v_cndmask_b32_sdwa v37, v66, v37, vcc_lo dst_sel:DWORD dst_unused:UNUSED_PAD src0_sel:DWORD src1_sel:WORD_1
	v_cndmask_b32_e64 v42, 0, v38, s2
	v_cmp_gt_i32_e64 s2, s14, v72
	s_mov_b32 vcc_lo, s1
	v_cmp_gt_i32_e64 s1, s14, v51
	v_cndmask_b32_sdwa v38, v66, v38, vcc_lo dst_sel:DWORD dst_unused:UNUSED_PAD src0_sel:DWORD src1_sel:WORD_1
	v_cmp_gt_i32_e32 vcc_lo, s11, v52
	v_perm_b32 v37, v37, v41, 0x5040100
	v_perm_b32 v38, v38, v42, 0x5040100
	v_cndmask_b32_e32 v43, 0, v39, vcc_lo
	s_mov_b32 vcc_lo, s2
	v_cndmask_b32_sdwa v39, v66, v39, vcc_lo dst_sel:DWORD dst_unused:UNUSED_PAD src0_sel:DWORD src1_sel:WORD_1
	v_cmp_gt_i32_e32 vcc_lo, s11, v0
	v_perm_b32 v39, v39, v43, 0x5040100
	v_cndmask_b32_e32 v44, 0, v40, vcc_lo
	s_mov_b32 vcc_lo, s1
	v_cndmask_b32_sdwa v40, v66, v40, vcc_lo dst_sel:DWORD dst_unused:UNUSED_PAD src0_sel:DWORD src1_sel:WORD_1
	v_perm_b32 v40, v40, v44, 0x5040100
	s_or_b32 exec_lo, exec_lo, s15
	global_load_dwordx4 v[41:44], v[15:16], off offset:1536
	s_and_saveexec_b32 s15, s0
	s_cbranch_execnz .LBB155_35
	s_branch .LBB155_36
.LBB155_46:
	s_or_b32 exec_lo, exec_lo, s13
.LBB155_47:
	s_or_b32 exec_lo, exec_lo, s3
	ds_bpermute_b32 v0, v54, v63
	ds_bpermute_b32 v1, v54, v65
	;; [unrolled: 1-line block ×10, first 2 shown]
	v_lshrrev_b32_e32 v10, 2, v80
	v_mul_u32_u24_e32 v12, 0x140, v79
	v_and_b32_e32 v25, 0x3c3, v78
	s_mov_b32 s0, exec_lo
	s_waitcnt lgkmcnt(0)
	s_barrier
	buffer_gl0_inv
	v_add_f32_e32 v0, v63, v0
	v_add_f32_e32 v1, v65, v1
	v_add_f32_e32 v2, v64, v2
	v_add_f32_e32 v3, v62, v3
	v_add_f32_e32 v4, v61, v4
	v_add_f32_e32 v13, v60, v5
	v_add_f32_e32 v14, v59, v6
	v_add_f32_e32 v15, v58, v7
	v_add_f32_e32 v16, v57, v8
	v_add_f32_e32 v17, v56, v9
	ds_bpermute_b32 v5, v53, v0
	ds_bpermute_b32 v6, v53, v1
	;; [unrolled: 1-line block ×10, first 2 shown]
	v_and_b32_e32 v8, 28, v80
	v_add_nc_u32_e32 v11, 0xc0, v8
	s_waitcnt lgkmcnt(9)
	v_add_f32_e32 v9, v0, v5
	s_waitcnt lgkmcnt(8)
	v_add_f32_e32 v8, v1, v6
	;; [unrolled: 2-line block ×10, first 2 shown]
	v_cmpx_eq_u32_e32 64, v25
	s_cbranch_execz .LBB155_49
; %bb.48:
	v_add_nc_u32_e32 v13, v11, v12
	v_add_nc_u32_e32 v14, 0xfffffd80, v13
	;; [unrolled: 1-line block ×6, first 2 shown]
	ds_write_b32 v14, v9
	ds_write_b32 v15, v8
	;; [unrolled: 1-line block ×5, first 2 shown]
	v_add_nc_u32_e32 v14, 0xfffffe20, v13
	v_add_nc_u32_e32 v15, 0xfffffe40, v13
	;; [unrolled: 1-line block ×5, first 2 shown]
	ds_write_b32 v14, v4
	ds_write_b32 v15, v3
	;; [unrolled: 1-line block ×5, first 2 shown]
.LBB155_49:
	s_or_b32 exec_lo, exec_lo, s0
	v_lshlrev_b32_e32 v10, 2, v10
	s_mov_b32 s1, exec_lo
	v_cmp_eq_u32_e32 vcc_lo, 0, v55
	s_waitcnt lgkmcnt(0)
	s_barrier
	v_add3_u32 v10, 0xc0, v12, v10
	buffer_gl0_inv
	v_cmpx_gt_u32_e32 64, v78
	s_cbranch_execz .LBB155_62
; %bb.50:
	s_and_saveexec_b32 s0, vcc_lo
	s_cbranch_execnz .LBB155_80
; %bb.51:
	s_or_b32 exec_lo, exec_lo, s0
	s_and_saveexec_b32 s0, vcc_lo
	s_cbranch_execnz .LBB155_81
.LBB155_52:
	s_or_b32 exec_lo, exec_lo, s0
	s_and_saveexec_b32 s0, vcc_lo
	s_cbranch_execnz .LBB155_82
.LBB155_53:
	s_or_b32 exec_lo, exec_lo, s0
	s_and_saveexec_b32 s0, vcc_lo
	s_cbranch_execnz .LBB155_83
.LBB155_54:
	s_or_b32 exec_lo, exec_lo, s0
	s_and_saveexec_b32 s0, vcc_lo
	s_cbranch_execnz .LBB155_84
.LBB155_55:
	s_or_b32 exec_lo, exec_lo, s0
	s_and_saveexec_b32 s0, vcc_lo
	s_cbranch_execnz .LBB155_85
.LBB155_56:
	s_or_b32 exec_lo, exec_lo, s0
	s_and_saveexec_b32 s0, vcc_lo
	s_cbranch_execnz .LBB155_86
.LBB155_57:
	s_or_b32 exec_lo, exec_lo, s0
	s_and_saveexec_b32 s0, vcc_lo
	s_cbranch_execnz .LBB155_87
.LBB155_58:
	s_or_b32 exec_lo, exec_lo, s0
	s_and_saveexec_b32 s0, vcc_lo
	s_cbranch_execnz .LBB155_88
.LBB155_59:
	s_or_b32 exec_lo, exec_lo, s0
	s_and_saveexec_b32 s0, vcc_lo
	s_cbranch_execz .LBB155_61
.LBB155_60:
	ds_read_b32 v12, v10 offset:288
	s_waitcnt lgkmcnt(0)
	v_add_f32_e32 v0, v0, v12
.LBB155_61:
	s_or_b32 exec_lo, exec_lo, s0
.LBB155_62:
	s_or_b32 exec_lo, exec_lo, s1
	v_and_b32_e32 v12, 0x3e3, v78
	s_mov_b32 s1, exec_lo
	s_barrier
	buffer_gl0_inv
	v_cmpx_eq_u32_e32 32, v12
	s_cbranch_execz .LBB155_64
; %bb.63:
	ds_write2_b32 v11, v9, v8 offset1:8
	ds_write2_b32 v11, v7, v6 offset0:16 offset1:24
	ds_write2_b32 v11, v5, v4 offset0:32 offset1:40
	;; [unrolled: 1-line block ×4, first 2 shown]
.LBB155_64:
	s_or_b32 exec_lo, exec_lo, s1
	s_mov_b32 s1, exec_lo
	s_waitcnt lgkmcnt(0)
	s_barrier
	buffer_gl0_inv
	v_cmpx_gt_u32_e32 32, v78
	s_cbranch_execz .LBB155_77
; %bb.65:
	s_and_saveexec_b32 s0, vcc_lo
	s_cbranch_execnz .LBB155_89
; %bb.66:
	s_or_b32 exec_lo, exec_lo, s0
	s_and_saveexec_b32 s0, vcc_lo
	s_cbranch_execnz .LBB155_90
.LBB155_67:
	s_or_b32 exec_lo, exec_lo, s0
	s_and_saveexec_b32 s0, vcc_lo
	s_cbranch_execnz .LBB155_91
.LBB155_68:
	s_or_b32 exec_lo, exec_lo, s0
	s_and_saveexec_b32 s0, vcc_lo
	s_cbranch_execnz .LBB155_92
.LBB155_69:
	s_or_b32 exec_lo, exec_lo, s0
	s_and_saveexec_b32 s0, vcc_lo
	s_cbranch_execnz .LBB155_93
.LBB155_70:
	s_or_b32 exec_lo, exec_lo, s0
	s_and_saveexec_b32 s0, vcc_lo
	s_cbranch_execnz .LBB155_94
.LBB155_71:
	s_or_b32 exec_lo, exec_lo, s0
	s_and_saveexec_b32 s0, vcc_lo
	s_cbranch_execnz .LBB155_95
.LBB155_72:
	s_or_b32 exec_lo, exec_lo, s0
	s_and_saveexec_b32 s0, vcc_lo
	s_cbranch_execnz .LBB155_96
.LBB155_73:
	s_or_b32 exec_lo, exec_lo, s0
	s_and_saveexec_b32 s0, vcc_lo
	s_cbranch_execnz .LBB155_97
.LBB155_74:
	s_or_b32 exec_lo, exec_lo, s0
	s_and_saveexec_b32 s0, vcc_lo
	s_cbranch_execz .LBB155_76
.LBB155_75:
	ds_read_b32 v10, v10 offset:288
	s_waitcnt lgkmcnt(0)
	v_add_f32_e32 v0, v0, v10
.LBB155_76:
	s_or_b32 exec_lo, exec_lo, s0
.LBB155_77:
	s_or_b32 exec_lo, exec_lo, s1
	s_barrier
	buffer_gl0_inv
	s_mov_b32 s0, exec_lo
	v_cmpx_eq_u32_e32 0, v12
	s_cbranch_execz .LBB155_79
; %bb.78:
	s_mul_i32 s0, s10, s7
	v_bfe_u32 v11, v9, 16, 1
	s_mul_i32 s0, s0, s9
	s_mul_i32 s2, s7, s6
	s_mulk_i32 s0, 0x50
	v_or_b32_e32 v12, 0x400000, v9
	s_ashr_i32 s1, s0, 31
	v_add3_u32 v11, v11, v9, 0x7fff
	s_lshl_b64 s[0:1], s[0:1], 1
	v_bfe_u32 v13, v8, 16, 1
	s_add_u32 s5, s16, s0
	s_addc_u32 s6, s17, s1
	s_ashr_i32 s3, s2, 31
	v_cmp_u_f32_e32 vcc_lo, v9, v9
	s_lshl_b64 s[0:1], s[2:3], 1
	s_mul_i32 s4, s8, 0x50
	s_add_u32 s2, s5, s0
	s_addc_u32 s3, s6, s1
	s_ashr_i32 s5, s4, 31
	v_lshrrev_b32_e32 v10, 1, v78
	s_lshl_b64 s[0:1], s[4:5], 1
	v_cndmask_b32_e32 v9, v11, v12, vcc_lo
	v_bfe_u32 v11, v7, 16, 1
	v_add3_u32 v12, v13, v8, 0x7fff
	v_or_b32_e32 v13, 0x400000, v8
	v_cmp_u_f32_e32 vcc_lo, v8, v8
	s_add_u32 s0, s2, s0
	s_addc_u32 s1, s3, s1
	global_store_short_d16_hi v10, v9, s[0:1]
	v_add3_u32 v9, v11, v7, 0x7fff
	v_or_b32_e32 v11, 0x400000, v7
	v_cndmask_b32_e32 v8, v12, v13, vcc_lo
	v_bfe_u32 v12, v6, 16, 1
	v_cmp_u_f32_e32 vcc_lo, v7, v7
	global_store_short_d16_hi v10, v8, s[0:1] offset:16
	v_add3_u32 v8, v12, v6, 0x7fff
	v_cndmask_b32_e32 v7, v9, v11, vcc_lo
	v_bfe_u32 v9, v5, 16, 1
	v_or_b32_e32 v11, 0x400000, v6
	v_cmp_u_f32_e32 vcc_lo, v6, v6
	global_store_short_d16_hi v10, v7, s[0:1] offset:32
	v_add3_u32 v7, v9, v5, 0x7fff
	v_or_b32_e32 v9, 0x400000, v5
	v_cndmask_b32_e32 v6, v8, v11, vcc_lo
	v_bfe_u32 v8, v4, 16, 1
	v_cmp_u_f32_e32 vcc_lo, v5, v5
	v_or_b32_e32 v11, 0x400000, v0
	global_store_short_d16_hi v10, v6, s[0:1] offset:48
	v_add3_u32 v6, v8, v4, 0x7fff
	v_cndmask_b32_e32 v5, v7, v9, vcc_lo
	v_bfe_u32 v7, v3, 16, 1
	v_or_b32_e32 v8, 0x400000, v4
	v_cmp_u_f32_e32 vcc_lo, v4, v4
	v_or_b32_e32 v9, 0x400000, v1
	global_store_short_d16_hi v10, v5, s[0:1] offset:64
	v_add3_u32 v5, v7, v3, 0x7fff
	v_or_b32_e32 v7, 0x400000, v3
	v_cndmask_b32_e32 v4, v6, v8, vcc_lo
	v_bfe_u32 v6, v2, 16, 1
	v_cmp_u_f32_e32 vcc_lo, v3, v3
	v_bfe_u32 v8, v1, 16, 1
	v_add3_u32 v6, v6, v2, 0x7fff
	v_cndmask_b32_e32 v3, v5, v7, vcc_lo
	v_or_b32_e32 v7, 0x400000, v2
	v_cmp_u_f32_e32 vcc_lo, v2, v2
	v_bfe_u32 v5, v0, 16, 1
	v_add3_u32 v8, v8, v1, 0x7fff
	v_cndmask_b32_e32 v2, v6, v7, vcc_lo
	v_cmp_u_f32_e32 vcc_lo, v1, v1
	v_add3_u32 v5, v5, v0, 0x7fff
	v_cndmask_b32_e32 v1, v8, v9, vcc_lo
	v_cmp_u_f32_e32 vcc_lo, v0, v0
	v_cndmask_b32_e32 v0, v5, v11, vcc_lo
	global_store_short_d16_hi v10, v4, s[0:1] offset:80
	global_store_short_d16_hi v10, v3, s[0:1] offset:96
	;; [unrolled: 1-line block ×5, first 2 shown]
.LBB155_79:
	s_endpgm
.LBB155_80:
	ds_read_b32 v12, v10
	s_waitcnt lgkmcnt(0)
	v_add_f32_e32 v9, v9, v12
	s_or_b32 exec_lo, exec_lo, s0
	s_and_saveexec_b32 s0, vcc_lo
	s_cbranch_execz .LBB155_52
.LBB155_81:
	ds_read_b32 v12, v10 offset:32
	s_waitcnt lgkmcnt(0)
	v_add_f32_e32 v8, v8, v12
	s_or_b32 exec_lo, exec_lo, s0
	s_and_saveexec_b32 s0, vcc_lo
	s_cbranch_execz .LBB155_53
.LBB155_82:
	ds_read_b32 v12, v10 offset:64
	s_waitcnt lgkmcnt(0)
	v_add_f32_e32 v7, v7, v12
	s_or_b32 exec_lo, exec_lo, s0
	s_and_saveexec_b32 s0, vcc_lo
	s_cbranch_execz .LBB155_54
.LBB155_83:
	ds_read_b32 v12, v10 offset:96
	s_waitcnt lgkmcnt(0)
	v_add_f32_e32 v6, v6, v12
	s_or_b32 exec_lo, exec_lo, s0
	s_and_saveexec_b32 s0, vcc_lo
	s_cbranch_execz .LBB155_55
.LBB155_84:
	ds_read_b32 v12, v10 offset:128
	s_waitcnt lgkmcnt(0)
	v_add_f32_e32 v5, v5, v12
	s_or_b32 exec_lo, exec_lo, s0
	s_and_saveexec_b32 s0, vcc_lo
	s_cbranch_execz .LBB155_56
.LBB155_85:
	ds_read_b32 v12, v10 offset:160
	s_waitcnt lgkmcnt(0)
	v_add_f32_e32 v4, v4, v12
	s_or_b32 exec_lo, exec_lo, s0
	s_and_saveexec_b32 s0, vcc_lo
	s_cbranch_execz .LBB155_57
.LBB155_86:
	ds_read_b32 v12, v10 offset:192
	s_waitcnt lgkmcnt(0)
	v_add_f32_e32 v3, v3, v12
	s_or_b32 exec_lo, exec_lo, s0
	s_and_saveexec_b32 s0, vcc_lo
	s_cbranch_execz .LBB155_58
.LBB155_87:
	ds_read_b32 v12, v10 offset:224
	s_waitcnt lgkmcnt(0)
	v_add_f32_e32 v2, v2, v12
	s_or_b32 exec_lo, exec_lo, s0
	s_and_saveexec_b32 s0, vcc_lo
	s_cbranch_execz .LBB155_59
.LBB155_88:
	ds_read_b32 v12, v10 offset:256
	s_waitcnt lgkmcnt(0)
	v_add_f32_e32 v1, v1, v12
	s_or_b32 exec_lo, exec_lo, s0
	s_and_saveexec_b32 s0, vcc_lo
	s_cbranch_execnz .LBB155_60
	s_branch .LBB155_61
.LBB155_89:
	ds_read_b32 v11, v10
	s_waitcnt lgkmcnt(0)
	v_add_f32_e32 v9, v9, v11
	s_or_b32 exec_lo, exec_lo, s0
	s_and_saveexec_b32 s0, vcc_lo
	s_cbranch_execz .LBB155_67
.LBB155_90:
	ds_read_b32 v11, v10 offset:32
	s_waitcnt lgkmcnt(0)
	v_add_f32_e32 v8, v8, v11
	s_or_b32 exec_lo, exec_lo, s0
	s_and_saveexec_b32 s0, vcc_lo
	s_cbranch_execz .LBB155_68
.LBB155_91:
	ds_read_b32 v11, v10 offset:64
	s_waitcnt lgkmcnt(0)
	v_add_f32_e32 v7, v7, v11
	s_or_b32 exec_lo, exec_lo, s0
	s_and_saveexec_b32 s0, vcc_lo
	s_cbranch_execz .LBB155_69
.LBB155_92:
	ds_read_b32 v11, v10 offset:96
	s_waitcnt lgkmcnt(0)
	v_add_f32_e32 v6, v6, v11
	s_or_b32 exec_lo, exec_lo, s0
	s_and_saveexec_b32 s0, vcc_lo
	s_cbranch_execz .LBB155_70
.LBB155_93:
	ds_read_b32 v11, v10 offset:128
	s_waitcnt lgkmcnt(0)
	v_add_f32_e32 v5, v5, v11
	s_or_b32 exec_lo, exec_lo, s0
	s_and_saveexec_b32 s0, vcc_lo
	s_cbranch_execz .LBB155_71
.LBB155_94:
	ds_read_b32 v11, v10 offset:160
	s_waitcnt lgkmcnt(0)
	v_add_f32_e32 v4, v4, v11
	s_or_b32 exec_lo, exec_lo, s0
	s_and_saveexec_b32 s0, vcc_lo
	s_cbranch_execz .LBB155_72
.LBB155_95:
	ds_read_b32 v11, v10 offset:192
	s_waitcnt lgkmcnt(0)
	v_add_f32_e32 v3, v3, v11
	s_or_b32 exec_lo, exec_lo, s0
	s_and_saveexec_b32 s0, vcc_lo
	s_cbranch_execz .LBB155_73
.LBB155_96:
	ds_read_b32 v11, v10 offset:224
	s_waitcnt lgkmcnt(0)
	v_add_f32_e32 v2, v2, v11
	s_or_b32 exec_lo, exec_lo, s0
	s_and_saveexec_b32 s0, vcc_lo
	s_cbranch_execz .LBB155_74
.LBB155_97:
	ds_read_b32 v11, v10 offset:256
	s_waitcnt lgkmcnt(0)
	v_add_f32_e32 v1, v1, v11
	s_or_b32 exec_lo, exec_lo, s0
	s_and_saveexec_b32 s0, vcc_lo
	s_cbranch_execnz .LBB155_75
	s_branch .LBB155_76
	.section	.rodata,"a",@progbits
	.p2align	6, 0x0
	.amdhsa_kernel _ZN4vllm25paged_attention_v1_kernelI14__hip_bfloat16S1_Li80ELi32ELi128ELNS_18Fp8KVCacheDataTypeE0ELb0EEEvPT_PKS3_PKT0_S9_ifPKiSB_iPKfiiiSD_SD_iiiii
		.amdhsa_group_segment_fixed_size 192
		.amdhsa_private_segment_fixed_size 44
		.amdhsa_kernarg_size 384
		.amdhsa_user_sgpr_count 6
		.amdhsa_user_sgpr_private_segment_buffer 1
		.amdhsa_user_sgpr_dispatch_ptr 0
		.amdhsa_user_sgpr_queue_ptr 0
		.amdhsa_user_sgpr_kernarg_segment_ptr 1
		.amdhsa_user_sgpr_dispatch_id 0
		.amdhsa_user_sgpr_flat_scratch_init 0
		.amdhsa_user_sgpr_private_segment_size 0
		.amdhsa_wavefront_size32 1
		.amdhsa_uses_dynamic_stack 0
		.amdhsa_system_sgpr_private_segment_wavefront_offset 1
		.amdhsa_system_sgpr_workgroup_id_x 1
		.amdhsa_system_sgpr_workgroup_id_y 1
		.amdhsa_system_sgpr_workgroup_id_z 1
		.amdhsa_system_sgpr_workgroup_info 0
		.amdhsa_system_vgpr_workitem_id 0
		.amdhsa_next_free_vgpr 128
		.amdhsa_next_free_sgpr 32
		.amdhsa_reserve_vcc 1
		.amdhsa_reserve_flat_scratch 0
		.amdhsa_float_round_mode_32 0
		.amdhsa_float_round_mode_16_64 0
		.amdhsa_float_denorm_mode_32 3
		.amdhsa_float_denorm_mode_16_64 3
		.amdhsa_dx10_clamp 1
		.amdhsa_ieee_mode 1
		.amdhsa_fp16_overflow 0
		.amdhsa_workgroup_processor_mode 1
		.amdhsa_memory_ordered 1
		.amdhsa_forward_progress 1
		.amdhsa_shared_vgpr_count 0
		.amdhsa_exception_fp_ieee_invalid_op 0
		.amdhsa_exception_fp_denorm_src 0
		.amdhsa_exception_fp_ieee_div_zero 0
		.amdhsa_exception_fp_ieee_overflow 0
		.amdhsa_exception_fp_ieee_underflow 0
		.amdhsa_exception_fp_ieee_inexact 0
		.amdhsa_exception_int_div_zero 0
	.end_amdhsa_kernel
	.section	.text._ZN4vllm25paged_attention_v1_kernelI14__hip_bfloat16S1_Li80ELi32ELi128ELNS_18Fp8KVCacheDataTypeE0ELb0EEEvPT_PKS3_PKT0_S9_ifPKiSB_iPKfiiiSD_SD_iiiii,"axG",@progbits,_ZN4vllm25paged_attention_v1_kernelI14__hip_bfloat16S1_Li80ELi32ELi128ELNS_18Fp8KVCacheDataTypeE0ELb0EEEvPT_PKS3_PKT0_S9_ifPKiSB_iPKfiiiSD_SD_iiiii,comdat
.Lfunc_end155:
	.size	_ZN4vllm25paged_attention_v1_kernelI14__hip_bfloat16S1_Li80ELi32ELi128ELNS_18Fp8KVCacheDataTypeE0ELb0EEEvPT_PKS3_PKT0_S9_ifPKiSB_iPKfiiiSD_SD_iiiii, .Lfunc_end155-_ZN4vllm25paged_attention_v1_kernelI14__hip_bfloat16S1_Li80ELi32ELi128ELNS_18Fp8KVCacheDataTypeE0ELb0EEEvPT_PKS3_PKT0_S9_ifPKiSB_iPKfiiiSD_SD_iiiii
                                        ; -- End function
	.set _ZN4vllm25paged_attention_v1_kernelI14__hip_bfloat16S1_Li80ELi32ELi128ELNS_18Fp8KVCacheDataTypeE0ELb0EEEvPT_PKS3_PKT0_S9_ifPKiSB_iPKfiiiSD_SD_iiiii.num_vgpr, 128
	.set _ZN4vllm25paged_attention_v1_kernelI14__hip_bfloat16S1_Li80ELi32ELi128ELNS_18Fp8KVCacheDataTypeE0ELb0EEEvPT_PKS3_PKT0_S9_ifPKiSB_iPKfiiiSD_SD_iiiii.num_agpr, 0
	.set _ZN4vllm25paged_attention_v1_kernelI14__hip_bfloat16S1_Li80ELi32ELi128ELNS_18Fp8KVCacheDataTypeE0ELb0EEEvPT_PKS3_PKT0_S9_ifPKiSB_iPKfiiiSD_SD_iiiii.numbered_sgpr, 32
	.set _ZN4vllm25paged_attention_v1_kernelI14__hip_bfloat16S1_Li80ELi32ELi128ELNS_18Fp8KVCacheDataTypeE0ELb0EEEvPT_PKS3_PKT0_S9_ifPKiSB_iPKfiiiSD_SD_iiiii.num_named_barrier, 0
	.set _ZN4vllm25paged_attention_v1_kernelI14__hip_bfloat16S1_Li80ELi32ELi128ELNS_18Fp8KVCacheDataTypeE0ELb0EEEvPT_PKS3_PKT0_S9_ifPKiSB_iPKfiiiSD_SD_iiiii.private_seg_size, 44
	.set _ZN4vllm25paged_attention_v1_kernelI14__hip_bfloat16S1_Li80ELi32ELi128ELNS_18Fp8KVCacheDataTypeE0ELb0EEEvPT_PKS3_PKT0_S9_ifPKiSB_iPKfiiiSD_SD_iiiii.uses_vcc, 1
	.set _ZN4vllm25paged_attention_v1_kernelI14__hip_bfloat16S1_Li80ELi32ELi128ELNS_18Fp8KVCacheDataTypeE0ELb0EEEvPT_PKS3_PKT0_S9_ifPKiSB_iPKfiiiSD_SD_iiiii.uses_flat_scratch, 0
	.set _ZN4vllm25paged_attention_v1_kernelI14__hip_bfloat16S1_Li80ELi32ELi128ELNS_18Fp8KVCacheDataTypeE0ELb0EEEvPT_PKS3_PKT0_S9_ifPKiSB_iPKfiiiSD_SD_iiiii.has_dyn_sized_stack, 0
	.set _ZN4vllm25paged_attention_v1_kernelI14__hip_bfloat16S1_Li80ELi32ELi128ELNS_18Fp8KVCacheDataTypeE0ELb0EEEvPT_PKS3_PKT0_S9_ifPKiSB_iPKfiiiSD_SD_iiiii.has_recursion, 0
	.set _ZN4vllm25paged_attention_v1_kernelI14__hip_bfloat16S1_Li80ELi32ELi128ELNS_18Fp8KVCacheDataTypeE0ELb0EEEvPT_PKS3_PKT0_S9_ifPKiSB_iPKfiiiSD_SD_iiiii.has_indirect_call, 0
	.section	.AMDGPU.csdata,"",@progbits
; Kernel info:
; codeLenInByte = 12992
; TotalNumSgprs: 34
; NumVgprs: 128
; ScratchSize: 44
; MemoryBound: 0
; FloatMode: 240
; IeeeMode: 1
; LDSByteSize: 192 bytes/workgroup (compile time only)
; SGPRBlocks: 0
; VGPRBlocks: 15
; NumSGPRsForWavesPerEU: 34
; NumVGPRsForWavesPerEU: 128
; Occupancy: 8
; WaveLimiterHint : 1
; COMPUTE_PGM_RSRC2:SCRATCH_EN: 1
; COMPUTE_PGM_RSRC2:USER_SGPR: 6
; COMPUTE_PGM_RSRC2:TRAP_HANDLER: 0
; COMPUTE_PGM_RSRC2:TGID_X_EN: 1
; COMPUTE_PGM_RSRC2:TGID_Y_EN: 1
; COMPUTE_PGM_RSRC2:TGID_Z_EN: 1
; COMPUTE_PGM_RSRC2:TIDIG_COMP_CNT: 0
	.section	.text._ZN4vllm25paged_attention_v1_kernelI14__hip_bfloat16S1_Li96ELi32ELi128ELNS_18Fp8KVCacheDataTypeE0ELb0EEEvPT_PKS3_PKT0_S9_ifPKiSB_iPKfiiiSD_SD_iiiii,"axG",@progbits,_ZN4vllm25paged_attention_v1_kernelI14__hip_bfloat16S1_Li96ELi32ELi128ELNS_18Fp8KVCacheDataTypeE0ELb0EEEvPT_PKS3_PKT0_S9_ifPKiSB_iPKfiiiSD_SD_iiiii,comdat
	.protected	_ZN4vllm25paged_attention_v1_kernelI14__hip_bfloat16S1_Li96ELi32ELi128ELNS_18Fp8KVCacheDataTypeE0ELb0EEEvPT_PKS3_PKT0_S9_ifPKiSB_iPKfiiiSD_SD_iiiii ; -- Begin function _ZN4vllm25paged_attention_v1_kernelI14__hip_bfloat16S1_Li96ELi32ELi128ELNS_18Fp8KVCacheDataTypeE0ELb0EEEvPT_PKS3_PKT0_S9_ifPKiSB_iPKfiiiSD_SD_iiiii
	.globl	_ZN4vllm25paged_attention_v1_kernelI14__hip_bfloat16S1_Li96ELi32ELi128ELNS_18Fp8KVCacheDataTypeE0ELb0EEEvPT_PKS3_PKT0_S9_ifPKiSB_iPKfiiiSD_SD_iiiii
	.p2align	8
	.type	_ZN4vllm25paged_attention_v1_kernelI14__hip_bfloat16S1_Li96ELi32ELi128ELNS_18Fp8KVCacheDataTypeE0ELb0EEEvPT_PKS3_PKT0_S9_ifPKiSB_iPKfiiiSD_SD_iiiii,@function
_ZN4vllm25paged_attention_v1_kernelI14__hip_bfloat16S1_Li96ELi32ELi128ELNS_18Fp8KVCacheDataTypeE0ELb0EEEvPT_PKS3_PKT0_S9_ifPKiSB_iPKfiiiSD_SD_iiiii: ; @_ZN4vllm25paged_attention_v1_kernelI14__hip_bfloat16S1_Li96ELi32ELi128ELNS_18Fp8KVCacheDataTypeE0ELb0EEEvPT_PKS3_PKT0_S9_ifPKiSB_iPKfiiiSD_SD_iiiii
; %bb.0:
	s_mov_b64 s[30:31], s[2:3]
	s_mov_b64 s[28:29], s[0:1]
	s_mov_b32 s10, s7
	s_add_u32 s28, s28, s9
	s_clause 0x2
	s_load_dword s9, s[4:5], 0x80
	s_load_dwordx2 s[0:1], s[4:5], 0x30
	s_load_dwordx2 s[2:3], s[4:5], 0x20
	s_addc_u32 s29, s29, 0
	s_ashr_i32 s11, s7, 31
	v_mov_b32_e32 v88, v0
	s_lshl_b64 s[12:13], s[10:11], 2
	s_mov_b32 s24, 0
	s_waitcnt lgkmcnt(0)
	s_add_u32 s0, s0, s12
	s_addc_u32 s1, s1, s13
	s_abs_i32 s7, s2
	s_abs_i32 s13, s9
	v_cvt_f32_u32_e32 v0, s7
	s_sub_i32 s12, 0, s7
	s_xor_b32 s2, s9, s2
	s_ashr_i32 s2, s2, 31
	v_rcp_iflag_f32_e32 v0, v0
	v_mul_f32_e32 v0, 0x4f7ffffe, v0
	v_cvt_u32_f32_e32 v0, v0
	v_readfirstlane_b32 s11, v0
	s_mul_i32 s12, s12, s11
	s_mul_hi_u32 s12, s11, s12
	s_add_i32 s11, s11, s12
	s_mul_hi_u32 s11, s13, s11
	s_mul_i32 s12, s11, s7
	s_sub_i32 s12, s13, s12
	s_add_i32 s13, s11, 1
	s_sub_i32 s14, s12, s7
	s_cmp_ge_u32 s12, s7
	s_cselect_b32 s11, s13, s11
	s_cselect_b32 s12, s14, s12
	s_add_i32 s13, s11, 1
	s_cmp_ge_u32 s12, s7
	s_cselect_b32 s7, s13, s11
	s_load_dwordx2 s[12:13], s[4:5], 0x40
	s_xor_b32 s7, s7, s2
	s_abs_i32 s16, s6
	s_sub_i32 s17, s7, s2
	s_abs_i32 s2, s17
	v_cvt_f32_u32_e32 v0, s2
	s_sub_i32 s11, 0, s2
	v_rcp_iflag_f32_e32 v0, v0
	v_mul_f32_e32 v0, 0x4f7ffffe, v0
	v_cvt_u32_f32_e32 v0, v0
	v_readfirstlane_b32 s7, v0
	s_mul_i32 s11, s11, s7
	s_mul_hi_u32 s11, s7, s11
	s_add_i32 s7, s7, s11
	s_waitcnt lgkmcnt(0)
	s_cmp_eq_u64 s[12:13], 0
	s_mul_hi_u32 s22, s16, s7
	s_cbranch_scc1 .LBB156_2
; %bb.1:
	s_ashr_i32 s7, s6, 31
	s_lshl_b64 s[14:15], s[6:7], 2
	s_add_u32 s12, s12, s14
	s_addc_u32 s13, s13, s15
	s_load_dword s24, s[12:13], 0x0
.LBB156_2:
	s_load_dword s11, s[0:1], 0x0
	s_clause 0x1
	s_load_dwordx2 s[18:19], s[4:5], 0x28
	s_load_dwordx4 s[12:15], s[4:5], 0x48
	v_lshlrev_b32_e32 v10, 4, v88
	s_ashr_i32 s0, s6, 31
	s_ashr_i32 s1, s17, 31
	s_mulk_i32 s6, 0x60
	s_waitcnt lgkmcnt(0)
	s_mov_b32 s15, exec_lo
	v_cmpx_gt_u32_e32 12, v88
	s_cbranch_execz .LBB156_4
; %bb.3:
	s_load_dwordx2 s[20:21], s[4:5], 0x8
	s_mul_i32 s26, s12, s10
	s_ashr_i32 s27, s26, 31
	s_lshl_b64 s[26:27], s[26:27], 1
	s_waitcnt lgkmcnt(0)
	s_add_u32 s12, s20, s26
	s_addc_u32 s17, s21, s27
	s_ashr_i32 s7, s6, 31
	s_lshl_b64 s[20:21], s[6:7], 1
	s_add_u32 s20, s12, s20
	s_addc_u32 s21, s17, s21
	global_load_dwordx4 v[0:3], v10, s[20:21]
	s_waitcnt vmcnt(0)
	ds_write_b128 v10, v[0:3]
.LBB156_4:
	s_or_b32 exec_lo, exec_lo, s15
	s_add_i32 s7, s11, 31
	s_xor_b32 s0, s0, s1
	s_ashr_i32 s12, s7, 31
	s_load_dword s15, s[4:5], 0x38
	s_lshr_b32 s1, s12, 27
	s_mul_i32 s12, s22, s2
	s_add_i32 s7, s7, s1
	s_sub_i32 s1, s16, s12
	s_ashr_i32 s12, s7, 5
	s_clause 0x2
	s_load_dwordx2 s[16:17], s[4:5], 0x0
	s_load_dwordx2 s[20:21], s[4:5], 0x18
	s_load_dword s7, s[4:5], 0x88
	s_add_i32 s23, s22, 1
	s_sub_i32 s25, s1, s2
	s_cmp_ge_u32 s1, s2
	v_lshrrev_b32_e32 v89, 5, v88
	s_cselect_b32 s22, s23, s22
	s_cselect_b32 s1, s25, s1
	s_add_i32 s23, s22, 1
	s_cmp_ge_u32 s1, s2
	v_and_b32_e32 v27, 31, v88
	s_cselect_b32 s1, s23, s22
	v_mov_b32_e32 v55, 0xff7fffff
	s_xor_b32 s1, s1, s0
	v_lshrrev_b32_e32 v25, 3, v88
	s_sub_i32 s1, s1, s0
	v_cmp_gt_i32_e64 s0, s12, v89
	v_lshlrev_b32_e32 v26, 2, v27
	s_waitcnt lgkmcnt(0)
	s_mul_i32 s22, s15, s10
	s_mul_i32 s14, s1, s14
	s_ashr_i32 s23, s22, 31
	s_barrier
	buffer_gl0_inv
	s_and_saveexec_b32 s25, s0
	s_cbranch_execz .LBB156_8
; %bb.5:
	v_mov_b32_e32 v24, 0
	buffer_store_dword v10, off, s[28:31], 0 offset:148 ; 4-byte Folded Spill
	buffer_store_dword v88, off, s[28:31], 0 offset:136 ; 4-byte Folded Spill
	s_load_dwordx2 s[4:5], s[4:5], 0x10
	v_mov_b32_e32 v63, v89
	s_ashr_i32 s15, s14, 31
	ds_read_b128 v[0:3], v24
	ds_read_b128 v[4:7], v24 offset:16
	ds_read_b128 v[8:11], v24 offset:32
	;; [unrolled: 1-line block ×5, first 2 shown]
	s_lshl_b64 s[26:27], s[14:15], 1
	v_cmp_neq_f32_e64 vcc_lo, s24, 0
	v_lshl_or_b32 v62, v63, 5, v27
	v_mov_b32_e32 v55, 0xff7fffff
	buffer_store_dword v26, off, s[28:31], 0 offset:156 ; 4-byte Folded Spill
	buffer_store_dword v25, off, s[28:31], 0 offset:152 ; 4-byte Folded Spill
	buffer_store_dword v27, off, s[28:31], 0 offset:144 ; 4-byte Folded Spill
	buffer_store_dword v63, off, s[28:31], 0 offset:140 ; 4-byte Folded Spill
	s_waitcnt lgkmcnt(0)
	v_and_b32_e32 v28, 0xffff0000, v0
	v_lshlrev_b32_e32 v0, 16, v0
	v_and_b32_e32 v82, 0xffff0000, v11
	v_lshlrev_b32_e32 v83, 16, v11
	;; [unrolled: 2-line block ×3, first 2 shown]
	buffer_store_dword v0, off, s[28:31], 0 offset:4 ; 4-byte Folded Spill
	v_and_b32_e32 v0, 0xffff0000, v1
	v_and_b32_e32 v86, 0xffff0000, v15
	v_lshlrev_b32_e32 v87, 16, v15
	s_add_u32 s1, s4, s26
	s_addc_u32 s2, s5, s27
	buffer_store_dword v0, off, s[28:31], 0 offset:8 ; 4-byte Folded Spill
	v_lshlrev_b32_e32 v0, 16, v1
	s_lshl_b64 s[26:27], s[22:23], 2
	s_sub_i32 s4, 1, s11
	s_add_u32 s5, s18, s26
	s_addc_u32 s15, s19, s27
	buffer_store_dword v0, off, s[28:31], 0 offset:12 ; 4-byte Folded Spill
	v_and_b32_e32 v0, 0xffff0000, v2
	v_and_b32_e32 v88, 0xffff0000, v18
	v_lshlrev_b32_e32 v89, 16, v18
	v_and_b32_e32 v90, 0xffff0000, v19
	v_lshlrev_b32_e32 v91, 16, v19
	buffer_store_dword v0, off, s[28:31], 0 offset:16 ; 4-byte Folded Spill
	v_lshlrev_b32_e32 v0, 16, v2
	v_and_b32_e32 v92, 0xffff0000, v22
	v_lshlrev_b32_e32 v93, 16, v22
	v_and_b32_e32 v94, 0xffff0000, v23
	v_lshlrev_b32_e32 v95, 16, v23
	buffer_store_dword v0, off, s[28:31], 0 offset:20 ; 4-byte Folded Spill
	v_and_b32_e32 v0, 0xffff0000, v3
	buffer_store_dword v28, off, s[28:31], 0 ; 4-byte Folded Spill
	buffer_store_dword v0, off, s[28:31], 0 offset:24 ; 4-byte Folded Spill
	v_lshlrev_b32_e32 v0, 16, v3
	buffer_store_dword v0, off, s[28:31], 0 offset:28 ; 4-byte Folded Spill
	v_and_b32_e32 v0, 0xffff0000, v4
	buffer_store_dword v0, off, s[28:31], 0 offset:32 ; 4-byte Folded Spill
	v_lshlrev_b32_e32 v0, 16, v4
	v_and_b32_e32 v4, 0xffff0000, v9
	buffer_store_dword v0, off, s[28:31], 0 offset:36 ; 4-byte Folded Spill
	v_and_b32_e32 v0, 0xffff0000, v5
	buffer_store_dword v4, off, s[28:31], 0 offset:96 ; 4-byte Folded Spill
	v_lshlrev_b32_e32 v4, 16, v9
	buffer_store_dword v0, off, s[28:31], 0 offset:40 ; 4-byte Folded Spill
	v_lshlrev_b32_e32 v0, 16, v5
	buffer_store_dword v4, off, s[28:31], 0 offset:100 ; 4-byte Folded Spill
	v_and_b32_e32 v4, 0xffff0000, v13
	buffer_store_dword v0, off, s[28:31], 0 offset:44 ; 4-byte Folded Spill
	v_and_b32_e32 v0, 0xffff0000, v6
	buffer_store_dword v4, off, s[28:31], 0 offset:104 ; 4-byte Folded Spill
	v_lshlrev_b32_e32 v4, 16, v13
	buffer_store_dword v0, off, s[28:31], 0 offset:48 ; 4-byte Folded Spill
	v_lshlrev_b32_e32 v0, 16, v6
	buffer_store_dword v4, off, s[28:31], 0 offset:108 ; 4-byte Folded Spill
	;; [unrolled: 8-line block ×4, first 2 shown]
	v_and_b32_e32 v4, 0xffff0000, v10
	buffer_store_dword v0, off, s[28:31], 0 offset:68 ; 4-byte Folded Spill
	v_and_b32_e32 v0, 0xffff0000, v12
	buffer_store_dword v4, off, s[28:31], 0 offset:128 ; 4-byte Folded Spill
	v_lshlrev_b32_e32 v4, 16, v10
	ds_read_b128 v[8:11], v24 offset:128
	buffer_store_dword v0, off, s[28:31], 0 offset:72 ; 4-byte Folded Spill
	v_lshlrev_b32_e32 v0, 16, v12
	buffer_store_dword v4, off, s[28:31], 0 offset:132 ; 4-byte Folded Spill
	ds_read_b128 v[12:15], v24 offset:144
	ds_read_b128 v[4:7], v24 offset:112
	buffer_store_dword v0, off, s[28:31], 0 offset:76 ; 4-byte Folded Spill
	v_and_b32_e32 v0, 0xffff0000, v16
	buffer_store_dword v0, off, s[28:31], 0 offset:80 ; 4-byte Folded Spill
	v_lshlrev_b32_e32 v0, 16, v16
	buffer_store_dword v0, off, s[28:31], 0 offset:84 ; 4-byte Folded Spill
	v_and_b32_e32 v0, 0xffff0000, v20
	s_waitcnt lgkmcnt(2)
	v_and_b32_e32 v112, 0xffff0000, v8
	v_lshlrev_b32_e32 v113, 16, v8
	v_and_b32_e32 v114, 0xffff0000, v9
	v_lshlrev_b32_e32 v115, 16, v9
	buffer_store_dword v0, off, s[28:31], 0 offset:88 ; 4-byte Folded Spill
	v_lshlrev_b32_e32 v0, 16, v20
	v_and_b32_e32 v116, 0xffff0000, v10
	s_waitcnt lgkmcnt(0)
	v_and_b32_e32 v104, 0xffff0000, v4
	v_lshlrev_b32_e32 v105, 16, v4
	v_and_b32_e32 v106, 0xffff0000, v5
	buffer_store_dword v0, off, s[28:31], 0 offset:92 ; 4-byte Folded Spill
	ds_read_b128 v[0:3], v24 offset:96
	v_lshlrev_b32_e32 v107, 16, v5
	v_and_b32_e32 v108, 0xffff0000, v6
	v_lshlrev_b32_e32 v109, 16, v6
	v_and_b32_e32 v110, 0xffff0000, v7
	v_lshlrev_b32_e32 v111, 16, v7
	ds_read_b128 v[4:7], v24 offset:176
	v_lshlrev_b32_e32 v117, 16, v10
	v_and_b32_e32 v118, 0xffff0000, v11
	v_lshlrev_b32_e32 v119, 16, v11
	v_and_b32_e32 v120, 0xffff0000, v12
	;; [unrolled: 2-line block ×5, first 2 shown]
	v_lshlrev_b32_e32 v127, 16, v15
	s_waitcnt lgkmcnt(1)
	v_and_b32_e32 v96, 0xffff0000, v0
	v_lshlrev_b32_e32 v97, 16, v0
	v_and_b32_e32 v98, 0xffff0000, v1
	v_lshlrev_b32_e32 v99, 16, v1
	;; [unrolled: 2-line block ×4, first 2 shown]
	ds_read_b128 v[0:3], v24 offset:160
	s_waitcnt lgkmcnt(1)
	v_and_b32_e32 v48, 0xffff0000, v4
	v_lshlrev_b32_e32 v49, 16, v4
	v_and_b32_e32 v50, 0xffff0000, v5
	v_lshlrev_b32_e32 v51, 16, v5
	;; [unrolled: 2-line block ×4, first 2 shown]
	s_waitcnt lgkmcnt(0)
	v_and_b32_e32 v45, 0xffff0000, v1
	v_lshlrev_b32_e32 v60, 16, v1
	v_lshl_or_b32 v1, v63, 7, v26
	v_and_b32_e32 v59, 0xffff0000, v2
	v_lshlrev_b32_e32 v46, 16, v2
	v_lshlrev_b32_e32 v2, 4, v27
	v_and_b32_e32 v44, 0xffff0000, v0
	v_add_nc_u32_e32 v57, 0xe0, v1
	v_and_b32_e32 v1, 0x7c, v25
	v_lshlrev_b32_e32 v43, 16, v0
	v_add_co_u32 v58, s1, s1, v2
	v_and_b32_e32 v0, 0xffff0000, v3
	v_add_co_u32 v41, s5, s5, v1
	v_lshlrev_b32_e32 v47, 16, v3
	v_add_co_ci_u32_e64 v42, null, s15, 0, s5
	v_add_co_ci_u32_e64 v61, null, s2, 0, s1
	s_mov_b32 s15, s13
	s_mov_b32 s5, 0
.LBB156_6:                              ; =>This Inner Loop Header: Depth=1
	global_load_dword v1, v[41:42], off
	v_add_nc_u32_e32 v63, 4, v63
	s_waitcnt vmcnt(0)
	v_mad_i64_i32 v[1:2], null, v1, s15, 0
	v_lshlrev_b64 v[1:2], 1, v[1:2]
	v_add_co_u32 v5, s1, v58, v1
	v_add_nc_u32_e32 v1, s4, v62
	v_add_co_ci_u32_e64 v6, null, v61, v2, s1
	v_cmp_gt_i32_e64 s1, s11, v62
	v_add_nc_u32_e32 v62, 0x80, v62
	v_cvt_f32_i32_e32 v1, v1
	v_mul_f32_e32 v1, s24, v1
	v_cndmask_b32_e32 v64, 0, v1, vcc_lo
	global_load_dwordx4 v[1:4], v[5:6], off
	s_waitcnt vmcnt(0)
	v_lshlrev_b32_e32 v75, 16, v1
	v_and_b32_e32 v76, 0xffff0000, v1
	v_lshlrev_b32_e32 v77, 16, v2
	v_and_b32_e32 v78, 0xffff0000, v2
	;; [unrolled: 2-line block ×4, first 2 shown]
	s_clause 0x2
	global_load_dwordx4 v[1:4], v[5:6], off offset:512
	global_load_dwordx4 v[37:40], v[5:6], off offset:1024
	global_load_dwordx4 v[33:36], v[5:6], off offset:1536
	s_waitcnt vmcnt(2)
	v_and_b32_e32 v66, 0xffff0000, v1
	v_lshlrev_b32_e32 v65, 16, v1
	v_add_co_u32 v1, s2, 0x800, v5
	v_and_b32_e32 v79, 0xffff0000, v2
	v_lshlrev_b32_e32 v80, 16, v2
	v_and_b32_e32 v73, 0xffff0000, v3
	v_lshlrev_b32_e32 v74, 16, v3
	v_add_co_ci_u32_e64 v2, null, 0, v6, s2
	v_add_co_u32 v3, s2, v5, 0x1000
	v_and_b32_e32 v69, 0xffff0000, v4
	v_lshlrev_b32_e32 v70, 16, v4
	v_add_co_ci_u32_e64 v4, null, 0, v6, s2
	s_clause 0x3
	global_load_dwordx4 v[29:32], v[3:4], off offset:-2048
	global_load_dwordx4 v[25:28], v[1:2], off offset:512
	global_load_dwordx4 v[21:24], v[1:2], off offset:1024
	;; [unrolled: 1-line block ×3, first 2 shown]
	v_add_co_u32 v1, s2, 0x1000, v5
	v_add_co_ci_u32_e64 v2, null, 0, v6, s2
	s_clause 0x3
	global_load_dwordx4 v[13:16], v[3:4], off
	global_load_dwordx4 v[9:12], v[1:2], off offset:512
	global_load_dwordx4 v[5:8], v[1:2], off offset:1024
	;; [unrolled: 1-line block ×3, first 2 shown]
	buffer_load_dword v81, off, s[28:31], 0 offset:36 ; 4-byte Folded Reload
	s_waitcnt vmcnt(0)
	v_mul_f32_e32 v65, v81, v65
	buffer_load_dword v81, off, s[28:31], 0 offset:32 ; 4-byte Folded Reload
	s_waitcnt vmcnt(0)
	v_mul_f32_e32 v66, v81, v66
	buffer_load_dword v81, off, s[28:31], 0 ; 4-byte Folded Reload
	s_waitcnt vmcnt(0)
	v_fmac_f32_e32 v66, v81, v76
	buffer_load_dword v76, off, s[28:31], 0 offset:4 ; 4-byte Folded Reload
	s_waitcnt vmcnt(0)
	v_fmac_f32_e32 v65, v76, v75
	buffer_load_dword v76, off, s[28:31], 0 offset:68 ; 4-byte Folded Reload
	v_and_b32_e32 v75, 0xffff0000, v37
	v_lshlrev_b32_e32 v37, 16, v37
	s_waitcnt vmcnt(0)
	v_fmac_f32_e32 v65, v76, v37
	buffer_load_dword v37, off, s[28:31], 0 offset:64 ; 4-byte Folded Reload
	s_waitcnt vmcnt(0)
	v_fmac_f32_e32 v66, v37, v75
	buffer_load_dword v75, off, s[28:31], 0 offset:72 ; 4-byte Folded Reload
	v_lshlrev_b32_e32 v37, 16, v33
	v_and_b32_e32 v33, 0xffff0000, v33
	s_waitcnt vmcnt(0)
	v_fmac_f32_e32 v66, v75, v33
	buffer_load_dword v33, off, s[28:31], 0 offset:76 ; 4-byte Folded Reload
	s_waitcnt vmcnt(0)
	v_fmac_f32_e32 v65, v33, v37
	buffer_load_dword v37, off, s[28:31], 0 offset:84 ; 4-byte Folded Reload
	v_and_b32_e32 v33, 0xffff0000, v29
	v_lshlrev_b32_e32 v29, 16, v29
	s_waitcnt vmcnt(0)
	v_fmac_f32_e32 v65, v37, v29
	buffer_load_dword v29, off, s[28:31], 0 offset:80 ; 4-byte Folded Reload
	s_waitcnt vmcnt(0)
	v_fmac_f32_e32 v66, v29, v33
	buffer_load_dword v33, off, s[28:31], 0 offset:88 ; 4-byte Folded Reload
	v_lshlrev_b32_e32 v29, 16, v25
	v_and_b32_e32 v25, 0xffff0000, v25
	s_waitcnt vmcnt(0)
	v_fmac_f32_e32 v66, v33, v25
	buffer_load_dword v25, off, s[28:31], 0 offset:92 ; 4-byte Folded Reload
	s_waitcnt vmcnt(0)
	v_fmac_f32_e32 v65, v25, v29
	v_and_b32_e32 v25, 0xffff0000, v21
	v_lshlrev_b32_e32 v21, 16, v21
	v_fmac_f32_e32 v66, v96, v25
	v_fmac_f32_e32 v65, v97, v21
	v_lshlrev_b32_e32 v21, 16, v17
	v_and_b32_e32 v17, 0xffff0000, v17
	v_fmac_f32_e32 v65, v105, v21
	v_fmac_f32_e32 v66, v104, v17
	v_and_b32_e32 v17, 0xffff0000, v13
	v_lshlrev_b32_e32 v13, 16, v13
	v_fmac_f32_e32 v66, v112, v17
	v_fmac_f32_e32 v65, v113, v13
	v_lshlrev_b32_e32 v13, 16, v9
	v_and_b32_e32 v9, 0xffff0000, v9
	buffer_load_dword v17, off, s[28:31], 0 offset:100 ; 4-byte Folded Reload
	v_fmac_f32_e32 v65, v121, v13
	v_fmac_f32_e32 v66, v120, v9
	v_and_b32_e32 v9, 0xffff0000, v5
	v_lshlrev_b32_e32 v5, 16, v5
	v_lshlrev_b32_e32 v13, 16, v38
	v_fmac_f32_e32 v66, v44, v9
	v_fmac_f32_e32 v65, v43, v5
	v_lshlrev_b32_e32 v5, 16, v1
	buffer_load_dword v9, off, s[28:31], 0 offset:8 ; 4-byte Folded Reload
	v_and_b32_e32 v1, 0xffff0000, v1
	v_fmac_f32_e32 v65, v49, v5
	buffer_load_dword v5, off, s[28:31], 0 offset:40 ; 4-byte Folded Reload
	v_fmac_f32_e32 v66, v48, v1
	buffer_load_dword v1, off, s[28:31], 0 offset:44 ; 4-byte Folded Reload
	s_waitcnt vmcnt(1)
	v_mul_f32_e32 v5, v5, v79
	v_fmac_f32_e32 v5, v9, v78
	buffer_load_dword v9, off, s[28:31], 0 offset:12 ; 4-byte Folded Reload
	s_waitcnt vmcnt(1)
	v_mul_f32_e32 v1, v1, v80
	s_waitcnt vmcnt(0)
	v_fmac_f32_e32 v1, v9, v77
	v_and_b32_e32 v9, 0xffff0000, v38
	v_fmac_f32_e32 v1, v17, v13
	s_clause 0x1
	buffer_load_dword v13, off, s[28:31], 0 offset:96
	buffer_load_dword v17, off, s[28:31], 0 offset:104
	s_waitcnt vmcnt(1)
	v_fmac_f32_e32 v5, v13, v9
	v_and_b32_e32 v13, 0xffff0000, v34
	v_lshlrev_b32_e32 v9, 16, v34
	s_waitcnt vmcnt(0)
	v_fmac_f32_e32 v5, v17, v13
	s_clause 0x1
	buffer_load_dword v13, off, s[28:31], 0 offset:108
	buffer_load_dword v17, off, s[28:31], 0 offset:116
	s_waitcnt vmcnt(1)
	v_fmac_f32_e32 v1, v13, v9
	v_lshlrev_b32_e32 v13, 16, v30
	v_and_b32_e32 v9, 0xffff0000, v30
	s_waitcnt vmcnt(0)
	v_fmac_f32_e32 v1, v17, v13
	s_clause 0x1
	buffer_load_dword v13, off, s[28:31], 0 offset:112
	buffer_load_dword v17, off, s[28:31], 0 offset:120
	s_waitcnt vmcnt(1)
	v_fmac_f32_e32 v5, v13, v9
	v_and_b32_e32 v13, 0xffff0000, v26
	v_lshlrev_b32_e32 v9, 16, v26
	s_waitcnt vmcnt(0)
	v_fmac_f32_e32 v5, v17, v13
	buffer_load_dword v13, off, s[28:31], 0 offset:124 ; 4-byte Folded Reload
	s_waitcnt vmcnt(0)
	v_fmac_f32_e32 v1, v13, v9
	v_and_b32_e32 v9, 0xffff0000, v22
	v_lshlrev_b32_e32 v13, 16, v22
	v_fmac_f32_e32 v5, v98, v9
	v_fmac_f32_e32 v1, v99, v13
	v_lshlrev_b32_e32 v9, 16, v18
	v_and_b32_e32 v13, 0xffff0000, v18
	v_fmac_f32_e32 v1, v107, v9
	v_fmac_f32_e32 v5, v106, v13
	v_and_b32_e32 v9, 0xffff0000, v14
	v_lshlrev_b32_e32 v13, 16, v14
	v_fmac_f32_e32 v5, v114, v9
	v_fmac_f32_e32 v1, v115, v13
	v_lshlrev_b32_e32 v9, 16, v10
	v_and_b32_e32 v10, 0xffff0000, v10
	buffer_load_dword v13, off, s[28:31], 0 offset:132 ; 4-byte Folded Reload
	v_fmac_f32_e32 v1, v123, v9
	v_and_b32_e32 v9, 0xffff0000, v6
	v_lshlrev_b32_e32 v6, 16, v6
	v_fmac_f32_e32 v5, v122, v10
	v_lshlrev_b32_e32 v10, 16, v39
	v_fmac_f32_e32 v1, v60, v6
	;; [unrolled: 2-line block ×3, first 2 shown]
	buffer_load_dword v9, off, s[28:31], 0 offset:16 ; 4-byte Folded Reload
	v_and_b32_e32 v2, 0xffff0000, v2
	v_fmac_f32_e32 v1, v51, v6
	buffer_load_dword v6, off, s[28:31], 0 offset:48 ; 4-byte Folded Reload
	v_fmac_f32_e32 v5, v50, v2
	buffer_load_dword v2, off, s[28:31], 0 offset:52 ; 4-byte Folded Reload
	s_waitcnt vmcnt(1)
	v_mul_f32_e32 v6, v6, v73
	v_fmac_f32_e32 v6, v9, v72
	buffer_load_dword v9, off, s[28:31], 0 offset:20 ; 4-byte Folded Reload
	s_waitcnt vmcnt(1)
	v_mul_f32_e32 v2, v2, v74
	s_waitcnt vmcnt(0)
	v_fmac_f32_e32 v2, v9, v71
	v_and_b32_e32 v9, 0xffff0000, v39
	v_fmac_f32_e32 v2, v13, v10
	buffer_load_dword v10, off, s[28:31], 0 offset:128 ; 4-byte Folded Reload
	s_waitcnt vmcnt(0)
	v_fmac_f32_e32 v6, v10, v9
	v_lshlrev_b32_e32 v9, 16, v35
	v_and_b32_e32 v10, 0xffff0000, v35
	v_fmac_f32_e32 v2, v85, v9
	v_fmac_f32_e32 v6, v84, v10
	v_and_b32_e32 v9, 0xffff0000, v31
	v_lshlrev_b32_e32 v10, 16, v31
	v_fmac_f32_e32 v6, v88, v9
	v_fmac_f32_e32 v2, v89, v10
	v_lshlrev_b32_e32 v9, 16, v27
	v_and_b32_e32 v10, 0xffff0000, v27
	v_fmac_f32_e32 v2, v93, v9
	v_fmac_f32_e32 v6, v92, v10
	v_and_b32_e32 v9, 0xffff0000, v23
	v_lshlrev_b32_e32 v10, 16, v23
	v_fmac_f32_e32 v6, v100, v9
	;; [unrolled: 8-line block ×3, first 2 shown]
	v_fmac_f32_e32 v2, v117, v10
	v_lshlrev_b32_e32 v9, 16, v11
	v_and_b32_e32 v10, 0xffff0000, v11
	v_fmac_f32_e32 v2, v125, v9
	v_and_b32_e32 v9, 0xffff0000, v7
	v_lshlrev_b32_e32 v7, 16, v7
	v_fmac_f32_e32 v6, v124, v10
	v_lshlrev_b32_e32 v10, 16, v40
	v_fmac_f32_e32 v2, v46, v7
	;; [unrolled: 2-line block ×3, first 2 shown]
	buffer_load_dword v9, off, s[28:31], 0 offset:24 ; 4-byte Folded Reload
	v_and_b32_e32 v3, 0xffff0000, v3
	v_fmac_f32_e32 v2, v53, v7
	buffer_load_dword v7, off, s[28:31], 0 offset:56 ; 4-byte Folded Reload
	v_fmac_f32_e32 v6, v52, v3
	buffer_load_dword v3, off, s[28:31], 0 offset:60 ; 4-byte Folded Reload
	s_waitcnt vmcnt(1)
	v_mul_f32_e32 v7, v7, v69
	v_fmac_f32_e32 v7, v9, v68
	buffer_load_dword v9, off, s[28:31], 0 offset:28 ; 4-byte Folded Reload
	s_waitcnt vmcnt(1)
	v_mul_f32_e32 v3, v3, v70
	s_waitcnt vmcnt(0)
	v_fmac_f32_e32 v3, v9, v67
	v_and_b32_e32 v9, 0xffff0000, v40
	v_fmac_f32_e32 v3, v83, v10
	v_fmac_f32_e32 v7, v82, v9
	v_lshlrev_b32_e32 v9, 16, v36
	v_and_b32_e32 v10, 0xffff0000, v36
	v_fmac_f32_e32 v3, v87, v9
	v_fmac_f32_e32 v7, v86, v10
	v_and_b32_e32 v9, 0xffff0000, v32
	v_lshlrev_b32_e32 v10, 16, v32
	v_fmac_f32_e32 v7, v90, v9
	v_fmac_f32_e32 v3, v91, v10
	v_lshlrev_b32_e32 v9, 16, v28
	v_and_b32_e32 v10, 0xffff0000, v28
	v_fmac_f32_e32 v3, v95, v9
	v_fmac_f32_e32 v7, v94, v10
	v_and_b32_e32 v9, 0xffff0000, v24
	v_lshlrev_b32_e32 v10, 16, v24
	;; [unrolled: 8-line block ×4, first 2 shown]
	v_fmac_f32_e32 v7, v0, v9
	v_fmac_f32_e32 v3, v47, v8
	v_lshlrev_b32_e32 v8, 16, v4
	v_and_b32_e32 v4, 0xffff0000, v4
	v_fmac_f32_e32 v3, v56, v8
	v_fmac_f32_e32 v7, v54, v4
	v_add_f32_e32 v4, v65, v66
	v_add_f32_e32 v1, v4, v1
	;; [unrolled: 1-line block ×4, first 2 shown]
	v_max_f32_e32 v2, v55, v55
	v_add_f32_e32 v1, v6, v1
	v_add_f32_e32 v1, v3, v1
	;; [unrolled: 1-line block ×3, first 2 shown]
	v_fmac_f32_e32 v64, s3, v1
	v_max_f32_e32 v2, v2, v64
	v_cndmask_b32_e64 v1, 0, v64, s1
	v_cndmask_b32_e64 v55, v55, v2, s1
	v_add_co_u32 v41, s1, v41, 16
	v_add_co_ci_u32_e64 v42, null, 0, v42, s1
	v_cmp_le_i32_e64 s1, s12, v63
	ds_write_b32 v57, v1
	v_add_nc_u32_e32 v57, 0x200, v57
	s_or_b32 s5, s1, s5
	s_andn2_b32 exec_lo, exec_lo, s5
	s_cbranch_execnz .LBB156_6
; %bb.7:
	s_or_b32 exec_lo, exec_lo, s5
	s_clause 0x5
	buffer_load_dword v88, off, s[28:31], 0 offset:136
	buffer_load_dword v89, off, s[28:31], 0 offset:140
	;; [unrolled: 1-line block ×6, first 2 shown]
.LBB156_8:
	s_or_b32 exec_lo, exec_lo, s25
	v_mbcnt_lo_u32_b32 v1, -1, 0
	v_max_f32_e32 v4, v55, v55
	v_xor_b32_e32 v0, 16, v1
	v_xor_b32_e32 v3, 8, v1
	v_cmp_gt_i32_e32 vcc_lo, 32, v0
	v_cndmask_b32_e32 v0, v1, v0, vcc_lo
	v_cmp_gt_i32_e32 vcc_lo, 32, v3
	v_lshlrev_b32_e32 v0, 2, v0
	v_cndmask_b32_e32 v3, v1, v3, vcc_lo
	ds_bpermute_b32 v2, v0, v55
	s_waitcnt lgkmcnt(0)
	v_max_f32_e32 v5, v2, v2
	v_lshlrev_b32_e32 v2, 2, v3
	v_max_f32_e32 v4, v4, v5
	v_xor_b32_e32 v5, 4, v1
	ds_bpermute_b32 v3, v2, v4
	v_cmp_gt_i32_e32 vcc_lo, 32, v5
	v_cndmask_b32_e32 v5, v1, v5, vcc_lo
	s_waitcnt lgkmcnt(0)
	v_max_f32_e32 v6, v3, v3
	v_lshlrev_b32_e32 v3, 2, v5
	v_max_f32_e32 v4, v4, v6
	v_xor_b32_e32 v6, 2, v1
	ds_bpermute_b32 v5, v3, v4
	v_cmp_gt_i32_e32 vcc_lo, 32, v6
	v_cndmask_b32_e32 v6, v1, v6, vcc_lo
	v_lshlrev_b32_e32 v62, 2, v6
	v_xor_b32_e32 v6, 1, v1
	v_cmp_gt_i32_e32 vcc_lo, 32, v6
	s_waitcnt lgkmcnt(0)
	v_max_f32_e32 v5, v5, v5
	v_cndmask_b32_e32 v6, v1, v6, vcc_lo
	s_waitcnt vmcnt(3)
	v_cmp_eq_u32_e32 vcc_lo, 0, v27
	v_max_f32_e32 v4, v4, v5
	v_lshlrev_b32_e32 v61, 2, v6
	ds_bpermute_b32 v5, v62, v4
	s_waitcnt lgkmcnt(0)
	v_max_f32_e32 v5, v5, v5
	v_max_f32_e32 v1, v4, v5
	v_lshlrev_b32_e32 v4, 2, v89
	ds_bpermute_b32 v5, v61, v1
	s_and_saveexec_b32 s1, vcc_lo
	s_cbranch_execz .LBB156_10
; %bb.9:
	s_waitcnt lgkmcnt(0)
	v_max_f32_e32 v5, v5, v5
	v_max_f32_e32 v1, v1, v1
	v_max_f32_e32 v1, v1, v5
	ds_write_b32 v4, v1 offset:192
.LBB156_10:
	s_or_b32 exec_lo, exec_lo, s1
	v_cmp_gt_u32_e64 s1, 4, v27
	v_mov_b32_e32 v1, 0xff7fffff
	s_waitcnt vmcnt(0) lgkmcnt(0)
	s_waitcnt_vscnt null, 0x0
	s_barrier
	buffer_gl0_inv
	s_and_saveexec_b32 s2, s1
; %bb.11:
	ds_read_b32 v1, v26 offset:192
; %bb.12:
	s_or_b32 exec_lo, exec_lo, s2
	s_waitcnt lgkmcnt(0)
	ds_bpermute_b32 v5, v62, v1
	v_max_f32_e32 v1, v1, v1
	s_lshl_b32 s2, s12, 5
	s_min_i32 s4, s2, s11
	v_cmp_gt_i32_e64 s2, s4, v88
	s_waitcnt lgkmcnt(0)
	v_max_f32_e32 v5, v5, v5
	v_max_f32_e32 v1, v1, v5
	ds_bpermute_b32 v5, v61, v1
	s_waitcnt lgkmcnt(0)
	v_max_f32_e32 v5, v5, v5
	v_max_f32_e32 v1, v1, v5
	v_mov_b32_e32 v5, 0
	ds_bpermute_b32 v6, v5, v1
	v_lshl_add_u32 v1, v88, 2, 0xe0
	s_and_saveexec_b32 s5, s2
	s_cbranch_execz .LBB156_16
; %bb.13:
	v_lshl_add_u32 v7, v88, 2, 0xe0
	v_mov_b32_e32 v5, 0
	v_mov_b32_e32 v8, v88
	s_mov_b32 s15, 0
	.p2align	6
.LBB156_14:                             ; =>This Inner Loop Header: Depth=1
	ds_read_b32 v9, v7
	v_add_nc_u32_e32 v8, 0x80, v8
	v_cmp_le_i32_e64 s3, s4, v8
	s_or_b32 s15, s3, s15
	s_waitcnt lgkmcnt(0)
	v_sub_f32_e32 v9, v9, v6
	v_mul_f32_e32 v9, 0x3fb8aa3b, v9
	v_exp_f32_e32 v9, v9
	ds_write_b32 v7, v9
	v_add_f32_e32 v5, v5, v9
	v_add_nc_u32_e32 v7, 0x200, v7
	s_andn2_b32 exec_lo, exec_lo, s15
	s_cbranch_execnz .LBB156_14
; %bb.15:
	s_or_b32 exec_lo, exec_lo, s15
.LBB156_16:
	s_or_b32 exec_lo, exec_lo, s5
	ds_bpermute_b32 v0, v0, v5
	s_waitcnt lgkmcnt(0)
	v_add_f32_e32 v0, v5, v0
	ds_bpermute_b32 v2, v2, v0
	s_waitcnt lgkmcnt(0)
	v_add_f32_e32 v0, v0, v2
	;; [unrolled: 3-line block ×5, first 2 shown]
	s_and_saveexec_b32 s3, vcc_lo
; %bb.17:
	ds_write_b32 v4, v0 offset:208
; %bb.18:
	s_or_b32 exec_lo, exec_lo, s3
	s_waitcnt lgkmcnt(0)
	s_barrier
	buffer_gl0_inv
	s_and_saveexec_b32 s3, s1
; %bb.19:
	ds_read_b32 v0, v26 offset:208
; %bb.20:
	s_or_b32 exec_lo, exec_lo, s3
	s_waitcnt lgkmcnt(0)
	ds_bpermute_b32 v2, v62, v0
	s_waitcnt lgkmcnt(0)
	v_add_f32_e32 v0, v0, v2
	ds_bpermute_b32 v2, v61, v0
	s_waitcnt lgkmcnt(0)
	v_add_f32_e32 v0, v0, v2
	v_mov_b32_e32 v2, 0
	ds_bpermute_b32 v0, v2, v0
	s_and_saveexec_b32 s1, s2
	s_cbranch_execz .LBB156_23
; %bb.21:
	s_waitcnt lgkmcnt(0)
	v_add_f32_e32 v0, 0x358637bd, v0
	s_mov_b32 s2, 0
	v_div_scale_f32 v2, null, v0, v0, 1.0
	v_div_scale_f32 v5, vcc_lo, 1.0, v0, 1.0
	v_rcp_f32_e32 v3, v2
	v_fma_f32 v4, -v2, v3, 1.0
	v_fmac_f32_e32 v3, v4, v3
	v_mul_f32_e32 v4, v5, v3
	v_fma_f32 v6, -v2, v4, v5
	v_fmac_f32_e32 v4, v6, v3
	v_fma_f32 v2, -v2, v4, v5
	v_div_fmas_f32 v2, v2, v3, v4
	v_div_fixup_f32 v0, v2, v0, 1.0
	v_mov_b32_e32 v2, v88
.LBB156_22:                             ; =>This Inner Loop Header: Depth=1
	ds_read_b32 v3, v1
	v_add_nc_u32_e32 v2, 0x80, v2
	v_cmp_le_i32_e32 vcc_lo, s4, v2
	s_or_b32 s2, vcc_lo, s2
	s_waitcnt lgkmcnt(0)
	v_mul_f32_e32 v3, v0, v3
	ds_write_b32 v1, v3
	v_add_nc_u32_e32 v1, 0x200, v1
	s_andn2_b32 exec_lo, exec_lo, s2
	s_cbranch_execnz .LBB156_22
.LBB156_23:
	s_or_b32 exec_lo, exec_lo, s1
	v_mov_b32_e32 v73, 0
	v_and_b32_e32 v63, 3, v88
	v_mov_b32_e32 v75, 0
	v_mov_b32_e32 v74, 0
	;; [unrolled: 1-line block ×11, first 2 shown]
	s_waitcnt lgkmcnt(0)
	s_barrier
	buffer_gl0_inv
	s_and_saveexec_b32 s3, s0
	s_cbranch_execz .LBB156_51
; %bb.24:
	v_lshlrev_b32_e32 v0, 3, v88
	s_ashr_i32 s15, s14, 31
	v_and_b32_e32 v2, 0x1f0, v10
	s_lshl_b64 s[0:1], s[14:15], 1
	v_lshlrev_b32_e32 v1, 5, v63
	v_and_b32_e32 v0, 24, v0
	s_add_u32 s0, s20, s0
	s_addc_u32 s1, s21, s1
	v_add_co_u32 v77, s0, s0, v2
	v_lshl_or_b32 v79, v89, 5, v0
	v_and_b32_e32 v0, 0x7c, v25
	v_add_co_ci_u32_e64 v78, null, s1, 0, s0
	s_lshl_b64 s[0:1], s[22:23], 2
	s_add_i32 s4, s12, -1
	v_lshl_or_b32 v1, v89, 7, v1
	s_add_u32 s0, s18, s0
	s_addc_u32 s1, s19, s1
	v_add_co_u32 v57, s0, s0, v0
	v_mov_b32_e32 v90, v27
	v_mov_b32_e32 v76, 0
	v_add_nc_u32_e32 v80, 0xe0, v1
	v_add_co_ci_u32_e64 v58, null, s1, 0, s0
	v_mov_b32_e32 v64, 0
	v_mov_b32_e32 v65, 0
	;; [unrolled: 1-line block ×13, first 2 shown]
	s_mov_b32 s5, s13
	s_mov_b32 s14, s11
	;; [unrolled: 1-line block ×3, first 2 shown]
	s_branch .LBB156_26
.LBB156_25:                             ;   in Loop: Header=BB156_26 Depth=1
	s_or_b32 exec_lo, exec_lo, s2
	s_waitcnt lgkmcnt(1)
	v_bfe_u32 v0, v41, 16, 1
	v_bfe_u32 v59, v42, 16, 1
	v_or_b32_e32 v60, 0x400000, v41
	v_cmp_u_f32_e32 vcc_lo, v41, v41
	v_or_b32_e32 v82, 0x400000, v42
	v_add3_u32 v0, v0, v41, 0x7fff
	v_bfe_u32 v83, v43, 16, 1
	v_add3_u32 v59, v59, v42, 0x7fff
	v_bfe_u32 v84, v44, 16, 1
	v_add_nc_u32_e32 v81, 4, v81
	v_cndmask_b32_e32 v41, v0, v60, vcc_lo
	v_cmp_u_f32_e32 vcc_lo, v42, v42
	v_add3_u32 v42, v83, v43, 0x7fff
	s_waitcnt lgkmcnt(0)
	v_bfe_u32 v60, v33, 16, 1
	v_or_b32_e32 v83, 0x400000, v44
	v_and_b32_e32 v41, 0xffff0000, v41
	v_cndmask_b32_e32 v0, v59, v82, vcc_lo
	v_or_b32_e32 v59, 0x400000, v43
	v_cmp_u_f32_e32 vcc_lo, v43, v43
	v_add3_u32 v82, v84, v44, 0x7fff
	v_add3_u32 v43, v60, v33, 0x7fff
	v_bfe_u32 v60, v34, 16, 1
	v_and_b32_e32 v0, 0xffff0000, v0
	v_cndmask_b32_e32 v42, v42, v59, vcc_lo
	v_cmp_u_f32_e32 vcc_lo, v44, v44
	v_or_b32_e32 v59, 0x400000, v33
	v_add3_u32 v60, v60, v34, 0x7fff
	v_add_co_u32 v57, s0, v57, 16
	v_cndmask_b32_e32 v44, v82, v83, vcc_lo
	v_cmp_u_f32_e32 vcc_lo, v33, v33
	v_bfe_u32 v33, v35, 16, 1
	v_or_b32_e32 v82, 0x400000, v34
	v_or_b32_e32 v83, 0x400000, v35
	v_add_nc_u32_e32 v79, 0x80, v79
	v_cndmask_b32_e32 v43, v43, v59, vcc_lo
	s_waitcnt vmcnt(1)
	v_and_b32_e32 v59, 0xffff0000, v53
	v_cmp_u_f32_e32 vcc_lo, v34, v34
	v_add3_u32 v33, v33, v35, 0x7fff
	v_bfe_u32 v34, v36, 16, 1
	v_and_b32_e32 v43, 0xffff0000, v43
	v_mul_f32_e32 v59, v0, v59
	v_cndmask_b32_e32 v60, v60, v82, vcc_lo
	v_cmp_u_f32_e32 vcc_lo, v35, v35
	v_lshlrev_b32_e32 v35, 16, v53
	v_add3_u32 v53, v34, v36, 0x7fff
	v_and_b32_e32 v34, 0xffff0000, v44
	v_and_b32_e32 v44, 0xffff0000, v54
	v_cndmask_b32_e32 v82, v33, v83, vcc_lo
	v_bfe_u32 v33, v59, 16, 1
	v_or_b32_e32 v83, 0x400000, v36
	v_mul_f32_e32 v35, v41, v35
	v_cmp_u_f32_e32 vcc_lo, v36, v36
	v_or_b32_e32 v84, 0x400000, v59
	v_add3_u32 v33, v33, v59, 0x7fff
	v_mul_f32_e32 v44, v34, v44
	v_and_b32_e32 v36, 0xffff0000, v42
	v_cndmask_b32_e32 v53, v53, v83, vcc_lo
	v_cmp_u_f32_e32 vcc_lo, v59, v59
	v_bfe_u32 v83, v35, 16, 1
	v_lshlrev_b32_e32 v42, 16, v54
	v_and_b32_e32 v54, 0xffff0000, v55
	v_lshlrev_b32_e32 v55, 16, v55
	v_cndmask_b32_e32 v59, v33, v84, vcc_lo
	v_and_b32_e32 v33, 0xffff0000, v60
	v_add3_u32 v60, v83, v35, 0x7fff
	v_or_b32_e32 v83, 0x400000, v35
	v_bfe_u32 v84, v44, 16, 1
	v_mul_f32_e32 v42, v36, v42
	v_cmp_u_f32_e32 vcc_lo, v35, v35
	v_mul_f32_e32 v54, v33, v54
	v_mul_f32_e32 v55, v43, v55
	v_add3_u32 v35, v84, v44, 0x7fff
	v_bfe_u32 v84, v42, 16, 1
	v_cndmask_b32_e32 v60, v60, v83, vcc_lo
	v_or_b32_e32 v83, 0x400000, v44
	v_cmp_u_f32_e32 vcc_lo, v44, v44
	v_bfe_u32 v85, v54, 16, 1
	v_or_b32_e32 v86, 0x400000, v54
	v_bfe_u32 v87, v55, 16, 1
	v_and_b32_e32 v60, 0xffff0000, v60
	v_cndmask_b32_e32 v44, v35, v83, vcc_lo
	v_add3_u32 v83, v84, v42, 0x7fff
	v_or_b32_e32 v84, 0x400000, v42
	v_cmp_u_f32_e32 vcc_lo, v42, v42
	v_add3_u32 v85, v85, v54, 0x7fff
	v_and_b32_e32 v35, 0xffff0000, v53
	v_and_b32_e32 v53, 0xffff0000, v56
	;; [unrolled: 1-line block ×3, first 2 shown]
	v_cndmask_b32_e32 v83, v83, v84, vcc_lo
	v_cmp_u_f32_e32 vcc_lo, v54, v54
	v_add3_u32 v84, v87, v55, 0x7fff
	v_mul_f32_e32 v53, v35, v53
	v_lshlrev_b32_e32 v56, 16, v56
	v_and_b32_e32 v59, 0xffff0000, v59
	v_cndmask_b32_e32 v54, v85, v86, vcc_lo
	v_or_b32_e32 v85, 0x400000, v55
	v_cmp_u_f32_e32 vcc_lo, v55, v55
	v_bfe_u32 v86, v53, 16, 1
	v_and_b32_e32 v83, 0xffff0000, v83
	v_and_b32_e32 v44, 0xffff0000, v44
	v_mul_f32_e32 v56, v42, v56
	v_cndmask_b32_e32 v55, v84, v85, vcc_lo
	v_add3_u32 v82, v86, v53, 0x7fff
	v_or_b32_e32 v84, 0x400000, v53
	v_cmp_u_f32_e32 vcc_lo, v53, v53
	v_add_f32_e32 v59, v60, v59
	v_add_f32_e32 v44, v83, v44
	v_and_b32_e32 v55, 0xffff0000, v55
	v_and_b32_e32 v60, 0xffff0000, v49
	;; [unrolled: 1-line block ×3, first 2 shown]
	v_cndmask_b32_e32 v53, v82, v84, vcc_lo
	v_bfe_u32 v82, v56, 16, 1
	v_add_f32_e32 v44, v44, v59
	v_mul_f32_e32 v59, v0, v60
	v_add_f32_e32 v54, v55, v54
	v_lshlrev_b32_e32 v49, 16, v49
	v_add3_u32 v82, v82, v56, 0x7fff
	v_or_b32_e32 v83, 0x400000, v56
	v_cmp_u_f32_e32 vcc_lo, v56, v56
	v_bfe_u32 v56, v59, 16, 1
	v_add_f32_e32 v44, v54, v44
	v_mul_f32_e32 v49, v41, v49
	v_and_b32_e32 v54, 0xffff0000, v50
	v_cndmask_b32_e32 v55, v82, v83, vcc_lo
	v_add3_u32 v56, v56, v59, 0x7fff
	v_or_b32_e32 v60, 0x400000, v59
	v_bfe_u32 v82, v49, 16, 1
	v_mul_f32_e32 v54, v34, v54
	v_lshlrev_b32_e32 v50, 16, v50
	v_cmp_u_f32_e32 vcc_lo, v59, v59
	v_and_b32_e32 v83, 0xffff0000, v51
	v_add3_u32 v59, v82, v49, 0x7fff
	v_bfe_u32 v82, v54, 16, 1
	v_mul_f32_e32 v50, v36, v50
	v_cndmask_b32_e32 v56, v56, v60, vcc_lo
	v_or_b32_e32 v60, 0x400000, v49
	v_cmp_u_f32_e32 vcc_lo, v49, v49
	v_mul_f32_e32 v83, v33, v83
	v_lshlrev_b32_e32 v51, 16, v51
	v_and_b32_e32 v84, 0xffff0000, v52
	v_lshlrev_b32_e32 v52, 16, v52
	v_cndmask_b32_e32 v49, v59, v60, vcc_lo
	v_add3_u32 v59, v82, v54, 0x7fff
	v_or_b32_e32 v60, 0x400000, v54
	v_bfe_u32 v82, v50, 16, 1
	v_cmp_u_f32_e32 vcc_lo, v54, v54
	v_mul_f32_e32 v51, v43, v51
	v_mul_f32_e32 v52, v42, v52
	v_and_b32_e32 v49, 0xffff0000, v49
	v_and_b32_e32 v56, 0xffff0000, v56
	v_cndmask_b32_e32 v54, v59, v60, vcc_lo
	v_add3_u32 v59, v82, v50, 0x7fff
	v_or_b32_e32 v60, 0x400000, v50
	v_bfe_u32 v82, v83, 16, 1
	v_cmp_u_f32_e32 vcc_lo, v50, v50
	v_or_b32_e32 v85, 0x400000, v51
	v_bfe_u32 v87, v52, 16, 1
	v_and_b32_e32 v54, 0xffff0000, v54
	v_add_f32_e32 v49, v49, v56
	v_cndmask_b32_e32 v50, v59, v60, vcc_lo
	v_bfe_u32 v59, v51, 16, 1
	v_add3_u32 v60, v82, v83, 0x7fff
	v_mul_f32_e32 v82, v35, v84
	v_or_b32_e32 v84, 0x400000, v83
	v_cmp_u_f32_e32 vcc_lo, v83, v83
	v_add3_u32 v59, v59, v51, 0x7fff
	v_add3_u32 v83, v87, v52, 0x7fff
	v_bfe_u32 v86, v82, 16, 1
	v_and_b32_e32 v50, 0xffff0000, v50
	v_cndmask_b32_e32 v60, v60, v84, vcc_lo
	v_cmp_u_f32_e32 vcc_lo, v51, v51
	v_or_b32_e32 v84, 0x400000, v52
	v_and_b32_e32 v55, 0xffff0000, v55
	v_add_f32_e32 v50, v50, v54
	v_and_b32_e32 v54, 0xffff0000, v60
	v_cndmask_b32_e32 v51, v59, v85, vcc_lo
	v_cmp_u_f32_e32 vcc_lo, v52, v52
	v_add3_u32 v59, v86, v82, 0x7fff
	v_or_b32_e32 v85, 0x400000, v82
	v_and_b32_e32 v53, 0xffff0000, v53
	v_and_b32_e32 v51, 0xffff0000, v51
	v_cndmask_b32_e32 v52, v83, v84, vcc_lo
	v_cmp_u_f32_e32 vcc_lo, v82, v82
	v_add_f32_e32 v49, v50, v49
	v_add_f32_e32 v53, v55, v53
	;; [unrolled: 1-line block ×3, first 2 shown]
	v_and_b32_e32 v51, 0xffff0000, v52
	v_cndmask_b32_e32 v56, v59, v85, vcc_lo
	v_and_b32_e32 v54, 0xffff0000, v45
	v_lshlrev_b32_e32 v45, 16, v45
	v_add_f32_e32 v49, v50, v49
	v_add_f32_e32 v44, v53, v44
	v_and_b32_e32 v52, 0xffff0000, v56
	v_add_nc_u32_e32 v80, 0x200, v80
	v_mul_f32_e32 v45, v41, v45
	v_add_co_ci_u32_e64 v58, null, 0, v58, s0
	v_add_f32_e32 v50, v51, v52
	v_mul_f32_e32 v51, v0, v54
	v_and_b32_e32 v52, 0xffff0000, v46
	v_add_f32_e32 v65, v65, v44
	v_bfe_u32 v44, v45, 16, 1
	v_add_f32_e32 v49, v50, v49
	v_bfe_u32 v50, v51, 16, 1
	v_mul_f32_e32 v52, v34, v52
	v_lshlrev_b32_e32 v46, 16, v46
	v_cmp_u_f32_e32 vcc_lo, v51, v51
	v_add_f32_e32 v66, v66, v49
	v_add3_u32 v49, v50, v51, 0x7fff
	v_or_b32_e32 v50, 0x400000, v51
	v_add3_u32 v44, v44, v45, 0x7fff
	v_or_b32_e32 v53, 0x400000, v45
	v_or_b32_e32 v51, 0x400000, v52
	v_and_b32_e32 v54, 0xffff0000, v48
	v_cndmask_b32_e32 v49, v49, v50, vcc_lo
	v_bfe_u32 v50, v52, 16, 1
	v_cmp_u_f32_e32 vcc_lo, v45, v45
	v_mul_f32_e32 v45, v36, v46
	v_and_b32_e32 v46, 0xffff0000, v47
	v_lshlrev_b32_e32 v47, 16, v47
	v_add3_u32 v50, v50, v52, 0x7fff
	v_cndmask_b32_e32 v44, v44, v53, vcc_lo
	v_bfe_u32 v53, v45, 16, 1
	v_mul_f32_e32 v46, v33, v46
	v_cmp_u_f32_e32 vcc_lo, v52, v52
	v_mul_f32_e32 v47, v43, v47
	v_or_b32_e32 v52, 0x400000, v45
	v_lshlrev_b32_e32 v48, 16, v48
	v_and_b32_e32 v44, 0xffff0000, v44
	v_cndmask_b32_e32 v50, v50, v51, vcc_lo
	v_add3_u32 v51, v53, v45, 0x7fff
	v_bfe_u32 v53, v46, 16, 1
	v_cmp_u_f32_e32 vcc_lo, v45, v45
	v_bfe_u32 v55, v47, 16, 1
	v_mul_f32_e32 v48, v42, v48
	v_and_b32_e32 v49, 0xffff0000, v49
	v_and_b32_e32 v50, 0xffff0000, v50
	v_cndmask_b32_e32 v45, v51, v52, vcc_lo
	v_add3_u32 v51, v53, v46, 0x7fff
	v_mul_f32_e32 v52, v35, v54
	v_or_b32_e32 v53, 0x400000, v46
	v_cmp_u_f32_e32 vcc_lo, v46, v46
	v_add3_u32 v54, v55, v47, 0x7fff
	v_or_b32_e32 v55, 0x400000, v47
	v_bfe_u32 v56, v52, 16, 1
	v_and_b32_e32 v45, 0xffff0000, v45
	v_cndmask_b32_e32 v46, v51, v53, vcc_lo
	v_cmp_u_f32_e32 vcc_lo, v47, v47
	v_or_b32_e32 v53, 0x400000, v52
	v_add3_u32 v51, v56, v52, 0x7fff
	v_add_f32_e32 v44, v44, v49
	v_add_f32_e32 v45, v45, v50
	v_cndmask_b32_e32 v47, v54, v55, vcc_lo
	v_bfe_u32 v54, v48, 16, 1
	v_cmp_u_f32_e32 vcc_lo, v52, v52
	v_and_b32_e32 v49, 0xffff0000, v37
	v_and_b32_e32 v46, 0xffff0000, v46
	;; [unrolled: 1-line block ×3, first 2 shown]
	v_add3_u32 v52, v54, v48, 0x7fff
	v_cndmask_b32_e32 v51, v51, v53, vcc_lo
	v_or_b32_e32 v53, 0x400000, v48
	v_cmp_u_f32_e32 vcc_lo, v48, v48
	v_add_f32_e32 v44, v45, v44
	v_mul_f32_e32 v45, v0, v49
	v_add_f32_e32 v46, v47, v46
	v_lshlrev_b32_e32 v37, 16, v37
	v_cndmask_b32_e32 v48, v52, v53, vcc_lo
	v_and_b32_e32 v52, 0xffff0000, v40
	v_bfe_u32 v49, v45, 16, 1
	v_add_f32_e32 v44, v46, v44
	v_mul_f32_e32 v37, v41, v37
	v_and_b32_e32 v47, 0xffff0000, v48
	v_and_b32_e32 v48, 0xffff0000, v51
	;; [unrolled: 1-line block ×3, first 2 shown]
	v_lshlrev_b32_e32 v38, 16, v38
	v_bfe_u32 v50, v37, 16, 1
	v_cmp_u_f32_e32 vcc_lo, v45, v45
	v_add_f32_e32 v47, v47, v48
	v_add3_u32 v48, v49, v45, 0x7fff
	v_or_b32_e32 v49, 0x400000, v45
	v_mul_f32_e32 v46, v34, v46
	v_mul_f32_e32 v38, v36, v38
	v_and_b32_e32 v51, 0xffff0000, v39
	v_lshlrev_b32_e32 v39, 16, v39
	v_cndmask_b32_e32 v45, v48, v49, vcc_lo
	v_add3_u32 v48, v50, v37, 0x7fff
	v_or_b32_e32 v49, 0x400000, v37
	v_bfe_u32 v50, v46, 16, 1
	v_cmp_u_f32_e32 vcc_lo, v37, v37
	v_mul_f32_e32 v51, v33, v51
	v_mul_f32_e32 v39, v43, v39
	v_lshlrev_b32_e32 v40, 16, v40
	v_and_b32_e32 v45, 0xffff0000, v45
	v_cndmask_b32_e32 v37, v48, v49, vcc_lo
	v_add3_u32 v48, v50, v46, 0x7fff
	v_or_b32_e32 v49, 0x400000, v46
	v_bfe_u32 v50, v38, 16, 1
	v_cmp_u_f32_e32 vcc_lo, v46, v46
	v_mul_f32_e32 v40, v42, v40
	v_or_b32_e32 v53, 0x400000, v39
	v_and_b32_e32 v37, 0xffff0000, v37
	v_add_f32_e32 v44, v47, v44
	v_cndmask_b32_e32 v46, v48, v49, vcc_lo
	v_add3_u32 v48, v50, v38, 0x7fff
	v_or_b32_e32 v49, 0x400000, v38
	v_bfe_u32 v50, v51, 16, 1
	v_cmp_u_f32_e32 vcc_lo, v38, v38
	v_and_b32_e32 v46, 0xffff0000, v46
	v_add_f32_e32 v37, v37, v45
	v_add_f32_e32 v67, v67, v44
	v_cndmask_b32_e32 v38, v48, v49, vcc_lo
	v_bfe_u32 v48, v39, 16, 1
	v_add3_u32 v49, v50, v51, 0x7fff
	v_mul_f32_e32 v50, v35, v52
	v_or_b32_e32 v52, 0x400000, v51
	v_cmp_u_f32_e32 vcc_lo, v51, v51
	v_add3_u32 v48, v48, v39, 0x7fff
	v_bfe_u32 v51, v40, 16, 1
	v_bfe_u32 v54, v50, 16, 1
	v_and_b32_e32 v38, 0xffff0000, v38
	v_cndmask_b32_e32 v49, v49, v52, vcc_lo
	v_cmp_u_f32_e32 vcc_lo, v39, v39
	v_add3_u32 v51, v51, v40, 0x7fff
	v_or_b32_e32 v52, 0x400000, v50
	v_add_f32_e32 v38, v38, v46
	v_and_b32_e32 v45, 0xffff0000, v49
	v_cndmask_b32_e32 v39, v48, v53, vcc_lo
	v_or_b32_e32 v53, 0x400000, v40
	v_cmp_u_f32_e32 vcc_lo, v40, v40
	v_add3_u32 v48, v54, v50, 0x7fff
	v_add_f32_e32 v37, v38, v37
	v_and_b32_e32 v39, 0xffff0000, v39
	v_cndmask_b32_e32 v40, v51, v53, vcc_lo
	v_cmp_u_f32_e32 vcc_lo, v50, v50
	v_add_f32_e32 v38, v39, v45
	v_and_b32_e32 v39, 0xffff0000, v29
	v_and_b32_e32 v40, 0xffff0000, v40
	v_cndmask_b32_e32 v46, v48, v52, vcc_lo
	v_lshlrev_b32_e32 v29, 16, v29
	v_add_f32_e32 v37, v38, v37
	v_mul_f32_e32 v39, v0, v39
	v_and_b32_e32 v45, 0xffff0000, v46
	v_mul_f32_e32 v29, v41, v29
	v_cmp_u_f32_e32 vcc_lo, v39, v39
	v_add_f32_e32 v38, v40, v45
	v_and_b32_e32 v40, 0xffff0000, v30
	v_bfe_u32 v45, v39, 16, 1
	v_bfe_u32 v44, v29, 16, 1
	v_or_b32_e32 v46, 0x400000, v29
	v_add_f32_e32 v37, v38, v37
	v_mul_f32_e32 v38, v34, v40
	v_add3_u32 v40, v45, v39, 0x7fff
	v_or_b32_e32 v45, 0x400000, v39
	v_add3_u32 v44, v44, v29, 0x7fff
	v_lshlrev_b32_e32 v30, 16, v30
	v_bfe_u32 v47, v38, 16, 1
	v_add_f32_e32 v68, v68, v37
	v_cndmask_b32_e32 v39, v40, v45, vcc_lo
	v_cmp_u_f32_e32 vcc_lo, v29, v29
	v_mul_f32_e32 v30, v36, v30
	v_add3_u32 v40, v47, v38, 0x7fff
	v_and_b32_e32 v45, 0xffff0000, v31
	v_lshlrev_b32_e32 v31, 16, v31
	v_cndmask_b32_e32 v29, v44, v46, vcc_lo
	v_or_b32_e32 v44, 0x400000, v38
	v_cmp_u_f32_e32 vcc_lo, v38, v38
	v_bfe_u32 v46, v30, 16, 1
	v_mul_f32_e32 v31, v43, v31
	v_and_b32_e32 v29, 0xffff0000, v29
	v_and_b32_e32 v39, 0xffff0000, v39
	v_cndmask_b32_e32 v38, v40, v44, vcc_lo
	v_mul_f32_e32 v40, v33, v45
	v_add3_u32 v44, v46, v30, 0x7fff
	v_or_b32_e32 v45, 0x400000, v30
	v_and_b32_e32 v46, 0xffff0000, v32
	v_cmp_u_f32_e32 vcc_lo, v30, v30
	v_bfe_u32 v47, v40, 16, 1
	v_bfe_u32 v48, v31, 16, 1
	v_lshlrev_b32_e32 v32, 16, v32
	v_and_b32_e32 v38, 0xffff0000, v38
	v_cndmask_b32_e32 v30, v44, v45, vcc_lo
	v_mul_f32_e32 v44, v35, v46
	v_add3_u32 v45, v47, v40, 0x7fff
	v_or_b32_e32 v46, 0x400000, v40
	v_cmp_u_f32_e32 vcc_lo, v40, v40
	v_add3_u32 v47, v48, v31, 0x7fff
	v_or_b32_e32 v48, 0x400000, v31
	v_bfe_u32 v49, v44, 16, 1
	v_and_b32_e32 v30, 0xffff0000, v30
	v_cndmask_b32_e32 v40, v45, v46, vcc_lo
	v_cmp_u_f32_e32 vcc_lo, v31, v31
	v_or_b32_e32 v46, 0x400000, v44
	v_add3_u32 v45, v49, v44, 0x7fff
	v_mul_f32_e32 v32, v42, v32
	v_add_f32_e32 v29, v29, v39
	v_cndmask_b32_e32 v31, v47, v48, vcc_lo
	v_cmp_u_f32_e32 vcc_lo, v44, v44
	v_add_f32_e32 v30, v30, v38
	v_and_b32_e32 v38, 0xffff0000, v25
	v_and_b32_e32 v39, 0xffff0000, v40
	;; [unrolled: 1-line block ×3, first 2 shown]
	v_cndmask_b32_e32 v44, v45, v46, vcc_lo
	v_bfe_u32 v45, v32, 16, 1
	v_add_f32_e32 v29, v30, v29
	v_mul_f32_e32 v30, v0, v38
	v_add_f32_e32 v31, v31, v39
	v_lshlrev_b32_e32 v25, 16, v25
	v_add3_u32 v40, v45, v32, 0x7fff
	v_or_b32_e32 v45, 0x400000, v32
	v_cmp_u_f32_e32 vcc_lo, v32, v32
	v_bfe_u32 v38, v30, 16, 1
	v_add_f32_e32 v29, v31, v29
	v_mul_f32_e32 v25, v41, v25
	v_and_b32_e32 v31, 0xffff0000, v26
	v_cndmask_b32_e32 v32, v40, v45, vcc_lo
	v_add3_u32 v38, v38, v30, 0x7fff
	v_or_b32_e32 v39, 0x400000, v30
	v_bfe_u32 v40, v25, 16, 1
	v_mul_f32_e32 v31, v34, v31
	v_lshlrev_b32_e32 v26, 16, v26
	v_cmp_u_f32_e32 vcc_lo, v30, v30
	v_and_b32_e32 v45, 0xffff0000, v27
	v_lshlrev_b32_e32 v27, 16, v27
	v_and_b32_e32 v46, 0xffff0000, v28
	v_mul_f32_e32 v26, v36, v26
	v_cndmask_b32_e32 v30, v38, v39, vcc_lo
	v_add3_u32 v38, v40, v25, 0x7fff
	v_or_b32_e32 v39, 0x400000, v25
	v_bfe_u32 v40, v31, 16, 1
	v_cmp_u_f32_e32 vcc_lo, v25, v25
	v_mul_f32_e32 v45, v33, v45
	v_mul_f32_e32 v27, v43, v27
	v_lshlrev_b32_e32 v28, 16, v28
	v_and_b32_e32 v30, 0xffff0000, v30
	v_cndmask_b32_e32 v25, v38, v39, vcc_lo
	v_add3_u32 v38, v40, v31, 0x7fff
	v_or_b32_e32 v39, 0x400000, v31
	v_bfe_u32 v40, v26, 16, 1
	v_cmp_u_f32_e32 vcc_lo, v31, v31
	v_mul_f32_e32 v28, v42, v28
	v_or_b32_e32 v47, 0x400000, v27
	v_and_b32_e32 v25, 0xffff0000, v25
	v_and_b32_e32 v32, 0xffff0000, v32
	v_cndmask_b32_e32 v31, v38, v39, vcc_lo
	v_add3_u32 v38, v40, v26, 0x7fff
	v_or_b32_e32 v39, 0x400000, v26
	v_bfe_u32 v40, v45, 16, 1
	v_cmp_u_f32_e32 vcc_lo, v26, v26
	v_bfe_u32 v49, v28, 16, 1
	v_and_b32_e32 v31, 0xffff0000, v31
	v_add_f32_e32 v25, v25, v30
	v_cndmask_b32_e32 v26, v38, v39, vcc_lo
	v_bfe_u32 v38, v27, 16, 1
	v_add3_u32 v39, v40, v45, 0x7fff
	v_mul_f32_e32 v40, v35, v46
	v_or_b32_e32 v46, 0x400000, v45
	v_cmp_u_f32_e32 vcc_lo, v45, v45
	v_add3_u32 v38, v38, v27, 0x7fff
	v_add3_u32 v45, v49, v28, 0x7fff
	v_bfe_u32 v48, v40, 16, 1
	v_and_b32_e32 v26, 0xffff0000, v26
	v_cndmask_b32_e32 v39, v39, v46, vcc_lo
	v_cmp_u_f32_e32 vcc_lo, v27, v27
	v_or_b32_e32 v46, 0x400000, v28
	v_add_f32_e32 v26, v26, v31
	v_and_b32_e32 v30, 0xffff0000, v39
	v_cndmask_b32_e32 v27, v38, v47, vcc_lo
	v_cmp_u_f32_e32 vcc_lo, v28, v28
	v_add3_u32 v38, v48, v40, 0x7fff
	v_or_b32_e32 v47, 0x400000, v40
	v_add_f32_e32 v25, v26, v25
	v_and_b32_e32 v27, 0xffff0000, v27
	v_cndmask_b32_e32 v28, v45, v46, vcc_lo
	v_cmp_u_f32_e32 vcc_lo, v40, v40
	v_add_f32_e32 v26, v27, v30
	v_and_b32_e32 v27, 0xffff0000, v28
	v_cndmask_b32_e32 v31, v38, v47, vcc_lo
	v_and_b32_e32 v38, 0xffff0000, v44
	v_and_b32_e32 v30, 0xffff0000, v21
	v_lshlrev_b32_e32 v21, 16, v21
	v_add_f32_e32 v25, v26, v25
	v_and_b32_e32 v28, 0xffff0000, v31
	v_add_f32_e32 v31, v32, v38
	v_mul_f32_e32 v21, v41, v21
	v_add_f32_e32 v26, v27, v28
	v_mul_f32_e32 v27, v0, v30
	v_add_f32_e32 v28, v31, v29
	v_and_b32_e32 v29, 0xffff0000, v22
	v_lshlrev_b32_e32 v22, 16, v22
	v_add_f32_e32 v25, v26, v25
	v_bfe_u32 v26, v27, 16, 1
	v_add_f32_e32 v69, v69, v28
	v_bfe_u32 v28, v21, 16, 1
	v_mul_f32_e32 v29, v34, v29
	v_add_f32_e32 v70, v70, v25
	v_add3_u32 v25, v26, v27, 0x7fff
	v_or_b32_e32 v26, 0x400000, v27
	v_cmp_u_f32_e32 vcc_lo, v27, v27
	v_add3_u32 v28, v28, v21, 0x7fff
	v_or_b32_e32 v30, 0x400000, v21
	v_mul_f32_e32 v22, v36, v22
	v_and_b32_e32 v27, 0xffff0000, v23
	v_cndmask_b32_e32 v25, v25, v26, vcc_lo
	v_bfe_u32 v26, v29, 16, 1
	v_cmp_u_f32_e32 vcc_lo, v21, v21
	v_lshlrev_b32_e32 v23, 16, v23
	v_mul_f32_e32 v27, v33, v27
	v_and_b32_e32 v31, 0xffff0000, v24
	v_add3_u32 v26, v26, v29, 0x7fff
	v_cndmask_b32_e32 v21, v28, v30, vcc_lo
	v_or_b32_e32 v28, 0x400000, v29
	v_bfe_u32 v30, v22, 16, 1
	v_cmp_u_f32_e32 vcc_lo, v29, v29
	v_mul_f32_e32 v23, v43, v23
	v_or_b32_e32 v29, 0x400000, v22
	v_lshlrev_b32_e32 v24, 16, v24
	v_and_b32_e32 v21, 0xffff0000, v21
	v_cndmask_b32_e32 v26, v26, v28, vcc_lo
	v_add3_u32 v28, v30, v22, 0x7fff
	v_bfe_u32 v30, v27, 16, 1
	v_cmp_u_f32_e32 vcc_lo, v22, v22
	v_bfe_u32 v32, v23, 16, 1
	v_mul_f32_e32 v24, v42, v24
	v_and_b32_e32 v25, 0xffff0000, v25
	v_and_b32_e32 v26, 0xffff0000, v26
	v_cndmask_b32_e32 v22, v28, v29, vcc_lo
	v_add3_u32 v28, v30, v27, 0x7fff
	v_mul_f32_e32 v29, v35, v31
	v_or_b32_e32 v30, 0x400000, v27
	v_cmp_u_f32_e32 vcc_lo, v27, v27
	v_add3_u32 v31, v32, v23, 0x7fff
	v_or_b32_e32 v32, 0x400000, v23
	v_bfe_u32 v37, v29, 16, 1
	v_and_b32_e32 v22, 0xffff0000, v22
	v_cndmask_b32_e32 v27, v28, v30, vcc_lo
	v_cmp_u_f32_e32 vcc_lo, v23, v23
	v_or_b32_e32 v30, 0x400000, v29
	v_add3_u32 v28, v37, v29, 0x7fff
	v_add_f32_e32 v21, v21, v25
	v_add_f32_e32 v22, v22, v26
	v_cndmask_b32_e32 v23, v31, v32, vcc_lo
	v_bfe_u32 v31, v24, 16, 1
	v_cmp_u_f32_e32 vcc_lo, v29, v29
	v_and_b32_e32 v26, 0xffff0000, v13
	v_and_b32_e32 v25, 0xffff0000, v27
	;; [unrolled: 1-line block ×3, first 2 shown]
	v_add3_u32 v29, v31, v24, 0x7fff
	v_cndmask_b32_e32 v28, v28, v30, vcc_lo
	v_or_b32_e32 v30, 0x400000, v24
	v_cmp_u_f32_e32 vcc_lo, v24, v24
	v_lshlrev_b32_e32 v13, 16, v13
	v_add_f32_e32 v21, v22, v21
	v_mul_f32_e32 v22, v0, v26
	v_add_f32_e32 v23, v23, v25
	v_cndmask_b32_e32 v24, v29, v30, vcc_lo
	v_mul_f32_e32 v13, v41, v13
	v_and_b32_e32 v25, 0xffff0000, v28
	v_bfe_u32 v26, v22, 16, 1
	v_add_f32_e32 v21, v23, v21
	v_and_b32_e32 v24, 0xffff0000, v24
	v_bfe_u32 v23, v13, 16, 1
	v_and_b32_e32 v27, 0xffff0000, v14
	v_cmp_u_f32_e32 vcc_lo, v22, v22
	v_or_b32_e32 v28, 0x400000, v13
	v_add_f32_e32 v24, v24, v25
	v_add3_u32 v25, v26, v22, 0x7fff
	v_or_b32_e32 v26, 0x400000, v22
	v_add3_u32 v23, v23, v13, 0x7fff
	v_mul_f32_e32 v27, v34, v27
	v_lshlrev_b32_e32 v14, 16, v14
	v_and_b32_e32 v29, 0xffff0000, v16
	v_cndmask_b32_e32 v22, v25, v26, vcc_lo
	v_cmp_u_f32_e32 vcc_lo, v13, v13
	v_bfe_u32 v25, v27, 16, 1
	v_mul_f32_e32 v14, v36, v14
	v_or_b32_e32 v26, 0x400000, v27
	v_lshlrev_b32_e32 v16, 16, v16
	v_cndmask_b32_e32 v13, v23, v28, vcc_lo
	v_and_b32_e32 v23, 0xffff0000, v15
	v_add3_u32 v25, v25, v27, 0x7fff
	v_lshlrev_b32_e32 v15, 16, v15
	v_bfe_u32 v28, v14, 16, 1
	v_cmp_u_f32_e32 vcc_lo, v27, v27
	v_mul_f32_e32 v23, v33, v23
	v_or_b32_e32 v27, 0x400000, v14
	v_mul_f32_e32 v15, v43, v15
	v_mul_f32_e32 v16, v42, v16
	v_cndmask_b32_e32 v25, v25, v26, vcc_lo
	v_add3_u32 v26, v28, v14, 0x7fff
	v_bfe_u32 v28, v23, 16, 1
	v_cmp_u_f32_e32 vcc_lo, v14, v14
	v_bfe_u32 v30, v15, 16, 1
	v_and_b32_e32 v13, 0xffff0000, v13
	v_and_b32_e32 v22, 0xffff0000, v22
	;; [unrolled: 1-line block ×3, first 2 shown]
	v_cndmask_b32_e32 v14, v26, v27, vcc_lo
	v_add3_u32 v26, v28, v23, 0x7fff
	v_mul_f32_e32 v27, v35, v29
	v_or_b32_e32 v28, 0x400000, v23
	v_cmp_u_f32_e32 vcc_lo, v23, v23
	v_add3_u32 v29, v30, v15, 0x7fff
	v_or_b32_e32 v30, 0x400000, v15
	v_bfe_u32 v31, v27, 16, 1
	v_and_b32_e32 v14, 0xffff0000, v14
	v_cndmask_b32_e32 v23, v26, v28, vcc_lo
	v_cmp_u_f32_e32 vcc_lo, v15, v15
	v_or_b32_e32 v28, 0x400000, v27
	v_add3_u32 v26, v31, v27, 0x7fff
	v_add_f32_e32 v13, v13, v22
	v_add_f32_e32 v14, v14, v25
	v_cndmask_b32_e32 v15, v29, v30, vcc_lo
	v_bfe_u32 v29, v16, 16, 1
	v_cmp_u_f32_e32 vcc_lo, v27, v27
	v_and_b32_e32 v22, 0xffff0000, v23
	v_add_f32_e32 v13, v14, v13
	v_and_b32_e32 v15, 0xffff0000, v15
	v_add3_u32 v27, v29, v16, 0x7fff
	v_cndmask_b32_e32 v26, v26, v28, vcc_lo
	v_or_b32_e32 v28, 0x400000, v16
	v_cmp_u_f32_e32 vcc_lo, v16, v16
	v_and_b32_e32 v14, 0xffff0000, v9
	v_add_f32_e32 v15, v15, v22
	v_lshlrev_b32_e32 v9, 16, v9
	v_and_b32_e32 v22, 0xffff0000, v26
	v_cndmask_b32_e32 v16, v27, v28, vcc_lo
	v_mul_f32_e32 v14, v0, v14
	v_add_f32_e32 v21, v24, v21
	v_mul_f32_e32 v23, v41, v9
	v_add_f32_e32 v9, v15, v13
	v_and_b32_e32 v16, 0xffff0000, v16
	v_bfe_u32 v15, v14, 16, 1
	v_add_f32_e32 v71, v71, v21
	v_and_b32_e32 v21, 0xffff0000, v10
	v_cmp_u_f32_e32 vcc_lo, v14, v14
	v_add_f32_e32 v13, v16, v22
	v_bfe_u32 v16, v23, 16, 1
	v_or_b32_e32 v22, 0x400000, v23
	v_mul_f32_e32 v21, v34, v21
	v_lshlrev_b32_e32 v10, 16, v10
	v_add_f32_e32 v9, v13, v9
	v_add3_u32 v13, v15, v14, 0x7fff
	v_or_b32_e32 v15, 0x400000, v14
	v_add3_u32 v16, v16, v23, 0x7fff
	v_bfe_u32 v14, v21, 16, 1
	v_mul_f32_e32 v10, v36, v10
	v_and_b32_e32 v24, 0xffff0000, v12
	v_cndmask_b32_e32 v13, v13, v15, vcc_lo
	v_cmp_u_f32_e32 vcc_lo, v23, v23
	v_add3_u32 v14, v14, v21, 0x7fff
	v_bfe_u32 v23, v10, 16, 1
	v_lshlrev_b32_e32 v12, 16, v12
	v_and_b32_e32 v13, 0xffff0000, v13
	v_cndmask_b32_e32 v15, v16, v22, vcc_lo
	v_and_b32_e32 v16, 0xffff0000, v11
	v_or_b32_e32 v22, 0x400000, v21
	v_lshlrev_b32_e32 v11, 16, v11
	v_cmp_u_f32_e32 vcc_lo, v21, v21
	v_add3_u32 v21, v23, v10, 0x7fff
	v_mul_f32_e32 v16, v33, v16
	v_mul_f32_e32 v12, v42, v12
	;; [unrolled: 1-line block ×3, first 2 shown]
	v_cndmask_b32_e32 v14, v14, v22, vcc_lo
	v_or_b32_e32 v22, 0x400000, v10
	v_bfe_u32 v23, v16, 16, 1
	v_cmp_u_f32_e32 vcc_lo, v10, v10
	v_bfe_u32 v25, v11, 16, 1
	v_and_b32_e32 v15, 0xffff0000, v15
	v_and_b32_e32 v14, 0xffff0000, v14
	v_add_f32_e32 v72, v72, v9
	v_cndmask_b32_e32 v10, v21, v22, vcc_lo
	v_add3_u32 v21, v23, v16, 0x7fff
	v_mul_f32_e32 v22, v35, v24
	v_or_b32_e32 v23, 0x400000, v16
	v_cmp_u_f32_e32 vcc_lo, v16, v16
	v_add3_u32 v24, v25, v11, 0x7fff
	v_or_b32_e32 v25, 0x400000, v11
	v_bfe_u32 v26, v22, 16, 1
	v_and_b32_e32 v10, 0xffff0000, v10
	v_cndmask_b32_e32 v16, v21, v23, vcc_lo
	v_cmp_u_f32_e32 vcc_lo, v11, v11
	v_or_b32_e32 v23, 0x400000, v22
	v_add3_u32 v21, v26, v22, 0x7fff
	v_add_f32_e32 v13, v15, v13
	v_add_f32_e32 v10, v10, v14
	v_cndmask_b32_e32 v11, v24, v25, vcc_lo
	v_bfe_u32 v24, v12, 16, 1
	v_cmp_u_f32_e32 vcc_lo, v22, v22
	v_and_b32_e32 v15, 0xffff0000, v5
	v_and_b32_e32 v14, 0xffff0000, v16
	;; [unrolled: 1-line block ×3, first 2 shown]
	v_add3_u32 v22, v24, v12, 0x7fff
	v_cndmask_b32_e32 v21, v21, v23, vcc_lo
	v_or_b32_e32 v23, 0x400000, v12
	v_cmp_u_f32_e32 vcc_lo, v12, v12
	v_lshlrev_b32_e32 v5, 16, v5
	v_add_f32_e32 v10, v10, v13
	v_mul_f32_e32 v13, v0, v15
	v_add_f32_e32 v11, v11, v14
	v_cndmask_b32_e32 v12, v22, v23, vcc_lo
	v_mul_f32_e32 v14, v41, v5
	v_and_b32_e32 v15, 0xffff0000, v21
	v_and_b32_e32 v16, 0xffff0000, v6
	v_bfe_u32 v21, v13, 16, 1
	v_and_b32_e32 v12, 0xffff0000, v12
	v_add_f32_e32 v5, v11, v10
	v_bfe_u32 v11, v14, 16, 1
	v_cmp_u_f32_e32 vcc_lo, v13, v13
	v_lshlrev_b32_e32 v6, 16, v6
	v_add_f32_e32 v10, v12, v15
	v_mul_f32_e32 v12, v34, v16
	v_add3_u32 v15, v21, v13, 0x7fff
	v_or_b32_e32 v16, 0x400000, v13
	v_add3_u32 v11, v11, v14, 0x7fff
	v_or_b32_e32 v21, 0x400000, v14
	v_bfe_u32 v22, v12, 16, 1
	v_mul_f32_e32 v6, v36, v6
	v_cndmask_b32_e32 v13, v15, v16, vcc_lo
	v_cmp_u_f32_e32 vcc_lo, v14, v14
	v_or_b32_e32 v15, 0x400000, v12
	v_add3_u32 v14, v22, v12, 0x7fff
	v_and_b32_e32 v16, 0xffff0000, v7
	v_lshlrev_b32_e32 v7, 16, v7
	v_cndmask_b32_e32 v11, v11, v21, vcc_lo
	v_cmp_u_f32_e32 vcc_lo, v12, v12
	v_bfe_u32 v21, v6, 16, 1
	v_and_b32_e32 v13, 0xffff0000, v13
	v_mul_f32_e32 v7, v43, v7
	v_and_b32_e32 v11, 0xffff0000, v11
	v_cndmask_b32_e32 v12, v14, v15, vcc_lo
	v_mul_f32_e32 v14, v33, v16
	v_add3_u32 v15, v21, v6, 0x7fff
	v_or_b32_e32 v16, 0x400000, v6
	v_and_b32_e32 v21, 0xffff0000, v8
	v_cmp_u_f32_e32 vcc_lo, v6, v6
	v_bfe_u32 v22, v14, 16, 1
	v_bfe_u32 v23, v7, 16, 1
	v_lshlrev_b32_e32 v8, 16, v8
	v_and_b32_e32 v12, 0xffff0000, v12
	v_cndmask_b32_e32 v6, v15, v16, vcc_lo
	v_mul_f32_e32 v15, v35, v21
	v_add3_u32 v16, v22, v14, 0x7fff
	v_or_b32_e32 v21, 0x400000, v14
	v_cmp_u_f32_e32 vcc_lo, v14, v14
	v_add3_u32 v22, v23, v7, 0x7fff
	v_or_b32_e32 v23, 0x400000, v7
	v_bfe_u32 v24, v15, 16, 1
	v_and_b32_e32 v6, 0xffff0000, v6
	v_cndmask_b32_e32 v14, v16, v21, vcc_lo
	v_cmp_u_f32_e32 vcc_lo, v7, v7
	v_or_b32_e32 v21, 0x400000, v15
	v_add3_u32 v16, v24, v15, 0x7fff
	v_mul_f32_e32 v8, v42, v8
	v_add_f32_e32 v11, v11, v13
	v_cndmask_b32_e32 v7, v22, v23, vcc_lo
	v_cmp_u_f32_e32 vcc_lo, v15, v15
	v_add_f32_e32 v6, v6, v12
	v_and_b32_e32 v12, 0xffff0000, v1
	v_and_b32_e32 v13, 0xffff0000, v14
	;; [unrolled: 1-line block ×3, first 2 shown]
	v_cndmask_b32_e32 v15, v16, v21, vcc_lo
	v_bfe_u32 v16, v8, 16, 1
	v_add_f32_e32 v6, v6, v11
	v_mul_f32_e32 v11, v0, v12
	v_add_f32_e32 v7, v7, v13
	v_lshlrev_b32_e32 v1, 16, v1
	v_add3_u32 v14, v16, v8, 0x7fff
	v_or_b32_e32 v16, 0x400000, v8
	v_cmp_u_f32_e32 vcc_lo, v8, v8
	v_bfe_u32 v12, v11, 16, 1
	v_add_f32_e32 v6, v7, v6
	v_and_b32_e32 v7, 0xffff0000, v2
	v_mul_f32_e32 v1, v41, v1
	v_cndmask_b32_e32 v8, v14, v16, vcc_lo
	v_add3_u32 v12, v12, v11, 0x7fff
	v_or_b32_e32 v13, 0x400000, v11
	v_mul_f32_e32 v7, v34, v7
	v_and_b32_e32 v14, 0xffff0000, v15
	v_bfe_u32 v15, v1, 16, 1
	v_cmp_u_f32_e32 vcc_lo, v11, v11
	v_lshlrev_b32_e32 v2, 16, v2
	v_or_b32_e32 v16, 0x400000, v1
	v_or_b32_e32 v21, 0x400000, v7
	v_and_b32_e32 v8, 0xffff0000, v8
	v_cndmask_b32_e32 v11, v12, v13, vcc_lo
	v_bfe_u32 v12, v7, 16, 1
	v_add3_u32 v13, v15, v1, 0x7fff
	v_and_b32_e32 v15, 0xffff0000, v3
	v_mul_f32_e32 v2, v36, v2
	v_cmp_u_f32_e32 vcc_lo, v1, v1
	v_add3_u32 v12, v12, v7, 0x7fff
	v_lshlrev_b32_e32 v3, 16, v3
	v_mul_f32_e32 v15, v33, v15
	v_and_b32_e32 v11, 0xffff0000, v11
	v_cndmask_b32_e32 v1, v13, v16, vcc_lo
	v_bfe_u32 v13, v2, 16, 1
	v_cmp_u_f32_e32 vcc_lo, v7, v7
	v_and_b32_e32 v16, 0xffff0000, v4
	v_mul_f32_e32 v3, v43, v3
	v_or_b32_e32 v22, 0x400000, v15
	v_add3_u32 v13, v13, v2, 0x7fff
	v_cndmask_b32_e32 v7, v12, v21, vcc_lo
	v_bfe_u32 v12, v15, 16, 1
	v_or_b32_e32 v21, 0x400000, v2
	v_cmp_u_f32_e32 vcc_lo, v2, v2
	v_mul_f32_e32 v16, v35, v16
	v_lshlrev_b32_e32 v4, 16, v4
	v_add3_u32 v12, v12, v15, 0x7fff
	v_and_b32_e32 v1, 0xffff0000, v1
	v_cndmask_b32_e32 v2, v13, v21, vcc_lo
	v_bfe_u32 v13, v3, 16, 1
	v_cmp_u_f32_e32 vcc_lo, v15, v15
	v_bfe_u32 v21, v16, 16, 1
	v_or_b32_e32 v15, 0x400000, v3
	v_mul_f32_e32 v4, v42, v4
	v_add3_u32 v13, v13, v3, 0x7fff
	v_cndmask_b32_e32 v12, v12, v22, vcc_lo
	v_cmp_u_f32_e32 vcc_lo, v3, v3
	v_add3_u32 v21, v21, v16, 0x7fff
	v_or_b32_e32 v22, 0x400000, v16
	v_and_b32_e32 v2, 0xffff0000, v2
	v_and_b32_e32 v7, 0xffff0000, v7
	v_cndmask_b32_e32 v3, v13, v15, vcc_lo
	v_cmp_u_f32_e32 vcc_lo, v16, v16
	v_bfe_u32 v15, v4, 16, 1
	v_add_f32_e32 v1, v1, v11
	v_add_f32_e32 v2, v2, v7
	v_and_b32_e32 v3, 0xffff0000, v3
	v_cndmask_b32_e32 v13, v21, v22, vcc_lo
	s_waitcnt vmcnt(0)
	v_lshlrev_b32_e32 v21, 16, v17
	v_and_b32_e32 v7, 0xffff0000, v12
	v_and_b32_e32 v12, 0xffff0000, v17
	v_add3_u32 v15, v15, v4, 0x7fff
	v_or_b32_e32 v16, 0x400000, v4
	v_mul_f32_e32 v11, v41, v21
	v_cmp_u_f32_e32 vcc_lo, v4, v4
	v_add_f32_e32 v1, v2, v1
	v_add_f32_e32 v3, v3, v7
	v_mul_f32_e32 v0, v0, v12
	v_bfe_u32 v2, v11, 16, 1
	v_lshlrev_b32_e32 v7, 16, v18
	v_cndmask_b32_e32 v4, v15, v16, vcc_lo
	v_or_b32_e32 v12, 0x400000, v11
	v_bfe_u32 v15, v0, 16, 1
	v_add3_u32 v2, v2, v11, 0x7fff
	v_mul_f32_e32 v7, v36, v7
	v_and_b32_e32 v16, 0xffff0000, v18
	v_cmp_u_f32_e32 vcc_lo, v11, v11
	v_add3_u32 v11, v15, v0, 0x7fff
	v_lshlrev_b32_e32 v17, 16, v19
	v_bfe_u32 v15, v7, 16, 1
	v_mul_f32_e32 v16, v34, v16
	v_cndmask_b32_e32 v2, v2, v12, vcc_lo
	v_or_b32_e32 v12, 0x400000, v0
	v_cmp_u_f32_e32 vcc_lo, v0, v0
	v_mul_f32_e32 v17, v43, v17
	v_and_b32_e32 v18, 0xffff0000, v19
	v_lshlrev_b32_e32 v19, 16, v20
	v_and_b32_e32 v20, 0xffff0000, v20
	v_cndmask_b32_e32 v0, v11, v12, vcc_lo
	v_add3_u32 v11, v15, v7, 0x7fff
	v_or_b32_e32 v12, 0x400000, v7
	v_bfe_u32 v15, v16, 16, 1
	v_cmp_u_f32_e32 vcc_lo, v7, v7
	v_mul_f32_e32 v18, v33, v18
	v_and_b32_e32 v0, 0xffff0000, v0
	v_and_b32_e32 v2, 0xffff0000, v2
	;; [unrolled: 1-line block ×3, first 2 shown]
	v_cndmask_b32_e32 v7, v11, v12, vcc_lo
	v_add3_u32 v11, v15, v16, 0x7fff
	v_or_b32_e32 v12, 0x400000, v16
	v_bfe_u32 v15, v17, 16, 1
	v_cmp_u_f32_e32 vcc_lo, v16, v16
	v_mul_f32_e32 v16, v42, v19
	v_mul_f32_e32 v19, v35, v20
	v_or_b32_e32 v20, 0x400000, v17
	v_add3_u32 v15, v15, v17, 0x7fff
	v_cndmask_b32_e32 v11, v11, v12, vcc_lo
	v_bfe_u32 v12, v18, 16, 1
	v_cmp_u_f32_e32 vcc_lo, v17, v17
	v_or_b32_e32 v21, 0x400000, v18
	v_bfe_u32 v23, v19, 16, 1
	v_bfe_u32 v22, v16, 16, 1
	v_add3_u32 v12, v12, v18, 0x7fff
	v_cndmask_b32_e32 v15, v15, v20, vcc_lo
	v_cmp_u_f32_e32 vcc_lo, v18, v18
	v_add3_u32 v18, v23, v19, 0x7fff
	v_or_b32_e32 v20, 0x400000, v19
	v_add3_u32 v17, v22, v16, 0x7fff
	v_and_b32_e32 v11, 0xffff0000, v11
	v_cndmask_b32_e32 v12, v12, v21, vcc_lo
	v_cmp_u_f32_e32 vcc_lo, v19, v19
	v_and_b32_e32 v7, 0xffff0000, v7
	v_or_b32_e32 v21, 0x400000, v16
	v_add_f32_e32 v0, v2, v0
	v_and_b32_e32 v13, 0xffff0000, v13
	v_cndmask_b32_e32 v18, v18, v20, vcc_lo
	v_cmp_u_f32_e32 vcc_lo, v16, v16
	v_add_f32_e32 v2, v7, v11
	v_and_b32_e32 v7, 0xffff0000, v12
	v_and_b32_e32 v11, 0xffff0000, v15
	v_add_f32_e32 v8, v8, v14
	v_cndmask_b32_e32 v12, v17, v21, vcc_lo
	v_add_f32_e32 v0, v2, v0
	v_add_f32_e32 v1, v3, v1
	;; [unrolled: 1-line block ×3, first 2 shown]
	v_and_b32_e32 v7, 0xffff0000, v18
	v_and_b32_e32 v11, 0xffff0000, v12
	v_add_f32_e32 v3, v4, v13
	v_add_f32_e32 v4, v10, v5
	;; [unrolled: 1-line block ×6, first 2 shown]
	v_cmp_le_i32_e32 vcc_lo, s12, v81
	v_add_f32_e32 v74, v74, v4
	v_add_f32_e32 v75, v75, v5
	;; [unrolled: 1-line block ×4, first 2 shown]
	s_or_b32 s13, vcc_lo, s13
	v_add_f32_e32 v64, v64, v0
	s_andn2_b32 exec_lo, exec_lo, s13
	s_cbranch_execz .LBB156_50
.LBB156_26:                             ; =>This Inner Loop Header: Depth=1
	global_load_dword v0, v[57:58], off
	v_cmp_eq_u32_e64 s0, s4, v81
	v_add_nc_u32_e32 v85, 1, v79
	v_or_b32_e32 v83, 3, v79
	v_or_b32_e32 v84, 2, v79
	;; [unrolled: 1-line block ×5, first 2 shown]
	s_waitcnt vmcnt(0)
	v_mad_i64_i32 v[0:1], null, v0, s5, 0
	v_lshlrev_b64 v[0:1], 1, v[0:1]
	v_add_co_u32 v17, vcc_lo, v77, v0
	v_add_co_ci_u32_e64 v18, null, v78, v1, vcc_lo
	v_or_b32_e32 v0, 6, v79
	global_load_dwordx4 v[1:4], v[17:18], off
	ds_read2_b64 v[41:44], v80 offset1:1
	ds_read2_b64 v[33:36], v80 offset0:2 offset1:3
	s_and_saveexec_b32 s15, s0
	s_cbranch_execnz .LBB156_40
; %bb.27:                               ;   in Loop: Header=BB156_26 Depth=1
	s_or_b32 exec_lo, exec_lo, s15
	global_load_dwordx4 v[5:8], v[17:18], off offset:512
	s_and_saveexec_b32 s15, s0
	s_cbranch_execnz .LBB156_41
.LBB156_28:                             ;   in Loop: Header=BB156_26 Depth=1
	s_or_b32 exec_lo, exec_lo, s15
	global_load_dwordx4 v[9:12], v[17:18], off offset:1024
	s_and_saveexec_b32 s15, s0
	s_cbranch_execnz .LBB156_42
.LBB156_29:                             ;   in Loop: Header=BB156_26 Depth=1
	s_or_b32 exec_lo, exec_lo, s15
	global_load_dwordx4 v[13:16], v[17:18], off offset:1536
	s_and_saveexec_b32 s15, s0
	s_cbranch_execz .LBB156_31
.LBB156_30:                             ;   in Loop: Header=BB156_26 Depth=1
	v_cmp_gt_i32_e64 s1, s11, v79
	v_cmp_gt_i32_e32 vcc_lo, s14, v85
	v_cmp_gt_i32_e64 s2, s11, v84
	s_waitcnt vmcnt(0)
	v_cndmask_b32_e64 v19, 0, v13, s1
	v_cmp_gt_i32_e64 s1, s14, v83
	v_cndmask_b32_sdwa v13, v76, v13, vcc_lo dst_sel:DWORD dst_unused:UNUSED_PAD src0_sel:DWORD src1_sel:WORD_1
	v_cndmask_b32_e64 v20, 0, v14, s2
	v_cmp_gt_i32_e64 s2, s14, v82
	s_mov_b32 vcc_lo, s1
	v_cmp_gt_i32_e64 s1, s14, v59
	v_cndmask_b32_sdwa v14, v76, v14, vcc_lo dst_sel:DWORD dst_unused:UNUSED_PAD src0_sel:DWORD src1_sel:WORD_1
	v_cmp_gt_i32_e32 vcc_lo, s11, v60
	v_perm_b32 v13, v13, v19, 0x5040100
	v_perm_b32 v14, v14, v20, 0x5040100
	v_cndmask_b32_e32 v21, 0, v15, vcc_lo
	s_mov_b32 vcc_lo, s2
	v_cndmask_b32_sdwa v15, v76, v15, vcc_lo dst_sel:DWORD dst_unused:UNUSED_PAD src0_sel:DWORD src1_sel:WORD_1
	v_cmp_gt_i32_e32 vcc_lo, s11, v0
	v_perm_b32 v15, v15, v21, 0x5040100
	v_cndmask_b32_e32 v22, 0, v16, vcc_lo
	s_mov_b32 vcc_lo, s1
	v_cndmask_b32_sdwa v16, v76, v16, vcc_lo dst_sel:DWORD dst_unused:UNUSED_PAD src0_sel:DWORD src1_sel:WORD_1
	v_perm_b32 v16, v16, v22, 0x5040100
.LBB156_31:                             ;   in Loop: Header=BB156_26 Depth=1
	s_or_b32 exec_lo, exec_lo, s15
	v_add_co_u32 v19, vcc_lo, 0x800, v17
	v_add_co_ci_u32_e64 v20, null, 0, v18, vcc_lo
	global_load_dwordx4 v[21:24], v[19:20], off
	s_and_saveexec_b32 s15, s0
	s_cbranch_execnz .LBB156_43
; %bb.32:                               ;   in Loop: Header=BB156_26 Depth=1
	s_or_b32 exec_lo, exec_lo, s15
	global_load_dwordx4 v[25:28], v[19:20], off offset:512
	s_and_saveexec_b32 s15, s0
	s_cbranch_execnz .LBB156_44
.LBB156_33:                             ;   in Loop: Header=BB156_26 Depth=1
	s_or_b32 exec_lo, exec_lo, s15
	global_load_dwordx4 v[29:32], v[19:20], off offset:1024
	s_and_saveexec_b32 s15, s0
	s_cbranch_execnz .LBB156_45
.LBB156_34:                             ;   in Loop: Header=BB156_26 Depth=1
	s_or_b32 exec_lo, exec_lo, s15
	global_load_dwordx4 v[37:40], v[19:20], off offset:1536
	s_and_saveexec_b32 s15, s0
	s_cbranch_execz .LBB156_36
.LBB156_35:                             ;   in Loop: Header=BB156_26 Depth=1
	v_cmp_gt_i32_e64 s1, s11, v79
	v_cmp_gt_i32_e32 vcc_lo, s14, v85
	v_cmp_gt_i32_e64 s2, s11, v84
	s_waitcnt vmcnt(0)
	v_cndmask_b32_e64 v19, 0, v37, s1
	v_cmp_gt_i32_e64 s1, s14, v83
	v_cndmask_b32_sdwa v37, v76, v37, vcc_lo dst_sel:DWORD dst_unused:UNUSED_PAD src0_sel:DWORD src1_sel:WORD_1
	v_cndmask_b32_e64 v20, 0, v38, s2
	v_cmp_gt_i32_e64 s2, s14, v82
	s_mov_b32 vcc_lo, s1
	v_cmp_gt_i32_e64 s1, s14, v59
	v_cndmask_b32_sdwa v38, v76, v38, vcc_lo dst_sel:DWORD dst_unused:UNUSED_PAD src0_sel:DWORD src1_sel:WORD_1
	v_cmp_gt_i32_e32 vcc_lo, s11, v60
	v_perm_b32 v37, v37, v19, 0x5040100
	v_perm_b32 v38, v38, v20, 0x5040100
	v_cndmask_b32_e32 v45, 0, v39, vcc_lo
	s_mov_b32 vcc_lo, s2
	v_cndmask_b32_sdwa v39, v76, v39, vcc_lo dst_sel:DWORD dst_unused:UNUSED_PAD src0_sel:DWORD src1_sel:WORD_1
	v_cmp_gt_i32_e32 vcc_lo, s11, v0
	v_perm_b32 v39, v39, v45, 0x5040100
	v_cndmask_b32_e32 v46, 0, v40, vcc_lo
	s_mov_b32 vcc_lo, s1
	v_cndmask_b32_sdwa v40, v76, v40, vcc_lo dst_sel:DWORD dst_unused:UNUSED_PAD src0_sel:DWORD src1_sel:WORD_1
	v_perm_b32 v40, v40, v46, 0x5040100
.LBB156_36:                             ;   in Loop: Header=BB156_26 Depth=1
	s_or_b32 exec_lo, exec_lo, s15
	v_add_co_u32 v17, vcc_lo, 0x1000, v17
	v_add_co_ci_u32_e64 v18, null, 0, v18, vcc_lo
	global_load_dwordx4 v[45:48], v[17:18], off
	s_and_saveexec_b32 s15, s0
	s_cbranch_execnz .LBB156_46
; %bb.37:                               ;   in Loop: Header=BB156_26 Depth=1
	s_or_b32 exec_lo, exec_lo, s15
	global_load_dwordx4 v[49:52], v[17:18], off offset:512
	s_and_saveexec_b32 s15, s0
	s_cbranch_execnz .LBB156_47
.LBB156_38:                             ;   in Loop: Header=BB156_26 Depth=1
	s_or_b32 exec_lo, exec_lo, s15
	global_load_dwordx4 v[53:56], v[17:18], off offset:1024
	s_and_saveexec_b32 s15, s0
	s_cbranch_execnz .LBB156_48
.LBB156_39:                             ;   in Loop: Header=BB156_26 Depth=1
	s_or_b32 exec_lo, exec_lo, s15
	global_load_dwordx4 v[17:20], v[17:18], off offset:1536
	s_and_saveexec_b32 s2, s0
	s_cbranch_execz .LBB156_25
	s_branch .LBB156_49
.LBB156_40:                             ;   in Loop: Header=BB156_26 Depth=1
	v_cmp_gt_i32_e64 s1, s11, v79
	v_cmp_gt_i32_e32 vcc_lo, s14, v85
	v_cmp_gt_i32_e64 s2, s11, v84
	s_waitcnt vmcnt(0)
	v_cndmask_b32_e64 v5, 0, v1, s1
	v_cmp_gt_i32_e64 s1, s14, v83
	v_cndmask_b32_sdwa v1, v76, v1, vcc_lo dst_sel:DWORD dst_unused:UNUSED_PAD src0_sel:DWORD src1_sel:WORD_1
	v_cndmask_b32_e64 v6, 0, v2, s2
	v_cmp_gt_i32_e64 s2, s14, v82
	s_mov_b32 vcc_lo, s1
	v_cmp_gt_i32_e64 s1, s14, v59
	v_cndmask_b32_sdwa v2, v76, v2, vcc_lo dst_sel:DWORD dst_unused:UNUSED_PAD src0_sel:DWORD src1_sel:WORD_1
	v_cmp_gt_i32_e32 vcc_lo, s11, v60
	v_perm_b32 v1, v1, v5, 0x5040100
	v_perm_b32 v2, v2, v6, 0x5040100
	v_cndmask_b32_e32 v7, 0, v3, vcc_lo
	s_mov_b32 vcc_lo, s2
	v_cndmask_b32_sdwa v3, v76, v3, vcc_lo dst_sel:DWORD dst_unused:UNUSED_PAD src0_sel:DWORD src1_sel:WORD_1
	v_cmp_gt_i32_e32 vcc_lo, s11, v0
	v_perm_b32 v3, v3, v7, 0x5040100
	v_cndmask_b32_e32 v8, 0, v4, vcc_lo
	s_mov_b32 vcc_lo, s1
	v_cndmask_b32_sdwa v4, v76, v4, vcc_lo dst_sel:DWORD dst_unused:UNUSED_PAD src0_sel:DWORD src1_sel:WORD_1
	v_perm_b32 v4, v4, v8, 0x5040100
	s_or_b32 exec_lo, exec_lo, s15
	global_load_dwordx4 v[5:8], v[17:18], off offset:512
	s_and_saveexec_b32 s15, s0
	s_cbranch_execz .LBB156_28
.LBB156_41:                             ;   in Loop: Header=BB156_26 Depth=1
	v_cmp_gt_i32_e64 s1, s11, v79
	v_cmp_gt_i32_e32 vcc_lo, s14, v85
	v_cmp_gt_i32_e64 s2, s11, v84
	s_waitcnt vmcnt(0)
	v_cndmask_b32_e64 v9, 0, v5, s1
	v_cmp_gt_i32_e64 s1, s14, v83
	v_cndmask_b32_sdwa v5, v76, v5, vcc_lo dst_sel:DWORD dst_unused:UNUSED_PAD src0_sel:DWORD src1_sel:WORD_1
	v_cndmask_b32_e64 v10, 0, v6, s2
	v_cmp_gt_i32_e64 s2, s14, v82
	s_mov_b32 vcc_lo, s1
	v_cmp_gt_i32_e64 s1, s14, v59
	v_cndmask_b32_sdwa v6, v76, v6, vcc_lo dst_sel:DWORD dst_unused:UNUSED_PAD src0_sel:DWORD src1_sel:WORD_1
	v_cmp_gt_i32_e32 vcc_lo, s11, v60
	v_perm_b32 v5, v5, v9, 0x5040100
	v_perm_b32 v6, v6, v10, 0x5040100
	v_cndmask_b32_e32 v11, 0, v7, vcc_lo
	s_mov_b32 vcc_lo, s2
	v_cndmask_b32_sdwa v7, v76, v7, vcc_lo dst_sel:DWORD dst_unused:UNUSED_PAD src0_sel:DWORD src1_sel:WORD_1
	v_cmp_gt_i32_e32 vcc_lo, s11, v0
	v_perm_b32 v7, v7, v11, 0x5040100
	v_cndmask_b32_e32 v12, 0, v8, vcc_lo
	s_mov_b32 vcc_lo, s1
	v_cndmask_b32_sdwa v8, v76, v8, vcc_lo dst_sel:DWORD dst_unused:UNUSED_PAD src0_sel:DWORD src1_sel:WORD_1
	v_perm_b32 v8, v8, v12, 0x5040100
	s_or_b32 exec_lo, exec_lo, s15
	global_load_dwordx4 v[9:12], v[17:18], off offset:1024
	s_and_saveexec_b32 s15, s0
	s_cbranch_execz .LBB156_29
.LBB156_42:                             ;   in Loop: Header=BB156_26 Depth=1
	v_cmp_gt_i32_e64 s1, s11, v79
	v_cmp_gt_i32_e32 vcc_lo, s14, v85
	v_cmp_gt_i32_e64 s2, s11, v84
	s_waitcnt vmcnt(0)
	v_cndmask_b32_e64 v13, 0, v9, s1
	v_cmp_gt_i32_e64 s1, s14, v83
	v_cndmask_b32_sdwa v9, v76, v9, vcc_lo dst_sel:DWORD dst_unused:UNUSED_PAD src0_sel:DWORD src1_sel:WORD_1
	v_cndmask_b32_e64 v14, 0, v10, s2
	v_cmp_gt_i32_e64 s2, s14, v82
	s_mov_b32 vcc_lo, s1
	v_cmp_gt_i32_e64 s1, s14, v59
	v_cndmask_b32_sdwa v10, v76, v10, vcc_lo dst_sel:DWORD dst_unused:UNUSED_PAD src0_sel:DWORD src1_sel:WORD_1
	v_cmp_gt_i32_e32 vcc_lo, s11, v60
	v_perm_b32 v9, v9, v13, 0x5040100
	v_perm_b32 v10, v10, v14, 0x5040100
	v_cndmask_b32_e32 v15, 0, v11, vcc_lo
	s_mov_b32 vcc_lo, s2
	v_cndmask_b32_sdwa v11, v76, v11, vcc_lo dst_sel:DWORD dst_unused:UNUSED_PAD src0_sel:DWORD src1_sel:WORD_1
	v_cmp_gt_i32_e32 vcc_lo, s11, v0
	v_perm_b32 v11, v11, v15, 0x5040100
	v_cndmask_b32_e32 v16, 0, v12, vcc_lo
	s_mov_b32 vcc_lo, s1
	v_cndmask_b32_sdwa v12, v76, v12, vcc_lo dst_sel:DWORD dst_unused:UNUSED_PAD src0_sel:DWORD src1_sel:WORD_1
	v_perm_b32 v12, v12, v16, 0x5040100
	s_or_b32 exec_lo, exec_lo, s15
	global_load_dwordx4 v[13:16], v[17:18], off offset:1536
	s_and_saveexec_b32 s15, s0
	s_cbranch_execnz .LBB156_30
	s_branch .LBB156_31
.LBB156_43:                             ;   in Loop: Header=BB156_26 Depth=1
	v_cmp_gt_i32_e64 s1, s11, v79
	v_cmp_gt_i32_e32 vcc_lo, s14, v85
	v_cmp_gt_i32_e64 s2, s11, v84
	s_waitcnt vmcnt(0)
	v_cndmask_b32_e64 v25, 0, v21, s1
	v_cmp_gt_i32_e64 s1, s14, v83
	v_cndmask_b32_sdwa v21, v76, v21, vcc_lo dst_sel:DWORD dst_unused:UNUSED_PAD src0_sel:DWORD src1_sel:WORD_1
	v_cndmask_b32_e64 v26, 0, v22, s2
	v_cmp_gt_i32_e64 s2, s14, v82
	s_mov_b32 vcc_lo, s1
	v_cmp_gt_i32_e64 s1, s14, v59
	v_cndmask_b32_sdwa v22, v76, v22, vcc_lo dst_sel:DWORD dst_unused:UNUSED_PAD src0_sel:DWORD src1_sel:WORD_1
	v_cmp_gt_i32_e32 vcc_lo, s11, v60
	v_perm_b32 v21, v21, v25, 0x5040100
	v_perm_b32 v22, v22, v26, 0x5040100
	v_cndmask_b32_e32 v27, 0, v23, vcc_lo
	s_mov_b32 vcc_lo, s2
	v_cndmask_b32_sdwa v23, v76, v23, vcc_lo dst_sel:DWORD dst_unused:UNUSED_PAD src0_sel:DWORD src1_sel:WORD_1
	v_cmp_gt_i32_e32 vcc_lo, s11, v0
	v_perm_b32 v23, v23, v27, 0x5040100
	v_cndmask_b32_e32 v28, 0, v24, vcc_lo
	s_mov_b32 vcc_lo, s1
	v_cndmask_b32_sdwa v24, v76, v24, vcc_lo dst_sel:DWORD dst_unused:UNUSED_PAD src0_sel:DWORD src1_sel:WORD_1
	v_perm_b32 v24, v24, v28, 0x5040100
	s_or_b32 exec_lo, exec_lo, s15
	global_load_dwordx4 v[25:28], v[19:20], off offset:512
	s_and_saveexec_b32 s15, s0
	s_cbranch_execz .LBB156_33
.LBB156_44:                             ;   in Loop: Header=BB156_26 Depth=1
	v_cmp_gt_i32_e64 s1, s11, v79
	v_cmp_gt_i32_e32 vcc_lo, s14, v85
	v_cmp_gt_i32_e64 s2, s11, v84
	s_waitcnt vmcnt(0)
	v_cndmask_b32_e64 v29, 0, v25, s1
	v_cmp_gt_i32_e64 s1, s14, v83
	v_cndmask_b32_sdwa v25, v76, v25, vcc_lo dst_sel:DWORD dst_unused:UNUSED_PAD src0_sel:DWORD src1_sel:WORD_1
	v_cndmask_b32_e64 v30, 0, v26, s2
	v_cmp_gt_i32_e64 s2, s14, v82
	s_mov_b32 vcc_lo, s1
	v_cmp_gt_i32_e64 s1, s14, v59
	v_cndmask_b32_sdwa v26, v76, v26, vcc_lo dst_sel:DWORD dst_unused:UNUSED_PAD src0_sel:DWORD src1_sel:WORD_1
	v_cmp_gt_i32_e32 vcc_lo, s11, v60
	v_perm_b32 v25, v25, v29, 0x5040100
	v_perm_b32 v26, v26, v30, 0x5040100
	v_cndmask_b32_e32 v31, 0, v27, vcc_lo
	s_mov_b32 vcc_lo, s2
	v_cndmask_b32_sdwa v27, v76, v27, vcc_lo dst_sel:DWORD dst_unused:UNUSED_PAD src0_sel:DWORD src1_sel:WORD_1
	v_cmp_gt_i32_e32 vcc_lo, s11, v0
	v_perm_b32 v27, v27, v31, 0x5040100
	v_cndmask_b32_e32 v32, 0, v28, vcc_lo
	s_mov_b32 vcc_lo, s1
	v_cndmask_b32_sdwa v28, v76, v28, vcc_lo dst_sel:DWORD dst_unused:UNUSED_PAD src0_sel:DWORD src1_sel:WORD_1
	v_perm_b32 v28, v28, v32, 0x5040100
	s_or_b32 exec_lo, exec_lo, s15
	global_load_dwordx4 v[29:32], v[19:20], off offset:1024
	s_and_saveexec_b32 s15, s0
	s_cbranch_execz .LBB156_34
.LBB156_45:                             ;   in Loop: Header=BB156_26 Depth=1
	v_cmp_gt_i32_e64 s1, s11, v79
	v_cmp_gt_i32_e32 vcc_lo, s14, v85
	v_cmp_gt_i32_e64 s2, s11, v84
	s_waitcnt vmcnt(0)
	v_cndmask_b32_e64 v37, 0, v29, s1
	v_cmp_gt_i32_e64 s1, s14, v83
	v_cndmask_b32_sdwa v29, v76, v29, vcc_lo dst_sel:DWORD dst_unused:UNUSED_PAD src0_sel:DWORD src1_sel:WORD_1
	v_cndmask_b32_e64 v38, 0, v30, s2
	v_cmp_gt_i32_e64 s2, s14, v82
	s_mov_b32 vcc_lo, s1
	v_cmp_gt_i32_e64 s1, s14, v59
	v_cndmask_b32_sdwa v30, v76, v30, vcc_lo dst_sel:DWORD dst_unused:UNUSED_PAD src0_sel:DWORD src1_sel:WORD_1
	v_cmp_gt_i32_e32 vcc_lo, s11, v60
	v_perm_b32 v29, v29, v37, 0x5040100
	v_perm_b32 v30, v30, v38, 0x5040100
	v_cndmask_b32_e32 v39, 0, v31, vcc_lo
	s_mov_b32 vcc_lo, s2
	v_cndmask_b32_sdwa v31, v76, v31, vcc_lo dst_sel:DWORD dst_unused:UNUSED_PAD src0_sel:DWORD src1_sel:WORD_1
	v_cmp_gt_i32_e32 vcc_lo, s11, v0
	v_perm_b32 v31, v31, v39, 0x5040100
	v_cndmask_b32_e32 v40, 0, v32, vcc_lo
	s_mov_b32 vcc_lo, s1
	v_cndmask_b32_sdwa v32, v76, v32, vcc_lo dst_sel:DWORD dst_unused:UNUSED_PAD src0_sel:DWORD src1_sel:WORD_1
	v_perm_b32 v32, v32, v40, 0x5040100
	s_or_b32 exec_lo, exec_lo, s15
	global_load_dwordx4 v[37:40], v[19:20], off offset:1536
	s_and_saveexec_b32 s15, s0
	s_cbranch_execnz .LBB156_35
	s_branch .LBB156_36
.LBB156_46:                             ;   in Loop: Header=BB156_26 Depth=1
	v_cmp_gt_i32_e64 s1, s11, v79
	v_cmp_gt_i32_e32 vcc_lo, s14, v85
	v_cmp_gt_i32_e64 s2, s11, v84
	s_waitcnt vmcnt(0)
	v_cndmask_b32_e64 v19, 0, v45, s1
	v_cmp_gt_i32_e64 s1, s14, v83
	v_cndmask_b32_sdwa v45, v76, v45, vcc_lo dst_sel:DWORD dst_unused:UNUSED_PAD src0_sel:DWORD src1_sel:WORD_1
	v_cndmask_b32_e64 v20, 0, v46, s2
	v_cmp_gt_i32_e64 s2, s14, v82
	s_mov_b32 vcc_lo, s1
	v_cmp_gt_i32_e64 s1, s14, v59
	v_cndmask_b32_sdwa v46, v76, v46, vcc_lo dst_sel:DWORD dst_unused:UNUSED_PAD src0_sel:DWORD src1_sel:WORD_1
	v_cmp_gt_i32_e32 vcc_lo, s11, v60
	v_perm_b32 v45, v45, v19, 0x5040100
	v_perm_b32 v46, v46, v20, 0x5040100
	v_cndmask_b32_e32 v49, 0, v47, vcc_lo
	s_mov_b32 vcc_lo, s2
	v_cndmask_b32_sdwa v47, v76, v47, vcc_lo dst_sel:DWORD dst_unused:UNUSED_PAD src0_sel:DWORD src1_sel:WORD_1
	v_cmp_gt_i32_e32 vcc_lo, s11, v0
	v_perm_b32 v47, v47, v49, 0x5040100
	v_cndmask_b32_e32 v50, 0, v48, vcc_lo
	s_mov_b32 vcc_lo, s1
	v_cndmask_b32_sdwa v48, v76, v48, vcc_lo dst_sel:DWORD dst_unused:UNUSED_PAD src0_sel:DWORD src1_sel:WORD_1
	v_perm_b32 v48, v48, v50, 0x5040100
	s_or_b32 exec_lo, exec_lo, s15
	global_load_dwordx4 v[49:52], v[17:18], off offset:512
	s_and_saveexec_b32 s15, s0
	s_cbranch_execz .LBB156_38
.LBB156_47:                             ;   in Loop: Header=BB156_26 Depth=1
	v_cmp_gt_i32_e64 s1, s11, v79
	v_cmp_gt_i32_e32 vcc_lo, s14, v85
	v_cmp_gt_i32_e64 s2, s11, v84
	s_waitcnt vmcnt(0)
	v_cndmask_b32_e64 v19, 0, v49, s1
	v_cmp_gt_i32_e64 s1, s14, v83
	v_cndmask_b32_sdwa v49, v76, v49, vcc_lo dst_sel:DWORD dst_unused:UNUSED_PAD src0_sel:DWORD src1_sel:WORD_1
	v_cndmask_b32_e64 v20, 0, v50, s2
	v_cmp_gt_i32_e64 s2, s14, v82
	s_mov_b32 vcc_lo, s1
	v_cmp_gt_i32_e64 s1, s14, v59
	v_cndmask_b32_sdwa v50, v76, v50, vcc_lo dst_sel:DWORD dst_unused:UNUSED_PAD src0_sel:DWORD src1_sel:WORD_1
	v_cmp_gt_i32_e32 vcc_lo, s11, v60
	v_perm_b32 v49, v49, v19, 0x5040100
	v_perm_b32 v50, v50, v20, 0x5040100
	v_cndmask_b32_e32 v53, 0, v51, vcc_lo
	s_mov_b32 vcc_lo, s2
	v_cndmask_b32_sdwa v51, v76, v51, vcc_lo dst_sel:DWORD dst_unused:UNUSED_PAD src0_sel:DWORD src1_sel:WORD_1
	v_cmp_gt_i32_e32 vcc_lo, s11, v0
	v_perm_b32 v51, v51, v53, 0x5040100
	v_cndmask_b32_e32 v54, 0, v52, vcc_lo
	s_mov_b32 vcc_lo, s1
	v_cndmask_b32_sdwa v52, v76, v52, vcc_lo dst_sel:DWORD dst_unused:UNUSED_PAD src0_sel:DWORD src1_sel:WORD_1
	v_perm_b32 v52, v52, v54, 0x5040100
	s_or_b32 exec_lo, exec_lo, s15
	global_load_dwordx4 v[53:56], v[17:18], off offset:1024
	s_and_saveexec_b32 s15, s0
	s_cbranch_execz .LBB156_39
.LBB156_48:                             ;   in Loop: Header=BB156_26 Depth=1
	v_cmp_gt_i32_e64 s1, s11, v79
	v_cmp_gt_i32_e32 vcc_lo, s14, v85
	v_cmp_gt_i32_e64 s2, s11, v84
	s_waitcnt vmcnt(0)
	v_cndmask_b32_e64 v19, 0, v53, s1
	v_cmp_gt_i32_e64 s1, s14, v83
	v_cndmask_b32_sdwa v53, v76, v53, vcc_lo dst_sel:DWORD dst_unused:UNUSED_PAD src0_sel:DWORD src1_sel:WORD_1
	v_cndmask_b32_e64 v20, 0, v54, s2
	v_cmp_gt_i32_e64 s2, s14, v82
	s_mov_b32 vcc_lo, s1
	v_cmp_gt_i32_e64 s1, s14, v59
	v_cndmask_b32_sdwa v54, v76, v54, vcc_lo dst_sel:DWORD dst_unused:UNUSED_PAD src0_sel:DWORD src1_sel:WORD_1
	v_cmp_gt_i32_e32 vcc_lo, s11, v60
	v_perm_b32 v53, v53, v19, 0x5040100
	v_perm_b32 v54, v54, v20, 0x5040100
	v_cndmask_b32_e32 v86, 0, v55, vcc_lo
	s_mov_b32 vcc_lo, s2
	v_cndmask_b32_sdwa v55, v76, v55, vcc_lo dst_sel:DWORD dst_unused:UNUSED_PAD src0_sel:DWORD src1_sel:WORD_1
	v_cmp_gt_i32_e32 vcc_lo, s11, v0
	v_perm_b32 v55, v55, v86, 0x5040100
	v_cndmask_b32_e32 v87, 0, v56, vcc_lo
	s_mov_b32 vcc_lo, s1
	v_cndmask_b32_sdwa v56, v76, v56, vcc_lo dst_sel:DWORD dst_unused:UNUSED_PAD src0_sel:DWORD src1_sel:WORD_1
	v_perm_b32 v56, v56, v87, 0x5040100
	s_or_b32 exec_lo, exec_lo, s15
	global_load_dwordx4 v[17:20], v[17:18], off offset:1536
	s_and_saveexec_b32 s2, s0
	s_cbranch_execz .LBB156_25
.LBB156_49:                             ;   in Loop: Header=BB156_26 Depth=1
	v_cmp_gt_i32_e64 s0, s11, v79
	v_cmp_gt_i32_e32 vcc_lo, s14, v85
	v_cmp_gt_i32_e64 s1, s11, v84
	s_waitcnt vmcnt(0)
	v_cndmask_b32_e64 v85, 0, v17, s0
	v_cmp_gt_i32_e64 s0, s14, v83
	v_cndmask_b32_sdwa v17, v76, v17, vcc_lo dst_sel:DWORD dst_unused:UNUSED_PAD src0_sel:DWORD src1_sel:WORD_1
	v_cndmask_b32_e64 v83, 0, v18, s1
	v_cmp_gt_i32_e64 s1, s14, v82
	s_mov_b32 vcc_lo, s0
	v_cmp_gt_i32_e64 s0, s14, v59
	v_cndmask_b32_sdwa v18, v76, v18, vcc_lo dst_sel:DWORD dst_unused:UNUSED_PAD src0_sel:DWORD src1_sel:WORD_1
	v_cmp_gt_i32_e32 vcc_lo, s11, v60
	v_perm_b32 v17, v17, v85, 0x5040100
	v_perm_b32 v18, v18, v83, 0x5040100
	v_cndmask_b32_e32 v60, 0, v19, vcc_lo
	s_mov_b32 vcc_lo, s1
	v_cndmask_b32_sdwa v19, v76, v19, vcc_lo dst_sel:DWORD dst_unused:UNUSED_PAD src0_sel:DWORD src1_sel:WORD_1
	v_cmp_gt_i32_e32 vcc_lo, s11, v0
	v_perm_b32 v19, v19, v60, 0x5040100
	v_cndmask_b32_e32 v0, 0, v20, vcc_lo
	s_mov_b32 vcc_lo, s0
	v_cndmask_b32_sdwa v20, v76, v20, vcc_lo dst_sel:DWORD dst_unused:UNUSED_PAD src0_sel:DWORD src1_sel:WORD_1
	v_perm_b32 v20, v20, v0, 0x5040100
	s_branch .LBB156_25
.LBB156_50:
	s_or_b32 exec_lo, exec_lo, s13
	v_mov_b32_e32 v27, v90
.LBB156_51:
	s_or_b32 exec_lo, exec_lo, s3
	ds_bpermute_b32 v1, v62, v75
	ds_bpermute_b32 v4, v62, v71
	ds_bpermute_b32 v7, v62, v68
	ds_bpermute_b32 v0, v62, v73
	ds_bpermute_b32 v2, v62, v74
	ds_bpermute_b32 v3, v62, v72
	ds_bpermute_b32 v5, v62, v70
	ds_bpermute_b32 v6, v62, v69
	ds_bpermute_b32 v8, v62, v67
	ds_bpermute_b32 v9, v62, v66
	ds_bpermute_b32 v10, v62, v65
	ds_bpermute_b32 v11, v62, v64
	s_mov_b32 s0, exec_lo
	s_waitcnt lgkmcnt(0)
	s_barrier
	buffer_gl0_inv
	v_add_f32_e32 v1, v75, v1
	v_add_f32_e32 v4, v71, v4
	;; [unrolled: 1-line block ×12, first 2 shown]
	ds_bpermute_b32 v7, v61, v1
	ds_bpermute_b32 v19, v61, v4
	;; [unrolled: 1-line block ×12, first 2 shown]
	s_waitcnt lgkmcnt(11)
	v_add_f32_e32 v10, v1, v7
	s_waitcnt lgkmcnt(10)
	v_add_f32_e32 v7, v4, v19
	;; [unrolled: 2-line block ×3, first 2 shown]
	v_and_b32_e32 v13, 28, v27
	s_waitcnt lgkmcnt(8)
	v_add_f32_e32 v11, v0, v6
	s_waitcnt lgkmcnt(7)
	v_add_f32_e32 v9, v2, v8
	;; [unrolled: 2-line block ×8, first 2 shown]
	v_and_b32_e32 v15, 0x3c3, v88
	s_waitcnt lgkmcnt(0)
	v_add_f32_e32 v2, v17, v26
	v_lshrrev_b32_e32 v12, 2, v27
	v_add_nc_u32_e32 v13, 0xe0, v13
	v_mul_u32_u24_e32 v14, 0x180, v89
	v_cmpx_eq_u32_e32 64, v15
	s_cbranch_execz .LBB156_53
; %bb.52:
	v_add_nc_u32_e32 v15, v13, v14
	v_add_nc_u32_e32 v16, 0xfffffd00, v15
	;; [unrolled: 1-line block ×8, first 2 shown]
	ds_write_b32 v16, v11
	ds_write_b32 v17, v10
	;; [unrolled: 1-line block ×7, first 2 shown]
	v_add_nc_u32_e32 v16, 0xfffffde0, v15
	v_add_nc_u32_e32 v17, 0xfffffe00, v15
	v_add_nc_u32_e32 v18, 0xfffffe20, v15
	v_add_nc_u32_e32 v19, 0xfffffe40, v15
	v_add_nc_u32_e32 v15, 0xfffffe60, v15
	ds_write_b32 v16, v4
	ds_write_b32 v17, v3
	;; [unrolled: 1-line block ×5, first 2 shown]
.LBB156_53:
	s_or_b32 exec_lo, exec_lo, s0
	v_lshlrev_b32_e32 v12, 2, v12
	s_mov_b32 s1, exec_lo
	v_cmp_eq_u32_e32 vcc_lo, 0, v63
	s_waitcnt lgkmcnt(0)
	s_barrier
	v_add3_u32 v12, 0xe0, v14, v12
	buffer_gl0_inv
	v_cmpx_gt_u32_e32 64, v88
	s_cbranch_execz .LBB156_68
; %bb.54:
	s_and_saveexec_b32 s0, vcc_lo
	s_cbranch_execnz .LBB156_88
; %bb.55:
	s_or_b32 exec_lo, exec_lo, s0
	s_and_saveexec_b32 s0, vcc_lo
	s_cbranch_execnz .LBB156_89
.LBB156_56:
	s_or_b32 exec_lo, exec_lo, s0
	s_and_saveexec_b32 s0, vcc_lo
	s_cbranch_execnz .LBB156_90
.LBB156_57:
	s_or_b32 exec_lo, exec_lo, s0
	s_and_saveexec_b32 s0, vcc_lo
	s_cbranch_execnz .LBB156_91
.LBB156_58:
	s_or_b32 exec_lo, exec_lo, s0
	s_and_saveexec_b32 s0, vcc_lo
	s_cbranch_execnz .LBB156_92
.LBB156_59:
	s_or_b32 exec_lo, exec_lo, s0
	s_and_saveexec_b32 s0, vcc_lo
	s_cbranch_execnz .LBB156_93
.LBB156_60:
	s_or_b32 exec_lo, exec_lo, s0
	s_and_saveexec_b32 s0, vcc_lo
	s_cbranch_execnz .LBB156_94
.LBB156_61:
	s_or_b32 exec_lo, exec_lo, s0
	s_and_saveexec_b32 s0, vcc_lo
	s_cbranch_execnz .LBB156_95
.LBB156_62:
	s_or_b32 exec_lo, exec_lo, s0
	s_and_saveexec_b32 s0, vcc_lo
	s_cbranch_execnz .LBB156_96
.LBB156_63:
	s_or_b32 exec_lo, exec_lo, s0
	s_and_saveexec_b32 s0, vcc_lo
	s_cbranch_execnz .LBB156_97
.LBB156_64:
	s_or_b32 exec_lo, exec_lo, s0
	s_and_saveexec_b32 s0, vcc_lo
	s_cbranch_execnz .LBB156_98
.LBB156_65:
	s_or_b32 exec_lo, exec_lo, s0
	s_and_saveexec_b32 s0, vcc_lo
	s_cbranch_execz .LBB156_67
.LBB156_66:
	ds_read_b32 v14, v12 offset:352
	s_waitcnt lgkmcnt(0)
	v_add_f32_e32 v2, v2, v14
.LBB156_67:
	s_or_b32 exec_lo, exec_lo, s0
.LBB156_68:
	s_or_b32 exec_lo, exec_lo, s1
	v_and_b32_e32 v14, 0x3e3, v88
	s_mov_b32 s1, exec_lo
	s_barrier
	buffer_gl0_inv
	v_cmpx_eq_u32_e32 32, v14
	s_cbranch_execz .LBB156_70
; %bb.69:
	ds_write2_b32 v13, v11, v10 offset1:8
	ds_write2_b32 v13, v9, v8 offset0:16 offset1:24
	ds_write2_b32 v13, v7, v6 offset0:32 offset1:40
	;; [unrolled: 1-line block ×5, first 2 shown]
.LBB156_70:
	s_or_b32 exec_lo, exec_lo, s1
	s_mov_b32 s1, exec_lo
	s_waitcnt lgkmcnt(0)
	s_barrier
	buffer_gl0_inv
	v_cmpx_gt_u32_e32 32, v88
	s_cbranch_execz .LBB156_85
; %bb.71:
	s_and_saveexec_b32 s0, vcc_lo
	s_cbranch_execnz .LBB156_99
; %bb.72:
	s_or_b32 exec_lo, exec_lo, s0
	s_and_saveexec_b32 s0, vcc_lo
	s_cbranch_execnz .LBB156_100
.LBB156_73:
	s_or_b32 exec_lo, exec_lo, s0
	s_and_saveexec_b32 s0, vcc_lo
	s_cbranch_execnz .LBB156_101
.LBB156_74:
	s_or_b32 exec_lo, exec_lo, s0
	s_and_saveexec_b32 s0, vcc_lo
	s_cbranch_execnz .LBB156_102
.LBB156_75:
	s_or_b32 exec_lo, exec_lo, s0
	s_and_saveexec_b32 s0, vcc_lo
	s_cbranch_execnz .LBB156_103
.LBB156_76:
	s_or_b32 exec_lo, exec_lo, s0
	s_and_saveexec_b32 s0, vcc_lo
	s_cbranch_execnz .LBB156_104
.LBB156_77:
	s_or_b32 exec_lo, exec_lo, s0
	s_and_saveexec_b32 s0, vcc_lo
	s_cbranch_execnz .LBB156_105
.LBB156_78:
	s_or_b32 exec_lo, exec_lo, s0
	s_and_saveexec_b32 s0, vcc_lo
	s_cbranch_execnz .LBB156_106
.LBB156_79:
	s_or_b32 exec_lo, exec_lo, s0
	s_and_saveexec_b32 s0, vcc_lo
	s_cbranch_execnz .LBB156_107
.LBB156_80:
	s_or_b32 exec_lo, exec_lo, s0
	s_and_saveexec_b32 s0, vcc_lo
	s_cbranch_execnz .LBB156_108
.LBB156_81:
	s_or_b32 exec_lo, exec_lo, s0
	s_and_saveexec_b32 s0, vcc_lo
	s_cbranch_execnz .LBB156_109
.LBB156_82:
	s_or_b32 exec_lo, exec_lo, s0
	s_and_saveexec_b32 s0, vcc_lo
	s_cbranch_execz .LBB156_84
.LBB156_83:
	ds_read_b32 v12, v12 offset:352
	s_waitcnt lgkmcnt(0)
	v_add_f32_e32 v2, v2, v12
.LBB156_84:
	s_or_b32 exec_lo, exec_lo, s0
.LBB156_85:
	s_or_b32 exec_lo, exec_lo, s1
	s_barrier
	buffer_gl0_inv
	s_mov_b32 s0, exec_lo
	v_cmpx_eq_u32_e32 0, v14
	s_cbranch_execz .LBB156_87
; %bb.86:
	s_mul_i32 s0, s10, s7
	v_bfe_u32 v13, v11, 16, 1
	s_mul_i32 s0, s0, s9
	s_mul_i32 s2, s7, s6
	s_mulk_i32 s0, 0x60
	v_or_b32_e32 v14, 0x400000, v11
	s_ashr_i32 s1, s0, 31
	v_add3_u32 v13, v13, v11, 0x7fff
	s_lshl_b64 s[0:1], s[0:1], 1
	v_bfe_u32 v15, v10, 16, 1
	s_add_u32 s5, s16, s0
	s_addc_u32 s6, s17, s1
	s_ashr_i32 s3, s2, 31
	v_cmp_u_f32_e32 vcc_lo, v11, v11
	s_lshl_b64 s[0:1], s[2:3], 1
	s_mul_i32 s4, s8, 0x60
	s_add_u32 s2, s5, s0
	s_addc_u32 s3, s6, s1
	s_ashr_i32 s5, s4, 31
	v_lshrrev_b32_e32 v12, 1, v88
	s_lshl_b64 s[0:1], s[4:5], 1
	v_cndmask_b32_e32 v11, v13, v14, vcc_lo
	v_bfe_u32 v13, v9, 16, 1
	v_add3_u32 v14, v15, v10, 0x7fff
	v_or_b32_e32 v15, 0x400000, v10
	v_cmp_u_f32_e32 vcc_lo, v10, v10
	s_add_u32 s0, s2, s0
	s_addc_u32 s1, s3, s1
	global_store_short_d16_hi v12, v11, s[0:1]
	v_add3_u32 v11, v13, v9, 0x7fff
	v_or_b32_e32 v13, 0x400000, v9
	v_cndmask_b32_e32 v10, v14, v15, vcc_lo
	v_bfe_u32 v14, v8, 16, 1
	v_cmp_u_f32_e32 vcc_lo, v9, v9
	global_store_short_d16_hi v12, v10, s[0:1] offset:16
	v_add3_u32 v10, v14, v8, 0x7fff
	v_cndmask_b32_e32 v9, v11, v13, vcc_lo
	v_bfe_u32 v11, v7, 16, 1
	v_or_b32_e32 v13, 0x400000, v8
	v_cmp_u_f32_e32 vcc_lo, v8, v8
	global_store_short_d16_hi v12, v9, s[0:1] offset:32
	v_add3_u32 v9, v11, v7, 0x7fff
	v_or_b32_e32 v11, 0x400000, v7
	v_cndmask_b32_e32 v8, v10, v13, vcc_lo
	v_bfe_u32 v10, v6, 16, 1
	v_cmp_u_f32_e32 vcc_lo, v7, v7
	global_store_short_d16_hi v12, v8, s[0:1] offset:48
	v_add3_u32 v8, v10, v6, 0x7fff
	v_cndmask_b32_e32 v7, v9, v11, vcc_lo
	v_bfe_u32 v9, v5, 16, 1
	v_or_b32_e32 v10, 0x400000, v6
	v_cmp_u_f32_e32 vcc_lo, v6, v6
	global_store_short_d16_hi v12, v7, s[0:1] offset:64
	v_add3_u32 v7, v9, v5, 0x7fff
	v_or_b32_e32 v9, 0x400000, v5
	v_cndmask_b32_e32 v6, v8, v10, vcc_lo
	v_bfe_u32 v8, v4, 16, 1
	v_cmp_u_f32_e32 vcc_lo, v5, v5
	v_or_b32_e32 v10, 0x400000, v2
	global_store_short_d16_hi v12, v6, s[0:1] offset:80
	v_add3_u32 v6, v8, v4, 0x7fff
	v_cndmask_b32_e32 v5, v7, v9, vcc_lo
	v_bfe_u32 v7, v3, 16, 1
	v_or_b32_e32 v8, 0x400000, v4
	v_cmp_u_f32_e32 vcc_lo, v4, v4
	v_or_b32_e32 v9, 0x400000, v1
	global_store_short_d16_hi v12, v5, s[0:1] offset:96
	v_add3_u32 v5, v7, v3, 0x7fff
	v_or_b32_e32 v7, 0x400000, v3
	v_cndmask_b32_e32 v4, v6, v8, vcc_lo
	v_bfe_u32 v6, v0, 16, 1
	v_cmp_u_f32_e32 vcc_lo, v3, v3
	v_bfe_u32 v8, v1, 16, 1
	v_add3_u32 v6, v6, v0, 0x7fff
	v_cndmask_b32_e32 v3, v5, v7, vcc_lo
	v_or_b32_e32 v7, 0x400000, v0
	v_cmp_u_f32_e32 vcc_lo, v0, v0
	v_bfe_u32 v5, v2, 16, 1
	v_add3_u32 v8, v8, v1, 0x7fff
	v_cndmask_b32_e32 v0, v6, v7, vcc_lo
	v_cmp_u_f32_e32 vcc_lo, v1, v1
	v_add3_u32 v5, v5, v2, 0x7fff
	v_cndmask_b32_e32 v1, v8, v9, vcc_lo
	v_cmp_u_f32_e32 vcc_lo, v2, v2
	v_cndmask_b32_e32 v2, v5, v10, vcc_lo
	global_store_short_d16_hi v12, v4, s[0:1] offset:112
	global_store_short_d16_hi v12, v3, s[0:1] offset:128
	;; [unrolled: 1-line block ×5, first 2 shown]
.LBB156_87:
	s_endpgm
.LBB156_88:
	ds_read_b32 v14, v12
	s_waitcnt lgkmcnt(0)
	v_add_f32_e32 v11, v11, v14
	s_or_b32 exec_lo, exec_lo, s0
	s_and_saveexec_b32 s0, vcc_lo
	s_cbranch_execz .LBB156_56
.LBB156_89:
	ds_read_b32 v14, v12 offset:32
	s_waitcnt lgkmcnt(0)
	v_add_f32_e32 v10, v10, v14
	s_or_b32 exec_lo, exec_lo, s0
	s_and_saveexec_b32 s0, vcc_lo
	s_cbranch_execz .LBB156_57
.LBB156_90:
	ds_read_b32 v14, v12 offset:64
	s_waitcnt lgkmcnt(0)
	v_add_f32_e32 v9, v9, v14
	s_or_b32 exec_lo, exec_lo, s0
	s_and_saveexec_b32 s0, vcc_lo
	s_cbranch_execz .LBB156_58
.LBB156_91:
	ds_read_b32 v14, v12 offset:96
	s_waitcnt lgkmcnt(0)
	v_add_f32_e32 v8, v8, v14
	s_or_b32 exec_lo, exec_lo, s0
	s_and_saveexec_b32 s0, vcc_lo
	s_cbranch_execz .LBB156_59
.LBB156_92:
	ds_read_b32 v14, v12 offset:128
	s_waitcnt lgkmcnt(0)
	v_add_f32_e32 v7, v7, v14
	s_or_b32 exec_lo, exec_lo, s0
	s_and_saveexec_b32 s0, vcc_lo
	s_cbranch_execz .LBB156_60
.LBB156_93:
	ds_read_b32 v14, v12 offset:160
	s_waitcnt lgkmcnt(0)
	v_add_f32_e32 v6, v6, v14
	s_or_b32 exec_lo, exec_lo, s0
	s_and_saveexec_b32 s0, vcc_lo
	s_cbranch_execz .LBB156_61
.LBB156_94:
	ds_read_b32 v14, v12 offset:192
	s_waitcnt lgkmcnt(0)
	v_add_f32_e32 v5, v5, v14
	s_or_b32 exec_lo, exec_lo, s0
	s_and_saveexec_b32 s0, vcc_lo
	s_cbranch_execz .LBB156_62
.LBB156_95:
	ds_read_b32 v14, v12 offset:224
	s_waitcnt lgkmcnt(0)
	v_add_f32_e32 v4, v4, v14
	s_or_b32 exec_lo, exec_lo, s0
	s_and_saveexec_b32 s0, vcc_lo
	s_cbranch_execz .LBB156_63
.LBB156_96:
	ds_read_b32 v14, v12 offset:256
	s_waitcnt lgkmcnt(0)
	v_add_f32_e32 v3, v3, v14
	s_or_b32 exec_lo, exec_lo, s0
	s_and_saveexec_b32 s0, vcc_lo
	s_cbranch_execz .LBB156_64
.LBB156_97:
	ds_read_b32 v14, v12 offset:288
	s_waitcnt lgkmcnt(0)
	v_add_f32_e32 v0, v0, v14
	s_or_b32 exec_lo, exec_lo, s0
	s_and_saveexec_b32 s0, vcc_lo
	s_cbranch_execz .LBB156_65
.LBB156_98:
	ds_read_b32 v14, v12 offset:320
	s_waitcnt lgkmcnt(0)
	v_add_f32_e32 v1, v1, v14
	s_or_b32 exec_lo, exec_lo, s0
	s_and_saveexec_b32 s0, vcc_lo
	s_cbranch_execnz .LBB156_66
	s_branch .LBB156_67
.LBB156_99:
	ds_read_b32 v13, v12
	s_waitcnt lgkmcnt(0)
	v_add_f32_e32 v11, v11, v13
	s_or_b32 exec_lo, exec_lo, s0
	s_and_saveexec_b32 s0, vcc_lo
	s_cbranch_execz .LBB156_73
.LBB156_100:
	ds_read_b32 v13, v12 offset:32
	s_waitcnt lgkmcnt(0)
	v_add_f32_e32 v10, v10, v13
	s_or_b32 exec_lo, exec_lo, s0
	s_and_saveexec_b32 s0, vcc_lo
	s_cbranch_execz .LBB156_74
.LBB156_101:
	ds_read_b32 v13, v12 offset:64
	s_waitcnt lgkmcnt(0)
	v_add_f32_e32 v9, v9, v13
	s_or_b32 exec_lo, exec_lo, s0
	s_and_saveexec_b32 s0, vcc_lo
	s_cbranch_execz .LBB156_75
.LBB156_102:
	ds_read_b32 v13, v12 offset:96
	s_waitcnt lgkmcnt(0)
	v_add_f32_e32 v8, v8, v13
	s_or_b32 exec_lo, exec_lo, s0
	s_and_saveexec_b32 s0, vcc_lo
	s_cbranch_execz .LBB156_76
.LBB156_103:
	ds_read_b32 v13, v12 offset:128
	s_waitcnt lgkmcnt(0)
	v_add_f32_e32 v7, v7, v13
	s_or_b32 exec_lo, exec_lo, s0
	s_and_saveexec_b32 s0, vcc_lo
	s_cbranch_execz .LBB156_77
.LBB156_104:
	ds_read_b32 v13, v12 offset:160
	s_waitcnt lgkmcnt(0)
	v_add_f32_e32 v6, v6, v13
	s_or_b32 exec_lo, exec_lo, s0
	s_and_saveexec_b32 s0, vcc_lo
	s_cbranch_execz .LBB156_78
.LBB156_105:
	ds_read_b32 v13, v12 offset:192
	s_waitcnt lgkmcnt(0)
	v_add_f32_e32 v5, v5, v13
	s_or_b32 exec_lo, exec_lo, s0
	s_and_saveexec_b32 s0, vcc_lo
	s_cbranch_execz .LBB156_79
.LBB156_106:
	ds_read_b32 v13, v12 offset:224
	s_waitcnt lgkmcnt(0)
	v_add_f32_e32 v4, v4, v13
	s_or_b32 exec_lo, exec_lo, s0
	s_and_saveexec_b32 s0, vcc_lo
	s_cbranch_execz .LBB156_80
.LBB156_107:
	ds_read_b32 v13, v12 offset:256
	s_waitcnt lgkmcnt(0)
	v_add_f32_e32 v3, v3, v13
	s_or_b32 exec_lo, exec_lo, s0
	s_and_saveexec_b32 s0, vcc_lo
	s_cbranch_execz .LBB156_81
.LBB156_108:
	ds_read_b32 v13, v12 offset:288
	s_waitcnt lgkmcnt(0)
	v_add_f32_e32 v0, v0, v13
	s_or_b32 exec_lo, exec_lo, s0
	s_and_saveexec_b32 s0, vcc_lo
	s_cbranch_execz .LBB156_82
.LBB156_109:
	ds_read_b32 v13, v12 offset:320
	s_waitcnt lgkmcnt(0)
	v_add_f32_e32 v1, v1, v13
	s_or_b32 exec_lo, exec_lo, s0
	s_and_saveexec_b32 s0, vcc_lo
	s_cbranch_execnz .LBB156_83
	s_branch .LBB156_84
	.section	.rodata,"a",@progbits
	.p2align	6, 0x0
	.amdhsa_kernel _ZN4vllm25paged_attention_v1_kernelI14__hip_bfloat16S1_Li96ELi32ELi128ELNS_18Fp8KVCacheDataTypeE0ELb0EEEvPT_PKS3_PKT0_S9_ifPKiSB_iPKfiiiSD_SD_iiiii
		.amdhsa_group_segment_fixed_size 224
		.amdhsa_private_segment_fixed_size 164
		.amdhsa_kernarg_size 384
		.amdhsa_user_sgpr_count 6
		.amdhsa_user_sgpr_private_segment_buffer 1
		.amdhsa_user_sgpr_dispatch_ptr 0
		.amdhsa_user_sgpr_queue_ptr 0
		.amdhsa_user_sgpr_kernarg_segment_ptr 1
		.amdhsa_user_sgpr_dispatch_id 0
		.amdhsa_user_sgpr_flat_scratch_init 0
		.amdhsa_user_sgpr_private_segment_size 0
		.amdhsa_wavefront_size32 1
		.amdhsa_uses_dynamic_stack 0
		.amdhsa_system_sgpr_private_segment_wavefront_offset 1
		.amdhsa_system_sgpr_workgroup_id_x 1
		.amdhsa_system_sgpr_workgroup_id_y 1
		.amdhsa_system_sgpr_workgroup_id_z 1
		.amdhsa_system_sgpr_workgroup_info 0
		.amdhsa_system_vgpr_workitem_id 0
		.amdhsa_next_free_vgpr 128
		.amdhsa_next_free_sgpr 32
		.amdhsa_reserve_vcc 1
		.amdhsa_reserve_flat_scratch 0
		.amdhsa_float_round_mode_32 0
		.amdhsa_float_round_mode_16_64 0
		.amdhsa_float_denorm_mode_32 3
		.amdhsa_float_denorm_mode_16_64 3
		.amdhsa_dx10_clamp 1
		.amdhsa_ieee_mode 1
		.amdhsa_fp16_overflow 0
		.amdhsa_workgroup_processor_mode 1
		.amdhsa_memory_ordered 1
		.amdhsa_forward_progress 1
		.amdhsa_shared_vgpr_count 0
		.amdhsa_exception_fp_ieee_invalid_op 0
		.amdhsa_exception_fp_denorm_src 0
		.amdhsa_exception_fp_ieee_div_zero 0
		.amdhsa_exception_fp_ieee_overflow 0
		.amdhsa_exception_fp_ieee_underflow 0
		.amdhsa_exception_fp_ieee_inexact 0
		.amdhsa_exception_int_div_zero 0
	.end_amdhsa_kernel
	.section	.text._ZN4vllm25paged_attention_v1_kernelI14__hip_bfloat16S1_Li96ELi32ELi128ELNS_18Fp8KVCacheDataTypeE0ELb0EEEvPT_PKS3_PKT0_S9_ifPKiSB_iPKfiiiSD_SD_iiiii,"axG",@progbits,_ZN4vllm25paged_attention_v1_kernelI14__hip_bfloat16S1_Li96ELi32ELi128ELNS_18Fp8KVCacheDataTypeE0ELb0EEEvPT_PKS3_PKT0_S9_ifPKiSB_iPKfiiiSD_SD_iiiii,comdat
.Lfunc_end156:
	.size	_ZN4vllm25paged_attention_v1_kernelI14__hip_bfloat16S1_Li96ELi32ELi128ELNS_18Fp8KVCacheDataTypeE0ELb0EEEvPT_PKS3_PKT0_S9_ifPKiSB_iPKfiiiSD_SD_iiiii, .Lfunc_end156-_ZN4vllm25paged_attention_v1_kernelI14__hip_bfloat16S1_Li96ELi32ELi128ELNS_18Fp8KVCacheDataTypeE0ELb0EEEvPT_PKS3_PKT0_S9_ifPKiSB_iPKfiiiSD_SD_iiiii
                                        ; -- End function
	.set _ZN4vllm25paged_attention_v1_kernelI14__hip_bfloat16S1_Li96ELi32ELi128ELNS_18Fp8KVCacheDataTypeE0ELb0EEEvPT_PKS3_PKT0_S9_ifPKiSB_iPKfiiiSD_SD_iiiii.num_vgpr, 128
	.set _ZN4vllm25paged_attention_v1_kernelI14__hip_bfloat16S1_Li96ELi32ELi128ELNS_18Fp8KVCacheDataTypeE0ELb0EEEvPT_PKS3_PKT0_S9_ifPKiSB_iPKfiiiSD_SD_iiiii.num_agpr, 0
	.set _ZN4vllm25paged_attention_v1_kernelI14__hip_bfloat16S1_Li96ELi32ELi128ELNS_18Fp8KVCacheDataTypeE0ELb0EEEvPT_PKS3_PKT0_S9_ifPKiSB_iPKfiiiSD_SD_iiiii.numbered_sgpr, 32
	.set _ZN4vllm25paged_attention_v1_kernelI14__hip_bfloat16S1_Li96ELi32ELi128ELNS_18Fp8KVCacheDataTypeE0ELb0EEEvPT_PKS3_PKT0_S9_ifPKiSB_iPKfiiiSD_SD_iiiii.num_named_barrier, 0
	.set _ZN4vllm25paged_attention_v1_kernelI14__hip_bfloat16S1_Li96ELi32ELi128ELNS_18Fp8KVCacheDataTypeE0ELb0EEEvPT_PKS3_PKT0_S9_ifPKiSB_iPKfiiiSD_SD_iiiii.private_seg_size, 164
	.set _ZN4vllm25paged_attention_v1_kernelI14__hip_bfloat16S1_Li96ELi32ELi128ELNS_18Fp8KVCacheDataTypeE0ELb0EEEvPT_PKS3_PKT0_S9_ifPKiSB_iPKfiiiSD_SD_iiiii.uses_vcc, 1
	.set _ZN4vllm25paged_attention_v1_kernelI14__hip_bfloat16S1_Li96ELi32ELi128ELNS_18Fp8KVCacheDataTypeE0ELb0EEEvPT_PKS3_PKT0_S9_ifPKiSB_iPKfiiiSD_SD_iiiii.uses_flat_scratch, 0
	.set _ZN4vllm25paged_attention_v1_kernelI14__hip_bfloat16S1_Li96ELi32ELi128ELNS_18Fp8KVCacheDataTypeE0ELb0EEEvPT_PKS3_PKT0_S9_ifPKiSB_iPKfiiiSD_SD_iiiii.has_dyn_sized_stack, 0
	.set _ZN4vllm25paged_attention_v1_kernelI14__hip_bfloat16S1_Li96ELi32ELi128ELNS_18Fp8KVCacheDataTypeE0ELb0EEEvPT_PKS3_PKT0_S9_ifPKiSB_iPKfiiiSD_SD_iiiii.has_recursion, 0
	.set _ZN4vllm25paged_attention_v1_kernelI14__hip_bfloat16S1_Li96ELi32ELi128ELNS_18Fp8KVCacheDataTypeE0ELb0EEEvPT_PKS3_PKT0_S9_ifPKiSB_iPKfiiiSD_SD_iiiii.has_indirect_call, 0
	.section	.AMDGPU.csdata,"",@progbits
; Kernel info:
; codeLenInByte = 15632
; TotalNumSgprs: 34
; NumVgprs: 128
; ScratchSize: 164
; MemoryBound: 0
; FloatMode: 240
; IeeeMode: 1
; LDSByteSize: 224 bytes/workgroup (compile time only)
; SGPRBlocks: 0
; VGPRBlocks: 15
; NumSGPRsForWavesPerEU: 34
; NumVGPRsForWavesPerEU: 128
; Occupancy: 8
; WaveLimiterHint : 1
; COMPUTE_PGM_RSRC2:SCRATCH_EN: 1
; COMPUTE_PGM_RSRC2:USER_SGPR: 6
; COMPUTE_PGM_RSRC2:TRAP_HANDLER: 0
; COMPUTE_PGM_RSRC2:TGID_X_EN: 1
; COMPUTE_PGM_RSRC2:TGID_Y_EN: 1
; COMPUTE_PGM_RSRC2:TGID_Z_EN: 1
; COMPUTE_PGM_RSRC2:TIDIG_COMP_CNT: 0
	.section	.text._ZN4vllm25paged_attention_v1_kernelI14__hip_bfloat16S1_Li112ELi32ELi128ELNS_18Fp8KVCacheDataTypeE0ELb0EEEvPT_PKS3_PKT0_S9_ifPKiSB_iPKfiiiSD_SD_iiiii,"axG",@progbits,_ZN4vllm25paged_attention_v1_kernelI14__hip_bfloat16S1_Li112ELi32ELi128ELNS_18Fp8KVCacheDataTypeE0ELb0EEEvPT_PKS3_PKT0_S9_ifPKiSB_iPKfiiiSD_SD_iiiii,comdat
	.protected	_ZN4vllm25paged_attention_v1_kernelI14__hip_bfloat16S1_Li112ELi32ELi128ELNS_18Fp8KVCacheDataTypeE0ELb0EEEvPT_PKS3_PKT0_S9_ifPKiSB_iPKfiiiSD_SD_iiiii ; -- Begin function _ZN4vllm25paged_attention_v1_kernelI14__hip_bfloat16S1_Li112ELi32ELi128ELNS_18Fp8KVCacheDataTypeE0ELb0EEEvPT_PKS3_PKT0_S9_ifPKiSB_iPKfiiiSD_SD_iiiii
	.globl	_ZN4vllm25paged_attention_v1_kernelI14__hip_bfloat16S1_Li112ELi32ELi128ELNS_18Fp8KVCacheDataTypeE0ELb0EEEvPT_PKS3_PKT0_S9_ifPKiSB_iPKfiiiSD_SD_iiiii
	.p2align	8
	.type	_ZN4vllm25paged_attention_v1_kernelI14__hip_bfloat16S1_Li112ELi32ELi128ELNS_18Fp8KVCacheDataTypeE0ELb0EEEvPT_PKS3_PKT0_S9_ifPKiSB_iPKfiiiSD_SD_iiiii,@function
_ZN4vllm25paged_attention_v1_kernelI14__hip_bfloat16S1_Li112ELi32ELi128ELNS_18Fp8KVCacheDataTypeE0ELb0EEEvPT_PKS3_PKT0_S9_ifPKiSB_iPKfiiiSD_SD_iiiii: ; @_ZN4vllm25paged_attention_v1_kernelI14__hip_bfloat16S1_Li112ELi32ELi128ELNS_18Fp8KVCacheDataTypeE0ELb0EEEvPT_PKS3_PKT0_S9_ifPKiSB_iPKfiiiSD_SD_iiiii
; %bb.0:
	s_mov_b64 s[30:31], s[2:3]
	s_mov_b64 s[28:29], s[0:1]
	s_mov_b32 s10, s7
	s_add_u32 s28, s28, s9
	s_clause 0x2
	s_load_dword s9, s[4:5], 0x80
	s_load_dwordx2 s[0:1], s[4:5], 0x30
	s_load_dwordx2 s[2:3], s[4:5], 0x20
	s_addc_u32 s29, s29, 0
	s_ashr_i32 s11, s7, 31
	v_mov_b32_e32 v98, v0
	s_lshl_b64 s[12:13], s[10:11], 2
	s_mov_b32 s24, 0
	s_waitcnt lgkmcnt(0)
	s_add_u32 s0, s0, s12
	s_addc_u32 s1, s1, s13
	s_abs_i32 s7, s2
	s_abs_i32 s13, s9
	v_cvt_f32_u32_e32 v0, s7
	s_sub_i32 s12, 0, s7
	s_xor_b32 s2, s9, s2
	s_ashr_i32 s2, s2, 31
	v_rcp_iflag_f32_e32 v0, v0
	v_mul_f32_e32 v0, 0x4f7ffffe, v0
	v_cvt_u32_f32_e32 v0, v0
	v_readfirstlane_b32 s11, v0
	s_mul_i32 s12, s12, s11
	s_mul_hi_u32 s12, s11, s12
	s_add_i32 s11, s11, s12
	s_mul_hi_u32 s11, s13, s11
	s_mul_i32 s12, s11, s7
	s_sub_i32 s12, s13, s12
	s_add_i32 s13, s11, 1
	s_sub_i32 s14, s12, s7
	s_cmp_ge_u32 s12, s7
	s_cselect_b32 s11, s13, s11
	s_cselect_b32 s12, s14, s12
	s_add_i32 s13, s11, 1
	s_cmp_ge_u32 s12, s7
	s_cselect_b32 s7, s13, s11
	s_load_dwordx2 s[12:13], s[4:5], 0x40
	s_xor_b32 s7, s7, s2
	s_abs_i32 s16, s6
	s_sub_i32 s17, s7, s2
	s_abs_i32 s2, s17
	v_cvt_f32_u32_e32 v0, s2
	s_sub_i32 s11, 0, s2
	v_rcp_iflag_f32_e32 v0, v0
	v_mul_f32_e32 v0, 0x4f7ffffe, v0
	v_cvt_u32_f32_e32 v0, v0
	v_readfirstlane_b32 s7, v0
	s_mul_i32 s11, s11, s7
	s_mul_hi_u32 s11, s7, s11
	s_add_i32 s7, s7, s11
	s_waitcnt lgkmcnt(0)
	s_cmp_eq_u64 s[12:13], 0
	s_mul_hi_u32 s22, s16, s7
	s_cbranch_scc1 .LBB157_2
; %bb.1:
	s_ashr_i32 s7, s6, 31
	s_lshl_b64 s[14:15], s[6:7], 2
	s_add_u32 s12, s12, s14
	s_addc_u32 s13, s13, s15
	s_load_dword s24, s[12:13], 0x0
.LBB157_2:
	s_load_dword s11, s[0:1], 0x0
	s_clause 0x1
	s_load_dwordx2 s[18:19], s[4:5], 0x28
	s_load_dwordx4 s[12:15], s[4:5], 0x48
	v_lshlrev_b32_e32 v10, 4, v98
	s_ashr_i32 s0, s6, 31
	s_ashr_i32 s1, s17, 31
	s_mulk_i32 s6, 0x70
	s_waitcnt lgkmcnt(0)
	s_mov_b32 s15, exec_lo
	v_cmpx_gt_u32_e32 14, v98
	s_cbranch_execz .LBB157_4
; %bb.3:
	s_load_dwordx2 s[20:21], s[4:5], 0x8
	s_mul_i32 s26, s12, s10
	s_ashr_i32 s27, s26, 31
	s_lshl_b64 s[26:27], s[26:27], 1
	s_waitcnt lgkmcnt(0)
	s_add_u32 s12, s20, s26
	s_addc_u32 s17, s21, s27
	s_ashr_i32 s7, s6, 31
	s_lshl_b64 s[20:21], s[6:7], 1
	s_add_u32 s20, s12, s20
	s_addc_u32 s21, s17, s21
	global_load_dwordx4 v[0:3], v10, s[20:21]
	s_waitcnt vmcnt(0)
	ds_write_b128 v10, v[0:3]
.LBB157_4:
	s_or_b32 exec_lo, exec_lo, s15
	s_add_i32 s7, s11, 31
	s_xor_b32 s0, s0, s1
	s_ashr_i32 s12, s7, 31
	s_load_dword s15, s[4:5], 0x38
	s_lshr_b32 s1, s12, 27
	s_mul_i32 s12, s22, s2
	s_add_i32 s7, s7, s1
	s_sub_i32 s1, s16, s12
	s_ashr_i32 s12, s7, 5
	s_clause 0x2
	s_load_dwordx2 s[16:17], s[4:5], 0x0
	s_load_dwordx2 s[20:21], s[4:5], 0x18
	s_load_dword s7, s[4:5], 0x88
	s_add_i32 s23, s22, 1
	s_sub_i32 s25, s1, s2
	s_cmp_ge_u32 s1, s2
	v_lshrrev_b32_e32 v99, 5, v98
	s_cselect_b32 s22, s23, s22
	s_cselect_b32 s1, s25, s1
	s_add_i32 s23, s22, 1
	s_cmp_ge_u32 s1, s2
	v_and_b32_e32 v100, 31, v98
	s_cselect_b32 s1, s23, s22
	v_mov_b32_e32 v73, 0xff7fffff
	s_xor_b32 s1, s1, s0
	v_lshrrev_b32_e32 v25, 3, v98
	s_sub_i32 s1, s1, s0
	v_cmp_gt_i32_e64 s0, s12, v99
	v_lshlrev_b32_e32 v26, 2, v100
	s_waitcnt lgkmcnt(0)
	s_mul_i32 s22, s15, s10
	s_mul_i32 s14, s1, s14
	s_ashr_i32 s23, s22, 31
	s_barrier
	buffer_gl0_inv
	s_and_saveexec_b32 s25, s0
	s_cbranch_execz .LBB157_8
; %bb.5:
	v_mov_b32_e32 v24, 0
	buffer_store_dword v10, off, s[28:31], 0 offset:248 ; 4-byte Folded Spill
	buffer_store_dword v98, off, s[28:31], 0 offset:236 ; 4-byte Folded Spill
	s_load_dwordx2 s[4:5], s[4:5], 0x10
	s_ashr_i32 s15, s14, 31
	v_cmp_neq_f32_e64 vcc_lo, s24, 0
	ds_read_b128 v[0:3], v24
	ds_read_b128 v[4:7], v24 offset:16
	ds_read_b128 v[8:11], v24 offset:32
	;; [unrolled: 1-line block ×5, first 2 shown]
	s_lshl_b64 s[26:27], s[14:15], 1
	v_lshl_or_b32 v78, v99, 5, v100
	v_mov_b32_e32 v73, 0xff7fffff
	v_mov_b32_e32 v79, v99
	buffer_store_dword v26, off, s[28:31], 0 offset:256 ; 4-byte Folded Spill
	buffer_store_dword v25, off, s[28:31], 0 offset:252 ; 4-byte Folded Spill
	;; [unrolled: 1-line block ×4, first 2 shown]
	s_waitcnt lgkmcnt(0)
	v_and_b32_e32 v27, 0xffff0000, v0
	v_lshlrev_b32_e32 v0, 16, v0
	s_add_u32 s1, s4, s26
	s_addc_u32 s2, s5, s27
	s_lshl_b64 s[26:27], s[22:23], 2
	s_sub_i32 s4, 1, s11
	buffer_store_dword v0, off, s[28:31], 0 offset:4 ; 4-byte Folded Spill
	v_and_b32_e32 v0, 0xffff0000, v1
	s_add_u32 s5, s18, s26
	s_addc_u32 s15, s19, s27
	buffer_store_dword v27, off, s[28:31], 0 ; 4-byte Folded Spill
	buffer_store_dword v0, off, s[28:31], 0 offset:8 ; 4-byte Folded Spill
	v_lshlrev_b32_e32 v0, 16, v1
	buffer_store_dword v0, off, s[28:31], 0 offset:12 ; 4-byte Folded Spill
	v_and_b32_e32 v0, 0xffff0000, v2
	buffer_store_dword v0, off, s[28:31], 0 offset:16 ; 4-byte Folded Spill
	v_lshlrev_b32_e32 v0, 16, v2
	buffer_store_dword v0, off, s[28:31], 0 offset:20 ; 4-byte Folded Spill
	v_and_b32_e32 v0, 0xffff0000, v3
	buffer_store_dword v0, off, s[28:31], 0 offset:24 ; 4-byte Folded Spill
	v_lshlrev_b32_e32 v0, 16, v3
	buffer_store_dword v0, off, s[28:31], 0 offset:28 ; 4-byte Folded Spill
	v_and_b32_e32 v0, 0xffff0000, v4
	buffer_store_dword v0, off, s[28:31], 0 offset:32 ; 4-byte Folded Spill
	v_lshlrev_b32_e32 v0, 16, v4
	v_lshlrev_b32_e32 v4, 16, v15
	buffer_store_dword v0, off, s[28:31], 0 offset:36 ; 4-byte Folded Spill
	v_and_b32_e32 v0, 0xffff0000, v5
	buffer_store_dword v4, off, s[28:31], 0 offset:124 ; 4-byte Folded Spill
	v_and_b32_e32 v4, 0xffff0000, v16
	buffer_store_dword v0, off, s[28:31], 0 offset:40 ; 4-byte Folded Spill
	v_lshlrev_b32_e32 v0, 16, v5
	buffer_store_dword v4, off, s[28:31], 0 offset:128 ; 4-byte Folded Spill
	v_lshlrev_b32_e32 v4, 16, v16
	buffer_store_dword v0, off, s[28:31], 0 offset:44 ; 4-byte Folded Spill
	v_and_b32_e32 v0, 0xffff0000, v6
	buffer_store_dword v4, off, s[28:31], 0 offset:132 ; 4-byte Folded Spill
	v_and_b32_e32 v4, 0xffff0000, v20
	buffer_store_dword v0, off, s[28:31], 0 offset:48 ; 4-byte Folded Spill
	v_lshlrev_b32_e32 v0, 16, v6
	buffer_store_dword v4, off, s[28:31], 0 offset:136 ; 4-byte Folded Spill
	;; [unrolled: 8-line block ×4, first 2 shown]
	v_lshlrev_b32_e32 v8, 16, v21
	ds_read_b128 v[4:7], v24 offset:112
	buffer_store_dword v0, off, s[28:31], 0 offset:68 ; 4-byte Folded Spill
	v_and_b32_e32 v0, 0xffff0000, v9
	buffer_store_dword v8, off, s[28:31], 0 offset:156 ; 4-byte Folded Spill
	v_and_b32_e32 v8, 0xffff0000, v18
	buffer_store_dword v0, off, s[28:31], 0 offset:72 ; 4-byte Folded Spill
	v_lshlrev_b32_e32 v0, 16, v9
	buffer_store_dword v8, off, s[28:31], 0 offset:160 ; 4-byte Folded Spill
	v_lshlrev_b32_e32 v8, 16, v18
	buffer_store_dword v0, off, s[28:31], 0 offset:76 ; 4-byte Folded Spill
	v_and_b32_e32 v0, 0xffff0000, v10
	buffer_store_dword v8, off, s[28:31], 0 offset:164 ; 4-byte Folded Spill
	v_and_b32_e32 v8, 0xffff0000, v19
	buffer_store_dword v0, off, s[28:31], 0 offset:80 ; 4-byte Folded Spill
	v_lshlrev_b32_e32 v0, 16, v10
	buffer_store_dword v8, off, s[28:31], 0 offset:168 ; 4-byte Folded Spill
	v_lshlrev_b32_e32 v8, 16, v19
	s_waitcnt lgkmcnt(0)
	v_lshlrev_b32_e32 v107, 16, v5
	v_and_b32_e32 v108, 0xffff0000, v6
	buffer_store_dword v0, off, s[28:31], 0 offset:84 ; 4-byte Folded Spill
	v_and_b32_e32 v0, 0xffff0000, v11
	buffer_store_dword v8, off, s[28:31], 0 offset:172 ; 4-byte Folded Spill
	v_and_b32_e32 v8, 0xffff0000, v22
	v_lshlrev_b32_e32 v109, 16, v6
	v_and_b32_e32 v110, 0xffff0000, v7
	buffer_store_dword v0, off, s[28:31], 0 offset:88 ; 4-byte Folded Spill
	v_lshlrev_b32_e32 v0, 16, v11
	buffer_store_dword v8, off, s[28:31], 0 offset:176 ; 4-byte Folded Spill
	v_lshlrev_b32_e32 v8, 16, v22
	v_lshlrev_b32_e32 v111, 16, v7
	buffer_store_dword v0, off, s[28:31], 0 offset:92 ; 4-byte Folded Spill
	v_and_b32_e32 v0, 0xffff0000, v12
	buffer_store_dword v8, off, s[28:31], 0 offset:180 ; 4-byte Folded Spill
	v_and_b32_e32 v8, 0xffff0000, v23
	buffer_store_dword v0, off, s[28:31], 0 offset:96 ; 4-byte Folded Spill
	v_lshlrev_b32_e32 v0, 16, v12
	v_lshlrev_b32_e32 v12, 16, v23
	buffer_store_dword v8, off, s[28:31], 0 offset:184 ; 4-byte Folded Spill
	ds_read_b128 v[8:11], v24 offset:128
	buffer_store_dword v0, off, s[28:31], 0 offset:100 ; 4-byte Folded Spill
	v_and_b32_e32 v0, 0xffff0000, v13
	buffer_store_dword v12, off, s[28:31], 0 offset:188 ; 4-byte Folded Spill
	buffer_store_dword v0, off, s[28:31], 0 offset:104 ; 4-byte Folded Spill
	v_lshlrev_b32_e32 v0, 16, v13
	buffer_store_dword v0, off, s[28:31], 0 offset:108 ; 4-byte Folded Spill
	v_and_b32_e32 v0, 0xffff0000, v14
	buffer_store_dword v0, off, s[28:31], 0 offset:112 ; 4-byte Folded Spill
	v_lshlrev_b32_e32 v0, 16, v14
	buffer_store_dword v0, off, s[28:31], 0 offset:116 ; 4-byte Folded Spill
	v_and_b32_e32 v0, 0xffff0000, v15
	buffer_store_dword v0, off, s[28:31], 0 offset:120 ; 4-byte Folded Spill
	ds_read_b128 v[0:3], v24 offset:96
	s_waitcnt lgkmcnt(0)
	v_and_b32_e32 v12, 0xffff0000, v0
	v_lshlrev_b32_e32 v0, 16, v0
	buffer_store_dword v12, off, s[28:31], 0 offset:192 ; 4-byte Folded Spill
	buffer_store_dword v0, off, s[28:31], 0 offset:196 ; 4-byte Folded Spill
	v_and_b32_e32 v0, 0xffff0000, v1
	ds_read_b128 v[12:15], v24 offset:144
	v_and_b32_e32 v112, 0xffff0000, v8
	v_lshlrev_b32_e32 v113, 16, v8
	v_and_b32_e32 v114, 0xffff0000, v9
	buffer_store_dword v0, off, s[28:31], 0 offset:200 ; 4-byte Folded Spill
	v_lshlrev_b32_e32 v0, 16, v1
	v_lshlrev_b32_e32 v115, 16, v9
	v_and_b32_e32 v116, 0xffff0000, v10
	v_lshlrev_b32_e32 v117, 16, v10
	v_and_b32_e32 v118, 0xffff0000, v11
	buffer_store_dword v0, off, s[28:31], 0 offset:204 ; 4-byte Folded Spill
	v_and_b32_e32 v0, 0xffff0000, v2
	v_lshlrev_b32_e32 v119, 16, v11
	ds_read_b128 v[8:11], v24 offset:192
	buffer_store_dword v0, off, s[28:31], 0 offset:208 ; 4-byte Folded Spill
	v_lshlrev_b32_e32 v0, 16, v2
	s_waitcnt lgkmcnt(1)
	v_and_b32_e32 v120, 0xffff0000, v12
	v_lshlrev_b32_e32 v121, 16, v12
	buffer_store_dword v0, off, s[28:31], 0 offset:212 ; 4-byte Folded Spill
	v_and_b32_e32 v0, 0xffff0000, v3
	v_and_b32_e32 v122, 0xffff0000, v13
	v_lshlrev_b32_e32 v123, 16, v13
	v_and_b32_e32 v124, 0xffff0000, v14
	v_lshlrev_b32_e32 v125, 16, v14
	buffer_store_dword v0, off, s[28:31], 0 offset:216 ; 4-byte Folded Spill
	v_lshlrev_b32_e32 v0, 16, v3
	v_and_b32_e32 v126, 0xffff0000, v15
	v_lshlrev_b32_e32 v127, 16, v15
	ds_read_b128 v[12:15], v24 offset:208
	s_waitcnt lgkmcnt(1)
	v_and_b32_e32 v56, 0xffff0000, v8
	buffer_store_dword v0, off, s[28:31], 0 offset:220 ; 4-byte Folded Spill
	v_and_b32_e32 v0, 0xffff0000, v4
	v_lshlrev_b32_e32 v57, 16, v8
	v_and_b32_e32 v58, 0xffff0000, v9
	v_lshlrev_b32_e32 v59, 16, v9
	v_and_b32_e32 v60, 0xffff0000, v10
	buffer_store_dword v0, off, s[28:31], 0 offset:224 ; 4-byte Folded Spill
	v_lshlrev_b32_e32 v0, 16, v4
	v_lshlrev_b32_e32 v61, 16, v10
	v_and_b32_e32 v62, 0xffff0000, v11
	v_lshlrev_b32_e32 v63, 16, v11
	buffer_store_dword v0, off, s[28:31], 0 offset:228 ; 4-byte Folded Spill
	v_and_b32_e32 v0, 0xffff0000, v5
	ds_read_b128 v[4:7], v24 offset:176
	buffer_store_dword v0, off, s[28:31], 0 offset:232 ; 4-byte Folded Spill
	ds_read_b128 v[0:3], v24 offset:160
	s_waitcnt lgkmcnt(2)
	v_and_b32_e32 v64, 0xffff0000, v12
	v_lshlrev_b32_e32 v65, 16, v12
	v_and_b32_e32 v66, 0xffff0000, v13
	v_lshlrev_b32_e32 v69, 16, v13
	;; [unrolled: 2-line block ×4, first 2 shown]
	s_waitcnt lgkmcnt(1)
	v_and_b32_e32 v48, 0xffff0000, v4
	v_lshlrev_b32_e32 v49, 16, v4
	v_and_b32_e32 v50, 0xffff0000, v5
	v_lshlrev_b32_e32 v51, 16, v5
	v_and_b32_e32 v52, 0xffff0000, v6
	s_waitcnt lgkmcnt(0)
	v_and_b32_e32 v45, 0xffff0000, v1
	v_lshlrev_b32_e32 v68, 16, v1
	v_lshl_or_b32 v1, v99, 7, v26
	v_and_b32_e32 v67, 0xffff0000, v2
	v_lshlrev_b32_e32 v46, 16, v2
	v_lshlrev_b32_e32 v2, 4, v100
	v_and_b32_e32 v44, 0xffff0000, v0
	v_add_nc_u32_e32 v75, 0x100, v1
	v_and_b32_e32 v1, 0x7c, v25
	v_lshlrev_b32_e32 v43, 16, v0
	v_add_co_u32 v76, s1, s1, v2
	v_and_b32_e32 v0, 0xffff0000, v3
	v_add_co_u32 v41, s5, s5, v1
	v_lshlrev_b32_e32 v47, 16, v3
	v_lshlrev_b32_e32 v53, 16, v6
	v_and_b32_e32 v54, 0xffff0000, v7
	v_lshlrev_b32_e32 v55, 16, v7
	v_add_co_ci_u32_e64 v42, null, s15, 0, s5
	v_add_co_ci_u32_e64 v77, null, s2, 0, s1
	s_mov_b32 s15, s13
	s_mov_b32 s5, 0
.LBB157_6:                              ; =>This Inner Loop Header: Depth=1
	global_load_dword v1, v[41:42], off
	v_add_nc_u32_e32 v79, 4, v79
	s_waitcnt vmcnt(0)
	v_mad_i64_i32 v[1:2], null, v1, s15, 0
	v_lshlrev_b64 v[1:2], 1, v[1:2]
	v_add_co_u32 v97, s1, v76, v1
	v_add_nc_u32_e32 v1, s4, v78
	v_add_co_ci_u32_e64 v98, null, v77, v2, s1
	v_cmp_gt_i32_e64 s1, s11, v78
	v_add_nc_u32_e32 v78, 0x80, v78
	v_cvt_f32_i32_e32 v1, v1
	v_mul_f32_e32 v1, s24, v1
	v_cndmask_b32_e32 v80, 0, v1, vcc_lo
	s_clause 0x1
	global_load_dwordx4 v[1:4], v[97:98], off
	global_load_dwordx4 v[5:8], v[97:98], off offset:512
	buffer_load_dword v11, off, s[28:31], 0 offset:36 ; 4-byte Folded Reload
	s_waitcnt vmcnt(2)
	v_lshlrev_b32_e32 v9, 16, v1
	s_waitcnt vmcnt(1)
	v_and_b32_e32 v10, 0xffff0000, v5
	v_lshlrev_b32_e32 v5, 16, v5
	v_and_b32_e32 v1, 0xffff0000, v1
	s_waitcnt vmcnt(0)
	v_mul_f32_e32 v81, v11, v5
	buffer_load_dword v5, off, s[28:31], 0 offset:32 ; 4-byte Folded Reload
	s_waitcnt vmcnt(0)
	v_mul_f32_e32 v82, v5, v10
	buffer_load_dword v5, off, s[28:31], 0  ; 4-byte Folded Reload
	s_waitcnt vmcnt(0)
	v_fmac_f32_e32 v82, v5, v1
	buffer_load_dword v1, off, s[28:31], 0 offset:4 ; 4-byte Folded Reload
	v_and_b32_e32 v5, 0xffff0000, v6
	v_lshlrev_b32_e32 v6, 16, v6
	s_waitcnt vmcnt(0)
	v_fmac_f32_e32 v81, v1, v9
	buffer_load_dword v9, off, s[28:31], 0 offset:44 ; 4-byte Folded Reload
	v_lshlrev_b32_e32 v1, 16, v2
	v_and_b32_e32 v2, 0xffff0000, v2
	s_waitcnt vmcnt(0)
	v_mul_f32_e32 v83, v9, v6
	buffer_load_dword v6, off, s[28:31], 0 offset:40 ; 4-byte Folded Reload
	s_waitcnt vmcnt(0)
	v_mul_f32_e32 v84, v6, v5
	s_clause 0x1
	buffer_load_dword v5, off, s[28:31], 0 offset:8
	buffer_load_dword v6, off, s[28:31], 0 offset:52
	s_waitcnt vmcnt(1)
	v_fmac_f32_e32 v84, v5, v2
	buffer_load_dword v2, off, s[28:31], 0 offset:12 ; 4-byte Folded Reload
	v_lshlrev_b32_e32 v5, 16, v7
	s_waitcnt vmcnt(1)
	v_mul_f32_e32 v85, v6, v5
	buffer_load_dword v5, off, s[28:31], 0 offset:48 ; 4-byte Folded Reload
	s_waitcnt vmcnt(1)
	v_fmac_f32_e32 v83, v2, v1
	v_lshlrev_b32_e32 v1, 16, v3
	v_and_b32_e32 v2, 0xffff0000, v3
	v_and_b32_e32 v3, 0xffff0000, v7
	s_waitcnt vmcnt(0)
	v_mul_f32_e32 v86, v5, v3
	s_clause 0x1
	buffer_load_dword v3, off, s[28:31], 0 offset:16
	buffer_load_dword v5, off, s[28:31], 0 offset:60
	s_waitcnt vmcnt(1)
	v_fmac_f32_e32 v86, v3, v2
	buffer_load_dword v2, off, s[28:31], 0 offset:20 ; 4-byte Folded Reload
	v_and_b32_e32 v3, 0xffff0000, v8
	s_waitcnt vmcnt(0)
	v_fmac_f32_e32 v85, v2, v1
	v_lshlrev_b32_e32 v1, 16, v4
	v_and_b32_e32 v2, 0xffff0000, v4
	v_lshlrev_b32_e32 v4, 16, v8
	v_mul_f32_e32 v87, v5, v4
	buffer_load_dword v4, off, s[28:31], 0 offset:56 ; 4-byte Folded Reload
	s_waitcnt vmcnt(0)
	v_mul_f32_e32 v88, v4, v3
	buffer_load_dword v3, off, s[28:31], 0 offset:24 ; 4-byte Folded Reload
	s_waitcnt vmcnt(0)
	v_fmac_f32_e32 v88, v3, v2
	buffer_load_dword v2, off, s[28:31], 0 offset:28 ; 4-byte Folded Reload
	s_waitcnt vmcnt(0)
	v_fmac_f32_e32 v87, v2, v1
	global_load_dwordx4 v[1:4], v[97:98], off offset:1024
	s_waitcnt vmcnt(0)
	v_and_b32_e32 v99, 0xffff0000, v1
	v_lshlrev_b32_e32 v100, 16, v1
	v_and_b32_e32 v101, 0xffff0000, v2
	v_lshlrev_b32_e32 v102, 16, v2
	;; [unrolled: 2-line block ×4, first 2 shown]
	global_load_dwordx4 v[1:4], v[97:98], off offset:1536
	s_waitcnt vmcnt(0)
	v_lshlrev_b32_e32 v103, 16, v1
	v_and_b32_e32 v104, 0xffff0000, v1
	v_add_co_u32 v1, s2, 0x800, v97
	v_lshlrev_b32_e32 v105, 16, v2
	v_and_b32_e32 v106, 0xffff0000, v2
	v_lshlrev_b32_e32 v95, 16, v3
	v_and_b32_e32 v96, 0xffff0000, v3
	v_add_co_ci_u32_e64 v2, null, 0, v98, s2
	v_add_co_u32 v3, s2, v97, 0x1000
	v_lshlrev_b32_e32 v91, 16, v4
	v_and_b32_e32 v92, 0xffff0000, v4
	v_add_co_ci_u32_e64 v4, null, 0, v98, s2
	s_clause 0x3
	global_load_dwordx4 v[37:40], v[3:4], off offset:-2048
	global_load_dwordx4 v[33:36], v[1:2], off offset:512
	global_load_dwordx4 v[29:32], v[1:2], off offset:1024
	;; [unrolled: 1-line block ×3, first 2 shown]
	v_add_co_u32 v1, s2, 0x1000, v97
	v_add_co_ci_u32_e64 v2, null, 0, v98, s2
	s_clause 0x3
	global_load_dwordx4 v[21:24], v[3:4], off
	global_load_dwordx4 v[17:20], v[1:2], off offset:512
	global_load_dwordx4 v[13:16], v[1:2], off offset:1024
	;; [unrolled: 1-line block ×3, first 2 shown]
	v_add_co_u32 v1, s2, 0x1800, v97
	v_add_co_ci_u32_e64 v2, null, 0, v98, s2
	s_clause 0x1
	global_load_dwordx4 v[5:8], v[1:2], off
	global_load_dwordx4 v[1:4], v[1:2], off offset:512
	s_clause 0x1
	buffer_load_dword v97, off, s[28:31], 0 offset:68
	buffer_load_dword v98, off, s[28:31], 0 offset:132
	s_waitcnt vmcnt(1)
	v_fmac_f32_e32 v81, v97, v100
	buffer_load_dword v97, off, s[28:31], 0 offset:64 ; 4-byte Folded Reload
	s_waitcnt vmcnt(0)
	v_fmac_f32_e32 v82, v97, v99
	buffer_load_dword v97, off, s[28:31], 0 offset:96 ; 4-byte Folded Reload
	;; [unrolled: 3-line block ×3, first 2 shown]
	s_waitcnt vmcnt(0)
	v_fmac_f32_e32 v81, v97, v103
	v_and_b32_e32 v97, 0xffff0000, v37
	v_lshlrev_b32_e32 v37, 16, v37
	v_fmac_f32_e32 v81, v98, v37
	buffer_load_dword v37, off, s[28:31], 0 offset:128 ; 4-byte Folded Reload
	s_waitcnt vmcnt(0)
	v_fmac_f32_e32 v82, v37, v97
	buffer_load_dword v97, off, s[28:31], 0 offset:136 ; 4-byte Folded Reload
	v_lshlrev_b32_e32 v37, 16, v33
	v_and_b32_e32 v33, 0xffff0000, v33
	s_waitcnt vmcnt(0)
	v_fmac_f32_e32 v82, v97, v33
	buffer_load_dword v33, off, s[28:31], 0 offset:140 ; 4-byte Folded Reload
	s_waitcnt vmcnt(0)
	v_fmac_f32_e32 v81, v33, v37
	buffer_load_dword v37, off, s[28:31], 0 offset:196 ; 4-byte Folded Reload
	v_and_b32_e32 v33, 0xffff0000, v29
	v_lshlrev_b32_e32 v29, 16, v29
	s_waitcnt vmcnt(0)
	v_fmac_f32_e32 v81, v37, v29
	buffer_load_dword v29, off, s[28:31], 0 offset:192 ; 4-byte Folded Reload
	s_waitcnt vmcnt(0)
	v_fmac_f32_e32 v82, v29, v33
	buffer_load_dword v33, off, s[28:31], 0 offset:224 ; 4-byte Folded Reload
	v_lshlrev_b32_e32 v29, 16, v25
	v_and_b32_e32 v25, 0xffff0000, v25
	s_waitcnt vmcnt(0)
	v_fmac_f32_e32 v82, v33, v25
	buffer_load_dword v25, off, s[28:31], 0 offset:228 ; 4-byte Folded Reload
	s_waitcnt vmcnt(0)
	v_fmac_f32_e32 v81, v25, v29
	v_and_b32_e32 v25, 0xffff0000, v21
	v_lshlrev_b32_e32 v21, 16, v21
	v_fmac_f32_e32 v82, v112, v25
	v_fmac_f32_e32 v81, v113, v21
	v_lshlrev_b32_e32 v21, 16, v17
	v_and_b32_e32 v17, 0xffff0000, v17
	v_fmac_f32_e32 v81, v121, v21
	v_fmac_f32_e32 v82, v120, v17
	v_and_b32_e32 v17, 0xffff0000, v13
	v_lshlrev_b32_e32 v13, 16, v13
	v_fmac_f32_e32 v82, v44, v17
	v_fmac_f32_e32 v81, v43, v13
	v_lshlrev_b32_e32 v13, 16, v9
	v_and_b32_e32 v9, 0xffff0000, v9
	v_fmac_f32_e32 v81, v49, v13
	v_fmac_f32_e32 v82, v48, v9
	v_and_b32_e32 v9, 0xffff0000, v5
	v_lshlrev_b32_e32 v5, 16, v5
	v_fmac_f32_e32 v82, v56, v9
	v_fmac_f32_e32 v81, v57, v5
	v_lshlrev_b32_e32 v5, 16, v1
	v_and_b32_e32 v1, 0xffff0000, v1
	buffer_load_dword v9, off, s[28:31], 0 offset:148 ; 4-byte Folded Reload
	v_fmac_f32_e32 v81, v65, v5
	v_fmac_f32_e32 v82, v64, v1
	buffer_load_dword v1, off, s[28:31], 0 offset:76 ; 4-byte Folded Reload
	v_lshlrev_b32_e32 v5, 16, v38
	s_waitcnt vmcnt(0)
	v_fmac_f32_e32 v83, v1, v102
	buffer_load_dword v1, off, s[28:31], 0 offset:72 ; 4-byte Folded Reload
	s_waitcnt vmcnt(0)
	v_fmac_f32_e32 v84, v1, v101
	buffer_load_dword v1, off, s[28:31], 0 offset:104 ; 4-byte Folded Reload
	;; [unrolled: 3-line block ×3, first 2 shown]
	s_waitcnt vmcnt(0)
	v_fmac_f32_e32 v83, v1, v105
	v_and_b32_e32 v1, 0xffff0000, v38
	v_fmac_f32_e32 v83, v9, v5
	s_clause 0x1
	buffer_load_dword v5, off, s[28:31], 0 offset:144
	buffer_load_dword v9, off, s[28:31], 0 offset:152
	s_waitcnt vmcnt(1)
	v_fmac_f32_e32 v84, v5, v1
	v_and_b32_e32 v5, 0xffff0000, v34
	v_lshlrev_b32_e32 v1, 16, v34
	s_waitcnt vmcnt(0)
	v_fmac_f32_e32 v84, v9, v5
	s_clause 0x1
	buffer_load_dword v5, off, s[28:31], 0 offset:156
	buffer_load_dword v9, off, s[28:31], 0 offset:204
	s_waitcnt vmcnt(1)
	v_fmac_f32_e32 v83, v5, v1
	v_lshlrev_b32_e32 v5, 16, v30
	v_and_b32_e32 v1, 0xffff0000, v30
	s_waitcnt vmcnt(0)
	v_fmac_f32_e32 v83, v9, v5
	s_clause 0x1
	buffer_load_dword v5, off, s[28:31], 0 offset:200
	buffer_load_dword v9, off, s[28:31], 0 offset:232
	s_waitcnt vmcnt(1)
	v_fmac_f32_e32 v84, v5, v1
	v_lshlrev_b32_e32 v1, 16, v26
	v_and_b32_e32 v5, 0xffff0000, v26
	v_fmac_f32_e32 v83, v107, v1
	s_waitcnt vmcnt(0)
	v_fmac_f32_e32 v84, v9, v5
	v_and_b32_e32 v1, 0xffff0000, v22
	v_lshlrev_b32_e32 v5, 16, v22
	v_fmac_f32_e32 v84, v114, v1
	v_fmac_f32_e32 v83, v115, v5
	v_lshlrev_b32_e32 v1, 16, v18
	v_and_b32_e32 v5, 0xffff0000, v18
	v_fmac_f32_e32 v83, v123, v1
	v_fmac_f32_e32 v84, v122, v5
	v_and_b32_e32 v1, 0xffff0000, v14
	v_lshlrev_b32_e32 v5, 16, v14
	v_fmac_f32_e32 v84, v45, v1
	v_fmac_f32_e32 v83, v68, v5
	v_lshlrev_b32_e32 v1, 16, v10
	v_and_b32_e32 v5, 0xffff0000, v10
	v_fmac_f32_e32 v83, v51, v1
	v_fmac_f32_e32 v84, v50, v5
	v_and_b32_e32 v1, 0xffff0000, v6
	v_lshlrev_b32_e32 v5, 16, v6
	v_fmac_f32_e32 v84, v58, v1
	v_fmac_f32_e32 v83, v59, v5
	v_lshlrev_b32_e32 v1, 16, v2
	v_and_b32_e32 v2, 0xffff0000, v2
	buffer_load_dword v5, off, s[28:31], 0 offset:164 ; 4-byte Folded Reload
	v_fmac_f32_e32 v83, v69, v1
	buffer_load_dword v1, off, s[28:31], 0 offset:84 ; 4-byte Folded Reload
	v_fmac_f32_e32 v84, v66, v2
	v_lshlrev_b32_e32 v2, 16, v39
	s_waitcnt vmcnt(0)
	v_fmac_f32_e32 v85, v1, v94
	buffer_load_dword v1, off, s[28:31], 0 offset:80 ; 4-byte Folded Reload
	s_waitcnt vmcnt(0)
	v_fmac_f32_e32 v86, v1, v93
	buffer_load_dword v1, off, s[28:31], 0 offset:112 ; 4-byte Folded Reload
	;; [unrolled: 3-line block ×3, first 2 shown]
	s_waitcnt vmcnt(0)
	v_fmac_f32_e32 v85, v1, v95
	v_and_b32_e32 v1, 0xffff0000, v39
	v_fmac_f32_e32 v85, v5, v2
	s_clause 0x1
	buffer_load_dword v2, off, s[28:31], 0 offset:160
	buffer_load_dword v5, off, s[28:31], 0 offset:176
	s_waitcnt vmcnt(1)
	v_fmac_f32_e32 v86, v2, v1
	v_and_b32_e32 v2, 0xffff0000, v35
	v_lshlrev_b32_e32 v1, 16, v35
	s_waitcnt vmcnt(0)
	v_fmac_f32_e32 v86, v5, v2
	s_clause 0x1
	buffer_load_dword v2, off, s[28:31], 0 offset:180
	buffer_load_dword v5, off, s[28:31], 0 offset:212
	s_waitcnt vmcnt(1)
	v_fmac_f32_e32 v85, v2, v1
	v_lshlrev_b32_e32 v2, 16, v31
	v_and_b32_e32 v1, 0xffff0000, v31
	s_waitcnt vmcnt(0)
	v_fmac_f32_e32 v85, v5, v2
	buffer_load_dword v2, off, s[28:31], 0 offset:208 ; 4-byte Folded Reload
	s_waitcnt vmcnt(0)
	v_fmac_f32_e32 v86, v2, v1
	v_lshlrev_b32_e32 v1, 16, v27
	v_and_b32_e32 v2, 0xffff0000, v27
	v_fmac_f32_e32 v85, v109, v1
	v_fmac_f32_e32 v86, v108, v2
	v_and_b32_e32 v1, 0xffff0000, v23
	v_lshlrev_b32_e32 v2, 16, v23
	v_fmac_f32_e32 v86, v116, v1
	v_fmac_f32_e32 v85, v117, v2
	v_lshlrev_b32_e32 v1, 16, v19
	v_and_b32_e32 v2, 0xffff0000, v19
	v_fmac_f32_e32 v85, v125, v1
	v_fmac_f32_e32 v86, v124, v2
	v_and_b32_e32 v1, 0xffff0000, v15
	v_lshlrev_b32_e32 v2, 16, v15
	v_fmac_f32_e32 v86, v67, v1
	;; [unrolled: 8-line block ×3, first 2 shown]
	v_fmac_f32_e32 v85, v61, v2
	v_lshlrev_b32_e32 v1, 16, v3
	v_and_b32_e32 v2, 0xffff0000, v3
	buffer_load_dword v3, off, s[28:31], 0 offset:172 ; 4-byte Folded Reload
	v_fmac_f32_e32 v85, v71, v1
	buffer_load_dword v1, off, s[28:31], 0 offset:92 ; 4-byte Folded Reload
	v_fmac_f32_e32 v86, v70, v2
	v_lshlrev_b32_e32 v2, 16, v40
	s_waitcnt vmcnt(0)
	v_fmac_f32_e32 v87, v1, v90
	buffer_load_dword v1, off, s[28:31], 0 offset:88 ; 4-byte Folded Reload
	s_waitcnt vmcnt(0)
	v_fmac_f32_e32 v88, v1, v89
	buffer_load_dword v1, off, s[28:31], 0 offset:120 ; 4-byte Folded Reload
	;; [unrolled: 3-line block ×3, first 2 shown]
	s_waitcnt vmcnt(0)
	v_fmac_f32_e32 v87, v1, v91
	v_and_b32_e32 v1, 0xffff0000, v40
	v_fmac_f32_e32 v87, v3, v2
	s_clause 0x1
	buffer_load_dword v2, off, s[28:31], 0 offset:168
	buffer_load_dword v3, off, s[28:31], 0 offset:184
	s_waitcnt vmcnt(1)
	v_fmac_f32_e32 v88, v2, v1
	v_and_b32_e32 v2, 0xffff0000, v36
	v_lshlrev_b32_e32 v1, 16, v36
	s_waitcnt vmcnt(0)
	v_fmac_f32_e32 v88, v3, v2
	s_clause 0x1
	buffer_load_dword v2, off, s[28:31], 0 offset:188
	buffer_load_dword v3, off, s[28:31], 0 offset:220
	s_waitcnt vmcnt(1)
	v_fmac_f32_e32 v87, v2, v1
	v_lshlrev_b32_e32 v2, 16, v32
	v_and_b32_e32 v1, 0xffff0000, v32
	s_waitcnt vmcnt(0)
	v_fmac_f32_e32 v87, v3, v2
	buffer_load_dword v2, off, s[28:31], 0 offset:216 ; 4-byte Folded Reload
	s_waitcnt vmcnt(0)
	v_fmac_f32_e32 v88, v2, v1
	v_lshlrev_b32_e32 v1, 16, v28
	v_and_b32_e32 v2, 0xffff0000, v28
	v_fmac_f32_e32 v87, v111, v1
	v_fmac_f32_e32 v88, v110, v2
	v_and_b32_e32 v1, 0xffff0000, v24
	v_lshlrev_b32_e32 v2, 16, v24
	v_fmac_f32_e32 v88, v118, v1
	v_fmac_f32_e32 v87, v119, v2
	v_lshlrev_b32_e32 v1, 16, v20
	v_and_b32_e32 v2, 0xffff0000, v20
	v_fmac_f32_e32 v87, v127, v1
	v_fmac_f32_e32 v88, v126, v2
	v_and_b32_e32 v1, 0xffff0000, v16
	v_lshlrev_b32_e32 v2, 16, v16
	v_fmac_f32_e32 v88, v0, v1
	;; [unrolled: 8-line block ×3, first 2 shown]
	v_fmac_f32_e32 v87, v63, v2
	v_lshlrev_b32_e32 v1, 16, v4
	v_and_b32_e32 v2, 0xffff0000, v4
	v_fmac_f32_e32 v87, v74, v1
	v_add_f32_e32 v1, v81, v82
	v_fmac_f32_e32 v88, v72, v2
	v_max_f32_e32 v2, v73, v73
	v_add_f32_e32 v1, v1, v83
	v_add_f32_e32 v1, v84, v1
	;; [unrolled: 1-line block ×6, first 2 shown]
	v_fmac_f32_e32 v80, s3, v1
	v_max_f32_e32 v2, v2, v80
	v_cndmask_b32_e64 v1, 0, v80, s1
	v_cndmask_b32_e64 v73, v73, v2, s1
	v_add_co_u32 v41, s1, v41, 16
	v_add_co_ci_u32_e64 v42, null, 0, v42, s1
	v_cmp_le_i32_e64 s1, s12, v79
	ds_write_b32 v75, v1
	v_add_nc_u32_e32 v75, 0x200, v75
	s_or_b32 s5, s1, s5
	s_andn2_b32 exec_lo, exec_lo, s5
	s_cbranch_execnz .LBB157_6
; %bb.7:
	s_or_b32 exec_lo, exec_lo, s5
	s_clause 0x5
	buffer_load_dword v98, off, s[28:31], 0 offset:236
	buffer_load_dword v99, off, s[28:31], 0 offset:240
	buffer_load_dword v100, off, s[28:31], 0 offset:244
	buffer_load_dword v10, off, s[28:31], 0 offset:248
	buffer_load_dword v25, off, s[28:31], 0 offset:252
	buffer_load_dword v26, off, s[28:31], 0 offset:256
.LBB157_8:
	s_or_b32 exec_lo, exec_lo, s25
	v_mbcnt_lo_u32_b32 v1, -1, 0
	v_max_f32_e32 v4, v73, v73
	v_xor_b32_e32 v0, 16, v1
	v_xor_b32_e32 v3, 8, v1
	v_cmp_gt_i32_e32 vcc_lo, 32, v0
	v_cndmask_b32_e32 v0, v1, v0, vcc_lo
	v_cmp_gt_i32_e32 vcc_lo, 32, v3
	v_lshlrev_b32_e32 v0, 2, v0
	v_cndmask_b32_e32 v3, v1, v3, vcc_lo
	ds_bpermute_b32 v2, v0, v73
	s_waitcnt lgkmcnt(0)
	v_max_f32_e32 v5, v2, v2
	v_lshlrev_b32_e32 v2, 2, v3
	v_max_f32_e32 v4, v4, v5
	v_xor_b32_e32 v5, 4, v1
	ds_bpermute_b32 v3, v2, v4
	v_cmp_gt_i32_e32 vcc_lo, 32, v5
	v_cndmask_b32_e32 v5, v1, v5, vcc_lo
	s_waitcnt lgkmcnt(0)
	v_max_f32_e32 v6, v3, v3
	v_lshlrev_b32_e32 v3, 2, v5
	v_max_f32_e32 v4, v4, v6
	v_xor_b32_e32 v6, 2, v1
	ds_bpermute_b32 v5, v3, v4
	v_cmp_gt_i32_e32 vcc_lo, 32, v6
	v_cndmask_b32_e32 v6, v1, v6, vcc_lo
	v_lshlrev_b32_e32 v70, 2, v6
	v_xor_b32_e32 v6, 1, v1
	v_cmp_gt_i32_e32 vcc_lo, 32, v6
	s_waitcnt lgkmcnt(0)
	v_max_f32_e32 v5, v5, v5
	v_cndmask_b32_e32 v6, v1, v6, vcc_lo
	s_waitcnt vmcnt(3)
	v_cmp_eq_u32_e32 vcc_lo, 0, v100
	v_max_f32_e32 v4, v4, v5
	v_lshlrev_b32_e32 v69, 2, v6
	ds_bpermute_b32 v5, v70, v4
	s_waitcnt lgkmcnt(0)
	v_max_f32_e32 v5, v5, v5
	v_max_f32_e32 v1, v4, v5
	v_lshlrev_b32_e32 v4, 2, v99
	ds_bpermute_b32 v5, v69, v1
	s_and_saveexec_b32 s1, vcc_lo
	s_cbranch_execz .LBB157_10
; %bb.9:
	s_waitcnt lgkmcnt(0)
	v_max_f32_e32 v5, v5, v5
	v_max_f32_e32 v1, v1, v1
	v_max_f32_e32 v1, v1, v5
	ds_write_b32 v4, v1 offset:224
.LBB157_10:
	s_or_b32 exec_lo, exec_lo, s1
	v_cmp_gt_u32_e64 s1, 4, v100
	v_mov_b32_e32 v1, 0xff7fffff
	s_waitcnt vmcnt(0) lgkmcnt(0)
	s_waitcnt_vscnt null, 0x0
	s_barrier
	buffer_gl0_inv
	s_and_saveexec_b32 s2, s1
; %bb.11:
	ds_read_b32 v1, v26 offset:224
; %bb.12:
	s_or_b32 exec_lo, exec_lo, s2
	s_waitcnt lgkmcnt(0)
	ds_bpermute_b32 v5, v70, v1
	v_max_f32_e32 v1, v1, v1
	s_lshl_b32 s2, s12, 5
	s_min_i32 s4, s2, s11
	v_cmp_gt_i32_e64 s2, s4, v98
	s_waitcnt lgkmcnt(0)
	v_max_f32_e32 v5, v5, v5
	v_max_f32_e32 v1, v1, v5
	ds_bpermute_b32 v5, v69, v1
	s_waitcnt lgkmcnt(0)
	v_max_f32_e32 v5, v5, v5
	v_max_f32_e32 v1, v1, v5
	v_mov_b32_e32 v5, 0
	ds_bpermute_b32 v6, v5, v1
	v_lshl_add_u32 v1, v98, 2, 0x100
	s_and_saveexec_b32 s5, s2
	s_cbranch_execz .LBB157_16
; %bb.13:
	v_lshl_add_u32 v7, v98, 2, 0x100
	v_mov_b32_e32 v5, 0
	v_mov_b32_e32 v8, v98
	s_mov_b32 s15, 0
	.p2align	6
.LBB157_14:                             ; =>This Inner Loop Header: Depth=1
	ds_read_b32 v9, v7
	v_add_nc_u32_e32 v8, 0x80, v8
	v_cmp_le_i32_e64 s3, s4, v8
	s_or_b32 s15, s3, s15
	s_waitcnt lgkmcnt(0)
	v_sub_f32_e32 v9, v9, v6
	v_mul_f32_e32 v9, 0x3fb8aa3b, v9
	v_exp_f32_e32 v9, v9
	ds_write_b32 v7, v9
	v_add_f32_e32 v5, v5, v9
	v_add_nc_u32_e32 v7, 0x200, v7
	s_andn2_b32 exec_lo, exec_lo, s15
	s_cbranch_execnz .LBB157_14
; %bb.15:
	s_or_b32 exec_lo, exec_lo, s15
.LBB157_16:
	s_or_b32 exec_lo, exec_lo, s5
	ds_bpermute_b32 v0, v0, v5
	s_waitcnt lgkmcnt(0)
	v_add_f32_e32 v0, v5, v0
	ds_bpermute_b32 v2, v2, v0
	s_waitcnt lgkmcnt(0)
	v_add_f32_e32 v0, v0, v2
	;; [unrolled: 3-line block ×5, first 2 shown]
	s_and_saveexec_b32 s3, vcc_lo
; %bb.17:
	ds_write_b32 v4, v0 offset:240
; %bb.18:
	s_or_b32 exec_lo, exec_lo, s3
	s_waitcnt lgkmcnt(0)
	s_barrier
	buffer_gl0_inv
	s_and_saveexec_b32 s3, s1
; %bb.19:
	ds_read_b32 v0, v26 offset:240
; %bb.20:
	s_or_b32 exec_lo, exec_lo, s3
	s_waitcnt lgkmcnt(0)
	ds_bpermute_b32 v2, v70, v0
	s_waitcnt lgkmcnt(0)
	v_add_f32_e32 v0, v0, v2
	ds_bpermute_b32 v2, v69, v0
	s_waitcnt lgkmcnt(0)
	v_add_f32_e32 v0, v0, v2
	v_mov_b32_e32 v2, 0
	ds_bpermute_b32 v0, v2, v0
	s_and_saveexec_b32 s1, s2
	s_cbranch_execz .LBB157_23
; %bb.21:
	s_waitcnt lgkmcnt(0)
	v_add_f32_e32 v0, 0x358637bd, v0
	s_mov_b32 s2, 0
	v_div_scale_f32 v2, null, v0, v0, 1.0
	v_div_scale_f32 v5, vcc_lo, 1.0, v0, 1.0
	v_rcp_f32_e32 v3, v2
	v_fma_f32 v4, -v2, v3, 1.0
	v_fmac_f32_e32 v3, v4, v3
	v_mul_f32_e32 v4, v5, v3
	v_fma_f32 v6, -v2, v4, v5
	v_fmac_f32_e32 v4, v6, v3
	v_fma_f32 v2, -v2, v4, v5
	v_div_fmas_f32 v2, v2, v3, v4
	v_div_fixup_f32 v0, v2, v0, 1.0
	v_mov_b32_e32 v2, v98
.LBB157_22:                             ; =>This Inner Loop Header: Depth=1
	ds_read_b32 v3, v1
	v_add_nc_u32_e32 v2, 0x80, v2
	v_cmp_le_i32_e32 vcc_lo, s4, v2
	s_or_b32 s2, vcc_lo, s2
	s_waitcnt lgkmcnt(0)
	v_mul_f32_e32 v3, v0, v3
	ds_write_b32 v1, v3
	v_add_nc_u32_e32 v1, 0x200, v1
	s_andn2_b32 exec_lo, exec_lo, s2
	s_cbranch_execnz .LBB157_22
.LBB157_23:
	s_or_b32 exec_lo, exec_lo, s1
	v_mov_b32_e32 v83, 0
	v_and_b32_e32 v71, 3, v98
	v_mov_b32_e32 v85, 0
	v_mov_b32_e32 v84, 0
	;; [unrolled: 1-line block ×13, first 2 shown]
	s_waitcnt lgkmcnt(0)
	s_barrier
	buffer_gl0_inv
	s_and_saveexec_b32 s3, s0
	s_cbranch_execz .LBB157_55
; %bb.24:
	v_lshlrev_b32_e32 v0, 3, v98
	s_ashr_i32 s15, s14, 31
	v_and_b32_e32 v2, 0x1f0, v10
	s_lshl_b64 s[0:1], s[14:15], 1
	v_lshlrev_b32_e32 v1, 5, v71
	v_and_b32_e32 v0, 24, v0
	s_add_u32 s0, s20, s0
	s_addc_u32 s1, s21, s1
	v_add_co_u32 v87, s0, s0, v2
	v_lshl_or_b32 v89, v99, 5, v0
	v_and_b32_e32 v0, 0x7c, v25
	v_add_co_ci_u32_e64 v88, null, s1, 0, s0
	s_lshl_b64 s[0:1], s[22:23], 2
	s_add_i32 s4, s12, -1
	v_lshl_or_b32 v1, v99, 7, v1
	s_add_u32 s0, s18, s0
	s_addc_u32 s1, s19, s1
	v_add_co_u32 v65, s0, s0, v0
	v_mov_b32_e32 v86, 0
	v_add_nc_u32_e32 v90, 0x100, v1
	v_add_co_ci_u32_e64 v66, null, s1, 0, s0
	v_mov_b32_e32 v72, 0
	v_mov_b32_e32 v73, 0
	;; [unrolled: 1-line block ×15, first 2 shown]
	s_mov_b32 s5, s13
	s_mov_b32 s14, s11
	;; [unrolled: 1-line block ×3, first 2 shown]
	s_branch .LBB157_26
.LBB157_25:                             ;   in Loop: Header=BB157_26 Depth=1
	s_or_b32 exec_lo, exec_lo, s2
	s_waitcnt lgkmcnt(1)
	v_bfe_u32 v0, v45, 16, 1
	v_bfe_u32 v67, v46, 16, 1
	v_or_b32_e32 v68, 0x400000, v45
	v_cmp_u_f32_e32 vcc_lo, v45, v45
	v_or_b32_e32 v92, 0x400000, v46
	v_add3_u32 v0, v0, v45, 0x7fff
	v_bfe_u32 v93, v47, 16, 1
	v_add3_u32 v67, v67, v46, 0x7fff
	v_bfe_u32 v94, v48, 16, 1
	v_add_nc_u32_e32 v91, 4, v91
	v_cndmask_b32_e32 v45, v0, v68, vcc_lo
	v_cmp_u_f32_e32 vcc_lo, v46, v46
	v_add3_u32 v46, v93, v47, 0x7fff
	v_add3_u32 v68, v94, v48, 0x7fff
	s_waitcnt lgkmcnt(0)
	v_bfe_u32 v93, v41, 16, 1
	v_and_b32_e32 v45, 0xffff0000, v45
	v_cndmask_b32_e32 v0, v67, v92, vcc_lo
	v_or_b32_e32 v67, 0x400000, v47
	v_cmp_u_f32_e32 vcc_lo, v47, v47
	v_or_b32_e32 v92, 0x400000, v48
	v_bfe_u32 v47, v42, 16, 1
	v_and_b32_e32 v0, 0xffff0000, v0
	v_add_co_u32 v65, s0, v65, 16
	v_cndmask_b32_e32 v46, v46, v67, vcc_lo
	v_cmp_u_f32_e32 vcc_lo, v48, v48
	v_add3_u32 v67, v93, v41, 0x7fff
	v_add3_u32 v47, v47, v42, 0x7fff
	v_bfe_u32 v93, v43, 16, 1
	v_add_nc_u32_e32 v89, 0x80, v89
	v_cndmask_b32_e32 v48, v68, v92, vcc_lo
	v_or_b32_e32 v68, 0x400000, v41
	v_cmp_u_f32_e32 vcc_lo, v41, v41
	v_or_b32_e32 v92, 0x400000, v42
	v_add3_u32 v41, v93, v43, 0x7fff
	v_or_b32_e32 v93, 0x400000, v44
	v_add_nc_u32_e32 v90, 0x200, v90
	v_cndmask_b32_e32 v67, v67, v68, vcc_lo
	v_cmp_u_f32_e32 vcc_lo, v42, v42
	s_waitcnt vmcnt(1)
	v_and_b32_e32 v68, 0xffff0000, v61
	v_lshlrev_b32_e32 v61, 16, v61
	v_add_co_ci_u32_e64 v66, null, 0, v66, s0
	v_cndmask_b32_e32 v42, v47, v92, vcc_lo
	v_bfe_u32 v47, v44, 16, 1
	v_or_b32_e32 v92, 0x400000, v43
	v_cmp_u_f32_e32 vcc_lo, v43, v43
	v_mul_f32_e32 v68, v0, v68
	v_mul_f32_e32 v61, v45, v61
	v_add3_u32 v47, v47, v44, 0x7fff
	v_and_b32_e32 v42, 0xffff0000, v42
	v_cndmask_b32_e32 v92, v41, v92, vcc_lo
	v_cmp_u_f32_e32 vcc_lo, v44, v44
	v_bfe_u32 v43, v68, 16, 1
	v_and_b32_e32 v41, 0xffff0000, v48
	v_bfe_u32 v44, v61, 16, 1
	v_or_b32_e32 v48, 0x400000, v68
	v_cndmask_b32_e32 v93, v47, v93, vcc_lo
	v_and_b32_e32 v47, 0xffff0000, v62
	v_add3_u32 v43, v43, v68, 0x7fff
	v_cmp_u_f32_e32 vcc_lo, v68, v68
	v_add3_u32 v44, v44, v61, 0x7fff
	v_or_b32_e32 v94, 0x400000, v61
	v_mul_f32_e32 v95, v41, v47
	v_and_b32_e32 v47, 0xffff0000, v46
	v_lshlrev_b32_e32 v46, 16, v62
	v_cndmask_b32_e32 v48, v43, v48, vcc_lo
	v_cmp_u_f32_e32 vcc_lo, v61, v61
	v_bfe_u32 v43, v95, 16, 1
	v_and_b32_e32 v62, 0xffff0000, v63
	v_mul_f32_e32 v46, v47, v46
	v_lshlrev_b32_e32 v63, 16, v63
	v_cndmask_b32_e32 v61, v44, v94, vcc_lo
	v_and_b32_e32 v44, 0xffff0000, v67
	v_add3_u32 v43, v43, v95, 0x7fff
	v_or_b32_e32 v67, 0x400000, v95
	v_bfe_u32 v68, v46, 16, 1
	v_mul_f32_e32 v62, v42, v62
	v_cmp_u_f32_e32 vcc_lo, v95, v95
	v_mul_f32_e32 v63, v44, v63
	v_or_b32_e32 v94, 0x400000, v46
	v_add3_u32 v68, v68, v46, 0x7fff
	v_bfe_u32 v95, v62, 16, 1
	v_cndmask_b32_e32 v67, v43, v67, vcc_lo
	v_and_b32_e32 v43, 0xffff0000, v93
	v_and_b32_e32 v93, 0xffff0000, v64
	v_cmp_u_f32_e32 vcc_lo, v46, v46
	v_bfe_u32 v96, v63, 16, 1
	v_and_b32_e32 v46, 0xffff0000, v92
	v_lshlrev_b32_e32 v64, 16, v64
	v_mul_f32_e32 v93, v43, v93
	v_cndmask_b32_e32 v68, v68, v94, vcc_lo
	v_add3_u32 v94, v95, v62, 0x7fff
	v_or_b32_e32 v95, 0x400000, v62
	v_cmp_u_f32_e32 vcc_lo, v62, v62
	v_add3_u32 v96, v96, v63, 0x7fff
	v_or_b32_e32 v92, 0x400000, v63
	v_bfe_u32 v97, v93, 16, 1
	v_mul_f32_e32 v64, v46, v64
	v_cndmask_b32_e32 v62, v94, v95, vcc_lo
	v_cmp_u_f32_e32 vcc_lo, v63, v63
	v_or_b32_e32 v94, 0x400000, v93
	v_and_b32_e32 v61, 0xffff0000, v61
	v_bfe_u32 v95, v64, 16, 1
	v_and_b32_e32 v48, 0xffff0000, v48
	v_cndmask_b32_e32 v63, v96, v92, vcc_lo
	v_add3_u32 v92, v97, v93, 0x7fff
	v_and_b32_e32 v68, 0xffff0000, v68
	v_and_b32_e32 v67, 0xffff0000, v67
	v_cmp_u_f32_e32 vcc_lo, v93, v93
	v_add3_u32 v93, v95, v64, 0x7fff
	v_add_f32_e32 v48, v61, v48
	v_and_b32_e32 v63, 0xffff0000, v63
	v_add_f32_e32 v61, v68, v67
	v_cndmask_b32_e32 v92, v92, v94, vcc_lo
	v_or_b32_e32 v94, 0x400000, v64
	v_and_b32_e32 v67, 0xffff0000, v57
	v_and_b32_e32 v62, 0xffff0000, v62
	v_cmp_u_f32_e32 vcc_lo, v64, v64
	v_add_f32_e32 v48, v61, v48
	v_lshlrev_b32_e32 v57, 16, v57
	v_mul_f32_e32 v61, v0, v67
	v_add_f32_e32 v62, v63, v62
	v_cndmask_b32_e32 v64, v93, v94, vcc_lo
	v_and_b32_e32 v93, 0xffff0000, v60
	v_mul_f32_e32 v57, v45, v57
	v_bfe_u32 v67, v61, 16, 1
	v_add_f32_e32 v48, v62, v48
	v_and_b32_e32 v63, 0xffff0000, v64
	v_and_b32_e32 v64, 0xffff0000, v92
	;; [unrolled: 1-line block ×3, first 2 shown]
	v_bfe_u32 v68, v57, 16, 1
	v_lshlrev_b32_e32 v58, 16, v58
	v_cmp_u_f32_e32 vcc_lo, v61, v61
	v_add_f32_e32 v63, v63, v64
	v_add3_u32 v64, v67, v61, 0x7fff
	v_or_b32_e32 v67, 0x400000, v61
	v_mul_f32_e32 v62, v41, v62
	v_mul_f32_e32 v58, v47, v58
	v_and_b32_e32 v92, 0xffff0000, v59
	v_lshlrev_b32_e32 v59, 16, v59
	v_cndmask_b32_e32 v61, v64, v67, vcc_lo
	v_add3_u32 v64, v68, v57, 0x7fff
	v_or_b32_e32 v67, 0x400000, v57
	v_bfe_u32 v68, v62, 16, 1
	v_cmp_u_f32_e32 vcc_lo, v57, v57
	v_mul_f32_e32 v92, v42, v92
	v_mul_f32_e32 v59, v44, v59
	v_lshlrev_b32_e32 v60, 16, v60
	v_and_b32_e32 v61, 0xffff0000, v61
	v_cndmask_b32_e32 v57, v64, v67, vcc_lo
	v_add3_u32 v64, v68, v62, 0x7fff
	v_or_b32_e32 v67, 0x400000, v62
	v_bfe_u32 v68, v58, 16, 1
	v_cmp_u_f32_e32 vcc_lo, v62, v62
	v_mul_f32_e32 v60, v46, v60
	v_or_b32_e32 v94, 0x400000, v59
	v_and_b32_e32 v57, 0xffff0000, v57
	v_add_f32_e32 v48, v63, v48
	v_cndmask_b32_e32 v62, v64, v67, vcc_lo
	v_add3_u32 v64, v68, v58, 0x7fff
	v_or_b32_e32 v67, 0x400000, v58
	v_bfe_u32 v68, v92, 16, 1
	v_cmp_u_f32_e32 vcc_lo, v58, v58
	v_and_b32_e32 v62, 0xffff0000, v62
	v_add_f32_e32 v57, v57, v61
	v_add_f32_e32 v73, v73, v48
	v_cndmask_b32_e32 v58, v64, v67, vcc_lo
	v_bfe_u32 v64, v59, 16, 1
	v_add3_u32 v67, v68, v92, 0x7fff
	v_mul_f32_e32 v68, v43, v93
	v_or_b32_e32 v93, 0x400000, v92
	v_cmp_u_f32_e32 vcc_lo, v92, v92
	v_add3_u32 v64, v64, v59, 0x7fff
	v_bfe_u32 v92, v60, 16, 1
	v_bfe_u32 v95, v68, 16, 1
	v_and_b32_e32 v58, 0xffff0000, v58
	v_cndmask_b32_e32 v67, v67, v93, vcc_lo
	v_cmp_u_f32_e32 vcc_lo, v59, v59
	v_add3_u32 v92, v92, v60, 0x7fff
	v_or_b32_e32 v93, 0x400000, v68
	v_add_f32_e32 v58, v58, v62
	v_and_b32_e32 v61, 0xffff0000, v67
	v_cndmask_b32_e32 v59, v64, v94, vcc_lo
	v_or_b32_e32 v94, 0x400000, v60
	v_cmp_u_f32_e32 vcc_lo, v60, v60
	v_add3_u32 v64, v95, v68, 0x7fff
	v_add_f32_e32 v57, v58, v57
	v_and_b32_e32 v59, 0xffff0000, v59
	v_cndmask_b32_e32 v60, v92, v94, vcc_lo
	v_cmp_u_f32_e32 vcc_lo, v68, v68
	v_add_f32_e32 v58, v59, v61
	v_and_b32_e32 v59, 0xffff0000, v53
	v_and_b32_e32 v60, 0xffff0000, v60
	v_cndmask_b32_e32 v62, v64, v93, vcc_lo
	v_lshlrev_b32_e32 v53, 16, v53
	v_add_f32_e32 v57, v58, v57
	v_mul_f32_e32 v59, v0, v59
	v_and_b32_e32 v61, 0xffff0000, v62
	v_mul_f32_e32 v53, v45, v53
	v_cmp_u_f32_e32 vcc_lo, v59, v59
	v_add_f32_e32 v58, v60, v61
	v_and_b32_e32 v60, 0xffff0000, v54
	v_bfe_u32 v61, v59, 16, 1
	v_bfe_u32 v48, v53, 16, 1
	v_lshlrev_b32_e32 v54, 16, v54
	v_add_f32_e32 v57, v58, v57
	v_mul_f32_e32 v58, v41, v60
	v_add3_u32 v60, v61, v59, 0x7fff
	v_or_b32_e32 v61, 0x400000, v59
	v_add3_u32 v48, v48, v53, 0x7fff
	v_or_b32_e32 v62, 0x400000, v53
	v_bfe_u32 v63, v58, 16, 1
	v_add_f32_e32 v74, v74, v57
	v_cndmask_b32_e32 v59, v60, v61, vcc_lo
	v_cmp_u_f32_e32 vcc_lo, v53, v53
	v_mul_f32_e32 v53, v47, v54
	v_and_b32_e32 v61, 0xffff0000, v55
	v_add3_u32 v54, v63, v58, 0x7fff
	v_or_b32_e32 v60, 0x400000, v58
	v_cndmask_b32_e32 v48, v48, v62, vcc_lo
	v_lshlrev_b32_e32 v55, 16, v55
	v_bfe_u32 v62, v53, 16, 1
	v_cmp_u_f32_e32 vcc_lo, v58, v58
	v_mul_f32_e32 v58, v42, v61
	v_or_b32_e32 v61, 0x400000, v53
	v_mul_f32_e32 v55, v44, v55
	v_and_b32_e32 v48, 0xffff0000, v48
	v_cndmask_b32_e32 v54, v54, v60, vcc_lo
	v_add3_u32 v60, v62, v53, 0x7fff
	v_and_b32_e32 v62, 0xffff0000, v56
	v_bfe_u32 v63, v58, 16, 1
	v_cmp_u_f32_e32 vcc_lo, v53, v53
	v_bfe_u32 v64, v55, 16, 1
	v_lshlrev_b32_e32 v56, 16, v56
	v_and_b32_e32 v59, 0xffff0000, v59
	v_and_b32_e32 v54, 0xffff0000, v54
	v_cndmask_b32_e32 v53, v60, v61, vcc_lo
	v_mul_f32_e32 v60, v43, v62
	v_add3_u32 v61, v63, v58, 0x7fff
	v_or_b32_e32 v62, 0x400000, v58
	v_cmp_u_f32_e32 vcc_lo, v58, v58
	v_add3_u32 v63, v64, v55, 0x7fff
	v_or_b32_e32 v64, 0x400000, v55
	v_bfe_u32 v67, v60, 16, 1
	v_and_b32_e32 v53, 0xffff0000, v53
	v_cndmask_b32_e32 v58, v61, v62, vcc_lo
	v_cmp_u_f32_e32 vcc_lo, v55, v55
	v_or_b32_e32 v62, 0x400000, v60
	v_add3_u32 v61, v67, v60, 0x7fff
	v_mul_f32_e32 v56, v46, v56
	v_add_f32_e32 v48, v48, v59
	v_cndmask_b32_e32 v55, v63, v64, vcc_lo
	v_cmp_u_f32_e32 vcc_lo, v60, v60
	v_add_f32_e32 v53, v53, v54
	v_and_b32_e32 v58, 0xffff0000, v58
	v_and_b32_e32 v54, 0xffff0000, v55
	v_and_b32_e32 v55, 0xffff0000, v49
	v_cndmask_b32_e32 v60, v61, v62, vcc_lo
	v_bfe_u32 v61, v56, 16, 1
	v_add_f32_e32 v48, v53, v48
	v_add_f32_e32 v54, v54, v58
	v_mul_f32_e32 v53, v0, v55
	v_lshlrev_b32_e32 v49, 16, v49
	v_add3_u32 v59, v61, v56, 0x7fff
	v_or_b32_e32 v61, 0x400000, v56
	v_cmp_u_f32_e32 vcc_lo, v56, v56
	v_bfe_u32 v56, v53, 16, 1
	v_add_f32_e32 v48, v54, v48
	v_mul_f32_e32 v49, v45, v49
	v_and_b32_e32 v54, 0xffff0000, v50
	v_cndmask_b32_e32 v55, v59, v61, vcc_lo
	v_add3_u32 v56, v56, v53, 0x7fff
	v_or_b32_e32 v58, 0x400000, v53
	v_bfe_u32 v59, v49, 16, 1
	v_mul_f32_e32 v54, v41, v54
	v_lshlrev_b32_e32 v50, 16, v50
	v_cmp_u_f32_e32 vcc_lo, v53, v53
	v_and_b32_e32 v61, 0xffff0000, v51
	v_lshlrev_b32_e32 v51, 16, v51
	v_and_b32_e32 v62, 0xffff0000, v52
	v_mul_f32_e32 v50, v47, v50
	v_cndmask_b32_e32 v53, v56, v58, vcc_lo
	v_add3_u32 v56, v59, v49, 0x7fff
	v_or_b32_e32 v58, 0x400000, v49
	v_bfe_u32 v59, v54, 16, 1
	v_cmp_u_f32_e32 vcc_lo, v49, v49
	v_mul_f32_e32 v61, v42, v61
	v_mul_f32_e32 v51, v44, v51
	v_lshlrev_b32_e32 v52, 16, v52
	v_and_b32_e32 v53, 0xffff0000, v53
	v_cndmask_b32_e32 v49, v56, v58, vcc_lo
	v_add3_u32 v56, v59, v54, 0x7fff
	v_or_b32_e32 v58, 0x400000, v54
	v_bfe_u32 v59, v50, 16, 1
	v_cmp_u_f32_e32 vcc_lo, v54, v54
	v_mul_f32_e32 v52, v46, v52
	v_or_b32_e32 v63, 0x400000, v51
	v_and_b32_e32 v49, 0xffff0000, v49
	v_and_b32_e32 v55, 0xffff0000, v55
	v_cndmask_b32_e32 v54, v56, v58, vcc_lo
	v_add3_u32 v56, v59, v50, 0x7fff
	v_or_b32_e32 v58, 0x400000, v50
	v_bfe_u32 v59, v61, 16, 1
	v_cmp_u_f32_e32 vcc_lo, v50, v50
	v_bfe_u32 v67, v52, 16, 1
	v_and_b32_e32 v54, 0xffff0000, v54
	v_add_f32_e32 v49, v49, v53
	v_cndmask_b32_e32 v50, v56, v58, vcc_lo
	v_bfe_u32 v56, v51, 16, 1
	v_add3_u32 v58, v59, v61, 0x7fff
	v_mul_f32_e32 v59, v43, v62
	v_or_b32_e32 v62, 0x400000, v61
	v_cmp_u_f32_e32 vcc_lo, v61, v61
	v_add3_u32 v56, v56, v51, 0x7fff
	v_add3_u32 v61, v67, v52, 0x7fff
	v_bfe_u32 v64, v59, 16, 1
	v_and_b32_e32 v50, 0xffff0000, v50
	v_cndmask_b32_e32 v58, v58, v62, vcc_lo
	v_cmp_u_f32_e32 vcc_lo, v51, v51
	v_or_b32_e32 v62, 0x400000, v52
	v_add_f32_e32 v50, v50, v54
	v_and_b32_e32 v53, 0xffff0000, v58
	v_cndmask_b32_e32 v51, v56, v63, vcc_lo
	v_cmp_u_f32_e32 vcc_lo, v52, v52
	v_add3_u32 v56, v64, v59, 0x7fff
	v_or_b32_e32 v63, 0x400000, v59
	v_add_f32_e32 v49, v50, v49
	v_and_b32_e32 v51, 0xffff0000, v51
	v_cndmask_b32_e32 v52, v61, v62, vcc_lo
	v_cmp_u_f32_e32 vcc_lo, v59, v59
	v_add_f32_e32 v50, v51, v53
	v_and_b32_e32 v51, 0xffff0000, v52
	v_cndmask_b32_e32 v54, v56, v63, vcc_lo
	v_and_b32_e32 v56, 0xffff0000, v60
	v_and_b32_e32 v53, 0xffff0000, v37
	v_lshlrev_b32_e32 v37, 16, v37
	v_add_f32_e32 v49, v50, v49
	v_and_b32_e32 v52, 0xffff0000, v54
	v_add_f32_e32 v54, v55, v56
	v_mul_f32_e32 v37, v45, v37
	v_add_f32_e32 v50, v51, v52
	v_mul_f32_e32 v51, v0, v53
	v_add_f32_e32 v48, v54, v48
	v_and_b32_e32 v52, 0xffff0000, v38
	v_or_b32_e32 v53, 0x400000, v37
	v_add_f32_e32 v49, v50, v49
	v_bfe_u32 v50, v51, 16, 1
	v_add_f32_e32 v75, v75, v48
	v_bfe_u32 v48, v37, 16, 1
	v_cmp_u_f32_e32 vcc_lo, v51, v51
	v_add_f32_e32 v76, v76, v49
	v_add3_u32 v49, v50, v51, 0x7fff
	v_or_b32_e32 v50, 0x400000, v51
	v_add3_u32 v48, v48, v37, 0x7fff
	v_mul_f32_e32 v52, v41, v52
	v_lshlrev_b32_e32 v38, 16, v38
	v_and_b32_e32 v54, 0xffff0000, v40
	v_cndmask_b32_e32 v49, v49, v50, vcc_lo
	v_cmp_u_f32_e32 vcc_lo, v37, v37
	v_bfe_u32 v50, v52, 16, 1
	v_mul_f32_e32 v38, v47, v38
	v_or_b32_e32 v51, 0x400000, v52
	v_lshlrev_b32_e32 v40, 16, v40
	v_cndmask_b32_e32 v37, v48, v53, vcc_lo
	v_and_b32_e32 v48, 0xffff0000, v39
	v_add3_u32 v50, v50, v52, 0x7fff
	v_lshlrev_b32_e32 v39, 16, v39
	v_bfe_u32 v53, v38, 16, 1
	v_cmp_u_f32_e32 vcc_lo, v52, v52
	v_mul_f32_e32 v48, v42, v48
	v_or_b32_e32 v52, 0x400000, v38
	v_mul_f32_e32 v39, v44, v39
	v_mul_f32_e32 v40, v46, v40
	v_cndmask_b32_e32 v50, v50, v51, vcc_lo
	v_add3_u32 v51, v53, v38, 0x7fff
	v_bfe_u32 v53, v48, 16, 1
	v_cmp_u_f32_e32 vcc_lo, v38, v38
	v_bfe_u32 v55, v39, 16, 1
	v_and_b32_e32 v37, 0xffff0000, v37
	v_and_b32_e32 v49, 0xffff0000, v49
	;; [unrolled: 1-line block ×3, first 2 shown]
	v_cndmask_b32_e32 v38, v51, v52, vcc_lo
	v_add3_u32 v51, v53, v48, 0x7fff
	v_mul_f32_e32 v52, v43, v54
	v_or_b32_e32 v53, 0x400000, v48
	v_cmp_u_f32_e32 vcc_lo, v48, v48
	v_add3_u32 v54, v55, v39, 0x7fff
	v_or_b32_e32 v55, 0x400000, v39
	v_bfe_u32 v56, v52, 16, 1
	v_and_b32_e32 v38, 0xffff0000, v38
	v_cndmask_b32_e32 v48, v51, v53, vcc_lo
	v_cmp_u_f32_e32 vcc_lo, v39, v39
	v_or_b32_e32 v53, 0x400000, v52
	v_add3_u32 v51, v56, v52, 0x7fff
	v_add_f32_e32 v37, v37, v49
	v_add_f32_e32 v38, v38, v50
	v_cndmask_b32_e32 v39, v54, v55, vcc_lo
	v_bfe_u32 v54, v40, 16, 1
	v_cmp_u_f32_e32 vcc_lo, v52, v52
	v_and_b32_e32 v49, 0xffff0000, v33
	v_and_b32_e32 v48, 0xffff0000, v48
	;; [unrolled: 1-line block ×3, first 2 shown]
	v_add3_u32 v52, v54, v40, 0x7fff
	v_cndmask_b32_e32 v51, v51, v53, vcc_lo
	v_or_b32_e32 v53, 0x400000, v40
	v_cmp_u_f32_e32 vcc_lo, v40, v40
	v_add_f32_e32 v37, v38, v37
	v_mul_f32_e32 v38, v0, v49
	v_add_f32_e32 v39, v39, v48
	v_lshlrev_b32_e32 v33, 16, v33
	v_cndmask_b32_e32 v40, v52, v53, vcc_lo
	v_and_b32_e32 v48, 0xffff0000, v51
	v_bfe_u32 v49, v38, 16, 1
	v_add_f32_e32 v37, v39, v37
	v_mul_f32_e32 v33, v45, v33
	v_and_b32_e32 v40, 0xffff0000, v40
	v_and_b32_e32 v39, 0xffff0000, v34
	v_lshlrev_b32_e32 v34, 16, v34
	v_cmp_u_f32_e32 vcc_lo, v38, v38
	v_bfe_u32 v50, v33, 16, 1
	v_add_f32_e32 v40, v40, v48
	v_add3_u32 v48, v49, v38, 0x7fff
	v_or_b32_e32 v49, 0x400000, v38
	v_mul_f32_e32 v39, v41, v39
	v_mul_f32_e32 v34, v47, v34
	v_and_b32_e32 v51, 0xffff0000, v35
	v_lshlrev_b32_e32 v35, 16, v35
	v_cndmask_b32_e32 v38, v48, v49, vcc_lo
	v_add3_u32 v48, v50, v33, 0x7fff
	v_or_b32_e32 v49, 0x400000, v33
	v_bfe_u32 v50, v39, 16, 1
	v_cmp_u_f32_e32 vcc_lo, v33, v33
	v_mul_f32_e32 v51, v42, v51
	v_mul_f32_e32 v35, v44, v35
	v_and_b32_e32 v52, 0xffff0000, v36
	v_lshlrev_b32_e32 v36, 16, v36
	v_cndmask_b32_e32 v33, v48, v49, vcc_lo
	v_add3_u32 v48, v50, v39, 0x7fff
	v_or_b32_e32 v49, 0x400000, v39
	v_bfe_u32 v50, v34, 16, 1
	v_cmp_u_f32_e32 vcc_lo, v39, v39
	v_mul_f32_e32 v36, v46, v36
	v_or_b32_e32 v53, 0x400000, v35
	v_and_b32_e32 v33, 0xffff0000, v33
	v_and_b32_e32 v38, 0xffff0000, v38
	v_cndmask_b32_e32 v39, v48, v49, vcc_lo
	v_add3_u32 v48, v50, v34, 0x7fff
	v_or_b32_e32 v49, 0x400000, v34
	v_bfe_u32 v50, v51, 16, 1
	v_cmp_u_f32_e32 vcc_lo, v34, v34
	v_and_b32_e32 v39, 0xffff0000, v39
	v_add_f32_e32 v33, v33, v38
	v_add_f32_e32 v37, v40, v37
	v_cndmask_b32_e32 v34, v48, v49, vcc_lo
	v_bfe_u32 v48, v35, 16, 1
	v_add3_u32 v49, v50, v51, 0x7fff
	v_mul_f32_e32 v50, v43, v52
	v_or_b32_e32 v52, 0x400000, v51
	v_cmp_u_f32_e32 vcc_lo, v51, v51
	v_add3_u32 v48, v48, v35, 0x7fff
	v_bfe_u32 v51, v36, 16, 1
	v_bfe_u32 v54, v50, 16, 1
	v_and_b32_e32 v34, 0xffff0000, v34
	v_cndmask_b32_e32 v49, v49, v52, vcc_lo
	v_cmp_u_f32_e32 vcc_lo, v35, v35
	v_add3_u32 v51, v51, v36, 0x7fff
	v_or_b32_e32 v52, 0x400000, v50
	v_add_f32_e32 v34, v34, v39
	v_and_b32_e32 v38, 0xffff0000, v49
	v_cndmask_b32_e32 v35, v48, v53, vcc_lo
	v_or_b32_e32 v53, 0x400000, v36
	v_cmp_u_f32_e32 vcc_lo, v36, v36
	v_add3_u32 v48, v54, v50, 0x7fff
	v_add_f32_e32 v33, v34, v33
	v_and_b32_e32 v35, 0xffff0000, v35
	v_add_f32_e32 v77, v77, v37
	v_cndmask_b32_e32 v36, v51, v53, vcc_lo
	v_cmp_u_f32_e32 vcc_lo, v50, v50
	v_add_f32_e32 v34, v35, v38
	v_and_b32_e32 v35, 0xffff0000, v29
	v_and_b32_e32 v36, 0xffff0000, v36
	v_cndmask_b32_e32 v39, v48, v52, vcc_lo
	v_lshlrev_b32_e32 v29, 16, v29
	v_add_f32_e32 v33, v34, v33
	v_mul_f32_e32 v35, v0, v35
	v_and_b32_e32 v38, 0xffff0000, v39
	v_mul_f32_e32 v29, v45, v29
	v_cmp_u_f32_e32 vcc_lo, v35, v35
	v_add_f32_e32 v34, v36, v38
	v_and_b32_e32 v36, 0xffff0000, v30
	v_bfe_u32 v38, v35, 16, 1
	v_bfe_u32 v37, v29, 16, 1
	v_or_b32_e32 v39, 0x400000, v29
	v_add_f32_e32 v33, v34, v33
	v_mul_f32_e32 v34, v41, v36
	v_add3_u32 v36, v38, v35, 0x7fff
	v_or_b32_e32 v38, 0x400000, v35
	v_add3_u32 v37, v37, v29, 0x7fff
	v_lshlrev_b32_e32 v30, 16, v30
	v_bfe_u32 v40, v34, 16, 1
	v_add_f32_e32 v78, v78, v33
	v_cndmask_b32_e32 v35, v36, v38, vcc_lo
	v_cmp_u_f32_e32 vcc_lo, v29, v29
	v_mul_f32_e32 v30, v47, v30
	v_add3_u32 v36, v40, v34, 0x7fff
	v_and_b32_e32 v38, 0xffff0000, v31
	v_lshlrev_b32_e32 v31, 16, v31
	v_cndmask_b32_e32 v29, v37, v39, vcc_lo
	v_or_b32_e32 v37, 0x400000, v34
	v_cmp_u_f32_e32 vcc_lo, v34, v34
	v_bfe_u32 v39, v30, 16, 1
	v_mul_f32_e32 v31, v44, v31
	v_and_b32_e32 v29, 0xffff0000, v29
	v_and_b32_e32 v35, 0xffff0000, v35
	v_cndmask_b32_e32 v34, v36, v37, vcc_lo
	v_mul_f32_e32 v36, v42, v38
	v_add3_u32 v37, v39, v30, 0x7fff
	v_or_b32_e32 v38, 0x400000, v30
	v_and_b32_e32 v39, 0xffff0000, v32
	v_cmp_u_f32_e32 vcc_lo, v30, v30
	v_bfe_u32 v40, v36, 16, 1
	v_bfe_u32 v48, v31, 16, 1
	v_lshlrev_b32_e32 v32, 16, v32
	v_and_b32_e32 v34, 0xffff0000, v34
	v_cndmask_b32_e32 v30, v37, v38, vcc_lo
	v_mul_f32_e32 v37, v43, v39
	v_add3_u32 v38, v40, v36, 0x7fff
	v_or_b32_e32 v39, 0x400000, v36
	v_cmp_u_f32_e32 vcc_lo, v36, v36
	v_add3_u32 v40, v48, v31, 0x7fff
	v_or_b32_e32 v48, 0x400000, v31
	v_bfe_u32 v49, v37, 16, 1
	v_and_b32_e32 v30, 0xffff0000, v30
	v_cndmask_b32_e32 v36, v38, v39, vcc_lo
	v_cmp_u_f32_e32 vcc_lo, v31, v31
	v_or_b32_e32 v39, 0x400000, v37
	v_add3_u32 v38, v49, v37, 0x7fff
	v_mul_f32_e32 v32, v46, v32
	v_add_f32_e32 v29, v29, v35
	v_cndmask_b32_e32 v31, v40, v48, vcc_lo
	v_cmp_u_f32_e32 vcc_lo, v37, v37
	v_add_f32_e32 v30, v30, v34
	v_and_b32_e32 v34, 0xffff0000, v25
	v_and_b32_e32 v35, 0xffff0000, v36
	;; [unrolled: 1-line block ×3, first 2 shown]
	v_cndmask_b32_e32 v37, v38, v39, vcc_lo
	v_bfe_u32 v38, v32, 16, 1
	v_add_f32_e32 v29, v30, v29
	v_mul_f32_e32 v30, v0, v34
	v_add_f32_e32 v31, v31, v35
	v_lshlrev_b32_e32 v25, 16, v25
	v_add3_u32 v36, v38, v32, 0x7fff
	v_or_b32_e32 v38, 0x400000, v32
	v_cmp_u_f32_e32 vcc_lo, v32, v32
	v_bfe_u32 v34, v30, 16, 1
	v_add_f32_e32 v29, v31, v29
	v_mul_f32_e32 v25, v45, v25
	v_and_b32_e32 v31, 0xffff0000, v26
	v_cndmask_b32_e32 v32, v36, v38, vcc_lo
	v_add3_u32 v34, v34, v30, 0x7fff
	v_or_b32_e32 v35, 0x400000, v30
	v_bfe_u32 v36, v25, 16, 1
	v_mul_f32_e32 v31, v41, v31
	v_lshlrev_b32_e32 v26, 16, v26
	v_cmp_u_f32_e32 vcc_lo, v30, v30
	v_and_b32_e32 v38, 0xffff0000, v27
	v_lshlrev_b32_e32 v27, 16, v27
	v_and_b32_e32 v39, 0xffff0000, v28
	v_mul_f32_e32 v26, v47, v26
	v_cndmask_b32_e32 v30, v34, v35, vcc_lo
	v_add3_u32 v34, v36, v25, 0x7fff
	v_or_b32_e32 v35, 0x400000, v25
	v_bfe_u32 v36, v31, 16, 1
	v_cmp_u_f32_e32 vcc_lo, v25, v25
	v_mul_f32_e32 v38, v42, v38
	v_mul_f32_e32 v27, v44, v27
	v_lshlrev_b32_e32 v28, 16, v28
	v_and_b32_e32 v30, 0xffff0000, v30
	v_cndmask_b32_e32 v25, v34, v35, vcc_lo
	v_add3_u32 v34, v36, v31, 0x7fff
	v_or_b32_e32 v35, 0x400000, v31
	v_bfe_u32 v36, v26, 16, 1
	v_cmp_u_f32_e32 vcc_lo, v31, v31
	v_mul_f32_e32 v28, v46, v28
	v_or_b32_e32 v40, 0x400000, v27
	v_and_b32_e32 v25, 0xffff0000, v25
	v_and_b32_e32 v32, 0xffff0000, v32
	v_cndmask_b32_e32 v31, v34, v35, vcc_lo
	v_add3_u32 v34, v36, v26, 0x7fff
	v_or_b32_e32 v35, 0x400000, v26
	v_bfe_u32 v36, v38, 16, 1
	v_cmp_u_f32_e32 vcc_lo, v26, v26
	v_bfe_u32 v49, v28, 16, 1
	v_and_b32_e32 v31, 0xffff0000, v31
	v_add_f32_e32 v25, v25, v30
	v_cndmask_b32_e32 v26, v34, v35, vcc_lo
	v_bfe_u32 v34, v27, 16, 1
	v_add3_u32 v35, v36, v38, 0x7fff
	v_mul_f32_e32 v36, v43, v39
	v_or_b32_e32 v39, 0x400000, v38
	v_cmp_u_f32_e32 vcc_lo, v38, v38
	v_add3_u32 v34, v34, v27, 0x7fff
	v_add3_u32 v38, v49, v28, 0x7fff
	v_bfe_u32 v48, v36, 16, 1
	v_and_b32_e32 v26, 0xffff0000, v26
	v_cndmask_b32_e32 v35, v35, v39, vcc_lo
	v_cmp_u_f32_e32 vcc_lo, v27, v27
	v_or_b32_e32 v39, 0x400000, v28
	v_add_f32_e32 v26, v26, v31
	v_and_b32_e32 v30, 0xffff0000, v35
	v_cndmask_b32_e32 v27, v34, v40, vcc_lo
	v_cmp_u_f32_e32 vcc_lo, v28, v28
	v_add3_u32 v34, v48, v36, 0x7fff
	v_or_b32_e32 v40, 0x400000, v36
	v_add_f32_e32 v25, v26, v25
	v_and_b32_e32 v27, 0xffff0000, v27
	v_cndmask_b32_e32 v28, v38, v39, vcc_lo
	v_cmp_u_f32_e32 vcc_lo, v36, v36
	v_add_f32_e32 v26, v27, v30
	v_and_b32_e32 v27, 0xffff0000, v28
	v_cndmask_b32_e32 v31, v34, v40, vcc_lo
	v_and_b32_e32 v34, 0xffff0000, v37
	v_and_b32_e32 v30, 0xffff0000, v21
	v_lshlrev_b32_e32 v21, 16, v21
	v_add_f32_e32 v25, v26, v25
	v_and_b32_e32 v28, 0xffff0000, v31
	v_add_f32_e32 v31, v32, v34
	v_mul_f32_e32 v21, v45, v21
	v_add_f32_e32 v26, v27, v28
	v_mul_f32_e32 v27, v0, v30
	v_add_f32_e32 v28, v31, v29
	v_and_b32_e32 v29, 0xffff0000, v22
	v_lshlrev_b32_e32 v22, 16, v22
	v_add_f32_e32 v25, v26, v25
	v_bfe_u32 v26, v27, 16, 1
	v_add_f32_e32 v79, v79, v28
	v_bfe_u32 v28, v21, 16, 1
	v_mul_f32_e32 v29, v41, v29
	v_add_f32_e32 v80, v80, v25
	v_add3_u32 v25, v26, v27, 0x7fff
	v_or_b32_e32 v26, 0x400000, v27
	v_cmp_u_f32_e32 vcc_lo, v27, v27
	v_add3_u32 v28, v28, v21, 0x7fff
	v_or_b32_e32 v30, 0x400000, v21
	v_mul_f32_e32 v22, v47, v22
	v_and_b32_e32 v27, 0xffff0000, v23
	v_cndmask_b32_e32 v25, v25, v26, vcc_lo
	v_bfe_u32 v26, v29, 16, 1
	v_cmp_u_f32_e32 vcc_lo, v21, v21
	v_lshlrev_b32_e32 v23, 16, v23
	v_mul_f32_e32 v27, v42, v27
	v_and_b32_e32 v31, 0xffff0000, v24
	v_add3_u32 v26, v26, v29, 0x7fff
	v_cndmask_b32_e32 v21, v28, v30, vcc_lo
	v_or_b32_e32 v28, 0x400000, v29
	v_bfe_u32 v30, v22, 16, 1
	v_cmp_u_f32_e32 vcc_lo, v29, v29
	v_mul_f32_e32 v23, v44, v23
	v_or_b32_e32 v29, 0x400000, v22
	v_lshlrev_b32_e32 v24, 16, v24
	v_and_b32_e32 v21, 0xffff0000, v21
	v_cndmask_b32_e32 v26, v26, v28, vcc_lo
	v_add3_u32 v28, v30, v22, 0x7fff
	v_bfe_u32 v30, v27, 16, 1
	v_cmp_u_f32_e32 vcc_lo, v22, v22
	v_bfe_u32 v32, v23, 16, 1
	v_mul_f32_e32 v24, v46, v24
	v_and_b32_e32 v25, 0xffff0000, v25
	v_and_b32_e32 v26, 0xffff0000, v26
	v_cndmask_b32_e32 v22, v28, v29, vcc_lo
	v_add3_u32 v28, v30, v27, 0x7fff
	v_mul_f32_e32 v29, v43, v31
	v_or_b32_e32 v30, 0x400000, v27
	v_cmp_u_f32_e32 vcc_lo, v27, v27
	v_add3_u32 v31, v32, v23, 0x7fff
	v_or_b32_e32 v32, 0x400000, v23
	v_bfe_u32 v33, v29, 16, 1
	v_and_b32_e32 v22, 0xffff0000, v22
	v_cndmask_b32_e32 v27, v28, v30, vcc_lo
	v_cmp_u_f32_e32 vcc_lo, v23, v23
	v_or_b32_e32 v30, 0x400000, v29
	v_add3_u32 v28, v33, v29, 0x7fff
	v_add_f32_e32 v21, v21, v25
	v_add_f32_e32 v22, v22, v26
	v_cndmask_b32_e32 v23, v31, v32, vcc_lo
	v_bfe_u32 v31, v24, 16, 1
	v_cmp_u_f32_e32 vcc_lo, v29, v29
	v_and_b32_e32 v26, 0xffff0000, v13
	v_and_b32_e32 v25, 0xffff0000, v27
	;; [unrolled: 1-line block ×3, first 2 shown]
	v_add3_u32 v29, v31, v24, 0x7fff
	v_cndmask_b32_e32 v28, v28, v30, vcc_lo
	v_or_b32_e32 v30, 0x400000, v24
	v_cmp_u_f32_e32 vcc_lo, v24, v24
	v_lshlrev_b32_e32 v13, 16, v13
	v_add_f32_e32 v21, v22, v21
	v_mul_f32_e32 v22, v0, v26
	v_add_f32_e32 v23, v23, v25
	v_cndmask_b32_e32 v24, v29, v30, vcc_lo
	v_mul_f32_e32 v13, v45, v13
	v_and_b32_e32 v25, 0xffff0000, v28
	v_bfe_u32 v26, v22, 16, 1
	v_add_f32_e32 v21, v23, v21
	v_and_b32_e32 v24, 0xffff0000, v24
	v_bfe_u32 v23, v13, 16, 1
	v_and_b32_e32 v27, 0xffff0000, v14
	v_cmp_u_f32_e32 vcc_lo, v22, v22
	v_or_b32_e32 v28, 0x400000, v13
	v_add_f32_e32 v24, v24, v25
	v_add3_u32 v25, v26, v22, 0x7fff
	v_or_b32_e32 v26, 0x400000, v22
	v_add3_u32 v23, v23, v13, 0x7fff
	v_mul_f32_e32 v27, v41, v27
	v_lshlrev_b32_e32 v14, 16, v14
	v_and_b32_e32 v29, 0xffff0000, v16
	v_cndmask_b32_e32 v22, v25, v26, vcc_lo
	v_cmp_u_f32_e32 vcc_lo, v13, v13
	v_bfe_u32 v25, v27, 16, 1
	v_mul_f32_e32 v14, v47, v14
	v_or_b32_e32 v26, 0x400000, v27
	v_lshlrev_b32_e32 v16, 16, v16
	v_cndmask_b32_e32 v13, v23, v28, vcc_lo
	v_and_b32_e32 v23, 0xffff0000, v15
	v_add3_u32 v25, v25, v27, 0x7fff
	v_lshlrev_b32_e32 v15, 16, v15
	v_bfe_u32 v28, v14, 16, 1
	v_cmp_u_f32_e32 vcc_lo, v27, v27
	v_mul_f32_e32 v23, v42, v23
	v_or_b32_e32 v27, 0x400000, v14
	v_mul_f32_e32 v15, v44, v15
	v_mul_f32_e32 v16, v46, v16
	v_cndmask_b32_e32 v25, v25, v26, vcc_lo
	v_add3_u32 v26, v28, v14, 0x7fff
	v_bfe_u32 v28, v23, 16, 1
	v_cmp_u_f32_e32 vcc_lo, v14, v14
	v_bfe_u32 v30, v15, 16, 1
	v_and_b32_e32 v13, 0xffff0000, v13
	v_and_b32_e32 v22, 0xffff0000, v22
	;; [unrolled: 1-line block ×3, first 2 shown]
	v_cndmask_b32_e32 v14, v26, v27, vcc_lo
	v_add3_u32 v26, v28, v23, 0x7fff
	v_mul_f32_e32 v27, v43, v29
	v_or_b32_e32 v28, 0x400000, v23
	v_cmp_u_f32_e32 vcc_lo, v23, v23
	v_add3_u32 v29, v30, v15, 0x7fff
	v_or_b32_e32 v30, 0x400000, v15
	v_bfe_u32 v31, v27, 16, 1
	v_and_b32_e32 v14, 0xffff0000, v14
	v_cndmask_b32_e32 v23, v26, v28, vcc_lo
	v_cmp_u_f32_e32 vcc_lo, v15, v15
	v_or_b32_e32 v28, 0x400000, v27
	v_add3_u32 v26, v31, v27, 0x7fff
	v_add_f32_e32 v13, v13, v22
	v_add_f32_e32 v14, v14, v25
	v_cndmask_b32_e32 v15, v29, v30, vcc_lo
	v_bfe_u32 v29, v16, 16, 1
	v_cmp_u_f32_e32 vcc_lo, v27, v27
	v_and_b32_e32 v22, 0xffff0000, v23
	v_add_f32_e32 v13, v14, v13
	v_and_b32_e32 v15, 0xffff0000, v15
	v_add3_u32 v27, v29, v16, 0x7fff
	v_cndmask_b32_e32 v26, v26, v28, vcc_lo
	v_or_b32_e32 v28, 0x400000, v16
	v_cmp_u_f32_e32 vcc_lo, v16, v16
	v_and_b32_e32 v14, 0xffff0000, v9
	v_add_f32_e32 v15, v15, v22
	v_lshlrev_b32_e32 v9, 16, v9
	v_and_b32_e32 v22, 0xffff0000, v26
	v_cndmask_b32_e32 v16, v27, v28, vcc_lo
	v_mul_f32_e32 v14, v0, v14
	v_add_f32_e32 v21, v24, v21
	v_mul_f32_e32 v23, v45, v9
	v_add_f32_e32 v9, v15, v13
	v_and_b32_e32 v16, 0xffff0000, v16
	v_bfe_u32 v15, v14, 16, 1
	v_add_f32_e32 v81, v81, v21
	v_and_b32_e32 v21, 0xffff0000, v10
	v_cmp_u_f32_e32 vcc_lo, v14, v14
	v_add_f32_e32 v13, v16, v22
	v_bfe_u32 v16, v23, 16, 1
	v_or_b32_e32 v22, 0x400000, v23
	v_mul_f32_e32 v21, v41, v21
	v_lshlrev_b32_e32 v10, 16, v10
	v_add_f32_e32 v9, v13, v9
	v_add3_u32 v13, v15, v14, 0x7fff
	v_or_b32_e32 v15, 0x400000, v14
	v_add3_u32 v16, v16, v23, 0x7fff
	v_bfe_u32 v14, v21, 16, 1
	v_mul_f32_e32 v10, v47, v10
	v_and_b32_e32 v24, 0xffff0000, v12
	v_cndmask_b32_e32 v13, v13, v15, vcc_lo
	v_cmp_u_f32_e32 vcc_lo, v23, v23
	v_add3_u32 v14, v14, v21, 0x7fff
	v_bfe_u32 v23, v10, 16, 1
	v_lshlrev_b32_e32 v12, 16, v12
	v_and_b32_e32 v13, 0xffff0000, v13
	v_cndmask_b32_e32 v15, v16, v22, vcc_lo
	v_and_b32_e32 v16, 0xffff0000, v11
	v_or_b32_e32 v22, 0x400000, v21
	v_lshlrev_b32_e32 v11, 16, v11
	v_cmp_u_f32_e32 vcc_lo, v21, v21
	v_add3_u32 v21, v23, v10, 0x7fff
	v_mul_f32_e32 v16, v42, v16
	v_mul_f32_e32 v12, v46, v12
	;; [unrolled: 1-line block ×3, first 2 shown]
	v_cndmask_b32_e32 v14, v14, v22, vcc_lo
	v_or_b32_e32 v22, 0x400000, v10
	v_bfe_u32 v23, v16, 16, 1
	v_cmp_u_f32_e32 vcc_lo, v10, v10
	v_bfe_u32 v25, v11, 16, 1
	v_and_b32_e32 v15, 0xffff0000, v15
	v_and_b32_e32 v14, 0xffff0000, v14
	v_add_f32_e32 v82, v82, v9
	v_cndmask_b32_e32 v10, v21, v22, vcc_lo
	v_add3_u32 v21, v23, v16, 0x7fff
	v_mul_f32_e32 v22, v43, v24
	v_or_b32_e32 v23, 0x400000, v16
	v_cmp_u_f32_e32 vcc_lo, v16, v16
	v_add3_u32 v24, v25, v11, 0x7fff
	v_or_b32_e32 v25, 0x400000, v11
	v_bfe_u32 v26, v22, 16, 1
	v_and_b32_e32 v10, 0xffff0000, v10
	v_cndmask_b32_e32 v16, v21, v23, vcc_lo
	v_cmp_u_f32_e32 vcc_lo, v11, v11
	v_or_b32_e32 v23, 0x400000, v22
	v_add3_u32 v21, v26, v22, 0x7fff
	v_add_f32_e32 v13, v15, v13
	v_add_f32_e32 v10, v10, v14
	v_cndmask_b32_e32 v11, v24, v25, vcc_lo
	v_bfe_u32 v24, v12, 16, 1
	v_cmp_u_f32_e32 vcc_lo, v22, v22
	v_and_b32_e32 v15, 0xffff0000, v5
	v_and_b32_e32 v14, 0xffff0000, v16
	;; [unrolled: 1-line block ×3, first 2 shown]
	v_add3_u32 v22, v24, v12, 0x7fff
	v_cndmask_b32_e32 v21, v21, v23, vcc_lo
	v_or_b32_e32 v23, 0x400000, v12
	v_cmp_u_f32_e32 vcc_lo, v12, v12
	v_lshlrev_b32_e32 v5, 16, v5
	v_add_f32_e32 v10, v10, v13
	v_mul_f32_e32 v13, v0, v15
	v_add_f32_e32 v11, v11, v14
	v_cndmask_b32_e32 v12, v22, v23, vcc_lo
	v_mul_f32_e32 v14, v45, v5
	v_and_b32_e32 v15, 0xffff0000, v21
	v_and_b32_e32 v16, 0xffff0000, v6
	v_bfe_u32 v21, v13, 16, 1
	v_and_b32_e32 v12, 0xffff0000, v12
	v_add_f32_e32 v5, v11, v10
	v_bfe_u32 v11, v14, 16, 1
	v_cmp_u_f32_e32 vcc_lo, v13, v13
	v_lshlrev_b32_e32 v6, 16, v6
	v_add_f32_e32 v10, v12, v15
	v_mul_f32_e32 v12, v41, v16
	v_add3_u32 v15, v21, v13, 0x7fff
	v_or_b32_e32 v16, 0x400000, v13
	v_add3_u32 v11, v11, v14, 0x7fff
	v_or_b32_e32 v21, 0x400000, v14
	v_bfe_u32 v22, v12, 16, 1
	v_mul_f32_e32 v6, v47, v6
	v_cndmask_b32_e32 v13, v15, v16, vcc_lo
	v_cmp_u_f32_e32 vcc_lo, v14, v14
	v_or_b32_e32 v15, 0x400000, v12
	v_add3_u32 v14, v22, v12, 0x7fff
	v_and_b32_e32 v16, 0xffff0000, v7
	v_lshlrev_b32_e32 v7, 16, v7
	v_cndmask_b32_e32 v11, v11, v21, vcc_lo
	v_cmp_u_f32_e32 vcc_lo, v12, v12
	v_bfe_u32 v21, v6, 16, 1
	v_and_b32_e32 v13, 0xffff0000, v13
	v_mul_f32_e32 v7, v44, v7
	v_and_b32_e32 v11, 0xffff0000, v11
	v_cndmask_b32_e32 v12, v14, v15, vcc_lo
	v_mul_f32_e32 v14, v42, v16
	v_add3_u32 v15, v21, v6, 0x7fff
	v_or_b32_e32 v16, 0x400000, v6
	v_and_b32_e32 v21, 0xffff0000, v8
	v_cmp_u_f32_e32 vcc_lo, v6, v6
	v_bfe_u32 v22, v14, 16, 1
	v_bfe_u32 v23, v7, 16, 1
	v_lshlrev_b32_e32 v8, 16, v8
	v_and_b32_e32 v12, 0xffff0000, v12
	v_cndmask_b32_e32 v6, v15, v16, vcc_lo
	v_mul_f32_e32 v15, v43, v21
	v_add3_u32 v16, v22, v14, 0x7fff
	v_or_b32_e32 v21, 0x400000, v14
	v_cmp_u_f32_e32 vcc_lo, v14, v14
	v_add3_u32 v22, v23, v7, 0x7fff
	v_or_b32_e32 v23, 0x400000, v7
	v_bfe_u32 v24, v15, 16, 1
	v_and_b32_e32 v6, 0xffff0000, v6
	v_cndmask_b32_e32 v14, v16, v21, vcc_lo
	v_cmp_u_f32_e32 vcc_lo, v7, v7
	v_or_b32_e32 v21, 0x400000, v15
	v_add3_u32 v16, v24, v15, 0x7fff
	v_mul_f32_e32 v8, v46, v8
	v_add_f32_e32 v11, v11, v13
	v_cndmask_b32_e32 v7, v22, v23, vcc_lo
	v_cmp_u_f32_e32 vcc_lo, v15, v15
	v_add_f32_e32 v6, v6, v12
	v_and_b32_e32 v12, 0xffff0000, v1
	v_and_b32_e32 v13, 0xffff0000, v14
	;; [unrolled: 1-line block ×3, first 2 shown]
	v_cndmask_b32_e32 v15, v16, v21, vcc_lo
	v_bfe_u32 v16, v8, 16, 1
	v_add_f32_e32 v6, v6, v11
	v_mul_f32_e32 v11, v0, v12
	v_add_f32_e32 v7, v7, v13
	v_lshlrev_b32_e32 v1, 16, v1
	v_add3_u32 v14, v16, v8, 0x7fff
	v_or_b32_e32 v16, 0x400000, v8
	v_cmp_u_f32_e32 vcc_lo, v8, v8
	v_bfe_u32 v12, v11, 16, 1
	v_add_f32_e32 v6, v7, v6
	v_and_b32_e32 v7, 0xffff0000, v2
	v_mul_f32_e32 v1, v45, v1
	v_cndmask_b32_e32 v8, v14, v16, vcc_lo
	v_add3_u32 v12, v12, v11, 0x7fff
	v_or_b32_e32 v13, 0x400000, v11
	v_mul_f32_e32 v7, v41, v7
	v_and_b32_e32 v14, 0xffff0000, v15
	v_bfe_u32 v15, v1, 16, 1
	v_cmp_u_f32_e32 vcc_lo, v11, v11
	v_lshlrev_b32_e32 v2, 16, v2
	v_or_b32_e32 v16, 0x400000, v1
	v_or_b32_e32 v21, 0x400000, v7
	v_and_b32_e32 v8, 0xffff0000, v8
	v_cndmask_b32_e32 v11, v12, v13, vcc_lo
	v_bfe_u32 v12, v7, 16, 1
	v_add3_u32 v13, v15, v1, 0x7fff
	v_and_b32_e32 v15, 0xffff0000, v3
	v_mul_f32_e32 v2, v47, v2
	v_cmp_u_f32_e32 vcc_lo, v1, v1
	v_add3_u32 v12, v12, v7, 0x7fff
	v_lshlrev_b32_e32 v3, 16, v3
	v_mul_f32_e32 v15, v42, v15
	v_and_b32_e32 v11, 0xffff0000, v11
	v_cndmask_b32_e32 v1, v13, v16, vcc_lo
	v_bfe_u32 v13, v2, 16, 1
	v_cmp_u_f32_e32 vcc_lo, v7, v7
	v_and_b32_e32 v16, 0xffff0000, v4
	v_mul_f32_e32 v3, v44, v3
	v_or_b32_e32 v22, 0x400000, v15
	v_add3_u32 v13, v13, v2, 0x7fff
	v_cndmask_b32_e32 v7, v12, v21, vcc_lo
	v_bfe_u32 v12, v15, 16, 1
	v_or_b32_e32 v21, 0x400000, v2
	v_cmp_u_f32_e32 vcc_lo, v2, v2
	v_mul_f32_e32 v16, v43, v16
	v_lshlrev_b32_e32 v4, 16, v4
	v_add3_u32 v12, v12, v15, 0x7fff
	v_and_b32_e32 v1, 0xffff0000, v1
	v_cndmask_b32_e32 v2, v13, v21, vcc_lo
	v_bfe_u32 v13, v3, 16, 1
	v_cmp_u_f32_e32 vcc_lo, v15, v15
	v_bfe_u32 v21, v16, 16, 1
	v_or_b32_e32 v15, 0x400000, v3
	v_mul_f32_e32 v4, v46, v4
	v_add3_u32 v13, v13, v3, 0x7fff
	v_cndmask_b32_e32 v12, v12, v22, vcc_lo
	v_cmp_u_f32_e32 vcc_lo, v3, v3
	v_add3_u32 v21, v21, v16, 0x7fff
	v_or_b32_e32 v22, 0x400000, v16
	v_and_b32_e32 v2, 0xffff0000, v2
	v_and_b32_e32 v7, 0xffff0000, v7
	v_cndmask_b32_e32 v3, v13, v15, vcc_lo
	v_cmp_u_f32_e32 vcc_lo, v16, v16
	v_bfe_u32 v15, v4, 16, 1
	v_add_f32_e32 v1, v1, v11
	v_add_f32_e32 v2, v2, v7
	v_and_b32_e32 v3, 0xffff0000, v3
	v_cndmask_b32_e32 v13, v21, v22, vcc_lo
	s_waitcnt vmcnt(0)
	v_lshlrev_b32_e32 v21, 16, v17
	v_and_b32_e32 v7, 0xffff0000, v12
	v_and_b32_e32 v12, 0xffff0000, v17
	v_add3_u32 v15, v15, v4, 0x7fff
	v_or_b32_e32 v16, 0x400000, v4
	v_mul_f32_e32 v11, v45, v21
	v_cmp_u_f32_e32 vcc_lo, v4, v4
	v_add_f32_e32 v1, v2, v1
	v_add_f32_e32 v3, v3, v7
	v_mul_f32_e32 v0, v0, v12
	v_bfe_u32 v2, v11, 16, 1
	v_lshlrev_b32_e32 v7, 16, v18
	v_cndmask_b32_e32 v4, v15, v16, vcc_lo
	v_or_b32_e32 v12, 0x400000, v11
	v_bfe_u32 v15, v0, 16, 1
	v_add3_u32 v2, v2, v11, 0x7fff
	v_mul_f32_e32 v7, v47, v7
	v_and_b32_e32 v16, 0xffff0000, v18
	v_cmp_u_f32_e32 vcc_lo, v11, v11
	v_add3_u32 v11, v15, v0, 0x7fff
	v_lshlrev_b32_e32 v17, 16, v19
	v_bfe_u32 v15, v7, 16, 1
	v_mul_f32_e32 v16, v41, v16
	v_cndmask_b32_e32 v2, v2, v12, vcc_lo
	v_or_b32_e32 v12, 0x400000, v0
	v_cmp_u_f32_e32 vcc_lo, v0, v0
	v_mul_f32_e32 v17, v44, v17
	v_and_b32_e32 v18, 0xffff0000, v19
	v_lshlrev_b32_e32 v19, 16, v20
	v_and_b32_e32 v20, 0xffff0000, v20
	v_cndmask_b32_e32 v0, v11, v12, vcc_lo
	v_add3_u32 v11, v15, v7, 0x7fff
	v_or_b32_e32 v12, 0x400000, v7
	v_bfe_u32 v15, v16, 16, 1
	v_cmp_u_f32_e32 vcc_lo, v7, v7
	v_mul_f32_e32 v18, v42, v18
	v_and_b32_e32 v0, 0xffff0000, v0
	v_and_b32_e32 v2, 0xffff0000, v2
	;; [unrolled: 1-line block ×3, first 2 shown]
	v_cndmask_b32_e32 v7, v11, v12, vcc_lo
	v_add3_u32 v11, v15, v16, 0x7fff
	v_or_b32_e32 v12, 0x400000, v16
	v_bfe_u32 v15, v17, 16, 1
	v_cmp_u_f32_e32 vcc_lo, v16, v16
	v_mul_f32_e32 v16, v46, v19
	v_mul_f32_e32 v19, v43, v20
	v_or_b32_e32 v20, 0x400000, v17
	v_add3_u32 v15, v15, v17, 0x7fff
	v_cndmask_b32_e32 v11, v11, v12, vcc_lo
	v_bfe_u32 v12, v18, 16, 1
	v_cmp_u_f32_e32 vcc_lo, v17, v17
	v_or_b32_e32 v21, 0x400000, v18
	v_bfe_u32 v23, v19, 16, 1
	v_bfe_u32 v22, v16, 16, 1
	v_add3_u32 v12, v12, v18, 0x7fff
	v_cndmask_b32_e32 v15, v15, v20, vcc_lo
	v_cmp_u_f32_e32 vcc_lo, v18, v18
	v_add3_u32 v18, v23, v19, 0x7fff
	v_or_b32_e32 v20, 0x400000, v19
	v_add3_u32 v17, v22, v16, 0x7fff
	v_and_b32_e32 v11, 0xffff0000, v11
	v_cndmask_b32_e32 v12, v12, v21, vcc_lo
	v_cmp_u_f32_e32 vcc_lo, v19, v19
	v_and_b32_e32 v7, 0xffff0000, v7
	v_or_b32_e32 v21, 0x400000, v16
	v_add_f32_e32 v0, v2, v0
	v_and_b32_e32 v13, 0xffff0000, v13
	v_cndmask_b32_e32 v18, v18, v20, vcc_lo
	v_cmp_u_f32_e32 vcc_lo, v16, v16
	v_add_f32_e32 v2, v7, v11
	v_and_b32_e32 v7, 0xffff0000, v12
	v_and_b32_e32 v11, 0xffff0000, v15
	v_add_f32_e32 v8, v8, v14
	v_cndmask_b32_e32 v12, v17, v21, vcc_lo
	v_add_f32_e32 v0, v2, v0
	v_add_f32_e32 v1, v3, v1
	;; [unrolled: 1-line block ×3, first 2 shown]
	v_and_b32_e32 v7, 0xffff0000, v18
	v_and_b32_e32 v11, 0xffff0000, v12
	v_add_f32_e32 v3, v4, v13
	v_add_f32_e32 v4, v10, v5
	;; [unrolled: 1-line block ×6, first 2 shown]
	v_cmp_le_i32_e32 vcc_lo, s12, v91
	v_add_f32_e32 v84, v84, v4
	v_add_f32_e32 v85, v85, v5
	;; [unrolled: 1-line block ×4, first 2 shown]
	s_or_b32 s13, vcc_lo, s13
	v_add_f32_e32 v72, v72, v0
	s_andn2_b32 exec_lo, exec_lo, s13
	s_cbranch_execz .LBB157_54
.LBB157_26:                             ; =>This Inner Loop Header: Depth=1
	global_load_dword v0, v[65:66], off
	v_cmp_eq_u32_e64 s0, s4, v91
	v_add_nc_u32_e32 v95, 1, v89
	v_or_b32_e32 v93, 3, v89
	v_or_b32_e32 v94, 2, v89
	;; [unrolled: 1-line block ×5, first 2 shown]
	s_waitcnt vmcnt(0)
	v_mad_i64_i32 v[0:1], null, v0, s5, 0
	v_lshlrev_b64 v[0:1], 1, v[0:1]
	v_add_co_u32 v17, vcc_lo, v87, v0
	v_add_co_ci_u32_e64 v18, null, v88, v1, vcc_lo
	v_or_b32_e32 v0, 6, v89
	global_load_dwordx4 v[1:4], v[17:18], off
	ds_read2_b64 v[45:48], v90 offset1:1
	ds_read2_b64 v[41:44], v90 offset0:2 offset1:3
	s_and_saveexec_b32 s15, s0
	s_cbranch_execnz .LBB157_45
; %bb.27:                               ;   in Loop: Header=BB157_26 Depth=1
	s_or_b32 exec_lo, exec_lo, s15
	global_load_dwordx4 v[5:8], v[17:18], off offset:512
	s_and_saveexec_b32 s15, s0
	s_cbranch_execnz .LBB157_46
.LBB157_28:                             ;   in Loop: Header=BB157_26 Depth=1
	s_or_b32 exec_lo, exec_lo, s15
	global_load_dwordx4 v[9:12], v[17:18], off offset:1024
	s_and_saveexec_b32 s15, s0
	s_cbranch_execnz .LBB157_47
.LBB157_29:                             ;   in Loop: Header=BB157_26 Depth=1
	s_or_b32 exec_lo, exec_lo, s15
	global_load_dwordx4 v[13:16], v[17:18], off offset:1536
	s_and_saveexec_b32 s15, s0
	s_cbranch_execz .LBB157_31
.LBB157_30:                             ;   in Loop: Header=BB157_26 Depth=1
	v_cmp_gt_i32_e64 s1, s11, v89
	v_cmp_gt_i32_e32 vcc_lo, s14, v95
	v_cmp_gt_i32_e64 s2, s11, v94
	s_waitcnt vmcnt(0)
	v_cndmask_b32_e64 v19, 0, v13, s1
	v_cmp_gt_i32_e64 s1, s14, v93
	v_cndmask_b32_sdwa v13, v86, v13, vcc_lo dst_sel:DWORD dst_unused:UNUSED_PAD src0_sel:DWORD src1_sel:WORD_1
	v_cndmask_b32_e64 v20, 0, v14, s2
	v_cmp_gt_i32_e64 s2, s14, v92
	s_mov_b32 vcc_lo, s1
	v_cmp_gt_i32_e64 s1, s14, v67
	v_cndmask_b32_sdwa v14, v86, v14, vcc_lo dst_sel:DWORD dst_unused:UNUSED_PAD src0_sel:DWORD src1_sel:WORD_1
	v_cmp_gt_i32_e32 vcc_lo, s11, v68
	v_perm_b32 v13, v13, v19, 0x5040100
	v_perm_b32 v14, v14, v20, 0x5040100
	v_cndmask_b32_e32 v21, 0, v15, vcc_lo
	s_mov_b32 vcc_lo, s2
	v_cndmask_b32_sdwa v15, v86, v15, vcc_lo dst_sel:DWORD dst_unused:UNUSED_PAD src0_sel:DWORD src1_sel:WORD_1
	v_cmp_gt_i32_e32 vcc_lo, s11, v0
	v_perm_b32 v15, v15, v21, 0x5040100
	v_cndmask_b32_e32 v22, 0, v16, vcc_lo
	s_mov_b32 vcc_lo, s1
	v_cndmask_b32_sdwa v16, v86, v16, vcc_lo dst_sel:DWORD dst_unused:UNUSED_PAD src0_sel:DWORD src1_sel:WORD_1
	v_perm_b32 v16, v16, v22, 0x5040100
.LBB157_31:                             ;   in Loop: Header=BB157_26 Depth=1
	s_or_b32 exec_lo, exec_lo, s15
	v_add_co_u32 v19, vcc_lo, 0x800, v17
	v_add_co_ci_u32_e64 v20, null, 0, v18, vcc_lo
	global_load_dwordx4 v[21:24], v[19:20], off
	s_and_saveexec_b32 s15, s0
	s_cbranch_execnz .LBB157_48
; %bb.32:                               ;   in Loop: Header=BB157_26 Depth=1
	s_or_b32 exec_lo, exec_lo, s15
	global_load_dwordx4 v[25:28], v[19:20], off offset:512
	s_and_saveexec_b32 s15, s0
	s_cbranch_execnz .LBB157_49
.LBB157_33:                             ;   in Loop: Header=BB157_26 Depth=1
	s_or_b32 exec_lo, exec_lo, s15
	global_load_dwordx4 v[29:32], v[19:20], off offset:1024
	s_and_saveexec_b32 s15, s0
	s_cbranch_execnz .LBB157_50
.LBB157_34:                             ;   in Loop: Header=BB157_26 Depth=1
	s_or_b32 exec_lo, exec_lo, s15
	global_load_dwordx4 v[33:36], v[19:20], off offset:1536
	s_and_saveexec_b32 s15, s0
	s_cbranch_execz .LBB157_36
.LBB157_35:                             ;   in Loop: Header=BB157_26 Depth=1
	v_cmp_gt_i32_e64 s1, s11, v89
	v_cmp_gt_i32_e32 vcc_lo, s14, v95
	v_cmp_gt_i32_e64 s2, s11, v94
	s_waitcnt vmcnt(0)
	v_cndmask_b32_e64 v19, 0, v33, s1
	v_cmp_gt_i32_e64 s1, s14, v93
	v_cndmask_b32_sdwa v33, v86, v33, vcc_lo dst_sel:DWORD dst_unused:UNUSED_PAD src0_sel:DWORD src1_sel:WORD_1
	v_cndmask_b32_e64 v20, 0, v34, s2
	v_cmp_gt_i32_e64 s2, s14, v92
	s_mov_b32 vcc_lo, s1
	v_cmp_gt_i32_e64 s1, s14, v67
	v_cndmask_b32_sdwa v34, v86, v34, vcc_lo dst_sel:DWORD dst_unused:UNUSED_PAD src0_sel:DWORD src1_sel:WORD_1
	v_cmp_gt_i32_e32 vcc_lo, s11, v68
	v_perm_b32 v33, v33, v19, 0x5040100
	v_perm_b32 v34, v34, v20, 0x5040100
	v_cndmask_b32_e32 v37, 0, v35, vcc_lo
	s_mov_b32 vcc_lo, s2
	v_cndmask_b32_sdwa v35, v86, v35, vcc_lo dst_sel:DWORD dst_unused:UNUSED_PAD src0_sel:DWORD src1_sel:WORD_1
	v_cmp_gt_i32_e32 vcc_lo, s11, v0
	v_perm_b32 v35, v35, v37, 0x5040100
	v_cndmask_b32_e32 v38, 0, v36, vcc_lo
	s_mov_b32 vcc_lo, s1
	v_cndmask_b32_sdwa v36, v86, v36, vcc_lo dst_sel:DWORD dst_unused:UNUSED_PAD src0_sel:DWORD src1_sel:WORD_1
	v_perm_b32 v36, v36, v38, 0x5040100
.LBB157_36:                             ;   in Loop: Header=BB157_26 Depth=1
	s_or_b32 exec_lo, exec_lo, s15
	v_add_co_u32 v19, vcc_lo, 0x1000, v17
	v_add_co_ci_u32_e64 v20, null, 0, v18, vcc_lo
	global_load_dwordx4 v[37:40], v[19:20], off
	s_and_saveexec_b32 s15, s0
	s_cbranch_execnz .LBB157_51
; %bb.37:                               ;   in Loop: Header=BB157_26 Depth=1
	s_or_b32 exec_lo, exec_lo, s15
	global_load_dwordx4 v[49:52], v[19:20], off offset:512
	s_and_saveexec_b32 s15, s0
	s_cbranch_execnz .LBB157_52
.LBB157_38:                             ;   in Loop: Header=BB157_26 Depth=1
	s_or_b32 exec_lo, exec_lo, s15
	global_load_dwordx4 v[53:56], v[19:20], off offset:1024
	s_and_saveexec_b32 s15, s0
	s_cbranch_execnz .LBB157_53
.LBB157_39:                             ;   in Loop: Header=BB157_26 Depth=1
	s_or_b32 exec_lo, exec_lo, s15
	global_load_dwordx4 v[57:60], v[19:20], off offset:1536
	s_and_saveexec_b32 s15, s0
	s_cbranch_execz .LBB157_41
.LBB157_40:                             ;   in Loop: Header=BB157_26 Depth=1
	v_cmp_gt_i32_e64 s1, s11, v89
	v_cmp_gt_i32_e32 vcc_lo, s14, v95
	v_cmp_gt_i32_e64 s2, s11, v94
	s_waitcnt vmcnt(0)
	v_cndmask_b32_e64 v19, 0, v57, s1
	v_cmp_gt_i32_e64 s1, s14, v93
	v_cndmask_b32_sdwa v57, v86, v57, vcc_lo dst_sel:DWORD dst_unused:UNUSED_PAD src0_sel:DWORD src1_sel:WORD_1
	v_cndmask_b32_e64 v20, 0, v58, s2
	v_cmp_gt_i32_e64 s2, s14, v92
	s_mov_b32 vcc_lo, s1
	v_cmp_gt_i32_e64 s1, s14, v67
	v_cndmask_b32_sdwa v58, v86, v58, vcc_lo dst_sel:DWORD dst_unused:UNUSED_PAD src0_sel:DWORD src1_sel:WORD_1
	v_cmp_gt_i32_e32 vcc_lo, s11, v68
	v_perm_b32 v57, v57, v19, 0x5040100
	v_perm_b32 v58, v58, v20, 0x5040100
	v_cndmask_b32_e32 v61, 0, v59, vcc_lo
	s_mov_b32 vcc_lo, s2
	v_cndmask_b32_sdwa v59, v86, v59, vcc_lo dst_sel:DWORD dst_unused:UNUSED_PAD src0_sel:DWORD src1_sel:WORD_1
	v_cmp_gt_i32_e32 vcc_lo, s11, v0
	v_perm_b32 v59, v59, v61, 0x5040100
	v_cndmask_b32_e32 v62, 0, v60, vcc_lo
	s_mov_b32 vcc_lo, s1
	v_cndmask_b32_sdwa v60, v86, v60, vcc_lo dst_sel:DWORD dst_unused:UNUSED_PAD src0_sel:DWORD src1_sel:WORD_1
	v_perm_b32 v60, v60, v62, 0x5040100
.LBB157_41:                             ;   in Loop: Header=BB157_26 Depth=1
	s_or_b32 exec_lo, exec_lo, s15
	v_add_co_u32 v17, vcc_lo, 0x1800, v17
	v_add_co_ci_u32_e64 v18, null, 0, v18, vcc_lo
	global_load_dwordx4 v[61:64], v[17:18], off
	s_and_saveexec_b32 s15, s0
	s_cbranch_execz .LBB157_43
; %bb.42:                               ;   in Loop: Header=BB157_26 Depth=1
	v_cmp_gt_i32_e64 s1, s11, v89
	v_cmp_gt_i32_e32 vcc_lo, s14, v95
	v_cmp_gt_i32_e64 s2, s11, v94
	s_waitcnt vmcnt(0)
	v_cndmask_b32_e64 v19, 0, v61, s1
	v_cmp_gt_i32_e64 s1, s14, v93
	v_cndmask_b32_sdwa v61, v86, v61, vcc_lo dst_sel:DWORD dst_unused:UNUSED_PAD src0_sel:DWORD src1_sel:WORD_1
	v_cndmask_b32_e64 v20, 0, v62, s2
	v_cmp_gt_i32_e64 s2, s14, v92
	s_mov_b32 vcc_lo, s1
	v_cmp_gt_i32_e64 s1, s14, v67
	v_cndmask_b32_sdwa v62, v86, v62, vcc_lo dst_sel:DWORD dst_unused:UNUSED_PAD src0_sel:DWORD src1_sel:WORD_1
	v_cmp_gt_i32_e32 vcc_lo, s11, v68
	v_perm_b32 v61, v61, v19, 0x5040100
	v_perm_b32 v62, v62, v20, 0x5040100
	v_cndmask_b32_e32 v96, 0, v63, vcc_lo
	s_mov_b32 vcc_lo, s2
	v_cndmask_b32_sdwa v63, v86, v63, vcc_lo dst_sel:DWORD dst_unused:UNUSED_PAD src0_sel:DWORD src1_sel:WORD_1
	v_cmp_gt_i32_e32 vcc_lo, s11, v0
	v_perm_b32 v63, v63, v96, 0x5040100
	v_cndmask_b32_e32 v97, 0, v64, vcc_lo
	s_mov_b32 vcc_lo, s1
	v_cndmask_b32_sdwa v64, v86, v64, vcc_lo dst_sel:DWORD dst_unused:UNUSED_PAD src0_sel:DWORD src1_sel:WORD_1
	v_perm_b32 v64, v64, v97, 0x5040100
.LBB157_43:                             ;   in Loop: Header=BB157_26 Depth=1
	s_or_b32 exec_lo, exec_lo, s15
	global_load_dwordx4 v[17:20], v[17:18], off offset:512
	s_and_saveexec_b32 s2, s0
	s_cbranch_execz .LBB157_25
; %bb.44:                               ;   in Loop: Header=BB157_26 Depth=1
	v_cmp_gt_i32_e64 s0, s11, v89
	v_cmp_gt_i32_e32 vcc_lo, s14, v95
	v_cmp_gt_i32_e64 s1, s11, v94
	s_waitcnt vmcnt(0)
	v_cndmask_b32_e64 v95, 0, v17, s0
	v_cmp_gt_i32_e64 s0, s14, v93
	v_cndmask_b32_sdwa v17, v86, v17, vcc_lo dst_sel:DWORD dst_unused:UNUSED_PAD src0_sel:DWORD src1_sel:WORD_1
	v_cndmask_b32_e64 v93, 0, v18, s1
	v_cmp_gt_i32_e64 s1, s14, v92
	s_mov_b32 vcc_lo, s0
	v_cmp_gt_i32_e64 s0, s14, v67
	v_cndmask_b32_sdwa v18, v86, v18, vcc_lo dst_sel:DWORD dst_unused:UNUSED_PAD src0_sel:DWORD src1_sel:WORD_1
	v_cmp_gt_i32_e32 vcc_lo, s11, v68
	v_perm_b32 v17, v17, v95, 0x5040100
	v_perm_b32 v18, v18, v93, 0x5040100
	v_cndmask_b32_e32 v68, 0, v19, vcc_lo
	s_mov_b32 vcc_lo, s1
	v_cndmask_b32_sdwa v19, v86, v19, vcc_lo dst_sel:DWORD dst_unused:UNUSED_PAD src0_sel:DWORD src1_sel:WORD_1
	v_cmp_gt_i32_e32 vcc_lo, s11, v0
	v_perm_b32 v19, v19, v68, 0x5040100
	v_cndmask_b32_e32 v0, 0, v20, vcc_lo
	s_mov_b32 vcc_lo, s0
	v_cndmask_b32_sdwa v20, v86, v20, vcc_lo dst_sel:DWORD dst_unused:UNUSED_PAD src0_sel:DWORD src1_sel:WORD_1
	v_perm_b32 v20, v20, v0, 0x5040100
	s_branch .LBB157_25
.LBB157_45:                             ;   in Loop: Header=BB157_26 Depth=1
	v_cmp_gt_i32_e64 s1, s11, v89
	v_cmp_gt_i32_e32 vcc_lo, s14, v95
	v_cmp_gt_i32_e64 s2, s11, v94
	s_waitcnt vmcnt(0)
	v_cndmask_b32_e64 v5, 0, v1, s1
	v_cmp_gt_i32_e64 s1, s14, v93
	v_cndmask_b32_sdwa v1, v86, v1, vcc_lo dst_sel:DWORD dst_unused:UNUSED_PAD src0_sel:DWORD src1_sel:WORD_1
	v_cndmask_b32_e64 v6, 0, v2, s2
	v_cmp_gt_i32_e64 s2, s14, v92
	s_mov_b32 vcc_lo, s1
	v_cmp_gt_i32_e64 s1, s14, v67
	v_cndmask_b32_sdwa v2, v86, v2, vcc_lo dst_sel:DWORD dst_unused:UNUSED_PAD src0_sel:DWORD src1_sel:WORD_1
	v_cmp_gt_i32_e32 vcc_lo, s11, v68
	v_perm_b32 v1, v1, v5, 0x5040100
	v_perm_b32 v2, v2, v6, 0x5040100
	v_cndmask_b32_e32 v7, 0, v3, vcc_lo
	s_mov_b32 vcc_lo, s2
	v_cndmask_b32_sdwa v3, v86, v3, vcc_lo dst_sel:DWORD dst_unused:UNUSED_PAD src0_sel:DWORD src1_sel:WORD_1
	v_cmp_gt_i32_e32 vcc_lo, s11, v0
	v_perm_b32 v3, v3, v7, 0x5040100
	v_cndmask_b32_e32 v8, 0, v4, vcc_lo
	s_mov_b32 vcc_lo, s1
	v_cndmask_b32_sdwa v4, v86, v4, vcc_lo dst_sel:DWORD dst_unused:UNUSED_PAD src0_sel:DWORD src1_sel:WORD_1
	v_perm_b32 v4, v4, v8, 0x5040100
	s_or_b32 exec_lo, exec_lo, s15
	global_load_dwordx4 v[5:8], v[17:18], off offset:512
	s_and_saveexec_b32 s15, s0
	s_cbranch_execz .LBB157_28
.LBB157_46:                             ;   in Loop: Header=BB157_26 Depth=1
	v_cmp_gt_i32_e64 s1, s11, v89
	v_cmp_gt_i32_e32 vcc_lo, s14, v95
	v_cmp_gt_i32_e64 s2, s11, v94
	s_waitcnt vmcnt(0)
	v_cndmask_b32_e64 v9, 0, v5, s1
	v_cmp_gt_i32_e64 s1, s14, v93
	v_cndmask_b32_sdwa v5, v86, v5, vcc_lo dst_sel:DWORD dst_unused:UNUSED_PAD src0_sel:DWORD src1_sel:WORD_1
	v_cndmask_b32_e64 v10, 0, v6, s2
	v_cmp_gt_i32_e64 s2, s14, v92
	s_mov_b32 vcc_lo, s1
	v_cmp_gt_i32_e64 s1, s14, v67
	v_cndmask_b32_sdwa v6, v86, v6, vcc_lo dst_sel:DWORD dst_unused:UNUSED_PAD src0_sel:DWORD src1_sel:WORD_1
	v_cmp_gt_i32_e32 vcc_lo, s11, v68
	v_perm_b32 v5, v5, v9, 0x5040100
	v_perm_b32 v6, v6, v10, 0x5040100
	v_cndmask_b32_e32 v11, 0, v7, vcc_lo
	s_mov_b32 vcc_lo, s2
	v_cndmask_b32_sdwa v7, v86, v7, vcc_lo dst_sel:DWORD dst_unused:UNUSED_PAD src0_sel:DWORD src1_sel:WORD_1
	v_cmp_gt_i32_e32 vcc_lo, s11, v0
	v_perm_b32 v7, v7, v11, 0x5040100
	v_cndmask_b32_e32 v12, 0, v8, vcc_lo
	s_mov_b32 vcc_lo, s1
	v_cndmask_b32_sdwa v8, v86, v8, vcc_lo dst_sel:DWORD dst_unused:UNUSED_PAD src0_sel:DWORD src1_sel:WORD_1
	v_perm_b32 v8, v8, v12, 0x5040100
	s_or_b32 exec_lo, exec_lo, s15
	global_load_dwordx4 v[9:12], v[17:18], off offset:1024
	s_and_saveexec_b32 s15, s0
	s_cbranch_execz .LBB157_29
.LBB157_47:                             ;   in Loop: Header=BB157_26 Depth=1
	v_cmp_gt_i32_e64 s1, s11, v89
	v_cmp_gt_i32_e32 vcc_lo, s14, v95
	v_cmp_gt_i32_e64 s2, s11, v94
	s_waitcnt vmcnt(0)
	v_cndmask_b32_e64 v13, 0, v9, s1
	v_cmp_gt_i32_e64 s1, s14, v93
	v_cndmask_b32_sdwa v9, v86, v9, vcc_lo dst_sel:DWORD dst_unused:UNUSED_PAD src0_sel:DWORD src1_sel:WORD_1
	v_cndmask_b32_e64 v14, 0, v10, s2
	v_cmp_gt_i32_e64 s2, s14, v92
	s_mov_b32 vcc_lo, s1
	v_cmp_gt_i32_e64 s1, s14, v67
	v_cndmask_b32_sdwa v10, v86, v10, vcc_lo dst_sel:DWORD dst_unused:UNUSED_PAD src0_sel:DWORD src1_sel:WORD_1
	v_cmp_gt_i32_e32 vcc_lo, s11, v68
	v_perm_b32 v9, v9, v13, 0x5040100
	v_perm_b32 v10, v10, v14, 0x5040100
	v_cndmask_b32_e32 v15, 0, v11, vcc_lo
	s_mov_b32 vcc_lo, s2
	v_cndmask_b32_sdwa v11, v86, v11, vcc_lo dst_sel:DWORD dst_unused:UNUSED_PAD src0_sel:DWORD src1_sel:WORD_1
	v_cmp_gt_i32_e32 vcc_lo, s11, v0
	v_perm_b32 v11, v11, v15, 0x5040100
	v_cndmask_b32_e32 v16, 0, v12, vcc_lo
	s_mov_b32 vcc_lo, s1
	v_cndmask_b32_sdwa v12, v86, v12, vcc_lo dst_sel:DWORD dst_unused:UNUSED_PAD src0_sel:DWORD src1_sel:WORD_1
	v_perm_b32 v12, v12, v16, 0x5040100
	s_or_b32 exec_lo, exec_lo, s15
	global_load_dwordx4 v[13:16], v[17:18], off offset:1536
	s_and_saveexec_b32 s15, s0
	s_cbranch_execnz .LBB157_30
	s_branch .LBB157_31
.LBB157_48:                             ;   in Loop: Header=BB157_26 Depth=1
	v_cmp_gt_i32_e64 s1, s11, v89
	v_cmp_gt_i32_e32 vcc_lo, s14, v95
	v_cmp_gt_i32_e64 s2, s11, v94
	s_waitcnt vmcnt(0)
	v_cndmask_b32_e64 v25, 0, v21, s1
	v_cmp_gt_i32_e64 s1, s14, v93
	v_cndmask_b32_sdwa v21, v86, v21, vcc_lo dst_sel:DWORD dst_unused:UNUSED_PAD src0_sel:DWORD src1_sel:WORD_1
	v_cndmask_b32_e64 v26, 0, v22, s2
	v_cmp_gt_i32_e64 s2, s14, v92
	s_mov_b32 vcc_lo, s1
	v_cmp_gt_i32_e64 s1, s14, v67
	v_cndmask_b32_sdwa v22, v86, v22, vcc_lo dst_sel:DWORD dst_unused:UNUSED_PAD src0_sel:DWORD src1_sel:WORD_1
	v_cmp_gt_i32_e32 vcc_lo, s11, v68
	v_perm_b32 v21, v21, v25, 0x5040100
	v_perm_b32 v22, v22, v26, 0x5040100
	v_cndmask_b32_e32 v27, 0, v23, vcc_lo
	s_mov_b32 vcc_lo, s2
	v_cndmask_b32_sdwa v23, v86, v23, vcc_lo dst_sel:DWORD dst_unused:UNUSED_PAD src0_sel:DWORD src1_sel:WORD_1
	v_cmp_gt_i32_e32 vcc_lo, s11, v0
	v_perm_b32 v23, v23, v27, 0x5040100
	v_cndmask_b32_e32 v28, 0, v24, vcc_lo
	s_mov_b32 vcc_lo, s1
	v_cndmask_b32_sdwa v24, v86, v24, vcc_lo dst_sel:DWORD dst_unused:UNUSED_PAD src0_sel:DWORD src1_sel:WORD_1
	v_perm_b32 v24, v24, v28, 0x5040100
	s_or_b32 exec_lo, exec_lo, s15
	global_load_dwordx4 v[25:28], v[19:20], off offset:512
	s_and_saveexec_b32 s15, s0
	s_cbranch_execz .LBB157_33
.LBB157_49:                             ;   in Loop: Header=BB157_26 Depth=1
	v_cmp_gt_i32_e64 s1, s11, v89
	v_cmp_gt_i32_e32 vcc_lo, s14, v95
	v_cmp_gt_i32_e64 s2, s11, v94
	s_waitcnt vmcnt(0)
	v_cndmask_b32_e64 v29, 0, v25, s1
	v_cmp_gt_i32_e64 s1, s14, v93
	v_cndmask_b32_sdwa v25, v86, v25, vcc_lo dst_sel:DWORD dst_unused:UNUSED_PAD src0_sel:DWORD src1_sel:WORD_1
	v_cndmask_b32_e64 v30, 0, v26, s2
	v_cmp_gt_i32_e64 s2, s14, v92
	s_mov_b32 vcc_lo, s1
	v_cmp_gt_i32_e64 s1, s14, v67
	v_cndmask_b32_sdwa v26, v86, v26, vcc_lo dst_sel:DWORD dst_unused:UNUSED_PAD src0_sel:DWORD src1_sel:WORD_1
	v_cmp_gt_i32_e32 vcc_lo, s11, v68
	v_perm_b32 v25, v25, v29, 0x5040100
	v_perm_b32 v26, v26, v30, 0x5040100
	v_cndmask_b32_e32 v31, 0, v27, vcc_lo
	s_mov_b32 vcc_lo, s2
	v_cndmask_b32_sdwa v27, v86, v27, vcc_lo dst_sel:DWORD dst_unused:UNUSED_PAD src0_sel:DWORD src1_sel:WORD_1
	v_cmp_gt_i32_e32 vcc_lo, s11, v0
	v_perm_b32 v27, v27, v31, 0x5040100
	v_cndmask_b32_e32 v32, 0, v28, vcc_lo
	s_mov_b32 vcc_lo, s1
	v_cndmask_b32_sdwa v28, v86, v28, vcc_lo dst_sel:DWORD dst_unused:UNUSED_PAD src0_sel:DWORD src1_sel:WORD_1
	v_perm_b32 v28, v28, v32, 0x5040100
	s_or_b32 exec_lo, exec_lo, s15
	global_load_dwordx4 v[29:32], v[19:20], off offset:1024
	s_and_saveexec_b32 s15, s0
	s_cbranch_execz .LBB157_34
.LBB157_50:                             ;   in Loop: Header=BB157_26 Depth=1
	v_cmp_gt_i32_e64 s1, s11, v89
	v_cmp_gt_i32_e32 vcc_lo, s14, v95
	v_cmp_gt_i32_e64 s2, s11, v94
	s_waitcnt vmcnt(0)
	v_cndmask_b32_e64 v33, 0, v29, s1
	v_cmp_gt_i32_e64 s1, s14, v93
	v_cndmask_b32_sdwa v29, v86, v29, vcc_lo dst_sel:DWORD dst_unused:UNUSED_PAD src0_sel:DWORD src1_sel:WORD_1
	v_cndmask_b32_e64 v34, 0, v30, s2
	v_cmp_gt_i32_e64 s2, s14, v92
	s_mov_b32 vcc_lo, s1
	v_cmp_gt_i32_e64 s1, s14, v67
	v_cndmask_b32_sdwa v30, v86, v30, vcc_lo dst_sel:DWORD dst_unused:UNUSED_PAD src0_sel:DWORD src1_sel:WORD_1
	v_cmp_gt_i32_e32 vcc_lo, s11, v68
	v_perm_b32 v29, v29, v33, 0x5040100
	v_perm_b32 v30, v30, v34, 0x5040100
	v_cndmask_b32_e32 v35, 0, v31, vcc_lo
	s_mov_b32 vcc_lo, s2
	v_cndmask_b32_sdwa v31, v86, v31, vcc_lo dst_sel:DWORD dst_unused:UNUSED_PAD src0_sel:DWORD src1_sel:WORD_1
	v_cmp_gt_i32_e32 vcc_lo, s11, v0
	v_perm_b32 v31, v31, v35, 0x5040100
	v_cndmask_b32_e32 v36, 0, v32, vcc_lo
	s_mov_b32 vcc_lo, s1
	v_cndmask_b32_sdwa v32, v86, v32, vcc_lo dst_sel:DWORD dst_unused:UNUSED_PAD src0_sel:DWORD src1_sel:WORD_1
	v_perm_b32 v32, v32, v36, 0x5040100
	s_or_b32 exec_lo, exec_lo, s15
	global_load_dwordx4 v[33:36], v[19:20], off offset:1536
	s_and_saveexec_b32 s15, s0
	s_cbranch_execnz .LBB157_35
	s_branch .LBB157_36
.LBB157_51:                             ;   in Loop: Header=BB157_26 Depth=1
	v_cmp_gt_i32_e64 s1, s11, v89
	v_cmp_gt_i32_e32 vcc_lo, s14, v95
	v_cmp_gt_i32_e64 s2, s11, v94
	s_waitcnt vmcnt(0)
	v_cndmask_b32_e64 v49, 0, v37, s1
	v_cmp_gt_i32_e64 s1, s14, v93
	v_cndmask_b32_sdwa v37, v86, v37, vcc_lo dst_sel:DWORD dst_unused:UNUSED_PAD src0_sel:DWORD src1_sel:WORD_1
	v_cndmask_b32_e64 v50, 0, v38, s2
	v_cmp_gt_i32_e64 s2, s14, v92
	s_mov_b32 vcc_lo, s1
	v_cmp_gt_i32_e64 s1, s14, v67
	v_cndmask_b32_sdwa v38, v86, v38, vcc_lo dst_sel:DWORD dst_unused:UNUSED_PAD src0_sel:DWORD src1_sel:WORD_1
	v_cmp_gt_i32_e32 vcc_lo, s11, v68
	v_perm_b32 v37, v37, v49, 0x5040100
	v_perm_b32 v38, v38, v50, 0x5040100
	v_cndmask_b32_e32 v51, 0, v39, vcc_lo
	s_mov_b32 vcc_lo, s2
	v_cndmask_b32_sdwa v39, v86, v39, vcc_lo dst_sel:DWORD dst_unused:UNUSED_PAD src0_sel:DWORD src1_sel:WORD_1
	v_cmp_gt_i32_e32 vcc_lo, s11, v0
	v_perm_b32 v39, v39, v51, 0x5040100
	v_cndmask_b32_e32 v52, 0, v40, vcc_lo
	s_mov_b32 vcc_lo, s1
	v_cndmask_b32_sdwa v40, v86, v40, vcc_lo dst_sel:DWORD dst_unused:UNUSED_PAD src0_sel:DWORD src1_sel:WORD_1
	v_perm_b32 v40, v40, v52, 0x5040100
	s_or_b32 exec_lo, exec_lo, s15
	global_load_dwordx4 v[49:52], v[19:20], off offset:512
	s_and_saveexec_b32 s15, s0
	s_cbranch_execz .LBB157_38
.LBB157_52:                             ;   in Loop: Header=BB157_26 Depth=1
	v_cmp_gt_i32_e64 s1, s11, v89
	v_cmp_gt_i32_e32 vcc_lo, s14, v95
	v_cmp_gt_i32_e64 s2, s11, v94
	s_waitcnt vmcnt(0)
	v_cndmask_b32_e64 v53, 0, v49, s1
	v_cmp_gt_i32_e64 s1, s14, v93
	v_cndmask_b32_sdwa v49, v86, v49, vcc_lo dst_sel:DWORD dst_unused:UNUSED_PAD src0_sel:DWORD src1_sel:WORD_1
	v_cndmask_b32_e64 v54, 0, v50, s2
	v_cmp_gt_i32_e64 s2, s14, v92
	s_mov_b32 vcc_lo, s1
	v_cmp_gt_i32_e64 s1, s14, v67
	v_cndmask_b32_sdwa v50, v86, v50, vcc_lo dst_sel:DWORD dst_unused:UNUSED_PAD src0_sel:DWORD src1_sel:WORD_1
	v_cmp_gt_i32_e32 vcc_lo, s11, v68
	v_perm_b32 v49, v49, v53, 0x5040100
	v_perm_b32 v50, v50, v54, 0x5040100
	v_cndmask_b32_e32 v55, 0, v51, vcc_lo
	s_mov_b32 vcc_lo, s2
	v_cndmask_b32_sdwa v51, v86, v51, vcc_lo dst_sel:DWORD dst_unused:UNUSED_PAD src0_sel:DWORD src1_sel:WORD_1
	v_cmp_gt_i32_e32 vcc_lo, s11, v0
	v_perm_b32 v51, v51, v55, 0x5040100
	v_cndmask_b32_e32 v56, 0, v52, vcc_lo
	s_mov_b32 vcc_lo, s1
	v_cndmask_b32_sdwa v52, v86, v52, vcc_lo dst_sel:DWORD dst_unused:UNUSED_PAD src0_sel:DWORD src1_sel:WORD_1
	v_perm_b32 v52, v52, v56, 0x5040100
	s_or_b32 exec_lo, exec_lo, s15
	global_load_dwordx4 v[53:56], v[19:20], off offset:1024
	s_and_saveexec_b32 s15, s0
	s_cbranch_execz .LBB157_39
.LBB157_53:                             ;   in Loop: Header=BB157_26 Depth=1
	v_cmp_gt_i32_e64 s1, s11, v89
	v_cmp_gt_i32_e32 vcc_lo, s14, v95
	v_cmp_gt_i32_e64 s2, s11, v94
	s_waitcnt vmcnt(0)
	v_cndmask_b32_e64 v57, 0, v53, s1
	v_cmp_gt_i32_e64 s1, s14, v93
	v_cndmask_b32_sdwa v53, v86, v53, vcc_lo dst_sel:DWORD dst_unused:UNUSED_PAD src0_sel:DWORD src1_sel:WORD_1
	v_cndmask_b32_e64 v58, 0, v54, s2
	v_cmp_gt_i32_e64 s2, s14, v92
	s_mov_b32 vcc_lo, s1
	v_cmp_gt_i32_e64 s1, s14, v67
	v_cndmask_b32_sdwa v54, v86, v54, vcc_lo dst_sel:DWORD dst_unused:UNUSED_PAD src0_sel:DWORD src1_sel:WORD_1
	v_cmp_gt_i32_e32 vcc_lo, s11, v68
	v_perm_b32 v53, v53, v57, 0x5040100
	v_perm_b32 v54, v54, v58, 0x5040100
	v_cndmask_b32_e32 v59, 0, v55, vcc_lo
	s_mov_b32 vcc_lo, s2
	v_cndmask_b32_sdwa v55, v86, v55, vcc_lo dst_sel:DWORD dst_unused:UNUSED_PAD src0_sel:DWORD src1_sel:WORD_1
	v_cmp_gt_i32_e32 vcc_lo, s11, v0
	v_perm_b32 v55, v55, v59, 0x5040100
	v_cndmask_b32_e32 v60, 0, v56, vcc_lo
	s_mov_b32 vcc_lo, s1
	v_cndmask_b32_sdwa v56, v86, v56, vcc_lo dst_sel:DWORD dst_unused:UNUSED_PAD src0_sel:DWORD src1_sel:WORD_1
	v_perm_b32 v56, v56, v60, 0x5040100
	s_or_b32 exec_lo, exec_lo, s15
	global_load_dwordx4 v[57:60], v[19:20], off offset:1536
	s_and_saveexec_b32 s15, s0
	s_cbranch_execnz .LBB157_40
	s_branch .LBB157_41
.LBB157_54:
	s_or_b32 exec_lo, exec_lo, s13
.LBB157_55:
	s_or_b32 exec_lo, exec_lo, s3
	ds_bpermute_b32 v1, v70, v85
	ds_bpermute_b32 v0, v70, v83
	;; [unrolled: 1-line block ×14, first 2 shown]
	s_mov_b32 s0, exec_lo
	s_waitcnt lgkmcnt(0)
	s_barrier
	buffer_gl0_inv
	v_add_f32_e32 v1, v85, v1
	v_add_f32_e32 v0, v83, v0
	;; [unrolled: 1-line block ×7, first 2 shown]
	ds_bpermute_b32 v15, v69, v1
	v_add_f32_e32 v19, v78, v7
	v_add_f32_e32 v20, v77, v8
	;; [unrolled: 1-line block ×7, first 2 shown]
	ds_bpermute_b32 v14, v69, v0
	ds_bpermute_b32 v16, v69, v2
	;; [unrolled: 1-line block ×13, first 2 shown]
	s_waitcnt lgkmcnt(13)
	v_add_f32_e32 v12, v1, v15
	v_and_b32_e32 v15, 28, v100
	v_add_nc_u32_e32 v15, 0x100, v15
	s_waitcnt lgkmcnt(12)
	v_add_f32_e32 v13, v0, v14
	s_waitcnt lgkmcnt(11)
	v_add_f32_e32 v11, v2, v16
	;; [unrolled: 2-line block ×12, first 2 shown]
	v_and_b32_e32 v17, 0x3c3, v98
	s_waitcnt lgkmcnt(0)
	v_add_f32_e32 v2, v30, v33
	v_lshrrev_b32_e32 v14, 2, v100
	v_mul_u32_u24_e32 v16, 0x1c0, v99
	v_cmpx_eq_u32_e32 64, v17
	s_cbranch_execz .LBB157_57
; %bb.56:
	v_add_nc_u32_e32 v17, v15, v16
	v_add_nc_u32_e32 v18, 0xfffffc80, v17
	;; [unrolled: 1-line block ×7, first 2 shown]
	ds_write_b32 v18, v13
	ds_write_b32 v19, v12
	;; [unrolled: 1-line block ×4, first 2 shown]
	v_add_nc_u32_e32 v18, 0xfffffd40, v17
	v_add_nc_u32_e32 v19, 0xfffffd60, v17
	;; [unrolled: 1-line block ×3, first 2 shown]
	ds_write_b32 v22, v9
	ds_write_b32 v23, v8
	;; [unrolled: 1-line block ×5, first 2 shown]
	v_add_nc_u32_e32 v18, 0xfffffda0, v17
	v_add_nc_u32_e32 v19, 0xfffffdc0, v17
	;; [unrolled: 1-line block ×5, first 2 shown]
	ds_write_b32 v18, v4
	ds_write_b32 v19, v3
	;; [unrolled: 1-line block ×5, first 2 shown]
.LBB157_57:
	s_or_b32 exec_lo, exec_lo, s0
	v_lshlrev_b32_e32 v14, 2, v14
	s_mov_b32 s1, exec_lo
	v_cmp_eq_u32_e32 vcc_lo, 0, v71
	s_waitcnt lgkmcnt(0)
	s_barrier
	v_add3_u32 v14, 0x100, v16, v14
	buffer_gl0_inv
	v_cmpx_gt_u32_e32 64, v98
	s_cbranch_execz .LBB157_74
; %bb.58:
	s_and_saveexec_b32 s0, vcc_lo
	s_cbranch_execnz .LBB157_96
; %bb.59:
	s_or_b32 exec_lo, exec_lo, s0
	s_and_saveexec_b32 s0, vcc_lo
	s_cbranch_execnz .LBB157_97
.LBB157_60:
	s_or_b32 exec_lo, exec_lo, s0
	s_and_saveexec_b32 s0, vcc_lo
	s_cbranch_execnz .LBB157_98
.LBB157_61:
	s_or_b32 exec_lo, exec_lo, s0
	s_and_saveexec_b32 s0, vcc_lo
	s_cbranch_execnz .LBB157_99
.LBB157_62:
	s_or_b32 exec_lo, exec_lo, s0
	s_and_saveexec_b32 s0, vcc_lo
	s_cbranch_execnz .LBB157_100
.LBB157_63:
	s_or_b32 exec_lo, exec_lo, s0
	s_and_saveexec_b32 s0, vcc_lo
	s_cbranch_execnz .LBB157_101
.LBB157_64:
	s_or_b32 exec_lo, exec_lo, s0
	s_and_saveexec_b32 s0, vcc_lo
	s_cbranch_execnz .LBB157_102
.LBB157_65:
	s_or_b32 exec_lo, exec_lo, s0
	s_and_saveexec_b32 s0, vcc_lo
	s_cbranch_execnz .LBB157_103
.LBB157_66:
	s_or_b32 exec_lo, exec_lo, s0
	s_and_saveexec_b32 s0, vcc_lo
	s_cbranch_execnz .LBB157_104
.LBB157_67:
	s_or_b32 exec_lo, exec_lo, s0
	s_and_saveexec_b32 s0, vcc_lo
	s_cbranch_execnz .LBB157_105
.LBB157_68:
	s_or_b32 exec_lo, exec_lo, s0
	s_and_saveexec_b32 s0, vcc_lo
	s_cbranch_execnz .LBB157_106
.LBB157_69:
	s_or_b32 exec_lo, exec_lo, s0
	s_and_saveexec_b32 s0, vcc_lo
	s_cbranch_execnz .LBB157_107
.LBB157_70:
	s_or_b32 exec_lo, exec_lo, s0
	s_and_saveexec_b32 s0, vcc_lo
	s_cbranch_execnz .LBB157_108
.LBB157_71:
	s_or_b32 exec_lo, exec_lo, s0
	s_and_saveexec_b32 s0, vcc_lo
	s_cbranch_execz .LBB157_73
.LBB157_72:
	ds_read_b32 v16, v14 offset:416
	s_waitcnt lgkmcnt(0)
	v_add_f32_e32 v2, v2, v16
.LBB157_73:
	s_or_b32 exec_lo, exec_lo, s0
.LBB157_74:
	s_or_b32 exec_lo, exec_lo, s1
	v_and_b32_e32 v16, 0x3e3, v98
	s_mov_b32 s1, exec_lo
	s_barrier
	buffer_gl0_inv
	v_cmpx_eq_u32_e32 32, v16
	s_cbranch_execz .LBB157_76
; %bb.75:
	ds_write2_b32 v15, v13, v12 offset1:8
	ds_write2_b32 v15, v11, v10 offset0:16 offset1:24
	ds_write2_b32 v15, v9, v8 offset0:32 offset1:40
	;; [unrolled: 1-line block ×6, first 2 shown]
.LBB157_76:
	s_or_b32 exec_lo, exec_lo, s1
	s_mov_b32 s1, exec_lo
	s_waitcnt lgkmcnt(0)
	s_barrier
	buffer_gl0_inv
	v_cmpx_gt_u32_e32 32, v98
	s_cbranch_execz .LBB157_93
; %bb.77:
	s_and_saveexec_b32 s0, vcc_lo
	s_cbranch_execnz .LBB157_109
; %bb.78:
	s_or_b32 exec_lo, exec_lo, s0
	s_and_saveexec_b32 s0, vcc_lo
	s_cbranch_execnz .LBB157_110
.LBB157_79:
	s_or_b32 exec_lo, exec_lo, s0
	s_and_saveexec_b32 s0, vcc_lo
	s_cbranch_execnz .LBB157_111
.LBB157_80:
	s_or_b32 exec_lo, exec_lo, s0
	s_and_saveexec_b32 s0, vcc_lo
	s_cbranch_execnz .LBB157_112
.LBB157_81:
	s_or_b32 exec_lo, exec_lo, s0
	s_and_saveexec_b32 s0, vcc_lo
	s_cbranch_execnz .LBB157_113
.LBB157_82:
	s_or_b32 exec_lo, exec_lo, s0
	s_and_saveexec_b32 s0, vcc_lo
	s_cbranch_execnz .LBB157_114
.LBB157_83:
	s_or_b32 exec_lo, exec_lo, s0
	s_and_saveexec_b32 s0, vcc_lo
	s_cbranch_execnz .LBB157_115
.LBB157_84:
	s_or_b32 exec_lo, exec_lo, s0
	s_and_saveexec_b32 s0, vcc_lo
	s_cbranch_execnz .LBB157_116
.LBB157_85:
	s_or_b32 exec_lo, exec_lo, s0
	s_and_saveexec_b32 s0, vcc_lo
	s_cbranch_execnz .LBB157_117
.LBB157_86:
	s_or_b32 exec_lo, exec_lo, s0
	s_and_saveexec_b32 s0, vcc_lo
	s_cbranch_execnz .LBB157_118
.LBB157_87:
	s_or_b32 exec_lo, exec_lo, s0
	s_and_saveexec_b32 s0, vcc_lo
	s_cbranch_execnz .LBB157_119
.LBB157_88:
	s_or_b32 exec_lo, exec_lo, s0
	s_and_saveexec_b32 s0, vcc_lo
	s_cbranch_execnz .LBB157_120
.LBB157_89:
	s_or_b32 exec_lo, exec_lo, s0
	s_and_saveexec_b32 s0, vcc_lo
	s_cbranch_execnz .LBB157_121
.LBB157_90:
	s_or_b32 exec_lo, exec_lo, s0
	s_and_saveexec_b32 s0, vcc_lo
	s_cbranch_execz .LBB157_92
.LBB157_91:
	ds_read_b32 v14, v14 offset:416
	s_waitcnt lgkmcnt(0)
	v_add_f32_e32 v2, v2, v14
.LBB157_92:
	s_or_b32 exec_lo, exec_lo, s0
.LBB157_93:
	s_or_b32 exec_lo, exec_lo, s1
	s_barrier
	buffer_gl0_inv
	s_mov_b32 s0, exec_lo
	v_cmpx_eq_u32_e32 0, v16
	s_cbranch_execz .LBB157_95
; %bb.94:
	s_mul_i32 s0, s10, s7
	v_bfe_u32 v15, v13, 16, 1
	s_mul_i32 s0, s0, s9
	s_mul_i32 s2, s7, s6
	s_mulk_i32 s0, 0x70
	v_or_b32_e32 v16, 0x400000, v13
	s_ashr_i32 s1, s0, 31
	v_add3_u32 v15, v15, v13, 0x7fff
	s_lshl_b64 s[0:1], s[0:1], 1
	v_bfe_u32 v17, v12, 16, 1
	s_add_u32 s5, s16, s0
	s_addc_u32 s6, s17, s1
	s_ashr_i32 s3, s2, 31
	v_cmp_u_f32_e32 vcc_lo, v13, v13
	s_lshl_b64 s[0:1], s[2:3], 1
	s_mul_i32 s4, s8, 0x70
	s_add_u32 s2, s5, s0
	s_addc_u32 s3, s6, s1
	s_ashr_i32 s5, s4, 31
	v_lshrrev_b32_e32 v14, 1, v98
	s_lshl_b64 s[0:1], s[4:5], 1
	v_cndmask_b32_e32 v13, v15, v16, vcc_lo
	v_bfe_u32 v15, v11, 16, 1
	v_add3_u32 v16, v17, v12, 0x7fff
	v_or_b32_e32 v17, 0x400000, v12
	v_cmp_u_f32_e32 vcc_lo, v12, v12
	s_add_u32 s0, s2, s0
	s_addc_u32 s1, s3, s1
	global_store_short_d16_hi v14, v13, s[0:1]
	v_add3_u32 v13, v15, v11, 0x7fff
	v_or_b32_e32 v15, 0x400000, v11
	v_cndmask_b32_e32 v12, v16, v17, vcc_lo
	v_bfe_u32 v16, v10, 16, 1
	v_cmp_u_f32_e32 vcc_lo, v11, v11
	global_store_short_d16_hi v14, v12, s[0:1] offset:16
	v_add3_u32 v12, v16, v10, 0x7fff
	v_cndmask_b32_e32 v11, v13, v15, vcc_lo
	v_bfe_u32 v13, v9, 16, 1
	v_or_b32_e32 v15, 0x400000, v10
	v_cmp_u_f32_e32 vcc_lo, v10, v10
	global_store_short_d16_hi v14, v11, s[0:1] offset:32
	v_add3_u32 v11, v13, v9, 0x7fff
	v_or_b32_e32 v13, 0x400000, v9
	v_cndmask_b32_e32 v10, v12, v15, vcc_lo
	v_bfe_u32 v12, v8, 16, 1
	v_cmp_u_f32_e32 vcc_lo, v9, v9
	global_store_short_d16_hi v14, v10, s[0:1] offset:48
	v_add3_u32 v10, v12, v8, 0x7fff
	v_cndmask_b32_e32 v9, v11, v13, vcc_lo
	v_bfe_u32 v11, v7, 16, 1
	v_or_b32_e32 v12, 0x400000, v8
	v_cmp_u_f32_e32 vcc_lo, v8, v8
	global_store_short_d16_hi v14, v9, s[0:1] offset:64
	;; [unrolled: 12-line block ×3, first 2 shown]
	v_add3_u32 v7, v9, v5, 0x7fff
	v_or_b32_e32 v9, 0x400000, v5
	v_cndmask_b32_e32 v6, v8, v10, vcc_lo
	v_bfe_u32 v8, v4, 16, 1
	v_cmp_u_f32_e32 vcc_lo, v5, v5
	v_or_b32_e32 v10, 0x400000, v2
	global_store_short_d16_hi v14, v6, s[0:1] offset:112
	v_add3_u32 v6, v8, v4, 0x7fff
	v_cndmask_b32_e32 v5, v7, v9, vcc_lo
	v_bfe_u32 v7, v3, 16, 1
	v_or_b32_e32 v8, 0x400000, v4
	v_cmp_u_f32_e32 vcc_lo, v4, v4
	v_or_b32_e32 v9, 0x400000, v1
	global_store_short_d16_hi v14, v5, s[0:1] offset:128
	v_add3_u32 v5, v7, v3, 0x7fff
	v_or_b32_e32 v7, 0x400000, v3
	v_cndmask_b32_e32 v4, v6, v8, vcc_lo
	v_bfe_u32 v6, v0, 16, 1
	v_cmp_u_f32_e32 vcc_lo, v3, v3
	v_bfe_u32 v8, v1, 16, 1
	v_add3_u32 v6, v6, v0, 0x7fff
	v_cndmask_b32_e32 v3, v5, v7, vcc_lo
	v_or_b32_e32 v7, 0x400000, v0
	v_cmp_u_f32_e32 vcc_lo, v0, v0
	v_bfe_u32 v5, v2, 16, 1
	v_add3_u32 v8, v8, v1, 0x7fff
	v_cndmask_b32_e32 v0, v6, v7, vcc_lo
	v_cmp_u_f32_e32 vcc_lo, v1, v1
	v_add3_u32 v5, v5, v2, 0x7fff
	v_cndmask_b32_e32 v1, v8, v9, vcc_lo
	v_cmp_u_f32_e32 vcc_lo, v2, v2
	v_cndmask_b32_e32 v2, v5, v10, vcc_lo
	global_store_short_d16_hi v14, v4, s[0:1] offset:144
	global_store_short_d16_hi v14, v3, s[0:1] offset:160
	;; [unrolled: 1-line block ×5, first 2 shown]
.LBB157_95:
	s_endpgm
.LBB157_96:
	ds_read_b32 v16, v14
	s_waitcnt lgkmcnt(0)
	v_add_f32_e32 v13, v13, v16
	s_or_b32 exec_lo, exec_lo, s0
	s_and_saveexec_b32 s0, vcc_lo
	s_cbranch_execz .LBB157_60
.LBB157_97:
	ds_read_b32 v16, v14 offset:32
	s_waitcnt lgkmcnt(0)
	v_add_f32_e32 v12, v12, v16
	s_or_b32 exec_lo, exec_lo, s0
	s_and_saveexec_b32 s0, vcc_lo
	s_cbranch_execz .LBB157_61
.LBB157_98:
	ds_read_b32 v16, v14 offset:64
	s_waitcnt lgkmcnt(0)
	v_add_f32_e32 v11, v11, v16
	s_or_b32 exec_lo, exec_lo, s0
	s_and_saveexec_b32 s0, vcc_lo
	s_cbranch_execz .LBB157_62
.LBB157_99:
	ds_read_b32 v16, v14 offset:96
	s_waitcnt lgkmcnt(0)
	v_add_f32_e32 v10, v10, v16
	s_or_b32 exec_lo, exec_lo, s0
	s_and_saveexec_b32 s0, vcc_lo
	s_cbranch_execz .LBB157_63
.LBB157_100:
	ds_read_b32 v16, v14 offset:128
	s_waitcnt lgkmcnt(0)
	v_add_f32_e32 v9, v9, v16
	s_or_b32 exec_lo, exec_lo, s0
	s_and_saveexec_b32 s0, vcc_lo
	s_cbranch_execz .LBB157_64
.LBB157_101:
	ds_read_b32 v16, v14 offset:160
	s_waitcnt lgkmcnt(0)
	v_add_f32_e32 v8, v8, v16
	s_or_b32 exec_lo, exec_lo, s0
	s_and_saveexec_b32 s0, vcc_lo
	s_cbranch_execz .LBB157_65
.LBB157_102:
	ds_read_b32 v16, v14 offset:192
	s_waitcnt lgkmcnt(0)
	v_add_f32_e32 v7, v7, v16
	s_or_b32 exec_lo, exec_lo, s0
	s_and_saveexec_b32 s0, vcc_lo
	s_cbranch_execz .LBB157_66
.LBB157_103:
	ds_read_b32 v16, v14 offset:224
	s_waitcnt lgkmcnt(0)
	v_add_f32_e32 v6, v6, v16
	s_or_b32 exec_lo, exec_lo, s0
	s_and_saveexec_b32 s0, vcc_lo
	s_cbranch_execz .LBB157_67
.LBB157_104:
	ds_read_b32 v16, v14 offset:256
	s_waitcnt lgkmcnt(0)
	v_add_f32_e32 v5, v5, v16
	s_or_b32 exec_lo, exec_lo, s0
	s_and_saveexec_b32 s0, vcc_lo
	s_cbranch_execz .LBB157_68
.LBB157_105:
	ds_read_b32 v16, v14 offset:288
	s_waitcnt lgkmcnt(0)
	v_add_f32_e32 v4, v4, v16
	s_or_b32 exec_lo, exec_lo, s0
	s_and_saveexec_b32 s0, vcc_lo
	s_cbranch_execz .LBB157_69
.LBB157_106:
	ds_read_b32 v16, v14 offset:320
	s_waitcnt lgkmcnt(0)
	v_add_f32_e32 v3, v3, v16
	s_or_b32 exec_lo, exec_lo, s0
	s_and_saveexec_b32 s0, vcc_lo
	s_cbranch_execz .LBB157_70
.LBB157_107:
	ds_read_b32 v16, v14 offset:352
	s_waitcnt lgkmcnt(0)
	v_add_f32_e32 v0, v0, v16
	s_or_b32 exec_lo, exec_lo, s0
	s_and_saveexec_b32 s0, vcc_lo
	s_cbranch_execz .LBB157_71
.LBB157_108:
	ds_read_b32 v16, v14 offset:384
	s_waitcnt lgkmcnt(0)
	v_add_f32_e32 v1, v1, v16
	s_or_b32 exec_lo, exec_lo, s0
	s_and_saveexec_b32 s0, vcc_lo
	s_cbranch_execnz .LBB157_72
	s_branch .LBB157_73
.LBB157_109:
	ds_read_b32 v15, v14
	s_waitcnt lgkmcnt(0)
	v_add_f32_e32 v13, v13, v15
	s_or_b32 exec_lo, exec_lo, s0
	s_and_saveexec_b32 s0, vcc_lo
	s_cbranch_execz .LBB157_79
.LBB157_110:
	ds_read_b32 v15, v14 offset:32
	s_waitcnt lgkmcnt(0)
	v_add_f32_e32 v12, v12, v15
	s_or_b32 exec_lo, exec_lo, s0
	s_and_saveexec_b32 s0, vcc_lo
	s_cbranch_execz .LBB157_80
.LBB157_111:
	ds_read_b32 v15, v14 offset:64
	s_waitcnt lgkmcnt(0)
	v_add_f32_e32 v11, v11, v15
	s_or_b32 exec_lo, exec_lo, s0
	s_and_saveexec_b32 s0, vcc_lo
	s_cbranch_execz .LBB157_81
.LBB157_112:
	ds_read_b32 v15, v14 offset:96
	s_waitcnt lgkmcnt(0)
	v_add_f32_e32 v10, v10, v15
	s_or_b32 exec_lo, exec_lo, s0
	s_and_saveexec_b32 s0, vcc_lo
	s_cbranch_execz .LBB157_82
.LBB157_113:
	ds_read_b32 v15, v14 offset:128
	s_waitcnt lgkmcnt(0)
	v_add_f32_e32 v9, v9, v15
	s_or_b32 exec_lo, exec_lo, s0
	s_and_saveexec_b32 s0, vcc_lo
	s_cbranch_execz .LBB157_83
.LBB157_114:
	ds_read_b32 v15, v14 offset:160
	s_waitcnt lgkmcnt(0)
	v_add_f32_e32 v8, v8, v15
	s_or_b32 exec_lo, exec_lo, s0
	s_and_saveexec_b32 s0, vcc_lo
	s_cbranch_execz .LBB157_84
.LBB157_115:
	ds_read_b32 v15, v14 offset:192
	s_waitcnt lgkmcnt(0)
	v_add_f32_e32 v7, v7, v15
	s_or_b32 exec_lo, exec_lo, s0
	s_and_saveexec_b32 s0, vcc_lo
	s_cbranch_execz .LBB157_85
.LBB157_116:
	ds_read_b32 v15, v14 offset:224
	s_waitcnt lgkmcnt(0)
	v_add_f32_e32 v6, v6, v15
	s_or_b32 exec_lo, exec_lo, s0
	s_and_saveexec_b32 s0, vcc_lo
	s_cbranch_execz .LBB157_86
.LBB157_117:
	ds_read_b32 v15, v14 offset:256
	s_waitcnt lgkmcnt(0)
	v_add_f32_e32 v5, v5, v15
	s_or_b32 exec_lo, exec_lo, s0
	s_and_saveexec_b32 s0, vcc_lo
	s_cbranch_execz .LBB157_87
.LBB157_118:
	ds_read_b32 v15, v14 offset:288
	s_waitcnt lgkmcnt(0)
	v_add_f32_e32 v4, v4, v15
	s_or_b32 exec_lo, exec_lo, s0
	s_and_saveexec_b32 s0, vcc_lo
	s_cbranch_execz .LBB157_88
.LBB157_119:
	ds_read_b32 v15, v14 offset:320
	s_waitcnt lgkmcnt(0)
	v_add_f32_e32 v3, v3, v15
	s_or_b32 exec_lo, exec_lo, s0
	s_and_saveexec_b32 s0, vcc_lo
	s_cbranch_execz .LBB157_89
.LBB157_120:
	ds_read_b32 v15, v14 offset:352
	s_waitcnt lgkmcnt(0)
	v_add_f32_e32 v0, v0, v15
	s_or_b32 exec_lo, exec_lo, s0
	s_and_saveexec_b32 s0, vcc_lo
	s_cbranch_execz .LBB157_90
.LBB157_121:
	ds_read_b32 v15, v14 offset:384
	s_waitcnt lgkmcnt(0)
	v_add_f32_e32 v1, v1, v15
	s_or_b32 exec_lo, exec_lo, s0
	s_and_saveexec_b32 s0, vcc_lo
	s_cbranch_execnz .LBB157_91
	s_branch .LBB157_92
	.section	.rodata,"a",@progbits
	.p2align	6, 0x0
	.amdhsa_kernel _ZN4vllm25paged_attention_v1_kernelI14__hip_bfloat16S1_Li112ELi32ELi128ELNS_18Fp8KVCacheDataTypeE0ELb0EEEvPT_PKS3_PKT0_S9_ifPKiSB_iPKfiiiSD_SD_iiiii
		.amdhsa_group_segment_fixed_size 256
		.amdhsa_private_segment_fixed_size 264
		.amdhsa_kernarg_size 384
		.amdhsa_user_sgpr_count 6
		.amdhsa_user_sgpr_private_segment_buffer 1
		.amdhsa_user_sgpr_dispatch_ptr 0
		.amdhsa_user_sgpr_queue_ptr 0
		.amdhsa_user_sgpr_kernarg_segment_ptr 1
		.amdhsa_user_sgpr_dispatch_id 0
		.amdhsa_user_sgpr_flat_scratch_init 0
		.amdhsa_user_sgpr_private_segment_size 0
		.amdhsa_wavefront_size32 1
		.amdhsa_uses_dynamic_stack 0
		.amdhsa_system_sgpr_private_segment_wavefront_offset 1
		.amdhsa_system_sgpr_workgroup_id_x 1
		.amdhsa_system_sgpr_workgroup_id_y 1
		.amdhsa_system_sgpr_workgroup_id_z 1
		.amdhsa_system_sgpr_workgroup_info 0
		.amdhsa_system_vgpr_workitem_id 0
		.amdhsa_next_free_vgpr 128
		.amdhsa_next_free_sgpr 32
		.amdhsa_reserve_vcc 1
		.amdhsa_reserve_flat_scratch 0
		.amdhsa_float_round_mode_32 0
		.amdhsa_float_round_mode_16_64 0
		.amdhsa_float_denorm_mode_32 3
		.amdhsa_float_denorm_mode_16_64 3
		.amdhsa_dx10_clamp 1
		.amdhsa_ieee_mode 1
		.amdhsa_fp16_overflow 0
		.amdhsa_workgroup_processor_mode 1
		.amdhsa_memory_ordered 1
		.amdhsa_forward_progress 1
		.amdhsa_shared_vgpr_count 0
		.amdhsa_exception_fp_ieee_invalid_op 0
		.amdhsa_exception_fp_denorm_src 0
		.amdhsa_exception_fp_ieee_div_zero 0
		.amdhsa_exception_fp_ieee_overflow 0
		.amdhsa_exception_fp_ieee_underflow 0
		.amdhsa_exception_fp_ieee_inexact 0
		.amdhsa_exception_int_div_zero 0
	.end_amdhsa_kernel
	.section	.text._ZN4vllm25paged_attention_v1_kernelI14__hip_bfloat16S1_Li112ELi32ELi128ELNS_18Fp8KVCacheDataTypeE0ELb0EEEvPT_PKS3_PKT0_S9_ifPKiSB_iPKfiiiSD_SD_iiiii,"axG",@progbits,_ZN4vllm25paged_attention_v1_kernelI14__hip_bfloat16S1_Li112ELi32ELi128ELNS_18Fp8KVCacheDataTypeE0ELb0EEEvPT_PKS3_PKT0_S9_ifPKiSB_iPKfiiiSD_SD_iiiii,comdat
.Lfunc_end157:
	.size	_ZN4vllm25paged_attention_v1_kernelI14__hip_bfloat16S1_Li112ELi32ELi128ELNS_18Fp8KVCacheDataTypeE0ELb0EEEvPT_PKS3_PKT0_S9_ifPKiSB_iPKfiiiSD_SD_iiiii, .Lfunc_end157-_ZN4vllm25paged_attention_v1_kernelI14__hip_bfloat16S1_Li112ELi32ELi128ELNS_18Fp8KVCacheDataTypeE0ELb0EEEvPT_PKS3_PKT0_S9_ifPKiSB_iPKfiiiSD_SD_iiiii
                                        ; -- End function
	.set _ZN4vllm25paged_attention_v1_kernelI14__hip_bfloat16S1_Li112ELi32ELi128ELNS_18Fp8KVCacheDataTypeE0ELb0EEEvPT_PKS3_PKT0_S9_ifPKiSB_iPKfiiiSD_SD_iiiii.num_vgpr, 128
	.set _ZN4vllm25paged_attention_v1_kernelI14__hip_bfloat16S1_Li112ELi32ELi128ELNS_18Fp8KVCacheDataTypeE0ELb0EEEvPT_PKS3_PKT0_S9_ifPKiSB_iPKfiiiSD_SD_iiiii.num_agpr, 0
	.set _ZN4vllm25paged_attention_v1_kernelI14__hip_bfloat16S1_Li112ELi32ELi128ELNS_18Fp8KVCacheDataTypeE0ELb0EEEvPT_PKS3_PKT0_S9_ifPKiSB_iPKfiiiSD_SD_iiiii.numbered_sgpr, 32
	.set _ZN4vllm25paged_attention_v1_kernelI14__hip_bfloat16S1_Li112ELi32ELi128ELNS_18Fp8KVCacheDataTypeE0ELb0EEEvPT_PKS3_PKT0_S9_ifPKiSB_iPKfiiiSD_SD_iiiii.num_named_barrier, 0
	.set _ZN4vllm25paged_attention_v1_kernelI14__hip_bfloat16S1_Li112ELi32ELi128ELNS_18Fp8KVCacheDataTypeE0ELb0EEEvPT_PKS3_PKT0_S9_ifPKiSB_iPKfiiiSD_SD_iiiii.private_seg_size, 264
	.set _ZN4vllm25paged_attention_v1_kernelI14__hip_bfloat16S1_Li112ELi32ELi128ELNS_18Fp8KVCacheDataTypeE0ELb0EEEvPT_PKS3_PKT0_S9_ifPKiSB_iPKfiiiSD_SD_iiiii.uses_vcc, 1
	.set _ZN4vllm25paged_attention_v1_kernelI14__hip_bfloat16S1_Li112ELi32ELi128ELNS_18Fp8KVCacheDataTypeE0ELb0EEEvPT_PKS3_PKT0_S9_ifPKiSB_iPKfiiiSD_SD_iiiii.uses_flat_scratch, 0
	.set _ZN4vllm25paged_attention_v1_kernelI14__hip_bfloat16S1_Li112ELi32ELi128ELNS_18Fp8KVCacheDataTypeE0ELb0EEEvPT_PKS3_PKT0_S9_ifPKiSB_iPKfiiiSD_SD_iiiii.has_dyn_sized_stack, 0
	.set _ZN4vllm25paged_attention_v1_kernelI14__hip_bfloat16S1_Li112ELi32ELi128ELNS_18Fp8KVCacheDataTypeE0ELb0EEEvPT_PKS3_PKT0_S9_ifPKiSB_iPKfiiiSD_SD_iiiii.has_recursion, 0
	.set _ZN4vllm25paged_attention_v1_kernelI14__hip_bfloat16S1_Li112ELi32ELi128ELNS_18Fp8KVCacheDataTypeE0ELb0EEEvPT_PKS3_PKT0_S9_ifPKiSB_iPKfiiiSD_SD_iiiii.has_indirect_call, 0
	.section	.AMDGPU.csdata,"",@progbits
; Kernel info:
; codeLenInByte = 18148
; TotalNumSgprs: 34
; NumVgprs: 128
; ScratchSize: 264
; MemoryBound: 0
; FloatMode: 240
; IeeeMode: 1
; LDSByteSize: 256 bytes/workgroup (compile time only)
; SGPRBlocks: 0
; VGPRBlocks: 15
; NumSGPRsForWavesPerEU: 34
; NumVGPRsForWavesPerEU: 128
; Occupancy: 8
; WaveLimiterHint : 1
; COMPUTE_PGM_RSRC2:SCRATCH_EN: 1
; COMPUTE_PGM_RSRC2:USER_SGPR: 6
; COMPUTE_PGM_RSRC2:TRAP_HANDLER: 0
; COMPUTE_PGM_RSRC2:TGID_X_EN: 1
; COMPUTE_PGM_RSRC2:TGID_Y_EN: 1
; COMPUTE_PGM_RSRC2:TGID_Z_EN: 1
; COMPUTE_PGM_RSRC2:TIDIG_COMP_CNT: 0
	.section	.text._ZN4vllm25paged_attention_v1_kernelI14__hip_bfloat16S1_Li120ELi32ELi128ELNS_18Fp8KVCacheDataTypeE0ELb0EEEvPT_PKS3_PKT0_S9_ifPKiSB_iPKfiiiSD_SD_iiiii,"axG",@progbits,_ZN4vllm25paged_attention_v1_kernelI14__hip_bfloat16S1_Li120ELi32ELi128ELNS_18Fp8KVCacheDataTypeE0ELb0EEEvPT_PKS3_PKT0_S9_ifPKiSB_iPKfiiiSD_SD_iiiii,comdat
	.protected	_ZN4vllm25paged_attention_v1_kernelI14__hip_bfloat16S1_Li120ELi32ELi128ELNS_18Fp8KVCacheDataTypeE0ELb0EEEvPT_PKS3_PKT0_S9_ifPKiSB_iPKfiiiSD_SD_iiiii ; -- Begin function _ZN4vllm25paged_attention_v1_kernelI14__hip_bfloat16S1_Li120ELi32ELi128ELNS_18Fp8KVCacheDataTypeE0ELb0EEEvPT_PKS3_PKT0_S9_ifPKiSB_iPKfiiiSD_SD_iiiii
	.globl	_ZN4vllm25paged_attention_v1_kernelI14__hip_bfloat16S1_Li120ELi32ELi128ELNS_18Fp8KVCacheDataTypeE0ELb0EEEvPT_PKS3_PKT0_S9_ifPKiSB_iPKfiiiSD_SD_iiiii
	.p2align	8
	.type	_ZN4vllm25paged_attention_v1_kernelI14__hip_bfloat16S1_Li120ELi32ELi128ELNS_18Fp8KVCacheDataTypeE0ELb0EEEvPT_PKS3_PKT0_S9_ifPKiSB_iPKfiiiSD_SD_iiiii,@function
_ZN4vllm25paged_attention_v1_kernelI14__hip_bfloat16S1_Li120ELi32ELi128ELNS_18Fp8KVCacheDataTypeE0ELb0EEEvPT_PKS3_PKT0_S9_ifPKiSB_iPKfiiiSD_SD_iiiii: ; @_ZN4vllm25paged_attention_v1_kernelI14__hip_bfloat16S1_Li120ELi32ELi128ELNS_18Fp8KVCacheDataTypeE0ELb0EEEvPT_PKS3_PKT0_S9_ifPKiSB_iPKfiiiSD_SD_iiiii
; %bb.0:
	s_mov_b64 s[38:39], s[2:3]
	s_mov_b64 s[36:37], s[0:1]
	s_mov_b32 s10, s7
	s_add_u32 s36, s36, s9
	s_clause 0x2
	s_load_dword s9, s[4:5], 0x80
	s_load_dwordx2 s[0:1], s[4:5], 0x30
	s_load_dwordx2 s[2:3], s[4:5], 0x20
	s_addc_u32 s37, s37, 0
	s_ashr_i32 s11, s7, 31
	v_mov_b32_e32 v104, v0
	s_lshl_b64 s[12:13], s[10:11], 2
	s_mov_b32 s24, 0
	s_waitcnt lgkmcnt(0)
	s_add_u32 s0, s0, s12
	s_addc_u32 s1, s1, s13
	s_abs_i32 s7, s2
	s_abs_i32 s13, s9
	v_cvt_f32_u32_e32 v0, s7
	s_sub_i32 s12, 0, s7
	s_xor_b32 s2, s9, s2
	s_ashr_i32 s2, s2, 31
	v_rcp_iflag_f32_e32 v0, v0
	v_mul_f32_e32 v0, 0x4f7ffffe, v0
	v_cvt_u32_f32_e32 v0, v0
	v_readfirstlane_b32 s11, v0
	s_mul_i32 s12, s12, s11
	s_mul_hi_u32 s12, s11, s12
	s_add_i32 s11, s11, s12
	s_mul_hi_u32 s11, s13, s11
	s_mul_i32 s12, s11, s7
	s_sub_i32 s12, s13, s12
	s_add_i32 s13, s11, 1
	s_sub_i32 s14, s12, s7
	s_cmp_ge_u32 s12, s7
	s_cselect_b32 s11, s13, s11
	s_cselect_b32 s12, s14, s12
	s_add_i32 s13, s11, 1
	s_cmp_ge_u32 s12, s7
	s_cselect_b32 s7, s13, s11
	s_load_dwordx2 s[12:13], s[4:5], 0x40
	s_xor_b32 s7, s7, s2
	s_abs_i32 s16, s6
	s_sub_i32 s17, s7, s2
	s_abs_i32 s2, s17
	v_cvt_f32_u32_e32 v0, s2
	s_sub_i32 s11, 0, s2
	v_rcp_iflag_f32_e32 v0, v0
	v_mul_f32_e32 v0, 0x4f7ffffe, v0
	v_cvt_u32_f32_e32 v0, v0
	v_readfirstlane_b32 s7, v0
	s_mul_i32 s11, s11, s7
	s_mul_hi_u32 s11, s7, s11
	s_add_i32 s7, s7, s11
	s_waitcnt lgkmcnt(0)
	s_cmp_eq_u64 s[12:13], 0
	s_mul_hi_u32 s22, s16, s7
	s_cbranch_scc1 .LBB158_2
; %bb.1:
	s_ashr_i32 s7, s6, 31
	s_lshl_b64 s[14:15], s[6:7], 2
	s_add_u32 s12, s12, s14
	s_addc_u32 s13, s13, s15
	s_load_dword s24, s[12:13], 0x0
.LBB158_2:
	s_load_dword s11, s[0:1], 0x0
	s_clause 0x1
	s_load_dwordx2 s[18:19], s[4:5], 0x28
	s_load_dwordx4 s[12:15], s[4:5], 0x48
	v_lshlrev_b32_e32 v10, 4, v104
	s_ashr_i32 s0, s6, 31
	s_ashr_i32 s1, s17, 31
	s_mulk_i32 s6, 0x78
	s_waitcnt lgkmcnt(0)
	s_mov_b32 s15, exec_lo
	v_cmpx_gt_u32_e32 15, v104
	s_cbranch_execz .LBB158_4
; %bb.3:
	s_load_dwordx2 s[20:21], s[4:5], 0x8
	s_mul_i32 s26, s12, s10
	s_ashr_i32 s27, s26, 31
	s_lshl_b64 s[26:27], s[26:27], 1
	s_waitcnt lgkmcnt(0)
	s_add_u32 s12, s20, s26
	s_addc_u32 s17, s21, s27
	s_ashr_i32 s7, s6, 31
	s_lshl_b64 s[20:21], s[6:7], 1
	s_add_u32 s20, s12, s20
	s_addc_u32 s21, s17, s21
	global_load_dwordx4 v[0:3], v10, s[20:21]
	s_waitcnt vmcnt(0)
	ds_write_b128 v10, v[0:3]
.LBB158_4:
	s_or_b32 exec_lo, exec_lo, s15
	s_add_i32 s7, s11, 31
	s_xor_b32 s0, s0, s1
	s_ashr_i32 s12, s7, 31
	s_load_dword s15, s[4:5], 0x38
	s_lshr_b32 s1, s12, 27
	s_mul_i32 s12, s22, s2
	s_add_i32 s7, s7, s1
	s_sub_i32 s1, s16, s12
	s_ashr_i32 s12, s7, 5
	s_clause 0x2
	s_load_dwordx2 s[16:17], s[4:5], 0x0
	s_load_dwordx2 s[20:21], s[4:5], 0x18
	s_load_dword s7, s[4:5], 0x88
	s_add_i32 s23, s22, 1
	s_sub_i32 s25, s1, s2
	s_cmp_ge_u32 s1, s2
	v_lshrrev_b32_e32 v105, 5, v104
	s_cselect_b32 s22, s23, s22
	s_cselect_b32 s1, s25, s1
	s_add_i32 s23, s22, 1
	s_cmp_ge_u32 s1, s2
	v_and_b32_e32 v106, 31, v104
	s_cselect_b32 s1, s23, s22
	v_mov_b32_e32 v76, 0xff7fffff
	s_xor_b32 s1, s1, s0
	v_lshrrev_b32_e32 v18, 3, v104
	s_sub_i32 s1, s1, s0
	v_cmp_gt_i32_e64 s0, s12, v105
	v_lshlrev_b32_e32 v19, 2, v106
	s_waitcnt lgkmcnt(0)
	s_mul_i32 s22, s15, s10
	s_mul_i32 s14, s1, s14
	s_ashr_i32 s23, s22, 31
	s_barrier
	buffer_gl0_inv
	s_and_saveexec_b32 s25, s0
	s_cbranch_execz .LBB158_8
; %bb.5:
	v_mov_b32_e32 v1, 0
	buffer_store_dword v10, off, s[36:39], 0 offset:276 ; 4-byte Folded Spill
	buffer_store_dword v104, off, s[36:39], 0 offset:264 ; 4-byte Folded Spill
	s_load_dwordx2 s[26:27], s[4:5], 0x10
	s_ashr_i32 s15, s14, 31
	v_cmp_neq_f32_e64 vcc_lo, s24, 0
	ds_read_b128 v[2:5], v1
	ds_read_b128 v[6:9], v1 offset:16
	ds_read_b128 v[10:13], v1 offset:32
	ds_read_b128 v[14:17], v1 offset:48
	s_lshl_b64 s[28:29], s[14:15], 1
	v_lshl_or_b32 v86, v105, 5, v106
	v_mov_b32_e32 v76, 0xff7fffff
	v_mov_b32_e32 v87, v105
	s_mov_b32 s4, s13
	s_mov_b32 s5, 0
	buffer_store_dword v19, off, s[36:39], 0 offset:284 ; 4-byte Folded Spill
	buffer_store_dword v18, off, s[36:39], 0 offset:280 ; 4-byte Folded Spill
	;; [unrolled: 1-line block ×4, first 2 shown]
	s_waitcnt lgkmcnt(0)
	s_add_u32 s1, s26, s28
	v_and_b32_e32 v0, 0xffff0000, v2
	s_addc_u32 s2, s27, s29
	s_lshl_b64 s[26:27], s[22:23], 2
	s_sub_i32 s15, 1, s11
	s_add_u32 s26, s18, s26
	buffer_store_dword v0, off, s[36:39], 0 ; 4-byte Folded Spill
	v_lshlrev_b32_e32 v0, 16, v2
	s_addc_u32 s27, s19, s27
	buffer_store_dword v0, off, s[36:39], 0 offset:4 ; 4-byte Folded Spill
	v_and_b32_e32 v0, 0xffff0000, v6
	buffer_store_dword v0, off, s[36:39], 0 offset:8 ; 4-byte Folded Spill
	v_lshlrev_b32_e32 v0, 16, v6
	buffer_store_dword v0, off, s[36:39], 0 offset:12 ; 4-byte Folded Spill
	v_and_b32_e32 v0, 0xffff0000, v3
	buffer_store_dword v0, off, s[36:39], 0 offset:16 ; 4-byte Folded Spill
	v_lshlrev_b32_e32 v0, 16, v3
	;; [unrolled: 4-line block ×6, first 2 shown]
	ds_read_b128 v[2:5], v1 offset:64
	buffer_store_dword v0, off, s[36:39], 0 offset:52 ; 4-byte Folded Spill
	v_and_b32_e32 v0, 0xffff0000, v9
	buffer_store_dword v0, off, s[36:39], 0 offset:56 ; 4-byte Folded Spill
	v_lshlrev_b32_e32 v0, 16, v9
	buffer_store_dword v0, off, s[36:39], 0 offset:60 ; 4-byte Folded Spill
	v_and_b32_e32 v0, 0xffff0000, v10
	buffer_store_dword v0, off, s[36:39], 0 offset:64 ; 4-byte Folded Spill
	v_lshlrev_b32_e32 v0, 16, v10
	;; [unrolled: 4-line block ×9, first 2 shown]
	buffer_store_dword v0, off, s[36:39], 0 offset:124 ; 4-byte Folded Spill
	s_waitcnt lgkmcnt(0)
	v_and_b32_e32 v0, 0xffff0000, v2
	buffer_store_dword v0, off, s[36:39], 0 offset:128 ; 4-byte Folded Spill
	v_lshlrev_b32_e32 v0, 16, v2
	buffer_store_dword v0, off, s[36:39], 0 offset:132 ; 4-byte Folded Spill
	v_and_b32_e32 v0, 0xffff0000, v3
	buffer_store_dword v0, off, s[36:39], 0 offset:136 ; 4-byte Folded Spill
	v_lshlrev_b32_e32 v0, 16, v3
	buffer_store_dword v0, off, s[36:39], 0 offset:140 ; 4-byte Folded Spill
	v_and_b32_e32 v0, 0xffff0000, v4
	buffer_store_dword v0, off, s[36:39], 0 offset:144 ; 4-byte Folded Spill
	v_lshlrev_b32_e32 v0, 16, v4
	buffer_store_dword v0, off, s[36:39], 0 offset:148 ; 4-byte Folded Spill
	v_and_b32_e32 v0, 0xffff0000, v5
	buffer_store_dword v0, off, s[36:39], 0 offset:152 ; 4-byte Folded Spill
	v_lshlrev_b32_e32 v0, 16, v5
	ds_read_b128 v[2:5], v1 offset:80
	buffer_store_dword v0, off, s[36:39], 0 offset:156 ; 4-byte Folded Spill
	s_waitcnt lgkmcnt(0)
	v_and_b32_e32 v0, 0xffff0000, v2
	buffer_store_dword v0, off, s[36:39], 0 offset:160 ; 4-byte Folded Spill
	v_lshlrev_b32_e32 v0, 16, v2
	buffer_store_dword v0, off, s[36:39], 0 offset:164 ; 4-byte Folded Spill
	v_and_b32_e32 v0, 0xffff0000, v3
	buffer_store_dword v0, off, s[36:39], 0 offset:168 ; 4-byte Folded Spill
	v_lshlrev_b32_e32 v0, 16, v3
	buffer_store_dword v0, off, s[36:39], 0 offset:172 ; 4-byte Folded Spill
	v_and_b32_e32 v0, 0xffff0000, v4
	buffer_store_dword v0, off, s[36:39], 0 offset:176 ; 4-byte Folded Spill
	v_lshlrev_b32_e32 v0, 16, v4
	buffer_store_dword v0, off, s[36:39], 0 offset:180 ; 4-byte Folded Spill
	v_and_b32_e32 v0, 0xffff0000, v5
	buffer_store_dword v0, off, s[36:39], 0 offset:184 ; 4-byte Folded Spill
	v_lshlrev_b32_e32 v0, 16, v5
	ds_read_b128 v[2:5], v1 offset:96
	;; [unrolled: 18-line block ×4, first 2 shown]
	buffer_store_dword v0, off, s[36:39], 0 offset:252 ; 4-byte Folded Spill
	s_waitcnt lgkmcnt(0)
	v_and_b32_e32 v0, 0xffff0000, v2
	v_and_b32_e32 v114, 0xffff0000, v3
	v_lshlrev_b32_e32 v115, 16, v3
	v_and_b32_e32 v116, 0xffff0000, v4
	v_lshlrev_b32_e32 v117, 16, v4
	buffer_store_dword v0, off, s[36:39], 0 offset:256 ; 4-byte Folded Spill
	v_lshlrev_b32_e32 v0, 16, v2
	v_and_b32_e32 v118, 0xffff0000, v5
	v_lshlrev_b32_e32 v119, 16, v5
	ds_read_b128 v[2:5], v1 offset:144
	buffer_store_dword v0, off, s[36:39], 0 offset:260 ; 4-byte Folded Spill
	s_waitcnt lgkmcnt(0)
	v_and_b32_e32 v120, 0xffff0000, v2
	v_lshlrev_b32_e32 v121, 16, v2
	v_and_b32_e32 v122, 0xffff0000, v3
	v_lshlrev_b32_e32 v123, 16, v3
	v_and_b32_e32 v124, 0xffff0000, v4
	v_lshlrev_b32_e32 v125, 16, v4
	v_and_b32_e32 v126, 0xffff0000, v5
	v_lshlrev_b32_e32 v127, 16, v5
	ds_read_b128 v[2:5], v1 offset:160
	s_waitcnt lgkmcnt(0)
	v_and_b32_e32 v44, 0xffff0000, v2
	v_lshlrev_b32_e32 v43, 16, v2
	v_and_b32_e32 v45, 0xffff0000, v3
	v_lshlrev_b32_e32 v72, 16, v3
	v_and_b32_e32 v71, 0xffff0000, v4
	v_lshlrev_b32_e32 v46, 16, v4
	v_and_b32_e32 v0, 0xffff0000, v5
	v_lshlrev_b32_e32 v47, 16, v5
	ds_read_b128 v[2:5], v1 offset:176
	s_waitcnt lgkmcnt(0)
	v_and_b32_e32 v48, 0xffff0000, v2
	v_lshlrev_b32_e32 v49, 16, v2
	v_and_b32_e32 v50, 0xffff0000, v3
	v_lshlrev_b32_e32 v51, 16, v3
	v_and_b32_e32 v52, 0xffff0000, v4
	v_lshlrev_b32_e32 v53, 16, v4
	v_and_b32_e32 v54, 0xffff0000, v5
	v_lshlrev_b32_e32 v55, 16, v5
	ds_read_b128 v[2:5], v1 offset:192
	s_waitcnt lgkmcnt(0)
	v_and_b32_e32 v56, 0xffff0000, v2
	v_lshlrev_b32_e32 v57, 16, v2
	v_and_b32_e32 v58, 0xffff0000, v3
	v_lshlrev_b32_e32 v59, 16, v3
	v_and_b32_e32 v60, 0xffff0000, v4
	v_lshlrev_b32_e32 v61, 16, v4
	v_and_b32_e32 v62, 0xffff0000, v5
	v_lshlrev_b32_e32 v63, 16, v5
	ds_read_b128 v[2:5], v1 offset:208
	s_waitcnt lgkmcnt(0)
	v_and_b32_e32 v64, 0xffff0000, v2
	v_lshlrev_b32_e32 v65, 16, v2
	v_and_b32_e32 v66, 0xffff0000, v3
	v_lshlrev_b32_e32 v67, 16, v3
	;; [unrolled: 2-line block ×3, first 2 shown]
	ds_read_b128 v[1:4], v1 offset:224
	v_and_b32_e32 v70, 0xffff0000, v5
	v_lshlrev_b32_e32 v73, 16, v5
	s_waitcnt lgkmcnt(0)
	v_and_b32_e32 v74, 0xffff0000, v1
	v_lshlrev_b32_e32 v75, 16, v1
	v_lshl_or_b32 v1, v105, 7, v19
	v_and_b32_e32 v77, 0xffff0000, v2
	v_lshlrev_b32_e32 v78, 16, v2
	v_and_b32_e32 v79, 0xffff0000, v3
	v_lshlrev_b32_e32 v80, 16, v3
	v_add_nc_u32_e32 v83, 0x110, v1
	v_and_b32_e32 v1, 0x7c, v18
	v_and_b32_e32 v81, 0xffff0000, v4
	v_lshlrev_b32_e32 v82, 16, v4
	v_add_co_u32 v41, s26, s26, v1
	v_lshlrev_b32_e32 v1, 4, v106
	v_add_co_ci_u32_e64 v42, null, s27, 0, s26
	v_add_co_u32 v84, s1, s1, v1
	v_add_co_ci_u32_e64 v85, null, s2, 0, s1
.LBB158_6:                              ; =>This Inner Loop Header: Depth=1
	global_load_dword v1, v[41:42], off
	v_add_nc_u32_e32 v3, s15, v86
	v_add_nc_u32_e32 v87, 4, v87
	v_cvt_f32_i32_e32 v3, v3
	v_mul_f32_e32 v3, s24, v3
	v_cndmask_b32_e32 v88, 0, v3, vcc_lo
	s_waitcnt vmcnt(0)
	v_mad_i64_i32 v[1:2], null, v1, s4, 0
	v_lshlrev_b64 v[1:2], 1, v[1:2]
	v_add_co_u32 v1, s1, v84, v1
	v_add_co_ci_u32_e64 v2, null, v85, v2, s1
	v_cmp_gt_i32_e64 s1, s11, v86
	v_add_nc_u32_e32 v86, 0x80, v86
	s_clause 0x2
	global_load_dwordx4 v[3:6], v[1:2], off
	global_load_dwordx4 v[7:10], v[1:2], off offset:512
	global_load_dwordx4 v[11:14], v[1:2], off offset:1024
	buffer_load_dword v17, off, s[36:39], 0 offset:8 ; 4-byte Folded Reload
	s_waitcnt vmcnt(3)
	v_and_b32_e32 v15, 0xffff0000, v3
	s_waitcnt vmcnt(2)
	v_lshlrev_b32_e32 v16, 16, v7
	v_and_b32_e32 v7, 0xffff0000, v7
	v_lshlrev_b32_e32 v3, 16, v3
	s_waitcnt vmcnt(0)
	v_mul_f32_e32 v89, v17, v7
	buffer_load_dword v7, off, s[36:39], 0 offset:12 ; 4-byte Folded Reload
	s_waitcnt vmcnt(0)
	v_mul_f32_e32 v90, v7, v16
	buffer_load_dword v7, off, s[36:39], 0 offset:4 ; 4-byte Folded Reload
	s_waitcnt vmcnt(0)
	v_fmac_f32_e32 v90, v7, v3
	buffer_load_dword v3, off, s[36:39], 0  ; 4-byte Folded Reload
	v_and_b32_e32 v7, 0xffff0000, v11
	s_waitcnt vmcnt(0)
	v_fmac_f32_e32 v89, v3, v15
	v_lshlrev_b32_e32 v3, 16, v11
	buffer_load_dword v11, off, s[36:39], 0 offset:64 ; 4-byte Folded Reload
	s_waitcnt vmcnt(0)
	v_fmac_f32_e32 v89, v11, v7
	s_clause 0x1
	buffer_load_dword v7, off, s[36:39], 0 offset:68
	buffer_load_dword v11, off, s[36:39], 0 offset:24
	s_waitcnt vmcnt(1)
	v_fmac_f32_e32 v90, v7, v3
	v_lshlrev_b32_e32 v7, 16, v8
	v_and_b32_e32 v8, 0xffff0000, v8
	v_and_b32_e32 v3, 0xffff0000, v4
	v_lshlrev_b32_e32 v4, 16, v4
	s_waitcnt vmcnt(0)
	v_mul_f32_e32 v91, v11, v8
	buffer_load_dword v8, off, s[36:39], 0 offset:28 ; 4-byte Folded Reload
	s_waitcnt vmcnt(0)
	v_mul_f32_e32 v92, v8, v7
	s_clause 0x1
	buffer_load_dword v7, off, s[36:39], 0 offset:20
	buffer_load_dword v8, off, s[36:39], 0 offset:40
	s_waitcnt vmcnt(1)
	v_fmac_f32_e32 v92, v7, v4
	s_clause 0x1
	buffer_load_dword v4, off, s[36:39], 0 offset:16
	buffer_load_dword v7, off, s[36:39], 0 offset:72
	s_waitcnt vmcnt(1)
	v_fmac_f32_e32 v91, v4, v3
	v_and_b32_e32 v4, 0xffff0000, v12
	v_lshlrev_b32_e32 v3, 16, v12
	s_waitcnt vmcnt(0)
	v_fmac_f32_e32 v91, v7, v4
	buffer_load_dword v4, off, s[36:39], 0 offset:76 ; 4-byte Folded Reload
	v_and_b32_e32 v7, 0xffff0000, v9
	v_mul_f32_e32 v93, v8, v7
	buffer_load_dword v7, off, s[36:39], 0 offset:44 ; 4-byte Folded Reload
	s_waitcnt vmcnt(1)
	v_fmac_f32_e32 v92, v4, v3
	v_and_b32_e32 v3, 0xffff0000, v5
	v_lshlrev_b32_e32 v4, 16, v5
	v_lshlrev_b32_e32 v5, 16, v9
	s_waitcnt vmcnt(0)
	v_mul_f32_e32 v94, v7, v5
	s_clause 0x1
	buffer_load_dword v5, off, s[36:39], 0 offset:36
	buffer_load_dword v7, off, s[36:39], 0 offset:56
	s_waitcnt vmcnt(1)
	v_fmac_f32_e32 v94, v5, v4
	s_clause 0x1
	buffer_load_dword v4, off, s[36:39], 0 offset:32
	buffer_load_dword v5, off, s[36:39], 0 offset:80
	s_waitcnt vmcnt(1)
	v_fmac_f32_e32 v93, v4, v3
	v_and_b32_e32 v4, 0xffff0000, v13
	v_lshlrev_b32_e32 v3, 16, v13
	s_waitcnt vmcnt(0)
	v_fmac_f32_e32 v93, v5, v4
	buffer_load_dword v4, off, s[36:39], 0 offset:84 ; 4-byte Folded Reload
	v_lshlrev_b32_e32 v5, 16, v10
	s_waitcnt vmcnt(0)
	v_fmac_f32_e32 v94, v4, v3
	v_and_b32_e32 v3, 0xffff0000, v6
	v_lshlrev_b32_e32 v4, 16, v6
	v_and_b32_e32 v6, 0xffff0000, v10
	v_mul_f32_e32 v95, v7, v6
	buffer_load_dword v6, off, s[36:39], 0 offset:60 ; 4-byte Folded Reload
	v_add_co_u32 v7, s2, 0x800, v1
	v_add_co_ci_u32_e64 v8, null, 0, v2, s2
	v_add_co_u32 v9, s2, v1, 0x1000
	v_add_co_ci_u32_e64 v10, null, 0, v2, s2
	s_waitcnt vmcnt(0)
	v_mul_f32_e32 v96, v6, v5
	buffer_load_dword v5, off, s[36:39], 0 offset:52 ; 4-byte Folded Reload
	s_waitcnt vmcnt(0)
	v_fmac_f32_e32 v96, v5, v4
	s_clause 0x1
	buffer_load_dword v4, off, s[36:39], 0 offset:48
	buffer_load_dword v5, off, s[36:39], 0 offset:88
	s_waitcnt vmcnt(1)
	v_fmac_f32_e32 v95, v4, v3
	v_and_b32_e32 v4, 0xffff0000, v14
	v_lshlrev_b32_e32 v3, 16, v14
	s_waitcnt vmcnt(0)
	v_fmac_f32_e32 v95, v5, v4
	buffer_load_dword v4, off, s[36:39], 0 offset:92 ; 4-byte Folded Reload
	s_waitcnt vmcnt(0)
	v_fmac_f32_e32 v96, v4, v3
	global_load_dwordx4 v[3:6], v[1:2], off offset:1536
	s_waitcnt vmcnt(0)
	v_and_b32_e32 v105, 0xffff0000, v3
	v_lshlrev_b32_e32 v106, 16, v3
	v_and_b32_e32 v107, 0xffff0000, v4
	v_lshlrev_b32_e32 v108, 16, v4
	;; [unrolled: 2-line block ×4, first 2 shown]
	s_clause 0x3
	global_load_dwordx4 v[3:6], v[9:10], off offset:-2048
	global_load_dwordx4 v[37:40], v[7:8], off offset:512
	global_load_dwordx4 v[33:36], v[7:8], off offset:1024
	;; [unrolled: 1-line block ×3, first 2 shown]
	s_waitcnt vmcnt(3)
	v_lshlrev_b32_e32 v109, 16, v3
	v_and_b32_e32 v110, 0xffff0000, v3
	v_add_co_u32 v3, s2, 0x1000, v1
	v_lshlrev_b32_e32 v111, 16, v4
	v_and_b32_e32 v112, 0xffff0000, v4
	v_add_co_ci_u32_e64 v4, null, 0, v2, s2
	v_add_co_u32 v1, s2, 0x1800, v1
	v_add_co_ci_u32_e64 v2, null, 0, v2, s2
	v_lshlrev_b32_e32 v103, 16, v5
	v_and_b32_e32 v104, 0xffff0000, v5
	v_lshlrev_b32_e32 v99, 16, v6
	v_and_b32_e32 v100, 0xffff0000, v6
	s_clause 0x6
	global_load_dwordx4 v[25:28], v[9:10], off
	global_load_dwordx4 v[21:24], v[3:4], off offset:512
	global_load_dwordx4 v[17:20], v[3:4], off offset:1024
	;; [unrolled: 1-line block ×3, first 2 shown]
	global_load_dwordx4 v[9:12], v[1:2], off
	global_load_dwordx4 v[5:8], v[1:2], off offset:512
	global_load_dwordx4 v[1:4], v[1:2], off offset:1024
	buffer_load_dword v113, off, s[36:39], 0 offset:100 ; 4-byte Folded Reload
	s_waitcnt vmcnt(0)
	v_fmac_f32_e32 v90, v113, v106
	buffer_load_dword v106, off, s[36:39], 0 offset:96 ; 4-byte Folded Reload
	s_waitcnt vmcnt(0)
	v_fmac_f32_e32 v89, v106, v105
	s_clause 0x1
	buffer_load_dword v105, off, s[36:39], 0 offset:128
	buffer_load_dword v106, off, s[36:39], 0 offset:164
	s_waitcnt vmcnt(1)
	v_fmac_f32_e32 v89, v105, v110
	buffer_load_dword v105, off, s[36:39], 0 offset:132 ; 4-byte Folded Reload
	s_waitcnt vmcnt(0)
	v_fmac_f32_e32 v90, v105, v109
	v_and_b32_e32 v105, 0xffff0000, v37
	v_lshlrev_b32_e32 v37, 16, v37
	v_fmac_f32_e32 v90, v106, v37
	buffer_load_dword v37, off, s[36:39], 0 offset:160 ; 4-byte Folded Reload
	s_waitcnt vmcnt(0)
	v_fmac_f32_e32 v89, v37, v105
	buffer_load_dword v105, off, s[36:39], 0 offset:192 ; 4-byte Folded Reload
	v_lshlrev_b32_e32 v37, 16, v33
	v_and_b32_e32 v33, 0xffff0000, v33
	s_waitcnt vmcnt(0)
	v_fmac_f32_e32 v89, v105, v33
	buffer_load_dword v33, off, s[36:39], 0 offset:196 ; 4-byte Folded Reload
	s_waitcnt vmcnt(0)
	v_fmac_f32_e32 v90, v33, v37
	buffer_load_dword v37, off, s[36:39], 0 offset:228 ; 4-byte Folded Reload
	v_and_b32_e32 v33, 0xffff0000, v29
	v_lshlrev_b32_e32 v29, 16, v29
	s_waitcnt vmcnt(0)
	v_fmac_f32_e32 v90, v37, v29
	buffer_load_dword v29, off, s[36:39], 0 offset:224 ; 4-byte Folded Reload
	s_waitcnt vmcnt(0)
	v_fmac_f32_e32 v89, v29, v33
	buffer_load_dword v33, off, s[36:39], 0 offset:256 ; 4-byte Folded Reload
	v_lshlrev_b32_e32 v29, 16, v25
	v_and_b32_e32 v25, 0xffff0000, v25
	s_waitcnt vmcnt(0)
	v_fmac_f32_e32 v89, v33, v25
	buffer_load_dword v25, off, s[36:39], 0 offset:260 ; 4-byte Folded Reload
	s_waitcnt vmcnt(0)
	v_fmac_f32_e32 v90, v25, v29
	v_and_b32_e32 v25, 0xffff0000, v21
	v_lshlrev_b32_e32 v21, 16, v21
	v_fmac_f32_e32 v89, v120, v25
	v_fmac_f32_e32 v90, v121, v21
	v_lshlrev_b32_e32 v21, 16, v17
	v_and_b32_e32 v17, 0xffff0000, v17
	v_fmac_f32_e32 v90, v43, v21
	v_fmac_f32_e32 v89, v44, v17
	v_and_b32_e32 v17, 0xffff0000, v13
	v_lshlrev_b32_e32 v13, 16, v13
	v_fmac_f32_e32 v89, v48, v17
	v_fmac_f32_e32 v90, v49, v13
	v_lshlrev_b32_e32 v13, 16, v9
	v_and_b32_e32 v9, 0xffff0000, v9
	v_fmac_f32_e32 v90, v57, v13
	v_fmac_f32_e32 v89, v56, v9
	v_and_b32_e32 v9, 0xffff0000, v5
	v_lshlrev_b32_e32 v5, 16, v5
	v_fmac_f32_e32 v89, v64, v9
	v_fmac_f32_e32 v90, v65, v5
	v_lshlrev_b32_e32 v5, 16, v1
	v_and_b32_e32 v1, 0xffff0000, v1
	buffer_load_dword v9, off, s[36:39], 0 offset:172 ; 4-byte Folded Reload
	v_fmac_f32_e32 v90, v75, v5
	v_fmac_f32_e32 v89, v74, v1
	buffer_load_dword v1, off, s[36:39], 0 offset:108 ; 4-byte Folded Reload
	v_lshlrev_b32_e32 v5, 16, v38
	s_waitcnt vmcnt(0)
	v_fmac_f32_e32 v92, v1, v108
	buffer_load_dword v1, off, s[36:39], 0 offset:104 ; 4-byte Folded Reload
	s_waitcnt vmcnt(0)
	v_fmac_f32_e32 v91, v1, v107
	buffer_load_dword v1, off, s[36:39], 0 offset:136 ; 4-byte Folded Reload
	s_waitcnt vmcnt(0)
	v_fmac_f32_e32 v91, v1, v112
	buffer_load_dword v1, off, s[36:39], 0 offset:140 ; 4-byte Folded Reload
	s_waitcnt vmcnt(0)
	v_fmac_f32_e32 v92, v1, v111
	v_and_b32_e32 v1, 0xffff0000, v38
	v_fmac_f32_e32 v92, v9, v5
	s_clause 0x1
	buffer_load_dword v5, off, s[36:39], 0 offset:168
	buffer_load_dword v9, off, s[36:39], 0 offset:200
	s_waitcnt vmcnt(1)
	v_fmac_f32_e32 v91, v5, v1
	v_and_b32_e32 v5, 0xffff0000, v34
	v_lshlrev_b32_e32 v1, 16, v34
	s_waitcnt vmcnt(0)
	v_fmac_f32_e32 v91, v9, v5
	s_clause 0x1
	buffer_load_dword v5, off, s[36:39], 0 offset:204
	buffer_load_dword v9, off, s[36:39], 0 offset:236
	s_waitcnt vmcnt(1)
	v_fmac_f32_e32 v92, v5, v1
	v_lshlrev_b32_e32 v5, 16, v30
	v_and_b32_e32 v1, 0xffff0000, v30
	s_waitcnt vmcnt(0)
	v_fmac_f32_e32 v92, v9, v5
	buffer_load_dword v5, off, s[36:39], 0 offset:232 ; 4-byte Folded Reload
	s_waitcnt vmcnt(0)
	v_fmac_f32_e32 v91, v5, v1
	v_lshlrev_b32_e32 v1, 16, v26
	v_and_b32_e32 v5, 0xffff0000, v26
	v_fmac_f32_e32 v92, v115, v1
	v_fmac_f32_e32 v91, v114, v5
	v_and_b32_e32 v1, 0xffff0000, v22
	v_lshlrev_b32_e32 v5, 16, v22
	v_fmac_f32_e32 v91, v122, v1
	v_fmac_f32_e32 v92, v123, v5
	v_lshlrev_b32_e32 v1, 16, v18
	v_and_b32_e32 v5, 0xffff0000, v18
	v_fmac_f32_e32 v92, v72, v1
	v_fmac_f32_e32 v91, v45, v5
	v_and_b32_e32 v1, 0xffff0000, v14
	v_lshlrev_b32_e32 v5, 16, v14
	v_fmac_f32_e32 v91, v50, v1
	;; [unrolled: 8-line block ×3, first 2 shown]
	v_fmac_f32_e32 v92, v67, v5
	v_lshlrev_b32_e32 v1, 16, v2
	v_and_b32_e32 v2, 0xffff0000, v2
	buffer_load_dword v5, off, s[36:39], 0 offset:180 ; 4-byte Folded Reload
	v_fmac_f32_e32 v92, v78, v1
	buffer_load_dword v1, off, s[36:39], 0 offset:116 ; 4-byte Folded Reload
	v_fmac_f32_e32 v91, v77, v2
	v_lshlrev_b32_e32 v2, 16, v39
	s_waitcnt vmcnt(0)
	v_fmac_f32_e32 v94, v1, v102
	buffer_load_dword v1, off, s[36:39], 0 offset:112 ; 4-byte Folded Reload
	s_waitcnt vmcnt(0)
	v_fmac_f32_e32 v93, v1, v101
	buffer_load_dword v1, off, s[36:39], 0 offset:144 ; 4-byte Folded Reload
	;; [unrolled: 3-line block ×3, first 2 shown]
	s_waitcnt vmcnt(0)
	v_fmac_f32_e32 v94, v1, v103
	v_and_b32_e32 v1, 0xffff0000, v39
	v_fmac_f32_e32 v94, v5, v2
	s_clause 0x1
	buffer_load_dword v2, off, s[36:39], 0 offset:176
	buffer_load_dword v5, off, s[36:39], 0 offset:208
	s_waitcnt vmcnt(1)
	v_fmac_f32_e32 v93, v2, v1
	v_and_b32_e32 v2, 0xffff0000, v35
	v_lshlrev_b32_e32 v1, 16, v35
	s_waitcnt vmcnt(0)
	v_fmac_f32_e32 v93, v5, v2
	s_clause 0x1
	buffer_load_dword v2, off, s[36:39], 0 offset:212
	buffer_load_dword v5, off, s[36:39], 0 offset:244
	s_waitcnt vmcnt(1)
	v_fmac_f32_e32 v94, v2, v1
	v_lshlrev_b32_e32 v2, 16, v31
	v_and_b32_e32 v1, 0xffff0000, v31
	s_waitcnt vmcnt(0)
	v_fmac_f32_e32 v94, v5, v2
	buffer_load_dword v2, off, s[36:39], 0 offset:240 ; 4-byte Folded Reload
	s_waitcnt vmcnt(0)
	v_fmac_f32_e32 v93, v2, v1
	v_lshlrev_b32_e32 v1, 16, v27
	v_and_b32_e32 v2, 0xffff0000, v27
	v_fmac_f32_e32 v94, v117, v1
	v_fmac_f32_e32 v93, v116, v2
	v_and_b32_e32 v1, 0xffff0000, v23
	v_lshlrev_b32_e32 v2, 16, v23
	v_fmac_f32_e32 v93, v124, v1
	v_fmac_f32_e32 v94, v125, v2
	v_lshlrev_b32_e32 v1, 16, v19
	v_and_b32_e32 v2, 0xffff0000, v19
	v_fmac_f32_e32 v94, v46, v1
	v_fmac_f32_e32 v93, v71, v2
	v_and_b32_e32 v1, 0xffff0000, v15
	v_lshlrev_b32_e32 v2, 16, v15
	v_fmac_f32_e32 v93, v52, v1
	;; [unrolled: 8-line block ×3, first 2 shown]
	v_fmac_f32_e32 v94, v69, v2
	v_lshlrev_b32_e32 v1, 16, v3
	v_and_b32_e32 v2, 0xffff0000, v3
	buffer_load_dword v3, off, s[36:39], 0 offset:188 ; 4-byte Folded Reload
	v_fmac_f32_e32 v94, v80, v1
	buffer_load_dword v1, off, s[36:39], 0 offset:124 ; 4-byte Folded Reload
	v_fmac_f32_e32 v93, v79, v2
	v_lshlrev_b32_e32 v2, 16, v40
	s_waitcnt vmcnt(0)
	v_fmac_f32_e32 v96, v1, v98
	buffer_load_dword v1, off, s[36:39], 0 offset:120 ; 4-byte Folded Reload
	s_waitcnt vmcnt(0)
	v_fmac_f32_e32 v95, v1, v97
	buffer_load_dword v1, off, s[36:39], 0 offset:152 ; 4-byte Folded Reload
	;; [unrolled: 3-line block ×3, first 2 shown]
	s_waitcnt vmcnt(0)
	v_fmac_f32_e32 v96, v1, v99
	v_and_b32_e32 v1, 0xffff0000, v40
	v_fmac_f32_e32 v96, v3, v2
	s_clause 0x1
	buffer_load_dword v2, off, s[36:39], 0 offset:184
	buffer_load_dword v3, off, s[36:39], 0 offset:216
	s_waitcnt vmcnt(1)
	v_fmac_f32_e32 v95, v2, v1
	v_and_b32_e32 v2, 0xffff0000, v36
	v_lshlrev_b32_e32 v1, 16, v36
	s_waitcnt vmcnt(0)
	v_fmac_f32_e32 v95, v3, v2
	s_clause 0x1
	buffer_load_dword v2, off, s[36:39], 0 offset:220
	buffer_load_dword v3, off, s[36:39], 0 offset:252
	s_waitcnt vmcnt(1)
	v_fmac_f32_e32 v96, v2, v1
	v_lshlrev_b32_e32 v2, 16, v32
	v_and_b32_e32 v1, 0xffff0000, v32
	s_waitcnt vmcnt(0)
	v_fmac_f32_e32 v96, v3, v2
	buffer_load_dword v2, off, s[36:39], 0 offset:248 ; 4-byte Folded Reload
	s_waitcnt vmcnt(0)
	v_fmac_f32_e32 v95, v2, v1
	v_lshlrev_b32_e32 v1, 16, v28
	v_and_b32_e32 v2, 0xffff0000, v28
	v_fmac_f32_e32 v96, v119, v1
	v_fmac_f32_e32 v95, v118, v2
	v_and_b32_e32 v1, 0xffff0000, v24
	v_lshlrev_b32_e32 v2, 16, v24
	v_fmac_f32_e32 v95, v126, v1
	v_fmac_f32_e32 v96, v127, v2
	v_lshlrev_b32_e32 v1, 16, v20
	v_and_b32_e32 v2, 0xffff0000, v20
	v_fmac_f32_e32 v96, v47, v1
	v_fmac_f32_e32 v95, v0, v2
	v_and_b32_e32 v1, 0xffff0000, v16
	v_lshlrev_b32_e32 v2, 16, v16
	v_fmac_f32_e32 v95, v54, v1
	;; [unrolled: 8-line block ×3, first 2 shown]
	v_fmac_f32_e32 v96, v73, v2
	v_lshlrev_b32_e32 v1, 16, v4
	v_and_b32_e32 v2, 0xffff0000, v4
	v_fmac_f32_e32 v96, v82, v1
	v_add_f32_e32 v1, v90, v89
	v_fmac_f32_e32 v95, v81, v2
	v_add_f32_e32 v1, v1, v92
	v_add_f32_e32 v1, v91, v1
	;; [unrolled: 1-line block ×6, first 2 shown]
	v_fmac_f32_e32 v88, s3, v1
	v_cndmask_b32_e64 v1, 0, v88, s1
	ds_write_b32 v83, v1
	v_max_f32_e32 v1, v76, v76
	v_add_nc_u32_e32 v83, 0x200, v83
	v_max_f32_e32 v1, v1, v88
	v_cndmask_b32_e64 v76, v76, v1, s1
	v_add_co_u32 v41, s1, v41, 16
	v_add_co_ci_u32_e64 v42, null, 0, v42, s1
	v_cmp_le_i32_e64 s1, s12, v87
	s_or_b32 s5, s1, s5
	s_andn2_b32 exec_lo, exec_lo, s5
	s_cbranch_execnz .LBB158_6
; %bb.7:
	s_or_b32 exec_lo, exec_lo, s5
	s_clause 0x5
	buffer_load_dword v104, off, s[36:39], 0 offset:264
	buffer_load_dword v105, off, s[36:39], 0 offset:268
	;; [unrolled: 1-line block ×6, first 2 shown]
.LBB158_8:
	s_or_b32 exec_lo, exec_lo, s25
	v_mbcnt_lo_u32_b32 v1, -1, 0
	v_max_f32_e32 v4, v76, v76
	v_xor_b32_e32 v0, 16, v1
	v_xor_b32_e32 v3, 8, v1
	v_cmp_gt_i32_e32 vcc_lo, 32, v0
	v_cndmask_b32_e32 v0, v1, v0, vcc_lo
	v_cmp_gt_i32_e32 vcc_lo, 32, v3
	v_lshlrev_b32_e32 v0, 2, v0
	v_cndmask_b32_e32 v3, v1, v3, vcc_lo
	ds_bpermute_b32 v2, v0, v76
	s_waitcnt lgkmcnt(0)
	v_max_f32_e32 v5, v2, v2
	v_lshlrev_b32_e32 v2, 2, v3
	v_max_f32_e32 v4, v4, v5
	v_xor_b32_e32 v5, 4, v1
	ds_bpermute_b32 v3, v2, v4
	v_cmp_gt_i32_e32 vcc_lo, 32, v5
	v_cndmask_b32_e32 v5, v1, v5, vcc_lo
	s_waitcnt lgkmcnt(0)
	v_max_f32_e32 v6, v3, v3
	v_lshlrev_b32_e32 v3, 2, v5
	v_max_f32_e32 v4, v4, v6
	v_xor_b32_e32 v6, 2, v1
	ds_bpermute_b32 v5, v3, v4
	v_cmp_gt_i32_e32 vcc_lo, 32, v6
	v_cndmask_b32_e32 v6, v1, v6, vcc_lo
	v_lshlrev_b32_e32 v74, 2, v6
	v_xor_b32_e32 v6, 1, v1
	v_cmp_gt_i32_e32 vcc_lo, 32, v6
	s_waitcnt lgkmcnt(0)
	v_max_f32_e32 v5, v5, v5
	v_cndmask_b32_e32 v6, v1, v6, vcc_lo
	s_waitcnt vmcnt(3)
	v_cmp_eq_u32_e32 vcc_lo, 0, v106
	v_max_f32_e32 v4, v4, v5
	v_lshlrev_b32_e32 v73, 2, v6
	ds_bpermute_b32 v5, v74, v4
	s_waitcnt lgkmcnt(0)
	v_max_f32_e32 v5, v5, v5
	v_max_f32_e32 v1, v4, v5
	v_lshlrev_b32_e32 v4, 2, v105
	ds_bpermute_b32 v5, v73, v1
	s_and_saveexec_b32 s1, vcc_lo
	s_cbranch_execz .LBB158_10
; %bb.9:
	s_waitcnt lgkmcnt(0)
	v_max_f32_e32 v5, v5, v5
	v_max_f32_e32 v1, v1, v1
	;; [unrolled: 1-line block ×3, first 2 shown]
	ds_write_b32 v4, v1 offset:240
.LBB158_10:
	s_or_b32 exec_lo, exec_lo, s1
	v_cmp_gt_u32_e64 s1, 4, v106
	v_mov_b32_e32 v1, 0xff7fffff
	s_waitcnt vmcnt(0) lgkmcnt(0)
	s_waitcnt_vscnt null, 0x0
	s_barrier
	buffer_gl0_inv
	s_and_saveexec_b32 s2, s1
; %bb.11:
	ds_read_b32 v1, v19 offset:240
; %bb.12:
	s_or_b32 exec_lo, exec_lo, s2
	s_waitcnt lgkmcnt(0)
	ds_bpermute_b32 v5, v74, v1
	v_max_f32_e32 v1, v1, v1
	s_lshl_b32 s2, s12, 5
	s_min_i32 s4, s2, s11
	v_cmp_gt_i32_e64 s2, s4, v104
	s_waitcnt lgkmcnt(0)
	v_max_f32_e32 v5, v5, v5
	v_max_f32_e32 v1, v1, v5
	ds_bpermute_b32 v5, v73, v1
	s_waitcnt lgkmcnt(0)
	v_max_f32_e32 v5, v5, v5
	v_max_f32_e32 v1, v1, v5
	v_mov_b32_e32 v5, 0
	ds_bpermute_b32 v6, v5, v1
	v_lshl_add_u32 v1, v104, 2, 0x110
	s_and_saveexec_b32 s5, s2
	s_cbranch_execz .LBB158_16
; %bb.13:
	v_lshl_add_u32 v7, v104, 2, 0x110
	v_mov_b32_e32 v5, 0
	v_mov_b32_e32 v8, v104
	s_mov_b32 s15, 0
	.p2align	6
.LBB158_14:                             ; =>This Inner Loop Header: Depth=1
	ds_read_b32 v9, v7
	v_add_nc_u32_e32 v8, 0x80, v8
	v_cmp_le_i32_e64 s3, s4, v8
	s_or_b32 s15, s3, s15
	s_waitcnt lgkmcnt(0)
	v_sub_f32_e32 v9, v9, v6
	v_mul_f32_e32 v9, 0x3fb8aa3b, v9
	v_exp_f32_e32 v9, v9
	ds_write_b32 v7, v9
	v_add_f32_e32 v5, v5, v9
	v_add_nc_u32_e32 v7, 0x200, v7
	s_andn2_b32 exec_lo, exec_lo, s15
	s_cbranch_execnz .LBB158_14
; %bb.15:
	s_or_b32 exec_lo, exec_lo, s15
.LBB158_16:
	s_or_b32 exec_lo, exec_lo, s5
	ds_bpermute_b32 v0, v0, v5
	s_waitcnt lgkmcnt(0)
	v_add_f32_e32 v0, v5, v0
	ds_bpermute_b32 v2, v2, v0
	s_waitcnt lgkmcnt(0)
	v_add_f32_e32 v0, v0, v2
	;; [unrolled: 3-line block ×5, first 2 shown]
	s_and_saveexec_b32 s3, vcc_lo
; %bb.17:
	ds_write_b32 v4, v0 offset:256
; %bb.18:
	s_or_b32 exec_lo, exec_lo, s3
	s_waitcnt lgkmcnt(0)
	s_barrier
	buffer_gl0_inv
	s_and_saveexec_b32 s3, s1
; %bb.19:
	ds_read_b32 v0, v19 offset:256
; %bb.20:
	s_or_b32 exec_lo, exec_lo, s3
	s_waitcnt lgkmcnt(0)
	ds_bpermute_b32 v2, v74, v0
	s_waitcnt lgkmcnt(0)
	v_add_f32_e32 v0, v0, v2
	ds_bpermute_b32 v2, v73, v0
	s_waitcnt lgkmcnt(0)
	v_add_f32_e32 v0, v0, v2
	v_mov_b32_e32 v2, 0
	ds_bpermute_b32 v0, v2, v0
	s_and_saveexec_b32 s1, s2
	s_cbranch_execz .LBB158_23
; %bb.21:
	s_waitcnt lgkmcnt(0)
	v_add_f32_e32 v0, 0x358637bd, v0
	s_mov_b32 s2, 0
	v_div_scale_f32 v2, null, v0, v0, 1.0
	v_div_scale_f32 v5, vcc_lo, 1.0, v0, 1.0
	v_rcp_f32_e32 v3, v2
	v_fma_f32 v4, -v2, v3, 1.0
	v_fmac_f32_e32 v3, v4, v3
	v_mul_f32_e32 v4, v5, v3
	v_fma_f32 v6, -v2, v4, v5
	v_fmac_f32_e32 v4, v6, v3
	v_fma_f32 v2, -v2, v4, v5
	v_div_fmas_f32 v2, v2, v3, v4
	v_div_fixup_f32 v0, v2, v0, 1.0
	v_mov_b32_e32 v2, v104
.LBB158_22:                             ; =>This Inner Loop Header: Depth=1
	ds_read_b32 v3, v1
	v_add_nc_u32_e32 v2, 0x80, v2
	v_cmp_le_i32_e32 vcc_lo, s4, v2
	s_or_b32 s2, vcc_lo, s2
	s_waitcnt lgkmcnt(0)
	v_mul_f32_e32 v3, v0, v3
	ds_write_b32 v1, v3
	v_add_nc_u32_e32 v1, 0x200, v1
	s_andn2_b32 exec_lo, exec_lo, s2
	s_cbranch_execnz .LBB158_22
.LBB158_23:
	s_or_b32 exec_lo, exec_lo, s1
	v_mov_b32_e32 v88, 0
	v_and_b32_e32 v75, 3, v104
	v_mov_b32_e32 v90, 0
	v_mov_b32_e32 v89, 0
	v_mov_b32_e32 v87, 0
	v_mov_b32_e32 v86, 0
	v_mov_b32_e32 v85, 0
	v_mov_b32_e32 v84, 0
	v_mov_b32_e32 v83, 0
	v_mov_b32_e32 v82, 0
	v_mov_b32_e32 v81, 0
	v_mov_b32_e32 v80, 0
	v_mov_b32_e32 v79, 0
	v_mov_b32_e32 v78, 0
	v_mov_b32_e32 v77, 0
	v_mov_b32_e32 v76, 0
	s_waitcnt lgkmcnt(0)
	s_barrier
	buffer_gl0_inv
	s_and_saveexec_b32 s3, s0
	s_cbranch_execz .LBB158_57
; %bb.24:
	v_lshlrev_b32_e32 v0, 3, v104
	s_ashr_i32 s15, s14, 31
	v_and_b32_e32 v2, 0x1f0, v10
	s_lshl_b64 s[0:1], s[14:15], 1
	v_lshlrev_b32_e32 v1, 5, v75
	v_and_b32_e32 v0, 24, v0
	s_add_u32 s0, s20, s0
	s_addc_u32 s1, s21, s1
	v_add_co_u32 v92, s0, s0, v2
	v_lshl_or_b32 v94, v105, 5, v0
	v_and_b32_e32 v0, 0x7c, v18
	v_add_co_ci_u32_e64 v93, null, s1, 0, s0
	s_lshl_b64 s[0:1], s[22:23], 2
	s_add_i32 s4, s12, -1
	v_lshl_or_b32 v1, v105, 7, v1
	s_add_u32 s0, s18, s0
	s_addc_u32 s1, s19, s1
	v_add_co_u32 v69, s0, s0, v0
	v_mov_b32_e32 v91, 0
	v_add_nc_u32_e32 v95, 0x110, v1
	v_add_co_ci_u32_e64 v70, null, s1, 0, s0
	v_mov_b32_e32 v76, 0
	v_mov_b32_e32 v77, 0
	v_mov_b32_e32 v78, 0
	v_mov_b32_e32 v79, 0
	v_mov_b32_e32 v80, 0
	v_mov_b32_e32 v81, 0
	v_mov_b32_e32 v82, 0
	v_mov_b32_e32 v83, 0
	v_mov_b32_e32 v84, 0
	v_mov_b32_e32 v85, 0
	v_mov_b32_e32 v86, 0
	v_mov_b32_e32 v87, 0
	v_mov_b32_e32 v89, 0
	v_mov_b32_e32 v90, 0
	v_mov_b32_e32 v88, 0
	v_mov_b32_e32 v96, v105
	s_mov_b32 s5, s13
	s_mov_b32 s14, s11
	;; [unrolled: 1-line block ×3, first 2 shown]
	s_branch .LBB158_26
.LBB158_25:                             ;   in Loop: Header=BB158_26 Depth=1
	s_or_b32 exec_lo, exec_lo, s2
	s_waitcnt lgkmcnt(1)
	v_bfe_u32 v0, v49, 16, 1
	v_or_b32_e32 v71, 0x400000, v49
	v_bfe_u32 v72, v50, 16, 1
	v_cmp_u_f32_e32 vcc_lo, v49, v49
	v_bfe_u32 v97, v51, 16, 1
	v_add3_u32 v0, v0, v49, 0x7fff
	v_or_b32_e32 v98, 0x400000, v50
	v_add3_u32 v72, v72, v50, 0x7fff
	v_or_b32_e32 v99, 0x400000, v51
	v_add3_u32 v97, v97, v51, 0x7fff
	v_cndmask_b32_e32 v49, v0, v71, vcc_lo
	v_cmp_u_f32_e32 vcc_lo, v50, v50
	v_bfe_u32 v0, v52, 16, 1
	s_waitcnt lgkmcnt(0)
	v_bfe_u32 v71, v41, 16, 1
	s_waitcnt vmcnt(1)
	v_and_b32_e32 v101, 0xffff0000, v68
	v_and_b32_e32 v49, 0xffff0000, v49
	v_cndmask_b32_e32 v50, v72, v98, vcc_lo
	v_cmp_u_f32_e32 vcc_lo, v51, v51
	v_add3_u32 v0, v0, v52, 0x7fff
	v_or_b32_e32 v72, 0x400000, v52
	v_add3_u32 v71, v71, v41, 0x7fff
	v_bfe_u32 v98, v42, 16, 1
	v_cndmask_b32_e32 v51, v97, v99, vcc_lo
	v_cmp_u_f32_e32 vcc_lo, v52, v52
	v_or_b32_e32 v97, 0x400000, v41
	v_add_nc_u32_e32 v96, 4, v96
	v_add_co_u32 v69, s0, v69, 16
	v_cndmask_b32_e32 v52, v0, v72, vcc_lo
	v_cmp_u_f32_e32 vcc_lo, v41, v41
	v_add3_u32 v41, v98, v42, 0x7fff
	v_or_b32_e32 v72, 0x400000, v42
	v_and_b32_e32 v0, 0xffff0000, v50
	v_and_b32_e32 v50, 0xffff0000, v65
	v_cndmask_b32_e32 v71, v71, v97, vcc_lo
	v_bfe_u32 v97, v43, 16, 1
	v_cmp_u_f32_e32 vcc_lo, v42, v42
	v_add_nc_u32_e32 v94, 0x80, v94
	v_mul_f32_e32 v98, v0, v50
	v_lshlrev_b32_e32 v50, 16, v65
	v_add_nc_u32_e32 v95, 0x200, v95
	v_cndmask_b32_e32 v42, v41, v72, vcc_lo
	v_add3_u32 v41, v97, v43, 0x7fff
	v_or_b32_e32 v72, 0x400000, v43
	v_bfe_u32 v97, v44, 16, 1
	v_cmp_u_f32_e32 vcc_lo, v43, v43
	v_mul_f32_e32 v99, v49, v50
	v_and_b32_e32 v50, 0xffff0000, v66
	v_and_b32_e32 v42, 0xffff0000, v42
	v_add3_u32 v43, v97, v44, 0x7fff
	v_cndmask_b32_e32 v65, v41, v72, vcc_lo
	v_or_b32_e32 v72, 0x400000, v44
	v_bfe_u32 v97, v98, 16, 1
	v_and_b32_e32 v41, 0xffff0000, v52
	v_cmp_u_f32_e32 vcc_lo, v44, v44
	v_or_b32_e32 v52, 0x400000, v98
	v_add_co_ci_u32_e64 v70, null, 0, v70, s0
	v_add3_u32 v44, v97, v98, 0x7fff
	v_cndmask_b32_e32 v43, v43, v72, vcc_lo
	v_bfe_u32 v72, v99, 16, 1
	v_mul_f32_e32 v97, v41, v50
	v_and_b32_e32 v50, 0xffff0000, v51
	v_lshlrev_b32_e32 v51, 16, v66
	v_cmp_u_f32_e32 vcc_lo, v98, v98
	v_or_b32_e32 v66, 0x400000, v99
	v_and_b32_e32 v43, 0xffff0000, v43
	v_mul_f32_e32 v98, v50, v51
	v_cndmask_b32_e32 v52, v44, v52, vcc_lo
	v_add3_u32 v44, v72, v99, 0x7fff
	v_bfe_u32 v72, v97, 16, 1
	v_and_b32_e32 v51, 0xffff0000, v67
	v_cmp_u_f32_e32 vcc_lo, v99, v99
	v_bfe_u32 v99, v98, 16, 1
	v_lshlrev_b32_e32 v67, 16, v67
	v_and_b32_e32 v52, 0xffff0000, v52
	v_mul_f32_e32 v100, v42, v51
	v_cndmask_b32_e32 v66, v44, v66, vcc_lo
	v_add3_u32 v44, v72, v97, 0x7fff
	v_or_b32_e32 v72, 0x400000, v97
	v_and_b32_e32 v51, 0xffff0000, v71
	v_cmp_u_f32_e32 vcc_lo, v97, v97
	v_or_b32_e32 v97, 0x400000, v98
	v_and_b32_e32 v66, 0xffff0000, v66
	v_mul_f32_e32 v67, v51, v67
	v_cndmask_b32_e32 v71, v44, v72, vcc_lo
	v_add3_u32 v72, v99, v98, 0x7fff
	v_bfe_u32 v99, v100, 16, 1
	v_and_b32_e32 v44, 0xffff0000, v65
	v_lshlrev_b32_e32 v65, 16, v68
	v_cmp_u_f32_e32 vcc_lo, v98, v98
	v_mul_f32_e32 v98, v43, v101
	v_or_b32_e32 v101, 0x400000, v67
	v_and_b32_e32 v71, 0xffff0000, v71
	v_mul_f32_e32 v65, v44, v65
	v_cndmask_b32_e32 v68, v72, v97, vcc_lo
	v_bfe_u32 v72, v67, 16, 1
	v_add3_u32 v97, v99, v100, 0x7fff
	v_or_b32_e32 v99, 0x400000, v100
	v_cmp_u_f32_e32 vcc_lo, v100, v100
	v_bfe_u32 v103, v65, 16, 1
	v_add3_u32 v72, v72, v67, 0x7fff
	v_bfe_u32 v102, v98, 16, 1
	v_or_b32_e32 v100, 0x400000, v65
	v_cndmask_b32_e32 v97, v97, v99, vcc_lo
	v_cmp_u_f32_e32 vcc_lo, v67, v67
	v_add3_u32 v99, v103, v65, 0x7fff
	v_and_b32_e32 v68, 0xffff0000, v68
	v_add_f32_e32 v52, v66, v52
	v_cndmask_b32_e32 v67, v72, v101, vcc_lo
	v_cmp_u_f32_e32 vcc_lo, v65, v65
	v_add3_u32 v72, v102, v98, 0x7fff
	v_or_b32_e32 v101, 0x400000, v98
	v_add_f32_e32 v66, v68, v71
	v_and_b32_e32 v67, 0xffff0000, v67
	v_cndmask_b32_e32 v65, v99, v100, vcc_lo
	v_cmp_u_f32_e32 vcc_lo, v98, v98
	v_and_b32_e32 v68, 0xffff0000, v97
	v_add_f32_e32 v52, v66, v52
	v_and_b32_e32 v65, 0xffff0000, v65
	v_cndmask_b32_e32 v71, v72, v101, vcc_lo
	v_add_f32_e32 v66, v67, v68
	v_and_b32_e32 v68, 0xffff0000, v61
	v_lshlrev_b32_e32 v61, 16, v61
	v_and_b32_e32 v72, 0xffff0000, v64
	v_and_b32_e32 v67, 0xffff0000, v71
	v_add_f32_e32 v52, v66, v52
	v_mul_f32_e32 v66, v0, v68
	v_mul_f32_e32 v61, v49, v61
	v_and_b32_e32 v68, 0xffff0000, v62
	v_add_f32_e32 v65, v65, v67
	v_lshlrev_b32_e32 v62, 16, v62
	v_cmp_u_f32_e32 vcc_lo, v66, v66
	v_bfe_u32 v67, v61, 16, 1
	v_mul_f32_e32 v68, v41, v68
	v_add_f32_e32 v52, v65, v52
	v_bfe_u32 v65, v66, 16, 1
	v_or_b32_e32 v71, 0x400000, v61
	v_add3_u32 v67, v67, v61, 0x7fff
	v_mul_f32_e32 v62, v50, v62
	v_add_f32_e32 v77, v77, v52
	v_add3_u32 v52, v65, v66, 0x7fff
	v_or_b32_e32 v65, 0x400000, v66
	v_and_b32_e32 v66, 0xffff0000, v63
	v_lshlrev_b32_e32 v63, 16, v63
	v_lshlrev_b32_e32 v64, 16, v64
	v_cndmask_b32_e32 v52, v52, v65, vcc_lo
	v_bfe_u32 v65, v68, 16, 1
	v_cmp_u_f32_e32 vcc_lo, v61, v61
	v_mul_f32_e32 v66, v42, v66
	v_mul_f32_e32 v63, v51, v63
	v_mul_f32_e32 v64, v44, v64
	v_add3_u32 v65, v65, v68, 0x7fff
	v_cndmask_b32_e32 v61, v67, v71, vcc_lo
	v_or_b32_e32 v67, 0x400000, v68
	v_bfe_u32 v71, v62, 16, 1
	v_cmp_u_f32_e32 vcc_lo, v68, v68
	v_or_b32_e32 v68, 0x400000, v62
	v_bfe_u32 v97, v63, 16, 1
	v_and_b32_e32 v61, 0xffff0000, v61
	v_and_b32_e32 v52, 0xffff0000, v52
	v_cndmask_b32_e32 v65, v65, v67, vcc_lo
	v_add3_u32 v67, v71, v62, 0x7fff
	v_bfe_u32 v71, v66, 16, 1
	v_cmp_u_f32_e32 vcc_lo, v62, v62
	v_add_f32_e32 v52, v61, v52
	v_and_b32_e32 v65, 0xffff0000, v65
	v_cndmask_b32_e32 v62, v67, v68, vcc_lo
	v_add3_u32 v67, v71, v66, 0x7fff
	v_mul_f32_e32 v68, v43, v72
	v_or_b32_e32 v71, 0x400000, v66
	v_cmp_u_f32_e32 vcc_lo, v66, v66
	v_add3_u32 v72, v97, v63, 0x7fff
	v_or_b32_e32 v97, 0x400000, v63
	v_bfe_u32 v98, v68, 16, 1
	v_and_b32_e32 v62, 0xffff0000, v62
	v_cndmask_b32_e32 v66, v67, v71, vcc_lo
	v_cmp_u_f32_e32 vcc_lo, v63, v63
	v_or_b32_e32 v71, 0x400000, v68
	v_add3_u32 v67, v98, v68, 0x7fff
	v_add_f32_e32 v61, v62, v65
	v_and_b32_e32 v65, 0xffff0000, v66
	v_cndmask_b32_e32 v63, v72, v97, vcc_lo
	v_bfe_u32 v72, v64, 16, 1
	v_cmp_u_f32_e32 vcc_lo, v68, v68
	v_add_f32_e32 v52, v61, v52
	v_and_b32_e32 v62, 0xffff0000, v63
	v_add3_u32 v68, v72, v64, 0x7fff
	v_cndmask_b32_e32 v67, v67, v71, vcc_lo
	v_or_b32_e32 v71, 0x400000, v64
	v_and_b32_e32 v63, 0xffff0000, v57
	v_cmp_u_f32_e32 vcc_lo, v64, v64
	v_add_f32_e32 v62, v62, v65
	v_lshlrev_b32_e32 v57, 16, v57
	v_mul_f32_e32 v61, v0, v63
	v_cndmask_b32_e32 v64, v68, v71, vcc_lo
	v_add_f32_e32 v52, v62, v52
	v_mul_f32_e32 v57, v49, v57
	v_and_b32_e32 v62, 0xffff0000, v58
	v_bfe_u32 v65, v61, 16, 1
	v_and_b32_e32 v63, 0xffff0000, v64
	v_and_b32_e32 v64, 0xffff0000, v67
	v_bfe_u32 v66, v57, 16, 1
	v_mul_f32_e32 v62, v41, v62
	v_lshlrev_b32_e32 v58, 16, v58
	v_cmp_u_f32_e32 vcc_lo, v61, v61
	v_add_f32_e32 v63, v63, v64
	v_add3_u32 v64, v65, v61, 0x7fff
	v_or_b32_e32 v65, 0x400000, v61
	v_mul_f32_e32 v58, v50, v58
	v_and_b32_e32 v67, 0xffff0000, v59
	v_lshlrev_b32_e32 v59, 16, v59
	v_and_b32_e32 v68, 0xffff0000, v60
	v_cndmask_b32_e32 v61, v64, v65, vcc_lo
	v_add3_u32 v64, v66, v57, 0x7fff
	v_or_b32_e32 v65, 0x400000, v57
	v_bfe_u32 v66, v62, 16, 1
	v_cmp_u_f32_e32 vcc_lo, v57, v57
	v_mul_f32_e32 v67, v42, v67
	v_mul_f32_e32 v59, v51, v59
	v_lshlrev_b32_e32 v60, 16, v60
	v_and_b32_e32 v61, 0xffff0000, v61
	v_cndmask_b32_e32 v57, v64, v65, vcc_lo
	v_add3_u32 v64, v66, v62, 0x7fff
	v_or_b32_e32 v65, 0x400000, v62
	v_bfe_u32 v66, v58, 16, 1
	v_cmp_u_f32_e32 vcc_lo, v62, v62
	v_mul_f32_e32 v60, v44, v60
	v_or_b32_e32 v71, 0x400000, v59
	v_and_b32_e32 v57, 0xffff0000, v57
	v_add_f32_e32 v52, v63, v52
	v_cndmask_b32_e32 v62, v64, v65, vcc_lo
	v_add3_u32 v64, v66, v58, 0x7fff
	v_or_b32_e32 v65, 0x400000, v58
	v_bfe_u32 v66, v67, 16, 1
	v_cmp_u_f32_e32 vcc_lo, v58, v58
	v_and_b32_e32 v62, 0xffff0000, v62
	v_add_f32_e32 v57, v57, v61
	v_add_f32_e32 v78, v78, v52
	v_cndmask_b32_e32 v58, v64, v65, vcc_lo
	v_bfe_u32 v64, v59, 16, 1
	v_add3_u32 v65, v66, v67, 0x7fff
	v_mul_f32_e32 v66, v43, v68
	v_or_b32_e32 v68, 0x400000, v67
	v_cmp_u_f32_e32 vcc_lo, v67, v67
	v_add3_u32 v64, v64, v59, 0x7fff
	v_bfe_u32 v67, v60, 16, 1
	v_bfe_u32 v72, v66, 16, 1
	v_and_b32_e32 v58, 0xffff0000, v58
	v_cndmask_b32_e32 v65, v65, v68, vcc_lo
	v_cmp_u_f32_e32 vcc_lo, v59, v59
	v_add3_u32 v67, v67, v60, 0x7fff
	v_or_b32_e32 v68, 0x400000, v66
	v_add_f32_e32 v58, v58, v62
	v_and_b32_e32 v61, 0xffff0000, v65
	v_cndmask_b32_e32 v59, v64, v71, vcc_lo
	v_or_b32_e32 v71, 0x400000, v60
	v_cmp_u_f32_e32 vcc_lo, v60, v60
	v_add3_u32 v64, v72, v66, 0x7fff
	v_add_f32_e32 v57, v58, v57
	v_and_b32_e32 v59, 0xffff0000, v59
	v_cndmask_b32_e32 v60, v67, v71, vcc_lo
	v_cmp_u_f32_e32 vcc_lo, v66, v66
	v_add_f32_e32 v58, v59, v61
	v_and_b32_e32 v59, 0xffff0000, v53
	v_and_b32_e32 v60, 0xffff0000, v60
	v_cndmask_b32_e32 v62, v64, v68, vcc_lo
	v_lshlrev_b32_e32 v53, 16, v53
	v_add_f32_e32 v57, v58, v57
	v_mul_f32_e32 v59, v0, v59
	v_and_b32_e32 v61, 0xffff0000, v62
	v_mul_f32_e32 v53, v49, v53
	v_cmp_u_f32_e32 vcc_lo, v59, v59
	v_add_f32_e32 v58, v60, v61
	v_and_b32_e32 v60, 0xffff0000, v54
	v_bfe_u32 v61, v59, 16, 1
	v_bfe_u32 v52, v53, 16, 1
	v_lshlrev_b32_e32 v54, 16, v54
	v_add_f32_e32 v57, v58, v57
	v_mul_f32_e32 v58, v41, v60
	v_add3_u32 v60, v61, v59, 0x7fff
	v_or_b32_e32 v61, 0x400000, v59
	v_add3_u32 v52, v52, v53, 0x7fff
	v_or_b32_e32 v62, 0x400000, v53
	v_bfe_u32 v63, v58, 16, 1
	v_add_f32_e32 v79, v79, v57
	v_cndmask_b32_e32 v59, v60, v61, vcc_lo
	v_cmp_u_f32_e32 vcc_lo, v53, v53
	v_mul_f32_e32 v53, v50, v54
	v_and_b32_e32 v61, 0xffff0000, v55
	v_add3_u32 v54, v63, v58, 0x7fff
	v_or_b32_e32 v60, 0x400000, v58
	v_cndmask_b32_e32 v52, v52, v62, vcc_lo
	v_lshlrev_b32_e32 v55, 16, v55
	v_bfe_u32 v62, v53, 16, 1
	v_cmp_u_f32_e32 vcc_lo, v58, v58
	v_mul_f32_e32 v58, v42, v61
	v_or_b32_e32 v61, 0x400000, v53
	v_mul_f32_e32 v55, v51, v55
	v_and_b32_e32 v52, 0xffff0000, v52
	v_cndmask_b32_e32 v54, v54, v60, vcc_lo
	v_add3_u32 v60, v62, v53, 0x7fff
	v_and_b32_e32 v62, 0xffff0000, v56
	v_bfe_u32 v63, v58, 16, 1
	v_cmp_u_f32_e32 vcc_lo, v53, v53
	v_bfe_u32 v64, v55, 16, 1
	v_lshlrev_b32_e32 v56, 16, v56
	v_and_b32_e32 v59, 0xffff0000, v59
	v_and_b32_e32 v54, 0xffff0000, v54
	v_cndmask_b32_e32 v53, v60, v61, vcc_lo
	v_mul_f32_e32 v60, v43, v62
	v_add3_u32 v61, v63, v58, 0x7fff
	v_or_b32_e32 v62, 0x400000, v58
	v_cmp_u_f32_e32 vcc_lo, v58, v58
	v_add3_u32 v63, v64, v55, 0x7fff
	v_or_b32_e32 v64, 0x400000, v55
	v_bfe_u32 v65, v60, 16, 1
	v_and_b32_e32 v53, 0xffff0000, v53
	v_cndmask_b32_e32 v58, v61, v62, vcc_lo
	v_cmp_u_f32_e32 vcc_lo, v55, v55
	v_or_b32_e32 v62, 0x400000, v60
	v_add3_u32 v61, v65, v60, 0x7fff
	v_mul_f32_e32 v56, v44, v56
	v_add_f32_e32 v52, v52, v59
	v_cndmask_b32_e32 v55, v63, v64, vcc_lo
	v_cmp_u_f32_e32 vcc_lo, v60, v60
	v_add_f32_e32 v53, v53, v54
	v_and_b32_e32 v58, 0xffff0000, v58
	v_and_b32_e32 v54, 0xffff0000, v55
	;; [unrolled: 1-line block ×3, first 2 shown]
	v_cndmask_b32_e32 v60, v61, v62, vcc_lo
	v_bfe_u32 v61, v56, 16, 1
	v_add_f32_e32 v52, v53, v52
	v_add_f32_e32 v54, v54, v58
	v_mul_f32_e32 v53, v0, v55
	v_lshlrev_b32_e32 v45, 16, v45
	v_add3_u32 v59, v61, v56, 0x7fff
	v_or_b32_e32 v61, 0x400000, v56
	v_cmp_u_f32_e32 vcc_lo, v56, v56
	v_bfe_u32 v56, v53, 16, 1
	v_add_f32_e32 v52, v54, v52
	v_mul_f32_e32 v45, v49, v45
	v_and_b32_e32 v54, 0xffff0000, v46
	v_cndmask_b32_e32 v55, v59, v61, vcc_lo
	v_add3_u32 v56, v56, v53, 0x7fff
	v_or_b32_e32 v58, 0x400000, v53
	v_bfe_u32 v59, v45, 16, 1
	v_mul_f32_e32 v54, v41, v54
	v_lshlrev_b32_e32 v46, 16, v46
	v_cmp_u_f32_e32 vcc_lo, v53, v53
	v_and_b32_e32 v61, 0xffff0000, v47
	v_lshlrev_b32_e32 v47, 16, v47
	v_and_b32_e32 v62, 0xffff0000, v48
	v_mul_f32_e32 v46, v50, v46
	v_cndmask_b32_e32 v53, v56, v58, vcc_lo
	v_add3_u32 v56, v59, v45, 0x7fff
	v_or_b32_e32 v58, 0x400000, v45
	v_bfe_u32 v59, v54, 16, 1
	v_cmp_u_f32_e32 vcc_lo, v45, v45
	v_mul_f32_e32 v61, v42, v61
	v_mul_f32_e32 v47, v51, v47
	v_lshlrev_b32_e32 v48, 16, v48
	v_and_b32_e32 v53, 0xffff0000, v53
	v_cndmask_b32_e32 v45, v56, v58, vcc_lo
	v_add3_u32 v56, v59, v54, 0x7fff
	v_or_b32_e32 v58, 0x400000, v54
	v_bfe_u32 v59, v46, 16, 1
	v_cmp_u_f32_e32 vcc_lo, v54, v54
	v_mul_f32_e32 v48, v44, v48
	v_or_b32_e32 v63, 0x400000, v47
	v_and_b32_e32 v45, 0xffff0000, v45
	v_and_b32_e32 v55, 0xffff0000, v55
	v_cndmask_b32_e32 v54, v56, v58, vcc_lo
	v_add3_u32 v56, v59, v46, 0x7fff
	v_or_b32_e32 v58, 0x400000, v46
	v_bfe_u32 v59, v61, 16, 1
	v_cmp_u_f32_e32 vcc_lo, v46, v46
	v_bfe_u32 v65, v48, 16, 1
	v_and_b32_e32 v54, 0xffff0000, v54
	v_add_f32_e32 v45, v45, v53
	v_cndmask_b32_e32 v46, v56, v58, vcc_lo
	v_bfe_u32 v56, v47, 16, 1
	v_add3_u32 v58, v59, v61, 0x7fff
	v_mul_f32_e32 v59, v43, v62
	v_or_b32_e32 v62, 0x400000, v61
	v_cmp_u_f32_e32 vcc_lo, v61, v61
	v_add3_u32 v56, v56, v47, 0x7fff
	v_add3_u32 v61, v65, v48, 0x7fff
	v_bfe_u32 v64, v59, 16, 1
	v_and_b32_e32 v46, 0xffff0000, v46
	v_cndmask_b32_e32 v58, v58, v62, vcc_lo
	v_cmp_u_f32_e32 vcc_lo, v47, v47
	v_or_b32_e32 v62, 0x400000, v48
	v_add_f32_e32 v46, v46, v54
	v_and_b32_e32 v53, 0xffff0000, v58
	v_cndmask_b32_e32 v47, v56, v63, vcc_lo
	v_cmp_u_f32_e32 vcc_lo, v48, v48
	v_add3_u32 v56, v64, v59, 0x7fff
	v_or_b32_e32 v63, 0x400000, v59
	v_add_f32_e32 v45, v46, v45
	v_and_b32_e32 v47, 0xffff0000, v47
	v_cndmask_b32_e32 v48, v61, v62, vcc_lo
	v_cmp_u_f32_e32 vcc_lo, v59, v59
	v_add_f32_e32 v46, v47, v53
	v_and_b32_e32 v47, 0xffff0000, v48
	v_cndmask_b32_e32 v54, v56, v63, vcc_lo
	v_and_b32_e32 v56, 0xffff0000, v60
	v_and_b32_e32 v53, 0xffff0000, v37
	v_lshlrev_b32_e32 v37, 16, v37
	v_add_f32_e32 v45, v46, v45
	v_and_b32_e32 v48, 0xffff0000, v54
	v_add_f32_e32 v54, v55, v56
	v_mul_f32_e32 v37, v49, v37
	v_add_f32_e32 v46, v47, v48
	v_mul_f32_e32 v47, v0, v53
	v_add_f32_e32 v48, v54, v52
	v_and_b32_e32 v52, 0xffff0000, v38
	v_lshlrev_b32_e32 v38, 16, v38
	v_add_f32_e32 v45, v46, v45
	v_bfe_u32 v46, v47, 16, 1
	v_add_f32_e32 v80, v80, v48
	v_bfe_u32 v48, v37, 16, 1
	v_mul_f32_e32 v52, v41, v52
	v_add_f32_e32 v81, v81, v45
	v_add3_u32 v45, v46, v47, 0x7fff
	v_or_b32_e32 v46, 0x400000, v47
	v_cmp_u_f32_e32 vcc_lo, v47, v47
	v_add3_u32 v48, v48, v37, 0x7fff
	v_or_b32_e32 v53, 0x400000, v37
	v_mul_f32_e32 v38, v50, v38
	v_and_b32_e32 v47, 0xffff0000, v39
	v_cndmask_b32_e32 v45, v45, v46, vcc_lo
	v_bfe_u32 v46, v52, 16, 1
	v_cmp_u_f32_e32 vcc_lo, v37, v37
	v_lshlrev_b32_e32 v39, 16, v39
	v_mul_f32_e32 v47, v42, v47
	v_and_b32_e32 v54, 0xffff0000, v40
	v_add3_u32 v46, v46, v52, 0x7fff
	v_cndmask_b32_e32 v37, v48, v53, vcc_lo
	v_or_b32_e32 v48, 0x400000, v52
	v_bfe_u32 v53, v38, 16, 1
	v_cmp_u_f32_e32 vcc_lo, v52, v52
	v_mul_f32_e32 v39, v51, v39
	v_or_b32_e32 v52, 0x400000, v38
	v_lshlrev_b32_e32 v40, 16, v40
	v_and_b32_e32 v37, 0xffff0000, v37
	v_cndmask_b32_e32 v46, v46, v48, vcc_lo
	v_add3_u32 v48, v53, v38, 0x7fff
	v_bfe_u32 v53, v47, 16, 1
	v_cmp_u_f32_e32 vcc_lo, v38, v38
	v_bfe_u32 v55, v39, 16, 1
	v_mul_f32_e32 v40, v44, v40
	v_and_b32_e32 v45, 0xffff0000, v45
	v_and_b32_e32 v46, 0xffff0000, v46
	v_cndmask_b32_e32 v38, v48, v52, vcc_lo
	v_add3_u32 v48, v53, v47, 0x7fff
	v_mul_f32_e32 v52, v43, v54
	v_or_b32_e32 v53, 0x400000, v47
	v_cmp_u_f32_e32 vcc_lo, v47, v47
	v_add3_u32 v54, v55, v39, 0x7fff
	v_or_b32_e32 v55, 0x400000, v39
	v_bfe_u32 v56, v52, 16, 1
	v_and_b32_e32 v38, 0xffff0000, v38
	v_cndmask_b32_e32 v47, v48, v53, vcc_lo
	v_cmp_u_f32_e32 vcc_lo, v39, v39
	v_or_b32_e32 v53, 0x400000, v52
	v_add3_u32 v48, v56, v52, 0x7fff
	v_add_f32_e32 v37, v37, v45
	v_add_f32_e32 v38, v38, v46
	v_cndmask_b32_e32 v39, v54, v55, vcc_lo
	v_bfe_u32 v54, v40, 16, 1
	v_cmp_u_f32_e32 vcc_lo, v52, v52
	v_and_b32_e32 v45, 0xffff0000, v33
	v_and_b32_e32 v46, 0xffff0000, v47
	v_and_b32_e32 v39, 0xffff0000, v39
	v_add3_u32 v52, v54, v40, 0x7fff
	v_cndmask_b32_e32 v48, v48, v53, vcc_lo
	v_or_b32_e32 v53, 0x400000, v40
	v_cmp_u_f32_e32 vcc_lo, v40, v40
	v_add_f32_e32 v37, v38, v37
	v_mul_f32_e32 v38, v0, v45
	v_add_f32_e32 v39, v39, v46
	v_lshlrev_b32_e32 v33, 16, v33
	v_cndmask_b32_e32 v40, v52, v53, vcc_lo
	v_and_b32_e32 v45, 0xffff0000, v48
	v_bfe_u32 v46, v38, 16, 1
	v_add_f32_e32 v37, v39, v37
	v_mul_f32_e32 v33, v49, v33
	v_and_b32_e32 v40, 0xffff0000, v40
	v_and_b32_e32 v39, 0xffff0000, v34
	v_lshlrev_b32_e32 v34, 16, v34
	v_cmp_u_f32_e32 vcc_lo, v38, v38
	v_bfe_u32 v47, v33, 16, 1
	v_add_f32_e32 v40, v40, v45
	v_add3_u32 v45, v46, v38, 0x7fff
	v_or_b32_e32 v46, 0x400000, v38
	v_mul_f32_e32 v39, v41, v39
	v_mul_f32_e32 v34, v50, v34
	v_and_b32_e32 v48, 0xffff0000, v35
	v_lshlrev_b32_e32 v35, 16, v35
	v_cndmask_b32_e32 v38, v45, v46, vcc_lo
	v_add3_u32 v45, v47, v33, 0x7fff
	v_or_b32_e32 v46, 0x400000, v33
	v_bfe_u32 v47, v39, 16, 1
	v_cmp_u_f32_e32 vcc_lo, v33, v33
	v_mul_f32_e32 v48, v42, v48
	v_mul_f32_e32 v35, v51, v35
	v_and_b32_e32 v52, 0xffff0000, v36
	v_lshlrev_b32_e32 v36, 16, v36
	v_cndmask_b32_e32 v33, v45, v46, vcc_lo
	v_add3_u32 v45, v47, v39, 0x7fff
	v_or_b32_e32 v46, 0x400000, v39
	v_bfe_u32 v47, v34, 16, 1
	v_cmp_u_f32_e32 vcc_lo, v39, v39
	v_mul_f32_e32 v36, v44, v36
	v_or_b32_e32 v53, 0x400000, v35
	v_and_b32_e32 v33, 0xffff0000, v33
	v_and_b32_e32 v38, 0xffff0000, v38
	v_cndmask_b32_e32 v39, v45, v46, vcc_lo
	v_add3_u32 v45, v47, v34, 0x7fff
	v_or_b32_e32 v46, 0x400000, v34
	v_bfe_u32 v47, v48, 16, 1
	v_cmp_u_f32_e32 vcc_lo, v34, v34
	v_and_b32_e32 v39, 0xffff0000, v39
	v_add_f32_e32 v33, v33, v38
	v_add_f32_e32 v37, v40, v37
	v_cndmask_b32_e32 v34, v45, v46, vcc_lo
	v_bfe_u32 v45, v35, 16, 1
	v_add3_u32 v46, v47, v48, 0x7fff
	v_mul_f32_e32 v47, v43, v52
	v_or_b32_e32 v52, 0x400000, v48
	v_cmp_u_f32_e32 vcc_lo, v48, v48
	v_add3_u32 v45, v45, v35, 0x7fff
	v_bfe_u32 v48, v36, 16, 1
	v_bfe_u32 v54, v47, 16, 1
	v_and_b32_e32 v34, 0xffff0000, v34
	v_cndmask_b32_e32 v46, v46, v52, vcc_lo
	v_cmp_u_f32_e32 vcc_lo, v35, v35
	v_add3_u32 v48, v48, v36, 0x7fff
	v_or_b32_e32 v52, 0x400000, v47
	v_add_f32_e32 v34, v34, v39
	v_and_b32_e32 v38, 0xffff0000, v46
	v_cndmask_b32_e32 v35, v45, v53, vcc_lo
	v_or_b32_e32 v53, 0x400000, v36
	v_cmp_u_f32_e32 vcc_lo, v36, v36
	v_add3_u32 v45, v54, v47, 0x7fff
	v_add_f32_e32 v33, v34, v33
	v_and_b32_e32 v35, 0xffff0000, v35
	v_add_f32_e32 v82, v82, v37
	v_cndmask_b32_e32 v36, v48, v53, vcc_lo
	v_cmp_u_f32_e32 vcc_lo, v47, v47
	v_add_f32_e32 v34, v35, v38
	v_and_b32_e32 v35, 0xffff0000, v29
	v_and_b32_e32 v36, 0xffff0000, v36
	v_cndmask_b32_e32 v39, v45, v52, vcc_lo
	v_lshlrev_b32_e32 v29, 16, v29
	v_add_f32_e32 v33, v34, v33
	v_mul_f32_e32 v35, v0, v35
	v_and_b32_e32 v38, 0xffff0000, v39
	v_mul_f32_e32 v29, v49, v29
	v_cmp_u_f32_e32 vcc_lo, v35, v35
	v_add_f32_e32 v34, v36, v38
	v_and_b32_e32 v36, 0xffff0000, v30
	v_bfe_u32 v38, v35, 16, 1
	v_bfe_u32 v37, v29, 16, 1
	v_or_b32_e32 v39, 0x400000, v29
	v_add_f32_e32 v33, v34, v33
	v_mul_f32_e32 v34, v41, v36
	v_add3_u32 v36, v38, v35, 0x7fff
	v_or_b32_e32 v38, 0x400000, v35
	v_add3_u32 v37, v37, v29, 0x7fff
	v_lshlrev_b32_e32 v30, 16, v30
	v_bfe_u32 v40, v34, 16, 1
	v_add_f32_e32 v83, v83, v33
	v_cndmask_b32_e32 v35, v36, v38, vcc_lo
	v_cmp_u_f32_e32 vcc_lo, v29, v29
	v_mul_f32_e32 v30, v50, v30
	v_add3_u32 v36, v40, v34, 0x7fff
	v_and_b32_e32 v38, 0xffff0000, v31
	v_lshlrev_b32_e32 v31, 16, v31
	v_cndmask_b32_e32 v29, v37, v39, vcc_lo
	v_or_b32_e32 v37, 0x400000, v34
	v_cmp_u_f32_e32 vcc_lo, v34, v34
	v_bfe_u32 v39, v30, 16, 1
	v_mul_f32_e32 v31, v51, v31
	v_and_b32_e32 v29, 0xffff0000, v29
	v_and_b32_e32 v35, 0xffff0000, v35
	v_cndmask_b32_e32 v34, v36, v37, vcc_lo
	v_mul_f32_e32 v36, v42, v38
	v_add3_u32 v37, v39, v30, 0x7fff
	v_or_b32_e32 v38, 0x400000, v30
	v_and_b32_e32 v39, 0xffff0000, v32
	v_cmp_u_f32_e32 vcc_lo, v30, v30
	v_bfe_u32 v40, v36, 16, 1
	v_bfe_u32 v45, v31, 16, 1
	v_lshlrev_b32_e32 v32, 16, v32
	v_and_b32_e32 v34, 0xffff0000, v34
	v_cndmask_b32_e32 v30, v37, v38, vcc_lo
	v_mul_f32_e32 v37, v43, v39
	v_add3_u32 v38, v40, v36, 0x7fff
	v_or_b32_e32 v39, 0x400000, v36
	v_cmp_u_f32_e32 vcc_lo, v36, v36
	v_add3_u32 v40, v45, v31, 0x7fff
	v_or_b32_e32 v45, 0x400000, v31
	v_bfe_u32 v46, v37, 16, 1
	v_and_b32_e32 v30, 0xffff0000, v30
	v_cndmask_b32_e32 v36, v38, v39, vcc_lo
	v_cmp_u_f32_e32 vcc_lo, v31, v31
	v_or_b32_e32 v39, 0x400000, v37
	v_add3_u32 v38, v46, v37, 0x7fff
	v_mul_f32_e32 v32, v44, v32
	v_add_f32_e32 v29, v29, v35
	v_cndmask_b32_e32 v31, v40, v45, vcc_lo
	v_cmp_u_f32_e32 vcc_lo, v37, v37
	v_add_f32_e32 v30, v30, v34
	v_and_b32_e32 v34, 0xffff0000, v25
	v_and_b32_e32 v35, 0xffff0000, v36
	;; [unrolled: 1-line block ×3, first 2 shown]
	v_cndmask_b32_e32 v37, v38, v39, vcc_lo
	v_bfe_u32 v38, v32, 16, 1
	v_add_f32_e32 v29, v30, v29
	v_mul_f32_e32 v30, v0, v34
	v_add_f32_e32 v31, v31, v35
	v_lshlrev_b32_e32 v25, 16, v25
	v_add3_u32 v36, v38, v32, 0x7fff
	v_or_b32_e32 v38, 0x400000, v32
	v_cmp_u_f32_e32 vcc_lo, v32, v32
	v_bfe_u32 v34, v30, 16, 1
	v_add_f32_e32 v29, v31, v29
	v_mul_f32_e32 v25, v49, v25
	v_and_b32_e32 v31, 0xffff0000, v26
	v_cndmask_b32_e32 v32, v36, v38, vcc_lo
	v_add3_u32 v34, v34, v30, 0x7fff
	v_or_b32_e32 v35, 0x400000, v30
	v_bfe_u32 v36, v25, 16, 1
	v_mul_f32_e32 v31, v41, v31
	v_lshlrev_b32_e32 v26, 16, v26
	v_cmp_u_f32_e32 vcc_lo, v30, v30
	v_and_b32_e32 v38, 0xffff0000, v27
	v_lshlrev_b32_e32 v27, 16, v27
	v_and_b32_e32 v39, 0xffff0000, v28
	v_mul_f32_e32 v26, v50, v26
	v_cndmask_b32_e32 v30, v34, v35, vcc_lo
	v_add3_u32 v34, v36, v25, 0x7fff
	v_or_b32_e32 v35, 0x400000, v25
	v_bfe_u32 v36, v31, 16, 1
	v_cmp_u_f32_e32 vcc_lo, v25, v25
	v_mul_f32_e32 v38, v42, v38
	v_mul_f32_e32 v27, v51, v27
	v_lshlrev_b32_e32 v28, 16, v28
	v_and_b32_e32 v30, 0xffff0000, v30
	v_cndmask_b32_e32 v25, v34, v35, vcc_lo
	v_add3_u32 v34, v36, v31, 0x7fff
	v_or_b32_e32 v35, 0x400000, v31
	v_bfe_u32 v36, v26, 16, 1
	v_cmp_u_f32_e32 vcc_lo, v31, v31
	v_mul_f32_e32 v28, v44, v28
	v_or_b32_e32 v40, 0x400000, v27
	v_and_b32_e32 v25, 0xffff0000, v25
	v_and_b32_e32 v32, 0xffff0000, v32
	v_cndmask_b32_e32 v31, v34, v35, vcc_lo
	v_add3_u32 v34, v36, v26, 0x7fff
	v_or_b32_e32 v35, 0x400000, v26
	v_bfe_u32 v36, v38, 16, 1
	v_cmp_u_f32_e32 vcc_lo, v26, v26
	v_bfe_u32 v46, v28, 16, 1
	v_and_b32_e32 v31, 0xffff0000, v31
	v_add_f32_e32 v25, v25, v30
	v_cndmask_b32_e32 v26, v34, v35, vcc_lo
	v_bfe_u32 v34, v27, 16, 1
	v_add3_u32 v35, v36, v38, 0x7fff
	v_mul_f32_e32 v36, v43, v39
	v_or_b32_e32 v39, 0x400000, v38
	v_cmp_u_f32_e32 vcc_lo, v38, v38
	v_add3_u32 v34, v34, v27, 0x7fff
	v_add3_u32 v38, v46, v28, 0x7fff
	v_bfe_u32 v45, v36, 16, 1
	v_and_b32_e32 v26, 0xffff0000, v26
	v_cndmask_b32_e32 v35, v35, v39, vcc_lo
	v_cmp_u_f32_e32 vcc_lo, v27, v27
	v_or_b32_e32 v39, 0x400000, v28
	v_add_f32_e32 v26, v26, v31
	v_and_b32_e32 v30, 0xffff0000, v35
	v_cndmask_b32_e32 v27, v34, v40, vcc_lo
	v_cmp_u_f32_e32 vcc_lo, v28, v28
	v_add3_u32 v34, v45, v36, 0x7fff
	v_or_b32_e32 v40, 0x400000, v36
	v_add_f32_e32 v25, v26, v25
	v_and_b32_e32 v27, 0xffff0000, v27
	v_cndmask_b32_e32 v28, v38, v39, vcc_lo
	v_cmp_u_f32_e32 vcc_lo, v36, v36
	v_add_f32_e32 v26, v27, v30
	v_and_b32_e32 v27, 0xffff0000, v28
	v_cndmask_b32_e32 v31, v34, v40, vcc_lo
	v_and_b32_e32 v34, 0xffff0000, v37
	v_and_b32_e32 v30, 0xffff0000, v17
	v_lshlrev_b32_e32 v17, 16, v17
	v_add_f32_e32 v25, v26, v25
	v_and_b32_e32 v28, 0xffff0000, v31
	v_add_f32_e32 v31, v32, v34
	v_mul_f32_e32 v17, v49, v17
	v_add_f32_e32 v26, v27, v28
	v_mul_f32_e32 v27, v0, v30
	v_add_f32_e32 v28, v31, v29
	v_and_b32_e32 v29, 0xffff0000, v18
	v_lshlrev_b32_e32 v18, 16, v18
	v_add_f32_e32 v25, v26, v25
	v_bfe_u32 v26, v27, 16, 1
	v_add_f32_e32 v84, v84, v28
	v_bfe_u32 v28, v17, 16, 1
	v_mul_f32_e32 v29, v41, v29
	v_add_f32_e32 v85, v85, v25
	v_add3_u32 v25, v26, v27, 0x7fff
	v_or_b32_e32 v26, 0x400000, v27
	v_cmp_u_f32_e32 vcc_lo, v27, v27
	v_add3_u32 v28, v28, v17, 0x7fff
	v_or_b32_e32 v30, 0x400000, v17
	v_mul_f32_e32 v18, v50, v18
	v_and_b32_e32 v27, 0xffff0000, v19
	v_cndmask_b32_e32 v25, v25, v26, vcc_lo
	v_bfe_u32 v26, v29, 16, 1
	v_cmp_u_f32_e32 vcc_lo, v17, v17
	v_lshlrev_b32_e32 v19, 16, v19
	v_mul_f32_e32 v27, v42, v27
	v_and_b32_e32 v31, 0xffff0000, v20
	v_add3_u32 v26, v26, v29, 0x7fff
	v_cndmask_b32_e32 v17, v28, v30, vcc_lo
	v_or_b32_e32 v28, 0x400000, v29
	v_bfe_u32 v30, v18, 16, 1
	v_cmp_u_f32_e32 vcc_lo, v29, v29
	v_mul_f32_e32 v19, v51, v19
	v_or_b32_e32 v29, 0x400000, v18
	v_lshlrev_b32_e32 v20, 16, v20
	v_and_b32_e32 v17, 0xffff0000, v17
	v_cndmask_b32_e32 v26, v26, v28, vcc_lo
	v_add3_u32 v28, v30, v18, 0x7fff
	v_bfe_u32 v30, v27, 16, 1
	v_cmp_u_f32_e32 vcc_lo, v18, v18
	v_bfe_u32 v32, v19, 16, 1
	v_mul_f32_e32 v20, v44, v20
	v_and_b32_e32 v25, 0xffff0000, v25
	v_and_b32_e32 v26, 0xffff0000, v26
	v_cndmask_b32_e32 v18, v28, v29, vcc_lo
	v_add3_u32 v28, v30, v27, 0x7fff
	v_mul_f32_e32 v29, v43, v31
	v_or_b32_e32 v30, 0x400000, v27
	v_cmp_u_f32_e32 vcc_lo, v27, v27
	v_add3_u32 v31, v32, v19, 0x7fff
	v_or_b32_e32 v32, 0x400000, v19
	v_bfe_u32 v33, v29, 16, 1
	v_and_b32_e32 v18, 0xffff0000, v18
	v_cndmask_b32_e32 v27, v28, v30, vcc_lo
	v_cmp_u_f32_e32 vcc_lo, v19, v19
	v_or_b32_e32 v30, 0x400000, v29
	v_add3_u32 v28, v33, v29, 0x7fff
	v_add_f32_e32 v17, v17, v25
	v_add_f32_e32 v18, v18, v26
	v_cndmask_b32_e32 v19, v31, v32, vcc_lo
	v_bfe_u32 v31, v20, 16, 1
	v_cmp_u_f32_e32 vcc_lo, v29, v29
	v_and_b32_e32 v26, 0xffff0000, v13
	v_and_b32_e32 v25, 0xffff0000, v27
	;; [unrolled: 1-line block ×3, first 2 shown]
	v_add3_u32 v29, v31, v20, 0x7fff
	v_cndmask_b32_e32 v28, v28, v30, vcc_lo
	v_or_b32_e32 v30, 0x400000, v20
	v_cmp_u_f32_e32 vcc_lo, v20, v20
	v_lshlrev_b32_e32 v13, 16, v13
	v_add_f32_e32 v17, v18, v17
	v_mul_f32_e32 v18, v0, v26
	v_add_f32_e32 v19, v19, v25
	v_cndmask_b32_e32 v20, v29, v30, vcc_lo
	v_mul_f32_e32 v13, v49, v13
	v_and_b32_e32 v25, 0xffff0000, v28
	v_bfe_u32 v26, v18, 16, 1
	v_add_f32_e32 v17, v19, v17
	v_and_b32_e32 v20, 0xffff0000, v20
	v_bfe_u32 v19, v13, 16, 1
	v_and_b32_e32 v27, 0xffff0000, v14
	v_cmp_u_f32_e32 vcc_lo, v18, v18
	v_or_b32_e32 v28, 0x400000, v13
	v_add_f32_e32 v20, v20, v25
	v_add3_u32 v25, v26, v18, 0x7fff
	v_or_b32_e32 v26, 0x400000, v18
	v_add3_u32 v19, v19, v13, 0x7fff
	v_mul_f32_e32 v27, v41, v27
	v_lshlrev_b32_e32 v14, 16, v14
	v_and_b32_e32 v29, 0xffff0000, v16
	v_cndmask_b32_e32 v18, v25, v26, vcc_lo
	v_cmp_u_f32_e32 vcc_lo, v13, v13
	v_bfe_u32 v25, v27, 16, 1
	v_mul_f32_e32 v14, v50, v14
	v_or_b32_e32 v26, 0x400000, v27
	v_lshlrev_b32_e32 v16, 16, v16
	v_cndmask_b32_e32 v13, v19, v28, vcc_lo
	v_and_b32_e32 v19, 0xffff0000, v15
	v_add3_u32 v25, v25, v27, 0x7fff
	v_lshlrev_b32_e32 v15, 16, v15
	v_bfe_u32 v28, v14, 16, 1
	v_cmp_u_f32_e32 vcc_lo, v27, v27
	v_mul_f32_e32 v19, v42, v19
	v_or_b32_e32 v27, 0x400000, v14
	v_mul_f32_e32 v15, v51, v15
	v_mul_f32_e32 v16, v44, v16
	v_cndmask_b32_e32 v25, v25, v26, vcc_lo
	v_add3_u32 v26, v28, v14, 0x7fff
	v_bfe_u32 v28, v19, 16, 1
	v_cmp_u_f32_e32 vcc_lo, v14, v14
	v_bfe_u32 v30, v15, 16, 1
	v_and_b32_e32 v13, 0xffff0000, v13
	v_and_b32_e32 v18, 0xffff0000, v18
	;; [unrolled: 1-line block ×3, first 2 shown]
	v_cndmask_b32_e32 v14, v26, v27, vcc_lo
	v_add3_u32 v26, v28, v19, 0x7fff
	v_mul_f32_e32 v27, v43, v29
	v_or_b32_e32 v28, 0x400000, v19
	v_cmp_u_f32_e32 vcc_lo, v19, v19
	v_add3_u32 v29, v30, v15, 0x7fff
	v_or_b32_e32 v30, 0x400000, v15
	v_bfe_u32 v31, v27, 16, 1
	v_and_b32_e32 v14, 0xffff0000, v14
	v_cndmask_b32_e32 v19, v26, v28, vcc_lo
	v_cmp_u_f32_e32 vcc_lo, v15, v15
	v_or_b32_e32 v28, 0x400000, v27
	v_add3_u32 v26, v31, v27, 0x7fff
	v_add_f32_e32 v13, v13, v18
	v_add_f32_e32 v14, v14, v25
	v_cndmask_b32_e32 v15, v29, v30, vcc_lo
	v_bfe_u32 v29, v16, 16, 1
	v_cmp_u_f32_e32 vcc_lo, v27, v27
	v_and_b32_e32 v18, 0xffff0000, v19
	v_add_f32_e32 v13, v14, v13
	v_and_b32_e32 v15, 0xffff0000, v15
	v_add3_u32 v27, v29, v16, 0x7fff
	v_cndmask_b32_e32 v26, v26, v28, vcc_lo
	v_or_b32_e32 v28, 0x400000, v16
	v_cmp_u_f32_e32 vcc_lo, v16, v16
	v_and_b32_e32 v14, 0xffff0000, v9
	v_add_f32_e32 v15, v15, v18
	v_lshlrev_b32_e32 v9, 16, v9
	v_and_b32_e32 v18, 0xffff0000, v26
	v_cndmask_b32_e32 v16, v27, v28, vcc_lo
	v_mul_f32_e32 v14, v0, v14
	v_add_f32_e32 v17, v20, v17
	v_mul_f32_e32 v19, v49, v9
	v_add_f32_e32 v9, v15, v13
	v_and_b32_e32 v16, 0xffff0000, v16
	v_bfe_u32 v15, v14, 16, 1
	v_add_f32_e32 v86, v86, v17
	v_and_b32_e32 v17, 0xffff0000, v10
	v_cmp_u_f32_e32 vcc_lo, v14, v14
	v_add_f32_e32 v13, v16, v18
	v_bfe_u32 v16, v19, 16, 1
	v_or_b32_e32 v18, 0x400000, v19
	v_mul_f32_e32 v17, v41, v17
	v_lshlrev_b32_e32 v10, 16, v10
	v_add_f32_e32 v9, v13, v9
	v_add3_u32 v13, v15, v14, 0x7fff
	v_or_b32_e32 v15, 0x400000, v14
	v_add3_u32 v16, v16, v19, 0x7fff
	v_bfe_u32 v14, v17, 16, 1
	v_mul_f32_e32 v10, v50, v10
	v_and_b32_e32 v20, 0xffff0000, v12
	v_cndmask_b32_e32 v13, v13, v15, vcc_lo
	v_cmp_u_f32_e32 vcc_lo, v19, v19
	v_add3_u32 v14, v14, v17, 0x7fff
	v_bfe_u32 v19, v10, 16, 1
	v_lshlrev_b32_e32 v12, 16, v12
	v_and_b32_e32 v13, 0xffff0000, v13
	v_cndmask_b32_e32 v15, v16, v18, vcc_lo
	v_and_b32_e32 v16, 0xffff0000, v11
	v_or_b32_e32 v18, 0x400000, v17
	v_lshlrev_b32_e32 v11, 16, v11
	v_cmp_u_f32_e32 vcc_lo, v17, v17
	v_add3_u32 v17, v19, v10, 0x7fff
	v_mul_f32_e32 v16, v42, v16
	v_mul_f32_e32 v12, v44, v12
	v_mul_f32_e32 v11, v51, v11
	v_cndmask_b32_e32 v14, v14, v18, vcc_lo
	v_or_b32_e32 v18, 0x400000, v10
	v_bfe_u32 v19, v16, 16, 1
	v_cmp_u_f32_e32 vcc_lo, v10, v10
	v_bfe_u32 v25, v11, 16, 1
	v_and_b32_e32 v15, 0xffff0000, v15
	v_and_b32_e32 v14, 0xffff0000, v14
	v_add_f32_e32 v87, v87, v9
	v_cndmask_b32_e32 v10, v17, v18, vcc_lo
	v_add3_u32 v17, v19, v16, 0x7fff
	v_mul_f32_e32 v18, v43, v20
	v_or_b32_e32 v19, 0x400000, v16
	v_cmp_u_f32_e32 vcc_lo, v16, v16
	v_add3_u32 v20, v25, v11, 0x7fff
	v_or_b32_e32 v25, 0x400000, v11
	v_bfe_u32 v26, v18, 16, 1
	v_and_b32_e32 v10, 0xffff0000, v10
	v_cndmask_b32_e32 v16, v17, v19, vcc_lo
	v_cmp_u_f32_e32 vcc_lo, v11, v11
	v_or_b32_e32 v19, 0x400000, v18
	v_add3_u32 v17, v26, v18, 0x7fff
	v_add_f32_e32 v13, v15, v13
	v_add_f32_e32 v10, v10, v14
	v_cndmask_b32_e32 v11, v20, v25, vcc_lo
	v_bfe_u32 v20, v12, 16, 1
	v_cmp_u_f32_e32 vcc_lo, v18, v18
	v_and_b32_e32 v15, 0xffff0000, v5
	v_and_b32_e32 v14, 0xffff0000, v16
	;; [unrolled: 1-line block ×3, first 2 shown]
	v_add3_u32 v18, v20, v12, 0x7fff
	v_cndmask_b32_e32 v17, v17, v19, vcc_lo
	v_or_b32_e32 v19, 0x400000, v12
	v_cmp_u_f32_e32 vcc_lo, v12, v12
	v_lshlrev_b32_e32 v5, 16, v5
	v_add_f32_e32 v10, v10, v13
	v_mul_f32_e32 v13, v0, v15
	v_add_f32_e32 v11, v11, v14
	v_cndmask_b32_e32 v12, v18, v19, vcc_lo
	v_mul_f32_e32 v14, v49, v5
	v_and_b32_e32 v15, 0xffff0000, v17
	v_and_b32_e32 v16, 0xffff0000, v6
	v_bfe_u32 v17, v13, 16, 1
	v_and_b32_e32 v12, 0xffff0000, v12
	v_add_f32_e32 v5, v11, v10
	v_bfe_u32 v11, v14, 16, 1
	v_cmp_u_f32_e32 vcc_lo, v13, v13
	v_lshlrev_b32_e32 v6, 16, v6
	v_add_f32_e32 v10, v12, v15
	v_mul_f32_e32 v12, v41, v16
	v_add3_u32 v15, v17, v13, 0x7fff
	v_or_b32_e32 v16, 0x400000, v13
	v_add3_u32 v11, v11, v14, 0x7fff
	v_or_b32_e32 v17, 0x400000, v14
	v_bfe_u32 v18, v12, 16, 1
	v_mul_f32_e32 v6, v50, v6
	v_cndmask_b32_e32 v13, v15, v16, vcc_lo
	v_cmp_u_f32_e32 vcc_lo, v14, v14
	v_or_b32_e32 v15, 0x400000, v12
	v_add3_u32 v14, v18, v12, 0x7fff
	v_and_b32_e32 v16, 0xffff0000, v7
	v_lshlrev_b32_e32 v7, 16, v7
	v_cndmask_b32_e32 v11, v11, v17, vcc_lo
	v_cmp_u_f32_e32 vcc_lo, v12, v12
	v_bfe_u32 v17, v6, 16, 1
	v_and_b32_e32 v13, 0xffff0000, v13
	v_mul_f32_e32 v7, v51, v7
	v_and_b32_e32 v11, 0xffff0000, v11
	v_cndmask_b32_e32 v12, v14, v15, vcc_lo
	v_mul_f32_e32 v14, v42, v16
	v_add3_u32 v15, v17, v6, 0x7fff
	v_or_b32_e32 v16, 0x400000, v6
	v_and_b32_e32 v17, 0xffff0000, v8
	v_cmp_u_f32_e32 vcc_lo, v6, v6
	v_bfe_u32 v18, v14, 16, 1
	v_bfe_u32 v19, v7, 16, 1
	v_lshlrev_b32_e32 v8, 16, v8
	v_and_b32_e32 v12, 0xffff0000, v12
	v_cndmask_b32_e32 v6, v15, v16, vcc_lo
	v_mul_f32_e32 v15, v43, v17
	v_add3_u32 v16, v18, v14, 0x7fff
	v_or_b32_e32 v17, 0x400000, v14
	v_cmp_u_f32_e32 vcc_lo, v14, v14
	v_add3_u32 v18, v19, v7, 0x7fff
	v_or_b32_e32 v19, 0x400000, v7
	v_bfe_u32 v20, v15, 16, 1
	v_and_b32_e32 v6, 0xffff0000, v6
	v_cndmask_b32_e32 v14, v16, v17, vcc_lo
	v_cmp_u_f32_e32 vcc_lo, v7, v7
	v_or_b32_e32 v17, 0x400000, v15
	v_add3_u32 v16, v20, v15, 0x7fff
	v_mul_f32_e32 v8, v44, v8
	v_add_f32_e32 v11, v11, v13
	v_cndmask_b32_e32 v7, v18, v19, vcc_lo
	v_cmp_u_f32_e32 vcc_lo, v15, v15
	v_add_f32_e32 v6, v6, v12
	v_and_b32_e32 v12, 0xffff0000, v1
	v_and_b32_e32 v13, 0xffff0000, v14
	;; [unrolled: 1-line block ×3, first 2 shown]
	v_cndmask_b32_e32 v15, v16, v17, vcc_lo
	v_bfe_u32 v16, v8, 16, 1
	v_add_f32_e32 v6, v6, v11
	v_mul_f32_e32 v11, v0, v12
	v_add_f32_e32 v7, v7, v13
	v_lshlrev_b32_e32 v1, 16, v1
	v_add3_u32 v14, v16, v8, 0x7fff
	v_or_b32_e32 v16, 0x400000, v8
	v_cmp_u_f32_e32 vcc_lo, v8, v8
	v_bfe_u32 v12, v11, 16, 1
	v_add_f32_e32 v6, v7, v6
	v_and_b32_e32 v7, 0xffff0000, v2
	v_mul_f32_e32 v1, v49, v1
	v_cndmask_b32_e32 v8, v14, v16, vcc_lo
	v_add3_u32 v12, v12, v11, 0x7fff
	v_or_b32_e32 v13, 0x400000, v11
	v_mul_f32_e32 v7, v41, v7
	v_and_b32_e32 v14, 0xffff0000, v15
	v_bfe_u32 v15, v1, 16, 1
	v_cmp_u_f32_e32 vcc_lo, v11, v11
	v_lshlrev_b32_e32 v2, 16, v2
	v_or_b32_e32 v16, 0x400000, v1
	v_or_b32_e32 v17, 0x400000, v7
	s_waitcnt vmcnt(0)
	v_lshlrev_b32_e32 v19, 16, v24
	v_cndmask_b32_e32 v11, v12, v13, vcc_lo
	v_bfe_u32 v12, v7, 16, 1
	v_add3_u32 v13, v15, v1, 0x7fff
	v_and_b32_e32 v15, 0xffff0000, v3
	v_mul_f32_e32 v2, v50, v2
	v_cmp_u_f32_e32 vcc_lo, v1, v1
	v_add3_u32 v12, v12, v7, 0x7fff
	v_lshlrev_b32_e32 v3, 16, v3
	v_mul_f32_e32 v15, v42, v15
	v_and_b32_e32 v11, 0xffff0000, v11
	v_cndmask_b32_e32 v1, v13, v16, vcc_lo
	v_bfe_u32 v13, v2, 16, 1
	v_cmp_u_f32_e32 vcc_lo, v7, v7
	v_and_b32_e32 v16, 0xffff0000, v4
	v_mul_f32_e32 v3, v51, v3
	v_or_b32_e32 v18, 0x400000, v15
	v_add3_u32 v13, v13, v2, 0x7fff
	v_cndmask_b32_e32 v7, v12, v17, vcc_lo
	v_bfe_u32 v12, v15, 16, 1
	v_or_b32_e32 v17, 0x400000, v2
	v_cmp_u_f32_e32 vcc_lo, v2, v2
	v_mul_f32_e32 v16, v43, v16
	v_lshlrev_b32_e32 v4, 16, v4
	v_add3_u32 v12, v12, v15, 0x7fff
	v_and_b32_e32 v1, 0xffff0000, v1
	v_cndmask_b32_e32 v2, v13, v17, vcc_lo
	v_bfe_u32 v13, v3, 16, 1
	v_cmp_u_f32_e32 vcc_lo, v15, v15
	v_bfe_u32 v17, v16, 16, 1
	v_or_b32_e32 v15, 0x400000, v3
	v_mul_f32_e32 v4, v44, v4
	v_add3_u32 v13, v13, v3, 0x7fff
	v_cndmask_b32_e32 v12, v12, v18, vcc_lo
	v_cmp_u_f32_e32 vcc_lo, v3, v3
	v_add3_u32 v17, v17, v16, 0x7fff
	v_or_b32_e32 v18, 0x400000, v16
	v_and_b32_e32 v2, 0xffff0000, v2
	v_and_b32_e32 v7, 0xffff0000, v7
	v_cndmask_b32_e32 v3, v13, v15, vcc_lo
	v_cmp_u_f32_e32 vcc_lo, v16, v16
	v_bfe_u32 v15, v4, 16, 1
	v_add_f32_e32 v1, v1, v11
	v_add_f32_e32 v2, v2, v7
	v_and_b32_e32 v3, 0xffff0000, v3
	v_cndmask_b32_e32 v13, v17, v18, vcc_lo
	v_lshlrev_b32_e32 v17, 16, v21
	v_and_b32_e32 v7, 0xffff0000, v12
	v_and_b32_e32 v12, 0xffff0000, v21
	v_add3_u32 v15, v15, v4, 0x7fff
	v_or_b32_e32 v16, 0x400000, v4
	v_mul_f32_e32 v11, v49, v17
	v_cmp_u_f32_e32 vcc_lo, v4, v4
	v_add_f32_e32 v1, v2, v1
	v_add_f32_e32 v3, v3, v7
	v_mul_f32_e32 v0, v0, v12
	v_bfe_u32 v2, v11, 16, 1
	v_lshlrev_b32_e32 v7, 16, v22
	v_cndmask_b32_e32 v4, v15, v16, vcc_lo
	v_or_b32_e32 v12, 0x400000, v11
	v_bfe_u32 v15, v0, 16, 1
	v_add3_u32 v2, v2, v11, 0x7fff
	v_mul_f32_e32 v7, v50, v7
	v_and_b32_e32 v16, 0xffff0000, v22
	v_cmp_u_f32_e32 vcc_lo, v11, v11
	v_add3_u32 v11, v15, v0, 0x7fff
	v_lshlrev_b32_e32 v17, 16, v23
	v_bfe_u32 v15, v7, 16, 1
	v_mul_f32_e32 v16, v41, v16
	v_cndmask_b32_e32 v2, v2, v12, vcc_lo
	v_or_b32_e32 v12, 0x400000, v0
	v_cmp_u_f32_e32 vcc_lo, v0, v0
	v_mul_f32_e32 v17, v51, v17
	v_and_b32_e32 v18, 0xffff0000, v23
	v_and_b32_e32 v20, 0xffff0000, v24
	;; [unrolled: 1-line block ×3, first 2 shown]
	v_cndmask_b32_e32 v0, v11, v12, vcc_lo
	v_add3_u32 v11, v15, v7, 0x7fff
	v_or_b32_e32 v12, 0x400000, v7
	v_bfe_u32 v15, v16, 16, 1
	v_cmp_u_f32_e32 vcc_lo, v7, v7
	v_mul_f32_e32 v18, v42, v18
	v_and_b32_e32 v0, 0xffff0000, v0
	v_and_b32_e32 v8, 0xffff0000, v8
	;; [unrolled: 1-line block ×3, first 2 shown]
	v_cndmask_b32_e32 v7, v11, v12, vcc_lo
	v_add3_u32 v11, v15, v16, 0x7fff
	v_or_b32_e32 v12, 0x400000, v16
	v_bfe_u32 v15, v17, 16, 1
	v_cmp_u_f32_e32 vcc_lo, v16, v16
	v_mul_f32_e32 v16, v44, v19
	v_mul_f32_e32 v19, v43, v20
	v_or_b32_e32 v20, 0x400000, v17
	v_add3_u32 v15, v15, v17, 0x7fff
	v_cndmask_b32_e32 v11, v11, v12, vcc_lo
	v_bfe_u32 v12, v18, 16, 1
	v_cmp_u_f32_e32 vcc_lo, v17, v17
	v_or_b32_e32 v21, 0x400000, v18
	v_bfe_u32 v23, v19, 16, 1
	v_bfe_u32 v22, v16, 16, 1
	v_add3_u32 v12, v12, v18, 0x7fff
	v_cndmask_b32_e32 v15, v15, v20, vcc_lo
	v_cmp_u_f32_e32 vcc_lo, v18, v18
	v_add3_u32 v18, v23, v19, 0x7fff
	v_or_b32_e32 v20, 0x400000, v19
	v_add3_u32 v17, v22, v16, 0x7fff
	v_and_b32_e32 v11, 0xffff0000, v11
	v_cndmask_b32_e32 v12, v12, v21, vcc_lo
	v_cmp_u_f32_e32 vcc_lo, v19, v19
	v_and_b32_e32 v7, 0xffff0000, v7
	v_or_b32_e32 v21, 0x400000, v16
	v_add_f32_e32 v0, v2, v0
	v_and_b32_e32 v13, 0xffff0000, v13
	v_cndmask_b32_e32 v18, v18, v20, vcc_lo
	v_cmp_u_f32_e32 vcc_lo, v16, v16
	v_add_f32_e32 v2, v7, v11
	v_and_b32_e32 v7, 0xffff0000, v12
	v_and_b32_e32 v11, 0xffff0000, v15
	v_add_f32_e32 v8, v8, v14
	v_cndmask_b32_e32 v12, v17, v21, vcc_lo
	v_add_f32_e32 v0, v2, v0
	v_add_f32_e32 v1, v3, v1
	;; [unrolled: 1-line block ×3, first 2 shown]
	v_and_b32_e32 v7, 0xffff0000, v18
	v_and_b32_e32 v11, 0xffff0000, v12
	v_add_f32_e32 v3, v4, v13
	v_add_f32_e32 v4, v10, v5
	;; [unrolled: 1-line block ×6, first 2 shown]
	v_cmp_le_i32_e32 vcc_lo, s12, v96
	v_add_f32_e32 v89, v89, v4
	v_add_f32_e32 v90, v90, v5
	v_add_f32_e32 v0, v2, v0
	v_add_f32_e32 v88, v88, v1
	s_or_b32 s13, vcc_lo, s13
	v_add_f32_e32 v76, v76, v0
	s_andn2_b32 exec_lo, exec_lo, s13
	s_cbranch_execz .LBB158_56
.LBB158_26:                             ; =>This Inner Loop Header: Depth=1
	global_load_dword v0, v[69:70], off
	v_cmp_eq_u32_e64 s0, s4, v96
	v_add_nc_u32_e32 v100, 1, v94
	v_or_b32_e32 v98, 3, v94
	v_or_b32_e32 v99, 2, v94
	;; [unrolled: 1-line block ×5, first 2 shown]
	s_waitcnt vmcnt(0)
	v_mad_i64_i32 v[0:1], null, v0, s5, 0
	v_lshlrev_b64 v[0:1], 1, v[0:1]
	v_add_co_u32 v21, vcc_lo, v92, v0
	v_add_co_ci_u32_e64 v22, null, v93, v1, vcc_lo
	v_or_b32_e32 v0, 6, v94
	global_load_dwordx4 v[1:4], v[21:22], off
	ds_read2_b64 v[49:52], v95 offset1:1
	ds_read2_b64 v[41:44], v95 offset0:2 offset1:3
	s_and_saveexec_b32 s15, s0
	s_cbranch_execnz .LBB158_44
; %bb.27:                               ;   in Loop: Header=BB158_26 Depth=1
	s_or_b32 exec_lo, exec_lo, s15
	global_load_dwordx4 v[5:8], v[21:22], off offset:512
	s_and_saveexec_b32 s15, s0
	s_cbranch_execnz .LBB158_45
.LBB158_28:                             ;   in Loop: Header=BB158_26 Depth=1
	s_or_b32 exec_lo, exec_lo, s15
	global_load_dwordx4 v[9:12], v[21:22], off offset:1024
	s_and_saveexec_b32 s15, s0
	s_cbranch_execnz .LBB158_46
.LBB158_29:                             ;   in Loop: Header=BB158_26 Depth=1
	s_or_b32 exec_lo, exec_lo, s15
	global_load_dwordx4 v[13:16], v[21:22], off offset:1536
	s_and_saveexec_b32 s15, s0
	s_cbranch_execz .LBB158_31
.LBB158_30:                             ;   in Loop: Header=BB158_26 Depth=1
	v_cmp_gt_i32_e64 s1, s11, v94
	v_cmp_gt_i32_e32 vcc_lo, s14, v100
	v_cmp_gt_i32_e64 s2, s11, v99
	s_waitcnt vmcnt(0)
	v_cndmask_b32_e64 v17, 0, v13, s1
	v_cmp_gt_i32_e64 s1, s14, v98
	v_cndmask_b32_sdwa v13, v91, v13, vcc_lo dst_sel:DWORD dst_unused:UNUSED_PAD src0_sel:DWORD src1_sel:WORD_1
	v_cndmask_b32_e64 v18, 0, v14, s2
	v_cmp_gt_i32_e64 s2, s14, v97
	s_mov_b32 vcc_lo, s1
	v_cmp_gt_i32_e64 s1, s14, v71
	v_cndmask_b32_sdwa v14, v91, v14, vcc_lo dst_sel:DWORD dst_unused:UNUSED_PAD src0_sel:DWORD src1_sel:WORD_1
	v_cmp_gt_i32_e32 vcc_lo, s11, v72
	v_perm_b32 v13, v13, v17, 0x5040100
	v_perm_b32 v14, v14, v18, 0x5040100
	v_cndmask_b32_e32 v19, 0, v15, vcc_lo
	s_mov_b32 vcc_lo, s2
	v_cndmask_b32_sdwa v15, v91, v15, vcc_lo dst_sel:DWORD dst_unused:UNUSED_PAD src0_sel:DWORD src1_sel:WORD_1
	v_cmp_gt_i32_e32 vcc_lo, s11, v0
	v_perm_b32 v15, v15, v19, 0x5040100
	v_cndmask_b32_e32 v20, 0, v16, vcc_lo
	s_mov_b32 vcc_lo, s1
	v_cndmask_b32_sdwa v16, v91, v16, vcc_lo dst_sel:DWORD dst_unused:UNUSED_PAD src0_sel:DWORD src1_sel:WORD_1
	v_perm_b32 v16, v16, v20, 0x5040100
.LBB158_31:                             ;   in Loop: Header=BB158_26 Depth=1
	s_or_b32 exec_lo, exec_lo, s15
	v_add_co_u32 v23, vcc_lo, 0x800, v21
	v_add_co_ci_u32_e64 v24, null, 0, v22, vcc_lo
	global_load_dwordx4 v[17:20], v[23:24], off
	s_and_saveexec_b32 s15, s0
	s_cbranch_execnz .LBB158_47
; %bb.32:                               ;   in Loop: Header=BB158_26 Depth=1
	s_or_b32 exec_lo, exec_lo, s15
	global_load_dwordx4 v[25:28], v[23:24], off offset:512
	s_and_saveexec_b32 s15, s0
	s_cbranch_execnz .LBB158_48
.LBB158_33:                             ;   in Loop: Header=BB158_26 Depth=1
	s_or_b32 exec_lo, exec_lo, s15
	global_load_dwordx4 v[29:32], v[23:24], off offset:1024
	s_and_saveexec_b32 s15, s0
	s_cbranch_execnz .LBB158_49
.LBB158_34:                             ;   in Loop: Header=BB158_26 Depth=1
	s_or_b32 exec_lo, exec_lo, s15
	global_load_dwordx4 v[33:36], v[23:24], off offset:1536
	s_and_saveexec_b32 s15, s0
	s_cbranch_execz .LBB158_36
.LBB158_35:                             ;   in Loop: Header=BB158_26 Depth=1
	v_cmp_gt_i32_e64 s1, s11, v94
	v_cmp_gt_i32_e32 vcc_lo, s14, v100
	v_cmp_gt_i32_e64 s2, s11, v99
	s_waitcnt vmcnt(0)
	v_cndmask_b32_e64 v23, 0, v33, s1
	v_cmp_gt_i32_e64 s1, s14, v98
	v_cndmask_b32_sdwa v33, v91, v33, vcc_lo dst_sel:DWORD dst_unused:UNUSED_PAD src0_sel:DWORD src1_sel:WORD_1
	v_cndmask_b32_e64 v24, 0, v34, s2
	v_cmp_gt_i32_e64 s2, s14, v97
	s_mov_b32 vcc_lo, s1
	v_cmp_gt_i32_e64 s1, s14, v71
	v_cndmask_b32_sdwa v34, v91, v34, vcc_lo dst_sel:DWORD dst_unused:UNUSED_PAD src0_sel:DWORD src1_sel:WORD_1
	v_cmp_gt_i32_e32 vcc_lo, s11, v72
	v_perm_b32 v33, v33, v23, 0x5040100
	v_perm_b32 v34, v34, v24, 0x5040100
	v_cndmask_b32_e32 v37, 0, v35, vcc_lo
	s_mov_b32 vcc_lo, s2
	v_cndmask_b32_sdwa v35, v91, v35, vcc_lo dst_sel:DWORD dst_unused:UNUSED_PAD src0_sel:DWORD src1_sel:WORD_1
	v_cmp_gt_i32_e32 vcc_lo, s11, v0
	v_perm_b32 v35, v35, v37, 0x5040100
	v_cndmask_b32_e32 v38, 0, v36, vcc_lo
	s_mov_b32 vcc_lo, s1
	v_cndmask_b32_sdwa v36, v91, v36, vcc_lo dst_sel:DWORD dst_unused:UNUSED_PAD src0_sel:DWORD src1_sel:WORD_1
	v_perm_b32 v36, v36, v38, 0x5040100
.LBB158_36:                             ;   in Loop: Header=BB158_26 Depth=1
	s_or_b32 exec_lo, exec_lo, s15
	v_add_co_u32 v23, vcc_lo, 0x1000, v21
	v_add_co_ci_u32_e64 v24, null, 0, v22, vcc_lo
	global_load_dwordx4 v[37:40], v[23:24], off
	s_and_saveexec_b32 s15, s0
	s_cbranch_execnz .LBB158_50
; %bb.37:                               ;   in Loop: Header=BB158_26 Depth=1
	s_or_b32 exec_lo, exec_lo, s15
	global_load_dwordx4 v[45:48], v[23:24], off offset:512
	s_and_saveexec_b32 s15, s0
	s_cbranch_execnz .LBB158_51
.LBB158_38:                             ;   in Loop: Header=BB158_26 Depth=1
	s_or_b32 exec_lo, exec_lo, s15
	global_load_dwordx4 v[53:56], v[23:24], off offset:1024
	s_and_saveexec_b32 s15, s0
	s_cbranch_execnz .LBB158_52
.LBB158_39:                             ;   in Loop: Header=BB158_26 Depth=1
	s_or_b32 exec_lo, exec_lo, s15
	global_load_dwordx4 v[57:60], v[23:24], off offset:1536
	s_and_saveexec_b32 s15, s0
	s_cbranch_execz .LBB158_41
.LBB158_40:                             ;   in Loop: Header=BB158_26 Depth=1
	v_cmp_gt_i32_e64 s1, s11, v94
	v_cmp_gt_i32_e32 vcc_lo, s14, v100
	v_cmp_gt_i32_e64 s2, s11, v99
	s_waitcnt vmcnt(0)
	v_cndmask_b32_e64 v23, 0, v57, s1
	v_cmp_gt_i32_e64 s1, s14, v98
	v_cndmask_b32_sdwa v57, v91, v57, vcc_lo dst_sel:DWORD dst_unused:UNUSED_PAD src0_sel:DWORD src1_sel:WORD_1
	v_cndmask_b32_e64 v24, 0, v58, s2
	v_cmp_gt_i32_e64 s2, s14, v97
	s_mov_b32 vcc_lo, s1
	v_cmp_gt_i32_e64 s1, s14, v71
	v_cndmask_b32_sdwa v58, v91, v58, vcc_lo dst_sel:DWORD dst_unused:UNUSED_PAD src0_sel:DWORD src1_sel:WORD_1
	v_cmp_gt_i32_e32 vcc_lo, s11, v72
	v_perm_b32 v57, v57, v23, 0x5040100
	v_perm_b32 v58, v58, v24, 0x5040100
	v_cndmask_b32_e32 v61, 0, v59, vcc_lo
	s_mov_b32 vcc_lo, s2
	v_cndmask_b32_sdwa v59, v91, v59, vcc_lo dst_sel:DWORD dst_unused:UNUSED_PAD src0_sel:DWORD src1_sel:WORD_1
	v_cmp_gt_i32_e32 vcc_lo, s11, v0
	v_perm_b32 v59, v59, v61, 0x5040100
	v_cndmask_b32_e32 v62, 0, v60, vcc_lo
	s_mov_b32 vcc_lo, s1
	v_cndmask_b32_sdwa v60, v91, v60, vcc_lo dst_sel:DWORD dst_unused:UNUSED_PAD src0_sel:DWORD src1_sel:WORD_1
	v_perm_b32 v60, v60, v62, 0x5040100
.LBB158_41:                             ;   in Loop: Header=BB158_26 Depth=1
	s_or_b32 exec_lo, exec_lo, s15
	v_add_co_u32 v21, vcc_lo, 0x1800, v21
	v_add_co_ci_u32_e64 v22, null, 0, v22, vcc_lo
	global_load_dwordx4 v[61:64], v[21:22], off
	s_and_saveexec_b32 s15, s0
	s_cbranch_execnz .LBB158_53
; %bb.42:                               ;   in Loop: Header=BB158_26 Depth=1
	s_or_b32 exec_lo, exec_lo, s15
	global_load_dwordx4 v[65:68], v[21:22], off offset:512
	s_and_saveexec_b32 s15, s0
	s_cbranch_execnz .LBB158_54
.LBB158_43:                             ;   in Loop: Header=BB158_26 Depth=1
	s_or_b32 exec_lo, exec_lo, s15
	global_load_dwordx4 v[21:24], v[21:22], off offset:1024
	s_and_saveexec_b32 s2, s0
	s_cbranch_execz .LBB158_25
	s_branch .LBB158_55
.LBB158_44:                             ;   in Loop: Header=BB158_26 Depth=1
	v_cmp_gt_i32_e64 s1, s11, v94
	v_cmp_gt_i32_e32 vcc_lo, s14, v100
	v_cmp_gt_i32_e64 s2, s11, v99
	s_waitcnt vmcnt(0)
	v_cndmask_b32_e64 v5, 0, v1, s1
	v_cmp_gt_i32_e64 s1, s14, v98
	v_cndmask_b32_sdwa v1, v91, v1, vcc_lo dst_sel:DWORD dst_unused:UNUSED_PAD src0_sel:DWORD src1_sel:WORD_1
	v_cndmask_b32_e64 v6, 0, v2, s2
	v_cmp_gt_i32_e64 s2, s14, v97
	s_mov_b32 vcc_lo, s1
	v_cmp_gt_i32_e64 s1, s14, v71
	v_cndmask_b32_sdwa v2, v91, v2, vcc_lo dst_sel:DWORD dst_unused:UNUSED_PAD src0_sel:DWORD src1_sel:WORD_1
	v_cmp_gt_i32_e32 vcc_lo, s11, v72
	v_perm_b32 v1, v1, v5, 0x5040100
	v_perm_b32 v2, v2, v6, 0x5040100
	v_cndmask_b32_e32 v7, 0, v3, vcc_lo
	s_mov_b32 vcc_lo, s2
	v_cndmask_b32_sdwa v3, v91, v3, vcc_lo dst_sel:DWORD dst_unused:UNUSED_PAD src0_sel:DWORD src1_sel:WORD_1
	v_cmp_gt_i32_e32 vcc_lo, s11, v0
	v_perm_b32 v3, v3, v7, 0x5040100
	v_cndmask_b32_e32 v8, 0, v4, vcc_lo
	s_mov_b32 vcc_lo, s1
	v_cndmask_b32_sdwa v4, v91, v4, vcc_lo dst_sel:DWORD dst_unused:UNUSED_PAD src0_sel:DWORD src1_sel:WORD_1
	v_perm_b32 v4, v4, v8, 0x5040100
	s_or_b32 exec_lo, exec_lo, s15
	global_load_dwordx4 v[5:8], v[21:22], off offset:512
	s_and_saveexec_b32 s15, s0
	s_cbranch_execz .LBB158_28
.LBB158_45:                             ;   in Loop: Header=BB158_26 Depth=1
	v_cmp_gt_i32_e64 s1, s11, v94
	v_cmp_gt_i32_e32 vcc_lo, s14, v100
	v_cmp_gt_i32_e64 s2, s11, v99
	s_waitcnt vmcnt(0)
	v_cndmask_b32_e64 v9, 0, v5, s1
	v_cmp_gt_i32_e64 s1, s14, v98
	v_cndmask_b32_sdwa v5, v91, v5, vcc_lo dst_sel:DWORD dst_unused:UNUSED_PAD src0_sel:DWORD src1_sel:WORD_1
	v_cndmask_b32_e64 v10, 0, v6, s2
	v_cmp_gt_i32_e64 s2, s14, v97
	s_mov_b32 vcc_lo, s1
	v_cmp_gt_i32_e64 s1, s14, v71
	v_cndmask_b32_sdwa v6, v91, v6, vcc_lo dst_sel:DWORD dst_unused:UNUSED_PAD src0_sel:DWORD src1_sel:WORD_1
	v_cmp_gt_i32_e32 vcc_lo, s11, v72
	v_perm_b32 v5, v5, v9, 0x5040100
	v_perm_b32 v6, v6, v10, 0x5040100
	v_cndmask_b32_e32 v11, 0, v7, vcc_lo
	s_mov_b32 vcc_lo, s2
	v_cndmask_b32_sdwa v7, v91, v7, vcc_lo dst_sel:DWORD dst_unused:UNUSED_PAD src0_sel:DWORD src1_sel:WORD_1
	v_cmp_gt_i32_e32 vcc_lo, s11, v0
	v_perm_b32 v7, v7, v11, 0x5040100
	v_cndmask_b32_e32 v12, 0, v8, vcc_lo
	s_mov_b32 vcc_lo, s1
	v_cndmask_b32_sdwa v8, v91, v8, vcc_lo dst_sel:DWORD dst_unused:UNUSED_PAD src0_sel:DWORD src1_sel:WORD_1
	v_perm_b32 v8, v8, v12, 0x5040100
	s_or_b32 exec_lo, exec_lo, s15
	global_load_dwordx4 v[9:12], v[21:22], off offset:1024
	s_and_saveexec_b32 s15, s0
	s_cbranch_execz .LBB158_29
.LBB158_46:                             ;   in Loop: Header=BB158_26 Depth=1
	v_cmp_gt_i32_e64 s1, s11, v94
	v_cmp_gt_i32_e32 vcc_lo, s14, v100
	v_cmp_gt_i32_e64 s2, s11, v99
	s_waitcnt vmcnt(0)
	v_cndmask_b32_e64 v13, 0, v9, s1
	v_cmp_gt_i32_e64 s1, s14, v98
	v_cndmask_b32_sdwa v9, v91, v9, vcc_lo dst_sel:DWORD dst_unused:UNUSED_PAD src0_sel:DWORD src1_sel:WORD_1
	v_cndmask_b32_e64 v14, 0, v10, s2
	v_cmp_gt_i32_e64 s2, s14, v97
	s_mov_b32 vcc_lo, s1
	v_cmp_gt_i32_e64 s1, s14, v71
	v_cndmask_b32_sdwa v10, v91, v10, vcc_lo dst_sel:DWORD dst_unused:UNUSED_PAD src0_sel:DWORD src1_sel:WORD_1
	v_cmp_gt_i32_e32 vcc_lo, s11, v72
	v_perm_b32 v9, v9, v13, 0x5040100
	v_perm_b32 v10, v10, v14, 0x5040100
	v_cndmask_b32_e32 v15, 0, v11, vcc_lo
	s_mov_b32 vcc_lo, s2
	v_cndmask_b32_sdwa v11, v91, v11, vcc_lo dst_sel:DWORD dst_unused:UNUSED_PAD src0_sel:DWORD src1_sel:WORD_1
	v_cmp_gt_i32_e32 vcc_lo, s11, v0
	v_perm_b32 v11, v11, v15, 0x5040100
	v_cndmask_b32_e32 v16, 0, v12, vcc_lo
	s_mov_b32 vcc_lo, s1
	v_cndmask_b32_sdwa v12, v91, v12, vcc_lo dst_sel:DWORD dst_unused:UNUSED_PAD src0_sel:DWORD src1_sel:WORD_1
	v_perm_b32 v12, v12, v16, 0x5040100
	s_or_b32 exec_lo, exec_lo, s15
	global_load_dwordx4 v[13:16], v[21:22], off offset:1536
	s_and_saveexec_b32 s15, s0
	s_cbranch_execnz .LBB158_30
	s_branch .LBB158_31
.LBB158_47:                             ;   in Loop: Header=BB158_26 Depth=1
	v_cmp_gt_i32_e64 s1, s11, v94
	v_cmp_gt_i32_e32 vcc_lo, s14, v100
	v_cmp_gt_i32_e64 s2, s11, v99
	s_waitcnt vmcnt(0)
	v_cndmask_b32_e64 v25, 0, v17, s1
	v_cmp_gt_i32_e64 s1, s14, v98
	v_cndmask_b32_sdwa v17, v91, v17, vcc_lo dst_sel:DWORD dst_unused:UNUSED_PAD src0_sel:DWORD src1_sel:WORD_1
	v_cndmask_b32_e64 v26, 0, v18, s2
	v_cmp_gt_i32_e64 s2, s14, v97
	s_mov_b32 vcc_lo, s1
	v_cmp_gt_i32_e64 s1, s14, v71
	v_cndmask_b32_sdwa v18, v91, v18, vcc_lo dst_sel:DWORD dst_unused:UNUSED_PAD src0_sel:DWORD src1_sel:WORD_1
	v_cmp_gt_i32_e32 vcc_lo, s11, v72
	v_perm_b32 v17, v17, v25, 0x5040100
	v_perm_b32 v18, v18, v26, 0x5040100
	v_cndmask_b32_e32 v27, 0, v19, vcc_lo
	s_mov_b32 vcc_lo, s2
	v_cndmask_b32_sdwa v19, v91, v19, vcc_lo dst_sel:DWORD dst_unused:UNUSED_PAD src0_sel:DWORD src1_sel:WORD_1
	v_cmp_gt_i32_e32 vcc_lo, s11, v0
	v_perm_b32 v19, v19, v27, 0x5040100
	v_cndmask_b32_e32 v28, 0, v20, vcc_lo
	s_mov_b32 vcc_lo, s1
	v_cndmask_b32_sdwa v20, v91, v20, vcc_lo dst_sel:DWORD dst_unused:UNUSED_PAD src0_sel:DWORD src1_sel:WORD_1
	v_perm_b32 v20, v20, v28, 0x5040100
	s_or_b32 exec_lo, exec_lo, s15
	global_load_dwordx4 v[25:28], v[23:24], off offset:512
	s_and_saveexec_b32 s15, s0
	s_cbranch_execz .LBB158_33
.LBB158_48:                             ;   in Loop: Header=BB158_26 Depth=1
	v_cmp_gt_i32_e64 s1, s11, v94
	v_cmp_gt_i32_e32 vcc_lo, s14, v100
	v_cmp_gt_i32_e64 s2, s11, v99
	s_waitcnt vmcnt(0)
	v_cndmask_b32_e64 v29, 0, v25, s1
	v_cmp_gt_i32_e64 s1, s14, v98
	v_cndmask_b32_sdwa v25, v91, v25, vcc_lo dst_sel:DWORD dst_unused:UNUSED_PAD src0_sel:DWORD src1_sel:WORD_1
	v_cndmask_b32_e64 v30, 0, v26, s2
	v_cmp_gt_i32_e64 s2, s14, v97
	s_mov_b32 vcc_lo, s1
	v_cmp_gt_i32_e64 s1, s14, v71
	v_cndmask_b32_sdwa v26, v91, v26, vcc_lo dst_sel:DWORD dst_unused:UNUSED_PAD src0_sel:DWORD src1_sel:WORD_1
	v_cmp_gt_i32_e32 vcc_lo, s11, v72
	v_perm_b32 v25, v25, v29, 0x5040100
	v_perm_b32 v26, v26, v30, 0x5040100
	v_cndmask_b32_e32 v31, 0, v27, vcc_lo
	s_mov_b32 vcc_lo, s2
	v_cndmask_b32_sdwa v27, v91, v27, vcc_lo dst_sel:DWORD dst_unused:UNUSED_PAD src0_sel:DWORD src1_sel:WORD_1
	v_cmp_gt_i32_e32 vcc_lo, s11, v0
	v_perm_b32 v27, v27, v31, 0x5040100
	v_cndmask_b32_e32 v32, 0, v28, vcc_lo
	s_mov_b32 vcc_lo, s1
	v_cndmask_b32_sdwa v28, v91, v28, vcc_lo dst_sel:DWORD dst_unused:UNUSED_PAD src0_sel:DWORD src1_sel:WORD_1
	v_perm_b32 v28, v28, v32, 0x5040100
	s_or_b32 exec_lo, exec_lo, s15
	global_load_dwordx4 v[29:32], v[23:24], off offset:1024
	s_and_saveexec_b32 s15, s0
	s_cbranch_execz .LBB158_34
.LBB158_49:                             ;   in Loop: Header=BB158_26 Depth=1
	v_cmp_gt_i32_e64 s1, s11, v94
	v_cmp_gt_i32_e32 vcc_lo, s14, v100
	v_cmp_gt_i32_e64 s2, s11, v99
	s_waitcnt vmcnt(0)
	v_cndmask_b32_e64 v33, 0, v29, s1
	v_cmp_gt_i32_e64 s1, s14, v98
	v_cndmask_b32_sdwa v29, v91, v29, vcc_lo dst_sel:DWORD dst_unused:UNUSED_PAD src0_sel:DWORD src1_sel:WORD_1
	v_cndmask_b32_e64 v34, 0, v30, s2
	v_cmp_gt_i32_e64 s2, s14, v97
	s_mov_b32 vcc_lo, s1
	v_cmp_gt_i32_e64 s1, s14, v71
	v_cndmask_b32_sdwa v30, v91, v30, vcc_lo dst_sel:DWORD dst_unused:UNUSED_PAD src0_sel:DWORD src1_sel:WORD_1
	v_cmp_gt_i32_e32 vcc_lo, s11, v72
	v_perm_b32 v29, v29, v33, 0x5040100
	v_perm_b32 v30, v30, v34, 0x5040100
	v_cndmask_b32_e32 v35, 0, v31, vcc_lo
	s_mov_b32 vcc_lo, s2
	v_cndmask_b32_sdwa v31, v91, v31, vcc_lo dst_sel:DWORD dst_unused:UNUSED_PAD src0_sel:DWORD src1_sel:WORD_1
	v_cmp_gt_i32_e32 vcc_lo, s11, v0
	v_perm_b32 v31, v31, v35, 0x5040100
	v_cndmask_b32_e32 v36, 0, v32, vcc_lo
	s_mov_b32 vcc_lo, s1
	v_cndmask_b32_sdwa v32, v91, v32, vcc_lo dst_sel:DWORD dst_unused:UNUSED_PAD src0_sel:DWORD src1_sel:WORD_1
	v_perm_b32 v32, v32, v36, 0x5040100
	s_or_b32 exec_lo, exec_lo, s15
	global_load_dwordx4 v[33:36], v[23:24], off offset:1536
	s_and_saveexec_b32 s15, s0
	s_cbranch_execnz .LBB158_35
	s_branch .LBB158_36
.LBB158_50:                             ;   in Loop: Header=BB158_26 Depth=1
	v_cmp_gt_i32_e64 s1, s11, v94
	v_cmp_gt_i32_e32 vcc_lo, s14, v100
	v_cmp_gt_i32_e64 s2, s11, v99
	s_waitcnt vmcnt(0)
	v_cndmask_b32_e64 v45, 0, v37, s1
	v_cmp_gt_i32_e64 s1, s14, v98
	v_cndmask_b32_sdwa v37, v91, v37, vcc_lo dst_sel:DWORD dst_unused:UNUSED_PAD src0_sel:DWORD src1_sel:WORD_1
	v_cndmask_b32_e64 v46, 0, v38, s2
	v_cmp_gt_i32_e64 s2, s14, v97
	s_mov_b32 vcc_lo, s1
	v_cmp_gt_i32_e64 s1, s14, v71
	v_cndmask_b32_sdwa v38, v91, v38, vcc_lo dst_sel:DWORD dst_unused:UNUSED_PAD src0_sel:DWORD src1_sel:WORD_1
	v_cmp_gt_i32_e32 vcc_lo, s11, v72
	v_perm_b32 v37, v37, v45, 0x5040100
	v_perm_b32 v38, v38, v46, 0x5040100
	v_cndmask_b32_e32 v47, 0, v39, vcc_lo
	s_mov_b32 vcc_lo, s2
	v_cndmask_b32_sdwa v39, v91, v39, vcc_lo dst_sel:DWORD dst_unused:UNUSED_PAD src0_sel:DWORD src1_sel:WORD_1
	v_cmp_gt_i32_e32 vcc_lo, s11, v0
	v_perm_b32 v39, v39, v47, 0x5040100
	v_cndmask_b32_e32 v48, 0, v40, vcc_lo
	s_mov_b32 vcc_lo, s1
	v_cndmask_b32_sdwa v40, v91, v40, vcc_lo dst_sel:DWORD dst_unused:UNUSED_PAD src0_sel:DWORD src1_sel:WORD_1
	v_perm_b32 v40, v40, v48, 0x5040100
	s_or_b32 exec_lo, exec_lo, s15
	global_load_dwordx4 v[45:48], v[23:24], off offset:512
	s_and_saveexec_b32 s15, s0
	s_cbranch_execz .LBB158_38
.LBB158_51:                             ;   in Loop: Header=BB158_26 Depth=1
	v_cmp_gt_i32_e64 s1, s11, v94
	v_cmp_gt_i32_e32 vcc_lo, s14, v100
	v_cmp_gt_i32_e64 s2, s11, v99
	s_waitcnt vmcnt(0)
	v_cndmask_b32_e64 v53, 0, v45, s1
	v_cmp_gt_i32_e64 s1, s14, v98
	v_cndmask_b32_sdwa v45, v91, v45, vcc_lo dst_sel:DWORD dst_unused:UNUSED_PAD src0_sel:DWORD src1_sel:WORD_1
	v_cndmask_b32_e64 v54, 0, v46, s2
	v_cmp_gt_i32_e64 s2, s14, v97
	s_mov_b32 vcc_lo, s1
	v_cmp_gt_i32_e64 s1, s14, v71
	v_cndmask_b32_sdwa v46, v91, v46, vcc_lo dst_sel:DWORD dst_unused:UNUSED_PAD src0_sel:DWORD src1_sel:WORD_1
	v_cmp_gt_i32_e32 vcc_lo, s11, v72
	v_perm_b32 v45, v45, v53, 0x5040100
	v_perm_b32 v46, v46, v54, 0x5040100
	v_cndmask_b32_e32 v55, 0, v47, vcc_lo
	s_mov_b32 vcc_lo, s2
	v_cndmask_b32_sdwa v47, v91, v47, vcc_lo dst_sel:DWORD dst_unused:UNUSED_PAD src0_sel:DWORD src1_sel:WORD_1
	v_cmp_gt_i32_e32 vcc_lo, s11, v0
	v_perm_b32 v47, v47, v55, 0x5040100
	v_cndmask_b32_e32 v56, 0, v48, vcc_lo
	s_mov_b32 vcc_lo, s1
	v_cndmask_b32_sdwa v48, v91, v48, vcc_lo dst_sel:DWORD dst_unused:UNUSED_PAD src0_sel:DWORD src1_sel:WORD_1
	v_perm_b32 v48, v48, v56, 0x5040100
	s_or_b32 exec_lo, exec_lo, s15
	global_load_dwordx4 v[53:56], v[23:24], off offset:1024
	s_and_saveexec_b32 s15, s0
	s_cbranch_execz .LBB158_39
.LBB158_52:                             ;   in Loop: Header=BB158_26 Depth=1
	v_cmp_gt_i32_e64 s1, s11, v94
	v_cmp_gt_i32_e32 vcc_lo, s14, v100
	v_cmp_gt_i32_e64 s2, s11, v99
	s_waitcnt vmcnt(0)
	v_cndmask_b32_e64 v57, 0, v53, s1
	v_cmp_gt_i32_e64 s1, s14, v98
	v_cndmask_b32_sdwa v53, v91, v53, vcc_lo dst_sel:DWORD dst_unused:UNUSED_PAD src0_sel:DWORD src1_sel:WORD_1
	v_cndmask_b32_e64 v58, 0, v54, s2
	v_cmp_gt_i32_e64 s2, s14, v97
	s_mov_b32 vcc_lo, s1
	v_cmp_gt_i32_e64 s1, s14, v71
	v_cndmask_b32_sdwa v54, v91, v54, vcc_lo dst_sel:DWORD dst_unused:UNUSED_PAD src0_sel:DWORD src1_sel:WORD_1
	v_cmp_gt_i32_e32 vcc_lo, s11, v72
	v_perm_b32 v53, v53, v57, 0x5040100
	v_perm_b32 v54, v54, v58, 0x5040100
	v_cndmask_b32_e32 v59, 0, v55, vcc_lo
	s_mov_b32 vcc_lo, s2
	v_cndmask_b32_sdwa v55, v91, v55, vcc_lo dst_sel:DWORD dst_unused:UNUSED_PAD src0_sel:DWORD src1_sel:WORD_1
	v_cmp_gt_i32_e32 vcc_lo, s11, v0
	v_perm_b32 v55, v55, v59, 0x5040100
	v_cndmask_b32_e32 v60, 0, v56, vcc_lo
	s_mov_b32 vcc_lo, s1
	v_cndmask_b32_sdwa v56, v91, v56, vcc_lo dst_sel:DWORD dst_unused:UNUSED_PAD src0_sel:DWORD src1_sel:WORD_1
	v_perm_b32 v56, v56, v60, 0x5040100
	s_or_b32 exec_lo, exec_lo, s15
	global_load_dwordx4 v[57:60], v[23:24], off offset:1536
	s_and_saveexec_b32 s15, s0
	s_cbranch_execnz .LBB158_40
	s_branch .LBB158_41
.LBB158_53:                             ;   in Loop: Header=BB158_26 Depth=1
	v_cmp_gt_i32_e64 s1, s11, v94
	v_cmp_gt_i32_e32 vcc_lo, s14, v100
	v_cmp_gt_i32_e64 s2, s11, v99
	s_waitcnt vmcnt(0)
	v_cndmask_b32_e64 v23, 0, v61, s1
	v_cmp_gt_i32_e64 s1, s14, v98
	v_cndmask_b32_sdwa v61, v91, v61, vcc_lo dst_sel:DWORD dst_unused:UNUSED_PAD src0_sel:DWORD src1_sel:WORD_1
	v_cndmask_b32_e64 v24, 0, v62, s2
	v_cmp_gt_i32_e64 s2, s14, v97
	s_mov_b32 vcc_lo, s1
	v_cmp_gt_i32_e64 s1, s14, v71
	v_cndmask_b32_sdwa v62, v91, v62, vcc_lo dst_sel:DWORD dst_unused:UNUSED_PAD src0_sel:DWORD src1_sel:WORD_1
	v_cmp_gt_i32_e32 vcc_lo, s11, v72
	v_perm_b32 v61, v61, v23, 0x5040100
	v_perm_b32 v62, v62, v24, 0x5040100
	v_cndmask_b32_e32 v65, 0, v63, vcc_lo
	s_mov_b32 vcc_lo, s2
	v_cndmask_b32_sdwa v63, v91, v63, vcc_lo dst_sel:DWORD dst_unused:UNUSED_PAD src0_sel:DWORD src1_sel:WORD_1
	v_cmp_gt_i32_e32 vcc_lo, s11, v0
	v_perm_b32 v63, v63, v65, 0x5040100
	v_cndmask_b32_e32 v66, 0, v64, vcc_lo
	s_mov_b32 vcc_lo, s1
	v_cndmask_b32_sdwa v64, v91, v64, vcc_lo dst_sel:DWORD dst_unused:UNUSED_PAD src0_sel:DWORD src1_sel:WORD_1
	v_perm_b32 v64, v64, v66, 0x5040100
	s_or_b32 exec_lo, exec_lo, s15
	global_load_dwordx4 v[65:68], v[21:22], off offset:512
	s_and_saveexec_b32 s15, s0
	s_cbranch_execz .LBB158_43
.LBB158_54:                             ;   in Loop: Header=BB158_26 Depth=1
	v_cmp_gt_i32_e64 s1, s11, v94
	v_cmp_gt_i32_e32 vcc_lo, s14, v100
	v_cmp_gt_i32_e64 s2, s11, v99
	s_waitcnt vmcnt(0)
	v_cndmask_b32_e64 v23, 0, v65, s1
	v_cmp_gt_i32_e64 s1, s14, v98
	v_cndmask_b32_sdwa v65, v91, v65, vcc_lo dst_sel:DWORD dst_unused:UNUSED_PAD src0_sel:DWORD src1_sel:WORD_1
	v_cndmask_b32_e64 v24, 0, v66, s2
	v_cmp_gt_i32_e64 s2, s14, v97
	s_mov_b32 vcc_lo, s1
	v_cmp_gt_i32_e64 s1, s14, v71
	v_cndmask_b32_sdwa v66, v91, v66, vcc_lo dst_sel:DWORD dst_unused:UNUSED_PAD src0_sel:DWORD src1_sel:WORD_1
	v_cmp_gt_i32_e32 vcc_lo, s11, v72
	v_perm_b32 v65, v65, v23, 0x5040100
	v_perm_b32 v66, v66, v24, 0x5040100
	v_cndmask_b32_e32 v101, 0, v67, vcc_lo
	s_mov_b32 vcc_lo, s2
	v_cndmask_b32_sdwa v67, v91, v67, vcc_lo dst_sel:DWORD dst_unused:UNUSED_PAD src0_sel:DWORD src1_sel:WORD_1
	v_cmp_gt_i32_e32 vcc_lo, s11, v0
	v_perm_b32 v67, v67, v101, 0x5040100
	v_cndmask_b32_e32 v102, 0, v68, vcc_lo
	s_mov_b32 vcc_lo, s1
	v_cndmask_b32_sdwa v68, v91, v68, vcc_lo dst_sel:DWORD dst_unused:UNUSED_PAD src0_sel:DWORD src1_sel:WORD_1
	v_perm_b32 v68, v68, v102, 0x5040100
	s_or_b32 exec_lo, exec_lo, s15
	global_load_dwordx4 v[21:24], v[21:22], off offset:1024
	s_and_saveexec_b32 s2, s0
	s_cbranch_execz .LBB158_25
.LBB158_55:                             ;   in Loop: Header=BB158_26 Depth=1
	v_cmp_gt_i32_e64 s0, s11, v94
	v_cmp_gt_i32_e32 vcc_lo, s14, v100
	v_cmp_gt_i32_e64 s1, s11, v99
	s_waitcnt vmcnt(0)
	v_cndmask_b32_e64 v100, 0, v21, s0
	v_cmp_gt_i32_e64 s0, s14, v98
	v_cndmask_b32_sdwa v21, v91, v21, vcc_lo dst_sel:DWORD dst_unused:UNUSED_PAD src0_sel:DWORD src1_sel:WORD_1
	v_cndmask_b32_e64 v98, 0, v22, s1
	v_cmp_gt_i32_e64 s1, s14, v97
	s_mov_b32 vcc_lo, s0
	v_cmp_gt_i32_e64 s0, s14, v71
	v_cndmask_b32_sdwa v22, v91, v22, vcc_lo dst_sel:DWORD dst_unused:UNUSED_PAD src0_sel:DWORD src1_sel:WORD_1
	v_cmp_gt_i32_e32 vcc_lo, s11, v72
	v_perm_b32 v21, v21, v100, 0x5040100
	v_perm_b32 v22, v22, v98, 0x5040100
	v_cndmask_b32_e32 v72, 0, v23, vcc_lo
	s_mov_b32 vcc_lo, s1
	v_cndmask_b32_sdwa v23, v91, v23, vcc_lo dst_sel:DWORD dst_unused:UNUSED_PAD src0_sel:DWORD src1_sel:WORD_1
	v_cmp_gt_i32_e32 vcc_lo, s11, v0
	v_perm_b32 v23, v23, v72, 0x5040100
	v_cndmask_b32_e32 v0, 0, v24, vcc_lo
	s_mov_b32 vcc_lo, s0
	v_cndmask_b32_sdwa v24, v91, v24, vcc_lo dst_sel:DWORD dst_unused:UNUSED_PAD src0_sel:DWORD src1_sel:WORD_1
	v_perm_b32 v24, v24, v0, 0x5040100
	s_branch .LBB158_25
.LBB158_56:
	s_or_b32 exec_lo, exec_lo, s13
.LBB158_57:
	s_or_b32 exec_lo, exec_lo, s3
	ds_bpermute_b32 v1, v74, v90
	ds_bpermute_b32 v0, v74, v88
	;; [unrolled: 1-line block ×15, first 2 shown]
	s_mov_b32 s0, exec_lo
	s_waitcnt lgkmcnt(0)
	s_barrier
	buffer_gl0_inv
	v_add_f32_e32 v1, v90, v1
	v_add_f32_e32 v0, v88, v0
	;; [unrolled: 1-line block ×7, first 2 shown]
	ds_bpermute_b32 v16, v73, v1
	v_add_f32_e32 v7, v83, v7
	v_add_f32_e32 v21, v82, v8
	;; [unrolled: 1-line block ×8, first 2 shown]
	ds_bpermute_b32 v15, v73, v0
	ds_bpermute_b32 v17, v73, v2
	;; [unrolled: 1-line block ×14, first 2 shown]
	s_waitcnt lgkmcnt(14)
	v_add_f32_e32 v13, v1, v16
	v_and_b32_e32 v16, 28, v106
	s_waitcnt lgkmcnt(13)
	v_add_f32_e32 v14, v0, v15
	s_waitcnt lgkmcnt(12)
	v_add_f32_e32 v12, v2, v17
	;; [unrolled: 2-line block ×13, first 2 shown]
	v_and_b32_e32 v18, 0x3c3, v104
	s_waitcnt lgkmcnt(0)
	v_add_f32_e32 v2, v32, v35
	v_lshrrev_b32_e32 v15, 2, v106
	v_add_nc_u32_e32 v16, 0x110, v16
	v_mul_u32_u24_e32 v17, 0x1e0, v105
	v_cmpx_eq_u32_e32 64, v18
	s_cbranch_execz .LBB158_59
; %bb.58:
	v_add_nc_u32_e32 v18, v16, v17
	v_add_nc_u32_e32 v19, 0xfffffc40, v18
	;; [unrolled: 1-line block ×6, first 2 shown]
	ds_write_b32 v19, v14
	ds_write_b32 v20, v13
	ds_write_b32 v21, v12
	ds_write_b32 v22, v11
	ds_write_b32 v23, v10
	v_add_nc_u32_e32 v19, 0xfffffce0, v18
	v_add_nc_u32_e32 v20, 0xfffffd00, v18
	;; [unrolled: 1-line block ×5, first 2 shown]
	ds_write_b32 v19, v9
	ds_write_b32 v20, v8
	;; [unrolled: 1-line block ×5, first 2 shown]
	v_add_nc_u32_e32 v19, 0xfffffd80, v18
	v_add_nc_u32_e32 v20, 0xfffffda0, v18
	;; [unrolled: 1-line block ×5, first 2 shown]
	ds_write_b32 v19, v4
	ds_write_b32 v20, v3
	;; [unrolled: 1-line block ×5, first 2 shown]
.LBB158_59:
	s_or_b32 exec_lo, exec_lo, s0
	v_lshlrev_b32_e32 v15, 2, v15
	s_mov_b32 s1, exec_lo
	v_cmp_eq_u32_e32 vcc_lo, 0, v75
	s_waitcnt lgkmcnt(0)
	s_barrier
	v_add3_u32 v15, 0x110, v17, v15
	buffer_gl0_inv
	v_cmpx_gt_u32_e32 64, v104
	s_cbranch_execz .LBB158_77
; %bb.60:
	s_and_saveexec_b32 s0, vcc_lo
	s_cbranch_execnz .LBB158_100
; %bb.61:
	s_or_b32 exec_lo, exec_lo, s0
	s_and_saveexec_b32 s0, vcc_lo
	s_cbranch_execnz .LBB158_101
.LBB158_62:
	s_or_b32 exec_lo, exec_lo, s0
	s_and_saveexec_b32 s0, vcc_lo
	s_cbranch_execnz .LBB158_102
.LBB158_63:
	s_or_b32 exec_lo, exec_lo, s0
	s_and_saveexec_b32 s0, vcc_lo
	s_cbranch_execnz .LBB158_103
.LBB158_64:
	s_or_b32 exec_lo, exec_lo, s0
	s_and_saveexec_b32 s0, vcc_lo
	s_cbranch_execnz .LBB158_104
.LBB158_65:
	s_or_b32 exec_lo, exec_lo, s0
	s_and_saveexec_b32 s0, vcc_lo
	s_cbranch_execnz .LBB158_105
.LBB158_66:
	s_or_b32 exec_lo, exec_lo, s0
	s_and_saveexec_b32 s0, vcc_lo
	s_cbranch_execnz .LBB158_106
.LBB158_67:
	s_or_b32 exec_lo, exec_lo, s0
	s_and_saveexec_b32 s0, vcc_lo
	s_cbranch_execnz .LBB158_107
.LBB158_68:
	s_or_b32 exec_lo, exec_lo, s0
	s_and_saveexec_b32 s0, vcc_lo
	s_cbranch_execnz .LBB158_108
.LBB158_69:
	s_or_b32 exec_lo, exec_lo, s0
	s_and_saveexec_b32 s0, vcc_lo
	s_cbranch_execnz .LBB158_109
.LBB158_70:
	s_or_b32 exec_lo, exec_lo, s0
	s_and_saveexec_b32 s0, vcc_lo
	s_cbranch_execnz .LBB158_110
.LBB158_71:
	s_or_b32 exec_lo, exec_lo, s0
	s_and_saveexec_b32 s0, vcc_lo
	s_cbranch_execnz .LBB158_111
.LBB158_72:
	s_or_b32 exec_lo, exec_lo, s0
	s_and_saveexec_b32 s0, vcc_lo
	s_cbranch_execnz .LBB158_112
.LBB158_73:
	s_or_b32 exec_lo, exec_lo, s0
	s_and_saveexec_b32 s0, vcc_lo
	s_cbranch_execnz .LBB158_113
.LBB158_74:
	s_or_b32 exec_lo, exec_lo, s0
	s_and_saveexec_b32 s0, vcc_lo
	s_cbranch_execz .LBB158_76
.LBB158_75:
	ds_read_b32 v17, v15 offset:448
	s_waitcnt lgkmcnt(0)
	v_add_f32_e32 v2, v2, v17
.LBB158_76:
	s_or_b32 exec_lo, exec_lo, s0
.LBB158_77:
	s_or_b32 exec_lo, exec_lo, s1
	v_and_b32_e32 v17, 0x3e3, v104
	s_mov_b32 s1, exec_lo
	s_barrier
	buffer_gl0_inv
	v_cmpx_eq_u32_e32 32, v17
	s_cbranch_execz .LBB158_79
; %bb.78:
	ds_write2_b32 v16, v14, v13 offset1:8
	ds_write2_b32 v16, v12, v11 offset0:16 offset1:24
	ds_write2_b32 v16, v10, v9 offset0:32 offset1:40
	;; [unrolled: 1-line block ×6, first 2 shown]
	ds_write_b32 v16, v2 offset:448
.LBB158_79:
	s_or_b32 exec_lo, exec_lo, s1
	s_mov_b32 s1, exec_lo
	s_waitcnt lgkmcnt(0)
	s_barrier
	buffer_gl0_inv
	v_cmpx_gt_u32_e32 32, v104
	s_cbranch_execz .LBB158_97
; %bb.80:
	s_and_saveexec_b32 s0, vcc_lo
	s_cbranch_execnz .LBB158_114
; %bb.81:
	s_or_b32 exec_lo, exec_lo, s0
	s_and_saveexec_b32 s0, vcc_lo
	s_cbranch_execnz .LBB158_115
.LBB158_82:
	s_or_b32 exec_lo, exec_lo, s0
	s_and_saveexec_b32 s0, vcc_lo
	s_cbranch_execnz .LBB158_116
.LBB158_83:
	s_or_b32 exec_lo, exec_lo, s0
	s_and_saveexec_b32 s0, vcc_lo
	s_cbranch_execnz .LBB158_117
.LBB158_84:
	s_or_b32 exec_lo, exec_lo, s0
	s_and_saveexec_b32 s0, vcc_lo
	s_cbranch_execnz .LBB158_118
.LBB158_85:
	s_or_b32 exec_lo, exec_lo, s0
	s_and_saveexec_b32 s0, vcc_lo
	s_cbranch_execnz .LBB158_119
.LBB158_86:
	s_or_b32 exec_lo, exec_lo, s0
	s_and_saveexec_b32 s0, vcc_lo
	s_cbranch_execnz .LBB158_120
.LBB158_87:
	s_or_b32 exec_lo, exec_lo, s0
	s_and_saveexec_b32 s0, vcc_lo
	s_cbranch_execnz .LBB158_121
.LBB158_88:
	s_or_b32 exec_lo, exec_lo, s0
	s_and_saveexec_b32 s0, vcc_lo
	s_cbranch_execnz .LBB158_122
.LBB158_89:
	s_or_b32 exec_lo, exec_lo, s0
	s_and_saveexec_b32 s0, vcc_lo
	s_cbranch_execnz .LBB158_123
.LBB158_90:
	s_or_b32 exec_lo, exec_lo, s0
	s_and_saveexec_b32 s0, vcc_lo
	s_cbranch_execnz .LBB158_124
.LBB158_91:
	s_or_b32 exec_lo, exec_lo, s0
	s_and_saveexec_b32 s0, vcc_lo
	s_cbranch_execnz .LBB158_125
.LBB158_92:
	s_or_b32 exec_lo, exec_lo, s0
	s_and_saveexec_b32 s0, vcc_lo
	s_cbranch_execnz .LBB158_126
.LBB158_93:
	s_or_b32 exec_lo, exec_lo, s0
	s_and_saveexec_b32 s0, vcc_lo
	s_cbranch_execnz .LBB158_127
.LBB158_94:
	s_or_b32 exec_lo, exec_lo, s0
	s_and_saveexec_b32 s0, vcc_lo
	s_cbranch_execz .LBB158_96
.LBB158_95:
	ds_read_b32 v15, v15 offset:448
	s_waitcnt lgkmcnt(0)
	v_add_f32_e32 v2, v2, v15
.LBB158_96:
	s_or_b32 exec_lo, exec_lo, s0
.LBB158_97:
	s_or_b32 exec_lo, exec_lo, s1
	s_barrier
	buffer_gl0_inv
	s_mov_b32 s0, exec_lo
	v_cmpx_eq_u32_e32 0, v17
	s_cbranch_execz .LBB158_99
; %bb.98:
	s_mul_i32 s0, s10, s7
	v_bfe_u32 v16, v14, 16, 1
	s_mul_i32 s0, s0, s9
	s_mul_i32 s2, s7, s6
	s_mulk_i32 s0, 0x78
	v_or_b32_e32 v17, 0x400000, v14
	s_ashr_i32 s1, s0, 31
	v_bfe_u32 v18, v13, 16, 1
	s_lshl_b64 s[0:1], s[0:1], 1
	v_add3_u32 v16, v16, v14, 0x7fff
	s_add_u32 s5, s16, s0
	s_addc_u32 s6, s17, s1
	s_ashr_i32 s3, s2, 31
	v_cmp_u_f32_e32 vcc_lo, v14, v14
	s_lshl_b64 s[0:1], s[2:3], 1
	s_mul_i32 s4, s8, 0x78
	s_add_u32 s2, s5, s0
	s_addc_u32 s3, s6, s1
	s_ashr_i32 s5, s4, 31
	v_lshrrev_b32_e32 v15, 1, v104
	s_lshl_b64 s[0:1], s[4:5], 1
	v_add3_u32 v18, v18, v13, 0x7fff
	v_or_b32_e32 v19, 0x400000, v13
	v_cndmask_b32_e32 v14, v16, v17, vcc_lo
	v_bfe_u32 v16, v12, 16, 1
	v_cmp_u_f32_e32 vcc_lo, v13, v13
	s_add_u32 s0, s2, s0
	s_addc_u32 s1, s3, s1
	v_bfe_u32 v17, v11, 16, 1
	global_store_short_d16_hi v15, v14, s[0:1]
	v_cndmask_b32_e32 v13, v18, v19, vcc_lo
	v_add3_u32 v14, v16, v12, 0x7fff
	v_or_b32_e32 v16, 0x400000, v12
	v_cmp_u_f32_e32 vcc_lo, v12, v12
	global_store_short_d16_hi v15, v13, s[0:1] offset:16
	v_add3_u32 v13, v17, v11, 0x7fff
	v_or_b32_e32 v17, 0x400000, v11
	v_cndmask_b32_e32 v12, v14, v16, vcc_lo
	v_bfe_u32 v14, v10, 16, 1
	v_cmp_u_f32_e32 vcc_lo, v11, v11
	global_store_short_d16_hi v15, v12, s[0:1] offset:32
	v_add3_u32 v12, v14, v10, 0x7fff
	v_cndmask_b32_e32 v11, v13, v17, vcc_lo
	v_bfe_u32 v13, v9, 16, 1
	v_or_b32_e32 v14, 0x400000, v10
	v_cmp_u_f32_e32 vcc_lo, v10, v10
	global_store_short_d16_hi v15, v11, s[0:1] offset:48
	v_add3_u32 v11, v13, v9, 0x7fff
	v_or_b32_e32 v13, 0x400000, v9
	v_cndmask_b32_e32 v10, v12, v14, vcc_lo
	v_bfe_u32 v12, v8, 16, 1
	v_cmp_u_f32_e32 vcc_lo, v9, v9
	global_store_short_d16_hi v15, v10, s[0:1] offset:64
	v_add3_u32 v10, v12, v8, 0x7fff
	v_cndmask_b32_e32 v9, v11, v13, vcc_lo
	v_bfe_u32 v11, v7, 16, 1
	v_or_b32_e32 v12, 0x400000, v8
	v_cmp_u_f32_e32 vcc_lo, v8, v8
	global_store_short_d16_hi v15, v9, s[0:1] offset:80
	v_add3_u32 v9, v11, v7, 0x7fff
	v_or_b32_e32 v11, 0x400000, v7
	v_cndmask_b32_e32 v8, v10, v12, vcc_lo
	v_bfe_u32 v10, v6, 16, 1
	v_cmp_u_f32_e32 vcc_lo, v7, v7
	global_store_short_d16_hi v15, v8, s[0:1] offset:96
	v_add3_u32 v8, v10, v6, 0x7fff
	v_cndmask_b32_e32 v7, v9, v11, vcc_lo
	v_bfe_u32 v9, v5, 16, 1
	v_or_b32_e32 v10, 0x400000, v6
	v_cmp_u_f32_e32 vcc_lo, v6, v6
	global_store_short_d16_hi v15, v7, s[0:1] offset:112
	v_add3_u32 v7, v9, v5, 0x7fff
	v_or_b32_e32 v9, 0x400000, v5
	v_cndmask_b32_e32 v6, v8, v10, vcc_lo
	v_bfe_u32 v8, v4, 16, 1
	v_cmp_u_f32_e32 vcc_lo, v5, v5
	v_or_b32_e32 v10, 0x400000, v2
	global_store_short_d16_hi v15, v6, s[0:1] offset:128
	v_add3_u32 v6, v8, v4, 0x7fff
	v_cndmask_b32_e32 v5, v7, v9, vcc_lo
	v_bfe_u32 v7, v3, 16, 1
	v_or_b32_e32 v8, 0x400000, v4
	v_cmp_u_f32_e32 vcc_lo, v4, v4
	v_or_b32_e32 v9, 0x400000, v1
	global_store_short_d16_hi v15, v5, s[0:1] offset:144
	v_add3_u32 v5, v7, v3, 0x7fff
	v_or_b32_e32 v7, 0x400000, v3
	v_cndmask_b32_e32 v4, v6, v8, vcc_lo
	v_bfe_u32 v6, v0, 16, 1
	v_cmp_u_f32_e32 vcc_lo, v3, v3
	v_bfe_u32 v8, v1, 16, 1
	v_add3_u32 v6, v6, v0, 0x7fff
	v_cndmask_b32_e32 v3, v5, v7, vcc_lo
	v_or_b32_e32 v7, 0x400000, v0
	v_cmp_u_f32_e32 vcc_lo, v0, v0
	v_bfe_u32 v5, v2, 16, 1
	v_add3_u32 v8, v8, v1, 0x7fff
	v_cndmask_b32_e32 v0, v6, v7, vcc_lo
	v_cmp_u_f32_e32 vcc_lo, v1, v1
	v_add3_u32 v5, v5, v2, 0x7fff
	v_cndmask_b32_e32 v1, v8, v9, vcc_lo
	v_cmp_u_f32_e32 vcc_lo, v2, v2
	v_cndmask_b32_e32 v2, v5, v10, vcc_lo
	global_store_short_d16_hi v15, v4, s[0:1] offset:160
	global_store_short_d16_hi v15, v3, s[0:1] offset:176
	;; [unrolled: 1-line block ×5, first 2 shown]
.LBB158_99:
	s_endpgm
.LBB158_100:
	ds_read_b32 v17, v15
	s_waitcnt lgkmcnt(0)
	v_add_f32_e32 v14, v14, v17
	s_or_b32 exec_lo, exec_lo, s0
	s_and_saveexec_b32 s0, vcc_lo
	s_cbranch_execz .LBB158_62
.LBB158_101:
	ds_read_b32 v17, v15 offset:32
	s_waitcnt lgkmcnt(0)
	v_add_f32_e32 v13, v13, v17
	s_or_b32 exec_lo, exec_lo, s0
	s_and_saveexec_b32 s0, vcc_lo
	s_cbranch_execz .LBB158_63
.LBB158_102:
	ds_read_b32 v17, v15 offset:64
	s_waitcnt lgkmcnt(0)
	v_add_f32_e32 v12, v12, v17
	s_or_b32 exec_lo, exec_lo, s0
	s_and_saveexec_b32 s0, vcc_lo
	s_cbranch_execz .LBB158_64
.LBB158_103:
	ds_read_b32 v17, v15 offset:96
	s_waitcnt lgkmcnt(0)
	v_add_f32_e32 v11, v11, v17
	s_or_b32 exec_lo, exec_lo, s0
	s_and_saveexec_b32 s0, vcc_lo
	s_cbranch_execz .LBB158_65
.LBB158_104:
	ds_read_b32 v17, v15 offset:128
	s_waitcnt lgkmcnt(0)
	v_add_f32_e32 v10, v10, v17
	s_or_b32 exec_lo, exec_lo, s0
	s_and_saveexec_b32 s0, vcc_lo
	s_cbranch_execz .LBB158_66
.LBB158_105:
	ds_read_b32 v17, v15 offset:160
	s_waitcnt lgkmcnt(0)
	v_add_f32_e32 v9, v9, v17
	s_or_b32 exec_lo, exec_lo, s0
	s_and_saveexec_b32 s0, vcc_lo
	s_cbranch_execz .LBB158_67
.LBB158_106:
	ds_read_b32 v17, v15 offset:192
	s_waitcnt lgkmcnt(0)
	v_add_f32_e32 v8, v8, v17
	s_or_b32 exec_lo, exec_lo, s0
	s_and_saveexec_b32 s0, vcc_lo
	s_cbranch_execz .LBB158_68
.LBB158_107:
	ds_read_b32 v17, v15 offset:224
	s_waitcnt lgkmcnt(0)
	v_add_f32_e32 v7, v7, v17
	s_or_b32 exec_lo, exec_lo, s0
	s_and_saveexec_b32 s0, vcc_lo
	s_cbranch_execz .LBB158_69
.LBB158_108:
	ds_read_b32 v17, v15 offset:256
	s_waitcnt lgkmcnt(0)
	v_add_f32_e32 v6, v6, v17
	s_or_b32 exec_lo, exec_lo, s0
	s_and_saveexec_b32 s0, vcc_lo
	s_cbranch_execz .LBB158_70
.LBB158_109:
	ds_read_b32 v17, v15 offset:288
	s_waitcnt lgkmcnt(0)
	v_add_f32_e32 v5, v5, v17
	s_or_b32 exec_lo, exec_lo, s0
	s_and_saveexec_b32 s0, vcc_lo
	s_cbranch_execz .LBB158_71
.LBB158_110:
	ds_read_b32 v17, v15 offset:320
	s_waitcnt lgkmcnt(0)
	v_add_f32_e32 v4, v4, v17
	s_or_b32 exec_lo, exec_lo, s0
	s_and_saveexec_b32 s0, vcc_lo
	s_cbranch_execz .LBB158_72
.LBB158_111:
	ds_read_b32 v17, v15 offset:352
	s_waitcnt lgkmcnt(0)
	v_add_f32_e32 v3, v3, v17
	s_or_b32 exec_lo, exec_lo, s0
	s_and_saveexec_b32 s0, vcc_lo
	s_cbranch_execz .LBB158_73
.LBB158_112:
	ds_read_b32 v17, v15 offset:384
	s_waitcnt lgkmcnt(0)
	v_add_f32_e32 v0, v0, v17
	s_or_b32 exec_lo, exec_lo, s0
	s_and_saveexec_b32 s0, vcc_lo
	s_cbranch_execz .LBB158_74
.LBB158_113:
	ds_read_b32 v17, v15 offset:416
	s_waitcnt lgkmcnt(0)
	v_add_f32_e32 v1, v1, v17
	s_or_b32 exec_lo, exec_lo, s0
	s_and_saveexec_b32 s0, vcc_lo
	s_cbranch_execnz .LBB158_75
	s_branch .LBB158_76
.LBB158_114:
	ds_read_b32 v16, v15
	s_waitcnt lgkmcnt(0)
	v_add_f32_e32 v14, v14, v16
	s_or_b32 exec_lo, exec_lo, s0
	s_and_saveexec_b32 s0, vcc_lo
	s_cbranch_execz .LBB158_82
.LBB158_115:
	ds_read_b32 v16, v15 offset:32
	s_waitcnt lgkmcnt(0)
	v_add_f32_e32 v13, v13, v16
	s_or_b32 exec_lo, exec_lo, s0
	s_and_saveexec_b32 s0, vcc_lo
	s_cbranch_execz .LBB158_83
.LBB158_116:
	ds_read_b32 v16, v15 offset:64
	s_waitcnt lgkmcnt(0)
	v_add_f32_e32 v12, v12, v16
	s_or_b32 exec_lo, exec_lo, s0
	s_and_saveexec_b32 s0, vcc_lo
	s_cbranch_execz .LBB158_84
.LBB158_117:
	ds_read_b32 v16, v15 offset:96
	s_waitcnt lgkmcnt(0)
	v_add_f32_e32 v11, v11, v16
	s_or_b32 exec_lo, exec_lo, s0
	s_and_saveexec_b32 s0, vcc_lo
	s_cbranch_execz .LBB158_85
.LBB158_118:
	ds_read_b32 v16, v15 offset:128
	s_waitcnt lgkmcnt(0)
	v_add_f32_e32 v10, v10, v16
	s_or_b32 exec_lo, exec_lo, s0
	s_and_saveexec_b32 s0, vcc_lo
	s_cbranch_execz .LBB158_86
.LBB158_119:
	ds_read_b32 v16, v15 offset:160
	s_waitcnt lgkmcnt(0)
	v_add_f32_e32 v9, v9, v16
	s_or_b32 exec_lo, exec_lo, s0
	s_and_saveexec_b32 s0, vcc_lo
	s_cbranch_execz .LBB158_87
.LBB158_120:
	ds_read_b32 v16, v15 offset:192
	s_waitcnt lgkmcnt(0)
	v_add_f32_e32 v8, v8, v16
	s_or_b32 exec_lo, exec_lo, s0
	s_and_saveexec_b32 s0, vcc_lo
	s_cbranch_execz .LBB158_88
.LBB158_121:
	ds_read_b32 v16, v15 offset:224
	s_waitcnt lgkmcnt(0)
	v_add_f32_e32 v7, v7, v16
	s_or_b32 exec_lo, exec_lo, s0
	s_and_saveexec_b32 s0, vcc_lo
	s_cbranch_execz .LBB158_89
.LBB158_122:
	ds_read_b32 v16, v15 offset:256
	s_waitcnt lgkmcnt(0)
	v_add_f32_e32 v6, v6, v16
	s_or_b32 exec_lo, exec_lo, s0
	s_and_saveexec_b32 s0, vcc_lo
	s_cbranch_execz .LBB158_90
.LBB158_123:
	ds_read_b32 v16, v15 offset:288
	s_waitcnt lgkmcnt(0)
	v_add_f32_e32 v5, v5, v16
	s_or_b32 exec_lo, exec_lo, s0
	s_and_saveexec_b32 s0, vcc_lo
	s_cbranch_execz .LBB158_91
.LBB158_124:
	ds_read_b32 v16, v15 offset:320
	s_waitcnt lgkmcnt(0)
	v_add_f32_e32 v4, v4, v16
	s_or_b32 exec_lo, exec_lo, s0
	s_and_saveexec_b32 s0, vcc_lo
	s_cbranch_execz .LBB158_92
.LBB158_125:
	ds_read_b32 v16, v15 offset:352
	s_waitcnt lgkmcnt(0)
	v_add_f32_e32 v3, v3, v16
	s_or_b32 exec_lo, exec_lo, s0
	s_and_saveexec_b32 s0, vcc_lo
	s_cbranch_execz .LBB158_93
.LBB158_126:
	ds_read_b32 v16, v15 offset:384
	s_waitcnt lgkmcnt(0)
	v_add_f32_e32 v0, v0, v16
	s_or_b32 exec_lo, exec_lo, s0
	s_and_saveexec_b32 s0, vcc_lo
	s_cbranch_execz .LBB158_94
.LBB158_127:
	ds_read_b32 v16, v15 offset:416
	s_waitcnt lgkmcnt(0)
	v_add_f32_e32 v1, v1, v16
	s_or_b32 exec_lo, exec_lo, s0
	s_and_saveexec_b32 s0, vcc_lo
	s_cbranch_execnz .LBB158_95
	s_branch .LBB158_96
	.section	.rodata,"a",@progbits
	.p2align	6, 0x0
	.amdhsa_kernel _ZN4vllm25paged_attention_v1_kernelI14__hip_bfloat16S1_Li120ELi32ELi128ELNS_18Fp8KVCacheDataTypeE0ELb0EEEvPT_PKS3_PKT0_S9_ifPKiSB_iPKfiiiSD_SD_iiiii
		.amdhsa_group_segment_fixed_size 272
		.amdhsa_private_segment_fixed_size 292
		.amdhsa_kernarg_size 384
		.amdhsa_user_sgpr_count 6
		.amdhsa_user_sgpr_private_segment_buffer 1
		.amdhsa_user_sgpr_dispatch_ptr 0
		.amdhsa_user_sgpr_queue_ptr 0
		.amdhsa_user_sgpr_kernarg_segment_ptr 1
		.amdhsa_user_sgpr_dispatch_id 0
		.amdhsa_user_sgpr_flat_scratch_init 0
		.amdhsa_user_sgpr_private_segment_size 0
		.amdhsa_wavefront_size32 1
		.amdhsa_uses_dynamic_stack 0
		.amdhsa_system_sgpr_private_segment_wavefront_offset 1
		.amdhsa_system_sgpr_workgroup_id_x 1
		.amdhsa_system_sgpr_workgroup_id_y 1
		.amdhsa_system_sgpr_workgroup_id_z 1
		.amdhsa_system_sgpr_workgroup_info 0
		.amdhsa_system_vgpr_workitem_id 0
		.amdhsa_next_free_vgpr 128
		.amdhsa_next_free_sgpr 40
		.amdhsa_reserve_vcc 1
		.amdhsa_reserve_flat_scratch 0
		.amdhsa_float_round_mode_32 0
		.amdhsa_float_round_mode_16_64 0
		.amdhsa_float_denorm_mode_32 3
		.amdhsa_float_denorm_mode_16_64 3
		.amdhsa_dx10_clamp 1
		.amdhsa_ieee_mode 1
		.amdhsa_fp16_overflow 0
		.amdhsa_workgroup_processor_mode 1
		.amdhsa_memory_ordered 1
		.amdhsa_forward_progress 1
		.amdhsa_shared_vgpr_count 0
		.amdhsa_exception_fp_ieee_invalid_op 0
		.amdhsa_exception_fp_denorm_src 0
		.amdhsa_exception_fp_ieee_div_zero 0
		.amdhsa_exception_fp_ieee_overflow 0
		.amdhsa_exception_fp_ieee_underflow 0
		.amdhsa_exception_fp_ieee_inexact 0
		.amdhsa_exception_int_div_zero 0
	.end_amdhsa_kernel
	.section	.text._ZN4vllm25paged_attention_v1_kernelI14__hip_bfloat16S1_Li120ELi32ELi128ELNS_18Fp8KVCacheDataTypeE0ELb0EEEvPT_PKS3_PKT0_S9_ifPKiSB_iPKfiiiSD_SD_iiiii,"axG",@progbits,_ZN4vllm25paged_attention_v1_kernelI14__hip_bfloat16S1_Li120ELi32ELi128ELNS_18Fp8KVCacheDataTypeE0ELb0EEEvPT_PKS3_PKT0_S9_ifPKiSB_iPKfiiiSD_SD_iiiii,comdat
.Lfunc_end158:
	.size	_ZN4vllm25paged_attention_v1_kernelI14__hip_bfloat16S1_Li120ELi32ELi128ELNS_18Fp8KVCacheDataTypeE0ELb0EEEvPT_PKS3_PKT0_S9_ifPKiSB_iPKfiiiSD_SD_iiiii, .Lfunc_end158-_ZN4vllm25paged_attention_v1_kernelI14__hip_bfloat16S1_Li120ELi32ELi128ELNS_18Fp8KVCacheDataTypeE0ELb0EEEvPT_PKS3_PKT0_S9_ifPKiSB_iPKfiiiSD_SD_iiiii
                                        ; -- End function
	.set _ZN4vllm25paged_attention_v1_kernelI14__hip_bfloat16S1_Li120ELi32ELi128ELNS_18Fp8KVCacheDataTypeE0ELb0EEEvPT_PKS3_PKT0_S9_ifPKiSB_iPKfiiiSD_SD_iiiii.num_vgpr, 128
	.set _ZN4vllm25paged_attention_v1_kernelI14__hip_bfloat16S1_Li120ELi32ELi128ELNS_18Fp8KVCacheDataTypeE0ELb0EEEvPT_PKS3_PKT0_S9_ifPKiSB_iPKfiiiSD_SD_iiiii.num_agpr, 0
	.set _ZN4vllm25paged_attention_v1_kernelI14__hip_bfloat16S1_Li120ELi32ELi128ELNS_18Fp8KVCacheDataTypeE0ELb0EEEvPT_PKS3_PKT0_S9_ifPKiSB_iPKfiiiSD_SD_iiiii.numbered_sgpr, 40
	.set _ZN4vllm25paged_attention_v1_kernelI14__hip_bfloat16S1_Li120ELi32ELi128ELNS_18Fp8KVCacheDataTypeE0ELb0EEEvPT_PKS3_PKT0_S9_ifPKiSB_iPKfiiiSD_SD_iiiii.num_named_barrier, 0
	.set _ZN4vllm25paged_attention_v1_kernelI14__hip_bfloat16S1_Li120ELi32ELi128ELNS_18Fp8KVCacheDataTypeE0ELb0EEEvPT_PKS3_PKT0_S9_ifPKiSB_iPKfiiiSD_SD_iiiii.private_seg_size, 292
	.set _ZN4vllm25paged_attention_v1_kernelI14__hip_bfloat16S1_Li120ELi32ELi128ELNS_18Fp8KVCacheDataTypeE0ELb0EEEvPT_PKS3_PKT0_S9_ifPKiSB_iPKfiiiSD_SD_iiiii.uses_vcc, 1
	.set _ZN4vllm25paged_attention_v1_kernelI14__hip_bfloat16S1_Li120ELi32ELi128ELNS_18Fp8KVCacheDataTypeE0ELb0EEEvPT_PKS3_PKT0_S9_ifPKiSB_iPKfiiiSD_SD_iiiii.uses_flat_scratch, 0
	.set _ZN4vllm25paged_attention_v1_kernelI14__hip_bfloat16S1_Li120ELi32ELi128ELNS_18Fp8KVCacheDataTypeE0ELb0EEEvPT_PKS3_PKT0_S9_ifPKiSB_iPKfiiiSD_SD_iiiii.has_dyn_sized_stack, 0
	.set _ZN4vllm25paged_attention_v1_kernelI14__hip_bfloat16S1_Li120ELi32ELi128ELNS_18Fp8KVCacheDataTypeE0ELb0EEEvPT_PKS3_PKT0_S9_ifPKiSB_iPKfiiiSD_SD_iiiii.has_recursion, 0
	.set _ZN4vllm25paged_attention_v1_kernelI14__hip_bfloat16S1_Li120ELi32ELi128ELNS_18Fp8KVCacheDataTypeE0ELb0EEEvPT_PKS3_PKT0_S9_ifPKiSB_iPKfiiiSD_SD_iiiii.has_indirect_call, 0
	.section	.AMDGPU.csdata,"",@progbits
; Kernel info:
; codeLenInByte = 19352
; TotalNumSgprs: 42
; NumVgprs: 128
; ScratchSize: 292
; MemoryBound: 0
; FloatMode: 240
; IeeeMode: 1
; LDSByteSize: 272 bytes/workgroup (compile time only)
; SGPRBlocks: 0
; VGPRBlocks: 15
; NumSGPRsForWavesPerEU: 42
; NumVGPRsForWavesPerEU: 128
; Occupancy: 8
; WaveLimiterHint : 1
; COMPUTE_PGM_RSRC2:SCRATCH_EN: 1
; COMPUTE_PGM_RSRC2:USER_SGPR: 6
; COMPUTE_PGM_RSRC2:TRAP_HANDLER: 0
; COMPUTE_PGM_RSRC2:TGID_X_EN: 1
; COMPUTE_PGM_RSRC2:TGID_Y_EN: 1
; COMPUTE_PGM_RSRC2:TGID_Z_EN: 1
; COMPUTE_PGM_RSRC2:TIDIG_COMP_CNT: 0
	.section	.text._ZN4vllm25paged_attention_v1_kernelI14__hip_bfloat16S1_Li128ELi32ELi128ELNS_18Fp8KVCacheDataTypeE0ELb0EEEvPT_PKS3_PKT0_S9_ifPKiSB_iPKfiiiSD_SD_iiiii,"axG",@progbits,_ZN4vllm25paged_attention_v1_kernelI14__hip_bfloat16S1_Li128ELi32ELi128ELNS_18Fp8KVCacheDataTypeE0ELb0EEEvPT_PKS3_PKT0_S9_ifPKiSB_iPKfiiiSD_SD_iiiii,comdat
	.protected	_ZN4vllm25paged_attention_v1_kernelI14__hip_bfloat16S1_Li128ELi32ELi128ELNS_18Fp8KVCacheDataTypeE0ELb0EEEvPT_PKS3_PKT0_S9_ifPKiSB_iPKfiiiSD_SD_iiiii ; -- Begin function _ZN4vllm25paged_attention_v1_kernelI14__hip_bfloat16S1_Li128ELi32ELi128ELNS_18Fp8KVCacheDataTypeE0ELb0EEEvPT_PKS3_PKT0_S9_ifPKiSB_iPKfiiiSD_SD_iiiii
	.globl	_ZN4vllm25paged_attention_v1_kernelI14__hip_bfloat16S1_Li128ELi32ELi128ELNS_18Fp8KVCacheDataTypeE0ELb0EEEvPT_PKS3_PKT0_S9_ifPKiSB_iPKfiiiSD_SD_iiiii
	.p2align	8
	.type	_ZN4vllm25paged_attention_v1_kernelI14__hip_bfloat16S1_Li128ELi32ELi128ELNS_18Fp8KVCacheDataTypeE0ELb0EEEvPT_PKS3_PKT0_S9_ifPKiSB_iPKfiiiSD_SD_iiiii,@function
_ZN4vllm25paged_attention_v1_kernelI14__hip_bfloat16S1_Li128ELi32ELi128ELNS_18Fp8KVCacheDataTypeE0ELb0EEEvPT_PKS3_PKT0_S9_ifPKiSB_iPKfiiiSD_SD_iiiii: ; @_ZN4vllm25paged_attention_v1_kernelI14__hip_bfloat16S1_Li128ELi32ELi128ELNS_18Fp8KVCacheDataTypeE0ELb0EEEvPT_PKS3_PKT0_S9_ifPKiSB_iPKfiiiSD_SD_iiiii
; %bb.0:
	s_mov_b64 s[38:39], s[2:3]
	s_mov_b64 s[36:37], s[0:1]
	s_mov_b32 s10, s7
	s_add_u32 s36, s36, s9
	s_clause 0x2
	s_load_dword s9, s[4:5], 0x80
	s_load_dwordx2 s[0:1], s[4:5], 0x30
	s_load_dwordx2 s[2:3], s[4:5], 0x20
	s_addc_u32 s37, s37, 0
	s_ashr_i32 s11, s7, 31
	v_mov_b32_e32 v108, v0
	s_lshl_b64 s[12:13], s[10:11], 2
	s_mov_b32 s24, 0
	s_waitcnt lgkmcnt(0)
	s_add_u32 s0, s0, s12
	s_addc_u32 s1, s1, s13
	s_abs_i32 s7, s2
	s_abs_i32 s13, s9
	v_cvt_f32_u32_e32 v0, s7
	s_sub_i32 s12, 0, s7
	s_xor_b32 s2, s9, s2
	s_ashr_i32 s2, s2, 31
	v_rcp_iflag_f32_e32 v0, v0
	v_mul_f32_e32 v0, 0x4f7ffffe, v0
	v_cvt_u32_f32_e32 v0, v0
	v_readfirstlane_b32 s11, v0
	s_mul_i32 s12, s12, s11
	s_mul_hi_u32 s12, s11, s12
	s_add_i32 s11, s11, s12
	s_mul_hi_u32 s11, s13, s11
	s_mul_i32 s12, s11, s7
	s_sub_i32 s12, s13, s12
	s_add_i32 s13, s11, 1
	s_sub_i32 s14, s12, s7
	s_cmp_ge_u32 s12, s7
	s_cselect_b32 s11, s13, s11
	s_cselect_b32 s12, s14, s12
	s_add_i32 s13, s11, 1
	s_cmp_ge_u32 s12, s7
	s_cselect_b32 s7, s13, s11
	s_load_dwordx2 s[12:13], s[4:5], 0x40
	s_xor_b32 s7, s7, s2
	s_abs_i32 s16, s6
	s_sub_i32 s17, s7, s2
	s_abs_i32 s2, s17
	v_cvt_f32_u32_e32 v0, s2
	s_sub_i32 s11, 0, s2
	v_rcp_iflag_f32_e32 v0, v0
	v_mul_f32_e32 v0, 0x4f7ffffe, v0
	v_cvt_u32_f32_e32 v0, v0
	v_readfirstlane_b32 s7, v0
	s_mul_i32 s11, s11, s7
	s_mul_hi_u32 s11, s7, s11
	s_add_i32 s7, s7, s11
	s_waitcnt lgkmcnt(0)
	s_cmp_eq_u64 s[12:13], 0
	s_mul_hi_u32 s22, s16, s7
	s_cbranch_scc1 .LBB159_2
; %bb.1:
	s_ashr_i32 s7, s6, 31
	s_lshl_b64 s[14:15], s[6:7], 2
	s_add_u32 s12, s12, s14
	s_addc_u32 s13, s13, s15
	s_load_dword s24, s[12:13], 0x0
.LBB159_2:
	s_load_dword s11, s[0:1], 0x0
	s_clause 0x1
	s_load_dwordx2 s[18:19], s[4:5], 0x28
	s_load_dwordx4 s[12:15], s[4:5], 0x48
	v_lshlrev_b32_e32 v10, 4, v108
	s_ashr_i32 s0, s6, 31
	s_ashr_i32 s1, s17, 31
	s_lshl_b32 s6, s6, 7
	s_waitcnt lgkmcnt(0)
	s_mov_b32 s15, exec_lo
	v_cmpx_gt_u32_e32 16, v108
	s_cbranch_execz .LBB159_4
; %bb.3:
	s_load_dwordx2 s[20:21], s[4:5], 0x8
	s_mul_i32 s26, s12, s10
	s_ashr_i32 s27, s26, 31
	s_lshl_b64 s[26:27], s[26:27], 1
	s_waitcnt lgkmcnt(0)
	s_add_u32 s12, s20, s26
	s_addc_u32 s17, s21, s27
	s_ashr_i32 s7, s6, 31
	s_lshl_b64 s[20:21], s[6:7], 1
	s_add_u32 s20, s12, s20
	s_addc_u32 s21, s17, s21
	global_load_dwordx4 v[0:3], v10, s[20:21]
	s_waitcnt vmcnt(0)
	ds_write_b128 v10, v[0:3]
.LBB159_4:
	s_or_b32 exec_lo, exec_lo, s15
	s_add_i32 s7, s11, 31
	s_xor_b32 s0, s0, s1
	s_ashr_i32 s12, s7, 31
	s_load_dword s15, s[4:5], 0x38
	s_lshr_b32 s1, s12, 27
	s_mul_i32 s12, s22, s2
	s_add_i32 s7, s7, s1
	s_sub_i32 s1, s16, s12
	s_ashr_i32 s12, s7, 5
	s_clause 0x2
	s_load_dwordx2 s[16:17], s[4:5], 0x0
	s_load_dwordx2 s[20:21], s[4:5], 0x18
	s_load_dword s7, s[4:5], 0x88
	s_add_i32 s23, s22, 1
	s_sub_i32 s25, s1, s2
	s_cmp_ge_u32 s1, s2
	v_lshrrev_b32_e32 v109, 5, v108
	s_cselect_b32 s22, s23, s22
	s_cselect_b32 s1, s25, s1
	s_add_i32 s23, s22, 1
	s_cmp_ge_u32 s1, s2
	v_and_b32_e32 v110, 31, v108
	s_cselect_b32 s1, s23, s22
	v_mov_b32_e32 v84, 0xff7fffff
	s_xor_b32 s1, s1, s0
	v_lshrrev_b32_e32 v18, 3, v108
	s_sub_i32 s1, s1, s0
	v_cmp_gt_i32_e64 s0, s12, v109
	v_lshlrev_b32_e32 v19, 2, v110
	s_waitcnt lgkmcnt(0)
	s_mul_i32 s22, s15, s10
	s_mul_i32 s14, s1, s14
	s_ashr_i32 s23, s22, 31
	s_barrier
	buffer_gl0_inv
	s_and_saveexec_b32 s25, s0
	s_cbranch_execz .LBB159_8
; %bb.5:
	v_mov_b32_e32 v1, 0
	buffer_store_dword v10, off, s[36:39], 0 offset:308 ; 4-byte Folded Spill
	buffer_store_dword v108, off, s[36:39], 0 offset:296 ; 4-byte Folded Spill
	s_load_dwordx2 s[26:27], s[4:5], 0x10
	s_ashr_i32 s15, s14, 31
	v_cmp_neq_f32_e64 vcc_lo, s24, 0
	ds_read_b128 v[2:5], v1
	ds_read_b128 v[6:9], v1 offset:16
	ds_read_b128 v[10:13], v1 offset:32
	;; [unrolled: 1-line block ×3, first 2 shown]
	s_lshl_b64 s[28:29], s[14:15], 1
	v_lshl_or_b32 v94, v109, 5, v110
	v_mov_b32_e32 v84, 0xff7fffff
	v_mov_b32_e32 v95, v109
	s_mov_b32 s4, s13
	s_mov_b32 s5, 0
	buffer_store_dword v19, off, s[36:39], 0 offset:316 ; 4-byte Folded Spill
	buffer_store_dword v18, off, s[36:39], 0 offset:312 ; 4-byte Folded Spill
	;; [unrolled: 1-line block ×4, first 2 shown]
	s_waitcnt lgkmcnt(0)
	s_add_u32 s1, s26, s28
	v_and_b32_e32 v0, 0xffff0000, v2
	s_addc_u32 s2, s27, s29
	s_lshl_b64 s[26:27], s[22:23], 2
	s_sub_i32 s15, 1, s11
	s_add_u32 s26, s18, s26
	buffer_store_dword v0, off, s[36:39], 0 ; 4-byte Folded Spill
	v_lshlrev_b32_e32 v0, 16, v2
	s_addc_u32 s27, s19, s27
	buffer_store_dword v0, off, s[36:39], 0 offset:4 ; 4-byte Folded Spill
	v_and_b32_e32 v0, 0xffff0000, v6
	buffer_store_dword v0, off, s[36:39], 0 offset:8 ; 4-byte Folded Spill
	v_lshlrev_b32_e32 v0, 16, v6
	buffer_store_dword v0, off, s[36:39], 0 offset:12 ; 4-byte Folded Spill
	v_and_b32_e32 v0, 0xffff0000, v10
	buffer_store_dword v0, off, s[36:39], 0 offset:16 ; 4-byte Folded Spill
	v_lshlrev_b32_e32 v0, 16, v10
	;; [unrolled: 4-line block ×6, first 2 shown]
	buffer_store_dword v0, off, s[36:39], 0 offset:52 ; 4-byte Folded Spill
	v_and_b32_e32 v0, 0xffff0000, v8
	buffer_store_dword v0, off, s[36:39], 0 offset:56 ; 4-byte Folded Spill
	v_and_b32_e32 v0, 0xffff0000, v5
	buffer_store_dword v0, off, s[36:39], 0 offset:60 ; 4-byte Folded Spill
	v_lshlrev_b32_e32 v0, 16, v5
	ds_read_b128 v[2:5], v1 offset:64
	buffer_store_dword v0, off, s[36:39], 0 offset:64 ; 4-byte Folded Spill
	v_lshlrev_b32_e32 v0, 16, v8
	buffer_store_dword v0, off, s[36:39], 0 offset:68 ; 4-byte Folded Spill
	v_and_b32_e32 v0, 0xffff0000, v12
	buffer_store_dword v0, off, s[36:39], 0 offset:72 ; 4-byte Folded Spill
	v_and_b32_e32 v0, 0xffff0000, v9
	buffer_store_dword v0, off, s[36:39], 0 offset:76 ; 4-byte Folded Spill
	v_lshlrev_b32_e32 v0, 16, v9
	buffer_store_dword v0, off, s[36:39], 0 offset:80 ; 4-byte Folded Spill
	v_lshlrev_b32_e32 v0, 16, v12
	buffer_store_dword v0, off, s[36:39], 0 offset:84 ; 4-byte Folded Spill
	v_and_b32_e32 v0, 0xffff0000, v13
	buffer_store_dword v0, off, s[36:39], 0 offset:88 ; 4-byte Folded Spill
	v_lshlrev_b32_e32 v0, 16, v13
	buffer_store_dword v0, off, s[36:39], 0 offset:92 ; 4-byte Folded Spill
	v_and_b32_e32 v0, 0xffff0000, v14
	;; [unrolled: 4-line block ×5, first 2 shown]
	buffer_store_dword v0, off, s[36:39], 0 offset:120 ; 4-byte Folded Spill
	v_lshlrev_b32_e32 v0, 16, v17
	buffer_store_dword v0, off, s[36:39], 0 offset:124 ; 4-byte Folded Spill
	s_waitcnt lgkmcnt(0)
	v_and_b32_e32 v0, 0xffff0000, v2
	buffer_store_dword v0, off, s[36:39], 0 offset:128 ; 4-byte Folded Spill
	v_lshlrev_b32_e32 v0, 16, v2
	buffer_store_dword v0, off, s[36:39], 0 offset:132 ; 4-byte Folded Spill
	v_and_b32_e32 v0, 0xffff0000, v3
	buffer_store_dword v0, off, s[36:39], 0 offset:136 ; 4-byte Folded Spill
	v_lshlrev_b32_e32 v0, 16, v3
	buffer_store_dword v0, off, s[36:39], 0 offset:140 ; 4-byte Folded Spill
	v_and_b32_e32 v0, 0xffff0000, v4
	buffer_store_dword v0, off, s[36:39], 0 offset:144 ; 4-byte Folded Spill
	v_lshlrev_b32_e32 v0, 16, v4
	buffer_store_dword v0, off, s[36:39], 0 offset:148 ; 4-byte Folded Spill
	v_and_b32_e32 v0, 0xffff0000, v5
	buffer_store_dword v0, off, s[36:39], 0 offset:152 ; 4-byte Folded Spill
	v_lshlrev_b32_e32 v0, 16, v5
	ds_read_b128 v[2:5], v1 offset:80
	buffer_store_dword v0, off, s[36:39], 0 offset:156 ; 4-byte Folded Spill
	s_waitcnt lgkmcnt(0)
	v_and_b32_e32 v0, 0xffff0000, v2
	buffer_store_dword v0, off, s[36:39], 0 offset:160 ; 4-byte Folded Spill
	v_lshlrev_b32_e32 v0, 16, v2
	buffer_store_dword v0, off, s[36:39], 0 offset:164 ; 4-byte Folded Spill
	v_and_b32_e32 v0, 0xffff0000, v3
	buffer_store_dword v0, off, s[36:39], 0 offset:168 ; 4-byte Folded Spill
	v_lshlrev_b32_e32 v0, 16, v3
	buffer_store_dword v0, off, s[36:39], 0 offset:172 ; 4-byte Folded Spill
	v_and_b32_e32 v0, 0xffff0000, v4
	buffer_store_dword v0, off, s[36:39], 0 offset:176 ; 4-byte Folded Spill
	v_lshlrev_b32_e32 v0, 16, v4
	buffer_store_dword v0, off, s[36:39], 0 offset:180 ; 4-byte Folded Spill
	v_and_b32_e32 v0, 0xffff0000, v5
	buffer_store_dword v0, off, s[36:39], 0 offset:184 ; 4-byte Folded Spill
	v_lshlrev_b32_e32 v0, 16, v5
	ds_read_b128 v[2:5], v1 offset:96
	;; [unrolled: 18-line block ×5, first 2 shown]
	buffer_store_dword v0, off, s[36:39], 0 offset:284 ; 4-byte Folded Spill
	s_waitcnt lgkmcnt(0)
	v_and_b32_e32 v0, 0xffff0000, v2
	v_and_b32_e32 v122, 0xffff0000, v3
	v_lshlrev_b32_e32 v123, 16, v3
	v_and_b32_e32 v124, 0xffff0000, v4
	v_lshlrev_b32_e32 v125, 16, v4
	buffer_store_dword v0, off, s[36:39], 0 offset:288 ; 4-byte Folded Spill
	v_lshlrev_b32_e32 v0, 16, v2
	v_and_b32_e32 v126, 0xffff0000, v5
	v_lshlrev_b32_e32 v127, 16, v5
	ds_read_b128 v[2:5], v1 offset:160
	buffer_store_dword v0, off, s[36:39], 0 offset:292 ; 4-byte Folded Spill
	s_waitcnt lgkmcnt(0)
	v_and_b32_e32 v44, 0xffff0000, v2
	v_lshlrev_b32_e32 v43, 16, v2
	v_and_b32_e32 v45, 0xffff0000, v3
	v_lshlrev_b32_e32 v76, 16, v3
	v_and_b32_e32 v75, 0xffff0000, v4
	v_lshlrev_b32_e32 v46, 16, v4
	v_and_b32_e32 v0, 0xffff0000, v5
	v_lshlrev_b32_e32 v47, 16, v5
	ds_read_b128 v[2:5], v1 offset:176
	s_waitcnt lgkmcnt(0)
	v_and_b32_e32 v48, 0xffff0000, v2
	v_lshlrev_b32_e32 v49, 16, v2
	v_and_b32_e32 v50, 0xffff0000, v3
	v_lshlrev_b32_e32 v51, 16, v3
	v_and_b32_e32 v52, 0xffff0000, v4
	v_lshlrev_b32_e32 v53, 16, v4
	v_and_b32_e32 v54, 0xffff0000, v5
	v_lshlrev_b32_e32 v55, 16, v5
	ds_read_b128 v[2:5], v1 offset:192
	;; [unrolled: 10-line block ×4, first 2 shown]
	s_waitcnt lgkmcnt(0)
	v_and_b32_e32 v72, 0xffff0000, v2
	v_lshlrev_b32_e32 v73, 16, v2
	v_and_b32_e32 v74, 0xffff0000, v3
	v_lshlrev_b32_e32 v77, 16, v3
	;; [unrolled: 2-line block ×3, first 2 shown]
	ds_read_b128 v[1:4], v1 offset:240
	v_and_b32_e32 v80, 0xffff0000, v5
	v_lshlrev_b32_e32 v81, 16, v5
	s_waitcnt lgkmcnt(0)
	v_and_b32_e32 v82, 0xffff0000, v1
	v_lshlrev_b32_e32 v83, 16, v1
	v_lshl_or_b32 v1, v109, 7, v19
	v_and_b32_e32 v85, 0xffff0000, v2
	v_lshlrev_b32_e32 v86, 16, v2
	v_and_b32_e32 v87, 0xffff0000, v3
	v_lshlrev_b32_e32 v88, 16, v3
	v_add_nc_u32_e32 v91, 0x120, v1
	v_and_b32_e32 v1, 0x7c, v18
	v_and_b32_e32 v89, 0xffff0000, v4
	v_lshlrev_b32_e32 v90, 16, v4
	v_add_co_u32 v41, s26, s26, v1
	v_lshlrev_b32_e32 v1, 4, v110
	v_add_co_ci_u32_e64 v42, null, s27, 0, s26
	v_add_co_u32 v92, s1, s1, v1
	v_add_co_ci_u32_e64 v93, null, s2, 0, s1
.LBB159_6:                              ; =>This Inner Loop Header: Depth=1
	global_load_dword v1, v[41:42], off
	v_add_nc_u32_e32 v95, 4, v95
	s_waitcnt vmcnt(0)
	v_mad_i64_i32 v[1:2], null, v1, s4, 0
	v_lshlrev_b64 v[1:2], 1, v[1:2]
	v_add_co_u32 v9, s1, v92, v1
	v_add_nc_u32_e32 v1, s15, v94
	v_add_co_ci_u32_e64 v10, null, v93, v2, s1
	v_cmp_gt_i32_e64 s1, s11, v94
	v_add_nc_u32_e32 v94, 0x80, v94
	v_cvt_f32_i32_e32 v1, v1
	v_mul_f32_e32 v1, s24, v1
	v_cndmask_b32_e32 v96, 0, v1, vcc_lo
	s_clause 0x3
	global_load_dwordx4 v[11:14], v[9:10], off
	global_load_dwordx4 v[15:18], v[9:10], off offset:512
	global_load_dwordx4 v[5:8], v[9:10], off offset:1024
	;; [unrolled: 1-line block ×3, first 2 shown]
	buffer_load_dword v21, off, s[36:39], 0 offset:12 ; 4-byte Folded Reload
	s_waitcnt vmcnt(4)
	v_lshlrev_b32_e32 v19, 16, v11
	s_waitcnt vmcnt(3)
	v_and_b32_e32 v20, 0xffff0000, v15
	v_lshlrev_b32_e32 v15, 16, v15
	v_and_b32_e32 v11, 0xffff0000, v11
	s_waitcnt vmcnt(0)
	v_mul_f32_e32 v97, v21, v15
	buffer_load_dword v15, off, s[36:39], 0 offset:8 ; 4-byte Folded Reload
	s_waitcnt vmcnt(0)
	v_mul_f32_e32 v98, v15, v20
	buffer_load_dword v15, off, s[36:39], 0 ; 4-byte Folded Reload
	s_waitcnt vmcnt(0)
	v_fmac_f32_e32 v98, v15, v11
	s_clause 0x1
	buffer_load_dword v11, off, s[36:39], 0 offset:4
	buffer_load_dword v15, off, s[36:39], 0 offset:20
	s_waitcnt vmcnt(1)
	v_fmac_f32_e32 v97, v11, v19
	v_and_b32_e32 v11, 0xffff0000, v5
	v_lshlrev_b32_e32 v5, 16, v5
	s_waitcnt vmcnt(0)
	v_fmac_f32_e32 v97, v15, v5
	s_clause 0x1
	buffer_load_dword v5, off, s[36:39], 0 offset:16
	buffer_load_dword v15, off, s[36:39], 0 offset:36
	s_waitcnt vmcnt(1)
	v_fmac_f32_e32 v98, v5, v11
	buffer_load_dword v11, off, s[36:39], 0 offset:96 ; 4-byte Folded Reload
	v_lshlrev_b32_e32 v5, 16, v1
	v_and_b32_e32 v1, 0xffff0000, v1
	s_waitcnt vmcnt(0)
	v_fmac_f32_e32 v98, v11, v1
	buffer_load_dword v1, off, s[36:39], 0 offset:100 ; 4-byte Folded Reload
	v_and_b32_e32 v11, 0xffff0000, v16
	s_waitcnt vmcnt(0)
	v_fmac_f32_e32 v97, v1, v5
	v_lshlrev_b32_e32 v1, 16, v12
	v_and_b32_e32 v5, 0xffff0000, v12
	v_lshlrev_b32_e32 v12, 16, v16
	v_mul_f32_e32 v99, v15, v12
	buffer_load_dword v12, off, s[36:39], 0 offset:32 ; 4-byte Folded Reload
	s_waitcnt vmcnt(0)
	v_mul_f32_e32 v100, v12, v11
	buffer_load_dword v11, off, s[36:39], 0 offset:24 ; 4-byte Folded Reload
	s_waitcnt vmcnt(0)
	v_fmac_f32_e32 v100, v11, v5
	s_clause 0x1
	buffer_load_dword v5, off, s[36:39], 0 offset:28
	buffer_load_dword v11, off, s[36:39], 0 offset:68
	s_waitcnt vmcnt(1)
	v_fmac_f32_e32 v99, v5, v1
	v_and_b32_e32 v1, 0xffff0000, v6
	v_lshlrev_b32_e32 v5, 16, v6
	buffer_load_dword v6, off, s[36:39], 0 offset:44 ; 4-byte Folded Reload
	s_waitcnt vmcnt(0)
	v_fmac_f32_e32 v99, v6, v5
	buffer_load_dword v5, off, s[36:39], 0 offset:40 ; 4-byte Folded Reload
	v_lshlrev_b32_e32 v6, 16, v17
	v_mul_f32_e32 v101, v11, v6
	buffer_load_dword v6, off, s[36:39], 0 offset:56 ; 4-byte Folded Reload
	s_waitcnt vmcnt(1)
	v_fmac_f32_e32 v100, v5, v1
	buffer_load_dword v5, off, s[36:39], 0 offset:104 ; 4-byte Folded Reload
	v_lshlrev_b32_e32 v1, 16, v2
	v_and_b32_e32 v2, 0xffff0000, v2
	s_waitcnt vmcnt(0)
	v_fmac_f32_e32 v100, v5, v2
	buffer_load_dword v2, off, s[36:39], 0 offset:108 ; 4-byte Folded Reload
	v_and_b32_e32 v5, 0xffff0000, v17
	v_mul_f32_e32 v102, v6, v5
	s_clause 0x1
	buffer_load_dword v5, off, s[36:39], 0 offset:48
	buffer_load_dword v6, off, s[36:39], 0 offset:80
	s_waitcnt vmcnt(2)
	v_fmac_f32_e32 v99, v2, v1
	v_and_b32_e32 v2, 0xffff0000, v13
	v_lshlrev_b32_e32 v1, 16, v13
	s_waitcnt vmcnt(1)
	v_fmac_f32_e32 v102, v5, v2
	s_clause 0x1
	buffer_load_dword v2, off, s[36:39], 0 offset:52
	buffer_load_dword v5, off, s[36:39], 0 offset:84
	s_waitcnt vmcnt(1)
	v_fmac_f32_e32 v101, v2, v1
	v_lshlrev_b32_e32 v2, 16, v7
	v_and_b32_e32 v1, 0xffff0000, v7
	s_waitcnt vmcnt(0)
	v_fmac_f32_e32 v101, v5, v2
	buffer_load_dword v2, off, s[36:39], 0 offset:72 ; 4-byte Folded Reload
	v_lshlrev_b32_e32 v5, 16, v18
	v_mul_f32_e32 v103, v6, v5
	buffer_load_dword v5, off, s[36:39], 0 offset:76 ; 4-byte Folded Reload
	s_waitcnt vmcnt(1)
	v_fmac_f32_e32 v102, v2, v1
	v_lshlrev_b32_e32 v1, 16, v3
	v_and_b32_e32 v2, 0xffff0000, v3
	buffer_load_dword v3, off, s[36:39], 0 offset:112 ; 4-byte Folded Reload
	s_waitcnt vmcnt(0)
	v_fmac_f32_e32 v102, v3, v2
	buffer_load_dword v2, off, s[36:39], 0 offset:116 ; 4-byte Folded Reload
	v_and_b32_e32 v3, 0xffff0000, v18
	v_mul_f32_e32 v104, v5, v3
	buffer_load_dword v3, off, s[36:39], 0 offset:60 ; 4-byte Folded Reload
	v_add_co_u32 v5, s2, 0x800, v9
	v_add_co_ci_u32_e64 v6, null, 0, v10, s2
	v_add_co_u32 v7, s2, v9, 0x1000
	s_waitcnt vmcnt(1)
	v_fmac_f32_e32 v101, v2, v1
	v_and_b32_e32 v2, 0xffff0000, v14
	v_lshlrev_b32_e32 v1, 16, v14
	s_waitcnt vmcnt(0)
	v_fmac_f32_e32 v104, v3, v2
	s_clause 0x1
	buffer_load_dword v2, off, s[36:39], 0 offset:64
	buffer_load_dword v3, off, s[36:39], 0 offset:92
	s_waitcnt vmcnt(1)
	v_fmac_f32_e32 v103, v2, v1
	v_lshlrev_b32_e32 v2, 16, v8
	v_and_b32_e32 v1, 0xffff0000, v8
	v_add_co_ci_u32_e64 v8, null, 0, v10, s2
	s_waitcnt vmcnt(0)
	v_fmac_f32_e32 v103, v3, v2
	s_clause 0x1
	buffer_load_dword v2, off, s[36:39], 0 offset:88
	buffer_load_dword v3, off, s[36:39], 0 offset:120
	s_waitcnt vmcnt(1)
	v_fmac_f32_e32 v104, v2, v1
	v_and_b32_e32 v2, 0xffff0000, v4
	v_lshlrev_b32_e32 v1, 16, v4
	s_waitcnt vmcnt(0)
	v_fmac_f32_e32 v104, v3, v2
	buffer_load_dword v2, off, s[36:39], 0 offset:124 ; 4-byte Folded Reload
	s_waitcnt vmcnt(0)
	v_fmac_f32_e32 v103, v2, v1
	global_load_dwordx4 v[1:4], v[7:8], off offset:-2048
	s_waitcnt vmcnt(0)
	v_and_b32_e32 v113, 0xffff0000, v1
	v_lshlrev_b32_e32 v114, 16, v1
	v_and_b32_e32 v115, 0xffff0000, v2
	v_lshlrev_b32_e32 v116, 16, v2
	;; [unrolled: 2-line block ×4, first 2 shown]
	s_clause 0x2
	global_load_dwordx4 v[1:4], v[5:6], off offset:512
	global_load_dwordx4 v[37:40], v[5:6], off offset:1024
	;; [unrolled: 1-line block ×3, first 2 shown]
	s_waitcnt vmcnt(2)
	v_lshlrev_b32_e32 v117, 16, v1
	v_and_b32_e32 v118, 0xffff0000, v1
	v_add_co_u32 v1, s2, 0x1000, v9
	v_lshlrev_b32_e32 v119, 16, v2
	v_and_b32_e32 v120, 0xffff0000, v2
	v_add_co_ci_u32_e64 v2, null, 0, v10, s2
	s_clause 0x3
	global_load_dwordx4 v[29:32], v[7:8], off
	global_load_dwordx4 v[25:28], v[1:2], off offset:512
	global_load_dwordx4 v[21:24], v[1:2], off offset:1024
	;; [unrolled: 1-line block ×3, first 2 shown]
	v_add_co_u32 v1, s2, 0x1800, v9
	v_add_co_ci_u32_e64 v2, null, 0, v10, s2
	v_lshlrev_b32_e32 v111, 16, v3
	v_and_b32_e32 v112, 0xffff0000, v3
	v_lshlrev_b32_e32 v107, 16, v4
	v_and_b32_e32 v108, 0xffff0000, v4
	s_clause 0x3
	global_load_dwordx4 v[13:16], v[1:2], off
	global_load_dwordx4 v[9:12], v[1:2], off offset:512
	global_load_dwordx4 v[5:8], v[1:2], off offset:1024
	;; [unrolled: 1-line block ×3, first 2 shown]
	buffer_load_dword v121, off, s[36:39], 0 offset:132 ; 4-byte Folded Reload
	s_waitcnt vmcnt(0)
	v_fmac_f32_e32 v97, v121, v114
	buffer_load_dword v114, off, s[36:39], 0 offset:128 ; 4-byte Folded Reload
	s_waitcnt vmcnt(0)
	v_fmac_f32_e32 v98, v114, v113
	s_clause 0x1
	buffer_load_dword v113, off, s[36:39], 0 offset:160
	buffer_load_dword v114, off, s[36:39], 0 offset:196
	s_waitcnt vmcnt(1)
	v_fmac_f32_e32 v98, v113, v118
	buffer_load_dword v113, off, s[36:39], 0 offset:164 ; 4-byte Folded Reload
	s_waitcnt vmcnt(0)
	v_fmac_f32_e32 v97, v113, v117
	v_and_b32_e32 v113, 0xffff0000, v37
	v_lshlrev_b32_e32 v37, 16, v37
	v_fmac_f32_e32 v97, v114, v37
	buffer_load_dword v37, off, s[36:39], 0 offset:192 ; 4-byte Folded Reload
	s_waitcnt vmcnt(0)
	v_fmac_f32_e32 v98, v37, v113
	buffer_load_dword v113, off, s[36:39], 0 offset:224 ; 4-byte Folded Reload
	v_lshlrev_b32_e32 v37, 16, v33
	v_and_b32_e32 v33, 0xffff0000, v33
	s_waitcnt vmcnt(0)
	v_fmac_f32_e32 v98, v113, v33
	buffer_load_dword v33, off, s[36:39], 0 offset:228 ; 4-byte Folded Reload
	s_waitcnt vmcnt(0)
	v_fmac_f32_e32 v97, v33, v37
	buffer_load_dword v37, off, s[36:39], 0 offset:260 ; 4-byte Folded Reload
	v_and_b32_e32 v33, 0xffff0000, v29
	v_lshlrev_b32_e32 v29, 16, v29
	s_waitcnt vmcnt(0)
	v_fmac_f32_e32 v97, v37, v29
	buffer_load_dword v29, off, s[36:39], 0 offset:256 ; 4-byte Folded Reload
	s_waitcnt vmcnt(0)
	v_fmac_f32_e32 v98, v29, v33
	buffer_load_dword v33, off, s[36:39], 0 offset:288 ; 4-byte Folded Reload
	v_lshlrev_b32_e32 v29, 16, v25
	v_and_b32_e32 v25, 0xffff0000, v25
	s_waitcnt vmcnt(0)
	v_fmac_f32_e32 v98, v33, v25
	buffer_load_dword v25, off, s[36:39], 0 offset:292 ; 4-byte Folded Reload
	s_waitcnt vmcnt(0)
	v_fmac_f32_e32 v97, v25, v29
	v_and_b32_e32 v25, 0xffff0000, v21
	v_lshlrev_b32_e32 v21, 16, v21
	v_fmac_f32_e32 v98, v44, v25
	v_fmac_f32_e32 v97, v43, v21
	v_lshlrev_b32_e32 v21, 16, v17
	v_and_b32_e32 v17, 0xffff0000, v17
	v_fmac_f32_e32 v97, v49, v21
	v_fmac_f32_e32 v98, v48, v17
	v_and_b32_e32 v17, 0xffff0000, v13
	v_lshlrev_b32_e32 v13, 16, v13
	v_fmac_f32_e32 v98, v56, v17
	v_fmac_f32_e32 v97, v57, v13
	v_lshlrev_b32_e32 v13, 16, v9
	v_and_b32_e32 v9, 0xffff0000, v9
	v_fmac_f32_e32 v97, v65, v13
	v_fmac_f32_e32 v98, v64, v9
	v_and_b32_e32 v9, 0xffff0000, v5
	v_lshlrev_b32_e32 v5, 16, v5
	v_fmac_f32_e32 v98, v72, v9
	v_fmac_f32_e32 v97, v73, v5
	v_lshlrev_b32_e32 v5, 16, v1
	v_and_b32_e32 v1, 0xffff0000, v1
	buffer_load_dword v9, off, s[36:39], 0 offset:204 ; 4-byte Folded Reload
	v_fmac_f32_e32 v97, v83, v5
	v_fmac_f32_e32 v98, v82, v1
	buffer_load_dword v1, off, s[36:39], 0 offset:140 ; 4-byte Folded Reload
	v_lshlrev_b32_e32 v5, 16, v38
	s_waitcnt vmcnt(0)
	v_fmac_f32_e32 v99, v1, v116
	buffer_load_dword v1, off, s[36:39], 0 offset:136 ; 4-byte Folded Reload
	s_waitcnt vmcnt(0)
	v_fmac_f32_e32 v100, v1, v115
	buffer_load_dword v1, off, s[36:39], 0 offset:168 ; 4-byte Folded Reload
	;; [unrolled: 3-line block ×3, first 2 shown]
	s_waitcnt vmcnt(0)
	v_fmac_f32_e32 v99, v1, v119
	v_and_b32_e32 v1, 0xffff0000, v38
	v_fmac_f32_e32 v99, v9, v5
	s_clause 0x1
	buffer_load_dword v5, off, s[36:39], 0 offset:200
	buffer_load_dword v9, off, s[36:39], 0 offset:232
	s_waitcnt vmcnt(1)
	v_fmac_f32_e32 v100, v5, v1
	v_and_b32_e32 v5, 0xffff0000, v34
	v_lshlrev_b32_e32 v1, 16, v34
	s_waitcnt vmcnt(0)
	v_fmac_f32_e32 v100, v9, v5
	s_clause 0x1
	buffer_load_dword v5, off, s[36:39], 0 offset:236
	buffer_load_dword v9, off, s[36:39], 0 offset:268
	s_waitcnt vmcnt(1)
	v_fmac_f32_e32 v99, v5, v1
	v_lshlrev_b32_e32 v5, 16, v30
	v_and_b32_e32 v1, 0xffff0000, v30
	s_waitcnt vmcnt(0)
	v_fmac_f32_e32 v99, v9, v5
	buffer_load_dword v5, off, s[36:39], 0 offset:264 ; 4-byte Folded Reload
	s_waitcnt vmcnt(0)
	v_fmac_f32_e32 v100, v5, v1
	v_lshlrev_b32_e32 v1, 16, v26
	v_and_b32_e32 v5, 0xffff0000, v26
	v_fmac_f32_e32 v99, v123, v1
	v_fmac_f32_e32 v100, v122, v5
	v_and_b32_e32 v1, 0xffff0000, v22
	v_lshlrev_b32_e32 v5, 16, v22
	v_fmac_f32_e32 v100, v45, v1
	v_fmac_f32_e32 v99, v76, v5
	v_lshlrev_b32_e32 v1, 16, v18
	v_and_b32_e32 v5, 0xffff0000, v18
	v_fmac_f32_e32 v99, v51, v1
	v_fmac_f32_e32 v100, v50, v5
	v_and_b32_e32 v1, 0xffff0000, v14
	v_lshlrev_b32_e32 v5, 16, v14
	v_fmac_f32_e32 v100, v58, v1
	;; [unrolled: 8-line block ×3, first 2 shown]
	v_fmac_f32_e32 v99, v77, v5
	v_lshlrev_b32_e32 v1, 16, v2
	v_and_b32_e32 v2, 0xffff0000, v2
	buffer_load_dword v5, off, s[36:39], 0 offset:212 ; 4-byte Folded Reload
	v_fmac_f32_e32 v99, v86, v1
	buffer_load_dword v1, off, s[36:39], 0 offset:148 ; 4-byte Folded Reload
	v_fmac_f32_e32 v100, v85, v2
	v_lshlrev_b32_e32 v2, 16, v39
	s_waitcnt vmcnt(0)
	v_fmac_f32_e32 v101, v1, v110
	buffer_load_dword v1, off, s[36:39], 0 offset:144 ; 4-byte Folded Reload
	s_waitcnt vmcnt(0)
	v_fmac_f32_e32 v102, v1, v109
	buffer_load_dword v1, off, s[36:39], 0 offset:176 ; 4-byte Folded Reload
	;; [unrolled: 3-line block ×3, first 2 shown]
	s_waitcnt vmcnt(0)
	v_fmac_f32_e32 v101, v1, v111
	v_and_b32_e32 v1, 0xffff0000, v39
	v_fmac_f32_e32 v101, v5, v2
	s_clause 0x1
	buffer_load_dword v2, off, s[36:39], 0 offset:208
	buffer_load_dword v5, off, s[36:39], 0 offset:240
	s_waitcnt vmcnt(1)
	v_fmac_f32_e32 v102, v2, v1
	v_and_b32_e32 v2, 0xffff0000, v35
	v_lshlrev_b32_e32 v1, 16, v35
	s_waitcnt vmcnt(0)
	v_fmac_f32_e32 v102, v5, v2
	s_clause 0x1
	buffer_load_dword v2, off, s[36:39], 0 offset:244
	buffer_load_dword v5, off, s[36:39], 0 offset:276
	s_waitcnt vmcnt(1)
	v_fmac_f32_e32 v101, v2, v1
	v_lshlrev_b32_e32 v2, 16, v31
	v_and_b32_e32 v1, 0xffff0000, v31
	s_waitcnt vmcnt(0)
	v_fmac_f32_e32 v101, v5, v2
	buffer_load_dword v2, off, s[36:39], 0 offset:272 ; 4-byte Folded Reload
	s_waitcnt vmcnt(0)
	v_fmac_f32_e32 v102, v2, v1
	v_lshlrev_b32_e32 v1, 16, v27
	v_and_b32_e32 v2, 0xffff0000, v27
	v_fmac_f32_e32 v101, v125, v1
	v_fmac_f32_e32 v102, v124, v2
	v_and_b32_e32 v1, 0xffff0000, v23
	v_lshlrev_b32_e32 v2, 16, v23
	v_fmac_f32_e32 v102, v75, v1
	v_fmac_f32_e32 v101, v46, v2
	v_lshlrev_b32_e32 v1, 16, v19
	v_and_b32_e32 v2, 0xffff0000, v19
	v_fmac_f32_e32 v101, v53, v1
	v_fmac_f32_e32 v102, v52, v2
	v_and_b32_e32 v1, 0xffff0000, v15
	v_lshlrev_b32_e32 v2, 16, v15
	v_fmac_f32_e32 v102, v60, v1
	;; [unrolled: 8-line block ×3, first 2 shown]
	v_fmac_f32_e32 v101, v79, v2
	v_lshlrev_b32_e32 v1, 16, v3
	v_and_b32_e32 v2, 0xffff0000, v3
	buffer_load_dword v3, off, s[36:39], 0 offset:220 ; 4-byte Folded Reload
	v_fmac_f32_e32 v101, v88, v1
	buffer_load_dword v1, off, s[36:39], 0 offset:156 ; 4-byte Folded Reload
	v_fmac_f32_e32 v102, v87, v2
	v_lshlrev_b32_e32 v2, 16, v40
	s_waitcnt vmcnt(0)
	v_fmac_f32_e32 v103, v1, v106
	buffer_load_dword v1, off, s[36:39], 0 offset:152 ; 4-byte Folded Reload
	s_waitcnt vmcnt(0)
	v_fmac_f32_e32 v104, v1, v105
	buffer_load_dword v1, off, s[36:39], 0 offset:184 ; 4-byte Folded Reload
	s_waitcnt vmcnt(0)
	v_fmac_f32_e32 v104, v1, v108
	buffer_load_dword v1, off, s[36:39], 0 offset:188 ; 4-byte Folded Reload
	s_waitcnt vmcnt(0)
	v_fmac_f32_e32 v103, v1, v107
	v_and_b32_e32 v1, 0xffff0000, v40
	v_fmac_f32_e32 v103, v3, v2
	s_clause 0x1
	buffer_load_dword v2, off, s[36:39], 0 offset:216
	buffer_load_dword v3, off, s[36:39], 0 offset:248
	s_waitcnt vmcnt(1)
	v_fmac_f32_e32 v104, v2, v1
	v_and_b32_e32 v2, 0xffff0000, v36
	v_lshlrev_b32_e32 v1, 16, v36
	s_waitcnt vmcnt(0)
	v_fmac_f32_e32 v104, v3, v2
	s_clause 0x1
	buffer_load_dword v2, off, s[36:39], 0 offset:252
	buffer_load_dword v3, off, s[36:39], 0 offset:284
	s_waitcnt vmcnt(1)
	v_fmac_f32_e32 v103, v2, v1
	v_lshlrev_b32_e32 v2, 16, v32
	v_and_b32_e32 v1, 0xffff0000, v32
	s_waitcnt vmcnt(0)
	v_fmac_f32_e32 v103, v3, v2
	buffer_load_dword v2, off, s[36:39], 0 offset:280 ; 4-byte Folded Reload
	s_waitcnt vmcnt(0)
	v_fmac_f32_e32 v104, v2, v1
	v_lshlrev_b32_e32 v1, 16, v28
	v_and_b32_e32 v2, 0xffff0000, v28
	v_fmac_f32_e32 v103, v127, v1
	v_fmac_f32_e32 v104, v126, v2
	v_and_b32_e32 v1, 0xffff0000, v24
	v_lshlrev_b32_e32 v2, 16, v24
	v_fmac_f32_e32 v104, v0, v1
	v_fmac_f32_e32 v103, v47, v2
	v_lshlrev_b32_e32 v1, 16, v20
	v_and_b32_e32 v2, 0xffff0000, v20
	v_fmac_f32_e32 v103, v55, v1
	v_fmac_f32_e32 v104, v54, v2
	v_and_b32_e32 v1, 0xffff0000, v16
	v_lshlrev_b32_e32 v2, 16, v16
	v_fmac_f32_e32 v104, v62, v1
	;; [unrolled: 8-line block ×3, first 2 shown]
	v_fmac_f32_e32 v103, v81, v2
	v_lshlrev_b32_e32 v1, 16, v4
	v_and_b32_e32 v2, 0xffff0000, v4
	v_fmac_f32_e32 v103, v90, v1
	v_add_f32_e32 v1, v97, v98
	v_fmac_f32_e32 v104, v89, v2
	v_add_f32_e32 v1, v1, v99
	v_add_f32_e32 v1, v100, v1
	;; [unrolled: 1-line block ×6, first 2 shown]
	v_fmac_f32_e32 v96, s3, v1
	v_cndmask_b32_e64 v1, 0, v96, s1
	ds_write_b32 v91, v1
	v_max_f32_e32 v1, v84, v84
	v_add_nc_u32_e32 v91, 0x200, v91
	v_max_f32_e32 v1, v1, v96
	v_cndmask_b32_e64 v84, v84, v1, s1
	v_add_co_u32 v41, s1, v41, 16
	v_add_co_ci_u32_e64 v42, null, 0, v42, s1
	v_cmp_le_i32_e64 s1, s12, v95
	s_or_b32 s5, s1, s5
	s_andn2_b32 exec_lo, exec_lo, s5
	s_cbranch_execnz .LBB159_6
; %bb.7:
	s_or_b32 exec_lo, exec_lo, s5
	s_clause 0x5
	buffer_load_dword v108, off, s[36:39], 0 offset:296
	buffer_load_dword v109, off, s[36:39], 0 offset:300
	;; [unrolled: 1-line block ×6, first 2 shown]
.LBB159_8:
	s_or_b32 exec_lo, exec_lo, s25
	v_mbcnt_lo_u32_b32 v1, -1, 0
	v_max_f32_e32 v4, v84, v84
	v_xor_b32_e32 v0, 16, v1
	v_xor_b32_e32 v3, 8, v1
	v_cmp_gt_i32_e32 vcc_lo, 32, v0
	v_cndmask_b32_e32 v0, v1, v0, vcc_lo
	v_cmp_gt_i32_e32 vcc_lo, 32, v3
	v_lshlrev_b32_e32 v0, 2, v0
	v_cndmask_b32_e32 v3, v1, v3, vcc_lo
	ds_bpermute_b32 v2, v0, v84
	s_waitcnt lgkmcnt(0)
	v_max_f32_e32 v5, v2, v2
	v_lshlrev_b32_e32 v2, 2, v3
	v_max_f32_e32 v4, v4, v5
	v_xor_b32_e32 v5, 4, v1
	ds_bpermute_b32 v3, v2, v4
	v_cmp_gt_i32_e32 vcc_lo, 32, v5
	v_cndmask_b32_e32 v5, v1, v5, vcc_lo
	s_waitcnt lgkmcnt(0)
	v_max_f32_e32 v6, v3, v3
	v_lshlrev_b32_e32 v3, 2, v5
	v_max_f32_e32 v4, v4, v6
	v_xor_b32_e32 v6, 2, v1
	ds_bpermute_b32 v5, v3, v4
	v_cmp_gt_i32_e32 vcc_lo, 32, v6
	v_cndmask_b32_e32 v6, v1, v6, vcc_lo
	v_lshlrev_b32_e32 v78, 2, v6
	v_xor_b32_e32 v6, 1, v1
	v_cmp_gt_i32_e32 vcc_lo, 32, v6
	s_waitcnt lgkmcnt(0)
	v_max_f32_e32 v5, v5, v5
	v_cndmask_b32_e32 v6, v1, v6, vcc_lo
	s_waitcnt vmcnt(3)
	v_cmp_eq_u32_e32 vcc_lo, 0, v110
	v_max_f32_e32 v4, v4, v5
	v_lshlrev_b32_e32 v77, 2, v6
	ds_bpermute_b32 v5, v78, v4
	s_waitcnt lgkmcnt(0)
	v_max_f32_e32 v5, v5, v5
	v_max_f32_e32 v1, v4, v5
	v_lshlrev_b32_e32 v4, 2, v109
	ds_bpermute_b32 v5, v77, v1
	s_and_saveexec_b32 s1, vcc_lo
	s_cbranch_execz .LBB159_10
; %bb.9:
	s_waitcnt lgkmcnt(0)
	v_max_f32_e32 v5, v5, v5
	v_max_f32_e32 v1, v1, v1
	;; [unrolled: 1-line block ×3, first 2 shown]
	ds_write_b32 v4, v1 offset:256
.LBB159_10:
	s_or_b32 exec_lo, exec_lo, s1
	v_cmp_gt_u32_e64 s1, 4, v110
	v_mov_b32_e32 v1, 0xff7fffff
	s_waitcnt vmcnt(0) lgkmcnt(0)
	s_waitcnt_vscnt null, 0x0
	s_barrier
	buffer_gl0_inv
	s_and_saveexec_b32 s2, s1
; %bb.11:
	ds_read_b32 v1, v19 offset:256
; %bb.12:
	s_or_b32 exec_lo, exec_lo, s2
	s_waitcnt lgkmcnt(0)
	ds_bpermute_b32 v5, v78, v1
	v_max_f32_e32 v1, v1, v1
	s_lshl_b32 s2, s12, 5
	s_min_i32 s4, s2, s11
	v_cmp_gt_i32_e64 s2, s4, v108
	s_waitcnt lgkmcnt(0)
	v_max_f32_e32 v5, v5, v5
	v_max_f32_e32 v1, v1, v5
	ds_bpermute_b32 v5, v77, v1
	s_waitcnt lgkmcnt(0)
	v_max_f32_e32 v5, v5, v5
	v_max_f32_e32 v1, v1, v5
	v_mov_b32_e32 v5, 0
	ds_bpermute_b32 v6, v5, v1
	v_lshl_add_u32 v1, v108, 2, 0x120
	s_and_saveexec_b32 s5, s2
	s_cbranch_execz .LBB159_16
; %bb.13:
	v_lshl_add_u32 v7, v108, 2, 0x120
	v_mov_b32_e32 v5, 0
	v_mov_b32_e32 v8, v108
	s_mov_b32 s15, 0
	.p2align	6
.LBB159_14:                             ; =>This Inner Loop Header: Depth=1
	ds_read_b32 v9, v7
	v_add_nc_u32_e32 v8, 0x80, v8
	v_cmp_le_i32_e64 s3, s4, v8
	s_or_b32 s15, s3, s15
	s_waitcnt lgkmcnt(0)
	v_sub_f32_e32 v9, v9, v6
	v_mul_f32_e32 v9, 0x3fb8aa3b, v9
	v_exp_f32_e32 v9, v9
	ds_write_b32 v7, v9
	v_add_f32_e32 v5, v5, v9
	v_add_nc_u32_e32 v7, 0x200, v7
	s_andn2_b32 exec_lo, exec_lo, s15
	s_cbranch_execnz .LBB159_14
; %bb.15:
	s_or_b32 exec_lo, exec_lo, s15
.LBB159_16:
	s_or_b32 exec_lo, exec_lo, s5
	ds_bpermute_b32 v0, v0, v5
	s_waitcnt lgkmcnt(0)
	v_add_f32_e32 v0, v5, v0
	ds_bpermute_b32 v2, v2, v0
	s_waitcnt lgkmcnt(0)
	v_add_f32_e32 v0, v0, v2
	;; [unrolled: 3-line block ×5, first 2 shown]
	s_and_saveexec_b32 s3, vcc_lo
; %bb.17:
	ds_write_b32 v4, v0 offset:272
; %bb.18:
	s_or_b32 exec_lo, exec_lo, s3
	s_waitcnt lgkmcnt(0)
	s_barrier
	buffer_gl0_inv
	s_and_saveexec_b32 s3, s1
; %bb.19:
	ds_read_b32 v0, v19 offset:272
; %bb.20:
	s_or_b32 exec_lo, exec_lo, s3
	s_waitcnt lgkmcnt(0)
	ds_bpermute_b32 v2, v78, v0
	s_waitcnt lgkmcnt(0)
	v_add_f32_e32 v0, v0, v2
	ds_bpermute_b32 v2, v77, v0
	s_waitcnt lgkmcnt(0)
	v_add_f32_e32 v0, v0, v2
	v_mov_b32_e32 v2, 0
	ds_bpermute_b32 v0, v2, v0
	s_and_saveexec_b32 s1, s2
	s_cbranch_execz .LBB159_23
; %bb.21:
	s_waitcnt lgkmcnt(0)
	v_add_f32_e32 v0, 0x358637bd, v0
	s_mov_b32 s2, 0
	v_div_scale_f32 v2, null, v0, v0, 1.0
	v_div_scale_f32 v5, vcc_lo, 1.0, v0, 1.0
	v_rcp_f32_e32 v3, v2
	v_fma_f32 v4, -v2, v3, 1.0
	v_fmac_f32_e32 v3, v4, v3
	v_mul_f32_e32 v4, v5, v3
	v_fma_f32 v6, -v2, v4, v5
	v_fmac_f32_e32 v4, v6, v3
	v_fma_f32 v2, -v2, v4, v5
	v_div_fmas_f32 v2, v2, v3, v4
	v_div_fixup_f32 v0, v2, v0, 1.0
	v_mov_b32_e32 v2, v108
.LBB159_22:                             ; =>This Inner Loop Header: Depth=1
	ds_read_b32 v3, v1
	v_add_nc_u32_e32 v2, 0x80, v2
	v_cmp_le_i32_e32 vcc_lo, s4, v2
	s_or_b32 s2, vcc_lo, s2
	s_waitcnt lgkmcnt(0)
	v_mul_f32_e32 v3, v0, v3
	ds_write_b32 v1, v3
	v_add_nc_u32_e32 v1, 0x200, v1
	s_andn2_b32 exec_lo, exec_lo, s2
	s_cbranch_execnz .LBB159_22
.LBB159_23:
	s_or_b32 exec_lo, exec_lo, s1
	v_mov_b32_e32 v93, 0
	v_and_b32_e32 v79, 3, v108
	v_mov_b32_e32 v95, 0
	v_mov_b32_e32 v94, 0
	;; [unrolled: 1-line block ×15, first 2 shown]
	s_waitcnt lgkmcnt(0)
	s_barrier
	buffer_gl0_inv
	s_and_saveexec_b32 s3, s0
	s_cbranch_execz .LBB159_59
; %bb.24:
	v_lshlrev_b32_e32 v0, 3, v108
	s_ashr_i32 s15, s14, 31
	v_and_b32_e32 v2, 0x1f0, v10
	s_lshl_b64 s[0:1], s[14:15], 1
	v_lshlrev_b32_e32 v1, 5, v79
	v_and_b32_e32 v0, 24, v0
	s_add_u32 s0, s20, s0
	s_addc_u32 s1, s21, s1
	v_add_co_u32 v97, s0, s0, v2
	v_lshl_or_b32 v99, v109, 5, v0
	v_and_b32_e32 v0, 0x7c, v18
	v_add_co_ci_u32_e64 v98, null, s1, 0, s0
	s_lshl_b64 s[0:1], s[22:23], 2
	s_add_i32 s4, s12, -1
	v_lshl_or_b32 v1, v109, 7, v1
	s_add_u32 s0, s18, s0
	s_addc_u32 s1, s19, s1
	v_add_co_u32 v73, s0, s0, v0
	v_mov_b32_e32 v96, 0
	v_add_nc_u32_e32 v100, 0x120, v1
	v_add_co_ci_u32_e64 v74, null, s1, 0, s0
	v_mov_b32_e32 v80, 0
	v_mov_b32_e32 v81, 0
	;; [unrolled: 1-line block ×17, first 2 shown]
	s_mov_b32 s5, s13
	s_mov_b32 s14, s11
	;; [unrolled: 1-line block ×3, first 2 shown]
	s_branch .LBB159_26
.LBB159_25:                             ;   in Loop: Header=BB159_26 Depth=1
	s_or_b32 exec_lo, exec_lo, s2
	s_waitcnt lgkmcnt(1)
	v_bfe_u32 v0, v49, 16, 1
	v_bfe_u32 v75, v50, 16, 1
	v_or_b32_e32 v76, 0x400000, v49
	v_cmp_u_f32_e32 vcc_lo, v49, v49
	v_or_b32_e32 v102, 0x400000, v50
	v_add3_u32 v0, v0, v49, 0x7fff
	v_bfe_u32 v103, v51, 16, 1
	v_add3_u32 v75, v75, v50, 0x7fff
	v_bfe_u32 v104, v52, 16, 1
	v_add_nc_u32_e32 v101, 4, v101
	v_cndmask_b32_e32 v49, v0, v76, vcc_lo
	v_cmp_u_f32_e32 vcc_lo, v50, v50
	v_add3_u32 v50, v103, v51, 0x7fff
	s_waitcnt lgkmcnt(0)
	v_bfe_u32 v76, v45, 16, 1
	v_or_b32_e32 v103, 0x400000, v52
	v_and_b32_e32 v49, 0xffff0000, v49
	v_cndmask_b32_e32 v0, v75, v102, vcc_lo
	v_or_b32_e32 v75, 0x400000, v51
	v_cmp_u_f32_e32 vcc_lo, v51, v51
	v_add3_u32 v102, v104, v52, 0x7fff
	v_add3_u32 v51, v76, v45, 0x7fff
	v_bfe_u32 v76, v46, 16, 1
	v_and_b32_e32 v0, 0xffff0000, v0
	v_cndmask_b32_e32 v50, v50, v75, vcc_lo
	v_cmp_u_f32_e32 vcc_lo, v52, v52
	v_or_b32_e32 v75, 0x400000, v45
	v_add3_u32 v76, v76, v46, 0x7fff
	v_add_co_u32 v73, s0, v73, 16
	v_cndmask_b32_e32 v52, v102, v103, vcc_lo
	v_cmp_u_f32_e32 vcc_lo, v45, v45
	v_bfe_u32 v45, v47, 16, 1
	v_or_b32_e32 v102, 0x400000, v46
	v_or_b32_e32 v103, 0x400000, v47
	v_add_nc_u32_e32 v99, 0x80, v99
	v_cndmask_b32_e32 v51, v51, v75, vcc_lo
	s_waitcnt vmcnt(1)
	v_and_b32_e32 v75, 0xffff0000, v69
	v_cmp_u_f32_e32 vcc_lo, v46, v46
	v_add3_u32 v45, v45, v47, 0x7fff
	v_bfe_u32 v46, v48, 16, 1
	v_and_b32_e32 v51, 0xffff0000, v51
	v_mul_f32_e32 v75, v0, v75
	v_cndmask_b32_e32 v76, v76, v102, vcc_lo
	v_cmp_u_f32_e32 vcc_lo, v47, v47
	v_lshlrev_b32_e32 v47, 16, v69
	v_add3_u32 v69, v46, v48, 0x7fff
	v_and_b32_e32 v46, 0xffff0000, v52
	v_and_b32_e32 v52, 0xffff0000, v70
	v_cndmask_b32_e32 v102, v45, v103, vcc_lo
	v_bfe_u32 v45, v75, 16, 1
	v_or_b32_e32 v103, 0x400000, v48
	v_mul_f32_e32 v47, v49, v47
	v_cmp_u_f32_e32 vcc_lo, v48, v48
	v_or_b32_e32 v104, 0x400000, v75
	v_add3_u32 v45, v45, v75, 0x7fff
	v_mul_f32_e32 v52, v46, v52
	v_and_b32_e32 v48, 0xffff0000, v50
	v_cndmask_b32_e32 v69, v69, v103, vcc_lo
	v_cmp_u_f32_e32 vcc_lo, v75, v75
	v_bfe_u32 v103, v47, 16, 1
	v_lshlrev_b32_e32 v50, 16, v70
	v_and_b32_e32 v70, 0xffff0000, v71
	v_lshlrev_b32_e32 v71, 16, v71
	v_cndmask_b32_e32 v75, v45, v104, vcc_lo
	v_and_b32_e32 v45, 0xffff0000, v76
	v_add3_u32 v76, v103, v47, 0x7fff
	v_or_b32_e32 v103, 0x400000, v47
	v_bfe_u32 v104, v52, 16, 1
	v_mul_f32_e32 v50, v48, v50
	v_cmp_u_f32_e32 vcc_lo, v47, v47
	v_mul_f32_e32 v70, v45, v70
	v_mul_f32_e32 v71, v51, v71
	v_add3_u32 v47, v104, v52, 0x7fff
	v_bfe_u32 v104, v50, 16, 1
	v_cndmask_b32_e32 v76, v76, v103, vcc_lo
	v_or_b32_e32 v103, 0x400000, v52
	v_cmp_u_f32_e32 vcc_lo, v52, v52
	v_bfe_u32 v105, v70, 16, 1
	v_or_b32_e32 v106, 0x400000, v70
	v_bfe_u32 v107, v71, 16, 1
	v_and_b32_e32 v76, 0xffff0000, v76
	v_cndmask_b32_e32 v52, v47, v103, vcc_lo
	v_add3_u32 v103, v104, v50, 0x7fff
	v_or_b32_e32 v104, 0x400000, v50
	v_cmp_u_f32_e32 vcc_lo, v50, v50
	v_add3_u32 v105, v105, v70, 0x7fff
	v_and_b32_e32 v47, 0xffff0000, v69
	v_and_b32_e32 v69, 0xffff0000, v72
	;; [unrolled: 1-line block ×3, first 2 shown]
	v_cndmask_b32_e32 v103, v103, v104, vcc_lo
	v_cmp_u_f32_e32 vcc_lo, v70, v70
	v_add3_u32 v104, v107, v71, 0x7fff
	v_mul_f32_e32 v69, v47, v69
	v_lshlrev_b32_e32 v72, 16, v72
	v_and_b32_e32 v75, 0xffff0000, v75
	v_cndmask_b32_e32 v70, v105, v106, vcc_lo
	v_or_b32_e32 v105, 0x400000, v71
	v_cmp_u_f32_e32 vcc_lo, v71, v71
	v_bfe_u32 v106, v69, 16, 1
	v_and_b32_e32 v103, 0xffff0000, v103
	v_and_b32_e32 v52, 0xffff0000, v52
	v_mul_f32_e32 v72, v50, v72
	v_cndmask_b32_e32 v71, v104, v105, vcc_lo
	v_add3_u32 v102, v106, v69, 0x7fff
	v_or_b32_e32 v104, 0x400000, v69
	v_cmp_u_f32_e32 vcc_lo, v69, v69
	v_add_f32_e32 v75, v76, v75
	v_add_f32_e32 v52, v103, v52
	v_and_b32_e32 v71, 0xffff0000, v71
	v_and_b32_e32 v76, 0xffff0000, v65
	;; [unrolled: 1-line block ×3, first 2 shown]
	v_cndmask_b32_e32 v69, v102, v104, vcc_lo
	v_bfe_u32 v102, v72, 16, 1
	v_add_f32_e32 v52, v52, v75
	v_mul_f32_e32 v75, v0, v76
	v_add_f32_e32 v70, v71, v70
	v_lshlrev_b32_e32 v65, 16, v65
	v_add3_u32 v102, v102, v72, 0x7fff
	v_or_b32_e32 v103, 0x400000, v72
	v_cmp_u_f32_e32 vcc_lo, v72, v72
	v_bfe_u32 v72, v75, 16, 1
	v_add_f32_e32 v52, v70, v52
	v_mul_f32_e32 v65, v49, v65
	v_and_b32_e32 v70, 0xffff0000, v66
	v_cndmask_b32_e32 v71, v102, v103, vcc_lo
	v_add3_u32 v72, v72, v75, 0x7fff
	v_or_b32_e32 v76, 0x400000, v75
	v_bfe_u32 v102, v65, 16, 1
	v_mul_f32_e32 v70, v46, v70
	v_lshlrev_b32_e32 v66, 16, v66
	v_cmp_u_f32_e32 vcc_lo, v75, v75
	v_and_b32_e32 v103, 0xffff0000, v67
	v_add3_u32 v75, v102, v65, 0x7fff
	v_bfe_u32 v102, v70, 16, 1
	v_mul_f32_e32 v66, v48, v66
	v_cndmask_b32_e32 v72, v72, v76, vcc_lo
	v_or_b32_e32 v76, 0x400000, v65
	v_cmp_u_f32_e32 vcc_lo, v65, v65
	v_mul_f32_e32 v103, v45, v103
	v_lshlrev_b32_e32 v67, 16, v67
	v_and_b32_e32 v104, 0xffff0000, v68
	v_lshlrev_b32_e32 v68, 16, v68
	v_cndmask_b32_e32 v65, v75, v76, vcc_lo
	v_add3_u32 v75, v102, v70, 0x7fff
	v_or_b32_e32 v76, 0x400000, v70
	v_bfe_u32 v102, v66, 16, 1
	v_cmp_u_f32_e32 vcc_lo, v70, v70
	v_mul_f32_e32 v67, v51, v67
	v_mul_f32_e32 v68, v50, v68
	v_and_b32_e32 v65, 0xffff0000, v65
	v_and_b32_e32 v72, 0xffff0000, v72
	v_cndmask_b32_e32 v70, v75, v76, vcc_lo
	v_add3_u32 v75, v102, v66, 0x7fff
	v_or_b32_e32 v76, 0x400000, v66
	v_bfe_u32 v102, v103, 16, 1
	v_cmp_u_f32_e32 vcc_lo, v66, v66
	v_or_b32_e32 v105, 0x400000, v67
	v_bfe_u32 v107, v68, 16, 1
	v_and_b32_e32 v70, 0xffff0000, v70
	v_add_f32_e32 v65, v65, v72
	v_cndmask_b32_e32 v66, v75, v76, vcc_lo
	v_bfe_u32 v75, v67, 16, 1
	v_add3_u32 v76, v102, v103, 0x7fff
	v_mul_f32_e32 v102, v47, v104
	v_or_b32_e32 v104, 0x400000, v103
	v_cmp_u_f32_e32 vcc_lo, v103, v103
	v_add3_u32 v75, v75, v67, 0x7fff
	v_add3_u32 v103, v107, v68, 0x7fff
	v_bfe_u32 v106, v102, 16, 1
	v_and_b32_e32 v66, 0xffff0000, v66
	v_cndmask_b32_e32 v76, v76, v104, vcc_lo
	v_cmp_u_f32_e32 vcc_lo, v67, v67
	v_or_b32_e32 v104, 0x400000, v68
	v_and_b32_e32 v71, 0xffff0000, v71
	v_add_f32_e32 v66, v66, v70
	v_and_b32_e32 v70, 0xffff0000, v76
	v_cndmask_b32_e32 v67, v75, v105, vcc_lo
	v_cmp_u_f32_e32 vcc_lo, v68, v68
	v_add3_u32 v75, v106, v102, 0x7fff
	v_or_b32_e32 v105, 0x400000, v102
	v_and_b32_e32 v69, 0xffff0000, v69
	v_and_b32_e32 v67, 0xffff0000, v67
	v_cndmask_b32_e32 v68, v103, v104, vcc_lo
	v_cmp_u_f32_e32 vcc_lo, v102, v102
	v_add_f32_e32 v65, v66, v65
	v_add_f32_e32 v69, v71, v69
	;; [unrolled: 1-line block ×3, first 2 shown]
	v_and_b32_e32 v67, 0xffff0000, v68
	v_cndmask_b32_e32 v72, v75, v105, vcc_lo
	v_and_b32_e32 v70, 0xffff0000, v61
	v_lshlrev_b32_e32 v61, 16, v61
	v_add_f32_e32 v65, v66, v65
	v_add_f32_e32 v52, v69, v52
	v_and_b32_e32 v68, 0xffff0000, v72
	v_add_nc_u32_e32 v100, 0x200, v100
	v_mul_f32_e32 v61, v49, v61
	v_add_co_ci_u32_e64 v74, null, 0, v74, s0
	v_add_f32_e32 v66, v67, v68
	v_mul_f32_e32 v67, v0, v70
	v_and_b32_e32 v68, 0xffff0000, v62
	v_add_f32_e32 v81, v81, v52
	v_bfe_u32 v52, v61, 16, 1
	v_add_f32_e32 v65, v66, v65
	v_bfe_u32 v66, v67, 16, 1
	v_mul_f32_e32 v68, v46, v68
	v_lshlrev_b32_e32 v62, 16, v62
	v_cmp_u_f32_e32 vcc_lo, v67, v67
	v_add_f32_e32 v82, v82, v65
	v_add3_u32 v65, v66, v67, 0x7fff
	v_or_b32_e32 v66, 0x400000, v67
	v_add3_u32 v52, v52, v61, 0x7fff
	v_or_b32_e32 v69, 0x400000, v61
	v_or_b32_e32 v67, 0x400000, v68
	v_and_b32_e32 v70, 0xffff0000, v64
	v_cndmask_b32_e32 v65, v65, v66, vcc_lo
	v_bfe_u32 v66, v68, 16, 1
	v_cmp_u_f32_e32 vcc_lo, v61, v61
	v_mul_f32_e32 v61, v48, v62
	v_and_b32_e32 v62, 0xffff0000, v63
	v_lshlrev_b32_e32 v63, 16, v63
	v_add3_u32 v66, v66, v68, 0x7fff
	v_cndmask_b32_e32 v52, v52, v69, vcc_lo
	v_bfe_u32 v69, v61, 16, 1
	v_mul_f32_e32 v62, v45, v62
	v_cmp_u_f32_e32 vcc_lo, v68, v68
	v_mul_f32_e32 v63, v51, v63
	v_or_b32_e32 v68, 0x400000, v61
	v_lshlrev_b32_e32 v64, 16, v64
	v_and_b32_e32 v52, 0xffff0000, v52
	v_cndmask_b32_e32 v66, v66, v67, vcc_lo
	v_add3_u32 v67, v69, v61, 0x7fff
	v_bfe_u32 v69, v62, 16, 1
	v_cmp_u_f32_e32 vcc_lo, v61, v61
	v_bfe_u32 v71, v63, 16, 1
	v_mul_f32_e32 v64, v50, v64
	v_and_b32_e32 v65, 0xffff0000, v65
	v_and_b32_e32 v66, 0xffff0000, v66
	v_cndmask_b32_e32 v61, v67, v68, vcc_lo
	v_add3_u32 v67, v69, v62, 0x7fff
	v_mul_f32_e32 v68, v47, v70
	v_or_b32_e32 v69, 0x400000, v62
	v_cmp_u_f32_e32 vcc_lo, v62, v62
	v_add3_u32 v70, v71, v63, 0x7fff
	v_or_b32_e32 v71, 0x400000, v63
	v_bfe_u32 v72, v68, 16, 1
	v_and_b32_e32 v61, 0xffff0000, v61
	v_cndmask_b32_e32 v62, v67, v69, vcc_lo
	v_cmp_u_f32_e32 vcc_lo, v63, v63
	v_or_b32_e32 v69, 0x400000, v68
	v_add3_u32 v67, v72, v68, 0x7fff
	v_add_f32_e32 v52, v52, v65
	v_add_f32_e32 v61, v61, v66
	v_cndmask_b32_e32 v63, v70, v71, vcc_lo
	v_bfe_u32 v70, v64, 16, 1
	v_cmp_u_f32_e32 vcc_lo, v68, v68
	v_and_b32_e32 v65, 0xffff0000, v57
	v_and_b32_e32 v62, 0xffff0000, v62
	;; [unrolled: 1-line block ×3, first 2 shown]
	v_add3_u32 v68, v70, v64, 0x7fff
	v_cndmask_b32_e32 v67, v67, v69, vcc_lo
	v_or_b32_e32 v69, 0x400000, v64
	v_cmp_u_f32_e32 vcc_lo, v64, v64
	v_add_f32_e32 v52, v61, v52
	v_mul_f32_e32 v61, v0, v65
	v_add_f32_e32 v62, v63, v62
	v_lshlrev_b32_e32 v57, 16, v57
	v_cndmask_b32_e32 v64, v68, v69, vcc_lo
	v_and_b32_e32 v68, 0xffff0000, v60
	v_bfe_u32 v65, v61, 16, 1
	v_add_f32_e32 v52, v62, v52
	v_mul_f32_e32 v57, v49, v57
	v_and_b32_e32 v63, 0xffff0000, v64
	v_and_b32_e32 v64, 0xffff0000, v67
	;; [unrolled: 1-line block ×3, first 2 shown]
	v_lshlrev_b32_e32 v58, 16, v58
	v_bfe_u32 v66, v57, 16, 1
	v_cmp_u_f32_e32 vcc_lo, v61, v61
	v_add_f32_e32 v63, v63, v64
	v_add3_u32 v64, v65, v61, 0x7fff
	v_or_b32_e32 v65, 0x400000, v61
	v_mul_f32_e32 v62, v46, v62
	v_mul_f32_e32 v58, v48, v58
	v_and_b32_e32 v67, 0xffff0000, v59
	v_lshlrev_b32_e32 v59, 16, v59
	v_cndmask_b32_e32 v61, v64, v65, vcc_lo
	v_add3_u32 v64, v66, v57, 0x7fff
	v_or_b32_e32 v65, 0x400000, v57
	v_bfe_u32 v66, v62, 16, 1
	v_cmp_u_f32_e32 vcc_lo, v57, v57
	v_mul_f32_e32 v67, v45, v67
	v_mul_f32_e32 v59, v51, v59
	v_lshlrev_b32_e32 v60, 16, v60
	v_and_b32_e32 v61, 0xffff0000, v61
	v_cndmask_b32_e32 v57, v64, v65, vcc_lo
	v_add3_u32 v64, v66, v62, 0x7fff
	v_or_b32_e32 v65, 0x400000, v62
	v_bfe_u32 v66, v58, 16, 1
	v_cmp_u_f32_e32 vcc_lo, v62, v62
	v_mul_f32_e32 v60, v50, v60
	v_or_b32_e32 v69, 0x400000, v59
	v_and_b32_e32 v57, 0xffff0000, v57
	v_add_f32_e32 v52, v63, v52
	v_cndmask_b32_e32 v62, v64, v65, vcc_lo
	v_add3_u32 v64, v66, v58, 0x7fff
	v_or_b32_e32 v65, 0x400000, v58
	v_bfe_u32 v66, v67, 16, 1
	v_cmp_u_f32_e32 vcc_lo, v58, v58
	v_and_b32_e32 v62, 0xffff0000, v62
	v_add_f32_e32 v57, v57, v61
	v_add_f32_e32 v83, v83, v52
	v_cndmask_b32_e32 v58, v64, v65, vcc_lo
	v_bfe_u32 v64, v59, 16, 1
	v_add3_u32 v65, v66, v67, 0x7fff
	v_mul_f32_e32 v66, v47, v68
	v_or_b32_e32 v68, 0x400000, v67
	v_cmp_u_f32_e32 vcc_lo, v67, v67
	v_add3_u32 v64, v64, v59, 0x7fff
	v_bfe_u32 v67, v60, 16, 1
	v_bfe_u32 v70, v66, 16, 1
	v_and_b32_e32 v58, 0xffff0000, v58
	v_cndmask_b32_e32 v65, v65, v68, vcc_lo
	v_cmp_u_f32_e32 vcc_lo, v59, v59
	v_add3_u32 v67, v67, v60, 0x7fff
	v_or_b32_e32 v68, 0x400000, v66
	v_add_f32_e32 v58, v58, v62
	v_and_b32_e32 v61, 0xffff0000, v65
	v_cndmask_b32_e32 v59, v64, v69, vcc_lo
	v_or_b32_e32 v69, 0x400000, v60
	v_cmp_u_f32_e32 vcc_lo, v60, v60
	v_add3_u32 v64, v70, v66, 0x7fff
	v_add_f32_e32 v57, v58, v57
	v_and_b32_e32 v59, 0xffff0000, v59
	v_cndmask_b32_e32 v60, v67, v69, vcc_lo
	v_cmp_u_f32_e32 vcc_lo, v66, v66
	v_add_f32_e32 v58, v59, v61
	v_and_b32_e32 v59, 0xffff0000, v53
	v_and_b32_e32 v60, 0xffff0000, v60
	v_cndmask_b32_e32 v62, v64, v68, vcc_lo
	v_lshlrev_b32_e32 v53, 16, v53
	v_add_f32_e32 v57, v58, v57
	v_mul_f32_e32 v59, v0, v59
	v_and_b32_e32 v61, 0xffff0000, v62
	v_mul_f32_e32 v53, v49, v53
	v_cmp_u_f32_e32 vcc_lo, v59, v59
	v_add_f32_e32 v58, v60, v61
	v_and_b32_e32 v60, 0xffff0000, v54
	v_bfe_u32 v61, v59, 16, 1
	v_bfe_u32 v52, v53, 16, 1
	v_lshlrev_b32_e32 v54, 16, v54
	v_add_f32_e32 v57, v58, v57
	v_mul_f32_e32 v58, v46, v60
	v_add3_u32 v60, v61, v59, 0x7fff
	v_or_b32_e32 v61, 0x400000, v59
	v_add3_u32 v52, v52, v53, 0x7fff
	v_or_b32_e32 v62, 0x400000, v53
	v_bfe_u32 v63, v58, 16, 1
	v_add_f32_e32 v84, v84, v57
	v_cndmask_b32_e32 v59, v60, v61, vcc_lo
	v_cmp_u_f32_e32 vcc_lo, v53, v53
	v_mul_f32_e32 v53, v48, v54
	v_and_b32_e32 v61, 0xffff0000, v55
	v_add3_u32 v54, v63, v58, 0x7fff
	v_or_b32_e32 v60, 0x400000, v58
	v_cndmask_b32_e32 v52, v52, v62, vcc_lo
	v_lshlrev_b32_e32 v55, 16, v55
	v_bfe_u32 v62, v53, 16, 1
	v_cmp_u_f32_e32 vcc_lo, v58, v58
	v_mul_f32_e32 v58, v45, v61
	v_or_b32_e32 v61, 0x400000, v53
	v_mul_f32_e32 v55, v51, v55
	v_and_b32_e32 v52, 0xffff0000, v52
	v_cndmask_b32_e32 v54, v54, v60, vcc_lo
	v_add3_u32 v60, v62, v53, 0x7fff
	v_and_b32_e32 v62, 0xffff0000, v56
	v_bfe_u32 v63, v58, 16, 1
	v_cmp_u_f32_e32 vcc_lo, v53, v53
	v_bfe_u32 v64, v55, 16, 1
	v_lshlrev_b32_e32 v56, 16, v56
	v_and_b32_e32 v59, 0xffff0000, v59
	v_and_b32_e32 v54, 0xffff0000, v54
	v_cndmask_b32_e32 v53, v60, v61, vcc_lo
	v_mul_f32_e32 v60, v47, v62
	v_add3_u32 v61, v63, v58, 0x7fff
	v_or_b32_e32 v62, 0x400000, v58
	v_cmp_u_f32_e32 vcc_lo, v58, v58
	v_add3_u32 v63, v64, v55, 0x7fff
	v_or_b32_e32 v64, 0x400000, v55
	v_bfe_u32 v65, v60, 16, 1
	v_and_b32_e32 v53, 0xffff0000, v53
	v_cndmask_b32_e32 v58, v61, v62, vcc_lo
	v_cmp_u_f32_e32 vcc_lo, v55, v55
	v_or_b32_e32 v62, 0x400000, v60
	v_add3_u32 v61, v65, v60, 0x7fff
	v_mul_f32_e32 v56, v50, v56
	v_add_f32_e32 v52, v52, v59
	v_cndmask_b32_e32 v55, v63, v64, vcc_lo
	v_cmp_u_f32_e32 vcc_lo, v60, v60
	v_add_f32_e32 v53, v53, v54
	v_and_b32_e32 v58, 0xffff0000, v58
	v_and_b32_e32 v54, 0xffff0000, v55
	;; [unrolled: 1-line block ×3, first 2 shown]
	v_cndmask_b32_e32 v60, v61, v62, vcc_lo
	v_bfe_u32 v61, v56, 16, 1
	v_add_f32_e32 v52, v53, v52
	v_add_f32_e32 v54, v54, v58
	v_mul_f32_e32 v53, v0, v55
	v_lshlrev_b32_e32 v41, 16, v41
	v_add3_u32 v59, v61, v56, 0x7fff
	v_or_b32_e32 v61, 0x400000, v56
	v_cmp_u_f32_e32 vcc_lo, v56, v56
	v_bfe_u32 v56, v53, 16, 1
	v_add_f32_e32 v52, v54, v52
	v_mul_f32_e32 v41, v49, v41
	v_and_b32_e32 v54, 0xffff0000, v42
	v_cndmask_b32_e32 v55, v59, v61, vcc_lo
	v_add3_u32 v56, v56, v53, 0x7fff
	v_or_b32_e32 v58, 0x400000, v53
	v_bfe_u32 v59, v41, 16, 1
	v_mul_f32_e32 v54, v46, v54
	v_lshlrev_b32_e32 v42, 16, v42
	v_cmp_u_f32_e32 vcc_lo, v53, v53
	v_and_b32_e32 v61, 0xffff0000, v43
	v_lshlrev_b32_e32 v43, 16, v43
	v_and_b32_e32 v62, 0xffff0000, v44
	v_mul_f32_e32 v42, v48, v42
	v_cndmask_b32_e32 v53, v56, v58, vcc_lo
	v_add3_u32 v56, v59, v41, 0x7fff
	v_or_b32_e32 v58, 0x400000, v41
	v_bfe_u32 v59, v54, 16, 1
	v_cmp_u_f32_e32 vcc_lo, v41, v41
	v_mul_f32_e32 v61, v45, v61
	v_mul_f32_e32 v43, v51, v43
	v_lshlrev_b32_e32 v44, 16, v44
	v_and_b32_e32 v53, 0xffff0000, v53
	v_cndmask_b32_e32 v41, v56, v58, vcc_lo
	v_add3_u32 v56, v59, v54, 0x7fff
	v_or_b32_e32 v58, 0x400000, v54
	v_bfe_u32 v59, v42, 16, 1
	v_cmp_u_f32_e32 vcc_lo, v54, v54
	v_mul_f32_e32 v44, v50, v44
	v_or_b32_e32 v63, 0x400000, v43
	v_and_b32_e32 v41, 0xffff0000, v41
	v_and_b32_e32 v55, 0xffff0000, v55
	v_cndmask_b32_e32 v54, v56, v58, vcc_lo
	v_add3_u32 v56, v59, v42, 0x7fff
	v_or_b32_e32 v58, 0x400000, v42
	v_bfe_u32 v59, v61, 16, 1
	v_cmp_u_f32_e32 vcc_lo, v42, v42
	v_bfe_u32 v65, v44, 16, 1
	v_and_b32_e32 v54, 0xffff0000, v54
	v_add_f32_e32 v41, v41, v53
	v_cndmask_b32_e32 v42, v56, v58, vcc_lo
	v_bfe_u32 v56, v43, 16, 1
	v_add3_u32 v58, v59, v61, 0x7fff
	v_mul_f32_e32 v59, v47, v62
	v_or_b32_e32 v62, 0x400000, v61
	v_cmp_u_f32_e32 vcc_lo, v61, v61
	v_add3_u32 v56, v56, v43, 0x7fff
	v_add3_u32 v61, v65, v44, 0x7fff
	v_bfe_u32 v64, v59, 16, 1
	v_and_b32_e32 v42, 0xffff0000, v42
	v_cndmask_b32_e32 v58, v58, v62, vcc_lo
	v_cmp_u_f32_e32 vcc_lo, v43, v43
	v_or_b32_e32 v62, 0x400000, v44
	v_add_f32_e32 v42, v42, v54
	v_and_b32_e32 v53, 0xffff0000, v58
	v_cndmask_b32_e32 v43, v56, v63, vcc_lo
	v_cmp_u_f32_e32 vcc_lo, v44, v44
	v_add3_u32 v56, v64, v59, 0x7fff
	v_or_b32_e32 v63, 0x400000, v59
	v_add_f32_e32 v41, v42, v41
	v_and_b32_e32 v43, 0xffff0000, v43
	v_cndmask_b32_e32 v44, v61, v62, vcc_lo
	v_cmp_u_f32_e32 vcc_lo, v59, v59
	v_add_f32_e32 v42, v43, v53
	v_and_b32_e32 v43, 0xffff0000, v44
	v_cndmask_b32_e32 v54, v56, v63, vcc_lo
	v_and_b32_e32 v56, 0xffff0000, v60
	v_and_b32_e32 v53, 0xffff0000, v37
	v_lshlrev_b32_e32 v37, 16, v37
	v_add_f32_e32 v41, v42, v41
	v_and_b32_e32 v44, 0xffff0000, v54
	v_add_f32_e32 v54, v55, v56
	v_mul_f32_e32 v37, v49, v37
	v_add_f32_e32 v42, v43, v44
	v_mul_f32_e32 v43, v0, v53
	v_add_f32_e32 v44, v54, v52
	v_and_b32_e32 v52, 0xffff0000, v38
	v_lshlrev_b32_e32 v38, 16, v38
	v_add_f32_e32 v41, v42, v41
	v_bfe_u32 v42, v43, 16, 1
	v_add_f32_e32 v85, v85, v44
	v_bfe_u32 v44, v37, 16, 1
	v_mul_f32_e32 v52, v46, v52
	v_add_f32_e32 v86, v86, v41
	v_add3_u32 v41, v42, v43, 0x7fff
	v_or_b32_e32 v42, 0x400000, v43
	v_cmp_u_f32_e32 vcc_lo, v43, v43
	v_add3_u32 v44, v44, v37, 0x7fff
	v_or_b32_e32 v53, 0x400000, v37
	v_mul_f32_e32 v38, v48, v38
	v_and_b32_e32 v43, 0xffff0000, v39
	v_cndmask_b32_e32 v41, v41, v42, vcc_lo
	v_bfe_u32 v42, v52, 16, 1
	v_cmp_u_f32_e32 vcc_lo, v37, v37
	v_lshlrev_b32_e32 v39, 16, v39
	v_mul_f32_e32 v43, v45, v43
	v_and_b32_e32 v54, 0xffff0000, v40
	v_add3_u32 v42, v42, v52, 0x7fff
	v_cndmask_b32_e32 v37, v44, v53, vcc_lo
	v_or_b32_e32 v44, 0x400000, v52
	v_bfe_u32 v53, v38, 16, 1
	v_cmp_u_f32_e32 vcc_lo, v52, v52
	v_mul_f32_e32 v39, v51, v39
	v_or_b32_e32 v52, 0x400000, v38
	v_lshlrev_b32_e32 v40, 16, v40
	v_and_b32_e32 v37, 0xffff0000, v37
	v_cndmask_b32_e32 v42, v42, v44, vcc_lo
	v_add3_u32 v44, v53, v38, 0x7fff
	v_bfe_u32 v53, v43, 16, 1
	v_cmp_u_f32_e32 vcc_lo, v38, v38
	v_bfe_u32 v55, v39, 16, 1
	v_mul_f32_e32 v40, v50, v40
	v_and_b32_e32 v41, 0xffff0000, v41
	v_and_b32_e32 v42, 0xffff0000, v42
	v_cndmask_b32_e32 v38, v44, v52, vcc_lo
	v_add3_u32 v44, v53, v43, 0x7fff
	v_mul_f32_e32 v52, v47, v54
	v_or_b32_e32 v53, 0x400000, v43
	v_cmp_u_f32_e32 vcc_lo, v43, v43
	v_add3_u32 v54, v55, v39, 0x7fff
	v_or_b32_e32 v55, 0x400000, v39
	v_bfe_u32 v56, v52, 16, 1
	v_and_b32_e32 v38, 0xffff0000, v38
	v_cndmask_b32_e32 v43, v44, v53, vcc_lo
	v_cmp_u_f32_e32 vcc_lo, v39, v39
	v_or_b32_e32 v53, 0x400000, v52
	v_add3_u32 v44, v56, v52, 0x7fff
	v_add_f32_e32 v37, v37, v41
	v_add_f32_e32 v38, v38, v42
	v_cndmask_b32_e32 v39, v54, v55, vcc_lo
	v_bfe_u32 v54, v40, 16, 1
	v_cmp_u_f32_e32 vcc_lo, v52, v52
	v_and_b32_e32 v41, 0xffff0000, v33
	v_and_b32_e32 v42, 0xffff0000, v43
	;; [unrolled: 1-line block ×3, first 2 shown]
	v_add3_u32 v52, v54, v40, 0x7fff
	v_cndmask_b32_e32 v44, v44, v53, vcc_lo
	v_or_b32_e32 v53, 0x400000, v40
	v_cmp_u_f32_e32 vcc_lo, v40, v40
	v_add_f32_e32 v37, v38, v37
	v_mul_f32_e32 v38, v0, v41
	v_add_f32_e32 v39, v39, v42
	v_lshlrev_b32_e32 v33, 16, v33
	v_cndmask_b32_e32 v40, v52, v53, vcc_lo
	v_and_b32_e32 v41, 0xffff0000, v44
	v_bfe_u32 v42, v38, 16, 1
	v_add_f32_e32 v37, v39, v37
	v_mul_f32_e32 v33, v49, v33
	v_and_b32_e32 v40, 0xffff0000, v40
	v_and_b32_e32 v39, 0xffff0000, v34
	v_lshlrev_b32_e32 v34, 16, v34
	v_cmp_u_f32_e32 vcc_lo, v38, v38
	v_bfe_u32 v43, v33, 16, 1
	v_add_f32_e32 v40, v40, v41
	v_add3_u32 v41, v42, v38, 0x7fff
	v_or_b32_e32 v42, 0x400000, v38
	v_mul_f32_e32 v39, v46, v39
	v_mul_f32_e32 v34, v48, v34
	v_and_b32_e32 v44, 0xffff0000, v35
	v_lshlrev_b32_e32 v35, 16, v35
	v_cndmask_b32_e32 v38, v41, v42, vcc_lo
	v_add3_u32 v41, v43, v33, 0x7fff
	v_or_b32_e32 v42, 0x400000, v33
	v_bfe_u32 v43, v39, 16, 1
	v_cmp_u_f32_e32 vcc_lo, v33, v33
	v_mul_f32_e32 v44, v45, v44
	v_mul_f32_e32 v35, v51, v35
	v_and_b32_e32 v52, 0xffff0000, v36
	v_lshlrev_b32_e32 v36, 16, v36
	v_cndmask_b32_e32 v33, v41, v42, vcc_lo
	v_add3_u32 v41, v43, v39, 0x7fff
	v_or_b32_e32 v42, 0x400000, v39
	v_bfe_u32 v43, v34, 16, 1
	v_cmp_u_f32_e32 vcc_lo, v39, v39
	v_mul_f32_e32 v36, v50, v36
	v_or_b32_e32 v53, 0x400000, v35
	v_and_b32_e32 v33, 0xffff0000, v33
	v_and_b32_e32 v38, 0xffff0000, v38
	v_cndmask_b32_e32 v39, v41, v42, vcc_lo
	v_add3_u32 v41, v43, v34, 0x7fff
	v_or_b32_e32 v42, 0x400000, v34
	v_bfe_u32 v43, v44, 16, 1
	v_cmp_u_f32_e32 vcc_lo, v34, v34
	v_and_b32_e32 v39, 0xffff0000, v39
	v_add_f32_e32 v33, v33, v38
	v_add_f32_e32 v37, v40, v37
	v_cndmask_b32_e32 v34, v41, v42, vcc_lo
	v_bfe_u32 v41, v35, 16, 1
	v_add3_u32 v42, v43, v44, 0x7fff
	v_mul_f32_e32 v43, v47, v52
	v_or_b32_e32 v52, 0x400000, v44
	v_cmp_u_f32_e32 vcc_lo, v44, v44
	v_add3_u32 v41, v41, v35, 0x7fff
	v_bfe_u32 v44, v36, 16, 1
	v_bfe_u32 v54, v43, 16, 1
	v_and_b32_e32 v34, 0xffff0000, v34
	v_cndmask_b32_e32 v42, v42, v52, vcc_lo
	v_cmp_u_f32_e32 vcc_lo, v35, v35
	v_add3_u32 v44, v44, v36, 0x7fff
	v_or_b32_e32 v52, 0x400000, v43
	v_add_f32_e32 v34, v34, v39
	v_and_b32_e32 v38, 0xffff0000, v42
	v_cndmask_b32_e32 v35, v41, v53, vcc_lo
	v_or_b32_e32 v53, 0x400000, v36
	v_cmp_u_f32_e32 vcc_lo, v36, v36
	v_add3_u32 v41, v54, v43, 0x7fff
	v_add_f32_e32 v33, v34, v33
	v_and_b32_e32 v35, 0xffff0000, v35
	v_add_f32_e32 v87, v87, v37
	v_cndmask_b32_e32 v36, v44, v53, vcc_lo
	v_cmp_u_f32_e32 vcc_lo, v43, v43
	v_add_f32_e32 v34, v35, v38
	v_and_b32_e32 v35, 0xffff0000, v29
	v_and_b32_e32 v36, 0xffff0000, v36
	v_cndmask_b32_e32 v39, v41, v52, vcc_lo
	v_lshlrev_b32_e32 v29, 16, v29
	v_add_f32_e32 v33, v34, v33
	v_mul_f32_e32 v35, v0, v35
	v_and_b32_e32 v38, 0xffff0000, v39
	v_mul_f32_e32 v29, v49, v29
	v_cmp_u_f32_e32 vcc_lo, v35, v35
	v_add_f32_e32 v34, v36, v38
	v_and_b32_e32 v36, 0xffff0000, v30
	v_bfe_u32 v38, v35, 16, 1
	v_bfe_u32 v37, v29, 16, 1
	v_or_b32_e32 v39, 0x400000, v29
	v_add_f32_e32 v33, v34, v33
	v_mul_f32_e32 v34, v46, v36
	v_add3_u32 v36, v38, v35, 0x7fff
	v_or_b32_e32 v38, 0x400000, v35
	v_add3_u32 v37, v37, v29, 0x7fff
	v_lshlrev_b32_e32 v30, 16, v30
	v_bfe_u32 v40, v34, 16, 1
	v_add_f32_e32 v88, v88, v33
	v_cndmask_b32_e32 v35, v36, v38, vcc_lo
	v_cmp_u_f32_e32 vcc_lo, v29, v29
	v_mul_f32_e32 v30, v48, v30
	v_add3_u32 v36, v40, v34, 0x7fff
	v_and_b32_e32 v38, 0xffff0000, v31
	v_lshlrev_b32_e32 v31, 16, v31
	v_cndmask_b32_e32 v29, v37, v39, vcc_lo
	v_or_b32_e32 v37, 0x400000, v34
	v_cmp_u_f32_e32 vcc_lo, v34, v34
	v_bfe_u32 v39, v30, 16, 1
	v_mul_f32_e32 v31, v51, v31
	v_and_b32_e32 v29, 0xffff0000, v29
	v_and_b32_e32 v35, 0xffff0000, v35
	v_cndmask_b32_e32 v34, v36, v37, vcc_lo
	v_mul_f32_e32 v36, v45, v38
	v_add3_u32 v37, v39, v30, 0x7fff
	v_or_b32_e32 v38, 0x400000, v30
	v_and_b32_e32 v39, 0xffff0000, v32
	v_cmp_u_f32_e32 vcc_lo, v30, v30
	v_bfe_u32 v40, v36, 16, 1
	v_bfe_u32 v41, v31, 16, 1
	v_lshlrev_b32_e32 v32, 16, v32
	v_and_b32_e32 v34, 0xffff0000, v34
	v_cndmask_b32_e32 v30, v37, v38, vcc_lo
	v_mul_f32_e32 v37, v47, v39
	v_add3_u32 v38, v40, v36, 0x7fff
	v_or_b32_e32 v39, 0x400000, v36
	v_cmp_u_f32_e32 vcc_lo, v36, v36
	v_add3_u32 v40, v41, v31, 0x7fff
	v_or_b32_e32 v41, 0x400000, v31
	v_bfe_u32 v42, v37, 16, 1
	v_and_b32_e32 v30, 0xffff0000, v30
	v_cndmask_b32_e32 v36, v38, v39, vcc_lo
	v_cmp_u_f32_e32 vcc_lo, v31, v31
	v_or_b32_e32 v39, 0x400000, v37
	v_add3_u32 v38, v42, v37, 0x7fff
	v_mul_f32_e32 v32, v50, v32
	v_add_f32_e32 v29, v29, v35
	v_cndmask_b32_e32 v31, v40, v41, vcc_lo
	v_cmp_u_f32_e32 vcc_lo, v37, v37
	v_add_f32_e32 v30, v30, v34
	v_and_b32_e32 v34, 0xffff0000, v25
	v_and_b32_e32 v35, 0xffff0000, v36
	;; [unrolled: 1-line block ×3, first 2 shown]
	v_cndmask_b32_e32 v37, v38, v39, vcc_lo
	v_bfe_u32 v38, v32, 16, 1
	v_add_f32_e32 v29, v30, v29
	v_mul_f32_e32 v30, v0, v34
	v_add_f32_e32 v31, v31, v35
	v_lshlrev_b32_e32 v25, 16, v25
	v_add3_u32 v36, v38, v32, 0x7fff
	v_or_b32_e32 v38, 0x400000, v32
	v_cmp_u_f32_e32 vcc_lo, v32, v32
	v_bfe_u32 v34, v30, 16, 1
	v_add_f32_e32 v29, v31, v29
	v_mul_f32_e32 v25, v49, v25
	v_and_b32_e32 v31, 0xffff0000, v26
	v_cndmask_b32_e32 v32, v36, v38, vcc_lo
	v_add3_u32 v34, v34, v30, 0x7fff
	v_or_b32_e32 v35, 0x400000, v30
	v_bfe_u32 v36, v25, 16, 1
	v_mul_f32_e32 v31, v46, v31
	v_lshlrev_b32_e32 v26, 16, v26
	v_cmp_u_f32_e32 vcc_lo, v30, v30
	v_and_b32_e32 v38, 0xffff0000, v27
	v_lshlrev_b32_e32 v27, 16, v27
	v_and_b32_e32 v39, 0xffff0000, v28
	v_mul_f32_e32 v26, v48, v26
	v_cndmask_b32_e32 v30, v34, v35, vcc_lo
	v_add3_u32 v34, v36, v25, 0x7fff
	v_or_b32_e32 v35, 0x400000, v25
	v_bfe_u32 v36, v31, 16, 1
	v_cmp_u_f32_e32 vcc_lo, v25, v25
	v_mul_f32_e32 v38, v45, v38
	v_mul_f32_e32 v27, v51, v27
	v_lshlrev_b32_e32 v28, 16, v28
	v_and_b32_e32 v30, 0xffff0000, v30
	v_cndmask_b32_e32 v25, v34, v35, vcc_lo
	v_add3_u32 v34, v36, v31, 0x7fff
	v_or_b32_e32 v35, 0x400000, v31
	v_bfe_u32 v36, v26, 16, 1
	v_cmp_u_f32_e32 vcc_lo, v31, v31
	v_mul_f32_e32 v28, v50, v28
	v_or_b32_e32 v40, 0x400000, v27
	v_and_b32_e32 v25, 0xffff0000, v25
	v_and_b32_e32 v32, 0xffff0000, v32
	v_cndmask_b32_e32 v31, v34, v35, vcc_lo
	v_add3_u32 v34, v36, v26, 0x7fff
	v_or_b32_e32 v35, 0x400000, v26
	v_bfe_u32 v36, v38, 16, 1
	v_cmp_u_f32_e32 vcc_lo, v26, v26
	v_bfe_u32 v42, v28, 16, 1
	v_and_b32_e32 v31, 0xffff0000, v31
	v_add_f32_e32 v25, v25, v30
	v_cndmask_b32_e32 v26, v34, v35, vcc_lo
	v_bfe_u32 v34, v27, 16, 1
	v_add3_u32 v35, v36, v38, 0x7fff
	v_mul_f32_e32 v36, v47, v39
	v_or_b32_e32 v39, 0x400000, v38
	v_cmp_u_f32_e32 vcc_lo, v38, v38
	v_add3_u32 v34, v34, v27, 0x7fff
	v_add3_u32 v38, v42, v28, 0x7fff
	v_bfe_u32 v41, v36, 16, 1
	v_and_b32_e32 v26, 0xffff0000, v26
	v_cndmask_b32_e32 v35, v35, v39, vcc_lo
	v_cmp_u_f32_e32 vcc_lo, v27, v27
	v_or_b32_e32 v39, 0x400000, v28
	v_add_f32_e32 v26, v26, v31
	v_and_b32_e32 v30, 0xffff0000, v35
	v_cndmask_b32_e32 v27, v34, v40, vcc_lo
	v_cmp_u_f32_e32 vcc_lo, v28, v28
	v_add3_u32 v34, v41, v36, 0x7fff
	v_or_b32_e32 v40, 0x400000, v36
	v_add_f32_e32 v25, v26, v25
	v_and_b32_e32 v27, 0xffff0000, v27
	v_cndmask_b32_e32 v28, v38, v39, vcc_lo
	v_cmp_u_f32_e32 vcc_lo, v36, v36
	v_add_f32_e32 v26, v27, v30
	v_and_b32_e32 v27, 0xffff0000, v28
	v_cndmask_b32_e32 v31, v34, v40, vcc_lo
	v_and_b32_e32 v34, 0xffff0000, v37
	v_and_b32_e32 v30, 0xffff0000, v17
	v_lshlrev_b32_e32 v17, 16, v17
	v_add_f32_e32 v25, v26, v25
	v_and_b32_e32 v28, 0xffff0000, v31
	v_add_f32_e32 v31, v32, v34
	v_mul_f32_e32 v17, v49, v17
	v_add_f32_e32 v26, v27, v28
	v_mul_f32_e32 v27, v0, v30
	v_add_f32_e32 v28, v31, v29
	v_and_b32_e32 v29, 0xffff0000, v18
	v_lshlrev_b32_e32 v18, 16, v18
	v_add_f32_e32 v25, v26, v25
	v_bfe_u32 v26, v27, 16, 1
	v_add_f32_e32 v89, v89, v28
	v_bfe_u32 v28, v17, 16, 1
	v_mul_f32_e32 v29, v46, v29
	v_add_f32_e32 v90, v90, v25
	v_add3_u32 v25, v26, v27, 0x7fff
	v_or_b32_e32 v26, 0x400000, v27
	v_cmp_u_f32_e32 vcc_lo, v27, v27
	v_add3_u32 v28, v28, v17, 0x7fff
	v_or_b32_e32 v30, 0x400000, v17
	v_mul_f32_e32 v18, v48, v18
	v_and_b32_e32 v27, 0xffff0000, v19
	v_cndmask_b32_e32 v25, v25, v26, vcc_lo
	v_bfe_u32 v26, v29, 16, 1
	v_cmp_u_f32_e32 vcc_lo, v17, v17
	v_lshlrev_b32_e32 v19, 16, v19
	v_mul_f32_e32 v27, v45, v27
	v_and_b32_e32 v31, 0xffff0000, v20
	v_add3_u32 v26, v26, v29, 0x7fff
	v_cndmask_b32_e32 v17, v28, v30, vcc_lo
	v_or_b32_e32 v28, 0x400000, v29
	v_bfe_u32 v30, v18, 16, 1
	v_cmp_u_f32_e32 vcc_lo, v29, v29
	v_mul_f32_e32 v19, v51, v19
	v_or_b32_e32 v29, 0x400000, v18
	v_lshlrev_b32_e32 v20, 16, v20
	v_and_b32_e32 v17, 0xffff0000, v17
	v_cndmask_b32_e32 v26, v26, v28, vcc_lo
	v_add3_u32 v28, v30, v18, 0x7fff
	v_bfe_u32 v30, v27, 16, 1
	v_cmp_u_f32_e32 vcc_lo, v18, v18
	v_bfe_u32 v32, v19, 16, 1
	v_mul_f32_e32 v20, v50, v20
	v_and_b32_e32 v25, 0xffff0000, v25
	v_and_b32_e32 v26, 0xffff0000, v26
	v_cndmask_b32_e32 v18, v28, v29, vcc_lo
	v_add3_u32 v28, v30, v27, 0x7fff
	v_mul_f32_e32 v29, v47, v31
	v_or_b32_e32 v30, 0x400000, v27
	v_cmp_u_f32_e32 vcc_lo, v27, v27
	v_add3_u32 v31, v32, v19, 0x7fff
	v_or_b32_e32 v32, 0x400000, v19
	v_bfe_u32 v33, v29, 16, 1
	v_and_b32_e32 v18, 0xffff0000, v18
	v_cndmask_b32_e32 v27, v28, v30, vcc_lo
	v_cmp_u_f32_e32 vcc_lo, v19, v19
	v_or_b32_e32 v30, 0x400000, v29
	v_add3_u32 v28, v33, v29, 0x7fff
	v_add_f32_e32 v17, v17, v25
	v_add_f32_e32 v18, v18, v26
	v_cndmask_b32_e32 v19, v31, v32, vcc_lo
	v_bfe_u32 v31, v20, 16, 1
	v_cmp_u_f32_e32 vcc_lo, v29, v29
	v_and_b32_e32 v26, 0xffff0000, v13
	v_and_b32_e32 v25, 0xffff0000, v27
	;; [unrolled: 1-line block ×3, first 2 shown]
	v_add3_u32 v29, v31, v20, 0x7fff
	v_cndmask_b32_e32 v28, v28, v30, vcc_lo
	v_or_b32_e32 v30, 0x400000, v20
	v_cmp_u_f32_e32 vcc_lo, v20, v20
	v_lshlrev_b32_e32 v13, 16, v13
	v_add_f32_e32 v17, v18, v17
	v_mul_f32_e32 v18, v0, v26
	v_add_f32_e32 v19, v19, v25
	v_cndmask_b32_e32 v20, v29, v30, vcc_lo
	v_mul_f32_e32 v13, v49, v13
	v_and_b32_e32 v25, 0xffff0000, v28
	v_bfe_u32 v26, v18, 16, 1
	v_add_f32_e32 v17, v19, v17
	v_and_b32_e32 v20, 0xffff0000, v20
	v_bfe_u32 v19, v13, 16, 1
	v_and_b32_e32 v27, 0xffff0000, v14
	v_cmp_u_f32_e32 vcc_lo, v18, v18
	v_or_b32_e32 v28, 0x400000, v13
	v_add_f32_e32 v20, v20, v25
	v_add3_u32 v25, v26, v18, 0x7fff
	v_or_b32_e32 v26, 0x400000, v18
	v_add3_u32 v19, v19, v13, 0x7fff
	v_mul_f32_e32 v27, v46, v27
	v_lshlrev_b32_e32 v14, 16, v14
	v_and_b32_e32 v29, 0xffff0000, v16
	v_cndmask_b32_e32 v18, v25, v26, vcc_lo
	v_cmp_u_f32_e32 vcc_lo, v13, v13
	v_bfe_u32 v25, v27, 16, 1
	v_mul_f32_e32 v14, v48, v14
	v_or_b32_e32 v26, 0x400000, v27
	v_lshlrev_b32_e32 v16, 16, v16
	v_cndmask_b32_e32 v13, v19, v28, vcc_lo
	v_and_b32_e32 v19, 0xffff0000, v15
	v_add3_u32 v25, v25, v27, 0x7fff
	v_lshlrev_b32_e32 v15, 16, v15
	v_bfe_u32 v28, v14, 16, 1
	v_cmp_u_f32_e32 vcc_lo, v27, v27
	v_mul_f32_e32 v19, v45, v19
	v_or_b32_e32 v27, 0x400000, v14
	v_mul_f32_e32 v15, v51, v15
	v_mul_f32_e32 v16, v50, v16
	v_cndmask_b32_e32 v25, v25, v26, vcc_lo
	v_add3_u32 v26, v28, v14, 0x7fff
	v_bfe_u32 v28, v19, 16, 1
	v_cmp_u_f32_e32 vcc_lo, v14, v14
	v_bfe_u32 v30, v15, 16, 1
	v_and_b32_e32 v13, 0xffff0000, v13
	v_and_b32_e32 v18, 0xffff0000, v18
	;; [unrolled: 1-line block ×3, first 2 shown]
	v_cndmask_b32_e32 v14, v26, v27, vcc_lo
	v_add3_u32 v26, v28, v19, 0x7fff
	v_mul_f32_e32 v27, v47, v29
	v_or_b32_e32 v28, 0x400000, v19
	v_cmp_u_f32_e32 vcc_lo, v19, v19
	v_add3_u32 v29, v30, v15, 0x7fff
	v_or_b32_e32 v30, 0x400000, v15
	v_bfe_u32 v31, v27, 16, 1
	v_and_b32_e32 v14, 0xffff0000, v14
	v_cndmask_b32_e32 v19, v26, v28, vcc_lo
	v_cmp_u_f32_e32 vcc_lo, v15, v15
	v_or_b32_e32 v28, 0x400000, v27
	v_add3_u32 v26, v31, v27, 0x7fff
	v_add_f32_e32 v13, v13, v18
	v_add_f32_e32 v14, v14, v25
	v_cndmask_b32_e32 v15, v29, v30, vcc_lo
	v_bfe_u32 v29, v16, 16, 1
	v_cmp_u_f32_e32 vcc_lo, v27, v27
	v_and_b32_e32 v18, 0xffff0000, v19
	v_add_f32_e32 v13, v14, v13
	v_and_b32_e32 v15, 0xffff0000, v15
	v_add3_u32 v27, v29, v16, 0x7fff
	v_cndmask_b32_e32 v26, v26, v28, vcc_lo
	v_or_b32_e32 v28, 0x400000, v16
	v_cmp_u_f32_e32 vcc_lo, v16, v16
	v_and_b32_e32 v14, 0xffff0000, v9
	v_add_f32_e32 v15, v15, v18
	v_lshlrev_b32_e32 v9, 16, v9
	v_and_b32_e32 v18, 0xffff0000, v26
	v_cndmask_b32_e32 v16, v27, v28, vcc_lo
	v_mul_f32_e32 v14, v0, v14
	v_add_f32_e32 v17, v20, v17
	v_mul_f32_e32 v19, v49, v9
	v_add_f32_e32 v9, v15, v13
	v_and_b32_e32 v16, 0xffff0000, v16
	v_bfe_u32 v15, v14, 16, 1
	v_add_f32_e32 v91, v91, v17
	v_and_b32_e32 v17, 0xffff0000, v10
	v_cmp_u_f32_e32 vcc_lo, v14, v14
	v_add_f32_e32 v13, v16, v18
	v_bfe_u32 v16, v19, 16, 1
	v_or_b32_e32 v18, 0x400000, v19
	v_mul_f32_e32 v17, v46, v17
	v_lshlrev_b32_e32 v10, 16, v10
	v_add_f32_e32 v9, v13, v9
	v_add3_u32 v13, v15, v14, 0x7fff
	v_or_b32_e32 v15, 0x400000, v14
	v_add3_u32 v16, v16, v19, 0x7fff
	v_bfe_u32 v14, v17, 16, 1
	v_mul_f32_e32 v10, v48, v10
	v_and_b32_e32 v20, 0xffff0000, v12
	v_cndmask_b32_e32 v13, v13, v15, vcc_lo
	v_cmp_u_f32_e32 vcc_lo, v19, v19
	v_add3_u32 v14, v14, v17, 0x7fff
	v_bfe_u32 v19, v10, 16, 1
	v_lshlrev_b32_e32 v12, 16, v12
	v_and_b32_e32 v13, 0xffff0000, v13
	v_cndmask_b32_e32 v15, v16, v18, vcc_lo
	v_and_b32_e32 v16, 0xffff0000, v11
	v_or_b32_e32 v18, 0x400000, v17
	v_lshlrev_b32_e32 v11, 16, v11
	v_cmp_u_f32_e32 vcc_lo, v17, v17
	v_add3_u32 v17, v19, v10, 0x7fff
	v_mul_f32_e32 v16, v45, v16
	v_mul_f32_e32 v12, v50, v12
	;; [unrolled: 1-line block ×3, first 2 shown]
	v_cndmask_b32_e32 v14, v14, v18, vcc_lo
	v_or_b32_e32 v18, 0x400000, v10
	v_bfe_u32 v19, v16, 16, 1
	v_cmp_u_f32_e32 vcc_lo, v10, v10
	v_bfe_u32 v25, v11, 16, 1
	v_and_b32_e32 v15, 0xffff0000, v15
	v_and_b32_e32 v14, 0xffff0000, v14
	v_add_f32_e32 v92, v92, v9
	v_cndmask_b32_e32 v10, v17, v18, vcc_lo
	v_add3_u32 v17, v19, v16, 0x7fff
	v_mul_f32_e32 v18, v47, v20
	v_or_b32_e32 v19, 0x400000, v16
	v_cmp_u_f32_e32 vcc_lo, v16, v16
	v_add3_u32 v20, v25, v11, 0x7fff
	v_or_b32_e32 v25, 0x400000, v11
	v_bfe_u32 v26, v18, 16, 1
	v_and_b32_e32 v10, 0xffff0000, v10
	v_cndmask_b32_e32 v16, v17, v19, vcc_lo
	v_cmp_u_f32_e32 vcc_lo, v11, v11
	v_or_b32_e32 v19, 0x400000, v18
	v_add3_u32 v17, v26, v18, 0x7fff
	v_add_f32_e32 v13, v15, v13
	v_add_f32_e32 v10, v10, v14
	v_cndmask_b32_e32 v11, v20, v25, vcc_lo
	v_bfe_u32 v20, v12, 16, 1
	v_cmp_u_f32_e32 vcc_lo, v18, v18
	v_and_b32_e32 v15, 0xffff0000, v5
	v_and_b32_e32 v14, 0xffff0000, v16
	;; [unrolled: 1-line block ×3, first 2 shown]
	v_add3_u32 v18, v20, v12, 0x7fff
	v_cndmask_b32_e32 v17, v17, v19, vcc_lo
	v_or_b32_e32 v19, 0x400000, v12
	v_cmp_u_f32_e32 vcc_lo, v12, v12
	v_lshlrev_b32_e32 v5, 16, v5
	v_add_f32_e32 v10, v10, v13
	v_mul_f32_e32 v13, v0, v15
	v_add_f32_e32 v11, v11, v14
	v_cndmask_b32_e32 v12, v18, v19, vcc_lo
	v_mul_f32_e32 v14, v49, v5
	v_and_b32_e32 v15, 0xffff0000, v17
	v_and_b32_e32 v16, 0xffff0000, v6
	v_bfe_u32 v17, v13, 16, 1
	v_and_b32_e32 v12, 0xffff0000, v12
	v_add_f32_e32 v5, v11, v10
	v_bfe_u32 v11, v14, 16, 1
	v_cmp_u_f32_e32 vcc_lo, v13, v13
	v_lshlrev_b32_e32 v6, 16, v6
	v_add_f32_e32 v10, v12, v15
	v_mul_f32_e32 v12, v46, v16
	v_add3_u32 v15, v17, v13, 0x7fff
	v_or_b32_e32 v16, 0x400000, v13
	v_add3_u32 v11, v11, v14, 0x7fff
	v_or_b32_e32 v17, 0x400000, v14
	v_bfe_u32 v18, v12, 16, 1
	v_mul_f32_e32 v6, v48, v6
	v_cndmask_b32_e32 v13, v15, v16, vcc_lo
	v_cmp_u_f32_e32 vcc_lo, v14, v14
	v_or_b32_e32 v15, 0x400000, v12
	v_add3_u32 v14, v18, v12, 0x7fff
	v_and_b32_e32 v16, 0xffff0000, v7
	v_lshlrev_b32_e32 v7, 16, v7
	v_cndmask_b32_e32 v11, v11, v17, vcc_lo
	v_cmp_u_f32_e32 vcc_lo, v12, v12
	v_bfe_u32 v17, v6, 16, 1
	v_and_b32_e32 v13, 0xffff0000, v13
	v_mul_f32_e32 v7, v51, v7
	v_and_b32_e32 v11, 0xffff0000, v11
	v_cndmask_b32_e32 v12, v14, v15, vcc_lo
	v_mul_f32_e32 v14, v45, v16
	v_add3_u32 v15, v17, v6, 0x7fff
	v_or_b32_e32 v16, 0x400000, v6
	v_and_b32_e32 v17, 0xffff0000, v8
	v_cmp_u_f32_e32 vcc_lo, v6, v6
	v_bfe_u32 v18, v14, 16, 1
	v_bfe_u32 v19, v7, 16, 1
	v_lshlrev_b32_e32 v8, 16, v8
	v_and_b32_e32 v12, 0xffff0000, v12
	v_cndmask_b32_e32 v6, v15, v16, vcc_lo
	v_mul_f32_e32 v15, v47, v17
	v_add3_u32 v16, v18, v14, 0x7fff
	v_or_b32_e32 v17, 0x400000, v14
	v_cmp_u_f32_e32 vcc_lo, v14, v14
	v_add3_u32 v18, v19, v7, 0x7fff
	v_or_b32_e32 v19, 0x400000, v7
	v_bfe_u32 v20, v15, 16, 1
	v_and_b32_e32 v6, 0xffff0000, v6
	v_cndmask_b32_e32 v14, v16, v17, vcc_lo
	v_cmp_u_f32_e32 vcc_lo, v7, v7
	v_or_b32_e32 v17, 0x400000, v15
	v_add3_u32 v16, v20, v15, 0x7fff
	v_mul_f32_e32 v8, v50, v8
	v_add_f32_e32 v11, v11, v13
	v_cndmask_b32_e32 v7, v18, v19, vcc_lo
	v_cmp_u_f32_e32 vcc_lo, v15, v15
	v_add_f32_e32 v6, v6, v12
	v_and_b32_e32 v12, 0xffff0000, v1
	v_and_b32_e32 v13, 0xffff0000, v14
	;; [unrolled: 1-line block ×3, first 2 shown]
	v_cndmask_b32_e32 v15, v16, v17, vcc_lo
	v_bfe_u32 v16, v8, 16, 1
	v_add_f32_e32 v6, v6, v11
	v_mul_f32_e32 v11, v0, v12
	v_add_f32_e32 v7, v7, v13
	v_lshlrev_b32_e32 v1, 16, v1
	v_add3_u32 v14, v16, v8, 0x7fff
	v_or_b32_e32 v16, 0x400000, v8
	v_cmp_u_f32_e32 vcc_lo, v8, v8
	v_bfe_u32 v12, v11, 16, 1
	v_add_f32_e32 v6, v7, v6
	v_and_b32_e32 v7, 0xffff0000, v2
	v_mul_f32_e32 v1, v49, v1
	v_cndmask_b32_e32 v8, v14, v16, vcc_lo
	v_add3_u32 v12, v12, v11, 0x7fff
	v_or_b32_e32 v13, 0x400000, v11
	v_mul_f32_e32 v7, v46, v7
	v_and_b32_e32 v14, 0xffff0000, v15
	v_bfe_u32 v15, v1, 16, 1
	v_cmp_u_f32_e32 vcc_lo, v11, v11
	v_lshlrev_b32_e32 v2, 16, v2
	v_or_b32_e32 v16, 0x400000, v1
	v_or_b32_e32 v17, 0x400000, v7
	s_waitcnt vmcnt(0)
	v_lshlrev_b32_e32 v19, 16, v24
	v_cndmask_b32_e32 v11, v12, v13, vcc_lo
	v_bfe_u32 v12, v7, 16, 1
	v_add3_u32 v13, v15, v1, 0x7fff
	v_and_b32_e32 v15, 0xffff0000, v3
	v_mul_f32_e32 v2, v48, v2
	v_cmp_u_f32_e32 vcc_lo, v1, v1
	v_add3_u32 v12, v12, v7, 0x7fff
	v_lshlrev_b32_e32 v3, 16, v3
	v_mul_f32_e32 v15, v45, v15
	v_and_b32_e32 v11, 0xffff0000, v11
	v_cndmask_b32_e32 v1, v13, v16, vcc_lo
	v_bfe_u32 v13, v2, 16, 1
	v_cmp_u_f32_e32 vcc_lo, v7, v7
	v_and_b32_e32 v16, 0xffff0000, v4
	v_mul_f32_e32 v3, v51, v3
	v_or_b32_e32 v18, 0x400000, v15
	v_add3_u32 v13, v13, v2, 0x7fff
	v_cndmask_b32_e32 v7, v12, v17, vcc_lo
	v_bfe_u32 v12, v15, 16, 1
	v_or_b32_e32 v17, 0x400000, v2
	v_cmp_u_f32_e32 vcc_lo, v2, v2
	v_mul_f32_e32 v16, v47, v16
	v_lshlrev_b32_e32 v4, 16, v4
	v_add3_u32 v12, v12, v15, 0x7fff
	v_and_b32_e32 v1, 0xffff0000, v1
	v_cndmask_b32_e32 v2, v13, v17, vcc_lo
	v_bfe_u32 v13, v3, 16, 1
	v_cmp_u_f32_e32 vcc_lo, v15, v15
	v_bfe_u32 v17, v16, 16, 1
	v_or_b32_e32 v15, 0x400000, v3
	v_mul_f32_e32 v4, v50, v4
	v_add3_u32 v13, v13, v3, 0x7fff
	v_cndmask_b32_e32 v12, v12, v18, vcc_lo
	v_cmp_u_f32_e32 vcc_lo, v3, v3
	v_add3_u32 v17, v17, v16, 0x7fff
	v_or_b32_e32 v18, 0x400000, v16
	v_and_b32_e32 v2, 0xffff0000, v2
	v_and_b32_e32 v7, 0xffff0000, v7
	v_cndmask_b32_e32 v3, v13, v15, vcc_lo
	v_cmp_u_f32_e32 vcc_lo, v16, v16
	v_bfe_u32 v15, v4, 16, 1
	v_add_f32_e32 v1, v1, v11
	v_add_f32_e32 v2, v2, v7
	v_and_b32_e32 v3, 0xffff0000, v3
	v_cndmask_b32_e32 v13, v17, v18, vcc_lo
	v_lshlrev_b32_e32 v17, 16, v21
	v_and_b32_e32 v7, 0xffff0000, v12
	v_and_b32_e32 v12, 0xffff0000, v21
	v_add3_u32 v15, v15, v4, 0x7fff
	v_or_b32_e32 v16, 0x400000, v4
	v_mul_f32_e32 v11, v49, v17
	v_cmp_u_f32_e32 vcc_lo, v4, v4
	v_add_f32_e32 v1, v2, v1
	v_add_f32_e32 v3, v3, v7
	v_mul_f32_e32 v0, v0, v12
	v_bfe_u32 v2, v11, 16, 1
	v_lshlrev_b32_e32 v7, 16, v22
	v_cndmask_b32_e32 v4, v15, v16, vcc_lo
	v_or_b32_e32 v12, 0x400000, v11
	v_bfe_u32 v15, v0, 16, 1
	v_add3_u32 v2, v2, v11, 0x7fff
	v_mul_f32_e32 v7, v48, v7
	v_and_b32_e32 v16, 0xffff0000, v22
	v_cmp_u_f32_e32 vcc_lo, v11, v11
	v_add3_u32 v11, v15, v0, 0x7fff
	v_lshlrev_b32_e32 v17, 16, v23
	v_bfe_u32 v15, v7, 16, 1
	v_mul_f32_e32 v16, v46, v16
	v_cndmask_b32_e32 v2, v2, v12, vcc_lo
	v_or_b32_e32 v12, 0x400000, v0
	v_cmp_u_f32_e32 vcc_lo, v0, v0
	v_mul_f32_e32 v17, v51, v17
	v_and_b32_e32 v18, 0xffff0000, v23
	v_and_b32_e32 v20, 0xffff0000, v24
	;; [unrolled: 1-line block ×3, first 2 shown]
	v_cndmask_b32_e32 v0, v11, v12, vcc_lo
	v_add3_u32 v11, v15, v7, 0x7fff
	v_or_b32_e32 v12, 0x400000, v7
	v_bfe_u32 v15, v16, 16, 1
	v_cmp_u_f32_e32 vcc_lo, v7, v7
	v_mul_f32_e32 v18, v45, v18
	v_and_b32_e32 v0, 0xffff0000, v0
	v_and_b32_e32 v8, 0xffff0000, v8
	;; [unrolled: 1-line block ×3, first 2 shown]
	v_cndmask_b32_e32 v7, v11, v12, vcc_lo
	v_add3_u32 v11, v15, v16, 0x7fff
	v_or_b32_e32 v12, 0x400000, v16
	v_bfe_u32 v15, v17, 16, 1
	v_cmp_u_f32_e32 vcc_lo, v16, v16
	v_mul_f32_e32 v16, v50, v19
	v_mul_f32_e32 v19, v47, v20
	v_or_b32_e32 v20, 0x400000, v17
	v_add3_u32 v15, v15, v17, 0x7fff
	v_cndmask_b32_e32 v11, v11, v12, vcc_lo
	v_bfe_u32 v12, v18, 16, 1
	v_cmp_u_f32_e32 vcc_lo, v17, v17
	v_or_b32_e32 v21, 0x400000, v18
	v_bfe_u32 v23, v19, 16, 1
	v_bfe_u32 v22, v16, 16, 1
	v_add3_u32 v12, v12, v18, 0x7fff
	v_cndmask_b32_e32 v15, v15, v20, vcc_lo
	v_cmp_u_f32_e32 vcc_lo, v18, v18
	v_add3_u32 v18, v23, v19, 0x7fff
	v_or_b32_e32 v20, 0x400000, v19
	v_add3_u32 v17, v22, v16, 0x7fff
	v_and_b32_e32 v11, 0xffff0000, v11
	v_cndmask_b32_e32 v12, v12, v21, vcc_lo
	v_cmp_u_f32_e32 vcc_lo, v19, v19
	v_and_b32_e32 v7, 0xffff0000, v7
	v_or_b32_e32 v21, 0x400000, v16
	v_add_f32_e32 v0, v2, v0
	v_and_b32_e32 v13, 0xffff0000, v13
	v_cndmask_b32_e32 v18, v18, v20, vcc_lo
	v_cmp_u_f32_e32 vcc_lo, v16, v16
	v_add_f32_e32 v2, v7, v11
	v_and_b32_e32 v7, 0xffff0000, v12
	v_and_b32_e32 v11, 0xffff0000, v15
	v_add_f32_e32 v8, v8, v14
	v_cndmask_b32_e32 v12, v17, v21, vcc_lo
	v_add_f32_e32 v0, v2, v0
	v_add_f32_e32 v1, v3, v1
	;; [unrolled: 1-line block ×3, first 2 shown]
	v_and_b32_e32 v7, 0xffff0000, v18
	v_and_b32_e32 v11, 0xffff0000, v12
	v_add_f32_e32 v3, v4, v13
	v_add_f32_e32 v4, v10, v5
	;; [unrolled: 1-line block ×6, first 2 shown]
	v_cmp_le_i32_e32 vcc_lo, s12, v101
	v_add_f32_e32 v94, v94, v4
	v_add_f32_e32 v95, v95, v5
	;; [unrolled: 1-line block ×4, first 2 shown]
	s_or_b32 s13, vcc_lo, s13
	v_add_f32_e32 v80, v80, v0
	s_andn2_b32 exec_lo, exec_lo, s13
	s_cbranch_execz .LBB159_58
.LBB159_26:                             ; =>This Inner Loop Header: Depth=1
	global_load_dword v0, v[73:74], off
	v_cmp_eq_u32_e64 s0, s4, v101
	v_add_nc_u32_e32 v105, 1, v99
	v_or_b32_e32 v103, 3, v99
	v_or_b32_e32 v104, 2, v99
	;; [unrolled: 1-line block ×5, first 2 shown]
	s_waitcnt vmcnt(0)
	v_mad_i64_i32 v[0:1], null, v0, s5, 0
	v_lshlrev_b64 v[0:1], 1, v[0:1]
	v_add_co_u32 v21, vcc_lo, v97, v0
	v_add_co_ci_u32_e64 v22, null, v98, v1, vcc_lo
	v_or_b32_e32 v0, 6, v99
	global_load_dwordx4 v[1:4], v[21:22], off
	ds_read2_b64 v[49:52], v100 offset1:1
	ds_read2_b64 v[45:48], v100 offset0:2 offset1:3
	s_and_saveexec_b32 s15, s0
	s_cbranch_execnz .LBB159_45
; %bb.27:                               ;   in Loop: Header=BB159_26 Depth=1
	s_or_b32 exec_lo, exec_lo, s15
	global_load_dwordx4 v[5:8], v[21:22], off offset:512
	s_and_saveexec_b32 s15, s0
	s_cbranch_execnz .LBB159_46
.LBB159_28:                             ;   in Loop: Header=BB159_26 Depth=1
	s_or_b32 exec_lo, exec_lo, s15
	global_load_dwordx4 v[9:12], v[21:22], off offset:1024
	s_and_saveexec_b32 s15, s0
	s_cbranch_execnz .LBB159_47
.LBB159_29:                             ;   in Loop: Header=BB159_26 Depth=1
	s_or_b32 exec_lo, exec_lo, s15
	global_load_dwordx4 v[13:16], v[21:22], off offset:1536
	s_and_saveexec_b32 s15, s0
	s_cbranch_execz .LBB159_31
.LBB159_30:                             ;   in Loop: Header=BB159_26 Depth=1
	v_cmp_gt_i32_e64 s1, s11, v99
	v_cmp_gt_i32_e32 vcc_lo, s14, v105
	v_cmp_gt_i32_e64 s2, s11, v104
	s_waitcnt vmcnt(0)
	v_cndmask_b32_e64 v17, 0, v13, s1
	v_cmp_gt_i32_e64 s1, s14, v103
	v_cndmask_b32_sdwa v13, v96, v13, vcc_lo dst_sel:DWORD dst_unused:UNUSED_PAD src0_sel:DWORD src1_sel:WORD_1
	v_cndmask_b32_e64 v18, 0, v14, s2
	v_cmp_gt_i32_e64 s2, s14, v102
	s_mov_b32 vcc_lo, s1
	v_cmp_gt_i32_e64 s1, s14, v75
	v_cndmask_b32_sdwa v14, v96, v14, vcc_lo dst_sel:DWORD dst_unused:UNUSED_PAD src0_sel:DWORD src1_sel:WORD_1
	v_cmp_gt_i32_e32 vcc_lo, s11, v76
	v_perm_b32 v13, v13, v17, 0x5040100
	v_perm_b32 v14, v14, v18, 0x5040100
	v_cndmask_b32_e32 v19, 0, v15, vcc_lo
	s_mov_b32 vcc_lo, s2
	v_cndmask_b32_sdwa v15, v96, v15, vcc_lo dst_sel:DWORD dst_unused:UNUSED_PAD src0_sel:DWORD src1_sel:WORD_1
	v_cmp_gt_i32_e32 vcc_lo, s11, v0
	v_perm_b32 v15, v15, v19, 0x5040100
	v_cndmask_b32_e32 v20, 0, v16, vcc_lo
	s_mov_b32 vcc_lo, s1
	v_cndmask_b32_sdwa v16, v96, v16, vcc_lo dst_sel:DWORD dst_unused:UNUSED_PAD src0_sel:DWORD src1_sel:WORD_1
	v_perm_b32 v16, v16, v20, 0x5040100
.LBB159_31:                             ;   in Loop: Header=BB159_26 Depth=1
	s_or_b32 exec_lo, exec_lo, s15
	v_add_co_u32 v23, vcc_lo, 0x800, v21
	v_add_co_ci_u32_e64 v24, null, 0, v22, vcc_lo
	global_load_dwordx4 v[17:20], v[23:24], off
	s_and_saveexec_b32 s15, s0
	s_cbranch_execnz .LBB159_48
; %bb.32:                               ;   in Loop: Header=BB159_26 Depth=1
	s_or_b32 exec_lo, exec_lo, s15
	global_load_dwordx4 v[25:28], v[23:24], off offset:512
	s_and_saveexec_b32 s15, s0
	s_cbranch_execnz .LBB159_49
.LBB159_33:                             ;   in Loop: Header=BB159_26 Depth=1
	s_or_b32 exec_lo, exec_lo, s15
	global_load_dwordx4 v[29:32], v[23:24], off offset:1024
	s_and_saveexec_b32 s15, s0
	s_cbranch_execnz .LBB159_50
.LBB159_34:                             ;   in Loop: Header=BB159_26 Depth=1
	s_or_b32 exec_lo, exec_lo, s15
	global_load_dwordx4 v[33:36], v[23:24], off offset:1536
	s_and_saveexec_b32 s15, s0
	s_cbranch_execz .LBB159_36
.LBB159_35:                             ;   in Loop: Header=BB159_26 Depth=1
	v_cmp_gt_i32_e64 s1, s11, v99
	v_cmp_gt_i32_e32 vcc_lo, s14, v105
	v_cmp_gt_i32_e64 s2, s11, v104
	s_waitcnt vmcnt(0)
	v_cndmask_b32_e64 v23, 0, v33, s1
	v_cmp_gt_i32_e64 s1, s14, v103
	v_cndmask_b32_sdwa v33, v96, v33, vcc_lo dst_sel:DWORD dst_unused:UNUSED_PAD src0_sel:DWORD src1_sel:WORD_1
	v_cndmask_b32_e64 v24, 0, v34, s2
	v_cmp_gt_i32_e64 s2, s14, v102
	s_mov_b32 vcc_lo, s1
	v_cmp_gt_i32_e64 s1, s14, v75
	v_cndmask_b32_sdwa v34, v96, v34, vcc_lo dst_sel:DWORD dst_unused:UNUSED_PAD src0_sel:DWORD src1_sel:WORD_1
	v_cmp_gt_i32_e32 vcc_lo, s11, v76
	v_perm_b32 v33, v33, v23, 0x5040100
	v_perm_b32 v34, v34, v24, 0x5040100
	v_cndmask_b32_e32 v37, 0, v35, vcc_lo
	s_mov_b32 vcc_lo, s2
	v_cndmask_b32_sdwa v35, v96, v35, vcc_lo dst_sel:DWORD dst_unused:UNUSED_PAD src0_sel:DWORD src1_sel:WORD_1
	v_cmp_gt_i32_e32 vcc_lo, s11, v0
	v_perm_b32 v35, v35, v37, 0x5040100
	v_cndmask_b32_e32 v38, 0, v36, vcc_lo
	s_mov_b32 vcc_lo, s1
	v_cndmask_b32_sdwa v36, v96, v36, vcc_lo dst_sel:DWORD dst_unused:UNUSED_PAD src0_sel:DWORD src1_sel:WORD_1
	v_perm_b32 v36, v36, v38, 0x5040100
.LBB159_36:                             ;   in Loop: Header=BB159_26 Depth=1
	s_or_b32 exec_lo, exec_lo, s15
	v_add_co_u32 v23, vcc_lo, 0x1000, v21
	v_add_co_ci_u32_e64 v24, null, 0, v22, vcc_lo
	global_load_dwordx4 v[37:40], v[23:24], off
	s_and_saveexec_b32 s15, s0
	s_cbranch_execnz .LBB159_51
; %bb.37:                               ;   in Loop: Header=BB159_26 Depth=1
	s_or_b32 exec_lo, exec_lo, s15
	global_load_dwordx4 v[41:44], v[23:24], off offset:512
	s_and_saveexec_b32 s15, s0
	s_cbranch_execnz .LBB159_52
.LBB159_38:                             ;   in Loop: Header=BB159_26 Depth=1
	s_or_b32 exec_lo, exec_lo, s15
	global_load_dwordx4 v[53:56], v[23:24], off offset:1024
	s_and_saveexec_b32 s15, s0
	s_cbranch_execnz .LBB159_53
.LBB159_39:                             ;   in Loop: Header=BB159_26 Depth=1
	s_or_b32 exec_lo, exec_lo, s15
	global_load_dwordx4 v[57:60], v[23:24], off offset:1536
	s_and_saveexec_b32 s15, s0
	s_cbranch_execz .LBB159_41
.LBB159_40:                             ;   in Loop: Header=BB159_26 Depth=1
	v_cmp_gt_i32_e64 s1, s11, v99
	v_cmp_gt_i32_e32 vcc_lo, s14, v105
	v_cmp_gt_i32_e64 s2, s11, v104
	s_waitcnt vmcnt(0)
	v_cndmask_b32_e64 v23, 0, v57, s1
	v_cmp_gt_i32_e64 s1, s14, v103
	v_cndmask_b32_sdwa v57, v96, v57, vcc_lo dst_sel:DWORD dst_unused:UNUSED_PAD src0_sel:DWORD src1_sel:WORD_1
	v_cndmask_b32_e64 v24, 0, v58, s2
	v_cmp_gt_i32_e64 s2, s14, v102
	s_mov_b32 vcc_lo, s1
	v_cmp_gt_i32_e64 s1, s14, v75
	v_cndmask_b32_sdwa v58, v96, v58, vcc_lo dst_sel:DWORD dst_unused:UNUSED_PAD src0_sel:DWORD src1_sel:WORD_1
	v_cmp_gt_i32_e32 vcc_lo, s11, v76
	v_perm_b32 v57, v57, v23, 0x5040100
	v_perm_b32 v58, v58, v24, 0x5040100
	v_cndmask_b32_e32 v61, 0, v59, vcc_lo
	s_mov_b32 vcc_lo, s2
	v_cndmask_b32_sdwa v59, v96, v59, vcc_lo dst_sel:DWORD dst_unused:UNUSED_PAD src0_sel:DWORD src1_sel:WORD_1
	v_cmp_gt_i32_e32 vcc_lo, s11, v0
	v_perm_b32 v59, v59, v61, 0x5040100
	v_cndmask_b32_e32 v62, 0, v60, vcc_lo
	s_mov_b32 vcc_lo, s1
	v_cndmask_b32_sdwa v60, v96, v60, vcc_lo dst_sel:DWORD dst_unused:UNUSED_PAD src0_sel:DWORD src1_sel:WORD_1
	v_perm_b32 v60, v60, v62, 0x5040100
.LBB159_41:                             ;   in Loop: Header=BB159_26 Depth=1
	s_or_b32 exec_lo, exec_lo, s15
	v_add_co_u32 v21, vcc_lo, 0x1800, v21
	v_add_co_ci_u32_e64 v22, null, 0, v22, vcc_lo
	global_load_dwordx4 v[61:64], v[21:22], off
	s_and_saveexec_b32 s15, s0
	s_cbranch_execnz .LBB159_54
; %bb.42:                               ;   in Loop: Header=BB159_26 Depth=1
	s_or_b32 exec_lo, exec_lo, s15
	global_load_dwordx4 v[65:68], v[21:22], off offset:512
	s_and_saveexec_b32 s15, s0
	s_cbranch_execnz .LBB159_55
.LBB159_43:                             ;   in Loop: Header=BB159_26 Depth=1
	s_or_b32 exec_lo, exec_lo, s15
	global_load_dwordx4 v[69:72], v[21:22], off offset:1024
	s_and_saveexec_b32 s15, s0
	s_cbranch_execnz .LBB159_56
.LBB159_44:                             ;   in Loop: Header=BB159_26 Depth=1
	s_or_b32 exec_lo, exec_lo, s15
	global_load_dwordx4 v[21:24], v[21:22], off offset:1536
	s_and_saveexec_b32 s2, s0
	s_cbranch_execz .LBB159_25
	s_branch .LBB159_57
.LBB159_45:                             ;   in Loop: Header=BB159_26 Depth=1
	v_cmp_gt_i32_e64 s1, s11, v99
	v_cmp_gt_i32_e32 vcc_lo, s14, v105
	v_cmp_gt_i32_e64 s2, s11, v104
	s_waitcnt vmcnt(0)
	v_cndmask_b32_e64 v5, 0, v1, s1
	v_cmp_gt_i32_e64 s1, s14, v103
	v_cndmask_b32_sdwa v1, v96, v1, vcc_lo dst_sel:DWORD dst_unused:UNUSED_PAD src0_sel:DWORD src1_sel:WORD_1
	v_cndmask_b32_e64 v6, 0, v2, s2
	v_cmp_gt_i32_e64 s2, s14, v102
	s_mov_b32 vcc_lo, s1
	v_cmp_gt_i32_e64 s1, s14, v75
	v_cndmask_b32_sdwa v2, v96, v2, vcc_lo dst_sel:DWORD dst_unused:UNUSED_PAD src0_sel:DWORD src1_sel:WORD_1
	v_cmp_gt_i32_e32 vcc_lo, s11, v76
	v_perm_b32 v1, v1, v5, 0x5040100
	v_perm_b32 v2, v2, v6, 0x5040100
	v_cndmask_b32_e32 v7, 0, v3, vcc_lo
	s_mov_b32 vcc_lo, s2
	v_cndmask_b32_sdwa v3, v96, v3, vcc_lo dst_sel:DWORD dst_unused:UNUSED_PAD src0_sel:DWORD src1_sel:WORD_1
	v_cmp_gt_i32_e32 vcc_lo, s11, v0
	v_perm_b32 v3, v3, v7, 0x5040100
	v_cndmask_b32_e32 v8, 0, v4, vcc_lo
	s_mov_b32 vcc_lo, s1
	v_cndmask_b32_sdwa v4, v96, v4, vcc_lo dst_sel:DWORD dst_unused:UNUSED_PAD src0_sel:DWORD src1_sel:WORD_1
	v_perm_b32 v4, v4, v8, 0x5040100
	s_or_b32 exec_lo, exec_lo, s15
	global_load_dwordx4 v[5:8], v[21:22], off offset:512
	s_and_saveexec_b32 s15, s0
	s_cbranch_execz .LBB159_28
.LBB159_46:                             ;   in Loop: Header=BB159_26 Depth=1
	v_cmp_gt_i32_e64 s1, s11, v99
	v_cmp_gt_i32_e32 vcc_lo, s14, v105
	v_cmp_gt_i32_e64 s2, s11, v104
	s_waitcnt vmcnt(0)
	v_cndmask_b32_e64 v9, 0, v5, s1
	v_cmp_gt_i32_e64 s1, s14, v103
	v_cndmask_b32_sdwa v5, v96, v5, vcc_lo dst_sel:DWORD dst_unused:UNUSED_PAD src0_sel:DWORD src1_sel:WORD_1
	v_cndmask_b32_e64 v10, 0, v6, s2
	v_cmp_gt_i32_e64 s2, s14, v102
	s_mov_b32 vcc_lo, s1
	v_cmp_gt_i32_e64 s1, s14, v75
	v_cndmask_b32_sdwa v6, v96, v6, vcc_lo dst_sel:DWORD dst_unused:UNUSED_PAD src0_sel:DWORD src1_sel:WORD_1
	v_cmp_gt_i32_e32 vcc_lo, s11, v76
	v_perm_b32 v5, v5, v9, 0x5040100
	v_perm_b32 v6, v6, v10, 0x5040100
	v_cndmask_b32_e32 v11, 0, v7, vcc_lo
	s_mov_b32 vcc_lo, s2
	v_cndmask_b32_sdwa v7, v96, v7, vcc_lo dst_sel:DWORD dst_unused:UNUSED_PAD src0_sel:DWORD src1_sel:WORD_1
	v_cmp_gt_i32_e32 vcc_lo, s11, v0
	v_perm_b32 v7, v7, v11, 0x5040100
	v_cndmask_b32_e32 v12, 0, v8, vcc_lo
	s_mov_b32 vcc_lo, s1
	v_cndmask_b32_sdwa v8, v96, v8, vcc_lo dst_sel:DWORD dst_unused:UNUSED_PAD src0_sel:DWORD src1_sel:WORD_1
	v_perm_b32 v8, v8, v12, 0x5040100
	s_or_b32 exec_lo, exec_lo, s15
	global_load_dwordx4 v[9:12], v[21:22], off offset:1024
	s_and_saveexec_b32 s15, s0
	s_cbranch_execz .LBB159_29
.LBB159_47:                             ;   in Loop: Header=BB159_26 Depth=1
	v_cmp_gt_i32_e64 s1, s11, v99
	v_cmp_gt_i32_e32 vcc_lo, s14, v105
	v_cmp_gt_i32_e64 s2, s11, v104
	s_waitcnt vmcnt(0)
	v_cndmask_b32_e64 v13, 0, v9, s1
	v_cmp_gt_i32_e64 s1, s14, v103
	v_cndmask_b32_sdwa v9, v96, v9, vcc_lo dst_sel:DWORD dst_unused:UNUSED_PAD src0_sel:DWORD src1_sel:WORD_1
	v_cndmask_b32_e64 v14, 0, v10, s2
	v_cmp_gt_i32_e64 s2, s14, v102
	s_mov_b32 vcc_lo, s1
	v_cmp_gt_i32_e64 s1, s14, v75
	v_cndmask_b32_sdwa v10, v96, v10, vcc_lo dst_sel:DWORD dst_unused:UNUSED_PAD src0_sel:DWORD src1_sel:WORD_1
	v_cmp_gt_i32_e32 vcc_lo, s11, v76
	v_perm_b32 v9, v9, v13, 0x5040100
	v_perm_b32 v10, v10, v14, 0x5040100
	v_cndmask_b32_e32 v15, 0, v11, vcc_lo
	s_mov_b32 vcc_lo, s2
	v_cndmask_b32_sdwa v11, v96, v11, vcc_lo dst_sel:DWORD dst_unused:UNUSED_PAD src0_sel:DWORD src1_sel:WORD_1
	v_cmp_gt_i32_e32 vcc_lo, s11, v0
	v_perm_b32 v11, v11, v15, 0x5040100
	v_cndmask_b32_e32 v16, 0, v12, vcc_lo
	s_mov_b32 vcc_lo, s1
	v_cndmask_b32_sdwa v12, v96, v12, vcc_lo dst_sel:DWORD dst_unused:UNUSED_PAD src0_sel:DWORD src1_sel:WORD_1
	v_perm_b32 v12, v12, v16, 0x5040100
	s_or_b32 exec_lo, exec_lo, s15
	global_load_dwordx4 v[13:16], v[21:22], off offset:1536
	s_and_saveexec_b32 s15, s0
	s_cbranch_execnz .LBB159_30
	s_branch .LBB159_31
.LBB159_48:                             ;   in Loop: Header=BB159_26 Depth=1
	v_cmp_gt_i32_e64 s1, s11, v99
	v_cmp_gt_i32_e32 vcc_lo, s14, v105
	v_cmp_gt_i32_e64 s2, s11, v104
	s_waitcnt vmcnt(0)
	v_cndmask_b32_e64 v25, 0, v17, s1
	v_cmp_gt_i32_e64 s1, s14, v103
	v_cndmask_b32_sdwa v17, v96, v17, vcc_lo dst_sel:DWORD dst_unused:UNUSED_PAD src0_sel:DWORD src1_sel:WORD_1
	v_cndmask_b32_e64 v26, 0, v18, s2
	v_cmp_gt_i32_e64 s2, s14, v102
	s_mov_b32 vcc_lo, s1
	v_cmp_gt_i32_e64 s1, s14, v75
	v_cndmask_b32_sdwa v18, v96, v18, vcc_lo dst_sel:DWORD dst_unused:UNUSED_PAD src0_sel:DWORD src1_sel:WORD_1
	v_cmp_gt_i32_e32 vcc_lo, s11, v76
	v_perm_b32 v17, v17, v25, 0x5040100
	v_perm_b32 v18, v18, v26, 0x5040100
	v_cndmask_b32_e32 v27, 0, v19, vcc_lo
	s_mov_b32 vcc_lo, s2
	v_cndmask_b32_sdwa v19, v96, v19, vcc_lo dst_sel:DWORD dst_unused:UNUSED_PAD src0_sel:DWORD src1_sel:WORD_1
	v_cmp_gt_i32_e32 vcc_lo, s11, v0
	v_perm_b32 v19, v19, v27, 0x5040100
	v_cndmask_b32_e32 v28, 0, v20, vcc_lo
	s_mov_b32 vcc_lo, s1
	v_cndmask_b32_sdwa v20, v96, v20, vcc_lo dst_sel:DWORD dst_unused:UNUSED_PAD src0_sel:DWORD src1_sel:WORD_1
	v_perm_b32 v20, v20, v28, 0x5040100
	s_or_b32 exec_lo, exec_lo, s15
	global_load_dwordx4 v[25:28], v[23:24], off offset:512
	s_and_saveexec_b32 s15, s0
	s_cbranch_execz .LBB159_33
.LBB159_49:                             ;   in Loop: Header=BB159_26 Depth=1
	v_cmp_gt_i32_e64 s1, s11, v99
	v_cmp_gt_i32_e32 vcc_lo, s14, v105
	v_cmp_gt_i32_e64 s2, s11, v104
	s_waitcnt vmcnt(0)
	v_cndmask_b32_e64 v29, 0, v25, s1
	v_cmp_gt_i32_e64 s1, s14, v103
	v_cndmask_b32_sdwa v25, v96, v25, vcc_lo dst_sel:DWORD dst_unused:UNUSED_PAD src0_sel:DWORD src1_sel:WORD_1
	v_cndmask_b32_e64 v30, 0, v26, s2
	v_cmp_gt_i32_e64 s2, s14, v102
	s_mov_b32 vcc_lo, s1
	v_cmp_gt_i32_e64 s1, s14, v75
	v_cndmask_b32_sdwa v26, v96, v26, vcc_lo dst_sel:DWORD dst_unused:UNUSED_PAD src0_sel:DWORD src1_sel:WORD_1
	v_cmp_gt_i32_e32 vcc_lo, s11, v76
	v_perm_b32 v25, v25, v29, 0x5040100
	v_perm_b32 v26, v26, v30, 0x5040100
	v_cndmask_b32_e32 v31, 0, v27, vcc_lo
	s_mov_b32 vcc_lo, s2
	v_cndmask_b32_sdwa v27, v96, v27, vcc_lo dst_sel:DWORD dst_unused:UNUSED_PAD src0_sel:DWORD src1_sel:WORD_1
	v_cmp_gt_i32_e32 vcc_lo, s11, v0
	v_perm_b32 v27, v27, v31, 0x5040100
	v_cndmask_b32_e32 v32, 0, v28, vcc_lo
	s_mov_b32 vcc_lo, s1
	v_cndmask_b32_sdwa v28, v96, v28, vcc_lo dst_sel:DWORD dst_unused:UNUSED_PAD src0_sel:DWORD src1_sel:WORD_1
	v_perm_b32 v28, v28, v32, 0x5040100
	s_or_b32 exec_lo, exec_lo, s15
	global_load_dwordx4 v[29:32], v[23:24], off offset:1024
	s_and_saveexec_b32 s15, s0
	s_cbranch_execz .LBB159_34
.LBB159_50:                             ;   in Loop: Header=BB159_26 Depth=1
	v_cmp_gt_i32_e64 s1, s11, v99
	v_cmp_gt_i32_e32 vcc_lo, s14, v105
	v_cmp_gt_i32_e64 s2, s11, v104
	s_waitcnt vmcnt(0)
	v_cndmask_b32_e64 v33, 0, v29, s1
	v_cmp_gt_i32_e64 s1, s14, v103
	v_cndmask_b32_sdwa v29, v96, v29, vcc_lo dst_sel:DWORD dst_unused:UNUSED_PAD src0_sel:DWORD src1_sel:WORD_1
	v_cndmask_b32_e64 v34, 0, v30, s2
	v_cmp_gt_i32_e64 s2, s14, v102
	s_mov_b32 vcc_lo, s1
	v_cmp_gt_i32_e64 s1, s14, v75
	v_cndmask_b32_sdwa v30, v96, v30, vcc_lo dst_sel:DWORD dst_unused:UNUSED_PAD src0_sel:DWORD src1_sel:WORD_1
	v_cmp_gt_i32_e32 vcc_lo, s11, v76
	v_perm_b32 v29, v29, v33, 0x5040100
	v_perm_b32 v30, v30, v34, 0x5040100
	v_cndmask_b32_e32 v35, 0, v31, vcc_lo
	s_mov_b32 vcc_lo, s2
	v_cndmask_b32_sdwa v31, v96, v31, vcc_lo dst_sel:DWORD dst_unused:UNUSED_PAD src0_sel:DWORD src1_sel:WORD_1
	v_cmp_gt_i32_e32 vcc_lo, s11, v0
	v_perm_b32 v31, v31, v35, 0x5040100
	v_cndmask_b32_e32 v36, 0, v32, vcc_lo
	s_mov_b32 vcc_lo, s1
	v_cndmask_b32_sdwa v32, v96, v32, vcc_lo dst_sel:DWORD dst_unused:UNUSED_PAD src0_sel:DWORD src1_sel:WORD_1
	v_perm_b32 v32, v32, v36, 0x5040100
	s_or_b32 exec_lo, exec_lo, s15
	global_load_dwordx4 v[33:36], v[23:24], off offset:1536
	s_and_saveexec_b32 s15, s0
	s_cbranch_execnz .LBB159_35
	s_branch .LBB159_36
.LBB159_51:                             ;   in Loop: Header=BB159_26 Depth=1
	v_cmp_gt_i32_e64 s1, s11, v99
	v_cmp_gt_i32_e32 vcc_lo, s14, v105
	v_cmp_gt_i32_e64 s2, s11, v104
	s_waitcnt vmcnt(0)
	v_cndmask_b32_e64 v41, 0, v37, s1
	v_cmp_gt_i32_e64 s1, s14, v103
	v_cndmask_b32_sdwa v37, v96, v37, vcc_lo dst_sel:DWORD dst_unused:UNUSED_PAD src0_sel:DWORD src1_sel:WORD_1
	v_cndmask_b32_e64 v42, 0, v38, s2
	v_cmp_gt_i32_e64 s2, s14, v102
	s_mov_b32 vcc_lo, s1
	v_cmp_gt_i32_e64 s1, s14, v75
	v_cndmask_b32_sdwa v38, v96, v38, vcc_lo dst_sel:DWORD dst_unused:UNUSED_PAD src0_sel:DWORD src1_sel:WORD_1
	v_cmp_gt_i32_e32 vcc_lo, s11, v76
	v_perm_b32 v37, v37, v41, 0x5040100
	v_perm_b32 v38, v38, v42, 0x5040100
	v_cndmask_b32_e32 v43, 0, v39, vcc_lo
	s_mov_b32 vcc_lo, s2
	v_cndmask_b32_sdwa v39, v96, v39, vcc_lo dst_sel:DWORD dst_unused:UNUSED_PAD src0_sel:DWORD src1_sel:WORD_1
	v_cmp_gt_i32_e32 vcc_lo, s11, v0
	v_perm_b32 v39, v39, v43, 0x5040100
	v_cndmask_b32_e32 v44, 0, v40, vcc_lo
	s_mov_b32 vcc_lo, s1
	v_cndmask_b32_sdwa v40, v96, v40, vcc_lo dst_sel:DWORD dst_unused:UNUSED_PAD src0_sel:DWORD src1_sel:WORD_1
	v_perm_b32 v40, v40, v44, 0x5040100
	s_or_b32 exec_lo, exec_lo, s15
	global_load_dwordx4 v[41:44], v[23:24], off offset:512
	s_and_saveexec_b32 s15, s0
	s_cbranch_execz .LBB159_38
.LBB159_52:                             ;   in Loop: Header=BB159_26 Depth=1
	v_cmp_gt_i32_e64 s1, s11, v99
	v_cmp_gt_i32_e32 vcc_lo, s14, v105
	v_cmp_gt_i32_e64 s2, s11, v104
	s_waitcnt vmcnt(0)
	v_cndmask_b32_e64 v53, 0, v41, s1
	v_cmp_gt_i32_e64 s1, s14, v103
	v_cndmask_b32_sdwa v41, v96, v41, vcc_lo dst_sel:DWORD dst_unused:UNUSED_PAD src0_sel:DWORD src1_sel:WORD_1
	v_cndmask_b32_e64 v54, 0, v42, s2
	v_cmp_gt_i32_e64 s2, s14, v102
	s_mov_b32 vcc_lo, s1
	v_cmp_gt_i32_e64 s1, s14, v75
	v_cndmask_b32_sdwa v42, v96, v42, vcc_lo dst_sel:DWORD dst_unused:UNUSED_PAD src0_sel:DWORD src1_sel:WORD_1
	v_cmp_gt_i32_e32 vcc_lo, s11, v76
	v_perm_b32 v41, v41, v53, 0x5040100
	v_perm_b32 v42, v42, v54, 0x5040100
	v_cndmask_b32_e32 v55, 0, v43, vcc_lo
	s_mov_b32 vcc_lo, s2
	v_cndmask_b32_sdwa v43, v96, v43, vcc_lo dst_sel:DWORD dst_unused:UNUSED_PAD src0_sel:DWORD src1_sel:WORD_1
	v_cmp_gt_i32_e32 vcc_lo, s11, v0
	v_perm_b32 v43, v43, v55, 0x5040100
	v_cndmask_b32_e32 v56, 0, v44, vcc_lo
	s_mov_b32 vcc_lo, s1
	v_cndmask_b32_sdwa v44, v96, v44, vcc_lo dst_sel:DWORD dst_unused:UNUSED_PAD src0_sel:DWORD src1_sel:WORD_1
	v_perm_b32 v44, v44, v56, 0x5040100
	s_or_b32 exec_lo, exec_lo, s15
	global_load_dwordx4 v[53:56], v[23:24], off offset:1024
	s_and_saveexec_b32 s15, s0
	s_cbranch_execz .LBB159_39
.LBB159_53:                             ;   in Loop: Header=BB159_26 Depth=1
	v_cmp_gt_i32_e64 s1, s11, v99
	v_cmp_gt_i32_e32 vcc_lo, s14, v105
	v_cmp_gt_i32_e64 s2, s11, v104
	s_waitcnt vmcnt(0)
	v_cndmask_b32_e64 v57, 0, v53, s1
	v_cmp_gt_i32_e64 s1, s14, v103
	v_cndmask_b32_sdwa v53, v96, v53, vcc_lo dst_sel:DWORD dst_unused:UNUSED_PAD src0_sel:DWORD src1_sel:WORD_1
	v_cndmask_b32_e64 v58, 0, v54, s2
	v_cmp_gt_i32_e64 s2, s14, v102
	s_mov_b32 vcc_lo, s1
	v_cmp_gt_i32_e64 s1, s14, v75
	v_cndmask_b32_sdwa v54, v96, v54, vcc_lo dst_sel:DWORD dst_unused:UNUSED_PAD src0_sel:DWORD src1_sel:WORD_1
	v_cmp_gt_i32_e32 vcc_lo, s11, v76
	v_perm_b32 v53, v53, v57, 0x5040100
	v_perm_b32 v54, v54, v58, 0x5040100
	v_cndmask_b32_e32 v59, 0, v55, vcc_lo
	s_mov_b32 vcc_lo, s2
	v_cndmask_b32_sdwa v55, v96, v55, vcc_lo dst_sel:DWORD dst_unused:UNUSED_PAD src0_sel:DWORD src1_sel:WORD_1
	v_cmp_gt_i32_e32 vcc_lo, s11, v0
	v_perm_b32 v55, v55, v59, 0x5040100
	v_cndmask_b32_e32 v60, 0, v56, vcc_lo
	s_mov_b32 vcc_lo, s1
	v_cndmask_b32_sdwa v56, v96, v56, vcc_lo dst_sel:DWORD dst_unused:UNUSED_PAD src0_sel:DWORD src1_sel:WORD_1
	v_perm_b32 v56, v56, v60, 0x5040100
	s_or_b32 exec_lo, exec_lo, s15
	global_load_dwordx4 v[57:60], v[23:24], off offset:1536
	s_and_saveexec_b32 s15, s0
	s_cbranch_execnz .LBB159_40
	s_branch .LBB159_41
.LBB159_54:                             ;   in Loop: Header=BB159_26 Depth=1
	v_cmp_gt_i32_e64 s1, s11, v99
	v_cmp_gt_i32_e32 vcc_lo, s14, v105
	v_cmp_gt_i32_e64 s2, s11, v104
	s_waitcnt vmcnt(0)
	v_cndmask_b32_e64 v23, 0, v61, s1
	v_cmp_gt_i32_e64 s1, s14, v103
	v_cndmask_b32_sdwa v61, v96, v61, vcc_lo dst_sel:DWORD dst_unused:UNUSED_PAD src0_sel:DWORD src1_sel:WORD_1
	v_cndmask_b32_e64 v24, 0, v62, s2
	v_cmp_gt_i32_e64 s2, s14, v102
	s_mov_b32 vcc_lo, s1
	v_cmp_gt_i32_e64 s1, s14, v75
	v_cndmask_b32_sdwa v62, v96, v62, vcc_lo dst_sel:DWORD dst_unused:UNUSED_PAD src0_sel:DWORD src1_sel:WORD_1
	v_cmp_gt_i32_e32 vcc_lo, s11, v76
	v_perm_b32 v61, v61, v23, 0x5040100
	v_perm_b32 v62, v62, v24, 0x5040100
	v_cndmask_b32_e32 v65, 0, v63, vcc_lo
	s_mov_b32 vcc_lo, s2
	v_cndmask_b32_sdwa v63, v96, v63, vcc_lo dst_sel:DWORD dst_unused:UNUSED_PAD src0_sel:DWORD src1_sel:WORD_1
	v_cmp_gt_i32_e32 vcc_lo, s11, v0
	v_perm_b32 v63, v63, v65, 0x5040100
	v_cndmask_b32_e32 v66, 0, v64, vcc_lo
	s_mov_b32 vcc_lo, s1
	v_cndmask_b32_sdwa v64, v96, v64, vcc_lo dst_sel:DWORD dst_unused:UNUSED_PAD src0_sel:DWORD src1_sel:WORD_1
	v_perm_b32 v64, v64, v66, 0x5040100
	s_or_b32 exec_lo, exec_lo, s15
	global_load_dwordx4 v[65:68], v[21:22], off offset:512
	s_and_saveexec_b32 s15, s0
	s_cbranch_execz .LBB159_43
.LBB159_55:                             ;   in Loop: Header=BB159_26 Depth=1
	v_cmp_gt_i32_e64 s1, s11, v99
	v_cmp_gt_i32_e32 vcc_lo, s14, v105
	v_cmp_gt_i32_e64 s2, s11, v104
	s_waitcnt vmcnt(0)
	v_cndmask_b32_e64 v23, 0, v65, s1
	v_cmp_gt_i32_e64 s1, s14, v103
	v_cndmask_b32_sdwa v65, v96, v65, vcc_lo dst_sel:DWORD dst_unused:UNUSED_PAD src0_sel:DWORD src1_sel:WORD_1
	v_cndmask_b32_e64 v24, 0, v66, s2
	v_cmp_gt_i32_e64 s2, s14, v102
	s_mov_b32 vcc_lo, s1
	v_cmp_gt_i32_e64 s1, s14, v75
	v_cndmask_b32_sdwa v66, v96, v66, vcc_lo dst_sel:DWORD dst_unused:UNUSED_PAD src0_sel:DWORD src1_sel:WORD_1
	v_cmp_gt_i32_e32 vcc_lo, s11, v76
	v_perm_b32 v65, v65, v23, 0x5040100
	v_perm_b32 v66, v66, v24, 0x5040100
	v_cndmask_b32_e32 v69, 0, v67, vcc_lo
	s_mov_b32 vcc_lo, s2
	v_cndmask_b32_sdwa v67, v96, v67, vcc_lo dst_sel:DWORD dst_unused:UNUSED_PAD src0_sel:DWORD src1_sel:WORD_1
	v_cmp_gt_i32_e32 vcc_lo, s11, v0
	v_perm_b32 v67, v67, v69, 0x5040100
	v_cndmask_b32_e32 v70, 0, v68, vcc_lo
	s_mov_b32 vcc_lo, s1
	v_cndmask_b32_sdwa v68, v96, v68, vcc_lo dst_sel:DWORD dst_unused:UNUSED_PAD src0_sel:DWORD src1_sel:WORD_1
	v_perm_b32 v68, v68, v70, 0x5040100
	s_or_b32 exec_lo, exec_lo, s15
	global_load_dwordx4 v[69:72], v[21:22], off offset:1024
	s_and_saveexec_b32 s15, s0
	s_cbranch_execz .LBB159_44
.LBB159_56:                             ;   in Loop: Header=BB159_26 Depth=1
	v_cmp_gt_i32_e64 s1, s11, v99
	v_cmp_gt_i32_e32 vcc_lo, s14, v105
	v_cmp_gt_i32_e64 s2, s11, v104
	s_waitcnt vmcnt(0)
	v_cndmask_b32_e64 v23, 0, v69, s1
	v_cmp_gt_i32_e64 s1, s14, v103
	v_cndmask_b32_sdwa v69, v96, v69, vcc_lo dst_sel:DWORD dst_unused:UNUSED_PAD src0_sel:DWORD src1_sel:WORD_1
	v_cndmask_b32_e64 v24, 0, v70, s2
	v_cmp_gt_i32_e64 s2, s14, v102
	s_mov_b32 vcc_lo, s1
	v_cmp_gt_i32_e64 s1, s14, v75
	v_cndmask_b32_sdwa v70, v96, v70, vcc_lo dst_sel:DWORD dst_unused:UNUSED_PAD src0_sel:DWORD src1_sel:WORD_1
	v_cmp_gt_i32_e32 vcc_lo, s11, v76
	v_perm_b32 v69, v69, v23, 0x5040100
	v_perm_b32 v70, v70, v24, 0x5040100
	v_cndmask_b32_e32 v106, 0, v71, vcc_lo
	s_mov_b32 vcc_lo, s2
	v_cndmask_b32_sdwa v71, v96, v71, vcc_lo dst_sel:DWORD dst_unused:UNUSED_PAD src0_sel:DWORD src1_sel:WORD_1
	v_cmp_gt_i32_e32 vcc_lo, s11, v0
	v_perm_b32 v71, v71, v106, 0x5040100
	v_cndmask_b32_e32 v107, 0, v72, vcc_lo
	s_mov_b32 vcc_lo, s1
	v_cndmask_b32_sdwa v72, v96, v72, vcc_lo dst_sel:DWORD dst_unused:UNUSED_PAD src0_sel:DWORD src1_sel:WORD_1
	v_perm_b32 v72, v72, v107, 0x5040100
	s_or_b32 exec_lo, exec_lo, s15
	global_load_dwordx4 v[21:24], v[21:22], off offset:1536
	s_and_saveexec_b32 s2, s0
	s_cbranch_execz .LBB159_25
.LBB159_57:                             ;   in Loop: Header=BB159_26 Depth=1
	v_cmp_gt_i32_e64 s0, s11, v99
	v_cmp_gt_i32_e32 vcc_lo, s14, v105
	v_cmp_gt_i32_e64 s1, s11, v104
	s_waitcnt vmcnt(0)
	v_cndmask_b32_e64 v105, 0, v21, s0
	v_cmp_gt_i32_e64 s0, s14, v103
	v_cndmask_b32_sdwa v21, v96, v21, vcc_lo dst_sel:DWORD dst_unused:UNUSED_PAD src0_sel:DWORD src1_sel:WORD_1
	v_cndmask_b32_e64 v103, 0, v22, s1
	v_cmp_gt_i32_e64 s1, s14, v102
	s_mov_b32 vcc_lo, s0
	v_cmp_gt_i32_e64 s0, s14, v75
	v_cndmask_b32_sdwa v22, v96, v22, vcc_lo dst_sel:DWORD dst_unused:UNUSED_PAD src0_sel:DWORD src1_sel:WORD_1
	v_cmp_gt_i32_e32 vcc_lo, s11, v76
	v_perm_b32 v21, v21, v105, 0x5040100
	v_perm_b32 v22, v22, v103, 0x5040100
	v_cndmask_b32_e32 v76, 0, v23, vcc_lo
	s_mov_b32 vcc_lo, s1
	v_cndmask_b32_sdwa v23, v96, v23, vcc_lo dst_sel:DWORD dst_unused:UNUSED_PAD src0_sel:DWORD src1_sel:WORD_1
	v_cmp_gt_i32_e32 vcc_lo, s11, v0
	v_perm_b32 v23, v23, v76, 0x5040100
	v_cndmask_b32_e32 v0, 0, v24, vcc_lo
	s_mov_b32 vcc_lo, s0
	v_cndmask_b32_sdwa v24, v96, v24, vcc_lo dst_sel:DWORD dst_unused:UNUSED_PAD src0_sel:DWORD src1_sel:WORD_1
	v_perm_b32 v24, v24, v0, 0x5040100
	s_branch .LBB159_25
.LBB159_58:
	s_or_b32 exec_lo, exec_lo, s13
.LBB159_59:
	s_or_b32 exec_lo, exec_lo, s3
	ds_bpermute_b32 v1, v78, v95
	ds_bpermute_b32 v0, v78, v93
	;; [unrolled: 1-line block ×16, first 2 shown]
	s_mov_b32 s0, exec_lo
	s_waitcnt lgkmcnt(0)
	s_barrier
	buffer_gl0_inv
	v_add_f32_e32 v1, v95, v1
	v_add_f32_e32 v0, v93, v0
	;; [unrolled: 1-line block ×6, first 2 shown]
	ds_bpermute_b32 v17, v77, v1
	v_add_f32_e32 v6, v89, v6
	v_add_f32_e32 v7, v88, v7
	;; [unrolled: 1-line block ×10, first 2 shown]
	ds_bpermute_b32 v16, v77, v0
	ds_bpermute_b32 v18, v77, v2
	;; [unrolled: 1-line block ×15, first 2 shown]
	s_waitcnt lgkmcnt(15)
	v_add_f32_e32 v14, v1, v17
	v_and_b32_e32 v17, 28, v110
	s_waitcnt lgkmcnt(14)
	v_add_f32_e32 v15, v0, v16
	s_waitcnt lgkmcnt(13)
	v_add_f32_e32 v13, v2, v18
	;; [unrolled: 2-line block ×14, first 2 shown]
	v_and_b32_e32 v19, 0x3c3, v108
	s_waitcnt lgkmcnt(0)
	v_add_f32_e32 v2, v35, v38
	v_lshrrev_b32_e32 v16, 2, v110
	v_add_nc_u32_e32 v17, 0x120, v17
	v_lshlrev_b32_e32 v18, 9, v109
	v_cmpx_eq_u32_e32 64, v19
	s_cbranch_execz .LBB159_61
; %bb.60:
	v_add_nc_u32_e32 v19, v17, v18
	v_add_nc_u32_e32 v20, 0xfffffc00, v19
	;; [unrolled: 1-line block ×7, first 2 shown]
	ds_write_b32 v20, v15
	ds_write_b32 v21, v14
	;; [unrolled: 1-line block ×6, first 2 shown]
	v_add_nc_u32_e32 v20, 0xfffffcc0, v19
	v_add_nc_u32_e32 v21, 0xfffffce0, v19
	;; [unrolled: 1-line block ×5, first 2 shown]
	ds_write_b32 v20, v9
	ds_write_b32 v21, v8
	;; [unrolled: 1-line block ×5, first 2 shown]
	v_add_nc_u32_e32 v20, 0xfffffd60, v19
	v_add_nc_u32_e32 v21, 0xfffffd80, v19
	;; [unrolled: 1-line block ×5, first 2 shown]
	ds_write_b32 v20, v4
	ds_write_b32 v21, v3
	;; [unrolled: 1-line block ×5, first 2 shown]
.LBB159_61:
	s_or_b32 exec_lo, exec_lo, s0
	v_lshlrev_b32_e32 v16, 2, v16
	s_mov_b32 s1, exec_lo
	v_cmp_eq_u32_e32 vcc_lo, 0, v79
	s_waitcnt lgkmcnt(0)
	s_barrier
	v_add3_u32 v16, 0x120, v18, v16
	buffer_gl0_inv
	v_cmpx_gt_u32_e32 64, v108
	s_cbranch_execz .LBB159_80
; %bb.62:
	s_and_saveexec_b32 s0, vcc_lo
	s_cbranch_execnz .LBB159_104
; %bb.63:
	s_or_b32 exec_lo, exec_lo, s0
	s_and_saveexec_b32 s0, vcc_lo
	s_cbranch_execnz .LBB159_105
.LBB159_64:
	s_or_b32 exec_lo, exec_lo, s0
	s_and_saveexec_b32 s0, vcc_lo
	s_cbranch_execnz .LBB159_106
.LBB159_65:
	s_or_b32 exec_lo, exec_lo, s0
	s_and_saveexec_b32 s0, vcc_lo
	s_cbranch_execnz .LBB159_107
.LBB159_66:
	s_or_b32 exec_lo, exec_lo, s0
	s_and_saveexec_b32 s0, vcc_lo
	s_cbranch_execnz .LBB159_108
.LBB159_67:
	s_or_b32 exec_lo, exec_lo, s0
	s_and_saveexec_b32 s0, vcc_lo
	s_cbranch_execnz .LBB159_109
.LBB159_68:
	s_or_b32 exec_lo, exec_lo, s0
	s_and_saveexec_b32 s0, vcc_lo
	s_cbranch_execnz .LBB159_110
.LBB159_69:
	s_or_b32 exec_lo, exec_lo, s0
	s_and_saveexec_b32 s0, vcc_lo
	s_cbranch_execnz .LBB159_111
.LBB159_70:
	s_or_b32 exec_lo, exec_lo, s0
	s_and_saveexec_b32 s0, vcc_lo
	s_cbranch_execnz .LBB159_112
.LBB159_71:
	s_or_b32 exec_lo, exec_lo, s0
	s_and_saveexec_b32 s0, vcc_lo
	s_cbranch_execnz .LBB159_113
.LBB159_72:
	s_or_b32 exec_lo, exec_lo, s0
	s_and_saveexec_b32 s0, vcc_lo
	s_cbranch_execnz .LBB159_114
.LBB159_73:
	s_or_b32 exec_lo, exec_lo, s0
	s_and_saveexec_b32 s0, vcc_lo
	s_cbranch_execnz .LBB159_115
.LBB159_74:
	s_or_b32 exec_lo, exec_lo, s0
	s_and_saveexec_b32 s0, vcc_lo
	s_cbranch_execnz .LBB159_116
.LBB159_75:
	s_or_b32 exec_lo, exec_lo, s0
	s_and_saveexec_b32 s0, vcc_lo
	s_cbranch_execnz .LBB159_117
.LBB159_76:
	s_or_b32 exec_lo, exec_lo, s0
	s_and_saveexec_b32 s0, vcc_lo
	s_cbranch_execnz .LBB159_118
.LBB159_77:
	s_or_b32 exec_lo, exec_lo, s0
	s_and_saveexec_b32 s0, vcc_lo
	s_cbranch_execz .LBB159_79
.LBB159_78:
	ds_read_b32 v18, v16 offset:480
	s_waitcnt lgkmcnt(0)
	v_add_f32_e32 v2, v2, v18
.LBB159_79:
	s_or_b32 exec_lo, exec_lo, s0
.LBB159_80:
	s_or_b32 exec_lo, exec_lo, s1
	v_and_b32_e32 v18, 0x3e3, v108
	s_mov_b32 s1, exec_lo
	s_barrier
	buffer_gl0_inv
	v_cmpx_eq_u32_e32 32, v18
	s_cbranch_execz .LBB159_82
; %bb.81:
	ds_write2_b32 v17, v15, v14 offset1:8
	ds_write2_b32 v17, v13, v12 offset0:16 offset1:24
	ds_write2_b32 v17, v11, v10 offset0:32 offset1:40
	;; [unrolled: 1-line block ×7, first 2 shown]
.LBB159_82:
	s_or_b32 exec_lo, exec_lo, s1
	s_mov_b32 s1, exec_lo
	s_waitcnt lgkmcnt(0)
	s_barrier
	buffer_gl0_inv
	v_cmpx_gt_u32_e32 32, v108
	s_cbranch_execz .LBB159_101
; %bb.83:
	s_and_saveexec_b32 s0, vcc_lo
	s_cbranch_execnz .LBB159_119
; %bb.84:
	s_or_b32 exec_lo, exec_lo, s0
	s_and_saveexec_b32 s0, vcc_lo
	s_cbranch_execnz .LBB159_120
.LBB159_85:
	s_or_b32 exec_lo, exec_lo, s0
	s_and_saveexec_b32 s0, vcc_lo
	s_cbranch_execnz .LBB159_121
.LBB159_86:
	s_or_b32 exec_lo, exec_lo, s0
	s_and_saveexec_b32 s0, vcc_lo
	s_cbranch_execnz .LBB159_122
.LBB159_87:
	s_or_b32 exec_lo, exec_lo, s0
	s_and_saveexec_b32 s0, vcc_lo
	s_cbranch_execnz .LBB159_123
.LBB159_88:
	s_or_b32 exec_lo, exec_lo, s0
	s_and_saveexec_b32 s0, vcc_lo
	s_cbranch_execnz .LBB159_124
.LBB159_89:
	s_or_b32 exec_lo, exec_lo, s0
	s_and_saveexec_b32 s0, vcc_lo
	s_cbranch_execnz .LBB159_125
.LBB159_90:
	s_or_b32 exec_lo, exec_lo, s0
	s_and_saveexec_b32 s0, vcc_lo
	s_cbranch_execnz .LBB159_126
.LBB159_91:
	s_or_b32 exec_lo, exec_lo, s0
	s_and_saveexec_b32 s0, vcc_lo
	s_cbranch_execnz .LBB159_127
.LBB159_92:
	s_or_b32 exec_lo, exec_lo, s0
	s_and_saveexec_b32 s0, vcc_lo
	s_cbranch_execnz .LBB159_128
.LBB159_93:
	s_or_b32 exec_lo, exec_lo, s0
	s_and_saveexec_b32 s0, vcc_lo
	s_cbranch_execnz .LBB159_129
.LBB159_94:
	s_or_b32 exec_lo, exec_lo, s0
	s_and_saveexec_b32 s0, vcc_lo
	s_cbranch_execnz .LBB159_130
.LBB159_95:
	s_or_b32 exec_lo, exec_lo, s0
	s_and_saveexec_b32 s0, vcc_lo
	s_cbranch_execnz .LBB159_131
.LBB159_96:
	s_or_b32 exec_lo, exec_lo, s0
	s_and_saveexec_b32 s0, vcc_lo
	s_cbranch_execnz .LBB159_132
.LBB159_97:
	s_or_b32 exec_lo, exec_lo, s0
	s_and_saveexec_b32 s0, vcc_lo
	s_cbranch_execnz .LBB159_133
.LBB159_98:
	s_or_b32 exec_lo, exec_lo, s0
	s_and_saveexec_b32 s0, vcc_lo
	s_cbranch_execz .LBB159_100
.LBB159_99:
	ds_read_b32 v16, v16 offset:480
	s_waitcnt lgkmcnt(0)
	v_add_f32_e32 v2, v2, v16
.LBB159_100:
	s_or_b32 exec_lo, exec_lo, s0
.LBB159_101:
	s_or_b32 exec_lo, exec_lo, s1
	s_barrier
	buffer_gl0_inv
	s_mov_b32 s0, exec_lo
	v_cmpx_eq_u32_e32 0, v18
	s_cbranch_execz .LBB159_103
; %bb.102:
	s_mul_i32 s0, s10, s7
	s_mul_i32 s2, s7, s6
	;; [unrolled: 1-line block ×3, first 2 shown]
	v_bfe_u32 v17, v15, 16, 1
	s_lshl_b32 s0, s0, 7
	v_or_b32_e32 v18, 0x400000, v15
	s_ashr_i32 s1, s0, 31
	v_bfe_u32 v19, v14, 16, 1
	s_lshl_b64 s[0:1], s[0:1], 1
	v_add3_u32 v17, v17, v15, 0x7fff
	s_add_u32 s4, s16, s0
	s_addc_u32 s5, s17, s1
	s_ashr_i32 s3, s2, 31
	v_cmp_u_f32_e32 vcc_lo, v15, v15
	s_lshl_b64 s[0:1], s[2:3], 1
	v_lshrrev_b32_e32 v16, 1, v108
	s_add_u32 s2, s4, s0
	s_addc_u32 s3, s5, s1
	s_lshl_b32 s0, s8, 7
	v_cndmask_b32_e32 v15, v17, v18, vcc_lo
	s_ashr_i32 s1, s0, 31
	v_bfe_u32 v17, v13, 16, 1
	s_lshl_b64 s[0:1], s[0:1], 1
	v_add3_u32 v18, v19, v14, 0x7fff
	v_or_b32_e32 v19, 0x400000, v14
	v_cmp_u_f32_e32 vcc_lo, v14, v14
	s_add_u32 s0, s2, s0
	s_addc_u32 s1, s3, s1
	global_store_short_d16_hi v16, v15, s[0:1]
	v_add3_u32 v15, v17, v13, 0x7fff
	v_or_b32_e32 v17, 0x400000, v13
	v_cndmask_b32_e32 v14, v18, v19, vcc_lo
	v_bfe_u32 v18, v12, 16, 1
	v_cmp_u_f32_e32 vcc_lo, v13, v13
	global_store_short_d16_hi v16, v14, s[0:1] offset:16
	v_add3_u32 v14, v18, v12, 0x7fff
	v_cndmask_b32_e32 v13, v15, v17, vcc_lo
	v_bfe_u32 v15, v11, 16, 1
	v_or_b32_e32 v17, 0x400000, v12
	v_cmp_u_f32_e32 vcc_lo, v12, v12
	global_store_short_d16_hi v16, v13, s[0:1] offset:32
	v_add3_u32 v13, v15, v11, 0x7fff
	v_or_b32_e32 v15, 0x400000, v11
	v_cndmask_b32_e32 v12, v14, v17, vcc_lo
	v_bfe_u32 v14, v10, 16, 1
	v_cmp_u_f32_e32 vcc_lo, v11, v11
	global_store_short_d16_hi v16, v12, s[0:1] offset:48
	v_add3_u32 v12, v14, v10, 0x7fff
	v_cndmask_b32_e32 v11, v13, v15, vcc_lo
	v_bfe_u32 v13, v9, 16, 1
	v_or_b32_e32 v14, 0x400000, v10
	v_cmp_u_f32_e32 vcc_lo, v10, v10
	global_store_short_d16_hi v16, v11, s[0:1] offset:64
	v_add3_u32 v11, v13, v9, 0x7fff
	v_or_b32_e32 v13, 0x400000, v9
	v_cndmask_b32_e32 v10, v12, v14, vcc_lo
	v_bfe_u32 v12, v8, 16, 1
	v_cmp_u_f32_e32 vcc_lo, v9, v9
	global_store_short_d16_hi v16, v10, s[0:1] offset:80
	v_add3_u32 v10, v12, v8, 0x7fff
	v_cndmask_b32_e32 v9, v11, v13, vcc_lo
	v_bfe_u32 v11, v7, 16, 1
	v_or_b32_e32 v12, 0x400000, v8
	v_cmp_u_f32_e32 vcc_lo, v8, v8
	global_store_short_d16_hi v16, v9, s[0:1] offset:96
	v_add3_u32 v9, v11, v7, 0x7fff
	v_or_b32_e32 v11, 0x400000, v7
	v_cndmask_b32_e32 v8, v10, v12, vcc_lo
	v_bfe_u32 v10, v6, 16, 1
	v_cmp_u_f32_e32 vcc_lo, v7, v7
	global_store_short_d16_hi v16, v8, s[0:1] offset:112
	v_add3_u32 v8, v10, v6, 0x7fff
	v_cndmask_b32_e32 v7, v9, v11, vcc_lo
	v_bfe_u32 v9, v5, 16, 1
	v_or_b32_e32 v10, 0x400000, v6
	v_cmp_u_f32_e32 vcc_lo, v6, v6
	global_store_short_d16_hi v16, v7, s[0:1] offset:128
	v_add3_u32 v7, v9, v5, 0x7fff
	v_or_b32_e32 v9, 0x400000, v5
	v_cndmask_b32_e32 v6, v8, v10, vcc_lo
	v_bfe_u32 v8, v4, 16, 1
	v_cmp_u_f32_e32 vcc_lo, v5, v5
	v_or_b32_e32 v10, 0x400000, v2
	global_store_short_d16_hi v16, v6, s[0:1] offset:144
	v_add3_u32 v6, v8, v4, 0x7fff
	v_cndmask_b32_e32 v5, v7, v9, vcc_lo
	v_bfe_u32 v7, v3, 16, 1
	v_or_b32_e32 v8, 0x400000, v4
	v_cmp_u_f32_e32 vcc_lo, v4, v4
	v_or_b32_e32 v9, 0x400000, v1
	global_store_short_d16_hi v16, v5, s[0:1] offset:160
	v_add3_u32 v5, v7, v3, 0x7fff
	v_or_b32_e32 v7, 0x400000, v3
	v_cndmask_b32_e32 v4, v6, v8, vcc_lo
	v_bfe_u32 v6, v0, 16, 1
	v_cmp_u_f32_e32 vcc_lo, v3, v3
	v_bfe_u32 v8, v1, 16, 1
	v_add3_u32 v6, v6, v0, 0x7fff
	v_cndmask_b32_e32 v3, v5, v7, vcc_lo
	v_or_b32_e32 v7, 0x400000, v0
	v_cmp_u_f32_e32 vcc_lo, v0, v0
	v_bfe_u32 v5, v2, 16, 1
	v_add3_u32 v8, v8, v1, 0x7fff
	v_cndmask_b32_e32 v0, v6, v7, vcc_lo
	v_cmp_u_f32_e32 vcc_lo, v1, v1
	v_add3_u32 v5, v5, v2, 0x7fff
	v_cndmask_b32_e32 v1, v8, v9, vcc_lo
	v_cmp_u_f32_e32 vcc_lo, v2, v2
	v_cndmask_b32_e32 v2, v5, v10, vcc_lo
	global_store_short_d16_hi v16, v4, s[0:1] offset:176
	global_store_short_d16_hi v16, v3, s[0:1] offset:192
	;; [unrolled: 1-line block ×5, first 2 shown]
.LBB159_103:
	s_endpgm
.LBB159_104:
	ds_read_b32 v18, v16
	s_waitcnt lgkmcnt(0)
	v_add_f32_e32 v15, v15, v18
	s_or_b32 exec_lo, exec_lo, s0
	s_and_saveexec_b32 s0, vcc_lo
	s_cbranch_execz .LBB159_64
.LBB159_105:
	ds_read_b32 v18, v16 offset:32
	s_waitcnt lgkmcnt(0)
	v_add_f32_e32 v14, v14, v18
	s_or_b32 exec_lo, exec_lo, s0
	s_and_saveexec_b32 s0, vcc_lo
	s_cbranch_execz .LBB159_65
.LBB159_106:
	ds_read_b32 v18, v16 offset:64
	s_waitcnt lgkmcnt(0)
	v_add_f32_e32 v13, v13, v18
	s_or_b32 exec_lo, exec_lo, s0
	s_and_saveexec_b32 s0, vcc_lo
	s_cbranch_execz .LBB159_66
.LBB159_107:
	ds_read_b32 v18, v16 offset:96
	s_waitcnt lgkmcnt(0)
	v_add_f32_e32 v12, v12, v18
	s_or_b32 exec_lo, exec_lo, s0
	s_and_saveexec_b32 s0, vcc_lo
	s_cbranch_execz .LBB159_67
.LBB159_108:
	ds_read_b32 v18, v16 offset:128
	s_waitcnt lgkmcnt(0)
	v_add_f32_e32 v11, v11, v18
	s_or_b32 exec_lo, exec_lo, s0
	s_and_saveexec_b32 s0, vcc_lo
	s_cbranch_execz .LBB159_68
.LBB159_109:
	ds_read_b32 v18, v16 offset:160
	s_waitcnt lgkmcnt(0)
	v_add_f32_e32 v10, v10, v18
	s_or_b32 exec_lo, exec_lo, s0
	s_and_saveexec_b32 s0, vcc_lo
	s_cbranch_execz .LBB159_69
.LBB159_110:
	ds_read_b32 v18, v16 offset:192
	s_waitcnt lgkmcnt(0)
	v_add_f32_e32 v9, v9, v18
	s_or_b32 exec_lo, exec_lo, s0
	s_and_saveexec_b32 s0, vcc_lo
	s_cbranch_execz .LBB159_70
.LBB159_111:
	ds_read_b32 v18, v16 offset:224
	s_waitcnt lgkmcnt(0)
	v_add_f32_e32 v8, v8, v18
	s_or_b32 exec_lo, exec_lo, s0
	s_and_saveexec_b32 s0, vcc_lo
	s_cbranch_execz .LBB159_71
.LBB159_112:
	ds_read_b32 v18, v16 offset:256
	s_waitcnt lgkmcnt(0)
	v_add_f32_e32 v7, v7, v18
	s_or_b32 exec_lo, exec_lo, s0
	s_and_saveexec_b32 s0, vcc_lo
	s_cbranch_execz .LBB159_72
.LBB159_113:
	ds_read_b32 v18, v16 offset:288
	s_waitcnt lgkmcnt(0)
	v_add_f32_e32 v6, v6, v18
	s_or_b32 exec_lo, exec_lo, s0
	s_and_saveexec_b32 s0, vcc_lo
	s_cbranch_execz .LBB159_73
.LBB159_114:
	ds_read_b32 v18, v16 offset:320
	s_waitcnt lgkmcnt(0)
	v_add_f32_e32 v5, v5, v18
	s_or_b32 exec_lo, exec_lo, s0
	s_and_saveexec_b32 s0, vcc_lo
	s_cbranch_execz .LBB159_74
.LBB159_115:
	ds_read_b32 v18, v16 offset:352
	s_waitcnt lgkmcnt(0)
	v_add_f32_e32 v4, v4, v18
	s_or_b32 exec_lo, exec_lo, s0
	s_and_saveexec_b32 s0, vcc_lo
	s_cbranch_execz .LBB159_75
.LBB159_116:
	ds_read_b32 v18, v16 offset:384
	s_waitcnt lgkmcnt(0)
	v_add_f32_e32 v3, v3, v18
	s_or_b32 exec_lo, exec_lo, s0
	s_and_saveexec_b32 s0, vcc_lo
	s_cbranch_execz .LBB159_76
.LBB159_117:
	ds_read_b32 v18, v16 offset:416
	s_waitcnt lgkmcnt(0)
	v_add_f32_e32 v0, v0, v18
	s_or_b32 exec_lo, exec_lo, s0
	s_and_saveexec_b32 s0, vcc_lo
	s_cbranch_execz .LBB159_77
.LBB159_118:
	ds_read_b32 v18, v16 offset:448
	s_waitcnt lgkmcnt(0)
	v_add_f32_e32 v1, v1, v18
	s_or_b32 exec_lo, exec_lo, s0
	s_and_saveexec_b32 s0, vcc_lo
	s_cbranch_execnz .LBB159_78
	s_branch .LBB159_79
.LBB159_119:
	ds_read_b32 v17, v16
	s_waitcnt lgkmcnt(0)
	v_add_f32_e32 v15, v15, v17
	s_or_b32 exec_lo, exec_lo, s0
	s_and_saveexec_b32 s0, vcc_lo
	s_cbranch_execz .LBB159_85
.LBB159_120:
	ds_read_b32 v17, v16 offset:32
	s_waitcnt lgkmcnt(0)
	v_add_f32_e32 v14, v14, v17
	s_or_b32 exec_lo, exec_lo, s0
	s_and_saveexec_b32 s0, vcc_lo
	s_cbranch_execz .LBB159_86
.LBB159_121:
	ds_read_b32 v17, v16 offset:64
	s_waitcnt lgkmcnt(0)
	v_add_f32_e32 v13, v13, v17
	s_or_b32 exec_lo, exec_lo, s0
	s_and_saveexec_b32 s0, vcc_lo
	s_cbranch_execz .LBB159_87
.LBB159_122:
	ds_read_b32 v17, v16 offset:96
	s_waitcnt lgkmcnt(0)
	v_add_f32_e32 v12, v12, v17
	s_or_b32 exec_lo, exec_lo, s0
	s_and_saveexec_b32 s0, vcc_lo
	s_cbranch_execz .LBB159_88
.LBB159_123:
	ds_read_b32 v17, v16 offset:128
	s_waitcnt lgkmcnt(0)
	v_add_f32_e32 v11, v11, v17
	s_or_b32 exec_lo, exec_lo, s0
	s_and_saveexec_b32 s0, vcc_lo
	s_cbranch_execz .LBB159_89
.LBB159_124:
	ds_read_b32 v17, v16 offset:160
	s_waitcnt lgkmcnt(0)
	v_add_f32_e32 v10, v10, v17
	s_or_b32 exec_lo, exec_lo, s0
	s_and_saveexec_b32 s0, vcc_lo
	s_cbranch_execz .LBB159_90
.LBB159_125:
	ds_read_b32 v17, v16 offset:192
	s_waitcnt lgkmcnt(0)
	v_add_f32_e32 v9, v9, v17
	s_or_b32 exec_lo, exec_lo, s0
	s_and_saveexec_b32 s0, vcc_lo
	s_cbranch_execz .LBB159_91
.LBB159_126:
	ds_read_b32 v17, v16 offset:224
	s_waitcnt lgkmcnt(0)
	v_add_f32_e32 v8, v8, v17
	s_or_b32 exec_lo, exec_lo, s0
	s_and_saveexec_b32 s0, vcc_lo
	s_cbranch_execz .LBB159_92
.LBB159_127:
	ds_read_b32 v17, v16 offset:256
	s_waitcnt lgkmcnt(0)
	v_add_f32_e32 v7, v7, v17
	s_or_b32 exec_lo, exec_lo, s0
	s_and_saveexec_b32 s0, vcc_lo
	s_cbranch_execz .LBB159_93
.LBB159_128:
	ds_read_b32 v17, v16 offset:288
	s_waitcnt lgkmcnt(0)
	v_add_f32_e32 v6, v6, v17
	s_or_b32 exec_lo, exec_lo, s0
	s_and_saveexec_b32 s0, vcc_lo
	s_cbranch_execz .LBB159_94
.LBB159_129:
	ds_read_b32 v17, v16 offset:320
	s_waitcnt lgkmcnt(0)
	v_add_f32_e32 v5, v5, v17
	s_or_b32 exec_lo, exec_lo, s0
	s_and_saveexec_b32 s0, vcc_lo
	s_cbranch_execz .LBB159_95
.LBB159_130:
	ds_read_b32 v17, v16 offset:352
	s_waitcnt lgkmcnt(0)
	v_add_f32_e32 v4, v4, v17
	s_or_b32 exec_lo, exec_lo, s0
	s_and_saveexec_b32 s0, vcc_lo
	s_cbranch_execz .LBB159_96
.LBB159_131:
	ds_read_b32 v17, v16 offset:384
	s_waitcnt lgkmcnt(0)
	v_add_f32_e32 v3, v3, v17
	s_or_b32 exec_lo, exec_lo, s0
	s_and_saveexec_b32 s0, vcc_lo
	s_cbranch_execz .LBB159_97
.LBB159_132:
	ds_read_b32 v17, v16 offset:416
	s_waitcnt lgkmcnt(0)
	v_add_f32_e32 v0, v0, v17
	s_or_b32 exec_lo, exec_lo, s0
	s_and_saveexec_b32 s0, vcc_lo
	s_cbranch_execz .LBB159_98
.LBB159_133:
	ds_read_b32 v17, v16 offset:448
	s_waitcnt lgkmcnt(0)
	v_add_f32_e32 v1, v1, v17
	s_or_b32 exec_lo, exec_lo, s0
	s_and_saveexec_b32 s0, vcc_lo
	s_cbranch_execnz .LBB159_99
	s_branch .LBB159_100
	.section	.rodata,"a",@progbits
	.p2align	6, 0x0
	.amdhsa_kernel _ZN4vllm25paged_attention_v1_kernelI14__hip_bfloat16S1_Li128ELi32ELi128ELNS_18Fp8KVCacheDataTypeE0ELb0EEEvPT_PKS3_PKT0_S9_ifPKiSB_iPKfiiiSD_SD_iiiii
		.amdhsa_group_segment_fixed_size 288
		.amdhsa_private_segment_fixed_size 324
		.amdhsa_kernarg_size 384
		.amdhsa_user_sgpr_count 6
		.amdhsa_user_sgpr_private_segment_buffer 1
		.amdhsa_user_sgpr_dispatch_ptr 0
		.amdhsa_user_sgpr_queue_ptr 0
		.amdhsa_user_sgpr_kernarg_segment_ptr 1
		.amdhsa_user_sgpr_dispatch_id 0
		.amdhsa_user_sgpr_flat_scratch_init 0
		.amdhsa_user_sgpr_private_segment_size 0
		.amdhsa_wavefront_size32 1
		.amdhsa_uses_dynamic_stack 0
		.amdhsa_system_sgpr_private_segment_wavefront_offset 1
		.amdhsa_system_sgpr_workgroup_id_x 1
		.amdhsa_system_sgpr_workgroup_id_y 1
		.amdhsa_system_sgpr_workgroup_id_z 1
		.amdhsa_system_sgpr_workgroup_info 0
		.amdhsa_system_vgpr_workitem_id 0
		.amdhsa_next_free_vgpr 128
		.amdhsa_next_free_sgpr 40
		.amdhsa_reserve_vcc 1
		.amdhsa_reserve_flat_scratch 0
		.amdhsa_float_round_mode_32 0
		.amdhsa_float_round_mode_16_64 0
		.amdhsa_float_denorm_mode_32 3
		.amdhsa_float_denorm_mode_16_64 3
		.amdhsa_dx10_clamp 1
		.amdhsa_ieee_mode 1
		.amdhsa_fp16_overflow 0
		.amdhsa_workgroup_processor_mode 1
		.amdhsa_memory_ordered 1
		.amdhsa_forward_progress 1
		.amdhsa_shared_vgpr_count 0
		.amdhsa_exception_fp_ieee_invalid_op 0
		.amdhsa_exception_fp_denorm_src 0
		.amdhsa_exception_fp_ieee_div_zero 0
		.amdhsa_exception_fp_ieee_overflow 0
		.amdhsa_exception_fp_ieee_underflow 0
		.amdhsa_exception_fp_ieee_inexact 0
		.amdhsa_exception_int_div_zero 0
	.end_amdhsa_kernel
	.section	.text._ZN4vllm25paged_attention_v1_kernelI14__hip_bfloat16S1_Li128ELi32ELi128ELNS_18Fp8KVCacheDataTypeE0ELb0EEEvPT_PKS3_PKT0_S9_ifPKiSB_iPKfiiiSD_SD_iiiii,"axG",@progbits,_ZN4vllm25paged_attention_v1_kernelI14__hip_bfloat16S1_Li128ELi32ELi128ELNS_18Fp8KVCacheDataTypeE0ELb0EEEvPT_PKS3_PKT0_S9_ifPKiSB_iPKfiiiSD_SD_iiiii,comdat
.Lfunc_end159:
	.size	_ZN4vllm25paged_attention_v1_kernelI14__hip_bfloat16S1_Li128ELi32ELi128ELNS_18Fp8KVCacheDataTypeE0ELb0EEEvPT_PKS3_PKT0_S9_ifPKiSB_iPKfiiiSD_SD_iiiii, .Lfunc_end159-_ZN4vllm25paged_attention_v1_kernelI14__hip_bfloat16S1_Li128ELi32ELi128ELNS_18Fp8KVCacheDataTypeE0ELb0EEEvPT_PKS3_PKT0_S9_ifPKiSB_iPKfiiiSD_SD_iiiii
                                        ; -- End function
	.set _ZN4vllm25paged_attention_v1_kernelI14__hip_bfloat16S1_Li128ELi32ELi128ELNS_18Fp8KVCacheDataTypeE0ELb0EEEvPT_PKS3_PKT0_S9_ifPKiSB_iPKfiiiSD_SD_iiiii.num_vgpr, 128
	.set _ZN4vllm25paged_attention_v1_kernelI14__hip_bfloat16S1_Li128ELi32ELi128ELNS_18Fp8KVCacheDataTypeE0ELb0EEEvPT_PKS3_PKT0_S9_ifPKiSB_iPKfiiiSD_SD_iiiii.num_agpr, 0
	.set _ZN4vllm25paged_attention_v1_kernelI14__hip_bfloat16S1_Li128ELi32ELi128ELNS_18Fp8KVCacheDataTypeE0ELb0EEEvPT_PKS3_PKT0_S9_ifPKiSB_iPKfiiiSD_SD_iiiii.numbered_sgpr, 40
	.set _ZN4vllm25paged_attention_v1_kernelI14__hip_bfloat16S1_Li128ELi32ELi128ELNS_18Fp8KVCacheDataTypeE0ELb0EEEvPT_PKS3_PKT0_S9_ifPKiSB_iPKfiiiSD_SD_iiiii.num_named_barrier, 0
	.set _ZN4vllm25paged_attention_v1_kernelI14__hip_bfloat16S1_Li128ELi32ELi128ELNS_18Fp8KVCacheDataTypeE0ELb0EEEvPT_PKS3_PKT0_S9_ifPKiSB_iPKfiiiSD_SD_iiiii.private_seg_size, 324
	.set _ZN4vllm25paged_attention_v1_kernelI14__hip_bfloat16S1_Li128ELi32ELi128ELNS_18Fp8KVCacheDataTypeE0ELb0EEEvPT_PKS3_PKT0_S9_ifPKiSB_iPKfiiiSD_SD_iiiii.uses_vcc, 1
	.set _ZN4vllm25paged_attention_v1_kernelI14__hip_bfloat16S1_Li128ELi32ELi128ELNS_18Fp8KVCacheDataTypeE0ELb0EEEvPT_PKS3_PKT0_S9_ifPKiSB_iPKfiiiSD_SD_iiiii.uses_flat_scratch, 0
	.set _ZN4vllm25paged_attention_v1_kernelI14__hip_bfloat16S1_Li128ELi32ELi128ELNS_18Fp8KVCacheDataTypeE0ELb0EEEvPT_PKS3_PKT0_S9_ifPKiSB_iPKfiiiSD_SD_iiiii.has_dyn_sized_stack, 0
	.set _ZN4vllm25paged_attention_v1_kernelI14__hip_bfloat16S1_Li128ELi32ELi128ELNS_18Fp8KVCacheDataTypeE0ELb0EEEvPT_PKS3_PKT0_S9_ifPKiSB_iPKfiiiSD_SD_iiiii.has_recursion, 0
	.set _ZN4vllm25paged_attention_v1_kernelI14__hip_bfloat16S1_Li128ELi32ELi128ELNS_18Fp8KVCacheDataTypeE0ELb0EEEvPT_PKS3_PKT0_S9_ifPKiSB_iPKfiiiSD_SD_iiiii.has_indirect_call, 0
	.section	.AMDGPU.csdata,"",@progbits
; Kernel info:
; codeLenInByte = 20516
; TotalNumSgprs: 42
; NumVgprs: 128
; ScratchSize: 324
; MemoryBound: 0
; FloatMode: 240
; IeeeMode: 1
; LDSByteSize: 288 bytes/workgroup (compile time only)
; SGPRBlocks: 0
; VGPRBlocks: 15
; NumSGPRsForWavesPerEU: 42
; NumVGPRsForWavesPerEU: 128
; Occupancy: 8
; WaveLimiterHint : 1
; COMPUTE_PGM_RSRC2:SCRATCH_EN: 1
; COMPUTE_PGM_RSRC2:USER_SGPR: 6
; COMPUTE_PGM_RSRC2:TRAP_HANDLER: 0
; COMPUTE_PGM_RSRC2:TGID_X_EN: 1
; COMPUTE_PGM_RSRC2:TGID_Y_EN: 1
; COMPUTE_PGM_RSRC2:TGID_Z_EN: 1
; COMPUTE_PGM_RSRC2:TIDIG_COMP_CNT: 0
	.section	.text._ZN4vllm25paged_attention_v1_kernelI14__hip_bfloat16S1_Li192ELi32ELi128ELNS_18Fp8KVCacheDataTypeE0ELb0EEEvPT_PKS3_PKT0_S9_ifPKiSB_iPKfiiiSD_SD_iiiii,"axG",@progbits,_ZN4vllm25paged_attention_v1_kernelI14__hip_bfloat16S1_Li192ELi32ELi128ELNS_18Fp8KVCacheDataTypeE0ELb0EEEvPT_PKS3_PKT0_S9_ifPKiSB_iPKfiiiSD_SD_iiiii,comdat
	.protected	_ZN4vllm25paged_attention_v1_kernelI14__hip_bfloat16S1_Li192ELi32ELi128ELNS_18Fp8KVCacheDataTypeE0ELb0EEEvPT_PKS3_PKT0_S9_ifPKiSB_iPKfiiiSD_SD_iiiii ; -- Begin function _ZN4vllm25paged_attention_v1_kernelI14__hip_bfloat16S1_Li192ELi32ELi128ELNS_18Fp8KVCacheDataTypeE0ELb0EEEvPT_PKS3_PKT0_S9_ifPKiSB_iPKfiiiSD_SD_iiiii
	.globl	_ZN4vllm25paged_attention_v1_kernelI14__hip_bfloat16S1_Li192ELi32ELi128ELNS_18Fp8KVCacheDataTypeE0ELb0EEEvPT_PKS3_PKT0_S9_ifPKiSB_iPKfiiiSD_SD_iiiii
	.p2align	8
	.type	_ZN4vllm25paged_attention_v1_kernelI14__hip_bfloat16S1_Li192ELi32ELi128ELNS_18Fp8KVCacheDataTypeE0ELb0EEEvPT_PKS3_PKT0_S9_ifPKiSB_iPKfiiiSD_SD_iiiii,@function
_ZN4vllm25paged_attention_v1_kernelI14__hip_bfloat16S1_Li192ELi32ELi128ELNS_18Fp8KVCacheDataTypeE0ELb0EEEvPT_PKS3_PKT0_S9_ifPKiSB_iPKfiiiSD_SD_iiiii: ; @_ZN4vllm25paged_attention_v1_kernelI14__hip_bfloat16S1_Li192ELi32ELi128ELNS_18Fp8KVCacheDataTypeE0ELb0EEEvPT_PKS3_PKT0_S9_ifPKiSB_iPKfiiiSD_SD_iiiii
; %bb.0:
	s_mov_b64 s[38:39], s[2:3]
	s_mov_b64 s[36:37], s[0:1]
	s_mov_b32 s10, s7
	s_add_u32 s36, s36, s9
	s_clause 0x2
	s_load_dword s9, s[4:5], 0x80
	s_load_dwordx2 s[0:1], s[4:5], 0x30
	s_load_dwordx2 s[2:3], s[4:5], 0x20
	s_addc_u32 s37, s37, 0
	s_ashr_i32 s11, s7, 31
	v_mov_b32_e32 v50, v0
	s_lshl_b64 s[12:13], s[10:11], 2
	s_mov_b32 s24, 0
	s_waitcnt lgkmcnt(0)
	s_add_u32 s0, s0, s12
	s_addc_u32 s1, s1, s13
	s_abs_i32 s7, s2
	s_abs_i32 s13, s9
	v_cvt_f32_u32_e32 v0, s7
	s_sub_i32 s12, 0, s7
	s_xor_b32 s2, s9, s2
	s_ashr_i32 s2, s2, 31
	v_rcp_iflag_f32_e32 v0, v0
	v_mul_f32_e32 v0, 0x4f7ffffe, v0
	v_cvt_u32_f32_e32 v0, v0
	v_readfirstlane_b32 s11, v0
	s_mul_i32 s12, s12, s11
	s_mul_hi_u32 s12, s11, s12
	s_add_i32 s11, s11, s12
	s_mul_hi_u32 s11, s13, s11
	s_mul_i32 s12, s11, s7
	s_sub_i32 s12, s13, s12
	s_add_i32 s13, s11, 1
	s_sub_i32 s14, s12, s7
	s_cmp_ge_u32 s12, s7
	s_cselect_b32 s11, s13, s11
	s_cselect_b32 s12, s14, s12
	s_add_i32 s13, s11, 1
	s_cmp_ge_u32 s12, s7
	s_cselect_b32 s7, s13, s11
	s_load_dwordx2 s[12:13], s[4:5], 0x40
	s_xor_b32 s7, s7, s2
	s_abs_i32 s16, s6
	s_sub_i32 s17, s7, s2
	s_abs_i32 s2, s17
	v_cvt_f32_u32_e32 v0, s2
	s_sub_i32 s11, 0, s2
	v_rcp_iflag_f32_e32 v0, v0
	v_mul_f32_e32 v0, 0x4f7ffffe, v0
	v_cvt_u32_f32_e32 v0, v0
	v_readfirstlane_b32 s7, v0
	s_mul_i32 s11, s11, s7
	s_mul_hi_u32 s11, s7, s11
	s_add_i32 s7, s7, s11
	s_waitcnt lgkmcnt(0)
	s_cmp_eq_u64 s[12:13], 0
	s_mul_hi_u32 s22, s16, s7
	s_cbranch_scc1 .LBB160_2
; %bb.1:
	s_ashr_i32 s7, s6, 31
	s_lshl_b64 s[14:15], s[6:7], 2
	s_add_u32 s12, s12, s14
	s_addc_u32 s13, s13, s15
	s_load_dword s24, s[12:13], 0x0
.LBB160_2:
	s_load_dword s11, s[0:1], 0x0
	s_clause 0x1
	s_load_dwordx2 s[18:19], s[4:5], 0x28
	s_load_dwordx4 s[12:15], s[4:5], 0x48
	v_lshlrev_b32_e32 v10, 4, v50
	s_ashr_i32 s0, s6, 31
	s_ashr_i32 s1, s17, 31
	s_mulk_i32 s6, 0xc0
	s_waitcnt lgkmcnt(0)
	s_mov_b32 s15, exec_lo
	v_cmpx_gt_u32_e32 24, v50
	s_cbranch_execz .LBB160_4
; %bb.3:
	s_load_dwordx2 s[20:21], s[4:5], 0x8
	s_mul_i32 s26, s12, s10
	s_ashr_i32 s27, s26, 31
	s_lshl_b64 s[26:27], s[26:27], 1
	s_waitcnt lgkmcnt(0)
	s_add_u32 s12, s20, s26
	s_addc_u32 s17, s21, s27
	s_ashr_i32 s7, s6, 31
	s_lshl_b64 s[20:21], s[6:7], 1
	s_add_u32 s20, s12, s20
	s_addc_u32 s21, s17, s21
	global_load_dwordx4 v[0:3], v10, s[20:21]
	s_waitcnt vmcnt(0)
	ds_write_b128 v10, v[0:3]
.LBB160_4:
	s_or_b32 exec_lo, exec_lo, s15
	s_add_i32 s7, s11, 31
	s_xor_b32 s0, s0, s1
	s_ashr_i32 s12, s7, 31
	s_load_dword s15, s[4:5], 0x38
	s_lshr_b32 s1, s12, 27
	s_mul_i32 s12, s22, s2
	s_add_i32 s7, s7, s1
	s_sub_i32 s1, s16, s12
	s_ashr_i32 s12, s7, 5
	s_clause 0x2
	s_load_dwordx2 s[16:17], s[4:5], 0x0
	s_load_dwordx2 s[20:21], s[4:5], 0x18
	s_load_dword s7, s[4:5], 0x88
	s_add_i32 s23, s22, 1
	s_sub_i32 s25, s1, s2
	s_cmp_ge_u32 s1, s2
	v_lshrrev_b32_e32 v76, 5, v50
	s_cselect_b32 s22, s23, s22
	s_cselect_b32 s1, s25, s1
	s_add_i32 s23, s22, 1
	s_cmp_ge_u32 s1, s2
	v_and_b32_e32 v51, 31, v50
	s_cselect_b32 s1, s23, s22
	v_mov_b32_e32 v65, 0xff7fffff
	s_xor_b32 s1, s1, s0
	v_lshrrev_b32_e32 v26, 3, v50
	s_sub_i32 s1, s1, s0
	v_cmp_gt_i32_e64 s0, s12, v76
	v_lshlrev_b32_e32 v27, 2, v51
	s_waitcnt lgkmcnt(0)
	s_mul_i32 s22, s15, s10
	s_mul_i32 s14, s1, s14
	s_ashr_i32 s23, s22, 31
	s_barrier
	buffer_gl0_inv
	s_mov_b32 s25, exec_lo
	s_and_b32 s1, s25, s0
	buffer_store_dword v50, off, s[36:39], 0 offset:556 ; 4-byte Folded Spill
	buffer_store_dword v76, off, s[36:39], 0 offset:560 ; 4-byte Folded Spill
	buffer_store_dword v51, off, s[36:39], 0 offset:564 ; 4-byte Folded Spill
	s_mov_b32 exec_lo, s1
	s_cbranch_execz .LBB160_8
; %bb.5:
	v_mov_b32_e32 v1, 0
	buffer_store_dword v10, off, s[36:39], 0 offset:568 ; 4-byte Folded Spill
	s_load_dwordx2 s[26:27], s[4:5], 0x10
	s_ashr_i32 s15, s14, 31
	v_cmp_neq_f32_e64 vcc_lo, s24, 0
	ds_read_b128 v[2:5], v1
	ds_read_b128 v[6:9], v1 offset:16
	ds_read_b128 v[10:13], v1 offset:32
	;; [unrolled: 1-line block ×5, first 2 shown]
	s_lshl_b64 s[28:29], s[14:15], 1
	v_mov_b32_e32 v65, 0xff7fffff
	s_mov_b32 s4, s13
	s_mov_b32 s5, 0
	s_waitcnt lgkmcnt(0)
	v_and_b32_e32 v0, 0xffff0000, v2
	s_add_u32 s1, s26, s28
	s_addc_u32 s2, s27, s29
	s_lshl_b64 s[26:27], s[22:23], 2
	buffer_store_dword v0, off, s[36:39], 0 ; 4-byte Folded Spill
	v_lshlrev_b32_e32 v0, 16, v2
	s_sub_i32 s15, 1, s11
	s_add_u32 s26, s18, s26
	s_addc_u32 s27, s19, s27
	buffer_store_dword v0, off, s[36:39], 0 offset:4 ; 4-byte Folded Spill
	v_and_b32_e32 v0, 0xffff0000, v3
	buffer_store_dword v0, off, s[36:39], 0 offset:8 ; 4-byte Folded Spill
	v_lshlrev_b32_e32 v0, 16, v3
	buffer_store_dword v0, off, s[36:39], 0 offset:12 ; 4-byte Folded Spill
	v_and_b32_e32 v0, 0xffff0000, v4
	buffer_store_dword v0, off, s[36:39], 0 offset:16 ; 4-byte Folded Spill
	v_lshlrev_b32_e32 v0, 16, v4
	;; [unrolled: 4-line block ×3, first 2 shown]
	ds_read_b128 v[2:5], v1 offset:96
	buffer_store_dword v0, off, s[36:39], 0 offset:28 ; 4-byte Folded Spill
	v_and_b32_e32 v0, 0xffff0000, v6
	buffer_store_dword v0, off, s[36:39], 0 offset:32 ; 4-byte Folded Spill
	v_lshlrev_b32_e32 v0, 16, v6
	buffer_store_dword v0, off, s[36:39], 0 offset:36 ; 4-byte Folded Spill
	v_and_b32_e32 v0, 0xffff0000, v7
	buffer_store_dword v0, off, s[36:39], 0 offset:40 ; 4-byte Folded Spill
	v_lshlrev_b32_e32 v0, 16, v7
	;; [unrolled: 4-line block ×4, first 2 shown]
	ds_read_b128 v[6:9], v1 offset:112
	buffer_store_dword v0, off, s[36:39], 0 offset:60 ; 4-byte Folded Spill
	v_and_b32_e32 v0, 0xffff0000, v10
	buffer_store_dword v0, off, s[36:39], 0 offset:64 ; 4-byte Folded Spill
	v_lshlrev_b32_e32 v0, 16, v10
	v_mov_b32_e32 v10, v51
	buffer_store_dword v0, off, s[36:39], 0 offset:68 ; 4-byte Folded Spill
	v_and_b32_e32 v0, 0xffff0000, v11
	v_lshl_or_b32 v75, v76, 5, v10
	buffer_store_dword v0, off, s[36:39], 0 offset:72 ; 4-byte Folded Spill
	v_lshlrev_b32_e32 v0, 16, v11
	buffer_store_dword v0, off, s[36:39], 0 offset:76 ; 4-byte Folded Spill
	v_and_b32_e32 v0, 0xffff0000, v12
	buffer_store_dword v0, off, s[36:39], 0 offset:80 ; 4-byte Folded Spill
	v_lshlrev_b32_e32 v0, 16, v12
	buffer_store_dword v0, off, s[36:39], 0 offset:84 ; 4-byte Folded Spill
	v_and_b32_e32 v0, 0xffff0000, v13
	;; [unrolled: 4-line block ×14, first 2 shown]
	buffer_store_dword v0, off, s[36:39], 0 offset:184 ; 4-byte Folded Spill
	v_lshlrev_b32_e32 v0, 16, v25
	buffer_store_dword v0, off, s[36:39], 0 offset:188 ; 4-byte Folded Spill
	s_waitcnt lgkmcnt(1)
	v_and_b32_e32 v0, 0xffff0000, v2
	buffer_store_dword v0, off, s[36:39], 0 offset:192 ; 4-byte Folded Spill
	v_lshlrev_b32_e32 v0, 16, v2
	buffer_store_dword v0, off, s[36:39], 0 offset:196 ; 4-byte Folded Spill
	v_and_b32_e32 v0, 0xffff0000, v3
	buffer_store_dword v0, off, s[36:39], 0 offset:200 ; 4-byte Folded Spill
	v_lshlrev_b32_e32 v0, 16, v3
	buffer_store_dword v0, off, s[36:39], 0 offset:204 ; 4-byte Folded Spill
	;; [unrolled: 4-line block ×3, first 2 shown]
	v_and_b32_e32 v0, 0xffff0000, v5
	buffer_store_dword v0, off, s[36:39], 0 offset:216 ; 4-byte Folded Spill
	v_lshlrev_b32_e32 v0, 16, v5
	ds_read_b128 v[2:5], v1 offset:128
	buffer_store_dword v0, off, s[36:39], 0 offset:220 ; 4-byte Folded Spill
	s_waitcnt lgkmcnt(1)
	v_and_b32_e32 v0, 0xffff0000, v6
	buffer_store_dword v0, off, s[36:39], 0 offset:224 ; 4-byte Folded Spill
	v_lshlrev_b32_e32 v0, 16, v6
	buffer_store_dword v0, off, s[36:39], 0 offset:228 ; 4-byte Folded Spill
	v_and_b32_e32 v0, 0xffff0000, v7
	buffer_store_dword v0, off, s[36:39], 0 offset:232 ; 4-byte Folded Spill
	v_lshlrev_b32_e32 v0, 16, v7
	buffer_store_dword v0, off, s[36:39], 0 offset:236 ; 4-byte Folded Spill
	;; [unrolled: 4-line block ×3, first 2 shown]
	v_and_b32_e32 v0, 0xffff0000, v9
	buffer_store_dword v0, off, s[36:39], 0 offset:248 ; 4-byte Folded Spill
	v_lshlrev_b32_e32 v0, 16, v9
	ds_read_b128 v[6:9], v1 offset:144
	buffer_store_dword v0, off, s[36:39], 0 offset:252 ; 4-byte Folded Spill
	s_waitcnt lgkmcnt(1)
	v_and_b32_e32 v0, 0xffff0000, v2
	buffer_store_dword v0, off, s[36:39], 0 offset:256 ; 4-byte Folded Spill
	v_lshlrev_b32_e32 v0, 16, v2
	buffer_store_dword v0, off, s[36:39], 0 offset:260 ; 4-byte Folded Spill
	v_and_b32_e32 v0, 0xffff0000, v3
	buffer_store_dword v0, off, s[36:39], 0 offset:264 ; 4-byte Folded Spill
	v_lshlrev_b32_e32 v0, 16, v3
	buffer_store_dword v0, off, s[36:39], 0 offset:268 ; 4-byte Folded Spill
	v_and_b32_e32 v0, 0xffff0000, v4
	buffer_store_dword v0, off, s[36:39], 0 offset:272 ; 4-byte Folded Spill
	v_lshlrev_b32_e32 v0, 16, v4
	buffer_store_dword v0, off, s[36:39], 0 offset:276 ; 4-byte Folded Spill
	v_and_b32_e32 v0, 0xffff0000, v5
	buffer_store_dword v0, off, s[36:39], 0 offset:280 ; 4-byte Folded Spill
	v_lshlrev_b32_e32 v0, 16, v5
	buffer_store_dword v0, off, s[36:39], 0 offset:284 ; 4-byte Folded Spill
	s_waitcnt lgkmcnt(0)
	v_and_b32_e32 v0, 0xffff0000, v6
	buffer_store_dword v0, off, s[36:39], 0 offset:288 ; 4-byte Folded Spill
	v_lshlrev_b32_e32 v0, 16, v6
	buffer_store_dword v0, off, s[36:39], 0 offset:292 ; 4-byte Folded Spill
	v_and_b32_e32 v0, 0xffff0000, v7
	buffer_store_dword v0, off, s[36:39], 0 offset:296 ; 4-byte Folded Spill
	v_lshlrev_b32_e32 v0, 16, v7
	buffer_store_dword v0, off, s[36:39], 0 offset:300 ; 4-byte Folded Spill
	v_and_b32_e32 v0, 0xffff0000, v8
	buffer_store_dword v0, off, s[36:39], 0 offset:304 ; 4-byte Folded Spill
	v_lshlrev_b32_e32 v0, 16, v8
	buffer_store_dword v0, off, s[36:39], 0 offset:308 ; 4-byte Folded Spill
	v_and_b32_e32 v0, 0xffff0000, v9
	buffer_store_dword v0, off, s[36:39], 0 offset:312 ; 4-byte Folded Spill
	v_lshlrev_b32_e32 v0, 16, v9
	buffer_store_dword v0, off, s[36:39], 0 offset:316 ; 4-byte Folded Spill
	ds_read_b128 v[2:5], v1 offset:160
	ds_read_b128 v[6:9], v1 offset:176
	s_waitcnt lgkmcnt(1)
	v_and_b32_e32 v0, 0xffff0000, v2
	buffer_store_dword v0, off, s[36:39], 0 offset:320 ; 4-byte Folded Spill
	v_lshlrev_b32_e32 v0, 16, v2
	buffer_store_dword v0, off, s[36:39], 0 offset:324 ; 4-byte Folded Spill
	v_and_b32_e32 v0, 0xffff0000, v3
	buffer_store_dword v0, off, s[36:39], 0 offset:328 ; 4-byte Folded Spill
	v_lshlrev_b32_e32 v0, 16, v3
	buffer_store_dword v0, off, s[36:39], 0 offset:332 ; 4-byte Folded Spill
	v_and_b32_e32 v0, 0xffff0000, v4
	buffer_store_dword v0, off, s[36:39], 0 offset:336 ; 4-byte Folded Spill
	v_lshlrev_b32_e32 v0, 16, v4
	buffer_store_dword v0, off, s[36:39], 0 offset:340 ; 4-byte Folded Spill
	v_and_b32_e32 v0, 0xffff0000, v5
	buffer_store_dword v0, off, s[36:39], 0 offset:344 ; 4-byte Folded Spill
	v_lshlrev_b32_e32 v0, 16, v5
	buffer_store_dword v0, off, s[36:39], 0 offset:348 ; 4-byte Folded Spill
	s_waitcnt lgkmcnt(0)
	v_and_b32_e32 v0, 0xffff0000, v6
	buffer_store_dword v0, off, s[36:39], 0 offset:352 ; 4-byte Folded Spill
	v_lshlrev_b32_e32 v0, 16, v6
	buffer_store_dword v0, off, s[36:39], 0 offset:356 ; 4-byte Folded Spill
	v_and_b32_e32 v0, 0xffff0000, v7
	buffer_store_dword v0, off, s[36:39], 0 offset:360 ; 4-byte Folded Spill
	v_lshlrev_b32_e32 v0, 16, v7
	buffer_store_dword v0, off, s[36:39], 0 offset:364 ; 4-byte Folded Spill
	v_and_b32_e32 v0, 0xffff0000, v8
	buffer_store_dword v0, off, s[36:39], 0 offset:368 ; 4-byte Folded Spill
	v_lshlrev_b32_e32 v0, 16, v8
	buffer_store_dword v0, off, s[36:39], 0 offset:372 ; 4-byte Folded Spill
	v_and_b32_e32 v0, 0xffff0000, v9
	buffer_store_dword v0, off, s[36:39], 0 offset:376 ; 4-byte Folded Spill
	v_lshlrev_b32_e32 v0, 16, v9
	buffer_store_dword v0, off, s[36:39], 0 offset:380 ; 4-byte Folded Spill
	ds_read_b128 v[2:5], v1 offset:192
	ds_read_b128 v[6:9], v1 offset:208
	;; [unrolled: 36-line block ×4, first 2 shown]
	s_waitcnt lgkmcnt(1)
	v_and_b32_e32 v0, 0xffff0000, v2
	s_waitcnt lgkmcnt(0)
	v_lshlrev_b32_e32 v102, 16, v7
	v_and_b32_e32 v103, 0xffff0000, v8
	v_lshlrev_b32_e32 v104, 16, v8
	v_and_b32_e32 v105, 0xffff0000, v9
	buffer_store_dword v0, off, s[36:39], 0 offset:512 ; 4-byte Folded Spill
	v_lshlrev_b32_e32 v0, 16, v2
	v_lshlrev_b32_e32 v106, 16, v9
	buffer_store_dword v0, off, s[36:39], 0 offset:516 ; 4-byte Folded Spill
	v_and_b32_e32 v0, 0xffff0000, v3
	buffer_store_dword v0, off, s[36:39], 0 offset:520 ; 4-byte Folded Spill
	v_lshlrev_b32_e32 v0, 16, v3
	buffer_store_dword v0, off, s[36:39], 0 offset:524 ; 4-byte Folded Spill
	v_and_b32_e32 v0, 0xffff0000, v4
	buffer_store_dword v0, off, s[36:39], 0 offset:528 ; 4-byte Folded Spill
	;; [unrolled: 4-line block ×5, first 2 shown]
	ds_read_b128 v[2:5], v1 offset:288
	ds_read_b128 v[6:9], v1 offset:304
	s_waitcnt lgkmcnt(1)
	v_and_b32_e32 v107, 0xffff0000, v2
	v_lshlrev_b32_e32 v108, 16, v2
	v_and_b32_e32 v109, 0xffff0000, v3
	v_lshlrev_b32_e32 v110, 16, v3
	v_and_b32_e32 v111, 0xffff0000, v4
	v_lshlrev_b32_e32 v112, 16, v4
	v_and_b32_e32 v113, 0xffff0000, v5
	v_lshlrev_b32_e32 v114, 16, v5
	s_waitcnt lgkmcnt(0)
	v_and_b32_e32 v115, 0xffff0000, v6
	v_lshlrev_b32_e32 v116, 16, v6
	v_and_b32_e32 v117, 0xffff0000, v7
	v_lshlrev_b32_e32 v118, 16, v7
	;; [unrolled: 2-line block ×4, first 2 shown]
	ds_read_b128 v[2:5], v1 offset:320
	ds_read_b128 v[6:9], v1 offset:336
	s_waitcnt lgkmcnt(1)
	v_and_b32_e32 v123, 0xffff0000, v2
	v_lshlrev_b32_e32 v124, 16, v2
	v_and_b32_e32 v125, 0xffff0000, v3
	v_lshlrev_b32_e32 v126, 16, v3
	;; [unrolled: 2-line block ×4, first 2 shown]
	s_waitcnt lgkmcnt(0)
	v_and_b32_e32 v47, 0xffff0000, v6
	v_lshlrev_b32_e32 v48, 16, v6
	v_and_b32_e32 v49, 0xffff0000, v7
	v_lshlrev_b32_e32 v50, 16, v7
	;; [unrolled: 2-line block ×4, first 2 shown]
	ds_read_b128 v[2:5], v1 offset:352
	ds_read_b128 v[6:9], v1 offset:368
	v_lshl_or_b32 v1, v76, 7, v27
	buffer_store_dword v27, off, s[36:39], 0 offset:576 ; 4-byte Folded Spill
	buffer_store_dword v26, off, s[36:39], 0 offset:572 ; 4-byte Folded Spill
	v_add_nc_u32_e32 v72, 0x1a0, v1
	v_and_b32_e32 v1, 0x7c, v26
	v_add_co_u32 v41, s26, s26, v1
	v_lshlrev_b32_e32 v1, 4, v10
	v_add_co_ci_u32_e64 v42, null, s27, 0, s26
	v_add_co_u32 v73, s1, s1, v1
	s_waitcnt lgkmcnt(1)
	v_and_b32_e32 v55, 0xffff0000, v2
	v_lshlrev_b32_e32 v56, 16, v2
	v_and_b32_e32 v57, 0xffff0000, v3
	v_lshlrev_b32_e32 v58, 16, v3
	;; [unrolled: 2-line block ×4, first 2 shown]
	s_waitcnt lgkmcnt(0)
	v_and_b32_e32 v63, 0xffff0000, v6
	v_lshlrev_b32_e32 v64, 16, v6
	v_and_b32_e32 v66, 0xffff0000, v7
	v_lshlrev_b32_e32 v67, 16, v7
	;; [unrolled: 2-line block ×4, first 2 shown]
	v_add_co_ci_u32_e64 v74, null, s2, 0, s1
.LBB160_6:                              ; =>This Inner Loop Header: Depth=1
	global_load_dword v1, v[41:42], off
	buffer_load_dword v6, off, s[36:39], 0 offset:36 ; 4-byte Folded Reload
	v_add_nc_u32_e32 v76, 4, v76
	s_waitcnt vmcnt(1)
	v_mad_i64_i32 v[1:2], null, v1, s4, 0
	v_lshlrev_b64 v[1:2], 1, v[1:2]
	v_add_co_u32 v43, s1, v73, v1
	v_add_nc_u32_e32 v1, s15, v75
	v_add_co_ci_u32_e64 v44, null, v74, v2, s1
	v_cmp_gt_i32_e64 s1, s11, v75
	v_add_nc_u32_e32 v75, 0x80, v75
	v_cvt_f32_i32_e32 v1, v1
	global_load_dwordx4 v[33:36], v[43:44], off offset:1536
	v_mul_f32_e32 v1, s24, v1
	v_cndmask_b32_e32 v77, 0, v1, vcc_lo
	global_load_dwordx4 v[1:4], v[43:44], off
	s_waitcnt vmcnt(0)
	v_lshlrev_b32_e32 v90, 16, v1
	v_and_b32_e32 v91, 0xffff0000, v1
	v_lshlrev_b32_e32 v92, 16, v2
	v_and_b32_e32 v93, 0xffff0000, v2
	;; [unrolled: 2-line block ×4, first 2 shown]
	global_load_dwordx4 v[1:4], v[43:44], off offset:512
	s_waitcnt vmcnt(0)
	v_and_b32_e32 v5, 0xffff0000, v1
	v_lshlrev_b32_e32 v1, 16, v1
	v_mul_f32_e32 v78, v6, v1
	buffer_load_dword v1, off, s[36:39], 0 offset:32 ; 4-byte Folded Reload
	s_waitcnt vmcnt(0)
	v_mul_f32_e32 v79, v1, v5
	buffer_load_dword v5, off, s[36:39], 0 offset:44 ; 4-byte Folded Reload
	v_and_b32_e32 v1, 0xffff0000, v2
	v_lshlrev_b32_e32 v2, 16, v2
	s_waitcnt vmcnt(0)
	v_mul_f32_e32 v80, v5, v2
	buffer_load_dword v2, off, s[36:39], 0 offset:40 ; 4-byte Folded Reload
	s_waitcnt vmcnt(0)
	v_mul_f32_e32 v81, v2, v1
	v_and_b32_e32 v1, 0xffff0000, v3
	v_lshlrev_b32_e32 v2, 16, v3
	buffer_load_dword v3, off, s[36:39], 0 offset:52 ; 4-byte Folded Reload
	s_waitcnt vmcnt(0)
	v_mul_f32_e32 v82, v3, v2
	s_clause 0x1
	buffer_load_dword v2, off, s[36:39], 0 offset:48
	buffer_load_dword v3, off, s[36:39], 0 offset:60
	s_waitcnt vmcnt(1)
	v_mul_f32_e32 v83, v2, v1
	v_lshlrev_b32_e32 v2, 16, v4
	v_and_b32_e32 v1, 0xffff0000, v4
	s_waitcnt vmcnt(0)
	v_mul_f32_e32 v84, v3, v2
	buffer_load_dword v2, off, s[36:39], 0 offset:56 ; 4-byte Folded Reload
	s_waitcnt vmcnt(0)
	v_mul_f32_e32 v85, v2, v1
	global_load_dwordx4 v[1:4], v[43:44], off offset:1024
	s_waitcnt vmcnt(0)
	v_and_b32_e32 v94, 0xffff0000, v1
	v_lshlrev_b32_e32 v95, 16, v1
	v_add_co_u32 v1, s2, 0x800, v43
	v_and_b32_e32 v96, 0xffff0000, v2
	v_lshlrev_b32_e32 v97, 16, v2
	v_and_b32_e32 v88, 0xffff0000, v3
	v_lshlrev_b32_e32 v89, 16, v3
	v_add_co_ci_u32_e64 v2, null, 0, v44, s2
	v_add_co_u32 v3, s2, v43, 0x1000
	v_and_b32_e32 v39, 0xffff0000, v4
	v_lshlrev_b32_e32 v40, 16, v4
	v_add_co_ci_u32_e64 v4, null, 0, v44, s2
	s_clause 0x3
	global_load_dwordx4 v[29:32], v[3:4], off offset:-2048
	global_load_dwordx4 v[25:28], v[1:2], off offset:512
	global_load_dwordx4 v[21:24], v[1:2], off offset:1024
	;; [unrolled: 1-line block ×3, first 2 shown]
	v_add_co_u32 v1, s2, 0x1000, v43
	v_add_co_ci_u32_e64 v2, null, 0, v44, s2
	s_clause 0x3
	global_load_dwordx4 v[13:16], v[3:4], off
	global_load_dwordx4 v[9:12], v[1:2], off offset:512
	global_load_dwordx4 v[5:8], v[1:2], off offset:1024
	;; [unrolled: 1-line block ×3, first 2 shown]
	buffer_load_dword v98, off, s[36:39], 0 ; 4-byte Folded Reload
	s_waitcnt vmcnt(0)
	v_fmac_f32_e32 v79, v98, v91
	buffer_load_dword v91, off, s[36:39], 0 offset:4 ; 4-byte Folded Reload
	s_waitcnt vmcnt(0)
	v_fmac_f32_e32 v78, v91, v90
	s_clause 0x1
	buffer_load_dword v90, off, s[36:39], 0 offset:68
	buffer_load_dword v91, off, s[36:39], 0 offset:96
	s_waitcnt vmcnt(1)
	v_fmac_f32_e32 v78, v90, v95
	buffer_load_dword v90, off, s[36:39], 0 offset:64 ; 4-byte Folded Reload
	s_waitcnt vmcnt(0)
	v_fmac_f32_e32 v79, v90, v94
	v_lshlrev_b32_e32 v90, 16, v33
	v_and_b32_e32 v33, 0xffff0000, v33
	v_fmac_f32_e32 v79, v91, v33
	buffer_load_dword v33, off, s[36:39], 0 offset:100 ; 4-byte Folded Reload
	s_waitcnt vmcnt(0)
	v_fmac_f32_e32 v78, v33, v90
	buffer_load_dword v90, off, s[36:39], 0 offset:108 ; 4-byte Folded Reload
	v_and_b32_e32 v33, 0xffff0000, v29
	v_lshlrev_b32_e32 v29, 16, v29
	s_waitcnt vmcnt(0)
	v_fmac_f32_e32 v78, v90, v29
	buffer_load_dword v29, off, s[36:39], 0 offset:104 ; 4-byte Folded Reload
	s_waitcnt vmcnt(0)
	v_fmac_f32_e32 v79, v29, v33
	buffer_load_dword v33, off, s[36:39], 0 offset:112 ; 4-byte Folded Reload
	v_lshlrev_b32_e32 v29, 16, v25
	v_and_b32_e32 v25, 0xffff0000, v25
	s_waitcnt vmcnt(0)
	v_fmac_f32_e32 v79, v33, v25
	buffer_load_dword v25, off, s[36:39], 0 offset:116 ; 4-byte Folded Reload
	s_waitcnt vmcnt(0)
	v_fmac_f32_e32 v78, v25, v29
	buffer_load_dword v29, off, s[36:39], 0 offset:196 ; 4-byte Folded Reload
	v_and_b32_e32 v25, 0xffff0000, v21
	v_lshlrev_b32_e32 v21, 16, v21
	s_waitcnt vmcnt(0)
	v_fmac_f32_e32 v78, v29, v21
	buffer_load_dword v21, off, s[36:39], 0 offset:192 ; 4-byte Folded Reload
	s_waitcnt vmcnt(0)
	v_fmac_f32_e32 v79, v21, v25
	buffer_load_dword v25, off, s[36:39], 0 offset:224 ; 4-byte Folded Reload
	v_lshlrev_b32_e32 v21, 16, v17
	v_and_b32_e32 v17, 0xffff0000, v17
	s_waitcnt vmcnt(0)
	;; [unrolled: 16-line block ×4, first 2 shown]
	v_fmac_f32_e32 v79, v9, v1
	s_clause 0x1
	buffer_load_dword v1, off, s[36:39], 0 offset:356
	buffer_load_dword v9, off, s[36:39], 0 offset:120
	s_waitcnt vmcnt(1)
	v_fmac_f32_e32 v78, v1, v5
	buffer_load_dword v1, off, s[36:39], 0 offset:8 ; 4-byte Folded Reload
	v_and_b32_e32 v5, 0xffff0000, v34
	s_waitcnt vmcnt(0)
	v_fmac_f32_e32 v81, v1, v93
	buffer_load_dword v1, off, s[36:39], 0 offset:12 ; 4-byte Folded Reload
	s_waitcnt vmcnt(0)
	v_fmac_f32_e32 v80, v1, v92
	buffer_load_dword v1, off, s[36:39], 0 offset:76 ; 4-byte Folded Reload
	;; [unrolled: 3-line block ×3, first 2 shown]
	s_waitcnt vmcnt(0)
	v_fmac_f32_e32 v81, v1, v96
	v_lshlrev_b32_e32 v1, 16, v34
	v_fmac_f32_e32 v81, v9, v5
	s_clause 0x1
	buffer_load_dword v5, off, s[36:39], 0 offset:124
	buffer_load_dword v9, off, s[36:39], 0 offset:132
	s_waitcnt vmcnt(1)
	v_fmac_f32_e32 v80, v5, v1
	v_lshlrev_b32_e32 v5, 16, v30
	v_and_b32_e32 v1, 0xffff0000, v30
	s_waitcnt vmcnt(0)
	v_fmac_f32_e32 v80, v9, v5
	s_clause 0x1
	buffer_load_dword v5, off, s[36:39], 0 offset:128
	buffer_load_dword v9, off, s[36:39], 0 offset:136
	s_waitcnt vmcnt(1)
	v_fmac_f32_e32 v81, v5, v1
	v_and_b32_e32 v5, 0xffff0000, v26
	v_lshlrev_b32_e32 v1, 16, v26
	s_waitcnt vmcnt(0)
	v_fmac_f32_e32 v81, v9, v5
	s_clause 0x1
	buffer_load_dword v5, off, s[36:39], 0 offset:140
	buffer_load_dword v9, off, s[36:39], 0 offset:204
	s_waitcnt vmcnt(1)
	v_fmac_f32_e32 v80, v5, v1
	v_lshlrev_b32_e32 v5, 16, v22
	v_and_b32_e32 v1, 0xffff0000, v22
	s_waitcnt vmcnt(0)
	v_fmac_f32_e32 v80, v9, v5
	s_clause 0x1
	buffer_load_dword v5, off, s[36:39], 0 offset:200
	buffer_load_dword v9, off, s[36:39], 0 offset:232
	s_waitcnt vmcnt(1)
	v_fmac_f32_e32 v81, v5, v1
	v_and_b32_e32 v5, 0xffff0000, v18
	v_lshlrev_b32_e32 v1, 16, v18
	s_waitcnt vmcnt(0)
	;; [unrolled: 18-line block ×3, first 2 shown]
	v_fmac_f32_e32 v81, v9, v5
	buffer_load_dword v5, off, s[36:39], 0 offset:300 ; 4-byte Folded Reload
	s_waitcnt vmcnt(0)
	v_fmac_f32_e32 v80, v5, v1
	v_and_b32_e32 v1, 0xffff0000, v6
	v_lshlrev_b32_e32 v5, 16, v6
	buffer_load_dword v6, off, s[36:39], 0 offset:332 ; 4-byte Folded Reload
	s_waitcnt vmcnt(0)
	v_fmac_f32_e32 v80, v6, v5
	buffer_load_dword v5, off, s[36:39], 0 offset:328 ; 4-byte Folded Reload
	s_waitcnt vmcnt(0)
	v_fmac_f32_e32 v81, v5, v1
	buffer_load_dword v5, off, s[36:39], 0 offset:360 ; 4-byte Folded Reload
	v_lshlrev_b32_e32 v1, 16, v2
	v_and_b32_e32 v2, 0xffff0000, v2
	s_waitcnt vmcnt(0)
	v_fmac_f32_e32 v81, v5, v2
	s_clause 0x1
	buffer_load_dword v2, off, s[36:39], 0 offset:364
	buffer_load_dword v5, off, s[36:39], 0 offset:144
	s_waitcnt vmcnt(1)
	v_fmac_f32_e32 v80, v2, v1
	buffer_load_dword v1, off, s[36:39], 0 offset:16 ; 4-byte Folded Reload
	v_and_b32_e32 v2, 0xffff0000, v35
	s_waitcnt vmcnt(0)
	v_fmac_f32_e32 v83, v1, v87
	buffer_load_dword v1, off, s[36:39], 0 offset:20 ; 4-byte Folded Reload
	s_waitcnt vmcnt(0)
	v_fmac_f32_e32 v82, v1, v86
	buffer_load_dword v1, off, s[36:39], 0 offset:84 ; 4-byte Folded Reload
	;; [unrolled: 3-line block ×3, first 2 shown]
	s_waitcnt vmcnt(0)
	v_fmac_f32_e32 v83, v1, v88
	v_lshlrev_b32_e32 v1, 16, v35
	v_fmac_f32_e32 v83, v5, v2
	s_clause 0x1
	buffer_load_dword v2, off, s[36:39], 0 offset:148
	buffer_load_dword v5, off, s[36:39], 0 offset:164
	s_waitcnt vmcnt(1)
	v_fmac_f32_e32 v82, v2, v1
	v_lshlrev_b32_e32 v2, 16, v31
	v_and_b32_e32 v1, 0xffff0000, v31
	s_waitcnt vmcnt(0)
	v_fmac_f32_e32 v82, v5, v2
	s_clause 0x1
	buffer_load_dword v2, off, s[36:39], 0 offset:160
	buffer_load_dword v5, off, s[36:39], 0 offset:176
	s_waitcnt vmcnt(1)
	v_fmac_f32_e32 v83, v2, v1
	v_and_b32_e32 v2, 0xffff0000, v27
	v_lshlrev_b32_e32 v1, 16, v27
	s_waitcnt vmcnt(0)
	v_fmac_f32_e32 v83, v5, v2
	s_clause 0x1
	buffer_load_dword v2, off, s[36:39], 0 offset:180
	buffer_load_dword v5, off, s[36:39], 0 offset:212
	s_waitcnt vmcnt(1)
	v_fmac_f32_e32 v82, v2, v1
	v_lshlrev_b32_e32 v2, 16, v23
	v_and_b32_e32 v1, 0xffff0000, v23
	s_waitcnt vmcnt(0)
	v_fmac_f32_e32 v82, v5, v2
	s_clause 0x1
	buffer_load_dword v2, off, s[36:39], 0 offset:208
	buffer_load_dword v5, off, s[36:39], 0 offset:240
	s_waitcnt vmcnt(1)
	v_fmac_f32_e32 v83, v2, v1
	v_and_b32_e32 v2, 0xffff0000, v19
	v_lshlrev_b32_e32 v1, 16, v19
	s_waitcnt vmcnt(0)
	;; [unrolled: 18-line block ×3, first 2 shown]
	v_fmac_f32_e32 v83, v5, v2
	s_clause 0x1
	buffer_load_dword v2, off, s[36:39], 0 offset:308
	buffer_load_dword v5, off, s[36:39], 0 offset:340
	s_waitcnt vmcnt(1)
	v_fmac_f32_e32 v82, v2, v1
	v_lshlrev_b32_e32 v2, 16, v7
	v_and_b32_e32 v1, 0xffff0000, v7
	s_waitcnt vmcnt(0)
	v_fmac_f32_e32 v82, v5, v2
	buffer_load_dword v2, off, s[36:39], 0 offset:336 ; 4-byte Folded Reload
	v_add_co_u32 v5, s2, 0x1800, v43
	v_add_co_ci_u32_e64 v6, null, 0, v44, s2
	v_add_co_u32 v7, s2, v43, 0x2000
	s_waitcnt vmcnt(0)
	v_fmac_f32_e32 v83, v2, v1
	v_lshlrev_b32_e32 v1, 16, v3
	v_and_b32_e32 v2, 0xffff0000, v3
	buffer_load_dword v3, off, s[36:39], 0 offset:368 ; 4-byte Folded Reload
	s_waitcnt vmcnt(0)
	v_fmac_f32_e32 v83, v3, v2
	s_clause 0x1
	buffer_load_dword v2, off, s[36:39], 0 offset:372
	buffer_load_dword v3, off, s[36:39], 0 offset:152
	s_waitcnt vmcnt(1)
	v_fmac_f32_e32 v82, v2, v1
	buffer_load_dword v1, off, s[36:39], 0 offset:24 ; 4-byte Folded Reload
	v_and_b32_e32 v2, 0xffff0000, v36
	s_waitcnt vmcnt(0)
	v_fmac_f32_e32 v85, v1, v38
	buffer_load_dword v1, off, s[36:39], 0 offset:28 ; 4-byte Folded Reload
	s_waitcnt vmcnt(0)
	v_fmac_f32_e32 v84, v1, v37
	buffer_load_dword v1, off, s[36:39], 0 offset:92 ; 4-byte Folded Reload
	s_waitcnt vmcnt(0)
	v_fmac_f32_e32 v84, v1, v40
	buffer_load_dword v1, off, s[36:39], 0 offset:88 ; 4-byte Folded Reload
	s_waitcnt vmcnt(0)
	v_fmac_f32_e32 v85, v1, v39
	v_lshlrev_b32_e32 v1, 16, v36
	v_fmac_f32_e32 v85, v3, v2
	s_clause 0x1
	buffer_load_dword v2, off, s[36:39], 0 offset:156
	buffer_load_dword v3, off, s[36:39], 0 offset:172
	s_waitcnt vmcnt(1)
	v_fmac_f32_e32 v84, v2, v1
	v_lshlrev_b32_e32 v2, 16, v32
	v_and_b32_e32 v1, 0xffff0000, v32
	s_waitcnt vmcnt(0)
	v_fmac_f32_e32 v84, v3, v2
	s_clause 0x1
	buffer_load_dword v2, off, s[36:39], 0 offset:168
	buffer_load_dword v3, off, s[36:39], 0 offset:184
	s_waitcnt vmcnt(1)
	v_fmac_f32_e32 v85, v2, v1
	v_and_b32_e32 v2, 0xffff0000, v28
	v_lshlrev_b32_e32 v1, 16, v28
	s_waitcnt vmcnt(0)
	v_fmac_f32_e32 v85, v3, v2
	s_clause 0x1
	buffer_load_dword v2, off, s[36:39], 0 offset:188
	buffer_load_dword v3, off, s[36:39], 0 offset:220
	s_waitcnt vmcnt(1)
	v_fmac_f32_e32 v84, v2, v1
	v_lshlrev_b32_e32 v2, 16, v24
	v_and_b32_e32 v1, 0xffff0000, v24
	s_waitcnt vmcnt(0)
	v_fmac_f32_e32 v84, v3, v2
	s_clause 0x1
	buffer_load_dword v2, off, s[36:39], 0 offset:216
	buffer_load_dword v3, off, s[36:39], 0 offset:248
	s_waitcnt vmcnt(1)
	v_fmac_f32_e32 v85, v2, v1
	v_and_b32_e32 v2, 0xffff0000, v20
	v_lshlrev_b32_e32 v1, 16, v20
	s_waitcnt vmcnt(0)
	;; [unrolled: 18-line block ×3, first 2 shown]
	v_fmac_f32_e32 v85, v3, v2
	s_clause 0x1
	buffer_load_dword v2, off, s[36:39], 0 offset:316
	buffer_load_dword v3, off, s[36:39], 0 offset:348
	s_waitcnt vmcnt(1)
	v_fmac_f32_e32 v84, v2, v1
	v_lshlrev_b32_e32 v2, 16, v8
	v_and_b32_e32 v1, 0xffff0000, v8
	v_add_co_ci_u32_e64 v8, null, 0, v44, s2
	s_waitcnt vmcnt(0)
	v_fmac_f32_e32 v84, v3, v2
	s_clause 0x1
	buffer_load_dword v2, off, s[36:39], 0 offset:344
	buffer_load_dword v3, off, s[36:39], 0 offset:376
	s_waitcnt vmcnt(1)
	v_fmac_f32_e32 v85, v2, v1
	v_and_b32_e32 v2, 0xffff0000, v4
	v_lshlrev_b32_e32 v1, 16, v4
	s_waitcnt vmcnt(0)
	v_fmac_f32_e32 v85, v3, v2
	buffer_load_dword v2, off, s[36:39], 0 offset:380 ; 4-byte Folded Reload
	s_waitcnt vmcnt(0)
	v_fmac_f32_e32 v84, v2, v1
	global_load_dwordx4 v[1:4], v[7:8], off offset:-2048
	s_waitcnt vmcnt(0)
	v_and_b32_e32 v94, 0xffff0000, v1
	v_lshlrev_b32_e32 v95, 16, v1
	v_and_b32_e32 v96, 0xffff0000, v2
	v_lshlrev_b32_e32 v97, 16, v2
	;; [unrolled: 2-line block ×4, first 2 shown]
	s_clause 0x2
	global_load_dwordx4 v[1:4], v[5:6], off offset:512
	global_load_dwordx4 v[37:40], v[5:6], off offset:1024
	global_load_dwordx4 v[33:36], v[5:6], off offset:1536
	s_waitcnt vmcnt(2)
	v_lshlrev_b32_e32 v98, 16, v1
	v_and_b32_e32 v99, 0xffff0000, v1
	v_add_co_u32 v1, s2, 0x2000, v43
	v_lshlrev_b32_e32 v100, 16, v2
	v_and_b32_e32 v101, 0xffff0000, v2
	v_add_co_ci_u32_e64 v2, null, 0, v44, s2
	s_clause 0x3
	global_load_dwordx4 v[29:32], v[7:8], off
	global_load_dwordx4 v[25:28], v[1:2], off offset:512
	global_load_dwordx4 v[21:24], v[1:2], off offset:1024
	global_load_dwordx4 v[17:20], v[1:2], off offset:1536
	v_add_co_u32 v1, s2, 0x2800, v43
	v_add_co_ci_u32_e64 v2, null, 0, v44, s2
	v_lshlrev_b32_e32 v92, 16, v3
	v_and_b32_e32 v93, 0xffff0000, v3
	v_lshlrev_b32_e32 v88, 16, v4
	v_and_b32_e32 v89, 0xffff0000, v4
	s_clause 0x3
	global_load_dwordx4 v[13:16], v[1:2], off
	global_load_dwordx4 v[9:12], v[1:2], off offset:512
	global_load_dwordx4 v[5:8], v[1:2], off offset:1024
	;; [unrolled: 1-line block ×3, first 2 shown]
	s_clause 0x1
	buffer_load_dword v43, off, s[36:39], 0 offset:388
	buffer_load_dword v44, off, s[36:39], 0 offset:452
	s_waitcnt vmcnt(1)
	v_fmac_f32_e32 v78, v43, v95
	buffer_load_dword v43, off, s[36:39], 0 offset:384 ; 4-byte Folded Reload
	s_waitcnt vmcnt(0)
	v_fmac_f32_e32 v79, v43, v94
	buffer_load_dword v43, off, s[36:39], 0 offset:416 ; 4-byte Folded Reload
	;; [unrolled: 3-line block ×3, first 2 shown]
	s_waitcnt vmcnt(0)
	v_fmac_f32_e32 v78, v43, v98
	v_and_b32_e32 v43, 0xffff0000, v37
	v_lshlrev_b32_e32 v37, 16, v37
	v_fmac_f32_e32 v78, v44, v37
	buffer_load_dword v37, off, s[36:39], 0 offset:448 ; 4-byte Folded Reload
	s_waitcnt vmcnt(0)
	v_fmac_f32_e32 v79, v37, v43
	buffer_load_dword v43, off, s[36:39], 0 offset:480 ; 4-byte Folded Reload
	v_lshlrev_b32_e32 v37, 16, v33
	v_and_b32_e32 v33, 0xffff0000, v33
	s_waitcnt vmcnt(0)
	v_fmac_f32_e32 v79, v43, v33
	buffer_load_dword v33, off, s[36:39], 0 offset:484 ; 4-byte Folded Reload
	s_waitcnt vmcnt(0)
	v_fmac_f32_e32 v78, v33, v37
	buffer_load_dword v37, off, s[36:39], 0 offset:516 ; 4-byte Folded Reload
	v_and_b32_e32 v33, 0xffff0000, v29
	v_lshlrev_b32_e32 v29, 16, v29
	s_waitcnt vmcnt(0)
	v_fmac_f32_e32 v78, v37, v29
	buffer_load_dword v29, off, s[36:39], 0 offset:512 ; 4-byte Folded Reload
	s_waitcnt vmcnt(0)
	v_fmac_f32_e32 v79, v29, v33
	buffer_load_dword v33, off, s[36:39], 0 offset:544 ; 4-byte Folded Reload
	v_lshlrev_b32_e32 v29, 16, v25
	v_and_b32_e32 v25, 0xffff0000, v25
	s_waitcnt vmcnt(0)
	v_fmac_f32_e32 v79, v33, v25
	buffer_load_dword v25, off, s[36:39], 0 offset:548 ; 4-byte Folded Reload
	s_waitcnt vmcnt(0)
	v_fmac_f32_e32 v78, v25, v29
	v_and_b32_e32 v25, 0xffff0000, v21
	v_lshlrev_b32_e32 v21, 16, v21
	v_fmac_f32_e32 v79, v107, v25
	v_fmac_f32_e32 v78, v108, v21
	v_lshlrev_b32_e32 v21, 16, v17
	v_and_b32_e32 v17, 0xffff0000, v17
	v_fmac_f32_e32 v78, v116, v21
	v_fmac_f32_e32 v79, v115, v17
	v_and_b32_e32 v17, 0xffff0000, v13
	v_lshlrev_b32_e32 v13, 16, v13
	v_fmac_f32_e32 v79, v123, v17
	v_fmac_f32_e32 v78, v124, v13
	v_lshlrev_b32_e32 v13, 16, v9
	v_and_b32_e32 v9, 0xffff0000, v9
	v_fmac_f32_e32 v78, v48, v13
	v_fmac_f32_e32 v79, v47, v9
	v_and_b32_e32 v9, 0xffff0000, v5
	v_lshlrev_b32_e32 v5, 16, v5
	v_fmac_f32_e32 v79, v55, v9
	v_fmac_f32_e32 v78, v56, v5
	v_lshlrev_b32_e32 v5, 16, v1
	v_and_b32_e32 v1, 0xffff0000, v1
	buffer_load_dword v9, off, s[36:39], 0 offset:460 ; 4-byte Folded Reload
	v_fmac_f32_e32 v78, v64, v5
	v_fmac_f32_e32 v79, v63, v1
	buffer_load_dword v1, off, s[36:39], 0 offset:396 ; 4-byte Folded Reload
	v_lshlrev_b32_e32 v5, 16, v38
	s_waitcnt vmcnt(0)
	v_fmac_f32_e32 v80, v1, v97
	buffer_load_dword v1, off, s[36:39], 0 offset:392 ; 4-byte Folded Reload
	s_waitcnt vmcnt(0)
	v_fmac_f32_e32 v81, v1, v96
	buffer_load_dword v1, off, s[36:39], 0 offset:424 ; 4-byte Folded Reload
	;; [unrolled: 3-line block ×3, first 2 shown]
	s_waitcnt vmcnt(0)
	v_fmac_f32_e32 v80, v1, v100
	v_and_b32_e32 v1, 0xffff0000, v38
	v_fmac_f32_e32 v80, v9, v5
	s_clause 0x1
	buffer_load_dword v5, off, s[36:39], 0 offset:456
	buffer_load_dword v9, off, s[36:39], 0 offset:488
	s_waitcnt vmcnt(1)
	v_fmac_f32_e32 v81, v5, v1
	v_and_b32_e32 v5, 0xffff0000, v34
	v_lshlrev_b32_e32 v1, 16, v34
	s_waitcnt vmcnt(0)
	v_fmac_f32_e32 v81, v9, v5
	s_clause 0x1
	buffer_load_dword v5, off, s[36:39], 0 offset:492
	buffer_load_dword v9, off, s[36:39], 0 offset:524
	s_waitcnt vmcnt(1)
	v_fmac_f32_e32 v80, v5, v1
	v_lshlrev_b32_e32 v5, 16, v30
	v_and_b32_e32 v1, 0xffff0000, v30
	s_waitcnt vmcnt(0)
	v_fmac_f32_e32 v80, v9, v5
	s_clause 0x1
	buffer_load_dword v5, off, s[36:39], 0 offset:520
	buffer_load_dword v9, off, s[36:39], 0 offset:552
	s_waitcnt vmcnt(1)
	v_fmac_f32_e32 v81, v5, v1
	v_lshlrev_b32_e32 v1, 16, v26
	v_and_b32_e32 v5, 0xffff0000, v26
	v_fmac_f32_e32 v80, v102, v1
	s_waitcnt vmcnt(0)
	v_fmac_f32_e32 v81, v9, v5
	v_and_b32_e32 v1, 0xffff0000, v22
	v_lshlrev_b32_e32 v5, 16, v22
	v_fmac_f32_e32 v81, v109, v1
	v_fmac_f32_e32 v80, v110, v5
	v_lshlrev_b32_e32 v1, 16, v18
	v_and_b32_e32 v5, 0xffff0000, v18
	v_fmac_f32_e32 v80, v118, v1
	v_fmac_f32_e32 v81, v117, v5
	v_and_b32_e32 v1, 0xffff0000, v14
	v_lshlrev_b32_e32 v5, 16, v14
	v_fmac_f32_e32 v81, v125, v1
	v_fmac_f32_e32 v80, v126, v5
	v_lshlrev_b32_e32 v1, 16, v10
	v_and_b32_e32 v5, 0xffff0000, v10
	v_fmac_f32_e32 v80, v50, v1
	v_fmac_f32_e32 v81, v49, v5
	v_and_b32_e32 v1, 0xffff0000, v6
	v_lshlrev_b32_e32 v5, 16, v6
	v_fmac_f32_e32 v81, v57, v1
	v_fmac_f32_e32 v80, v58, v5
	v_lshlrev_b32_e32 v1, 16, v2
	v_and_b32_e32 v2, 0xffff0000, v2
	buffer_load_dword v5, off, s[36:39], 0 offset:468 ; 4-byte Folded Reload
	v_fmac_f32_e32 v80, v67, v1
	buffer_load_dword v1, off, s[36:39], 0 offset:404 ; 4-byte Folded Reload
	v_fmac_f32_e32 v81, v66, v2
	v_lshlrev_b32_e32 v2, 16, v39
	s_waitcnt vmcnt(0)
	v_fmac_f32_e32 v82, v1, v91
	buffer_load_dword v1, off, s[36:39], 0 offset:400 ; 4-byte Folded Reload
	s_waitcnt vmcnt(0)
	v_fmac_f32_e32 v83, v1, v90
	buffer_load_dword v1, off, s[36:39], 0 offset:432 ; 4-byte Folded Reload
	;; [unrolled: 3-line block ×3, first 2 shown]
	s_waitcnt vmcnt(0)
	v_fmac_f32_e32 v82, v1, v92
	v_and_b32_e32 v1, 0xffff0000, v39
	v_fmac_f32_e32 v82, v5, v2
	s_clause 0x1
	buffer_load_dword v2, off, s[36:39], 0 offset:464
	buffer_load_dword v5, off, s[36:39], 0 offset:496
	s_waitcnt vmcnt(1)
	v_fmac_f32_e32 v83, v2, v1
	v_and_b32_e32 v2, 0xffff0000, v35
	v_lshlrev_b32_e32 v1, 16, v35
	s_waitcnt vmcnt(0)
	v_fmac_f32_e32 v83, v5, v2
	s_clause 0x1
	buffer_load_dword v2, off, s[36:39], 0 offset:500
	buffer_load_dword v5, off, s[36:39], 0 offset:532
	s_waitcnt vmcnt(1)
	v_fmac_f32_e32 v82, v2, v1
	v_lshlrev_b32_e32 v2, 16, v31
	v_and_b32_e32 v1, 0xffff0000, v31
	s_waitcnt vmcnt(0)
	v_fmac_f32_e32 v82, v5, v2
	buffer_load_dword v2, off, s[36:39], 0 offset:528 ; 4-byte Folded Reload
	s_waitcnt vmcnt(0)
	v_fmac_f32_e32 v83, v2, v1
	v_lshlrev_b32_e32 v1, 16, v27
	v_and_b32_e32 v2, 0xffff0000, v27
	v_fmac_f32_e32 v82, v104, v1
	v_fmac_f32_e32 v83, v103, v2
	v_and_b32_e32 v1, 0xffff0000, v23
	v_lshlrev_b32_e32 v2, 16, v23
	v_fmac_f32_e32 v83, v111, v1
	v_fmac_f32_e32 v82, v112, v2
	v_lshlrev_b32_e32 v1, 16, v19
	v_and_b32_e32 v2, 0xffff0000, v19
	v_fmac_f32_e32 v82, v120, v1
	v_fmac_f32_e32 v83, v119, v2
	v_and_b32_e32 v1, 0xffff0000, v15
	v_lshlrev_b32_e32 v2, 16, v15
	v_fmac_f32_e32 v83, v127, v1
	;; [unrolled: 8-line block ×3, first 2 shown]
	v_fmac_f32_e32 v82, v60, v2
	v_lshlrev_b32_e32 v1, 16, v3
	v_and_b32_e32 v2, 0xffff0000, v3
	buffer_load_dword v3, off, s[36:39], 0 offset:476 ; 4-byte Folded Reload
	v_fmac_f32_e32 v82, v69, v1
	buffer_load_dword v1, off, s[36:39], 0 offset:412 ; 4-byte Folded Reload
	v_fmac_f32_e32 v83, v68, v2
	v_lshlrev_b32_e32 v2, 16, v40
	s_waitcnt vmcnt(0)
	v_fmac_f32_e32 v84, v1, v87
	buffer_load_dword v1, off, s[36:39], 0 offset:408 ; 4-byte Folded Reload
	s_waitcnt vmcnt(0)
	v_fmac_f32_e32 v85, v1, v86
	buffer_load_dword v1, off, s[36:39], 0 offset:440 ; 4-byte Folded Reload
	;; [unrolled: 3-line block ×3, first 2 shown]
	s_waitcnt vmcnt(0)
	v_fmac_f32_e32 v84, v1, v88
	v_and_b32_e32 v1, 0xffff0000, v40
	v_fmac_f32_e32 v84, v3, v2
	s_clause 0x1
	buffer_load_dword v2, off, s[36:39], 0 offset:472
	buffer_load_dword v3, off, s[36:39], 0 offset:504
	s_waitcnt vmcnt(1)
	v_fmac_f32_e32 v85, v2, v1
	v_and_b32_e32 v2, 0xffff0000, v36
	v_lshlrev_b32_e32 v1, 16, v36
	s_waitcnt vmcnt(0)
	v_fmac_f32_e32 v85, v3, v2
	s_clause 0x1
	buffer_load_dword v2, off, s[36:39], 0 offset:508
	buffer_load_dword v3, off, s[36:39], 0 offset:540
	s_waitcnt vmcnt(1)
	v_fmac_f32_e32 v84, v2, v1
	v_lshlrev_b32_e32 v2, 16, v32
	v_and_b32_e32 v1, 0xffff0000, v32
	s_waitcnt vmcnt(0)
	v_fmac_f32_e32 v84, v3, v2
	buffer_load_dword v2, off, s[36:39], 0 offset:536 ; 4-byte Folded Reload
	s_waitcnt vmcnt(0)
	v_fmac_f32_e32 v85, v2, v1
	v_lshlrev_b32_e32 v1, 16, v28
	v_and_b32_e32 v2, 0xffff0000, v28
	v_fmac_f32_e32 v84, v106, v1
	v_fmac_f32_e32 v85, v105, v2
	v_and_b32_e32 v1, 0xffff0000, v24
	v_lshlrev_b32_e32 v2, 16, v24
	v_fmac_f32_e32 v85, v113, v1
	v_fmac_f32_e32 v84, v114, v2
	v_lshlrev_b32_e32 v1, 16, v20
	v_and_b32_e32 v2, 0xffff0000, v20
	v_fmac_f32_e32 v84, v122, v1
	v_fmac_f32_e32 v85, v121, v2
	v_and_b32_e32 v1, 0xffff0000, v16
	v_lshlrev_b32_e32 v2, 16, v16
	v_fmac_f32_e32 v85, v45, v1
	v_fmac_f32_e32 v84, v0, v2
	v_lshlrev_b32_e32 v1, 16, v12
	v_and_b32_e32 v2, 0xffff0000, v12
	v_fmac_f32_e32 v84, v54, v1
	v_fmac_f32_e32 v85, v53, v2
	v_and_b32_e32 v1, 0xffff0000, v8
	v_lshlrev_b32_e32 v2, 16, v8
	v_fmac_f32_e32 v85, v61, v1
	v_fmac_f32_e32 v84, v62, v2
	v_lshlrev_b32_e32 v1, 16, v4
	v_and_b32_e32 v2, 0xffff0000, v4
	v_fmac_f32_e32 v84, v71, v1
	v_add_f32_e32 v1, v78, v79
	v_fmac_f32_e32 v85, v70, v2
	v_add_f32_e32 v1, v1, v80
	v_add_f32_e32 v1, v81, v1
	v_add_f32_e32 v1, v82, v1
	v_add_f32_e32 v1, v83, v1
	v_add_f32_e32 v1, v84, v1
	v_add_f32_e32 v1, v85, v1
	v_fmac_f32_e32 v77, s3, v1
	v_cndmask_b32_e64 v1, 0, v77, s1
	ds_write_b32 v72, v1
	v_max_f32_e32 v1, v65, v65
	v_add_nc_u32_e32 v72, 0x200, v72
	v_max_f32_e32 v1, v1, v77
	v_cndmask_b32_e64 v65, v65, v1, s1
	v_add_co_u32 v41, s1, v41, 16
	v_add_co_ci_u32_e64 v42, null, 0, v42, s1
	v_cmp_le_i32_e64 s1, s12, v76
	s_or_b32 s5, s1, s5
	s_andn2_b32 exec_lo, exec_lo, s5
	s_cbranch_execnz .LBB160_6
; %bb.7:
	s_or_b32 exec_lo, exec_lo, s5
	s_clause 0x5
	buffer_load_dword v50, off, s[36:39], 0 offset:556
	buffer_load_dword v76, off, s[36:39], 0 offset:560
	;; [unrolled: 1-line block ×6, first 2 shown]
.LBB160_8:
	s_or_b32 exec_lo, exec_lo, s25
	v_mbcnt_lo_u32_b32 v1, -1, 0
	v_max_f32_e32 v4, v65, v65
	v_xor_b32_e32 v0, 16, v1
	v_xor_b32_e32 v3, 8, v1
	v_cmp_gt_i32_e32 vcc_lo, 32, v0
	v_cndmask_b32_e32 v0, v1, v0, vcc_lo
	v_cmp_gt_i32_e32 vcc_lo, 32, v3
	v_lshlrev_b32_e32 v0, 2, v0
	v_cndmask_b32_e32 v3, v1, v3, vcc_lo
	ds_bpermute_b32 v2, v0, v65
	s_waitcnt lgkmcnt(0)
	v_max_f32_e32 v5, v2, v2
	v_lshlrev_b32_e32 v2, 2, v3
	v_max_f32_e32 v4, v4, v5
	v_xor_b32_e32 v5, 4, v1
	ds_bpermute_b32 v3, v2, v4
	v_cmp_gt_i32_e32 vcc_lo, 32, v5
	v_cndmask_b32_e32 v5, v1, v5, vcc_lo
	s_waitcnt lgkmcnt(0)
	v_max_f32_e32 v6, v3, v3
	v_lshlrev_b32_e32 v3, 2, v5
	v_max_f32_e32 v4, v4, v6
	v_xor_b32_e32 v6, 2, v1
	ds_bpermute_b32 v5, v3, v4
	v_cmp_gt_i32_e32 vcc_lo, 32, v6
	v_cndmask_b32_e32 v6, v1, v6, vcc_lo
	v_lshlrev_b32_e32 v34, 2, v6
	v_xor_b32_e32 v6, 1, v1
	v_cmp_gt_i32_e32 vcc_lo, 32, v6
	s_waitcnt lgkmcnt(0)
	v_max_f32_e32 v5, v5, v5
	v_cndmask_b32_e32 v6, v1, v6, vcc_lo
	s_waitcnt vmcnt(3)
	v_cmp_eq_u32_e32 vcc_lo, 0, v51
	v_max_f32_e32 v4, v4, v5
	v_lshlrev_b32_e32 v52, 2, v6
	ds_bpermute_b32 v5, v34, v4
	s_waitcnt lgkmcnt(0)
	v_max_f32_e32 v5, v5, v5
	v_max_f32_e32 v1, v4, v5
	v_lshlrev_b32_e32 v4, 2, v76
	ds_bpermute_b32 v5, v52, v1
	s_and_saveexec_b32 s1, vcc_lo
	s_cbranch_execz .LBB160_10
; %bb.9:
	s_waitcnt lgkmcnt(0)
	v_max_f32_e32 v5, v5, v5
	v_max_f32_e32 v1, v1, v1
	v_max_f32_e32 v1, v1, v5
	ds_write_b32 v4, v1 offset:384
.LBB160_10:
	s_or_b32 exec_lo, exec_lo, s1
	v_cmp_gt_u32_e64 s1, 4, v51
	v_mov_b32_e32 v1, 0xff7fffff
	s_waitcnt vmcnt(0) lgkmcnt(0)
	s_waitcnt_vscnt null, 0x0
	s_barrier
	buffer_gl0_inv
	s_and_saveexec_b32 s2, s1
; %bb.11:
	ds_read_b32 v1, v27 offset:384
; %bb.12:
	s_or_b32 exec_lo, exec_lo, s2
	s_waitcnt lgkmcnt(0)
	ds_bpermute_b32 v5, v34, v1
	v_max_f32_e32 v1, v1, v1
	s_lshl_b32 s2, s12, 5
	s_min_i32 s4, s2, s11
	v_cmp_gt_i32_e64 s2, s4, v50
	s_waitcnt lgkmcnt(0)
	v_max_f32_e32 v5, v5, v5
	v_max_f32_e32 v1, v1, v5
	ds_bpermute_b32 v5, v52, v1
	s_waitcnt lgkmcnt(0)
	v_max_f32_e32 v5, v5, v5
	v_max_f32_e32 v1, v1, v5
	v_mov_b32_e32 v5, 0
	ds_bpermute_b32 v6, v5, v1
	v_lshl_add_u32 v1, v50, 2, 0x1a0
	s_and_saveexec_b32 s5, s2
	s_cbranch_execz .LBB160_16
; %bb.13:
	v_lshl_add_u32 v7, v50, 2, 0x1a0
	v_mov_b32_e32 v5, 0
	v_mov_b32_e32 v8, v50
	s_mov_b32 s15, 0
	.p2align	6
.LBB160_14:                             ; =>This Inner Loop Header: Depth=1
	ds_read_b32 v9, v7
	v_add_nc_u32_e32 v8, 0x80, v8
	v_cmp_le_i32_e64 s3, s4, v8
	s_or_b32 s15, s3, s15
	s_waitcnt lgkmcnt(0)
	v_sub_f32_e32 v9, v9, v6
	v_mul_f32_e32 v9, 0x3fb8aa3b, v9
	v_exp_f32_e32 v9, v9
	ds_write_b32 v7, v9
	v_add_f32_e32 v5, v5, v9
	v_add_nc_u32_e32 v7, 0x200, v7
	s_andn2_b32 exec_lo, exec_lo, s15
	s_cbranch_execnz .LBB160_14
; %bb.15:
	s_or_b32 exec_lo, exec_lo, s15
.LBB160_16:
	s_or_b32 exec_lo, exec_lo, s5
	ds_bpermute_b32 v0, v0, v5
	s_waitcnt lgkmcnt(0)
	v_add_f32_e32 v0, v5, v0
	ds_bpermute_b32 v2, v2, v0
	s_waitcnt lgkmcnt(0)
	v_add_f32_e32 v0, v0, v2
	;; [unrolled: 3-line block ×5, first 2 shown]
	s_and_saveexec_b32 s3, vcc_lo
; %bb.17:
	ds_write_b32 v4, v0 offset:400
; %bb.18:
	s_or_b32 exec_lo, exec_lo, s3
	s_waitcnt lgkmcnt(0)
	s_barrier
	buffer_gl0_inv
	s_and_saveexec_b32 s3, s1
; %bb.19:
	ds_read_b32 v0, v27 offset:400
; %bb.20:
	s_or_b32 exec_lo, exec_lo, s3
	s_waitcnt lgkmcnt(0)
	ds_bpermute_b32 v2, v34, v0
	s_waitcnt lgkmcnt(0)
	v_add_f32_e32 v0, v0, v2
	ds_bpermute_b32 v2, v52, v0
	s_waitcnt lgkmcnt(0)
	v_add_f32_e32 v0, v0, v2
	v_mov_b32_e32 v2, 0
	ds_bpermute_b32 v0, v2, v0
	s_and_saveexec_b32 s1, s2
	s_cbranch_execz .LBB160_23
; %bb.21:
	s_waitcnt lgkmcnt(0)
	v_add_f32_e32 v0, 0x358637bd, v0
	s_mov_b32 s2, 0
	v_div_scale_f32 v2, null, v0, v0, 1.0
	v_div_scale_f32 v5, vcc_lo, 1.0, v0, 1.0
	v_rcp_f32_e32 v3, v2
	v_fma_f32 v4, -v2, v3, 1.0
	v_fmac_f32_e32 v3, v4, v3
	v_mul_f32_e32 v4, v5, v3
	v_fma_f32 v6, -v2, v4, v5
	v_fmac_f32_e32 v4, v6, v3
	v_fma_f32 v2, -v2, v4, v5
	v_div_fmas_f32 v2, v2, v3, v4
	v_div_fixup_f32 v0, v2, v0, 1.0
	v_mov_b32_e32 v2, v50
.LBB160_22:                             ; =>This Inner Loop Header: Depth=1
	ds_read_b32 v3, v1
	v_add_nc_u32_e32 v2, 0x80, v2
	v_cmp_le_i32_e32 vcc_lo, s4, v2
	s_or_b32 s2, vcc_lo, s2
	s_waitcnt lgkmcnt(0)
	v_mul_f32_e32 v3, v0, v3
	ds_write_b32 v1, v3
	v_add_nc_u32_e32 v1, 0x200, v1
	s_andn2_b32 exec_lo, exec_lo, s2
	s_cbranch_execnz .LBB160_22
.LBB160_23:
	s_or_b32 exec_lo, exec_lo, s1
	v_mov_b32_e32 v110, 0
	v_and_b32_e32 v53, 3, v50
	v_mov_b32_e32 v113, 0
	v_mov_b32_e32 v112, 0
	s_waitcnt lgkmcnt(0)
	v_mov_b32_e32 v0, 0
	v_mov_b32_e32 v109, 0
	;; [unrolled: 1-line block ×21, first 2 shown]
	s_barrier
	buffer_gl0_inv
	s_and_saveexec_b32 s3, s0
	s_cbranch_execz .LBB160_75
; %bb.24:
	v_lshlrev_b32_e32 v0, 3, v50
	s_ashr_i32 s15, s14, 31
	v_and_b32_e32 v2, 0x1f0, v10
	s_lshl_b64 s[0:1], s[14:15], 1
	v_lshlrev_b32_e32 v1, 5, v53
	s_add_u32 s0, s20, s0
	v_and_b32_e32 v0, 24, v0
	v_add_co_u32 v2, s0, s0, v2
	s_addc_u32 s1, s21, s1
	buffer_store_dword v34, off, s[36:39], 0 offset:64 ; 4-byte Folded Spill
	buffer_store_dword v52, off, s[36:39], 0 offset:60 ; 4-byte Folded Spill
	v_lshl_or_b32 v115, v76, 5, v0
	v_and_b32_e32 v0, 0x7c, v26
	buffer_store_dword v2, off, s[36:39], 0 offset:52 ; 4-byte Folded Spill
	v_add_co_ci_u32_e64 v2, null, s1, 0, s0
	s_lshl_b64 s[0:1], s[22:23], 2
	s_add_i32 s4, s12, -1
	v_lshl_or_b32 v1, v76, 7, v1
	s_add_u32 s0, s18, s0
	s_addc_u32 s1, s19, s1
	v_add_co_u32 v105, s0, s0, v0
	v_mov_b32_e32 v114, 0
	v_add_nc_u32_e32 v116, 0x1a0, v1
	v_add_co_ci_u32_e64 v106, null, s1, 0, s0
	v_mov_b32_e32 v48, 0
	v_mov_b32_e32 v125, 0
	;; [unrolled: 1-line block ×25, first 2 shown]
	s_mov_b32 s5, s13
	s_mov_b32 s14, s11
	;; [unrolled: 1-line block ×3, first 2 shown]
	buffer_store_dword v53, off, s[36:39], 0 offset:68 ; 4-byte Folded Spill
	buffer_store_dword v2, off, s[36:39], 0 offset:56 ; 4-byte Folded Spill
	s_branch .LBB160_26
.LBB160_25:                             ;   in Loop: Header=BB160_26 Depth=1
	s_or_b32 exec_lo, exec_lo, s2
	s_waitcnt lgkmcnt(1)
	v_bfe_u32 v118, v85, 16, 1
	v_or_b32_e32 v119, 0x400000, v85
	v_cmp_u_f32_e32 vcc_lo, v85, v85
	v_add_nc_u32_e32 v117, 4, v117
	v_add_nc_u32_e32 v115, 0x80, v115
	v_add3_u32 v118, v118, v85, 0x7fff
	v_add_nc_u32_e32 v116, 0x200, v116
	v_cndmask_b32_e32 v85, v118, v119, vcc_lo
	v_bfe_u32 v118, v86, 16, 1
	v_or_b32_e32 v119, 0x400000, v86
	v_cmp_u_f32_e32 vcc_lo, v86, v86
	v_add3_u32 v118, v118, v86, 0x7fff
	v_cndmask_b32_e32 v86, v118, v119, vcc_lo
	v_bfe_u32 v118, v87, 16, 1
	v_or_b32_e32 v119, 0x400000, v87
	v_cmp_u_f32_e32 vcc_lo, v87, v87
	v_add3_u32 v118, v118, v87, 0x7fff
	v_cndmask_b32_e32 v87, v118, v119, vcc_lo
	v_bfe_u32 v118, v88, 16, 1
	v_or_b32_e32 v119, 0x400000, v88
	v_cmp_u_f32_e32 vcc_lo, v88, v88
	v_and_b32_e32 v87, 0xffff0000, v87
	v_add3_u32 v118, v118, v88, 0x7fff
	s_waitcnt lgkmcnt(0)
	v_bfe_u32 v88, v81, 16, 1
	v_cndmask_b32_e32 v118, v118, v119, vcc_lo
	v_add3_u32 v88, v88, v81, 0x7fff
	v_or_b32_e32 v119, 0x400000, v81
	v_cmp_u_f32_e32 vcc_lo, v81, v81
	v_cndmask_b32_e32 v81, v88, v119, vcc_lo
	v_bfe_u32 v88, v82, 16, 1
	v_or_b32_e32 v119, 0x400000, v82
	v_cmp_u_f32_e32 vcc_lo, v82, v82
	v_add3_u32 v88, v88, v82, 0x7fff
	v_cndmask_b32_e32 v82, v88, v119, vcc_lo
	v_bfe_u32 v88, v83, 16, 1
	v_or_b32_e32 v119, 0x400000, v83
	v_cmp_u_f32_e32 vcc_lo, v83, v83
	v_and_b32_e32 v82, 0xffff0000, v82
	v_add3_u32 v88, v88, v83, 0x7fff
	v_bfe_u32 v83, v84, 16, 1
	v_cndmask_b32_e32 v119, v88, v119, vcc_lo
	v_add3_u32 v83, v83, v84, 0x7fff
	v_or_b32_e32 v88, 0x400000, v84
	v_cmp_u_f32_e32 vcc_lo, v84, v84
	v_and_b32_e32 v84, 0xffff0000, v86
	v_cndmask_b32_e32 v120, v83, v88, vcc_lo
	s_waitcnt vmcnt(1)
	v_and_b32_e32 v83, 0xffff0000, v101
	v_mul_f32_e32 v83, v84, v83
	v_bfe_u32 v86, v83, 16, 1
	v_or_b32_e32 v88, 0x400000, v83
	v_cmp_u_f32_e32 vcc_lo, v83, v83
	v_add3_u32 v86, v86, v83, 0x7fff
	v_lshlrev_b32_e32 v83, 16, v101
	v_cndmask_b32_e32 v121, v86, v88, vcc_lo
	v_and_b32_e32 v88, 0xffff0000, v85
	v_mul_f32_e32 v83, v88, v83
	v_bfe_u32 v85, v83, 16, 1
	v_or_b32_e32 v86, 0x400000, v83
	v_cmp_u_f32_e32 vcc_lo, v83, v83
	v_add3_u32 v85, v85, v83, 0x7fff
	v_and_b32_e32 v83, 0xffff0000, v118
	v_cndmask_b32_e32 v101, v85, v86, vcc_lo
	v_and_b32_e32 v85, 0xffff0000, v102
	v_and_b32_e32 v101, 0xffff0000, v101
	v_mul_f32_e32 v85, v83, v85
	v_bfe_u32 v86, v85, 16, 1
	v_or_b32_e32 v118, 0x400000, v85
	v_cmp_u_f32_e32 vcc_lo, v85, v85
	v_add3_u32 v86, v86, v85, 0x7fff
	v_lshlrev_b32_e32 v85, 16, v102
	v_cndmask_b32_e32 v118, v86, v118, vcc_lo
	v_mul_f32_e32 v85, v87, v85
	v_and_b32_e32 v118, 0xffff0000, v118
	v_bfe_u32 v86, v85, 16, 1
	v_or_b32_e32 v102, 0x400000, v85
	v_cmp_u_f32_e32 vcc_lo, v85, v85
	v_add3_u32 v86, v86, v85, 0x7fff
	v_and_b32_e32 v85, 0xffff0000, v103
	v_cndmask_b32_e32 v102, v86, v102, vcc_lo
	v_mul_f32_e32 v85, v82, v85
	v_and_b32_e32 v102, 0xffff0000, v102
	v_bfe_u32 v86, v85, 16, 1
	v_or_b32_e32 v122, 0x400000, v85
	v_cmp_u_f32_e32 vcc_lo, v85, v85
	v_add_f32_e32 v102, v102, v118
	v_add3_u32 v86, v86, v85, 0x7fff
	v_cndmask_b32_e32 v122, v86, v122, vcc_lo
	v_and_b32_e32 v86, 0xffff0000, v81
	v_lshlrev_b32_e32 v81, 16, v103
	v_mul_f32_e32 v81, v86, v81
	v_bfe_u32 v85, v81, 16, 1
	v_or_b32_e32 v103, 0x400000, v81
	v_cmp_u_f32_e32 vcc_lo, v81, v81
	v_add3_u32 v85, v85, v81, 0x7fff
	v_and_b32_e32 v81, 0xffff0000, v120
	v_cndmask_b32_e32 v103, v85, v103, vcc_lo
	v_and_b32_e32 v85, 0xffff0000, v104
	v_lshlrev_b32_e32 v104, 16, v104
	v_mul_f32_e32 v85, v81, v85
	v_bfe_u32 v120, v85, 16, 1
	v_or_b32_e32 v123, 0x400000, v85
	v_cmp_u_f32_e32 vcc_lo, v85, v85
	v_add3_u32 v120, v120, v85, 0x7fff
	v_and_b32_e32 v85, 0xffff0000, v119
	v_cndmask_b32_e32 v120, v120, v123, vcc_lo
	v_mul_f32_e32 v104, v85, v104
	v_bfe_u32 v119, v104, 16, 1
	v_or_b32_e32 v123, 0x400000, v104
	v_cmp_u_f32_e32 vcc_lo, v104, v104
	v_add3_u32 v119, v119, v104, 0x7fff
	v_cndmask_b32_e32 v104, v119, v123, vcc_lo
	v_and_b32_e32 v119, 0xffff0000, v121
	v_add_f32_e32 v101, v101, v119
	v_add_f32_e32 v101, v102, v101
	v_and_b32_e32 v102, 0xffff0000, v103
	v_and_b32_e32 v103, 0xffff0000, v122
	v_add_f32_e32 v102, v102, v103
	v_and_b32_e32 v103, 0xffff0000, v120
	v_add_f32_e32 v101, v102, v101
	;; [unrolled: 2-line block ×3, first 2 shown]
	v_add_f32_e32 v101, v102, v101
	v_add_f32_e32 v125, v125, v101
	v_and_b32_e32 v101, 0xffff0000, v97
	v_lshlrev_b32_e32 v97, 16, v97
	v_mul_f32_e32 v101, v84, v101
	v_mul_f32_e32 v97, v88, v97
	v_bfe_u32 v102, v101, 16, 1
	v_or_b32_e32 v103, 0x400000, v101
	v_cmp_u_f32_e32 vcc_lo, v101, v101
	v_add3_u32 v102, v102, v101, 0x7fff
	v_cndmask_b32_e32 v101, v102, v103, vcc_lo
	v_bfe_u32 v102, v97, 16, 1
	v_or_b32_e32 v103, 0x400000, v97
	v_cmp_u_f32_e32 vcc_lo, v97, v97
	v_and_b32_e32 v101, 0xffff0000, v101
	v_add3_u32 v102, v102, v97, 0x7fff
	v_cndmask_b32_e32 v97, v102, v103, vcc_lo
	v_and_b32_e32 v102, 0xffff0000, v98
	v_lshlrev_b32_e32 v98, 16, v98
	v_and_b32_e32 v97, 0xffff0000, v97
	v_mul_f32_e32 v102, v83, v102
	v_mul_f32_e32 v98, v87, v98
	v_add_f32_e32 v97, v97, v101
	v_bfe_u32 v103, v102, 16, 1
	v_or_b32_e32 v104, 0x400000, v102
	v_cmp_u_f32_e32 vcc_lo, v102, v102
	v_add3_u32 v103, v103, v102, 0x7fff
	v_cndmask_b32_e32 v102, v103, v104, vcc_lo
	v_bfe_u32 v103, v98, 16, 1
	v_or_b32_e32 v104, 0x400000, v98
	v_cmp_u_f32_e32 vcc_lo, v98, v98
	v_and_b32_e32 v101, 0xffff0000, v102
	v_add3_u32 v103, v103, v98, 0x7fff
	v_cndmask_b32_e32 v98, v103, v104, vcc_lo
	v_and_b32_e32 v103, 0xffff0000, v99
	v_lshlrev_b32_e32 v99, 16, v99
	v_and_b32_e32 v98, 0xffff0000, v98
	v_mul_f32_e32 v103, v82, v103
	v_mul_f32_e32 v99, v86, v99
	v_add_f32_e32 v98, v98, v101
	v_bfe_u32 v104, v103, 16, 1
	v_or_b32_e32 v118, 0x400000, v103
	v_cmp_u_f32_e32 vcc_lo, v103, v103
	v_add_f32_e32 v97, v98, v97
	v_add3_u32 v104, v104, v103, 0x7fff
	v_cndmask_b32_e32 v103, v104, v118, vcc_lo
	v_bfe_u32 v104, v99, 16, 1
	v_or_b32_e32 v118, 0x400000, v99
	v_cmp_u_f32_e32 vcc_lo, v99, v99
	v_add3_u32 v104, v104, v99, 0x7fff
	v_cndmask_b32_e32 v99, v104, v118, vcc_lo
	v_and_b32_e32 v104, 0xffff0000, v100
	v_lshlrev_b32_e32 v100, 16, v100
	v_and_b32_e32 v98, 0xffff0000, v99
	v_mul_f32_e32 v104, v81, v104
	v_mul_f32_e32 v100, v85, v100
	v_and_b32_e32 v99, 0xffff0000, v103
	v_bfe_u32 v118, v104, 16, 1
	v_or_b32_e32 v119, 0x400000, v104
	v_cmp_u_f32_e32 vcc_lo, v104, v104
	v_add_f32_e32 v98, v98, v99
	v_add3_u32 v118, v118, v104, 0x7fff
	v_add_f32_e32 v97, v98, v97
	v_cndmask_b32_e32 v104, v118, v119, vcc_lo
	v_bfe_u32 v118, v100, 16, 1
	v_or_b32_e32 v119, 0x400000, v100
	v_cmp_u_f32_e32 vcc_lo, v100, v100
	v_and_b32_e32 v99, 0xffff0000, v104
	v_add3_u32 v118, v118, v100, 0x7fff
	v_cndmask_b32_e32 v100, v118, v119, vcc_lo
	v_and_b32_e32 v98, 0xffff0000, v100
	v_add_f32_e32 v98, v98, v99
	v_add_f32_e32 v97, v98, v97
	;; [unrolled: 1-line block ×3, first 2 shown]
	v_and_b32_e32 v97, 0xffff0000, v93
	v_lshlrev_b32_e32 v93, 16, v93
	v_mul_f32_e32 v97, v84, v97
	v_mul_f32_e32 v93, v88, v93
	v_bfe_u32 v98, v97, 16, 1
	v_or_b32_e32 v99, 0x400000, v97
	v_cmp_u_f32_e32 vcc_lo, v97, v97
	v_add3_u32 v98, v98, v97, 0x7fff
	v_cndmask_b32_e32 v97, v98, v99, vcc_lo
	v_bfe_u32 v98, v93, 16, 1
	v_or_b32_e32 v99, 0x400000, v93
	v_cmp_u_f32_e32 vcc_lo, v93, v93
	v_and_b32_e32 v97, 0xffff0000, v97
	v_add3_u32 v98, v98, v93, 0x7fff
	v_cndmask_b32_e32 v93, v98, v99, vcc_lo
	v_and_b32_e32 v98, 0xffff0000, v94
	v_lshlrev_b32_e32 v94, 16, v94
	v_and_b32_e32 v93, 0xffff0000, v93
	v_mul_f32_e32 v98, v83, v98
	v_mul_f32_e32 v94, v87, v94
	v_add_f32_e32 v93, v93, v97
	v_bfe_u32 v99, v98, 16, 1
	v_or_b32_e32 v100, 0x400000, v98
	v_cmp_u_f32_e32 vcc_lo, v98, v98
	v_add3_u32 v99, v99, v98, 0x7fff
	v_cndmask_b32_e32 v98, v99, v100, vcc_lo
	v_bfe_u32 v99, v94, 16, 1
	v_or_b32_e32 v100, 0x400000, v94
	v_cmp_u_f32_e32 vcc_lo, v94, v94
	v_and_b32_e32 v97, 0xffff0000, v98
	v_add3_u32 v99, v99, v94, 0x7fff
	v_cndmask_b32_e32 v94, v99, v100, vcc_lo
	v_and_b32_e32 v99, 0xffff0000, v95
	v_lshlrev_b32_e32 v95, 16, v95
	v_and_b32_e32 v94, 0xffff0000, v94
	v_mul_f32_e32 v99, v82, v99
	v_mul_f32_e32 v95, v86, v95
	v_add_f32_e32 v94, v94, v97
	v_bfe_u32 v100, v99, 16, 1
	v_or_b32_e32 v101, 0x400000, v99
	v_cmp_u_f32_e32 vcc_lo, v99, v99
	v_add_f32_e32 v93, v94, v93
	v_add3_u32 v100, v100, v99, 0x7fff
	v_cndmask_b32_e32 v99, v100, v101, vcc_lo
	v_bfe_u32 v100, v95, 16, 1
	v_or_b32_e32 v101, 0x400000, v95
	v_cmp_u_f32_e32 vcc_lo, v95, v95
	v_add3_u32 v100, v100, v95, 0x7fff
	v_cndmask_b32_e32 v95, v100, v101, vcc_lo
	v_and_b32_e32 v100, 0xffff0000, v96
	v_lshlrev_b32_e32 v96, 16, v96
	v_and_b32_e32 v94, 0xffff0000, v95
	v_mul_f32_e32 v100, v81, v100
	v_mul_f32_e32 v96, v85, v96
	v_and_b32_e32 v95, 0xffff0000, v99
	v_bfe_u32 v101, v100, 16, 1
	v_or_b32_e32 v102, 0x400000, v100
	v_cmp_u_f32_e32 vcc_lo, v100, v100
	v_add_f32_e32 v94, v94, v95
	v_add3_u32 v101, v101, v100, 0x7fff
	v_add_f32_e32 v93, v94, v93
	v_cndmask_b32_e32 v100, v101, v102, vcc_lo
	v_bfe_u32 v101, v96, 16, 1
	v_or_b32_e32 v102, 0x400000, v96
	v_cmp_u_f32_e32 vcc_lo, v96, v96
	v_and_b32_e32 v95, 0xffff0000, v100
	v_add3_u32 v101, v101, v96, 0x7fff
	v_cndmask_b32_e32 v96, v101, v102, vcc_lo
	v_and_b32_e32 v94, 0xffff0000, v96
	v_add_f32_e32 v94, v94, v95
	v_add_f32_e32 v93, v94, v93
	v_add_f32_e32 v127, v127, v93
	v_and_b32_e32 v93, 0xffff0000, v89
	v_lshlrev_b32_e32 v89, 16, v89
	v_mul_f32_e32 v93, v84, v93
	v_mul_f32_e32 v89, v88, v89
	v_bfe_u32 v94, v93, 16, 1
	v_or_b32_e32 v95, 0x400000, v93
	v_cmp_u_f32_e32 vcc_lo, v93, v93
	v_add3_u32 v94, v94, v93, 0x7fff
	v_cndmask_b32_e32 v93, v94, v95, vcc_lo
	v_bfe_u32 v94, v89, 16, 1
	v_or_b32_e32 v95, 0x400000, v89
	v_cmp_u_f32_e32 vcc_lo, v89, v89
	v_and_b32_e32 v93, 0xffff0000, v93
	v_add3_u32 v94, v94, v89, 0x7fff
	v_cndmask_b32_e32 v89, v94, v95, vcc_lo
	v_and_b32_e32 v94, 0xffff0000, v90
	v_lshlrev_b32_e32 v90, 16, v90
	v_and_b32_e32 v89, 0xffff0000, v89
	v_mul_f32_e32 v94, v83, v94
	v_mul_f32_e32 v90, v87, v90
	v_add_f32_e32 v89, v89, v93
	v_bfe_u32 v95, v94, 16, 1
	v_or_b32_e32 v96, 0x400000, v94
	v_cmp_u_f32_e32 vcc_lo, v94, v94
	v_add3_u32 v95, v95, v94, 0x7fff
	v_cndmask_b32_e32 v94, v95, v96, vcc_lo
	v_bfe_u32 v95, v90, 16, 1
	v_or_b32_e32 v96, 0x400000, v90
	v_cmp_u_f32_e32 vcc_lo, v90, v90
	v_and_b32_e32 v93, 0xffff0000, v94
	v_add3_u32 v95, v95, v90, 0x7fff
	v_cndmask_b32_e32 v90, v95, v96, vcc_lo
	v_and_b32_e32 v95, 0xffff0000, v91
	v_lshlrev_b32_e32 v91, 16, v91
	v_and_b32_e32 v90, 0xffff0000, v90
	v_mul_f32_e32 v95, v82, v95
	v_mul_f32_e32 v91, v86, v91
	v_add_f32_e32 v90, v90, v93
	v_bfe_u32 v96, v95, 16, 1
	v_or_b32_e32 v97, 0x400000, v95
	v_cmp_u_f32_e32 vcc_lo, v95, v95
	v_add_f32_e32 v89, v90, v89
	v_add3_u32 v96, v96, v95, 0x7fff
	v_cndmask_b32_e32 v95, v96, v97, vcc_lo
	v_bfe_u32 v96, v91, 16, 1
	v_or_b32_e32 v97, 0x400000, v91
	v_cmp_u_f32_e32 vcc_lo, v91, v91
	v_add3_u32 v96, v96, v91, 0x7fff
	v_cndmask_b32_e32 v91, v96, v97, vcc_lo
	v_and_b32_e32 v96, 0xffff0000, v92
	v_lshlrev_b32_e32 v92, 16, v92
	v_and_b32_e32 v90, 0xffff0000, v91
	v_mul_f32_e32 v96, v81, v96
	v_mul_f32_e32 v92, v85, v92
	v_and_b32_e32 v91, 0xffff0000, v95
	v_bfe_u32 v97, v96, 16, 1
	v_or_b32_e32 v98, 0x400000, v96
	v_cmp_u_f32_e32 vcc_lo, v96, v96
	v_add_f32_e32 v90, v90, v91
	v_add3_u32 v97, v97, v96, 0x7fff
	v_add_f32_e32 v89, v90, v89
	v_cndmask_b32_e32 v96, v97, v98, vcc_lo
	v_bfe_u32 v97, v92, 16, 1
	v_or_b32_e32 v98, 0x400000, v92
	v_cmp_u_f32_e32 vcc_lo, v92, v92
	v_and_b32_e32 v91, 0xffff0000, v96
	v_add3_u32 v97, v97, v92, 0x7fff
	v_cndmask_b32_e32 v92, v97, v98, vcc_lo
	v_and_b32_e32 v90, 0xffff0000, v92
	v_add_f32_e32 v90, v90, v91
	v_add_f32_e32 v89, v90, v89
	;; [unrolled: 1-line block ×3, first 2 shown]
	v_and_b32_e32 v89, 0xffff0000, v77
	v_lshlrev_b32_e32 v77, 16, v77
	v_mul_f32_e32 v89, v84, v89
	v_mul_f32_e32 v77, v88, v77
	v_bfe_u32 v90, v89, 16, 1
	v_or_b32_e32 v91, 0x400000, v89
	v_cmp_u_f32_e32 vcc_lo, v89, v89
	v_add3_u32 v90, v90, v89, 0x7fff
	v_cndmask_b32_e32 v89, v90, v91, vcc_lo
	v_bfe_u32 v90, v77, 16, 1
	v_or_b32_e32 v91, 0x400000, v77
	v_cmp_u_f32_e32 vcc_lo, v77, v77
	v_and_b32_e32 v89, 0xffff0000, v89
	v_add3_u32 v90, v90, v77, 0x7fff
	v_cndmask_b32_e32 v77, v90, v91, vcc_lo
	v_and_b32_e32 v90, 0xffff0000, v78
	v_lshlrev_b32_e32 v78, 16, v78
	v_and_b32_e32 v77, 0xffff0000, v77
	v_mul_f32_e32 v90, v83, v90
	v_mul_f32_e32 v78, v87, v78
	v_add_f32_e32 v77, v77, v89
	v_bfe_u32 v91, v90, 16, 1
	v_or_b32_e32 v92, 0x400000, v90
	v_cmp_u_f32_e32 vcc_lo, v90, v90
	v_add3_u32 v91, v91, v90, 0x7fff
	v_cndmask_b32_e32 v90, v91, v92, vcc_lo
	v_bfe_u32 v91, v78, 16, 1
	v_or_b32_e32 v92, 0x400000, v78
	v_cmp_u_f32_e32 vcc_lo, v78, v78
	v_and_b32_e32 v89, 0xffff0000, v90
	v_add3_u32 v91, v91, v78, 0x7fff
	v_cndmask_b32_e32 v78, v91, v92, vcc_lo
	v_and_b32_e32 v91, 0xffff0000, v79
	v_lshlrev_b32_e32 v79, 16, v79
	v_and_b32_e32 v78, 0xffff0000, v78
	v_mul_f32_e32 v91, v82, v91
	v_mul_f32_e32 v79, v86, v79
	v_add_f32_e32 v78, v78, v89
	v_bfe_u32 v92, v91, 16, 1
	v_or_b32_e32 v93, 0x400000, v91
	v_cmp_u_f32_e32 vcc_lo, v91, v91
	v_add_f32_e32 v77, v78, v77
	v_add3_u32 v92, v92, v91, 0x7fff
	v_cndmask_b32_e32 v91, v92, v93, vcc_lo
	v_bfe_u32 v92, v79, 16, 1
	v_or_b32_e32 v93, 0x400000, v79
	v_cmp_u_f32_e32 vcc_lo, v79, v79
	v_add3_u32 v92, v92, v79, 0x7fff
	v_cndmask_b32_e32 v79, v92, v93, vcc_lo
	v_and_b32_e32 v92, 0xffff0000, v80
	v_lshlrev_b32_e32 v80, 16, v80
	v_and_b32_e32 v78, 0xffff0000, v79
	v_mul_f32_e32 v92, v81, v92
	v_mul_f32_e32 v80, v85, v80
	v_and_b32_e32 v79, 0xffff0000, v91
	v_bfe_u32 v93, v92, 16, 1
	v_or_b32_e32 v94, 0x400000, v92
	v_cmp_u_f32_e32 vcc_lo, v92, v92
	v_add_f32_e32 v78, v78, v79
	v_add3_u32 v93, v93, v92, 0x7fff
	v_add_f32_e32 v77, v78, v77
	v_cndmask_b32_e32 v92, v93, v94, vcc_lo
	v_bfe_u32 v93, v80, 16, 1
	v_or_b32_e32 v94, 0x400000, v80
	v_cmp_u_f32_e32 vcc_lo, v80, v80
	v_and_b32_e32 v79, 0xffff0000, v92
	v_add3_u32 v93, v93, v80, 0x7fff
	v_cndmask_b32_e32 v80, v93, v94, vcc_lo
	v_and_b32_e32 v78, 0xffff0000, v80
	v_add_f32_e32 v78, v78, v79
	v_add_f32_e32 v77, v78, v77
	;; [unrolled: 1-line block ×3, first 2 shown]
	v_and_b32_e32 v77, 0xffff0000, v73
	v_lshlrev_b32_e32 v73, 16, v73
	v_mul_f32_e32 v77, v84, v77
	v_mul_f32_e32 v73, v88, v73
	v_bfe_u32 v78, v77, 16, 1
	v_or_b32_e32 v79, 0x400000, v77
	v_cmp_u_f32_e32 vcc_lo, v77, v77
	v_add3_u32 v78, v78, v77, 0x7fff
	v_cndmask_b32_e32 v77, v78, v79, vcc_lo
	v_bfe_u32 v78, v73, 16, 1
	v_or_b32_e32 v79, 0x400000, v73
	v_cmp_u_f32_e32 vcc_lo, v73, v73
	v_and_b32_e32 v77, 0xffff0000, v77
	v_add3_u32 v78, v78, v73, 0x7fff
	v_cndmask_b32_e32 v73, v78, v79, vcc_lo
	v_and_b32_e32 v78, 0xffff0000, v74
	v_lshlrev_b32_e32 v74, 16, v74
	v_and_b32_e32 v73, 0xffff0000, v73
	v_mul_f32_e32 v78, v83, v78
	v_mul_f32_e32 v74, v87, v74
	v_add_f32_e32 v73, v73, v77
	v_bfe_u32 v79, v78, 16, 1
	v_or_b32_e32 v80, 0x400000, v78
	v_cmp_u_f32_e32 vcc_lo, v78, v78
	v_add3_u32 v79, v79, v78, 0x7fff
	v_cndmask_b32_e32 v78, v79, v80, vcc_lo
	v_bfe_u32 v79, v74, 16, 1
	v_or_b32_e32 v80, 0x400000, v74
	v_cmp_u_f32_e32 vcc_lo, v74, v74
	v_and_b32_e32 v77, 0xffff0000, v78
	v_add3_u32 v79, v79, v74, 0x7fff
	v_cndmask_b32_e32 v74, v79, v80, vcc_lo
	v_and_b32_e32 v79, 0xffff0000, v75
	v_lshlrev_b32_e32 v75, 16, v75
	v_and_b32_e32 v74, 0xffff0000, v74
	v_mul_f32_e32 v79, v82, v79
	v_mul_f32_e32 v75, v86, v75
	v_add_f32_e32 v74, v74, v77
	v_bfe_u32 v80, v79, 16, 1
	v_or_b32_e32 v89, 0x400000, v79
	v_cmp_u_f32_e32 vcc_lo, v79, v79
	v_add_f32_e32 v73, v74, v73
	v_add3_u32 v80, v80, v79, 0x7fff
	v_cndmask_b32_e32 v79, v80, v89, vcc_lo
	v_bfe_u32 v80, v75, 16, 1
	v_or_b32_e32 v89, 0x400000, v75
	v_cmp_u_f32_e32 vcc_lo, v75, v75
	v_add3_u32 v80, v80, v75, 0x7fff
	v_cndmask_b32_e32 v75, v80, v89, vcc_lo
	v_and_b32_e32 v80, 0xffff0000, v76
	v_lshlrev_b32_e32 v76, 16, v76
	v_and_b32_e32 v74, 0xffff0000, v75
	v_mul_f32_e32 v80, v81, v80
	v_mul_f32_e32 v76, v85, v76
	v_and_b32_e32 v75, 0xffff0000, v79
	v_bfe_u32 v89, v80, 16, 1
	v_or_b32_e32 v90, 0x400000, v80
	v_cmp_u_f32_e32 vcc_lo, v80, v80
	v_add_f32_e32 v74, v74, v75
	v_add3_u32 v89, v89, v80, 0x7fff
	v_add_f32_e32 v73, v74, v73
	v_cndmask_b32_e32 v80, v89, v90, vcc_lo
	v_bfe_u32 v89, v76, 16, 1
	v_or_b32_e32 v90, 0x400000, v76
	v_cmp_u_f32_e32 vcc_lo, v76, v76
	v_and_b32_e32 v75, 0xffff0000, v80
	v_add3_u32 v89, v89, v76, 0x7fff
	v_cndmask_b32_e32 v76, v89, v90, vcc_lo
	v_and_b32_e32 v74, 0xffff0000, v76
	v_add_f32_e32 v74, v74, v75
	v_add_f32_e32 v73, v74, v73
	;; [unrolled: 1-line block ×3, first 2 shown]
	v_and_b32_e32 v73, 0xffff0000, v69
	v_lshlrev_b32_e32 v69, 16, v69
	v_mul_f32_e32 v73, v84, v73
	v_mul_f32_e32 v69, v88, v69
	v_bfe_u32 v74, v73, 16, 1
	v_or_b32_e32 v75, 0x400000, v73
	v_cmp_u_f32_e32 vcc_lo, v73, v73
	v_add3_u32 v74, v74, v73, 0x7fff
	v_cndmask_b32_e32 v73, v74, v75, vcc_lo
	v_bfe_u32 v74, v69, 16, 1
	v_or_b32_e32 v75, 0x400000, v69
	v_cmp_u_f32_e32 vcc_lo, v69, v69
	v_and_b32_e32 v73, 0xffff0000, v73
	v_add3_u32 v74, v74, v69, 0x7fff
	v_cndmask_b32_e32 v69, v74, v75, vcc_lo
	v_and_b32_e32 v74, 0xffff0000, v70
	v_lshlrev_b32_e32 v70, 16, v70
	v_and_b32_e32 v69, 0xffff0000, v69
	v_mul_f32_e32 v74, v83, v74
	v_mul_f32_e32 v70, v87, v70
	v_add_f32_e32 v69, v69, v73
	v_bfe_u32 v75, v74, 16, 1
	v_or_b32_e32 v76, 0x400000, v74
	v_cmp_u_f32_e32 vcc_lo, v74, v74
	v_add3_u32 v75, v75, v74, 0x7fff
	v_cndmask_b32_e32 v74, v75, v76, vcc_lo
	v_bfe_u32 v75, v70, 16, 1
	v_or_b32_e32 v76, 0x400000, v70
	v_cmp_u_f32_e32 vcc_lo, v70, v70
	v_and_b32_e32 v73, 0xffff0000, v74
	v_add3_u32 v75, v75, v70, 0x7fff
	v_cndmask_b32_e32 v70, v75, v76, vcc_lo
	v_and_b32_e32 v75, 0xffff0000, v71
	v_lshlrev_b32_e32 v71, 16, v71
	v_and_b32_e32 v70, 0xffff0000, v70
	v_mul_f32_e32 v75, v82, v75
	v_mul_f32_e32 v71, v86, v71
	v_add_f32_e32 v70, v70, v73
	v_bfe_u32 v76, v75, 16, 1
	v_or_b32_e32 v77, 0x400000, v75
	v_cmp_u_f32_e32 vcc_lo, v75, v75
	v_add_f32_e32 v69, v70, v69
	v_add3_u32 v76, v76, v75, 0x7fff
	v_cndmask_b32_e32 v75, v76, v77, vcc_lo
	v_bfe_u32 v76, v71, 16, 1
	v_or_b32_e32 v77, 0x400000, v71
	v_cmp_u_f32_e32 vcc_lo, v71, v71
	v_add3_u32 v76, v76, v71, 0x7fff
	v_cndmask_b32_e32 v71, v76, v77, vcc_lo
	v_and_b32_e32 v76, 0xffff0000, v72
	v_lshlrev_b32_e32 v72, 16, v72
	v_and_b32_e32 v70, 0xffff0000, v71
	v_and_b32_e32 v71, 0xffff0000, v75
	buffer_load_dword v75, off, s[36:39], 0 offset:4 ; 4-byte Folded Reload
	v_mul_f32_e32 v76, v81, v76
	v_mul_f32_e32 v72, v85, v72
	v_add_f32_e32 v70, v70, v71
	v_bfe_u32 v77, v76, 16, 1
	v_or_b32_e32 v78, 0x400000, v76
	v_cmp_u_f32_e32 vcc_lo, v76, v76
	v_add_f32_e32 v69, v70, v69
	v_add3_u32 v77, v77, v76, 0x7fff
	v_cndmask_b32_e32 v76, v77, v78, vcc_lo
	v_bfe_u32 v77, v72, 16, 1
	v_or_b32_e32 v78, 0x400000, v72
	v_cmp_u_f32_e32 vcc_lo, v72, v72
	v_and_b32_e32 v71, 0xffff0000, v76
	v_add3_u32 v77, v77, v72, 0x7fff
	v_cndmask_b32_e32 v72, v77, v78, vcc_lo
	v_and_b32_e32 v70, 0xffff0000, v72
	v_add_f32_e32 v70, v70, v71
	v_add_f32_e32 v69, v70, v69
	s_waitcnt vmcnt(0)
	v_add_f32_e32 v75, v75, v69
	v_and_b32_e32 v69, 0xffff0000, v65
	v_lshlrev_b32_e32 v65, 16, v65
	v_mul_f32_e32 v69, v84, v69
	v_mul_f32_e32 v65, v88, v65
	v_bfe_u32 v70, v69, 16, 1
	v_or_b32_e32 v71, 0x400000, v69
	v_cmp_u_f32_e32 vcc_lo, v69, v69
	v_add3_u32 v70, v70, v69, 0x7fff
	v_cndmask_b32_e32 v69, v70, v71, vcc_lo
	v_bfe_u32 v70, v65, 16, 1
	v_or_b32_e32 v71, 0x400000, v65
	v_cmp_u_f32_e32 vcc_lo, v65, v65
	v_and_b32_e32 v69, 0xffff0000, v69
	v_add3_u32 v70, v70, v65, 0x7fff
	v_cndmask_b32_e32 v65, v70, v71, vcc_lo
	v_and_b32_e32 v70, 0xffff0000, v66
	v_lshlrev_b32_e32 v66, 16, v66
	v_and_b32_e32 v65, 0xffff0000, v65
	v_mul_f32_e32 v70, v83, v70
	v_mul_f32_e32 v66, v87, v66
	v_add_f32_e32 v65, v65, v69
	v_bfe_u32 v71, v70, 16, 1
	v_or_b32_e32 v72, 0x400000, v70
	v_cmp_u_f32_e32 vcc_lo, v70, v70
	v_add3_u32 v71, v71, v70, 0x7fff
	v_cndmask_b32_e32 v70, v71, v72, vcc_lo
	v_bfe_u32 v71, v66, 16, 1
	v_or_b32_e32 v72, 0x400000, v66
	v_cmp_u_f32_e32 vcc_lo, v66, v66
	v_and_b32_e32 v69, 0xffff0000, v70
	v_add3_u32 v71, v71, v66, 0x7fff
	v_cndmask_b32_e32 v66, v71, v72, vcc_lo
	v_and_b32_e32 v71, 0xffff0000, v67
	v_lshlrev_b32_e32 v67, 16, v67
	v_and_b32_e32 v66, 0xffff0000, v66
	v_mul_f32_e32 v71, v82, v71
	v_mul_f32_e32 v67, v86, v67
	v_add_f32_e32 v66, v66, v69
	v_bfe_u32 v72, v71, 16, 1
	v_or_b32_e32 v73, 0x400000, v71
	v_cmp_u_f32_e32 vcc_lo, v71, v71
	v_add_f32_e32 v65, v66, v65
	v_add3_u32 v72, v72, v71, 0x7fff
	v_cndmask_b32_e32 v71, v72, v73, vcc_lo
	v_bfe_u32 v72, v67, 16, 1
	v_or_b32_e32 v73, 0x400000, v67
	v_cmp_u_f32_e32 vcc_lo, v67, v67
	v_add3_u32 v72, v72, v67, 0x7fff
	v_cndmask_b32_e32 v67, v72, v73, vcc_lo
	v_and_b32_e32 v72, 0xffff0000, v68
	v_lshlrev_b32_e32 v68, 16, v68
	v_and_b32_e32 v66, 0xffff0000, v67
	v_and_b32_e32 v67, 0xffff0000, v71
	buffer_load_dword v71, off, s[36:39], 0 offset:8 ; 4-byte Folded Reload
	v_mul_f32_e32 v72, v81, v72
	v_mul_f32_e32 v68, v85, v68
	v_add_f32_e32 v66, v66, v67
	v_bfe_u32 v73, v72, 16, 1
	v_or_b32_e32 v74, 0x400000, v72
	v_cmp_u_f32_e32 vcc_lo, v72, v72
	v_add_f32_e32 v65, v66, v65
	v_add3_u32 v73, v73, v72, 0x7fff
	v_cndmask_b32_e32 v72, v73, v74, vcc_lo
	v_bfe_u32 v73, v68, 16, 1
	v_or_b32_e32 v74, 0x400000, v68
	v_cmp_u_f32_e32 vcc_lo, v68, v68
	v_and_b32_e32 v67, 0xffff0000, v72
	v_add3_u32 v73, v73, v68, 0x7fff
	v_cndmask_b32_e32 v68, v73, v74, vcc_lo
	v_and_b32_e32 v66, 0xffff0000, v68
	v_add_f32_e32 v66, v66, v67
	v_add_f32_e32 v65, v66, v65
	s_waitcnt vmcnt(0)
	v_add_f32_e32 v71, v71, v65
	v_and_b32_e32 v65, 0xffff0000, v61
	v_lshlrev_b32_e32 v61, 16, v61
	v_mul_f32_e32 v65, v84, v65
	v_mul_f32_e32 v61, v88, v61
	v_bfe_u32 v66, v65, 16, 1
	v_or_b32_e32 v67, 0x400000, v65
	v_cmp_u_f32_e32 vcc_lo, v65, v65
	v_add3_u32 v66, v66, v65, 0x7fff
	v_cndmask_b32_e32 v65, v66, v67, vcc_lo
	v_bfe_u32 v66, v61, 16, 1
	v_or_b32_e32 v67, 0x400000, v61
	v_cmp_u_f32_e32 vcc_lo, v61, v61
	v_and_b32_e32 v65, 0xffff0000, v65
	v_add3_u32 v66, v66, v61, 0x7fff
	v_cndmask_b32_e32 v61, v66, v67, vcc_lo
	v_and_b32_e32 v66, 0xffff0000, v62
	v_lshlrev_b32_e32 v62, 16, v62
	v_and_b32_e32 v61, 0xffff0000, v61
	v_mul_f32_e32 v66, v83, v66
	v_mul_f32_e32 v62, v87, v62
	v_add_f32_e32 v61, v61, v65
	v_bfe_u32 v67, v66, 16, 1
	v_or_b32_e32 v68, 0x400000, v66
	v_cmp_u_f32_e32 vcc_lo, v66, v66
	v_add3_u32 v67, v67, v66, 0x7fff
	v_cndmask_b32_e32 v66, v67, v68, vcc_lo
	v_bfe_u32 v67, v62, 16, 1
	v_or_b32_e32 v68, 0x400000, v62
	v_cmp_u_f32_e32 vcc_lo, v62, v62
	v_and_b32_e32 v65, 0xffff0000, v66
	v_add3_u32 v67, v67, v62, 0x7fff
	v_cndmask_b32_e32 v62, v67, v68, vcc_lo
	v_and_b32_e32 v67, 0xffff0000, v63
	v_lshlrev_b32_e32 v63, 16, v63
	v_and_b32_e32 v62, 0xffff0000, v62
	v_mul_f32_e32 v67, v82, v67
	v_mul_f32_e32 v63, v86, v63
	v_add_f32_e32 v62, v62, v65
	v_bfe_u32 v68, v67, 16, 1
	v_or_b32_e32 v69, 0x400000, v67
	v_cmp_u_f32_e32 vcc_lo, v67, v67
	v_add_f32_e32 v61, v62, v61
	v_add3_u32 v68, v68, v67, 0x7fff
	v_cndmask_b32_e32 v67, v68, v69, vcc_lo
	v_bfe_u32 v68, v63, 16, 1
	v_or_b32_e32 v69, 0x400000, v63
	v_cmp_u_f32_e32 vcc_lo, v63, v63
	v_add3_u32 v68, v68, v63, 0x7fff
	v_cndmask_b32_e32 v63, v68, v69, vcc_lo
	v_and_b32_e32 v68, 0xffff0000, v64
	v_lshlrev_b32_e32 v64, 16, v64
	v_and_b32_e32 v62, 0xffff0000, v63
	v_and_b32_e32 v63, 0xffff0000, v67
	buffer_load_dword v67, off, s[36:39], 0 offset:12 ; 4-byte Folded Reload
	v_mul_f32_e32 v68, v81, v68
	v_mul_f32_e32 v64, v85, v64
	v_add_f32_e32 v62, v62, v63
	v_bfe_u32 v69, v68, 16, 1
	v_or_b32_e32 v70, 0x400000, v68
	v_cmp_u_f32_e32 vcc_lo, v68, v68
	v_add_f32_e32 v61, v62, v61
	v_add3_u32 v69, v69, v68, 0x7fff
	v_cndmask_b32_e32 v68, v69, v70, vcc_lo
	v_bfe_u32 v69, v64, 16, 1
	v_or_b32_e32 v70, 0x400000, v64
	v_cmp_u_f32_e32 vcc_lo, v64, v64
	v_and_b32_e32 v63, 0xffff0000, v68
	v_add3_u32 v69, v69, v64, 0x7fff
	v_cndmask_b32_e32 v64, v69, v70, vcc_lo
	v_and_b32_e32 v62, 0xffff0000, v64
	v_add_f32_e32 v62, v62, v63
	v_add_f32_e32 v61, v62, v61
	s_waitcnt vmcnt(0)
	v_add_f32_e32 v67, v67, v61
	v_and_b32_e32 v61, 0xffff0000, v57
	v_lshlrev_b32_e32 v57, 16, v57
	v_mul_f32_e32 v61, v84, v61
	v_mul_f32_e32 v57, v88, v57
	v_bfe_u32 v62, v61, 16, 1
	v_or_b32_e32 v63, 0x400000, v61
	v_cmp_u_f32_e32 vcc_lo, v61, v61
	v_add3_u32 v62, v62, v61, 0x7fff
	v_cndmask_b32_e32 v61, v62, v63, vcc_lo
	v_bfe_u32 v62, v57, 16, 1
	v_or_b32_e32 v63, 0x400000, v57
	v_cmp_u_f32_e32 vcc_lo, v57, v57
	v_and_b32_e32 v61, 0xffff0000, v61
	v_add3_u32 v62, v62, v57, 0x7fff
	v_cndmask_b32_e32 v57, v62, v63, vcc_lo
	v_and_b32_e32 v62, 0xffff0000, v58
	v_lshlrev_b32_e32 v58, 16, v58
	v_and_b32_e32 v57, 0xffff0000, v57
	v_mul_f32_e32 v62, v83, v62
	v_mul_f32_e32 v58, v87, v58
	v_add_f32_e32 v57, v57, v61
	v_bfe_u32 v63, v62, 16, 1
	v_or_b32_e32 v64, 0x400000, v62
	v_cmp_u_f32_e32 vcc_lo, v62, v62
	v_add3_u32 v63, v63, v62, 0x7fff
	v_cndmask_b32_e32 v62, v63, v64, vcc_lo
	v_bfe_u32 v63, v58, 16, 1
	v_or_b32_e32 v64, 0x400000, v58
	v_cmp_u_f32_e32 vcc_lo, v58, v58
	v_and_b32_e32 v61, 0xffff0000, v62
	v_add3_u32 v63, v63, v58, 0x7fff
	v_cndmask_b32_e32 v58, v63, v64, vcc_lo
	v_and_b32_e32 v63, 0xffff0000, v59
	v_lshlrev_b32_e32 v59, 16, v59
	v_and_b32_e32 v58, 0xffff0000, v58
	v_mul_f32_e32 v63, v82, v63
	v_mul_f32_e32 v59, v86, v59
	v_add_f32_e32 v58, v58, v61
	v_bfe_u32 v64, v63, 16, 1
	v_or_b32_e32 v65, 0x400000, v63
	v_cmp_u_f32_e32 vcc_lo, v63, v63
	v_add_f32_e32 v57, v58, v57
	v_add3_u32 v64, v64, v63, 0x7fff
	v_cndmask_b32_e32 v63, v64, v65, vcc_lo
	v_bfe_u32 v64, v59, 16, 1
	v_or_b32_e32 v65, 0x400000, v59
	v_cmp_u_f32_e32 vcc_lo, v59, v59
	v_add3_u32 v64, v64, v59, 0x7fff
	v_cndmask_b32_e32 v59, v64, v65, vcc_lo
	v_and_b32_e32 v64, 0xffff0000, v60
	v_lshlrev_b32_e32 v60, 16, v60
	v_and_b32_e32 v58, 0xffff0000, v59
	v_and_b32_e32 v59, 0xffff0000, v63
	buffer_load_dword v63, off, s[36:39], 0 offset:16 ; 4-byte Folded Reload
	v_mul_f32_e32 v64, v81, v64
	v_mul_f32_e32 v60, v85, v60
	v_add_f32_e32 v58, v58, v59
	v_bfe_u32 v65, v64, 16, 1
	v_or_b32_e32 v66, 0x400000, v64
	v_cmp_u_f32_e32 vcc_lo, v64, v64
	v_add_f32_e32 v57, v58, v57
	v_add3_u32 v65, v65, v64, 0x7fff
	v_cndmask_b32_e32 v64, v65, v66, vcc_lo
	v_bfe_u32 v65, v60, 16, 1
	v_or_b32_e32 v66, 0x400000, v60
	v_cmp_u_f32_e32 vcc_lo, v60, v60
	v_and_b32_e32 v59, 0xffff0000, v64
	v_add3_u32 v65, v65, v60, 0x7fff
	v_cndmask_b32_e32 v60, v65, v66, vcc_lo
	v_and_b32_e32 v58, 0xffff0000, v60
	v_add_f32_e32 v58, v58, v59
	v_add_f32_e32 v57, v58, v57
	s_waitcnt vmcnt(0)
	v_add_f32_e32 v63, v63, v57
	v_and_b32_e32 v57, 0xffff0000, v53
	v_lshlrev_b32_e32 v53, 16, v53
	v_mul_f32_e32 v57, v84, v57
	v_mul_f32_e32 v53, v88, v53
	v_bfe_u32 v58, v57, 16, 1
	v_or_b32_e32 v59, 0x400000, v57
	v_cmp_u_f32_e32 vcc_lo, v57, v57
	v_add3_u32 v58, v58, v57, 0x7fff
	v_cndmask_b32_e32 v57, v58, v59, vcc_lo
	v_bfe_u32 v58, v53, 16, 1
	v_or_b32_e32 v59, 0x400000, v53
	v_cmp_u_f32_e32 vcc_lo, v53, v53
	v_and_b32_e32 v57, 0xffff0000, v57
	v_add3_u32 v58, v58, v53, 0x7fff
	v_cndmask_b32_e32 v53, v58, v59, vcc_lo
	v_and_b32_e32 v58, 0xffff0000, v54
	v_lshlrev_b32_e32 v54, 16, v54
	v_and_b32_e32 v53, 0xffff0000, v53
	v_mul_f32_e32 v58, v83, v58
	v_mul_f32_e32 v54, v87, v54
	v_add_f32_e32 v53, v53, v57
	v_bfe_u32 v59, v58, 16, 1
	v_or_b32_e32 v60, 0x400000, v58
	v_cmp_u_f32_e32 vcc_lo, v58, v58
	v_add3_u32 v59, v59, v58, 0x7fff
	v_cndmask_b32_e32 v58, v59, v60, vcc_lo
	v_bfe_u32 v59, v54, 16, 1
	v_or_b32_e32 v60, 0x400000, v54
	v_cmp_u_f32_e32 vcc_lo, v54, v54
	v_and_b32_e32 v57, 0xffff0000, v58
	v_add3_u32 v59, v59, v54, 0x7fff
	v_cndmask_b32_e32 v54, v59, v60, vcc_lo
	v_and_b32_e32 v59, 0xffff0000, v55
	v_lshlrev_b32_e32 v55, 16, v55
	v_and_b32_e32 v54, 0xffff0000, v54
	v_mul_f32_e32 v59, v82, v59
	v_mul_f32_e32 v55, v86, v55
	v_add_f32_e32 v54, v54, v57
	v_bfe_u32 v60, v59, 16, 1
	v_or_b32_e32 v61, 0x400000, v59
	v_cmp_u_f32_e32 vcc_lo, v59, v59
	v_add_f32_e32 v53, v54, v53
	v_add3_u32 v60, v60, v59, 0x7fff
	v_cndmask_b32_e32 v59, v60, v61, vcc_lo
	v_bfe_u32 v60, v55, 16, 1
	v_or_b32_e32 v61, 0x400000, v55
	v_cmp_u_f32_e32 vcc_lo, v55, v55
	v_add3_u32 v60, v60, v55, 0x7fff
	v_cndmask_b32_e32 v55, v60, v61, vcc_lo
	v_and_b32_e32 v60, 0xffff0000, v56
	v_lshlrev_b32_e32 v56, 16, v56
	v_and_b32_e32 v54, 0xffff0000, v55
	v_and_b32_e32 v55, 0xffff0000, v59
	buffer_load_dword v59, off, s[36:39], 0 offset:20 ; 4-byte Folded Reload
	v_mul_f32_e32 v60, v81, v60
	v_mul_f32_e32 v56, v85, v56
	v_add_f32_e32 v54, v54, v55
	v_bfe_u32 v61, v60, 16, 1
	v_or_b32_e32 v62, 0x400000, v60
	v_cmp_u_f32_e32 vcc_lo, v60, v60
	v_add_f32_e32 v53, v54, v53
	v_add3_u32 v61, v61, v60, 0x7fff
	v_cndmask_b32_e32 v60, v61, v62, vcc_lo
	v_bfe_u32 v61, v56, 16, 1
	v_or_b32_e32 v62, 0x400000, v56
	v_cmp_u_f32_e32 vcc_lo, v56, v56
	v_and_b32_e32 v55, 0xffff0000, v60
	v_add3_u32 v61, v61, v56, 0x7fff
	v_cndmask_b32_e32 v56, v61, v62, vcc_lo
	v_and_b32_e32 v54, 0xffff0000, v56
	v_add_f32_e32 v54, v54, v55
	v_add_f32_e32 v53, v54, v53
	s_waitcnt vmcnt(0)
	v_add_f32_e32 v59, v59, v53
	v_and_b32_e32 v53, 0xffff0000, v49
	v_lshlrev_b32_e32 v49, 16, v49
	v_mul_f32_e32 v53, v84, v53
	v_mul_f32_e32 v49, v88, v49
	v_bfe_u32 v54, v53, 16, 1
	v_or_b32_e32 v55, 0x400000, v53
	v_cmp_u_f32_e32 vcc_lo, v53, v53
	v_add3_u32 v54, v54, v53, 0x7fff
	v_cndmask_b32_e32 v53, v54, v55, vcc_lo
	v_bfe_u32 v54, v49, 16, 1
	v_or_b32_e32 v55, 0x400000, v49
	v_cmp_u_f32_e32 vcc_lo, v49, v49
	v_and_b32_e32 v53, 0xffff0000, v53
	v_add3_u32 v54, v54, v49, 0x7fff
	v_cndmask_b32_e32 v49, v54, v55, vcc_lo
	v_and_b32_e32 v54, 0xffff0000, v50
	v_lshlrev_b32_e32 v50, 16, v50
	v_and_b32_e32 v49, 0xffff0000, v49
	v_mul_f32_e32 v54, v83, v54
	v_mul_f32_e32 v50, v87, v50
	v_add_f32_e32 v49, v49, v53
	v_bfe_u32 v55, v54, 16, 1
	v_or_b32_e32 v56, 0x400000, v54
	v_cmp_u_f32_e32 vcc_lo, v54, v54
	v_add3_u32 v55, v55, v54, 0x7fff
	v_cndmask_b32_e32 v54, v55, v56, vcc_lo
	v_bfe_u32 v55, v50, 16, 1
	v_or_b32_e32 v56, 0x400000, v50
	v_cmp_u_f32_e32 vcc_lo, v50, v50
	v_and_b32_e32 v53, 0xffff0000, v54
	v_add3_u32 v55, v55, v50, 0x7fff
	v_cndmask_b32_e32 v50, v55, v56, vcc_lo
	v_and_b32_e32 v55, 0xffff0000, v51
	v_lshlrev_b32_e32 v51, 16, v51
	v_and_b32_e32 v50, 0xffff0000, v50
	v_mul_f32_e32 v55, v82, v55
	v_mul_f32_e32 v51, v86, v51
	v_add_f32_e32 v50, v50, v53
	v_bfe_u32 v56, v55, 16, 1
	v_or_b32_e32 v57, 0x400000, v55
	v_cmp_u_f32_e32 vcc_lo, v55, v55
	v_add_f32_e32 v49, v50, v49
	v_add3_u32 v56, v56, v55, 0x7fff
	v_cndmask_b32_e32 v55, v56, v57, vcc_lo
	v_bfe_u32 v56, v51, 16, 1
	v_or_b32_e32 v57, 0x400000, v51
	v_cmp_u_f32_e32 vcc_lo, v51, v51
	v_add3_u32 v56, v56, v51, 0x7fff
	v_cndmask_b32_e32 v51, v56, v57, vcc_lo
	v_and_b32_e32 v56, 0xffff0000, v52
	v_lshlrev_b32_e32 v52, 16, v52
	v_and_b32_e32 v50, 0xffff0000, v51
	v_and_b32_e32 v51, 0xffff0000, v55
	buffer_load_dword v55, off, s[36:39], 0 offset:24 ; 4-byte Folded Reload
	v_mul_f32_e32 v56, v81, v56
	v_mul_f32_e32 v52, v85, v52
	v_add_f32_e32 v50, v50, v51
	v_bfe_u32 v57, v56, 16, 1
	v_or_b32_e32 v58, 0x400000, v56
	v_cmp_u_f32_e32 vcc_lo, v56, v56
	v_add_f32_e32 v49, v50, v49
	v_add3_u32 v57, v57, v56, 0x7fff
	v_cndmask_b32_e32 v56, v57, v58, vcc_lo
	v_bfe_u32 v57, v52, 16, 1
	v_or_b32_e32 v58, 0x400000, v52
	v_cmp_u_f32_e32 vcc_lo, v52, v52
	v_and_b32_e32 v51, 0xffff0000, v56
	v_add3_u32 v57, v57, v52, 0x7fff
	v_cndmask_b32_e32 v52, v57, v58, vcc_lo
	v_and_b32_e32 v50, 0xffff0000, v52
	v_add_f32_e32 v50, v50, v51
	v_add_f32_e32 v49, v50, v49
	s_waitcnt vmcnt(0)
	v_add_f32_e32 v55, v55, v49
	v_and_b32_e32 v49, 0xffff0000, v45
	v_lshlrev_b32_e32 v45, 16, v45
	v_mul_f32_e32 v49, v84, v49
	v_mul_f32_e32 v45, v88, v45
	v_bfe_u32 v50, v49, 16, 1
	v_or_b32_e32 v51, 0x400000, v49
	v_cmp_u_f32_e32 vcc_lo, v49, v49
	v_add3_u32 v50, v50, v49, 0x7fff
	v_cndmask_b32_e32 v49, v50, v51, vcc_lo
	v_bfe_u32 v50, v45, 16, 1
	v_or_b32_e32 v51, 0x400000, v45
	v_cmp_u_f32_e32 vcc_lo, v45, v45
	v_and_b32_e32 v49, 0xffff0000, v49
	v_add3_u32 v50, v50, v45, 0x7fff
	v_cndmask_b32_e32 v45, v50, v51, vcc_lo
	v_and_b32_e32 v50, 0xffff0000, v46
	v_lshlrev_b32_e32 v46, 16, v46
	v_and_b32_e32 v45, 0xffff0000, v45
	v_mul_f32_e32 v50, v83, v50
	v_mul_f32_e32 v46, v87, v46
	v_add_f32_e32 v45, v45, v49
	v_bfe_u32 v51, v50, 16, 1
	v_or_b32_e32 v52, 0x400000, v50
	v_cmp_u_f32_e32 vcc_lo, v50, v50
	v_add3_u32 v51, v51, v50, 0x7fff
	v_cndmask_b32_e32 v50, v51, v52, vcc_lo
	v_bfe_u32 v51, v46, 16, 1
	v_or_b32_e32 v52, 0x400000, v46
	v_cmp_u_f32_e32 vcc_lo, v46, v46
	v_and_b32_e32 v49, 0xffff0000, v50
	v_add3_u32 v51, v51, v46, 0x7fff
	v_cndmask_b32_e32 v46, v51, v52, vcc_lo
	v_and_b32_e32 v51, 0xffff0000, v47
	v_lshlrev_b32_e32 v47, 16, v47
	v_and_b32_e32 v46, 0xffff0000, v46
	v_mul_f32_e32 v51, v82, v51
	v_mul_f32_e32 v47, v86, v47
	v_add_f32_e32 v46, v46, v49
	v_bfe_u32 v52, v51, 16, 1
	v_or_b32_e32 v53, 0x400000, v51
	v_cmp_u_f32_e32 vcc_lo, v51, v51
	v_add_f32_e32 v45, v46, v45
	v_add3_u32 v52, v52, v51, 0x7fff
	v_cndmask_b32_e32 v51, v52, v53, vcc_lo
	v_bfe_u32 v52, v47, 16, 1
	v_or_b32_e32 v53, 0x400000, v47
	v_cmp_u_f32_e32 vcc_lo, v47, v47
	v_add3_u32 v52, v52, v47, 0x7fff
	v_cndmask_b32_e32 v47, v52, v53, vcc_lo
	v_and_b32_e32 v52, 0xffff0000, v48
	v_lshlrev_b32_e32 v48, 16, v48
	v_and_b32_e32 v46, 0xffff0000, v47
	v_mul_f32_e32 v52, v81, v52
	v_mul_f32_e32 v48, v85, v48
	v_and_b32_e32 v47, 0xffff0000, v51
	v_bfe_u32 v53, v52, 16, 1
	v_or_b32_e32 v54, 0x400000, v52
	v_cmp_u_f32_e32 vcc_lo, v52, v52
	v_add_f32_e32 v46, v46, v47
	v_add3_u32 v53, v53, v52, 0x7fff
	v_add_f32_e32 v45, v46, v45
	v_cndmask_b32_e32 v52, v53, v54, vcc_lo
	v_bfe_u32 v53, v48, 16, 1
	v_or_b32_e32 v54, 0x400000, v48
	v_cmp_u_f32_e32 vcc_lo, v48, v48
	v_and_b32_e32 v47, 0xffff0000, v52
	v_add3_u32 v53, v53, v48, 0x7fff
	v_cndmask_b32_e32 v48, v53, v54, vcc_lo
	buffer_load_dword v54, off, s[36:39], 0 offset:28 ; 4-byte Folded Reload
	v_and_b32_e32 v46, 0xffff0000, v48
	v_add_f32_e32 v46, v46, v47
	v_add_f32_e32 v45, v46, v45
	s_waitcnt vmcnt(0)
	v_add_f32_e32 v54, v54, v45
	v_and_b32_e32 v45, 0xffff0000, v41
	v_lshlrev_b32_e32 v41, 16, v41
	v_mul_f32_e32 v45, v84, v45
	v_mul_f32_e32 v41, v88, v41
	v_bfe_u32 v46, v45, 16, 1
	v_or_b32_e32 v47, 0x400000, v45
	v_cmp_u_f32_e32 vcc_lo, v45, v45
	v_add3_u32 v46, v46, v45, 0x7fff
	v_cndmask_b32_e32 v45, v46, v47, vcc_lo
	v_bfe_u32 v46, v41, 16, 1
	v_or_b32_e32 v47, 0x400000, v41
	v_cmp_u_f32_e32 vcc_lo, v41, v41
	v_and_b32_e32 v45, 0xffff0000, v45
	v_add3_u32 v46, v46, v41, 0x7fff
	v_cndmask_b32_e32 v41, v46, v47, vcc_lo
	v_and_b32_e32 v46, 0xffff0000, v42
	v_lshlrev_b32_e32 v42, 16, v42
	v_and_b32_e32 v41, 0xffff0000, v41
	v_mul_f32_e32 v46, v83, v46
	v_mul_f32_e32 v42, v87, v42
	v_add_f32_e32 v41, v41, v45
	v_bfe_u32 v47, v46, 16, 1
	v_or_b32_e32 v48, 0x400000, v46
	v_cmp_u_f32_e32 vcc_lo, v46, v46
	v_add3_u32 v47, v47, v46, 0x7fff
	v_cndmask_b32_e32 v46, v47, v48, vcc_lo
	v_bfe_u32 v47, v42, 16, 1
	v_or_b32_e32 v48, 0x400000, v42
	v_cmp_u_f32_e32 vcc_lo, v42, v42
	v_and_b32_e32 v45, 0xffff0000, v46
	v_add3_u32 v47, v47, v42, 0x7fff
	v_cndmask_b32_e32 v42, v47, v48, vcc_lo
	v_and_b32_e32 v47, 0xffff0000, v43
	v_lshlrev_b32_e32 v43, 16, v43
	v_and_b32_e32 v42, 0xffff0000, v42
	v_mul_f32_e32 v47, v82, v47
	v_mul_f32_e32 v43, v86, v43
	v_add_f32_e32 v42, v42, v45
	v_bfe_u32 v48, v47, 16, 1
	v_or_b32_e32 v49, 0x400000, v47
	v_cmp_u_f32_e32 vcc_lo, v47, v47
	v_add_f32_e32 v41, v42, v41
	v_add3_u32 v48, v48, v47, 0x7fff
	v_cndmask_b32_e32 v47, v48, v49, vcc_lo
	v_bfe_u32 v48, v43, 16, 1
	v_or_b32_e32 v49, 0x400000, v43
	v_cmp_u_f32_e32 vcc_lo, v43, v43
	v_add3_u32 v48, v48, v43, 0x7fff
	v_cndmask_b32_e32 v43, v48, v49, vcc_lo
	v_and_b32_e32 v48, 0xffff0000, v44
	v_lshlrev_b32_e32 v44, 16, v44
	v_and_b32_e32 v42, 0xffff0000, v43
	v_and_b32_e32 v43, 0xffff0000, v47
	buffer_load_dword v47, off, s[36:39], 0 offset:32 ; 4-byte Folded Reload
	v_mul_f32_e32 v48, v81, v48
	v_mul_f32_e32 v44, v85, v44
	v_add_f32_e32 v42, v42, v43
	v_bfe_u32 v49, v48, 16, 1
	v_or_b32_e32 v50, 0x400000, v48
	v_cmp_u_f32_e32 vcc_lo, v48, v48
	v_add_f32_e32 v41, v42, v41
	v_add3_u32 v49, v49, v48, 0x7fff
	v_cndmask_b32_e32 v48, v49, v50, vcc_lo
	v_bfe_u32 v49, v44, 16, 1
	v_or_b32_e32 v50, 0x400000, v44
	v_cmp_u_f32_e32 vcc_lo, v44, v44
	v_and_b32_e32 v43, 0xffff0000, v48
	v_add3_u32 v49, v49, v44, 0x7fff
	buffer_load_dword v48, off, s[36:39], 0 ; 4-byte Folded Reload
	v_cndmask_b32_e32 v44, v49, v50, vcc_lo
	v_and_b32_e32 v42, 0xffff0000, v44
	v_add_f32_e32 v42, v42, v43
	v_add_f32_e32 v41, v42, v41
	s_waitcnt vmcnt(1)
	v_add_f32_e32 v47, v47, v41
	v_and_b32_e32 v41, 0xffff0000, v37
	v_lshlrev_b32_e32 v37, 16, v37
	v_mul_f32_e32 v41, v84, v41
	v_mul_f32_e32 v37, v88, v37
	v_bfe_u32 v42, v41, 16, 1
	v_or_b32_e32 v43, 0x400000, v41
	v_cmp_u_f32_e32 vcc_lo, v41, v41
	v_add3_u32 v42, v42, v41, 0x7fff
	v_cndmask_b32_e32 v41, v42, v43, vcc_lo
	v_bfe_u32 v42, v37, 16, 1
	v_or_b32_e32 v43, 0x400000, v37
	v_cmp_u_f32_e32 vcc_lo, v37, v37
	v_and_b32_e32 v41, 0xffff0000, v41
	v_add3_u32 v42, v42, v37, 0x7fff
	v_cndmask_b32_e32 v37, v42, v43, vcc_lo
	v_and_b32_e32 v42, 0xffff0000, v38
	v_lshlrev_b32_e32 v38, 16, v38
	v_and_b32_e32 v37, 0xffff0000, v37
	v_mul_f32_e32 v42, v83, v42
	v_mul_f32_e32 v38, v87, v38
	v_add_f32_e32 v37, v37, v41
	v_bfe_u32 v43, v42, 16, 1
	v_or_b32_e32 v44, 0x400000, v42
	v_cmp_u_f32_e32 vcc_lo, v42, v42
	v_add3_u32 v43, v43, v42, 0x7fff
	v_cndmask_b32_e32 v42, v43, v44, vcc_lo
	v_bfe_u32 v43, v38, 16, 1
	v_or_b32_e32 v44, 0x400000, v38
	v_cmp_u_f32_e32 vcc_lo, v38, v38
	v_and_b32_e32 v41, 0xffff0000, v42
	v_add3_u32 v43, v43, v38, 0x7fff
	v_cndmask_b32_e32 v38, v43, v44, vcc_lo
	v_and_b32_e32 v43, 0xffff0000, v39
	v_lshlrev_b32_e32 v39, 16, v39
	v_and_b32_e32 v38, 0xffff0000, v38
	v_mul_f32_e32 v43, v82, v43
	v_mul_f32_e32 v39, v86, v39
	v_add_f32_e32 v38, v38, v41
	v_bfe_u32 v44, v43, 16, 1
	v_or_b32_e32 v45, 0x400000, v43
	v_cmp_u_f32_e32 vcc_lo, v43, v43
	v_add_f32_e32 v37, v38, v37
	v_add3_u32 v44, v44, v43, 0x7fff
	v_cndmask_b32_e32 v43, v44, v45, vcc_lo
	v_bfe_u32 v44, v39, 16, 1
	v_or_b32_e32 v45, 0x400000, v39
	v_cmp_u_f32_e32 vcc_lo, v39, v39
	v_add3_u32 v44, v44, v39, 0x7fff
	v_cndmask_b32_e32 v39, v44, v45, vcc_lo
	v_and_b32_e32 v44, 0xffff0000, v40
	v_lshlrev_b32_e32 v40, 16, v40
	v_and_b32_e32 v38, 0xffff0000, v39
	v_and_b32_e32 v39, 0xffff0000, v43
	buffer_load_dword v43, off, s[36:39], 0 offset:36 ; 4-byte Folded Reload
	v_mul_f32_e32 v44, v81, v44
	v_mul_f32_e32 v40, v85, v40
	v_add_f32_e32 v38, v38, v39
	v_bfe_u32 v45, v44, 16, 1
	v_or_b32_e32 v46, 0x400000, v44
	v_cmp_u_f32_e32 vcc_lo, v44, v44
	v_add_f32_e32 v37, v38, v37
	v_add3_u32 v45, v45, v44, 0x7fff
	v_cndmask_b32_e32 v44, v45, v46, vcc_lo
	v_bfe_u32 v45, v40, 16, 1
	v_or_b32_e32 v46, 0x400000, v40
	v_cmp_u_f32_e32 vcc_lo, v40, v40
	v_and_b32_e32 v39, 0xffff0000, v44
	v_add3_u32 v45, v45, v40, 0x7fff
	v_cndmask_b32_e32 v40, v45, v46, vcc_lo
	v_and_b32_e32 v38, 0xffff0000, v40
	v_add_f32_e32 v38, v38, v39
	v_add_f32_e32 v37, v38, v37
	s_waitcnt vmcnt(0)
	v_add_f32_e32 v43, v43, v37
	v_and_b32_e32 v37, 0xffff0000, v33
	v_lshlrev_b32_e32 v33, 16, v33
	v_mul_f32_e32 v37, v84, v37
	v_mul_f32_e32 v33, v88, v33
	v_bfe_u32 v38, v37, 16, 1
	v_or_b32_e32 v39, 0x400000, v37
	v_cmp_u_f32_e32 vcc_lo, v37, v37
	v_add3_u32 v38, v38, v37, 0x7fff
	v_cndmask_b32_e32 v37, v38, v39, vcc_lo
	v_bfe_u32 v38, v33, 16, 1
	v_or_b32_e32 v39, 0x400000, v33
	v_cmp_u_f32_e32 vcc_lo, v33, v33
	v_and_b32_e32 v37, 0xffff0000, v37
	v_add3_u32 v38, v38, v33, 0x7fff
	v_cndmask_b32_e32 v33, v38, v39, vcc_lo
	v_and_b32_e32 v38, 0xffff0000, v34
	v_lshlrev_b32_e32 v34, 16, v34
	v_and_b32_e32 v33, 0xffff0000, v33
	v_mul_f32_e32 v38, v83, v38
	v_mul_f32_e32 v34, v87, v34
	v_add_f32_e32 v33, v33, v37
	v_bfe_u32 v39, v38, 16, 1
	v_or_b32_e32 v40, 0x400000, v38
	v_cmp_u_f32_e32 vcc_lo, v38, v38
	v_add3_u32 v39, v39, v38, 0x7fff
	v_cndmask_b32_e32 v38, v39, v40, vcc_lo
	v_bfe_u32 v39, v34, 16, 1
	v_or_b32_e32 v40, 0x400000, v34
	v_cmp_u_f32_e32 vcc_lo, v34, v34
	v_and_b32_e32 v37, 0xffff0000, v38
	v_add3_u32 v39, v39, v34, 0x7fff
	v_cndmask_b32_e32 v34, v39, v40, vcc_lo
	v_and_b32_e32 v39, 0xffff0000, v35
	v_lshlrev_b32_e32 v35, 16, v35
	v_and_b32_e32 v34, 0xffff0000, v34
	v_mul_f32_e32 v39, v82, v39
	v_mul_f32_e32 v35, v86, v35
	v_add_f32_e32 v34, v34, v37
	v_bfe_u32 v40, v39, 16, 1
	v_or_b32_e32 v41, 0x400000, v39
	v_cmp_u_f32_e32 vcc_lo, v39, v39
	v_add_f32_e32 v33, v34, v33
	v_add3_u32 v40, v40, v39, 0x7fff
	v_cndmask_b32_e32 v39, v40, v41, vcc_lo
	v_bfe_u32 v40, v35, 16, 1
	v_or_b32_e32 v41, 0x400000, v35
	v_cmp_u_f32_e32 vcc_lo, v35, v35
	v_add3_u32 v40, v40, v35, 0x7fff
	v_cndmask_b32_e32 v35, v40, v41, vcc_lo
	v_and_b32_e32 v40, 0xffff0000, v36
	v_lshlrev_b32_e32 v36, 16, v36
	v_and_b32_e32 v34, 0xffff0000, v35
	v_and_b32_e32 v35, 0xffff0000, v39
	buffer_load_dword v39, off, s[36:39], 0 offset:40 ; 4-byte Folded Reload
	v_mul_f32_e32 v40, v81, v40
	v_mul_f32_e32 v36, v85, v36
	v_add_f32_e32 v34, v34, v35
	v_bfe_u32 v41, v40, 16, 1
	v_or_b32_e32 v42, 0x400000, v40
	v_cmp_u_f32_e32 vcc_lo, v40, v40
	v_add_f32_e32 v33, v34, v33
	v_add3_u32 v41, v41, v40, 0x7fff
	v_cndmask_b32_e32 v40, v41, v42, vcc_lo
	v_bfe_u32 v41, v36, 16, 1
	v_or_b32_e32 v42, 0x400000, v36
	v_cmp_u_f32_e32 vcc_lo, v36, v36
	v_and_b32_e32 v35, 0xffff0000, v40
	v_add3_u32 v41, v41, v36, 0x7fff
	v_cndmask_b32_e32 v36, v41, v42, vcc_lo
	v_and_b32_e32 v34, 0xffff0000, v36
	v_add_f32_e32 v34, v34, v35
	v_add_f32_e32 v33, v34, v33
	s_waitcnt vmcnt(0)
	v_add_f32_e32 v39, v39, v33
	v_and_b32_e32 v33, 0xffff0000, v29
	v_lshlrev_b32_e32 v29, 16, v29
	v_mul_f32_e32 v33, v84, v33
	v_mul_f32_e32 v29, v88, v29
	v_bfe_u32 v34, v33, 16, 1
	v_or_b32_e32 v35, 0x400000, v33
	v_cmp_u_f32_e32 vcc_lo, v33, v33
	v_add3_u32 v34, v34, v33, 0x7fff
	v_cndmask_b32_e32 v33, v34, v35, vcc_lo
	v_bfe_u32 v34, v29, 16, 1
	v_or_b32_e32 v35, 0x400000, v29
	v_cmp_u_f32_e32 vcc_lo, v29, v29
	v_and_b32_e32 v33, 0xffff0000, v33
	v_add3_u32 v34, v34, v29, 0x7fff
	v_cndmask_b32_e32 v29, v34, v35, vcc_lo
	v_and_b32_e32 v34, 0xffff0000, v30
	v_lshlrev_b32_e32 v30, 16, v30
	v_and_b32_e32 v29, 0xffff0000, v29
	v_mul_f32_e32 v34, v83, v34
	v_mul_f32_e32 v30, v87, v30
	v_add_f32_e32 v29, v29, v33
	v_bfe_u32 v35, v34, 16, 1
	v_or_b32_e32 v36, 0x400000, v34
	v_cmp_u_f32_e32 vcc_lo, v34, v34
	v_add3_u32 v35, v35, v34, 0x7fff
	v_cndmask_b32_e32 v34, v35, v36, vcc_lo
	v_bfe_u32 v35, v30, 16, 1
	v_or_b32_e32 v36, 0x400000, v30
	v_cmp_u_f32_e32 vcc_lo, v30, v30
	v_and_b32_e32 v33, 0xffff0000, v34
	v_add3_u32 v35, v35, v30, 0x7fff
	v_cndmask_b32_e32 v30, v35, v36, vcc_lo
	v_and_b32_e32 v35, 0xffff0000, v31
	v_lshlrev_b32_e32 v31, 16, v31
	v_and_b32_e32 v30, 0xffff0000, v30
	v_mul_f32_e32 v35, v82, v35
	v_mul_f32_e32 v31, v86, v31
	v_add_f32_e32 v30, v30, v33
	v_bfe_u32 v36, v35, 16, 1
	v_or_b32_e32 v37, 0x400000, v35
	v_cmp_u_f32_e32 vcc_lo, v35, v35
	v_add_f32_e32 v29, v30, v29
	v_add3_u32 v36, v36, v35, 0x7fff
	v_cndmask_b32_e32 v35, v36, v37, vcc_lo
	v_bfe_u32 v36, v31, 16, 1
	v_or_b32_e32 v37, 0x400000, v31
	v_cmp_u_f32_e32 vcc_lo, v31, v31
	v_add3_u32 v36, v36, v31, 0x7fff
	v_cndmask_b32_e32 v31, v36, v37, vcc_lo
	v_and_b32_e32 v36, 0xffff0000, v32
	v_lshlrev_b32_e32 v32, 16, v32
	v_and_b32_e32 v30, 0xffff0000, v31
	v_and_b32_e32 v31, 0xffff0000, v35
	buffer_load_dword v35, off, s[36:39], 0 offset:44 ; 4-byte Folded Reload
	v_mul_f32_e32 v36, v81, v36
	v_mul_f32_e32 v32, v85, v32
	v_add_f32_e32 v30, v30, v31
	v_bfe_u32 v37, v36, 16, 1
	v_or_b32_e32 v38, 0x400000, v36
	v_cmp_u_f32_e32 vcc_lo, v36, v36
	v_add_f32_e32 v29, v30, v29
	v_add3_u32 v37, v37, v36, 0x7fff
	v_cndmask_b32_e32 v36, v37, v38, vcc_lo
	v_bfe_u32 v37, v32, 16, 1
	v_or_b32_e32 v38, 0x400000, v32
	v_cmp_u_f32_e32 vcc_lo, v32, v32
	v_and_b32_e32 v31, 0xffff0000, v36
	v_add3_u32 v37, v37, v32, 0x7fff
	v_cndmask_b32_e32 v32, v37, v38, vcc_lo
	v_and_b32_e32 v30, 0xffff0000, v32
	v_add_f32_e32 v30, v30, v31
	v_add_f32_e32 v29, v30, v29
	s_waitcnt vmcnt(0)
	v_add_f32_e32 v35, v35, v29
	v_and_b32_e32 v29, 0xffff0000, v25
	v_lshlrev_b32_e32 v25, 16, v25
	v_mul_f32_e32 v29, v84, v29
	v_mul_f32_e32 v25, v88, v25
	v_bfe_u32 v30, v29, 16, 1
	v_or_b32_e32 v31, 0x400000, v29
	v_cmp_u_f32_e32 vcc_lo, v29, v29
	v_add3_u32 v30, v30, v29, 0x7fff
	v_cndmask_b32_e32 v29, v30, v31, vcc_lo
	v_bfe_u32 v30, v25, 16, 1
	v_or_b32_e32 v31, 0x400000, v25
	v_cmp_u_f32_e32 vcc_lo, v25, v25
	v_and_b32_e32 v29, 0xffff0000, v29
	v_add3_u32 v30, v30, v25, 0x7fff
	v_cndmask_b32_e32 v25, v30, v31, vcc_lo
	v_and_b32_e32 v30, 0xffff0000, v26
	v_lshlrev_b32_e32 v26, 16, v26
	v_and_b32_e32 v25, 0xffff0000, v25
	v_mul_f32_e32 v30, v83, v30
	v_mul_f32_e32 v26, v87, v26
	v_add_f32_e32 v25, v25, v29
	v_bfe_u32 v31, v30, 16, 1
	v_or_b32_e32 v32, 0x400000, v30
	v_cmp_u_f32_e32 vcc_lo, v30, v30
	v_add3_u32 v31, v31, v30, 0x7fff
	v_cndmask_b32_e32 v30, v31, v32, vcc_lo
	v_bfe_u32 v31, v26, 16, 1
	v_or_b32_e32 v32, 0x400000, v26
	v_cmp_u_f32_e32 vcc_lo, v26, v26
	v_and_b32_e32 v29, 0xffff0000, v30
	v_add3_u32 v31, v31, v26, 0x7fff
	v_cndmask_b32_e32 v26, v31, v32, vcc_lo
	v_and_b32_e32 v31, 0xffff0000, v27
	v_lshlrev_b32_e32 v27, 16, v27
	v_and_b32_e32 v26, 0xffff0000, v26
	v_mul_f32_e32 v31, v82, v31
	v_mul_f32_e32 v27, v86, v27
	v_add_f32_e32 v26, v26, v29
	v_bfe_u32 v32, v31, 16, 1
	v_or_b32_e32 v33, 0x400000, v31
	v_cmp_u_f32_e32 vcc_lo, v31, v31
	v_add_f32_e32 v25, v26, v25
	v_add3_u32 v32, v32, v31, 0x7fff
	v_cndmask_b32_e32 v31, v32, v33, vcc_lo
	v_bfe_u32 v32, v27, 16, 1
	v_or_b32_e32 v33, 0x400000, v27
	v_cmp_u_f32_e32 vcc_lo, v27, v27
	v_add3_u32 v32, v32, v27, 0x7fff
	v_cndmask_b32_e32 v27, v32, v33, vcc_lo
	v_and_b32_e32 v32, 0xffff0000, v28
	v_lshlrev_b32_e32 v28, 16, v28
	v_and_b32_e32 v26, 0xffff0000, v27
	v_and_b32_e32 v27, 0xffff0000, v31
	buffer_load_dword v31, off, s[36:39], 0 offset:48 ; 4-byte Folded Reload
	v_mul_f32_e32 v32, v81, v32
	v_mul_f32_e32 v28, v85, v28
	v_add_f32_e32 v26, v26, v27
	v_bfe_u32 v33, v32, 16, 1
	v_or_b32_e32 v34, 0x400000, v32
	v_cmp_u_f32_e32 vcc_lo, v32, v32
	v_add_f32_e32 v25, v26, v25
	v_add3_u32 v33, v33, v32, 0x7fff
	v_cndmask_b32_e32 v32, v33, v34, vcc_lo
	v_bfe_u32 v33, v28, 16, 1
	v_or_b32_e32 v34, 0x400000, v28
	v_cmp_u_f32_e32 vcc_lo, v28, v28
	v_and_b32_e32 v27, 0xffff0000, v32
	v_add3_u32 v33, v33, v28, 0x7fff
	v_cndmask_b32_e32 v28, v33, v34, vcc_lo
	v_and_b32_e32 v26, 0xffff0000, v28
	v_add_f32_e32 v26, v26, v27
	v_add_f32_e32 v25, v26, v25
	s_waitcnt vmcnt(0)
	v_add_f32_e32 v31, v31, v25
	v_and_b32_e32 v25, 0xffff0000, v21
	v_lshlrev_b32_e32 v21, 16, v21
	v_mul_f32_e32 v25, v84, v25
	v_mul_f32_e32 v21, v88, v21
	v_bfe_u32 v26, v25, 16, 1
	v_or_b32_e32 v27, 0x400000, v25
	v_cmp_u_f32_e32 vcc_lo, v25, v25
	v_add3_u32 v26, v26, v25, 0x7fff
	v_cndmask_b32_e32 v25, v26, v27, vcc_lo
	v_bfe_u32 v26, v21, 16, 1
	v_or_b32_e32 v27, 0x400000, v21
	v_cmp_u_f32_e32 vcc_lo, v21, v21
	v_and_b32_e32 v25, 0xffff0000, v25
	v_add3_u32 v26, v26, v21, 0x7fff
	v_cndmask_b32_e32 v21, v26, v27, vcc_lo
	v_and_b32_e32 v26, 0xffff0000, v22
	v_lshlrev_b32_e32 v22, 16, v22
	v_and_b32_e32 v21, 0xffff0000, v21
	v_mul_f32_e32 v26, v83, v26
	v_mul_f32_e32 v22, v87, v22
	v_add_f32_e32 v21, v21, v25
	v_bfe_u32 v27, v26, 16, 1
	v_or_b32_e32 v28, 0x400000, v26
	v_cmp_u_f32_e32 vcc_lo, v26, v26
	v_add3_u32 v27, v27, v26, 0x7fff
	v_cndmask_b32_e32 v26, v27, v28, vcc_lo
	v_bfe_u32 v27, v22, 16, 1
	v_or_b32_e32 v28, 0x400000, v22
	v_cmp_u_f32_e32 vcc_lo, v22, v22
	v_and_b32_e32 v25, 0xffff0000, v26
	v_add3_u32 v27, v27, v22, 0x7fff
	v_cndmask_b32_e32 v22, v27, v28, vcc_lo
	v_and_b32_e32 v27, 0xffff0000, v23
	v_lshlrev_b32_e32 v23, 16, v23
	v_and_b32_e32 v22, 0xffff0000, v22
	v_mul_f32_e32 v27, v82, v27
	v_mul_f32_e32 v23, v86, v23
	v_add_f32_e32 v22, v22, v25
	v_bfe_u32 v28, v27, 16, 1
	v_or_b32_e32 v29, 0x400000, v27
	v_cmp_u_f32_e32 vcc_lo, v27, v27
	v_add_f32_e32 v21, v22, v21
	v_add3_u32 v28, v28, v27, 0x7fff
	v_cndmask_b32_e32 v27, v28, v29, vcc_lo
	v_bfe_u32 v28, v23, 16, 1
	v_or_b32_e32 v29, 0x400000, v23
	v_cmp_u_f32_e32 vcc_lo, v23, v23
	v_add3_u32 v28, v28, v23, 0x7fff
	v_cndmask_b32_e32 v23, v28, v29, vcc_lo
	v_and_b32_e32 v28, 0xffff0000, v24
	v_lshlrev_b32_e32 v24, 16, v24
	v_and_b32_e32 v22, 0xffff0000, v23
	v_mul_f32_e32 v28, v81, v28
	v_mul_f32_e32 v24, v85, v24
	v_and_b32_e32 v23, 0xffff0000, v27
	v_bfe_u32 v29, v28, 16, 1
	v_or_b32_e32 v30, 0x400000, v28
	v_cmp_u_f32_e32 vcc_lo, v28, v28
	v_add_f32_e32 v22, v22, v23
	v_add3_u32 v29, v29, v28, 0x7fff
	v_add_f32_e32 v21, v22, v21
	v_cndmask_b32_e32 v28, v29, v30, vcc_lo
	v_bfe_u32 v29, v24, 16, 1
	v_or_b32_e32 v30, 0x400000, v24
	v_cmp_u_f32_e32 vcc_lo, v24, v24
	v_and_b32_e32 v23, 0xffff0000, v28
	v_add3_u32 v29, v29, v24, 0x7fff
	v_cndmask_b32_e32 v24, v29, v30, vcc_lo
	v_and_b32_e32 v22, 0xffff0000, v24
	v_add_f32_e32 v22, v22, v23
	v_add_f32_e32 v21, v22, v21
	;; [unrolled: 1-line block ×3, first 2 shown]
	v_and_b32_e32 v21, 0xffff0000, v13
	v_lshlrev_b32_e32 v13, 16, v13
	v_mul_f32_e32 v21, v84, v21
	v_mul_f32_e32 v13, v88, v13
	v_bfe_u32 v22, v21, 16, 1
	v_or_b32_e32 v23, 0x400000, v21
	v_cmp_u_f32_e32 vcc_lo, v21, v21
	v_add3_u32 v22, v22, v21, 0x7fff
	v_cndmask_b32_e32 v21, v22, v23, vcc_lo
	v_bfe_u32 v22, v13, 16, 1
	v_or_b32_e32 v23, 0x400000, v13
	v_cmp_u_f32_e32 vcc_lo, v13, v13
	v_and_b32_e32 v21, 0xffff0000, v21
	v_add3_u32 v22, v22, v13, 0x7fff
	v_cndmask_b32_e32 v13, v22, v23, vcc_lo
	v_and_b32_e32 v22, 0xffff0000, v14
	v_lshlrev_b32_e32 v14, 16, v14
	v_and_b32_e32 v13, 0xffff0000, v13
	v_mul_f32_e32 v22, v83, v22
	v_mul_f32_e32 v14, v87, v14
	v_add_f32_e32 v13, v13, v21
	v_bfe_u32 v23, v22, 16, 1
	v_or_b32_e32 v24, 0x400000, v22
	v_cmp_u_f32_e32 vcc_lo, v22, v22
	v_add3_u32 v23, v23, v22, 0x7fff
	v_cndmask_b32_e32 v22, v23, v24, vcc_lo
	v_bfe_u32 v23, v14, 16, 1
	v_or_b32_e32 v24, 0x400000, v14
	v_cmp_u_f32_e32 vcc_lo, v14, v14
	v_and_b32_e32 v21, 0xffff0000, v22
	v_add3_u32 v23, v23, v14, 0x7fff
	v_cndmask_b32_e32 v14, v23, v24, vcc_lo
	v_and_b32_e32 v23, 0xffff0000, v15
	v_lshlrev_b32_e32 v15, 16, v15
	v_and_b32_e32 v14, 0xffff0000, v14
	v_mul_f32_e32 v23, v82, v23
	v_mul_f32_e32 v15, v86, v15
	v_add_f32_e32 v14, v14, v21
	v_bfe_u32 v24, v23, 16, 1
	v_or_b32_e32 v25, 0x400000, v23
	v_cmp_u_f32_e32 vcc_lo, v23, v23
	v_add_f32_e32 v13, v14, v13
	v_add3_u32 v24, v24, v23, 0x7fff
	v_cndmask_b32_e32 v23, v24, v25, vcc_lo
	v_bfe_u32 v24, v15, 16, 1
	v_or_b32_e32 v25, 0x400000, v15
	v_cmp_u_f32_e32 vcc_lo, v15, v15
	v_add3_u32 v24, v24, v15, 0x7fff
	v_cndmask_b32_e32 v15, v24, v25, vcc_lo
	v_and_b32_e32 v24, 0xffff0000, v16
	v_lshlrev_b32_e32 v16, 16, v16
	v_and_b32_e32 v14, 0xffff0000, v15
	v_mul_f32_e32 v24, v81, v24
	v_mul_f32_e32 v16, v85, v16
	v_and_b32_e32 v15, 0xffff0000, v23
	v_bfe_u32 v25, v24, 16, 1
	v_or_b32_e32 v26, 0x400000, v24
	v_cmp_u_f32_e32 vcc_lo, v24, v24
	v_add_f32_e32 v14, v14, v15
	v_add3_u32 v25, v25, v24, 0x7fff
	v_add_f32_e32 v13, v14, v13
	v_cndmask_b32_e32 v24, v25, v26, vcc_lo
	v_bfe_u32 v25, v16, 16, 1
	v_or_b32_e32 v26, 0x400000, v16
	v_cmp_u_f32_e32 vcc_lo, v16, v16
	v_and_b32_e32 v15, 0xffff0000, v24
	v_add3_u32 v25, v25, v16, 0x7fff
	v_cndmask_b32_e32 v16, v25, v26, vcc_lo
	v_and_b32_e32 v14, 0xffff0000, v16
	v_add_f32_e32 v14, v14, v15
	v_add_f32_e32 v13, v14, v13
	;; [unrolled: 1-line block ×3, first 2 shown]
	v_and_b32_e32 v13, 0xffff0000, v9
	v_lshlrev_b32_e32 v9, 16, v9
	v_mul_f32_e32 v13, v84, v13
	v_mul_f32_e32 v9, v88, v9
	v_bfe_u32 v14, v13, 16, 1
	v_or_b32_e32 v15, 0x400000, v13
	v_cmp_u_f32_e32 vcc_lo, v13, v13
	v_add3_u32 v14, v14, v13, 0x7fff
	v_cndmask_b32_e32 v13, v14, v15, vcc_lo
	v_bfe_u32 v14, v9, 16, 1
	v_or_b32_e32 v15, 0x400000, v9
	v_cmp_u_f32_e32 vcc_lo, v9, v9
	v_and_b32_e32 v13, 0xffff0000, v13
	v_add3_u32 v14, v14, v9, 0x7fff
	v_cndmask_b32_e32 v9, v14, v15, vcc_lo
	v_and_b32_e32 v14, 0xffff0000, v10
	v_lshlrev_b32_e32 v10, 16, v10
	v_and_b32_e32 v9, 0xffff0000, v9
	v_mul_f32_e32 v14, v83, v14
	v_mul_f32_e32 v10, v87, v10
	v_add_f32_e32 v9, v9, v13
	v_bfe_u32 v15, v14, 16, 1
	v_or_b32_e32 v16, 0x400000, v14
	v_cmp_u_f32_e32 vcc_lo, v14, v14
	v_add3_u32 v15, v15, v14, 0x7fff
	v_cndmask_b32_e32 v14, v15, v16, vcc_lo
	v_bfe_u32 v15, v10, 16, 1
	v_or_b32_e32 v16, 0x400000, v10
	v_cmp_u_f32_e32 vcc_lo, v10, v10
	v_and_b32_e32 v13, 0xffff0000, v14
	v_add3_u32 v15, v15, v10, 0x7fff
	v_cndmask_b32_e32 v10, v15, v16, vcc_lo
	v_and_b32_e32 v15, 0xffff0000, v11
	v_lshlrev_b32_e32 v11, 16, v11
	v_and_b32_e32 v10, 0xffff0000, v10
	v_mul_f32_e32 v15, v82, v15
	v_mul_f32_e32 v11, v86, v11
	v_add_f32_e32 v10, v10, v13
	v_bfe_u32 v16, v15, 16, 1
	v_or_b32_e32 v21, 0x400000, v15
	v_cmp_u_f32_e32 vcc_lo, v15, v15
	v_add_f32_e32 v9, v10, v9
	v_add3_u32 v16, v16, v15, 0x7fff
	v_cndmask_b32_e32 v15, v16, v21, vcc_lo
	v_bfe_u32 v16, v11, 16, 1
	v_or_b32_e32 v21, 0x400000, v11
	v_cmp_u_f32_e32 vcc_lo, v11, v11
	v_add3_u32 v16, v16, v11, 0x7fff
	v_cndmask_b32_e32 v11, v16, v21, vcc_lo
	v_and_b32_e32 v16, 0xffff0000, v12
	v_lshlrev_b32_e32 v12, 16, v12
	v_and_b32_e32 v10, 0xffff0000, v11
	v_mul_f32_e32 v16, v81, v16
	v_mul_f32_e32 v12, v85, v12
	v_and_b32_e32 v11, 0xffff0000, v15
	v_bfe_u32 v21, v16, 16, 1
	v_or_b32_e32 v22, 0x400000, v16
	v_cmp_u_f32_e32 vcc_lo, v16, v16
	v_add_f32_e32 v10, v10, v11
	v_add3_u32 v21, v21, v16, 0x7fff
	v_add_f32_e32 v9, v10, v9
	v_cndmask_b32_e32 v16, v21, v22, vcc_lo
	v_bfe_u32 v21, v12, 16, 1
	v_or_b32_e32 v22, 0x400000, v12
	v_cmp_u_f32_e32 vcc_lo, v12, v12
	v_and_b32_e32 v11, 0xffff0000, v16
	v_add3_u32 v21, v21, v12, 0x7fff
	v_cndmask_b32_e32 v12, v21, v22, vcc_lo
	v_and_b32_e32 v10, 0xffff0000, v12
	v_add_f32_e32 v10, v10, v11
	v_add_f32_e32 v9, v10, v9
	;; [unrolled: 1-line block ×3, first 2 shown]
	v_and_b32_e32 v9, 0xffff0000, v5
	v_lshlrev_b32_e32 v5, 16, v5
	v_mul_f32_e32 v9, v84, v9
	v_mul_f32_e32 v5, v88, v5
	v_bfe_u32 v10, v9, 16, 1
	v_or_b32_e32 v11, 0x400000, v9
	v_cmp_u_f32_e32 vcc_lo, v9, v9
	v_add3_u32 v10, v10, v9, 0x7fff
	v_cndmask_b32_e32 v9, v10, v11, vcc_lo
	v_bfe_u32 v10, v5, 16, 1
	v_or_b32_e32 v11, 0x400000, v5
	v_cmp_u_f32_e32 vcc_lo, v5, v5
	v_and_b32_e32 v9, 0xffff0000, v9
	v_add3_u32 v10, v10, v5, 0x7fff
	v_cndmask_b32_e32 v5, v10, v11, vcc_lo
	v_and_b32_e32 v10, 0xffff0000, v6
	v_lshlrev_b32_e32 v6, 16, v6
	v_and_b32_e32 v5, 0xffff0000, v5
	v_mul_f32_e32 v10, v83, v10
	v_mul_f32_e32 v6, v87, v6
	v_add_f32_e32 v5, v5, v9
	v_bfe_u32 v11, v10, 16, 1
	v_or_b32_e32 v12, 0x400000, v10
	v_cmp_u_f32_e32 vcc_lo, v10, v10
	v_add3_u32 v11, v11, v10, 0x7fff
	v_cndmask_b32_e32 v10, v11, v12, vcc_lo
	v_bfe_u32 v11, v6, 16, 1
	v_or_b32_e32 v12, 0x400000, v6
	v_cmp_u_f32_e32 vcc_lo, v6, v6
	v_and_b32_e32 v9, 0xffff0000, v10
	v_add3_u32 v11, v11, v6, 0x7fff
	v_cndmask_b32_e32 v6, v11, v12, vcc_lo
	v_and_b32_e32 v11, 0xffff0000, v7
	v_lshlrev_b32_e32 v7, 16, v7
	v_and_b32_e32 v6, 0xffff0000, v6
	v_mul_f32_e32 v11, v82, v11
	v_mul_f32_e32 v7, v86, v7
	v_add_f32_e32 v6, v6, v9
	v_bfe_u32 v12, v11, 16, 1
	v_or_b32_e32 v13, 0x400000, v11
	v_cmp_u_f32_e32 vcc_lo, v11, v11
	v_add_f32_e32 v5, v6, v5
	v_add3_u32 v12, v12, v11, 0x7fff
	v_cndmask_b32_e32 v11, v12, v13, vcc_lo
	v_bfe_u32 v12, v7, 16, 1
	v_or_b32_e32 v13, 0x400000, v7
	v_cmp_u_f32_e32 vcc_lo, v7, v7
	v_add3_u32 v12, v12, v7, 0x7fff
	v_cndmask_b32_e32 v7, v12, v13, vcc_lo
	v_and_b32_e32 v12, 0xffff0000, v8
	v_lshlrev_b32_e32 v8, 16, v8
	v_and_b32_e32 v6, 0xffff0000, v7
	v_mul_f32_e32 v12, v81, v12
	v_mul_f32_e32 v8, v85, v8
	v_and_b32_e32 v7, 0xffff0000, v11
	v_bfe_u32 v13, v12, 16, 1
	v_or_b32_e32 v14, 0x400000, v12
	v_cmp_u_f32_e32 vcc_lo, v12, v12
	v_add_f32_e32 v6, v6, v7
	v_add3_u32 v13, v13, v12, 0x7fff
	v_add_f32_e32 v5, v6, v5
	v_cndmask_b32_e32 v12, v13, v14, vcc_lo
	v_bfe_u32 v13, v8, 16, 1
	v_or_b32_e32 v14, 0x400000, v8
	v_cmp_u_f32_e32 vcc_lo, v8, v8
	v_and_b32_e32 v7, 0xffff0000, v12
	v_add3_u32 v13, v13, v8, 0x7fff
	v_cndmask_b32_e32 v8, v13, v14, vcc_lo
	v_and_b32_e32 v6, 0xffff0000, v8
	v_add_f32_e32 v6, v6, v7
	v_add_f32_e32 v5, v6, v5
	;; [unrolled: 1-line block ×3, first 2 shown]
	v_and_b32_e32 v5, 0xffff0000, v1
	v_lshlrev_b32_e32 v1, 16, v1
	v_mul_f32_e32 v5, v84, v5
	v_mul_f32_e32 v1, v88, v1
	v_bfe_u32 v6, v5, 16, 1
	v_or_b32_e32 v7, 0x400000, v5
	v_cmp_u_f32_e32 vcc_lo, v5, v5
	v_add3_u32 v6, v6, v5, 0x7fff
	v_cndmask_b32_e32 v5, v6, v7, vcc_lo
	v_bfe_u32 v6, v1, 16, 1
	v_or_b32_e32 v7, 0x400000, v1
	v_cmp_u_f32_e32 vcc_lo, v1, v1
	v_and_b32_e32 v5, 0xffff0000, v5
	v_add3_u32 v6, v6, v1, 0x7fff
	v_cndmask_b32_e32 v1, v6, v7, vcc_lo
	v_and_b32_e32 v6, 0xffff0000, v2
	v_lshlrev_b32_e32 v2, 16, v2
	v_and_b32_e32 v1, 0xffff0000, v1
	v_mul_f32_e32 v6, v83, v6
	v_mul_f32_e32 v2, v87, v2
	v_add_f32_e32 v1, v1, v5
	v_bfe_u32 v7, v6, 16, 1
	v_or_b32_e32 v8, 0x400000, v6
	v_cmp_u_f32_e32 vcc_lo, v6, v6
	v_add3_u32 v7, v7, v6, 0x7fff
	v_cndmask_b32_e32 v6, v7, v8, vcc_lo
	v_bfe_u32 v7, v2, 16, 1
	v_or_b32_e32 v8, 0x400000, v2
	v_cmp_u_f32_e32 vcc_lo, v2, v2
	v_and_b32_e32 v5, 0xffff0000, v6
	v_add3_u32 v7, v7, v2, 0x7fff
	v_cndmask_b32_e32 v2, v7, v8, vcc_lo
	v_and_b32_e32 v7, 0xffff0000, v3
	v_lshlrev_b32_e32 v3, 16, v3
	v_and_b32_e32 v2, 0xffff0000, v2
	v_mul_f32_e32 v7, v82, v7
	v_mul_f32_e32 v3, v86, v3
	v_add_f32_e32 v2, v2, v5
	v_bfe_u32 v8, v7, 16, 1
	v_or_b32_e32 v9, 0x400000, v7
	v_cmp_u_f32_e32 vcc_lo, v7, v7
	v_add_f32_e32 v1, v2, v1
	v_add3_u32 v8, v8, v7, 0x7fff
	v_cndmask_b32_e32 v7, v8, v9, vcc_lo
	v_bfe_u32 v8, v3, 16, 1
	v_or_b32_e32 v9, 0x400000, v3
	v_cmp_u_f32_e32 vcc_lo, v3, v3
	v_add3_u32 v8, v8, v3, 0x7fff
	v_cndmask_b32_e32 v3, v8, v9, vcc_lo
	v_and_b32_e32 v8, 0xffff0000, v4
	v_lshlrev_b32_e32 v4, 16, v4
	v_and_b32_e32 v2, 0xffff0000, v3
	v_mul_f32_e32 v8, v81, v8
	v_mul_f32_e32 v4, v85, v4
	v_and_b32_e32 v3, 0xffff0000, v7
	v_bfe_u32 v9, v8, 16, 1
	v_or_b32_e32 v10, 0x400000, v8
	v_cmp_u_f32_e32 vcc_lo, v8, v8
	v_add_f32_e32 v2, v2, v3
	v_add3_u32 v9, v9, v8, 0x7fff
	v_add_f32_e32 v1, v2, v1
	v_cndmask_b32_e32 v8, v9, v10, vcc_lo
	v_bfe_u32 v9, v4, 16, 1
	v_or_b32_e32 v10, 0x400000, v4
	v_cmp_u_f32_e32 vcc_lo, v4, v4
	v_and_b32_e32 v3, 0xffff0000, v8
	v_add3_u32 v9, v9, v4, 0x7fff
	v_cndmask_b32_e32 v4, v9, v10, vcc_lo
	v_and_b32_e32 v2, 0xffff0000, v4
	v_add_f32_e32 v2, v2, v3
	v_add_f32_e32 v1, v2, v1
	;; [unrolled: 1-line block ×3, first 2 shown]
	v_lshlrev_b32_e32 v1, 16, v17
	v_mul_f32_e32 v1, v88, v1
	v_bfe_u32 v2, v1, 16, 1
	v_or_b32_e32 v3, 0x400000, v1
	v_cmp_u_f32_e32 vcc_lo, v1, v1
	v_add3_u32 v2, v2, v1, 0x7fff
	v_cndmask_b32_e32 v1, v2, v3, vcc_lo
	v_and_b32_e32 v2, 0xffff0000, v17
	v_and_b32_e32 v1, 0xffff0000, v1
	v_mul_f32_e32 v2, v84, v2
	v_bfe_u32 v3, v2, 16, 1
	v_or_b32_e32 v4, 0x400000, v2
	v_cmp_u_f32_e32 vcc_lo, v2, v2
	v_add3_u32 v3, v3, v2, 0x7fff
	v_cndmask_b32_e32 v2, v3, v4, vcc_lo
	v_lshlrev_b32_e32 v3, 16, v18
	v_and_b32_e32 v2, 0xffff0000, v2
	v_mul_f32_e32 v3, v87, v3
	v_add_f32_e32 v1, v1, v2
	v_bfe_u32 v4, v3, 16, 1
	v_or_b32_e32 v5, 0x400000, v3
	v_cmp_u_f32_e32 vcc_lo, v3, v3
	v_add3_u32 v4, v4, v3, 0x7fff
	v_cndmask_b32_e32 v3, v4, v5, vcc_lo
	v_and_b32_e32 v4, 0xffff0000, v18
	v_and_b32_e32 v3, 0xffff0000, v3
	v_mul_f32_e32 v4, v83, v4
	v_bfe_u32 v5, v4, 16, 1
	v_or_b32_e32 v6, 0x400000, v4
	v_cmp_u_f32_e32 vcc_lo, v4, v4
	v_add3_u32 v5, v5, v4, 0x7fff
	v_cndmask_b32_e32 v4, v5, v6, vcc_lo
	v_lshlrev_b32_e32 v5, 16, v19
	v_and_b32_e32 v2, 0xffff0000, v4
	v_mul_f32_e32 v5, v86, v5
	v_add_f32_e32 v2, v3, v2
	v_bfe_u32 v6, v5, 16, 1
	v_or_b32_e32 v7, 0x400000, v5
	v_cmp_u_f32_e32 vcc_lo, v5, v5
	v_add_f32_e32 v1, v2, v1
	v_add3_u32 v6, v6, v5, 0x7fff
	v_cndmask_b32_e32 v5, v6, v7, vcc_lo
	v_and_b32_e32 v6, 0xffff0000, v19
	v_and_b32_e32 v3, 0xffff0000, v5
	v_mul_f32_e32 v6, v82, v6
	v_bfe_u32 v7, v6, 16, 1
	v_or_b32_e32 v8, 0x400000, v6
	v_cmp_u_f32_e32 vcc_lo, v6, v6
	v_add3_u32 v7, v7, v6, 0x7fff
	v_cndmask_b32_e32 v6, v7, v8, vcc_lo
	v_lshlrev_b32_e32 v7, 16, v20
	v_and_b32_e32 v2, 0xffff0000, v6
	v_mul_f32_e32 v7, v85, v7
	v_add_f32_e32 v2, v3, v2
	v_bfe_u32 v8, v7, 16, 1
	v_or_b32_e32 v9, 0x400000, v7
	v_cmp_u_f32_e32 vcc_lo, v7, v7
	v_add_f32_e32 v1, v2, v1
	v_add3_u32 v8, v8, v7, 0x7fff
	v_cndmask_b32_e32 v7, v8, v9, vcc_lo
	v_and_b32_e32 v8, 0xffff0000, v20
	v_and_b32_e32 v3, 0xffff0000, v7
	v_mul_f32_e32 v8, v81, v8
	v_bfe_u32 v9, v8, 16, 1
	v_or_b32_e32 v10, 0x400000, v8
	v_cmp_u_f32_e32 vcc_lo, v8, v8
	v_add3_u32 v9, v9, v8, 0x7fff
	v_cndmask_b32_e32 v8, v9, v10, vcc_lo
	v_add_co_u32 v105, vcc_lo, v105, 16
	v_add_co_ci_u32_e64 v106, null, 0, v106, vcc_lo
	v_and_b32_e32 v2, 0xffff0000, v8
	v_cmp_le_i32_e32 vcc_lo, s12, v117
	v_add_f32_e32 v2, v3, v2
	s_or_b32 s13, vcc_lo, s13
	v_add_f32_e32 v1, v2, v1
	v_add_f32_e32 v48, v48, v1
	s_andn2_b32 exec_lo, exec_lo, s13
	s_cbranch_execz .LBB160_74
.LBB160_26:                             ; =>This Inner Loop Header: Depth=1
	buffer_store_dword v31, off, s[36:39], 0 offset:48 ; 4-byte Folded Spill
	buffer_store_dword v35, off, s[36:39], 0 offset:44 ; 4-byte Folded Spill
	;; [unrolled: 1-line block ×12, first 2 shown]
	buffer_store_dword v48, off, s[36:39], 0 ; 4-byte Folded Spill
	global_load_dword v1, v[105:106], off
	buffer_load_dword v3, off, s[36:39], 0 offset:52 ; 4-byte Folded Reload
	v_cmp_eq_u32_e64 s0, s4, v117
	v_add_nc_u32_e32 v124, 1, v115
	v_or_b32_e32 v123, 3, v115
	v_or_b32_e32 v122, 2, v115
	;; [unrolled: 1-line block ×6, first 2 shown]
	s_waitcnt vmcnt(1)
	v_mad_i64_i32 v[1:2], null, v1, s5, 0
	v_lshlrev_b64 v[1:2], 1, v[1:2]
	s_waitcnt vmcnt(0)
	v_add_co_u32 v17, vcc_lo, v3, v1
	buffer_load_dword v1, off, s[36:39], 0 offset:56 ; 4-byte Folded Reload
	s_waitcnt vmcnt(0)
	v_add_co_ci_u32_e64 v18, null, v1, v2, vcc_lo
	global_load_dwordx4 v[1:4], v[17:18], off
	ds_read2_b64 v[85:88], v116 offset1:1
	ds_read2_b64 v[81:84], v116 offset0:2 offset1:3
	s_and_saveexec_b32 s15, s0
	s_cbranch_execnz .LBB160_55
; %bb.27:                               ;   in Loop: Header=BB160_26 Depth=1
	s_or_b32 exec_lo, exec_lo, s15
	global_load_dwordx4 v[5:8], v[17:18], off offset:512
	s_and_saveexec_b32 s15, s0
	s_cbranch_execnz .LBB160_56
.LBB160_28:                             ;   in Loop: Header=BB160_26 Depth=1
	s_or_b32 exec_lo, exec_lo, s15
	global_load_dwordx4 v[9:12], v[17:18], off offset:1024
	s_and_saveexec_b32 s15, s0
	s_cbranch_execnz .LBB160_57
.LBB160_29:                             ;   in Loop: Header=BB160_26 Depth=1
	s_or_b32 exec_lo, exec_lo, s15
	global_load_dwordx4 v[13:16], v[17:18], off offset:1536
	s_and_saveexec_b32 s15, s0
	s_cbranch_execz .LBB160_31
.LBB160_30:                             ;   in Loop: Header=BB160_26 Depth=1
	v_cmp_gt_i32_e64 s1, s11, v115
	v_cmp_gt_i32_e32 vcc_lo, s14, v124
	v_cmp_gt_i32_e64 s2, s11, v122
	s_waitcnt vmcnt(0)
	v_cndmask_b32_e64 v19, 0, v13, s1
	v_cmp_gt_i32_e64 s1, s14, v123
	v_cndmask_b32_sdwa v13, v114, v13, vcc_lo dst_sel:DWORD dst_unused:UNUSED_PAD src0_sel:DWORD src1_sel:WORD_1
	v_cndmask_b32_e64 v20, 0, v14, s2
	v_cmp_gt_i32_e64 s2, s14, v121
	s_mov_b32 vcc_lo, s1
	v_cmp_gt_i32_e64 s1, s14, v119
	v_cndmask_b32_sdwa v14, v114, v14, vcc_lo dst_sel:DWORD dst_unused:UNUSED_PAD src0_sel:DWORD src1_sel:WORD_1
	v_cmp_gt_i32_e32 vcc_lo, s11, v120
	v_perm_b32 v13, v13, v19, 0x5040100
	v_perm_b32 v14, v14, v20, 0x5040100
	v_cndmask_b32_e32 v21, 0, v15, vcc_lo
	s_mov_b32 vcc_lo, s2
	v_cndmask_b32_sdwa v15, v114, v15, vcc_lo dst_sel:DWORD dst_unused:UNUSED_PAD src0_sel:DWORD src1_sel:WORD_1
	v_cmp_gt_i32_e32 vcc_lo, s11, v118
	v_perm_b32 v15, v15, v21, 0x5040100
	v_cndmask_b32_e32 v22, 0, v16, vcc_lo
	s_mov_b32 vcc_lo, s1
	v_cndmask_b32_sdwa v16, v114, v16, vcc_lo dst_sel:DWORD dst_unused:UNUSED_PAD src0_sel:DWORD src1_sel:WORD_1
	v_perm_b32 v16, v16, v22, 0x5040100
.LBB160_31:                             ;   in Loop: Header=BB160_26 Depth=1
	s_or_b32 exec_lo, exec_lo, s15
	v_add_co_u32 v19, vcc_lo, 0x800, v17
	v_add_co_ci_u32_e64 v20, null, 0, v18, vcc_lo
	global_load_dwordx4 v[21:24], v[19:20], off
	s_and_saveexec_b32 s15, s0
	s_cbranch_execnz .LBB160_58
; %bb.32:                               ;   in Loop: Header=BB160_26 Depth=1
	s_or_b32 exec_lo, exec_lo, s15
	global_load_dwordx4 v[25:28], v[19:20], off offset:512
	s_and_saveexec_b32 s15, s0
	s_cbranch_execnz .LBB160_59
.LBB160_33:                             ;   in Loop: Header=BB160_26 Depth=1
	s_or_b32 exec_lo, exec_lo, s15
	global_load_dwordx4 v[29:32], v[19:20], off offset:1024
	s_and_saveexec_b32 s15, s0
	s_cbranch_execnz .LBB160_60
.LBB160_34:                             ;   in Loop: Header=BB160_26 Depth=1
	s_or_b32 exec_lo, exec_lo, s15
	global_load_dwordx4 v[33:36], v[19:20], off offset:1536
	s_and_saveexec_b32 s15, s0
	s_cbranch_execz .LBB160_36
.LBB160_35:                             ;   in Loop: Header=BB160_26 Depth=1
	v_cmp_gt_i32_e64 s1, s11, v115
	v_cmp_gt_i32_e32 vcc_lo, s14, v124
	v_cmp_gt_i32_e64 s2, s11, v122
	s_waitcnt vmcnt(0)
	v_cndmask_b32_e64 v19, 0, v33, s1
	v_cmp_gt_i32_e64 s1, s14, v123
	v_cndmask_b32_sdwa v33, v114, v33, vcc_lo dst_sel:DWORD dst_unused:UNUSED_PAD src0_sel:DWORD src1_sel:WORD_1
	v_cndmask_b32_e64 v20, 0, v34, s2
	v_cmp_gt_i32_e64 s2, s14, v121
	s_mov_b32 vcc_lo, s1
	v_cmp_gt_i32_e64 s1, s14, v119
	v_cndmask_b32_sdwa v34, v114, v34, vcc_lo dst_sel:DWORD dst_unused:UNUSED_PAD src0_sel:DWORD src1_sel:WORD_1
	v_cmp_gt_i32_e32 vcc_lo, s11, v120
	v_perm_b32 v33, v33, v19, 0x5040100
	v_perm_b32 v34, v34, v20, 0x5040100
	v_cndmask_b32_e32 v37, 0, v35, vcc_lo
	s_mov_b32 vcc_lo, s2
	v_cndmask_b32_sdwa v35, v114, v35, vcc_lo dst_sel:DWORD dst_unused:UNUSED_PAD src0_sel:DWORD src1_sel:WORD_1
	v_cmp_gt_i32_e32 vcc_lo, s11, v118
	v_perm_b32 v35, v35, v37, 0x5040100
	v_cndmask_b32_e32 v38, 0, v36, vcc_lo
	s_mov_b32 vcc_lo, s1
	v_cndmask_b32_sdwa v36, v114, v36, vcc_lo dst_sel:DWORD dst_unused:UNUSED_PAD src0_sel:DWORD src1_sel:WORD_1
	v_perm_b32 v36, v36, v38, 0x5040100
.LBB160_36:                             ;   in Loop: Header=BB160_26 Depth=1
	s_or_b32 exec_lo, exec_lo, s15
	v_add_co_u32 v19, vcc_lo, 0x1000, v17
	v_add_co_ci_u32_e64 v20, null, 0, v18, vcc_lo
	global_load_dwordx4 v[37:40], v[19:20], off
	s_and_saveexec_b32 s15, s0
	s_cbranch_execnz .LBB160_61
; %bb.37:                               ;   in Loop: Header=BB160_26 Depth=1
	s_or_b32 exec_lo, exec_lo, s15
	global_load_dwordx4 v[41:44], v[19:20], off offset:512
	s_and_saveexec_b32 s15, s0
	s_cbranch_execnz .LBB160_62
.LBB160_38:                             ;   in Loop: Header=BB160_26 Depth=1
	s_or_b32 exec_lo, exec_lo, s15
	global_load_dwordx4 v[45:48], v[19:20], off offset:1024
	s_and_saveexec_b32 s15, s0
	s_cbranch_execnz .LBB160_63
.LBB160_39:                             ;   in Loop: Header=BB160_26 Depth=1
	s_or_b32 exec_lo, exec_lo, s15
	global_load_dwordx4 v[49:52], v[19:20], off offset:1536
	s_and_saveexec_b32 s15, s0
	s_cbranch_execz .LBB160_41
.LBB160_40:                             ;   in Loop: Header=BB160_26 Depth=1
	v_cmp_gt_i32_e64 s1, s11, v115
	v_cmp_gt_i32_e32 vcc_lo, s14, v124
	v_cmp_gt_i32_e64 s2, s11, v122
	s_waitcnt vmcnt(0)
	v_cndmask_b32_e64 v19, 0, v49, s1
	v_cmp_gt_i32_e64 s1, s14, v123
	v_cndmask_b32_sdwa v49, v114, v49, vcc_lo dst_sel:DWORD dst_unused:UNUSED_PAD src0_sel:DWORD src1_sel:WORD_1
	v_cndmask_b32_e64 v20, 0, v50, s2
	v_cmp_gt_i32_e64 s2, s14, v121
	s_mov_b32 vcc_lo, s1
	v_cmp_gt_i32_e64 s1, s14, v119
	v_cndmask_b32_sdwa v50, v114, v50, vcc_lo dst_sel:DWORD dst_unused:UNUSED_PAD src0_sel:DWORD src1_sel:WORD_1
	v_cmp_gt_i32_e32 vcc_lo, s11, v120
	v_perm_b32 v49, v49, v19, 0x5040100
	v_perm_b32 v50, v50, v20, 0x5040100
	v_cndmask_b32_e32 v53, 0, v51, vcc_lo
	s_mov_b32 vcc_lo, s2
	v_cndmask_b32_sdwa v51, v114, v51, vcc_lo dst_sel:DWORD dst_unused:UNUSED_PAD src0_sel:DWORD src1_sel:WORD_1
	v_cmp_gt_i32_e32 vcc_lo, s11, v118
	v_perm_b32 v51, v51, v53, 0x5040100
	v_cndmask_b32_e32 v54, 0, v52, vcc_lo
	s_mov_b32 vcc_lo, s1
	v_cndmask_b32_sdwa v52, v114, v52, vcc_lo dst_sel:DWORD dst_unused:UNUSED_PAD src0_sel:DWORD src1_sel:WORD_1
	v_perm_b32 v52, v52, v54, 0x5040100
.LBB160_41:                             ;   in Loop: Header=BB160_26 Depth=1
	s_or_b32 exec_lo, exec_lo, s15
	v_add_co_u32 v19, vcc_lo, 0x1800, v17
	v_add_co_ci_u32_e64 v20, null, 0, v18, vcc_lo
	global_load_dwordx4 v[53:56], v[19:20], off
	s_and_saveexec_b32 s15, s0
	s_cbranch_execnz .LBB160_64
; %bb.42:                               ;   in Loop: Header=BB160_26 Depth=1
	s_or_b32 exec_lo, exec_lo, s15
	global_load_dwordx4 v[57:60], v[19:20], off offset:512
	s_and_saveexec_b32 s15, s0
	s_cbranch_execnz .LBB160_65
.LBB160_43:                             ;   in Loop: Header=BB160_26 Depth=1
	s_or_b32 exec_lo, exec_lo, s15
	global_load_dwordx4 v[61:64], v[19:20], off offset:1024
	s_and_saveexec_b32 s15, s0
	s_cbranch_execnz .LBB160_66
.LBB160_44:                             ;   in Loop: Header=BB160_26 Depth=1
	s_or_b32 exec_lo, exec_lo, s15
	global_load_dwordx4 v[65:68], v[19:20], off offset:1536
	s_and_saveexec_b32 s15, s0
	s_cbranch_execz .LBB160_46
.LBB160_45:                             ;   in Loop: Header=BB160_26 Depth=1
	v_cmp_gt_i32_e64 s1, s11, v115
	v_cmp_gt_i32_e32 vcc_lo, s14, v124
	v_cmp_gt_i32_e64 s2, s11, v122
	s_waitcnt vmcnt(0)
	v_cndmask_b32_e64 v19, 0, v65, s1
	v_cmp_gt_i32_e64 s1, s14, v123
	v_cndmask_b32_sdwa v65, v114, v65, vcc_lo dst_sel:DWORD dst_unused:UNUSED_PAD src0_sel:DWORD src1_sel:WORD_1
	v_cndmask_b32_e64 v20, 0, v66, s2
	v_cmp_gt_i32_e64 s2, s14, v121
	s_mov_b32 vcc_lo, s1
	v_cmp_gt_i32_e64 s1, s14, v119
	v_cndmask_b32_sdwa v66, v114, v66, vcc_lo dst_sel:DWORD dst_unused:UNUSED_PAD src0_sel:DWORD src1_sel:WORD_1
	v_cmp_gt_i32_e32 vcc_lo, s11, v120
	v_perm_b32 v65, v65, v19, 0x5040100
	v_perm_b32 v66, v66, v20, 0x5040100
	v_cndmask_b32_e32 v69, 0, v67, vcc_lo
	s_mov_b32 vcc_lo, s2
	v_cndmask_b32_sdwa v67, v114, v67, vcc_lo dst_sel:DWORD dst_unused:UNUSED_PAD src0_sel:DWORD src1_sel:WORD_1
	v_cmp_gt_i32_e32 vcc_lo, s11, v118
	v_perm_b32 v67, v67, v69, 0x5040100
	v_cndmask_b32_e32 v70, 0, v68, vcc_lo
	s_mov_b32 vcc_lo, s1
	v_cndmask_b32_sdwa v68, v114, v68, vcc_lo dst_sel:DWORD dst_unused:UNUSED_PAD src0_sel:DWORD src1_sel:WORD_1
	v_perm_b32 v68, v68, v70, 0x5040100
.LBB160_46:                             ;   in Loop: Header=BB160_26 Depth=1
	s_or_b32 exec_lo, exec_lo, s15
	v_add_co_u32 v19, vcc_lo, 0x2000, v17
	v_add_co_ci_u32_e64 v20, null, 0, v18, vcc_lo
	global_load_dwordx4 v[69:72], v[19:20], off
	s_and_saveexec_b32 s2, s0
	s_cbranch_execnz .LBB160_67
; %bb.47:                               ;   in Loop: Header=BB160_26 Depth=1
	s_or_b32 exec_lo, exec_lo, s2
	global_load_dwordx4 v[73:76], v[19:20], off offset:512
	s_and_saveexec_b32 s2, s0
	s_cbranch_execnz .LBB160_68
.LBB160_48:                             ;   in Loop: Header=BB160_26 Depth=1
	s_or_b32 exec_lo, exec_lo, s2
	global_load_dwordx4 v[77:80], v[19:20], off offset:1024
	s_and_saveexec_b32 s2, s0
	s_cbranch_execnz .LBB160_69
.LBB160_49:                             ;   in Loop: Header=BB160_26 Depth=1
	s_or_b32 exec_lo, exec_lo, s2
	global_load_dwordx4 v[89:92], v[19:20], off offset:1536
	s_and_saveexec_b32 s2, s0
	s_cbranch_execz .LBB160_51
.LBB160_50:                             ;   in Loop: Header=BB160_26 Depth=1
	v_cmp_gt_i32_e64 s1, s11, v115
	v_cmp_gt_i32_e32 vcc_lo, s14, v124
	s_waitcnt vmcnt(0)
	v_cndmask_b32_e64 v20, 0, v89, s1
	v_cndmask_b32_sdwa v19, v114, v89, vcc_lo dst_sel:DWORD dst_unused:UNUSED_PAD src0_sel:DWORD src1_sel:WORD_1
	v_cmp_gt_i32_e32 vcc_lo, s14, v123
	v_cmp_gt_i32_e64 s1, s11, v122
	v_perm_b32 v89, v19, v20, 0x5040100
	v_cndmask_b32_sdwa v20, v114, v90, vcc_lo dst_sel:DWORD dst_unused:UNUSED_PAD src0_sel:DWORD src1_sel:WORD_1
	v_cndmask_b32_e64 v19, 0, v90, s1
	v_cmp_gt_i32_e32 vcc_lo, s14, v121
	v_cmp_gt_i32_e64 s1, s11, v120
	v_perm_b32 v90, v20, v19, 0x5040100
	v_cndmask_b32_sdwa v20, v114, v91, vcc_lo dst_sel:DWORD dst_unused:UNUSED_PAD src0_sel:DWORD src1_sel:WORD_1
	v_cndmask_b32_e64 v19, 0, v91, s1
	;; [unrolled: 5-line block ×3, first 2 shown]
	v_perm_b32 v92, v20, v19, 0x5040100
.LBB160_51:                             ;   in Loop: Header=BB160_26 Depth=1
	s_or_b32 exec_lo, exec_lo, s2
	v_add_co_u32 v17, vcc_lo, 0x2800, v17
	v_add_co_ci_u32_e64 v18, null, 0, v18, vcc_lo
	global_load_dwordx4 v[93:96], v[17:18], off
	s_and_saveexec_b32 s2, s0
	s_cbranch_execnz .LBB160_70
; %bb.52:                               ;   in Loop: Header=BB160_26 Depth=1
	s_or_b32 exec_lo, exec_lo, s2
	global_load_dwordx4 v[97:100], v[17:18], off offset:512
	s_and_saveexec_b32 s2, s0
	s_cbranch_execnz .LBB160_71
.LBB160_53:                             ;   in Loop: Header=BB160_26 Depth=1
	s_or_b32 exec_lo, exec_lo, s2
	global_load_dwordx4 v[101:104], v[17:18], off offset:1024
	s_and_saveexec_b32 s2, s0
	s_cbranch_execnz .LBB160_72
.LBB160_54:                             ;   in Loop: Header=BB160_26 Depth=1
	s_or_b32 exec_lo, exec_lo, s2
	global_load_dwordx4 v[17:20], v[17:18], off offset:1536
	s_and_saveexec_b32 s2, s0
	s_cbranch_execz .LBB160_25
	s_branch .LBB160_73
.LBB160_55:                             ;   in Loop: Header=BB160_26 Depth=1
	v_cmp_gt_i32_e64 s1, s11, v115
	v_cmp_gt_i32_e32 vcc_lo, s14, v124
	v_cmp_gt_i32_e64 s2, s11, v122
	s_waitcnt vmcnt(0)
	v_cndmask_b32_e64 v5, 0, v1, s1
	v_cmp_gt_i32_e64 s1, s14, v123
	v_cndmask_b32_sdwa v1, v114, v1, vcc_lo dst_sel:DWORD dst_unused:UNUSED_PAD src0_sel:DWORD src1_sel:WORD_1
	v_cndmask_b32_e64 v6, 0, v2, s2
	v_cmp_gt_i32_e64 s2, s14, v121
	s_mov_b32 vcc_lo, s1
	v_cmp_gt_i32_e64 s1, s14, v119
	v_cndmask_b32_sdwa v2, v114, v2, vcc_lo dst_sel:DWORD dst_unused:UNUSED_PAD src0_sel:DWORD src1_sel:WORD_1
	v_cmp_gt_i32_e32 vcc_lo, s11, v120
	v_perm_b32 v1, v1, v5, 0x5040100
	v_perm_b32 v2, v2, v6, 0x5040100
	v_cndmask_b32_e32 v7, 0, v3, vcc_lo
	s_mov_b32 vcc_lo, s2
	v_cndmask_b32_sdwa v3, v114, v3, vcc_lo dst_sel:DWORD dst_unused:UNUSED_PAD src0_sel:DWORD src1_sel:WORD_1
	v_cmp_gt_i32_e32 vcc_lo, s11, v118
	v_perm_b32 v3, v3, v7, 0x5040100
	v_cndmask_b32_e32 v8, 0, v4, vcc_lo
	s_mov_b32 vcc_lo, s1
	v_cndmask_b32_sdwa v4, v114, v4, vcc_lo dst_sel:DWORD dst_unused:UNUSED_PAD src0_sel:DWORD src1_sel:WORD_1
	v_perm_b32 v4, v4, v8, 0x5040100
	s_or_b32 exec_lo, exec_lo, s15
	global_load_dwordx4 v[5:8], v[17:18], off offset:512
	s_and_saveexec_b32 s15, s0
	s_cbranch_execz .LBB160_28
.LBB160_56:                             ;   in Loop: Header=BB160_26 Depth=1
	v_cmp_gt_i32_e64 s1, s11, v115
	v_cmp_gt_i32_e32 vcc_lo, s14, v124
	v_cmp_gt_i32_e64 s2, s11, v122
	s_waitcnt vmcnt(0)
	v_cndmask_b32_e64 v9, 0, v5, s1
	v_cmp_gt_i32_e64 s1, s14, v123
	v_cndmask_b32_sdwa v5, v114, v5, vcc_lo dst_sel:DWORD dst_unused:UNUSED_PAD src0_sel:DWORD src1_sel:WORD_1
	v_cndmask_b32_e64 v10, 0, v6, s2
	v_cmp_gt_i32_e64 s2, s14, v121
	s_mov_b32 vcc_lo, s1
	v_cmp_gt_i32_e64 s1, s14, v119
	v_cndmask_b32_sdwa v6, v114, v6, vcc_lo dst_sel:DWORD dst_unused:UNUSED_PAD src0_sel:DWORD src1_sel:WORD_1
	v_cmp_gt_i32_e32 vcc_lo, s11, v120
	v_perm_b32 v5, v5, v9, 0x5040100
	v_perm_b32 v6, v6, v10, 0x5040100
	v_cndmask_b32_e32 v11, 0, v7, vcc_lo
	s_mov_b32 vcc_lo, s2
	v_cndmask_b32_sdwa v7, v114, v7, vcc_lo dst_sel:DWORD dst_unused:UNUSED_PAD src0_sel:DWORD src1_sel:WORD_1
	v_cmp_gt_i32_e32 vcc_lo, s11, v118
	v_perm_b32 v7, v7, v11, 0x5040100
	v_cndmask_b32_e32 v12, 0, v8, vcc_lo
	s_mov_b32 vcc_lo, s1
	v_cndmask_b32_sdwa v8, v114, v8, vcc_lo dst_sel:DWORD dst_unused:UNUSED_PAD src0_sel:DWORD src1_sel:WORD_1
	v_perm_b32 v8, v8, v12, 0x5040100
	s_or_b32 exec_lo, exec_lo, s15
	global_load_dwordx4 v[9:12], v[17:18], off offset:1024
	s_and_saveexec_b32 s15, s0
	s_cbranch_execz .LBB160_29
.LBB160_57:                             ;   in Loop: Header=BB160_26 Depth=1
	v_cmp_gt_i32_e64 s1, s11, v115
	v_cmp_gt_i32_e32 vcc_lo, s14, v124
	v_cmp_gt_i32_e64 s2, s11, v122
	s_waitcnt vmcnt(0)
	v_cndmask_b32_e64 v13, 0, v9, s1
	v_cmp_gt_i32_e64 s1, s14, v123
	v_cndmask_b32_sdwa v9, v114, v9, vcc_lo dst_sel:DWORD dst_unused:UNUSED_PAD src0_sel:DWORD src1_sel:WORD_1
	v_cndmask_b32_e64 v14, 0, v10, s2
	v_cmp_gt_i32_e64 s2, s14, v121
	s_mov_b32 vcc_lo, s1
	v_cmp_gt_i32_e64 s1, s14, v119
	v_cndmask_b32_sdwa v10, v114, v10, vcc_lo dst_sel:DWORD dst_unused:UNUSED_PAD src0_sel:DWORD src1_sel:WORD_1
	v_cmp_gt_i32_e32 vcc_lo, s11, v120
	v_perm_b32 v9, v9, v13, 0x5040100
	v_perm_b32 v10, v10, v14, 0x5040100
	v_cndmask_b32_e32 v15, 0, v11, vcc_lo
	s_mov_b32 vcc_lo, s2
	v_cndmask_b32_sdwa v11, v114, v11, vcc_lo dst_sel:DWORD dst_unused:UNUSED_PAD src0_sel:DWORD src1_sel:WORD_1
	v_cmp_gt_i32_e32 vcc_lo, s11, v118
	v_perm_b32 v11, v11, v15, 0x5040100
	v_cndmask_b32_e32 v16, 0, v12, vcc_lo
	s_mov_b32 vcc_lo, s1
	v_cndmask_b32_sdwa v12, v114, v12, vcc_lo dst_sel:DWORD dst_unused:UNUSED_PAD src0_sel:DWORD src1_sel:WORD_1
	v_perm_b32 v12, v12, v16, 0x5040100
	s_or_b32 exec_lo, exec_lo, s15
	global_load_dwordx4 v[13:16], v[17:18], off offset:1536
	s_and_saveexec_b32 s15, s0
	s_cbranch_execnz .LBB160_30
	s_branch .LBB160_31
.LBB160_58:                             ;   in Loop: Header=BB160_26 Depth=1
	v_cmp_gt_i32_e64 s1, s11, v115
	v_cmp_gt_i32_e32 vcc_lo, s14, v124
	v_cmp_gt_i32_e64 s2, s11, v122
	s_waitcnt vmcnt(0)
	v_cndmask_b32_e64 v25, 0, v21, s1
	v_cmp_gt_i32_e64 s1, s14, v123
	v_cndmask_b32_sdwa v21, v114, v21, vcc_lo dst_sel:DWORD dst_unused:UNUSED_PAD src0_sel:DWORD src1_sel:WORD_1
	v_cndmask_b32_e64 v26, 0, v22, s2
	v_cmp_gt_i32_e64 s2, s14, v121
	s_mov_b32 vcc_lo, s1
	v_cmp_gt_i32_e64 s1, s14, v119
	v_cndmask_b32_sdwa v22, v114, v22, vcc_lo dst_sel:DWORD dst_unused:UNUSED_PAD src0_sel:DWORD src1_sel:WORD_1
	v_cmp_gt_i32_e32 vcc_lo, s11, v120
	v_perm_b32 v21, v21, v25, 0x5040100
	v_perm_b32 v22, v22, v26, 0x5040100
	v_cndmask_b32_e32 v27, 0, v23, vcc_lo
	s_mov_b32 vcc_lo, s2
	v_cndmask_b32_sdwa v23, v114, v23, vcc_lo dst_sel:DWORD dst_unused:UNUSED_PAD src0_sel:DWORD src1_sel:WORD_1
	v_cmp_gt_i32_e32 vcc_lo, s11, v118
	v_perm_b32 v23, v23, v27, 0x5040100
	v_cndmask_b32_e32 v28, 0, v24, vcc_lo
	s_mov_b32 vcc_lo, s1
	v_cndmask_b32_sdwa v24, v114, v24, vcc_lo dst_sel:DWORD dst_unused:UNUSED_PAD src0_sel:DWORD src1_sel:WORD_1
	v_perm_b32 v24, v24, v28, 0x5040100
	s_or_b32 exec_lo, exec_lo, s15
	global_load_dwordx4 v[25:28], v[19:20], off offset:512
	s_and_saveexec_b32 s15, s0
	s_cbranch_execz .LBB160_33
.LBB160_59:                             ;   in Loop: Header=BB160_26 Depth=1
	v_cmp_gt_i32_e64 s1, s11, v115
	v_cmp_gt_i32_e32 vcc_lo, s14, v124
	v_cmp_gt_i32_e64 s2, s11, v122
	s_waitcnt vmcnt(0)
	v_cndmask_b32_e64 v29, 0, v25, s1
	v_cmp_gt_i32_e64 s1, s14, v123
	v_cndmask_b32_sdwa v25, v114, v25, vcc_lo dst_sel:DWORD dst_unused:UNUSED_PAD src0_sel:DWORD src1_sel:WORD_1
	v_cndmask_b32_e64 v30, 0, v26, s2
	v_cmp_gt_i32_e64 s2, s14, v121
	s_mov_b32 vcc_lo, s1
	v_cmp_gt_i32_e64 s1, s14, v119
	v_cndmask_b32_sdwa v26, v114, v26, vcc_lo dst_sel:DWORD dst_unused:UNUSED_PAD src0_sel:DWORD src1_sel:WORD_1
	v_cmp_gt_i32_e32 vcc_lo, s11, v120
	v_perm_b32 v25, v25, v29, 0x5040100
	v_perm_b32 v26, v26, v30, 0x5040100
	v_cndmask_b32_e32 v31, 0, v27, vcc_lo
	s_mov_b32 vcc_lo, s2
	v_cndmask_b32_sdwa v27, v114, v27, vcc_lo dst_sel:DWORD dst_unused:UNUSED_PAD src0_sel:DWORD src1_sel:WORD_1
	v_cmp_gt_i32_e32 vcc_lo, s11, v118
	v_perm_b32 v27, v27, v31, 0x5040100
	v_cndmask_b32_e32 v32, 0, v28, vcc_lo
	s_mov_b32 vcc_lo, s1
	v_cndmask_b32_sdwa v28, v114, v28, vcc_lo dst_sel:DWORD dst_unused:UNUSED_PAD src0_sel:DWORD src1_sel:WORD_1
	v_perm_b32 v28, v28, v32, 0x5040100
	s_or_b32 exec_lo, exec_lo, s15
	global_load_dwordx4 v[29:32], v[19:20], off offset:1024
	s_and_saveexec_b32 s15, s0
	s_cbranch_execz .LBB160_34
.LBB160_60:                             ;   in Loop: Header=BB160_26 Depth=1
	v_cmp_gt_i32_e64 s1, s11, v115
	v_cmp_gt_i32_e32 vcc_lo, s14, v124
	v_cmp_gt_i32_e64 s2, s11, v122
	s_waitcnt vmcnt(0)
	v_cndmask_b32_e64 v33, 0, v29, s1
	v_cmp_gt_i32_e64 s1, s14, v123
	v_cndmask_b32_sdwa v29, v114, v29, vcc_lo dst_sel:DWORD dst_unused:UNUSED_PAD src0_sel:DWORD src1_sel:WORD_1
	v_cndmask_b32_e64 v34, 0, v30, s2
	v_cmp_gt_i32_e64 s2, s14, v121
	s_mov_b32 vcc_lo, s1
	v_cmp_gt_i32_e64 s1, s14, v119
	v_cndmask_b32_sdwa v30, v114, v30, vcc_lo dst_sel:DWORD dst_unused:UNUSED_PAD src0_sel:DWORD src1_sel:WORD_1
	v_cmp_gt_i32_e32 vcc_lo, s11, v120
	v_perm_b32 v29, v29, v33, 0x5040100
	v_perm_b32 v30, v30, v34, 0x5040100
	v_cndmask_b32_e32 v35, 0, v31, vcc_lo
	s_mov_b32 vcc_lo, s2
	v_cndmask_b32_sdwa v31, v114, v31, vcc_lo dst_sel:DWORD dst_unused:UNUSED_PAD src0_sel:DWORD src1_sel:WORD_1
	v_cmp_gt_i32_e32 vcc_lo, s11, v118
	v_perm_b32 v31, v31, v35, 0x5040100
	v_cndmask_b32_e32 v36, 0, v32, vcc_lo
	s_mov_b32 vcc_lo, s1
	v_cndmask_b32_sdwa v32, v114, v32, vcc_lo dst_sel:DWORD dst_unused:UNUSED_PAD src0_sel:DWORD src1_sel:WORD_1
	v_perm_b32 v32, v32, v36, 0x5040100
	s_or_b32 exec_lo, exec_lo, s15
	global_load_dwordx4 v[33:36], v[19:20], off offset:1536
	s_and_saveexec_b32 s15, s0
	s_cbranch_execnz .LBB160_35
	s_branch .LBB160_36
.LBB160_61:                             ;   in Loop: Header=BB160_26 Depth=1
	v_cmp_gt_i32_e64 s1, s11, v115
	v_cmp_gt_i32_e32 vcc_lo, s14, v124
	v_cmp_gt_i32_e64 s2, s11, v122
	s_waitcnt vmcnt(0)
	v_cndmask_b32_e64 v41, 0, v37, s1
	v_cmp_gt_i32_e64 s1, s14, v123
	v_cndmask_b32_sdwa v37, v114, v37, vcc_lo dst_sel:DWORD dst_unused:UNUSED_PAD src0_sel:DWORD src1_sel:WORD_1
	v_cndmask_b32_e64 v42, 0, v38, s2
	v_cmp_gt_i32_e64 s2, s14, v121
	s_mov_b32 vcc_lo, s1
	v_cmp_gt_i32_e64 s1, s14, v119
	v_cndmask_b32_sdwa v38, v114, v38, vcc_lo dst_sel:DWORD dst_unused:UNUSED_PAD src0_sel:DWORD src1_sel:WORD_1
	v_cmp_gt_i32_e32 vcc_lo, s11, v120
	v_perm_b32 v37, v37, v41, 0x5040100
	v_perm_b32 v38, v38, v42, 0x5040100
	v_cndmask_b32_e32 v43, 0, v39, vcc_lo
	s_mov_b32 vcc_lo, s2
	v_cndmask_b32_sdwa v39, v114, v39, vcc_lo dst_sel:DWORD dst_unused:UNUSED_PAD src0_sel:DWORD src1_sel:WORD_1
	v_cmp_gt_i32_e32 vcc_lo, s11, v118
	v_perm_b32 v39, v39, v43, 0x5040100
	v_cndmask_b32_e32 v44, 0, v40, vcc_lo
	s_mov_b32 vcc_lo, s1
	v_cndmask_b32_sdwa v40, v114, v40, vcc_lo dst_sel:DWORD dst_unused:UNUSED_PAD src0_sel:DWORD src1_sel:WORD_1
	v_perm_b32 v40, v40, v44, 0x5040100
	s_or_b32 exec_lo, exec_lo, s15
	global_load_dwordx4 v[41:44], v[19:20], off offset:512
	s_and_saveexec_b32 s15, s0
	s_cbranch_execz .LBB160_38
.LBB160_62:                             ;   in Loop: Header=BB160_26 Depth=1
	v_cmp_gt_i32_e64 s1, s11, v115
	v_cmp_gt_i32_e32 vcc_lo, s14, v124
	v_cmp_gt_i32_e64 s2, s11, v122
	s_waitcnt vmcnt(0)
	v_cndmask_b32_e64 v45, 0, v41, s1
	v_cmp_gt_i32_e64 s1, s14, v123
	v_cndmask_b32_sdwa v41, v114, v41, vcc_lo dst_sel:DWORD dst_unused:UNUSED_PAD src0_sel:DWORD src1_sel:WORD_1
	v_cndmask_b32_e64 v46, 0, v42, s2
	v_cmp_gt_i32_e64 s2, s14, v121
	s_mov_b32 vcc_lo, s1
	v_cmp_gt_i32_e64 s1, s14, v119
	v_cndmask_b32_sdwa v42, v114, v42, vcc_lo dst_sel:DWORD dst_unused:UNUSED_PAD src0_sel:DWORD src1_sel:WORD_1
	v_cmp_gt_i32_e32 vcc_lo, s11, v120
	v_perm_b32 v41, v41, v45, 0x5040100
	v_perm_b32 v42, v42, v46, 0x5040100
	v_cndmask_b32_e32 v47, 0, v43, vcc_lo
	s_mov_b32 vcc_lo, s2
	v_cndmask_b32_sdwa v43, v114, v43, vcc_lo dst_sel:DWORD dst_unused:UNUSED_PAD src0_sel:DWORD src1_sel:WORD_1
	v_cmp_gt_i32_e32 vcc_lo, s11, v118
	v_perm_b32 v43, v43, v47, 0x5040100
	v_cndmask_b32_e32 v48, 0, v44, vcc_lo
	s_mov_b32 vcc_lo, s1
	v_cndmask_b32_sdwa v44, v114, v44, vcc_lo dst_sel:DWORD dst_unused:UNUSED_PAD src0_sel:DWORD src1_sel:WORD_1
	v_perm_b32 v44, v44, v48, 0x5040100
	s_or_b32 exec_lo, exec_lo, s15
	global_load_dwordx4 v[45:48], v[19:20], off offset:1024
	s_and_saveexec_b32 s15, s0
	s_cbranch_execz .LBB160_39
.LBB160_63:                             ;   in Loop: Header=BB160_26 Depth=1
	v_cmp_gt_i32_e64 s1, s11, v115
	v_cmp_gt_i32_e32 vcc_lo, s14, v124
	v_cmp_gt_i32_e64 s2, s11, v122
	s_waitcnt vmcnt(0)
	v_cndmask_b32_e64 v49, 0, v45, s1
	v_cmp_gt_i32_e64 s1, s14, v123
	v_cndmask_b32_sdwa v45, v114, v45, vcc_lo dst_sel:DWORD dst_unused:UNUSED_PAD src0_sel:DWORD src1_sel:WORD_1
	v_cndmask_b32_e64 v50, 0, v46, s2
	v_cmp_gt_i32_e64 s2, s14, v121
	s_mov_b32 vcc_lo, s1
	v_cmp_gt_i32_e64 s1, s14, v119
	v_cndmask_b32_sdwa v46, v114, v46, vcc_lo dst_sel:DWORD dst_unused:UNUSED_PAD src0_sel:DWORD src1_sel:WORD_1
	v_cmp_gt_i32_e32 vcc_lo, s11, v120
	v_perm_b32 v45, v45, v49, 0x5040100
	v_perm_b32 v46, v46, v50, 0x5040100
	v_cndmask_b32_e32 v51, 0, v47, vcc_lo
	s_mov_b32 vcc_lo, s2
	v_cndmask_b32_sdwa v47, v114, v47, vcc_lo dst_sel:DWORD dst_unused:UNUSED_PAD src0_sel:DWORD src1_sel:WORD_1
	v_cmp_gt_i32_e32 vcc_lo, s11, v118
	v_perm_b32 v47, v47, v51, 0x5040100
	v_cndmask_b32_e32 v52, 0, v48, vcc_lo
	s_mov_b32 vcc_lo, s1
	v_cndmask_b32_sdwa v48, v114, v48, vcc_lo dst_sel:DWORD dst_unused:UNUSED_PAD src0_sel:DWORD src1_sel:WORD_1
	v_perm_b32 v48, v48, v52, 0x5040100
	s_or_b32 exec_lo, exec_lo, s15
	global_load_dwordx4 v[49:52], v[19:20], off offset:1536
	s_and_saveexec_b32 s15, s0
	s_cbranch_execnz .LBB160_40
	s_branch .LBB160_41
.LBB160_64:                             ;   in Loop: Header=BB160_26 Depth=1
	v_cmp_gt_i32_e64 s1, s11, v115
	v_cmp_gt_i32_e32 vcc_lo, s14, v124
	v_cmp_gt_i32_e64 s2, s11, v122
	s_waitcnt vmcnt(0)
	v_cndmask_b32_e64 v57, 0, v53, s1
	v_cmp_gt_i32_e64 s1, s14, v123
	v_cndmask_b32_sdwa v53, v114, v53, vcc_lo dst_sel:DWORD dst_unused:UNUSED_PAD src0_sel:DWORD src1_sel:WORD_1
	v_cndmask_b32_e64 v58, 0, v54, s2
	v_cmp_gt_i32_e64 s2, s14, v121
	s_mov_b32 vcc_lo, s1
	v_cmp_gt_i32_e64 s1, s14, v119
	v_cndmask_b32_sdwa v54, v114, v54, vcc_lo dst_sel:DWORD dst_unused:UNUSED_PAD src0_sel:DWORD src1_sel:WORD_1
	v_cmp_gt_i32_e32 vcc_lo, s11, v120
	v_perm_b32 v53, v53, v57, 0x5040100
	v_perm_b32 v54, v54, v58, 0x5040100
	v_cndmask_b32_e32 v59, 0, v55, vcc_lo
	s_mov_b32 vcc_lo, s2
	v_cndmask_b32_sdwa v55, v114, v55, vcc_lo dst_sel:DWORD dst_unused:UNUSED_PAD src0_sel:DWORD src1_sel:WORD_1
	v_cmp_gt_i32_e32 vcc_lo, s11, v118
	v_perm_b32 v55, v55, v59, 0x5040100
	v_cndmask_b32_e32 v60, 0, v56, vcc_lo
	s_mov_b32 vcc_lo, s1
	v_cndmask_b32_sdwa v56, v114, v56, vcc_lo dst_sel:DWORD dst_unused:UNUSED_PAD src0_sel:DWORD src1_sel:WORD_1
	v_perm_b32 v56, v56, v60, 0x5040100
	s_or_b32 exec_lo, exec_lo, s15
	global_load_dwordx4 v[57:60], v[19:20], off offset:512
	s_and_saveexec_b32 s15, s0
	s_cbranch_execz .LBB160_43
.LBB160_65:                             ;   in Loop: Header=BB160_26 Depth=1
	v_cmp_gt_i32_e64 s1, s11, v115
	v_cmp_gt_i32_e32 vcc_lo, s14, v124
	v_cmp_gt_i32_e64 s2, s11, v122
	s_waitcnt vmcnt(0)
	v_cndmask_b32_e64 v61, 0, v57, s1
	v_cmp_gt_i32_e64 s1, s14, v123
	v_cndmask_b32_sdwa v57, v114, v57, vcc_lo dst_sel:DWORD dst_unused:UNUSED_PAD src0_sel:DWORD src1_sel:WORD_1
	v_cndmask_b32_e64 v62, 0, v58, s2
	v_cmp_gt_i32_e64 s2, s14, v121
	s_mov_b32 vcc_lo, s1
	v_cmp_gt_i32_e64 s1, s14, v119
	v_cndmask_b32_sdwa v58, v114, v58, vcc_lo dst_sel:DWORD dst_unused:UNUSED_PAD src0_sel:DWORD src1_sel:WORD_1
	v_cmp_gt_i32_e32 vcc_lo, s11, v120
	v_perm_b32 v57, v57, v61, 0x5040100
	v_perm_b32 v58, v58, v62, 0x5040100
	v_cndmask_b32_e32 v63, 0, v59, vcc_lo
	s_mov_b32 vcc_lo, s2
	v_cndmask_b32_sdwa v59, v114, v59, vcc_lo dst_sel:DWORD dst_unused:UNUSED_PAD src0_sel:DWORD src1_sel:WORD_1
	v_cmp_gt_i32_e32 vcc_lo, s11, v118
	v_perm_b32 v59, v59, v63, 0x5040100
	v_cndmask_b32_e32 v64, 0, v60, vcc_lo
	s_mov_b32 vcc_lo, s1
	v_cndmask_b32_sdwa v60, v114, v60, vcc_lo dst_sel:DWORD dst_unused:UNUSED_PAD src0_sel:DWORD src1_sel:WORD_1
	v_perm_b32 v60, v60, v64, 0x5040100
	s_or_b32 exec_lo, exec_lo, s15
	global_load_dwordx4 v[61:64], v[19:20], off offset:1024
	s_and_saveexec_b32 s15, s0
	s_cbranch_execz .LBB160_44
.LBB160_66:                             ;   in Loop: Header=BB160_26 Depth=1
	v_cmp_gt_i32_e64 s1, s11, v115
	v_cmp_gt_i32_e32 vcc_lo, s14, v124
	v_cmp_gt_i32_e64 s2, s11, v122
	s_waitcnt vmcnt(0)
	v_cndmask_b32_e64 v65, 0, v61, s1
	v_cmp_gt_i32_e64 s1, s14, v123
	v_cndmask_b32_sdwa v61, v114, v61, vcc_lo dst_sel:DWORD dst_unused:UNUSED_PAD src0_sel:DWORD src1_sel:WORD_1
	v_cndmask_b32_e64 v66, 0, v62, s2
	v_cmp_gt_i32_e64 s2, s14, v121
	s_mov_b32 vcc_lo, s1
	v_cmp_gt_i32_e64 s1, s14, v119
	v_cndmask_b32_sdwa v62, v114, v62, vcc_lo dst_sel:DWORD dst_unused:UNUSED_PAD src0_sel:DWORD src1_sel:WORD_1
	v_cmp_gt_i32_e32 vcc_lo, s11, v120
	v_perm_b32 v61, v61, v65, 0x5040100
	v_perm_b32 v62, v62, v66, 0x5040100
	v_cndmask_b32_e32 v67, 0, v63, vcc_lo
	s_mov_b32 vcc_lo, s2
	v_cndmask_b32_sdwa v63, v114, v63, vcc_lo dst_sel:DWORD dst_unused:UNUSED_PAD src0_sel:DWORD src1_sel:WORD_1
	v_cmp_gt_i32_e32 vcc_lo, s11, v118
	v_perm_b32 v63, v63, v67, 0x5040100
	v_cndmask_b32_e32 v68, 0, v64, vcc_lo
	s_mov_b32 vcc_lo, s1
	v_cndmask_b32_sdwa v64, v114, v64, vcc_lo dst_sel:DWORD dst_unused:UNUSED_PAD src0_sel:DWORD src1_sel:WORD_1
	v_perm_b32 v64, v64, v68, 0x5040100
	s_or_b32 exec_lo, exec_lo, s15
	global_load_dwordx4 v[65:68], v[19:20], off offset:1536
	s_and_saveexec_b32 s15, s0
	s_cbranch_execnz .LBB160_45
	s_branch .LBB160_46
.LBB160_67:                             ;   in Loop: Header=BB160_26 Depth=1
	v_cmp_gt_i32_e64 s1, s11, v115
	v_cmp_gt_i32_e32 vcc_lo, s14, v124
	s_waitcnt vmcnt(0)
	v_cndmask_b32_sdwa v73, v114, v69, vcc_lo dst_sel:DWORD dst_unused:UNUSED_PAD src0_sel:DWORD src1_sel:WORD_1
	v_cndmask_b32_e64 v69, 0, v69, s1
	v_cmp_gt_i32_e32 vcc_lo, s14, v123
	v_cmp_gt_i32_e64 s1, s11, v122
	v_perm_b32 v69, v73, v69, 0x5040100
	v_cndmask_b32_e64 v73, 0, v70, s1
	v_cndmask_b32_sdwa v70, v114, v70, vcc_lo dst_sel:DWORD dst_unused:UNUSED_PAD src0_sel:DWORD src1_sel:WORD_1
	v_cmp_gt_i32_e32 vcc_lo, s14, v121
	v_cmp_gt_i32_e64 s1, s11, v120
	v_perm_b32 v70, v70, v73, 0x5040100
	v_cndmask_b32_e64 v73, 0, v71, s1
	v_cndmask_b32_sdwa v71, v114, v71, vcc_lo dst_sel:DWORD dst_unused:UNUSED_PAD src0_sel:DWORD src1_sel:WORD_1
	;; [unrolled: 5-line block ×3, first 2 shown]
	v_perm_b32 v72, v72, v73, 0x5040100
	s_or_b32 exec_lo, exec_lo, s2
	global_load_dwordx4 v[73:76], v[19:20], off offset:512
	s_and_saveexec_b32 s2, s0
	s_cbranch_execz .LBB160_48
.LBB160_68:                             ;   in Loop: Header=BB160_26 Depth=1
	v_cmp_gt_i32_e64 s1, s11, v115
	v_cmp_gt_i32_e32 vcc_lo, s14, v124
	s_waitcnt vmcnt(0)
	v_cndmask_b32_sdwa v77, v114, v73, vcc_lo dst_sel:DWORD dst_unused:UNUSED_PAD src0_sel:DWORD src1_sel:WORD_1
	v_cndmask_b32_e64 v73, 0, v73, s1
	v_cmp_gt_i32_e32 vcc_lo, s14, v123
	v_cmp_gt_i32_e64 s1, s11, v122
	v_perm_b32 v73, v77, v73, 0x5040100
	v_cndmask_b32_e64 v77, 0, v74, s1
	v_cndmask_b32_sdwa v74, v114, v74, vcc_lo dst_sel:DWORD dst_unused:UNUSED_PAD src0_sel:DWORD src1_sel:WORD_1
	v_cmp_gt_i32_e32 vcc_lo, s14, v121
	v_cmp_gt_i32_e64 s1, s11, v120
	v_perm_b32 v74, v74, v77, 0x5040100
	v_cndmask_b32_e64 v77, 0, v75, s1
	v_cndmask_b32_sdwa v75, v114, v75, vcc_lo dst_sel:DWORD dst_unused:UNUSED_PAD src0_sel:DWORD src1_sel:WORD_1
	;; [unrolled: 5-line block ×3, first 2 shown]
	v_perm_b32 v76, v76, v77, 0x5040100
	s_or_b32 exec_lo, exec_lo, s2
	global_load_dwordx4 v[77:80], v[19:20], off offset:1024
	s_and_saveexec_b32 s2, s0
	s_cbranch_execz .LBB160_49
.LBB160_69:                             ;   in Loop: Header=BB160_26 Depth=1
	v_cmp_gt_i32_e64 s1, s11, v115
	v_cmp_gt_i32_e32 vcc_lo, s14, v124
	s_waitcnt vmcnt(0)
	v_cndmask_b32_sdwa v89, v114, v77, vcc_lo dst_sel:DWORD dst_unused:UNUSED_PAD src0_sel:DWORD src1_sel:WORD_1
	v_cndmask_b32_e64 v77, 0, v77, s1
	v_cmp_gt_i32_e32 vcc_lo, s14, v123
	v_cmp_gt_i32_e64 s1, s11, v122
	v_perm_b32 v77, v89, v77, 0x5040100
	v_cndmask_b32_e64 v89, 0, v78, s1
	v_cndmask_b32_sdwa v78, v114, v78, vcc_lo dst_sel:DWORD dst_unused:UNUSED_PAD src0_sel:DWORD src1_sel:WORD_1
	v_cmp_gt_i32_e32 vcc_lo, s14, v121
	v_cmp_gt_i32_e64 s1, s11, v120
	v_perm_b32 v78, v78, v89, 0x5040100
	v_cndmask_b32_e64 v89, 0, v79, s1
	v_cndmask_b32_sdwa v79, v114, v79, vcc_lo dst_sel:DWORD dst_unused:UNUSED_PAD src0_sel:DWORD src1_sel:WORD_1
	;; [unrolled: 5-line block ×3, first 2 shown]
	v_perm_b32 v80, v80, v89, 0x5040100
	s_or_b32 exec_lo, exec_lo, s2
	global_load_dwordx4 v[89:92], v[19:20], off offset:1536
	s_and_saveexec_b32 s2, s0
	s_cbranch_execnz .LBB160_50
	s_branch .LBB160_51
.LBB160_70:                             ;   in Loop: Header=BB160_26 Depth=1
	v_cmp_gt_i32_e64 s1, s11, v115
	v_cmp_gt_i32_e32 vcc_lo, s14, v124
	s_waitcnt vmcnt(0)
	v_cndmask_b32_e64 v20, 0, v93, s1
	v_cndmask_b32_sdwa v19, v114, v93, vcc_lo dst_sel:DWORD dst_unused:UNUSED_PAD src0_sel:DWORD src1_sel:WORD_1
	v_cmp_gt_i32_e32 vcc_lo, s14, v123
	v_cmp_gt_i32_e64 s1, s11, v122
	v_perm_b32 v93, v19, v20, 0x5040100
	v_cndmask_b32_sdwa v20, v114, v94, vcc_lo dst_sel:DWORD dst_unused:UNUSED_PAD src0_sel:DWORD src1_sel:WORD_1
	v_cndmask_b32_e64 v19, 0, v94, s1
	v_cmp_gt_i32_e32 vcc_lo, s14, v121
	v_cmp_gt_i32_e64 s1, s11, v120
	v_perm_b32 v94, v20, v19, 0x5040100
	v_cndmask_b32_sdwa v20, v114, v95, vcc_lo dst_sel:DWORD dst_unused:UNUSED_PAD src0_sel:DWORD src1_sel:WORD_1
	v_cndmask_b32_e64 v19, 0, v95, s1
	;; [unrolled: 5-line block ×3, first 2 shown]
	v_perm_b32 v96, v20, v19, 0x5040100
	s_or_b32 exec_lo, exec_lo, s2
	global_load_dwordx4 v[97:100], v[17:18], off offset:512
	s_and_saveexec_b32 s2, s0
	s_cbranch_execz .LBB160_53
.LBB160_71:                             ;   in Loop: Header=BB160_26 Depth=1
	v_cmp_gt_i32_e64 s1, s11, v115
	v_cmp_gt_i32_e32 vcc_lo, s14, v124
	s_waitcnt vmcnt(0)
	v_cndmask_b32_e64 v20, 0, v97, s1
	v_cndmask_b32_sdwa v19, v114, v97, vcc_lo dst_sel:DWORD dst_unused:UNUSED_PAD src0_sel:DWORD src1_sel:WORD_1
	v_cmp_gt_i32_e32 vcc_lo, s14, v123
	v_cmp_gt_i32_e64 s1, s11, v122
	v_perm_b32 v97, v19, v20, 0x5040100
	v_cndmask_b32_sdwa v20, v114, v98, vcc_lo dst_sel:DWORD dst_unused:UNUSED_PAD src0_sel:DWORD src1_sel:WORD_1
	v_cndmask_b32_e64 v19, 0, v98, s1
	v_cmp_gt_i32_e32 vcc_lo, s14, v121
	v_cmp_gt_i32_e64 s1, s11, v120
	v_perm_b32 v98, v20, v19, 0x5040100
	v_cndmask_b32_sdwa v20, v114, v99, vcc_lo dst_sel:DWORD dst_unused:UNUSED_PAD src0_sel:DWORD src1_sel:WORD_1
	v_cndmask_b32_e64 v19, 0, v99, s1
	;; [unrolled: 5-line block ×3, first 2 shown]
	v_perm_b32 v100, v20, v19, 0x5040100
	s_or_b32 exec_lo, exec_lo, s2
	global_load_dwordx4 v[101:104], v[17:18], off offset:1024
	s_and_saveexec_b32 s2, s0
	s_cbranch_execz .LBB160_54
.LBB160_72:                             ;   in Loop: Header=BB160_26 Depth=1
	v_cmp_gt_i32_e64 s1, s11, v115
	v_cmp_gt_i32_e32 vcc_lo, s14, v124
	s_waitcnt vmcnt(0)
	v_cndmask_b32_e64 v20, 0, v101, s1
	v_cndmask_b32_sdwa v19, v114, v101, vcc_lo dst_sel:DWORD dst_unused:UNUSED_PAD src0_sel:DWORD src1_sel:WORD_1
	v_cmp_gt_i32_e32 vcc_lo, s14, v123
	v_cmp_gt_i32_e64 s1, s11, v122
	v_perm_b32 v101, v19, v20, 0x5040100
	v_cndmask_b32_sdwa v20, v114, v102, vcc_lo dst_sel:DWORD dst_unused:UNUSED_PAD src0_sel:DWORD src1_sel:WORD_1
	v_cndmask_b32_e64 v19, 0, v102, s1
	v_cmp_gt_i32_e32 vcc_lo, s14, v121
	v_cmp_gt_i32_e64 s1, s11, v120
	v_perm_b32 v102, v20, v19, 0x5040100
	v_cndmask_b32_sdwa v20, v114, v103, vcc_lo dst_sel:DWORD dst_unused:UNUSED_PAD src0_sel:DWORD src1_sel:WORD_1
	v_cndmask_b32_e64 v19, 0, v103, s1
	;; [unrolled: 5-line block ×3, first 2 shown]
	v_perm_b32 v104, v20, v19, 0x5040100
	s_or_b32 exec_lo, exec_lo, s2
	global_load_dwordx4 v[17:20], v[17:18], off offset:1536
	s_and_saveexec_b32 s2, s0
	s_cbranch_execz .LBB160_25
.LBB160_73:                             ;   in Loop: Header=BB160_26 Depth=1
	v_cmp_gt_i32_e64 s0, s11, v115
	v_cmp_gt_i32_e32 vcc_lo, s14, v124
	v_cmp_gt_i32_e64 s1, s11, v122
	s_waitcnt vmcnt(0)
	v_cndmask_b32_e64 v124, 0, v17, s0
	v_cmp_gt_i32_e64 s0, s14, v123
	v_cndmask_b32_sdwa v17, v114, v17, vcc_lo dst_sel:DWORD dst_unused:UNUSED_PAD src0_sel:DWORD src1_sel:WORD_1
	v_cndmask_b32_e64 v122, 0, v18, s1
	v_cmp_gt_i32_e64 s1, s14, v121
	s_mov_b32 vcc_lo, s0
	v_cmp_gt_i32_e64 s0, s14, v119
	v_cndmask_b32_sdwa v18, v114, v18, vcc_lo dst_sel:DWORD dst_unused:UNUSED_PAD src0_sel:DWORD src1_sel:WORD_1
	v_cmp_gt_i32_e32 vcc_lo, s11, v120
	v_perm_b32 v17, v17, v124, 0x5040100
	v_perm_b32 v18, v18, v122, 0x5040100
	v_cndmask_b32_e32 v120, 0, v19, vcc_lo
	s_mov_b32 vcc_lo, s1
	v_cndmask_b32_sdwa v19, v114, v19, vcc_lo dst_sel:DWORD dst_unused:UNUSED_PAD src0_sel:DWORD src1_sel:WORD_1
	v_cmp_gt_i32_e32 vcc_lo, s11, v118
	v_perm_b32 v19, v19, v120, 0x5040100
	v_cndmask_b32_e32 v118, 0, v20, vcc_lo
	s_mov_b32 vcc_lo, s0
	v_cndmask_b32_sdwa v20, v114, v20, vcc_lo dst_sel:DWORD dst_unused:UNUSED_PAD src0_sel:DWORD src1_sel:WORD_1
	v_perm_b32 v20, v20, v118, 0x5040100
	s_branch .LBB160_25
.LBB160_74:
	s_or_b32 exec_lo, exec_lo, s13
	s_clause 0x5
	buffer_load_dword v50, off, s[36:39], 0 offset:556
	buffer_load_dword v76, off, s[36:39], 0 offset:560
	;; [unrolled: 1-line block ×6, first 2 shown]
.LBB160_75:
	s_or_b32 exec_lo, exec_lo, s3
	s_waitcnt vmcnt(1)
	ds_bpermute_b32 v1, v34, v110
	ds_bpermute_b32 v2, v34, v113
	;; [unrolled: 1-line block ×19, first 2 shown]
	s_mov_b32 s0, exec_lo
	s_waitcnt lgkmcnt(18)
	v_add_f32_e32 v1, v110, v1
	s_waitcnt lgkmcnt(17)
	v_add_f32_e32 v2, v113, v2
	;; [unrolled: 2-line block ×4, first 2 shown]
	ds_bpermute_b32 v4, v34, v107
	ds_bpermute_b32 v15, v52, v1
	;; [unrolled: 1-line block ×5, first 2 shown]
	s_waitcnt lgkmcnt(19)
	v_add_f32_e32 v5, v109, v5
	s_waitcnt lgkmcnt(18)
	v_add_f32_e32 v6, v31, v6
	;; [unrolled: 2-line block ×5, first 2 shown]
	ds_bpermute_b32 v26, v52, v5
	ds_bpermute_b32 v27, v52, v6
	s_waitcnt lgkmcnt(14)
	v_add_f32_e32 v9, v43, v9
	s_waitcnt lgkmcnt(13)
	v_add_f32_e32 v10, v47, v10
	;; [unrolled: 2-line block ×13, first 2 shown]
	ds_bpermute_b32 v0, v34, v127
	v_add_f32_e32 v1, v55, v12
	ds_bpermute_b32 v2, v34, v126
	v_add_f32_e32 v3, v59, v13
	ds_bpermute_b32 v12, v34, v125
	ds_bpermute_b32 v13, v34, v48
	ds_bpermute_b32 v43, v52, v4
	ds_bpermute_b32 v45, v52, v25
	ds_bpermute_b32 v28, v52, v7
	ds_bpermute_b32 v29, v52, v8
	ds_bpermute_b32 v30, v52, v9
	ds_bpermute_b32 v31, v52, v10
	ds_bpermute_b32 v32, v52, v11
	ds_bpermute_b32 v34, v52, v1
	ds_bpermute_b32 v36, v52, v3
	ds_bpermute_b32 v38, v52, v33
	ds_bpermute_b32 v40, v52, v35
	ds_bpermute_b32 v41, v52, v37
	ds_bpermute_b32 v42, v52, v39
	ds_bpermute_b32 v44, v52, v24
	s_waitcnt lgkmcnt(17)
	v_add_f32_e32 v0, v127, v0
	v_add_f32_e32 v23, v5, v26
	s_waitcnt lgkmcnt(16)
	v_add_f32_e32 v2, v126, v2
	v_add_f32_e32 v21, v6, v27
	s_waitcnt lgkmcnt(15)
	v_add_f32_e32 v46, v125, v12
	s_waitcnt lgkmcnt(14)
	v_add_f32_e32 v48, v48, v13
	ds_bpermute_b32 v47, v52, v0
	ds_bpermute_b32 v49, v52, v2
	s_waitcnt lgkmcnt(15)
	v_add_f32_e32 v6, v4, v43
	ds_bpermute_b32 v26, v52, v46
	ds_bpermute_b32 v27, v52, v48
	s_waitcnt lgkmcnt(16)
	v_add_f32_e32 v4, v25, v45
	v_and_b32_e32 v25, 28, v51
	s_waitcnt lgkmcnt(15)
	v_add_f32_e32 v20, v7, v28
	s_waitcnt lgkmcnt(14)
	v_add_f32_e32 v17, v8, v29
	;; [unrolled: 2-line block ×12, first 2 shown]
	v_and_b32_e32 v28, 0x3c3, v50
	s_waitcnt lgkmcnt(3)
	v_add_f32_e32 v3, v0, v47
	s_waitcnt lgkmcnt(2)
	v_add_f32_e32 v0, v2, v49
	v_lshrrev_b32_e32 v24, 2, v51
	s_waitcnt lgkmcnt(1)
	v_add_f32_e32 v1, v46, v26
	s_waitcnt lgkmcnt(0)
	v_add_f32_e32 v2, v48, v27
	v_add_nc_u32_e32 v25, 0x1a0, v25
	v_mul_u32_u24_e32 v26, 0x300, v76
	s_waitcnt vmcnt(0)
	s_waitcnt_vscnt null, 0x0
	s_barrier
	buffer_gl0_inv
	v_cmpx_eq_u32_e32 64, v28
	s_cbranch_execz .LBB160_77
; %bb.76:
	v_add_nc_u32_e32 v27, v25, v26
	v_add_nc_u32_e32 v28, 0xfffffa00, v27
	;; [unrolled: 1-line block ×7, first 2 shown]
	ds_write_b32 v28, v22
	ds_write_b32 v29, v19
	;; [unrolled: 1-line block ×4, first 2 shown]
	v_add_nc_u32_e32 v28, 0xfffffac0, v27
	v_add_nc_u32_e32 v29, 0xfffffae0, v27
	v_add_nc_u32_e32 v30, 0xfffffb00, v27
	ds_write_b32 v32, v23
	ds_write_b32 v33, v21
	ds_write_b32 v28, v20
	ds_write_b32 v29, v17
	ds_write_b32 v30, v16
	v_add_nc_u32_e32 v28, 0xfffffb20, v27
	v_add_nc_u32_e32 v29, 0xfffffb40, v27
	v_add_nc_u32_e32 v30, 0xfffffb60, v27
	v_add_nc_u32_e32 v31, 0xfffffb80, v27
	v_add_nc_u32_e32 v32, 0xfffffba0, v27
	ds_write_b32 v28, v14
	ds_write_b32 v29, v13
	ds_write_b32 v30, v12
	ds_write_b32 v31, v11
	ds_write_b32 v32, v10
	v_add_nc_u32_e32 v28, 0xfffffbc0, v27
	v_add_nc_u32_e32 v29, 0xfffffbe0, v27
	;; [unrolled: 10-line block ×3, first 2 shown]
	v_add_nc_u32_e32 v30, 0xfffffca0, v27
	v_add_nc_u32_e32 v31, 0xfffffcc0, v27
	;; [unrolled: 1-line block ×3, first 2 shown]
	ds_write_b32 v28, v4
	ds_write_b32 v29, v3
	;; [unrolled: 1-line block ×5, first 2 shown]
.LBB160_77:
	s_or_b32 exec_lo, exec_lo, s0
	v_lshlrev_b32_e32 v24, 2, v24
	s_mov_b32 s1, exec_lo
	v_cmp_eq_u32_e32 vcc_lo, 0, v53
	s_waitcnt lgkmcnt(0)
	s_barrier
	v_add3_u32 v24, 0x1a0, v26, v24
	buffer_gl0_inv
	v_cmpx_gt_u32_e32 64, v50
	s_cbranch_execz .LBB160_104
; %bb.78:
	s_and_saveexec_b32 s0, vcc_lo
	s_cbranch_execnz .LBB160_136
; %bb.79:
	s_or_b32 exec_lo, exec_lo, s0
	s_and_saveexec_b32 s0, vcc_lo
	s_cbranch_execnz .LBB160_137
.LBB160_80:
	s_or_b32 exec_lo, exec_lo, s0
	s_and_saveexec_b32 s0, vcc_lo
	s_cbranch_execnz .LBB160_138
.LBB160_81:
	s_or_b32 exec_lo, exec_lo, s0
	s_and_saveexec_b32 s0, vcc_lo
	s_cbranch_execnz .LBB160_139
.LBB160_82:
	s_or_b32 exec_lo, exec_lo, s0
	s_and_saveexec_b32 s0, vcc_lo
	s_cbranch_execnz .LBB160_140
.LBB160_83:
	s_or_b32 exec_lo, exec_lo, s0
	s_and_saveexec_b32 s0, vcc_lo
	s_cbranch_execnz .LBB160_141
.LBB160_84:
	s_or_b32 exec_lo, exec_lo, s0
	s_and_saveexec_b32 s0, vcc_lo
	s_cbranch_execnz .LBB160_142
.LBB160_85:
	s_or_b32 exec_lo, exec_lo, s0
	s_and_saveexec_b32 s0, vcc_lo
	s_cbranch_execnz .LBB160_143
.LBB160_86:
	s_or_b32 exec_lo, exec_lo, s0
	s_and_saveexec_b32 s0, vcc_lo
	s_cbranch_execnz .LBB160_144
.LBB160_87:
	s_or_b32 exec_lo, exec_lo, s0
	s_and_saveexec_b32 s0, vcc_lo
	s_cbranch_execnz .LBB160_145
.LBB160_88:
	s_or_b32 exec_lo, exec_lo, s0
	s_and_saveexec_b32 s0, vcc_lo
	s_cbranch_execnz .LBB160_146
.LBB160_89:
	s_or_b32 exec_lo, exec_lo, s0
	s_and_saveexec_b32 s0, vcc_lo
	s_cbranch_execnz .LBB160_147
.LBB160_90:
	s_or_b32 exec_lo, exec_lo, s0
	s_and_saveexec_b32 s0, vcc_lo
	s_cbranch_execnz .LBB160_148
.LBB160_91:
	s_or_b32 exec_lo, exec_lo, s0
	s_and_saveexec_b32 s0, vcc_lo
	s_cbranch_execnz .LBB160_149
.LBB160_92:
	s_or_b32 exec_lo, exec_lo, s0
	s_and_saveexec_b32 s0, vcc_lo
	s_cbranch_execnz .LBB160_150
.LBB160_93:
	s_or_b32 exec_lo, exec_lo, s0
	s_and_saveexec_b32 s0, vcc_lo
	s_cbranch_execnz .LBB160_151
.LBB160_94:
	s_or_b32 exec_lo, exec_lo, s0
	s_and_saveexec_b32 s0, vcc_lo
	s_cbranch_execnz .LBB160_152
.LBB160_95:
	s_or_b32 exec_lo, exec_lo, s0
	s_and_saveexec_b32 s0, vcc_lo
	s_cbranch_execnz .LBB160_153
.LBB160_96:
	s_or_b32 exec_lo, exec_lo, s0
	s_and_saveexec_b32 s0, vcc_lo
	s_cbranch_execnz .LBB160_154
.LBB160_97:
	s_or_b32 exec_lo, exec_lo, s0
	s_and_saveexec_b32 s0, vcc_lo
	s_cbranch_execnz .LBB160_155
.LBB160_98:
	s_or_b32 exec_lo, exec_lo, s0
	s_and_saveexec_b32 s0, vcc_lo
	s_cbranch_execnz .LBB160_156
.LBB160_99:
	s_or_b32 exec_lo, exec_lo, s0
	s_and_saveexec_b32 s0, vcc_lo
	s_cbranch_execnz .LBB160_157
.LBB160_100:
	s_or_b32 exec_lo, exec_lo, s0
	s_and_saveexec_b32 s0, vcc_lo
	s_cbranch_execnz .LBB160_158
.LBB160_101:
	s_or_b32 exec_lo, exec_lo, s0
	s_and_saveexec_b32 s0, vcc_lo
	s_cbranch_execz .LBB160_103
.LBB160_102:
	ds_read_b32 v26, v24 offset:736
	s_waitcnt lgkmcnt(0)
	v_add_f32_e32 v2, v2, v26
.LBB160_103:
	s_or_b32 exec_lo, exec_lo, s0
.LBB160_104:
	s_or_b32 exec_lo, exec_lo, s1
	v_and_b32_e32 v26, 0x3e3, v50
	s_mov_b32 s1, exec_lo
	s_barrier
	buffer_gl0_inv
	v_cmpx_eq_u32_e32 32, v26
	s_cbranch_execz .LBB160_106
; %bb.105:
	ds_write2_b32 v25, v22, v19 offset1:8
	ds_write2_b32 v25, v18, v15 offset0:16 offset1:24
	ds_write2_b32 v25, v23, v21 offset0:32 offset1:40
	ds_write2_b32 v25, v20, v17 offset0:48 offset1:56
	ds_write2_b32 v25, v16, v14 offset0:64 offset1:72
	ds_write2_b32 v25, v13, v12 offset0:80 offset1:88
	ds_write2_b32 v25, v11, v10 offset0:96 offset1:104
	ds_write2_b32 v25, v9, v8 offset0:112 offset1:120
	ds_write2_b32 v25, v7, v6 offset0:128 offset1:136
	ds_write2_b32 v25, v5, v4 offset0:144 offset1:152
	ds_write2_b32 v25, v3, v0 offset0:160 offset1:168
	ds_write2_b32 v25, v1, v2 offset0:176 offset1:184
.LBB160_106:
	s_or_b32 exec_lo, exec_lo, s1
	s_mov_b32 s1, exec_lo
	s_waitcnt lgkmcnt(0)
	s_barrier
	buffer_gl0_inv
	v_cmpx_gt_u32_e32 32, v50
	s_cbranch_execz .LBB160_133
; %bb.107:
	s_and_saveexec_b32 s0, vcc_lo
	s_cbranch_execnz .LBB160_159
; %bb.108:
	s_or_b32 exec_lo, exec_lo, s0
	s_and_saveexec_b32 s0, vcc_lo
	s_cbranch_execnz .LBB160_160
.LBB160_109:
	s_or_b32 exec_lo, exec_lo, s0
	s_and_saveexec_b32 s0, vcc_lo
	s_cbranch_execnz .LBB160_161
.LBB160_110:
	s_or_b32 exec_lo, exec_lo, s0
	s_and_saveexec_b32 s0, vcc_lo
	s_cbranch_execnz .LBB160_162
.LBB160_111:
	s_or_b32 exec_lo, exec_lo, s0
	s_and_saveexec_b32 s0, vcc_lo
	s_cbranch_execnz .LBB160_163
.LBB160_112:
	s_or_b32 exec_lo, exec_lo, s0
	s_and_saveexec_b32 s0, vcc_lo
	s_cbranch_execnz .LBB160_164
.LBB160_113:
	s_or_b32 exec_lo, exec_lo, s0
	s_and_saveexec_b32 s0, vcc_lo
	s_cbranch_execnz .LBB160_165
.LBB160_114:
	s_or_b32 exec_lo, exec_lo, s0
	s_and_saveexec_b32 s0, vcc_lo
	s_cbranch_execnz .LBB160_166
.LBB160_115:
	s_or_b32 exec_lo, exec_lo, s0
	s_and_saveexec_b32 s0, vcc_lo
	s_cbranch_execnz .LBB160_167
.LBB160_116:
	s_or_b32 exec_lo, exec_lo, s0
	s_and_saveexec_b32 s0, vcc_lo
	s_cbranch_execnz .LBB160_168
.LBB160_117:
	s_or_b32 exec_lo, exec_lo, s0
	s_and_saveexec_b32 s0, vcc_lo
	s_cbranch_execnz .LBB160_169
.LBB160_118:
	s_or_b32 exec_lo, exec_lo, s0
	s_and_saveexec_b32 s0, vcc_lo
	s_cbranch_execnz .LBB160_170
.LBB160_119:
	s_or_b32 exec_lo, exec_lo, s0
	s_and_saveexec_b32 s0, vcc_lo
	s_cbranch_execnz .LBB160_171
.LBB160_120:
	s_or_b32 exec_lo, exec_lo, s0
	s_and_saveexec_b32 s0, vcc_lo
	s_cbranch_execnz .LBB160_172
.LBB160_121:
	s_or_b32 exec_lo, exec_lo, s0
	s_and_saveexec_b32 s0, vcc_lo
	s_cbranch_execnz .LBB160_173
.LBB160_122:
	s_or_b32 exec_lo, exec_lo, s0
	s_and_saveexec_b32 s0, vcc_lo
	s_cbranch_execnz .LBB160_174
.LBB160_123:
	s_or_b32 exec_lo, exec_lo, s0
	s_and_saveexec_b32 s0, vcc_lo
	s_cbranch_execnz .LBB160_175
.LBB160_124:
	s_or_b32 exec_lo, exec_lo, s0
	s_and_saveexec_b32 s0, vcc_lo
	s_cbranch_execnz .LBB160_176
.LBB160_125:
	s_or_b32 exec_lo, exec_lo, s0
	s_and_saveexec_b32 s0, vcc_lo
	s_cbranch_execnz .LBB160_177
.LBB160_126:
	s_or_b32 exec_lo, exec_lo, s0
	s_and_saveexec_b32 s0, vcc_lo
	s_cbranch_execnz .LBB160_178
.LBB160_127:
	s_or_b32 exec_lo, exec_lo, s0
	s_and_saveexec_b32 s0, vcc_lo
	s_cbranch_execnz .LBB160_179
.LBB160_128:
	s_or_b32 exec_lo, exec_lo, s0
	s_and_saveexec_b32 s0, vcc_lo
	s_cbranch_execnz .LBB160_180
.LBB160_129:
	s_or_b32 exec_lo, exec_lo, s0
	s_and_saveexec_b32 s0, vcc_lo
	s_cbranch_execnz .LBB160_181
.LBB160_130:
	s_or_b32 exec_lo, exec_lo, s0
	s_and_saveexec_b32 s0, vcc_lo
	s_cbranch_execz .LBB160_132
.LBB160_131:
	ds_read_b32 v24, v24 offset:736
	s_waitcnt lgkmcnt(0)
	v_add_f32_e32 v2, v2, v24
.LBB160_132:
	s_or_b32 exec_lo, exec_lo, s0
.LBB160_133:
	s_or_b32 exec_lo, exec_lo, s1
	s_barrier
	buffer_gl0_inv
	s_mov_b32 s0, exec_lo
	v_cmpx_eq_u32_e32 0, v26
	s_cbranch_execz .LBB160_135
; %bb.134:
	s_mul_i32 s0, s10, s7
	v_bfe_u32 v25, v22, 16, 1
	s_mul_i32 s0, s0, s9
	s_mul_i32 s2, s7, s6
	s_mulk_i32 s0, 0xc0
	v_or_b32_e32 v26, 0x400000, v22
	s_ashr_i32 s1, s0, 31
	v_add3_u32 v25, v25, v22, 0x7fff
	s_lshl_b64 s[0:1], s[0:1], 1
	v_bfe_u32 v27, v19, 16, 1
	s_add_u32 s5, s16, s0
	s_addc_u32 s6, s17, s1
	s_ashr_i32 s3, s2, 31
	v_cmp_u_f32_e32 vcc_lo, v22, v22
	s_lshl_b64 s[0:1], s[2:3], 1
	s_mul_i32 s4, s8, 0xc0
	s_add_u32 s2, s5, s0
	s_addc_u32 s3, s6, s1
	s_ashr_i32 s5, s4, 31
	v_lshrrev_b32_e32 v24, 1, v50
	s_lshl_b64 s[0:1], s[4:5], 1
	v_cndmask_b32_e32 v22, v25, v26, vcc_lo
	v_bfe_u32 v25, v18, 16, 1
	v_add3_u32 v26, v27, v19, 0x7fff
	v_or_b32_e32 v27, 0x400000, v19
	v_cmp_u_f32_e32 vcc_lo, v19, v19
	s_add_u32 s0, s2, s0
	s_addc_u32 s1, s3, s1
	global_store_short_d16_hi v24, v22, s[0:1]
	v_add3_u32 v22, v25, v18, 0x7fff
	v_or_b32_e32 v25, 0x400000, v18
	v_cndmask_b32_e32 v19, v26, v27, vcc_lo
	v_bfe_u32 v26, v15, 16, 1
	v_cmp_u_f32_e32 vcc_lo, v18, v18
	global_store_short_d16_hi v24, v19, s[0:1] offset:16
	v_add3_u32 v19, v26, v15, 0x7fff
	v_cndmask_b32_e32 v18, v22, v25, vcc_lo
	v_bfe_u32 v22, v23, 16, 1
	v_or_b32_e32 v25, 0x400000, v15
	v_cmp_u_f32_e32 vcc_lo, v15, v15
	global_store_short_d16_hi v24, v18, s[0:1] offset:32
	v_add3_u32 v18, v22, v23, 0x7fff
	v_or_b32_e32 v22, 0x400000, v23
	v_cndmask_b32_e32 v15, v19, v25, vcc_lo
	v_bfe_u32 v19, v21, 16, 1
	v_cmp_u_f32_e32 vcc_lo, v23, v23
	global_store_short_d16_hi v24, v15, s[0:1] offset:48
	v_add3_u32 v15, v19, v21, 0x7fff
	v_cndmask_b32_e32 v18, v18, v22, vcc_lo
	v_bfe_u32 v22, v20, 16, 1
	v_or_b32_e32 v19, 0x400000, v21
	v_cmp_u_f32_e32 vcc_lo, v21, v21
	global_store_short_d16_hi v24, v18, s[0:1] offset:64
	v_add3_u32 v18, v22, v20, 0x7fff
	v_or_b32_e32 v22, 0x400000, v20
	v_cndmask_b32_e32 v15, v15, v19, vcc_lo
	v_bfe_u32 v19, v17, 16, 1
	v_cmp_u_f32_e32 vcc_lo, v20, v20
	v_bfe_u32 v20, v16, 16, 1
	global_store_short_d16_hi v24, v15, s[0:1] offset:80
	v_add3_u32 v15, v19, v17, 0x7fff
	v_cndmask_b32_e32 v18, v18, v22, vcc_lo
	v_or_b32_e32 v19, 0x400000, v17
	v_cmp_u_f32_e32 vcc_lo, v17, v17
	v_bfe_u32 v17, v14, 16, 1
	global_store_short_d16_hi v24, v18, s[0:1] offset:96
	v_add3_u32 v18, v20, v16, 0x7fff
	v_or_b32_e32 v20, 0x400000, v16
	v_cndmask_b32_e32 v15, v15, v19, vcc_lo
	v_cmp_u_f32_e32 vcc_lo, v16, v16
	global_store_short_d16_hi v24, v15, s[0:1] offset:112
	v_cndmask_b32_e32 v16, v18, v20, vcc_lo
	v_bfe_u32 v18, v13, 16, 1
	v_add3_u32 v15, v17, v14, 0x7fff
	v_or_b32_e32 v17, 0x400000, v14
	v_cmp_u_f32_e32 vcc_lo, v14, v14
	global_store_short_d16_hi v24, v16, s[0:1] offset:128
	v_add3_u32 v16, v18, v13, 0x7fff
	v_or_b32_e32 v18, 0x400000, v13
	v_cndmask_b32_e32 v14, v15, v17, vcc_lo
	v_bfe_u32 v15, v12, 16, 1
	v_cmp_u_f32_e32 vcc_lo, v13, v13
	global_store_short_d16_hi v24, v14, s[0:1] offset:144
	v_add3_u32 v14, v15, v12, 0x7fff
	v_cndmask_b32_e32 v13, v16, v18, vcc_lo
	v_bfe_u32 v16, v11, 16, 1
	v_or_b32_e32 v15, 0x400000, v12
	v_cmp_u_f32_e32 vcc_lo, v12, v12
	global_store_short_d16_hi v24, v13, s[0:1] offset:160
	v_add3_u32 v13, v16, v11, 0x7fff
	v_or_b32_e32 v16, 0x400000, v11
	v_cndmask_b32_e32 v12, v14, v15, vcc_lo
	v_bfe_u32 v14, v10, 16, 1
	v_cmp_u_f32_e32 vcc_lo, v11, v11
	global_store_short_d16_hi v24, v12, s[0:1] offset:176
	v_add3_u32 v12, v14, v10, 0x7fff
	v_cndmask_b32_e32 v11, v13, v16, vcc_lo
	v_bfe_u32 v13, v9, 16, 1
	;; [unrolled: 12-line block ×4, first 2 shown]
	v_or_b32_e32 v10, 0x400000, v6
	v_cmp_u_f32_e32 vcc_lo, v6, v6
	global_store_short_d16_hi v24, v7, s[0:1] offset:256
	v_add3_u32 v7, v9, v5, 0x7fff
	v_or_b32_e32 v9, 0x400000, v5
	v_cndmask_b32_e32 v6, v8, v10, vcc_lo
	v_bfe_u32 v8, v4, 16, 1
	v_cmp_u_f32_e32 vcc_lo, v5, v5
	v_or_b32_e32 v10, 0x400000, v2
	global_store_short_d16_hi v24, v6, s[0:1] offset:272
	v_add3_u32 v6, v8, v4, 0x7fff
	v_cndmask_b32_e32 v5, v7, v9, vcc_lo
	v_bfe_u32 v7, v3, 16, 1
	v_or_b32_e32 v8, 0x400000, v4
	v_cmp_u_f32_e32 vcc_lo, v4, v4
	v_or_b32_e32 v9, 0x400000, v1
	global_store_short_d16_hi v24, v5, s[0:1] offset:288
	v_add3_u32 v5, v7, v3, 0x7fff
	v_or_b32_e32 v7, 0x400000, v3
	v_cndmask_b32_e32 v4, v6, v8, vcc_lo
	v_bfe_u32 v6, v0, 16, 1
	v_cmp_u_f32_e32 vcc_lo, v3, v3
	v_bfe_u32 v8, v1, 16, 1
	v_add3_u32 v6, v6, v0, 0x7fff
	v_cndmask_b32_e32 v3, v5, v7, vcc_lo
	v_or_b32_e32 v7, 0x400000, v0
	v_cmp_u_f32_e32 vcc_lo, v0, v0
	v_bfe_u32 v5, v2, 16, 1
	v_add3_u32 v8, v8, v1, 0x7fff
	v_cndmask_b32_e32 v0, v6, v7, vcc_lo
	v_cmp_u_f32_e32 vcc_lo, v1, v1
	v_add3_u32 v5, v5, v2, 0x7fff
	v_cndmask_b32_e32 v1, v8, v9, vcc_lo
	v_cmp_u_f32_e32 vcc_lo, v2, v2
	v_cndmask_b32_e32 v2, v5, v10, vcc_lo
	global_store_short_d16_hi v24, v4, s[0:1] offset:304
	global_store_short_d16_hi v24, v3, s[0:1] offset:320
	;; [unrolled: 1-line block ×5, first 2 shown]
.LBB160_135:
	s_endpgm
.LBB160_136:
	ds_read_b32 v26, v24
	s_waitcnt lgkmcnt(0)
	v_add_f32_e32 v22, v22, v26
	s_or_b32 exec_lo, exec_lo, s0
	s_and_saveexec_b32 s0, vcc_lo
	s_cbranch_execz .LBB160_80
.LBB160_137:
	ds_read_b32 v26, v24 offset:32
	s_waitcnt lgkmcnt(0)
	v_add_f32_e32 v19, v19, v26
	s_or_b32 exec_lo, exec_lo, s0
	s_and_saveexec_b32 s0, vcc_lo
	s_cbranch_execz .LBB160_81
.LBB160_138:
	ds_read_b32 v26, v24 offset:64
	s_waitcnt lgkmcnt(0)
	v_add_f32_e32 v18, v18, v26
	s_or_b32 exec_lo, exec_lo, s0
	s_and_saveexec_b32 s0, vcc_lo
	s_cbranch_execz .LBB160_82
.LBB160_139:
	ds_read_b32 v26, v24 offset:96
	s_waitcnt lgkmcnt(0)
	v_add_f32_e32 v15, v15, v26
	s_or_b32 exec_lo, exec_lo, s0
	s_and_saveexec_b32 s0, vcc_lo
	s_cbranch_execz .LBB160_83
.LBB160_140:
	ds_read_b32 v26, v24 offset:128
	s_waitcnt lgkmcnt(0)
	v_add_f32_e32 v23, v23, v26
	s_or_b32 exec_lo, exec_lo, s0
	s_and_saveexec_b32 s0, vcc_lo
	s_cbranch_execz .LBB160_84
.LBB160_141:
	ds_read_b32 v26, v24 offset:160
	s_waitcnt lgkmcnt(0)
	v_add_f32_e32 v21, v21, v26
	s_or_b32 exec_lo, exec_lo, s0
	s_and_saveexec_b32 s0, vcc_lo
	s_cbranch_execz .LBB160_85
.LBB160_142:
	ds_read_b32 v26, v24 offset:192
	s_waitcnt lgkmcnt(0)
	v_add_f32_e32 v20, v20, v26
	s_or_b32 exec_lo, exec_lo, s0
	s_and_saveexec_b32 s0, vcc_lo
	s_cbranch_execz .LBB160_86
.LBB160_143:
	ds_read_b32 v26, v24 offset:224
	s_waitcnt lgkmcnt(0)
	v_add_f32_e32 v17, v17, v26
	s_or_b32 exec_lo, exec_lo, s0
	s_and_saveexec_b32 s0, vcc_lo
	s_cbranch_execz .LBB160_87
.LBB160_144:
	ds_read_b32 v26, v24 offset:256
	s_waitcnt lgkmcnt(0)
	v_add_f32_e32 v16, v16, v26
	s_or_b32 exec_lo, exec_lo, s0
	s_and_saveexec_b32 s0, vcc_lo
	s_cbranch_execz .LBB160_88
.LBB160_145:
	ds_read_b32 v26, v24 offset:288
	s_waitcnt lgkmcnt(0)
	v_add_f32_e32 v14, v14, v26
	s_or_b32 exec_lo, exec_lo, s0
	s_and_saveexec_b32 s0, vcc_lo
	s_cbranch_execz .LBB160_89
.LBB160_146:
	ds_read_b32 v26, v24 offset:320
	s_waitcnt lgkmcnt(0)
	v_add_f32_e32 v13, v13, v26
	s_or_b32 exec_lo, exec_lo, s0
	s_and_saveexec_b32 s0, vcc_lo
	s_cbranch_execz .LBB160_90
.LBB160_147:
	ds_read_b32 v26, v24 offset:352
	s_waitcnt lgkmcnt(0)
	v_add_f32_e32 v12, v12, v26
	s_or_b32 exec_lo, exec_lo, s0
	s_and_saveexec_b32 s0, vcc_lo
	s_cbranch_execz .LBB160_91
.LBB160_148:
	ds_read_b32 v26, v24 offset:384
	s_waitcnt lgkmcnt(0)
	v_add_f32_e32 v11, v11, v26
	s_or_b32 exec_lo, exec_lo, s0
	s_and_saveexec_b32 s0, vcc_lo
	s_cbranch_execz .LBB160_92
.LBB160_149:
	ds_read_b32 v26, v24 offset:416
	s_waitcnt lgkmcnt(0)
	v_add_f32_e32 v10, v10, v26
	s_or_b32 exec_lo, exec_lo, s0
	s_and_saveexec_b32 s0, vcc_lo
	s_cbranch_execz .LBB160_93
.LBB160_150:
	ds_read_b32 v26, v24 offset:448
	s_waitcnt lgkmcnt(0)
	v_add_f32_e32 v9, v9, v26
	s_or_b32 exec_lo, exec_lo, s0
	s_and_saveexec_b32 s0, vcc_lo
	s_cbranch_execz .LBB160_94
.LBB160_151:
	ds_read_b32 v26, v24 offset:480
	s_waitcnt lgkmcnt(0)
	v_add_f32_e32 v8, v8, v26
	s_or_b32 exec_lo, exec_lo, s0
	s_and_saveexec_b32 s0, vcc_lo
	s_cbranch_execz .LBB160_95
.LBB160_152:
	ds_read_b32 v26, v24 offset:512
	s_waitcnt lgkmcnt(0)
	v_add_f32_e32 v7, v7, v26
	s_or_b32 exec_lo, exec_lo, s0
	s_and_saveexec_b32 s0, vcc_lo
	s_cbranch_execz .LBB160_96
.LBB160_153:
	ds_read_b32 v26, v24 offset:544
	s_waitcnt lgkmcnt(0)
	v_add_f32_e32 v6, v6, v26
	s_or_b32 exec_lo, exec_lo, s0
	s_and_saveexec_b32 s0, vcc_lo
	s_cbranch_execz .LBB160_97
.LBB160_154:
	ds_read_b32 v26, v24 offset:576
	s_waitcnt lgkmcnt(0)
	v_add_f32_e32 v5, v5, v26
	s_or_b32 exec_lo, exec_lo, s0
	s_and_saveexec_b32 s0, vcc_lo
	s_cbranch_execz .LBB160_98
.LBB160_155:
	ds_read_b32 v26, v24 offset:608
	s_waitcnt lgkmcnt(0)
	v_add_f32_e32 v4, v4, v26
	s_or_b32 exec_lo, exec_lo, s0
	s_and_saveexec_b32 s0, vcc_lo
	s_cbranch_execz .LBB160_99
.LBB160_156:
	ds_read_b32 v26, v24 offset:640
	s_waitcnt lgkmcnt(0)
	v_add_f32_e32 v3, v3, v26
	s_or_b32 exec_lo, exec_lo, s0
	s_and_saveexec_b32 s0, vcc_lo
	s_cbranch_execz .LBB160_100
.LBB160_157:
	ds_read_b32 v26, v24 offset:672
	s_waitcnt lgkmcnt(0)
	v_add_f32_e32 v0, v0, v26
	s_or_b32 exec_lo, exec_lo, s0
	s_and_saveexec_b32 s0, vcc_lo
	s_cbranch_execz .LBB160_101
.LBB160_158:
	ds_read_b32 v26, v24 offset:704
	s_waitcnt lgkmcnt(0)
	v_add_f32_e32 v1, v1, v26
	s_or_b32 exec_lo, exec_lo, s0
	s_and_saveexec_b32 s0, vcc_lo
	s_cbranch_execnz .LBB160_102
	s_branch .LBB160_103
.LBB160_159:
	ds_read_b32 v25, v24
	s_waitcnt lgkmcnt(0)
	v_add_f32_e32 v22, v22, v25
	s_or_b32 exec_lo, exec_lo, s0
	s_and_saveexec_b32 s0, vcc_lo
	s_cbranch_execz .LBB160_109
.LBB160_160:
	ds_read_b32 v25, v24 offset:32
	s_waitcnt lgkmcnt(0)
	v_add_f32_e32 v19, v19, v25
	s_or_b32 exec_lo, exec_lo, s0
	s_and_saveexec_b32 s0, vcc_lo
	s_cbranch_execz .LBB160_110
.LBB160_161:
	ds_read_b32 v25, v24 offset:64
	s_waitcnt lgkmcnt(0)
	v_add_f32_e32 v18, v18, v25
	s_or_b32 exec_lo, exec_lo, s0
	s_and_saveexec_b32 s0, vcc_lo
	s_cbranch_execz .LBB160_111
.LBB160_162:
	ds_read_b32 v25, v24 offset:96
	s_waitcnt lgkmcnt(0)
	v_add_f32_e32 v15, v15, v25
	s_or_b32 exec_lo, exec_lo, s0
	s_and_saveexec_b32 s0, vcc_lo
	s_cbranch_execz .LBB160_112
.LBB160_163:
	ds_read_b32 v25, v24 offset:128
	s_waitcnt lgkmcnt(0)
	v_add_f32_e32 v23, v23, v25
	s_or_b32 exec_lo, exec_lo, s0
	s_and_saveexec_b32 s0, vcc_lo
	s_cbranch_execz .LBB160_113
.LBB160_164:
	ds_read_b32 v25, v24 offset:160
	s_waitcnt lgkmcnt(0)
	v_add_f32_e32 v21, v21, v25
	s_or_b32 exec_lo, exec_lo, s0
	s_and_saveexec_b32 s0, vcc_lo
	s_cbranch_execz .LBB160_114
.LBB160_165:
	ds_read_b32 v25, v24 offset:192
	s_waitcnt lgkmcnt(0)
	v_add_f32_e32 v20, v20, v25
	s_or_b32 exec_lo, exec_lo, s0
	s_and_saveexec_b32 s0, vcc_lo
	s_cbranch_execz .LBB160_115
.LBB160_166:
	ds_read_b32 v25, v24 offset:224
	s_waitcnt lgkmcnt(0)
	v_add_f32_e32 v17, v17, v25
	s_or_b32 exec_lo, exec_lo, s0
	s_and_saveexec_b32 s0, vcc_lo
	s_cbranch_execz .LBB160_116
.LBB160_167:
	ds_read_b32 v25, v24 offset:256
	s_waitcnt lgkmcnt(0)
	v_add_f32_e32 v16, v16, v25
	s_or_b32 exec_lo, exec_lo, s0
	s_and_saveexec_b32 s0, vcc_lo
	s_cbranch_execz .LBB160_117
.LBB160_168:
	ds_read_b32 v25, v24 offset:288
	s_waitcnt lgkmcnt(0)
	v_add_f32_e32 v14, v14, v25
	s_or_b32 exec_lo, exec_lo, s0
	s_and_saveexec_b32 s0, vcc_lo
	s_cbranch_execz .LBB160_118
.LBB160_169:
	ds_read_b32 v25, v24 offset:320
	s_waitcnt lgkmcnt(0)
	v_add_f32_e32 v13, v13, v25
	s_or_b32 exec_lo, exec_lo, s0
	s_and_saveexec_b32 s0, vcc_lo
	s_cbranch_execz .LBB160_119
.LBB160_170:
	ds_read_b32 v25, v24 offset:352
	s_waitcnt lgkmcnt(0)
	v_add_f32_e32 v12, v12, v25
	s_or_b32 exec_lo, exec_lo, s0
	s_and_saveexec_b32 s0, vcc_lo
	s_cbranch_execz .LBB160_120
.LBB160_171:
	ds_read_b32 v25, v24 offset:384
	s_waitcnt lgkmcnt(0)
	v_add_f32_e32 v11, v11, v25
	s_or_b32 exec_lo, exec_lo, s0
	s_and_saveexec_b32 s0, vcc_lo
	s_cbranch_execz .LBB160_121
.LBB160_172:
	ds_read_b32 v25, v24 offset:416
	s_waitcnt lgkmcnt(0)
	v_add_f32_e32 v10, v10, v25
	s_or_b32 exec_lo, exec_lo, s0
	s_and_saveexec_b32 s0, vcc_lo
	s_cbranch_execz .LBB160_122
.LBB160_173:
	ds_read_b32 v25, v24 offset:448
	s_waitcnt lgkmcnt(0)
	v_add_f32_e32 v9, v9, v25
	s_or_b32 exec_lo, exec_lo, s0
	s_and_saveexec_b32 s0, vcc_lo
	s_cbranch_execz .LBB160_123
.LBB160_174:
	ds_read_b32 v25, v24 offset:480
	s_waitcnt lgkmcnt(0)
	v_add_f32_e32 v8, v8, v25
	s_or_b32 exec_lo, exec_lo, s0
	s_and_saveexec_b32 s0, vcc_lo
	s_cbranch_execz .LBB160_124
.LBB160_175:
	ds_read_b32 v25, v24 offset:512
	s_waitcnt lgkmcnt(0)
	v_add_f32_e32 v7, v7, v25
	s_or_b32 exec_lo, exec_lo, s0
	s_and_saveexec_b32 s0, vcc_lo
	s_cbranch_execz .LBB160_125
.LBB160_176:
	ds_read_b32 v25, v24 offset:544
	s_waitcnt lgkmcnt(0)
	v_add_f32_e32 v6, v6, v25
	s_or_b32 exec_lo, exec_lo, s0
	s_and_saveexec_b32 s0, vcc_lo
	s_cbranch_execz .LBB160_126
.LBB160_177:
	ds_read_b32 v25, v24 offset:576
	s_waitcnt lgkmcnt(0)
	v_add_f32_e32 v5, v5, v25
	s_or_b32 exec_lo, exec_lo, s0
	s_and_saveexec_b32 s0, vcc_lo
	s_cbranch_execz .LBB160_127
.LBB160_178:
	ds_read_b32 v25, v24 offset:608
	s_waitcnt lgkmcnt(0)
	v_add_f32_e32 v4, v4, v25
	s_or_b32 exec_lo, exec_lo, s0
	s_and_saveexec_b32 s0, vcc_lo
	s_cbranch_execz .LBB160_128
.LBB160_179:
	ds_read_b32 v25, v24 offset:640
	s_waitcnt lgkmcnt(0)
	v_add_f32_e32 v3, v3, v25
	s_or_b32 exec_lo, exec_lo, s0
	s_and_saveexec_b32 s0, vcc_lo
	s_cbranch_execz .LBB160_129
.LBB160_180:
	ds_read_b32 v25, v24 offset:672
	s_waitcnt lgkmcnt(0)
	v_add_f32_e32 v0, v0, v25
	s_or_b32 exec_lo, exec_lo, s0
	s_and_saveexec_b32 s0, vcc_lo
	s_cbranch_execz .LBB160_130
.LBB160_181:
	ds_read_b32 v25, v24 offset:704
	s_waitcnt lgkmcnt(0)
	v_add_f32_e32 v1, v1, v25
	s_or_b32 exec_lo, exec_lo, s0
	s_and_saveexec_b32 s0, vcc_lo
	s_cbranch_execnz .LBB160_131
	s_branch .LBB160_132
	.section	.rodata,"a",@progbits
	.p2align	6, 0x0
	.amdhsa_kernel _ZN4vllm25paged_attention_v1_kernelI14__hip_bfloat16S1_Li192ELi32ELi128ELNS_18Fp8KVCacheDataTypeE0ELb0EEEvPT_PKS3_PKT0_S9_ifPKiSB_iPKfiiiSD_SD_iiiii
		.amdhsa_group_segment_fixed_size 416
		.amdhsa_private_segment_fixed_size 584
		.amdhsa_kernarg_size 384
		.amdhsa_user_sgpr_count 6
		.amdhsa_user_sgpr_private_segment_buffer 1
		.amdhsa_user_sgpr_dispatch_ptr 0
		.amdhsa_user_sgpr_queue_ptr 0
		.amdhsa_user_sgpr_kernarg_segment_ptr 1
		.amdhsa_user_sgpr_dispatch_id 0
		.amdhsa_user_sgpr_flat_scratch_init 0
		.amdhsa_user_sgpr_private_segment_size 0
		.amdhsa_wavefront_size32 1
		.amdhsa_uses_dynamic_stack 0
		.amdhsa_system_sgpr_private_segment_wavefront_offset 1
		.amdhsa_system_sgpr_workgroup_id_x 1
		.amdhsa_system_sgpr_workgroup_id_y 1
		.amdhsa_system_sgpr_workgroup_id_z 1
		.amdhsa_system_sgpr_workgroup_info 0
		.amdhsa_system_vgpr_workitem_id 0
		.amdhsa_next_free_vgpr 128
		.amdhsa_next_free_sgpr 40
		.amdhsa_reserve_vcc 1
		.amdhsa_reserve_flat_scratch 0
		.amdhsa_float_round_mode_32 0
		.amdhsa_float_round_mode_16_64 0
		.amdhsa_float_denorm_mode_32 3
		.amdhsa_float_denorm_mode_16_64 3
		.amdhsa_dx10_clamp 1
		.amdhsa_ieee_mode 1
		.amdhsa_fp16_overflow 0
		.amdhsa_workgroup_processor_mode 1
		.amdhsa_memory_ordered 1
		.amdhsa_forward_progress 1
		.amdhsa_shared_vgpr_count 0
		.amdhsa_exception_fp_ieee_invalid_op 0
		.amdhsa_exception_fp_denorm_src 0
		.amdhsa_exception_fp_ieee_div_zero 0
		.amdhsa_exception_fp_ieee_overflow 0
		.amdhsa_exception_fp_ieee_underflow 0
		.amdhsa_exception_fp_ieee_inexact 0
		.amdhsa_exception_int_div_zero 0
	.end_amdhsa_kernel
	.section	.text._ZN4vllm25paged_attention_v1_kernelI14__hip_bfloat16S1_Li192ELi32ELi128ELNS_18Fp8KVCacheDataTypeE0ELb0EEEvPT_PKS3_PKT0_S9_ifPKiSB_iPKfiiiSD_SD_iiiii,"axG",@progbits,_ZN4vllm25paged_attention_v1_kernelI14__hip_bfloat16S1_Li192ELi32ELi128ELNS_18Fp8KVCacheDataTypeE0ELb0EEEvPT_PKS3_PKT0_S9_ifPKiSB_iPKfiiiSD_SD_iiiii,comdat
.Lfunc_end160:
	.size	_ZN4vllm25paged_attention_v1_kernelI14__hip_bfloat16S1_Li192ELi32ELi128ELNS_18Fp8KVCacheDataTypeE0ELb0EEEvPT_PKS3_PKT0_S9_ifPKiSB_iPKfiiiSD_SD_iiiii, .Lfunc_end160-_ZN4vllm25paged_attention_v1_kernelI14__hip_bfloat16S1_Li192ELi32ELi128ELNS_18Fp8KVCacheDataTypeE0ELb0EEEvPT_PKS3_PKT0_S9_ifPKiSB_iPKfiiiSD_SD_iiiii
                                        ; -- End function
	.set _ZN4vllm25paged_attention_v1_kernelI14__hip_bfloat16S1_Li192ELi32ELi128ELNS_18Fp8KVCacheDataTypeE0ELb0EEEvPT_PKS3_PKT0_S9_ifPKiSB_iPKfiiiSD_SD_iiiii.num_vgpr, 128
	.set _ZN4vllm25paged_attention_v1_kernelI14__hip_bfloat16S1_Li192ELi32ELi128ELNS_18Fp8KVCacheDataTypeE0ELb0EEEvPT_PKS3_PKT0_S9_ifPKiSB_iPKfiiiSD_SD_iiiii.num_agpr, 0
	.set _ZN4vllm25paged_attention_v1_kernelI14__hip_bfloat16S1_Li192ELi32ELi128ELNS_18Fp8KVCacheDataTypeE0ELb0EEEvPT_PKS3_PKT0_S9_ifPKiSB_iPKfiiiSD_SD_iiiii.numbered_sgpr, 40
	.set _ZN4vllm25paged_attention_v1_kernelI14__hip_bfloat16S1_Li192ELi32ELi128ELNS_18Fp8KVCacheDataTypeE0ELb0EEEvPT_PKS3_PKT0_S9_ifPKiSB_iPKfiiiSD_SD_iiiii.num_named_barrier, 0
	.set _ZN4vllm25paged_attention_v1_kernelI14__hip_bfloat16S1_Li192ELi32ELi128ELNS_18Fp8KVCacheDataTypeE0ELb0EEEvPT_PKS3_PKT0_S9_ifPKiSB_iPKfiiiSD_SD_iiiii.private_seg_size, 584
	.set _ZN4vllm25paged_attention_v1_kernelI14__hip_bfloat16S1_Li192ELi32ELi128ELNS_18Fp8KVCacheDataTypeE0ELb0EEEvPT_PKS3_PKT0_S9_ifPKiSB_iPKfiiiSD_SD_iiiii.uses_vcc, 1
	.set _ZN4vllm25paged_attention_v1_kernelI14__hip_bfloat16S1_Li192ELi32ELi128ELNS_18Fp8KVCacheDataTypeE0ELb0EEEvPT_PKS3_PKT0_S9_ifPKiSB_iPKfiiiSD_SD_iiiii.uses_flat_scratch, 0
	.set _ZN4vllm25paged_attention_v1_kernelI14__hip_bfloat16S1_Li192ELi32ELi128ELNS_18Fp8KVCacheDataTypeE0ELb0EEEvPT_PKS3_PKT0_S9_ifPKiSB_iPKfiiiSD_SD_iiiii.has_dyn_sized_stack, 0
	.set _ZN4vllm25paged_attention_v1_kernelI14__hip_bfloat16S1_Li192ELi32ELi128ELNS_18Fp8KVCacheDataTypeE0ELb0EEEvPT_PKS3_PKT0_S9_ifPKiSB_iPKfiiiSD_SD_iiiii.has_recursion, 0
	.set _ZN4vllm25paged_attention_v1_kernelI14__hip_bfloat16S1_Li192ELi32ELi128ELNS_18Fp8KVCacheDataTypeE0ELb0EEEvPT_PKS3_PKT0_S9_ifPKiSB_iPKfiiiSD_SD_iiiii.has_indirect_call, 0
	.section	.AMDGPU.csdata,"",@progbits
; Kernel info:
; codeLenInByte = 30404
; TotalNumSgprs: 42
; NumVgprs: 128
; ScratchSize: 584
; MemoryBound: 0
; FloatMode: 240
; IeeeMode: 1
; LDSByteSize: 416 bytes/workgroup (compile time only)
; SGPRBlocks: 0
; VGPRBlocks: 15
; NumSGPRsForWavesPerEU: 42
; NumVGPRsForWavesPerEU: 128
; Occupancy: 8
; WaveLimiterHint : 1
; COMPUTE_PGM_RSRC2:SCRATCH_EN: 1
; COMPUTE_PGM_RSRC2:USER_SGPR: 6
; COMPUTE_PGM_RSRC2:TRAP_HANDLER: 0
; COMPUTE_PGM_RSRC2:TGID_X_EN: 1
; COMPUTE_PGM_RSRC2:TGID_Y_EN: 1
; COMPUTE_PGM_RSRC2:TGID_Z_EN: 1
; COMPUTE_PGM_RSRC2:TIDIG_COMP_CNT: 0
	.section	.text._ZN4vllm25paged_attention_v1_kernelI14__hip_bfloat16S1_Li256ELi32ELi128ELNS_18Fp8KVCacheDataTypeE0ELb0EEEvPT_PKS3_PKT0_S9_ifPKiSB_iPKfiiiSD_SD_iiiii,"axG",@progbits,_ZN4vllm25paged_attention_v1_kernelI14__hip_bfloat16S1_Li256ELi32ELi128ELNS_18Fp8KVCacheDataTypeE0ELb0EEEvPT_PKS3_PKT0_S9_ifPKiSB_iPKfiiiSD_SD_iiiii,comdat
	.protected	_ZN4vllm25paged_attention_v1_kernelI14__hip_bfloat16S1_Li256ELi32ELi128ELNS_18Fp8KVCacheDataTypeE0ELb0EEEvPT_PKS3_PKT0_S9_ifPKiSB_iPKfiiiSD_SD_iiiii ; -- Begin function _ZN4vllm25paged_attention_v1_kernelI14__hip_bfloat16S1_Li256ELi32ELi128ELNS_18Fp8KVCacheDataTypeE0ELb0EEEvPT_PKS3_PKT0_S9_ifPKiSB_iPKfiiiSD_SD_iiiii
	.globl	_ZN4vllm25paged_attention_v1_kernelI14__hip_bfloat16S1_Li256ELi32ELi128ELNS_18Fp8KVCacheDataTypeE0ELb0EEEvPT_PKS3_PKT0_S9_ifPKiSB_iPKfiiiSD_SD_iiiii
	.p2align	8
	.type	_ZN4vllm25paged_attention_v1_kernelI14__hip_bfloat16S1_Li256ELi32ELi128ELNS_18Fp8KVCacheDataTypeE0ELb0EEEvPT_PKS3_PKT0_S9_ifPKiSB_iPKfiiiSD_SD_iiiii,@function
_ZN4vllm25paged_attention_v1_kernelI14__hip_bfloat16S1_Li256ELi32ELi128ELNS_18Fp8KVCacheDataTypeE0ELb0EEEvPT_PKS3_PKT0_S9_ifPKiSB_iPKfiiiSD_SD_iiiii: ; @_ZN4vllm25paged_attention_v1_kernelI14__hip_bfloat16S1_Li256ELi32ELi128ELNS_18Fp8KVCacheDataTypeE0ELb0EEEvPT_PKS3_PKT0_S9_ifPKiSB_iPKfiiiSD_SD_iiiii
; %bb.0:
	s_mov_b64 s[38:39], s[2:3]
	s_mov_b64 s[36:37], s[0:1]
	s_mov_b32 s10, s7
	s_add_u32 s36, s36, s9
	s_clause 0x2
	s_load_dword s9, s[4:5], 0x80
	s_load_dwordx2 s[0:1], s[4:5], 0x30
	s_load_dwordx2 s[24:25], s[4:5], 0x20
	s_addc_u32 s37, s37, 0
	s_ashr_i32 s11, s7, 31
	v_mov_b32_e32 v58, v0
	s_lshl_b64 s[2:3], s[10:11], 2
	s_waitcnt lgkmcnt(0)
	s_add_u32 s0, s0, s2
	s_addc_u32 s1, s1, s3
	s_abs_i32 s2, s24
	s_abs_i32 s11, s9
	v_cvt_f32_u32_e32 v0, s2
	s_sub_i32 s7, 0, s2
	v_rcp_iflag_f32_e32 v0, v0
	v_mul_f32_e32 v0, 0x4f7ffffe, v0
	v_cvt_u32_f32_e32 v0, v0
	v_readfirstlane_b32 s3, v0
	s_mul_i32 s7, s7, s3
	s_mul_hi_u32 s7, s3, s7
	s_add_i32 s3, s3, s7
	s_xor_b32 s7, s9, s24
	s_mul_hi_u32 s3, s11, s3
	s_ashr_i32 s7, s7, 31
	s_mul_i32 s12, s3, s2
	s_mov_b32 s24, 0
	s_sub_i32 s11, s11, s12
	s_add_i32 s12, s3, 1
	s_sub_i32 s13, s11, s2
	s_cmp_ge_u32 s11, s2
	s_cselect_b32 s3, s12, s3
	s_cselect_b32 s11, s13, s11
	s_add_i32 s12, s3, 1
	s_cmp_ge_u32 s11, s2
	s_cselect_b32 s2, s12, s3
	s_abs_i32 s16, s6
	s_xor_b32 s2, s2, s7
	s_sub_i32 s17, s2, s7
	s_load_dwordx2 s[2:3], s[4:5], 0x40
	s_abs_i32 s22, s17
	v_cvt_f32_u32_e32 v0, s22
	s_sub_i32 s11, 0, s22
	v_rcp_iflag_f32_e32 v0, v0
	v_mul_f32_e32 v0, 0x4f7ffffe, v0
	v_cvt_u32_f32_e32 v0, v0
	v_readfirstlane_b32 s7, v0
	s_mul_i32 s11, s11, s7
	s_mul_hi_u32 s11, s7, s11
	s_add_i32 s7, s7, s11
	s_waitcnt lgkmcnt(0)
	s_cmp_eq_u64 s[2:3], 0
	s_mul_hi_u32 s23, s16, s7
	s_cbranch_scc1 .LBB161_2
; %bb.1:
	s_ashr_i32 s7, s6, 31
	s_lshl_b64 s[12:13], s[6:7], 2
	s_add_u32 s2, s2, s12
	s_addc_u32 s3, s3, s13
	s_load_dword s24, s[2:3], 0x0
.LBB161_2:
	s_load_dword s11, s[0:1], 0x0
	s_clause 0x1
	s_load_dwordx2 s[18:19], s[4:5], 0x28
	s_load_dwordx4 s[12:15], s[4:5], 0x48
	v_cmp_gt_u32_e64 s0, 32, v58
	s_ashr_i32 s1, s6, 31
	s_ashr_i32 s2, s17, 31
	s_lshl_b32 s6, s6, 8
	s_and_saveexec_b32 s3, s0
	s_cbranch_execz .LBB161_4
; %bb.3:
	s_load_dwordx2 s[20:21], s[4:5], 0x8
	s_waitcnt lgkmcnt(0)
	s_mul_i32 s26, s12, s10
	v_lshlrev_b32_e32 v4, 4, v58
	s_ashr_i32 s27, s26, 31
	s_lshl_b64 s[26:27], s[26:27], 1
	s_add_u32 s12, s20, s26
	s_addc_u32 s15, s21, s27
	s_ashr_i32 s7, s6, 31
	s_lshl_b64 s[20:21], s[6:7], 1
	s_add_u32 s20, s12, s20
	s_addc_u32 s21, s15, s21
	global_load_dwordx4 v[0:3], v4, s[20:21]
	s_waitcnt vmcnt(0)
	ds_write_b128 v4, v[0:3]
.LBB161_4:
	s_or_b32 exec_lo, exec_lo, s3
	s_waitcnt lgkmcnt(0)
	s_add_i32 s3, s11, 31
	s_load_dword s15, s[4:5], 0x38
	s_ashr_i32 s7, s3, 31
	s_xor_b32 s1, s1, s2
	s_lshr_b32 s2, s7, 27
	s_mul_i32 s7, s23, s22
	s_add_i32 s3, s3, s2
	s_sub_i32 s2, s16, s7
	s_clause 0x2
	s_load_dwordx2 s[16:17], s[4:5], 0x0
	s_load_dwordx2 s[20:21], s[4:5], 0x18
	s_load_dword s7, s[4:5], 0x88
	s_ashr_i32 s12, s3, 5
	s_add_i32 s3, s23, 1
	s_sub_i32 s26, s2, s22
	s_cmp_ge_u32 s2, s22
	v_lshrrev_b32_e32 v0, 5, v58
	s_cselect_b32 s3, s3, s23
	s_cselect_b32 s2, s26, s2
	s_add_i32 s23, s3, 1
	s_cmp_ge_u32 s2, s22
	v_and_b32_e32 v59, 31, v58
	s_cselect_b32 s2, s23, s3
	v_mov_b32_e32 v45, 0xff7fffff
	s_xor_b32 s2, s2, s1
	v_lshrrev_b32_e32 v26, 3, v58
	s_sub_i32 s2, s2, s1
	v_cmp_gt_i32_e64 s1, s12, v0
	v_lshlrev_b32_e32 v25, 2, v59
	s_waitcnt lgkmcnt(0)
	s_mul_i32 s22, s15, s10
	s_mul_i32 s14, s2, s14
	s_ashr_i32 s23, s22, 31
	buffer_store_dword v0, off, s[36:39], 0 offset:888 ; 4-byte Folded Spill
	s_barrier
	s_waitcnt_vscnt null, 0x0
	buffer_gl0_inv
	s_mov_b32 s26, exec_lo
	s_and_b32 s2, s26, s1
	buffer_store_dword v58, off, s[36:39], 0 offset:892 ; 4-byte Folded Spill
	buffer_store_dword v59, off, s[36:39], 0 offset:896 ; 4-byte Folded Spill
	s_mov_b32 exec_lo, s2
	s_cbranch_execz .LBB161_8
; %bb.5:
	v_mov_b32_e32 v0, 0
	s_load_dwordx2 s[2:3], s[4:5], 0x10
	s_ashr_i32 s15, s14, 31
	v_cmp_neq_f32_e64 vcc_lo, s24, 0
	s_lshl_b64 s[28:29], s[14:15], 1
	ds_read_b128 v[1:4], v0
	ds_read_b128 v[5:8], v0 offset:16
	ds_read_b128 v[9:12], v0 offset:32
	;; [unrolled: 1-line block ×5, first 2 shown]
	v_mov_b32_e32 v45, 0xff7fffff
	s_mov_b32 s4, s13
	s_mov_b32 s5, 0
	s_waitcnt lgkmcnt(0)
	v_and_b32_e32 v27, 0xffff0000, v1
	v_lshlrev_b32_e32 v1, 16, v1
	s_add_u32 s27, s2, s28
	s_addc_u32 s28, s3, s29
	s_lshl_b64 s[2:3], s[22:23], 2
	buffer_store_dword v27, off, s[36:39], 0 ; 4-byte Folded Spill
	buffer_store_dword v1, off, s[36:39], 0 offset:16 ; 4-byte Folded Spill
	v_and_b32_e32 v1, 0xffff0000, v5
	s_sub_i32 s15, 1, s11
	s_add_u32 s2, s18, s2
	s_addc_u32 s3, s19, s3
	buffer_store_dword v1, off, s[36:39], 0 offset:32 ; 4-byte Folded Spill
	v_lshlrev_b32_e32 v1, 16, v5
	v_lshlrev_b32_e32 v5, 16, v11
	buffer_store_dword v1, off, s[36:39], 0 offset:48 ; 4-byte Folded Spill
	v_and_b32_e32 v1, 0xffff0000, v9
	buffer_store_dword v5, off, s[36:39], 0 offset:192 ; 4-byte Folded Spill
	v_and_b32_e32 v5, 0xffff0000, v12
	buffer_store_dword v1, off, s[36:39], 0 offset:64 ; 4-byte Folded Spill
	v_lshlrev_b32_e32 v1, 16, v9
	v_and_b32_e32 v9, 0xffff0000, v19
	buffer_store_dword v5, off, s[36:39], 0 offset:196 ; 4-byte Folded Spill
	v_lshlrev_b32_e32 v5, 16, v12
	buffer_store_dword v1, off, s[36:39], 0 offset:80 ; 4-byte Folded Spill
	v_and_b32_e32 v1, 0xffff0000, v13
	buffer_store_dword v9, off, s[36:39], 0 offset:220 ; 4-byte Folded Spill
	v_lshlrev_b32_e32 v9, 16, v19
	buffer_store_dword v5, off, s[36:39], 0 offset:200 ; 4-byte Folded Spill
	;; [unrolled: 4-line block ×6, first 2 shown]
	v_lshlrev_b32_e32 v9, 16, v21
	buffer_store_dword v5, off, s[36:39], 0 offset:212 ; 4-byte Folded Spill
	v_lshlrev_b32_e32 v5, 16, v16
	buffer_store_dword v1, off, s[36:39], 0 offset:108 ; 4-byte Folded Spill
	v_and_b32_e32 v1, 0xffff0000, v21
	buffer_store_dword v9, off, s[36:39], 0 offset:240 ; 4-byte Folded Spill
	v_and_b32_e32 v9, 0xffff0000, v22
	buffer_store_dword v5, off, s[36:39], 0 offset:216 ; 4-byte Folded Spill
	buffer_store_dword v1, off, s[36:39], 0 offset:112 ; 4-byte Folded Spill
	v_and_b32_e32 v1, 0xffff0000, v2
	buffer_store_dword v9, off, s[36:39], 0 offset:244 ; 4-byte Folded Spill
	v_lshlrev_b32_e32 v9, 16, v22
	buffer_store_dword v1, off, s[36:39], 0 offset:116 ; 4-byte Folded Spill
	v_lshlrev_b32_e32 v1, 16, v2
	buffer_store_dword v9, off, s[36:39], 0 offset:248 ; 4-byte Folded Spill
	v_and_b32_e32 v9, 0xffff0000, v23
	buffer_store_dword v1, off, s[36:39], 0 offset:120 ; 4-byte Folded Spill
	v_and_b32_e32 v1, 0xffff0000, v6
	buffer_store_dword v9, off, s[36:39], 0 offset:252 ; 4-byte Folded Spill
	v_lshlrev_b32_e32 v9, 16, v23
	buffer_store_dword v1, off, s[36:39], 0 offset:124 ; 4-byte Folded Spill
	v_lshlrev_b32_e32 v1, 16, v6
	buffer_store_dword v9, off, s[36:39], 0 offset:256 ; 4-byte Folded Spill
	v_and_b32_e32 v9, 0xffff0000, v24
	buffer_store_dword v1, off, s[36:39], 0 offset:128 ; 4-byte Folded Spill
	v_and_b32_e32 v1, 0xffff0000, v10
	buffer_store_dword v9, off, s[36:39], 0 offset:260 ; 4-byte Folded Spill
	v_lshlrev_b32_e32 v9, 16, v24
	buffer_store_dword v1, off, s[36:39], 0 offset:132 ; 4-byte Folded Spill
	v_lshlrev_b32_e32 v1, 16, v10
	buffer_store_dword v9, off, s[36:39], 0 offset:264 ; 4-byte Folded Spill
	buffer_store_dword v1, off, s[36:39], 0 offset:136 ; 4-byte Folded Spill
	v_and_b32_e32 v1, 0xffff0000, v14
	buffer_store_dword v1, off, s[36:39], 0 offset:140 ; 4-byte Folded Spill
	v_lshlrev_b32_e32 v1, 16, v14
	buffer_store_dword v1, off, s[36:39], 0 offset:144 ; 4-byte Folded Spill
	v_and_b32_e32 v1, 0xffff0000, v18
	buffer_store_dword v1, off, s[36:39], 0 offset:148 ; 4-byte Folded Spill
	v_lshlrev_b32_e32 v1, 16, v18
	;; [unrolled: 4-line block ×6, first 2 shown]
	ds_read_b128 v[5:8], v0 offset:112
	buffer_store_dword v1, off, s[36:39], 0 offset:184 ; 4-byte Folded Spill
	v_and_b32_e32 v1, 0xffff0000, v11
	buffer_store_dword v1, off, s[36:39], 0 offset:188 ; 4-byte Folded Spill
	ds_read_b128 v[1:4], v0 offset:96
	s_waitcnt lgkmcnt(0)
	v_and_b32_e32 v9, 0xffff0000, v1
	v_lshlrev_b32_e32 v1, 16, v1
	buffer_store_dword v9, off, s[36:39], 0 offset:268 ; 4-byte Folded Spill
	buffer_store_dword v1, off, s[36:39], 0 offset:272 ; 4-byte Folded Spill
	v_and_b32_e32 v1, 0xffff0000, v2
	buffer_store_dword v1, off, s[36:39], 0 offset:276 ; 4-byte Folded Spill
	v_lshlrev_b32_e32 v1, 16, v2
	buffer_store_dword v1, off, s[36:39], 0 offset:280 ; 4-byte Folded Spill
	v_and_b32_e32 v1, 0xffff0000, v3
	buffer_store_dword v1, off, s[36:39], 0 offset:284 ; 4-byte Folded Spill
	v_lshlrev_b32_e32 v1, 16, v3
	;; [unrolled: 4-line block ×3, first 2 shown]
	buffer_store_dword v1, off, s[36:39], 0 offset:296 ; 4-byte Folded Spill
	v_and_b32_e32 v1, 0xffff0000, v5
	v_lshlrev_b32_e32 v5, 16, v5
	buffer_store_dword v1, off, s[36:39], 0 offset:300 ; 4-byte Folded Spill
	buffer_store_dword v5, off, s[36:39], 0 offset:304 ; 4-byte Folded Spill
	v_and_b32_e32 v5, 0xffff0000, v6
	ds_read_b128 v[1:4], v0 offset:128
	buffer_store_dword v5, off, s[36:39], 0 offset:308 ; 4-byte Folded Spill
	v_lshlrev_b32_e32 v5, 16, v6
	buffer_store_dword v5, off, s[36:39], 0 offset:312 ; 4-byte Folded Spill
	v_and_b32_e32 v5, 0xffff0000, v7
	buffer_store_dword v5, off, s[36:39], 0 offset:316 ; 4-byte Folded Spill
	v_lshlrev_b32_e32 v5, 16, v7
	buffer_store_dword v5, off, s[36:39], 0 offset:320 ; 4-byte Folded Spill
	v_and_b32_e32 v5, 0xffff0000, v8
	buffer_store_dword v5, off, s[36:39], 0 offset:324 ; 4-byte Folded Spill
	v_lshlrev_b32_e32 v5, 16, v8
	buffer_store_dword v5, off, s[36:39], 0 offset:328 ; 4-byte Folded Spill
	ds_read_b128 v[5:8], v0 offset:144
	s_waitcnt lgkmcnt(1)
	v_and_b32_e32 v9, 0xffff0000, v1
	v_lshlrev_b32_e32 v1, 16, v1
	buffer_store_dword v9, off, s[36:39], 0 offset:332 ; 4-byte Folded Spill
	buffer_store_dword v1, off, s[36:39], 0 offset:336 ; 4-byte Folded Spill
	v_and_b32_e32 v1, 0xffff0000, v2
	buffer_store_dword v1, off, s[36:39], 0 offset:340 ; 4-byte Folded Spill
	v_lshlrev_b32_e32 v1, 16, v2
	buffer_store_dword v1, off, s[36:39], 0 offset:344 ; 4-byte Folded Spill
	v_and_b32_e32 v1, 0xffff0000, v3
	buffer_store_dword v1, off, s[36:39], 0 offset:348 ; 4-byte Folded Spill
	v_lshlrev_b32_e32 v1, 16, v3
	buffer_store_dword v1, off, s[36:39], 0 offset:352 ; 4-byte Folded Spill
	v_and_b32_e32 v1, 0xffff0000, v4
	buffer_store_dword v1, off, s[36:39], 0 offset:356 ; 4-byte Folded Spill
	v_lshlrev_b32_e32 v1, 16, v4
	buffer_store_dword v1, off, s[36:39], 0 offset:360 ; 4-byte Folded Spill
	s_waitcnt lgkmcnt(0)
	v_and_b32_e32 v1, 0xffff0000, v5
	buffer_store_dword v1, off, s[36:39], 0 offset:364 ; 4-byte Folded Spill
	v_lshlrev_b32_e32 v1, 16, v5
	buffer_store_dword v1, off, s[36:39], 0 offset:368 ; 4-byte Folded Spill
	v_and_b32_e32 v1, 0xffff0000, v6
	buffer_store_dword v1, off, s[36:39], 0 offset:372 ; 4-byte Folded Spill
	v_lshlrev_b32_e32 v1, 16, v6
	buffer_store_dword v1, off, s[36:39], 0 offset:376 ; 4-byte Folded Spill
	v_and_b32_e32 v1, 0xffff0000, v7
	buffer_store_dword v1, off, s[36:39], 0 offset:380 ; 4-byte Folded Spill
	v_lshlrev_b32_e32 v1, 16, v7
	buffer_store_dword v1, off, s[36:39], 0 offset:384 ; 4-byte Folded Spill
	v_and_b32_e32 v1, 0xffff0000, v8
	buffer_store_dword v1, off, s[36:39], 0 offset:388 ; 4-byte Folded Spill
	v_lshlrev_b32_e32 v1, 16, v8
	buffer_store_dword v1, off, s[36:39], 0 offset:392 ; 4-byte Folded Spill
	ds_read_b128 v[1:4], v0 offset:160
	ds_read_b128 v[5:8], v0 offset:176
	s_waitcnt lgkmcnt(1)
	v_and_b32_e32 v9, 0xffff0000, v1
	v_lshlrev_b32_e32 v1, 16, v1
	buffer_store_dword v9, off, s[36:39], 0 offset:396 ; 4-byte Folded Spill
	buffer_store_dword v1, off, s[36:39], 0 offset:400 ; 4-byte Folded Spill
	v_and_b32_e32 v1, 0xffff0000, v2
	buffer_store_dword v1, off, s[36:39], 0 offset:404 ; 4-byte Folded Spill
	v_lshlrev_b32_e32 v1, 16, v2
	buffer_store_dword v1, off, s[36:39], 0 offset:408 ; 4-byte Folded Spill
	v_and_b32_e32 v1, 0xffff0000, v3
	buffer_store_dword v1, off, s[36:39], 0 offset:412 ; 4-byte Folded Spill
	v_lshlrev_b32_e32 v1, 16, v3
	buffer_store_dword v1, off, s[36:39], 0 offset:416 ; 4-byte Folded Spill
	v_and_b32_e32 v1, 0xffff0000, v4
	buffer_store_dword v1, off, s[36:39], 0 offset:420 ; 4-byte Folded Spill
	v_lshlrev_b32_e32 v1, 16, v4
	buffer_store_dword v1, off, s[36:39], 0 offset:424 ; 4-byte Folded Spill
	s_waitcnt lgkmcnt(0)
	v_and_b32_e32 v1, 0xffff0000, v5
	buffer_store_dword v1, off, s[36:39], 0 offset:428 ; 4-byte Folded Spill
	v_lshlrev_b32_e32 v1, 16, v5
	buffer_store_dword v1, off, s[36:39], 0 offset:432 ; 4-byte Folded Spill
	v_and_b32_e32 v1, 0xffff0000, v6
	buffer_store_dword v1, off, s[36:39], 0 offset:436 ; 4-byte Folded Spill
	v_lshlrev_b32_e32 v1, 16, v6
	buffer_store_dword v1, off, s[36:39], 0 offset:440 ; 4-byte Folded Spill
	v_and_b32_e32 v1, 0xffff0000, v7
	buffer_store_dword v1, off, s[36:39], 0 offset:444 ; 4-byte Folded Spill
	v_lshlrev_b32_e32 v1, 16, v7
	buffer_store_dword v1, off, s[36:39], 0 offset:448 ; 4-byte Folded Spill
	v_and_b32_e32 v1, 0xffff0000, v8
	buffer_store_dword v1, off, s[36:39], 0 offset:452 ; 4-byte Folded Spill
	v_lshlrev_b32_e32 v1, 16, v8
	buffer_store_dword v1, off, s[36:39], 0 offset:456 ; 4-byte Folded Spill
	ds_read_b128 v[1:4], v0 offset:192
	;; [unrolled: 36-line block ×8, first 2 shown]
	ds_read_b128 v[5:8], v0 offset:400
	s_waitcnt lgkmcnt(1)
	v_and_b32_e32 v9, 0xffff0000, v1
	v_lshlrev_b32_e32 v1, 16, v1
	s_waitcnt lgkmcnt(0)
	v_lshlrev_b32_e32 v81, 16, v6
	v_and_b32_e32 v82, 0xffff0000, v7
	v_lshlrev_b32_e32 v83, 16, v7
	buffer_store_dword v9, off, s[36:39], 0 offset:844 ; 4-byte Folded Spill
	buffer_store_dword v1, off, s[36:39], 0 offset:848 ; 4-byte Folded Spill
	v_and_b32_e32 v1, 0xffff0000, v2
	v_and_b32_e32 v84, 0xffff0000, v8
	v_lshlrev_b32_e32 v85, 16, v8
	buffer_store_dword v1, off, s[36:39], 0 offset:852 ; 4-byte Folded Spill
	v_lshlrev_b32_e32 v1, 16, v2
	buffer_store_dword v1, off, s[36:39], 0 offset:856 ; 4-byte Folded Spill
	v_and_b32_e32 v1, 0xffff0000, v3
	buffer_store_dword v1, off, s[36:39], 0 offset:860 ; 4-byte Folded Spill
	v_lshlrev_b32_e32 v1, 16, v3
	buffer_store_dword v1, off, s[36:39], 0 offset:864 ; 4-byte Folded Spill
	v_and_b32_e32 v1, 0xffff0000, v4
	;; [unrolled: 4-line block ×4, first 2 shown]
	buffer_store_dword v1, off, s[36:39], 0 offset:884 ; 4-byte Folded Spill
	ds_read_b128 v[1:4], v0 offset:416
	ds_read_b128 v[5:8], v0 offset:432
	s_waitcnt lgkmcnt(1)
	v_and_b32_e32 v86, 0xffff0000, v1
	v_lshlrev_b32_e32 v87, 16, v1
	v_and_b32_e32 v88, 0xffff0000, v2
	v_lshlrev_b32_e32 v89, 16, v2
	;; [unrolled: 2-line block ×4, first 2 shown]
	s_waitcnt lgkmcnt(0)
	v_and_b32_e32 v94, 0xffff0000, v5
	v_lshlrev_b32_e32 v95, 16, v5
	v_and_b32_e32 v96, 0xffff0000, v6
	v_lshlrev_b32_e32 v97, 16, v6
	;; [unrolled: 2-line block ×4, first 2 shown]
	ds_read_b128 v[1:4], v0 offset:448
	ds_read_b128 v[5:8], v0 offset:464
	s_waitcnt lgkmcnt(1)
	v_and_b32_e32 v102, 0xffff0000, v1
	v_lshlrev_b32_e32 v103, 16, v1
	v_and_b32_e32 v104, 0xffff0000, v2
	v_lshlrev_b32_e32 v105, 16, v2
	;; [unrolled: 2-line block ×4, first 2 shown]
	s_waitcnt lgkmcnt(0)
	v_and_b32_e32 v110, 0xffff0000, v5
	v_lshlrev_b32_e32 v111, 16, v5
	v_and_b32_e32 v112, 0xffff0000, v6
	v_lshlrev_b32_e32 v113, 16, v6
	;; [unrolled: 2-line block ×4, first 2 shown]
	ds_read_b128 v[1:4], v0 offset:480
	ds_read_b128 v[5:8], v0 offset:496
	buffer_load_dword v55, off, s[36:39], 0 offset:888 ; 4-byte Folded Reload
	buffer_store_dword v25, off, s[36:39], 0 offset:904 ; 4-byte Folded Spill
	buffer_store_dword v26, off, s[36:39], 0 offset:900 ; 4-byte Folded Spill
	s_waitcnt lgkmcnt(1)
	v_and_b32_e32 v118, 0xffff0000, v1
	v_lshlrev_b32_e32 v119, 16, v1
	v_and_b32_e32 v120, 0xffff0000, v2
	v_lshlrev_b32_e32 v121, 16, v2
	;; [unrolled: 2-line block ×4, first 2 shown]
	s_waitcnt lgkmcnt(0)
	v_and_b32_e32 v126, 0xffff0000, v5
	v_lshlrev_b32_e32 v127, 16, v5
	v_and_b32_e32 v0, 0xffff0000, v6
	v_lshlrev_b32_e32 v46, 16, v6
	;; [unrolled: 2-line block ×4, first 2 shown]
	s_waitcnt vmcnt(0)
	v_lshl_or_b32 v1, v55, 7, v25
	v_lshl_or_b32 v54, v55, 5, v59
	v_add_nc_u32_e32 v51, 0x220, v1
	v_and_b32_e32 v1, 0x7c, v26
	v_add_co_u32 v41, s2, s2, v1
	v_lshlrev_b32_e32 v1, 4, v59
	v_add_co_ci_u32_e64 v42, null, s3, 0, s2
	v_add_co_u32 v52, s2, s27, v1
	v_add_co_ci_u32_e64 v53, null, s28, 0, s2
.LBB161_6:                              ; =>This Inner Loop Header: Depth=1
	global_load_dword v1, v[41:42], off
	v_add_nc_u32_e32 v55, 4, v55
	s_waitcnt vmcnt(0)
	v_mad_i64_i32 v[1:2], null, v1, s4, 0
	v_lshlrev_b64 v[1:2], 1, v[1:2]
	v_add_co_u32 v43, s2, v52, v1
	v_add_nc_u32_e32 v1, s15, v54
	v_add_co_ci_u32_e64 v44, null, v53, v2, s2
	v_cmp_gt_i32_e64 s2, s11, v54
	v_add_nc_u32_e32 v54, 0x80, v54
	v_cvt_f32_i32_e32 v1, v1
	s_clause 0x3
	global_load_dwordx4 v[33:36], v[43:44], off
	global_load_dwordx4 v[29:32], v[43:44], off offset:512
	global_load_dwordx4 v[25:28], v[43:44], off offset:1024
	;; [unrolled: 1-line block ×3, first 2 shown]
	v_mul_f32_e32 v1, s24, v1
	v_cndmask_b32_e32 v56, 0, v1, vcc_lo
	v_add_co_u32 v1, s3, 0x800, v43
	v_add_co_ci_u32_e64 v2, null, 0, v44, s3
	v_add_co_u32 v3, s3, v43, 0x1000
	v_add_co_ci_u32_e64 v4, null, 0, v44, s3
	s_clause 0x3
	global_load_dwordx4 v[17:20], v[3:4], off offset:-2048
	global_load_dwordx4 v[13:16], v[1:2], off offset:512
	global_load_dwordx4 v[9:12], v[1:2], off offset:1024
	;; [unrolled: 1-line block ×3, first 2 shown]
	buffer_load_dword v57, off, s[36:39], 0 offset:48 ; 4-byte Folded Reload
	global_load_dwordx4 v[1:4], v[3:4], off
	v_add_co_u32 v37, s3, 0x1000, v43
	v_add_co_ci_u32_e64 v38, null, 0, v44, s3
	s_waitcnt vmcnt(9)
	v_lshlrev_b32_e32 v39, 16, v33
	s_waitcnt vmcnt(8)
	v_and_b32_e32 v40, 0xffff0000, v29
	v_lshlrev_b32_e32 v29, 16, v29
	v_and_b32_e32 v33, 0xffff0000, v33
	s_waitcnt vmcnt(1)
	v_mul_f32_e32 v57, v57, v29
	buffer_load_dword v29, off, s[36:39], 0 offset:32 ; 4-byte Folded Reload
	s_waitcnt vmcnt(0)
	v_mul_f32_e32 v58, v29, v40
	buffer_load_dword v29, off, s[36:39], 0 ; 4-byte Folded Reload
	s_waitcnt vmcnt(0)
	v_fmac_f32_e32 v58, v29, v33
	s_clause 0x1
	buffer_load_dword v29, off, s[36:39], 0 offset:16
	buffer_load_dword v33, off, s[36:39], 0 offset:80
	s_waitcnt vmcnt(1)
	v_fmac_f32_e32 v57, v29, v39
	v_and_b32_e32 v29, 0xffff0000, v25
	v_lshlrev_b32_e32 v25, 16, v25
	s_waitcnt vmcnt(0)
	v_fmac_f32_e32 v57, v33, v25
	buffer_load_dword v25, off, s[36:39], 0 offset:64 ; 4-byte Folded Reload
	s_waitcnt vmcnt(0)
	v_fmac_f32_e32 v58, v25, v29
	buffer_load_dword v29, off, s[36:39], 0 offset:96 ; 4-byte Folded Reload
	v_lshlrev_b32_e32 v25, 16, v21
	v_and_b32_e32 v21, 0xffff0000, v21
	s_waitcnt vmcnt(0)
	v_fmac_f32_e32 v58, v29, v21
	buffer_load_dword v21, off, s[36:39], 0 offset:100 ; 4-byte Folded Reload
	s_waitcnt vmcnt(0)
	v_fmac_f32_e32 v57, v21, v25
	buffer_load_dword v25, off, s[36:39], 0 offset:108 ; 4-byte Folded Reload
	v_and_b32_e32 v21, 0xffff0000, v17
	v_lshlrev_b32_e32 v17, 16, v17
	s_waitcnt vmcnt(0)
	v_fmac_f32_e32 v57, v25, v17
	buffer_load_dword v17, off, s[36:39], 0 offset:104 ; 4-byte Folded Reload
	s_waitcnt vmcnt(0)
	v_fmac_f32_e32 v58, v17, v21
	buffer_load_dword v21, off, s[36:39], 0 offset:112 ; 4-byte Folded Reload
	v_lshlrev_b32_e32 v17, 16, v13
	v_and_b32_e32 v13, 0xffff0000, v13
	s_waitcnt vmcnt(0)
	v_fmac_f32_e32 v58, v21, v13
	buffer_load_dword v13, off, s[36:39], 0 offset:240 ; 4-byte Folded Reload
	s_waitcnt vmcnt(0)
	v_fmac_f32_e32 v57, v13, v17
	buffer_load_dword v17, off, s[36:39], 0 offset:272 ; 4-byte Folded Reload
	v_and_b32_e32 v13, 0xffff0000, v9
	v_lshlrev_b32_e32 v9, 16, v9
	s_waitcnt vmcnt(0)
	v_fmac_f32_e32 v57, v17, v9
	s_clause 0x1
	buffer_load_dword v9, off, s[36:39], 0 offset:268
	buffer_load_dword v17, off, s[36:39], 0 offset:128
	s_waitcnt vmcnt(1)
	v_fmac_f32_e32 v58, v9, v13
	buffer_load_dword v13, off, s[36:39], 0 offset:300 ; 4-byte Folded Reload
	v_lshlrev_b32_e32 v9, 16, v5
	v_and_b32_e32 v5, 0xffff0000, v5
	s_waitcnt vmcnt(0)
	v_fmac_f32_e32 v58, v13, v5
	buffer_load_dword v5, off, s[36:39], 0 offset:304 ; 4-byte Folded Reload
	v_lshlrev_b32_e32 v13, 16, v30
	v_mul_f32_e32 v59, v17, v13
	buffer_load_dword v13, off, s[36:39], 0 offset:124 ; 4-byte Folded Reload
	s_waitcnt vmcnt(1)
	v_fmac_f32_e32 v57, v5, v9
	buffer_load_dword v9, off, s[36:39], 0 offset:336 ; 4-byte Folded Reload
	v_and_b32_e32 v5, 0xffff0000, v1
	v_lshlrev_b32_e32 v1, 16, v1
	s_waitcnt vmcnt(0)
	v_fmac_f32_e32 v57, v9, v1
	buffer_load_dword v1, off, s[36:39], 0 offset:332 ; 4-byte Folded Reload
	v_and_b32_e32 v9, 0xffff0000, v30
	v_mul_f32_e32 v60, v13, v9
	buffer_load_dword v9, off, s[36:39], 0 offset:116 ; 4-byte Folded Reload
	s_waitcnt vmcnt(1)
	v_fmac_f32_e32 v58, v1, v5
	v_and_b32_e32 v5, 0xffff0000, v34
	v_lshlrev_b32_e32 v1, 16, v34
	s_waitcnt vmcnt(0)
	v_fmac_f32_e32 v60, v9, v5
	s_clause 0x1
	buffer_load_dword v5, off, s[36:39], 0 offset:120
	buffer_load_dword v9, off, s[36:39], 0 offset:136
	s_waitcnt vmcnt(1)
	v_fmac_f32_e32 v59, v5, v1
	v_lshlrev_b32_e32 v5, 16, v26
	v_and_b32_e32 v1, 0xffff0000, v26
	s_waitcnt vmcnt(0)
	v_fmac_f32_e32 v59, v9, v5
	s_clause 0x1
	buffer_load_dword v5, off, s[36:39], 0 offset:132
	buffer_load_dword v9, off, s[36:39], 0 offset:140
	s_waitcnt vmcnt(1)
	v_fmac_f32_e32 v60, v5, v1
	v_and_b32_e32 v5, 0xffff0000, v22
	v_lshlrev_b32_e32 v1, 16, v22
	s_waitcnt vmcnt(0)
	v_fmac_f32_e32 v60, v9, v5
	s_clause 0x1
	buffer_load_dword v5, off, s[36:39], 0 offset:144
	buffer_load_dword v9, off, s[36:39], 0 offset:152
	s_waitcnt vmcnt(1)
	v_fmac_f32_e32 v59, v5, v1
	v_lshlrev_b32_e32 v5, 16, v18
	v_and_b32_e32 v1, 0xffff0000, v18
	s_waitcnt vmcnt(0)
	v_fmac_f32_e32 v59, v9, v5
	s_clause 0x1
	buffer_load_dword v5, off, s[36:39], 0 offset:148
	buffer_load_dword v9, off, s[36:39], 0 offset:244
	;; [unrolled: 18-line block ×3, first 2 shown]
	s_waitcnt vmcnt(1)
	v_fmac_f32_e32 v60, v5, v1
	v_lshlrev_b32_e32 v1, 16, v6
	v_and_b32_e32 v5, 0xffff0000, v6
	buffer_load_dword v6, off, s[36:39], 0 offset:308 ; 4-byte Folded Reload
	s_waitcnt vmcnt(0)
	v_fmac_f32_e32 v60, v6, v5
	buffer_load_dword v5, off, s[36:39], 0 offset:312 ; 4-byte Folded Reload
	v_lshlrev_b32_e32 v6, 16, v31
	v_mul_f32_e32 v61, v9, v6
	buffer_load_dword v6, off, s[36:39], 0 offset:172 ; 4-byte Folded Reload
	s_waitcnt vmcnt(1)
	v_fmac_f32_e32 v59, v5, v1
	buffer_load_dword v5, off, s[36:39], 0 offset:344 ; 4-byte Folded Reload
	v_and_b32_e32 v1, 0xffff0000, v2
	v_lshlrev_b32_e32 v2, 16, v2
	s_waitcnt vmcnt(0)
	v_fmac_f32_e32 v59, v5, v2
	buffer_load_dword v2, off, s[36:39], 0 offset:340 ; 4-byte Folded Reload
	v_and_b32_e32 v5, 0xffff0000, v31
	v_mul_f32_e32 v62, v6, v5
	s_clause 0x1
	buffer_load_dword v5, off, s[36:39], 0 offset:156
	buffer_load_dword v6, off, s[36:39], 0 offset:184
	s_waitcnt vmcnt(2)
	v_fmac_f32_e32 v60, v2, v1
	v_and_b32_e32 v2, 0xffff0000, v35
	v_lshlrev_b32_e32 v1, 16, v35
	s_waitcnt vmcnt(1)
	v_fmac_f32_e32 v62, v5, v2
	s_clause 0x1
	buffer_load_dword v2, off, s[36:39], 0 offset:160
	buffer_load_dword v5, off, s[36:39], 0 offset:192
	s_waitcnt vmcnt(1)
	v_fmac_f32_e32 v61, v2, v1
	v_lshlrev_b32_e32 v2, 16, v27
	v_and_b32_e32 v1, 0xffff0000, v27
	s_waitcnt vmcnt(0)
	v_fmac_f32_e32 v61, v5, v2
	s_clause 0x1
	buffer_load_dword v2, off, s[36:39], 0 offset:188
	buffer_load_dword v5, off, s[36:39], 0 offset:204
	s_waitcnt vmcnt(1)
	v_fmac_f32_e32 v62, v2, v1
	v_and_b32_e32 v2, 0xffff0000, v23
	v_lshlrev_b32_e32 v1, 16, v23
	s_waitcnt vmcnt(0)
	v_fmac_f32_e32 v62, v5, v2
	s_clause 0x1
	buffer_load_dword v2, off, s[36:39], 0 offset:208
	buffer_load_dword v5, off, s[36:39], 0 offset:224
	s_waitcnt vmcnt(1)
	v_fmac_f32_e32 v61, v2, v1
	v_lshlrev_b32_e32 v2, 16, v19
	v_and_b32_e32 v1, 0xffff0000, v19
	s_waitcnt vmcnt(0)
	v_fmac_f32_e32 v61, v5, v2
	;; [unrolled: 18-line block ×3, first 2 shown]
	s_clause 0x1
	buffer_load_dword v2, off, s[36:39], 0 offset:284
	buffer_load_dword v5, off, s[36:39], 0 offset:316
	s_waitcnt vmcnt(1)
	v_fmac_f32_e32 v62, v2, v1
	v_and_b32_e32 v2, 0xffff0000, v7
	v_lshlrev_b32_e32 v1, 16, v7
	s_waitcnt vmcnt(0)
	v_fmac_f32_e32 v62, v5, v2
	buffer_load_dword v2, off, s[36:39], 0 offset:320 ; 4-byte Folded Reload
	v_lshlrev_b32_e32 v5, 16, v32
	v_mul_f32_e32 v63, v6, v5
	buffer_load_dword v5, off, s[36:39], 0 offset:180 ; 4-byte Folded Reload
	s_waitcnt vmcnt(1)
	v_fmac_f32_e32 v61, v2, v1
	v_and_b32_e32 v1, 0xffff0000, v3
	v_lshlrev_b32_e32 v2, 16, v3
	buffer_load_dword v3, off, s[36:39], 0 offset:352 ; 4-byte Folded Reload
	s_waitcnt vmcnt(0)
	v_fmac_f32_e32 v61, v3, v2
	buffer_load_dword v2, off, s[36:39], 0 offset:348 ; 4-byte Folded Reload
	v_and_b32_e32 v3, 0xffff0000, v32
	v_mul_f32_e32 v64, v5, v3
	buffer_load_dword v3, off, s[36:39], 0 offset:164 ; 4-byte Folded Reload
	s_waitcnt vmcnt(1)
	v_fmac_f32_e32 v62, v2, v1
	v_and_b32_e32 v2, 0xffff0000, v36
	v_lshlrev_b32_e32 v1, 16, v36
	global_load_dwordx4 v[33:36], v[37:38], off offset:1536
	s_waitcnt vmcnt(1)
	v_fmac_f32_e32 v64, v3, v2
	s_clause 0x1
	buffer_load_dword v2, off, s[36:39], 0 offset:168
	buffer_load_dword v3, off, s[36:39], 0 offset:200
	s_waitcnt vmcnt(1)
	v_fmac_f32_e32 v63, v2, v1
	v_lshlrev_b32_e32 v2, 16, v28
	v_and_b32_e32 v1, 0xffff0000, v28
	s_waitcnt vmcnt(0)
	v_fmac_f32_e32 v63, v3, v2
	s_clause 0x1
	buffer_load_dword v2, off, s[36:39], 0 offset:196
	buffer_load_dword v3, off, s[36:39], 0 offset:212
	s_waitcnt vmcnt(1)
	v_fmac_f32_e32 v64, v2, v1
	v_and_b32_e32 v2, 0xffff0000, v24
	v_lshlrev_b32_e32 v1, 16, v24
	s_waitcnt vmcnt(0)
	v_fmac_f32_e32 v64, v3, v2
	s_clause 0x1
	buffer_load_dword v2, off, s[36:39], 0 offset:216
	buffer_load_dword v3, off, s[36:39], 0 offset:236
	s_waitcnt vmcnt(1)
	v_fmac_f32_e32 v63, v2, v1
	v_lshlrev_b32_e32 v2, 16, v20
	v_and_b32_e32 v1, 0xffff0000, v20
	s_waitcnt vmcnt(0)
	v_fmac_f32_e32 v63, v3, v2
	s_clause 0x1
	buffer_load_dword v2, off, s[36:39], 0 offset:228
	buffer_load_dword v3, off, s[36:39], 0 offset:260
	s_waitcnt vmcnt(1)
	v_fmac_f32_e32 v64, v2, v1
	v_and_b32_e32 v2, 0xffff0000, v16
	v_lshlrev_b32_e32 v1, 16, v16
	;; [unrolled: 18-line block ×3, first 2 shown]
	s_waitcnt vmcnt(0)
	v_fmac_f32_e32 v64, v3, v2
	s_clause 0x1
	buffer_load_dword v2, off, s[36:39], 0 offset:328
	buffer_load_dword v3, off, s[36:39], 0 offset:360
	s_waitcnt vmcnt(1)
	v_fmac_f32_e32 v63, v2, v1
	v_lshlrev_b32_e32 v2, 16, v4
	v_and_b32_e32 v1, 0xffff0000, v4
	s_waitcnt vmcnt(0)
	v_fmac_f32_e32 v63, v3, v2
	buffer_load_dword v2, off, s[36:39], 0 offset:356 ; 4-byte Folded Reload
	s_waitcnt vmcnt(0)
	v_fmac_f32_e32 v64, v2, v1
	global_load_dwordx4 v[1:4], v[37:38], off offset:512
	s_waitcnt vmcnt(0)
	v_lshlrev_b32_e32 v71, 16, v1
	v_and_b32_e32 v72, 0xffff0000, v1
	v_lshlrev_b32_e32 v73, 16, v2
	v_and_b32_e32 v74, 0xffff0000, v2
	;; [unrolled: 2-line block ×4, first 2 shown]
	global_load_dwordx4 v[1:4], v[37:38], off offset:1024
	s_waitcnt vmcnt(0)
	v_and_b32_e32 v75, 0xffff0000, v1
	v_lshlrev_b32_e32 v76, 16, v1
	v_add_co_u32 v1, s3, 0x1800, v43
	v_and_b32_e32 v77, 0xffff0000, v2
	v_lshlrev_b32_e32 v78, 16, v2
	v_and_b32_e32 v69, 0xffff0000, v3
	v_lshlrev_b32_e32 v70, 16, v3
	v_add_co_ci_u32_e64 v2, null, 0, v44, s3
	v_add_co_u32 v3, s3, v43, 0x2000
	v_and_b32_e32 v65, 0xffff0000, v4
	v_lshlrev_b32_e32 v66, 16, v4
	v_add_co_ci_u32_e64 v4, null, 0, v44, s3
	s_clause 0x3
	global_load_dwordx4 v[29:32], v[3:4], off offset:-2048
	global_load_dwordx4 v[25:28], v[1:2], off offset:512
	global_load_dwordx4 v[21:24], v[1:2], off offset:1024
	;; [unrolled: 1-line block ×3, first 2 shown]
	v_add_co_u32 v1, s3, 0x2000, v43
	v_add_co_ci_u32_e64 v2, null, 0, v44, s3
	s_clause 0x3
	global_load_dwordx4 v[13:16], v[3:4], off
	global_load_dwordx4 v[9:12], v[1:2], off offset:512
	global_load_dwordx4 v[5:8], v[1:2], off offset:1024
	;; [unrolled: 1-line block ×3, first 2 shown]
	s_clause 0x1
	buffer_load_dword v37, off, s[36:39], 0 offset:364
	buffer_load_dword v38, off, s[36:39], 0 offset:428
	s_waitcnt vmcnt(1)
	v_fmac_f32_e32 v58, v37, v72
	buffer_load_dword v37, off, s[36:39], 0 offset:368 ; 4-byte Folded Reload
	s_waitcnt vmcnt(0)
	v_fmac_f32_e32 v57, v37, v71
	buffer_load_dword v37, off, s[36:39], 0 offset:400 ; 4-byte Folded Reload
	;; [unrolled: 3-line block ×3, first 2 shown]
	s_waitcnt vmcnt(0)
	v_fmac_f32_e32 v58, v37, v75
	v_lshlrev_b32_e32 v37, 16, v33
	v_and_b32_e32 v33, 0xffff0000, v33
	v_fmac_f32_e32 v58, v38, v33
	buffer_load_dword v33, off, s[36:39], 0 offset:432 ; 4-byte Folded Reload
	s_waitcnt vmcnt(0)
	v_fmac_f32_e32 v57, v33, v37
	buffer_load_dword v37, off, s[36:39], 0 offset:464 ; 4-byte Folded Reload
	v_and_b32_e32 v33, 0xffff0000, v29
	v_lshlrev_b32_e32 v29, 16, v29
	s_waitcnt vmcnt(0)
	v_fmac_f32_e32 v57, v37, v29
	buffer_load_dword v29, off, s[36:39], 0 offset:460 ; 4-byte Folded Reload
	s_waitcnt vmcnt(0)
	v_fmac_f32_e32 v58, v29, v33
	buffer_load_dword v33, off, s[36:39], 0 offset:492 ; 4-byte Folded Reload
	v_lshlrev_b32_e32 v29, 16, v25
	v_and_b32_e32 v25, 0xffff0000, v25
	s_waitcnt vmcnt(0)
	v_fmac_f32_e32 v58, v33, v25
	buffer_load_dword v25, off, s[36:39], 0 offset:496 ; 4-byte Folded Reload
	s_waitcnt vmcnt(0)
	v_fmac_f32_e32 v57, v25, v29
	buffer_load_dword v29, off, s[36:39], 0 offset:528 ; 4-byte Folded Reload
	v_and_b32_e32 v25, 0xffff0000, v21
	v_lshlrev_b32_e32 v21, 16, v21
	s_waitcnt vmcnt(0)
	v_fmac_f32_e32 v57, v29, v21
	buffer_load_dword v21, off, s[36:39], 0 offset:524 ; 4-byte Folded Reload
	s_waitcnt vmcnt(0)
	v_fmac_f32_e32 v58, v21, v25
	buffer_load_dword v25, off, s[36:39], 0 offset:556 ; 4-byte Folded Reload
	v_lshlrev_b32_e32 v21, 16, v17
	v_and_b32_e32 v17, 0xffff0000, v17
	s_waitcnt vmcnt(0)
	v_fmac_f32_e32 v58, v25, v17
	buffer_load_dword v17, off, s[36:39], 0 offset:560 ; 4-byte Folded Reload
	s_waitcnt vmcnt(0)
	v_fmac_f32_e32 v57, v17, v21
	buffer_load_dword v21, off, s[36:39], 0 offset:592 ; 4-byte Folded Reload
	v_and_b32_e32 v17, 0xffff0000, v13
	v_lshlrev_b32_e32 v13, 16, v13
	s_waitcnt vmcnt(0)
	v_fmac_f32_e32 v57, v21, v13
	buffer_load_dword v13, off, s[36:39], 0 offset:588 ; 4-byte Folded Reload
	s_waitcnt vmcnt(0)
	v_fmac_f32_e32 v58, v13, v17
	buffer_load_dword v17, off, s[36:39], 0 offset:620 ; 4-byte Folded Reload
	v_lshlrev_b32_e32 v13, 16, v9
	v_and_b32_e32 v9, 0xffff0000, v9
	s_waitcnt vmcnt(0)
	v_fmac_f32_e32 v58, v17, v9
	buffer_load_dword v9, off, s[36:39], 0 offset:624 ; 4-byte Folded Reload
	s_waitcnt vmcnt(0)
	v_fmac_f32_e32 v57, v9, v13
	buffer_load_dword v13, off, s[36:39], 0 offset:656 ; 4-byte Folded Reload
	v_and_b32_e32 v9, 0xffff0000, v5
	v_lshlrev_b32_e32 v5, 16, v5
	s_waitcnt vmcnt(0)
	v_fmac_f32_e32 v57, v13, v5
	buffer_load_dword v5, off, s[36:39], 0 offset:652 ; 4-byte Folded Reload
	s_waitcnt vmcnt(0)
	v_fmac_f32_e32 v58, v5, v9
	buffer_load_dword v9, off, s[36:39], 0 offset:684 ; 4-byte Folded Reload
	v_lshlrev_b32_e32 v5, 16, v1
	v_and_b32_e32 v1, 0xffff0000, v1
	s_waitcnt vmcnt(0)
	v_fmac_f32_e32 v58, v9, v1
	s_clause 0x1
	buffer_load_dword v1, off, s[36:39], 0 offset:688
	buffer_load_dword v9, off, s[36:39], 0 offset:436
	s_waitcnt vmcnt(1)
	v_fmac_f32_e32 v57, v1, v5
	buffer_load_dword v1, off, s[36:39], 0 offset:372 ; 4-byte Folded Reload
	v_and_b32_e32 v5, 0xffff0000, v34
	s_waitcnt vmcnt(0)
	v_fmac_f32_e32 v60, v1, v74
	buffer_load_dword v1, off, s[36:39], 0 offset:376 ; 4-byte Folded Reload
	s_waitcnt vmcnt(0)
	v_fmac_f32_e32 v59, v1, v73
	buffer_load_dword v1, off, s[36:39], 0 offset:408 ; 4-byte Folded Reload
	;; [unrolled: 3-line block ×3, first 2 shown]
	s_waitcnt vmcnt(0)
	v_fmac_f32_e32 v60, v1, v77
	v_lshlrev_b32_e32 v1, 16, v34
	v_fmac_f32_e32 v60, v9, v5
	s_clause 0x1
	buffer_load_dword v5, off, s[36:39], 0 offset:440
	buffer_load_dword v9, off, s[36:39], 0 offset:472
	s_waitcnt vmcnt(1)
	v_fmac_f32_e32 v59, v5, v1
	v_lshlrev_b32_e32 v5, 16, v30
	v_and_b32_e32 v1, 0xffff0000, v30
	s_waitcnt vmcnt(0)
	v_fmac_f32_e32 v59, v9, v5
	s_clause 0x1
	buffer_load_dword v5, off, s[36:39], 0 offset:468
	buffer_load_dword v9, off, s[36:39], 0 offset:500
	s_waitcnt vmcnt(1)
	v_fmac_f32_e32 v60, v5, v1
	v_and_b32_e32 v5, 0xffff0000, v26
	v_lshlrev_b32_e32 v1, 16, v26
	s_waitcnt vmcnt(0)
	v_fmac_f32_e32 v60, v9, v5
	s_clause 0x1
	buffer_load_dword v5, off, s[36:39], 0 offset:504
	buffer_load_dword v9, off, s[36:39], 0 offset:536
	s_waitcnt vmcnt(1)
	v_fmac_f32_e32 v59, v5, v1
	v_lshlrev_b32_e32 v5, 16, v22
	v_and_b32_e32 v1, 0xffff0000, v22
	s_waitcnt vmcnt(0)
	v_fmac_f32_e32 v59, v9, v5
	s_clause 0x1
	buffer_load_dword v5, off, s[36:39], 0 offset:532
	buffer_load_dword v9, off, s[36:39], 0 offset:564
	s_waitcnt vmcnt(1)
	v_fmac_f32_e32 v60, v5, v1
	v_and_b32_e32 v5, 0xffff0000, v18
	v_lshlrev_b32_e32 v1, 16, v18
	s_waitcnt vmcnt(0)
	;; [unrolled: 18-line block ×3, first 2 shown]
	v_fmac_f32_e32 v60, v9, v5
	buffer_load_dword v5, off, s[36:39], 0 offset:632 ; 4-byte Folded Reload
	s_waitcnt vmcnt(0)
	v_fmac_f32_e32 v59, v5, v1
	v_and_b32_e32 v1, 0xffff0000, v6
	v_lshlrev_b32_e32 v5, 16, v6
	buffer_load_dword v6, off, s[36:39], 0 offset:664 ; 4-byte Folded Reload
	s_waitcnt vmcnt(0)
	v_fmac_f32_e32 v59, v6, v5
	buffer_load_dword v5, off, s[36:39], 0 offset:660 ; 4-byte Folded Reload
	s_waitcnt vmcnt(0)
	v_fmac_f32_e32 v60, v5, v1
	buffer_load_dword v5, off, s[36:39], 0 offset:692 ; 4-byte Folded Reload
	v_lshlrev_b32_e32 v1, 16, v2
	v_and_b32_e32 v2, 0xffff0000, v2
	s_waitcnt vmcnt(0)
	v_fmac_f32_e32 v60, v5, v2
	s_clause 0x1
	buffer_load_dword v2, off, s[36:39], 0 offset:696
	buffer_load_dword v5, off, s[36:39], 0 offset:444
	s_waitcnt vmcnt(1)
	v_fmac_f32_e32 v59, v2, v1
	buffer_load_dword v1, off, s[36:39], 0 offset:380 ; 4-byte Folded Reload
	v_and_b32_e32 v2, 0xffff0000, v35
	s_waitcnt vmcnt(0)
	v_fmac_f32_e32 v62, v1, v68
	buffer_load_dword v1, off, s[36:39], 0 offset:384 ; 4-byte Folded Reload
	s_waitcnt vmcnt(0)
	v_fmac_f32_e32 v61, v1, v67
	buffer_load_dword v1, off, s[36:39], 0 offset:416 ; 4-byte Folded Reload
	;; [unrolled: 3-line block ×3, first 2 shown]
	s_waitcnt vmcnt(0)
	v_fmac_f32_e32 v62, v1, v69
	v_lshlrev_b32_e32 v1, 16, v35
	v_fmac_f32_e32 v62, v5, v2
	s_clause 0x1
	buffer_load_dword v2, off, s[36:39], 0 offset:448
	buffer_load_dword v5, off, s[36:39], 0 offset:480
	s_waitcnt vmcnt(1)
	v_fmac_f32_e32 v61, v2, v1
	v_lshlrev_b32_e32 v2, 16, v31
	v_and_b32_e32 v1, 0xffff0000, v31
	s_waitcnt vmcnt(0)
	v_fmac_f32_e32 v61, v5, v2
	s_clause 0x1
	buffer_load_dword v2, off, s[36:39], 0 offset:476
	buffer_load_dword v5, off, s[36:39], 0 offset:508
	s_waitcnt vmcnt(1)
	v_fmac_f32_e32 v62, v2, v1
	v_and_b32_e32 v2, 0xffff0000, v27
	v_lshlrev_b32_e32 v1, 16, v27
	s_waitcnt vmcnt(0)
	v_fmac_f32_e32 v62, v5, v2
	s_clause 0x1
	buffer_load_dword v2, off, s[36:39], 0 offset:512
	buffer_load_dword v5, off, s[36:39], 0 offset:544
	s_waitcnt vmcnt(1)
	v_fmac_f32_e32 v61, v2, v1
	v_lshlrev_b32_e32 v2, 16, v23
	v_and_b32_e32 v1, 0xffff0000, v23
	s_waitcnt vmcnt(0)
	v_fmac_f32_e32 v61, v5, v2
	s_clause 0x1
	buffer_load_dword v2, off, s[36:39], 0 offset:540
	buffer_load_dword v5, off, s[36:39], 0 offset:572
	s_waitcnt vmcnt(1)
	v_fmac_f32_e32 v62, v2, v1
	v_and_b32_e32 v2, 0xffff0000, v19
	v_lshlrev_b32_e32 v1, 16, v19
	s_waitcnt vmcnt(0)
	;; [unrolled: 18-line block ×3, first 2 shown]
	v_fmac_f32_e32 v62, v5, v2
	s_clause 0x1
	buffer_load_dword v2, off, s[36:39], 0 offset:640
	buffer_load_dword v5, off, s[36:39], 0 offset:672
	s_waitcnt vmcnt(1)
	v_fmac_f32_e32 v61, v2, v1
	v_lshlrev_b32_e32 v2, 16, v7
	v_and_b32_e32 v1, 0xffff0000, v7
	s_waitcnt vmcnt(0)
	v_fmac_f32_e32 v61, v5, v2
	buffer_load_dword v2, off, s[36:39], 0 offset:668 ; 4-byte Folded Reload
	v_add_co_u32 v5, s3, 0x2800, v43
	v_add_co_ci_u32_e64 v6, null, 0, v44, s3
	v_add_co_u32 v7, s3, v43, 0x3000
	s_waitcnt vmcnt(0)
	v_fmac_f32_e32 v62, v2, v1
	v_lshlrev_b32_e32 v1, 16, v3
	v_and_b32_e32 v2, 0xffff0000, v3
	buffer_load_dword v3, off, s[36:39], 0 offset:700 ; 4-byte Folded Reload
	s_waitcnt vmcnt(0)
	v_fmac_f32_e32 v62, v3, v2
	s_clause 0x1
	buffer_load_dword v2, off, s[36:39], 0 offset:704
	buffer_load_dword v3, off, s[36:39], 0 offset:452
	s_waitcnt vmcnt(1)
	v_fmac_f32_e32 v61, v2, v1
	buffer_load_dword v1, off, s[36:39], 0 offset:388 ; 4-byte Folded Reload
	v_and_b32_e32 v2, 0xffff0000, v36
	s_waitcnt vmcnt(0)
	v_fmac_f32_e32 v64, v1, v40
	buffer_load_dword v1, off, s[36:39], 0 offset:392 ; 4-byte Folded Reload
	s_waitcnt vmcnt(0)
	v_fmac_f32_e32 v63, v1, v39
	buffer_load_dword v1, off, s[36:39], 0 offset:424 ; 4-byte Folded Reload
	;; [unrolled: 3-line block ×3, first 2 shown]
	s_waitcnt vmcnt(0)
	v_fmac_f32_e32 v64, v1, v65
	v_lshlrev_b32_e32 v1, 16, v36
	v_fmac_f32_e32 v64, v3, v2
	s_clause 0x1
	buffer_load_dword v2, off, s[36:39], 0 offset:456
	buffer_load_dword v3, off, s[36:39], 0 offset:488
	s_waitcnt vmcnt(1)
	v_fmac_f32_e32 v63, v2, v1
	v_lshlrev_b32_e32 v2, 16, v32
	v_and_b32_e32 v1, 0xffff0000, v32
	s_waitcnt vmcnt(0)
	v_fmac_f32_e32 v63, v3, v2
	s_clause 0x1
	buffer_load_dword v2, off, s[36:39], 0 offset:484
	buffer_load_dword v3, off, s[36:39], 0 offset:516
	s_waitcnt vmcnt(1)
	v_fmac_f32_e32 v64, v2, v1
	v_and_b32_e32 v2, 0xffff0000, v28
	v_lshlrev_b32_e32 v1, 16, v28
	s_waitcnt vmcnt(0)
	v_fmac_f32_e32 v64, v3, v2
	s_clause 0x1
	buffer_load_dword v2, off, s[36:39], 0 offset:520
	buffer_load_dword v3, off, s[36:39], 0 offset:552
	s_waitcnt vmcnt(1)
	v_fmac_f32_e32 v63, v2, v1
	v_lshlrev_b32_e32 v2, 16, v24
	v_and_b32_e32 v1, 0xffff0000, v24
	s_waitcnt vmcnt(0)
	v_fmac_f32_e32 v63, v3, v2
	s_clause 0x1
	buffer_load_dword v2, off, s[36:39], 0 offset:548
	buffer_load_dword v3, off, s[36:39], 0 offset:580
	s_waitcnt vmcnt(1)
	v_fmac_f32_e32 v64, v2, v1
	v_and_b32_e32 v2, 0xffff0000, v20
	v_lshlrev_b32_e32 v1, 16, v20
	s_waitcnt vmcnt(0)
	;; [unrolled: 18-line block ×3, first 2 shown]
	v_fmac_f32_e32 v64, v3, v2
	s_clause 0x1
	buffer_load_dword v2, off, s[36:39], 0 offset:648
	buffer_load_dword v3, off, s[36:39], 0 offset:680
	s_waitcnt vmcnt(1)
	v_fmac_f32_e32 v63, v2, v1
	v_lshlrev_b32_e32 v2, 16, v8
	v_and_b32_e32 v1, 0xffff0000, v8
	v_add_co_ci_u32_e64 v8, null, 0, v44, s3
	s_waitcnt vmcnt(0)
	v_fmac_f32_e32 v63, v3, v2
	s_clause 0x1
	buffer_load_dword v2, off, s[36:39], 0 offset:676
	buffer_load_dword v3, off, s[36:39], 0 offset:708
	s_waitcnt vmcnt(1)
	v_fmac_f32_e32 v64, v2, v1
	v_and_b32_e32 v2, 0xffff0000, v4
	v_lshlrev_b32_e32 v1, 16, v4
	s_waitcnt vmcnt(0)
	v_fmac_f32_e32 v64, v3, v2
	buffer_load_dword v2, off, s[36:39], 0 offset:712 ; 4-byte Folded Reload
	s_waitcnt vmcnt(0)
	v_fmac_f32_e32 v63, v2, v1
	global_load_dwordx4 v[1:4], v[7:8], off offset:-2048
	s_waitcnt vmcnt(0)
	v_and_b32_e32 v73, 0xffff0000, v1
	v_lshlrev_b32_e32 v74, 16, v1
	v_and_b32_e32 v75, 0xffff0000, v2
	v_lshlrev_b32_e32 v76, 16, v2
	;; [unrolled: 2-line block ×4, first 2 shown]
	s_clause 0x2
	global_load_dwordx4 v[1:4], v[5:6], off offset:512
	global_load_dwordx4 v[37:40], v[5:6], off offset:1024
	;; [unrolled: 1-line block ×3, first 2 shown]
	s_waitcnt vmcnt(2)
	v_lshlrev_b32_e32 v77, 16, v1
	v_and_b32_e32 v78, 0xffff0000, v1
	v_add_co_u32 v1, s3, 0x3000, v43
	v_lshlrev_b32_e32 v79, 16, v2
	v_and_b32_e32 v80, 0xffff0000, v2
	v_add_co_ci_u32_e64 v2, null, 0, v44, s3
	s_clause 0x3
	global_load_dwordx4 v[29:32], v[7:8], off
	global_load_dwordx4 v[25:28], v[1:2], off offset:512
	global_load_dwordx4 v[21:24], v[1:2], off offset:1024
	;; [unrolled: 1-line block ×3, first 2 shown]
	v_add_co_u32 v1, s3, 0x3800, v43
	v_add_co_ci_u32_e64 v2, null, 0, v44, s3
	v_lshlrev_b32_e32 v71, 16, v3
	v_and_b32_e32 v72, 0xffff0000, v3
	v_lshlrev_b32_e32 v67, 16, v4
	v_and_b32_e32 v68, 0xffff0000, v4
	s_clause 0x3
	global_load_dwordx4 v[13:16], v[1:2], off
	global_load_dwordx4 v[9:12], v[1:2], off offset:512
	global_load_dwordx4 v[5:8], v[1:2], off offset:1024
	;; [unrolled: 1-line block ×3, first 2 shown]
	s_clause 0x1
	buffer_load_dword v43, off, s[36:39], 0 offset:720
	buffer_load_dword v44, off, s[36:39], 0 offset:784
	s_waitcnt vmcnt(1)
	v_fmac_f32_e32 v57, v43, v74
	buffer_load_dword v43, off, s[36:39], 0 offset:716 ; 4-byte Folded Reload
	s_waitcnt vmcnt(0)
	v_fmac_f32_e32 v58, v43, v73
	buffer_load_dword v43, off, s[36:39], 0 offset:748 ; 4-byte Folded Reload
	;; [unrolled: 3-line block ×3, first 2 shown]
	s_waitcnt vmcnt(0)
	v_fmac_f32_e32 v57, v43, v77
	v_and_b32_e32 v43, 0xffff0000, v37
	v_lshlrev_b32_e32 v37, 16, v37
	v_fmac_f32_e32 v57, v44, v37
	buffer_load_dword v37, off, s[36:39], 0 offset:780 ; 4-byte Folded Reload
	s_waitcnt vmcnt(0)
	v_fmac_f32_e32 v58, v37, v43
	buffer_load_dword v43, off, s[36:39], 0 offset:812 ; 4-byte Folded Reload
	v_lshlrev_b32_e32 v37, 16, v33
	v_and_b32_e32 v33, 0xffff0000, v33
	s_waitcnt vmcnt(0)
	v_fmac_f32_e32 v58, v43, v33
	buffer_load_dword v33, off, s[36:39], 0 offset:816 ; 4-byte Folded Reload
	s_waitcnt vmcnt(0)
	v_fmac_f32_e32 v57, v33, v37
	buffer_load_dword v37, off, s[36:39], 0 offset:848 ; 4-byte Folded Reload
	v_and_b32_e32 v33, 0xffff0000, v29
	v_lshlrev_b32_e32 v29, 16, v29
	s_waitcnt vmcnt(0)
	v_fmac_f32_e32 v57, v37, v29
	buffer_load_dword v29, off, s[36:39], 0 offset:844 ; 4-byte Folded Reload
	s_waitcnt vmcnt(0)
	v_fmac_f32_e32 v58, v29, v33
	buffer_load_dword v33, off, s[36:39], 0 offset:876 ; 4-byte Folded Reload
	v_lshlrev_b32_e32 v29, 16, v25
	v_and_b32_e32 v25, 0xffff0000, v25
	s_waitcnt vmcnt(0)
	v_fmac_f32_e32 v58, v25, v33
	buffer_load_dword v25, off, s[36:39], 0 offset:880 ; 4-byte Folded Reload
	s_waitcnt vmcnt(0)
	v_fmac_f32_e32 v57, v29, v25
	v_and_b32_e32 v25, 0xffff0000, v21
	v_lshlrev_b32_e32 v21, 16, v21
	v_fmac_f32_e32 v58, v25, v86
	v_fmac_f32_e32 v57, v21, v87
	v_lshlrev_b32_e32 v21, 16, v17
	v_and_b32_e32 v17, 0xffff0000, v17
	v_fmac_f32_e32 v57, v21, v95
	v_fmac_f32_e32 v58, v17, v94
	v_and_b32_e32 v17, 0xffff0000, v13
	v_lshlrev_b32_e32 v13, 16, v13
	v_fmac_f32_e32 v58, v17, v102
	v_fmac_f32_e32 v57, v13, v103
	v_lshlrev_b32_e32 v13, 16, v9
	v_and_b32_e32 v9, 0xffff0000, v9
	v_fmac_f32_e32 v57, v13, v111
	v_fmac_f32_e32 v58, v9, v110
	v_and_b32_e32 v9, 0xffff0000, v5
	v_lshlrev_b32_e32 v5, 16, v5
	v_fmac_f32_e32 v58, v9, v118
	v_fmac_f32_e32 v57, v5, v119
	v_lshlrev_b32_e32 v5, 16, v1
	v_and_b32_e32 v1, 0xffff0000, v1
	buffer_load_dword v9, off, s[36:39], 0 offset:792 ; 4-byte Folded Reload
	v_fmac_f32_e32 v57, v5, v127
	v_fmac_f32_e32 v58, v1, v126
	buffer_load_dword v1, off, s[36:39], 0 offset:728 ; 4-byte Folded Reload
	v_lshlrev_b32_e32 v5, 16, v38
	s_waitcnt vmcnt(0)
	v_fmac_f32_e32 v59, v1, v76
	buffer_load_dword v1, off, s[36:39], 0 offset:724 ; 4-byte Folded Reload
	s_waitcnt vmcnt(0)
	v_fmac_f32_e32 v60, v1, v75
	buffer_load_dword v1, off, s[36:39], 0 offset:756 ; 4-byte Folded Reload
	;; [unrolled: 3-line block ×3, first 2 shown]
	s_waitcnt vmcnt(0)
	v_fmac_f32_e32 v59, v1, v79
	v_and_b32_e32 v1, 0xffff0000, v38
	v_fmac_f32_e32 v59, v9, v5
	s_clause 0x1
	buffer_load_dword v5, off, s[36:39], 0 offset:788
	buffer_load_dword v9, off, s[36:39], 0 offset:820
	s_waitcnt vmcnt(1)
	v_fmac_f32_e32 v60, v5, v1
	v_and_b32_e32 v5, 0xffff0000, v34
	v_lshlrev_b32_e32 v1, 16, v34
	s_waitcnt vmcnt(0)
	v_fmac_f32_e32 v60, v9, v5
	s_clause 0x1
	buffer_load_dword v5, off, s[36:39], 0 offset:824
	buffer_load_dword v9, off, s[36:39], 0 offset:856
	s_waitcnt vmcnt(1)
	v_fmac_f32_e32 v59, v5, v1
	v_lshlrev_b32_e32 v5, 16, v30
	v_and_b32_e32 v1, 0xffff0000, v30
	s_waitcnt vmcnt(0)
	v_fmac_f32_e32 v59, v9, v5
	s_clause 0x1
	buffer_load_dword v5, off, s[36:39], 0 offset:852
	buffer_load_dword v9, off, s[36:39], 0 offset:884
	s_waitcnt vmcnt(1)
	v_fmac_f32_e32 v60, v5, v1
	v_lshlrev_b32_e32 v1, 16, v26
	v_and_b32_e32 v5, 0xffff0000, v26
	v_fmac_f32_e32 v59, v1, v81
	s_waitcnt vmcnt(0)
	v_fmac_f32_e32 v60, v5, v9
	v_and_b32_e32 v1, 0xffff0000, v22
	v_lshlrev_b32_e32 v5, 16, v22
	v_fmac_f32_e32 v60, v1, v88
	v_fmac_f32_e32 v59, v5, v89
	v_lshlrev_b32_e32 v1, 16, v18
	v_and_b32_e32 v5, 0xffff0000, v18
	v_fmac_f32_e32 v59, v1, v97
	v_fmac_f32_e32 v60, v5, v96
	v_and_b32_e32 v1, 0xffff0000, v14
	v_lshlrev_b32_e32 v5, 16, v14
	v_fmac_f32_e32 v60, v1, v104
	v_fmac_f32_e32 v59, v5, v105
	v_lshlrev_b32_e32 v1, 16, v10
	v_and_b32_e32 v5, 0xffff0000, v10
	v_fmac_f32_e32 v59, v1, v113
	v_fmac_f32_e32 v60, v5, v112
	v_and_b32_e32 v1, 0xffff0000, v6
	v_lshlrev_b32_e32 v5, 16, v6
	v_fmac_f32_e32 v60, v1, v120
	v_fmac_f32_e32 v59, v5, v121
	v_lshlrev_b32_e32 v1, 16, v2
	v_and_b32_e32 v2, 0xffff0000, v2
	buffer_load_dword v5, off, s[36:39], 0 offset:800 ; 4-byte Folded Reload
	v_fmac_f32_e32 v59, v1, v46
	buffer_load_dword v1, off, s[36:39], 0 offset:736 ; 4-byte Folded Reload
	v_fmac_f32_e32 v60, v2, v0
	v_lshlrev_b32_e32 v2, 16, v39
	s_waitcnt vmcnt(0)
	v_fmac_f32_e32 v61, v1, v70
	buffer_load_dword v1, off, s[36:39], 0 offset:732 ; 4-byte Folded Reload
	s_waitcnt vmcnt(0)
	v_fmac_f32_e32 v62, v1, v69
	buffer_load_dword v1, off, s[36:39], 0 offset:764 ; 4-byte Folded Reload
	;; [unrolled: 3-line block ×3, first 2 shown]
	s_waitcnt vmcnt(0)
	v_fmac_f32_e32 v61, v1, v71
	v_and_b32_e32 v1, 0xffff0000, v39
	v_fmac_f32_e32 v61, v5, v2
	s_clause 0x1
	buffer_load_dword v2, off, s[36:39], 0 offset:796
	buffer_load_dword v5, off, s[36:39], 0 offset:828
	s_waitcnt vmcnt(1)
	v_fmac_f32_e32 v62, v2, v1
	v_and_b32_e32 v2, 0xffff0000, v35
	v_lshlrev_b32_e32 v1, 16, v35
	s_waitcnt vmcnt(0)
	v_fmac_f32_e32 v62, v5, v2
	s_clause 0x1
	buffer_load_dword v2, off, s[36:39], 0 offset:832
	buffer_load_dword v5, off, s[36:39], 0 offset:864
	s_waitcnt vmcnt(1)
	v_fmac_f32_e32 v61, v2, v1
	v_lshlrev_b32_e32 v2, 16, v31
	v_and_b32_e32 v1, 0xffff0000, v31
	s_waitcnt vmcnt(0)
	v_fmac_f32_e32 v61, v5, v2
	buffer_load_dword v2, off, s[36:39], 0 offset:860 ; 4-byte Folded Reload
	s_waitcnt vmcnt(0)
	v_fmac_f32_e32 v62, v2, v1
	v_lshlrev_b32_e32 v1, 16, v27
	v_and_b32_e32 v2, 0xffff0000, v27
	v_fmac_f32_e32 v61, v1, v83
	v_fmac_f32_e32 v62, v2, v82
	v_and_b32_e32 v1, 0xffff0000, v23
	v_lshlrev_b32_e32 v2, 16, v23
	v_fmac_f32_e32 v62, v1, v90
	v_fmac_f32_e32 v61, v2, v91
	v_lshlrev_b32_e32 v1, 16, v19
	v_and_b32_e32 v2, 0xffff0000, v19
	v_fmac_f32_e32 v61, v1, v99
	v_fmac_f32_e32 v62, v2, v98
	v_and_b32_e32 v1, 0xffff0000, v15
	v_lshlrev_b32_e32 v2, 16, v15
	v_fmac_f32_e32 v62, v1, v106
	;; [unrolled: 8-line block ×3, first 2 shown]
	v_fmac_f32_e32 v61, v2, v123
	v_lshlrev_b32_e32 v1, 16, v3
	v_and_b32_e32 v2, 0xffff0000, v3
	buffer_load_dword v3, off, s[36:39], 0 offset:808 ; 4-byte Folded Reload
	v_fmac_f32_e32 v61, v1, v48
	buffer_load_dword v1, off, s[36:39], 0 offset:744 ; 4-byte Folded Reload
	v_fmac_f32_e32 v62, v2, v47
	v_lshlrev_b32_e32 v2, 16, v40
	s_waitcnt vmcnt(0)
	v_fmac_f32_e32 v63, v1, v66
	buffer_load_dword v1, off, s[36:39], 0 offset:740 ; 4-byte Folded Reload
	s_waitcnt vmcnt(0)
	v_fmac_f32_e32 v64, v1, v65
	buffer_load_dword v1, off, s[36:39], 0 offset:772 ; 4-byte Folded Reload
	;; [unrolled: 3-line block ×3, first 2 shown]
	s_waitcnt vmcnt(0)
	v_fmac_f32_e32 v63, v1, v67
	v_and_b32_e32 v1, 0xffff0000, v40
	v_fmac_f32_e32 v63, v3, v2
	s_clause 0x1
	buffer_load_dword v2, off, s[36:39], 0 offset:804
	buffer_load_dword v3, off, s[36:39], 0 offset:836
	s_waitcnt vmcnt(1)
	v_fmac_f32_e32 v64, v2, v1
	v_and_b32_e32 v2, 0xffff0000, v36
	v_lshlrev_b32_e32 v1, 16, v36
	s_waitcnt vmcnt(0)
	v_fmac_f32_e32 v64, v3, v2
	s_clause 0x1
	buffer_load_dword v2, off, s[36:39], 0 offset:840
	buffer_load_dword v3, off, s[36:39], 0 offset:872
	s_waitcnt vmcnt(1)
	v_fmac_f32_e32 v63, v2, v1
	v_lshlrev_b32_e32 v2, 16, v32
	v_and_b32_e32 v1, 0xffff0000, v32
	s_waitcnt vmcnt(0)
	v_fmac_f32_e32 v63, v3, v2
	buffer_load_dword v2, off, s[36:39], 0 offset:868 ; 4-byte Folded Reload
	s_waitcnt vmcnt(0)
	v_fmac_f32_e32 v64, v2, v1
	v_lshlrev_b32_e32 v1, 16, v28
	v_and_b32_e32 v2, 0xffff0000, v28
	v_fmac_f32_e32 v63, v1, v85
	v_fmac_f32_e32 v64, v2, v84
	v_and_b32_e32 v1, 0xffff0000, v24
	v_lshlrev_b32_e32 v2, 16, v24
	v_fmac_f32_e32 v64, v1, v92
	v_fmac_f32_e32 v63, v2, v93
	v_lshlrev_b32_e32 v1, 16, v20
	v_and_b32_e32 v2, 0xffff0000, v20
	v_fmac_f32_e32 v63, v1, v101
	v_fmac_f32_e32 v64, v2, v100
	v_and_b32_e32 v1, 0xffff0000, v16
	v_lshlrev_b32_e32 v2, 16, v16
	v_fmac_f32_e32 v64, v1, v108
	;; [unrolled: 8-line block ×3, first 2 shown]
	v_fmac_f32_e32 v63, v2, v125
	v_lshlrev_b32_e32 v1, 16, v4
	v_and_b32_e32 v2, 0xffff0000, v4
	v_fmac_f32_e32 v63, v1, v50
	v_add_f32_e32 v1, v57, v58
	v_fmac_f32_e32 v64, v2, v49
	v_add_f32_e32 v1, v1, v59
	v_add_f32_e32 v1, v60, v1
	;; [unrolled: 1-line block ×6, first 2 shown]
	v_fmac_f32_e32 v56, s25, v1
	v_cndmask_b32_e64 v1, 0, v56, s2
	ds_write_b32 v51, v1
	v_max_f32_e32 v1, v45, v45
	v_add_nc_u32_e32 v51, 0x200, v51
	v_max_f32_e32 v1, v1, v56
	v_cndmask_b32_e64 v45, v45, v1, s2
	v_add_co_u32 v41, s2, v41, 16
	v_add_co_ci_u32_e64 v42, null, 0, v42, s2
	v_cmp_le_i32_e64 s2, s12, v55
	s_or_b32 s5, s2, s5
	s_andn2_b32 exec_lo, exec_lo, s5
	s_cbranch_execnz .LBB161_6
; %bb.7:
	s_or_b32 exec_lo, exec_lo, s5
	s_clause 0x3
	buffer_load_dword v58, off, s[36:39], 0 offset:892
	buffer_load_dword v59, off, s[36:39], 0 offset:896
	;; [unrolled: 1-line block ×4, first 2 shown]
.LBB161_8:
	s_or_b32 exec_lo, exec_lo, s26
	v_mbcnt_lo_u32_b32 v1, -1, 0
	v_max_f32_e32 v4, v45, v45
	v_xor_b32_e32 v0, 16, v1
	v_xor_b32_e32 v3, 8, v1
	v_cmp_gt_i32_e32 vcc_lo, 32, v0
	v_cndmask_b32_e32 v0, v1, v0, vcc_lo
	v_cmp_gt_i32_e32 vcc_lo, 32, v3
	v_lshlrev_b32_e32 v0, 2, v0
	v_cndmask_b32_e32 v3, v1, v3, vcc_lo
	ds_bpermute_b32 v2, v0, v45
	s_waitcnt lgkmcnt(0)
	v_max_f32_e32 v5, v2, v2
	v_lshlrev_b32_e32 v2, 2, v3
	v_max_f32_e32 v4, v4, v5
	v_xor_b32_e32 v5, 4, v1
	ds_bpermute_b32 v3, v2, v4
	v_cmp_gt_i32_e32 vcc_lo, 32, v5
	v_cndmask_b32_e32 v5, v1, v5, vcc_lo
	s_waitcnt lgkmcnt(0)
	v_max_f32_e32 v6, v3, v3
	v_lshlrev_b32_e32 v3, 2, v5
	v_max_f32_e32 v4, v4, v6
	v_xor_b32_e32 v6, 2, v1
	ds_bpermute_b32 v5, v3, v4
	v_cmp_gt_i32_e32 vcc_lo, 32, v6
	v_cndmask_b32_e32 v6, v1, v6, vcc_lo
	v_lshlrev_b32_e32 v39, 2, v6
	v_xor_b32_e32 v6, 1, v1
	v_cmp_gt_i32_e32 vcc_lo, 32, v6
	s_waitcnt lgkmcnt(0)
	v_max_f32_e32 v5, v5, v5
	v_cndmask_b32_e32 v6, v1, v6, vcc_lo
	s_waitcnt vmcnt(2)
	v_cmp_eq_u32_e32 vcc_lo, 0, v59
	v_max_f32_e32 v4, v4, v5
	v_lshlrev_b32_e32 v57, 2, v6
	ds_bpermute_b32 v5, v39, v4
	s_waitcnt lgkmcnt(0)
	v_max_f32_e32 v5, v5, v5
	v_max_f32_e32 v1, v4, v5
	buffer_load_dword v4, off, s[36:39], 0 offset:888 ; 4-byte Folded Reload
	ds_bpermute_b32 v5, v57, v1
	s_waitcnt vmcnt(0)
	v_lshlrev_b32_e32 v4, 2, v4
	s_and_saveexec_b32 s2, vcc_lo
	s_cbranch_execz .LBB161_10
; %bb.9:
	s_waitcnt lgkmcnt(0)
	v_max_f32_e32 v5, v5, v5
	v_max_f32_e32 v1, v1, v1
	;; [unrolled: 1-line block ×3, first 2 shown]
	ds_write_b32 v4, v1 offset:512
.LBB161_10:
	s_or_b32 exec_lo, exec_lo, s2
	v_cmp_gt_u32_e64 s2, 4, v59
	v_mov_b32_e32 v1, 0xff7fffff
	s_waitcnt lgkmcnt(0)
	s_waitcnt_vscnt null, 0x0
	s_barrier
	buffer_gl0_inv
	s_and_saveexec_b32 s3, s2
; %bb.11:
	ds_read_b32 v1, v25 offset:512
; %bb.12:
	s_or_b32 exec_lo, exec_lo, s3
	s_waitcnt lgkmcnt(0)
	ds_bpermute_b32 v5, v39, v1
	v_max_f32_e32 v1, v1, v1
	s_lshl_b32 s3, s12, 5
	s_min_i32 s5, s3, s11
	v_cmp_gt_i32_e64 s3, s5, v58
	s_waitcnt lgkmcnt(0)
	v_max_f32_e32 v5, v5, v5
	v_max_f32_e32 v1, v1, v5
	ds_bpermute_b32 v5, v57, v1
	s_waitcnt lgkmcnt(0)
	v_max_f32_e32 v5, v5, v5
	v_max_f32_e32 v1, v1, v5
	v_mov_b32_e32 v5, 0
	ds_bpermute_b32 v6, v5, v1
	v_lshl_add_u32 v1, v58, 2, 0x220
	s_and_saveexec_b32 s15, s3
	s_cbranch_execz .LBB161_16
; %bb.13:
	v_lshl_add_u32 v7, v58, 2, 0x220
	v_mov_b32_e32 v5, 0
	v_mov_b32_e32 v8, v58
	s_mov_b32 s24, 0
	.p2align	6
.LBB161_14:                             ; =>This Inner Loop Header: Depth=1
	ds_read_b32 v9, v7
	v_add_nc_u32_e32 v8, 0x80, v8
	v_cmp_le_i32_e64 s4, s5, v8
	s_or_b32 s24, s4, s24
	s_waitcnt lgkmcnt(0)
	v_sub_f32_e32 v9, v9, v6
	v_mul_f32_e32 v9, 0x3fb8aa3b, v9
	v_exp_f32_e32 v9, v9
	ds_write_b32 v7, v9
	v_add_f32_e32 v5, v5, v9
	v_add_nc_u32_e32 v7, 0x200, v7
	s_andn2_b32 exec_lo, exec_lo, s24
	s_cbranch_execnz .LBB161_14
; %bb.15:
	s_or_b32 exec_lo, exec_lo, s24
.LBB161_16:
	s_or_b32 exec_lo, exec_lo, s15
	ds_bpermute_b32 v0, v0, v5
	s_waitcnt lgkmcnt(0)
	v_add_f32_e32 v0, v5, v0
	ds_bpermute_b32 v2, v2, v0
	s_waitcnt lgkmcnt(0)
	v_add_f32_e32 v0, v0, v2
	;; [unrolled: 3-line block ×5, first 2 shown]
	s_and_saveexec_b32 s4, vcc_lo
; %bb.17:
	ds_write_b32 v4, v0 offset:528
; %bb.18:
	s_or_b32 exec_lo, exec_lo, s4
	s_waitcnt lgkmcnt(0)
	s_barrier
	buffer_gl0_inv
	s_and_saveexec_b32 s4, s2
; %bb.19:
	ds_read_b32 v0, v25 offset:528
; %bb.20:
	s_or_b32 exec_lo, exec_lo, s4
	s_waitcnt lgkmcnt(0)
	ds_bpermute_b32 v2, v39, v0
	s_waitcnt lgkmcnt(0)
	v_add_f32_e32 v0, v0, v2
	ds_bpermute_b32 v2, v57, v0
	s_waitcnt lgkmcnt(0)
	v_add_f32_e32 v0, v0, v2
	v_mov_b32_e32 v2, 0
	ds_bpermute_b32 v0, v2, v0
	s_and_saveexec_b32 s2, s3
	s_cbranch_execz .LBB161_23
; %bb.21:
	s_waitcnt lgkmcnt(0)
	v_add_f32_e32 v0, 0x358637bd, v0
	s_mov_b32 s3, 0
	v_div_scale_f32 v2, null, v0, v0, 1.0
	v_div_scale_f32 v5, vcc_lo, 1.0, v0, 1.0
	v_rcp_f32_e32 v3, v2
	v_fma_f32 v4, -v2, v3, 1.0
	v_fmac_f32_e32 v3, v4, v3
	v_mul_f32_e32 v4, v5, v3
	v_fma_f32 v6, -v2, v4, v5
	v_fmac_f32_e32 v4, v6, v3
	v_fma_f32 v2, -v2, v4, v5
	v_div_fmas_f32 v2, v2, v3, v4
	v_div_fixup_f32 v0, v2, v0, 1.0
	v_mov_b32_e32 v2, v58
.LBB161_22:                             ; =>This Inner Loop Header: Depth=1
	ds_read_b32 v3, v1
	v_add_nc_u32_e32 v2, 0x80, v2
	v_cmp_le_i32_e32 vcc_lo, s5, v2
	s_or_b32 s3, vcc_lo, s3
	s_waitcnt lgkmcnt(0)
	v_mul_f32_e32 v3, v0, v3
	ds_write_b32 v1, v3
	v_add_nc_u32_e32 v1, 0x200, v1
	s_andn2_b32 exec_lo, exec_lo, s3
	s_cbranch_execnz .LBB161_22
.LBB161_23:
	s_or_b32 exec_lo, exec_lo, s2
	v_mov_b32_e32 v23, 0
	v_and_b32_e32 v60, 3, v58
	v_mov_b32_e32 v25, 0
	v_mov_b32_e32 v24, 0
	;; [unrolled: 1-line block ×31, first 2 shown]
	s_waitcnt lgkmcnt(0)
	s_barrier
	buffer_gl0_inv
	s_and_saveexec_b32 s4, s1
	s_cbranch_execz .LBB161_91
; %bb.24:
	buffer_store_dword v39, off, s[36:39], 0 offset:252 ; 4-byte Folded Spill
	buffer_store_dword v57, off, s[36:39], 0 offset:248 ; 4-byte Folded Spill
	buffer_load_dword v5, off, s[36:39], 0 offset:888 ; 4-byte Folded Reload
	v_lshlrev_b32_e32 v0, 3, v58
	v_lshlrev_b32_e32 v1, 5, v60
	s_ashr_i32 s15, s14, 31
	v_mov_b32_e32 v127, 0
	s_lshl_b64 s[2:3], s[14:15], 1
	v_and_b32_e32 v3, 0xf8, v0
	v_or_b32_e32 v4, 0x1f00, v0
	v_and_b32_e32 v2, 24, v0
	s_add_u32 s5, s20, s2
	s_addc_u32 s14, s21, s3
	s_lshl_b64 s[2:3], s[22:23], 2
	s_add_i32 s15, s12, -1
	s_add_u32 s1, s18, s2
	s_addc_u32 s2, s19, s3
	v_mov_b32_e32 v55, 0
	v_mov_b32_e32 v106, 0
	;; [unrolled: 1-line block ×11, first 2 shown]
	s_mov_b32 s19, s11
	s_mov_b32 s18, 0
	buffer_store_dword v60, off, s[36:39], 0 offset:256 ; 4-byte Folded Spill
	s_waitcnt vmcnt(0)
	v_lshl_or_b32 v1, v5, 7, v1
	v_lshl_or_b32 v0, v5, 5, v2
	v_and_b32_e32 v2, 0x7c, v26
	v_add_nc_u32_e32 v6, 0x220, v1
	v_lshlrev_b32_e32 v1, 1, v3
	v_add_co_u32 v7, s1, s1, v2
	v_add_co_ci_u32_e64 v8, null, s2, 0, s1
	buffer_store_dword v1, off, s[36:39], 0 offset:240 ; 4-byte Folded Spill
	v_lshlrev_b32_e32 v1, 1, v4
	buffer_store_dword v1, off, s[36:39], 0 offset:244 ; 4-byte Folded Spill
	v_mov_b32_e32 v1, 0
	buffer_store_dword v1, off, s[36:39], 0 offset:96 ; 4-byte Folded Spill
	v_mov_b32_e32 v1, 0
	;; [unrolled: 2-line block ×21, first 2 shown]
	buffer_store_dword v1, off, s[36:39], 0 offset:168 ; 4-byte Folded Spill
	s_branch .LBB161_26
.LBB161_25:                             ;   in Loop: Header=BB161_26 Depth=1
	s_or_b32 exec_lo, exec_lo, s3
	s_waitcnt lgkmcnt(1)
	v_bfe_u32 v13, v105, 16, 1
	v_or_b32_e32 v14, 0x400000, v105
	v_cmp_u_f32_e32 vcc_lo, v105, v105
	v_or_b32_e32 v15, 0x400000, v106
	v_or_b32_e32 v16, 0x400000, v107
	v_add3_u32 v13, v13, v105, 0x7fff
	v_or_b32_e32 v17, 0x400000, v108
	s_waitcnt lgkmcnt(0)
	v_or_b32_e32 v18, 0x400000, v101
	v_or_b32_e32 v19, 0x400000, v102
	;; [unrolled: 1-line block ×3, first 2 shown]
	v_cndmask_b32_e32 v13, v13, v14, vcc_lo
	v_bfe_u32 v14, v106, 16, 1
	v_cmp_u_f32_e32 vcc_lo, v106, v106
	v_add_nc_u32_e32 v0, 0x80, v0
	v_and_b32_e32 v105, 0xffff0000, v13
	v_add3_u32 v14, v14, v106, 0x7fff
	v_cndmask_b32_e32 v14, v14, v15, vcc_lo
	v_bfe_u32 v15, v107, 16, 1
	v_cmp_u_f32_e32 vcc_lo, v107, v107
	v_add3_u32 v15, v15, v107, 0x7fff
	buffer_load_dword v107, off, s[36:39], 0 offset:188 ; 4-byte Folded Reload
	v_cndmask_b32_e32 v15, v15, v16, vcc_lo
	v_bfe_u32 v16, v108, 16, 1
	v_cmp_u_f32_e32 vcc_lo, v108, v108
	v_add3_u32 v16, v16, v108, 0x7fff
	buffer_load_dword v108, off, s[36:39], 0 offset:192 ; 4-byte Folded Reload
	v_cndmask_b32_e32 v16, v16, v17, vcc_lo
	v_bfe_u32 v17, v101, 16, 1
	v_cmp_u_f32_e32 vcc_lo, v101, v101
	v_add3_u32 v17, v17, v101, 0x7fff
	v_or_b32_e32 v101, 0x400000, v104
	v_cndmask_b32_e32 v17, v17, v18, vcc_lo
	v_bfe_u32 v18, v102, 16, 1
	v_cmp_u_f32_e32 vcc_lo, v102, v102
	v_add3_u32 v18, v18, v102, 0x7fff
	v_and_b32_e32 v102, 0xffff0000, v14
	v_and_b32_e32 v14, 0xffff0000, v9
	v_lshlrev_b32_e32 v9, 16, v9
	v_cndmask_b32_e32 v18, v18, v19, vcc_lo
	v_bfe_u32 v19, v103, 16, 1
	v_cmp_u_f32_e32 vcc_lo, v103, v103
	v_mul_f32_e32 v14, v102, v14
	v_mul_f32_e32 v9, v105, v9
	v_add3_u32 v19, v19, v103, 0x7fff
	v_or_b32_e32 v103, 0x400000, v14
	v_bfe_u32 v13, v9, 16, 1
	v_cndmask_b32_e32 v19, v19, v20, vcc_lo
	v_bfe_u32 v20, v104, 16, 1
	v_cmp_u_f32_e32 vcc_lo, v104, v104
	v_add3_u32 v13, v13, v9, 0x7fff
	v_add3_u32 v20, v20, v104, 0x7fff
	v_and_b32_e32 v104, 0xffff0000, v15
	v_cndmask_b32_e32 v20, v20, v101, vcc_lo
	v_bfe_u32 v101, v14, 16, 1
	v_cmp_u_f32_e32 vcc_lo, v14, v14
	v_add3_u32 v101, v101, v14, 0x7fff
	v_cndmask_b32_e32 v14, v101, v103, vcc_lo
	v_or_b32_e32 v101, 0x400000, v9
	v_cmp_u_f32_e32 vcc_lo, v9, v9
	v_and_b32_e32 v9, 0xffff0000, v10
	v_and_b32_e32 v14, 0xffff0000, v14
	v_cndmask_b32_e32 v13, v13, v101, vcc_lo
	v_and_b32_e32 v101, 0xffff0000, v16
	v_and_b32_e32 v13, 0xffff0000, v13
	v_mul_f32_e32 v9, v101, v9
	v_add_f32_e32 v13, v13, v14
	v_bfe_u32 v16, v9, 16, 1
	v_or_b32_e32 v103, 0x400000, v9
	v_cmp_u_f32_e32 vcc_lo, v9, v9
	v_add3_u32 v16, v16, v9, 0x7fff
	v_lshlrev_b32_e32 v9, 16, v10
	v_cndmask_b32_e32 v16, v16, v103, vcc_lo
	v_mul_f32_e32 v9, v104, v9
	v_bfe_u32 v10, v9, 16, 1
	v_or_b32_e32 v15, 0x400000, v9
	v_cmp_u_f32_e32 vcc_lo, v9, v9
	v_add3_u32 v10, v10, v9, 0x7fff
	v_and_b32_e32 v9, 0xffff0000, v11
	v_cndmask_b32_e32 v15, v10, v15, vcc_lo
	v_and_b32_e32 v10, 0xffff0000, v18
	v_and_b32_e32 v14, 0xffff0000, v15
	v_mul_f32_e32 v9, v10, v9
	v_and_b32_e32 v15, 0xffff0000, v16
	v_bfe_u32 v18, v9, 16, 1
	v_or_b32_e32 v103, 0x400000, v9
	v_cmp_u_f32_e32 vcc_lo, v9, v9
	v_add_f32_e32 v14, v14, v15
	v_add3_u32 v18, v18, v9, 0x7fff
	v_lshlrev_b32_e32 v9, 16, v11
	v_add_f32_e32 v13, v14, v13
	v_cndmask_b32_e32 v18, v18, v103, vcc_lo
	v_and_b32_e32 v103, 0xffff0000, v17
	v_and_b32_e32 v15, 0xffff0000, v18
	v_mul_f32_e32 v9, v103, v9
	buffer_load_dword v18, off, s[36:39], 0 offset:216 ; 4-byte Folded Reload
	v_bfe_u32 v11, v9, 16, 1
	v_or_b32_e32 v17, 0x400000, v9
	v_cmp_u_f32_e32 vcc_lo, v9, v9
	v_add3_u32 v11, v11, v9, 0x7fff
	v_and_b32_e32 v9, 0xffff0000, v20
	v_cndmask_b32_e32 v17, v11, v17, vcc_lo
	v_and_b32_e32 v11, 0xffff0000, v12
	v_lshlrev_b32_e32 v12, 16, v12
	v_and_b32_e32 v14, 0xffff0000, v17
	v_mul_f32_e32 v11, v9, v11
	v_add_f32_e32 v14, v14, v15
	v_bfe_u32 v20, v11, 16, 1
	v_or_b32_e32 v106, 0x400000, v11
	v_cmp_u_f32_e32 vcc_lo, v11, v11
	v_add_f32_e32 v13, v14, v13
	v_add3_u32 v20, v20, v11, 0x7fff
	v_and_b32_e32 v11, 0xffff0000, v19
	v_cndmask_b32_e32 v20, v20, v106, vcc_lo
	v_mul_f32_e32 v12, v11, v12
	v_and_b32_e32 v14, 0xffff0000, v20
	v_bfe_u32 v19, v12, 16, 1
	v_or_b32_e32 v106, 0x400000, v12
	v_cmp_u_f32_e32 vcc_lo, v12, v12
	buffer_load_dword v20, off, s[36:39], 0 offset:208 ; 4-byte Folded Reload
	v_add3_u32 v19, v19, v12, 0x7fff
	v_cndmask_b32_e32 v12, v19, v106, vcc_lo
	s_clause 0x1
	buffer_load_dword v106, off, s[36:39], 0 offset:184
	buffer_load_dword v19, off, s[36:39], 0 offset:220
	v_and_b32_e32 v12, 0xffff0000, v12
	v_add_f32_e32 v12, v12, v14
	v_add_f32_e32 v12, v12, v13
	s_waitcnt vmcnt(1)
	v_add_f32_e32 v106, v106, v12
	v_and_b32_e32 v12, 0xffff0000, v5
	v_lshlrev_b32_e32 v5, 16, v5
	v_mul_f32_e32 v12, v102, v12
	v_mul_f32_e32 v5, v105, v5
	v_bfe_u32 v13, v12, 16, 1
	v_or_b32_e32 v14, 0x400000, v12
	v_cmp_u_f32_e32 vcc_lo, v12, v12
	v_add3_u32 v13, v13, v12, 0x7fff
	v_cndmask_b32_e32 v12, v13, v14, vcc_lo
	v_bfe_u32 v13, v5, 16, 1
	v_or_b32_e32 v14, 0x400000, v5
	v_cmp_u_f32_e32 vcc_lo, v5, v5
	v_and_b32_e32 v12, 0xffff0000, v12
	v_add3_u32 v13, v13, v5, 0x7fff
	v_cndmask_b32_e32 v5, v13, v14, vcc_lo
	v_and_b32_e32 v13, 0xffff0000, v6
	v_lshlrev_b32_e32 v6, 16, v6
	v_and_b32_e32 v5, 0xffff0000, v5
	v_mul_f32_e32 v13, v101, v13
	v_mul_f32_e32 v6, v104, v6
	v_add_f32_e32 v5, v5, v12
	v_bfe_u32 v14, v13, 16, 1
	v_or_b32_e32 v15, 0x400000, v13
	v_cmp_u_f32_e32 vcc_lo, v13, v13
	v_add3_u32 v14, v14, v13, 0x7fff
	v_cndmask_b32_e32 v13, v14, v15, vcc_lo
	v_bfe_u32 v14, v6, 16, 1
	v_or_b32_e32 v15, 0x400000, v6
	v_cmp_u_f32_e32 vcc_lo, v6, v6
	v_and_b32_e32 v12, 0xffff0000, v13
	v_add3_u32 v14, v14, v6, 0x7fff
	v_cndmask_b32_e32 v6, v14, v15, vcc_lo
	v_and_b32_e32 v14, 0xffff0000, v7
	v_lshlrev_b32_e32 v7, 16, v7
	v_and_b32_e32 v6, 0xffff0000, v6
	v_mul_f32_e32 v14, v10, v14
	v_mul_f32_e32 v7, v103, v7
	v_add_f32_e32 v6, v6, v12
	v_bfe_u32 v15, v14, 16, 1
	v_or_b32_e32 v16, 0x400000, v14
	v_cmp_u_f32_e32 vcc_lo, v14, v14
	v_add_f32_e32 v5, v6, v5
	v_add3_u32 v15, v15, v14, 0x7fff
	v_cndmask_b32_e32 v14, v15, v16, vcc_lo
	v_bfe_u32 v15, v7, 16, 1
	v_or_b32_e32 v16, 0x400000, v7
	v_cmp_u_f32_e32 vcc_lo, v7, v7
	v_add3_u32 v15, v15, v7, 0x7fff
	v_cndmask_b32_e32 v7, v15, v16, vcc_lo
	v_and_b32_e32 v15, 0xffff0000, v8
	v_lshlrev_b32_e32 v8, 16, v8
	v_and_b32_e32 v6, 0xffff0000, v7
	v_mul_f32_e32 v15, v9, v15
	v_mul_f32_e32 v8, v11, v8
	v_and_b32_e32 v7, 0xffff0000, v14
	buffer_load_dword v14, off, s[36:39], 0 offset:196 ; 4-byte Folded Reload
	v_bfe_u32 v16, v15, 16, 1
	v_or_b32_e32 v17, 0x400000, v15
	v_cmp_u_f32_e32 vcc_lo, v15, v15
	v_add_f32_e32 v6, v6, v7
	v_add3_u32 v16, v16, v15, 0x7fff
	v_add_f32_e32 v5, v6, v5
	v_cndmask_b32_e32 v15, v16, v17, vcc_lo
	v_bfe_u32 v16, v8, 16, 1
	v_or_b32_e32 v17, 0x400000, v8
	v_cmp_u_f32_e32 vcc_lo, v8, v8
	v_and_b32_e32 v7, 0xffff0000, v15
	v_add3_u32 v16, v16, v8, 0x7fff
	buffer_load_dword v15, off, s[36:39], 0 offset:200 ; 4-byte Folded Reload
	v_cndmask_b32_e32 v8, v16, v17, vcc_lo
	s_clause 0x1
	buffer_load_dword v16, off, s[36:39], 0 offset:204
	buffer_load_dword v17, off, s[36:39], 0 offset:212
	v_and_b32_e32 v6, 0xffff0000, v8
	v_add_f32_e32 v6, v6, v7
	v_add_f32_e32 v5, v6, v5
	;; [unrolled: 1-line block ×3, first 2 shown]
	v_and_b32_e32 v5, 0xffff0000, v1
	v_lshlrev_b32_e32 v1, 16, v1
	v_mul_f32_e32 v5, v102, v5
	v_mul_f32_e32 v1, v105, v1
	v_bfe_u32 v6, v5, 16, 1
	v_or_b32_e32 v7, 0x400000, v5
	v_cmp_u_f32_e32 vcc_lo, v5, v5
	v_add3_u32 v6, v6, v5, 0x7fff
	v_cndmask_b32_e32 v5, v6, v7, vcc_lo
	v_bfe_u32 v6, v1, 16, 1
	v_or_b32_e32 v7, 0x400000, v1
	v_cmp_u_f32_e32 vcc_lo, v1, v1
	v_and_b32_e32 v5, 0xffff0000, v5
	v_add3_u32 v6, v6, v1, 0x7fff
	v_cndmask_b32_e32 v1, v6, v7, vcc_lo
	v_and_b32_e32 v6, 0xffff0000, v2
	v_lshlrev_b32_e32 v2, 16, v2
	v_and_b32_e32 v1, 0xffff0000, v1
	v_mul_f32_e32 v6, v101, v6
	v_mul_f32_e32 v2, v104, v2
	v_add_f32_e32 v1, v1, v5
	v_bfe_u32 v7, v6, 16, 1
	v_or_b32_e32 v8, 0x400000, v6
	v_cmp_u_f32_e32 vcc_lo, v6, v6
	v_add3_u32 v7, v7, v6, 0x7fff
	v_cndmask_b32_e32 v6, v7, v8, vcc_lo
	v_bfe_u32 v7, v2, 16, 1
	v_or_b32_e32 v8, 0x400000, v2
	v_cmp_u_f32_e32 vcc_lo, v2, v2
	v_and_b32_e32 v5, 0xffff0000, v6
	v_add3_u32 v7, v7, v2, 0x7fff
	v_cndmask_b32_e32 v2, v7, v8, vcc_lo
	v_and_b32_e32 v7, 0xffff0000, v3
	v_lshlrev_b32_e32 v3, 16, v3
	v_and_b32_e32 v2, 0xffff0000, v2
	v_mul_f32_e32 v7, v10, v7
	v_mul_f32_e32 v3, v103, v3
	v_add_f32_e32 v2, v2, v5
	v_bfe_u32 v8, v7, 16, 1
	v_or_b32_e32 v12, 0x400000, v7
	v_cmp_u_f32_e32 vcc_lo, v7, v7
	v_add_f32_e32 v1, v2, v1
	v_add3_u32 v8, v8, v7, 0x7fff
	v_cndmask_b32_e32 v7, v8, v12, vcc_lo
	v_bfe_u32 v8, v3, 16, 1
	v_or_b32_e32 v12, 0x400000, v3
	v_cmp_u_f32_e32 vcc_lo, v3, v3
	v_add3_u32 v8, v8, v3, 0x7fff
	v_cndmask_b32_e32 v3, v8, v12, vcc_lo
	v_and_b32_e32 v8, 0xffff0000, v4
	v_lshlrev_b32_e32 v4, 16, v4
	v_and_b32_e32 v2, 0xffff0000, v3
	v_mul_f32_e32 v8, v9, v8
	v_mul_f32_e32 v4, v11, v4
	v_and_b32_e32 v3, 0xffff0000, v7
	v_bfe_u32 v12, v8, 16, 1
	v_or_b32_e32 v13, 0x400000, v8
	v_cmp_u_f32_e32 vcc_lo, v8, v8
	v_add_f32_e32 v2, v2, v3
	v_add3_u32 v12, v12, v8, 0x7fff
	v_add_f32_e32 v1, v2, v1
	v_cndmask_b32_e32 v8, v12, v13, vcc_lo
	v_bfe_u32 v12, v4, 16, 1
	v_or_b32_e32 v13, 0x400000, v4
	v_cmp_u_f32_e32 vcc_lo, v4, v4
	v_and_b32_e32 v3, 0xffff0000, v8
	v_add3_u32 v12, v12, v4, 0x7fff
	v_cndmask_b32_e32 v4, v12, v13, vcc_lo
	v_and_b32_e32 v2, 0xffff0000, v4
	v_add_f32_e32 v2, v2, v3
	v_add_f32_e32 v1, v2, v1
	;; [unrolled: 1-line block ×3, first 2 shown]
	v_and_b32_e32 v1, 0xffff0000, v121
	v_mul_f32_e32 v1, v102, v1
	v_bfe_u32 v2, v1, 16, 1
	v_or_b32_e32 v3, 0x400000, v1
	v_cmp_u_f32_e32 vcc_lo, v1, v1
	v_add3_u32 v2, v2, v1, 0x7fff
	v_cndmask_b32_e32 v1, v2, v3, vcc_lo
	v_lshlrev_b32_e32 v2, 16, v121
	v_and_b32_e32 v1, 0xffff0000, v1
	v_mul_f32_e32 v2, v105, v2
	v_bfe_u32 v3, v2, 16, 1
	v_or_b32_e32 v4, 0x400000, v2
	v_cmp_u_f32_e32 vcc_lo, v2, v2
	v_add3_u32 v3, v3, v2, 0x7fff
	v_cndmask_b32_e32 v2, v3, v4, vcc_lo
	v_and_b32_e32 v3, 0xffff0000, v122
	v_and_b32_e32 v2, 0xffff0000, v2
	v_mul_f32_e32 v3, v101, v3
	v_add_f32_e32 v1, v2, v1
	v_bfe_u32 v4, v3, 16, 1
	v_or_b32_e32 v5, 0x400000, v3
	v_cmp_u_f32_e32 vcc_lo, v3, v3
	v_add3_u32 v4, v4, v3, 0x7fff
	v_cndmask_b32_e32 v3, v4, v5, vcc_lo
	v_lshlrev_b32_e32 v4, 16, v122
	v_and_b32_e32 v3, 0xffff0000, v3
	v_mul_f32_e32 v4, v104, v4
	v_bfe_u32 v5, v4, 16, 1
	v_or_b32_e32 v6, 0x400000, v4
	v_cmp_u_f32_e32 vcc_lo, v4, v4
	v_add3_u32 v5, v5, v4, 0x7fff
	v_cndmask_b32_e32 v4, v5, v6, vcc_lo
	v_and_b32_e32 v5, 0xffff0000, v123
	v_and_b32_e32 v2, 0xffff0000, v4
	v_mul_f32_e32 v5, v10, v5
	v_add_f32_e32 v2, v2, v3
	v_bfe_u32 v6, v5, 16, 1
	v_or_b32_e32 v7, 0x400000, v5
	v_cmp_u_f32_e32 vcc_lo, v5, v5
	v_add_f32_e32 v1, v2, v1
	v_add3_u32 v6, v6, v5, 0x7fff
	v_cndmask_b32_e32 v5, v6, v7, vcc_lo
	v_lshlrev_b32_e32 v6, 16, v123
	v_and_b32_e32 v3, 0xffff0000, v5
	v_mul_f32_e32 v6, v103, v6
	v_bfe_u32 v7, v6, 16, 1
	v_or_b32_e32 v8, 0x400000, v6
	v_cmp_u_f32_e32 vcc_lo, v6, v6
	v_add3_u32 v7, v7, v6, 0x7fff
	v_cndmask_b32_e32 v6, v7, v8, vcc_lo
	v_and_b32_e32 v7, 0xffff0000, v124
	v_and_b32_e32 v2, 0xffff0000, v6
	v_mul_f32_e32 v7, v9, v7
	v_add_f32_e32 v2, v2, v3
	v_bfe_u32 v8, v7, 16, 1
	v_or_b32_e32 v12, 0x400000, v7
	v_cmp_u_f32_e32 vcc_lo, v7, v7
	v_add_f32_e32 v1, v2, v1
	v_add3_u32 v8, v8, v7, 0x7fff
	v_cndmask_b32_e32 v7, v8, v12, vcc_lo
	v_lshlrev_b32_e32 v8, 16, v124
	v_and_b32_e32 v3, 0xffff0000, v7
	v_mul_f32_e32 v8, v11, v8
	v_bfe_u32 v12, v8, 16, 1
	v_or_b32_e32 v13, 0x400000, v8
	v_cmp_u_f32_e32 vcc_lo, v8, v8
	v_add3_u32 v12, v12, v8, 0x7fff
	v_cndmask_b32_e32 v8, v12, v13, vcc_lo
	v_and_b32_e32 v2, 0xffff0000, v8
	v_add_f32_e32 v2, v2, v3
	v_add_f32_e32 v1, v2, v1
	buffer_load_dword v2, off, s[36:39], 0 offset:96 ; 4-byte Folded Reload
	s_waitcnt vmcnt(0)
	v_add_f32_e32 v2, v2, v1
	v_and_b32_e32 v1, 0xffff0000, v117
	buffer_store_dword v2, off, s[36:39], 0 offset:96 ; 4-byte Folded Spill
	v_mul_f32_e32 v1, v102, v1
	v_bfe_u32 v2, v1, 16, 1
	v_or_b32_e32 v3, 0x400000, v1
	v_cmp_u_f32_e32 vcc_lo, v1, v1
	v_add3_u32 v2, v2, v1, 0x7fff
	v_cndmask_b32_e32 v1, v2, v3, vcc_lo
	v_lshlrev_b32_e32 v2, 16, v117
	v_and_b32_e32 v1, 0xffff0000, v1
	v_mul_f32_e32 v2, v105, v2
	v_bfe_u32 v3, v2, 16, 1
	v_or_b32_e32 v4, 0x400000, v2
	v_cmp_u_f32_e32 vcc_lo, v2, v2
	v_add3_u32 v3, v3, v2, 0x7fff
	v_cndmask_b32_e32 v2, v3, v4, vcc_lo
	v_and_b32_e32 v3, 0xffff0000, v118
	v_and_b32_e32 v2, 0xffff0000, v2
	v_mul_f32_e32 v3, v101, v3
	v_add_f32_e32 v1, v2, v1
	v_bfe_u32 v4, v3, 16, 1
	v_or_b32_e32 v5, 0x400000, v3
	v_cmp_u_f32_e32 vcc_lo, v3, v3
	v_add3_u32 v4, v4, v3, 0x7fff
	v_cndmask_b32_e32 v3, v4, v5, vcc_lo
	v_lshlrev_b32_e32 v4, 16, v118
	v_and_b32_e32 v3, 0xffff0000, v3
	v_mul_f32_e32 v4, v104, v4
	v_bfe_u32 v5, v4, 16, 1
	v_or_b32_e32 v6, 0x400000, v4
	v_cmp_u_f32_e32 vcc_lo, v4, v4
	v_add3_u32 v5, v5, v4, 0x7fff
	v_cndmask_b32_e32 v4, v5, v6, vcc_lo
	v_and_b32_e32 v5, 0xffff0000, v119
	v_and_b32_e32 v2, 0xffff0000, v4
	v_mul_f32_e32 v5, v10, v5
	v_add_f32_e32 v2, v2, v3
	v_bfe_u32 v6, v5, 16, 1
	v_or_b32_e32 v7, 0x400000, v5
	v_cmp_u_f32_e32 vcc_lo, v5, v5
	v_add_f32_e32 v1, v2, v1
	v_add3_u32 v6, v6, v5, 0x7fff
	v_cndmask_b32_e32 v5, v6, v7, vcc_lo
	v_lshlrev_b32_e32 v6, 16, v119
	v_and_b32_e32 v3, 0xffff0000, v5
	v_mul_f32_e32 v6, v103, v6
	v_bfe_u32 v7, v6, 16, 1
	v_or_b32_e32 v8, 0x400000, v6
	v_cmp_u_f32_e32 vcc_lo, v6, v6
	v_add3_u32 v7, v7, v6, 0x7fff
	v_cndmask_b32_e32 v6, v7, v8, vcc_lo
	v_and_b32_e32 v7, 0xffff0000, v120
	v_and_b32_e32 v2, 0xffff0000, v6
	v_mul_f32_e32 v7, v9, v7
	v_add_f32_e32 v2, v2, v3
	v_bfe_u32 v8, v7, 16, 1
	v_or_b32_e32 v12, 0x400000, v7
	v_cmp_u_f32_e32 vcc_lo, v7, v7
	v_add_f32_e32 v1, v2, v1
	v_add3_u32 v8, v8, v7, 0x7fff
	v_cndmask_b32_e32 v7, v8, v12, vcc_lo
	v_lshlrev_b32_e32 v8, 16, v120
	v_and_b32_e32 v3, 0xffff0000, v7
	v_mul_f32_e32 v8, v11, v8
	v_bfe_u32 v12, v8, 16, 1
	v_or_b32_e32 v13, 0x400000, v8
	v_cmp_u_f32_e32 vcc_lo, v8, v8
	v_add3_u32 v12, v12, v8, 0x7fff
	v_cndmask_b32_e32 v8, v12, v13, vcc_lo
	v_and_b32_e32 v2, 0xffff0000, v8
	v_add_f32_e32 v2, v2, v3
	v_add_f32_e32 v1, v2, v1
	buffer_load_dword v2, off, s[36:39], 0 offset:100 ; 4-byte Folded Reload
	s_waitcnt vmcnt(0)
	v_add_f32_e32 v2, v2, v1
	v_and_b32_e32 v1, 0xffff0000, v113
	buffer_store_dword v2, off, s[36:39], 0 offset:100 ; 4-byte Folded Spill
	v_mul_f32_e32 v1, v102, v1
	v_bfe_u32 v2, v1, 16, 1
	v_or_b32_e32 v3, 0x400000, v1
	v_cmp_u_f32_e32 vcc_lo, v1, v1
	v_add3_u32 v2, v2, v1, 0x7fff
	v_cndmask_b32_e32 v1, v2, v3, vcc_lo
	v_lshlrev_b32_e32 v2, 16, v113
	v_and_b32_e32 v1, 0xffff0000, v1
	v_mul_f32_e32 v2, v105, v2
	v_bfe_u32 v3, v2, 16, 1
	v_or_b32_e32 v4, 0x400000, v2
	v_cmp_u_f32_e32 vcc_lo, v2, v2
	v_add3_u32 v3, v3, v2, 0x7fff
	v_cndmask_b32_e32 v2, v3, v4, vcc_lo
	v_and_b32_e32 v3, 0xffff0000, v114
	v_and_b32_e32 v2, 0xffff0000, v2
	v_mul_f32_e32 v3, v101, v3
	v_add_f32_e32 v1, v2, v1
	v_bfe_u32 v4, v3, 16, 1
	v_or_b32_e32 v5, 0x400000, v3
	v_cmp_u_f32_e32 vcc_lo, v3, v3
	v_add3_u32 v4, v4, v3, 0x7fff
	v_cndmask_b32_e32 v3, v4, v5, vcc_lo
	v_lshlrev_b32_e32 v4, 16, v114
	v_and_b32_e32 v3, 0xffff0000, v3
	v_mul_f32_e32 v4, v104, v4
	v_bfe_u32 v5, v4, 16, 1
	v_or_b32_e32 v6, 0x400000, v4
	v_cmp_u_f32_e32 vcc_lo, v4, v4
	v_add3_u32 v5, v5, v4, 0x7fff
	v_cndmask_b32_e32 v4, v5, v6, vcc_lo
	v_and_b32_e32 v5, 0xffff0000, v115
	v_and_b32_e32 v2, 0xffff0000, v4
	v_mul_f32_e32 v5, v10, v5
	v_add_f32_e32 v2, v2, v3
	v_bfe_u32 v6, v5, 16, 1
	v_or_b32_e32 v7, 0x400000, v5
	v_cmp_u_f32_e32 vcc_lo, v5, v5
	v_add_f32_e32 v1, v2, v1
	v_add3_u32 v6, v6, v5, 0x7fff
	v_cndmask_b32_e32 v5, v6, v7, vcc_lo
	v_lshlrev_b32_e32 v6, 16, v115
	v_and_b32_e32 v3, 0xffff0000, v5
	v_mul_f32_e32 v6, v103, v6
	v_bfe_u32 v7, v6, 16, 1
	v_or_b32_e32 v8, 0x400000, v6
	v_cmp_u_f32_e32 vcc_lo, v6, v6
	v_add3_u32 v7, v7, v6, 0x7fff
	v_cndmask_b32_e32 v6, v7, v8, vcc_lo
	v_and_b32_e32 v7, 0xffff0000, v116
	v_and_b32_e32 v2, 0xffff0000, v6
	v_mul_f32_e32 v7, v9, v7
	v_add_f32_e32 v2, v2, v3
	v_bfe_u32 v8, v7, 16, 1
	v_or_b32_e32 v12, 0x400000, v7
	v_cmp_u_f32_e32 vcc_lo, v7, v7
	v_add_f32_e32 v1, v2, v1
	v_add3_u32 v8, v8, v7, 0x7fff
	v_cndmask_b32_e32 v7, v8, v12, vcc_lo
	v_lshlrev_b32_e32 v8, 16, v116
	v_and_b32_e32 v3, 0xffff0000, v7
	v_mul_f32_e32 v8, v11, v8
	v_bfe_u32 v12, v8, 16, 1
	v_or_b32_e32 v13, 0x400000, v8
	v_cmp_u_f32_e32 vcc_lo, v8, v8
	v_add3_u32 v12, v12, v8, 0x7fff
	v_cndmask_b32_e32 v8, v12, v13, vcc_lo
	v_and_b32_e32 v2, 0xffff0000, v8
	v_add_f32_e32 v2, v2, v3
	v_add_f32_e32 v1, v2, v1
	buffer_load_dword v2, off, s[36:39], 0 offset:104 ; 4-byte Folded Reload
	s_waitcnt vmcnt(0)
	v_add_f32_e32 v2, v2, v1
	v_and_b32_e32 v1, 0xffff0000, v109
	buffer_store_dword v2, off, s[36:39], 0 offset:104 ; 4-byte Folded Spill
	v_mul_f32_e32 v1, v102, v1
	v_bfe_u32 v2, v1, 16, 1
	v_or_b32_e32 v3, 0x400000, v1
	v_cmp_u_f32_e32 vcc_lo, v1, v1
	v_add3_u32 v2, v2, v1, 0x7fff
	v_cndmask_b32_e32 v1, v2, v3, vcc_lo
	v_lshlrev_b32_e32 v2, 16, v109
	v_and_b32_e32 v1, 0xffff0000, v1
	v_mul_f32_e32 v2, v105, v2
	v_bfe_u32 v3, v2, 16, 1
	v_or_b32_e32 v4, 0x400000, v2
	v_cmp_u_f32_e32 vcc_lo, v2, v2
	v_add3_u32 v3, v3, v2, 0x7fff
	v_cndmask_b32_e32 v2, v3, v4, vcc_lo
	v_and_b32_e32 v3, 0xffff0000, v110
	v_and_b32_e32 v2, 0xffff0000, v2
	v_mul_f32_e32 v3, v101, v3
	v_add_f32_e32 v1, v2, v1
	v_bfe_u32 v4, v3, 16, 1
	v_or_b32_e32 v5, 0x400000, v3
	v_cmp_u_f32_e32 vcc_lo, v3, v3
	v_add3_u32 v4, v4, v3, 0x7fff
	v_cndmask_b32_e32 v3, v4, v5, vcc_lo
	v_lshlrev_b32_e32 v4, 16, v110
	v_and_b32_e32 v3, 0xffff0000, v3
	v_mul_f32_e32 v4, v104, v4
	v_bfe_u32 v5, v4, 16, 1
	v_or_b32_e32 v6, 0x400000, v4
	v_cmp_u_f32_e32 vcc_lo, v4, v4
	v_add3_u32 v5, v5, v4, 0x7fff
	v_cndmask_b32_e32 v4, v5, v6, vcc_lo
	v_and_b32_e32 v5, 0xffff0000, v111
	v_and_b32_e32 v2, 0xffff0000, v4
	v_mul_f32_e32 v5, v10, v5
	v_add_f32_e32 v2, v2, v3
	v_bfe_u32 v6, v5, 16, 1
	v_or_b32_e32 v7, 0x400000, v5
	v_cmp_u_f32_e32 vcc_lo, v5, v5
	v_add_f32_e32 v1, v2, v1
	v_add3_u32 v6, v6, v5, 0x7fff
	v_cndmask_b32_e32 v5, v6, v7, vcc_lo
	v_lshlrev_b32_e32 v6, 16, v111
	v_and_b32_e32 v3, 0xffff0000, v5
	v_mul_f32_e32 v6, v103, v6
	v_bfe_u32 v7, v6, 16, 1
	v_or_b32_e32 v8, 0x400000, v6
	v_cmp_u_f32_e32 vcc_lo, v6, v6
	v_add3_u32 v7, v7, v6, 0x7fff
	v_cndmask_b32_e32 v6, v7, v8, vcc_lo
	v_and_b32_e32 v7, 0xffff0000, v112
	v_and_b32_e32 v2, 0xffff0000, v6
	v_mul_f32_e32 v7, v9, v7
	v_add_f32_e32 v2, v2, v3
	v_bfe_u32 v8, v7, 16, 1
	v_or_b32_e32 v12, 0x400000, v7
	v_cmp_u_f32_e32 vcc_lo, v7, v7
	v_add_f32_e32 v1, v2, v1
	v_add3_u32 v8, v8, v7, 0x7fff
	v_cndmask_b32_e32 v7, v8, v12, vcc_lo
	v_lshlrev_b32_e32 v8, 16, v112
	v_and_b32_e32 v3, 0xffff0000, v7
	v_mul_f32_e32 v8, v11, v8
	v_bfe_u32 v12, v8, 16, 1
	v_or_b32_e32 v13, 0x400000, v8
	v_cmp_u_f32_e32 vcc_lo, v8, v8
	v_add3_u32 v12, v12, v8, 0x7fff
	v_cndmask_b32_e32 v8, v12, v13, vcc_lo
	v_and_b32_e32 v2, 0xffff0000, v8
	v_add_f32_e32 v2, v2, v3
	v_add_f32_e32 v1, v2, v1
	buffer_load_dword v2, off, s[36:39], 0 offset:108 ; 4-byte Folded Reload
	s_waitcnt vmcnt(0)
	v_add_f32_e32 v2, v2, v1
	v_and_b32_e32 v1, 0xffff0000, v97
	buffer_store_dword v2, off, s[36:39], 0 offset:108 ; 4-byte Folded Spill
	v_mul_f32_e32 v1, v102, v1
	v_bfe_u32 v2, v1, 16, 1
	v_or_b32_e32 v3, 0x400000, v1
	v_cmp_u_f32_e32 vcc_lo, v1, v1
	v_add3_u32 v2, v2, v1, 0x7fff
	v_cndmask_b32_e32 v1, v2, v3, vcc_lo
	v_lshlrev_b32_e32 v2, 16, v97
	v_and_b32_e32 v1, 0xffff0000, v1
	v_mul_f32_e32 v2, v105, v2
	v_bfe_u32 v3, v2, 16, 1
	v_or_b32_e32 v4, 0x400000, v2
	v_cmp_u_f32_e32 vcc_lo, v2, v2
	v_add3_u32 v3, v3, v2, 0x7fff
	v_cndmask_b32_e32 v2, v3, v4, vcc_lo
	v_and_b32_e32 v3, 0xffff0000, v98
	v_and_b32_e32 v2, 0xffff0000, v2
	v_mul_f32_e32 v3, v101, v3
	v_add_f32_e32 v1, v2, v1
	v_bfe_u32 v4, v3, 16, 1
	v_or_b32_e32 v5, 0x400000, v3
	v_cmp_u_f32_e32 vcc_lo, v3, v3
	v_add3_u32 v4, v4, v3, 0x7fff
	v_cndmask_b32_e32 v3, v4, v5, vcc_lo
	v_lshlrev_b32_e32 v4, 16, v98
	v_and_b32_e32 v3, 0xffff0000, v3
	v_mul_f32_e32 v4, v104, v4
	v_bfe_u32 v5, v4, 16, 1
	v_or_b32_e32 v6, 0x400000, v4
	v_cmp_u_f32_e32 vcc_lo, v4, v4
	v_add3_u32 v5, v5, v4, 0x7fff
	v_cndmask_b32_e32 v4, v5, v6, vcc_lo
	v_and_b32_e32 v5, 0xffff0000, v99
	v_and_b32_e32 v2, 0xffff0000, v4
	v_mul_f32_e32 v5, v10, v5
	v_add_f32_e32 v2, v2, v3
	v_bfe_u32 v6, v5, 16, 1
	v_or_b32_e32 v7, 0x400000, v5
	v_cmp_u_f32_e32 vcc_lo, v5, v5
	v_add_f32_e32 v1, v2, v1
	v_add3_u32 v6, v6, v5, 0x7fff
	v_cndmask_b32_e32 v5, v6, v7, vcc_lo
	v_lshlrev_b32_e32 v6, 16, v99
	v_and_b32_e32 v3, 0xffff0000, v5
	v_mul_f32_e32 v6, v103, v6
	v_bfe_u32 v7, v6, 16, 1
	v_or_b32_e32 v8, 0x400000, v6
	v_cmp_u_f32_e32 vcc_lo, v6, v6
	v_add3_u32 v7, v7, v6, 0x7fff
	v_cndmask_b32_e32 v6, v7, v8, vcc_lo
	v_and_b32_e32 v7, 0xffff0000, v100
	v_and_b32_e32 v2, 0xffff0000, v6
	v_mul_f32_e32 v7, v9, v7
	v_add_f32_e32 v2, v2, v3
	v_bfe_u32 v8, v7, 16, 1
	v_or_b32_e32 v12, 0x400000, v7
	v_cmp_u_f32_e32 vcc_lo, v7, v7
	v_add_f32_e32 v1, v2, v1
	v_add3_u32 v8, v8, v7, 0x7fff
	v_cndmask_b32_e32 v7, v8, v12, vcc_lo
	v_lshlrev_b32_e32 v8, 16, v100
	v_and_b32_e32 v3, 0xffff0000, v7
	v_mul_f32_e32 v8, v11, v8
	v_bfe_u32 v12, v8, 16, 1
	v_or_b32_e32 v13, 0x400000, v8
	v_cmp_u_f32_e32 vcc_lo, v8, v8
	v_add3_u32 v12, v12, v8, 0x7fff
	v_cndmask_b32_e32 v8, v12, v13, vcc_lo
	v_and_b32_e32 v2, 0xffff0000, v8
	v_add_f32_e32 v2, v2, v3
	v_add_f32_e32 v1, v2, v1
	buffer_load_dword v2, off, s[36:39], 0 offset:112 ; 4-byte Folded Reload
	s_waitcnt vmcnt(0)
	v_add_f32_e32 v2, v2, v1
	v_and_b32_e32 v1, 0xffff0000, v93
	buffer_store_dword v2, off, s[36:39], 0 offset:112 ; 4-byte Folded Spill
	v_mul_f32_e32 v1, v102, v1
	v_bfe_u32 v2, v1, 16, 1
	v_or_b32_e32 v3, 0x400000, v1
	v_cmp_u_f32_e32 vcc_lo, v1, v1
	v_add3_u32 v2, v2, v1, 0x7fff
	v_cndmask_b32_e32 v1, v2, v3, vcc_lo
	v_lshlrev_b32_e32 v2, 16, v93
	v_and_b32_e32 v1, 0xffff0000, v1
	v_mul_f32_e32 v2, v105, v2
	v_bfe_u32 v3, v2, 16, 1
	v_or_b32_e32 v4, 0x400000, v2
	v_cmp_u_f32_e32 vcc_lo, v2, v2
	v_add3_u32 v3, v3, v2, 0x7fff
	v_cndmask_b32_e32 v2, v3, v4, vcc_lo
	v_and_b32_e32 v3, 0xffff0000, v94
	v_and_b32_e32 v2, 0xffff0000, v2
	v_mul_f32_e32 v3, v101, v3
	v_add_f32_e32 v1, v2, v1
	v_bfe_u32 v4, v3, 16, 1
	v_or_b32_e32 v5, 0x400000, v3
	v_cmp_u_f32_e32 vcc_lo, v3, v3
	v_add3_u32 v4, v4, v3, 0x7fff
	v_cndmask_b32_e32 v3, v4, v5, vcc_lo
	v_lshlrev_b32_e32 v4, 16, v94
	v_and_b32_e32 v3, 0xffff0000, v3
	v_mul_f32_e32 v4, v104, v4
	v_bfe_u32 v5, v4, 16, 1
	v_or_b32_e32 v6, 0x400000, v4
	v_cmp_u_f32_e32 vcc_lo, v4, v4
	v_add3_u32 v5, v5, v4, 0x7fff
	v_cndmask_b32_e32 v4, v5, v6, vcc_lo
	v_and_b32_e32 v5, 0xffff0000, v95
	v_and_b32_e32 v2, 0xffff0000, v4
	v_mul_f32_e32 v5, v10, v5
	v_add_f32_e32 v2, v2, v3
	v_bfe_u32 v6, v5, 16, 1
	v_or_b32_e32 v7, 0x400000, v5
	v_cmp_u_f32_e32 vcc_lo, v5, v5
	v_add_f32_e32 v1, v2, v1
	v_add3_u32 v6, v6, v5, 0x7fff
	v_cndmask_b32_e32 v5, v6, v7, vcc_lo
	v_lshlrev_b32_e32 v6, 16, v95
	v_and_b32_e32 v3, 0xffff0000, v5
	v_mul_f32_e32 v6, v103, v6
	v_bfe_u32 v7, v6, 16, 1
	v_or_b32_e32 v8, 0x400000, v6
	v_cmp_u_f32_e32 vcc_lo, v6, v6
	v_add3_u32 v7, v7, v6, 0x7fff
	v_cndmask_b32_e32 v6, v7, v8, vcc_lo
	v_and_b32_e32 v7, 0xffff0000, v96
	v_and_b32_e32 v2, 0xffff0000, v6
	v_mul_f32_e32 v7, v9, v7
	v_add_f32_e32 v2, v2, v3
	v_bfe_u32 v8, v7, 16, 1
	v_or_b32_e32 v12, 0x400000, v7
	v_cmp_u_f32_e32 vcc_lo, v7, v7
	v_add_f32_e32 v1, v2, v1
	v_add3_u32 v8, v8, v7, 0x7fff
	v_cndmask_b32_e32 v7, v8, v12, vcc_lo
	v_lshlrev_b32_e32 v8, 16, v96
	v_and_b32_e32 v3, 0xffff0000, v7
	v_mul_f32_e32 v8, v11, v8
	v_bfe_u32 v12, v8, 16, 1
	v_or_b32_e32 v13, 0x400000, v8
	v_cmp_u_f32_e32 vcc_lo, v8, v8
	v_add3_u32 v12, v12, v8, 0x7fff
	v_cndmask_b32_e32 v8, v12, v13, vcc_lo
	v_and_b32_e32 v2, 0xffff0000, v8
	v_add_f32_e32 v2, v2, v3
	v_add_f32_e32 v1, v2, v1
	buffer_load_dword v2, off, s[36:39], 0 offset:116 ; 4-byte Folded Reload
	s_waitcnt vmcnt(0)
	v_add_f32_e32 v2, v2, v1
	v_and_b32_e32 v1, 0xffff0000, v89
	buffer_store_dword v2, off, s[36:39], 0 offset:116 ; 4-byte Folded Spill
	v_mul_f32_e32 v1, v102, v1
	v_bfe_u32 v2, v1, 16, 1
	v_or_b32_e32 v3, 0x400000, v1
	v_cmp_u_f32_e32 vcc_lo, v1, v1
	v_add3_u32 v2, v2, v1, 0x7fff
	v_cndmask_b32_e32 v1, v2, v3, vcc_lo
	v_lshlrev_b32_e32 v2, 16, v89
	v_and_b32_e32 v1, 0xffff0000, v1
	v_mul_f32_e32 v2, v105, v2
	v_bfe_u32 v3, v2, 16, 1
	v_or_b32_e32 v4, 0x400000, v2
	v_cmp_u_f32_e32 vcc_lo, v2, v2
	v_add3_u32 v3, v3, v2, 0x7fff
	v_cndmask_b32_e32 v2, v3, v4, vcc_lo
	v_and_b32_e32 v3, 0xffff0000, v90
	v_and_b32_e32 v2, 0xffff0000, v2
	v_mul_f32_e32 v3, v101, v3
	v_add_f32_e32 v1, v2, v1
	v_bfe_u32 v4, v3, 16, 1
	v_or_b32_e32 v5, 0x400000, v3
	v_cmp_u_f32_e32 vcc_lo, v3, v3
	v_add3_u32 v4, v4, v3, 0x7fff
	v_cndmask_b32_e32 v3, v4, v5, vcc_lo
	v_lshlrev_b32_e32 v4, 16, v90
	v_and_b32_e32 v3, 0xffff0000, v3
	v_mul_f32_e32 v4, v104, v4
	v_bfe_u32 v5, v4, 16, 1
	v_or_b32_e32 v6, 0x400000, v4
	v_cmp_u_f32_e32 vcc_lo, v4, v4
	v_add3_u32 v5, v5, v4, 0x7fff
	v_cndmask_b32_e32 v4, v5, v6, vcc_lo
	v_and_b32_e32 v5, 0xffff0000, v91
	v_and_b32_e32 v2, 0xffff0000, v4
	v_mul_f32_e32 v5, v10, v5
	v_add_f32_e32 v2, v2, v3
	v_bfe_u32 v6, v5, 16, 1
	v_or_b32_e32 v7, 0x400000, v5
	v_cmp_u_f32_e32 vcc_lo, v5, v5
	v_add_f32_e32 v1, v2, v1
	v_add3_u32 v6, v6, v5, 0x7fff
	v_cndmask_b32_e32 v5, v6, v7, vcc_lo
	v_lshlrev_b32_e32 v6, 16, v91
	v_and_b32_e32 v3, 0xffff0000, v5
	v_mul_f32_e32 v6, v103, v6
	v_bfe_u32 v7, v6, 16, 1
	v_or_b32_e32 v8, 0x400000, v6
	v_cmp_u_f32_e32 vcc_lo, v6, v6
	v_add3_u32 v7, v7, v6, 0x7fff
	v_cndmask_b32_e32 v6, v7, v8, vcc_lo
	v_and_b32_e32 v7, 0xffff0000, v92
	v_and_b32_e32 v2, 0xffff0000, v6
	v_mul_f32_e32 v7, v9, v7
	v_add_f32_e32 v2, v2, v3
	v_bfe_u32 v8, v7, 16, 1
	v_or_b32_e32 v12, 0x400000, v7
	v_cmp_u_f32_e32 vcc_lo, v7, v7
	v_add_f32_e32 v1, v2, v1
	v_add3_u32 v8, v8, v7, 0x7fff
	v_cndmask_b32_e32 v7, v8, v12, vcc_lo
	v_lshlrev_b32_e32 v8, 16, v92
	v_and_b32_e32 v3, 0xffff0000, v7
	v_mul_f32_e32 v8, v11, v8
	v_bfe_u32 v12, v8, 16, 1
	v_or_b32_e32 v13, 0x400000, v8
	v_cmp_u_f32_e32 vcc_lo, v8, v8
	v_add3_u32 v12, v12, v8, 0x7fff
	v_cndmask_b32_e32 v8, v12, v13, vcc_lo
	v_and_b32_e32 v2, 0xffff0000, v8
	v_add_f32_e32 v2, v2, v3
	v_add_f32_e32 v1, v2, v1
	buffer_load_dword v2, off, s[36:39], 0 offset:120 ; 4-byte Folded Reload
	s_waitcnt vmcnt(0)
	v_add_f32_e32 v2, v2, v1
	v_and_b32_e32 v1, 0xffff0000, v85
	buffer_store_dword v2, off, s[36:39], 0 offset:120 ; 4-byte Folded Spill
	v_mul_f32_e32 v1, v102, v1
	v_bfe_u32 v2, v1, 16, 1
	v_or_b32_e32 v3, 0x400000, v1
	v_cmp_u_f32_e32 vcc_lo, v1, v1
	v_add3_u32 v2, v2, v1, 0x7fff
	v_cndmask_b32_e32 v1, v2, v3, vcc_lo
	v_lshlrev_b32_e32 v2, 16, v85
	v_and_b32_e32 v1, 0xffff0000, v1
	v_mul_f32_e32 v2, v105, v2
	v_bfe_u32 v3, v2, 16, 1
	v_or_b32_e32 v4, 0x400000, v2
	v_cmp_u_f32_e32 vcc_lo, v2, v2
	v_add3_u32 v3, v3, v2, 0x7fff
	v_cndmask_b32_e32 v2, v3, v4, vcc_lo
	v_and_b32_e32 v3, 0xffff0000, v86
	v_and_b32_e32 v2, 0xffff0000, v2
	v_mul_f32_e32 v3, v101, v3
	v_add_f32_e32 v1, v2, v1
	v_bfe_u32 v4, v3, 16, 1
	v_or_b32_e32 v5, 0x400000, v3
	v_cmp_u_f32_e32 vcc_lo, v3, v3
	v_add3_u32 v4, v4, v3, 0x7fff
	v_cndmask_b32_e32 v3, v4, v5, vcc_lo
	v_lshlrev_b32_e32 v4, 16, v86
	v_and_b32_e32 v3, 0xffff0000, v3
	v_mul_f32_e32 v4, v104, v4
	v_bfe_u32 v5, v4, 16, 1
	v_or_b32_e32 v6, 0x400000, v4
	v_cmp_u_f32_e32 vcc_lo, v4, v4
	v_add3_u32 v5, v5, v4, 0x7fff
	v_cndmask_b32_e32 v4, v5, v6, vcc_lo
	v_and_b32_e32 v5, 0xffff0000, v87
	v_and_b32_e32 v2, 0xffff0000, v4
	v_mul_f32_e32 v5, v10, v5
	v_add_f32_e32 v2, v2, v3
	v_bfe_u32 v6, v5, 16, 1
	v_or_b32_e32 v7, 0x400000, v5
	v_cmp_u_f32_e32 vcc_lo, v5, v5
	v_add_f32_e32 v1, v2, v1
	v_add3_u32 v6, v6, v5, 0x7fff
	v_cndmask_b32_e32 v5, v6, v7, vcc_lo
	v_lshlrev_b32_e32 v6, 16, v87
	v_and_b32_e32 v3, 0xffff0000, v5
	v_mul_f32_e32 v6, v103, v6
	v_bfe_u32 v7, v6, 16, 1
	v_or_b32_e32 v8, 0x400000, v6
	v_cmp_u_f32_e32 vcc_lo, v6, v6
	v_add3_u32 v7, v7, v6, 0x7fff
	v_cndmask_b32_e32 v6, v7, v8, vcc_lo
	v_and_b32_e32 v7, 0xffff0000, v88
	v_and_b32_e32 v2, 0xffff0000, v6
	v_mul_f32_e32 v7, v9, v7
	v_add_f32_e32 v2, v2, v3
	v_bfe_u32 v8, v7, 16, 1
	v_or_b32_e32 v12, 0x400000, v7
	v_cmp_u_f32_e32 vcc_lo, v7, v7
	v_add_f32_e32 v1, v2, v1
	v_add3_u32 v8, v8, v7, 0x7fff
	v_cndmask_b32_e32 v7, v8, v12, vcc_lo
	v_lshlrev_b32_e32 v8, 16, v88
	v_and_b32_e32 v3, 0xffff0000, v7
	v_mul_f32_e32 v8, v11, v8
	v_bfe_u32 v12, v8, 16, 1
	v_or_b32_e32 v13, 0x400000, v8
	v_cmp_u_f32_e32 vcc_lo, v8, v8
	v_add3_u32 v12, v12, v8, 0x7fff
	v_cndmask_b32_e32 v8, v12, v13, vcc_lo
	v_and_b32_e32 v2, 0xffff0000, v8
	v_add_f32_e32 v2, v2, v3
	v_add_f32_e32 v1, v2, v1
	buffer_load_dword v2, off, s[36:39], 0 offset:124 ; 4-byte Folded Reload
	s_waitcnt vmcnt(0)
	v_add_f32_e32 v2, v2, v1
	v_and_b32_e32 v1, 0xffff0000, v81
	buffer_store_dword v2, off, s[36:39], 0 offset:124 ; 4-byte Folded Spill
	v_mul_f32_e32 v1, v102, v1
	v_bfe_u32 v2, v1, 16, 1
	v_or_b32_e32 v3, 0x400000, v1
	v_cmp_u_f32_e32 vcc_lo, v1, v1
	v_add3_u32 v2, v2, v1, 0x7fff
	v_cndmask_b32_e32 v1, v2, v3, vcc_lo
	v_lshlrev_b32_e32 v2, 16, v81
	v_and_b32_e32 v1, 0xffff0000, v1
	v_mul_f32_e32 v2, v105, v2
	v_bfe_u32 v3, v2, 16, 1
	v_or_b32_e32 v4, 0x400000, v2
	v_cmp_u_f32_e32 vcc_lo, v2, v2
	v_add3_u32 v3, v3, v2, 0x7fff
	v_cndmask_b32_e32 v2, v3, v4, vcc_lo
	v_and_b32_e32 v3, 0xffff0000, v82
	v_and_b32_e32 v2, 0xffff0000, v2
	v_mul_f32_e32 v3, v101, v3
	v_add_f32_e32 v1, v2, v1
	v_bfe_u32 v4, v3, 16, 1
	v_or_b32_e32 v5, 0x400000, v3
	v_cmp_u_f32_e32 vcc_lo, v3, v3
	v_add3_u32 v4, v4, v3, 0x7fff
	v_cndmask_b32_e32 v3, v4, v5, vcc_lo
	v_lshlrev_b32_e32 v4, 16, v82
	v_and_b32_e32 v3, 0xffff0000, v3
	v_mul_f32_e32 v4, v104, v4
	v_bfe_u32 v5, v4, 16, 1
	v_or_b32_e32 v6, 0x400000, v4
	v_cmp_u_f32_e32 vcc_lo, v4, v4
	v_add3_u32 v5, v5, v4, 0x7fff
	v_cndmask_b32_e32 v4, v5, v6, vcc_lo
	v_and_b32_e32 v5, 0xffff0000, v83
	v_and_b32_e32 v2, 0xffff0000, v4
	v_mul_f32_e32 v5, v10, v5
	v_add_f32_e32 v2, v2, v3
	v_bfe_u32 v6, v5, 16, 1
	v_or_b32_e32 v7, 0x400000, v5
	v_cmp_u_f32_e32 vcc_lo, v5, v5
	v_add_f32_e32 v1, v2, v1
	v_add3_u32 v6, v6, v5, 0x7fff
	v_cndmask_b32_e32 v5, v6, v7, vcc_lo
	v_lshlrev_b32_e32 v6, 16, v83
	v_and_b32_e32 v3, 0xffff0000, v5
	v_mul_f32_e32 v6, v103, v6
	v_bfe_u32 v7, v6, 16, 1
	v_or_b32_e32 v8, 0x400000, v6
	v_cmp_u_f32_e32 vcc_lo, v6, v6
	v_add3_u32 v7, v7, v6, 0x7fff
	v_cndmask_b32_e32 v6, v7, v8, vcc_lo
	v_and_b32_e32 v7, 0xffff0000, v84
	v_and_b32_e32 v2, 0xffff0000, v6
	v_mul_f32_e32 v7, v9, v7
	v_add_f32_e32 v2, v2, v3
	v_bfe_u32 v8, v7, 16, 1
	v_or_b32_e32 v12, 0x400000, v7
	v_cmp_u_f32_e32 vcc_lo, v7, v7
	v_add_f32_e32 v1, v2, v1
	v_add3_u32 v8, v8, v7, 0x7fff
	v_cndmask_b32_e32 v7, v8, v12, vcc_lo
	v_lshlrev_b32_e32 v8, 16, v84
	v_and_b32_e32 v3, 0xffff0000, v7
	v_mul_f32_e32 v8, v11, v8
	v_bfe_u32 v12, v8, 16, 1
	v_or_b32_e32 v13, 0x400000, v8
	v_cmp_u_f32_e32 vcc_lo, v8, v8
	v_add3_u32 v12, v12, v8, 0x7fff
	v_cndmask_b32_e32 v8, v12, v13, vcc_lo
	v_and_b32_e32 v2, 0xffff0000, v8
	v_add_f32_e32 v2, v2, v3
	v_add_f32_e32 v1, v2, v1
	buffer_load_dword v2, off, s[36:39], 0 offset:128 ; 4-byte Folded Reload
	s_waitcnt vmcnt(0)
	v_add_f32_e32 v2, v2, v1
	v_and_b32_e32 v1, 0xffff0000, v77
	buffer_store_dword v2, off, s[36:39], 0 offset:128 ; 4-byte Folded Spill
	v_mul_f32_e32 v1, v102, v1
	v_bfe_u32 v2, v1, 16, 1
	v_or_b32_e32 v3, 0x400000, v1
	v_cmp_u_f32_e32 vcc_lo, v1, v1
	v_add3_u32 v2, v2, v1, 0x7fff
	v_cndmask_b32_e32 v1, v2, v3, vcc_lo
	v_lshlrev_b32_e32 v2, 16, v77
	v_and_b32_e32 v1, 0xffff0000, v1
	v_mul_f32_e32 v2, v105, v2
	v_bfe_u32 v3, v2, 16, 1
	v_or_b32_e32 v4, 0x400000, v2
	v_cmp_u_f32_e32 vcc_lo, v2, v2
	v_add3_u32 v3, v3, v2, 0x7fff
	v_cndmask_b32_e32 v2, v3, v4, vcc_lo
	v_and_b32_e32 v3, 0xffff0000, v78
	v_and_b32_e32 v2, 0xffff0000, v2
	v_mul_f32_e32 v3, v101, v3
	v_add_f32_e32 v1, v2, v1
	v_bfe_u32 v4, v3, 16, 1
	v_or_b32_e32 v5, 0x400000, v3
	v_cmp_u_f32_e32 vcc_lo, v3, v3
	v_add3_u32 v4, v4, v3, 0x7fff
	v_cndmask_b32_e32 v3, v4, v5, vcc_lo
	v_lshlrev_b32_e32 v4, 16, v78
	v_and_b32_e32 v3, 0xffff0000, v3
	v_mul_f32_e32 v4, v104, v4
	v_bfe_u32 v5, v4, 16, 1
	v_or_b32_e32 v6, 0x400000, v4
	v_cmp_u_f32_e32 vcc_lo, v4, v4
	v_add3_u32 v5, v5, v4, 0x7fff
	v_cndmask_b32_e32 v4, v5, v6, vcc_lo
	v_and_b32_e32 v5, 0xffff0000, v79
	v_and_b32_e32 v2, 0xffff0000, v4
	v_mul_f32_e32 v5, v10, v5
	v_add_f32_e32 v2, v2, v3
	v_bfe_u32 v6, v5, 16, 1
	v_or_b32_e32 v7, 0x400000, v5
	v_cmp_u_f32_e32 vcc_lo, v5, v5
	v_add_f32_e32 v1, v2, v1
	v_add3_u32 v6, v6, v5, 0x7fff
	v_cndmask_b32_e32 v5, v6, v7, vcc_lo
	v_lshlrev_b32_e32 v6, 16, v79
	v_and_b32_e32 v3, 0xffff0000, v5
	v_mul_f32_e32 v6, v103, v6
	v_bfe_u32 v7, v6, 16, 1
	v_or_b32_e32 v8, 0x400000, v6
	v_cmp_u_f32_e32 vcc_lo, v6, v6
	v_add3_u32 v7, v7, v6, 0x7fff
	v_cndmask_b32_e32 v6, v7, v8, vcc_lo
	v_and_b32_e32 v7, 0xffff0000, v80
	v_and_b32_e32 v2, 0xffff0000, v6
	v_mul_f32_e32 v7, v9, v7
	v_add_f32_e32 v2, v2, v3
	v_bfe_u32 v8, v7, 16, 1
	v_or_b32_e32 v12, 0x400000, v7
	v_cmp_u_f32_e32 vcc_lo, v7, v7
	v_add_f32_e32 v1, v2, v1
	v_add3_u32 v8, v8, v7, 0x7fff
	v_cndmask_b32_e32 v7, v8, v12, vcc_lo
	v_lshlrev_b32_e32 v8, 16, v80
	v_and_b32_e32 v3, 0xffff0000, v7
	v_mul_f32_e32 v8, v11, v8
	v_bfe_u32 v12, v8, 16, 1
	v_or_b32_e32 v13, 0x400000, v8
	v_cmp_u_f32_e32 vcc_lo, v8, v8
	v_add3_u32 v12, v12, v8, 0x7fff
	v_cndmask_b32_e32 v8, v12, v13, vcc_lo
	v_and_b32_e32 v2, 0xffff0000, v8
	v_add_f32_e32 v2, v2, v3
	v_add_f32_e32 v1, v2, v1
	buffer_load_dword v2, off, s[36:39], 0 offset:132 ; 4-byte Folded Reload
	s_waitcnt vmcnt(0)
	v_add_f32_e32 v2, v2, v1
	v_and_b32_e32 v1, 0xffff0000, v73
	buffer_store_dword v2, off, s[36:39], 0 offset:132 ; 4-byte Folded Spill
	v_mul_f32_e32 v1, v102, v1
	v_bfe_u32 v2, v1, 16, 1
	v_or_b32_e32 v3, 0x400000, v1
	v_cmp_u_f32_e32 vcc_lo, v1, v1
	v_add3_u32 v2, v2, v1, 0x7fff
	v_cndmask_b32_e32 v1, v2, v3, vcc_lo
	v_lshlrev_b32_e32 v2, 16, v73
	v_and_b32_e32 v1, 0xffff0000, v1
	v_mul_f32_e32 v2, v105, v2
	v_bfe_u32 v3, v2, 16, 1
	v_or_b32_e32 v4, 0x400000, v2
	v_cmp_u_f32_e32 vcc_lo, v2, v2
	v_add3_u32 v3, v3, v2, 0x7fff
	v_cndmask_b32_e32 v2, v3, v4, vcc_lo
	v_and_b32_e32 v3, 0xffff0000, v74
	v_and_b32_e32 v2, 0xffff0000, v2
	v_mul_f32_e32 v3, v101, v3
	v_add_f32_e32 v1, v2, v1
	v_bfe_u32 v4, v3, 16, 1
	v_or_b32_e32 v5, 0x400000, v3
	v_cmp_u_f32_e32 vcc_lo, v3, v3
	v_add3_u32 v4, v4, v3, 0x7fff
	v_cndmask_b32_e32 v3, v4, v5, vcc_lo
	v_lshlrev_b32_e32 v4, 16, v74
	v_and_b32_e32 v3, 0xffff0000, v3
	v_mul_f32_e32 v4, v104, v4
	v_bfe_u32 v5, v4, 16, 1
	v_or_b32_e32 v6, 0x400000, v4
	v_cmp_u_f32_e32 vcc_lo, v4, v4
	v_add3_u32 v5, v5, v4, 0x7fff
	v_cndmask_b32_e32 v4, v5, v6, vcc_lo
	v_and_b32_e32 v5, 0xffff0000, v75
	v_and_b32_e32 v2, 0xffff0000, v4
	v_mul_f32_e32 v5, v10, v5
	v_add_f32_e32 v2, v2, v3
	v_bfe_u32 v6, v5, 16, 1
	v_or_b32_e32 v7, 0x400000, v5
	v_cmp_u_f32_e32 vcc_lo, v5, v5
	v_add_f32_e32 v1, v2, v1
	v_add3_u32 v6, v6, v5, 0x7fff
	v_cndmask_b32_e32 v5, v6, v7, vcc_lo
	v_lshlrev_b32_e32 v6, 16, v75
	v_and_b32_e32 v3, 0xffff0000, v5
	v_mul_f32_e32 v6, v103, v6
	v_bfe_u32 v7, v6, 16, 1
	v_or_b32_e32 v8, 0x400000, v6
	v_cmp_u_f32_e32 vcc_lo, v6, v6
	v_add3_u32 v7, v7, v6, 0x7fff
	v_cndmask_b32_e32 v6, v7, v8, vcc_lo
	v_and_b32_e32 v7, 0xffff0000, v76
	v_and_b32_e32 v2, 0xffff0000, v6
	v_mul_f32_e32 v7, v9, v7
	v_add_f32_e32 v2, v2, v3
	v_bfe_u32 v8, v7, 16, 1
	v_or_b32_e32 v12, 0x400000, v7
	v_cmp_u_f32_e32 vcc_lo, v7, v7
	v_add_f32_e32 v1, v2, v1
	v_add3_u32 v8, v8, v7, 0x7fff
	v_cndmask_b32_e32 v7, v8, v12, vcc_lo
	v_lshlrev_b32_e32 v8, 16, v76
	v_and_b32_e32 v3, 0xffff0000, v7
	v_mul_f32_e32 v8, v11, v8
	v_bfe_u32 v12, v8, 16, 1
	v_or_b32_e32 v13, 0x400000, v8
	v_cmp_u_f32_e32 vcc_lo, v8, v8
	v_add3_u32 v12, v12, v8, 0x7fff
	v_cndmask_b32_e32 v8, v12, v13, vcc_lo
	v_and_b32_e32 v2, 0xffff0000, v8
	v_add_f32_e32 v2, v2, v3
	v_add_f32_e32 v1, v2, v1
	buffer_load_dword v2, off, s[36:39], 0 offset:136 ; 4-byte Folded Reload
	s_waitcnt vmcnt(0)
	v_add_f32_e32 v2, v2, v1
	v_and_b32_e32 v1, 0xffff0000, v69
	buffer_store_dword v2, off, s[36:39], 0 offset:136 ; 4-byte Folded Spill
	v_mul_f32_e32 v1, v102, v1
	v_bfe_u32 v2, v1, 16, 1
	v_or_b32_e32 v3, 0x400000, v1
	v_cmp_u_f32_e32 vcc_lo, v1, v1
	v_add3_u32 v2, v2, v1, 0x7fff
	v_cndmask_b32_e32 v1, v2, v3, vcc_lo
	v_lshlrev_b32_e32 v2, 16, v69
	v_and_b32_e32 v1, 0xffff0000, v1
	v_mul_f32_e32 v2, v105, v2
	v_bfe_u32 v3, v2, 16, 1
	v_or_b32_e32 v4, 0x400000, v2
	v_cmp_u_f32_e32 vcc_lo, v2, v2
	v_add3_u32 v3, v3, v2, 0x7fff
	v_cndmask_b32_e32 v2, v3, v4, vcc_lo
	v_and_b32_e32 v3, 0xffff0000, v70
	v_and_b32_e32 v2, 0xffff0000, v2
	v_mul_f32_e32 v3, v101, v3
	v_add_f32_e32 v1, v2, v1
	v_bfe_u32 v4, v3, 16, 1
	v_or_b32_e32 v5, 0x400000, v3
	v_cmp_u_f32_e32 vcc_lo, v3, v3
	v_add3_u32 v4, v4, v3, 0x7fff
	v_cndmask_b32_e32 v3, v4, v5, vcc_lo
	v_lshlrev_b32_e32 v4, 16, v70
	v_and_b32_e32 v3, 0xffff0000, v3
	v_mul_f32_e32 v4, v104, v4
	v_bfe_u32 v5, v4, 16, 1
	v_or_b32_e32 v6, 0x400000, v4
	v_cmp_u_f32_e32 vcc_lo, v4, v4
	v_add3_u32 v5, v5, v4, 0x7fff
	v_cndmask_b32_e32 v4, v5, v6, vcc_lo
	v_and_b32_e32 v5, 0xffff0000, v71
	v_and_b32_e32 v2, 0xffff0000, v4
	v_mul_f32_e32 v5, v10, v5
	v_add_f32_e32 v2, v2, v3
	v_bfe_u32 v6, v5, 16, 1
	v_or_b32_e32 v7, 0x400000, v5
	v_cmp_u_f32_e32 vcc_lo, v5, v5
	v_add_f32_e32 v1, v2, v1
	v_add3_u32 v6, v6, v5, 0x7fff
	v_cndmask_b32_e32 v5, v6, v7, vcc_lo
	v_lshlrev_b32_e32 v6, 16, v71
	v_and_b32_e32 v3, 0xffff0000, v5
	v_mul_f32_e32 v6, v103, v6
	v_bfe_u32 v7, v6, 16, 1
	v_or_b32_e32 v8, 0x400000, v6
	v_cmp_u_f32_e32 vcc_lo, v6, v6
	v_add3_u32 v7, v7, v6, 0x7fff
	v_cndmask_b32_e32 v6, v7, v8, vcc_lo
	v_and_b32_e32 v7, 0xffff0000, v72
	v_and_b32_e32 v2, 0xffff0000, v6
	v_mul_f32_e32 v7, v9, v7
	v_add_f32_e32 v2, v2, v3
	v_bfe_u32 v8, v7, 16, 1
	v_or_b32_e32 v12, 0x400000, v7
	v_cmp_u_f32_e32 vcc_lo, v7, v7
	v_add_f32_e32 v1, v2, v1
	v_add3_u32 v8, v8, v7, 0x7fff
	v_cndmask_b32_e32 v7, v8, v12, vcc_lo
	v_lshlrev_b32_e32 v8, 16, v72
	v_and_b32_e32 v3, 0xffff0000, v7
	v_mul_f32_e32 v8, v11, v8
	v_bfe_u32 v12, v8, 16, 1
	v_or_b32_e32 v13, 0x400000, v8
	v_cmp_u_f32_e32 vcc_lo, v8, v8
	v_add3_u32 v12, v12, v8, 0x7fff
	v_cndmask_b32_e32 v8, v12, v13, vcc_lo
	v_and_b32_e32 v2, 0xffff0000, v8
	v_add_f32_e32 v2, v2, v3
	v_add_f32_e32 v1, v2, v1
	buffer_load_dword v2, off, s[36:39], 0 offset:140 ; 4-byte Folded Reload
	s_waitcnt vmcnt(0)
	v_add_f32_e32 v2, v2, v1
	v_and_b32_e32 v1, 0xffff0000, v65
	buffer_store_dword v2, off, s[36:39], 0 offset:140 ; 4-byte Folded Spill
	v_mul_f32_e32 v1, v102, v1
	v_bfe_u32 v2, v1, 16, 1
	v_or_b32_e32 v3, 0x400000, v1
	v_cmp_u_f32_e32 vcc_lo, v1, v1
	v_add3_u32 v2, v2, v1, 0x7fff
	v_cndmask_b32_e32 v1, v2, v3, vcc_lo
	v_lshlrev_b32_e32 v2, 16, v65
	v_and_b32_e32 v1, 0xffff0000, v1
	v_mul_f32_e32 v2, v105, v2
	v_bfe_u32 v3, v2, 16, 1
	v_or_b32_e32 v4, 0x400000, v2
	v_cmp_u_f32_e32 vcc_lo, v2, v2
	v_add3_u32 v3, v3, v2, 0x7fff
	v_cndmask_b32_e32 v2, v3, v4, vcc_lo
	v_and_b32_e32 v3, 0xffff0000, v66
	v_and_b32_e32 v2, 0xffff0000, v2
	v_mul_f32_e32 v3, v101, v3
	v_add_f32_e32 v1, v2, v1
	v_bfe_u32 v4, v3, 16, 1
	v_or_b32_e32 v5, 0x400000, v3
	v_cmp_u_f32_e32 vcc_lo, v3, v3
	v_add3_u32 v4, v4, v3, 0x7fff
	v_cndmask_b32_e32 v3, v4, v5, vcc_lo
	v_lshlrev_b32_e32 v4, 16, v66
	v_and_b32_e32 v3, 0xffff0000, v3
	v_mul_f32_e32 v4, v104, v4
	v_bfe_u32 v5, v4, 16, 1
	v_or_b32_e32 v6, 0x400000, v4
	v_cmp_u_f32_e32 vcc_lo, v4, v4
	v_add3_u32 v5, v5, v4, 0x7fff
	v_cndmask_b32_e32 v4, v5, v6, vcc_lo
	v_and_b32_e32 v5, 0xffff0000, v67
	v_and_b32_e32 v2, 0xffff0000, v4
	v_mul_f32_e32 v5, v10, v5
	v_add_f32_e32 v2, v2, v3
	v_bfe_u32 v6, v5, 16, 1
	v_or_b32_e32 v7, 0x400000, v5
	v_cmp_u_f32_e32 vcc_lo, v5, v5
	v_add_f32_e32 v1, v2, v1
	v_add3_u32 v6, v6, v5, 0x7fff
	v_cndmask_b32_e32 v5, v6, v7, vcc_lo
	v_lshlrev_b32_e32 v6, 16, v67
	v_and_b32_e32 v3, 0xffff0000, v5
	v_mul_f32_e32 v6, v103, v6
	v_bfe_u32 v7, v6, 16, 1
	v_or_b32_e32 v8, 0x400000, v6
	v_cmp_u_f32_e32 vcc_lo, v6, v6
	v_add3_u32 v7, v7, v6, 0x7fff
	v_cndmask_b32_e32 v6, v7, v8, vcc_lo
	v_and_b32_e32 v7, 0xffff0000, v68
	v_and_b32_e32 v2, 0xffff0000, v6
	v_mul_f32_e32 v7, v9, v7
	v_add_f32_e32 v2, v2, v3
	v_bfe_u32 v8, v7, 16, 1
	v_or_b32_e32 v12, 0x400000, v7
	v_cmp_u_f32_e32 vcc_lo, v7, v7
	v_add_f32_e32 v1, v2, v1
	v_add3_u32 v8, v8, v7, 0x7fff
	v_cndmask_b32_e32 v7, v8, v12, vcc_lo
	v_lshlrev_b32_e32 v8, 16, v68
	v_and_b32_e32 v3, 0xffff0000, v7
	v_mul_f32_e32 v8, v11, v8
	v_bfe_u32 v12, v8, 16, 1
	v_or_b32_e32 v13, 0x400000, v8
	v_cmp_u_f32_e32 vcc_lo, v8, v8
	v_add3_u32 v12, v12, v8, 0x7fff
	v_cndmask_b32_e32 v8, v12, v13, vcc_lo
	v_and_b32_e32 v2, 0xffff0000, v8
	v_add_f32_e32 v2, v2, v3
	v_add_f32_e32 v1, v2, v1
	buffer_load_dword v2, off, s[36:39], 0 offset:144 ; 4-byte Folded Reload
	s_waitcnt vmcnt(0)
	v_add_f32_e32 v2, v2, v1
	v_and_b32_e32 v1, 0xffff0000, v61
	buffer_store_dword v2, off, s[36:39], 0 offset:144 ; 4-byte Folded Spill
	v_mul_f32_e32 v1, v102, v1
	v_bfe_u32 v2, v1, 16, 1
	v_or_b32_e32 v3, 0x400000, v1
	v_cmp_u_f32_e32 vcc_lo, v1, v1
	v_add3_u32 v2, v2, v1, 0x7fff
	v_cndmask_b32_e32 v1, v2, v3, vcc_lo
	v_lshlrev_b32_e32 v2, 16, v61
	v_and_b32_e32 v1, 0xffff0000, v1
	v_mul_f32_e32 v2, v105, v2
	v_bfe_u32 v3, v2, 16, 1
	v_or_b32_e32 v4, 0x400000, v2
	v_cmp_u_f32_e32 vcc_lo, v2, v2
	v_add3_u32 v3, v3, v2, 0x7fff
	v_cndmask_b32_e32 v2, v3, v4, vcc_lo
	v_and_b32_e32 v3, 0xffff0000, v62
	v_and_b32_e32 v2, 0xffff0000, v2
	v_mul_f32_e32 v3, v101, v3
	v_add_f32_e32 v1, v2, v1
	v_bfe_u32 v4, v3, 16, 1
	v_or_b32_e32 v5, 0x400000, v3
	v_cmp_u_f32_e32 vcc_lo, v3, v3
	v_add3_u32 v4, v4, v3, 0x7fff
	v_cndmask_b32_e32 v3, v4, v5, vcc_lo
	v_lshlrev_b32_e32 v4, 16, v62
	v_and_b32_e32 v3, 0xffff0000, v3
	v_mul_f32_e32 v4, v104, v4
	v_bfe_u32 v5, v4, 16, 1
	v_or_b32_e32 v6, 0x400000, v4
	v_cmp_u_f32_e32 vcc_lo, v4, v4
	v_add3_u32 v5, v5, v4, 0x7fff
	v_cndmask_b32_e32 v4, v5, v6, vcc_lo
	v_and_b32_e32 v5, 0xffff0000, v63
	v_and_b32_e32 v2, 0xffff0000, v4
	v_mul_f32_e32 v5, v10, v5
	v_add_f32_e32 v2, v2, v3
	v_bfe_u32 v6, v5, 16, 1
	v_or_b32_e32 v7, 0x400000, v5
	v_cmp_u_f32_e32 vcc_lo, v5, v5
	v_add_f32_e32 v1, v2, v1
	v_add3_u32 v6, v6, v5, 0x7fff
	v_cndmask_b32_e32 v5, v6, v7, vcc_lo
	v_lshlrev_b32_e32 v6, 16, v63
	v_and_b32_e32 v3, 0xffff0000, v5
	v_mul_f32_e32 v6, v103, v6
	v_bfe_u32 v7, v6, 16, 1
	v_or_b32_e32 v8, 0x400000, v6
	v_cmp_u_f32_e32 vcc_lo, v6, v6
	v_add3_u32 v7, v7, v6, 0x7fff
	v_cndmask_b32_e32 v6, v7, v8, vcc_lo
	v_and_b32_e32 v7, 0xffff0000, v64
	v_and_b32_e32 v2, 0xffff0000, v6
	v_mul_f32_e32 v7, v9, v7
	v_add_f32_e32 v2, v2, v3
	v_bfe_u32 v8, v7, 16, 1
	v_or_b32_e32 v12, 0x400000, v7
	v_cmp_u_f32_e32 vcc_lo, v7, v7
	v_add_f32_e32 v1, v2, v1
	v_add3_u32 v8, v8, v7, 0x7fff
	v_cndmask_b32_e32 v7, v8, v12, vcc_lo
	v_lshlrev_b32_e32 v8, 16, v64
	v_and_b32_e32 v3, 0xffff0000, v7
	v_mul_f32_e32 v8, v11, v8
	v_bfe_u32 v12, v8, 16, 1
	v_or_b32_e32 v13, 0x400000, v8
	v_cmp_u_f32_e32 vcc_lo, v8, v8
	v_add3_u32 v12, v12, v8, 0x7fff
	v_cndmask_b32_e32 v8, v12, v13, vcc_lo
	v_and_b32_e32 v2, 0xffff0000, v8
	v_add_f32_e32 v2, v2, v3
	v_add_f32_e32 v1, v2, v1
	buffer_load_dword v2, off, s[36:39], 0 offset:148 ; 4-byte Folded Reload
	s_waitcnt vmcnt(0)
	v_add_f32_e32 v2, v2, v1
	v_and_b32_e32 v1, 0xffff0000, v57
	buffer_store_dword v2, off, s[36:39], 0 offset:148 ; 4-byte Folded Spill
	v_mul_f32_e32 v1, v102, v1
	v_bfe_u32 v2, v1, 16, 1
	v_or_b32_e32 v3, 0x400000, v1
	v_cmp_u_f32_e32 vcc_lo, v1, v1
	v_add3_u32 v2, v2, v1, 0x7fff
	v_cndmask_b32_e32 v1, v2, v3, vcc_lo
	v_lshlrev_b32_e32 v2, 16, v57
	v_and_b32_e32 v1, 0xffff0000, v1
	v_mul_f32_e32 v2, v105, v2
	v_bfe_u32 v3, v2, 16, 1
	v_or_b32_e32 v4, 0x400000, v2
	v_cmp_u_f32_e32 vcc_lo, v2, v2
	v_add3_u32 v3, v3, v2, 0x7fff
	v_cndmask_b32_e32 v2, v3, v4, vcc_lo
	v_and_b32_e32 v3, 0xffff0000, v58
	v_and_b32_e32 v2, 0xffff0000, v2
	v_mul_f32_e32 v3, v101, v3
	v_add_f32_e32 v1, v2, v1
	v_bfe_u32 v4, v3, 16, 1
	v_or_b32_e32 v5, 0x400000, v3
	v_cmp_u_f32_e32 vcc_lo, v3, v3
	v_add3_u32 v4, v4, v3, 0x7fff
	v_cndmask_b32_e32 v3, v4, v5, vcc_lo
	v_lshlrev_b32_e32 v4, 16, v58
	v_and_b32_e32 v3, 0xffff0000, v3
	v_mul_f32_e32 v4, v104, v4
	v_bfe_u32 v5, v4, 16, 1
	v_or_b32_e32 v6, 0x400000, v4
	v_cmp_u_f32_e32 vcc_lo, v4, v4
	v_add3_u32 v5, v5, v4, 0x7fff
	v_cndmask_b32_e32 v4, v5, v6, vcc_lo
	v_and_b32_e32 v5, 0xffff0000, v59
	v_and_b32_e32 v2, 0xffff0000, v4
	v_mul_f32_e32 v5, v10, v5
	v_add_f32_e32 v2, v2, v3
	v_bfe_u32 v6, v5, 16, 1
	v_or_b32_e32 v7, 0x400000, v5
	v_cmp_u_f32_e32 vcc_lo, v5, v5
	v_add_f32_e32 v1, v2, v1
	v_add3_u32 v6, v6, v5, 0x7fff
	v_cndmask_b32_e32 v5, v6, v7, vcc_lo
	v_lshlrev_b32_e32 v6, 16, v59
	v_and_b32_e32 v3, 0xffff0000, v5
	v_mul_f32_e32 v6, v103, v6
	v_bfe_u32 v7, v6, 16, 1
	v_or_b32_e32 v8, 0x400000, v6
	v_cmp_u_f32_e32 vcc_lo, v6, v6
	v_add3_u32 v7, v7, v6, 0x7fff
	v_cndmask_b32_e32 v6, v7, v8, vcc_lo
	v_and_b32_e32 v7, 0xffff0000, v60
	v_and_b32_e32 v2, 0xffff0000, v6
	v_mul_f32_e32 v7, v9, v7
	v_add_f32_e32 v2, v2, v3
	v_bfe_u32 v8, v7, 16, 1
	v_or_b32_e32 v12, 0x400000, v7
	v_cmp_u_f32_e32 vcc_lo, v7, v7
	v_add_f32_e32 v1, v2, v1
	v_add3_u32 v8, v8, v7, 0x7fff
	v_cndmask_b32_e32 v7, v8, v12, vcc_lo
	v_lshlrev_b32_e32 v8, 16, v60
	v_and_b32_e32 v3, 0xffff0000, v7
	v_mul_f32_e32 v8, v11, v8
	v_bfe_u32 v12, v8, 16, 1
	v_or_b32_e32 v13, 0x400000, v8
	v_cmp_u_f32_e32 vcc_lo, v8, v8
	v_add3_u32 v12, v12, v8, 0x7fff
	v_cndmask_b32_e32 v8, v12, v13, vcc_lo
	v_and_b32_e32 v2, 0xffff0000, v8
	v_add_f32_e32 v2, v2, v3
	v_add_f32_e32 v1, v2, v1
	buffer_load_dword v2, off, s[36:39], 0 offset:152 ; 4-byte Folded Reload
	s_waitcnt vmcnt(0)
	v_add_f32_e32 v2, v2, v1
	v_and_b32_e32 v1, 0xffff0000, v53
	buffer_store_dword v2, off, s[36:39], 0 offset:152 ; 4-byte Folded Spill
	v_mul_f32_e32 v1, v102, v1
	v_bfe_u32 v2, v1, 16, 1
	v_or_b32_e32 v3, 0x400000, v1
	v_cmp_u_f32_e32 vcc_lo, v1, v1
	v_add3_u32 v2, v2, v1, 0x7fff
	v_cndmask_b32_e32 v1, v2, v3, vcc_lo
	v_lshlrev_b32_e32 v2, 16, v53
	v_and_b32_e32 v1, 0xffff0000, v1
	v_mul_f32_e32 v2, v105, v2
	v_bfe_u32 v3, v2, 16, 1
	v_or_b32_e32 v4, 0x400000, v2
	v_cmp_u_f32_e32 vcc_lo, v2, v2
	v_add3_u32 v3, v3, v2, 0x7fff
	v_cndmask_b32_e32 v2, v3, v4, vcc_lo
	v_and_b32_e32 v3, 0xffff0000, v54
	v_and_b32_e32 v2, 0xffff0000, v2
	v_mul_f32_e32 v3, v101, v3
	v_add_f32_e32 v1, v2, v1
	v_bfe_u32 v4, v3, 16, 1
	v_or_b32_e32 v5, 0x400000, v3
	v_cmp_u_f32_e32 vcc_lo, v3, v3
	v_add3_u32 v4, v4, v3, 0x7fff
	v_cndmask_b32_e32 v3, v4, v5, vcc_lo
	v_lshlrev_b32_e32 v4, 16, v54
	v_and_b32_e32 v3, 0xffff0000, v3
	v_mul_f32_e32 v4, v104, v4
	v_bfe_u32 v5, v4, 16, 1
	v_or_b32_e32 v6, 0x400000, v4
	v_cmp_u_f32_e32 vcc_lo, v4, v4
	v_add3_u32 v5, v5, v4, 0x7fff
	v_cndmask_b32_e32 v4, v5, v6, vcc_lo
	v_and_b32_e32 v5, 0xffff0000, v55
	v_and_b32_e32 v2, 0xffff0000, v4
	v_mul_f32_e32 v5, v10, v5
	v_add_f32_e32 v2, v2, v3
	v_bfe_u32 v6, v5, 16, 1
	v_or_b32_e32 v7, 0x400000, v5
	v_cmp_u_f32_e32 vcc_lo, v5, v5
	v_add_f32_e32 v1, v2, v1
	v_add3_u32 v6, v6, v5, 0x7fff
	v_cndmask_b32_e32 v5, v6, v7, vcc_lo
	v_lshlrev_b32_e32 v6, 16, v55
	v_and_b32_e32 v3, 0xffff0000, v5
	v_mul_f32_e32 v6, v103, v6
	v_bfe_u32 v7, v6, 16, 1
	v_or_b32_e32 v8, 0x400000, v6
	v_cmp_u_f32_e32 vcc_lo, v6, v6
	v_add3_u32 v7, v7, v6, 0x7fff
	v_cndmask_b32_e32 v6, v7, v8, vcc_lo
	v_and_b32_e32 v7, 0xffff0000, v56
	v_and_b32_e32 v2, 0xffff0000, v6
	v_mul_f32_e32 v7, v9, v7
	v_add_f32_e32 v2, v2, v3
	v_bfe_u32 v8, v7, 16, 1
	v_or_b32_e32 v12, 0x400000, v7
	v_cmp_u_f32_e32 vcc_lo, v7, v7
	v_add_f32_e32 v1, v2, v1
	v_add3_u32 v8, v8, v7, 0x7fff
	v_cndmask_b32_e32 v7, v8, v12, vcc_lo
	v_lshlrev_b32_e32 v8, 16, v56
	v_and_b32_e32 v3, 0xffff0000, v7
	v_mul_f32_e32 v8, v11, v8
	v_bfe_u32 v12, v8, 16, 1
	v_or_b32_e32 v13, 0x400000, v8
	v_cmp_u_f32_e32 vcc_lo, v8, v8
	v_add3_u32 v12, v12, v8, 0x7fff
	v_cndmask_b32_e32 v8, v12, v13, vcc_lo
	v_and_b32_e32 v2, 0xffff0000, v8
	v_add_f32_e32 v2, v2, v3
	v_add_f32_e32 v1, v2, v1
	;; [unrolled: 1-line block ×3, first 2 shown]
	v_and_b32_e32 v1, 0xffff0000, v49
	v_mul_f32_e32 v1, v102, v1
	v_bfe_u32 v2, v1, 16, 1
	v_or_b32_e32 v3, 0x400000, v1
	v_cmp_u_f32_e32 vcc_lo, v1, v1
	v_add3_u32 v2, v2, v1, 0x7fff
	v_cndmask_b32_e32 v1, v2, v3, vcc_lo
	v_lshlrev_b32_e32 v2, 16, v49
	v_and_b32_e32 v1, 0xffff0000, v1
	v_mul_f32_e32 v2, v105, v2
	v_bfe_u32 v3, v2, 16, 1
	v_or_b32_e32 v4, 0x400000, v2
	v_cmp_u_f32_e32 vcc_lo, v2, v2
	v_add3_u32 v3, v3, v2, 0x7fff
	v_cndmask_b32_e32 v2, v3, v4, vcc_lo
	v_and_b32_e32 v3, 0xffff0000, v50
	v_and_b32_e32 v2, 0xffff0000, v2
	v_mul_f32_e32 v3, v101, v3
	v_add_f32_e32 v1, v2, v1
	v_bfe_u32 v4, v3, 16, 1
	v_or_b32_e32 v5, 0x400000, v3
	v_cmp_u_f32_e32 vcc_lo, v3, v3
	v_add3_u32 v4, v4, v3, 0x7fff
	v_cndmask_b32_e32 v3, v4, v5, vcc_lo
	v_lshlrev_b32_e32 v4, 16, v50
	v_and_b32_e32 v3, 0xffff0000, v3
	v_mul_f32_e32 v4, v104, v4
	v_bfe_u32 v5, v4, 16, 1
	v_or_b32_e32 v6, 0x400000, v4
	v_cmp_u_f32_e32 vcc_lo, v4, v4
	v_add3_u32 v5, v5, v4, 0x7fff
	v_cndmask_b32_e32 v4, v5, v6, vcc_lo
	v_and_b32_e32 v5, 0xffff0000, v51
	v_and_b32_e32 v2, 0xffff0000, v4
	v_mul_f32_e32 v5, v10, v5
	v_add_f32_e32 v2, v2, v3
	v_bfe_u32 v6, v5, 16, 1
	v_or_b32_e32 v7, 0x400000, v5
	v_cmp_u_f32_e32 vcc_lo, v5, v5
	v_add_f32_e32 v1, v2, v1
	v_add3_u32 v6, v6, v5, 0x7fff
	v_cndmask_b32_e32 v5, v6, v7, vcc_lo
	v_lshlrev_b32_e32 v6, 16, v51
	v_and_b32_e32 v3, 0xffff0000, v5
	v_mul_f32_e32 v6, v103, v6
	v_bfe_u32 v7, v6, 16, 1
	v_or_b32_e32 v8, 0x400000, v6
	v_cmp_u_f32_e32 vcc_lo, v6, v6
	v_add3_u32 v7, v7, v6, 0x7fff
	v_cndmask_b32_e32 v6, v7, v8, vcc_lo
	v_and_b32_e32 v7, 0xffff0000, v52
	v_and_b32_e32 v2, 0xffff0000, v6
	v_mul_f32_e32 v7, v9, v7
	v_add_f32_e32 v2, v2, v3
	v_bfe_u32 v8, v7, 16, 1
	v_or_b32_e32 v12, 0x400000, v7
	v_cmp_u_f32_e32 vcc_lo, v7, v7
	v_add_f32_e32 v1, v2, v1
	v_add3_u32 v8, v8, v7, 0x7fff
	v_cndmask_b32_e32 v7, v8, v12, vcc_lo
	v_lshlrev_b32_e32 v8, 16, v52
	v_and_b32_e32 v3, 0xffff0000, v7
	v_mul_f32_e32 v8, v11, v8
	v_bfe_u32 v12, v8, 16, 1
	v_or_b32_e32 v13, 0x400000, v8
	v_cmp_u_f32_e32 vcc_lo, v8, v8
	v_add3_u32 v12, v12, v8, 0x7fff
	v_cndmask_b32_e32 v8, v12, v13, vcc_lo
	v_and_b32_e32 v2, 0xffff0000, v8
	v_add_f32_e32 v2, v2, v3
	v_add_f32_e32 v1, v2, v1
	;; [unrolled: 1-line block ×3, first 2 shown]
	v_and_b32_e32 v1, 0xffff0000, v45
	v_mul_f32_e32 v1, v102, v1
	v_bfe_u32 v2, v1, 16, 1
	v_or_b32_e32 v3, 0x400000, v1
	v_cmp_u_f32_e32 vcc_lo, v1, v1
	v_add3_u32 v2, v2, v1, 0x7fff
	v_cndmask_b32_e32 v1, v2, v3, vcc_lo
	v_lshlrev_b32_e32 v2, 16, v45
	v_and_b32_e32 v1, 0xffff0000, v1
	v_mul_f32_e32 v2, v105, v2
	v_bfe_u32 v3, v2, 16, 1
	v_or_b32_e32 v4, 0x400000, v2
	v_cmp_u_f32_e32 vcc_lo, v2, v2
	v_add3_u32 v3, v3, v2, 0x7fff
	v_cndmask_b32_e32 v2, v3, v4, vcc_lo
	v_and_b32_e32 v3, 0xffff0000, v46
	v_and_b32_e32 v2, 0xffff0000, v2
	v_mul_f32_e32 v3, v101, v3
	v_add_f32_e32 v1, v2, v1
	v_bfe_u32 v4, v3, 16, 1
	v_or_b32_e32 v5, 0x400000, v3
	v_cmp_u_f32_e32 vcc_lo, v3, v3
	v_add3_u32 v4, v4, v3, 0x7fff
	v_cndmask_b32_e32 v3, v4, v5, vcc_lo
	v_lshlrev_b32_e32 v4, 16, v46
	v_and_b32_e32 v3, 0xffff0000, v3
	v_mul_f32_e32 v4, v104, v4
	v_bfe_u32 v5, v4, 16, 1
	v_or_b32_e32 v6, 0x400000, v4
	v_cmp_u_f32_e32 vcc_lo, v4, v4
	v_add3_u32 v5, v5, v4, 0x7fff
	v_cndmask_b32_e32 v4, v5, v6, vcc_lo
	v_and_b32_e32 v5, 0xffff0000, v47
	v_and_b32_e32 v2, 0xffff0000, v4
	v_mul_f32_e32 v5, v10, v5
	v_add_f32_e32 v2, v2, v3
	v_bfe_u32 v6, v5, 16, 1
	v_or_b32_e32 v7, 0x400000, v5
	v_cmp_u_f32_e32 vcc_lo, v5, v5
	v_add_f32_e32 v1, v2, v1
	v_add3_u32 v6, v6, v5, 0x7fff
	v_cndmask_b32_e32 v5, v6, v7, vcc_lo
	v_lshlrev_b32_e32 v6, 16, v47
	v_and_b32_e32 v3, 0xffff0000, v5
	v_mul_f32_e32 v6, v103, v6
	v_bfe_u32 v7, v6, 16, 1
	v_or_b32_e32 v8, 0x400000, v6
	v_cmp_u_f32_e32 vcc_lo, v6, v6
	v_add3_u32 v7, v7, v6, 0x7fff
	v_cndmask_b32_e32 v6, v7, v8, vcc_lo
	v_and_b32_e32 v7, 0xffff0000, v48
	v_and_b32_e32 v2, 0xffff0000, v6
	v_mul_f32_e32 v7, v9, v7
	v_add_f32_e32 v2, v2, v3
	v_bfe_u32 v8, v7, 16, 1
	v_or_b32_e32 v12, 0x400000, v7
	v_cmp_u_f32_e32 vcc_lo, v7, v7
	v_add_f32_e32 v1, v2, v1
	v_add3_u32 v8, v8, v7, 0x7fff
	v_cndmask_b32_e32 v7, v8, v12, vcc_lo
	v_lshlrev_b32_e32 v8, 16, v48
	v_and_b32_e32 v3, 0xffff0000, v7
	v_mul_f32_e32 v8, v11, v8
	v_bfe_u32 v12, v8, 16, 1
	v_or_b32_e32 v13, 0x400000, v8
	v_cmp_u_f32_e32 vcc_lo, v8, v8
	v_add3_u32 v12, v12, v8, 0x7fff
	v_cndmask_b32_e32 v8, v12, v13, vcc_lo
	v_and_b32_e32 v2, 0xffff0000, v8
	v_add_f32_e32 v2, v2, v3
	v_add_f32_e32 v1, v2, v1
	;; [unrolled: 1-line block ×3, first 2 shown]
	v_and_b32_e32 v1, 0xffff0000, v41
	v_mul_f32_e32 v1, v102, v1
	v_bfe_u32 v2, v1, 16, 1
	v_or_b32_e32 v3, 0x400000, v1
	v_cmp_u_f32_e32 vcc_lo, v1, v1
	v_add3_u32 v2, v2, v1, 0x7fff
	v_cndmask_b32_e32 v1, v2, v3, vcc_lo
	v_lshlrev_b32_e32 v2, 16, v41
	v_and_b32_e32 v1, 0xffff0000, v1
	v_mul_f32_e32 v2, v105, v2
	v_bfe_u32 v3, v2, 16, 1
	v_or_b32_e32 v4, 0x400000, v2
	v_cmp_u_f32_e32 vcc_lo, v2, v2
	v_add3_u32 v3, v3, v2, 0x7fff
	v_cndmask_b32_e32 v2, v3, v4, vcc_lo
	v_and_b32_e32 v3, 0xffff0000, v42
	v_and_b32_e32 v2, 0xffff0000, v2
	v_mul_f32_e32 v3, v101, v3
	v_add_f32_e32 v1, v2, v1
	v_bfe_u32 v4, v3, 16, 1
	v_or_b32_e32 v5, 0x400000, v3
	v_cmp_u_f32_e32 vcc_lo, v3, v3
	v_add3_u32 v4, v4, v3, 0x7fff
	v_cndmask_b32_e32 v3, v4, v5, vcc_lo
	v_lshlrev_b32_e32 v4, 16, v42
	v_and_b32_e32 v3, 0xffff0000, v3
	v_mul_f32_e32 v4, v104, v4
	v_bfe_u32 v5, v4, 16, 1
	v_or_b32_e32 v6, 0x400000, v4
	v_cmp_u_f32_e32 vcc_lo, v4, v4
	v_add3_u32 v5, v5, v4, 0x7fff
	v_cndmask_b32_e32 v4, v5, v6, vcc_lo
	v_and_b32_e32 v5, 0xffff0000, v43
	v_and_b32_e32 v2, 0xffff0000, v4
	v_mul_f32_e32 v5, v10, v5
	v_add_f32_e32 v2, v2, v3
	v_bfe_u32 v6, v5, 16, 1
	v_or_b32_e32 v7, 0x400000, v5
	v_cmp_u_f32_e32 vcc_lo, v5, v5
	v_add_f32_e32 v1, v2, v1
	v_add3_u32 v6, v6, v5, 0x7fff
	v_cndmask_b32_e32 v5, v6, v7, vcc_lo
	v_lshlrev_b32_e32 v6, 16, v43
	v_and_b32_e32 v3, 0xffff0000, v5
	v_mul_f32_e32 v6, v103, v6
	v_bfe_u32 v7, v6, 16, 1
	v_or_b32_e32 v8, 0x400000, v6
	v_cmp_u_f32_e32 vcc_lo, v6, v6
	v_add3_u32 v7, v7, v6, 0x7fff
	v_cndmask_b32_e32 v6, v7, v8, vcc_lo
	v_and_b32_e32 v7, 0xffff0000, v44
	v_and_b32_e32 v2, 0xffff0000, v6
	v_mul_f32_e32 v7, v9, v7
	v_add_f32_e32 v2, v2, v3
	v_bfe_u32 v8, v7, 16, 1
	v_or_b32_e32 v12, 0x400000, v7
	v_cmp_u_f32_e32 vcc_lo, v7, v7
	v_add_f32_e32 v1, v2, v1
	v_add3_u32 v8, v8, v7, 0x7fff
	v_cndmask_b32_e32 v7, v8, v12, vcc_lo
	v_lshlrev_b32_e32 v8, 16, v44
	v_and_b32_e32 v3, 0xffff0000, v7
	v_mul_f32_e32 v8, v11, v8
	v_bfe_u32 v12, v8, 16, 1
	v_or_b32_e32 v13, 0x400000, v8
	v_cmp_u_f32_e32 vcc_lo, v8, v8
	v_add3_u32 v12, v12, v8, 0x7fff
	v_cndmask_b32_e32 v8, v12, v13, vcc_lo
	v_and_b32_e32 v2, 0xffff0000, v8
	v_add_f32_e32 v2, v2, v3
	v_add_f32_e32 v1, v2, v1
	;; [unrolled: 1-line block ×3, first 2 shown]
	v_and_b32_e32 v1, 0xffff0000, v37
	v_mul_f32_e32 v1, v102, v1
	v_bfe_u32 v2, v1, 16, 1
	v_or_b32_e32 v3, 0x400000, v1
	v_cmp_u_f32_e32 vcc_lo, v1, v1
	v_add3_u32 v2, v2, v1, 0x7fff
	v_cndmask_b32_e32 v1, v2, v3, vcc_lo
	v_lshlrev_b32_e32 v2, 16, v37
	v_and_b32_e32 v1, 0xffff0000, v1
	v_mul_f32_e32 v2, v105, v2
	v_bfe_u32 v3, v2, 16, 1
	v_or_b32_e32 v4, 0x400000, v2
	v_cmp_u_f32_e32 vcc_lo, v2, v2
	v_add3_u32 v3, v3, v2, 0x7fff
	v_cndmask_b32_e32 v2, v3, v4, vcc_lo
	v_and_b32_e32 v3, 0xffff0000, v38
	v_and_b32_e32 v2, 0xffff0000, v2
	v_mul_f32_e32 v3, v101, v3
	v_add_f32_e32 v1, v2, v1
	v_bfe_u32 v4, v3, 16, 1
	v_or_b32_e32 v5, 0x400000, v3
	v_cmp_u_f32_e32 vcc_lo, v3, v3
	v_add3_u32 v4, v4, v3, 0x7fff
	v_cndmask_b32_e32 v3, v4, v5, vcc_lo
	v_lshlrev_b32_e32 v4, 16, v38
	v_and_b32_e32 v3, 0xffff0000, v3
	v_mul_f32_e32 v4, v104, v4
	v_bfe_u32 v5, v4, 16, 1
	v_or_b32_e32 v6, 0x400000, v4
	v_cmp_u_f32_e32 vcc_lo, v4, v4
	v_add3_u32 v5, v5, v4, 0x7fff
	v_cndmask_b32_e32 v4, v5, v6, vcc_lo
	v_and_b32_e32 v5, 0xffff0000, v39
	v_and_b32_e32 v2, 0xffff0000, v4
	v_mul_f32_e32 v5, v10, v5
	v_add_f32_e32 v2, v2, v3
	v_bfe_u32 v6, v5, 16, 1
	v_or_b32_e32 v7, 0x400000, v5
	v_cmp_u_f32_e32 vcc_lo, v5, v5
	v_add_f32_e32 v1, v2, v1
	v_add3_u32 v6, v6, v5, 0x7fff
	v_cndmask_b32_e32 v5, v6, v7, vcc_lo
	v_lshlrev_b32_e32 v6, 16, v39
	v_and_b32_e32 v3, 0xffff0000, v5
	v_mul_f32_e32 v6, v103, v6
	v_bfe_u32 v7, v6, 16, 1
	v_or_b32_e32 v8, 0x400000, v6
	v_cmp_u_f32_e32 vcc_lo, v6, v6
	v_add3_u32 v7, v7, v6, 0x7fff
	v_cndmask_b32_e32 v6, v7, v8, vcc_lo
	v_and_b32_e32 v7, 0xffff0000, v40
	v_and_b32_e32 v2, 0xffff0000, v6
	v_mul_f32_e32 v7, v9, v7
	v_add_f32_e32 v2, v2, v3
	v_bfe_u32 v8, v7, 16, 1
	v_or_b32_e32 v12, 0x400000, v7
	v_cmp_u_f32_e32 vcc_lo, v7, v7
	v_add_f32_e32 v1, v2, v1
	v_add3_u32 v8, v8, v7, 0x7fff
	v_cndmask_b32_e32 v7, v8, v12, vcc_lo
	v_lshlrev_b32_e32 v8, 16, v40
	v_and_b32_e32 v3, 0xffff0000, v7
	v_mul_f32_e32 v8, v11, v8
	v_bfe_u32 v12, v8, 16, 1
	v_or_b32_e32 v13, 0x400000, v8
	v_cmp_u_f32_e32 vcc_lo, v8, v8
	v_add3_u32 v12, v12, v8, 0x7fff
	v_cndmask_b32_e32 v8, v12, v13, vcc_lo
	v_and_b32_e32 v2, 0xffff0000, v8
	v_add_f32_e32 v2, v2, v3
	v_add_f32_e32 v1, v2, v1
	;; [unrolled: 1-line block ×3, first 2 shown]
	v_and_b32_e32 v1, 0xffff0000, v33
	v_mul_f32_e32 v1, v102, v1
	v_bfe_u32 v2, v1, 16, 1
	v_or_b32_e32 v3, 0x400000, v1
	v_cmp_u_f32_e32 vcc_lo, v1, v1
	v_add3_u32 v2, v2, v1, 0x7fff
	v_cndmask_b32_e32 v1, v2, v3, vcc_lo
	v_lshlrev_b32_e32 v2, 16, v33
	v_and_b32_e32 v1, 0xffff0000, v1
	v_mul_f32_e32 v2, v105, v2
	v_bfe_u32 v3, v2, 16, 1
	v_or_b32_e32 v4, 0x400000, v2
	v_cmp_u_f32_e32 vcc_lo, v2, v2
	v_add3_u32 v3, v3, v2, 0x7fff
	v_cndmask_b32_e32 v2, v3, v4, vcc_lo
	v_and_b32_e32 v3, 0xffff0000, v34
	v_and_b32_e32 v2, 0xffff0000, v2
	v_mul_f32_e32 v3, v101, v3
	v_add_f32_e32 v1, v2, v1
	v_bfe_u32 v4, v3, 16, 1
	v_or_b32_e32 v5, 0x400000, v3
	v_cmp_u_f32_e32 vcc_lo, v3, v3
	v_add3_u32 v4, v4, v3, 0x7fff
	v_cndmask_b32_e32 v3, v4, v5, vcc_lo
	v_lshlrev_b32_e32 v4, 16, v34
	v_and_b32_e32 v3, 0xffff0000, v3
	v_mul_f32_e32 v4, v104, v4
	v_bfe_u32 v5, v4, 16, 1
	v_or_b32_e32 v6, 0x400000, v4
	v_cmp_u_f32_e32 vcc_lo, v4, v4
	v_add3_u32 v5, v5, v4, 0x7fff
	v_cndmask_b32_e32 v4, v5, v6, vcc_lo
	v_and_b32_e32 v5, 0xffff0000, v35
	v_and_b32_e32 v2, 0xffff0000, v4
	v_mul_f32_e32 v5, v10, v5
	v_add_f32_e32 v2, v2, v3
	v_bfe_u32 v6, v5, 16, 1
	v_or_b32_e32 v7, 0x400000, v5
	v_cmp_u_f32_e32 vcc_lo, v5, v5
	v_add_f32_e32 v1, v2, v1
	v_add3_u32 v6, v6, v5, 0x7fff
	v_cndmask_b32_e32 v5, v6, v7, vcc_lo
	v_lshlrev_b32_e32 v6, 16, v35
	v_and_b32_e32 v3, 0xffff0000, v5
	v_mul_f32_e32 v6, v103, v6
	v_bfe_u32 v7, v6, 16, 1
	v_or_b32_e32 v8, 0x400000, v6
	v_cmp_u_f32_e32 vcc_lo, v6, v6
	v_add3_u32 v7, v7, v6, 0x7fff
	v_cndmask_b32_e32 v6, v7, v8, vcc_lo
	v_and_b32_e32 v7, 0xffff0000, v36
	v_and_b32_e32 v2, 0xffff0000, v6
	v_mul_f32_e32 v7, v9, v7
	v_add_f32_e32 v2, v2, v3
	v_bfe_u32 v8, v7, 16, 1
	v_or_b32_e32 v12, 0x400000, v7
	v_cmp_u_f32_e32 vcc_lo, v7, v7
	v_add_f32_e32 v1, v2, v1
	v_add3_u32 v8, v8, v7, 0x7fff
	v_cndmask_b32_e32 v7, v8, v12, vcc_lo
	v_lshlrev_b32_e32 v8, 16, v36
	v_and_b32_e32 v3, 0xffff0000, v7
	v_mul_f32_e32 v8, v11, v8
	v_bfe_u32 v12, v8, 16, 1
	v_or_b32_e32 v13, 0x400000, v8
	v_cmp_u_f32_e32 vcc_lo, v8, v8
	v_add3_u32 v12, v12, v8, 0x7fff
	v_cndmask_b32_e32 v8, v12, v13, vcc_lo
	v_and_b32_e32 v2, 0xffff0000, v8
	v_add_f32_e32 v2, v2, v3
	v_add_f32_e32 v1, v2, v1
	v_add_f32_e32 v18, v18, v1
	v_and_b32_e32 v1, 0xffff0000, v29
	v_mul_f32_e32 v1, v102, v1
	v_bfe_u32 v2, v1, 16, 1
	v_or_b32_e32 v3, 0x400000, v1
	v_cmp_u_f32_e32 vcc_lo, v1, v1
	v_add3_u32 v2, v2, v1, 0x7fff
	v_cndmask_b32_e32 v1, v2, v3, vcc_lo
	v_lshlrev_b32_e32 v2, 16, v29
	v_and_b32_e32 v1, 0xffff0000, v1
	v_mul_f32_e32 v2, v105, v2
	v_bfe_u32 v3, v2, 16, 1
	v_or_b32_e32 v4, 0x400000, v2
	v_cmp_u_f32_e32 vcc_lo, v2, v2
	v_add3_u32 v3, v3, v2, 0x7fff
	v_cndmask_b32_e32 v2, v3, v4, vcc_lo
	v_and_b32_e32 v3, 0xffff0000, v30
	v_and_b32_e32 v2, 0xffff0000, v2
	v_mul_f32_e32 v3, v101, v3
	v_add_f32_e32 v1, v2, v1
	v_bfe_u32 v4, v3, 16, 1
	v_or_b32_e32 v5, 0x400000, v3
	v_cmp_u_f32_e32 vcc_lo, v3, v3
	v_add3_u32 v4, v4, v3, 0x7fff
	v_cndmask_b32_e32 v3, v4, v5, vcc_lo
	v_lshlrev_b32_e32 v4, 16, v30
	v_and_b32_e32 v3, 0xffff0000, v3
	v_mul_f32_e32 v4, v104, v4
	v_bfe_u32 v5, v4, 16, 1
	v_or_b32_e32 v6, 0x400000, v4
	v_cmp_u_f32_e32 vcc_lo, v4, v4
	v_add3_u32 v5, v5, v4, 0x7fff
	v_cndmask_b32_e32 v4, v5, v6, vcc_lo
	v_and_b32_e32 v5, 0xffff0000, v31
	v_and_b32_e32 v2, 0xffff0000, v4
	v_mul_f32_e32 v5, v10, v5
	v_add_f32_e32 v2, v2, v3
	v_bfe_u32 v6, v5, 16, 1
	v_or_b32_e32 v7, 0x400000, v5
	v_cmp_u_f32_e32 vcc_lo, v5, v5
	v_add_f32_e32 v1, v2, v1
	v_add3_u32 v6, v6, v5, 0x7fff
	v_cndmask_b32_e32 v5, v6, v7, vcc_lo
	v_lshlrev_b32_e32 v6, 16, v31
	v_and_b32_e32 v3, 0xffff0000, v5
	v_mul_f32_e32 v6, v103, v6
	v_bfe_u32 v7, v6, 16, 1
	v_or_b32_e32 v8, 0x400000, v6
	v_cmp_u_f32_e32 vcc_lo, v6, v6
	v_add3_u32 v7, v7, v6, 0x7fff
	v_cndmask_b32_e32 v6, v7, v8, vcc_lo
	v_and_b32_e32 v7, 0xffff0000, v32
	v_and_b32_e32 v2, 0xffff0000, v6
	v_mul_f32_e32 v7, v9, v7
	v_add_f32_e32 v2, v2, v3
	v_bfe_u32 v8, v7, 16, 1
	v_or_b32_e32 v12, 0x400000, v7
	v_cmp_u_f32_e32 vcc_lo, v7, v7
	v_add_f32_e32 v1, v2, v1
	v_add3_u32 v8, v8, v7, 0x7fff
	v_cndmask_b32_e32 v7, v8, v12, vcc_lo
	v_lshlrev_b32_e32 v8, 16, v32
	v_and_b32_e32 v3, 0xffff0000, v7
	v_mul_f32_e32 v8, v11, v8
	v_bfe_u32 v12, v8, 16, 1
	v_or_b32_e32 v13, 0x400000, v8
	v_cmp_u_f32_e32 vcc_lo, v8, v8
	v_add3_u32 v12, v12, v8, 0x7fff
	v_cndmask_b32_e32 v8, v12, v13, vcc_lo
	v_and_b32_e32 v2, 0xffff0000, v8
	v_add_f32_e32 v2, v2, v3
	v_add_f32_e32 v1, v2, v1
	v_add_f32_e32 v19, v19, v1
	v_and_b32_e32 v1, 0xffff0000, v25
	v_mul_f32_e32 v1, v102, v1
	v_bfe_u32 v2, v1, 16, 1
	v_or_b32_e32 v3, 0x400000, v1
	v_cmp_u_f32_e32 vcc_lo, v1, v1
	v_add3_u32 v2, v2, v1, 0x7fff
	v_cndmask_b32_e32 v1, v2, v3, vcc_lo
	v_lshlrev_b32_e32 v2, 16, v25
	v_and_b32_e32 v1, 0xffff0000, v1
	v_mul_f32_e32 v2, v105, v2
	v_bfe_u32 v3, v2, 16, 1
	v_or_b32_e32 v4, 0x400000, v2
	v_cmp_u_f32_e32 vcc_lo, v2, v2
	v_add3_u32 v3, v3, v2, 0x7fff
	v_cndmask_b32_e32 v2, v3, v4, vcc_lo
	v_and_b32_e32 v3, 0xffff0000, v26
	v_and_b32_e32 v2, 0xffff0000, v2
	v_mul_f32_e32 v3, v101, v3
	v_add_f32_e32 v1, v2, v1
	v_bfe_u32 v4, v3, 16, 1
	v_or_b32_e32 v5, 0x400000, v3
	v_cmp_u_f32_e32 vcc_lo, v3, v3
	v_add3_u32 v4, v4, v3, 0x7fff
	v_cndmask_b32_e32 v3, v4, v5, vcc_lo
	v_lshlrev_b32_e32 v4, 16, v26
	v_and_b32_e32 v3, 0xffff0000, v3
	v_mul_f32_e32 v4, v104, v4
	v_bfe_u32 v5, v4, 16, 1
	v_or_b32_e32 v6, 0x400000, v4
	v_cmp_u_f32_e32 vcc_lo, v4, v4
	v_add3_u32 v5, v5, v4, 0x7fff
	v_cndmask_b32_e32 v4, v5, v6, vcc_lo
	v_and_b32_e32 v5, 0xffff0000, v27
	v_and_b32_e32 v2, 0xffff0000, v4
	v_mul_f32_e32 v5, v10, v5
	v_add_f32_e32 v2, v2, v3
	v_bfe_u32 v6, v5, 16, 1
	v_or_b32_e32 v7, 0x400000, v5
	v_cmp_u_f32_e32 vcc_lo, v5, v5
	v_add_f32_e32 v1, v2, v1
	v_add3_u32 v6, v6, v5, 0x7fff
	v_cndmask_b32_e32 v5, v6, v7, vcc_lo
	v_lshlrev_b32_e32 v6, 16, v27
	v_and_b32_e32 v3, 0xffff0000, v5
	v_mul_f32_e32 v6, v103, v6
	v_bfe_u32 v7, v6, 16, 1
	v_or_b32_e32 v8, 0x400000, v6
	v_cmp_u_f32_e32 vcc_lo, v6, v6
	v_add3_u32 v7, v7, v6, 0x7fff
	v_cndmask_b32_e32 v6, v7, v8, vcc_lo
	v_and_b32_e32 v7, 0xffff0000, v28
	v_and_b32_e32 v2, 0xffff0000, v6
	v_mul_f32_e32 v7, v9, v7
	v_add_f32_e32 v2, v2, v3
	v_bfe_u32 v8, v7, 16, 1
	v_or_b32_e32 v12, 0x400000, v7
	v_cmp_u_f32_e32 vcc_lo, v7, v7
	v_add_f32_e32 v1, v2, v1
	v_add3_u32 v8, v8, v7, 0x7fff
	v_cndmask_b32_e32 v7, v8, v12, vcc_lo
	v_lshlrev_b32_e32 v8, 16, v28
	v_and_b32_e32 v3, 0xffff0000, v7
	v_mul_f32_e32 v8, v11, v8
	v_bfe_u32 v12, v8, 16, 1
	v_or_b32_e32 v13, 0x400000, v8
	v_cmp_u_f32_e32 vcc_lo, v8, v8
	v_add3_u32 v12, v12, v8, 0x7fff
	v_cndmask_b32_e32 v8, v12, v13, vcc_lo
	v_and_b32_e32 v2, 0xffff0000, v8
	v_add_f32_e32 v2, v2, v3
	v_add_f32_e32 v1, v2, v1
	buffer_load_dword v2, off, s[36:39], 0 offset:156 ; 4-byte Folded Reload
	s_waitcnt vmcnt(0)
	v_add_f32_e32 v2, v2, v1
	buffer_store_dword v2, off, s[36:39], 0 offset:156 ; 4-byte Folded Spill
	s_clause 0x3
	buffer_load_dword v21, off, s[36:39], 0 offset:80
	buffer_load_dword v22, off, s[36:39], 0 offset:84
	;; [unrolled: 1-line block ×4, first 2 shown]
	s_waitcnt vmcnt(3)
	v_and_b32_e32 v1, 0xffff0000, v21
	v_mul_f32_e32 v1, v102, v1
	v_bfe_u32 v2, v1, 16, 1
	v_or_b32_e32 v3, 0x400000, v1
	v_cmp_u_f32_e32 vcc_lo, v1, v1
	v_add3_u32 v2, v2, v1, 0x7fff
	v_cndmask_b32_e32 v1, v2, v3, vcc_lo
	v_lshlrev_b32_e32 v2, 16, v21
	v_and_b32_e32 v1, 0xffff0000, v1
	v_mul_f32_e32 v2, v105, v2
	v_bfe_u32 v3, v2, 16, 1
	v_or_b32_e32 v4, 0x400000, v2
	v_cmp_u_f32_e32 vcc_lo, v2, v2
	v_add3_u32 v3, v3, v2, 0x7fff
	v_cndmask_b32_e32 v2, v3, v4, vcc_lo
	s_waitcnt vmcnt(2)
	v_and_b32_e32 v3, 0xffff0000, v22
	v_and_b32_e32 v2, 0xffff0000, v2
	v_mul_f32_e32 v3, v101, v3
	v_add_f32_e32 v1, v2, v1
	v_bfe_u32 v4, v3, 16, 1
	v_or_b32_e32 v5, 0x400000, v3
	v_cmp_u_f32_e32 vcc_lo, v3, v3
	v_add3_u32 v4, v4, v3, 0x7fff
	v_cndmask_b32_e32 v3, v4, v5, vcc_lo
	v_lshlrev_b32_e32 v4, 16, v22
	v_and_b32_e32 v3, 0xffff0000, v3
	v_mul_f32_e32 v4, v104, v4
	v_bfe_u32 v5, v4, 16, 1
	v_or_b32_e32 v6, 0x400000, v4
	v_cmp_u_f32_e32 vcc_lo, v4, v4
	v_add3_u32 v5, v5, v4, 0x7fff
	v_cndmask_b32_e32 v4, v5, v6, vcc_lo
	s_waitcnt vmcnt(1)
	v_and_b32_e32 v5, 0xffff0000, v23
	v_and_b32_e32 v2, 0xffff0000, v4
	v_mul_f32_e32 v5, v10, v5
	v_add_f32_e32 v2, v2, v3
	v_bfe_u32 v6, v5, 16, 1
	v_or_b32_e32 v7, 0x400000, v5
	v_cmp_u_f32_e32 vcc_lo, v5, v5
	v_add_f32_e32 v1, v2, v1
	v_add3_u32 v6, v6, v5, 0x7fff
	v_cndmask_b32_e32 v5, v6, v7, vcc_lo
	v_lshlrev_b32_e32 v6, 16, v23
	v_and_b32_e32 v3, 0xffff0000, v5
	v_mul_f32_e32 v6, v103, v6
	v_bfe_u32 v7, v6, 16, 1
	v_or_b32_e32 v8, 0x400000, v6
	v_cmp_u_f32_e32 vcc_lo, v6, v6
	v_add3_u32 v7, v7, v6, 0x7fff
	v_cndmask_b32_e32 v6, v7, v8, vcc_lo
	s_waitcnt vmcnt(0)
	v_and_b32_e32 v7, 0xffff0000, v24
	v_and_b32_e32 v2, 0xffff0000, v6
	v_mul_f32_e32 v7, v9, v7
	v_add_f32_e32 v2, v2, v3
	v_bfe_u32 v8, v7, 16, 1
	v_or_b32_e32 v12, 0x400000, v7
	v_cmp_u_f32_e32 vcc_lo, v7, v7
	v_add_f32_e32 v1, v2, v1
	v_add3_u32 v8, v8, v7, 0x7fff
	v_cndmask_b32_e32 v7, v8, v12, vcc_lo
	v_lshlrev_b32_e32 v8, 16, v24
	v_and_b32_e32 v3, 0xffff0000, v7
	v_mul_f32_e32 v8, v11, v8
	v_bfe_u32 v12, v8, 16, 1
	v_or_b32_e32 v13, 0x400000, v8
	v_cmp_u_f32_e32 vcc_lo, v8, v8
	v_add3_u32 v12, v12, v8, 0x7fff
	v_cndmask_b32_e32 v8, v12, v13, vcc_lo
	v_and_b32_e32 v2, 0xffff0000, v8
	v_add_f32_e32 v2, v2, v3
	v_add_f32_e32 v1, v2, v1
	buffer_load_dword v2, off, s[36:39], 0 offset:160 ; 4-byte Folded Reload
	s_waitcnt vmcnt(0)
	v_add_f32_e32 v2, v2, v1
	buffer_store_dword v2, off, s[36:39], 0 offset:160 ; 4-byte Folded Spill
	s_clause 0x3
	buffer_load_dword v21, off, s[36:39], 0 offset:64
	buffer_load_dword v22, off, s[36:39], 0 offset:68
	buffer_load_dword v23, off, s[36:39], 0 offset:72
	buffer_load_dword v24, off, s[36:39], 0 offset:76
	s_waitcnt vmcnt(3)
	v_and_b32_e32 v1, 0xffff0000, v21
	v_mul_f32_e32 v1, v102, v1
	v_bfe_u32 v2, v1, 16, 1
	v_or_b32_e32 v3, 0x400000, v1
	v_cmp_u_f32_e32 vcc_lo, v1, v1
	v_add3_u32 v2, v2, v1, 0x7fff
	v_cndmask_b32_e32 v1, v2, v3, vcc_lo
	v_lshlrev_b32_e32 v2, 16, v21
	v_and_b32_e32 v1, 0xffff0000, v1
	v_mul_f32_e32 v2, v105, v2
	v_bfe_u32 v3, v2, 16, 1
	v_or_b32_e32 v4, 0x400000, v2
	v_cmp_u_f32_e32 vcc_lo, v2, v2
	v_add3_u32 v3, v3, v2, 0x7fff
	v_cndmask_b32_e32 v2, v3, v4, vcc_lo
	s_waitcnt vmcnt(2)
	v_and_b32_e32 v3, 0xffff0000, v22
	v_and_b32_e32 v2, 0xffff0000, v2
	v_mul_f32_e32 v3, v101, v3
	v_add_f32_e32 v1, v2, v1
	v_bfe_u32 v4, v3, 16, 1
	v_or_b32_e32 v5, 0x400000, v3
	v_cmp_u_f32_e32 vcc_lo, v3, v3
	v_add3_u32 v4, v4, v3, 0x7fff
	v_cndmask_b32_e32 v3, v4, v5, vcc_lo
	v_lshlrev_b32_e32 v4, 16, v22
	v_and_b32_e32 v3, 0xffff0000, v3
	v_mul_f32_e32 v4, v104, v4
	v_bfe_u32 v5, v4, 16, 1
	v_or_b32_e32 v6, 0x400000, v4
	v_cmp_u_f32_e32 vcc_lo, v4, v4
	v_add3_u32 v5, v5, v4, 0x7fff
	v_cndmask_b32_e32 v4, v5, v6, vcc_lo
	s_waitcnt vmcnt(1)
	v_and_b32_e32 v5, 0xffff0000, v23
	v_and_b32_e32 v2, 0xffff0000, v4
	v_mul_f32_e32 v5, v10, v5
	v_add_f32_e32 v2, v2, v3
	v_bfe_u32 v6, v5, 16, 1
	v_or_b32_e32 v7, 0x400000, v5
	v_cmp_u_f32_e32 vcc_lo, v5, v5
	v_add_f32_e32 v1, v2, v1
	v_add3_u32 v6, v6, v5, 0x7fff
	v_cndmask_b32_e32 v5, v6, v7, vcc_lo
	v_lshlrev_b32_e32 v6, 16, v23
	v_and_b32_e32 v3, 0xffff0000, v5
	v_mul_f32_e32 v6, v103, v6
	v_bfe_u32 v7, v6, 16, 1
	v_or_b32_e32 v8, 0x400000, v6
	v_cmp_u_f32_e32 vcc_lo, v6, v6
	v_add3_u32 v7, v7, v6, 0x7fff
	v_cndmask_b32_e32 v6, v7, v8, vcc_lo
	s_waitcnt vmcnt(0)
	v_and_b32_e32 v7, 0xffff0000, v24
	v_and_b32_e32 v2, 0xffff0000, v6
	v_mul_f32_e32 v7, v9, v7
	v_add_f32_e32 v2, v2, v3
	v_bfe_u32 v8, v7, 16, 1
	v_or_b32_e32 v12, 0x400000, v7
	v_cmp_u_f32_e32 vcc_lo, v7, v7
	v_add_f32_e32 v1, v2, v1
	v_add3_u32 v8, v8, v7, 0x7fff
	v_cndmask_b32_e32 v7, v8, v12, vcc_lo
	v_lshlrev_b32_e32 v8, 16, v24
	v_and_b32_e32 v3, 0xffff0000, v7
	v_mul_f32_e32 v8, v11, v8
	v_bfe_u32 v12, v8, 16, 1
	v_or_b32_e32 v13, 0x400000, v8
	v_cmp_u_f32_e32 vcc_lo, v8, v8
	v_add3_u32 v12, v12, v8, 0x7fff
	v_cndmask_b32_e32 v8, v12, v13, vcc_lo
	v_and_b32_e32 v2, 0xffff0000, v8
	v_add_f32_e32 v2, v2, v3
	v_add_f32_e32 v1, v2, v1
	buffer_load_dword v2, off, s[36:39], 0 offset:164 ; 4-byte Folded Reload
	s_waitcnt vmcnt(0)
	v_add_f32_e32 v2, v2, v1
	buffer_store_dword v2, off, s[36:39], 0 offset:164 ; 4-byte Folded Spill
	s_clause 0x3
	buffer_load_dword v21, off, s[36:39], 0 offset:48
	buffer_load_dword v22, off, s[36:39], 0 offset:52
	buffer_load_dword v23, off, s[36:39], 0 offset:56
	buffer_load_dword v24, off, s[36:39], 0 offset:60
	s_waitcnt vmcnt(3)
	v_and_b32_e32 v1, 0xffff0000, v21
	v_mul_f32_e32 v1, v102, v1
	v_bfe_u32 v2, v1, 16, 1
	v_or_b32_e32 v3, 0x400000, v1
	v_cmp_u_f32_e32 vcc_lo, v1, v1
	v_add3_u32 v2, v2, v1, 0x7fff
	v_cndmask_b32_e32 v1, v2, v3, vcc_lo
	v_lshlrev_b32_e32 v2, 16, v21
	v_and_b32_e32 v1, 0xffff0000, v1
	v_mul_f32_e32 v2, v105, v2
	v_bfe_u32 v3, v2, 16, 1
	v_or_b32_e32 v4, 0x400000, v2
	v_cmp_u_f32_e32 vcc_lo, v2, v2
	v_add3_u32 v3, v3, v2, 0x7fff
	v_cndmask_b32_e32 v2, v3, v4, vcc_lo
	s_waitcnt vmcnt(2)
	v_and_b32_e32 v3, 0xffff0000, v22
	v_and_b32_e32 v2, 0xffff0000, v2
	v_mul_f32_e32 v3, v101, v3
	v_add_f32_e32 v1, v2, v1
	v_bfe_u32 v4, v3, 16, 1
	v_or_b32_e32 v5, 0x400000, v3
	v_cmp_u_f32_e32 vcc_lo, v3, v3
	v_add3_u32 v4, v4, v3, 0x7fff
	v_cndmask_b32_e32 v3, v4, v5, vcc_lo
	v_lshlrev_b32_e32 v4, 16, v22
	v_and_b32_e32 v3, 0xffff0000, v3
	v_mul_f32_e32 v4, v104, v4
	v_bfe_u32 v5, v4, 16, 1
	v_or_b32_e32 v6, 0x400000, v4
	v_cmp_u_f32_e32 vcc_lo, v4, v4
	v_add3_u32 v5, v5, v4, 0x7fff
	v_cndmask_b32_e32 v4, v5, v6, vcc_lo
	s_waitcnt vmcnt(1)
	v_and_b32_e32 v5, 0xffff0000, v23
	v_and_b32_e32 v2, 0xffff0000, v4
	v_mul_f32_e32 v5, v10, v5
	v_add_f32_e32 v2, v2, v3
	v_bfe_u32 v6, v5, 16, 1
	v_or_b32_e32 v7, 0x400000, v5
	v_cmp_u_f32_e32 vcc_lo, v5, v5
	v_add_f32_e32 v1, v2, v1
	v_add3_u32 v6, v6, v5, 0x7fff
	v_cndmask_b32_e32 v5, v6, v7, vcc_lo
	v_lshlrev_b32_e32 v6, 16, v23
	v_and_b32_e32 v3, 0xffff0000, v5
	v_mul_f32_e32 v6, v103, v6
	v_bfe_u32 v7, v6, 16, 1
	v_or_b32_e32 v8, 0x400000, v6
	v_cmp_u_f32_e32 vcc_lo, v6, v6
	v_add3_u32 v7, v7, v6, 0x7fff
	v_cndmask_b32_e32 v6, v7, v8, vcc_lo
	s_waitcnt vmcnt(0)
	v_and_b32_e32 v7, 0xffff0000, v24
	v_and_b32_e32 v2, 0xffff0000, v6
	v_mul_f32_e32 v7, v9, v7
	v_add_f32_e32 v2, v2, v3
	v_bfe_u32 v8, v7, 16, 1
	v_or_b32_e32 v12, 0x400000, v7
	v_cmp_u_f32_e32 vcc_lo, v7, v7
	v_add_f32_e32 v1, v2, v1
	v_add3_u32 v8, v8, v7, 0x7fff
	v_cndmask_b32_e32 v7, v8, v12, vcc_lo
	v_lshlrev_b32_e32 v8, 16, v24
	v_and_b32_e32 v3, 0xffff0000, v7
	v_mul_f32_e32 v8, v11, v8
	v_bfe_u32 v12, v8, 16, 1
	v_or_b32_e32 v13, 0x400000, v8
	v_cmp_u_f32_e32 vcc_lo, v8, v8
	v_add3_u32 v12, v12, v8, 0x7fff
	v_cndmask_b32_e32 v8, v12, v13, vcc_lo
	v_and_b32_e32 v2, 0xffff0000, v8
	v_add_f32_e32 v2, v2, v3
	v_add_f32_e32 v1, v2, v1
	buffer_load_dword v2, off, s[36:39], 0 offset:172 ; 4-byte Folded Reload
	s_waitcnt vmcnt(0)
	v_add_f32_e32 v2, v2, v1
	buffer_store_dword v2, off, s[36:39], 0 offset:172 ; 4-byte Folded Spill
	s_clause 0x3
	buffer_load_dword v21, off, s[36:39], 0 offset:16
	buffer_load_dword v22, off, s[36:39], 0 offset:20
	;; [unrolled: 1-line block ×4, first 2 shown]
	s_waitcnt vmcnt(3)
	v_and_b32_e32 v1, 0xffff0000, v21
	v_mul_f32_e32 v1, v102, v1
	v_bfe_u32 v2, v1, 16, 1
	v_or_b32_e32 v3, 0x400000, v1
	v_cmp_u_f32_e32 vcc_lo, v1, v1
	v_add3_u32 v2, v2, v1, 0x7fff
	v_cndmask_b32_e32 v1, v2, v3, vcc_lo
	v_lshlrev_b32_e32 v2, 16, v21
	v_and_b32_e32 v1, 0xffff0000, v1
	v_mul_f32_e32 v2, v105, v2
	v_bfe_u32 v3, v2, 16, 1
	v_or_b32_e32 v4, 0x400000, v2
	v_cmp_u_f32_e32 vcc_lo, v2, v2
	v_add3_u32 v3, v3, v2, 0x7fff
	v_cndmask_b32_e32 v2, v3, v4, vcc_lo
	s_waitcnt vmcnt(2)
	v_and_b32_e32 v3, 0xffff0000, v22
	v_and_b32_e32 v2, 0xffff0000, v2
	v_mul_f32_e32 v3, v101, v3
	v_add_f32_e32 v1, v2, v1
	v_bfe_u32 v4, v3, 16, 1
	v_or_b32_e32 v5, 0x400000, v3
	v_cmp_u_f32_e32 vcc_lo, v3, v3
	v_add3_u32 v4, v4, v3, 0x7fff
	v_cndmask_b32_e32 v3, v4, v5, vcc_lo
	v_lshlrev_b32_e32 v4, 16, v22
	v_and_b32_e32 v3, 0xffff0000, v3
	v_mul_f32_e32 v4, v104, v4
	v_bfe_u32 v5, v4, 16, 1
	v_or_b32_e32 v6, 0x400000, v4
	v_cmp_u_f32_e32 vcc_lo, v4, v4
	v_add3_u32 v5, v5, v4, 0x7fff
	v_cndmask_b32_e32 v4, v5, v6, vcc_lo
	s_waitcnt vmcnt(1)
	v_and_b32_e32 v5, 0xffff0000, v23
	v_and_b32_e32 v2, 0xffff0000, v4
	v_mul_f32_e32 v5, v10, v5
	v_add_f32_e32 v2, v2, v3
	v_bfe_u32 v6, v5, 16, 1
	v_or_b32_e32 v7, 0x400000, v5
	v_cmp_u_f32_e32 vcc_lo, v5, v5
	v_add_f32_e32 v1, v2, v1
	v_add3_u32 v6, v6, v5, 0x7fff
	v_cndmask_b32_e32 v5, v6, v7, vcc_lo
	v_lshlrev_b32_e32 v6, 16, v23
	v_and_b32_e32 v3, 0xffff0000, v5
	v_mul_f32_e32 v6, v103, v6
	v_bfe_u32 v7, v6, 16, 1
	v_or_b32_e32 v8, 0x400000, v6
	v_cmp_u_f32_e32 vcc_lo, v6, v6
	v_add3_u32 v7, v7, v6, 0x7fff
	v_cndmask_b32_e32 v6, v7, v8, vcc_lo
	s_waitcnt vmcnt(0)
	v_and_b32_e32 v7, 0xffff0000, v24
	v_and_b32_e32 v2, 0xffff0000, v6
	v_mul_f32_e32 v7, v9, v7
	v_add_f32_e32 v2, v2, v3
	v_bfe_u32 v8, v7, 16, 1
	v_or_b32_e32 v12, 0x400000, v7
	v_cmp_u_f32_e32 vcc_lo, v7, v7
	v_add_f32_e32 v1, v2, v1
	v_add3_u32 v8, v8, v7, 0x7fff
	v_cndmask_b32_e32 v7, v8, v12, vcc_lo
	v_lshlrev_b32_e32 v8, 16, v24
	v_and_b32_e32 v3, 0xffff0000, v7
	v_mul_f32_e32 v8, v11, v8
	v_bfe_u32 v12, v8, 16, 1
	v_or_b32_e32 v13, 0x400000, v8
	v_cmp_u_f32_e32 vcc_lo, v8, v8
	v_add3_u32 v12, v12, v8, 0x7fff
	v_cndmask_b32_e32 v8, v12, v13, vcc_lo
	v_and_b32_e32 v2, 0xffff0000, v8
	v_add_f32_e32 v2, v2, v3
	v_add_f32_e32 v1, v2, v1
	buffer_load_dword v2, off, s[36:39], 0 offset:176 ; 4-byte Folded Reload
	s_waitcnt vmcnt(0)
	v_add_f32_e32 v2, v2, v1
	buffer_store_dword v2, off, s[36:39], 0 offset:176 ; 4-byte Folded Spill
	s_clause 0x3
	buffer_load_dword v21, off, s[36:39], 0
	buffer_load_dword v22, off, s[36:39], 0 offset:4
	buffer_load_dword v23, off, s[36:39], 0 offset:8
	;; [unrolled: 1-line block ×3, first 2 shown]
	s_waitcnt vmcnt(3)
	v_and_b32_e32 v1, 0xffff0000, v21
	v_mul_f32_e32 v1, v102, v1
	v_bfe_u32 v2, v1, 16, 1
	v_or_b32_e32 v3, 0x400000, v1
	v_cmp_u_f32_e32 vcc_lo, v1, v1
	v_add3_u32 v2, v2, v1, 0x7fff
	v_cndmask_b32_e32 v1, v2, v3, vcc_lo
	v_lshlrev_b32_e32 v2, 16, v21
	v_and_b32_e32 v1, 0xffff0000, v1
	v_mul_f32_e32 v2, v105, v2
	v_bfe_u32 v3, v2, 16, 1
	v_or_b32_e32 v4, 0x400000, v2
	v_cmp_u_f32_e32 vcc_lo, v2, v2
	v_add3_u32 v3, v3, v2, 0x7fff
	v_cndmask_b32_e32 v2, v3, v4, vcc_lo
	s_waitcnt vmcnt(2)
	v_and_b32_e32 v3, 0xffff0000, v22
	v_and_b32_e32 v2, 0xffff0000, v2
	v_mul_f32_e32 v3, v101, v3
	v_add_f32_e32 v1, v2, v1
	v_bfe_u32 v4, v3, 16, 1
	v_or_b32_e32 v5, 0x400000, v3
	v_cmp_u_f32_e32 vcc_lo, v3, v3
	v_add3_u32 v4, v4, v3, 0x7fff
	v_cndmask_b32_e32 v3, v4, v5, vcc_lo
	v_lshlrev_b32_e32 v4, 16, v22
	v_and_b32_e32 v3, 0xffff0000, v3
	v_mul_f32_e32 v4, v104, v4
	v_bfe_u32 v5, v4, 16, 1
	v_or_b32_e32 v6, 0x400000, v4
	v_cmp_u_f32_e32 vcc_lo, v4, v4
	v_add3_u32 v5, v5, v4, 0x7fff
	v_cndmask_b32_e32 v4, v5, v6, vcc_lo
	s_waitcnt vmcnt(1)
	v_and_b32_e32 v5, 0xffff0000, v23
	v_and_b32_e32 v2, 0xffff0000, v4
	v_mul_f32_e32 v5, v10, v5
	v_add_f32_e32 v2, v2, v3
	v_bfe_u32 v6, v5, 16, 1
	v_or_b32_e32 v7, 0x400000, v5
	v_cmp_u_f32_e32 vcc_lo, v5, v5
	v_add_f32_e32 v1, v2, v1
	v_add3_u32 v6, v6, v5, 0x7fff
	v_cndmask_b32_e32 v5, v6, v7, vcc_lo
	v_lshlrev_b32_e32 v6, 16, v23
	v_and_b32_e32 v3, 0xffff0000, v5
	v_mul_f32_e32 v6, v103, v6
	v_bfe_u32 v7, v6, 16, 1
	v_or_b32_e32 v8, 0x400000, v6
	v_cmp_u_f32_e32 vcc_lo, v6, v6
	v_add3_u32 v7, v7, v6, 0x7fff
	v_cndmask_b32_e32 v6, v7, v8, vcc_lo
	s_waitcnt vmcnt(0)
	v_and_b32_e32 v7, 0xffff0000, v24
	v_and_b32_e32 v2, 0xffff0000, v6
	v_mul_f32_e32 v7, v9, v7
	v_add_f32_e32 v2, v2, v3
	v_bfe_u32 v8, v7, 16, 1
	v_or_b32_e32 v12, 0x400000, v7
	v_cmp_u_f32_e32 vcc_lo, v7, v7
	v_add_f32_e32 v1, v2, v1
	v_add3_u32 v8, v8, v7, 0x7fff
	v_cndmask_b32_e32 v7, v8, v12, vcc_lo
	v_lshlrev_b32_e32 v8, 16, v24
	v_and_b32_e32 v3, 0xffff0000, v7
	v_mul_f32_e32 v8, v11, v8
	v_bfe_u32 v12, v8, 16, 1
	v_or_b32_e32 v13, 0x400000, v8
	v_cmp_u_f32_e32 vcc_lo, v8, v8
	v_add3_u32 v12, v12, v8, 0x7fff
	v_cndmask_b32_e32 v8, v12, v13, vcc_lo
	v_and_b32_e32 v2, 0xffff0000, v8
	v_add_f32_e32 v2, v2, v3
	v_add_f32_e32 v1, v2, v1
	buffer_load_dword v2, off, s[36:39], 0 offset:168 ; 4-byte Folded Reload
	s_waitcnt vmcnt(0)
	v_add_f32_e32 v2, v2, v1
	buffer_store_dword v2, off, s[36:39], 0 offset:168 ; 4-byte Folded Spill
	s_clause 0x4
	buffer_load_dword v21, off, s[36:39], 0 offset:32
	buffer_load_dword v22, off, s[36:39], 0 offset:36
	;; [unrolled: 1-line block ×5, first 2 shown]
	s_waitcnt vmcnt(4)
	v_lshlrev_b32_e32 v1, 16, v21
	v_mul_f32_e32 v1, v105, v1
	v_bfe_u32 v2, v1, 16, 1
	v_or_b32_e32 v3, 0x400000, v1
	v_cmp_u_f32_e32 vcc_lo, v1, v1
	v_add3_u32 v2, v2, v1, 0x7fff
	v_cndmask_b32_e32 v1, v2, v3, vcc_lo
	v_and_b32_e32 v2, 0xffff0000, v21
	v_and_b32_e32 v1, 0xffff0000, v1
	v_mul_f32_e32 v2, v102, v2
	v_bfe_u32 v3, v2, 16, 1
	v_or_b32_e32 v4, 0x400000, v2
	v_cmp_u_f32_e32 vcc_lo, v2, v2
	v_add3_u32 v3, v3, v2, 0x7fff
	v_cndmask_b32_e32 v2, v3, v4, vcc_lo
	s_waitcnt vmcnt(3)
	v_lshlrev_b32_e32 v3, 16, v22
	v_and_b32_e32 v2, 0xffff0000, v2
	v_mul_f32_e32 v3, v104, v3
	v_add_f32_e32 v1, v1, v2
	v_bfe_u32 v4, v3, 16, 1
	v_or_b32_e32 v5, 0x400000, v3
	v_cmp_u_f32_e32 vcc_lo, v3, v3
	v_add3_u32 v4, v4, v3, 0x7fff
	v_cndmask_b32_e32 v3, v4, v5, vcc_lo
	v_and_b32_e32 v4, 0xffff0000, v22
	v_and_b32_e32 v3, 0xffff0000, v3
	v_mul_f32_e32 v4, v101, v4
	v_bfe_u32 v5, v4, 16, 1
	v_or_b32_e32 v6, 0x400000, v4
	v_cmp_u_f32_e32 vcc_lo, v4, v4
	v_add3_u32 v5, v5, v4, 0x7fff
	v_cndmask_b32_e32 v4, v5, v6, vcc_lo
	s_waitcnt vmcnt(2)
	v_lshlrev_b32_e32 v5, 16, v23
	v_and_b32_e32 v2, 0xffff0000, v4
	v_mul_f32_e32 v5, v103, v5
	v_add_f32_e32 v2, v3, v2
	v_bfe_u32 v6, v5, 16, 1
	v_or_b32_e32 v7, 0x400000, v5
	v_cmp_u_f32_e32 vcc_lo, v5, v5
	v_add_f32_e32 v1, v2, v1
	v_add3_u32 v6, v6, v5, 0x7fff
	v_cndmask_b32_e32 v5, v6, v7, vcc_lo
	v_and_b32_e32 v6, 0xffff0000, v23
	v_and_b32_e32 v3, 0xffff0000, v5
	v_mul_f32_e32 v6, v10, v6
	buffer_load_dword v5, off, s[36:39], 0 offset:236 ; 4-byte Folded Reload
	v_bfe_u32 v7, v6, 16, 1
	v_or_b32_e32 v8, 0x400000, v6
	v_cmp_u_f32_e32 vcc_lo, v6, v6
	v_add3_u32 v7, v7, v6, 0x7fff
	v_cndmask_b32_e32 v6, v7, v8, vcc_lo
	s_waitcnt vmcnt(2)
	v_lshlrev_b32_e32 v7, 16, v24
	v_and_b32_e32 v2, 0xffff0000, v6
	v_mul_f32_e32 v7, v11, v7
	buffer_load_dword v6, off, s[36:39], 0 offset:224 ; 4-byte Folded Reload
	v_add_f32_e32 v2, v3, v2
	v_bfe_u32 v8, v7, 16, 1
	v_or_b32_e32 v10, 0x400000, v7
	v_cmp_u_f32_e32 vcc_lo, v7, v7
	v_add_f32_e32 v1, v2, v1
	v_add3_u32 v8, v8, v7, 0x7fff
	v_cndmask_b32_e32 v7, v8, v10, vcc_lo
	v_and_b32_e32 v8, 0xffff0000, v24
	v_and_b32_e32 v3, 0xffff0000, v7
	v_mul_f32_e32 v8, v9, v8
	v_bfe_u32 v9, v8, 16, 1
	v_or_b32_e32 v10, 0x400000, v8
	v_cmp_u_f32_e32 vcc_lo, v8, v8
	v_add3_u32 v9, v9, v8, 0x7fff
	v_cndmask_b32_e32 v8, v9, v10, vcc_lo
	v_and_b32_e32 v2, 0xffff0000, v8
	s_clause 0x1
	buffer_load_dword v7, off, s[36:39], 0 offset:228
	buffer_load_dword v8, off, s[36:39], 0 offset:232
	v_add_f32_e32 v2, v3, v2
	v_add_f32_e32 v1, v2, v1
	s_waitcnt vmcnt(4)
	v_add_f32_e32 v55, v55, v1
	s_waitcnt vmcnt(3)
	v_add_nc_u32_e32 v5, 4, v5
	s_waitcnt vmcnt(2)
	v_add_nc_u32_e32 v6, 0x200, v6
	s_waitcnt vmcnt(1)
	v_add_co_u32 v7, vcc_lo, v7, 16
	s_waitcnt vmcnt(0)
	v_add_co_ci_u32_e64 v8, null, 0, v8, vcc_lo
	v_cmp_le_i32_e32 vcc_lo, s12, v5
	s_or_b32 s18, vcc_lo, s18
	s_andn2_b32 exec_lo, exec_lo, s18
	s_cbranch_execz .LBB161_90
.LBB161_26:                             ; =>This Inner Loop Header: Depth=1
	buffer_store_dword v19, off, s[36:39], 0 offset:220 ; 4-byte Folded Spill
	buffer_store_dword v18, off, s[36:39], 0 offset:216 ; 4-byte Folded Spill
	;; [unrolled: 1-line block ×12, first 2 shown]
	v_cmp_eq_u32_e64 s1, s15, v5
	v_add_nc_u32_e32 v17, 1, v0
	v_or_b32_e32 v16, 3, v0
	v_or_b32_e32 v15, 2, v0
	;; [unrolled: 1-line block ×6, first 2 shown]
	global_load_dword v1, v[7:8], off
	s_waitcnt vmcnt(0)
	v_mad_i64_i32 v[1:2], null, v1, s13, 0
	v_lshlrev_b64 v[1:2], 1, v[1:2]
	v_add_co_u32 v18, vcc_lo, s5, v1
	buffer_load_dword v1, off, s[36:39], 0 offset:240 ; 4-byte Folded Reload
	v_add_co_ci_u32_e64 v19, null, s14, v2, vcc_lo
	s_waitcnt vmcnt(0)
	v_add_co_u32 v1, vcc_lo, v18, v1
	v_add_co_ci_u32_e64 v2, null, 0, v19, vcc_lo
	global_load_dwordx4 v[7:10], v[1:2], off
	s_waitcnt vmcnt(0)
	buffer_store_dword v7, off, s[36:39], 0 ; 4-byte Folded Spill
	buffer_store_dword v8, off, s[36:39], 0 offset:4 ; 4-byte Folded Spill
	buffer_store_dword v9, off, s[36:39], 0 offset:8 ; 4-byte Folded Spill
	;; [unrolled: 1-line block ×3, first 2 shown]
	ds_read2_b64 v[105:108], v6 offset1:1
	ds_read2_b64 v[101:104], v6 offset0:2 offset1:3
	buffer_store_dword v6, off, s[36:39], 0 offset:224 ; 4-byte Folded Spill
	buffer_store_dword v5, off, s[36:39], 0 offset:236 ; 4-byte Folded Spill
	s_and_saveexec_b32 s20, s1
	s_cbranch_execz .LBB161_28
; %bb.27:                               ;   in Loop: Header=BB161_26 Depth=1
	s_clause 0x3
	buffer_load_dword v7, off, s[36:39], 0
	buffer_load_dword v8, off, s[36:39], 0 offset:4
	buffer_load_dword v9, off, s[36:39], 0 offset:8
	;; [unrolled: 1-line block ×3, first 2 shown]
	v_cmp_gt_i32_e64 s2, s11, v0
	v_cmp_gt_i32_e32 vcc_lo, s19, v17
	v_cmp_gt_i32_e64 s3, s11, v15
	s_waitcnt vmcnt(3)
	v_cndmask_b32_e64 v3, 0, v7, s2
	v_cmp_gt_i32_e64 s2, s19, v16
	v_cndmask_b32_sdwa v5, v127, v7, vcc_lo dst_sel:DWORD dst_unused:UNUSED_PAD src0_sel:DWORD src1_sel:WORD_1
	s_waitcnt vmcnt(2)
	v_cndmask_b32_e64 v4, 0, v8, s3
	v_cmp_gt_i32_e64 s3, s19, v14
	s_mov_b32 vcc_lo, s2
	v_cmp_gt_i32_e64 s2, s19, v126
	v_cndmask_b32_sdwa v6, v127, v8, vcc_lo dst_sel:DWORD dst_unused:UNUSED_PAD src0_sel:DWORD src1_sel:WORD_1
	v_cmp_gt_i32_e32 vcc_lo, s11, v13
	v_perm_b32 v3, v5, v3, 0x5040100
	v_perm_b32 v4, v6, v4, 0x5040100
	s_waitcnt vmcnt(1)
	v_cndmask_b32_e32 v7, 0, v9, vcc_lo
	s_mov_b32 vcc_lo, s3
	v_cndmask_b32_sdwa v8, v127, v9, vcc_lo dst_sel:DWORD dst_unused:UNUSED_PAD src0_sel:DWORD src1_sel:WORD_1
	v_cmp_gt_i32_e32 vcc_lo, s11, v125
	v_perm_b32 v5, v8, v7, 0x5040100
	s_waitcnt vmcnt(0)
	v_cndmask_b32_e32 v9, 0, v10, vcc_lo
	s_mov_b32 vcc_lo, s2
	v_cndmask_b32_sdwa v10, v127, v10, vcc_lo dst_sel:DWORD dst_unused:UNUSED_PAD src0_sel:DWORD src1_sel:WORD_1
	v_perm_b32 v6, v10, v9, 0x5040100
	buffer_store_dword v3, off, s[36:39], 0 ; 4-byte Folded Spill
	buffer_store_dword v4, off, s[36:39], 0 offset:4 ; 4-byte Folded Spill
	buffer_store_dword v5, off, s[36:39], 0 offset:8 ; 4-byte Folded Spill
	;; [unrolled: 1-line block ×3, first 2 shown]
.LBB161_28:                             ;   in Loop: Header=BB161_26 Depth=1
	s_or_b32 exec_lo, exec_lo, s20
	global_load_dwordx4 v[3:6], v[1:2], off offset:512
	s_waitcnt vmcnt(0)
	buffer_store_dword v3, off, s[36:39], 0 offset:16 ; 4-byte Folded Spill
	buffer_store_dword v4, off, s[36:39], 0 offset:20 ; 4-byte Folded Spill
	buffer_store_dword v5, off, s[36:39], 0 offset:24 ; 4-byte Folded Spill
	buffer_store_dword v6, off, s[36:39], 0 offset:28 ; 4-byte Folded Spill
	s_and_saveexec_b32 s20, s1
	s_cbranch_execz .LBB161_30
; %bb.29:                               ;   in Loop: Header=BB161_26 Depth=1
	s_clause 0x3
	buffer_load_dword v7, off, s[36:39], 0 offset:16
	buffer_load_dword v8, off, s[36:39], 0 offset:20
	buffer_load_dword v9, off, s[36:39], 0 offset:24
	buffer_load_dword v10, off, s[36:39], 0 offset:28
	v_cmp_gt_i32_e64 s2, s11, v0
	v_cmp_gt_i32_e32 vcc_lo, s19, v17
	v_cmp_gt_i32_e64 s3, s11, v15
	s_waitcnt vmcnt(3)
	v_cndmask_b32_e64 v3, 0, v7, s2
	v_cmp_gt_i32_e64 s2, s19, v16
	v_cndmask_b32_sdwa v5, v127, v7, vcc_lo dst_sel:DWORD dst_unused:UNUSED_PAD src0_sel:DWORD src1_sel:WORD_1
	s_waitcnt vmcnt(2)
	v_cndmask_b32_e64 v4, 0, v8, s3
	v_cmp_gt_i32_e64 s3, s19, v14
	s_mov_b32 vcc_lo, s2
	v_cmp_gt_i32_e64 s2, s19, v126
	v_cndmask_b32_sdwa v6, v127, v8, vcc_lo dst_sel:DWORD dst_unused:UNUSED_PAD src0_sel:DWORD src1_sel:WORD_1
	v_cmp_gt_i32_e32 vcc_lo, s11, v13
	v_perm_b32 v3, v5, v3, 0x5040100
	v_perm_b32 v4, v6, v4, 0x5040100
	s_waitcnt vmcnt(1)
	v_cndmask_b32_e32 v7, 0, v9, vcc_lo
	s_mov_b32 vcc_lo, s3
	v_cndmask_b32_sdwa v8, v127, v9, vcc_lo dst_sel:DWORD dst_unused:UNUSED_PAD src0_sel:DWORD src1_sel:WORD_1
	v_cmp_gt_i32_e32 vcc_lo, s11, v125
	v_perm_b32 v5, v8, v7, 0x5040100
	s_waitcnt vmcnt(0)
	v_cndmask_b32_e32 v9, 0, v10, vcc_lo
	s_mov_b32 vcc_lo, s2
	v_cndmask_b32_sdwa v10, v127, v10, vcc_lo dst_sel:DWORD dst_unused:UNUSED_PAD src0_sel:DWORD src1_sel:WORD_1
	v_perm_b32 v6, v10, v9, 0x5040100
	buffer_store_dword v3, off, s[36:39], 0 offset:16 ; 4-byte Folded Spill
	buffer_store_dword v4, off, s[36:39], 0 offset:20 ; 4-byte Folded Spill
	buffer_store_dword v5, off, s[36:39], 0 offset:24 ; 4-byte Folded Spill
	buffer_store_dword v6, off, s[36:39], 0 offset:28 ; 4-byte Folded Spill
.LBB161_30:                             ;   in Loop: Header=BB161_26 Depth=1
	s_or_b32 exec_lo, exec_lo, s20
	global_load_dwordx4 v[3:6], v[1:2], off offset:1024
	s_waitcnt vmcnt(0)
	buffer_store_dword v3, off, s[36:39], 0 offset:48 ; 4-byte Folded Spill
	buffer_store_dword v4, off, s[36:39], 0 offset:52 ; 4-byte Folded Spill
	buffer_store_dword v5, off, s[36:39], 0 offset:56 ; 4-byte Folded Spill
	buffer_store_dword v6, off, s[36:39], 0 offset:60 ; 4-byte Folded Spill
	s_and_saveexec_b32 s20, s1
	s_cbranch_execz .LBB161_32
; %bb.31:                               ;   in Loop: Header=BB161_26 Depth=1
	s_clause 0x3
	buffer_load_dword v7, off, s[36:39], 0 offset:48
	buffer_load_dword v8, off, s[36:39], 0 offset:52
	buffer_load_dword v9, off, s[36:39], 0 offset:56
	buffer_load_dword v10, off, s[36:39], 0 offset:60
	v_cmp_gt_i32_e64 s2, s11, v0
	v_cmp_gt_i32_e32 vcc_lo, s19, v17
	v_cmp_gt_i32_e64 s3, s11, v15
	s_waitcnt vmcnt(3)
	v_cndmask_b32_e64 v3, 0, v7, s2
	v_cmp_gt_i32_e64 s2, s19, v16
	v_cndmask_b32_sdwa v5, v127, v7, vcc_lo dst_sel:DWORD dst_unused:UNUSED_PAD src0_sel:DWORD src1_sel:WORD_1
	s_waitcnt vmcnt(2)
	v_cndmask_b32_e64 v4, 0, v8, s3
	v_cmp_gt_i32_e64 s3, s19, v14
	s_mov_b32 vcc_lo, s2
	v_cmp_gt_i32_e64 s2, s19, v126
	v_cndmask_b32_sdwa v6, v127, v8, vcc_lo dst_sel:DWORD dst_unused:UNUSED_PAD src0_sel:DWORD src1_sel:WORD_1
	v_cmp_gt_i32_e32 vcc_lo, s11, v13
	v_perm_b32 v3, v5, v3, 0x5040100
	v_perm_b32 v4, v6, v4, 0x5040100
	s_waitcnt vmcnt(1)
	v_cndmask_b32_e32 v7, 0, v9, vcc_lo
	s_mov_b32 vcc_lo, s3
	v_cndmask_b32_sdwa v8, v127, v9, vcc_lo dst_sel:DWORD dst_unused:UNUSED_PAD src0_sel:DWORD src1_sel:WORD_1
	v_cmp_gt_i32_e32 vcc_lo, s11, v125
	v_perm_b32 v5, v8, v7, 0x5040100
	s_waitcnt vmcnt(0)
	v_cndmask_b32_e32 v9, 0, v10, vcc_lo
	s_mov_b32 vcc_lo, s2
	v_cndmask_b32_sdwa v10, v127, v10, vcc_lo dst_sel:DWORD dst_unused:UNUSED_PAD src0_sel:DWORD src1_sel:WORD_1
	v_perm_b32 v6, v10, v9, 0x5040100
	buffer_store_dword v3, off, s[36:39], 0 offset:48 ; 4-byte Folded Spill
	buffer_store_dword v4, off, s[36:39], 0 offset:52 ; 4-byte Folded Spill
	buffer_store_dword v5, off, s[36:39], 0 offset:56 ; 4-byte Folded Spill
	buffer_store_dword v6, off, s[36:39], 0 offset:60 ; 4-byte Folded Spill
.LBB161_32:                             ;   in Loop: Header=BB161_26 Depth=1
	;; [unrolled: 47-line block ×3, first 2 shown]
	s_or_b32 exec_lo, exec_lo, s20
	v_add_co_u32 v3, vcc_lo, 0x800, v1
	v_add_co_ci_u32_e64 v4, null, 0, v2, vcc_lo
	global_load_dwordx4 v[5:8], v[3:4], off
	s_waitcnt vmcnt(0)
	buffer_store_dword v5, off, s[36:39], 0 offset:80 ; 4-byte Folded Spill
	buffer_store_dword v6, off, s[36:39], 0 offset:84 ; 4-byte Folded Spill
	;; [unrolled: 1-line block ×4, first 2 shown]
	s_and_saveexec_b32 s20, s1
	s_cbranch_execnz .LBB161_72
; %bb.35:                               ;   in Loop: Header=BB161_26 Depth=1
	s_or_b32 exec_lo, exec_lo, s20
	global_load_dwordx4 v[25:28], v[3:4], off offset:512
	s_and_saveexec_b32 s20, s1
	s_cbranch_execnz .LBB161_73
.LBB161_36:                             ;   in Loop: Header=BB161_26 Depth=1
	s_or_b32 exec_lo, exec_lo, s20
	global_load_dwordx4 v[29:32], v[3:4], off offset:1024
	s_and_saveexec_b32 s20, s1
	s_cbranch_execnz .LBB161_74
.LBB161_37:                             ;   in Loop: Header=BB161_26 Depth=1
	s_or_b32 exec_lo, exec_lo, s20
	global_load_dwordx4 v[33:36], v[3:4], off offset:1536
	s_and_saveexec_b32 s20, s1
	s_cbranch_execz .LBB161_39
.LBB161_38:                             ;   in Loop: Header=BB161_26 Depth=1
	v_cmp_gt_i32_e64 s2, s11, v0
	v_cmp_gt_i32_e32 vcc_lo, s19, v17
	v_cmp_gt_i32_e64 s3, s11, v15
	s_waitcnt vmcnt(0)
	v_cndmask_b32_e64 v3, 0, v33, s2
	v_cmp_gt_i32_e64 s2, s19, v16
	v_cndmask_b32_sdwa v5, v127, v33, vcc_lo dst_sel:DWORD dst_unused:UNUSED_PAD src0_sel:DWORD src1_sel:WORD_1
	v_cndmask_b32_e64 v4, 0, v34, s3
	v_cmp_gt_i32_e64 s3, s19, v14
	s_mov_b32 vcc_lo, s2
	v_cmp_gt_i32_e64 s2, s19, v126
	v_cndmask_b32_sdwa v6, v127, v34, vcc_lo dst_sel:DWORD dst_unused:UNUSED_PAD src0_sel:DWORD src1_sel:WORD_1
	v_cmp_gt_i32_e32 vcc_lo, s11, v13
	v_perm_b32 v33, v5, v3, 0x5040100
	v_perm_b32 v34, v6, v4, 0x5040100
	v_cndmask_b32_e32 v7, 0, v35, vcc_lo
	s_mov_b32 vcc_lo, s3
	v_cndmask_b32_sdwa v8, v127, v35, vcc_lo dst_sel:DWORD dst_unused:UNUSED_PAD src0_sel:DWORD src1_sel:WORD_1
	v_cmp_gt_i32_e32 vcc_lo, s11, v125
	v_perm_b32 v35, v8, v7, 0x5040100
	v_cndmask_b32_e32 v9, 0, v36, vcc_lo
	s_mov_b32 vcc_lo, s2
	v_cndmask_b32_sdwa v10, v127, v36, vcc_lo dst_sel:DWORD dst_unused:UNUSED_PAD src0_sel:DWORD src1_sel:WORD_1
	v_perm_b32 v36, v10, v9, 0x5040100
.LBB161_39:                             ;   in Loop: Header=BB161_26 Depth=1
	s_or_b32 exec_lo, exec_lo, s20
	v_add_co_u32 v3, vcc_lo, 0x1000, v1
	v_add_co_ci_u32_e64 v4, null, 0, v2, vcc_lo
	global_load_dwordx4 v[37:40], v[3:4], off
	s_and_saveexec_b32 s20, s1
	s_cbranch_execnz .LBB161_75
; %bb.40:                               ;   in Loop: Header=BB161_26 Depth=1
	s_or_b32 exec_lo, exec_lo, s20
	global_load_dwordx4 v[41:44], v[3:4], off offset:512
	s_and_saveexec_b32 s20, s1
	s_cbranch_execnz .LBB161_76
.LBB161_41:                             ;   in Loop: Header=BB161_26 Depth=1
	s_or_b32 exec_lo, exec_lo, s20
	global_load_dwordx4 v[45:48], v[3:4], off offset:1024
	s_and_saveexec_b32 s20, s1
	s_cbranch_execnz .LBB161_77
.LBB161_42:                             ;   in Loop: Header=BB161_26 Depth=1
	s_or_b32 exec_lo, exec_lo, s20
	global_load_dwordx4 v[49:52], v[3:4], off offset:1536
	s_and_saveexec_b32 s20, s1
	s_cbranch_execz .LBB161_44
.LBB161_43:                             ;   in Loop: Header=BB161_26 Depth=1
	v_cmp_gt_i32_e64 s2, s11, v0
	v_cmp_gt_i32_e32 vcc_lo, s19, v17
	v_cmp_gt_i32_e64 s3, s11, v15
	s_waitcnt vmcnt(0)
	v_cndmask_b32_e64 v3, 0, v49, s2
	v_cmp_gt_i32_e64 s2, s19, v16
	v_cndmask_b32_sdwa v5, v127, v49, vcc_lo dst_sel:DWORD dst_unused:UNUSED_PAD src0_sel:DWORD src1_sel:WORD_1
	v_cndmask_b32_e64 v4, 0, v50, s3
	v_cmp_gt_i32_e64 s3, s19, v14
	s_mov_b32 vcc_lo, s2
	v_cmp_gt_i32_e64 s2, s19, v126
	v_cndmask_b32_sdwa v6, v127, v50, vcc_lo dst_sel:DWORD dst_unused:UNUSED_PAD src0_sel:DWORD src1_sel:WORD_1
	v_cmp_gt_i32_e32 vcc_lo, s11, v13
	v_perm_b32 v49, v5, v3, 0x5040100
	v_perm_b32 v50, v6, v4, 0x5040100
	v_cndmask_b32_e32 v7, 0, v51, vcc_lo
	s_mov_b32 vcc_lo, s3
	v_cndmask_b32_sdwa v8, v127, v51, vcc_lo dst_sel:DWORD dst_unused:UNUSED_PAD src0_sel:DWORD src1_sel:WORD_1
	v_cmp_gt_i32_e32 vcc_lo, s11, v125
	v_perm_b32 v51, v8, v7, 0x5040100
	v_cndmask_b32_e32 v9, 0, v52, vcc_lo
	s_mov_b32 vcc_lo, s2
	v_cndmask_b32_sdwa v10, v127, v52, vcc_lo dst_sel:DWORD dst_unused:UNUSED_PAD src0_sel:DWORD src1_sel:WORD_1
	v_perm_b32 v52, v10, v9, 0x5040100
.LBB161_44:                             ;   in Loop: Header=BB161_26 Depth=1
	s_or_b32 exec_lo, exec_lo, s20
	v_add_co_u32 v3, vcc_lo, 0x1800, v1
	v_add_co_ci_u32_e64 v4, null, 0, v2, vcc_lo
	global_load_dwordx4 v[53:56], v[3:4], off
	s_and_saveexec_b32 s20, s1
	s_cbranch_execnz .LBB161_78
; %bb.45:                               ;   in Loop: Header=BB161_26 Depth=1
	s_or_b32 exec_lo, exec_lo, s20
	global_load_dwordx4 v[57:60], v[3:4], off offset:512
	s_and_saveexec_b32 s20, s1
	s_cbranch_execnz .LBB161_79
.LBB161_46:                             ;   in Loop: Header=BB161_26 Depth=1
	s_or_b32 exec_lo, exec_lo, s20
	global_load_dwordx4 v[61:64], v[3:4], off offset:1024
	s_and_saveexec_b32 s3, s1
	s_cbranch_execnz .LBB161_80
.LBB161_47:                             ;   in Loop: Header=BB161_26 Depth=1
	s_or_b32 exec_lo, exec_lo, s3
	global_load_dwordx4 v[65:68], v[3:4], off offset:1536
	s_and_saveexec_b32 s3, s1
	s_cbranch_execz .LBB161_49
.LBB161_48:                             ;   in Loop: Header=BB161_26 Depth=1
	v_cmp_gt_i32_e64 s2, s11, v0
	v_cmp_gt_i32_e32 vcc_lo, s19, v17
	s_waitcnt vmcnt(0)
	v_cndmask_b32_e64 v4, 0, v65, s2
	v_cndmask_b32_sdwa v3, v127, v65, vcc_lo dst_sel:DWORD dst_unused:UNUSED_PAD src0_sel:DWORD src1_sel:WORD_1
	v_cmp_gt_i32_e32 vcc_lo, s19, v16
	v_cmp_gt_i32_e64 s2, s11, v15
	v_perm_b32 v65, v3, v4, 0x5040100
	v_cndmask_b32_sdwa v4, v127, v66, vcc_lo dst_sel:DWORD dst_unused:UNUSED_PAD src0_sel:DWORD src1_sel:WORD_1
	v_cndmask_b32_e64 v3, 0, v66, s2
	v_cmp_gt_i32_e32 vcc_lo, s19, v14
	v_cmp_gt_i32_e64 s2, s11, v13
	v_perm_b32 v66, v4, v3, 0x5040100
	v_cndmask_b32_sdwa v4, v127, v67, vcc_lo dst_sel:DWORD dst_unused:UNUSED_PAD src0_sel:DWORD src1_sel:WORD_1
	v_cndmask_b32_e64 v3, 0, v67, s2
	;; [unrolled: 5-line block ×3, first 2 shown]
	v_perm_b32 v68, v4, v3, 0x5040100
.LBB161_49:                             ;   in Loop: Header=BB161_26 Depth=1
	s_or_b32 exec_lo, exec_lo, s3
	v_add_co_u32 v3, vcc_lo, 0x2000, v1
	v_add_co_ci_u32_e64 v4, null, 0, v2, vcc_lo
	global_load_dwordx4 v[69:72], v[3:4], off
	s_and_saveexec_b32 s3, s1
	s_cbranch_execnz .LBB161_81
; %bb.50:                               ;   in Loop: Header=BB161_26 Depth=1
	s_or_b32 exec_lo, exec_lo, s3
	global_load_dwordx4 v[73:76], v[3:4], off offset:512
	s_and_saveexec_b32 s3, s1
	s_cbranch_execnz .LBB161_82
.LBB161_51:                             ;   in Loop: Header=BB161_26 Depth=1
	s_or_b32 exec_lo, exec_lo, s3
	global_load_dwordx4 v[77:80], v[3:4], off offset:1024
	s_and_saveexec_b32 s3, s1
	s_cbranch_execnz .LBB161_83
.LBB161_52:                             ;   in Loop: Header=BB161_26 Depth=1
	s_or_b32 exec_lo, exec_lo, s3
	global_load_dwordx4 v[81:84], v[3:4], off offset:1536
	s_and_saveexec_b32 s3, s1
	s_cbranch_execz .LBB161_54
.LBB161_53:                             ;   in Loop: Header=BB161_26 Depth=1
	v_cmp_gt_i32_e64 s2, s11, v0
	v_cmp_gt_i32_e32 vcc_lo, s19, v17
	s_waitcnt vmcnt(0)
	v_cndmask_b32_e64 v4, 0, v81, s2
	v_cndmask_b32_sdwa v3, v127, v81, vcc_lo dst_sel:DWORD dst_unused:UNUSED_PAD src0_sel:DWORD src1_sel:WORD_1
	v_cmp_gt_i32_e32 vcc_lo, s19, v16
	v_cmp_gt_i32_e64 s2, s11, v15
	v_perm_b32 v81, v3, v4, 0x5040100
	v_cndmask_b32_sdwa v4, v127, v82, vcc_lo dst_sel:DWORD dst_unused:UNUSED_PAD src0_sel:DWORD src1_sel:WORD_1
	v_cndmask_b32_e64 v3, 0, v82, s2
	v_cmp_gt_i32_e32 vcc_lo, s19, v14
	v_cmp_gt_i32_e64 s2, s11, v13
	v_perm_b32 v82, v4, v3, 0x5040100
	v_cndmask_b32_sdwa v4, v127, v83, vcc_lo dst_sel:DWORD dst_unused:UNUSED_PAD src0_sel:DWORD src1_sel:WORD_1
	v_cndmask_b32_e64 v3, 0, v83, s2
	;; [unrolled: 5-line block ×3, first 2 shown]
	v_perm_b32 v84, v4, v3, 0x5040100
.LBB161_54:                             ;   in Loop: Header=BB161_26 Depth=1
	s_or_b32 exec_lo, exec_lo, s3
	v_add_co_u32 v3, vcc_lo, 0x2800, v1
	v_add_co_ci_u32_e64 v4, null, 0, v2, vcc_lo
	global_load_dwordx4 v[85:88], v[3:4], off
	s_and_saveexec_b32 s3, s1
	s_cbranch_execnz .LBB161_84
; %bb.55:                               ;   in Loop: Header=BB161_26 Depth=1
	s_or_b32 exec_lo, exec_lo, s3
	global_load_dwordx4 v[89:92], v[3:4], off offset:512
	s_and_saveexec_b32 s3, s1
	s_cbranch_execnz .LBB161_85
.LBB161_56:                             ;   in Loop: Header=BB161_26 Depth=1
	s_or_b32 exec_lo, exec_lo, s3
	global_load_dwordx4 v[93:96], v[3:4], off offset:1024
	s_and_saveexec_b32 s3, s1
	s_cbranch_execnz .LBB161_86
.LBB161_57:                             ;   in Loop: Header=BB161_26 Depth=1
	s_or_b32 exec_lo, exec_lo, s3
	global_load_dwordx4 v[97:100], v[3:4], off offset:1536
	s_and_saveexec_b32 s3, s1
	s_cbranch_execz .LBB161_59
.LBB161_58:                             ;   in Loop: Header=BB161_26 Depth=1
	v_cmp_gt_i32_e64 s2, s11, v0
	v_cmp_gt_i32_e32 vcc_lo, s19, v17
	s_waitcnt vmcnt(0)
	v_cndmask_b32_e64 v4, 0, v97, s2
	v_cndmask_b32_sdwa v3, v127, v97, vcc_lo dst_sel:DWORD dst_unused:UNUSED_PAD src0_sel:DWORD src1_sel:WORD_1
	v_cmp_gt_i32_e32 vcc_lo, s19, v16
	v_cmp_gt_i32_e64 s2, s11, v15
	v_perm_b32 v97, v3, v4, 0x5040100
	v_cndmask_b32_sdwa v4, v127, v98, vcc_lo dst_sel:DWORD dst_unused:UNUSED_PAD src0_sel:DWORD src1_sel:WORD_1
	v_cndmask_b32_e64 v3, 0, v98, s2
	v_cmp_gt_i32_e32 vcc_lo, s19, v14
	v_cmp_gt_i32_e64 s2, s11, v13
	v_perm_b32 v98, v4, v3, 0x5040100
	v_cndmask_b32_sdwa v4, v127, v99, vcc_lo dst_sel:DWORD dst_unused:UNUSED_PAD src0_sel:DWORD src1_sel:WORD_1
	v_cndmask_b32_e64 v3, 0, v99, s2
	;; [unrolled: 5-line block ×3, first 2 shown]
	v_perm_b32 v100, v4, v3, 0x5040100
.LBB161_59:                             ;   in Loop: Header=BB161_26 Depth=1
	s_or_b32 exec_lo, exec_lo, s3
	v_add_co_u32 v3, vcc_lo, 0x3000, v1
	v_add_co_ci_u32_e64 v4, null, 0, v2, vcc_lo
	global_load_dwordx4 v[109:112], v[3:4], off
	s_and_saveexec_b32 s3, s1
	s_cbranch_execnz .LBB161_87
; %bb.60:                               ;   in Loop: Header=BB161_26 Depth=1
	s_or_b32 exec_lo, exec_lo, s3
	global_load_dwordx4 v[113:116], v[3:4], off offset:512
	s_and_saveexec_b32 s3, s1
	s_cbranch_execnz .LBB161_88
.LBB161_61:                             ;   in Loop: Header=BB161_26 Depth=1
	s_or_b32 exec_lo, exec_lo, s3
	global_load_dwordx4 v[117:120], v[3:4], off offset:1024
	s_and_saveexec_b32 s3, s1
	s_cbranch_execnz .LBB161_89
.LBB161_62:                             ;   in Loop: Header=BB161_26 Depth=1
	s_or_b32 exec_lo, exec_lo, s3
	global_load_dwordx4 v[121:124], v[3:4], off offset:1536
	s_and_saveexec_b32 s3, s1
	s_cbranch_execz .LBB161_64
.LBB161_63:                             ;   in Loop: Header=BB161_26 Depth=1
	v_cmp_gt_i32_e64 s2, s11, v0
	v_cmp_gt_i32_e32 vcc_lo, s19, v17
	s_waitcnt vmcnt(0)
	v_cndmask_b32_e64 v4, 0, v121, s2
	v_cndmask_b32_sdwa v3, v127, v121, vcc_lo dst_sel:DWORD dst_unused:UNUSED_PAD src0_sel:DWORD src1_sel:WORD_1
	v_cmp_gt_i32_e32 vcc_lo, s19, v16
	v_cmp_gt_i32_e64 s2, s11, v15
	v_perm_b32 v121, v3, v4, 0x5040100
	v_cndmask_b32_sdwa v4, v127, v122, vcc_lo dst_sel:DWORD dst_unused:UNUSED_PAD src0_sel:DWORD src1_sel:WORD_1
	v_cndmask_b32_e64 v3, 0, v122, s2
	v_cmp_gt_i32_e32 vcc_lo, s19, v14
	v_cmp_gt_i32_e64 s2, s11, v13
	v_perm_b32 v122, v4, v3, 0x5040100
	v_cndmask_b32_sdwa v4, v127, v123, vcc_lo dst_sel:DWORD dst_unused:UNUSED_PAD src0_sel:DWORD src1_sel:WORD_1
	v_cndmask_b32_e64 v3, 0, v123, s2
	;; [unrolled: 5-line block ×3, first 2 shown]
	v_perm_b32 v124, v4, v3, 0x5040100
.LBB161_64:                             ;   in Loop: Header=BB161_26 Depth=1
	s_or_b32 exec_lo, exec_lo, s3
	v_add_co_u32 v9, vcc_lo, 0x3800, v1
	v_add_co_ci_u32_e64 v10, null, 0, v2, vcc_lo
	global_load_dwordx4 v[1:4], v[9:10], off
	s_and_saveexec_b32 s3, s1
	s_cbranch_execz .LBB161_66
; %bb.65:                               ;   in Loop: Header=BB161_26 Depth=1
	v_cmp_gt_i32_e64 s2, s11, v0
	v_cmp_gt_i32_e32 vcc_lo, s19, v17
	s_waitcnt vmcnt(0)
	v_cndmask_b32_sdwa v5, v127, v1, vcc_lo dst_sel:DWORD dst_unused:UNUSED_PAD src0_sel:DWORD src1_sel:WORD_1
	v_cndmask_b32_e64 v1, 0, v1, s2
	v_cmp_gt_i32_e32 vcc_lo, s19, v16
	v_cmp_gt_i32_e64 s2, s11, v15
	v_perm_b32 v1, v5, v1, 0x5040100
	v_cndmask_b32_e64 v5, 0, v2, s2
	v_cndmask_b32_sdwa v2, v127, v2, vcc_lo dst_sel:DWORD dst_unused:UNUSED_PAD src0_sel:DWORD src1_sel:WORD_1
	v_cmp_gt_i32_e32 vcc_lo, s19, v14
	v_cmp_gt_i32_e64 s2, s11, v13
	v_perm_b32 v2, v2, v5, 0x5040100
	v_cndmask_b32_e64 v5, 0, v3, s2
	v_cndmask_b32_sdwa v3, v127, v3, vcc_lo dst_sel:DWORD dst_unused:UNUSED_PAD src0_sel:DWORD src1_sel:WORD_1
	v_cmp_gt_i32_e32 vcc_lo, s19, v126
	v_cmp_gt_i32_e64 s2, s11, v125
	v_perm_b32 v3, v3, v5, 0x5040100
	v_cndmask_b32_e64 v5, 0, v4, s2
	v_cndmask_b32_sdwa v4, v127, v4, vcc_lo dst_sel:DWORD dst_unused:UNUSED_PAD src0_sel:DWORD src1_sel:WORD_1
	v_perm_b32 v4, v4, v5, 0x5040100
.LBB161_66:                             ;   in Loop: Header=BB161_26 Depth=1
	s_or_b32 exec_lo, exec_lo, s3
	global_load_dwordx4 v[5:8], v[9:10], off offset:512
	s_and_saveexec_b32 s3, s1
	s_cbranch_execz .LBB161_68
; %bb.67:                               ;   in Loop: Header=BB161_26 Depth=1
	v_cmp_gt_i32_e64 s2, s11, v0
	v_cmp_gt_i32_e32 vcc_lo, s19, v17
	s_waitcnt vmcnt(0)
	v_cndmask_b32_sdwa v11, v127, v5, vcc_lo dst_sel:DWORD dst_unused:UNUSED_PAD src0_sel:DWORD src1_sel:WORD_1
	v_cndmask_b32_e64 v5, 0, v5, s2
	v_cmp_gt_i32_e32 vcc_lo, s19, v16
	v_cmp_gt_i32_e64 s2, s11, v15
	v_perm_b32 v5, v11, v5, 0x5040100
	v_cndmask_b32_e64 v11, 0, v6, s2
	v_cndmask_b32_sdwa v6, v127, v6, vcc_lo dst_sel:DWORD dst_unused:UNUSED_PAD src0_sel:DWORD src1_sel:WORD_1
	v_cmp_gt_i32_e32 vcc_lo, s19, v14
	v_cmp_gt_i32_e64 s2, s11, v13
	v_perm_b32 v6, v6, v11, 0x5040100
	v_cndmask_b32_e64 v11, 0, v7, s2
	v_cndmask_b32_sdwa v7, v127, v7, vcc_lo dst_sel:DWORD dst_unused:UNUSED_PAD src0_sel:DWORD src1_sel:WORD_1
	v_cmp_gt_i32_e32 vcc_lo, s19, v126
	v_cmp_gt_i32_e64 s2, s11, v125
	v_perm_b32 v7, v7, v11, 0x5040100
	v_cndmask_b32_e64 v11, 0, v8, s2
	v_cndmask_b32_sdwa v8, v127, v8, vcc_lo dst_sel:DWORD dst_unused:UNUSED_PAD src0_sel:DWORD src1_sel:WORD_1
	v_perm_b32 v8, v8, v11, 0x5040100
.LBB161_68:                             ;   in Loop: Header=BB161_26 Depth=1
	s_or_b32 exec_lo, exec_lo, s3
	global_load_dwordx4 v[9:12], v[9:10], off offset:1024
	buffer_store_dword v20, off, s[36:39], 0 offset:208 ; 4-byte Folded Spill
	s_and_saveexec_b32 s3, s1
	s_cbranch_execz .LBB161_70
; %bb.69:                               ;   in Loop: Header=BB161_26 Depth=1
	v_cmp_gt_i32_e64 s2, s11, v0
	v_cmp_gt_i32_e32 vcc_lo, s19, v17
	s_waitcnt vmcnt(0)
	v_cndmask_b32_sdwa v20, v127, v9, vcc_lo dst_sel:DWORD dst_unused:UNUSED_PAD src0_sel:DWORD src1_sel:WORD_1
	v_cndmask_b32_e64 v9, 0, v9, s2
	v_cmp_gt_i32_e32 vcc_lo, s19, v16
	v_cmp_gt_i32_e64 s2, s11, v15
	v_perm_b32 v9, v20, v9, 0x5040100
	v_cndmask_b32_e64 v20, 0, v10, s2
	v_cndmask_b32_sdwa v10, v127, v10, vcc_lo dst_sel:DWORD dst_unused:UNUSED_PAD src0_sel:DWORD src1_sel:WORD_1
	v_cmp_gt_i32_e32 vcc_lo, s19, v14
	v_cmp_gt_i32_e64 s2, s11, v13
	v_perm_b32 v10, v10, v20, 0x5040100
	v_cndmask_b32_e64 v20, 0, v11, s2
	v_cndmask_b32_sdwa v11, v127, v11, vcc_lo dst_sel:DWORD dst_unused:UNUSED_PAD src0_sel:DWORD src1_sel:WORD_1
	;; [unrolled: 5-line block ×3, first 2 shown]
	v_perm_b32 v12, v12, v20, 0x5040100
.LBB161_70:                             ;   in Loop: Header=BB161_26 Depth=1
	s_or_b32 exec_lo, exec_lo, s3
	buffer_load_dword v20, off, s[36:39], 0 offset:244 ; 4-byte Folded Reload
	s_waitcnt vmcnt(0)
	v_add_co_u32 v18, vcc_lo, v18, v20
	v_add_co_ci_u32_e64 v19, null, 0, v19, vcc_lo
	global_load_dwordx4 v[18:21], v[18:19], off
	s_waitcnt vmcnt(0)
	buffer_store_dword v18, off, s[36:39], 0 offset:32 ; 4-byte Folded Spill
	buffer_store_dword v19, off, s[36:39], 0 offset:36 ; 4-byte Folded Spill
	;; [unrolled: 1-line block ×4, first 2 shown]
	s_and_saveexec_b32 s3, s1
	s_cbranch_execz .LBB161_25
; %bb.71:                               ;   in Loop: Header=BB161_26 Depth=1
	s_clause 0x3
	buffer_load_dword v18, off, s[36:39], 0 offset:32
	buffer_load_dword v19, off, s[36:39], 0 offset:36
	;; [unrolled: 1-line block ×4, first 2 shown]
	v_cmp_gt_i32_e64 s1, s11, v0
	v_cmp_gt_i32_e32 vcc_lo, s19, v17
	v_cmp_gt_i32_e64 s2, s11, v15
	s_waitcnt vmcnt(3)
	v_cndmask_b32_e64 v17, 0, v18, s1
	v_cmp_gt_i32_e64 s1, s19, v16
	v_cndmask_b32_sdwa v16, v127, v18, vcc_lo dst_sel:DWORD dst_unused:UNUSED_PAD src0_sel:DWORD src1_sel:WORD_1
	s_waitcnt vmcnt(2)
	v_cndmask_b32_e64 v15, 0, v19, s2
	v_cmp_gt_i32_e64 s2, s19, v14
	s_mov_b32 vcc_lo, s1
	v_cmp_gt_i32_e64 s1, s19, v126
	v_cndmask_b32_sdwa v14, v127, v19, vcc_lo dst_sel:DWORD dst_unused:UNUSED_PAD src0_sel:DWORD src1_sel:WORD_1
	v_cmp_gt_i32_e32 vcc_lo, s11, v13
	v_perm_b32 v16, v16, v17, 0x5040100
	v_perm_b32 v17, v14, v15, 0x5040100
	s_waitcnt vmcnt(1)
	v_cndmask_b32_e32 v13, 0, v20, vcc_lo
	s_mov_b32 vcc_lo, s2
	v_cndmask_b32_sdwa v18, v127, v20, vcc_lo dst_sel:DWORD dst_unused:UNUSED_PAD src0_sel:DWORD src1_sel:WORD_1
	v_cmp_gt_i32_e32 vcc_lo, s11, v125
	v_perm_b32 v18, v18, v13, 0x5040100
	s_waitcnt vmcnt(0)
	v_cndmask_b32_e32 v19, 0, v21, vcc_lo
	s_mov_b32 vcc_lo, s1
	v_cndmask_b32_sdwa v20, v127, v21, vcc_lo dst_sel:DWORD dst_unused:UNUSED_PAD src0_sel:DWORD src1_sel:WORD_1
	v_perm_b32 v19, v20, v19, 0x5040100
	buffer_store_dword v16, off, s[36:39], 0 offset:32 ; 4-byte Folded Spill
	buffer_store_dword v17, off, s[36:39], 0 offset:36 ; 4-byte Folded Spill
	;; [unrolled: 1-line block ×4, first 2 shown]
	s_branch .LBB161_25
.LBB161_72:                             ;   in Loop: Header=BB161_26 Depth=1
	s_clause 0x3
	buffer_load_dword v9, off, s[36:39], 0 offset:80
	buffer_load_dword v10, off, s[36:39], 0 offset:84
	;; [unrolled: 1-line block ×4, first 2 shown]
	v_cmp_gt_i32_e64 s2, s11, v0
	v_cmp_gt_i32_e32 vcc_lo, s19, v17
	v_cmp_gt_i32_e64 s3, s11, v15
	s_waitcnt vmcnt(3)
	v_cndmask_b32_e64 v5, 0, v9, s2
	v_cmp_gt_i32_e64 s2, s19, v16
	v_cndmask_b32_sdwa v7, v127, v9, vcc_lo dst_sel:DWORD dst_unused:UNUSED_PAD src0_sel:DWORD src1_sel:WORD_1
	s_waitcnt vmcnt(2)
	v_cndmask_b32_e64 v6, 0, v10, s3
	v_cmp_gt_i32_e64 s3, s19, v14
	s_mov_b32 vcc_lo, s2
	v_cmp_gt_i32_e64 s2, s19, v126
	v_cndmask_b32_sdwa v8, v127, v10, vcc_lo dst_sel:DWORD dst_unused:UNUSED_PAD src0_sel:DWORD src1_sel:WORD_1
	v_cmp_gt_i32_e32 vcc_lo, s11, v13
	v_perm_b32 v5, v7, v5, 0x5040100
	v_perm_b32 v6, v8, v6, 0x5040100
	s_waitcnt vmcnt(1)
	v_cndmask_b32_e32 v9, 0, v11, vcc_lo
	s_mov_b32 vcc_lo, s3
	v_cndmask_b32_sdwa v10, v127, v11, vcc_lo dst_sel:DWORD dst_unused:UNUSED_PAD src0_sel:DWORD src1_sel:WORD_1
	v_cmp_gt_i32_e32 vcc_lo, s11, v125
	v_perm_b32 v7, v10, v9, 0x5040100
	s_waitcnt vmcnt(0)
	v_cndmask_b32_e32 v11, 0, v12, vcc_lo
	s_mov_b32 vcc_lo, s2
	v_cndmask_b32_sdwa v12, v127, v12, vcc_lo dst_sel:DWORD dst_unused:UNUSED_PAD src0_sel:DWORD src1_sel:WORD_1
	v_perm_b32 v8, v12, v11, 0x5040100
	buffer_store_dword v5, off, s[36:39], 0 offset:80 ; 4-byte Folded Spill
	buffer_store_dword v6, off, s[36:39], 0 offset:84 ; 4-byte Folded Spill
	;; [unrolled: 1-line block ×4, first 2 shown]
	s_or_b32 exec_lo, exec_lo, s20
	global_load_dwordx4 v[25:28], v[3:4], off offset:512
	s_and_saveexec_b32 s20, s1
	s_cbranch_execz .LBB161_36
.LBB161_73:                             ;   in Loop: Header=BB161_26 Depth=1
	v_cmp_gt_i32_e64 s2, s11, v0
	v_cmp_gt_i32_e32 vcc_lo, s19, v17
	v_cmp_gt_i32_e64 s3, s11, v15
	s_waitcnt vmcnt(0)
	v_cndmask_b32_e64 v5, 0, v25, s2
	v_cmp_gt_i32_e64 s2, s19, v16
	v_cndmask_b32_sdwa v7, v127, v25, vcc_lo dst_sel:DWORD dst_unused:UNUSED_PAD src0_sel:DWORD src1_sel:WORD_1
	v_cndmask_b32_e64 v6, 0, v26, s3
	v_cmp_gt_i32_e64 s3, s19, v14
	s_mov_b32 vcc_lo, s2
	v_cmp_gt_i32_e64 s2, s19, v126
	v_cndmask_b32_sdwa v8, v127, v26, vcc_lo dst_sel:DWORD dst_unused:UNUSED_PAD src0_sel:DWORD src1_sel:WORD_1
	v_cmp_gt_i32_e32 vcc_lo, s11, v13
	v_perm_b32 v25, v7, v5, 0x5040100
	v_perm_b32 v26, v8, v6, 0x5040100
	v_cndmask_b32_e32 v9, 0, v27, vcc_lo
	s_mov_b32 vcc_lo, s3
	v_cndmask_b32_sdwa v10, v127, v27, vcc_lo dst_sel:DWORD dst_unused:UNUSED_PAD src0_sel:DWORD src1_sel:WORD_1
	v_cmp_gt_i32_e32 vcc_lo, s11, v125
	v_perm_b32 v27, v10, v9, 0x5040100
	v_cndmask_b32_e32 v11, 0, v28, vcc_lo
	s_mov_b32 vcc_lo, s2
	v_cndmask_b32_sdwa v12, v127, v28, vcc_lo dst_sel:DWORD dst_unused:UNUSED_PAD src0_sel:DWORD src1_sel:WORD_1
	v_perm_b32 v28, v12, v11, 0x5040100
	s_or_b32 exec_lo, exec_lo, s20
	global_load_dwordx4 v[29:32], v[3:4], off offset:1024
	s_and_saveexec_b32 s20, s1
	s_cbranch_execz .LBB161_37
.LBB161_74:                             ;   in Loop: Header=BB161_26 Depth=1
	v_cmp_gt_i32_e64 s2, s11, v0
	v_cmp_gt_i32_e32 vcc_lo, s19, v17
	v_cmp_gt_i32_e64 s3, s11, v15
	s_waitcnt vmcnt(0)
	v_cndmask_b32_e64 v5, 0, v29, s2
	v_cmp_gt_i32_e64 s2, s19, v16
	v_cndmask_b32_sdwa v7, v127, v29, vcc_lo dst_sel:DWORD dst_unused:UNUSED_PAD src0_sel:DWORD src1_sel:WORD_1
	v_cndmask_b32_e64 v6, 0, v30, s3
	v_cmp_gt_i32_e64 s3, s19, v14
	s_mov_b32 vcc_lo, s2
	v_cmp_gt_i32_e64 s2, s19, v126
	v_cndmask_b32_sdwa v8, v127, v30, vcc_lo dst_sel:DWORD dst_unused:UNUSED_PAD src0_sel:DWORD src1_sel:WORD_1
	v_cmp_gt_i32_e32 vcc_lo, s11, v13
	v_perm_b32 v29, v7, v5, 0x5040100
	v_perm_b32 v30, v8, v6, 0x5040100
	v_cndmask_b32_e32 v9, 0, v31, vcc_lo
	s_mov_b32 vcc_lo, s3
	v_cndmask_b32_sdwa v10, v127, v31, vcc_lo dst_sel:DWORD dst_unused:UNUSED_PAD src0_sel:DWORD src1_sel:WORD_1
	v_cmp_gt_i32_e32 vcc_lo, s11, v125
	v_perm_b32 v31, v10, v9, 0x5040100
	v_cndmask_b32_e32 v11, 0, v32, vcc_lo
	s_mov_b32 vcc_lo, s2
	v_cndmask_b32_sdwa v12, v127, v32, vcc_lo dst_sel:DWORD dst_unused:UNUSED_PAD src0_sel:DWORD src1_sel:WORD_1
	v_perm_b32 v32, v12, v11, 0x5040100
	s_or_b32 exec_lo, exec_lo, s20
	global_load_dwordx4 v[33:36], v[3:4], off offset:1536
	s_and_saveexec_b32 s20, s1
	s_cbranch_execnz .LBB161_38
	s_branch .LBB161_39
.LBB161_75:                             ;   in Loop: Header=BB161_26 Depth=1
	v_cmp_gt_i32_e64 s2, s11, v0
	v_cmp_gt_i32_e32 vcc_lo, s19, v17
	v_cmp_gt_i32_e64 s3, s11, v15
	s_waitcnt vmcnt(0)
	v_cndmask_b32_e64 v5, 0, v37, s2
	v_cmp_gt_i32_e64 s2, s19, v16
	v_cndmask_b32_sdwa v7, v127, v37, vcc_lo dst_sel:DWORD dst_unused:UNUSED_PAD src0_sel:DWORD src1_sel:WORD_1
	v_cndmask_b32_e64 v6, 0, v38, s3
	v_cmp_gt_i32_e64 s3, s19, v14
	s_mov_b32 vcc_lo, s2
	v_cmp_gt_i32_e64 s2, s19, v126
	v_cndmask_b32_sdwa v8, v127, v38, vcc_lo dst_sel:DWORD dst_unused:UNUSED_PAD src0_sel:DWORD src1_sel:WORD_1
	v_cmp_gt_i32_e32 vcc_lo, s11, v13
	v_perm_b32 v37, v7, v5, 0x5040100
	v_perm_b32 v38, v8, v6, 0x5040100
	v_cndmask_b32_e32 v9, 0, v39, vcc_lo
	s_mov_b32 vcc_lo, s3
	v_cndmask_b32_sdwa v10, v127, v39, vcc_lo dst_sel:DWORD dst_unused:UNUSED_PAD src0_sel:DWORD src1_sel:WORD_1
	v_cmp_gt_i32_e32 vcc_lo, s11, v125
	v_perm_b32 v39, v10, v9, 0x5040100
	v_cndmask_b32_e32 v11, 0, v40, vcc_lo
	s_mov_b32 vcc_lo, s2
	v_cndmask_b32_sdwa v12, v127, v40, vcc_lo dst_sel:DWORD dst_unused:UNUSED_PAD src0_sel:DWORD src1_sel:WORD_1
	v_perm_b32 v40, v12, v11, 0x5040100
	s_or_b32 exec_lo, exec_lo, s20
	global_load_dwordx4 v[41:44], v[3:4], off offset:512
	s_and_saveexec_b32 s20, s1
	s_cbranch_execz .LBB161_41
.LBB161_76:                             ;   in Loop: Header=BB161_26 Depth=1
	v_cmp_gt_i32_e64 s2, s11, v0
	v_cmp_gt_i32_e32 vcc_lo, s19, v17
	v_cmp_gt_i32_e64 s3, s11, v15
	s_waitcnt vmcnt(0)
	v_cndmask_b32_e64 v5, 0, v41, s2
	v_cmp_gt_i32_e64 s2, s19, v16
	v_cndmask_b32_sdwa v7, v127, v41, vcc_lo dst_sel:DWORD dst_unused:UNUSED_PAD src0_sel:DWORD src1_sel:WORD_1
	v_cndmask_b32_e64 v6, 0, v42, s3
	v_cmp_gt_i32_e64 s3, s19, v14
	s_mov_b32 vcc_lo, s2
	v_cmp_gt_i32_e64 s2, s19, v126
	v_cndmask_b32_sdwa v8, v127, v42, vcc_lo dst_sel:DWORD dst_unused:UNUSED_PAD src0_sel:DWORD src1_sel:WORD_1
	v_cmp_gt_i32_e32 vcc_lo, s11, v13
	v_perm_b32 v41, v7, v5, 0x5040100
	v_perm_b32 v42, v8, v6, 0x5040100
	v_cndmask_b32_e32 v9, 0, v43, vcc_lo
	s_mov_b32 vcc_lo, s3
	v_cndmask_b32_sdwa v10, v127, v43, vcc_lo dst_sel:DWORD dst_unused:UNUSED_PAD src0_sel:DWORD src1_sel:WORD_1
	v_cmp_gt_i32_e32 vcc_lo, s11, v125
	v_perm_b32 v43, v10, v9, 0x5040100
	v_cndmask_b32_e32 v11, 0, v44, vcc_lo
	s_mov_b32 vcc_lo, s2
	v_cndmask_b32_sdwa v12, v127, v44, vcc_lo dst_sel:DWORD dst_unused:UNUSED_PAD src0_sel:DWORD src1_sel:WORD_1
	v_perm_b32 v44, v12, v11, 0x5040100
	s_or_b32 exec_lo, exec_lo, s20
	global_load_dwordx4 v[45:48], v[3:4], off offset:1024
	s_and_saveexec_b32 s20, s1
	s_cbranch_execz .LBB161_42
.LBB161_77:                             ;   in Loop: Header=BB161_26 Depth=1
	v_cmp_gt_i32_e64 s2, s11, v0
	v_cmp_gt_i32_e32 vcc_lo, s19, v17
	v_cmp_gt_i32_e64 s3, s11, v15
	s_waitcnt vmcnt(0)
	v_cndmask_b32_e64 v5, 0, v45, s2
	v_cmp_gt_i32_e64 s2, s19, v16
	v_cndmask_b32_sdwa v7, v127, v45, vcc_lo dst_sel:DWORD dst_unused:UNUSED_PAD src0_sel:DWORD src1_sel:WORD_1
	v_cndmask_b32_e64 v6, 0, v46, s3
	v_cmp_gt_i32_e64 s3, s19, v14
	s_mov_b32 vcc_lo, s2
	v_cmp_gt_i32_e64 s2, s19, v126
	v_cndmask_b32_sdwa v8, v127, v46, vcc_lo dst_sel:DWORD dst_unused:UNUSED_PAD src0_sel:DWORD src1_sel:WORD_1
	v_cmp_gt_i32_e32 vcc_lo, s11, v13
	v_perm_b32 v45, v7, v5, 0x5040100
	v_perm_b32 v46, v8, v6, 0x5040100
	v_cndmask_b32_e32 v9, 0, v47, vcc_lo
	s_mov_b32 vcc_lo, s3
	v_cndmask_b32_sdwa v10, v127, v47, vcc_lo dst_sel:DWORD dst_unused:UNUSED_PAD src0_sel:DWORD src1_sel:WORD_1
	v_cmp_gt_i32_e32 vcc_lo, s11, v125
	v_perm_b32 v47, v10, v9, 0x5040100
	v_cndmask_b32_e32 v11, 0, v48, vcc_lo
	s_mov_b32 vcc_lo, s2
	v_cndmask_b32_sdwa v12, v127, v48, vcc_lo dst_sel:DWORD dst_unused:UNUSED_PAD src0_sel:DWORD src1_sel:WORD_1
	v_perm_b32 v48, v12, v11, 0x5040100
	s_or_b32 exec_lo, exec_lo, s20
	global_load_dwordx4 v[49:52], v[3:4], off offset:1536
	s_and_saveexec_b32 s20, s1
	s_cbranch_execnz .LBB161_43
	s_branch .LBB161_44
.LBB161_78:                             ;   in Loop: Header=BB161_26 Depth=1
	v_cmp_gt_i32_e64 s2, s11, v0
	v_cmp_gt_i32_e32 vcc_lo, s19, v17
	v_cmp_gt_i32_e64 s3, s11, v15
	s_waitcnt vmcnt(0)
	v_cndmask_b32_e64 v5, 0, v53, s2
	v_cmp_gt_i32_e64 s2, s19, v16
	v_cndmask_b32_sdwa v7, v127, v53, vcc_lo dst_sel:DWORD dst_unused:UNUSED_PAD src0_sel:DWORD src1_sel:WORD_1
	v_cndmask_b32_e64 v6, 0, v54, s3
	v_cmp_gt_i32_e64 s3, s19, v14
	s_mov_b32 vcc_lo, s2
	v_cmp_gt_i32_e64 s2, s19, v126
	v_cndmask_b32_sdwa v8, v127, v54, vcc_lo dst_sel:DWORD dst_unused:UNUSED_PAD src0_sel:DWORD src1_sel:WORD_1
	v_cmp_gt_i32_e32 vcc_lo, s11, v13
	v_perm_b32 v53, v7, v5, 0x5040100
	v_perm_b32 v54, v8, v6, 0x5040100
	v_cndmask_b32_e32 v9, 0, v55, vcc_lo
	s_mov_b32 vcc_lo, s3
	v_cndmask_b32_sdwa v10, v127, v55, vcc_lo dst_sel:DWORD dst_unused:UNUSED_PAD src0_sel:DWORD src1_sel:WORD_1
	v_cmp_gt_i32_e32 vcc_lo, s11, v125
	v_perm_b32 v55, v10, v9, 0x5040100
	v_cndmask_b32_e32 v11, 0, v56, vcc_lo
	s_mov_b32 vcc_lo, s2
	v_cndmask_b32_sdwa v12, v127, v56, vcc_lo dst_sel:DWORD dst_unused:UNUSED_PAD src0_sel:DWORD src1_sel:WORD_1
	v_perm_b32 v56, v12, v11, 0x5040100
	s_or_b32 exec_lo, exec_lo, s20
	global_load_dwordx4 v[57:60], v[3:4], off offset:512
	s_and_saveexec_b32 s20, s1
	s_cbranch_execz .LBB161_46
.LBB161_79:                             ;   in Loop: Header=BB161_26 Depth=1
	v_cmp_gt_i32_e64 s2, s11, v0
	v_cmp_gt_i32_e32 vcc_lo, s19, v17
	v_cmp_gt_i32_e64 s3, s11, v15
	s_waitcnt vmcnt(0)
	v_cndmask_b32_e64 v5, 0, v57, s2
	v_cmp_gt_i32_e64 s2, s19, v16
	v_cndmask_b32_sdwa v7, v127, v57, vcc_lo dst_sel:DWORD dst_unused:UNUSED_PAD src0_sel:DWORD src1_sel:WORD_1
	v_cndmask_b32_e64 v6, 0, v58, s3
	v_cmp_gt_i32_e64 s3, s19, v14
	s_mov_b32 vcc_lo, s2
	v_cmp_gt_i32_e64 s2, s19, v126
	v_cndmask_b32_sdwa v8, v127, v58, vcc_lo dst_sel:DWORD dst_unused:UNUSED_PAD src0_sel:DWORD src1_sel:WORD_1
	v_cmp_gt_i32_e32 vcc_lo, s11, v13
	v_perm_b32 v57, v7, v5, 0x5040100
	v_perm_b32 v58, v8, v6, 0x5040100
	v_cndmask_b32_e32 v9, 0, v59, vcc_lo
	s_mov_b32 vcc_lo, s3
	v_cndmask_b32_sdwa v10, v127, v59, vcc_lo dst_sel:DWORD dst_unused:UNUSED_PAD src0_sel:DWORD src1_sel:WORD_1
	v_cmp_gt_i32_e32 vcc_lo, s11, v125
	v_perm_b32 v59, v10, v9, 0x5040100
	v_cndmask_b32_e32 v11, 0, v60, vcc_lo
	s_mov_b32 vcc_lo, s2
	v_cndmask_b32_sdwa v12, v127, v60, vcc_lo dst_sel:DWORD dst_unused:UNUSED_PAD src0_sel:DWORD src1_sel:WORD_1
	v_perm_b32 v60, v12, v11, 0x5040100
	s_or_b32 exec_lo, exec_lo, s20
	global_load_dwordx4 v[61:64], v[3:4], off offset:1024
	s_and_saveexec_b32 s3, s1
	s_cbranch_execz .LBB161_47
.LBB161_80:                             ;   in Loop: Header=BB161_26 Depth=1
	v_cmp_gt_i32_e64 s2, s11, v0
	v_cmp_gt_i32_e32 vcc_lo, s19, v17
	s_waitcnt vmcnt(0)
	v_cndmask_b32_e64 v6, 0, v61, s2
	v_cndmask_b32_sdwa v5, v127, v61, vcc_lo dst_sel:DWORD dst_unused:UNUSED_PAD src0_sel:DWORD src1_sel:WORD_1
	v_cmp_gt_i32_e32 vcc_lo, s19, v16
	v_cmp_gt_i32_e64 s2, s11, v15
	v_perm_b32 v61, v5, v6, 0x5040100
	v_cndmask_b32_sdwa v6, v127, v62, vcc_lo dst_sel:DWORD dst_unused:UNUSED_PAD src0_sel:DWORD src1_sel:WORD_1
	v_cndmask_b32_e64 v5, 0, v62, s2
	v_cmp_gt_i32_e32 vcc_lo, s19, v14
	v_cmp_gt_i32_e64 s2, s11, v13
	v_perm_b32 v62, v6, v5, 0x5040100
	v_cndmask_b32_sdwa v6, v127, v63, vcc_lo dst_sel:DWORD dst_unused:UNUSED_PAD src0_sel:DWORD src1_sel:WORD_1
	v_cndmask_b32_e64 v5, 0, v63, s2
	;; [unrolled: 5-line block ×3, first 2 shown]
	v_perm_b32 v64, v6, v5, 0x5040100
	s_or_b32 exec_lo, exec_lo, s3
	global_load_dwordx4 v[65:68], v[3:4], off offset:1536
	s_and_saveexec_b32 s3, s1
	s_cbranch_execnz .LBB161_48
	s_branch .LBB161_49
.LBB161_81:                             ;   in Loop: Header=BB161_26 Depth=1
	v_cmp_gt_i32_e64 s2, s11, v0
	v_cmp_gt_i32_e32 vcc_lo, s19, v17
	s_waitcnt vmcnt(0)
	v_cndmask_b32_e64 v6, 0, v69, s2
	v_cndmask_b32_sdwa v5, v127, v69, vcc_lo dst_sel:DWORD dst_unused:UNUSED_PAD src0_sel:DWORD src1_sel:WORD_1
	v_cmp_gt_i32_e32 vcc_lo, s19, v16
	v_cmp_gt_i32_e64 s2, s11, v15
	v_perm_b32 v69, v5, v6, 0x5040100
	v_cndmask_b32_sdwa v6, v127, v70, vcc_lo dst_sel:DWORD dst_unused:UNUSED_PAD src0_sel:DWORD src1_sel:WORD_1
	v_cndmask_b32_e64 v5, 0, v70, s2
	v_cmp_gt_i32_e32 vcc_lo, s19, v14
	v_cmp_gt_i32_e64 s2, s11, v13
	v_perm_b32 v70, v6, v5, 0x5040100
	v_cndmask_b32_sdwa v6, v127, v71, vcc_lo dst_sel:DWORD dst_unused:UNUSED_PAD src0_sel:DWORD src1_sel:WORD_1
	v_cndmask_b32_e64 v5, 0, v71, s2
	;; [unrolled: 5-line block ×3, first 2 shown]
	v_perm_b32 v72, v6, v5, 0x5040100
	s_or_b32 exec_lo, exec_lo, s3
	global_load_dwordx4 v[73:76], v[3:4], off offset:512
	s_and_saveexec_b32 s3, s1
	s_cbranch_execz .LBB161_51
.LBB161_82:                             ;   in Loop: Header=BB161_26 Depth=1
	v_cmp_gt_i32_e64 s2, s11, v0
	v_cmp_gt_i32_e32 vcc_lo, s19, v17
	s_waitcnt vmcnt(0)
	v_cndmask_b32_e64 v6, 0, v73, s2
	v_cndmask_b32_sdwa v5, v127, v73, vcc_lo dst_sel:DWORD dst_unused:UNUSED_PAD src0_sel:DWORD src1_sel:WORD_1
	v_cmp_gt_i32_e32 vcc_lo, s19, v16
	v_cmp_gt_i32_e64 s2, s11, v15
	v_perm_b32 v73, v5, v6, 0x5040100
	v_cndmask_b32_sdwa v6, v127, v74, vcc_lo dst_sel:DWORD dst_unused:UNUSED_PAD src0_sel:DWORD src1_sel:WORD_1
	v_cndmask_b32_e64 v5, 0, v74, s2
	v_cmp_gt_i32_e32 vcc_lo, s19, v14
	v_cmp_gt_i32_e64 s2, s11, v13
	v_perm_b32 v74, v6, v5, 0x5040100
	v_cndmask_b32_sdwa v6, v127, v75, vcc_lo dst_sel:DWORD dst_unused:UNUSED_PAD src0_sel:DWORD src1_sel:WORD_1
	v_cndmask_b32_e64 v5, 0, v75, s2
	;; [unrolled: 5-line block ×3, first 2 shown]
	v_perm_b32 v76, v6, v5, 0x5040100
	s_or_b32 exec_lo, exec_lo, s3
	global_load_dwordx4 v[77:80], v[3:4], off offset:1024
	s_and_saveexec_b32 s3, s1
	s_cbranch_execz .LBB161_52
.LBB161_83:                             ;   in Loop: Header=BB161_26 Depth=1
	v_cmp_gt_i32_e64 s2, s11, v0
	v_cmp_gt_i32_e32 vcc_lo, s19, v17
	s_waitcnt vmcnt(0)
	v_cndmask_b32_e64 v6, 0, v77, s2
	v_cndmask_b32_sdwa v5, v127, v77, vcc_lo dst_sel:DWORD dst_unused:UNUSED_PAD src0_sel:DWORD src1_sel:WORD_1
	v_cmp_gt_i32_e32 vcc_lo, s19, v16
	v_cmp_gt_i32_e64 s2, s11, v15
	v_perm_b32 v77, v5, v6, 0x5040100
	v_cndmask_b32_sdwa v6, v127, v78, vcc_lo dst_sel:DWORD dst_unused:UNUSED_PAD src0_sel:DWORD src1_sel:WORD_1
	v_cndmask_b32_e64 v5, 0, v78, s2
	v_cmp_gt_i32_e32 vcc_lo, s19, v14
	v_cmp_gt_i32_e64 s2, s11, v13
	v_perm_b32 v78, v6, v5, 0x5040100
	v_cndmask_b32_sdwa v6, v127, v79, vcc_lo dst_sel:DWORD dst_unused:UNUSED_PAD src0_sel:DWORD src1_sel:WORD_1
	v_cndmask_b32_e64 v5, 0, v79, s2
	;; [unrolled: 5-line block ×3, first 2 shown]
	v_perm_b32 v80, v6, v5, 0x5040100
	s_or_b32 exec_lo, exec_lo, s3
	global_load_dwordx4 v[81:84], v[3:4], off offset:1536
	s_and_saveexec_b32 s3, s1
	s_cbranch_execnz .LBB161_53
	s_branch .LBB161_54
.LBB161_84:                             ;   in Loop: Header=BB161_26 Depth=1
	v_cmp_gt_i32_e64 s2, s11, v0
	v_cmp_gt_i32_e32 vcc_lo, s19, v17
	s_waitcnt vmcnt(0)
	v_cndmask_b32_e64 v6, 0, v85, s2
	v_cndmask_b32_sdwa v5, v127, v85, vcc_lo dst_sel:DWORD dst_unused:UNUSED_PAD src0_sel:DWORD src1_sel:WORD_1
	v_cmp_gt_i32_e32 vcc_lo, s19, v16
	v_cmp_gt_i32_e64 s2, s11, v15
	v_perm_b32 v85, v5, v6, 0x5040100
	v_cndmask_b32_sdwa v6, v127, v86, vcc_lo dst_sel:DWORD dst_unused:UNUSED_PAD src0_sel:DWORD src1_sel:WORD_1
	v_cndmask_b32_e64 v5, 0, v86, s2
	v_cmp_gt_i32_e32 vcc_lo, s19, v14
	v_cmp_gt_i32_e64 s2, s11, v13
	v_perm_b32 v86, v6, v5, 0x5040100
	v_cndmask_b32_sdwa v6, v127, v87, vcc_lo dst_sel:DWORD dst_unused:UNUSED_PAD src0_sel:DWORD src1_sel:WORD_1
	v_cndmask_b32_e64 v5, 0, v87, s2
	;; [unrolled: 5-line block ×3, first 2 shown]
	v_perm_b32 v88, v6, v5, 0x5040100
	s_or_b32 exec_lo, exec_lo, s3
	global_load_dwordx4 v[89:92], v[3:4], off offset:512
	s_and_saveexec_b32 s3, s1
	s_cbranch_execz .LBB161_56
.LBB161_85:                             ;   in Loop: Header=BB161_26 Depth=1
	v_cmp_gt_i32_e64 s2, s11, v0
	v_cmp_gt_i32_e32 vcc_lo, s19, v17
	s_waitcnt vmcnt(0)
	v_cndmask_b32_e64 v6, 0, v89, s2
	v_cndmask_b32_sdwa v5, v127, v89, vcc_lo dst_sel:DWORD dst_unused:UNUSED_PAD src0_sel:DWORD src1_sel:WORD_1
	v_cmp_gt_i32_e32 vcc_lo, s19, v16
	v_cmp_gt_i32_e64 s2, s11, v15
	v_perm_b32 v89, v5, v6, 0x5040100
	v_cndmask_b32_sdwa v6, v127, v90, vcc_lo dst_sel:DWORD dst_unused:UNUSED_PAD src0_sel:DWORD src1_sel:WORD_1
	v_cndmask_b32_e64 v5, 0, v90, s2
	v_cmp_gt_i32_e32 vcc_lo, s19, v14
	v_cmp_gt_i32_e64 s2, s11, v13
	v_perm_b32 v90, v6, v5, 0x5040100
	v_cndmask_b32_sdwa v6, v127, v91, vcc_lo dst_sel:DWORD dst_unused:UNUSED_PAD src0_sel:DWORD src1_sel:WORD_1
	v_cndmask_b32_e64 v5, 0, v91, s2
	;; [unrolled: 5-line block ×3, first 2 shown]
	v_perm_b32 v92, v6, v5, 0x5040100
	s_or_b32 exec_lo, exec_lo, s3
	global_load_dwordx4 v[93:96], v[3:4], off offset:1024
	s_and_saveexec_b32 s3, s1
	s_cbranch_execz .LBB161_57
.LBB161_86:                             ;   in Loop: Header=BB161_26 Depth=1
	v_cmp_gt_i32_e64 s2, s11, v0
	v_cmp_gt_i32_e32 vcc_lo, s19, v17
	s_waitcnt vmcnt(0)
	v_cndmask_b32_e64 v6, 0, v93, s2
	v_cndmask_b32_sdwa v5, v127, v93, vcc_lo dst_sel:DWORD dst_unused:UNUSED_PAD src0_sel:DWORD src1_sel:WORD_1
	v_cmp_gt_i32_e32 vcc_lo, s19, v16
	v_cmp_gt_i32_e64 s2, s11, v15
	v_perm_b32 v93, v5, v6, 0x5040100
	v_cndmask_b32_sdwa v6, v127, v94, vcc_lo dst_sel:DWORD dst_unused:UNUSED_PAD src0_sel:DWORD src1_sel:WORD_1
	v_cndmask_b32_e64 v5, 0, v94, s2
	v_cmp_gt_i32_e32 vcc_lo, s19, v14
	v_cmp_gt_i32_e64 s2, s11, v13
	v_perm_b32 v94, v6, v5, 0x5040100
	v_cndmask_b32_sdwa v6, v127, v95, vcc_lo dst_sel:DWORD dst_unused:UNUSED_PAD src0_sel:DWORD src1_sel:WORD_1
	v_cndmask_b32_e64 v5, 0, v95, s2
	;; [unrolled: 5-line block ×3, first 2 shown]
	v_perm_b32 v96, v6, v5, 0x5040100
	s_or_b32 exec_lo, exec_lo, s3
	global_load_dwordx4 v[97:100], v[3:4], off offset:1536
	s_and_saveexec_b32 s3, s1
	s_cbranch_execnz .LBB161_58
	s_branch .LBB161_59
.LBB161_87:                             ;   in Loop: Header=BB161_26 Depth=1
	v_cmp_gt_i32_e64 s2, s11, v0
	v_cmp_gt_i32_e32 vcc_lo, s19, v17
	s_waitcnt vmcnt(0)
	v_cndmask_b32_e64 v6, 0, v109, s2
	v_cndmask_b32_sdwa v5, v127, v109, vcc_lo dst_sel:DWORD dst_unused:UNUSED_PAD src0_sel:DWORD src1_sel:WORD_1
	v_cmp_gt_i32_e32 vcc_lo, s19, v16
	v_cmp_gt_i32_e64 s2, s11, v15
	v_perm_b32 v109, v5, v6, 0x5040100
	v_cndmask_b32_sdwa v6, v127, v110, vcc_lo dst_sel:DWORD dst_unused:UNUSED_PAD src0_sel:DWORD src1_sel:WORD_1
	v_cndmask_b32_e64 v5, 0, v110, s2
	v_cmp_gt_i32_e32 vcc_lo, s19, v14
	v_cmp_gt_i32_e64 s2, s11, v13
	v_perm_b32 v110, v6, v5, 0x5040100
	v_cndmask_b32_sdwa v6, v127, v111, vcc_lo dst_sel:DWORD dst_unused:UNUSED_PAD src0_sel:DWORD src1_sel:WORD_1
	v_cndmask_b32_e64 v5, 0, v111, s2
	;; [unrolled: 5-line block ×3, first 2 shown]
	v_perm_b32 v112, v6, v5, 0x5040100
	s_or_b32 exec_lo, exec_lo, s3
	global_load_dwordx4 v[113:116], v[3:4], off offset:512
	s_and_saveexec_b32 s3, s1
	s_cbranch_execz .LBB161_61
.LBB161_88:                             ;   in Loop: Header=BB161_26 Depth=1
	v_cmp_gt_i32_e64 s2, s11, v0
	v_cmp_gt_i32_e32 vcc_lo, s19, v17
	s_waitcnt vmcnt(0)
	v_cndmask_b32_e64 v6, 0, v113, s2
	v_cndmask_b32_sdwa v5, v127, v113, vcc_lo dst_sel:DWORD dst_unused:UNUSED_PAD src0_sel:DWORD src1_sel:WORD_1
	v_cmp_gt_i32_e32 vcc_lo, s19, v16
	v_cmp_gt_i32_e64 s2, s11, v15
	v_perm_b32 v113, v5, v6, 0x5040100
	v_cndmask_b32_sdwa v6, v127, v114, vcc_lo dst_sel:DWORD dst_unused:UNUSED_PAD src0_sel:DWORD src1_sel:WORD_1
	v_cndmask_b32_e64 v5, 0, v114, s2
	v_cmp_gt_i32_e32 vcc_lo, s19, v14
	v_cmp_gt_i32_e64 s2, s11, v13
	v_perm_b32 v114, v6, v5, 0x5040100
	v_cndmask_b32_sdwa v6, v127, v115, vcc_lo dst_sel:DWORD dst_unused:UNUSED_PAD src0_sel:DWORD src1_sel:WORD_1
	v_cndmask_b32_e64 v5, 0, v115, s2
	;; [unrolled: 5-line block ×3, first 2 shown]
	v_perm_b32 v116, v6, v5, 0x5040100
	s_or_b32 exec_lo, exec_lo, s3
	global_load_dwordx4 v[117:120], v[3:4], off offset:1024
	s_and_saveexec_b32 s3, s1
	s_cbranch_execz .LBB161_62
.LBB161_89:                             ;   in Loop: Header=BB161_26 Depth=1
	v_cmp_gt_i32_e64 s2, s11, v0
	v_cmp_gt_i32_e32 vcc_lo, s19, v17
	s_waitcnt vmcnt(0)
	v_cndmask_b32_e64 v6, 0, v117, s2
	v_cndmask_b32_sdwa v5, v127, v117, vcc_lo dst_sel:DWORD dst_unused:UNUSED_PAD src0_sel:DWORD src1_sel:WORD_1
	v_cmp_gt_i32_e32 vcc_lo, s19, v16
	v_cmp_gt_i32_e64 s2, s11, v15
	v_perm_b32 v117, v5, v6, 0x5040100
	v_cndmask_b32_sdwa v6, v127, v118, vcc_lo dst_sel:DWORD dst_unused:UNUSED_PAD src0_sel:DWORD src1_sel:WORD_1
	v_cndmask_b32_e64 v5, 0, v118, s2
	v_cmp_gt_i32_e32 vcc_lo, s19, v14
	v_cmp_gt_i32_e64 s2, s11, v13
	v_perm_b32 v118, v6, v5, 0x5040100
	v_cndmask_b32_sdwa v6, v127, v119, vcc_lo dst_sel:DWORD dst_unused:UNUSED_PAD src0_sel:DWORD src1_sel:WORD_1
	v_cndmask_b32_e64 v5, 0, v119, s2
	;; [unrolled: 5-line block ×3, first 2 shown]
	v_perm_b32 v120, v6, v5, 0x5040100
	s_or_b32 exec_lo, exec_lo, s3
	global_load_dwordx4 v[121:124], v[3:4], off offset:1536
	s_and_saveexec_b32 s3, s1
	s_cbranch_execnz .LBB161_63
	s_branch .LBB161_64
.LBB161_90:
	s_or_b32 exec_lo, exec_lo, s18
	s_clause 0x19
	buffer_load_dword v58, off, s[36:39], 0 offset:892
	buffer_load_dword v59, off, s[36:39], 0 offset:896
	;; [unrolled: 1-line block ×26, first 2 shown]
.LBB161_91:
	s_or_b32 exec_lo, exec_lo, s4
	s_waitcnt vmcnt(3)
	ds_bpermute_b32 v3, v39, v22
	ds_bpermute_b32 v4, v39, v21
	;; [unrolled: 1-line block ×3, first 2 shown]
	s_waitcnt vmcnt(0)
	ds_bpermute_b32 v1, v39, v25
	ds_bpermute_b32 v5, v39, v13
	ds_bpermute_b32 v9, v39, v20
	ds_bpermute_b32 v10, v39, v16
	ds_bpermute_b32 v2, v39, v24
	ds_bpermute_b32 v7, v39, v18
	ds_bpermute_b32 v0, v39, v23
	ds_bpermute_b32 v33, v39, v43
	ds_bpermute_b32 v11, v39, v15
	ds_bpermute_b32 v12, v39, v14
	v_mov_b32_e32 v49, v14
	ds_bpermute_b32 v6, v39, v19
	ds_bpermute_b32 v30, v39, v47
	;; [unrolled: 1-line block ×3, first 2 shown]
	s_mov_b32 s1, exec_lo
	s_waitcnt lgkmcnt(15)
	v_add_f32_e32 v3, v22, v3
	v_mov_b32_e32 v22, v16
	s_waitcnt lgkmcnt(14)
	v_add_f32_e32 v4, v21, v4
	s_waitcnt lgkmcnt(13)
	v_add_f32_e32 v8, v17, v8
	;; [unrolled: 2-line block ×3, first 2 shown]
	ds_bpermute_b32 v16, v57, v3
	s_waitcnt lgkmcnt(12)
	v_add_f32_e32 v5, v13, v5
	ds_bpermute_b32 v17, v57, v4
	s_waitcnt lgkmcnt(12)
	v_add_f32_e32 v9, v20, v9
	s_waitcnt lgkmcnt(11)
	v_add_f32_e32 v10, v22, v10
	ds_bpermute_b32 v22, v57, v8
	s_waitcnt lgkmcnt(11)
	v_add_f32_e32 v2, v24, v2
	s_waitcnt lgkmcnt(10)
	v_add_f32_e32 v7, v18, v7
	ds_bpermute_b32 v14, v57, v1
	ds_bpermute_b32 v18, v57, v5
	;; [unrolled: 1-line block ×3, first 2 shown]
	s_waitcnt lgkmcnt(12)
	v_add_f32_e32 v0, v23, v0
	v_mov_b32_e32 v21, v15
	ds_bpermute_b32 v20, v57, v7
	ds_bpermute_b32 v15, v57, v2
	;; [unrolled: 1-line block ×4, first 2 shown]
	s_waitcnt lgkmcnt(14)
	v_add_f32_e32 v11, v21, v11
	s_waitcnt lgkmcnt(12)
	v_add_f32_e32 v6, v19, v6
	;; [unrolled: 2-line block ×3, first 2 shown]
	ds_bpermute_b32 v3, v39, v34
	s_waitcnt lgkmcnt(9)
	v_add_f32_e32 v23, v4, v17
	ds_bpermute_b32 v28, v57, v11
	ds_bpermute_b32 v19, v57, v6
	s_waitcnt lgkmcnt(10)
	v_add_f32_e32 v17, v8, v22
	v_add_f32_e32 v8, v43, v33
	ds_bpermute_b32 v22, v39, v42
	s_waitcnt lgkmcnt(10)
	v_add_f32_e32 v29, v1, v14
	s_waitcnt lgkmcnt(9)
	v_add_f32_e32 v21, v5, v18
	s_waitcnt lgkmcnt(8)
	v_add_f32_e32 v14, v9, v24
	ds_bpermute_b32 v18, v57, v8
	ds_bpermute_b32 v24, v39, v44
	s_waitcnt lgkmcnt(9)
	v_add_f32_e32 v16, v7, v20
	ds_bpermute_b32 v1, v39, v35
	ds_bpermute_b32 v7, v39, v36
	s_waitcnt lgkmcnt(8)
	v_add_f32_e32 v31, v0, v13
	ds_bpermute_b32 v9, v39, v37
	ds_bpermute_b32 v13, v39, v38
	v_add_f32_e32 v27, v2, v15
	ds_bpermute_b32 v0, v39, v41
	s_waitcnt lgkmcnt(10)
	v_add_f32_e32 v3, v34, v3
	v_add_f32_e32 v2, v49, v12
	;; [unrolled: 1-line block ×3, first 2 shown]
	s_waitcnt lgkmcnt(9)
	v_add_f32_e32 v10, v11, v28
	v_add_f32_e32 v5, v47, v30
	ds_bpermute_b32 v34, v57, v3
	ds_bpermute_b32 v20, v39, v40
	;; [unrolled: 1-line block ×6, first 2 shown]
	s_waitcnt lgkmcnt(11)
	v_add_f32_e32 v44, v44, v24
	v_add_f32_e32 v24, v8, v18
	s_waitcnt lgkmcnt(10)
	v_add_f32_e32 v1, v35, v1
	ds_bpermute_b32 v35, v39, v108
	s_waitcnt lgkmcnt(10)
	v_add_f32_e32 v7, v36, v7
	ds_bpermute_b32 v36, v39, v107
	;; [unrolled: 3-line block ×4, first 2 shown]
	v_add_f32_e32 v19, v6, v19
	v_add_f32_e32 v6, v45, v32
	s_waitcnt lgkmcnt(10)
	v_add_f32_e32 v0, v41, v0
	ds_bpermute_b32 v33, v57, v1
	s_waitcnt lgkmcnt(10)
	v_add_f32_e32 v18, v3, v34
	buffer_load_dword v34, off, s[36:39], 0 offset:888 ; 4-byte Folded Reload
	s_waitcnt lgkmcnt(9)
	v_add_f32_e32 v40, v40, v20
	v_add_f32_e32 v42, v42, v22
	s_waitcnt lgkmcnt(8)
	v_add_f32_e32 v46, v46, v26
	s_waitcnt lgkmcnt(7)
	;; [unrolled: 2-line block ×3, first 2 shown]
	v_add_f32_e32 v50, v50, v30
	ds_bpermute_b32 v11, v57, v5
	ds_bpermute_b32 v15, v57, v6
	s_waitcnt lgkmcnt(6)
	v_add_f32_e32 v35, v108, v35
	ds_bpermute_b32 v32, v57, v0
	s_waitcnt lgkmcnt(6)
	v_add_f32_e32 v36, v107, v36
	;; [unrolled: 3-line block ×4, first 2 shown]
	ds_bpermute_b32 v43, v57, v38
	ds_bpermute_b32 v45, v57, v40
	;; [unrolled: 1-line block ×9, first 2 shown]
	v_add_f32_e32 v30, v2, v4
	ds_bpermute_b32 v2, v57, v37
	ds_bpermute_b32 v57, v57, v55
	s_waitcnt lgkmcnt(16)
	v_add_f32_e32 v20, v1, v33
	v_and_b32_e32 v33, 28, v59
	s_waitcnt lgkmcnt(15)
	v_add_f32_e32 v28, v5, v11
	s_waitcnt lgkmcnt(14)
	v_add_f32_e32 v26, v6, v15
	;; [unrolled: 2-line block ×5, first 2 shown]
	v_lshrrev_b32_e32 v32, 2, v59
	s_waitcnt lgkmcnt(10)
	v_add_f32_e32 v11, v38, v43
	s_waitcnt lgkmcnt(9)
	v_add_f32_e32 v9, v40, v45
	;; [unrolled: 2-line block ×9, first 2 shown]
	v_and_b32_e32 v35, 0x3c3, v58
	s_waitcnt lgkmcnt(1)
	v_add_f32_e32 v1, v37, v2
	s_waitcnt lgkmcnt(0)
	v_add_f32_e32 v2, v55, v57
	v_add_nc_u32_e32 v33, 0x220, v33
	s_waitcnt vmcnt(0)
	s_waitcnt_vscnt null, 0x0
	s_barrier
	buffer_gl0_inv
	v_lshlrev_b32_e32 v34, 10, v34
	v_cmpx_eq_u32_e32 64, v35
	s_cbranch_execz .LBB161_93
; %bb.92:
	v_add_nc_u32_e32 v35, v33, v34
	v_add_nc_u32_e32 v36, 0xfffff800, v35
	;; [unrolled: 1-line block ×8, first 2 shown]
	ds_write_b32 v36, v31
	ds_write_b32 v37, v29
	;; [unrolled: 1-line block ×7, first 2 shown]
	v_add_nc_u32_e32 v36, 0xfffff8e0, v35
	v_add_nc_u32_e32 v37, 0xfffff900, v35
	v_add_nc_u32_e32 v38, 0xfffff920, v35
	v_add_nc_u32_e32 v39, 0xfffff940, v35
	v_add_nc_u32_e32 v40, 0xfffff960, v35
	ds_write_b32 v36, v16
	ds_write_b32 v37, v17
	ds_write_b32 v38, v14
	ds_write_b32 v39, v12
	ds_write_b32 v40, v10
	v_add_nc_u32_e32 v36, 0xfffff980, v35
	v_add_nc_u32_e32 v37, 0xfffff9a0, v35
	v_add_nc_u32_e32 v38, 0xfffff9c0, v35
	v_add_nc_u32_e32 v39, 0xfffff9e0, v35
	v_add_nc_u32_e32 v40, 0xfffffa00, v35
	ds_write_b32 v36, v30
	ds_write_b32 v37, v28
	ds_write_b32 v38, v26
	ds_write_b32 v39, v24
	ds_write_b32 v40, v22
	;; [unrolled: 10-line block ×5, first 2 shown]
.LBB161_93:
	s_or_b32 exec_lo, exec_lo, s1
	v_lshlrev_b32_e32 v32, 2, v32
	s_mov_b32 s2, exec_lo
	v_cmp_eq_u32_e32 vcc_lo, 0, v60
	s_waitcnt lgkmcnt(0)
	s_barrier
	v_add3_u32 v32, 0x220, v34, v32
	buffer_gl0_inv
	v_cmpx_gt_u32_e32 64, v58
	s_cbranch_execz .LBB161_128
; %bb.94:
	s_and_saveexec_b32 s1, vcc_lo
	s_cbranch_execnz .LBB161_168
; %bb.95:
	s_or_b32 exec_lo, exec_lo, s1
	s_and_saveexec_b32 s1, vcc_lo
	s_cbranch_execnz .LBB161_169
.LBB161_96:
	s_or_b32 exec_lo, exec_lo, s1
	s_and_saveexec_b32 s1, vcc_lo
	s_cbranch_execnz .LBB161_170
.LBB161_97:
	s_or_b32 exec_lo, exec_lo, s1
	s_and_saveexec_b32 s1, vcc_lo
	s_cbranch_execnz .LBB161_171
.LBB161_98:
	s_or_b32 exec_lo, exec_lo, s1
	s_and_saveexec_b32 s1, vcc_lo
	s_cbranch_execnz .LBB161_172
.LBB161_99:
	s_or_b32 exec_lo, exec_lo, s1
	s_and_saveexec_b32 s1, vcc_lo
	s_cbranch_execnz .LBB161_173
.LBB161_100:
	s_or_b32 exec_lo, exec_lo, s1
	s_and_saveexec_b32 s1, vcc_lo
	s_cbranch_execnz .LBB161_174
.LBB161_101:
	s_or_b32 exec_lo, exec_lo, s1
	s_and_saveexec_b32 s1, vcc_lo
	s_cbranch_execnz .LBB161_175
.LBB161_102:
	s_or_b32 exec_lo, exec_lo, s1
	s_and_saveexec_b32 s1, vcc_lo
	s_cbranch_execnz .LBB161_176
.LBB161_103:
	s_or_b32 exec_lo, exec_lo, s1
	s_and_saveexec_b32 s1, vcc_lo
	s_cbranch_execnz .LBB161_177
.LBB161_104:
	s_or_b32 exec_lo, exec_lo, s1
	s_and_saveexec_b32 s1, vcc_lo
	s_cbranch_execnz .LBB161_178
.LBB161_105:
	s_or_b32 exec_lo, exec_lo, s1
	s_and_saveexec_b32 s1, vcc_lo
	s_cbranch_execnz .LBB161_179
.LBB161_106:
	s_or_b32 exec_lo, exec_lo, s1
	s_and_saveexec_b32 s1, vcc_lo
	s_cbranch_execnz .LBB161_180
.LBB161_107:
	s_or_b32 exec_lo, exec_lo, s1
	s_and_saveexec_b32 s1, vcc_lo
	s_cbranch_execnz .LBB161_181
.LBB161_108:
	s_or_b32 exec_lo, exec_lo, s1
	s_and_saveexec_b32 s1, vcc_lo
	s_cbranch_execnz .LBB161_182
.LBB161_109:
	s_or_b32 exec_lo, exec_lo, s1
	s_and_saveexec_b32 s1, vcc_lo
	s_cbranch_execnz .LBB161_183
.LBB161_110:
	s_or_b32 exec_lo, exec_lo, s1
	s_and_saveexec_b32 s1, vcc_lo
	s_cbranch_execnz .LBB161_184
.LBB161_111:
	s_or_b32 exec_lo, exec_lo, s1
	s_and_saveexec_b32 s1, vcc_lo
	s_cbranch_execnz .LBB161_185
.LBB161_112:
	s_or_b32 exec_lo, exec_lo, s1
	s_and_saveexec_b32 s1, vcc_lo
	s_cbranch_execnz .LBB161_186
.LBB161_113:
	s_or_b32 exec_lo, exec_lo, s1
	s_and_saveexec_b32 s1, vcc_lo
	s_cbranch_execnz .LBB161_187
.LBB161_114:
	s_or_b32 exec_lo, exec_lo, s1
	s_and_saveexec_b32 s1, vcc_lo
	s_cbranch_execnz .LBB161_188
.LBB161_115:
	s_or_b32 exec_lo, exec_lo, s1
	s_and_saveexec_b32 s1, vcc_lo
	s_cbranch_execnz .LBB161_189
.LBB161_116:
	s_or_b32 exec_lo, exec_lo, s1
	s_and_saveexec_b32 s1, vcc_lo
	s_cbranch_execnz .LBB161_190
.LBB161_117:
	s_or_b32 exec_lo, exec_lo, s1
	s_and_saveexec_b32 s1, vcc_lo
	s_cbranch_execnz .LBB161_191
.LBB161_118:
	s_or_b32 exec_lo, exec_lo, s1
	s_and_saveexec_b32 s1, vcc_lo
	s_cbranch_execnz .LBB161_192
.LBB161_119:
	s_or_b32 exec_lo, exec_lo, s1
	s_and_saveexec_b32 s1, vcc_lo
	s_cbranch_execnz .LBB161_193
.LBB161_120:
	s_or_b32 exec_lo, exec_lo, s1
	s_and_saveexec_b32 s1, vcc_lo
	s_cbranch_execnz .LBB161_194
.LBB161_121:
	s_or_b32 exec_lo, exec_lo, s1
	s_and_saveexec_b32 s1, vcc_lo
	s_cbranch_execnz .LBB161_195
.LBB161_122:
	s_or_b32 exec_lo, exec_lo, s1
	s_and_saveexec_b32 s1, vcc_lo
	s_cbranch_execnz .LBB161_196
.LBB161_123:
	s_or_b32 exec_lo, exec_lo, s1
	s_and_saveexec_b32 s1, vcc_lo
	s_cbranch_execnz .LBB161_197
.LBB161_124:
	s_or_b32 exec_lo, exec_lo, s1
	s_and_saveexec_b32 s1, vcc_lo
	s_cbranch_execnz .LBB161_198
.LBB161_125:
	s_or_b32 exec_lo, exec_lo, s1
	s_and_saveexec_b32 s1, vcc_lo
	s_cbranch_execz .LBB161_127
.LBB161_126:
	ds_read_b32 v34, v32 offset:992
	s_waitcnt lgkmcnt(0)
	v_add_f32_e32 v2, v2, v34
.LBB161_127:
	s_or_b32 exec_lo, exec_lo, s1
.LBB161_128:
	s_or_b32 exec_lo, exec_lo, s2
	v_and_b32_e32 v34, 0x3e3, v58
	s_mov_b32 s2, exec_lo
	s_barrier
	buffer_gl0_inv
	v_cmpx_eq_u32_e32 32, v34
	s_cbranch_execz .LBB161_130
; %bb.129:
	ds_write2_b32 v33, v31, v29 offset1:8
	ds_write2_b32 v33, v27, v25 offset0:16 offset1:24
	ds_write2_b32 v33, v23, v21 offset0:32 offset1:40
	;; [unrolled: 1-line block ×15, first 2 shown]
.LBB161_130:
	s_or_b32 exec_lo, exec_lo, s2
	s_waitcnt lgkmcnt(0)
	s_barrier
	buffer_gl0_inv
	s_and_saveexec_b32 s1, s0
	s_cbranch_execz .LBB161_165
; %bb.131:
	s_and_saveexec_b32 s0, vcc_lo
	s_cbranch_execnz .LBB161_199
; %bb.132:
	s_or_b32 exec_lo, exec_lo, s0
	s_and_saveexec_b32 s0, vcc_lo
	s_cbranch_execnz .LBB161_200
.LBB161_133:
	s_or_b32 exec_lo, exec_lo, s0
	s_and_saveexec_b32 s0, vcc_lo
	s_cbranch_execnz .LBB161_201
.LBB161_134:
	s_or_b32 exec_lo, exec_lo, s0
	s_and_saveexec_b32 s0, vcc_lo
	s_cbranch_execnz .LBB161_202
.LBB161_135:
	s_or_b32 exec_lo, exec_lo, s0
	s_and_saveexec_b32 s0, vcc_lo
	s_cbranch_execnz .LBB161_203
.LBB161_136:
	s_or_b32 exec_lo, exec_lo, s0
	s_and_saveexec_b32 s0, vcc_lo
	s_cbranch_execnz .LBB161_204
.LBB161_137:
	s_or_b32 exec_lo, exec_lo, s0
	s_and_saveexec_b32 s0, vcc_lo
	s_cbranch_execnz .LBB161_205
.LBB161_138:
	s_or_b32 exec_lo, exec_lo, s0
	s_and_saveexec_b32 s0, vcc_lo
	s_cbranch_execnz .LBB161_206
.LBB161_139:
	s_or_b32 exec_lo, exec_lo, s0
	s_and_saveexec_b32 s0, vcc_lo
	s_cbranch_execnz .LBB161_207
.LBB161_140:
	s_or_b32 exec_lo, exec_lo, s0
	s_and_saveexec_b32 s0, vcc_lo
	s_cbranch_execnz .LBB161_208
.LBB161_141:
	s_or_b32 exec_lo, exec_lo, s0
	s_and_saveexec_b32 s0, vcc_lo
	s_cbranch_execnz .LBB161_209
.LBB161_142:
	s_or_b32 exec_lo, exec_lo, s0
	s_and_saveexec_b32 s0, vcc_lo
	s_cbranch_execnz .LBB161_210
.LBB161_143:
	s_or_b32 exec_lo, exec_lo, s0
	s_and_saveexec_b32 s0, vcc_lo
	s_cbranch_execnz .LBB161_211
.LBB161_144:
	s_or_b32 exec_lo, exec_lo, s0
	s_and_saveexec_b32 s0, vcc_lo
	s_cbranch_execnz .LBB161_212
.LBB161_145:
	s_or_b32 exec_lo, exec_lo, s0
	s_and_saveexec_b32 s0, vcc_lo
	s_cbranch_execnz .LBB161_213
.LBB161_146:
	s_or_b32 exec_lo, exec_lo, s0
	s_and_saveexec_b32 s0, vcc_lo
	s_cbranch_execnz .LBB161_214
.LBB161_147:
	s_or_b32 exec_lo, exec_lo, s0
	s_and_saveexec_b32 s0, vcc_lo
	s_cbranch_execnz .LBB161_215
.LBB161_148:
	s_or_b32 exec_lo, exec_lo, s0
	s_and_saveexec_b32 s0, vcc_lo
	s_cbranch_execnz .LBB161_216
.LBB161_149:
	s_or_b32 exec_lo, exec_lo, s0
	s_and_saveexec_b32 s0, vcc_lo
	s_cbranch_execnz .LBB161_217
.LBB161_150:
	s_or_b32 exec_lo, exec_lo, s0
	s_and_saveexec_b32 s0, vcc_lo
	s_cbranch_execnz .LBB161_218
.LBB161_151:
	s_or_b32 exec_lo, exec_lo, s0
	s_and_saveexec_b32 s0, vcc_lo
	s_cbranch_execnz .LBB161_219
.LBB161_152:
	s_or_b32 exec_lo, exec_lo, s0
	s_and_saveexec_b32 s0, vcc_lo
	s_cbranch_execnz .LBB161_220
.LBB161_153:
	s_or_b32 exec_lo, exec_lo, s0
	s_and_saveexec_b32 s0, vcc_lo
	s_cbranch_execnz .LBB161_221
.LBB161_154:
	s_or_b32 exec_lo, exec_lo, s0
	s_and_saveexec_b32 s0, vcc_lo
	s_cbranch_execnz .LBB161_222
.LBB161_155:
	s_or_b32 exec_lo, exec_lo, s0
	s_and_saveexec_b32 s0, vcc_lo
	s_cbranch_execnz .LBB161_223
.LBB161_156:
	s_or_b32 exec_lo, exec_lo, s0
	s_and_saveexec_b32 s0, vcc_lo
	s_cbranch_execnz .LBB161_224
.LBB161_157:
	s_or_b32 exec_lo, exec_lo, s0
	s_and_saveexec_b32 s0, vcc_lo
	s_cbranch_execnz .LBB161_225
.LBB161_158:
	s_or_b32 exec_lo, exec_lo, s0
	s_and_saveexec_b32 s0, vcc_lo
	s_cbranch_execnz .LBB161_226
.LBB161_159:
	s_or_b32 exec_lo, exec_lo, s0
	s_and_saveexec_b32 s0, vcc_lo
	s_cbranch_execnz .LBB161_227
.LBB161_160:
	s_or_b32 exec_lo, exec_lo, s0
	s_and_saveexec_b32 s0, vcc_lo
	s_cbranch_execnz .LBB161_228
.LBB161_161:
	s_or_b32 exec_lo, exec_lo, s0
	s_and_saveexec_b32 s0, vcc_lo
	s_cbranch_execnz .LBB161_229
.LBB161_162:
	s_or_b32 exec_lo, exec_lo, s0
	s_and_saveexec_b32 s0, vcc_lo
	s_cbranch_execz .LBB161_164
.LBB161_163:
	ds_read_b32 v32, v32 offset:992
	s_waitcnt lgkmcnt(0)
	v_add_f32_e32 v2, v2, v32
.LBB161_164:
	s_or_b32 exec_lo, exec_lo, s0
.LBB161_165:
	s_or_b32 exec_lo, exec_lo, s1
	s_barrier
	buffer_gl0_inv
	s_mov_b32 s0, exec_lo
	v_cmpx_eq_u32_e32 0, v34
	s_cbranch_execz .LBB161_167
; %bb.166:
	s_mul_i32 s0, s10, s7
	s_mul_i32 s2, s7, s6
	;; [unrolled: 1-line block ×3, first 2 shown]
	v_bfe_u32 v33, v31, 16, 1
	s_lshl_b32 s0, s0, 8
	v_or_b32_e32 v34, 0x400000, v31
	s_ashr_i32 s1, s0, 31
	v_bfe_u32 v35, v29, 16, 1
	s_lshl_b64 s[0:1], s[0:1], 1
	v_add3_u32 v33, v33, v31, 0x7fff
	s_add_u32 s4, s16, s0
	s_addc_u32 s5, s17, s1
	s_ashr_i32 s3, s2, 31
	v_cmp_u_f32_e32 vcc_lo, v31, v31
	s_lshl_b64 s[0:1], s[2:3], 1
	v_lshrrev_b32_e32 v32, 1, v58
	s_add_u32 s2, s4, s0
	s_addc_u32 s3, s5, s1
	s_lshl_b32 s0, s8, 8
	v_cndmask_b32_e32 v31, v33, v34, vcc_lo
	s_ashr_i32 s1, s0, 31
	v_bfe_u32 v33, v27, 16, 1
	s_lshl_b64 s[0:1], s[0:1], 1
	v_add3_u32 v34, v35, v29, 0x7fff
	v_or_b32_e32 v35, 0x400000, v29
	v_cmp_u_f32_e32 vcc_lo, v29, v29
	s_add_u32 s0, s2, s0
	s_addc_u32 s1, s3, s1
	global_store_short_d16_hi v32, v31, s[0:1]
	v_add3_u32 v31, v33, v27, 0x7fff
	v_or_b32_e32 v33, 0x400000, v27
	v_cndmask_b32_e32 v29, v34, v35, vcc_lo
	v_bfe_u32 v34, v25, 16, 1
	v_cmp_u_f32_e32 vcc_lo, v27, v27
	global_store_short_d16_hi v32, v29, s[0:1] offset:16
	v_add3_u32 v29, v34, v25, 0x7fff
	v_cndmask_b32_e32 v27, v31, v33, vcc_lo
	v_bfe_u32 v31, v23, 16, 1
	v_or_b32_e32 v33, 0x400000, v25
	v_cmp_u_f32_e32 vcc_lo, v25, v25
	global_store_short_d16_hi v32, v27, s[0:1] offset:32
	v_add3_u32 v27, v31, v23, 0x7fff
	v_or_b32_e32 v31, 0x400000, v23
	v_cndmask_b32_e32 v25, v29, v33, vcc_lo
	v_bfe_u32 v29, v21, 16, 1
	v_cmp_u_f32_e32 vcc_lo, v23, v23
	global_store_short_d16_hi v32, v25, s[0:1] offset:48
	v_add3_u32 v25, v29, v21, 0x7fff
	v_cndmask_b32_e32 v23, v27, v31, vcc_lo
	v_bfe_u32 v27, v19, 16, 1
	v_or_b32_e32 v29, 0x400000, v21
	v_cmp_u_f32_e32 vcc_lo, v21, v21
	global_store_short_d16_hi v32, v23, s[0:1] offset:64
	v_add3_u32 v23, v27, v19, 0x7fff
	v_or_b32_e32 v27, 0x400000, v19
	v_cndmask_b32_e32 v21, v25, v29, vcc_lo
	v_bfe_u32 v25, v16, 16, 1
	v_cmp_u_f32_e32 vcc_lo, v19, v19
	global_store_short_d16_hi v32, v21, s[0:1] offset:80
	v_add3_u32 v21, v25, v16, 0x7fff
	v_cndmask_b32_e32 v19, v23, v27, vcc_lo
	v_bfe_u32 v23, v17, 16, 1
	v_or_b32_e32 v25, 0x400000, v16
	v_cmp_u_f32_e32 vcc_lo, v16, v16
	global_store_short_d16_hi v32, v19, s[0:1] offset:96
	v_add3_u32 v19, v23, v17, 0x7fff
	v_or_b32_e32 v23, 0x400000, v17
	v_cndmask_b32_e32 v16, v21, v25, vcc_lo
	v_bfe_u32 v21, v14, 16, 1
	v_cmp_u_f32_e32 vcc_lo, v17, v17
	global_store_short_d16_hi v32, v16, s[0:1] offset:112
	v_add3_u32 v16, v21, v14, 0x7fff
	v_cndmask_b32_e32 v17, v19, v23, vcc_lo
	v_bfe_u32 v19, v12, 16, 1
	v_or_b32_e32 v21, 0x400000, v14
	v_cmp_u_f32_e32 vcc_lo, v14, v14
	global_store_short_d16_hi v32, v17, s[0:1] offset:128
	v_add3_u32 v17, v19, v12, 0x7fff
	v_or_b32_e32 v19, 0x400000, v12
	v_cndmask_b32_e32 v14, v16, v21, vcc_lo
	v_bfe_u32 v16, v10, 16, 1
	v_cmp_u_f32_e32 vcc_lo, v12, v12
	global_store_short_d16_hi v32, v14, s[0:1] offset:144
	v_add3_u32 v14, v16, v10, 0x7fff
	v_cndmask_b32_e32 v12, v17, v19, vcc_lo
	v_bfe_u32 v17, v30, 16, 1
	v_or_b32_e32 v16, 0x400000, v10
	v_cmp_u_f32_e32 vcc_lo, v10, v10
	global_store_short_d16_hi v32, v12, s[0:1] offset:160
	v_add3_u32 v12, v17, v30, 0x7fff
	v_or_b32_e32 v17, 0x400000, v30
	v_cndmask_b32_e32 v10, v14, v16, vcc_lo
	v_bfe_u32 v14, v28, 16, 1
	v_cmp_u_f32_e32 vcc_lo, v30, v30
	v_bfe_u32 v16, v26, 16, 1
	global_store_short_d16_hi v32, v10, s[0:1] offset:176
	v_add3_u32 v10, v14, v28, 0x7fff
	v_cndmask_b32_e32 v12, v12, v17, vcc_lo
	v_or_b32_e32 v14, 0x400000, v28
	v_cmp_u_f32_e32 vcc_lo, v28, v28
	global_store_short_d16_hi v32, v12, s[0:1] offset:192
	v_add3_u32 v12, v16, v26, 0x7fff
	v_or_b32_e32 v16, 0x400000, v26
	v_cndmask_b32_e32 v10, v10, v14, vcc_lo
	v_bfe_u32 v14, v24, 16, 1
	v_cmp_u_f32_e32 vcc_lo, v26, v26
	global_store_short_d16_hi v32, v10, s[0:1] offset:208
	v_add3_u32 v10, v14, v24, 0x7fff
	v_cndmask_b32_e32 v12, v12, v16, vcc_lo
	v_bfe_u32 v16, v22, 16, 1
	v_or_b32_e32 v14, 0x400000, v24
	v_cmp_u_f32_e32 vcc_lo, v24, v24
	global_store_short_d16_hi v32, v12, s[0:1] offset:224
	v_add3_u32 v12, v16, v22, 0x7fff
	v_or_b32_e32 v16, 0x400000, v22
	v_cndmask_b32_e32 v10, v10, v14, vcc_lo
	v_bfe_u32 v14, v20, 16, 1
	v_cmp_u_f32_e32 vcc_lo, v22, v22
	global_store_short_d16_hi v32, v10, s[0:1] offset:240
	v_add3_u32 v10, v14, v20, 0x7fff
	v_cndmask_b32_e32 v12, v12, v16, vcc_lo
	v_bfe_u32 v16, v18, 16, 1
	;; [unrolled: 12-line block ×3, first 2 shown]
	v_or_b32_e32 v14, 0x400000, v15
	v_cmp_u_f32_e32 vcc_lo, v15, v15
	global_store_short_d16_hi v32, v12, s[0:1] offset:288
	v_add3_u32 v12, v16, v13, 0x7fff
	v_or_b32_e32 v16, 0x400000, v13
	v_cndmask_b32_e32 v10, v10, v14, vcc_lo
	v_bfe_u32 v14, v11, 16, 1
	v_cmp_u_f32_e32 vcc_lo, v13, v13
	v_bfe_u32 v13, v9, 16, 1
	global_store_short_d16_hi v32, v10, s[0:1] offset:304
	v_add3_u32 v10, v14, v11, 0x7fff
	v_cndmask_b32_e32 v12, v12, v16, vcc_lo
	v_or_b32_e32 v14, 0x400000, v11
	v_cmp_u_f32_e32 vcc_lo, v11, v11
	v_bfe_u32 v11, v8, 16, 1
	global_store_short_d16_hi v32, v12, s[0:1] offset:320
	v_add3_u32 v12, v13, v9, 0x7fff
	v_or_b32_e32 v13, 0x400000, v9
	v_cndmask_b32_e32 v10, v10, v14, vcc_lo
	v_cmp_u_f32_e32 vcc_lo, v9, v9
	global_store_short_d16_hi v32, v10, s[0:1] offset:336
	v_cndmask_b32_e32 v9, v12, v13, vcc_lo
	v_bfe_u32 v12, v7, 16, 1
	v_add3_u32 v10, v11, v8, 0x7fff
	v_or_b32_e32 v11, 0x400000, v8
	v_cmp_u_f32_e32 vcc_lo, v8, v8
	global_store_short_d16_hi v32, v9, s[0:1] offset:352
	v_add3_u32 v9, v12, v7, 0x7fff
	v_or_b32_e32 v12, 0x400000, v7
	v_cndmask_b32_e32 v8, v10, v11, vcc_lo
	v_bfe_u32 v10, v6, 16, 1
	v_cmp_u_f32_e32 vcc_lo, v7, v7
	global_store_short_d16_hi v32, v8, s[0:1] offset:368
	v_add3_u32 v8, v10, v6, 0x7fff
	v_cndmask_b32_e32 v7, v9, v12, vcc_lo
	v_bfe_u32 v9, v5, 16, 1
	v_or_b32_e32 v10, 0x400000, v6
	v_cmp_u_f32_e32 vcc_lo, v6, v6
	global_store_short_d16_hi v32, v7, s[0:1] offset:384
	v_add3_u32 v7, v9, v5, 0x7fff
	v_or_b32_e32 v9, 0x400000, v5
	v_cndmask_b32_e32 v6, v8, v10, vcc_lo
	v_bfe_u32 v8, v4, 16, 1
	v_cmp_u_f32_e32 vcc_lo, v5, v5
	v_or_b32_e32 v10, 0x400000, v2
	global_store_short_d16_hi v32, v6, s[0:1] offset:400
	v_add3_u32 v6, v8, v4, 0x7fff
	v_cndmask_b32_e32 v5, v7, v9, vcc_lo
	v_bfe_u32 v7, v3, 16, 1
	v_or_b32_e32 v8, 0x400000, v4
	v_cmp_u_f32_e32 vcc_lo, v4, v4
	v_or_b32_e32 v9, 0x400000, v1
	global_store_short_d16_hi v32, v5, s[0:1] offset:416
	v_add3_u32 v5, v7, v3, 0x7fff
	v_or_b32_e32 v7, 0x400000, v3
	v_cndmask_b32_e32 v4, v6, v8, vcc_lo
	v_bfe_u32 v6, v0, 16, 1
	v_cmp_u_f32_e32 vcc_lo, v3, v3
	v_bfe_u32 v8, v1, 16, 1
	v_add3_u32 v6, v6, v0, 0x7fff
	v_cndmask_b32_e32 v3, v5, v7, vcc_lo
	v_or_b32_e32 v7, 0x400000, v0
	v_cmp_u_f32_e32 vcc_lo, v0, v0
	v_bfe_u32 v5, v2, 16, 1
	v_add3_u32 v8, v8, v1, 0x7fff
	v_cndmask_b32_e32 v0, v6, v7, vcc_lo
	v_cmp_u_f32_e32 vcc_lo, v1, v1
	v_add3_u32 v5, v5, v2, 0x7fff
	v_cndmask_b32_e32 v1, v8, v9, vcc_lo
	v_cmp_u_f32_e32 vcc_lo, v2, v2
	v_cndmask_b32_e32 v2, v5, v10, vcc_lo
	global_store_short_d16_hi v32, v4, s[0:1] offset:432
	global_store_short_d16_hi v32, v3, s[0:1] offset:448
	;; [unrolled: 1-line block ×5, first 2 shown]
.LBB161_167:
	s_endpgm
.LBB161_168:
	ds_read_b32 v34, v32
	s_waitcnt lgkmcnt(0)
	v_add_f32_e32 v31, v31, v34
	s_or_b32 exec_lo, exec_lo, s1
	s_and_saveexec_b32 s1, vcc_lo
	s_cbranch_execz .LBB161_96
.LBB161_169:
	ds_read_b32 v34, v32 offset:32
	s_waitcnt lgkmcnt(0)
	v_add_f32_e32 v29, v29, v34
	s_or_b32 exec_lo, exec_lo, s1
	s_and_saveexec_b32 s1, vcc_lo
	s_cbranch_execz .LBB161_97
.LBB161_170:
	ds_read_b32 v34, v32 offset:64
	s_waitcnt lgkmcnt(0)
	v_add_f32_e32 v27, v27, v34
	s_or_b32 exec_lo, exec_lo, s1
	s_and_saveexec_b32 s1, vcc_lo
	s_cbranch_execz .LBB161_98
.LBB161_171:
	ds_read_b32 v34, v32 offset:96
	s_waitcnt lgkmcnt(0)
	v_add_f32_e32 v25, v25, v34
	s_or_b32 exec_lo, exec_lo, s1
	s_and_saveexec_b32 s1, vcc_lo
	s_cbranch_execz .LBB161_99
.LBB161_172:
	ds_read_b32 v34, v32 offset:128
	s_waitcnt lgkmcnt(0)
	v_add_f32_e32 v23, v23, v34
	s_or_b32 exec_lo, exec_lo, s1
	s_and_saveexec_b32 s1, vcc_lo
	s_cbranch_execz .LBB161_100
.LBB161_173:
	ds_read_b32 v34, v32 offset:160
	s_waitcnt lgkmcnt(0)
	v_add_f32_e32 v21, v21, v34
	s_or_b32 exec_lo, exec_lo, s1
	s_and_saveexec_b32 s1, vcc_lo
	s_cbranch_execz .LBB161_101
.LBB161_174:
	ds_read_b32 v34, v32 offset:192
	s_waitcnt lgkmcnt(0)
	v_add_f32_e32 v19, v19, v34
	s_or_b32 exec_lo, exec_lo, s1
	s_and_saveexec_b32 s1, vcc_lo
	s_cbranch_execz .LBB161_102
.LBB161_175:
	ds_read_b32 v34, v32 offset:224
	s_waitcnt lgkmcnt(0)
	v_add_f32_e32 v16, v16, v34
	s_or_b32 exec_lo, exec_lo, s1
	s_and_saveexec_b32 s1, vcc_lo
	s_cbranch_execz .LBB161_103
.LBB161_176:
	ds_read_b32 v34, v32 offset:256
	s_waitcnt lgkmcnt(0)
	v_add_f32_e32 v17, v17, v34
	s_or_b32 exec_lo, exec_lo, s1
	s_and_saveexec_b32 s1, vcc_lo
	s_cbranch_execz .LBB161_104
.LBB161_177:
	ds_read_b32 v34, v32 offset:288
	s_waitcnt lgkmcnt(0)
	v_add_f32_e32 v14, v14, v34
	s_or_b32 exec_lo, exec_lo, s1
	s_and_saveexec_b32 s1, vcc_lo
	s_cbranch_execz .LBB161_105
.LBB161_178:
	ds_read_b32 v34, v32 offset:320
	s_waitcnt lgkmcnt(0)
	v_add_f32_e32 v12, v12, v34
	s_or_b32 exec_lo, exec_lo, s1
	s_and_saveexec_b32 s1, vcc_lo
	s_cbranch_execz .LBB161_106
.LBB161_179:
	ds_read_b32 v34, v32 offset:352
	s_waitcnt lgkmcnt(0)
	v_add_f32_e32 v10, v10, v34
	s_or_b32 exec_lo, exec_lo, s1
	s_and_saveexec_b32 s1, vcc_lo
	s_cbranch_execz .LBB161_107
.LBB161_180:
	ds_read_b32 v34, v32 offset:384
	s_waitcnt lgkmcnt(0)
	v_add_f32_e32 v30, v30, v34
	s_or_b32 exec_lo, exec_lo, s1
	s_and_saveexec_b32 s1, vcc_lo
	s_cbranch_execz .LBB161_108
.LBB161_181:
	ds_read_b32 v34, v32 offset:416
	s_waitcnt lgkmcnt(0)
	v_add_f32_e32 v28, v28, v34
	s_or_b32 exec_lo, exec_lo, s1
	s_and_saveexec_b32 s1, vcc_lo
	s_cbranch_execz .LBB161_109
.LBB161_182:
	ds_read_b32 v34, v32 offset:448
	s_waitcnt lgkmcnt(0)
	v_add_f32_e32 v26, v26, v34
	s_or_b32 exec_lo, exec_lo, s1
	s_and_saveexec_b32 s1, vcc_lo
	s_cbranch_execz .LBB161_110
.LBB161_183:
	ds_read_b32 v34, v32 offset:480
	s_waitcnt lgkmcnt(0)
	v_add_f32_e32 v24, v24, v34
	s_or_b32 exec_lo, exec_lo, s1
	s_and_saveexec_b32 s1, vcc_lo
	s_cbranch_execz .LBB161_111
.LBB161_184:
	ds_read_b32 v34, v32 offset:512
	s_waitcnt lgkmcnt(0)
	v_add_f32_e32 v22, v22, v34
	s_or_b32 exec_lo, exec_lo, s1
	s_and_saveexec_b32 s1, vcc_lo
	s_cbranch_execz .LBB161_112
.LBB161_185:
	ds_read_b32 v34, v32 offset:544
	s_waitcnt lgkmcnt(0)
	v_add_f32_e32 v20, v20, v34
	s_or_b32 exec_lo, exec_lo, s1
	s_and_saveexec_b32 s1, vcc_lo
	s_cbranch_execz .LBB161_113
.LBB161_186:
	ds_read_b32 v34, v32 offset:576
	s_waitcnt lgkmcnt(0)
	v_add_f32_e32 v18, v18, v34
	s_or_b32 exec_lo, exec_lo, s1
	s_and_saveexec_b32 s1, vcc_lo
	s_cbranch_execz .LBB161_114
.LBB161_187:
	ds_read_b32 v34, v32 offset:608
	s_waitcnt lgkmcnt(0)
	v_add_f32_e32 v15, v15, v34
	s_or_b32 exec_lo, exec_lo, s1
	s_and_saveexec_b32 s1, vcc_lo
	s_cbranch_execz .LBB161_115
.LBB161_188:
	ds_read_b32 v34, v32 offset:640
	s_waitcnt lgkmcnt(0)
	v_add_f32_e32 v13, v13, v34
	s_or_b32 exec_lo, exec_lo, s1
	s_and_saveexec_b32 s1, vcc_lo
	s_cbranch_execz .LBB161_116
.LBB161_189:
	ds_read_b32 v34, v32 offset:672
	s_waitcnt lgkmcnt(0)
	v_add_f32_e32 v11, v11, v34
	s_or_b32 exec_lo, exec_lo, s1
	s_and_saveexec_b32 s1, vcc_lo
	s_cbranch_execz .LBB161_117
.LBB161_190:
	ds_read_b32 v34, v32 offset:704
	s_waitcnt lgkmcnt(0)
	v_add_f32_e32 v9, v9, v34
	s_or_b32 exec_lo, exec_lo, s1
	s_and_saveexec_b32 s1, vcc_lo
	s_cbranch_execz .LBB161_118
.LBB161_191:
	ds_read_b32 v34, v32 offset:736
	s_waitcnt lgkmcnt(0)
	v_add_f32_e32 v8, v8, v34
	s_or_b32 exec_lo, exec_lo, s1
	s_and_saveexec_b32 s1, vcc_lo
	s_cbranch_execz .LBB161_119
.LBB161_192:
	ds_read_b32 v34, v32 offset:768
	s_waitcnt lgkmcnt(0)
	v_add_f32_e32 v7, v7, v34
	s_or_b32 exec_lo, exec_lo, s1
	s_and_saveexec_b32 s1, vcc_lo
	s_cbranch_execz .LBB161_120
.LBB161_193:
	ds_read_b32 v34, v32 offset:800
	s_waitcnt lgkmcnt(0)
	v_add_f32_e32 v6, v6, v34
	s_or_b32 exec_lo, exec_lo, s1
	s_and_saveexec_b32 s1, vcc_lo
	s_cbranch_execz .LBB161_121
.LBB161_194:
	ds_read_b32 v34, v32 offset:832
	s_waitcnt lgkmcnt(0)
	v_add_f32_e32 v5, v5, v34
	s_or_b32 exec_lo, exec_lo, s1
	s_and_saveexec_b32 s1, vcc_lo
	s_cbranch_execz .LBB161_122
.LBB161_195:
	ds_read_b32 v34, v32 offset:864
	s_waitcnt lgkmcnt(0)
	v_add_f32_e32 v4, v4, v34
	s_or_b32 exec_lo, exec_lo, s1
	s_and_saveexec_b32 s1, vcc_lo
	s_cbranch_execz .LBB161_123
.LBB161_196:
	ds_read_b32 v34, v32 offset:896
	s_waitcnt lgkmcnt(0)
	v_add_f32_e32 v3, v3, v34
	s_or_b32 exec_lo, exec_lo, s1
	s_and_saveexec_b32 s1, vcc_lo
	s_cbranch_execz .LBB161_124
.LBB161_197:
	ds_read_b32 v34, v32 offset:928
	s_waitcnt lgkmcnt(0)
	v_add_f32_e32 v0, v0, v34
	s_or_b32 exec_lo, exec_lo, s1
	s_and_saveexec_b32 s1, vcc_lo
	s_cbranch_execz .LBB161_125
.LBB161_198:
	ds_read_b32 v34, v32 offset:960
	s_waitcnt lgkmcnt(0)
	v_add_f32_e32 v1, v1, v34
	s_or_b32 exec_lo, exec_lo, s1
	s_and_saveexec_b32 s1, vcc_lo
	s_cbranch_execnz .LBB161_126
	s_branch .LBB161_127
.LBB161_199:
	ds_read_b32 v33, v32
	s_waitcnt lgkmcnt(0)
	v_add_f32_e32 v31, v31, v33
	s_or_b32 exec_lo, exec_lo, s0
	s_and_saveexec_b32 s0, vcc_lo
	s_cbranch_execz .LBB161_133
.LBB161_200:
	ds_read_b32 v33, v32 offset:32
	s_waitcnt lgkmcnt(0)
	v_add_f32_e32 v29, v29, v33
	s_or_b32 exec_lo, exec_lo, s0
	s_and_saveexec_b32 s0, vcc_lo
	s_cbranch_execz .LBB161_134
.LBB161_201:
	ds_read_b32 v33, v32 offset:64
	s_waitcnt lgkmcnt(0)
	v_add_f32_e32 v27, v27, v33
	s_or_b32 exec_lo, exec_lo, s0
	s_and_saveexec_b32 s0, vcc_lo
	s_cbranch_execz .LBB161_135
.LBB161_202:
	ds_read_b32 v33, v32 offset:96
	s_waitcnt lgkmcnt(0)
	v_add_f32_e32 v25, v25, v33
	s_or_b32 exec_lo, exec_lo, s0
	s_and_saveexec_b32 s0, vcc_lo
	s_cbranch_execz .LBB161_136
.LBB161_203:
	ds_read_b32 v33, v32 offset:128
	s_waitcnt lgkmcnt(0)
	v_add_f32_e32 v23, v23, v33
	s_or_b32 exec_lo, exec_lo, s0
	s_and_saveexec_b32 s0, vcc_lo
	s_cbranch_execz .LBB161_137
.LBB161_204:
	ds_read_b32 v33, v32 offset:160
	s_waitcnt lgkmcnt(0)
	v_add_f32_e32 v21, v21, v33
	s_or_b32 exec_lo, exec_lo, s0
	s_and_saveexec_b32 s0, vcc_lo
	s_cbranch_execz .LBB161_138
.LBB161_205:
	ds_read_b32 v33, v32 offset:192
	s_waitcnt lgkmcnt(0)
	v_add_f32_e32 v19, v19, v33
	s_or_b32 exec_lo, exec_lo, s0
	s_and_saveexec_b32 s0, vcc_lo
	s_cbranch_execz .LBB161_139
.LBB161_206:
	ds_read_b32 v33, v32 offset:224
	s_waitcnt lgkmcnt(0)
	v_add_f32_e32 v16, v16, v33
	s_or_b32 exec_lo, exec_lo, s0
	s_and_saveexec_b32 s0, vcc_lo
	s_cbranch_execz .LBB161_140
.LBB161_207:
	ds_read_b32 v33, v32 offset:256
	s_waitcnt lgkmcnt(0)
	v_add_f32_e32 v17, v17, v33
	s_or_b32 exec_lo, exec_lo, s0
	s_and_saveexec_b32 s0, vcc_lo
	s_cbranch_execz .LBB161_141
.LBB161_208:
	ds_read_b32 v33, v32 offset:288
	s_waitcnt lgkmcnt(0)
	v_add_f32_e32 v14, v14, v33
	s_or_b32 exec_lo, exec_lo, s0
	s_and_saveexec_b32 s0, vcc_lo
	s_cbranch_execz .LBB161_142
.LBB161_209:
	ds_read_b32 v33, v32 offset:320
	s_waitcnt lgkmcnt(0)
	v_add_f32_e32 v12, v12, v33
	s_or_b32 exec_lo, exec_lo, s0
	s_and_saveexec_b32 s0, vcc_lo
	s_cbranch_execz .LBB161_143
.LBB161_210:
	ds_read_b32 v33, v32 offset:352
	s_waitcnt lgkmcnt(0)
	v_add_f32_e32 v10, v10, v33
	s_or_b32 exec_lo, exec_lo, s0
	s_and_saveexec_b32 s0, vcc_lo
	s_cbranch_execz .LBB161_144
.LBB161_211:
	ds_read_b32 v33, v32 offset:384
	s_waitcnt lgkmcnt(0)
	v_add_f32_e32 v30, v30, v33
	s_or_b32 exec_lo, exec_lo, s0
	s_and_saveexec_b32 s0, vcc_lo
	s_cbranch_execz .LBB161_145
.LBB161_212:
	ds_read_b32 v33, v32 offset:416
	s_waitcnt lgkmcnt(0)
	v_add_f32_e32 v28, v28, v33
	s_or_b32 exec_lo, exec_lo, s0
	s_and_saveexec_b32 s0, vcc_lo
	s_cbranch_execz .LBB161_146
.LBB161_213:
	ds_read_b32 v33, v32 offset:448
	s_waitcnt lgkmcnt(0)
	v_add_f32_e32 v26, v26, v33
	s_or_b32 exec_lo, exec_lo, s0
	s_and_saveexec_b32 s0, vcc_lo
	s_cbranch_execz .LBB161_147
.LBB161_214:
	ds_read_b32 v33, v32 offset:480
	s_waitcnt lgkmcnt(0)
	v_add_f32_e32 v24, v24, v33
	s_or_b32 exec_lo, exec_lo, s0
	s_and_saveexec_b32 s0, vcc_lo
	s_cbranch_execz .LBB161_148
.LBB161_215:
	ds_read_b32 v33, v32 offset:512
	s_waitcnt lgkmcnt(0)
	v_add_f32_e32 v22, v22, v33
	s_or_b32 exec_lo, exec_lo, s0
	s_and_saveexec_b32 s0, vcc_lo
	s_cbranch_execz .LBB161_149
.LBB161_216:
	ds_read_b32 v33, v32 offset:544
	s_waitcnt lgkmcnt(0)
	v_add_f32_e32 v20, v20, v33
	s_or_b32 exec_lo, exec_lo, s0
	s_and_saveexec_b32 s0, vcc_lo
	s_cbranch_execz .LBB161_150
.LBB161_217:
	ds_read_b32 v33, v32 offset:576
	s_waitcnt lgkmcnt(0)
	v_add_f32_e32 v18, v18, v33
	s_or_b32 exec_lo, exec_lo, s0
	s_and_saveexec_b32 s0, vcc_lo
	s_cbranch_execz .LBB161_151
.LBB161_218:
	ds_read_b32 v33, v32 offset:608
	s_waitcnt lgkmcnt(0)
	v_add_f32_e32 v15, v15, v33
	s_or_b32 exec_lo, exec_lo, s0
	s_and_saveexec_b32 s0, vcc_lo
	s_cbranch_execz .LBB161_152
.LBB161_219:
	ds_read_b32 v33, v32 offset:640
	s_waitcnt lgkmcnt(0)
	v_add_f32_e32 v13, v13, v33
	s_or_b32 exec_lo, exec_lo, s0
	s_and_saveexec_b32 s0, vcc_lo
	s_cbranch_execz .LBB161_153
.LBB161_220:
	ds_read_b32 v33, v32 offset:672
	s_waitcnt lgkmcnt(0)
	v_add_f32_e32 v11, v11, v33
	s_or_b32 exec_lo, exec_lo, s0
	s_and_saveexec_b32 s0, vcc_lo
	s_cbranch_execz .LBB161_154
.LBB161_221:
	ds_read_b32 v33, v32 offset:704
	s_waitcnt lgkmcnt(0)
	v_add_f32_e32 v9, v9, v33
	s_or_b32 exec_lo, exec_lo, s0
	s_and_saveexec_b32 s0, vcc_lo
	s_cbranch_execz .LBB161_155
.LBB161_222:
	ds_read_b32 v33, v32 offset:736
	s_waitcnt lgkmcnt(0)
	v_add_f32_e32 v8, v8, v33
	s_or_b32 exec_lo, exec_lo, s0
	s_and_saveexec_b32 s0, vcc_lo
	s_cbranch_execz .LBB161_156
.LBB161_223:
	ds_read_b32 v33, v32 offset:768
	s_waitcnt lgkmcnt(0)
	v_add_f32_e32 v7, v7, v33
	s_or_b32 exec_lo, exec_lo, s0
	s_and_saveexec_b32 s0, vcc_lo
	s_cbranch_execz .LBB161_157
.LBB161_224:
	ds_read_b32 v33, v32 offset:800
	s_waitcnt lgkmcnt(0)
	v_add_f32_e32 v6, v6, v33
	s_or_b32 exec_lo, exec_lo, s0
	s_and_saveexec_b32 s0, vcc_lo
	s_cbranch_execz .LBB161_158
.LBB161_225:
	ds_read_b32 v33, v32 offset:832
	s_waitcnt lgkmcnt(0)
	v_add_f32_e32 v5, v5, v33
	s_or_b32 exec_lo, exec_lo, s0
	s_and_saveexec_b32 s0, vcc_lo
	s_cbranch_execz .LBB161_159
.LBB161_226:
	ds_read_b32 v33, v32 offset:864
	s_waitcnt lgkmcnt(0)
	v_add_f32_e32 v4, v4, v33
	s_or_b32 exec_lo, exec_lo, s0
	s_and_saveexec_b32 s0, vcc_lo
	s_cbranch_execz .LBB161_160
.LBB161_227:
	ds_read_b32 v33, v32 offset:896
	s_waitcnt lgkmcnt(0)
	v_add_f32_e32 v3, v3, v33
	s_or_b32 exec_lo, exec_lo, s0
	s_and_saveexec_b32 s0, vcc_lo
	s_cbranch_execz .LBB161_161
.LBB161_228:
	ds_read_b32 v33, v32 offset:928
	s_waitcnt lgkmcnt(0)
	v_add_f32_e32 v0, v0, v33
	s_or_b32 exec_lo, exec_lo, s0
	s_and_saveexec_b32 s0, vcc_lo
	s_cbranch_execz .LBB161_162
.LBB161_229:
	ds_read_b32 v33, v32 offset:960
	s_waitcnt lgkmcnt(0)
	v_add_f32_e32 v1, v1, v33
	s_or_b32 exec_lo, exec_lo, s0
	s_and_saveexec_b32 s0, vcc_lo
	s_cbranch_execnz .LBB161_163
	s_branch .LBB161_164
	.section	.rodata,"a",@progbits
	.p2align	6, 0x0
	.amdhsa_kernel _ZN4vllm25paged_attention_v1_kernelI14__hip_bfloat16S1_Li256ELi32ELi128ELNS_18Fp8KVCacheDataTypeE0ELb0EEEvPT_PKS3_PKT0_S9_ifPKiSB_iPKfiiiSD_SD_iiiii
		.amdhsa_group_segment_fixed_size 544
		.amdhsa_private_segment_fixed_size 912
		.amdhsa_kernarg_size 384
		.amdhsa_user_sgpr_count 6
		.amdhsa_user_sgpr_private_segment_buffer 1
		.amdhsa_user_sgpr_dispatch_ptr 0
		.amdhsa_user_sgpr_queue_ptr 0
		.amdhsa_user_sgpr_kernarg_segment_ptr 1
		.amdhsa_user_sgpr_dispatch_id 0
		.amdhsa_user_sgpr_flat_scratch_init 0
		.amdhsa_user_sgpr_private_segment_size 0
		.amdhsa_wavefront_size32 1
		.amdhsa_uses_dynamic_stack 0
		.amdhsa_system_sgpr_private_segment_wavefront_offset 1
		.amdhsa_system_sgpr_workgroup_id_x 1
		.amdhsa_system_sgpr_workgroup_id_y 1
		.amdhsa_system_sgpr_workgroup_id_z 1
		.amdhsa_system_sgpr_workgroup_info 0
		.amdhsa_system_vgpr_workitem_id 0
		.amdhsa_next_free_vgpr 128
		.amdhsa_next_free_sgpr 40
		.amdhsa_reserve_vcc 1
		.amdhsa_reserve_flat_scratch 0
		.amdhsa_float_round_mode_32 0
		.amdhsa_float_round_mode_16_64 0
		.amdhsa_float_denorm_mode_32 3
		.amdhsa_float_denorm_mode_16_64 3
		.amdhsa_dx10_clamp 1
		.amdhsa_ieee_mode 1
		.amdhsa_fp16_overflow 0
		.amdhsa_workgroup_processor_mode 1
		.amdhsa_memory_ordered 1
		.amdhsa_forward_progress 1
		.amdhsa_shared_vgpr_count 0
		.amdhsa_exception_fp_ieee_invalid_op 0
		.amdhsa_exception_fp_denorm_src 0
		.amdhsa_exception_fp_ieee_div_zero 0
		.amdhsa_exception_fp_ieee_overflow 0
		.amdhsa_exception_fp_ieee_underflow 0
		.amdhsa_exception_fp_ieee_inexact 0
		.amdhsa_exception_int_div_zero 0
	.end_amdhsa_kernel
	.section	.text._ZN4vllm25paged_attention_v1_kernelI14__hip_bfloat16S1_Li256ELi32ELi128ELNS_18Fp8KVCacheDataTypeE0ELb0EEEvPT_PKS3_PKT0_S9_ifPKiSB_iPKfiiiSD_SD_iiiii,"axG",@progbits,_ZN4vllm25paged_attention_v1_kernelI14__hip_bfloat16S1_Li256ELi32ELi128ELNS_18Fp8KVCacheDataTypeE0ELb0EEEvPT_PKS3_PKT0_S9_ifPKiSB_iPKfiiiSD_SD_iiiii,comdat
.Lfunc_end161:
	.size	_ZN4vllm25paged_attention_v1_kernelI14__hip_bfloat16S1_Li256ELi32ELi128ELNS_18Fp8KVCacheDataTypeE0ELb0EEEvPT_PKS3_PKT0_S9_ifPKiSB_iPKfiiiSD_SD_iiiii, .Lfunc_end161-_ZN4vllm25paged_attention_v1_kernelI14__hip_bfloat16S1_Li256ELi32ELi128ELNS_18Fp8KVCacheDataTypeE0ELb0EEEvPT_PKS3_PKT0_S9_ifPKiSB_iPKfiiiSD_SD_iiiii
                                        ; -- End function
	.set _ZN4vllm25paged_attention_v1_kernelI14__hip_bfloat16S1_Li256ELi32ELi128ELNS_18Fp8KVCacheDataTypeE0ELb0EEEvPT_PKS3_PKT0_S9_ifPKiSB_iPKfiiiSD_SD_iiiii.num_vgpr, 128
	.set _ZN4vllm25paged_attention_v1_kernelI14__hip_bfloat16S1_Li256ELi32ELi128ELNS_18Fp8KVCacheDataTypeE0ELb0EEEvPT_PKS3_PKT0_S9_ifPKiSB_iPKfiiiSD_SD_iiiii.num_agpr, 0
	.set _ZN4vllm25paged_attention_v1_kernelI14__hip_bfloat16S1_Li256ELi32ELi128ELNS_18Fp8KVCacheDataTypeE0ELb0EEEvPT_PKS3_PKT0_S9_ifPKiSB_iPKfiiiSD_SD_iiiii.numbered_sgpr, 40
	.set _ZN4vllm25paged_attention_v1_kernelI14__hip_bfloat16S1_Li256ELi32ELi128ELNS_18Fp8KVCacheDataTypeE0ELb0EEEvPT_PKS3_PKT0_S9_ifPKiSB_iPKfiiiSD_SD_iiiii.num_named_barrier, 0
	.set _ZN4vllm25paged_attention_v1_kernelI14__hip_bfloat16S1_Li256ELi32ELi128ELNS_18Fp8KVCacheDataTypeE0ELb0EEEvPT_PKS3_PKT0_S9_ifPKiSB_iPKfiiiSD_SD_iiiii.private_seg_size, 912
	.set _ZN4vllm25paged_attention_v1_kernelI14__hip_bfloat16S1_Li256ELi32ELi128ELNS_18Fp8KVCacheDataTypeE0ELb0EEEvPT_PKS3_PKT0_S9_ifPKiSB_iPKfiiiSD_SD_iiiii.uses_vcc, 1
	.set _ZN4vllm25paged_attention_v1_kernelI14__hip_bfloat16S1_Li256ELi32ELi128ELNS_18Fp8KVCacheDataTypeE0ELb0EEEvPT_PKS3_PKT0_S9_ifPKiSB_iPKfiiiSD_SD_iiiii.uses_flat_scratch, 0
	.set _ZN4vllm25paged_attention_v1_kernelI14__hip_bfloat16S1_Li256ELi32ELi128ELNS_18Fp8KVCacheDataTypeE0ELb0EEEvPT_PKS3_PKT0_S9_ifPKiSB_iPKfiiiSD_SD_iiiii.has_dyn_sized_stack, 0
	.set _ZN4vllm25paged_attention_v1_kernelI14__hip_bfloat16S1_Li256ELi32ELi128ELNS_18Fp8KVCacheDataTypeE0ELb0EEEvPT_PKS3_PKT0_S9_ifPKiSB_iPKfiiiSD_SD_iiiii.has_recursion, 0
	.set _ZN4vllm25paged_attention_v1_kernelI14__hip_bfloat16S1_Li256ELi32ELi128ELNS_18Fp8KVCacheDataTypeE0ELb0EEEvPT_PKS3_PKT0_S9_ifPKiSB_iPKfiiiSD_SD_iiiii.has_indirect_call, 0
	.section	.AMDGPU.csdata,"",@progbits
; Kernel info:
; codeLenInByte = 41440
; TotalNumSgprs: 42
; NumVgprs: 128
; ScratchSize: 912
; MemoryBound: 0
; FloatMode: 240
; IeeeMode: 1
; LDSByteSize: 544 bytes/workgroup (compile time only)
; SGPRBlocks: 0
; VGPRBlocks: 15
; NumSGPRsForWavesPerEU: 42
; NumVGPRsForWavesPerEU: 128
; Occupancy: 8
; WaveLimiterHint : 1
; COMPUTE_PGM_RSRC2:SCRATCH_EN: 1
; COMPUTE_PGM_RSRC2:USER_SGPR: 6
; COMPUTE_PGM_RSRC2:TRAP_HANDLER: 0
; COMPUTE_PGM_RSRC2:TGID_X_EN: 1
; COMPUTE_PGM_RSRC2:TGID_Y_EN: 1
; COMPUTE_PGM_RSRC2:TGID_Z_EN: 1
; COMPUTE_PGM_RSRC2:TIDIG_COMP_CNT: 0
	.section	.text._ZN4vllm25paged_attention_v1_kernelIfhLi32ELi8ELi128ELNS_18Fp8KVCacheDataTypeE1ELb1EEEvPT_PKS2_PKT0_S8_ifPKiSA_iPKfiiiSC_SC_iiiii,"axG",@progbits,_ZN4vllm25paged_attention_v1_kernelIfhLi32ELi8ELi128ELNS_18Fp8KVCacheDataTypeE1ELb1EEEvPT_PKS2_PKT0_S8_ifPKiSA_iPKfiiiSC_SC_iiiii,comdat
	.protected	_ZN4vllm25paged_attention_v1_kernelIfhLi32ELi8ELi128ELNS_18Fp8KVCacheDataTypeE1ELb1EEEvPT_PKS2_PKT0_S8_ifPKiSA_iPKfiiiSC_SC_iiiii ; -- Begin function _ZN4vllm25paged_attention_v1_kernelIfhLi32ELi8ELi128ELNS_18Fp8KVCacheDataTypeE1ELb1EEEvPT_PKS2_PKT0_S8_ifPKiSA_iPKfiiiSC_SC_iiiii
	.globl	_ZN4vllm25paged_attention_v1_kernelIfhLi32ELi8ELi128ELNS_18Fp8KVCacheDataTypeE1ELb1EEEvPT_PKS2_PKT0_S8_ifPKiSA_iPKfiiiSC_SC_iiiii
	.p2align	8
	.type	_ZN4vllm25paged_attention_v1_kernelIfhLi32ELi8ELi128ELNS_18Fp8KVCacheDataTypeE1ELb1EEEvPT_PKS2_PKT0_S8_ifPKiSA_iPKfiiiSC_SC_iiiii,@function
_ZN4vllm25paged_attention_v1_kernelIfhLi32ELi8ELi128ELNS_18Fp8KVCacheDataTypeE1ELb1EEEvPT_PKS2_PKT0_S8_ifPKiSA_iPKfiiiSC_SC_iiiii: ; @_ZN4vllm25paged_attention_v1_kernelIfhLi32ELi8ELi128ELNS_18Fp8KVCacheDataTypeE1ELb1EEEvPT_PKS2_PKT0_S8_ifPKiSA_iPKfiiiSC_SC_iiiii
; %bb.0:
	s_clause 0x2
	s_load_dword s9, s[4:5], 0x80
	s_load_dwordx2 s[0:1], s[4:5], 0x30
	s_load_dwordx2 s[34:35], s[4:5], 0x20
	s_mov_b32 s10, s7
	s_ashr_i32 s11, s7, 31
	s_mov_b32 s36, 0
	s_lshl_b64 s[2:3], s[10:11], 2
	s_waitcnt lgkmcnt(0)
	s_add_u32 s0, s0, s2
	s_addc_u32 s1, s1, s3
	s_abs_i32 s2, s34
	s_abs_i32 s11, s9
	v_cvt_f32_u32_e32 v1, s2
	s_sub_i32 s7, 0, s2
	v_rcp_iflag_f32_e32 v1, v1
	v_mul_f32_e32 v1, 0x4f7ffffe, v1
	v_cvt_u32_f32_e32 v1, v1
	v_readfirstlane_b32 s3, v1
	s_mul_i32 s7, s7, s3
	s_mul_hi_u32 s7, s3, s7
	s_add_i32 s3, s3, s7
	s_xor_b32 s7, s9, s34
	s_mul_hi_u32 s3, s11, s3
	s_ashr_i32 s7, s7, 31
	s_mul_i32 s12, s3, s2
	s_sub_i32 s11, s11, s12
	s_add_i32 s12, s3, 1
	s_sub_i32 s13, s11, s2
	s_cmp_ge_u32 s11, s2
	s_cselect_b32 s3, s12, s3
	s_cselect_b32 s11, s13, s11
	s_add_i32 s12, s3, 1
	s_cmp_ge_u32 s11, s2
	s_cselect_b32 s2, s12, s3
	s_xor_b32 s2, s2, s7
	s_sub_i32 s14, s2, s7
	s_load_dwordx2 s[2:3], s[4:5], 0x40
	s_abs_i32 s11, s14
	v_cvt_f32_u32_e32 v1, s11
	s_sub_i32 s12, 0, s11
	v_rcp_iflag_f32_e32 v1, v1
	v_mul_f32_e32 v1, 0x4f7ffffe, v1
	v_cvt_u32_f32_e32 v1, v1
	v_readfirstlane_b32 s7, v1
	s_mul_i32 s12, s12, s7
	s_mul_hi_u32 s13, s7, s12
	s_abs_i32 s12, s6
	s_add_i32 s7, s7, s13
	s_waitcnt lgkmcnt(0)
	s_cmp_eq_u64 s[2:3], 0
	s_mul_hi_u32 s13, s12, s7
	s_cbranch_scc1 .LBB162_2
; %bb.1:
	s_ashr_i32 s7, s6, 31
	s_lshl_b64 s[16:17], s[6:7], 2
	s_add_u32 s2, s2, s16
	s_addc_u32 s3, s3, s17
	s_load_dword s36, s[2:3], 0x0
.LBB162_2:
	s_load_dword s33, s[0:1], 0x0
	s_load_dwordx4 s[16:19], s[4:5], 0x48
	v_and_b32_e32 v1, 3, v0
	v_cmp_gt_u32_e64 s0, 32, v0
	v_lshlrev_b32_e32 v17, 2, v0
	s_ashr_i32 s1, s6, 31
	s_ashr_i32 s2, s14, 31
	s_lshl_b32 s24, s6, 5
	s_and_saveexec_b32 s3, s0
	s_cbranch_execz .LBB162_4
; %bb.3:
	s_load_dwordx2 s[14:15], s[4:5], 0x8
	s_waitcnt lgkmcnt(0)
	s_mul_i32 s20, s16, s10
	v_and_b32_e32 v3, 0x3fc, v0
	s_ashr_i32 s21, s20, 31
	s_lshl_b64 s[20:21], s[20:21], 2
	v_lshl_add_u32 v3, v1, 5, v3
	s_add_u32 s7, s14, s20
	s_addc_u32 s16, s15, s21
	s_ashr_i32 s25, s24, 31
	s_lshl_b64 s[14:15], s[24:25], 2
	s_add_u32 s14, s7, s14
	s_addc_u32 s15, s16, s15
	global_load_dword v2, v17, s[14:15]
	s_waitcnt vmcnt(0)
	ds_write_b32 v3, v2
.LBB162_4:
	s_or_b32 exec_lo, exec_lo, s3
	s_load_dwordx4 s[20:23], s[4:5], 0x68
	s_mul_i32 s3, s13, s11
	s_xor_b32 s2, s1, s2
	s_sub_i32 s1, s12, s3
	s_add_i32 s3, s13, 1
	s_sub_i32 s7, s1, s11
	s_cmp_ge_u32 s1, s11
	s_waitcnt lgkmcnt(0)
	s_cselect_b32 s3, s3, s13
	s_cselect_b32 s1, s7, s1
	s_add_i32 s7, s3, 1
	s_cmp_ge_u32 s1, s11
	s_load_dword s1, s[4:5], 0x78
	s_cselect_b32 s3, s7, s3
	s_add_i32 s7, s33, -1
	s_xor_b32 s3, s3, s2
	s_abs_i32 s11, s7
	s_sub_i32 s2, s3, s2
	s_mov_b32 s13, -1
	s_barrier
	s_abs_i32 s16, s23
	s_waitcnt lgkmcnt(0)
	buffer_gl0_inv
	v_cvt_f32_u32_e32 v2, s16
	s_sub_i32 s3, 0, s16
                                        ; implicit-def: $sgpr25
	v_rcp_iflag_f32_e32 v2, v2
	v_mul_f32_e32 v2, 0x4f7ffffe, v2
	v_cvt_u32_f32_e32 v2, v2
	v_readfirstlane_b32 s19, v2
	s_mul_i32 s3, s3, s19
	s_mul_hi_u32 s3, s19, s3
	s_add_i32 s19, s19, s3
	s_cmp_lt_i32 s1, 0
	s_mul_hi_u32 s3, s11, s19
	s_cbranch_scc0 .LBB162_6
; %bb.5:
	s_mul_i32 s12, s20, s34
	s_mov_b32 s13, 0
	s_add_i32 s12, s2, s12
	s_mul_i32 s12, s12, s1
	s_sub_i32 s25, 1, s12
.LBB162_6:
	s_load_dwordx2 s[26:27], s[4:5], 0x28
	s_ashr_i32 s12, s7, 31
	s_andn2_b32 vcc_lo, exec_lo, s13
	s_ashr_i32 s23, s23, 31
	s_cbranch_vccnz .LBB162_8
; %bb.7:
	s_mul_i32 s7, s9, s20
	s_add_i32 s6, s7, s6
	s_mul_i32 s1, s6, s1
	s_add_i32 s25, s1, 1
.LBB162_8:
	s_clause 0x2
	s_load_dword s1, s[4:5], 0x38
	s_load_dwordx2 s[6:7], s[4:5], 0x0
	s_load_dwordx2 s[30:31], s[4:5], 0x18
	s_xor_b32 s34, s12, s23
	s_mul_i32 s12, s3, s16
	s_add_i32 s20, s3, 1
	s_sub_i32 s37, s11, s12
	s_clause 0x1
	s_load_dword s11, s[4:5], 0x88
	s_load_dwordx4 s[12:15], s[4:5], 0x58
	v_lshrrev_b32_e32 v25, 5, v0
	v_mov_b32_e32 v21, 0xff7fffff
	v_lshrrev_b32_e32 v18, 3, v0
	v_mbcnt_lo_u32_b32 v19, -1, 0
	s_mul_i32 s18, s2, s18
	v_lshlrev_b32_e32 v26, 3, v25
	s_waitcnt lgkmcnt(0)
	s_mul_i32 s28, s1, s10
	s_sub_i32 s1, s37, s16
	s_ashr_i32 s29, s28, 31
	s_cmp_ge_u32 s37, s16
	s_cselect_b32 s3, s20, s3
	s_cselect_b32 s1, s1, s37
	s_add_i32 s20, s3, 1
	s_cmp_ge_u32 s1, s16
	s_cselect_b32 s1, s20, s3
	s_add_i32 s3, s33, 7
	s_ashr_i32 s20, s3, 31
	s_lshr_b32 s20, s20, 29
	s_add_i32 s3, s3, s20
	s_ashr_i32 s20, s3, 3
	s_xor_b32 s3, s1, s34
	v_cmp_gt_i32_e64 s1, s20, v25
	s_sub_i32 s34, s3, s34
	s_and_saveexec_b32 s37, s1
	s_cbranch_execz .LBB162_84
; %bb.9:
	s_load_dwordx2 s[2:3], s[4:5], 0x10
	s_sub_i32 s5, s34, s21
	s_ashr_i32 s4, s18, 31
	v_bfe_u32 v20, v0, 2, 3
	v_and_b32_e32 v3, 0x7c, v18
	v_mov_b32_e32 v10, 0
	v_lshlrev_b32_e32 v22, 5, v1
	v_lshlrev_b32_e32 v23, 3, v25
	v_lshlrev_b32_e32 v4, 2, v20
	v_subrev_nc_u32_e32 v5, s33, v20
	v_lshlrev_b32_e32 v6, 4, v20
	v_mov_b32_e32 v24, 0xff7fffff
	v_mov_b32_e32 v27, 0x7f
	v_lshl_or_b32 v4, v25, 5, v4
	v_add_nc_u32_e32 v29, 1, v5
	v_mov_b32_e32 v28, 7
	v_mov_b32_e32 v21, 0xff7fffff
	;; [unrolled: 1-line block ×3, first 2 shown]
	v_add_nc_u32_e32 v30, 0xa0, v4
	v_cmp_eq_u32_e32 vcc_lo, 0, v1
	s_waitcnt lgkmcnt(0)
	s_add_u32 s39, s2, s18
	s_addc_u32 s3, s3, s4
	s_abs_i32 s38, s22
	s_lshl_b64 s[40:41], s[28:29], 2
	v_cvt_f32_u32_e32 v2, s38
	s_sub_i32 s4, 0, s38
	v_cmp_neq_f32_e64 s2, s36, 0
	v_rcp_iflag_f32_e32 v2, v2
	v_mul_f32_e32 v2, 0x4f7ffffe, v2
	v_cvt_u32_f32_e32 v2, v2
	v_mul_lo_u32 v4, s4, v2
	v_add_co_u32 v5, s4, s39, v6
	v_add_co_ci_u32_e64 v6, null, s3, 0, s4
	s_add_u32 s3, s26, s40
	s_addc_u32 s4, s27, s41
	v_add_co_u32 v11, s3, s3, v3
	v_mul_hi_u32 v4, v2, v4
	v_add_co_ci_u32_e64 v12, null, s4, 0, s3
	v_add_co_u32 v13, s3, v5, v1
	v_add_co_ci_u32_e64 v14, null, 0, v6, s3
	s_mov_b32 s39, 0
	v_add_nc_u32_e32 v31, v2, v4
	s_mov_b32 s40, s17
	s_branch .LBB162_12
.LBB162_10:                             ;   in Loop: Header=BB162_12 Depth=1
	s_or_b32 exec_lo, exec_lo, s41
.LBB162_11:                             ;   in Loop: Header=BB162_12 Depth=1
	s_or_b32 exec_lo, exec_lo, s4
	v_add_nc_u32_e32 v32, 4, v32
	v_add_co_u32 v11, s4, v11, 16
	v_add_co_ci_u32_e64 v12, null, 0, v12, s4
	v_cmp_le_i32_e64 s3, s20, v32
	v_add_nc_u32_e32 v23, 32, v23
	v_add_nc_u32_e32 v30, 0x80, v30
	s_or_b32 s39, s3, s39
	s_andn2_b32 exec_lo, exec_lo, s39
	s_cbranch_execz .LBB162_83
.LBB162_12:                             ; =>This Inner Loop Header: Depth=1
	v_mul_hi_u32 v1, v23, s19
	s_waitcnt lgkmcnt(0)
	v_mul_lo_u32 v2, v1, s16
	v_add_nc_u32_e32 v3, 1, v1
	v_sub_nc_u32_e32 v2, v23, v2
	v_subrev_nc_u32_e32 v4, s16, v2
	v_cmp_le_u32_e64 s3, s16, v2
	v_cndmask_b32_e64 v1, v1, v3, s3
	v_cndmask_b32_e64 v2, v2, v4, s3
	v_add_nc_u32_e32 v3, 1, v1
	v_cmp_le_u32_e64 s3, s16, v2
	v_cndmask_b32_e64 v1, v1, v3, s3
	v_xor_b32_e32 v1, s23, v1
	v_subrev_nc_u32_e32 v1, s23, v1
	v_add_nc_u32_e32 v2, s25, v1
	v_cmp_ge_i32_e64 s4, s5, v1
	v_sub_nc_u32_e32 v3, 0, v2
	v_max_i32_e32 v3, v2, v3
	v_ashrrev_i32_e32 v2, 31, v2
	v_mul_hi_u32 v4, v3, v31
	v_mul_lo_u32 v4, v4, s38
	v_sub_nc_u32_e32 v3, v3, v4
	v_subrev_nc_u32_e32 v4, s38, v3
	v_cmp_le_u32_e64 s3, s38, v3
	v_cndmask_b32_e64 v3, v3, v4, s3
	v_subrev_nc_u32_e32 v4, s38, v3
	v_cmp_le_u32_e64 s3, s38, v3
	v_cndmask_b32_e64 v3, v3, v4, s3
	v_xor_b32_e32 v3, v3, v2
	v_sub_nc_u32_e32 v2, v3, v2
	v_cmp_ne_u32_e64 s3, 0, v2
	s_and_b32 s3, s3, s4
	s_and_saveexec_b32 s4, s3
	s_xor_b32 s3, exec_lo, s4
	s_cbranch_execz .LBB162_16
; %bb.13:                               ;   in Loop: Header=BB162_12 Depth=1
	s_and_saveexec_b32 s4, vcc_lo
; %bb.14:                               ;   in Loop: Header=BB162_12 Depth=1
	ds_write_b32 v30, v24
; %bb.15:                               ;   in Loop: Header=BB162_12 Depth=1
	s_or_b32 exec_lo, exec_lo, s4
.LBB162_16:                             ;   in Loop: Header=BB162_12 Depth=1
	s_andn2_saveexec_b32 s4, s3
	s_cbranch_execz .LBB162_11
; %bb.17:                               ;   in Loop: Header=BB162_12 Depth=1
	global_load_dword v1, v[11:12], off
	v_mov_b32_e32 v33, 0
	v_mov_b32_e32 v34, 0
	s_mov_b32 s42, exec_lo
	s_waitcnt vmcnt(0)
	v_mad_i64_i32 v[15:16], null, v1, s40, v[13:14]
	global_load_ubyte v35, v[15:16], off
	ds_read_b128 v[5:8], v22
	ds_read_b128 v[1:4], v22 offset:16
	s_load_dword s41, s[12:13], 0x0
	s_waitcnt vmcnt(0)
	v_cmpx_ne_u16_e32 0, v35
	s_cbranch_execz .LBB162_25
; %bb.18:                               ;   in Loop: Header=BB162_12 Depth=1
	v_bfrev_b32_e32 v34, 1
	s_mov_b32 s43, exec_lo
	v_cmpx_ne_u16_e32 0x80, v35
	s_cbranch_execz .LBB162_24
; %bb.19:                               ;   in Loop: Header=BB162_12 Depth=1
	v_and_b32_sdwa v36, v35, v27 dst_sel:DWORD dst_unused:UNUSED_PAD src0_sel:WORD_0 src1_sel:DWORD
	v_mov_b32_e32 v34, 0x7f800001
	s_mov_b32 s44, exec_lo
	v_cmpx_ne_u32_e32 0x7f, v36
	s_cbranch_execz .LBB162_23
; %bb.20:                               ;   in Loop: Header=BB162_12 Depth=1
	v_and_b32_sdwa v9, v35, v28 dst_sel:DWORD dst_unused:UNUSED_PAD src0_sel:WORD_0 src1_sel:DWORD
	v_lshrrev_b32_e32 v34, 3, v36
	s_mov_b32 s45, exec_lo
	v_cmpx_gt_u32_e32 8, v36
; %bb.21:                               ;   in Loop: Header=BB162_12 Depth=1
	v_ffbh_u32_e32 v34, v9
	v_min_u32_e32 v34, 32, v34
	v_subrev_nc_u32_e32 v36, 28, v34
	v_sub_nc_u32_e32 v34, 29, v34
	v_lshlrev_b64 v[36:37], v36, v[9:10]
	v_and_b32_e32 v9, 7, v36
; %bb.22:                               ;   in Loop: Header=BB162_12 Depth=1
	s_or_b32 exec_lo, exec_lo, s45
	v_lshlrev_b32_e32 v35, 24, v35
	v_lshlrev_b32_e32 v9, 20, v9
	v_lshl_add_u32 v34, v34, 23, 0x3c000000
	v_and_b32_e32 v35, 0x80000000, v35
	v_or3_b32 v34, v9, v35, v34
.LBB162_23:                             ;   in Loop: Header=BB162_12 Depth=1
	s_or_b32 exec_lo, exec_lo, s44
.LBB162_24:                             ;   in Loop: Header=BB162_12 Depth=1
	s_or_b32 exec_lo, exec_lo, s43
.LBB162_25:                             ;   in Loop: Header=BB162_12 Depth=1
	s_or_b32 exec_lo, exec_lo, s42
	global_load_ubyte v35, v[15:16], off offset:4
	s_mov_b32 s42, exec_lo
	s_waitcnt vmcnt(0)
	v_cmpx_ne_u16_e32 0, v35
	s_cbranch_execz .LBB162_33
; %bb.26:                               ;   in Loop: Header=BB162_12 Depth=1
	v_bfrev_b32_e32 v33, 1
	s_mov_b32 s43, exec_lo
	v_cmpx_ne_u16_e32 0x80, v35
	s_cbranch_execz .LBB162_32
; %bb.27:                               ;   in Loop: Header=BB162_12 Depth=1
	v_and_b32_sdwa v36, v35, v27 dst_sel:DWORD dst_unused:UNUSED_PAD src0_sel:WORD_0 src1_sel:DWORD
	v_mov_b32_e32 v33, 0x7f800001
	s_mov_b32 s44, exec_lo
	v_cmpx_ne_u32_e32 0x7f, v36
	s_cbranch_execz .LBB162_31
; %bb.28:                               ;   in Loop: Header=BB162_12 Depth=1
	v_and_b32_sdwa v9, v35, v28 dst_sel:DWORD dst_unused:UNUSED_PAD src0_sel:WORD_0 src1_sel:DWORD
	v_lshrrev_b32_e32 v33, 3, v36
	s_mov_b32 s45, exec_lo
	v_cmpx_gt_u32_e32 8, v36
; %bb.29:                               ;   in Loop: Header=BB162_12 Depth=1
	v_ffbh_u32_e32 v33, v9
	v_min_u32_e32 v33, 32, v33
	v_subrev_nc_u32_e32 v36, 28, v33
	v_sub_nc_u32_e32 v33, 29, v33
	v_lshlrev_b64 v[36:37], v36, v[9:10]
	v_and_b32_e32 v9, 7, v36
; %bb.30:                               ;   in Loop: Header=BB162_12 Depth=1
	s_or_b32 exec_lo, exec_lo, s45
	v_lshlrev_b32_e32 v35, 24, v35
	v_lshlrev_b32_e32 v9, 20, v9
	v_lshl_add_u32 v33, v33, 23, 0x3c000000
	v_and_b32_e32 v35, 0x80000000, v35
	v_or3_b32 v33, v9, v35, v33
.LBB162_31:                             ;   in Loop: Header=BB162_12 Depth=1
	s_or_b32 exec_lo, exec_lo, s44
.LBB162_32:                             ;   in Loop: Header=BB162_12 Depth=1
	s_or_b32 exec_lo, exec_lo, s43
.LBB162_33:                             ;   in Loop: Header=BB162_12 Depth=1
	s_or_b32 exec_lo, exec_lo, s42
	global_load_ubyte v37, v[15:16], off offset:8
	v_mov_b32_e32 v35, 0
	v_mov_b32_e32 v36, 0
	s_mov_b32 s42, exec_lo
	s_waitcnt vmcnt(0)
	v_cmpx_ne_u16_e32 0, v37
	s_cbranch_execz .LBB162_41
; %bb.34:                               ;   in Loop: Header=BB162_12 Depth=1
	v_bfrev_b32_e32 v36, 1
	s_mov_b32 s43, exec_lo
	v_cmpx_ne_u16_e32 0x80, v37
	s_cbranch_execz .LBB162_40
; %bb.35:                               ;   in Loop: Header=BB162_12 Depth=1
	v_and_b32_sdwa v38, v37, v27 dst_sel:DWORD dst_unused:UNUSED_PAD src0_sel:WORD_0 src1_sel:DWORD
	v_mov_b32_e32 v36, 0x7f800001
	s_mov_b32 s44, exec_lo
	v_cmpx_ne_u32_e32 0x7f, v38
	s_cbranch_execz .LBB162_39
; %bb.36:                               ;   in Loop: Header=BB162_12 Depth=1
	v_and_b32_sdwa v9, v37, v28 dst_sel:DWORD dst_unused:UNUSED_PAD src0_sel:WORD_0 src1_sel:DWORD
	v_lshrrev_b32_e32 v36, 3, v38
	s_mov_b32 s45, exec_lo
	v_cmpx_gt_u32_e32 8, v38
; %bb.37:                               ;   in Loop: Header=BB162_12 Depth=1
	v_ffbh_u32_e32 v36, v9
	v_min_u32_e32 v36, 32, v36
	v_subrev_nc_u32_e32 v38, 28, v36
	v_sub_nc_u32_e32 v36, 29, v36
	v_lshlrev_b64 v[38:39], v38, v[9:10]
	v_and_b32_e32 v9, 7, v38
; %bb.38:                               ;   in Loop: Header=BB162_12 Depth=1
	s_or_b32 exec_lo, exec_lo, s45
	v_lshlrev_b32_e32 v37, 24, v37
	v_lshlrev_b32_e32 v9, 20, v9
	v_lshl_add_u32 v36, v36, 23, 0x3c000000
	v_and_b32_e32 v37, 0x80000000, v37
	v_or3_b32 v36, v9, v37, v36
.LBB162_39:                             ;   in Loop: Header=BB162_12 Depth=1
	s_or_b32 exec_lo, exec_lo, s44
.LBB162_40:                             ;   in Loop: Header=BB162_12 Depth=1
	s_or_b32 exec_lo, exec_lo, s43
.LBB162_41:                             ;   in Loop: Header=BB162_12 Depth=1
	s_or_b32 exec_lo, exec_lo, s42
	global_load_ubyte v37, v[15:16], off offset:12
	s_mov_b32 s42, exec_lo
	s_waitcnt vmcnt(0)
	v_cmpx_ne_u16_e32 0, v37
	s_cbranch_execz .LBB162_49
; %bb.42:                               ;   in Loop: Header=BB162_12 Depth=1
	v_bfrev_b32_e32 v35, 1
	s_mov_b32 s43, exec_lo
	v_cmpx_ne_u16_e32 0x80, v37
	s_cbranch_execz .LBB162_48
; %bb.43:                               ;   in Loop: Header=BB162_12 Depth=1
	v_and_b32_sdwa v38, v37, v27 dst_sel:DWORD dst_unused:UNUSED_PAD src0_sel:WORD_0 src1_sel:DWORD
	v_mov_b32_e32 v35, 0x7f800001
	s_mov_b32 s44, exec_lo
	v_cmpx_ne_u32_e32 0x7f, v38
	s_cbranch_execz .LBB162_47
; %bb.44:                               ;   in Loop: Header=BB162_12 Depth=1
	v_and_b32_sdwa v9, v37, v28 dst_sel:DWORD dst_unused:UNUSED_PAD src0_sel:WORD_0 src1_sel:DWORD
	v_lshrrev_b32_e32 v35, 3, v38
	s_mov_b32 s45, exec_lo
	v_cmpx_gt_u32_e32 8, v38
; %bb.45:                               ;   in Loop: Header=BB162_12 Depth=1
	v_ffbh_u32_e32 v35, v9
	v_min_u32_e32 v35, 32, v35
	v_subrev_nc_u32_e32 v38, 28, v35
	v_sub_nc_u32_e32 v35, 29, v35
	v_lshlrev_b64 v[38:39], v38, v[9:10]
	v_and_b32_e32 v9, 7, v38
; %bb.46:                               ;   in Loop: Header=BB162_12 Depth=1
	s_or_b32 exec_lo, exec_lo, s45
	v_lshlrev_b32_e32 v37, 24, v37
	v_lshlrev_b32_e32 v9, 20, v9
	v_lshl_add_u32 v35, v35, 23, 0x3c000000
	v_and_b32_e32 v37, 0x80000000, v37
	v_or3_b32 v35, v9, v37, v35
.LBB162_47:                             ;   in Loop: Header=BB162_12 Depth=1
	s_or_b32 exec_lo, exec_lo, s44
.LBB162_48:                             ;   in Loop: Header=BB162_12 Depth=1
	s_or_b32 exec_lo, exec_lo, s43
.LBB162_49:                             ;   in Loop: Header=BB162_12 Depth=1
	s_or_b32 exec_lo, exec_lo, s42
	global_load_ubyte v39, v[15:16], off offset:128
	v_mov_b32_e32 v37, 0
	v_mov_b32_e32 v38, 0
	s_mov_b32 s42, exec_lo
	s_waitcnt vmcnt(0)
	v_cmpx_ne_u16_e32 0, v39
	s_cbranch_execz .LBB162_57
; %bb.50:                               ;   in Loop: Header=BB162_12 Depth=1
	v_bfrev_b32_e32 v38, 1
	s_mov_b32 s43, exec_lo
	v_cmpx_ne_u16_e32 0x80, v39
	s_cbranch_execz .LBB162_56
; %bb.51:                               ;   in Loop: Header=BB162_12 Depth=1
	v_and_b32_sdwa v40, v39, v27 dst_sel:DWORD dst_unused:UNUSED_PAD src0_sel:WORD_0 src1_sel:DWORD
	v_mov_b32_e32 v38, 0x7f800001
	s_mov_b32 s44, exec_lo
	v_cmpx_ne_u32_e32 0x7f, v40
	s_cbranch_execz .LBB162_55
; %bb.52:                               ;   in Loop: Header=BB162_12 Depth=1
	v_and_b32_sdwa v9, v39, v28 dst_sel:DWORD dst_unused:UNUSED_PAD src0_sel:WORD_0 src1_sel:DWORD
	v_lshrrev_b32_e32 v38, 3, v40
	s_mov_b32 s45, exec_lo
	v_cmpx_gt_u32_e32 8, v40
; %bb.53:                               ;   in Loop: Header=BB162_12 Depth=1
	v_ffbh_u32_e32 v38, v9
	v_min_u32_e32 v38, 32, v38
	v_subrev_nc_u32_e32 v40, 28, v38
	v_sub_nc_u32_e32 v38, 29, v38
	v_lshlrev_b64 v[40:41], v40, v[9:10]
	v_and_b32_e32 v9, 7, v40
; %bb.54:                               ;   in Loop: Header=BB162_12 Depth=1
	s_or_b32 exec_lo, exec_lo, s45
	v_lshlrev_b32_e32 v39, 24, v39
	v_lshlrev_b32_e32 v9, 20, v9
	v_lshl_add_u32 v38, v38, 23, 0x3c000000
	v_and_b32_e32 v39, 0x80000000, v39
	v_or3_b32 v38, v9, v39, v38
.LBB162_55:                             ;   in Loop: Header=BB162_12 Depth=1
	s_or_b32 exec_lo, exec_lo, s44
.LBB162_56:                             ;   in Loop: Header=BB162_12 Depth=1
	s_or_b32 exec_lo, exec_lo, s43
.LBB162_57:                             ;   in Loop: Header=BB162_12 Depth=1
	s_or_b32 exec_lo, exec_lo, s42
	global_load_ubyte v39, v[15:16], off offset:132
	s_mov_b32 s42, exec_lo
	s_waitcnt vmcnt(0)
	v_cmpx_ne_u16_e32 0, v39
	s_cbranch_execz .LBB162_65
; %bb.58:                               ;   in Loop: Header=BB162_12 Depth=1
	v_bfrev_b32_e32 v37, 1
	s_mov_b32 s43, exec_lo
	v_cmpx_ne_u16_e32 0x80, v39
	s_cbranch_execz .LBB162_64
; %bb.59:                               ;   in Loop: Header=BB162_12 Depth=1
	v_and_b32_sdwa v40, v39, v27 dst_sel:DWORD dst_unused:UNUSED_PAD src0_sel:WORD_0 src1_sel:DWORD
	v_mov_b32_e32 v37, 0x7f800001
	s_mov_b32 s44, exec_lo
	v_cmpx_ne_u32_e32 0x7f, v40
	s_cbranch_execz .LBB162_63
; %bb.60:                               ;   in Loop: Header=BB162_12 Depth=1
	v_and_b32_sdwa v9, v39, v28 dst_sel:DWORD dst_unused:UNUSED_PAD src0_sel:WORD_0 src1_sel:DWORD
	v_lshrrev_b32_e32 v37, 3, v40
	s_mov_b32 s45, exec_lo
	v_cmpx_gt_u32_e32 8, v40
; %bb.61:                               ;   in Loop: Header=BB162_12 Depth=1
	v_ffbh_u32_e32 v37, v9
	v_min_u32_e32 v37, 32, v37
	v_subrev_nc_u32_e32 v40, 28, v37
	v_sub_nc_u32_e32 v37, 29, v37
	v_lshlrev_b64 v[40:41], v40, v[9:10]
	v_and_b32_e32 v9, 7, v40
; %bb.62:                               ;   in Loop: Header=BB162_12 Depth=1
	s_or_b32 exec_lo, exec_lo, s45
	v_lshlrev_b32_e32 v39, 24, v39
	v_lshlrev_b32_e32 v9, 20, v9
	v_lshl_add_u32 v37, v37, 23, 0x3c000000
	v_and_b32_e32 v39, 0x80000000, v39
	v_or3_b32 v37, v9, v39, v37
.LBB162_63:                             ;   in Loop: Header=BB162_12 Depth=1
	s_or_b32 exec_lo, exec_lo, s44
.LBB162_64:                             ;   in Loop: Header=BB162_12 Depth=1
	s_or_b32 exec_lo, exec_lo, s43
.LBB162_65:                             ;   in Loop: Header=BB162_12 Depth=1
	s_or_b32 exec_lo, exec_lo, s42
	global_load_ubyte v41, v[15:16], off offset:136
	v_mov_b32_e32 v39, 0
	v_mov_b32_e32 v40, 0
	s_mov_b32 s42, exec_lo
	s_waitcnt vmcnt(0)
	v_cmpx_ne_u16_e32 0, v41
	s_cbranch_execz .LBB162_73
; %bb.66:                               ;   in Loop: Header=BB162_12 Depth=1
	v_bfrev_b32_e32 v40, 1
	s_mov_b32 s43, exec_lo
	v_cmpx_ne_u16_e32 0x80, v41
	s_cbranch_execz .LBB162_72
; %bb.67:                               ;   in Loop: Header=BB162_12 Depth=1
	v_and_b32_sdwa v42, v41, v27 dst_sel:DWORD dst_unused:UNUSED_PAD src0_sel:WORD_0 src1_sel:DWORD
	v_mov_b32_e32 v40, 0x7f800001
	s_mov_b32 s44, exec_lo
	v_cmpx_ne_u32_e32 0x7f, v42
	s_cbranch_execz .LBB162_71
; %bb.68:                               ;   in Loop: Header=BB162_12 Depth=1
	v_and_b32_sdwa v9, v41, v28 dst_sel:DWORD dst_unused:UNUSED_PAD src0_sel:WORD_0 src1_sel:DWORD
	v_lshrrev_b32_e32 v40, 3, v42
	s_mov_b32 s45, exec_lo
	v_cmpx_gt_u32_e32 8, v42
; %bb.69:                               ;   in Loop: Header=BB162_12 Depth=1
	v_ffbh_u32_e32 v40, v9
	v_min_u32_e32 v40, 32, v40
	v_subrev_nc_u32_e32 v42, 28, v40
	v_sub_nc_u32_e32 v40, 29, v40
	v_lshlrev_b64 v[42:43], v42, v[9:10]
	v_and_b32_e32 v9, 7, v42
; %bb.70:                               ;   in Loop: Header=BB162_12 Depth=1
	s_or_b32 exec_lo, exec_lo, s45
	v_lshlrev_b32_e32 v41, 24, v41
	v_lshlrev_b32_e32 v9, 20, v9
	v_lshl_add_u32 v40, v40, 23, 0x3c000000
	v_and_b32_e32 v41, 0x80000000, v41
	v_or3_b32 v40, v9, v41, v40
.LBB162_71:                             ;   in Loop: Header=BB162_12 Depth=1
	s_or_b32 exec_lo, exec_lo, s44
.LBB162_72:                             ;   in Loop: Header=BB162_12 Depth=1
	s_or_b32 exec_lo, exec_lo, s43
.LBB162_73:                             ;   in Loop: Header=BB162_12 Depth=1
	s_or_b32 exec_lo, exec_lo, s42
	global_load_ubyte v15, v[15:16], off offset:140
	s_mov_b32 s42, exec_lo
	s_waitcnt vmcnt(0)
	v_cmpx_ne_u16_e32 0, v15
	s_cbranch_execz .LBB162_81
; %bb.74:                               ;   in Loop: Header=BB162_12 Depth=1
	v_bfrev_b32_e32 v39, 1
	s_mov_b32 s43, exec_lo
	v_cmpx_ne_u16_e32 0x80, v15
	s_cbranch_execz .LBB162_80
; %bb.75:                               ;   in Loop: Header=BB162_12 Depth=1
	v_and_b32_sdwa v41, v15, v27 dst_sel:DWORD dst_unused:UNUSED_PAD src0_sel:WORD_0 src1_sel:DWORD
	v_mov_b32_e32 v39, 0x7f800001
	s_mov_b32 s44, exec_lo
	v_cmpx_ne_u32_e32 0x7f, v41
	s_cbranch_execz .LBB162_79
; %bb.76:                               ;   in Loop: Header=BB162_12 Depth=1
	v_and_b32_sdwa v9, v15, v28 dst_sel:DWORD dst_unused:UNUSED_PAD src0_sel:WORD_0 src1_sel:DWORD
	v_lshrrev_b32_e32 v16, 3, v41
	s_mov_b32 s45, exec_lo
	v_cmpx_gt_u32_e32 8, v41
; %bb.77:                               ;   in Loop: Header=BB162_12 Depth=1
	v_ffbh_u32_e32 v16, v9
	v_min_u32_e32 v16, 32, v16
	v_subrev_nc_u32_e32 v39, 28, v16
	v_sub_nc_u32_e32 v16, 29, v16
	v_lshlrev_b64 v[41:42], v39, v[9:10]
	v_and_b32_e32 v9, 7, v41
; %bb.78:                               ;   in Loop: Header=BB162_12 Depth=1
	s_or_b32 exec_lo, exec_lo, s45
	v_lshlrev_b32_e32 v15, 24, v15
	v_lshlrev_b32_e32 v9, 20, v9
	v_lshl_add_u32 v16, v16, 23, 0x3c000000
	v_and_b32_e32 v15, 0x80000000, v15
	v_or3_b32 v39, v9, v15, v16
.LBB162_79:                             ;   in Loop: Header=BB162_12 Depth=1
	s_or_b32 exec_lo, exec_lo, s44
.LBB162_80:                             ;   in Loop: Header=BB162_12 Depth=1
	s_or_b32 exec_lo, exec_lo, s43
.LBB162_81:                             ;   in Loop: Header=BB162_12 Depth=1
	s_or_b32 exec_lo, exec_lo, s42
	s_waitcnt lgkmcnt(0)
	v_mul_f32_e32 v9, s41, v33
	v_mul_f32_e32 v15, s41, v34
	;; [unrolled: 1-line block ×4, first 2 shown]
	v_fmac_f32_e32 v6, v5, v15
	v_mul_f32_e32 v5, s41, v35
	v_fmac_f32_e32 v6, v7, v9
	v_mul_f32_e32 v7, s41, v38
	v_fmac_f32_e32 v6, v8, v5
	v_mul_f32_e32 v5, s41, v37
	v_fmac_f32_e32 v6, v1, v7
	v_xor_b32_e32 v1, 2, v19
	v_mul_f32_e32 v7, s41, v40
	v_fmac_f32_e32 v6, v2, v5
	v_cmp_gt_i32_e64 s3, 32, v1
	v_mul_f32_e32 v2, s41, v39
	v_fmac_f32_e32 v6, v3, v7
	v_cndmask_b32_e64 v1, v19, v1, s3
	v_fmac_f32_e32 v6, v4, v2
	v_lshlrev_b32_e32 v1, 2, v1
	v_xor_b32_e32 v2, 1, v19
	ds_bpermute_b32 v1, v1, v6
	v_cmp_gt_i32_e64 s3, 32, v2
	v_cndmask_b32_e64 v2, v19, v2, s3
	v_lshlrev_b32_e32 v2, 2, v2
	s_waitcnt lgkmcnt(0)
	v_add_f32_e32 v1, v6, v1
	ds_bpermute_b32 v2, v2, v1
	s_and_saveexec_b32 s41, vcc_lo
	s_cbranch_execz .LBB162_10
; %bb.82:                               ;   in Loop: Header=BB162_12 Depth=1
	v_add_nc_u32_e32 v3, v29, v23
	s_waitcnt lgkmcnt(0)
	v_add_f32_e32 v1, v1, v2
	v_cvt_f32_i32_e32 v3, v3
	v_mul_f32_e32 v3, s36, v3
	v_cndmask_b32_e64 v2, 0, v3, s2
	v_max_f32_e32 v3, v21, v21
	v_fmac_f32_e32 v2, s35, v1
	v_add_nc_u32_e32 v1, v20, v23
	v_max_f32_e32 v3, v3, v2
	v_cmp_gt_i32_e64 s3, s33, v1
	v_cndmask_b32_e64 v1, 0, v2, s3
	v_cndmask_b32_e64 v21, v21, v3, s3
	ds_write_b32 v30, v1
	s_branch .LBB162_10
.LBB162_83:
	s_or_b32 exec_lo, exec_lo, s39
.LBB162_84:
	s_or_b32 exec_lo, exec_lo, s37
	v_xor_b32_e32 v1, 16, v19
	v_xor_b32_e32 v3, 8, v19
	v_max_f32_e32 v4, v21, v21
	v_xor_b32_e32 v5, 4, v19
	v_and_b32_e32 v27, 31, v0
	v_cmp_gt_i32_e32 vcc_lo, 32, v1
	v_cndmask_b32_e32 v1, v19, v1, vcc_lo
	v_cmp_gt_i32_e32 vcc_lo, 32, v3
	s_waitcnt lgkmcnt(0)
	v_lshlrev_b32_e32 v2, 2, v1
	v_cndmask_b32_e32 v3, v19, v3, vcc_lo
	v_cmp_gt_i32_e32 vcc_lo, 32, v5
	ds_bpermute_b32 v1, v2, v21
	v_lshlrev_b32_e32 v3, 2, v3
	v_cndmask_b32_e32 v5, v19, v5, vcc_lo
	v_cmp_eq_u32_e32 vcc_lo, 0, v27
	v_lshlrev_b32_e32 v6, 2, v5
	s_waitcnt lgkmcnt(0)
	v_max_f32_e32 v1, v1, v1
	v_max_f32_e32 v1, v4, v1
	ds_bpermute_b32 v4, v3, v1
	s_waitcnt lgkmcnt(0)
	v_max_f32_e32 v4, v4, v4
	v_max_f32_e32 v1, v1, v4
	v_lshlrev_b32_e32 v4, 2, v25
	ds_bpermute_b32 v5, v6, v1
	s_and_saveexec_b32 s2, vcc_lo
	s_cbranch_execz .LBB162_86
; %bb.85:
	s_waitcnt lgkmcnt(0)
	v_max_f32_e32 v5, v5, v5
	v_max_f32_e32 v1, v1, v1
	;; [unrolled: 1-line block ×3, first 2 shown]
	ds_write_b32 v4, v1 offset:128
.LBB162_86:
	s_or_b32 exec_lo, exec_lo, s2
	v_cmp_gt_u32_e64 s2, 4, v27
	v_mov_b32_e32 v1, 0xff7fffff
	s_waitcnt lgkmcnt(0)
	v_lshlrev_b32_e32 v5, 2, v27
	s_barrier
	buffer_gl0_inv
	s_and_saveexec_b32 s3, s2
; %bb.87:
	ds_read_b32 v1, v5 offset:128
; %bb.88:
	s_or_b32 exec_lo, exec_lo, s3
	v_xor_b32_e32 v7, 2, v19
	v_xor_b32_e32 v9, 1, v19
	v_cmp_gt_i32_e64 s3, 32, v7
	v_cndmask_b32_e64 v7, v19, v7, s3
	v_cmp_gt_i32_e64 s3, 32, v9
	v_lshlrev_b32_e32 v7, 2, v7
	v_cndmask_b32_e64 v9, v19, v9, s3
	s_lshl_b32 s3, s20, 3
	s_min_i32 s5, s3, s33
	s_waitcnt lgkmcnt(0)
	ds_bpermute_b32 v8, v7, v1
	v_max_f32_e32 v1, v1, v1
	v_lshlrev_b32_e32 v28, 2, v9
	v_cmp_gt_i32_e64 s3, s5, v0
	s_waitcnt lgkmcnt(0)
	v_max_f32_e32 v8, v8, v8
	v_max_f32_e32 v1, v1, v8
	ds_bpermute_b32 v8, v28, v1
	s_waitcnt lgkmcnt(0)
	v_max_f32_e32 v8, v8, v8
	v_max_f32_e32 v1, v1, v8
	v_mov_b32_e32 v8, 0
	ds_bpermute_b32 v9, v8, v1
	v_lshl_add_u32 v1, v0, 2, 0xa0
	s_and_saveexec_b32 s12, s3
	s_cbranch_execz .LBB162_92
; %bb.89:
	v_lshl_add_u32 v10, v0, 2, 0xa0
	v_mov_b32_e32 v8, 0
	v_mov_b32_e32 v11, v0
	s_mov_b32 s13, 0
	.p2align	6
.LBB162_90:                             ; =>This Inner Loop Header: Depth=1
	ds_read_b32 v12, v10
	v_add_nc_u32_e32 v11, 0x80, v11
	v_cmp_le_i32_e64 s4, s5, v11
	s_or_b32 s13, s4, s13
	s_waitcnt lgkmcnt(0)
	v_sub_f32_e32 v12, v12, v9
	v_mul_f32_e32 v12, 0x3fb8aa3b, v12
	v_exp_f32_e32 v12, v12
	ds_write_b32 v10, v12
	v_add_f32_e32 v8, v8, v12
	v_add_nc_u32_e32 v10, 0x200, v10
	s_andn2_b32 exec_lo, exec_lo, s13
	s_cbranch_execnz .LBB162_90
; %bb.91:
	s_or_b32 exec_lo, exec_lo, s13
.LBB162_92:
	s_or_b32 exec_lo, exec_lo, s12
	ds_bpermute_b32 v2, v2, v8
	s_waitcnt lgkmcnt(0)
	v_add_f32_e32 v2, v8, v2
	ds_bpermute_b32 v3, v3, v2
	s_waitcnt lgkmcnt(0)
	v_add_f32_e32 v2, v2, v3
	;; [unrolled: 3-line block ×5, first 2 shown]
	s_and_saveexec_b32 s4, vcc_lo
; %bb.93:
	ds_write_b32 v4, v2 offset:144
; %bb.94:
	s_or_b32 exec_lo, exec_lo, s4
	s_waitcnt lgkmcnt(0)
	s_barrier
	buffer_gl0_inv
	s_and_saveexec_b32 s4, s2
; %bb.95:
	ds_read_b32 v2, v5 offset:144
; %bb.96:
	s_or_b32 exec_lo, exec_lo, s4
	s_waitcnt lgkmcnt(0)
	ds_bpermute_b32 v3, v7, v2
	s_waitcnt lgkmcnt(0)
	v_add_f32_e32 v2, v2, v3
	ds_bpermute_b32 v3, v28, v2
	s_waitcnt lgkmcnt(0)
	v_add_f32_e32 v2, v2, v3
	v_mov_b32_e32 v3, 0
	ds_bpermute_b32 v2, v3, v2
	s_and_saveexec_b32 s2, s3
	s_cbranch_execz .LBB162_99
; %bb.97:
	s_waitcnt lgkmcnt(0)
	v_add_f32_e32 v2, 0x358637bd, v2
	s_mov_b32 s3, 0
	v_div_scale_f32 v3, null, v2, v2, 1.0
	v_div_scale_f32 v6, vcc_lo, 1.0, v2, 1.0
	v_rcp_f32_e32 v4, v3
	v_fma_f32 v5, -v3, v4, 1.0
	v_fmac_f32_e32 v4, v5, v4
	v_mul_f32_e32 v5, v6, v4
	v_fma_f32 v7, -v3, v5, v6
	v_fmac_f32_e32 v5, v7, v4
	v_fma_f32 v3, -v3, v5, v6
	v_div_fmas_f32 v3, v3, v4, v5
	v_div_fixup_f32 v2, v3, v2, 1.0
	v_mov_b32_e32 v3, v0
.LBB162_98:                             ; =>This Inner Loop Header: Depth=1
	ds_read_b32 v4, v1
	v_add_nc_u32_e32 v3, 0x80, v3
	v_cmp_le_i32_e32 vcc_lo, s5, v3
	s_or_b32 s3, vcc_lo, s3
	s_waitcnt lgkmcnt(0)
	v_mul_f32_e32 v4, v2, v4
	ds_write_b32 v1, v4
	v_add_nc_u32_e32 v1, 0x200, v1
	s_andn2_b32 exec_lo, exec_lo, s3
	s_cbranch_execnz .LBB162_98
.LBB162_99:
	s_or_b32 exec_lo, exec_lo, s2
	v_mov_b32_e32 v32, 0
	v_and_b32_e32 v29, 1, v0
	v_mov_b32_e32 v31, 0
	s_waitcnt lgkmcnt(0)
	s_barrier
	buffer_gl0_inv
	s_and_saveexec_b32 s2, s1
	s_cbranch_execz .LBB162_173
; %bb.100:
	s_sub_i32 s3, s34, s21
	s_ashr_i32 s1, s18, 31
	s_add_u32 s18, s30, s18
	s_addc_u32 s1, s31, s1
	s_abs_i32 s4, s22
	v_and_b32_e32 v2, 0x7c, v17
	v_cvt_f32_u32_e32 v1, s4
	s_sub_i32 s5, 0, s4
	v_lshlrev_b32_e32 v4, 4, v29
	v_and_b32_e32 v3, 0x7c, v18
	v_add_co_u32 v11, s18, s18, v2
	v_rcp_iflag_f32_e32 v1, v1
	s_lshl_b64 s[12:13], s[28:29], 2
	v_lshl_or_b32 v4, v25, 5, v4
	v_add_co_ci_u32_e64 v12, null, s1, 0, s18
	v_and_b32_e32 v30, 4, v17
	v_mov_b32_e32 v6, 0
	v_mov_b32_e32 v33, 0x80
	v_bfrev_b32_e32 v8, 1
	v_mov_b32_e32 v34, 0xffff
	v_mul_f32_e32 v1, 0x4f7ffffe, v1
	v_mov_b32_e32 v10, 0x7f800001
	v_mov_b32_e32 v35, 0xff
	v_mov_b32_e32 v36, 7
	v_mov_b32_e32 v37, 24
	v_cvt_u32_f32_e32 v1, v1
	v_mov_b32_e32 v31, 0
	v_mov_b32_e32 v32, 0
	v_add_nc_u32_e32 v38, 0xa0, v4
	v_mov_b32_e32 v40, v25
	v_mul_lo_u32 v5, s5, v1
	s_add_i32 s5, s20, -1
	s_add_u32 s1, s26, s12
	s_addc_u32 s12, s27, s13
	v_add_co_u32 v13, s1, s1, v3
	v_add_co_ci_u32_e64 v14, null, s12, 0, s1
	v_mul_hi_u32 v2, v1, v5
	s_mov_b32 s13, s17
	s_mov_b32 s12, 0
	v_add_nc_u32_e32 v39, v1, v2
	s_branch .LBB162_103
.LBB162_101:                            ;   in Loop: Header=BB162_103 Depth=1
	s_or_b32 exec_lo, exec_lo, s1
	v_mul_f32_e32 v16, v1, v42
	v_mul_f32_e32 v1, v1, v15
	v_fmac_f32_e32 v16, v2, v41
	v_fmac_f32_e32 v1, v2, v9
	;; [unrolled: 1-line block ×6, first 2 shown]
	v_add_f32_e32 v32, v32, v16
	v_add_f32_e32 v31, v31, v1
.LBB162_102:                            ;   in Loop: Header=BB162_103 Depth=1
	s_or_b32 exec_lo, exec_lo, s17
	v_add_nc_u32_e32 v40, 4, v40
	v_add_co_u32 v13, s1, v13, 16
	v_add_co_ci_u32_e64 v14, null, 0, v14, s1
	v_cmp_le_i32_e32 vcc_lo, s20, v40
	v_add_nc_u32_e32 v26, 32, v26
	v_add_nc_u32_e32 v38, 0x80, v38
	s_or_b32 s12, vcc_lo, s12
	s_andn2_b32 exec_lo, exec_lo, s12
	s_cbranch_execz .LBB162_172
.LBB162_103:                            ; =>This Inner Loop Header: Depth=1
	v_mul_hi_u32 v1, v26, s19
	v_mul_lo_u32 v2, v1, s16
	v_add_nc_u32_e32 v3, 1, v1
	v_sub_nc_u32_e32 v2, v26, v2
	v_subrev_nc_u32_e32 v4, s16, v2
	v_cmp_le_u32_e32 vcc_lo, s16, v2
	v_cndmask_b32_e32 v1, v1, v3, vcc_lo
	v_cndmask_b32_e32 v2, v2, v4, vcc_lo
	v_add_nc_u32_e32 v3, 1, v1
	v_cmp_le_u32_e32 vcc_lo, s16, v2
	v_cndmask_b32_e32 v1, v1, v3, vcc_lo
	v_xor_b32_e32 v1, s23, v1
	v_subrev_nc_u32_e32 v1, s23, v1
	v_add_nc_u32_e32 v2, s25, v1
	v_cmp_lt_i32_e64 s1, s3, v1
	v_sub_nc_u32_e32 v3, 0, v2
	v_max_i32_e32 v3, v2, v3
	v_ashrrev_i32_e32 v2, 31, v2
	v_mul_hi_u32 v4, v3, v39
	v_mul_lo_u32 v4, v4, s4
	v_sub_nc_u32_e32 v3, v3, v4
	v_subrev_nc_u32_e32 v4, s4, v3
	v_cmp_le_u32_e32 vcc_lo, s4, v3
	v_cndmask_b32_e32 v3, v3, v4, vcc_lo
	v_subrev_nc_u32_e32 v4, s4, v3
	v_cmp_le_u32_e32 vcc_lo, s4, v3
	v_cndmask_b32_e32 v3, v3, v4, vcc_lo
	v_xor_b32_e32 v3, v3, v2
	v_sub_nc_u32_e32 v2, v3, v2
	v_cmp_eq_u32_e32 vcc_lo, 0, v2
	s_or_b32 s1, vcc_lo, s1
	s_and_saveexec_b32 s17, s1
	s_cbranch_execz .LBB162_102
; %bb.104:                              ;   in Loop: Header=BB162_103 Depth=1
	global_load_dword v1, v[13:14], off
	s_load_dword s18, s[14:15], 0x0
	v_mov_b32_e32 v19, 0
	v_mov_b32_e32 v17, 0
	;; [unrolled: 1-line block ×4, first 2 shown]
	s_waitcnt vmcnt(0)
	v_mad_i64_i32 v[15:16], null, v1, s13, v[11:12]
	ds_read_b128 v[1:4], v38
	global_load_dword v41, v[15:16], off
	s_waitcnt vmcnt(0)
	v_cmp_ne_u16_sdwa s21, v41, v6 src0_sel:BYTE_0 src1_sel:DWORD
	s_and_saveexec_b32 s1, s21
	s_cbranch_execz .LBB162_112
; %bb.105:                              ;   in Loop: Header=BB162_103 Depth=1
	v_bfrev_b32_e32 v17, 1
	v_mov_b32_e32 v18, 0
	v_cmp_ne_u16_sdwa s22, v41, v33 src0_sel:BYTE_0 src1_sel:DWORD
	s_and_saveexec_b32 s21, s22
	s_cbranch_execz .LBB162_111
; %bb.106:                              ;   in Loop: Header=BB162_103 Depth=1
	v_mov_b32_e32 v17, 0x7f800001
	v_and_b32_e32 v9, 0x7f, v41
	v_mov_b32_e32 v18, 0
	s_mov_b32 s22, exec_lo
	v_cmpx_ne_u32_e32 0x7f, v9
	s_cbranch_execz .LBB162_110
; %bb.107:                              ;   in Loop: Header=BB162_103 Depth=1
	v_and_b32_e32 v5, 7, v41
	v_lshrrev_b32_e32 v7, 3, v9
	s_mov_b32 s26, exec_lo
	v_cmpx_gt_u32_e32 8, v9
; %bb.108:                              ;   in Loop: Header=BB162_103 Depth=1
	v_ffbh_u32_e32 v7, v5
	v_min_u32_e32 v7, 32, v7
	v_subrev_nc_u32_e32 v9, 28, v7
	v_sub_nc_u32_e32 v7, 29, v7
	v_lshlrev_b64 v[17:18], v9, v[5:6]
	v_and_b32_e32 v5, 7, v17
; %bb.109:                              ;   in Loop: Header=BB162_103 Depth=1
	s_or_b32 exec_lo, exec_lo, s26
	v_lshlrev_b32_e32 v9, 24, v41
	v_lshlrev_b32_e32 v5, 20, v5
	v_lshl_add_u32 v7, v7, 23, 0x3c000000
	v_and_b32_e32 v9, 0x80000000, v9
	v_or3_b32 v5, v5, v9, v7
	v_mov_b32_e32 v18, v6
	v_mov_b32_e32 v17, v5
.LBB162_110:                            ;   in Loop: Header=BB162_103 Depth=1
	s_or_b32 exec_lo, exec_lo, s22
.LBB162_111:                            ;   in Loop: Header=BB162_103 Depth=1
	s_or_b32 exec_lo, exec_lo, s21
.LBB162_112:                            ;   in Loop: Header=BB162_103 Depth=1
	s_or_b32 exec_lo, exec_lo, s1
	v_cmp_ne_u16_sdwa s21, v41, v6 src0_sel:BYTE_1 src1_sel:DWORD
	s_and_saveexec_b32 s1, s21
	s_cbranch_execz .LBB162_120
; %bb.113:                              ;   in Loop: Header=BB162_103 Depth=1
	v_mov_b32_e32 v7, v6
	v_mov_b32_e32 v20, v8
	v_cmp_ne_u16_sdwa s22, v41, v33 src0_sel:BYTE_1 src1_sel:DWORD
	v_mov_b32_e32 v19, v7
	s_and_saveexec_b32 s21, s22
	s_cbranch_execz .LBB162_119
; %bb.114:                              ;   in Loop: Header=BB162_103 Depth=1
	v_and_b32_sdwa v5, v34, v41 dst_sel:DWORD dst_unused:UNUSED_PAD src0_sel:DWORD src1_sel:BYTE_1
	v_mov_b32_e32 v9, v6
	v_mov_b32_e32 v20, v10
	s_mov_b32 s22, exec_lo
	v_and_b32_e32 v21, 0x7f, v5
	v_mov_b32_e32 v19, v9
	v_cmpx_ne_u32_e32 0x7f, v21
	s_cbranch_execz .LBB162_118
; %bb.115:                              ;   in Loop: Header=BB162_103 Depth=1
	v_and_b32_e32 v5, 7, v5
	v_lshrrev_b32_e32 v7, 3, v21
	s_mov_b32 s26, exec_lo
	v_cmpx_gt_u32_e32 8, v21
; %bb.116:                              ;   in Loop: Header=BB162_103 Depth=1
	v_ffbh_u32_e32 v7, v5
	v_min_u32_e32 v7, 32, v7
	v_subrev_nc_u32_e32 v9, 28, v7
	v_sub_nc_u32_e32 v7, 29, v7
	v_lshlrev_b64 v[19:20], v9, v[5:6]
	v_and_b32_e32 v5, 7, v19
; %bb.117:                              ;   in Loop: Header=BB162_103 Depth=1
	s_or_b32 exec_lo, exec_lo, s26
	v_lshlrev_b32_e32 v9, 16, v41
	v_lshlrev_b32_e32 v5, 20, v5
	v_lshl_add_u32 v7, v7, 23, 0x3c000000
	v_mov_b32_e32 v19, v6
	v_and_b32_e32 v9, 0x80000000, v9
	v_or3_b32 v20, v5, v9, v7
.LBB162_118:                            ;   in Loop: Header=BB162_103 Depth=1
	s_or_b32 exec_lo, exec_lo, s22
.LBB162_119:                            ;   in Loop: Header=BB162_103 Depth=1
	s_or_b32 exec_lo, exec_lo, s21
.LBB162_120:                            ;   in Loop: Header=BB162_103 Depth=1
	s_or_b32 exec_lo, exec_lo, s1
	v_mov_b32_e32 v23, 0
	v_mov_b32_e32 v21, 0
	v_and_b32_sdwa v5, v41, v35 dst_sel:DWORD dst_unused:UNUSED_PAD src0_sel:WORD_1 src1_sel:DWORD
	v_mov_b32_e32 v24, 0
	v_mov_b32_e32 v22, 0
	s_mov_b32 s1, exec_lo
	v_cmpx_ne_u16_e32 0, v5
	s_cbranch_execz .LBB162_128
; %bb.121:                              ;   in Loop: Header=BB162_103 Depth=1
	v_bfrev_b32_e32 v21, 1
	v_mov_b32_e32 v22, 0
	s_mov_b32 s21, exec_lo
	v_cmpx_ne_u16_e32 0x80, v5
	s_cbranch_execz .LBB162_127
; %bb.122:                              ;   in Loop: Header=BB162_103 Depth=1
	v_mov_b32_e32 v21, 0x7f800001
	v_bfe_u32 v9, v41, 16, 7
	v_mov_b32_e32 v22, 0
	s_mov_b32 s22, exec_lo
	v_cmpx_ne_u32_e32 0x7f, v9
	s_cbranch_execz .LBB162_126
; %bb.123:                              ;   in Loop: Header=BB162_103 Depth=1
	v_and_b32_sdwa v5, v41, v36 dst_sel:DWORD dst_unused:UNUSED_PAD src0_sel:WORD_1 src1_sel:DWORD
	v_lshrrev_b32_e32 v7, 3, v9
	s_mov_b32 s26, exec_lo
	v_cmpx_gt_u32_e32 8, v9
; %bb.124:                              ;   in Loop: Header=BB162_103 Depth=1
	v_ffbh_u32_e32 v7, v5
	v_min_u32_e32 v7, 32, v7
	v_subrev_nc_u32_e32 v9, 28, v7
	v_sub_nc_u32_e32 v7, 29, v7
	v_lshlrev_b64 v[21:22], v9, v[5:6]
	v_and_b32_e32 v5, 7, v21
; %bb.125:                              ;   in Loop: Header=BB162_103 Depth=1
	s_or_b32 exec_lo, exec_lo, s26
	v_lshlrev_b32_sdwa v9, v37, v41 dst_sel:DWORD dst_unused:UNUSED_PAD src0_sel:DWORD src1_sel:WORD_1
	v_lshlrev_b32_e32 v5, 20, v5
	v_lshl_add_u32 v7, v7, 23, 0x3c000000
	v_and_b32_e32 v9, 0x80000000, v9
	v_or3_b32 v5, v5, v9, v7
	v_mov_b32_e32 v22, v6
	v_mov_b32_e32 v21, v5
.LBB162_126:                            ;   in Loop: Header=BB162_103 Depth=1
	s_or_b32 exec_lo, exec_lo, s22
.LBB162_127:                            ;   in Loop: Header=BB162_103 Depth=1
	s_or_b32 exec_lo, exec_lo, s21
.LBB162_128:                            ;   in Loop: Header=BB162_103 Depth=1
	s_or_b32 exec_lo, exec_lo, s1
	s_mov_b32 s1, exec_lo
	v_cmpx_lt_u32_e32 0xffffff, v41
	s_cbranch_execz .LBB162_136
; %bb.129:                              ;   in Loop: Header=BB162_103 Depth=1
	v_mov_b32_e32 v7, v6
	v_mov_b32_e32 v24, v8
	v_cmp_ne_u32_sdwa s22, v41, v33 src0_sel:BYTE_3 src1_sel:DWORD
	v_mov_b32_e32 v23, v7
	s_and_saveexec_b32 s21, s22
	s_cbranch_execz .LBB162_135
; %bb.130:                              ;   in Loop: Header=BB162_103 Depth=1
	v_mov_b32_e32 v9, v6
	v_mov_b32_e32 v24, v10
	v_bfe_u32 v42, v41, 24, 7
	s_mov_b32 s22, exec_lo
	v_mov_b32_e32 v23, v9
	v_cmpx_ne_u32_e32 0x7f, v42
	s_cbranch_execz .LBB162_134
; %bb.131:                              ;   in Loop: Header=BB162_103 Depth=1
	v_and_b32_sdwa v5, v41, v36 dst_sel:DWORD dst_unused:UNUSED_PAD src0_sel:BYTE_3 src1_sel:DWORD
	v_lshrrev_b32_e32 v7, 3, v42
	s_mov_b32 s26, exec_lo
	v_cmpx_gt_u32_e32 8, v42
; %bb.132:                              ;   in Loop: Header=BB162_103 Depth=1
	v_ffbh_u32_e32 v7, v5
	v_min_u32_e32 v7, 32, v7
	v_subrev_nc_u32_e32 v9, 28, v7
	v_sub_nc_u32_e32 v7, 29, v7
	v_lshlrev_b64 v[23:24], v9, v[5:6]
	v_and_b32_e32 v5, 7, v23
; %bb.133:                              ;   in Loop: Header=BB162_103 Depth=1
	s_or_b32 exec_lo, exec_lo, s26
	v_lshlrev_b32_sdwa v9, v37, v41 dst_sel:DWORD dst_unused:UNUSED_PAD src0_sel:DWORD src1_sel:BYTE_3
	v_lshlrev_b32_e32 v5, 20, v5
	v_lshl_add_u32 v7, v7, 23, 0x3c000000
	v_mov_b32_e32 v23, v6
	v_and_b32_e32 v9, 0x80000000, v9
	v_or3_b32 v24, v5, v9, v7
.LBB162_134:                            ;   in Loop: Header=BB162_103 Depth=1
	s_or_b32 exec_lo, exec_lo, s22
.LBB162_135:                            ;   in Loop: Header=BB162_103 Depth=1
	s_or_b32 exec_lo, exec_lo, s21
.LBB162_136:                            ;   in Loop: Header=BB162_103 Depth=1
	s_or_b32 exec_lo, exec_lo, s1
	v_add_nc_u32_e32 v43, v30, v26
	v_or_b32_e32 v5, v20, v18
	v_or_b32_e32 v7, v19, v17
	;; [unrolled: 1-line block ×4, first 2 shown]
	v_cmp_eq_u32_e32 vcc_lo, s5, v40
	s_waitcnt lgkmcnt(0)
	v_mul_f32_e32 v41, s18, v5
	v_mul_f32_e32 v42, s18, v7
	;; [unrolled: 1-line block ×4, first 2 shown]
	v_add_nc_u32_e32 v46, 1, v43
	v_add_nc_u32_e32 v45, 2, v43
	;; [unrolled: 1-line block ×3, first 2 shown]
	s_and_saveexec_b32 s21, vcc_lo
	s_cbranch_execz .LBB162_138
; %bb.137:                              ;   in Loop: Header=BB162_103 Depth=1
	v_cmp_gt_i32_e64 s1, s33, v43
	v_cndmask_b32_e64 v42, 0, v42, s1
	v_cmp_gt_i32_e64 s1, s33, v46
	v_cndmask_b32_e64 v41, 0, v41, s1
	v_cmp_gt_i32_e64 s1, s33, v45
	v_cndmask_b32_e64 v24, 0, v24, s1
	v_cmp_gt_i32_e64 s1, s33, v44
	v_cndmask_b32_e64 v23, 0, v23, s1
.LBB162_138:                            ;   in Loop: Header=BB162_103 Depth=1
	s_or_b32 exec_lo, exec_lo, s21
	global_load_dword v47, v[15:16], off offset:128
	v_mov_b32_e32 v17, 0
	v_mov_b32_e32 v15, 0
	;; [unrolled: 1-line block ×4, first 2 shown]
	s_waitcnt vmcnt(0)
	v_cmp_ne_u16_sdwa s1, v47, v6 src0_sel:BYTE_0 src1_sel:DWORD
	s_and_saveexec_b32 s21, s1
	s_cbranch_execz .LBB162_146
; %bb.139:                              ;   in Loop: Header=BB162_103 Depth=1
	v_bfrev_b32_e32 v15, 1
	v_mov_b32_e32 v16, 0
	v_cmp_ne_u16_sdwa s1, v47, v33 src0_sel:BYTE_0 src1_sel:DWORD
	s_and_saveexec_b32 s22, s1
	s_cbranch_execz .LBB162_145
; %bb.140:                              ;   in Loop: Header=BB162_103 Depth=1
	v_mov_b32_e32 v15, 0x7f800001
	v_and_b32_e32 v9, 0x7f, v47
	v_mov_b32_e32 v16, 0
	s_mov_b32 s26, exec_lo
	v_cmpx_ne_u32_e32 0x7f, v9
	s_cbranch_execz .LBB162_144
; %bb.141:                              ;   in Loop: Header=BB162_103 Depth=1
	v_and_b32_e32 v5, 7, v47
	v_lshrrev_b32_e32 v7, 3, v9
	s_mov_b32 s27, exec_lo
	v_cmpx_gt_u32_e32 8, v9
; %bb.142:                              ;   in Loop: Header=BB162_103 Depth=1
	v_ffbh_u32_e32 v7, v5
	v_min_u32_e32 v7, 32, v7
	v_subrev_nc_u32_e32 v9, 28, v7
	v_sub_nc_u32_e32 v7, 29, v7
	v_lshlrev_b64 v[15:16], v9, v[5:6]
	v_and_b32_e32 v5, 7, v15
; %bb.143:                              ;   in Loop: Header=BB162_103 Depth=1
	s_or_b32 exec_lo, exec_lo, s27
	v_lshlrev_b32_e32 v9, 24, v47
	v_lshlrev_b32_e32 v5, 20, v5
	v_lshl_add_u32 v7, v7, 23, 0x3c000000
	v_and_b32_e32 v9, 0x80000000, v9
	v_or3_b32 v5, v5, v9, v7
	v_mov_b32_e32 v16, v6
	v_mov_b32_e32 v15, v5
.LBB162_144:                            ;   in Loop: Header=BB162_103 Depth=1
	s_or_b32 exec_lo, exec_lo, s26
.LBB162_145:                            ;   in Loop: Header=BB162_103 Depth=1
	s_or_b32 exec_lo, exec_lo, s22
.LBB162_146:                            ;   in Loop: Header=BB162_103 Depth=1
	s_or_b32 exec_lo, exec_lo, s21
	v_cmp_ne_u16_sdwa s1, v47, v6 src0_sel:BYTE_1 src1_sel:DWORD
	s_and_saveexec_b32 s21, s1
	s_cbranch_execz .LBB162_154
; %bb.147:                              ;   in Loop: Header=BB162_103 Depth=1
	v_mov_b32_e32 v7, v6
	v_mov_b32_e32 v18, v8
	v_cmp_ne_u16_sdwa s1, v47, v33 src0_sel:BYTE_1 src1_sel:DWORD
	v_mov_b32_e32 v17, v7
	s_and_saveexec_b32 s22, s1
	s_cbranch_execz .LBB162_153
; %bb.148:                              ;   in Loop: Header=BB162_103 Depth=1
	v_and_b32_sdwa v5, v34, v47 dst_sel:DWORD dst_unused:UNUSED_PAD src0_sel:DWORD src1_sel:BYTE_1
	v_mov_b32_e32 v9, v6
	v_mov_b32_e32 v18, v10
	s_mov_b32 s26, exec_lo
	v_and_b32_e32 v19, 0x7f, v5
	v_mov_b32_e32 v17, v9
	v_cmpx_ne_u32_e32 0x7f, v19
	s_cbranch_execz .LBB162_152
; %bb.149:                              ;   in Loop: Header=BB162_103 Depth=1
	v_and_b32_e32 v5, 7, v5
	v_lshrrev_b32_e32 v7, 3, v19
	s_mov_b32 s27, exec_lo
	v_cmpx_gt_u32_e32 8, v19
; %bb.150:                              ;   in Loop: Header=BB162_103 Depth=1
	v_ffbh_u32_e32 v7, v5
	v_min_u32_e32 v7, 32, v7
	v_subrev_nc_u32_e32 v9, 28, v7
	v_sub_nc_u32_e32 v7, 29, v7
	v_lshlrev_b64 v[17:18], v9, v[5:6]
	v_and_b32_e32 v5, 7, v17
; %bb.151:                              ;   in Loop: Header=BB162_103 Depth=1
	s_or_b32 exec_lo, exec_lo, s27
	v_lshlrev_b32_e32 v9, 16, v47
	v_lshlrev_b32_e32 v5, 20, v5
	v_lshl_add_u32 v7, v7, 23, 0x3c000000
	v_mov_b32_e32 v17, v6
	v_and_b32_e32 v9, 0x80000000, v9
	v_or3_b32 v18, v5, v9, v7
.LBB162_152:                            ;   in Loop: Header=BB162_103 Depth=1
	s_or_b32 exec_lo, exec_lo, s26
.LBB162_153:                            ;   in Loop: Header=BB162_103 Depth=1
	s_or_b32 exec_lo, exec_lo, s22
.LBB162_154:                            ;   in Loop: Header=BB162_103 Depth=1
	s_or_b32 exec_lo, exec_lo, s21
	v_mov_b32_e32 v21, 0
	v_mov_b32_e32 v19, 0
	v_and_b32_sdwa v5, v47, v35 dst_sel:DWORD dst_unused:UNUSED_PAD src0_sel:WORD_1 src1_sel:DWORD
	v_mov_b32_e32 v22, 0
	v_mov_b32_e32 v20, 0
	s_mov_b32 s21, exec_lo
	v_cmpx_ne_u16_e32 0, v5
	s_cbranch_execz .LBB162_162
; %bb.155:                              ;   in Loop: Header=BB162_103 Depth=1
	v_bfrev_b32_e32 v19, 1
	v_mov_b32_e32 v20, 0
	s_mov_b32 s22, exec_lo
	v_cmpx_ne_u16_e32 0x80, v5
	s_cbranch_execz .LBB162_161
; %bb.156:                              ;   in Loop: Header=BB162_103 Depth=1
	v_mov_b32_e32 v19, 0x7f800001
	v_bfe_u32 v9, v47, 16, 7
	v_mov_b32_e32 v20, 0
	s_mov_b32 s26, exec_lo
	v_cmpx_ne_u32_e32 0x7f, v9
	s_cbranch_execz .LBB162_160
; %bb.157:                              ;   in Loop: Header=BB162_103 Depth=1
	v_and_b32_sdwa v5, v47, v36 dst_sel:DWORD dst_unused:UNUSED_PAD src0_sel:WORD_1 src1_sel:DWORD
	v_lshrrev_b32_e32 v7, 3, v9
	s_mov_b32 s27, exec_lo
	v_cmpx_gt_u32_e32 8, v9
; %bb.158:                              ;   in Loop: Header=BB162_103 Depth=1
	v_ffbh_u32_e32 v7, v5
	v_min_u32_e32 v7, 32, v7
	v_subrev_nc_u32_e32 v9, 28, v7
	v_sub_nc_u32_e32 v7, 29, v7
	v_lshlrev_b64 v[19:20], v9, v[5:6]
	v_and_b32_e32 v5, 7, v19
; %bb.159:                              ;   in Loop: Header=BB162_103 Depth=1
	s_or_b32 exec_lo, exec_lo, s27
	v_lshlrev_b32_sdwa v9, v37, v47 dst_sel:DWORD dst_unused:UNUSED_PAD src0_sel:DWORD src1_sel:WORD_1
	v_lshlrev_b32_e32 v5, 20, v5
	v_lshl_add_u32 v7, v7, 23, 0x3c000000
	v_and_b32_e32 v9, 0x80000000, v9
	v_or3_b32 v5, v5, v9, v7
	v_mov_b32_e32 v20, v6
	v_mov_b32_e32 v19, v5
.LBB162_160:                            ;   in Loop: Header=BB162_103 Depth=1
	s_or_b32 exec_lo, exec_lo, s26
.LBB162_161:                            ;   in Loop: Header=BB162_103 Depth=1
	s_or_b32 exec_lo, exec_lo, s22
.LBB162_162:                            ;   in Loop: Header=BB162_103 Depth=1
	s_or_b32 exec_lo, exec_lo, s21
	s_mov_b32 s21, exec_lo
	v_cmpx_lt_u32_e32 0xffffff, v47
	s_cbranch_execz .LBB162_170
; %bb.163:                              ;   in Loop: Header=BB162_103 Depth=1
	v_mov_b32_e32 v7, v6
	v_mov_b32_e32 v22, v8
	v_cmp_ne_u32_sdwa s1, v47, v33 src0_sel:BYTE_3 src1_sel:DWORD
	v_mov_b32_e32 v21, v7
	s_and_saveexec_b32 s22, s1
	s_cbranch_execz .LBB162_169
; %bb.164:                              ;   in Loop: Header=BB162_103 Depth=1
	v_mov_b32_e32 v9, v6
	v_mov_b32_e32 v22, v10
	v_bfe_u32 v48, v47, 24, 7
	s_mov_b32 s26, exec_lo
	v_mov_b32_e32 v21, v9
	v_cmpx_ne_u32_e32 0x7f, v48
	s_cbranch_execz .LBB162_168
; %bb.165:                              ;   in Loop: Header=BB162_103 Depth=1
	v_and_b32_sdwa v5, v47, v36 dst_sel:DWORD dst_unused:UNUSED_PAD src0_sel:BYTE_3 src1_sel:DWORD
	v_lshrrev_b32_e32 v7, 3, v48
	s_mov_b32 s27, exec_lo
	v_cmpx_gt_u32_e32 8, v48
; %bb.166:                              ;   in Loop: Header=BB162_103 Depth=1
	v_ffbh_u32_e32 v7, v5
	v_min_u32_e32 v7, 32, v7
	v_subrev_nc_u32_e32 v9, 28, v7
	v_sub_nc_u32_e32 v7, 29, v7
	v_lshlrev_b64 v[21:22], v9, v[5:6]
	v_and_b32_e32 v5, 7, v21
; %bb.167:                              ;   in Loop: Header=BB162_103 Depth=1
	s_or_b32 exec_lo, exec_lo, s27
	v_lshlrev_b32_sdwa v9, v37, v47 dst_sel:DWORD dst_unused:UNUSED_PAD src0_sel:DWORD src1_sel:BYTE_3
	v_lshlrev_b32_e32 v5, 20, v5
	v_lshl_add_u32 v7, v7, 23, 0x3c000000
	v_mov_b32_e32 v21, v6
	v_and_b32_e32 v9, 0x80000000, v9
	v_or3_b32 v22, v5, v9, v7
.LBB162_168:                            ;   in Loop: Header=BB162_103 Depth=1
	s_or_b32 exec_lo, exec_lo, s26
.LBB162_169:                            ;   in Loop: Header=BB162_103 Depth=1
	s_or_b32 exec_lo, exec_lo, s22
.LBB162_170:                            ;   in Loop: Header=BB162_103 Depth=1
	s_or_b32 exec_lo, exec_lo, s21
	v_or_b32_e32 v5, v18, v16
	v_or_b32_e32 v7, v17, v15
	;; [unrolled: 1-line block ×4, first 2 shown]
	s_mov_b32 s1, s18
	v_mul_f32_e32 v9, s1, v5
	v_mul_f32_e32 v15, s18, v7
	;; [unrolled: 1-line block ×4, first 2 shown]
	s_and_saveexec_b32 s1, vcc_lo
	s_cbranch_execz .LBB162_101
; %bb.171:                              ;   in Loop: Header=BB162_103 Depth=1
	v_cmp_gt_i32_e32 vcc_lo, s33, v43
	v_cndmask_b32_e32 v15, 0, v15, vcc_lo
	v_cmp_gt_i32_e32 vcc_lo, s33, v46
	v_cndmask_b32_e32 v9, 0, v9, vcc_lo
	;; [unrolled: 2-line block ×4, first 2 shown]
	s_branch .LBB162_101
.LBB162_172:
	s_or_b32 exec_lo, exec_lo, s12
.LBB162_173:
	s_or_b32 exec_lo, exec_lo, s2
	ds_bpermute_b32 v1, v28, v32
	ds_bpermute_b32 v2, v28, v31
	v_lshrrev_b32_e32 v3, 1, v27
	v_and_b32_e32 v5, 0x3c1, v0
	s_mov_b32 s1, exec_lo
	s_waitcnt lgkmcnt(0)
	s_barrier
	v_lshl_add_u32 v4, v3, 2, 0xa0
	buffer_gl0_inv
	v_add_f32_e32 v1, v32, v1
	v_add_f32_e32 v2, v31, v2
	v_cmpx_eq_u32_e32 64, v5
	s_cbranch_execz .LBB162_175
; %bb.174:
	v_lshl_add_u32 v5, v25, 7, v4
	v_add_nc_u32_e32 v6, 0xffffff00, v5
	v_add_nc_u32_e32 v5, 0xffffff40, v5
	ds_write_b32 v6, v1
	ds_write_b32 v5, v2
.LBB162_175:
	s_or_b32 exec_lo, exec_lo, s1
	v_and_b32_e32 v5, 0x3e0, v0
	v_lshlrev_b32_e32 v3, 2, v3
	s_mov_b32 s2, exec_lo
	v_cmp_eq_u32_e32 vcc_lo, 0, v29
	s_waitcnt lgkmcnt(0)
	v_lshlrev_b32_e32 v5, 2, v5
	s_barrier
	buffer_gl0_inv
	v_add3_u32 v3, 0xa0, v5, v3
	v_cmpx_gt_u32_e32 64, v0
	s_cbranch_execz .LBB162_181
; %bb.176:
	s_and_saveexec_b32 s1, vcc_lo
	s_cbranch_execz .LBB162_178
; %bb.177:
	ds_read_b32 v5, v3
	s_waitcnt lgkmcnt(0)
	v_add_f32_e32 v1, v1, v5
.LBB162_178:
	s_or_b32 exec_lo, exec_lo, s1
	s_and_saveexec_b32 s1, vcc_lo
	s_cbranch_execz .LBB162_180
; %bb.179:
	ds_read_b32 v5, v3 offset:64
	s_waitcnt lgkmcnt(0)
	v_add_f32_e32 v2, v2, v5
.LBB162_180:
	s_or_b32 exec_lo, exec_lo, s1
.LBB162_181:
	s_or_b32 exec_lo, exec_lo, s2
	v_and_b32_e32 v5, 0x3e1, v0
	s_mov_b32 s2, exec_lo
	s_barrier
	buffer_gl0_inv
	v_cmpx_eq_u32_e32 32, v5
; %bb.182:
	ds_write2_b32 v4, v1, v2 offset1:16
; %bb.183:
	s_or_b32 exec_lo, exec_lo, s2
	s_waitcnt lgkmcnt(0)
	s_barrier
	buffer_gl0_inv
	s_and_saveexec_b32 s1, s0
	s_cbranch_execz .LBB162_189
; %bb.184:
	s_and_saveexec_b32 s0, vcc_lo
	s_cbranch_execz .LBB162_186
; %bb.185:
	ds_read_b32 v4, v3
	s_waitcnt lgkmcnt(0)
	v_add_f32_e32 v1, v1, v4
.LBB162_186:
	s_or_b32 exec_lo, exec_lo, s0
	s_and_saveexec_b32 s0, vcc_lo
	s_cbranch_execz .LBB162_188
; %bb.187:
	ds_read_b32 v3, v3 offset:64
	s_waitcnt lgkmcnt(0)
	v_add_f32_e32 v2, v2, v3
.LBB162_188:
	s_or_b32 exec_lo, exec_lo, s0
.LBB162_189:
	s_or_b32 exec_lo, exec_lo, s1
	s_barrier
	buffer_gl0_inv
	s_mov_b32 s0, exec_lo
	v_cmpx_eq_u32_e32 0, v5
	s_cbranch_execz .LBB162_191
; %bb.190:
	s_mul_i32 s0, s10, s11
	s_mul_i32 s2, s11, s24
	;; [unrolled: 1-line block ×3, first 2 shown]
	v_lshlrev_b32_e32 v0, 1, v0
	s_lshl_b32 s0, s0, 5
	s_ashr_i32 s1, s0, 31
	s_lshl_b64 s[0:1], s[0:1], 2
	s_add_u32 s4, s6, s0
	s_addc_u32 s5, s7, s1
	s_ashr_i32 s3, s2, 31
	s_lshl_b64 s[0:1], s[2:3], 2
	s_add_u32 s2, s4, s0
	s_addc_u32 s3, s5, s1
	s_lshl_b32 s0, s8, 5
	s_ashr_i32 s1, s0, 31
	s_lshl_b64 s[0:1], s[0:1], 2
	s_add_u32 s0, s2, s0
	s_addc_u32 s1, s3, s1
	global_store_dword v0, v1, s[0:1]
	global_store_dword v0, v2, s[0:1] offset:64
.LBB162_191:
	s_endpgm
	.section	.rodata,"a",@progbits
	.p2align	6, 0x0
	.amdhsa_kernel _ZN4vllm25paged_attention_v1_kernelIfhLi32ELi8ELi128ELNS_18Fp8KVCacheDataTypeE1ELb1EEEvPT_PKS2_PKT0_S8_ifPKiSA_iPKfiiiSC_SC_iiiii
		.amdhsa_group_segment_fixed_size 160
		.amdhsa_private_segment_fixed_size 0
		.amdhsa_kernarg_size 384
		.amdhsa_user_sgpr_count 6
		.amdhsa_user_sgpr_private_segment_buffer 1
		.amdhsa_user_sgpr_dispatch_ptr 0
		.amdhsa_user_sgpr_queue_ptr 0
		.amdhsa_user_sgpr_kernarg_segment_ptr 1
		.amdhsa_user_sgpr_dispatch_id 0
		.amdhsa_user_sgpr_flat_scratch_init 0
		.amdhsa_user_sgpr_private_segment_size 0
		.amdhsa_wavefront_size32 1
		.amdhsa_uses_dynamic_stack 0
		.amdhsa_system_sgpr_private_segment_wavefront_offset 0
		.amdhsa_system_sgpr_workgroup_id_x 1
		.amdhsa_system_sgpr_workgroup_id_y 1
		.amdhsa_system_sgpr_workgroup_id_z 1
		.amdhsa_system_sgpr_workgroup_info 0
		.amdhsa_system_vgpr_workitem_id 0
		.amdhsa_next_free_vgpr 49
		.amdhsa_next_free_sgpr 46
		.amdhsa_reserve_vcc 1
		.amdhsa_reserve_flat_scratch 0
		.amdhsa_float_round_mode_32 0
		.amdhsa_float_round_mode_16_64 0
		.amdhsa_float_denorm_mode_32 3
		.amdhsa_float_denorm_mode_16_64 3
		.amdhsa_dx10_clamp 1
		.amdhsa_ieee_mode 1
		.amdhsa_fp16_overflow 0
		.amdhsa_workgroup_processor_mode 1
		.amdhsa_memory_ordered 1
		.amdhsa_forward_progress 1
		.amdhsa_shared_vgpr_count 0
		.amdhsa_exception_fp_ieee_invalid_op 0
		.amdhsa_exception_fp_denorm_src 0
		.amdhsa_exception_fp_ieee_div_zero 0
		.amdhsa_exception_fp_ieee_overflow 0
		.amdhsa_exception_fp_ieee_underflow 0
		.amdhsa_exception_fp_ieee_inexact 0
		.amdhsa_exception_int_div_zero 0
	.end_amdhsa_kernel
	.section	.text._ZN4vllm25paged_attention_v1_kernelIfhLi32ELi8ELi128ELNS_18Fp8KVCacheDataTypeE1ELb1EEEvPT_PKS2_PKT0_S8_ifPKiSA_iPKfiiiSC_SC_iiiii,"axG",@progbits,_ZN4vllm25paged_attention_v1_kernelIfhLi32ELi8ELi128ELNS_18Fp8KVCacheDataTypeE1ELb1EEEvPT_PKS2_PKT0_S8_ifPKiSA_iPKfiiiSC_SC_iiiii,comdat
.Lfunc_end162:
	.size	_ZN4vllm25paged_attention_v1_kernelIfhLi32ELi8ELi128ELNS_18Fp8KVCacheDataTypeE1ELb1EEEvPT_PKS2_PKT0_S8_ifPKiSA_iPKfiiiSC_SC_iiiii, .Lfunc_end162-_ZN4vllm25paged_attention_v1_kernelIfhLi32ELi8ELi128ELNS_18Fp8KVCacheDataTypeE1ELb1EEEvPT_PKS2_PKT0_S8_ifPKiSA_iPKfiiiSC_SC_iiiii
                                        ; -- End function
	.set _ZN4vllm25paged_attention_v1_kernelIfhLi32ELi8ELi128ELNS_18Fp8KVCacheDataTypeE1ELb1EEEvPT_PKS2_PKT0_S8_ifPKiSA_iPKfiiiSC_SC_iiiii.num_vgpr, 49
	.set _ZN4vllm25paged_attention_v1_kernelIfhLi32ELi8ELi128ELNS_18Fp8KVCacheDataTypeE1ELb1EEEvPT_PKS2_PKT0_S8_ifPKiSA_iPKfiiiSC_SC_iiiii.num_agpr, 0
	.set _ZN4vllm25paged_attention_v1_kernelIfhLi32ELi8ELi128ELNS_18Fp8KVCacheDataTypeE1ELb1EEEvPT_PKS2_PKT0_S8_ifPKiSA_iPKfiiiSC_SC_iiiii.numbered_sgpr, 46
	.set _ZN4vllm25paged_attention_v1_kernelIfhLi32ELi8ELi128ELNS_18Fp8KVCacheDataTypeE1ELb1EEEvPT_PKS2_PKT0_S8_ifPKiSA_iPKfiiiSC_SC_iiiii.num_named_barrier, 0
	.set _ZN4vllm25paged_attention_v1_kernelIfhLi32ELi8ELi128ELNS_18Fp8KVCacheDataTypeE1ELb1EEEvPT_PKS2_PKT0_S8_ifPKiSA_iPKfiiiSC_SC_iiiii.private_seg_size, 0
	.set _ZN4vllm25paged_attention_v1_kernelIfhLi32ELi8ELi128ELNS_18Fp8KVCacheDataTypeE1ELb1EEEvPT_PKS2_PKT0_S8_ifPKiSA_iPKfiiiSC_SC_iiiii.uses_vcc, 1
	.set _ZN4vllm25paged_attention_v1_kernelIfhLi32ELi8ELi128ELNS_18Fp8KVCacheDataTypeE1ELb1EEEvPT_PKS2_PKT0_S8_ifPKiSA_iPKfiiiSC_SC_iiiii.uses_flat_scratch, 0
	.set _ZN4vllm25paged_attention_v1_kernelIfhLi32ELi8ELi128ELNS_18Fp8KVCacheDataTypeE1ELb1EEEvPT_PKS2_PKT0_S8_ifPKiSA_iPKfiiiSC_SC_iiiii.has_dyn_sized_stack, 0
	.set _ZN4vllm25paged_attention_v1_kernelIfhLi32ELi8ELi128ELNS_18Fp8KVCacheDataTypeE1ELb1EEEvPT_PKS2_PKT0_S8_ifPKiSA_iPKfiiiSC_SC_iiiii.has_recursion, 0
	.set _ZN4vllm25paged_attention_v1_kernelIfhLi32ELi8ELi128ELNS_18Fp8KVCacheDataTypeE1ELb1EEEvPT_PKS2_PKT0_S8_ifPKiSA_iPKfiiiSC_SC_iiiii.has_indirect_call, 0
	.section	.AMDGPU.csdata,"",@progbits
; Kernel info:
; codeLenInByte = 6704
; TotalNumSgprs: 48
; NumVgprs: 49
; ScratchSize: 0
; MemoryBound: 0
; FloatMode: 240
; IeeeMode: 1
; LDSByteSize: 160 bytes/workgroup (compile time only)
; SGPRBlocks: 0
; VGPRBlocks: 6
; NumSGPRsForWavesPerEU: 48
; NumVGPRsForWavesPerEU: 49
; Occupancy: 16
; WaveLimiterHint : 1
; COMPUTE_PGM_RSRC2:SCRATCH_EN: 0
; COMPUTE_PGM_RSRC2:USER_SGPR: 6
; COMPUTE_PGM_RSRC2:TRAP_HANDLER: 0
; COMPUTE_PGM_RSRC2:TGID_X_EN: 1
; COMPUTE_PGM_RSRC2:TGID_Y_EN: 1
; COMPUTE_PGM_RSRC2:TGID_Z_EN: 1
; COMPUTE_PGM_RSRC2:TIDIG_COMP_CNT: 0
	.section	.text._ZN4vllm25paged_attention_v1_kernelIfhLi64ELi8ELi128ELNS_18Fp8KVCacheDataTypeE1ELb1EEEvPT_PKS2_PKT0_S8_ifPKiSA_iPKfiiiSC_SC_iiiii,"axG",@progbits,_ZN4vllm25paged_attention_v1_kernelIfhLi64ELi8ELi128ELNS_18Fp8KVCacheDataTypeE1ELb1EEEvPT_PKS2_PKT0_S8_ifPKiSA_iPKfiiiSC_SC_iiiii,comdat
	.protected	_ZN4vllm25paged_attention_v1_kernelIfhLi64ELi8ELi128ELNS_18Fp8KVCacheDataTypeE1ELb1EEEvPT_PKS2_PKT0_S8_ifPKiSA_iPKfiiiSC_SC_iiiii ; -- Begin function _ZN4vllm25paged_attention_v1_kernelIfhLi64ELi8ELi128ELNS_18Fp8KVCacheDataTypeE1ELb1EEEvPT_PKS2_PKT0_S8_ifPKiSA_iPKfiiiSC_SC_iiiii
	.globl	_ZN4vllm25paged_attention_v1_kernelIfhLi64ELi8ELi128ELNS_18Fp8KVCacheDataTypeE1ELb1EEEvPT_PKS2_PKT0_S8_ifPKiSA_iPKfiiiSC_SC_iiiii
	.p2align	8
	.type	_ZN4vllm25paged_attention_v1_kernelIfhLi64ELi8ELi128ELNS_18Fp8KVCacheDataTypeE1ELb1EEEvPT_PKS2_PKT0_S8_ifPKiSA_iPKfiiiSC_SC_iiiii,@function
_ZN4vllm25paged_attention_v1_kernelIfhLi64ELi8ELi128ELNS_18Fp8KVCacheDataTypeE1ELb1EEEvPT_PKS2_PKT0_S8_ifPKiSA_iPKfiiiSC_SC_iiiii: ; @_ZN4vllm25paged_attention_v1_kernelIfhLi64ELi8ELi128ELNS_18Fp8KVCacheDataTypeE1ELb1EEEvPT_PKS2_PKT0_S8_ifPKiSA_iPKfiiiSC_SC_iiiii
; %bb.0:
	s_clause 0x2
	s_load_dword s9, s[4:5], 0x80
	s_load_dwordx2 s[0:1], s[4:5], 0x30
	s_load_dwordx2 s[34:35], s[4:5], 0x20
	s_mov_b32 s10, s7
	s_ashr_i32 s11, s7, 31
	s_mov_b32 s36, 0
	s_lshl_b64 s[2:3], s[10:11], 2
	s_waitcnt lgkmcnt(0)
	s_add_u32 s0, s0, s2
	s_addc_u32 s1, s1, s3
	s_abs_i32 s2, s34
	s_abs_i32 s11, s9
	v_cvt_f32_u32_e32 v1, s2
	s_sub_i32 s7, 0, s2
	v_rcp_iflag_f32_e32 v1, v1
	v_mul_f32_e32 v1, 0x4f7ffffe, v1
	v_cvt_u32_f32_e32 v1, v1
	v_readfirstlane_b32 s3, v1
	s_mul_i32 s7, s7, s3
	s_mul_hi_u32 s7, s3, s7
	s_add_i32 s3, s3, s7
	s_xor_b32 s7, s9, s34
	s_mul_hi_u32 s3, s11, s3
	s_ashr_i32 s7, s7, 31
	s_mul_i32 s12, s3, s2
	s_sub_i32 s11, s11, s12
	s_add_i32 s12, s3, 1
	s_sub_i32 s13, s11, s2
	s_cmp_ge_u32 s11, s2
	s_cselect_b32 s3, s12, s3
	s_cselect_b32 s11, s13, s11
	s_add_i32 s12, s3, 1
	s_cmp_ge_u32 s11, s2
	s_cselect_b32 s2, s12, s3
	s_xor_b32 s2, s2, s7
	s_sub_i32 s14, s2, s7
	s_load_dwordx2 s[2:3], s[4:5], 0x40
	s_abs_i32 s11, s14
	v_cvt_f32_u32_e32 v1, s11
	s_sub_i32 s12, 0, s11
	v_rcp_iflag_f32_e32 v1, v1
	v_mul_f32_e32 v1, 0x4f7ffffe, v1
	v_cvt_u32_f32_e32 v1, v1
	v_readfirstlane_b32 s7, v1
	s_mul_i32 s12, s12, s7
	s_mul_hi_u32 s13, s7, s12
	s_abs_i32 s12, s6
	s_add_i32 s7, s7, s13
	s_waitcnt lgkmcnt(0)
	s_cmp_eq_u64 s[2:3], 0
	s_mul_hi_u32 s13, s12, s7
	s_cbranch_scc1 .LBB163_2
; %bb.1:
	s_ashr_i32 s7, s6, 31
	s_lshl_b64 s[16:17], s[6:7], 2
	s_add_u32 s2, s2, s16
	s_addc_u32 s3, s3, s17
	s_load_dword s36, s[2:3], 0x0
.LBB163_2:
	s_load_dword s33, s[0:1], 0x0
	s_load_dwordx4 s[16:19], s[4:5], 0x48
	v_and_b32_e32 v1, 3, v0
	v_cmp_gt_u32_e64 s0, 64, v0
	v_lshlrev_b32_e32 v27, 2, v0
	s_ashr_i32 s1, s6, 31
	s_ashr_i32 s2, s14, 31
	s_lshl_b32 s24, s6, 6
	s_and_saveexec_b32 s3, s0
	s_cbranch_execz .LBB163_4
; %bb.3:
	s_load_dwordx2 s[14:15], s[4:5], 0x8
	s_waitcnt lgkmcnt(0)
	s_mul_i32 s20, s16, s10
	v_and_b32_e32 v3, 0x3fc, v0
	s_ashr_i32 s21, s20, 31
	s_lshl_b64 s[20:21], s[20:21], 2
	v_lshl_add_u32 v3, v1, 6, v3
	s_add_u32 s7, s14, s20
	s_addc_u32 s16, s15, s21
	s_ashr_i32 s25, s24, 31
	s_lshl_b64 s[14:15], s[24:25], 2
	s_add_u32 s14, s7, s14
	s_addc_u32 s15, s16, s15
	global_load_dword v2, v27, s[14:15]
	s_waitcnt vmcnt(0)
	ds_write_b32 v3, v2
.LBB163_4:
	s_or_b32 exec_lo, exec_lo, s3
	s_load_dwordx4 s[20:23], s[4:5], 0x68
	s_mul_i32 s3, s13, s11
	s_xor_b32 s2, s1, s2
	s_sub_i32 s1, s12, s3
	s_add_i32 s3, s13, 1
	s_sub_i32 s7, s1, s11
	s_cmp_ge_u32 s1, s11
	s_waitcnt lgkmcnt(0)
	s_cselect_b32 s3, s3, s13
	s_cselect_b32 s1, s7, s1
	s_add_i32 s7, s3, 1
	s_cmp_ge_u32 s1, s11
	s_load_dword s1, s[4:5], 0x78
	s_cselect_b32 s3, s7, s3
	s_add_i32 s7, s33, -1
	s_xor_b32 s3, s3, s2
	s_abs_i32 s11, s7
	s_sub_i32 s2, s3, s2
	s_mov_b32 s13, -1
	s_barrier
	s_abs_i32 s16, s23
	s_waitcnt lgkmcnt(0)
	buffer_gl0_inv
	v_cvt_f32_u32_e32 v2, s16
	s_sub_i32 s3, 0, s16
                                        ; implicit-def: $sgpr25
	v_rcp_iflag_f32_e32 v2, v2
	v_mul_f32_e32 v2, 0x4f7ffffe, v2
	v_cvt_u32_f32_e32 v2, v2
	v_readfirstlane_b32 s19, v2
	s_mul_i32 s3, s3, s19
	s_mul_hi_u32 s3, s19, s3
	s_add_i32 s19, s19, s3
	s_cmp_lt_i32 s1, 0
	s_mul_hi_u32 s3, s11, s19
	s_cbranch_scc0 .LBB163_6
; %bb.5:
	s_mul_i32 s12, s20, s34
	s_mov_b32 s13, 0
	s_add_i32 s12, s2, s12
	s_mul_i32 s12, s12, s1
	s_sub_i32 s25, 1, s12
.LBB163_6:
	s_load_dwordx2 s[26:27], s[4:5], 0x28
	s_ashr_i32 s12, s7, 31
	s_andn2_b32 vcc_lo, exec_lo, s13
	s_ashr_i32 s23, s23, 31
	s_cbranch_vccnz .LBB163_8
; %bb.7:
	s_mul_i32 s7, s9, s20
	s_add_i32 s6, s7, s6
	s_mul_i32 s1, s6, s1
	s_add_i32 s25, s1, 1
.LBB163_8:
	s_clause 0x2
	s_load_dword s1, s[4:5], 0x38
	s_load_dwordx2 s[6:7], s[4:5], 0x0
	s_load_dwordx2 s[30:31], s[4:5], 0x18
	s_xor_b32 s34, s12, s23
	s_mul_i32 s12, s3, s16
	s_add_i32 s20, s3, 1
	s_sub_i32 s37, s11, s12
	s_clause 0x1
	s_load_dword s11, s[4:5], 0x88
	s_load_dwordx4 s[12:15], s[4:5], 0x58
	v_lshrrev_b32_e32 v25, 5, v0
	v_mov_b32_e32 v31, 0xff7fffff
	v_lshrrev_b32_e32 v30, 3, v0
	v_mbcnt_lo_u32_b32 v29, -1, 0
	s_mul_i32 s18, s2, s18
	v_lshlrev_b32_e32 v26, 3, v25
	s_waitcnt lgkmcnt(0)
	s_mul_i32 s28, s1, s10
	s_sub_i32 s1, s37, s16
	s_ashr_i32 s29, s28, 31
	s_cmp_ge_u32 s37, s16
	s_cselect_b32 s3, s20, s3
	s_cselect_b32 s1, s1, s37
	s_add_i32 s20, s3, 1
	s_cmp_ge_u32 s1, s16
	s_cselect_b32 s1, s20, s3
	s_add_i32 s3, s33, 7
	s_ashr_i32 s20, s3, 31
	s_lshr_b32 s20, s20, 29
	s_add_i32 s3, s3, s20
	s_ashr_i32 s20, s3, 3
	s_xor_b32 s3, s1, s34
	v_cmp_gt_i32_e64 s1, s20, v25
	s_sub_i32 s34, s3, s34
	s_and_saveexec_b32 s37, s1
	s_cbranch_execz .LBB163_148
; %bb.9:
	s_load_dwordx2 s[2:3], s[4:5], 0x10
	s_sub_i32 s5, s34, s21
	s_ashr_i32 s4, s18, 31
	v_bfe_u32 v28, v0, 2, 3
	v_and_b32_e32 v3, 0x7c, v30
	v_mov_b32_e32 v18, 0
	v_lshlrev_b32_e32 v32, 6, v1
	v_lshlrev_b32_e32 v33, 3, v25
	;; [unrolled: 1-line block ×3, first 2 shown]
	v_subrev_nc_u32_e32 v5, s33, v28
	v_lshlrev_b32_e32 v6, 4, v28
	v_mov_b32_e32 v34, 0xff7fffff
	v_mov_b32_e32 v35, 0x7f
	v_lshl_or_b32 v4, v25, 5, v4
	v_add_nc_u32_e32 v37, 1, v5
	v_mov_b32_e32 v36, 7
	v_mov_b32_e32 v31, 0xff7fffff
	;; [unrolled: 1-line block ×3, first 2 shown]
	v_add_nc_u32_e32 v38, 0x120, v4
	v_cmp_eq_u32_e32 vcc_lo, 0, v1
	s_waitcnt lgkmcnt(0)
	s_add_u32 s39, s2, s18
	s_addc_u32 s3, s3, s4
	s_abs_i32 s38, s22
	s_lshl_b64 s[40:41], s[28:29], 2
	v_cvt_f32_u32_e32 v2, s38
	s_sub_i32 s4, 0, s38
	v_cmp_neq_f32_e64 s2, s36, 0
	v_rcp_iflag_f32_e32 v2, v2
	v_mul_f32_e32 v2, 0x4f7ffffe, v2
	v_cvt_u32_f32_e32 v2, v2
	v_mul_lo_u32 v4, s4, v2
	v_add_co_u32 v5, s4, s39, v6
	v_add_co_ci_u32_e64 v6, null, s3, 0, s4
	s_add_u32 s3, s26, s40
	s_addc_u32 s4, s27, s41
	v_add_co_u32 v19, s3, s3, v3
	v_mul_hi_u32 v4, v2, v4
	v_add_co_ci_u32_e64 v20, null, s4, 0, s3
	v_add_co_u32 v21, s3, v5, v1
	v_add_co_ci_u32_e64 v22, null, 0, v6, s3
	s_mov_b32 s39, 0
	v_add_nc_u32_e32 v39, v2, v4
	s_mov_b32 s40, s17
	s_branch .LBB163_12
.LBB163_10:                             ;   in Loop: Header=BB163_12 Depth=1
	s_or_b32 exec_lo, exec_lo, s41
.LBB163_11:                             ;   in Loop: Header=BB163_12 Depth=1
	s_or_b32 exec_lo, exec_lo, s4
	v_add_nc_u32_e32 v40, 4, v40
	v_add_co_u32 v19, s4, v19, 16
	v_add_co_ci_u32_e64 v20, null, 0, v20, s4
	v_cmp_le_i32_e64 s3, s20, v40
	v_add_nc_u32_e32 v33, 32, v33
	v_add_nc_u32_e32 v38, 0x80, v38
	s_or_b32 s39, s3, s39
	s_andn2_b32 exec_lo, exec_lo, s39
	s_cbranch_execz .LBB163_147
.LBB163_12:                             ; =>This Inner Loop Header: Depth=1
	v_mul_hi_u32 v1, v33, s19
	s_waitcnt lgkmcnt(0)
	v_mul_lo_u32 v2, v1, s16
	v_add_nc_u32_e32 v3, 1, v1
	v_sub_nc_u32_e32 v2, v33, v2
	v_subrev_nc_u32_e32 v4, s16, v2
	v_cmp_le_u32_e64 s3, s16, v2
	v_cndmask_b32_e64 v1, v1, v3, s3
	v_cndmask_b32_e64 v2, v2, v4, s3
	v_add_nc_u32_e32 v3, 1, v1
	v_cmp_le_u32_e64 s3, s16, v2
	v_cndmask_b32_e64 v1, v1, v3, s3
	v_xor_b32_e32 v1, s23, v1
	v_subrev_nc_u32_e32 v1, s23, v1
	v_add_nc_u32_e32 v2, s25, v1
	v_cmp_ge_i32_e64 s4, s5, v1
	v_sub_nc_u32_e32 v3, 0, v2
	v_max_i32_e32 v3, v2, v3
	v_ashrrev_i32_e32 v2, 31, v2
	v_mul_hi_u32 v4, v3, v39
	v_mul_lo_u32 v4, v4, s38
	v_sub_nc_u32_e32 v3, v3, v4
	v_subrev_nc_u32_e32 v4, s38, v3
	v_cmp_le_u32_e64 s3, s38, v3
	v_cndmask_b32_e64 v3, v3, v4, s3
	v_subrev_nc_u32_e32 v4, s38, v3
	v_cmp_le_u32_e64 s3, s38, v3
	v_cndmask_b32_e64 v3, v3, v4, s3
	v_xor_b32_e32 v3, v3, v2
	v_sub_nc_u32_e32 v2, v3, v2
	v_cmp_ne_u32_e64 s3, 0, v2
	s_and_b32 s3, s3, s4
	s_and_saveexec_b32 s4, s3
	s_xor_b32 s3, exec_lo, s4
	s_cbranch_execz .LBB163_16
; %bb.13:                               ;   in Loop: Header=BB163_12 Depth=1
	s_and_saveexec_b32 s4, vcc_lo
; %bb.14:                               ;   in Loop: Header=BB163_12 Depth=1
	ds_write_b32 v38, v34
; %bb.15:                               ;   in Loop: Header=BB163_12 Depth=1
	s_or_b32 exec_lo, exec_lo, s4
.LBB163_16:                             ;   in Loop: Header=BB163_12 Depth=1
	s_andn2_saveexec_b32 s4, s3
	s_cbranch_execz .LBB163_11
; %bb.17:                               ;   in Loop: Header=BB163_12 Depth=1
	global_load_dword v1, v[19:20], off
	v_mov_b32_e32 v41, 0
	v_mov_b32_e32 v42, 0
	s_mov_b32 s42, exec_lo
	s_waitcnt vmcnt(0)
	v_mad_i64_i32 v[23:24], null, v1, s40, v[21:22]
	global_load_ubyte v43, v[23:24], off
	ds_read_b128 v[13:16], v32
	ds_read_b128 v[9:12], v32 offset:16
	ds_read_b128 v[5:8], v32 offset:32
	ds_read_b128 v[1:4], v32 offset:48
	s_load_dword s41, s[12:13], 0x0
	s_waitcnt vmcnt(0)
	v_cmpx_ne_u16_e32 0, v43
	s_cbranch_execz .LBB163_25
; %bb.18:                               ;   in Loop: Header=BB163_12 Depth=1
	v_bfrev_b32_e32 v42, 1
	s_mov_b32 s43, exec_lo
	v_cmpx_ne_u16_e32 0x80, v43
	s_cbranch_execz .LBB163_24
; %bb.19:                               ;   in Loop: Header=BB163_12 Depth=1
	v_and_b32_sdwa v44, v43, v35 dst_sel:DWORD dst_unused:UNUSED_PAD src0_sel:WORD_0 src1_sel:DWORD
	v_mov_b32_e32 v42, 0x7f800001
	s_mov_b32 s44, exec_lo
	v_cmpx_ne_u32_e32 0x7f, v44
	s_cbranch_execz .LBB163_23
; %bb.20:                               ;   in Loop: Header=BB163_12 Depth=1
	v_and_b32_sdwa v17, v43, v36 dst_sel:DWORD dst_unused:UNUSED_PAD src0_sel:WORD_0 src1_sel:DWORD
	v_lshrrev_b32_e32 v42, 3, v44
	s_mov_b32 s45, exec_lo
	v_cmpx_gt_u32_e32 8, v44
; %bb.21:                               ;   in Loop: Header=BB163_12 Depth=1
	v_ffbh_u32_e32 v42, v17
	v_min_u32_e32 v42, 32, v42
	v_subrev_nc_u32_e32 v44, 28, v42
	v_sub_nc_u32_e32 v42, 29, v42
	v_lshlrev_b64 v[44:45], v44, v[17:18]
	v_and_b32_e32 v17, 7, v44
; %bb.22:                               ;   in Loop: Header=BB163_12 Depth=1
	s_or_b32 exec_lo, exec_lo, s45
	v_lshlrev_b32_e32 v43, 24, v43
	v_lshlrev_b32_e32 v17, 20, v17
	v_lshl_add_u32 v42, v42, 23, 0x3c000000
	v_and_b32_e32 v43, 0x80000000, v43
	v_or3_b32 v42, v17, v43, v42
.LBB163_23:                             ;   in Loop: Header=BB163_12 Depth=1
	s_or_b32 exec_lo, exec_lo, s44
.LBB163_24:                             ;   in Loop: Header=BB163_12 Depth=1
	s_or_b32 exec_lo, exec_lo, s43
.LBB163_25:                             ;   in Loop: Header=BB163_12 Depth=1
	s_or_b32 exec_lo, exec_lo, s42
	global_load_ubyte v43, v[23:24], off offset:4
	s_mov_b32 s42, exec_lo
	s_waitcnt vmcnt(0)
	v_cmpx_ne_u16_e32 0, v43
	s_cbranch_execz .LBB163_33
; %bb.26:                               ;   in Loop: Header=BB163_12 Depth=1
	v_bfrev_b32_e32 v41, 1
	s_mov_b32 s43, exec_lo
	v_cmpx_ne_u16_e32 0x80, v43
	s_cbranch_execz .LBB163_32
; %bb.27:                               ;   in Loop: Header=BB163_12 Depth=1
	v_and_b32_sdwa v44, v43, v35 dst_sel:DWORD dst_unused:UNUSED_PAD src0_sel:WORD_0 src1_sel:DWORD
	v_mov_b32_e32 v41, 0x7f800001
	s_mov_b32 s44, exec_lo
	v_cmpx_ne_u32_e32 0x7f, v44
	s_cbranch_execz .LBB163_31
; %bb.28:                               ;   in Loop: Header=BB163_12 Depth=1
	v_and_b32_sdwa v17, v43, v36 dst_sel:DWORD dst_unused:UNUSED_PAD src0_sel:WORD_0 src1_sel:DWORD
	v_lshrrev_b32_e32 v41, 3, v44
	s_mov_b32 s45, exec_lo
	v_cmpx_gt_u32_e32 8, v44
; %bb.29:                               ;   in Loop: Header=BB163_12 Depth=1
	v_ffbh_u32_e32 v41, v17
	v_min_u32_e32 v41, 32, v41
	v_subrev_nc_u32_e32 v44, 28, v41
	v_sub_nc_u32_e32 v41, 29, v41
	v_lshlrev_b64 v[44:45], v44, v[17:18]
	v_and_b32_e32 v17, 7, v44
; %bb.30:                               ;   in Loop: Header=BB163_12 Depth=1
	s_or_b32 exec_lo, exec_lo, s45
	v_lshlrev_b32_e32 v43, 24, v43
	v_lshlrev_b32_e32 v17, 20, v17
	v_lshl_add_u32 v41, v41, 23, 0x3c000000
	v_and_b32_e32 v43, 0x80000000, v43
	v_or3_b32 v41, v17, v43, v41
.LBB163_31:                             ;   in Loop: Header=BB163_12 Depth=1
	s_or_b32 exec_lo, exec_lo, s44
.LBB163_32:                             ;   in Loop: Header=BB163_12 Depth=1
	s_or_b32 exec_lo, exec_lo, s43
.LBB163_33:                             ;   in Loop: Header=BB163_12 Depth=1
	s_or_b32 exec_lo, exec_lo, s42
	global_load_ubyte v45, v[23:24], off offset:8
	v_mov_b32_e32 v43, 0
	v_mov_b32_e32 v44, 0
	s_mov_b32 s42, exec_lo
	s_waitcnt vmcnt(0)
	v_cmpx_ne_u16_e32 0, v45
	s_cbranch_execz .LBB163_41
; %bb.34:                               ;   in Loop: Header=BB163_12 Depth=1
	v_bfrev_b32_e32 v44, 1
	s_mov_b32 s43, exec_lo
	v_cmpx_ne_u16_e32 0x80, v45
	s_cbranch_execz .LBB163_40
; %bb.35:                               ;   in Loop: Header=BB163_12 Depth=1
	v_and_b32_sdwa v46, v45, v35 dst_sel:DWORD dst_unused:UNUSED_PAD src0_sel:WORD_0 src1_sel:DWORD
	v_mov_b32_e32 v44, 0x7f800001
	s_mov_b32 s44, exec_lo
	v_cmpx_ne_u32_e32 0x7f, v46
	s_cbranch_execz .LBB163_39
; %bb.36:                               ;   in Loop: Header=BB163_12 Depth=1
	v_and_b32_sdwa v17, v45, v36 dst_sel:DWORD dst_unused:UNUSED_PAD src0_sel:WORD_0 src1_sel:DWORD
	v_lshrrev_b32_e32 v44, 3, v46
	s_mov_b32 s45, exec_lo
	v_cmpx_gt_u32_e32 8, v46
; %bb.37:                               ;   in Loop: Header=BB163_12 Depth=1
	v_ffbh_u32_e32 v44, v17
	v_min_u32_e32 v44, 32, v44
	v_subrev_nc_u32_e32 v46, 28, v44
	v_sub_nc_u32_e32 v44, 29, v44
	v_lshlrev_b64 v[46:47], v46, v[17:18]
	v_and_b32_e32 v17, 7, v46
; %bb.38:                               ;   in Loop: Header=BB163_12 Depth=1
	s_or_b32 exec_lo, exec_lo, s45
	v_lshlrev_b32_e32 v45, 24, v45
	v_lshlrev_b32_e32 v17, 20, v17
	v_lshl_add_u32 v44, v44, 23, 0x3c000000
	v_and_b32_e32 v45, 0x80000000, v45
	v_or3_b32 v44, v17, v45, v44
.LBB163_39:                             ;   in Loop: Header=BB163_12 Depth=1
	s_or_b32 exec_lo, exec_lo, s44
.LBB163_40:                             ;   in Loop: Header=BB163_12 Depth=1
	s_or_b32 exec_lo, exec_lo, s43
.LBB163_41:                             ;   in Loop: Header=BB163_12 Depth=1
	s_or_b32 exec_lo, exec_lo, s42
	global_load_ubyte v45, v[23:24], off offset:12
	s_mov_b32 s42, exec_lo
	s_waitcnt vmcnt(0)
	v_cmpx_ne_u16_e32 0, v45
	s_cbranch_execz .LBB163_49
; %bb.42:                               ;   in Loop: Header=BB163_12 Depth=1
	v_bfrev_b32_e32 v43, 1
	s_mov_b32 s43, exec_lo
	v_cmpx_ne_u16_e32 0x80, v45
	s_cbranch_execz .LBB163_48
; %bb.43:                               ;   in Loop: Header=BB163_12 Depth=1
	v_and_b32_sdwa v46, v45, v35 dst_sel:DWORD dst_unused:UNUSED_PAD src0_sel:WORD_0 src1_sel:DWORD
	v_mov_b32_e32 v43, 0x7f800001
	s_mov_b32 s44, exec_lo
	v_cmpx_ne_u32_e32 0x7f, v46
	s_cbranch_execz .LBB163_47
; %bb.44:                               ;   in Loop: Header=BB163_12 Depth=1
	v_and_b32_sdwa v17, v45, v36 dst_sel:DWORD dst_unused:UNUSED_PAD src0_sel:WORD_0 src1_sel:DWORD
	v_lshrrev_b32_e32 v43, 3, v46
	s_mov_b32 s45, exec_lo
	v_cmpx_gt_u32_e32 8, v46
; %bb.45:                               ;   in Loop: Header=BB163_12 Depth=1
	v_ffbh_u32_e32 v43, v17
	v_min_u32_e32 v43, 32, v43
	v_subrev_nc_u32_e32 v46, 28, v43
	v_sub_nc_u32_e32 v43, 29, v43
	v_lshlrev_b64 v[46:47], v46, v[17:18]
	v_and_b32_e32 v17, 7, v46
; %bb.46:                               ;   in Loop: Header=BB163_12 Depth=1
	s_or_b32 exec_lo, exec_lo, s45
	v_lshlrev_b32_e32 v45, 24, v45
	v_lshlrev_b32_e32 v17, 20, v17
	v_lshl_add_u32 v43, v43, 23, 0x3c000000
	v_and_b32_e32 v45, 0x80000000, v45
	v_or3_b32 v43, v17, v45, v43
.LBB163_47:                             ;   in Loop: Header=BB163_12 Depth=1
	s_or_b32 exec_lo, exec_lo, s44
.LBB163_48:                             ;   in Loop: Header=BB163_12 Depth=1
	s_or_b32 exec_lo, exec_lo, s43
.LBB163_49:                             ;   in Loop: Header=BB163_12 Depth=1
	s_or_b32 exec_lo, exec_lo, s42
	global_load_ubyte v47, v[23:24], off offset:128
	v_mov_b32_e32 v45, 0
	v_mov_b32_e32 v46, 0
	s_mov_b32 s42, exec_lo
	s_waitcnt vmcnt(0)
	v_cmpx_ne_u16_e32 0, v47
	s_cbranch_execz .LBB163_57
; %bb.50:                               ;   in Loop: Header=BB163_12 Depth=1
	v_bfrev_b32_e32 v46, 1
	s_mov_b32 s43, exec_lo
	v_cmpx_ne_u16_e32 0x80, v47
	s_cbranch_execz .LBB163_56
; %bb.51:                               ;   in Loop: Header=BB163_12 Depth=1
	v_and_b32_sdwa v48, v47, v35 dst_sel:DWORD dst_unused:UNUSED_PAD src0_sel:WORD_0 src1_sel:DWORD
	v_mov_b32_e32 v46, 0x7f800001
	s_mov_b32 s44, exec_lo
	v_cmpx_ne_u32_e32 0x7f, v48
	s_cbranch_execz .LBB163_55
; %bb.52:                               ;   in Loop: Header=BB163_12 Depth=1
	v_and_b32_sdwa v17, v47, v36 dst_sel:DWORD dst_unused:UNUSED_PAD src0_sel:WORD_0 src1_sel:DWORD
	v_lshrrev_b32_e32 v46, 3, v48
	s_mov_b32 s45, exec_lo
	v_cmpx_gt_u32_e32 8, v48
; %bb.53:                               ;   in Loop: Header=BB163_12 Depth=1
	v_ffbh_u32_e32 v46, v17
	v_min_u32_e32 v46, 32, v46
	v_subrev_nc_u32_e32 v48, 28, v46
	v_sub_nc_u32_e32 v46, 29, v46
	v_lshlrev_b64 v[48:49], v48, v[17:18]
	v_and_b32_e32 v17, 7, v48
; %bb.54:                               ;   in Loop: Header=BB163_12 Depth=1
	s_or_b32 exec_lo, exec_lo, s45
	v_lshlrev_b32_e32 v47, 24, v47
	v_lshlrev_b32_e32 v17, 20, v17
	v_lshl_add_u32 v46, v46, 23, 0x3c000000
	v_and_b32_e32 v47, 0x80000000, v47
	v_or3_b32 v46, v17, v47, v46
.LBB163_55:                             ;   in Loop: Header=BB163_12 Depth=1
	s_or_b32 exec_lo, exec_lo, s44
.LBB163_56:                             ;   in Loop: Header=BB163_12 Depth=1
	s_or_b32 exec_lo, exec_lo, s43
.LBB163_57:                             ;   in Loop: Header=BB163_12 Depth=1
	s_or_b32 exec_lo, exec_lo, s42
	global_load_ubyte v47, v[23:24], off offset:132
	s_mov_b32 s42, exec_lo
	s_waitcnt vmcnt(0)
	v_cmpx_ne_u16_e32 0, v47
	s_cbranch_execz .LBB163_65
; %bb.58:                               ;   in Loop: Header=BB163_12 Depth=1
	v_bfrev_b32_e32 v45, 1
	s_mov_b32 s43, exec_lo
	v_cmpx_ne_u16_e32 0x80, v47
	s_cbranch_execz .LBB163_64
; %bb.59:                               ;   in Loop: Header=BB163_12 Depth=1
	v_and_b32_sdwa v48, v47, v35 dst_sel:DWORD dst_unused:UNUSED_PAD src0_sel:WORD_0 src1_sel:DWORD
	v_mov_b32_e32 v45, 0x7f800001
	s_mov_b32 s44, exec_lo
	v_cmpx_ne_u32_e32 0x7f, v48
	s_cbranch_execz .LBB163_63
; %bb.60:                               ;   in Loop: Header=BB163_12 Depth=1
	v_and_b32_sdwa v17, v47, v36 dst_sel:DWORD dst_unused:UNUSED_PAD src0_sel:WORD_0 src1_sel:DWORD
	v_lshrrev_b32_e32 v45, 3, v48
	s_mov_b32 s45, exec_lo
	v_cmpx_gt_u32_e32 8, v48
; %bb.61:                               ;   in Loop: Header=BB163_12 Depth=1
	v_ffbh_u32_e32 v45, v17
	v_min_u32_e32 v45, 32, v45
	v_subrev_nc_u32_e32 v48, 28, v45
	v_sub_nc_u32_e32 v45, 29, v45
	v_lshlrev_b64 v[48:49], v48, v[17:18]
	v_and_b32_e32 v17, 7, v48
; %bb.62:                               ;   in Loop: Header=BB163_12 Depth=1
	s_or_b32 exec_lo, exec_lo, s45
	v_lshlrev_b32_e32 v47, 24, v47
	v_lshlrev_b32_e32 v17, 20, v17
	v_lshl_add_u32 v45, v45, 23, 0x3c000000
	v_and_b32_e32 v47, 0x80000000, v47
	v_or3_b32 v45, v17, v47, v45
.LBB163_63:                             ;   in Loop: Header=BB163_12 Depth=1
	s_or_b32 exec_lo, exec_lo, s44
.LBB163_64:                             ;   in Loop: Header=BB163_12 Depth=1
	s_or_b32 exec_lo, exec_lo, s43
.LBB163_65:                             ;   in Loop: Header=BB163_12 Depth=1
	s_or_b32 exec_lo, exec_lo, s42
	global_load_ubyte v49, v[23:24], off offset:136
	v_mov_b32_e32 v47, 0
	v_mov_b32_e32 v48, 0
	s_mov_b32 s42, exec_lo
	s_waitcnt vmcnt(0)
	v_cmpx_ne_u16_e32 0, v49
	s_cbranch_execz .LBB163_73
; %bb.66:                               ;   in Loop: Header=BB163_12 Depth=1
	v_bfrev_b32_e32 v48, 1
	s_mov_b32 s43, exec_lo
	v_cmpx_ne_u16_e32 0x80, v49
	s_cbranch_execz .LBB163_72
; %bb.67:                               ;   in Loop: Header=BB163_12 Depth=1
	v_and_b32_sdwa v50, v49, v35 dst_sel:DWORD dst_unused:UNUSED_PAD src0_sel:WORD_0 src1_sel:DWORD
	v_mov_b32_e32 v48, 0x7f800001
	s_mov_b32 s44, exec_lo
	v_cmpx_ne_u32_e32 0x7f, v50
	s_cbranch_execz .LBB163_71
; %bb.68:                               ;   in Loop: Header=BB163_12 Depth=1
	v_and_b32_sdwa v17, v49, v36 dst_sel:DWORD dst_unused:UNUSED_PAD src0_sel:WORD_0 src1_sel:DWORD
	v_lshrrev_b32_e32 v48, 3, v50
	s_mov_b32 s45, exec_lo
	v_cmpx_gt_u32_e32 8, v50
; %bb.69:                               ;   in Loop: Header=BB163_12 Depth=1
	v_ffbh_u32_e32 v48, v17
	v_min_u32_e32 v48, 32, v48
	v_subrev_nc_u32_e32 v50, 28, v48
	v_sub_nc_u32_e32 v48, 29, v48
	v_lshlrev_b64 v[50:51], v50, v[17:18]
	v_and_b32_e32 v17, 7, v50
; %bb.70:                               ;   in Loop: Header=BB163_12 Depth=1
	s_or_b32 exec_lo, exec_lo, s45
	v_lshlrev_b32_e32 v49, 24, v49
	v_lshlrev_b32_e32 v17, 20, v17
	v_lshl_add_u32 v48, v48, 23, 0x3c000000
	v_and_b32_e32 v49, 0x80000000, v49
	v_or3_b32 v48, v17, v49, v48
.LBB163_71:                             ;   in Loop: Header=BB163_12 Depth=1
	s_or_b32 exec_lo, exec_lo, s44
.LBB163_72:                             ;   in Loop: Header=BB163_12 Depth=1
	s_or_b32 exec_lo, exec_lo, s43
.LBB163_73:                             ;   in Loop: Header=BB163_12 Depth=1
	s_or_b32 exec_lo, exec_lo, s42
	global_load_ubyte v49, v[23:24], off offset:140
	s_mov_b32 s42, exec_lo
	s_waitcnt vmcnt(0)
	v_cmpx_ne_u16_e32 0, v49
	s_cbranch_execz .LBB163_81
; %bb.74:                               ;   in Loop: Header=BB163_12 Depth=1
	v_bfrev_b32_e32 v47, 1
	s_mov_b32 s43, exec_lo
	v_cmpx_ne_u16_e32 0x80, v49
	s_cbranch_execz .LBB163_80
; %bb.75:                               ;   in Loop: Header=BB163_12 Depth=1
	v_and_b32_sdwa v50, v49, v35 dst_sel:DWORD dst_unused:UNUSED_PAD src0_sel:WORD_0 src1_sel:DWORD
	v_mov_b32_e32 v47, 0x7f800001
	s_mov_b32 s44, exec_lo
	v_cmpx_ne_u32_e32 0x7f, v50
	s_cbranch_execz .LBB163_79
; %bb.76:                               ;   in Loop: Header=BB163_12 Depth=1
	v_and_b32_sdwa v17, v49, v36 dst_sel:DWORD dst_unused:UNUSED_PAD src0_sel:WORD_0 src1_sel:DWORD
	v_lshrrev_b32_e32 v47, 3, v50
	s_mov_b32 s45, exec_lo
	v_cmpx_gt_u32_e32 8, v50
; %bb.77:                               ;   in Loop: Header=BB163_12 Depth=1
	v_ffbh_u32_e32 v47, v17
	v_min_u32_e32 v47, 32, v47
	v_subrev_nc_u32_e32 v50, 28, v47
	v_sub_nc_u32_e32 v47, 29, v47
	v_lshlrev_b64 v[50:51], v50, v[17:18]
	v_and_b32_e32 v17, 7, v50
; %bb.78:                               ;   in Loop: Header=BB163_12 Depth=1
	s_or_b32 exec_lo, exec_lo, s45
	v_lshlrev_b32_e32 v49, 24, v49
	v_lshlrev_b32_e32 v17, 20, v17
	v_lshl_add_u32 v47, v47, 23, 0x3c000000
	v_and_b32_e32 v49, 0x80000000, v49
	v_or3_b32 v47, v17, v49, v47
.LBB163_79:                             ;   in Loop: Header=BB163_12 Depth=1
	s_or_b32 exec_lo, exec_lo, s44
.LBB163_80:                             ;   in Loop: Header=BB163_12 Depth=1
	s_or_b32 exec_lo, exec_lo, s43
.LBB163_81:                             ;   in Loop: Header=BB163_12 Depth=1
	s_or_b32 exec_lo, exec_lo, s42
	global_load_ubyte v51, v[23:24], off offset:256
	v_mov_b32_e32 v49, 0
	v_mov_b32_e32 v50, 0
	s_mov_b32 s42, exec_lo
	s_waitcnt vmcnt(0)
	v_cmpx_ne_u16_e32 0, v51
	s_cbranch_execz .LBB163_89
; %bb.82:                               ;   in Loop: Header=BB163_12 Depth=1
	v_bfrev_b32_e32 v50, 1
	s_mov_b32 s43, exec_lo
	v_cmpx_ne_u16_e32 0x80, v51
	s_cbranch_execz .LBB163_88
; %bb.83:                               ;   in Loop: Header=BB163_12 Depth=1
	v_and_b32_sdwa v52, v51, v35 dst_sel:DWORD dst_unused:UNUSED_PAD src0_sel:WORD_0 src1_sel:DWORD
	v_mov_b32_e32 v50, 0x7f800001
	s_mov_b32 s44, exec_lo
	v_cmpx_ne_u32_e32 0x7f, v52
	s_cbranch_execz .LBB163_87
; %bb.84:                               ;   in Loop: Header=BB163_12 Depth=1
	v_and_b32_sdwa v17, v51, v36 dst_sel:DWORD dst_unused:UNUSED_PAD src0_sel:WORD_0 src1_sel:DWORD
	v_lshrrev_b32_e32 v50, 3, v52
	s_mov_b32 s45, exec_lo
	v_cmpx_gt_u32_e32 8, v52
; %bb.85:                               ;   in Loop: Header=BB163_12 Depth=1
	v_ffbh_u32_e32 v50, v17
	v_min_u32_e32 v50, 32, v50
	v_subrev_nc_u32_e32 v52, 28, v50
	v_sub_nc_u32_e32 v50, 29, v50
	v_lshlrev_b64 v[52:53], v52, v[17:18]
	v_and_b32_e32 v17, 7, v52
; %bb.86:                               ;   in Loop: Header=BB163_12 Depth=1
	s_or_b32 exec_lo, exec_lo, s45
	v_lshlrev_b32_e32 v51, 24, v51
	v_lshlrev_b32_e32 v17, 20, v17
	v_lshl_add_u32 v50, v50, 23, 0x3c000000
	v_and_b32_e32 v51, 0x80000000, v51
	v_or3_b32 v50, v17, v51, v50
.LBB163_87:                             ;   in Loop: Header=BB163_12 Depth=1
	s_or_b32 exec_lo, exec_lo, s44
.LBB163_88:                             ;   in Loop: Header=BB163_12 Depth=1
	s_or_b32 exec_lo, exec_lo, s43
.LBB163_89:                             ;   in Loop: Header=BB163_12 Depth=1
	s_or_b32 exec_lo, exec_lo, s42
	global_load_ubyte v51, v[23:24], off offset:260
	s_mov_b32 s42, exec_lo
	s_waitcnt vmcnt(0)
	v_cmpx_ne_u16_e32 0, v51
	s_cbranch_execz .LBB163_97
; %bb.90:                               ;   in Loop: Header=BB163_12 Depth=1
	v_bfrev_b32_e32 v49, 1
	s_mov_b32 s43, exec_lo
	v_cmpx_ne_u16_e32 0x80, v51
	s_cbranch_execz .LBB163_96
; %bb.91:                               ;   in Loop: Header=BB163_12 Depth=1
	v_and_b32_sdwa v52, v51, v35 dst_sel:DWORD dst_unused:UNUSED_PAD src0_sel:WORD_0 src1_sel:DWORD
	v_mov_b32_e32 v49, 0x7f800001
	s_mov_b32 s44, exec_lo
	v_cmpx_ne_u32_e32 0x7f, v52
	s_cbranch_execz .LBB163_95
; %bb.92:                               ;   in Loop: Header=BB163_12 Depth=1
	v_and_b32_sdwa v17, v51, v36 dst_sel:DWORD dst_unused:UNUSED_PAD src0_sel:WORD_0 src1_sel:DWORD
	v_lshrrev_b32_e32 v49, 3, v52
	s_mov_b32 s45, exec_lo
	v_cmpx_gt_u32_e32 8, v52
; %bb.93:                               ;   in Loop: Header=BB163_12 Depth=1
	v_ffbh_u32_e32 v49, v17
	v_min_u32_e32 v49, 32, v49
	v_subrev_nc_u32_e32 v52, 28, v49
	v_sub_nc_u32_e32 v49, 29, v49
	v_lshlrev_b64 v[52:53], v52, v[17:18]
	v_and_b32_e32 v17, 7, v52
; %bb.94:                               ;   in Loop: Header=BB163_12 Depth=1
	s_or_b32 exec_lo, exec_lo, s45
	v_lshlrev_b32_e32 v51, 24, v51
	v_lshlrev_b32_e32 v17, 20, v17
	v_lshl_add_u32 v49, v49, 23, 0x3c000000
	v_and_b32_e32 v51, 0x80000000, v51
	v_or3_b32 v49, v17, v51, v49
.LBB163_95:                             ;   in Loop: Header=BB163_12 Depth=1
	s_or_b32 exec_lo, exec_lo, s44
.LBB163_96:                             ;   in Loop: Header=BB163_12 Depth=1
	s_or_b32 exec_lo, exec_lo, s43
.LBB163_97:                             ;   in Loop: Header=BB163_12 Depth=1
	s_or_b32 exec_lo, exec_lo, s42
	global_load_ubyte v53, v[23:24], off offset:264
	v_mov_b32_e32 v51, 0
	v_mov_b32_e32 v52, 0
	s_mov_b32 s42, exec_lo
	s_waitcnt vmcnt(0)
	v_cmpx_ne_u16_e32 0, v53
	s_cbranch_execz .LBB163_105
; %bb.98:                               ;   in Loop: Header=BB163_12 Depth=1
	v_bfrev_b32_e32 v52, 1
	s_mov_b32 s43, exec_lo
	v_cmpx_ne_u16_e32 0x80, v53
	s_cbranch_execz .LBB163_104
; %bb.99:                               ;   in Loop: Header=BB163_12 Depth=1
	v_and_b32_sdwa v54, v53, v35 dst_sel:DWORD dst_unused:UNUSED_PAD src0_sel:WORD_0 src1_sel:DWORD
	v_mov_b32_e32 v52, 0x7f800001
	s_mov_b32 s44, exec_lo
	v_cmpx_ne_u32_e32 0x7f, v54
	s_cbranch_execz .LBB163_103
; %bb.100:                              ;   in Loop: Header=BB163_12 Depth=1
	v_and_b32_sdwa v17, v53, v36 dst_sel:DWORD dst_unused:UNUSED_PAD src0_sel:WORD_0 src1_sel:DWORD
	v_lshrrev_b32_e32 v52, 3, v54
	s_mov_b32 s45, exec_lo
	v_cmpx_gt_u32_e32 8, v54
; %bb.101:                              ;   in Loop: Header=BB163_12 Depth=1
	v_ffbh_u32_e32 v52, v17
	v_min_u32_e32 v52, 32, v52
	v_subrev_nc_u32_e32 v54, 28, v52
	v_sub_nc_u32_e32 v52, 29, v52
	v_lshlrev_b64 v[54:55], v54, v[17:18]
	v_and_b32_e32 v17, 7, v54
; %bb.102:                              ;   in Loop: Header=BB163_12 Depth=1
	s_or_b32 exec_lo, exec_lo, s45
	v_lshlrev_b32_e32 v53, 24, v53
	v_lshlrev_b32_e32 v17, 20, v17
	v_lshl_add_u32 v52, v52, 23, 0x3c000000
	v_and_b32_e32 v53, 0x80000000, v53
	v_or3_b32 v52, v17, v53, v52
.LBB163_103:                            ;   in Loop: Header=BB163_12 Depth=1
	s_or_b32 exec_lo, exec_lo, s44
.LBB163_104:                            ;   in Loop: Header=BB163_12 Depth=1
	s_or_b32 exec_lo, exec_lo, s43
.LBB163_105:                            ;   in Loop: Header=BB163_12 Depth=1
	s_or_b32 exec_lo, exec_lo, s42
	global_load_ubyte v53, v[23:24], off offset:268
	s_mov_b32 s42, exec_lo
	s_waitcnt vmcnt(0)
	v_cmpx_ne_u16_e32 0, v53
	s_cbranch_execz .LBB163_113
; %bb.106:                              ;   in Loop: Header=BB163_12 Depth=1
	v_bfrev_b32_e32 v51, 1
	s_mov_b32 s43, exec_lo
	v_cmpx_ne_u16_e32 0x80, v53
	s_cbranch_execz .LBB163_112
; %bb.107:                              ;   in Loop: Header=BB163_12 Depth=1
	v_and_b32_sdwa v54, v53, v35 dst_sel:DWORD dst_unused:UNUSED_PAD src0_sel:WORD_0 src1_sel:DWORD
	v_mov_b32_e32 v51, 0x7f800001
	s_mov_b32 s44, exec_lo
	v_cmpx_ne_u32_e32 0x7f, v54
	s_cbranch_execz .LBB163_111
; %bb.108:                              ;   in Loop: Header=BB163_12 Depth=1
	v_and_b32_sdwa v17, v53, v36 dst_sel:DWORD dst_unused:UNUSED_PAD src0_sel:WORD_0 src1_sel:DWORD
	v_lshrrev_b32_e32 v51, 3, v54
	s_mov_b32 s45, exec_lo
	v_cmpx_gt_u32_e32 8, v54
; %bb.109:                              ;   in Loop: Header=BB163_12 Depth=1
	v_ffbh_u32_e32 v51, v17
	v_min_u32_e32 v51, 32, v51
	v_subrev_nc_u32_e32 v54, 28, v51
	v_sub_nc_u32_e32 v51, 29, v51
	v_lshlrev_b64 v[54:55], v54, v[17:18]
	v_and_b32_e32 v17, 7, v54
; %bb.110:                              ;   in Loop: Header=BB163_12 Depth=1
	s_or_b32 exec_lo, exec_lo, s45
	v_lshlrev_b32_e32 v53, 24, v53
	v_lshlrev_b32_e32 v17, 20, v17
	v_lshl_add_u32 v51, v51, 23, 0x3c000000
	v_and_b32_e32 v53, 0x80000000, v53
	v_or3_b32 v51, v17, v53, v51
.LBB163_111:                            ;   in Loop: Header=BB163_12 Depth=1
	s_or_b32 exec_lo, exec_lo, s44
.LBB163_112:                            ;   in Loop: Header=BB163_12 Depth=1
	s_or_b32 exec_lo, exec_lo, s43
.LBB163_113:                            ;   in Loop: Header=BB163_12 Depth=1
	s_or_b32 exec_lo, exec_lo, s42
	global_load_ubyte v55, v[23:24], off offset:384
	v_mov_b32_e32 v53, 0
	v_mov_b32_e32 v54, 0
	s_mov_b32 s42, exec_lo
	s_waitcnt vmcnt(0)
	v_cmpx_ne_u16_e32 0, v55
	s_cbranch_execz .LBB163_121
; %bb.114:                              ;   in Loop: Header=BB163_12 Depth=1
	v_bfrev_b32_e32 v54, 1
	s_mov_b32 s43, exec_lo
	v_cmpx_ne_u16_e32 0x80, v55
	s_cbranch_execz .LBB163_120
; %bb.115:                              ;   in Loop: Header=BB163_12 Depth=1
	v_and_b32_sdwa v56, v55, v35 dst_sel:DWORD dst_unused:UNUSED_PAD src0_sel:WORD_0 src1_sel:DWORD
	v_mov_b32_e32 v54, 0x7f800001
	s_mov_b32 s44, exec_lo
	v_cmpx_ne_u32_e32 0x7f, v56
	s_cbranch_execz .LBB163_119
; %bb.116:                              ;   in Loop: Header=BB163_12 Depth=1
	v_and_b32_sdwa v17, v55, v36 dst_sel:DWORD dst_unused:UNUSED_PAD src0_sel:WORD_0 src1_sel:DWORD
	v_lshrrev_b32_e32 v54, 3, v56
	s_mov_b32 s45, exec_lo
	v_cmpx_gt_u32_e32 8, v56
; %bb.117:                              ;   in Loop: Header=BB163_12 Depth=1
	v_ffbh_u32_e32 v54, v17
	v_min_u32_e32 v54, 32, v54
	v_subrev_nc_u32_e32 v56, 28, v54
	v_sub_nc_u32_e32 v54, 29, v54
	v_lshlrev_b64 v[56:57], v56, v[17:18]
	v_and_b32_e32 v17, 7, v56
; %bb.118:                              ;   in Loop: Header=BB163_12 Depth=1
	s_or_b32 exec_lo, exec_lo, s45
	v_lshlrev_b32_e32 v55, 24, v55
	v_lshlrev_b32_e32 v17, 20, v17
	v_lshl_add_u32 v54, v54, 23, 0x3c000000
	v_and_b32_e32 v55, 0x80000000, v55
	v_or3_b32 v54, v17, v55, v54
.LBB163_119:                            ;   in Loop: Header=BB163_12 Depth=1
	s_or_b32 exec_lo, exec_lo, s44
.LBB163_120:                            ;   in Loop: Header=BB163_12 Depth=1
	s_or_b32 exec_lo, exec_lo, s43
.LBB163_121:                            ;   in Loop: Header=BB163_12 Depth=1
	s_or_b32 exec_lo, exec_lo, s42
	global_load_ubyte v55, v[23:24], off offset:388
	s_mov_b32 s42, exec_lo
	s_waitcnt vmcnt(0)
	v_cmpx_ne_u16_e32 0, v55
	s_cbranch_execz .LBB163_129
; %bb.122:                              ;   in Loop: Header=BB163_12 Depth=1
	v_bfrev_b32_e32 v53, 1
	s_mov_b32 s43, exec_lo
	v_cmpx_ne_u16_e32 0x80, v55
	s_cbranch_execz .LBB163_128
; %bb.123:                              ;   in Loop: Header=BB163_12 Depth=1
	v_and_b32_sdwa v56, v55, v35 dst_sel:DWORD dst_unused:UNUSED_PAD src0_sel:WORD_0 src1_sel:DWORD
	v_mov_b32_e32 v53, 0x7f800001
	s_mov_b32 s44, exec_lo
	v_cmpx_ne_u32_e32 0x7f, v56
	s_cbranch_execz .LBB163_127
; %bb.124:                              ;   in Loop: Header=BB163_12 Depth=1
	v_and_b32_sdwa v17, v55, v36 dst_sel:DWORD dst_unused:UNUSED_PAD src0_sel:WORD_0 src1_sel:DWORD
	v_lshrrev_b32_e32 v53, 3, v56
	s_mov_b32 s45, exec_lo
	v_cmpx_gt_u32_e32 8, v56
; %bb.125:                              ;   in Loop: Header=BB163_12 Depth=1
	v_ffbh_u32_e32 v53, v17
	v_min_u32_e32 v53, 32, v53
	v_subrev_nc_u32_e32 v56, 28, v53
	v_sub_nc_u32_e32 v53, 29, v53
	v_lshlrev_b64 v[56:57], v56, v[17:18]
	v_and_b32_e32 v17, 7, v56
; %bb.126:                              ;   in Loop: Header=BB163_12 Depth=1
	s_or_b32 exec_lo, exec_lo, s45
	v_lshlrev_b32_e32 v55, 24, v55
	v_lshlrev_b32_e32 v17, 20, v17
	v_lshl_add_u32 v53, v53, 23, 0x3c000000
	v_and_b32_e32 v55, 0x80000000, v55
	v_or3_b32 v53, v17, v55, v53
.LBB163_127:                            ;   in Loop: Header=BB163_12 Depth=1
	s_or_b32 exec_lo, exec_lo, s44
.LBB163_128:                            ;   in Loop: Header=BB163_12 Depth=1
	s_or_b32 exec_lo, exec_lo, s43
.LBB163_129:                            ;   in Loop: Header=BB163_12 Depth=1
	s_or_b32 exec_lo, exec_lo, s42
	global_load_ubyte v57, v[23:24], off offset:392
	v_mov_b32_e32 v55, 0
	v_mov_b32_e32 v56, 0
	s_mov_b32 s42, exec_lo
	s_waitcnt vmcnt(0)
	v_cmpx_ne_u16_e32 0, v57
	s_cbranch_execz .LBB163_137
; %bb.130:                              ;   in Loop: Header=BB163_12 Depth=1
	v_bfrev_b32_e32 v56, 1
	s_mov_b32 s43, exec_lo
	v_cmpx_ne_u16_e32 0x80, v57
	s_cbranch_execz .LBB163_136
; %bb.131:                              ;   in Loop: Header=BB163_12 Depth=1
	v_and_b32_sdwa v58, v57, v35 dst_sel:DWORD dst_unused:UNUSED_PAD src0_sel:WORD_0 src1_sel:DWORD
	v_mov_b32_e32 v56, 0x7f800001
	s_mov_b32 s44, exec_lo
	v_cmpx_ne_u32_e32 0x7f, v58
	s_cbranch_execz .LBB163_135
; %bb.132:                              ;   in Loop: Header=BB163_12 Depth=1
	v_and_b32_sdwa v17, v57, v36 dst_sel:DWORD dst_unused:UNUSED_PAD src0_sel:WORD_0 src1_sel:DWORD
	v_lshrrev_b32_e32 v56, 3, v58
	s_mov_b32 s45, exec_lo
	v_cmpx_gt_u32_e32 8, v58
; %bb.133:                              ;   in Loop: Header=BB163_12 Depth=1
	v_ffbh_u32_e32 v56, v17
	v_min_u32_e32 v56, 32, v56
	v_subrev_nc_u32_e32 v58, 28, v56
	v_sub_nc_u32_e32 v56, 29, v56
	v_lshlrev_b64 v[58:59], v58, v[17:18]
	v_and_b32_e32 v17, 7, v58
; %bb.134:                              ;   in Loop: Header=BB163_12 Depth=1
	s_or_b32 exec_lo, exec_lo, s45
	v_lshlrev_b32_e32 v57, 24, v57
	v_lshlrev_b32_e32 v17, 20, v17
	v_lshl_add_u32 v56, v56, 23, 0x3c000000
	v_and_b32_e32 v57, 0x80000000, v57
	v_or3_b32 v56, v17, v57, v56
.LBB163_135:                            ;   in Loop: Header=BB163_12 Depth=1
	s_or_b32 exec_lo, exec_lo, s44
.LBB163_136:                            ;   in Loop: Header=BB163_12 Depth=1
	s_or_b32 exec_lo, exec_lo, s43
.LBB163_137:                            ;   in Loop: Header=BB163_12 Depth=1
	s_or_b32 exec_lo, exec_lo, s42
	global_load_ubyte v23, v[23:24], off offset:396
	s_mov_b32 s42, exec_lo
	s_waitcnt vmcnt(0)
	v_cmpx_ne_u16_e32 0, v23
	s_cbranch_execz .LBB163_145
; %bb.138:                              ;   in Loop: Header=BB163_12 Depth=1
	v_bfrev_b32_e32 v55, 1
	s_mov_b32 s43, exec_lo
	v_cmpx_ne_u16_e32 0x80, v23
	s_cbranch_execz .LBB163_144
; %bb.139:                              ;   in Loop: Header=BB163_12 Depth=1
	v_and_b32_sdwa v57, v23, v35 dst_sel:DWORD dst_unused:UNUSED_PAD src0_sel:WORD_0 src1_sel:DWORD
	v_mov_b32_e32 v55, 0x7f800001
	s_mov_b32 s44, exec_lo
	v_cmpx_ne_u32_e32 0x7f, v57
	s_cbranch_execz .LBB163_143
; %bb.140:                              ;   in Loop: Header=BB163_12 Depth=1
	v_and_b32_sdwa v17, v23, v36 dst_sel:DWORD dst_unused:UNUSED_PAD src0_sel:WORD_0 src1_sel:DWORD
	v_lshrrev_b32_e32 v24, 3, v57
	s_mov_b32 s45, exec_lo
	v_cmpx_gt_u32_e32 8, v57
; %bb.141:                              ;   in Loop: Header=BB163_12 Depth=1
	v_ffbh_u32_e32 v24, v17
	v_min_u32_e32 v24, 32, v24
	v_subrev_nc_u32_e32 v55, 28, v24
	v_sub_nc_u32_e32 v24, 29, v24
	v_lshlrev_b64 v[57:58], v55, v[17:18]
	v_and_b32_e32 v17, 7, v57
; %bb.142:                              ;   in Loop: Header=BB163_12 Depth=1
	s_or_b32 exec_lo, exec_lo, s45
	v_lshlrev_b32_e32 v23, 24, v23
	v_lshlrev_b32_e32 v17, 20, v17
	v_lshl_add_u32 v24, v24, 23, 0x3c000000
	v_and_b32_e32 v23, 0x80000000, v23
	v_or3_b32 v55, v17, v23, v24
.LBB163_143:                            ;   in Loop: Header=BB163_12 Depth=1
	s_or_b32 exec_lo, exec_lo, s44
.LBB163_144:                            ;   in Loop: Header=BB163_12 Depth=1
	s_or_b32 exec_lo, exec_lo, s43
.LBB163_145:                            ;   in Loop: Header=BB163_12 Depth=1
	s_or_b32 exec_lo, exec_lo, s42
	s_waitcnt lgkmcnt(0)
	v_mul_f32_e32 v17, s41, v41
	v_mul_f32_e32 v23, s41, v42
	;; [unrolled: 1-line block ×4, first 2 shown]
	v_fmac_f32_e32 v14, v13, v23
	v_mul_f32_e32 v13, s41, v43
	v_fmac_f32_e32 v14, v15, v17
	v_mul_f32_e32 v15, s41, v46
	;; [unrolled: 2-line block ×11, first 2 shown]
	v_fmac_f32_e32 v14, v1, v5
	v_xor_b32_e32 v1, 2, v29
	v_mul_f32_e32 v5, s41, v56
	v_fmac_f32_e32 v14, v2, v6
	v_cmp_gt_i32_e64 s3, 32, v1
	v_mul_f32_e32 v2, s41, v55
	v_fmac_f32_e32 v14, v3, v5
	v_cndmask_b32_e64 v1, v29, v1, s3
	v_fmac_f32_e32 v14, v4, v2
	v_lshlrev_b32_e32 v1, 2, v1
	v_xor_b32_e32 v2, 1, v29
	ds_bpermute_b32 v1, v1, v14
	v_cmp_gt_i32_e64 s3, 32, v2
	v_cndmask_b32_e64 v2, v29, v2, s3
	v_lshlrev_b32_e32 v2, 2, v2
	s_waitcnt lgkmcnt(0)
	v_add_f32_e32 v1, v14, v1
	ds_bpermute_b32 v2, v2, v1
	s_and_saveexec_b32 s41, vcc_lo
	s_cbranch_execz .LBB163_10
; %bb.146:                              ;   in Loop: Header=BB163_12 Depth=1
	v_add_nc_u32_e32 v3, v37, v33
	s_waitcnt lgkmcnt(0)
	v_add_f32_e32 v1, v1, v2
	v_cvt_f32_i32_e32 v3, v3
	v_mul_f32_e32 v3, s36, v3
	v_cndmask_b32_e64 v2, 0, v3, s2
	v_max_f32_e32 v3, v31, v31
	v_fmac_f32_e32 v2, s35, v1
	v_add_nc_u32_e32 v1, v28, v33
	v_max_f32_e32 v3, v3, v2
	v_cmp_gt_i32_e64 s3, s33, v1
	v_cndmask_b32_e64 v1, 0, v2, s3
	v_cndmask_b32_e64 v31, v31, v3, s3
	ds_write_b32 v38, v1
	s_branch .LBB163_10
.LBB163_147:
	s_or_b32 exec_lo, exec_lo, s39
.LBB163_148:
	s_or_b32 exec_lo, exec_lo, s37
	v_xor_b32_e32 v1, 16, v29
	v_xor_b32_e32 v3, 8, v29
	v_max_f32_e32 v4, v31, v31
	v_xor_b32_e32 v5, 4, v29
	v_and_b32_e32 v28, 31, v0
	v_cmp_gt_i32_e32 vcc_lo, 32, v1
	v_cndmask_b32_e32 v1, v29, v1, vcc_lo
	v_cmp_gt_i32_e32 vcc_lo, 32, v3
	s_waitcnt lgkmcnt(0)
	v_lshlrev_b32_e32 v2, 2, v1
	v_cndmask_b32_e32 v3, v29, v3, vcc_lo
	v_cmp_gt_i32_e32 vcc_lo, 32, v5
	ds_bpermute_b32 v1, v2, v31
	v_lshlrev_b32_e32 v3, 2, v3
	v_cndmask_b32_e32 v5, v29, v5, vcc_lo
	v_cmp_eq_u32_e32 vcc_lo, 0, v28
	v_lshlrev_b32_e32 v6, 2, v5
	s_waitcnt lgkmcnt(0)
	v_max_f32_e32 v1, v1, v1
	v_max_f32_e32 v1, v4, v1
	ds_bpermute_b32 v4, v3, v1
	s_waitcnt lgkmcnt(0)
	v_max_f32_e32 v4, v4, v4
	v_max_f32_e32 v1, v1, v4
	v_lshlrev_b32_e32 v4, 2, v25
	ds_bpermute_b32 v5, v6, v1
	s_and_saveexec_b32 s2, vcc_lo
	s_cbranch_execz .LBB163_150
; %bb.149:
	s_waitcnt lgkmcnt(0)
	v_max_f32_e32 v5, v5, v5
	v_max_f32_e32 v1, v1, v1
	;; [unrolled: 1-line block ×3, first 2 shown]
	ds_write_b32 v4, v1 offset:256
.LBB163_150:
	s_or_b32 exec_lo, exec_lo, s2
	v_cmp_gt_u32_e64 s2, 4, v28
	v_mov_b32_e32 v1, 0xff7fffff
	s_waitcnt lgkmcnt(0)
	v_lshlrev_b32_e32 v5, 2, v28
	s_barrier
	buffer_gl0_inv
	s_and_saveexec_b32 s3, s2
; %bb.151:
	ds_read_b32 v1, v5 offset:256
; %bb.152:
	s_or_b32 exec_lo, exec_lo, s3
	v_xor_b32_e32 v7, 2, v29
	v_xor_b32_e32 v9, 1, v29
	v_cmp_gt_i32_e64 s3, 32, v7
	v_cndmask_b32_e64 v7, v29, v7, s3
	v_cmp_gt_i32_e64 s3, 32, v9
	v_lshlrev_b32_e32 v7, 2, v7
	v_cndmask_b32_e64 v9, v29, v9, s3
	s_lshl_b32 s3, s20, 3
	s_min_i32 s5, s3, s33
	s_waitcnt lgkmcnt(0)
	ds_bpermute_b32 v8, v7, v1
	v_max_f32_e32 v1, v1, v1
	v_lshlrev_b32_e32 v29, 2, v9
	v_cmp_gt_i32_e64 s3, s5, v0
	s_waitcnt lgkmcnt(0)
	v_max_f32_e32 v8, v8, v8
	v_max_f32_e32 v1, v1, v8
	ds_bpermute_b32 v8, v29, v1
	s_waitcnt lgkmcnt(0)
	v_max_f32_e32 v8, v8, v8
	v_max_f32_e32 v1, v1, v8
	v_mov_b32_e32 v8, 0
	ds_bpermute_b32 v9, v8, v1
	v_lshl_add_u32 v1, v0, 2, 0x120
	s_and_saveexec_b32 s12, s3
	s_cbranch_execz .LBB163_156
; %bb.153:
	v_lshl_add_u32 v10, v0, 2, 0x120
	v_mov_b32_e32 v8, 0
	v_mov_b32_e32 v11, v0
	s_mov_b32 s13, 0
	.p2align	6
.LBB163_154:                            ; =>This Inner Loop Header: Depth=1
	ds_read_b32 v12, v10
	v_add_nc_u32_e32 v11, 0x80, v11
	v_cmp_le_i32_e64 s4, s5, v11
	s_or_b32 s13, s4, s13
	s_waitcnt lgkmcnt(0)
	v_sub_f32_e32 v12, v12, v9
	v_mul_f32_e32 v12, 0x3fb8aa3b, v12
	v_exp_f32_e32 v12, v12
	ds_write_b32 v10, v12
	v_add_f32_e32 v8, v8, v12
	v_add_nc_u32_e32 v10, 0x200, v10
	s_andn2_b32 exec_lo, exec_lo, s13
	s_cbranch_execnz .LBB163_154
; %bb.155:
	s_or_b32 exec_lo, exec_lo, s13
.LBB163_156:
	s_or_b32 exec_lo, exec_lo, s12
	ds_bpermute_b32 v2, v2, v8
	s_waitcnt lgkmcnt(0)
	v_add_f32_e32 v2, v8, v2
	ds_bpermute_b32 v3, v3, v2
	s_waitcnt lgkmcnt(0)
	v_add_f32_e32 v2, v2, v3
	;; [unrolled: 3-line block ×5, first 2 shown]
	s_and_saveexec_b32 s4, vcc_lo
; %bb.157:
	ds_write_b32 v4, v2 offset:272
; %bb.158:
	s_or_b32 exec_lo, exec_lo, s4
	s_waitcnt lgkmcnt(0)
	s_barrier
	buffer_gl0_inv
	s_and_saveexec_b32 s4, s2
; %bb.159:
	ds_read_b32 v2, v5 offset:272
; %bb.160:
	s_or_b32 exec_lo, exec_lo, s4
	s_waitcnt lgkmcnt(0)
	ds_bpermute_b32 v3, v7, v2
	s_waitcnt lgkmcnt(0)
	v_add_f32_e32 v2, v2, v3
	ds_bpermute_b32 v3, v29, v2
	s_waitcnt lgkmcnt(0)
	v_add_f32_e32 v2, v2, v3
	v_mov_b32_e32 v3, 0
	ds_bpermute_b32 v2, v3, v2
	s_and_saveexec_b32 s2, s3
	s_cbranch_execz .LBB163_163
; %bb.161:
	s_waitcnt lgkmcnt(0)
	v_add_f32_e32 v2, 0x358637bd, v2
	s_mov_b32 s3, 0
	v_div_scale_f32 v3, null, v2, v2, 1.0
	v_div_scale_f32 v6, vcc_lo, 1.0, v2, 1.0
	v_rcp_f32_e32 v4, v3
	v_fma_f32 v5, -v3, v4, 1.0
	v_fmac_f32_e32 v4, v5, v4
	v_mul_f32_e32 v5, v6, v4
	v_fma_f32 v7, -v3, v5, v6
	v_fmac_f32_e32 v5, v7, v4
	v_fma_f32 v3, -v3, v5, v6
	v_div_fmas_f32 v3, v3, v4, v5
	v_div_fixup_f32 v2, v3, v2, 1.0
	v_mov_b32_e32 v3, v0
.LBB163_162:                            ; =>This Inner Loop Header: Depth=1
	ds_read_b32 v4, v1
	v_add_nc_u32_e32 v3, 0x80, v3
	v_cmp_le_i32_e32 vcc_lo, s5, v3
	s_or_b32 s3, vcc_lo, s3
	s_waitcnt lgkmcnt(0)
	v_mul_f32_e32 v4, v2, v4
	ds_write_b32 v1, v4
	v_add_nc_u32_e32 v1, 0x200, v1
	s_andn2_b32 exec_lo, exec_lo, s3
	s_cbranch_execnz .LBB163_162
.LBB163_163:
	s_or_b32 exec_lo, exec_lo, s2
	v_mov_b32_e32 v35, 0
	v_and_b32_e32 v31, 1, v0
	v_mov_b32_e32 v34, 0
	v_mov_b32_e32 v33, 0
	;; [unrolled: 1-line block ×3, first 2 shown]
	s_waitcnt lgkmcnt(0)
	s_barrier
	buffer_gl0_inv
	s_and_saveexec_b32 s2, s1
	s_cbranch_execz .LBB163_305
; %bb.164:
	s_sub_i32 s3, s34, s21
	s_ashr_i32 s1, s18, 31
	s_add_u32 s18, s30, s18
	s_addc_u32 s1, s31, s1
	s_abs_i32 s4, s22
	v_and_b32_e32 v2, 0x7c, v27
	v_cvt_f32_u32_e32 v1, s4
	s_sub_i32 s5, 0, s4
	v_lshlrev_b32_e32 v4, 4, v31
	v_and_b32_e32 v3, 0x7c, v30
	v_add_co_u32 v11, s18, s18, v2
	v_rcp_iflag_f32_e32 v1, v1
	s_lshl_b64 s[12:13], s[28:29], 2
	v_lshl_or_b32 v4, v25, 5, v4
	v_add_co_ci_u32_e64 v12, null, s1, 0, s18
	v_and_b32_e32 v36, 4, v27
	v_mov_b32_e32 v6, 0
	v_mov_b32_e32 v27, 0x80
	v_bfrev_b32_e32 v8, 1
	v_mov_b32_e32 v30, 0xffff
	v_mul_f32_e32 v1, 0x4f7ffffe, v1
	v_mov_b32_e32 v10, 0x7f800001
	v_mov_b32_e32 v37, 0xff
	;; [unrolled: 1-line block ×4, first 2 shown]
	v_cvt_u32_f32_e32 v1, v1
	v_mov_b32_e32 v32, 0
	v_mov_b32_e32 v33, 0
	;; [unrolled: 1-line block ×4, first 2 shown]
	v_mul_lo_u32 v5, s5, v1
	s_add_i32 s5, s20, -1
	s_add_u32 s1, s26, s12
	s_addc_u32 s12, s27, s13
	v_add_co_u32 v13, s1, s1, v3
	v_add_co_ci_u32_e64 v14, null, s12, 0, s1
	v_mul_hi_u32 v2, v1, v5
	v_add_nc_u32_e32 v40, 0x120, v4
	v_mov_b32_e32 v42, v25
	s_mov_b32 s13, s17
	s_mov_b32 s12, 0
	v_add_nc_u32_e32 v41, v1, v2
	s_branch .LBB163_167
.LBB163_165:                            ;   in Loop: Header=BB163_167 Depth=1
	s_or_b32 exec_lo, exec_lo, s1
	v_mul_f32_e32 v16, v1, v56
	v_mul_f32_e32 v17, v1, v54
	;; [unrolled: 1-line block ×4, first 2 shown]
	v_fmac_f32_e32 v16, v2, v55
	v_fmac_f32_e32 v17, v2, v53
	;; [unrolled: 1-line block ×12, first 2 shown]
	v_add_f32_e32 v33, v33, v16
	v_add_f32_e32 v34, v34, v17
	v_add_f32_e32 v35, v35, v18
	v_add_f32_e32 v32, v32, v1
.LBB163_166:                            ;   in Loop: Header=BB163_167 Depth=1
	s_or_b32 exec_lo, exec_lo, s17
	v_add_nc_u32_e32 v42, 4, v42
	v_add_co_u32 v13, s1, v13, 16
	v_add_co_ci_u32_e64 v14, null, 0, v14, s1
	v_cmp_le_i32_e32 vcc_lo, s20, v42
	v_add_nc_u32_e32 v26, 32, v26
	v_add_nc_u32_e32 v40, 0x80, v40
	s_or_b32 s12, vcc_lo, s12
	s_andn2_b32 exec_lo, exec_lo, s12
	s_cbranch_execz .LBB163_304
.LBB163_167:                            ; =>This Inner Loop Header: Depth=1
	v_mul_hi_u32 v1, v26, s19
	v_mul_lo_u32 v2, v1, s16
	v_add_nc_u32_e32 v3, 1, v1
	v_sub_nc_u32_e32 v2, v26, v2
	v_subrev_nc_u32_e32 v4, s16, v2
	v_cmp_le_u32_e32 vcc_lo, s16, v2
	v_cndmask_b32_e32 v1, v1, v3, vcc_lo
	v_cndmask_b32_e32 v2, v2, v4, vcc_lo
	v_add_nc_u32_e32 v3, 1, v1
	v_cmp_le_u32_e32 vcc_lo, s16, v2
	v_cndmask_b32_e32 v1, v1, v3, vcc_lo
	v_xor_b32_e32 v1, s23, v1
	v_subrev_nc_u32_e32 v1, s23, v1
	v_add_nc_u32_e32 v2, s25, v1
	v_cmp_lt_i32_e64 s1, s3, v1
	v_sub_nc_u32_e32 v3, 0, v2
	v_max_i32_e32 v3, v2, v3
	v_ashrrev_i32_e32 v2, 31, v2
	v_mul_hi_u32 v4, v3, v41
	v_mul_lo_u32 v4, v4, s4
	v_sub_nc_u32_e32 v3, v3, v4
	v_subrev_nc_u32_e32 v4, s4, v3
	v_cmp_le_u32_e32 vcc_lo, s4, v3
	v_cndmask_b32_e32 v3, v3, v4, vcc_lo
	v_subrev_nc_u32_e32 v4, s4, v3
	v_cmp_le_u32_e32 vcc_lo, s4, v3
	v_cndmask_b32_e32 v3, v3, v4, vcc_lo
	v_xor_b32_e32 v3, v3, v2
	v_sub_nc_u32_e32 v2, v3, v2
	v_cmp_eq_u32_e32 vcc_lo, 0, v2
	s_or_b32 s1, vcc_lo, s1
	s_and_saveexec_b32 s17, s1
	s_cbranch_execz .LBB163_166
; %bb.168:                              ;   in Loop: Header=BB163_167 Depth=1
	global_load_dword v1, v[13:14], off
	s_load_dword s18, s[14:15], 0x0
	v_mov_b32_e32 v19, 0
	v_mov_b32_e32 v17, 0
	;; [unrolled: 1-line block ×4, first 2 shown]
	s_waitcnt vmcnt(0)
	v_mad_i64_i32 v[15:16], null, v1, s13, v[11:12]
	ds_read_b128 v[1:4], v40
	global_load_dword v43, v[15:16], off
	s_waitcnt vmcnt(0)
	v_cmp_ne_u16_sdwa s21, v43, v6 src0_sel:BYTE_0 src1_sel:DWORD
	s_and_saveexec_b32 s1, s21
	s_cbranch_execz .LBB163_176
; %bb.169:                              ;   in Loop: Header=BB163_167 Depth=1
	v_bfrev_b32_e32 v17, 1
	v_mov_b32_e32 v18, 0
	v_cmp_ne_u16_sdwa s22, v43, v27 src0_sel:BYTE_0 src1_sel:DWORD
	s_and_saveexec_b32 s21, s22
	s_cbranch_execz .LBB163_175
; %bb.170:                              ;   in Loop: Header=BB163_167 Depth=1
	v_mov_b32_e32 v17, 0x7f800001
	v_and_b32_e32 v9, 0x7f, v43
	v_mov_b32_e32 v18, 0
	s_mov_b32 s22, exec_lo
	v_cmpx_ne_u32_e32 0x7f, v9
	s_cbranch_execz .LBB163_174
; %bb.171:                              ;   in Loop: Header=BB163_167 Depth=1
	v_and_b32_e32 v5, 7, v43
	v_lshrrev_b32_e32 v7, 3, v9
	s_mov_b32 s26, exec_lo
	v_cmpx_gt_u32_e32 8, v9
; %bb.172:                              ;   in Loop: Header=BB163_167 Depth=1
	v_ffbh_u32_e32 v7, v5
	v_min_u32_e32 v7, 32, v7
	v_subrev_nc_u32_e32 v9, 28, v7
	v_sub_nc_u32_e32 v7, 29, v7
	v_lshlrev_b64 v[17:18], v9, v[5:6]
	v_and_b32_e32 v5, 7, v17
; %bb.173:                              ;   in Loop: Header=BB163_167 Depth=1
	s_or_b32 exec_lo, exec_lo, s26
	v_lshlrev_b32_e32 v9, 24, v43
	v_lshlrev_b32_e32 v5, 20, v5
	v_lshl_add_u32 v7, v7, 23, 0x3c000000
	v_and_b32_e32 v9, 0x80000000, v9
	v_or3_b32 v5, v5, v9, v7
	v_mov_b32_e32 v18, v6
	v_mov_b32_e32 v17, v5
.LBB163_174:                            ;   in Loop: Header=BB163_167 Depth=1
	s_or_b32 exec_lo, exec_lo, s22
.LBB163_175:                            ;   in Loop: Header=BB163_167 Depth=1
	s_or_b32 exec_lo, exec_lo, s21
.LBB163_176:                            ;   in Loop: Header=BB163_167 Depth=1
	s_or_b32 exec_lo, exec_lo, s1
	v_cmp_ne_u16_sdwa s21, v43, v6 src0_sel:BYTE_1 src1_sel:DWORD
	s_and_saveexec_b32 s1, s21
	s_cbranch_execz .LBB163_184
; %bb.177:                              ;   in Loop: Header=BB163_167 Depth=1
	v_mov_b32_e32 v7, v6
	v_mov_b32_e32 v20, v8
	v_cmp_ne_u16_sdwa s22, v43, v27 src0_sel:BYTE_1 src1_sel:DWORD
	v_mov_b32_e32 v19, v7
	s_and_saveexec_b32 s21, s22
	s_cbranch_execz .LBB163_183
; %bb.178:                              ;   in Loop: Header=BB163_167 Depth=1
	v_and_b32_sdwa v5, v30, v43 dst_sel:DWORD dst_unused:UNUSED_PAD src0_sel:DWORD src1_sel:BYTE_1
	v_mov_b32_e32 v9, v6
	v_mov_b32_e32 v20, v10
	s_mov_b32 s22, exec_lo
	v_and_b32_e32 v21, 0x7f, v5
	v_mov_b32_e32 v19, v9
	v_cmpx_ne_u32_e32 0x7f, v21
	s_cbranch_execz .LBB163_182
; %bb.179:                              ;   in Loop: Header=BB163_167 Depth=1
	v_and_b32_e32 v5, 7, v5
	v_lshrrev_b32_e32 v7, 3, v21
	s_mov_b32 s26, exec_lo
	v_cmpx_gt_u32_e32 8, v21
; %bb.180:                              ;   in Loop: Header=BB163_167 Depth=1
	v_ffbh_u32_e32 v7, v5
	v_min_u32_e32 v7, 32, v7
	v_subrev_nc_u32_e32 v9, 28, v7
	v_sub_nc_u32_e32 v7, 29, v7
	v_lshlrev_b64 v[19:20], v9, v[5:6]
	v_and_b32_e32 v5, 7, v19
; %bb.181:                              ;   in Loop: Header=BB163_167 Depth=1
	s_or_b32 exec_lo, exec_lo, s26
	v_lshlrev_b32_e32 v9, 16, v43
	v_lshlrev_b32_e32 v5, 20, v5
	v_lshl_add_u32 v7, v7, 23, 0x3c000000
	v_mov_b32_e32 v19, v6
	v_and_b32_e32 v9, 0x80000000, v9
	v_or3_b32 v20, v5, v9, v7
.LBB163_182:                            ;   in Loop: Header=BB163_167 Depth=1
	s_or_b32 exec_lo, exec_lo, s22
.LBB163_183:                            ;   in Loop: Header=BB163_167 Depth=1
	s_or_b32 exec_lo, exec_lo, s21
.LBB163_184:                            ;   in Loop: Header=BB163_167 Depth=1
	s_or_b32 exec_lo, exec_lo, s1
	v_mov_b32_e32 v23, 0
	v_mov_b32_e32 v21, 0
	v_and_b32_sdwa v5, v43, v37 dst_sel:DWORD dst_unused:UNUSED_PAD src0_sel:WORD_1 src1_sel:DWORD
	v_mov_b32_e32 v24, 0
	v_mov_b32_e32 v22, 0
	s_mov_b32 s1, exec_lo
	v_cmpx_ne_u16_e32 0, v5
	s_cbranch_execz .LBB163_192
; %bb.185:                              ;   in Loop: Header=BB163_167 Depth=1
	v_bfrev_b32_e32 v21, 1
	v_mov_b32_e32 v22, 0
	s_mov_b32 s21, exec_lo
	v_cmpx_ne_u16_e32 0x80, v5
	s_cbranch_execz .LBB163_191
; %bb.186:                              ;   in Loop: Header=BB163_167 Depth=1
	v_mov_b32_e32 v21, 0x7f800001
	v_bfe_u32 v9, v43, 16, 7
	v_mov_b32_e32 v22, 0
	s_mov_b32 s22, exec_lo
	v_cmpx_ne_u32_e32 0x7f, v9
	s_cbranch_execz .LBB163_190
; %bb.187:                              ;   in Loop: Header=BB163_167 Depth=1
	v_and_b32_sdwa v5, v43, v38 dst_sel:DWORD dst_unused:UNUSED_PAD src0_sel:WORD_1 src1_sel:DWORD
	v_lshrrev_b32_e32 v7, 3, v9
	s_mov_b32 s26, exec_lo
	v_cmpx_gt_u32_e32 8, v9
; %bb.188:                              ;   in Loop: Header=BB163_167 Depth=1
	v_ffbh_u32_e32 v7, v5
	v_min_u32_e32 v7, 32, v7
	v_subrev_nc_u32_e32 v9, 28, v7
	v_sub_nc_u32_e32 v7, 29, v7
	v_lshlrev_b64 v[21:22], v9, v[5:6]
	v_and_b32_e32 v5, 7, v21
; %bb.189:                              ;   in Loop: Header=BB163_167 Depth=1
	s_or_b32 exec_lo, exec_lo, s26
	v_lshlrev_b32_sdwa v9, v39, v43 dst_sel:DWORD dst_unused:UNUSED_PAD src0_sel:DWORD src1_sel:WORD_1
	v_lshlrev_b32_e32 v5, 20, v5
	v_lshl_add_u32 v7, v7, 23, 0x3c000000
	v_and_b32_e32 v9, 0x80000000, v9
	v_or3_b32 v5, v5, v9, v7
	v_mov_b32_e32 v22, v6
	v_mov_b32_e32 v21, v5
.LBB163_190:                            ;   in Loop: Header=BB163_167 Depth=1
	s_or_b32 exec_lo, exec_lo, s22
.LBB163_191:                            ;   in Loop: Header=BB163_167 Depth=1
	s_or_b32 exec_lo, exec_lo, s21
.LBB163_192:                            ;   in Loop: Header=BB163_167 Depth=1
	s_or_b32 exec_lo, exec_lo, s1
	s_mov_b32 s1, exec_lo
	v_cmpx_lt_u32_e32 0xffffff, v43
	s_cbranch_execz .LBB163_200
; %bb.193:                              ;   in Loop: Header=BB163_167 Depth=1
	v_mov_b32_e32 v7, v6
	v_mov_b32_e32 v24, v8
	v_cmp_ne_u32_sdwa s22, v43, v27 src0_sel:BYTE_3 src1_sel:DWORD
	v_mov_b32_e32 v23, v7
	s_and_saveexec_b32 s21, s22
	s_cbranch_execz .LBB163_199
; %bb.194:                              ;   in Loop: Header=BB163_167 Depth=1
	v_mov_b32_e32 v9, v6
	v_mov_b32_e32 v24, v10
	v_bfe_u32 v44, v43, 24, 7
	s_mov_b32 s22, exec_lo
	v_mov_b32_e32 v23, v9
	v_cmpx_ne_u32_e32 0x7f, v44
	s_cbranch_execz .LBB163_198
; %bb.195:                              ;   in Loop: Header=BB163_167 Depth=1
	v_and_b32_sdwa v5, v43, v38 dst_sel:DWORD dst_unused:UNUSED_PAD src0_sel:BYTE_3 src1_sel:DWORD
	v_lshrrev_b32_e32 v7, 3, v44
	s_mov_b32 s26, exec_lo
	v_cmpx_gt_u32_e32 8, v44
; %bb.196:                              ;   in Loop: Header=BB163_167 Depth=1
	v_ffbh_u32_e32 v7, v5
	v_min_u32_e32 v7, 32, v7
	v_subrev_nc_u32_e32 v9, 28, v7
	v_sub_nc_u32_e32 v7, 29, v7
	v_lshlrev_b64 v[23:24], v9, v[5:6]
	v_and_b32_e32 v5, 7, v23
; %bb.197:                              ;   in Loop: Header=BB163_167 Depth=1
	s_or_b32 exec_lo, exec_lo, s26
	v_lshlrev_b32_sdwa v9, v39, v43 dst_sel:DWORD dst_unused:UNUSED_PAD src0_sel:DWORD src1_sel:BYTE_3
	v_lshlrev_b32_e32 v5, 20, v5
	v_lshl_add_u32 v7, v7, 23, 0x3c000000
	v_mov_b32_e32 v23, v6
	v_and_b32_e32 v9, 0x80000000, v9
	v_or3_b32 v24, v5, v9, v7
.LBB163_198:                            ;   in Loop: Header=BB163_167 Depth=1
	s_or_b32 exec_lo, exec_lo, s22
.LBB163_199:                            ;   in Loop: Header=BB163_167 Depth=1
	s_or_b32 exec_lo, exec_lo, s21
.LBB163_200:                            ;   in Loop: Header=BB163_167 Depth=1
	s_or_b32 exec_lo, exec_lo, s1
	v_add_nc_u32_e32 v47, v36, v26
	v_or_b32_e32 v5, v20, v18
	v_or_b32_e32 v7, v19, v17
	;; [unrolled: 1-line block ×4, first 2 shown]
	v_cmp_eq_u32_e32 vcc_lo, s5, v42
	s_waitcnt lgkmcnt(0)
	v_mul_f32_e32 v45, s18, v5
	v_mul_f32_e32 v46, s18, v7
	;; [unrolled: 1-line block ×4, first 2 shown]
	v_add_nc_u32_e32 v50, 1, v47
	v_add_nc_u32_e32 v49, 2, v47
	;; [unrolled: 1-line block ×3, first 2 shown]
	s_and_saveexec_b32 s21, vcc_lo
	s_cbranch_execz .LBB163_202
; %bb.201:                              ;   in Loop: Header=BB163_167 Depth=1
	v_cmp_gt_i32_e64 s1, s33, v47
	v_cndmask_b32_e64 v46, 0, v46, s1
	v_cmp_gt_i32_e64 s1, s33, v50
	v_cndmask_b32_e64 v45, 0, v45, s1
	;; [unrolled: 2-line block ×4, first 2 shown]
.LBB163_202:                            ;   in Loop: Header=BB163_167 Depth=1
	s_or_b32 exec_lo, exec_lo, s21
	global_load_dword v51, v[15:16], off offset:128
	v_mov_b32_e32 v19, 0
	v_mov_b32_e32 v17, 0
	v_mov_b32_e32 v20, 0
	v_mov_b32_e32 v18, 0
	s_waitcnt vmcnt(0)
	v_cmp_ne_u16_sdwa s1, v51, v6 src0_sel:BYTE_0 src1_sel:DWORD
	s_and_saveexec_b32 s21, s1
	s_cbranch_execz .LBB163_210
; %bb.203:                              ;   in Loop: Header=BB163_167 Depth=1
	v_bfrev_b32_e32 v17, 1
	v_mov_b32_e32 v18, 0
	v_cmp_ne_u16_sdwa s1, v51, v27 src0_sel:BYTE_0 src1_sel:DWORD
	s_and_saveexec_b32 s22, s1
	s_cbranch_execz .LBB163_209
; %bb.204:                              ;   in Loop: Header=BB163_167 Depth=1
	v_mov_b32_e32 v17, 0x7f800001
	v_and_b32_e32 v9, 0x7f, v51
	v_mov_b32_e32 v18, 0
	s_mov_b32 s26, exec_lo
	v_cmpx_ne_u32_e32 0x7f, v9
	s_cbranch_execz .LBB163_208
; %bb.205:                              ;   in Loop: Header=BB163_167 Depth=1
	v_and_b32_e32 v5, 7, v51
	v_lshrrev_b32_e32 v7, 3, v9
	s_mov_b32 s27, exec_lo
	v_cmpx_gt_u32_e32 8, v9
; %bb.206:                              ;   in Loop: Header=BB163_167 Depth=1
	v_ffbh_u32_e32 v7, v5
	v_min_u32_e32 v7, 32, v7
	v_subrev_nc_u32_e32 v9, 28, v7
	v_sub_nc_u32_e32 v7, 29, v7
	v_lshlrev_b64 v[17:18], v9, v[5:6]
	v_and_b32_e32 v5, 7, v17
; %bb.207:                              ;   in Loop: Header=BB163_167 Depth=1
	s_or_b32 exec_lo, exec_lo, s27
	v_lshlrev_b32_e32 v9, 24, v51
	v_lshlrev_b32_e32 v5, 20, v5
	v_lshl_add_u32 v7, v7, 23, 0x3c000000
	v_and_b32_e32 v9, 0x80000000, v9
	v_or3_b32 v5, v5, v9, v7
	v_mov_b32_e32 v18, v6
	v_mov_b32_e32 v17, v5
.LBB163_208:                            ;   in Loop: Header=BB163_167 Depth=1
	s_or_b32 exec_lo, exec_lo, s26
.LBB163_209:                            ;   in Loop: Header=BB163_167 Depth=1
	s_or_b32 exec_lo, exec_lo, s22
.LBB163_210:                            ;   in Loop: Header=BB163_167 Depth=1
	s_or_b32 exec_lo, exec_lo, s21
	v_cmp_ne_u16_sdwa s1, v51, v6 src0_sel:BYTE_1 src1_sel:DWORD
	s_and_saveexec_b32 s21, s1
	s_cbranch_execz .LBB163_218
; %bb.211:                              ;   in Loop: Header=BB163_167 Depth=1
	v_mov_b32_e32 v7, v6
	v_mov_b32_e32 v20, v8
	v_cmp_ne_u16_sdwa s1, v51, v27 src0_sel:BYTE_1 src1_sel:DWORD
	v_mov_b32_e32 v19, v7
	s_and_saveexec_b32 s22, s1
	s_cbranch_execz .LBB163_217
; %bb.212:                              ;   in Loop: Header=BB163_167 Depth=1
	v_and_b32_sdwa v5, v30, v51 dst_sel:DWORD dst_unused:UNUSED_PAD src0_sel:DWORD src1_sel:BYTE_1
	v_mov_b32_e32 v9, v6
	v_mov_b32_e32 v20, v10
	s_mov_b32 s26, exec_lo
	v_and_b32_e32 v21, 0x7f, v5
	v_mov_b32_e32 v19, v9
	v_cmpx_ne_u32_e32 0x7f, v21
	s_cbranch_execz .LBB163_216
; %bb.213:                              ;   in Loop: Header=BB163_167 Depth=1
	v_and_b32_e32 v5, 7, v5
	v_lshrrev_b32_e32 v7, 3, v21
	s_mov_b32 s27, exec_lo
	v_cmpx_gt_u32_e32 8, v21
; %bb.214:                              ;   in Loop: Header=BB163_167 Depth=1
	v_ffbh_u32_e32 v7, v5
	v_min_u32_e32 v7, 32, v7
	v_subrev_nc_u32_e32 v9, 28, v7
	v_sub_nc_u32_e32 v7, 29, v7
	v_lshlrev_b64 v[19:20], v9, v[5:6]
	v_and_b32_e32 v5, 7, v19
; %bb.215:                              ;   in Loop: Header=BB163_167 Depth=1
	s_or_b32 exec_lo, exec_lo, s27
	v_lshlrev_b32_e32 v9, 16, v51
	v_lshlrev_b32_e32 v5, 20, v5
	v_lshl_add_u32 v7, v7, 23, 0x3c000000
	v_mov_b32_e32 v19, v6
	v_and_b32_e32 v9, 0x80000000, v9
	v_or3_b32 v20, v5, v9, v7
.LBB163_216:                            ;   in Loop: Header=BB163_167 Depth=1
	s_or_b32 exec_lo, exec_lo, s26
.LBB163_217:                            ;   in Loop: Header=BB163_167 Depth=1
	s_or_b32 exec_lo, exec_lo, s22
.LBB163_218:                            ;   in Loop: Header=BB163_167 Depth=1
	s_or_b32 exec_lo, exec_lo, s21
	v_mov_b32_e32 v23, 0
	v_mov_b32_e32 v21, 0
	v_and_b32_sdwa v5, v51, v37 dst_sel:DWORD dst_unused:UNUSED_PAD src0_sel:WORD_1 src1_sel:DWORD
	v_mov_b32_e32 v24, 0
	v_mov_b32_e32 v22, 0
	s_mov_b32 s21, exec_lo
	v_cmpx_ne_u16_e32 0, v5
	s_cbranch_execz .LBB163_226
; %bb.219:                              ;   in Loop: Header=BB163_167 Depth=1
	v_bfrev_b32_e32 v21, 1
	v_mov_b32_e32 v22, 0
	s_mov_b32 s22, exec_lo
	v_cmpx_ne_u16_e32 0x80, v5
	s_cbranch_execz .LBB163_225
; %bb.220:                              ;   in Loop: Header=BB163_167 Depth=1
	v_mov_b32_e32 v21, 0x7f800001
	v_bfe_u32 v9, v51, 16, 7
	v_mov_b32_e32 v22, 0
	s_mov_b32 s26, exec_lo
	v_cmpx_ne_u32_e32 0x7f, v9
	s_cbranch_execz .LBB163_224
; %bb.221:                              ;   in Loop: Header=BB163_167 Depth=1
	v_and_b32_sdwa v5, v51, v38 dst_sel:DWORD dst_unused:UNUSED_PAD src0_sel:WORD_1 src1_sel:DWORD
	v_lshrrev_b32_e32 v7, 3, v9
	s_mov_b32 s27, exec_lo
	v_cmpx_gt_u32_e32 8, v9
; %bb.222:                              ;   in Loop: Header=BB163_167 Depth=1
	v_ffbh_u32_e32 v7, v5
	v_min_u32_e32 v7, 32, v7
	v_subrev_nc_u32_e32 v9, 28, v7
	v_sub_nc_u32_e32 v7, 29, v7
	v_lshlrev_b64 v[21:22], v9, v[5:6]
	v_and_b32_e32 v5, 7, v21
; %bb.223:                              ;   in Loop: Header=BB163_167 Depth=1
	s_or_b32 exec_lo, exec_lo, s27
	v_lshlrev_b32_sdwa v9, v39, v51 dst_sel:DWORD dst_unused:UNUSED_PAD src0_sel:DWORD src1_sel:WORD_1
	v_lshlrev_b32_e32 v5, 20, v5
	v_lshl_add_u32 v7, v7, 23, 0x3c000000
	v_and_b32_e32 v9, 0x80000000, v9
	v_or3_b32 v5, v5, v9, v7
	v_mov_b32_e32 v22, v6
	v_mov_b32_e32 v21, v5
.LBB163_224:                            ;   in Loop: Header=BB163_167 Depth=1
	s_or_b32 exec_lo, exec_lo, s26
.LBB163_225:                            ;   in Loop: Header=BB163_167 Depth=1
	s_or_b32 exec_lo, exec_lo, s22
.LBB163_226:                            ;   in Loop: Header=BB163_167 Depth=1
	s_or_b32 exec_lo, exec_lo, s21
	s_mov_b32 s21, exec_lo
	v_cmpx_lt_u32_e32 0xffffff, v51
	s_cbranch_execz .LBB163_234
; %bb.227:                              ;   in Loop: Header=BB163_167 Depth=1
	v_mov_b32_e32 v7, v6
	v_mov_b32_e32 v24, v8
	v_cmp_ne_u32_sdwa s1, v51, v27 src0_sel:BYTE_3 src1_sel:DWORD
	v_mov_b32_e32 v23, v7
	s_and_saveexec_b32 s22, s1
	s_cbranch_execz .LBB163_233
; %bb.228:                              ;   in Loop: Header=BB163_167 Depth=1
	v_mov_b32_e32 v9, v6
	v_mov_b32_e32 v24, v10
	v_bfe_u32 v52, v51, 24, 7
	s_mov_b32 s26, exec_lo
	v_mov_b32_e32 v23, v9
	v_cmpx_ne_u32_e32 0x7f, v52
	s_cbranch_execz .LBB163_232
; %bb.229:                              ;   in Loop: Header=BB163_167 Depth=1
	v_and_b32_sdwa v5, v51, v38 dst_sel:DWORD dst_unused:UNUSED_PAD src0_sel:BYTE_3 src1_sel:DWORD
	v_lshrrev_b32_e32 v7, 3, v52
	s_mov_b32 s27, exec_lo
	v_cmpx_gt_u32_e32 8, v52
; %bb.230:                              ;   in Loop: Header=BB163_167 Depth=1
	v_ffbh_u32_e32 v7, v5
	v_min_u32_e32 v7, 32, v7
	v_subrev_nc_u32_e32 v9, 28, v7
	v_sub_nc_u32_e32 v7, 29, v7
	v_lshlrev_b64 v[23:24], v9, v[5:6]
	v_and_b32_e32 v5, 7, v23
; %bb.231:                              ;   in Loop: Header=BB163_167 Depth=1
	s_or_b32 exec_lo, exec_lo, s27
	v_lshlrev_b32_sdwa v9, v39, v51 dst_sel:DWORD dst_unused:UNUSED_PAD src0_sel:DWORD src1_sel:BYTE_3
	v_lshlrev_b32_e32 v5, 20, v5
	v_lshl_add_u32 v7, v7, 23, 0x3c000000
	v_mov_b32_e32 v23, v6
	v_and_b32_e32 v9, 0x80000000, v9
	v_or3_b32 v24, v5, v9, v7
.LBB163_232:                            ;   in Loop: Header=BB163_167 Depth=1
	s_or_b32 exec_lo, exec_lo, s26
.LBB163_233:                            ;   in Loop: Header=BB163_167 Depth=1
	s_or_b32 exec_lo, exec_lo, s22
.LBB163_234:                            ;   in Loop: Header=BB163_167 Depth=1
	s_or_b32 exec_lo, exec_lo, s21
	v_or_b32_e32 v5, v20, v18
	v_or_b32_e32 v7, v19, v17
	;; [unrolled: 1-line block ×4, first 2 shown]
	s_mov_b32 s21, s18
	v_mul_f32_e32 v53, s21, v5
	v_mul_f32_e32 v54, s18, v7
	v_mul_f32_e32 v52, s18, v17
	v_mul_f32_e32 v51, s21, v9
	s_and_saveexec_b32 s22, vcc_lo
	s_cbranch_execz .LBB163_236
; %bb.235:                              ;   in Loop: Header=BB163_167 Depth=1
	v_cmp_gt_i32_e64 s1, s33, v47
	v_cndmask_b32_e64 v54, 0, v54, s1
	v_cmp_gt_i32_e64 s1, s33, v50
	v_cndmask_b32_e64 v53, 0, v53, s1
	;; [unrolled: 2-line block ×4, first 2 shown]
.LBB163_236:                            ;   in Loop: Header=BB163_167 Depth=1
	s_or_b32 exec_lo, exec_lo, s22
	global_load_dword v55, v[15:16], off offset:256
	v_mov_b32_e32 v19, 0
	v_mov_b32_e32 v17, 0
	;; [unrolled: 1-line block ×4, first 2 shown]
	s_waitcnt vmcnt(0)
	v_cmp_ne_u16_sdwa s1, v55, v6 src0_sel:BYTE_0 src1_sel:DWORD
	s_and_saveexec_b32 s22, s1
	s_cbranch_execz .LBB163_244
; %bb.237:                              ;   in Loop: Header=BB163_167 Depth=1
	v_bfrev_b32_e32 v17, 1
	v_mov_b32_e32 v18, 0
	v_cmp_ne_u16_sdwa s1, v55, v27 src0_sel:BYTE_0 src1_sel:DWORD
	s_and_saveexec_b32 s26, s1
	s_cbranch_execz .LBB163_243
; %bb.238:                              ;   in Loop: Header=BB163_167 Depth=1
	v_mov_b32_e32 v17, 0x7f800001
	v_and_b32_e32 v9, 0x7f, v55
	v_mov_b32_e32 v18, 0
	s_mov_b32 s27, exec_lo
	v_cmpx_ne_u32_e32 0x7f, v9
	s_cbranch_execz .LBB163_242
; %bb.239:                              ;   in Loop: Header=BB163_167 Depth=1
	v_and_b32_e32 v5, 7, v55
	v_lshrrev_b32_e32 v7, 3, v9
	s_mov_b32 s28, exec_lo
	v_cmpx_gt_u32_e32 8, v9
; %bb.240:                              ;   in Loop: Header=BB163_167 Depth=1
	v_ffbh_u32_e32 v7, v5
	v_min_u32_e32 v7, 32, v7
	v_subrev_nc_u32_e32 v9, 28, v7
	v_sub_nc_u32_e32 v7, 29, v7
	v_lshlrev_b64 v[17:18], v9, v[5:6]
	v_and_b32_e32 v5, 7, v17
; %bb.241:                              ;   in Loop: Header=BB163_167 Depth=1
	s_or_b32 exec_lo, exec_lo, s28
	v_lshlrev_b32_e32 v9, 24, v55
	v_lshlrev_b32_e32 v5, 20, v5
	v_lshl_add_u32 v7, v7, 23, 0x3c000000
	v_and_b32_e32 v9, 0x80000000, v9
	v_or3_b32 v5, v5, v9, v7
	v_mov_b32_e32 v18, v6
	v_mov_b32_e32 v17, v5
.LBB163_242:                            ;   in Loop: Header=BB163_167 Depth=1
	s_or_b32 exec_lo, exec_lo, s27
.LBB163_243:                            ;   in Loop: Header=BB163_167 Depth=1
	s_or_b32 exec_lo, exec_lo, s26
.LBB163_244:                            ;   in Loop: Header=BB163_167 Depth=1
	s_or_b32 exec_lo, exec_lo, s22
	v_cmp_ne_u16_sdwa s1, v55, v6 src0_sel:BYTE_1 src1_sel:DWORD
	s_and_saveexec_b32 s22, s1
	s_cbranch_execz .LBB163_252
; %bb.245:                              ;   in Loop: Header=BB163_167 Depth=1
	v_mov_b32_e32 v7, v6
	v_mov_b32_e32 v20, v8
	v_cmp_ne_u16_sdwa s1, v55, v27 src0_sel:BYTE_1 src1_sel:DWORD
	v_mov_b32_e32 v19, v7
	s_and_saveexec_b32 s26, s1
	s_cbranch_execz .LBB163_251
; %bb.246:                              ;   in Loop: Header=BB163_167 Depth=1
	v_and_b32_sdwa v5, v30, v55 dst_sel:DWORD dst_unused:UNUSED_PAD src0_sel:DWORD src1_sel:BYTE_1
	v_mov_b32_e32 v9, v6
	v_mov_b32_e32 v20, v10
	s_mov_b32 s27, exec_lo
	v_and_b32_e32 v21, 0x7f, v5
	v_mov_b32_e32 v19, v9
	v_cmpx_ne_u32_e32 0x7f, v21
	s_cbranch_execz .LBB163_250
; %bb.247:                              ;   in Loop: Header=BB163_167 Depth=1
	v_and_b32_e32 v5, 7, v5
	v_lshrrev_b32_e32 v7, 3, v21
	s_mov_b32 s28, exec_lo
	v_cmpx_gt_u32_e32 8, v21
; %bb.248:                              ;   in Loop: Header=BB163_167 Depth=1
	v_ffbh_u32_e32 v7, v5
	v_min_u32_e32 v7, 32, v7
	v_subrev_nc_u32_e32 v9, 28, v7
	v_sub_nc_u32_e32 v7, 29, v7
	v_lshlrev_b64 v[19:20], v9, v[5:6]
	v_and_b32_e32 v5, 7, v19
; %bb.249:                              ;   in Loop: Header=BB163_167 Depth=1
	s_or_b32 exec_lo, exec_lo, s28
	v_lshlrev_b32_e32 v9, 16, v55
	v_lshlrev_b32_e32 v5, 20, v5
	v_lshl_add_u32 v7, v7, 23, 0x3c000000
	v_mov_b32_e32 v19, v6
	v_and_b32_e32 v9, 0x80000000, v9
	v_or3_b32 v20, v5, v9, v7
.LBB163_250:                            ;   in Loop: Header=BB163_167 Depth=1
	s_or_b32 exec_lo, exec_lo, s27
.LBB163_251:                            ;   in Loop: Header=BB163_167 Depth=1
	s_or_b32 exec_lo, exec_lo, s26
.LBB163_252:                            ;   in Loop: Header=BB163_167 Depth=1
	s_or_b32 exec_lo, exec_lo, s22
	v_mov_b32_e32 v23, 0
	v_mov_b32_e32 v21, 0
	v_and_b32_sdwa v5, v55, v37 dst_sel:DWORD dst_unused:UNUSED_PAD src0_sel:WORD_1 src1_sel:DWORD
	v_mov_b32_e32 v24, 0
	v_mov_b32_e32 v22, 0
	s_mov_b32 s22, exec_lo
	v_cmpx_ne_u16_e32 0, v5
	s_cbranch_execz .LBB163_260
; %bb.253:                              ;   in Loop: Header=BB163_167 Depth=1
	v_bfrev_b32_e32 v21, 1
	v_mov_b32_e32 v22, 0
	s_mov_b32 s26, exec_lo
	v_cmpx_ne_u16_e32 0x80, v5
	s_cbranch_execz .LBB163_259
; %bb.254:                              ;   in Loop: Header=BB163_167 Depth=1
	v_mov_b32_e32 v21, 0x7f800001
	v_bfe_u32 v9, v55, 16, 7
	v_mov_b32_e32 v22, 0
	s_mov_b32 s27, exec_lo
	v_cmpx_ne_u32_e32 0x7f, v9
	s_cbranch_execz .LBB163_258
; %bb.255:                              ;   in Loop: Header=BB163_167 Depth=1
	v_and_b32_sdwa v5, v55, v38 dst_sel:DWORD dst_unused:UNUSED_PAD src0_sel:WORD_1 src1_sel:DWORD
	v_lshrrev_b32_e32 v7, 3, v9
	s_mov_b32 s28, exec_lo
	v_cmpx_gt_u32_e32 8, v9
; %bb.256:                              ;   in Loop: Header=BB163_167 Depth=1
	v_ffbh_u32_e32 v7, v5
	v_min_u32_e32 v7, 32, v7
	v_subrev_nc_u32_e32 v9, 28, v7
	v_sub_nc_u32_e32 v7, 29, v7
	v_lshlrev_b64 v[21:22], v9, v[5:6]
	v_and_b32_e32 v5, 7, v21
; %bb.257:                              ;   in Loop: Header=BB163_167 Depth=1
	s_or_b32 exec_lo, exec_lo, s28
	v_lshlrev_b32_sdwa v9, v39, v55 dst_sel:DWORD dst_unused:UNUSED_PAD src0_sel:DWORD src1_sel:WORD_1
	v_lshlrev_b32_e32 v5, 20, v5
	v_lshl_add_u32 v7, v7, 23, 0x3c000000
	v_and_b32_e32 v9, 0x80000000, v9
	v_or3_b32 v5, v5, v9, v7
	v_mov_b32_e32 v22, v6
	v_mov_b32_e32 v21, v5
.LBB163_258:                            ;   in Loop: Header=BB163_167 Depth=1
	s_or_b32 exec_lo, exec_lo, s27
.LBB163_259:                            ;   in Loop: Header=BB163_167 Depth=1
	s_or_b32 exec_lo, exec_lo, s26
.LBB163_260:                            ;   in Loop: Header=BB163_167 Depth=1
	s_or_b32 exec_lo, exec_lo, s22
	s_mov_b32 s22, exec_lo
	v_cmpx_lt_u32_e32 0xffffff, v55
	s_cbranch_execz .LBB163_268
; %bb.261:                              ;   in Loop: Header=BB163_167 Depth=1
	v_mov_b32_e32 v7, v6
	v_mov_b32_e32 v24, v8
	v_cmp_ne_u32_sdwa s1, v55, v27 src0_sel:BYTE_3 src1_sel:DWORD
	v_mov_b32_e32 v23, v7
	s_and_saveexec_b32 s26, s1
	s_cbranch_execz .LBB163_267
; %bb.262:                              ;   in Loop: Header=BB163_167 Depth=1
	v_mov_b32_e32 v9, v6
	v_mov_b32_e32 v24, v10
	v_bfe_u32 v56, v55, 24, 7
	s_mov_b32 s27, exec_lo
	v_mov_b32_e32 v23, v9
	v_cmpx_ne_u32_e32 0x7f, v56
	s_cbranch_execz .LBB163_266
; %bb.263:                              ;   in Loop: Header=BB163_167 Depth=1
	v_and_b32_sdwa v5, v55, v38 dst_sel:DWORD dst_unused:UNUSED_PAD src0_sel:BYTE_3 src1_sel:DWORD
	v_lshrrev_b32_e32 v7, 3, v56
	s_mov_b32 s28, exec_lo
	v_cmpx_gt_u32_e32 8, v56
; %bb.264:                              ;   in Loop: Header=BB163_167 Depth=1
	v_ffbh_u32_e32 v7, v5
	v_min_u32_e32 v7, 32, v7
	v_subrev_nc_u32_e32 v9, 28, v7
	v_sub_nc_u32_e32 v7, 29, v7
	v_lshlrev_b64 v[23:24], v9, v[5:6]
	v_and_b32_e32 v5, 7, v23
; %bb.265:                              ;   in Loop: Header=BB163_167 Depth=1
	s_or_b32 exec_lo, exec_lo, s28
	v_lshlrev_b32_sdwa v9, v39, v55 dst_sel:DWORD dst_unused:UNUSED_PAD src0_sel:DWORD src1_sel:BYTE_3
	v_lshlrev_b32_e32 v5, 20, v5
	v_lshl_add_u32 v7, v7, 23, 0x3c000000
	v_mov_b32_e32 v23, v6
	v_and_b32_e32 v9, 0x80000000, v9
	v_or3_b32 v24, v5, v9, v7
.LBB163_266:                            ;   in Loop: Header=BB163_167 Depth=1
	s_or_b32 exec_lo, exec_lo, s27
.LBB163_267:                            ;   in Loop: Header=BB163_167 Depth=1
	s_or_b32 exec_lo, exec_lo, s26
.LBB163_268:                            ;   in Loop: Header=BB163_167 Depth=1
	s_or_b32 exec_lo, exec_lo, s22
	v_or_b32_e32 v5, v20, v18
	v_or_b32_e32 v7, v19, v17
	;; [unrolled: 1-line block ×4, first 2 shown]
	v_mul_f32_e32 v55, s21, v5
	v_mul_f32_e32 v56, s18, v7
	;; [unrolled: 1-line block ×4, first 2 shown]
	s_and_saveexec_b32 s22, vcc_lo
	s_cbranch_execz .LBB163_270
; %bb.269:                              ;   in Loop: Header=BB163_167 Depth=1
	v_cmp_gt_i32_e64 s1, s33, v47
	v_cndmask_b32_e64 v56, 0, v56, s1
	v_cmp_gt_i32_e64 s1, s33, v50
	v_cndmask_b32_e64 v55, 0, v55, s1
	;; [unrolled: 2-line block ×4, first 2 shown]
.LBB163_270:                            ;   in Loop: Header=BB163_167 Depth=1
	s_or_b32 exec_lo, exec_lo, s22
	global_load_dword v57, v[15:16], off offset:384
	v_mov_b32_e32 v17, 0
	v_mov_b32_e32 v15, 0
	;; [unrolled: 1-line block ×4, first 2 shown]
	s_waitcnt vmcnt(0)
	v_cmp_ne_u16_sdwa s1, v57, v6 src0_sel:BYTE_0 src1_sel:DWORD
	s_and_saveexec_b32 s22, s1
	s_cbranch_execz .LBB163_278
; %bb.271:                              ;   in Loop: Header=BB163_167 Depth=1
	v_bfrev_b32_e32 v15, 1
	v_mov_b32_e32 v16, 0
	v_cmp_ne_u16_sdwa s1, v57, v27 src0_sel:BYTE_0 src1_sel:DWORD
	s_and_saveexec_b32 s26, s1
	s_cbranch_execz .LBB163_277
; %bb.272:                              ;   in Loop: Header=BB163_167 Depth=1
	v_mov_b32_e32 v15, 0x7f800001
	v_and_b32_e32 v9, 0x7f, v57
	v_mov_b32_e32 v16, 0
	s_mov_b32 s27, exec_lo
	v_cmpx_ne_u32_e32 0x7f, v9
	s_cbranch_execz .LBB163_276
; %bb.273:                              ;   in Loop: Header=BB163_167 Depth=1
	v_and_b32_e32 v5, 7, v57
	v_lshrrev_b32_e32 v7, 3, v9
	s_mov_b32 s28, exec_lo
	v_cmpx_gt_u32_e32 8, v9
; %bb.274:                              ;   in Loop: Header=BB163_167 Depth=1
	v_ffbh_u32_e32 v7, v5
	v_min_u32_e32 v7, 32, v7
	v_subrev_nc_u32_e32 v9, 28, v7
	v_sub_nc_u32_e32 v7, 29, v7
	v_lshlrev_b64 v[15:16], v9, v[5:6]
	v_and_b32_e32 v5, 7, v15
; %bb.275:                              ;   in Loop: Header=BB163_167 Depth=1
	s_or_b32 exec_lo, exec_lo, s28
	v_lshlrev_b32_e32 v9, 24, v57
	v_lshlrev_b32_e32 v5, 20, v5
	v_lshl_add_u32 v7, v7, 23, 0x3c000000
	v_and_b32_e32 v9, 0x80000000, v9
	v_or3_b32 v5, v5, v9, v7
	v_mov_b32_e32 v16, v6
	v_mov_b32_e32 v15, v5
.LBB163_276:                            ;   in Loop: Header=BB163_167 Depth=1
	s_or_b32 exec_lo, exec_lo, s27
.LBB163_277:                            ;   in Loop: Header=BB163_167 Depth=1
	s_or_b32 exec_lo, exec_lo, s26
.LBB163_278:                            ;   in Loop: Header=BB163_167 Depth=1
	s_or_b32 exec_lo, exec_lo, s22
	v_cmp_ne_u16_sdwa s1, v57, v6 src0_sel:BYTE_1 src1_sel:DWORD
	s_and_saveexec_b32 s22, s1
	s_cbranch_execz .LBB163_286
; %bb.279:                              ;   in Loop: Header=BB163_167 Depth=1
	v_mov_b32_e32 v7, v6
	v_mov_b32_e32 v18, v8
	v_cmp_ne_u16_sdwa s1, v57, v27 src0_sel:BYTE_1 src1_sel:DWORD
	v_mov_b32_e32 v17, v7
	s_and_saveexec_b32 s26, s1
	s_cbranch_execz .LBB163_285
; %bb.280:                              ;   in Loop: Header=BB163_167 Depth=1
	v_and_b32_sdwa v5, v30, v57 dst_sel:DWORD dst_unused:UNUSED_PAD src0_sel:DWORD src1_sel:BYTE_1
	v_mov_b32_e32 v9, v6
	v_mov_b32_e32 v18, v10
	s_mov_b32 s27, exec_lo
	v_and_b32_e32 v19, 0x7f, v5
	v_mov_b32_e32 v17, v9
	v_cmpx_ne_u32_e32 0x7f, v19
	s_cbranch_execz .LBB163_284
; %bb.281:                              ;   in Loop: Header=BB163_167 Depth=1
	v_and_b32_e32 v5, 7, v5
	v_lshrrev_b32_e32 v7, 3, v19
	s_mov_b32 s28, exec_lo
	v_cmpx_gt_u32_e32 8, v19
; %bb.282:                              ;   in Loop: Header=BB163_167 Depth=1
	v_ffbh_u32_e32 v7, v5
	v_min_u32_e32 v7, 32, v7
	v_subrev_nc_u32_e32 v9, 28, v7
	v_sub_nc_u32_e32 v7, 29, v7
	v_lshlrev_b64 v[17:18], v9, v[5:6]
	v_and_b32_e32 v5, 7, v17
; %bb.283:                              ;   in Loop: Header=BB163_167 Depth=1
	s_or_b32 exec_lo, exec_lo, s28
	v_lshlrev_b32_e32 v9, 16, v57
	v_lshlrev_b32_e32 v5, 20, v5
	v_lshl_add_u32 v7, v7, 23, 0x3c000000
	v_mov_b32_e32 v17, v6
	v_and_b32_e32 v9, 0x80000000, v9
	v_or3_b32 v18, v5, v9, v7
.LBB163_284:                            ;   in Loop: Header=BB163_167 Depth=1
	s_or_b32 exec_lo, exec_lo, s27
.LBB163_285:                            ;   in Loop: Header=BB163_167 Depth=1
	s_or_b32 exec_lo, exec_lo, s26
.LBB163_286:                            ;   in Loop: Header=BB163_167 Depth=1
	s_or_b32 exec_lo, exec_lo, s22
	v_mov_b32_e32 v21, 0
	v_mov_b32_e32 v19, 0
	v_and_b32_sdwa v5, v57, v37 dst_sel:DWORD dst_unused:UNUSED_PAD src0_sel:WORD_1 src1_sel:DWORD
	v_mov_b32_e32 v22, 0
	v_mov_b32_e32 v20, 0
	s_mov_b32 s22, exec_lo
	v_cmpx_ne_u16_e32 0, v5
	s_cbranch_execz .LBB163_294
; %bb.287:                              ;   in Loop: Header=BB163_167 Depth=1
	v_bfrev_b32_e32 v19, 1
	v_mov_b32_e32 v20, 0
	s_mov_b32 s26, exec_lo
	v_cmpx_ne_u16_e32 0x80, v5
	s_cbranch_execz .LBB163_293
; %bb.288:                              ;   in Loop: Header=BB163_167 Depth=1
	v_mov_b32_e32 v19, 0x7f800001
	v_bfe_u32 v9, v57, 16, 7
	v_mov_b32_e32 v20, 0
	s_mov_b32 s27, exec_lo
	v_cmpx_ne_u32_e32 0x7f, v9
	s_cbranch_execz .LBB163_292
; %bb.289:                              ;   in Loop: Header=BB163_167 Depth=1
	v_and_b32_sdwa v5, v57, v38 dst_sel:DWORD dst_unused:UNUSED_PAD src0_sel:WORD_1 src1_sel:DWORD
	v_lshrrev_b32_e32 v7, 3, v9
	s_mov_b32 s28, exec_lo
	v_cmpx_gt_u32_e32 8, v9
; %bb.290:                              ;   in Loop: Header=BB163_167 Depth=1
	v_ffbh_u32_e32 v7, v5
	v_min_u32_e32 v7, 32, v7
	v_subrev_nc_u32_e32 v9, 28, v7
	v_sub_nc_u32_e32 v7, 29, v7
	v_lshlrev_b64 v[19:20], v9, v[5:6]
	v_and_b32_e32 v5, 7, v19
; %bb.291:                              ;   in Loop: Header=BB163_167 Depth=1
	s_or_b32 exec_lo, exec_lo, s28
	v_lshlrev_b32_sdwa v9, v39, v57 dst_sel:DWORD dst_unused:UNUSED_PAD src0_sel:DWORD src1_sel:WORD_1
	v_lshlrev_b32_e32 v5, 20, v5
	v_lshl_add_u32 v7, v7, 23, 0x3c000000
	v_and_b32_e32 v9, 0x80000000, v9
	v_or3_b32 v5, v5, v9, v7
	v_mov_b32_e32 v20, v6
	v_mov_b32_e32 v19, v5
.LBB163_292:                            ;   in Loop: Header=BB163_167 Depth=1
	s_or_b32 exec_lo, exec_lo, s27
.LBB163_293:                            ;   in Loop: Header=BB163_167 Depth=1
	s_or_b32 exec_lo, exec_lo, s26
.LBB163_294:                            ;   in Loop: Header=BB163_167 Depth=1
	s_or_b32 exec_lo, exec_lo, s22
	s_mov_b32 s22, exec_lo
	v_cmpx_lt_u32_e32 0xffffff, v57
	s_cbranch_execz .LBB163_302
; %bb.295:                              ;   in Loop: Header=BB163_167 Depth=1
	v_mov_b32_e32 v7, v6
	v_mov_b32_e32 v22, v8
	v_cmp_ne_u32_sdwa s1, v57, v27 src0_sel:BYTE_3 src1_sel:DWORD
	v_mov_b32_e32 v21, v7
	s_and_saveexec_b32 s26, s1
	s_cbranch_execz .LBB163_301
; %bb.296:                              ;   in Loop: Header=BB163_167 Depth=1
	v_mov_b32_e32 v9, v6
	v_mov_b32_e32 v22, v10
	v_bfe_u32 v58, v57, 24, 7
	s_mov_b32 s27, exec_lo
	v_mov_b32_e32 v21, v9
	v_cmpx_ne_u32_e32 0x7f, v58
	s_cbranch_execz .LBB163_300
; %bb.297:                              ;   in Loop: Header=BB163_167 Depth=1
	v_and_b32_sdwa v5, v57, v38 dst_sel:DWORD dst_unused:UNUSED_PAD src0_sel:BYTE_3 src1_sel:DWORD
	v_lshrrev_b32_e32 v7, 3, v58
	s_mov_b32 s28, exec_lo
	v_cmpx_gt_u32_e32 8, v58
; %bb.298:                              ;   in Loop: Header=BB163_167 Depth=1
	v_ffbh_u32_e32 v7, v5
	v_min_u32_e32 v7, 32, v7
	v_subrev_nc_u32_e32 v9, 28, v7
	v_sub_nc_u32_e32 v7, 29, v7
	v_lshlrev_b64 v[21:22], v9, v[5:6]
	v_and_b32_e32 v5, 7, v21
; %bb.299:                              ;   in Loop: Header=BB163_167 Depth=1
	s_or_b32 exec_lo, exec_lo, s28
	v_lshlrev_b32_sdwa v9, v39, v57 dst_sel:DWORD dst_unused:UNUSED_PAD src0_sel:DWORD src1_sel:BYTE_3
	v_lshlrev_b32_e32 v5, 20, v5
	v_lshl_add_u32 v7, v7, 23, 0x3c000000
	v_mov_b32_e32 v21, v6
	v_and_b32_e32 v9, 0x80000000, v9
	v_or3_b32 v22, v5, v9, v7
.LBB163_300:                            ;   in Loop: Header=BB163_167 Depth=1
	s_or_b32 exec_lo, exec_lo, s27
.LBB163_301:                            ;   in Loop: Header=BB163_167 Depth=1
	s_or_b32 exec_lo, exec_lo, s26
.LBB163_302:                            ;   in Loop: Header=BB163_167 Depth=1
	s_or_b32 exec_lo, exec_lo, s22
	v_or_b32_e32 v5, v18, v16
	v_or_b32_e32 v7, v17, v15
	;; [unrolled: 1-line block ×4, first 2 shown]
	v_mul_f32_e32 v9, s21, v5
	v_mul_f32_e32 v15, s18, v7
	;; [unrolled: 1-line block ×4, first 2 shown]
	s_and_saveexec_b32 s1, vcc_lo
	s_cbranch_execz .LBB163_165
; %bb.303:                              ;   in Loop: Header=BB163_167 Depth=1
	v_cmp_gt_i32_e32 vcc_lo, s33, v47
	v_cndmask_b32_e32 v15, 0, v15, vcc_lo
	v_cmp_gt_i32_e32 vcc_lo, s33, v50
	v_cndmask_b32_e32 v9, 0, v9, vcc_lo
	;; [unrolled: 2-line block ×4, first 2 shown]
	s_branch .LBB163_165
.LBB163_304:
	s_or_b32 exec_lo, exec_lo, s12
.LBB163_305:
	s_or_b32 exec_lo, exec_lo, s2
	ds_bpermute_b32 v1, v29, v35
	ds_bpermute_b32 v2, v29, v34
	;; [unrolled: 1-line block ×4, first 2 shown]
	v_lshrrev_b32_e32 v5, 1, v28
	v_lshlrev_b32_e32 v7, 8, v25
	v_and_b32_e32 v8, 0x3c1, v0
	s_mov_b32 s1, exec_lo
	s_waitcnt lgkmcnt(0)
	v_lshl_add_u32 v6, v5, 2, 0x120
	s_barrier
	buffer_gl0_inv
	v_add_f32_e32 v1, v35, v1
	v_add_f32_e32 v2, v34, v2
	;; [unrolled: 1-line block ×4, first 2 shown]
	v_cmpx_eq_u32_e32 64, v8
	s_cbranch_execz .LBB163_307
; %bb.306:
	v_add_nc_u32_e32 v8, v6, v7
	v_add_nc_u32_e32 v9, 0xfffffe00, v8
	;; [unrolled: 1-line block ×5, first 2 shown]
	ds_write_b32 v9, v1
	ds_write_b32 v10, v2
	ds_write_b32 v11, v3
	ds_write_b32 v8, v4
.LBB163_307:
	s_or_b32 exec_lo, exec_lo, s1
	v_lshlrev_b32_e32 v5, 2, v5
	v_cmp_eq_u32_e32 vcc_lo, 0, v31
	s_waitcnt lgkmcnt(0)
	s_barrier
	buffer_gl0_inv
	v_add3_u32 v5, 0x120, v7, v5
	s_and_saveexec_b32 s1, s0
	s_cbranch_execz .LBB163_314
; %bb.308:
	s_and_saveexec_b32 s0, vcc_lo
	s_cbranch_execnz .LBB163_326
; %bb.309:
	s_or_b32 exec_lo, exec_lo, s0
	s_and_saveexec_b32 s0, vcc_lo
	s_cbranch_execnz .LBB163_327
.LBB163_310:
	s_or_b32 exec_lo, exec_lo, s0
	s_and_saveexec_b32 s0, vcc_lo
	s_cbranch_execnz .LBB163_328
.LBB163_311:
	s_or_b32 exec_lo, exec_lo, s0
	s_and_saveexec_b32 s0, vcc_lo
	s_cbranch_execz .LBB163_313
.LBB163_312:
	ds_read_b32 v7, v5 offset:192
	s_waitcnt lgkmcnt(0)
	v_add_f32_e32 v4, v4, v7
.LBB163_313:
	s_or_b32 exec_lo, exec_lo, s0
.LBB163_314:
	s_or_b32 exec_lo, exec_lo, s1
	v_and_b32_e32 v7, 0x3e1, v0
	s_mov_b32 s1, exec_lo
	s_barrier
	buffer_gl0_inv
	v_cmpx_eq_u32_e32 32, v7
	s_cbranch_execz .LBB163_316
; %bb.315:
	ds_write2_b32 v6, v1, v2 offset1:16
	ds_write2_b32 v6, v3, v4 offset0:32 offset1:48
.LBB163_316:
	s_or_b32 exec_lo, exec_lo, s1
	s_mov_b32 s1, exec_lo
	s_waitcnt lgkmcnt(0)
	s_barrier
	buffer_gl0_inv
	v_cmpx_gt_u32_e32 32, v0
	s_cbranch_execz .LBB163_323
; %bb.317:
	s_and_saveexec_b32 s0, vcc_lo
	s_cbranch_execnz .LBB163_329
; %bb.318:
	s_or_b32 exec_lo, exec_lo, s0
	s_and_saveexec_b32 s0, vcc_lo
	s_cbranch_execnz .LBB163_330
.LBB163_319:
	s_or_b32 exec_lo, exec_lo, s0
	s_and_saveexec_b32 s0, vcc_lo
	s_cbranch_execnz .LBB163_331
.LBB163_320:
	s_or_b32 exec_lo, exec_lo, s0
	s_and_saveexec_b32 s0, vcc_lo
	s_cbranch_execz .LBB163_322
.LBB163_321:
	ds_read_b32 v5, v5 offset:192
	s_waitcnt lgkmcnt(0)
	v_add_f32_e32 v4, v4, v5
.LBB163_322:
	s_or_b32 exec_lo, exec_lo, s0
.LBB163_323:
	s_or_b32 exec_lo, exec_lo, s1
	s_barrier
	buffer_gl0_inv
	s_mov_b32 s0, exec_lo
	v_cmpx_eq_u32_e32 0, v7
	s_cbranch_execz .LBB163_325
; %bb.324:
	s_mul_i32 s0, s10, s11
	s_mul_i32 s2, s11, s24
	s_mul_i32 s0, s0, s9
	v_lshlrev_b32_e32 v0, 1, v0
	s_lshl_b32 s0, s0, 6
	s_ashr_i32 s1, s0, 31
	s_lshl_b64 s[0:1], s[0:1], 2
	s_add_u32 s4, s6, s0
	s_addc_u32 s5, s7, s1
	s_ashr_i32 s3, s2, 31
	s_lshl_b64 s[0:1], s[2:3], 2
	s_add_u32 s2, s4, s0
	s_addc_u32 s3, s5, s1
	s_lshl_b32 s0, s8, 6
	s_ashr_i32 s1, s0, 31
	s_lshl_b64 s[0:1], s[0:1], 2
	s_add_u32 s0, s2, s0
	s_addc_u32 s1, s3, s1
	global_store_dword v0, v1, s[0:1]
	global_store_dword v0, v2, s[0:1] offset:64
	global_store_dword v0, v3, s[0:1] offset:128
	;; [unrolled: 1-line block ×3, first 2 shown]
.LBB163_325:
	s_endpgm
.LBB163_326:
	ds_read_b32 v7, v5
	s_waitcnt lgkmcnt(0)
	v_add_f32_e32 v1, v1, v7
	s_or_b32 exec_lo, exec_lo, s0
	s_and_saveexec_b32 s0, vcc_lo
	s_cbranch_execz .LBB163_310
.LBB163_327:
	ds_read_b32 v7, v5 offset:64
	s_waitcnt lgkmcnt(0)
	v_add_f32_e32 v2, v2, v7
	s_or_b32 exec_lo, exec_lo, s0
	s_and_saveexec_b32 s0, vcc_lo
	s_cbranch_execz .LBB163_311
.LBB163_328:
	ds_read_b32 v7, v5 offset:128
	s_waitcnt lgkmcnt(0)
	v_add_f32_e32 v3, v3, v7
	s_or_b32 exec_lo, exec_lo, s0
	s_and_saveexec_b32 s0, vcc_lo
	s_cbranch_execnz .LBB163_312
	s_branch .LBB163_313
.LBB163_329:
	ds_read_b32 v6, v5
	s_waitcnt lgkmcnt(0)
	v_add_f32_e32 v1, v1, v6
	s_or_b32 exec_lo, exec_lo, s0
	s_and_saveexec_b32 s0, vcc_lo
	s_cbranch_execz .LBB163_319
.LBB163_330:
	ds_read_b32 v6, v5 offset:64
	s_waitcnt lgkmcnt(0)
	v_add_f32_e32 v2, v2, v6
	s_or_b32 exec_lo, exec_lo, s0
	s_and_saveexec_b32 s0, vcc_lo
	s_cbranch_execz .LBB163_320
.LBB163_331:
	ds_read_b32 v6, v5 offset:128
	s_waitcnt lgkmcnt(0)
	v_add_f32_e32 v3, v3, v6
	s_or_b32 exec_lo, exec_lo, s0
	s_and_saveexec_b32 s0, vcc_lo
	s_cbranch_execnz .LBB163_321
	s_branch .LBB163_322
	.section	.rodata,"a",@progbits
	.p2align	6, 0x0
	.amdhsa_kernel _ZN4vllm25paged_attention_v1_kernelIfhLi64ELi8ELi128ELNS_18Fp8KVCacheDataTypeE1ELb1EEEvPT_PKS2_PKT0_S8_ifPKiSA_iPKfiiiSC_SC_iiiii
		.amdhsa_group_segment_fixed_size 288
		.amdhsa_private_segment_fixed_size 0
		.amdhsa_kernarg_size 384
		.amdhsa_user_sgpr_count 6
		.amdhsa_user_sgpr_private_segment_buffer 1
		.amdhsa_user_sgpr_dispatch_ptr 0
		.amdhsa_user_sgpr_queue_ptr 0
		.amdhsa_user_sgpr_kernarg_segment_ptr 1
		.amdhsa_user_sgpr_dispatch_id 0
		.amdhsa_user_sgpr_flat_scratch_init 0
		.amdhsa_user_sgpr_private_segment_size 0
		.amdhsa_wavefront_size32 1
		.amdhsa_uses_dynamic_stack 0
		.amdhsa_system_sgpr_private_segment_wavefront_offset 0
		.amdhsa_system_sgpr_workgroup_id_x 1
		.amdhsa_system_sgpr_workgroup_id_y 1
		.amdhsa_system_sgpr_workgroup_id_z 1
		.amdhsa_system_sgpr_workgroup_info 0
		.amdhsa_system_vgpr_workitem_id 0
		.amdhsa_next_free_vgpr 60
		.amdhsa_next_free_sgpr 46
		.amdhsa_reserve_vcc 1
		.amdhsa_reserve_flat_scratch 0
		.amdhsa_float_round_mode_32 0
		.amdhsa_float_round_mode_16_64 0
		.amdhsa_float_denorm_mode_32 3
		.amdhsa_float_denorm_mode_16_64 3
		.amdhsa_dx10_clamp 1
		.amdhsa_ieee_mode 1
		.amdhsa_fp16_overflow 0
		.amdhsa_workgroup_processor_mode 1
		.amdhsa_memory_ordered 1
		.amdhsa_forward_progress 1
		.amdhsa_shared_vgpr_count 0
		.amdhsa_exception_fp_ieee_invalid_op 0
		.amdhsa_exception_fp_denorm_src 0
		.amdhsa_exception_fp_ieee_div_zero 0
		.amdhsa_exception_fp_ieee_overflow 0
		.amdhsa_exception_fp_ieee_underflow 0
		.amdhsa_exception_fp_ieee_inexact 0
		.amdhsa_exception_int_div_zero 0
	.end_amdhsa_kernel
	.section	.text._ZN4vllm25paged_attention_v1_kernelIfhLi64ELi8ELi128ELNS_18Fp8KVCacheDataTypeE1ELb1EEEvPT_PKS2_PKT0_S8_ifPKiSA_iPKfiiiSC_SC_iiiii,"axG",@progbits,_ZN4vllm25paged_attention_v1_kernelIfhLi64ELi8ELi128ELNS_18Fp8KVCacheDataTypeE1ELb1EEEvPT_PKS2_PKT0_S8_ifPKiSA_iPKfiiiSC_SC_iiiii,comdat
.Lfunc_end163:
	.size	_ZN4vllm25paged_attention_v1_kernelIfhLi64ELi8ELi128ELNS_18Fp8KVCacheDataTypeE1ELb1EEEvPT_PKS2_PKT0_S8_ifPKiSA_iPKfiiiSC_SC_iiiii, .Lfunc_end163-_ZN4vllm25paged_attention_v1_kernelIfhLi64ELi8ELi128ELNS_18Fp8KVCacheDataTypeE1ELb1EEEvPT_PKS2_PKT0_S8_ifPKiSA_iPKfiiiSC_SC_iiiii
                                        ; -- End function
	.set _ZN4vllm25paged_attention_v1_kernelIfhLi64ELi8ELi128ELNS_18Fp8KVCacheDataTypeE1ELb1EEEvPT_PKS2_PKT0_S8_ifPKiSA_iPKfiiiSC_SC_iiiii.num_vgpr, 60
	.set _ZN4vllm25paged_attention_v1_kernelIfhLi64ELi8ELi128ELNS_18Fp8KVCacheDataTypeE1ELb1EEEvPT_PKS2_PKT0_S8_ifPKiSA_iPKfiiiSC_SC_iiiii.num_agpr, 0
	.set _ZN4vllm25paged_attention_v1_kernelIfhLi64ELi8ELi128ELNS_18Fp8KVCacheDataTypeE1ELb1EEEvPT_PKS2_PKT0_S8_ifPKiSA_iPKfiiiSC_SC_iiiii.numbered_sgpr, 46
	.set _ZN4vllm25paged_attention_v1_kernelIfhLi64ELi8ELi128ELNS_18Fp8KVCacheDataTypeE1ELb1EEEvPT_PKS2_PKT0_S8_ifPKiSA_iPKfiiiSC_SC_iiiii.num_named_barrier, 0
	.set _ZN4vllm25paged_attention_v1_kernelIfhLi64ELi8ELi128ELNS_18Fp8KVCacheDataTypeE1ELb1EEEvPT_PKS2_PKT0_S8_ifPKiSA_iPKfiiiSC_SC_iiiii.private_seg_size, 0
	.set _ZN4vllm25paged_attention_v1_kernelIfhLi64ELi8ELi128ELNS_18Fp8KVCacheDataTypeE1ELb1EEEvPT_PKS2_PKT0_S8_ifPKiSA_iPKfiiiSC_SC_iiiii.uses_vcc, 1
	.set _ZN4vllm25paged_attention_v1_kernelIfhLi64ELi8ELi128ELNS_18Fp8KVCacheDataTypeE1ELb1EEEvPT_PKS2_PKT0_S8_ifPKiSA_iPKfiiiSC_SC_iiiii.uses_flat_scratch, 0
	.set _ZN4vllm25paged_attention_v1_kernelIfhLi64ELi8ELi128ELNS_18Fp8KVCacheDataTypeE1ELb1EEEvPT_PKS2_PKT0_S8_ifPKiSA_iPKfiiiSC_SC_iiiii.has_dyn_sized_stack, 0
	.set _ZN4vllm25paged_attention_v1_kernelIfhLi64ELi8ELi128ELNS_18Fp8KVCacheDataTypeE1ELb1EEEvPT_PKS2_PKT0_S8_ifPKiSA_iPKfiiiSC_SC_iiiii.has_recursion, 0
	.set _ZN4vllm25paged_attention_v1_kernelIfhLi64ELi8ELi128ELNS_18Fp8KVCacheDataTypeE1ELb1EEEvPT_PKS2_PKT0_S8_ifPKiSA_iPKfiiiSC_SC_iiiii.has_indirect_call, 0
	.section	.AMDGPU.csdata,"",@progbits
; Kernel info:
; codeLenInByte = 10360
; TotalNumSgprs: 48
; NumVgprs: 60
; ScratchSize: 0
; MemoryBound: 0
; FloatMode: 240
; IeeeMode: 1
; LDSByteSize: 288 bytes/workgroup (compile time only)
; SGPRBlocks: 0
; VGPRBlocks: 7
; NumSGPRsForWavesPerEU: 48
; NumVGPRsForWavesPerEU: 60
; Occupancy: 16
; WaveLimiterHint : 1
; COMPUTE_PGM_RSRC2:SCRATCH_EN: 0
; COMPUTE_PGM_RSRC2:USER_SGPR: 6
; COMPUTE_PGM_RSRC2:TRAP_HANDLER: 0
; COMPUTE_PGM_RSRC2:TGID_X_EN: 1
; COMPUTE_PGM_RSRC2:TGID_Y_EN: 1
; COMPUTE_PGM_RSRC2:TGID_Z_EN: 1
; COMPUTE_PGM_RSRC2:TIDIG_COMP_CNT: 0
	.section	.text._ZN4vllm25paged_attention_v1_kernelIfhLi80ELi8ELi128ELNS_18Fp8KVCacheDataTypeE1ELb1EEEvPT_PKS2_PKT0_S8_ifPKiSA_iPKfiiiSC_SC_iiiii,"axG",@progbits,_ZN4vllm25paged_attention_v1_kernelIfhLi80ELi8ELi128ELNS_18Fp8KVCacheDataTypeE1ELb1EEEvPT_PKS2_PKT0_S8_ifPKiSA_iPKfiiiSC_SC_iiiii,comdat
	.protected	_ZN4vllm25paged_attention_v1_kernelIfhLi80ELi8ELi128ELNS_18Fp8KVCacheDataTypeE1ELb1EEEvPT_PKS2_PKT0_S8_ifPKiSA_iPKfiiiSC_SC_iiiii ; -- Begin function _ZN4vllm25paged_attention_v1_kernelIfhLi80ELi8ELi128ELNS_18Fp8KVCacheDataTypeE1ELb1EEEvPT_PKS2_PKT0_S8_ifPKiSA_iPKfiiiSC_SC_iiiii
	.globl	_ZN4vllm25paged_attention_v1_kernelIfhLi80ELi8ELi128ELNS_18Fp8KVCacheDataTypeE1ELb1EEEvPT_PKS2_PKT0_S8_ifPKiSA_iPKfiiiSC_SC_iiiii
	.p2align	8
	.type	_ZN4vllm25paged_attention_v1_kernelIfhLi80ELi8ELi128ELNS_18Fp8KVCacheDataTypeE1ELb1EEEvPT_PKS2_PKT0_S8_ifPKiSA_iPKfiiiSC_SC_iiiii,@function
_ZN4vllm25paged_attention_v1_kernelIfhLi80ELi8ELi128ELNS_18Fp8KVCacheDataTypeE1ELb1EEEvPT_PKS2_PKT0_S8_ifPKiSA_iPKfiiiSC_SC_iiiii: ; @_ZN4vllm25paged_attention_v1_kernelIfhLi80ELi8ELi128ELNS_18Fp8KVCacheDataTypeE1ELb1EEEvPT_PKS2_PKT0_S8_ifPKiSA_iPKfiiiSC_SC_iiiii
; %bb.0:
	s_clause 0x2
	s_load_dword s9, s[4:5], 0x80
	s_load_dwordx2 s[0:1], s[4:5], 0x30
	s_load_dwordx2 s[34:35], s[4:5], 0x20
	s_mov_b32 s10, s7
	s_ashr_i32 s11, s7, 31
	s_mov_b32 s36, 0
	s_lshl_b64 s[2:3], s[10:11], 2
	s_waitcnt lgkmcnt(0)
	s_add_u32 s0, s0, s2
	s_addc_u32 s1, s1, s3
	s_abs_i32 s2, s34
	s_abs_i32 s11, s9
	v_cvt_f32_u32_e32 v1, s2
	s_sub_i32 s7, 0, s2
	v_rcp_iflag_f32_e32 v1, v1
	v_mul_f32_e32 v1, 0x4f7ffffe, v1
	v_cvt_u32_f32_e32 v1, v1
	v_readfirstlane_b32 s3, v1
	s_mul_i32 s7, s7, s3
	s_mul_hi_u32 s7, s3, s7
	s_add_i32 s3, s3, s7
	s_xor_b32 s7, s9, s34
	s_mul_hi_u32 s3, s11, s3
	s_ashr_i32 s7, s7, 31
	s_mul_i32 s12, s3, s2
	s_sub_i32 s11, s11, s12
	s_add_i32 s12, s3, 1
	s_sub_i32 s13, s11, s2
	s_cmp_ge_u32 s11, s2
	s_cselect_b32 s3, s12, s3
	s_cselect_b32 s11, s13, s11
	s_add_i32 s12, s3, 1
	s_cmp_ge_u32 s11, s2
	s_cselect_b32 s2, s12, s3
	s_xor_b32 s2, s2, s7
	s_sub_i32 s14, s2, s7
	s_load_dwordx2 s[2:3], s[4:5], 0x40
	s_abs_i32 s11, s14
	v_cvt_f32_u32_e32 v1, s11
	s_sub_i32 s12, 0, s11
	v_rcp_iflag_f32_e32 v1, v1
	v_mul_f32_e32 v1, 0x4f7ffffe, v1
	v_cvt_u32_f32_e32 v1, v1
	v_readfirstlane_b32 s7, v1
	s_mul_i32 s12, s12, s7
	s_mul_hi_u32 s13, s7, s12
	s_abs_i32 s12, s6
	s_add_i32 s7, s7, s13
	s_waitcnt lgkmcnt(0)
	s_cmp_eq_u64 s[2:3], 0
	s_mul_hi_u32 s13, s12, s7
	s_cbranch_scc1 .LBB164_2
; %bb.1:
	s_ashr_i32 s7, s6, 31
	s_lshl_b64 s[16:17], s[6:7], 2
	s_add_u32 s2, s2, s16
	s_addc_u32 s3, s3, s17
	s_load_dword s36, s[2:3], 0x0
.LBB164_2:
	s_load_dword s33, s[0:1], 0x0
	s_load_dwordx4 s[16:19], s[4:5], 0x48
	v_and_b32_e32 v1, 3, v0
	v_lshlrev_b32_e32 v31, 2, v0
	s_ashr_i32 s0, s6, 31
	s_ashr_i32 s1, s14, 31
	s_mul_i32 s24, s6, 0x50
	s_mov_b32 s2, exec_lo
	v_cmpx_gt_u32_e32 0x50, v0
	s_cbranch_execz .LBB164_4
; %bb.3:
	s_load_dwordx2 s[14:15], s[4:5], 0x8
	s_waitcnt lgkmcnt(0)
	s_mul_i32 s20, s16, s10
	v_and_b32_e32 v3, 0x3fc, v0
	s_ashr_i32 s21, s20, 31
	s_lshl_b64 s[20:21], s[20:21], 2
	v_mad_u32_u24 v3, 0x50, v1, v3
	s_add_u32 s3, s14, s20
	s_addc_u32 s7, s15, s21
	s_ashr_i32 s25, s24, 31
	s_lshl_b64 s[14:15], s[24:25], 2
	s_add_u32 s14, s3, s14
	s_addc_u32 s15, s7, s15
	global_load_dword v2, v31, s[14:15]
	s_waitcnt vmcnt(0)
	ds_write_b32 v3, v2
.LBB164_4:
	s_or_b32 exec_lo, exec_lo, s2
	s_load_dwordx4 s[20:23], s[4:5], 0x68
	s_mul_i32 s2, s13, s11
	s_xor_b32 s1, s0, s1
	s_sub_i32 s0, s12, s2
	s_add_i32 s2, s13, 1
	s_sub_i32 s3, s0, s11
	s_cmp_ge_u32 s0, s11
	s_mov_b32 s12, -1
	s_cselect_b32 s2, s2, s13
	s_cselect_b32 s0, s3, s0
	s_add_i32 s3, s2, 1
	s_cmp_ge_u32 s0, s11
	s_load_dword s0, s[4:5], 0x78
	s_cselect_b32 s2, s3, s2
	s_waitcnt lgkmcnt(0)
	s_add_i32 s7, s33, -1
	s_xor_b32 s2, s2, s1
	s_abs_i32 s3, s7
	s_sub_i32 s1, s2, s1
	s_barrier
	s_abs_i32 s16, s23
	buffer_gl0_inv
	v_cvt_f32_u32_e32 v2, s16
	s_sub_i32 s2, 0, s16
                                        ; implicit-def: $sgpr25
	v_rcp_iflag_f32_e32 v2, v2
	v_mul_f32_e32 v2, 0x4f7ffffe, v2
	v_cvt_u32_f32_e32 v2, v2
	v_readfirstlane_b32 s19, v2
	s_mul_i32 s2, s2, s19
	s_mul_hi_u32 s2, s19, s2
	s_add_i32 s19, s19, s2
	s_cmp_lt_i32 s0, 0
	s_mul_hi_u32 s2, s3, s19
	s_cbranch_scc0 .LBB164_6
; %bb.5:
	s_mul_i32 s11, s20, s34
	s_mov_b32 s12, 0
	s_add_i32 s11, s1, s11
	s_mul_i32 s11, s11, s0
	s_sub_i32 s25, 1, s11
.LBB164_6:
	s_load_dwordx2 s[26:27], s[4:5], 0x28
	s_ashr_i32 s11, s7, 31
	s_andn2_b32 vcc_lo, exec_lo, s12
	s_ashr_i32 s23, s23, 31
	s_cbranch_vccnz .LBB164_8
; %bb.7:
	s_mul_i32 s7, s9, s20
	s_add_i32 s6, s7, s6
	s_mul_i32 s0, s6, s0
	s_add_i32 s25, s0, 1
.LBB164_8:
	s_clause 0x2
	s_load_dword s0, s[4:5], 0x38
	s_load_dwordx2 s[6:7], s[4:5], 0x0
	s_load_dwordx2 s[30:31], s[4:5], 0x18
	s_xor_b32 s34, s11, s23
	s_mul_i32 s11, s2, s16
	s_add_i32 s20, s2, 1
	s_sub_i32 s3, s3, s11
	s_clause 0x1
	s_load_dword s11, s[4:5], 0x88
	s_load_dwordx4 s[12:15], s[4:5], 0x58
	v_lshrrev_b32_e32 v29, 5, v0
	v_mov_b32_e32 v35, 0xff7fffff
	v_lshrrev_b32_e32 v32, 3, v0
	v_mbcnt_lo_u32_b32 v33, -1, 0
	s_mul_i32 s18, s1, s18
	v_lshlrev_b32_e32 v30, 3, v29
	s_waitcnt lgkmcnt(0)
	s_mul_i32 s28, s0, s10
	s_sub_i32 s0, s3, s16
	s_ashr_i32 s29, s28, 31
	s_cmp_ge_u32 s3, s16
	s_cselect_b32 s2, s20, s2
	s_cselect_b32 s0, s0, s3
	s_add_i32 s3, s2, 1
	s_cmp_ge_u32 s0, s16
	s_cselect_b32 s0, s3, s2
	s_add_i32 s2, s33, 7
	s_ashr_i32 s3, s2, 31
	s_lshr_b32 s3, s3, 29
	s_add_i32 s2, s2, s3
	s_ashr_i32 s20, s2, 3
	s_xor_b32 s2, s0, s34
	v_cmp_gt_i32_e64 s0, s20, v29
	s_sub_i32 s34, s2, s34
	s_and_saveexec_b32 s37, s0
	s_cbranch_execz .LBB164_180
; %bb.9:
	s_load_dwordx2 s[2:3], s[4:5], 0x10
	s_sub_i32 s4, s34, s21
	s_ashr_i32 s1, s18, 31
	v_bfe_u32 v34, v0, 2, 3
	v_and_b32_e32 v3, 0x7c, v32
	v_mov_b32_e32 v22, 0
	v_mul_u32_u24_e32 v36, 0x50, v1
	v_lshlrev_b32_e32 v37, 3, v29
	v_lshlrev_b32_e32 v4, 2, v34
	v_subrev_nc_u32_e32 v5, s33, v34
	v_lshlrev_b32_e32 v6, 4, v34
	v_mov_b32_e32 v38, 0xff7fffff
	v_mov_b32_e32 v39, 0x7f
	v_lshl_or_b32 v4, v29, 5, v4
	v_add_nc_u32_e32 v41, 1, v5
	v_mov_b32_e32 v40, 7
	v_mov_b32_e32 v35, 0xff7fffff
	;; [unrolled: 1-line block ×3, first 2 shown]
	v_add_nc_u32_e32 v42, 0x160, v4
	v_cmp_eq_u32_e32 vcc_lo, 0, v1
	s_waitcnt lgkmcnt(0)
	s_add_u32 s38, s2, s18
	s_addc_u32 s39, s3, s1
	s_abs_i32 s5, s22
	v_add_co_u32 v5, s38, s38, v6
	v_cvt_f32_u32_e32 v2, s5
	s_sub_i32 s2, 0, s5
	v_add_co_ci_u32_e64 v6, null, s39, 0, s38
	v_cmp_neq_f32_e64 s1, s36, 0
	v_rcp_iflag_f32_e32 v2, v2
	s_mov_b32 s38, 0
	s_mov_b32 s39, s17
	v_mul_f32_e32 v2, 0x4f7ffffe, v2
	v_cvt_u32_f32_e32 v2, v2
	v_mul_lo_u32 v4, s2, v2
	s_lshl_b64 s[2:3], s[28:29], 2
	s_add_u32 s2, s26, s2
	s_addc_u32 s3, s27, s3
	v_add_co_u32 v23, s2, s2, v3
	v_add_co_ci_u32_e64 v24, null, s3, 0, s2
	v_mul_hi_u32 v4, v2, v4
	v_add_co_u32 v25, s2, v5, v1
	v_add_co_ci_u32_e64 v26, null, 0, v6, s2
	v_add_nc_u32_e32 v43, v2, v4
	s_branch .LBB164_12
.LBB164_10:                             ;   in Loop: Header=BB164_12 Depth=1
	s_or_b32 exec_lo, exec_lo, s40
.LBB164_11:                             ;   in Loop: Header=BB164_12 Depth=1
	s_or_b32 exec_lo, exec_lo, s3
	v_add_nc_u32_e32 v44, 4, v44
	v_add_co_u32 v23, s3, v23, 16
	v_add_co_ci_u32_e64 v24, null, 0, v24, s3
	v_cmp_le_i32_e64 s2, s20, v44
	v_add_nc_u32_e32 v37, 32, v37
	v_add_nc_u32_e32 v42, 0x80, v42
	s_or_b32 s38, s2, s38
	s_andn2_b32 exec_lo, exec_lo, s38
	s_cbranch_execz .LBB164_179
.LBB164_12:                             ; =>This Inner Loop Header: Depth=1
	v_mul_hi_u32 v1, v37, s19
	s_waitcnt lgkmcnt(0)
	v_mul_lo_u32 v2, v1, s16
	v_add_nc_u32_e32 v3, 1, v1
	v_sub_nc_u32_e32 v2, v37, v2
	v_subrev_nc_u32_e32 v4, s16, v2
	v_cmp_le_u32_e64 s2, s16, v2
	v_cndmask_b32_e64 v1, v1, v3, s2
	v_cndmask_b32_e64 v2, v2, v4, s2
	v_add_nc_u32_e32 v3, 1, v1
	v_cmp_le_u32_e64 s2, s16, v2
	v_cndmask_b32_e64 v1, v1, v3, s2
	v_xor_b32_e32 v1, s23, v1
	v_subrev_nc_u32_e32 v1, s23, v1
	v_add_nc_u32_e32 v2, s25, v1
	v_cmp_ge_i32_e64 s3, s4, v1
	v_sub_nc_u32_e32 v3, 0, v2
	v_max_i32_e32 v3, v2, v3
	v_ashrrev_i32_e32 v2, 31, v2
	v_mul_hi_u32 v4, v3, v43
	v_mul_lo_u32 v4, v4, s5
	v_sub_nc_u32_e32 v3, v3, v4
	v_subrev_nc_u32_e32 v4, s5, v3
	v_cmp_le_u32_e64 s2, s5, v3
	v_cndmask_b32_e64 v3, v3, v4, s2
	v_subrev_nc_u32_e32 v4, s5, v3
	v_cmp_le_u32_e64 s2, s5, v3
	v_cndmask_b32_e64 v3, v3, v4, s2
	v_xor_b32_e32 v3, v3, v2
	v_sub_nc_u32_e32 v2, v3, v2
	v_cmp_ne_u32_e64 s2, 0, v2
	s_and_b32 s2, s2, s3
	s_and_saveexec_b32 s3, s2
	s_xor_b32 s2, exec_lo, s3
	s_cbranch_execz .LBB164_16
; %bb.13:                               ;   in Loop: Header=BB164_12 Depth=1
	s_and_saveexec_b32 s3, vcc_lo
; %bb.14:                               ;   in Loop: Header=BB164_12 Depth=1
	ds_write_b32 v42, v38
; %bb.15:                               ;   in Loop: Header=BB164_12 Depth=1
	s_or_b32 exec_lo, exec_lo, s3
.LBB164_16:                             ;   in Loop: Header=BB164_12 Depth=1
	s_andn2_saveexec_b32 s3, s2
	s_cbranch_execz .LBB164_11
; %bb.17:                               ;   in Loop: Header=BB164_12 Depth=1
	global_load_dword v1, v[23:24], off
	v_mov_b32_e32 v45, 0
	v_mov_b32_e32 v46, 0
	s_mov_b32 s41, exec_lo
	s_waitcnt vmcnt(0)
	v_mad_i64_i32 v[27:28], null, v1, s39, v[25:26]
	global_load_ubyte v47, v[27:28], off
	ds_read_b128 v[17:20], v36
	ds_read_b128 v[13:16], v36 offset:16
	ds_read_b128 v[9:12], v36 offset:32
	;; [unrolled: 1-line block ×4, first 2 shown]
	s_load_dword s40, s[12:13], 0x0
	s_waitcnt vmcnt(0)
	v_cmpx_ne_u16_e32 0, v47
	s_cbranch_execz .LBB164_25
; %bb.18:                               ;   in Loop: Header=BB164_12 Depth=1
	v_bfrev_b32_e32 v46, 1
	s_mov_b32 s42, exec_lo
	v_cmpx_ne_u16_e32 0x80, v47
	s_cbranch_execz .LBB164_24
; %bb.19:                               ;   in Loop: Header=BB164_12 Depth=1
	v_and_b32_sdwa v48, v47, v39 dst_sel:DWORD dst_unused:UNUSED_PAD src0_sel:WORD_0 src1_sel:DWORD
	v_mov_b32_e32 v46, 0x7f800001
	s_mov_b32 s43, exec_lo
	v_cmpx_ne_u32_e32 0x7f, v48
	s_cbranch_execz .LBB164_23
; %bb.20:                               ;   in Loop: Header=BB164_12 Depth=1
	v_and_b32_sdwa v21, v47, v40 dst_sel:DWORD dst_unused:UNUSED_PAD src0_sel:WORD_0 src1_sel:DWORD
	v_lshrrev_b32_e32 v46, 3, v48
	s_mov_b32 s44, exec_lo
	v_cmpx_gt_u32_e32 8, v48
; %bb.21:                               ;   in Loop: Header=BB164_12 Depth=1
	v_ffbh_u32_e32 v46, v21
	v_min_u32_e32 v46, 32, v46
	v_subrev_nc_u32_e32 v48, 28, v46
	v_sub_nc_u32_e32 v46, 29, v46
	v_lshlrev_b64 v[48:49], v48, v[21:22]
	v_and_b32_e32 v21, 7, v48
; %bb.22:                               ;   in Loop: Header=BB164_12 Depth=1
	s_or_b32 exec_lo, exec_lo, s44
	v_lshlrev_b32_e32 v47, 24, v47
	v_lshlrev_b32_e32 v21, 20, v21
	v_lshl_add_u32 v46, v46, 23, 0x3c000000
	v_and_b32_e32 v47, 0x80000000, v47
	v_or3_b32 v46, v21, v47, v46
.LBB164_23:                             ;   in Loop: Header=BB164_12 Depth=1
	s_or_b32 exec_lo, exec_lo, s43
.LBB164_24:                             ;   in Loop: Header=BB164_12 Depth=1
	s_or_b32 exec_lo, exec_lo, s42
.LBB164_25:                             ;   in Loop: Header=BB164_12 Depth=1
	s_or_b32 exec_lo, exec_lo, s41
	global_load_ubyte v47, v[27:28], off offset:4
	s_mov_b32 s41, exec_lo
	s_waitcnt vmcnt(0)
	v_cmpx_ne_u16_e32 0, v47
	s_cbranch_execz .LBB164_33
; %bb.26:                               ;   in Loop: Header=BB164_12 Depth=1
	v_bfrev_b32_e32 v45, 1
	s_mov_b32 s42, exec_lo
	v_cmpx_ne_u16_e32 0x80, v47
	s_cbranch_execz .LBB164_32
; %bb.27:                               ;   in Loop: Header=BB164_12 Depth=1
	v_and_b32_sdwa v48, v47, v39 dst_sel:DWORD dst_unused:UNUSED_PAD src0_sel:WORD_0 src1_sel:DWORD
	v_mov_b32_e32 v45, 0x7f800001
	s_mov_b32 s43, exec_lo
	v_cmpx_ne_u32_e32 0x7f, v48
	s_cbranch_execz .LBB164_31
; %bb.28:                               ;   in Loop: Header=BB164_12 Depth=1
	v_and_b32_sdwa v21, v47, v40 dst_sel:DWORD dst_unused:UNUSED_PAD src0_sel:WORD_0 src1_sel:DWORD
	v_lshrrev_b32_e32 v45, 3, v48
	s_mov_b32 s44, exec_lo
	v_cmpx_gt_u32_e32 8, v48
; %bb.29:                               ;   in Loop: Header=BB164_12 Depth=1
	v_ffbh_u32_e32 v45, v21
	v_min_u32_e32 v45, 32, v45
	v_subrev_nc_u32_e32 v48, 28, v45
	v_sub_nc_u32_e32 v45, 29, v45
	v_lshlrev_b64 v[48:49], v48, v[21:22]
	v_and_b32_e32 v21, 7, v48
; %bb.30:                               ;   in Loop: Header=BB164_12 Depth=1
	s_or_b32 exec_lo, exec_lo, s44
	v_lshlrev_b32_e32 v47, 24, v47
	v_lshlrev_b32_e32 v21, 20, v21
	v_lshl_add_u32 v45, v45, 23, 0x3c000000
	v_and_b32_e32 v47, 0x80000000, v47
	v_or3_b32 v45, v21, v47, v45
.LBB164_31:                             ;   in Loop: Header=BB164_12 Depth=1
	s_or_b32 exec_lo, exec_lo, s43
.LBB164_32:                             ;   in Loop: Header=BB164_12 Depth=1
	s_or_b32 exec_lo, exec_lo, s42
.LBB164_33:                             ;   in Loop: Header=BB164_12 Depth=1
	s_or_b32 exec_lo, exec_lo, s41
	global_load_ubyte v49, v[27:28], off offset:8
	v_mov_b32_e32 v47, 0
	v_mov_b32_e32 v48, 0
	s_mov_b32 s41, exec_lo
	s_waitcnt vmcnt(0)
	v_cmpx_ne_u16_e32 0, v49
	s_cbranch_execz .LBB164_41
; %bb.34:                               ;   in Loop: Header=BB164_12 Depth=1
	v_bfrev_b32_e32 v48, 1
	s_mov_b32 s42, exec_lo
	v_cmpx_ne_u16_e32 0x80, v49
	s_cbranch_execz .LBB164_40
; %bb.35:                               ;   in Loop: Header=BB164_12 Depth=1
	v_and_b32_sdwa v50, v49, v39 dst_sel:DWORD dst_unused:UNUSED_PAD src0_sel:WORD_0 src1_sel:DWORD
	v_mov_b32_e32 v48, 0x7f800001
	s_mov_b32 s43, exec_lo
	v_cmpx_ne_u32_e32 0x7f, v50
	s_cbranch_execz .LBB164_39
; %bb.36:                               ;   in Loop: Header=BB164_12 Depth=1
	v_and_b32_sdwa v21, v49, v40 dst_sel:DWORD dst_unused:UNUSED_PAD src0_sel:WORD_0 src1_sel:DWORD
	v_lshrrev_b32_e32 v48, 3, v50
	s_mov_b32 s44, exec_lo
	v_cmpx_gt_u32_e32 8, v50
; %bb.37:                               ;   in Loop: Header=BB164_12 Depth=1
	v_ffbh_u32_e32 v48, v21
	v_min_u32_e32 v48, 32, v48
	v_subrev_nc_u32_e32 v50, 28, v48
	v_sub_nc_u32_e32 v48, 29, v48
	v_lshlrev_b64 v[50:51], v50, v[21:22]
	v_and_b32_e32 v21, 7, v50
; %bb.38:                               ;   in Loop: Header=BB164_12 Depth=1
	s_or_b32 exec_lo, exec_lo, s44
	v_lshlrev_b32_e32 v49, 24, v49
	v_lshlrev_b32_e32 v21, 20, v21
	v_lshl_add_u32 v48, v48, 23, 0x3c000000
	v_and_b32_e32 v49, 0x80000000, v49
	v_or3_b32 v48, v21, v49, v48
.LBB164_39:                             ;   in Loop: Header=BB164_12 Depth=1
	s_or_b32 exec_lo, exec_lo, s43
.LBB164_40:                             ;   in Loop: Header=BB164_12 Depth=1
	s_or_b32 exec_lo, exec_lo, s42
.LBB164_41:                             ;   in Loop: Header=BB164_12 Depth=1
	s_or_b32 exec_lo, exec_lo, s41
	global_load_ubyte v49, v[27:28], off offset:12
	s_mov_b32 s41, exec_lo
	s_waitcnt vmcnt(0)
	v_cmpx_ne_u16_e32 0, v49
	s_cbranch_execz .LBB164_49
; %bb.42:                               ;   in Loop: Header=BB164_12 Depth=1
	v_bfrev_b32_e32 v47, 1
	s_mov_b32 s42, exec_lo
	v_cmpx_ne_u16_e32 0x80, v49
	s_cbranch_execz .LBB164_48
; %bb.43:                               ;   in Loop: Header=BB164_12 Depth=1
	v_and_b32_sdwa v50, v49, v39 dst_sel:DWORD dst_unused:UNUSED_PAD src0_sel:WORD_0 src1_sel:DWORD
	v_mov_b32_e32 v47, 0x7f800001
	s_mov_b32 s43, exec_lo
	v_cmpx_ne_u32_e32 0x7f, v50
	s_cbranch_execz .LBB164_47
; %bb.44:                               ;   in Loop: Header=BB164_12 Depth=1
	v_and_b32_sdwa v21, v49, v40 dst_sel:DWORD dst_unused:UNUSED_PAD src0_sel:WORD_0 src1_sel:DWORD
	v_lshrrev_b32_e32 v47, 3, v50
	s_mov_b32 s44, exec_lo
	v_cmpx_gt_u32_e32 8, v50
; %bb.45:                               ;   in Loop: Header=BB164_12 Depth=1
	v_ffbh_u32_e32 v47, v21
	v_min_u32_e32 v47, 32, v47
	v_subrev_nc_u32_e32 v50, 28, v47
	v_sub_nc_u32_e32 v47, 29, v47
	v_lshlrev_b64 v[50:51], v50, v[21:22]
	v_and_b32_e32 v21, 7, v50
; %bb.46:                               ;   in Loop: Header=BB164_12 Depth=1
	s_or_b32 exec_lo, exec_lo, s44
	v_lshlrev_b32_e32 v49, 24, v49
	v_lshlrev_b32_e32 v21, 20, v21
	v_lshl_add_u32 v47, v47, 23, 0x3c000000
	v_and_b32_e32 v49, 0x80000000, v49
	v_or3_b32 v47, v21, v49, v47
.LBB164_47:                             ;   in Loop: Header=BB164_12 Depth=1
	s_or_b32 exec_lo, exec_lo, s43
.LBB164_48:                             ;   in Loop: Header=BB164_12 Depth=1
	s_or_b32 exec_lo, exec_lo, s42
.LBB164_49:                             ;   in Loop: Header=BB164_12 Depth=1
	s_or_b32 exec_lo, exec_lo, s41
	global_load_ubyte v51, v[27:28], off offset:128
	v_mov_b32_e32 v49, 0
	v_mov_b32_e32 v50, 0
	s_mov_b32 s41, exec_lo
	s_waitcnt vmcnt(0)
	v_cmpx_ne_u16_e32 0, v51
	s_cbranch_execz .LBB164_57
; %bb.50:                               ;   in Loop: Header=BB164_12 Depth=1
	v_bfrev_b32_e32 v50, 1
	s_mov_b32 s42, exec_lo
	v_cmpx_ne_u16_e32 0x80, v51
	s_cbranch_execz .LBB164_56
; %bb.51:                               ;   in Loop: Header=BB164_12 Depth=1
	v_and_b32_sdwa v52, v51, v39 dst_sel:DWORD dst_unused:UNUSED_PAD src0_sel:WORD_0 src1_sel:DWORD
	v_mov_b32_e32 v50, 0x7f800001
	s_mov_b32 s43, exec_lo
	v_cmpx_ne_u32_e32 0x7f, v52
	s_cbranch_execz .LBB164_55
; %bb.52:                               ;   in Loop: Header=BB164_12 Depth=1
	v_and_b32_sdwa v21, v51, v40 dst_sel:DWORD dst_unused:UNUSED_PAD src0_sel:WORD_0 src1_sel:DWORD
	v_lshrrev_b32_e32 v50, 3, v52
	s_mov_b32 s44, exec_lo
	v_cmpx_gt_u32_e32 8, v52
; %bb.53:                               ;   in Loop: Header=BB164_12 Depth=1
	v_ffbh_u32_e32 v50, v21
	v_min_u32_e32 v50, 32, v50
	v_subrev_nc_u32_e32 v52, 28, v50
	v_sub_nc_u32_e32 v50, 29, v50
	v_lshlrev_b64 v[52:53], v52, v[21:22]
	v_and_b32_e32 v21, 7, v52
; %bb.54:                               ;   in Loop: Header=BB164_12 Depth=1
	s_or_b32 exec_lo, exec_lo, s44
	v_lshlrev_b32_e32 v51, 24, v51
	v_lshlrev_b32_e32 v21, 20, v21
	v_lshl_add_u32 v50, v50, 23, 0x3c000000
	v_and_b32_e32 v51, 0x80000000, v51
	v_or3_b32 v50, v21, v51, v50
.LBB164_55:                             ;   in Loop: Header=BB164_12 Depth=1
	s_or_b32 exec_lo, exec_lo, s43
.LBB164_56:                             ;   in Loop: Header=BB164_12 Depth=1
	s_or_b32 exec_lo, exec_lo, s42
.LBB164_57:                             ;   in Loop: Header=BB164_12 Depth=1
	s_or_b32 exec_lo, exec_lo, s41
	global_load_ubyte v51, v[27:28], off offset:132
	s_mov_b32 s41, exec_lo
	s_waitcnt vmcnt(0)
	v_cmpx_ne_u16_e32 0, v51
	s_cbranch_execz .LBB164_65
; %bb.58:                               ;   in Loop: Header=BB164_12 Depth=1
	v_bfrev_b32_e32 v49, 1
	s_mov_b32 s42, exec_lo
	v_cmpx_ne_u16_e32 0x80, v51
	s_cbranch_execz .LBB164_64
; %bb.59:                               ;   in Loop: Header=BB164_12 Depth=1
	v_and_b32_sdwa v52, v51, v39 dst_sel:DWORD dst_unused:UNUSED_PAD src0_sel:WORD_0 src1_sel:DWORD
	v_mov_b32_e32 v49, 0x7f800001
	s_mov_b32 s43, exec_lo
	v_cmpx_ne_u32_e32 0x7f, v52
	s_cbranch_execz .LBB164_63
; %bb.60:                               ;   in Loop: Header=BB164_12 Depth=1
	v_and_b32_sdwa v21, v51, v40 dst_sel:DWORD dst_unused:UNUSED_PAD src0_sel:WORD_0 src1_sel:DWORD
	v_lshrrev_b32_e32 v49, 3, v52
	s_mov_b32 s44, exec_lo
	v_cmpx_gt_u32_e32 8, v52
; %bb.61:                               ;   in Loop: Header=BB164_12 Depth=1
	v_ffbh_u32_e32 v49, v21
	v_min_u32_e32 v49, 32, v49
	v_subrev_nc_u32_e32 v52, 28, v49
	v_sub_nc_u32_e32 v49, 29, v49
	v_lshlrev_b64 v[52:53], v52, v[21:22]
	v_and_b32_e32 v21, 7, v52
; %bb.62:                               ;   in Loop: Header=BB164_12 Depth=1
	s_or_b32 exec_lo, exec_lo, s44
	v_lshlrev_b32_e32 v51, 24, v51
	v_lshlrev_b32_e32 v21, 20, v21
	v_lshl_add_u32 v49, v49, 23, 0x3c000000
	v_and_b32_e32 v51, 0x80000000, v51
	v_or3_b32 v49, v21, v51, v49
.LBB164_63:                             ;   in Loop: Header=BB164_12 Depth=1
	s_or_b32 exec_lo, exec_lo, s43
.LBB164_64:                             ;   in Loop: Header=BB164_12 Depth=1
	s_or_b32 exec_lo, exec_lo, s42
.LBB164_65:                             ;   in Loop: Header=BB164_12 Depth=1
	s_or_b32 exec_lo, exec_lo, s41
	global_load_ubyte v53, v[27:28], off offset:136
	v_mov_b32_e32 v51, 0
	v_mov_b32_e32 v52, 0
	s_mov_b32 s41, exec_lo
	s_waitcnt vmcnt(0)
	v_cmpx_ne_u16_e32 0, v53
	s_cbranch_execz .LBB164_73
; %bb.66:                               ;   in Loop: Header=BB164_12 Depth=1
	v_bfrev_b32_e32 v52, 1
	s_mov_b32 s42, exec_lo
	v_cmpx_ne_u16_e32 0x80, v53
	s_cbranch_execz .LBB164_72
; %bb.67:                               ;   in Loop: Header=BB164_12 Depth=1
	v_and_b32_sdwa v54, v53, v39 dst_sel:DWORD dst_unused:UNUSED_PAD src0_sel:WORD_0 src1_sel:DWORD
	v_mov_b32_e32 v52, 0x7f800001
	s_mov_b32 s43, exec_lo
	v_cmpx_ne_u32_e32 0x7f, v54
	s_cbranch_execz .LBB164_71
; %bb.68:                               ;   in Loop: Header=BB164_12 Depth=1
	v_and_b32_sdwa v21, v53, v40 dst_sel:DWORD dst_unused:UNUSED_PAD src0_sel:WORD_0 src1_sel:DWORD
	v_lshrrev_b32_e32 v52, 3, v54
	s_mov_b32 s44, exec_lo
	v_cmpx_gt_u32_e32 8, v54
; %bb.69:                               ;   in Loop: Header=BB164_12 Depth=1
	v_ffbh_u32_e32 v52, v21
	v_min_u32_e32 v52, 32, v52
	v_subrev_nc_u32_e32 v54, 28, v52
	v_sub_nc_u32_e32 v52, 29, v52
	v_lshlrev_b64 v[54:55], v54, v[21:22]
	v_and_b32_e32 v21, 7, v54
; %bb.70:                               ;   in Loop: Header=BB164_12 Depth=1
	s_or_b32 exec_lo, exec_lo, s44
	v_lshlrev_b32_e32 v53, 24, v53
	v_lshlrev_b32_e32 v21, 20, v21
	v_lshl_add_u32 v52, v52, 23, 0x3c000000
	v_and_b32_e32 v53, 0x80000000, v53
	v_or3_b32 v52, v21, v53, v52
.LBB164_71:                             ;   in Loop: Header=BB164_12 Depth=1
	s_or_b32 exec_lo, exec_lo, s43
.LBB164_72:                             ;   in Loop: Header=BB164_12 Depth=1
	s_or_b32 exec_lo, exec_lo, s42
.LBB164_73:                             ;   in Loop: Header=BB164_12 Depth=1
	s_or_b32 exec_lo, exec_lo, s41
	global_load_ubyte v53, v[27:28], off offset:140
	s_mov_b32 s41, exec_lo
	s_waitcnt vmcnt(0)
	v_cmpx_ne_u16_e32 0, v53
	s_cbranch_execz .LBB164_81
; %bb.74:                               ;   in Loop: Header=BB164_12 Depth=1
	v_bfrev_b32_e32 v51, 1
	s_mov_b32 s42, exec_lo
	v_cmpx_ne_u16_e32 0x80, v53
	s_cbranch_execz .LBB164_80
; %bb.75:                               ;   in Loop: Header=BB164_12 Depth=1
	v_and_b32_sdwa v54, v53, v39 dst_sel:DWORD dst_unused:UNUSED_PAD src0_sel:WORD_0 src1_sel:DWORD
	v_mov_b32_e32 v51, 0x7f800001
	s_mov_b32 s43, exec_lo
	v_cmpx_ne_u32_e32 0x7f, v54
	s_cbranch_execz .LBB164_79
; %bb.76:                               ;   in Loop: Header=BB164_12 Depth=1
	v_and_b32_sdwa v21, v53, v40 dst_sel:DWORD dst_unused:UNUSED_PAD src0_sel:WORD_0 src1_sel:DWORD
	v_lshrrev_b32_e32 v51, 3, v54
	s_mov_b32 s44, exec_lo
	v_cmpx_gt_u32_e32 8, v54
; %bb.77:                               ;   in Loop: Header=BB164_12 Depth=1
	v_ffbh_u32_e32 v51, v21
	v_min_u32_e32 v51, 32, v51
	v_subrev_nc_u32_e32 v54, 28, v51
	v_sub_nc_u32_e32 v51, 29, v51
	v_lshlrev_b64 v[54:55], v54, v[21:22]
	v_and_b32_e32 v21, 7, v54
; %bb.78:                               ;   in Loop: Header=BB164_12 Depth=1
	s_or_b32 exec_lo, exec_lo, s44
	v_lshlrev_b32_e32 v53, 24, v53
	v_lshlrev_b32_e32 v21, 20, v21
	v_lshl_add_u32 v51, v51, 23, 0x3c000000
	v_and_b32_e32 v53, 0x80000000, v53
	v_or3_b32 v51, v21, v53, v51
.LBB164_79:                             ;   in Loop: Header=BB164_12 Depth=1
	s_or_b32 exec_lo, exec_lo, s43
.LBB164_80:                             ;   in Loop: Header=BB164_12 Depth=1
	s_or_b32 exec_lo, exec_lo, s42
.LBB164_81:                             ;   in Loop: Header=BB164_12 Depth=1
	s_or_b32 exec_lo, exec_lo, s41
	global_load_ubyte v55, v[27:28], off offset:256
	v_mov_b32_e32 v53, 0
	v_mov_b32_e32 v54, 0
	s_mov_b32 s41, exec_lo
	s_waitcnt vmcnt(0)
	v_cmpx_ne_u16_e32 0, v55
	s_cbranch_execz .LBB164_89
; %bb.82:                               ;   in Loop: Header=BB164_12 Depth=1
	v_bfrev_b32_e32 v54, 1
	s_mov_b32 s42, exec_lo
	v_cmpx_ne_u16_e32 0x80, v55
	s_cbranch_execz .LBB164_88
; %bb.83:                               ;   in Loop: Header=BB164_12 Depth=1
	v_and_b32_sdwa v56, v55, v39 dst_sel:DWORD dst_unused:UNUSED_PAD src0_sel:WORD_0 src1_sel:DWORD
	v_mov_b32_e32 v54, 0x7f800001
	s_mov_b32 s43, exec_lo
	v_cmpx_ne_u32_e32 0x7f, v56
	s_cbranch_execz .LBB164_87
; %bb.84:                               ;   in Loop: Header=BB164_12 Depth=1
	v_and_b32_sdwa v21, v55, v40 dst_sel:DWORD dst_unused:UNUSED_PAD src0_sel:WORD_0 src1_sel:DWORD
	v_lshrrev_b32_e32 v54, 3, v56
	s_mov_b32 s44, exec_lo
	v_cmpx_gt_u32_e32 8, v56
; %bb.85:                               ;   in Loop: Header=BB164_12 Depth=1
	v_ffbh_u32_e32 v54, v21
	v_min_u32_e32 v54, 32, v54
	v_subrev_nc_u32_e32 v56, 28, v54
	v_sub_nc_u32_e32 v54, 29, v54
	v_lshlrev_b64 v[56:57], v56, v[21:22]
	v_and_b32_e32 v21, 7, v56
; %bb.86:                               ;   in Loop: Header=BB164_12 Depth=1
	s_or_b32 exec_lo, exec_lo, s44
	v_lshlrev_b32_e32 v55, 24, v55
	v_lshlrev_b32_e32 v21, 20, v21
	v_lshl_add_u32 v54, v54, 23, 0x3c000000
	v_and_b32_e32 v55, 0x80000000, v55
	v_or3_b32 v54, v21, v55, v54
.LBB164_87:                             ;   in Loop: Header=BB164_12 Depth=1
	s_or_b32 exec_lo, exec_lo, s43
.LBB164_88:                             ;   in Loop: Header=BB164_12 Depth=1
	s_or_b32 exec_lo, exec_lo, s42
.LBB164_89:                             ;   in Loop: Header=BB164_12 Depth=1
	s_or_b32 exec_lo, exec_lo, s41
	global_load_ubyte v55, v[27:28], off offset:260
	s_mov_b32 s41, exec_lo
	s_waitcnt vmcnt(0)
	v_cmpx_ne_u16_e32 0, v55
	s_cbranch_execz .LBB164_97
; %bb.90:                               ;   in Loop: Header=BB164_12 Depth=1
	v_bfrev_b32_e32 v53, 1
	s_mov_b32 s42, exec_lo
	v_cmpx_ne_u16_e32 0x80, v55
	s_cbranch_execz .LBB164_96
; %bb.91:                               ;   in Loop: Header=BB164_12 Depth=1
	v_and_b32_sdwa v56, v55, v39 dst_sel:DWORD dst_unused:UNUSED_PAD src0_sel:WORD_0 src1_sel:DWORD
	v_mov_b32_e32 v53, 0x7f800001
	s_mov_b32 s43, exec_lo
	v_cmpx_ne_u32_e32 0x7f, v56
	s_cbranch_execz .LBB164_95
; %bb.92:                               ;   in Loop: Header=BB164_12 Depth=1
	v_and_b32_sdwa v21, v55, v40 dst_sel:DWORD dst_unused:UNUSED_PAD src0_sel:WORD_0 src1_sel:DWORD
	v_lshrrev_b32_e32 v53, 3, v56
	s_mov_b32 s44, exec_lo
	v_cmpx_gt_u32_e32 8, v56
; %bb.93:                               ;   in Loop: Header=BB164_12 Depth=1
	v_ffbh_u32_e32 v53, v21
	v_min_u32_e32 v53, 32, v53
	v_subrev_nc_u32_e32 v56, 28, v53
	v_sub_nc_u32_e32 v53, 29, v53
	v_lshlrev_b64 v[56:57], v56, v[21:22]
	v_and_b32_e32 v21, 7, v56
; %bb.94:                               ;   in Loop: Header=BB164_12 Depth=1
	s_or_b32 exec_lo, exec_lo, s44
	v_lshlrev_b32_e32 v55, 24, v55
	v_lshlrev_b32_e32 v21, 20, v21
	v_lshl_add_u32 v53, v53, 23, 0x3c000000
	v_and_b32_e32 v55, 0x80000000, v55
	v_or3_b32 v53, v21, v55, v53
.LBB164_95:                             ;   in Loop: Header=BB164_12 Depth=1
	s_or_b32 exec_lo, exec_lo, s43
.LBB164_96:                             ;   in Loop: Header=BB164_12 Depth=1
	s_or_b32 exec_lo, exec_lo, s42
.LBB164_97:                             ;   in Loop: Header=BB164_12 Depth=1
	s_or_b32 exec_lo, exec_lo, s41
	global_load_ubyte v57, v[27:28], off offset:264
	v_mov_b32_e32 v55, 0
	v_mov_b32_e32 v56, 0
	s_mov_b32 s41, exec_lo
	s_waitcnt vmcnt(0)
	v_cmpx_ne_u16_e32 0, v57
	s_cbranch_execz .LBB164_105
; %bb.98:                               ;   in Loop: Header=BB164_12 Depth=1
	v_bfrev_b32_e32 v56, 1
	s_mov_b32 s42, exec_lo
	v_cmpx_ne_u16_e32 0x80, v57
	s_cbranch_execz .LBB164_104
; %bb.99:                               ;   in Loop: Header=BB164_12 Depth=1
	v_and_b32_sdwa v58, v57, v39 dst_sel:DWORD dst_unused:UNUSED_PAD src0_sel:WORD_0 src1_sel:DWORD
	v_mov_b32_e32 v56, 0x7f800001
	s_mov_b32 s43, exec_lo
	v_cmpx_ne_u32_e32 0x7f, v58
	s_cbranch_execz .LBB164_103
; %bb.100:                              ;   in Loop: Header=BB164_12 Depth=1
	v_and_b32_sdwa v21, v57, v40 dst_sel:DWORD dst_unused:UNUSED_PAD src0_sel:WORD_0 src1_sel:DWORD
	v_lshrrev_b32_e32 v56, 3, v58
	s_mov_b32 s44, exec_lo
	v_cmpx_gt_u32_e32 8, v58
; %bb.101:                              ;   in Loop: Header=BB164_12 Depth=1
	v_ffbh_u32_e32 v56, v21
	v_min_u32_e32 v56, 32, v56
	v_subrev_nc_u32_e32 v58, 28, v56
	v_sub_nc_u32_e32 v56, 29, v56
	v_lshlrev_b64 v[58:59], v58, v[21:22]
	v_and_b32_e32 v21, 7, v58
; %bb.102:                              ;   in Loop: Header=BB164_12 Depth=1
	s_or_b32 exec_lo, exec_lo, s44
	v_lshlrev_b32_e32 v57, 24, v57
	v_lshlrev_b32_e32 v21, 20, v21
	v_lshl_add_u32 v56, v56, 23, 0x3c000000
	v_and_b32_e32 v57, 0x80000000, v57
	v_or3_b32 v56, v21, v57, v56
.LBB164_103:                            ;   in Loop: Header=BB164_12 Depth=1
	s_or_b32 exec_lo, exec_lo, s43
.LBB164_104:                            ;   in Loop: Header=BB164_12 Depth=1
	s_or_b32 exec_lo, exec_lo, s42
.LBB164_105:                            ;   in Loop: Header=BB164_12 Depth=1
	s_or_b32 exec_lo, exec_lo, s41
	global_load_ubyte v57, v[27:28], off offset:268
	s_mov_b32 s41, exec_lo
	s_waitcnt vmcnt(0)
	v_cmpx_ne_u16_e32 0, v57
	s_cbranch_execz .LBB164_113
; %bb.106:                              ;   in Loop: Header=BB164_12 Depth=1
	v_bfrev_b32_e32 v55, 1
	s_mov_b32 s42, exec_lo
	v_cmpx_ne_u16_e32 0x80, v57
	s_cbranch_execz .LBB164_112
; %bb.107:                              ;   in Loop: Header=BB164_12 Depth=1
	v_and_b32_sdwa v58, v57, v39 dst_sel:DWORD dst_unused:UNUSED_PAD src0_sel:WORD_0 src1_sel:DWORD
	v_mov_b32_e32 v55, 0x7f800001
	s_mov_b32 s43, exec_lo
	v_cmpx_ne_u32_e32 0x7f, v58
	s_cbranch_execz .LBB164_111
; %bb.108:                              ;   in Loop: Header=BB164_12 Depth=1
	v_and_b32_sdwa v21, v57, v40 dst_sel:DWORD dst_unused:UNUSED_PAD src0_sel:WORD_0 src1_sel:DWORD
	v_lshrrev_b32_e32 v55, 3, v58
	s_mov_b32 s44, exec_lo
	v_cmpx_gt_u32_e32 8, v58
; %bb.109:                              ;   in Loop: Header=BB164_12 Depth=1
	v_ffbh_u32_e32 v55, v21
	v_min_u32_e32 v55, 32, v55
	v_subrev_nc_u32_e32 v58, 28, v55
	v_sub_nc_u32_e32 v55, 29, v55
	v_lshlrev_b64 v[58:59], v58, v[21:22]
	v_and_b32_e32 v21, 7, v58
; %bb.110:                              ;   in Loop: Header=BB164_12 Depth=1
	s_or_b32 exec_lo, exec_lo, s44
	v_lshlrev_b32_e32 v57, 24, v57
	v_lshlrev_b32_e32 v21, 20, v21
	v_lshl_add_u32 v55, v55, 23, 0x3c000000
	v_and_b32_e32 v57, 0x80000000, v57
	v_or3_b32 v55, v21, v57, v55
.LBB164_111:                            ;   in Loop: Header=BB164_12 Depth=1
	s_or_b32 exec_lo, exec_lo, s43
.LBB164_112:                            ;   in Loop: Header=BB164_12 Depth=1
	s_or_b32 exec_lo, exec_lo, s42
.LBB164_113:                            ;   in Loop: Header=BB164_12 Depth=1
	s_or_b32 exec_lo, exec_lo, s41
	global_load_ubyte v59, v[27:28], off offset:384
	v_mov_b32_e32 v57, 0
	v_mov_b32_e32 v58, 0
	s_mov_b32 s41, exec_lo
	s_waitcnt vmcnt(0)
	v_cmpx_ne_u16_e32 0, v59
	s_cbranch_execz .LBB164_121
; %bb.114:                              ;   in Loop: Header=BB164_12 Depth=1
	v_bfrev_b32_e32 v58, 1
	s_mov_b32 s42, exec_lo
	v_cmpx_ne_u16_e32 0x80, v59
	s_cbranch_execz .LBB164_120
; %bb.115:                              ;   in Loop: Header=BB164_12 Depth=1
	v_and_b32_sdwa v60, v59, v39 dst_sel:DWORD dst_unused:UNUSED_PAD src0_sel:WORD_0 src1_sel:DWORD
	v_mov_b32_e32 v58, 0x7f800001
	s_mov_b32 s43, exec_lo
	v_cmpx_ne_u32_e32 0x7f, v60
	s_cbranch_execz .LBB164_119
; %bb.116:                              ;   in Loop: Header=BB164_12 Depth=1
	v_and_b32_sdwa v21, v59, v40 dst_sel:DWORD dst_unused:UNUSED_PAD src0_sel:WORD_0 src1_sel:DWORD
	v_lshrrev_b32_e32 v58, 3, v60
	s_mov_b32 s44, exec_lo
	v_cmpx_gt_u32_e32 8, v60
; %bb.117:                              ;   in Loop: Header=BB164_12 Depth=1
	v_ffbh_u32_e32 v58, v21
	v_min_u32_e32 v58, 32, v58
	v_subrev_nc_u32_e32 v60, 28, v58
	v_sub_nc_u32_e32 v58, 29, v58
	v_lshlrev_b64 v[60:61], v60, v[21:22]
	v_and_b32_e32 v21, 7, v60
; %bb.118:                              ;   in Loop: Header=BB164_12 Depth=1
	s_or_b32 exec_lo, exec_lo, s44
	v_lshlrev_b32_e32 v59, 24, v59
	v_lshlrev_b32_e32 v21, 20, v21
	v_lshl_add_u32 v58, v58, 23, 0x3c000000
	v_and_b32_e32 v59, 0x80000000, v59
	v_or3_b32 v58, v21, v59, v58
.LBB164_119:                            ;   in Loop: Header=BB164_12 Depth=1
	s_or_b32 exec_lo, exec_lo, s43
.LBB164_120:                            ;   in Loop: Header=BB164_12 Depth=1
	s_or_b32 exec_lo, exec_lo, s42
.LBB164_121:                            ;   in Loop: Header=BB164_12 Depth=1
	s_or_b32 exec_lo, exec_lo, s41
	global_load_ubyte v59, v[27:28], off offset:388
	s_mov_b32 s41, exec_lo
	s_waitcnt vmcnt(0)
	v_cmpx_ne_u16_e32 0, v59
	s_cbranch_execz .LBB164_129
; %bb.122:                              ;   in Loop: Header=BB164_12 Depth=1
	v_bfrev_b32_e32 v57, 1
	s_mov_b32 s42, exec_lo
	v_cmpx_ne_u16_e32 0x80, v59
	s_cbranch_execz .LBB164_128
; %bb.123:                              ;   in Loop: Header=BB164_12 Depth=1
	v_and_b32_sdwa v60, v59, v39 dst_sel:DWORD dst_unused:UNUSED_PAD src0_sel:WORD_0 src1_sel:DWORD
	v_mov_b32_e32 v57, 0x7f800001
	s_mov_b32 s43, exec_lo
	v_cmpx_ne_u32_e32 0x7f, v60
	s_cbranch_execz .LBB164_127
; %bb.124:                              ;   in Loop: Header=BB164_12 Depth=1
	v_and_b32_sdwa v21, v59, v40 dst_sel:DWORD dst_unused:UNUSED_PAD src0_sel:WORD_0 src1_sel:DWORD
	v_lshrrev_b32_e32 v57, 3, v60
	s_mov_b32 s44, exec_lo
	v_cmpx_gt_u32_e32 8, v60
; %bb.125:                              ;   in Loop: Header=BB164_12 Depth=1
	v_ffbh_u32_e32 v57, v21
	v_min_u32_e32 v57, 32, v57
	v_subrev_nc_u32_e32 v60, 28, v57
	v_sub_nc_u32_e32 v57, 29, v57
	v_lshlrev_b64 v[60:61], v60, v[21:22]
	v_and_b32_e32 v21, 7, v60
; %bb.126:                              ;   in Loop: Header=BB164_12 Depth=1
	s_or_b32 exec_lo, exec_lo, s44
	v_lshlrev_b32_e32 v59, 24, v59
	v_lshlrev_b32_e32 v21, 20, v21
	v_lshl_add_u32 v57, v57, 23, 0x3c000000
	v_and_b32_e32 v59, 0x80000000, v59
	v_or3_b32 v57, v21, v59, v57
.LBB164_127:                            ;   in Loop: Header=BB164_12 Depth=1
	s_or_b32 exec_lo, exec_lo, s43
.LBB164_128:                            ;   in Loop: Header=BB164_12 Depth=1
	s_or_b32 exec_lo, exec_lo, s42
.LBB164_129:                            ;   in Loop: Header=BB164_12 Depth=1
	s_or_b32 exec_lo, exec_lo, s41
	global_load_ubyte v61, v[27:28], off offset:392
	v_mov_b32_e32 v59, 0
	v_mov_b32_e32 v60, 0
	s_mov_b32 s41, exec_lo
	s_waitcnt vmcnt(0)
	v_cmpx_ne_u16_e32 0, v61
	s_cbranch_execz .LBB164_137
; %bb.130:                              ;   in Loop: Header=BB164_12 Depth=1
	v_bfrev_b32_e32 v60, 1
	s_mov_b32 s42, exec_lo
	v_cmpx_ne_u16_e32 0x80, v61
	s_cbranch_execz .LBB164_136
; %bb.131:                              ;   in Loop: Header=BB164_12 Depth=1
	v_and_b32_sdwa v62, v61, v39 dst_sel:DWORD dst_unused:UNUSED_PAD src0_sel:WORD_0 src1_sel:DWORD
	v_mov_b32_e32 v60, 0x7f800001
	s_mov_b32 s43, exec_lo
	v_cmpx_ne_u32_e32 0x7f, v62
	s_cbranch_execz .LBB164_135
; %bb.132:                              ;   in Loop: Header=BB164_12 Depth=1
	v_and_b32_sdwa v21, v61, v40 dst_sel:DWORD dst_unused:UNUSED_PAD src0_sel:WORD_0 src1_sel:DWORD
	v_lshrrev_b32_e32 v60, 3, v62
	s_mov_b32 s44, exec_lo
	v_cmpx_gt_u32_e32 8, v62
; %bb.133:                              ;   in Loop: Header=BB164_12 Depth=1
	v_ffbh_u32_e32 v60, v21
	v_min_u32_e32 v60, 32, v60
	v_subrev_nc_u32_e32 v62, 28, v60
	v_sub_nc_u32_e32 v60, 29, v60
	v_lshlrev_b64 v[62:63], v62, v[21:22]
	v_and_b32_e32 v21, 7, v62
; %bb.134:                              ;   in Loop: Header=BB164_12 Depth=1
	s_or_b32 exec_lo, exec_lo, s44
	v_lshlrev_b32_e32 v61, 24, v61
	v_lshlrev_b32_e32 v21, 20, v21
	v_lshl_add_u32 v60, v60, 23, 0x3c000000
	v_and_b32_e32 v61, 0x80000000, v61
	v_or3_b32 v60, v21, v61, v60
.LBB164_135:                            ;   in Loop: Header=BB164_12 Depth=1
	s_or_b32 exec_lo, exec_lo, s43
.LBB164_136:                            ;   in Loop: Header=BB164_12 Depth=1
	s_or_b32 exec_lo, exec_lo, s42
.LBB164_137:                            ;   in Loop: Header=BB164_12 Depth=1
	s_or_b32 exec_lo, exec_lo, s41
	global_load_ubyte v61, v[27:28], off offset:396
	s_mov_b32 s41, exec_lo
	s_waitcnt vmcnt(0)
	v_cmpx_ne_u16_e32 0, v61
	s_cbranch_execz .LBB164_145
; %bb.138:                              ;   in Loop: Header=BB164_12 Depth=1
	v_bfrev_b32_e32 v59, 1
	s_mov_b32 s42, exec_lo
	v_cmpx_ne_u16_e32 0x80, v61
	s_cbranch_execz .LBB164_144
; %bb.139:                              ;   in Loop: Header=BB164_12 Depth=1
	v_and_b32_sdwa v62, v61, v39 dst_sel:DWORD dst_unused:UNUSED_PAD src0_sel:WORD_0 src1_sel:DWORD
	v_mov_b32_e32 v59, 0x7f800001
	s_mov_b32 s43, exec_lo
	v_cmpx_ne_u32_e32 0x7f, v62
	s_cbranch_execz .LBB164_143
; %bb.140:                              ;   in Loop: Header=BB164_12 Depth=1
	v_and_b32_sdwa v21, v61, v40 dst_sel:DWORD dst_unused:UNUSED_PAD src0_sel:WORD_0 src1_sel:DWORD
	v_lshrrev_b32_e32 v59, 3, v62
	s_mov_b32 s44, exec_lo
	v_cmpx_gt_u32_e32 8, v62
; %bb.141:                              ;   in Loop: Header=BB164_12 Depth=1
	v_ffbh_u32_e32 v59, v21
	v_min_u32_e32 v59, 32, v59
	v_subrev_nc_u32_e32 v62, 28, v59
	v_sub_nc_u32_e32 v59, 29, v59
	v_lshlrev_b64 v[62:63], v62, v[21:22]
	v_and_b32_e32 v21, 7, v62
; %bb.142:                              ;   in Loop: Header=BB164_12 Depth=1
	s_or_b32 exec_lo, exec_lo, s44
	v_lshlrev_b32_e32 v61, 24, v61
	v_lshlrev_b32_e32 v21, 20, v21
	v_lshl_add_u32 v59, v59, 23, 0x3c000000
	v_and_b32_e32 v61, 0x80000000, v61
	v_or3_b32 v59, v21, v61, v59
.LBB164_143:                            ;   in Loop: Header=BB164_12 Depth=1
	s_or_b32 exec_lo, exec_lo, s43
.LBB164_144:                            ;   in Loop: Header=BB164_12 Depth=1
	s_or_b32 exec_lo, exec_lo, s42
.LBB164_145:                            ;   in Loop: Header=BB164_12 Depth=1
	s_or_b32 exec_lo, exec_lo, s41
	global_load_ubyte v63, v[27:28], off offset:512
	v_mov_b32_e32 v61, 0
	v_mov_b32_e32 v62, 0
	s_mov_b32 s41, exec_lo
	s_waitcnt vmcnt(0)
	v_cmpx_ne_u16_e32 0, v63
	s_cbranch_execz .LBB164_153
; %bb.146:                              ;   in Loop: Header=BB164_12 Depth=1
	v_bfrev_b32_e32 v62, 1
	s_mov_b32 s42, exec_lo
	v_cmpx_ne_u16_e32 0x80, v63
	s_cbranch_execz .LBB164_152
; %bb.147:                              ;   in Loop: Header=BB164_12 Depth=1
	v_and_b32_sdwa v64, v63, v39 dst_sel:DWORD dst_unused:UNUSED_PAD src0_sel:WORD_0 src1_sel:DWORD
	v_mov_b32_e32 v62, 0x7f800001
	s_mov_b32 s43, exec_lo
	v_cmpx_ne_u32_e32 0x7f, v64
	s_cbranch_execz .LBB164_151
; %bb.148:                              ;   in Loop: Header=BB164_12 Depth=1
	v_and_b32_sdwa v21, v63, v40 dst_sel:DWORD dst_unused:UNUSED_PAD src0_sel:WORD_0 src1_sel:DWORD
	v_lshrrev_b32_e32 v62, 3, v64
	s_mov_b32 s44, exec_lo
	v_cmpx_gt_u32_e32 8, v64
; %bb.149:                              ;   in Loop: Header=BB164_12 Depth=1
	v_ffbh_u32_e32 v62, v21
	v_min_u32_e32 v62, 32, v62
	v_subrev_nc_u32_e32 v64, 28, v62
	v_sub_nc_u32_e32 v62, 29, v62
	v_lshlrev_b64 v[64:65], v64, v[21:22]
	v_and_b32_e32 v21, 7, v64
; %bb.150:                              ;   in Loop: Header=BB164_12 Depth=1
	s_or_b32 exec_lo, exec_lo, s44
	v_lshlrev_b32_e32 v63, 24, v63
	v_lshlrev_b32_e32 v21, 20, v21
	v_lshl_add_u32 v62, v62, 23, 0x3c000000
	v_and_b32_e32 v63, 0x80000000, v63
	v_or3_b32 v62, v21, v63, v62
.LBB164_151:                            ;   in Loop: Header=BB164_12 Depth=1
	s_or_b32 exec_lo, exec_lo, s43
.LBB164_152:                            ;   in Loop: Header=BB164_12 Depth=1
	s_or_b32 exec_lo, exec_lo, s42
.LBB164_153:                            ;   in Loop: Header=BB164_12 Depth=1
	s_or_b32 exec_lo, exec_lo, s41
	global_load_ubyte v63, v[27:28], off offset:516
	s_mov_b32 s41, exec_lo
	s_waitcnt vmcnt(0)
	v_cmpx_ne_u16_e32 0, v63
	s_cbranch_execz .LBB164_161
; %bb.154:                              ;   in Loop: Header=BB164_12 Depth=1
	v_bfrev_b32_e32 v61, 1
	s_mov_b32 s42, exec_lo
	v_cmpx_ne_u16_e32 0x80, v63
	s_cbranch_execz .LBB164_160
; %bb.155:                              ;   in Loop: Header=BB164_12 Depth=1
	v_and_b32_sdwa v64, v63, v39 dst_sel:DWORD dst_unused:UNUSED_PAD src0_sel:WORD_0 src1_sel:DWORD
	v_mov_b32_e32 v61, 0x7f800001
	s_mov_b32 s43, exec_lo
	v_cmpx_ne_u32_e32 0x7f, v64
	s_cbranch_execz .LBB164_159
; %bb.156:                              ;   in Loop: Header=BB164_12 Depth=1
	v_and_b32_sdwa v21, v63, v40 dst_sel:DWORD dst_unused:UNUSED_PAD src0_sel:WORD_0 src1_sel:DWORD
	v_lshrrev_b32_e32 v61, 3, v64
	s_mov_b32 s44, exec_lo
	v_cmpx_gt_u32_e32 8, v64
; %bb.157:                              ;   in Loop: Header=BB164_12 Depth=1
	v_ffbh_u32_e32 v61, v21
	v_min_u32_e32 v61, 32, v61
	v_subrev_nc_u32_e32 v64, 28, v61
	v_sub_nc_u32_e32 v61, 29, v61
	v_lshlrev_b64 v[64:65], v64, v[21:22]
	v_and_b32_e32 v21, 7, v64
; %bb.158:                              ;   in Loop: Header=BB164_12 Depth=1
	s_or_b32 exec_lo, exec_lo, s44
	v_lshlrev_b32_e32 v63, 24, v63
	v_lshlrev_b32_e32 v21, 20, v21
	v_lshl_add_u32 v61, v61, 23, 0x3c000000
	v_and_b32_e32 v63, 0x80000000, v63
	v_or3_b32 v61, v21, v63, v61
.LBB164_159:                            ;   in Loop: Header=BB164_12 Depth=1
	s_or_b32 exec_lo, exec_lo, s43
.LBB164_160:                            ;   in Loop: Header=BB164_12 Depth=1
	s_or_b32 exec_lo, exec_lo, s42
.LBB164_161:                            ;   in Loop: Header=BB164_12 Depth=1
	s_or_b32 exec_lo, exec_lo, s41
	global_load_ubyte v65, v[27:28], off offset:520
	v_mov_b32_e32 v63, 0
	v_mov_b32_e32 v64, 0
	s_mov_b32 s41, exec_lo
	s_waitcnt vmcnt(0)
	v_cmpx_ne_u16_e32 0, v65
	s_cbranch_execz .LBB164_169
; %bb.162:                              ;   in Loop: Header=BB164_12 Depth=1
	v_bfrev_b32_e32 v64, 1
	s_mov_b32 s42, exec_lo
	v_cmpx_ne_u16_e32 0x80, v65
	s_cbranch_execz .LBB164_168
; %bb.163:                              ;   in Loop: Header=BB164_12 Depth=1
	v_and_b32_sdwa v66, v65, v39 dst_sel:DWORD dst_unused:UNUSED_PAD src0_sel:WORD_0 src1_sel:DWORD
	v_mov_b32_e32 v64, 0x7f800001
	s_mov_b32 s43, exec_lo
	v_cmpx_ne_u32_e32 0x7f, v66
	s_cbranch_execz .LBB164_167
; %bb.164:                              ;   in Loop: Header=BB164_12 Depth=1
	v_and_b32_sdwa v21, v65, v40 dst_sel:DWORD dst_unused:UNUSED_PAD src0_sel:WORD_0 src1_sel:DWORD
	v_lshrrev_b32_e32 v64, 3, v66
	s_mov_b32 s44, exec_lo
	v_cmpx_gt_u32_e32 8, v66
; %bb.165:                              ;   in Loop: Header=BB164_12 Depth=1
	v_ffbh_u32_e32 v64, v21
	v_min_u32_e32 v64, 32, v64
	v_subrev_nc_u32_e32 v66, 28, v64
	v_sub_nc_u32_e32 v64, 29, v64
	v_lshlrev_b64 v[66:67], v66, v[21:22]
	v_and_b32_e32 v21, 7, v66
; %bb.166:                              ;   in Loop: Header=BB164_12 Depth=1
	s_or_b32 exec_lo, exec_lo, s44
	v_lshlrev_b32_e32 v65, 24, v65
	v_lshlrev_b32_e32 v21, 20, v21
	v_lshl_add_u32 v64, v64, 23, 0x3c000000
	v_and_b32_e32 v65, 0x80000000, v65
	v_or3_b32 v64, v21, v65, v64
.LBB164_167:                            ;   in Loop: Header=BB164_12 Depth=1
	s_or_b32 exec_lo, exec_lo, s43
.LBB164_168:                            ;   in Loop: Header=BB164_12 Depth=1
	s_or_b32 exec_lo, exec_lo, s42
.LBB164_169:                            ;   in Loop: Header=BB164_12 Depth=1
	s_or_b32 exec_lo, exec_lo, s41
	global_load_ubyte v27, v[27:28], off offset:524
	s_mov_b32 s41, exec_lo
	s_waitcnt vmcnt(0)
	v_cmpx_ne_u16_e32 0, v27
	s_cbranch_execz .LBB164_177
; %bb.170:                              ;   in Loop: Header=BB164_12 Depth=1
	v_bfrev_b32_e32 v63, 1
	s_mov_b32 s42, exec_lo
	v_cmpx_ne_u16_e32 0x80, v27
	s_cbranch_execz .LBB164_176
; %bb.171:                              ;   in Loop: Header=BB164_12 Depth=1
	v_and_b32_sdwa v65, v27, v39 dst_sel:DWORD dst_unused:UNUSED_PAD src0_sel:WORD_0 src1_sel:DWORD
	v_mov_b32_e32 v63, 0x7f800001
	s_mov_b32 s43, exec_lo
	v_cmpx_ne_u32_e32 0x7f, v65
	s_cbranch_execz .LBB164_175
; %bb.172:                              ;   in Loop: Header=BB164_12 Depth=1
	v_and_b32_sdwa v21, v27, v40 dst_sel:DWORD dst_unused:UNUSED_PAD src0_sel:WORD_0 src1_sel:DWORD
	v_lshrrev_b32_e32 v28, 3, v65
	s_mov_b32 s44, exec_lo
	v_cmpx_gt_u32_e32 8, v65
; %bb.173:                              ;   in Loop: Header=BB164_12 Depth=1
	v_ffbh_u32_e32 v28, v21
	v_min_u32_e32 v28, 32, v28
	v_subrev_nc_u32_e32 v63, 28, v28
	v_sub_nc_u32_e32 v28, 29, v28
	v_lshlrev_b64 v[65:66], v63, v[21:22]
	v_and_b32_e32 v21, 7, v65
; %bb.174:                              ;   in Loop: Header=BB164_12 Depth=1
	s_or_b32 exec_lo, exec_lo, s44
	v_lshlrev_b32_e32 v27, 24, v27
	v_lshlrev_b32_e32 v21, 20, v21
	v_lshl_add_u32 v28, v28, 23, 0x3c000000
	v_and_b32_e32 v27, 0x80000000, v27
	v_or3_b32 v63, v21, v27, v28
.LBB164_175:                            ;   in Loop: Header=BB164_12 Depth=1
	s_or_b32 exec_lo, exec_lo, s43
.LBB164_176:                            ;   in Loop: Header=BB164_12 Depth=1
	s_or_b32 exec_lo, exec_lo, s42
.LBB164_177:                            ;   in Loop: Header=BB164_12 Depth=1
	s_or_b32 exec_lo, exec_lo, s41
	s_waitcnt lgkmcnt(0)
	v_mul_f32_e32 v21, s40, v45
	v_mul_f32_e32 v27, s40, v46
	;; [unrolled: 1-line block ×4, first 2 shown]
	v_fmac_f32_e32 v18, v17, v27
	v_mul_f32_e32 v17, s40, v47
	v_fmac_f32_e32 v18, v19, v21
	v_mul_f32_e32 v19, s40, v50
	;; [unrolled: 2-line block ×15, first 2 shown]
	v_fmac_f32_e32 v18, v1, v5
	v_xor_b32_e32 v1, 2, v33
	v_mul_f32_e32 v5, s40, v64
	v_fmac_f32_e32 v18, v2, v6
	v_cmp_gt_i32_e64 s2, 32, v1
	v_mul_f32_e32 v2, s40, v63
	v_fmac_f32_e32 v18, v3, v5
	v_cndmask_b32_e64 v1, v33, v1, s2
	v_fmac_f32_e32 v18, v4, v2
	v_lshlrev_b32_e32 v1, 2, v1
	v_xor_b32_e32 v2, 1, v33
	ds_bpermute_b32 v1, v1, v18
	v_cmp_gt_i32_e64 s2, 32, v2
	v_cndmask_b32_e64 v2, v33, v2, s2
	v_lshlrev_b32_e32 v2, 2, v2
	s_waitcnt lgkmcnt(0)
	v_add_f32_e32 v1, v18, v1
	ds_bpermute_b32 v2, v2, v1
	s_and_saveexec_b32 s40, vcc_lo
	s_cbranch_execz .LBB164_10
; %bb.178:                              ;   in Loop: Header=BB164_12 Depth=1
	v_add_nc_u32_e32 v3, v41, v37
	s_waitcnt lgkmcnt(0)
	v_add_f32_e32 v1, v1, v2
	v_cvt_f32_i32_e32 v3, v3
	v_mul_f32_e32 v3, s36, v3
	v_cndmask_b32_e64 v2, 0, v3, s1
	v_max_f32_e32 v3, v35, v35
	v_fmac_f32_e32 v2, s35, v1
	v_add_nc_u32_e32 v1, v34, v37
	v_max_f32_e32 v3, v3, v2
	v_cmp_gt_i32_e64 s2, s33, v1
	v_cndmask_b32_e64 v1, 0, v2, s2
	v_cndmask_b32_e64 v35, v35, v3, s2
	ds_write_b32 v42, v1
	s_branch .LBB164_10
.LBB164_179:
	s_or_b32 exec_lo, exec_lo, s38
.LBB164_180:
	s_or_b32 exec_lo, exec_lo, s37
	v_xor_b32_e32 v1, 16, v33
	v_xor_b32_e32 v3, 8, v33
	v_max_f32_e32 v4, v35, v35
	v_xor_b32_e32 v5, 4, v33
	v_and_b32_e32 v25, 31, v0
	v_cmp_gt_i32_e32 vcc_lo, 32, v1
	v_cndmask_b32_e32 v1, v33, v1, vcc_lo
	v_cmp_gt_i32_e32 vcc_lo, 32, v3
	s_waitcnt lgkmcnt(0)
	v_lshlrev_b32_e32 v2, 2, v1
	v_cndmask_b32_e32 v3, v33, v3, vcc_lo
	v_cmp_gt_i32_e32 vcc_lo, 32, v5
	ds_bpermute_b32 v1, v2, v35
	v_lshlrev_b32_e32 v3, 2, v3
	v_cndmask_b32_e32 v5, v33, v5, vcc_lo
	v_cmp_eq_u32_e32 vcc_lo, 0, v25
	v_lshlrev_b32_e32 v6, 2, v5
	s_waitcnt lgkmcnt(0)
	v_max_f32_e32 v1, v1, v1
	v_max_f32_e32 v1, v4, v1
	ds_bpermute_b32 v4, v3, v1
	s_waitcnt lgkmcnt(0)
	v_max_f32_e32 v4, v4, v4
	v_max_f32_e32 v1, v1, v4
	v_lshlrev_b32_e32 v4, 2, v29
	ds_bpermute_b32 v5, v6, v1
	s_and_saveexec_b32 s1, vcc_lo
	s_cbranch_execz .LBB164_182
; %bb.181:
	s_waitcnt lgkmcnt(0)
	v_max_f32_e32 v5, v5, v5
	v_max_f32_e32 v1, v1, v1
	;; [unrolled: 1-line block ×3, first 2 shown]
	ds_write_b32 v4, v1 offset:320
.LBB164_182:
	s_or_b32 exec_lo, exec_lo, s1
	v_cmp_gt_u32_e64 s1, 4, v25
	v_mov_b32_e32 v1, 0xff7fffff
	s_waitcnt lgkmcnt(0)
	v_lshlrev_b32_e32 v5, 2, v25
	s_barrier
	buffer_gl0_inv
	s_and_saveexec_b32 s2, s1
; %bb.183:
	ds_read_b32 v1, v5 offset:320
; %bb.184:
	s_or_b32 exec_lo, exec_lo, s2
	v_xor_b32_e32 v7, 2, v33
	v_xor_b32_e32 v9, 1, v33
	v_cmp_gt_i32_e64 s2, 32, v7
	v_cndmask_b32_e64 v7, v33, v7, s2
	v_cmp_gt_i32_e64 s2, 32, v9
	v_lshlrev_b32_e32 v7, 2, v7
	v_cndmask_b32_e64 v9, v33, v9, s2
	s_lshl_b32 s2, s20, 3
	s_min_i32 s4, s2, s33
	s_waitcnt lgkmcnt(0)
	ds_bpermute_b32 v8, v7, v1
	v_max_f32_e32 v1, v1, v1
	v_lshlrev_b32_e32 v26, 2, v9
	v_cmp_gt_i32_e64 s2, s4, v0
	s_waitcnt lgkmcnt(0)
	v_max_f32_e32 v8, v8, v8
	v_max_f32_e32 v1, v1, v8
	ds_bpermute_b32 v8, v26, v1
	s_waitcnt lgkmcnt(0)
	v_max_f32_e32 v8, v8, v8
	v_max_f32_e32 v1, v1, v8
	v_mov_b32_e32 v8, 0
	ds_bpermute_b32 v9, v8, v1
	v_lshl_add_u32 v1, v0, 2, 0x160
	s_and_saveexec_b32 s5, s2
	s_cbranch_execz .LBB164_188
; %bb.185:
	v_lshl_add_u32 v10, v0, 2, 0x160
	v_mov_b32_e32 v8, 0
	v_mov_b32_e32 v11, v0
	s_mov_b32 s12, 0
	.p2align	6
.LBB164_186:                            ; =>This Inner Loop Header: Depth=1
	ds_read_b32 v12, v10
	v_add_nc_u32_e32 v11, 0x80, v11
	v_cmp_le_i32_e64 s3, s4, v11
	s_or_b32 s12, s3, s12
	s_waitcnt lgkmcnt(0)
	v_sub_f32_e32 v12, v12, v9
	v_mul_f32_e32 v12, 0x3fb8aa3b, v12
	v_exp_f32_e32 v12, v12
	ds_write_b32 v10, v12
	v_add_f32_e32 v8, v8, v12
	v_add_nc_u32_e32 v10, 0x200, v10
	s_andn2_b32 exec_lo, exec_lo, s12
	s_cbranch_execnz .LBB164_186
; %bb.187:
	s_or_b32 exec_lo, exec_lo, s12
.LBB164_188:
	s_or_b32 exec_lo, exec_lo, s5
	ds_bpermute_b32 v2, v2, v8
	s_waitcnt lgkmcnt(0)
	v_add_f32_e32 v2, v8, v2
	ds_bpermute_b32 v3, v3, v2
	s_waitcnt lgkmcnt(0)
	v_add_f32_e32 v2, v2, v3
	;; [unrolled: 3-line block ×5, first 2 shown]
	s_and_saveexec_b32 s3, vcc_lo
; %bb.189:
	ds_write_b32 v4, v2 offset:336
; %bb.190:
	s_or_b32 exec_lo, exec_lo, s3
	s_waitcnt lgkmcnt(0)
	s_barrier
	buffer_gl0_inv
	s_and_saveexec_b32 s3, s1
; %bb.191:
	ds_read_b32 v2, v5 offset:336
; %bb.192:
	s_or_b32 exec_lo, exec_lo, s3
	s_waitcnt lgkmcnt(0)
	ds_bpermute_b32 v3, v7, v2
	s_waitcnt lgkmcnt(0)
	v_add_f32_e32 v2, v2, v3
	ds_bpermute_b32 v3, v26, v2
	s_waitcnt lgkmcnt(0)
	v_add_f32_e32 v2, v2, v3
	v_mov_b32_e32 v3, 0
	ds_bpermute_b32 v2, v3, v2
	s_and_saveexec_b32 s1, s2
	s_cbranch_execz .LBB164_195
; %bb.193:
	s_waitcnt lgkmcnt(0)
	v_add_f32_e32 v2, 0x358637bd, v2
	s_mov_b32 s2, 0
	v_div_scale_f32 v3, null, v2, v2, 1.0
	v_div_scale_f32 v6, vcc_lo, 1.0, v2, 1.0
	v_rcp_f32_e32 v4, v3
	v_fma_f32 v5, -v3, v4, 1.0
	v_fmac_f32_e32 v4, v5, v4
	v_mul_f32_e32 v5, v6, v4
	v_fma_f32 v7, -v3, v5, v6
	v_fmac_f32_e32 v5, v7, v4
	v_fma_f32 v3, -v3, v5, v6
	v_div_fmas_f32 v3, v3, v4, v5
	v_div_fixup_f32 v2, v3, v2, 1.0
	v_mov_b32_e32 v3, v0
.LBB164_194:                            ; =>This Inner Loop Header: Depth=1
	ds_read_b32 v4, v1
	v_add_nc_u32_e32 v3, 0x80, v3
	v_cmp_le_i32_e32 vcc_lo, s4, v3
	s_or_b32 s2, vcc_lo, s2
	s_waitcnt lgkmcnt(0)
	v_mul_f32_e32 v4, v2, v4
	ds_write_b32 v1, v4
	v_add_nc_u32_e32 v1, 0x200, v1
	s_andn2_b32 exec_lo, exec_lo, s2
	s_cbranch_execnz .LBB164_194
.LBB164_195:
	s_or_b32 exec_lo, exec_lo, s1
	v_mov_b32_e32 v36, 0
	v_and_b32_e32 v27, 1, v0
	v_mov_b32_e32 v35, 0
	v_mov_b32_e32 v34, 0
	;; [unrolled: 1-line block ×4, first 2 shown]
	s_waitcnt lgkmcnt(0)
	s_barrier
	buffer_gl0_inv
	s_and_saveexec_b32 s1, s0
	s_cbranch_execz .LBB164_371
; %bb.196:
	s_sub_i32 s2, s34, s21
	s_ashr_i32 s0, s18, 31
	s_add_u32 s5, s30, s18
	s_addc_u32 s0, s31, s0
	s_abs_i32 s3, s22
	v_and_b32_e32 v2, 0x7c, v31
	v_cvt_f32_u32_e32 v1, s3
	s_sub_i32 s4, 0, s3
	v_lshlrev_b32_e32 v4, 4, v27
	v_and_b32_e32 v3, 0x7c, v32
	v_add_co_u32 v11, s5, s5, v2
	v_rcp_iflag_f32_e32 v1, v1
	s_lshl_b64 s[12:13], s[28:29], 2
	v_lshl_or_b32 v4, v29, 5, v4
	v_add_co_ci_u32_e64 v12, null, s0, 0, s5
	v_and_b32_e32 v37, 4, v31
	v_mov_b32_e32 v6, 0
	v_mov_b32_e32 v31, 0x80
	v_bfrev_b32_e32 v8, 1
	v_mov_b32_e32 v32, 0xffff
	v_mul_f32_e32 v1, 0x4f7ffffe, v1
	v_mov_b32_e32 v10, 0x7f800001
	v_mov_b32_e32 v38, 0xff
	v_mov_b32_e32 v39, 7
	v_mov_b32_e32 v40, 24
	v_cvt_u32_f32_e32 v1, v1
	v_mov_b32_e32 v28, 0
	v_mov_b32_e32 v33, 0
	;; [unrolled: 1-line block ×4, first 2 shown]
	v_mul_lo_u32 v5, s4, v1
	s_add_i32 s4, s20, -1
	s_add_u32 s0, s26, s12
	s_addc_u32 s5, s27, s13
	v_add_co_u32 v13, s0, s0, v3
	v_mov_b32_e32 v36, 0
	v_add_co_ci_u32_e64 v14, null, s5, 0, s0
	v_mul_hi_u32 v2, v1, v5
	v_add_nc_u32_e32 v41, 0x160, v4
	v_mov_b32_e32 v43, v29
	s_mov_b32 s12, s17
	s_mov_b32 s5, 0
	v_add_nc_u32_e32 v42, v1, v2
	s_branch .LBB164_199
.LBB164_197:                            ;   in Loop: Header=BB164_199 Depth=1
	s_or_b32 exec_lo, exec_lo, s0
	v_mul_f32_e32 v16, v1, v61
	v_mul_f32_e32 v17, v1, v59
	;; [unrolled: 1-line block ×5, first 2 shown]
	v_fmac_f32_e32 v16, v2, v60
	v_fmac_f32_e32 v17, v2, v58
	;; [unrolled: 1-line block ×15, first 2 shown]
	v_add_f32_e32 v33, v33, v16
	v_add_f32_e32 v34, v34, v17
	;; [unrolled: 1-line block ×5, first 2 shown]
.LBB164_198:                            ;   in Loop: Header=BB164_199 Depth=1
	s_or_b32 exec_lo, exec_lo, s13
	v_add_nc_u32_e32 v43, 4, v43
	v_add_co_u32 v13, s0, v13, 16
	v_add_co_ci_u32_e64 v14, null, 0, v14, s0
	v_cmp_le_i32_e32 vcc_lo, s20, v43
	v_add_nc_u32_e32 v30, 32, v30
	v_add_nc_u32_e32 v41, 0x80, v41
	s_or_b32 s5, vcc_lo, s5
	s_andn2_b32 exec_lo, exec_lo, s5
	s_cbranch_execz .LBB164_370
.LBB164_199:                            ; =>This Inner Loop Header: Depth=1
	v_mul_hi_u32 v1, v30, s19
	v_mul_lo_u32 v2, v1, s16
	v_add_nc_u32_e32 v3, 1, v1
	v_sub_nc_u32_e32 v2, v30, v2
	v_subrev_nc_u32_e32 v4, s16, v2
	v_cmp_le_u32_e32 vcc_lo, s16, v2
	v_cndmask_b32_e32 v1, v1, v3, vcc_lo
	v_cndmask_b32_e32 v2, v2, v4, vcc_lo
	v_add_nc_u32_e32 v3, 1, v1
	v_cmp_le_u32_e32 vcc_lo, s16, v2
	v_cndmask_b32_e32 v1, v1, v3, vcc_lo
	v_xor_b32_e32 v1, s23, v1
	v_subrev_nc_u32_e32 v1, s23, v1
	v_add_nc_u32_e32 v2, s25, v1
	v_cmp_lt_i32_e64 s0, s2, v1
	v_sub_nc_u32_e32 v3, 0, v2
	v_max_i32_e32 v3, v2, v3
	v_ashrrev_i32_e32 v2, 31, v2
	v_mul_hi_u32 v4, v3, v42
	v_mul_lo_u32 v4, v4, s3
	v_sub_nc_u32_e32 v3, v3, v4
	v_subrev_nc_u32_e32 v4, s3, v3
	v_cmp_le_u32_e32 vcc_lo, s3, v3
	v_cndmask_b32_e32 v3, v3, v4, vcc_lo
	v_subrev_nc_u32_e32 v4, s3, v3
	v_cmp_le_u32_e32 vcc_lo, s3, v3
	v_cndmask_b32_e32 v3, v3, v4, vcc_lo
	v_xor_b32_e32 v3, v3, v2
	v_sub_nc_u32_e32 v2, v3, v2
	v_cmp_eq_u32_e32 vcc_lo, 0, v2
	s_or_b32 s0, vcc_lo, s0
	s_and_saveexec_b32 s13, s0
	s_cbranch_execz .LBB164_198
; %bb.200:                              ;   in Loop: Header=BB164_199 Depth=1
	global_load_dword v1, v[13:14], off
	s_load_dword s17, s[14:15], 0x0
	v_mov_b32_e32 v19, 0
	v_mov_b32_e32 v17, 0
	;; [unrolled: 1-line block ×4, first 2 shown]
	s_waitcnt vmcnt(0)
	v_mad_i64_i32 v[15:16], null, v1, s12, v[11:12]
	ds_read_b128 v[1:4], v41
	global_load_dword v44, v[15:16], off
	s_waitcnt vmcnt(0)
	v_cmp_ne_u16_sdwa s18, v44, v6 src0_sel:BYTE_0 src1_sel:DWORD
	s_and_saveexec_b32 s0, s18
	s_cbranch_execz .LBB164_208
; %bb.201:                              ;   in Loop: Header=BB164_199 Depth=1
	v_bfrev_b32_e32 v17, 1
	v_mov_b32_e32 v18, 0
	v_cmp_ne_u16_sdwa s21, v44, v31 src0_sel:BYTE_0 src1_sel:DWORD
	s_and_saveexec_b32 s18, s21
	s_cbranch_execz .LBB164_207
; %bb.202:                              ;   in Loop: Header=BB164_199 Depth=1
	v_mov_b32_e32 v17, 0x7f800001
	v_and_b32_e32 v9, 0x7f, v44
	v_mov_b32_e32 v18, 0
	s_mov_b32 s21, exec_lo
	v_cmpx_ne_u32_e32 0x7f, v9
	s_cbranch_execz .LBB164_206
; %bb.203:                              ;   in Loop: Header=BB164_199 Depth=1
	v_and_b32_e32 v5, 7, v44
	v_lshrrev_b32_e32 v7, 3, v9
	s_mov_b32 s22, exec_lo
	v_cmpx_gt_u32_e32 8, v9
; %bb.204:                              ;   in Loop: Header=BB164_199 Depth=1
	v_ffbh_u32_e32 v7, v5
	v_min_u32_e32 v7, 32, v7
	v_subrev_nc_u32_e32 v9, 28, v7
	v_sub_nc_u32_e32 v7, 29, v7
	v_lshlrev_b64 v[17:18], v9, v[5:6]
	v_and_b32_e32 v5, 7, v17
; %bb.205:                              ;   in Loop: Header=BB164_199 Depth=1
	s_or_b32 exec_lo, exec_lo, s22
	v_lshlrev_b32_e32 v9, 24, v44
	v_lshlrev_b32_e32 v5, 20, v5
	v_lshl_add_u32 v7, v7, 23, 0x3c000000
	v_and_b32_e32 v9, 0x80000000, v9
	v_or3_b32 v5, v5, v9, v7
	v_mov_b32_e32 v18, v6
	v_mov_b32_e32 v17, v5
.LBB164_206:                            ;   in Loop: Header=BB164_199 Depth=1
	s_or_b32 exec_lo, exec_lo, s21
.LBB164_207:                            ;   in Loop: Header=BB164_199 Depth=1
	s_or_b32 exec_lo, exec_lo, s18
.LBB164_208:                            ;   in Loop: Header=BB164_199 Depth=1
	s_or_b32 exec_lo, exec_lo, s0
	v_cmp_ne_u16_sdwa s18, v44, v6 src0_sel:BYTE_1 src1_sel:DWORD
	s_and_saveexec_b32 s0, s18
	s_cbranch_execz .LBB164_216
; %bb.209:                              ;   in Loop: Header=BB164_199 Depth=1
	v_mov_b32_e32 v7, v6
	v_mov_b32_e32 v20, v8
	v_cmp_ne_u16_sdwa s21, v44, v31 src0_sel:BYTE_1 src1_sel:DWORD
	v_mov_b32_e32 v19, v7
	s_and_saveexec_b32 s18, s21
	s_cbranch_execz .LBB164_215
; %bb.210:                              ;   in Loop: Header=BB164_199 Depth=1
	v_and_b32_sdwa v5, v32, v44 dst_sel:DWORD dst_unused:UNUSED_PAD src0_sel:DWORD src1_sel:BYTE_1
	v_mov_b32_e32 v9, v6
	v_mov_b32_e32 v20, v10
	s_mov_b32 s21, exec_lo
	v_and_b32_e32 v21, 0x7f, v5
	v_mov_b32_e32 v19, v9
	v_cmpx_ne_u32_e32 0x7f, v21
	s_cbranch_execz .LBB164_214
; %bb.211:                              ;   in Loop: Header=BB164_199 Depth=1
	v_and_b32_e32 v5, 7, v5
	v_lshrrev_b32_e32 v7, 3, v21
	s_mov_b32 s22, exec_lo
	v_cmpx_gt_u32_e32 8, v21
; %bb.212:                              ;   in Loop: Header=BB164_199 Depth=1
	v_ffbh_u32_e32 v7, v5
	v_min_u32_e32 v7, 32, v7
	v_subrev_nc_u32_e32 v9, 28, v7
	v_sub_nc_u32_e32 v7, 29, v7
	v_lshlrev_b64 v[19:20], v9, v[5:6]
	v_and_b32_e32 v5, 7, v19
; %bb.213:                              ;   in Loop: Header=BB164_199 Depth=1
	s_or_b32 exec_lo, exec_lo, s22
	v_lshlrev_b32_e32 v9, 16, v44
	v_lshlrev_b32_e32 v5, 20, v5
	v_lshl_add_u32 v7, v7, 23, 0x3c000000
	v_mov_b32_e32 v19, v6
	v_and_b32_e32 v9, 0x80000000, v9
	v_or3_b32 v20, v5, v9, v7
.LBB164_214:                            ;   in Loop: Header=BB164_199 Depth=1
	s_or_b32 exec_lo, exec_lo, s21
.LBB164_215:                            ;   in Loop: Header=BB164_199 Depth=1
	s_or_b32 exec_lo, exec_lo, s18
.LBB164_216:                            ;   in Loop: Header=BB164_199 Depth=1
	s_or_b32 exec_lo, exec_lo, s0
	v_mov_b32_e32 v23, 0
	v_mov_b32_e32 v21, 0
	v_and_b32_sdwa v5, v44, v38 dst_sel:DWORD dst_unused:UNUSED_PAD src0_sel:WORD_1 src1_sel:DWORD
	v_mov_b32_e32 v24, 0
	v_mov_b32_e32 v22, 0
	s_mov_b32 s0, exec_lo
	v_cmpx_ne_u16_e32 0, v5
	s_cbranch_execz .LBB164_224
; %bb.217:                              ;   in Loop: Header=BB164_199 Depth=1
	v_bfrev_b32_e32 v21, 1
	v_mov_b32_e32 v22, 0
	s_mov_b32 s18, exec_lo
	v_cmpx_ne_u16_e32 0x80, v5
	s_cbranch_execz .LBB164_223
; %bb.218:                              ;   in Loop: Header=BB164_199 Depth=1
	v_mov_b32_e32 v21, 0x7f800001
	v_bfe_u32 v9, v44, 16, 7
	v_mov_b32_e32 v22, 0
	s_mov_b32 s21, exec_lo
	v_cmpx_ne_u32_e32 0x7f, v9
	s_cbranch_execz .LBB164_222
; %bb.219:                              ;   in Loop: Header=BB164_199 Depth=1
	v_and_b32_sdwa v5, v44, v39 dst_sel:DWORD dst_unused:UNUSED_PAD src0_sel:WORD_1 src1_sel:DWORD
	v_lshrrev_b32_e32 v7, 3, v9
	s_mov_b32 s22, exec_lo
	v_cmpx_gt_u32_e32 8, v9
; %bb.220:                              ;   in Loop: Header=BB164_199 Depth=1
	v_ffbh_u32_e32 v7, v5
	v_min_u32_e32 v7, 32, v7
	v_subrev_nc_u32_e32 v9, 28, v7
	v_sub_nc_u32_e32 v7, 29, v7
	v_lshlrev_b64 v[21:22], v9, v[5:6]
	v_and_b32_e32 v5, 7, v21
; %bb.221:                              ;   in Loop: Header=BB164_199 Depth=1
	s_or_b32 exec_lo, exec_lo, s22
	v_lshlrev_b32_sdwa v9, v40, v44 dst_sel:DWORD dst_unused:UNUSED_PAD src0_sel:DWORD src1_sel:WORD_1
	v_lshlrev_b32_e32 v5, 20, v5
	v_lshl_add_u32 v7, v7, 23, 0x3c000000
	v_and_b32_e32 v9, 0x80000000, v9
	v_or3_b32 v5, v5, v9, v7
	v_mov_b32_e32 v22, v6
	v_mov_b32_e32 v21, v5
.LBB164_222:                            ;   in Loop: Header=BB164_199 Depth=1
	s_or_b32 exec_lo, exec_lo, s21
.LBB164_223:                            ;   in Loop: Header=BB164_199 Depth=1
	s_or_b32 exec_lo, exec_lo, s18
.LBB164_224:                            ;   in Loop: Header=BB164_199 Depth=1
	s_or_b32 exec_lo, exec_lo, s0
	s_mov_b32 s0, exec_lo
	v_cmpx_lt_u32_e32 0xffffff, v44
	s_cbranch_execz .LBB164_232
; %bb.225:                              ;   in Loop: Header=BB164_199 Depth=1
	v_mov_b32_e32 v7, v6
	v_mov_b32_e32 v24, v8
	v_cmp_ne_u32_sdwa s21, v44, v31 src0_sel:BYTE_3 src1_sel:DWORD
	v_mov_b32_e32 v23, v7
	s_and_saveexec_b32 s18, s21
	s_cbranch_execz .LBB164_231
; %bb.226:                              ;   in Loop: Header=BB164_199 Depth=1
	v_mov_b32_e32 v9, v6
	v_mov_b32_e32 v24, v10
	v_bfe_u32 v45, v44, 24, 7
	s_mov_b32 s21, exec_lo
	v_mov_b32_e32 v23, v9
	v_cmpx_ne_u32_e32 0x7f, v45
	s_cbranch_execz .LBB164_230
; %bb.227:                              ;   in Loop: Header=BB164_199 Depth=1
	v_and_b32_sdwa v5, v44, v39 dst_sel:DWORD dst_unused:UNUSED_PAD src0_sel:BYTE_3 src1_sel:DWORD
	v_lshrrev_b32_e32 v7, 3, v45
	s_mov_b32 s22, exec_lo
	v_cmpx_gt_u32_e32 8, v45
; %bb.228:                              ;   in Loop: Header=BB164_199 Depth=1
	v_ffbh_u32_e32 v7, v5
	v_min_u32_e32 v7, 32, v7
	v_subrev_nc_u32_e32 v9, 28, v7
	v_sub_nc_u32_e32 v7, 29, v7
	v_lshlrev_b64 v[23:24], v9, v[5:6]
	v_and_b32_e32 v5, 7, v23
; %bb.229:                              ;   in Loop: Header=BB164_199 Depth=1
	s_or_b32 exec_lo, exec_lo, s22
	v_lshlrev_b32_sdwa v9, v40, v44 dst_sel:DWORD dst_unused:UNUSED_PAD src0_sel:DWORD src1_sel:BYTE_3
	v_lshlrev_b32_e32 v5, 20, v5
	v_lshl_add_u32 v7, v7, 23, 0x3c000000
	v_mov_b32_e32 v23, v6
	v_and_b32_e32 v9, 0x80000000, v9
	v_or3_b32 v24, v5, v9, v7
.LBB164_230:                            ;   in Loop: Header=BB164_199 Depth=1
	s_or_b32 exec_lo, exec_lo, s21
.LBB164_231:                            ;   in Loop: Header=BB164_199 Depth=1
	s_or_b32 exec_lo, exec_lo, s18
.LBB164_232:                            ;   in Loop: Header=BB164_199 Depth=1
	s_or_b32 exec_lo, exec_lo, s0
	v_add_nc_u32_e32 v48, v37, v30
	v_or_b32_e32 v5, v20, v18
	v_or_b32_e32 v7, v19, v17
	;; [unrolled: 1-line block ×4, first 2 shown]
	v_cmp_eq_u32_e32 vcc_lo, s4, v43
	s_waitcnt lgkmcnt(0)
	v_mul_f32_e32 v46, s17, v5
	v_mul_f32_e32 v47, s17, v7
	;; [unrolled: 1-line block ×4, first 2 shown]
	v_add_nc_u32_e32 v51, 1, v48
	v_add_nc_u32_e32 v50, 2, v48
	;; [unrolled: 1-line block ×3, first 2 shown]
	s_and_saveexec_b32 s18, vcc_lo
	s_cbranch_execz .LBB164_234
; %bb.233:                              ;   in Loop: Header=BB164_199 Depth=1
	v_cmp_gt_i32_e64 s0, s33, v48
	v_cndmask_b32_e64 v47, 0, v47, s0
	v_cmp_gt_i32_e64 s0, s33, v51
	v_cndmask_b32_e64 v46, 0, v46, s0
	v_cmp_gt_i32_e64 s0, s33, v50
	v_cndmask_b32_e64 v45, 0, v45, s0
	v_cmp_gt_i32_e64 s0, s33, v49
	v_cndmask_b32_e64 v44, 0, v44, s0
.LBB164_234:                            ;   in Loop: Header=BB164_199 Depth=1
	s_or_b32 exec_lo, exec_lo, s18
	global_load_dword v52, v[15:16], off offset:128
	v_mov_b32_e32 v19, 0
	v_mov_b32_e32 v17, 0
	;; [unrolled: 1-line block ×4, first 2 shown]
	s_waitcnt vmcnt(0)
	v_cmp_ne_u16_sdwa s0, v52, v6 src0_sel:BYTE_0 src1_sel:DWORD
	s_and_saveexec_b32 s18, s0
	s_cbranch_execz .LBB164_242
; %bb.235:                              ;   in Loop: Header=BB164_199 Depth=1
	v_bfrev_b32_e32 v17, 1
	v_mov_b32_e32 v18, 0
	v_cmp_ne_u16_sdwa s0, v52, v31 src0_sel:BYTE_0 src1_sel:DWORD
	s_and_saveexec_b32 s21, s0
	s_cbranch_execz .LBB164_241
; %bb.236:                              ;   in Loop: Header=BB164_199 Depth=1
	v_mov_b32_e32 v17, 0x7f800001
	v_and_b32_e32 v9, 0x7f, v52
	v_mov_b32_e32 v18, 0
	s_mov_b32 s22, exec_lo
	v_cmpx_ne_u32_e32 0x7f, v9
	s_cbranch_execz .LBB164_240
; %bb.237:                              ;   in Loop: Header=BB164_199 Depth=1
	v_and_b32_e32 v5, 7, v52
	v_lshrrev_b32_e32 v7, 3, v9
	s_mov_b32 s26, exec_lo
	v_cmpx_gt_u32_e32 8, v9
; %bb.238:                              ;   in Loop: Header=BB164_199 Depth=1
	v_ffbh_u32_e32 v7, v5
	v_min_u32_e32 v7, 32, v7
	v_subrev_nc_u32_e32 v9, 28, v7
	v_sub_nc_u32_e32 v7, 29, v7
	v_lshlrev_b64 v[17:18], v9, v[5:6]
	v_and_b32_e32 v5, 7, v17
; %bb.239:                              ;   in Loop: Header=BB164_199 Depth=1
	s_or_b32 exec_lo, exec_lo, s26
	v_lshlrev_b32_e32 v9, 24, v52
	v_lshlrev_b32_e32 v5, 20, v5
	v_lshl_add_u32 v7, v7, 23, 0x3c000000
	v_and_b32_e32 v9, 0x80000000, v9
	v_or3_b32 v5, v5, v9, v7
	v_mov_b32_e32 v18, v6
	v_mov_b32_e32 v17, v5
.LBB164_240:                            ;   in Loop: Header=BB164_199 Depth=1
	s_or_b32 exec_lo, exec_lo, s22
.LBB164_241:                            ;   in Loop: Header=BB164_199 Depth=1
	s_or_b32 exec_lo, exec_lo, s21
.LBB164_242:                            ;   in Loop: Header=BB164_199 Depth=1
	s_or_b32 exec_lo, exec_lo, s18
	v_cmp_ne_u16_sdwa s0, v52, v6 src0_sel:BYTE_1 src1_sel:DWORD
	s_and_saveexec_b32 s18, s0
	s_cbranch_execz .LBB164_250
; %bb.243:                              ;   in Loop: Header=BB164_199 Depth=1
	v_mov_b32_e32 v7, v6
	v_mov_b32_e32 v20, v8
	v_cmp_ne_u16_sdwa s0, v52, v31 src0_sel:BYTE_1 src1_sel:DWORD
	v_mov_b32_e32 v19, v7
	s_and_saveexec_b32 s21, s0
	s_cbranch_execz .LBB164_249
; %bb.244:                              ;   in Loop: Header=BB164_199 Depth=1
	v_and_b32_sdwa v5, v32, v52 dst_sel:DWORD dst_unused:UNUSED_PAD src0_sel:DWORD src1_sel:BYTE_1
	v_mov_b32_e32 v9, v6
	v_mov_b32_e32 v20, v10
	s_mov_b32 s22, exec_lo
	v_and_b32_e32 v21, 0x7f, v5
	v_mov_b32_e32 v19, v9
	v_cmpx_ne_u32_e32 0x7f, v21
	s_cbranch_execz .LBB164_248
; %bb.245:                              ;   in Loop: Header=BB164_199 Depth=1
	v_and_b32_e32 v5, 7, v5
	v_lshrrev_b32_e32 v7, 3, v21
	s_mov_b32 s26, exec_lo
	v_cmpx_gt_u32_e32 8, v21
; %bb.246:                              ;   in Loop: Header=BB164_199 Depth=1
	v_ffbh_u32_e32 v7, v5
	v_min_u32_e32 v7, 32, v7
	v_subrev_nc_u32_e32 v9, 28, v7
	v_sub_nc_u32_e32 v7, 29, v7
	v_lshlrev_b64 v[19:20], v9, v[5:6]
	v_and_b32_e32 v5, 7, v19
; %bb.247:                              ;   in Loop: Header=BB164_199 Depth=1
	s_or_b32 exec_lo, exec_lo, s26
	v_lshlrev_b32_e32 v9, 16, v52
	v_lshlrev_b32_e32 v5, 20, v5
	v_lshl_add_u32 v7, v7, 23, 0x3c000000
	v_mov_b32_e32 v19, v6
	v_and_b32_e32 v9, 0x80000000, v9
	v_or3_b32 v20, v5, v9, v7
.LBB164_248:                            ;   in Loop: Header=BB164_199 Depth=1
	s_or_b32 exec_lo, exec_lo, s22
.LBB164_249:                            ;   in Loop: Header=BB164_199 Depth=1
	s_or_b32 exec_lo, exec_lo, s21
.LBB164_250:                            ;   in Loop: Header=BB164_199 Depth=1
	s_or_b32 exec_lo, exec_lo, s18
	v_mov_b32_e32 v23, 0
	v_mov_b32_e32 v21, 0
	v_and_b32_sdwa v5, v52, v38 dst_sel:DWORD dst_unused:UNUSED_PAD src0_sel:WORD_1 src1_sel:DWORD
	v_mov_b32_e32 v24, 0
	v_mov_b32_e32 v22, 0
	s_mov_b32 s18, exec_lo
	v_cmpx_ne_u16_e32 0, v5
	s_cbranch_execz .LBB164_258
; %bb.251:                              ;   in Loop: Header=BB164_199 Depth=1
	v_bfrev_b32_e32 v21, 1
	v_mov_b32_e32 v22, 0
	s_mov_b32 s21, exec_lo
	v_cmpx_ne_u16_e32 0x80, v5
	s_cbranch_execz .LBB164_257
; %bb.252:                              ;   in Loop: Header=BB164_199 Depth=1
	v_mov_b32_e32 v21, 0x7f800001
	v_bfe_u32 v9, v52, 16, 7
	v_mov_b32_e32 v22, 0
	s_mov_b32 s22, exec_lo
	v_cmpx_ne_u32_e32 0x7f, v9
	s_cbranch_execz .LBB164_256
; %bb.253:                              ;   in Loop: Header=BB164_199 Depth=1
	v_and_b32_sdwa v5, v52, v39 dst_sel:DWORD dst_unused:UNUSED_PAD src0_sel:WORD_1 src1_sel:DWORD
	v_lshrrev_b32_e32 v7, 3, v9
	s_mov_b32 s26, exec_lo
	v_cmpx_gt_u32_e32 8, v9
; %bb.254:                              ;   in Loop: Header=BB164_199 Depth=1
	v_ffbh_u32_e32 v7, v5
	v_min_u32_e32 v7, 32, v7
	v_subrev_nc_u32_e32 v9, 28, v7
	v_sub_nc_u32_e32 v7, 29, v7
	v_lshlrev_b64 v[21:22], v9, v[5:6]
	v_and_b32_e32 v5, 7, v21
; %bb.255:                              ;   in Loop: Header=BB164_199 Depth=1
	s_or_b32 exec_lo, exec_lo, s26
	v_lshlrev_b32_sdwa v9, v40, v52 dst_sel:DWORD dst_unused:UNUSED_PAD src0_sel:DWORD src1_sel:WORD_1
	v_lshlrev_b32_e32 v5, 20, v5
	v_lshl_add_u32 v7, v7, 23, 0x3c000000
	v_and_b32_e32 v9, 0x80000000, v9
	v_or3_b32 v5, v5, v9, v7
	v_mov_b32_e32 v22, v6
	v_mov_b32_e32 v21, v5
.LBB164_256:                            ;   in Loop: Header=BB164_199 Depth=1
	s_or_b32 exec_lo, exec_lo, s22
.LBB164_257:                            ;   in Loop: Header=BB164_199 Depth=1
	s_or_b32 exec_lo, exec_lo, s21
.LBB164_258:                            ;   in Loop: Header=BB164_199 Depth=1
	s_or_b32 exec_lo, exec_lo, s18
	s_mov_b32 s18, exec_lo
	v_cmpx_lt_u32_e32 0xffffff, v52
	s_cbranch_execz .LBB164_266
; %bb.259:                              ;   in Loop: Header=BB164_199 Depth=1
	v_mov_b32_e32 v7, v6
	v_mov_b32_e32 v24, v8
	v_cmp_ne_u32_sdwa s0, v52, v31 src0_sel:BYTE_3 src1_sel:DWORD
	v_mov_b32_e32 v23, v7
	s_and_saveexec_b32 s21, s0
	s_cbranch_execz .LBB164_265
; %bb.260:                              ;   in Loop: Header=BB164_199 Depth=1
	v_mov_b32_e32 v9, v6
	v_mov_b32_e32 v24, v10
	v_bfe_u32 v53, v52, 24, 7
	s_mov_b32 s22, exec_lo
	v_mov_b32_e32 v23, v9
	v_cmpx_ne_u32_e32 0x7f, v53
	s_cbranch_execz .LBB164_264
; %bb.261:                              ;   in Loop: Header=BB164_199 Depth=1
	v_and_b32_sdwa v5, v52, v39 dst_sel:DWORD dst_unused:UNUSED_PAD src0_sel:BYTE_3 src1_sel:DWORD
	v_lshrrev_b32_e32 v7, 3, v53
	s_mov_b32 s26, exec_lo
	v_cmpx_gt_u32_e32 8, v53
; %bb.262:                              ;   in Loop: Header=BB164_199 Depth=1
	v_ffbh_u32_e32 v7, v5
	v_min_u32_e32 v7, 32, v7
	v_subrev_nc_u32_e32 v9, 28, v7
	v_sub_nc_u32_e32 v7, 29, v7
	v_lshlrev_b64 v[23:24], v9, v[5:6]
	v_and_b32_e32 v5, 7, v23
; %bb.263:                              ;   in Loop: Header=BB164_199 Depth=1
	s_or_b32 exec_lo, exec_lo, s26
	v_lshlrev_b32_sdwa v9, v40, v52 dst_sel:DWORD dst_unused:UNUSED_PAD src0_sel:DWORD src1_sel:BYTE_3
	v_lshlrev_b32_e32 v5, 20, v5
	v_lshl_add_u32 v7, v7, 23, 0x3c000000
	v_mov_b32_e32 v23, v6
	v_and_b32_e32 v9, 0x80000000, v9
	v_or3_b32 v24, v5, v9, v7
.LBB164_264:                            ;   in Loop: Header=BB164_199 Depth=1
	s_or_b32 exec_lo, exec_lo, s22
.LBB164_265:                            ;   in Loop: Header=BB164_199 Depth=1
	s_or_b32 exec_lo, exec_lo, s21
.LBB164_266:                            ;   in Loop: Header=BB164_199 Depth=1
	s_or_b32 exec_lo, exec_lo, s18
	v_or_b32_e32 v5, v20, v18
	v_or_b32_e32 v7, v19, v17
	;; [unrolled: 1-line block ×4, first 2 shown]
	s_mov_b32 s18, s17
	v_mul_f32_e32 v54, s18, v5
	v_mul_f32_e32 v55, s17, v7
	;; [unrolled: 1-line block ×4, first 2 shown]
	s_and_saveexec_b32 s21, vcc_lo
	s_cbranch_execz .LBB164_268
; %bb.267:                              ;   in Loop: Header=BB164_199 Depth=1
	v_cmp_gt_i32_e64 s0, s33, v48
	v_cndmask_b32_e64 v55, 0, v55, s0
	v_cmp_gt_i32_e64 s0, s33, v51
	v_cndmask_b32_e64 v54, 0, v54, s0
	;; [unrolled: 2-line block ×4, first 2 shown]
.LBB164_268:                            ;   in Loop: Header=BB164_199 Depth=1
	s_or_b32 exec_lo, exec_lo, s21
	global_load_dword v56, v[15:16], off offset:256
	v_mov_b32_e32 v19, 0
	v_mov_b32_e32 v17, 0
	;; [unrolled: 1-line block ×4, first 2 shown]
	s_waitcnt vmcnt(0)
	v_cmp_ne_u16_sdwa s0, v56, v6 src0_sel:BYTE_0 src1_sel:DWORD
	s_and_saveexec_b32 s21, s0
	s_cbranch_execz .LBB164_276
; %bb.269:                              ;   in Loop: Header=BB164_199 Depth=1
	v_bfrev_b32_e32 v17, 1
	v_mov_b32_e32 v18, 0
	v_cmp_ne_u16_sdwa s0, v56, v31 src0_sel:BYTE_0 src1_sel:DWORD
	s_and_saveexec_b32 s22, s0
	s_cbranch_execz .LBB164_275
; %bb.270:                              ;   in Loop: Header=BB164_199 Depth=1
	v_mov_b32_e32 v17, 0x7f800001
	v_and_b32_e32 v9, 0x7f, v56
	v_mov_b32_e32 v18, 0
	s_mov_b32 s26, exec_lo
	v_cmpx_ne_u32_e32 0x7f, v9
	s_cbranch_execz .LBB164_274
; %bb.271:                              ;   in Loop: Header=BB164_199 Depth=1
	v_and_b32_e32 v5, 7, v56
	v_lshrrev_b32_e32 v7, 3, v9
	s_mov_b32 s27, exec_lo
	v_cmpx_gt_u32_e32 8, v9
; %bb.272:                              ;   in Loop: Header=BB164_199 Depth=1
	v_ffbh_u32_e32 v7, v5
	v_min_u32_e32 v7, 32, v7
	v_subrev_nc_u32_e32 v9, 28, v7
	v_sub_nc_u32_e32 v7, 29, v7
	v_lshlrev_b64 v[17:18], v9, v[5:6]
	v_and_b32_e32 v5, 7, v17
; %bb.273:                              ;   in Loop: Header=BB164_199 Depth=1
	s_or_b32 exec_lo, exec_lo, s27
	v_lshlrev_b32_e32 v9, 24, v56
	v_lshlrev_b32_e32 v5, 20, v5
	v_lshl_add_u32 v7, v7, 23, 0x3c000000
	v_and_b32_e32 v9, 0x80000000, v9
	v_or3_b32 v5, v5, v9, v7
	v_mov_b32_e32 v18, v6
	v_mov_b32_e32 v17, v5
.LBB164_274:                            ;   in Loop: Header=BB164_199 Depth=1
	s_or_b32 exec_lo, exec_lo, s26
.LBB164_275:                            ;   in Loop: Header=BB164_199 Depth=1
	s_or_b32 exec_lo, exec_lo, s22
.LBB164_276:                            ;   in Loop: Header=BB164_199 Depth=1
	s_or_b32 exec_lo, exec_lo, s21
	v_cmp_ne_u16_sdwa s0, v56, v6 src0_sel:BYTE_1 src1_sel:DWORD
	s_and_saveexec_b32 s21, s0
	s_cbranch_execz .LBB164_284
; %bb.277:                              ;   in Loop: Header=BB164_199 Depth=1
	v_mov_b32_e32 v7, v6
	v_mov_b32_e32 v20, v8
	v_cmp_ne_u16_sdwa s0, v56, v31 src0_sel:BYTE_1 src1_sel:DWORD
	v_mov_b32_e32 v19, v7
	s_and_saveexec_b32 s22, s0
	s_cbranch_execz .LBB164_283
; %bb.278:                              ;   in Loop: Header=BB164_199 Depth=1
	v_and_b32_sdwa v5, v32, v56 dst_sel:DWORD dst_unused:UNUSED_PAD src0_sel:DWORD src1_sel:BYTE_1
	v_mov_b32_e32 v9, v6
	v_mov_b32_e32 v20, v10
	s_mov_b32 s26, exec_lo
	v_and_b32_e32 v21, 0x7f, v5
	v_mov_b32_e32 v19, v9
	v_cmpx_ne_u32_e32 0x7f, v21
	s_cbranch_execz .LBB164_282
; %bb.279:                              ;   in Loop: Header=BB164_199 Depth=1
	v_and_b32_e32 v5, 7, v5
	v_lshrrev_b32_e32 v7, 3, v21
	s_mov_b32 s27, exec_lo
	v_cmpx_gt_u32_e32 8, v21
; %bb.280:                              ;   in Loop: Header=BB164_199 Depth=1
	v_ffbh_u32_e32 v7, v5
	v_min_u32_e32 v7, 32, v7
	v_subrev_nc_u32_e32 v9, 28, v7
	v_sub_nc_u32_e32 v7, 29, v7
	v_lshlrev_b64 v[19:20], v9, v[5:6]
	v_and_b32_e32 v5, 7, v19
; %bb.281:                              ;   in Loop: Header=BB164_199 Depth=1
	s_or_b32 exec_lo, exec_lo, s27
	v_lshlrev_b32_e32 v9, 16, v56
	v_lshlrev_b32_e32 v5, 20, v5
	v_lshl_add_u32 v7, v7, 23, 0x3c000000
	v_mov_b32_e32 v19, v6
	v_and_b32_e32 v9, 0x80000000, v9
	v_or3_b32 v20, v5, v9, v7
.LBB164_282:                            ;   in Loop: Header=BB164_199 Depth=1
	s_or_b32 exec_lo, exec_lo, s26
.LBB164_283:                            ;   in Loop: Header=BB164_199 Depth=1
	s_or_b32 exec_lo, exec_lo, s22
.LBB164_284:                            ;   in Loop: Header=BB164_199 Depth=1
	s_or_b32 exec_lo, exec_lo, s21
	v_mov_b32_e32 v23, 0
	v_mov_b32_e32 v21, 0
	v_and_b32_sdwa v5, v56, v38 dst_sel:DWORD dst_unused:UNUSED_PAD src0_sel:WORD_1 src1_sel:DWORD
	v_mov_b32_e32 v24, 0
	v_mov_b32_e32 v22, 0
	s_mov_b32 s21, exec_lo
	v_cmpx_ne_u16_e32 0, v5
	s_cbranch_execz .LBB164_292
; %bb.285:                              ;   in Loop: Header=BB164_199 Depth=1
	v_bfrev_b32_e32 v21, 1
	v_mov_b32_e32 v22, 0
	s_mov_b32 s22, exec_lo
	v_cmpx_ne_u16_e32 0x80, v5
	s_cbranch_execz .LBB164_291
; %bb.286:                              ;   in Loop: Header=BB164_199 Depth=1
	v_mov_b32_e32 v21, 0x7f800001
	v_bfe_u32 v9, v56, 16, 7
	v_mov_b32_e32 v22, 0
	s_mov_b32 s26, exec_lo
	v_cmpx_ne_u32_e32 0x7f, v9
	s_cbranch_execz .LBB164_290
; %bb.287:                              ;   in Loop: Header=BB164_199 Depth=1
	v_and_b32_sdwa v5, v56, v39 dst_sel:DWORD dst_unused:UNUSED_PAD src0_sel:WORD_1 src1_sel:DWORD
	v_lshrrev_b32_e32 v7, 3, v9
	s_mov_b32 s27, exec_lo
	v_cmpx_gt_u32_e32 8, v9
; %bb.288:                              ;   in Loop: Header=BB164_199 Depth=1
	v_ffbh_u32_e32 v7, v5
	v_min_u32_e32 v7, 32, v7
	v_subrev_nc_u32_e32 v9, 28, v7
	v_sub_nc_u32_e32 v7, 29, v7
	v_lshlrev_b64 v[21:22], v9, v[5:6]
	v_and_b32_e32 v5, 7, v21
; %bb.289:                              ;   in Loop: Header=BB164_199 Depth=1
	s_or_b32 exec_lo, exec_lo, s27
	v_lshlrev_b32_sdwa v9, v40, v56 dst_sel:DWORD dst_unused:UNUSED_PAD src0_sel:DWORD src1_sel:WORD_1
	v_lshlrev_b32_e32 v5, 20, v5
	v_lshl_add_u32 v7, v7, 23, 0x3c000000
	v_and_b32_e32 v9, 0x80000000, v9
	v_or3_b32 v5, v5, v9, v7
	v_mov_b32_e32 v22, v6
	v_mov_b32_e32 v21, v5
.LBB164_290:                            ;   in Loop: Header=BB164_199 Depth=1
	s_or_b32 exec_lo, exec_lo, s26
.LBB164_291:                            ;   in Loop: Header=BB164_199 Depth=1
	s_or_b32 exec_lo, exec_lo, s22
.LBB164_292:                            ;   in Loop: Header=BB164_199 Depth=1
	s_or_b32 exec_lo, exec_lo, s21
	s_mov_b32 s21, exec_lo
	v_cmpx_lt_u32_e32 0xffffff, v56
	s_cbranch_execz .LBB164_300
; %bb.293:                              ;   in Loop: Header=BB164_199 Depth=1
	v_mov_b32_e32 v7, v6
	v_mov_b32_e32 v24, v8
	v_cmp_ne_u32_sdwa s0, v56, v31 src0_sel:BYTE_3 src1_sel:DWORD
	v_mov_b32_e32 v23, v7
	s_and_saveexec_b32 s22, s0
	s_cbranch_execz .LBB164_299
; %bb.294:                              ;   in Loop: Header=BB164_199 Depth=1
	v_mov_b32_e32 v9, v6
	v_mov_b32_e32 v24, v10
	v_bfe_u32 v57, v56, 24, 7
	s_mov_b32 s26, exec_lo
	v_mov_b32_e32 v23, v9
	v_cmpx_ne_u32_e32 0x7f, v57
	s_cbranch_execz .LBB164_298
; %bb.295:                              ;   in Loop: Header=BB164_199 Depth=1
	v_and_b32_sdwa v5, v56, v39 dst_sel:DWORD dst_unused:UNUSED_PAD src0_sel:BYTE_3 src1_sel:DWORD
	v_lshrrev_b32_e32 v7, 3, v57
	s_mov_b32 s27, exec_lo
	v_cmpx_gt_u32_e32 8, v57
; %bb.296:                              ;   in Loop: Header=BB164_199 Depth=1
	v_ffbh_u32_e32 v7, v5
	v_min_u32_e32 v7, 32, v7
	v_subrev_nc_u32_e32 v9, 28, v7
	v_sub_nc_u32_e32 v7, 29, v7
	v_lshlrev_b64 v[23:24], v9, v[5:6]
	v_and_b32_e32 v5, 7, v23
; %bb.297:                              ;   in Loop: Header=BB164_199 Depth=1
	s_or_b32 exec_lo, exec_lo, s27
	v_lshlrev_b32_sdwa v9, v40, v56 dst_sel:DWORD dst_unused:UNUSED_PAD src0_sel:DWORD src1_sel:BYTE_3
	v_lshlrev_b32_e32 v5, 20, v5
	v_lshl_add_u32 v7, v7, 23, 0x3c000000
	v_mov_b32_e32 v23, v6
	v_and_b32_e32 v9, 0x80000000, v9
	v_or3_b32 v24, v5, v9, v7
.LBB164_298:                            ;   in Loop: Header=BB164_199 Depth=1
	s_or_b32 exec_lo, exec_lo, s26
.LBB164_299:                            ;   in Loop: Header=BB164_199 Depth=1
	s_or_b32 exec_lo, exec_lo, s22
.LBB164_300:                            ;   in Loop: Header=BB164_199 Depth=1
	s_or_b32 exec_lo, exec_lo, s21
	v_or_b32_e32 v5, v20, v18
	v_or_b32_e32 v7, v19, v17
	;; [unrolled: 1-line block ×4, first 2 shown]
	v_mul_f32_e32 v58, s18, v5
	v_mul_f32_e32 v59, s17, v7
	;; [unrolled: 1-line block ×4, first 2 shown]
	s_and_saveexec_b32 s21, vcc_lo
	s_cbranch_execz .LBB164_302
; %bb.301:                              ;   in Loop: Header=BB164_199 Depth=1
	v_cmp_gt_i32_e64 s0, s33, v48
	v_cndmask_b32_e64 v59, 0, v59, s0
	v_cmp_gt_i32_e64 s0, s33, v51
	v_cndmask_b32_e64 v58, 0, v58, s0
	;; [unrolled: 2-line block ×4, first 2 shown]
.LBB164_302:                            ;   in Loop: Header=BB164_199 Depth=1
	s_or_b32 exec_lo, exec_lo, s21
	global_load_dword v60, v[15:16], off offset:384
	v_mov_b32_e32 v19, 0
	v_mov_b32_e32 v17, 0
	;; [unrolled: 1-line block ×4, first 2 shown]
	s_waitcnt vmcnt(0)
	v_cmp_ne_u16_sdwa s0, v60, v6 src0_sel:BYTE_0 src1_sel:DWORD
	s_and_saveexec_b32 s21, s0
	s_cbranch_execz .LBB164_310
; %bb.303:                              ;   in Loop: Header=BB164_199 Depth=1
	v_bfrev_b32_e32 v17, 1
	v_mov_b32_e32 v18, 0
	v_cmp_ne_u16_sdwa s0, v60, v31 src0_sel:BYTE_0 src1_sel:DWORD
	s_and_saveexec_b32 s22, s0
	s_cbranch_execz .LBB164_309
; %bb.304:                              ;   in Loop: Header=BB164_199 Depth=1
	v_mov_b32_e32 v17, 0x7f800001
	v_and_b32_e32 v9, 0x7f, v60
	v_mov_b32_e32 v18, 0
	s_mov_b32 s26, exec_lo
	v_cmpx_ne_u32_e32 0x7f, v9
	s_cbranch_execz .LBB164_308
; %bb.305:                              ;   in Loop: Header=BB164_199 Depth=1
	v_and_b32_e32 v5, 7, v60
	v_lshrrev_b32_e32 v7, 3, v9
	s_mov_b32 s27, exec_lo
	v_cmpx_gt_u32_e32 8, v9
; %bb.306:                              ;   in Loop: Header=BB164_199 Depth=1
	v_ffbh_u32_e32 v7, v5
	v_min_u32_e32 v7, 32, v7
	v_subrev_nc_u32_e32 v9, 28, v7
	v_sub_nc_u32_e32 v7, 29, v7
	v_lshlrev_b64 v[17:18], v9, v[5:6]
	v_and_b32_e32 v5, 7, v17
; %bb.307:                              ;   in Loop: Header=BB164_199 Depth=1
	s_or_b32 exec_lo, exec_lo, s27
	v_lshlrev_b32_e32 v9, 24, v60
	v_lshlrev_b32_e32 v5, 20, v5
	v_lshl_add_u32 v7, v7, 23, 0x3c000000
	v_and_b32_e32 v9, 0x80000000, v9
	v_or3_b32 v5, v5, v9, v7
	v_mov_b32_e32 v18, v6
	v_mov_b32_e32 v17, v5
.LBB164_308:                            ;   in Loop: Header=BB164_199 Depth=1
	s_or_b32 exec_lo, exec_lo, s26
.LBB164_309:                            ;   in Loop: Header=BB164_199 Depth=1
	s_or_b32 exec_lo, exec_lo, s22
.LBB164_310:                            ;   in Loop: Header=BB164_199 Depth=1
	s_or_b32 exec_lo, exec_lo, s21
	v_cmp_ne_u16_sdwa s0, v60, v6 src0_sel:BYTE_1 src1_sel:DWORD
	s_and_saveexec_b32 s21, s0
	s_cbranch_execz .LBB164_318
; %bb.311:                              ;   in Loop: Header=BB164_199 Depth=1
	v_mov_b32_e32 v7, v6
	v_mov_b32_e32 v20, v8
	v_cmp_ne_u16_sdwa s0, v60, v31 src0_sel:BYTE_1 src1_sel:DWORD
	v_mov_b32_e32 v19, v7
	s_and_saveexec_b32 s22, s0
	s_cbranch_execz .LBB164_317
; %bb.312:                              ;   in Loop: Header=BB164_199 Depth=1
	v_and_b32_sdwa v5, v32, v60 dst_sel:DWORD dst_unused:UNUSED_PAD src0_sel:DWORD src1_sel:BYTE_1
	v_mov_b32_e32 v9, v6
	v_mov_b32_e32 v20, v10
	s_mov_b32 s26, exec_lo
	v_and_b32_e32 v21, 0x7f, v5
	v_mov_b32_e32 v19, v9
	v_cmpx_ne_u32_e32 0x7f, v21
	s_cbranch_execz .LBB164_316
; %bb.313:                              ;   in Loop: Header=BB164_199 Depth=1
	v_and_b32_e32 v5, 7, v5
	v_lshrrev_b32_e32 v7, 3, v21
	s_mov_b32 s27, exec_lo
	v_cmpx_gt_u32_e32 8, v21
; %bb.314:                              ;   in Loop: Header=BB164_199 Depth=1
	v_ffbh_u32_e32 v7, v5
	v_min_u32_e32 v7, 32, v7
	v_subrev_nc_u32_e32 v9, 28, v7
	v_sub_nc_u32_e32 v7, 29, v7
	v_lshlrev_b64 v[19:20], v9, v[5:6]
	v_and_b32_e32 v5, 7, v19
; %bb.315:                              ;   in Loop: Header=BB164_199 Depth=1
	s_or_b32 exec_lo, exec_lo, s27
	v_lshlrev_b32_e32 v9, 16, v60
	v_lshlrev_b32_e32 v5, 20, v5
	v_lshl_add_u32 v7, v7, 23, 0x3c000000
	v_mov_b32_e32 v19, v6
	v_and_b32_e32 v9, 0x80000000, v9
	v_or3_b32 v20, v5, v9, v7
.LBB164_316:                            ;   in Loop: Header=BB164_199 Depth=1
	s_or_b32 exec_lo, exec_lo, s26
.LBB164_317:                            ;   in Loop: Header=BB164_199 Depth=1
	s_or_b32 exec_lo, exec_lo, s22
.LBB164_318:                            ;   in Loop: Header=BB164_199 Depth=1
	s_or_b32 exec_lo, exec_lo, s21
	v_mov_b32_e32 v23, 0
	v_mov_b32_e32 v21, 0
	v_and_b32_sdwa v5, v60, v38 dst_sel:DWORD dst_unused:UNUSED_PAD src0_sel:WORD_1 src1_sel:DWORD
	v_mov_b32_e32 v24, 0
	v_mov_b32_e32 v22, 0
	s_mov_b32 s21, exec_lo
	v_cmpx_ne_u16_e32 0, v5
	s_cbranch_execz .LBB164_326
; %bb.319:                              ;   in Loop: Header=BB164_199 Depth=1
	v_bfrev_b32_e32 v21, 1
	v_mov_b32_e32 v22, 0
	s_mov_b32 s22, exec_lo
	v_cmpx_ne_u16_e32 0x80, v5
	s_cbranch_execz .LBB164_325
; %bb.320:                              ;   in Loop: Header=BB164_199 Depth=1
	v_mov_b32_e32 v21, 0x7f800001
	v_bfe_u32 v9, v60, 16, 7
	v_mov_b32_e32 v22, 0
	s_mov_b32 s26, exec_lo
	v_cmpx_ne_u32_e32 0x7f, v9
	s_cbranch_execz .LBB164_324
; %bb.321:                              ;   in Loop: Header=BB164_199 Depth=1
	v_and_b32_sdwa v5, v60, v39 dst_sel:DWORD dst_unused:UNUSED_PAD src0_sel:WORD_1 src1_sel:DWORD
	v_lshrrev_b32_e32 v7, 3, v9
	s_mov_b32 s27, exec_lo
	v_cmpx_gt_u32_e32 8, v9
; %bb.322:                              ;   in Loop: Header=BB164_199 Depth=1
	v_ffbh_u32_e32 v7, v5
	v_min_u32_e32 v7, 32, v7
	v_subrev_nc_u32_e32 v9, 28, v7
	v_sub_nc_u32_e32 v7, 29, v7
	v_lshlrev_b64 v[21:22], v9, v[5:6]
	v_and_b32_e32 v5, 7, v21
; %bb.323:                              ;   in Loop: Header=BB164_199 Depth=1
	s_or_b32 exec_lo, exec_lo, s27
	v_lshlrev_b32_sdwa v9, v40, v60 dst_sel:DWORD dst_unused:UNUSED_PAD src0_sel:DWORD src1_sel:WORD_1
	v_lshlrev_b32_e32 v5, 20, v5
	v_lshl_add_u32 v7, v7, 23, 0x3c000000
	v_and_b32_e32 v9, 0x80000000, v9
	v_or3_b32 v5, v5, v9, v7
	v_mov_b32_e32 v22, v6
	v_mov_b32_e32 v21, v5
.LBB164_324:                            ;   in Loop: Header=BB164_199 Depth=1
	s_or_b32 exec_lo, exec_lo, s26
.LBB164_325:                            ;   in Loop: Header=BB164_199 Depth=1
	s_or_b32 exec_lo, exec_lo, s22
.LBB164_326:                            ;   in Loop: Header=BB164_199 Depth=1
	s_or_b32 exec_lo, exec_lo, s21
	s_mov_b32 s21, exec_lo
	v_cmpx_lt_u32_e32 0xffffff, v60
	s_cbranch_execz .LBB164_334
; %bb.327:                              ;   in Loop: Header=BB164_199 Depth=1
	v_mov_b32_e32 v7, v6
	v_mov_b32_e32 v24, v8
	v_cmp_ne_u32_sdwa s0, v60, v31 src0_sel:BYTE_3 src1_sel:DWORD
	v_mov_b32_e32 v23, v7
	s_and_saveexec_b32 s22, s0
	s_cbranch_execz .LBB164_333
; %bb.328:                              ;   in Loop: Header=BB164_199 Depth=1
	v_mov_b32_e32 v9, v6
	v_mov_b32_e32 v24, v10
	v_bfe_u32 v61, v60, 24, 7
	s_mov_b32 s26, exec_lo
	v_mov_b32_e32 v23, v9
	v_cmpx_ne_u32_e32 0x7f, v61
	s_cbranch_execz .LBB164_332
; %bb.329:                              ;   in Loop: Header=BB164_199 Depth=1
	v_and_b32_sdwa v5, v60, v39 dst_sel:DWORD dst_unused:UNUSED_PAD src0_sel:BYTE_3 src1_sel:DWORD
	v_lshrrev_b32_e32 v7, 3, v61
	s_mov_b32 s27, exec_lo
	v_cmpx_gt_u32_e32 8, v61
; %bb.330:                              ;   in Loop: Header=BB164_199 Depth=1
	v_ffbh_u32_e32 v7, v5
	v_min_u32_e32 v7, 32, v7
	v_subrev_nc_u32_e32 v9, 28, v7
	v_sub_nc_u32_e32 v7, 29, v7
	v_lshlrev_b64 v[23:24], v9, v[5:6]
	v_and_b32_e32 v5, 7, v23
; %bb.331:                              ;   in Loop: Header=BB164_199 Depth=1
	s_or_b32 exec_lo, exec_lo, s27
	v_lshlrev_b32_sdwa v9, v40, v60 dst_sel:DWORD dst_unused:UNUSED_PAD src0_sel:DWORD src1_sel:BYTE_3
	v_lshlrev_b32_e32 v5, 20, v5
	v_lshl_add_u32 v7, v7, 23, 0x3c000000
	v_mov_b32_e32 v23, v6
	v_and_b32_e32 v9, 0x80000000, v9
	v_or3_b32 v24, v5, v9, v7
.LBB164_332:                            ;   in Loop: Header=BB164_199 Depth=1
	s_or_b32 exec_lo, exec_lo, s26
.LBB164_333:                            ;   in Loop: Header=BB164_199 Depth=1
	s_or_b32 exec_lo, exec_lo, s22
.LBB164_334:                            ;   in Loop: Header=BB164_199 Depth=1
	s_or_b32 exec_lo, exec_lo, s21
	v_or_b32_e32 v5, v20, v18
	v_or_b32_e32 v7, v19, v17
	;; [unrolled: 1-line block ×4, first 2 shown]
	v_mul_f32_e32 v60, s18, v5
	v_mul_f32_e32 v61, s17, v7
	;; [unrolled: 1-line block ×4, first 2 shown]
	s_and_saveexec_b32 s21, vcc_lo
	s_cbranch_execz .LBB164_336
; %bb.335:                              ;   in Loop: Header=BB164_199 Depth=1
	v_cmp_gt_i32_e64 s0, s33, v48
	v_cndmask_b32_e64 v61, 0, v61, s0
	v_cmp_gt_i32_e64 s0, s33, v51
	v_cndmask_b32_e64 v60, 0, v60, s0
	;; [unrolled: 2-line block ×4, first 2 shown]
.LBB164_336:                            ;   in Loop: Header=BB164_199 Depth=1
	s_or_b32 exec_lo, exec_lo, s21
	global_load_dword v62, v[15:16], off offset:512
	v_mov_b32_e32 v17, 0
	v_mov_b32_e32 v15, 0
	;; [unrolled: 1-line block ×4, first 2 shown]
	s_waitcnt vmcnt(0)
	v_cmp_ne_u16_sdwa s0, v62, v6 src0_sel:BYTE_0 src1_sel:DWORD
	s_and_saveexec_b32 s21, s0
	s_cbranch_execz .LBB164_344
; %bb.337:                              ;   in Loop: Header=BB164_199 Depth=1
	v_bfrev_b32_e32 v15, 1
	v_mov_b32_e32 v16, 0
	v_cmp_ne_u16_sdwa s0, v62, v31 src0_sel:BYTE_0 src1_sel:DWORD
	s_and_saveexec_b32 s22, s0
	s_cbranch_execz .LBB164_343
; %bb.338:                              ;   in Loop: Header=BB164_199 Depth=1
	v_mov_b32_e32 v15, 0x7f800001
	v_and_b32_e32 v9, 0x7f, v62
	v_mov_b32_e32 v16, 0
	s_mov_b32 s26, exec_lo
	v_cmpx_ne_u32_e32 0x7f, v9
	s_cbranch_execz .LBB164_342
; %bb.339:                              ;   in Loop: Header=BB164_199 Depth=1
	v_and_b32_e32 v5, 7, v62
	v_lshrrev_b32_e32 v7, 3, v9
	s_mov_b32 s27, exec_lo
	v_cmpx_gt_u32_e32 8, v9
; %bb.340:                              ;   in Loop: Header=BB164_199 Depth=1
	v_ffbh_u32_e32 v7, v5
	v_min_u32_e32 v7, 32, v7
	v_subrev_nc_u32_e32 v9, 28, v7
	v_sub_nc_u32_e32 v7, 29, v7
	v_lshlrev_b64 v[15:16], v9, v[5:6]
	v_and_b32_e32 v5, 7, v15
; %bb.341:                              ;   in Loop: Header=BB164_199 Depth=1
	s_or_b32 exec_lo, exec_lo, s27
	v_lshlrev_b32_e32 v9, 24, v62
	v_lshlrev_b32_e32 v5, 20, v5
	v_lshl_add_u32 v7, v7, 23, 0x3c000000
	v_and_b32_e32 v9, 0x80000000, v9
	v_or3_b32 v5, v5, v9, v7
	v_mov_b32_e32 v16, v6
	v_mov_b32_e32 v15, v5
.LBB164_342:                            ;   in Loop: Header=BB164_199 Depth=1
	s_or_b32 exec_lo, exec_lo, s26
.LBB164_343:                            ;   in Loop: Header=BB164_199 Depth=1
	s_or_b32 exec_lo, exec_lo, s22
.LBB164_344:                            ;   in Loop: Header=BB164_199 Depth=1
	s_or_b32 exec_lo, exec_lo, s21
	v_cmp_ne_u16_sdwa s0, v62, v6 src0_sel:BYTE_1 src1_sel:DWORD
	s_and_saveexec_b32 s21, s0
	s_cbranch_execz .LBB164_352
; %bb.345:                              ;   in Loop: Header=BB164_199 Depth=1
	v_mov_b32_e32 v7, v6
	v_mov_b32_e32 v18, v8
	v_cmp_ne_u16_sdwa s0, v62, v31 src0_sel:BYTE_1 src1_sel:DWORD
	v_mov_b32_e32 v17, v7
	s_and_saveexec_b32 s22, s0
	s_cbranch_execz .LBB164_351
; %bb.346:                              ;   in Loop: Header=BB164_199 Depth=1
	v_and_b32_sdwa v5, v32, v62 dst_sel:DWORD dst_unused:UNUSED_PAD src0_sel:DWORD src1_sel:BYTE_1
	v_mov_b32_e32 v9, v6
	v_mov_b32_e32 v18, v10
	s_mov_b32 s26, exec_lo
	v_and_b32_e32 v19, 0x7f, v5
	v_mov_b32_e32 v17, v9
	v_cmpx_ne_u32_e32 0x7f, v19
	s_cbranch_execz .LBB164_350
; %bb.347:                              ;   in Loop: Header=BB164_199 Depth=1
	v_and_b32_e32 v5, 7, v5
	v_lshrrev_b32_e32 v7, 3, v19
	s_mov_b32 s27, exec_lo
	v_cmpx_gt_u32_e32 8, v19
; %bb.348:                              ;   in Loop: Header=BB164_199 Depth=1
	v_ffbh_u32_e32 v7, v5
	v_min_u32_e32 v7, 32, v7
	v_subrev_nc_u32_e32 v9, 28, v7
	v_sub_nc_u32_e32 v7, 29, v7
	v_lshlrev_b64 v[17:18], v9, v[5:6]
	v_and_b32_e32 v5, 7, v17
; %bb.349:                              ;   in Loop: Header=BB164_199 Depth=1
	s_or_b32 exec_lo, exec_lo, s27
	v_lshlrev_b32_e32 v9, 16, v62
	v_lshlrev_b32_e32 v5, 20, v5
	v_lshl_add_u32 v7, v7, 23, 0x3c000000
	v_mov_b32_e32 v17, v6
	v_and_b32_e32 v9, 0x80000000, v9
	v_or3_b32 v18, v5, v9, v7
.LBB164_350:                            ;   in Loop: Header=BB164_199 Depth=1
	s_or_b32 exec_lo, exec_lo, s26
.LBB164_351:                            ;   in Loop: Header=BB164_199 Depth=1
	s_or_b32 exec_lo, exec_lo, s22
.LBB164_352:                            ;   in Loop: Header=BB164_199 Depth=1
	s_or_b32 exec_lo, exec_lo, s21
	v_mov_b32_e32 v21, 0
	v_mov_b32_e32 v19, 0
	v_and_b32_sdwa v5, v62, v38 dst_sel:DWORD dst_unused:UNUSED_PAD src0_sel:WORD_1 src1_sel:DWORD
	v_mov_b32_e32 v22, 0
	v_mov_b32_e32 v20, 0
	s_mov_b32 s21, exec_lo
	v_cmpx_ne_u16_e32 0, v5
	s_cbranch_execz .LBB164_360
; %bb.353:                              ;   in Loop: Header=BB164_199 Depth=1
	v_bfrev_b32_e32 v19, 1
	v_mov_b32_e32 v20, 0
	s_mov_b32 s22, exec_lo
	v_cmpx_ne_u16_e32 0x80, v5
	s_cbranch_execz .LBB164_359
; %bb.354:                              ;   in Loop: Header=BB164_199 Depth=1
	v_mov_b32_e32 v19, 0x7f800001
	v_bfe_u32 v9, v62, 16, 7
	v_mov_b32_e32 v20, 0
	s_mov_b32 s26, exec_lo
	v_cmpx_ne_u32_e32 0x7f, v9
	s_cbranch_execz .LBB164_358
; %bb.355:                              ;   in Loop: Header=BB164_199 Depth=1
	v_and_b32_sdwa v5, v62, v39 dst_sel:DWORD dst_unused:UNUSED_PAD src0_sel:WORD_1 src1_sel:DWORD
	v_lshrrev_b32_e32 v7, 3, v9
	s_mov_b32 s27, exec_lo
	v_cmpx_gt_u32_e32 8, v9
; %bb.356:                              ;   in Loop: Header=BB164_199 Depth=1
	v_ffbh_u32_e32 v7, v5
	v_min_u32_e32 v7, 32, v7
	v_subrev_nc_u32_e32 v9, 28, v7
	v_sub_nc_u32_e32 v7, 29, v7
	v_lshlrev_b64 v[19:20], v9, v[5:6]
	v_and_b32_e32 v5, 7, v19
; %bb.357:                              ;   in Loop: Header=BB164_199 Depth=1
	s_or_b32 exec_lo, exec_lo, s27
	v_lshlrev_b32_sdwa v9, v40, v62 dst_sel:DWORD dst_unused:UNUSED_PAD src0_sel:DWORD src1_sel:WORD_1
	v_lshlrev_b32_e32 v5, 20, v5
	v_lshl_add_u32 v7, v7, 23, 0x3c000000
	v_and_b32_e32 v9, 0x80000000, v9
	v_or3_b32 v5, v5, v9, v7
	v_mov_b32_e32 v20, v6
	v_mov_b32_e32 v19, v5
.LBB164_358:                            ;   in Loop: Header=BB164_199 Depth=1
	s_or_b32 exec_lo, exec_lo, s26
.LBB164_359:                            ;   in Loop: Header=BB164_199 Depth=1
	s_or_b32 exec_lo, exec_lo, s22
.LBB164_360:                            ;   in Loop: Header=BB164_199 Depth=1
	s_or_b32 exec_lo, exec_lo, s21
	s_mov_b32 s21, exec_lo
	v_cmpx_lt_u32_e32 0xffffff, v62
	s_cbranch_execz .LBB164_368
; %bb.361:                              ;   in Loop: Header=BB164_199 Depth=1
	v_mov_b32_e32 v7, v6
	v_mov_b32_e32 v22, v8
	v_cmp_ne_u32_sdwa s0, v62, v31 src0_sel:BYTE_3 src1_sel:DWORD
	v_mov_b32_e32 v21, v7
	s_and_saveexec_b32 s22, s0
	s_cbranch_execz .LBB164_367
; %bb.362:                              ;   in Loop: Header=BB164_199 Depth=1
	v_mov_b32_e32 v9, v6
	v_mov_b32_e32 v22, v10
	v_bfe_u32 v63, v62, 24, 7
	s_mov_b32 s26, exec_lo
	v_mov_b32_e32 v21, v9
	v_cmpx_ne_u32_e32 0x7f, v63
	s_cbranch_execz .LBB164_366
; %bb.363:                              ;   in Loop: Header=BB164_199 Depth=1
	v_and_b32_sdwa v5, v62, v39 dst_sel:DWORD dst_unused:UNUSED_PAD src0_sel:BYTE_3 src1_sel:DWORD
	v_lshrrev_b32_e32 v7, 3, v63
	s_mov_b32 s27, exec_lo
	v_cmpx_gt_u32_e32 8, v63
; %bb.364:                              ;   in Loop: Header=BB164_199 Depth=1
	v_ffbh_u32_e32 v7, v5
	v_min_u32_e32 v7, 32, v7
	v_subrev_nc_u32_e32 v9, 28, v7
	v_sub_nc_u32_e32 v7, 29, v7
	v_lshlrev_b64 v[21:22], v9, v[5:6]
	v_and_b32_e32 v5, 7, v21
; %bb.365:                              ;   in Loop: Header=BB164_199 Depth=1
	s_or_b32 exec_lo, exec_lo, s27
	v_lshlrev_b32_sdwa v9, v40, v62 dst_sel:DWORD dst_unused:UNUSED_PAD src0_sel:DWORD src1_sel:BYTE_3
	v_lshlrev_b32_e32 v5, 20, v5
	v_lshl_add_u32 v7, v7, 23, 0x3c000000
	v_mov_b32_e32 v21, v6
	v_and_b32_e32 v9, 0x80000000, v9
	v_or3_b32 v22, v5, v9, v7
.LBB164_366:                            ;   in Loop: Header=BB164_199 Depth=1
	s_or_b32 exec_lo, exec_lo, s26
.LBB164_367:                            ;   in Loop: Header=BB164_199 Depth=1
	s_or_b32 exec_lo, exec_lo, s22
.LBB164_368:                            ;   in Loop: Header=BB164_199 Depth=1
	s_or_b32 exec_lo, exec_lo, s21
	v_or_b32_e32 v5, v18, v16
	v_or_b32_e32 v7, v17, v15
	;; [unrolled: 1-line block ×4, first 2 shown]
	v_mul_f32_e32 v9, s18, v5
	v_mul_f32_e32 v15, s17, v7
	;; [unrolled: 1-line block ×4, first 2 shown]
	s_and_saveexec_b32 s0, vcc_lo
	s_cbranch_execz .LBB164_197
; %bb.369:                              ;   in Loop: Header=BB164_199 Depth=1
	v_cmp_gt_i32_e32 vcc_lo, s33, v48
	v_cndmask_b32_e32 v15, 0, v15, vcc_lo
	v_cmp_gt_i32_e32 vcc_lo, s33, v51
	v_cndmask_b32_e32 v9, 0, v9, vcc_lo
	;; [unrolled: 2-line block ×4, first 2 shown]
	s_branch .LBB164_197
.LBB164_370:
	s_or_b32 exec_lo, exec_lo, s5
.LBB164_371:
	s_or_b32 exec_lo, exec_lo, s1
	ds_bpermute_b32 v1, v26, v36
	ds_bpermute_b32 v2, v26, v35
	ds_bpermute_b32 v3, v26, v34
	ds_bpermute_b32 v4, v26, v33
	ds_bpermute_b32 v5, v26, v28
	v_lshrrev_b32_e32 v6, 1, v25
	v_mul_u32_u24_e32 v8, 0x140, v29
	v_and_b32_e32 v9, 0x3c1, v0
	s_mov_b32 s0, exec_lo
	s_waitcnt lgkmcnt(0)
	v_lshl_add_u32 v7, v6, 2, 0x160
	s_barrier
	buffer_gl0_inv
	v_add_f32_e32 v1, v36, v1
	v_add_f32_e32 v2, v35, v2
	;; [unrolled: 1-line block ×5, first 2 shown]
	v_cmpx_eq_u32_e32 64, v9
	s_cbranch_execz .LBB164_373
; %bb.372:
	v_add_nc_u32_e32 v9, v7, v8
	v_add_nc_u32_e32 v10, 0xfffffd80, v9
	;; [unrolled: 1-line block ×6, first 2 shown]
	ds_write_b32 v10, v1
	ds_write_b32 v11, v2
	;; [unrolled: 1-line block ×5, first 2 shown]
.LBB164_373:
	s_or_b32 exec_lo, exec_lo, s0
	v_lshlrev_b32_e32 v6, 2, v6
	s_mov_b32 s1, exec_lo
	v_cmp_eq_u32_e32 vcc_lo, 0, v27
	s_waitcnt lgkmcnt(0)
	s_barrier
	v_add3_u32 v6, 0x160, v8, v6
	buffer_gl0_inv
	v_cmpx_gt_u32_e32 64, v0
	s_cbranch_execz .LBB164_381
; %bb.374:
	s_and_saveexec_b32 s0, vcc_lo
	s_cbranch_execnz .LBB164_394
; %bb.375:
	s_or_b32 exec_lo, exec_lo, s0
	s_and_saveexec_b32 s0, vcc_lo
	s_cbranch_execnz .LBB164_395
.LBB164_376:
	s_or_b32 exec_lo, exec_lo, s0
	s_and_saveexec_b32 s0, vcc_lo
	s_cbranch_execnz .LBB164_396
.LBB164_377:
	s_or_b32 exec_lo, exec_lo, s0
	s_and_saveexec_b32 s0, vcc_lo
	s_cbranch_execnz .LBB164_397
.LBB164_378:
	s_or_b32 exec_lo, exec_lo, s0
	s_and_saveexec_b32 s0, vcc_lo
	s_cbranch_execz .LBB164_380
.LBB164_379:
	ds_read_b32 v8, v6 offset:256
	s_waitcnt lgkmcnt(0)
	v_add_f32_e32 v5, v5, v8
.LBB164_380:
	s_or_b32 exec_lo, exec_lo, s0
.LBB164_381:
	s_or_b32 exec_lo, exec_lo, s1
	v_and_b32_e32 v8, 0x3e1, v0
	s_mov_b32 s1, exec_lo
	s_barrier
	buffer_gl0_inv
	v_cmpx_eq_u32_e32 32, v8
	s_cbranch_execz .LBB164_383
; %bb.382:
	ds_write2_b32 v7, v1, v2 offset1:16
	ds_write2_b32 v7, v3, v4 offset0:32 offset1:48
	ds_write_b32 v7, v5 offset:256
.LBB164_383:
	s_or_b32 exec_lo, exec_lo, s1
	s_mov_b32 s1, exec_lo
	s_waitcnt lgkmcnt(0)
	s_barrier
	buffer_gl0_inv
	v_cmpx_gt_u32_e32 32, v0
	s_cbranch_execz .LBB164_391
; %bb.384:
	s_and_saveexec_b32 s0, vcc_lo
	s_cbranch_execnz .LBB164_398
; %bb.385:
	s_or_b32 exec_lo, exec_lo, s0
	s_and_saveexec_b32 s0, vcc_lo
	s_cbranch_execnz .LBB164_399
.LBB164_386:
	s_or_b32 exec_lo, exec_lo, s0
	s_and_saveexec_b32 s0, vcc_lo
	s_cbranch_execnz .LBB164_400
.LBB164_387:
	s_or_b32 exec_lo, exec_lo, s0
	s_and_saveexec_b32 s0, vcc_lo
	s_cbranch_execnz .LBB164_401
.LBB164_388:
	s_or_b32 exec_lo, exec_lo, s0
	s_and_saveexec_b32 s0, vcc_lo
	s_cbranch_execz .LBB164_390
.LBB164_389:
	ds_read_b32 v6, v6 offset:256
	s_waitcnt lgkmcnt(0)
	v_add_f32_e32 v5, v5, v6
.LBB164_390:
	s_or_b32 exec_lo, exec_lo, s0
.LBB164_391:
	s_or_b32 exec_lo, exec_lo, s1
	s_barrier
	buffer_gl0_inv
	s_mov_b32 s0, exec_lo
	v_cmpx_eq_u32_e32 0, v8
	s_cbranch_execz .LBB164_393
; %bb.392:
	s_mul_i32 s0, s10, s11
	s_mul_i32 s2, s11, s24
	s_mul_i32 s0, s0, s9
	v_lshlrev_b32_e32 v0, 1, v0
	s_mulk_i32 s0, 0x50
	s_ashr_i32 s1, s0, 31
	s_lshl_b64 s[0:1], s[0:1], 2
	s_add_u32 s4, s6, s0
	s_addc_u32 s5, s7, s1
	s_ashr_i32 s3, s2, 31
	s_lshl_b64 s[0:1], s[2:3], 2
	s_mul_i32 s2, s8, 0x50
	s_add_u32 s4, s4, s0
	s_addc_u32 s5, s5, s1
	s_ashr_i32 s3, s2, 31
	s_lshl_b64 s[0:1], s[2:3], 2
	s_add_u32 s0, s4, s0
	s_addc_u32 s1, s5, s1
	global_store_dword v0, v1, s[0:1]
	global_store_dword v0, v2, s[0:1] offset:64
	global_store_dword v0, v3, s[0:1] offset:128
	;; [unrolled: 1-line block ×4, first 2 shown]
.LBB164_393:
	s_endpgm
.LBB164_394:
	ds_read_b32 v8, v6
	s_waitcnt lgkmcnt(0)
	v_add_f32_e32 v1, v1, v8
	s_or_b32 exec_lo, exec_lo, s0
	s_and_saveexec_b32 s0, vcc_lo
	s_cbranch_execz .LBB164_376
.LBB164_395:
	ds_read_b32 v8, v6 offset:64
	s_waitcnt lgkmcnt(0)
	v_add_f32_e32 v2, v2, v8
	s_or_b32 exec_lo, exec_lo, s0
	s_and_saveexec_b32 s0, vcc_lo
	s_cbranch_execz .LBB164_377
.LBB164_396:
	ds_read_b32 v8, v6 offset:128
	s_waitcnt lgkmcnt(0)
	v_add_f32_e32 v3, v3, v8
	s_or_b32 exec_lo, exec_lo, s0
	s_and_saveexec_b32 s0, vcc_lo
	s_cbranch_execz .LBB164_378
.LBB164_397:
	ds_read_b32 v8, v6 offset:192
	s_waitcnt lgkmcnt(0)
	v_add_f32_e32 v4, v4, v8
	s_or_b32 exec_lo, exec_lo, s0
	s_and_saveexec_b32 s0, vcc_lo
	s_cbranch_execnz .LBB164_379
	s_branch .LBB164_380
.LBB164_398:
	ds_read_b32 v7, v6
	s_waitcnt lgkmcnt(0)
	v_add_f32_e32 v1, v1, v7
	s_or_b32 exec_lo, exec_lo, s0
	s_and_saveexec_b32 s0, vcc_lo
	s_cbranch_execz .LBB164_386
.LBB164_399:
	ds_read_b32 v7, v6 offset:64
	s_waitcnt lgkmcnt(0)
	v_add_f32_e32 v2, v2, v7
	s_or_b32 exec_lo, exec_lo, s0
	s_and_saveexec_b32 s0, vcc_lo
	s_cbranch_execz .LBB164_387
.LBB164_400:
	ds_read_b32 v7, v6 offset:128
	s_waitcnt lgkmcnt(0)
	v_add_f32_e32 v3, v3, v7
	s_or_b32 exec_lo, exec_lo, s0
	s_and_saveexec_b32 s0, vcc_lo
	s_cbranch_execz .LBB164_388
.LBB164_401:
	ds_read_b32 v7, v6 offset:192
	s_waitcnt lgkmcnt(0)
	v_add_f32_e32 v4, v4, v7
	s_or_b32 exec_lo, exec_lo, s0
	s_and_saveexec_b32 s0, vcc_lo
	s_cbranch_execnz .LBB164_389
	s_branch .LBB164_390
	.section	.rodata,"a",@progbits
	.p2align	6, 0x0
	.amdhsa_kernel _ZN4vllm25paged_attention_v1_kernelIfhLi80ELi8ELi128ELNS_18Fp8KVCacheDataTypeE1ELb1EEEvPT_PKS2_PKT0_S8_ifPKiSA_iPKfiiiSC_SC_iiiii
		.amdhsa_group_segment_fixed_size 352
		.amdhsa_private_segment_fixed_size 0
		.amdhsa_kernarg_size 384
		.amdhsa_user_sgpr_count 6
		.amdhsa_user_sgpr_private_segment_buffer 1
		.amdhsa_user_sgpr_dispatch_ptr 0
		.amdhsa_user_sgpr_queue_ptr 0
		.amdhsa_user_sgpr_kernarg_segment_ptr 1
		.amdhsa_user_sgpr_dispatch_id 0
		.amdhsa_user_sgpr_flat_scratch_init 0
		.amdhsa_user_sgpr_private_segment_size 0
		.amdhsa_wavefront_size32 1
		.amdhsa_uses_dynamic_stack 0
		.amdhsa_system_sgpr_private_segment_wavefront_offset 0
		.amdhsa_system_sgpr_workgroup_id_x 1
		.amdhsa_system_sgpr_workgroup_id_y 1
		.amdhsa_system_sgpr_workgroup_id_z 1
		.amdhsa_system_sgpr_workgroup_info 0
		.amdhsa_system_vgpr_workitem_id 0
		.amdhsa_next_free_vgpr 68
		.amdhsa_next_free_sgpr 45
		.amdhsa_reserve_vcc 1
		.amdhsa_reserve_flat_scratch 0
		.amdhsa_float_round_mode_32 0
		.amdhsa_float_round_mode_16_64 0
		.amdhsa_float_denorm_mode_32 3
		.amdhsa_float_denorm_mode_16_64 3
		.amdhsa_dx10_clamp 1
		.amdhsa_ieee_mode 1
		.amdhsa_fp16_overflow 0
		.amdhsa_workgroup_processor_mode 1
		.amdhsa_memory_ordered 1
		.amdhsa_forward_progress 1
		.amdhsa_shared_vgpr_count 0
		.amdhsa_exception_fp_ieee_invalid_op 0
		.amdhsa_exception_fp_denorm_src 0
		.amdhsa_exception_fp_ieee_div_zero 0
		.amdhsa_exception_fp_ieee_overflow 0
		.amdhsa_exception_fp_ieee_underflow 0
		.amdhsa_exception_fp_ieee_inexact 0
		.amdhsa_exception_int_div_zero 0
	.end_amdhsa_kernel
	.section	.text._ZN4vllm25paged_attention_v1_kernelIfhLi80ELi8ELi128ELNS_18Fp8KVCacheDataTypeE1ELb1EEEvPT_PKS2_PKT0_S8_ifPKiSA_iPKfiiiSC_SC_iiiii,"axG",@progbits,_ZN4vllm25paged_attention_v1_kernelIfhLi80ELi8ELi128ELNS_18Fp8KVCacheDataTypeE1ELb1EEEvPT_PKS2_PKT0_S8_ifPKiSA_iPKfiiiSC_SC_iiiii,comdat
.Lfunc_end164:
	.size	_ZN4vllm25paged_attention_v1_kernelIfhLi80ELi8ELi128ELNS_18Fp8KVCacheDataTypeE1ELb1EEEvPT_PKS2_PKT0_S8_ifPKiSA_iPKfiiiSC_SC_iiiii, .Lfunc_end164-_ZN4vllm25paged_attention_v1_kernelIfhLi80ELi8ELi128ELNS_18Fp8KVCacheDataTypeE1ELb1EEEvPT_PKS2_PKT0_S8_ifPKiSA_iPKfiiiSC_SC_iiiii
                                        ; -- End function
	.set _ZN4vllm25paged_attention_v1_kernelIfhLi80ELi8ELi128ELNS_18Fp8KVCacheDataTypeE1ELb1EEEvPT_PKS2_PKT0_S8_ifPKiSA_iPKfiiiSC_SC_iiiii.num_vgpr, 68
	.set _ZN4vllm25paged_attention_v1_kernelIfhLi80ELi8ELi128ELNS_18Fp8KVCacheDataTypeE1ELb1EEEvPT_PKS2_PKT0_S8_ifPKiSA_iPKfiiiSC_SC_iiiii.num_agpr, 0
	.set _ZN4vllm25paged_attention_v1_kernelIfhLi80ELi8ELi128ELNS_18Fp8KVCacheDataTypeE1ELb1EEEvPT_PKS2_PKT0_S8_ifPKiSA_iPKfiiiSC_SC_iiiii.numbered_sgpr, 45
	.set _ZN4vllm25paged_attention_v1_kernelIfhLi80ELi8ELi128ELNS_18Fp8KVCacheDataTypeE1ELb1EEEvPT_PKS2_PKT0_S8_ifPKiSA_iPKfiiiSC_SC_iiiii.num_named_barrier, 0
	.set _ZN4vllm25paged_attention_v1_kernelIfhLi80ELi8ELi128ELNS_18Fp8KVCacheDataTypeE1ELb1EEEvPT_PKS2_PKT0_S8_ifPKiSA_iPKfiiiSC_SC_iiiii.private_seg_size, 0
	.set _ZN4vllm25paged_attention_v1_kernelIfhLi80ELi8ELi128ELNS_18Fp8KVCacheDataTypeE1ELb1EEEvPT_PKS2_PKT0_S8_ifPKiSA_iPKfiiiSC_SC_iiiii.uses_vcc, 1
	.set _ZN4vllm25paged_attention_v1_kernelIfhLi80ELi8ELi128ELNS_18Fp8KVCacheDataTypeE1ELb1EEEvPT_PKS2_PKT0_S8_ifPKiSA_iPKfiiiSC_SC_iiiii.uses_flat_scratch, 0
	.set _ZN4vllm25paged_attention_v1_kernelIfhLi80ELi8ELi128ELNS_18Fp8KVCacheDataTypeE1ELb1EEEvPT_PKS2_PKT0_S8_ifPKiSA_iPKfiiiSC_SC_iiiii.has_dyn_sized_stack, 0
	.set _ZN4vllm25paged_attention_v1_kernelIfhLi80ELi8ELi128ELNS_18Fp8KVCacheDataTypeE1ELb1EEEvPT_PKS2_PKT0_S8_ifPKiSA_iPKfiiiSC_SC_iiiii.has_recursion, 0
	.set _ZN4vllm25paged_attention_v1_kernelIfhLi80ELi8ELi128ELNS_18Fp8KVCacheDataTypeE1ELb1EEEvPT_PKS2_PKT0_S8_ifPKiSA_iPKfiiiSC_SC_iiiii.has_indirect_call, 0
	.section	.AMDGPU.csdata,"",@progbits
; Kernel info:
; codeLenInByte = 12192
; TotalNumSgprs: 47
; NumVgprs: 68
; ScratchSize: 0
; MemoryBound: 0
; FloatMode: 240
; IeeeMode: 1
; LDSByteSize: 352 bytes/workgroup (compile time only)
; SGPRBlocks: 0
; VGPRBlocks: 8
; NumSGPRsForWavesPerEU: 47
; NumVGPRsForWavesPerEU: 68
; Occupancy: 12
; WaveLimiterHint : 1
; COMPUTE_PGM_RSRC2:SCRATCH_EN: 0
; COMPUTE_PGM_RSRC2:USER_SGPR: 6
; COMPUTE_PGM_RSRC2:TRAP_HANDLER: 0
; COMPUTE_PGM_RSRC2:TGID_X_EN: 1
; COMPUTE_PGM_RSRC2:TGID_Y_EN: 1
; COMPUTE_PGM_RSRC2:TGID_Z_EN: 1
; COMPUTE_PGM_RSRC2:TIDIG_COMP_CNT: 0
	.section	.text._ZN4vllm25paged_attention_v1_kernelIfhLi96ELi8ELi128ELNS_18Fp8KVCacheDataTypeE1ELb1EEEvPT_PKS2_PKT0_S8_ifPKiSA_iPKfiiiSC_SC_iiiii,"axG",@progbits,_ZN4vllm25paged_attention_v1_kernelIfhLi96ELi8ELi128ELNS_18Fp8KVCacheDataTypeE1ELb1EEEvPT_PKS2_PKT0_S8_ifPKiSA_iPKfiiiSC_SC_iiiii,comdat
	.protected	_ZN4vllm25paged_attention_v1_kernelIfhLi96ELi8ELi128ELNS_18Fp8KVCacheDataTypeE1ELb1EEEvPT_PKS2_PKT0_S8_ifPKiSA_iPKfiiiSC_SC_iiiii ; -- Begin function _ZN4vllm25paged_attention_v1_kernelIfhLi96ELi8ELi128ELNS_18Fp8KVCacheDataTypeE1ELb1EEEvPT_PKS2_PKT0_S8_ifPKiSA_iPKfiiiSC_SC_iiiii
	.globl	_ZN4vllm25paged_attention_v1_kernelIfhLi96ELi8ELi128ELNS_18Fp8KVCacheDataTypeE1ELb1EEEvPT_PKS2_PKT0_S8_ifPKiSA_iPKfiiiSC_SC_iiiii
	.p2align	8
	.type	_ZN4vllm25paged_attention_v1_kernelIfhLi96ELi8ELi128ELNS_18Fp8KVCacheDataTypeE1ELb1EEEvPT_PKS2_PKT0_S8_ifPKiSA_iPKfiiiSC_SC_iiiii,@function
_ZN4vllm25paged_attention_v1_kernelIfhLi96ELi8ELi128ELNS_18Fp8KVCacheDataTypeE1ELb1EEEvPT_PKS2_PKT0_S8_ifPKiSA_iPKfiiiSC_SC_iiiii: ; @_ZN4vllm25paged_attention_v1_kernelIfhLi96ELi8ELi128ELNS_18Fp8KVCacheDataTypeE1ELb1EEEvPT_PKS2_PKT0_S8_ifPKiSA_iPKfiiiSC_SC_iiiii
; %bb.0:
	s_clause 0x2
	s_load_dword s9, s[4:5], 0x80
	s_load_dwordx2 s[0:1], s[4:5], 0x30
	s_load_dwordx2 s[34:35], s[4:5], 0x20
	s_mov_b32 s10, s7
	s_ashr_i32 s11, s7, 31
	s_mov_b32 s36, 0
	s_lshl_b64 s[2:3], s[10:11], 2
	s_waitcnt lgkmcnt(0)
	s_add_u32 s0, s0, s2
	s_addc_u32 s1, s1, s3
	s_abs_i32 s2, s34
	s_abs_i32 s11, s9
	v_cvt_f32_u32_e32 v1, s2
	s_sub_i32 s7, 0, s2
	v_rcp_iflag_f32_e32 v1, v1
	v_mul_f32_e32 v1, 0x4f7ffffe, v1
	v_cvt_u32_f32_e32 v1, v1
	v_readfirstlane_b32 s3, v1
	s_mul_i32 s7, s7, s3
	s_mul_hi_u32 s7, s3, s7
	s_add_i32 s3, s3, s7
	s_xor_b32 s7, s9, s34
	s_mul_hi_u32 s3, s11, s3
	s_ashr_i32 s7, s7, 31
	s_mul_i32 s12, s3, s2
	s_sub_i32 s11, s11, s12
	s_add_i32 s12, s3, 1
	s_sub_i32 s13, s11, s2
	s_cmp_ge_u32 s11, s2
	s_cselect_b32 s3, s12, s3
	s_cselect_b32 s11, s13, s11
	s_add_i32 s12, s3, 1
	s_cmp_ge_u32 s11, s2
	s_cselect_b32 s2, s12, s3
	s_xor_b32 s2, s2, s7
	s_sub_i32 s14, s2, s7
	s_load_dwordx2 s[2:3], s[4:5], 0x40
	s_abs_i32 s11, s14
	v_cvt_f32_u32_e32 v1, s11
	s_sub_i32 s12, 0, s11
	v_rcp_iflag_f32_e32 v1, v1
	v_mul_f32_e32 v1, 0x4f7ffffe, v1
	v_cvt_u32_f32_e32 v1, v1
	v_readfirstlane_b32 s7, v1
	s_mul_i32 s12, s12, s7
	s_mul_hi_u32 s13, s7, s12
	s_abs_i32 s12, s6
	s_add_i32 s7, s7, s13
	s_waitcnt lgkmcnt(0)
	s_cmp_eq_u64 s[2:3], 0
	s_mul_hi_u32 s13, s12, s7
	s_cbranch_scc1 .LBB165_2
; %bb.1:
	s_ashr_i32 s7, s6, 31
	s_lshl_b64 s[16:17], s[6:7], 2
	s_add_u32 s2, s2, s16
	s_addc_u32 s3, s3, s17
	s_load_dword s36, s[2:3], 0x0
.LBB165_2:
	s_load_dword s33, s[0:1], 0x0
	s_load_dwordx4 s[16:19], s[4:5], 0x48
	v_and_b32_e32 v1, 3, v0
	v_lshlrev_b32_e32 v35, 2, v0
	s_ashr_i32 s0, s6, 31
	s_ashr_i32 s1, s14, 31
	s_mul_i32 s24, s6, 0x60
	s_mov_b32 s2, exec_lo
	v_cmpx_gt_u32_e32 0x60, v0
	s_cbranch_execz .LBB165_4
; %bb.3:
	s_load_dwordx2 s[14:15], s[4:5], 0x8
	s_waitcnt lgkmcnt(0)
	s_mul_i32 s20, s16, s10
	v_and_b32_e32 v3, 0x3fc, v0
	s_ashr_i32 s21, s20, 31
	s_lshl_b64 s[20:21], s[20:21], 2
	v_mad_u32_u24 v3, 0x60, v1, v3
	s_add_u32 s3, s14, s20
	s_addc_u32 s7, s15, s21
	s_ashr_i32 s25, s24, 31
	s_lshl_b64 s[14:15], s[24:25], 2
	s_add_u32 s14, s3, s14
	s_addc_u32 s15, s7, s15
	global_load_dword v2, v35, s[14:15]
	s_waitcnt vmcnt(0)
	ds_write_b32 v3, v2
.LBB165_4:
	s_or_b32 exec_lo, exec_lo, s2
	s_load_dwordx4 s[20:23], s[4:5], 0x68
	s_mul_i32 s2, s13, s11
	s_xor_b32 s1, s0, s1
	s_sub_i32 s0, s12, s2
	s_add_i32 s2, s13, 1
	s_sub_i32 s3, s0, s11
	s_cmp_ge_u32 s0, s11
	s_mov_b32 s12, -1
	s_cselect_b32 s2, s2, s13
	s_cselect_b32 s0, s3, s0
	s_add_i32 s3, s2, 1
	s_cmp_ge_u32 s0, s11
	s_load_dword s0, s[4:5], 0x78
	s_cselect_b32 s2, s3, s2
	s_waitcnt lgkmcnt(0)
	s_add_i32 s7, s33, -1
	s_xor_b32 s2, s2, s1
	s_abs_i32 s3, s7
	s_sub_i32 s1, s2, s1
	s_barrier
	s_abs_i32 s16, s23
	buffer_gl0_inv
	v_cvt_f32_u32_e32 v2, s16
	s_sub_i32 s2, 0, s16
                                        ; implicit-def: $sgpr25
	v_rcp_iflag_f32_e32 v2, v2
	v_mul_f32_e32 v2, 0x4f7ffffe, v2
	v_cvt_u32_f32_e32 v2, v2
	v_readfirstlane_b32 s19, v2
	s_mul_i32 s2, s2, s19
	s_mul_hi_u32 s2, s19, s2
	s_add_i32 s19, s19, s2
	s_cmp_lt_i32 s0, 0
	s_mul_hi_u32 s2, s3, s19
	s_cbranch_scc0 .LBB165_6
; %bb.5:
	s_mul_i32 s11, s20, s34
	s_mov_b32 s12, 0
	s_add_i32 s11, s1, s11
	s_mul_i32 s11, s11, s0
	s_sub_i32 s25, 1, s11
.LBB165_6:
	s_load_dwordx2 s[26:27], s[4:5], 0x28
	s_ashr_i32 s11, s7, 31
	s_andn2_b32 vcc_lo, exec_lo, s12
	s_ashr_i32 s23, s23, 31
	s_cbranch_vccnz .LBB165_8
; %bb.7:
	s_mul_i32 s7, s9, s20
	s_add_i32 s6, s7, s6
	s_mul_i32 s0, s6, s0
	s_add_i32 s25, s0, 1
.LBB165_8:
	s_clause 0x2
	s_load_dword s0, s[4:5], 0x38
	s_load_dwordx2 s[6:7], s[4:5], 0x0
	s_load_dwordx2 s[30:31], s[4:5], 0x18
	s_xor_b32 s34, s11, s23
	s_mul_i32 s11, s2, s16
	s_add_i32 s20, s2, 1
	s_sub_i32 s3, s3, s11
	s_clause 0x1
	s_load_dword s11, s[4:5], 0x88
	s_load_dwordx4 s[12:15], s[4:5], 0x58
	v_lshrrev_b32_e32 v33, 5, v0
	v_mov_b32_e32 v39, 0xff7fffff
	v_lshrrev_b32_e32 v36, 3, v0
	v_mbcnt_lo_u32_b32 v37, -1, 0
	s_mul_i32 s18, s1, s18
	v_lshlrev_b32_e32 v34, 3, v33
	s_waitcnt lgkmcnt(0)
	s_mul_i32 s28, s0, s10
	s_sub_i32 s0, s3, s16
	s_ashr_i32 s29, s28, 31
	s_cmp_ge_u32 s3, s16
	s_cselect_b32 s2, s20, s2
	s_cselect_b32 s0, s0, s3
	s_add_i32 s3, s2, 1
	s_cmp_ge_u32 s0, s16
	s_cselect_b32 s0, s3, s2
	s_add_i32 s2, s33, 7
	s_ashr_i32 s3, s2, 31
	s_lshr_b32 s3, s3, 29
	s_add_i32 s2, s2, s3
	s_ashr_i32 s20, s2, 3
	s_xor_b32 s2, s0, s34
	v_cmp_gt_i32_e64 s0, s20, v33
	s_sub_i32 s34, s2, s34
	s_and_saveexec_b32 s37, s0
	s_cbranch_execz .LBB165_212
; %bb.9:
	s_load_dwordx2 s[2:3], s[4:5], 0x10
	s_sub_i32 s4, s34, s21
	s_ashr_i32 s1, s18, 31
	v_bfe_u32 v38, v0, 2, 3
	v_and_b32_e32 v3, 0x7c, v36
	v_mov_b32_e32 v26, 0
	v_mul_u32_u24_e32 v40, 0x60, v1
	v_lshlrev_b32_e32 v41, 3, v33
	v_lshlrev_b32_e32 v4, 2, v38
	v_subrev_nc_u32_e32 v5, s33, v38
	v_lshlrev_b32_e32 v6, 4, v38
	v_mov_b32_e32 v42, 0xff7fffff
	v_mov_b32_e32 v43, 0x7f
	v_lshl_or_b32 v4, v33, 5, v4
	v_add_nc_u32_e32 v45, 1, v5
	v_mov_b32_e32 v44, 7
	v_mov_b32_e32 v39, 0xff7fffff
	;; [unrolled: 1-line block ×3, first 2 shown]
	v_add_nc_u32_e32 v46, 0x1a0, v4
	v_cmp_eq_u32_e32 vcc_lo, 0, v1
	s_waitcnt lgkmcnt(0)
	s_add_u32 s38, s2, s18
	s_addc_u32 s39, s3, s1
	s_abs_i32 s5, s22
	v_add_co_u32 v5, s38, s38, v6
	v_cvt_f32_u32_e32 v2, s5
	s_sub_i32 s2, 0, s5
	v_add_co_ci_u32_e64 v6, null, s39, 0, s38
	v_cmp_neq_f32_e64 s1, s36, 0
	v_rcp_iflag_f32_e32 v2, v2
	s_mov_b32 s38, 0
	s_mov_b32 s39, s17
	v_mul_f32_e32 v2, 0x4f7ffffe, v2
	v_cvt_u32_f32_e32 v2, v2
	v_mul_lo_u32 v4, s2, v2
	s_lshl_b64 s[2:3], s[28:29], 2
	s_add_u32 s2, s26, s2
	s_addc_u32 s3, s27, s3
	v_add_co_u32 v27, s2, s2, v3
	v_add_co_ci_u32_e64 v28, null, s3, 0, s2
	v_mul_hi_u32 v4, v2, v4
	v_add_co_u32 v29, s2, v5, v1
	v_add_co_ci_u32_e64 v30, null, 0, v6, s2
	v_add_nc_u32_e32 v47, v2, v4
	s_branch .LBB165_12
.LBB165_10:                             ;   in Loop: Header=BB165_12 Depth=1
	s_or_b32 exec_lo, exec_lo, s40
.LBB165_11:                             ;   in Loop: Header=BB165_12 Depth=1
	s_or_b32 exec_lo, exec_lo, s3
	v_add_nc_u32_e32 v48, 4, v48
	v_add_co_u32 v27, s3, v27, 16
	v_add_co_ci_u32_e64 v28, null, 0, v28, s3
	v_cmp_le_i32_e64 s2, s20, v48
	v_add_nc_u32_e32 v41, 32, v41
	v_add_nc_u32_e32 v46, 0x80, v46
	s_or_b32 s38, s2, s38
	s_andn2_b32 exec_lo, exec_lo, s38
	s_cbranch_execz .LBB165_211
.LBB165_12:                             ; =>This Inner Loop Header: Depth=1
	v_mul_hi_u32 v1, v41, s19
	s_waitcnt lgkmcnt(0)
	v_mul_lo_u32 v2, v1, s16
	v_add_nc_u32_e32 v3, 1, v1
	v_sub_nc_u32_e32 v2, v41, v2
	v_subrev_nc_u32_e32 v4, s16, v2
	v_cmp_le_u32_e64 s2, s16, v2
	v_cndmask_b32_e64 v1, v1, v3, s2
	v_cndmask_b32_e64 v2, v2, v4, s2
	v_add_nc_u32_e32 v3, 1, v1
	v_cmp_le_u32_e64 s2, s16, v2
	v_cndmask_b32_e64 v1, v1, v3, s2
	v_xor_b32_e32 v1, s23, v1
	v_subrev_nc_u32_e32 v1, s23, v1
	v_add_nc_u32_e32 v2, s25, v1
	v_cmp_ge_i32_e64 s3, s4, v1
	v_sub_nc_u32_e32 v3, 0, v2
	v_max_i32_e32 v3, v2, v3
	v_ashrrev_i32_e32 v2, 31, v2
	v_mul_hi_u32 v4, v3, v47
	v_mul_lo_u32 v4, v4, s5
	v_sub_nc_u32_e32 v3, v3, v4
	v_subrev_nc_u32_e32 v4, s5, v3
	v_cmp_le_u32_e64 s2, s5, v3
	v_cndmask_b32_e64 v3, v3, v4, s2
	v_subrev_nc_u32_e32 v4, s5, v3
	v_cmp_le_u32_e64 s2, s5, v3
	v_cndmask_b32_e64 v3, v3, v4, s2
	v_xor_b32_e32 v3, v3, v2
	v_sub_nc_u32_e32 v2, v3, v2
	v_cmp_ne_u32_e64 s2, 0, v2
	s_and_b32 s2, s2, s3
	s_and_saveexec_b32 s3, s2
	s_xor_b32 s2, exec_lo, s3
	s_cbranch_execz .LBB165_16
; %bb.13:                               ;   in Loop: Header=BB165_12 Depth=1
	s_and_saveexec_b32 s3, vcc_lo
; %bb.14:                               ;   in Loop: Header=BB165_12 Depth=1
	ds_write_b32 v46, v42
; %bb.15:                               ;   in Loop: Header=BB165_12 Depth=1
	s_or_b32 exec_lo, exec_lo, s3
.LBB165_16:                             ;   in Loop: Header=BB165_12 Depth=1
	s_andn2_saveexec_b32 s3, s2
	s_cbranch_execz .LBB165_11
; %bb.17:                               ;   in Loop: Header=BB165_12 Depth=1
	global_load_dword v1, v[27:28], off
	v_mov_b32_e32 v49, 0
	v_mov_b32_e32 v50, 0
	s_mov_b32 s41, exec_lo
	s_waitcnt vmcnt(0)
	v_mad_i64_i32 v[31:32], null, v1, s39, v[29:30]
	global_load_ubyte v51, v[31:32], off
	ds_read_b128 v[21:24], v40
	ds_read_b128 v[17:20], v40 offset:16
	ds_read_b128 v[13:16], v40 offset:32
	;; [unrolled: 1-line block ×5, first 2 shown]
	s_load_dword s40, s[12:13], 0x0
	s_waitcnt vmcnt(0)
	v_cmpx_ne_u16_e32 0, v51
	s_cbranch_execz .LBB165_25
; %bb.18:                               ;   in Loop: Header=BB165_12 Depth=1
	v_bfrev_b32_e32 v50, 1
	s_mov_b32 s42, exec_lo
	v_cmpx_ne_u16_e32 0x80, v51
	s_cbranch_execz .LBB165_24
; %bb.19:                               ;   in Loop: Header=BB165_12 Depth=1
	v_and_b32_sdwa v52, v51, v43 dst_sel:DWORD dst_unused:UNUSED_PAD src0_sel:WORD_0 src1_sel:DWORD
	v_mov_b32_e32 v50, 0x7f800001
	s_mov_b32 s43, exec_lo
	v_cmpx_ne_u32_e32 0x7f, v52
	s_cbranch_execz .LBB165_23
; %bb.20:                               ;   in Loop: Header=BB165_12 Depth=1
	v_and_b32_sdwa v25, v51, v44 dst_sel:DWORD dst_unused:UNUSED_PAD src0_sel:WORD_0 src1_sel:DWORD
	v_lshrrev_b32_e32 v50, 3, v52
	s_mov_b32 s44, exec_lo
	v_cmpx_gt_u32_e32 8, v52
; %bb.21:                               ;   in Loop: Header=BB165_12 Depth=1
	v_ffbh_u32_e32 v50, v25
	v_min_u32_e32 v50, 32, v50
	v_subrev_nc_u32_e32 v52, 28, v50
	v_sub_nc_u32_e32 v50, 29, v50
	v_lshlrev_b64 v[52:53], v52, v[25:26]
	v_and_b32_e32 v25, 7, v52
; %bb.22:                               ;   in Loop: Header=BB165_12 Depth=1
	s_or_b32 exec_lo, exec_lo, s44
	v_lshlrev_b32_e32 v51, 24, v51
	v_lshlrev_b32_e32 v25, 20, v25
	v_lshl_add_u32 v50, v50, 23, 0x3c000000
	v_and_b32_e32 v51, 0x80000000, v51
	v_or3_b32 v50, v25, v51, v50
.LBB165_23:                             ;   in Loop: Header=BB165_12 Depth=1
	s_or_b32 exec_lo, exec_lo, s43
.LBB165_24:                             ;   in Loop: Header=BB165_12 Depth=1
	s_or_b32 exec_lo, exec_lo, s42
.LBB165_25:                             ;   in Loop: Header=BB165_12 Depth=1
	s_or_b32 exec_lo, exec_lo, s41
	global_load_ubyte v51, v[31:32], off offset:4
	s_mov_b32 s41, exec_lo
	s_waitcnt vmcnt(0)
	v_cmpx_ne_u16_e32 0, v51
	s_cbranch_execz .LBB165_33
; %bb.26:                               ;   in Loop: Header=BB165_12 Depth=1
	v_bfrev_b32_e32 v49, 1
	s_mov_b32 s42, exec_lo
	v_cmpx_ne_u16_e32 0x80, v51
	s_cbranch_execz .LBB165_32
; %bb.27:                               ;   in Loop: Header=BB165_12 Depth=1
	v_and_b32_sdwa v52, v51, v43 dst_sel:DWORD dst_unused:UNUSED_PAD src0_sel:WORD_0 src1_sel:DWORD
	v_mov_b32_e32 v49, 0x7f800001
	s_mov_b32 s43, exec_lo
	v_cmpx_ne_u32_e32 0x7f, v52
	s_cbranch_execz .LBB165_31
; %bb.28:                               ;   in Loop: Header=BB165_12 Depth=1
	v_and_b32_sdwa v25, v51, v44 dst_sel:DWORD dst_unused:UNUSED_PAD src0_sel:WORD_0 src1_sel:DWORD
	v_lshrrev_b32_e32 v49, 3, v52
	s_mov_b32 s44, exec_lo
	v_cmpx_gt_u32_e32 8, v52
; %bb.29:                               ;   in Loop: Header=BB165_12 Depth=1
	v_ffbh_u32_e32 v49, v25
	v_min_u32_e32 v49, 32, v49
	v_subrev_nc_u32_e32 v52, 28, v49
	v_sub_nc_u32_e32 v49, 29, v49
	v_lshlrev_b64 v[52:53], v52, v[25:26]
	v_and_b32_e32 v25, 7, v52
; %bb.30:                               ;   in Loop: Header=BB165_12 Depth=1
	s_or_b32 exec_lo, exec_lo, s44
	v_lshlrev_b32_e32 v51, 24, v51
	v_lshlrev_b32_e32 v25, 20, v25
	v_lshl_add_u32 v49, v49, 23, 0x3c000000
	v_and_b32_e32 v51, 0x80000000, v51
	v_or3_b32 v49, v25, v51, v49
.LBB165_31:                             ;   in Loop: Header=BB165_12 Depth=1
	s_or_b32 exec_lo, exec_lo, s43
.LBB165_32:                             ;   in Loop: Header=BB165_12 Depth=1
	s_or_b32 exec_lo, exec_lo, s42
.LBB165_33:                             ;   in Loop: Header=BB165_12 Depth=1
	s_or_b32 exec_lo, exec_lo, s41
	global_load_ubyte v53, v[31:32], off offset:8
	v_mov_b32_e32 v51, 0
	v_mov_b32_e32 v52, 0
	s_mov_b32 s41, exec_lo
	s_waitcnt vmcnt(0)
	v_cmpx_ne_u16_e32 0, v53
	s_cbranch_execz .LBB165_41
; %bb.34:                               ;   in Loop: Header=BB165_12 Depth=1
	v_bfrev_b32_e32 v52, 1
	s_mov_b32 s42, exec_lo
	v_cmpx_ne_u16_e32 0x80, v53
	s_cbranch_execz .LBB165_40
; %bb.35:                               ;   in Loop: Header=BB165_12 Depth=1
	v_and_b32_sdwa v54, v53, v43 dst_sel:DWORD dst_unused:UNUSED_PAD src0_sel:WORD_0 src1_sel:DWORD
	v_mov_b32_e32 v52, 0x7f800001
	s_mov_b32 s43, exec_lo
	v_cmpx_ne_u32_e32 0x7f, v54
	s_cbranch_execz .LBB165_39
; %bb.36:                               ;   in Loop: Header=BB165_12 Depth=1
	v_and_b32_sdwa v25, v53, v44 dst_sel:DWORD dst_unused:UNUSED_PAD src0_sel:WORD_0 src1_sel:DWORD
	v_lshrrev_b32_e32 v52, 3, v54
	s_mov_b32 s44, exec_lo
	v_cmpx_gt_u32_e32 8, v54
; %bb.37:                               ;   in Loop: Header=BB165_12 Depth=1
	v_ffbh_u32_e32 v52, v25
	v_min_u32_e32 v52, 32, v52
	v_subrev_nc_u32_e32 v54, 28, v52
	v_sub_nc_u32_e32 v52, 29, v52
	v_lshlrev_b64 v[54:55], v54, v[25:26]
	v_and_b32_e32 v25, 7, v54
; %bb.38:                               ;   in Loop: Header=BB165_12 Depth=1
	s_or_b32 exec_lo, exec_lo, s44
	v_lshlrev_b32_e32 v53, 24, v53
	v_lshlrev_b32_e32 v25, 20, v25
	v_lshl_add_u32 v52, v52, 23, 0x3c000000
	v_and_b32_e32 v53, 0x80000000, v53
	v_or3_b32 v52, v25, v53, v52
.LBB165_39:                             ;   in Loop: Header=BB165_12 Depth=1
	s_or_b32 exec_lo, exec_lo, s43
.LBB165_40:                             ;   in Loop: Header=BB165_12 Depth=1
	s_or_b32 exec_lo, exec_lo, s42
.LBB165_41:                             ;   in Loop: Header=BB165_12 Depth=1
	s_or_b32 exec_lo, exec_lo, s41
	global_load_ubyte v53, v[31:32], off offset:12
	s_mov_b32 s41, exec_lo
	s_waitcnt vmcnt(0)
	v_cmpx_ne_u16_e32 0, v53
	s_cbranch_execz .LBB165_49
; %bb.42:                               ;   in Loop: Header=BB165_12 Depth=1
	v_bfrev_b32_e32 v51, 1
	s_mov_b32 s42, exec_lo
	v_cmpx_ne_u16_e32 0x80, v53
	s_cbranch_execz .LBB165_48
; %bb.43:                               ;   in Loop: Header=BB165_12 Depth=1
	v_and_b32_sdwa v54, v53, v43 dst_sel:DWORD dst_unused:UNUSED_PAD src0_sel:WORD_0 src1_sel:DWORD
	v_mov_b32_e32 v51, 0x7f800001
	s_mov_b32 s43, exec_lo
	v_cmpx_ne_u32_e32 0x7f, v54
	s_cbranch_execz .LBB165_47
; %bb.44:                               ;   in Loop: Header=BB165_12 Depth=1
	v_and_b32_sdwa v25, v53, v44 dst_sel:DWORD dst_unused:UNUSED_PAD src0_sel:WORD_0 src1_sel:DWORD
	v_lshrrev_b32_e32 v51, 3, v54
	s_mov_b32 s44, exec_lo
	v_cmpx_gt_u32_e32 8, v54
; %bb.45:                               ;   in Loop: Header=BB165_12 Depth=1
	v_ffbh_u32_e32 v51, v25
	v_min_u32_e32 v51, 32, v51
	v_subrev_nc_u32_e32 v54, 28, v51
	v_sub_nc_u32_e32 v51, 29, v51
	v_lshlrev_b64 v[54:55], v54, v[25:26]
	v_and_b32_e32 v25, 7, v54
; %bb.46:                               ;   in Loop: Header=BB165_12 Depth=1
	s_or_b32 exec_lo, exec_lo, s44
	v_lshlrev_b32_e32 v53, 24, v53
	v_lshlrev_b32_e32 v25, 20, v25
	v_lshl_add_u32 v51, v51, 23, 0x3c000000
	v_and_b32_e32 v53, 0x80000000, v53
	v_or3_b32 v51, v25, v53, v51
.LBB165_47:                             ;   in Loop: Header=BB165_12 Depth=1
	s_or_b32 exec_lo, exec_lo, s43
.LBB165_48:                             ;   in Loop: Header=BB165_12 Depth=1
	s_or_b32 exec_lo, exec_lo, s42
.LBB165_49:                             ;   in Loop: Header=BB165_12 Depth=1
	s_or_b32 exec_lo, exec_lo, s41
	global_load_ubyte v55, v[31:32], off offset:128
	v_mov_b32_e32 v53, 0
	v_mov_b32_e32 v54, 0
	s_mov_b32 s41, exec_lo
	s_waitcnt vmcnt(0)
	v_cmpx_ne_u16_e32 0, v55
	s_cbranch_execz .LBB165_57
; %bb.50:                               ;   in Loop: Header=BB165_12 Depth=1
	v_bfrev_b32_e32 v54, 1
	s_mov_b32 s42, exec_lo
	v_cmpx_ne_u16_e32 0x80, v55
	s_cbranch_execz .LBB165_56
; %bb.51:                               ;   in Loop: Header=BB165_12 Depth=1
	v_and_b32_sdwa v56, v55, v43 dst_sel:DWORD dst_unused:UNUSED_PAD src0_sel:WORD_0 src1_sel:DWORD
	v_mov_b32_e32 v54, 0x7f800001
	s_mov_b32 s43, exec_lo
	v_cmpx_ne_u32_e32 0x7f, v56
	s_cbranch_execz .LBB165_55
; %bb.52:                               ;   in Loop: Header=BB165_12 Depth=1
	v_and_b32_sdwa v25, v55, v44 dst_sel:DWORD dst_unused:UNUSED_PAD src0_sel:WORD_0 src1_sel:DWORD
	v_lshrrev_b32_e32 v54, 3, v56
	s_mov_b32 s44, exec_lo
	v_cmpx_gt_u32_e32 8, v56
; %bb.53:                               ;   in Loop: Header=BB165_12 Depth=1
	v_ffbh_u32_e32 v54, v25
	v_min_u32_e32 v54, 32, v54
	v_subrev_nc_u32_e32 v56, 28, v54
	v_sub_nc_u32_e32 v54, 29, v54
	v_lshlrev_b64 v[56:57], v56, v[25:26]
	v_and_b32_e32 v25, 7, v56
; %bb.54:                               ;   in Loop: Header=BB165_12 Depth=1
	s_or_b32 exec_lo, exec_lo, s44
	v_lshlrev_b32_e32 v55, 24, v55
	v_lshlrev_b32_e32 v25, 20, v25
	v_lshl_add_u32 v54, v54, 23, 0x3c000000
	v_and_b32_e32 v55, 0x80000000, v55
	v_or3_b32 v54, v25, v55, v54
.LBB165_55:                             ;   in Loop: Header=BB165_12 Depth=1
	s_or_b32 exec_lo, exec_lo, s43
.LBB165_56:                             ;   in Loop: Header=BB165_12 Depth=1
	s_or_b32 exec_lo, exec_lo, s42
.LBB165_57:                             ;   in Loop: Header=BB165_12 Depth=1
	s_or_b32 exec_lo, exec_lo, s41
	global_load_ubyte v55, v[31:32], off offset:132
	s_mov_b32 s41, exec_lo
	s_waitcnt vmcnt(0)
	v_cmpx_ne_u16_e32 0, v55
	s_cbranch_execz .LBB165_65
; %bb.58:                               ;   in Loop: Header=BB165_12 Depth=1
	v_bfrev_b32_e32 v53, 1
	s_mov_b32 s42, exec_lo
	v_cmpx_ne_u16_e32 0x80, v55
	s_cbranch_execz .LBB165_64
; %bb.59:                               ;   in Loop: Header=BB165_12 Depth=1
	v_and_b32_sdwa v56, v55, v43 dst_sel:DWORD dst_unused:UNUSED_PAD src0_sel:WORD_0 src1_sel:DWORD
	v_mov_b32_e32 v53, 0x7f800001
	s_mov_b32 s43, exec_lo
	v_cmpx_ne_u32_e32 0x7f, v56
	s_cbranch_execz .LBB165_63
; %bb.60:                               ;   in Loop: Header=BB165_12 Depth=1
	v_and_b32_sdwa v25, v55, v44 dst_sel:DWORD dst_unused:UNUSED_PAD src0_sel:WORD_0 src1_sel:DWORD
	v_lshrrev_b32_e32 v53, 3, v56
	s_mov_b32 s44, exec_lo
	v_cmpx_gt_u32_e32 8, v56
; %bb.61:                               ;   in Loop: Header=BB165_12 Depth=1
	v_ffbh_u32_e32 v53, v25
	v_min_u32_e32 v53, 32, v53
	v_subrev_nc_u32_e32 v56, 28, v53
	v_sub_nc_u32_e32 v53, 29, v53
	v_lshlrev_b64 v[56:57], v56, v[25:26]
	v_and_b32_e32 v25, 7, v56
; %bb.62:                               ;   in Loop: Header=BB165_12 Depth=1
	s_or_b32 exec_lo, exec_lo, s44
	v_lshlrev_b32_e32 v55, 24, v55
	v_lshlrev_b32_e32 v25, 20, v25
	v_lshl_add_u32 v53, v53, 23, 0x3c000000
	v_and_b32_e32 v55, 0x80000000, v55
	v_or3_b32 v53, v25, v55, v53
.LBB165_63:                             ;   in Loop: Header=BB165_12 Depth=1
	s_or_b32 exec_lo, exec_lo, s43
.LBB165_64:                             ;   in Loop: Header=BB165_12 Depth=1
	s_or_b32 exec_lo, exec_lo, s42
.LBB165_65:                             ;   in Loop: Header=BB165_12 Depth=1
	s_or_b32 exec_lo, exec_lo, s41
	global_load_ubyte v57, v[31:32], off offset:136
	v_mov_b32_e32 v55, 0
	v_mov_b32_e32 v56, 0
	s_mov_b32 s41, exec_lo
	s_waitcnt vmcnt(0)
	v_cmpx_ne_u16_e32 0, v57
	s_cbranch_execz .LBB165_73
; %bb.66:                               ;   in Loop: Header=BB165_12 Depth=1
	v_bfrev_b32_e32 v56, 1
	s_mov_b32 s42, exec_lo
	v_cmpx_ne_u16_e32 0x80, v57
	s_cbranch_execz .LBB165_72
; %bb.67:                               ;   in Loop: Header=BB165_12 Depth=1
	v_and_b32_sdwa v58, v57, v43 dst_sel:DWORD dst_unused:UNUSED_PAD src0_sel:WORD_0 src1_sel:DWORD
	v_mov_b32_e32 v56, 0x7f800001
	s_mov_b32 s43, exec_lo
	v_cmpx_ne_u32_e32 0x7f, v58
	s_cbranch_execz .LBB165_71
; %bb.68:                               ;   in Loop: Header=BB165_12 Depth=1
	v_and_b32_sdwa v25, v57, v44 dst_sel:DWORD dst_unused:UNUSED_PAD src0_sel:WORD_0 src1_sel:DWORD
	v_lshrrev_b32_e32 v56, 3, v58
	s_mov_b32 s44, exec_lo
	v_cmpx_gt_u32_e32 8, v58
; %bb.69:                               ;   in Loop: Header=BB165_12 Depth=1
	v_ffbh_u32_e32 v56, v25
	v_min_u32_e32 v56, 32, v56
	v_subrev_nc_u32_e32 v58, 28, v56
	v_sub_nc_u32_e32 v56, 29, v56
	v_lshlrev_b64 v[58:59], v58, v[25:26]
	v_and_b32_e32 v25, 7, v58
; %bb.70:                               ;   in Loop: Header=BB165_12 Depth=1
	s_or_b32 exec_lo, exec_lo, s44
	v_lshlrev_b32_e32 v57, 24, v57
	v_lshlrev_b32_e32 v25, 20, v25
	v_lshl_add_u32 v56, v56, 23, 0x3c000000
	v_and_b32_e32 v57, 0x80000000, v57
	v_or3_b32 v56, v25, v57, v56
.LBB165_71:                             ;   in Loop: Header=BB165_12 Depth=1
	s_or_b32 exec_lo, exec_lo, s43
.LBB165_72:                             ;   in Loop: Header=BB165_12 Depth=1
	s_or_b32 exec_lo, exec_lo, s42
.LBB165_73:                             ;   in Loop: Header=BB165_12 Depth=1
	s_or_b32 exec_lo, exec_lo, s41
	global_load_ubyte v57, v[31:32], off offset:140
	s_mov_b32 s41, exec_lo
	s_waitcnt vmcnt(0)
	v_cmpx_ne_u16_e32 0, v57
	s_cbranch_execz .LBB165_81
; %bb.74:                               ;   in Loop: Header=BB165_12 Depth=1
	v_bfrev_b32_e32 v55, 1
	s_mov_b32 s42, exec_lo
	v_cmpx_ne_u16_e32 0x80, v57
	s_cbranch_execz .LBB165_80
; %bb.75:                               ;   in Loop: Header=BB165_12 Depth=1
	v_and_b32_sdwa v58, v57, v43 dst_sel:DWORD dst_unused:UNUSED_PAD src0_sel:WORD_0 src1_sel:DWORD
	v_mov_b32_e32 v55, 0x7f800001
	s_mov_b32 s43, exec_lo
	v_cmpx_ne_u32_e32 0x7f, v58
	s_cbranch_execz .LBB165_79
; %bb.76:                               ;   in Loop: Header=BB165_12 Depth=1
	v_and_b32_sdwa v25, v57, v44 dst_sel:DWORD dst_unused:UNUSED_PAD src0_sel:WORD_0 src1_sel:DWORD
	v_lshrrev_b32_e32 v55, 3, v58
	s_mov_b32 s44, exec_lo
	v_cmpx_gt_u32_e32 8, v58
; %bb.77:                               ;   in Loop: Header=BB165_12 Depth=1
	v_ffbh_u32_e32 v55, v25
	v_min_u32_e32 v55, 32, v55
	v_subrev_nc_u32_e32 v58, 28, v55
	v_sub_nc_u32_e32 v55, 29, v55
	v_lshlrev_b64 v[58:59], v58, v[25:26]
	v_and_b32_e32 v25, 7, v58
; %bb.78:                               ;   in Loop: Header=BB165_12 Depth=1
	s_or_b32 exec_lo, exec_lo, s44
	v_lshlrev_b32_e32 v57, 24, v57
	v_lshlrev_b32_e32 v25, 20, v25
	v_lshl_add_u32 v55, v55, 23, 0x3c000000
	v_and_b32_e32 v57, 0x80000000, v57
	v_or3_b32 v55, v25, v57, v55
.LBB165_79:                             ;   in Loop: Header=BB165_12 Depth=1
	s_or_b32 exec_lo, exec_lo, s43
.LBB165_80:                             ;   in Loop: Header=BB165_12 Depth=1
	s_or_b32 exec_lo, exec_lo, s42
.LBB165_81:                             ;   in Loop: Header=BB165_12 Depth=1
	s_or_b32 exec_lo, exec_lo, s41
	global_load_ubyte v59, v[31:32], off offset:256
	v_mov_b32_e32 v57, 0
	v_mov_b32_e32 v58, 0
	s_mov_b32 s41, exec_lo
	s_waitcnt vmcnt(0)
	v_cmpx_ne_u16_e32 0, v59
	s_cbranch_execz .LBB165_89
; %bb.82:                               ;   in Loop: Header=BB165_12 Depth=1
	v_bfrev_b32_e32 v58, 1
	s_mov_b32 s42, exec_lo
	v_cmpx_ne_u16_e32 0x80, v59
	s_cbranch_execz .LBB165_88
; %bb.83:                               ;   in Loop: Header=BB165_12 Depth=1
	v_and_b32_sdwa v60, v59, v43 dst_sel:DWORD dst_unused:UNUSED_PAD src0_sel:WORD_0 src1_sel:DWORD
	v_mov_b32_e32 v58, 0x7f800001
	s_mov_b32 s43, exec_lo
	v_cmpx_ne_u32_e32 0x7f, v60
	s_cbranch_execz .LBB165_87
; %bb.84:                               ;   in Loop: Header=BB165_12 Depth=1
	v_and_b32_sdwa v25, v59, v44 dst_sel:DWORD dst_unused:UNUSED_PAD src0_sel:WORD_0 src1_sel:DWORD
	v_lshrrev_b32_e32 v58, 3, v60
	s_mov_b32 s44, exec_lo
	v_cmpx_gt_u32_e32 8, v60
; %bb.85:                               ;   in Loop: Header=BB165_12 Depth=1
	v_ffbh_u32_e32 v58, v25
	v_min_u32_e32 v58, 32, v58
	v_subrev_nc_u32_e32 v60, 28, v58
	v_sub_nc_u32_e32 v58, 29, v58
	v_lshlrev_b64 v[60:61], v60, v[25:26]
	v_and_b32_e32 v25, 7, v60
; %bb.86:                               ;   in Loop: Header=BB165_12 Depth=1
	s_or_b32 exec_lo, exec_lo, s44
	v_lshlrev_b32_e32 v59, 24, v59
	v_lshlrev_b32_e32 v25, 20, v25
	v_lshl_add_u32 v58, v58, 23, 0x3c000000
	v_and_b32_e32 v59, 0x80000000, v59
	v_or3_b32 v58, v25, v59, v58
.LBB165_87:                             ;   in Loop: Header=BB165_12 Depth=1
	s_or_b32 exec_lo, exec_lo, s43
.LBB165_88:                             ;   in Loop: Header=BB165_12 Depth=1
	s_or_b32 exec_lo, exec_lo, s42
.LBB165_89:                             ;   in Loop: Header=BB165_12 Depth=1
	s_or_b32 exec_lo, exec_lo, s41
	global_load_ubyte v59, v[31:32], off offset:260
	s_mov_b32 s41, exec_lo
	s_waitcnt vmcnt(0)
	v_cmpx_ne_u16_e32 0, v59
	s_cbranch_execz .LBB165_97
; %bb.90:                               ;   in Loop: Header=BB165_12 Depth=1
	v_bfrev_b32_e32 v57, 1
	s_mov_b32 s42, exec_lo
	v_cmpx_ne_u16_e32 0x80, v59
	s_cbranch_execz .LBB165_96
; %bb.91:                               ;   in Loop: Header=BB165_12 Depth=1
	v_and_b32_sdwa v60, v59, v43 dst_sel:DWORD dst_unused:UNUSED_PAD src0_sel:WORD_0 src1_sel:DWORD
	v_mov_b32_e32 v57, 0x7f800001
	s_mov_b32 s43, exec_lo
	v_cmpx_ne_u32_e32 0x7f, v60
	s_cbranch_execz .LBB165_95
; %bb.92:                               ;   in Loop: Header=BB165_12 Depth=1
	v_and_b32_sdwa v25, v59, v44 dst_sel:DWORD dst_unused:UNUSED_PAD src0_sel:WORD_0 src1_sel:DWORD
	v_lshrrev_b32_e32 v57, 3, v60
	s_mov_b32 s44, exec_lo
	v_cmpx_gt_u32_e32 8, v60
; %bb.93:                               ;   in Loop: Header=BB165_12 Depth=1
	v_ffbh_u32_e32 v57, v25
	v_min_u32_e32 v57, 32, v57
	v_subrev_nc_u32_e32 v60, 28, v57
	v_sub_nc_u32_e32 v57, 29, v57
	v_lshlrev_b64 v[60:61], v60, v[25:26]
	v_and_b32_e32 v25, 7, v60
; %bb.94:                               ;   in Loop: Header=BB165_12 Depth=1
	s_or_b32 exec_lo, exec_lo, s44
	v_lshlrev_b32_e32 v59, 24, v59
	v_lshlrev_b32_e32 v25, 20, v25
	v_lshl_add_u32 v57, v57, 23, 0x3c000000
	v_and_b32_e32 v59, 0x80000000, v59
	v_or3_b32 v57, v25, v59, v57
.LBB165_95:                             ;   in Loop: Header=BB165_12 Depth=1
	s_or_b32 exec_lo, exec_lo, s43
.LBB165_96:                             ;   in Loop: Header=BB165_12 Depth=1
	s_or_b32 exec_lo, exec_lo, s42
.LBB165_97:                             ;   in Loop: Header=BB165_12 Depth=1
	s_or_b32 exec_lo, exec_lo, s41
	global_load_ubyte v61, v[31:32], off offset:264
	v_mov_b32_e32 v59, 0
	v_mov_b32_e32 v60, 0
	s_mov_b32 s41, exec_lo
	s_waitcnt vmcnt(0)
	v_cmpx_ne_u16_e32 0, v61
	s_cbranch_execz .LBB165_105
; %bb.98:                               ;   in Loop: Header=BB165_12 Depth=1
	v_bfrev_b32_e32 v60, 1
	s_mov_b32 s42, exec_lo
	v_cmpx_ne_u16_e32 0x80, v61
	s_cbranch_execz .LBB165_104
; %bb.99:                               ;   in Loop: Header=BB165_12 Depth=1
	v_and_b32_sdwa v62, v61, v43 dst_sel:DWORD dst_unused:UNUSED_PAD src0_sel:WORD_0 src1_sel:DWORD
	v_mov_b32_e32 v60, 0x7f800001
	s_mov_b32 s43, exec_lo
	v_cmpx_ne_u32_e32 0x7f, v62
	s_cbranch_execz .LBB165_103
; %bb.100:                              ;   in Loop: Header=BB165_12 Depth=1
	v_and_b32_sdwa v25, v61, v44 dst_sel:DWORD dst_unused:UNUSED_PAD src0_sel:WORD_0 src1_sel:DWORD
	v_lshrrev_b32_e32 v60, 3, v62
	s_mov_b32 s44, exec_lo
	v_cmpx_gt_u32_e32 8, v62
; %bb.101:                              ;   in Loop: Header=BB165_12 Depth=1
	v_ffbh_u32_e32 v60, v25
	v_min_u32_e32 v60, 32, v60
	v_subrev_nc_u32_e32 v62, 28, v60
	v_sub_nc_u32_e32 v60, 29, v60
	v_lshlrev_b64 v[62:63], v62, v[25:26]
	v_and_b32_e32 v25, 7, v62
; %bb.102:                              ;   in Loop: Header=BB165_12 Depth=1
	s_or_b32 exec_lo, exec_lo, s44
	v_lshlrev_b32_e32 v61, 24, v61
	v_lshlrev_b32_e32 v25, 20, v25
	v_lshl_add_u32 v60, v60, 23, 0x3c000000
	v_and_b32_e32 v61, 0x80000000, v61
	v_or3_b32 v60, v25, v61, v60
.LBB165_103:                            ;   in Loop: Header=BB165_12 Depth=1
	s_or_b32 exec_lo, exec_lo, s43
.LBB165_104:                            ;   in Loop: Header=BB165_12 Depth=1
	s_or_b32 exec_lo, exec_lo, s42
.LBB165_105:                            ;   in Loop: Header=BB165_12 Depth=1
	s_or_b32 exec_lo, exec_lo, s41
	global_load_ubyte v61, v[31:32], off offset:268
	s_mov_b32 s41, exec_lo
	s_waitcnt vmcnt(0)
	v_cmpx_ne_u16_e32 0, v61
	s_cbranch_execz .LBB165_113
; %bb.106:                              ;   in Loop: Header=BB165_12 Depth=1
	v_bfrev_b32_e32 v59, 1
	s_mov_b32 s42, exec_lo
	v_cmpx_ne_u16_e32 0x80, v61
	s_cbranch_execz .LBB165_112
; %bb.107:                              ;   in Loop: Header=BB165_12 Depth=1
	v_and_b32_sdwa v62, v61, v43 dst_sel:DWORD dst_unused:UNUSED_PAD src0_sel:WORD_0 src1_sel:DWORD
	v_mov_b32_e32 v59, 0x7f800001
	s_mov_b32 s43, exec_lo
	v_cmpx_ne_u32_e32 0x7f, v62
	s_cbranch_execz .LBB165_111
; %bb.108:                              ;   in Loop: Header=BB165_12 Depth=1
	v_and_b32_sdwa v25, v61, v44 dst_sel:DWORD dst_unused:UNUSED_PAD src0_sel:WORD_0 src1_sel:DWORD
	v_lshrrev_b32_e32 v59, 3, v62
	s_mov_b32 s44, exec_lo
	v_cmpx_gt_u32_e32 8, v62
; %bb.109:                              ;   in Loop: Header=BB165_12 Depth=1
	v_ffbh_u32_e32 v59, v25
	v_min_u32_e32 v59, 32, v59
	v_subrev_nc_u32_e32 v62, 28, v59
	v_sub_nc_u32_e32 v59, 29, v59
	v_lshlrev_b64 v[62:63], v62, v[25:26]
	v_and_b32_e32 v25, 7, v62
; %bb.110:                              ;   in Loop: Header=BB165_12 Depth=1
	s_or_b32 exec_lo, exec_lo, s44
	v_lshlrev_b32_e32 v61, 24, v61
	v_lshlrev_b32_e32 v25, 20, v25
	v_lshl_add_u32 v59, v59, 23, 0x3c000000
	v_and_b32_e32 v61, 0x80000000, v61
	v_or3_b32 v59, v25, v61, v59
.LBB165_111:                            ;   in Loop: Header=BB165_12 Depth=1
	s_or_b32 exec_lo, exec_lo, s43
.LBB165_112:                            ;   in Loop: Header=BB165_12 Depth=1
	s_or_b32 exec_lo, exec_lo, s42
.LBB165_113:                            ;   in Loop: Header=BB165_12 Depth=1
	s_or_b32 exec_lo, exec_lo, s41
	global_load_ubyte v63, v[31:32], off offset:384
	v_mov_b32_e32 v61, 0
	v_mov_b32_e32 v62, 0
	s_mov_b32 s41, exec_lo
	s_waitcnt vmcnt(0)
	v_cmpx_ne_u16_e32 0, v63
	s_cbranch_execz .LBB165_121
; %bb.114:                              ;   in Loop: Header=BB165_12 Depth=1
	v_bfrev_b32_e32 v62, 1
	s_mov_b32 s42, exec_lo
	v_cmpx_ne_u16_e32 0x80, v63
	s_cbranch_execz .LBB165_120
; %bb.115:                              ;   in Loop: Header=BB165_12 Depth=1
	v_and_b32_sdwa v64, v63, v43 dst_sel:DWORD dst_unused:UNUSED_PAD src0_sel:WORD_0 src1_sel:DWORD
	v_mov_b32_e32 v62, 0x7f800001
	s_mov_b32 s43, exec_lo
	v_cmpx_ne_u32_e32 0x7f, v64
	s_cbranch_execz .LBB165_119
; %bb.116:                              ;   in Loop: Header=BB165_12 Depth=1
	v_and_b32_sdwa v25, v63, v44 dst_sel:DWORD dst_unused:UNUSED_PAD src0_sel:WORD_0 src1_sel:DWORD
	v_lshrrev_b32_e32 v62, 3, v64
	s_mov_b32 s44, exec_lo
	v_cmpx_gt_u32_e32 8, v64
; %bb.117:                              ;   in Loop: Header=BB165_12 Depth=1
	v_ffbh_u32_e32 v62, v25
	v_min_u32_e32 v62, 32, v62
	v_subrev_nc_u32_e32 v64, 28, v62
	v_sub_nc_u32_e32 v62, 29, v62
	v_lshlrev_b64 v[64:65], v64, v[25:26]
	v_and_b32_e32 v25, 7, v64
; %bb.118:                              ;   in Loop: Header=BB165_12 Depth=1
	s_or_b32 exec_lo, exec_lo, s44
	v_lshlrev_b32_e32 v63, 24, v63
	v_lshlrev_b32_e32 v25, 20, v25
	v_lshl_add_u32 v62, v62, 23, 0x3c000000
	v_and_b32_e32 v63, 0x80000000, v63
	v_or3_b32 v62, v25, v63, v62
.LBB165_119:                            ;   in Loop: Header=BB165_12 Depth=1
	s_or_b32 exec_lo, exec_lo, s43
.LBB165_120:                            ;   in Loop: Header=BB165_12 Depth=1
	s_or_b32 exec_lo, exec_lo, s42
.LBB165_121:                            ;   in Loop: Header=BB165_12 Depth=1
	s_or_b32 exec_lo, exec_lo, s41
	global_load_ubyte v63, v[31:32], off offset:388
	s_mov_b32 s41, exec_lo
	s_waitcnt vmcnt(0)
	v_cmpx_ne_u16_e32 0, v63
	s_cbranch_execz .LBB165_129
; %bb.122:                              ;   in Loop: Header=BB165_12 Depth=1
	v_bfrev_b32_e32 v61, 1
	s_mov_b32 s42, exec_lo
	v_cmpx_ne_u16_e32 0x80, v63
	s_cbranch_execz .LBB165_128
; %bb.123:                              ;   in Loop: Header=BB165_12 Depth=1
	v_and_b32_sdwa v64, v63, v43 dst_sel:DWORD dst_unused:UNUSED_PAD src0_sel:WORD_0 src1_sel:DWORD
	v_mov_b32_e32 v61, 0x7f800001
	s_mov_b32 s43, exec_lo
	v_cmpx_ne_u32_e32 0x7f, v64
	s_cbranch_execz .LBB165_127
; %bb.124:                              ;   in Loop: Header=BB165_12 Depth=1
	v_and_b32_sdwa v25, v63, v44 dst_sel:DWORD dst_unused:UNUSED_PAD src0_sel:WORD_0 src1_sel:DWORD
	v_lshrrev_b32_e32 v61, 3, v64
	s_mov_b32 s44, exec_lo
	v_cmpx_gt_u32_e32 8, v64
; %bb.125:                              ;   in Loop: Header=BB165_12 Depth=1
	v_ffbh_u32_e32 v61, v25
	v_min_u32_e32 v61, 32, v61
	v_subrev_nc_u32_e32 v64, 28, v61
	v_sub_nc_u32_e32 v61, 29, v61
	v_lshlrev_b64 v[64:65], v64, v[25:26]
	v_and_b32_e32 v25, 7, v64
; %bb.126:                              ;   in Loop: Header=BB165_12 Depth=1
	s_or_b32 exec_lo, exec_lo, s44
	v_lshlrev_b32_e32 v63, 24, v63
	v_lshlrev_b32_e32 v25, 20, v25
	v_lshl_add_u32 v61, v61, 23, 0x3c000000
	v_and_b32_e32 v63, 0x80000000, v63
	v_or3_b32 v61, v25, v63, v61
.LBB165_127:                            ;   in Loop: Header=BB165_12 Depth=1
	s_or_b32 exec_lo, exec_lo, s43
.LBB165_128:                            ;   in Loop: Header=BB165_12 Depth=1
	s_or_b32 exec_lo, exec_lo, s42
.LBB165_129:                            ;   in Loop: Header=BB165_12 Depth=1
	s_or_b32 exec_lo, exec_lo, s41
	global_load_ubyte v65, v[31:32], off offset:392
	v_mov_b32_e32 v63, 0
	v_mov_b32_e32 v64, 0
	s_mov_b32 s41, exec_lo
	s_waitcnt vmcnt(0)
	v_cmpx_ne_u16_e32 0, v65
	s_cbranch_execz .LBB165_137
; %bb.130:                              ;   in Loop: Header=BB165_12 Depth=1
	v_bfrev_b32_e32 v64, 1
	s_mov_b32 s42, exec_lo
	v_cmpx_ne_u16_e32 0x80, v65
	s_cbranch_execz .LBB165_136
; %bb.131:                              ;   in Loop: Header=BB165_12 Depth=1
	v_and_b32_sdwa v66, v65, v43 dst_sel:DWORD dst_unused:UNUSED_PAD src0_sel:WORD_0 src1_sel:DWORD
	v_mov_b32_e32 v64, 0x7f800001
	s_mov_b32 s43, exec_lo
	v_cmpx_ne_u32_e32 0x7f, v66
	s_cbranch_execz .LBB165_135
; %bb.132:                              ;   in Loop: Header=BB165_12 Depth=1
	v_and_b32_sdwa v25, v65, v44 dst_sel:DWORD dst_unused:UNUSED_PAD src0_sel:WORD_0 src1_sel:DWORD
	v_lshrrev_b32_e32 v64, 3, v66
	s_mov_b32 s44, exec_lo
	v_cmpx_gt_u32_e32 8, v66
; %bb.133:                              ;   in Loop: Header=BB165_12 Depth=1
	v_ffbh_u32_e32 v64, v25
	v_min_u32_e32 v64, 32, v64
	v_subrev_nc_u32_e32 v66, 28, v64
	v_sub_nc_u32_e32 v64, 29, v64
	v_lshlrev_b64 v[66:67], v66, v[25:26]
	v_and_b32_e32 v25, 7, v66
; %bb.134:                              ;   in Loop: Header=BB165_12 Depth=1
	s_or_b32 exec_lo, exec_lo, s44
	v_lshlrev_b32_e32 v65, 24, v65
	v_lshlrev_b32_e32 v25, 20, v25
	v_lshl_add_u32 v64, v64, 23, 0x3c000000
	v_and_b32_e32 v65, 0x80000000, v65
	v_or3_b32 v64, v25, v65, v64
.LBB165_135:                            ;   in Loop: Header=BB165_12 Depth=1
	s_or_b32 exec_lo, exec_lo, s43
.LBB165_136:                            ;   in Loop: Header=BB165_12 Depth=1
	s_or_b32 exec_lo, exec_lo, s42
.LBB165_137:                            ;   in Loop: Header=BB165_12 Depth=1
	s_or_b32 exec_lo, exec_lo, s41
	global_load_ubyte v65, v[31:32], off offset:396
	s_mov_b32 s41, exec_lo
	s_waitcnt vmcnt(0)
	v_cmpx_ne_u16_e32 0, v65
	s_cbranch_execz .LBB165_145
; %bb.138:                              ;   in Loop: Header=BB165_12 Depth=1
	v_bfrev_b32_e32 v63, 1
	s_mov_b32 s42, exec_lo
	v_cmpx_ne_u16_e32 0x80, v65
	s_cbranch_execz .LBB165_144
; %bb.139:                              ;   in Loop: Header=BB165_12 Depth=1
	v_and_b32_sdwa v66, v65, v43 dst_sel:DWORD dst_unused:UNUSED_PAD src0_sel:WORD_0 src1_sel:DWORD
	v_mov_b32_e32 v63, 0x7f800001
	s_mov_b32 s43, exec_lo
	v_cmpx_ne_u32_e32 0x7f, v66
	s_cbranch_execz .LBB165_143
; %bb.140:                              ;   in Loop: Header=BB165_12 Depth=1
	v_and_b32_sdwa v25, v65, v44 dst_sel:DWORD dst_unused:UNUSED_PAD src0_sel:WORD_0 src1_sel:DWORD
	v_lshrrev_b32_e32 v63, 3, v66
	s_mov_b32 s44, exec_lo
	v_cmpx_gt_u32_e32 8, v66
; %bb.141:                              ;   in Loop: Header=BB165_12 Depth=1
	v_ffbh_u32_e32 v63, v25
	v_min_u32_e32 v63, 32, v63
	v_subrev_nc_u32_e32 v66, 28, v63
	v_sub_nc_u32_e32 v63, 29, v63
	v_lshlrev_b64 v[66:67], v66, v[25:26]
	v_and_b32_e32 v25, 7, v66
; %bb.142:                              ;   in Loop: Header=BB165_12 Depth=1
	s_or_b32 exec_lo, exec_lo, s44
	v_lshlrev_b32_e32 v65, 24, v65
	v_lshlrev_b32_e32 v25, 20, v25
	v_lshl_add_u32 v63, v63, 23, 0x3c000000
	v_and_b32_e32 v65, 0x80000000, v65
	v_or3_b32 v63, v25, v65, v63
.LBB165_143:                            ;   in Loop: Header=BB165_12 Depth=1
	s_or_b32 exec_lo, exec_lo, s43
.LBB165_144:                            ;   in Loop: Header=BB165_12 Depth=1
	s_or_b32 exec_lo, exec_lo, s42
.LBB165_145:                            ;   in Loop: Header=BB165_12 Depth=1
	s_or_b32 exec_lo, exec_lo, s41
	global_load_ubyte v67, v[31:32], off offset:512
	v_mov_b32_e32 v65, 0
	v_mov_b32_e32 v66, 0
	s_mov_b32 s41, exec_lo
	s_waitcnt vmcnt(0)
	v_cmpx_ne_u16_e32 0, v67
	s_cbranch_execz .LBB165_153
; %bb.146:                              ;   in Loop: Header=BB165_12 Depth=1
	v_bfrev_b32_e32 v66, 1
	s_mov_b32 s42, exec_lo
	v_cmpx_ne_u16_e32 0x80, v67
	s_cbranch_execz .LBB165_152
; %bb.147:                              ;   in Loop: Header=BB165_12 Depth=1
	v_and_b32_sdwa v68, v67, v43 dst_sel:DWORD dst_unused:UNUSED_PAD src0_sel:WORD_0 src1_sel:DWORD
	v_mov_b32_e32 v66, 0x7f800001
	s_mov_b32 s43, exec_lo
	v_cmpx_ne_u32_e32 0x7f, v68
	s_cbranch_execz .LBB165_151
; %bb.148:                              ;   in Loop: Header=BB165_12 Depth=1
	v_and_b32_sdwa v25, v67, v44 dst_sel:DWORD dst_unused:UNUSED_PAD src0_sel:WORD_0 src1_sel:DWORD
	v_lshrrev_b32_e32 v66, 3, v68
	s_mov_b32 s44, exec_lo
	v_cmpx_gt_u32_e32 8, v68
; %bb.149:                              ;   in Loop: Header=BB165_12 Depth=1
	v_ffbh_u32_e32 v66, v25
	v_min_u32_e32 v66, 32, v66
	v_subrev_nc_u32_e32 v68, 28, v66
	v_sub_nc_u32_e32 v66, 29, v66
	v_lshlrev_b64 v[68:69], v68, v[25:26]
	v_and_b32_e32 v25, 7, v68
; %bb.150:                              ;   in Loop: Header=BB165_12 Depth=1
	s_or_b32 exec_lo, exec_lo, s44
	v_lshlrev_b32_e32 v67, 24, v67
	v_lshlrev_b32_e32 v25, 20, v25
	v_lshl_add_u32 v66, v66, 23, 0x3c000000
	v_and_b32_e32 v67, 0x80000000, v67
	v_or3_b32 v66, v25, v67, v66
.LBB165_151:                            ;   in Loop: Header=BB165_12 Depth=1
	s_or_b32 exec_lo, exec_lo, s43
.LBB165_152:                            ;   in Loop: Header=BB165_12 Depth=1
	s_or_b32 exec_lo, exec_lo, s42
.LBB165_153:                            ;   in Loop: Header=BB165_12 Depth=1
	s_or_b32 exec_lo, exec_lo, s41
	global_load_ubyte v67, v[31:32], off offset:516
	s_mov_b32 s41, exec_lo
	s_waitcnt vmcnt(0)
	v_cmpx_ne_u16_e32 0, v67
	s_cbranch_execz .LBB165_161
; %bb.154:                              ;   in Loop: Header=BB165_12 Depth=1
	v_bfrev_b32_e32 v65, 1
	s_mov_b32 s42, exec_lo
	v_cmpx_ne_u16_e32 0x80, v67
	s_cbranch_execz .LBB165_160
; %bb.155:                              ;   in Loop: Header=BB165_12 Depth=1
	v_and_b32_sdwa v68, v67, v43 dst_sel:DWORD dst_unused:UNUSED_PAD src0_sel:WORD_0 src1_sel:DWORD
	v_mov_b32_e32 v65, 0x7f800001
	s_mov_b32 s43, exec_lo
	v_cmpx_ne_u32_e32 0x7f, v68
	s_cbranch_execz .LBB165_159
; %bb.156:                              ;   in Loop: Header=BB165_12 Depth=1
	v_and_b32_sdwa v25, v67, v44 dst_sel:DWORD dst_unused:UNUSED_PAD src0_sel:WORD_0 src1_sel:DWORD
	v_lshrrev_b32_e32 v65, 3, v68
	s_mov_b32 s44, exec_lo
	v_cmpx_gt_u32_e32 8, v68
; %bb.157:                              ;   in Loop: Header=BB165_12 Depth=1
	v_ffbh_u32_e32 v65, v25
	v_min_u32_e32 v65, 32, v65
	v_subrev_nc_u32_e32 v68, 28, v65
	v_sub_nc_u32_e32 v65, 29, v65
	v_lshlrev_b64 v[68:69], v68, v[25:26]
	v_and_b32_e32 v25, 7, v68
; %bb.158:                              ;   in Loop: Header=BB165_12 Depth=1
	s_or_b32 exec_lo, exec_lo, s44
	v_lshlrev_b32_e32 v67, 24, v67
	v_lshlrev_b32_e32 v25, 20, v25
	v_lshl_add_u32 v65, v65, 23, 0x3c000000
	v_and_b32_e32 v67, 0x80000000, v67
	v_or3_b32 v65, v25, v67, v65
.LBB165_159:                            ;   in Loop: Header=BB165_12 Depth=1
	s_or_b32 exec_lo, exec_lo, s43
.LBB165_160:                            ;   in Loop: Header=BB165_12 Depth=1
	s_or_b32 exec_lo, exec_lo, s42
.LBB165_161:                            ;   in Loop: Header=BB165_12 Depth=1
	s_or_b32 exec_lo, exec_lo, s41
	global_load_ubyte v69, v[31:32], off offset:520
	v_mov_b32_e32 v67, 0
	v_mov_b32_e32 v68, 0
	s_mov_b32 s41, exec_lo
	s_waitcnt vmcnt(0)
	v_cmpx_ne_u16_e32 0, v69
	s_cbranch_execz .LBB165_169
; %bb.162:                              ;   in Loop: Header=BB165_12 Depth=1
	v_bfrev_b32_e32 v68, 1
	s_mov_b32 s42, exec_lo
	v_cmpx_ne_u16_e32 0x80, v69
	s_cbranch_execz .LBB165_168
; %bb.163:                              ;   in Loop: Header=BB165_12 Depth=1
	v_and_b32_sdwa v70, v69, v43 dst_sel:DWORD dst_unused:UNUSED_PAD src0_sel:WORD_0 src1_sel:DWORD
	v_mov_b32_e32 v68, 0x7f800001
	s_mov_b32 s43, exec_lo
	v_cmpx_ne_u32_e32 0x7f, v70
	s_cbranch_execz .LBB165_167
; %bb.164:                              ;   in Loop: Header=BB165_12 Depth=1
	v_and_b32_sdwa v25, v69, v44 dst_sel:DWORD dst_unused:UNUSED_PAD src0_sel:WORD_0 src1_sel:DWORD
	v_lshrrev_b32_e32 v68, 3, v70
	s_mov_b32 s44, exec_lo
	v_cmpx_gt_u32_e32 8, v70
; %bb.165:                              ;   in Loop: Header=BB165_12 Depth=1
	v_ffbh_u32_e32 v68, v25
	v_min_u32_e32 v68, 32, v68
	v_subrev_nc_u32_e32 v70, 28, v68
	v_sub_nc_u32_e32 v68, 29, v68
	v_lshlrev_b64 v[70:71], v70, v[25:26]
	v_and_b32_e32 v25, 7, v70
; %bb.166:                              ;   in Loop: Header=BB165_12 Depth=1
	s_or_b32 exec_lo, exec_lo, s44
	v_lshlrev_b32_e32 v69, 24, v69
	v_lshlrev_b32_e32 v25, 20, v25
	v_lshl_add_u32 v68, v68, 23, 0x3c000000
	v_and_b32_e32 v69, 0x80000000, v69
	v_or3_b32 v68, v25, v69, v68
.LBB165_167:                            ;   in Loop: Header=BB165_12 Depth=1
	s_or_b32 exec_lo, exec_lo, s43
.LBB165_168:                            ;   in Loop: Header=BB165_12 Depth=1
	s_or_b32 exec_lo, exec_lo, s42
.LBB165_169:                            ;   in Loop: Header=BB165_12 Depth=1
	s_or_b32 exec_lo, exec_lo, s41
	global_load_ubyte v69, v[31:32], off offset:524
	s_mov_b32 s41, exec_lo
	s_waitcnt vmcnt(0)
	v_cmpx_ne_u16_e32 0, v69
	s_cbranch_execz .LBB165_177
; %bb.170:                              ;   in Loop: Header=BB165_12 Depth=1
	v_bfrev_b32_e32 v67, 1
	s_mov_b32 s42, exec_lo
	v_cmpx_ne_u16_e32 0x80, v69
	s_cbranch_execz .LBB165_176
; %bb.171:                              ;   in Loop: Header=BB165_12 Depth=1
	v_and_b32_sdwa v70, v69, v43 dst_sel:DWORD dst_unused:UNUSED_PAD src0_sel:WORD_0 src1_sel:DWORD
	v_mov_b32_e32 v67, 0x7f800001
	s_mov_b32 s43, exec_lo
	v_cmpx_ne_u32_e32 0x7f, v70
	s_cbranch_execz .LBB165_175
; %bb.172:                              ;   in Loop: Header=BB165_12 Depth=1
	v_and_b32_sdwa v25, v69, v44 dst_sel:DWORD dst_unused:UNUSED_PAD src0_sel:WORD_0 src1_sel:DWORD
	v_lshrrev_b32_e32 v67, 3, v70
	s_mov_b32 s44, exec_lo
	v_cmpx_gt_u32_e32 8, v70
; %bb.173:                              ;   in Loop: Header=BB165_12 Depth=1
	v_ffbh_u32_e32 v67, v25
	v_min_u32_e32 v67, 32, v67
	v_subrev_nc_u32_e32 v70, 28, v67
	v_sub_nc_u32_e32 v67, 29, v67
	v_lshlrev_b64 v[70:71], v70, v[25:26]
	v_and_b32_e32 v25, 7, v70
; %bb.174:                              ;   in Loop: Header=BB165_12 Depth=1
	s_or_b32 exec_lo, exec_lo, s44
	v_lshlrev_b32_e32 v69, 24, v69
	v_lshlrev_b32_e32 v25, 20, v25
	v_lshl_add_u32 v67, v67, 23, 0x3c000000
	v_and_b32_e32 v69, 0x80000000, v69
	v_or3_b32 v67, v25, v69, v67
.LBB165_175:                            ;   in Loop: Header=BB165_12 Depth=1
	s_or_b32 exec_lo, exec_lo, s43
.LBB165_176:                            ;   in Loop: Header=BB165_12 Depth=1
	s_or_b32 exec_lo, exec_lo, s42
.LBB165_177:                            ;   in Loop: Header=BB165_12 Depth=1
	s_or_b32 exec_lo, exec_lo, s41
	global_load_ubyte v71, v[31:32], off offset:640
	v_mov_b32_e32 v69, 0
	v_mov_b32_e32 v70, 0
	s_mov_b32 s41, exec_lo
	s_waitcnt vmcnt(0)
	v_cmpx_ne_u16_e32 0, v71
	s_cbranch_execz .LBB165_185
; %bb.178:                              ;   in Loop: Header=BB165_12 Depth=1
	v_bfrev_b32_e32 v70, 1
	s_mov_b32 s42, exec_lo
	v_cmpx_ne_u16_e32 0x80, v71
	s_cbranch_execz .LBB165_184
; %bb.179:                              ;   in Loop: Header=BB165_12 Depth=1
	v_and_b32_sdwa v72, v71, v43 dst_sel:DWORD dst_unused:UNUSED_PAD src0_sel:WORD_0 src1_sel:DWORD
	v_mov_b32_e32 v70, 0x7f800001
	s_mov_b32 s43, exec_lo
	v_cmpx_ne_u32_e32 0x7f, v72
	s_cbranch_execz .LBB165_183
; %bb.180:                              ;   in Loop: Header=BB165_12 Depth=1
	v_and_b32_sdwa v25, v71, v44 dst_sel:DWORD dst_unused:UNUSED_PAD src0_sel:WORD_0 src1_sel:DWORD
	v_lshrrev_b32_e32 v70, 3, v72
	s_mov_b32 s44, exec_lo
	v_cmpx_gt_u32_e32 8, v72
; %bb.181:                              ;   in Loop: Header=BB165_12 Depth=1
	v_ffbh_u32_e32 v70, v25
	v_min_u32_e32 v70, 32, v70
	v_subrev_nc_u32_e32 v72, 28, v70
	v_sub_nc_u32_e32 v70, 29, v70
	v_lshlrev_b64 v[72:73], v72, v[25:26]
	v_and_b32_e32 v25, 7, v72
; %bb.182:                              ;   in Loop: Header=BB165_12 Depth=1
	s_or_b32 exec_lo, exec_lo, s44
	v_lshlrev_b32_e32 v71, 24, v71
	v_lshlrev_b32_e32 v25, 20, v25
	v_lshl_add_u32 v70, v70, 23, 0x3c000000
	v_and_b32_e32 v71, 0x80000000, v71
	v_or3_b32 v70, v25, v71, v70
.LBB165_183:                            ;   in Loop: Header=BB165_12 Depth=1
	s_or_b32 exec_lo, exec_lo, s43
.LBB165_184:                            ;   in Loop: Header=BB165_12 Depth=1
	s_or_b32 exec_lo, exec_lo, s42
.LBB165_185:                            ;   in Loop: Header=BB165_12 Depth=1
	s_or_b32 exec_lo, exec_lo, s41
	global_load_ubyte v71, v[31:32], off offset:644
	s_mov_b32 s41, exec_lo
	s_waitcnt vmcnt(0)
	v_cmpx_ne_u16_e32 0, v71
	s_cbranch_execz .LBB165_193
; %bb.186:                              ;   in Loop: Header=BB165_12 Depth=1
	v_bfrev_b32_e32 v69, 1
	s_mov_b32 s42, exec_lo
	v_cmpx_ne_u16_e32 0x80, v71
	s_cbranch_execz .LBB165_192
; %bb.187:                              ;   in Loop: Header=BB165_12 Depth=1
	v_and_b32_sdwa v72, v71, v43 dst_sel:DWORD dst_unused:UNUSED_PAD src0_sel:WORD_0 src1_sel:DWORD
	v_mov_b32_e32 v69, 0x7f800001
	s_mov_b32 s43, exec_lo
	v_cmpx_ne_u32_e32 0x7f, v72
	s_cbranch_execz .LBB165_191
; %bb.188:                              ;   in Loop: Header=BB165_12 Depth=1
	v_and_b32_sdwa v25, v71, v44 dst_sel:DWORD dst_unused:UNUSED_PAD src0_sel:WORD_0 src1_sel:DWORD
	v_lshrrev_b32_e32 v69, 3, v72
	s_mov_b32 s44, exec_lo
	v_cmpx_gt_u32_e32 8, v72
; %bb.189:                              ;   in Loop: Header=BB165_12 Depth=1
	v_ffbh_u32_e32 v69, v25
	v_min_u32_e32 v69, 32, v69
	v_subrev_nc_u32_e32 v72, 28, v69
	v_sub_nc_u32_e32 v69, 29, v69
	v_lshlrev_b64 v[72:73], v72, v[25:26]
	v_and_b32_e32 v25, 7, v72
; %bb.190:                              ;   in Loop: Header=BB165_12 Depth=1
	s_or_b32 exec_lo, exec_lo, s44
	v_lshlrev_b32_e32 v71, 24, v71
	v_lshlrev_b32_e32 v25, 20, v25
	v_lshl_add_u32 v69, v69, 23, 0x3c000000
	v_and_b32_e32 v71, 0x80000000, v71
	v_or3_b32 v69, v25, v71, v69
.LBB165_191:                            ;   in Loop: Header=BB165_12 Depth=1
	s_or_b32 exec_lo, exec_lo, s43
.LBB165_192:                            ;   in Loop: Header=BB165_12 Depth=1
	s_or_b32 exec_lo, exec_lo, s42
.LBB165_193:                            ;   in Loop: Header=BB165_12 Depth=1
	s_or_b32 exec_lo, exec_lo, s41
	global_load_ubyte v73, v[31:32], off offset:648
	v_mov_b32_e32 v71, 0
	v_mov_b32_e32 v72, 0
	s_mov_b32 s41, exec_lo
	s_waitcnt vmcnt(0)
	v_cmpx_ne_u16_e32 0, v73
	s_cbranch_execz .LBB165_201
; %bb.194:                              ;   in Loop: Header=BB165_12 Depth=1
	v_bfrev_b32_e32 v72, 1
	s_mov_b32 s42, exec_lo
	v_cmpx_ne_u16_e32 0x80, v73
	s_cbranch_execz .LBB165_200
; %bb.195:                              ;   in Loop: Header=BB165_12 Depth=1
	v_and_b32_sdwa v74, v73, v43 dst_sel:DWORD dst_unused:UNUSED_PAD src0_sel:WORD_0 src1_sel:DWORD
	v_mov_b32_e32 v72, 0x7f800001
	s_mov_b32 s43, exec_lo
	v_cmpx_ne_u32_e32 0x7f, v74
	s_cbranch_execz .LBB165_199
; %bb.196:                              ;   in Loop: Header=BB165_12 Depth=1
	v_and_b32_sdwa v25, v73, v44 dst_sel:DWORD dst_unused:UNUSED_PAD src0_sel:WORD_0 src1_sel:DWORD
	v_lshrrev_b32_e32 v72, 3, v74
	s_mov_b32 s44, exec_lo
	v_cmpx_gt_u32_e32 8, v74
; %bb.197:                              ;   in Loop: Header=BB165_12 Depth=1
	v_ffbh_u32_e32 v72, v25
	v_min_u32_e32 v72, 32, v72
	v_subrev_nc_u32_e32 v74, 28, v72
	v_sub_nc_u32_e32 v72, 29, v72
	v_lshlrev_b64 v[74:75], v74, v[25:26]
	v_and_b32_e32 v25, 7, v74
; %bb.198:                              ;   in Loop: Header=BB165_12 Depth=1
	s_or_b32 exec_lo, exec_lo, s44
	v_lshlrev_b32_e32 v73, 24, v73
	v_lshlrev_b32_e32 v25, 20, v25
	v_lshl_add_u32 v72, v72, 23, 0x3c000000
	v_and_b32_e32 v73, 0x80000000, v73
	v_or3_b32 v72, v25, v73, v72
.LBB165_199:                            ;   in Loop: Header=BB165_12 Depth=1
	s_or_b32 exec_lo, exec_lo, s43
.LBB165_200:                            ;   in Loop: Header=BB165_12 Depth=1
	s_or_b32 exec_lo, exec_lo, s42
.LBB165_201:                            ;   in Loop: Header=BB165_12 Depth=1
	s_or_b32 exec_lo, exec_lo, s41
	global_load_ubyte v31, v[31:32], off offset:652
	s_mov_b32 s41, exec_lo
	s_waitcnt vmcnt(0)
	v_cmpx_ne_u16_e32 0, v31
	s_cbranch_execz .LBB165_209
; %bb.202:                              ;   in Loop: Header=BB165_12 Depth=1
	v_bfrev_b32_e32 v71, 1
	s_mov_b32 s42, exec_lo
	v_cmpx_ne_u16_e32 0x80, v31
	s_cbranch_execz .LBB165_208
; %bb.203:                              ;   in Loop: Header=BB165_12 Depth=1
	v_and_b32_sdwa v73, v31, v43 dst_sel:DWORD dst_unused:UNUSED_PAD src0_sel:WORD_0 src1_sel:DWORD
	v_mov_b32_e32 v71, 0x7f800001
	s_mov_b32 s43, exec_lo
	v_cmpx_ne_u32_e32 0x7f, v73
	s_cbranch_execz .LBB165_207
; %bb.204:                              ;   in Loop: Header=BB165_12 Depth=1
	v_and_b32_sdwa v25, v31, v44 dst_sel:DWORD dst_unused:UNUSED_PAD src0_sel:WORD_0 src1_sel:DWORD
	v_lshrrev_b32_e32 v32, 3, v73
	s_mov_b32 s44, exec_lo
	v_cmpx_gt_u32_e32 8, v73
; %bb.205:                              ;   in Loop: Header=BB165_12 Depth=1
	v_ffbh_u32_e32 v32, v25
	v_min_u32_e32 v32, 32, v32
	v_subrev_nc_u32_e32 v71, 28, v32
	v_sub_nc_u32_e32 v32, 29, v32
	v_lshlrev_b64 v[73:74], v71, v[25:26]
	v_and_b32_e32 v25, 7, v73
; %bb.206:                              ;   in Loop: Header=BB165_12 Depth=1
	s_or_b32 exec_lo, exec_lo, s44
	v_lshlrev_b32_e32 v31, 24, v31
	v_lshlrev_b32_e32 v25, 20, v25
	v_lshl_add_u32 v32, v32, 23, 0x3c000000
	v_and_b32_e32 v31, 0x80000000, v31
	v_or3_b32 v71, v25, v31, v32
.LBB165_207:                            ;   in Loop: Header=BB165_12 Depth=1
	s_or_b32 exec_lo, exec_lo, s43
.LBB165_208:                            ;   in Loop: Header=BB165_12 Depth=1
	s_or_b32 exec_lo, exec_lo, s42
.LBB165_209:                            ;   in Loop: Header=BB165_12 Depth=1
	s_or_b32 exec_lo, exec_lo, s41
	s_waitcnt lgkmcnt(0)
	v_mul_f32_e32 v25, s40, v49
	v_mul_f32_e32 v31, s40, v50
	v_mul_f32_e32 v22, v22, v25
	v_mul_f32_e32 v25, s40, v52
	v_fmac_f32_e32 v22, v21, v31
	v_mul_f32_e32 v21, s40, v51
	v_fmac_f32_e32 v22, v23, v25
	v_mul_f32_e32 v23, s40, v54
	v_fmac_f32_e32 v22, v24, v21
	v_mul_f32_e32 v21, s40, v53
	v_fmac_f32_e32 v22, v17, v23
	v_mul_f32_e32 v17, s40, v56
	v_fmac_f32_e32 v22, v18, v21
	v_mul_f32_e32 v18, s40, v55
	v_fmac_f32_e32 v22, v19, v17
	v_mul_f32_e32 v17, s40, v58
	v_fmac_f32_e32 v22, v20, v18
	v_mul_f32_e32 v18, s40, v57
	v_fmac_f32_e32 v22, v13, v17
	v_mul_f32_e32 v13, s40, v60
	v_fmac_f32_e32 v22, v14, v18
	v_mul_f32_e32 v14, s40, v59
	v_fmac_f32_e32 v22, v15, v13
	v_mul_f32_e32 v13, s40, v62
	v_fmac_f32_e32 v22, v16, v14
	v_mul_f32_e32 v14, s40, v61
	v_fmac_f32_e32 v22, v9, v13
	v_mul_f32_e32 v9, s40, v64
	v_fmac_f32_e32 v22, v10, v14
	v_mul_f32_e32 v10, s40, v63
	v_fmac_f32_e32 v22, v11, v9
	v_mul_f32_e32 v9, s40, v66
	v_fmac_f32_e32 v22, v12, v10
	v_mul_f32_e32 v10, s40, v65
	v_fmac_f32_e32 v22, v5, v9
	v_mul_f32_e32 v5, s40, v68
	v_fmac_f32_e32 v22, v6, v10
	v_mul_f32_e32 v6, s40, v67
	v_fmac_f32_e32 v22, v7, v5
	v_mul_f32_e32 v5, s40, v70
	v_fmac_f32_e32 v22, v8, v6
	v_mul_f32_e32 v6, s40, v69
	v_fmac_f32_e32 v22, v1, v5
	v_xor_b32_e32 v1, 2, v37
	v_mul_f32_e32 v5, s40, v72
	v_fmac_f32_e32 v22, v2, v6
	v_cmp_gt_i32_e64 s2, 32, v1
	v_mul_f32_e32 v2, s40, v71
	v_fmac_f32_e32 v22, v3, v5
	v_cndmask_b32_e64 v1, v37, v1, s2
	v_fmac_f32_e32 v22, v4, v2
	v_lshlrev_b32_e32 v1, 2, v1
	v_xor_b32_e32 v2, 1, v37
	ds_bpermute_b32 v1, v1, v22
	v_cmp_gt_i32_e64 s2, 32, v2
	v_cndmask_b32_e64 v2, v37, v2, s2
	v_lshlrev_b32_e32 v2, 2, v2
	s_waitcnt lgkmcnt(0)
	v_add_f32_e32 v1, v22, v1
	ds_bpermute_b32 v2, v2, v1
	s_and_saveexec_b32 s40, vcc_lo
	s_cbranch_execz .LBB165_10
; %bb.210:                              ;   in Loop: Header=BB165_12 Depth=1
	v_add_nc_u32_e32 v3, v45, v41
	s_waitcnt lgkmcnt(0)
	v_add_f32_e32 v1, v1, v2
	v_cvt_f32_i32_e32 v3, v3
	v_mul_f32_e32 v3, s36, v3
	v_cndmask_b32_e64 v2, 0, v3, s1
	v_max_f32_e32 v3, v39, v39
	v_fmac_f32_e32 v2, s35, v1
	v_add_nc_u32_e32 v1, v38, v41
	v_max_f32_e32 v3, v3, v2
	v_cmp_gt_i32_e64 s2, s33, v1
	v_cndmask_b32_e64 v1, 0, v2, s2
	v_cndmask_b32_e64 v39, v39, v3, s2
	ds_write_b32 v46, v1
	s_branch .LBB165_10
.LBB165_211:
	s_or_b32 exec_lo, exec_lo, s38
.LBB165_212:
	s_or_b32 exec_lo, exec_lo, s37
	v_xor_b32_e32 v1, 16, v37
	v_xor_b32_e32 v3, 8, v37
	v_max_f32_e32 v4, v39, v39
	v_xor_b32_e32 v5, 4, v37
	v_and_b32_e32 v25, 31, v0
	v_cmp_gt_i32_e32 vcc_lo, 32, v1
	v_cndmask_b32_e32 v1, v37, v1, vcc_lo
	v_cmp_gt_i32_e32 vcc_lo, 32, v3
	s_waitcnt lgkmcnt(0)
	v_lshlrev_b32_e32 v2, 2, v1
	v_cndmask_b32_e32 v3, v37, v3, vcc_lo
	v_cmp_gt_i32_e32 vcc_lo, 32, v5
	ds_bpermute_b32 v1, v2, v39
	v_lshlrev_b32_e32 v3, 2, v3
	v_cndmask_b32_e32 v5, v37, v5, vcc_lo
	v_cmp_eq_u32_e32 vcc_lo, 0, v25
	v_lshlrev_b32_e32 v6, 2, v5
	s_waitcnt lgkmcnt(0)
	v_max_f32_e32 v1, v1, v1
	v_max_f32_e32 v1, v4, v1
	ds_bpermute_b32 v4, v3, v1
	s_waitcnt lgkmcnt(0)
	v_max_f32_e32 v4, v4, v4
	v_max_f32_e32 v1, v1, v4
	v_lshlrev_b32_e32 v4, 2, v33
	ds_bpermute_b32 v5, v6, v1
	s_and_saveexec_b32 s1, vcc_lo
	s_cbranch_execz .LBB165_214
; %bb.213:
	s_waitcnt lgkmcnt(0)
	v_max_f32_e32 v5, v5, v5
	v_max_f32_e32 v1, v1, v1
	;; [unrolled: 1-line block ×3, first 2 shown]
	ds_write_b32 v4, v1 offset:384
.LBB165_214:
	s_or_b32 exec_lo, exec_lo, s1
	v_cmp_gt_u32_e64 s1, 4, v25
	v_mov_b32_e32 v1, 0xff7fffff
	s_waitcnt lgkmcnt(0)
	v_lshlrev_b32_e32 v5, 2, v25
	s_barrier
	buffer_gl0_inv
	s_and_saveexec_b32 s2, s1
; %bb.215:
	ds_read_b32 v1, v5 offset:384
; %bb.216:
	s_or_b32 exec_lo, exec_lo, s2
	v_xor_b32_e32 v7, 2, v37
	v_xor_b32_e32 v9, 1, v37
	v_cmp_gt_i32_e64 s2, 32, v7
	v_cndmask_b32_e64 v7, v37, v7, s2
	v_cmp_gt_i32_e64 s2, 32, v9
	v_lshlrev_b32_e32 v7, 2, v7
	v_cndmask_b32_e64 v9, v37, v9, s2
	s_lshl_b32 s2, s20, 3
	s_min_i32 s4, s2, s33
	s_waitcnt lgkmcnt(0)
	ds_bpermute_b32 v8, v7, v1
	v_max_f32_e32 v1, v1, v1
	v_lshlrev_b32_e32 v26, 2, v9
	v_cmp_gt_i32_e64 s2, s4, v0
	s_waitcnt lgkmcnt(0)
	v_max_f32_e32 v8, v8, v8
	v_max_f32_e32 v1, v1, v8
	ds_bpermute_b32 v8, v26, v1
	s_waitcnt lgkmcnt(0)
	v_max_f32_e32 v8, v8, v8
	v_max_f32_e32 v1, v1, v8
	v_mov_b32_e32 v8, 0
	ds_bpermute_b32 v9, v8, v1
	v_lshl_add_u32 v1, v0, 2, 0x1a0
	s_and_saveexec_b32 s5, s2
	s_cbranch_execz .LBB165_220
; %bb.217:
	v_lshl_add_u32 v10, v0, 2, 0x1a0
	v_mov_b32_e32 v8, 0
	v_mov_b32_e32 v11, v0
	s_mov_b32 s12, 0
	.p2align	6
.LBB165_218:                            ; =>This Inner Loop Header: Depth=1
	ds_read_b32 v12, v10
	v_add_nc_u32_e32 v11, 0x80, v11
	v_cmp_le_i32_e64 s3, s4, v11
	s_or_b32 s12, s3, s12
	s_waitcnt lgkmcnt(0)
	v_sub_f32_e32 v12, v12, v9
	v_mul_f32_e32 v12, 0x3fb8aa3b, v12
	v_exp_f32_e32 v12, v12
	ds_write_b32 v10, v12
	v_add_f32_e32 v8, v8, v12
	v_add_nc_u32_e32 v10, 0x200, v10
	s_andn2_b32 exec_lo, exec_lo, s12
	s_cbranch_execnz .LBB165_218
; %bb.219:
	s_or_b32 exec_lo, exec_lo, s12
.LBB165_220:
	s_or_b32 exec_lo, exec_lo, s5
	ds_bpermute_b32 v2, v2, v8
	s_waitcnt lgkmcnt(0)
	v_add_f32_e32 v2, v8, v2
	ds_bpermute_b32 v3, v3, v2
	s_waitcnt lgkmcnt(0)
	v_add_f32_e32 v2, v2, v3
	;; [unrolled: 3-line block ×5, first 2 shown]
	s_and_saveexec_b32 s3, vcc_lo
; %bb.221:
	ds_write_b32 v4, v2 offset:400
; %bb.222:
	s_or_b32 exec_lo, exec_lo, s3
	s_waitcnt lgkmcnt(0)
	s_barrier
	buffer_gl0_inv
	s_and_saveexec_b32 s3, s1
; %bb.223:
	ds_read_b32 v2, v5 offset:400
; %bb.224:
	s_or_b32 exec_lo, exec_lo, s3
	s_waitcnt lgkmcnt(0)
	ds_bpermute_b32 v3, v7, v2
	s_waitcnt lgkmcnt(0)
	v_add_f32_e32 v2, v2, v3
	ds_bpermute_b32 v3, v26, v2
	s_waitcnt lgkmcnt(0)
	v_add_f32_e32 v2, v2, v3
	v_mov_b32_e32 v3, 0
	ds_bpermute_b32 v2, v3, v2
	s_and_saveexec_b32 s1, s2
	s_cbranch_execz .LBB165_227
; %bb.225:
	s_waitcnt lgkmcnt(0)
	v_add_f32_e32 v2, 0x358637bd, v2
	s_mov_b32 s2, 0
	v_div_scale_f32 v3, null, v2, v2, 1.0
	v_div_scale_f32 v6, vcc_lo, 1.0, v2, 1.0
	v_rcp_f32_e32 v4, v3
	v_fma_f32 v5, -v3, v4, 1.0
	v_fmac_f32_e32 v4, v5, v4
	v_mul_f32_e32 v5, v6, v4
	v_fma_f32 v7, -v3, v5, v6
	v_fmac_f32_e32 v5, v7, v4
	v_fma_f32 v3, -v3, v5, v6
	v_div_fmas_f32 v3, v3, v4, v5
	v_div_fixup_f32 v2, v3, v2, 1.0
	v_mov_b32_e32 v3, v0
.LBB165_226:                            ; =>This Inner Loop Header: Depth=1
	ds_read_b32 v4, v1
	v_add_nc_u32_e32 v3, 0x80, v3
	v_cmp_le_i32_e32 vcc_lo, s4, v3
	s_or_b32 s2, vcc_lo, s2
	s_waitcnt lgkmcnt(0)
	v_mul_f32_e32 v4, v2, v4
	ds_write_b32 v1, v4
	v_add_nc_u32_e32 v1, 0x200, v1
	s_andn2_b32 exec_lo, exec_lo, s2
	s_cbranch_execnz .LBB165_226
.LBB165_227:
	s_or_b32 exec_lo, exec_lo, s1
	v_mov_b32_e32 v37, 0
	v_and_b32_e32 v27, 1, v0
	v_mov_b32_e32 v32, 0
	v_mov_b32_e32 v31, 0
	;; [unrolled: 1-line block ×5, first 2 shown]
	s_waitcnt lgkmcnt(0)
	s_barrier
	buffer_gl0_inv
	s_and_saveexec_b32 s1, s0
	s_cbranch_execz .LBB165_437
; %bb.228:
	s_sub_i32 s2, s34, s21
	s_ashr_i32 s0, s18, 31
	s_add_u32 s5, s30, s18
	s_addc_u32 s0, s31, s0
	s_abs_i32 s3, s22
	v_and_b32_e32 v2, 0x7c, v35
	v_cvt_f32_u32_e32 v1, s3
	s_sub_i32 s4, 0, s3
	v_lshlrev_b32_e32 v4, 4, v27
	v_and_b32_e32 v3, 0x7c, v36
	v_add_co_u32 v11, s5, s5, v2
	v_rcp_iflag_f32_e32 v1, v1
	s_lshl_b64 s[12:13], s[28:29], 2
	v_lshl_or_b32 v4, v33, 5, v4
	v_add_co_ci_u32_e64 v12, null, s0, 0, s5
	v_and_b32_e32 v38, 4, v35
	v_mov_b32_e32 v6, 0
	v_mov_b32_e32 v35, 0x80
	v_bfrev_b32_e32 v8, 1
	v_mov_b32_e32 v36, 0xffff
	v_mul_f32_e32 v1, 0x4f7ffffe, v1
	v_mov_b32_e32 v10, 0x7f800001
	v_mov_b32_e32 v39, 0xff
	;; [unrolled: 1-line block ×4, first 2 shown]
	v_cvt_u32_f32_e32 v1, v1
	v_mov_b32_e32 v28, 0
	v_mov_b32_e32 v29, 0
	;; [unrolled: 1-line block ×4, first 2 shown]
	v_mul_lo_u32 v5, s4, v1
	s_add_i32 s4, s20, -1
	s_add_u32 s0, s26, s12
	s_addc_u32 s5, s27, s13
	v_add_co_u32 v13, s0, s0, v3
	v_mov_b32_e32 v32, 0
	v_mov_b32_e32 v37, 0
	v_mul_hi_u32 v2, v1, v5
	v_add_co_ci_u32_e64 v14, null, s5, 0, s0
	v_add_nc_u32_e32 v42, 0x1a0, v4
	v_mov_b32_e32 v44, v33
	s_mov_b32 s12, s17
	s_mov_b32 s5, 0
	v_add_nc_u32_e32 v43, v1, v2
	s_branch .LBB165_231
.LBB165_229:                            ;   in Loop: Header=BB165_231 Depth=1
	s_or_b32 exec_lo, exec_lo, s0
	v_mul_f32_e32 v16, v1, v66
	v_mul_f32_e32 v17, v1, v64
	;; [unrolled: 1-line block ×6, first 2 shown]
	v_fmac_f32_e32 v16, v2, v65
	v_fmac_f32_e32 v17, v2, v63
	;; [unrolled: 1-line block ×18, first 2 shown]
	v_add_f32_e32 v29, v29, v16
	v_add_f32_e32 v30, v30, v17
	;; [unrolled: 1-line block ×6, first 2 shown]
.LBB165_230:                            ;   in Loop: Header=BB165_231 Depth=1
	s_or_b32 exec_lo, exec_lo, s13
	v_add_nc_u32_e32 v44, 4, v44
	v_add_co_u32 v13, s0, v13, 16
	v_add_co_ci_u32_e64 v14, null, 0, v14, s0
	v_cmp_le_i32_e32 vcc_lo, s20, v44
	v_add_nc_u32_e32 v34, 32, v34
	v_add_nc_u32_e32 v42, 0x80, v42
	s_or_b32 s5, vcc_lo, s5
	s_andn2_b32 exec_lo, exec_lo, s5
	s_cbranch_execz .LBB165_436
.LBB165_231:                            ; =>This Inner Loop Header: Depth=1
	v_mul_hi_u32 v1, v34, s19
	v_mul_lo_u32 v2, v1, s16
	v_add_nc_u32_e32 v3, 1, v1
	v_sub_nc_u32_e32 v2, v34, v2
	v_subrev_nc_u32_e32 v4, s16, v2
	v_cmp_le_u32_e32 vcc_lo, s16, v2
	v_cndmask_b32_e32 v1, v1, v3, vcc_lo
	v_cndmask_b32_e32 v2, v2, v4, vcc_lo
	v_add_nc_u32_e32 v3, 1, v1
	v_cmp_le_u32_e32 vcc_lo, s16, v2
	v_cndmask_b32_e32 v1, v1, v3, vcc_lo
	v_xor_b32_e32 v1, s23, v1
	v_subrev_nc_u32_e32 v1, s23, v1
	v_add_nc_u32_e32 v2, s25, v1
	v_cmp_lt_i32_e64 s0, s2, v1
	v_sub_nc_u32_e32 v3, 0, v2
	v_max_i32_e32 v3, v2, v3
	v_ashrrev_i32_e32 v2, 31, v2
	v_mul_hi_u32 v4, v3, v43
	v_mul_lo_u32 v4, v4, s3
	v_sub_nc_u32_e32 v3, v3, v4
	v_subrev_nc_u32_e32 v4, s3, v3
	v_cmp_le_u32_e32 vcc_lo, s3, v3
	v_cndmask_b32_e32 v3, v3, v4, vcc_lo
	v_subrev_nc_u32_e32 v4, s3, v3
	v_cmp_le_u32_e32 vcc_lo, s3, v3
	v_cndmask_b32_e32 v3, v3, v4, vcc_lo
	v_xor_b32_e32 v3, v3, v2
	v_sub_nc_u32_e32 v2, v3, v2
	v_cmp_eq_u32_e32 vcc_lo, 0, v2
	s_or_b32 s0, vcc_lo, s0
	s_and_saveexec_b32 s13, s0
	s_cbranch_execz .LBB165_230
; %bb.232:                              ;   in Loop: Header=BB165_231 Depth=1
	global_load_dword v1, v[13:14], off
	s_load_dword s17, s[14:15], 0x0
	v_mov_b32_e32 v19, 0
	v_mov_b32_e32 v17, 0
	;; [unrolled: 1-line block ×4, first 2 shown]
	s_waitcnt vmcnt(0)
	v_mad_i64_i32 v[15:16], null, v1, s12, v[11:12]
	ds_read_b128 v[1:4], v42
	global_load_dword v45, v[15:16], off
	s_waitcnt vmcnt(0)
	v_cmp_ne_u16_sdwa s18, v45, v6 src0_sel:BYTE_0 src1_sel:DWORD
	s_and_saveexec_b32 s0, s18
	s_cbranch_execz .LBB165_240
; %bb.233:                              ;   in Loop: Header=BB165_231 Depth=1
	v_bfrev_b32_e32 v17, 1
	v_mov_b32_e32 v18, 0
	v_cmp_ne_u16_sdwa s21, v45, v35 src0_sel:BYTE_0 src1_sel:DWORD
	s_and_saveexec_b32 s18, s21
	s_cbranch_execz .LBB165_239
; %bb.234:                              ;   in Loop: Header=BB165_231 Depth=1
	v_mov_b32_e32 v17, 0x7f800001
	v_and_b32_e32 v9, 0x7f, v45
	v_mov_b32_e32 v18, 0
	s_mov_b32 s21, exec_lo
	v_cmpx_ne_u32_e32 0x7f, v9
	s_cbranch_execz .LBB165_238
; %bb.235:                              ;   in Loop: Header=BB165_231 Depth=1
	v_and_b32_e32 v5, 7, v45
	v_lshrrev_b32_e32 v7, 3, v9
	s_mov_b32 s22, exec_lo
	v_cmpx_gt_u32_e32 8, v9
; %bb.236:                              ;   in Loop: Header=BB165_231 Depth=1
	v_ffbh_u32_e32 v7, v5
	v_min_u32_e32 v7, 32, v7
	v_subrev_nc_u32_e32 v9, 28, v7
	v_sub_nc_u32_e32 v7, 29, v7
	v_lshlrev_b64 v[17:18], v9, v[5:6]
	v_and_b32_e32 v5, 7, v17
; %bb.237:                              ;   in Loop: Header=BB165_231 Depth=1
	s_or_b32 exec_lo, exec_lo, s22
	v_lshlrev_b32_e32 v9, 24, v45
	v_lshlrev_b32_e32 v5, 20, v5
	v_lshl_add_u32 v7, v7, 23, 0x3c000000
	v_and_b32_e32 v9, 0x80000000, v9
	v_or3_b32 v5, v5, v9, v7
	v_mov_b32_e32 v18, v6
	v_mov_b32_e32 v17, v5
.LBB165_238:                            ;   in Loop: Header=BB165_231 Depth=1
	s_or_b32 exec_lo, exec_lo, s21
.LBB165_239:                            ;   in Loop: Header=BB165_231 Depth=1
	s_or_b32 exec_lo, exec_lo, s18
.LBB165_240:                            ;   in Loop: Header=BB165_231 Depth=1
	s_or_b32 exec_lo, exec_lo, s0
	v_cmp_ne_u16_sdwa s18, v45, v6 src0_sel:BYTE_1 src1_sel:DWORD
	s_and_saveexec_b32 s0, s18
	s_cbranch_execz .LBB165_248
; %bb.241:                              ;   in Loop: Header=BB165_231 Depth=1
	v_mov_b32_e32 v7, v6
	v_mov_b32_e32 v20, v8
	v_cmp_ne_u16_sdwa s21, v45, v35 src0_sel:BYTE_1 src1_sel:DWORD
	v_mov_b32_e32 v19, v7
	s_and_saveexec_b32 s18, s21
	s_cbranch_execz .LBB165_247
; %bb.242:                              ;   in Loop: Header=BB165_231 Depth=1
	v_and_b32_sdwa v5, v36, v45 dst_sel:DWORD dst_unused:UNUSED_PAD src0_sel:DWORD src1_sel:BYTE_1
	v_mov_b32_e32 v9, v6
	v_mov_b32_e32 v20, v10
	s_mov_b32 s21, exec_lo
	v_and_b32_e32 v21, 0x7f, v5
	v_mov_b32_e32 v19, v9
	v_cmpx_ne_u32_e32 0x7f, v21
	s_cbranch_execz .LBB165_246
; %bb.243:                              ;   in Loop: Header=BB165_231 Depth=1
	v_and_b32_e32 v5, 7, v5
	v_lshrrev_b32_e32 v7, 3, v21
	s_mov_b32 s22, exec_lo
	v_cmpx_gt_u32_e32 8, v21
; %bb.244:                              ;   in Loop: Header=BB165_231 Depth=1
	v_ffbh_u32_e32 v7, v5
	v_min_u32_e32 v7, 32, v7
	v_subrev_nc_u32_e32 v9, 28, v7
	v_sub_nc_u32_e32 v7, 29, v7
	v_lshlrev_b64 v[19:20], v9, v[5:6]
	v_and_b32_e32 v5, 7, v19
; %bb.245:                              ;   in Loop: Header=BB165_231 Depth=1
	s_or_b32 exec_lo, exec_lo, s22
	v_lshlrev_b32_e32 v9, 16, v45
	v_lshlrev_b32_e32 v5, 20, v5
	v_lshl_add_u32 v7, v7, 23, 0x3c000000
	v_mov_b32_e32 v19, v6
	v_and_b32_e32 v9, 0x80000000, v9
	v_or3_b32 v20, v5, v9, v7
.LBB165_246:                            ;   in Loop: Header=BB165_231 Depth=1
	s_or_b32 exec_lo, exec_lo, s21
.LBB165_247:                            ;   in Loop: Header=BB165_231 Depth=1
	s_or_b32 exec_lo, exec_lo, s18
.LBB165_248:                            ;   in Loop: Header=BB165_231 Depth=1
	s_or_b32 exec_lo, exec_lo, s0
	v_mov_b32_e32 v23, 0
	v_mov_b32_e32 v21, 0
	v_and_b32_sdwa v5, v45, v39 dst_sel:DWORD dst_unused:UNUSED_PAD src0_sel:WORD_1 src1_sel:DWORD
	v_mov_b32_e32 v24, 0
	v_mov_b32_e32 v22, 0
	s_mov_b32 s0, exec_lo
	v_cmpx_ne_u16_e32 0, v5
	s_cbranch_execz .LBB165_256
; %bb.249:                              ;   in Loop: Header=BB165_231 Depth=1
	v_bfrev_b32_e32 v21, 1
	v_mov_b32_e32 v22, 0
	s_mov_b32 s18, exec_lo
	v_cmpx_ne_u16_e32 0x80, v5
	s_cbranch_execz .LBB165_255
; %bb.250:                              ;   in Loop: Header=BB165_231 Depth=1
	v_mov_b32_e32 v21, 0x7f800001
	v_bfe_u32 v9, v45, 16, 7
	v_mov_b32_e32 v22, 0
	s_mov_b32 s21, exec_lo
	v_cmpx_ne_u32_e32 0x7f, v9
	s_cbranch_execz .LBB165_254
; %bb.251:                              ;   in Loop: Header=BB165_231 Depth=1
	v_and_b32_sdwa v5, v45, v40 dst_sel:DWORD dst_unused:UNUSED_PAD src0_sel:WORD_1 src1_sel:DWORD
	v_lshrrev_b32_e32 v7, 3, v9
	s_mov_b32 s22, exec_lo
	v_cmpx_gt_u32_e32 8, v9
; %bb.252:                              ;   in Loop: Header=BB165_231 Depth=1
	v_ffbh_u32_e32 v7, v5
	v_min_u32_e32 v7, 32, v7
	v_subrev_nc_u32_e32 v9, 28, v7
	v_sub_nc_u32_e32 v7, 29, v7
	v_lshlrev_b64 v[21:22], v9, v[5:6]
	v_and_b32_e32 v5, 7, v21
; %bb.253:                              ;   in Loop: Header=BB165_231 Depth=1
	s_or_b32 exec_lo, exec_lo, s22
	v_lshlrev_b32_sdwa v9, v41, v45 dst_sel:DWORD dst_unused:UNUSED_PAD src0_sel:DWORD src1_sel:WORD_1
	v_lshlrev_b32_e32 v5, 20, v5
	v_lshl_add_u32 v7, v7, 23, 0x3c000000
	v_and_b32_e32 v9, 0x80000000, v9
	v_or3_b32 v5, v5, v9, v7
	v_mov_b32_e32 v22, v6
	v_mov_b32_e32 v21, v5
.LBB165_254:                            ;   in Loop: Header=BB165_231 Depth=1
	s_or_b32 exec_lo, exec_lo, s21
.LBB165_255:                            ;   in Loop: Header=BB165_231 Depth=1
	s_or_b32 exec_lo, exec_lo, s18
.LBB165_256:                            ;   in Loop: Header=BB165_231 Depth=1
	s_or_b32 exec_lo, exec_lo, s0
	s_mov_b32 s0, exec_lo
	v_cmpx_lt_u32_e32 0xffffff, v45
	s_cbranch_execz .LBB165_264
; %bb.257:                              ;   in Loop: Header=BB165_231 Depth=1
	v_mov_b32_e32 v7, v6
	v_mov_b32_e32 v24, v8
	v_cmp_ne_u32_sdwa s21, v45, v35 src0_sel:BYTE_3 src1_sel:DWORD
	v_mov_b32_e32 v23, v7
	s_and_saveexec_b32 s18, s21
	s_cbranch_execz .LBB165_263
; %bb.258:                              ;   in Loop: Header=BB165_231 Depth=1
	v_mov_b32_e32 v9, v6
	v_mov_b32_e32 v24, v10
	v_bfe_u32 v46, v45, 24, 7
	s_mov_b32 s21, exec_lo
	v_mov_b32_e32 v23, v9
	v_cmpx_ne_u32_e32 0x7f, v46
	s_cbranch_execz .LBB165_262
; %bb.259:                              ;   in Loop: Header=BB165_231 Depth=1
	v_and_b32_sdwa v5, v45, v40 dst_sel:DWORD dst_unused:UNUSED_PAD src0_sel:BYTE_3 src1_sel:DWORD
	v_lshrrev_b32_e32 v7, 3, v46
	s_mov_b32 s22, exec_lo
	v_cmpx_gt_u32_e32 8, v46
; %bb.260:                              ;   in Loop: Header=BB165_231 Depth=1
	v_ffbh_u32_e32 v7, v5
	v_min_u32_e32 v7, 32, v7
	v_subrev_nc_u32_e32 v9, 28, v7
	v_sub_nc_u32_e32 v7, 29, v7
	v_lshlrev_b64 v[23:24], v9, v[5:6]
	v_and_b32_e32 v5, 7, v23
; %bb.261:                              ;   in Loop: Header=BB165_231 Depth=1
	s_or_b32 exec_lo, exec_lo, s22
	v_lshlrev_b32_sdwa v9, v41, v45 dst_sel:DWORD dst_unused:UNUSED_PAD src0_sel:DWORD src1_sel:BYTE_3
	v_lshlrev_b32_e32 v5, 20, v5
	v_lshl_add_u32 v7, v7, 23, 0x3c000000
	v_mov_b32_e32 v23, v6
	v_and_b32_e32 v9, 0x80000000, v9
	v_or3_b32 v24, v5, v9, v7
.LBB165_262:                            ;   in Loop: Header=BB165_231 Depth=1
	s_or_b32 exec_lo, exec_lo, s21
.LBB165_263:                            ;   in Loop: Header=BB165_231 Depth=1
	s_or_b32 exec_lo, exec_lo, s18
.LBB165_264:                            ;   in Loop: Header=BB165_231 Depth=1
	s_or_b32 exec_lo, exec_lo, s0
	v_add_nc_u32_e32 v49, v38, v34
	v_or_b32_e32 v5, v20, v18
	v_or_b32_e32 v7, v19, v17
	;; [unrolled: 1-line block ×4, first 2 shown]
	v_cmp_eq_u32_e32 vcc_lo, s4, v44
	s_waitcnt lgkmcnt(0)
	v_mul_f32_e32 v47, s17, v5
	v_mul_f32_e32 v48, s17, v7
	;; [unrolled: 1-line block ×4, first 2 shown]
	v_add_nc_u32_e32 v52, 1, v49
	v_add_nc_u32_e32 v51, 2, v49
	;; [unrolled: 1-line block ×3, first 2 shown]
	s_and_saveexec_b32 s18, vcc_lo
	s_cbranch_execz .LBB165_266
; %bb.265:                              ;   in Loop: Header=BB165_231 Depth=1
	v_cmp_gt_i32_e64 s0, s33, v49
	v_cndmask_b32_e64 v48, 0, v48, s0
	v_cmp_gt_i32_e64 s0, s33, v52
	v_cndmask_b32_e64 v47, 0, v47, s0
	;; [unrolled: 2-line block ×4, first 2 shown]
.LBB165_266:                            ;   in Loop: Header=BB165_231 Depth=1
	s_or_b32 exec_lo, exec_lo, s18
	global_load_dword v53, v[15:16], off offset:128
	v_mov_b32_e32 v19, 0
	v_mov_b32_e32 v17, 0
	;; [unrolled: 1-line block ×4, first 2 shown]
	s_waitcnt vmcnt(0)
	v_cmp_ne_u16_sdwa s0, v53, v6 src0_sel:BYTE_0 src1_sel:DWORD
	s_and_saveexec_b32 s18, s0
	s_cbranch_execz .LBB165_274
; %bb.267:                              ;   in Loop: Header=BB165_231 Depth=1
	v_bfrev_b32_e32 v17, 1
	v_mov_b32_e32 v18, 0
	v_cmp_ne_u16_sdwa s0, v53, v35 src0_sel:BYTE_0 src1_sel:DWORD
	s_and_saveexec_b32 s21, s0
	s_cbranch_execz .LBB165_273
; %bb.268:                              ;   in Loop: Header=BB165_231 Depth=1
	v_mov_b32_e32 v17, 0x7f800001
	v_and_b32_e32 v9, 0x7f, v53
	v_mov_b32_e32 v18, 0
	s_mov_b32 s22, exec_lo
	v_cmpx_ne_u32_e32 0x7f, v9
	s_cbranch_execz .LBB165_272
; %bb.269:                              ;   in Loop: Header=BB165_231 Depth=1
	v_and_b32_e32 v5, 7, v53
	v_lshrrev_b32_e32 v7, 3, v9
	s_mov_b32 s26, exec_lo
	v_cmpx_gt_u32_e32 8, v9
; %bb.270:                              ;   in Loop: Header=BB165_231 Depth=1
	v_ffbh_u32_e32 v7, v5
	v_min_u32_e32 v7, 32, v7
	v_subrev_nc_u32_e32 v9, 28, v7
	v_sub_nc_u32_e32 v7, 29, v7
	v_lshlrev_b64 v[17:18], v9, v[5:6]
	v_and_b32_e32 v5, 7, v17
; %bb.271:                              ;   in Loop: Header=BB165_231 Depth=1
	s_or_b32 exec_lo, exec_lo, s26
	v_lshlrev_b32_e32 v9, 24, v53
	v_lshlrev_b32_e32 v5, 20, v5
	v_lshl_add_u32 v7, v7, 23, 0x3c000000
	v_and_b32_e32 v9, 0x80000000, v9
	v_or3_b32 v5, v5, v9, v7
	v_mov_b32_e32 v18, v6
	v_mov_b32_e32 v17, v5
.LBB165_272:                            ;   in Loop: Header=BB165_231 Depth=1
	s_or_b32 exec_lo, exec_lo, s22
.LBB165_273:                            ;   in Loop: Header=BB165_231 Depth=1
	s_or_b32 exec_lo, exec_lo, s21
.LBB165_274:                            ;   in Loop: Header=BB165_231 Depth=1
	s_or_b32 exec_lo, exec_lo, s18
	v_cmp_ne_u16_sdwa s0, v53, v6 src0_sel:BYTE_1 src1_sel:DWORD
	s_and_saveexec_b32 s18, s0
	s_cbranch_execz .LBB165_282
; %bb.275:                              ;   in Loop: Header=BB165_231 Depth=1
	v_mov_b32_e32 v7, v6
	v_mov_b32_e32 v20, v8
	v_cmp_ne_u16_sdwa s0, v53, v35 src0_sel:BYTE_1 src1_sel:DWORD
	v_mov_b32_e32 v19, v7
	s_and_saveexec_b32 s21, s0
	s_cbranch_execz .LBB165_281
; %bb.276:                              ;   in Loop: Header=BB165_231 Depth=1
	v_and_b32_sdwa v5, v36, v53 dst_sel:DWORD dst_unused:UNUSED_PAD src0_sel:DWORD src1_sel:BYTE_1
	v_mov_b32_e32 v9, v6
	v_mov_b32_e32 v20, v10
	s_mov_b32 s22, exec_lo
	v_and_b32_e32 v21, 0x7f, v5
	v_mov_b32_e32 v19, v9
	v_cmpx_ne_u32_e32 0x7f, v21
	s_cbranch_execz .LBB165_280
; %bb.277:                              ;   in Loop: Header=BB165_231 Depth=1
	v_and_b32_e32 v5, 7, v5
	v_lshrrev_b32_e32 v7, 3, v21
	s_mov_b32 s26, exec_lo
	v_cmpx_gt_u32_e32 8, v21
; %bb.278:                              ;   in Loop: Header=BB165_231 Depth=1
	v_ffbh_u32_e32 v7, v5
	v_min_u32_e32 v7, 32, v7
	v_subrev_nc_u32_e32 v9, 28, v7
	v_sub_nc_u32_e32 v7, 29, v7
	v_lshlrev_b64 v[19:20], v9, v[5:6]
	v_and_b32_e32 v5, 7, v19
; %bb.279:                              ;   in Loop: Header=BB165_231 Depth=1
	s_or_b32 exec_lo, exec_lo, s26
	v_lshlrev_b32_e32 v9, 16, v53
	v_lshlrev_b32_e32 v5, 20, v5
	v_lshl_add_u32 v7, v7, 23, 0x3c000000
	v_mov_b32_e32 v19, v6
	v_and_b32_e32 v9, 0x80000000, v9
	v_or3_b32 v20, v5, v9, v7
.LBB165_280:                            ;   in Loop: Header=BB165_231 Depth=1
	s_or_b32 exec_lo, exec_lo, s22
.LBB165_281:                            ;   in Loop: Header=BB165_231 Depth=1
	s_or_b32 exec_lo, exec_lo, s21
.LBB165_282:                            ;   in Loop: Header=BB165_231 Depth=1
	s_or_b32 exec_lo, exec_lo, s18
	v_mov_b32_e32 v23, 0
	v_mov_b32_e32 v21, 0
	v_and_b32_sdwa v5, v53, v39 dst_sel:DWORD dst_unused:UNUSED_PAD src0_sel:WORD_1 src1_sel:DWORD
	v_mov_b32_e32 v24, 0
	v_mov_b32_e32 v22, 0
	s_mov_b32 s18, exec_lo
	v_cmpx_ne_u16_e32 0, v5
	s_cbranch_execz .LBB165_290
; %bb.283:                              ;   in Loop: Header=BB165_231 Depth=1
	v_bfrev_b32_e32 v21, 1
	v_mov_b32_e32 v22, 0
	s_mov_b32 s21, exec_lo
	v_cmpx_ne_u16_e32 0x80, v5
	s_cbranch_execz .LBB165_289
; %bb.284:                              ;   in Loop: Header=BB165_231 Depth=1
	v_mov_b32_e32 v21, 0x7f800001
	v_bfe_u32 v9, v53, 16, 7
	v_mov_b32_e32 v22, 0
	s_mov_b32 s22, exec_lo
	v_cmpx_ne_u32_e32 0x7f, v9
	s_cbranch_execz .LBB165_288
; %bb.285:                              ;   in Loop: Header=BB165_231 Depth=1
	v_and_b32_sdwa v5, v53, v40 dst_sel:DWORD dst_unused:UNUSED_PAD src0_sel:WORD_1 src1_sel:DWORD
	v_lshrrev_b32_e32 v7, 3, v9
	s_mov_b32 s26, exec_lo
	v_cmpx_gt_u32_e32 8, v9
; %bb.286:                              ;   in Loop: Header=BB165_231 Depth=1
	v_ffbh_u32_e32 v7, v5
	v_min_u32_e32 v7, 32, v7
	v_subrev_nc_u32_e32 v9, 28, v7
	v_sub_nc_u32_e32 v7, 29, v7
	v_lshlrev_b64 v[21:22], v9, v[5:6]
	v_and_b32_e32 v5, 7, v21
; %bb.287:                              ;   in Loop: Header=BB165_231 Depth=1
	s_or_b32 exec_lo, exec_lo, s26
	v_lshlrev_b32_sdwa v9, v41, v53 dst_sel:DWORD dst_unused:UNUSED_PAD src0_sel:DWORD src1_sel:WORD_1
	v_lshlrev_b32_e32 v5, 20, v5
	v_lshl_add_u32 v7, v7, 23, 0x3c000000
	v_and_b32_e32 v9, 0x80000000, v9
	v_or3_b32 v5, v5, v9, v7
	v_mov_b32_e32 v22, v6
	v_mov_b32_e32 v21, v5
.LBB165_288:                            ;   in Loop: Header=BB165_231 Depth=1
	s_or_b32 exec_lo, exec_lo, s22
.LBB165_289:                            ;   in Loop: Header=BB165_231 Depth=1
	s_or_b32 exec_lo, exec_lo, s21
.LBB165_290:                            ;   in Loop: Header=BB165_231 Depth=1
	s_or_b32 exec_lo, exec_lo, s18
	s_mov_b32 s18, exec_lo
	v_cmpx_lt_u32_e32 0xffffff, v53
	s_cbranch_execz .LBB165_298
; %bb.291:                              ;   in Loop: Header=BB165_231 Depth=1
	v_mov_b32_e32 v7, v6
	v_mov_b32_e32 v24, v8
	v_cmp_ne_u32_sdwa s0, v53, v35 src0_sel:BYTE_3 src1_sel:DWORD
	v_mov_b32_e32 v23, v7
	s_and_saveexec_b32 s21, s0
	s_cbranch_execz .LBB165_297
; %bb.292:                              ;   in Loop: Header=BB165_231 Depth=1
	v_mov_b32_e32 v9, v6
	v_mov_b32_e32 v24, v10
	v_bfe_u32 v54, v53, 24, 7
	s_mov_b32 s22, exec_lo
	v_mov_b32_e32 v23, v9
	v_cmpx_ne_u32_e32 0x7f, v54
	s_cbranch_execz .LBB165_296
; %bb.293:                              ;   in Loop: Header=BB165_231 Depth=1
	v_and_b32_sdwa v5, v53, v40 dst_sel:DWORD dst_unused:UNUSED_PAD src0_sel:BYTE_3 src1_sel:DWORD
	v_lshrrev_b32_e32 v7, 3, v54
	s_mov_b32 s26, exec_lo
	v_cmpx_gt_u32_e32 8, v54
; %bb.294:                              ;   in Loop: Header=BB165_231 Depth=1
	v_ffbh_u32_e32 v7, v5
	v_min_u32_e32 v7, 32, v7
	v_subrev_nc_u32_e32 v9, 28, v7
	v_sub_nc_u32_e32 v7, 29, v7
	v_lshlrev_b64 v[23:24], v9, v[5:6]
	v_and_b32_e32 v5, 7, v23
; %bb.295:                              ;   in Loop: Header=BB165_231 Depth=1
	s_or_b32 exec_lo, exec_lo, s26
	v_lshlrev_b32_sdwa v9, v41, v53 dst_sel:DWORD dst_unused:UNUSED_PAD src0_sel:DWORD src1_sel:BYTE_3
	v_lshlrev_b32_e32 v5, 20, v5
	v_lshl_add_u32 v7, v7, 23, 0x3c000000
	v_mov_b32_e32 v23, v6
	v_and_b32_e32 v9, 0x80000000, v9
	v_or3_b32 v24, v5, v9, v7
.LBB165_296:                            ;   in Loop: Header=BB165_231 Depth=1
	s_or_b32 exec_lo, exec_lo, s22
.LBB165_297:                            ;   in Loop: Header=BB165_231 Depth=1
	s_or_b32 exec_lo, exec_lo, s21
.LBB165_298:                            ;   in Loop: Header=BB165_231 Depth=1
	s_or_b32 exec_lo, exec_lo, s18
	v_or_b32_e32 v5, v20, v18
	v_or_b32_e32 v7, v19, v17
	;; [unrolled: 1-line block ×4, first 2 shown]
	s_mov_b32 s18, s17
	v_mul_f32_e32 v55, s18, v5
	v_mul_f32_e32 v56, s17, v7
	;; [unrolled: 1-line block ×4, first 2 shown]
	s_and_saveexec_b32 s21, vcc_lo
	s_cbranch_execz .LBB165_300
; %bb.299:                              ;   in Loop: Header=BB165_231 Depth=1
	v_cmp_gt_i32_e64 s0, s33, v49
	v_cndmask_b32_e64 v56, 0, v56, s0
	v_cmp_gt_i32_e64 s0, s33, v52
	v_cndmask_b32_e64 v55, 0, v55, s0
	;; [unrolled: 2-line block ×4, first 2 shown]
.LBB165_300:                            ;   in Loop: Header=BB165_231 Depth=1
	s_or_b32 exec_lo, exec_lo, s21
	global_load_dword v57, v[15:16], off offset:256
	v_mov_b32_e32 v19, 0
	v_mov_b32_e32 v17, 0
	;; [unrolled: 1-line block ×4, first 2 shown]
	s_waitcnt vmcnt(0)
	v_cmp_ne_u16_sdwa s0, v57, v6 src0_sel:BYTE_0 src1_sel:DWORD
	s_and_saveexec_b32 s21, s0
	s_cbranch_execz .LBB165_308
; %bb.301:                              ;   in Loop: Header=BB165_231 Depth=1
	v_bfrev_b32_e32 v17, 1
	v_mov_b32_e32 v18, 0
	v_cmp_ne_u16_sdwa s0, v57, v35 src0_sel:BYTE_0 src1_sel:DWORD
	s_and_saveexec_b32 s22, s0
	s_cbranch_execz .LBB165_307
; %bb.302:                              ;   in Loop: Header=BB165_231 Depth=1
	v_mov_b32_e32 v17, 0x7f800001
	v_and_b32_e32 v9, 0x7f, v57
	v_mov_b32_e32 v18, 0
	s_mov_b32 s26, exec_lo
	v_cmpx_ne_u32_e32 0x7f, v9
	s_cbranch_execz .LBB165_306
; %bb.303:                              ;   in Loop: Header=BB165_231 Depth=1
	v_and_b32_e32 v5, 7, v57
	v_lshrrev_b32_e32 v7, 3, v9
	s_mov_b32 s27, exec_lo
	v_cmpx_gt_u32_e32 8, v9
; %bb.304:                              ;   in Loop: Header=BB165_231 Depth=1
	v_ffbh_u32_e32 v7, v5
	v_min_u32_e32 v7, 32, v7
	v_subrev_nc_u32_e32 v9, 28, v7
	v_sub_nc_u32_e32 v7, 29, v7
	v_lshlrev_b64 v[17:18], v9, v[5:6]
	v_and_b32_e32 v5, 7, v17
; %bb.305:                              ;   in Loop: Header=BB165_231 Depth=1
	s_or_b32 exec_lo, exec_lo, s27
	v_lshlrev_b32_e32 v9, 24, v57
	v_lshlrev_b32_e32 v5, 20, v5
	v_lshl_add_u32 v7, v7, 23, 0x3c000000
	v_and_b32_e32 v9, 0x80000000, v9
	v_or3_b32 v5, v5, v9, v7
	v_mov_b32_e32 v18, v6
	v_mov_b32_e32 v17, v5
.LBB165_306:                            ;   in Loop: Header=BB165_231 Depth=1
	s_or_b32 exec_lo, exec_lo, s26
.LBB165_307:                            ;   in Loop: Header=BB165_231 Depth=1
	s_or_b32 exec_lo, exec_lo, s22
.LBB165_308:                            ;   in Loop: Header=BB165_231 Depth=1
	s_or_b32 exec_lo, exec_lo, s21
	v_cmp_ne_u16_sdwa s0, v57, v6 src0_sel:BYTE_1 src1_sel:DWORD
	s_and_saveexec_b32 s21, s0
	s_cbranch_execz .LBB165_316
; %bb.309:                              ;   in Loop: Header=BB165_231 Depth=1
	v_mov_b32_e32 v7, v6
	v_mov_b32_e32 v20, v8
	v_cmp_ne_u16_sdwa s0, v57, v35 src0_sel:BYTE_1 src1_sel:DWORD
	v_mov_b32_e32 v19, v7
	s_and_saveexec_b32 s22, s0
	s_cbranch_execz .LBB165_315
; %bb.310:                              ;   in Loop: Header=BB165_231 Depth=1
	v_and_b32_sdwa v5, v36, v57 dst_sel:DWORD dst_unused:UNUSED_PAD src0_sel:DWORD src1_sel:BYTE_1
	v_mov_b32_e32 v9, v6
	v_mov_b32_e32 v20, v10
	s_mov_b32 s26, exec_lo
	v_and_b32_e32 v21, 0x7f, v5
	v_mov_b32_e32 v19, v9
	v_cmpx_ne_u32_e32 0x7f, v21
	s_cbranch_execz .LBB165_314
; %bb.311:                              ;   in Loop: Header=BB165_231 Depth=1
	v_and_b32_e32 v5, 7, v5
	v_lshrrev_b32_e32 v7, 3, v21
	s_mov_b32 s27, exec_lo
	v_cmpx_gt_u32_e32 8, v21
; %bb.312:                              ;   in Loop: Header=BB165_231 Depth=1
	v_ffbh_u32_e32 v7, v5
	v_min_u32_e32 v7, 32, v7
	v_subrev_nc_u32_e32 v9, 28, v7
	v_sub_nc_u32_e32 v7, 29, v7
	v_lshlrev_b64 v[19:20], v9, v[5:6]
	v_and_b32_e32 v5, 7, v19
; %bb.313:                              ;   in Loop: Header=BB165_231 Depth=1
	s_or_b32 exec_lo, exec_lo, s27
	v_lshlrev_b32_e32 v9, 16, v57
	v_lshlrev_b32_e32 v5, 20, v5
	v_lshl_add_u32 v7, v7, 23, 0x3c000000
	v_mov_b32_e32 v19, v6
	v_and_b32_e32 v9, 0x80000000, v9
	v_or3_b32 v20, v5, v9, v7
.LBB165_314:                            ;   in Loop: Header=BB165_231 Depth=1
	s_or_b32 exec_lo, exec_lo, s26
.LBB165_315:                            ;   in Loop: Header=BB165_231 Depth=1
	s_or_b32 exec_lo, exec_lo, s22
.LBB165_316:                            ;   in Loop: Header=BB165_231 Depth=1
	s_or_b32 exec_lo, exec_lo, s21
	v_mov_b32_e32 v23, 0
	v_mov_b32_e32 v21, 0
	v_and_b32_sdwa v5, v57, v39 dst_sel:DWORD dst_unused:UNUSED_PAD src0_sel:WORD_1 src1_sel:DWORD
	v_mov_b32_e32 v24, 0
	v_mov_b32_e32 v22, 0
	s_mov_b32 s21, exec_lo
	v_cmpx_ne_u16_e32 0, v5
	s_cbranch_execz .LBB165_324
; %bb.317:                              ;   in Loop: Header=BB165_231 Depth=1
	v_bfrev_b32_e32 v21, 1
	v_mov_b32_e32 v22, 0
	s_mov_b32 s22, exec_lo
	v_cmpx_ne_u16_e32 0x80, v5
	s_cbranch_execz .LBB165_323
; %bb.318:                              ;   in Loop: Header=BB165_231 Depth=1
	v_mov_b32_e32 v21, 0x7f800001
	v_bfe_u32 v9, v57, 16, 7
	v_mov_b32_e32 v22, 0
	s_mov_b32 s26, exec_lo
	v_cmpx_ne_u32_e32 0x7f, v9
	s_cbranch_execz .LBB165_322
; %bb.319:                              ;   in Loop: Header=BB165_231 Depth=1
	v_and_b32_sdwa v5, v57, v40 dst_sel:DWORD dst_unused:UNUSED_PAD src0_sel:WORD_1 src1_sel:DWORD
	v_lshrrev_b32_e32 v7, 3, v9
	s_mov_b32 s27, exec_lo
	v_cmpx_gt_u32_e32 8, v9
; %bb.320:                              ;   in Loop: Header=BB165_231 Depth=1
	v_ffbh_u32_e32 v7, v5
	v_min_u32_e32 v7, 32, v7
	v_subrev_nc_u32_e32 v9, 28, v7
	v_sub_nc_u32_e32 v7, 29, v7
	v_lshlrev_b64 v[21:22], v9, v[5:6]
	v_and_b32_e32 v5, 7, v21
; %bb.321:                              ;   in Loop: Header=BB165_231 Depth=1
	s_or_b32 exec_lo, exec_lo, s27
	v_lshlrev_b32_sdwa v9, v41, v57 dst_sel:DWORD dst_unused:UNUSED_PAD src0_sel:DWORD src1_sel:WORD_1
	v_lshlrev_b32_e32 v5, 20, v5
	v_lshl_add_u32 v7, v7, 23, 0x3c000000
	v_and_b32_e32 v9, 0x80000000, v9
	v_or3_b32 v5, v5, v9, v7
	v_mov_b32_e32 v22, v6
	v_mov_b32_e32 v21, v5
.LBB165_322:                            ;   in Loop: Header=BB165_231 Depth=1
	s_or_b32 exec_lo, exec_lo, s26
.LBB165_323:                            ;   in Loop: Header=BB165_231 Depth=1
	s_or_b32 exec_lo, exec_lo, s22
.LBB165_324:                            ;   in Loop: Header=BB165_231 Depth=1
	s_or_b32 exec_lo, exec_lo, s21
	s_mov_b32 s21, exec_lo
	v_cmpx_lt_u32_e32 0xffffff, v57
	s_cbranch_execz .LBB165_332
; %bb.325:                              ;   in Loop: Header=BB165_231 Depth=1
	v_mov_b32_e32 v7, v6
	v_mov_b32_e32 v24, v8
	v_cmp_ne_u32_sdwa s0, v57, v35 src0_sel:BYTE_3 src1_sel:DWORD
	v_mov_b32_e32 v23, v7
	s_and_saveexec_b32 s22, s0
	s_cbranch_execz .LBB165_331
; %bb.326:                              ;   in Loop: Header=BB165_231 Depth=1
	v_mov_b32_e32 v9, v6
	v_mov_b32_e32 v24, v10
	v_bfe_u32 v58, v57, 24, 7
	s_mov_b32 s26, exec_lo
	v_mov_b32_e32 v23, v9
	v_cmpx_ne_u32_e32 0x7f, v58
	s_cbranch_execz .LBB165_330
; %bb.327:                              ;   in Loop: Header=BB165_231 Depth=1
	v_and_b32_sdwa v5, v57, v40 dst_sel:DWORD dst_unused:UNUSED_PAD src0_sel:BYTE_3 src1_sel:DWORD
	v_lshrrev_b32_e32 v7, 3, v58
	s_mov_b32 s27, exec_lo
	v_cmpx_gt_u32_e32 8, v58
; %bb.328:                              ;   in Loop: Header=BB165_231 Depth=1
	v_ffbh_u32_e32 v7, v5
	v_min_u32_e32 v7, 32, v7
	v_subrev_nc_u32_e32 v9, 28, v7
	v_sub_nc_u32_e32 v7, 29, v7
	v_lshlrev_b64 v[23:24], v9, v[5:6]
	v_and_b32_e32 v5, 7, v23
; %bb.329:                              ;   in Loop: Header=BB165_231 Depth=1
	s_or_b32 exec_lo, exec_lo, s27
	v_lshlrev_b32_sdwa v9, v41, v57 dst_sel:DWORD dst_unused:UNUSED_PAD src0_sel:DWORD src1_sel:BYTE_3
	v_lshlrev_b32_e32 v5, 20, v5
	v_lshl_add_u32 v7, v7, 23, 0x3c000000
	v_mov_b32_e32 v23, v6
	v_and_b32_e32 v9, 0x80000000, v9
	v_or3_b32 v24, v5, v9, v7
.LBB165_330:                            ;   in Loop: Header=BB165_231 Depth=1
	s_or_b32 exec_lo, exec_lo, s26
.LBB165_331:                            ;   in Loop: Header=BB165_231 Depth=1
	s_or_b32 exec_lo, exec_lo, s22
.LBB165_332:                            ;   in Loop: Header=BB165_231 Depth=1
	s_or_b32 exec_lo, exec_lo, s21
	v_or_b32_e32 v5, v20, v18
	v_or_b32_e32 v7, v19, v17
	;; [unrolled: 1-line block ×4, first 2 shown]
	v_mul_f32_e32 v59, s18, v5
	v_mul_f32_e32 v60, s17, v7
	v_mul_f32_e32 v58, s17, v9
	v_mul_f32_e32 v57, s18, v17
	s_and_saveexec_b32 s21, vcc_lo
	s_cbranch_execz .LBB165_334
; %bb.333:                              ;   in Loop: Header=BB165_231 Depth=1
	v_cmp_gt_i32_e64 s0, s33, v49
	v_cndmask_b32_e64 v60, 0, v60, s0
	v_cmp_gt_i32_e64 s0, s33, v52
	v_cndmask_b32_e64 v59, 0, v59, s0
	;; [unrolled: 2-line block ×4, first 2 shown]
.LBB165_334:                            ;   in Loop: Header=BB165_231 Depth=1
	s_or_b32 exec_lo, exec_lo, s21
	global_load_dword v61, v[15:16], off offset:384
	v_mov_b32_e32 v19, 0
	v_mov_b32_e32 v17, 0
	;; [unrolled: 1-line block ×4, first 2 shown]
	s_waitcnt vmcnt(0)
	v_cmp_ne_u16_sdwa s0, v61, v6 src0_sel:BYTE_0 src1_sel:DWORD
	s_and_saveexec_b32 s21, s0
	s_cbranch_execz .LBB165_342
; %bb.335:                              ;   in Loop: Header=BB165_231 Depth=1
	v_bfrev_b32_e32 v17, 1
	v_mov_b32_e32 v18, 0
	v_cmp_ne_u16_sdwa s0, v61, v35 src0_sel:BYTE_0 src1_sel:DWORD
	s_and_saveexec_b32 s22, s0
	s_cbranch_execz .LBB165_341
; %bb.336:                              ;   in Loop: Header=BB165_231 Depth=1
	v_mov_b32_e32 v17, 0x7f800001
	v_and_b32_e32 v9, 0x7f, v61
	v_mov_b32_e32 v18, 0
	s_mov_b32 s26, exec_lo
	v_cmpx_ne_u32_e32 0x7f, v9
	s_cbranch_execz .LBB165_340
; %bb.337:                              ;   in Loop: Header=BB165_231 Depth=1
	v_and_b32_e32 v5, 7, v61
	v_lshrrev_b32_e32 v7, 3, v9
	s_mov_b32 s27, exec_lo
	v_cmpx_gt_u32_e32 8, v9
; %bb.338:                              ;   in Loop: Header=BB165_231 Depth=1
	v_ffbh_u32_e32 v7, v5
	v_min_u32_e32 v7, 32, v7
	v_subrev_nc_u32_e32 v9, 28, v7
	v_sub_nc_u32_e32 v7, 29, v7
	v_lshlrev_b64 v[17:18], v9, v[5:6]
	v_and_b32_e32 v5, 7, v17
; %bb.339:                              ;   in Loop: Header=BB165_231 Depth=1
	s_or_b32 exec_lo, exec_lo, s27
	v_lshlrev_b32_e32 v9, 24, v61
	v_lshlrev_b32_e32 v5, 20, v5
	v_lshl_add_u32 v7, v7, 23, 0x3c000000
	v_and_b32_e32 v9, 0x80000000, v9
	v_or3_b32 v5, v5, v9, v7
	v_mov_b32_e32 v18, v6
	v_mov_b32_e32 v17, v5
.LBB165_340:                            ;   in Loop: Header=BB165_231 Depth=1
	s_or_b32 exec_lo, exec_lo, s26
.LBB165_341:                            ;   in Loop: Header=BB165_231 Depth=1
	s_or_b32 exec_lo, exec_lo, s22
.LBB165_342:                            ;   in Loop: Header=BB165_231 Depth=1
	s_or_b32 exec_lo, exec_lo, s21
	v_cmp_ne_u16_sdwa s0, v61, v6 src0_sel:BYTE_1 src1_sel:DWORD
	s_and_saveexec_b32 s21, s0
	s_cbranch_execz .LBB165_350
; %bb.343:                              ;   in Loop: Header=BB165_231 Depth=1
	v_mov_b32_e32 v7, v6
	v_mov_b32_e32 v20, v8
	v_cmp_ne_u16_sdwa s0, v61, v35 src0_sel:BYTE_1 src1_sel:DWORD
	v_mov_b32_e32 v19, v7
	s_and_saveexec_b32 s22, s0
	s_cbranch_execz .LBB165_349
; %bb.344:                              ;   in Loop: Header=BB165_231 Depth=1
	v_and_b32_sdwa v5, v36, v61 dst_sel:DWORD dst_unused:UNUSED_PAD src0_sel:DWORD src1_sel:BYTE_1
	v_mov_b32_e32 v9, v6
	v_mov_b32_e32 v20, v10
	s_mov_b32 s26, exec_lo
	v_and_b32_e32 v21, 0x7f, v5
	v_mov_b32_e32 v19, v9
	v_cmpx_ne_u32_e32 0x7f, v21
	s_cbranch_execz .LBB165_348
; %bb.345:                              ;   in Loop: Header=BB165_231 Depth=1
	v_and_b32_e32 v5, 7, v5
	v_lshrrev_b32_e32 v7, 3, v21
	s_mov_b32 s27, exec_lo
	v_cmpx_gt_u32_e32 8, v21
; %bb.346:                              ;   in Loop: Header=BB165_231 Depth=1
	v_ffbh_u32_e32 v7, v5
	v_min_u32_e32 v7, 32, v7
	v_subrev_nc_u32_e32 v9, 28, v7
	v_sub_nc_u32_e32 v7, 29, v7
	v_lshlrev_b64 v[19:20], v9, v[5:6]
	v_and_b32_e32 v5, 7, v19
; %bb.347:                              ;   in Loop: Header=BB165_231 Depth=1
	s_or_b32 exec_lo, exec_lo, s27
	v_lshlrev_b32_e32 v9, 16, v61
	v_lshlrev_b32_e32 v5, 20, v5
	v_lshl_add_u32 v7, v7, 23, 0x3c000000
	v_mov_b32_e32 v19, v6
	v_and_b32_e32 v9, 0x80000000, v9
	v_or3_b32 v20, v5, v9, v7
.LBB165_348:                            ;   in Loop: Header=BB165_231 Depth=1
	s_or_b32 exec_lo, exec_lo, s26
.LBB165_349:                            ;   in Loop: Header=BB165_231 Depth=1
	s_or_b32 exec_lo, exec_lo, s22
.LBB165_350:                            ;   in Loop: Header=BB165_231 Depth=1
	s_or_b32 exec_lo, exec_lo, s21
	v_mov_b32_e32 v23, 0
	v_mov_b32_e32 v21, 0
	v_and_b32_sdwa v5, v61, v39 dst_sel:DWORD dst_unused:UNUSED_PAD src0_sel:WORD_1 src1_sel:DWORD
	v_mov_b32_e32 v24, 0
	v_mov_b32_e32 v22, 0
	s_mov_b32 s21, exec_lo
	v_cmpx_ne_u16_e32 0, v5
	s_cbranch_execz .LBB165_358
; %bb.351:                              ;   in Loop: Header=BB165_231 Depth=1
	v_bfrev_b32_e32 v21, 1
	v_mov_b32_e32 v22, 0
	s_mov_b32 s22, exec_lo
	v_cmpx_ne_u16_e32 0x80, v5
	s_cbranch_execz .LBB165_357
; %bb.352:                              ;   in Loop: Header=BB165_231 Depth=1
	v_mov_b32_e32 v21, 0x7f800001
	v_bfe_u32 v9, v61, 16, 7
	v_mov_b32_e32 v22, 0
	s_mov_b32 s26, exec_lo
	v_cmpx_ne_u32_e32 0x7f, v9
	s_cbranch_execz .LBB165_356
; %bb.353:                              ;   in Loop: Header=BB165_231 Depth=1
	v_and_b32_sdwa v5, v61, v40 dst_sel:DWORD dst_unused:UNUSED_PAD src0_sel:WORD_1 src1_sel:DWORD
	v_lshrrev_b32_e32 v7, 3, v9
	s_mov_b32 s27, exec_lo
	v_cmpx_gt_u32_e32 8, v9
; %bb.354:                              ;   in Loop: Header=BB165_231 Depth=1
	v_ffbh_u32_e32 v7, v5
	v_min_u32_e32 v7, 32, v7
	v_subrev_nc_u32_e32 v9, 28, v7
	v_sub_nc_u32_e32 v7, 29, v7
	v_lshlrev_b64 v[21:22], v9, v[5:6]
	v_and_b32_e32 v5, 7, v21
; %bb.355:                              ;   in Loop: Header=BB165_231 Depth=1
	s_or_b32 exec_lo, exec_lo, s27
	v_lshlrev_b32_sdwa v9, v41, v61 dst_sel:DWORD dst_unused:UNUSED_PAD src0_sel:DWORD src1_sel:WORD_1
	v_lshlrev_b32_e32 v5, 20, v5
	v_lshl_add_u32 v7, v7, 23, 0x3c000000
	v_and_b32_e32 v9, 0x80000000, v9
	v_or3_b32 v5, v5, v9, v7
	v_mov_b32_e32 v22, v6
	v_mov_b32_e32 v21, v5
.LBB165_356:                            ;   in Loop: Header=BB165_231 Depth=1
	s_or_b32 exec_lo, exec_lo, s26
.LBB165_357:                            ;   in Loop: Header=BB165_231 Depth=1
	s_or_b32 exec_lo, exec_lo, s22
.LBB165_358:                            ;   in Loop: Header=BB165_231 Depth=1
	s_or_b32 exec_lo, exec_lo, s21
	s_mov_b32 s21, exec_lo
	v_cmpx_lt_u32_e32 0xffffff, v61
	s_cbranch_execz .LBB165_366
; %bb.359:                              ;   in Loop: Header=BB165_231 Depth=1
	v_mov_b32_e32 v7, v6
	v_mov_b32_e32 v24, v8
	v_cmp_ne_u32_sdwa s0, v61, v35 src0_sel:BYTE_3 src1_sel:DWORD
	v_mov_b32_e32 v23, v7
	s_and_saveexec_b32 s22, s0
	s_cbranch_execz .LBB165_365
; %bb.360:                              ;   in Loop: Header=BB165_231 Depth=1
	v_mov_b32_e32 v9, v6
	v_mov_b32_e32 v24, v10
	v_bfe_u32 v62, v61, 24, 7
	s_mov_b32 s26, exec_lo
	v_mov_b32_e32 v23, v9
	v_cmpx_ne_u32_e32 0x7f, v62
	s_cbranch_execz .LBB165_364
; %bb.361:                              ;   in Loop: Header=BB165_231 Depth=1
	v_and_b32_sdwa v5, v61, v40 dst_sel:DWORD dst_unused:UNUSED_PAD src0_sel:BYTE_3 src1_sel:DWORD
	v_lshrrev_b32_e32 v7, 3, v62
	s_mov_b32 s27, exec_lo
	v_cmpx_gt_u32_e32 8, v62
; %bb.362:                              ;   in Loop: Header=BB165_231 Depth=1
	v_ffbh_u32_e32 v7, v5
	v_min_u32_e32 v7, 32, v7
	v_subrev_nc_u32_e32 v9, 28, v7
	v_sub_nc_u32_e32 v7, 29, v7
	v_lshlrev_b64 v[23:24], v9, v[5:6]
	v_and_b32_e32 v5, 7, v23
; %bb.363:                              ;   in Loop: Header=BB165_231 Depth=1
	s_or_b32 exec_lo, exec_lo, s27
	v_lshlrev_b32_sdwa v9, v41, v61 dst_sel:DWORD dst_unused:UNUSED_PAD src0_sel:DWORD src1_sel:BYTE_3
	v_lshlrev_b32_e32 v5, 20, v5
	v_lshl_add_u32 v7, v7, 23, 0x3c000000
	v_mov_b32_e32 v23, v6
	v_and_b32_e32 v9, 0x80000000, v9
	v_or3_b32 v24, v5, v9, v7
.LBB165_364:                            ;   in Loop: Header=BB165_231 Depth=1
	s_or_b32 exec_lo, exec_lo, s26
.LBB165_365:                            ;   in Loop: Header=BB165_231 Depth=1
	s_or_b32 exec_lo, exec_lo, s22
.LBB165_366:                            ;   in Loop: Header=BB165_231 Depth=1
	s_or_b32 exec_lo, exec_lo, s21
	v_or_b32_e32 v5, v20, v18
	v_or_b32_e32 v7, v19, v17
	;; [unrolled: 1-line block ×4, first 2 shown]
	v_mul_f32_e32 v63, s18, v5
	v_mul_f32_e32 v64, s17, v7
	;; [unrolled: 1-line block ×4, first 2 shown]
	s_and_saveexec_b32 s21, vcc_lo
	s_cbranch_execz .LBB165_368
; %bb.367:                              ;   in Loop: Header=BB165_231 Depth=1
	v_cmp_gt_i32_e64 s0, s33, v49
	v_cndmask_b32_e64 v64, 0, v64, s0
	v_cmp_gt_i32_e64 s0, s33, v52
	v_cndmask_b32_e64 v63, 0, v63, s0
	;; [unrolled: 2-line block ×4, first 2 shown]
.LBB165_368:                            ;   in Loop: Header=BB165_231 Depth=1
	s_or_b32 exec_lo, exec_lo, s21
	global_load_dword v65, v[15:16], off offset:512
	v_mov_b32_e32 v19, 0
	v_mov_b32_e32 v17, 0
	;; [unrolled: 1-line block ×4, first 2 shown]
	s_waitcnt vmcnt(0)
	v_cmp_ne_u16_sdwa s0, v65, v6 src0_sel:BYTE_0 src1_sel:DWORD
	s_and_saveexec_b32 s21, s0
	s_cbranch_execz .LBB165_376
; %bb.369:                              ;   in Loop: Header=BB165_231 Depth=1
	v_bfrev_b32_e32 v17, 1
	v_mov_b32_e32 v18, 0
	v_cmp_ne_u16_sdwa s0, v65, v35 src0_sel:BYTE_0 src1_sel:DWORD
	s_and_saveexec_b32 s22, s0
	s_cbranch_execz .LBB165_375
; %bb.370:                              ;   in Loop: Header=BB165_231 Depth=1
	v_mov_b32_e32 v17, 0x7f800001
	v_and_b32_e32 v9, 0x7f, v65
	v_mov_b32_e32 v18, 0
	s_mov_b32 s26, exec_lo
	v_cmpx_ne_u32_e32 0x7f, v9
	s_cbranch_execz .LBB165_374
; %bb.371:                              ;   in Loop: Header=BB165_231 Depth=1
	v_and_b32_e32 v5, 7, v65
	v_lshrrev_b32_e32 v7, 3, v9
	s_mov_b32 s27, exec_lo
	v_cmpx_gt_u32_e32 8, v9
; %bb.372:                              ;   in Loop: Header=BB165_231 Depth=1
	v_ffbh_u32_e32 v7, v5
	v_min_u32_e32 v7, 32, v7
	v_subrev_nc_u32_e32 v9, 28, v7
	v_sub_nc_u32_e32 v7, 29, v7
	v_lshlrev_b64 v[17:18], v9, v[5:6]
	v_and_b32_e32 v5, 7, v17
; %bb.373:                              ;   in Loop: Header=BB165_231 Depth=1
	s_or_b32 exec_lo, exec_lo, s27
	v_lshlrev_b32_e32 v9, 24, v65
	v_lshlrev_b32_e32 v5, 20, v5
	v_lshl_add_u32 v7, v7, 23, 0x3c000000
	v_and_b32_e32 v9, 0x80000000, v9
	v_or3_b32 v5, v5, v9, v7
	v_mov_b32_e32 v18, v6
	v_mov_b32_e32 v17, v5
.LBB165_374:                            ;   in Loop: Header=BB165_231 Depth=1
	s_or_b32 exec_lo, exec_lo, s26
.LBB165_375:                            ;   in Loop: Header=BB165_231 Depth=1
	s_or_b32 exec_lo, exec_lo, s22
.LBB165_376:                            ;   in Loop: Header=BB165_231 Depth=1
	s_or_b32 exec_lo, exec_lo, s21
	v_cmp_ne_u16_sdwa s0, v65, v6 src0_sel:BYTE_1 src1_sel:DWORD
	s_and_saveexec_b32 s21, s0
	s_cbranch_execz .LBB165_384
; %bb.377:                              ;   in Loop: Header=BB165_231 Depth=1
	v_mov_b32_e32 v7, v6
	v_mov_b32_e32 v20, v8
	v_cmp_ne_u16_sdwa s0, v65, v35 src0_sel:BYTE_1 src1_sel:DWORD
	v_mov_b32_e32 v19, v7
	s_and_saveexec_b32 s22, s0
	s_cbranch_execz .LBB165_383
; %bb.378:                              ;   in Loop: Header=BB165_231 Depth=1
	v_and_b32_sdwa v5, v36, v65 dst_sel:DWORD dst_unused:UNUSED_PAD src0_sel:DWORD src1_sel:BYTE_1
	v_mov_b32_e32 v9, v6
	v_mov_b32_e32 v20, v10
	s_mov_b32 s26, exec_lo
	v_and_b32_e32 v21, 0x7f, v5
	v_mov_b32_e32 v19, v9
	v_cmpx_ne_u32_e32 0x7f, v21
	s_cbranch_execz .LBB165_382
; %bb.379:                              ;   in Loop: Header=BB165_231 Depth=1
	v_and_b32_e32 v5, 7, v5
	v_lshrrev_b32_e32 v7, 3, v21
	s_mov_b32 s27, exec_lo
	v_cmpx_gt_u32_e32 8, v21
; %bb.380:                              ;   in Loop: Header=BB165_231 Depth=1
	v_ffbh_u32_e32 v7, v5
	v_min_u32_e32 v7, 32, v7
	v_subrev_nc_u32_e32 v9, 28, v7
	v_sub_nc_u32_e32 v7, 29, v7
	v_lshlrev_b64 v[19:20], v9, v[5:6]
	v_and_b32_e32 v5, 7, v19
; %bb.381:                              ;   in Loop: Header=BB165_231 Depth=1
	s_or_b32 exec_lo, exec_lo, s27
	v_lshlrev_b32_e32 v9, 16, v65
	v_lshlrev_b32_e32 v5, 20, v5
	v_lshl_add_u32 v7, v7, 23, 0x3c000000
	v_mov_b32_e32 v19, v6
	v_and_b32_e32 v9, 0x80000000, v9
	v_or3_b32 v20, v5, v9, v7
.LBB165_382:                            ;   in Loop: Header=BB165_231 Depth=1
	s_or_b32 exec_lo, exec_lo, s26
.LBB165_383:                            ;   in Loop: Header=BB165_231 Depth=1
	s_or_b32 exec_lo, exec_lo, s22
.LBB165_384:                            ;   in Loop: Header=BB165_231 Depth=1
	s_or_b32 exec_lo, exec_lo, s21
	v_mov_b32_e32 v23, 0
	v_mov_b32_e32 v21, 0
	v_and_b32_sdwa v5, v65, v39 dst_sel:DWORD dst_unused:UNUSED_PAD src0_sel:WORD_1 src1_sel:DWORD
	v_mov_b32_e32 v24, 0
	v_mov_b32_e32 v22, 0
	s_mov_b32 s21, exec_lo
	v_cmpx_ne_u16_e32 0, v5
	s_cbranch_execz .LBB165_392
; %bb.385:                              ;   in Loop: Header=BB165_231 Depth=1
	v_bfrev_b32_e32 v21, 1
	v_mov_b32_e32 v22, 0
	s_mov_b32 s22, exec_lo
	v_cmpx_ne_u16_e32 0x80, v5
	s_cbranch_execz .LBB165_391
; %bb.386:                              ;   in Loop: Header=BB165_231 Depth=1
	v_mov_b32_e32 v21, 0x7f800001
	v_bfe_u32 v9, v65, 16, 7
	v_mov_b32_e32 v22, 0
	s_mov_b32 s26, exec_lo
	v_cmpx_ne_u32_e32 0x7f, v9
	s_cbranch_execz .LBB165_390
; %bb.387:                              ;   in Loop: Header=BB165_231 Depth=1
	v_and_b32_sdwa v5, v65, v40 dst_sel:DWORD dst_unused:UNUSED_PAD src0_sel:WORD_1 src1_sel:DWORD
	v_lshrrev_b32_e32 v7, 3, v9
	s_mov_b32 s27, exec_lo
	v_cmpx_gt_u32_e32 8, v9
; %bb.388:                              ;   in Loop: Header=BB165_231 Depth=1
	v_ffbh_u32_e32 v7, v5
	v_min_u32_e32 v7, 32, v7
	v_subrev_nc_u32_e32 v9, 28, v7
	v_sub_nc_u32_e32 v7, 29, v7
	v_lshlrev_b64 v[21:22], v9, v[5:6]
	v_and_b32_e32 v5, 7, v21
; %bb.389:                              ;   in Loop: Header=BB165_231 Depth=1
	s_or_b32 exec_lo, exec_lo, s27
	v_lshlrev_b32_sdwa v9, v41, v65 dst_sel:DWORD dst_unused:UNUSED_PAD src0_sel:DWORD src1_sel:WORD_1
	v_lshlrev_b32_e32 v5, 20, v5
	v_lshl_add_u32 v7, v7, 23, 0x3c000000
	v_and_b32_e32 v9, 0x80000000, v9
	v_or3_b32 v5, v5, v9, v7
	v_mov_b32_e32 v22, v6
	v_mov_b32_e32 v21, v5
.LBB165_390:                            ;   in Loop: Header=BB165_231 Depth=1
	s_or_b32 exec_lo, exec_lo, s26
.LBB165_391:                            ;   in Loop: Header=BB165_231 Depth=1
	s_or_b32 exec_lo, exec_lo, s22
.LBB165_392:                            ;   in Loop: Header=BB165_231 Depth=1
	s_or_b32 exec_lo, exec_lo, s21
	s_mov_b32 s21, exec_lo
	v_cmpx_lt_u32_e32 0xffffff, v65
	s_cbranch_execz .LBB165_400
; %bb.393:                              ;   in Loop: Header=BB165_231 Depth=1
	v_mov_b32_e32 v7, v6
	v_mov_b32_e32 v24, v8
	v_cmp_ne_u32_sdwa s0, v65, v35 src0_sel:BYTE_3 src1_sel:DWORD
	v_mov_b32_e32 v23, v7
	s_and_saveexec_b32 s22, s0
	s_cbranch_execz .LBB165_399
; %bb.394:                              ;   in Loop: Header=BB165_231 Depth=1
	v_mov_b32_e32 v9, v6
	v_mov_b32_e32 v24, v10
	v_bfe_u32 v66, v65, 24, 7
	s_mov_b32 s26, exec_lo
	v_mov_b32_e32 v23, v9
	v_cmpx_ne_u32_e32 0x7f, v66
	s_cbranch_execz .LBB165_398
; %bb.395:                              ;   in Loop: Header=BB165_231 Depth=1
	v_and_b32_sdwa v5, v65, v40 dst_sel:DWORD dst_unused:UNUSED_PAD src0_sel:BYTE_3 src1_sel:DWORD
	v_lshrrev_b32_e32 v7, 3, v66
	s_mov_b32 s27, exec_lo
	v_cmpx_gt_u32_e32 8, v66
; %bb.396:                              ;   in Loop: Header=BB165_231 Depth=1
	v_ffbh_u32_e32 v7, v5
	v_min_u32_e32 v7, 32, v7
	v_subrev_nc_u32_e32 v9, 28, v7
	v_sub_nc_u32_e32 v7, 29, v7
	v_lshlrev_b64 v[23:24], v9, v[5:6]
	v_and_b32_e32 v5, 7, v23
; %bb.397:                              ;   in Loop: Header=BB165_231 Depth=1
	s_or_b32 exec_lo, exec_lo, s27
	v_lshlrev_b32_sdwa v9, v41, v65 dst_sel:DWORD dst_unused:UNUSED_PAD src0_sel:DWORD src1_sel:BYTE_3
	v_lshlrev_b32_e32 v5, 20, v5
	v_lshl_add_u32 v7, v7, 23, 0x3c000000
	v_mov_b32_e32 v23, v6
	v_and_b32_e32 v9, 0x80000000, v9
	v_or3_b32 v24, v5, v9, v7
.LBB165_398:                            ;   in Loop: Header=BB165_231 Depth=1
	s_or_b32 exec_lo, exec_lo, s26
.LBB165_399:                            ;   in Loop: Header=BB165_231 Depth=1
	s_or_b32 exec_lo, exec_lo, s22
.LBB165_400:                            ;   in Loop: Header=BB165_231 Depth=1
	s_or_b32 exec_lo, exec_lo, s21
	v_or_b32_e32 v5, v20, v18
	v_or_b32_e32 v7, v19, v17
	;; [unrolled: 1-line block ×4, first 2 shown]
	v_mul_f32_e32 v65, s18, v5
	v_mul_f32_e32 v66, s17, v7
	;; [unrolled: 1-line block ×4, first 2 shown]
	s_and_saveexec_b32 s21, vcc_lo
	s_cbranch_execz .LBB165_402
; %bb.401:                              ;   in Loop: Header=BB165_231 Depth=1
	v_cmp_gt_i32_e64 s0, s33, v49
	v_cndmask_b32_e64 v66, 0, v66, s0
	v_cmp_gt_i32_e64 s0, s33, v52
	v_cndmask_b32_e64 v65, 0, v65, s0
	;; [unrolled: 2-line block ×4, first 2 shown]
.LBB165_402:                            ;   in Loop: Header=BB165_231 Depth=1
	s_or_b32 exec_lo, exec_lo, s21
	global_load_dword v67, v[15:16], off offset:640
	v_mov_b32_e32 v17, 0
	v_mov_b32_e32 v15, 0
	;; [unrolled: 1-line block ×4, first 2 shown]
	s_waitcnt vmcnt(0)
	v_cmp_ne_u16_sdwa s0, v67, v6 src0_sel:BYTE_0 src1_sel:DWORD
	s_and_saveexec_b32 s21, s0
	s_cbranch_execz .LBB165_410
; %bb.403:                              ;   in Loop: Header=BB165_231 Depth=1
	v_bfrev_b32_e32 v15, 1
	v_mov_b32_e32 v16, 0
	v_cmp_ne_u16_sdwa s0, v67, v35 src0_sel:BYTE_0 src1_sel:DWORD
	s_and_saveexec_b32 s22, s0
	s_cbranch_execz .LBB165_409
; %bb.404:                              ;   in Loop: Header=BB165_231 Depth=1
	v_mov_b32_e32 v15, 0x7f800001
	v_and_b32_e32 v9, 0x7f, v67
	v_mov_b32_e32 v16, 0
	s_mov_b32 s26, exec_lo
	v_cmpx_ne_u32_e32 0x7f, v9
	s_cbranch_execz .LBB165_408
; %bb.405:                              ;   in Loop: Header=BB165_231 Depth=1
	v_and_b32_e32 v5, 7, v67
	v_lshrrev_b32_e32 v7, 3, v9
	s_mov_b32 s27, exec_lo
	v_cmpx_gt_u32_e32 8, v9
; %bb.406:                              ;   in Loop: Header=BB165_231 Depth=1
	v_ffbh_u32_e32 v7, v5
	v_min_u32_e32 v7, 32, v7
	v_subrev_nc_u32_e32 v9, 28, v7
	v_sub_nc_u32_e32 v7, 29, v7
	v_lshlrev_b64 v[15:16], v9, v[5:6]
	v_and_b32_e32 v5, 7, v15
; %bb.407:                              ;   in Loop: Header=BB165_231 Depth=1
	s_or_b32 exec_lo, exec_lo, s27
	v_lshlrev_b32_e32 v9, 24, v67
	v_lshlrev_b32_e32 v5, 20, v5
	v_lshl_add_u32 v7, v7, 23, 0x3c000000
	v_and_b32_e32 v9, 0x80000000, v9
	v_or3_b32 v5, v5, v9, v7
	v_mov_b32_e32 v16, v6
	v_mov_b32_e32 v15, v5
.LBB165_408:                            ;   in Loop: Header=BB165_231 Depth=1
	s_or_b32 exec_lo, exec_lo, s26
.LBB165_409:                            ;   in Loop: Header=BB165_231 Depth=1
	s_or_b32 exec_lo, exec_lo, s22
.LBB165_410:                            ;   in Loop: Header=BB165_231 Depth=1
	s_or_b32 exec_lo, exec_lo, s21
	v_cmp_ne_u16_sdwa s0, v67, v6 src0_sel:BYTE_1 src1_sel:DWORD
	s_and_saveexec_b32 s21, s0
	s_cbranch_execz .LBB165_418
; %bb.411:                              ;   in Loop: Header=BB165_231 Depth=1
	v_mov_b32_e32 v7, v6
	v_mov_b32_e32 v18, v8
	v_cmp_ne_u16_sdwa s0, v67, v35 src0_sel:BYTE_1 src1_sel:DWORD
	v_mov_b32_e32 v17, v7
	s_and_saveexec_b32 s22, s0
	s_cbranch_execz .LBB165_417
; %bb.412:                              ;   in Loop: Header=BB165_231 Depth=1
	v_and_b32_sdwa v5, v36, v67 dst_sel:DWORD dst_unused:UNUSED_PAD src0_sel:DWORD src1_sel:BYTE_1
	v_mov_b32_e32 v9, v6
	v_mov_b32_e32 v18, v10
	s_mov_b32 s26, exec_lo
	v_and_b32_e32 v19, 0x7f, v5
	v_mov_b32_e32 v17, v9
	v_cmpx_ne_u32_e32 0x7f, v19
	s_cbranch_execz .LBB165_416
; %bb.413:                              ;   in Loop: Header=BB165_231 Depth=1
	v_and_b32_e32 v5, 7, v5
	v_lshrrev_b32_e32 v7, 3, v19
	s_mov_b32 s27, exec_lo
	v_cmpx_gt_u32_e32 8, v19
; %bb.414:                              ;   in Loop: Header=BB165_231 Depth=1
	v_ffbh_u32_e32 v7, v5
	v_min_u32_e32 v7, 32, v7
	v_subrev_nc_u32_e32 v9, 28, v7
	v_sub_nc_u32_e32 v7, 29, v7
	v_lshlrev_b64 v[17:18], v9, v[5:6]
	v_and_b32_e32 v5, 7, v17
; %bb.415:                              ;   in Loop: Header=BB165_231 Depth=1
	s_or_b32 exec_lo, exec_lo, s27
	v_lshlrev_b32_e32 v9, 16, v67
	v_lshlrev_b32_e32 v5, 20, v5
	v_lshl_add_u32 v7, v7, 23, 0x3c000000
	v_mov_b32_e32 v17, v6
	v_and_b32_e32 v9, 0x80000000, v9
	v_or3_b32 v18, v5, v9, v7
.LBB165_416:                            ;   in Loop: Header=BB165_231 Depth=1
	s_or_b32 exec_lo, exec_lo, s26
.LBB165_417:                            ;   in Loop: Header=BB165_231 Depth=1
	s_or_b32 exec_lo, exec_lo, s22
.LBB165_418:                            ;   in Loop: Header=BB165_231 Depth=1
	s_or_b32 exec_lo, exec_lo, s21
	v_mov_b32_e32 v21, 0
	v_mov_b32_e32 v19, 0
	v_and_b32_sdwa v5, v67, v39 dst_sel:DWORD dst_unused:UNUSED_PAD src0_sel:WORD_1 src1_sel:DWORD
	v_mov_b32_e32 v22, 0
	v_mov_b32_e32 v20, 0
	s_mov_b32 s21, exec_lo
	v_cmpx_ne_u16_e32 0, v5
	s_cbranch_execz .LBB165_426
; %bb.419:                              ;   in Loop: Header=BB165_231 Depth=1
	v_bfrev_b32_e32 v19, 1
	v_mov_b32_e32 v20, 0
	s_mov_b32 s22, exec_lo
	v_cmpx_ne_u16_e32 0x80, v5
	s_cbranch_execz .LBB165_425
; %bb.420:                              ;   in Loop: Header=BB165_231 Depth=1
	v_mov_b32_e32 v19, 0x7f800001
	v_bfe_u32 v9, v67, 16, 7
	v_mov_b32_e32 v20, 0
	s_mov_b32 s26, exec_lo
	v_cmpx_ne_u32_e32 0x7f, v9
	s_cbranch_execz .LBB165_424
; %bb.421:                              ;   in Loop: Header=BB165_231 Depth=1
	v_and_b32_sdwa v5, v67, v40 dst_sel:DWORD dst_unused:UNUSED_PAD src0_sel:WORD_1 src1_sel:DWORD
	v_lshrrev_b32_e32 v7, 3, v9
	s_mov_b32 s27, exec_lo
	v_cmpx_gt_u32_e32 8, v9
; %bb.422:                              ;   in Loop: Header=BB165_231 Depth=1
	v_ffbh_u32_e32 v7, v5
	v_min_u32_e32 v7, 32, v7
	v_subrev_nc_u32_e32 v9, 28, v7
	v_sub_nc_u32_e32 v7, 29, v7
	v_lshlrev_b64 v[19:20], v9, v[5:6]
	v_and_b32_e32 v5, 7, v19
; %bb.423:                              ;   in Loop: Header=BB165_231 Depth=1
	s_or_b32 exec_lo, exec_lo, s27
	v_lshlrev_b32_sdwa v9, v41, v67 dst_sel:DWORD dst_unused:UNUSED_PAD src0_sel:DWORD src1_sel:WORD_1
	v_lshlrev_b32_e32 v5, 20, v5
	v_lshl_add_u32 v7, v7, 23, 0x3c000000
	v_and_b32_e32 v9, 0x80000000, v9
	v_or3_b32 v5, v5, v9, v7
	v_mov_b32_e32 v20, v6
	v_mov_b32_e32 v19, v5
.LBB165_424:                            ;   in Loop: Header=BB165_231 Depth=1
	s_or_b32 exec_lo, exec_lo, s26
.LBB165_425:                            ;   in Loop: Header=BB165_231 Depth=1
	s_or_b32 exec_lo, exec_lo, s22
.LBB165_426:                            ;   in Loop: Header=BB165_231 Depth=1
	s_or_b32 exec_lo, exec_lo, s21
	s_mov_b32 s21, exec_lo
	v_cmpx_lt_u32_e32 0xffffff, v67
	s_cbranch_execz .LBB165_434
; %bb.427:                              ;   in Loop: Header=BB165_231 Depth=1
	v_mov_b32_e32 v7, v6
	v_mov_b32_e32 v22, v8
	v_cmp_ne_u32_sdwa s0, v67, v35 src0_sel:BYTE_3 src1_sel:DWORD
	v_mov_b32_e32 v21, v7
	s_and_saveexec_b32 s22, s0
	s_cbranch_execz .LBB165_433
; %bb.428:                              ;   in Loop: Header=BB165_231 Depth=1
	v_mov_b32_e32 v9, v6
	v_mov_b32_e32 v22, v10
	v_bfe_u32 v68, v67, 24, 7
	s_mov_b32 s26, exec_lo
	v_mov_b32_e32 v21, v9
	v_cmpx_ne_u32_e32 0x7f, v68
	s_cbranch_execz .LBB165_432
; %bb.429:                              ;   in Loop: Header=BB165_231 Depth=1
	v_and_b32_sdwa v5, v67, v40 dst_sel:DWORD dst_unused:UNUSED_PAD src0_sel:BYTE_3 src1_sel:DWORD
	v_lshrrev_b32_e32 v7, 3, v68
	s_mov_b32 s27, exec_lo
	v_cmpx_gt_u32_e32 8, v68
; %bb.430:                              ;   in Loop: Header=BB165_231 Depth=1
	v_ffbh_u32_e32 v7, v5
	v_min_u32_e32 v7, 32, v7
	v_subrev_nc_u32_e32 v9, 28, v7
	v_sub_nc_u32_e32 v7, 29, v7
	v_lshlrev_b64 v[21:22], v9, v[5:6]
	v_and_b32_e32 v5, 7, v21
; %bb.431:                              ;   in Loop: Header=BB165_231 Depth=1
	s_or_b32 exec_lo, exec_lo, s27
	v_lshlrev_b32_sdwa v9, v41, v67 dst_sel:DWORD dst_unused:UNUSED_PAD src0_sel:DWORD src1_sel:BYTE_3
	v_lshlrev_b32_e32 v5, 20, v5
	v_lshl_add_u32 v7, v7, 23, 0x3c000000
	v_mov_b32_e32 v21, v6
	v_and_b32_e32 v9, 0x80000000, v9
	v_or3_b32 v22, v5, v9, v7
.LBB165_432:                            ;   in Loop: Header=BB165_231 Depth=1
	s_or_b32 exec_lo, exec_lo, s26
.LBB165_433:                            ;   in Loop: Header=BB165_231 Depth=1
	s_or_b32 exec_lo, exec_lo, s22
.LBB165_434:                            ;   in Loop: Header=BB165_231 Depth=1
	s_or_b32 exec_lo, exec_lo, s21
	v_or_b32_e32 v5, v18, v16
	v_or_b32_e32 v7, v17, v15
	;; [unrolled: 1-line block ×4, first 2 shown]
	v_mul_f32_e32 v9, s18, v5
	v_mul_f32_e32 v15, s17, v7
	;; [unrolled: 1-line block ×4, first 2 shown]
	s_and_saveexec_b32 s0, vcc_lo
	s_cbranch_execz .LBB165_229
; %bb.435:                              ;   in Loop: Header=BB165_231 Depth=1
	v_cmp_gt_i32_e32 vcc_lo, s33, v49
	v_cndmask_b32_e32 v15, 0, v15, vcc_lo
	v_cmp_gt_i32_e32 vcc_lo, s33, v52
	v_cndmask_b32_e32 v9, 0, v9, vcc_lo
	;; [unrolled: 2-line block ×4, first 2 shown]
	s_branch .LBB165_229
.LBB165_436:
	s_or_b32 exec_lo, exec_lo, s5
.LBB165_437:
	s_or_b32 exec_lo, exec_lo, s1
	ds_bpermute_b32 v1, v26, v37
	ds_bpermute_b32 v2, v26, v32
	;; [unrolled: 1-line block ×6, first 2 shown]
	v_lshrrev_b32_e32 v7, 1, v25
	v_mul_u32_u24_e32 v9, 0x180, v33
	v_and_b32_e32 v10, 0x3c1, v0
	s_mov_b32 s0, exec_lo
	s_waitcnt lgkmcnt(0)
	v_lshl_add_u32 v8, v7, 2, 0x1a0
	s_barrier
	buffer_gl0_inv
	v_add_f32_e32 v1, v37, v1
	v_add_f32_e32 v2, v32, v2
	;; [unrolled: 1-line block ×6, first 2 shown]
	v_cmpx_eq_u32_e32 64, v10
	s_cbranch_execz .LBB165_439
; %bb.438:
	v_add_nc_u32_e32 v10, v8, v9
	v_add_nc_u32_e32 v11, 0xfffffd00, v10
	;; [unrolled: 1-line block ×7, first 2 shown]
	ds_write_b32 v11, v1
	ds_write_b32 v12, v2
	;; [unrolled: 1-line block ×6, first 2 shown]
.LBB165_439:
	s_or_b32 exec_lo, exec_lo, s0
	v_lshlrev_b32_e32 v7, 2, v7
	s_mov_b32 s1, exec_lo
	v_cmp_eq_u32_e32 vcc_lo, 0, v27
	s_waitcnt lgkmcnt(0)
	s_barrier
	v_add3_u32 v7, 0x1a0, v9, v7
	buffer_gl0_inv
	v_cmpx_gt_u32_e32 64, v0
	s_cbranch_execz .LBB165_448
; %bb.440:
	s_and_saveexec_b32 s0, vcc_lo
	s_cbranch_execnz .LBB165_462
; %bb.441:
	s_or_b32 exec_lo, exec_lo, s0
	s_and_saveexec_b32 s0, vcc_lo
	s_cbranch_execnz .LBB165_463
.LBB165_442:
	s_or_b32 exec_lo, exec_lo, s0
	s_and_saveexec_b32 s0, vcc_lo
	s_cbranch_execnz .LBB165_464
.LBB165_443:
	s_or_b32 exec_lo, exec_lo, s0
	s_and_saveexec_b32 s0, vcc_lo
	s_cbranch_execnz .LBB165_465
.LBB165_444:
	s_or_b32 exec_lo, exec_lo, s0
	s_and_saveexec_b32 s0, vcc_lo
	s_cbranch_execnz .LBB165_466
.LBB165_445:
	s_or_b32 exec_lo, exec_lo, s0
	s_and_saveexec_b32 s0, vcc_lo
	s_cbranch_execz .LBB165_447
.LBB165_446:
	ds_read_b32 v9, v7 offset:320
	s_waitcnt lgkmcnt(0)
	v_add_f32_e32 v6, v6, v9
.LBB165_447:
	s_or_b32 exec_lo, exec_lo, s0
.LBB165_448:
	s_or_b32 exec_lo, exec_lo, s1
	v_and_b32_e32 v9, 0x3e1, v0
	s_mov_b32 s1, exec_lo
	s_barrier
	buffer_gl0_inv
	v_cmpx_eq_u32_e32 32, v9
	s_cbranch_execz .LBB165_450
; %bb.449:
	ds_write2_b32 v8, v1, v2 offset1:16
	ds_write2_b32 v8, v3, v4 offset0:32 offset1:48
	ds_write2_b32 v8, v5, v6 offset0:64 offset1:80
.LBB165_450:
	s_or_b32 exec_lo, exec_lo, s1
	s_mov_b32 s1, exec_lo
	s_waitcnt lgkmcnt(0)
	s_barrier
	buffer_gl0_inv
	v_cmpx_gt_u32_e32 32, v0
	s_cbranch_execz .LBB165_459
; %bb.451:
	s_and_saveexec_b32 s0, vcc_lo
	s_cbranch_execnz .LBB165_467
; %bb.452:
	s_or_b32 exec_lo, exec_lo, s0
	s_and_saveexec_b32 s0, vcc_lo
	s_cbranch_execnz .LBB165_468
.LBB165_453:
	s_or_b32 exec_lo, exec_lo, s0
	s_and_saveexec_b32 s0, vcc_lo
	s_cbranch_execnz .LBB165_469
.LBB165_454:
	s_or_b32 exec_lo, exec_lo, s0
	s_and_saveexec_b32 s0, vcc_lo
	s_cbranch_execnz .LBB165_470
.LBB165_455:
	s_or_b32 exec_lo, exec_lo, s0
	s_and_saveexec_b32 s0, vcc_lo
	s_cbranch_execnz .LBB165_471
.LBB165_456:
	s_or_b32 exec_lo, exec_lo, s0
	s_and_saveexec_b32 s0, vcc_lo
	s_cbranch_execz .LBB165_458
.LBB165_457:
	ds_read_b32 v7, v7 offset:320
	s_waitcnt lgkmcnt(0)
	v_add_f32_e32 v6, v6, v7
.LBB165_458:
	s_or_b32 exec_lo, exec_lo, s0
.LBB165_459:
	s_or_b32 exec_lo, exec_lo, s1
	s_barrier
	buffer_gl0_inv
	s_mov_b32 s0, exec_lo
	v_cmpx_eq_u32_e32 0, v9
	s_cbranch_execz .LBB165_461
; %bb.460:
	s_mul_i32 s0, s10, s11
	s_mul_i32 s2, s11, s24
	;; [unrolled: 1-line block ×3, first 2 shown]
	v_lshlrev_b32_e32 v0, 1, v0
	s_mulk_i32 s0, 0x60
	s_ashr_i32 s1, s0, 31
	s_lshl_b64 s[0:1], s[0:1], 2
	s_add_u32 s4, s6, s0
	s_addc_u32 s5, s7, s1
	s_ashr_i32 s3, s2, 31
	s_lshl_b64 s[0:1], s[2:3], 2
	s_mul_i32 s2, s8, 0x60
	s_add_u32 s4, s4, s0
	s_addc_u32 s5, s5, s1
	s_ashr_i32 s3, s2, 31
	s_lshl_b64 s[0:1], s[2:3], 2
	s_add_u32 s0, s4, s0
	s_addc_u32 s1, s5, s1
	global_store_dword v0, v1, s[0:1]
	global_store_dword v0, v2, s[0:1] offset:64
	global_store_dword v0, v3, s[0:1] offset:128
	;; [unrolled: 1-line block ×5, first 2 shown]
.LBB165_461:
	s_endpgm
.LBB165_462:
	ds_read_b32 v9, v7
	s_waitcnt lgkmcnt(0)
	v_add_f32_e32 v1, v1, v9
	s_or_b32 exec_lo, exec_lo, s0
	s_and_saveexec_b32 s0, vcc_lo
	s_cbranch_execz .LBB165_442
.LBB165_463:
	ds_read_b32 v9, v7 offset:64
	s_waitcnt lgkmcnt(0)
	v_add_f32_e32 v2, v2, v9
	s_or_b32 exec_lo, exec_lo, s0
	s_and_saveexec_b32 s0, vcc_lo
	s_cbranch_execz .LBB165_443
.LBB165_464:
	ds_read_b32 v9, v7 offset:128
	s_waitcnt lgkmcnt(0)
	v_add_f32_e32 v3, v3, v9
	s_or_b32 exec_lo, exec_lo, s0
	s_and_saveexec_b32 s0, vcc_lo
	s_cbranch_execz .LBB165_444
.LBB165_465:
	ds_read_b32 v9, v7 offset:192
	s_waitcnt lgkmcnt(0)
	v_add_f32_e32 v4, v4, v9
	s_or_b32 exec_lo, exec_lo, s0
	s_and_saveexec_b32 s0, vcc_lo
	s_cbranch_execz .LBB165_445
.LBB165_466:
	ds_read_b32 v9, v7 offset:256
	s_waitcnt lgkmcnt(0)
	v_add_f32_e32 v5, v5, v9
	s_or_b32 exec_lo, exec_lo, s0
	s_and_saveexec_b32 s0, vcc_lo
	s_cbranch_execnz .LBB165_446
	s_branch .LBB165_447
.LBB165_467:
	ds_read_b32 v8, v7
	s_waitcnt lgkmcnt(0)
	v_add_f32_e32 v1, v1, v8
	s_or_b32 exec_lo, exec_lo, s0
	s_and_saveexec_b32 s0, vcc_lo
	s_cbranch_execz .LBB165_453
.LBB165_468:
	ds_read_b32 v8, v7 offset:64
	s_waitcnt lgkmcnt(0)
	v_add_f32_e32 v2, v2, v8
	s_or_b32 exec_lo, exec_lo, s0
	s_and_saveexec_b32 s0, vcc_lo
	s_cbranch_execz .LBB165_454
.LBB165_469:
	ds_read_b32 v8, v7 offset:128
	s_waitcnt lgkmcnt(0)
	v_add_f32_e32 v3, v3, v8
	s_or_b32 exec_lo, exec_lo, s0
	s_and_saveexec_b32 s0, vcc_lo
	s_cbranch_execz .LBB165_455
.LBB165_470:
	ds_read_b32 v8, v7 offset:192
	s_waitcnt lgkmcnt(0)
	v_add_f32_e32 v4, v4, v8
	s_or_b32 exec_lo, exec_lo, s0
	s_and_saveexec_b32 s0, vcc_lo
	s_cbranch_execz .LBB165_456
.LBB165_471:
	ds_read_b32 v8, v7 offset:256
	s_waitcnt lgkmcnt(0)
	v_add_f32_e32 v5, v5, v8
	s_or_b32 exec_lo, exec_lo, s0
	s_and_saveexec_b32 s0, vcc_lo
	s_cbranch_execnz .LBB165_457
	s_branch .LBB165_458
	.section	.rodata,"a",@progbits
	.p2align	6, 0x0
	.amdhsa_kernel _ZN4vllm25paged_attention_v1_kernelIfhLi96ELi8ELi128ELNS_18Fp8KVCacheDataTypeE1ELb1EEEvPT_PKS2_PKT0_S8_ifPKiSA_iPKfiiiSC_SC_iiiii
		.amdhsa_group_segment_fixed_size 416
		.amdhsa_private_segment_fixed_size 0
		.amdhsa_kernarg_size 384
		.amdhsa_user_sgpr_count 6
		.amdhsa_user_sgpr_private_segment_buffer 1
		.amdhsa_user_sgpr_dispatch_ptr 0
		.amdhsa_user_sgpr_queue_ptr 0
		.amdhsa_user_sgpr_kernarg_segment_ptr 1
		.amdhsa_user_sgpr_dispatch_id 0
		.amdhsa_user_sgpr_flat_scratch_init 0
		.amdhsa_user_sgpr_private_segment_size 0
		.amdhsa_wavefront_size32 1
		.amdhsa_uses_dynamic_stack 0
		.amdhsa_system_sgpr_private_segment_wavefront_offset 0
		.amdhsa_system_sgpr_workgroup_id_x 1
		.amdhsa_system_sgpr_workgroup_id_y 1
		.amdhsa_system_sgpr_workgroup_id_z 1
		.amdhsa_system_sgpr_workgroup_info 0
		.amdhsa_system_vgpr_workitem_id 0
		.amdhsa_next_free_vgpr 76
		.amdhsa_next_free_sgpr 45
		.amdhsa_reserve_vcc 1
		.amdhsa_reserve_flat_scratch 0
		.amdhsa_float_round_mode_32 0
		.amdhsa_float_round_mode_16_64 0
		.amdhsa_float_denorm_mode_32 3
		.amdhsa_float_denorm_mode_16_64 3
		.amdhsa_dx10_clamp 1
		.amdhsa_ieee_mode 1
		.amdhsa_fp16_overflow 0
		.amdhsa_workgroup_processor_mode 1
		.amdhsa_memory_ordered 1
		.amdhsa_forward_progress 1
		.amdhsa_shared_vgpr_count 0
		.amdhsa_exception_fp_ieee_invalid_op 0
		.amdhsa_exception_fp_denorm_src 0
		.amdhsa_exception_fp_ieee_div_zero 0
		.amdhsa_exception_fp_ieee_overflow 0
		.amdhsa_exception_fp_ieee_underflow 0
		.amdhsa_exception_fp_ieee_inexact 0
		.amdhsa_exception_int_div_zero 0
	.end_amdhsa_kernel
	.section	.text._ZN4vllm25paged_attention_v1_kernelIfhLi96ELi8ELi128ELNS_18Fp8KVCacheDataTypeE1ELb1EEEvPT_PKS2_PKT0_S8_ifPKiSA_iPKfiiiSC_SC_iiiii,"axG",@progbits,_ZN4vllm25paged_attention_v1_kernelIfhLi96ELi8ELi128ELNS_18Fp8KVCacheDataTypeE1ELb1EEEvPT_PKS2_PKT0_S8_ifPKiSA_iPKfiiiSC_SC_iiiii,comdat
.Lfunc_end165:
	.size	_ZN4vllm25paged_attention_v1_kernelIfhLi96ELi8ELi128ELNS_18Fp8KVCacheDataTypeE1ELb1EEEvPT_PKS2_PKT0_S8_ifPKiSA_iPKfiiiSC_SC_iiiii, .Lfunc_end165-_ZN4vllm25paged_attention_v1_kernelIfhLi96ELi8ELi128ELNS_18Fp8KVCacheDataTypeE1ELb1EEEvPT_PKS2_PKT0_S8_ifPKiSA_iPKfiiiSC_SC_iiiii
                                        ; -- End function
	.set _ZN4vllm25paged_attention_v1_kernelIfhLi96ELi8ELi128ELNS_18Fp8KVCacheDataTypeE1ELb1EEEvPT_PKS2_PKT0_S8_ifPKiSA_iPKfiiiSC_SC_iiiii.num_vgpr, 76
	.set _ZN4vllm25paged_attention_v1_kernelIfhLi96ELi8ELi128ELNS_18Fp8KVCacheDataTypeE1ELb1EEEvPT_PKS2_PKT0_S8_ifPKiSA_iPKfiiiSC_SC_iiiii.num_agpr, 0
	.set _ZN4vllm25paged_attention_v1_kernelIfhLi96ELi8ELi128ELNS_18Fp8KVCacheDataTypeE1ELb1EEEvPT_PKS2_PKT0_S8_ifPKiSA_iPKfiiiSC_SC_iiiii.numbered_sgpr, 45
	.set _ZN4vllm25paged_attention_v1_kernelIfhLi96ELi8ELi128ELNS_18Fp8KVCacheDataTypeE1ELb1EEEvPT_PKS2_PKT0_S8_ifPKiSA_iPKfiiiSC_SC_iiiii.num_named_barrier, 0
	.set _ZN4vllm25paged_attention_v1_kernelIfhLi96ELi8ELi128ELNS_18Fp8KVCacheDataTypeE1ELb1EEEvPT_PKS2_PKT0_S8_ifPKiSA_iPKfiiiSC_SC_iiiii.private_seg_size, 0
	.set _ZN4vllm25paged_attention_v1_kernelIfhLi96ELi8ELi128ELNS_18Fp8KVCacheDataTypeE1ELb1EEEvPT_PKS2_PKT0_S8_ifPKiSA_iPKfiiiSC_SC_iiiii.uses_vcc, 1
	.set _ZN4vllm25paged_attention_v1_kernelIfhLi96ELi8ELi128ELNS_18Fp8KVCacheDataTypeE1ELb1EEEvPT_PKS2_PKT0_S8_ifPKiSA_iPKfiiiSC_SC_iiiii.uses_flat_scratch, 0
	.set _ZN4vllm25paged_attention_v1_kernelIfhLi96ELi8ELi128ELNS_18Fp8KVCacheDataTypeE1ELb1EEEvPT_PKS2_PKT0_S8_ifPKiSA_iPKfiiiSC_SC_iiiii.has_dyn_sized_stack, 0
	.set _ZN4vllm25paged_attention_v1_kernelIfhLi96ELi8ELi128ELNS_18Fp8KVCacheDataTypeE1ELb1EEEvPT_PKS2_PKT0_S8_ifPKiSA_iPKfiiiSC_SC_iiiii.has_recursion, 0
	.set _ZN4vllm25paged_attention_v1_kernelIfhLi96ELi8ELi128ELNS_18Fp8KVCacheDataTypeE1ELb1EEEvPT_PKS2_PKT0_S8_ifPKiSA_iPKfiiiSC_SC_iiiii.has_indirect_call, 0
	.section	.AMDGPU.csdata,"",@progbits
; Kernel info:
; codeLenInByte = 14004
; TotalNumSgprs: 47
; NumVgprs: 76
; ScratchSize: 0
; MemoryBound: 0
; FloatMode: 240
; IeeeMode: 1
; LDSByteSize: 416 bytes/workgroup (compile time only)
; SGPRBlocks: 0
; VGPRBlocks: 9
; NumSGPRsForWavesPerEU: 47
; NumVGPRsForWavesPerEU: 76
; Occupancy: 12
; WaveLimiterHint : 1
; COMPUTE_PGM_RSRC2:SCRATCH_EN: 0
; COMPUTE_PGM_RSRC2:USER_SGPR: 6
; COMPUTE_PGM_RSRC2:TRAP_HANDLER: 0
; COMPUTE_PGM_RSRC2:TGID_X_EN: 1
; COMPUTE_PGM_RSRC2:TGID_Y_EN: 1
; COMPUTE_PGM_RSRC2:TGID_Z_EN: 1
; COMPUTE_PGM_RSRC2:TIDIG_COMP_CNT: 0
	.section	.text._ZN4vllm25paged_attention_v1_kernelIfhLi112ELi8ELi128ELNS_18Fp8KVCacheDataTypeE1ELb1EEEvPT_PKS2_PKT0_S8_ifPKiSA_iPKfiiiSC_SC_iiiii,"axG",@progbits,_ZN4vllm25paged_attention_v1_kernelIfhLi112ELi8ELi128ELNS_18Fp8KVCacheDataTypeE1ELb1EEEvPT_PKS2_PKT0_S8_ifPKiSA_iPKfiiiSC_SC_iiiii,comdat
	.protected	_ZN4vllm25paged_attention_v1_kernelIfhLi112ELi8ELi128ELNS_18Fp8KVCacheDataTypeE1ELb1EEEvPT_PKS2_PKT0_S8_ifPKiSA_iPKfiiiSC_SC_iiiii ; -- Begin function _ZN4vllm25paged_attention_v1_kernelIfhLi112ELi8ELi128ELNS_18Fp8KVCacheDataTypeE1ELb1EEEvPT_PKS2_PKT0_S8_ifPKiSA_iPKfiiiSC_SC_iiiii
	.globl	_ZN4vllm25paged_attention_v1_kernelIfhLi112ELi8ELi128ELNS_18Fp8KVCacheDataTypeE1ELb1EEEvPT_PKS2_PKT0_S8_ifPKiSA_iPKfiiiSC_SC_iiiii
	.p2align	8
	.type	_ZN4vllm25paged_attention_v1_kernelIfhLi112ELi8ELi128ELNS_18Fp8KVCacheDataTypeE1ELb1EEEvPT_PKS2_PKT0_S8_ifPKiSA_iPKfiiiSC_SC_iiiii,@function
_ZN4vllm25paged_attention_v1_kernelIfhLi112ELi8ELi128ELNS_18Fp8KVCacheDataTypeE1ELb1EEEvPT_PKS2_PKT0_S8_ifPKiSA_iPKfiiiSC_SC_iiiii: ; @_ZN4vllm25paged_attention_v1_kernelIfhLi112ELi8ELi128ELNS_18Fp8KVCacheDataTypeE1ELb1EEEvPT_PKS2_PKT0_S8_ifPKiSA_iPKfiiiSC_SC_iiiii
; %bb.0:
	s_clause 0x2
	s_load_dword s9, s[4:5], 0x80
	s_load_dwordx2 s[0:1], s[4:5], 0x30
	s_load_dwordx2 s[34:35], s[4:5], 0x20
	s_mov_b32 s10, s7
	s_ashr_i32 s11, s7, 31
	s_mov_b32 s36, 0
	s_lshl_b64 s[2:3], s[10:11], 2
	s_waitcnt lgkmcnt(0)
	s_add_u32 s0, s0, s2
	s_addc_u32 s1, s1, s3
	s_abs_i32 s2, s34
	s_abs_i32 s11, s9
	v_cvt_f32_u32_e32 v1, s2
	s_sub_i32 s7, 0, s2
	v_rcp_iflag_f32_e32 v1, v1
	v_mul_f32_e32 v1, 0x4f7ffffe, v1
	v_cvt_u32_f32_e32 v1, v1
	v_readfirstlane_b32 s3, v1
	s_mul_i32 s7, s7, s3
	s_mul_hi_u32 s7, s3, s7
	s_add_i32 s3, s3, s7
	s_xor_b32 s7, s9, s34
	s_mul_hi_u32 s3, s11, s3
	s_ashr_i32 s7, s7, 31
	s_mul_i32 s12, s3, s2
	s_sub_i32 s11, s11, s12
	s_add_i32 s12, s3, 1
	s_sub_i32 s13, s11, s2
	s_cmp_ge_u32 s11, s2
	s_cselect_b32 s3, s12, s3
	s_cselect_b32 s11, s13, s11
	s_add_i32 s12, s3, 1
	s_cmp_ge_u32 s11, s2
	s_cselect_b32 s2, s12, s3
	s_xor_b32 s2, s2, s7
	s_sub_i32 s14, s2, s7
	s_load_dwordx2 s[2:3], s[4:5], 0x40
	s_abs_i32 s11, s14
	v_cvt_f32_u32_e32 v1, s11
	s_sub_i32 s12, 0, s11
	v_rcp_iflag_f32_e32 v1, v1
	v_mul_f32_e32 v1, 0x4f7ffffe, v1
	v_cvt_u32_f32_e32 v1, v1
	v_readfirstlane_b32 s7, v1
	s_mul_i32 s12, s12, s7
	s_mul_hi_u32 s13, s7, s12
	s_abs_i32 s12, s6
	s_add_i32 s7, s7, s13
	s_waitcnt lgkmcnt(0)
	s_cmp_eq_u64 s[2:3], 0
	s_mul_hi_u32 s13, s12, s7
	s_cbranch_scc1 .LBB166_2
; %bb.1:
	s_ashr_i32 s7, s6, 31
	s_lshl_b64 s[16:17], s[6:7], 2
	s_add_u32 s2, s2, s16
	s_addc_u32 s3, s3, s17
	s_load_dword s36, s[2:3], 0x0
.LBB166_2:
	s_load_dword s33, s[0:1], 0x0
	s_load_dwordx4 s[16:19], s[4:5], 0x48
	v_and_b32_e32 v1, 3, v0
	v_lshlrev_b32_e32 v39, 2, v0
	s_ashr_i32 s0, s6, 31
	s_ashr_i32 s1, s14, 31
	s_mul_i32 s24, s6, 0x70
	s_mov_b32 s2, exec_lo
	v_cmpx_gt_u32_e32 0x70, v0
	s_cbranch_execz .LBB166_4
; %bb.3:
	s_load_dwordx2 s[14:15], s[4:5], 0x8
	s_waitcnt lgkmcnt(0)
	s_mul_i32 s20, s16, s10
	v_and_b32_e32 v3, 0x3fc, v0
	s_ashr_i32 s21, s20, 31
	s_lshl_b64 s[20:21], s[20:21], 2
	v_mad_u32_u24 v3, 0x70, v1, v3
	s_add_u32 s3, s14, s20
	s_addc_u32 s7, s15, s21
	s_ashr_i32 s25, s24, 31
	s_lshl_b64 s[14:15], s[24:25], 2
	s_add_u32 s14, s3, s14
	s_addc_u32 s15, s7, s15
	global_load_dword v2, v39, s[14:15]
	s_waitcnt vmcnt(0)
	ds_write_b32 v3, v2
.LBB166_4:
	s_or_b32 exec_lo, exec_lo, s2
	s_load_dwordx4 s[20:23], s[4:5], 0x68
	s_mul_i32 s2, s13, s11
	s_xor_b32 s1, s0, s1
	s_sub_i32 s0, s12, s2
	s_add_i32 s2, s13, 1
	s_sub_i32 s3, s0, s11
	s_cmp_ge_u32 s0, s11
	s_mov_b32 s12, -1
	s_cselect_b32 s2, s2, s13
	s_cselect_b32 s0, s3, s0
	s_add_i32 s3, s2, 1
	s_cmp_ge_u32 s0, s11
	s_load_dword s0, s[4:5], 0x78
	s_cselect_b32 s2, s3, s2
	s_waitcnt lgkmcnt(0)
	s_add_i32 s7, s33, -1
	s_xor_b32 s2, s2, s1
	s_abs_i32 s3, s7
	s_sub_i32 s1, s2, s1
	s_barrier
	s_abs_i32 s16, s23
	buffer_gl0_inv
	v_cvt_f32_u32_e32 v2, s16
	s_sub_i32 s2, 0, s16
                                        ; implicit-def: $sgpr25
	v_rcp_iflag_f32_e32 v2, v2
	v_mul_f32_e32 v2, 0x4f7ffffe, v2
	v_cvt_u32_f32_e32 v2, v2
	v_readfirstlane_b32 s19, v2
	s_mul_i32 s2, s2, s19
	s_mul_hi_u32 s2, s19, s2
	s_add_i32 s19, s19, s2
	s_cmp_lt_i32 s0, 0
	s_mul_hi_u32 s2, s3, s19
	s_cbranch_scc0 .LBB166_6
; %bb.5:
	s_mul_i32 s11, s20, s34
	s_mov_b32 s12, 0
	s_add_i32 s11, s1, s11
	s_mul_i32 s11, s11, s0
	s_sub_i32 s25, 1, s11
.LBB166_6:
	s_load_dwordx2 s[26:27], s[4:5], 0x28
	s_ashr_i32 s11, s7, 31
	s_andn2_b32 vcc_lo, exec_lo, s12
	s_ashr_i32 s23, s23, 31
	s_cbranch_vccnz .LBB166_8
; %bb.7:
	s_mul_i32 s7, s9, s20
	s_add_i32 s6, s7, s6
	s_mul_i32 s0, s6, s0
	s_add_i32 s25, s0, 1
.LBB166_8:
	s_clause 0x2
	s_load_dword s0, s[4:5], 0x38
	s_load_dwordx2 s[6:7], s[4:5], 0x0
	s_load_dwordx2 s[30:31], s[4:5], 0x18
	s_xor_b32 s34, s11, s23
	s_mul_i32 s11, s2, s16
	s_add_i32 s20, s2, 1
	s_sub_i32 s3, s3, s11
	s_clause 0x1
	s_load_dword s11, s[4:5], 0x88
	s_load_dwordx4 s[12:15], s[4:5], 0x58
	v_lshrrev_b32_e32 v37, 5, v0
	v_mov_b32_e32 v43, 0xff7fffff
	v_lshrrev_b32_e32 v40, 3, v0
	v_mbcnt_lo_u32_b32 v41, -1, 0
	s_mul_i32 s18, s1, s18
	v_lshlrev_b32_e32 v38, 3, v37
	s_waitcnt lgkmcnt(0)
	s_mul_i32 s28, s0, s10
	s_sub_i32 s0, s3, s16
	s_ashr_i32 s29, s28, 31
	s_cmp_ge_u32 s3, s16
	s_cselect_b32 s2, s20, s2
	s_cselect_b32 s0, s0, s3
	s_add_i32 s3, s2, 1
	s_cmp_ge_u32 s0, s16
	s_cselect_b32 s0, s3, s2
	s_add_i32 s2, s33, 7
	s_ashr_i32 s3, s2, 31
	s_lshr_b32 s3, s3, 29
	s_add_i32 s2, s2, s3
	s_ashr_i32 s20, s2, 3
	s_xor_b32 s2, s0, s34
	v_cmp_gt_i32_e64 s0, s20, v37
	s_sub_i32 s34, s2, s34
	s_and_saveexec_b32 s37, s0
	s_cbranch_execz .LBB166_244
; %bb.9:
	s_load_dwordx2 s[2:3], s[4:5], 0x10
	s_sub_i32 s4, s34, s21
	s_ashr_i32 s1, s18, 31
	v_bfe_u32 v42, v0, 2, 3
	v_and_b32_e32 v3, 0x7c, v40
	v_mov_b32_e32 v30, 0
	v_mul_u32_u24_e32 v44, 0x70, v1
	v_lshlrev_b32_e32 v45, 3, v37
	v_lshlrev_b32_e32 v4, 2, v42
	v_subrev_nc_u32_e32 v5, s33, v42
	v_lshlrev_b32_e32 v6, 4, v42
	v_mov_b32_e32 v46, 0xff7fffff
	v_mov_b32_e32 v47, 0x7f
	v_lshl_or_b32 v4, v37, 5, v4
	v_add_nc_u32_e32 v49, 1, v5
	v_mov_b32_e32 v48, 7
	v_mov_b32_e32 v43, 0xff7fffff
	;; [unrolled: 1-line block ×3, first 2 shown]
	v_add_nc_u32_e32 v50, 0x1e0, v4
	v_cmp_eq_u32_e32 vcc_lo, 0, v1
	s_waitcnt lgkmcnt(0)
	s_add_u32 s38, s2, s18
	s_addc_u32 s39, s3, s1
	s_abs_i32 s5, s22
	v_add_co_u32 v5, s38, s38, v6
	v_cvt_f32_u32_e32 v2, s5
	s_sub_i32 s2, 0, s5
	v_add_co_ci_u32_e64 v6, null, s39, 0, s38
	v_cmp_neq_f32_e64 s1, s36, 0
	v_rcp_iflag_f32_e32 v2, v2
	s_mov_b32 s38, 0
	s_mov_b32 s39, s17
	v_mul_f32_e32 v2, 0x4f7ffffe, v2
	v_cvt_u32_f32_e32 v2, v2
	v_mul_lo_u32 v4, s2, v2
	s_lshl_b64 s[2:3], s[28:29], 2
	s_add_u32 s2, s26, s2
	s_addc_u32 s3, s27, s3
	v_add_co_u32 v31, s2, s2, v3
	v_add_co_ci_u32_e64 v32, null, s3, 0, s2
	v_mul_hi_u32 v4, v2, v4
	v_add_co_u32 v33, s2, v5, v1
	v_add_co_ci_u32_e64 v34, null, 0, v6, s2
	v_add_nc_u32_e32 v51, v2, v4
	s_branch .LBB166_12
.LBB166_10:                             ;   in Loop: Header=BB166_12 Depth=1
	s_or_b32 exec_lo, exec_lo, s40
.LBB166_11:                             ;   in Loop: Header=BB166_12 Depth=1
	s_or_b32 exec_lo, exec_lo, s3
	v_add_nc_u32_e32 v52, 4, v52
	v_add_co_u32 v31, s3, v31, 16
	v_add_co_ci_u32_e64 v32, null, 0, v32, s3
	v_cmp_le_i32_e64 s2, s20, v52
	v_add_nc_u32_e32 v45, 32, v45
	v_add_nc_u32_e32 v50, 0x80, v50
	s_or_b32 s38, s2, s38
	s_andn2_b32 exec_lo, exec_lo, s38
	s_cbranch_execz .LBB166_243
.LBB166_12:                             ; =>This Inner Loop Header: Depth=1
	v_mul_hi_u32 v1, v45, s19
	s_waitcnt lgkmcnt(0)
	v_mul_lo_u32 v2, v1, s16
	v_add_nc_u32_e32 v3, 1, v1
	v_sub_nc_u32_e32 v2, v45, v2
	v_subrev_nc_u32_e32 v4, s16, v2
	v_cmp_le_u32_e64 s2, s16, v2
	v_cndmask_b32_e64 v1, v1, v3, s2
	v_cndmask_b32_e64 v2, v2, v4, s2
	v_add_nc_u32_e32 v3, 1, v1
	v_cmp_le_u32_e64 s2, s16, v2
	v_cndmask_b32_e64 v1, v1, v3, s2
	v_xor_b32_e32 v1, s23, v1
	v_subrev_nc_u32_e32 v1, s23, v1
	v_add_nc_u32_e32 v2, s25, v1
	v_cmp_ge_i32_e64 s3, s4, v1
	v_sub_nc_u32_e32 v3, 0, v2
	v_max_i32_e32 v3, v2, v3
	v_ashrrev_i32_e32 v2, 31, v2
	v_mul_hi_u32 v4, v3, v51
	v_mul_lo_u32 v4, v4, s5
	v_sub_nc_u32_e32 v3, v3, v4
	v_subrev_nc_u32_e32 v4, s5, v3
	v_cmp_le_u32_e64 s2, s5, v3
	v_cndmask_b32_e64 v3, v3, v4, s2
	v_subrev_nc_u32_e32 v4, s5, v3
	v_cmp_le_u32_e64 s2, s5, v3
	v_cndmask_b32_e64 v3, v3, v4, s2
	v_xor_b32_e32 v3, v3, v2
	v_sub_nc_u32_e32 v2, v3, v2
	v_cmp_ne_u32_e64 s2, 0, v2
	s_and_b32 s2, s2, s3
	s_and_saveexec_b32 s3, s2
	s_xor_b32 s2, exec_lo, s3
	s_cbranch_execz .LBB166_16
; %bb.13:                               ;   in Loop: Header=BB166_12 Depth=1
	s_and_saveexec_b32 s3, vcc_lo
; %bb.14:                               ;   in Loop: Header=BB166_12 Depth=1
	ds_write_b32 v50, v46
; %bb.15:                               ;   in Loop: Header=BB166_12 Depth=1
	s_or_b32 exec_lo, exec_lo, s3
.LBB166_16:                             ;   in Loop: Header=BB166_12 Depth=1
	s_andn2_saveexec_b32 s3, s2
	s_cbranch_execz .LBB166_11
; %bb.17:                               ;   in Loop: Header=BB166_12 Depth=1
	global_load_dword v1, v[31:32], off
	v_mov_b32_e32 v53, 0
	v_mov_b32_e32 v54, 0
	s_mov_b32 s41, exec_lo
	s_waitcnt vmcnt(0)
	v_mad_i64_i32 v[35:36], null, v1, s39, v[33:34]
	global_load_ubyte v55, v[35:36], off
	ds_read_b128 v[25:28], v44
	ds_read_b128 v[21:24], v44 offset:16
	ds_read_b128 v[17:20], v44 offset:32
	ds_read_b128 v[13:16], v44 offset:48
	ds_read_b128 v[9:12], v44 offset:64
	ds_read_b128 v[5:8], v44 offset:80
	ds_read_b128 v[1:4], v44 offset:96
	s_load_dword s40, s[12:13], 0x0
	s_waitcnt vmcnt(0)
	v_cmpx_ne_u16_e32 0, v55
	s_cbranch_execz .LBB166_25
; %bb.18:                               ;   in Loop: Header=BB166_12 Depth=1
	v_bfrev_b32_e32 v54, 1
	s_mov_b32 s42, exec_lo
	v_cmpx_ne_u16_e32 0x80, v55
	s_cbranch_execz .LBB166_24
; %bb.19:                               ;   in Loop: Header=BB166_12 Depth=1
	v_and_b32_sdwa v56, v55, v47 dst_sel:DWORD dst_unused:UNUSED_PAD src0_sel:WORD_0 src1_sel:DWORD
	v_mov_b32_e32 v54, 0x7f800001
	s_mov_b32 s43, exec_lo
	v_cmpx_ne_u32_e32 0x7f, v56
	s_cbranch_execz .LBB166_23
; %bb.20:                               ;   in Loop: Header=BB166_12 Depth=1
	v_and_b32_sdwa v29, v55, v48 dst_sel:DWORD dst_unused:UNUSED_PAD src0_sel:WORD_0 src1_sel:DWORD
	v_lshrrev_b32_e32 v54, 3, v56
	s_mov_b32 s44, exec_lo
	v_cmpx_gt_u32_e32 8, v56
; %bb.21:                               ;   in Loop: Header=BB166_12 Depth=1
	v_ffbh_u32_e32 v54, v29
	v_min_u32_e32 v54, 32, v54
	v_subrev_nc_u32_e32 v56, 28, v54
	v_sub_nc_u32_e32 v54, 29, v54
	v_lshlrev_b64 v[56:57], v56, v[29:30]
	v_and_b32_e32 v29, 7, v56
; %bb.22:                               ;   in Loop: Header=BB166_12 Depth=1
	s_or_b32 exec_lo, exec_lo, s44
	v_lshlrev_b32_e32 v55, 24, v55
	v_lshlrev_b32_e32 v29, 20, v29
	v_lshl_add_u32 v54, v54, 23, 0x3c000000
	v_and_b32_e32 v55, 0x80000000, v55
	v_or3_b32 v54, v29, v55, v54
.LBB166_23:                             ;   in Loop: Header=BB166_12 Depth=1
	s_or_b32 exec_lo, exec_lo, s43
.LBB166_24:                             ;   in Loop: Header=BB166_12 Depth=1
	s_or_b32 exec_lo, exec_lo, s42
.LBB166_25:                             ;   in Loop: Header=BB166_12 Depth=1
	s_or_b32 exec_lo, exec_lo, s41
	global_load_ubyte v55, v[35:36], off offset:4
	s_mov_b32 s41, exec_lo
	s_waitcnt vmcnt(0)
	v_cmpx_ne_u16_e32 0, v55
	s_cbranch_execz .LBB166_33
; %bb.26:                               ;   in Loop: Header=BB166_12 Depth=1
	v_bfrev_b32_e32 v53, 1
	s_mov_b32 s42, exec_lo
	v_cmpx_ne_u16_e32 0x80, v55
	s_cbranch_execz .LBB166_32
; %bb.27:                               ;   in Loop: Header=BB166_12 Depth=1
	v_and_b32_sdwa v56, v55, v47 dst_sel:DWORD dst_unused:UNUSED_PAD src0_sel:WORD_0 src1_sel:DWORD
	v_mov_b32_e32 v53, 0x7f800001
	s_mov_b32 s43, exec_lo
	v_cmpx_ne_u32_e32 0x7f, v56
	s_cbranch_execz .LBB166_31
; %bb.28:                               ;   in Loop: Header=BB166_12 Depth=1
	v_and_b32_sdwa v29, v55, v48 dst_sel:DWORD dst_unused:UNUSED_PAD src0_sel:WORD_0 src1_sel:DWORD
	v_lshrrev_b32_e32 v53, 3, v56
	s_mov_b32 s44, exec_lo
	v_cmpx_gt_u32_e32 8, v56
; %bb.29:                               ;   in Loop: Header=BB166_12 Depth=1
	v_ffbh_u32_e32 v53, v29
	v_min_u32_e32 v53, 32, v53
	v_subrev_nc_u32_e32 v56, 28, v53
	v_sub_nc_u32_e32 v53, 29, v53
	v_lshlrev_b64 v[56:57], v56, v[29:30]
	v_and_b32_e32 v29, 7, v56
; %bb.30:                               ;   in Loop: Header=BB166_12 Depth=1
	s_or_b32 exec_lo, exec_lo, s44
	v_lshlrev_b32_e32 v55, 24, v55
	v_lshlrev_b32_e32 v29, 20, v29
	v_lshl_add_u32 v53, v53, 23, 0x3c000000
	v_and_b32_e32 v55, 0x80000000, v55
	v_or3_b32 v53, v29, v55, v53
.LBB166_31:                             ;   in Loop: Header=BB166_12 Depth=1
	s_or_b32 exec_lo, exec_lo, s43
.LBB166_32:                             ;   in Loop: Header=BB166_12 Depth=1
	s_or_b32 exec_lo, exec_lo, s42
.LBB166_33:                             ;   in Loop: Header=BB166_12 Depth=1
	s_or_b32 exec_lo, exec_lo, s41
	global_load_ubyte v57, v[35:36], off offset:8
	v_mov_b32_e32 v55, 0
	v_mov_b32_e32 v56, 0
	s_mov_b32 s41, exec_lo
	s_waitcnt vmcnt(0)
	v_cmpx_ne_u16_e32 0, v57
	s_cbranch_execz .LBB166_41
; %bb.34:                               ;   in Loop: Header=BB166_12 Depth=1
	v_bfrev_b32_e32 v56, 1
	s_mov_b32 s42, exec_lo
	v_cmpx_ne_u16_e32 0x80, v57
	s_cbranch_execz .LBB166_40
; %bb.35:                               ;   in Loop: Header=BB166_12 Depth=1
	v_and_b32_sdwa v58, v57, v47 dst_sel:DWORD dst_unused:UNUSED_PAD src0_sel:WORD_0 src1_sel:DWORD
	v_mov_b32_e32 v56, 0x7f800001
	s_mov_b32 s43, exec_lo
	v_cmpx_ne_u32_e32 0x7f, v58
	s_cbranch_execz .LBB166_39
; %bb.36:                               ;   in Loop: Header=BB166_12 Depth=1
	v_and_b32_sdwa v29, v57, v48 dst_sel:DWORD dst_unused:UNUSED_PAD src0_sel:WORD_0 src1_sel:DWORD
	v_lshrrev_b32_e32 v56, 3, v58
	s_mov_b32 s44, exec_lo
	v_cmpx_gt_u32_e32 8, v58
; %bb.37:                               ;   in Loop: Header=BB166_12 Depth=1
	v_ffbh_u32_e32 v56, v29
	v_min_u32_e32 v56, 32, v56
	v_subrev_nc_u32_e32 v58, 28, v56
	v_sub_nc_u32_e32 v56, 29, v56
	v_lshlrev_b64 v[58:59], v58, v[29:30]
	v_and_b32_e32 v29, 7, v58
; %bb.38:                               ;   in Loop: Header=BB166_12 Depth=1
	s_or_b32 exec_lo, exec_lo, s44
	v_lshlrev_b32_e32 v57, 24, v57
	v_lshlrev_b32_e32 v29, 20, v29
	v_lshl_add_u32 v56, v56, 23, 0x3c000000
	v_and_b32_e32 v57, 0x80000000, v57
	v_or3_b32 v56, v29, v57, v56
.LBB166_39:                             ;   in Loop: Header=BB166_12 Depth=1
	s_or_b32 exec_lo, exec_lo, s43
.LBB166_40:                             ;   in Loop: Header=BB166_12 Depth=1
	s_or_b32 exec_lo, exec_lo, s42
.LBB166_41:                             ;   in Loop: Header=BB166_12 Depth=1
	s_or_b32 exec_lo, exec_lo, s41
	global_load_ubyte v57, v[35:36], off offset:12
	s_mov_b32 s41, exec_lo
	s_waitcnt vmcnt(0)
	v_cmpx_ne_u16_e32 0, v57
	s_cbranch_execz .LBB166_49
; %bb.42:                               ;   in Loop: Header=BB166_12 Depth=1
	v_bfrev_b32_e32 v55, 1
	s_mov_b32 s42, exec_lo
	v_cmpx_ne_u16_e32 0x80, v57
	s_cbranch_execz .LBB166_48
; %bb.43:                               ;   in Loop: Header=BB166_12 Depth=1
	v_and_b32_sdwa v58, v57, v47 dst_sel:DWORD dst_unused:UNUSED_PAD src0_sel:WORD_0 src1_sel:DWORD
	v_mov_b32_e32 v55, 0x7f800001
	s_mov_b32 s43, exec_lo
	v_cmpx_ne_u32_e32 0x7f, v58
	s_cbranch_execz .LBB166_47
; %bb.44:                               ;   in Loop: Header=BB166_12 Depth=1
	v_and_b32_sdwa v29, v57, v48 dst_sel:DWORD dst_unused:UNUSED_PAD src0_sel:WORD_0 src1_sel:DWORD
	v_lshrrev_b32_e32 v55, 3, v58
	s_mov_b32 s44, exec_lo
	v_cmpx_gt_u32_e32 8, v58
; %bb.45:                               ;   in Loop: Header=BB166_12 Depth=1
	v_ffbh_u32_e32 v55, v29
	v_min_u32_e32 v55, 32, v55
	v_subrev_nc_u32_e32 v58, 28, v55
	v_sub_nc_u32_e32 v55, 29, v55
	v_lshlrev_b64 v[58:59], v58, v[29:30]
	v_and_b32_e32 v29, 7, v58
; %bb.46:                               ;   in Loop: Header=BB166_12 Depth=1
	s_or_b32 exec_lo, exec_lo, s44
	v_lshlrev_b32_e32 v57, 24, v57
	v_lshlrev_b32_e32 v29, 20, v29
	v_lshl_add_u32 v55, v55, 23, 0x3c000000
	v_and_b32_e32 v57, 0x80000000, v57
	v_or3_b32 v55, v29, v57, v55
.LBB166_47:                             ;   in Loop: Header=BB166_12 Depth=1
	s_or_b32 exec_lo, exec_lo, s43
.LBB166_48:                             ;   in Loop: Header=BB166_12 Depth=1
	s_or_b32 exec_lo, exec_lo, s42
.LBB166_49:                             ;   in Loop: Header=BB166_12 Depth=1
	s_or_b32 exec_lo, exec_lo, s41
	global_load_ubyte v59, v[35:36], off offset:128
	v_mov_b32_e32 v57, 0
	v_mov_b32_e32 v58, 0
	s_mov_b32 s41, exec_lo
	s_waitcnt vmcnt(0)
	v_cmpx_ne_u16_e32 0, v59
	s_cbranch_execz .LBB166_57
; %bb.50:                               ;   in Loop: Header=BB166_12 Depth=1
	v_bfrev_b32_e32 v58, 1
	s_mov_b32 s42, exec_lo
	v_cmpx_ne_u16_e32 0x80, v59
	s_cbranch_execz .LBB166_56
; %bb.51:                               ;   in Loop: Header=BB166_12 Depth=1
	v_and_b32_sdwa v60, v59, v47 dst_sel:DWORD dst_unused:UNUSED_PAD src0_sel:WORD_0 src1_sel:DWORD
	v_mov_b32_e32 v58, 0x7f800001
	s_mov_b32 s43, exec_lo
	v_cmpx_ne_u32_e32 0x7f, v60
	s_cbranch_execz .LBB166_55
; %bb.52:                               ;   in Loop: Header=BB166_12 Depth=1
	v_and_b32_sdwa v29, v59, v48 dst_sel:DWORD dst_unused:UNUSED_PAD src0_sel:WORD_0 src1_sel:DWORD
	v_lshrrev_b32_e32 v58, 3, v60
	s_mov_b32 s44, exec_lo
	v_cmpx_gt_u32_e32 8, v60
; %bb.53:                               ;   in Loop: Header=BB166_12 Depth=1
	v_ffbh_u32_e32 v58, v29
	v_min_u32_e32 v58, 32, v58
	v_subrev_nc_u32_e32 v60, 28, v58
	v_sub_nc_u32_e32 v58, 29, v58
	v_lshlrev_b64 v[60:61], v60, v[29:30]
	v_and_b32_e32 v29, 7, v60
; %bb.54:                               ;   in Loop: Header=BB166_12 Depth=1
	s_or_b32 exec_lo, exec_lo, s44
	v_lshlrev_b32_e32 v59, 24, v59
	v_lshlrev_b32_e32 v29, 20, v29
	v_lshl_add_u32 v58, v58, 23, 0x3c000000
	v_and_b32_e32 v59, 0x80000000, v59
	v_or3_b32 v58, v29, v59, v58
.LBB166_55:                             ;   in Loop: Header=BB166_12 Depth=1
	s_or_b32 exec_lo, exec_lo, s43
.LBB166_56:                             ;   in Loop: Header=BB166_12 Depth=1
	s_or_b32 exec_lo, exec_lo, s42
.LBB166_57:                             ;   in Loop: Header=BB166_12 Depth=1
	s_or_b32 exec_lo, exec_lo, s41
	global_load_ubyte v59, v[35:36], off offset:132
	s_mov_b32 s41, exec_lo
	s_waitcnt vmcnt(0)
	v_cmpx_ne_u16_e32 0, v59
	s_cbranch_execz .LBB166_65
; %bb.58:                               ;   in Loop: Header=BB166_12 Depth=1
	v_bfrev_b32_e32 v57, 1
	s_mov_b32 s42, exec_lo
	v_cmpx_ne_u16_e32 0x80, v59
	s_cbranch_execz .LBB166_64
; %bb.59:                               ;   in Loop: Header=BB166_12 Depth=1
	v_and_b32_sdwa v60, v59, v47 dst_sel:DWORD dst_unused:UNUSED_PAD src0_sel:WORD_0 src1_sel:DWORD
	v_mov_b32_e32 v57, 0x7f800001
	s_mov_b32 s43, exec_lo
	v_cmpx_ne_u32_e32 0x7f, v60
	s_cbranch_execz .LBB166_63
; %bb.60:                               ;   in Loop: Header=BB166_12 Depth=1
	v_and_b32_sdwa v29, v59, v48 dst_sel:DWORD dst_unused:UNUSED_PAD src0_sel:WORD_0 src1_sel:DWORD
	v_lshrrev_b32_e32 v57, 3, v60
	s_mov_b32 s44, exec_lo
	v_cmpx_gt_u32_e32 8, v60
; %bb.61:                               ;   in Loop: Header=BB166_12 Depth=1
	v_ffbh_u32_e32 v57, v29
	v_min_u32_e32 v57, 32, v57
	v_subrev_nc_u32_e32 v60, 28, v57
	v_sub_nc_u32_e32 v57, 29, v57
	v_lshlrev_b64 v[60:61], v60, v[29:30]
	v_and_b32_e32 v29, 7, v60
; %bb.62:                               ;   in Loop: Header=BB166_12 Depth=1
	s_or_b32 exec_lo, exec_lo, s44
	v_lshlrev_b32_e32 v59, 24, v59
	v_lshlrev_b32_e32 v29, 20, v29
	v_lshl_add_u32 v57, v57, 23, 0x3c000000
	v_and_b32_e32 v59, 0x80000000, v59
	v_or3_b32 v57, v29, v59, v57
.LBB166_63:                             ;   in Loop: Header=BB166_12 Depth=1
	s_or_b32 exec_lo, exec_lo, s43
.LBB166_64:                             ;   in Loop: Header=BB166_12 Depth=1
	s_or_b32 exec_lo, exec_lo, s42
.LBB166_65:                             ;   in Loop: Header=BB166_12 Depth=1
	s_or_b32 exec_lo, exec_lo, s41
	global_load_ubyte v61, v[35:36], off offset:136
	v_mov_b32_e32 v59, 0
	v_mov_b32_e32 v60, 0
	s_mov_b32 s41, exec_lo
	s_waitcnt vmcnt(0)
	v_cmpx_ne_u16_e32 0, v61
	s_cbranch_execz .LBB166_73
; %bb.66:                               ;   in Loop: Header=BB166_12 Depth=1
	v_bfrev_b32_e32 v60, 1
	s_mov_b32 s42, exec_lo
	v_cmpx_ne_u16_e32 0x80, v61
	s_cbranch_execz .LBB166_72
; %bb.67:                               ;   in Loop: Header=BB166_12 Depth=1
	v_and_b32_sdwa v62, v61, v47 dst_sel:DWORD dst_unused:UNUSED_PAD src0_sel:WORD_0 src1_sel:DWORD
	v_mov_b32_e32 v60, 0x7f800001
	s_mov_b32 s43, exec_lo
	v_cmpx_ne_u32_e32 0x7f, v62
	s_cbranch_execz .LBB166_71
; %bb.68:                               ;   in Loop: Header=BB166_12 Depth=1
	v_and_b32_sdwa v29, v61, v48 dst_sel:DWORD dst_unused:UNUSED_PAD src0_sel:WORD_0 src1_sel:DWORD
	v_lshrrev_b32_e32 v60, 3, v62
	s_mov_b32 s44, exec_lo
	v_cmpx_gt_u32_e32 8, v62
; %bb.69:                               ;   in Loop: Header=BB166_12 Depth=1
	v_ffbh_u32_e32 v60, v29
	v_min_u32_e32 v60, 32, v60
	v_subrev_nc_u32_e32 v62, 28, v60
	v_sub_nc_u32_e32 v60, 29, v60
	v_lshlrev_b64 v[62:63], v62, v[29:30]
	v_and_b32_e32 v29, 7, v62
; %bb.70:                               ;   in Loop: Header=BB166_12 Depth=1
	s_or_b32 exec_lo, exec_lo, s44
	v_lshlrev_b32_e32 v61, 24, v61
	v_lshlrev_b32_e32 v29, 20, v29
	v_lshl_add_u32 v60, v60, 23, 0x3c000000
	v_and_b32_e32 v61, 0x80000000, v61
	v_or3_b32 v60, v29, v61, v60
.LBB166_71:                             ;   in Loop: Header=BB166_12 Depth=1
	s_or_b32 exec_lo, exec_lo, s43
.LBB166_72:                             ;   in Loop: Header=BB166_12 Depth=1
	s_or_b32 exec_lo, exec_lo, s42
.LBB166_73:                             ;   in Loop: Header=BB166_12 Depth=1
	s_or_b32 exec_lo, exec_lo, s41
	global_load_ubyte v61, v[35:36], off offset:140
	s_mov_b32 s41, exec_lo
	s_waitcnt vmcnt(0)
	v_cmpx_ne_u16_e32 0, v61
	s_cbranch_execz .LBB166_81
; %bb.74:                               ;   in Loop: Header=BB166_12 Depth=1
	v_bfrev_b32_e32 v59, 1
	s_mov_b32 s42, exec_lo
	v_cmpx_ne_u16_e32 0x80, v61
	s_cbranch_execz .LBB166_80
; %bb.75:                               ;   in Loop: Header=BB166_12 Depth=1
	v_and_b32_sdwa v62, v61, v47 dst_sel:DWORD dst_unused:UNUSED_PAD src0_sel:WORD_0 src1_sel:DWORD
	v_mov_b32_e32 v59, 0x7f800001
	s_mov_b32 s43, exec_lo
	v_cmpx_ne_u32_e32 0x7f, v62
	s_cbranch_execz .LBB166_79
; %bb.76:                               ;   in Loop: Header=BB166_12 Depth=1
	v_and_b32_sdwa v29, v61, v48 dst_sel:DWORD dst_unused:UNUSED_PAD src0_sel:WORD_0 src1_sel:DWORD
	v_lshrrev_b32_e32 v59, 3, v62
	s_mov_b32 s44, exec_lo
	v_cmpx_gt_u32_e32 8, v62
; %bb.77:                               ;   in Loop: Header=BB166_12 Depth=1
	v_ffbh_u32_e32 v59, v29
	v_min_u32_e32 v59, 32, v59
	v_subrev_nc_u32_e32 v62, 28, v59
	v_sub_nc_u32_e32 v59, 29, v59
	v_lshlrev_b64 v[62:63], v62, v[29:30]
	v_and_b32_e32 v29, 7, v62
; %bb.78:                               ;   in Loop: Header=BB166_12 Depth=1
	s_or_b32 exec_lo, exec_lo, s44
	v_lshlrev_b32_e32 v61, 24, v61
	v_lshlrev_b32_e32 v29, 20, v29
	v_lshl_add_u32 v59, v59, 23, 0x3c000000
	v_and_b32_e32 v61, 0x80000000, v61
	v_or3_b32 v59, v29, v61, v59
.LBB166_79:                             ;   in Loop: Header=BB166_12 Depth=1
	s_or_b32 exec_lo, exec_lo, s43
.LBB166_80:                             ;   in Loop: Header=BB166_12 Depth=1
	s_or_b32 exec_lo, exec_lo, s42
.LBB166_81:                             ;   in Loop: Header=BB166_12 Depth=1
	s_or_b32 exec_lo, exec_lo, s41
	global_load_ubyte v63, v[35:36], off offset:256
	v_mov_b32_e32 v61, 0
	v_mov_b32_e32 v62, 0
	s_mov_b32 s41, exec_lo
	s_waitcnt vmcnt(0)
	v_cmpx_ne_u16_e32 0, v63
	s_cbranch_execz .LBB166_89
; %bb.82:                               ;   in Loop: Header=BB166_12 Depth=1
	v_bfrev_b32_e32 v62, 1
	s_mov_b32 s42, exec_lo
	v_cmpx_ne_u16_e32 0x80, v63
	s_cbranch_execz .LBB166_88
; %bb.83:                               ;   in Loop: Header=BB166_12 Depth=1
	v_and_b32_sdwa v64, v63, v47 dst_sel:DWORD dst_unused:UNUSED_PAD src0_sel:WORD_0 src1_sel:DWORD
	v_mov_b32_e32 v62, 0x7f800001
	s_mov_b32 s43, exec_lo
	v_cmpx_ne_u32_e32 0x7f, v64
	s_cbranch_execz .LBB166_87
; %bb.84:                               ;   in Loop: Header=BB166_12 Depth=1
	v_and_b32_sdwa v29, v63, v48 dst_sel:DWORD dst_unused:UNUSED_PAD src0_sel:WORD_0 src1_sel:DWORD
	v_lshrrev_b32_e32 v62, 3, v64
	s_mov_b32 s44, exec_lo
	v_cmpx_gt_u32_e32 8, v64
; %bb.85:                               ;   in Loop: Header=BB166_12 Depth=1
	v_ffbh_u32_e32 v62, v29
	v_min_u32_e32 v62, 32, v62
	v_subrev_nc_u32_e32 v64, 28, v62
	v_sub_nc_u32_e32 v62, 29, v62
	v_lshlrev_b64 v[64:65], v64, v[29:30]
	v_and_b32_e32 v29, 7, v64
; %bb.86:                               ;   in Loop: Header=BB166_12 Depth=1
	s_or_b32 exec_lo, exec_lo, s44
	v_lshlrev_b32_e32 v63, 24, v63
	v_lshlrev_b32_e32 v29, 20, v29
	v_lshl_add_u32 v62, v62, 23, 0x3c000000
	v_and_b32_e32 v63, 0x80000000, v63
	v_or3_b32 v62, v29, v63, v62
.LBB166_87:                             ;   in Loop: Header=BB166_12 Depth=1
	s_or_b32 exec_lo, exec_lo, s43
.LBB166_88:                             ;   in Loop: Header=BB166_12 Depth=1
	s_or_b32 exec_lo, exec_lo, s42
.LBB166_89:                             ;   in Loop: Header=BB166_12 Depth=1
	s_or_b32 exec_lo, exec_lo, s41
	global_load_ubyte v63, v[35:36], off offset:260
	s_mov_b32 s41, exec_lo
	s_waitcnt vmcnt(0)
	v_cmpx_ne_u16_e32 0, v63
	s_cbranch_execz .LBB166_97
; %bb.90:                               ;   in Loop: Header=BB166_12 Depth=1
	v_bfrev_b32_e32 v61, 1
	s_mov_b32 s42, exec_lo
	v_cmpx_ne_u16_e32 0x80, v63
	s_cbranch_execz .LBB166_96
; %bb.91:                               ;   in Loop: Header=BB166_12 Depth=1
	v_and_b32_sdwa v64, v63, v47 dst_sel:DWORD dst_unused:UNUSED_PAD src0_sel:WORD_0 src1_sel:DWORD
	v_mov_b32_e32 v61, 0x7f800001
	s_mov_b32 s43, exec_lo
	v_cmpx_ne_u32_e32 0x7f, v64
	s_cbranch_execz .LBB166_95
; %bb.92:                               ;   in Loop: Header=BB166_12 Depth=1
	v_and_b32_sdwa v29, v63, v48 dst_sel:DWORD dst_unused:UNUSED_PAD src0_sel:WORD_0 src1_sel:DWORD
	v_lshrrev_b32_e32 v61, 3, v64
	s_mov_b32 s44, exec_lo
	v_cmpx_gt_u32_e32 8, v64
; %bb.93:                               ;   in Loop: Header=BB166_12 Depth=1
	v_ffbh_u32_e32 v61, v29
	v_min_u32_e32 v61, 32, v61
	v_subrev_nc_u32_e32 v64, 28, v61
	v_sub_nc_u32_e32 v61, 29, v61
	v_lshlrev_b64 v[64:65], v64, v[29:30]
	v_and_b32_e32 v29, 7, v64
; %bb.94:                               ;   in Loop: Header=BB166_12 Depth=1
	s_or_b32 exec_lo, exec_lo, s44
	v_lshlrev_b32_e32 v63, 24, v63
	v_lshlrev_b32_e32 v29, 20, v29
	v_lshl_add_u32 v61, v61, 23, 0x3c000000
	v_and_b32_e32 v63, 0x80000000, v63
	v_or3_b32 v61, v29, v63, v61
.LBB166_95:                             ;   in Loop: Header=BB166_12 Depth=1
	s_or_b32 exec_lo, exec_lo, s43
.LBB166_96:                             ;   in Loop: Header=BB166_12 Depth=1
	s_or_b32 exec_lo, exec_lo, s42
.LBB166_97:                             ;   in Loop: Header=BB166_12 Depth=1
	s_or_b32 exec_lo, exec_lo, s41
	global_load_ubyte v65, v[35:36], off offset:264
	v_mov_b32_e32 v63, 0
	v_mov_b32_e32 v64, 0
	s_mov_b32 s41, exec_lo
	s_waitcnt vmcnt(0)
	v_cmpx_ne_u16_e32 0, v65
	s_cbranch_execz .LBB166_105
; %bb.98:                               ;   in Loop: Header=BB166_12 Depth=1
	v_bfrev_b32_e32 v64, 1
	s_mov_b32 s42, exec_lo
	v_cmpx_ne_u16_e32 0x80, v65
	s_cbranch_execz .LBB166_104
; %bb.99:                               ;   in Loop: Header=BB166_12 Depth=1
	v_and_b32_sdwa v66, v65, v47 dst_sel:DWORD dst_unused:UNUSED_PAD src0_sel:WORD_0 src1_sel:DWORD
	v_mov_b32_e32 v64, 0x7f800001
	s_mov_b32 s43, exec_lo
	v_cmpx_ne_u32_e32 0x7f, v66
	s_cbranch_execz .LBB166_103
; %bb.100:                              ;   in Loop: Header=BB166_12 Depth=1
	v_and_b32_sdwa v29, v65, v48 dst_sel:DWORD dst_unused:UNUSED_PAD src0_sel:WORD_0 src1_sel:DWORD
	v_lshrrev_b32_e32 v64, 3, v66
	s_mov_b32 s44, exec_lo
	v_cmpx_gt_u32_e32 8, v66
; %bb.101:                              ;   in Loop: Header=BB166_12 Depth=1
	v_ffbh_u32_e32 v64, v29
	v_min_u32_e32 v64, 32, v64
	v_subrev_nc_u32_e32 v66, 28, v64
	v_sub_nc_u32_e32 v64, 29, v64
	v_lshlrev_b64 v[66:67], v66, v[29:30]
	v_and_b32_e32 v29, 7, v66
; %bb.102:                              ;   in Loop: Header=BB166_12 Depth=1
	s_or_b32 exec_lo, exec_lo, s44
	v_lshlrev_b32_e32 v65, 24, v65
	v_lshlrev_b32_e32 v29, 20, v29
	v_lshl_add_u32 v64, v64, 23, 0x3c000000
	v_and_b32_e32 v65, 0x80000000, v65
	v_or3_b32 v64, v29, v65, v64
.LBB166_103:                            ;   in Loop: Header=BB166_12 Depth=1
	s_or_b32 exec_lo, exec_lo, s43
.LBB166_104:                            ;   in Loop: Header=BB166_12 Depth=1
	s_or_b32 exec_lo, exec_lo, s42
.LBB166_105:                            ;   in Loop: Header=BB166_12 Depth=1
	s_or_b32 exec_lo, exec_lo, s41
	global_load_ubyte v65, v[35:36], off offset:268
	s_mov_b32 s41, exec_lo
	s_waitcnt vmcnt(0)
	v_cmpx_ne_u16_e32 0, v65
	s_cbranch_execz .LBB166_113
; %bb.106:                              ;   in Loop: Header=BB166_12 Depth=1
	v_bfrev_b32_e32 v63, 1
	s_mov_b32 s42, exec_lo
	v_cmpx_ne_u16_e32 0x80, v65
	s_cbranch_execz .LBB166_112
; %bb.107:                              ;   in Loop: Header=BB166_12 Depth=1
	v_and_b32_sdwa v66, v65, v47 dst_sel:DWORD dst_unused:UNUSED_PAD src0_sel:WORD_0 src1_sel:DWORD
	v_mov_b32_e32 v63, 0x7f800001
	s_mov_b32 s43, exec_lo
	v_cmpx_ne_u32_e32 0x7f, v66
	s_cbranch_execz .LBB166_111
; %bb.108:                              ;   in Loop: Header=BB166_12 Depth=1
	v_and_b32_sdwa v29, v65, v48 dst_sel:DWORD dst_unused:UNUSED_PAD src0_sel:WORD_0 src1_sel:DWORD
	v_lshrrev_b32_e32 v63, 3, v66
	s_mov_b32 s44, exec_lo
	v_cmpx_gt_u32_e32 8, v66
; %bb.109:                              ;   in Loop: Header=BB166_12 Depth=1
	v_ffbh_u32_e32 v63, v29
	v_min_u32_e32 v63, 32, v63
	v_subrev_nc_u32_e32 v66, 28, v63
	v_sub_nc_u32_e32 v63, 29, v63
	v_lshlrev_b64 v[66:67], v66, v[29:30]
	v_and_b32_e32 v29, 7, v66
; %bb.110:                              ;   in Loop: Header=BB166_12 Depth=1
	s_or_b32 exec_lo, exec_lo, s44
	v_lshlrev_b32_e32 v65, 24, v65
	v_lshlrev_b32_e32 v29, 20, v29
	v_lshl_add_u32 v63, v63, 23, 0x3c000000
	v_and_b32_e32 v65, 0x80000000, v65
	v_or3_b32 v63, v29, v65, v63
.LBB166_111:                            ;   in Loop: Header=BB166_12 Depth=1
	s_or_b32 exec_lo, exec_lo, s43
.LBB166_112:                            ;   in Loop: Header=BB166_12 Depth=1
	s_or_b32 exec_lo, exec_lo, s42
.LBB166_113:                            ;   in Loop: Header=BB166_12 Depth=1
	s_or_b32 exec_lo, exec_lo, s41
	global_load_ubyte v67, v[35:36], off offset:384
	v_mov_b32_e32 v65, 0
	v_mov_b32_e32 v66, 0
	s_mov_b32 s41, exec_lo
	s_waitcnt vmcnt(0)
	v_cmpx_ne_u16_e32 0, v67
	s_cbranch_execz .LBB166_121
; %bb.114:                              ;   in Loop: Header=BB166_12 Depth=1
	v_bfrev_b32_e32 v66, 1
	s_mov_b32 s42, exec_lo
	v_cmpx_ne_u16_e32 0x80, v67
	s_cbranch_execz .LBB166_120
; %bb.115:                              ;   in Loop: Header=BB166_12 Depth=1
	v_and_b32_sdwa v68, v67, v47 dst_sel:DWORD dst_unused:UNUSED_PAD src0_sel:WORD_0 src1_sel:DWORD
	v_mov_b32_e32 v66, 0x7f800001
	s_mov_b32 s43, exec_lo
	v_cmpx_ne_u32_e32 0x7f, v68
	s_cbranch_execz .LBB166_119
; %bb.116:                              ;   in Loop: Header=BB166_12 Depth=1
	v_and_b32_sdwa v29, v67, v48 dst_sel:DWORD dst_unused:UNUSED_PAD src0_sel:WORD_0 src1_sel:DWORD
	v_lshrrev_b32_e32 v66, 3, v68
	s_mov_b32 s44, exec_lo
	v_cmpx_gt_u32_e32 8, v68
; %bb.117:                              ;   in Loop: Header=BB166_12 Depth=1
	v_ffbh_u32_e32 v66, v29
	v_min_u32_e32 v66, 32, v66
	v_subrev_nc_u32_e32 v68, 28, v66
	v_sub_nc_u32_e32 v66, 29, v66
	v_lshlrev_b64 v[68:69], v68, v[29:30]
	v_and_b32_e32 v29, 7, v68
; %bb.118:                              ;   in Loop: Header=BB166_12 Depth=1
	s_or_b32 exec_lo, exec_lo, s44
	v_lshlrev_b32_e32 v67, 24, v67
	v_lshlrev_b32_e32 v29, 20, v29
	v_lshl_add_u32 v66, v66, 23, 0x3c000000
	v_and_b32_e32 v67, 0x80000000, v67
	v_or3_b32 v66, v29, v67, v66
.LBB166_119:                            ;   in Loop: Header=BB166_12 Depth=1
	s_or_b32 exec_lo, exec_lo, s43
.LBB166_120:                            ;   in Loop: Header=BB166_12 Depth=1
	s_or_b32 exec_lo, exec_lo, s42
.LBB166_121:                            ;   in Loop: Header=BB166_12 Depth=1
	s_or_b32 exec_lo, exec_lo, s41
	global_load_ubyte v67, v[35:36], off offset:388
	s_mov_b32 s41, exec_lo
	s_waitcnt vmcnt(0)
	v_cmpx_ne_u16_e32 0, v67
	s_cbranch_execz .LBB166_129
; %bb.122:                              ;   in Loop: Header=BB166_12 Depth=1
	v_bfrev_b32_e32 v65, 1
	s_mov_b32 s42, exec_lo
	v_cmpx_ne_u16_e32 0x80, v67
	s_cbranch_execz .LBB166_128
; %bb.123:                              ;   in Loop: Header=BB166_12 Depth=1
	v_and_b32_sdwa v68, v67, v47 dst_sel:DWORD dst_unused:UNUSED_PAD src0_sel:WORD_0 src1_sel:DWORD
	v_mov_b32_e32 v65, 0x7f800001
	s_mov_b32 s43, exec_lo
	v_cmpx_ne_u32_e32 0x7f, v68
	s_cbranch_execz .LBB166_127
; %bb.124:                              ;   in Loop: Header=BB166_12 Depth=1
	v_and_b32_sdwa v29, v67, v48 dst_sel:DWORD dst_unused:UNUSED_PAD src0_sel:WORD_0 src1_sel:DWORD
	v_lshrrev_b32_e32 v65, 3, v68
	s_mov_b32 s44, exec_lo
	v_cmpx_gt_u32_e32 8, v68
; %bb.125:                              ;   in Loop: Header=BB166_12 Depth=1
	v_ffbh_u32_e32 v65, v29
	v_min_u32_e32 v65, 32, v65
	v_subrev_nc_u32_e32 v68, 28, v65
	v_sub_nc_u32_e32 v65, 29, v65
	v_lshlrev_b64 v[68:69], v68, v[29:30]
	v_and_b32_e32 v29, 7, v68
; %bb.126:                              ;   in Loop: Header=BB166_12 Depth=1
	s_or_b32 exec_lo, exec_lo, s44
	v_lshlrev_b32_e32 v67, 24, v67
	v_lshlrev_b32_e32 v29, 20, v29
	v_lshl_add_u32 v65, v65, 23, 0x3c000000
	v_and_b32_e32 v67, 0x80000000, v67
	v_or3_b32 v65, v29, v67, v65
.LBB166_127:                            ;   in Loop: Header=BB166_12 Depth=1
	s_or_b32 exec_lo, exec_lo, s43
.LBB166_128:                            ;   in Loop: Header=BB166_12 Depth=1
	s_or_b32 exec_lo, exec_lo, s42
.LBB166_129:                            ;   in Loop: Header=BB166_12 Depth=1
	s_or_b32 exec_lo, exec_lo, s41
	global_load_ubyte v69, v[35:36], off offset:392
	v_mov_b32_e32 v67, 0
	v_mov_b32_e32 v68, 0
	s_mov_b32 s41, exec_lo
	s_waitcnt vmcnt(0)
	v_cmpx_ne_u16_e32 0, v69
	s_cbranch_execz .LBB166_137
; %bb.130:                              ;   in Loop: Header=BB166_12 Depth=1
	v_bfrev_b32_e32 v68, 1
	s_mov_b32 s42, exec_lo
	v_cmpx_ne_u16_e32 0x80, v69
	s_cbranch_execz .LBB166_136
; %bb.131:                              ;   in Loop: Header=BB166_12 Depth=1
	v_and_b32_sdwa v70, v69, v47 dst_sel:DWORD dst_unused:UNUSED_PAD src0_sel:WORD_0 src1_sel:DWORD
	v_mov_b32_e32 v68, 0x7f800001
	s_mov_b32 s43, exec_lo
	v_cmpx_ne_u32_e32 0x7f, v70
	s_cbranch_execz .LBB166_135
; %bb.132:                              ;   in Loop: Header=BB166_12 Depth=1
	v_and_b32_sdwa v29, v69, v48 dst_sel:DWORD dst_unused:UNUSED_PAD src0_sel:WORD_0 src1_sel:DWORD
	v_lshrrev_b32_e32 v68, 3, v70
	s_mov_b32 s44, exec_lo
	v_cmpx_gt_u32_e32 8, v70
; %bb.133:                              ;   in Loop: Header=BB166_12 Depth=1
	v_ffbh_u32_e32 v68, v29
	v_min_u32_e32 v68, 32, v68
	v_subrev_nc_u32_e32 v70, 28, v68
	v_sub_nc_u32_e32 v68, 29, v68
	v_lshlrev_b64 v[70:71], v70, v[29:30]
	v_and_b32_e32 v29, 7, v70
; %bb.134:                              ;   in Loop: Header=BB166_12 Depth=1
	s_or_b32 exec_lo, exec_lo, s44
	v_lshlrev_b32_e32 v69, 24, v69
	v_lshlrev_b32_e32 v29, 20, v29
	v_lshl_add_u32 v68, v68, 23, 0x3c000000
	v_and_b32_e32 v69, 0x80000000, v69
	v_or3_b32 v68, v29, v69, v68
.LBB166_135:                            ;   in Loop: Header=BB166_12 Depth=1
	s_or_b32 exec_lo, exec_lo, s43
.LBB166_136:                            ;   in Loop: Header=BB166_12 Depth=1
	s_or_b32 exec_lo, exec_lo, s42
.LBB166_137:                            ;   in Loop: Header=BB166_12 Depth=1
	s_or_b32 exec_lo, exec_lo, s41
	global_load_ubyte v69, v[35:36], off offset:396
	s_mov_b32 s41, exec_lo
	s_waitcnt vmcnt(0)
	v_cmpx_ne_u16_e32 0, v69
	s_cbranch_execz .LBB166_145
; %bb.138:                              ;   in Loop: Header=BB166_12 Depth=1
	v_bfrev_b32_e32 v67, 1
	s_mov_b32 s42, exec_lo
	v_cmpx_ne_u16_e32 0x80, v69
	s_cbranch_execz .LBB166_144
; %bb.139:                              ;   in Loop: Header=BB166_12 Depth=1
	v_and_b32_sdwa v70, v69, v47 dst_sel:DWORD dst_unused:UNUSED_PAD src0_sel:WORD_0 src1_sel:DWORD
	v_mov_b32_e32 v67, 0x7f800001
	s_mov_b32 s43, exec_lo
	v_cmpx_ne_u32_e32 0x7f, v70
	s_cbranch_execz .LBB166_143
; %bb.140:                              ;   in Loop: Header=BB166_12 Depth=1
	v_and_b32_sdwa v29, v69, v48 dst_sel:DWORD dst_unused:UNUSED_PAD src0_sel:WORD_0 src1_sel:DWORD
	v_lshrrev_b32_e32 v67, 3, v70
	s_mov_b32 s44, exec_lo
	v_cmpx_gt_u32_e32 8, v70
; %bb.141:                              ;   in Loop: Header=BB166_12 Depth=1
	v_ffbh_u32_e32 v67, v29
	v_min_u32_e32 v67, 32, v67
	v_subrev_nc_u32_e32 v70, 28, v67
	v_sub_nc_u32_e32 v67, 29, v67
	v_lshlrev_b64 v[70:71], v70, v[29:30]
	v_and_b32_e32 v29, 7, v70
; %bb.142:                              ;   in Loop: Header=BB166_12 Depth=1
	s_or_b32 exec_lo, exec_lo, s44
	v_lshlrev_b32_e32 v69, 24, v69
	v_lshlrev_b32_e32 v29, 20, v29
	v_lshl_add_u32 v67, v67, 23, 0x3c000000
	v_and_b32_e32 v69, 0x80000000, v69
	v_or3_b32 v67, v29, v69, v67
.LBB166_143:                            ;   in Loop: Header=BB166_12 Depth=1
	s_or_b32 exec_lo, exec_lo, s43
.LBB166_144:                            ;   in Loop: Header=BB166_12 Depth=1
	s_or_b32 exec_lo, exec_lo, s42
.LBB166_145:                            ;   in Loop: Header=BB166_12 Depth=1
	s_or_b32 exec_lo, exec_lo, s41
	global_load_ubyte v71, v[35:36], off offset:512
	v_mov_b32_e32 v69, 0
	v_mov_b32_e32 v70, 0
	s_mov_b32 s41, exec_lo
	s_waitcnt vmcnt(0)
	v_cmpx_ne_u16_e32 0, v71
	s_cbranch_execz .LBB166_153
; %bb.146:                              ;   in Loop: Header=BB166_12 Depth=1
	v_bfrev_b32_e32 v70, 1
	s_mov_b32 s42, exec_lo
	v_cmpx_ne_u16_e32 0x80, v71
	s_cbranch_execz .LBB166_152
; %bb.147:                              ;   in Loop: Header=BB166_12 Depth=1
	v_and_b32_sdwa v72, v71, v47 dst_sel:DWORD dst_unused:UNUSED_PAD src0_sel:WORD_0 src1_sel:DWORD
	v_mov_b32_e32 v70, 0x7f800001
	s_mov_b32 s43, exec_lo
	v_cmpx_ne_u32_e32 0x7f, v72
	s_cbranch_execz .LBB166_151
; %bb.148:                              ;   in Loop: Header=BB166_12 Depth=1
	v_and_b32_sdwa v29, v71, v48 dst_sel:DWORD dst_unused:UNUSED_PAD src0_sel:WORD_0 src1_sel:DWORD
	v_lshrrev_b32_e32 v70, 3, v72
	s_mov_b32 s44, exec_lo
	v_cmpx_gt_u32_e32 8, v72
; %bb.149:                              ;   in Loop: Header=BB166_12 Depth=1
	v_ffbh_u32_e32 v70, v29
	v_min_u32_e32 v70, 32, v70
	v_subrev_nc_u32_e32 v72, 28, v70
	v_sub_nc_u32_e32 v70, 29, v70
	v_lshlrev_b64 v[72:73], v72, v[29:30]
	v_and_b32_e32 v29, 7, v72
; %bb.150:                              ;   in Loop: Header=BB166_12 Depth=1
	s_or_b32 exec_lo, exec_lo, s44
	v_lshlrev_b32_e32 v71, 24, v71
	v_lshlrev_b32_e32 v29, 20, v29
	v_lshl_add_u32 v70, v70, 23, 0x3c000000
	v_and_b32_e32 v71, 0x80000000, v71
	v_or3_b32 v70, v29, v71, v70
.LBB166_151:                            ;   in Loop: Header=BB166_12 Depth=1
	s_or_b32 exec_lo, exec_lo, s43
.LBB166_152:                            ;   in Loop: Header=BB166_12 Depth=1
	s_or_b32 exec_lo, exec_lo, s42
.LBB166_153:                            ;   in Loop: Header=BB166_12 Depth=1
	s_or_b32 exec_lo, exec_lo, s41
	global_load_ubyte v71, v[35:36], off offset:516
	s_mov_b32 s41, exec_lo
	s_waitcnt vmcnt(0)
	v_cmpx_ne_u16_e32 0, v71
	s_cbranch_execz .LBB166_161
; %bb.154:                              ;   in Loop: Header=BB166_12 Depth=1
	v_bfrev_b32_e32 v69, 1
	s_mov_b32 s42, exec_lo
	v_cmpx_ne_u16_e32 0x80, v71
	s_cbranch_execz .LBB166_160
; %bb.155:                              ;   in Loop: Header=BB166_12 Depth=1
	v_and_b32_sdwa v72, v71, v47 dst_sel:DWORD dst_unused:UNUSED_PAD src0_sel:WORD_0 src1_sel:DWORD
	v_mov_b32_e32 v69, 0x7f800001
	s_mov_b32 s43, exec_lo
	v_cmpx_ne_u32_e32 0x7f, v72
	s_cbranch_execz .LBB166_159
; %bb.156:                              ;   in Loop: Header=BB166_12 Depth=1
	v_and_b32_sdwa v29, v71, v48 dst_sel:DWORD dst_unused:UNUSED_PAD src0_sel:WORD_0 src1_sel:DWORD
	v_lshrrev_b32_e32 v69, 3, v72
	s_mov_b32 s44, exec_lo
	v_cmpx_gt_u32_e32 8, v72
; %bb.157:                              ;   in Loop: Header=BB166_12 Depth=1
	v_ffbh_u32_e32 v69, v29
	v_min_u32_e32 v69, 32, v69
	v_subrev_nc_u32_e32 v72, 28, v69
	v_sub_nc_u32_e32 v69, 29, v69
	v_lshlrev_b64 v[72:73], v72, v[29:30]
	v_and_b32_e32 v29, 7, v72
; %bb.158:                              ;   in Loop: Header=BB166_12 Depth=1
	s_or_b32 exec_lo, exec_lo, s44
	v_lshlrev_b32_e32 v71, 24, v71
	v_lshlrev_b32_e32 v29, 20, v29
	v_lshl_add_u32 v69, v69, 23, 0x3c000000
	v_and_b32_e32 v71, 0x80000000, v71
	v_or3_b32 v69, v29, v71, v69
.LBB166_159:                            ;   in Loop: Header=BB166_12 Depth=1
	s_or_b32 exec_lo, exec_lo, s43
.LBB166_160:                            ;   in Loop: Header=BB166_12 Depth=1
	s_or_b32 exec_lo, exec_lo, s42
.LBB166_161:                            ;   in Loop: Header=BB166_12 Depth=1
	s_or_b32 exec_lo, exec_lo, s41
	global_load_ubyte v73, v[35:36], off offset:520
	v_mov_b32_e32 v71, 0
	v_mov_b32_e32 v72, 0
	s_mov_b32 s41, exec_lo
	s_waitcnt vmcnt(0)
	v_cmpx_ne_u16_e32 0, v73
	s_cbranch_execz .LBB166_169
; %bb.162:                              ;   in Loop: Header=BB166_12 Depth=1
	v_bfrev_b32_e32 v72, 1
	s_mov_b32 s42, exec_lo
	v_cmpx_ne_u16_e32 0x80, v73
	s_cbranch_execz .LBB166_168
; %bb.163:                              ;   in Loop: Header=BB166_12 Depth=1
	v_and_b32_sdwa v74, v73, v47 dst_sel:DWORD dst_unused:UNUSED_PAD src0_sel:WORD_0 src1_sel:DWORD
	v_mov_b32_e32 v72, 0x7f800001
	s_mov_b32 s43, exec_lo
	v_cmpx_ne_u32_e32 0x7f, v74
	s_cbranch_execz .LBB166_167
; %bb.164:                              ;   in Loop: Header=BB166_12 Depth=1
	v_and_b32_sdwa v29, v73, v48 dst_sel:DWORD dst_unused:UNUSED_PAD src0_sel:WORD_0 src1_sel:DWORD
	v_lshrrev_b32_e32 v72, 3, v74
	s_mov_b32 s44, exec_lo
	v_cmpx_gt_u32_e32 8, v74
; %bb.165:                              ;   in Loop: Header=BB166_12 Depth=1
	v_ffbh_u32_e32 v72, v29
	v_min_u32_e32 v72, 32, v72
	v_subrev_nc_u32_e32 v74, 28, v72
	v_sub_nc_u32_e32 v72, 29, v72
	v_lshlrev_b64 v[74:75], v74, v[29:30]
	v_and_b32_e32 v29, 7, v74
; %bb.166:                              ;   in Loop: Header=BB166_12 Depth=1
	s_or_b32 exec_lo, exec_lo, s44
	v_lshlrev_b32_e32 v73, 24, v73
	v_lshlrev_b32_e32 v29, 20, v29
	v_lshl_add_u32 v72, v72, 23, 0x3c000000
	v_and_b32_e32 v73, 0x80000000, v73
	v_or3_b32 v72, v29, v73, v72
.LBB166_167:                            ;   in Loop: Header=BB166_12 Depth=1
	s_or_b32 exec_lo, exec_lo, s43
.LBB166_168:                            ;   in Loop: Header=BB166_12 Depth=1
	s_or_b32 exec_lo, exec_lo, s42
.LBB166_169:                            ;   in Loop: Header=BB166_12 Depth=1
	s_or_b32 exec_lo, exec_lo, s41
	global_load_ubyte v73, v[35:36], off offset:524
	s_mov_b32 s41, exec_lo
	s_waitcnt vmcnt(0)
	v_cmpx_ne_u16_e32 0, v73
	s_cbranch_execz .LBB166_177
; %bb.170:                              ;   in Loop: Header=BB166_12 Depth=1
	v_bfrev_b32_e32 v71, 1
	s_mov_b32 s42, exec_lo
	v_cmpx_ne_u16_e32 0x80, v73
	s_cbranch_execz .LBB166_176
; %bb.171:                              ;   in Loop: Header=BB166_12 Depth=1
	v_and_b32_sdwa v74, v73, v47 dst_sel:DWORD dst_unused:UNUSED_PAD src0_sel:WORD_0 src1_sel:DWORD
	v_mov_b32_e32 v71, 0x7f800001
	s_mov_b32 s43, exec_lo
	v_cmpx_ne_u32_e32 0x7f, v74
	s_cbranch_execz .LBB166_175
; %bb.172:                              ;   in Loop: Header=BB166_12 Depth=1
	v_and_b32_sdwa v29, v73, v48 dst_sel:DWORD dst_unused:UNUSED_PAD src0_sel:WORD_0 src1_sel:DWORD
	v_lshrrev_b32_e32 v71, 3, v74
	s_mov_b32 s44, exec_lo
	v_cmpx_gt_u32_e32 8, v74
; %bb.173:                              ;   in Loop: Header=BB166_12 Depth=1
	v_ffbh_u32_e32 v71, v29
	v_min_u32_e32 v71, 32, v71
	v_subrev_nc_u32_e32 v74, 28, v71
	v_sub_nc_u32_e32 v71, 29, v71
	v_lshlrev_b64 v[74:75], v74, v[29:30]
	v_and_b32_e32 v29, 7, v74
; %bb.174:                              ;   in Loop: Header=BB166_12 Depth=1
	s_or_b32 exec_lo, exec_lo, s44
	v_lshlrev_b32_e32 v73, 24, v73
	v_lshlrev_b32_e32 v29, 20, v29
	v_lshl_add_u32 v71, v71, 23, 0x3c000000
	v_and_b32_e32 v73, 0x80000000, v73
	v_or3_b32 v71, v29, v73, v71
.LBB166_175:                            ;   in Loop: Header=BB166_12 Depth=1
	s_or_b32 exec_lo, exec_lo, s43
.LBB166_176:                            ;   in Loop: Header=BB166_12 Depth=1
	s_or_b32 exec_lo, exec_lo, s42
.LBB166_177:                            ;   in Loop: Header=BB166_12 Depth=1
	s_or_b32 exec_lo, exec_lo, s41
	global_load_ubyte v75, v[35:36], off offset:640
	v_mov_b32_e32 v73, 0
	v_mov_b32_e32 v74, 0
	s_mov_b32 s41, exec_lo
	s_waitcnt vmcnt(0)
	v_cmpx_ne_u16_e32 0, v75
	s_cbranch_execz .LBB166_185
; %bb.178:                              ;   in Loop: Header=BB166_12 Depth=1
	v_bfrev_b32_e32 v74, 1
	s_mov_b32 s42, exec_lo
	v_cmpx_ne_u16_e32 0x80, v75
	s_cbranch_execz .LBB166_184
; %bb.179:                              ;   in Loop: Header=BB166_12 Depth=1
	v_and_b32_sdwa v76, v75, v47 dst_sel:DWORD dst_unused:UNUSED_PAD src0_sel:WORD_0 src1_sel:DWORD
	v_mov_b32_e32 v74, 0x7f800001
	s_mov_b32 s43, exec_lo
	v_cmpx_ne_u32_e32 0x7f, v76
	s_cbranch_execz .LBB166_183
; %bb.180:                              ;   in Loop: Header=BB166_12 Depth=1
	v_and_b32_sdwa v29, v75, v48 dst_sel:DWORD dst_unused:UNUSED_PAD src0_sel:WORD_0 src1_sel:DWORD
	v_lshrrev_b32_e32 v74, 3, v76
	s_mov_b32 s44, exec_lo
	v_cmpx_gt_u32_e32 8, v76
; %bb.181:                              ;   in Loop: Header=BB166_12 Depth=1
	v_ffbh_u32_e32 v74, v29
	v_min_u32_e32 v74, 32, v74
	v_subrev_nc_u32_e32 v76, 28, v74
	v_sub_nc_u32_e32 v74, 29, v74
	v_lshlrev_b64 v[76:77], v76, v[29:30]
	v_and_b32_e32 v29, 7, v76
; %bb.182:                              ;   in Loop: Header=BB166_12 Depth=1
	s_or_b32 exec_lo, exec_lo, s44
	v_lshlrev_b32_e32 v75, 24, v75
	v_lshlrev_b32_e32 v29, 20, v29
	v_lshl_add_u32 v74, v74, 23, 0x3c000000
	v_and_b32_e32 v75, 0x80000000, v75
	v_or3_b32 v74, v29, v75, v74
.LBB166_183:                            ;   in Loop: Header=BB166_12 Depth=1
	s_or_b32 exec_lo, exec_lo, s43
.LBB166_184:                            ;   in Loop: Header=BB166_12 Depth=1
	s_or_b32 exec_lo, exec_lo, s42
.LBB166_185:                            ;   in Loop: Header=BB166_12 Depth=1
	s_or_b32 exec_lo, exec_lo, s41
	global_load_ubyte v75, v[35:36], off offset:644
	s_mov_b32 s41, exec_lo
	s_waitcnt vmcnt(0)
	v_cmpx_ne_u16_e32 0, v75
	s_cbranch_execz .LBB166_193
; %bb.186:                              ;   in Loop: Header=BB166_12 Depth=1
	v_bfrev_b32_e32 v73, 1
	s_mov_b32 s42, exec_lo
	v_cmpx_ne_u16_e32 0x80, v75
	s_cbranch_execz .LBB166_192
; %bb.187:                              ;   in Loop: Header=BB166_12 Depth=1
	v_and_b32_sdwa v76, v75, v47 dst_sel:DWORD dst_unused:UNUSED_PAD src0_sel:WORD_0 src1_sel:DWORD
	v_mov_b32_e32 v73, 0x7f800001
	s_mov_b32 s43, exec_lo
	v_cmpx_ne_u32_e32 0x7f, v76
	s_cbranch_execz .LBB166_191
; %bb.188:                              ;   in Loop: Header=BB166_12 Depth=1
	v_and_b32_sdwa v29, v75, v48 dst_sel:DWORD dst_unused:UNUSED_PAD src0_sel:WORD_0 src1_sel:DWORD
	v_lshrrev_b32_e32 v73, 3, v76
	s_mov_b32 s44, exec_lo
	v_cmpx_gt_u32_e32 8, v76
; %bb.189:                              ;   in Loop: Header=BB166_12 Depth=1
	v_ffbh_u32_e32 v73, v29
	v_min_u32_e32 v73, 32, v73
	v_subrev_nc_u32_e32 v76, 28, v73
	v_sub_nc_u32_e32 v73, 29, v73
	v_lshlrev_b64 v[76:77], v76, v[29:30]
	v_and_b32_e32 v29, 7, v76
; %bb.190:                              ;   in Loop: Header=BB166_12 Depth=1
	s_or_b32 exec_lo, exec_lo, s44
	v_lshlrev_b32_e32 v75, 24, v75
	v_lshlrev_b32_e32 v29, 20, v29
	v_lshl_add_u32 v73, v73, 23, 0x3c000000
	v_and_b32_e32 v75, 0x80000000, v75
	v_or3_b32 v73, v29, v75, v73
.LBB166_191:                            ;   in Loop: Header=BB166_12 Depth=1
	s_or_b32 exec_lo, exec_lo, s43
.LBB166_192:                            ;   in Loop: Header=BB166_12 Depth=1
	s_or_b32 exec_lo, exec_lo, s42
.LBB166_193:                            ;   in Loop: Header=BB166_12 Depth=1
	s_or_b32 exec_lo, exec_lo, s41
	global_load_ubyte v77, v[35:36], off offset:648
	v_mov_b32_e32 v75, 0
	v_mov_b32_e32 v76, 0
	s_mov_b32 s41, exec_lo
	s_waitcnt vmcnt(0)
	v_cmpx_ne_u16_e32 0, v77
	s_cbranch_execz .LBB166_201
; %bb.194:                              ;   in Loop: Header=BB166_12 Depth=1
	v_bfrev_b32_e32 v76, 1
	s_mov_b32 s42, exec_lo
	v_cmpx_ne_u16_e32 0x80, v77
	s_cbranch_execz .LBB166_200
; %bb.195:                              ;   in Loop: Header=BB166_12 Depth=1
	v_and_b32_sdwa v78, v77, v47 dst_sel:DWORD dst_unused:UNUSED_PAD src0_sel:WORD_0 src1_sel:DWORD
	v_mov_b32_e32 v76, 0x7f800001
	s_mov_b32 s43, exec_lo
	v_cmpx_ne_u32_e32 0x7f, v78
	s_cbranch_execz .LBB166_199
; %bb.196:                              ;   in Loop: Header=BB166_12 Depth=1
	v_and_b32_sdwa v29, v77, v48 dst_sel:DWORD dst_unused:UNUSED_PAD src0_sel:WORD_0 src1_sel:DWORD
	v_lshrrev_b32_e32 v76, 3, v78
	s_mov_b32 s44, exec_lo
	v_cmpx_gt_u32_e32 8, v78
; %bb.197:                              ;   in Loop: Header=BB166_12 Depth=1
	v_ffbh_u32_e32 v76, v29
	v_min_u32_e32 v76, 32, v76
	v_subrev_nc_u32_e32 v78, 28, v76
	v_sub_nc_u32_e32 v76, 29, v76
	v_lshlrev_b64 v[78:79], v78, v[29:30]
	v_and_b32_e32 v29, 7, v78
; %bb.198:                              ;   in Loop: Header=BB166_12 Depth=1
	s_or_b32 exec_lo, exec_lo, s44
	v_lshlrev_b32_e32 v77, 24, v77
	v_lshlrev_b32_e32 v29, 20, v29
	v_lshl_add_u32 v76, v76, 23, 0x3c000000
	v_and_b32_e32 v77, 0x80000000, v77
	v_or3_b32 v76, v29, v77, v76
.LBB166_199:                            ;   in Loop: Header=BB166_12 Depth=1
	s_or_b32 exec_lo, exec_lo, s43
.LBB166_200:                            ;   in Loop: Header=BB166_12 Depth=1
	s_or_b32 exec_lo, exec_lo, s42
.LBB166_201:                            ;   in Loop: Header=BB166_12 Depth=1
	s_or_b32 exec_lo, exec_lo, s41
	global_load_ubyte v77, v[35:36], off offset:652
	s_mov_b32 s41, exec_lo
	s_waitcnt vmcnt(0)
	v_cmpx_ne_u16_e32 0, v77
	s_cbranch_execz .LBB166_209
; %bb.202:                              ;   in Loop: Header=BB166_12 Depth=1
	v_bfrev_b32_e32 v75, 1
	s_mov_b32 s42, exec_lo
	v_cmpx_ne_u16_e32 0x80, v77
	s_cbranch_execz .LBB166_208
; %bb.203:                              ;   in Loop: Header=BB166_12 Depth=1
	v_and_b32_sdwa v78, v77, v47 dst_sel:DWORD dst_unused:UNUSED_PAD src0_sel:WORD_0 src1_sel:DWORD
	v_mov_b32_e32 v75, 0x7f800001
	s_mov_b32 s43, exec_lo
	v_cmpx_ne_u32_e32 0x7f, v78
	s_cbranch_execz .LBB166_207
; %bb.204:                              ;   in Loop: Header=BB166_12 Depth=1
	v_and_b32_sdwa v29, v77, v48 dst_sel:DWORD dst_unused:UNUSED_PAD src0_sel:WORD_0 src1_sel:DWORD
	v_lshrrev_b32_e32 v75, 3, v78
	s_mov_b32 s44, exec_lo
	v_cmpx_gt_u32_e32 8, v78
; %bb.205:                              ;   in Loop: Header=BB166_12 Depth=1
	v_ffbh_u32_e32 v75, v29
	v_min_u32_e32 v75, 32, v75
	v_subrev_nc_u32_e32 v78, 28, v75
	v_sub_nc_u32_e32 v75, 29, v75
	v_lshlrev_b64 v[78:79], v78, v[29:30]
	v_and_b32_e32 v29, 7, v78
; %bb.206:                              ;   in Loop: Header=BB166_12 Depth=1
	s_or_b32 exec_lo, exec_lo, s44
	v_lshlrev_b32_e32 v77, 24, v77
	v_lshlrev_b32_e32 v29, 20, v29
	v_lshl_add_u32 v75, v75, 23, 0x3c000000
	v_and_b32_e32 v77, 0x80000000, v77
	v_or3_b32 v75, v29, v77, v75
.LBB166_207:                            ;   in Loop: Header=BB166_12 Depth=1
	s_or_b32 exec_lo, exec_lo, s43
.LBB166_208:                            ;   in Loop: Header=BB166_12 Depth=1
	s_or_b32 exec_lo, exec_lo, s42
.LBB166_209:                            ;   in Loop: Header=BB166_12 Depth=1
	s_or_b32 exec_lo, exec_lo, s41
	global_load_ubyte v79, v[35:36], off offset:768
	v_mov_b32_e32 v77, 0
	v_mov_b32_e32 v78, 0
	s_mov_b32 s41, exec_lo
	s_waitcnt vmcnt(0)
	v_cmpx_ne_u16_e32 0, v79
	s_cbranch_execz .LBB166_217
; %bb.210:                              ;   in Loop: Header=BB166_12 Depth=1
	v_bfrev_b32_e32 v78, 1
	s_mov_b32 s42, exec_lo
	v_cmpx_ne_u16_e32 0x80, v79
	s_cbranch_execz .LBB166_216
; %bb.211:                              ;   in Loop: Header=BB166_12 Depth=1
	v_and_b32_sdwa v80, v79, v47 dst_sel:DWORD dst_unused:UNUSED_PAD src0_sel:WORD_0 src1_sel:DWORD
	v_mov_b32_e32 v78, 0x7f800001
	s_mov_b32 s43, exec_lo
	v_cmpx_ne_u32_e32 0x7f, v80
	s_cbranch_execz .LBB166_215
; %bb.212:                              ;   in Loop: Header=BB166_12 Depth=1
	v_and_b32_sdwa v29, v79, v48 dst_sel:DWORD dst_unused:UNUSED_PAD src0_sel:WORD_0 src1_sel:DWORD
	v_lshrrev_b32_e32 v78, 3, v80
	s_mov_b32 s44, exec_lo
	v_cmpx_gt_u32_e32 8, v80
; %bb.213:                              ;   in Loop: Header=BB166_12 Depth=1
	v_ffbh_u32_e32 v78, v29
	v_min_u32_e32 v78, 32, v78
	v_subrev_nc_u32_e32 v80, 28, v78
	v_sub_nc_u32_e32 v78, 29, v78
	v_lshlrev_b64 v[80:81], v80, v[29:30]
	v_and_b32_e32 v29, 7, v80
; %bb.214:                              ;   in Loop: Header=BB166_12 Depth=1
	s_or_b32 exec_lo, exec_lo, s44
	v_lshlrev_b32_e32 v79, 24, v79
	v_lshlrev_b32_e32 v29, 20, v29
	v_lshl_add_u32 v78, v78, 23, 0x3c000000
	v_and_b32_e32 v79, 0x80000000, v79
	v_or3_b32 v78, v29, v79, v78
.LBB166_215:                            ;   in Loop: Header=BB166_12 Depth=1
	s_or_b32 exec_lo, exec_lo, s43
.LBB166_216:                            ;   in Loop: Header=BB166_12 Depth=1
	s_or_b32 exec_lo, exec_lo, s42
.LBB166_217:                            ;   in Loop: Header=BB166_12 Depth=1
	s_or_b32 exec_lo, exec_lo, s41
	global_load_ubyte v79, v[35:36], off offset:772
	s_mov_b32 s41, exec_lo
	s_waitcnt vmcnt(0)
	v_cmpx_ne_u16_e32 0, v79
	s_cbranch_execz .LBB166_225
; %bb.218:                              ;   in Loop: Header=BB166_12 Depth=1
	v_bfrev_b32_e32 v77, 1
	s_mov_b32 s42, exec_lo
	v_cmpx_ne_u16_e32 0x80, v79
	s_cbranch_execz .LBB166_224
; %bb.219:                              ;   in Loop: Header=BB166_12 Depth=1
	v_and_b32_sdwa v80, v79, v47 dst_sel:DWORD dst_unused:UNUSED_PAD src0_sel:WORD_0 src1_sel:DWORD
	v_mov_b32_e32 v77, 0x7f800001
	s_mov_b32 s43, exec_lo
	v_cmpx_ne_u32_e32 0x7f, v80
	s_cbranch_execz .LBB166_223
; %bb.220:                              ;   in Loop: Header=BB166_12 Depth=1
	v_and_b32_sdwa v29, v79, v48 dst_sel:DWORD dst_unused:UNUSED_PAD src0_sel:WORD_0 src1_sel:DWORD
	v_lshrrev_b32_e32 v77, 3, v80
	s_mov_b32 s44, exec_lo
	v_cmpx_gt_u32_e32 8, v80
; %bb.221:                              ;   in Loop: Header=BB166_12 Depth=1
	v_ffbh_u32_e32 v77, v29
	v_min_u32_e32 v77, 32, v77
	v_subrev_nc_u32_e32 v80, 28, v77
	v_sub_nc_u32_e32 v77, 29, v77
	v_lshlrev_b64 v[80:81], v80, v[29:30]
	v_and_b32_e32 v29, 7, v80
; %bb.222:                              ;   in Loop: Header=BB166_12 Depth=1
	s_or_b32 exec_lo, exec_lo, s44
	v_lshlrev_b32_e32 v79, 24, v79
	v_lshlrev_b32_e32 v29, 20, v29
	v_lshl_add_u32 v77, v77, 23, 0x3c000000
	v_and_b32_e32 v79, 0x80000000, v79
	v_or3_b32 v77, v29, v79, v77
.LBB166_223:                            ;   in Loop: Header=BB166_12 Depth=1
	s_or_b32 exec_lo, exec_lo, s43
.LBB166_224:                            ;   in Loop: Header=BB166_12 Depth=1
	s_or_b32 exec_lo, exec_lo, s42
.LBB166_225:                            ;   in Loop: Header=BB166_12 Depth=1
	s_or_b32 exec_lo, exec_lo, s41
	global_load_ubyte v81, v[35:36], off offset:776
	v_mov_b32_e32 v79, 0
	v_mov_b32_e32 v80, 0
	s_mov_b32 s41, exec_lo
	s_waitcnt vmcnt(0)
	v_cmpx_ne_u16_e32 0, v81
	s_cbranch_execz .LBB166_233
; %bb.226:                              ;   in Loop: Header=BB166_12 Depth=1
	v_bfrev_b32_e32 v80, 1
	s_mov_b32 s42, exec_lo
	v_cmpx_ne_u16_e32 0x80, v81
	s_cbranch_execz .LBB166_232
; %bb.227:                              ;   in Loop: Header=BB166_12 Depth=1
	v_and_b32_sdwa v82, v81, v47 dst_sel:DWORD dst_unused:UNUSED_PAD src0_sel:WORD_0 src1_sel:DWORD
	v_mov_b32_e32 v80, 0x7f800001
	s_mov_b32 s43, exec_lo
	v_cmpx_ne_u32_e32 0x7f, v82
	s_cbranch_execz .LBB166_231
; %bb.228:                              ;   in Loop: Header=BB166_12 Depth=1
	v_and_b32_sdwa v29, v81, v48 dst_sel:DWORD dst_unused:UNUSED_PAD src0_sel:WORD_0 src1_sel:DWORD
	v_lshrrev_b32_e32 v80, 3, v82
	s_mov_b32 s44, exec_lo
	v_cmpx_gt_u32_e32 8, v82
; %bb.229:                              ;   in Loop: Header=BB166_12 Depth=1
	v_ffbh_u32_e32 v80, v29
	v_min_u32_e32 v80, 32, v80
	v_subrev_nc_u32_e32 v82, 28, v80
	v_sub_nc_u32_e32 v80, 29, v80
	v_lshlrev_b64 v[82:83], v82, v[29:30]
	v_and_b32_e32 v29, 7, v82
; %bb.230:                              ;   in Loop: Header=BB166_12 Depth=1
	s_or_b32 exec_lo, exec_lo, s44
	v_lshlrev_b32_e32 v81, 24, v81
	v_lshlrev_b32_e32 v29, 20, v29
	v_lshl_add_u32 v80, v80, 23, 0x3c000000
	v_and_b32_e32 v81, 0x80000000, v81
	v_or3_b32 v80, v29, v81, v80
.LBB166_231:                            ;   in Loop: Header=BB166_12 Depth=1
	s_or_b32 exec_lo, exec_lo, s43
.LBB166_232:                            ;   in Loop: Header=BB166_12 Depth=1
	s_or_b32 exec_lo, exec_lo, s42
.LBB166_233:                            ;   in Loop: Header=BB166_12 Depth=1
	s_or_b32 exec_lo, exec_lo, s41
	global_load_ubyte v35, v[35:36], off offset:780
	s_mov_b32 s41, exec_lo
	s_waitcnt vmcnt(0)
	v_cmpx_ne_u16_e32 0, v35
	s_cbranch_execz .LBB166_241
; %bb.234:                              ;   in Loop: Header=BB166_12 Depth=1
	v_bfrev_b32_e32 v79, 1
	s_mov_b32 s42, exec_lo
	v_cmpx_ne_u16_e32 0x80, v35
	s_cbranch_execz .LBB166_240
; %bb.235:                              ;   in Loop: Header=BB166_12 Depth=1
	v_and_b32_sdwa v81, v35, v47 dst_sel:DWORD dst_unused:UNUSED_PAD src0_sel:WORD_0 src1_sel:DWORD
	v_mov_b32_e32 v79, 0x7f800001
	s_mov_b32 s43, exec_lo
	v_cmpx_ne_u32_e32 0x7f, v81
	s_cbranch_execz .LBB166_239
; %bb.236:                              ;   in Loop: Header=BB166_12 Depth=1
	v_and_b32_sdwa v29, v35, v48 dst_sel:DWORD dst_unused:UNUSED_PAD src0_sel:WORD_0 src1_sel:DWORD
	v_lshrrev_b32_e32 v36, 3, v81
	s_mov_b32 s44, exec_lo
	v_cmpx_gt_u32_e32 8, v81
; %bb.237:                              ;   in Loop: Header=BB166_12 Depth=1
	v_ffbh_u32_e32 v36, v29
	v_min_u32_e32 v36, 32, v36
	v_subrev_nc_u32_e32 v79, 28, v36
	v_sub_nc_u32_e32 v36, 29, v36
	v_lshlrev_b64 v[81:82], v79, v[29:30]
	v_and_b32_e32 v29, 7, v81
; %bb.238:                              ;   in Loop: Header=BB166_12 Depth=1
	s_or_b32 exec_lo, exec_lo, s44
	v_lshlrev_b32_e32 v35, 24, v35
	v_lshlrev_b32_e32 v29, 20, v29
	v_lshl_add_u32 v36, v36, 23, 0x3c000000
	v_and_b32_e32 v35, 0x80000000, v35
	v_or3_b32 v79, v29, v35, v36
.LBB166_239:                            ;   in Loop: Header=BB166_12 Depth=1
	s_or_b32 exec_lo, exec_lo, s43
.LBB166_240:                            ;   in Loop: Header=BB166_12 Depth=1
	s_or_b32 exec_lo, exec_lo, s42
.LBB166_241:                            ;   in Loop: Header=BB166_12 Depth=1
	s_or_b32 exec_lo, exec_lo, s41
	s_waitcnt lgkmcnt(0)
	v_mul_f32_e32 v29, s40, v53
	v_mul_f32_e32 v35, s40, v54
	;; [unrolled: 1-line block ×4, first 2 shown]
	v_fmac_f32_e32 v26, v25, v35
	v_mul_f32_e32 v25, s40, v55
	v_fmac_f32_e32 v26, v27, v29
	v_mul_f32_e32 v27, s40, v58
	;; [unrolled: 2-line block ×23, first 2 shown]
	v_fmac_f32_e32 v26, v1, v5
	v_xor_b32_e32 v1, 2, v41
	v_mul_f32_e32 v5, s40, v80
	v_fmac_f32_e32 v26, v2, v6
	v_cmp_gt_i32_e64 s2, 32, v1
	v_mul_f32_e32 v2, s40, v79
	v_fmac_f32_e32 v26, v3, v5
	v_cndmask_b32_e64 v1, v41, v1, s2
	v_fmac_f32_e32 v26, v4, v2
	v_lshlrev_b32_e32 v1, 2, v1
	v_xor_b32_e32 v2, 1, v41
	ds_bpermute_b32 v1, v1, v26
	v_cmp_gt_i32_e64 s2, 32, v2
	v_cndmask_b32_e64 v2, v41, v2, s2
	v_lshlrev_b32_e32 v2, 2, v2
	s_waitcnt lgkmcnt(0)
	v_add_f32_e32 v1, v26, v1
	ds_bpermute_b32 v2, v2, v1
	s_and_saveexec_b32 s40, vcc_lo
	s_cbranch_execz .LBB166_10
; %bb.242:                              ;   in Loop: Header=BB166_12 Depth=1
	v_add_nc_u32_e32 v3, v49, v45
	s_waitcnt lgkmcnt(0)
	v_add_f32_e32 v1, v1, v2
	v_cvt_f32_i32_e32 v3, v3
	v_mul_f32_e32 v3, s36, v3
	v_cndmask_b32_e64 v2, 0, v3, s1
	v_max_f32_e32 v3, v43, v43
	v_fmac_f32_e32 v2, s35, v1
	v_add_nc_u32_e32 v1, v42, v45
	v_max_f32_e32 v3, v3, v2
	v_cmp_gt_i32_e64 s2, s33, v1
	v_cndmask_b32_e64 v1, 0, v2, s2
	v_cndmask_b32_e64 v43, v43, v3, s2
	ds_write_b32 v50, v1
	s_branch .LBB166_10
.LBB166_243:
	s_or_b32 exec_lo, exec_lo, s38
.LBB166_244:
	s_or_b32 exec_lo, exec_lo, s37
	v_xor_b32_e32 v1, 16, v41
	v_xor_b32_e32 v3, 8, v41
	v_max_f32_e32 v4, v43, v43
	v_xor_b32_e32 v5, 4, v41
	v_and_b32_e32 v25, 31, v0
	v_cmp_gt_i32_e32 vcc_lo, 32, v1
	v_cndmask_b32_e32 v1, v41, v1, vcc_lo
	v_cmp_gt_i32_e32 vcc_lo, 32, v3
	s_waitcnt lgkmcnt(0)
	v_lshlrev_b32_e32 v2, 2, v1
	v_cndmask_b32_e32 v3, v41, v3, vcc_lo
	v_cmp_gt_i32_e32 vcc_lo, 32, v5
	ds_bpermute_b32 v1, v2, v43
	v_lshlrev_b32_e32 v3, 2, v3
	v_cndmask_b32_e32 v5, v41, v5, vcc_lo
	v_cmp_eq_u32_e32 vcc_lo, 0, v25
	v_lshlrev_b32_e32 v6, 2, v5
	s_waitcnt lgkmcnt(0)
	v_max_f32_e32 v1, v1, v1
	v_max_f32_e32 v1, v4, v1
	ds_bpermute_b32 v4, v3, v1
	s_waitcnt lgkmcnt(0)
	v_max_f32_e32 v4, v4, v4
	v_max_f32_e32 v1, v1, v4
	v_lshlrev_b32_e32 v4, 2, v37
	ds_bpermute_b32 v5, v6, v1
	s_and_saveexec_b32 s1, vcc_lo
	s_cbranch_execz .LBB166_246
; %bb.245:
	s_waitcnt lgkmcnt(0)
	v_max_f32_e32 v5, v5, v5
	v_max_f32_e32 v1, v1, v1
	;; [unrolled: 1-line block ×3, first 2 shown]
	ds_write_b32 v4, v1 offset:448
.LBB166_246:
	s_or_b32 exec_lo, exec_lo, s1
	v_cmp_gt_u32_e64 s1, 4, v25
	v_mov_b32_e32 v1, 0xff7fffff
	s_waitcnt lgkmcnt(0)
	v_lshlrev_b32_e32 v5, 2, v25
	s_barrier
	buffer_gl0_inv
	s_and_saveexec_b32 s2, s1
; %bb.247:
	ds_read_b32 v1, v5 offset:448
; %bb.248:
	s_or_b32 exec_lo, exec_lo, s2
	v_xor_b32_e32 v7, 2, v41
	v_xor_b32_e32 v9, 1, v41
	v_cmp_gt_i32_e64 s2, 32, v7
	v_cndmask_b32_e64 v7, v41, v7, s2
	v_cmp_gt_i32_e64 s2, 32, v9
	v_lshlrev_b32_e32 v7, 2, v7
	v_cndmask_b32_e64 v9, v41, v9, s2
	s_lshl_b32 s2, s20, 3
	s_min_i32 s4, s2, s33
	s_waitcnt lgkmcnt(0)
	ds_bpermute_b32 v8, v7, v1
	v_max_f32_e32 v1, v1, v1
	v_lshlrev_b32_e32 v26, 2, v9
	v_cmp_gt_i32_e64 s2, s4, v0
	s_waitcnt lgkmcnt(0)
	v_max_f32_e32 v8, v8, v8
	v_max_f32_e32 v1, v1, v8
	ds_bpermute_b32 v8, v26, v1
	s_waitcnt lgkmcnt(0)
	v_max_f32_e32 v8, v8, v8
	v_max_f32_e32 v1, v1, v8
	v_mov_b32_e32 v8, 0
	ds_bpermute_b32 v9, v8, v1
	v_lshl_add_u32 v1, v0, 2, 0x1e0
	s_and_saveexec_b32 s5, s2
	s_cbranch_execz .LBB166_252
; %bb.249:
	v_lshl_add_u32 v10, v0, 2, 0x1e0
	v_mov_b32_e32 v8, 0
	v_mov_b32_e32 v11, v0
	s_mov_b32 s12, 0
	.p2align	6
.LBB166_250:                            ; =>This Inner Loop Header: Depth=1
	ds_read_b32 v12, v10
	v_add_nc_u32_e32 v11, 0x80, v11
	v_cmp_le_i32_e64 s3, s4, v11
	s_or_b32 s12, s3, s12
	s_waitcnt lgkmcnt(0)
	v_sub_f32_e32 v12, v12, v9
	v_mul_f32_e32 v12, 0x3fb8aa3b, v12
	v_exp_f32_e32 v12, v12
	ds_write_b32 v10, v12
	v_add_f32_e32 v8, v8, v12
	v_add_nc_u32_e32 v10, 0x200, v10
	s_andn2_b32 exec_lo, exec_lo, s12
	s_cbranch_execnz .LBB166_250
; %bb.251:
	s_or_b32 exec_lo, exec_lo, s12
.LBB166_252:
	s_or_b32 exec_lo, exec_lo, s5
	ds_bpermute_b32 v2, v2, v8
	s_waitcnt lgkmcnt(0)
	v_add_f32_e32 v2, v8, v2
	ds_bpermute_b32 v3, v3, v2
	s_waitcnt lgkmcnt(0)
	v_add_f32_e32 v2, v2, v3
	;; [unrolled: 3-line block ×5, first 2 shown]
	s_and_saveexec_b32 s3, vcc_lo
; %bb.253:
	ds_write_b32 v4, v2 offset:464
; %bb.254:
	s_or_b32 exec_lo, exec_lo, s3
	s_waitcnt lgkmcnt(0)
	s_barrier
	buffer_gl0_inv
	s_and_saveexec_b32 s3, s1
; %bb.255:
	ds_read_b32 v2, v5 offset:464
; %bb.256:
	s_or_b32 exec_lo, exec_lo, s3
	s_waitcnt lgkmcnt(0)
	ds_bpermute_b32 v3, v7, v2
	s_waitcnt lgkmcnt(0)
	v_add_f32_e32 v2, v2, v3
	ds_bpermute_b32 v3, v26, v2
	s_waitcnt lgkmcnt(0)
	v_add_f32_e32 v2, v2, v3
	v_mov_b32_e32 v3, 0
	ds_bpermute_b32 v2, v3, v2
	s_and_saveexec_b32 s1, s2
	s_cbranch_execz .LBB166_259
; %bb.257:
	s_waitcnt lgkmcnt(0)
	v_add_f32_e32 v2, 0x358637bd, v2
	s_mov_b32 s2, 0
	v_div_scale_f32 v3, null, v2, v2, 1.0
	v_div_scale_f32 v6, vcc_lo, 1.0, v2, 1.0
	v_rcp_f32_e32 v4, v3
	v_fma_f32 v5, -v3, v4, 1.0
	v_fmac_f32_e32 v4, v5, v4
	v_mul_f32_e32 v5, v6, v4
	v_fma_f32 v7, -v3, v5, v6
	v_fmac_f32_e32 v5, v7, v4
	v_fma_f32 v3, -v3, v5, v6
	v_div_fmas_f32 v3, v3, v4, v5
	v_div_fixup_f32 v2, v3, v2, 1.0
	v_mov_b32_e32 v3, v0
.LBB166_258:                            ; =>This Inner Loop Header: Depth=1
	ds_read_b32 v4, v1
	v_add_nc_u32_e32 v3, 0x80, v3
	v_cmp_le_i32_e32 vcc_lo, s4, v3
	s_or_b32 s2, vcc_lo, s2
	s_waitcnt lgkmcnt(0)
	v_mul_f32_e32 v4, v2, v4
	ds_write_b32 v1, v4
	v_add_nc_u32_e32 v1, 0x200, v1
	s_andn2_b32 exec_lo, exec_lo, s2
	s_cbranch_execnz .LBB166_258
.LBB166_259:
	s_or_b32 exec_lo, exec_lo, s1
	v_mov_b32_e32 v34, 0
	v_and_b32_e32 v27, 1, v0
	v_mov_b32_e32 v33, 0
	v_mov_b32_e32 v32, 0
	;; [unrolled: 1-line block ×6, first 2 shown]
	s_waitcnt lgkmcnt(0)
	s_barrier
	buffer_gl0_inv
	s_and_saveexec_b32 s1, s0
	s_cbranch_execz .LBB166_503
; %bb.260:
	s_sub_i32 s2, s34, s21
	s_ashr_i32 s0, s18, 31
	s_add_u32 s5, s30, s18
	s_addc_u32 s0, s31, s0
	s_abs_i32 s3, s22
	v_and_b32_e32 v2, 0x7c, v39
	v_cvt_f32_u32_e32 v1, s3
	s_sub_i32 s4, 0, s3
	v_lshlrev_b32_e32 v4, 4, v27
	v_and_b32_e32 v3, 0x7c, v40
	v_add_co_u32 v11, s5, s5, v2
	v_rcp_iflag_f32_e32 v1, v1
	s_lshl_b64 s[12:13], s[28:29], 2
	v_lshl_or_b32 v4, v37, 5, v4
	v_add_co_ci_u32_e64 v12, null, s0, 0, s5
	v_and_b32_e32 v35, 4, v39
	v_mov_b32_e32 v6, 0
	v_mov_b32_e32 v36, 0x80
	v_bfrev_b32_e32 v8, 1
	v_mov_b32_e32 v39, 0xffff
	v_mul_f32_e32 v1, 0x4f7ffffe, v1
	v_mov_b32_e32 v10, 0x7f800001
	v_mov_b32_e32 v40, 0xff
	v_mov_b32_e32 v41, 7
	v_mov_b32_e32 v42, 24
	v_cvt_u32_f32_e32 v1, v1
	v_mov_b32_e32 v28, 0
	v_mov_b32_e32 v29, 0
	;; [unrolled: 1-line block ×4, first 2 shown]
	v_mul_lo_u32 v5, s4, v1
	s_add_i32 s4, s20, -1
	s_add_u32 s0, s26, s12
	s_addc_u32 s5, s27, s13
	v_add_co_u32 v13, s0, s0, v3
	v_mov_b32_e32 v32, 0
	v_mov_b32_e32 v33, 0
	v_mul_hi_u32 v2, v1, v5
	v_mov_b32_e32 v34, 0
	v_add_co_ci_u32_e64 v14, null, s5, 0, s0
	v_add_nc_u32_e32 v43, 0x1e0, v4
	v_mov_b32_e32 v45, v37
	s_mov_b32 s12, s17
	s_mov_b32 s5, 0
	v_add_nc_u32_e32 v44, v1, v2
	s_branch .LBB166_263
.LBB166_261:                            ;   in Loop: Header=BB166_263 Depth=1
	s_or_b32 exec_lo, exec_lo, s0
	v_mul_f32_e32 v16, v1, v71
	v_mul_f32_e32 v17, v1, v69
	;; [unrolled: 1-line block ×7, first 2 shown]
	v_fmac_f32_e32 v16, v2, v70
	v_fmac_f32_e32 v17, v2, v68
	;; [unrolled: 1-line block ×21, first 2 shown]
	v_add_f32_e32 v29, v29, v16
	v_add_f32_e32 v30, v30, v17
	;; [unrolled: 1-line block ×7, first 2 shown]
.LBB166_262:                            ;   in Loop: Header=BB166_263 Depth=1
	s_or_b32 exec_lo, exec_lo, s13
	v_add_nc_u32_e32 v45, 4, v45
	v_add_co_u32 v13, s0, v13, 16
	v_add_co_ci_u32_e64 v14, null, 0, v14, s0
	v_cmp_le_i32_e32 vcc_lo, s20, v45
	v_add_nc_u32_e32 v38, 32, v38
	v_add_nc_u32_e32 v43, 0x80, v43
	s_or_b32 s5, vcc_lo, s5
	s_andn2_b32 exec_lo, exec_lo, s5
	s_cbranch_execz .LBB166_502
.LBB166_263:                            ; =>This Inner Loop Header: Depth=1
	v_mul_hi_u32 v1, v38, s19
	v_mul_lo_u32 v2, v1, s16
	v_add_nc_u32_e32 v3, 1, v1
	v_sub_nc_u32_e32 v2, v38, v2
	v_subrev_nc_u32_e32 v4, s16, v2
	v_cmp_le_u32_e32 vcc_lo, s16, v2
	v_cndmask_b32_e32 v1, v1, v3, vcc_lo
	v_cndmask_b32_e32 v2, v2, v4, vcc_lo
	v_add_nc_u32_e32 v3, 1, v1
	v_cmp_le_u32_e32 vcc_lo, s16, v2
	v_cndmask_b32_e32 v1, v1, v3, vcc_lo
	v_xor_b32_e32 v1, s23, v1
	v_subrev_nc_u32_e32 v1, s23, v1
	v_add_nc_u32_e32 v2, s25, v1
	v_cmp_lt_i32_e64 s0, s2, v1
	v_sub_nc_u32_e32 v3, 0, v2
	v_max_i32_e32 v3, v2, v3
	v_ashrrev_i32_e32 v2, 31, v2
	v_mul_hi_u32 v4, v3, v44
	v_mul_lo_u32 v4, v4, s3
	v_sub_nc_u32_e32 v3, v3, v4
	v_subrev_nc_u32_e32 v4, s3, v3
	v_cmp_le_u32_e32 vcc_lo, s3, v3
	v_cndmask_b32_e32 v3, v3, v4, vcc_lo
	v_subrev_nc_u32_e32 v4, s3, v3
	v_cmp_le_u32_e32 vcc_lo, s3, v3
	v_cndmask_b32_e32 v3, v3, v4, vcc_lo
	v_xor_b32_e32 v3, v3, v2
	v_sub_nc_u32_e32 v2, v3, v2
	v_cmp_eq_u32_e32 vcc_lo, 0, v2
	s_or_b32 s0, vcc_lo, s0
	s_and_saveexec_b32 s13, s0
	s_cbranch_execz .LBB166_262
; %bb.264:                              ;   in Loop: Header=BB166_263 Depth=1
	global_load_dword v1, v[13:14], off
	s_load_dword s17, s[14:15], 0x0
	v_mov_b32_e32 v19, 0
	v_mov_b32_e32 v17, 0
	;; [unrolled: 1-line block ×4, first 2 shown]
	s_waitcnt vmcnt(0)
	v_mad_i64_i32 v[15:16], null, v1, s12, v[11:12]
	ds_read_b128 v[1:4], v43
	global_load_dword v46, v[15:16], off
	s_waitcnt vmcnt(0)
	v_cmp_ne_u16_sdwa s18, v46, v6 src0_sel:BYTE_0 src1_sel:DWORD
	s_and_saveexec_b32 s0, s18
	s_cbranch_execz .LBB166_272
; %bb.265:                              ;   in Loop: Header=BB166_263 Depth=1
	v_bfrev_b32_e32 v17, 1
	v_mov_b32_e32 v18, 0
	v_cmp_ne_u16_sdwa s21, v46, v36 src0_sel:BYTE_0 src1_sel:DWORD
	s_and_saveexec_b32 s18, s21
	s_cbranch_execz .LBB166_271
; %bb.266:                              ;   in Loop: Header=BB166_263 Depth=1
	v_mov_b32_e32 v17, 0x7f800001
	v_and_b32_e32 v9, 0x7f, v46
	v_mov_b32_e32 v18, 0
	s_mov_b32 s21, exec_lo
	v_cmpx_ne_u32_e32 0x7f, v9
	s_cbranch_execz .LBB166_270
; %bb.267:                              ;   in Loop: Header=BB166_263 Depth=1
	v_and_b32_e32 v5, 7, v46
	v_lshrrev_b32_e32 v7, 3, v9
	s_mov_b32 s22, exec_lo
	v_cmpx_gt_u32_e32 8, v9
; %bb.268:                              ;   in Loop: Header=BB166_263 Depth=1
	v_ffbh_u32_e32 v7, v5
	v_min_u32_e32 v7, 32, v7
	v_subrev_nc_u32_e32 v9, 28, v7
	v_sub_nc_u32_e32 v7, 29, v7
	v_lshlrev_b64 v[17:18], v9, v[5:6]
	v_and_b32_e32 v5, 7, v17
; %bb.269:                              ;   in Loop: Header=BB166_263 Depth=1
	s_or_b32 exec_lo, exec_lo, s22
	v_lshlrev_b32_e32 v9, 24, v46
	v_lshlrev_b32_e32 v5, 20, v5
	v_lshl_add_u32 v7, v7, 23, 0x3c000000
	v_and_b32_e32 v9, 0x80000000, v9
	v_or3_b32 v5, v5, v9, v7
	v_mov_b32_e32 v18, v6
	v_mov_b32_e32 v17, v5
.LBB166_270:                            ;   in Loop: Header=BB166_263 Depth=1
	s_or_b32 exec_lo, exec_lo, s21
.LBB166_271:                            ;   in Loop: Header=BB166_263 Depth=1
	s_or_b32 exec_lo, exec_lo, s18
.LBB166_272:                            ;   in Loop: Header=BB166_263 Depth=1
	s_or_b32 exec_lo, exec_lo, s0
	v_cmp_ne_u16_sdwa s18, v46, v6 src0_sel:BYTE_1 src1_sel:DWORD
	s_and_saveexec_b32 s0, s18
	s_cbranch_execz .LBB166_280
; %bb.273:                              ;   in Loop: Header=BB166_263 Depth=1
	v_mov_b32_e32 v7, v6
	v_mov_b32_e32 v20, v8
	v_cmp_ne_u16_sdwa s21, v46, v36 src0_sel:BYTE_1 src1_sel:DWORD
	v_mov_b32_e32 v19, v7
	s_and_saveexec_b32 s18, s21
	s_cbranch_execz .LBB166_279
; %bb.274:                              ;   in Loop: Header=BB166_263 Depth=1
	v_and_b32_sdwa v5, v39, v46 dst_sel:DWORD dst_unused:UNUSED_PAD src0_sel:DWORD src1_sel:BYTE_1
	v_mov_b32_e32 v9, v6
	v_mov_b32_e32 v20, v10
	s_mov_b32 s21, exec_lo
	v_and_b32_e32 v21, 0x7f, v5
	v_mov_b32_e32 v19, v9
	v_cmpx_ne_u32_e32 0x7f, v21
	s_cbranch_execz .LBB166_278
; %bb.275:                              ;   in Loop: Header=BB166_263 Depth=1
	v_and_b32_e32 v5, 7, v5
	v_lshrrev_b32_e32 v7, 3, v21
	s_mov_b32 s22, exec_lo
	v_cmpx_gt_u32_e32 8, v21
; %bb.276:                              ;   in Loop: Header=BB166_263 Depth=1
	v_ffbh_u32_e32 v7, v5
	v_min_u32_e32 v7, 32, v7
	v_subrev_nc_u32_e32 v9, 28, v7
	v_sub_nc_u32_e32 v7, 29, v7
	v_lshlrev_b64 v[19:20], v9, v[5:6]
	v_and_b32_e32 v5, 7, v19
; %bb.277:                              ;   in Loop: Header=BB166_263 Depth=1
	s_or_b32 exec_lo, exec_lo, s22
	v_lshlrev_b32_e32 v9, 16, v46
	v_lshlrev_b32_e32 v5, 20, v5
	v_lshl_add_u32 v7, v7, 23, 0x3c000000
	v_mov_b32_e32 v19, v6
	v_and_b32_e32 v9, 0x80000000, v9
	v_or3_b32 v20, v5, v9, v7
.LBB166_278:                            ;   in Loop: Header=BB166_263 Depth=1
	s_or_b32 exec_lo, exec_lo, s21
.LBB166_279:                            ;   in Loop: Header=BB166_263 Depth=1
	s_or_b32 exec_lo, exec_lo, s18
.LBB166_280:                            ;   in Loop: Header=BB166_263 Depth=1
	s_or_b32 exec_lo, exec_lo, s0
	v_mov_b32_e32 v23, 0
	v_mov_b32_e32 v21, 0
	v_and_b32_sdwa v5, v46, v40 dst_sel:DWORD dst_unused:UNUSED_PAD src0_sel:WORD_1 src1_sel:DWORD
	v_mov_b32_e32 v24, 0
	v_mov_b32_e32 v22, 0
	s_mov_b32 s0, exec_lo
	v_cmpx_ne_u16_e32 0, v5
	s_cbranch_execz .LBB166_288
; %bb.281:                              ;   in Loop: Header=BB166_263 Depth=1
	v_bfrev_b32_e32 v21, 1
	v_mov_b32_e32 v22, 0
	s_mov_b32 s18, exec_lo
	v_cmpx_ne_u16_e32 0x80, v5
	s_cbranch_execz .LBB166_287
; %bb.282:                              ;   in Loop: Header=BB166_263 Depth=1
	v_mov_b32_e32 v21, 0x7f800001
	v_bfe_u32 v9, v46, 16, 7
	v_mov_b32_e32 v22, 0
	s_mov_b32 s21, exec_lo
	v_cmpx_ne_u32_e32 0x7f, v9
	s_cbranch_execz .LBB166_286
; %bb.283:                              ;   in Loop: Header=BB166_263 Depth=1
	v_and_b32_sdwa v5, v46, v41 dst_sel:DWORD dst_unused:UNUSED_PAD src0_sel:WORD_1 src1_sel:DWORD
	v_lshrrev_b32_e32 v7, 3, v9
	s_mov_b32 s22, exec_lo
	v_cmpx_gt_u32_e32 8, v9
; %bb.284:                              ;   in Loop: Header=BB166_263 Depth=1
	v_ffbh_u32_e32 v7, v5
	v_min_u32_e32 v7, 32, v7
	v_subrev_nc_u32_e32 v9, 28, v7
	v_sub_nc_u32_e32 v7, 29, v7
	v_lshlrev_b64 v[21:22], v9, v[5:6]
	v_and_b32_e32 v5, 7, v21
; %bb.285:                              ;   in Loop: Header=BB166_263 Depth=1
	s_or_b32 exec_lo, exec_lo, s22
	v_lshlrev_b32_sdwa v9, v42, v46 dst_sel:DWORD dst_unused:UNUSED_PAD src0_sel:DWORD src1_sel:WORD_1
	v_lshlrev_b32_e32 v5, 20, v5
	v_lshl_add_u32 v7, v7, 23, 0x3c000000
	v_and_b32_e32 v9, 0x80000000, v9
	v_or3_b32 v5, v5, v9, v7
	v_mov_b32_e32 v22, v6
	v_mov_b32_e32 v21, v5
.LBB166_286:                            ;   in Loop: Header=BB166_263 Depth=1
	s_or_b32 exec_lo, exec_lo, s21
.LBB166_287:                            ;   in Loop: Header=BB166_263 Depth=1
	s_or_b32 exec_lo, exec_lo, s18
.LBB166_288:                            ;   in Loop: Header=BB166_263 Depth=1
	s_or_b32 exec_lo, exec_lo, s0
	s_mov_b32 s0, exec_lo
	v_cmpx_lt_u32_e32 0xffffff, v46
	s_cbranch_execz .LBB166_296
; %bb.289:                              ;   in Loop: Header=BB166_263 Depth=1
	v_mov_b32_e32 v7, v6
	v_mov_b32_e32 v24, v8
	v_cmp_ne_u32_sdwa s21, v46, v36 src0_sel:BYTE_3 src1_sel:DWORD
	v_mov_b32_e32 v23, v7
	s_and_saveexec_b32 s18, s21
	s_cbranch_execz .LBB166_295
; %bb.290:                              ;   in Loop: Header=BB166_263 Depth=1
	v_mov_b32_e32 v9, v6
	v_mov_b32_e32 v24, v10
	v_bfe_u32 v47, v46, 24, 7
	s_mov_b32 s21, exec_lo
	v_mov_b32_e32 v23, v9
	v_cmpx_ne_u32_e32 0x7f, v47
	s_cbranch_execz .LBB166_294
; %bb.291:                              ;   in Loop: Header=BB166_263 Depth=1
	v_and_b32_sdwa v5, v46, v41 dst_sel:DWORD dst_unused:UNUSED_PAD src0_sel:BYTE_3 src1_sel:DWORD
	v_lshrrev_b32_e32 v7, 3, v47
	s_mov_b32 s22, exec_lo
	v_cmpx_gt_u32_e32 8, v47
; %bb.292:                              ;   in Loop: Header=BB166_263 Depth=1
	v_ffbh_u32_e32 v7, v5
	v_min_u32_e32 v7, 32, v7
	v_subrev_nc_u32_e32 v9, 28, v7
	v_sub_nc_u32_e32 v7, 29, v7
	v_lshlrev_b64 v[23:24], v9, v[5:6]
	v_and_b32_e32 v5, 7, v23
; %bb.293:                              ;   in Loop: Header=BB166_263 Depth=1
	s_or_b32 exec_lo, exec_lo, s22
	v_lshlrev_b32_sdwa v9, v42, v46 dst_sel:DWORD dst_unused:UNUSED_PAD src0_sel:DWORD src1_sel:BYTE_3
	v_lshlrev_b32_e32 v5, 20, v5
	v_lshl_add_u32 v7, v7, 23, 0x3c000000
	v_mov_b32_e32 v23, v6
	v_and_b32_e32 v9, 0x80000000, v9
	v_or3_b32 v24, v5, v9, v7
.LBB166_294:                            ;   in Loop: Header=BB166_263 Depth=1
	s_or_b32 exec_lo, exec_lo, s21
.LBB166_295:                            ;   in Loop: Header=BB166_263 Depth=1
	s_or_b32 exec_lo, exec_lo, s18
.LBB166_296:                            ;   in Loop: Header=BB166_263 Depth=1
	s_or_b32 exec_lo, exec_lo, s0
	v_add_nc_u32_e32 v50, v35, v38
	v_or_b32_e32 v5, v20, v18
	v_or_b32_e32 v7, v19, v17
	;; [unrolled: 1-line block ×4, first 2 shown]
	v_cmp_eq_u32_e32 vcc_lo, s4, v45
	s_waitcnt lgkmcnt(0)
	v_mul_f32_e32 v48, s17, v5
	v_mul_f32_e32 v49, s17, v7
	;; [unrolled: 1-line block ×4, first 2 shown]
	v_add_nc_u32_e32 v53, 1, v50
	v_add_nc_u32_e32 v52, 2, v50
	;; [unrolled: 1-line block ×3, first 2 shown]
	s_and_saveexec_b32 s18, vcc_lo
	s_cbranch_execz .LBB166_298
; %bb.297:                              ;   in Loop: Header=BB166_263 Depth=1
	v_cmp_gt_i32_e64 s0, s33, v50
	v_cndmask_b32_e64 v49, 0, v49, s0
	v_cmp_gt_i32_e64 s0, s33, v53
	v_cndmask_b32_e64 v48, 0, v48, s0
	v_cmp_gt_i32_e64 s0, s33, v52
	v_cndmask_b32_e64 v47, 0, v47, s0
	v_cmp_gt_i32_e64 s0, s33, v51
	v_cndmask_b32_e64 v46, 0, v46, s0
.LBB166_298:                            ;   in Loop: Header=BB166_263 Depth=1
	s_or_b32 exec_lo, exec_lo, s18
	global_load_dword v54, v[15:16], off offset:128
	v_mov_b32_e32 v19, 0
	v_mov_b32_e32 v17, 0
	;; [unrolled: 1-line block ×4, first 2 shown]
	s_waitcnt vmcnt(0)
	v_cmp_ne_u16_sdwa s0, v54, v6 src0_sel:BYTE_0 src1_sel:DWORD
	s_and_saveexec_b32 s18, s0
	s_cbranch_execz .LBB166_306
; %bb.299:                              ;   in Loop: Header=BB166_263 Depth=1
	v_bfrev_b32_e32 v17, 1
	v_mov_b32_e32 v18, 0
	v_cmp_ne_u16_sdwa s0, v54, v36 src0_sel:BYTE_0 src1_sel:DWORD
	s_and_saveexec_b32 s21, s0
	s_cbranch_execz .LBB166_305
; %bb.300:                              ;   in Loop: Header=BB166_263 Depth=1
	v_mov_b32_e32 v17, 0x7f800001
	v_and_b32_e32 v9, 0x7f, v54
	v_mov_b32_e32 v18, 0
	s_mov_b32 s22, exec_lo
	v_cmpx_ne_u32_e32 0x7f, v9
	s_cbranch_execz .LBB166_304
; %bb.301:                              ;   in Loop: Header=BB166_263 Depth=1
	v_and_b32_e32 v5, 7, v54
	v_lshrrev_b32_e32 v7, 3, v9
	s_mov_b32 s26, exec_lo
	v_cmpx_gt_u32_e32 8, v9
; %bb.302:                              ;   in Loop: Header=BB166_263 Depth=1
	v_ffbh_u32_e32 v7, v5
	v_min_u32_e32 v7, 32, v7
	v_subrev_nc_u32_e32 v9, 28, v7
	v_sub_nc_u32_e32 v7, 29, v7
	v_lshlrev_b64 v[17:18], v9, v[5:6]
	v_and_b32_e32 v5, 7, v17
; %bb.303:                              ;   in Loop: Header=BB166_263 Depth=1
	s_or_b32 exec_lo, exec_lo, s26
	v_lshlrev_b32_e32 v9, 24, v54
	v_lshlrev_b32_e32 v5, 20, v5
	v_lshl_add_u32 v7, v7, 23, 0x3c000000
	v_and_b32_e32 v9, 0x80000000, v9
	v_or3_b32 v5, v5, v9, v7
	v_mov_b32_e32 v18, v6
	v_mov_b32_e32 v17, v5
.LBB166_304:                            ;   in Loop: Header=BB166_263 Depth=1
	s_or_b32 exec_lo, exec_lo, s22
.LBB166_305:                            ;   in Loop: Header=BB166_263 Depth=1
	s_or_b32 exec_lo, exec_lo, s21
.LBB166_306:                            ;   in Loop: Header=BB166_263 Depth=1
	s_or_b32 exec_lo, exec_lo, s18
	v_cmp_ne_u16_sdwa s0, v54, v6 src0_sel:BYTE_1 src1_sel:DWORD
	s_and_saveexec_b32 s18, s0
	s_cbranch_execz .LBB166_314
; %bb.307:                              ;   in Loop: Header=BB166_263 Depth=1
	v_mov_b32_e32 v7, v6
	v_mov_b32_e32 v20, v8
	v_cmp_ne_u16_sdwa s0, v54, v36 src0_sel:BYTE_1 src1_sel:DWORD
	v_mov_b32_e32 v19, v7
	s_and_saveexec_b32 s21, s0
	s_cbranch_execz .LBB166_313
; %bb.308:                              ;   in Loop: Header=BB166_263 Depth=1
	v_and_b32_sdwa v5, v39, v54 dst_sel:DWORD dst_unused:UNUSED_PAD src0_sel:DWORD src1_sel:BYTE_1
	v_mov_b32_e32 v9, v6
	v_mov_b32_e32 v20, v10
	s_mov_b32 s22, exec_lo
	v_and_b32_e32 v21, 0x7f, v5
	v_mov_b32_e32 v19, v9
	v_cmpx_ne_u32_e32 0x7f, v21
	s_cbranch_execz .LBB166_312
; %bb.309:                              ;   in Loop: Header=BB166_263 Depth=1
	v_and_b32_e32 v5, 7, v5
	v_lshrrev_b32_e32 v7, 3, v21
	s_mov_b32 s26, exec_lo
	v_cmpx_gt_u32_e32 8, v21
; %bb.310:                              ;   in Loop: Header=BB166_263 Depth=1
	v_ffbh_u32_e32 v7, v5
	v_min_u32_e32 v7, 32, v7
	v_subrev_nc_u32_e32 v9, 28, v7
	v_sub_nc_u32_e32 v7, 29, v7
	v_lshlrev_b64 v[19:20], v9, v[5:6]
	v_and_b32_e32 v5, 7, v19
; %bb.311:                              ;   in Loop: Header=BB166_263 Depth=1
	s_or_b32 exec_lo, exec_lo, s26
	v_lshlrev_b32_e32 v9, 16, v54
	v_lshlrev_b32_e32 v5, 20, v5
	v_lshl_add_u32 v7, v7, 23, 0x3c000000
	v_mov_b32_e32 v19, v6
	v_and_b32_e32 v9, 0x80000000, v9
	v_or3_b32 v20, v5, v9, v7
.LBB166_312:                            ;   in Loop: Header=BB166_263 Depth=1
	s_or_b32 exec_lo, exec_lo, s22
.LBB166_313:                            ;   in Loop: Header=BB166_263 Depth=1
	s_or_b32 exec_lo, exec_lo, s21
.LBB166_314:                            ;   in Loop: Header=BB166_263 Depth=1
	s_or_b32 exec_lo, exec_lo, s18
	v_mov_b32_e32 v23, 0
	v_mov_b32_e32 v21, 0
	v_and_b32_sdwa v5, v54, v40 dst_sel:DWORD dst_unused:UNUSED_PAD src0_sel:WORD_1 src1_sel:DWORD
	v_mov_b32_e32 v24, 0
	v_mov_b32_e32 v22, 0
	s_mov_b32 s18, exec_lo
	v_cmpx_ne_u16_e32 0, v5
	s_cbranch_execz .LBB166_322
; %bb.315:                              ;   in Loop: Header=BB166_263 Depth=1
	v_bfrev_b32_e32 v21, 1
	v_mov_b32_e32 v22, 0
	s_mov_b32 s21, exec_lo
	v_cmpx_ne_u16_e32 0x80, v5
	s_cbranch_execz .LBB166_321
; %bb.316:                              ;   in Loop: Header=BB166_263 Depth=1
	v_mov_b32_e32 v21, 0x7f800001
	v_bfe_u32 v9, v54, 16, 7
	v_mov_b32_e32 v22, 0
	s_mov_b32 s22, exec_lo
	v_cmpx_ne_u32_e32 0x7f, v9
	s_cbranch_execz .LBB166_320
; %bb.317:                              ;   in Loop: Header=BB166_263 Depth=1
	v_and_b32_sdwa v5, v54, v41 dst_sel:DWORD dst_unused:UNUSED_PAD src0_sel:WORD_1 src1_sel:DWORD
	v_lshrrev_b32_e32 v7, 3, v9
	s_mov_b32 s26, exec_lo
	v_cmpx_gt_u32_e32 8, v9
; %bb.318:                              ;   in Loop: Header=BB166_263 Depth=1
	v_ffbh_u32_e32 v7, v5
	v_min_u32_e32 v7, 32, v7
	v_subrev_nc_u32_e32 v9, 28, v7
	v_sub_nc_u32_e32 v7, 29, v7
	v_lshlrev_b64 v[21:22], v9, v[5:6]
	v_and_b32_e32 v5, 7, v21
; %bb.319:                              ;   in Loop: Header=BB166_263 Depth=1
	s_or_b32 exec_lo, exec_lo, s26
	v_lshlrev_b32_sdwa v9, v42, v54 dst_sel:DWORD dst_unused:UNUSED_PAD src0_sel:DWORD src1_sel:WORD_1
	v_lshlrev_b32_e32 v5, 20, v5
	v_lshl_add_u32 v7, v7, 23, 0x3c000000
	v_and_b32_e32 v9, 0x80000000, v9
	v_or3_b32 v5, v5, v9, v7
	v_mov_b32_e32 v22, v6
	v_mov_b32_e32 v21, v5
.LBB166_320:                            ;   in Loop: Header=BB166_263 Depth=1
	s_or_b32 exec_lo, exec_lo, s22
.LBB166_321:                            ;   in Loop: Header=BB166_263 Depth=1
	s_or_b32 exec_lo, exec_lo, s21
.LBB166_322:                            ;   in Loop: Header=BB166_263 Depth=1
	s_or_b32 exec_lo, exec_lo, s18
	s_mov_b32 s18, exec_lo
	v_cmpx_lt_u32_e32 0xffffff, v54
	s_cbranch_execz .LBB166_330
; %bb.323:                              ;   in Loop: Header=BB166_263 Depth=1
	v_mov_b32_e32 v7, v6
	v_mov_b32_e32 v24, v8
	v_cmp_ne_u32_sdwa s0, v54, v36 src0_sel:BYTE_3 src1_sel:DWORD
	v_mov_b32_e32 v23, v7
	s_and_saveexec_b32 s21, s0
	s_cbranch_execz .LBB166_329
; %bb.324:                              ;   in Loop: Header=BB166_263 Depth=1
	v_mov_b32_e32 v9, v6
	v_mov_b32_e32 v24, v10
	v_bfe_u32 v55, v54, 24, 7
	s_mov_b32 s22, exec_lo
	v_mov_b32_e32 v23, v9
	v_cmpx_ne_u32_e32 0x7f, v55
	s_cbranch_execz .LBB166_328
; %bb.325:                              ;   in Loop: Header=BB166_263 Depth=1
	v_and_b32_sdwa v5, v54, v41 dst_sel:DWORD dst_unused:UNUSED_PAD src0_sel:BYTE_3 src1_sel:DWORD
	v_lshrrev_b32_e32 v7, 3, v55
	s_mov_b32 s26, exec_lo
	v_cmpx_gt_u32_e32 8, v55
; %bb.326:                              ;   in Loop: Header=BB166_263 Depth=1
	v_ffbh_u32_e32 v7, v5
	v_min_u32_e32 v7, 32, v7
	v_subrev_nc_u32_e32 v9, 28, v7
	v_sub_nc_u32_e32 v7, 29, v7
	v_lshlrev_b64 v[23:24], v9, v[5:6]
	v_and_b32_e32 v5, 7, v23
; %bb.327:                              ;   in Loop: Header=BB166_263 Depth=1
	s_or_b32 exec_lo, exec_lo, s26
	v_lshlrev_b32_sdwa v9, v42, v54 dst_sel:DWORD dst_unused:UNUSED_PAD src0_sel:DWORD src1_sel:BYTE_3
	v_lshlrev_b32_e32 v5, 20, v5
	v_lshl_add_u32 v7, v7, 23, 0x3c000000
	v_mov_b32_e32 v23, v6
	v_and_b32_e32 v9, 0x80000000, v9
	v_or3_b32 v24, v5, v9, v7
.LBB166_328:                            ;   in Loop: Header=BB166_263 Depth=1
	s_or_b32 exec_lo, exec_lo, s22
.LBB166_329:                            ;   in Loop: Header=BB166_263 Depth=1
	s_or_b32 exec_lo, exec_lo, s21
.LBB166_330:                            ;   in Loop: Header=BB166_263 Depth=1
	s_or_b32 exec_lo, exec_lo, s18
	v_or_b32_e32 v5, v20, v18
	v_or_b32_e32 v7, v19, v17
	;; [unrolled: 1-line block ×4, first 2 shown]
	s_mov_b32 s18, s17
	v_mul_f32_e32 v56, s18, v5
	v_mul_f32_e32 v57, s17, v7
	;; [unrolled: 1-line block ×4, first 2 shown]
	s_and_saveexec_b32 s21, vcc_lo
	s_cbranch_execz .LBB166_332
; %bb.331:                              ;   in Loop: Header=BB166_263 Depth=1
	v_cmp_gt_i32_e64 s0, s33, v50
	v_cndmask_b32_e64 v57, 0, v57, s0
	v_cmp_gt_i32_e64 s0, s33, v53
	v_cndmask_b32_e64 v56, 0, v56, s0
	;; [unrolled: 2-line block ×4, first 2 shown]
.LBB166_332:                            ;   in Loop: Header=BB166_263 Depth=1
	s_or_b32 exec_lo, exec_lo, s21
	global_load_dword v58, v[15:16], off offset:256
	v_mov_b32_e32 v19, 0
	v_mov_b32_e32 v17, 0
	;; [unrolled: 1-line block ×4, first 2 shown]
	s_waitcnt vmcnt(0)
	v_cmp_ne_u16_sdwa s0, v58, v6 src0_sel:BYTE_0 src1_sel:DWORD
	s_and_saveexec_b32 s21, s0
	s_cbranch_execz .LBB166_340
; %bb.333:                              ;   in Loop: Header=BB166_263 Depth=1
	v_bfrev_b32_e32 v17, 1
	v_mov_b32_e32 v18, 0
	v_cmp_ne_u16_sdwa s0, v58, v36 src0_sel:BYTE_0 src1_sel:DWORD
	s_and_saveexec_b32 s22, s0
	s_cbranch_execz .LBB166_339
; %bb.334:                              ;   in Loop: Header=BB166_263 Depth=1
	v_mov_b32_e32 v17, 0x7f800001
	v_and_b32_e32 v9, 0x7f, v58
	v_mov_b32_e32 v18, 0
	s_mov_b32 s26, exec_lo
	v_cmpx_ne_u32_e32 0x7f, v9
	s_cbranch_execz .LBB166_338
; %bb.335:                              ;   in Loop: Header=BB166_263 Depth=1
	v_and_b32_e32 v5, 7, v58
	v_lshrrev_b32_e32 v7, 3, v9
	s_mov_b32 s27, exec_lo
	v_cmpx_gt_u32_e32 8, v9
; %bb.336:                              ;   in Loop: Header=BB166_263 Depth=1
	v_ffbh_u32_e32 v7, v5
	v_min_u32_e32 v7, 32, v7
	v_subrev_nc_u32_e32 v9, 28, v7
	v_sub_nc_u32_e32 v7, 29, v7
	v_lshlrev_b64 v[17:18], v9, v[5:6]
	v_and_b32_e32 v5, 7, v17
; %bb.337:                              ;   in Loop: Header=BB166_263 Depth=1
	s_or_b32 exec_lo, exec_lo, s27
	v_lshlrev_b32_e32 v9, 24, v58
	v_lshlrev_b32_e32 v5, 20, v5
	v_lshl_add_u32 v7, v7, 23, 0x3c000000
	v_and_b32_e32 v9, 0x80000000, v9
	v_or3_b32 v5, v5, v9, v7
	v_mov_b32_e32 v18, v6
	v_mov_b32_e32 v17, v5
.LBB166_338:                            ;   in Loop: Header=BB166_263 Depth=1
	s_or_b32 exec_lo, exec_lo, s26
.LBB166_339:                            ;   in Loop: Header=BB166_263 Depth=1
	s_or_b32 exec_lo, exec_lo, s22
.LBB166_340:                            ;   in Loop: Header=BB166_263 Depth=1
	s_or_b32 exec_lo, exec_lo, s21
	v_cmp_ne_u16_sdwa s0, v58, v6 src0_sel:BYTE_1 src1_sel:DWORD
	s_and_saveexec_b32 s21, s0
	s_cbranch_execz .LBB166_348
; %bb.341:                              ;   in Loop: Header=BB166_263 Depth=1
	v_mov_b32_e32 v7, v6
	v_mov_b32_e32 v20, v8
	v_cmp_ne_u16_sdwa s0, v58, v36 src0_sel:BYTE_1 src1_sel:DWORD
	v_mov_b32_e32 v19, v7
	s_and_saveexec_b32 s22, s0
	s_cbranch_execz .LBB166_347
; %bb.342:                              ;   in Loop: Header=BB166_263 Depth=1
	v_and_b32_sdwa v5, v39, v58 dst_sel:DWORD dst_unused:UNUSED_PAD src0_sel:DWORD src1_sel:BYTE_1
	v_mov_b32_e32 v9, v6
	v_mov_b32_e32 v20, v10
	s_mov_b32 s26, exec_lo
	v_and_b32_e32 v21, 0x7f, v5
	v_mov_b32_e32 v19, v9
	v_cmpx_ne_u32_e32 0x7f, v21
	s_cbranch_execz .LBB166_346
; %bb.343:                              ;   in Loop: Header=BB166_263 Depth=1
	v_and_b32_e32 v5, 7, v5
	v_lshrrev_b32_e32 v7, 3, v21
	s_mov_b32 s27, exec_lo
	v_cmpx_gt_u32_e32 8, v21
; %bb.344:                              ;   in Loop: Header=BB166_263 Depth=1
	v_ffbh_u32_e32 v7, v5
	v_min_u32_e32 v7, 32, v7
	v_subrev_nc_u32_e32 v9, 28, v7
	v_sub_nc_u32_e32 v7, 29, v7
	v_lshlrev_b64 v[19:20], v9, v[5:6]
	v_and_b32_e32 v5, 7, v19
; %bb.345:                              ;   in Loop: Header=BB166_263 Depth=1
	s_or_b32 exec_lo, exec_lo, s27
	v_lshlrev_b32_e32 v9, 16, v58
	v_lshlrev_b32_e32 v5, 20, v5
	v_lshl_add_u32 v7, v7, 23, 0x3c000000
	v_mov_b32_e32 v19, v6
	v_and_b32_e32 v9, 0x80000000, v9
	v_or3_b32 v20, v5, v9, v7
.LBB166_346:                            ;   in Loop: Header=BB166_263 Depth=1
	s_or_b32 exec_lo, exec_lo, s26
.LBB166_347:                            ;   in Loop: Header=BB166_263 Depth=1
	s_or_b32 exec_lo, exec_lo, s22
.LBB166_348:                            ;   in Loop: Header=BB166_263 Depth=1
	s_or_b32 exec_lo, exec_lo, s21
	v_mov_b32_e32 v23, 0
	v_mov_b32_e32 v21, 0
	v_and_b32_sdwa v5, v58, v40 dst_sel:DWORD dst_unused:UNUSED_PAD src0_sel:WORD_1 src1_sel:DWORD
	v_mov_b32_e32 v24, 0
	v_mov_b32_e32 v22, 0
	s_mov_b32 s21, exec_lo
	v_cmpx_ne_u16_e32 0, v5
	s_cbranch_execz .LBB166_356
; %bb.349:                              ;   in Loop: Header=BB166_263 Depth=1
	v_bfrev_b32_e32 v21, 1
	v_mov_b32_e32 v22, 0
	s_mov_b32 s22, exec_lo
	v_cmpx_ne_u16_e32 0x80, v5
	s_cbranch_execz .LBB166_355
; %bb.350:                              ;   in Loop: Header=BB166_263 Depth=1
	v_mov_b32_e32 v21, 0x7f800001
	v_bfe_u32 v9, v58, 16, 7
	v_mov_b32_e32 v22, 0
	s_mov_b32 s26, exec_lo
	v_cmpx_ne_u32_e32 0x7f, v9
	s_cbranch_execz .LBB166_354
; %bb.351:                              ;   in Loop: Header=BB166_263 Depth=1
	v_and_b32_sdwa v5, v58, v41 dst_sel:DWORD dst_unused:UNUSED_PAD src0_sel:WORD_1 src1_sel:DWORD
	v_lshrrev_b32_e32 v7, 3, v9
	s_mov_b32 s27, exec_lo
	v_cmpx_gt_u32_e32 8, v9
; %bb.352:                              ;   in Loop: Header=BB166_263 Depth=1
	v_ffbh_u32_e32 v7, v5
	v_min_u32_e32 v7, 32, v7
	v_subrev_nc_u32_e32 v9, 28, v7
	v_sub_nc_u32_e32 v7, 29, v7
	v_lshlrev_b64 v[21:22], v9, v[5:6]
	v_and_b32_e32 v5, 7, v21
; %bb.353:                              ;   in Loop: Header=BB166_263 Depth=1
	s_or_b32 exec_lo, exec_lo, s27
	v_lshlrev_b32_sdwa v9, v42, v58 dst_sel:DWORD dst_unused:UNUSED_PAD src0_sel:DWORD src1_sel:WORD_1
	v_lshlrev_b32_e32 v5, 20, v5
	v_lshl_add_u32 v7, v7, 23, 0x3c000000
	v_and_b32_e32 v9, 0x80000000, v9
	v_or3_b32 v5, v5, v9, v7
	v_mov_b32_e32 v22, v6
	v_mov_b32_e32 v21, v5
.LBB166_354:                            ;   in Loop: Header=BB166_263 Depth=1
	s_or_b32 exec_lo, exec_lo, s26
.LBB166_355:                            ;   in Loop: Header=BB166_263 Depth=1
	s_or_b32 exec_lo, exec_lo, s22
.LBB166_356:                            ;   in Loop: Header=BB166_263 Depth=1
	s_or_b32 exec_lo, exec_lo, s21
	s_mov_b32 s21, exec_lo
	v_cmpx_lt_u32_e32 0xffffff, v58
	s_cbranch_execz .LBB166_364
; %bb.357:                              ;   in Loop: Header=BB166_263 Depth=1
	v_mov_b32_e32 v7, v6
	v_mov_b32_e32 v24, v8
	v_cmp_ne_u32_sdwa s0, v58, v36 src0_sel:BYTE_3 src1_sel:DWORD
	v_mov_b32_e32 v23, v7
	s_and_saveexec_b32 s22, s0
	s_cbranch_execz .LBB166_363
; %bb.358:                              ;   in Loop: Header=BB166_263 Depth=1
	v_mov_b32_e32 v9, v6
	v_mov_b32_e32 v24, v10
	v_bfe_u32 v59, v58, 24, 7
	s_mov_b32 s26, exec_lo
	v_mov_b32_e32 v23, v9
	v_cmpx_ne_u32_e32 0x7f, v59
	s_cbranch_execz .LBB166_362
; %bb.359:                              ;   in Loop: Header=BB166_263 Depth=1
	v_and_b32_sdwa v5, v58, v41 dst_sel:DWORD dst_unused:UNUSED_PAD src0_sel:BYTE_3 src1_sel:DWORD
	v_lshrrev_b32_e32 v7, 3, v59
	s_mov_b32 s27, exec_lo
	v_cmpx_gt_u32_e32 8, v59
; %bb.360:                              ;   in Loop: Header=BB166_263 Depth=1
	v_ffbh_u32_e32 v7, v5
	v_min_u32_e32 v7, 32, v7
	v_subrev_nc_u32_e32 v9, 28, v7
	v_sub_nc_u32_e32 v7, 29, v7
	v_lshlrev_b64 v[23:24], v9, v[5:6]
	v_and_b32_e32 v5, 7, v23
; %bb.361:                              ;   in Loop: Header=BB166_263 Depth=1
	s_or_b32 exec_lo, exec_lo, s27
	v_lshlrev_b32_sdwa v9, v42, v58 dst_sel:DWORD dst_unused:UNUSED_PAD src0_sel:DWORD src1_sel:BYTE_3
	v_lshlrev_b32_e32 v5, 20, v5
	v_lshl_add_u32 v7, v7, 23, 0x3c000000
	v_mov_b32_e32 v23, v6
	v_and_b32_e32 v9, 0x80000000, v9
	v_or3_b32 v24, v5, v9, v7
.LBB166_362:                            ;   in Loop: Header=BB166_263 Depth=1
	s_or_b32 exec_lo, exec_lo, s26
.LBB166_363:                            ;   in Loop: Header=BB166_263 Depth=1
	s_or_b32 exec_lo, exec_lo, s22
.LBB166_364:                            ;   in Loop: Header=BB166_263 Depth=1
	s_or_b32 exec_lo, exec_lo, s21
	v_or_b32_e32 v5, v20, v18
	v_or_b32_e32 v7, v19, v17
	;; [unrolled: 1-line block ×4, first 2 shown]
	v_mul_f32_e32 v60, s18, v5
	v_mul_f32_e32 v61, s17, v7
	;; [unrolled: 1-line block ×4, first 2 shown]
	s_and_saveexec_b32 s21, vcc_lo
	s_cbranch_execz .LBB166_366
; %bb.365:                              ;   in Loop: Header=BB166_263 Depth=1
	v_cmp_gt_i32_e64 s0, s33, v50
	v_cndmask_b32_e64 v61, 0, v61, s0
	v_cmp_gt_i32_e64 s0, s33, v53
	v_cndmask_b32_e64 v60, 0, v60, s0
	;; [unrolled: 2-line block ×4, first 2 shown]
.LBB166_366:                            ;   in Loop: Header=BB166_263 Depth=1
	s_or_b32 exec_lo, exec_lo, s21
	global_load_dword v62, v[15:16], off offset:384
	v_mov_b32_e32 v19, 0
	v_mov_b32_e32 v17, 0
	;; [unrolled: 1-line block ×4, first 2 shown]
	s_waitcnt vmcnt(0)
	v_cmp_ne_u16_sdwa s0, v62, v6 src0_sel:BYTE_0 src1_sel:DWORD
	s_and_saveexec_b32 s21, s0
	s_cbranch_execz .LBB166_374
; %bb.367:                              ;   in Loop: Header=BB166_263 Depth=1
	v_bfrev_b32_e32 v17, 1
	v_mov_b32_e32 v18, 0
	v_cmp_ne_u16_sdwa s0, v62, v36 src0_sel:BYTE_0 src1_sel:DWORD
	s_and_saveexec_b32 s22, s0
	s_cbranch_execz .LBB166_373
; %bb.368:                              ;   in Loop: Header=BB166_263 Depth=1
	v_mov_b32_e32 v17, 0x7f800001
	v_and_b32_e32 v9, 0x7f, v62
	v_mov_b32_e32 v18, 0
	s_mov_b32 s26, exec_lo
	v_cmpx_ne_u32_e32 0x7f, v9
	s_cbranch_execz .LBB166_372
; %bb.369:                              ;   in Loop: Header=BB166_263 Depth=1
	v_and_b32_e32 v5, 7, v62
	v_lshrrev_b32_e32 v7, 3, v9
	s_mov_b32 s27, exec_lo
	v_cmpx_gt_u32_e32 8, v9
; %bb.370:                              ;   in Loop: Header=BB166_263 Depth=1
	v_ffbh_u32_e32 v7, v5
	v_min_u32_e32 v7, 32, v7
	v_subrev_nc_u32_e32 v9, 28, v7
	v_sub_nc_u32_e32 v7, 29, v7
	v_lshlrev_b64 v[17:18], v9, v[5:6]
	v_and_b32_e32 v5, 7, v17
; %bb.371:                              ;   in Loop: Header=BB166_263 Depth=1
	s_or_b32 exec_lo, exec_lo, s27
	v_lshlrev_b32_e32 v9, 24, v62
	v_lshlrev_b32_e32 v5, 20, v5
	v_lshl_add_u32 v7, v7, 23, 0x3c000000
	v_and_b32_e32 v9, 0x80000000, v9
	v_or3_b32 v5, v5, v9, v7
	v_mov_b32_e32 v18, v6
	v_mov_b32_e32 v17, v5
.LBB166_372:                            ;   in Loop: Header=BB166_263 Depth=1
	s_or_b32 exec_lo, exec_lo, s26
.LBB166_373:                            ;   in Loop: Header=BB166_263 Depth=1
	s_or_b32 exec_lo, exec_lo, s22
.LBB166_374:                            ;   in Loop: Header=BB166_263 Depth=1
	s_or_b32 exec_lo, exec_lo, s21
	v_cmp_ne_u16_sdwa s0, v62, v6 src0_sel:BYTE_1 src1_sel:DWORD
	s_and_saveexec_b32 s21, s0
	s_cbranch_execz .LBB166_382
; %bb.375:                              ;   in Loop: Header=BB166_263 Depth=1
	v_mov_b32_e32 v7, v6
	v_mov_b32_e32 v20, v8
	v_cmp_ne_u16_sdwa s0, v62, v36 src0_sel:BYTE_1 src1_sel:DWORD
	v_mov_b32_e32 v19, v7
	s_and_saveexec_b32 s22, s0
	s_cbranch_execz .LBB166_381
; %bb.376:                              ;   in Loop: Header=BB166_263 Depth=1
	v_and_b32_sdwa v5, v39, v62 dst_sel:DWORD dst_unused:UNUSED_PAD src0_sel:DWORD src1_sel:BYTE_1
	v_mov_b32_e32 v9, v6
	v_mov_b32_e32 v20, v10
	s_mov_b32 s26, exec_lo
	v_and_b32_e32 v21, 0x7f, v5
	v_mov_b32_e32 v19, v9
	v_cmpx_ne_u32_e32 0x7f, v21
	s_cbranch_execz .LBB166_380
; %bb.377:                              ;   in Loop: Header=BB166_263 Depth=1
	v_and_b32_e32 v5, 7, v5
	v_lshrrev_b32_e32 v7, 3, v21
	s_mov_b32 s27, exec_lo
	v_cmpx_gt_u32_e32 8, v21
; %bb.378:                              ;   in Loop: Header=BB166_263 Depth=1
	v_ffbh_u32_e32 v7, v5
	v_min_u32_e32 v7, 32, v7
	v_subrev_nc_u32_e32 v9, 28, v7
	v_sub_nc_u32_e32 v7, 29, v7
	v_lshlrev_b64 v[19:20], v9, v[5:6]
	v_and_b32_e32 v5, 7, v19
; %bb.379:                              ;   in Loop: Header=BB166_263 Depth=1
	s_or_b32 exec_lo, exec_lo, s27
	v_lshlrev_b32_e32 v9, 16, v62
	v_lshlrev_b32_e32 v5, 20, v5
	v_lshl_add_u32 v7, v7, 23, 0x3c000000
	v_mov_b32_e32 v19, v6
	v_and_b32_e32 v9, 0x80000000, v9
	v_or3_b32 v20, v5, v9, v7
.LBB166_380:                            ;   in Loop: Header=BB166_263 Depth=1
	s_or_b32 exec_lo, exec_lo, s26
.LBB166_381:                            ;   in Loop: Header=BB166_263 Depth=1
	s_or_b32 exec_lo, exec_lo, s22
.LBB166_382:                            ;   in Loop: Header=BB166_263 Depth=1
	s_or_b32 exec_lo, exec_lo, s21
	v_mov_b32_e32 v23, 0
	v_mov_b32_e32 v21, 0
	v_and_b32_sdwa v5, v62, v40 dst_sel:DWORD dst_unused:UNUSED_PAD src0_sel:WORD_1 src1_sel:DWORD
	v_mov_b32_e32 v24, 0
	v_mov_b32_e32 v22, 0
	s_mov_b32 s21, exec_lo
	v_cmpx_ne_u16_e32 0, v5
	s_cbranch_execz .LBB166_390
; %bb.383:                              ;   in Loop: Header=BB166_263 Depth=1
	v_bfrev_b32_e32 v21, 1
	v_mov_b32_e32 v22, 0
	s_mov_b32 s22, exec_lo
	v_cmpx_ne_u16_e32 0x80, v5
	s_cbranch_execz .LBB166_389
; %bb.384:                              ;   in Loop: Header=BB166_263 Depth=1
	v_mov_b32_e32 v21, 0x7f800001
	v_bfe_u32 v9, v62, 16, 7
	v_mov_b32_e32 v22, 0
	s_mov_b32 s26, exec_lo
	v_cmpx_ne_u32_e32 0x7f, v9
	s_cbranch_execz .LBB166_388
; %bb.385:                              ;   in Loop: Header=BB166_263 Depth=1
	v_and_b32_sdwa v5, v62, v41 dst_sel:DWORD dst_unused:UNUSED_PAD src0_sel:WORD_1 src1_sel:DWORD
	v_lshrrev_b32_e32 v7, 3, v9
	s_mov_b32 s27, exec_lo
	v_cmpx_gt_u32_e32 8, v9
; %bb.386:                              ;   in Loop: Header=BB166_263 Depth=1
	v_ffbh_u32_e32 v7, v5
	v_min_u32_e32 v7, 32, v7
	v_subrev_nc_u32_e32 v9, 28, v7
	v_sub_nc_u32_e32 v7, 29, v7
	v_lshlrev_b64 v[21:22], v9, v[5:6]
	v_and_b32_e32 v5, 7, v21
; %bb.387:                              ;   in Loop: Header=BB166_263 Depth=1
	s_or_b32 exec_lo, exec_lo, s27
	v_lshlrev_b32_sdwa v9, v42, v62 dst_sel:DWORD dst_unused:UNUSED_PAD src0_sel:DWORD src1_sel:WORD_1
	v_lshlrev_b32_e32 v5, 20, v5
	v_lshl_add_u32 v7, v7, 23, 0x3c000000
	v_and_b32_e32 v9, 0x80000000, v9
	v_or3_b32 v5, v5, v9, v7
	v_mov_b32_e32 v22, v6
	v_mov_b32_e32 v21, v5
.LBB166_388:                            ;   in Loop: Header=BB166_263 Depth=1
	s_or_b32 exec_lo, exec_lo, s26
.LBB166_389:                            ;   in Loop: Header=BB166_263 Depth=1
	s_or_b32 exec_lo, exec_lo, s22
.LBB166_390:                            ;   in Loop: Header=BB166_263 Depth=1
	s_or_b32 exec_lo, exec_lo, s21
	s_mov_b32 s21, exec_lo
	v_cmpx_lt_u32_e32 0xffffff, v62
	s_cbranch_execz .LBB166_398
; %bb.391:                              ;   in Loop: Header=BB166_263 Depth=1
	v_mov_b32_e32 v7, v6
	v_mov_b32_e32 v24, v8
	v_cmp_ne_u32_sdwa s0, v62, v36 src0_sel:BYTE_3 src1_sel:DWORD
	v_mov_b32_e32 v23, v7
	s_and_saveexec_b32 s22, s0
	s_cbranch_execz .LBB166_397
; %bb.392:                              ;   in Loop: Header=BB166_263 Depth=1
	v_mov_b32_e32 v9, v6
	v_mov_b32_e32 v24, v10
	v_bfe_u32 v63, v62, 24, 7
	s_mov_b32 s26, exec_lo
	v_mov_b32_e32 v23, v9
	v_cmpx_ne_u32_e32 0x7f, v63
	s_cbranch_execz .LBB166_396
; %bb.393:                              ;   in Loop: Header=BB166_263 Depth=1
	v_and_b32_sdwa v5, v62, v41 dst_sel:DWORD dst_unused:UNUSED_PAD src0_sel:BYTE_3 src1_sel:DWORD
	v_lshrrev_b32_e32 v7, 3, v63
	s_mov_b32 s27, exec_lo
	v_cmpx_gt_u32_e32 8, v63
; %bb.394:                              ;   in Loop: Header=BB166_263 Depth=1
	v_ffbh_u32_e32 v7, v5
	v_min_u32_e32 v7, 32, v7
	v_subrev_nc_u32_e32 v9, 28, v7
	v_sub_nc_u32_e32 v7, 29, v7
	v_lshlrev_b64 v[23:24], v9, v[5:6]
	v_and_b32_e32 v5, 7, v23
; %bb.395:                              ;   in Loop: Header=BB166_263 Depth=1
	s_or_b32 exec_lo, exec_lo, s27
	v_lshlrev_b32_sdwa v9, v42, v62 dst_sel:DWORD dst_unused:UNUSED_PAD src0_sel:DWORD src1_sel:BYTE_3
	v_lshlrev_b32_e32 v5, 20, v5
	v_lshl_add_u32 v7, v7, 23, 0x3c000000
	v_mov_b32_e32 v23, v6
	v_and_b32_e32 v9, 0x80000000, v9
	v_or3_b32 v24, v5, v9, v7
.LBB166_396:                            ;   in Loop: Header=BB166_263 Depth=1
	s_or_b32 exec_lo, exec_lo, s26
.LBB166_397:                            ;   in Loop: Header=BB166_263 Depth=1
	s_or_b32 exec_lo, exec_lo, s22
.LBB166_398:                            ;   in Loop: Header=BB166_263 Depth=1
	s_or_b32 exec_lo, exec_lo, s21
	v_or_b32_e32 v5, v20, v18
	v_or_b32_e32 v7, v19, v17
	v_or_b32_e32 v9, v23, v21
	v_or_b32_e32 v17, v24, v22
	v_mul_f32_e32 v64, s18, v5
	v_mul_f32_e32 v65, s17, v7
	;; [unrolled: 1-line block ×4, first 2 shown]
	s_and_saveexec_b32 s21, vcc_lo
	s_cbranch_execz .LBB166_400
; %bb.399:                              ;   in Loop: Header=BB166_263 Depth=1
	v_cmp_gt_i32_e64 s0, s33, v50
	v_cndmask_b32_e64 v65, 0, v65, s0
	v_cmp_gt_i32_e64 s0, s33, v53
	v_cndmask_b32_e64 v64, 0, v64, s0
	;; [unrolled: 2-line block ×4, first 2 shown]
.LBB166_400:                            ;   in Loop: Header=BB166_263 Depth=1
	s_or_b32 exec_lo, exec_lo, s21
	global_load_dword v66, v[15:16], off offset:512
	v_mov_b32_e32 v19, 0
	v_mov_b32_e32 v17, 0
	;; [unrolled: 1-line block ×4, first 2 shown]
	s_waitcnt vmcnt(0)
	v_cmp_ne_u16_sdwa s0, v66, v6 src0_sel:BYTE_0 src1_sel:DWORD
	s_and_saveexec_b32 s21, s0
	s_cbranch_execz .LBB166_408
; %bb.401:                              ;   in Loop: Header=BB166_263 Depth=1
	v_bfrev_b32_e32 v17, 1
	v_mov_b32_e32 v18, 0
	v_cmp_ne_u16_sdwa s0, v66, v36 src0_sel:BYTE_0 src1_sel:DWORD
	s_and_saveexec_b32 s22, s0
	s_cbranch_execz .LBB166_407
; %bb.402:                              ;   in Loop: Header=BB166_263 Depth=1
	v_mov_b32_e32 v17, 0x7f800001
	v_and_b32_e32 v9, 0x7f, v66
	v_mov_b32_e32 v18, 0
	s_mov_b32 s26, exec_lo
	v_cmpx_ne_u32_e32 0x7f, v9
	s_cbranch_execz .LBB166_406
; %bb.403:                              ;   in Loop: Header=BB166_263 Depth=1
	v_and_b32_e32 v5, 7, v66
	v_lshrrev_b32_e32 v7, 3, v9
	s_mov_b32 s27, exec_lo
	v_cmpx_gt_u32_e32 8, v9
; %bb.404:                              ;   in Loop: Header=BB166_263 Depth=1
	v_ffbh_u32_e32 v7, v5
	v_min_u32_e32 v7, 32, v7
	v_subrev_nc_u32_e32 v9, 28, v7
	v_sub_nc_u32_e32 v7, 29, v7
	v_lshlrev_b64 v[17:18], v9, v[5:6]
	v_and_b32_e32 v5, 7, v17
; %bb.405:                              ;   in Loop: Header=BB166_263 Depth=1
	s_or_b32 exec_lo, exec_lo, s27
	v_lshlrev_b32_e32 v9, 24, v66
	v_lshlrev_b32_e32 v5, 20, v5
	v_lshl_add_u32 v7, v7, 23, 0x3c000000
	v_and_b32_e32 v9, 0x80000000, v9
	v_or3_b32 v5, v5, v9, v7
	v_mov_b32_e32 v18, v6
	v_mov_b32_e32 v17, v5
.LBB166_406:                            ;   in Loop: Header=BB166_263 Depth=1
	s_or_b32 exec_lo, exec_lo, s26
.LBB166_407:                            ;   in Loop: Header=BB166_263 Depth=1
	s_or_b32 exec_lo, exec_lo, s22
.LBB166_408:                            ;   in Loop: Header=BB166_263 Depth=1
	s_or_b32 exec_lo, exec_lo, s21
	v_cmp_ne_u16_sdwa s0, v66, v6 src0_sel:BYTE_1 src1_sel:DWORD
	s_and_saveexec_b32 s21, s0
	s_cbranch_execz .LBB166_416
; %bb.409:                              ;   in Loop: Header=BB166_263 Depth=1
	v_mov_b32_e32 v7, v6
	v_mov_b32_e32 v20, v8
	v_cmp_ne_u16_sdwa s0, v66, v36 src0_sel:BYTE_1 src1_sel:DWORD
	v_mov_b32_e32 v19, v7
	s_and_saveexec_b32 s22, s0
	s_cbranch_execz .LBB166_415
; %bb.410:                              ;   in Loop: Header=BB166_263 Depth=1
	v_and_b32_sdwa v5, v39, v66 dst_sel:DWORD dst_unused:UNUSED_PAD src0_sel:DWORD src1_sel:BYTE_1
	v_mov_b32_e32 v9, v6
	v_mov_b32_e32 v20, v10
	s_mov_b32 s26, exec_lo
	v_and_b32_e32 v21, 0x7f, v5
	v_mov_b32_e32 v19, v9
	v_cmpx_ne_u32_e32 0x7f, v21
	s_cbranch_execz .LBB166_414
; %bb.411:                              ;   in Loop: Header=BB166_263 Depth=1
	v_and_b32_e32 v5, 7, v5
	v_lshrrev_b32_e32 v7, 3, v21
	s_mov_b32 s27, exec_lo
	v_cmpx_gt_u32_e32 8, v21
; %bb.412:                              ;   in Loop: Header=BB166_263 Depth=1
	v_ffbh_u32_e32 v7, v5
	v_min_u32_e32 v7, 32, v7
	v_subrev_nc_u32_e32 v9, 28, v7
	v_sub_nc_u32_e32 v7, 29, v7
	v_lshlrev_b64 v[19:20], v9, v[5:6]
	v_and_b32_e32 v5, 7, v19
; %bb.413:                              ;   in Loop: Header=BB166_263 Depth=1
	s_or_b32 exec_lo, exec_lo, s27
	v_lshlrev_b32_e32 v9, 16, v66
	v_lshlrev_b32_e32 v5, 20, v5
	v_lshl_add_u32 v7, v7, 23, 0x3c000000
	v_mov_b32_e32 v19, v6
	v_and_b32_e32 v9, 0x80000000, v9
	v_or3_b32 v20, v5, v9, v7
.LBB166_414:                            ;   in Loop: Header=BB166_263 Depth=1
	s_or_b32 exec_lo, exec_lo, s26
.LBB166_415:                            ;   in Loop: Header=BB166_263 Depth=1
	s_or_b32 exec_lo, exec_lo, s22
.LBB166_416:                            ;   in Loop: Header=BB166_263 Depth=1
	s_or_b32 exec_lo, exec_lo, s21
	v_mov_b32_e32 v23, 0
	v_mov_b32_e32 v21, 0
	v_and_b32_sdwa v5, v66, v40 dst_sel:DWORD dst_unused:UNUSED_PAD src0_sel:WORD_1 src1_sel:DWORD
	v_mov_b32_e32 v24, 0
	v_mov_b32_e32 v22, 0
	s_mov_b32 s21, exec_lo
	v_cmpx_ne_u16_e32 0, v5
	s_cbranch_execz .LBB166_424
; %bb.417:                              ;   in Loop: Header=BB166_263 Depth=1
	v_bfrev_b32_e32 v21, 1
	v_mov_b32_e32 v22, 0
	s_mov_b32 s22, exec_lo
	v_cmpx_ne_u16_e32 0x80, v5
	s_cbranch_execz .LBB166_423
; %bb.418:                              ;   in Loop: Header=BB166_263 Depth=1
	v_mov_b32_e32 v21, 0x7f800001
	v_bfe_u32 v9, v66, 16, 7
	v_mov_b32_e32 v22, 0
	s_mov_b32 s26, exec_lo
	v_cmpx_ne_u32_e32 0x7f, v9
	s_cbranch_execz .LBB166_422
; %bb.419:                              ;   in Loop: Header=BB166_263 Depth=1
	v_and_b32_sdwa v5, v66, v41 dst_sel:DWORD dst_unused:UNUSED_PAD src0_sel:WORD_1 src1_sel:DWORD
	v_lshrrev_b32_e32 v7, 3, v9
	s_mov_b32 s27, exec_lo
	v_cmpx_gt_u32_e32 8, v9
; %bb.420:                              ;   in Loop: Header=BB166_263 Depth=1
	v_ffbh_u32_e32 v7, v5
	v_min_u32_e32 v7, 32, v7
	v_subrev_nc_u32_e32 v9, 28, v7
	v_sub_nc_u32_e32 v7, 29, v7
	v_lshlrev_b64 v[21:22], v9, v[5:6]
	v_and_b32_e32 v5, 7, v21
; %bb.421:                              ;   in Loop: Header=BB166_263 Depth=1
	s_or_b32 exec_lo, exec_lo, s27
	v_lshlrev_b32_sdwa v9, v42, v66 dst_sel:DWORD dst_unused:UNUSED_PAD src0_sel:DWORD src1_sel:WORD_1
	v_lshlrev_b32_e32 v5, 20, v5
	v_lshl_add_u32 v7, v7, 23, 0x3c000000
	v_and_b32_e32 v9, 0x80000000, v9
	v_or3_b32 v5, v5, v9, v7
	v_mov_b32_e32 v22, v6
	v_mov_b32_e32 v21, v5
.LBB166_422:                            ;   in Loop: Header=BB166_263 Depth=1
	s_or_b32 exec_lo, exec_lo, s26
.LBB166_423:                            ;   in Loop: Header=BB166_263 Depth=1
	s_or_b32 exec_lo, exec_lo, s22
.LBB166_424:                            ;   in Loop: Header=BB166_263 Depth=1
	s_or_b32 exec_lo, exec_lo, s21
	s_mov_b32 s21, exec_lo
	v_cmpx_lt_u32_e32 0xffffff, v66
	s_cbranch_execz .LBB166_432
; %bb.425:                              ;   in Loop: Header=BB166_263 Depth=1
	v_mov_b32_e32 v7, v6
	v_mov_b32_e32 v24, v8
	v_cmp_ne_u32_sdwa s0, v66, v36 src0_sel:BYTE_3 src1_sel:DWORD
	v_mov_b32_e32 v23, v7
	s_and_saveexec_b32 s22, s0
	s_cbranch_execz .LBB166_431
; %bb.426:                              ;   in Loop: Header=BB166_263 Depth=1
	v_mov_b32_e32 v9, v6
	v_mov_b32_e32 v24, v10
	v_bfe_u32 v67, v66, 24, 7
	s_mov_b32 s26, exec_lo
	v_mov_b32_e32 v23, v9
	v_cmpx_ne_u32_e32 0x7f, v67
	s_cbranch_execz .LBB166_430
; %bb.427:                              ;   in Loop: Header=BB166_263 Depth=1
	v_and_b32_sdwa v5, v66, v41 dst_sel:DWORD dst_unused:UNUSED_PAD src0_sel:BYTE_3 src1_sel:DWORD
	v_lshrrev_b32_e32 v7, 3, v67
	s_mov_b32 s27, exec_lo
	v_cmpx_gt_u32_e32 8, v67
; %bb.428:                              ;   in Loop: Header=BB166_263 Depth=1
	v_ffbh_u32_e32 v7, v5
	v_min_u32_e32 v7, 32, v7
	v_subrev_nc_u32_e32 v9, 28, v7
	v_sub_nc_u32_e32 v7, 29, v7
	v_lshlrev_b64 v[23:24], v9, v[5:6]
	v_and_b32_e32 v5, 7, v23
; %bb.429:                              ;   in Loop: Header=BB166_263 Depth=1
	s_or_b32 exec_lo, exec_lo, s27
	v_lshlrev_b32_sdwa v9, v42, v66 dst_sel:DWORD dst_unused:UNUSED_PAD src0_sel:DWORD src1_sel:BYTE_3
	v_lshlrev_b32_e32 v5, 20, v5
	v_lshl_add_u32 v7, v7, 23, 0x3c000000
	v_mov_b32_e32 v23, v6
	v_and_b32_e32 v9, 0x80000000, v9
	v_or3_b32 v24, v5, v9, v7
.LBB166_430:                            ;   in Loop: Header=BB166_263 Depth=1
	s_or_b32 exec_lo, exec_lo, s26
.LBB166_431:                            ;   in Loop: Header=BB166_263 Depth=1
	s_or_b32 exec_lo, exec_lo, s22
.LBB166_432:                            ;   in Loop: Header=BB166_263 Depth=1
	s_or_b32 exec_lo, exec_lo, s21
	v_or_b32_e32 v5, v20, v18
	v_or_b32_e32 v7, v19, v17
	;; [unrolled: 1-line block ×4, first 2 shown]
	v_mul_f32_e32 v68, s18, v5
	v_mul_f32_e32 v69, s17, v7
	v_mul_f32_e32 v67, s17, v9
	v_mul_f32_e32 v66, s18, v17
	s_and_saveexec_b32 s21, vcc_lo
	s_cbranch_execz .LBB166_434
; %bb.433:                              ;   in Loop: Header=BB166_263 Depth=1
	v_cmp_gt_i32_e64 s0, s33, v50
	v_cndmask_b32_e64 v69, 0, v69, s0
	v_cmp_gt_i32_e64 s0, s33, v53
	v_cndmask_b32_e64 v68, 0, v68, s0
	;; [unrolled: 2-line block ×4, first 2 shown]
.LBB166_434:                            ;   in Loop: Header=BB166_263 Depth=1
	s_or_b32 exec_lo, exec_lo, s21
	global_load_dword v70, v[15:16], off offset:640
	v_mov_b32_e32 v19, 0
	v_mov_b32_e32 v17, 0
	v_mov_b32_e32 v20, 0
	v_mov_b32_e32 v18, 0
	s_waitcnt vmcnt(0)
	v_cmp_ne_u16_sdwa s0, v70, v6 src0_sel:BYTE_0 src1_sel:DWORD
	s_and_saveexec_b32 s21, s0
	s_cbranch_execz .LBB166_442
; %bb.435:                              ;   in Loop: Header=BB166_263 Depth=1
	v_bfrev_b32_e32 v17, 1
	v_mov_b32_e32 v18, 0
	v_cmp_ne_u16_sdwa s0, v70, v36 src0_sel:BYTE_0 src1_sel:DWORD
	s_and_saveexec_b32 s22, s0
	s_cbranch_execz .LBB166_441
; %bb.436:                              ;   in Loop: Header=BB166_263 Depth=1
	v_mov_b32_e32 v17, 0x7f800001
	v_and_b32_e32 v9, 0x7f, v70
	v_mov_b32_e32 v18, 0
	s_mov_b32 s26, exec_lo
	v_cmpx_ne_u32_e32 0x7f, v9
	s_cbranch_execz .LBB166_440
; %bb.437:                              ;   in Loop: Header=BB166_263 Depth=1
	v_and_b32_e32 v5, 7, v70
	v_lshrrev_b32_e32 v7, 3, v9
	s_mov_b32 s27, exec_lo
	v_cmpx_gt_u32_e32 8, v9
; %bb.438:                              ;   in Loop: Header=BB166_263 Depth=1
	v_ffbh_u32_e32 v7, v5
	v_min_u32_e32 v7, 32, v7
	v_subrev_nc_u32_e32 v9, 28, v7
	v_sub_nc_u32_e32 v7, 29, v7
	v_lshlrev_b64 v[17:18], v9, v[5:6]
	v_and_b32_e32 v5, 7, v17
; %bb.439:                              ;   in Loop: Header=BB166_263 Depth=1
	s_or_b32 exec_lo, exec_lo, s27
	v_lshlrev_b32_e32 v9, 24, v70
	v_lshlrev_b32_e32 v5, 20, v5
	v_lshl_add_u32 v7, v7, 23, 0x3c000000
	v_and_b32_e32 v9, 0x80000000, v9
	v_or3_b32 v5, v5, v9, v7
	v_mov_b32_e32 v18, v6
	v_mov_b32_e32 v17, v5
.LBB166_440:                            ;   in Loop: Header=BB166_263 Depth=1
	s_or_b32 exec_lo, exec_lo, s26
.LBB166_441:                            ;   in Loop: Header=BB166_263 Depth=1
	s_or_b32 exec_lo, exec_lo, s22
.LBB166_442:                            ;   in Loop: Header=BB166_263 Depth=1
	s_or_b32 exec_lo, exec_lo, s21
	v_cmp_ne_u16_sdwa s0, v70, v6 src0_sel:BYTE_1 src1_sel:DWORD
	s_and_saveexec_b32 s21, s0
	s_cbranch_execz .LBB166_450
; %bb.443:                              ;   in Loop: Header=BB166_263 Depth=1
	v_mov_b32_e32 v7, v6
	v_mov_b32_e32 v20, v8
	v_cmp_ne_u16_sdwa s0, v70, v36 src0_sel:BYTE_1 src1_sel:DWORD
	v_mov_b32_e32 v19, v7
	s_and_saveexec_b32 s22, s0
	s_cbranch_execz .LBB166_449
; %bb.444:                              ;   in Loop: Header=BB166_263 Depth=1
	v_and_b32_sdwa v5, v39, v70 dst_sel:DWORD dst_unused:UNUSED_PAD src0_sel:DWORD src1_sel:BYTE_1
	v_mov_b32_e32 v9, v6
	v_mov_b32_e32 v20, v10
	s_mov_b32 s26, exec_lo
	v_and_b32_e32 v21, 0x7f, v5
	v_mov_b32_e32 v19, v9
	v_cmpx_ne_u32_e32 0x7f, v21
	s_cbranch_execz .LBB166_448
; %bb.445:                              ;   in Loop: Header=BB166_263 Depth=1
	v_and_b32_e32 v5, 7, v5
	v_lshrrev_b32_e32 v7, 3, v21
	s_mov_b32 s27, exec_lo
	v_cmpx_gt_u32_e32 8, v21
; %bb.446:                              ;   in Loop: Header=BB166_263 Depth=1
	v_ffbh_u32_e32 v7, v5
	v_min_u32_e32 v7, 32, v7
	v_subrev_nc_u32_e32 v9, 28, v7
	v_sub_nc_u32_e32 v7, 29, v7
	v_lshlrev_b64 v[19:20], v9, v[5:6]
	v_and_b32_e32 v5, 7, v19
; %bb.447:                              ;   in Loop: Header=BB166_263 Depth=1
	s_or_b32 exec_lo, exec_lo, s27
	v_lshlrev_b32_e32 v9, 16, v70
	v_lshlrev_b32_e32 v5, 20, v5
	v_lshl_add_u32 v7, v7, 23, 0x3c000000
	v_mov_b32_e32 v19, v6
	v_and_b32_e32 v9, 0x80000000, v9
	v_or3_b32 v20, v5, v9, v7
.LBB166_448:                            ;   in Loop: Header=BB166_263 Depth=1
	s_or_b32 exec_lo, exec_lo, s26
.LBB166_449:                            ;   in Loop: Header=BB166_263 Depth=1
	s_or_b32 exec_lo, exec_lo, s22
.LBB166_450:                            ;   in Loop: Header=BB166_263 Depth=1
	s_or_b32 exec_lo, exec_lo, s21
	v_mov_b32_e32 v23, 0
	v_mov_b32_e32 v21, 0
	v_and_b32_sdwa v5, v70, v40 dst_sel:DWORD dst_unused:UNUSED_PAD src0_sel:WORD_1 src1_sel:DWORD
	v_mov_b32_e32 v24, 0
	v_mov_b32_e32 v22, 0
	s_mov_b32 s21, exec_lo
	v_cmpx_ne_u16_e32 0, v5
	s_cbranch_execz .LBB166_458
; %bb.451:                              ;   in Loop: Header=BB166_263 Depth=1
	v_bfrev_b32_e32 v21, 1
	v_mov_b32_e32 v22, 0
	s_mov_b32 s22, exec_lo
	v_cmpx_ne_u16_e32 0x80, v5
	s_cbranch_execz .LBB166_457
; %bb.452:                              ;   in Loop: Header=BB166_263 Depth=1
	v_mov_b32_e32 v21, 0x7f800001
	v_bfe_u32 v9, v70, 16, 7
	v_mov_b32_e32 v22, 0
	s_mov_b32 s26, exec_lo
	v_cmpx_ne_u32_e32 0x7f, v9
	s_cbranch_execz .LBB166_456
; %bb.453:                              ;   in Loop: Header=BB166_263 Depth=1
	v_and_b32_sdwa v5, v70, v41 dst_sel:DWORD dst_unused:UNUSED_PAD src0_sel:WORD_1 src1_sel:DWORD
	v_lshrrev_b32_e32 v7, 3, v9
	s_mov_b32 s27, exec_lo
	v_cmpx_gt_u32_e32 8, v9
; %bb.454:                              ;   in Loop: Header=BB166_263 Depth=1
	v_ffbh_u32_e32 v7, v5
	v_min_u32_e32 v7, 32, v7
	v_subrev_nc_u32_e32 v9, 28, v7
	v_sub_nc_u32_e32 v7, 29, v7
	v_lshlrev_b64 v[21:22], v9, v[5:6]
	v_and_b32_e32 v5, 7, v21
; %bb.455:                              ;   in Loop: Header=BB166_263 Depth=1
	s_or_b32 exec_lo, exec_lo, s27
	v_lshlrev_b32_sdwa v9, v42, v70 dst_sel:DWORD dst_unused:UNUSED_PAD src0_sel:DWORD src1_sel:WORD_1
	v_lshlrev_b32_e32 v5, 20, v5
	v_lshl_add_u32 v7, v7, 23, 0x3c000000
	v_and_b32_e32 v9, 0x80000000, v9
	v_or3_b32 v5, v5, v9, v7
	v_mov_b32_e32 v22, v6
	v_mov_b32_e32 v21, v5
.LBB166_456:                            ;   in Loop: Header=BB166_263 Depth=1
	s_or_b32 exec_lo, exec_lo, s26
.LBB166_457:                            ;   in Loop: Header=BB166_263 Depth=1
	s_or_b32 exec_lo, exec_lo, s22
.LBB166_458:                            ;   in Loop: Header=BB166_263 Depth=1
	s_or_b32 exec_lo, exec_lo, s21
	s_mov_b32 s21, exec_lo
	v_cmpx_lt_u32_e32 0xffffff, v70
	s_cbranch_execz .LBB166_466
; %bb.459:                              ;   in Loop: Header=BB166_263 Depth=1
	v_mov_b32_e32 v7, v6
	v_mov_b32_e32 v24, v8
	v_cmp_ne_u32_sdwa s0, v70, v36 src0_sel:BYTE_3 src1_sel:DWORD
	v_mov_b32_e32 v23, v7
	s_and_saveexec_b32 s22, s0
	s_cbranch_execz .LBB166_465
; %bb.460:                              ;   in Loop: Header=BB166_263 Depth=1
	v_mov_b32_e32 v9, v6
	v_mov_b32_e32 v24, v10
	v_bfe_u32 v71, v70, 24, 7
	s_mov_b32 s26, exec_lo
	v_mov_b32_e32 v23, v9
	v_cmpx_ne_u32_e32 0x7f, v71
	s_cbranch_execz .LBB166_464
; %bb.461:                              ;   in Loop: Header=BB166_263 Depth=1
	v_and_b32_sdwa v5, v70, v41 dst_sel:DWORD dst_unused:UNUSED_PAD src0_sel:BYTE_3 src1_sel:DWORD
	v_lshrrev_b32_e32 v7, 3, v71
	s_mov_b32 s27, exec_lo
	v_cmpx_gt_u32_e32 8, v71
; %bb.462:                              ;   in Loop: Header=BB166_263 Depth=1
	v_ffbh_u32_e32 v7, v5
	v_min_u32_e32 v7, 32, v7
	v_subrev_nc_u32_e32 v9, 28, v7
	v_sub_nc_u32_e32 v7, 29, v7
	v_lshlrev_b64 v[23:24], v9, v[5:6]
	v_and_b32_e32 v5, 7, v23
; %bb.463:                              ;   in Loop: Header=BB166_263 Depth=1
	s_or_b32 exec_lo, exec_lo, s27
	v_lshlrev_b32_sdwa v9, v42, v70 dst_sel:DWORD dst_unused:UNUSED_PAD src0_sel:DWORD src1_sel:BYTE_3
	v_lshlrev_b32_e32 v5, 20, v5
	v_lshl_add_u32 v7, v7, 23, 0x3c000000
	v_mov_b32_e32 v23, v6
	v_and_b32_e32 v9, 0x80000000, v9
	v_or3_b32 v24, v5, v9, v7
.LBB166_464:                            ;   in Loop: Header=BB166_263 Depth=1
	s_or_b32 exec_lo, exec_lo, s26
.LBB166_465:                            ;   in Loop: Header=BB166_263 Depth=1
	s_or_b32 exec_lo, exec_lo, s22
.LBB166_466:                            ;   in Loop: Header=BB166_263 Depth=1
	s_or_b32 exec_lo, exec_lo, s21
	v_or_b32_e32 v5, v20, v18
	v_or_b32_e32 v7, v19, v17
	;; [unrolled: 1-line block ×4, first 2 shown]
	v_mul_f32_e32 v70, s18, v5
	v_mul_f32_e32 v71, s17, v7
	;; [unrolled: 1-line block ×4, first 2 shown]
	s_and_saveexec_b32 s21, vcc_lo
	s_cbranch_execz .LBB166_468
; %bb.467:                              ;   in Loop: Header=BB166_263 Depth=1
	v_cmp_gt_i32_e64 s0, s33, v50
	v_cndmask_b32_e64 v71, 0, v71, s0
	v_cmp_gt_i32_e64 s0, s33, v53
	v_cndmask_b32_e64 v70, 0, v70, s0
	;; [unrolled: 2-line block ×4, first 2 shown]
.LBB166_468:                            ;   in Loop: Header=BB166_263 Depth=1
	s_or_b32 exec_lo, exec_lo, s21
	global_load_dword v72, v[15:16], off offset:768
	v_mov_b32_e32 v17, 0
	v_mov_b32_e32 v15, 0
	;; [unrolled: 1-line block ×4, first 2 shown]
	s_waitcnt vmcnt(0)
	v_cmp_ne_u16_sdwa s0, v72, v6 src0_sel:BYTE_0 src1_sel:DWORD
	s_and_saveexec_b32 s21, s0
	s_cbranch_execz .LBB166_476
; %bb.469:                              ;   in Loop: Header=BB166_263 Depth=1
	v_bfrev_b32_e32 v15, 1
	v_mov_b32_e32 v16, 0
	v_cmp_ne_u16_sdwa s0, v72, v36 src0_sel:BYTE_0 src1_sel:DWORD
	s_and_saveexec_b32 s22, s0
	s_cbranch_execz .LBB166_475
; %bb.470:                              ;   in Loop: Header=BB166_263 Depth=1
	v_mov_b32_e32 v15, 0x7f800001
	v_and_b32_e32 v9, 0x7f, v72
	v_mov_b32_e32 v16, 0
	s_mov_b32 s26, exec_lo
	v_cmpx_ne_u32_e32 0x7f, v9
	s_cbranch_execz .LBB166_474
; %bb.471:                              ;   in Loop: Header=BB166_263 Depth=1
	v_and_b32_e32 v5, 7, v72
	v_lshrrev_b32_e32 v7, 3, v9
	s_mov_b32 s27, exec_lo
	v_cmpx_gt_u32_e32 8, v9
; %bb.472:                              ;   in Loop: Header=BB166_263 Depth=1
	v_ffbh_u32_e32 v7, v5
	v_min_u32_e32 v7, 32, v7
	v_subrev_nc_u32_e32 v9, 28, v7
	v_sub_nc_u32_e32 v7, 29, v7
	v_lshlrev_b64 v[15:16], v9, v[5:6]
	v_and_b32_e32 v5, 7, v15
; %bb.473:                              ;   in Loop: Header=BB166_263 Depth=1
	s_or_b32 exec_lo, exec_lo, s27
	v_lshlrev_b32_e32 v9, 24, v72
	v_lshlrev_b32_e32 v5, 20, v5
	v_lshl_add_u32 v7, v7, 23, 0x3c000000
	v_and_b32_e32 v9, 0x80000000, v9
	v_or3_b32 v5, v5, v9, v7
	v_mov_b32_e32 v16, v6
	v_mov_b32_e32 v15, v5
.LBB166_474:                            ;   in Loop: Header=BB166_263 Depth=1
	s_or_b32 exec_lo, exec_lo, s26
.LBB166_475:                            ;   in Loop: Header=BB166_263 Depth=1
	s_or_b32 exec_lo, exec_lo, s22
.LBB166_476:                            ;   in Loop: Header=BB166_263 Depth=1
	s_or_b32 exec_lo, exec_lo, s21
	v_cmp_ne_u16_sdwa s0, v72, v6 src0_sel:BYTE_1 src1_sel:DWORD
	s_and_saveexec_b32 s21, s0
	s_cbranch_execz .LBB166_484
; %bb.477:                              ;   in Loop: Header=BB166_263 Depth=1
	v_mov_b32_e32 v7, v6
	v_mov_b32_e32 v18, v8
	v_cmp_ne_u16_sdwa s0, v72, v36 src0_sel:BYTE_1 src1_sel:DWORD
	v_mov_b32_e32 v17, v7
	s_and_saveexec_b32 s22, s0
	s_cbranch_execz .LBB166_483
; %bb.478:                              ;   in Loop: Header=BB166_263 Depth=1
	v_and_b32_sdwa v5, v39, v72 dst_sel:DWORD dst_unused:UNUSED_PAD src0_sel:DWORD src1_sel:BYTE_1
	v_mov_b32_e32 v9, v6
	v_mov_b32_e32 v18, v10
	s_mov_b32 s26, exec_lo
	v_and_b32_e32 v19, 0x7f, v5
	v_mov_b32_e32 v17, v9
	v_cmpx_ne_u32_e32 0x7f, v19
	s_cbranch_execz .LBB166_482
; %bb.479:                              ;   in Loop: Header=BB166_263 Depth=1
	v_and_b32_e32 v5, 7, v5
	v_lshrrev_b32_e32 v7, 3, v19
	s_mov_b32 s27, exec_lo
	v_cmpx_gt_u32_e32 8, v19
; %bb.480:                              ;   in Loop: Header=BB166_263 Depth=1
	v_ffbh_u32_e32 v7, v5
	v_min_u32_e32 v7, 32, v7
	v_subrev_nc_u32_e32 v9, 28, v7
	v_sub_nc_u32_e32 v7, 29, v7
	v_lshlrev_b64 v[17:18], v9, v[5:6]
	v_and_b32_e32 v5, 7, v17
; %bb.481:                              ;   in Loop: Header=BB166_263 Depth=1
	s_or_b32 exec_lo, exec_lo, s27
	v_lshlrev_b32_e32 v9, 16, v72
	v_lshlrev_b32_e32 v5, 20, v5
	v_lshl_add_u32 v7, v7, 23, 0x3c000000
	v_mov_b32_e32 v17, v6
	v_and_b32_e32 v9, 0x80000000, v9
	v_or3_b32 v18, v5, v9, v7
.LBB166_482:                            ;   in Loop: Header=BB166_263 Depth=1
	s_or_b32 exec_lo, exec_lo, s26
.LBB166_483:                            ;   in Loop: Header=BB166_263 Depth=1
	s_or_b32 exec_lo, exec_lo, s22
.LBB166_484:                            ;   in Loop: Header=BB166_263 Depth=1
	s_or_b32 exec_lo, exec_lo, s21
	v_mov_b32_e32 v21, 0
	v_mov_b32_e32 v19, 0
	v_and_b32_sdwa v5, v72, v40 dst_sel:DWORD dst_unused:UNUSED_PAD src0_sel:WORD_1 src1_sel:DWORD
	v_mov_b32_e32 v22, 0
	v_mov_b32_e32 v20, 0
	s_mov_b32 s21, exec_lo
	v_cmpx_ne_u16_e32 0, v5
	s_cbranch_execz .LBB166_492
; %bb.485:                              ;   in Loop: Header=BB166_263 Depth=1
	v_bfrev_b32_e32 v19, 1
	v_mov_b32_e32 v20, 0
	s_mov_b32 s22, exec_lo
	v_cmpx_ne_u16_e32 0x80, v5
	s_cbranch_execz .LBB166_491
; %bb.486:                              ;   in Loop: Header=BB166_263 Depth=1
	v_mov_b32_e32 v19, 0x7f800001
	v_bfe_u32 v9, v72, 16, 7
	v_mov_b32_e32 v20, 0
	s_mov_b32 s26, exec_lo
	v_cmpx_ne_u32_e32 0x7f, v9
	s_cbranch_execz .LBB166_490
; %bb.487:                              ;   in Loop: Header=BB166_263 Depth=1
	v_and_b32_sdwa v5, v72, v41 dst_sel:DWORD dst_unused:UNUSED_PAD src0_sel:WORD_1 src1_sel:DWORD
	v_lshrrev_b32_e32 v7, 3, v9
	s_mov_b32 s27, exec_lo
	v_cmpx_gt_u32_e32 8, v9
; %bb.488:                              ;   in Loop: Header=BB166_263 Depth=1
	v_ffbh_u32_e32 v7, v5
	v_min_u32_e32 v7, 32, v7
	v_subrev_nc_u32_e32 v9, 28, v7
	v_sub_nc_u32_e32 v7, 29, v7
	v_lshlrev_b64 v[19:20], v9, v[5:6]
	v_and_b32_e32 v5, 7, v19
; %bb.489:                              ;   in Loop: Header=BB166_263 Depth=1
	s_or_b32 exec_lo, exec_lo, s27
	v_lshlrev_b32_sdwa v9, v42, v72 dst_sel:DWORD dst_unused:UNUSED_PAD src0_sel:DWORD src1_sel:WORD_1
	v_lshlrev_b32_e32 v5, 20, v5
	v_lshl_add_u32 v7, v7, 23, 0x3c000000
	v_and_b32_e32 v9, 0x80000000, v9
	v_or3_b32 v5, v5, v9, v7
	v_mov_b32_e32 v20, v6
	v_mov_b32_e32 v19, v5
.LBB166_490:                            ;   in Loop: Header=BB166_263 Depth=1
	s_or_b32 exec_lo, exec_lo, s26
.LBB166_491:                            ;   in Loop: Header=BB166_263 Depth=1
	s_or_b32 exec_lo, exec_lo, s22
.LBB166_492:                            ;   in Loop: Header=BB166_263 Depth=1
	s_or_b32 exec_lo, exec_lo, s21
	s_mov_b32 s21, exec_lo
	v_cmpx_lt_u32_e32 0xffffff, v72
	s_cbranch_execz .LBB166_500
; %bb.493:                              ;   in Loop: Header=BB166_263 Depth=1
	v_mov_b32_e32 v7, v6
	v_mov_b32_e32 v22, v8
	v_cmp_ne_u32_sdwa s0, v72, v36 src0_sel:BYTE_3 src1_sel:DWORD
	v_mov_b32_e32 v21, v7
	s_and_saveexec_b32 s22, s0
	s_cbranch_execz .LBB166_499
; %bb.494:                              ;   in Loop: Header=BB166_263 Depth=1
	v_mov_b32_e32 v9, v6
	v_mov_b32_e32 v22, v10
	v_bfe_u32 v73, v72, 24, 7
	s_mov_b32 s26, exec_lo
	v_mov_b32_e32 v21, v9
	v_cmpx_ne_u32_e32 0x7f, v73
	s_cbranch_execz .LBB166_498
; %bb.495:                              ;   in Loop: Header=BB166_263 Depth=1
	v_and_b32_sdwa v5, v72, v41 dst_sel:DWORD dst_unused:UNUSED_PAD src0_sel:BYTE_3 src1_sel:DWORD
	v_lshrrev_b32_e32 v7, 3, v73
	s_mov_b32 s27, exec_lo
	v_cmpx_gt_u32_e32 8, v73
; %bb.496:                              ;   in Loop: Header=BB166_263 Depth=1
	v_ffbh_u32_e32 v7, v5
	v_min_u32_e32 v7, 32, v7
	v_subrev_nc_u32_e32 v9, 28, v7
	v_sub_nc_u32_e32 v7, 29, v7
	v_lshlrev_b64 v[21:22], v9, v[5:6]
	v_and_b32_e32 v5, 7, v21
; %bb.497:                              ;   in Loop: Header=BB166_263 Depth=1
	s_or_b32 exec_lo, exec_lo, s27
	v_lshlrev_b32_sdwa v9, v42, v72 dst_sel:DWORD dst_unused:UNUSED_PAD src0_sel:DWORD src1_sel:BYTE_3
	v_lshlrev_b32_e32 v5, 20, v5
	v_lshl_add_u32 v7, v7, 23, 0x3c000000
	v_mov_b32_e32 v21, v6
	v_and_b32_e32 v9, 0x80000000, v9
	v_or3_b32 v22, v5, v9, v7
.LBB166_498:                            ;   in Loop: Header=BB166_263 Depth=1
	s_or_b32 exec_lo, exec_lo, s26
.LBB166_499:                            ;   in Loop: Header=BB166_263 Depth=1
	s_or_b32 exec_lo, exec_lo, s22
.LBB166_500:                            ;   in Loop: Header=BB166_263 Depth=1
	s_or_b32 exec_lo, exec_lo, s21
	v_or_b32_e32 v5, v18, v16
	v_or_b32_e32 v7, v17, v15
	;; [unrolled: 1-line block ×4, first 2 shown]
	v_mul_f32_e32 v9, s18, v5
	v_mul_f32_e32 v15, s17, v7
	;; [unrolled: 1-line block ×4, first 2 shown]
	s_and_saveexec_b32 s0, vcc_lo
	s_cbranch_execz .LBB166_261
; %bb.501:                              ;   in Loop: Header=BB166_263 Depth=1
	v_cmp_gt_i32_e32 vcc_lo, s33, v50
	v_cndmask_b32_e32 v15, 0, v15, vcc_lo
	v_cmp_gt_i32_e32 vcc_lo, s33, v53
	v_cndmask_b32_e32 v9, 0, v9, vcc_lo
	;; [unrolled: 2-line block ×4, first 2 shown]
	s_branch .LBB166_261
.LBB166_502:
	s_or_b32 exec_lo, exec_lo, s5
.LBB166_503:
	s_or_b32 exec_lo, exec_lo, s1
	ds_bpermute_b32 v1, v26, v34
	ds_bpermute_b32 v2, v26, v33
	;; [unrolled: 1-line block ×7, first 2 shown]
	v_lshrrev_b32_e32 v8, 1, v25
	v_mul_u32_u24_e32 v10, 0x1c0, v37
	v_and_b32_e32 v11, 0x3c1, v0
	s_mov_b32 s0, exec_lo
	s_waitcnt lgkmcnt(0)
	v_lshl_add_u32 v9, v8, 2, 0x1e0
	s_barrier
	buffer_gl0_inv
	v_add_f32_e32 v1, v34, v1
	v_add_f32_e32 v2, v33, v2
	;; [unrolled: 1-line block ×7, first 2 shown]
	v_cmpx_eq_u32_e32 64, v11
	s_cbranch_execz .LBB166_505
; %bb.504:
	v_add_nc_u32_e32 v11, v9, v10
	v_add_nc_u32_e32 v12, 0xfffffc80, v11
	;; [unrolled: 1-line block ×8, first 2 shown]
	ds_write_b32 v12, v1
	ds_write_b32 v13, v2
	;; [unrolled: 1-line block ×7, first 2 shown]
.LBB166_505:
	s_or_b32 exec_lo, exec_lo, s0
	v_lshlrev_b32_e32 v8, 2, v8
	s_mov_b32 s1, exec_lo
	v_cmp_eq_u32_e32 vcc_lo, 0, v27
	s_waitcnt lgkmcnt(0)
	s_barrier
	v_add3_u32 v8, 0x1e0, v10, v8
	buffer_gl0_inv
	v_cmpx_gt_u32_e32 64, v0
	s_cbranch_execz .LBB166_515
; %bb.506:
	s_and_saveexec_b32 s0, vcc_lo
	s_cbranch_execnz .LBB166_530
; %bb.507:
	s_or_b32 exec_lo, exec_lo, s0
	s_and_saveexec_b32 s0, vcc_lo
	s_cbranch_execnz .LBB166_531
.LBB166_508:
	s_or_b32 exec_lo, exec_lo, s0
	s_and_saveexec_b32 s0, vcc_lo
	s_cbranch_execnz .LBB166_532
.LBB166_509:
	s_or_b32 exec_lo, exec_lo, s0
	s_and_saveexec_b32 s0, vcc_lo
	s_cbranch_execnz .LBB166_533
.LBB166_510:
	s_or_b32 exec_lo, exec_lo, s0
	s_and_saveexec_b32 s0, vcc_lo
	s_cbranch_execnz .LBB166_534
.LBB166_511:
	s_or_b32 exec_lo, exec_lo, s0
	s_and_saveexec_b32 s0, vcc_lo
	s_cbranch_execnz .LBB166_535
.LBB166_512:
	s_or_b32 exec_lo, exec_lo, s0
	s_and_saveexec_b32 s0, vcc_lo
	s_cbranch_execz .LBB166_514
.LBB166_513:
	ds_read_b32 v10, v8 offset:384
	s_waitcnt lgkmcnt(0)
	v_add_f32_e32 v7, v7, v10
.LBB166_514:
	s_or_b32 exec_lo, exec_lo, s0
.LBB166_515:
	s_or_b32 exec_lo, exec_lo, s1
	v_and_b32_e32 v10, 0x3e1, v0
	s_mov_b32 s1, exec_lo
	s_barrier
	buffer_gl0_inv
	v_cmpx_eq_u32_e32 32, v10
	s_cbranch_execz .LBB166_517
; %bb.516:
	ds_write2_b32 v9, v1, v2 offset1:16
	ds_write2_b32 v9, v3, v4 offset0:32 offset1:48
	ds_write2_b32 v9, v5, v6 offset0:64 offset1:80
	ds_write_b32 v9, v7 offset:384
.LBB166_517:
	s_or_b32 exec_lo, exec_lo, s1
	s_mov_b32 s1, exec_lo
	s_waitcnt lgkmcnt(0)
	s_barrier
	buffer_gl0_inv
	v_cmpx_gt_u32_e32 32, v0
	s_cbranch_execz .LBB166_527
; %bb.518:
	s_and_saveexec_b32 s0, vcc_lo
	s_cbranch_execnz .LBB166_536
; %bb.519:
	s_or_b32 exec_lo, exec_lo, s0
	s_and_saveexec_b32 s0, vcc_lo
	s_cbranch_execnz .LBB166_537
.LBB166_520:
	s_or_b32 exec_lo, exec_lo, s0
	s_and_saveexec_b32 s0, vcc_lo
	s_cbranch_execnz .LBB166_538
.LBB166_521:
	s_or_b32 exec_lo, exec_lo, s0
	s_and_saveexec_b32 s0, vcc_lo
	s_cbranch_execnz .LBB166_539
.LBB166_522:
	s_or_b32 exec_lo, exec_lo, s0
	s_and_saveexec_b32 s0, vcc_lo
	s_cbranch_execnz .LBB166_540
.LBB166_523:
	s_or_b32 exec_lo, exec_lo, s0
	s_and_saveexec_b32 s0, vcc_lo
	s_cbranch_execnz .LBB166_541
.LBB166_524:
	s_or_b32 exec_lo, exec_lo, s0
	s_and_saveexec_b32 s0, vcc_lo
	s_cbranch_execz .LBB166_526
.LBB166_525:
	ds_read_b32 v8, v8 offset:384
	s_waitcnt lgkmcnt(0)
	v_add_f32_e32 v7, v7, v8
.LBB166_526:
	s_or_b32 exec_lo, exec_lo, s0
.LBB166_527:
	s_or_b32 exec_lo, exec_lo, s1
	s_barrier
	buffer_gl0_inv
	s_mov_b32 s0, exec_lo
	v_cmpx_eq_u32_e32 0, v10
	s_cbranch_execz .LBB166_529
; %bb.528:
	s_mul_i32 s0, s10, s11
	s_mul_i32 s2, s11, s24
	;; [unrolled: 1-line block ×3, first 2 shown]
	v_lshlrev_b32_e32 v0, 1, v0
	s_mulk_i32 s0, 0x70
	s_ashr_i32 s1, s0, 31
	s_lshl_b64 s[0:1], s[0:1], 2
	s_add_u32 s4, s6, s0
	s_addc_u32 s5, s7, s1
	s_ashr_i32 s3, s2, 31
	s_lshl_b64 s[0:1], s[2:3], 2
	s_mul_i32 s2, s8, 0x70
	s_add_u32 s4, s4, s0
	s_addc_u32 s5, s5, s1
	s_ashr_i32 s3, s2, 31
	s_lshl_b64 s[0:1], s[2:3], 2
	s_add_u32 s0, s4, s0
	s_addc_u32 s1, s5, s1
	global_store_dword v0, v1, s[0:1]
	global_store_dword v0, v2, s[0:1] offset:64
	global_store_dword v0, v3, s[0:1] offset:128
	;; [unrolled: 1-line block ×6, first 2 shown]
.LBB166_529:
	s_endpgm
.LBB166_530:
	ds_read_b32 v10, v8
	s_waitcnt lgkmcnt(0)
	v_add_f32_e32 v1, v1, v10
	s_or_b32 exec_lo, exec_lo, s0
	s_and_saveexec_b32 s0, vcc_lo
	s_cbranch_execz .LBB166_508
.LBB166_531:
	ds_read_b32 v10, v8 offset:64
	s_waitcnt lgkmcnt(0)
	v_add_f32_e32 v2, v2, v10
	s_or_b32 exec_lo, exec_lo, s0
	s_and_saveexec_b32 s0, vcc_lo
	s_cbranch_execz .LBB166_509
.LBB166_532:
	ds_read_b32 v10, v8 offset:128
	s_waitcnt lgkmcnt(0)
	v_add_f32_e32 v3, v3, v10
	s_or_b32 exec_lo, exec_lo, s0
	s_and_saveexec_b32 s0, vcc_lo
	s_cbranch_execz .LBB166_510
.LBB166_533:
	ds_read_b32 v10, v8 offset:192
	s_waitcnt lgkmcnt(0)
	v_add_f32_e32 v4, v4, v10
	s_or_b32 exec_lo, exec_lo, s0
	s_and_saveexec_b32 s0, vcc_lo
	s_cbranch_execz .LBB166_511
.LBB166_534:
	ds_read_b32 v10, v8 offset:256
	s_waitcnt lgkmcnt(0)
	v_add_f32_e32 v5, v5, v10
	s_or_b32 exec_lo, exec_lo, s0
	s_and_saveexec_b32 s0, vcc_lo
	s_cbranch_execz .LBB166_512
.LBB166_535:
	ds_read_b32 v10, v8 offset:320
	s_waitcnt lgkmcnt(0)
	v_add_f32_e32 v6, v6, v10
	s_or_b32 exec_lo, exec_lo, s0
	s_and_saveexec_b32 s0, vcc_lo
	s_cbranch_execnz .LBB166_513
	s_branch .LBB166_514
.LBB166_536:
	ds_read_b32 v9, v8
	s_waitcnt lgkmcnt(0)
	v_add_f32_e32 v1, v1, v9
	s_or_b32 exec_lo, exec_lo, s0
	s_and_saveexec_b32 s0, vcc_lo
	s_cbranch_execz .LBB166_520
.LBB166_537:
	ds_read_b32 v9, v8 offset:64
	s_waitcnt lgkmcnt(0)
	v_add_f32_e32 v2, v2, v9
	s_or_b32 exec_lo, exec_lo, s0
	s_and_saveexec_b32 s0, vcc_lo
	s_cbranch_execz .LBB166_521
.LBB166_538:
	ds_read_b32 v9, v8 offset:128
	s_waitcnt lgkmcnt(0)
	v_add_f32_e32 v3, v3, v9
	s_or_b32 exec_lo, exec_lo, s0
	s_and_saveexec_b32 s0, vcc_lo
	s_cbranch_execz .LBB166_522
.LBB166_539:
	ds_read_b32 v9, v8 offset:192
	s_waitcnt lgkmcnt(0)
	v_add_f32_e32 v4, v4, v9
	s_or_b32 exec_lo, exec_lo, s0
	s_and_saveexec_b32 s0, vcc_lo
	s_cbranch_execz .LBB166_523
.LBB166_540:
	ds_read_b32 v9, v8 offset:256
	s_waitcnt lgkmcnt(0)
	v_add_f32_e32 v5, v5, v9
	s_or_b32 exec_lo, exec_lo, s0
	s_and_saveexec_b32 s0, vcc_lo
	s_cbranch_execz .LBB166_524
.LBB166_541:
	ds_read_b32 v9, v8 offset:320
	s_waitcnt lgkmcnt(0)
	v_add_f32_e32 v6, v6, v9
	s_or_b32 exec_lo, exec_lo, s0
	s_and_saveexec_b32 s0, vcc_lo
	s_cbranch_execnz .LBB166_525
	s_branch .LBB166_526
	.section	.rodata,"a",@progbits
	.p2align	6, 0x0
	.amdhsa_kernel _ZN4vllm25paged_attention_v1_kernelIfhLi112ELi8ELi128ELNS_18Fp8KVCacheDataTypeE1ELb1EEEvPT_PKS2_PKT0_S8_ifPKiSA_iPKfiiiSC_SC_iiiii
		.amdhsa_group_segment_fixed_size 480
		.amdhsa_private_segment_fixed_size 0
		.amdhsa_kernarg_size 384
		.amdhsa_user_sgpr_count 6
		.amdhsa_user_sgpr_private_segment_buffer 1
		.amdhsa_user_sgpr_dispatch_ptr 0
		.amdhsa_user_sgpr_queue_ptr 0
		.amdhsa_user_sgpr_kernarg_segment_ptr 1
		.amdhsa_user_sgpr_dispatch_id 0
		.amdhsa_user_sgpr_flat_scratch_init 0
		.amdhsa_user_sgpr_private_segment_size 0
		.amdhsa_wavefront_size32 1
		.amdhsa_uses_dynamic_stack 0
		.amdhsa_system_sgpr_private_segment_wavefront_offset 0
		.amdhsa_system_sgpr_workgroup_id_x 1
		.amdhsa_system_sgpr_workgroup_id_y 1
		.amdhsa_system_sgpr_workgroup_id_z 1
		.amdhsa_system_sgpr_workgroup_info 0
		.amdhsa_system_vgpr_workitem_id 0
		.amdhsa_next_free_vgpr 84
		.amdhsa_next_free_sgpr 45
		.amdhsa_reserve_vcc 1
		.amdhsa_reserve_flat_scratch 0
		.amdhsa_float_round_mode_32 0
		.amdhsa_float_round_mode_16_64 0
		.amdhsa_float_denorm_mode_32 3
		.amdhsa_float_denorm_mode_16_64 3
		.amdhsa_dx10_clamp 1
		.amdhsa_ieee_mode 1
		.amdhsa_fp16_overflow 0
		.amdhsa_workgroup_processor_mode 1
		.amdhsa_memory_ordered 1
		.amdhsa_forward_progress 1
		.amdhsa_shared_vgpr_count 0
		.amdhsa_exception_fp_ieee_invalid_op 0
		.amdhsa_exception_fp_denorm_src 0
		.amdhsa_exception_fp_ieee_div_zero 0
		.amdhsa_exception_fp_ieee_overflow 0
		.amdhsa_exception_fp_ieee_underflow 0
		.amdhsa_exception_fp_ieee_inexact 0
		.amdhsa_exception_int_div_zero 0
	.end_amdhsa_kernel
	.section	.text._ZN4vllm25paged_attention_v1_kernelIfhLi112ELi8ELi128ELNS_18Fp8KVCacheDataTypeE1ELb1EEEvPT_PKS2_PKT0_S8_ifPKiSA_iPKfiiiSC_SC_iiiii,"axG",@progbits,_ZN4vllm25paged_attention_v1_kernelIfhLi112ELi8ELi128ELNS_18Fp8KVCacheDataTypeE1ELb1EEEvPT_PKS2_PKT0_S8_ifPKiSA_iPKfiiiSC_SC_iiiii,comdat
.Lfunc_end166:
	.size	_ZN4vllm25paged_attention_v1_kernelIfhLi112ELi8ELi128ELNS_18Fp8KVCacheDataTypeE1ELb1EEEvPT_PKS2_PKT0_S8_ifPKiSA_iPKfiiiSC_SC_iiiii, .Lfunc_end166-_ZN4vllm25paged_attention_v1_kernelIfhLi112ELi8ELi128ELNS_18Fp8KVCacheDataTypeE1ELb1EEEvPT_PKS2_PKT0_S8_ifPKiSA_iPKfiiiSC_SC_iiiii
                                        ; -- End function
	.set _ZN4vllm25paged_attention_v1_kernelIfhLi112ELi8ELi128ELNS_18Fp8KVCacheDataTypeE1ELb1EEEvPT_PKS2_PKT0_S8_ifPKiSA_iPKfiiiSC_SC_iiiii.num_vgpr, 84
	.set _ZN4vllm25paged_attention_v1_kernelIfhLi112ELi8ELi128ELNS_18Fp8KVCacheDataTypeE1ELb1EEEvPT_PKS2_PKT0_S8_ifPKiSA_iPKfiiiSC_SC_iiiii.num_agpr, 0
	.set _ZN4vllm25paged_attention_v1_kernelIfhLi112ELi8ELi128ELNS_18Fp8KVCacheDataTypeE1ELb1EEEvPT_PKS2_PKT0_S8_ifPKiSA_iPKfiiiSC_SC_iiiii.numbered_sgpr, 45
	.set _ZN4vllm25paged_attention_v1_kernelIfhLi112ELi8ELi128ELNS_18Fp8KVCacheDataTypeE1ELb1EEEvPT_PKS2_PKT0_S8_ifPKiSA_iPKfiiiSC_SC_iiiii.num_named_barrier, 0
	.set _ZN4vllm25paged_attention_v1_kernelIfhLi112ELi8ELi128ELNS_18Fp8KVCacheDataTypeE1ELb1EEEvPT_PKS2_PKT0_S8_ifPKiSA_iPKfiiiSC_SC_iiiii.private_seg_size, 0
	.set _ZN4vllm25paged_attention_v1_kernelIfhLi112ELi8ELi128ELNS_18Fp8KVCacheDataTypeE1ELb1EEEvPT_PKS2_PKT0_S8_ifPKiSA_iPKfiiiSC_SC_iiiii.uses_vcc, 1
	.set _ZN4vllm25paged_attention_v1_kernelIfhLi112ELi8ELi128ELNS_18Fp8KVCacheDataTypeE1ELb1EEEvPT_PKS2_PKT0_S8_ifPKiSA_iPKfiiiSC_SC_iiiii.uses_flat_scratch, 0
	.set _ZN4vllm25paged_attention_v1_kernelIfhLi112ELi8ELi128ELNS_18Fp8KVCacheDataTypeE1ELb1EEEvPT_PKS2_PKT0_S8_ifPKiSA_iPKfiiiSC_SC_iiiii.has_dyn_sized_stack, 0
	.set _ZN4vllm25paged_attention_v1_kernelIfhLi112ELi8ELi128ELNS_18Fp8KVCacheDataTypeE1ELb1EEEvPT_PKS2_PKT0_S8_ifPKiSA_iPKfiiiSC_SC_iiiii.has_recursion, 0
	.set _ZN4vllm25paged_attention_v1_kernelIfhLi112ELi8ELi128ELNS_18Fp8KVCacheDataTypeE1ELb1EEEvPT_PKS2_PKT0_S8_ifPKiSA_iPKfiiiSC_SC_iiiii.has_indirect_call, 0
	.section	.AMDGPU.csdata,"",@progbits
; Kernel info:
; codeLenInByte = 15760
; TotalNumSgprs: 47
; NumVgprs: 84
; ScratchSize: 0
; MemoryBound: 0
; FloatMode: 240
; IeeeMode: 1
; LDSByteSize: 480 bytes/workgroup (compile time only)
; SGPRBlocks: 0
; VGPRBlocks: 10
; NumSGPRsForWavesPerEU: 47
; NumVGPRsForWavesPerEU: 84
; Occupancy: 10
; WaveLimiterHint : 1
; COMPUTE_PGM_RSRC2:SCRATCH_EN: 0
; COMPUTE_PGM_RSRC2:USER_SGPR: 6
; COMPUTE_PGM_RSRC2:TRAP_HANDLER: 0
; COMPUTE_PGM_RSRC2:TGID_X_EN: 1
; COMPUTE_PGM_RSRC2:TGID_Y_EN: 1
; COMPUTE_PGM_RSRC2:TGID_Z_EN: 1
; COMPUTE_PGM_RSRC2:TIDIG_COMP_CNT: 0
	.section	.text._ZN4vllm25paged_attention_v1_kernelIfhLi120ELi8ELi128ELNS_18Fp8KVCacheDataTypeE1ELb1EEEvPT_PKS2_PKT0_S8_ifPKiSA_iPKfiiiSC_SC_iiiii,"axG",@progbits,_ZN4vllm25paged_attention_v1_kernelIfhLi120ELi8ELi128ELNS_18Fp8KVCacheDataTypeE1ELb1EEEvPT_PKS2_PKT0_S8_ifPKiSA_iPKfiiiSC_SC_iiiii,comdat
	.protected	_ZN4vllm25paged_attention_v1_kernelIfhLi120ELi8ELi128ELNS_18Fp8KVCacheDataTypeE1ELb1EEEvPT_PKS2_PKT0_S8_ifPKiSA_iPKfiiiSC_SC_iiiii ; -- Begin function _ZN4vllm25paged_attention_v1_kernelIfhLi120ELi8ELi128ELNS_18Fp8KVCacheDataTypeE1ELb1EEEvPT_PKS2_PKT0_S8_ifPKiSA_iPKfiiiSC_SC_iiiii
	.globl	_ZN4vllm25paged_attention_v1_kernelIfhLi120ELi8ELi128ELNS_18Fp8KVCacheDataTypeE1ELb1EEEvPT_PKS2_PKT0_S8_ifPKiSA_iPKfiiiSC_SC_iiiii
	.p2align	8
	.type	_ZN4vllm25paged_attention_v1_kernelIfhLi120ELi8ELi128ELNS_18Fp8KVCacheDataTypeE1ELb1EEEvPT_PKS2_PKT0_S8_ifPKiSA_iPKfiiiSC_SC_iiiii,@function
_ZN4vllm25paged_attention_v1_kernelIfhLi120ELi8ELi128ELNS_18Fp8KVCacheDataTypeE1ELb1EEEvPT_PKS2_PKT0_S8_ifPKiSA_iPKfiiiSC_SC_iiiii: ; @_ZN4vllm25paged_attention_v1_kernelIfhLi120ELi8ELi128ELNS_18Fp8KVCacheDataTypeE1ELb1EEEvPT_PKS2_PKT0_S8_ifPKiSA_iPKfiiiSC_SC_iiiii
; %bb.0:
	s_clause 0x2
	s_load_dword s9, s[4:5], 0x80
	s_load_dwordx2 s[0:1], s[4:5], 0x30
	s_load_dwordx2 s[34:35], s[4:5], 0x20
	s_mov_b32 s10, s7
	s_ashr_i32 s11, s7, 31
	s_mov_b32 s36, 0
	s_lshl_b64 s[2:3], s[10:11], 2
	s_waitcnt lgkmcnt(0)
	s_add_u32 s0, s0, s2
	s_addc_u32 s1, s1, s3
	s_abs_i32 s2, s34
	s_abs_i32 s11, s9
	v_cvt_f32_u32_e32 v1, s2
	s_sub_i32 s7, 0, s2
	v_rcp_iflag_f32_e32 v1, v1
	v_mul_f32_e32 v1, 0x4f7ffffe, v1
	v_cvt_u32_f32_e32 v1, v1
	v_readfirstlane_b32 s3, v1
	s_mul_i32 s7, s7, s3
	s_mul_hi_u32 s7, s3, s7
	s_add_i32 s3, s3, s7
	s_xor_b32 s7, s9, s34
	s_mul_hi_u32 s3, s11, s3
	s_ashr_i32 s7, s7, 31
	s_mul_i32 s12, s3, s2
	s_sub_i32 s11, s11, s12
	s_add_i32 s12, s3, 1
	s_sub_i32 s13, s11, s2
	s_cmp_ge_u32 s11, s2
	s_cselect_b32 s3, s12, s3
	s_cselect_b32 s11, s13, s11
	s_add_i32 s12, s3, 1
	s_cmp_ge_u32 s11, s2
	s_cselect_b32 s2, s12, s3
	s_xor_b32 s2, s2, s7
	s_sub_i32 s14, s2, s7
	s_load_dwordx2 s[2:3], s[4:5], 0x40
	s_abs_i32 s11, s14
	v_cvt_f32_u32_e32 v1, s11
	s_sub_i32 s12, 0, s11
	v_rcp_iflag_f32_e32 v1, v1
	v_mul_f32_e32 v1, 0x4f7ffffe, v1
	v_cvt_u32_f32_e32 v1, v1
	v_readfirstlane_b32 s7, v1
	s_mul_i32 s12, s12, s7
	s_mul_hi_u32 s13, s7, s12
	s_abs_i32 s12, s6
	s_add_i32 s7, s7, s13
	s_waitcnt lgkmcnt(0)
	s_cmp_eq_u64 s[2:3], 0
	s_mul_hi_u32 s13, s12, s7
	s_cbranch_scc1 .LBB167_2
; %bb.1:
	s_ashr_i32 s7, s6, 31
	s_lshl_b64 s[16:17], s[6:7], 2
	s_add_u32 s2, s2, s16
	s_addc_u32 s3, s3, s17
	s_load_dword s36, s[2:3], 0x0
.LBB167_2:
	s_load_dword s33, s[0:1], 0x0
	s_load_dwordx4 s[16:19], s[4:5], 0x48
	v_and_b32_e32 v1, 3, v0
	v_lshlrev_b32_e32 v41, 2, v0
	s_ashr_i32 s0, s6, 31
	s_ashr_i32 s1, s14, 31
	s_mul_i32 s24, s6, 0x78
	s_mov_b32 s2, exec_lo
	v_cmpx_gt_u32_e32 0x78, v0
	s_cbranch_execz .LBB167_4
; %bb.3:
	s_load_dwordx2 s[14:15], s[4:5], 0x8
	s_waitcnt lgkmcnt(0)
	s_mul_i32 s20, s16, s10
	v_and_b32_e32 v3, 0x3fc, v0
	s_ashr_i32 s21, s20, 31
	s_lshl_b64 s[20:21], s[20:21], 2
	v_mad_u32_u24 v3, 0x78, v1, v3
	s_add_u32 s3, s14, s20
	s_addc_u32 s7, s15, s21
	s_ashr_i32 s25, s24, 31
	s_lshl_b64 s[14:15], s[24:25], 2
	s_add_u32 s14, s3, s14
	s_addc_u32 s15, s7, s15
	global_load_dword v2, v41, s[14:15]
	s_waitcnt vmcnt(0)
	ds_write_b32 v3, v2
.LBB167_4:
	s_or_b32 exec_lo, exec_lo, s2
	s_load_dwordx4 s[20:23], s[4:5], 0x68
	s_mul_i32 s2, s13, s11
	s_xor_b32 s1, s0, s1
	s_sub_i32 s0, s12, s2
	s_add_i32 s2, s13, 1
	s_sub_i32 s3, s0, s11
	s_cmp_ge_u32 s0, s11
	s_mov_b32 s12, -1
	s_cselect_b32 s2, s2, s13
	s_cselect_b32 s0, s3, s0
	s_add_i32 s3, s2, 1
	s_cmp_ge_u32 s0, s11
	s_load_dword s0, s[4:5], 0x78
	s_cselect_b32 s2, s3, s2
	s_waitcnt lgkmcnt(0)
	s_add_i32 s7, s33, -1
	s_xor_b32 s2, s2, s1
	s_abs_i32 s3, s7
	s_sub_i32 s1, s2, s1
	s_barrier
	s_abs_i32 s16, s23
	buffer_gl0_inv
	v_cvt_f32_u32_e32 v2, s16
	s_sub_i32 s2, 0, s16
                                        ; implicit-def: $sgpr25
	v_rcp_iflag_f32_e32 v2, v2
	v_mul_f32_e32 v2, 0x4f7ffffe, v2
	v_cvt_u32_f32_e32 v2, v2
	v_readfirstlane_b32 s19, v2
	s_mul_i32 s2, s2, s19
	s_mul_hi_u32 s2, s19, s2
	s_add_i32 s19, s19, s2
	s_cmp_lt_i32 s0, 0
	s_mul_hi_u32 s2, s3, s19
	s_cbranch_scc0 .LBB167_6
; %bb.5:
	s_mul_i32 s11, s20, s34
	s_mov_b32 s12, 0
	s_add_i32 s11, s1, s11
	s_mul_i32 s11, s11, s0
	s_sub_i32 s25, 1, s11
.LBB167_6:
	s_load_dwordx2 s[26:27], s[4:5], 0x28
	s_ashr_i32 s11, s7, 31
	s_andn2_b32 vcc_lo, exec_lo, s12
	s_ashr_i32 s23, s23, 31
	s_cbranch_vccnz .LBB167_8
; %bb.7:
	s_mul_i32 s7, s9, s20
	s_add_i32 s6, s7, s6
	s_mul_i32 s0, s6, s0
	s_add_i32 s25, s0, 1
.LBB167_8:
	s_clause 0x2
	s_load_dword s0, s[4:5], 0x38
	s_load_dwordx2 s[6:7], s[4:5], 0x0
	s_load_dwordx2 s[30:31], s[4:5], 0x18
	s_xor_b32 s34, s11, s23
	s_mul_i32 s11, s2, s16
	s_add_i32 s20, s2, 1
	s_sub_i32 s3, s3, s11
	s_clause 0x1
	s_load_dword s11, s[4:5], 0x88
	s_load_dwordx4 s[12:15], s[4:5], 0x58
	v_lshrrev_b32_e32 v39, 5, v0
	v_mov_b32_e32 v44, 0xff7fffff
	v_lshrrev_b32_e32 v42, 3, v0
	v_mbcnt_lo_u32_b32 v43, -1, 0
	s_mul_i32 s18, s1, s18
	v_lshlrev_b32_e32 v40, 3, v39
	s_mov_b32 s37, exec_lo
	s_waitcnt lgkmcnt(0)
	s_mul_i32 s28, s0, s10
	s_sub_i32 s0, s3, s16
	s_ashr_i32 s29, s28, 31
	s_cmp_ge_u32 s3, s16
	s_cselect_b32 s2, s20, s2
	s_cselect_b32 s0, s0, s3
	s_add_i32 s3, s2, 1
	s_cmp_ge_u32 s0, s16
	s_cselect_b32 s0, s3, s2
	s_add_i32 s2, s33, 7
	s_ashr_i32 s3, s2, 31
	s_lshr_b32 s3, s3, 29
	s_add_i32 s2, s2, s3
	s_ashr_i32 s20, s2, 3
	s_xor_b32 s2, s0, s34
	v_cmp_le_i32_e64 s0, s20, v39
	s_sub_i32 s34, s2, s34
	v_cmpx_gt_i32_e64 s20, v39
	s_cbranch_execz .LBB167_260
; %bb.9:
	s_load_dwordx2 s[2:3], s[4:5], 0x10
	s_sub_i32 s4, s34, s21
	s_ashr_i32 s1, s18, 31
	v_bfe_u32 v45, v0, 2, 3
	v_and_b32_e32 v3, 0x7c, v42
	v_mov_b32_e32 v30, 0
	v_mul_u32_u24_e32 v46, 0x78, v1
	v_lshlrev_b32_e32 v47, 3, v39
	v_lshlrev_b32_e32 v4, 2, v45
	v_subrev_nc_u32_e32 v5, s33, v45
	v_lshlrev_b32_e32 v6, 4, v45
	v_mov_b32_e32 v48, 0xff7fffff
	v_mov_b32_e32 v49, 0x7f
	v_lshl_or_b32 v4, v39, 5, v4
	v_add_nc_u32_e32 v51, 1, v5
	v_mov_b32_e32 v50, 7
	v_mov_b32_e32 v44, 0xff7fffff
	;; [unrolled: 1-line block ×3, first 2 shown]
	v_add_nc_u32_e32 v52, 0x200, v4
	v_cmp_eq_u32_e32 vcc_lo, 0, v1
	s_waitcnt lgkmcnt(0)
	s_add_u32 s38, s2, s18
	s_addc_u32 s39, s3, s1
	s_abs_i32 s5, s22
	v_add_co_u32 v5, s38, s38, v6
	v_cvt_f32_u32_e32 v2, s5
	s_sub_i32 s2, 0, s5
	v_add_co_ci_u32_e64 v6, null, s39, 0, s38
	v_cmp_neq_f32_e64 s1, s36, 0
	v_rcp_iflag_f32_e32 v2, v2
	s_mov_b32 s38, 0
	s_mov_b32 s39, s17
	v_mul_f32_e32 v2, 0x4f7ffffe, v2
	v_cvt_u32_f32_e32 v2, v2
	v_mul_lo_u32 v4, s2, v2
	s_lshl_b64 s[2:3], s[28:29], 2
	s_add_u32 s2, s26, s2
	s_addc_u32 s3, s27, s3
	v_add_co_u32 v31, s2, s2, v3
	v_add_co_ci_u32_e64 v32, null, s3, 0, s2
	v_mul_hi_u32 v4, v2, v4
	v_add_co_u32 v33, s2, v5, v1
	v_add_co_ci_u32_e64 v34, null, 0, v6, s2
	v_add_nc_u32_e32 v53, v2, v4
	s_branch .LBB167_12
.LBB167_10:                             ;   in Loop: Header=BB167_12 Depth=1
	s_or_b32 exec_lo, exec_lo, s40
.LBB167_11:                             ;   in Loop: Header=BB167_12 Depth=1
	s_or_b32 exec_lo, exec_lo, s3
	v_add_nc_u32_e32 v54, 4, v54
	v_add_co_u32 v31, s3, v31, 16
	v_add_co_ci_u32_e64 v32, null, 0, v32, s3
	v_cmp_le_i32_e64 s2, s20, v54
	v_add_nc_u32_e32 v47, 32, v47
	v_add_nc_u32_e32 v52, 0x80, v52
	s_or_b32 s38, s2, s38
	s_andn2_b32 exec_lo, exec_lo, s38
	s_cbranch_execz .LBB167_259
.LBB167_12:                             ; =>This Inner Loop Header: Depth=1
	v_mul_hi_u32 v1, v47, s19
	s_waitcnt lgkmcnt(0)
	v_mul_lo_u32 v2, v1, s16
	v_add_nc_u32_e32 v3, 1, v1
	v_sub_nc_u32_e32 v2, v47, v2
	v_subrev_nc_u32_e32 v4, s16, v2
	v_cmp_le_u32_e64 s2, s16, v2
	v_cndmask_b32_e64 v1, v1, v3, s2
	v_cndmask_b32_e64 v2, v2, v4, s2
	v_add_nc_u32_e32 v3, 1, v1
	v_cmp_le_u32_e64 s2, s16, v2
	v_cndmask_b32_e64 v1, v1, v3, s2
	v_xor_b32_e32 v1, s23, v1
	v_subrev_nc_u32_e32 v1, s23, v1
	v_add_nc_u32_e32 v2, s25, v1
	v_cmp_ge_i32_e64 s3, s4, v1
	v_sub_nc_u32_e32 v3, 0, v2
	v_max_i32_e32 v3, v2, v3
	v_ashrrev_i32_e32 v2, 31, v2
	v_mul_hi_u32 v4, v3, v53
	v_mul_lo_u32 v4, v4, s5
	v_sub_nc_u32_e32 v3, v3, v4
	v_subrev_nc_u32_e32 v4, s5, v3
	v_cmp_le_u32_e64 s2, s5, v3
	v_cndmask_b32_e64 v3, v3, v4, s2
	v_subrev_nc_u32_e32 v4, s5, v3
	v_cmp_le_u32_e64 s2, s5, v3
	v_cndmask_b32_e64 v3, v3, v4, s2
	v_xor_b32_e32 v3, v3, v2
	v_sub_nc_u32_e32 v2, v3, v2
	v_cmp_ne_u32_e64 s2, 0, v2
	s_and_b32 s2, s2, s3
	s_and_saveexec_b32 s3, s2
	s_xor_b32 s2, exec_lo, s3
	s_cbranch_execz .LBB167_16
; %bb.13:                               ;   in Loop: Header=BB167_12 Depth=1
	s_and_saveexec_b32 s3, vcc_lo
; %bb.14:                               ;   in Loop: Header=BB167_12 Depth=1
	ds_write_b32 v52, v48
; %bb.15:                               ;   in Loop: Header=BB167_12 Depth=1
	s_or_b32 exec_lo, exec_lo, s3
.LBB167_16:                             ;   in Loop: Header=BB167_12 Depth=1
	s_andn2_saveexec_b32 s3, s2
	s_cbranch_execz .LBB167_11
; %bb.17:                               ;   in Loop: Header=BB167_12 Depth=1
	global_load_dword v1, v[31:32], off
	v_mov_b32_e32 v55, 0
	v_mov_b32_e32 v56, 0
	s_mov_b32 s41, exec_lo
	s_waitcnt vmcnt(0)
	v_mad_i64_i32 v[37:38], null, v1, s39, v[33:34]
	global_load_ubyte v57, v[37:38], off
	ds_read2_b64 v[25:28], v46 offset1:1
	ds_read2_b64 v[21:24], v46 offset0:2 offset1:3
	ds_read2_b64 v[17:20], v46 offset0:4 offset1:5
	;; [unrolled: 1-line block ×6, first 2 shown]
	ds_read_b64 v[35:36], v46 offset:112
	s_load_dword s40, s[12:13], 0x0
	s_waitcnt vmcnt(0)
	v_cmpx_ne_u16_e32 0, v57
	s_cbranch_execz .LBB167_25
; %bb.18:                               ;   in Loop: Header=BB167_12 Depth=1
	v_bfrev_b32_e32 v56, 1
	s_mov_b32 s42, exec_lo
	v_cmpx_ne_u16_e32 0x80, v57
	s_cbranch_execz .LBB167_24
; %bb.19:                               ;   in Loop: Header=BB167_12 Depth=1
	v_and_b32_sdwa v58, v57, v49 dst_sel:DWORD dst_unused:UNUSED_PAD src0_sel:WORD_0 src1_sel:DWORD
	v_mov_b32_e32 v56, 0x7f800001
	s_mov_b32 s43, exec_lo
	v_cmpx_ne_u32_e32 0x7f, v58
	s_cbranch_execz .LBB167_23
; %bb.20:                               ;   in Loop: Header=BB167_12 Depth=1
	v_and_b32_sdwa v29, v57, v50 dst_sel:DWORD dst_unused:UNUSED_PAD src0_sel:WORD_0 src1_sel:DWORD
	v_lshrrev_b32_e32 v56, 3, v58
	s_mov_b32 s44, exec_lo
	v_cmpx_gt_u32_e32 8, v58
; %bb.21:                               ;   in Loop: Header=BB167_12 Depth=1
	v_ffbh_u32_e32 v56, v29
	v_min_u32_e32 v56, 32, v56
	v_subrev_nc_u32_e32 v58, 28, v56
	v_sub_nc_u32_e32 v56, 29, v56
	v_lshlrev_b64 v[58:59], v58, v[29:30]
	v_and_b32_e32 v29, 7, v58
; %bb.22:                               ;   in Loop: Header=BB167_12 Depth=1
	s_or_b32 exec_lo, exec_lo, s44
	v_lshlrev_b32_e32 v57, 24, v57
	v_lshlrev_b32_e32 v29, 20, v29
	v_lshl_add_u32 v56, v56, 23, 0x3c000000
	v_and_b32_e32 v57, 0x80000000, v57
	v_or3_b32 v56, v29, v57, v56
.LBB167_23:                             ;   in Loop: Header=BB167_12 Depth=1
	s_or_b32 exec_lo, exec_lo, s43
.LBB167_24:                             ;   in Loop: Header=BB167_12 Depth=1
	s_or_b32 exec_lo, exec_lo, s42
.LBB167_25:                             ;   in Loop: Header=BB167_12 Depth=1
	s_or_b32 exec_lo, exec_lo, s41
	global_load_ubyte v57, v[37:38], off offset:4
	s_mov_b32 s41, exec_lo
	s_waitcnt vmcnt(0)
	v_cmpx_ne_u16_e32 0, v57
	s_cbranch_execz .LBB167_33
; %bb.26:                               ;   in Loop: Header=BB167_12 Depth=1
	v_bfrev_b32_e32 v55, 1
	s_mov_b32 s42, exec_lo
	v_cmpx_ne_u16_e32 0x80, v57
	s_cbranch_execz .LBB167_32
; %bb.27:                               ;   in Loop: Header=BB167_12 Depth=1
	v_and_b32_sdwa v58, v57, v49 dst_sel:DWORD dst_unused:UNUSED_PAD src0_sel:WORD_0 src1_sel:DWORD
	v_mov_b32_e32 v55, 0x7f800001
	s_mov_b32 s43, exec_lo
	v_cmpx_ne_u32_e32 0x7f, v58
	s_cbranch_execz .LBB167_31
; %bb.28:                               ;   in Loop: Header=BB167_12 Depth=1
	v_and_b32_sdwa v29, v57, v50 dst_sel:DWORD dst_unused:UNUSED_PAD src0_sel:WORD_0 src1_sel:DWORD
	v_lshrrev_b32_e32 v55, 3, v58
	s_mov_b32 s44, exec_lo
	v_cmpx_gt_u32_e32 8, v58
; %bb.29:                               ;   in Loop: Header=BB167_12 Depth=1
	v_ffbh_u32_e32 v55, v29
	v_min_u32_e32 v55, 32, v55
	v_subrev_nc_u32_e32 v58, 28, v55
	v_sub_nc_u32_e32 v55, 29, v55
	v_lshlrev_b64 v[58:59], v58, v[29:30]
	v_and_b32_e32 v29, 7, v58
; %bb.30:                               ;   in Loop: Header=BB167_12 Depth=1
	s_or_b32 exec_lo, exec_lo, s44
	v_lshlrev_b32_e32 v57, 24, v57
	v_lshlrev_b32_e32 v29, 20, v29
	v_lshl_add_u32 v55, v55, 23, 0x3c000000
	v_and_b32_e32 v57, 0x80000000, v57
	v_or3_b32 v55, v29, v57, v55
.LBB167_31:                             ;   in Loop: Header=BB167_12 Depth=1
	s_or_b32 exec_lo, exec_lo, s43
.LBB167_32:                             ;   in Loop: Header=BB167_12 Depth=1
	s_or_b32 exec_lo, exec_lo, s42
.LBB167_33:                             ;   in Loop: Header=BB167_12 Depth=1
	s_or_b32 exec_lo, exec_lo, s41
	global_load_ubyte v59, v[37:38], off offset:8
	v_mov_b32_e32 v57, 0
	v_mov_b32_e32 v58, 0
	s_mov_b32 s41, exec_lo
	s_waitcnt vmcnt(0)
	v_cmpx_ne_u16_e32 0, v59
	s_cbranch_execz .LBB167_41
; %bb.34:                               ;   in Loop: Header=BB167_12 Depth=1
	v_bfrev_b32_e32 v58, 1
	s_mov_b32 s42, exec_lo
	v_cmpx_ne_u16_e32 0x80, v59
	s_cbranch_execz .LBB167_40
; %bb.35:                               ;   in Loop: Header=BB167_12 Depth=1
	v_and_b32_sdwa v60, v59, v49 dst_sel:DWORD dst_unused:UNUSED_PAD src0_sel:WORD_0 src1_sel:DWORD
	v_mov_b32_e32 v58, 0x7f800001
	s_mov_b32 s43, exec_lo
	v_cmpx_ne_u32_e32 0x7f, v60
	s_cbranch_execz .LBB167_39
; %bb.36:                               ;   in Loop: Header=BB167_12 Depth=1
	v_and_b32_sdwa v29, v59, v50 dst_sel:DWORD dst_unused:UNUSED_PAD src0_sel:WORD_0 src1_sel:DWORD
	v_lshrrev_b32_e32 v58, 3, v60
	s_mov_b32 s44, exec_lo
	v_cmpx_gt_u32_e32 8, v60
; %bb.37:                               ;   in Loop: Header=BB167_12 Depth=1
	v_ffbh_u32_e32 v58, v29
	v_min_u32_e32 v58, 32, v58
	v_subrev_nc_u32_e32 v60, 28, v58
	v_sub_nc_u32_e32 v58, 29, v58
	v_lshlrev_b64 v[60:61], v60, v[29:30]
	v_and_b32_e32 v29, 7, v60
; %bb.38:                               ;   in Loop: Header=BB167_12 Depth=1
	s_or_b32 exec_lo, exec_lo, s44
	v_lshlrev_b32_e32 v59, 24, v59
	v_lshlrev_b32_e32 v29, 20, v29
	v_lshl_add_u32 v58, v58, 23, 0x3c000000
	v_and_b32_e32 v59, 0x80000000, v59
	v_or3_b32 v58, v29, v59, v58
.LBB167_39:                             ;   in Loop: Header=BB167_12 Depth=1
	s_or_b32 exec_lo, exec_lo, s43
.LBB167_40:                             ;   in Loop: Header=BB167_12 Depth=1
	s_or_b32 exec_lo, exec_lo, s42
.LBB167_41:                             ;   in Loop: Header=BB167_12 Depth=1
	s_or_b32 exec_lo, exec_lo, s41
	global_load_ubyte v59, v[37:38], off offset:12
	s_mov_b32 s41, exec_lo
	s_waitcnt vmcnt(0)
	v_cmpx_ne_u16_e32 0, v59
	s_cbranch_execz .LBB167_49
; %bb.42:                               ;   in Loop: Header=BB167_12 Depth=1
	v_bfrev_b32_e32 v57, 1
	s_mov_b32 s42, exec_lo
	v_cmpx_ne_u16_e32 0x80, v59
	s_cbranch_execz .LBB167_48
; %bb.43:                               ;   in Loop: Header=BB167_12 Depth=1
	v_and_b32_sdwa v60, v59, v49 dst_sel:DWORD dst_unused:UNUSED_PAD src0_sel:WORD_0 src1_sel:DWORD
	v_mov_b32_e32 v57, 0x7f800001
	s_mov_b32 s43, exec_lo
	v_cmpx_ne_u32_e32 0x7f, v60
	s_cbranch_execz .LBB167_47
; %bb.44:                               ;   in Loop: Header=BB167_12 Depth=1
	v_and_b32_sdwa v29, v59, v50 dst_sel:DWORD dst_unused:UNUSED_PAD src0_sel:WORD_0 src1_sel:DWORD
	v_lshrrev_b32_e32 v57, 3, v60
	s_mov_b32 s44, exec_lo
	v_cmpx_gt_u32_e32 8, v60
; %bb.45:                               ;   in Loop: Header=BB167_12 Depth=1
	v_ffbh_u32_e32 v57, v29
	v_min_u32_e32 v57, 32, v57
	v_subrev_nc_u32_e32 v60, 28, v57
	v_sub_nc_u32_e32 v57, 29, v57
	v_lshlrev_b64 v[60:61], v60, v[29:30]
	v_and_b32_e32 v29, 7, v60
; %bb.46:                               ;   in Loop: Header=BB167_12 Depth=1
	s_or_b32 exec_lo, exec_lo, s44
	v_lshlrev_b32_e32 v59, 24, v59
	v_lshlrev_b32_e32 v29, 20, v29
	v_lshl_add_u32 v57, v57, 23, 0x3c000000
	v_and_b32_e32 v59, 0x80000000, v59
	v_or3_b32 v57, v29, v59, v57
.LBB167_47:                             ;   in Loop: Header=BB167_12 Depth=1
	s_or_b32 exec_lo, exec_lo, s43
.LBB167_48:                             ;   in Loop: Header=BB167_12 Depth=1
	s_or_b32 exec_lo, exec_lo, s42
.LBB167_49:                             ;   in Loop: Header=BB167_12 Depth=1
	s_or_b32 exec_lo, exec_lo, s41
	global_load_ubyte v61, v[37:38], off offset:128
	v_mov_b32_e32 v59, 0
	v_mov_b32_e32 v60, 0
	s_mov_b32 s41, exec_lo
	s_waitcnt vmcnt(0)
	v_cmpx_ne_u16_e32 0, v61
	s_cbranch_execz .LBB167_57
; %bb.50:                               ;   in Loop: Header=BB167_12 Depth=1
	v_bfrev_b32_e32 v60, 1
	s_mov_b32 s42, exec_lo
	v_cmpx_ne_u16_e32 0x80, v61
	s_cbranch_execz .LBB167_56
; %bb.51:                               ;   in Loop: Header=BB167_12 Depth=1
	v_and_b32_sdwa v62, v61, v49 dst_sel:DWORD dst_unused:UNUSED_PAD src0_sel:WORD_0 src1_sel:DWORD
	v_mov_b32_e32 v60, 0x7f800001
	s_mov_b32 s43, exec_lo
	v_cmpx_ne_u32_e32 0x7f, v62
	s_cbranch_execz .LBB167_55
; %bb.52:                               ;   in Loop: Header=BB167_12 Depth=1
	v_and_b32_sdwa v29, v61, v50 dst_sel:DWORD dst_unused:UNUSED_PAD src0_sel:WORD_0 src1_sel:DWORD
	v_lshrrev_b32_e32 v60, 3, v62
	s_mov_b32 s44, exec_lo
	v_cmpx_gt_u32_e32 8, v62
; %bb.53:                               ;   in Loop: Header=BB167_12 Depth=1
	v_ffbh_u32_e32 v60, v29
	v_min_u32_e32 v60, 32, v60
	v_subrev_nc_u32_e32 v62, 28, v60
	v_sub_nc_u32_e32 v60, 29, v60
	v_lshlrev_b64 v[62:63], v62, v[29:30]
	v_and_b32_e32 v29, 7, v62
; %bb.54:                               ;   in Loop: Header=BB167_12 Depth=1
	s_or_b32 exec_lo, exec_lo, s44
	v_lshlrev_b32_e32 v61, 24, v61
	v_lshlrev_b32_e32 v29, 20, v29
	v_lshl_add_u32 v60, v60, 23, 0x3c000000
	v_and_b32_e32 v61, 0x80000000, v61
	v_or3_b32 v60, v29, v61, v60
.LBB167_55:                             ;   in Loop: Header=BB167_12 Depth=1
	s_or_b32 exec_lo, exec_lo, s43
.LBB167_56:                             ;   in Loop: Header=BB167_12 Depth=1
	s_or_b32 exec_lo, exec_lo, s42
.LBB167_57:                             ;   in Loop: Header=BB167_12 Depth=1
	s_or_b32 exec_lo, exec_lo, s41
	global_load_ubyte v61, v[37:38], off offset:132
	s_mov_b32 s41, exec_lo
	s_waitcnt vmcnt(0)
	v_cmpx_ne_u16_e32 0, v61
	s_cbranch_execz .LBB167_65
; %bb.58:                               ;   in Loop: Header=BB167_12 Depth=1
	v_bfrev_b32_e32 v59, 1
	s_mov_b32 s42, exec_lo
	v_cmpx_ne_u16_e32 0x80, v61
	s_cbranch_execz .LBB167_64
; %bb.59:                               ;   in Loop: Header=BB167_12 Depth=1
	v_and_b32_sdwa v62, v61, v49 dst_sel:DWORD dst_unused:UNUSED_PAD src0_sel:WORD_0 src1_sel:DWORD
	v_mov_b32_e32 v59, 0x7f800001
	s_mov_b32 s43, exec_lo
	v_cmpx_ne_u32_e32 0x7f, v62
	s_cbranch_execz .LBB167_63
; %bb.60:                               ;   in Loop: Header=BB167_12 Depth=1
	v_and_b32_sdwa v29, v61, v50 dst_sel:DWORD dst_unused:UNUSED_PAD src0_sel:WORD_0 src1_sel:DWORD
	v_lshrrev_b32_e32 v59, 3, v62
	s_mov_b32 s44, exec_lo
	v_cmpx_gt_u32_e32 8, v62
; %bb.61:                               ;   in Loop: Header=BB167_12 Depth=1
	v_ffbh_u32_e32 v59, v29
	v_min_u32_e32 v59, 32, v59
	v_subrev_nc_u32_e32 v62, 28, v59
	v_sub_nc_u32_e32 v59, 29, v59
	v_lshlrev_b64 v[62:63], v62, v[29:30]
	v_and_b32_e32 v29, 7, v62
; %bb.62:                               ;   in Loop: Header=BB167_12 Depth=1
	s_or_b32 exec_lo, exec_lo, s44
	v_lshlrev_b32_e32 v61, 24, v61
	v_lshlrev_b32_e32 v29, 20, v29
	v_lshl_add_u32 v59, v59, 23, 0x3c000000
	v_and_b32_e32 v61, 0x80000000, v61
	v_or3_b32 v59, v29, v61, v59
.LBB167_63:                             ;   in Loop: Header=BB167_12 Depth=1
	s_or_b32 exec_lo, exec_lo, s43
.LBB167_64:                             ;   in Loop: Header=BB167_12 Depth=1
	s_or_b32 exec_lo, exec_lo, s42
.LBB167_65:                             ;   in Loop: Header=BB167_12 Depth=1
	s_or_b32 exec_lo, exec_lo, s41
	global_load_ubyte v63, v[37:38], off offset:136
	v_mov_b32_e32 v61, 0
	v_mov_b32_e32 v62, 0
	s_mov_b32 s41, exec_lo
	s_waitcnt vmcnt(0)
	v_cmpx_ne_u16_e32 0, v63
	s_cbranch_execz .LBB167_73
; %bb.66:                               ;   in Loop: Header=BB167_12 Depth=1
	v_bfrev_b32_e32 v62, 1
	s_mov_b32 s42, exec_lo
	v_cmpx_ne_u16_e32 0x80, v63
	s_cbranch_execz .LBB167_72
; %bb.67:                               ;   in Loop: Header=BB167_12 Depth=1
	v_and_b32_sdwa v64, v63, v49 dst_sel:DWORD dst_unused:UNUSED_PAD src0_sel:WORD_0 src1_sel:DWORD
	v_mov_b32_e32 v62, 0x7f800001
	s_mov_b32 s43, exec_lo
	v_cmpx_ne_u32_e32 0x7f, v64
	s_cbranch_execz .LBB167_71
; %bb.68:                               ;   in Loop: Header=BB167_12 Depth=1
	v_and_b32_sdwa v29, v63, v50 dst_sel:DWORD dst_unused:UNUSED_PAD src0_sel:WORD_0 src1_sel:DWORD
	v_lshrrev_b32_e32 v62, 3, v64
	s_mov_b32 s44, exec_lo
	v_cmpx_gt_u32_e32 8, v64
; %bb.69:                               ;   in Loop: Header=BB167_12 Depth=1
	v_ffbh_u32_e32 v62, v29
	v_min_u32_e32 v62, 32, v62
	v_subrev_nc_u32_e32 v64, 28, v62
	v_sub_nc_u32_e32 v62, 29, v62
	v_lshlrev_b64 v[64:65], v64, v[29:30]
	v_and_b32_e32 v29, 7, v64
; %bb.70:                               ;   in Loop: Header=BB167_12 Depth=1
	s_or_b32 exec_lo, exec_lo, s44
	v_lshlrev_b32_e32 v63, 24, v63
	v_lshlrev_b32_e32 v29, 20, v29
	v_lshl_add_u32 v62, v62, 23, 0x3c000000
	v_and_b32_e32 v63, 0x80000000, v63
	v_or3_b32 v62, v29, v63, v62
.LBB167_71:                             ;   in Loop: Header=BB167_12 Depth=1
	s_or_b32 exec_lo, exec_lo, s43
.LBB167_72:                             ;   in Loop: Header=BB167_12 Depth=1
	s_or_b32 exec_lo, exec_lo, s42
.LBB167_73:                             ;   in Loop: Header=BB167_12 Depth=1
	s_or_b32 exec_lo, exec_lo, s41
	global_load_ubyte v63, v[37:38], off offset:140
	s_mov_b32 s41, exec_lo
	s_waitcnt vmcnt(0)
	v_cmpx_ne_u16_e32 0, v63
	s_cbranch_execz .LBB167_81
; %bb.74:                               ;   in Loop: Header=BB167_12 Depth=1
	v_bfrev_b32_e32 v61, 1
	s_mov_b32 s42, exec_lo
	v_cmpx_ne_u16_e32 0x80, v63
	s_cbranch_execz .LBB167_80
; %bb.75:                               ;   in Loop: Header=BB167_12 Depth=1
	v_and_b32_sdwa v64, v63, v49 dst_sel:DWORD dst_unused:UNUSED_PAD src0_sel:WORD_0 src1_sel:DWORD
	v_mov_b32_e32 v61, 0x7f800001
	s_mov_b32 s43, exec_lo
	v_cmpx_ne_u32_e32 0x7f, v64
	s_cbranch_execz .LBB167_79
; %bb.76:                               ;   in Loop: Header=BB167_12 Depth=1
	v_and_b32_sdwa v29, v63, v50 dst_sel:DWORD dst_unused:UNUSED_PAD src0_sel:WORD_0 src1_sel:DWORD
	v_lshrrev_b32_e32 v61, 3, v64
	s_mov_b32 s44, exec_lo
	v_cmpx_gt_u32_e32 8, v64
; %bb.77:                               ;   in Loop: Header=BB167_12 Depth=1
	v_ffbh_u32_e32 v61, v29
	v_min_u32_e32 v61, 32, v61
	v_subrev_nc_u32_e32 v64, 28, v61
	v_sub_nc_u32_e32 v61, 29, v61
	v_lshlrev_b64 v[64:65], v64, v[29:30]
	v_and_b32_e32 v29, 7, v64
; %bb.78:                               ;   in Loop: Header=BB167_12 Depth=1
	s_or_b32 exec_lo, exec_lo, s44
	v_lshlrev_b32_e32 v63, 24, v63
	v_lshlrev_b32_e32 v29, 20, v29
	v_lshl_add_u32 v61, v61, 23, 0x3c000000
	v_and_b32_e32 v63, 0x80000000, v63
	v_or3_b32 v61, v29, v63, v61
.LBB167_79:                             ;   in Loop: Header=BB167_12 Depth=1
	s_or_b32 exec_lo, exec_lo, s43
.LBB167_80:                             ;   in Loop: Header=BB167_12 Depth=1
	s_or_b32 exec_lo, exec_lo, s42
.LBB167_81:                             ;   in Loop: Header=BB167_12 Depth=1
	s_or_b32 exec_lo, exec_lo, s41
	global_load_ubyte v65, v[37:38], off offset:256
	v_mov_b32_e32 v63, 0
	v_mov_b32_e32 v64, 0
	s_mov_b32 s41, exec_lo
	s_waitcnt vmcnt(0)
	v_cmpx_ne_u16_e32 0, v65
	s_cbranch_execz .LBB167_89
; %bb.82:                               ;   in Loop: Header=BB167_12 Depth=1
	v_bfrev_b32_e32 v64, 1
	s_mov_b32 s42, exec_lo
	v_cmpx_ne_u16_e32 0x80, v65
	s_cbranch_execz .LBB167_88
; %bb.83:                               ;   in Loop: Header=BB167_12 Depth=1
	v_and_b32_sdwa v66, v65, v49 dst_sel:DWORD dst_unused:UNUSED_PAD src0_sel:WORD_0 src1_sel:DWORD
	v_mov_b32_e32 v64, 0x7f800001
	s_mov_b32 s43, exec_lo
	v_cmpx_ne_u32_e32 0x7f, v66
	s_cbranch_execz .LBB167_87
; %bb.84:                               ;   in Loop: Header=BB167_12 Depth=1
	v_and_b32_sdwa v29, v65, v50 dst_sel:DWORD dst_unused:UNUSED_PAD src0_sel:WORD_0 src1_sel:DWORD
	v_lshrrev_b32_e32 v64, 3, v66
	s_mov_b32 s44, exec_lo
	v_cmpx_gt_u32_e32 8, v66
; %bb.85:                               ;   in Loop: Header=BB167_12 Depth=1
	v_ffbh_u32_e32 v64, v29
	v_min_u32_e32 v64, 32, v64
	v_subrev_nc_u32_e32 v66, 28, v64
	v_sub_nc_u32_e32 v64, 29, v64
	v_lshlrev_b64 v[66:67], v66, v[29:30]
	v_and_b32_e32 v29, 7, v66
; %bb.86:                               ;   in Loop: Header=BB167_12 Depth=1
	s_or_b32 exec_lo, exec_lo, s44
	v_lshlrev_b32_e32 v65, 24, v65
	v_lshlrev_b32_e32 v29, 20, v29
	v_lshl_add_u32 v64, v64, 23, 0x3c000000
	v_and_b32_e32 v65, 0x80000000, v65
	v_or3_b32 v64, v29, v65, v64
.LBB167_87:                             ;   in Loop: Header=BB167_12 Depth=1
	s_or_b32 exec_lo, exec_lo, s43
.LBB167_88:                             ;   in Loop: Header=BB167_12 Depth=1
	s_or_b32 exec_lo, exec_lo, s42
.LBB167_89:                             ;   in Loop: Header=BB167_12 Depth=1
	s_or_b32 exec_lo, exec_lo, s41
	global_load_ubyte v65, v[37:38], off offset:260
	s_mov_b32 s41, exec_lo
	s_waitcnt vmcnt(0)
	v_cmpx_ne_u16_e32 0, v65
	s_cbranch_execz .LBB167_97
; %bb.90:                               ;   in Loop: Header=BB167_12 Depth=1
	v_bfrev_b32_e32 v63, 1
	s_mov_b32 s42, exec_lo
	v_cmpx_ne_u16_e32 0x80, v65
	s_cbranch_execz .LBB167_96
; %bb.91:                               ;   in Loop: Header=BB167_12 Depth=1
	v_and_b32_sdwa v66, v65, v49 dst_sel:DWORD dst_unused:UNUSED_PAD src0_sel:WORD_0 src1_sel:DWORD
	v_mov_b32_e32 v63, 0x7f800001
	s_mov_b32 s43, exec_lo
	v_cmpx_ne_u32_e32 0x7f, v66
	s_cbranch_execz .LBB167_95
; %bb.92:                               ;   in Loop: Header=BB167_12 Depth=1
	v_and_b32_sdwa v29, v65, v50 dst_sel:DWORD dst_unused:UNUSED_PAD src0_sel:WORD_0 src1_sel:DWORD
	v_lshrrev_b32_e32 v63, 3, v66
	s_mov_b32 s44, exec_lo
	v_cmpx_gt_u32_e32 8, v66
; %bb.93:                               ;   in Loop: Header=BB167_12 Depth=1
	v_ffbh_u32_e32 v63, v29
	v_min_u32_e32 v63, 32, v63
	v_subrev_nc_u32_e32 v66, 28, v63
	v_sub_nc_u32_e32 v63, 29, v63
	v_lshlrev_b64 v[66:67], v66, v[29:30]
	v_and_b32_e32 v29, 7, v66
; %bb.94:                               ;   in Loop: Header=BB167_12 Depth=1
	s_or_b32 exec_lo, exec_lo, s44
	v_lshlrev_b32_e32 v65, 24, v65
	v_lshlrev_b32_e32 v29, 20, v29
	v_lshl_add_u32 v63, v63, 23, 0x3c000000
	v_and_b32_e32 v65, 0x80000000, v65
	v_or3_b32 v63, v29, v65, v63
.LBB167_95:                             ;   in Loop: Header=BB167_12 Depth=1
	s_or_b32 exec_lo, exec_lo, s43
.LBB167_96:                             ;   in Loop: Header=BB167_12 Depth=1
	s_or_b32 exec_lo, exec_lo, s42
.LBB167_97:                             ;   in Loop: Header=BB167_12 Depth=1
	s_or_b32 exec_lo, exec_lo, s41
	global_load_ubyte v67, v[37:38], off offset:264
	v_mov_b32_e32 v65, 0
	v_mov_b32_e32 v66, 0
	s_mov_b32 s41, exec_lo
	s_waitcnt vmcnt(0)
	v_cmpx_ne_u16_e32 0, v67
	s_cbranch_execz .LBB167_105
; %bb.98:                               ;   in Loop: Header=BB167_12 Depth=1
	v_bfrev_b32_e32 v66, 1
	s_mov_b32 s42, exec_lo
	v_cmpx_ne_u16_e32 0x80, v67
	s_cbranch_execz .LBB167_104
; %bb.99:                               ;   in Loop: Header=BB167_12 Depth=1
	v_and_b32_sdwa v68, v67, v49 dst_sel:DWORD dst_unused:UNUSED_PAD src0_sel:WORD_0 src1_sel:DWORD
	v_mov_b32_e32 v66, 0x7f800001
	s_mov_b32 s43, exec_lo
	v_cmpx_ne_u32_e32 0x7f, v68
	s_cbranch_execz .LBB167_103
; %bb.100:                              ;   in Loop: Header=BB167_12 Depth=1
	v_and_b32_sdwa v29, v67, v50 dst_sel:DWORD dst_unused:UNUSED_PAD src0_sel:WORD_0 src1_sel:DWORD
	v_lshrrev_b32_e32 v66, 3, v68
	s_mov_b32 s44, exec_lo
	v_cmpx_gt_u32_e32 8, v68
; %bb.101:                              ;   in Loop: Header=BB167_12 Depth=1
	v_ffbh_u32_e32 v66, v29
	v_min_u32_e32 v66, 32, v66
	v_subrev_nc_u32_e32 v68, 28, v66
	v_sub_nc_u32_e32 v66, 29, v66
	v_lshlrev_b64 v[68:69], v68, v[29:30]
	v_and_b32_e32 v29, 7, v68
; %bb.102:                              ;   in Loop: Header=BB167_12 Depth=1
	s_or_b32 exec_lo, exec_lo, s44
	v_lshlrev_b32_e32 v67, 24, v67
	v_lshlrev_b32_e32 v29, 20, v29
	v_lshl_add_u32 v66, v66, 23, 0x3c000000
	v_and_b32_e32 v67, 0x80000000, v67
	v_or3_b32 v66, v29, v67, v66
.LBB167_103:                            ;   in Loop: Header=BB167_12 Depth=1
	s_or_b32 exec_lo, exec_lo, s43
.LBB167_104:                            ;   in Loop: Header=BB167_12 Depth=1
	s_or_b32 exec_lo, exec_lo, s42
.LBB167_105:                            ;   in Loop: Header=BB167_12 Depth=1
	s_or_b32 exec_lo, exec_lo, s41
	global_load_ubyte v67, v[37:38], off offset:268
	s_mov_b32 s41, exec_lo
	s_waitcnt vmcnt(0)
	v_cmpx_ne_u16_e32 0, v67
	s_cbranch_execz .LBB167_113
; %bb.106:                              ;   in Loop: Header=BB167_12 Depth=1
	v_bfrev_b32_e32 v65, 1
	s_mov_b32 s42, exec_lo
	v_cmpx_ne_u16_e32 0x80, v67
	s_cbranch_execz .LBB167_112
; %bb.107:                              ;   in Loop: Header=BB167_12 Depth=1
	v_and_b32_sdwa v68, v67, v49 dst_sel:DWORD dst_unused:UNUSED_PAD src0_sel:WORD_0 src1_sel:DWORD
	v_mov_b32_e32 v65, 0x7f800001
	s_mov_b32 s43, exec_lo
	v_cmpx_ne_u32_e32 0x7f, v68
	s_cbranch_execz .LBB167_111
; %bb.108:                              ;   in Loop: Header=BB167_12 Depth=1
	v_and_b32_sdwa v29, v67, v50 dst_sel:DWORD dst_unused:UNUSED_PAD src0_sel:WORD_0 src1_sel:DWORD
	v_lshrrev_b32_e32 v65, 3, v68
	s_mov_b32 s44, exec_lo
	v_cmpx_gt_u32_e32 8, v68
; %bb.109:                              ;   in Loop: Header=BB167_12 Depth=1
	v_ffbh_u32_e32 v65, v29
	v_min_u32_e32 v65, 32, v65
	v_subrev_nc_u32_e32 v68, 28, v65
	v_sub_nc_u32_e32 v65, 29, v65
	v_lshlrev_b64 v[68:69], v68, v[29:30]
	v_and_b32_e32 v29, 7, v68
; %bb.110:                              ;   in Loop: Header=BB167_12 Depth=1
	s_or_b32 exec_lo, exec_lo, s44
	v_lshlrev_b32_e32 v67, 24, v67
	v_lshlrev_b32_e32 v29, 20, v29
	v_lshl_add_u32 v65, v65, 23, 0x3c000000
	v_and_b32_e32 v67, 0x80000000, v67
	v_or3_b32 v65, v29, v67, v65
.LBB167_111:                            ;   in Loop: Header=BB167_12 Depth=1
	s_or_b32 exec_lo, exec_lo, s43
.LBB167_112:                            ;   in Loop: Header=BB167_12 Depth=1
	s_or_b32 exec_lo, exec_lo, s42
.LBB167_113:                            ;   in Loop: Header=BB167_12 Depth=1
	s_or_b32 exec_lo, exec_lo, s41
	global_load_ubyte v69, v[37:38], off offset:384
	v_mov_b32_e32 v67, 0
	v_mov_b32_e32 v68, 0
	s_mov_b32 s41, exec_lo
	s_waitcnt vmcnt(0)
	v_cmpx_ne_u16_e32 0, v69
	s_cbranch_execz .LBB167_121
; %bb.114:                              ;   in Loop: Header=BB167_12 Depth=1
	v_bfrev_b32_e32 v68, 1
	s_mov_b32 s42, exec_lo
	v_cmpx_ne_u16_e32 0x80, v69
	s_cbranch_execz .LBB167_120
; %bb.115:                              ;   in Loop: Header=BB167_12 Depth=1
	v_and_b32_sdwa v70, v69, v49 dst_sel:DWORD dst_unused:UNUSED_PAD src0_sel:WORD_0 src1_sel:DWORD
	v_mov_b32_e32 v68, 0x7f800001
	s_mov_b32 s43, exec_lo
	v_cmpx_ne_u32_e32 0x7f, v70
	s_cbranch_execz .LBB167_119
; %bb.116:                              ;   in Loop: Header=BB167_12 Depth=1
	v_and_b32_sdwa v29, v69, v50 dst_sel:DWORD dst_unused:UNUSED_PAD src0_sel:WORD_0 src1_sel:DWORD
	v_lshrrev_b32_e32 v68, 3, v70
	s_mov_b32 s44, exec_lo
	v_cmpx_gt_u32_e32 8, v70
; %bb.117:                              ;   in Loop: Header=BB167_12 Depth=1
	v_ffbh_u32_e32 v68, v29
	v_min_u32_e32 v68, 32, v68
	v_subrev_nc_u32_e32 v70, 28, v68
	v_sub_nc_u32_e32 v68, 29, v68
	v_lshlrev_b64 v[70:71], v70, v[29:30]
	v_and_b32_e32 v29, 7, v70
; %bb.118:                              ;   in Loop: Header=BB167_12 Depth=1
	s_or_b32 exec_lo, exec_lo, s44
	v_lshlrev_b32_e32 v69, 24, v69
	v_lshlrev_b32_e32 v29, 20, v29
	v_lshl_add_u32 v68, v68, 23, 0x3c000000
	v_and_b32_e32 v69, 0x80000000, v69
	v_or3_b32 v68, v29, v69, v68
.LBB167_119:                            ;   in Loop: Header=BB167_12 Depth=1
	s_or_b32 exec_lo, exec_lo, s43
.LBB167_120:                            ;   in Loop: Header=BB167_12 Depth=1
	s_or_b32 exec_lo, exec_lo, s42
.LBB167_121:                            ;   in Loop: Header=BB167_12 Depth=1
	s_or_b32 exec_lo, exec_lo, s41
	global_load_ubyte v69, v[37:38], off offset:388
	s_mov_b32 s41, exec_lo
	s_waitcnt vmcnt(0)
	v_cmpx_ne_u16_e32 0, v69
	s_cbranch_execz .LBB167_129
; %bb.122:                              ;   in Loop: Header=BB167_12 Depth=1
	v_bfrev_b32_e32 v67, 1
	s_mov_b32 s42, exec_lo
	v_cmpx_ne_u16_e32 0x80, v69
	s_cbranch_execz .LBB167_128
; %bb.123:                              ;   in Loop: Header=BB167_12 Depth=1
	v_and_b32_sdwa v70, v69, v49 dst_sel:DWORD dst_unused:UNUSED_PAD src0_sel:WORD_0 src1_sel:DWORD
	v_mov_b32_e32 v67, 0x7f800001
	s_mov_b32 s43, exec_lo
	v_cmpx_ne_u32_e32 0x7f, v70
	s_cbranch_execz .LBB167_127
; %bb.124:                              ;   in Loop: Header=BB167_12 Depth=1
	v_and_b32_sdwa v29, v69, v50 dst_sel:DWORD dst_unused:UNUSED_PAD src0_sel:WORD_0 src1_sel:DWORD
	v_lshrrev_b32_e32 v67, 3, v70
	s_mov_b32 s44, exec_lo
	v_cmpx_gt_u32_e32 8, v70
; %bb.125:                              ;   in Loop: Header=BB167_12 Depth=1
	v_ffbh_u32_e32 v67, v29
	v_min_u32_e32 v67, 32, v67
	v_subrev_nc_u32_e32 v70, 28, v67
	v_sub_nc_u32_e32 v67, 29, v67
	v_lshlrev_b64 v[70:71], v70, v[29:30]
	v_and_b32_e32 v29, 7, v70
; %bb.126:                              ;   in Loop: Header=BB167_12 Depth=1
	s_or_b32 exec_lo, exec_lo, s44
	v_lshlrev_b32_e32 v69, 24, v69
	v_lshlrev_b32_e32 v29, 20, v29
	v_lshl_add_u32 v67, v67, 23, 0x3c000000
	v_and_b32_e32 v69, 0x80000000, v69
	v_or3_b32 v67, v29, v69, v67
.LBB167_127:                            ;   in Loop: Header=BB167_12 Depth=1
	s_or_b32 exec_lo, exec_lo, s43
.LBB167_128:                            ;   in Loop: Header=BB167_12 Depth=1
	s_or_b32 exec_lo, exec_lo, s42
.LBB167_129:                            ;   in Loop: Header=BB167_12 Depth=1
	s_or_b32 exec_lo, exec_lo, s41
	global_load_ubyte v71, v[37:38], off offset:392
	v_mov_b32_e32 v69, 0
	v_mov_b32_e32 v70, 0
	s_mov_b32 s41, exec_lo
	s_waitcnt vmcnt(0)
	v_cmpx_ne_u16_e32 0, v71
	s_cbranch_execz .LBB167_137
; %bb.130:                              ;   in Loop: Header=BB167_12 Depth=1
	v_bfrev_b32_e32 v70, 1
	s_mov_b32 s42, exec_lo
	v_cmpx_ne_u16_e32 0x80, v71
	s_cbranch_execz .LBB167_136
; %bb.131:                              ;   in Loop: Header=BB167_12 Depth=1
	v_and_b32_sdwa v72, v71, v49 dst_sel:DWORD dst_unused:UNUSED_PAD src0_sel:WORD_0 src1_sel:DWORD
	v_mov_b32_e32 v70, 0x7f800001
	s_mov_b32 s43, exec_lo
	v_cmpx_ne_u32_e32 0x7f, v72
	s_cbranch_execz .LBB167_135
; %bb.132:                              ;   in Loop: Header=BB167_12 Depth=1
	v_and_b32_sdwa v29, v71, v50 dst_sel:DWORD dst_unused:UNUSED_PAD src0_sel:WORD_0 src1_sel:DWORD
	v_lshrrev_b32_e32 v70, 3, v72
	s_mov_b32 s44, exec_lo
	v_cmpx_gt_u32_e32 8, v72
; %bb.133:                              ;   in Loop: Header=BB167_12 Depth=1
	v_ffbh_u32_e32 v70, v29
	v_min_u32_e32 v70, 32, v70
	v_subrev_nc_u32_e32 v72, 28, v70
	v_sub_nc_u32_e32 v70, 29, v70
	v_lshlrev_b64 v[72:73], v72, v[29:30]
	v_and_b32_e32 v29, 7, v72
; %bb.134:                              ;   in Loop: Header=BB167_12 Depth=1
	s_or_b32 exec_lo, exec_lo, s44
	v_lshlrev_b32_e32 v71, 24, v71
	v_lshlrev_b32_e32 v29, 20, v29
	v_lshl_add_u32 v70, v70, 23, 0x3c000000
	v_and_b32_e32 v71, 0x80000000, v71
	v_or3_b32 v70, v29, v71, v70
.LBB167_135:                            ;   in Loop: Header=BB167_12 Depth=1
	s_or_b32 exec_lo, exec_lo, s43
.LBB167_136:                            ;   in Loop: Header=BB167_12 Depth=1
	s_or_b32 exec_lo, exec_lo, s42
.LBB167_137:                            ;   in Loop: Header=BB167_12 Depth=1
	s_or_b32 exec_lo, exec_lo, s41
	global_load_ubyte v71, v[37:38], off offset:396
	s_mov_b32 s41, exec_lo
	s_waitcnt vmcnt(0)
	v_cmpx_ne_u16_e32 0, v71
	s_cbranch_execz .LBB167_145
; %bb.138:                              ;   in Loop: Header=BB167_12 Depth=1
	v_bfrev_b32_e32 v69, 1
	s_mov_b32 s42, exec_lo
	v_cmpx_ne_u16_e32 0x80, v71
	s_cbranch_execz .LBB167_144
; %bb.139:                              ;   in Loop: Header=BB167_12 Depth=1
	v_and_b32_sdwa v72, v71, v49 dst_sel:DWORD dst_unused:UNUSED_PAD src0_sel:WORD_0 src1_sel:DWORD
	v_mov_b32_e32 v69, 0x7f800001
	s_mov_b32 s43, exec_lo
	v_cmpx_ne_u32_e32 0x7f, v72
	s_cbranch_execz .LBB167_143
; %bb.140:                              ;   in Loop: Header=BB167_12 Depth=1
	v_and_b32_sdwa v29, v71, v50 dst_sel:DWORD dst_unused:UNUSED_PAD src0_sel:WORD_0 src1_sel:DWORD
	v_lshrrev_b32_e32 v69, 3, v72
	s_mov_b32 s44, exec_lo
	v_cmpx_gt_u32_e32 8, v72
; %bb.141:                              ;   in Loop: Header=BB167_12 Depth=1
	v_ffbh_u32_e32 v69, v29
	v_min_u32_e32 v69, 32, v69
	v_subrev_nc_u32_e32 v72, 28, v69
	v_sub_nc_u32_e32 v69, 29, v69
	v_lshlrev_b64 v[72:73], v72, v[29:30]
	v_and_b32_e32 v29, 7, v72
; %bb.142:                              ;   in Loop: Header=BB167_12 Depth=1
	s_or_b32 exec_lo, exec_lo, s44
	v_lshlrev_b32_e32 v71, 24, v71
	v_lshlrev_b32_e32 v29, 20, v29
	v_lshl_add_u32 v69, v69, 23, 0x3c000000
	v_and_b32_e32 v71, 0x80000000, v71
	v_or3_b32 v69, v29, v71, v69
.LBB167_143:                            ;   in Loop: Header=BB167_12 Depth=1
	s_or_b32 exec_lo, exec_lo, s43
.LBB167_144:                            ;   in Loop: Header=BB167_12 Depth=1
	s_or_b32 exec_lo, exec_lo, s42
.LBB167_145:                            ;   in Loop: Header=BB167_12 Depth=1
	s_or_b32 exec_lo, exec_lo, s41
	global_load_ubyte v73, v[37:38], off offset:512
	v_mov_b32_e32 v71, 0
	v_mov_b32_e32 v72, 0
	s_mov_b32 s41, exec_lo
	s_waitcnt vmcnt(0)
	v_cmpx_ne_u16_e32 0, v73
	s_cbranch_execz .LBB167_153
; %bb.146:                              ;   in Loop: Header=BB167_12 Depth=1
	v_bfrev_b32_e32 v72, 1
	s_mov_b32 s42, exec_lo
	v_cmpx_ne_u16_e32 0x80, v73
	s_cbranch_execz .LBB167_152
; %bb.147:                              ;   in Loop: Header=BB167_12 Depth=1
	v_and_b32_sdwa v74, v73, v49 dst_sel:DWORD dst_unused:UNUSED_PAD src0_sel:WORD_0 src1_sel:DWORD
	v_mov_b32_e32 v72, 0x7f800001
	s_mov_b32 s43, exec_lo
	v_cmpx_ne_u32_e32 0x7f, v74
	s_cbranch_execz .LBB167_151
; %bb.148:                              ;   in Loop: Header=BB167_12 Depth=1
	v_and_b32_sdwa v29, v73, v50 dst_sel:DWORD dst_unused:UNUSED_PAD src0_sel:WORD_0 src1_sel:DWORD
	v_lshrrev_b32_e32 v72, 3, v74
	s_mov_b32 s44, exec_lo
	v_cmpx_gt_u32_e32 8, v74
; %bb.149:                              ;   in Loop: Header=BB167_12 Depth=1
	v_ffbh_u32_e32 v72, v29
	v_min_u32_e32 v72, 32, v72
	v_subrev_nc_u32_e32 v74, 28, v72
	v_sub_nc_u32_e32 v72, 29, v72
	v_lshlrev_b64 v[74:75], v74, v[29:30]
	v_and_b32_e32 v29, 7, v74
; %bb.150:                              ;   in Loop: Header=BB167_12 Depth=1
	s_or_b32 exec_lo, exec_lo, s44
	v_lshlrev_b32_e32 v73, 24, v73
	v_lshlrev_b32_e32 v29, 20, v29
	v_lshl_add_u32 v72, v72, 23, 0x3c000000
	v_and_b32_e32 v73, 0x80000000, v73
	v_or3_b32 v72, v29, v73, v72
.LBB167_151:                            ;   in Loop: Header=BB167_12 Depth=1
	s_or_b32 exec_lo, exec_lo, s43
.LBB167_152:                            ;   in Loop: Header=BB167_12 Depth=1
	s_or_b32 exec_lo, exec_lo, s42
.LBB167_153:                            ;   in Loop: Header=BB167_12 Depth=1
	s_or_b32 exec_lo, exec_lo, s41
	global_load_ubyte v73, v[37:38], off offset:516
	s_mov_b32 s41, exec_lo
	s_waitcnt vmcnt(0)
	v_cmpx_ne_u16_e32 0, v73
	s_cbranch_execz .LBB167_161
; %bb.154:                              ;   in Loop: Header=BB167_12 Depth=1
	v_bfrev_b32_e32 v71, 1
	s_mov_b32 s42, exec_lo
	v_cmpx_ne_u16_e32 0x80, v73
	s_cbranch_execz .LBB167_160
; %bb.155:                              ;   in Loop: Header=BB167_12 Depth=1
	v_and_b32_sdwa v74, v73, v49 dst_sel:DWORD dst_unused:UNUSED_PAD src0_sel:WORD_0 src1_sel:DWORD
	v_mov_b32_e32 v71, 0x7f800001
	s_mov_b32 s43, exec_lo
	v_cmpx_ne_u32_e32 0x7f, v74
	s_cbranch_execz .LBB167_159
; %bb.156:                              ;   in Loop: Header=BB167_12 Depth=1
	v_and_b32_sdwa v29, v73, v50 dst_sel:DWORD dst_unused:UNUSED_PAD src0_sel:WORD_0 src1_sel:DWORD
	v_lshrrev_b32_e32 v71, 3, v74
	s_mov_b32 s44, exec_lo
	v_cmpx_gt_u32_e32 8, v74
; %bb.157:                              ;   in Loop: Header=BB167_12 Depth=1
	v_ffbh_u32_e32 v71, v29
	v_min_u32_e32 v71, 32, v71
	v_subrev_nc_u32_e32 v74, 28, v71
	v_sub_nc_u32_e32 v71, 29, v71
	v_lshlrev_b64 v[74:75], v74, v[29:30]
	v_and_b32_e32 v29, 7, v74
; %bb.158:                              ;   in Loop: Header=BB167_12 Depth=1
	s_or_b32 exec_lo, exec_lo, s44
	v_lshlrev_b32_e32 v73, 24, v73
	v_lshlrev_b32_e32 v29, 20, v29
	v_lshl_add_u32 v71, v71, 23, 0x3c000000
	v_and_b32_e32 v73, 0x80000000, v73
	v_or3_b32 v71, v29, v73, v71
.LBB167_159:                            ;   in Loop: Header=BB167_12 Depth=1
	s_or_b32 exec_lo, exec_lo, s43
.LBB167_160:                            ;   in Loop: Header=BB167_12 Depth=1
	s_or_b32 exec_lo, exec_lo, s42
.LBB167_161:                            ;   in Loop: Header=BB167_12 Depth=1
	s_or_b32 exec_lo, exec_lo, s41
	global_load_ubyte v75, v[37:38], off offset:520
	v_mov_b32_e32 v73, 0
	v_mov_b32_e32 v74, 0
	s_mov_b32 s41, exec_lo
	s_waitcnt vmcnt(0)
	v_cmpx_ne_u16_e32 0, v75
	s_cbranch_execz .LBB167_169
; %bb.162:                              ;   in Loop: Header=BB167_12 Depth=1
	v_bfrev_b32_e32 v74, 1
	s_mov_b32 s42, exec_lo
	v_cmpx_ne_u16_e32 0x80, v75
	s_cbranch_execz .LBB167_168
; %bb.163:                              ;   in Loop: Header=BB167_12 Depth=1
	v_and_b32_sdwa v76, v75, v49 dst_sel:DWORD dst_unused:UNUSED_PAD src0_sel:WORD_0 src1_sel:DWORD
	v_mov_b32_e32 v74, 0x7f800001
	s_mov_b32 s43, exec_lo
	v_cmpx_ne_u32_e32 0x7f, v76
	s_cbranch_execz .LBB167_167
; %bb.164:                              ;   in Loop: Header=BB167_12 Depth=1
	v_and_b32_sdwa v29, v75, v50 dst_sel:DWORD dst_unused:UNUSED_PAD src0_sel:WORD_0 src1_sel:DWORD
	v_lshrrev_b32_e32 v74, 3, v76
	s_mov_b32 s44, exec_lo
	v_cmpx_gt_u32_e32 8, v76
; %bb.165:                              ;   in Loop: Header=BB167_12 Depth=1
	v_ffbh_u32_e32 v74, v29
	v_min_u32_e32 v74, 32, v74
	v_subrev_nc_u32_e32 v76, 28, v74
	v_sub_nc_u32_e32 v74, 29, v74
	v_lshlrev_b64 v[76:77], v76, v[29:30]
	v_and_b32_e32 v29, 7, v76
; %bb.166:                              ;   in Loop: Header=BB167_12 Depth=1
	s_or_b32 exec_lo, exec_lo, s44
	v_lshlrev_b32_e32 v75, 24, v75
	v_lshlrev_b32_e32 v29, 20, v29
	v_lshl_add_u32 v74, v74, 23, 0x3c000000
	v_and_b32_e32 v75, 0x80000000, v75
	v_or3_b32 v74, v29, v75, v74
.LBB167_167:                            ;   in Loop: Header=BB167_12 Depth=1
	s_or_b32 exec_lo, exec_lo, s43
.LBB167_168:                            ;   in Loop: Header=BB167_12 Depth=1
	s_or_b32 exec_lo, exec_lo, s42
.LBB167_169:                            ;   in Loop: Header=BB167_12 Depth=1
	s_or_b32 exec_lo, exec_lo, s41
	global_load_ubyte v75, v[37:38], off offset:524
	s_mov_b32 s41, exec_lo
	s_waitcnt vmcnt(0)
	v_cmpx_ne_u16_e32 0, v75
	s_cbranch_execz .LBB167_177
; %bb.170:                              ;   in Loop: Header=BB167_12 Depth=1
	v_bfrev_b32_e32 v73, 1
	s_mov_b32 s42, exec_lo
	v_cmpx_ne_u16_e32 0x80, v75
	s_cbranch_execz .LBB167_176
; %bb.171:                              ;   in Loop: Header=BB167_12 Depth=1
	v_and_b32_sdwa v76, v75, v49 dst_sel:DWORD dst_unused:UNUSED_PAD src0_sel:WORD_0 src1_sel:DWORD
	v_mov_b32_e32 v73, 0x7f800001
	s_mov_b32 s43, exec_lo
	v_cmpx_ne_u32_e32 0x7f, v76
	s_cbranch_execz .LBB167_175
; %bb.172:                              ;   in Loop: Header=BB167_12 Depth=1
	v_and_b32_sdwa v29, v75, v50 dst_sel:DWORD dst_unused:UNUSED_PAD src0_sel:WORD_0 src1_sel:DWORD
	v_lshrrev_b32_e32 v73, 3, v76
	s_mov_b32 s44, exec_lo
	v_cmpx_gt_u32_e32 8, v76
; %bb.173:                              ;   in Loop: Header=BB167_12 Depth=1
	v_ffbh_u32_e32 v73, v29
	v_min_u32_e32 v73, 32, v73
	v_subrev_nc_u32_e32 v76, 28, v73
	v_sub_nc_u32_e32 v73, 29, v73
	v_lshlrev_b64 v[76:77], v76, v[29:30]
	v_and_b32_e32 v29, 7, v76
; %bb.174:                              ;   in Loop: Header=BB167_12 Depth=1
	s_or_b32 exec_lo, exec_lo, s44
	v_lshlrev_b32_e32 v75, 24, v75
	v_lshlrev_b32_e32 v29, 20, v29
	v_lshl_add_u32 v73, v73, 23, 0x3c000000
	v_and_b32_e32 v75, 0x80000000, v75
	v_or3_b32 v73, v29, v75, v73
.LBB167_175:                            ;   in Loop: Header=BB167_12 Depth=1
	s_or_b32 exec_lo, exec_lo, s43
.LBB167_176:                            ;   in Loop: Header=BB167_12 Depth=1
	s_or_b32 exec_lo, exec_lo, s42
.LBB167_177:                            ;   in Loop: Header=BB167_12 Depth=1
	s_or_b32 exec_lo, exec_lo, s41
	global_load_ubyte v77, v[37:38], off offset:640
	v_mov_b32_e32 v75, 0
	v_mov_b32_e32 v76, 0
	s_mov_b32 s41, exec_lo
	s_waitcnt vmcnt(0)
	v_cmpx_ne_u16_e32 0, v77
	s_cbranch_execz .LBB167_185
; %bb.178:                              ;   in Loop: Header=BB167_12 Depth=1
	v_bfrev_b32_e32 v76, 1
	s_mov_b32 s42, exec_lo
	v_cmpx_ne_u16_e32 0x80, v77
	s_cbranch_execz .LBB167_184
; %bb.179:                              ;   in Loop: Header=BB167_12 Depth=1
	v_and_b32_sdwa v78, v77, v49 dst_sel:DWORD dst_unused:UNUSED_PAD src0_sel:WORD_0 src1_sel:DWORD
	v_mov_b32_e32 v76, 0x7f800001
	s_mov_b32 s43, exec_lo
	v_cmpx_ne_u32_e32 0x7f, v78
	s_cbranch_execz .LBB167_183
; %bb.180:                              ;   in Loop: Header=BB167_12 Depth=1
	v_and_b32_sdwa v29, v77, v50 dst_sel:DWORD dst_unused:UNUSED_PAD src0_sel:WORD_0 src1_sel:DWORD
	v_lshrrev_b32_e32 v76, 3, v78
	s_mov_b32 s44, exec_lo
	v_cmpx_gt_u32_e32 8, v78
; %bb.181:                              ;   in Loop: Header=BB167_12 Depth=1
	v_ffbh_u32_e32 v76, v29
	v_min_u32_e32 v76, 32, v76
	v_subrev_nc_u32_e32 v78, 28, v76
	v_sub_nc_u32_e32 v76, 29, v76
	v_lshlrev_b64 v[78:79], v78, v[29:30]
	v_and_b32_e32 v29, 7, v78
; %bb.182:                              ;   in Loop: Header=BB167_12 Depth=1
	s_or_b32 exec_lo, exec_lo, s44
	v_lshlrev_b32_e32 v77, 24, v77
	v_lshlrev_b32_e32 v29, 20, v29
	v_lshl_add_u32 v76, v76, 23, 0x3c000000
	v_and_b32_e32 v77, 0x80000000, v77
	v_or3_b32 v76, v29, v77, v76
.LBB167_183:                            ;   in Loop: Header=BB167_12 Depth=1
	s_or_b32 exec_lo, exec_lo, s43
.LBB167_184:                            ;   in Loop: Header=BB167_12 Depth=1
	s_or_b32 exec_lo, exec_lo, s42
.LBB167_185:                            ;   in Loop: Header=BB167_12 Depth=1
	s_or_b32 exec_lo, exec_lo, s41
	global_load_ubyte v77, v[37:38], off offset:644
	s_mov_b32 s41, exec_lo
	s_waitcnt vmcnt(0)
	v_cmpx_ne_u16_e32 0, v77
	s_cbranch_execz .LBB167_193
; %bb.186:                              ;   in Loop: Header=BB167_12 Depth=1
	v_bfrev_b32_e32 v75, 1
	s_mov_b32 s42, exec_lo
	v_cmpx_ne_u16_e32 0x80, v77
	s_cbranch_execz .LBB167_192
; %bb.187:                              ;   in Loop: Header=BB167_12 Depth=1
	v_and_b32_sdwa v78, v77, v49 dst_sel:DWORD dst_unused:UNUSED_PAD src0_sel:WORD_0 src1_sel:DWORD
	v_mov_b32_e32 v75, 0x7f800001
	s_mov_b32 s43, exec_lo
	v_cmpx_ne_u32_e32 0x7f, v78
	s_cbranch_execz .LBB167_191
; %bb.188:                              ;   in Loop: Header=BB167_12 Depth=1
	v_and_b32_sdwa v29, v77, v50 dst_sel:DWORD dst_unused:UNUSED_PAD src0_sel:WORD_0 src1_sel:DWORD
	v_lshrrev_b32_e32 v75, 3, v78
	s_mov_b32 s44, exec_lo
	v_cmpx_gt_u32_e32 8, v78
; %bb.189:                              ;   in Loop: Header=BB167_12 Depth=1
	v_ffbh_u32_e32 v75, v29
	v_min_u32_e32 v75, 32, v75
	v_subrev_nc_u32_e32 v78, 28, v75
	v_sub_nc_u32_e32 v75, 29, v75
	v_lshlrev_b64 v[78:79], v78, v[29:30]
	v_and_b32_e32 v29, 7, v78
; %bb.190:                              ;   in Loop: Header=BB167_12 Depth=1
	s_or_b32 exec_lo, exec_lo, s44
	v_lshlrev_b32_e32 v77, 24, v77
	v_lshlrev_b32_e32 v29, 20, v29
	v_lshl_add_u32 v75, v75, 23, 0x3c000000
	v_and_b32_e32 v77, 0x80000000, v77
	v_or3_b32 v75, v29, v77, v75
.LBB167_191:                            ;   in Loop: Header=BB167_12 Depth=1
	s_or_b32 exec_lo, exec_lo, s43
.LBB167_192:                            ;   in Loop: Header=BB167_12 Depth=1
	s_or_b32 exec_lo, exec_lo, s42
.LBB167_193:                            ;   in Loop: Header=BB167_12 Depth=1
	s_or_b32 exec_lo, exec_lo, s41
	global_load_ubyte v79, v[37:38], off offset:648
	v_mov_b32_e32 v77, 0
	v_mov_b32_e32 v78, 0
	s_mov_b32 s41, exec_lo
	s_waitcnt vmcnt(0)
	v_cmpx_ne_u16_e32 0, v79
	s_cbranch_execz .LBB167_201
; %bb.194:                              ;   in Loop: Header=BB167_12 Depth=1
	v_bfrev_b32_e32 v78, 1
	s_mov_b32 s42, exec_lo
	v_cmpx_ne_u16_e32 0x80, v79
	s_cbranch_execz .LBB167_200
; %bb.195:                              ;   in Loop: Header=BB167_12 Depth=1
	v_and_b32_sdwa v80, v79, v49 dst_sel:DWORD dst_unused:UNUSED_PAD src0_sel:WORD_0 src1_sel:DWORD
	v_mov_b32_e32 v78, 0x7f800001
	s_mov_b32 s43, exec_lo
	v_cmpx_ne_u32_e32 0x7f, v80
	s_cbranch_execz .LBB167_199
; %bb.196:                              ;   in Loop: Header=BB167_12 Depth=1
	v_and_b32_sdwa v29, v79, v50 dst_sel:DWORD dst_unused:UNUSED_PAD src0_sel:WORD_0 src1_sel:DWORD
	v_lshrrev_b32_e32 v78, 3, v80
	s_mov_b32 s44, exec_lo
	v_cmpx_gt_u32_e32 8, v80
; %bb.197:                              ;   in Loop: Header=BB167_12 Depth=1
	v_ffbh_u32_e32 v78, v29
	v_min_u32_e32 v78, 32, v78
	v_subrev_nc_u32_e32 v80, 28, v78
	v_sub_nc_u32_e32 v78, 29, v78
	v_lshlrev_b64 v[80:81], v80, v[29:30]
	v_and_b32_e32 v29, 7, v80
; %bb.198:                              ;   in Loop: Header=BB167_12 Depth=1
	s_or_b32 exec_lo, exec_lo, s44
	v_lshlrev_b32_e32 v79, 24, v79
	v_lshlrev_b32_e32 v29, 20, v29
	v_lshl_add_u32 v78, v78, 23, 0x3c000000
	v_and_b32_e32 v79, 0x80000000, v79
	v_or3_b32 v78, v29, v79, v78
.LBB167_199:                            ;   in Loop: Header=BB167_12 Depth=1
	s_or_b32 exec_lo, exec_lo, s43
.LBB167_200:                            ;   in Loop: Header=BB167_12 Depth=1
	s_or_b32 exec_lo, exec_lo, s42
.LBB167_201:                            ;   in Loop: Header=BB167_12 Depth=1
	s_or_b32 exec_lo, exec_lo, s41
	global_load_ubyte v79, v[37:38], off offset:652
	s_mov_b32 s41, exec_lo
	s_waitcnt vmcnt(0)
	v_cmpx_ne_u16_e32 0, v79
	s_cbranch_execz .LBB167_209
; %bb.202:                              ;   in Loop: Header=BB167_12 Depth=1
	v_bfrev_b32_e32 v77, 1
	s_mov_b32 s42, exec_lo
	v_cmpx_ne_u16_e32 0x80, v79
	s_cbranch_execz .LBB167_208
; %bb.203:                              ;   in Loop: Header=BB167_12 Depth=1
	v_and_b32_sdwa v80, v79, v49 dst_sel:DWORD dst_unused:UNUSED_PAD src0_sel:WORD_0 src1_sel:DWORD
	v_mov_b32_e32 v77, 0x7f800001
	s_mov_b32 s43, exec_lo
	v_cmpx_ne_u32_e32 0x7f, v80
	s_cbranch_execz .LBB167_207
; %bb.204:                              ;   in Loop: Header=BB167_12 Depth=1
	v_and_b32_sdwa v29, v79, v50 dst_sel:DWORD dst_unused:UNUSED_PAD src0_sel:WORD_0 src1_sel:DWORD
	v_lshrrev_b32_e32 v77, 3, v80
	s_mov_b32 s44, exec_lo
	v_cmpx_gt_u32_e32 8, v80
; %bb.205:                              ;   in Loop: Header=BB167_12 Depth=1
	v_ffbh_u32_e32 v77, v29
	v_min_u32_e32 v77, 32, v77
	v_subrev_nc_u32_e32 v80, 28, v77
	v_sub_nc_u32_e32 v77, 29, v77
	v_lshlrev_b64 v[80:81], v80, v[29:30]
	v_and_b32_e32 v29, 7, v80
; %bb.206:                              ;   in Loop: Header=BB167_12 Depth=1
	s_or_b32 exec_lo, exec_lo, s44
	v_lshlrev_b32_e32 v79, 24, v79
	v_lshlrev_b32_e32 v29, 20, v29
	v_lshl_add_u32 v77, v77, 23, 0x3c000000
	v_and_b32_e32 v79, 0x80000000, v79
	v_or3_b32 v77, v29, v79, v77
.LBB167_207:                            ;   in Loop: Header=BB167_12 Depth=1
	s_or_b32 exec_lo, exec_lo, s43
.LBB167_208:                            ;   in Loop: Header=BB167_12 Depth=1
	s_or_b32 exec_lo, exec_lo, s42
.LBB167_209:                            ;   in Loop: Header=BB167_12 Depth=1
	s_or_b32 exec_lo, exec_lo, s41
	global_load_ubyte v81, v[37:38], off offset:768
	v_mov_b32_e32 v79, 0
	v_mov_b32_e32 v80, 0
	s_mov_b32 s41, exec_lo
	s_waitcnt vmcnt(0)
	v_cmpx_ne_u16_e32 0, v81
	s_cbranch_execz .LBB167_217
; %bb.210:                              ;   in Loop: Header=BB167_12 Depth=1
	v_bfrev_b32_e32 v80, 1
	s_mov_b32 s42, exec_lo
	v_cmpx_ne_u16_e32 0x80, v81
	s_cbranch_execz .LBB167_216
; %bb.211:                              ;   in Loop: Header=BB167_12 Depth=1
	v_and_b32_sdwa v82, v81, v49 dst_sel:DWORD dst_unused:UNUSED_PAD src0_sel:WORD_0 src1_sel:DWORD
	v_mov_b32_e32 v80, 0x7f800001
	s_mov_b32 s43, exec_lo
	v_cmpx_ne_u32_e32 0x7f, v82
	s_cbranch_execz .LBB167_215
; %bb.212:                              ;   in Loop: Header=BB167_12 Depth=1
	v_and_b32_sdwa v29, v81, v50 dst_sel:DWORD dst_unused:UNUSED_PAD src0_sel:WORD_0 src1_sel:DWORD
	v_lshrrev_b32_e32 v80, 3, v82
	s_mov_b32 s44, exec_lo
	v_cmpx_gt_u32_e32 8, v82
; %bb.213:                              ;   in Loop: Header=BB167_12 Depth=1
	v_ffbh_u32_e32 v80, v29
	v_min_u32_e32 v80, 32, v80
	v_subrev_nc_u32_e32 v82, 28, v80
	v_sub_nc_u32_e32 v80, 29, v80
	v_lshlrev_b64 v[82:83], v82, v[29:30]
	v_and_b32_e32 v29, 7, v82
; %bb.214:                              ;   in Loop: Header=BB167_12 Depth=1
	s_or_b32 exec_lo, exec_lo, s44
	v_lshlrev_b32_e32 v81, 24, v81
	v_lshlrev_b32_e32 v29, 20, v29
	v_lshl_add_u32 v80, v80, 23, 0x3c000000
	v_and_b32_e32 v81, 0x80000000, v81
	v_or3_b32 v80, v29, v81, v80
.LBB167_215:                            ;   in Loop: Header=BB167_12 Depth=1
	s_or_b32 exec_lo, exec_lo, s43
.LBB167_216:                            ;   in Loop: Header=BB167_12 Depth=1
	s_or_b32 exec_lo, exec_lo, s42
.LBB167_217:                            ;   in Loop: Header=BB167_12 Depth=1
	s_or_b32 exec_lo, exec_lo, s41
	global_load_ubyte v81, v[37:38], off offset:772
	s_mov_b32 s41, exec_lo
	s_waitcnt vmcnt(0)
	v_cmpx_ne_u16_e32 0, v81
	s_cbranch_execz .LBB167_225
; %bb.218:                              ;   in Loop: Header=BB167_12 Depth=1
	v_bfrev_b32_e32 v79, 1
	s_mov_b32 s42, exec_lo
	v_cmpx_ne_u16_e32 0x80, v81
	s_cbranch_execz .LBB167_224
; %bb.219:                              ;   in Loop: Header=BB167_12 Depth=1
	v_and_b32_sdwa v82, v81, v49 dst_sel:DWORD dst_unused:UNUSED_PAD src0_sel:WORD_0 src1_sel:DWORD
	v_mov_b32_e32 v79, 0x7f800001
	s_mov_b32 s43, exec_lo
	v_cmpx_ne_u32_e32 0x7f, v82
	s_cbranch_execz .LBB167_223
; %bb.220:                              ;   in Loop: Header=BB167_12 Depth=1
	v_and_b32_sdwa v29, v81, v50 dst_sel:DWORD dst_unused:UNUSED_PAD src0_sel:WORD_0 src1_sel:DWORD
	v_lshrrev_b32_e32 v79, 3, v82
	s_mov_b32 s44, exec_lo
	v_cmpx_gt_u32_e32 8, v82
; %bb.221:                              ;   in Loop: Header=BB167_12 Depth=1
	v_ffbh_u32_e32 v79, v29
	v_min_u32_e32 v79, 32, v79
	v_subrev_nc_u32_e32 v82, 28, v79
	v_sub_nc_u32_e32 v79, 29, v79
	v_lshlrev_b64 v[82:83], v82, v[29:30]
	v_and_b32_e32 v29, 7, v82
; %bb.222:                              ;   in Loop: Header=BB167_12 Depth=1
	s_or_b32 exec_lo, exec_lo, s44
	v_lshlrev_b32_e32 v81, 24, v81
	v_lshlrev_b32_e32 v29, 20, v29
	v_lshl_add_u32 v79, v79, 23, 0x3c000000
	v_and_b32_e32 v81, 0x80000000, v81
	v_or3_b32 v79, v29, v81, v79
.LBB167_223:                            ;   in Loop: Header=BB167_12 Depth=1
	s_or_b32 exec_lo, exec_lo, s43
.LBB167_224:                            ;   in Loop: Header=BB167_12 Depth=1
	s_or_b32 exec_lo, exec_lo, s42
.LBB167_225:                            ;   in Loop: Header=BB167_12 Depth=1
	s_or_b32 exec_lo, exec_lo, s41
	global_load_ubyte v83, v[37:38], off offset:776
	v_mov_b32_e32 v81, 0
	v_mov_b32_e32 v82, 0
	s_mov_b32 s41, exec_lo
	s_waitcnt vmcnt(0)
	v_cmpx_ne_u16_e32 0, v83
	s_cbranch_execz .LBB167_233
; %bb.226:                              ;   in Loop: Header=BB167_12 Depth=1
	v_bfrev_b32_e32 v82, 1
	s_mov_b32 s42, exec_lo
	v_cmpx_ne_u16_e32 0x80, v83
	s_cbranch_execz .LBB167_232
; %bb.227:                              ;   in Loop: Header=BB167_12 Depth=1
	v_and_b32_sdwa v84, v83, v49 dst_sel:DWORD dst_unused:UNUSED_PAD src0_sel:WORD_0 src1_sel:DWORD
	v_mov_b32_e32 v82, 0x7f800001
	s_mov_b32 s43, exec_lo
	v_cmpx_ne_u32_e32 0x7f, v84
	s_cbranch_execz .LBB167_231
; %bb.228:                              ;   in Loop: Header=BB167_12 Depth=1
	v_and_b32_sdwa v29, v83, v50 dst_sel:DWORD dst_unused:UNUSED_PAD src0_sel:WORD_0 src1_sel:DWORD
	v_lshrrev_b32_e32 v82, 3, v84
	s_mov_b32 s44, exec_lo
	v_cmpx_gt_u32_e32 8, v84
; %bb.229:                              ;   in Loop: Header=BB167_12 Depth=1
	v_ffbh_u32_e32 v82, v29
	v_min_u32_e32 v82, 32, v82
	v_subrev_nc_u32_e32 v84, 28, v82
	v_sub_nc_u32_e32 v82, 29, v82
	v_lshlrev_b64 v[84:85], v84, v[29:30]
	v_and_b32_e32 v29, 7, v84
; %bb.230:                              ;   in Loop: Header=BB167_12 Depth=1
	s_or_b32 exec_lo, exec_lo, s44
	v_lshlrev_b32_e32 v83, 24, v83
	v_lshlrev_b32_e32 v29, 20, v29
	v_lshl_add_u32 v82, v82, 23, 0x3c000000
	v_and_b32_e32 v83, 0x80000000, v83
	v_or3_b32 v82, v29, v83, v82
.LBB167_231:                            ;   in Loop: Header=BB167_12 Depth=1
	s_or_b32 exec_lo, exec_lo, s43
.LBB167_232:                            ;   in Loop: Header=BB167_12 Depth=1
	s_or_b32 exec_lo, exec_lo, s42
.LBB167_233:                            ;   in Loop: Header=BB167_12 Depth=1
	s_or_b32 exec_lo, exec_lo, s41
	global_load_ubyte v83, v[37:38], off offset:780
	s_mov_b32 s41, exec_lo
	s_waitcnt vmcnt(0)
	v_cmpx_ne_u16_e32 0, v83
	s_cbranch_execz .LBB167_241
; %bb.234:                              ;   in Loop: Header=BB167_12 Depth=1
	v_bfrev_b32_e32 v81, 1
	s_mov_b32 s42, exec_lo
	v_cmpx_ne_u16_e32 0x80, v83
	s_cbranch_execz .LBB167_240
; %bb.235:                              ;   in Loop: Header=BB167_12 Depth=1
	v_and_b32_sdwa v84, v83, v49 dst_sel:DWORD dst_unused:UNUSED_PAD src0_sel:WORD_0 src1_sel:DWORD
	v_mov_b32_e32 v81, 0x7f800001
	s_mov_b32 s43, exec_lo
	v_cmpx_ne_u32_e32 0x7f, v84
	s_cbranch_execz .LBB167_239
; %bb.236:                              ;   in Loop: Header=BB167_12 Depth=1
	v_and_b32_sdwa v29, v83, v50 dst_sel:DWORD dst_unused:UNUSED_PAD src0_sel:WORD_0 src1_sel:DWORD
	v_lshrrev_b32_e32 v81, 3, v84
	s_mov_b32 s44, exec_lo
	v_cmpx_gt_u32_e32 8, v84
; %bb.237:                              ;   in Loop: Header=BB167_12 Depth=1
	v_ffbh_u32_e32 v81, v29
	v_min_u32_e32 v81, 32, v81
	v_subrev_nc_u32_e32 v84, 28, v81
	v_sub_nc_u32_e32 v81, 29, v81
	v_lshlrev_b64 v[84:85], v84, v[29:30]
	v_and_b32_e32 v29, 7, v84
; %bb.238:                              ;   in Loop: Header=BB167_12 Depth=1
	s_or_b32 exec_lo, exec_lo, s44
	v_lshlrev_b32_e32 v83, 24, v83
	v_lshlrev_b32_e32 v29, 20, v29
	v_lshl_add_u32 v81, v81, 23, 0x3c000000
	v_and_b32_e32 v83, 0x80000000, v83
	v_or3_b32 v81, v29, v83, v81
.LBB167_239:                            ;   in Loop: Header=BB167_12 Depth=1
	s_or_b32 exec_lo, exec_lo, s43
.LBB167_240:                            ;   in Loop: Header=BB167_12 Depth=1
	s_or_b32 exec_lo, exec_lo, s42
.LBB167_241:                            ;   in Loop: Header=BB167_12 Depth=1
	s_or_b32 exec_lo, exec_lo, s41
	global_load_ubyte v85, v[37:38], off offset:896
	v_mov_b32_e32 v83, 0
	v_mov_b32_e32 v84, 0
	s_mov_b32 s41, exec_lo
	s_waitcnt vmcnt(0)
	v_cmpx_ne_u16_e32 0, v85
	s_cbranch_execz .LBB167_249
; %bb.242:                              ;   in Loop: Header=BB167_12 Depth=1
	v_bfrev_b32_e32 v84, 1
	s_mov_b32 s42, exec_lo
	v_cmpx_ne_u16_e32 0x80, v85
	s_cbranch_execz .LBB167_248
; %bb.243:                              ;   in Loop: Header=BB167_12 Depth=1
	v_and_b32_sdwa v86, v85, v49 dst_sel:DWORD dst_unused:UNUSED_PAD src0_sel:WORD_0 src1_sel:DWORD
	v_mov_b32_e32 v84, 0x7f800001
	s_mov_b32 s43, exec_lo
	v_cmpx_ne_u32_e32 0x7f, v86
	s_cbranch_execz .LBB167_247
; %bb.244:                              ;   in Loop: Header=BB167_12 Depth=1
	v_and_b32_sdwa v29, v85, v50 dst_sel:DWORD dst_unused:UNUSED_PAD src0_sel:WORD_0 src1_sel:DWORD
	v_lshrrev_b32_e32 v84, 3, v86
	s_mov_b32 s44, exec_lo
	v_cmpx_gt_u32_e32 8, v86
; %bb.245:                              ;   in Loop: Header=BB167_12 Depth=1
	v_ffbh_u32_e32 v84, v29
	v_min_u32_e32 v84, 32, v84
	v_subrev_nc_u32_e32 v86, 28, v84
	v_sub_nc_u32_e32 v84, 29, v84
	v_lshlrev_b64 v[86:87], v86, v[29:30]
	v_and_b32_e32 v29, 7, v86
; %bb.246:                              ;   in Loop: Header=BB167_12 Depth=1
	s_or_b32 exec_lo, exec_lo, s44
	v_lshlrev_b32_e32 v85, 24, v85
	v_lshlrev_b32_e32 v29, 20, v29
	v_lshl_add_u32 v84, v84, 23, 0x3c000000
	v_and_b32_e32 v85, 0x80000000, v85
	v_or3_b32 v84, v29, v85, v84
.LBB167_247:                            ;   in Loop: Header=BB167_12 Depth=1
	s_or_b32 exec_lo, exec_lo, s43
.LBB167_248:                            ;   in Loop: Header=BB167_12 Depth=1
	s_or_b32 exec_lo, exec_lo, s42
.LBB167_249:                            ;   in Loop: Header=BB167_12 Depth=1
	s_or_b32 exec_lo, exec_lo, s41
	global_load_ubyte v37, v[37:38], off offset:900
	s_mov_b32 s41, exec_lo
	s_waitcnt vmcnt(0)
	v_cmpx_ne_u16_e32 0, v37
	s_cbranch_execz .LBB167_257
; %bb.250:                              ;   in Loop: Header=BB167_12 Depth=1
	v_bfrev_b32_e32 v83, 1
	s_mov_b32 s42, exec_lo
	v_cmpx_ne_u16_e32 0x80, v37
	s_cbranch_execz .LBB167_256
; %bb.251:                              ;   in Loop: Header=BB167_12 Depth=1
	v_and_b32_sdwa v85, v37, v49 dst_sel:DWORD dst_unused:UNUSED_PAD src0_sel:WORD_0 src1_sel:DWORD
	v_mov_b32_e32 v83, 0x7f800001
	s_mov_b32 s43, exec_lo
	v_cmpx_ne_u32_e32 0x7f, v85
	s_cbranch_execz .LBB167_255
; %bb.252:                              ;   in Loop: Header=BB167_12 Depth=1
	v_and_b32_sdwa v29, v37, v50 dst_sel:DWORD dst_unused:UNUSED_PAD src0_sel:WORD_0 src1_sel:DWORD
	v_lshrrev_b32_e32 v38, 3, v85
	s_mov_b32 s44, exec_lo
	v_cmpx_gt_u32_e32 8, v85
; %bb.253:                              ;   in Loop: Header=BB167_12 Depth=1
	v_ffbh_u32_e32 v38, v29
	v_min_u32_e32 v38, 32, v38
	v_subrev_nc_u32_e32 v83, 28, v38
	v_sub_nc_u32_e32 v38, 29, v38
	v_lshlrev_b64 v[85:86], v83, v[29:30]
	v_and_b32_e32 v29, 7, v85
; %bb.254:                              ;   in Loop: Header=BB167_12 Depth=1
	s_or_b32 exec_lo, exec_lo, s44
	v_lshlrev_b32_e32 v37, 24, v37
	v_lshlrev_b32_e32 v29, 20, v29
	v_lshl_add_u32 v38, v38, 23, 0x3c000000
	v_and_b32_e32 v37, 0x80000000, v37
	v_or3_b32 v83, v29, v37, v38
.LBB167_255:                            ;   in Loop: Header=BB167_12 Depth=1
	s_or_b32 exec_lo, exec_lo, s43
.LBB167_256:                            ;   in Loop: Header=BB167_12 Depth=1
	s_or_b32 exec_lo, exec_lo, s42
.LBB167_257:                            ;   in Loop: Header=BB167_12 Depth=1
	s_or_b32 exec_lo, exec_lo, s41
	s_waitcnt lgkmcnt(0)
	v_mul_f32_e32 v29, s40, v55
	v_mul_f32_e32 v37, s40, v56
	v_mul_f32_e32 v26, v26, v29
	v_mul_f32_e32 v29, s40, v58
	v_fmac_f32_e32 v26, v25, v37
	v_mul_f32_e32 v25, s40, v57
	v_fmac_f32_e32 v26, v27, v29
	v_mul_f32_e32 v27, s40, v60
	;; [unrolled: 2-line block ×25, first 2 shown]
	v_fmac_f32_e32 v26, v3, v1
	v_xor_b32_e32 v1, 2, v43
	v_mul_f32_e32 v3, s40, v84
	v_fmac_f32_e32 v26, v4, v2
	v_cmp_gt_i32_e64 s2, 32, v1
	v_mul_f32_e32 v2, s40, v83
	v_fmac_f32_e32 v26, v35, v3
	v_cndmask_b32_e64 v1, v43, v1, s2
	v_fmac_f32_e32 v26, v36, v2
	v_lshlrev_b32_e32 v1, 2, v1
	v_xor_b32_e32 v2, 1, v43
	ds_bpermute_b32 v1, v1, v26
	v_cmp_gt_i32_e64 s2, 32, v2
	v_cndmask_b32_e64 v2, v43, v2, s2
	v_lshlrev_b32_e32 v2, 2, v2
	s_waitcnt lgkmcnt(0)
	v_add_f32_e32 v1, v26, v1
	ds_bpermute_b32 v2, v2, v1
	s_and_saveexec_b32 s40, vcc_lo
	s_cbranch_execz .LBB167_10
; %bb.258:                              ;   in Loop: Header=BB167_12 Depth=1
	v_add_nc_u32_e32 v3, v51, v47
	s_waitcnt lgkmcnt(0)
	v_add_f32_e32 v1, v1, v2
	v_cvt_f32_i32_e32 v3, v3
	v_mul_f32_e32 v3, s36, v3
	v_cndmask_b32_e64 v2, 0, v3, s1
	v_max_f32_e32 v3, v44, v44
	v_fmac_f32_e32 v2, s35, v1
	v_add_nc_u32_e32 v1, v45, v47
	v_max_f32_e32 v3, v3, v2
	v_cmp_gt_i32_e64 s2, s33, v1
	v_cndmask_b32_e64 v1, 0, v2, s2
	v_cndmask_b32_e64 v44, v44, v3, s2
	ds_write_b32 v52, v1
	s_branch .LBB167_10
.LBB167_259:
	s_or_b32 exec_lo, exec_lo, s38
.LBB167_260:
	s_or_b32 exec_lo, exec_lo, s37
	v_xor_b32_e32 v1, 16, v43
	s_waitcnt lgkmcnt(0)
	v_xor_b32_e32 v2, 8, v43
	v_max_f32_e32 v5, v44, v44
	v_cmp_gt_i32_e32 vcc_lo, 32, v1
	v_cndmask_b32_e32 v1, v43, v1, vcc_lo
	v_cmp_gt_i32_e32 vcc_lo, 32, v2
	v_lshlrev_b32_e32 v3, 2, v1
	v_cndmask_b32_e32 v2, v43, v2, vcc_lo
	ds_bpermute_b32 v1, v3, v44
	v_lshlrev_b32_e32 v4, 2, v2
	s_waitcnt lgkmcnt(0)
	v_max_f32_e32 v1, v1, v1
	v_max_f32_e32 v1, v5, v1
	v_xor_b32_e32 v5, 4, v43
	ds_bpermute_b32 v2, v4, v1
	v_cmp_gt_i32_e32 vcc_lo, 32, v5
	v_cndmask_b32_e32 v5, v43, v5, vcc_lo
	v_lshlrev_b32_e32 v7, 2, v5
	v_lshlrev_b32_e32 v5, 2, v39
	s_waitcnt lgkmcnt(0)
	v_max_f32_e32 v2, v2, v2
	v_max_f32_e32 v2, v1, v2
	v_and_b32_e32 v1, 31, v0
	ds_bpermute_b32 v6, v7, v2
	v_cmp_eq_u32_e32 vcc_lo, 0, v1
	s_and_saveexec_b32 s1, vcc_lo
	s_cbranch_execz .LBB167_262
; %bb.261:
	s_waitcnt lgkmcnt(0)
	v_max_f32_e32 v6, v6, v6
	v_max_f32_e32 v2, v2, v2
	;; [unrolled: 1-line block ×3, first 2 shown]
	ds_write_b32 v5, v2 offset:480
.LBB167_262:
	s_or_b32 exec_lo, exec_lo, s1
	v_cmp_gt_u32_e64 s1, 4, v1
	v_mov_b32_e32 v2, 0xff7fffff
	s_waitcnt lgkmcnt(0)
	v_lshlrev_b32_e32 v6, 2, v1
	s_barrier
	buffer_gl0_inv
	s_and_saveexec_b32 s2, s1
; %bb.263:
	ds_read_b32 v2, v6 offset:480
; %bb.264:
	s_or_b32 exec_lo, exec_lo, s2
	v_xor_b32_e32 v8, 2, v43
	v_xor_b32_e32 v10, 1, v43
	v_cmp_gt_i32_e64 s2, 32, v8
	v_cndmask_b32_e64 v8, v43, v8, s2
	v_cmp_gt_i32_e64 s2, 32, v10
	v_lshlrev_b32_e32 v8, 2, v8
	v_cndmask_b32_e64 v10, v43, v10, s2
	s_lshl_b32 s2, s20, 3
	s_min_i32 s4, s2, s33
	s_waitcnt lgkmcnt(0)
	ds_bpermute_b32 v9, v8, v2
	v_max_f32_e32 v2, v2, v2
	v_lshlrev_b32_e32 v26, 2, v10
	v_cmp_gt_i32_e64 s2, s4, v0
	s_waitcnt lgkmcnt(0)
	v_max_f32_e32 v9, v9, v9
	v_max_f32_e32 v2, v2, v9
	ds_bpermute_b32 v9, v26, v2
	s_waitcnt lgkmcnt(0)
	v_max_f32_e32 v9, v9, v9
	v_max_f32_e32 v2, v2, v9
	v_mov_b32_e32 v9, 0
	ds_bpermute_b32 v10, v9, v2
	v_lshl_add_u32 v2, v0, 2, 0x200
	s_and_saveexec_b32 s5, s2
	s_cbranch_execz .LBB167_268
; %bb.265:
	v_lshl_add_u32 v11, v0, 2, 0x200
	v_mov_b32_e32 v9, 0
	v_mov_b32_e32 v12, v0
	s_mov_b32 s12, 0
	.p2align	6
.LBB167_266:                            ; =>This Inner Loop Header: Depth=1
	ds_read_b32 v13, v11
	v_add_nc_u32_e32 v12, 0x80, v12
	v_cmp_le_i32_e64 s3, s4, v12
	s_or_b32 s12, s3, s12
	s_waitcnt lgkmcnt(0)
	v_sub_f32_e32 v13, v13, v10
	v_mul_f32_e32 v13, 0x3fb8aa3b, v13
	v_exp_f32_e32 v13, v13
	ds_write_b32 v11, v13
	v_add_f32_e32 v9, v9, v13
	v_add_nc_u32_e32 v11, 0x200, v11
	s_andn2_b32 exec_lo, exec_lo, s12
	s_cbranch_execnz .LBB167_266
; %bb.267:
	s_or_b32 exec_lo, exec_lo, s12
.LBB167_268:
	s_or_b32 exec_lo, exec_lo, s5
	ds_bpermute_b32 v3, v3, v9
	s_waitcnt lgkmcnt(0)
	v_add_f32_e32 v3, v9, v3
	ds_bpermute_b32 v4, v4, v3
	s_waitcnt lgkmcnt(0)
	v_add_f32_e32 v3, v3, v4
	;; [unrolled: 3-line block ×5, first 2 shown]
	s_and_saveexec_b32 s3, vcc_lo
; %bb.269:
	ds_write_b32 v5, v3 offset:496
; %bb.270:
	s_or_b32 exec_lo, exec_lo, s3
	s_waitcnt lgkmcnt(0)
	s_barrier
	buffer_gl0_inv
	s_and_saveexec_b32 s3, s1
; %bb.271:
	ds_read_b32 v3, v6 offset:496
; %bb.272:
	s_or_b32 exec_lo, exec_lo, s3
	s_waitcnt lgkmcnt(0)
	ds_bpermute_b32 v4, v8, v3
	s_waitcnt lgkmcnt(0)
	v_add_f32_e32 v3, v3, v4
	ds_bpermute_b32 v4, v26, v3
	s_waitcnt lgkmcnt(0)
	v_add_f32_e32 v3, v3, v4
	v_mov_b32_e32 v4, 0
	ds_bpermute_b32 v3, v4, v3
	s_and_saveexec_b32 s1, s2
	s_cbranch_execz .LBB167_275
; %bb.273:
	s_waitcnt lgkmcnt(0)
	v_add_f32_e32 v3, 0x358637bd, v3
	s_mov_b32 s2, 0
	v_div_scale_f32 v4, null, v3, v3, 1.0
	v_div_scale_f32 v7, vcc_lo, 1.0, v3, 1.0
	v_rcp_f32_e32 v5, v4
	v_fma_f32 v6, -v4, v5, 1.0
	v_fmac_f32_e32 v5, v6, v5
	v_mul_f32_e32 v6, v7, v5
	v_fma_f32 v8, -v4, v6, v7
	v_fmac_f32_e32 v6, v8, v5
	v_fma_f32 v4, -v4, v6, v7
	v_div_fmas_f32 v4, v4, v5, v6
	v_div_fixup_f32 v3, v4, v3, 1.0
	v_mov_b32_e32 v4, v0
.LBB167_274:                            ; =>This Inner Loop Header: Depth=1
	ds_read_b32 v5, v2
	v_add_nc_u32_e32 v4, 0x80, v4
	v_cmp_le_i32_e32 vcc_lo, s4, v4
	s_or_b32 s2, vcc_lo, s2
	s_waitcnt lgkmcnt(0)
	v_mul_f32_e32 v5, v3, v5
	ds_write_b32 v2, v5
	v_add_nc_u32_e32 v2, 0x200, v2
	s_andn2_b32 exec_lo, exec_lo, s2
	s_cbranch_execnz .LBB167_274
.LBB167_275:
	s_or_b32 exec_lo, exec_lo, s1
	v_lshrrev_b32_e32 v25, 1, v1
	s_waitcnt lgkmcnt(0)
	s_barrier
	buffer_gl0_inv
	s_and_saveexec_b32 s1, s0
	s_xor_b32 s0, exec_lo, s1
; %bb.276:
	v_lshrrev_b32_e32 v25, 1, v1
                                        ; implicit-def: $vgpr40
                                        ; implicit-def: $vgpr41
                                        ; implicit-def: $vgpr42
; %bb.277:
	s_or_saveexec_b32 s4, s0
	v_mov_b32_e32 v35, 0
	v_and_b32_e32 v27, 1, v0
	v_mov_b32_e32 v34, 0
	v_mov_b32_e32 v33, 0
	;; [unrolled: 1-line block ×7, first 2 shown]
	s_xor_b32 exec_lo, exec_lo, s4
	s_cbranch_execz .LBB167_557
; %bb.278:
	s_sub_i32 s5, s34, s21
	s_ashr_i32 s0, s18, 31
	s_add_u32 s2, s30, s18
	s_addc_u32 s3, s31, s0
	s_abs_i32 s12, s22
	v_and_b32_e32 v36, 4, v41
	v_cvt_f32_u32_e32 v1, s12
	s_sub_i32 s0, 0, s12
	v_or_b32_e32 v2, 0x70, v25
	v_lshlrev_b32_e32 v4, 4, v27
	v_and_b32_e32 v3, 0x7c, v42
	v_rcp_iflag_f32_e32 v1, v1
	s_add_i32 s13, s20, -1
	v_cmp_gt_u32_e32 vcc_lo, 0x78, v2
	v_lshl_or_b32 v45, v2, 3, v36
	v_lshl_or_b32 v4, v39, 5, v4
	v_mov_b32_e32 v6, 0
	v_mov_b32_e32 v37, 0x80
	v_bfrev_b32_e32 v8, 1
	v_mov_b32_e32 v38, 0xffff
	v_mov_b32_e32 v10, 0x7f800001
	v_mul_f32_e32 v1, 0x4f7ffffe, v1
	v_mov_b32_e32 v41, 0xff
	v_mov_b32_e32 v42, 7
	;; [unrolled: 1-line block ×4, first 2 shown]
	v_cvt_u32_f32_e32 v1, v1
	v_mov_b32_e32 v29, 0
	v_mov_b32_e32 v30, 0
	;; [unrolled: 1-line block ×4, first 2 shown]
	v_mul_lo_u32 v5, s0, v1
	s_lshl_b64 s[0:1], s[28:29], 2
	v_mov_b32_e32 v33, 0
	s_add_u32 s0, s26, s0
	s_addc_u32 s1, s27, s1
	v_add_co_u32 v11, s0, s0, v3
	v_mov_b32_e32 v34, 0
	v_mul_hi_u32 v2, v1, v5
	v_mov_b32_e32 v35, 0
	v_lshl_or_b32 v44, v25, 3, v36
	v_add_co_ci_u32_e64 v12, null, s1, 0, s0
	v_add_nc_u32_e32 v46, 0x200, v4
	v_mov_b32_e32 v48, v39
	s_mov_b32 s18, s17
	v_add_nc_u32_e32 v47, v1, v2
	s_mov_b32 s17, 0
	s_branch .LBB167_282
.LBB167_279:                            ;   in Loop: Header=BB167_282 Depth=1
	s_or_b32 exec_lo, exec_lo, s1
	v_mul_f32_e32 v13, v1, v13
	v_fmac_f32_e32 v13, v2, v9
	v_fmac_f32_e32 v13, v3, v7
	;; [unrolled: 1-line block ×3, first 2 shown]
	v_add_f32_e32 v28, v28, v13
.LBB167_280:                            ;   in Loop: Header=BB167_282 Depth=1
	s_or_b32 exec_lo, exec_lo, s27
	v_mul_f32_e32 v5, v1, v73
	v_mul_f32_e32 v7, v1, v71
	v_mul_f32_e32 v9, v1, v69
	v_mul_f32_e32 v13, v1, v65
	v_mul_f32_e32 v14, v1, v61
	v_mul_f32_e32 v15, v1, v57
	v_mul_f32_e32 v1, v1, v52
	v_fmac_f32_e32 v5, v2, v72
	v_fmac_f32_e32 v7, v2, v70
	v_fmac_f32_e32 v9, v2, v68
	v_fmac_f32_e32 v13, v2, v64
	v_fmac_f32_e32 v14, v2, v60
	v_fmac_f32_e32 v15, v2, v56
	v_fmac_f32_e32 v1, v2, v51
	v_fmac_f32_e32 v5, v3, v22
	v_fmac_f32_e32 v7, v3, v24
	v_fmac_f32_e32 v9, v3, v67
	v_fmac_f32_e32 v13, v3, v63
	v_fmac_f32_e32 v14, v3, v59
	v_fmac_f32_e32 v15, v3, v55
	v_fmac_f32_e32 v1, v3, v50
	v_fmac_f32_e32 v5, v4, v21
	v_fmac_f32_e32 v7, v4, v23
	v_fmac_f32_e32 v9, v4, v66
	v_fmac_f32_e32 v13, v4, v62
	v_fmac_f32_e32 v14, v4, v58
	v_fmac_f32_e32 v15, v4, v54
	v_fmac_f32_e32 v1, v4, v49
	v_add_f32_e32 v29, v29, v5
	v_add_f32_e32 v30, v30, v7
	;; [unrolled: 1-line block ×7, first 2 shown]
.LBB167_281:                            ;   in Loop: Header=BB167_282 Depth=1
	s_or_b32 exec_lo, exec_lo, s21
	v_add_nc_u32_e32 v48, 4, v48
	v_add_co_u32 v11, s1, v11, 16
	v_add_co_ci_u32_e64 v12, null, 0, v12, s1
	v_cmp_le_i32_e64 s0, s20, v48
	v_add_nc_u32_e32 v40, 32, v40
	v_add_nc_u32_e32 v46, 0x80, v46
	s_or_b32 s17, s0, s17
	s_andn2_b32 exec_lo, exec_lo, s17
	s_cbranch_execz .LBB167_556
.LBB167_282:                            ; =>This Inner Loop Header: Depth=1
	v_mul_hi_u32 v1, v40, s19
	v_mul_lo_u32 v2, v1, s16
	v_add_nc_u32_e32 v3, 1, v1
	v_sub_nc_u32_e32 v2, v40, v2
	v_subrev_nc_u32_e32 v4, s16, v2
	v_cmp_le_u32_e64 s0, s16, v2
	v_cndmask_b32_e64 v1, v1, v3, s0
	v_cndmask_b32_e64 v2, v2, v4, s0
	v_add_nc_u32_e32 v3, 1, v1
	v_cmp_le_u32_e64 s0, s16, v2
	v_cndmask_b32_e64 v1, v1, v3, s0
	v_xor_b32_e32 v1, s23, v1
	v_subrev_nc_u32_e32 v1, s23, v1
	v_add_nc_u32_e32 v2, s25, v1
	v_cmp_lt_i32_e64 s1, s5, v1
	v_sub_nc_u32_e32 v3, 0, v2
	v_max_i32_e32 v3, v2, v3
	v_ashrrev_i32_e32 v2, 31, v2
	v_mul_hi_u32 v4, v3, v47
	v_mul_lo_u32 v4, v4, s12
	v_sub_nc_u32_e32 v3, v3, v4
	v_subrev_nc_u32_e32 v4, s12, v3
	v_cmp_le_u32_e64 s0, s12, v3
	v_cndmask_b32_e64 v3, v3, v4, s0
	v_subrev_nc_u32_e32 v4, s12, v3
	v_cmp_le_u32_e64 s0, s12, v3
	v_cndmask_b32_e64 v3, v3, v4, s0
	v_xor_b32_e32 v3, v3, v2
	v_sub_nc_u32_e32 v2, v3, v2
	v_cmp_eq_u32_e64 s0, 0, v2
	s_or_b32 s0, s0, s1
	s_and_saveexec_b32 s21, s0
	s_cbranch_execz .LBB167_281
; %bb.283:                              ;   in Loop: Header=BB167_282 Depth=1
	global_load_dword v1, v[11:12], off
	s_load_dword s22, s[14:15], 0x0
	v_mov_b32_e32 v19, 0
	v_mov_b32_e32 v17, 0
	;; [unrolled: 1-line block ×4, first 2 shown]
	s_waitcnt vmcnt(0)
	v_mad_i64_i32 v[13:14], null, v1, s18, s[2:3]
	ds_read_b128 v[1:4], v46
	v_add_co_u32 v15, s0, v13, v44
	v_add_co_ci_u32_e64 v16, null, 0, v14, s0
	global_load_dword v49, v[15:16], off
	s_waitcnt vmcnt(0)
	v_cmp_ne_u16_sdwa s0, v49, v6 src0_sel:BYTE_0 src1_sel:DWORD
	s_and_saveexec_b32 s1, s0
	s_cbranch_execz .LBB167_291
; %bb.284:                              ;   in Loop: Header=BB167_282 Depth=1
	v_bfrev_b32_e32 v17, 1
	v_mov_b32_e32 v18, 0
	v_cmp_ne_u16_sdwa s0, v49, v37 src0_sel:BYTE_0 src1_sel:DWORD
	s_and_saveexec_b32 s26, s0
	s_cbranch_execz .LBB167_290
; %bb.285:                              ;   in Loop: Header=BB167_282 Depth=1
	v_mov_b32_e32 v17, 0x7f800001
	v_and_b32_e32 v9, 0x7f, v49
	v_mov_b32_e32 v18, 0
	s_mov_b32 s27, exec_lo
	v_cmpx_ne_u32_e32 0x7f, v9
	s_cbranch_execz .LBB167_289
; %bb.286:                              ;   in Loop: Header=BB167_282 Depth=1
	v_and_b32_e32 v5, 7, v49
	v_lshrrev_b32_e32 v7, 3, v9
	s_mov_b32 s28, exec_lo
	v_cmpx_gt_u32_e32 8, v9
; %bb.287:                              ;   in Loop: Header=BB167_282 Depth=1
	v_ffbh_u32_e32 v7, v5
	v_min_u32_e32 v7, 32, v7
	v_subrev_nc_u32_e32 v9, 28, v7
	v_sub_nc_u32_e32 v7, 29, v7
	v_lshlrev_b64 v[17:18], v9, v[5:6]
	v_and_b32_e32 v5, 7, v17
; %bb.288:                              ;   in Loop: Header=BB167_282 Depth=1
	s_or_b32 exec_lo, exec_lo, s28
	v_lshlrev_b32_e32 v9, 24, v49
	v_lshlrev_b32_e32 v5, 20, v5
	v_lshl_add_u32 v7, v7, 23, 0x3c000000
	v_and_b32_e32 v9, 0x80000000, v9
	v_or3_b32 v5, v5, v9, v7
	v_mov_b32_e32 v18, v6
	v_mov_b32_e32 v17, v5
.LBB167_289:                            ;   in Loop: Header=BB167_282 Depth=1
	s_or_b32 exec_lo, exec_lo, s27
.LBB167_290:                            ;   in Loop: Header=BB167_282 Depth=1
	s_or_b32 exec_lo, exec_lo, s26
.LBB167_291:                            ;   in Loop: Header=BB167_282 Depth=1
	s_or_b32 exec_lo, exec_lo, s1
	v_cmp_ne_u16_sdwa s0, v49, v6 src0_sel:BYTE_1 src1_sel:DWORD
	s_and_saveexec_b32 s1, s0
	s_cbranch_execz .LBB167_299
; %bb.292:                              ;   in Loop: Header=BB167_282 Depth=1
	v_mov_b32_e32 v7, v6
	v_mov_b32_e32 v20, v8
	v_cmp_ne_u16_sdwa s0, v49, v37 src0_sel:BYTE_1 src1_sel:DWORD
	v_mov_b32_e32 v19, v7
	s_and_saveexec_b32 s26, s0
	s_cbranch_execz .LBB167_298
; %bb.293:                              ;   in Loop: Header=BB167_282 Depth=1
	v_and_b32_sdwa v5, v38, v49 dst_sel:DWORD dst_unused:UNUSED_PAD src0_sel:DWORD src1_sel:BYTE_1
	v_mov_b32_e32 v9, v6
	v_mov_b32_e32 v20, v10
	s_mov_b32 s27, exec_lo
	v_and_b32_e32 v21, 0x7f, v5
	v_mov_b32_e32 v19, v9
	v_cmpx_ne_u32_e32 0x7f, v21
	s_cbranch_execz .LBB167_297
; %bb.294:                              ;   in Loop: Header=BB167_282 Depth=1
	v_and_b32_e32 v5, 7, v5
	v_lshrrev_b32_e32 v7, 3, v21
	s_mov_b32 s28, exec_lo
	v_cmpx_gt_u32_e32 8, v21
; %bb.295:                              ;   in Loop: Header=BB167_282 Depth=1
	v_ffbh_u32_e32 v7, v5
	v_min_u32_e32 v7, 32, v7
	v_subrev_nc_u32_e32 v9, 28, v7
	v_sub_nc_u32_e32 v7, 29, v7
	v_lshlrev_b64 v[19:20], v9, v[5:6]
	v_and_b32_e32 v5, 7, v19
; %bb.296:                              ;   in Loop: Header=BB167_282 Depth=1
	s_or_b32 exec_lo, exec_lo, s28
	v_lshlrev_b32_e32 v9, 16, v49
	v_lshlrev_b32_e32 v5, 20, v5
	v_lshl_add_u32 v7, v7, 23, 0x3c000000
	v_mov_b32_e32 v19, v6
	v_and_b32_e32 v9, 0x80000000, v9
	v_or3_b32 v20, v5, v9, v7
.LBB167_297:                            ;   in Loop: Header=BB167_282 Depth=1
	s_or_b32 exec_lo, exec_lo, s27
.LBB167_298:                            ;   in Loop: Header=BB167_282 Depth=1
	s_or_b32 exec_lo, exec_lo, s26
.LBB167_299:                            ;   in Loop: Header=BB167_282 Depth=1
	s_or_b32 exec_lo, exec_lo, s1
	v_mov_b32_e32 v23, 0
	v_mov_b32_e32 v21, 0
	v_and_b32_sdwa v5, v49, v41 dst_sel:DWORD dst_unused:UNUSED_PAD src0_sel:WORD_1 src1_sel:DWORD
	v_mov_b32_e32 v24, 0
	v_mov_b32_e32 v22, 0
	s_mov_b32 s1, exec_lo
	v_cmpx_ne_u16_e32 0, v5
	s_cbranch_execz .LBB167_307
; %bb.300:                              ;   in Loop: Header=BB167_282 Depth=1
	v_bfrev_b32_e32 v21, 1
	v_mov_b32_e32 v22, 0
	s_mov_b32 s26, exec_lo
	v_cmpx_ne_u16_e32 0x80, v5
	s_cbranch_execz .LBB167_306
; %bb.301:                              ;   in Loop: Header=BB167_282 Depth=1
	v_mov_b32_e32 v21, 0x7f800001
	v_bfe_u32 v9, v49, 16, 7
	v_mov_b32_e32 v22, 0
	s_mov_b32 s27, exec_lo
	v_cmpx_ne_u32_e32 0x7f, v9
	s_cbranch_execz .LBB167_305
; %bb.302:                              ;   in Loop: Header=BB167_282 Depth=1
	v_and_b32_sdwa v5, v49, v42 dst_sel:DWORD dst_unused:UNUSED_PAD src0_sel:WORD_1 src1_sel:DWORD
	v_lshrrev_b32_e32 v7, 3, v9
	s_mov_b32 s28, exec_lo
	v_cmpx_gt_u32_e32 8, v9
; %bb.303:                              ;   in Loop: Header=BB167_282 Depth=1
	v_ffbh_u32_e32 v7, v5
	v_min_u32_e32 v7, 32, v7
	v_subrev_nc_u32_e32 v9, 28, v7
	v_sub_nc_u32_e32 v7, 29, v7
	v_lshlrev_b64 v[21:22], v9, v[5:6]
	v_and_b32_e32 v5, 7, v21
; %bb.304:                              ;   in Loop: Header=BB167_282 Depth=1
	s_or_b32 exec_lo, exec_lo, s28
	v_lshlrev_b32_sdwa v9, v43, v49 dst_sel:DWORD dst_unused:UNUSED_PAD src0_sel:DWORD src1_sel:WORD_1
	v_lshlrev_b32_e32 v5, 20, v5
	v_lshl_add_u32 v7, v7, 23, 0x3c000000
	v_and_b32_e32 v9, 0x80000000, v9
	v_or3_b32 v5, v5, v9, v7
	v_mov_b32_e32 v22, v6
	v_mov_b32_e32 v21, v5
.LBB167_305:                            ;   in Loop: Header=BB167_282 Depth=1
	s_or_b32 exec_lo, exec_lo, s27
.LBB167_306:                            ;   in Loop: Header=BB167_282 Depth=1
	s_or_b32 exec_lo, exec_lo, s26
.LBB167_307:                            ;   in Loop: Header=BB167_282 Depth=1
	s_or_b32 exec_lo, exec_lo, s1
	s_mov_b32 s1, exec_lo
	v_cmpx_lt_u32_e32 0xffffff, v49
	s_cbranch_execz .LBB167_315
; %bb.308:                              ;   in Loop: Header=BB167_282 Depth=1
	v_mov_b32_e32 v7, v6
	v_mov_b32_e32 v24, v8
	v_cmp_ne_u32_sdwa s0, v49, v37 src0_sel:BYTE_3 src1_sel:DWORD
	v_mov_b32_e32 v23, v7
	s_and_saveexec_b32 s26, s0
	s_cbranch_execz .LBB167_314
; %bb.309:                              ;   in Loop: Header=BB167_282 Depth=1
	v_mov_b32_e32 v9, v6
	v_mov_b32_e32 v24, v10
	v_bfe_u32 v50, v49, 24, 7
	s_mov_b32 s27, exec_lo
	v_mov_b32_e32 v23, v9
	v_cmpx_ne_u32_e32 0x7f, v50
	s_cbranch_execz .LBB167_313
; %bb.310:                              ;   in Loop: Header=BB167_282 Depth=1
	v_and_b32_sdwa v5, v49, v42 dst_sel:DWORD dst_unused:UNUSED_PAD src0_sel:BYTE_3 src1_sel:DWORD
	v_lshrrev_b32_e32 v7, 3, v50
	s_mov_b32 s28, exec_lo
	v_cmpx_gt_u32_e32 8, v50
; %bb.311:                              ;   in Loop: Header=BB167_282 Depth=1
	v_ffbh_u32_e32 v7, v5
	v_min_u32_e32 v7, 32, v7
	v_subrev_nc_u32_e32 v9, 28, v7
	v_sub_nc_u32_e32 v7, 29, v7
	v_lshlrev_b64 v[23:24], v9, v[5:6]
	v_and_b32_e32 v5, 7, v23
; %bb.312:                              ;   in Loop: Header=BB167_282 Depth=1
	s_or_b32 exec_lo, exec_lo, s28
	v_lshlrev_b32_sdwa v9, v43, v49 dst_sel:DWORD dst_unused:UNUSED_PAD src0_sel:DWORD src1_sel:BYTE_3
	v_lshlrev_b32_e32 v5, 20, v5
	v_lshl_add_u32 v7, v7, 23, 0x3c000000
	v_mov_b32_e32 v23, v6
	v_and_b32_e32 v9, 0x80000000, v9
	v_or3_b32 v24, v5, v9, v7
.LBB167_313:                            ;   in Loop: Header=BB167_282 Depth=1
	s_or_b32 exec_lo, exec_lo, s27
.LBB167_314:                            ;   in Loop: Header=BB167_282 Depth=1
	s_or_b32 exec_lo, exec_lo, s26
.LBB167_315:                            ;   in Loop: Header=BB167_282 Depth=1
	s_or_b32 exec_lo, exec_lo, s1
	v_or_b32_e32 v5, v20, v18
	v_or_b32_e32 v7, v19, v17
	;; [unrolled: 1-line block ×4, first 2 shown]
	v_add_nc_u32_e32 v53, v36, v40
	v_cmp_eq_u32_e64 s0, s13, v48
	s_waitcnt lgkmcnt(0)
	v_mul_f32_e32 v51, s22, v5
	v_mul_f32_e32 v52, s22, v7
	;; [unrolled: 1-line block ×4, first 2 shown]
	s_and_saveexec_b32 s26, s0
	s_cbranch_execz .LBB167_317
; %bb.316:                              ;   in Loop: Header=BB167_282 Depth=1
	v_add_nc_u32_e32 v5, 1, v53
	v_cmp_gt_i32_e64 s1, s33, v53
	v_add_nc_u32_e32 v7, 2, v53
	v_add_nc_u32_e32 v9, 3, v53
	v_cndmask_b32_e64 v52, 0, v52, s1
	v_cmp_gt_i32_e64 s1, s33, v5
	v_cndmask_b32_e64 v51, 0, v51, s1
	v_cmp_gt_i32_e64 s1, s33, v7
	;; [unrolled: 2-line block ×3, first 2 shown]
	v_cndmask_b32_e64 v49, 0, v49, s1
.LBB167_317:                            ;   in Loop: Header=BB167_282 Depth=1
	s_or_b32 exec_lo, exec_lo, s26
	global_load_dword v54, v[15:16], off offset:128
	v_mov_b32_e32 v19, 0
	v_mov_b32_e32 v17, 0
	;; [unrolled: 1-line block ×4, first 2 shown]
	s_waitcnt vmcnt(0)
	v_cmp_ne_u16_sdwa s1, v54, v6 src0_sel:BYTE_0 src1_sel:DWORD
	s_and_saveexec_b32 s26, s1
	s_cbranch_execz .LBB167_325
; %bb.318:                              ;   in Loop: Header=BB167_282 Depth=1
	v_bfrev_b32_e32 v17, 1
	v_mov_b32_e32 v18, 0
	v_cmp_ne_u16_sdwa s1, v54, v37 src0_sel:BYTE_0 src1_sel:DWORD
	s_and_saveexec_b32 s27, s1
	s_cbranch_execz .LBB167_324
; %bb.319:                              ;   in Loop: Header=BB167_282 Depth=1
	v_mov_b32_e32 v17, 0x7f800001
	v_and_b32_e32 v9, 0x7f, v54
	v_mov_b32_e32 v18, 0
	s_mov_b32 s28, exec_lo
	v_cmpx_ne_u32_e32 0x7f, v9
	s_cbranch_execz .LBB167_323
; %bb.320:                              ;   in Loop: Header=BB167_282 Depth=1
	v_and_b32_e32 v5, 7, v54
	v_lshrrev_b32_e32 v7, 3, v9
	s_mov_b32 s29, exec_lo
	v_cmpx_gt_u32_e32 8, v9
; %bb.321:                              ;   in Loop: Header=BB167_282 Depth=1
	v_ffbh_u32_e32 v7, v5
	v_min_u32_e32 v7, 32, v7
	v_subrev_nc_u32_e32 v9, 28, v7
	v_sub_nc_u32_e32 v7, 29, v7
	v_lshlrev_b64 v[17:18], v9, v[5:6]
	v_and_b32_e32 v5, 7, v17
; %bb.322:                              ;   in Loop: Header=BB167_282 Depth=1
	s_or_b32 exec_lo, exec_lo, s29
	v_lshlrev_b32_e32 v9, 24, v54
	v_lshlrev_b32_e32 v5, 20, v5
	v_lshl_add_u32 v7, v7, 23, 0x3c000000
	v_and_b32_e32 v9, 0x80000000, v9
	v_or3_b32 v5, v5, v9, v7
	v_mov_b32_e32 v18, v6
	v_mov_b32_e32 v17, v5
.LBB167_323:                            ;   in Loop: Header=BB167_282 Depth=1
	s_or_b32 exec_lo, exec_lo, s28
.LBB167_324:                            ;   in Loop: Header=BB167_282 Depth=1
	s_or_b32 exec_lo, exec_lo, s27
.LBB167_325:                            ;   in Loop: Header=BB167_282 Depth=1
	s_or_b32 exec_lo, exec_lo, s26
	v_cmp_ne_u16_sdwa s1, v54, v6 src0_sel:BYTE_1 src1_sel:DWORD
	s_and_saveexec_b32 s26, s1
	s_cbranch_execz .LBB167_333
; %bb.326:                              ;   in Loop: Header=BB167_282 Depth=1
	v_mov_b32_e32 v7, v6
	v_mov_b32_e32 v20, v8
	v_cmp_ne_u16_sdwa s1, v54, v37 src0_sel:BYTE_1 src1_sel:DWORD
	v_mov_b32_e32 v19, v7
	s_and_saveexec_b32 s27, s1
	s_cbranch_execz .LBB167_332
; %bb.327:                              ;   in Loop: Header=BB167_282 Depth=1
	v_and_b32_sdwa v5, v38, v54 dst_sel:DWORD dst_unused:UNUSED_PAD src0_sel:DWORD src1_sel:BYTE_1
	v_mov_b32_e32 v9, v6
	v_mov_b32_e32 v20, v10
	s_mov_b32 s28, exec_lo
	v_and_b32_e32 v21, 0x7f, v5
	v_mov_b32_e32 v19, v9
	v_cmpx_ne_u32_e32 0x7f, v21
	s_cbranch_execz .LBB167_331
; %bb.328:                              ;   in Loop: Header=BB167_282 Depth=1
	v_and_b32_e32 v5, 7, v5
	v_lshrrev_b32_e32 v7, 3, v21
	s_mov_b32 s29, exec_lo
	v_cmpx_gt_u32_e32 8, v21
; %bb.329:                              ;   in Loop: Header=BB167_282 Depth=1
	v_ffbh_u32_e32 v7, v5
	v_min_u32_e32 v7, 32, v7
	v_subrev_nc_u32_e32 v9, 28, v7
	v_sub_nc_u32_e32 v7, 29, v7
	v_lshlrev_b64 v[19:20], v9, v[5:6]
	v_and_b32_e32 v5, 7, v19
; %bb.330:                              ;   in Loop: Header=BB167_282 Depth=1
	s_or_b32 exec_lo, exec_lo, s29
	v_lshlrev_b32_e32 v9, 16, v54
	v_lshlrev_b32_e32 v5, 20, v5
	v_lshl_add_u32 v7, v7, 23, 0x3c000000
	v_mov_b32_e32 v19, v6
	v_and_b32_e32 v9, 0x80000000, v9
	v_or3_b32 v20, v5, v9, v7
.LBB167_331:                            ;   in Loop: Header=BB167_282 Depth=1
	s_or_b32 exec_lo, exec_lo, s28
.LBB167_332:                            ;   in Loop: Header=BB167_282 Depth=1
	s_or_b32 exec_lo, exec_lo, s27
.LBB167_333:                            ;   in Loop: Header=BB167_282 Depth=1
	s_or_b32 exec_lo, exec_lo, s26
	v_mov_b32_e32 v23, 0
	v_mov_b32_e32 v21, 0
	v_and_b32_sdwa v5, v54, v41 dst_sel:DWORD dst_unused:UNUSED_PAD src0_sel:WORD_1 src1_sel:DWORD
	v_mov_b32_e32 v24, 0
	v_mov_b32_e32 v22, 0
	s_mov_b32 s26, exec_lo
	v_cmpx_ne_u16_e32 0, v5
	s_cbranch_execz .LBB167_341
; %bb.334:                              ;   in Loop: Header=BB167_282 Depth=1
	v_bfrev_b32_e32 v21, 1
	v_mov_b32_e32 v22, 0
	s_mov_b32 s27, exec_lo
	v_cmpx_ne_u16_e32 0x80, v5
	s_cbranch_execz .LBB167_340
; %bb.335:                              ;   in Loop: Header=BB167_282 Depth=1
	v_mov_b32_e32 v21, 0x7f800001
	v_bfe_u32 v9, v54, 16, 7
	v_mov_b32_e32 v22, 0
	s_mov_b32 s28, exec_lo
	v_cmpx_ne_u32_e32 0x7f, v9
	s_cbranch_execz .LBB167_339
; %bb.336:                              ;   in Loop: Header=BB167_282 Depth=1
	v_and_b32_sdwa v5, v54, v42 dst_sel:DWORD dst_unused:UNUSED_PAD src0_sel:WORD_1 src1_sel:DWORD
	v_lshrrev_b32_e32 v7, 3, v9
	s_mov_b32 s29, exec_lo
	v_cmpx_gt_u32_e32 8, v9
; %bb.337:                              ;   in Loop: Header=BB167_282 Depth=1
	v_ffbh_u32_e32 v7, v5
	v_min_u32_e32 v7, 32, v7
	v_subrev_nc_u32_e32 v9, 28, v7
	v_sub_nc_u32_e32 v7, 29, v7
	v_lshlrev_b64 v[21:22], v9, v[5:6]
	v_and_b32_e32 v5, 7, v21
; %bb.338:                              ;   in Loop: Header=BB167_282 Depth=1
	s_or_b32 exec_lo, exec_lo, s29
	v_lshlrev_b32_sdwa v9, v43, v54 dst_sel:DWORD dst_unused:UNUSED_PAD src0_sel:DWORD src1_sel:WORD_1
	v_lshlrev_b32_e32 v5, 20, v5
	v_lshl_add_u32 v7, v7, 23, 0x3c000000
	v_and_b32_e32 v9, 0x80000000, v9
	v_or3_b32 v5, v5, v9, v7
	v_mov_b32_e32 v22, v6
	v_mov_b32_e32 v21, v5
.LBB167_339:                            ;   in Loop: Header=BB167_282 Depth=1
	s_or_b32 exec_lo, exec_lo, s28
.LBB167_340:                            ;   in Loop: Header=BB167_282 Depth=1
	s_or_b32 exec_lo, exec_lo, s27
.LBB167_341:                            ;   in Loop: Header=BB167_282 Depth=1
	s_or_b32 exec_lo, exec_lo, s26
	s_mov_b32 s26, exec_lo
	v_cmpx_lt_u32_e32 0xffffff, v54
	s_cbranch_execz .LBB167_349
; %bb.342:                              ;   in Loop: Header=BB167_282 Depth=1
	v_mov_b32_e32 v7, v6
	v_mov_b32_e32 v24, v8
	v_cmp_ne_u32_sdwa s1, v54, v37 src0_sel:BYTE_3 src1_sel:DWORD
	v_mov_b32_e32 v23, v7
	s_and_saveexec_b32 s27, s1
	s_cbranch_execz .LBB167_348
; %bb.343:                              ;   in Loop: Header=BB167_282 Depth=1
	v_mov_b32_e32 v9, v6
	v_mov_b32_e32 v24, v10
	v_bfe_u32 v55, v54, 24, 7
	s_mov_b32 s28, exec_lo
	v_mov_b32_e32 v23, v9
	v_cmpx_ne_u32_e32 0x7f, v55
	s_cbranch_execz .LBB167_347
; %bb.344:                              ;   in Loop: Header=BB167_282 Depth=1
	v_and_b32_sdwa v5, v54, v42 dst_sel:DWORD dst_unused:UNUSED_PAD src0_sel:BYTE_3 src1_sel:DWORD
	v_lshrrev_b32_e32 v7, 3, v55
	s_mov_b32 s29, exec_lo
	v_cmpx_gt_u32_e32 8, v55
; %bb.345:                              ;   in Loop: Header=BB167_282 Depth=1
	v_ffbh_u32_e32 v7, v5
	v_min_u32_e32 v7, 32, v7
	v_subrev_nc_u32_e32 v9, 28, v7
	v_sub_nc_u32_e32 v7, 29, v7
	v_lshlrev_b64 v[23:24], v9, v[5:6]
	v_and_b32_e32 v5, 7, v23
; %bb.346:                              ;   in Loop: Header=BB167_282 Depth=1
	s_or_b32 exec_lo, exec_lo, s29
	v_lshlrev_b32_sdwa v9, v43, v54 dst_sel:DWORD dst_unused:UNUSED_PAD src0_sel:DWORD src1_sel:BYTE_3
	v_lshlrev_b32_e32 v5, 20, v5
	v_lshl_add_u32 v7, v7, 23, 0x3c000000
	v_mov_b32_e32 v23, v6
	v_and_b32_e32 v9, 0x80000000, v9
	v_or3_b32 v24, v5, v9, v7
.LBB167_347:                            ;   in Loop: Header=BB167_282 Depth=1
	s_or_b32 exec_lo, exec_lo, s28
.LBB167_348:                            ;   in Loop: Header=BB167_282 Depth=1
	s_or_b32 exec_lo, exec_lo, s27
.LBB167_349:                            ;   in Loop: Header=BB167_282 Depth=1
	s_or_b32 exec_lo, exec_lo, s26
	v_or_b32_e32 v5, v20, v18
	v_or_b32_e32 v7, v19, v17
	;; [unrolled: 1-line block ×4, first 2 shown]
	s_mov_b32 s26, s22
	v_mul_f32_e32 v56, s26, v5
	v_mul_f32_e32 v57, s22, v7
	;; [unrolled: 1-line block ×4, first 2 shown]
	s_and_saveexec_b32 s27, s0
	s_cbranch_execz .LBB167_351
; %bb.350:                              ;   in Loop: Header=BB167_282 Depth=1
	v_add_nc_u32_e32 v5, 1, v53
	v_cmp_gt_i32_e64 s1, s33, v53
	v_add_nc_u32_e32 v7, 2, v53
	v_add_nc_u32_e32 v9, 3, v53
	v_cndmask_b32_e64 v57, 0, v57, s1
	v_cmp_gt_i32_e64 s1, s33, v5
	v_cndmask_b32_e64 v56, 0, v56, s1
	v_cmp_gt_i32_e64 s1, s33, v7
	;; [unrolled: 2-line block ×3, first 2 shown]
	v_cndmask_b32_e64 v54, 0, v54, s1
.LBB167_351:                            ;   in Loop: Header=BB167_282 Depth=1
	s_or_b32 exec_lo, exec_lo, s27
	global_load_dword v58, v[15:16], off offset:256
	v_mov_b32_e32 v19, 0
	v_mov_b32_e32 v17, 0
	;; [unrolled: 1-line block ×4, first 2 shown]
	s_waitcnt vmcnt(0)
	v_cmp_ne_u16_sdwa s1, v58, v6 src0_sel:BYTE_0 src1_sel:DWORD
	s_and_saveexec_b32 s27, s1
	s_cbranch_execz .LBB167_359
; %bb.352:                              ;   in Loop: Header=BB167_282 Depth=1
	v_bfrev_b32_e32 v17, 1
	v_mov_b32_e32 v18, 0
	v_cmp_ne_u16_sdwa s1, v58, v37 src0_sel:BYTE_0 src1_sel:DWORD
	s_and_saveexec_b32 s28, s1
	s_cbranch_execz .LBB167_358
; %bb.353:                              ;   in Loop: Header=BB167_282 Depth=1
	v_mov_b32_e32 v17, 0x7f800001
	v_and_b32_e32 v9, 0x7f, v58
	v_mov_b32_e32 v18, 0
	s_mov_b32 s29, exec_lo
	v_cmpx_ne_u32_e32 0x7f, v9
	s_cbranch_execz .LBB167_357
; %bb.354:                              ;   in Loop: Header=BB167_282 Depth=1
	v_and_b32_e32 v5, 7, v58
	v_lshrrev_b32_e32 v7, 3, v9
	s_mov_b32 s30, exec_lo
	v_cmpx_gt_u32_e32 8, v9
; %bb.355:                              ;   in Loop: Header=BB167_282 Depth=1
	v_ffbh_u32_e32 v7, v5
	v_min_u32_e32 v7, 32, v7
	v_subrev_nc_u32_e32 v9, 28, v7
	v_sub_nc_u32_e32 v7, 29, v7
	v_lshlrev_b64 v[17:18], v9, v[5:6]
	v_and_b32_e32 v5, 7, v17
; %bb.356:                              ;   in Loop: Header=BB167_282 Depth=1
	s_or_b32 exec_lo, exec_lo, s30
	v_lshlrev_b32_e32 v9, 24, v58
	v_lshlrev_b32_e32 v5, 20, v5
	v_lshl_add_u32 v7, v7, 23, 0x3c000000
	v_and_b32_e32 v9, 0x80000000, v9
	v_or3_b32 v5, v5, v9, v7
	v_mov_b32_e32 v18, v6
	v_mov_b32_e32 v17, v5
.LBB167_357:                            ;   in Loop: Header=BB167_282 Depth=1
	s_or_b32 exec_lo, exec_lo, s29
.LBB167_358:                            ;   in Loop: Header=BB167_282 Depth=1
	s_or_b32 exec_lo, exec_lo, s28
.LBB167_359:                            ;   in Loop: Header=BB167_282 Depth=1
	s_or_b32 exec_lo, exec_lo, s27
	v_cmp_ne_u16_sdwa s1, v58, v6 src0_sel:BYTE_1 src1_sel:DWORD
	s_and_saveexec_b32 s27, s1
	s_cbranch_execz .LBB167_367
; %bb.360:                              ;   in Loop: Header=BB167_282 Depth=1
	v_mov_b32_e32 v7, v6
	v_mov_b32_e32 v20, v8
	v_cmp_ne_u16_sdwa s1, v58, v37 src0_sel:BYTE_1 src1_sel:DWORD
	v_mov_b32_e32 v19, v7
	s_and_saveexec_b32 s28, s1
	s_cbranch_execz .LBB167_366
; %bb.361:                              ;   in Loop: Header=BB167_282 Depth=1
	v_and_b32_sdwa v5, v38, v58 dst_sel:DWORD dst_unused:UNUSED_PAD src0_sel:DWORD src1_sel:BYTE_1
	v_mov_b32_e32 v9, v6
	v_mov_b32_e32 v20, v10
	s_mov_b32 s29, exec_lo
	v_and_b32_e32 v21, 0x7f, v5
	v_mov_b32_e32 v19, v9
	v_cmpx_ne_u32_e32 0x7f, v21
	s_cbranch_execz .LBB167_365
; %bb.362:                              ;   in Loop: Header=BB167_282 Depth=1
	v_and_b32_e32 v5, 7, v5
	v_lshrrev_b32_e32 v7, 3, v21
	s_mov_b32 s30, exec_lo
	v_cmpx_gt_u32_e32 8, v21
; %bb.363:                              ;   in Loop: Header=BB167_282 Depth=1
	v_ffbh_u32_e32 v7, v5
	v_min_u32_e32 v7, 32, v7
	v_subrev_nc_u32_e32 v9, 28, v7
	v_sub_nc_u32_e32 v7, 29, v7
	v_lshlrev_b64 v[19:20], v9, v[5:6]
	v_and_b32_e32 v5, 7, v19
; %bb.364:                              ;   in Loop: Header=BB167_282 Depth=1
	s_or_b32 exec_lo, exec_lo, s30
	v_lshlrev_b32_e32 v9, 16, v58
	v_lshlrev_b32_e32 v5, 20, v5
	v_lshl_add_u32 v7, v7, 23, 0x3c000000
	v_mov_b32_e32 v19, v6
	v_and_b32_e32 v9, 0x80000000, v9
	v_or3_b32 v20, v5, v9, v7
.LBB167_365:                            ;   in Loop: Header=BB167_282 Depth=1
	s_or_b32 exec_lo, exec_lo, s29
.LBB167_366:                            ;   in Loop: Header=BB167_282 Depth=1
	s_or_b32 exec_lo, exec_lo, s28
.LBB167_367:                            ;   in Loop: Header=BB167_282 Depth=1
	s_or_b32 exec_lo, exec_lo, s27
	v_mov_b32_e32 v23, 0
	v_mov_b32_e32 v21, 0
	v_and_b32_sdwa v5, v58, v41 dst_sel:DWORD dst_unused:UNUSED_PAD src0_sel:WORD_1 src1_sel:DWORD
	v_mov_b32_e32 v24, 0
	v_mov_b32_e32 v22, 0
	s_mov_b32 s27, exec_lo
	v_cmpx_ne_u16_e32 0, v5
	s_cbranch_execz .LBB167_375
; %bb.368:                              ;   in Loop: Header=BB167_282 Depth=1
	v_bfrev_b32_e32 v21, 1
	v_mov_b32_e32 v22, 0
	s_mov_b32 s28, exec_lo
	v_cmpx_ne_u16_e32 0x80, v5
	s_cbranch_execz .LBB167_374
; %bb.369:                              ;   in Loop: Header=BB167_282 Depth=1
	v_mov_b32_e32 v21, 0x7f800001
	v_bfe_u32 v9, v58, 16, 7
	v_mov_b32_e32 v22, 0
	s_mov_b32 s29, exec_lo
	v_cmpx_ne_u32_e32 0x7f, v9
	s_cbranch_execz .LBB167_373
; %bb.370:                              ;   in Loop: Header=BB167_282 Depth=1
	v_and_b32_sdwa v5, v58, v42 dst_sel:DWORD dst_unused:UNUSED_PAD src0_sel:WORD_1 src1_sel:DWORD
	v_lshrrev_b32_e32 v7, 3, v9
	s_mov_b32 s30, exec_lo
	v_cmpx_gt_u32_e32 8, v9
; %bb.371:                              ;   in Loop: Header=BB167_282 Depth=1
	v_ffbh_u32_e32 v7, v5
	v_min_u32_e32 v7, 32, v7
	v_subrev_nc_u32_e32 v9, 28, v7
	v_sub_nc_u32_e32 v7, 29, v7
	v_lshlrev_b64 v[21:22], v9, v[5:6]
	v_and_b32_e32 v5, 7, v21
; %bb.372:                              ;   in Loop: Header=BB167_282 Depth=1
	s_or_b32 exec_lo, exec_lo, s30
	v_lshlrev_b32_sdwa v9, v43, v58 dst_sel:DWORD dst_unused:UNUSED_PAD src0_sel:DWORD src1_sel:WORD_1
	v_lshlrev_b32_e32 v5, 20, v5
	v_lshl_add_u32 v7, v7, 23, 0x3c000000
	v_and_b32_e32 v9, 0x80000000, v9
	v_or3_b32 v5, v5, v9, v7
	v_mov_b32_e32 v22, v6
	v_mov_b32_e32 v21, v5
.LBB167_373:                            ;   in Loop: Header=BB167_282 Depth=1
	s_or_b32 exec_lo, exec_lo, s29
.LBB167_374:                            ;   in Loop: Header=BB167_282 Depth=1
	s_or_b32 exec_lo, exec_lo, s28
.LBB167_375:                            ;   in Loop: Header=BB167_282 Depth=1
	s_or_b32 exec_lo, exec_lo, s27
	s_mov_b32 s27, exec_lo
	v_cmpx_lt_u32_e32 0xffffff, v58
	s_cbranch_execz .LBB167_383
; %bb.376:                              ;   in Loop: Header=BB167_282 Depth=1
	v_mov_b32_e32 v7, v6
	v_mov_b32_e32 v24, v8
	v_cmp_ne_u32_sdwa s1, v58, v37 src0_sel:BYTE_3 src1_sel:DWORD
	v_mov_b32_e32 v23, v7
	s_and_saveexec_b32 s28, s1
	s_cbranch_execz .LBB167_382
; %bb.377:                              ;   in Loop: Header=BB167_282 Depth=1
	v_mov_b32_e32 v9, v6
	v_mov_b32_e32 v24, v10
	v_bfe_u32 v59, v58, 24, 7
	s_mov_b32 s29, exec_lo
	v_mov_b32_e32 v23, v9
	v_cmpx_ne_u32_e32 0x7f, v59
	s_cbranch_execz .LBB167_381
; %bb.378:                              ;   in Loop: Header=BB167_282 Depth=1
	v_and_b32_sdwa v5, v58, v42 dst_sel:DWORD dst_unused:UNUSED_PAD src0_sel:BYTE_3 src1_sel:DWORD
	v_lshrrev_b32_e32 v7, 3, v59
	s_mov_b32 s30, exec_lo
	v_cmpx_gt_u32_e32 8, v59
; %bb.379:                              ;   in Loop: Header=BB167_282 Depth=1
	v_ffbh_u32_e32 v7, v5
	v_min_u32_e32 v7, 32, v7
	v_subrev_nc_u32_e32 v9, 28, v7
	v_sub_nc_u32_e32 v7, 29, v7
	v_lshlrev_b64 v[23:24], v9, v[5:6]
	v_and_b32_e32 v5, 7, v23
; %bb.380:                              ;   in Loop: Header=BB167_282 Depth=1
	s_or_b32 exec_lo, exec_lo, s30
	v_lshlrev_b32_sdwa v9, v43, v58 dst_sel:DWORD dst_unused:UNUSED_PAD src0_sel:DWORD src1_sel:BYTE_3
	v_lshlrev_b32_e32 v5, 20, v5
	v_lshl_add_u32 v7, v7, 23, 0x3c000000
	v_mov_b32_e32 v23, v6
	v_and_b32_e32 v9, 0x80000000, v9
	v_or3_b32 v24, v5, v9, v7
.LBB167_381:                            ;   in Loop: Header=BB167_282 Depth=1
	s_or_b32 exec_lo, exec_lo, s29
.LBB167_382:                            ;   in Loop: Header=BB167_282 Depth=1
	s_or_b32 exec_lo, exec_lo, s28
.LBB167_383:                            ;   in Loop: Header=BB167_282 Depth=1
	s_or_b32 exec_lo, exec_lo, s27
	v_or_b32_e32 v5, v20, v18
	v_or_b32_e32 v7, v19, v17
	;; [unrolled: 1-line block ×4, first 2 shown]
	v_mul_f32_e32 v60, s26, v5
	v_mul_f32_e32 v61, s22, v7
	;; [unrolled: 1-line block ×4, first 2 shown]
	s_and_saveexec_b32 s27, s0
	s_cbranch_execz .LBB167_385
; %bb.384:                              ;   in Loop: Header=BB167_282 Depth=1
	v_add_nc_u32_e32 v5, 1, v53
	v_cmp_gt_i32_e64 s1, s33, v53
	v_add_nc_u32_e32 v7, 2, v53
	v_add_nc_u32_e32 v9, 3, v53
	v_cndmask_b32_e64 v61, 0, v61, s1
	v_cmp_gt_i32_e64 s1, s33, v5
	v_cndmask_b32_e64 v60, 0, v60, s1
	v_cmp_gt_i32_e64 s1, s33, v7
	v_cndmask_b32_e64 v59, 0, v59, s1
	v_cmp_gt_i32_e64 s1, s33, v9
	v_cndmask_b32_e64 v58, 0, v58, s1
.LBB167_385:                            ;   in Loop: Header=BB167_282 Depth=1
	s_or_b32 exec_lo, exec_lo, s27
	global_load_dword v62, v[15:16], off offset:384
	v_mov_b32_e32 v19, 0
	v_mov_b32_e32 v17, 0
	;; [unrolled: 1-line block ×4, first 2 shown]
	s_waitcnt vmcnt(0)
	v_cmp_ne_u16_sdwa s1, v62, v6 src0_sel:BYTE_0 src1_sel:DWORD
	s_and_saveexec_b32 s27, s1
	s_cbranch_execz .LBB167_393
; %bb.386:                              ;   in Loop: Header=BB167_282 Depth=1
	v_bfrev_b32_e32 v17, 1
	v_mov_b32_e32 v18, 0
	v_cmp_ne_u16_sdwa s1, v62, v37 src0_sel:BYTE_0 src1_sel:DWORD
	s_and_saveexec_b32 s28, s1
	s_cbranch_execz .LBB167_392
; %bb.387:                              ;   in Loop: Header=BB167_282 Depth=1
	v_mov_b32_e32 v17, 0x7f800001
	v_and_b32_e32 v9, 0x7f, v62
	v_mov_b32_e32 v18, 0
	s_mov_b32 s29, exec_lo
	v_cmpx_ne_u32_e32 0x7f, v9
	s_cbranch_execz .LBB167_391
; %bb.388:                              ;   in Loop: Header=BB167_282 Depth=1
	v_and_b32_e32 v5, 7, v62
	v_lshrrev_b32_e32 v7, 3, v9
	s_mov_b32 s30, exec_lo
	v_cmpx_gt_u32_e32 8, v9
; %bb.389:                              ;   in Loop: Header=BB167_282 Depth=1
	v_ffbh_u32_e32 v7, v5
	v_min_u32_e32 v7, 32, v7
	v_subrev_nc_u32_e32 v9, 28, v7
	v_sub_nc_u32_e32 v7, 29, v7
	v_lshlrev_b64 v[17:18], v9, v[5:6]
	v_and_b32_e32 v5, 7, v17
; %bb.390:                              ;   in Loop: Header=BB167_282 Depth=1
	s_or_b32 exec_lo, exec_lo, s30
	v_lshlrev_b32_e32 v9, 24, v62
	v_lshlrev_b32_e32 v5, 20, v5
	v_lshl_add_u32 v7, v7, 23, 0x3c000000
	v_and_b32_e32 v9, 0x80000000, v9
	v_or3_b32 v5, v5, v9, v7
	v_mov_b32_e32 v18, v6
	v_mov_b32_e32 v17, v5
.LBB167_391:                            ;   in Loop: Header=BB167_282 Depth=1
	s_or_b32 exec_lo, exec_lo, s29
.LBB167_392:                            ;   in Loop: Header=BB167_282 Depth=1
	s_or_b32 exec_lo, exec_lo, s28
.LBB167_393:                            ;   in Loop: Header=BB167_282 Depth=1
	s_or_b32 exec_lo, exec_lo, s27
	v_cmp_ne_u16_sdwa s1, v62, v6 src0_sel:BYTE_1 src1_sel:DWORD
	s_and_saveexec_b32 s27, s1
	s_cbranch_execz .LBB167_401
; %bb.394:                              ;   in Loop: Header=BB167_282 Depth=1
	v_mov_b32_e32 v7, v6
	v_mov_b32_e32 v20, v8
	v_cmp_ne_u16_sdwa s1, v62, v37 src0_sel:BYTE_1 src1_sel:DWORD
	v_mov_b32_e32 v19, v7
	s_and_saveexec_b32 s28, s1
	s_cbranch_execz .LBB167_400
; %bb.395:                              ;   in Loop: Header=BB167_282 Depth=1
	v_and_b32_sdwa v5, v38, v62 dst_sel:DWORD dst_unused:UNUSED_PAD src0_sel:DWORD src1_sel:BYTE_1
	v_mov_b32_e32 v9, v6
	v_mov_b32_e32 v20, v10
	s_mov_b32 s29, exec_lo
	v_and_b32_e32 v21, 0x7f, v5
	v_mov_b32_e32 v19, v9
	v_cmpx_ne_u32_e32 0x7f, v21
	s_cbranch_execz .LBB167_399
; %bb.396:                              ;   in Loop: Header=BB167_282 Depth=1
	v_and_b32_e32 v5, 7, v5
	v_lshrrev_b32_e32 v7, 3, v21
	s_mov_b32 s30, exec_lo
	v_cmpx_gt_u32_e32 8, v21
; %bb.397:                              ;   in Loop: Header=BB167_282 Depth=1
	v_ffbh_u32_e32 v7, v5
	v_min_u32_e32 v7, 32, v7
	v_subrev_nc_u32_e32 v9, 28, v7
	v_sub_nc_u32_e32 v7, 29, v7
	v_lshlrev_b64 v[19:20], v9, v[5:6]
	v_and_b32_e32 v5, 7, v19
; %bb.398:                              ;   in Loop: Header=BB167_282 Depth=1
	s_or_b32 exec_lo, exec_lo, s30
	v_lshlrev_b32_e32 v9, 16, v62
	v_lshlrev_b32_e32 v5, 20, v5
	v_lshl_add_u32 v7, v7, 23, 0x3c000000
	v_mov_b32_e32 v19, v6
	v_and_b32_e32 v9, 0x80000000, v9
	v_or3_b32 v20, v5, v9, v7
.LBB167_399:                            ;   in Loop: Header=BB167_282 Depth=1
	s_or_b32 exec_lo, exec_lo, s29
.LBB167_400:                            ;   in Loop: Header=BB167_282 Depth=1
	s_or_b32 exec_lo, exec_lo, s28
.LBB167_401:                            ;   in Loop: Header=BB167_282 Depth=1
	s_or_b32 exec_lo, exec_lo, s27
	v_mov_b32_e32 v23, 0
	v_mov_b32_e32 v21, 0
	v_and_b32_sdwa v5, v62, v41 dst_sel:DWORD dst_unused:UNUSED_PAD src0_sel:WORD_1 src1_sel:DWORD
	v_mov_b32_e32 v24, 0
	v_mov_b32_e32 v22, 0
	s_mov_b32 s27, exec_lo
	v_cmpx_ne_u16_e32 0, v5
	s_cbranch_execz .LBB167_409
; %bb.402:                              ;   in Loop: Header=BB167_282 Depth=1
	v_bfrev_b32_e32 v21, 1
	v_mov_b32_e32 v22, 0
	s_mov_b32 s28, exec_lo
	v_cmpx_ne_u16_e32 0x80, v5
	s_cbranch_execz .LBB167_408
; %bb.403:                              ;   in Loop: Header=BB167_282 Depth=1
	v_mov_b32_e32 v21, 0x7f800001
	v_bfe_u32 v9, v62, 16, 7
	v_mov_b32_e32 v22, 0
	s_mov_b32 s29, exec_lo
	v_cmpx_ne_u32_e32 0x7f, v9
	s_cbranch_execz .LBB167_407
; %bb.404:                              ;   in Loop: Header=BB167_282 Depth=1
	v_and_b32_sdwa v5, v62, v42 dst_sel:DWORD dst_unused:UNUSED_PAD src0_sel:WORD_1 src1_sel:DWORD
	v_lshrrev_b32_e32 v7, 3, v9
	s_mov_b32 s30, exec_lo
	v_cmpx_gt_u32_e32 8, v9
; %bb.405:                              ;   in Loop: Header=BB167_282 Depth=1
	v_ffbh_u32_e32 v7, v5
	v_min_u32_e32 v7, 32, v7
	v_subrev_nc_u32_e32 v9, 28, v7
	v_sub_nc_u32_e32 v7, 29, v7
	v_lshlrev_b64 v[21:22], v9, v[5:6]
	v_and_b32_e32 v5, 7, v21
; %bb.406:                              ;   in Loop: Header=BB167_282 Depth=1
	s_or_b32 exec_lo, exec_lo, s30
	v_lshlrev_b32_sdwa v9, v43, v62 dst_sel:DWORD dst_unused:UNUSED_PAD src0_sel:DWORD src1_sel:WORD_1
	v_lshlrev_b32_e32 v5, 20, v5
	v_lshl_add_u32 v7, v7, 23, 0x3c000000
	v_and_b32_e32 v9, 0x80000000, v9
	v_or3_b32 v5, v5, v9, v7
	v_mov_b32_e32 v22, v6
	v_mov_b32_e32 v21, v5
.LBB167_407:                            ;   in Loop: Header=BB167_282 Depth=1
	s_or_b32 exec_lo, exec_lo, s29
.LBB167_408:                            ;   in Loop: Header=BB167_282 Depth=1
	s_or_b32 exec_lo, exec_lo, s28
.LBB167_409:                            ;   in Loop: Header=BB167_282 Depth=1
	s_or_b32 exec_lo, exec_lo, s27
	s_mov_b32 s27, exec_lo
	v_cmpx_lt_u32_e32 0xffffff, v62
	s_cbranch_execz .LBB167_417
; %bb.410:                              ;   in Loop: Header=BB167_282 Depth=1
	v_mov_b32_e32 v7, v6
	v_mov_b32_e32 v24, v8
	v_cmp_ne_u32_sdwa s1, v62, v37 src0_sel:BYTE_3 src1_sel:DWORD
	v_mov_b32_e32 v23, v7
	s_and_saveexec_b32 s28, s1
	s_cbranch_execz .LBB167_416
; %bb.411:                              ;   in Loop: Header=BB167_282 Depth=1
	v_mov_b32_e32 v9, v6
	v_mov_b32_e32 v24, v10
	v_bfe_u32 v63, v62, 24, 7
	s_mov_b32 s29, exec_lo
	v_mov_b32_e32 v23, v9
	v_cmpx_ne_u32_e32 0x7f, v63
	s_cbranch_execz .LBB167_415
; %bb.412:                              ;   in Loop: Header=BB167_282 Depth=1
	v_and_b32_sdwa v5, v62, v42 dst_sel:DWORD dst_unused:UNUSED_PAD src0_sel:BYTE_3 src1_sel:DWORD
	v_lshrrev_b32_e32 v7, 3, v63
	s_mov_b32 s30, exec_lo
	v_cmpx_gt_u32_e32 8, v63
; %bb.413:                              ;   in Loop: Header=BB167_282 Depth=1
	v_ffbh_u32_e32 v7, v5
	v_min_u32_e32 v7, 32, v7
	v_subrev_nc_u32_e32 v9, 28, v7
	v_sub_nc_u32_e32 v7, 29, v7
	v_lshlrev_b64 v[23:24], v9, v[5:6]
	v_and_b32_e32 v5, 7, v23
; %bb.414:                              ;   in Loop: Header=BB167_282 Depth=1
	s_or_b32 exec_lo, exec_lo, s30
	v_lshlrev_b32_sdwa v9, v43, v62 dst_sel:DWORD dst_unused:UNUSED_PAD src0_sel:DWORD src1_sel:BYTE_3
	v_lshlrev_b32_e32 v5, 20, v5
	v_lshl_add_u32 v7, v7, 23, 0x3c000000
	v_mov_b32_e32 v23, v6
	v_and_b32_e32 v9, 0x80000000, v9
	v_or3_b32 v24, v5, v9, v7
.LBB167_415:                            ;   in Loop: Header=BB167_282 Depth=1
	s_or_b32 exec_lo, exec_lo, s29
.LBB167_416:                            ;   in Loop: Header=BB167_282 Depth=1
	s_or_b32 exec_lo, exec_lo, s28
.LBB167_417:                            ;   in Loop: Header=BB167_282 Depth=1
	s_or_b32 exec_lo, exec_lo, s27
	v_or_b32_e32 v5, v20, v18
	v_or_b32_e32 v7, v19, v17
	;; [unrolled: 1-line block ×4, first 2 shown]
	v_mul_f32_e32 v64, s26, v5
	v_mul_f32_e32 v65, s22, v7
	;; [unrolled: 1-line block ×4, first 2 shown]
	s_and_saveexec_b32 s27, s0
	s_cbranch_execz .LBB167_419
; %bb.418:                              ;   in Loop: Header=BB167_282 Depth=1
	v_add_nc_u32_e32 v5, 1, v53
	v_cmp_gt_i32_e64 s1, s33, v53
	v_add_nc_u32_e32 v7, 2, v53
	v_add_nc_u32_e32 v9, 3, v53
	v_cndmask_b32_e64 v65, 0, v65, s1
	v_cmp_gt_i32_e64 s1, s33, v5
	v_cndmask_b32_e64 v64, 0, v64, s1
	v_cmp_gt_i32_e64 s1, s33, v7
	;; [unrolled: 2-line block ×3, first 2 shown]
	v_cndmask_b32_e64 v62, 0, v62, s1
.LBB167_419:                            ;   in Loop: Header=BB167_282 Depth=1
	s_or_b32 exec_lo, exec_lo, s27
	global_load_dword v66, v[15:16], off offset:512
	v_mov_b32_e32 v19, 0
	v_mov_b32_e32 v17, 0
	v_mov_b32_e32 v20, 0
	v_mov_b32_e32 v18, 0
	s_waitcnt vmcnt(0)
	v_cmp_ne_u16_sdwa s1, v66, v6 src0_sel:BYTE_0 src1_sel:DWORD
	s_and_saveexec_b32 s27, s1
	s_cbranch_execz .LBB167_427
; %bb.420:                              ;   in Loop: Header=BB167_282 Depth=1
	v_bfrev_b32_e32 v17, 1
	v_mov_b32_e32 v18, 0
	v_cmp_ne_u16_sdwa s1, v66, v37 src0_sel:BYTE_0 src1_sel:DWORD
	s_and_saveexec_b32 s28, s1
	s_cbranch_execz .LBB167_426
; %bb.421:                              ;   in Loop: Header=BB167_282 Depth=1
	v_mov_b32_e32 v17, 0x7f800001
	v_and_b32_e32 v9, 0x7f, v66
	v_mov_b32_e32 v18, 0
	s_mov_b32 s29, exec_lo
	v_cmpx_ne_u32_e32 0x7f, v9
	s_cbranch_execz .LBB167_425
; %bb.422:                              ;   in Loop: Header=BB167_282 Depth=1
	v_and_b32_e32 v5, 7, v66
	v_lshrrev_b32_e32 v7, 3, v9
	s_mov_b32 s30, exec_lo
	v_cmpx_gt_u32_e32 8, v9
; %bb.423:                              ;   in Loop: Header=BB167_282 Depth=1
	v_ffbh_u32_e32 v7, v5
	v_min_u32_e32 v7, 32, v7
	v_subrev_nc_u32_e32 v9, 28, v7
	v_sub_nc_u32_e32 v7, 29, v7
	v_lshlrev_b64 v[17:18], v9, v[5:6]
	v_and_b32_e32 v5, 7, v17
; %bb.424:                              ;   in Loop: Header=BB167_282 Depth=1
	s_or_b32 exec_lo, exec_lo, s30
	v_lshlrev_b32_e32 v9, 24, v66
	v_lshlrev_b32_e32 v5, 20, v5
	v_lshl_add_u32 v7, v7, 23, 0x3c000000
	v_and_b32_e32 v9, 0x80000000, v9
	v_or3_b32 v5, v5, v9, v7
	v_mov_b32_e32 v18, v6
	v_mov_b32_e32 v17, v5
.LBB167_425:                            ;   in Loop: Header=BB167_282 Depth=1
	s_or_b32 exec_lo, exec_lo, s29
.LBB167_426:                            ;   in Loop: Header=BB167_282 Depth=1
	s_or_b32 exec_lo, exec_lo, s28
.LBB167_427:                            ;   in Loop: Header=BB167_282 Depth=1
	s_or_b32 exec_lo, exec_lo, s27
	v_cmp_ne_u16_sdwa s1, v66, v6 src0_sel:BYTE_1 src1_sel:DWORD
	s_and_saveexec_b32 s27, s1
	s_cbranch_execz .LBB167_435
; %bb.428:                              ;   in Loop: Header=BB167_282 Depth=1
	v_mov_b32_e32 v7, v6
	v_mov_b32_e32 v20, v8
	v_cmp_ne_u16_sdwa s1, v66, v37 src0_sel:BYTE_1 src1_sel:DWORD
	v_mov_b32_e32 v19, v7
	s_and_saveexec_b32 s28, s1
	s_cbranch_execz .LBB167_434
; %bb.429:                              ;   in Loop: Header=BB167_282 Depth=1
	v_and_b32_sdwa v5, v38, v66 dst_sel:DWORD dst_unused:UNUSED_PAD src0_sel:DWORD src1_sel:BYTE_1
	v_mov_b32_e32 v9, v6
	v_mov_b32_e32 v20, v10
	s_mov_b32 s29, exec_lo
	v_and_b32_e32 v21, 0x7f, v5
	v_mov_b32_e32 v19, v9
	v_cmpx_ne_u32_e32 0x7f, v21
	s_cbranch_execz .LBB167_433
; %bb.430:                              ;   in Loop: Header=BB167_282 Depth=1
	v_and_b32_e32 v5, 7, v5
	v_lshrrev_b32_e32 v7, 3, v21
	s_mov_b32 s30, exec_lo
	v_cmpx_gt_u32_e32 8, v21
; %bb.431:                              ;   in Loop: Header=BB167_282 Depth=1
	v_ffbh_u32_e32 v7, v5
	v_min_u32_e32 v7, 32, v7
	v_subrev_nc_u32_e32 v9, 28, v7
	v_sub_nc_u32_e32 v7, 29, v7
	v_lshlrev_b64 v[19:20], v9, v[5:6]
	v_and_b32_e32 v5, 7, v19
; %bb.432:                              ;   in Loop: Header=BB167_282 Depth=1
	s_or_b32 exec_lo, exec_lo, s30
	v_lshlrev_b32_e32 v9, 16, v66
	v_lshlrev_b32_e32 v5, 20, v5
	v_lshl_add_u32 v7, v7, 23, 0x3c000000
	v_mov_b32_e32 v19, v6
	v_and_b32_e32 v9, 0x80000000, v9
	v_or3_b32 v20, v5, v9, v7
.LBB167_433:                            ;   in Loop: Header=BB167_282 Depth=1
	s_or_b32 exec_lo, exec_lo, s29
.LBB167_434:                            ;   in Loop: Header=BB167_282 Depth=1
	s_or_b32 exec_lo, exec_lo, s28
.LBB167_435:                            ;   in Loop: Header=BB167_282 Depth=1
	s_or_b32 exec_lo, exec_lo, s27
	v_mov_b32_e32 v23, 0
	v_mov_b32_e32 v21, 0
	v_and_b32_sdwa v5, v66, v41 dst_sel:DWORD dst_unused:UNUSED_PAD src0_sel:WORD_1 src1_sel:DWORD
	v_mov_b32_e32 v24, 0
	v_mov_b32_e32 v22, 0
	s_mov_b32 s27, exec_lo
	v_cmpx_ne_u16_e32 0, v5
	s_cbranch_execz .LBB167_443
; %bb.436:                              ;   in Loop: Header=BB167_282 Depth=1
	v_bfrev_b32_e32 v21, 1
	v_mov_b32_e32 v22, 0
	s_mov_b32 s28, exec_lo
	v_cmpx_ne_u16_e32 0x80, v5
	s_cbranch_execz .LBB167_442
; %bb.437:                              ;   in Loop: Header=BB167_282 Depth=1
	v_mov_b32_e32 v21, 0x7f800001
	v_bfe_u32 v9, v66, 16, 7
	v_mov_b32_e32 v22, 0
	s_mov_b32 s29, exec_lo
	v_cmpx_ne_u32_e32 0x7f, v9
	s_cbranch_execz .LBB167_441
; %bb.438:                              ;   in Loop: Header=BB167_282 Depth=1
	v_and_b32_sdwa v5, v66, v42 dst_sel:DWORD dst_unused:UNUSED_PAD src0_sel:WORD_1 src1_sel:DWORD
	v_lshrrev_b32_e32 v7, 3, v9
	s_mov_b32 s30, exec_lo
	v_cmpx_gt_u32_e32 8, v9
; %bb.439:                              ;   in Loop: Header=BB167_282 Depth=1
	v_ffbh_u32_e32 v7, v5
	v_min_u32_e32 v7, 32, v7
	v_subrev_nc_u32_e32 v9, 28, v7
	v_sub_nc_u32_e32 v7, 29, v7
	v_lshlrev_b64 v[21:22], v9, v[5:6]
	v_and_b32_e32 v5, 7, v21
; %bb.440:                              ;   in Loop: Header=BB167_282 Depth=1
	s_or_b32 exec_lo, exec_lo, s30
	v_lshlrev_b32_sdwa v9, v43, v66 dst_sel:DWORD dst_unused:UNUSED_PAD src0_sel:DWORD src1_sel:WORD_1
	v_lshlrev_b32_e32 v5, 20, v5
	v_lshl_add_u32 v7, v7, 23, 0x3c000000
	v_and_b32_e32 v9, 0x80000000, v9
	v_or3_b32 v5, v5, v9, v7
	v_mov_b32_e32 v22, v6
	v_mov_b32_e32 v21, v5
.LBB167_441:                            ;   in Loop: Header=BB167_282 Depth=1
	s_or_b32 exec_lo, exec_lo, s29
.LBB167_442:                            ;   in Loop: Header=BB167_282 Depth=1
	s_or_b32 exec_lo, exec_lo, s28
.LBB167_443:                            ;   in Loop: Header=BB167_282 Depth=1
	s_or_b32 exec_lo, exec_lo, s27
	s_mov_b32 s27, exec_lo
	v_cmpx_lt_u32_e32 0xffffff, v66
	s_cbranch_execz .LBB167_451
; %bb.444:                              ;   in Loop: Header=BB167_282 Depth=1
	v_mov_b32_e32 v7, v6
	v_mov_b32_e32 v24, v8
	v_cmp_ne_u32_sdwa s1, v66, v37 src0_sel:BYTE_3 src1_sel:DWORD
	v_mov_b32_e32 v23, v7
	s_and_saveexec_b32 s28, s1
	s_cbranch_execz .LBB167_450
; %bb.445:                              ;   in Loop: Header=BB167_282 Depth=1
	v_mov_b32_e32 v9, v6
	v_mov_b32_e32 v24, v10
	v_bfe_u32 v67, v66, 24, 7
	s_mov_b32 s29, exec_lo
	v_mov_b32_e32 v23, v9
	v_cmpx_ne_u32_e32 0x7f, v67
	s_cbranch_execz .LBB167_449
; %bb.446:                              ;   in Loop: Header=BB167_282 Depth=1
	v_and_b32_sdwa v5, v66, v42 dst_sel:DWORD dst_unused:UNUSED_PAD src0_sel:BYTE_3 src1_sel:DWORD
	v_lshrrev_b32_e32 v7, 3, v67
	s_mov_b32 s30, exec_lo
	v_cmpx_gt_u32_e32 8, v67
; %bb.447:                              ;   in Loop: Header=BB167_282 Depth=1
	v_ffbh_u32_e32 v7, v5
	v_min_u32_e32 v7, 32, v7
	v_subrev_nc_u32_e32 v9, 28, v7
	v_sub_nc_u32_e32 v7, 29, v7
	v_lshlrev_b64 v[23:24], v9, v[5:6]
	v_and_b32_e32 v5, 7, v23
; %bb.448:                              ;   in Loop: Header=BB167_282 Depth=1
	s_or_b32 exec_lo, exec_lo, s30
	v_lshlrev_b32_sdwa v9, v43, v66 dst_sel:DWORD dst_unused:UNUSED_PAD src0_sel:DWORD src1_sel:BYTE_3
	v_lshlrev_b32_e32 v5, 20, v5
	v_lshl_add_u32 v7, v7, 23, 0x3c000000
	v_mov_b32_e32 v23, v6
	v_and_b32_e32 v9, 0x80000000, v9
	v_or3_b32 v24, v5, v9, v7
.LBB167_449:                            ;   in Loop: Header=BB167_282 Depth=1
	s_or_b32 exec_lo, exec_lo, s29
.LBB167_450:                            ;   in Loop: Header=BB167_282 Depth=1
	s_or_b32 exec_lo, exec_lo, s28
.LBB167_451:                            ;   in Loop: Header=BB167_282 Depth=1
	s_or_b32 exec_lo, exec_lo, s27
	v_or_b32_e32 v5, v20, v18
	v_or_b32_e32 v7, v19, v17
	;; [unrolled: 1-line block ×4, first 2 shown]
	v_mul_f32_e32 v68, s26, v5
	v_mul_f32_e32 v69, s22, v7
	;; [unrolled: 1-line block ×4, first 2 shown]
	s_and_saveexec_b32 s27, s0
	s_cbranch_execz .LBB167_453
; %bb.452:                              ;   in Loop: Header=BB167_282 Depth=1
	v_add_nc_u32_e32 v5, 1, v53
	v_cmp_gt_i32_e64 s1, s33, v53
	v_add_nc_u32_e32 v7, 2, v53
	v_add_nc_u32_e32 v9, 3, v53
	v_cndmask_b32_e64 v69, 0, v69, s1
	v_cmp_gt_i32_e64 s1, s33, v5
	v_cndmask_b32_e64 v68, 0, v68, s1
	v_cmp_gt_i32_e64 s1, s33, v7
	;; [unrolled: 2-line block ×3, first 2 shown]
	v_cndmask_b32_e64 v66, 0, v66, s1
.LBB167_453:                            ;   in Loop: Header=BB167_282 Depth=1
	s_or_b32 exec_lo, exec_lo, s27
	global_load_dword v70, v[15:16], off offset:640
	v_mov_b32_e32 v19, 0
	v_mov_b32_e32 v17, 0
	;; [unrolled: 1-line block ×4, first 2 shown]
	s_waitcnt vmcnt(0)
	v_cmp_ne_u16_sdwa s1, v70, v6 src0_sel:BYTE_0 src1_sel:DWORD
	s_and_saveexec_b32 s27, s1
	s_cbranch_execz .LBB167_461
; %bb.454:                              ;   in Loop: Header=BB167_282 Depth=1
	v_bfrev_b32_e32 v17, 1
	v_mov_b32_e32 v18, 0
	v_cmp_ne_u16_sdwa s1, v70, v37 src0_sel:BYTE_0 src1_sel:DWORD
	s_and_saveexec_b32 s28, s1
	s_cbranch_execz .LBB167_460
; %bb.455:                              ;   in Loop: Header=BB167_282 Depth=1
	v_mov_b32_e32 v17, 0x7f800001
	v_and_b32_e32 v9, 0x7f, v70
	v_mov_b32_e32 v18, 0
	s_mov_b32 s29, exec_lo
	v_cmpx_ne_u32_e32 0x7f, v9
	s_cbranch_execz .LBB167_459
; %bb.456:                              ;   in Loop: Header=BB167_282 Depth=1
	v_and_b32_e32 v5, 7, v70
	v_lshrrev_b32_e32 v7, 3, v9
	s_mov_b32 s30, exec_lo
	v_cmpx_gt_u32_e32 8, v9
; %bb.457:                              ;   in Loop: Header=BB167_282 Depth=1
	v_ffbh_u32_e32 v7, v5
	v_min_u32_e32 v7, 32, v7
	v_subrev_nc_u32_e32 v9, 28, v7
	v_sub_nc_u32_e32 v7, 29, v7
	v_lshlrev_b64 v[17:18], v9, v[5:6]
	v_and_b32_e32 v5, 7, v17
; %bb.458:                              ;   in Loop: Header=BB167_282 Depth=1
	s_or_b32 exec_lo, exec_lo, s30
	v_lshlrev_b32_e32 v9, 24, v70
	v_lshlrev_b32_e32 v5, 20, v5
	v_lshl_add_u32 v7, v7, 23, 0x3c000000
	v_and_b32_e32 v9, 0x80000000, v9
	v_or3_b32 v5, v5, v9, v7
	v_mov_b32_e32 v18, v6
	v_mov_b32_e32 v17, v5
.LBB167_459:                            ;   in Loop: Header=BB167_282 Depth=1
	s_or_b32 exec_lo, exec_lo, s29
.LBB167_460:                            ;   in Loop: Header=BB167_282 Depth=1
	s_or_b32 exec_lo, exec_lo, s28
.LBB167_461:                            ;   in Loop: Header=BB167_282 Depth=1
	s_or_b32 exec_lo, exec_lo, s27
	v_cmp_ne_u16_sdwa s1, v70, v6 src0_sel:BYTE_1 src1_sel:DWORD
	s_and_saveexec_b32 s27, s1
	s_cbranch_execz .LBB167_469
; %bb.462:                              ;   in Loop: Header=BB167_282 Depth=1
	v_mov_b32_e32 v7, v6
	v_mov_b32_e32 v20, v8
	v_cmp_ne_u16_sdwa s1, v70, v37 src0_sel:BYTE_1 src1_sel:DWORD
	v_mov_b32_e32 v19, v7
	s_and_saveexec_b32 s28, s1
	s_cbranch_execz .LBB167_468
; %bb.463:                              ;   in Loop: Header=BB167_282 Depth=1
	v_and_b32_sdwa v5, v38, v70 dst_sel:DWORD dst_unused:UNUSED_PAD src0_sel:DWORD src1_sel:BYTE_1
	v_mov_b32_e32 v9, v6
	v_mov_b32_e32 v20, v10
	s_mov_b32 s29, exec_lo
	v_and_b32_e32 v21, 0x7f, v5
	v_mov_b32_e32 v19, v9
	v_cmpx_ne_u32_e32 0x7f, v21
	s_cbranch_execz .LBB167_467
; %bb.464:                              ;   in Loop: Header=BB167_282 Depth=1
	v_and_b32_e32 v5, 7, v5
	v_lshrrev_b32_e32 v7, 3, v21
	s_mov_b32 s30, exec_lo
	v_cmpx_gt_u32_e32 8, v21
; %bb.465:                              ;   in Loop: Header=BB167_282 Depth=1
	v_ffbh_u32_e32 v7, v5
	v_min_u32_e32 v7, 32, v7
	v_subrev_nc_u32_e32 v9, 28, v7
	v_sub_nc_u32_e32 v7, 29, v7
	v_lshlrev_b64 v[19:20], v9, v[5:6]
	v_and_b32_e32 v5, 7, v19
; %bb.466:                              ;   in Loop: Header=BB167_282 Depth=1
	s_or_b32 exec_lo, exec_lo, s30
	v_lshlrev_b32_e32 v9, 16, v70
	v_lshlrev_b32_e32 v5, 20, v5
	v_lshl_add_u32 v7, v7, 23, 0x3c000000
	v_mov_b32_e32 v19, v6
	v_and_b32_e32 v9, 0x80000000, v9
	v_or3_b32 v20, v5, v9, v7
.LBB167_467:                            ;   in Loop: Header=BB167_282 Depth=1
	s_or_b32 exec_lo, exec_lo, s29
.LBB167_468:                            ;   in Loop: Header=BB167_282 Depth=1
	s_or_b32 exec_lo, exec_lo, s28
.LBB167_469:                            ;   in Loop: Header=BB167_282 Depth=1
	s_or_b32 exec_lo, exec_lo, s27
	v_mov_b32_e32 v23, 0
	v_mov_b32_e32 v21, 0
	v_and_b32_sdwa v5, v70, v41 dst_sel:DWORD dst_unused:UNUSED_PAD src0_sel:WORD_1 src1_sel:DWORD
	v_mov_b32_e32 v24, 0
	v_mov_b32_e32 v22, 0
	s_mov_b32 s27, exec_lo
	v_cmpx_ne_u16_e32 0, v5
	s_cbranch_execz .LBB167_477
; %bb.470:                              ;   in Loop: Header=BB167_282 Depth=1
	v_bfrev_b32_e32 v21, 1
	v_mov_b32_e32 v22, 0
	s_mov_b32 s28, exec_lo
	v_cmpx_ne_u16_e32 0x80, v5
	s_cbranch_execz .LBB167_476
; %bb.471:                              ;   in Loop: Header=BB167_282 Depth=1
	v_mov_b32_e32 v21, 0x7f800001
	v_bfe_u32 v9, v70, 16, 7
	v_mov_b32_e32 v22, 0
	s_mov_b32 s29, exec_lo
	v_cmpx_ne_u32_e32 0x7f, v9
	s_cbranch_execz .LBB167_475
; %bb.472:                              ;   in Loop: Header=BB167_282 Depth=1
	v_and_b32_sdwa v5, v70, v42 dst_sel:DWORD dst_unused:UNUSED_PAD src0_sel:WORD_1 src1_sel:DWORD
	v_lshrrev_b32_e32 v7, 3, v9
	s_mov_b32 s30, exec_lo
	v_cmpx_gt_u32_e32 8, v9
; %bb.473:                              ;   in Loop: Header=BB167_282 Depth=1
	v_ffbh_u32_e32 v7, v5
	v_min_u32_e32 v7, 32, v7
	v_subrev_nc_u32_e32 v9, 28, v7
	v_sub_nc_u32_e32 v7, 29, v7
	v_lshlrev_b64 v[21:22], v9, v[5:6]
	v_and_b32_e32 v5, 7, v21
; %bb.474:                              ;   in Loop: Header=BB167_282 Depth=1
	s_or_b32 exec_lo, exec_lo, s30
	v_lshlrev_b32_sdwa v9, v43, v70 dst_sel:DWORD dst_unused:UNUSED_PAD src0_sel:DWORD src1_sel:WORD_1
	v_lshlrev_b32_e32 v5, 20, v5
	v_lshl_add_u32 v7, v7, 23, 0x3c000000
	v_and_b32_e32 v9, 0x80000000, v9
	v_or3_b32 v5, v5, v9, v7
	v_mov_b32_e32 v22, v6
	v_mov_b32_e32 v21, v5
.LBB167_475:                            ;   in Loop: Header=BB167_282 Depth=1
	s_or_b32 exec_lo, exec_lo, s29
.LBB167_476:                            ;   in Loop: Header=BB167_282 Depth=1
	s_or_b32 exec_lo, exec_lo, s28
.LBB167_477:                            ;   in Loop: Header=BB167_282 Depth=1
	s_or_b32 exec_lo, exec_lo, s27
	s_mov_b32 s27, exec_lo
	v_cmpx_lt_u32_e32 0xffffff, v70
	s_cbranch_execz .LBB167_485
; %bb.478:                              ;   in Loop: Header=BB167_282 Depth=1
	v_mov_b32_e32 v7, v6
	v_mov_b32_e32 v24, v8
	v_cmp_ne_u32_sdwa s1, v70, v37 src0_sel:BYTE_3 src1_sel:DWORD
	v_mov_b32_e32 v23, v7
	s_and_saveexec_b32 s28, s1
	s_cbranch_execz .LBB167_484
; %bb.479:                              ;   in Loop: Header=BB167_282 Depth=1
	v_mov_b32_e32 v9, v6
	v_mov_b32_e32 v24, v10
	v_bfe_u32 v71, v70, 24, 7
	s_mov_b32 s29, exec_lo
	v_mov_b32_e32 v23, v9
	v_cmpx_ne_u32_e32 0x7f, v71
	s_cbranch_execz .LBB167_483
; %bb.480:                              ;   in Loop: Header=BB167_282 Depth=1
	v_and_b32_sdwa v5, v70, v42 dst_sel:DWORD dst_unused:UNUSED_PAD src0_sel:BYTE_3 src1_sel:DWORD
	v_lshrrev_b32_e32 v7, 3, v71
	s_mov_b32 s30, exec_lo
	v_cmpx_gt_u32_e32 8, v71
; %bb.481:                              ;   in Loop: Header=BB167_282 Depth=1
	v_ffbh_u32_e32 v7, v5
	v_min_u32_e32 v7, 32, v7
	v_subrev_nc_u32_e32 v9, 28, v7
	v_sub_nc_u32_e32 v7, 29, v7
	v_lshlrev_b64 v[23:24], v9, v[5:6]
	v_and_b32_e32 v5, 7, v23
; %bb.482:                              ;   in Loop: Header=BB167_282 Depth=1
	s_or_b32 exec_lo, exec_lo, s30
	v_lshlrev_b32_sdwa v9, v43, v70 dst_sel:DWORD dst_unused:UNUSED_PAD src0_sel:DWORD src1_sel:BYTE_3
	v_lshlrev_b32_e32 v5, 20, v5
	v_lshl_add_u32 v7, v7, 23, 0x3c000000
	v_mov_b32_e32 v23, v6
	v_and_b32_e32 v9, 0x80000000, v9
	v_or3_b32 v24, v5, v9, v7
.LBB167_483:                            ;   in Loop: Header=BB167_282 Depth=1
	s_or_b32 exec_lo, exec_lo, s29
.LBB167_484:                            ;   in Loop: Header=BB167_282 Depth=1
	s_or_b32 exec_lo, exec_lo, s28
.LBB167_485:                            ;   in Loop: Header=BB167_282 Depth=1
	s_or_b32 exec_lo, exec_lo, s27
	v_or_b32_e32 v5, v20, v18
	v_or_b32_e32 v7, v19, v17
	;; [unrolled: 1-line block ×4, first 2 shown]
	v_mul_f32_e32 v70, s26, v5
	v_mul_f32_e32 v71, s22, v7
	;; [unrolled: 1-line block ×4, first 2 shown]
	s_and_saveexec_b32 s27, s0
	s_cbranch_execz .LBB167_487
; %bb.486:                              ;   in Loop: Header=BB167_282 Depth=1
	v_add_nc_u32_e32 v5, 1, v53
	v_cmp_gt_i32_e64 s1, s33, v53
	v_add_nc_u32_e32 v7, 2, v53
	v_add_nc_u32_e32 v9, 3, v53
	v_cndmask_b32_e64 v71, 0, v71, s1
	v_cmp_gt_i32_e64 s1, s33, v5
	v_cndmask_b32_e64 v70, 0, v70, s1
	v_cmp_gt_i32_e64 s1, s33, v7
	v_cndmask_b32_e64 v24, 0, v24, s1
	v_cmp_gt_i32_e64 s1, s33, v9
	v_cndmask_b32_e64 v23, 0, v23, s1
.LBB167_487:                            ;   in Loop: Header=BB167_282 Depth=1
	s_or_b32 exec_lo, exec_lo, s27
	global_load_dword v72, v[15:16], off offset:768
	v_mov_b32_e32 v17, 0
	v_mov_b32_e32 v15, 0
	;; [unrolled: 1-line block ×4, first 2 shown]
	s_waitcnt vmcnt(0)
	v_cmp_ne_u16_sdwa s1, v72, v6 src0_sel:BYTE_0 src1_sel:DWORD
	s_and_saveexec_b32 s27, s1
	s_cbranch_execz .LBB167_495
; %bb.488:                              ;   in Loop: Header=BB167_282 Depth=1
	v_bfrev_b32_e32 v15, 1
	v_mov_b32_e32 v16, 0
	v_cmp_ne_u16_sdwa s1, v72, v37 src0_sel:BYTE_0 src1_sel:DWORD
	s_and_saveexec_b32 s28, s1
	s_cbranch_execz .LBB167_494
; %bb.489:                              ;   in Loop: Header=BB167_282 Depth=1
	v_mov_b32_e32 v15, 0x7f800001
	v_and_b32_e32 v9, 0x7f, v72
	v_mov_b32_e32 v16, 0
	s_mov_b32 s29, exec_lo
	v_cmpx_ne_u32_e32 0x7f, v9
	s_cbranch_execz .LBB167_493
; %bb.490:                              ;   in Loop: Header=BB167_282 Depth=1
	v_and_b32_e32 v5, 7, v72
	v_lshrrev_b32_e32 v7, 3, v9
	s_mov_b32 s30, exec_lo
	v_cmpx_gt_u32_e32 8, v9
; %bb.491:                              ;   in Loop: Header=BB167_282 Depth=1
	v_ffbh_u32_e32 v7, v5
	v_min_u32_e32 v7, 32, v7
	v_subrev_nc_u32_e32 v9, 28, v7
	v_sub_nc_u32_e32 v7, 29, v7
	v_lshlrev_b64 v[15:16], v9, v[5:6]
	v_and_b32_e32 v5, 7, v15
; %bb.492:                              ;   in Loop: Header=BB167_282 Depth=1
	s_or_b32 exec_lo, exec_lo, s30
	v_lshlrev_b32_e32 v9, 24, v72
	v_lshlrev_b32_e32 v5, 20, v5
	v_lshl_add_u32 v7, v7, 23, 0x3c000000
	v_and_b32_e32 v9, 0x80000000, v9
	v_or3_b32 v5, v5, v9, v7
	v_mov_b32_e32 v16, v6
	v_mov_b32_e32 v15, v5
.LBB167_493:                            ;   in Loop: Header=BB167_282 Depth=1
	s_or_b32 exec_lo, exec_lo, s29
.LBB167_494:                            ;   in Loop: Header=BB167_282 Depth=1
	s_or_b32 exec_lo, exec_lo, s28
.LBB167_495:                            ;   in Loop: Header=BB167_282 Depth=1
	s_or_b32 exec_lo, exec_lo, s27
	v_cmp_ne_u16_sdwa s1, v72, v6 src0_sel:BYTE_1 src1_sel:DWORD
	s_and_saveexec_b32 s27, s1
	s_cbranch_execz .LBB167_503
; %bb.496:                              ;   in Loop: Header=BB167_282 Depth=1
	v_mov_b32_e32 v7, v6
	v_mov_b32_e32 v18, v8
	v_cmp_ne_u16_sdwa s1, v72, v37 src0_sel:BYTE_1 src1_sel:DWORD
	v_mov_b32_e32 v17, v7
	s_and_saveexec_b32 s28, s1
	s_cbranch_execz .LBB167_502
; %bb.497:                              ;   in Loop: Header=BB167_282 Depth=1
	v_and_b32_sdwa v5, v38, v72 dst_sel:DWORD dst_unused:UNUSED_PAD src0_sel:DWORD src1_sel:BYTE_1
	v_mov_b32_e32 v9, v6
	v_mov_b32_e32 v18, v10
	s_mov_b32 s29, exec_lo
	v_and_b32_e32 v19, 0x7f, v5
	v_mov_b32_e32 v17, v9
	v_cmpx_ne_u32_e32 0x7f, v19
	s_cbranch_execz .LBB167_501
; %bb.498:                              ;   in Loop: Header=BB167_282 Depth=1
	v_and_b32_e32 v5, 7, v5
	v_lshrrev_b32_e32 v7, 3, v19
	s_mov_b32 s30, exec_lo
	v_cmpx_gt_u32_e32 8, v19
; %bb.499:                              ;   in Loop: Header=BB167_282 Depth=1
	v_ffbh_u32_e32 v7, v5
	v_min_u32_e32 v7, 32, v7
	v_subrev_nc_u32_e32 v9, 28, v7
	v_sub_nc_u32_e32 v7, 29, v7
	v_lshlrev_b64 v[17:18], v9, v[5:6]
	v_and_b32_e32 v5, 7, v17
; %bb.500:                              ;   in Loop: Header=BB167_282 Depth=1
	s_or_b32 exec_lo, exec_lo, s30
	v_lshlrev_b32_e32 v9, 16, v72
	v_lshlrev_b32_e32 v5, 20, v5
	v_lshl_add_u32 v7, v7, 23, 0x3c000000
	v_mov_b32_e32 v17, v6
	v_and_b32_e32 v9, 0x80000000, v9
	v_or3_b32 v18, v5, v9, v7
.LBB167_501:                            ;   in Loop: Header=BB167_282 Depth=1
	s_or_b32 exec_lo, exec_lo, s29
.LBB167_502:                            ;   in Loop: Header=BB167_282 Depth=1
	s_or_b32 exec_lo, exec_lo, s28
.LBB167_503:                            ;   in Loop: Header=BB167_282 Depth=1
	s_or_b32 exec_lo, exec_lo, s27
	v_mov_b32_e32 v21, 0
	v_mov_b32_e32 v19, 0
	v_and_b32_sdwa v5, v72, v41 dst_sel:DWORD dst_unused:UNUSED_PAD src0_sel:WORD_1 src1_sel:DWORD
	v_mov_b32_e32 v22, 0
	v_mov_b32_e32 v20, 0
	s_mov_b32 s27, exec_lo
	v_cmpx_ne_u16_e32 0, v5
	s_cbranch_execz .LBB167_511
; %bb.504:                              ;   in Loop: Header=BB167_282 Depth=1
	v_bfrev_b32_e32 v19, 1
	v_mov_b32_e32 v20, 0
	s_mov_b32 s28, exec_lo
	v_cmpx_ne_u16_e32 0x80, v5
	s_cbranch_execz .LBB167_510
; %bb.505:                              ;   in Loop: Header=BB167_282 Depth=1
	v_mov_b32_e32 v19, 0x7f800001
	v_bfe_u32 v9, v72, 16, 7
	v_mov_b32_e32 v20, 0
	s_mov_b32 s29, exec_lo
	v_cmpx_ne_u32_e32 0x7f, v9
	s_cbranch_execz .LBB167_509
; %bb.506:                              ;   in Loop: Header=BB167_282 Depth=1
	v_and_b32_sdwa v5, v72, v42 dst_sel:DWORD dst_unused:UNUSED_PAD src0_sel:WORD_1 src1_sel:DWORD
	v_lshrrev_b32_e32 v7, 3, v9
	s_mov_b32 s30, exec_lo
	v_cmpx_gt_u32_e32 8, v9
; %bb.507:                              ;   in Loop: Header=BB167_282 Depth=1
	v_ffbh_u32_e32 v7, v5
	v_min_u32_e32 v7, 32, v7
	v_subrev_nc_u32_e32 v9, 28, v7
	v_sub_nc_u32_e32 v7, 29, v7
	v_lshlrev_b64 v[19:20], v9, v[5:6]
	v_and_b32_e32 v5, 7, v19
; %bb.508:                              ;   in Loop: Header=BB167_282 Depth=1
	s_or_b32 exec_lo, exec_lo, s30
	v_lshlrev_b32_sdwa v9, v43, v72 dst_sel:DWORD dst_unused:UNUSED_PAD src0_sel:DWORD src1_sel:WORD_1
	v_lshlrev_b32_e32 v5, 20, v5
	v_lshl_add_u32 v7, v7, 23, 0x3c000000
	v_and_b32_e32 v9, 0x80000000, v9
	v_or3_b32 v5, v5, v9, v7
	v_mov_b32_e32 v20, v6
	v_mov_b32_e32 v19, v5
.LBB167_509:                            ;   in Loop: Header=BB167_282 Depth=1
	s_or_b32 exec_lo, exec_lo, s29
.LBB167_510:                            ;   in Loop: Header=BB167_282 Depth=1
	s_or_b32 exec_lo, exec_lo, s28
.LBB167_511:                            ;   in Loop: Header=BB167_282 Depth=1
	s_or_b32 exec_lo, exec_lo, s27
	s_mov_b32 s27, exec_lo
	v_cmpx_lt_u32_e32 0xffffff, v72
	s_cbranch_execz .LBB167_519
; %bb.512:                              ;   in Loop: Header=BB167_282 Depth=1
	v_mov_b32_e32 v7, v6
	v_mov_b32_e32 v22, v8
	v_cmp_ne_u32_sdwa s1, v72, v37 src0_sel:BYTE_3 src1_sel:DWORD
	v_mov_b32_e32 v21, v7
	s_and_saveexec_b32 s28, s1
	s_cbranch_execz .LBB167_518
; %bb.513:                              ;   in Loop: Header=BB167_282 Depth=1
	v_mov_b32_e32 v9, v6
	v_mov_b32_e32 v22, v10
	v_bfe_u32 v73, v72, 24, 7
	s_mov_b32 s29, exec_lo
	v_mov_b32_e32 v21, v9
	v_cmpx_ne_u32_e32 0x7f, v73
	s_cbranch_execz .LBB167_517
; %bb.514:                              ;   in Loop: Header=BB167_282 Depth=1
	v_and_b32_sdwa v5, v72, v42 dst_sel:DWORD dst_unused:UNUSED_PAD src0_sel:BYTE_3 src1_sel:DWORD
	v_lshrrev_b32_e32 v7, 3, v73
	s_mov_b32 s30, exec_lo
	v_cmpx_gt_u32_e32 8, v73
; %bb.515:                              ;   in Loop: Header=BB167_282 Depth=1
	v_ffbh_u32_e32 v7, v5
	v_min_u32_e32 v7, 32, v7
	v_subrev_nc_u32_e32 v9, 28, v7
	v_sub_nc_u32_e32 v7, 29, v7
	v_lshlrev_b64 v[21:22], v9, v[5:6]
	v_and_b32_e32 v5, 7, v21
; %bb.516:                              ;   in Loop: Header=BB167_282 Depth=1
	s_or_b32 exec_lo, exec_lo, s30
	v_lshlrev_b32_sdwa v9, v43, v72 dst_sel:DWORD dst_unused:UNUSED_PAD src0_sel:DWORD src1_sel:BYTE_3
	v_lshlrev_b32_e32 v5, 20, v5
	v_lshl_add_u32 v7, v7, 23, 0x3c000000
	v_mov_b32_e32 v21, v6
	v_and_b32_e32 v9, 0x80000000, v9
	v_or3_b32 v22, v5, v9, v7
.LBB167_517:                            ;   in Loop: Header=BB167_282 Depth=1
	s_or_b32 exec_lo, exec_lo, s29
.LBB167_518:                            ;   in Loop: Header=BB167_282 Depth=1
	s_or_b32 exec_lo, exec_lo, s28
.LBB167_519:                            ;   in Loop: Header=BB167_282 Depth=1
	s_or_b32 exec_lo, exec_lo, s27
	v_or_b32_e32 v5, v18, v16
	v_or_b32_e32 v7, v17, v15
	;; [unrolled: 1-line block ×4, first 2 shown]
	v_mul_f32_e32 v72, s26, v5
	v_mul_f32_e32 v73, s22, v7
	;; [unrolled: 1-line block ×4, first 2 shown]
	s_and_saveexec_b32 s27, s0
	s_cbranch_execz .LBB167_521
; %bb.520:                              ;   in Loop: Header=BB167_282 Depth=1
	v_add_nc_u32_e32 v5, 1, v53
	v_cmp_gt_i32_e64 s1, s33, v53
	v_add_nc_u32_e32 v7, 2, v53
	v_add_nc_u32_e32 v9, 3, v53
	v_cndmask_b32_e64 v73, 0, v73, s1
	v_cmp_gt_i32_e64 s1, s33, v5
	v_cndmask_b32_e64 v72, 0, v72, s1
	v_cmp_gt_i32_e64 s1, s33, v7
	;; [unrolled: 2-line block ×3, first 2 shown]
	v_cndmask_b32_e64 v21, 0, v21, s1
.LBB167_521:                            ;   in Loop: Header=BB167_282 Depth=1
	s_or_b32 exec_lo, exec_lo, s27
	s_and_saveexec_b32 s27, vcc_lo
	s_cbranch_execz .LBB167_280
; %bb.522:                              ;   in Loop: Header=BB167_282 Depth=1
	v_add_co_u32 v13, s1, v13, v45
	v_add_co_ci_u32_e64 v14, null, 0, v14, s1
	v_mov_b32_e32 v15, 0
	v_mov_b32_e32 v16, 0
	global_load_dword v74, v[13:14], off
	v_mov_b32_e32 v13, 0
	v_mov_b32_e32 v14, 0
	s_waitcnt vmcnt(0)
	v_cmp_ne_u16_sdwa s1, v74, v6 src0_sel:BYTE_0 src1_sel:DWORD
	s_and_saveexec_b32 s28, s1
	s_cbranch_execz .LBB167_530
; %bb.523:                              ;   in Loop: Header=BB167_282 Depth=1
	v_bfrev_b32_e32 v13, 1
	v_mov_b32_e32 v14, 0
	v_cmp_ne_u16_sdwa s1, v74, v37 src0_sel:BYTE_0 src1_sel:DWORD
	s_and_saveexec_b32 s29, s1
	s_cbranch_execz .LBB167_529
; %bb.524:                              ;   in Loop: Header=BB167_282 Depth=1
	v_mov_b32_e32 v13, 0x7f800001
	v_and_b32_e32 v9, 0x7f, v74
	v_mov_b32_e32 v14, 0
	s_mov_b32 s30, exec_lo
	v_cmpx_ne_u32_e32 0x7f, v9
	s_cbranch_execz .LBB167_528
; %bb.525:                              ;   in Loop: Header=BB167_282 Depth=1
	v_and_b32_e32 v5, 7, v74
	v_lshrrev_b32_e32 v7, 3, v9
	s_mov_b32 s31, exec_lo
	v_cmpx_gt_u32_e32 8, v9
; %bb.526:                              ;   in Loop: Header=BB167_282 Depth=1
	v_ffbh_u32_e32 v7, v5
	v_min_u32_e32 v7, 32, v7
	v_subrev_nc_u32_e32 v9, 28, v7
	v_sub_nc_u32_e32 v7, 29, v7
	v_lshlrev_b64 v[13:14], v9, v[5:6]
	v_and_b32_e32 v5, 7, v13
; %bb.527:                              ;   in Loop: Header=BB167_282 Depth=1
	s_or_b32 exec_lo, exec_lo, s31
	v_lshlrev_b32_e32 v9, 24, v74
	v_lshlrev_b32_e32 v5, 20, v5
	v_lshl_add_u32 v7, v7, 23, 0x3c000000
	v_and_b32_e32 v9, 0x80000000, v9
	v_or3_b32 v5, v5, v9, v7
	v_mov_b32_e32 v14, v6
	v_mov_b32_e32 v13, v5
.LBB167_528:                            ;   in Loop: Header=BB167_282 Depth=1
	s_or_b32 exec_lo, exec_lo, s30
.LBB167_529:                            ;   in Loop: Header=BB167_282 Depth=1
	s_or_b32 exec_lo, exec_lo, s29
.LBB167_530:                            ;   in Loop: Header=BB167_282 Depth=1
	s_or_b32 exec_lo, exec_lo, s28
	v_cmp_ne_u16_sdwa s1, v74, v6 src0_sel:BYTE_1 src1_sel:DWORD
	s_and_saveexec_b32 s28, s1
	s_cbranch_execz .LBB167_538
; %bb.531:                              ;   in Loop: Header=BB167_282 Depth=1
	v_mov_b32_e32 v7, v6
	v_mov_b32_e32 v16, v8
	v_cmp_ne_u16_sdwa s1, v74, v37 src0_sel:BYTE_1 src1_sel:DWORD
	v_mov_b32_e32 v15, v7
	s_and_saveexec_b32 s29, s1
	s_cbranch_execz .LBB167_537
; %bb.532:                              ;   in Loop: Header=BB167_282 Depth=1
	v_and_b32_sdwa v5, v38, v74 dst_sel:DWORD dst_unused:UNUSED_PAD src0_sel:DWORD src1_sel:BYTE_1
	v_mov_b32_e32 v9, v6
	v_mov_b32_e32 v16, v10
	s_mov_b32 s30, exec_lo
	v_and_b32_e32 v17, 0x7f, v5
	v_mov_b32_e32 v15, v9
	v_cmpx_ne_u32_e32 0x7f, v17
	s_cbranch_execz .LBB167_536
; %bb.533:                              ;   in Loop: Header=BB167_282 Depth=1
	v_and_b32_e32 v5, 7, v5
	v_lshrrev_b32_e32 v7, 3, v17
	s_mov_b32 s31, exec_lo
	v_cmpx_gt_u32_e32 8, v17
; %bb.534:                              ;   in Loop: Header=BB167_282 Depth=1
	v_ffbh_u32_e32 v7, v5
	v_min_u32_e32 v7, 32, v7
	v_subrev_nc_u32_e32 v9, 28, v7
	v_sub_nc_u32_e32 v7, 29, v7
	v_lshlrev_b64 v[15:16], v9, v[5:6]
	v_and_b32_e32 v5, 7, v15
; %bb.535:                              ;   in Loop: Header=BB167_282 Depth=1
	s_or_b32 exec_lo, exec_lo, s31
	v_lshlrev_b32_e32 v9, 16, v74
	v_lshlrev_b32_e32 v5, 20, v5
	v_lshl_add_u32 v7, v7, 23, 0x3c000000
	v_mov_b32_e32 v15, v6
	v_and_b32_e32 v9, 0x80000000, v9
	v_or3_b32 v16, v5, v9, v7
.LBB167_536:                            ;   in Loop: Header=BB167_282 Depth=1
	s_or_b32 exec_lo, exec_lo, s30
.LBB167_537:                            ;   in Loop: Header=BB167_282 Depth=1
	s_or_b32 exec_lo, exec_lo, s29
.LBB167_538:                            ;   in Loop: Header=BB167_282 Depth=1
	s_or_b32 exec_lo, exec_lo, s28
	v_mov_b32_e32 v19, 0
	v_mov_b32_e32 v17, 0
	v_and_b32_sdwa v5, v74, v41 dst_sel:DWORD dst_unused:UNUSED_PAD src0_sel:WORD_1 src1_sel:DWORD
	v_mov_b32_e32 v20, 0
	v_mov_b32_e32 v18, 0
	s_mov_b32 s28, exec_lo
	v_cmpx_ne_u16_e32 0, v5
	s_cbranch_execz .LBB167_546
; %bb.539:                              ;   in Loop: Header=BB167_282 Depth=1
	v_bfrev_b32_e32 v17, 1
	v_mov_b32_e32 v18, 0
	s_mov_b32 s29, exec_lo
	v_cmpx_ne_u16_e32 0x80, v5
	s_cbranch_execz .LBB167_545
; %bb.540:                              ;   in Loop: Header=BB167_282 Depth=1
	v_mov_b32_e32 v17, 0x7f800001
	v_bfe_u32 v9, v74, 16, 7
	v_mov_b32_e32 v18, 0
	s_mov_b32 s30, exec_lo
	v_cmpx_ne_u32_e32 0x7f, v9
	s_cbranch_execz .LBB167_544
; %bb.541:                              ;   in Loop: Header=BB167_282 Depth=1
	v_and_b32_sdwa v5, v74, v42 dst_sel:DWORD dst_unused:UNUSED_PAD src0_sel:WORD_1 src1_sel:DWORD
	v_lshrrev_b32_e32 v7, 3, v9
	s_mov_b32 s31, exec_lo
	v_cmpx_gt_u32_e32 8, v9
; %bb.542:                              ;   in Loop: Header=BB167_282 Depth=1
	v_ffbh_u32_e32 v7, v5
	v_min_u32_e32 v7, 32, v7
	v_subrev_nc_u32_e32 v9, 28, v7
	v_sub_nc_u32_e32 v7, 29, v7
	v_lshlrev_b64 v[17:18], v9, v[5:6]
	v_and_b32_e32 v5, 7, v17
; %bb.543:                              ;   in Loop: Header=BB167_282 Depth=1
	s_or_b32 exec_lo, exec_lo, s31
	v_lshlrev_b32_sdwa v9, v43, v74 dst_sel:DWORD dst_unused:UNUSED_PAD src0_sel:DWORD src1_sel:WORD_1
	v_lshlrev_b32_e32 v5, 20, v5
	v_lshl_add_u32 v7, v7, 23, 0x3c000000
	v_and_b32_e32 v9, 0x80000000, v9
	v_or3_b32 v5, v5, v9, v7
	v_mov_b32_e32 v18, v6
	v_mov_b32_e32 v17, v5
.LBB167_544:                            ;   in Loop: Header=BB167_282 Depth=1
	s_or_b32 exec_lo, exec_lo, s30
.LBB167_545:                            ;   in Loop: Header=BB167_282 Depth=1
	s_or_b32 exec_lo, exec_lo, s29
.LBB167_546:                            ;   in Loop: Header=BB167_282 Depth=1
	s_or_b32 exec_lo, exec_lo, s28
	s_mov_b32 s28, exec_lo
	v_cmpx_lt_u32_e32 0xffffff, v74
	s_cbranch_execz .LBB167_554
; %bb.547:                              ;   in Loop: Header=BB167_282 Depth=1
	v_mov_b32_e32 v7, v6
	v_mov_b32_e32 v20, v8
	v_cmp_ne_u32_sdwa s1, v74, v37 src0_sel:BYTE_3 src1_sel:DWORD
	v_mov_b32_e32 v19, v7
	s_and_saveexec_b32 s29, s1
	s_cbranch_execz .LBB167_553
; %bb.548:                              ;   in Loop: Header=BB167_282 Depth=1
	v_mov_b32_e32 v9, v6
	v_mov_b32_e32 v20, v10
	v_bfe_u32 v75, v74, 24, 7
	s_mov_b32 s30, exec_lo
	v_mov_b32_e32 v19, v9
	v_cmpx_ne_u32_e32 0x7f, v75
	s_cbranch_execz .LBB167_552
; %bb.549:                              ;   in Loop: Header=BB167_282 Depth=1
	v_and_b32_sdwa v5, v74, v42 dst_sel:DWORD dst_unused:UNUSED_PAD src0_sel:BYTE_3 src1_sel:DWORD
	v_lshrrev_b32_e32 v7, 3, v75
	s_mov_b32 s31, exec_lo
	v_cmpx_gt_u32_e32 8, v75
; %bb.550:                              ;   in Loop: Header=BB167_282 Depth=1
	v_ffbh_u32_e32 v7, v5
	v_min_u32_e32 v7, 32, v7
	v_subrev_nc_u32_e32 v9, 28, v7
	v_sub_nc_u32_e32 v7, 29, v7
	v_lshlrev_b64 v[19:20], v9, v[5:6]
	v_and_b32_e32 v5, 7, v19
; %bb.551:                              ;   in Loop: Header=BB167_282 Depth=1
	s_or_b32 exec_lo, exec_lo, s31
	v_lshlrev_b32_sdwa v9, v43, v74 dst_sel:DWORD dst_unused:UNUSED_PAD src0_sel:DWORD src1_sel:BYTE_3
	v_lshlrev_b32_e32 v5, 20, v5
	v_lshl_add_u32 v7, v7, 23, 0x3c000000
	v_mov_b32_e32 v19, v6
	v_and_b32_e32 v9, 0x80000000, v9
	v_or3_b32 v20, v5, v9, v7
.LBB167_552:                            ;   in Loop: Header=BB167_282 Depth=1
	s_or_b32 exec_lo, exec_lo, s30
.LBB167_553:                            ;   in Loop: Header=BB167_282 Depth=1
	s_or_b32 exec_lo, exec_lo, s29
.LBB167_554:                            ;   in Loop: Header=BB167_282 Depth=1
	s_or_b32 exec_lo, exec_lo, s28
	v_or_b32_e32 v5, v16, v14
	v_or_b32_e32 v7, v15, v13
	;; [unrolled: 1-line block ×4, first 2 shown]
	v_mul_f32_e32 v9, s26, v5
	v_mul_f32_e32 v13, s22, v7
	;; [unrolled: 1-line block ×4, first 2 shown]
	s_and_saveexec_b32 s1, s0
	s_cbranch_execz .LBB167_279
; %bb.555:                              ;   in Loop: Header=BB167_282 Depth=1
	v_add_nc_u32_e32 v14, 1, v53
	v_cmp_gt_i32_e64 s0, s33, v53
	v_add_nc_u32_e32 v15, 2, v53
	v_add_nc_u32_e32 v16, 3, v53
	v_cndmask_b32_e64 v13, 0, v13, s0
	v_cmp_gt_i32_e64 s0, s33, v14
	v_cndmask_b32_e64 v9, 0, v9, s0
	v_cmp_gt_i32_e64 s0, s33, v15
	;; [unrolled: 2-line block ×3, first 2 shown]
	v_cndmask_b32_e64 v5, 0, v5, s0
	s_branch .LBB167_279
.LBB167_556:
	s_or_b32 exec_lo, exec_lo, s17
.LBB167_557:
	s_or_b32 exec_lo, exec_lo, s4
	ds_bpermute_b32 v1, v26, v35
	ds_bpermute_b32 v3, v26, v34
	;; [unrolled: 1-line block ×8, first 2 shown]
	s_movk_i32 s0, 0x1e0
	v_and_b32_e32 v11, 0x3c0, v0
	v_mad_u32_u24 v9, v39, s0, 0x200
	s_mov_b32 s1, exec_lo
	v_cmp_eq_u32_e32 vcc_lo, 0, v27
	s_waitcnt lgkmcnt(0)
	s_barrier
	buffer_gl0_inv
	v_add_f32_e32 v2, v35, v1
	v_add_f32_e32 v3, v34, v3
	;; [unrolled: 1-line block ×8, first 2 shown]
	v_cmpx_eq_u32_e32 64, v11
	s_cbranch_execz .LBB167_562
; %bb.558:
	v_add_nc_u32_e32 v10, 0xfffffc40, v9
	s_and_saveexec_b32 s0, vcc_lo
	s_cbranch_execz .LBB167_560
; %bb.559:
	v_lshl_add_u32 v11, v25, 2, v10
	ds_write2_b32 v11, v2, v3 offset1:16
	ds_write2_b32 v11, v4, v5 offset0:32 offset1:48
	ds_write2_b32 v11, v6, v7 offset0:64 offset1:80
	ds_write_b32 v11, v8 offset:384
.LBB167_560:
	s_or_b32 exec_lo, exec_lo, s0
	v_or_b32_e32 v11, 0x70, v25
	v_cmp_gt_u32_e64 s0, 0x78, v11
	s_and_b32 s0, vcc_lo, s0
	s_and_b32 exec_lo, exec_lo, s0
; %bb.561:
	v_lshl_add_u32 v10, v11, 2, v10
	ds_write_b32 v10, v1
.LBB167_562:
	s_or_b32 exec_lo, exec_lo, s1
	s_mov_b32 s1, exec_lo
	s_waitcnt lgkmcnt(0)
	s_barrier
	buffer_gl0_inv
	v_cmpx_gt_u32_e32 64, v0
	s_cbranch_execz .LBB167_574
; %bb.563:
	s_and_saveexec_b32 s0, vcc_lo
	s_cbranch_execnz .LBB167_597
; %bb.564:
	s_or_b32 exec_lo, exec_lo, s0
	s_and_saveexec_b32 s0, vcc_lo
	s_cbranch_execnz .LBB167_598
.LBB167_565:
	s_or_b32 exec_lo, exec_lo, s0
	s_and_saveexec_b32 s0, vcc_lo
	s_cbranch_execnz .LBB167_599
.LBB167_566:
	s_or_b32 exec_lo, exec_lo, s0
	s_and_saveexec_b32 s0, vcc_lo
	s_cbranch_execnz .LBB167_600
.LBB167_567:
	s_or_b32 exec_lo, exec_lo, s0
	s_and_saveexec_b32 s0, vcc_lo
	s_cbranch_execnz .LBB167_601
.LBB167_568:
	s_or_b32 exec_lo, exec_lo, s0
	s_and_saveexec_b32 s0, vcc_lo
	s_cbranch_execnz .LBB167_602
.LBB167_569:
	s_or_b32 exec_lo, exec_lo, s0
	s_and_saveexec_b32 s0, vcc_lo
	s_cbranch_execz .LBB167_571
.LBB167_570:
	v_lshl_add_u32 v10, v25, 2, v9
	ds_read_b32 v10, v10 offset:384
	s_waitcnt lgkmcnt(0)
	v_add_f32_e32 v8, v8, v10
.LBB167_571:
	s_or_b32 exec_lo, exec_lo, s0
	v_or_b32_e32 v10, 0x70, v25
	v_cmp_gt_u32_e64 s0, 0x78, v10
	s_and_b32 s2, vcc_lo, s0
	s_and_saveexec_b32 s0, s2
	s_cbranch_execz .LBB167_573
; %bb.572:
	v_lshl_add_u32 v10, v25, 2, v9
	ds_read_b32 v10, v10 offset:448
	s_waitcnt lgkmcnt(0)
	v_add_f32_e32 v1, v1, v10
.LBB167_573:
	s_or_b32 exec_lo, exec_lo, s0
.LBB167_574:
	s_or_b32 exec_lo, exec_lo, s1
	v_and_b32_e32 v10, 0x3e0, v0
	s_mov_b32 s1, exec_lo
	s_barrier
	buffer_gl0_inv
	v_cmpx_eq_u32_e32 32, v10
	s_cbranch_execz .LBB167_579
; %bb.575:
	v_lshl_add_u32 v10, v25, 2, 0x200
	s_and_saveexec_b32 s0, vcc_lo
	s_cbranch_execz .LBB167_577
; %bb.576:
	ds_write2_b32 v10, v2, v3 offset1:16
	ds_write2_b32 v10, v4, v5 offset0:32 offset1:48
	ds_write2_b32 v10, v6, v7 offset0:64 offset1:80
	ds_write_b32 v10, v8 offset:384
.LBB167_577:
	s_or_b32 exec_lo, exec_lo, s0
	v_or_b32_e32 v11, 0x70, v25
	v_cmp_gt_u32_e64 s0, 0x78, v11
	s_and_b32 s0, vcc_lo, s0
	s_and_b32 exec_lo, exec_lo, s0
; %bb.578:
	ds_write_b32 v10, v1 offset:448
.LBB167_579:
	s_or_b32 exec_lo, exec_lo, s1
	v_cmp_gt_u32_e64 s0, 32, v0
	s_waitcnt lgkmcnt(0)
	s_barrier
	buffer_gl0_inv
	s_and_saveexec_b32 s2, s0
	s_cbranch_execz .LBB167_591
; %bb.580:
	v_lshl_add_u32 v9, v25, 2, v9
	s_and_saveexec_b32 s1, vcc_lo
	s_cbranch_execnz .LBB167_603
; %bb.581:
	s_or_b32 exec_lo, exec_lo, s1
	s_and_saveexec_b32 s1, vcc_lo
	s_cbranch_execnz .LBB167_604
.LBB167_582:
	s_or_b32 exec_lo, exec_lo, s1
	s_and_saveexec_b32 s1, vcc_lo
	s_cbranch_execnz .LBB167_605
.LBB167_583:
	s_or_b32 exec_lo, exec_lo, s1
	s_and_saveexec_b32 s1, vcc_lo
	s_cbranch_execnz .LBB167_606
.LBB167_584:
	s_or_b32 exec_lo, exec_lo, s1
	s_and_saveexec_b32 s1, vcc_lo
	s_cbranch_execnz .LBB167_607
.LBB167_585:
	s_or_b32 exec_lo, exec_lo, s1
	s_and_saveexec_b32 s1, vcc_lo
	s_cbranch_execnz .LBB167_608
.LBB167_586:
	s_or_b32 exec_lo, exec_lo, s1
	s_and_saveexec_b32 s1, vcc_lo
	s_cbranch_execz .LBB167_588
.LBB167_587:
	ds_read_b32 v10, v9 offset:384
	s_waitcnt lgkmcnt(0)
	v_add_f32_e32 v8, v8, v10
.LBB167_588:
	s_or_b32 exec_lo, exec_lo, s1
	v_or_b32_e32 v10, 0x70, v25
	v_cmp_gt_u32_e64 s1, 0x78, v10
	s_and_b32 s3, vcc_lo, s1
	s_and_saveexec_b32 s1, s3
	s_cbranch_execz .LBB167_590
; %bb.589:
	ds_read_b32 v9, v9 offset:448
	s_waitcnt lgkmcnt(0)
	v_add_f32_e32 v1, v1, v9
.LBB167_590:
	s_or_b32 exec_lo, exec_lo, s1
.LBB167_591:
	s_or_b32 exec_lo, exec_lo, s2
	s_barrier
	buffer_gl0_inv
	s_and_saveexec_b32 s1, s0
	s_cbranch_execz .LBB167_596
; %bb.592:
	s_mul_i32 s0, s10, s11
	s_mul_i32 s2, s11, s24
	;; [unrolled: 1-line block ×3, first 2 shown]
	v_lshrrev_b32_e32 v9, 1, v0
	s_mulk_i32 s0, 0x78
	s_ashr_i32 s1, s0, 31
	v_lshlrev_b32_e32 v0, 2, v9
	s_lshl_b64 s[0:1], s[0:1], 2
	s_add_u32 s4, s6, s0
	s_addc_u32 s1, s7, s1
	s_ashr_i32 s3, s2, 31
	s_mul_i32 s0, s8, 0x78
	s_lshl_b64 s[2:3], s[2:3], 2
	s_add_u32 s2, s4, s2
	s_addc_u32 s3, s1, s3
	s_ashr_i32 s1, s0, 31
	s_lshl_b64 s[0:1], s[0:1], 2
	s_add_u32 s2, s2, s0
	s_addc_u32 s3, s3, s1
	s_and_saveexec_b32 s0, vcc_lo
	s_cbranch_execz .LBB167_594
; %bb.593:
	global_store_dword v0, v2, s[2:3]
	global_store_dword v0, v3, s[2:3] offset:64
	global_store_dword v0, v4, s[2:3] offset:128
	;; [unrolled: 1-line block ×6, first 2 shown]
.LBB167_594:
	s_or_b32 exec_lo, exec_lo, s0
	v_or_b32_e32 v2, 0x70, v9
	v_cmp_gt_u32_e64 s0, 0x78, v2
	s_and_b32 s0, vcc_lo, s0
	s_and_b32 exec_lo, exec_lo, s0
	s_cbranch_execz .LBB167_596
; %bb.595:
	global_store_dword v0, v1, s[2:3] offset:448
.LBB167_596:
	s_endpgm
.LBB167_597:
	v_lshl_add_u32 v10, v25, 2, v9
	ds_read_b32 v10, v10
	s_waitcnt lgkmcnt(0)
	v_add_f32_e32 v2, v2, v10
	s_or_b32 exec_lo, exec_lo, s0
	s_and_saveexec_b32 s0, vcc_lo
	s_cbranch_execz .LBB167_565
.LBB167_598:
	v_lshl_add_u32 v10, v25, 2, v9
	ds_read_b32 v10, v10 offset:64
	s_waitcnt lgkmcnt(0)
	v_add_f32_e32 v3, v3, v10
	s_or_b32 exec_lo, exec_lo, s0
	s_and_saveexec_b32 s0, vcc_lo
	s_cbranch_execz .LBB167_566
.LBB167_599:
	v_lshl_add_u32 v10, v25, 2, v9
	ds_read_b32 v10, v10 offset:128
	s_waitcnt lgkmcnt(0)
	v_add_f32_e32 v4, v4, v10
	s_or_b32 exec_lo, exec_lo, s0
	s_and_saveexec_b32 s0, vcc_lo
	s_cbranch_execz .LBB167_567
.LBB167_600:
	v_lshl_add_u32 v10, v25, 2, v9
	ds_read_b32 v10, v10 offset:192
	s_waitcnt lgkmcnt(0)
	v_add_f32_e32 v5, v5, v10
	s_or_b32 exec_lo, exec_lo, s0
	s_and_saveexec_b32 s0, vcc_lo
	s_cbranch_execz .LBB167_568
.LBB167_601:
	v_lshl_add_u32 v10, v25, 2, v9
	ds_read_b32 v10, v10 offset:256
	s_waitcnt lgkmcnt(0)
	v_add_f32_e32 v6, v6, v10
	s_or_b32 exec_lo, exec_lo, s0
	s_and_saveexec_b32 s0, vcc_lo
	s_cbranch_execz .LBB167_569
.LBB167_602:
	v_lshl_add_u32 v10, v25, 2, v9
	ds_read_b32 v10, v10 offset:320
	s_waitcnt lgkmcnt(0)
	v_add_f32_e32 v7, v7, v10
	s_or_b32 exec_lo, exec_lo, s0
	s_and_saveexec_b32 s0, vcc_lo
	s_cbranch_execnz .LBB167_570
	s_branch .LBB167_571
.LBB167_603:
	ds_read_b32 v10, v9
	s_waitcnt lgkmcnt(0)
	v_add_f32_e32 v2, v2, v10
	s_or_b32 exec_lo, exec_lo, s1
	s_and_saveexec_b32 s1, vcc_lo
	s_cbranch_execz .LBB167_582
.LBB167_604:
	ds_read_b32 v10, v9 offset:64
	s_waitcnt lgkmcnt(0)
	v_add_f32_e32 v3, v3, v10
	s_or_b32 exec_lo, exec_lo, s1
	s_and_saveexec_b32 s1, vcc_lo
	s_cbranch_execz .LBB167_583
.LBB167_605:
	ds_read_b32 v10, v9 offset:128
	s_waitcnt lgkmcnt(0)
	v_add_f32_e32 v4, v4, v10
	s_or_b32 exec_lo, exec_lo, s1
	s_and_saveexec_b32 s1, vcc_lo
	s_cbranch_execz .LBB167_584
.LBB167_606:
	ds_read_b32 v10, v9 offset:192
	s_waitcnt lgkmcnt(0)
	v_add_f32_e32 v5, v5, v10
	s_or_b32 exec_lo, exec_lo, s1
	s_and_saveexec_b32 s1, vcc_lo
	s_cbranch_execz .LBB167_585
.LBB167_607:
	ds_read_b32 v10, v9 offset:256
	s_waitcnt lgkmcnt(0)
	v_add_f32_e32 v6, v6, v10
	s_or_b32 exec_lo, exec_lo, s1
	s_and_saveexec_b32 s1, vcc_lo
	s_cbranch_execz .LBB167_586
.LBB167_608:
	ds_read_b32 v10, v9 offset:320
	s_waitcnt lgkmcnt(0)
	v_add_f32_e32 v7, v7, v10
	s_or_b32 exec_lo, exec_lo, s1
	s_and_saveexec_b32 s1, vcc_lo
	s_cbranch_execnz .LBB167_587
	s_branch .LBB167_588
	.section	.rodata,"a",@progbits
	.p2align	6, 0x0
	.amdhsa_kernel _ZN4vllm25paged_attention_v1_kernelIfhLi120ELi8ELi128ELNS_18Fp8KVCacheDataTypeE1ELb1EEEvPT_PKS2_PKT0_S8_ifPKiSA_iPKfiiiSC_SC_iiiii
		.amdhsa_group_segment_fixed_size 512
		.amdhsa_private_segment_fixed_size 0
		.amdhsa_kernarg_size 384
		.amdhsa_user_sgpr_count 6
		.amdhsa_user_sgpr_private_segment_buffer 1
		.amdhsa_user_sgpr_dispatch_ptr 0
		.amdhsa_user_sgpr_queue_ptr 0
		.amdhsa_user_sgpr_kernarg_segment_ptr 1
		.amdhsa_user_sgpr_dispatch_id 0
		.amdhsa_user_sgpr_flat_scratch_init 0
		.amdhsa_user_sgpr_private_segment_size 0
		.amdhsa_wavefront_size32 1
		.amdhsa_uses_dynamic_stack 0
		.amdhsa_system_sgpr_private_segment_wavefront_offset 0
		.amdhsa_system_sgpr_workgroup_id_x 1
		.amdhsa_system_sgpr_workgroup_id_y 1
		.amdhsa_system_sgpr_workgroup_id_z 1
		.amdhsa_system_sgpr_workgroup_info 0
		.amdhsa_system_vgpr_workitem_id 0
		.amdhsa_next_free_vgpr 88
		.amdhsa_next_free_sgpr 45
		.amdhsa_reserve_vcc 1
		.amdhsa_reserve_flat_scratch 0
		.amdhsa_float_round_mode_32 0
		.amdhsa_float_round_mode_16_64 0
		.amdhsa_float_denorm_mode_32 3
		.amdhsa_float_denorm_mode_16_64 3
		.amdhsa_dx10_clamp 1
		.amdhsa_ieee_mode 1
		.amdhsa_fp16_overflow 0
		.amdhsa_workgroup_processor_mode 1
		.amdhsa_memory_ordered 1
		.amdhsa_forward_progress 1
		.amdhsa_shared_vgpr_count 0
		.amdhsa_exception_fp_ieee_invalid_op 0
		.amdhsa_exception_fp_denorm_src 0
		.amdhsa_exception_fp_ieee_div_zero 0
		.amdhsa_exception_fp_ieee_overflow 0
		.amdhsa_exception_fp_ieee_underflow 0
		.amdhsa_exception_fp_ieee_inexact 0
		.amdhsa_exception_int_div_zero 0
	.end_amdhsa_kernel
	.section	.text._ZN4vllm25paged_attention_v1_kernelIfhLi120ELi8ELi128ELNS_18Fp8KVCacheDataTypeE1ELb1EEEvPT_PKS2_PKT0_S8_ifPKiSA_iPKfiiiSC_SC_iiiii,"axG",@progbits,_ZN4vllm25paged_attention_v1_kernelIfhLi120ELi8ELi128ELNS_18Fp8KVCacheDataTypeE1ELb1EEEvPT_PKS2_PKT0_S8_ifPKiSA_iPKfiiiSC_SC_iiiii,comdat
.Lfunc_end167:
	.size	_ZN4vllm25paged_attention_v1_kernelIfhLi120ELi8ELi128ELNS_18Fp8KVCacheDataTypeE1ELb1EEEvPT_PKS2_PKT0_S8_ifPKiSA_iPKfiiiSC_SC_iiiii, .Lfunc_end167-_ZN4vllm25paged_attention_v1_kernelIfhLi120ELi8ELi128ELNS_18Fp8KVCacheDataTypeE1ELb1EEEvPT_PKS2_PKT0_S8_ifPKiSA_iPKfiiiSC_SC_iiiii
                                        ; -- End function
	.set _ZN4vllm25paged_attention_v1_kernelIfhLi120ELi8ELi128ELNS_18Fp8KVCacheDataTypeE1ELb1EEEvPT_PKS2_PKT0_S8_ifPKiSA_iPKfiiiSC_SC_iiiii.num_vgpr, 88
	.set _ZN4vllm25paged_attention_v1_kernelIfhLi120ELi8ELi128ELNS_18Fp8KVCacheDataTypeE1ELb1EEEvPT_PKS2_PKT0_S8_ifPKiSA_iPKfiiiSC_SC_iiiii.num_agpr, 0
	.set _ZN4vllm25paged_attention_v1_kernelIfhLi120ELi8ELi128ELNS_18Fp8KVCacheDataTypeE1ELb1EEEvPT_PKS2_PKT0_S8_ifPKiSA_iPKfiiiSC_SC_iiiii.numbered_sgpr, 45
	.set _ZN4vllm25paged_attention_v1_kernelIfhLi120ELi8ELi128ELNS_18Fp8KVCacheDataTypeE1ELb1EEEvPT_PKS2_PKT0_S8_ifPKiSA_iPKfiiiSC_SC_iiiii.num_named_barrier, 0
	.set _ZN4vllm25paged_attention_v1_kernelIfhLi120ELi8ELi128ELNS_18Fp8KVCacheDataTypeE1ELb1EEEvPT_PKS2_PKT0_S8_ifPKiSA_iPKfiiiSC_SC_iiiii.private_seg_size, 0
	.set _ZN4vllm25paged_attention_v1_kernelIfhLi120ELi8ELi128ELNS_18Fp8KVCacheDataTypeE1ELb1EEEvPT_PKS2_PKT0_S8_ifPKiSA_iPKfiiiSC_SC_iiiii.uses_vcc, 1
	.set _ZN4vllm25paged_attention_v1_kernelIfhLi120ELi8ELi128ELNS_18Fp8KVCacheDataTypeE1ELb1EEEvPT_PKS2_PKT0_S8_ifPKiSA_iPKfiiiSC_SC_iiiii.uses_flat_scratch, 0
	.set _ZN4vllm25paged_attention_v1_kernelIfhLi120ELi8ELi128ELNS_18Fp8KVCacheDataTypeE1ELb1EEEvPT_PKS2_PKT0_S8_ifPKiSA_iPKfiiiSC_SC_iiiii.has_dyn_sized_stack, 0
	.set _ZN4vllm25paged_attention_v1_kernelIfhLi120ELi8ELi128ELNS_18Fp8KVCacheDataTypeE1ELb1EEEvPT_PKS2_PKT0_S8_ifPKiSA_iPKfiiiSC_SC_iiiii.has_recursion, 0
	.set _ZN4vllm25paged_attention_v1_kernelIfhLi120ELi8ELi128ELNS_18Fp8KVCacheDataTypeE1ELb1EEEvPT_PKS2_PKT0_S8_ifPKiSA_iPKfiiiSC_SC_iiiii.has_indirect_call, 0
	.section	.AMDGPU.csdata,"",@progbits
; Kernel info:
; codeLenInByte = 17640
; TotalNumSgprs: 47
; NumVgprs: 88
; ScratchSize: 0
; MemoryBound: 0
; FloatMode: 240
; IeeeMode: 1
; LDSByteSize: 512 bytes/workgroup (compile time only)
; SGPRBlocks: 0
; VGPRBlocks: 10
; NumSGPRsForWavesPerEU: 47
; NumVGPRsForWavesPerEU: 88
; Occupancy: 10
; WaveLimiterHint : 1
; COMPUTE_PGM_RSRC2:SCRATCH_EN: 0
; COMPUTE_PGM_RSRC2:USER_SGPR: 6
; COMPUTE_PGM_RSRC2:TRAP_HANDLER: 0
; COMPUTE_PGM_RSRC2:TGID_X_EN: 1
; COMPUTE_PGM_RSRC2:TGID_Y_EN: 1
; COMPUTE_PGM_RSRC2:TGID_Z_EN: 1
; COMPUTE_PGM_RSRC2:TIDIG_COMP_CNT: 0
	.section	.text._ZN4vllm25paged_attention_v1_kernelIfhLi128ELi8ELi128ELNS_18Fp8KVCacheDataTypeE1ELb1EEEvPT_PKS2_PKT0_S8_ifPKiSA_iPKfiiiSC_SC_iiiii,"axG",@progbits,_ZN4vllm25paged_attention_v1_kernelIfhLi128ELi8ELi128ELNS_18Fp8KVCacheDataTypeE1ELb1EEEvPT_PKS2_PKT0_S8_ifPKiSA_iPKfiiiSC_SC_iiiii,comdat
	.protected	_ZN4vllm25paged_attention_v1_kernelIfhLi128ELi8ELi128ELNS_18Fp8KVCacheDataTypeE1ELb1EEEvPT_PKS2_PKT0_S8_ifPKiSA_iPKfiiiSC_SC_iiiii ; -- Begin function _ZN4vllm25paged_attention_v1_kernelIfhLi128ELi8ELi128ELNS_18Fp8KVCacheDataTypeE1ELb1EEEvPT_PKS2_PKT0_S8_ifPKiSA_iPKfiiiSC_SC_iiiii
	.globl	_ZN4vllm25paged_attention_v1_kernelIfhLi128ELi8ELi128ELNS_18Fp8KVCacheDataTypeE1ELb1EEEvPT_PKS2_PKT0_S8_ifPKiSA_iPKfiiiSC_SC_iiiii
	.p2align	8
	.type	_ZN4vllm25paged_attention_v1_kernelIfhLi128ELi8ELi128ELNS_18Fp8KVCacheDataTypeE1ELb1EEEvPT_PKS2_PKT0_S8_ifPKiSA_iPKfiiiSC_SC_iiiii,@function
_ZN4vllm25paged_attention_v1_kernelIfhLi128ELi8ELi128ELNS_18Fp8KVCacheDataTypeE1ELb1EEEvPT_PKS2_PKT0_S8_ifPKiSA_iPKfiiiSC_SC_iiiii: ; @_ZN4vllm25paged_attention_v1_kernelIfhLi128ELi8ELi128ELNS_18Fp8KVCacheDataTypeE1ELb1EEEvPT_PKS2_PKT0_S8_ifPKiSA_iPKfiiiSC_SC_iiiii
; %bb.0:
	s_clause 0x2
	s_load_dword s9, s[4:5], 0x80
	s_load_dwordx2 s[0:1], s[4:5], 0x30
	s_load_dwordx2 s[34:35], s[4:5], 0x20
	s_mov_b32 s10, s7
	s_ashr_i32 s11, s7, 31
	s_mov_b32 s36, 0
	s_lshl_b64 s[2:3], s[10:11], 2
	s_waitcnt lgkmcnt(0)
	s_add_u32 s0, s0, s2
	s_addc_u32 s1, s1, s3
	s_abs_i32 s2, s34
	s_abs_i32 s11, s9
	v_cvt_f32_u32_e32 v1, s2
	s_sub_i32 s7, 0, s2
	v_rcp_iflag_f32_e32 v1, v1
	v_mul_f32_e32 v1, 0x4f7ffffe, v1
	v_cvt_u32_f32_e32 v1, v1
	v_readfirstlane_b32 s3, v1
	s_mul_i32 s7, s7, s3
	s_mul_hi_u32 s7, s3, s7
	s_add_i32 s3, s3, s7
	s_xor_b32 s7, s9, s34
	s_mul_hi_u32 s3, s11, s3
	s_ashr_i32 s7, s7, 31
	s_mul_i32 s12, s3, s2
	s_sub_i32 s11, s11, s12
	s_add_i32 s12, s3, 1
	s_sub_i32 s13, s11, s2
	s_cmp_ge_u32 s11, s2
	s_cselect_b32 s3, s12, s3
	s_cselect_b32 s11, s13, s11
	s_add_i32 s12, s3, 1
	s_cmp_ge_u32 s11, s2
	s_cselect_b32 s2, s12, s3
	s_xor_b32 s2, s2, s7
	s_sub_i32 s14, s2, s7
	s_load_dwordx2 s[2:3], s[4:5], 0x40
	s_abs_i32 s11, s14
	v_cvt_f32_u32_e32 v1, s11
	s_sub_i32 s12, 0, s11
	v_rcp_iflag_f32_e32 v1, v1
	v_mul_f32_e32 v1, 0x4f7ffffe, v1
	v_cvt_u32_f32_e32 v1, v1
	v_readfirstlane_b32 s7, v1
	s_mul_i32 s12, s12, s7
	s_mul_hi_u32 s13, s7, s12
	s_abs_i32 s12, s6
	s_add_i32 s7, s7, s13
	s_waitcnt lgkmcnt(0)
	s_cmp_eq_u64 s[2:3], 0
	s_mul_hi_u32 s13, s12, s7
	s_cbranch_scc1 .LBB168_2
; %bb.1:
	s_ashr_i32 s7, s6, 31
	s_lshl_b64 s[16:17], s[6:7], 2
	s_add_u32 s2, s2, s16
	s_addc_u32 s3, s3, s17
	s_load_dword s36, s[2:3], 0x0
.LBB168_2:
	s_load_dword s33, s[0:1], 0x0
	s_load_dwordx4 s[16:19], s[4:5], 0x48
	v_and_b32_e32 v1, 3, v0
	v_lshlrev_b32_e32 v43, 2, v0
	s_ashr_i32 s0, s6, 31
	s_ashr_i32 s1, s14, 31
	s_lshl_b32 s24, s6, 7
	s_mov_b32 s2, exec_lo
	v_cmpx_gt_u32_e32 0x80, v0
	s_cbranch_execz .LBB168_4
; %bb.3:
	s_load_dwordx2 s[14:15], s[4:5], 0x8
	s_waitcnt lgkmcnt(0)
	s_mul_i32 s20, s16, s10
	v_and_b32_e32 v3, 0x3fc, v0
	s_ashr_i32 s21, s20, 31
	s_lshl_b64 s[20:21], s[20:21], 2
	v_lshl_add_u32 v3, v1, 7, v3
	s_add_u32 s3, s14, s20
	s_addc_u32 s7, s15, s21
	s_ashr_i32 s25, s24, 31
	s_lshl_b64 s[14:15], s[24:25], 2
	s_add_u32 s14, s3, s14
	s_addc_u32 s15, s7, s15
	global_load_dword v2, v43, s[14:15]
	s_waitcnt vmcnt(0)
	ds_write_b32 v3, v2
.LBB168_4:
	s_or_b32 exec_lo, exec_lo, s2
	s_load_dwordx4 s[20:23], s[4:5], 0x68
	s_mul_i32 s2, s13, s11
	s_xor_b32 s1, s0, s1
	s_sub_i32 s0, s12, s2
	s_add_i32 s2, s13, 1
	s_sub_i32 s3, s0, s11
	s_cmp_ge_u32 s0, s11
	s_mov_b32 s12, -1
	s_cselect_b32 s2, s2, s13
	s_cselect_b32 s0, s3, s0
	s_add_i32 s3, s2, 1
	s_cmp_ge_u32 s0, s11
	s_load_dword s0, s[4:5], 0x78
	s_cselect_b32 s2, s3, s2
	s_waitcnt lgkmcnt(0)
	s_add_i32 s7, s33, -1
	s_xor_b32 s2, s2, s1
	s_abs_i32 s3, s7
	s_sub_i32 s1, s2, s1
	s_barrier
	s_abs_i32 s16, s23
	buffer_gl0_inv
	v_cvt_f32_u32_e32 v2, s16
	s_sub_i32 s2, 0, s16
                                        ; implicit-def: $sgpr25
	v_rcp_iflag_f32_e32 v2, v2
	v_mul_f32_e32 v2, 0x4f7ffffe, v2
	v_cvt_u32_f32_e32 v2, v2
	v_readfirstlane_b32 s19, v2
	s_mul_i32 s2, s2, s19
	s_mul_hi_u32 s2, s19, s2
	s_add_i32 s19, s19, s2
	s_cmp_lt_i32 s0, 0
	s_mul_hi_u32 s2, s3, s19
	s_cbranch_scc0 .LBB168_6
; %bb.5:
	s_mul_i32 s11, s20, s34
	s_mov_b32 s12, 0
	s_add_i32 s11, s1, s11
	s_mul_i32 s11, s11, s0
	s_sub_i32 s25, 1, s11
.LBB168_6:
	s_load_dwordx2 s[26:27], s[4:5], 0x28
	s_ashr_i32 s11, s7, 31
	s_andn2_b32 vcc_lo, exec_lo, s12
	s_ashr_i32 s23, s23, 31
	s_cbranch_vccnz .LBB168_8
; %bb.7:
	s_mul_i32 s7, s9, s20
	s_add_i32 s6, s7, s6
	s_mul_i32 s0, s6, s0
	s_add_i32 s25, s0, 1
.LBB168_8:
	s_clause 0x2
	s_load_dword s0, s[4:5], 0x38
	s_load_dwordx2 s[6:7], s[4:5], 0x0
	s_load_dwordx2 s[30:31], s[4:5], 0x18
	s_xor_b32 s34, s11, s23
	s_mul_i32 s11, s2, s16
	s_add_i32 s20, s2, 1
	s_sub_i32 s3, s3, s11
	s_clause 0x1
	s_load_dword s11, s[4:5], 0x88
	s_load_dwordx4 s[12:15], s[4:5], 0x58
	v_lshrrev_b32_e32 v41, 5, v0
	v_mov_b32_e32 v47, 0xff7fffff
	v_lshrrev_b32_e32 v44, 3, v0
	v_mbcnt_lo_u32_b32 v45, -1, 0
	s_mul_i32 s18, s1, s18
	v_lshlrev_b32_e32 v42, 3, v41
	s_waitcnt lgkmcnt(0)
	s_mul_i32 s28, s0, s10
	s_sub_i32 s0, s3, s16
	s_ashr_i32 s29, s28, 31
	s_cmp_ge_u32 s3, s16
	s_cselect_b32 s2, s20, s2
	s_cselect_b32 s0, s0, s3
	s_add_i32 s3, s2, 1
	s_cmp_ge_u32 s0, s16
	s_cselect_b32 s0, s3, s2
	s_add_i32 s2, s33, 7
	s_ashr_i32 s3, s2, 31
	s_lshr_b32 s3, s3, 29
	s_add_i32 s2, s2, s3
	s_ashr_i32 s20, s2, 3
	s_xor_b32 s2, s0, s34
	v_cmp_gt_i32_e64 s0, s20, v41
	s_sub_i32 s34, s2, s34
	s_and_saveexec_b32 s37, s0
	s_cbranch_execz .LBB168_276
; %bb.9:
	s_load_dwordx2 s[2:3], s[4:5], 0x10
	s_sub_i32 s4, s34, s21
	s_ashr_i32 s1, s18, 31
	v_bfe_u32 v46, v0, 2, 3
	v_and_b32_e32 v3, 0x7c, v44
	v_mov_b32_e32 v34, 0
	v_lshlrev_b32_e32 v48, 7, v1
	v_lshlrev_b32_e32 v49, 3, v41
	;; [unrolled: 1-line block ×3, first 2 shown]
	v_subrev_nc_u32_e32 v5, s33, v46
	v_lshlrev_b32_e32 v6, 4, v46
	v_mov_b32_e32 v50, 0xff7fffff
	v_mov_b32_e32 v51, 0x7f
	v_lshl_or_b32 v4, v41, 5, v4
	v_add_nc_u32_e32 v53, 1, v5
	v_mov_b32_e32 v52, 7
	v_mov_b32_e32 v47, 0xff7fffff
	;; [unrolled: 1-line block ×3, first 2 shown]
	v_add_nc_u32_e32 v54, 0x220, v4
	v_cmp_eq_u32_e32 vcc_lo, 0, v1
	s_waitcnt lgkmcnt(0)
	s_add_u32 s38, s2, s18
	s_addc_u32 s39, s3, s1
	s_abs_i32 s5, s22
	v_add_co_u32 v5, s38, s38, v6
	v_cvt_f32_u32_e32 v2, s5
	s_sub_i32 s2, 0, s5
	v_add_co_ci_u32_e64 v6, null, s39, 0, s38
	v_cmp_neq_f32_e64 s1, s36, 0
	v_rcp_iflag_f32_e32 v2, v2
	s_mov_b32 s38, 0
	s_mov_b32 s39, s17
	v_mul_f32_e32 v2, 0x4f7ffffe, v2
	v_cvt_u32_f32_e32 v2, v2
	v_mul_lo_u32 v4, s2, v2
	s_lshl_b64 s[2:3], s[28:29], 2
	s_add_u32 s2, s26, s2
	s_addc_u32 s3, s27, s3
	v_add_co_u32 v35, s2, s2, v3
	v_add_co_ci_u32_e64 v36, null, s3, 0, s2
	v_mul_hi_u32 v4, v2, v4
	v_add_co_u32 v37, s2, v5, v1
	v_add_co_ci_u32_e64 v38, null, 0, v6, s2
	v_add_nc_u32_e32 v55, v2, v4
	s_branch .LBB168_12
.LBB168_10:                             ;   in Loop: Header=BB168_12 Depth=1
	s_or_b32 exec_lo, exec_lo, s40
.LBB168_11:                             ;   in Loop: Header=BB168_12 Depth=1
	s_or_b32 exec_lo, exec_lo, s3
	v_add_nc_u32_e32 v56, 4, v56
	v_add_co_u32 v35, s3, v35, 16
	v_add_co_ci_u32_e64 v36, null, 0, v36, s3
	v_cmp_le_i32_e64 s2, s20, v56
	v_add_nc_u32_e32 v49, 32, v49
	v_add_nc_u32_e32 v54, 0x80, v54
	s_or_b32 s38, s2, s38
	s_andn2_b32 exec_lo, exec_lo, s38
	s_cbranch_execz .LBB168_275
.LBB168_12:                             ; =>This Inner Loop Header: Depth=1
	v_mul_hi_u32 v1, v49, s19
	s_waitcnt lgkmcnt(0)
	v_mul_lo_u32 v2, v1, s16
	v_add_nc_u32_e32 v3, 1, v1
	v_sub_nc_u32_e32 v2, v49, v2
	v_subrev_nc_u32_e32 v4, s16, v2
	v_cmp_le_u32_e64 s2, s16, v2
	v_cndmask_b32_e64 v1, v1, v3, s2
	v_cndmask_b32_e64 v2, v2, v4, s2
	v_add_nc_u32_e32 v3, 1, v1
	v_cmp_le_u32_e64 s2, s16, v2
	v_cndmask_b32_e64 v1, v1, v3, s2
	v_xor_b32_e32 v1, s23, v1
	v_subrev_nc_u32_e32 v1, s23, v1
	v_add_nc_u32_e32 v2, s25, v1
	v_cmp_ge_i32_e64 s3, s4, v1
	v_sub_nc_u32_e32 v3, 0, v2
	v_max_i32_e32 v3, v2, v3
	v_ashrrev_i32_e32 v2, 31, v2
	v_mul_hi_u32 v4, v3, v55
	v_mul_lo_u32 v4, v4, s5
	v_sub_nc_u32_e32 v3, v3, v4
	v_subrev_nc_u32_e32 v4, s5, v3
	v_cmp_le_u32_e64 s2, s5, v3
	v_cndmask_b32_e64 v3, v3, v4, s2
	v_subrev_nc_u32_e32 v4, s5, v3
	v_cmp_le_u32_e64 s2, s5, v3
	v_cndmask_b32_e64 v3, v3, v4, s2
	v_xor_b32_e32 v3, v3, v2
	v_sub_nc_u32_e32 v2, v3, v2
	v_cmp_ne_u32_e64 s2, 0, v2
	s_and_b32 s2, s2, s3
	s_and_saveexec_b32 s3, s2
	s_xor_b32 s2, exec_lo, s3
	s_cbranch_execz .LBB168_16
; %bb.13:                               ;   in Loop: Header=BB168_12 Depth=1
	s_and_saveexec_b32 s3, vcc_lo
; %bb.14:                               ;   in Loop: Header=BB168_12 Depth=1
	ds_write_b32 v54, v50
; %bb.15:                               ;   in Loop: Header=BB168_12 Depth=1
	s_or_b32 exec_lo, exec_lo, s3
.LBB168_16:                             ;   in Loop: Header=BB168_12 Depth=1
	s_andn2_saveexec_b32 s3, s2
	s_cbranch_execz .LBB168_11
; %bb.17:                               ;   in Loop: Header=BB168_12 Depth=1
	global_load_dword v1, v[35:36], off
	v_mov_b32_e32 v57, 0
	v_mov_b32_e32 v58, 0
	s_mov_b32 s41, exec_lo
	s_waitcnt vmcnt(0)
	v_mad_i64_i32 v[39:40], null, v1, s39, v[37:38]
	global_load_ubyte v59, v[39:40], off
	ds_read_b128 v[29:32], v48
	ds_read_b128 v[25:28], v48 offset:16
	ds_read_b128 v[21:24], v48 offset:32
	;; [unrolled: 1-line block ×7, first 2 shown]
	s_load_dword s40, s[12:13], 0x0
	s_waitcnt vmcnt(0)
	v_cmpx_ne_u16_e32 0, v59
	s_cbranch_execz .LBB168_25
; %bb.18:                               ;   in Loop: Header=BB168_12 Depth=1
	v_bfrev_b32_e32 v58, 1
	s_mov_b32 s42, exec_lo
	v_cmpx_ne_u16_e32 0x80, v59
	s_cbranch_execz .LBB168_24
; %bb.19:                               ;   in Loop: Header=BB168_12 Depth=1
	v_and_b32_sdwa v60, v59, v51 dst_sel:DWORD dst_unused:UNUSED_PAD src0_sel:WORD_0 src1_sel:DWORD
	v_mov_b32_e32 v58, 0x7f800001
	s_mov_b32 s43, exec_lo
	v_cmpx_ne_u32_e32 0x7f, v60
	s_cbranch_execz .LBB168_23
; %bb.20:                               ;   in Loop: Header=BB168_12 Depth=1
	v_and_b32_sdwa v33, v59, v52 dst_sel:DWORD dst_unused:UNUSED_PAD src0_sel:WORD_0 src1_sel:DWORD
	v_lshrrev_b32_e32 v58, 3, v60
	s_mov_b32 s44, exec_lo
	v_cmpx_gt_u32_e32 8, v60
; %bb.21:                               ;   in Loop: Header=BB168_12 Depth=1
	v_ffbh_u32_e32 v58, v33
	v_min_u32_e32 v58, 32, v58
	v_subrev_nc_u32_e32 v60, 28, v58
	v_sub_nc_u32_e32 v58, 29, v58
	v_lshlrev_b64 v[60:61], v60, v[33:34]
	v_and_b32_e32 v33, 7, v60
; %bb.22:                               ;   in Loop: Header=BB168_12 Depth=1
	s_or_b32 exec_lo, exec_lo, s44
	v_lshlrev_b32_e32 v59, 24, v59
	v_lshlrev_b32_e32 v33, 20, v33
	v_lshl_add_u32 v58, v58, 23, 0x3c000000
	v_and_b32_e32 v59, 0x80000000, v59
	v_or3_b32 v58, v33, v59, v58
.LBB168_23:                             ;   in Loop: Header=BB168_12 Depth=1
	s_or_b32 exec_lo, exec_lo, s43
.LBB168_24:                             ;   in Loop: Header=BB168_12 Depth=1
	s_or_b32 exec_lo, exec_lo, s42
.LBB168_25:                             ;   in Loop: Header=BB168_12 Depth=1
	s_or_b32 exec_lo, exec_lo, s41
	global_load_ubyte v59, v[39:40], off offset:4
	s_mov_b32 s41, exec_lo
	s_waitcnt vmcnt(0)
	v_cmpx_ne_u16_e32 0, v59
	s_cbranch_execz .LBB168_33
; %bb.26:                               ;   in Loop: Header=BB168_12 Depth=1
	v_bfrev_b32_e32 v57, 1
	s_mov_b32 s42, exec_lo
	v_cmpx_ne_u16_e32 0x80, v59
	s_cbranch_execz .LBB168_32
; %bb.27:                               ;   in Loop: Header=BB168_12 Depth=1
	v_and_b32_sdwa v60, v59, v51 dst_sel:DWORD dst_unused:UNUSED_PAD src0_sel:WORD_0 src1_sel:DWORD
	v_mov_b32_e32 v57, 0x7f800001
	s_mov_b32 s43, exec_lo
	v_cmpx_ne_u32_e32 0x7f, v60
	s_cbranch_execz .LBB168_31
; %bb.28:                               ;   in Loop: Header=BB168_12 Depth=1
	v_and_b32_sdwa v33, v59, v52 dst_sel:DWORD dst_unused:UNUSED_PAD src0_sel:WORD_0 src1_sel:DWORD
	v_lshrrev_b32_e32 v57, 3, v60
	s_mov_b32 s44, exec_lo
	v_cmpx_gt_u32_e32 8, v60
; %bb.29:                               ;   in Loop: Header=BB168_12 Depth=1
	v_ffbh_u32_e32 v57, v33
	v_min_u32_e32 v57, 32, v57
	v_subrev_nc_u32_e32 v60, 28, v57
	v_sub_nc_u32_e32 v57, 29, v57
	v_lshlrev_b64 v[60:61], v60, v[33:34]
	v_and_b32_e32 v33, 7, v60
; %bb.30:                               ;   in Loop: Header=BB168_12 Depth=1
	s_or_b32 exec_lo, exec_lo, s44
	v_lshlrev_b32_e32 v59, 24, v59
	v_lshlrev_b32_e32 v33, 20, v33
	v_lshl_add_u32 v57, v57, 23, 0x3c000000
	v_and_b32_e32 v59, 0x80000000, v59
	v_or3_b32 v57, v33, v59, v57
.LBB168_31:                             ;   in Loop: Header=BB168_12 Depth=1
	s_or_b32 exec_lo, exec_lo, s43
.LBB168_32:                             ;   in Loop: Header=BB168_12 Depth=1
	s_or_b32 exec_lo, exec_lo, s42
.LBB168_33:                             ;   in Loop: Header=BB168_12 Depth=1
	s_or_b32 exec_lo, exec_lo, s41
	global_load_ubyte v61, v[39:40], off offset:8
	v_mov_b32_e32 v59, 0
	v_mov_b32_e32 v60, 0
	s_mov_b32 s41, exec_lo
	s_waitcnt vmcnt(0)
	v_cmpx_ne_u16_e32 0, v61
	s_cbranch_execz .LBB168_41
; %bb.34:                               ;   in Loop: Header=BB168_12 Depth=1
	v_bfrev_b32_e32 v60, 1
	s_mov_b32 s42, exec_lo
	v_cmpx_ne_u16_e32 0x80, v61
	s_cbranch_execz .LBB168_40
; %bb.35:                               ;   in Loop: Header=BB168_12 Depth=1
	v_and_b32_sdwa v62, v61, v51 dst_sel:DWORD dst_unused:UNUSED_PAD src0_sel:WORD_0 src1_sel:DWORD
	v_mov_b32_e32 v60, 0x7f800001
	s_mov_b32 s43, exec_lo
	v_cmpx_ne_u32_e32 0x7f, v62
	s_cbranch_execz .LBB168_39
; %bb.36:                               ;   in Loop: Header=BB168_12 Depth=1
	v_and_b32_sdwa v33, v61, v52 dst_sel:DWORD dst_unused:UNUSED_PAD src0_sel:WORD_0 src1_sel:DWORD
	v_lshrrev_b32_e32 v60, 3, v62
	s_mov_b32 s44, exec_lo
	v_cmpx_gt_u32_e32 8, v62
; %bb.37:                               ;   in Loop: Header=BB168_12 Depth=1
	v_ffbh_u32_e32 v60, v33
	v_min_u32_e32 v60, 32, v60
	v_subrev_nc_u32_e32 v62, 28, v60
	v_sub_nc_u32_e32 v60, 29, v60
	v_lshlrev_b64 v[62:63], v62, v[33:34]
	v_and_b32_e32 v33, 7, v62
; %bb.38:                               ;   in Loop: Header=BB168_12 Depth=1
	s_or_b32 exec_lo, exec_lo, s44
	v_lshlrev_b32_e32 v61, 24, v61
	v_lshlrev_b32_e32 v33, 20, v33
	v_lshl_add_u32 v60, v60, 23, 0x3c000000
	v_and_b32_e32 v61, 0x80000000, v61
	v_or3_b32 v60, v33, v61, v60
.LBB168_39:                             ;   in Loop: Header=BB168_12 Depth=1
	s_or_b32 exec_lo, exec_lo, s43
.LBB168_40:                             ;   in Loop: Header=BB168_12 Depth=1
	s_or_b32 exec_lo, exec_lo, s42
.LBB168_41:                             ;   in Loop: Header=BB168_12 Depth=1
	s_or_b32 exec_lo, exec_lo, s41
	global_load_ubyte v61, v[39:40], off offset:12
	s_mov_b32 s41, exec_lo
	s_waitcnt vmcnt(0)
	v_cmpx_ne_u16_e32 0, v61
	s_cbranch_execz .LBB168_49
; %bb.42:                               ;   in Loop: Header=BB168_12 Depth=1
	v_bfrev_b32_e32 v59, 1
	s_mov_b32 s42, exec_lo
	v_cmpx_ne_u16_e32 0x80, v61
	s_cbranch_execz .LBB168_48
; %bb.43:                               ;   in Loop: Header=BB168_12 Depth=1
	v_and_b32_sdwa v62, v61, v51 dst_sel:DWORD dst_unused:UNUSED_PAD src0_sel:WORD_0 src1_sel:DWORD
	v_mov_b32_e32 v59, 0x7f800001
	s_mov_b32 s43, exec_lo
	v_cmpx_ne_u32_e32 0x7f, v62
	s_cbranch_execz .LBB168_47
; %bb.44:                               ;   in Loop: Header=BB168_12 Depth=1
	v_and_b32_sdwa v33, v61, v52 dst_sel:DWORD dst_unused:UNUSED_PAD src0_sel:WORD_0 src1_sel:DWORD
	v_lshrrev_b32_e32 v59, 3, v62
	s_mov_b32 s44, exec_lo
	v_cmpx_gt_u32_e32 8, v62
; %bb.45:                               ;   in Loop: Header=BB168_12 Depth=1
	v_ffbh_u32_e32 v59, v33
	v_min_u32_e32 v59, 32, v59
	v_subrev_nc_u32_e32 v62, 28, v59
	v_sub_nc_u32_e32 v59, 29, v59
	v_lshlrev_b64 v[62:63], v62, v[33:34]
	v_and_b32_e32 v33, 7, v62
; %bb.46:                               ;   in Loop: Header=BB168_12 Depth=1
	s_or_b32 exec_lo, exec_lo, s44
	v_lshlrev_b32_e32 v61, 24, v61
	v_lshlrev_b32_e32 v33, 20, v33
	v_lshl_add_u32 v59, v59, 23, 0x3c000000
	v_and_b32_e32 v61, 0x80000000, v61
	v_or3_b32 v59, v33, v61, v59
.LBB168_47:                             ;   in Loop: Header=BB168_12 Depth=1
	s_or_b32 exec_lo, exec_lo, s43
.LBB168_48:                             ;   in Loop: Header=BB168_12 Depth=1
	s_or_b32 exec_lo, exec_lo, s42
.LBB168_49:                             ;   in Loop: Header=BB168_12 Depth=1
	s_or_b32 exec_lo, exec_lo, s41
	global_load_ubyte v63, v[39:40], off offset:128
	v_mov_b32_e32 v61, 0
	v_mov_b32_e32 v62, 0
	s_mov_b32 s41, exec_lo
	s_waitcnt vmcnt(0)
	v_cmpx_ne_u16_e32 0, v63
	s_cbranch_execz .LBB168_57
; %bb.50:                               ;   in Loop: Header=BB168_12 Depth=1
	v_bfrev_b32_e32 v62, 1
	s_mov_b32 s42, exec_lo
	v_cmpx_ne_u16_e32 0x80, v63
	s_cbranch_execz .LBB168_56
; %bb.51:                               ;   in Loop: Header=BB168_12 Depth=1
	v_and_b32_sdwa v64, v63, v51 dst_sel:DWORD dst_unused:UNUSED_PAD src0_sel:WORD_0 src1_sel:DWORD
	v_mov_b32_e32 v62, 0x7f800001
	s_mov_b32 s43, exec_lo
	v_cmpx_ne_u32_e32 0x7f, v64
	s_cbranch_execz .LBB168_55
; %bb.52:                               ;   in Loop: Header=BB168_12 Depth=1
	v_and_b32_sdwa v33, v63, v52 dst_sel:DWORD dst_unused:UNUSED_PAD src0_sel:WORD_0 src1_sel:DWORD
	v_lshrrev_b32_e32 v62, 3, v64
	s_mov_b32 s44, exec_lo
	v_cmpx_gt_u32_e32 8, v64
; %bb.53:                               ;   in Loop: Header=BB168_12 Depth=1
	v_ffbh_u32_e32 v62, v33
	v_min_u32_e32 v62, 32, v62
	v_subrev_nc_u32_e32 v64, 28, v62
	v_sub_nc_u32_e32 v62, 29, v62
	v_lshlrev_b64 v[64:65], v64, v[33:34]
	v_and_b32_e32 v33, 7, v64
; %bb.54:                               ;   in Loop: Header=BB168_12 Depth=1
	s_or_b32 exec_lo, exec_lo, s44
	v_lshlrev_b32_e32 v63, 24, v63
	v_lshlrev_b32_e32 v33, 20, v33
	v_lshl_add_u32 v62, v62, 23, 0x3c000000
	v_and_b32_e32 v63, 0x80000000, v63
	v_or3_b32 v62, v33, v63, v62
.LBB168_55:                             ;   in Loop: Header=BB168_12 Depth=1
	s_or_b32 exec_lo, exec_lo, s43
.LBB168_56:                             ;   in Loop: Header=BB168_12 Depth=1
	s_or_b32 exec_lo, exec_lo, s42
.LBB168_57:                             ;   in Loop: Header=BB168_12 Depth=1
	s_or_b32 exec_lo, exec_lo, s41
	global_load_ubyte v63, v[39:40], off offset:132
	s_mov_b32 s41, exec_lo
	s_waitcnt vmcnt(0)
	v_cmpx_ne_u16_e32 0, v63
	s_cbranch_execz .LBB168_65
; %bb.58:                               ;   in Loop: Header=BB168_12 Depth=1
	v_bfrev_b32_e32 v61, 1
	s_mov_b32 s42, exec_lo
	v_cmpx_ne_u16_e32 0x80, v63
	s_cbranch_execz .LBB168_64
; %bb.59:                               ;   in Loop: Header=BB168_12 Depth=1
	v_and_b32_sdwa v64, v63, v51 dst_sel:DWORD dst_unused:UNUSED_PAD src0_sel:WORD_0 src1_sel:DWORD
	v_mov_b32_e32 v61, 0x7f800001
	s_mov_b32 s43, exec_lo
	v_cmpx_ne_u32_e32 0x7f, v64
	s_cbranch_execz .LBB168_63
; %bb.60:                               ;   in Loop: Header=BB168_12 Depth=1
	v_and_b32_sdwa v33, v63, v52 dst_sel:DWORD dst_unused:UNUSED_PAD src0_sel:WORD_0 src1_sel:DWORD
	v_lshrrev_b32_e32 v61, 3, v64
	s_mov_b32 s44, exec_lo
	v_cmpx_gt_u32_e32 8, v64
; %bb.61:                               ;   in Loop: Header=BB168_12 Depth=1
	v_ffbh_u32_e32 v61, v33
	v_min_u32_e32 v61, 32, v61
	v_subrev_nc_u32_e32 v64, 28, v61
	v_sub_nc_u32_e32 v61, 29, v61
	v_lshlrev_b64 v[64:65], v64, v[33:34]
	v_and_b32_e32 v33, 7, v64
; %bb.62:                               ;   in Loop: Header=BB168_12 Depth=1
	s_or_b32 exec_lo, exec_lo, s44
	v_lshlrev_b32_e32 v63, 24, v63
	v_lshlrev_b32_e32 v33, 20, v33
	v_lshl_add_u32 v61, v61, 23, 0x3c000000
	v_and_b32_e32 v63, 0x80000000, v63
	v_or3_b32 v61, v33, v63, v61
.LBB168_63:                             ;   in Loop: Header=BB168_12 Depth=1
	s_or_b32 exec_lo, exec_lo, s43
.LBB168_64:                             ;   in Loop: Header=BB168_12 Depth=1
	s_or_b32 exec_lo, exec_lo, s42
.LBB168_65:                             ;   in Loop: Header=BB168_12 Depth=1
	s_or_b32 exec_lo, exec_lo, s41
	global_load_ubyte v65, v[39:40], off offset:136
	v_mov_b32_e32 v63, 0
	v_mov_b32_e32 v64, 0
	s_mov_b32 s41, exec_lo
	s_waitcnt vmcnt(0)
	v_cmpx_ne_u16_e32 0, v65
	s_cbranch_execz .LBB168_73
; %bb.66:                               ;   in Loop: Header=BB168_12 Depth=1
	v_bfrev_b32_e32 v64, 1
	s_mov_b32 s42, exec_lo
	v_cmpx_ne_u16_e32 0x80, v65
	s_cbranch_execz .LBB168_72
; %bb.67:                               ;   in Loop: Header=BB168_12 Depth=1
	v_and_b32_sdwa v66, v65, v51 dst_sel:DWORD dst_unused:UNUSED_PAD src0_sel:WORD_0 src1_sel:DWORD
	v_mov_b32_e32 v64, 0x7f800001
	s_mov_b32 s43, exec_lo
	v_cmpx_ne_u32_e32 0x7f, v66
	s_cbranch_execz .LBB168_71
; %bb.68:                               ;   in Loop: Header=BB168_12 Depth=1
	v_and_b32_sdwa v33, v65, v52 dst_sel:DWORD dst_unused:UNUSED_PAD src0_sel:WORD_0 src1_sel:DWORD
	v_lshrrev_b32_e32 v64, 3, v66
	s_mov_b32 s44, exec_lo
	v_cmpx_gt_u32_e32 8, v66
; %bb.69:                               ;   in Loop: Header=BB168_12 Depth=1
	v_ffbh_u32_e32 v64, v33
	v_min_u32_e32 v64, 32, v64
	v_subrev_nc_u32_e32 v66, 28, v64
	v_sub_nc_u32_e32 v64, 29, v64
	v_lshlrev_b64 v[66:67], v66, v[33:34]
	v_and_b32_e32 v33, 7, v66
; %bb.70:                               ;   in Loop: Header=BB168_12 Depth=1
	s_or_b32 exec_lo, exec_lo, s44
	v_lshlrev_b32_e32 v65, 24, v65
	v_lshlrev_b32_e32 v33, 20, v33
	v_lshl_add_u32 v64, v64, 23, 0x3c000000
	v_and_b32_e32 v65, 0x80000000, v65
	v_or3_b32 v64, v33, v65, v64
.LBB168_71:                             ;   in Loop: Header=BB168_12 Depth=1
	s_or_b32 exec_lo, exec_lo, s43
.LBB168_72:                             ;   in Loop: Header=BB168_12 Depth=1
	s_or_b32 exec_lo, exec_lo, s42
.LBB168_73:                             ;   in Loop: Header=BB168_12 Depth=1
	s_or_b32 exec_lo, exec_lo, s41
	global_load_ubyte v65, v[39:40], off offset:140
	s_mov_b32 s41, exec_lo
	s_waitcnt vmcnt(0)
	v_cmpx_ne_u16_e32 0, v65
	s_cbranch_execz .LBB168_81
; %bb.74:                               ;   in Loop: Header=BB168_12 Depth=1
	v_bfrev_b32_e32 v63, 1
	s_mov_b32 s42, exec_lo
	v_cmpx_ne_u16_e32 0x80, v65
	s_cbranch_execz .LBB168_80
; %bb.75:                               ;   in Loop: Header=BB168_12 Depth=1
	v_and_b32_sdwa v66, v65, v51 dst_sel:DWORD dst_unused:UNUSED_PAD src0_sel:WORD_0 src1_sel:DWORD
	v_mov_b32_e32 v63, 0x7f800001
	s_mov_b32 s43, exec_lo
	v_cmpx_ne_u32_e32 0x7f, v66
	s_cbranch_execz .LBB168_79
; %bb.76:                               ;   in Loop: Header=BB168_12 Depth=1
	v_and_b32_sdwa v33, v65, v52 dst_sel:DWORD dst_unused:UNUSED_PAD src0_sel:WORD_0 src1_sel:DWORD
	v_lshrrev_b32_e32 v63, 3, v66
	s_mov_b32 s44, exec_lo
	v_cmpx_gt_u32_e32 8, v66
; %bb.77:                               ;   in Loop: Header=BB168_12 Depth=1
	v_ffbh_u32_e32 v63, v33
	v_min_u32_e32 v63, 32, v63
	v_subrev_nc_u32_e32 v66, 28, v63
	v_sub_nc_u32_e32 v63, 29, v63
	v_lshlrev_b64 v[66:67], v66, v[33:34]
	v_and_b32_e32 v33, 7, v66
; %bb.78:                               ;   in Loop: Header=BB168_12 Depth=1
	s_or_b32 exec_lo, exec_lo, s44
	v_lshlrev_b32_e32 v65, 24, v65
	v_lshlrev_b32_e32 v33, 20, v33
	v_lshl_add_u32 v63, v63, 23, 0x3c000000
	v_and_b32_e32 v65, 0x80000000, v65
	v_or3_b32 v63, v33, v65, v63
.LBB168_79:                             ;   in Loop: Header=BB168_12 Depth=1
	s_or_b32 exec_lo, exec_lo, s43
.LBB168_80:                             ;   in Loop: Header=BB168_12 Depth=1
	s_or_b32 exec_lo, exec_lo, s42
.LBB168_81:                             ;   in Loop: Header=BB168_12 Depth=1
	s_or_b32 exec_lo, exec_lo, s41
	global_load_ubyte v67, v[39:40], off offset:256
	v_mov_b32_e32 v65, 0
	v_mov_b32_e32 v66, 0
	s_mov_b32 s41, exec_lo
	s_waitcnt vmcnt(0)
	v_cmpx_ne_u16_e32 0, v67
	s_cbranch_execz .LBB168_89
; %bb.82:                               ;   in Loop: Header=BB168_12 Depth=1
	v_bfrev_b32_e32 v66, 1
	s_mov_b32 s42, exec_lo
	v_cmpx_ne_u16_e32 0x80, v67
	s_cbranch_execz .LBB168_88
; %bb.83:                               ;   in Loop: Header=BB168_12 Depth=1
	v_and_b32_sdwa v68, v67, v51 dst_sel:DWORD dst_unused:UNUSED_PAD src0_sel:WORD_0 src1_sel:DWORD
	v_mov_b32_e32 v66, 0x7f800001
	s_mov_b32 s43, exec_lo
	v_cmpx_ne_u32_e32 0x7f, v68
	s_cbranch_execz .LBB168_87
; %bb.84:                               ;   in Loop: Header=BB168_12 Depth=1
	v_and_b32_sdwa v33, v67, v52 dst_sel:DWORD dst_unused:UNUSED_PAD src0_sel:WORD_0 src1_sel:DWORD
	v_lshrrev_b32_e32 v66, 3, v68
	s_mov_b32 s44, exec_lo
	v_cmpx_gt_u32_e32 8, v68
; %bb.85:                               ;   in Loop: Header=BB168_12 Depth=1
	v_ffbh_u32_e32 v66, v33
	v_min_u32_e32 v66, 32, v66
	v_subrev_nc_u32_e32 v68, 28, v66
	v_sub_nc_u32_e32 v66, 29, v66
	v_lshlrev_b64 v[68:69], v68, v[33:34]
	v_and_b32_e32 v33, 7, v68
; %bb.86:                               ;   in Loop: Header=BB168_12 Depth=1
	s_or_b32 exec_lo, exec_lo, s44
	v_lshlrev_b32_e32 v67, 24, v67
	v_lshlrev_b32_e32 v33, 20, v33
	v_lshl_add_u32 v66, v66, 23, 0x3c000000
	v_and_b32_e32 v67, 0x80000000, v67
	v_or3_b32 v66, v33, v67, v66
.LBB168_87:                             ;   in Loop: Header=BB168_12 Depth=1
	s_or_b32 exec_lo, exec_lo, s43
.LBB168_88:                             ;   in Loop: Header=BB168_12 Depth=1
	s_or_b32 exec_lo, exec_lo, s42
.LBB168_89:                             ;   in Loop: Header=BB168_12 Depth=1
	s_or_b32 exec_lo, exec_lo, s41
	global_load_ubyte v67, v[39:40], off offset:260
	s_mov_b32 s41, exec_lo
	s_waitcnt vmcnt(0)
	v_cmpx_ne_u16_e32 0, v67
	s_cbranch_execz .LBB168_97
; %bb.90:                               ;   in Loop: Header=BB168_12 Depth=1
	v_bfrev_b32_e32 v65, 1
	s_mov_b32 s42, exec_lo
	v_cmpx_ne_u16_e32 0x80, v67
	s_cbranch_execz .LBB168_96
; %bb.91:                               ;   in Loop: Header=BB168_12 Depth=1
	v_and_b32_sdwa v68, v67, v51 dst_sel:DWORD dst_unused:UNUSED_PAD src0_sel:WORD_0 src1_sel:DWORD
	v_mov_b32_e32 v65, 0x7f800001
	s_mov_b32 s43, exec_lo
	v_cmpx_ne_u32_e32 0x7f, v68
	s_cbranch_execz .LBB168_95
; %bb.92:                               ;   in Loop: Header=BB168_12 Depth=1
	v_and_b32_sdwa v33, v67, v52 dst_sel:DWORD dst_unused:UNUSED_PAD src0_sel:WORD_0 src1_sel:DWORD
	v_lshrrev_b32_e32 v65, 3, v68
	s_mov_b32 s44, exec_lo
	v_cmpx_gt_u32_e32 8, v68
; %bb.93:                               ;   in Loop: Header=BB168_12 Depth=1
	v_ffbh_u32_e32 v65, v33
	v_min_u32_e32 v65, 32, v65
	v_subrev_nc_u32_e32 v68, 28, v65
	v_sub_nc_u32_e32 v65, 29, v65
	v_lshlrev_b64 v[68:69], v68, v[33:34]
	v_and_b32_e32 v33, 7, v68
; %bb.94:                               ;   in Loop: Header=BB168_12 Depth=1
	s_or_b32 exec_lo, exec_lo, s44
	v_lshlrev_b32_e32 v67, 24, v67
	v_lshlrev_b32_e32 v33, 20, v33
	v_lshl_add_u32 v65, v65, 23, 0x3c000000
	v_and_b32_e32 v67, 0x80000000, v67
	v_or3_b32 v65, v33, v67, v65
.LBB168_95:                             ;   in Loop: Header=BB168_12 Depth=1
	s_or_b32 exec_lo, exec_lo, s43
.LBB168_96:                             ;   in Loop: Header=BB168_12 Depth=1
	s_or_b32 exec_lo, exec_lo, s42
.LBB168_97:                             ;   in Loop: Header=BB168_12 Depth=1
	s_or_b32 exec_lo, exec_lo, s41
	global_load_ubyte v69, v[39:40], off offset:264
	v_mov_b32_e32 v67, 0
	v_mov_b32_e32 v68, 0
	s_mov_b32 s41, exec_lo
	s_waitcnt vmcnt(0)
	v_cmpx_ne_u16_e32 0, v69
	s_cbranch_execz .LBB168_105
; %bb.98:                               ;   in Loop: Header=BB168_12 Depth=1
	v_bfrev_b32_e32 v68, 1
	s_mov_b32 s42, exec_lo
	v_cmpx_ne_u16_e32 0x80, v69
	s_cbranch_execz .LBB168_104
; %bb.99:                               ;   in Loop: Header=BB168_12 Depth=1
	v_and_b32_sdwa v70, v69, v51 dst_sel:DWORD dst_unused:UNUSED_PAD src0_sel:WORD_0 src1_sel:DWORD
	v_mov_b32_e32 v68, 0x7f800001
	s_mov_b32 s43, exec_lo
	v_cmpx_ne_u32_e32 0x7f, v70
	s_cbranch_execz .LBB168_103
; %bb.100:                              ;   in Loop: Header=BB168_12 Depth=1
	v_and_b32_sdwa v33, v69, v52 dst_sel:DWORD dst_unused:UNUSED_PAD src0_sel:WORD_0 src1_sel:DWORD
	v_lshrrev_b32_e32 v68, 3, v70
	s_mov_b32 s44, exec_lo
	v_cmpx_gt_u32_e32 8, v70
; %bb.101:                              ;   in Loop: Header=BB168_12 Depth=1
	v_ffbh_u32_e32 v68, v33
	v_min_u32_e32 v68, 32, v68
	v_subrev_nc_u32_e32 v70, 28, v68
	v_sub_nc_u32_e32 v68, 29, v68
	v_lshlrev_b64 v[70:71], v70, v[33:34]
	v_and_b32_e32 v33, 7, v70
; %bb.102:                              ;   in Loop: Header=BB168_12 Depth=1
	s_or_b32 exec_lo, exec_lo, s44
	v_lshlrev_b32_e32 v69, 24, v69
	v_lshlrev_b32_e32 v33, 20, v33
	v_lshl_add_u32 v68, v68, 23, 0x3c000000
	v_and_b32_e32 v69, 0x80000000, v69
	v_or3_b32 v68, v33, v69, v68
.LBB168_103:                            ;   in Loop: Header=BB168_12 Depth=1
	s_or_b32 exec_lo, exec_lo, s43
.LBB168_104:                            ;   in Loop: Header=BB168_12 Depth=1
	s_or_b32 exec_lo, exec_lo, s42
.LBB168_105:                            ;   in Loop: Header=BB168_12 Depth=1
	s_or_b32 exec_lo, exec_lo, s41
	global_load_ubyte v69, v[39:40], off offset:268
	s_mov_b32 s41, exec_lo
	s_waitcnt vmcnt(0)
	v_cmpx_ne_u16_e32 0, v69
	s_cbranch_execz .LBB168_113
; %bb.106:                              ;   in Loop: Header=BB168_12 Depth=1
	v_bfrev_b32_e32 v67, 1
	s_mov_b32 s42, exec_lo
	v_cmpx_ne_u16_e32 0x80, v69
	s_cbranch_execz .LBB168_112
; %bb.107:                              ;   in Loop: Header=BB168_12 Depth=1
	v_and_b32_sdwa v70, v69, v51 dst_sel:DWORD dst_unused:UNUSED_PAD src0_sel:WORD_0 src1_sel:DWORD
	v_mov_b32_e32 v67, 0x7f800001
	s_mov_b32 s43, exec_lo
	v_cmpx_ne_u32_e32 0x7f, v70
	s_cbranch_execz .LBB168_111
; %bb.108:                              ;   in Loop: Header=BB168_12 Depth=1
	v_and_b32_sdwa v33, v69, v52 dst_sel:DWORD dst_unused:UNUSED_PAD src0_sel:WORD_0 src1_sel:DWORD
	v_lshrrev_b32_e32 v67, 3, v70
	s_mov_b32 s44, exec_lo
	v_cmpx_gt_u32_e32 8, v70
; %bb.109:                              ;   in Loop: Header=BB168_12 Depth=1
	v_ffbh_u32_e32 v67, v33
	v_min_u32_e32 v67, 32, v67
	v_subrev_nc_u32_e32 v70, 28, v67
	v_sub_nc_u32_e32 v67, 29, v67
	v_lshlrev_b64 v[70:71], v70, v[33:34]
	v_and_b32_e32 v33, 7, v70
; %bb.110:                              ;   in Loop: Header=BB168_12 Depth=1
	s_or_b32 exec_lo, exec_lo, s44
	v_lshlrev_b32_e32 v69, 24, v69
	v_lshlrev_b32_e32 v33, 20, v33
	v_lshl_add_u32 v67, v67, 23, 0x3c000000
	v_and_b32_e32 v69, 0x80000000, v69
	v_or3_b32 v67, v33, v69, v67
.LBB168_111:                            ;   in Loop: Header=BB168_12 Depth=1
	s_or_b32 exec_lo, exec_lo, s43
.LBB168_112:                            ;   in Loop: Header=BB168_12 Depth=1
	s_or_b32 exec_lo, exec_lo, s42
.LBB168_113:                            ;   in Loop: Header=BB168_12 Depth=1
	s_or_b32 exec_lo, exec_lo, s41
	global_load_ubyte v71, v[39:40], off offset:384
	v_mov_b32_e32 v69, 0
	v_mov_b32_e32 v70, 0
	s_mov_b32 s41, exec_lo
	s_waitcnt vmcnt(0)
	v_cmpx_ne_u16_e32 0, v71
	s_cbranch_execz .LBB168_121
; %bb.114:                              ;   in Loop: Header=BB168_12 Depth=1
	v_bfrev_b32_e32 v70, 1
	s_mov_b32 s42, exec_lo
	v_cmpx_ne_u16_e32 0x80, v71
	s_cbranch_execz .LBB168_120
; %bb.115:                              ;   in Loop: Header=BB168_12 Depth=1
	v_and_b32_sdwa v72, v71, v51 dst_sel:DWORD dst_unused:UNUSED_PAD src0_sel:WORD_0 src1_sel:DWORD
	v_mov_b32_e32 v70, 0x7f800001
	s_mov_b32 s43, exec_lo
	v_cmpx_ne_u32_e32 0x7f, v72
	s_cbranch_execz .LBB168_119
; %bb.116:                              ;   in Loop: Header=BB168_12 Depth=1
	v_and_b32_sdwa v33, v71, v52 dst_sel:DWORD dst_unused:UNUSED_PAD src0_sel:WORD_0 src1_sel:DWORD
	v_lshrrev_b32_e32 v70, 3, v72
	s_mov_b32 s44, exec_lo
	v_cmpx_gt_u32_e32 8, v72
; %bb.117:                              ;   in Loop: Header=BB168_12 Depth=1
	v_ffbh_u32_e32 v70, v33
	v_min_u32_e32 v70, 32, v70
	v_subrev_nc_u32_e32 v72, 28, v70
	v_sub_nc_u32_e32 v70, 29, v70
	v_lshlrev_b64 v[72:73], v72, v[33:34]
	v_and_b32_e32 v33, 7, v72
; %bb.118:                              ;   in Loop: Header=BB168_12 Depth=1
	s_or_b32 exec_lo, exec_lo, s44
	v_lshlrev_b32_e32 v71, 24, v71
	v_lshlrev_b32_e32 v33, 20, v33
	v_lshl_add_u32 v70, v70, 23, 0x3c000000
	v_and_b32_e32 v71, 0x80000000, v71
	v_or3_b32 v70, v33, v71, v70
.LBB168_119:                            ;   in Loop: Header=BB168_12 Depth=1
	s_or_b32 exec_lo, exec_lo, s43
.LBB168_120:                            ;   in Loop: Header=BB168_12 Depth=1
	s_or_b32 exec_lo, exec_lo, s42
.LBB168_121:                            ;   in Loop: Header=BB168_12 Depth=1
	s_or_b32 exec_lo, exec_lo, s41
	global_load_ubyte v71, v[39:40], off offset:388
	s_mov_b32 s41, exec_lo
	s_waitcnt vmcnt(0)
	v_cmpx_ne_u16_e32 0, v71
	s_cbranch_execz .LBB168_129
; %bb.122:                              ;   in Loop: Header=BB168_12 Depth=1
	v_bfrev_b32_e32 v69, 1
	s_mov_b32 s42, exec_lo
	v_cmpx_ne_u16_e32 0x80, v71
	s_cbranch_execz .LBB168_128
; %bb.123:                              ;   in Loop: Header=BB168_12 Depth=1
	v_and_b32_sdwa v72, v71, v51 dst_sel:DWORD dst_unused:UNUSED_PAD src0_sel:WORD_0 src1_sel:DWORD
	v_mov_b32_e32 v69, 0x7f800001
	s_mov_b32 s43, exec_lo
	v_cmpx_ne_u32_e32 0x7f, v72
	s_cbranch_execz .LBB168_127
; %bb.124:                              ;   in Loop: Header=BB168_12 Depth=1
	v_and_b32_sdwa v33, v71, v52 dst_sel:DWORD dst_unused:UNUSED_PAD src0_sel:WORD_0 src1_sel:DWORD
	v_lshrrev_b32_e32 v69, 3, v72
	s_mov_b32 s44, exec_lo
	v_cmpx_gt_u32_e32 8, v72
; %bb.125:                              ;   in Loop: Header=BB168_12 Depth=1
	v_ffbh_u32_e32 v69, v33
	v_min_u32_e32 v69, 32, v69
	v_subrev_nc_u32_e32 v72, 28, v69
	v_sub_nc_u32_e32 v69, 29, v69
	v_lshlrev_b64 v[72:73], v72, v[33:34]
	v_and_b32_e32 v33, 7, v72
; %bb.126:                              ;   in Loop: Header=BB168_12 Depth=1
	s_or_b32 exec_lo, exec_lo, s44
	v_lshlrev_b32_e32 v71, 24, v71
	v_lshlrev_b32_e32 v33, 20, v33
	v_lshl_add_u32 v69, v69, 23, 0x3c000000
	v_and_b32_e32 v71, 0x80000000, v71
	v_or3_b32 v69, v33, v71, v69
.LBB168_127:                            ;   in Loop: Header=BB168_12 Depth=1
	s_or_b32 exec_lo, exec_lo, s43
.LBB168_128:                            ;   in Loop: Header=BB168_12 Depth=1
	s_or_b32 exec_lo, exec_lo, s42
.LBB168_129:                            ;   in Loop: Header=BB168_12 Depth=1
	s_or_b32 exec_lo, exec_lo, s41
	global_load_ubyte v73, v[39:40], off offset:392
	v_mov_b32_e32 v71, 0
	v_mov_b32_e32 v72, 0
	s_mov_b32 s41, exec_lo
	s_waitcnt vmcnt(0)
	v_cmpx_ne_u16_e32 0, v73
	s_cbranch_execz .LBB168_137
; %bb.130:                              ;   in Loop: Header=BB168_12 Depth=1
	v_bfrev_b32_e32 v72, 1
	s_mov_b32 s42, exec_lo
	v_cmpx_ne_u16_e32 0x80, v73
	s_cbranch_execz .LBB168_136
; %bb.131:                              ;   in Loop: Header=BB168_12 Depth=1
	v_and_b32_sdwa v74, v73, v51 dst_sel:DWORD dst_unused:UNUSED_PAD src0_sel:WORD_0 src1_sel:DWORD
	v_mov_b32_e32 v72, 0x7f800001
	s_mov_b32 s43, exec_lo
	v_cmpx_ne_u32_e32 0x7f, v74
	s_cbranch_execz .LBB168_135
; %bb.132:                              ;   in Loop: Header=BB168_12 Depth=1
	v_and_b32_sdwa v33, v73, v52 dst_sel:DWORD dst_unused:UNUSED_PAD src0_sel:WORD_0 src1_sel:DWORD
	v_lshrrev_b32_e32 v72, 3, v74
	s_mov_b32 s44, exec_lo
	v_cmpx_gt_u32_e32 8, v74
; %bb.133:                              ;   in Loop: Header=BB168_12 Depth=1
	v_ffbh_u32_e32 v72, v33
	v_min_u32_e32 v72, 32, v72
	v_subrev_nc_u32_e32 v74, 28, v72
	v_sub_nc_u32_e32 v72, 29, v72
	v_lshlrev_b64 v[74:75], v74, v[33:34]
	v_and_b32_e32 v33, 7, v74
; %bb.134:                              ;   in Loop: Header=BB168_12 Depth=1
	s_or_b32 exec_lo, exec_lo, s44
	v_lshlrev_b32_e32 v73, 24, v73
	v_lshlrev_b32_e32 v33, 20, v33
	v_lshl_add_u32 v72, v72, 23, 0x3c000000
	v_and_b32_e32 v73, 0x80000000, v73
	v_or3_b32 v72, v33, v73, v72
.LBB168_135:                            ;   in Loop: Header=BB168_12 Depth=1
	s_or_b32 exec_lo, exec_lo, s43
.LBB168_136:                            ;   in Loop: Header=BB168_12 Depth=1
	s_or_b32 exec_lo, exec_lo, s42
.LBB168_137:                            ;   in Loop: Header=BB168_12 Depth=1
	s_or_b32 exec_lo, exec_lo, s41
	global_load_ubyte v73, v[39:40], off offset:396
	s_mov_b32 s41, exec_lo
	s_waitcnt vmcnt(0)
	v_cmpx_ne_u16_e32 0, v73
	s_cbranch_execz .LBB168_145
; %bb.138:                              ;   in Loop: Header=BB168_12 Depth=1
	v_bfrev_b32_e32 v71, 1
	s_mov_b32 s42, exec_lo
	v_cmpx_ne_u16_e32 0x80, v73
	s_cbranch_execz .LBB168_144
; %bb.139:                              ;   in Loop: Header=BB168_12 Depth=1
	v_and_b32_sdwa v74, v73, v51 dst_sel:DWORD dst_unused:UNUSED_PAD src0_sel:WORD_0 src1_sel:DWORD
	v_mov_b32_e32 v71, 0x7f800001
	s_mov_b32 s43, exec_lo
	v_cmpx_ne_u32_e32 0x7f, v74
	s_cbranch_execz .LBB168_143
; %bb.140:                              ;   in Loop: Header=BB168_12 Depth=1
	v_and_b32_sdwa v33, v73, v52 dst_sel:DWORD dst_unused:UNUSED_PAD src0_sel:WORD_0 src1_sel:DWORD
	v_lshrrev_b32_e32 v71, 3, v74
	s_mov_b32 s44, exec_lo
	v_cmpx_gt_u32_e32 8, v74
; %bb.141:                              ;   in Loop: Header=BB168_12 Depth=1
	v_ffbh_u32_e32 v71, v33
	v_min_u32_e32 v71, 32, v71
	v_subrev_nc_u32_e32 v74, 28, v71
	v_sub_nc_u32_e32 v71, 29, v71
	v_lshlrev_b64 v[74:75], v74, v[33:34]
	v_and_b32_e32 v33, 7, v74
; %bb.142:                              ;   in Loop: Header=BB168_12 Depth=1
	s_or_b32 exec_lo, exec_lo, s44
	v_lshlrev_b32_e32 v73, 24, v73
	v_lshlrev_b32_e32 v33, 20, v33
	v_lshl_add_u32 v71, v71, 23, 0x3c000000
	v_and_b32_e32 v73, 0x80000000, v73
	v_or3_b32 v71, v33, v73, v71
.LBB168_143:                            ;   in Loop: Header=BB168_12 Depth=1
	s_or_b32 exec_lo, exec_lo, s43
.LBB168_144:                            ;   in Loop: Header=BB168_12 Depth=1
	s_or_b32 exec_lo, exec_lo, s42
.LBB168_145:                            ;   in Loop: Header=BB168_12 Depth=1
	s_or_b32 exec_lo, exec_lo, s41
	global_load_ubyte v75, v[39:40], off offset:512
	v_mov_b32_e32 v73, 0
	v_mov_b32_e32 v74, 0
	s_mov_b32 s41, exec_lo
	s_waitcnt vmcnt(0)
	v_cmpx_ne_u16_e32 0, v75
	s_cbranch_execz .LBB168_153
; %bb.146:                              ;   in Loop: Header=BB168_12 Depth=1
	v_bfrev_b32_e32 v74, 1
	s_mov_b32 s42, exec_lo
	v_cmpx_ne_u16_e32 0x80, v75
	s_cbranch_execz .LBB168_152
; %bb.147:                              ;   in Loop: Header=BB168_12 Depth=1
	v_and_b32_sdwa v76, v75, v51 dst_sel:DWORD dst_unused:UNUSED_PAD src0_sel:WORD_0 src1_sel:DWORD
	v_mov_b32_e32 v74, 0x7f800001
	s_mov_b32 s43, exec_lo
	v_cmpx_ne_u32_e32 0x7f, v76
	s_cbranch_execz .LBB168_151
; %bb.148:                              ;   in Loop: Header=BB168_12 Depth=1
	v_and_b32_sdwa v33, v75, v52 dst_sel:DWORD dst_unused:UNUSED_PAD src0_sel:WORD_0 src1_sel:DWORD
	v_lshrrev_b32_e32 v74, 3, v76
	s_mov_b32 s44, exec_lo
	v_cmpx_gt_u32_e32 8, v76
; %bb.149:                              ;   in Loop: Header=BB168_12 Depth=1
	v_ffbh_u32_e32 v74, v33
	v_min_u32_e32 v74, 32, v74
	v_subrev_nc_u32_e32 v76, 28, v74
	v_sub_nc_u32_e32 v74, 29, v74
	v_lshlrev_b64 v[76:77], v76, v[33:34]
	v_and_b32_e32 v33, 7, v76
; %bb.150:                              ;   in Loop: Header=BB168_12 Depth=1
	s_or_b32 exec_lo, exec_lo, s44
	v_lshlrev_b32_e32 v75, 24, v75
	v_lshlrev_b32_e32 v33, 20, v33
	v_lshl_add_u32 v74, v74, 23, 0x3c000000
	v_and_b32_e32 v75, 0x80000000, v75
	v_or3_b32 v74, v33, v75, v74
.LBB168_151:                            ;   in Loop: Header=BB168_12 Depth=1
	s_or_b32 exec_lo, exec_lo, s43
.LBB168_152:                            ;   in Loop: Header=BB168_12 Depth=1
	s_or_b32 exec_lo, exec_lo, s42
.LBB168_153:                            ;   in Loop: Header=BB168_12 Depth=1
	s_or_b32 exec_lo, exec_lo, s41
	global_load_ubyte v75, v[39:40], off offset:516
	s_mov_b32 s41, exec_lo
	s_waitcnt vmcnt(0)
	v_cmpx_ne_u16_e32 0, v75
	s_cbranch_execz .LBB168_161
; %bb.154:                              ;   in Loop: Header=BB168_12 Depth=1
	v_bfrev_b32_e32 v73, 1
	s_mov_b32 s42, exec_lo
	v_cmpx_ne_u16_e32 0x80, v75
	s_cbranch_execz .LBB168_160
; %bb.155:                              ;   in Loop: Header=BB168_12 Depth=1
	v_and_b32_sdwa v76, v75, v51 dst_sel:DWORD dst_unused:UNUSED_PAD src0_sel:WORD_0 src1_sel:DWORD
	v_mov_b32_e32 v73, 0x7f800001
	s_mov_b32 s43, exec_lo
	v_cmpx_ne_u32_e32 0x7f, v76
	s_cbranch_execz .LBB168_159
; %bb.156:                              ;   in Loop: Header=BB168_12 Depth=1
	v_and_b32_sdwa v33, v75, v52 dst_sel:DWORD dst_unused:UNUSED_PAD src0_sel:WORD_0 src1_sel:DWORD
	v_lshrrev_b32_e32 v73, 3, v76
	s_mov_b32 s44, exec_lo
	v_cmpx_gt_u32_e32 8, v76
; %bb.157:                              ;   in Loop: Header=BB168_12 Depth=1
	v_ffbh_u32_e32 v73, v33
	v_min_u32_e32 v73, 32, v73
	v_subrev_nc_u32_e32 v76, 28, v73
	v_sub_nc_u32_e32 v73, 29, v73
	v_lshlrev_b64 v[76:77], v76, v[33:34]
	v_and_b32_e32 v33, 7, v76
; %bb.158:                              ;   in Loop: Header=BB168_12 Depth=1
	s_or_b32 exec_lo, exec_lo, s44
	v_lshlrev_b32_e32 v75, 24, v75
	v_lshlrev_b32_e32 v33, 20, v33
	v_lshl_add_u32 v73, v73, 23, 0x3c000000
	v_and_b32_e32 v75, 0x80000000, v75
	v_or3_b32 v73, v33, v75, v73
.LBB168_159:                            ;   in Loop: Header=BB168_12 Depth=1
	s_or_b32 exec_lo, exec_lo, s43
.LBB168_160:                            ;   in Loop: Header=BB168_12 Depth=1
	s_or_b32 exec_lo, exec_lo, s42
.LBB168_161:                            ;   in Loop: Header=BB168_12 Depth=1
	s_or_b32 exec_lo, exec_lo, s41
	global_load_ubyte v77, v[39:40], off offset:520
	v_mov_b32_e32 v75, 0
	v_mov_b32_e32 v76, 0
	s_mov_b32 s41, exec_lo
	s_waitcnt vmcnt(0)
	v_cmpx_ne_u16_e32 0, v77
	s_cbranch_execz .LBB168_169
; %bb.162:                              ;   in Loop: Header=BB168_12 Depth=1
	v_bfrev_b32_e32 v76, 1
	s_mov_b32 s42, exec_lo
	v_cmpx_ne_u16_e32 0x80, v77
	s_cbranch_execz .LBB168_168
; %bb.163:                              ;   in Loop: Header=BB168_12 Depth=1
	v_and_b32_sdwa v78, v77, v51 dst_sel:DWORD dst_unused:UNUSED_PAD src0_sel:WORD_0 src1_sel:DWORD
	v_mov_b32_e32 v76, 0x7f800001
	s_mov_b32 s43, exec_lo
	v_cmpx_ne_u32_e32 0x7f, v78
	s_cbranch_execz .LBB168_167
; %bb.164:                              ;   in Loop: Header=BB168_12 Depth=1
	v_and_b32_sdwa v33, v77, v52 dst_sel:DWORD dst_unused:UNUSED_PAD src0_sel:WORD_0 src1_sel:DWORD
	v_lshrrev_b32_e32 v76, 3, v78
	s_mov_b32 s44, exec_lo
	v_cmpx_gt_u32_e32 8, v78
; %bb.165:                              ;   in Loop: Header=BB168_12 Depth=1
	v_ffbh_u32_e32 v76, v33
	v_min_u32_e32 v76, 32, v76
	v_subrev_nc_u32_e32 v78, 28, v76
	v_sub_nc_u32_e32 v76, 29, v76
	v_lshlrev_b64 v[78:79], v78, v[33:34]
	v_and_b32_e32 v33, 7, v78
; %bb.166:                              ;   in Loop: Header=BB168_12 Depth=1
	s_or_b32 exec_lo, exec_lo, s44
	v_lshlrev_b32_e32 v77, 24, v77
	v_lshlrev_b32_e32 v33, 20, v33
	v_lshl_add_u32 v76, v76, 23, 0x3c000000
	v_and_b32_e32 v77, 0x80000000, v77
	v_or3_b32 v76, v33, v77, v76
.LBB168_167:                            ;   in Loop: Header=BB168_12 Depth=1
	s_or_b32 exec_lo, exec_lo, s43
.LBB168_168:                            ;   in Loop: Header=BB168_12 Depth=1
	s_or_b32 exec_lo, exec_lo, s42
.LBB168_169:                            ;   in Loop: Header=BB168_12 Depth=1
	s_or_b32 exec_lo, exec_lo, s41
	global_load_ubyte v77, v[39:40], off offset:524
	s_mov_b32 s41, exec_lo
	s_waitcnt vmcnt(0)
	v_cmpx_ne_u16_e32 0, v77
	s_cbranch_execz .LBB168_177
; %bb.170:                              ;   in Loop: Header=BB168_12 Depth=1
	v_bfrev_b32_e32 v75, 1
	s_mov_b32 s42, exec_lo
	v_cmpx_ne_u16_e32 0x80, v77
	s_cbranch_execz .LBB168_176
; %bb.171:                              ;   in Loop: Header=BB168_12 Depth=1
	v_and_b32_sdwa v78, v77, v51 dst_sel:DWORD dst_unused:UNUSED_PAD src0_sel:WORD_0 src1_sel:DWORD
	v_mov_b32_e32 v75, 0x7f800001
	s_mov_b32 s43, exec_lo
	v_cmpx_ne_u32_e32 0x7f, v78
	s_cbranch_execz .LBB168_175
; %bb.172:                              ;   in Loop: Header=BB168_12 Depth=1
	v_and_b32_sdwa v33, v77, v52 dst_sel:DWORD dst_unused:UNUSED_PAD src0_sel:WORD_0 src1_sel:DWORD
	v_lshrrev_b32_e32 v75, 3, v78
	s_mov_b32 s44, exec_lo
	v_cmpx_gt_u32_e32 8, v78
; %bb.173:                              ;   in Loop: Header=BB168_12 Depth=1
	v_ffbh_u32_e32 v75, v33
	v_min_u32_e32 v75, 32, v75
	v_subrev_nc_u32_e32 v78, 28, v75
	v_sub_nc_u32_e32 v75, 29, v75
	v_lshlrev_b64 v[78:79], v78, v[33:34]
	v_and_b32_e32 v33, 7, v78
; %bb.174:                              ;   in Loop: Header=BB168_12 Depth=1
	s_or_b32 exec_lo, exec_lo, s44
	v_lshlrev_b32_e32 v77, 24, v77
	v_lshlrev_b32_e32 v33, 20, v33
	v_lshl_add_u32 v75, v75, 23, 0x3c000000
	v_and_b32_e32 v77, 0x80000000, v77
	v_or3_b32 v75, v33, v77, v75
.LBB168_175:                            ;   in Loop: Header=BB168_12 Depth=1
	s_or_b32 exec_lo, exec_lo, s43
.LBB168_176:                            ;   in Loop: Header=BB168_12 Depth=1
	s_or_b32 exec_lo, exec_lo, s42
.LBB168_177:                            ;   in Loop: Header=BB168_12 Depth=1
	s_or_b32 exec_lo, exec_lo, s41
	global_load_ubyte v79, v[39:40], off offset:640
	v_mov_b32_e32 v77, 0
	v_mov_b32_e32 v78, 0
	s_mov_b32 s41, exec_lo
	s_waitcnt vmcnt(0)
	v_cmpx_ne_u16_e32 0, v79
	s_cbranch_execz .LBB168_185
; %bb.178:                              ;   in Loop: Header=BB168_12 Depth=1
	v_bfrev_b32_e32 v78, 1
	s_mov_b32 s42, exec_lo
	v_cmpx_ne_u16_e32 0x80, v79
	s_cbranch_execz .LBB168_184
; %bb.179:                              ;   in Loop: Header=BB168_12 Depth=1
	v_and_b32_sdwa v80, v79, v51 dst_sel:DWORD dst_unused:UNUSED_PAD src0_sel:WORD_0 src1_sel:DWORD
	v_mov_b32_e32 v78, 0x7f800001
	s_mov_b32 s43, exec_lo
	v_cmpx_ne_u32_e32 0x7f, v80
	s_cbranch_execz .LBB168_183
; %bb.180:                              ;   in Loop: Header=BB168_12 Depth=1
	v_and_b32_sdwa v33, v79, v52 dst_sel:DWORD dst_unused:UNUSED_PAD src0_sel:WORD_0 src1_sel:DWORD
	v_lshrrev_b32_e32 v78, 3, v80
	s_mov_b32 s44, exec_lo
	v_cmpx_gt_u32_e32 8, v80
; %bb.181:                              ;   in Loop: Header=BB168_12 Depth=1
	v_ffbh_u32_e32 v78, v33
	v_min_u32_e32 v78, 32, v78
	v_subrev_nc_u32_e32 v80, 28, v78
	v_sub_nc_u32_e32 v78, 29, v78
	v_lshlrev_b64 v[80:81], v80, v[33:34]
	v_and_b32_e32 v33, 7, v80
; %bb.182:                              ;   in Loop: Header=BB168_12 Depth=1
	s_or_b32 exec_lo, exec_lo, s44
	v_lshlrev_b32_e32 v79, 24, v79
	v_lshlrev_b32_e32 v33, 20, v33
	v_lshl_add_u32 v78, v78, 23, 0x3c000000
	v_and_b32_e32 v79, 0x80000000, v79
	v_or3_b32 v78, v33, v79, v78
.LBB168_183:                            ;   in Loop: Header=BB168_12 Depth=1
	s_or_b32 exec_lo, exec_lo, s43
.LBB168_184:                            ;   in Loop: Header=BB168_12 Depth=1
	s_or_b32 exec_lo, exec_lo, s42
.LBB168_185:                            ;   in Loop: Header=BB168_12 Depth=1
	s_or_b32 exec_lo, exec_lo, s41
	global_load_ubyte v79, v[39:40], off offset:644
	s_mov_b32 s41, exec_lo
	s_waitcnt vmcnt(0)
	v_cmpx_ne_u16_e32 0, v79
	s_cbranch_execz .LBB168_193
; %bb.186:                              ;   in Loop: Header=BB168_12 Depth=1
	v_bfrev_b32_e32 v77, 1
	s_mov_b32 s42, exec_lo
	v_cmpx_ne_u16_e32 0x80, v79
	s_cbranch_execz .LBB168_192
; %bb.187:                              ;   in Loop: Header=BB168_12 Depth=1
	v_and_b32_sdwa v80, v79, v51 dst_sel:DWORD dst_unused:UNUSED_PAD src0_sel:WORD_0 src1_sel:DWORD
	v_mov_b32_e32 v77, 0x7f800001
	s_mov_b32 s43, exec_lo
	v_cmpx_ne_u32_e32 0x7f, v80
	s_cbranch_execz .LBB168_191
; %bb.188:                              ;   in Loop: Header=BB168_12 Depth=1
	v_and_b32_sdwa v33, v79, v52 dst_sel:DWORD dst_unused:UNUSED_PAD src0_sel:WORD_0 src1_sel:DWORD
	v_lshrrev_b32_e32 v77, 3, v80
	s_mov_b32 s44, exec_lo
	v_cmpx_gt_u32_e32 8, v80
; %bb.189:                              ;   in Loop: Header=BB168_12 Depth=1
	v_ffbh_u32_e32 v77, v33
	v_min_u32_e32 v77, 32, v77
	v_subrev_nc_u32_e32 v80, 28, v77
	v_sub_nc_u32_e32 v77, 29, v77
	v_lshlrev_b64 v[80:81], v80, v[33:34]
	v_and_b32_e32 v33, 7, v80
; %bb.190:                              ;   in Loop: Header=BB168_12 Depth=1
	s_or_b32 exec_lo, exec_lo, s44
	v_lshlrev_b32_e32 v79, 24, v79
	v_lshlrev_b32_e32 v33, 20, v33
	v_lshl_add_u32 v77, v77, 23, 0x3c000000
	v_and_b32_e32 v79, 0x80000000, v79
	v_or3_b32 v77, v33, v79, v77
.LBB168_191:                            ;   in Loop: Header=BB168_12 Depth=1
	s_or_b32 exec_lo, exec_lo, s43
.LBB168_192:                            ;   in Loop: Header=BB168_12 Depth=1
	s_or_b32 exec_lo, exec_lo, s42
.LBB168_193:                            ;   in Loop: Header=BB168_12 Depth=1
	s_or_b32 exec_lo, exec_lo, s41
	global_load_ubyte v81, v[39:40], off offset:648
	v_mov_b32_e32 v79, 0
	v_mov_b32_e32 v80, 0
	s_mov_b32 s41, exec_lo
	s_waitcnt vmcnt(0)
	v_cmpx_ne_u16_e32 0, v81
	s_cbranch_execz .LBB168_201
; %bb.194:                              ;   in Loop: Header=BB168_12 Depth=1
	v_bfrev_b32_e32 v80, 1
	s_mov_b32 s42, exec_lo
	v_cmpx_ne_u16_e32 0x80, v81
	s_cbranch_execz .LBB168_200
; %bb.195:                              ;   in Loop: Header=BB168_12 Depth=1
	v_and_b32_sdwa v82, v81, v51 dst_sel:DWORD dst_unused:UNUSED_PAD src0_sel:WORD_0 src1_sel:DWORD
	v_mov_b32_e32 v80, 0x7f800001
	s_mov_b32 s43, exec_lo
	v_cmpx_ne_u32_e32 0x7f, v82
	s_cbranch_execz .LBB168_199
; %bb.196:                              ;   in Loop: Header=BB168_12 Depth=1
	v_and_b32_sdwa v33, v81, v52 dst_sel:DWORD dst_unused:UNUSED_PAD src0_sel:WORD_0 src1_sel:DWORD
	v_lshrrev_b32_e32 v80, 3, v82
	s_mov_b32 s44, exec_lo
	v_cmpx_gt_u32_e32 8, v82
; %bb.197:                              ;   in Loop: Header=BB168_12 Depth=1
	v_ffbh_u32_e32 v80, v33
	v_min_u32_e32 v80, 32, v80
	v_subrev_nc_u32_e32 v82, 28, v80
	v_sub_nc_u32_e32 v80, 29, v80
	v_lshlrev_b64 v[82:83], v82, v[33:34]
	v_and_b32_e32 v33, 7, v82
; %bb.198:                              ;   in Loop: Header=BB168_12 Depth=1
	s_or_b32 exec_lo, exec_lo, s44
	v_lshlrev_b32_e32 v81, 24, v81
	v_lshlrev_b32_e32 v33, 20, v33
	v_lshl_add_u32 v80, v80, 23, 0x3c000000
	v_and_b32_e32 v81, 0x80000000, v81
	v_or3_b32 v80, v33, v81, v80
.LBB168_199:                            ;   in Loop: Header=BB168_12 Depth=1
	s_or_b32 exec_lo, exec_lo, s43
.LBB168_200:                            ;   in Loop: Header=BB168_12 Depth=1
	s_or_b32 exec_lo, exec_lo, s42
.LBB168_201:                            ;   in Loop: Header=BB168_12 Depth=1
	s_or_b32 exec_lo, exec_lo, s41
	global_load_ubyte v81, v[39:40], off offset:652
	s_mov_b32 s41, exec_lo
	s_waitcnt vmcnt(0)
	v_cmpx_ne_u16_e32 0, v81
	s_cbranch_execz .LBB168_209
; %bb.202:                              ;   in Loop: Header=BB168_12 Depth=1
	v_bfrev_b32_e32 v79, 1
	s_mov_b32 s42, exec_lo
	v_cmpx_ne_u16_e32 0x80, v81
	s_cbranch_execz .LBB168_208
; %bb.203:                              ;   in Loop: Header=BB168_12 Depth=1
	v_and_b32_sdwa v82, v81, v51 dst_sel:DWORD dst_unused:UNUSED_PAD src0_sel:WORD_0 src1_sel:DWORD
	v_mov_b32_e32 v79, 0x7f800001
	s_mov_b32 s43, exec_lo
	v_cmpx_ne_u32_e32 0x7f, v82
	s_cbranch_execz .LBB168_207
; %bb.204:                              ;   in Loop: Header=BB168_12 Depth=1
	v_and_b32_sdwa v33, v81, v52 dst_sel:DWORD dst_unused:UNUSED_PAD src0_sel:WORD_0 src1_sel:DWORD
	v_lshrrev_b32_e32 v79, 3, v82
	s_mov_b32 s44, exec_lo
	v_cmpx_gt_u32_e32 8, v82
; %bb.205:                              ;   in Loop: Header=BB168_12 Depth=1
	v_ffbh_u32_e32 v79, v33
	v_min_u32_e32 v79, 32, v79
	v_subrev_nc_u32_e32 v82, 28, v79
	v_sub_nc_u32_e32 v79, 29, v79
	v_lshlrev_b64 v[82:83], v82, v[33:34]
	v_and_b32_e32 v33, 7, v82
; %bb.206:                              ;   in Loop: Header=BB168_12 Depth=1
	s_or_b32 exec_lo, exec_lo, s44
	v_lshlrev_b32_e32 v81, 24, v81
	v_lshlrev_b32_e32 v33, 20, v33
	v_lshl_add_u32 v79, v79, 23, 0x3c000000
	v_and_b32_e32 v81, 0x80000000, v81
	v_or3_b32 v79, v33, v81, v79
.LBB168_207:                            ;   in Loop: Header=BB168_12 Depth=1
	s_or_b32 exec_lo, exec_lo, s43
.LBB168_208:                            ;   in Loop: Header=BB168_12 Depth=1
	s_or_b32 exec_lo, exec_lo, s42
.LBB168_209:                            ;   in Loop: Header=BB168_12 Depth=1
	s_or_b32 exec_lo, exec_lo, s41
	global_load_ubyte v83, v[39:40], off offset:768
	v_mov_b32_e32 v81, 0
	v_mov_b32_e32 v82, 0
	s_mov_b32 s41, exec_lo
	s_waitcnt vmcnt(0)
	v_cmpx_ne_u16_e32 0, v83
	s_cbranch_execz .LBB168_217
; %bb.210:                              ;   in Loop: Header=BB168_12 Depth=1
	v_bfrev_b32_e32 v82, 1
	s_mov_b32 s42, exec_lo
	v_cmpx_ne_u16_e32 0x80, v83
	s_cbranch_execz .LBB168_216
; %bb.211:                              ;   in Loop: Header=BB168_12 Depth=1
	v_and_b32_sdwa v84, v83, v51 dst_sel:DWORD dst_unused:UNUSED_PAD src0_sel:WORD_0 src1_sel:DWORD
	v_mov_b32_e32 v82, 0x7f800001
	s_mov_b32 s43, exec_lo
	v_cmpx_ne_u32_e32 0x7f, v84
	s_cbranch_execz .LBB168_215
; %bb.212:                              ;   in Loop: Header=BB168_12 Depth=1
	v_and_b32_sdwa v33, v83, v52 dst_sel:DWORD dst_unused:UNUSED_PAD src0_sel:WORD_0 src1_sel:DWORD
	v_lshrrev_b32_e32 v82, 3, v84
	s_mov_b32 s44, exec_lo
	v_cmpx_gt_u32_e32 8, v84
; %bb.213:                              ;   in Loop: Header=BB168_12 Depth=1
	v_ffbh_u32_e32 v82, v33
	v_min_u32_e32 v82, 32, v82
	v_subrev_nc_u32_e32 v84, 28, v82
	v_sub_nc_u32_e32 v82, 29, v82
	v_lshlrev_b64 v[84:85], v84, v[33:34]
	v_and_b32_e32 v33, 7, v84
; %bb.214:                              ;   in Loop: Header=BB168_12 Depth=1
	s_or_b32 exec_lo, exec_lo, s44
	v_lshlrev_b32_e32 v83, 24, v83
	v_lshlrev_b32_e32 v33, 20, v33
	v_lshl_add_u32 v82, v82, 23, 0x3c000000
	v_and_b32_e32 v83, 0x80000000, v83
	v_or3_b32 v82, v33, v83, v82
.LBB168_215:                            ;   in Loop: Header=BB168_12 Depth=1
	s_or_b32 exec_lo, exec_lo, s43
.LBB168_216:                            ;   in Loop: Header=BB168_12 Depth=1
	s_or_b32 exec_lo, exec_lo, s42
.LBB168_217:                            ;   in Loop: Header=BB168_12 Depth=1
	s_or_b32 exec_lo, exec_lo, s41
	global_load_ubyte v83, v[39:40], off offset:772
	s_mov_b32 s41, exec_lo
	s_waitcnt vmcnt(0)
	v_cmpx_ne_u16_e32 0, v83
	s_cbranch_execz .LBB168_225
; %bb.218:                              ;   in Loop: Header=BB168_12 Depth=1
	v_bfrev_b32_e32 v81, 1
	s_mov_b32 s42, exec_lo
	v_cmpx_ne_u16_e32 0x80, v83
	s_cbranch_execz .LBB168_224
; %bb.219:                              ;   in Loop: Header=BB168_12 Depth=1
	v_and_b32_sdwa v84, v83, v51 dst_sel:DWORD dst_unused:UNUSED_PAD src0_sel:WORD_0 src1_sel:DWORD
	v_mov_b32_e32 v81, 0x7f800001
	s_mov_b32 s43, exec_lo
	v_cmpx_ne_u32_e32 0x7f, v84
	s_cbranch_execz .LBB168_223
; %bb.220:                              ;   in Loop: Header=BB168_12 Depth=1
	v_and_b32_sdwa v33, v83, v52 dst_sel:DWORD dst_unused:UNUSED_PAD src0_sel:WORD_0 src1_sel:DWORD
	v_lshrrev_b32_e32 v81, 3, v84
	s_mov_b32 s44, exec_lo
	v_cmpx_gt_u32_e32 8, v84
; %bb.221:                              ;   in Loop: Header=BB168_12 Depth=1
	v_ffbh_u32_e32 v81, v33
	v_min_u32_e32 v81, 32, v81
	v_subrev_nc_u32_e32 v84, 28, v81
	v_sub_nc_u32_e32 v81, 29, v81
	v_lshlrev_b64 v[84:85], v84, v[33:34]
	v_and_b32_e32 v33, 7, v84
; %bb.222:                              ;   in Loop: Header=BB168_12 Depth=1
	s_or_b32 exec_lo, exec_lo, s44
	v_lshlrev_b32_e32 v83, 24, v83
	v_lshlrev_b32_e32 v33, 20, v33
	v_lshl_add_u32 v81, v81, 23, 0x3c000000
	v_and_b32_e32 v83, 0x80000000, v83
	v_or3_b32 v81, v33, v83, v81
.LBB168_223:                            ;   in Loop: Header=BB168_12 Depth=1
	s_or_b32 exec_lo, exec_lo, s43
.LBB168_224:                            ;   in Loop: Header=BB168_12 Depth=1
	s_or_b32 exec_lo, exec_lo, s42
.LBB168_225:                            ;   in Loop: Header=BB168_12 Depth=1
	s_or_b32 exec_lo, exec_lo, s41
	global_load_ubyte v85, v[39:40], off offset:776
	v_mov_b32_e32 v83, 0
	v_mov_b32_e32 v84, 0
	s_mov_b32 s41, exec_lo
	s_waitcnt vmcnt(0)
	v_cmpx_ne_u16_e32 0, v85
	s_cbranch_execz .LBB168_233
; %bb.226:                              ;   in Loop: Header=BB168_12 Depth=1
	v_bfrev_b32_e32 v84, 1
	s_mov_b32 s42, exec_lo
	v_cmpx_ne_u16_e32 0x80, v85
	s_cbranch_execz .LBB168_232
; %bb.227:                              ;   in Loop: Header=BB168_12 Depth=1
	v_and_b32_sdwa v86, v85, v51 dst_sel:DWORD dst_unused:UNUSED_PAD src0_sel:WORD_0 src1_sel:DWORD
	v_mov_b32_e32 v84, 0x7f800001
	s_mov_b32 s43, exec_lo
	v_cmpx_ne_u32_e32 0x7f, v86
	s_cbranch_execz .LBB168_231
; %bb.228:                              ;   in Loop: Header=BB168_12 Depth=1
	v_and_b32_sdwa v33, v85, v52 dst_sel:DWORD dst_unused:UNUSED_PAD src0_sel:WORD_0 src1_sel:DWORD
	v_lshrrev_b32_e32 v84, 3, v86
	s_mov_b32 s44, exec_lo
	v_cmpx_gt_u32_e32 8, v86
; %bb.229:                              ;   in Loop: Header=BB168_12 Depth=1
	v_ffbh_u32_e32 v84, v33
	v_min_u32_e32 v84, 32, v84
	v_subrev_nc_u32_e32 v86, 28, v84
	v_sub_nc_u32_e32 v84, 29, v84
	v_lshlrev_b64 v[86:87], v86, v[33:34]
	v_and_b32_e32 v33, 7, v86
; %bb.230:                              ;   in Loop: Header=BB168_12 Depth=1
	s_or_b32 exec_lo, exec_lo, s44
	v_lshlrev_b32_e32 v85, 24, v85
	v_lshlrev_b32_e32 v33, 20, v33
	v_lshl_add_u32 v84, v84, 23, 0x3c000000
	v_and_b32_e32 v85, 0x80000000, v85
	v_or3_b32 v84, v33, v85, v84
.LBB168_231:                            ;   in Loop: Header=BB168_12 Depth=1
	s_or_b32 exec_lo, exec_lo, s43
.LBB168_232:                            ;   in Loop: Header=BB168_12 Depth=1
	s_or_b32 exec_lo, exec_lo, s42
.LBB168_233:                            ;   in Loop: Header=BB168_12 Depth=1
	s_or_b32 exec_lo, exec_lo, s41
	global_load_ubyte v85, v[39:40], off offset:780
	s_mov_b32 s41, exec_lo
	s_waitcnt vmcnt(0)
	v_cmpx_ne_u16_e32 0, v85
	s_cbranch_execz .LBB168_241
; %bb.234:                              ;   in Loop: Header=BB168_12 Depth=1
	v_bfrev_b32_e32 v83, 1
	s_mov_b32 s42, exec_lo
	v_cmpx_ne_u16_e32 0x80, v85
	s_cbranch_execz .LBB168_240
; %bb.235:                              ;   in Loop: Header=BB168_12 Depth=1
	v_and_b32_sdwa v86, v85, v51 dst_sel:DWORD dst_unused:UNUSED_PAD src0_sel:WORD_0 src1_sel:DWORD
	v_mov_b32_e32 v83, 0x7f800001
	s_mov_b32 s43, exec_lo
	v_cmpx_ne_u32_e32 0x7f, v86
	s_cbranch_execz .LBB168_239
; %bb.236:                              ;   in Loop: Header=BB168_12 Depth=1
	v_and_b32_sdwa v33, v85, v52 dst_sel:DWORD dst_unused:UNUSED_PAD src0_sel:WORD_0 src1_sel:DWORD
	v_lshrrev_b32_e32 v83, 3, v86
	s_mov_b32 s44, exec_lo
	v_cmpx_gt_u32_e32 8, v86
; %bb.237:                              ;   in Loop: Header=BB168_12 Depth=1
	v_ffbh_u32_e32 v83, v33
	v_min_u32_e32 v83, 32, v83
	v_subrev_nc_u32_e32 v86, 28, v83
	v_sub_nc_u32_e32 v83, 29, v83
	v_lshlrev_b64 v[86:87], v86, v[33:34]
	v_and_b32_e32 v33, 7, v86
; %bb.238:                              ;   in Loop: Header=BB168_12 Depth=1
	s_or_b32 exec_lo, exec_lo, s44
	v_lshlrev_b32_e32 v85, 24, v85
	v_lshlrev_b32_e32 v33, 20, v33
	v_lshl_add_u32 v83, v83, 23, 0x3c000000
	v_and_b32_e32 v85, 0x80000000, v85
	v_or3_b32 v83, v33, v85, v83
.LBB168_239:                            ;   in Loop: Header=BB168_12 Depth=1
	s_or_b32 exec_lo, exec_lo, s43
.LBB168_240:                            ;   in Loop: Header=BB168_12 Depth=1
	s_or_b32 exec_lo, exec_lo, s42
.LBB168_241:                            ;   in Loop: Header=BB168_12 Depth=1
	s_or_b32 exec_lo, exec_lo, s41
	global_load_ubyte v87, v[39:40], off offset:896
	v_mov_b32_e32 v85, 0
	v_mov_b32_e32 v86, 0
	s_mov_b32 s41, exec_lo
	s_waitcnt vmcnt(0)
	v_cmpx_ne_u16_e32 0, v87
	s_cbranch_execz .LBB168_249
; %bb.242:                              ;   in Loop: Header=BB168_12 Depth=1
	v_bfrev_b32_e32 v86, 1
	s_mov_b32 s42, exec_lo
	v_cmpx_ne_u16_e32 0x80, v87
	s_cbranch_execz .LBB168_248
; %bb.243:                              ;   in Loop: Header=BB168_12 Depth=1
	v_and_b32_sdwa v88, v87, v51 dst_sel:DWORD dst_unused:UNUSED_PAD src0_sel:WORD_0 src1_sel:DWORD
	v_mov_b32_e32 v86, 0x7f800001
	s_mov_b32 s43, exec_lo
	v_cmpx_ne_u32_e32 0x7f, v88
	s_cbranch_execz .LBB168_247
; %bb.244:                              ;   in Loop: Header=BB168_12 Depth=1
	v_and_b32_sdwa v33, v87, v52 dst_sel:DWORD dst_unused:UNUSED_PAD src0_sel:WORD_0 src1_sel:DWORD
	v_lshrrev_b32_e32 v86, 3, v88
	s_mov_b32 s44, exec_lo
	v_cmpx_gt_u32_e32 8, v88
; %bb.245:                              ;   in Loop: Header=BB168_12 Depth=1
	v_ffbh_u32_e32 v86, v33
	v_min_u32_e32 v86, 32, v86
	v_subrev_nc_u32_e32 v88, 28, v86
	v_sub_nc_u32_e32 v86, 29, v86
	v_lshlrev_b64 v[88:89], v88, v[33:34]
	v_and_b32_e32 v33, 7, v88
; %bb.246:                              ;   in Loop: Header=BB168_12 Depth=1
	s_or_b32 exec_lo, exec_lo, s44
	v_lshlrev_b32_e32 v87, 24, v87
	v_lshlrev_b32_e32 v33, 20, v33
	v_lshl_add_u32 v86, v86, 23, 0x3c000000
	v_and_b32_e32 v87, 0x80000000, v87
	v_or3_b32 v86, v33, v87, v86
.LBB168_247:                            ;   in Loop: Header=BB168_12 Depth=1
	s_or_b32 exec_lo, exec_lo, s43
.LBB168_248:                            ;   in Loop: Header=BB168_12 Depth=1
	s_or_b32 exec_lo, exec_lo, s42
.LBB168_249:                            ;   in Loop: Header=BB168_12 Depth=1
	s_or_b32 exec_lo, exec_lo, s41
	global_load_ubyte v87, v[39:40], off offset:900
	s_mov_b32 s41, exec_lo
	s_waitcnt vmcnt(0)
	v_cmpx_ne_u16_e32 0, v87
	s_cbranch_execz .LBB168_257
; %bb.250:                              ;   in Loop: Header=BB168_12 Depth=1
	v_bfrev_b32_e32 v85, 1
	s_mov_b32 s42, exec_lo
	v_cmpx_ne_u16_e32 0x80, v87
	s_cbranch_execz .LBB168_256
; %bb.251:                              ;   in Loop: Header=BB168_12 Depth=1
	v_and_b32_sdwa v88, v87, v51 dst_sel:DWORD dst_unused:UNUSED_PAD src0_sel:WORD_0 src1_sel:DWORD
	v_mov_b32_e32 v85, 0x7f800001
	s_mov_b32 s43, exec_lo
	v_cmpx_ne_u32_e32 0x7f, v88
	s_cbranch_execz .LBB168_255
; %bb.252:                              ;   in Loop: Header=BB168_12 Depth=1
	v_and_b32_sdwa v33, v87, v52 dst_sel:DWORD dst_unused:UNUSED_PAD src0_sel:WORD_0 src1_sel:DWORD
	v_lshrrev_b32_e32 v85, 3, v88
	s_mov_b32 s44, exec_lo
	v_cmpx_gt_u32_e32 8, v88
; %bb.253:                              ;   in Loop: Header=BB168_12 Depth=1
	v_ffbh_u32_e32 v85, v33
	v_min_u32_e32 v85, 32, v85
	v_subrev_nc_u32_e32 v88, 28, v85
	v_sub_nc_u32_e32 v85, 29, v85
	v_lshlrev_b64 v[88:89], v88, v[33:34]
	v_and_b32_e32 v33, 7, v88
; %bb.254:                              ;   in Loop: Header=BB168_12 Depth=1
	s_or_b32 exec_lo, exec_lo, s44
	v_lshlrev_b32_e32 v87, 24, v87
	v_lshlrev_b32_e32 v33, 20, v33
	v_lshl_add_u32 v85, v85, 23, 0x3c000000
	v_and_b32_e32 v87, 0x80000000, v87
	v_or3_b32 v85, v33, v87, v85
.LBB168_255:                            ;   in Loop: Header=BB168_12 Depth=1
	s_or_b32 exec_lo, exec_lo, s43
.LBB168_256:                            ;   in Loop: Header=BB168_12 Depth=1
	s_or_b32 exec_lo, exec_lo, s42
.LBB168_257:                            ;   in Loop: Header=BB168_12 Depth=1
	s_or_b32 exec_lo, exec_lo, s41
	global_load_ubyte v89, v[39:40], off offset:904
	v_mov_b32_e32 v87, 0
	v_mov_b32_e32 v88, 0
	s_mov_b32 s41, exec_lo
	s_waitcnt vmcnt(0)
	v_cmpx_ne_u16_e32 0, v89
	s_cbranch_execz .LBB168_265
; %bb.258:                              ;   in Loop: Header=BB168_12 Depth=1
	v_bfrev_b32_e32 v88, 1
	s_mov_b32 s42, exec_lo
	v_cmpx_ne_u16_e32 0x80, v89
	s_cbranch_execz .LBB168_264
; %bb.259:                              ;   in Loop: Header=BB168_12 Depth=1
	v_and_b32_sdwa v90, v89, v51 dst_sel:DWORD dst_unused:UNUSED_PAD src0_sel:WORD_0 src1_sel:DWORD
	v_mov_b32_e32 v88, 0x7f800001
	s_mov_b32 s43, exec_lo
	v_cmpx_ne_u32_e32 0x7f, v90
	s_cbranch_execz .LBB168_263
; %bb.260:                              ;   in Loop: Header=BB168_12 Depth=1
	v_and_b32_sdwa v33, v89, v52 dst_sel:DWORD dst_unused:UNUSED_PAD src0_sel:WORD_0 src1_sel:DWORD
	v_lshrrev_b32_e32 v88, 3, v90
	s_mov_b32 s44, exec_lo
	v_cmpx_gt_u32_e32 8, v90
; %bb.261:                              ;   in Loop: Header=BB168_12 Depth=1
	v_ffbh_u32_e32 v88, v33
	v_min_u32_e32 v88, 32, v88
	v_subrev_nc_u32_e32 v90, 28, v88
	v_sub_nc_u32_e32 v88, 29, v88
	v_lshlrev_b64 v[90:91], v90, v[33:34]
	v_and_b32_e32 v33, 7, v90
; %bb.262:                              ;   in Loop: Header=BB168_12 Depth=1
	s_or_b32 exec_lo, exec_lo, s44
	v_lshlrev_b32_e32 v89, 24, v89
	v_lshlrev_b32_e32 v33, 20, v33
	v_lshl_add_u32 v88, v88, 23, 0x3c000000
	v_and_b32_e32 v89, 0x80000000, v89
	v_or3_b32 v88, v33, v89, v88
.LBB168_263:                            ;   in Loop: Header=BB168_12 Depth=1
	s_or_b32 exec_lo, exec_lo, s43
.LBB168_264:                            ;   in Loop: Header=BB168_12 Depth=1
	s_or_b32 exec_lo, exec_lo, s42
.LBB168_265:                            ;   in Loop: Header=BB168_12 Depth=1
	s_or_b32 exec_lo, exec_lo, s41
	global_load_ubyte v39, v[39:40], off offset:908
	s_mov_b32 s41, exec_lo
	s_waitcnt vmcnt(0)
	v_cmpx_ne_u16_e32 0, v39
	s_cbranch_execz .LBB168_273
; %bb.266:                              ;   in Loop: Header=BB168_12 Depth=1
	v_bfrev_b32_e32 v87, 1
	s_mov_b32 s42, exec_lo
	v_cmpx_ne_u16_e32 0x80, v39
	s_cbranch_execz .LBB168_272
; %bb.267:                              ;   in Loop: Header=BB168_12 Depth=1
	v_and_b32_sdwa v89, v39, v51 dst_sel:DWORD dst_unused:UNUSED_PAD src0_sel:WORD_0 src1_sel:DWORD
	v_mov_b32_e32 v87, 0x7f800001
	s_mov_b32 s43, exec_lo
	v_cmpx_ne_u32_e32 0x7f, v89
	s_cbranch_execz .LBB168_271
; %bb.268:                              ;   in Loop: Header=BB168_12 Depth=1
	v_and_b32_sdwa v33, v39, v52 dst_sel:DWORD dst_unused:UNUSED_PAD src0_sel:WORD_0 src1_sel:DWORD
	v_lshrrev_b32_e32 v40, 3, v89
	s_mov_b32 s44, exec_lo
	v_cmpx_gt_u32_e32 8, v89
; %bb.269:                              ;   in Loop: Header=BB168_12 Depth=1
	v_ffbh_u32_e32 v40, v33
	v_min_u32_e32 v40, 32, v40
	v_subrev_nc_u32_e32 v87, 28, v40
	v_sub_nc_u32_e32 v40, 29, v40
	v_lshlrev_b64 v[89:90], v87, v[33:34]
	v_and_b32_e32 v33, 7, v89
; %bb.270:                              ;   in Loop: Header=BB168_12 Depth=1
	s_or_b32 exec_lo, exec_lo, s44
	v_lshlrev_b32_e32 v39, 24, v39
	v_lshlrev_b32_e32 v33, 20, v33
	v_lshl_add_u32 v40, v40, 23, 0x3c000000
	v_and_b32_e32 v39, 0x80000000, v39
	v_or3_b32 v87, v33, v39, v40
.LBB168_271:                            ;   in Loop: Header=BB168_12 Depth=1
	s_or_b32 exec_lo, exec_lo, s43
.LBB168_272:                            ;   in Loop: Header=BB168_12 Depth=1
	s_or_b32 exec_lo, exec_lo, s42
.LBB168_273:                            ;   in Loop: Header=BB168_12 Depth=1
	s_or_b32 exec_lo, exec_lo, s41
	s_waitcnt lgkmcnt(0)
	v_mul_f32_e32 v33, s40, v57
	v_mul_f32_e32 v39, s40, v58
	;; [unrolled: 1-line block ×4, first 2 shown]
	v_fmac_f32_e32 v30, v29, v39
	v_mul_f32_e32 v29, s40, v59
	v_fmac_f32_e32 v30, v31, v33
	v_mul_f32_e32 v31, s40, v62
	;; [unrolled: 2-line block ×27, first 2 shown]
	v_fmac_f32_e32 v30, v1, v5
	v_xor_b32_e32 v1, 2, v45
	v_mul_f32_e32 v5, s40, v88
	v_fmac_f32_e32 v30, v2, v6
	v_cmp_gt_i32_e64 s2, 32, v1
	v_mul_f32_e32 v2, s40, v87
	v_fmac_f32_e32 v30, v3, v5
	v_cndmask_b32_e64 v1, v45, v1, s2
	v_fmac_f32_e32 v30, v4, v2
	v_lshlrev_b32_e32 v1, 2, v1
	v_xor_b32_e32 v2, 1, v45
	ds_bpermute_b32 v1, v1, v30
	v_cmp_gt_i32_e64 s2, 32, v2
	v_cndmask_b32_e64 v2, v45, v2, s2
	v_lshlrev_b32_e32 v2, 2, v2
	s_waitcnt lgkmcnt(0)
	v_add_f32_e32 v1, v30, v1
	ds_bpermute_b32 v2, v2, v1
	s_and_saveexec_b32 s40, vcc_lo
	s_cbranch_execz .LBB168_10
; %bb.274:                              ;   in Loop: Header=BB168_12 Depth=1
	v_add_nc_u32_e32 v3, v53, v49
	s_waitcnt lgkmcnt(0)
	v_add_f32_e32 v1, v1, v2
	v_cvt_f32_i32_e32 v3, v3
	v_mul_f32_e32 v3, s36, v3
	v_cndmask_b32_e64 v2, 0, v3, s1
	v_max_f32_e32 v3, v47, v47
	v_fmac_f32_e32 v2, s35, v1
	v_add_nc_u32_e32 v1, v46, v49
	v_max_f32_e32 v3, v3, v2
	v_cmp_gt_i32_e64 s2, s33, v1
	v_cndmask_b32_e64 v1, 0, v2, s2
	v_cndmask_b32_e64 v47, v47, v3, s2
	ds_write_b32 v54, v1
	s_branch .LBB168_10
.LBB168_275:
	s_or_b32 exec_lo, exec_lo, s38
.LBB168_276:
	s_or_b32 exec_lo, exec_lo, s37
	v_xor_b32_e32 v1, 16, v45
	v_xor_b32_e32 v3, 8, v45
	v_max_f32_e32 v4, v47, v47
	v_xor_b32_e32 v5, 4, v45
	v_and_b32_e32 v25, 31, v0
	v_cmp_gt_i32_e32 vcc_lo, 32, v1
	v_cndmask_b32_e32 v1, v45, v1, vcc_lo
	v_cmp_gt_i32_e32 vcc_lo, 32, v3
	s_waitcnt lgkmcnt(0)
	v_lshlrev_b32_e32 v2, 2, v1
	v_cndmask_b32_e32 v3, v45, v3, vcc_lo
	v_cmp_gt_i32_e32 vcc_lo, 32, v5
	ds_bpermute_b32 v1, v2, v47
	v_lshlrev_b32_e32 v3, 2, v3
	v_cndmask_b32_e32 v5, v45, v5, vcc_lo
	v_cmp_eq_u32_e32 vcc_lo, 0, v25
	v_lshlrev_b32_e32 v6, 2, v5
	s_waitcnt lgkmcnt(0)
	v_max_f32_e32 v1, v1, v1
	v_max_f32_e32 v1, v4, v1
	ds_bpermute_b32 v4, v3, v1
	s_waitcnt lgkmcnt(0)
	v_max_f32_e32 v4, v4, v4
	v_max_f32_e32 v1, v1, v4
	v_lshlrev_b32_e32 v4, 2, v41
	ds_bpermute_b32 v5, v6, v1
	s_and_saveexec_b32 s1, vcc_lo
	s_cbranch_execz .LBB168_278
; %bb.277:
	s_waitcnt lgkmcnt(0)
	v_max_f32_e32 v5, v5, v5
	v_max_f32_e32 v1, v1, v1
	;; [unrolled: 1-line block ×3, first 2 shown]
	ds_write_b32 v4, v1 offset:512
.LBB168_278:
	s_or_b32 exec_lo, exec_lo, s1
	v_cmp_gt_u32_e64 s1, 4, v25
	v_mov_b32_e32 v1, 0xff7fffff
	s_waitcnt lgkmcnt(0)
	v_lshlrev_b32_e32 v5, 2, v25
	s_barrier
	buffer_gl0_inv
	s_and_saveexec_b32 s2, s1
; %bb.279:
	ds_read_b32 v1, v5 offset:512
; %bb.280:
	s_or_b32 exec_lo, exec_lo, s2
	v_xor_b32_e32 v7, 2, v45
	v_xor_b32_e32 v9, 1, v45
	v_cmp_gt_i32_e64 s2, 32, v7
	v_cndmask_b32_e64 v7, v45, v7, s2
	v_cmp_gt_i32_e64 s2, 32, v9
	v_lshlrev_b32_e32 v7, 2, v7
	v_cndmask_b32_e64 v9, v45, v9, s2
	s_lshl_b32 s2, s20, 3
	s_min_i32 s4, s2, s33
	s_waitcnt lgkmcnt(0)
	ds_bpermute_b32 v8, v7, v1
	v_max_f32_e32 v1, v1, v1
	v_lshlrev_b32_e32 v26, 2, v9
	v_cmp_gt_i32_e64 s2, s4, v0
	s_waitcnt lgkmcnt(0)
	v_max_f32_e32 v8, v8, v8
	v_max_f32_e32 v1, v1, v8
	ds_bpermute_b32 v8, v26, v1
	s_waitcnt lgkmcnt(0)
	v_max_f32_e32 v8, v8, v8
	v_max_f32_e32 v1, v1, v8
	v_mov_b32_e32 v8, 0
	ds_bpermute_b32 v9, v8, v1
	v_lshl_add_u32 v1, v0, 2, 0x220
	s_and_saveexec_b32 s5, s2
	s_cbranch_execz .LBB168_284
; %bb.281:
	v_lshl_add_u32 v10, v0, 2, 0x220
	v_mov_b32_e32 v8, 0
	v_mov_b32_e32 v11, v0
	s_mov_b32 s12, 0
	.p2align	6
.LBB168_282:                            ; =>This Inner Loop Header: Depth=1
	ds_read_b32 v12, v10
	v_add_nc_u32_e32 v11, 0x80, v11
	v_cmp_le_i32_e64 s3, s4, v11
	s_or_b32 s12, s3, s12
	s_waitcnt lgkmcnt(0)
	v_sub_f32_e32 v12, v12, v9
	v_mul_f32_e32 v12, 0x3fb8aa3b, v12
	v_exp_f32_e32 v12, v12
	ds_write_b32 v10, v12
	v_add_f32_e32 v8, v8, v12
	v_add_nc_u32_e32 v10, 0x200, v10
	s_andn2_b32 exec_lo, exec_lo, s12
	s_cbranch_execnz .LBB168_282
; %bb.283:
	s_or_b32 exec_lo, exec_lo, s12
.LBB168_284:
	s_or_b32 exec_lo, exec_lo, s5
	ds_bpermute_b32 v2, v2, v8
	s_waitcnt lgkmcnt(0)
	v_add_f32_e32 v2, v8, v2
	ds_bpermute_b32 v3, v3, v2
	s_waitcnt lgkmcnt(0)
	v_add_f32_e32 v2, v2, v3
	ds_bpermute_b32 v3, v6, v2
	s_waitcnt lgkmcnt(0)
	v_add_f32_e32 v2, v2, v3
	ds_bpermute_b32 v3, v7, v2
	s_waitcnt lgkmcnt(0)
	v_add_f32_e32 v2, v2, v3
	ds_bpermute_b32 v3, v26, v2
	s_waitcnt lgkmcnt(0)
	v_add_f32_e32 v2, v2, v3
	s_and_saveexec_b32 s3, vcc_lo
; %bb.285:
	ds_write_b32 v4, v2 offset:528
; %bb.286:
	s_or_b32 exec_lo, exec_lo, s3
	s_waitcnt lgkmcnt(0)
	s_barrier
	buffer_gl0_inv
	s_and_saveexec_b32 s3, s1
; %bb.287:
	ds_read_b32 v2, v5 offset:528
; %bb.288:
	s_or_b32 exec_lo, exec_lo, s3
	s_waitcnt lgkmcnt(0)
	ds_bpermute_b32 v3, v7, v2
	s_waitcnt lgkmcnt(0)
	v_add_f32_e32 v2, v2, v3
	ds_bpermute_b32 v3, v26, v2
	s_waitcnt lgkmcnt(0)
	v_add_f32_e32 v2, v2, v3
	v_mov_b32_e32 v3, 0
	ds_bpermute_b32 v2, v3, v2
	s_and_saveexec_b32 s1, s2
	s_cbranch_execz .LBB168_291
; %bb.289:
	s_waitcnt lgkmcnt(0)
	v_add_f32_e32 v2, 0x358637bd, v2
	s_mov_b32 s2, 0
	v_div_scale_f32 v3, null, v2, v2, 1.0
	v_div_scale_f32 v6, vcc_lo, 1.0, v2, 1.0
	v_rcp_f32_e32 v4, v3
	v_fma_f32 v5, -v3, v4, 1.0
	v_fmac_f32_e32 v4, v5, v4
	v_mul_f32_e32 v5, v6, v4
	v_fma_f32 v7, -v3, v5, v6
	v_fmac_f32_e32 v5, v7, v4
	v_fma_f32 v3, -v3, v5, v6
	v_div_fmas_f32 v3, v3, v4, v5
	v_div_fixup_f32 v2, v3, v2, 1.0
	v_mov_b32_e32 v3, v0
.LBB168_290:                            ; =>This Inner Loop Header: Depth=1
	ds_read_b32 v4, v1
	v_add_nc_u32_e32 v3, 0x80, v3
	v_cmp_le_i32_e32 vcc_lo, s4, v3
	s_or_b32 s2, vcc_lo, s2
	s_waitcnt lgkmcnt(0)
	v_mul_f32_e32 v4, v2, v4
	ds_write_b32 v1, v4
	v_add_nc_u32_e32 v1, 0x200, v1
	s_andn2_b32 exec_lo, exec_lo, s2
	s_cbranch_execnz .LBB168_290
.LBB168_291:
	s_or_b32 exec_lo, exec_lo, s1
	v_mov_b32_e32 v35, 0
	v_and_b32_e32 v27, 1, v0
	v_mov_b32_e32 v34, 0
	v_mov_b32_e32 v33, 0
	;; [unrolled: 1-line block ×7, first 2 shown]
	s_waitcnt lgkmcnt(0)
	s_barrier
	buffer_gl0_inv
	s_and_saveexec_b32 s1, s0
	s_cbranch_execz .LBB168_569
; %bb.292:
	s_sub_i32 s2, s34, s21
	s_ashr_i32 s0, s18, 31
	s_add_u32 s5, s30, s18
	s_addc_u32 s0, s31, s0
	s_abs_i32 s3, s22
	v_and_b32_e32 v2, 0x7c, v43
	v_cvt_f32_u32_e32 v1, s3
	s_sub_i32 s4, 0, s3
	v_lshlrev_b32_e32 v4, 4, v27
	v_and_b32_e32 v3, 0x7c, v44
	v_add_co_u32 v11, s5, s5, v2
	v_rcp_iflag_f32_e32 v1, v1
	s_lshl_b64 s[12:13], s[28:29], 2
	v_lshl_or_b32 v4, v41, 5, v4
	v_add_co_ci_u32_e64 v12, null, s0, 0, s5
	v_and_b32_e32 v36, 4, v43
	v_mov_b32_e32 v6, 0
	v_mov_b32_e32 v37, 0x80
	v_bfrev_b32_e32 v8, 1
	v_mov_b32_e32 v38, 0xffff
	v_mul_f32_e32 v1, 0x4f7ffffe, v1
	v_mov_b32_e32 v10, 0x7f800001
	v_mov_b32_e32 v39, 0xff
	;; [unrolled: 1-line block ×4, first 2 shown]
	v_cvt_u32_f32_e32 v1, v1
	v_mov_b32_e32 v28, 0
	v_mov_b32_e32 v29, 0
	v_mov_b32_e32 v30, 0
	v_mov_b32_e32 v31, 0
	v_mul_lo_u32 v5, s4, v1
	s_add_i32 s4, s20, -1
	s_add_u32 s0, s26, s12
	s_addc_u32 s5, s27, s13
	v_add_co_u32 v13, s0, s0, v3
	v_mov_b32_e32 v32, 0
	v_mov_b32_e32 v33, 0
	v_mul_hi_u32 v2, v1, v5
	v_mov_b32_e32 v34, 0
	v_add_co_ci_u32_e64 v14, null, s5, 0, s0
	v_add_nc_u32_e32 v44, 0x220, v4
	v_mov_b32_e32 v35, 0
	v_mov_b32_e32 v46, v41
	s_mov_b32 s12, s17
	v_add_nc_u32_e32 v45, v1, v2
	s_mov_b32 s5, 0
	s_branch .LBB168_295
.LBB168_293:                            ;   in Loop: Header=BB168_295 Depth=1
	s_or_b32 exec_lo, exec_lo, s0
	v_mul_f32_e32 v16, v1, v76
	v_mul_f32_e32 v17, v1, v74
	v_mul_f32_e32 v18, v1, v70
	v_mul_f32_e32 v19, v1, v66
	v_mul_f32_e32 v20, v1, v62
	v_mul_f32_e32 v21, v1, v58
	v_mul_f32_e32 v22, v1, v50
	v_mul_f32_e32 v1, v1, v15
	v_fmac_f32_e32 v16, v2, v75
	v_fmac_f32_e32 v17, v2, v73
	;; [unrolled: 1-line block ×24, first 2 shown]
	v_add_f32_e32 v29, v29, v16
	v_add_f32_e32 v30, v30, v17
	;; [unrolled: 1-line block ×8, first 2 shown]
.LBB168_294:                            ;   in Loop: Header=BB168_295 Depth=1
	s_or_b32 exec_lo, exec_lo, s13
	v_add_nc_u32_e32 v46, 4, v46
	v_add_co_u32 v13, s0, v13, 16
	v_add_co_ci_u32_e64 v14, null, 0, v14, s0
	v_cmp_le_i32_e32 vcc_lo, s20, v46
	v_add_nc_u32_e32 v42, 32, v42
	v_add_nc_u32_e32 v44, 0x80, v44
	s_or_b32 s5, vcc_lo, s5
	s_andn2_b32 exec_lo, exec_lo, s5
	s_cbranch_execz .LBB168_568
.LBB168_295:                            ; =>This Inner Loop Header: Depth=1
	v_mul_hi_u32 v1, v42, s19
	v_mul_lo_u32 v2, v1, s16
	v_add_nc_u32_e32 v3, 1, v1
	v_sub_nc_u32_e32 v2, v42, v2
	v_subrev_nc_u32_e32 v4, s16, v2
	v_cmp_le_u32_e32 vcc_lo, s16, v2
	v_cndmask_b32_e32 v1, v1, v3, vcc_lo
	v_cndmask_b32_e32 v2, v2, v4, vcc_lo
	v_add_nc_u32_e32 v3, 1, v1
	v_cmp_le_u32_e32 vcc_lo, s16, v2
	v_cndmask_b32_e32 v1, v1, v3, vcc_lo
	v_xor_b32_e32 v1, s23, v1
	v_subrev_nc_u32_e32 v1, s23, v1
	v_add_nc_u32_e32 v2, s25, v1
	v_cmp_lt_i32_e64 s0, s2, v1
	v_sub_nc_u32_e32 v3, 0, v2
	v_max_i32_e32 v3, v2, v3
	v_ashrrev_i32_e32 v2, 31, v2
	v_mul_hi_u32 v4, v3, v45
	v_mul_lo_u32 v4, v4, s3
	v_sub_nc_u32_e32 v3, v3, v4
	v_subrev_nc_u32_e32 v4, s3, v3
	v_cmp_le_u32_e32 vcc_lo, s3, v3
	v_cndmask_b32_e32 v3, v3, v4, vcc_lo
	v_subrev_nc_u32_e32 v4, s3, v3
	v_cmp_le_u32_e32 vcc_lo, s3, v3
	v_cndmask_b32_e32 v3, v3, v4, vcc_lo
	v_xor_b32_e32 v3, v3, v2
	v_sub_nc_u32_e32 v2, v3, v2
	v_cmp_eq_u32_e32 vcc_lo, 0, v2
	s_or_b32 s0, vcc_lo, s0
	s_and_saveexec_b32 s13, s0
	s_cbranch_execz .LBB168_294
; %bb.296:                              ;   in Loop: Header=BB168_295 Depth=1
	global_load_dword v1, v[13:14], off
	s_load_dword s17, s[14:15], 0x0
	v_mov_b32_e32 v19, 0
	v_mov_b32_e32 v17, 0
	;; [unrolled: 1-line block ×4, first 2 shown]
	s_waitcnt vmcnt(0)
	v_mad_i64_i32 v[15:16], null, v1, s12, v[11:12]
	ds_read_b128 v[1:4], v44
	global_load_dword v47, v[15:16], off
	s_waitcnt vmcnt(0)
	v_cmp_ne_u16_sdwa s18, v47, v6 src0_sel:BYTE_0 src1_sel:DWORD
	s_and_saveexec_b32 s0, s18
	s_cbranch_execz .LBB168_304
; %bb.297:                              ;   in Loop: Header=BB168_295 Depth=1
	v_bfrev_b32_e32 v17, 1
	v_mov_b32_e32 v18, 0
	v_cmp_ne_u16_sdwa s21, v47, v37 src0_sel:BYTE_0 src1_sel:DWORD
	s_and_saveexec_b32 s18, s21
	s_cbranch_execz .LBB168_303
; %bb.298:                              ;   in Loop: Header=BB168_295 Depth=1
	v_mov_b32_e32 v17, 0x7f800001
	v_and_b32_e32 v9, 0x7f, v47
	v_mov_b32_e32 v18, 0
	s_mov_b32 s21, exec_lo
	v_cmpx_ne_u32_e32 0x7f, v9
	s_cbranch_execz .LBB168_302
; %bb.299:                              ;   in Loop: Header=BB168_295 Depth=1
	v_and_b32_e32 v5, 7, v47
	v_lshrrev_b32_e32 v7, 3, v9
	s_mov_b32 s22, exec_lo
	v_cmpx_gt_u32_e32 8, v9
; %bb.300:                              ;   in Loop: Header=BB168_295 Depth=1
	v_ffbh_u32_e32 v7, v5
	v_min_u32_e32 v7, 32, v7
	v_subrev_nc_u32_e32 v9, 28, v7
	v_sub_nc_u32_e32 v7, 29, v7
	v_lshlrev_b64 v[17:18], v9, v[5:6]
	v_and_b32_e32 v5, 7, v17
; %bb.301:                              ;   in Loop: Header=BB168_295 Depth=1
	s_or_b32 exec_lo, exec_lo, s22
	v_lshlrev_b32_e32 v9, 24, v47
	v_lshlrev_b32_e32 v5, 20, v5
	v_lshl_add_u32 v7, v7, 23, 0x3c000000
	v_and_b32_e32 v9, 0x80000000, v9
	v_or3_b32 v5, v5, v9, v7
	v_mov_b32_e32 v18, v6
	v_mov_b32_e32 v17, v5
.LBB168_302:                            ;   in Loop: Header=BB168_295 Depth=1
	s_or_b32 exec_lo, exec_lo, s21
.LBB168_303:                            ;   in Loop: Header=BB168_295 Depth=1
	s_or_b32 exec_lo, exec_lo, s18
.LBB168_304:                            ;   in Loop: Header=BB168_295 Depth=1
	s_or_b32 exec_lo, exec_lo, s0
	v_cmp_ne_u16_sdwa s18, v47, v6 src0_sel:BYTE_1 src1_sel:DWORD
	s_and_saveexec_b32 s0, s18
	s_cbranch_execz .LBB168_312
; %bb.305:                              ;   in Loop: Header=BB168_295 Depth=1
	v_mov_b32_e32 v7, v6
	v_mov_b32_e32 v20, v8
	v_cmp_ne_u16_sdwa s21, v47, v37 src0_sel:BYTE_1 src1_sel:DWORD
	v_mov_b32_e32 v19, v7
	s_and_saveexec_b32 s18, s21
	s_cbranch_execz .LBB168_311
; %bb.306:                              ;   in Loop: Header=BB168_295 Depth=1
	v_and_b32_sdwa v5, v38, v47 dst_sel:DWORD dst_unused:UNUSED_PAD src0_sel:DWORD src1_sel:BYTE_1
	v_mov_b32_e32 v9, v6
	v_mov_b32_e32 v20, v10
	s_mov_b32 s21, exec_lo
	v_and_b32_e32 v21, 0x7f, v5
	v_mov_b32_e32 v19, v9
	v_cmpx_ne_u32_e32 0x7f, v21
	s_cbranch_execz .LBB168_310
; %bb.307:                              ;   in Loop: Header=BB168_295 Depth=1
	v_and_b32_e32 v5, 7, v5
	v_lshrrev_b32_e32 v7, 3, v21
	s_mov_b32 s22, exec_lo
	v_cmpx_gt_u32_e32 8, v21
; %bb.308:                              ;   in Loop: Header=BB168_295 Depth=1
	v_ffbh_u32_e32 v7, v5
	v_min_u32_e32 v7, 32, v7
	v_subrev_nc_u32_e32 v9, 28, v7
	v_sub_nc_u32_e32 v7, 29, v7
	v_lshlrev_b64 v[19:20], v9, v[5:6]
	v_and_b32_e32 v5, 7, v19
; %bb.309:                              ;   in Loop: Header=BB168_295 Depth=1
	s_or_b32 exec_lo, exec_lo, s22
	v_lshlrev_b32_e32 v9, 16, v47
	v_lshlrev_b32_e32 v5, 20, v5
	v_lshl_add_u32 v7, v7, 23, 0x3c000000
	v_mov_b32_e32 v19, v6
	v_and_b32_e32 v9, 0x80000000, v9
	v_or3_b32 v20, v5, v9, v7
.LBB168_310:                            ;   in Loop: Header=BB168_295 Depth=1
	s_or_b32 exec_lo, exec_lo, s21
.LBB168_311:                            ;   in Loop: Header=BB168_295 Depth=1
	s_or_b32 exec_lo, exec_lo, s18
.LBB168_312:                            ;   in Loop: Header=BB168_295 Depth=1
	s_or_b32 exec_lo, exec_lo, s0
	v_mov_b32_e32 v23, 0
	v_mov_b32_e32 v21, 0
	v_and_b32_sdwa v5, v47, v39 dst_sel:DWORD dst_unused:UNUSED_PAD src0_sel:WORD_1 src1_sel:DWORD
	v_mov_b32_e32 v24, 0
	v_mov_b32_e32 v22, 0
	s_mov_b32 s0, exec_lo
	v_cmpx_ne_u16_e32 0, v5
	s_cbranch_execz .LBB168_320
; %bb.313:                              ;   in Loop: Header=BB168_295 Depth=1
	v_bfrev_b32_e32 v21, 1
	v_mov_b32_e32 v22, 0
	s_mov_b32 s18, exec_lo
	v_cmpx_ne_u16_e32 0x80, v5
	s_cbranch_execz .LBB168_319
; %bb.314:                              ;   in Loop: Header=BB168_295 Depth=1
	v_mov_b32_e32 v21, 0x7f800001
	v_bfe_u32 v9, v47, 16, 7
	v_mov_b32_e32 v22, 0
	s_mov_b32 s21, exec_lo
	v_cmpx_ne_u32_e32 0x7f, v9
	s_cbranch_execz .LBB168_318
; %bb.315:                              ;   in Loop: Header=BB168_295 Depth=1
	v_and_b32_sdwa v5, v47, v40 dst_sel:DWORD dst_unused:UNUSED_PAD src0_sel:WORD_1 src1_sel:DWORD
	v_lshrrev_b32_e32 v7, 3, v9
	s_mov_b32 s22, exec_lo
	v_cmpx_gt_u32_e32 8, v9
; %bb.316:                              ;   in Loop: Header=BB168_295 Depth=1
	v_ffbh_u32_e32 v7, v5
	v_min_u32_e32 v7, 32, v7
	v_subrev_nc_u32_e32 v9, 28, v7
	v_sub_nc_u32_e32 v7, 29, v7
	v_lshlrev_b64 v[21:22], v9, v[5:6]
	v_and_b32_e32 v5, 7, v21
; %bb.317:                              ;   in Loop: Header=BB168_295 Depth=1
	s_or_b32 exec_lo, exec_lo, s22
	v_lshlrev_b32_sdwa v9, v43, v47 dst_sel:DWORD dst_unused:UNUSED_PAD src0_sel:DWORD src1_sel:WORD_1
	v_lshlrev_b32_e32 v5, 20, v5
	v_lshl_add_u32 v7, v7, 23, 0x3c000000
	v_and_b32_e32 v9, 0x80000000, v9
	v_or3_b32 v5, v5, v9, v7
	v_mov_b32_e32 v22, v6
	v_mov_b32_e32 v21, v5
.LBB168_318:                            ;   in Loop: Header=BB168_295 Depth=1
	s_or_b32 exec_lo, exec_lo, s21
.LBB168_319:                            ;   in Loop: Header=BB168_295 Depth=1
	s_or_b32 exec_lo, exec_lo, s18
.LBB168_320:                            ;   in Loop: Header=BB168_295 Depth=1
	s_or_b32 exec_lo, exec_lo, s0
	s_mov_b32 s0, exec_lo
	v_cmpx_lt_u32_e32 0xffffff, v47
	s_cbranch_execz .LBB168_328
; %bb.321:                              ;   in Loop: Header=BB168_295 Depth=1
	v_mov_b32_e32 v7, v6
	v_mov_b32_e32 v24, v8
	v_cmp_ne_u32_sdwa s21, v47, v37 src0_sel:BYTE_3 src1_sel:DWORD
	v_mov_b32_e32 v23, v7
	s_and_saveexec_b32 s18, s21
	s_cbranch_execz .LBB168_327
; %bb.322:                              ;   in Loop: Header=BB168_295 Depth=1
	v_mov_b32_e32 v9, v6
	v_mov_b32_e32 v24, v10
	v_bfe_u32 v48, v47, 24, 7
	s_mov_b32 s21, exec_lo
	v_mov_b32_e32 v23, v9
	v_cmpx_ne_u32_e32 0x7f, v48
	s_cbranch_execz .LBB168_326
; %bb.323:                              ;   in Loop: Header=BB168_295 Depth=1
	v_and_b32_sdwa v5, v47, v40 dst_sel:DWORD dst_unused:UNUSED_PAD src0_sel:BYTE_3 src1_sel:DWORD
	v_lshrrev_b32_e32 v7, 3, v48
	s_mov_b32 s22, exec_lo
	v_cmpx_gt_u32_e32 8, v48
; %bb.324:                              ;   in Loop: Header=BB168_295 Depth=1
	v_ffbh_u32_e32 v7, v5
	v_min_u32_e32 v7, 32, v7
	v_subrev_nc_u32_e32 v9, 28, v7
	v_sub_nc_u32_e32 v7, 29, v7
	v_lshlrev_b64 v[23:24], v9, v[5:6]
	v_and_b32_e32 v5, 7, v23
; %bb.325:                              ;   in Loop: Header=BB168_295 Depth=1
	s_or_b32 exec_lo, exec_lo, s22
	v_lshlrev_b32_sdwa v9, v43, v47 dst_sel:DWORD dst_unused:UNUSED_PAD src0_sel:DWORD src1_sel:BYTE_3
	v_lshlrev_b32_e32 v5, 20, v5
	v_lshl_add_u32 v7, v7, 23, 0x3c000000
	v_mov_b32_e32 v23, v6
	v_and_b32_e32 v9, 0x80000000, v9
	v_or3_b32 v24, v5, v9, v7
.LBB168_326:                            ;   in Loop: Header=BB168_295 Depth=1
	s_or_b32 exec_lo, exec_lo, s21
.LBB168_327:                            ;   in Loop: Header=BB168_295 Depth=1
	s_or_b32 exec_lo, exec_lo, s18
.LBB168_328:                            ;   in Loop: Header=BB168_295 Depth=1
	s_or_b32 exec_lo, exec_lo, s0
	v_add_nc_u32_e32 v51, v36, v42
	v_or_b32_e32 v5, v20, v18
	v_or_b32_e32 v7, v19, v17
	;; [unrolled: 1-line block ×4, first 2 shown]
	v_cmp_eq_u32_e32 vcc_lo, s4, v46
	s_waitcnt lgkmcnt(0)
	v_mul_f32_e32 v49, s17, v5
	v_mul_f32_e32 v50, s17, v7
	;; [unrolled: 1-line block ×4, first 2 shown]
	v_add_nc_u32_e32 v54, 1, v51
	v_add_nc_u32_e32 v53, 2, v51
	;; [unrolled: 1-line block ×3, first 2 shown]
	s_and_saveexec_b32 s18, vcc_lo
	s_cbranch_execz .LBB168_330
; %bb.329:                              ;   in Loop: Header=BB168_295 Depth=1
	v_cmp_gt_i32_e64 s0, s33, v51
	v_cndmask_b32_e64 v50, 0, v50, s0
	v_cmp_gt_i32_e64 s0, s33, v54
	v_cndmask_b32_e64 v49, 0, v49, s0
	;; [unrolled: 2-line block ×4, first 2 shown]
.LBB168_330:                            ;   in Loop: Header=BB168_295 Depth=1
	s_or_b32 exec_lo, exec_lo, s18
	global_load_dword v55, v[15:16], off offset:128
	v_mov_b32_e32 v19, 0
	v_mov_b32_e32 v17, 0
	;; [unrolled: 1-line block ×4, first 2 shown]
	s_waitcnt vmcnt(0)
	v_cmp_ne_u16_sdwa s0, v55, v6 src0_sel:BYTE_0 src1_sel:DWORD
	s_and_saveexec_b32 s18, s0
	s_cbranch_execz .LBB168_338
; %bb.331:                              ;   in Loop: Header=BB168_295 Depth=1
	v_bfrev_b32_e32 v17, 1
	v_mov_b32_e32 v18, 0
	v_cmp_ne_u16_sdwa s0, v55, v37 src0_sel:BYTE_0 src1_sel:DWORD
	s_and_saveexec_b32 s21, s0
	s_cbranch_execz .LBB168_337
; %bb.332:                              ;   in Loop: Header=BB168_295 Depth=1
	v_mov_b32_e32 v17, 0x7f800001
	v_and_b32_e32 v9, 0x7f, v55
	v_mov_b32_e32 v18, 0
	s_mov_b32 s22, exec_lo
	v_cmpx_ne_u32_e32 0x7f, v9
	s_cbranch_execz .LBB168_336
; %bb.333:                              ;   in Loop: Header=BB168_295 Depth=1
	v_and_b32_e32 v5, 7, v55
	v_lshrrev_b32_e32 v7, 3, v9
	s_mov_b32 s26, exec_lo
	v_cmpx_gt_u32_e32 8, v9
; %bb.334:                              ;   in Loop: Header=BB168_295 Depth=1
	v_ffbh_u32_e32 v7, v5
	v_min_u32_e32 v7, 32, v7
	v_subrev_nc_u32_e32 v9, 28, v7
	v_sub_nc_u32_e32 v7, 29, v7
	v_lshlrev_b64 v[17:18], v9, v[5:6]
	v_and_b32_e32 v5, 7, v17
; %bb.335:                              ;   in Loop: Header=BB168_295 Depth=1
	s_or_b32 exec_lo, exec_lo, s26
	v_lshlrev_b32_e32 v9, 24, v55
	v_lshlrev_b32_e32 v5, 20, v5
	v_lshl_add_u32 v7, v7, 23, 0x3c000000
	v_and_b32_e32 v9, 0x80000000, v9
	v_or3_b32 v5, v5, v9, v7
	v_mov_b32_e32 v18, v6
	v_mov_b32_e32 v17, v5
.LBB168_336:                            ;   in Loop: Header=BB168_295 Depth=1
	s_or_b32 exec_lo, exec_lo, s22
.LBB168_337:                            ;   in Loop: Header=BB168_295 Depth=1
	s_or_b32 exec_lo, exec_lo, s21
.LBB168_338:                            ;   in Loop: Header=BB168_295 Depth=1
	s_or_b32 exec_lo, exec_lo, s18
	v_cmp_ne_u16_sdwa s0, v55, v6 src0_sel:BYTE_1 src1_sel:DWORD
	s_and_saveexec_b32 s18, s0
	s_cbranch_execz .LBB168_346
; %bb.339:                              ;   in Loop: Header=BB168_295 Depth=1
	v_mov_b32_e32 v7, v6
	v_mov_b32_e32 v20, v8
	v_cmp_ne_u16_sdwa s0, v55, v37 src0_sel:BYTE_1 src1_sel:DWORD
	v_mov_b32_e32 v19, v7
	s_and_saveexec_b32 s21, s0
	s_cbranch_execz .LBB168_345
; %bb.340:                              ;   in Loop: Header=BB168_295 Depth=1
	v_and_b32_sdwa v5, v38, v55 dst_sel:DWORD dst_unused:UNUSED_PAD src0_sel:DWORD src1_sel:BYTE_1
	v_mov_b32_e32 v9, v6
	v_mov_b32_e32 v20, v10
	s_mov_b32 s22, exec_lo
	v_and_b32_e32 v21, 0x7f, v5
	v_mov_b32_e32 v19, v9
	v_cmpx_ne_u32_e32 0x7f, v21
	s_cbranch_execz .LBB168_344
; %bb.341:                              ;   in Loop: Header=BB168_295 Depth=1
	v_and_b32_e32 v5, 7, v5
	v_lshrrev_b32_e32 v7, 3, v21
	s_mov_b32 s26, exec_lo
	v_cmpx_gt_u32_e32 8, v21
; %bb.342:                              ;   in Loop: Header=BB168_295 Depth=1
	v_ffbh_u32_e32 v7, v5
	v_min_u32_e32 v7, 32, v7
	v_subrev_nc_u32_e32 v9, 28, v7
	v_sub_nc_u32_e32 v7, 29, v7
	v_lshlrev_b64 v[19:20], v9, v[5:6]
	v_and_b32_e32 v5, 7, v19
; %bb.343:                              ;   in Loop: Header=BB168_295 Depth=1
	s_or_b32 exec_lo, exec_lo, s26
	v_lshlrev_b32_e32 v9, 16, v55
	v_lshlrev_b32_e32 v5, 20, v5
	v_lshl_add_u32 v7, v7, 23, 0x3c000000
	v_mov_b32_e32 v19, v6
	v_and_b32_e32 v9, 0x80000000, v9
	v_or3_b32 v20, v5, v9, v7
.LBB168_344:                            ;   in Loop: Header=BB168_295 Depth=1
	s_or_b32 exec_lo, exec_lo, s22
.LBB168_345:                            ;   in Loop: Header=BB168_295 Depth=1
	s_or_b32 exec_lo, exec_lo, s21
.LBB168_346:                            ;   in Loop: Header=BB168_295 Depth=1
	s_or_b32 exec_lo, exec_lo, s18
	v_mov_b32_e32 v23, 0
	v_mov_b32_e32 v21, 0
	v_and_b32_sdwa v5, v55, v39 dst_sel:DWORD dst_unused:UNUSED_PAD src0_sel:WORD_1 src1_sel:DWORD
	v_mov_b32_e32 v24, 0
	v_mov_b32_e32 v22, 0
	s_mov_b32 s18, exec_lo
	v_cmpx_ne_u16_e32 0, v5
	s_cbranch_execz .LBB168_354
; %bb.347:                              ;   in Loop: Header=BB168_295 Depth=1
	v_bfrev_b32_e32 v21, 1
	v_mov_b32_e32 v22, 0
	s_mov_b32 s21, exec_lo
	v_cmpx_ne_u16_e32 0x80, v5
	s_cbranch_execz .LBB168_353
; %bb.348:                              ;   in Loop: Header=BB168_295 Depth=1
	v_mov_b32_e32 v21, 0x7f800001
	v_bfe_u32 v9, v55, 16, 7
	v_mov_b32_e32 v22, 0
	s_mov_b32 s22, exec_lo
	v_cmpx_ne_u32_e32 0x7f, v9
	s_cbranch_execz .LBB168_352
; %bb.349:                              ;   in Loop: Header=BB168_295 Depth=1
	v_and_b32_sdwa v5, v55, v40 dst_sel:DWORD dst_unused:UNUSED_PAD src0_sel:WORD_1 src1_sel:DWORD
	v_lshrrev_b32_e32 v7, 3, v9
	s_mov_b32 s26, exec_lo
	v_cmpx_gt_u32_e32 8, v9
; %bb.350:                              ;   in Loop: Header=BB168_295 Depth=1
	v_ffbh_u32_e32 v7, v5
	v_min_u32_e32 v7, 32, v7
	v_subrev_nc_u32_e32 v9, 28, v7
	v_sub_nc_u32_e32 v7, 29, v7
	v_lshlrev_b64 v[21:22], v9, v[5:6]
	v_and_b32_e32 v5, 7, v21
; %bb.351:                              ;   in Loop: Header=BB168_295 Depth=1
	s_or_b32 exec_lo, exec_lo, s26
	v_lshlrev_b32_sdwa v9, v43, v55 dst_sel:DWORD dst_unused:UNUSED_PAD src0_sel:DWORD src1_sel:WORD_1
	v_lshlrev_b32_e32 v5, 20, v5
	v_lshl_add_u32 v7, v7, 23, 0x3c000000
	v_and_b32_e32 v9, 0x80000000, v9
	v_or3_b32 v5, v5, v9, v7
	v_mov_b32_e32 v22, v6
	v_mov_b32_e32 v21, v5
.LBB168_352:                            ;   in Loop: Header=BB168_295 Depth=1
	s_or_b32 exec_lo, exec_lo, s22
.LBB168_353:                            ;   in Loop: Header=BB168_295 Depth=1
	s_or_b32 exec_lo, exec_lo, s21
.LBB168_354:                            ;   in Loop: Header=BB168_295 Depth=1
	s_or_b32 exec_lo, exec_lo, s18
	s_mov_b32 s18, exec_lo
	v_cmpx_lt_u32_e32 0xffffff, v55
	s_cbranch_execz .LBB168_362
; %bb.355:                              ;   in Loop: Header=BB168_295 Depth=1
	v_mov_b32_e32 v7, v6
	v_mov_b32_e32 v24, v8
	v_cmp_ne_u32_sdwa s0, v55, v37 src0_sel:BYTE_3 src1_sel:DWORD
	v_mov_b32_e32 v23, v7
	s_and_saveexec_b32 s21, s0
	s_cbranch_execz .LBB168_361
; %bb.356:                              ;   in Loop: Header=BB168_295 Depth=1
	v_mov_b32_e32 v9, v6
	v_mov_b32_e32 v24, v10
	v_bfe_u32 v56, v55, 24, 7
	s_mov_b32 s22, exec_lo
	v_mov_b32_e32 v23, v9
	v_cmpx_ne_u32_e32 0x7f, v56
	s_cbranch_execz .LBB168_360
; %bb.357:                              ;   in Loop: Header=BB168_295 Depth=1
	v_and_b32_sdwa v5, v55, v40 dst_sel:DWORD dst_unused:UNUSED_PAD src0_sel:BYTE_3 src1_sel:DWORD
	v_lshrrev_b32_e32 v7, 3, v56
	s_mov_b32 s26, exec_lo
	v_cmpx_gt_u32_e32 8, v56
; %bb.358:                              ;   in Loop: Header=BB168_295 Depth=1
	v_ffbh_u32_e32 v7, v5
	v_min_u32_e32 v7, 32, v7
	v_subrev_nc_u32_e32 v9, 28, v7
	v_sub_nc_u32_e32 v7, 29, v7
	v_lshlrev_b64 v[23:24], v9, v[5:6]
	v_and_b32_e32 v5, 7, v23
; %bb.359:                              ;   in Loop: Header=BB168_295 Depth=1
	s_or_b32 exec_lo, exec_lo, s26
	v_lshlrev_b32_sdwa v9, v43, v55 dst_sel:DWORD dst_unused:UNUSED_PAD src0_sel:DWORD src1_sel:BYTE_3
	v_lshlrev_b32_e32 v5, 20, v5
	v_lshl_add_u32 v7, v7, 23, 0x3c000000
	v_mov_b32_e32 v23, v6
	v_and_b32_e32 v9, 0x80000000, v9
	v_or3_b32 v24, v5, v9, v7
.LBB168_360:                            ;   in Loop: Header=BB168_295 Depth=1
	s_or_b32 exec_lo, exec_lo, s22
.LBB168_361:                            ;   in Loop: Header=BB168_295 Depth=1
	s_or_b32 exec_lo, exec_lo, s21
.LBB168_362:                            ;   in Loop: Header=BB168_295 Depth=1
	s_or_b32 exec_lo, exec_lo, s18
	v_or_b32_e32 v5, v20, v18
	v_or_b32_e32 v7, v19, v17
	;; [unrolled: 1-line block ×4, first 2 shown]
	s_mov_b32 s18, s17
	v_mul_f32_e32 v57, s18, v5
	v_mul_f32_e32 v58, s17, v7
	;; [unrolled: 1-line block ×4, first 2 shown]
	s_and_saveexec_b32 s21, vcc_lo
	s_cbranch_execz .LBB168_364
; %bb.363:                              ;   in Loop: Header=BB168_295 Depth=1
	v_cmp_gt_i32_e64 s0, s33, v51
	v_cndmask_b32_e64 v58, 0, v58, s0
	v_cmp_gt_i32_e64 s0, s33, v54
	v_cndmask_b32_e64 v57, 0, v57, s0
	;; [unrolled: 2-line block ×4, first 2 shown]
.LBB168_364:                            ;   in Loop: Header=BB168_295 Depth=1
	s_or_b32 exec_lo, exec_lo, s21
	global_load_dword v59, v[15:16], off offset:256
	v_mov_b32_e32 v19, 0
	v_mov_b32_e32 v17, 0
	;; [unrolled: 1-line block ×4, first 2 shown]
	s_waitcnt vmcnt(0)
	v_cmp_ne_u16_sdwa s0, v59, v6 src0_sel:BYTE_0 src1_sel:DWORD
	s_and_saveexec_b32 s21, s0
	s_cbranch_execz .LBB168_372
; %bb.365:                              ;   in Loop: Header=BB168_295 Depth=1
	v_bfrev_b32_e32 v17, 1
	v_mov_b32_e32 v18, 0
	v_cmp_ne_u16_sdwa s0, v59, v37 src0_sel:BYTE_0 src1_sel:DWORD
	s_and_saveexec_b32 s22, s0
	s_cbranch_execz .LBB168_371
; %bb.366:                              ;   in Loop: Header=BB168_295 Depth=1
	v_mov_b32_e32 v17, 0x7f800001
	v_and_b32_e32 v9, 0x7f, v59
	v_mov_b32_e32 v18, 0
	s_mov_b32 s26, exec_lo
	v_cmpx_ne_u32_e32 0x7f, v9
	s_cbranch_execz .LBB168_370
; %bb.367:                              ;   in Loop: Header=BB168_295 Depth=1
	v_and_b32_e32 v5, 7, v59
	v_lshrrev_b32_e32 v7, 3, v9
	s_mov_b32 s27, exec_lo
	v_cmpx_gt_u32_e32 8, v9
; %bb.368:                              ;   in Loop: Header=BB168_295 Depth=1
	v_ffbh_u32_e32 v7, v5
	v_min_u32_e32 v7, 32, v7
	v_subrev_nc_u32_e32 v9, 28, v7
	v_sub_nc_u32_e32 v7, 29, v7
	v_lshlrev_b64 v[17:18], v9, v[5:6]
	v_and_b32_e32 v5, 7, v17
; %bb.369:                              ;   in Loop: Header=BB168_295 Depth=1
	s_or_b32 exec_lo, exec_lo, s27
	v_lshlrev_b32_e32 v9, 24, v59
	v_lshlrev_b32_e32 v5, 20, v5
	v_lshl_add_u32 v7, v7, 23, 0x3c000000
	v_and_b32_e32 v9, 0x80000000, v9
	v_or3_b32 v5, v5, v9, v7
	v_mov_b32_e32 v18, v6
	v_mov_b32_e32 v17, v5
.LBB168_370:                            ;   in Loop: Header=BB168_295 Depth=1
	s_or_b32 exec_lo, exec_lo, s26
.LBB168_371:                            ;   in Loop: Header=BB168_295 Depth=1
	s_or_b32 exec_lo, exec_lo, s22
.LBB168_372:                            ;   in Loop: Header=BB168_295 Depth=1
	s_or_b32 exec_lo, exec_lo, s21
	v_cmp_ne_u16_sdwa s0, v59, v6 src0_sel:BYTE_1 src1_sel:DWORD
	s_and_saveexec_b32 s21, s0
	s_cbranch_execz .LBB168_380
; %bb.373:                              ;   in Loop: Header=BB168_295 Depth=1
	v_mov_b32_e32 v7, v6
	v_mov_b32_e32 v20, v8
	v_cmp_ne_u16_sdwa s0, v59, v37 src0_sel:BYTE_1 src1_sel:DWORD
	v_mov_b32_e32 v19, v7
	s_and_saveexec_b32 s22, s0
	s_cbranch_execz .LBB168_379
; %bb.374:                              ;   in Loop: Header=BB168_295 Depth=1
	v_and_b32_sdwa v5, v38, v59 dst_sel:DWORD dst_unused:UNUSED_PAD src0_sel:DWORD src1_sel:BYTE_1
	v_mov_b32_e32 v9, v6
	v_mov_b32_e32 v20, v10
	s_mov_b32 s26, exec_lo
	v_and_b32_e32 v21, 0x7f, v5
	v_mov_b32_e32 v19, v9
	v_cmpx_ne_u32_e32 0x7f, v21
	s_cbranch_execz .LBB168_378
; %bb.375:                              ;   in Loop: Header=BB168_295 Depth=1
	v_and_b32_e32 v5, 7, v5
	v_lshrrev_b32_e32 v7, 3, v21
	s_mov_b32 s27, exec_lo
	v_cmpx_gt_u32_e32 8, v21
; %bb.376:                              ;   in Loop: Header=BB168_295 Depth=1
	v_ffbh_u32_e32 v7, v5
	v_min_u32_e32 v7, 32, v7
	v_subrev_nc_u32_e32 v9, 28, v7
	v_sub_nc_u32_e32 v7, 29, v7
	v_lshlrev_b64 v[19:20], v9, v[5:6]
	v_and_b32_e32 v5, 7, v19
; %bb.377:                              ;   in Loop: Header=BB168_295 Depth=1
	s_or_b32 exec_lo, exec_lo, s27
	v_lshlrev_b32_e32 v9, 16, v59
	v_lshlrev_b32_e32 v5, 20, v5
	v_lshl_add_u32 v7, v7, 23, 0x3c000000
	v_mov_b32_e32 v19, v6
	v_and_b32_e32 v9, 0x80000000, v9
	v_or3_b32 v20, v5, v9, v7
.LBB168_378:                            ;   in Loop: Header=BB168_295 Depth=1
	s_or_b32 exec_lo, exec_lo, s26
.LBB168_379:                            ;   in Loop: Header=BB168_295 Depth=1
	s_or_b32 exec_lo, exec_lo, s22
.LBB168_380:                            ;   in Loop: Header=BB168_295 Depth=1
	s_or_b32 exec_lo, exec_lo, s21
	v_mov_b32_e32 v23, 0
	v_mov_b32_e32 v21, 0
	v_and_b32_sdwa v5, v59, v39 dst_sel:DWORD dst_unused:UNUSED_PAD src0_sel:WORD_1 src1_sel:DWORD
	v_mov_b32_e32 v24, 0
	v_mov_b32_e32 v22, 0
	s_mov_b32 s21, exec_lo
	v_cmpx_ne_u16_e32 0, v5
	s_cbranch_execz .LBB168_388
; %bb.381:                              ;   in Loop: Header=BB168_295 Depth=1
	v_bfrev_b32_e32 v21, 1
	v_mov_b32_e32 v22, 0
	s_mov_b32 s22, exec_lo
	v_cmpx_ne_u16_e32 0x80, v5
	s_cbranch_execz .LBB168_387
; %bb.382:                              ;   in Loop: Header=BB168_295 Depth=1
	v_mov_b32_e32 v21, 0x7f800001
	v_bfe_u32 v9, v59, 16, 7
	v_mov_b32_e32 v22, 0
	s_mov_b32 s26, exec_lo
	v_cmpx_ne_u32_e32 0x7f, v9
	s_cbranch_execz .LBB168_386
; %bb.383:                              ;   in Loop: Header=BB168_295 Depth=1
	v_and_b32_sdwa v5, v59, v40 dst_sel:DWORD dst_unused:UNUSED_PAD src0_sel:WORD_1 src1_sel:DWORD
	v_lshrrev_b32_e32 v7, 3, v9
	s_mov_b32 s27, exec_lo
	v_cmpx_gt_u32_e32 8, v9
; %bb.384:                              ;   in Loop: Header=BB168_295 Depth=1
	v_ffbh_u32_e32 v7, v5
	v_min_u32_e32 v7, 32, v7
	v_subrev_nc_u32_e32 v9, 28, v7
	v_sub_nc_u32_e32 v7, 29, v7
	v_lshlrev_b64 v[21:22], v9, v[5:6]
	v_and_b32_e32 v5, 7, v21
; %bb.385:                              ;   in Loop: Header=BB168_295 Depth=1
	s_or_b32 exec_lo, exec_lo, s27
	v_lshlrev_b32_sdwa v9, v43, v59 dst_sel:DWORD dst_unused:UNUSED_PAD src0_sel:DWORD src1_sel:WORD_1
	v_lshlrev_b32_e32 v5, 20, v5
	v_lshl_add_u32 v7, v7, 23, 0x3c000000
	v_and_b32_e32 v9, 0x80000000, v9
	v_or3_b32 v5, v5, v9, v7
	v_mov_b32_e32 v22, v6
	v_mov_b32_e32 v21, v5
.LBB168_386:                            ;   in Loop: Header=BB168_295 Depth=1
	s_or_b32 exec_lo, exec_lo, s26
.LBB168_387:                            ;   in Loop: Header=BB168_295 Depth=1
	s_or_b32 exec_lo, exec_lo, s22
.LBB168_388:                            ;   in Loop: Header=BB168_295 Depth=1
	s_or_b32 exec_lo, exec_lo, s21
	s_mov_b32 s21, exec_lo
	v_cmpx_lt_u32_e32 0xffffff, v59
	s_cbranch_execz .LBB168_396
; %bb.389:                              ;   in Loop: Header=BB168_295 Depth=1
	v_mov_b32_e32 v7, v6
	v_mov_b32_e32 v24, v8
	v_cmp_ne_u32_sdwa s0, v59, v37 src0_sel:BYTE_3 src1_sel:DWORD
	v_mov_b32_e32 v23, v7
	s_and_saveexec_b32 s22, s0
	s_cbranch_execz .LBB168_395
; %bb.390:                              ;   in Loop: Header=BB168_295 Depth=1
	v_mov_b32_e32 v9, v6
	v_mov_b32_e32 v24, v10
	v_bfe_u32 v60, v59, 24, 7
	s_mov_b32 s26, exec_lo
	v_mov_b32_e32 v23, v9
	v_cmpx_ne_u32_e32 0x7f, v60
	s_cbranch_execz .LBB168_394
; %bb.391:                              ;   in Loop: Header=BB168_295 Depth=1
	v_and_b32_sdwa v5, v59, v40 dst_sel:DWORD dst_unused:UNUSED_PAD src0_sel:BYTE_3 src1_sel:DWORD
	v_lshrrev_b32_e32 v7, 3, v60
	s_mov_b32 s27, exec_lo
	v_cmpx_gt_u32_e32 8, v60
; %bb.392:                              ;   in Loop: Header=BB168_295 Depth=1
	v_ffbh_u32_e32 v7, v5
	v_min_u32_e32 v7, 32, v7
	v_subrev_nc_u32_e32 v9, 28, v7
	v_sub_nc_u32_e32 v7, 29, v7
	v_lshlrev_b64 v[23:24], v9, v[5:6]
	v_and_b32_e32 v5, 7, v23
; %bb.393:                              ;   in Loop: Header=BB168_295 Depth=1
	s_or_b32 exec_lo, exec_lo, s27
	v_lshlrev_b32_sdwa v9, v43, v59 dst_sel:DWORD dst_unused:UNUSED_PAD src0_sel:DWORD src1_sel:BYTE_3
	v_lshlrev_b32_e32 v5, 20, v5
	v_lshl_add_u32 v7, v7, 23, 0x3c000000
	v_mov_b32_e32 v23, v6
	v_and_b32_e32 v9, 0x80000000, v9
	v_or3_b32 v24, v5, v9, v7
.LBB168_394:                            ;   in Loop: Header=BB168_295 Depth=1
	s_or_b32 exec_lo, exec_lo, s26
.LBB168_395:                            ;   in Loop: Header=BB168_295 Depth=1
	s_or_b32 exec_lo, exec_lo, s22
.LBB168_396:                            ;   in Loop: Header=BB168_295 Depth=1
	s_or_b32 exec_lo, exec_lo, s21
	v_or_b32_e32 v5, v20, v18
	v_or_b32_e32 v7, v19, v17
	v_or_b32_e32 v9, v23, v21
	v_or_b32_e32 v17, v24, v22
	v_mul_f32_e32 v61, s18, v5
	v_mul_f32_e32 v62, s17, v7
	;; [unrolled: 1-line block ×4, first 2 shown]
	s_and_saveexec_b32 s21, vcc_lo
	s_cbranch_execz .LBB168_398
; %bb.397:                              ;   in Loop: Header=BB168_295 Depth=1
	v_cmp_gt_i32_e64 s0, s33, v51
	v_cndmask_b32_e64 v62, 0, v62, s0
	v_cmp_gt_i32_e64 s0, s33, v54
	v_cndmask_b32_e64 v61, 0, v61, s0
	;; [unrolled: 2-line block ×4, first 2 shown]
.LBB168_398:                            ;   in Loop: Header=BB168_295 Depth=1
	s_or_b32 exec_lo, exec_lo, s21
	global_load_dword v63, v[15:16], off offset:384
	v_mov_b32_e32 v19, 0
	v_mov_b32_e32 v17, 0
	v_mov_b32_e32 v20, 0
	v_mov_b32_e32 v18, 0
	s_waitcnt vmcnt(0)
	v_cmp_ne_u16_sdwa s0, v63, v6 src0_sel:BYTE_0 src1_sel:DWORD
	s_and_saveexec_b32 s21, s0
	s_cbranch_execz .LBB168_406
; %bb.399:                              ;   in Loop: Header=BB168_295 Depth=1
	v_bfrev_b32_e32 v17, 1
	v_mov_b32_e32 v18, 0
	v_cmp_ne_u16_sdwa s0, v63, v37 src0_sel:BYTE_0 src1_sel:DWORD
	s_and_saveexec_b32 s22, s0
	s_cbranch_execz .LBB168_405
; %bb.400:                              ;   in Loop: Header=BB168_295 Depth=1
	v_mov_b32_e32 v17, 0x7f800001
	v_and_b32_e32 v9, 0x7f, v63
	v_mov_b32_e32 v18, 0
	s_mov_b32 s26, exec_lo
	v_cmpx_ne_u32_e32 0x7f, v9
	s_cbranch_execz .LBB168_404
; %bb.401:                              ;   in Loop: Header=BB168_295 Depth=1
	v_and_b32_e32 v5, 7, v63
	v_lshrrev_b32_e32 v7, 3, v9
	s_mov_b32 s27, exec_lo
	v_cmpx_gt_u32_e32 8, v9
; %bb.402:                              ;   in Loop: Header=BB168_295 Depth=1
	v_ffbh_u32_e32 v7, v5
	v_min_u32_e32 v7, 32, v7
	v_subrev_nc_u32_e32 v9, 28, v7
	v_sub_nc_u32_e32 v7, 29, v7
	v_lshlrev_b64 v[17:18], v9, v[5:6]
	v_and_b32_e32 v5, 7, v17
; %bb.403:                              ;   in Loop: Header=BB168_295 Depth=1
	s_or_b32 exec_lo, exec_lo, s27
	v_lshlrev_b32_e32 v9, 24, v63
	v_lshlrev_b32_e32 v5, 20, v5
	v_lshl_add_u32 v7, v7, 23, 0x3c000000
	v_and_b32_e32 v9, 0x80000000, v9
	v_or3_b32 v5, v5, v9, v7
	v_mov_b32_e32 v18, v6
	v_mov_b32_e32 v17, v5
.LBB168_404:                            ;   in Loop: Header=BB168_295 Depth=1
	s_or_b32 exec_lo, exec_lo, s26
.LBB168_405:                            ;   in Loop: Header=BB168_295 Depth=1
	s_or_b32 exec_lo, exec_lo, s22
.LBB168_406:                            ;   in Loop: Header=BB168_295 Depth=1
	s_or_b32 exec_lo, exec_lo, s21
	v_cmp_ne_u16_sdwa s0, v63, v6 src0_sel:BYTE_1 src1_sel:DWORD
	s_and_saveexec_b32 s21, s0
	s_cbranch_execz .LBB168_414
; %bb.407:                              ;   in Loop: Header=BB168_295 Depth=1
	v_mov_b32_e32 v7, v6
	v_mov_b32_e32 v20, v8
	v_cmp_ne_u16_sdwa s0, v63, v37 src0_sel:BYTE_1 src1_sel:DWORD
	v_mov_b32_e32 v19, v7
	s_and_saveexec_b32 s22, s0
	s_cbranch_execz .LBB168_413
; %bb.408:                              ;   in Loop: Header=BB168_295 Depth=1
	v_and_b32_sdwa v5, v38, v63 dst_sel:DWORD dst_unused:UNUSED_PAD src0_sel:DWORD src1_sel:BYTE_1
	v_mov_b32_e32 v9, v6
	v_mov_b32_e32 v20, v10
	s_mov_b32 s26, exec_lo
	v_and_b32_e32 v21, 0x7f, v5
	v_mov_b32_e32 v19, v9
	v_cmpx_ne_u32_e32 0x7f, v21
	s_cbranch_execz .LBB168_412
; %bb.409:                              ;   in Loop: Header=BB168_295 Depth=1
	v_and_b32_e32 v5, 7, v5
	v_lshrrev_b32_e32 v7, 3, v21
	s_mov_b32 s27, exec_lo
	v_cmpx_gt_u32_e32 8, v21
; %bb.410:                              ;   in Loop: Header=BB168_295 Depth=1
	v_ffbh_u32_e32 v7, v5
	v_min_u32_e32 v7, 32, v7
	v_subrev_nc_u32_e32 v9, 28, v7
	v_sub_nc_u32_e32 v7, 29, v7
	v_lshlrev_b64 v[19:20], v9, v[5:6]
	v_and_b32_e32 v5, 7, v19
; %bb.411:                              ;   in Loop: Header=BB168_295 Depth=1
	s_or_b32 exec_lo, exec_lo, s27
	v_lshlrev_b32_e32 v9, 16, v63
	v_lshlrev_b32_e32 v5, 20, v5
	v_lshl_add_u32 v7, v7, 23, 0x3c000000
	v_mov_b32_e32 v19, v6
	v_and_b32_e32 v9, 0x80000000, v9
	v_or3_b32 v20, v5, v9, v7
.LBB168_412:                            ;   in Loop: Header=BB168_295 Depth=1
	s_or_b32 exec_lo, exec_lo, s26
.LBB168_413:                            ;   in Loop: Header=BB168_295 Depth=1
	s_or_b32 exec_lo, exec_lo, s22
.LBB168_414:                            ;   in Loop: Header=BB168_295 Depth=1
	s_or_b32 exec_lo, exec_lo, s21
	v_mov_b32_e32 v23, 0
	v_mov_b32_e32 v21, 0
	v_and_b32_sdwa v5, v63, v39 dst_sel:DWORD dst_unused:UNUSED_PAD src0_sel:WORD_1 src1_sel:DWORD
	v_mov_b32_e32 v24, 0
	v_mov_b32_e32 v22, 0
	s_mov_b32 s21, exec_lo
	v_cmpx_ne_u16_e32 0, v5
	s_cbranch_execz .LBB168_422
; %bb.415:                              ;   in Loop: Header=BB168_295 Depth=1
	v_bfrev_b32_e32 v21, 1
	v_mov_b32_e32 v22, 0
	s_mov_b32 s22, exec_lo
	v_cmpx_ne_u16_e32 0x80, v5
	s_cbranch_execz .LBB168_421
; %bb.416:                              ;   in Loop: Header=BB168_295 Depth=1
	v_mov_b32_e32 v21, 0x7f800001
	v_bfe_u32 v9, v63, 16, 7
	v_mov_b32_e32 v22, 0
	s_mov_b32 s26, exec_lo
	v_cmpx_ne_u32_e32 0x7f, v9
	s_cbranch_execz .LBB168_420
; %bb.417:                              ;   in Loop: Header=BB168_295 Depth=1
	v_and_b32_sdwa v5, v63, v40 dst_sel:DWORD dst_unused:UNUSED_PAD src0_sel:WORD_1 src1_sel:DWORD
	v_lshrrev_b32_e32 v7, 3, v9
	s_mov_b32 s27, exec_lo
	v_cmpx_gt_u32_e32 8, v9
; %bb.418:                              ;   in Loop: Header=BB168_295 Depth=1
	v_ffbh_u32_e32 v7, v5
	v_min_u32_e32 v7, 32, v7
	v_subrev_nc_u32_e32 v9, 28, v7
	v_sub_nc_u32_e32 v7, 29, v7
	v_lshlrev_b64 v[21:22], v9, v[5:6]
	v_and_b32_e32 v5, 7, v21
; %bb.419:                              ;   in Loop: Header=BB168_295 Depth=1
	s_or_b32 exec_lo, exec_lo, s27
	v_lshlrev_b32_sdwa v9, v43, v63 dst_sel:DWORD dst_unused:UNUSED_PAD src0_sel:DWORD src1_sel:WORD_1
	v_lshlrev_b32_e32 v5, 20, v5
	v_lshl_add_u32 v7, v7, 23, 0x3c000000
	v_and_b32_e32 v9, 0x80000000, v9
	v_or3_b32 v5, v5, v9, v7
	v_mov_b32_e32 v22, v6
	v_mov_b32_e32 v21, v5
.LBB168_420:                            ;   in Loop: Header=BB168_295 Depth=1
	s_or_b32 exec_lo, exec_lo, s26
.LBB168_421:                            ;   in Loop: Header=BB168_295 Depth=1
	s_or_b32 exec_lo, exec_lo, s22
.LBB168_422:                            ;   in Loop: Header=BB168_295 Depth=1
	s_or_b32 exec_lo, exec_lo, s21
	s_mov_b32 s21, exec_lo
	v_cmpx_lt_u32_e32 0xffffff, v63
	s_cbranch_execz .LBB168_430
; %bb.423:                              ;   in Loop: Header=BB168_295 Depth=1
	v_mov_b32_e32 v7, v6
	v_mov_b32_e32 v24, v8
	v_cmp_ne_u32_sdwa s0, v63, v37 src0_sel:BYTE_3 src1_sel:DWORD
	v_mov_b32_e32 v23, v7
	s_and_saveexec_b32 s22, s0
	s_cbranch_execz .LBB168_429
; %bb.424:                              ;   in Loop: Header=BB168_295 Depth=1
	v_mov_b32_e32 v9, v6
	v_mov_b32_e32 v24, v10
	v_bfe_u32 v64, v63, 24, 7
	s_mov_b32 s26, exec_lo
	v_mov_b32_e32 v23, v9
	v_cmpx_ne_u32_e32 0x7f, v64
	s_cbranch_execz .LBB168_428
; %bb.425:                              ;   in Loop: Header=BB168_295 Depth=1
	v_and_b32_sdwa v5, v63, v40 dst_sel:DWORD dst_unused:UNUSED_PAD src0_sel:BYTE_3 src1_sel:DWORD
	v_lshrrev_b32_e32 v7, 3, v64
	s_mov_b32 s27, exec_lo
	v_cmpx_gt_u32_e32 8, v64
; %bb.426:                              ;   in Loop: Header=BB168_295 Depth=1
	v_ffbh_u32_e32 v7, v5
	v_min_u32_e32 v7, 32, v7
	v_subrev_nc_u32_e32 v9, 28, v7
	v_sub_nc_u32_e32 v7, 29, v7
	v_lshlrev_b64 v[23:24], v9, v[5:6]
	v_and_b32_e32 v5, 7, v23
; %bb.427:                              ;   in Loop: Header=BB168_295 Depth=1
	s_or_b32 exec_lo, exec_lo, s27
	v_lshlrev_b32_sdwa v9, v43, v63 dst_sel:DWORD dst_unused:UNUSED_PAD src0_sel:DWORD src1_sel:BYTE_3
	v_lshlrev_b32_e32 v5, 20, v5
	v_lshl_add_u32 v7, v7, 23, 0x3c000000
	v_mov_b32_e32 v23, v6
	v_and_b32_e32 v9, 0x80000000, v9
	v_or3_b32 v24, v5, v9, v7
.LBB168_428:                            ;   in Loop: Header=BB168_295 Depth=1
	s_or_b32 exec_lo, exec_lo, s26
.LBB168_429:                            ;   in Loop: Header=BB168_295 Depth=1
	s_or_b32 exec_lo, exec_lo, s22
.LBB168_430:                            ;   in Loop: Header=BB168_295 Depth=1
	s_or_b32 exec_lo, exec_lo, s21
	v_or_b32_e32 v5, v20, v18
	v_or_b32_e32 v7, v19, v17
	;; [unrolled: 1-line block ×4, first 2 shown]
	v_mul_f32_e32 v65, s18, v5
	v_mul_f32_e32 v66, s17, v7
	v_mul_f32_e32 v64, s17, v9
	v_mul_f32_e32 v63, s18, v17
	s_and_saveexec_b32 s21, vcc_lo
	s_cbranch_execz .LBB168_432
; %bb.431:                              ;   in Loop: Header=BB168_295 Depth=1
	v_cmp_gt_i32_e64 s0, s33, v51
	v_cndmask_b32_e64 v66, 0, v66, s0
	v_cmp_gt_i32_e64 s0, s33, v54
	v_cndmask_b32_e64 v65, 0, v65, s0
	;; [unrolled: 2-line block ×4, first 2 shown]
.LBB168_432:                            ;   in Loop: Header=BB168_295 Depth=1
	s_or_b32 exec_lo, exec_lo, s21
	global_load_dword v67, v[15:16], off offset:512
	v_mov_b32_e32 v19, 0
	v_mov_b32_e32 v17, 0
	;; [unrolled: 1-line block ×4, first 2 shown]
	s_waitcnt vmcnt(0)
	v_cmp_ne_u16_sdwa s0, v67, v6 src0_sel:BYTE_0 src1_sel:DWORD
	s_and_saveexec_b32 s21, s0
	s_cbranch_execz .LBB168_440
; %bb.433:                              ;   in Loop: Header=BB168_295 Depth=1
	v_bfrev_b32_e32 v17, 1
	v_mov_b32_e32 v18, 0
	v_cmp_ne_u16_sdwa s0, v67, v37 src0_sel:BYTE_0 src1_sel:DWORD
	s_and_saveexec_b32 s22, s0
	s_cbranch_execz .LBB168_439
; %bb.434:                              ;   in Loop: Header=BB168_295 Depth=1
	v_mov_b32_e32 v17, 0x7f800001
	v_and_b32_e32 v9, 0x7f, v67
	v_mov_b32_e32 v18, 0
	s_mov_b32 s26, exec_lo
	v_cmpx_ne_u32_e32 0x7f, v9
	s_cbranch_execz .LBB168_438
; %bb.435:                              ;   in Loop: Header=BB168_295 Depth=1
	v_and_b32_e32 v5, 7, v67
	v_lshrrev_b32_e32 v7, 3, v9
	s_mov_b32 s27, exec_lo
	v_cmpx_gt_u32_e32 8, v9
; %bb.436:                              ;   in Loop: Header=BB168_295 Depth=1
	v_ffbh_u32_e32 v7, v5
	v_min_u32_e32 v7, 32, v7
	v_subrev_nc_u32_e32 v9, 28, v7
	v_sub_nc_u32_e32 v7, 29, v7
	v_lshlrev_b64 v[17:18], v9, v[5:6]
	v_and_b32_e32 v5, 7, v17
; %bb.437:                              ;   in Loop: Header=BB168_295 Depth=1
	s_or_b32 exec_lo, exec_lo, s27
	v_lshlrev_b32_e32 v9, 24, v67
	v_lshlrev_b32_e32 v5, 20, v5
	v_lshl_add_u32 v7, v7, 23, 0x3c000000
	v_and_b32_e32 v9, 0x80000000, v9
	v_or3_b32 v5, v5, v9, v7
	v_mov_b32_e32 v18, v6
	v_mov_b32_e32 v17, v5
.LBB168_438:                            ;   in Loop: Header=BB168_295 Depth=1
	s_or_b32 exec_lo, exec_lo, s26
.LBB168_439:                            ;   in Loop: Header=BB168_295 Depth=1
	s_or_b32 exec_lo, exec_lo, s22
.LBB168_440:                            ;   in Loop: Header=BB168_295 Depth=1
	s_or_b32 exec_lo, exec_lo, s21
	v_cmp_ne_u16_sdwa s0, v67, v6 src0_sel:BYTE_1 src1_sel:DWORD
	s_and_saveexec_b32 s21, s0
	s_cbranch_execz .LBB168_448
; %bb.441:                              ;   in Loop: Header=BB168_295 Depth=1
	v_mov_b32_e32 v7, v6
	v_mov_b32_e32 v20, v8
	v_cmp_ne_u16_sdwa s0, v67, v37 src0_sel:BYTE_1 src1_sel:DWORD
	v_mov_b32_e32 v19, v7
	s_and_saveexec_b32 s22, s0
	s_cbranch_execz .LBB168_447
; %bb.442:                              ;   in Loop: Header=BB168_295 Depth=1
	v_and_b32_sdwa v5, v38, v67 dst_sel:DWORD dst_unused:UNUSED_PAD src0_sel:DWORD src1_sel:BYTE_1
	v_mov_b32_e32 v9, v6
	v_mov_b32_e32 v20, v10
	s_mov_b32 s26, exec_lo
	v_and_b32_e32 v21, 0x7f, v5
	v_mov_b32_e32 v19, v9
	v_cmpx_ne_u32_e32 0x7f, v21
	s_cbranch_execz .LBB168_446
; %bb.443:                              ;   in Loop: Header=BB168_295 Depth=1
	v_and_b32_e32 v5, 7, v5
	v_lshrrev_b32_e32 v7, 3, v21
	s_mov_b32 s27, exec_lo
	v_cmpx_gt_u32_e32 8, v21
; %bb.444:                              ;   in Loop: Header=BB168_295 Depth=1
	v_ffbh_u32_e32 v7, v5
	v_min_u32_e32 v7, 32, v7
	v_subrev_nc_u32_e32 v9, 28, v7
	v_sub_nc_u32_e32 v7, 29, v7
	v_lshlrev_b64 v[19:20], v9, v[5:6]
	v_and_b32_e32 v5, 7, v19
; %bb.445:                              ;   in Loop: Header=BB168_295 Depth=1
	s_or_b32 exec_lo, exec_lo, s27
	v_lshlrev_b32_e32 v9, 16, v67
	v_lshlrev_b32_e32 v5, 20, v5
	v_lshl_add_u32 v7, v7, 23, 0x3c000000
	v_mov_b32_e32 v19, v6
	v_and_b32_e32 v9, 0x80000000, v9
	v_or3_b32 v20, v5, v9, v7
.LBB168_446:                            ;   in Loop: Header=BB168_295 Depth=1
	s_or_b32 exec_lo, exec_lo, s26
.LBB168_447:                            ;   in Loop: Header=BB168_295 Depth=1
	s_or_b32 exec_lo, exec_lo, s22
.LBB168_448:                            ;   in Loop: Header=BB168_295 Depth=1
	s_or_b32 exec_lo, exec_lo, s21
	v_mov_b32_e32 v23, 0
	v_mov_b32_e32 v21, 0
	v_and_b32_sdwa v5, v67, v39 dst_sel:DWORD dst_unused:UNUSED_PAD src0_sel:WORD_1 src1_sel:DWORD
	v_mov_b32_e32 v24, 0
	v_mov_b32_e32 v22, 0
	s_mov_b32 s21, exec_lo
	v_cmpx_ne_u16_e32 0, v5
	s_cbranch_execz .LBB168_456
; %bb.449:                              ;   in Loop: Header=BB168_295 Depth=1
	v_bfrev_b32_e32 v21, 1
	v_mov_b32_e32 v22, 0
	s_mov_b32 s22, exec_lo
	v_cmpx_ne_u16_e32 0x80, v5
	s_cbranch_execz .LBB168_455
; %bb.450:                              ;   in Loop: Header=BB168_295 Depth=1
	v_mov_b32_e32 v21, 0x7f800001
	v_bfe_u32 v9, v67, 16, 7
	v_mov_b32_e32 v22, 0
	s_mov_b32 s26, exec_lo
	v_cmpx_ne_u32_e32 0x7f, v9
	s_cbranch_execz .LBB168_454
; %bb.451:                              ;   in Loop: Header=BB168_295 Depth=1
	v_and_b32_sdwa v5, v67, v40 dst_sel:DWORD dst_unused:UNUSED_PAD src0_sel:WORD_1 src1_sel:DWORD
	v_lshrrev_b32_e32 v7, 3, v9
	s_mov_b32 s27, exec_lo
	v_cmpx_gt_u32_e32 8, v9
; %bb.452:                              ;   in Loop: Header=BB168_295 Depth=1
	v_ffbh_u32_e32 v7, v5
	v_min_u32_e32 v7, 32, v7
	v_subrev_nc_u32_e32 v9, 28, v7
	v_sub_nc_u32_e32 v7, 29, v7
	v_lshlrev_b64 v[21:22], v9, v[5:6]
	v_and_b32_e32 v5, 7, v21
; %bb.453:                              ;   in Loop: Header=BB168_295 Depth=1
	s_or_b32 exec_lo, exec_lo, s27
	v_lshlrev_b32_sdwa v9, v43, v67 dst_sel:DWORD dst_unused:UNUSED_PAD src0_sel:DWORD src1_sel:WORD_1
	v_lshlrev_b32_e32 v5, 20, v5
	v_lshl_add_u32 v7, v7, 23, 0x3c000000
	v_and_b32_e32 v9, 0x80000000, v9
	v_or3_b32 v5, v5, v9, v7
	v_mov_b32_e32 v22, v6
	v_mov_b32_e32 v21, v5
.LBB168_454:                            ;   in Loop: Header=BB168_295 Depth=1
	s_or_b32 exec_lo, exec_lo, s26
.LBB168_455:                            ;   in Loop: Header=BB168_295 Depth=1
	s_or_b32 exec_lo, exec_lo, s22
.LBB168_456:                            ;   in Loop: Header=BB168_295 Depth=1
	s_or_b32 exec_lo, exec_lo, s21
	s_mov_b32 s21, exec_lo
	v_cmpx_lt_u32_e32 0xffffff, v67
	s_cbranch_execz .LBB168_464
; %bb.457:                              ;   in Loop: Header=BB168_295 Depth=1
	v_mov_b32_e32 v7, v6
	v_mov_b32_e32 v24, v8
	v_cmp_ne_u32_sdwa s0, v67, v37 src0_sel:BYTE_3 src1_sel:DWORD
	v_mov_b32_e32 v23, v7
	s_and_saveexec_b32 s22, s0
	s_cbranch_execz .LBB168_463
; %bb.458:                              ;   in Loop: Header=BB168_295 Depth=1
	v_mov_b32_e32 v9, v6
	v_mov_b32_e32 v24, v10
	v_bfe_u32 v68, v67, 24, 7
	s_mov_b32 s26, exec_lo
	v_mov_b32_e32 v23, v9
	v_cmpx_ne_u32_e32 0x7f, v68
	s_cbranch_execz .LBB168_462
; %bb.459:                              ;   in Loop: Header=BB168_295 Depth=1
	v_and_b32_sdwa v5, v67, v40 dst_sel:DWORD dst_unused:UNUSED_PAD src0_sel:BYTE_3 src1_sel:DWORD
	v_lshrrev_b32_e32 v7, 3, v68
	s_mov_b32 s27, exec_lo
	v_cmpx_gt_u32_e32 8, v68
; %bb.460:                              ;   in Loop: Header=BB168_295 Depth=1
	v_ffbh_u32_e32 v7, v5
	v_min_u32_e32 v7, 32, v7
	v_subrev_nc_u32_e32 v9, 28, v7
	v_sub_nc_u32_e32 v7, 29, v7
	v_lshlrev_b64 v[23:24], v9, v[5:6]
	v_and_b32_e32 v5, 7, v23
; %bb.461:                              ;   in Loop: Header=BB168_295 Depth=1
	s_or_b32 exec_lo, exec_lo, s27
	v_lshlrev_b32_sdwa v9, v43, v67 dst_sel:DWORD dst_unused:UNUSED_PAD src0_sel:DWORD src1_sel:BYTE_3
	v_lshlrev_b32_e32 v5, 20, v5
	v_lshl_add_u32 v7, v7, 23, 0x3c000000
	v_mov_b32_e32 v23, v6
	v_and_b32_e32 v9, 0x80000000, v9
	v_or3_b32 v24, v5, v9, v7
.LBB168_462:                            ;   in Loop: Header=BB168_295 Depth=1
	s_or_b32 exec_lo, exec_lo, s26
.LBB168_463:                            ;   in Loop: Header=BB168_295 Depth=1
	s_or_b32 exec_lo, exec_lo, s22
.LBB168_464:                            ;   in Loop: Header=BB168_295 Depth=1
	s_or_b32 exec_lo, exec_lo, s21
	v_or_b32_e32 v5, v20, v18
	v_or_b32_e32 v7, v19, v17
	;; [unrolled: 1-line block ×4, first 2 shown]
	v_mul_f32_e32 v69, s18, v5
	v_mul_f32_e32 v70, s17, v7
	;; [unrolled: 1-line block ×4, first 2 shown]
	s_and_saveexec_b32 s21, vcc_lo
	s_cbranch_execz .LBB168_466
; %bb.465:                              ;   in Loop: Header=BB168_295 Depth=1
	v_cmp_gt_i32_e64 s0, s33, v51
	v_cndmask_b32_e64 v70, 0, v70, s0
	v_cmp_gt_i32_e64 s0, s33, v54
	v_cndmask_b32_e64 v69, 0, v69, s0
	;; [unrolled: 2-line block ×4, first 2 shown]
.LBB168_466:                            ;   in Loop: Header=BB168_295 Depth=1
	s_or_b32 exec_lo, exec_lo, s21
	global_load_dword v71, v[15:16], off offset:640
	v_mov_b32_e32 v19, 0
	v_mov_b32_e32 v17, 0
	;; [unrolled: 1-line block ×4, first 2 shown]
	s_waitcnt vmcnt(0)
	v_cmp_ne_u16_sdwa s0, v71, v6 src0_sel:BYTE_0 src1_sel:DWORD
	s_and_saveexec_b32 s21, s0
	s_cbranch_execz .LBB168_474
; %bb.467:                              ;   in Loop: Header=BB168_295 Depth=1
	v_bfrev_b32_e32 v17, 1
	v_mov_b32_e32 v18, 0
	v_cmp_ne_u16_sdwa s0, v71, v37 src0_sel:BYTE_0 src1_sel:DWORD
	s_and_saveexec_b32 s22, s0
	s_cbranch_execz .LBB168_473
; %bb.468:                              ;   in Loop: Header=BB168_295 Depth=1
	v_mov_b32_e32 v17, 0x7f800001
	v_and_b32_e32 v9, 0x7f, v71
	v_mov_b32_e32 v18, 0
	s_mov_b32 s26, exec_lo
	v_cmpx_ne_u32_e32 0x7f, v9
	s_cbranch_execz .LBB168_472
; %bb.469:                              ;   in Loop: Header=BB168_295 Depth=1
	v_and_b32_e32 v5, 7, v71
	v_lshrrev_b32_e32 v7, 3, v9
	s_mov_b32 s27, exec_lo
	v_cmpx_gt_u32_e32 8, v9
; %bb.470:                              ;   in Loop: Header=BB168_295 Depth=1
	v_ffbh_u32_e32 v7, v5
	v_min_u32_e32 v7, 32, v7
	v_subrev_nc_u32_e32 v9, 28, v7
	v_sub_nc_u32_e32 v7, 29, v7
	v_lshlrev_b64 v[17:18], v9, v[5:6]
	v_and_b32_e32 v5, 7, v17
; %bb.471:                              ;   in Loop: Header=BB168_295 Depth=1
	s_or_b32 exec_lo, exec_lo, s27
	v_lshlrev_b32_e32 v9, 24, v71
	v_lshlrev_b32_e32 v5, 20, v5
	v_lshl_add_u32 v7, v7, 23, 0x3c000000
	v_and_b32_e32 v9, 0x80000000, v9
	v_or3_b32 v5, v5, v9, v7
	v_mov_b32_e32 v18, v6
	v_mov_b32_e32 v17, v5
.LBB168_472:                            ;   in Loop: Header=BB168_295 Depth=1
	s_or_b32 exec_lo, exec_lo, s26
.LBB168_473:                            ;   in Loop: Header=BB168_295 Depth=1
	s_or_b32 exec_lo, exec_lo, s22
.LBB168_474:                            ;   in Loop: Header=BB168_295 Depth=1
	s_or_b32 exec_lo, exec_lo, s21
	v_cmp_ne_u16_sdwa s0, v71, v6 src0_sel:BYTE_1 src1_sel:DWORD
	s_and_saveexec_b32 s21, s0
	s_cbranch_execz .LBB168_482
; %bb.475:                              ;   in Loop: Header=BB168_295 Depth=1
	v_mov_b32_e32 v7, v6
	v_mov_b32_e32 v20, v8
	v_cmp_ne_u16_sdwa s0, v71, v37 src0_sel:BYTE_1 src1_sel:DWORD
	v_mov_b32_e32 v19, v7
	s_and_saveexec_b32 s22, s0
	s_cbranch_execz .LBB168_481
; %bb.476:                              ;   in Loop: Header=BB168_295 Depth=1
	v_and_b32_sdwa v5, v38, v71 dst_sel:DWORD dst_unused:UNUSED_PAD src0_sel:DWORD src1_sel:BYTE_1
	v_mov_b32_e32 v9, v6
	v_mov_b32_e32 v20, v10
	s_mov_b32 s26, exec_lo
	v_and_b32_e32 v21, 0x7f, v5
	v_mov_b32_e32 v19, v9
	v_cmpx_ne_u32_e32 0x7f, v21
	s_cbranch_execz .LBB168_480
; %bb.477:                              ;   in Loop: Header=BB168_295 Depth=1
	v_and_b32_e32 v5, 7, v5
	v_lshrrev_b32_e32 v7, 3, v21
	s_mov_b32 s27, exec_lo
	v_cmpx_gt_u32_e32 8, v21
; %bb.478:                              ;   in Loop: Header=BB168_295 Depth=1
	v_ffbh_u32_e32 v7, v5
	v_min_u32_e32 v7, 32, v7
	v_subrev_nc_u32_e32 v9, 28, v7
	v_sub_nc_u32_e32 v7, 29, v7
	v_lshlrev_b64 v[19:20], v9, v[5:6]
	v_and_b32_e32 v5, 7, v19
; %bb.479:                              ;   in Loop: Header=BB168_295 Depth=1
	s_or_b32 exec_lo, exec_lo, s27
	v_lshlrev_b32_e32 v9, 16, v71
	v_lshlrev_b32_e32 v5, 20, v5
	v_lshl_add_u32 v7, v7, 23, 0x3c000000
	v_mov_b32_e32 v19, v6
	v_and_b32_e32 v9, 0x80000000, v9
	v_or3_b32 v20, v5, v9, v7
.LBB168_480:                            ;   in Loop: Header=BB168_295 Depth=1
	s_or_b32 exec_lo, exec_lo, s26
.LBB168_481:                            ;   in Loop: Header=BB168_295 Depth=1
	s_or_b32 exec_lo, exec_lo, s22
.LBB168_482:                            ;   in Loop: Header=BB168_295 Depth=1
	s_or_b32 exec_lo, exec_lo, s21
	v_mov_b32_e32 v23, 0
	v_mov_b32_e32 v21, 0
	v_and_b32_sdwa v5, v71, v39 dst_sel:DWORD dst_unused:UNUSED_PAD src0_sel:WORD_1 src1_sel:DWORD
	v_mov_b32_e32 v24, 0
	v_mov_b32_e32 v22, 0
	s_mov_b32 s21, exec_lo
	v_cmpx_ne_u16_e32 0, v5
	s_cbranch_execz .LBB168_490
; %bb.483:                              ;   in Loop: Header=BB168_295 Depth=1
	v_bfrev_b32_e32 v21, 1
	v_mov_b32_e32 v22, 0
	s_mov_b32 s22, exec_lo
	v_cmpx_ne_u16_e32 0x80, v5
	s_cbranch_execz .LBB168_489
; %bb.484:                              ;   in Loop: Header=BB168_295 Depth=1
	v_mov_b32_e32 v21, 0x7f800001
	v_bfe_u32 v9, v71, 16, 7
	v_mov_b32_e32 v22, 0
	s_mov_b32 s26, exec_lo
	v_cmpx_ne_u32_e32 0x7f, v9
	s_cbranch_execz .LBB168_488
; %bb.485:                              ;   in Loop: Header=BB168_295 Depth=1
	v_and_b32_sdwa v5, v71, v40 dst_sel:DWORD dst_unused:UNUSED_PAD src0_sel:WORD_1 src1_sel:DWORD
	v_lshrrev_b32_e32 v7, 3, v9
	s_mov_b32 s27, exec_lo
	v_cmpx_gt_u32_e32 8, v9
; %bb.486:                              ;   in Loop: Header=BB168_295 Depth=1
	v_ffbh_u32_e32 v7, v5
	v_min_u32_e32 v7, 32, v7
	v_subrev_nc_u32_e32 v9, 28, v7
	v_sub_nc_u32_e32 v7, 29, v7
	v_lshlrev_b64 v[21:22], v9, v[5:6]
	v_and_b32_e32 v5, 7, v21
; %bb.487:                              ;   in Loop: Header=BB168_295 Depth=1
	s_or_b32 exec_lo, exec_lo, s27
	v_lshlrev_b32_sdwa v9, v43, v71 dst_sel:DWORD dst_unused:UNUSED_PAD src0_sel:DWORD src1_sel:WORD_1
	v_lshlrev_b32_e32 v5, 20, v5
	v_lshl_add_u32 v7, v7, 23, 0x3c000000
	v_and_b32_e32 v9, 0x80000000, v9
	v_or3_b32 v5, v5, v9, v7
	v_mov_b32_e32 v22, v6
	v_mov_b32_e32 v21, v5
.LBB168_488:                            ;   in Loop: Header=BB168_295 Depth=1
	s_or_b32 exec_lo, exec_lo, s26
.LBB168_489:                            ;   in Loop: Header=BB168_295 Depth=1
	s_or_b32 exec_lo, exec_lo, s22
.LBB168_490:                            ;   in Loop: Header=BB168_295 Depth=1
	s_or_b32 exec_lo, exec_lo, s21
	s_mov_b32 s21, exec_lo
	v_cmpx_lt_u32_e32 0xffffff, v71
	s_cbranch_execz .LBB168_498
; %bb.491:                              ;   in Loop: Header=BB168_295 Depth=1
	v_mov_b32_e32 v7, v6
	v_mov_b32_e32 v24, v8
	v_cmp_ne_u32_sdwa s0, v71, v37 src0_sel:BYTE_3 src1_sel:DWORD
	v_mov_b32_e32 v23, v7
	s_and_saveexec_b32 s22, s0
	s_cbranch_execz .LBB168_497
; %bb.492:                              ;   in Loop: Header=BB168_295 Depth=1
	v_mov_b32_e32 v9, v6
	v_mov_b32_e32 v24, v10
	v_bfe_u32 v72, v71, 24, 7
	s_mov_b32 s26, exec_lo
	v_mov_b32_e32 v23, v9
	v_cmpx_ne_u32_e32 0x7f, v72
	s_cbranch_execz .LBB168_496
; %bb.493:                              ;   in Loop: Header=BB168_295 Depth=1
	v_and_b32_sdwa v5, v71, v40 dst_sel:DWORD dst_unused:UNUSED_PAD src0_sel:BYTE_3 src1_sel:DWORD
	v_lshrrev_b32_e32 v7, 3, v72
	s_mov_b32 s27, exec_lo
	v_cmpx_gt_u32_e32 8, v72
; %bb.494:                              ;   in Loop: Header=BB168_295 Depth=1
	v_ffbh_u32_e32 v7, v5
	v_min_u32_e32 v7, 32, v7
	v_subrev_nc_u32_e32 v9, 28, v7
	v_sub_nc_u32_e32 v7, 29, v7
	v_lshlrev_b64 v[23:24], v9, v[5:6]
	v_and_b32_e32 v5, 7, v23
; %bb.495:                              ;   in Loop: Header=BB168_295 Depth=1
	s_or_b32 exec_lo, exec_lo, s27
	v_lshlrev_b32_sdwa v9, v43, v71 dst_sel:DWORD dst_unused:UNUSED_PAD src0_sel:DWORD src1_sel:BYTE_3
	v_lshlrev_b32_e32 v5, 20, v5
	v_lshl_add_u32 v7, v7, 23, 0x3c000000
	v_mov_b32_e32 v23, v6
	v_and_b32_e32 v9, 0x80000000, v9
	v_or3_b32 v24, v5, v9, v7
.LBB168_496:                            ;   in Loop: Header=BB168_295 Depth=1
	s_or_b32 exec_lo, exec_lo, s26
.LBB168_497:                            ;   in Loop: Header=BB168_295 Depth=1
	s_or_b32 exec_lo, exec_lo, s22
.LBB168_498:                            ;   in Loop: Header=BB168_295 Depth=1
	s_or_b32 exec_lo, exec_lo, s21
	v_or_b32_e32 v5, v20, v18
	v_or_b32_e32 v7, v19, v17
	;; [unrolled: 1-line block ×4, first 2 shown]
	v_mul_f32_e32 v73, s18, v5
	v_mul_f32_e32 v74, s17, v7
	;; [unrolled: 1-line block ×4, first 2 shown]
	s_and_saveexec_b32 s21, vcc_lo
	s_cbranch_execz .LBB168_500
; %bb.499:                              ;   in Loop: Header=BB168_295 Depth=1
	v_cmp_gt_i32_e64 s0, s33, v51
	v_cndmask_b32_e64 v74, 0, v74, s0
	v_cmp_gt_i32_e64 s0, s33, v54
	v_cndmask_b32_e64 v73, 0, v73, s0
	;; [unrolled: 2-line block ×4, first 2 shown]
.LBB168_500:                            ;   in Loop: Header=BB168_295 Depth=1
	s_or_b32 exec_lo, exec_lo, s21
	global_load_dword v75, v[15:16], off offset:768
	v_mov_b32_e32 v19, 0
	v_mov_b32_e32 v17, 0
	;; [unrolled: 1-line block ×4, first 2 shown]
	s_waitcnt vmcnt(0)
	v_cmp_ne_u16_sdwa s0, v75, v6 src0_sel:BYTE_0 src1_sel:DWORD
	s_and_saveexec_b32 s21, s0
	s_cbranch_execz .LBB168_508
; %bb.501:                              ;   in Loop: Header=BB168_295 Depth=1
	v_bfrev_b32_e32 v17, 1
	v_mov_b32_e32 v18, 0
	v_cmp_ne_u16_sdwa s0, v75, v37 src0_sel:BYTE_0 src1_sel:DWORD
	s_and_saveexec_b32 s22, s0
	s_cbranch_execz .LBB168_507
; %bb.502:                              ;   in Loop: Header=BB168_295 Depth=1
	v_mov_b32_e32 v17, 0x7f800001
	v_and_b32_e32 v9, 0x7f, v75
	v_mov_b32_e32 v18, 0
	s_mov_b32 s26, exec_lo
	v_cmpx_ne_u32_e32 0x7f, v9
	s_cbranch_execz .LBB168_506
; %bb.503:                              ;   in Loop: Header=BB168_295 Depth=1
	v_and_b32_e32 v5, 7, v75
	v_lshrrev_b32_e32 v7, 3, v9
	s_mov_b32 s27, exec_lo
	v_cmpx_gt_u32_e32 8, v9
; %bb.504:                              ;   in Loop: Header=BB168_295 Depth=1
	v_ffbh_u32_e32 v7, v5
	v_min_u32_e32 v7, 32, v7
	v_subrev_nc_u32_e32 v9, 28, v7
	v_sub_nc_u32_e32 v7, 29, v7
	v_lshlrev_b64 v[17:18], v9, v[5:6]
	v_and_b32_e32 v5, 7, v17
; %bb.505:                              ;   in Loop: Header=BB168_295 Depth=1
	s_or_b32 exec_lo, exec_lo, s27
	v_lshlrev_b32_e32 v9, 24, v75
	v_lshlrev_b32_e32 v5, 20, v5
	v_lshl_add_u32 v7, v7, 23, 0x3c000000
	v_and_b32_e32 v9, 0x80000000, v9
	v_or3_b32 v5, v5, v9, v7
	v_mov_b32_e32 v18, v6
	v_mov_b32_e32 v17, v5
.LBB168_506:                            ;   in Loop: Header=BB168_295 Depth=1
	s_or_b32 exec_lo, exec_lo, s26
.LBB168_507:                            ;   in Loop: Header=BB168_295 Depth=1
	s_or_b32 exec_lo, exec_lo, s22
.LBB168_508:                            ;   in Loop: Header=BB168_295 Depth=1
	s_or_b32 exec_lo, exec_lo, s21
	v_cmp_ne_u16_sdwa s0, v75, v6 src0_sel:BYTE_1 src1_sel:DWORD
	s_and_saveexec_b32 s21, s0
	s_cbranch_execz .LBB168_516
; %bb.509:                              ;   in Loop: Header=BB168_295 Depth=1
	v_mov_b32_e32 v7, v6
	v_mov_b32_e32 v20, v8
	v_cmp_ne_u16_sdwa s0, v75, v37 src0_sel:BYTE_1 src1_sel:DWORD
	v_mov_b32_e32 v19, v7
	s_and_saveexec_b32 s22, s0
	s_cbranch_execz .LBB168_515
; %bb.510:                              ;   in Loop: Header=BB168_295 Depth=1
	v_and_b32_sdwa v5, v38, v75 dst_sel:DWORD dst_unused:UNUSED_PAD src0_sel:DWORD src1_sel:BYTE_1
	v_mov_b32_e32 v9, v6
	v_mov_b32_e32 v20, v10
	s_mov_b32 s26, exec_lo
	v_and_b32_e32 v21, 0x7f, v5
	v_mov_b32_e32 v19, v9
	v_cmpx_ne_u32_e32 0x7f, v21
	s_cbranch_execz .LBB168_514
; %bb.511:                              ;   in Loop: Header=BB168_295 Depth=1
	v_and_b32_e32 v5, 7, v5
	v_lshrrev_b32_e32 v7, 3, v21
	s_mov_b32 s27, exec_lo
	v_cmpx_gt_u32_e32 8, v21
; %bb.512:                              ;   in Loop: Header=BB168_295 Depth=1
	v_ffbh_u32_e32 v7, v5
	v_min_u32_e32 v7, 32, v7
	v_subrev_nc_u32_e32 v9, 28, v7
	v_sub_nc_u32_e32 v7, 29, v7
	v_lshlrev_b64 v[19:20], v9, v[5:6]
	v_and_b32_e32 v5, 7, v19
; %bb.513:                              ;   in Loop: Header=BB168_295 Depth=1
	s_or_b32 exec_lo, exec_lo, s27
	v_lshlrev_b32_e32 v9, 16, v75
	v_lshlrev_b32_e32 v5, 20, v5
	v_lshl_add_u32 v7, v7, 23, 0x3c000000
	v_mov_b32_e32 v19, v6
	v_and_b32_e32 v9, 0x80000000, v9
	v_or3_b32 v20, v5, v9, v7
.LBB168_514:                            ;   in Loop: Header=BB168_295 Depth=1
	s_or_b32 exec_lo, exec_lo, s26
.LBB168_515:                            ;   in Loop: Header=BB168_295 Depth=1
	s_or_b32 exec_lo, exec_lo, s22
.LBB168_516:                            ;   in Loop: Header=BB168_295 Depth=1
	s_or_b32 exec_lo, exec_lo, s21
	v_mov_b32_e32 v23, 0
	v_mov_b32_e32 v21, 0
	v_and_b32_sdwa v5, v75, v39 dst_sel:DWORD dst_unused:UNUSED_PAD src0_sel:WORD_1 src1_sel:DWORD
	v_mov_b32_e32 v24, 0
	v_mov_b32_e32 v22, 0
	s_mov_b32 s21, exec_lo
	v_cmpx_ne_u16_e32 0, v5
	s_cbranch_execz .LBB168_524
; %bb.517:                              ;   in Loop: Header=BB168_295 Depth=1
	v_bfrev_b32_e32 v21, 1
	v_mov_b32_e32 v22, 0
	s_mov_b32 s22, exec_lo
	v_cmpx_ne_u16_e32 0x80, v5
	s_cbranch_execz .LBB168_523
; %bb.518:                              ;   in Loop: Header=BB168_295 Depth=1
	v_mov_b32_e32 v21, 0x7f800001
	v_bfe_u32 v9, v75, 16, 7
	v_mov_b32_e32 v22, 0
	s_mov_b32 s26, exec_lo
	v_cmpx_ne_u32_e32 0x7f, v9
	s_cbranch_execz .LBB168_522
; %bb.519:                              ;   in Loop: Header=BB168_295 Depth=1
	v_and_b32_sdwa v5, v75, v40 dst_sel:DWORD dst_unused:UNUSED_PAD src0_sel:WORD_1 src1_sel:DWORD
	v_lshrrev_b32_e32 v7, 3, v9
	s_mov_b32 s27, exec_lo
	v_cmpx_gt_u32_e32 8, v9
; %bb.520:                              ;   in Loop: Header=BB168_295 Depth=1
	v_ffbh_u32_e32 v7, v5
	v_min_u32_e32 v7, 32, v7
	v_subrev_nc_u32_e32 v9, 28, v7
	v_sub_nc_u32_e32 v7, 29, v7
	v_lshlrev_b64 v[21:22], v9, v[5:6]
	v_and_b32_e32 v5, 7, v21
; %bb.521:                              ;   in Loop: Header=BB168_295 Depth=1
	s_or_b32 exec_lo, exec_lo, s27
	v_lshlrev_b32_sdwa v9, v43, v75 dst_sel:DWORD dst_unused:UNUSED_PAD src0_sel:DWORD src1_sel:WORD_1
	v_lshlrev_b32_e32 v5, 20, v5
	v_lshl_add_u32 v7, v7, 23, 0x3c000000
	v_and_b32_e32 v9, 0x80000000, v9
	v_or3_b32 v5, v5, v9, v7
	v_mov_b32_e32 v22, v6
	v_mov_b32_e32 v21, v5
.LBB168_522:                            ;   in Loop: Header=BB168_295 Depth=1
	s_or_b32 exec_lo, exec_lo, s26
.LBB168_523:                            ;   in Loop: Header=BB168_295 Depth=1
	s_or_b32 exec_lo, exec_lo, s22
.LBB168_524:                            ;   in Loop: Header=BB168_295 Depth=1
	s_or_b32 exec_lo, exec_lo, s21
	s_mov_b32 s21, exec_lo
	v_cmpx_lt_u32_e32 0xffffff, v75
	s_cbranch_execz .LBB168_532
; %bb.525:                              ;   in Loop: Header=BB168_295 Depth=1
	v_mov_b32_e32 v7, v6
	v_mov_b32_e32 v24, v8
	v_cmp_ne_u32_sdwa s0, v75, v37 src0_sel:BYTE_3 src1_sel:DWORD
	v_mov_b32_e32 v23, v7
	s_and_saveexec_b32 s22, s0
	s_cbranch_execz .LBB168_531
; %bb.526:                              ;   in Loop: Header=BB168_295 Depth=1
	v_mov_b32_e32 v9, v6
	v_mov_b32_e32 v24, v10
	v_bfe_u32 v76, v75, 24, 7
	s_mov_b32 s26, exec_lo
	v_mov_b32_e32 v23, v9
	v_cmpx_ne_u32_e32 0x7f, v76
	s_cbranch_execz .LBB168_530
; %bb.527:                              ;   in Loop: Header=BB168_295 Depth=1
	v_and_b32_sdwa v5, v75, v40 dst_sel:DWORD dst_unused:UNUSED_PAD src0_sel:BYTE_3 src1_sel:DWORD
	v_lshrrev_b32_e32 v7, 3, v76
	s_mov_b32 s27, exec_lo
	v_cmpx_gt_u32_e32 8, v76
; %bb.528:                              ;   in Loop: Header=BB168_295 Depth=1
	v_ffbh_u32_e32 v7, v5
	v_min_u32_e32 v7, 32, v7
	v_subrev_nc_u32_e32 v9, 28, v7
	v_sub_nc_u32_e32 v7, 29, v7
	v_lshlrev_b64 v[23:24], v9, v[5:6]
	v_and_b32_e32 v5, 7, v23
; %bb.529:                              ;   in Loop: Header=BB168_295 Depth=1
	s_or_b32 exec_lo, exec_lo, s27
	v_lshlrev_b32_sdwa v9, v43, v75 dst_sel:DWORD dst_unused:UNUSED_PAD src0_sel:DWORD src1_sel:BYTE_3
	v_lshlrev_b32_e32 v5, 20, v5
	v_lshl_add_u32 v7, v7, 23, 0x3c000000
	v_mov_b32_e32 v23, v6
	v_and_b32_e32 v9, 0x80000000, v9
	v_or3_b32 v24, v5, v9, v7
.LBB168_530:                            ;   in Loop: Header=BB168_295 Depth=1
	s_or_b32 exec_lo, exec_lo, s26
.LBB168_531:                            ;   in Loop: Header=BB168_295 Depth=1
	s_or_b32 exec_lo, exec_lo, s22
.LBB168_532:                            ;   in Loop: Header=BB168_295 Depth=1
	s_or_b32 exec_lo, exec_lo, s21
	v_or_b32_e32 v5, v20, v18
	v_or_b32_e32 v7, v19, v17
	;; [unrolled: 1-line block ×4, first 2 shown]
	v_mul_f32_e32 v75, s18, v5
	v_mul_f32_e32 v76, s17, v7
	v_mul_f32_e32 v24, s17, v9
	v_mul_f32_e32 v23, s18, v17
	s_and_saveexec_b32 s21, vcc_lo
	s_cbranch_execz .LBB168_534
; %bb.533:                              ;   in Loop: Header=BB168_295 Depth=1
	v_cmp_gt_i32_e64 s0, s33, v51
	v_cndmask_b32_e64 v76, 0, v76, s0
	v_cmp_gt_i32_e64 s0, s33, v54
	v_cndmask_b32_e64 v75, 0, v75, s0
	;; [unrolled: 2-line block ×4, first 2 shown]
.LBB168_534:                            ;   in Loop: Header=BB168_295 Depth=1
	s_or_b32 exec_lo, exec_lo, s21
	global_load_dword v77, v[15:16], off offset:896
	v_mov_b32_e32 v17, 0
	v_mov_b32_e32 v15, 0
	;; [unrolled: 1-line block ×4, first 2 shown]
	s_waitcnt vmcnt(0)
	v_cmp_ne_u16_sdwa s0, v77, v6 src0_sel:BYTE_0 src1_sel:DWORD
	s_and_saveexec_b32 s21, s0
	s_cbranch_execz .LBB168_542
; %bb.535:                              ;   in Loop: Header=BB168_295 Depth=1
	v_bfrev_b32_e32 v15, 1
	v_mov_b32_e32 v16, 0
	v_cmp_ne_u16_sdwa s0, v77, v37 src0_sel:BYTE_0 src1_sel:DWORD
	s_and_saveexec_b32 s22, s0
	s_cbranch_execz .LBB168_541
; %bb.536:                              ;   in Loop: Header=BB168_295 Depth=1
	v_mov_b32_e32 v15, 0x7f800001
	v_and_b32_e32 v9, 0x7f, v77
	v_mov_b32_e32 v16, 0
	s_mov_b32 s26, exec_lo
	v_cmpx_ne_u32_e32 0x7f, v9
	s_cbranch_execz .LBB168_540
; %bb.537:                              ;   in Loop: Header=BB168_295 Depth=1
	v_and_b32_e32 v5, 7, v77
	v_lshrrev_b32_e32 v7, 3, v9
	s_mov_b32 s27, exec_lo
	v_cmpx_gt_u32_e32 8, v9
; %bb.538:                              ;   in Loop: Header=BB168_295 Depth=1
	v_ffbh_u32_e32 v7, v5
	v_min_u32_e32 v7, 32, v7
	v_subrev_nc_u32_e32 v9, 28, v7
	v_sub_nc_u32_e32 v7, 29, v7
	v_lshlrev_b64 v[15:16], v9, v[5:6]
	v_and_b32_e32 v5, 7, v15
; %bb.539:                              ;   in Loop: Header=BB168_295 Depth=1
	s_or_b32 exec_lo, exec_lo, s27
	v_lshlrev_b32_e32 v9, 24, v77
	v_lshlrev_b32_e32 v5, 20, v5
	v_lshl_add_u32 v7, v7, 23, 0x3c000000
	v_and_b32_e32 v9, 0x80000000, v9
	v_or3_b32 v5, v5, v9, v7
	v_mov_b32_e32 v16, v6
	v_mov_b32_e32 v15, v5
.LBB168_540:                            ;   in Loop: Header=BB168_295 Depth=1
	s_or_b32 exec_lo, exec_lo, s26
.LBB168_541:                            ;   in Loop: Header=BB168_295 Depth=1
	s_or_b32 exec_lo, exec_lo, s22
.LBB168_542:                            ;   in Loop: Header=BB168_295 Depth=1
	s_or_b32 exec_lo, exec_lo, s21
	v_cmp_ne_u16_sdwa s0, v77, v6 src0_sel:BYTE_1 src1_sel:DWORD
	s_and_saveexec_b32 s21, s0
	s_cbranch_execz .LBB168_550
; %bb.543:                              ;   in Loop: Header=BB168_295 Depth=1
	v_mov_b32_e32 v7, v6
	v_mov_b32_e32 v18, v8
	v_cmp_ne_u16_sdwa s0, v77, v37 src0_sel:BYTE_1 src1_sel:DWORD
	v_mov_b32_e32 v17, v7
	s_and_saveexec_b32 s22, s0
	s_cbranch_execz .LBB168_549
; %bb.544:                              ;   in Loop: Header=BB168_295 Depth=1
	v_and_b32_sdwa v5, v38, v77 dst_sel:DWORD dst_unused:UNUSED_PAD src0_sel:DWORD src1_sel:BYTE_1
	v_mov_b32_e32 v9, v6
	v_mov_b32_e32 v18, v10
	s_mov_b32 s26, exec_lo
	v_and_b32_e32 v19, 0x7f, v5
	v_mov_b32_e32 v17, v9
	v_cmpx_ne_u32_e32 0x7f, v19
	s_cbranch_execz .LBB168_548
; %bb.545:                              ;   in Loop: Header=BB168_295 Depth=1
	v_and_b32_e32 v5, 7, v5
	v_lshrrev_b32_e32 v7, 3, v19
	s_mov_b32 s27, exec_lo
	v_cmpx_gt_u32_e32 8, v19
; %bb.546:                              ;   in Loop: Header=BB168_295 Depth=1
	v_ffbh_u32_e32 v7, v5
	v_min_u32_e32 v7, 32, v7
	v_subrev_nc_u32_e32 v9, 28, v7
	v_sub_nc_u32_e32 v7, 29, v7
	v_lshlrev_b64 v[17:18], v9, v[5:6]
	v_and_b32_e32 v5, 7, v17
; %bb.547:                              ;   in Loop: Header=BB168_295 Depth=1
	s_or_b32 exec_lo, exec_lo, s27
	v_lshlrev_b32_e32 v9, 16, v77
	v_lshlrev_b32_e32 v5, 20, v5
	v_lshl_add_u32 v7, v7, 23, 0x3c000000
	v_mov_b32_e32 v17, v6
	v_and_b32_e32 v9, 0x80000000, v9
	v_or3_b32 v18, v5, v9, v7
.LBB168_548:                            ;   in Loop: Header=BB168_295 Depth=1
	s_or_b32 exec_lo, exec_lo, s26
.LBB168_549:                            ;   in Loop: Header=BB168_295 Depth=1
	s_or_b32 exec_lo, exec_lo, s22
.LBB168_550:                            ;   in Loop: Header=BB168_295 Depth=1
	s_or_b32 exec_lo, exec_lo, s21
	v_mov_b32_e32 v21, 0
	v_mov_b32_e32 v19, 0
	v_and_b32_sdwa v5, v77, v39 dst_sel:DWORD dst_unused:UNUSED_PAD src0_sel:WORD_1 src1_sel:DWORD
	v_mov_b32_e32 v22, 0
	v_mov_b32_e32 v20, 0
	s_mov_b32 s21, exec_lo
	v_cmpx_ne_u16_e32 0, v5
	s_cbranch_execz .LBB168_558
; %bb.551:                              ;   in Loop: Header=BB168_295 Depth=1
	v_bfrev_b32_e32 v19, 1
	v_mov_b32_e32 v20, 0
	s_mov_b32 s22, exec_lo
	v_cmpx_ne_u16_e32 0x80, v5
	s_cbranch_execz .LBB168_557
; %bb.552:                              ;   in Loop: Header=BB168_295 Depth=1
	v_mov_b32_e32 v19, 0x7f800001
	v_bfe_u32 v9, v77, 16, 7
	v_mov_b32_e32 v20, 0
	s_mov_b32 s26, exec_lo
	v_cmpx_ne_u32_e32 0x7f, v9
	s_cbranch_execz .LBB168_556
; %bb.553:                              ;   in Loop: Header=BB168_295 Depth=1
	v_and_b32_sdwa v5, v77, v40 dst_sel:DWORD dst_unused:UNUSED_PAD src0_sel:WORD_1 src1_sel:DWORD
	v_lshrrev_b32_e32 v7, 3, v9
	s_mov_b32 s27, exec_lo
	v_cmpx_gt_u32_e32 8, v9
; %bb.554:                              ;   in Loop: Header=BB168_295 Depth=1
	v_ffbh_u32_e32 v7, v5
	v_min_u32_e32 v7, 32, v7
	v_subrev_nc_u32_e32 v9, 28, v7
	v_sub_nc_u32_e32 v7, 29, v7
	v_lshlrev_b64 v[19:20], v9, v[5:6]
	v_and_b32_e32 v5, 7, v19
; %bb.555:                              ;   in Loop: Header=BB168_295 Depth=1
	s_or_b32 exec_lo, exec_lo, s27
	v_lshlrev_b32_sdwa v9, v43, v77 dst_sel:DWORD dst_unused:UNUSED_PAD src0_sel:DWORD src1_sel:WORD_1
	v_lshlrev_b32_e32 v5, 20, v5
	v_lshl_add_u32 v7, v7, 23, 0x3c000000
	v_and_b32_e32 v9, 0x80000000, v9
	v_or3_b32 v5, v5, v9, v7
	v_mov_b32_e32 v20, v6
	v_mov_b32_e32 v19, v5
.LBB168_556:                            ;   in Loop: Header=BB168_295 Depth=1
	s_or_b32 exec_lo, exec_lo, s26
.LBB168_557:                            ;   in Loop: Header=BB168_295 Depth=1
	s_or_b32 exec_lo, exec_lo, s22
.LBB168_558:                            ;   in Loop: Header=BB168_295 Depth=1
	s_or_b32 exec_lo, exec_lo, s21
	s_mov_b32 s21, exec_lo
	v_cmpx_lt_u32_e32 0xffffff, v77
	s_cbranch_execz .LBB168_566
; %bb.559:                              ;   in Loop: Header=BB168_295 Depth=1
	v_mov_b32_e32 v7, v6
	v_mov_b32_e32 v22, v8
	v_cmp_ne_u32_sdwa s0, v77, v37 src0_sel:BYTE_3 src1_sel:DWORD
	v_mov_b32_e32 v21, v7
	s_and_saveexec_b32 s22, s0
	s_cbranch_execz .LBB168_565
; %bb.560:                              ;   in Loop: Header=BB168_295 Depth=1
	v_mov_b32_e32 v9, v6
	v_mov_b32_e32 v22, v10
	v_bfe_u32 v78, v77, 24, 7
	s_mov_b32 s26, exec_lo
	v_mov_b32_e32 v21, v9
	v_cmpx_ne_u32_e32 0x7f, v78
	s_cbranch_execz .LBB168_564
; %bb.561:                              ;   in Loop: Header=BB168_295 Depth=1
	v_and_b32_sdwa v5, v77, v40 dst_sel:DWORD dst_unused:UNUSED_PAD src0_sel:BYTE_3 src1_sel:DWORD
	v_lshrrev_b32_e32 v7, 3, v78
	s_mov_b32 s27, exec_lo
	v_cmpx_gt_u32_e32 8, v78
; %bb.562:                              ;   in Loop: Header=BB168_295 Depth=1
	v_ffbh_u32_e32 v7, v5
	v_min_u32_e32 v7, 32, v7
	v_subrev_nc_u32_e32 v9, 28, v7
	v_sub_nc_u32_e32 v7, 29, v7
	v_lshlrev_b64 v[21:22], v9, v[5:6]
	v_and_b32_e32 v5, 7, v21
; %bb.563:                              ;   in Loop: Header=BB168_295 Depth=1
	s_or_b32 exec_lo, exec_lo, s27
	v_lshlrev_b32_sdwa v9, v43, v77 dst_sel:DWORD dst_unused:UNUSED_PAD src0_sel:DWORD src1_sel:BYTE_3
	v_lshlrev_b32_e32 v5, 20, v5
	v_lshl_add_u32 v7, v7, 23, 0x3c000000
	v_mov_b32_e32 v21, v6
	v_and_b32_e32 v9, 0x80000000, v9
	v_or3_b32 v22, v5, v9, v7
.LBB168_564:                            ;   in Loop: Header=BB168_295 Depth=1
	s_or_b32 exec_lo, exec_lo, s26
.LBB168_565:                            ;   in Loop: Header=BB168_295 Depth=1
	s_or_b32 exec_lo, exec_lo, s22
.LBB168_566:                            ;   in Loop: Header=BB168_295 Depth=1
	s_or_b32 exec_lo, exec_lo, s21
	v_or_b32_e32 v5, v18, v16
	v_or_b32_e32 v7, v17, v15
	;; [unrolled: 1-line block ×4, first 2 shown]
	v_mul_f32_e32 v9, s18, v5
	v_mul_f32_e32 v15, s17, v7
	;; [unrolled: 1-line block ×4, first 2 shown]
	s_and_saveexec_b32 s0, vcc_lo
	s_cbranch_execz .LBB168_293
; %bb.567:                              ;   in Loop: Header=BB168_295 Depth=1
	v_cmp_gt_i32_e32 vcc_lo, s33, v51
	v_cndmask_b32_e32 v15, 0, v15, vcc_lo
	v_cmp_gt_i32_e32 vcc_lo, s33, v54
	v_cndmask_b32_e32 v9, 0, v9, vcc_lo
	;; [unrolled: 2-line block ×4, first 2 shown]
	s_branch .LBB168_293
.LBB168_568:
	s_or_b32 exec_lo, exec_lo, s5
.LBB168_569:
	s_or_b32 exec_lo, exec_lo, s1
	ds_bpermute_b32 v1, v26, v35
	ds_bpermute_b32 v2, v26, v34
	;; [unrolled: 1-line block ×8, first 2 shown]
	v_lshrrev_b32_e32 v9, 1, v25
	v_lshlrev_b32_e32 v11, 9, v41
	v_and_b32_e32 v12, 0x3c1, v0
	s_mov_b32 s0, exec_lo
	s_waitcnt lgkmcnt(0)
	v_lshl_add_u32 v10, v9, 2, 0x220
	s_barrier
	buffer_gl0_inv
	v_add_f32_e32 v1, v35, v1
	v_add_f32_e32 v2, v34, v2
	;; [unrolled: 1-line block ×8, first 2 shown]
	v_cmpx_eq_u32_e32 64, v12
	s_cbranch_execz .LBB168_571
; %bb.570:
	v_add_nc_u32_e32 v12, v10, v11
	v_add_nc_u32_e32 v13, 0xfffffc00, v12
	v_add_nc_u32_e32 v16, 0xfffffcc0, v12
	v_add_nc_u32_e32 v14, 0xfffffc40, v12
	v_add_nc_u32_e32 v17, 0xfffffd00, v12
	v_add_nc_u32_e32 v15, 0xfffffc80, v12
	v_add_nc_u32_e32 v18, 0xfffffd40, v12
	v_add_nc_u32_e32 v19, 0xfffffd80, v12
	v_add_nc_u32_e32 v12, 0xfffffdc0, v12
	ds_write_b32 v13, v1
	ds_write_b32 v14, v2
	;; [unrolled: 1-line block ×8, first 2 shown]
.LBB168_571:
	s_or_b32 exec_lo, exec_lo, s0
	v_lshlrev_b32_e32 v9, 2, v9
	s_mov_b32 s1, exec_lo
	v_cmp_eq_u32_e32 vcc_lo, 0, v27
	s_waitcnt lgkmcnt(0)
	s_barrier
	v_add3_u32 v9, 0x220, v11, v9
	buffer_gl0_inv
	v_cmpx_gt_u32_e32 64, v0
	s_cbranch_execz .LBB168_582
; %bb.572:
	s_and_saveexec_b32 s0, vcc_lo
	s_cbranch_execnz .LBB168_598
; %bb.573:
	s_or_b32 exec_lo, exec_lo, s0
	s_and_saveexec_b32 s0, vcc_lo
	s_cbranch_execnz .LBB168_599
.LBB168_574:
	s_or_b32 exec_lo, exec_lo, s0
	s_and_saveexec_b32 s0, vcc_lo
	s_cbranch_execnz .LBB168_600
.LBB168_575:
	s_or_b32 exec_lo, exec_lo, s0
	s_and_saveexec_b32 s0, vcc_lo
	s_cbranch_execnz .LBB168_601
.LBB168_576:
	s_or_b32 exec_lo, exec_lo, s0
	s_and_saveexec_b32 s0, vcc_lo
	s_cbranch_execnz .LBB168_602
.LBB168_577:
	s_or_b32 exec_lo, exec_lo, s0
	s_and_saveexec_b32 s0, vcc_lo
	s_cbranch_execnz .LBB168_603
.LBB168_578:
	s_or_b32 exec_lo, exec_lo, s0
	s_and_saveexec_b32 s0, vcc_lo
	s_cbranch_execnz .LBB168_604
.LBB168_579:
	s_or_b32 exec_lo, exec_lo, s0
	s_and_saveexec_b32 s0, vcc_lo
	s_cbranch_execz .LBB168_581
.LBB168_580:
	ds_read_b32 v11, v9 offset:448
	s_waitcnt lgkmcnt(0)
	v_add_f32_e32 v8, v8, v11
.LBB168_581:
	s_or_b32 exec_lo, exec_lo, s0
.LBB168_582:
	s_or_b32 exec_lo, exec_lo, s1
	v_and_b32_e32 v11, 0x3e1, v0
	s_mov_b32 s1, exec_lo
	s_barrier
	buffer_gl0_inv
	v_cmpx_eq_u32_e32 32, v11
	s_cbranch_execz .LBB168_584
; %bb.583:
	ds_write2_b32 v10, v1, v2 offset1:16
	ds_write2_b32 v10, v3, v4 offset0:32 offset1:48
	ds_write2_b32 v10, v5, v6 offset0:64 offset1:80
	;; [unrolled: 1-line block ×3, first 2 shown]
.LBB168_584:
	s_or_b32 exec_lo, exec_lo, s1
	s_mov_b32 s1, exec_lo
	s_waitcnt lgkmcnt(0)
	s_barrier
	buffer_gl0_inv
	v_cmpx_gt_u32_e32 32, v0
	s_cbranch_execz .LBB168_595
; %bb.585:
	s_and_saveexec_b32 s0, vcc_lo
	s_cbranch_execnz .LBB168_605
; %bb.586:
	s_or_b32 exec_lo, exec_lo, s0
	s_and_saveexec_b32 s0, vcc_lo
	s_cbranch_execnz .LBB168_606
.LBB168_587:
	s_or_b32 exec_lo, exec_lo, s0
	s_and_saveexec_b32 s0, vcc_lo
	s_cbranch_execnz .LBB168_607
.LBB168_588:
	s_or_b32 exec_lo, exec_lo, s0
	s_and_saveexec_b32 s0, vcc_lo
	s_cbranch_execnz .LBB168_608
.LBB168_589:
	s_or_b32 exec_lo, exec_lo, s0
	s_and_saveexec_b32 s0, vcc_lo
	s_cbranch_execnz .LBB168_609
.LBB168_590:
	s_or_b32 exec_lo, exec_lo, s0
	s_and_saveexec_b32 s0, vcc_lo
	s_cbranch_execnz .LBB168_610
.LBB168_591:
	s_or_b32 exec_lo, exec_lo, s0
	s_and_saveexec_b32 s0, vcc_lo
	s_cbranch_execnz .LBB168_611
.LBB168_592:
	s_or_b32 exec_lo, exec_lo, s0
	s_and_saveexec_b32 s0, vcc_lo
	s_cbranch_execz .LBB168_594
.LBB168_593:
	ds_read_b32 v9, v9 offset:448
	s_waitcnt lgkmcnt(0)
	v_add_f32_e32 v8, v8, v9
.LBB168_594:
	s_or_b32 exec_lo, exec_lo, s0
.LBB168_595:
	s_or_b32 exec_lo, exec_lo, s1
	s_barrier
	buffer_gl0_inv
	s_mov_b32 s0, exec_lo
	v_cmpx_eq_u32_e32 0, v11
	s_cbranch_execz .LBB168_597
; %bb.596:
	s_mul_i32 s0, s10, s11
	s_mul_i32 s2, s11, s24
	;; [unrolled: 1-line block ×3, first 2 shown]
	v_lshlrev_b32_e32 v0, 1, v0
	s_lshl_b32 s0, s0, 7
	s_ashr_i32 s1, s0, 31
	s_lshl_b64 s[0:1], s[0:1], 2
	s_add_u32 s4, s6, s0
	s_addc_u32 s5, s7, s1
	s_ashr_i32 s3, s2, 31
	s_lshl_b64 s[0:1], s[2:3], 2
	s_add_u32 s2, s4, s0
	s_addc_u32 s3, s5, s1
	s_lshl_b32 s0, s8, 7
	s_ashr_i32 s1, s0, 31
	s_lshl_b64 s[0:1], s[0:1], 2
	s_add_u32 s0, s2, s0
	s_addc_u32 s1, s3, s1
	global_store_dword v0, v1, s[0:1]
	global_store_dword v0, v2, s[0:1] offset:64
	global_store_dword v0, v3, s[0:1] offset:128
	;; [unrolled: 1-line block ×7, first 2 shown]
.LBB168_597:
	s_endpgm
.LBB168_598:
	ds_read_b32 v11, v9
	s_waitcnt lgkmcnt(0)
	v_add_f32_e32 v1, v1, v11
	s_or_b32 exec_lo, exec_lo, s0
	s_and_saveexec_b32 s0, vcc_lo
	s_cbranch_execz .LBB168_574
.LBB168_599:
	ds_read_b32 v11, v9 offset:64
	s_waitcnt lgkmcnt(0)
	v_add_f32_e32 v2, v2, v11
	s_or_b32 exec_lo, exec_lo, s0
	s_and_saveexec_b32 s0, vcc_lo
	s_cbranch_execz .LBB168_575
.LBB168_600:
	ds_read_b32 v11, v9 offset:128
	s_waitcnt lgkmcnt(0)
	v_add_f32_e32 v3, v3, v11
	s_or_b32 exec_lo, exec_lo, s0
	s_and_saveexec_b32 s0, vcc_lo
	s_cbranch_execz .LBB168_576
.LBB168_601:
	ds_read_b32 v11, v9 offset:192
	s_waitcnt lgkmcnt(0)
	v_add_f32_e32 v4, v4, v11
	s_or_b32 exec_lo, exec_lo, s0
	s_and_saveexec_b32 s0, vcc_lo
	s_cbranch_execz .LBB168_577
.LBB168_602:
	ds_read_b32 v11, v9 offset:256
	s_waitcnt lgkmcnt(0)
	v_add_f32_e32 v5, v5, v11
	s_or_b32 exec_lo, exec_lo, s0
	s_and_saveexec_b32 s0, vcc_lo
	s_cbranch_execz .LBB168_578
.LBB168_603:
	ds_read_b32 v11, v9 offset:320
	s_waitcnt lgkmcnt(0)
	v_add_f32_e32 v6, v6, v11
	s_or_b32 exec_lo, exec_lo, s0
	s_and_saveexec_b32 s0, vcc_lo
	s_cbranch_execz .LBB168_579
.LBB168_604:
	ds_read_b32 v11, v9 offset:384
	s_waitcnt lgkmcnt(0)
	v_add_f32_e32 v7, v7, v11
	s_or_b32 exec_lo, exec_lo, s0
	s_and_saveexec_b32 s0, vcc_lo
	s_cbranch_execnz .LBB168_580
	s_branch .LBB168_581
.LBB168_605:
	ds_read_b32 v10, v9
	s_waitcnt lgkmcnt(0)
	v_add_f32_e32 v1, v1, v10
	s_or_b32 exec_lo, exec_lo, s0
	s_and_saveexec_b32 s0, vcc_lo
	s_cbranch_execz .LBB168_587
.LBB168_606:
	ds_read_b32 v10, v9 offset:64
	s_waitcnt lgkmcnt(0)
	v_add_f32_e32 v2, v2, v10
	s_or_b32 exec_lo, exec_lo, s0
	s_and_saveexec_b32 s0, vcc_lo
	s_cbranch_execz .LBB168_588
.LBB168_607:
	ds_read_b32 v10, v9 offset:128
	s_waitcnt lgkmcnt(0)
	v_add_f32_e32 v3, v3, v10
	s_or_b32 exec_lo, exec_lo, s0
	s_and_saveexec_b32 s0, vcc_lo
	s_cbranch_execz .LBB168_589
.LBB168_608:
	ds_read_b32 v10, v9 offset:192
	s_waitcnt lgkmcnt(0)
	v_add_f32_e32 v4, v4, v10
	s_or_b32 exec_lo, exec_lo, s0
	s_and_saveexec_b32 s0, vcc_lo
	s_cbranch_execz .LBB168_590
.LBB168_609:
	ds_read_b32 v10, v9 offset:256
	s_waitcnt lgkmcnt(0)
	v_add_f32_e32 v5, v5, v10
	s_or_b32 exec_lo, exec_lo, s0
	s_and_saveexec_b32 s0, vcc_lo
	s_cbranch_execz .LBB168_591
.LBB168_610:
	ds_read_b32 v10, v9 offset:320
	s_waitcnt lgkmcnt(0)
	v_add_f32_e32 v6, v6, v10
	s_or_b32 exec_lo, exec_lo, s0
	s_and_saveexec_b32 s0, vcc_lo
	s_cbranch_execz .LBB168_592
.LBB168_611:
	ds_read_b32 v10, v9 offset:384
	s_waitcnt lgkmcnt(0)
	v_add_f32_e32 v7, v7, v10
	s_or_b32 exec_lo, exec_lo, s0
	s_and_saveexec_b32 s0, vcc_lo
	s_cbranch_execnz .LBB168_593
	s_branch .LBB168_594
	.section	.rodata,"a",@progbits
	.p2align	6, 0x0
	.amdhsa_kernel _ZN4vllm25paged_attention_v1_kernelIfhLi128ELi8ELi128ELNS_18Fp8KVCacheDataTypeE1ELb1EEEvPT_PKS2_PKT0_S8_ifPKiSA_iPKfiiiSC_SC_iiiii
		.amdhsa_group_segment_fixed_size 544
		.amdhsa_private_segment_fixed_size 0
		.amdhsa_kernarg_size 384
		.amdhsa_user_sgpr_count 6
		.amdhsa_user_sgpr_private_segment_buffer 1
		.amdhsa_user_sgpr_dispatch_ptr 0
		.amdhsa_user_sgpr_queue_ptr 0
		.amdhsa_user_sgpr_kernarg_segment_ptr 1
		.amdhsa_user_sgpr_dispatch_id 0
		.amdhsa_user_sgpr_flat_scratch_init 0
		.amdhsa_user_sgpr_private_segment_size 0
		.amdhsa_wavefront_size32 1
		.amdhsa_uses_dynamic_stack 0
		.amdhsa_system_sgpr_private_segment_wavefront_offset 0
		.amdhsa_system_sgpr_workgroup_id_x 1
		.amdhsa_system_sgpr_workgroup_id_y 1
		.amdhsa_system_sgpr_workgroup_id_z 1
		.amdhsa_system_sgpr_workgroup_info 0
		.amdhsa_system_vgpr_workitem_id 0
		.amdhsa_next_free_vgpr 92
		.amdhsa_next_free_sgpr 45
		.amdhsa_reserve_vcc 1
		.amdhsa_reserve_flat_scratch 0
		.amdhsa_float_round_mode_32 0
		.amdhsa_float_round_mode_16_64 0
		.amdhsa_float_denorm_mode_32 3
		.amdhsa_float_denorm_mode_16_64 3
		.amdhsa_dx10_clamp 1
		.amdhsa_ieee_mode 1
		.amdhsa_fp16_overflow 0
		.amdhsa_workgroup_processor_mode 1
		.amdhsa_memory_ordered 1
		.amdhsa_forward_progress 1
		.amdhsa_shared_vgpr_count 0
		.amdhsa_exception_fp_ieee_invalid_op 0
		.amdhsa_exception_fp_denorm_src 0
		.amdhsa_exception_fp_ieee_div_zero 0
		.amdhsa_exception_fp_ieee_overflow 0
		.amdhsa_exception_fp_ieee_underflow 0
		.amdhsa_exception_fp_ieee_inexact 0
		.amdhsa_exception_int_div_zero 0
	.end_amdhsa_kernel
	.section	.text._ZN4vllm25paged_attention_v1_kernelIfhLi128ELi8ELi128ELNS_18Fp8KVCacheDataTypeE1ELb1EEEvPT_PKS2_PKT0_S8_ifPKiSA_iPKfiiiSC_SC_iiiii,"axG",@progbits,_ZN4vllm25paged_attention_v1_kernelIfhLi128ELi8ELi128ELNS_18Fp8KVCacheDataTypeE1ELb1EEEvPT_PKS2_PKT0_S8_ifPKiSA_iPKfiiiSC_SC_iiiii,comdat
.Lfunc_end168:
	.size	_ZN4vllm25paged_attention_v1_kernelIfhLi128ELi8ELi128ELNS_18Fp8KVCacheDataTypeE1ELb1EEEvPT_PKS2_PKT0_S8_ifPKiSA_iPKfiiiSC_SC_iiiii, .Lfunc_end168-_ZN4vllm25paged_attention_v1_kernelIfhLi128ELi8ELi128ELNS_18Fp8KVCacheDataTypeE1ELb1EEEvPT_PKS2_PKT0_S8_ifPKiSA_iPKfiiiSC_SC_iiiii
                                        ; -- End function
	.set _ZN4vllm25paged_attention_v1_kernelIfhLi128ELi8ELi128ELNS_18Fp8KVCacheDataTypeE1ELb1EEEvPT_PKS2_PKT0_S8_ifPKiSA_iPKfiiiSC_SC_iiiii.num_vgpr, 92
	.set _ZN4vllm25paged_attention_v1_kernelIfhLi128ELi8ELi128ELNS_18Fp8KVCacheDataTypeE1ELb1EEEvPT_PKS2_PKT0_S8_ifPKiSA_iPKfiiiSC_SC_iiiii.num_agpr, 0
	.set _ZN4vllm25paged_attention_v1_kernelIfhLi128ELi8ELi128ELNS_18Fp8KVCacheDataTypeE1ELb1EEEvPT_PKS2_PKT0_S8_ifPKiSA_iPKfiiiSC_SC_iiiii.numbered_sgpr, 45
	.set _ZN4vllm25paged_attention_v1_kernelIfhLi128ELi8ELi128ELNS_18Fp8KVCacheDataTypeE1ELb1EEEvPT_PKS2_PKT0_S8_ifPKiSA_iPKfiiiSC_SC_iiiii.num_named_barrier, 0
	.set _ZN4vllm25paged_attention_v1_kernelIfhLi128ELi8ELi128ELNS_18Fp8KVCacheDataTypeE1ELb1EEEvPT_PKS2_PKT0_S8_ifPKiSA_iPKfiiiSC_SC_iiiii.private_seg_size, 0
	.set _ZN4vllm25paged_attention_v1_kernelIfhLi128ELi8ELi128ELNS_18Fp8KVCacheDataTypeE1ELb1EEEvPT_PKS2_PKT0_S8_ifPKiSA_iPKfiiiSC_SC_iiiii.uses_vcc, 1
	.set _ZN4vllm25paged_attention_v1_kernelIfhLi128ELi8ELi128ELNS_18Fp8KVCacheDataTypeE1ELb1EEEvPT_PKS2_PKT0_S8_ifPKiSA_iPKfiiiSC_SC_iiiii.uses_flat_scratch, 0
	.set _ZN4vllm25paged_attention_v1_kernelIfhLi128ELi8ELi128ELNS_18Fp8KVCacheDataTypeE1ELb1EEEvPT_PKS2_PKT0_S8_ifPKiSA_iPKfiiiSC_SC_iiiii.has_dyn_sized_stack, 0
	.set _ZN4vllm25paged_attention_v1_kernelIfhLi128ELi8ELi128ELNS_18Fp8KVCacheDataTypeE1ELb1EEEvPT_PKS2_PKT0_S8_ifPKiSA_iPKfiiiSC_SC_iiiii.has_recursion, 0
	.set _ZN4vllm25paged_attention_v1_kernelIfhLi128ELi8ELi128ELNS_18Fp8KVCacheDataTypeE1ELb1EEEvPT_PKS2_PKT0_S8_ifPKiSA_iPKfiiiSC_SC_iiiii.has_indirect_call, 0
	.section	.AMDGPU.csdata,"",@progbits
; Kernel info:
; codeLenInByte = 17564
; TotalNumSgprs: 47
; NumVgprs: 92
; ScratchSize: 0
; MemoryBound: 0
; FloatMode: 240
; IeeeMode: 1
; LDSByteSize: 544 bytes/workgroup (compile time only)
; SGPRBlocks: 0
; VGPRBlocks: 11
; NumSGPRsForWavesPerEU: 47
; NumVGPRsForWavesPerEU: 92
; Occupancy: 10
; WaveLimiterHint : 1
; COMPUTE_PGM_RSRC2:SCRATCH_EN: 0
; COMPUTE_PGM_RSRC2:USER_SGPR: 6
; COMPUTE_PGM_RSRC2:TRAP_HANDLER: 0
; COMPUTE_PGM_RSRC2:TGID_X_EN: 1
; COMPUTE_PGM_RSRC2:TGID_Y_EN: 1
; COMPUTE_PGM_RSRC2:TGID_Z_EN: 1
; COMPUTE_PGM_RSRC2:TIDIG_COMP_CNT: 0
	.section	.text._ZN4vllm25paged_attention_v1_kernelIfhLi192ELi8ELi128ELNS_18Fp8KVCacheDataTypeE1ELb1EEEvPT_PKS2_PKT0_S8_ifPKiSA_iPKfiiiSC_SC_iiiii,"axG",@progbits,_ZN4vllm25paged_attention_v1_kernelIfhLi192ELi8ELi128ELNS_18Fp8KVCacheDataTypeE1ELb1EEEvPT_PKS2_PKT0_S8_ifPKiSA_iPKfiiiSC_SC_iiiii,comdat
	.protected	_ZN4vllm25paged_attention_v1_kernelIfhLi192ELi8ELi128ELNS_18Fp8KVCacheDataTypeE1ELb1EEEvPT_PKS2_PKT0_S8_ifPKiSA_iPKfiiiSC_SC_iiiii ; -- Begin function _ZN4vllm25paged_attention_v1_kernelIfhLi192ELi8ELi128ELNS_18Fp8KVCacheDataTypeE1ELb1EEEvPT_PKS2_PKT0_S8_ifPKiSA_iPKfiiiSC_SC_iiiii
	.globl	_ZN4vllm25paged_attention_v1_kernelIfhLi192ELi8ELi128ELNS_18Fp8KVCacheDataTypeE1ELb1EEEvPT_PKS2_PKT0_S8_ifPKiSA_iPKfiiiSC_SC_iiiii
	.p2align	8
	.type	_ZN4vllm25paged_attention_v1_kernelIfhLi192ELi8ELi128ELNS_18Fp8KVCacheDataTypeE1ELb1EEEvPT_PKS2_PKT0_S8_ifPKiSA_iPKfiiiSC_SC_iiiii,@function
_ZN4vllm25paged_attention_v1_kernelIfhLi192ELi8ELi128ELNS_18Fp8KVCacheDataTypeE1ELb1EEEvPT_PKS2_PKT0_S8_ifPKiSA_iPKfiiiSC_SC_iiiii: ; @_ZN4vllm25paged_attention_v1_kernelIfhLi192ELi8ELi128ELNS_18Fp8KVCacheDataTypeE1ELb1EEEvPT_PKS2_PKT0_S8_ifPKiSA_iPKfiiiSC_SC_iiiii
; %bb.0:
	s_clause 0x2
	s_load_dword s9, s[4:5], 0x80
	s_load_dwordx2 s[0:1], s[4:5], 0x30
	s_load_dwordx2 s[34:35], s[4:5], 0x20
	s_mov_b32 s10, s7
	s_ashr_i32 s11, s7, 31
	s_mov_b32 s36, 0
	s_lshl_b64 s[2:3], s[10:11], 2
	s_waitcnt lgkmcnt(0)
	s_add_u32 s0, s0, s2
	s_addc_u32 s1, s1, s3
	s_abs_i32 s2, s34
	s_abs_i32 s11, s9
	v_cvt_f32_u32_e32 v1, s2
	s_sub_i32 s7, 0, s2
	v_rcp_iflag_f32_e32 v1, v1
	v_mul_f32_e32 v1, 0x4f7ffffe, v1
	v_cvt_u32_f32_e32 v1, v1
	v_readfirstlane_b32 s3, v1
	s_mul_i32 s7, s7, s3
	s_mul_hi_u32 s7, s3, s7
	s_add_i32 s3, s3, s7
	s_xor_b32 s7, s9, s34
	s_mul_hi_u32 s3, s11, s3
	s_ashr_i32 s7, s7, 31
	s_mul_i32 s12, s3, s2
	s_sub_i32 s11, s11, s12
	s_add_i32 s12, s3, 1
	s_sub_i32 s13, s11, s2
	s_cmp_ge_u32 s11, s2
	s_cselect_b32 s3, s12, s3
	s_cselect_b32 s11, s13, s11
	s_add_i32 s12, s3, 1
	s_cmp_ge_u32 s11, s2
	s_cselect_b32 s2, s12, s3
	s_abs_i32 s13, s6
	s_xor_b32 s2, s2, s7
	s_sub_i32 s15, s2, s7
	s_load_dwordx2 s[2:3], s[4:5], 0x40
	s_abs_i32 s12, s15
	v_cvt_f32_u32_e32 v1, s12
	s_sub_i32 s11, 0, s12
	v_rcp_iflag_f32_e32 v1, v1
	v_mul_f32_e32 v1, 0x4f7ffffe, v1
	v_cvt_u32_f32_e32 v1, v1
	v_readfirstlane_b32 s7, v1
	s_mul_i32 s11, s11, s7
	s_mul_hi_u32 s11, s7, s11
	s_add_i32 s7, s7, s11
	s_waitcnt lgkmcnt(0)
	s_cmp_eq_u64 s[2:3], 0
	s_mul_hi_u32 s14, s13, s7
	s_cbranch_scc1 .LBB169_2
; %bb.1:
	s_ashr_i32 s7, s6, 31
	s_lshl_b64 s[16:17], s[6:7], 2
	s_add_u32 s2, s2, s16
	s_addc_u32 s3, s3, s17
	s_load_dword s36, s[2:3], 0x0
.LBB169_2:
	s_load_dword s33, s[0:1], 0x0
	s_clause 0x1
	s_load_dword s11, s[4:5], 0x88
	s_load_dwordx4 s[16:19], s[4:5], 0x48
	v_and_b32_e32 v1, 3, v0
	v_lshlrev_b32_e32 v59, 2, v0
	s_ashr_i32 s2, s6, 31
	s_ashr_i32 s3, s15, 31
	s_mul_i32 s24, s6, 0xc0
	s_mov_b32 s7, exec_lo
	v_cmpx_gt_u32_e32 0xc0, v0
	s_cbranch_execz .LBB169_5
; %bb.3:
	s_load_dwordx2 s[0:1], s[4:5], 0x8
	s_waitcnt lgkmcnt(0)
	s_mul_i32 s20, s16, s10
	v_and_b32_e32 v2, 0x3fc, v0
	s_ashr_i32 s21, s20, 31
	v_cmp_gt_u32_e32 vcc_lo, 64, v0
	s_lshl_b64 s[20:21], s[20:21], 2
	v_mad_u32_u24 v2, 0xc0, v1, v2
	s_add_u32 s15, s0, s20
	s_addc_u32 s16, s1, s21
	s_ashr_i32 s25, s24, 31
	s_lshl_b64 s[0:1], s[24:25], 2
	s_add_u32 s0, s15, s0
	s_addc_u32 s1, s16, s1
	global_load_dword v3, v59, s[0:1]
	s_waitcnt vmcnt(0)
	ds_write_b32 v2, v3
	s_and_b32 exec_lo, exec_lo, vcc_lo
	s_cbranch_execz .LBB169_5
; %bb.4:
	v_lshrrev_b32_e32 v3, 2, v0
	v_lshlrev_b32_e32 v4, 2, v1
	v_lshlrev_b32_e32 v3, 4, v3
	v_or3_b32 v3, v3, v4, 0x200
	global_load_dword v3, v3, s[0:1]
	s_waitcnt vmcnt(0)
	ds_write_b32 v2, v3 offset:128
.LBB169_5:
	s_or_b32 exec_lo, exec_lo, s7
	s_load_dwordx4 s[20:23], s[4:5], 0x68
	s_mul_i32 s0, s14, s12
	s_xor_b32 s1, s2, s3
	s_sub_i32 s0, s13, s0
	s_add_i32 s2, s14, 1
	s_sub_i32 s3, s0, s12
	s_cmp_ge_u32 s0, s12
	s_mov_b32 s13, -1
	s_cselect_b32 s2, s2, s14
	s_cselect_b32 s0, s3, s0
	s_add_i32 s3, s2, 1
	s_cmp_ge_u32 s0, s12
	s_load_dword s0, s[4:5], 0x78
	s_cselect_b32 s2, s3, s2
	s_waitcnt lgkmcnt(0)
	s_add_i32 s7, s33, -1
	s_xor_b32 s2, s2, s1
	s_abs_i32 s3, s7
	s_sub_i32 s1, s2, s1
	s_barrier
	s_abs_i32 s16, s23
	buffer_gl0_inv
	v_cvt_f32_u32_e32 v2, s16
	s_sub_i32 s2, 0, s16
                                        ; implicit-def: $sgpr25
	v_rcp_iflag_f32_e32 v2, v2
	v_mul_f32_e32 v2, 0x4f7ffffe, v2
	v_cvt_u32_f32_e32 v2, v2
	v_readfirstlane_b32 s19, v2
	s_mul_i32 s2, s2, s19
	s_mul_hi_u32 s2, s19, s2
	s_add_i32 s19, s19, s2
	s_cmp_lt_i32 s0, 0
	s_mul_hi_u32 s2, s3, s19
	s_cbranch_scc0 .LBB169_7
; %bb.6:
	s_mul_i32 s12, s20, s34
	s_mov_b32 s13, 0
	s_add_i32 s12, s1, s12
	s_mul_i32 s12, s12, s0
	s_sub_i32 s25, 1, s12
.LBB169_7:
	s_load_dwordx2 s[26:27], s[4:5], 0x28
	s_ashr_i32 s12, s7, 31
	s_andn2_b32 vcc_lo, exec_lo, s13
	s_ashr_i32 s23, s23, 31
	s_cbranch_vccnz .LBB169_9
; %bb.8:
	s_mul_i32 s7, s9, s20
	s_add_i32 s6, s7, s6
	s_mul_i32 s0, s6, s0
	s_add_i32 s25, s0, 1
.LBB169_9:
	s_clause 0x2
	s_load_dword s0, s[4:5], 0x38
	s_load_dwordx2 s[6:7], s[4:5], 0x0
	s_load_dwordx2 s[30:31], s[4:5], 0x18
	s_xor_b32 s34, s12, s23
	s_mul_i32 s12, s2, s16
	s_add_i32 s20, s2, 1
	s_sub_i32 s3, s3, s12
	s_load_dwordx4 s[12:15], s[4:5], 0x58
	v_lshrrev_b32_e32 v57, 5, v0
	v_mov_b32_e32 v63, 0xff7fffff
	v_lshrrev_b32_e32 v60, 3, v0
	v_mbcnt_lo_u32_b32 v61, -1, 0
	s_mul_i32 s18, s1, s18
	v_lshlrev_b32_e32 v58, 3, v57
	s_waitcnt lgkmcnt(0)
	s_mul_i32 s28, s0, s10
	s_sub_i32 s0, s3, s16
	s_ashr_i32 s29, s28, 31
	s_cmp_ge_u32 s3, s16
	s_cselect_b32 s2, s20, s2
	s_cselect_b32 s0, s0, s3
	s_add_i32 s3, s2, 1
	s_cmp_ge_u32 s0, s16
	s_cselect_b32 s0, s3, s2
	s_add_i32 s2, s33, 7
	s_ashr_i32 s3, s2, 31
	s_lshr_b32 s3, s3, 29
	s_add_i32 s2, s2, s3
	s_ashr_i32 s20, s2, 3
	s_xor_b32 s2, s0, s34
	v_cmp_gt_i32_e64 s0, s20, v57
	s_sub_i32 s34, s2, s34
	s_and_saveexec_b32 s37, s0
	s_cbranch_execz .LBB169_405
; %bb.10:
	s_load_dwordx2 s[2:3], s[4:5], 0x10
	s_sub_i32 s4, s34, s21
	s_ashr_i32 s1, s18, 31
	v_bfe_u32 v62, v0, 2, 3
	v_and_b32_e32 v3, 0x7c, v60
	v_mov_b32_e32 v50, 0
	v_mul_u32_u24_e32 v64, 0xc0, v1
	v_lshlrev_b32_e32 v65, 3, v57
	v_lshlrev_b32_e32 v4, 2, v62
	v_subrev_nc_u32_e32 v5, s33, v62
	v_lshlrev_b32_e32 v6, 4, v62
	v_mov_b32_e32 v66, 0xff7fffff
	v_mov_b32_e32 v67, 0x7f
	v_lshl_or_b32 v4, v57, 5, v4
	v_add_nc_u32_e32 v69, 1, v5
	v_mov_b32_e32 v68, 7
	v_mov_b32_e32 v63, 0xff7fffff
	;; [unrolled: 1-line block ×3, first 2 shown]
	v_add_nc_u32_e32 v70, 0x320, v4
	v_cmp_eq_u32_e32 vcc_lo, 0, v1
	s_waitcnt lgkmcnt(0)
	s_add_u32 s38, s2, s18
	s_addc_u32 s39, s3, s1
	s_abs_i32 s5, s22
	v_add_co_u32 v5, s38, s38, v6
	v_cvt_f32_u32_e32 v2, s5
	s_sub_i32 s2, 0, s5
	v_add_co_ci_u32_e64 v6, null, s39, 0, s38
	v_cmp_neq_f32_e64 s1, s36, 0
	v_rcp_iflag_f32_e32 v2, v2
	s_mov_b32 s38, 0
	s_mov_b32 s39, s17
	v_mul_f32_e32 v2, 0x4f7ffffe, v2
	v_cvt_u32_f32_e32 v2, v2
	v_mul_lo_u32 v4, s2, v2
	s_lshl_b64 s[2:3], s[28:29], 2
	s_add_u32 s2, s26, s2
	s_addc_u32 s3, s27, s3
	v_add_co_u32 v51, s2, s2, v3
	v_add_co_ci_u32_e64 v52, null, s3, 0, s2
	v_mul_hi_u32 v4, v2, v4
	v_add_co_u32 v53, s2, v5, v1
	v_add_co_ci_u32_e64 v54, null, 0, v6, s2
	v_add_nc_u32_e32 v71, v2, v4
	s_branch .LBB169_13
.LBB169_11:                             ;   in Loop: Header=BB169_13 Depth=1
	s_or_b32 exec_lo, exec_lo, s40
.LBB169_12:                             ;   in Loop: Header=BB169_13 Depth=1
	s_or_b32 exec_lo, exec_lo, s3
	v_add_nc_u32_e32 v72, 4, v72
	v_add_co_u32 v51, s3, v51, 16
	v_add_co_ci_u32_e64 v52, null, 0, v52, s3
	v_cmp_le_i32_e64 s2, s20, v72
	v_add_nc_u32_e32 v65, 32, v65
	v_add_nc_u32_e32 v70, 0x80, v70
	s_or_b32 s38, s2, s38
	s_andn2_b32 exec_lo, exec_lo, s38
	s_cbranch_execz .LBB169_404
.LBB169_13:                             ; =>This Inner Loop Header: Depth=1
	v_mul_hi_u32 v1, v65, s19
	s_waitcnt lgkmcnt(0)
	v_mul_lo_u32 v2, v1, s16
	v_add_nc_u32_e32 v3, 1, v1
	v_sub_nc_u32_e32 v2, v65, v2
	v_subrev_nc_u32_e32 v4, s16, v2
	v_cmp_le_u32_e64 s2, s16, v2
	v_cndmask_b32_e64 v1, v1, v3, s2
	v_cndmask_b32_e64 v2, v2, v4, s2
	v_add_nc_u32_e32 v3, 1, v1
	v_cmp_le_u32_e64 s2, s16, v2
	v_cndmask_b32_e64 v1, v1, v3, s2
	v_xor_b32_e32 v1, s23, v1
	v_subrev_nc_u32_e32 v1, s23, v1
	v_add_nc_u32_e32 v2, s25, v1
	v_cmp_ge_i32_e64 s3, s4, v1
	v_sub_nc_u32_e32 v3, 0, v2
	v_max_i32_e32 v3, v2, v3
	v_ashrrev_i32_e32 v2, 31, v2
	v_mul_hi_u32 v4, v3, v71
	v_mul_lo_u32 v4, v4, s5
	v_sub_nc_u32_e32 v3, v3, v4
	v_subrev_nc_u32_e32 v4, s5, v3
	v_cmp_le_u32_e64 s2, s5, v3
	v_cndmask_b32_e64 v3, v3, v4, s2
	v_subrev_nc_u32_e32 v4, s5, v3
	v_cmp_le_u32_e64 s2, s5, v3
	v_cndmask_b32_e64 v3, v3, v4, s2
	v_xor_b32_e32 v3, v3, v2
	v_sub_nc_u32_e32 v2, v3, v2
	v_cmp_ne_u32_e64 s2, 0, v2
	s_and_b32 s2, s2, s3
	s_and_saveexec_b32 s3, s2
	s_xor_b32 s2, exec_lo, s3
	s_cbranch_execz .LBB169_17
; %bb.14:                               ;   in Loop: Header=BB169_13 Depth=1
	s_and_saveexec_b32 s3, vcc_lo
; %bb.15:                               ;   in Loop: Header=BB169_13 Depth=1
	ds_write_b32 v70, v66
; %bb.16:                               ;   in Loop: Header=BB169_13 Depth=1
	s_or_b32 exec_lo, exec_lo, s3
.LBB169_17:                             ;   in Loop: Header=BB169_13 Depth=1
	s_andn2_saveexec_b32 s3, s2
	s_cbranch_execz .LBB169_12
; %bb.18:                               ;   in Loop: Header=BB169_13 Depth=1
	global_load_dword v1, v[51:52], off
	v_mov_b32_e32 v73, 0
	v_mov_b32_e32 v74, 0
	s_mov_b32 s41, exec_lo
	s_waitcnt vmcnt(0)
	v_mad_i64_i32 v[55:56], null, v1, s39, v[53:54]
	global_load_ubyte v75, v[55:56], off
	ds_read_b128 v[45:48], v64
	ds_read_b128 v[41:44], v64 offset:16
	ds_read_b128 v[37:40], v64 offset:32
	;; [unrolled: 1-line block ×11, first 2 shown]
	s_load_dword s40, s[12:13], 0x0
	s_waitcnt vmcnt(0)
	v_cmpx_ne_u16_e32 0, v75
	s_cbranch_execz .LBB169_26
; %bb.19:                               ;   in Loop: Header=BB169_13 Depth=1
	v_bfrev_b32_e32 v74, 1
	s_mov_b32 s42, exec_lo
	v_cmpx_ne_u16_e32 0x80, v75
	s_cbranch_execz .LBB169_25
; %bb.20:                               ;   in Loop: Header=BB169_13 Depth=1
	v_and_b32_sdwa v76, v75, v67 dst_sel:DWORD dst_unused:UNUSED_PAD src0_sel:WORD_0 src1_sel:DWORD
	v_mov_b32_e32 v74, 0x7f800001
	s_mov_b32 s43, exec_lo
	v_cmpx_ne_u32_e32 0x7f, v76
	s_cbranch_execz .LBB169_24
; %bb.21:                               ;   in Loop: Header=BB169_13 Depth=1
	v_and_b32_sdwa v49, v75, v68 dst_sel:DWORD dst_unused:UNUSED_PAD src0_sel:WORD_0 src1_sel:DWORD
	v_lshrrev_b32_e32 v74, 3, v76
	s_mov_b32 s44, exec_lo
	v_cmpx_gt_u32_e32 8, v76
; %bb.22:                               ;   in Loop: Header=BB169_13 Depth=1
	v_ffbh_u32_e32 v74, v49
	v_min_u32_e32 v74, 32, v74
	v_subrev_nc_u32_e32 v76, 28, v74
	v_sub_nc_u32_e32 v74, 29, v74
	v_lshlrev_b64 v[76:77], v76, v[49:50]
	v_and_b32_e32 v49, 7, v76
; %bb.23:                               ;   in Loop: Header=BB169_13 Depth=1
	s_or_b32 exec_lo, exec_lo, s44
	v_lshlrev_b32_e32 v75, 24, v75
	v_lshlrev_b32_e32 v49, 20, v49
	v_lshl_add_u32 v74, v74, 23, 0x3c000000
	v_and_b32_e32 v75, 0x80000000, v75
	v_or3_b32 v74, v49, v75, v74
.LBB169_24:                             ;   in Loop: Header=BB169_13 Depth=1
	s_or_b32 exec_lo, exec_lo, s43
.LBB169_25:                             ;   in Loop: Header=BB169_13 Depth=1
	s_or_b32 exec_lo, exec_lo, s42
.LBB169_26:                             ;   in Loop: Header=BB169_13 Depth=1
	s_or_b32 exec_lo, exec_lo, s41
	global_load_ubyte v75, v[55:56], off offset:4
	s_mov_b32 s41, exec_lo
	s_waitcnt vmcnt(0)
	v_cmpx_ne_u16_e32 0, v75
	s_cbranch_execz .LBB169_34
; %bb.27:                               ;   in Loop: Header=BB169_13 Depth=1
	v_bfrev_b32_e32 v73, 1
	s_mov_b32 s42, exec_lo
	v_cmpx_ne_u16_e32 0x80, v75
	s_cbranch_execz .LBB169_33
; %bb.28:                               ;   in Loop: Header=BB169_13 Depth=1
	v_and_b32_sdwa v76, v75, v67 dst_sel:DWORD dst_unused:UNUSED_PAD src0_sel:WORD_0 src1_sel:DWORD
	v_mov_b32_e32 v73, 0x7f800001
	s_mov_b32 s43, exec_lo
	v_cmpx_ne_u32_e32 0x7f, v76
	s_cbranch_execz .LBB169_32
; %bb.29:                               ;   in Loop: Header=BB169_13 Depth=1
	v_and_b32_sdwa v49, v75, v68 dst_sel:DWORD dst_unused:UNUSED_PAD src0_sel:WORD_0 src1_sel:DWORD
	v_lshrrev_b32_e32 v73, 3, v76
	s_mov_b32 s44, exec_lo
	v_cmpx_gt_u32_e32 8, v76
; %bb.30:                               ;   in Loop: Header=BB169_13 Depth=1
	v_ffbh_u32_e32 v73, v49
	v_min_u32_e32 v73, 32, v73
	v_subrev_nc_u32_e32 v76, 28, v73
	v_sub_nc_u32_e32 v73, 29, v73
	v_lshlrev_b64 v[76:77], v76, v[49:50]
	v_and_b32_e32 v49, 7, v76
; %bb.31:                               ;   in Loop: Header=BB169_13 Depth=1
	s_or_b32 exec_lo, exec_lo, s44
	v_lshlrev_b32_e32 v75, 24, v75
	v_lshlrev_b32_e32 v49, 20, v49
	v_lshl_add_u32 v73, v73, 23, 0x3c000000
	v_and_b32_e32 v75, 0x80000000, v75
	v_or3_b32 v73, v49, v75, v73
.LBB169_32:                             ;   in Loop: Header=BB169_13 Depth=1
	s_or_b32 exec_lo, exec_lo, s43
.LBB169_33:                             ;   in Loop: Header=BB169_13 Depth=1
	s_or_b32 exec_lo, exec_lo, s42
.LBB169_34:                             ;   in Loop: Header=BB169_13 Depth=1
	s_or_b32 exec_lo, exec_lo, s41
	global_load_ubyte v77, v[55:56], off offset:8
	v_mov_b32_e32 v75, 0
	v_mov_b32_e32 v76, 0
	s_mov_b32 s41, exec_lo
	s_waitcnt vmcnt(0)
	v_cmpx_ne_u16_e32 0, v77
	s_cbranch_execz .LBB169_42
; %bb.35:                               ;   in Loop: Header=BB169_13 Depth=1
	v_bfrev_b32_e32 v76, 1
	s_mov_b32 s42, exec_lo
	v_cmpx_ne_u16_e32 0x80, v77
	s_cbranch_execz .LBB169_41
; %bb.36:                               ;   in Loop: Header=BB169_13 Depth=1
	v_and_b32_sdwa v78, v77, v67 dst_sel:DWORD dst_unused:UNUSED_PAD src0_sel:WORD_0 src1_sel:DWORD
	v_mov_b32_e32 v76, 0x7f800001
	s_mov_b32 s43, exec_lo
	v_cmpx_ne_u32_e32 0x7f, v78
	s_cbranch_execz .LBB169_40
; %bb.37:                               ;   in Loop: Header=BB169_13 Depth=1
	v_and_b32_sdwa v49, v77, v68 dst_sel:DWORD dst_unused:UNUSED_PAD src0_sel:WORD_0 src1_sel:DWORD
	v_lshrrev_b32_e32 v76, 3, v78
	s_mov_b32 s44, exec_lo
	v_cmpx_gt_u32_e32 8, v78
; %bb.38:                               ;   in Loop: Header=BB169_13 Depth=1
	v_ffbh_u32_e32 v76, v49
	v_min_u32_e32 v76, 32, v76
	v_subrev_nc_u32_e32 v78, 28, v76
	v_sub_nc_u32_e32 v76, 29, v76
	v_lshlrev_b64 v[78:79], v78, v[49:50]
	v_and_b32_e32 v49, 7, v78
; %bb.39:                               ;   in Loop: Header=BB169_13 Depth=1
	s_or_b32 exec_lo, exec_lo, s44
	v_lshlrev_b32_e32 v77, 24, v77
	v_lshlrev_b32_e32 v49, 20, v49
	v_lshl_add_u32 v76, v76, 23, 0x3c000000
	v_and_b32_e32 v77, 0x80000000, v77
	v_or3_b32 v76, v49, v77, v76
.LBB169_40:                             ;   in Loop: Header=BB169_13 Depth=1
	s_or_b32 exec_lo, exec_lo, s43
.LBB169_41:                             ;   in Loop: Header=BB169_13 Depth=1
	s_or_b32 exec_lo, exec_lo, s42
.LBB169_42:                             ;   in Loop: Header=BB169_13 Depth=1
	s_or_b32 exec_lo, exec_lo, s41
	global_load_ubyte v77, v[55:56], off offset:12
	s_mov_b32 s41, exec_lo
	s_waitcnt vmcnt(0)
	v_cmpx_ne_u16_e32 0, v77
	s_cbranch_execz .LBB169_50
; %bb.43:                               ;   in Loop: Header=BB169_13 Depth=1
	v_bfrev_b32_e32 v75, 1
	s_mov_b32 s42, exec_lo
	v_cmpx_ne_u16_e32 0x80, v77
	s_cbranch_execz .LBB169_49
; %bb.44:                               ;   in Loop: Header=BB169_13 Depth=1
	v_and_b32_sdwa v78, v77, v67 dst_sel:DWORD dst_unused:UNUSED_PAD src0_sel:WORD_0 src1_sel:DWORD
	v_mov_b32_e32 v75, 0x7f800001
	s_mov_b32 s43, exec_lo
	v_cmpx_ne_u32_e32 0x7f, v78
	s_cbranch_execz .LBB169_48
; %bb.45:                               ;   in Loop: Header=BB169_13 Depth=1
	v_and_b32_sdwa v49, v77, v68 dst_sel:DWORD dst_unused:UNUSED_PAD src0_sel:WORD_0 src1_sel:DWORD
	v_lshrrev_b32_e32 v75, 3, v78
	s_mov_b32 s44, exec_lo
	v_cmpx_gt_u32_e32 8, v78
; %bb.46:                               ;   in Loop: Header=BB169_13 Depth=1
	v_ffbh_u32_e32 v75, v49
	v_min_u32_e32 v75, 32, v75
	v_subrev_nc_u32_e32 v78, 28, v75
	v_sub_nc_u32_e32 v75, 29, v75
	v_lshlrev_b64 v[78:79], v78, v[49:50]
	v_and_b32_e32 v49, 7, v78
; %bb.47:                               ;   in Loop: Header=BB169_13 Depth=1
	s_or_b32 exec_lo, exec_lo, s44
	v_lshlrev_b32_e32 v77, 24, v77
	v_lshlrev_b32_e32 v49, 20, v49
	v_lshl_add_u32 v75, v75, 23, 0x3c000000
	v_and_b32_e32 v77, 0x80000000, v77
	v_or3_b32 v75, v49, v77, v75
.LBB169_48:                             ;   in Loop: Header=BB169_13 Depth=1
	s_or_b32 exec_lo, exec_lo, s43
.LBB169_49:                             ;   in Loop: Header=BB169_13 Depth=1
	s_or_b32 exec_lo, exec_lo, s42
.LBB169_50:                             ;   in Loop: Header=BB169_13 Depth=1
	s_or_b32 exec_lo, exec_lo, s41
	global_load_ubyte v79, v[55:56], off offset:128
	v_mov_b32_e32 v77, 0
	v_mov_b32_e32 v78, 0
	s_mov_b32 s41, exec_lo
	s_waitcnt vmcnt(0)
	v_cmpx_ne_u16_e32 0, v79
	s_cbranch_execz .LBB169_58
; %bb.51:                               ;   in Loop: Header=BB169_13 Depth=1
	v_bfrev_b32_e32 v78, 1
	s_mov_b32 s42, exec_lo
	v_cmpx_ne_u16_e32 0x80, v79
	s_cbranch_execz .LBB169_57
; %bb.52:                               ;   in Loop: Header=BB169_13 Depth=1
	v_and_b32_sdwa v80, v79, v67 dst_sel:DWORD dst_unused:UNUSED_PAD src0_sel:WORD_0 src1_sel:DWORD
	v_mov_b32_e32 v78, 0x7f800001
	s_mov_b32 s43, exec_lo
	v_cmpx_ne_u32_e32 0x7f, v80
	s_cbranch_execz .LBB169_56
; %bb.53:                               ;   in Loop: Header=BB169_13 Depth=1
	v_and_b32_sdwa v49, v79, v68 dst_sel:DWORD dst_unused:UNUSED_PAD src0_sel:WORD_0 src1_sel:DWORD
	v_lshrrev_b32_e32 v78, 3, v80
	s_mov_b32 s44, exec_lo
	v_cmpx_gt_u32_e32 8, v80
; %bb.54:                               ;   in Loop: Header=BB169_13 Depth=1
	v_ffbh_u32_e32 v78, v49
	v_min_u32_e32 v78, 32, v78
	v_subrev_nc_u32_e32 v80, 28, v78
	v_sub_nc_u32_e32 v78, 29, v78
	v_lshlrev_b64 v[80:81], v80, v[49:50]
	v_and_b32_e32 v49, 7, v80
; %bb.55:                               ;   in Loop: Header=BB169_13 Depth=1
	s_or_b32 exec_lo, exec_lo, s44
	v_lshlrev_b32_e32 v79, 24, v79
	v_lshlrev_b32_e32 v49, 20, v49
	v_lshl_add_u32 v78, v78, 23, 0x3c000000
	v_and_b32_e32 v79, 0x80000000, v79
	v_or3_b32 v78, v49, v79, v78
.LBB169_56:                             ;   in Loop: Header=BB169_13 Depth=1
	s_or_b32 exec_lo, exec_lo, s43
.LBB169_57:                             ;   in Loop: Header=BB169_13 Depth=1
	s_or_b32 exec_lo, exec_lo, s42
.LBB169_58:                             ;   in Loop: Header=BB169_13 Depth=1
	s_or_b32 exec_lo, exec_lo, s41
	global_load_ubyte v79, v[55:56], off offset:132
	s_mov_b32 s41, exec_lo
	s_waitcnt vmcnt(0)
	v_cmpx_ne_u16_e32 0, v79
	s_cbranch_execz .LBB169_66
; %bb.59:                               ;   in Loop: Header=BB169_13 Depth=1
	v_bfrev_b32_e32 v77, 1
	s_mov_b32 s42, exec_lo
	v_cmpx_ne_u16_e32 0x80, v79
	s_cbranch_execz .LBB169_65
; %bb.60:                               ;   in Loop: Header=BB169_13 Depth=1
	v_and_b32_sdwa v80, v79, v67 dst_sel:DWORD dst_unused:UNUSED_PAD src0_sel:WORD_0 src1_sel:DWORD
	v_mov_b32_e32 v77, 0x7f800001
	s_mov_b32 s43, exec_lo
	v_cmpx_ne_u32_e32 0x7f, v80
	s_cbranch_execz .LBB169_64
; %bb.61:                               ;   in Loop: Header=BB169_13 Depth=1
	v_and_b32_sdwa v49, v79, v68 dst_sel:DWORD dst_unused:UNUSED_PAD src0_sel:WORD_0 src1_sel:DWORD
	v_lshrrev_b32_e32 v77, 3, v80
	s_mov_b32 s44, exec_lo
	v_cmpx_gt_u32_e32 8, v80
; %bb.62:                               ;   in Loop: Header=BB169_13 Depth=1
	v_ffbh_u32_e32 v77, v49
	v_min_u32_e32 v77, 32, v77
	v_subrev_nc_u32_e32 v80, 28, v77
	v_sub_nc_u32_e32 v77, 29, v77
	v_lshlrev_b64 v[80:81], v80, v[49:50]
	v_and_b32_e32 v49, 7, v80
; %bb.63:                               ;   in Loop: Header=BB169_13 Depth=1
	s_or_b32 exec_lo, exec_lo, s44
	v_lshlrev_b32_e32 v79, 24, v79
	v_lshlrev_b32_e32 v49, 20, v49
	v_lshl_add_u32 v77, v77, 23, 0x3c000000
	v_and_b32_e32 v79, 0x80000000, v79
	v_or3_b32 v77, v49, v79, v77
.LBB169_64:                             ;   in Loop: Header=BB169_13 Depth=1
	s_or_b32 exec_lo, exec_lo, s43
.LBB169_65:                             ;   in Loop: Header=BB169_13 Depth=1
	s_or_b32 exec_lo, exec_lo, s42
.LBB169_66:                             ;   in Loop: Header=BB169_13 Depth=1
	s_or_b32 exec_lo, exec_lo, s41
	global_load_ubyte v81, v[55:56], off offset:136
	v_mov_b32_e32 v79, 0
	v_mov_b32_e32 v80, 0
	s_mov_b32 s41, exec_lo
	s_waitcnt vmcnt(0)
	v_cmpx_ne_u16_e32 0, v81
	s_cbranch_execz .LBB169_74
; %bb.67:                               ;   in Loop: Header=BB169_13 Depth=1
	v_bfrev_b32_e32 v80, 1
	s_mov_b32 s42, exec_lo
	v_cmpx_ne_u16_e32 0x80, v81
	s_cbranch_execz .LBB169_73
; %bb.68:                               ;   in Loop: Header=BB169_13 Depth=1
	v_and_b32_sdwa v82, v81, v67 dst_sel:DWORD dst_unused:UNUSED_PAD src0_sel:WORD_0 src1_sel:DWORD
	v_mov_b32_e32 v80, 0x7f800001
	s_mov_b32 s43, exec_lo
	v_cmpx_ne_u32_e32 0x7f, v82
	s_cbranch_execz .LBB169_72
; %bb.69:                               ;   in Loop: Header=BB169_13 Depth=1
	v_and_b32_sdwa v49, v81, v68 dst_sel:DWORD dst_unused:UNUSED_PAD src0_sel:WORD_0 src1_sel:DWORD
	v_lshrrev_b32_e32 v80, 3, v82
	s_mov_b32 s44, exec_lo
	v_cmpx_gt_u32_e32 8, v82
; %bb.70:                               ;   in Loop: Header=BB169_13 Depth=1
	v_ffbh_u32_e32 v80, v49
	v_min_u32_e32 v80, 32, v80
	v_subrev_nc_u32_e32 v82, 28, v80
	v_sub_nc_u32_e32 v80, 29, v80
	v_lshlrev_b64 v[82:83], v82, v[49:50]
	v_and_b32_e32 v49, 7, v82
; %bb.71:                               ;   in Loop: Header=BB169_13 Depth=1
	s_or_b32 exec_lo, exec_lo, s44
	v_lshlrev_b32_e32 v81, 24, v81
	v_lshlrev_b32_e32 v49, 20, v49
	v_lshl_add_u32 v80, v80, 23, 0x3c000000
	v_and_b32_e32 v81, 0x80000000, v81
	v_or3_b32 v80, v49, v81, v80
.LBB169_72:                             ;   in Loop: Header=BB169_13 Depth=1
	s_or_b32 exec_lo, exec_lo, s43
.LBB169_73:                             ;   in Loop: Header=BB169_13 Depth=1
	s_or_b32 exec_lo, exec_lo, s42
.LBB169_74:                             ;   in Loop: Header=BB169_13 Depth=1
	s_or_b32 exec_lo, exec_lo, s41
	global_load_ubyte v81, v[55:56], off offset:140
	s_mov_b32 s41, exec_lo
	s_waitcnt vmcnt(0)
	v_cmpx_ne_u16_e32 0, v81
	s_cbranch_execz .LBB169_82
; %bb.75:                               ;   in Loop: Header=BB169_13 Depth=1
	v_bfrev_b32_e32 v79, 1
	s_mov_b32 s42, exec_lo
	v_cmpx_ne_u16_e32 0x80, v81
	s_cbranch_execz .LBB169_81
; %bb.76:                               ;   in Loop: Header=BB169_13 Depth=1
	v_and_b32_sdwa v82, v81, v67 dst_sel:DWORD dst_unused:UNUSED_PAD src0_sel:WORD_0 src1_sel:DWORD
	v_mov_b32_e32 v79, 0x7f800001
	s_mov_b32 s43, exec_lo
	v_cmpx_ne_u32_e32 0x7f, v82
	s_cbranch_execz .LBB169_80
; %bb.77:                               ;   in Loop: Header=BB169_13 Depth=1
	v_and_b32_sdwa v49, v81, v68 dst_sel:DWORD dst_unused:UNUSED_PAD src0_sel:WORD_0 src1_sel:DWORD
	v_lshrrev_b32_e32 v79, 3, v82
	s_mov_b32 s44, exec_lo
	v_cmpx_gt_u32_e32 8, v82
; %bb.78:                               ;   in Loop: Header=BB169_13 Depth=1
	v_ffbh_u32_e32 v79, v49
	v_min_u32_e32 v79, 32, v79
	v_subrev_nc_u32_e32 v82, 28, v79
	v_sub_nc_u32_e32 v79, 29, v79
	v_lshlrev_b64 v[82:83], v82, v[49:50]
	v_and_b32_e32 v49, 7, v82
; %bb.79:                               ;   in Loop: Header=BB169_13 Depth=1
	s_or_b32 exec_lo, exec_lo, s44
	v_lshlrev_b32_e32 v81, 24, v81
	v_lshlrev_b32_e32 v49, 20, v49
	v_lshl_add_u32 v79, v79, 23, 0x3c000000
	v_and_b32_e32 v81, 0x80000000, v81
	v_or3_b32 v79, v49, v81, v79
.LBB169_80:                             ;   in Loop: Header=BB169_13 Depth=1
	s_or_b32 exec_lo, exec_lo, s43
.LBB169_81:                             ;   in Loop: Header=BB169_13 Depth=1
	s_or_b32 exec_lo, exec_lo, s42
.LBB169_82:                             ;   in Loop: Header=BB169_13 Depth=1
	s_or_b32 exec_lo, exec_lo, s41
	global_load_ubyte v83, v[55:56], off offset:256
	v_mov_b32_e32 v81, 0
	v_mov_b32_e32 v82, 0
	s_mov_b32 s41, exec_lo
	s_waitcnt vmcnt(0)
	v_cmpx_ne_u16_e32 0, v83
	s_cbranch_execz .LBB169_90
; %bb.83:                               ;   in Loop: Header=BB169_13 Depth=1
	v_bfrev_b32_e32 v82, 1
	s_mov_b32 s42, exec_lo
	v_cmpx_ne_u16_e32 0x80, v83
	s_cbranch_execz .LBB169_89
; %bb.84:                               ;   in Loop: Header=BB169_13 Depth=1
	v_and_b32_sdwa v84, v83, v67 dst_sel:DWORD dst_unused:UNUSED_PAD src0_sel:WORD_0 src1_sel:DWORD
	v_mov_b32_e32 v82, 0x7f800001
	s_mov_b32 s43, exec_lo
	v_cmpx_ne_u32_e32 0x7f, v84
	s_cbranch_execz .LBB169_88
; %bb.85:                               ;   in Loop: Header=BB169_13 Depth=1
	v_and_b32_sdwa v49, v83, v68 dst_sel:DWORD dst_unused:UNUSED_PAD src0_sel:WORD_0 src1_sel:DWORD
	v_lshrrev_b32_e32 v82, 3, v84
	s_mov_b32 s44, exec_lo
	v_cmpx_gt_u32_e32 8, v84
; %bb.86:                               ;   in Loop: Header=BB169_13 Depth=1
	v_ffbh_u32_e32 v82, v49
	v_min_u32_e32 v82, 32, v82
	v_subrev_nc_u32_e32 v84, 28, v82
	v_sub_nc_u32_e32 v82, 29, v82
	v_lshlrev_b64 v[84:85], v84, v[49:50]
	v_and_b32_e32 v49, 7, v84
; %bb.87:                               ;   in Loop: Header=BB169_13 Depth=1
	s_or_b32 exec_lo, exec_lo, s44
	v_lshlrev_b32_e32 v83, 24, v83
	v_lshlrev_b32_e32 v49, 20, v49
	v_lshl_add_u32 v82, v82, 23, 0x3c000000
	v_and_b32_e32 v83, 0x80000000, v83
	v_or3_b32 v82, v49, v83, v82
.LBB169_88:                             ;   in Loop: Header=BB169_13 Depth=1
	s_or_b32 exec_lo, exec_lo, s43
.LBB169_89:                             ;   in Loop: Header=BB169_13 Depth=1
	s_or_b32 exec_lo, exec_lo, s42
.LBB169_90:                             ;   in Loop: Header=BB169_13 Depth=1
	s_or_b32 exec_lo, exec_lo, s41
	global_load_ubyte v83, v[55:56], off offset:260
	s_mov_b32 s41, exec_lo
	s_waitcnt vmcnt(0)
	v_cmpx_ne_u16_e32 0, v83
	s_cbranch_execz .LBB169_98
; %bb.91:                               ;   in Loop: Header=BB169_13 Depth=1
	v_bfrev_b32_e32 v81, 1
	s_mov_b32 s42, exec_lo
	v_cmpx_ne_u16_e32 0x80, v83
	s_cbranch_execz .LBB169_97
; %bb.92:                               ;   in Loop: Header=BB169_13 Depth=1
	v_and_b32_sdwa v84, v83, v67 dst_sel:DWORD dst_unused:UNUSED_PAD src0_sel:WORD_0 src1_sel:DWORD
	v_mov_b32_e32 v81, 0x7f800001
	s_mov_b32 s43, exec_lo
	v_cmpx_ne_u32_e32 0x7f, v84
	s_cbranch_execz .LBB169_96
; %bb.93:                               ;   in Loop: Header=BB169_13 Depth=1
	v_and_b32_sdwa v49, v83, v68 dst_sel:DWORD dst_unused:UNUSED_PAD src0_sel:WORD_0 src1_sel:DWORD
	v_lshrrev_b32_e32 v81, 3, v84
	s_mov_b32 s44, exec_lo
	v_cmpx_gt_u32_e32 8, v84
; %bb.94:                               ;   in Loop: Header=BB169_13 Depth=1
	v_ffbh_u32_e32 v81, v49
	v_min_u32_e32 v81, 32, v81
	v_subrev_nc_u32_e32 v84, 28, v81
	v_sub_nc_u32_e32 v81, 29, v81
	v_lshlrev_b64 v[84:85], v84, v[49:50]
	v_and_b32_e32 v49, 7, v84
; %bb.95:                               ;   in Loop: Header=BB169_13 Depth=1
	s_or_b32 exec_lo, exec_lo, s44
	v_lshlrev_b32_e32 v83, 24, v83
	v_lshlrev_b32_e32 v49, 20, v49
	v_lshl_add_u32 v81, v81, 23, 0x3c000000
	v_and_b32_e32 v83, 0x80000000, v83
	v_or3_b32 v81, v49, v83, v81
.LBB169_96:                             ;   in Loop: Header=BB169_13 Depth=1
	s_or_b32 exec_lo, exec_lo, s43
.LBB169_97:                             ;   in Loop: Header=BB169_13 Depth=1
	s_or_b32 exec_lo, exec_lo, s42
.LBB169_98:                             ;   in Loop: Header=BB169_13 Depth=1
	s_or_b32 exec_lo, exec_lo, s41
	global_load_ubyte v85, v[55:56], off offset:264
	v_mov_b32_e32 v83, 0
	v_mov_b32_e32 v84, 0
	s_mov_b32 s41, exec_lo
	s_waitcnt vmcnt(0)
	v_cmpx_ne_u16_e32 0, v85
	s_cbranch_execz .LBB169_106
; %bb.99:                               ;   in Loop: Header=BB169_13 Depth=1
	v_bfrev_b32_e32 v84, 1
	s_mov_b32 s42, exec_lo
	v_cmpx_ne_u16_e32 0x80, v85
	s_cbranch_execz .LBB169_105
; %bb.100:                              ;   in Loop: Header=BB169_13 Depth=1
	v_and_b32_sdwa v86, v85, v67 dst_sel:DWORD dst_unused:UNUSED_PAD src0_sel:WORD_0 src1_sel:DWORD
	v_mov_b32_e32 v84, 0x7f800001
	s_mov_b32 s43, exec_lo
	v_cmpx_ne_u32_e32 0x7f, v86
	s_cbranch_execz .LBB169_104
; %bb.101:                              ;   in Loop: Header=BB169_13 Depth=1
	v_and_b32_sdwa v49, v85, v68 dst_sel:DWORD dst_unused:UNUSED_PAD src0_sel:WORD_0 src1_sel:DWORD
	v_lshrrev_b32_e32 v84, 3, v86
	s_mov_b32 s44, exec_lo
	v_cmpx_gt_u32_e32 8, v86
; %bb.102:                              ;   in Loop: Header=BB169_13 Depth=1
	v_ffbh_u32_e32 v84, v49
	v_min_u32_e32 v84, 32, v84
	v_subrev_nc_u32_e32 v86, 28, v84
	v_sub_nc_u32_e32 v84, 29, v84
	v_lshlrev_b64 v[86:87], v86, v[49:50]
	v_and_b32_e32 v49, 7, v86
; %bb.103:                              ;   in Loop: Header=BB169_13 Depth=1
	s_or_b32 exec_lo, exec_lo, s44
	v_lshlrev_b32_e32 v85, 24, v85
	v_lshlrev_b32_e32 v49, 20, v49
	v_lshl_add_u32 v84, v84, 23, 0x3c000000
	v_and_b32_e32 v85, 0x80000000, v85
	v_or3_b32 v84, v49, v85, v84
.LBB169_104:                            ;   in Loop: Header=BB169_13 Depth=1
	s_or_b32 exec_lo, exec_lo, s43
.LBB169_105:                            ;   in Loop: Header=BB169_13 Depth=1
	s_or_b32 exec_lo, exec_lo, s42
.LBB169_106:                            ;   in Loop: Header=BB169_13 Depth=1
	s_or_b32 exec_lo, exec_lo, s41
	global_load_ubyte v85, v[55:56], off offset:268
	s_mov_b32 s41, exec_lo
	s_waitcnt vmcnt(0)
	v_cmpx_ne_u16_e32 0, v85
	s_cbranch_execz .LBB169_114
; %bb.107:                              ;   in Loop: Header=BB169_13 Depth=1
	v_bfrev_b32_e32 v83, 1
	s_mov_b32 s42, exec_lo
	v_cmpx_ne_u16_e32 0x80, v85
	s_cbranch_execz .LBB169_113
; %bb.108:                              ;   in Loop: Header=BB169_13 Depth=1
	v_and_b32_sdwa v86, v85, v67 dst_sel:DWORD dst_unused:UNUSED_PAD src0_sel:WORD_0 src1_sel:DWORD
	v_mov_b32_e32 v83, 0x7f800001
	s_mov_b32 s43, exec_lo
	v_cmpx_ne_u32_e32 0x7f, v86
	s_cbranch_execz .LBB169_112
; %bb.109:                              ;   in Loop: Header=BB169_13 Depth=1
	v_and_b32_sdwa v49, v85, v68 dst_sel:DWORD dst_unused:UNUSED_PAD src0_sel:WORD_0 src1_sel:DWORD
	v_lshrrev_b32_e32 v83, 3, v86
	s_mov_b32 s44, exec_lo
	v_cmpx_gt_u32_e32 8, v86
; %bb.110:                              ;   in Loop: Header=BB169_13 Depth=1
	v_ffbh_u32_e32 v83, v49
	v_min_u32_e32 v83, 32, v83
	v_subrev_nc_u32_e32 v86, 28, v83
	v_sub_nc_u32_e32 v83, 29, v83
	v_lshlrev_b64 v[86:87], v86, v[49:50]
	v_and_b32_e32 v49, 7, v86
; %bb.111:                              ;   in Loop: Header=BB169_13 Depth=1
	s_or_b32 exec_lo, exec_lo, s44
	v_lshlrev_b32_e32 v85, 24, v85
	v_lshlrev_b32_e32 v49, 20, v49
	v_lshl_add_u32 v83, v83, 23, 0x3c000000
	v_and_b32_e32 v85, 0x80000000, v85
	v_or3_b32 v83, v49, v85, v83
.LBB169_112:                            ;   in Loop: Header=BB169_13 Depth=1
	s_or_b32 exec_lo, exec_lo, s43
.LBB169_113:                            ;   in Loop: Header=BB169_13 Depth=1
	s_or_b32 exec_lo, exec_lo, s42
.LBB169_114:                            ;   in Loop: Header=BB169_13 Depth=1
	s_or_b32 exec_lo, exec_lo, s41
	global_load_ubyte v87, v[55:56], off offset:384
	v_mov_b32_e32 v85, 0
	v_mov_b32_e32 v86, 0
	s_mov_b32 s41, exec_lo
	s_waitcnt vmcnt(0)
	v_cmpx_ne_u16_e32 0, v87
	s_cbranch_execz .LBB169_122
; %bb.115:                              ;   in Loop: Header=BB169_13 Depth=1
	v_bfrev_b32_e32 v86, 1
	s_mov_b32 s42, exec_lo
	v_cmpx_ne_u16_e32 0x80, v87
	s_cbranch_execz .LBB169_121
; %bb.116:                              ;   in Loop: Header=BB169_13 Depth=1
	v_and_b32_sdwa v88, v87, v67 dst_sel:DWORD dst_unused:UNUSED_PAD src0_sel:WORD_0 src1_sel:DWORD
	v_mov_b32_e32 v86, 0x7f800001
	s_mov_b32 s43, exec_lo
	v_cmpx_ne_u32_e32 0x7f, v88
	s_cbranch_execz .LBB169_120
; %bb.117:                              ;   in Loop: Header=BB169_13 Depth=1
	v_and_b32_sdwa v49, v87, v68 dst_sel:DWORD dst_unused:UNUSED_PAD src0_sel:WORD_0 src1_sel:DWORD
	v_lshrrev_b32_e32 v86, 3, v88
	s_mov_b32 s44, exec_lo
	v_cmpx_gt_u32_e32 8, v88
; %bb.118:                              ;   in Loop: Header=BB169_13 Depth=1
	v_ffbh_u32_e32 v86, v49
	v_min_u32_e32 v86, 32, v86
	v_subrev_nc_u32_e32 v88, 28, v86
	v_sub_nc_u32_e32 v86, 29, v86
	v_lshlrev_b64 v[88:89], v88, v[49:50]
	v_and_b32_e32 v49, 7, v88
; %bb.119:                              ;   in Loop: Header=BB169_13 Depth=1
	s_or_b32 exec_lo, exec_lo, s44
	v_lshlrev_b32_e32 v87, 24, v87
	v_lshlrev_b32_e32 v49, 20, v49
	v_lshl_add_u32 v86, v86, 23, 0x3c000000
	v_and_b32_e32 v87, 0x80000000, v87
	v_or3_b32 v86, v49, v87, v86
.LBB169_120:                            ;   in Loop: Header=BB169_13 Depth=1
	s_or_b32 exec_lo, exec_lo, s43
.LBB169_121:                            ;   in Loop: Header=BB169_13 Depth=1
	s_or_b32 exec_lo, exec_lo, s42
.LBB169_122:                            ;   in Loop: Header=BB169_13 Depth=1
	s_or_b32 exec_lo, exec_lo, s41
	global_load_ubyte v87, v[55:56], off offset:388
	s_mov_b32 s41, exec_lo
	s_waitcnt vmcnt(0)
	v_cmpx_ne_u16_e32 0, v87
	s_cbranch_execz .LBB169_130
; %bb.123:                              ;   in Loop: Header=BB169_13 Depth=1
	v_bfrev_b32_e32 v85, 1
	s_mov_b32 s42, exec_lo
	v_cmpx_ne_u16_e32 0x80, v87
	s_cbranch_execz .LBB169_129
; %bb.124:                              ;   in Loop: Header=BB169_13 Depth=1
	v_and_b32_sdwa v88, v87, v67 dst_sel:DWORD dst_unused:UNUSED_PAD src0_sel:WORD_0 src1_sel:DWORD
	v_mov_b32_e32 v85, 0x7f800001
	s_mov_b32 s43, exec_lo
	v_cmpx_ne_u32_e32 0x7f, v88
	s_cbranch_execz .LBB169_128
; %bb.125:                              ;   in Loop: Header=BB169_13 Depth=1
	v_and_b32_sdwa v49, v87, v68 dst_sel:DWORD dst_unused:UNUSED_PAD src0_sel:WORD_0 src1_sel:DWORD
	v_lshrrev_b32_e32 v85, 3, v88
	s_mov_b32 s44, exec_lo
	v_cmpx_gt_u32_e32 8, v88
; %bb.126:                              ;   in Loop: Header=BB169_13 Depth=1
	v_ffbh_u32_e32 v85, v49
	v_min_u32_e32 v85, 32, v85
	v_subrev_nc_u32_e32 v88, 28, v85
	v_sub_nc_u32_e32 v85, 29, v85
	v_lshlrev_b64 v[88:89], v88, v[49:50]
	v_and_b32_e32 v49, 7, v88
; %bb.127:                              ;   in Loop: Header=BB169_13 Depth=1
	s_or_b32 exec_lo, exec_lo, s44
	v_lshlrev_b32_e32 v87, 24, v87
	v_lshlrev_b32_e32 v49, 20, v49
	v_lshl_add_u32 v85, v85, 23, 0x3c000000
	v_and_b32_e32 v87, 0x80000000, v87
	v_or3_b32 v85, v49, v87, v85
.LBB169_128:                            ;   in Loop: Header=BB169_13 Depth=1
	s_or_b32 exec_lo, exec_lo, s43
.LBB169_129:                            ;   in Loop: Header=BB169_13 Depth=1
	s_or_b32 exec_lo, exec_lo, s42
.LBB169_130:                            ;   in Loop: Header=BB169_13 Depth=1
	s_or_b32 exec_lo, exec_lo, s41
	global_load_ubyte v89, v[55:56], off offset:392
	v_mov_b32_e32 v87, 0
	v_mov_b32_e32 v88, 0
	s_mov_b32 s41, exec_lo
	s_waitcnt vmcnt(0)
	v_cmpx_ne_u16_e32 0, v89
	s_cbranch_execz .LBB169_138
; %bb.131:                              ;   in Loop: Header=BB169_13 Depth=1
	v_bfrev_b32_e32 v88, 1
	s_mov_b32 s42, exec_lo
	v_cmpx_ne_u16_e32 0x80, v89
	s_cbranch_execz .LBB169_137
; %bb.132:                              ;   in Loop: Header=BB169_13 Depth=1
	v_and_b32_sdwa v90, v89, v67 dst_sel:DWORD dst_unused:UNUSED_PAD src0_sel:WORD_0 src1_sel:DWORD
	v_mov_b32_e32 v88, 0x7f800001
	s_mov_b32 s43, exec_lo
	v_cmpx_ne_u32_e32 0x7f, v90
	s_cbranch_execz .LBB169_136
; %bb.133:                              ;   in Loop: Header=BB169_13 Depth=1
	v_and_b32_sdwa v49, v89, v68 dst_sel:DWORD dst_unused:UNUSED_PAD src0_sel:WORD_0 src1_sel:DWORD
	v_lshrrev_b32_e32 v88, 3, v90
	s_mov_b32 s44, exec_lo
	v_cmpx_gt_u32_e32 8, v90
; %bb.134:                              ;   in Loop: Header=BB169_13 Depth=1
	v_ffbh_u32_e32 v88, v49
	v_min_u32_e32 v88, 32, v88
	v_subrev_nc_u32_e32 v90, 28, v88
	v_sub_nc_u32_e32 v88, 29, v88
	v_lshlrev_b64 v[90:91], v90, v[49:50]
	v_and_b32_e32 v49, 7, v90
; %bb.135:                              ;   in Loop: Header=BB169_13 Depth=1
	s_or_b32 exec_lo, exec_lo, s44
	v_lshlrev_b32_e32 v89, 24, v89
	v_lshlrev_b32_e32 v49, 20, v49
	v_lshl_add_u32 v88, v88, 23, 0x3c000000
	v_and_b32_e32 v89, 0x80000000, v89
	v_or3_b32 v88, v49, v89, v88
.LBB169_136:                            ;   in Loop: Header=BB169_13 Depth=1
	s_or_b32 exec_lo, exec_lo, s43
.LBB169_137:                            ;   in Loop: Header=BB169_13 Depth=1
	s_or_b32 exec_lo, exec_lo, s42
.LBB169_138:                            ;   in Loop: Header=BB169_13 Depth=1
	s_or_b32 exec_lo, exec_lo, s41
	global_load_ubyte v89, v[55:56], off offset:396
	s_mov_b32 s41, exec_lo
	s_waitcnt vmcnt(0)
	v_cmpx_ne_u16_e32 0, v89
	s_cbranch_execz .LBB169_146
; %bb.139:                              ;   in Loop: Header=BB169_13 Depth=1
	v_bfrev_b32_e32 v87, 1
	s_mov_b32 s42, exec_lo
	v_cmpx_ne_u16_e32 0x80, v89
	s_cbranch_execz .LBB169_145
; %bb.140:                              ;   in Loop: Header=BB169_13 Depth=1
	v_and_b32_sdwa v90, v89, v67 dst_sel:DWORD dst_unused:UNUSED_PAD src0_sel:WORD_0 src1_sel:DWORD
	v_mov_b32_e32 v87, 0x7f800001
	s_mov_b32 s43, exec_lo
	v_cmpx_ne_u32_e32 0x7f, v90
	s_cbranch_execz .LBB169_144
; %bb.141:                              ;   in Loop: Header=BB169_13 Depth=1
	v_and_b32_sdwa v49, v89, v68 dst_sel:DWORD dst_unused:UNUSED_PAD src0_sel:WORD_0 src1_sel:DWORD
	v_lshrrev_b32_e32 v87, 3, v90
	s_mov_b32 s44, exec_lo
	v_cmpx_gt_u32_e32 8, v90
; %bb.142:                              ;   in Loop: Header=BB169_13 Depth=1
	v_ffbh_u32_e32 v87, v49
	v_min_u32_e32 v87, 32, v87
	v_subrev_nc_u32_e32 v90, 28, v87
	v_sub_nc_u32_e32 v87, 29, v87
	v_lshlrev_b64 v[90:91], v90, v[49:50]
	v_and_b32_e32 v49, 7, v90
; %bb.143:                              ;   in Loop: Header=BB169_13 Depth=1
	s_or_b32 exec_lo, exec_lo, s44
	v_lshlrev_b32_e32 v89, 24, v89
	v_lshlrev_b32_e32 v49, 20, v49
	v_lshl_add_u32 v87, v87, 23, 0x3c000000
	v_and_b32_e32 v89, 0x80000000, v89
	v_or3_b32 v87, v49, v89, v87
.LBB169_144:                            ;   in Loop: Header=BB169_13 Depth=1
	s_or_b32 exec_lo, exec_lo, s43
.LBB169_145:                            ;   in Loop: Header=BB169_13 Depth=1
	s_or_b32 exec_lo, exec_lo, s42
.LBB169_146:                            ;   in Loop: Header=BB169_13 Depth=1
	s_or_b32 exec_lo, exec_lo, s41
	global_load_ubyte v91, v[55:56], off offset:512
	v_mov_b32_e32 v89, 0
	v_mov_b32_e32 v90, 0
	s_mov_b32 s41, exec_lo
	s_waitcnt vmcnt(0)
	v_cmpx_ne_u16_e32 0, v91
	s_cbranch_execz .LBB169_154
; %bb.147:                              ;   in Loop: Header=BB169_13 Depth=1
	v_bfrev_b32_e32 v90, 1
	s_mov_b32 s42, exec_lo
	v_cmpx_ne_u16_e32 0x80, v91
	s_cbranch_execz .LBB169_153
; %bb.148:                              ;   in Loop: Header=BB169_13 Depth=1
	v_and_b32_sdwa v92, v91, v67 dst_sel:DWORD dst_unused:UNUSED_PAD src0_sel:WORD_0 src1_sel:DWORD
	v_mov_b32_e32 v90, 0x7f800001
	s_mov_b32 s43, exec_lo
	v_cmpx_ne_u32_e32 0x7f, v92
	s_cbranch_execz .LBB169_152
; %bb.149:                              ;   in Loop: Header=BB169_13 Depth=1
	v_and_b32_sdwa v49, v91, v68 dst_sel:DWORD dst_unused:UNUSED_PAD src0_sel:WORD_0 src1_sel:DWORD
	v_lshrrev_b32_e32 v90, 3, v92
	s_mov_b32 s44, exec_lo
	v_cmpx_gt_u32_e32 8, v92
; %bb.150:                              ;   in Loop: Header=BB169_13 Depth=1
	v_ffbh_u32_e32 v90, v49
	v_min_u32_e32 v90, 32, v90
	v_subrev_nc_u32_e32 v92, 28, v90
	v_sub_nc_u32_e32 v90, 29, v90
	v_lshlrev_b64 v[92:93], v92, v[49:50]
	v_and_b32_e32 v49, 7, v92
; %bb.151:                              ;   in Loop: Header=BB169_13 Depth=1
	s_or_b32 exec_lo, exec_lo, s44
	v_lshlrev_b32_e32 v91, 24, v91
	v_lshlrev_b32_e32 v49, 20, v49
	v_lshl_add_u32 v90, v90, 23, 0x3c000000
	v_and_b32_e32 v91, 0x80000000, v91
	v_or3_b32 v90, v49, v91, v90
.LBB169_152:                            ;   in Loop: Header=BB169_13 Depth=1
	s_or_b32 exec_lo, exec_lo, s43
.LBB169_153:                            ;   in Loop: Header=BB169_13 Depth=1
	s_or_b32 exec_lo, exec_lo, s42
.LBB169_154:                            ;   in Loop: Header=BB169_13 Depth=1
	s_or_b32 exec_lo, exec_lo, s41
	global_load_ubyte v91, v[55:56], off offset:516
	s_mov_b32 s41, exec_lo
	s_waitcnt vmcnt(0)
	v_cmpx_ne_u16_e32 0, v91
	s_cbranch_execz .LBB169_162
; %bb.155:                              ;   in Loop: Header=BB169_13 Depth=1
	v_bfrev_b32_e32 v89, 1
	s_mov_b32 s42, exec_lo
	v_cmpx_ne_u16_e32 0x80, v91
	s_cbranch_execz .LBB169_161
; %bb.156:                              ;   in Loop: Header=BB169_13 Depth=1
	v_and_b32_sdwa v92, v91, v67 dst_sel:DWORD dst_unused:UNUSED_PAD src0_sel:WORD_0 src1_sel:DWORD
	v_mov_b32_e32 v89, 0x7f800001
	s_mov_b32 s43, exec_lo
	v_cmpx_ne_u32_e32 0x7f, v92
	s_cbranch_execz .LBB169_160
; %bb.157:                              ;   in Loop: Header=BB169_13 Depth=1
	v_and_b32_sdwa v49, v91, v68 dst_sel:DWORD dst_unused:UNUSED_PAD src0_sel:WORD_0 src1_sel:DWORD
	v_lshrrev_b32_e32 v89, 3, v92
	s_mov_b32 s44, exec_lo
	v_cmpx_gt_u32_e32 8, v92
; %bb.158:                              ;   in Loop: Header=BB169_13 Depth=1
	v_ffbh_u32_e32 v89, v49
	v_min_u32_e32 v89, 32, v89
	v_subrev_nc_u32_e32 v92, 28, v89
	v_sub_nc_u32_e32 v89, 29, v89
	v_lshlrev_b64 v[92:93], v92, v[49:50]
	v_and_b32_e32 v49, 7, v92
; %bb.159:                              ;   in Loop: Header=BB169_13 Depth=1
	s_or_b32 exec_lo, exec_lo, s44
	v_lshlrev_b32_e32 v91, 24, v91
	v_lshlrev_b32_e32 v49, 20, v49
	v_lshl_add_u32 v89, v89, 23, 0x3c000000
	v_and_b32_e32 v91, 0x80000000, v91
	v_or3_b32 v89, v49, v91, v89
.LBB169_160:                            ;   in Loop: Header=BB169_13 Depth=1
	s_or_b32 exec_lo, exec_lo, s43
.LBB169_161:                            ;   in Loop: Header=BB169_13 Depth=1
	s_or_b32 exec_lo, exec_lo, s42
.LBB169_162:                            ;   in Loop: Header=BB169_13 Depth=1
	s_or_b32 exec_lo, exec_lo, s41
	global_load_ubyte v93, v[55:56], off offset:520
	v_mov_b32_e32 v91, 0
	v_mov_b32_e32 v92, 0
	s_mov_b32 s41, exec_lo
	s_waitcnt vmcnt(0)
	v_cmpx_ne_u16_e32 0, v93
	s_cbranch_execz .LBB169_170
; %bb.163:                              ;   in Loop: Header=BB169_13 Depth=1
	v_bfrev_b32_e32 v92, 1
	s_mov_b32 s42, exec_lo
	v_cmpx_ne_u16_e32 0x80, v93
	s_cbranch_execz .LBB169_169
; %bb.164:                              ;   in Loop: Header=BB169_13 Depth=1
	v_and_b32_sdwa v94, v93, v67 dst_sel:DWORD dst_unused:UNUSED_PAD src0_sel:WORD_0 src1_sel:DWORD
	v_mov_b32_e32 v92, 0x7f800001
	s_mov_b32 s43, exec_lo
	v_cmpx_ne_u32_e32 0x7f, v94
	s_cbranch_execz .LBB169_168
; %bb.165:                              ;   in Loop: Header=BB169_13 Depth=1
	v_and_b32_sdwa v49, v93, v68 dst_sel:DWORD dst_unused:UNUSED_PAD src0_sel:WORD_0 src1_sel:DWORD
	v_lshrrev_b32_e32 v92, 3, v94
	s_mov_b32 s44, exec_lo
	v_cmpx_gt_u32_e32 8, v94
; %bb.166:                              ;   in Loop: Header=BB169_13 Depth=1
	v_ffbh_u32_e32 v92, v49
	v_min_u32_e32 v92, 32, v92
	v_subrev_nc_u32_e32 v94, 28, v92
	v_sub_nc_u32_e32 v92, 29, v92
	v_lshlrev_b64 v[94:95], v94, v[49:50]
	v_and_b32_e32 v49, 7, v94
; %bb.167:                              ;   in Loop: Header=BB169_13 Depth=1
	s_or_b32 exec_lo, exec_lo, s44
	v_lshlrev_b32_e32 v93, 24, v93
	v_lshlrev_b32_e32 v49, 20, v49
	v_lshl_add_u32 v92, v92, 23, 0x3c000000
	v_and_b32_e32 v93, 0x80000000, v93
	v_or3_b32 v92, v49, v93, v92
.LBB169_168:                            ;   in Loop: Header=BB169_13 Depth=1
	s_or_b32 exec_lo, exec_lo, s43
.LBB169_169:                            ;   in Loop: Header=BB169_13 Depth=1
	s_or_b32 exec_lo, exec_lo, s42
.LBB169_170:                            ;   in Loop: Header=BB169_13 Depth=1
	s_or_b32 exec_lo, exec_lo, s41
	global_load_ubyte v93, v[55:56], off offset:524
	s_mov_b32 s41, exec_lo
	s_waitcnt vmcnt(0)
	v_cmpx_ne_u16_e32 0, v93
	s_cbranch_execz .LBB169_178
; %bb.171:                              ;   in Loop: Header=BB169_13 Depth=1
	v_bfrev_b32_e32 v91, 1
	s_mov_b32 s42, exec_lo
	v_cmpx_ne_u16_e32 0x80, v93
	s_cbranch_execz .LBB169_177
; %bb.172:                              ;   in Loop: Header=BB169_13 Depth=1
	v_and_b32_sdwa v94, v93, v67 dst_sel:DWORD dst_unused:UNUSED_PAD src0_sel:WORD_0 src1_sel:DWORD
	v_mov_b32_e32 v91, 0x7f800001
	s_mov_b32 s43, exec_lo
	v_cmpx_ne_u32_e32 0x7f, v94
	s_cbranch_execz .LBB169_176
; %bb.173:                              ;   in Loop: Header=BB169_13 Depth=1
	v_and_b32_sdwa v49, v93, v68 dst_sel:DWORD dst_unused:UNUSED_PAD src0_sel:WORD_0 src1_sel:DWORD
	v_lshrrev_b32_e32 v91, 3, v94
	s_mov_b32 s44, exec_lo
	v_cmpx_gt_u32_e32 8, v94
; %bb.174:                              ;   in Loop: Header=BB169_13 Depth=1
	v_ffbh_u32_e32 v91, v49
	v_min_u32_e32 v91, 32, v91
	v_subrev_nc_u32_e32 v94, 28, v91
	v_sub_nc_u32_e32 v91, 29, v91
	v_lshlrev_b64 v[94:95], v94, v[49:50]
	v_and_b32_e32 v49, 7, v94
; %bb.175:                              ;   in Loop: Header=BB169_13 Depth=1
	s_or_b32 exec_lo, exec_lo, s44
	v_lshlrev_b32_e32 v93, 24, v93
	v_lshlrev_b32_e32 v49, 20, v49
	v_lshl_add_u32 v91, v91, 23, 0x3c000000
	v_and_b32_e32 v93, 0x80000000, v93
	v_or3_b32 v91, v49, v93, v91
.LBB169_176:                            ;   in Loop: Header=BB169_13 Depth=1
	s_or_b32 exec_lo, exec_lo, s43
.LBB169_177:                            ;   in Loop: Header=BB169_13 Depth=1
	s_or_b32 exec_lo, exec_lo, s42
.LBB169_178:                            ;   in Loop: Header=BB169_13 Depth=1
	s_or_b32 exec_lo, exec_lo, s41
	global_load_ubyte v95, v[55:56], off offset:640
	v_mov_b32_e32 v93, 0
	v_mov_b32_e32 v94, 0
	s_mov_b32 s41, exec_lo
	s_waitcnt vmcnt(0)
	v_cmpx_ne_u16_e32 0, v95
	s_cbranch_execz .LBB169_186
; %bb.179:                              ;   in Loop: Header=BB169_13 Depth=1
	v_bfrev_b32_e32 v94, 1
	s_mov_b32 s42, exec_lo
	v_cmpx_ne_u16_e32 0x80, v95
	s_cbranch_execz .LBB169_185
; %bb.180:                              ;   in Loop: Header=BB169_13 Depth=1
	v_and_b32_sdwa v96, v95, v67 dst_sel:DWORD dst_unused:UNUSED_PAD src0_sel:WORD_0 src1_sel:DWORD
	v_mov_b32_e32 v94, 0x7f800001
	s_mov_b32 s43, exec_lo
	v_cmpx_ne_u32_e32 0x7f, v96
	s_cbranch_execz .LBB169_184
; %bb.181:                              ;   in Loop: Header=BB169_13 Depth=1
	v_and_b32_sdwa v49, v95, v68 dst_sel:DWORD dst_unused:UNUSED_PAD src0_sel:WORD_0 src1_sel:DWORD
	v_lshrrev_b32_e32 v94, 3, v96
	s_mov_b32 s44, exec_lo
	v_cmpx_gt_u32_e32 8, v96
; %bb.182:                              ;   in Loop: Header=BB169_13 Depth=1
	v_ffbh_u32_e32 v94, v49
	v_min_u32_e32 v94, 32, v94
	v_subrev_nc_u32_e32 v96, 28, v94
	v_sub_nc_u32_e32 v94, 29, v94
	v_lshlrev_b64 v[96:97], v96, v[49:50]
	v_and_b32_e32 v49, 7, v96
; %bb.183:                              ;   in Loop: Header=BB169_13 Depth=1
	s_or_b32 exec_lo, exec_lo, s44
	v_lshlrev_b32_e32 v95, 24, v95
	v_lshlrev_b32_e32 v49, 20, v49
	v_lshl_add_u32 v94, v94, 23, 0x3c000000
	v_and_b32_e32 v95, 0x80000000, v95
	v_or3_b32 v94, v49, v95, v94
.LBB169_184:                            ;   in Loop: Header=BB169_13 Depth=1
	s_or_b32 exec_lo, exec_lo, s43
.LBB169_185:                            ;   in Loop: Header=BB169_13 Depth=1
	s_or_b32 exec_lo, exec_lo, s42
.LBB169_186:                            ;   in Loop: Header=BB169_13 Depth=1
	s_or_b32 exec_lo, exec_lo, s41
	global_load_ubyte v95, v[55:56], off offset:644
	s_mov_b32 s41, exec_lo
	s_waitcnt vmcnt(0)
	v_cmpx_ne_u16_e32 0, v95
	s_cbranch_execz .LBB169_194
; %bb.187:                              ;   in Loop: Header=BB169_13 Depth=1
	v_bfrev_b32_e32 v93, 1
	s_mov_b32 s42, exec_lo
	v_cmpx_ne_u16_e32 0x80, v95
	s_cbranch_execz .LBB169_193
; %bb.188:                              ;   in Loop: Header=BB169_13 Depth=1
	v_and_b32_sdwa v96, v95, v67 dst_sel:DWORD dst_unused:UNUSED_PAD src0_sel:WORD_0 src1_sel:DWORD
	v_mov_b32_e32 v93, 0x7f800001
	s_mov_b32 s43, exec_lo
	v_cmpx_ne_u32_e32 0x7f, v96
	s_cbranch_execz .LBB169_192
; %bb.189:                              ;   in Loop: Header=BB169_13 Depth=1
	v_and_b32_sdwa v49, v95, v68 dst_sel:DWORD dst_unused:UNUSED_PAD src0_sel:WORD_0 src1_sel:DWORD
	v_lshrrev_b32_e32 v93, 3, v96
	s_mov_b32 s44, exec_lo
	v_cmpx_gt_u32_e32 8, v96
; %bb.190:                              ;   in Loop: Header=BB169_13 Depth=1
	v_ffbh_u32_e32 v93, v49
	v_min_u32_e32 v93, 32, v93
	v_subrev_nc_u32_e32 v96, 28, v93
	v_sub_nc_u32_e32 v93, 29, v93
	v_lshlrev_b64 v[96:97], v96, v[49:50]
	v_and_b32_e32 v49, 7, v96
; %bb.191:                              ;   in Loop: Header=BB169_13 Depth=1
	s_or_b32 exec_lo, exec_lo, s44
	v_lshlrev_b32_e32 v95, 24, v95
	v_lshlrev_b32_e32 v49, 20, v49
	v_lshl_add_u32 v93, v93, 23, 0x3c000000
	v_and_b32_e32 v95, 0x80000000, v95
	v_or3_b32 v93, v49, v95, v93
.LBB169_192:                            ;   in Loop: Header=BB169_13 Depth=1
	s_or_b32 exec_lo, exec_lo, s43
.LBB169_193:                            ;   in Loop: Header=BB169_13 Depth=1
	s_or_b32 exec_lo, exec_lo, s42
.LBB169_194:                            ;   in Loop: Header=BB169_13 Depth=1
	s_or_b32 exec_lo, exec_lo, s41
	global_load_ubyte v97, v[55:56], off offset:648
	v_mov_b32_e32 v95, 0
	v_mov_b32_e32 v96, 0
	s_mov_b32 s41, exec_lo
	s_waitcnt vmcnt(0)
	v_cmpx_ne_u16_e32 0, v97
	s_cbranch_execz .LBB169_202
; %bb.195:                              ;   in Loop: Header=BB169_13 Depth=1
	v_bfrev_b32_e32 v96, 1
	s_mov_b32 s42, exec_lo
	v_cmpx_ne_u16_e32 0x80, v97
	s_cbranch_execz .LBB169_201
; %bb.196:                              ;   in Loop: Header=BB169_13 Depth=1
	v_and_b32_sdwa v98, v97, v67 dst_sel:DWORD dst_unused:UNUSED_PAD src0_sel:WORD_0 src1_sel:DWORD
	v_mov_b32_e32 v96, 0x7f800001
	s_mov_b32 s43, exec_lo
	v_cmpx_ne_u32_e32 0x7f, v98
	s_cbranch_execz .LBB169_200
; %bb.197:                              ;   in Loop: Header=BB169_13 Depth=1
	v_and_b32_sdwa v49, v97, v68 dst_sel:DWORD dst_unused:UNUSED_PAD src0_sel:WORD_0 src1_sel:DWORD
	v_lshrrev_b32_e32 v96, 3, v98
	s_mov_b32 s44, exec_lo
	v_cmpx_gt_u32_e32 8, v98
; %bb.198:                              ;   in Loop: Header=BB169_13 Depth=1
	v_ffbh_u32_e32 v96, v49
	v_min_u32_e32 v96, 32, v96
	v_subrev_nc_u32_e32 v98, 28, v96
	v_sub_nc_u32_e32 v96, 29, v96
	v_lshlrev_b64 v[98:99], v98, v[49:50]
	v_and_b32_e32 v49, 7, v98
; %bb.199:                              ;   in Loop: Header=BB169_13 Depth=1
	s_or_b32 exec_lo, exec_lo, s44
	v_lshlrev_b32_e32 v97, 24, v97
	v_lshlrev_b32_e32 v49, 20, v49
	v_lshl_add_u32 v96, v96, 23, 0x3c000000
	v_and_b32_e32 v97, 0x80000000, v97
	v_or3_b32 v96, v49, v97, v96
.LBB169_200:                            ;   in Loop: Header=BB169_13 Depth=1
	s_or_b32 exec_lo, exec_lo, s43
.LBB169_201:                            ;   in Loop: Header=BB169_13 Depth=1
	s_or_b32 exec_lo, exec_lo, s42
.LBB169_202:                            ;   in Loop: Header=BB169_13 Depth=1
	s_or_b32 exec_lo, exec_lo, s41
	global_load_ubyte v97, v[55:56], off offset:652
	s_mov_b32 s41, exec_lo
	s_waitcnt vmcnt(0)
	v_cmpx_ne_u16_e32 0, v97
	s_cbranch_execz .LBB169_210
; %bb.203:                              ;   in Loop: Header=BB169_13 Depth=1
	v_bfrev_b32_e32 v95, 1
	s_mov_b32 s42, exec_lo
	v_cmpx_ne_u16_e32 0x80, v97
	s_cbranch_execz .LBB169_209
; %bb.204:                              ;   in Loop: Header=BB169_13 Depth=1
	v_and_b32_sdwa v98, v97, v67 dst_sel:DWORD dst_unused:UNUSED_PAD src0_sel:WORD_0 src1_sel:DWORD
	v_mov_b32_e32 v95, 0x7f800001
	s_mov_b32 s43, exec_lo
	v_cmpx_ne_u32_e32 0x7f, v98
	s_cbranch_execz .LBB169_208
; %bb.205:                              ;   in Loop: Header=BB169_13 Depth=1
	v_and_b32_sdwa v49, v97, v68 dst_sel:DWORD dst_unused:UNUSED_PAD src0_sel:WORD_0 src1_sel:DWORD
	v_lshrrev_b32_e32 v95, 3, v98
	s_mov_b32 s44, exec_lo
	v_cmpx_gt_u32_e32 8, v98
; %bb.206:                              ;   in Loop: Header=BB169_13 Depth=1
	v_ffbh_u32_e32 v95, v49
	v_min_u32_e32 v95, 32, v95
	v_subrev_nc_u32_e32 v98, 28, v95
	v_sub_nc_u32_e32 v95, 29, v95
	v_lshlrev_b64 v[98:99], v98, v[49:50]
	v_and_b32_e32 v49, 7, v98
; %bb.207:                              ;   in Loop: Header=BB169_13 Depth=1
	s_or_b32 exec_lo, exec_lo, s44
	v_lshlrev_b32_e32 v97, 24, v97
	v_lshlrev_b32_e32 v49, 20, v49
	v_lshl_add_u32 v95, v95, 23, 0x3c000000
	v_and_b32_e32 v97, 0x80000000, v97
	v_or3_b32 v95, v49, v97, v95
.LBB169_208:                            ;   in Loop: Header=BB169_13 Depth=1
	s_or_b32 exec_lo, exec_lo, s43
.LBB169_209:                            ;   in Loop: Header=BB169_13 Depth=1
	s_or_b32 exec_lo, exec_lo, s42
.LBB169_210:                            ;   in Loop: Header=BB169_13 Depth=1
	s_or_b32 exec_lo, exec_lo, s41
	global_load_ubyte v99, v[55:56], off offset:768
	v_mov_b32_e32 v97, 0
	v_mov_b32_e32 v98, 0
	s_mov_b32 s41, exec_lo
	s_waitcnt vmcnt(0)
	v_cmpx_ne_u16_e32 0, v99
	s_cbranch_execz .LBB169_218
; %bb.211:                              ;   in Loop: Header=BB169_13 Depth=1
	v_bfrev_b32_e32 v98, 1
	s_mov_b32 s42, exec_lo
	v_cmpx_ne_u16_e32 0x80, v99
	s_cbranch_execz .LBB169_217
; %bb.212:                              ;   in Loop: Header=BB169_13 Depth=1
	v_and_b32_sdwa v100, v99, v67 dst_sel:DWORD dst_unused:UNUSED_PAD src0_sel:WORD_0 src1_sel:DWORD
	v_mov_b32_e32 v98, 0x7f800001
	s_mov_b32 s43, exec_lo
	v_cmpx_ne_u32_e32 0x7f, v100
	s_cbranch_execz .LBB169_216
; %bb.213:                              ;   in Loop: Header=BB169_13 Depth=1
	v_and_b32_sdwa v49, v99, v68 dst_sel:DWORD dst_unused:UNUSED_PAD src0_sel:WORD_0 src1_sel:DWORD
	v_lshrrev_b32_e32 v98, 3, v100
	s_mov_b32 s44, exec_lo
	v_cmpx_gt_u32_e32 8, v100
; %bb.214:                              ;   in Loop: Header=BB169_13 Depth=1
	v_ffbh_u32_e32 v98, v49
	v_min_u32_e32 v98, 32, v98
	v_subrev_nc_u32_e32 v100, 28, v98
	v_sub_nc_u32_e32 v98, 29, v98
	v_lshlrev_b64 v[100:101], v100, v[49:50]
	v_and_b32_e32 v49, 7, v100
; %bb.215:                              ;   in Loop: Header=BB169_13 Depth=1
	s_or_b32 exec_lo, exec_lo, s44
	v_lshlrev_b32_e32 v99, 24, v99
	v_lshlrev_b32_e32 v49, 20, v49
	v_lshl_add_u32 v98, v98, 23, 0x3c000000
	v_and_b32_e32 v99, 0x80000000, v99
	v_or3_b32 v98, v49, v99, v98
.LBB169_216:                            ;   in Loop: Header=BB169_13 Depth=1
	s_or_b32 exec_lo, exec_lo, s43
.LBB169_217:                            ;   in Loop: Header=BB169_13 Depth=1
	s_or_b32 exec_lo, exec_lo, s42
.LBB169_218:                            ;   in Loop: Header=BB169_13 Depth=1
	s_or_b32 exec_lo, exec_lo, s41
	global_load_ubyte v99, v[55:56], off offset:772
	s_mov_b32 s41, exec_lo
	s_waitcnt vmcnt(0)
	v_cmpx_ne_u16_e32 0, v99
	s_cbranch_execz .LBB169_226
; %bb.219:                              ;   in Loop: Header=BB169_13 Depth=1
	v_bfrev_b32_e32 v97, 1
	s_mov_b32 s42, exec_lo
	v_cmpx_ne_u16_e32 0x80, v99
	s_cbranch_execz .LBB169_225
; %bb.220:                              ;   in Loop: Header=BB169_13 Depth=1
	v_and_b32_sdwa v100, v99, v67 dst_sel:DWORD dst_unused:UNUSED_PAD src0_sel:WORD_0 src1_sel:DWORD
	v_mov_b32_e32 v97, 0x7f800001
	s_mov_b32 s43, exec_lo
	v_cmpx_ne_u32_e32 0x7f, v100
	s_cbranch_execz .LBB169_224
; %bb.221:                              ;   in Loop: Header=BB169_13 Depth=1
	v_and_b32_sdwa v49, v99, v68 dst_sel:DWORD dst_unused:UNUSED_PAD src0_sel:WORD_0 src1_sel:DWORD
	v_lshrrev_b32_e32 v97, 3, v100
	s_mov_b32 s44, exec_lo
	v_cmpx_gt_u32_e32 8, v100
; %bb.222:                              ;   in Loop: Header=BB169_13 Depth=1
	v_ffbh_u32_e32 v97, v49
	v_min_u32_e32 v97, 32, v97
	v_subrev_nc_u32_e32 v100, 28, v97
	v_sub_nc_u32_e32 v97, 29, v97
	v_lshlrev_b64 v[100:101], v100, v[49:50]
	v_and_b32_e32 v49, 7, v100
; %bb.223:                              ;   in Loop: Header=BB169_13 Depth=1
	s_or_b32 exec_lo, exec_lo, s44
	v_lshlrev_b32_e32 v99, 24, v99
	v_lshlrev_b32_e32 v49, 20, v49
	v_lshl_add_u32 v97, v97, 23, 0x3c000000
	v_and_b32_e32 v99, 0x80000000, v99
	v_or3_b32 v97, v49, v99, v97
.LBB169_224:                            ;   in Loop: Header=BB169_13 Depth=1
	s_or_b32 exec_lo, exec_lo, s43
.LBB169_225:                            ;   in Loop: Header=BB169_13 Depth=1
	s_or_b32 exec_lo, exec_lo, s42
.LBB169_226:                            ;   in Loop: Header=BB169_13 Depth=1
	s_or_b32 exec_lo, exec_lo, s41
	global_load_ubyte v101, v[55:56], off offset:776
	v_mov_b32_e32 v99, 0
	v_mov_b32_e32 v100, 0
	s_mov_b32 s41, exec_lo
	s_waitcnt vmcnt(0)
	v_cmpx_ne_u16_e32 0, v101
	s_cbranch_execz .LBB169_234
; %bb.227:                              ;   in Loop: Header=BB169_13 Depth=1
	v_bfrev_b32_e32 v100, 1
	s_mov_b32 s42, exec_lo
	v_cmpx_ne_u16_e32 0x80, v101
	s_cbranch_execz .LBB169_233
; %bb.228:                              ;   in Loop: Header=BB169_13 Depth=1
	v_and_b32_sdwa v102, v101, v67 dst_sel:DWORD dst_unused:UNUSED_PAD src0_sel:WORD_0 src1_sel:DWORD
	v_mov_b32_e32 v100, 0x7f800001
	s_mov_b32 s43, exec_lo
	v_cmpx_ne_u32_e32 0x7f, v102
	s_cbranch_execz .LBB169_232
; %bb.229:                              ;   in Loop: Header=BB169_13 Depth=1
	v_and_b32_sdwa v49, v101, v68 dst_sel:DWORD dst_unused:UNUSED_PAD src0_sel:WORD_0 src1_sel:DWORD
	v_lshrrev_b32_e32 v100, 3, v102
	s_mov_b32 s44, exec_lo
	v_cmpx_gt_u32_e32 8, v102
; %bb.230:                              ;   in Loop: Header=BB169_13 Depth=1
	v_ffbh_u32_e32 v100, v49
	v_min_u32_e32 v100, 32, v100
	v_subrev_nc_u32_e32 v102, 28, v100
	v_sub_nc_u32_e32 v100, 29, v100
	v_lshlrev_b64 v[102:103], v102, v[49:50]
	v_and_b32_e32 v49, 7, v102
; %bb.231:                              ;   in Loop: Header=BB169_13 Depth=1
	s_or_b32 exec_lo, exec_lo, s44
	v_lshlrev_b32_e32 v101, 24, v101
	v_lshlrev_b32_e32 v49, 20, v49
	v_lshl_add_u32 v100, v100, 23, 0x3c000000
	v_and_b32_e32 v101, 0x80000000, v101
	v_or3_b32 v100, v49, v101, v100
.LBB169_232:                            ;   in Loop: Header=BB169_13 Depth=1
	s_or_b32 exec_lo, exec_lo, s43
.LBB169_233:                            ;   in Loop: Header=BB169_13 Depth=1
	s_or_b32 exec_lo, exec_lo, s42
.LBB169_234:                            ;   in Loop: Header=BB169_13 Depth=1
	s_or_b32 exec_lo, exec_lo, s41
	global_load_ubyte v101, v[55:56], off offset:780
	s_mov_b32 s41, exec_lo
	s_waitcnt vmcnt(0)
	v_cmpx_ne_u16_e32 0, v101
	s_cbranch_execz .LBB169_242
; %bb.235:                              ;   in Loop: Header=BB169_13 Depth=1
	v_bfrev_b32_e32 v99, 1
	s_mov_b32 s42, exec_lo
	v_cmpx_ne_u16_e32 0x80, v101
	s_cbranch_execz .LBB169_241
; %bb.236:                              ;   in Loop: Header=BB169_13 Depth=1
	v_and_b32_sdwa v102, v101, v67 dst_sel:DWORD dst_unused:UNUSED_PAD src0_sel:WORD_0 src1_sel:DWORD
	v_mov_b32_e32 v99, 0x7f800001
	s_mov_b32 s43, exec_lo
	v_cmpx_ne_u32_e32 0x7f, v102
	s_cbranch_execz .LBB169_240
; %bb.237:                              ;   in Loop: Header=BB169_13 Depth=1
	v_and_b32_sdwa v49, v101, v68 dst_sel:DWORD dst_unused:UNUSED_PAD src0_sel:WORD_0 src1_sel:DWORD
	v_lshrrev_b32_e32 v99, 3, v102
	s_mov_b32 s44, exec_lo
	v_cmpx_gt_u32_e32 8, v102
; %bb.238:                              ;   in Loop: Header=BB169_13 Depth=1
	v_ffbh_u32_e32 v99, v49
	v_min_u32_e32 v99, 32, v99
	v_subrev_nc_u32_e32 v102, 28, v99
	v_sub_nc_u32_e32 v99, 29, v99
	v_lshlrev_b64 v[102:103], v102, v[49:50]
	v_and_b32_e32 v49, 7, v102
; %bb.239:                              ;   in Loop: Header=BB169_13 Depth=1
	s_or_b32 exec_lo, exec_lo, s44
	v_lshlrev_b32_e32 v101, 24, v101
	v_lshlrev_b32_e32 v49, 20, v49
	v_lshl_add_u32 v99, v99, 23, 0x3c000000
	v_and_b32_e32 v101, 0x80000000, v101
	v_or3_b32 v99, v49, v101, v99
.LBB169_240:                            ;   in Loop: Header=BB169_13 Depth=1
	s_or_b32 exec_lo, exec_lo, s43
.LBB169_241:                            ;   in Loop: Header=BB169_13 Depth=1
	s_or_b32 exec_lo, exec_lo, s42
.LBB169_242:                            ;   in Loop: Header=BB169_13 Depth=1
	s_or_b32 exec_lo, exec_lo, s41
	global_load_ubyte v103, v[55:56], off offset:896
	v_mov_b32_e32 v101, 0
	v_mov_b32_e32 v102, 0
	s_mov_b32 s41, exec_lo
	s_waitcnt vmcnt(0)
	v_cmpx_ne_u16_e32 0, v103
	s_cbranch_execz .LBB169_250
; %bb.243:                              ;   in Loop: Header=BB169_13 Depth=1
	v_bfrev_b32_e32 v102, 1
	s_mov_b32 s42, exec_lo
	v_cmpx_ne_u16_e32 0x80, v103
	s_cbranch_execz .LBB169_249
; %bb.244:                              ;   in Loop: Header=BB169_13 Depth=1
	v_and_b32_sdwa v104, v103, v67 dst_sel:DWORD dst_unused:UNUSED_PAD src0_sel:WORD_0 src1_sel:DWORD
	v_mov_b32_e32 v102, 0x7f800001
	s_mov_b32 s43, exec_lo
	v_cmpx_ne_u32_e32 0x7f, v104
	s_cbranch_execz .LBB169_248
; %bb.245:                              ;   in Loop: Header=BB169_13 Depth=1
	v_and_b32_sdwa v49, v103, v68 dst_sel:DWORD dst_unused:UNUSED_PAD src0_sel:WORD_0 src1_sel:DWORD
	v_lshrrev_b32_e32 v102, 3, v104
	s_mov_b32 s44, exec_lo
	v_cmpx_gt_u32_e32 8, v104
; %bb.246:                              ;   in Loop: Header=BB169_13 Depth=1
	v_ffbh_u32_e32 v102, v49
	v_min_u32_e32 v102, 32, v102
	v_subrev_nc_u32_e32 v104, 28, v102
	v_sub_nc_u32_e32 v102, 29, v102
	v_lshlrev_b64 v[104:105], v104, v[49:50]
	v_and_b32_e32 v49, 7, v104
; %bb.247:                              ;   in Loop: Header=BB169_13 Depth=1
	s_or_b32 exec_lo, exec_lo, s44
	v_lshlrev_b32_e32 v103, 24, v103
	v_lshlrev_b32_e32 v49, 20, v49
	v_lshl_add_u32 v102, v102, 23, 0x3c000000
	v_and_b32_e32 v103, 0x80000000, v103
	v_or3_b32 v102, v49, v103, v102
.LBB169_248:                            ;   in Loop: Header=BB169_13 Depth=1
	s_or_b32 exec_lo, exec_lo, s43
.LBB169_249:                            ;   in Loop: Header=BB169_13 Depth=1
	s_or_b32 exec_lo, exec_lo, s42
.LBB169_250:                            ;   in Loop: Header=BB169_13 Depth=1
	s_or_b32 exec_lo, exec_lo, s41
	global_load_ubyte v103, v[55:56], off offset:900
	s_mov_b32 s41, exec_lo
	s_waitcnt vmcnt(0)
	v_cmpx_ne_u16_e32 0, v103
	s_cbranch_execz .LBB169_258
; %bb.251:                              ;   in Loop: Header=BB169_13 Depth=1
	v_bfrev_b32_e32 v101, 1
	s_mov_b32 s42, exec_lo
	v_cmpx_ne_u16_e32 0x80, v103
	s_cbranch_execz .LBB169_257
; %bb.252:                              ;   in Loop: Header=BB169_13 Depth=1
	v_and_b32_sdwa v104, v103, v67 dst_sel:DWORD dst_unused:UNUSED_PAD src0_sel:WORD_0 src1_sel:DWORD
	v_mov_b32_e32 v101, 0x7f800001
	s_mov_b32 s43, exec_lo
	v_cmpx_ne_u32_e32 0x7f, v104
	s_cbranch_execz .LBB169_256
; %bb.253:                              ;   in Loop: Header=BB169_13 Depth=1
	v_and_b32_sdwa v49, v103, v68 dst_sel:DWORD dst_unused:UNUSED_PAD src0_sel:WORD_0 src1_sel:DWORD
	v_lshrrev_b32_e32 v101, 3, v104
	s_mov_b32 s44, exec_lo
	v_cmpx_gt_u32_e32 8, v104
; %bb.254:                              ;   in Loop: Header=BB169_13 Depth=1
	v_ffbh_u32_e32 v101, v49
	v_min_u32_e32 v101, 32, v101
	v_subrev_nc_u32_e32 v104, 28, v101
	v_sub_nc_u32_e32 v101, 29, v101
	v_lshlrev_b64 v[104:105], v104, v[49:50]
	v_and_b32_e32 v49, 7, v104
; %bb.255:                              ;   in Loop: Header=BB169_13 Depth=1
	s_or_b32 exec_lo, exec_lo, s44
	v_lshlrev_b32_e32 v103, 24, v103
	v_lshlrev_b32_e32 v49, 20, v49
	v_lshl_add_u32 v101, v101, 23, 0x3c000000
	v_and_b32_e32 v103, 0x80000000, v103
	v_or3_b32 v101, v49, v103, v101
.LBB169_256:                            ;   in Loop: Header=BB169_13 Depth=1
	s_or_b32 exec_lo, exec_lo, s43
.LBB169_257:                            ;   in Loop: Header=BB169_13 Depth=1
	s_or_b32 exec_lo, exec_lo, s42
.LBB169_258:                            ;   in Loop: Header=BB169_13 Depth=1
	s_or_b32 exec_lo, exec_lo, s41
	global_load_ubyte v105, v[55:56], off offset:904
	v_mov_b32_e32 v103, 0
	v_mov_b32_e32 v104, 0
	s_mov_b32 s41, exec_lo
	s_waitcnt vmcnt(0)
	v_cmpx_ne_u16_e32 0, v105
	s_cbranch_execz .LBB169_266
; %bb.259:                              ;   in Loop: Header=BB169_13 Depth=1
	v_bfrev_b32_e32 v104, 1
	s_mov_b32 s42, exec_lo
	v_cmpx_ne_u16_e32 0x80, v105
	s_cbranch_execz .LBB169_265
; %bb.260:                              ;   in Loop: Header=BB169_13 Depth=1
	v_and_b32_sdwa v106, v105, v67 dst_sel:DWORD dst_unused:UNUSED_PAD src0_sel:WORD_0 src1_sel:DWORD
	v_mov_b32_e32 v104, 0x7f800001
	s_mov_b32 s43, exec_lo
	v_cmpx_ne_u32_e32 0x7f, v106
	s_cbranch_execz .LBB169_264
; %bb.261:                              ;   in Loop: Header=BB169_13 Depth=1
	v_and_b32_sdwa v49, v105, v68 dst_sel:DWORD dst_unused:UNUSED_PAD src0_sel:WORD_0 src1_sel:DWORD
	v_lshrrev_b32_e32 v104, 3, v106
	s_mov_b32 s44, exec_lo
	v_cmpx_gt_u32_e32 8, v106
; %bb.262:                              ;   in Loop: Header=BB169_13 Depth=1
	v_ffbh_u32_e32 v104, v49
	v_min_u32_e32 v104, 32, v104
	v_subrev_nc_u32_e32 v106, 28, v104
	v_sub_nc_u32_e32 v104, 29, v104
	v_lshlrev_b64 v[106:107], v106, v[49:50]
	v_and_b32_e32 v49, 7, v106
; %bb.263:                              ;   in Loop: Header=BB169_13 Depth=1
	s_or_b32 exec_lo, exec_lo, s44
	v_lshlrev_b32_e32 v105, 24, v105
	v_lshlrev_b32_e32 v49, 20, v49
	v_lshl_add_u32 v104, v104, 23, 0x3c000000
	v_and_b32_e32 v105, 0x80000000, v105
	v_or3_b32 v104, v49, v105, v104
.LBB169_264:                            ;   in Loop: Header=BB169_13 Depth=1
	s_or_b32 exec_lo, exec_lo, s43
.LBB169_265:                            ;   in Loop: Header=BB169_13 Depth=1
	s_or_b32 exec_lo, exec_lo, s42
.LBB169_266:                            ;   in Loop: Header=BB169_13 Depth=1
	s_or_b32 exec_lo, exec_lo, s41
	global_load_ubyte v105, v[55:56], off offset:908
	s_mov_b32 s41, exec_lo
	s_waitcnt vmcnt(0)
	v_cmpx_ne_u16_e32 0, v105
	s_cbranch_execz .LBB169_274
; %bb.267:                              ;   in Loop: Header=BB169_13 Depth=1
	v_bfrev_b32_e32 v103, 1
	s_mov_b32 s42, exec_lo
	v_cmpx_ne_u16_e32 0x80, v105
	s_cbranch_execz .LBB169_273
; %bb.268:                              ;   in Loop: Header=BB169_13 Depth=1
	v_and_b32_sdwa v106, v105, v67 dst_sel:DWORD dst_unused:UNUSED_PAD src0_sel:WORD_0 src1_sel:DWORD
	v_mov_b32_e32 v103, 0x7f800001
	s_mov_b32 s43, exec_lo
	v_cmpx_ne_u32_e32 0x7f, v106
	s_cbranch_execz .LBB169_272
; %bb.269:                              ;   in Loop: Header=BB169_13 Depth=1
	v_and_b32_sdwa v49, v105, v68 dst_sel:DWORD dst_unused:UNUSED_PAD src0_sel:WORD_0 src1_sel:DWORD
	v_lshrrev_b32_e32 v103, 3, v106
	s_mov_b32 s44, exec_lo
	v_cmpx_gt_u32_e32 8, v106
; %bb.270:                              ;   in Loop: Header=BB169_13 Depth=1
	v_ffbh_u32_e32 v103, v49
	v_min_u32_e32 v103, 32, v103
	v_subrev_nc_u32_e32 v106, 28, v103
	v_sub_nc_u32_e32 v103, 29, v103
	v_lshlrev_b64 v[106:107], v106, v[49:50]
	v_and_b32_e32 v49, 7, v106
; %bb.271:                              ;   in Loop: Header=BB169_13 Depth=1
	s_or_b32 exec_lo, exec_lo, s44
	v_lshlrev_b32_e32 v105, 24, v105
	v_lshlrev_b32_e32 v49, 20, v49
	v_lshl_add_u32 v103, v103, 23, 0x3c000000
	v_and_b32_e32 v105, 0x80000000, v105
	v_or3_b32 v103, v49, v105, v103
.LBB169_272:                            ;   in Loop: Header=BB169_13 Depth=1
	s_or_b32 exec_lo, exec_lo, s43
.LBB169_273:                            ;   in Loop: Header=BB169_13 Depth=1
	s_or_b32 exec_lo, exec_lo, s42
.LBB169_274:                            ;   in Loop: Header=BB169_13 Depth=1
	s_or_b32 exec_lo, exec_lo, s41
	global_load_ubyte v107, v[55:56], off offset:1024
	v_mov_b32_e32 v105, 0
	v_mov_b32_e32 v106, 0
	s_mov_b32 s41, exec_lo
	s_waitcnt vmcnt(0)
	v_cmpx_ne_u16_e32 0, v107
	s_cbranch_execz .LBB169_282
; %bb.275:                              ;   in Loop: Header=BB169_13 Depth=1
	v_bfrev_b32_e32 v106, 1
	s_mov_b32 s42, exec_lo
	v_cmpx_ne_u16_e32 0x80, v107
	s_cbranch_execz .LBB169_281
; %bb.276:                              ;   in Loop: Header=BB169_13 Depth=1
	v_and_b32_sdwa v108, v107, v67 dst_sel:DWORD dst_unused:UNUSED_PAD src0_sel:WORD_0 src1_sel:DWORD
	v_mov_b32_e32 v106, 0x7f800001
	s_mov_b32 s43, exec_lo
	v_cmpx_ne_u32_e32 0x7f, v108
	s_cbranch_execz .LBB169_280
; %bb.277:                              ;   in Loop: Header=BB169_13 Depth=1
	v_and_b32_sdwa v49, v107, v68 dst_sel:DWORD dst_unused:UNUSED_PAD src0_sel:WORD_0 src1_sel:DWORD
	v_lshrrev_b32_e32 v106, 3, v108
	s_mov_b32 s44, exec_lo
	v_cmpx_gt_u32_e32 8, v108
; %bb.278:                              ;   in Loop: Header=BB169_13 Depth=1
	v_ffbh_u32_e32 v106, v49
	v_min_u32_e32 v106, 32, v106
	v_subrev_nc_u32_e32 v108, 28, v106
	v_sub_nc_u32_e32 v106, 29, v106
	v_lshlrev_b64 v[108:109], v108, v[49:50]
	v_and_b32_e32 v49, 7, v108
; %bb.279:                              ;   in Loop: Header=BB169_13 Depth=1
	s_or_b32 exec_lo, exec_lo, s44
	v_lshlrev_b32_e32 v107, 24, v107
	v_lshlrev_b32_e32 v49, 20, v49
	v_lshl_add_u32 v106, v106, 23, 0x3c000000
	v_and_b32_e32 v107, 0x80000000, v107
	v_or3_b32 v106, v49, v107, v106
.LBB169_280:                            ;   in Loop: Header=BB169_13 Depth=1
	s_or_b32 exec_lo, exec_lo, s43
.LBB169_281:                            ;   in Loop: Header=BB169_13 Depth=1
	s_or_b32 exec_lo, exec_lo, s42
.LBB169_282:                            ;   in Loop: Header=BB169_13 Depth=1
	s_or_b32 exec_lo, exec_lo, s41
	global_load_ubyte v107, v[55:56], off offset:1028
	s_mov_b32 s41, exec_lo
	s_waitcnt vmcnt(0)
	v_cmpx_ne_u16_e32 0, v107
	s_cbranch_execz .LBB169_290
; %bb.283:                              ;   in Loop: Header=BB169_13 Depth=1
	v_bfrev_b32_e32 v105, 1
	s_mov_b32 s42, exec_lo
	v_cmpx_ne_u16_e32 0x80, v107
	s_cbranch_execz .LBB169_289
; %bb.284:                              ;   in Loop: Header=BB169_13 Depth=1
	v_and_b32_sdwa v108, v107, v67 dst_sel:DWORD dst_unused:UNUSED_PAD src0_sel:WORD_0 src1_sel:DWORD
	v_mov_b32_e32 v105, 0x7f800001
	s_mov_b32 s43, exec_lo
	v_cmpx_ne_u32_e32 0x7f, v108
	s_cbranch_execz .LBB169_288
; %bb.285:                              ;   in Loop: Header=BB169_13 Depth=1
	v_and_b32_sdwa v49, v107, v68 dst_sel:DWORD dst_unused:UNUSED_PAD src0_sel:WORD_0 src1_sel:DWORD
	v_lshrrev_b32_e32 v105, 3, v108
	s_mov_b32 s44, exec_lo
	v_cmpx_gt_u32_e32 8, v108
; %bb.286:                              ;   in Loop: Header=BB169_13 Depth=1
	v_ffbh_u32_e32 v105, v49
	v_min_u32_e32 v105, 32, v105
	v_subrev_nc_u32_e32 v108, 28, v105
	v_sub_nc_u32_e32 v105, 29, v105
	v_lshlrev_b64 v[108:109], v108, v[49:50]
	v_and_b32_e32 v49, 7, v108
; %bb.287:                              ;   in Loop: Header=BB169_13 Depth=1
	s_or_b32 exec_lo, exec_lo, s44
	v_lshlrev_b32_e32 v107, 24, v107
	v_lshlrev_b32_e32 v49, 20, v49
	v_lshl_add_u32 v105, v105, 23, 0x3c000000
	v_and_b32_e32 v107, 0x80000000, v107
	v_or3_b32 v105, v49, v107, v105
.LBB169_288:                            ;   in Loop: Header=BB169_13 Depth=1
	s_or_b32 exec_lo, exec_lo, s43
.LBB169_289:                            ;   in Loop: Header=BB169_13 Depth=1
	s_or_b32 exec_lo, exec_lo, s42
.LBB169_290:                            ;   in Loop: Header=BB169_13 Depth=1
	s_or_b32 exec_lo, exec_lo, s41
	global_load_ubyte v109, v[55:56], off offset:1032
	v_mov_b32_e32 v107, 0
	v_mov_b32_e32 v108, 0
	s_mov_b32 s41, exec_lo
	s_waitcnt vmcnt(0)
	v_cmpx_ne_u16_e32 0, v109
	s_cbranch_execz .LBB169_298
; %bb.291:                              ;   in Loop: Header=BB169_13 Depth=1
	v_bfrev_b32_e32 v108, 1
	s_mov_b32 s42, exec_lo
	v_cmpx_ne_u16_e32 0x80, v109
	s_cbranch_execz .LBB169_297
; %bb.292:                              ;   in Loop: Header=BB169_13 Depth=1
	v_and_b32_sdwa v110, v109, v67 dst_sel:DWORD dst_unused:UNUSED_PAD src0_sel:WORD_0 src1_sel:DWORD
	v_mov_b32_e32 v108, 0x7f800001
	s_mov_b32 s43, exec_lo
	v_cmpx_ne_u32_e32 0x7f, v110
	s_cbranch_execz .LBB169_296
; %bb.293:                              ;   in Loop: Header=BB169_13 Depth=1
	v_and_b32_sdwa v49, v109, v68 dst_sel:DWORD dst_unused:UNUSED_PAD src0_sel:WORD_0 src1_sel:DWORD
	v_lshrrev_b32_e32 v108, 3, v110
	s_mov_b32 s44, exec_lo
	v_cmpx_gt_u32_e32 8, v110
; %bb.294:                              ;   in Loop: Header=BB169_13 Depth=1
	v_ffbh_u32_e32 v108, v49
	v_min_u32_e32 v108, 32, v108
	v_subrev_nc_u32_e32 v110, 28, v108
	v_sub_nc_u32_e32 v108, 29, v108
	v_lshlrev_b64 v[110:111], v110, v[49:50]
	v_and_b32_e32 v49, 7, v110
; %bb.295:                              ;   in Loop: Header=BB169_13 Depth=1
	s_or_b32 exec_lo, exec_lo, s44
	v_lshlrev_b32_e32 v109, 24, v109
	v_lshlrev_b32_e32 v49, 20, v49
	v_lshl_add_u32 v108, v108, 23, 0x3c000000
	v_and_b32_e32 v109, 0x80000000, v109
	v_or3_b32 v108, v49, v109, v108
.LBB169_296:                            ;   in Loop: Header=BB169_13 Depth=1
	s_or_b32 exec_lo, exec_lo, s43
.LBB169_297:                            ;   in Loop: Header=BB169_13 Depth=1
	s_or_b32 exec_lo, exec_lo, s42
.LBB169_298:                            ;   in Loop: Header=BB169_13 Depth=1
	s_or_b32 exec_lo, exec_lo, s41
	global_load_ubyte v109, v[55:56], off offset:1036
	s_mov_b32 s41, exec_lo
	s_waitcnt vmcnt(0)
	v_cmpx_ne_u16_e32 0, v109
	s_cbranch_execz .LBB169_306
; %bb.299:                              ;   in Loop: Header=BB169_13 Depth=1
	v_bfrev_b32_e32 v107, 1
	s_mov_b32 s42, exec_lo
	v_cmpx_ne_u16_e32 0x80, v109
	s_cbranch_execz .LBB169_305
; %bb.300:                              ;   in Loop: Header=BB169_13 Depth=1
	v_and_b32_sdwa v110, v109, v67 dst_sel:DWORD dst_unused:UNUSED_PAD src0_sel:WORD_0 src1_sel:DWORD
	v_mov_b32_e32 v107, 0x7f800001
	s_mov_b32 s43, exec_lo
	v_cmpx_ne_u32_e32 0x7f, v110
	s_cbranch_execz .LBB169_304
; %bb.301:                              ;   in Loop: Header=BB169_13 Depth=1
	v_and_b32_sdwa v49, v109, v68 dst_sel:DWORD dst_unused:UNUSED_PAD src0_sel:WORD_0 src1_sel:DWORD
	v_lshrrev_b32_e32 v107, 3, v110
	s_mov_b32 s44, exec_lo
	v_cmpx_gt_u32_e32 8, v110
; %bb.302:                              ;   in Loop: Header=BB169_13 Depth=1
	v_ffbh_u32_e32 v107, v49
	v_min_u32_e32 v107, 32, v107
	v_subrev_nc_u32_e32 v110, 28, v107
	v_sub_nc_u32_e32 v107, 29, v107
	v_lshlrev_b64 v[110:111], v110, v[49:50]
	v_and_b32_e32 v49, 7, v110
; %bb.303:                              ;   in Loop: Header=BB169_13 Depth=1
	s_or_b32 exec_lo, exec_lo, s44
	v_lshlrev_b32_e32 v109, 24, v109
	v_lshlrev_b32_e32 v49, 20, v49
	v_lshl_add_u32 v107, v107, 23, 0x3c000000
	v_and_b32_e32 v109, 0x80000000, v109
	v_or3_b32 v107, v49, v109, v107
.LBB169_304:                            ;   in Loop: Header=BB169_13 Depth=1
	s_or_b32 exec_lo, exec_lo, s43
.LBB169_305:                            ;   in Loop: Header=BB169_13 Depth=1
	s_or_b32 exec_lo, exec_lo, s42
.LBB169_306:                            ;   in Loop: Header=BB169_13 Depth=1
	s_or_b32 exec_lo, exec_lo, s41
	global_load_ubyte v111, v[55:56], off offset:1152
	v_mov_b32_e32 v109, 0
	v_mov_b32_e32 v110, 0
	s_mov_b32 s41, exec_lo
	s_waitcnt vmcnt(0)
	v_cmpx_ne_u16_e32 0, v111
	s_cbranch_execz .LBB169_314
; %bb.307:                              ;   in Loop: Header=BB169_13 Depth=1
	v_bfrev_b32_e32 v110, 1
	s_mov_b32 s42, exec_lo
	v_cmpx_ne_u16_e32 0x80, v111
	s_cbranch_execz .LBB169_313
; %bb.308:                              ;   in Loop: Header=BB169_13 Depth=1
	v_and_b32_sdwa v112, v111, v67 dst_sel:DWORD dst_unused:UNUSED_PAD src0_sel:WORD_0 src1_sel:DWORD
	v_mov_b32_e32 v110, 0x7f800001
	s_mov_b32 s43, exec_lo
	v_cmpx_ne_u32_e32 0x7f, v112
	s_cbranch_execz .LBB169_312
; %bb.309:                              ;   in Loop: Header=BB169_13 Depth=1
	v_and_b32_sdwa v49, v111, v68 dst_sel:DWORD dst_unused:UNUSED_PAD src0_sel:WORD_0 src1_sel:DWORD
	v_lshrrev_b32_e32 v110, 3, v112
	s_mov_b32 s44, exec_lo
	v_cmpx_gt_u32_e32 8, v112
; %bb.310:                              ;   in Loop: Header=BB169_13 Depth=1
	v_ffbh_u32_e32 v110, v49
	v_min_u32_e32 v110, 32, v110
	v_subrev_nc_u32_e32 v112, 28, v110
	v_sub_nc_u32_e32 v110, 29, v110
	v_lshlrev_b64 v[112:113], v112, v[49:50]
	v_and_b32_e32 v49, 7, v112
; %bb.311:                              ;   in Loop: Header=BB169_13 Depth=1
	s_or_b32 exec_lo, exec_lo, s44
	v_lshlrev_b32_e32 v111, 24, v111
	v_lshlrev_b32_e32 v49, 20, v49
	v_lshl_add_u32 v110, v110, 23, 0x3c000000
	v_and_b32_e32 v111, 0x80000000, v111
	v_or3_b32 v110, v49, v111, v110
.LBB169_312:                            ;   in Loop: Header=BB169_13 Depth=1
	s_or_b32 exec_lo, exec_lo, s43
.LBB169_313:                            ;   in Loop: Header=BB169_13 Depth=1
	s_or_b32 exec_lo, exec_lo, s42
.LBB169_314:                            ;   in Loop: Header=BB169_13 Depth=1
	s_or_b32 exec_lo, exec_lo, s41
	global_load_ubyte v111, v[55:56], off offset:1156
	s_mov_b32 s41, exec_lo
	s_waitcnt vmcnt(0)
	v_cmpx_ne_u16_e32 0, v111
	s_cbranch_execz .LBB169_322
; %bb.315:                              ;   in Loop: Header=BB169_13 Depth=1
	v_bfrev_b32_e32 v109, 1
	s_mov_b32 s42, exec_lo
	v_cmpx_ne_u16_e32 0x80, v111
	s_cbranch_execz .LBB169_321
; %bb.316:                              ;   in Loop: Header=BB169_13 Depth=1
	v_and_b32_sdwa v112, v111, v67 dst_sel:DWORD dst_unused:UNUSED_PAD src0_sel:WORD_0 src1_sel:DWORD
	v_mov_b32_e32 v109, 0x7f800001
	s_mov_b32 s43, exec_lo
	v_cmpx_ne_u32_e32 0x7f, v112
	s_cbranch_execz .LBB169_320
; %bb.317:                              ;   in Loop: Header=BB169_13 Depth=1
	v_and_b32_sdwa v49, v111, v68 dst_sel:DWORD dst_unused:UNUSED_PAD src0_sel:WORD_0 src1_sel:DWORD
	v_lshrrev_b32_e32 v109, 3, v112
	s_mov_b32 s44, exec_lo
	v_cmpx_gt_u32_e32 8, v112
; %bb.318:                              ;   in Loop: Header=BB169_13 Depth=1
	v_ffbh_u32_e32 v109, v49
	v_min_u32_e32 v109, 32, v109
	v_subrev_nc_u32_e32 v112, 28, v109
	v_sub_nc_u32_e32 v109, 29, v109
	v_lshlrev_b64 v[112:113], v112, v[49:50]
	v_and_b32_e32 v49, 7, v112
; %bb.319:                              ;   in Loop: Header=BB169_13 Depth=1
	s_or_b32 exec_lo, exec_lo, s44
	v_lshlrev_b32_e32 v111, 24, v111
	v_lshlrev_b32_e32 v49, 20, v49
	v_lshl_add_u32 v109, v109, 23, 0x3c000000
	v_and_b32_e32 v111, 0x80000000, v111
	v_or3_b32 v109, v49, v111, v109
.LBB169_320:                            ;   in Loop: Header=BB169_13 Depth=1
	s_or_b32 exec_lo, exec_lo, s43
.LBB169_321:                            ;   in Loop: Header=BB169_13 Depth=1
	s_or_b32 exec_lo, exec_lo, s42
.LBB169_322:                            ;   in Loop: Header=BB169_13 Depth=1
	s_or_b32 exec_lo, exec_lo, s41
	global_load_ubyte v113, v[55:56], off offset:1160
	v_mov_b32_e32 v111, 0
	v_mov_b32_e32 v112, 0
	s_mov_b32 s41, exec_lo
	s_waitcnt vmcnt(0)
	v_cmpx_ne_u16_e32 0, v113
	s_cbranch_execz .LBB169_330
; %bb.323:                              ;   in Loop: Header=BB169_13 Depth=1
	v_bfrev_b32_e32 v112, 1
	s_mov_b32 s42, exec_lo
	v_cmpx_ne_u16_e32 0x80, v113
	s_cbranch_execz .LBB169_329
; %bb.324:                              ;   in Loop: Header=BB169_13 Depth=1
	v_and_b32_sdwa v114, v113, v67 dst_sel:DWORD dst_unused:UNUSED_PAD src0_sel:WORD_0 src1_sel:DWORD
	v_mov_b32_e32 v112, 0x7f800001
	s_mov_b32 s43, exec_lo
	v_cmpx_ne_u32_e32 0x7f, v114
	s_cbranch_execz .LBB169_328
; %bb.325:                              ;   in Loop: Header=BB169_13 Depth=1
	v_and_b32_sdwa v49, v113, v68 dst_sel:DWORD dst_unused:UNUSED_PAD src0_sel:WORD_0 src1_sel:DWORD
	v_lshrrev_b32_e32 v112, 3, v114
	s_mov_b32 s44, exec_lo
	v_cmpx_gt_u32_e32 8, v114
; %bb.326:                              ;   in Loop: Header=BB169_13 Depth=1
	v_ffbh_u32_e32 v112, v49
	v_min_u32_e32 v112, 32, v112
	v_subrev_nc_u32_e32 v114, 28, v112
	v_sub_nc_u32_e32 v112, 29, v112
	v_lshlrev_b64 v[114:115], v114, v[49:50]
	v_and_b32_e32 v49, 7, v114
; %bb.327:                              ;   in Loop: Header=BB169_13 Depth=1
	s_or_b32 exec_lo, exec_lo, s44
	v_lshlrev_b32_e32 v113, 24, v113
	v_lshlrev_b32_e32 v49, 20, v49
	v_lshl_add_u32 v112, v112, 23, 0x3c000000
	v_and_b32_e32 v113, 0x80000000, v113
	v_or3_b32 v112, v49, v113, v112
.LBB169_328:                            ;   in Loop: Header=BB169_13 Depth=1
	s_or_b32 exec_lo, exec_lo, s43
.LBB169_329:                            ;   in Loop: Header=BB169_13 Depth=1
	s_or_b32 exec_lo, exec_lo, s42
.LBB169_330:                            ;   in Loop: Header=BB169_13 Depth=1
	s_or_b32 exec_lo, exec_lo, s41
	global_load_ubyte v113, v[55:56], off offset:1164
	s_mov_b32 s41, exec_lo
	s_waitcnt vmcnt(0)
	v_cmpx_ne_u16_e32 0, v113
	s_cbranch_execz .LBB169_338
; %bb.331:                              ;   in Loop: Header=BB169_13 Depth=1
	v_bfrev_b32_e32 v111, 1
	s_mov_b32 s42, exec_lo
	v_cmpx_ne_u16_e32 0x80, v113
	s_cbranch_execz .LBB169_337
; %bb.332:                              ;   in Loop: Header=BB169_13 Depth=1
	v_and_b32_sdwa v114, v113, v67 dst_sel:DWORD dst_unused:UNUSED_PAD src0_sel:WORD_0 src1_sel:DWORD
	v_mov_b32_e32 v111, 0x7f800001
	s_mov_b32 s43, exec_lo
	v_cmpx_ne_u32_e32 0x7f, v114
	s_cbranch_execz .LBB169_336
; %bb.333:                              ;   in Loop: Header=BB169_13 Depth=1
	v_and_b32_sdwa v49, v113, v68 dst_sel:DWORD dst_unused:UNUSED_PAD src0_sel:WORD_0 src1_sel:DWORD
	v_lshrrev_b32_e32 v111, 3, v114
	s_mov_b32 s44, exec_lo
	v_cmpx_gt_u32_e32 8, v114
; %bb.334:                              ;   in Loop: Header=BB169_13 Depth=1
	v_ffbh_u32_e32 v111, v49
	v_min_u32_e32 v111, 32, v111
	v_subrev_nc_u32_e32 v114, 28, v111
	v_sub_nc_u32_e32 v111, 29, v111
	v_lshlrev_b64 v[114:115], v114, v[49:50]
	v_and_b32_e32 v49, 7, v114
; %bb.335:                              ;   in Loop: Header=BB169_13 Depth=1
	s_or_b32 exec_lo, exec_lo, s44
	v_lshlrev_b32_e32 v113, 24, v113
	v_lshlrev_b32_e32 v49, 20, v49
	v_lshl_add_u32 v111, v111, 23, 0x3c000000
	v_and_b32_e32 v113, 0x80000000, v113
	v_or3_b32 v111, v49, v113, v111
.LBB169_336:                            ;   in Loop: Header=BB169_13 Depth=1
	s_or_b32 exec_lo, exec_lo, s43
.LBB169_337:                            ;   in Loop: Header=BB169_13 Depth=1
	s_or_b32 exec_lo, exec_lo, s42
.LBB169_338:                            ;   in Loop: Header=BB169_13 Depth=1
	s_or_b32 exec_lo, exec_lo, s41
	global_load_ubyte v115, v[55:56], off offset:1280
	v_mov_b32_e32 v113, 0
	v_mov_b32_e32 v114, 0
	s_mov_b32 s41, exec_lo
	s_waitcnt vmcnt(0)
	v_cmpx_ne_u16_e32 0, v115
	s_cbranch_execz .LBB169_346
; %bb.339:                              ;   in Loop: Header=BB169_13 Depth=1
	v_bfrev_b32_e32 v114, 1
	s_mov_b32 s42, exec_lo
	v_cmpx_ne_u16_e32 0x80, v115
	s_cbranch_execz .LBB169_345
; %bb.340:                              ;   in Loop: Header=BB169_13 Depth=1
	v_and_b32_sdwa v116, v115, v67 dst_sel:DWORD dst_unused:UNUSED_PAD src0_sel:WORD_0 src1_sel:DWORD
	v_mov_b32_e32 v114, 0x7f800001
	s_mov_b32 s43, exec_lo
	v_cmpx_ne_u32_e32 0x7f, v116
	s_cbranch_execz .LBB169_344
; %bb.341:                              ;   in Loop: Header=BB169_13 Depth=1
	v_and_b32_sdwa v49, v115, v68 dst_sel:DWORD dst_unused:UNUSED_PAD src0_sel:WORD_0 src1_sel:DWORD
	v_lshrrev_b32_e32 v114, 3, v116
	s_mov_b32 s44, exec_lo
	v_cmpx_gt_u32_e32 8, v116
; %bb.342:                              ;   in Loop: Header=BB169_13 Depth=1
	v_ffbh_u32_e32 v114, v49
	v_min_u32_e32 v114, 32, v114
	v_subrev_nc_u32_e32 v116, 28, v114
	v_sub_nc_u32_e32 v114, 29, v114
	v_lshlrev_b64 v[116:117], v116, v[49:50]
	v_and_b32_e32 v49, 7, v116
; %bb.343:                              ;   in Loop: Header=BB169_13 Depth=1
	s_or_b32 exec_lo, exec_lo, s44
	v_lshlrev_b32_e32 v115, 24, v115
	v_lshlrev_b32_e32 v49, 20, v49
	v_lshl_add_u32 v114, v114, 23, 0x3c000000
	v_and_b32_e32 v115, 0x80000000, v115
	v_or3_b32 v114, v49, v115, v114
.LBB169_344:                            ;   in Loop: Header=BB169_13 Depth=1
	s_or_b32 exec_lo, exec_lo, s43
.LBB169_345:                            ;   in Loop: Header=BB169_13 Depth=1
	s_or_b32 exec_lo, exec_lo, s42
.LBB169_346:                            ;   in Loop: Header=BB169_13 Depth=1
	s_or_b32 exec_lo, exec_lo, s41
	global_load_ubyte v115, v[55:56], off offset:1284
	s_mov_b32 s41, exec_lo
	s_waitcnt vmcnt(0)
	v_cmpx_ne_u16_e32 0, v115
	s_cbranch_execz .LBB169_354
; %bb.347:                              ;   in Loop: Header=BB169_13 Depth=1
	v_bfrev_b32_e32 v113, 1
	s_mov_b32 s42, exec_lo
	v_cmpx_ne_u16_e32 0x80, v115
	s_cbranch_execz .LBB169_353
; %bb.348:                              ;   in Loop: Header=BB169_13 Depth=1
	v_and_b32_sdwa v116, v115, v67 dst_sel:DWORD dst_unused:UNUSED_PAD src0_sel:WORD_0 src1_sel:DWORD
	v_mov_b32_e32 v113, 0x7f800001
	s_mov_b32 s43, exec_lo
	v_cmpx_ne_u32_e32 0x7f, v116
	s_cbranch_execz .LBB169_352
; %bb.349:                              ;   in Loop: Header=BB169_13 Depth=1
	v_and_b32_sdwa v49, v115, v68 dst_sel:DWORD dst_unused:UNUSED_PAD src0_sel:WORD_0 src1_sel:DWORD
	v_lshrrev_b32_e32 v113, 3, v116
	s_mov_b32 s44, exec_lo
	v_cmpx_gt_u32_e32 8, v116
; %bb.350:                              ;   in Loop: Header=BB169_13 Depth=1
	v_ffbh_u32_e32 v113, v49
	v_min_u32_e32 v113, 32, v113
	v_subrev_nc_u32_e32 v116, 28, v113
	v_sub_nc_u32_e32 v113, 29, v113
	v_lshlrev_b64 v[116:117], v116, v[49:50]
	v_and_b32_e32 v49, 7, v116
; %bb.351:                              ;   in Loop: Header=BB169_13 Depth=1
	s_or_b32 exec_lo, exec_lo, s44
	v_lshlrev_b32_e32 v115, 24, v115
	v_lshlrev_b32_e32 v49, 20, v49
	v_lshl_add_u32 v113, v113, 23, 0x3c000000
	v_and_b32_e32 v115, 0x80000000, v115
	v_or3_b32 v113, v49, v115, v113
.LBB169_352:                            ;   in Loop: Header=BB169_13 Depth=1
	s_or_b32 exec_lo, exec_lo, s43
.LBB169_353:                            ;   in Loop: Header=BB169_13 Depth=1
	s_or_b32 exec_lo, exec_lo, s42
.LBB169_354:                            ;   in Loop: Header=BB169_13 Depth=1
	s_or_b32 exec_lo, exec_lo, s41
	global_load_ubyte v117, v[55:56], off offset:1288
	v_mov_b32_e32 v115, 0
	v_mov_b32_e32 v116, 0
	s_mov_b32 s41, exec_lo
	s_waitcnt vmcnt(0)
	v_cmpx_ne_u16_e32 0, v117
	s_cbranch_execz .LBB169_362
; %bb.355:                              ;   in Loop: Header=BB169_13 Depth=1
	v_bfrev_b32_e32 v116, 1
	s_mov_b32 s42, exec_lo
	v_cmpx_ne_u16_e32 0x80, v117
	s_cbranch_execz .LBB169_361
; %bb.356:                              ;   in Loop: Header=BB169_13 Depth=1
	v_and_b32_sdwa v118, v117, v67 dst_sel:DWORD dst_unused:UNUSED_PAD src0_sel:WORD_0 src1_sel:DWORD
	v_mov_b32_e32 v116, 0x7f800001
	s_mov_b32 s43, exec_lo
	v_cmpx_ne_u32_e32 0x7f, v118
	s_cbranch_execz .LBB169_360
; %bb.357:                              ;   in Loop: Header=BB169_13 Depth=1
	v_and_b32_sdwa v49, v117, v68 dst_sel:DWORD dst_unused:UNUSED_PAD src0_sel:WORD_0 src1_sel:DWORD
	v_lshrrev_b32_e32 v116, 3, v118
	s_mov_b32 s44, exec_lo
	v_cmpx_gt_u32_e32 8, v118
; %bb.358:                              ;   in Loop: Header=BB169_13 Depth=1
	v_ffbh_u32_e32 v116, v49
	v_min_u32_e32 v116, 32, v116
	v_subrev_nc_u32_e32 v118, 28, v116
	v_sub_nc_u32_e32 v116, 29, v116
	v_lshlrev_b64 v[118:119], v118, v[49:50]
	v_and_b32_e32 v49, 7, v118
; %bb.359:                              ;   in Loop: Header=BB169_13 Depth=1
	s_or_b32 exec_lo, exec_lo, s44
	v_lshlrev_b32_e32 v117, 24, v117
	v_lshlrev_b32_e32 v49, 20, v49
	v_lshl_add_u32 v116, v116, 23, 0x3c000000
	v_and_b32_e32 v117, 0x80000000, v117
	v_or3_b32 v116, v49, v117, v116
.LBB169_360:                            ;   in Loop: Header=BB169_13 Depth=1
	s_or_b32 exec_lo, exec_lo, s43
.LBB169_361:                            ;   in Loop: Header=BB169_13 Depth=1
	s_or_b32 exec_lo, exec_lo, s42
.LBB169_362:                            ;   in Loop: Header=BB169_13 Depth=1
	s_or_b32 exec_lo, exec_lo, s41
	global_load_ubyte v117, v[55:56], off offset:1292
	s_mov_b32 s41, exec_lo
	s_waitcnt vmcnt(0)
	v_cmpx_ne_u16_e32 0, v117
	s_cbranch_execz .LBB169_370
; %bb.363:                              ;   in Loop: Header=BB169_13 Depth=1
	v_bfrev_b32_e32 v115, 1
	s_mov_b32 s42, exec_lo
	v_cmpx_ne_u16_e32 0x80, v117
	s_cbranch_execz .LBB169_369
; %bb.364:                              ;   in Loop: Header=BB169_13 Depth=1
	v_and_b32_sdwa v118, v117, v67 dst_sel:DWORD dst_unused:UNUSED_PAD src0_sel:WORD_0 src1_sel:DWORD
	v_mov_b32_e32 v115, 0x7f800001
	s_mov_b32 s43, exec_lo
	v_cmpx_ne_u32_e32 0x7f, v118
	s_cbranch_execz .LBB169_368
; %bb.365:                              ;   in Loop: Header=BB169_13 Depth=1
	v_and_b32_sdwa v49, v117, v68 dst_sel:DWORD dst_unused:UNUSED_PAD src0_sel:WORD_0 src1_sel:DWORD
	v_lshrrev_b32_e32 v115, 3, v118
	s_mov_b32 s44, exec_lo
	v_cmpx_gt_u32_e32 8, v118
; %bb.366:                              ;   in Loop: Header=BB169_13 Depth=1
	v_ffbh_u32_e32 v115, v49
	v_min_u32_e32 v115, 32, v115
	v_subrev_nc_u32_e32 v118, 28, v115
	v_sub_nc_u32_e32 v115, 29, v115
	v_lshlrev_b64 v[118:119], v118, v[49:50]
	v_and_b32_e32 v49, 7, v118
; %bb.367:                              ;   in Loop: Header=BB169_13 Depth=1
	s_or_b32 exec_lo, exec_lo, s44
	v_lshlrev_b32_e32 v117, 24, v117
	v_lshlrev_b32_e32 v49, 20, v49
	v_lshl_add_u32 v115, v115, 23, 0x3c000000
	v_and_b32_e32 v117, 0x80000000, v117
	v_or3_b32 v115, v49, v117, v115
.LBB169_368:                            ;   in Loop: Header=BB169_13 Depth=1
	s_or_b32 exec_lo, exec_lo, s43
.LBB169_369:                            ;   in Loop: Header=BB169_13 Depth=1
	s_or_b32 exec_lo, exec_lo, s42
.LBB169_370:                            ;   in Loop: Header=BB169_13 Depth=1
	s_or_b32 exec_lo, exec_lo, s41
	global_load_ubyte v119, v[55:56], off offset:1408
	v_mov_b32_e32 v117, 0
	v_mov_b32_e32 v118, 0
	s_mov_b32 s41, exec_lo
	s_waitcnt vmcnt(0)
	v_cmpx_ne_u16_e32 0, v119
	s_cbranch_execz .LBB169_378
; %bb.371:                              ;   in Loop: Header=BB169_13 Depth=1
	v_bfrev_b32_e32 v118, 1
	s_mov_b32 s42, exec_lo
	v_cmpx_ne_u16_e32 0x80, v119
	s_cbranch_execz .LBB169_377
; %bb.372:                              ;   in Loop: Header=BB169_13 Depth=1
	v_and_b32_sdwa v120, v119, v67 dst_sel:DWORD dst_unused:UNUSED_PAD src0_sel:WORD_0 src1_sel:DWORD
	v_mov_b32_e32 v118, 0x7f800001
	s_mov_b32 s43, exec_lo
	v_cmpx_ne_u32_e32 0x7f, v120
	s_cbranch_execz .LBB169_376
; %bb.373:                              ;   in Loop: Header=BB169_13 Depth=1
	v_and_b32_sdwa v49, v119, v68 dst_sel:DWORD dst_unused:UNUSED_PAD src0_sel:WORD_0 src1_sel:DWORD
	v_lshrrev_b32_e32 v118, 3, v120
	s_mov_b32 s44, exec_lo
	v_cmpx_gt_u32_e32 8, v120
; %bb.374:                              ;   in Loop: Header=BB169_13 Depth=1
	v_ffbh_u32_e32 v118, v49
	v_min_u32_e32 v118, 32, v118
	v_subrev_nc_u32_e32 v120, 28, v118
	v_sub_nc_u32_e32 v118, 29, v118
	v_lshlrev_b64 v[120:121], v120, v[49:50]
	v_and_b32_e32 v49, 7, v120
; %bb.375:                              ;   in Loop: Header=BB169_13 Depth=1
	s_or_b32 exec_lo, exec_lo, s44
	v_lshlrev_b32_e32 v119, 24, v119
	v_lshlrev_b32_e32 v49, 20, v49
	v_lshl_add_u32 v118, v118, 23, 0x3c000000
	v_and_b32_e32 v119, 0x80000000, v119
	v_or3_b32 v118, v49, v119, v118
.LBB169_376:                            ;   in Loop: Header=BB169_13 Depth=1
	s_or_b32 exec_lo, exec_lo, s43
.LBB169_377:                            ;   in Loop: Header=BB169_13 Depth=1
	s_or_b32 exec_lo, exec_lo, s42
.LBB169_378:                            ;   in Loop: Header=BB169_13 Depth=1
	s_or_b32 exec_lo, exec_lo, s41
	global_load_ubyte v119, v[55:56], off offset:1412
	s_mov_b32 s41, exec_lo
	s_waitcnt vmcnt(0)
	v_cmpx_ne_u16_e32 0, v119
	s_cbranch_execz .LBB169_386
; %bb.379:                              ;   in Loop: Header=BB169_13 Depth=1
	v_bfrev_b32_e32 v117, 1
	s_mov_b32 s42, exec_lo
	v_cmpx_ne_u16_e32 0x80, v119
	s_cbranch_execz .LBB169_385
; %bb.380:                              ;   in Loop: Header=BB169_13 Depth=1
	v_and_b32_sdwa v120, v119, v67 dst_sel:DWORD dst_unused:UNUSED_PAD src0_sel:WORD_0 src1_sel:DWORD
	v_mov_b32_e32 v117, 0x7f800001
	s_mov_b32 s43, exec_lo
	v_cmpx_ne_u32_e32 0x7f, v120
	s_cbranch_execz .LBB169_384
; %bb.381:                              ;   in Loop: Header=BB169_13 Depth=1
	v_and_b32_sdwa v49, v119, v68 dst_sel:DWORD dst_unused:UNUSED_PAD src0_sel:WORD_0 src1_sel:DWORD
	v_lshrrev_b32_e32 v117, 3, v120
	s_mov_b32 s44, exec_lo
	v_cmpx_gt_u32_e32 8, v120
; %bb.382:                              ;   in Loop: Header=BB169_13 Depth=1
	v_ffbh_u32_e32 v117, v49
	v_min_u32_e32 v117, 32, v117
	v_subrev_nc_u32_e32 v120, 28, v117
	v_sub_nc_u32_e32 v117, 29, v117
	v_lshlrev_b64 v[120:121], v120, v[49:50]
	v_and_b32_e32 v49, 7, v120
; %bb.383:                              ;   in Loop: Header=BB169_13 Depth=1
	s_or_b32 exec_lo, exec_lo, s44
	v_lshlrev_b32_e32 v119, 24, v119
	v_lshlrev_b32_e32 v49, 20, v49
	v_lshl_add_u32 v117, v117, 23, 0x3c000000
	v_and_b32_e32 v119, 0x80000000, v119
	v_or3_b32 v117, v49, v119, v117
.LBB169_384:                            ;   in Loop: Header=BB169_13 Depth=1
	s_or_b32 exec_lo, exec_lo, s43
.LBB169_385:                            ;   in Loop: Header=BB169_13 Depth=1
	s_or_b32 exec_lo, exec_lo, s42
.LBB169_386:                            ;   in Loop: Header=BB169_13 Depth=1
	s_or_b32 exec_lo, exec_lo, s41
	global_load_ubyte v121, v[55:56], off offset:1416
	v_mov_b32_e32 v119, 0
	v_mov_b32_e32 v120, 0
	s_mov_b32 s41, exec_lo
	s_waitcnt vmcnt(0)
	v_cmpx_ne_u16_e32 0, v121
	s_cbranch_execz .LBB169_394
; %bb.387:                              ;   in Loop: Header=BB169_13 Depth=1
	v_bfrev_b32_e32 v120, 1
	s_mov_b32 s42, exec_lo
	v_cmpx_ne_u16_e32 0x80, v121
	s_cbranch_execz .LBB169_393
; %bb.388:                              ;   in Loop: Header=BB169_13 Depth=1
	v_and_b32_sdwa v122, v121, v67 dst_sel:DWORD dst_unused:UNUSED_PAD src0_sel:WORD_0 src1_sel:DWORD
	v_mov_b32_e32 v120, 0x7f800001
	s_mov_b32 s43, exec_lo
	v_cmpx_ne_u32_e32 0x7f, v122
	s_cbranch_execz .LBB169_392
; %bb.389:                              ;   in Loop: Header=BB169_13 Depth=1
	v_and_b32_sdwa v49, v121, v68 dst_sel:DWORD dst_unused:UNUSED_PAD src0_sel:WORD_0 src1_sel:DWORD
	v_lshrrev_b32_e32 v120, 3, v122
	s_mov_b32 s44, exec_lo
	v_cmpx_gt_u32_e32 8, v122
; %bb.390:                              ;   in Loop: Header=BB169_13 Depth=1
	v_ffbh_u32_e32 v120, v49
	v_min_u32_e32 v120, 32, v120
	v_subrev_nc_u32_e32 v122, 28, v120
	v_sub_nc_u32_e32 v120, 29, v120
	v_lshlrev_b64 v[122:123], v122, v[49:50]
	v_and_b32_e32 v49, 7, v122
; %bb.391:                              ;   in Loop: Header=BB169_13 Depth=1
	s_or_b32 exec_lo, exec_lo, s44
	v_lshlrev_b32_e32 v121, 24, v121
	v_lshlrev_b32_e32 v49, 20, v49
	v_lshl_add_u32 v120, v120, 23, 0x3c000000
	v_and_b32_e32 v121, 0x80000000, v121
	v_or3_b32 v120, v49, v121, v120
.LBB169_392:                            ;   in Loop: Header=BB169_13 Depth=1
	s_or_b32 exec_lo, exec_lo, s43
.LBB169_393:                            ;   in Loop: Header=BB169_13 Depth=1
	s_or_b32 exec_lo, exec_lo, s42
.LBB169_394:                            ;   in Loop: Header=BB169_13 Depth=1
	s_or_b32 exec_lo, exec_lo, s41
	global_load_ubyte v55, v[55:56], off offset:1420
	s_mov_b32 s41, exec_lo
	s_waitcnt vmcnt(0)
	v_cmpx_ne_u16_e32 0, v55
	s_cbranch_execz .LBB169_402
; %bb.395:                              ;   in Loop: Header=BB169_13 Depth=1
	v_bfrev_b32_e32 v119, 1
	s_mov_b32 s42, exec_lo
	v_cmpx_ne_u16_e32 0x80, v55
	s_cbranch_execz .LBB169_401
; %bb.396:                              ;   in Loop: Header=BB169_13 Depth=1
	v_and_b32_sdwa v121, v55, v67 dst_sel:DWORD dst_unused:UNUSED_PAD src0_sel:WORD_0 src1_sel:DWORD
	v_mov_b32_e32 v119, 0x7f800001
	s_mov_b32 s43, exec_lo
	v_cmpx_ne_u32_e32 0x7f, v121
	s_cbranch_execz .LBB169_400
; %bb.397:                              ;   in Loop: Header=BB169_13 Depth=1
	v_and_b32_sdwa v49, v55, v68 dst_sel:DWORD dst_unused:UNUSED_PAD src0_sel:WORD_0 src1_sel:DWORD
	v_lshrrev_b32_e32 v56, 3, v121
	s_mov_b32 s44, exec_lo
	v_cmpx_gt_u32_e32 8, v121
; %bb.398:                              ;   in Loop: Header=BB169_13 Depth=1
	v_ffbh_u32_e32 v56, v49
	v_min_u32_e32 v56, 32, v56
	v_subrev_nc_u32_e32 v119, 28, v56
	v_sub_nc_u32_e32 v56, 29, v56
	v_lshlrev_b64 v[121:122], v119, v[49:50]
	v_and_b32_e32 v49, 7, v121
; %bb.399:                              ;   in Loop: Header=BB169_13 Depth=1
	s_or_b32 exec_lo, exec_lo, s44
	v_lshlrev_b32_e32 v55, 24, v55
	v_lshlrev_b32_e32 v49, 20, v49
	v_lshl_add_u32 v56, v56, 23, 0x3c000000
	v_and_b32_e32 v55, 0x80000000, v55
	v_or3_b32 v119, v49, v55, v56
.LBB169_400:                            ;   in Loop: Header=BB169_13 Depth=1
	s_or_b32 exec_lo, exec_lo, s43
.LBB169_401:                            ;   in Loop: Header=BB169_13 Depth=1
	s_or_b32 exec_lo, exec_lo, s42
.LBB169_402:                            ;   in Loop: Header=BB169_13 Depth=1
	s_or_b32 exec_lo, exec_lo, s41
	s_waitcnt lgkmcnt(0)
	v_mul_f32_e32 v49, s40, v73
	v_mul_f32_e32 v55, s40, v74
	;; [unrolled: 1-line block ×4, first 2 shown]
	v_fmac_f32_e32 v46, v45, v55
	v_mul_f32_e32 v45, s40, v75
	v_fmac_f32_e32 v46, v47, v49
	v_mul_f32_e32 v47, s40, v78
	v_fmac_f32_e32 v46, v48, v45
	v_mul_f32_e32 v45, s40, v77
	v_fmac_f32_e32 v46, v41, v47
	v_mul_f32_e32 v41, s40, v80
	v_fmac_f32_e32 v46, v42, v45
	v_mul_f32_e32 v42, s40, v79
	v_fmac_f32_e32 v46, v43, v41
	v_mul_f32_e32 v41, s40, v82
	v_fmac_f32_e32 v46, v44, v42
	v_mul_f32_e32 v42, s40, v81
	v_fmac_f32_e32 v46, v37, v41
	v_mul_f32_e32 v37, s40, v84
	v_fmac_f32_e32 v46, v38, v42
	v_mul_f32_e32 v38, s40, v83
	v_fmac_f32_e32 v46, v39, v37
	v_mul_f32_e32 v37, s40, v86
	v_fmac_f32_e32 v46, v40, v38
	v_mul_f32_e32 v38, s40, v85
	v_fmac_f32_e32 v46, v33, v37
	v_mul_f32_e32 v33, s40, v88
	v_fmac_f32_e32 v46, v34, v38
	v_mul_f32_e32 v34, s40, v87
	v_fmac_f32_e32 v46, v35, v33
	v_mul_f32_e32 v33, s40, v90
	v_fmac_f32_e32 v46, v36, v34
	v_mul_f32_e32 v34, s40, v89
	v_fmac_f32_e32 v46, v29, v33
	v_mul_f32_e32 v29, s40, v92
	v_fmac_f32_e32 v46, v30, v34
	v_mul_f32_e32 v30, s40, v91
	v_fmac_f32_e32 v46, v31, v29
	v_mul_f32_e32 v29, s40, v94
	v_fmac_f32_e32 v46, v32, v30
	v_mul_f32_e32 v30, s40, v93
	v_fmac_f32_e32 v46, v25, v29
	v_mul_f32_e32 v25, s40, v96
	v_fmac_f32_e32 v46, v26, v30
	v_mul_f32_e32 v26, s40, v95
	v_fmac_f32_e32 v46, v27, v25
	v_mul_f32_e32 v25, s40, v98
	v_fmac_f32_e32 v46, v28, v26
	v_mul_f32_e32 v26, s40, v97
	v_fmac_f32_e32 v46, v21, v25
	v_mul_f32_e32 v21, s40, v100
	v_fmac_f32_e32 v46, v22, v26
	v_mul_f32_e32 v22, s40, v99
	v_fmac_f32_e32 v46, v23, v21
	v_mul_f32_e32 v21, s40, v102
	v_fmac_f32_e32 v46, v24, v22
	v_mul_f32_e32 v22, s40, v101
	v_fmac_f32_e32 v46, v17, v21
	v_mul_f32_e32 v17, s40, v104
	v_fmac_f32_e32 v46, v18, v22
	v_mul_f32_e32 v18, s40, v103
	v_fmac_f32_e32 v46, v19, v17
	v_mul_f32_e32 v17, s40, v106
	v_fmac_f32_e32 v46, v20, v18
	v_mul_f32_e32 v18, s40, v105
	v_fmac_f32_e32 v46, v13, v17
	v_mul_f32_e32 v13, s40, v108
	v_fmac_f32_e32 v46, v14, v18
	v_mul_f32_e32 v14, s40, v107
	v_fmac_f32_e32 v46, v15, v13
	v_mul_f32_e32 v13, s40, v110
	v_fmac_f32_e32 v46, v16, v14
	v_mul_f32_e32 v14, s40, v109
	v_fmac_f32_e32 v46, v9, v13
	v_mul_f32_e32 v9, s40, v112
	v_fmac_f32_e32 v46, v10, v14
	v_mul_f32_e32 v10, s40, v111
	v_fmac_f32_e32 v46, v11, v9
	v_mul_f32_e32 v9, s40, v114
	v_fmac_f32_e32 v46, v12, v10
	v_mul_f32_e32 v10, s40, v113
	v_fmac_f32_e32 v46, v5, v9
	v_mul_f32_e32 v5, s40, v116
	v_fmac_f32_e32 v46, v6, v10
	v_mul_f32_e32 v6, s40, v115
	v_fmac_f32_e32 v46, v7, v5
	v_mul_f32_e32 v5, s40, v118
	v_fmac_f32_e32 v46, v8, v6
	v_mul_f32_e32 v6, s40, v117
	v_fmac_f32_e32 v46, v1, v5
	v_xor_b32_e32 v1, 2, v61
	v_mul_f32_e32 v5, s40, v120
	v_fmac_f32_e32 v46, v2, v6
	v_cmp_gt_i32_e64 s2, 32, v1
	v_mul_f32_e32 v2, s40, v119
	v_fmac_f32_e32 v46, v3, v5
	v_cndmask_b32_e64 v1, v61, v1, s2
	v_fmac_f32_e32 v46, v4, v2
	v_lshlrev_b32_e32 v1, 2, v1
	v_xor_b32_e32 v2, 1, v61
	ds_bpermute_b32 v1, v1, v46
	v_cmp_gt_i32_e64 s2, 32, v2
	v_cndmask_b32_e64 v2, v61, v2, s2
	v_lshlrev_b32_e32 v2, 2, v2
	s_waitcnt lgkmcnt(0)
	v_add_f32_e32 v1, v46, v1
	ds_bpermute_b32 v2, v2, v1
	s_and_saveexec_b32 s40, vcc_lo
	s_cbranch_execz .LBB169_11
; %bb.403:                              ;   in Loop: Header=BB169_13 Depth=1
	v_add_nc_u32_e32 v3, v69, v65
	s_waitcnt lgkmcnt(0)
	v_add_f32_e32 v1, v1, v2
	v_cvt_f32_i32_e32 v3, v3
	v_mul_f32_e32 v3, s36, v3
	v_cndmask_b32_e64 v2, 0, v3, s1
	v_max_f32_e32 v3, v63, v63
	v_fmac_f32_e32 v2, s35, v1
	v_add_nc_u32_e32 v1, v62, v65
	v_max_f32_e32 v3, v3, v2
	v_cmp_gt_i32_e64 s2, s33, v1
	v_cndmask_b32_e64 v1, 0, v2, s2
	v_cndmask_b32_e64 v63, v63, v3, s2
	ds_write_b32 v70, v1
	s_branch .LBB169_11
.LBB169_404:
	s_or_b32 exec_lo, exec_lo, s38
.LBB169_405:
	s_or_b32 exec_lo, exec_lo, s37
	v_xor_b32_e32 v1, 16, v61
	v_xor_b32_e32 v3, 8, v61
	v_max_f32_e32 v4, v63, v63
	v_xor_b32_e32 v5, 4, v61
	v_and_b32_e32 v25, 31, v0
	v_cmp_gt_i32_e32 vcc_lo, 32, v1
	v_cndmask_b32_e32 v1, v61, v1, vcc_lo
	v_cmp_gt_i32_e32 vcc_lo, 32, v3
	s_waitcnt lgkmcnt(0)
	v_lshlrev_b32_e32 v2, 2, v1
	v_cndmask_b32_e32 v3, v61, v3, vcc_lo
	v_cmp_gt_i32_e32 vcc_lo, 32, v5
	ds_bpermute_b32 v1, v2, v63
	v_lshlrev_b32_e32 v3, 2, v3
	v_cndmask_b32_e32 v5, v61, v5, vcc_lo
	v_cmp_eq_u32_e32 vcc_lo, 0, v25
	v_lshlrev_b32_e32 v6, 2, v5
	s_waitcnt lgkmcnt(0)
	v_max_f32_e32 v1, v1, v1
	v_max_f32_e32 v1, v4, v1
	ds_bpermute_b32 v4, v3, v1
	s_waitcnt lgkmcnt(0)
	v_max_f32_e32 v4, v4, v4
	v_max_f32_e32 v1, v1, v4
	v_lshlrev_b32_e32 v4, 2, v57
	ds_bpermute_b32 v5, v6, v1
	s_and_saveexec_b32 s1, vcc_lo
	s_cbranch_execz .LBB169_407
; %bb.406:
	s_waitcnt lgkmcnt(0)
	v_max_f32_e32 v5, v5, v5
	v_max_f32_e32 v1, v1, v1
	;; [unrolled: 1-line block ×3, first 2 shown]
	ds_write_b32 v4, v1 offset:768
.LBB169_407:
	s_or_b32 exec_lo, exec_lo, s1
	v_cmp_gt_u32_e64 s1, 4, v25
	v_mov_b32_e32 v1, 0xff7fffff
	s_waitcnt lgkmcnt(0)
	v_lshlrev_b32_e32 v5, 2, v25
	s_barrier
	buffer_gl0_inv
	s_and_saveexec_b32 s2, s1
; %bb.408:
	ds_read_b32 v1, v5 offset:768
; %bb.409:
	s_or_b32 exec_lo, exec_lo, s2
	v_xor_b32_e32 v7, 2, v61
	v_xor_b32_e32 v9, 1, v61
	v_cmp_gt_i32_e64 s2, 32, v7
	v_cndmask_b32_e64 v7, v61, v7, s2
	v_cmp_gt_i32_e64 s2, 32, v9
	v_lshlrev_b32_e32 v7, 2, v7
	v_cndmask_b32_e64 v9, v61, v9, s2
	s_lshl_b32 s2, s20, 3
	s_min_i32 s4, s2, s33
	s_waitcnt lgkmcnt(0)
	ds_bpermute_b32 v8, v7, v1
	v_max_f32_e32 v1, v1, v1
	v_lshlrev_b32_e32 v26, 2, v9
	v_cmp_gt_i32_e64 s2, s4, v0
	s_waitcnt lgkmcnt(0)
	v_max_f32_e32 v8, v8, v8
	v_max_f32_e32 v1, v1, v8
	ds_bpermute_b32 v8, v26, v1
	s_waitcnt lgkmcnt(0)
	v_max_f32_e32 v8, v8, v8
	v_max_f32_e32 v1, v1, v8
	v_mov_b32_e32 v8, 0
	ds_bpermute_b32 v9, v8, v1
	v_lshl_add_u32 v1, v0, 2, 0x320
	s_and_saveexec_b32 s5, s2
	s_cbranch_execz .LBB169_413
; %bb.410:
	v_lshl_add_u32 v10, v0, 2, 0x320
	v_mov_b32_e32 v8, 0
	v_mov_b32_e32 v11, v0
	s_mov_b32 s12, 0
	.p2align	6
.LBB169_411:                            ; =>This Inner Loop Header: Depth=1
	ds_read_b32 v12, v10
	v_add_nc_u32_e32 v11, 0x80, v11
	v_cmp_le_i32_e64 s3, s4, v11
	s_or_b32 s12, s3, s12
	s_waitcnt lgkmcnt(0)
	v_sub_f32_e32 v12, v12, v9
	v_mul_f32_e32 v12, 0x3fb8aa3b, v12
	v_exp_f32_e32 v12, v12
	ds_write_b32 v10, v12
	v_add_f32_e32 v8, v8, v12
	v_add_nc_u32_e32 v10, 0x200, v10
	s_andn2_b32 exec_lo, exec_lo, s12
	s_cbranch_execnz .LBB169_411
; %bb.412:
	s_or_b32 exec_lo, exec_lo, s12
.LBB169_413:
	s_or_b32 exec_lo, exec_lo, s5
	ds_bpermute_b32 v2, v2, v8
	s_waitcnt lgkmcnt(0)
	v_add_f32_e32 v2, v8, v2
	ds_bpermute_b32 v3, v3, v2
	s_waitcnt lgkmcnt(0)
	v_add_f32_e32 v2, v2, v3
	;; [unrolled: 3-line block ×5, first 2 shown]
	s_and_saveexec_b32 s3, vcc_lo
; %bb.414:
	ds_write_b32 v4, v2 offset:784
; %bb.415:
	s_or_b32 exec_lo, exec_lo, s3
	s_waitcnt lgkmcnt(0)
	s_barrier
	buffer_gl0_inv
	s_and_saveexec_b32 s3, s1
; %bb.416:
	ds_read_b32 v2, v5 offset:784
; %bb.417:
	s_or_b32 exec_lo, exec_lo, s3
	s_waitcnt lgkmcnt(0)
	ds_bpermute_b32 v3, v7, v2
	s_waitcnt lgkmcnt(0)
	v_add_f32_e32 v2, v2, v3
	ds_bpermute_b32 v3, v26, v2
	s_waitcnt lgkmcnt(0)
	v_add_f32_e32 v2, v2, v3
	v_mov_b32_e32 v3, 0
	ds_bpermute_b32 v2, v3, v2
	s_and_saveexec_b32 s1, s2
	s_cbranch_execz .LBB169_420
; %bb.418:
	s_waitcnt lgkmcnt(0)
	v_add_f32_e32 v2, 0x358637bd, v2
	s_mov_b32 s2, 0
	v_div_scale_f32 v3, null, v2, v2, 1.0
	v_div_scale_f32 v6, vcc_lo, 1.0, v2, 1.0
	v_rcp_f32_e32 v4, v3
	v_fma_f32 v5, -v3, v4, 1.0
	v_fmac_f32_e32 v4, v5, v4
	v_mul_f32_e32 v5, v6, v4
	v_fma_f32 v7, -v3, v5, v6
	v_fmac_f32_e32 v5, v7, v4
	v_fma_f32 v3, -v3, v5, v6
	v_div_fmas_f32 v3, v3, v4, v5
	v_div_fixup_f32 v2, v3, v2, 1.0
	v_mov_b32_e32 v3, v0
.LBB169_419:                            ; =>This Inner Loop Header: Depth=1
	ds_read_b32 v4, v1
	v_add_nc_u32_e32 v3, 0x80, v3
	v_cmp_le_i32_e32 vcc_lo, s4, v3
	s_or_b32 s2, vcc_lo, s2
	s_waitcnt lgkmcnt(0)
	v_mul_f32_e32 v4, v2, v4
	ds_write_b32 v1, v4
	v_add_nc_u32_e32 v1, 0x200, v1
	s_andn2_b32 exec_lo, exec_lo, s2
	s_cbranch_execnz .LBB169_419
.LBB169_420:
	s_or_b32 exec_lo, exec_lo, s1
	v_mov_b32_e32 v38, 0
	v_and_b32_e32 v27, 1, v0
	v_mov_b32_e32 v39, 0
	v_mov_b32_e32 v37, 0
	v_mov_b32_e32 v36, 0
	v_mov_b32_e32 v35, 0
	v_mov_b32_e32 v34, 0
	v_mov_b32_e32 v33, 0
	v_mov_b32_e32 v32, 0
	v_mov_b32_e32 v31, 0
	v_mov_b32_e32 v30, 0
	v_mov_b32_e32 v29, 0
	v_mov_b32_e32 v28, 0
	s_waitcnt lgkmcnt(0)
	s_barrier
	buffer_gl0_inv
	s_and_saveexec_b32 s1, s0
	s_cbranch_execz .LBB169_834
; %bb.421:
	s_sub_i32 s2, s34, s21
	s_ashr_i32 s0, s18, 31
	s_add_u32 s5, s30, s18
	s_addc_u32 s0, s31, s0
	s_abs_i32 s3, s22
	v_and_b32_e32 v2, 0x7c, v59
	v_cvt_f32_u32_e32 v1, s3
	s_sub_i32 s4, 0, s3
	v_lshlrev_b32_e32 v4, 4, v27
	v_and_b32_e32 v3, 0x7c, v60
	v_add_co_u32 v11, s5, s5, v2
	v_rcp_iflag_f32_e32 v1, v1
	s_lshl_b64 s[12:13], s[28:29], 2
	v_lshl_or_b32 v4, v57, 5, v4
	v_add_co_ci_u32_e64 v12, null, s0, 0, s5
	v_and_b32_e32 v40, 4, v59
	v_mov_b32_e32 v6, 0
	v_mov_b32_e32 v41, 0x80
	v_bfrev_b32_e32 v8, 1
	v_mov_b32_e32 v42, 0xffff
	v_mul_f32_e32 v1, 0x4f7ffffe, v1
	v_mov_b32_e32 v10, 0x7f800001
	v_mov_b32_e32 v43, 0xff
	;; [unrolled: 1-line block ×4, first 2 shown]
	v_cvt_u32_f32_e32 v1, v1
	v_mov_b32_e32 v28, 0
	v_mov_b32_e32 v29, 0
	;; [unrolled: 1-line block ×4, first 2 shown]
	v_mul_lo_u32 v5, s4, v1
	s_add_i32 s4, s20, -1
	s_add_u32 s0, s26, s12
	s_addc_u32 s5, s27, s13
	v_add_co_u32 v13, s0, s0, v3
	v_mov_b32_e32 v32, 0
	v_mov_b32_e32 v33, 0
	v_mul_hi_u32 v2, v1, v5
	v_mov_b32_e32 v34, 0
	v_add_co_ci_u32_e64 v14, null, s5, 0, s0
	v_add_nc_u32_e32 v46, 0x320, v4
	v_mov_b32_e32 v35, 0
	v_mov_b32_e32 v36, 0
	;; [unrolled: 1-line block ×3, first 2 shown]
	v_add_nc_u32_e32 v47, v1, v2
	v_mov_b32_e32 v39, 0
	v_mov_b32_e32 v38, 0
	;; [unrolled: 1-line block ×3, first 2 shown]
	s_mov_b32 s12, s17
	s_mov_b32 s5, 0
	s_branch .LBB169_424
.LBB169_422:                            ;   in Loop: Header=BB169_424 Depth=1
	s_or_b32 exec_lo, exec_lo, s0
	v_mul_f32_e32 v16, v1, v96
	v_mul_f32_e32 v17, v1, v94
	;; [unrolled: 1-line block ×5, first 2 shown]
	v_fmac_f32_e32 v16, v2, v95
	v_fmac_f32_e32 v17, v2, v93
	;; [unrolled: 1-line block ×4, first 2 shown]
	v_mul_f32_e32 v21, v1, v78
	v_fmac_f32_e32 v16, v3, v24
	v_fmac_f32_e32 v17, v3, v92
	;; [unrolled: 1-line block ×4, first 2 shown]
	v_mul_f32_e32 v22, v1, v74
	v_fmac_f32_e32 v16, v4, v23
	v_fmac_f32_e32 v17, v4, v91
	v_fmac_f32_e32 v18, v4, v87
	v_fmac_f32_e32 v19, v4, v83
	v_fmac_f32_e32 v20, v2, v81
	v_add_f32_e32 v29, v29, v16
	v_add_f32_e32 v30, v30, v17
	;; [unrolled: 1-line block ×4, first 2 shown]
	v_mul_f32_e32 v16, v1, v70
	v_mul_f32_e32 v17, v1, v66
	;; [unrolled: 1-line block ×5, first 2 shown]
	v_fmac_f32_e32 v21, v2, v77
	v_fmac_f32_e32 v22, v2, v73
	;; [unrolled: 1-line block ×23, first 2 shown]
	v_add_f32_e32 v33, v33, v20
	v_add_f32_e32 v34, v34, v21
	;; [unrolled: 1-line block ×8, first 2 shown]
.LBB169_423:                            ;   in Loop: Header=BB169_424 Depth=1
	s_or_b32 exec_lo, exec_lo, s13
	v_add_nc_u32_e32 v48, 4, v48
	v_add_co_u32 v13, s0, v13, 16
	v_add_co_ci_u32_e64 v14, null, 0, v14, s0
	v_cmp_le_i32_e32 vcc_lo, s20, v48
	v_add_nc_u32_e32 v58, 32, v58
	v_add_nc_u32_e32 v46, 0x80, v46
	s_or_b32 s5, vcc_lo, s5
	s_andn2_b32 exec_lo, exec_lo, s5
	s_cbranch_execz .LBB169_833
.LBB169_424:                            ; =>This Inner Loop Header: Depth=1
	v_mul_hi_u32 v1, v58, s19
	v_mul_lo_u32 v2, v1, s16
	v_add_nc_u32_e32 v3, 1, v1
	v_sub_nc_u32_e32 v2, v58, v2
	v_subrev_nc_u32_e32 v4, s16, v2
	v_cmp_le_u32_e32 vcc_lo, s16, v2
	v_cndmask_b32_e32 v1, v1, v3, vcc_lo
	v_cndmask_b32_e32 v2, v2, v4, vcc_lo
	v_add_nc_u32_e32 v3, 1, v1
	v_cmp_le_u32_e32 vcc_lo, s16, v2
	v_cndmask_b32_e32 v1, v1, v3, vcc_lo
	v_xor_b32_e32 v1, s23, v1
	v_subrev_nc_u32_e32 v1, s23, v1
	v_add_nc_u32_e32 v2, s25, v1
	v_cmp_lt_i32_e64 s0, s2, v1
	v_sub_nc_u32_e32 v3, 0, v2
	v_max_i32_e32 v3, v2, v3
	v_ashrrev_i32_e32 v2, 31, v2
	v_mul_hi_u32 v4, v3, v47
	v_mul_lo_u32 v4, v4, s3
	v_sub_nc_u32_e32 v3, v3, v4
	v_subrev_nc_u32_e32 v4, s3, v3
	v_cmp_le_u32_e32 vcc_lo, s3, v3
	v_cndmask_b32_e32 v3, v3, v4, vcc_lo
	v_subrev_nc_u32_e32 v4, s3, v3
	v_cmp_le_u32_e32 vcc_lo, s3, v3
	v_cndmask_b32_e32 v3, v3, v4, vcc_lo
	v_xor_b32_e32 v3, v3, v2
	v_sub_nc_u32_e32 v2, v3, v2
	v_cmp_eq_u32_e32 vcc_lo, 0, v2
	s_or_b32 s0, vcc_lo, s0
	s_and_saveexec_b32 s13, s0
	s_cbranch_execz .LBB169_423
; %bb.425:                              ;   in Loop: Header=BB169_424 Depth=1
	global_load_dword v1, v[13:14], off
	s_load_dword s17, s[14:15], 0x0
	v_mov_b32_e32 v19, 0
	v_mov_b32_e32 v17, 0
	;; [unrolled: 1-line block ×4, first 2 shown]
	s_waitcnt vmcnt(0)
	v_mad_i64_i32 v[15:16], null, v1, s12, v[11:12]
	ds_read_b128 v[1:4], v46
	global_load_dword v49, v[15:16], off
	s_waitcnt vmcnt(0)
	v_cmp_ne_u16_sdwa s18, v49, v6 src0_sel:BYTE_0 src1_sel:DWORD
	s_and_saveexec_b32 s0, s18
	s_cbranch_execz .LBB169_433
; %bb.426:                              ;   in Loop: Header=BB169_424 Depth=1
	v_bfrev_b32_e32 v17, 1
	v_mov_b32_e32 v18, 0
	v_cmp_ne_u16_sdwa s21, v49, v41 src0_sel:BYTE_0 src1_sel:DWORD
	s_and_saveexec_b32 s18, s21
	s_cbranch_execz .LBB169_432
; %bb.427:                              ;   in Loop: Header=BB169_424 Depth=1
	v_mov_b32_e32 v17, 0x7f800001
	v_and_b32_e32 v9, 0x7f, v49
	v_mov_b32_e32 v18, 0
	s_mov_b32 s21, exec_lo
	v_cmpx_ne_u32_e32 0x7f, v9
	s_cbranch_execz .LBB169_431
; %bb.428:                              ;   in Loop: Header=BB169_424 Depth=1
	v_and_b32_e32 v5, 7, v49
	v_lshrrev_b32_e32 v7, 3, v9
	s_mov_b32 s22, exec_lo
	v_cmpx_gt_u32_e32 8, v9
; %bb.429:                              ;   in Loop: Header=BB169_424 Depth=1
	v_ffbh_u32_e32 v7, v5
	v_min_u32_e32 v7, 32, v7
	v_subrev_nc_u32_e32 v9, 28, v7
	v_sub_nc_u32_e32 v7, 29, v7
	v_lshlrev_b64 v[17:18], v9, v[5:6]
	v_and_b32_e32 v5, 7, v17
; %bb.430:                              ;   in Loop: Header=BB169_424 Depth=1
	s_or_b32 exec_lo, exec_lo, s22
	v_lshlrev_b32_e32 v9, 24, v49
	v_lshlrev_b32_e32 v5, 20, v5
	v_lshl_add_u32 v7, v7, 23, 0x3c000000
	v_and_b32_e32 v9, 0x80000000, v9
	v_or3_b32 v5, v5, v9, v7
	v_mov_b32_e32 v18, v6
	v_mov_b32_e32 v17, v5
.LBB169_431:                            ;   in Loop: Header=BB169_424 Depth=1
	s_or_b32 exec_lo, exec_lo, s21
.LBB169_432:                            ;   in Loop: Header=BB169_424 Depth=1
	s_or_b32 exec_lo, exec_lo, s18
.LBB169_433:                            ;   in Loop: Header=BB169_424 Depth=1
	s_or_b32 exec_lo, exec_lo, s0
	v_cmp_ne_u16_sdwa s18, v49, v6 src0_sel:BYTE_1 src1_sel:DWORD
	s_and_saveexec_b32 s0, s18
	s_cbranch_execz .LBB169_441
; %bb.434:                              ;   in Loop: Header=BB169_424 Depth=1
	v_mov_b32_e32 v7, v6
	v_mov_b32_e32 v20, v8
	v_cmp_ne_u16_sdwa s21, v49, v41 src0_sel:BYTE_1 src1_sel:DWORD
	v_mov_b32_e32 v19, v7
	s_and_saveexec_b32 s18, s21
	s_cbranch_execz .LBB169_440
; %bb.435:                              ;   in Loop: Header=BB169_424 Depth=1
	v_and_b32_sdwa v5, v42, v49 dst_sel:DWORD dst_unused:UNUSED_PAD src0_sel:DWORD src1_sel:BYTE_1
	v_mov_b32_e32 v9, v6
	v_mov_b32_e32 v20, v10
	s_mov_b32 s21, exec_lo
	v_and_b32_e32 v21, 0x7f, v5
	v_mov_b32_e32 v19, v9
	v_cmpx_ne_u32_e32 0x7f, v21
	s_cbranch_execz .LBB169_439
; %bb.436:                              ;   in Loop: Header=BB169_424 Depth=1
	v_and_b32_e32 v5, 7, v5
	v_lshrrev_b32_e32 v7, 3, v21
	s_mov_b32 s22, exec_lo
	v_cmpx_gt_u32_e32 8, v21
; %bb.437:                              ;   in Loop: Header=BB169_424 Depth=1
	v_ffbh_u32_e32 v7, v5
	v_min_u32_e32 v7, 32, v7
	v_subrev_nc_u32_e32 v9, 28, v7
	v_sub_nc_u32_e32 v7, 29, v7
	v_lshlrev_b64 v[19:20], v9, v[5:6]
	v_and_b32_e32 v5, 7, v19
; %bb.438:                              ;   in Loop: Header=BB169_424 Depth=1
	s_or_b32 exec_lo, exec_lo, s22
	v_lshlrev_b32_e32 v9, 16, v49
	v_lshlrev_b32_e32 v5, 20, v5
	v_lshl_add_u32 v7, v7, 23, 0x3c000000
	v_mov_b32_e32 v19, v6
	v_and_b32_e32 v9, 0x80000000, v9
	v_or3_b32 v20, v5, v9, v7
.LBB169_439:                            ;   in Loop: Header=BB169_424 Depth=1
	s_or_b32 exec_lo, exec_lo, s21
.LBB169_440:                            ;   in Loop: Header=BB169_424 Depth=1
	s_or_b32 exec_lo, exec_lo, s18
.LBB169_441:                            ;   in Loop: Header=BB169_424 Depth=1
	s_or_b32 exec_lo, exec_lo, s0
	v_mov_b32_e32 v23, 0
	v_mov_b32_e32 v21, 0
	v_and_b32_sdwa v5, v49, v43 dst_sel:DWORD dst_unused:UNUSED_PAD src0_sel:WORD_1 src1_sel:DWORD
	v_mov_b32_e32 v24, 0
	v_mov_b32_e32 v22, 0
	s_mov_b32 s0, exec_lo
	v_cmpx_ne_u16_e32 0, v5
	s_cbranch_execz .LBB169_449
; %bb.442:                              ;   in Loop: Header=BB169_424 Depth=1
	v_bfrev_b32_e32 v21, 1
	v_mov_b32_e32 v22, 0
	s_mov_b32 s18, exec_lo
	v_cmpx_ne_u16_e32 0x80, v5
	s_cbranch_execz .LBB169_448
; %bb.443:                              ;   in Loop: Header=BB169_424 Depth=1
	v_mov_b32_e32 v21, 0x7f800001
	v_bfe_u32 v9, v49, 16, 7
	v_mov_b32_e32 v22, 0
	s_mov_b32 s21, exec_lo
	v_cmpx_ne_u32_e32 0x7f, v9
	s_cbranch_execz .LBB169_447
; %bb.444:                              ;   in Loop: Header=BB169_424 Depth=1
	v_and_b32_sdwa v5, v49, v44 dst_sel:DWORD dst_unused:UNUSED_PAD src0_sel:WORD_1 src1_sel:DWORD
	v_lshrrev_b32_e32 v7, 3, v9
	s_mov_b32 s22, exec_lo
	v_cmpx_gt_u32_e32 8, v9
; %bb.445:                              ;   in Loop: Header=BB169_424 Depth=1
	v_ffbh_u32_e32 v7, v5
	v_min_u32_e32 v7, 32, v7
	v_subrev_nc_u32_e32 v9, 28, v7
	v_sub_nc_u32_e32 v7, 29, v7
	v_lshlrev_b64 v[21:22], v9, v[5:6]
	v_and_b32_e32 v5, 7, v21
; %bb.446:                              ;   in Loop: Header=BB169_424 Depth=1
	s_or_b32 exec_lo, exec_lo, s22
	v_lshlrev_b32_sdwa v9, v45, v49 dst_sel:DWORD dst_unused:UNUSED_PAD src0_sel:DWORD src1_sel:WORD_1
	v_lshlrev_b32_e32 v5, 20, v5
	v_lshl_add_u32 v7, v7, 23, 0x3c000000
	v_and_b32_e32 v9, 0x80000000, v9
	v_or3_b32 v5, v5, v9, v7
	v_mov_b32_e32 v22, v6
	v_mov_b32_e32 v21, v5
.LBB169_447:                            ;   in Loop: Header=BB169_424 Depth=1
	s_or_b32 exec_lo, exec_lo, s21
.LBB169_448:                            ;   in Loop: Header=BB169_424 Depth=1
	s_or_b32 exec_lo, exec_lo, s18
.LBB169_449:                            ;   in Loop: Header=BB169_424 Depth=1
	s_or_b32 exec_lo, exec_lo, s0
	s_mov_b32 s0, exec_lo
	v_cmpx_lt_u32_e32 0xffffff, v49
	s_cbranch_execz .LBB169_457
; %bb.450:                              ;   in Loop: Header=BB169_424 Depth=1
	v_mov_b32_e32 v7, v6
	v_mov_b32_e32 v24, v8
	v_cmp_ne_u32_sdwa s21, v49, v41 src0_sel:BYTE_3 src1_sel:DWORD
	v_mov_b32_e32 v23, v7
	s_and_saveexec_b32 s18, s21
	s_cbranch_execz .LBB169_456
; %bb.451:                              ;   in Loop: Header=BB169_424 Depth=1
	v_mov_b32_e32 v9, v6
	v_mov_b32_e32 v24, v10
	v_bfe_u32 v50, v49, 24, 7
	s_mov_b32 s21, exec_lo
	v_mov_b32_e32 v23, v9
	v_cmpx_ne_u32_e32 0x7f, v50
	s_cbranch_execz .LBB169_455
; %bb.452:                              ;   in Loop: Header=BB169_424 Depth=1
	v_and_b32_sdwa v5, v49, v44 dst_sel:DWORD dst_unused:UNUSED_PAD src0_sel:BYTE_3 src1_sel:DWORD
	v_lshrrev_b32_e32 v7, 3, v50
	s_mov_b32 s22, exec_lo
	v_cmpx_gt_u32_e32 8, v50
; %bb.453:                              ;   in Loop: Header=BB169_424 Depth=1
	v_ffbh_u32_e32 v7, v5
	v_min_u32_e32 v7, 32, v7
	v_subrev_nc_u32_e32 v9, 28, v7
	v_sub_nc_u32_e32 v7, 29, v7
	v_lshlrev_b64 v[23:24], v9, v[5:6]
	v_and_b32_e32 v5, 7, v23
; %bb.454:                              ;   in Loop: Header=BB169_424 Depth=1
	s_or_b32 exec_lo, exec_lo, s22
	v_lshlrev_b32_sdwa v9, v45, v49 dst_sel:DWORD dst_unused:UNUSED_PAD src0_sel:DWORD src1_sel:BYTE_3
	v_lshlrev_b32_e32 v5, 20, v5
	v_lshl_add_u32 v7, v7, 23, 0x3c000000
	v_mov_b32_e32 v23, v6
	v_and_b32_e32 v9, 0x80000000, v9
	v_or3_b32 v24, v5, v9, v7
.LBB169_455:                            ;   in Loop: Header=BB169_424 Depth=1
	s_or_b32 exec_lo, exec_lo, s21
.LBB169_456:                            ;   in Loop: Header=BB169_424 Depth=1
	s_or_b32 exec_lo, exec_lo, s18
.LBB169_457:                            ;   in Loop: Header=BB169_424 Depth=1
	s_or_b32 exec_lo, exec_lo, s0
	v_add_nc_u32_e32 v53, v40, v58
	v_or_b32_e32 v5, v20, v18
	v_or_b32_e32 v7, v19, v17
	;; [unrolled: 1-line block ×4, first 2 shown]
	v_cmp_eq_u32_e32 vcc_lo, s4, v48
	s_waitcnt lgkmcnt(0)
	v_mul_f32_e32 v51, s17, v5
	v_mul_f32_e32 v52, s17, v7
	;; [unrolled: 1-line block ×4, first 2 shown]
	v_add_nc_u32_e32 v56, 1, v53
	v_add_nc_u32_e32 v55, 2, v53
	v_add_nc_u32_e32 v54, 3, v53
	s_and_saveexec_b32 s18, vcc_lo
	s_cbranch_execz .LBB169_459
; %bb.458:                              ;   in Loop: Header=BB169_424 Depth=1
	v_cmp_gt_i32_e64 s0, s33, v53
	v_cndmask_b32_e64 v52, 0, v52, s0
	v_cmp_gt_i32_e64 s0, s33, v56
	v_cndmask_b32_e64 v51, 0, v51, s0
	;; [unrolled: 2-line block ×4, first 2 shown]
.LBB169_459:                            ;   in Loop: Header=BB169_424 Depth=1
	s_or_b32 exec_lo, exec_lo, s18
	global_load_dword v59, v[15:16], off offset:128
	v_mov_b32_e32 v19, 0
	v_mov_b32_e32 v17, 0
	;; [unrolled: 1-line block ×4, first 2 shown]
	s_waitcnt vmcnt(0)
	v_cmp_ne_u16_sdwa s0, v59, v6 src0_sel:BYTE_0 src1_sel:DWORD
	s_and_saveexec_b32 s18, s0
	s_cbranch_execz .LBB169_467
; %bb.460:                              ;   in Loop: Header=BB169_424 Depth=1
	v_bfrev_b32_e32 v17, 1
	v_mov_b32_e32 v18, 0
	v_cmp_ne_u16_sdwa s0, v59, v41 src0_sel:BYTE_0 src1_sel:DWORD
	s_and_saveexec_b32 s21, s0
	s_cbranch_execz .LBB169_466
; %bb.461:                              ;   in Loop: Header=BB169_424 Depth=1
	v_mov_b32_e32 v17, 0x7f800001
	v_and_b32_e32 v9, 0x7f, v59
	v_mov_b32_e32 v18, 0
	s_mov_b32 s22, exec_lo
	v_cmpx_ne_u32_e32 0x7f, v9
	s_cbranch_execz .LBB169_465
; %bb.462:                              ;   in Loop: Header=BB169_424 Depth=1
	v_and_b32_e32 v5, 7, v59
	v_lshrrev_b32_e32 v7, 3, v9
	s_mov_b32 s26, exec_lo
	v_cmpx_gt_u32_e32 8, v9
; %bb.463:                              ;   in Loop: Header=BB169_424 Depth=1
	v_ffbh_u32_e32 v7, v5
	v_min_u32_e32 v7, 32, v7
	v_subrev_nc_u32_e32 v9, 28, v7
	v_sub_nc_u32_e32 v7, 29, v7
	v_lshlrev_b64 v[17:18], v9, v[5:6]
	v_and_b32_e32 v5, 7, v17
; %bb.464:                              ;   in Loop: Header=BB169_424 Depth=1
	s_or_b32 exec_lo, exec_lo, s26
	v_lshlrev_b32_e32 v9, 24, v59
	v_lshlrev_b32_e32 v5, 20, v5
	v_lshl_add_u32 v7, v7, 23, 0x3c000000
	v_and_b32_e32 v9, 0x80000000, v9
	v_or3_b32 v5, v5, v9, v7
	v_mov_b32_e32 v18, v6
	v_mov_b32_e32 v17, v5
.LBB169_465:                            ;   in Loop: Header=BB169_424 Depth=1
	s_or_b32 exec_lo, exec_lo, s22
.LBB169_466:                            ;   in Loop: Header=BB169_424 Depth=1
	s_or_b32 exec_lo, exec_lo, s21
.LBB169_467:                            ;   in Loop: Header=BB169_424 Depth=1
	s_or_b32 exec_lo, exec_lo, s18
	v_cmp_ne_u16_sdwa s0, v59, v6 src0_sel:BYTE_1 src1_sel:DWORD
	s_and_saveexec_b32 s18, s0
	s_cbranch_execz .LBB169_475
; %bb.468:                              ;   in Loop: Header=BB169_424 Depth=1
	v_mov_b32_e32 v7, v6
	v_mov_b32_e32 v20, v8
	v_cmp_ne_u16_sdwa s0, v59, v41 src0_sel:BYTE_1 src1_sel:DWORD
	v_mov_b32_e32 v19, v7
	s_and_saveexec_b32 s21, s0
	s_cbranch_execz .LBB169_474
; %bb.469:                              ;   in Loop: Header=BB169_424 Depth=1
	v_and_b32_sdwa v5, v42, v59 dst_sel:DWORD dst_unused:UNUSED_PAD src0_sel:DWORD src1_sel:BYTE_1
	v_mov_b32_e32 v9, v6
	v_mov_b32_e32 v20, v10
	s_mov_b32 s22, exec_lo
	v_and_b32_e32 v21, 0x7f, v5
	v_mov_b32_e32 v19, v9
	v_cmpx_ne_u32_e32 0x7f, v21
	s_cbranch_execz .LBB169_473
; %bb.470:                              ;   in Loop: Header=BB169_424 Depth=1
	v_and_b32_e32 v5, 7, v5
	v_lshrrev_b32_e32 v7, 3, v21
	s_mov_b32 s26, exec_lo
	v_cmpx_gt_u32_e32 8, v21
; %bb.471:                              ;   in Loop: Header=BB169_424 Depth=1
	v_ffbh_u32_e32 v7, v5
	v_min_u32_e32 v7, 32, v7
	v_subrev_nc_u32_e32 v9, 28, v7
	v_sub_nc_u32_e32 v7, 29, v7
	v_lshlrev_b64 v[19:20], v9, v[5:6]
	v_and_b32_e32 v5, 7, v19
; %bb.472:                              ;   in Loop: Header=BB169_424 Depth=1
	s_or_b32 exec_lo, exec_lo, s26
	v_lshlrev_b32_e32 v9, 16, v59
	v_lshlrev_b32_e32 v5, 20, v5
	v_lshl_add_u32 v7, v7, 23, 0x3c000000
	v_mov_b32_e32 v19, v6
	v_and_b32_e32 v9, 0x80000000, v9
	v_or3_b32 v20, v5, v9, v7
.LBB169_473:                            ;   in Loop: Header=BB169_424 Depth=1
	s_or_b32 exec_lo, exec_lo, s22
.LBB169_474:                            ;   in Loop: Header=BB169_424 Depth=1
	s_or_b32 exec_lo, exec_lo, s21
.LBB169_475:                            ;   in Loop: Header=BB169_424 Depth=1
	s_or_b32 exec_lo, exec_lo, s18
	v_mov_b32_e32 v23, 0
	v_mov_b32_e32 v21, 0
	v_and_b32_sdwa v5, v59, v43 dst_sel:DWORD dst_unused:UNUSED_PAD src0_sel:WORD_1 src1_sel:DWORD
	v_mov_b32_e32 v24, 0
	v_mov_b32_e32 v22, 0
	s_mov_b32 s18, exec_lo
	v_cmpx_ne_u16_e32 0, v5
	s_cbranch_execz .LBB169_483
; %bb.476:                              ;   in Loop: Header=BB169_424 Depth=1
	v_bfrev_b32_e32 v21, 1
	v_mov_b32_e32 v22, 0
	s_mov_b32 s21, exec_lo
	v_cmpx_ne_u16_e32 0x80, v5
	s_cbranch_execz .LBB169_482
; %bb.477:                              ;   in Loop: Header=BB169_424 Depth=1
	v_mov_b32_e32 v21, 0x7f800001
	v_bfe_u32 v9, v59, 16, 7
	v_mov_b32_e32 v22, 0
	s_mov_b32 s22, exec_lo
	v_cmpx_ne_u32_e32 0x7f, v9
	s_cbranch_execz .LBB169_481
; %bb.478:                              ;   in Loop: Header=BB169_424 Depth=1
	v_and_b32_sdwa v5, v59, v44 dst_sel:DWORD dst_unused:UNUSED_PAD src0_sel:WORD_1 src1_sel:DWORD
	v_lshrrev_b32_e32 v7, 3, v9
	s_mov_b32 s26, exec_lo
	v_cmpx_gt_u32_e32 8, v9
; %bb.479:                              ;   in Loop: Header=BB169_424 Depth=1
	v_ffbh_u32_e32 v7, v5
	v_min_u32_e32 v7, 32, v7
	v_subrev_nc_u32_e32 v9, 28, v7
	v_sub_nc_u32_e32 v7, 29, v7
	v_lshlrev_b64 v[21:22], v9, v[5:6]
	v_and_b32_e32 v5, 7, v21
; %bb.480:                              ;   in Loop: Header=BB169_424 Depth=1
	s_or_b32 exec_lo, exec_lo, s26
	v_lshlrev_b32_sdwa v9, v45, v59 dst_sel:DWORD dst_unused:UNUSED_PAD src0_sel:DWORD src1_sel:WORD_1
	v_lshlrev_b32_e32 v5, 20, v5
	v_lshl_add_u32 v7, v7, 23, 0x3c000000
	v_and_b32_e32 v9, 0x80000000, v9
	v_or3_b32 v5, v5, v9, v7
	v_mov_b32_e32 v22, v6
	v_mov_b32_e32 v21, v5
.LBB169_481:                            ;   in Loop: Header=BB169_424 Depth=1
	s_or_b32 exec_lo, exec_lo, s22
.LBB169_482:                            ;   in Loop: Header=BB169_424 Depth=1
	s_or_b32 exec_lo, exec_lo, s21
.LBB169_483:                            ;   in Loop: Header=BB169_424 Depth=1
	s_or_b32 exec_lo, exec_lo, s18
	s_mov_b32 s18, exec_lo
	v_cmpx_lt_u32_e32 0xffffff, v59
	s_cbranch_execz .LBB169_491
; %bb.484:                              ;   in Loop: Header=BB169_424 Depth=1
	v_mov_b32_e32 v7, v6
	v_mov_b32_e32 v24, v8
	v_cmp_ne_u32_sdwa s0, v59, v41 src0_sel:BYTE_3 src1_sel:DWORD
	v_mov_b32_e32 v23, v7
	s_and_saveexec_b32 s21, s0
	s_cbranch_execz .LBB169_490
; %bb.485:                              ;   in Loop: Header=BB169_424 Depth=1
	v_mov_b32_e32 v9, v6
	v_mov_b32_e32 v24, v10
	v_bfe_u32 v60, v59, 24, 7
	s_mov_b32 s22, exec_lo
	v_mov_b32_e32 v23, v9
	v_cmpx_ne_u32_e32 0x7f, v60
	s_cbranch_execz .LBB169_489
; %bb.486:                              ;   in Loop: Header=BB169_424 Depth=1
	v_and_b32_sdwa v5, v59, v44 dst_sel:DWORD dst_unused:UNUSED_PAD src0_sel:BYTE_3 src1_sel:DWORD
	v_lshrrev_b32_e32 v7, 3, v60
	s_mov_b32 s26, exec_lo
	v_cmpx_gt_u32_e32 8, v60
; %bb.487:                              ;   in Loop: Header=BB169_424 Depth=1
	v_ffbh_u32_e32 v7, v5
	v_min_u32_e32 v7, 32, v7
	v_subrev_nc_u32_e32 v9, 28, v7
	v_sub_nc_u32_e32 v7, 29, v7
	v_lshlrev_b64 v[23:24], v9, v[5:6]
	v_and_b32_e32 v5, 7, v23
; %bb.488:                              ;   in Loop: Header=BB169_424 Depth=1
	s_or_b32 exec_lo, exec_lo, s26
	v_lshlrev_b32_sdwa v9, v45, v59 dst_sel:DWORD dst_unused:UNUSED_PAD src0_sel:DWORD src1_sel:BYTE_3
	v_lshlrev_b32_e32 v5, 20, v5
	v_lshl_add_u32 v7, v7, 23, 0x3c000000
	v_mov_b32_e32 v23, v6
	v_and_b32_e32 v9, 0x80000000, v9
	v_or3_b32 v24, v5, v9, v7
.LBB169_489:                            ;   in Loop: Header=BB169_424 Depth=1
	s_or_b32 exec_lo, exec_lo, s22
.LBB169_490:                            ;   in Loop: Header=BB169_424 Depth=1
	s_or_b32 exec_lo, exec_lo, s21
.LBB169_491:                            ;   in Loop: Header=BB169_424 Depth=1
	s_or_b32 exec_lo, exec_lo, s18
	v_or_b32_e32 v5, v20, v18
	v_or_b32_e32 v7, v19, v17
	v_or_b32_e32 v9, v24, v22
	v_or_b32_e32 v17, v23, v21
	s_mov_b32 s18, s17
	v_mul_f32_e32 v61, s18, v5
	v_mul_f32_e32 v62, s17, v7
	;; [unrolled: 1-line block ×4, first 2 shown]
	s_and_saveexec_b32 s21, vcc_lo
	s_cbranch_execz .LBB169_493
; %bb.492:                              ;   in Loop: Header=BB169_424 Depth=1
	v_cmp_gt_i32_e64 s0, s33, v53
	v_cndmask_b32_e64 v62, 0, v62, s0
	v_cmp_gt_i32_e64 s0, s33, v56
	v_cndmask_b32_e64 v61, 0, v61, s0
	;; [unrolled: 2-line block ×4, first 2 shown]
.LBB169_493:                            ;   in Loop: Header=BB169_424 Depth=1
	s_or_b32 exec_lo, exec_lo, s21
	global_load_dword v63, v[15:16], off offset:256
	v_mov_b32_e32 v19, 0
	v_mov_b32_e32 v17, 0
	;; [unrolled: 1-line block ×4, first 2 shown]
	s_waitcnt vmcnt(0)
	v_cmp_ne_u16_sdwa s0, v63, v6 src0_sel:BYTE_0 src1_sel:DWORD
	s_and_saveexec_b32 s21, s0
	s_cbranch_execz .LBB169_501
; %bb.494:                              ;   in Loop: Header=BB169_424 Depth=1
	v_bfrev_b32_e32 v17, 1
	v_mov_b32_e32 v18, 0
	v_cmp_ne_u16_sdwa s0, v63, v41 src0_sel:BYTE_0 src1_sel:DWORD
	s_and_saveexec_b32 s22, s0
	s_cbranch_execz .LBB169_500
; %bb.495:                              ;   in Loop: Header=BB169_424 Depth=1
	v_mov_b32_e32 v17, 0x7f800001
	v_and_b32_e32 v9, 0x7f, v63
	v_mov_b32_e32 v18, 0
	s_mov_b32 s26, exec_lo
	v_cmpx_ne_u32_e32 0x7f, v9
	s_cbranch_execz .LBB169_499
; %bb.496:                              ;   in Loop: Header=BB169_424 Depth=1
	v_and_b32_e32 v5, 7, v63
	v_lshrrev_b32_e32 v7, 3, v9
	s_mov_b32 s27, exec_lo
	v_cmpx_gt_u32_e32 8, v9
; %bb.497:                              ;   in Loop: Header=BB169_424 Depth=1
	v_ffbh_u32_e32 v7, v5
	v_min_u32_e32 v7, 32, v7
	v_subrev_nc_u32_e32 v9, 28, v7
	v_sub_nc_u32_e32 v7, 29, v7
	v_lshlrev_b64 v[17:18], v9, v[5:6]
	v_and_b32_e32 v5, 7, v17
; %bb.498:                              ;   in Loop: Header=BB169_424 Depth=1
	s_or_b32 exec_lo, exec_lo, s27
	v_lshlrev_b32_e32 v9, 24, v63
	v_lshlrev_b32_e32 v5, 20, v5
	v_lshl_add_u32 v7, v7, 23, 0x3c000000
	v_and_b32_e32 v9, 0x80000000, v9
	v_or3_b32 v5, v5, v9, v7
	v_mov_b32_e32 v18, v6
	v_mov_b32_e32 v17, v5
.LBB169_499:                            ;   in Loop: Header=BB169_424 Depth=1
	s_or_b32 exec_lo, exec_lo, s26
.LBB169_500:                            ;   in Loop: Header=BB169_424 Depth=1
	s_or_b32 exec_lo, exec_lo, s22
.LBB169_501:                            ;   in Loop: Header=BB169_424 Depth=1
	s_or_b32 exec_lo, exec_lo, s21
	v_cmp_ne_u16_sdwa s0, v63, v6 src0_sel:BYTE_1 src1_sel:DWORD
	s_and_saveexec_b32 s21, s0
	s_cbranch_execz .LBB169_509
; %bb.502:                              ;   in Loop: Header=BB169_424 Depth=1
	v_mov_b32_e32 v7, v6
	v_mov_b32_e32 v20, v8
	v_cmp_ne_u16_sdwa s0, v63, v41 src0_sel:BYTE_1 src1_sel:DWORD
	v_mov_b32_e32 v19, v7
	s_and_saveexec_b32 s22, s0
	s_cbranch_execz .LBB169_508
; %bb.503:                              ;   in Loop: Header=BB169_424 Depth=1
	v_and_b32_sdwa v5, v42, v63 dst_sel:DWORD dst_unused:UNUSED_PAD src0_sel:DWORD src1_sel:BYTE_1
	v_mov_b32_e32 v9, v6
	v_mov_b32_e32 v20, v10
	s_mov_b32 s26, exec_lo
	v_and_b32_e32 v21, 0x7f, v5
	v_mov_b32_e32 v19, v9
	v_cmpx_ne_u32_e32 0x7f, v21
	s_cbranch_execz .LBB169_507
; %bb.504:                              ;   in Loop: Header=BB169_424 Depth=1
	v_and_b32_e32 v5, 7, v5
	v_lshrrev_b32_e32 v7, 3, v21
	s_mov_b32 s27, exec_lo
	v_cmpx_gt_u32_e32 8, v21
; %bb.505:                              ;   in Loop: Header=BB169_424 Depth=1
	v_ffbh_u32_e32 v7, v5
	v_min_u32_e32 v7, 32, v7
	v_subrev_nc_u32_e32 v9, 28, v7
	v_sub_nc_u32_e32 v7, 29, v7
	v_lshlrev_b64 v[19:20], v9, v[5:6]
	v_and_b32_e32 v5, 7, v19
; %bb.506:                              ;   in Loop: Header=BB169_424 Depth=1
	s_or_b32 exec_lo, exec_lo, s27
	v_lshlrev_b32_e32 v9, 16, v63
	v_lshlrev_b32_e32 v5, 20, v5
	v_lshl_add_u32 v7, v7, 23, 0x3c000000
	v_mov_b32_e32 v19, v6
	v_and_b32_e32 v9, 0x80000000, v9
	v_or3_b32 v20, v5, v9, v7
.LBB169_507:                            ;   in Loop: Header=BB169_424 Depth=1
	s_or_b32 exec_lo, exec_lo, s26
.LBB169_508:                            ;   in Loop: Header=BB169_424 Depth=1
	s_or_b32 exec_lo, exec_lo, s22
.LBB169_509:                            ;   in Loop: Header=BB169_424 Depth=1
	s_or_b32 exec_lo, exec_lo, s21
	v_mov_b32_e32 v23, 0
	v_mov_b32_e32 v21, 0
	v_and_b32_sdwa v5, v63, v43 dst_sel:DWORD dst_unused:UNUSED_PAD src0_sel:WORD_1 src1_sel:DWORD
	v_mov_b32_e32 v24, 0
	v_mov_b32_e32 v22, 0
	s_mov_b32 s21, exec_lo
	v_cmpx_ne_u16_e32 0, v5
	s_cbranch_execz .LBB169_517
; %bb.510:                              ;   in Loop: Header=BB169_424 Depth=1
	v_bfrev_b32_e32 v21, 1
	v_mov_b32_e32 v22, 0
	s_mov_b32 s22, exec_lo
	v_cmpx_ne_u16_e32 0x80, v5
	s_cbranch_execz .LBB169_516
; %bb.511:                              ;   in Loop: Header=BB169_424 Depth=1
	v_mov_b32_e32 v21, 0x7f800001
	v_bfe_u32 v9, v63, 16, 7
	v_mov_b32_e32 v22, 0
	s_mov_b32 s26, exec_lo
	v_cmpx_ne_u32_e32 0x7f, v9
	s_cbranch_execz .LBB169_515
; %bb.512:                              ;   in Loop: Header=BB169_424 Depth=1
	v_and_b32_sdwa v5, v63, v44 dst_sel:DWORD dst_unused:UNUSED_PAD src0_sel:WORD_1 src1_sel:DWORD
	v_lshrrev_b32_e32 v7, 3, v9
	s_mov_b32 s27, exec_lo
	v_cmpx_gt_u32_e32 8, v9
; %bb.513:                              ;   in Loop: Header=BB169_424 Depth=1
	v_ffbh_u32_e32 v7, v5
	v_min_u32_e32 v7, 32, v7
	v_subrev_nc_u32_e32 v9, 28, v7
	v_sub_nc_u32_e32 v7, 29, v7
	v_lshlrev_b64 v[21:22], v9, v[5:6]
	v_and_b32_e32 v5, 7, v21
; %bb.514:                              ;   in Loop: Header=BB169_424 Depth=1
	s_or_b32 exec_lo, exec_lo, s27
	v_lshlrev_b32_sdwa v9, v45, v63 dst_sel:DWORD dst_unused:UNUSED_PAD src0_sel:DWORD src1_sel:WORD_1
	v_lshlrev_b32_e32 v5, 20, v5
	v_lshl_add_u32 v7, v7, 23, 0x3c000000
	v_and_b32_e32 v9, 0x80000000, v9
	v_or3_b32 v5, v5, v9, v7
	v_mov_b32_e32 v22, v6
	v_mov_b32_e32 v21, v5
.LBB169_515:                            ;   in Loop: Header=BB169_424 Depth=1
	s_or_b32 exec_lo, exec_lo, s26
.LBB169_516:                            ;   in Loop: Header=BB169_424 Depth=1
	s_or_b32 exec_lo, exec_lo, s22
.LBB169_517:                            ;   in Loop: Header=BB169_424 Depth=1
	s_or_b32 exec_lo, exec_lo, s21
	s_mov_b32 s21, exec_lo
	v_cmpx_lt_u32_e32 0xffffff, v63
	s_cbranch_execz .LBB169_525
; %bb.518:                              ;   in Loop: Header=BB169_424 Depth=1
	v_mov_b32_e32 v7, v6
	v_mov_b32_e32 v24, v8
	v_cmp_ne_u32_sdwa s0, v63, v41 src0_sel:BYTE_3 src1_sel:DWORD
	v_mov_b32_e32 v23, v7
	s_and_saveexec_b32 s22, s0
	s_cbranch_execz .LBB169_524
; %bb.519:                              ;   in Loop: Header=BB169_424 Depth=1
	v_mov_b32_e32 v9, v6
	v_mov_b32_e32 v24, v10
	v_bfe_u32 v64, v63, 24, 7
	s_mov_b32 s26, exec_lo
	v_mov_b32_e32 v23, v9
	v_cmpx_ne_u32_e32 0x7f, v64
	s_cbranch_execz .LBB169_523
; %bb.520:                              ;   in Loop: Header=BB169_424 Depth=1
	v_and_b32_sdwa v5, v63, v44 dst_sel:DWORD dst_unused:UNUSED_PAD src0_sel:BYTE_3 src1_sel:DWORD
	v_lshrrev_b32_e32 v7, 3, v64
	s_mov_b32 s27, exec_lo
	v_cmpx_gt_u32_e32 8, v64
; %bb.521:                              ;   in Loop: Header=BB169_424 Depth=1
	v_ffbh_u32_e32 v7, v5
	v_min_u32_e32 v7, 32, v7
	v_subrev_nc_u32_e32 v9, 28, v7
	v_sub_nc_u32_e32 v7, 29, v7
	v_lshlrev_b64 v[23:24], v9, v[5:6]
	v_and_b32_e32 v5, 7, v23
; %bb.522:                              ;   in Loop: Header=BB169_424 Depth=1
	s_or_b32 exec_lo, exec_lo, s27
	v_lshlrev_b32_sdwa v9, v45, v63 dst_sel:DWORD dst_unused:UNUSED_PAD src0_sel:DWORD src1_sel:BYTE_3
	v_lshlrev_b32_e32 v5, 20, v5
	v_lshl_add_u32 v7, v7, 23, 0x3c000000
	v_mov_b32_e32 v23, v6
	v_and_b32_e32 v9, 0x80000000, v9
	v_or3_b32 v24, v5, v9, v7
.LBB169_523:                            ;   in Loop: Header=BB169_424 Depth=1
	s_or_b32 exec_lo, exec_lo, s26
.LBB169_524:                            ;   in Loop: Header=BB169_424 Depth=1
	s_or_b32 exec_lo, exec_lo, s22
.LBB169_525:                            ;   in Loop: Header=BB169_424 Depth=1
	s_or_b32 exec_lo, exec_lo, s21
	v_or_b32_e32 v5, v20, v18
	v_or_b32_e32 v7, v19, v17
	;; [unrolled: 1-line block ×4, first 2 shown]
	v_mul_f32_e32 v65, s18, v5
	v_mul_f32_e32 v66, s17, v7
	;; [unrolled: 1-line block ×4, first 2 shown]
	s_and_saveexec_b32 s21, vcc_lo
	s_cbranch_execz .LBB169_527
; %bb.526:                              ;   in Loop: Header=BB169_424 Depth=1
	v_cmp_gt_i32_e64 s0, s33, v53
	v_cndmask_b32_e64 v66, 0, v66, s0
	v_cmp_gt_i32_e64 s0, s33, v56
	v_cndmask_b32_e64 v65, 0, v65, s0
	;; [unrolled: 2-line block ×4, first 2 shown]
.LBB169_527:                            ;   in Loop: Header=BB169_424 Depth=1
	s_or_b32 exec_lo, exec_lo, s21
	global_load_dword v67, v[15:16], off offset:384
	v_mov_b32_e32 v19, 0
	v_mov_b32_e32 v17, 0
	;; [unrolled: 1-line block ×4, first 2 shown]
	s_waitcnt vmcnt(0)
	v_cmp_ne_u16_sdwa s0, v67, v6 src0_sel:BYTE_0 src1_sel:DWORD
	s_and_saveexec_b32 s21, s0
	s_cbranch_execz .LBB169_535
; %bb.528:                              ;   in Loop: Header=BB169_424 Depth=1
	v_bfrev_b32_e32 v17, 1
	v_mov_b32_e32 v18, 0
	v_cmp_ne_u16_sdwa s0, v67, v41 src0_sel:BYTE_0 src1_sel:DWORD
	s_and_saveexec_b32 s22, s0
	s_cbranch_execz .LBB169_534
; %bb.529:                              ;   in Loop: Header=BB169_424 Depth=1
	v_mov_b32_e32 v17, 0x7f800001
	v_and_b32_e32 v9, 0x7f, v67
	v_mov_b32_e32 v18, 0
	s_mov_b32 s26, exec_lo
	v_cmpx_ne_u32_e32 0x7f, v9
	s_cbranch_execz .LBB169_533
; %bb.530:                              ;   in Loop: Header=BB169_424 Depth=1
	v_and_b32_e32 v5, 7, v67
	v_lshrrev_b32_e32 v7, 3, v9
	s_mov_b32 s27, exec_lo
	v_cmpx_gt_u32_e32 8, v9
; %bb.531:                              ;   in Loop: Header=BB169_424 Depth=1
	v_ffbh_u32_e32 v7, v5
	v_min_u32_e32 v7, 32, v7
	v_subrev_nc_u32_e32 v9, 28, v7
	v_sub_nc_u32_e32 v7, 29, v7
	v_lshlrev_b64 v[17:18], v9, v[5:6]
	v_and_b32_e32 v5, 7, v17
; %bb.532:                              ;   in Loop: Header=BB169_424 Depth=1
	s_or_b32 exec_lo, exec_lo, s27
	v_lshlrev_b32_e32 v9, 24, v67
	v_lshlrev_b32_e32 v5, 20, v5
	v_lshl_add_u32 v7, v7, 23, 0x3c000000
	v_and_b32_e32 v9, 0x80000000, v9
	v_or3_b32 v5, v5, v9, v7
	v_mov_b32_e32 v18, v6
	v_mov_b32_e32 v17, v5
.LBB169_533:                            ;   in Loop: Header=BB169_424 Depth=1
	s_or_b32 exec_lo, exec_lo, s26
.LBB169_534:                            ;   in Loop: Header=BB169_424 Depth=1
	s_or_b32 exec_lo, exec_lo, s22
.LBB169_535:                            ;   in Loop: Header=BB169_424 Depth=1
	s_or_b32 exec_lo, exec_lo, s21
	v_cmp_ne_u16_sdwa s0, v67, v6 src0_sel:BYTE_1 src1_sel:DWORD
	s_and_saveexec_b32 s21, s0
	s_cbranch_execz .LBB169_543
; %bb.536:                              ;   in Loop: Header=BB169_424 Depth=1
	v_mov_b32_e32 v7, v6
	v_mov_b32_e32 v20, v8
	v_cmp_ne_u16_sdwa s0, v67, v41 src0_sel:BYTE_1 src1_sel:DWORD
	v_mov_b32_e32 v19, v7
	s_and_saveexec_b32 s22, s0
	s_cbranch_execz .LBB169_542
; %bb.537:                              ;   in Loop: Header=BB169_424 Depth=1
	v_and_b32_sdwa v5, v42, v67 dst_sel:DWORD dst_unused:UNUSED_PAD src0_sel:DWORD src1_sel:BYTE_1
	v_mov_b32_e32 v9, v6
	v_mov_b32_e32 v20, v10
	s_mov_b32 s26, exec_lo
	v_and_b32_e32 v21, 0x7f, v5
	v_mov_b32_e32 v19, v9
	v_cmpx_ne_u32_e32 0x7f, v21
	s_cbranch_execz .LBB169_541
; %bb.538:                              ;   in Loop: Header=BB169_424 Depth=1
	v_and_b32_e32 v5, 7, v5
	v_lshrrev_b32_e32 v7, 3, v21
	s_mov_b32 s27, exec_lo
	v_cmpx_gt_u32_e32 8, v21
; %bb.539:                              ;   in Loop: Header=BB169_424 Depth=1
	v_ffbh_u32_e32 v7, v5
	v_min_u32_e32 v7, 32, v7
	v_subrev_nc_u32_e32 v9, 28, v7
	v_sub_nc_u32_e32 v7, 29, v7
	v_lshlrev_b64 v[19:20], v9, v[5:6]
	v_and_b32_e32 v5, 7, v19
; %bb.540:                              ;   in Loop: Header=BB169_424 Depth=1
	s_or_b32 exec_lo, exec_lo, s27
	v_lshlrev_b32_e32 v9, 16, v67
	v_lshlrev_b32_e32 v5, 20, v5
	v_lshl_add_u32 v7, v7, 23, 0x3c000000
	v_mov_b32_e32 v19, v6
	v_and_b32_e32 v9, 0x80000000, v9
	v_or3_b32 v20, v5, v9, v7
.LBB169_541:                            ;   in Loop: Header=BB169_424 Depth=1
	s_or_b32 exec_lo, exec_lo, s26
.LBB169_542:                            ;   in Loop: Header=BB169_424 Depth=1
	s_or_b32 exec_lo, exec_lo, s22
.LBB169_543:                            ;   in Loop: Header=BB169_424 Depth=1
	s_or_b32 exec_lo, exec_lo, s21
	v_mov_b32_e32 v23, 0
	v_mov_b32_e32 v21, 0
	v_and_b32_sdwa v5, v67, v43 dst_sel:DWORD dst_unused:UNUSED_PAD src0_sel:WORD_1 src1_sel:DWORD
	v_mov_b32_e32 v24, 0
	v_mov_b32_e32 v22, 0
	s_mov_b32 s21, exec_lo
	v_cmpx_ne_u16_e32 0, v5
	s_cbranch_execz .LBB169_551
; %bb.544:                              ;   in Loop: Header=BB169_424 Depth=1
	v_bfrev_b32_e32 v21, 1
	v_mov_b32_e32 v22, 0
	s_mov_b32 s22, exec_lo
	v_cmpx_ne_u16_e32 0x80, v5
	s_cbranch_execz .LBB169_550
; %bb.545:                              ;   in Loop: Header=BB169_424 Depth=1
	v_mov_b32_e32 v21, 0x7f800001
	v_bfe_u32 v9, v67, 16, 7
	v_mov_b32_e32 v22, 0
	s_mov_b32 s26, exec_lo
	v_cmpx_ne_u32_e32 0x7f, v9
	s_cbranch_execz .LBB169_549
; %bb.546:                              ;   in Loop: Header=BB169_424 Depth=1
	v_and_b32_sdwa v5, v67, v44 dst_sel:DWORD dst_unused:UNUSED_PAD src0_sel:WORD_1 src1_sel:DWORD
	v_lshrrev_b32_e32 v7, 3, v9
	s_mov_b32 s27, exec_lo
	v_cmpx_gt_u32_e32 8, v9
; %bb.547:                              ;   in Loop: Header=BB169_424 Depth=1
	v_ffbh_u32_e32 v7, v5
	v_min_u32_e32 v7, 32, v7
	v_subrev_nc_u32_e32 v9, 28, v7
	v_sub_nc_u32_e32 v7, 29, v7
	v_lshlrev_b64 v[21:22], v9, v[5:6]
	v_and_b32_e32 v5, 7, v21
; %bb.548:                              ;   in Loop: Header=BB169_424 Depth=1
	s_or_b32 exec_lo, exec_lo, s27
	v_lshlrev_b32_sdwa v9, v45, v67 dst_sel:DWORD dst_unused:UNUSED_PAD src0_sel:DWORD src1_sel:WORD_1
	v_lshlrev_b32_e32 v5, 20, v5
	v_lshl_add_u32 v7, v7, 23, 0x3c000000
	v_and_b32_e32 v9, 0x80000000, v9
	v_or3_b32 v5, v5, v9, v7
	v_mov_b32_e32 v22, v6
	v_mov_b32_e32 v21, v5
.LBB169_549:                            ;   in Loop: Header=BB169_424 Depth=1
	s_or_b32 exec_lo, exec_lo, s26
.LBB169_550:                            ;   in Loop: Header=BB169_424 Depth=1
	s_or_b32 exec_lo, exec_lo, s22
.LBB169_551:                            ;   in Loop: Header=BB169_424 Depth=1
	s_or_b32 exec_lo, exec_lo, s21
	s_mov_b32 s21, exec_lo
	v_cmpx_lt_u32_e32 0xffffff, v67
	s_cbranch_execz .LBB169_559
; %bb.552:                              ;   in Loop: Header=BB169_424 Depth=1
	v_mov_b32_e32 v7, v6
	v_mov_b32_e32 v24, v8
	v_cmp_ne_u32_sdwa s0, v67, v41 src0_sel:BYTE_3 src1_sel:DWORD
	v_mov_b32_e32 v23, v7
	s_and_saveexec_b32 s22, s0
	s_cbranch_execz .LBB169_558
; %bb.553:                              ;   in Loop: Header=BB169_424 Depth=1
	v_mov_b32_e32 v9, v6
	v_mov_b32_e32 v24, v10
	v_bfe_u32 v68, v67, 24, 7
	s_mov_b32 s26, exec_lo
	v_mov_b32_e32 v23, v9
	v_cmpx_ne_u32_e32 0x7f, v68
	s_cbranch_execz .LBB169_557
; %bb.554:                              ;   in Loop: Header=BB169_424 Depth=1
	v_and_b32_sdwa v5, v67, v44 dst_sel:DWORD dst_unused:UNUSED_PAD src0_sel:BYTE_3 src1_sel:DWORD
	v_lshrrev_b32_e32 v7, 3, v68
	s_mov_b32 s27, exec_lo
	v_cmpx_gt_u32_e32 8, v68
; %bb.555:                              ;   in Loop: Header=BB169_424 Depth=1
	v_ffbh_u32_e32 v7, v5
	v_min_u32_e32 v7, 32, v7
	v_subrev_nc_u32_e32 v9, 28, v7
	v_sub_nc_u32_e32 v7, 29, v7
	v_lshlrev_b64 v[23:24], v9, v[5:6]
	v_and_b32_e32 v5, 7, v23
; %bb.556:                              ;   in Loop: Header=BB169_424 Depth=1
	s_or_b32 exec_lo, exec_lo, s27
	v_lshlrev_b32_sdwa v9, v45, v67 dst_sel:DWORD dst_unused:UNUSED_PAD src0_sel:DWORD src1_sel:BYTE_3
	v_lshlrev_b32_e32 v5, 20, v5
	v_lshl_add_u32 v7, v7, 23, 0x3c000000
	v_mov_b32_e32 v23, v6
	v_and_b32_e32 v9, 0x80000000, v9
	v_or3_b32 v24, v5, v9, v7
.LBB169_557:                            ;   in Loop: Header=BB169_424 Depth=1
	s_or_b32 exec_lo, exec_lo, s26
.LBB169_558:                            ;   in Loop: Header=BB169_424 Depth=1
	s_or_b32 exec_lo, exec_lo, s22
.LBB169_559:                            ;   in Loop: Header=BB169_424 Depth=1
	s_or_b32 exec_lo, exec_lo, s21
	v_or_b32_e32 v5, v20, v18
	v_or_b32_e32 v7, v19, v17
	;; [unrolled: 1-line block ×4, first 2 shown]
	v_mul_f32_e32 v69, s18, v5
	v_mul_f32_e32 v70, s17, v7
	;; [unrolled: 1-line block ×4, first 2 shown]
	s_and_saveexec_b32 s21, vcc_lo
	s_cbranch_execz .LBB169_561
; %bb.560:                              ;   in Loop: Header=BB169_424 Depth=1
	v_cmp_gt_i32_e64 s0, s33, v53
	v_cndmask_b32_e64 v70, 0, v70, s0
	v_cmp_gt_i32_e64 s0, s33, v56
	v_cndmask_b32_e64 v69, 0, v69, s0
	;; [unrolled: 2-line block ×4, first 2 shown]
.LBB169_561:                            ;   in Loop: Header=BB169_424 Depth=1
	s_or_b32 exec_lo, exec_lo, s21
	global_load_dword v71, v[15:16], off offset:512
	v_mov_b32_e32 v19, 0
	v_mov_b32_e32 v17, 0
	;; [unrolled: 1-line block ×4, first 2 shown]
	s_waitcnt vmcnt(0)
	v_cmp_ne_u16_sdwa s0, v71, v6 src0_sel:BYTE_0 src1_sel:DWORD
	s_and_saveexec_b32 s21, s0
	s_cbranch_execz .LBB169_569
; %bb.562:                              ;   in Loop: Header=BB169_424 Depth=1
	v_bfrev_b32_e32 v17, 1
	v_mov_b32_e32 v18, 0
	v_cmp_ne_u16_sdwa s0, v71, v41 src0_sel:BYTE_0 src1_sel:DWORD
	s_and_saveexec_b32 s22, s0
	s_cbranch_execz .LBB169_568
; %bb.563:                              ;   in Loop: Header=BB169_424 Depth=1
	v_mov_b32_e32 v17, 0x7f800001
	v_and_b32_e32 v9, 0x7f, v71
	v_mov_b32_e32 v18, 0
	s_mov_b32 s26, exec_lo
	v_cmpx_ne_u32_e32 0x7f, v9
	s_cbranch_execz .LBB169_567
; %bb.564:                              ;   in Loop: Header=BB169_424 Depth=1
	v_and_b32_e32 v5, 7, v71
	v_lshrrev_b32_e32 v7, 3, v9
	s_mov_b32 s27, exec_lo
	v_cmpx_gt_u32_e32 8, v9
; %bb.565:                              ;   in Loop: Header=BB169_424 Depth=1
	v_ffbh_u32_e32 v7, v5
	v_min_u32_e32 v7, 32, v7
	v_subrev_nc_u32_e32 v9, 28, v7
	v_sub_nc_u32_e32 v7, 29, v7
	v_lshlrev_b64 v[17:18], v9, v[5:6]
	v_and_b32_e32 v5, 7, v17
; %bb.566:                              ;   in Loop: Header=BB169_424 Depth=1
	s_or_b32 exec_lo, exec_lo, s27
	v_lshlrev_b32_e32 v9, 24, v71
	v_lshlrev_b32_e32 v5, 20, v5
	v_lshl_add_u32 v7, v7, 23, 0x3c000000
	v_and_b32_e32 v9, 0x80000000, v9
	v_or3_b32 v5, v5, v9, v7
	v_mov_b32_e32 v18, v6
	v_mov_b32_e32 v17, v5
.LBB169_567:                            ;   in Loop: Header=BB169_424 Depth=1
	s_or_b32 exec_lo, exec_lo, s26
.LBB169_568:                            ;   in Loop: Header=BB169_424 Depth=1
	s_or_b32 exec_lo, exec_lo, s22
.LBB169_569:                            ;   in Loop: Header=BB169_424 Depth=1
	s_or_b32 exec_lo, exec_lo, s21
	v_cmp_ne_u16_sdwa s0, v71, v6 src0_sel:BYTE_1 src1_sel:DWORD
	s_and_saveexec_b32 s21, s0
	s_cbranch_execz .LBB169_577
; %bb.570:                              ;   in Loop: Header=BB169_424 Depth=1
	v_mov_b32_e32 v7, v6
	v_mov_b32_e32 v20, v8
	v_cmp_ne_u16_sdwa s0, v71, v41 src0_sel:BYTE_1 src1_sel:DWORD
	v_mov_b32_e32 v19, v7
	s_and_saveexec_b32 s22, s0
	s_cbranch_execz .LBB169_576
; %bb.571:                              ;   in Loop: Header=BB169_424 Depth=1
	v_and_b32_sdwa v5, v42, v71 dst_sel:DWORD dst_unused:UNUSED_PAD src0_sel:DWORD src1_sel:BYTE_1
	v_mov_b32_e32 v9, v6
	v_mov_b32_e32 v20, v10
	s_mov_b32 s26, exec_lo
	v_and_b32_e32 v21, 0x7f, v5
	v_mov_b32_e32 v19, v9
	v_cmpx_ne_u32_e32 0x7f, v21
	s_cbranch_execz .LBB169_575
; %bb.572:                              ;   in Loop: Header=BB169_424 Depth=1
	v_and_b32_e32 v5, 7, v5
	v_lshrrev_b32_e32 v7, 3, v21
	s_mov_b32 s27, exec_lo
	v_cmpx_gt_u32_e32 8, v21
; %bb.573:                              ;   in Loop: Header=BB169_424 Depth=1
	v_ffbh_u32_e32 v7, v5
	v_min_u32_e32 v7, 32, v7
	v_subrev_nc_u32_e32 v9, 28, v7
	v_sub_nc_u32_e32 v7, 29, v7
	v_lshlrev_b64 v[19:20], v9, v[5:6]
	v_and_b32_e32 v5, 7, v19
; %bb.574:                              ;   in Loop: Header=BB169_424 Depth=1
	s_or_b32 exec_lo, exec_lo, s27
	v_lshlrev_b32_e32 v9, 16, v71
	v_lshlrev_b32_e32 v5, 20, v5
	v_lshl_add_u32 v7, v7, 23, 0x3c000000
	v_mov_b32_e32 v19, v6
	v_and_b32_e32 v9, 0x80000000, v9
	v_or3_b32 v20, v5, v9, v7
.LBB169_575:                            ;   in Loop: Header=BB169_424 Depth=1
	s_or_b32 exec_lo, exec_lo, s26
.LBB169_576:                            ;   in Loop: Header=BB169_424 Depth=1
	s_or_b32 exec_lo, exec_lo, s22
.LBB169_577:                            ;   in Loop: Header=BB169_424 Depth=1
	s_or_b32 exec_lo, exec_lo, s21
	v_mov_b32_e32 v23, 0
	v_mov_b32_e32 v21, 0
	v_and_b32_sdwa v5, v71, v43 dst_sel:DWORD dst_unused:UNUSED_PAD src0_sel:WORD_1 src1_sel:DWORD
	v_mov_b32_e32 v24, 0
	v_mov_b32_e32 v22, 0
	s_mov_b32 s21, exec_lo
	v_cmpx_ne_u16_e32 0, v5
	s_cbranch_execz .LBB169_585
; %bb.578:                              ;   in Loop: Header=BB169_424 Depth=1
	v_bfrev_b32_e32 v21, 1
	v_mov_b32_e32 v22, 0
	s_mov_b32 s22, exec_lo
	v_cmpx_ne_u16_e32 0x80, v5
	s_cbranch_execz .LBB169_584
; %bb.579:                              ;   in Loop: Header=BB169_424 Depth=1
	v_mov_b32_e32 v21, 0x7f800001
	v_bfe_u32 v9, v71, 16, 7
	v_mov_b32_e32 v22, 0
	s_mov_b32 s26, exec_lo
	v_cmpx_ne_u32_e32 0x7f, v9
	s_cbranch_execz .LBB169_583
; %bb.580:                              ;   in Loop: Header=BB169_424 Depth=1
	v_and_b32_sdwa v5, v71, v44 dst_sel:DWORD dst_unused:UNUSED_PAD src0_sel:WORD_1 src1_sel:DWORD
	v_lshrrev_b32_e32 v7, 3, v9
	s_mov_b32 s27, exec_lo
	v_cmpx_gt_u32_e32 8, v9
; %bb.581:                              ;   in Loop: Header=BB169_424 Depth=1
	v_ffbh_u32_e32 v7, v5
	v_min_u32_e32 v7, 32, v7
	v_subrev_nc_u32_e32 v9, 28, v7
	v_sub_nc_u32_e32 v7, 29, v7
	v_lshlrev_b64 v[21:22], v9, v[5:6]
	v_and_b32_e32 v5, 7, v21
; %bb.582:                              ;   in Loop: Header=BB169_424 Depth=1
	s_or_b32 exec_lo, exec_lo, s27
	v_lshlrev_b32_sdwa v9, v45, v71 dst_sel:DWORD dst_unused:UNUSED_PAD src0_sel:DWORD src1_sel:WORD_1
	v_lshlrev_b32_e32 v5, 20, v5
	v_lshl_add_u32 v7, v7, 23, 0x3c000000
	v_and_b32_e32 v9, 0x80000000, v9
	v_or3_b32 v5, v5, v9, v7
	v_mov_b32_e32 v22, v6
	v_mov_b32_e32 v21, v5
.LBB169_583:                            ;   in Loop: Header=BB169_424 Depth=1
	s_or_b32 exec_lo, exec_lo, s26
.LBB169_584:                            ;   in Loop: Header=BB169_424 Depth=1
	s_or_b32 exec_lo, exec_lo, s22
.LBB169_585:                            ;   in Loop: Header=BB169_424 Depth=1
	s_or_b32 exec_lo, exec_lo, s21
	s_mov_b32 s21, exec_lo
	v_cmpx_lt_u32_e32 0xffffff, v71
	s_cbranch_execz .LBB169_593
; %bb.586:                              ;   in Loop: Header=BB169_424 Depth=1
	v_mov_b32_e32 v7, v6
	v_mov_b32_e32 v24, v8
	v_cmp_ne_u32_sdwa s0, v71, v41 src0_sel:BYTE_3 src1_sel:DWORD
	v_mov_b32_e32 v23, v7
	s_and_saveexec_b32 s22, s0
	s_cbranch_execz .LBB169_592
; %bb.587:                              ;   in Loop: Header=BB169_424 Depth=1
	v_mov_b32_e32 v9, v6
	v_mov_b32_e32 v24, v10
	v_bfe_u32 v72, v71, 24, 7
	s_mov_b32 s26, exec_lo
	v_mov_b32_e32 v23, v9
	v_cmpx_ne_u32_e32 0x7f, v72
	s_cbranch_execz .LBB169_591
; %bb.588:                              ;   in Loop: Header=BB169_424 Depth=1
	v_and_b32_sdwa v5, v71, v44 dst_sel:DWORD dst_unused:UNUSED_PAD src0_sel:BYTE_3 src1_sel:DWORD
	v_lshrrev_b32_e32 v7, 3, v72
	s_mov_b32 s27, exec_lo
	v_cmpx_gt_u32_e32 8, v72
; %bb.589:                              ;   in Loop: Header=BB169_424 Depth=1
	v_ffbh_u32_e32 v7, v5
	v_min_u32_e32 v7, 32, v7
	v_subrev_nc_u32_e32 v9, 28, v7
	v_sub_nc_u32_e32 v7, 29, v7
	v_lshlrev_b64 v[23:24], v9, v[5:6]
	v_and_b32_e32 v5, 7, v23
; %bb.590:                              ;   in Loop: Header=BB169_424 Depth=1
	s_or_b32 exec_lo, exec_lo, s27
	v_lshlrev_b32_sdwa v9, v45, v71 dst_sel:DWORD dst_unused:UNUSED_PAD src0_sel:DWORD src1_sel:BYTE_3
	v_lshlrev_b32_e32 v5, 20, v5
	v_lshl_add_u32 v7, v7, 23, 0x3c000000
	v_mov_b32_e32 v23, v6
	v_and_b32_e32 v9, 0x80000000, v9
	v_or3_b32 v24, v5, v9, v7
.LBB169_591:                            ;   in Loop: Header=BB169_424 Depth=1
	s_or_b32 exec_lo, exec_lo, s26
.LBB169_592:                            ;   in Loop: Header=BB169_424 Depth=1
	s_or_b32 exec_lo, exec_lo, s22
.LBB169_593:                            ;   in Loop: Header=BB169_424 Depth=1
	s_or_b32 exec_lo, exec_lo, s21
	v_or_b32_e32 v5, v20, v18
	v_or_b32_e32 v7, v19, v17
	;; [unrolled: 1-line block ×4, first 2 shown]
	v_mul_f32_e32 v73, s18, v5
	v_mul_f32_e32 v74, s17, v7
	;; [unrolled: 1-line block ×4, first 2 shown]
	s_and_saveexec_b32 s21, vcc_lo
	s_cbranch_execz .LBB169_595
; %bb.594:                              ;   in Loop: Header=BB169_424 Depth=1
	v_cmp_gt_i32_e64 s0, s33, v53
	v_cndmask_b32_e64 v74, 0, v74, s0
	v_cmp_gt_i32_e64 s0, s33, v56
	v_cndmask_b32_e64 v73, 0, v73, s0
	;; [unrolled: 2-line block ×4, first 2 shown]
.LBB169_595:                            ;   in Loop: Header=BB169_424 Depth=1
	s_or_b32 exec_lo, exec_lo, s21
	global_load_dword v75, v[15:16], off offset:640
	v_mov_b32_e32 v19, 0
	v_mov_b32_e32 v17, 0
	v_mov_b32_e32 v20, 0
	v_mov_b32_e32 v18, 0
	s_waitcnt vmcnt(0)
	v_cmp_ne_u16_sdwa s0, v75, v6 src0_sel:BYTE_0 src1_sel:DWORD
	s_and_saveexec_b32 s21, s0
	s_cbranch_execz .LBB169_603
; %bb.596:                              ;   in Loop: Header=BB169_424 Depth=1
	v_bfrev_b32_e32 v17, 1
	v_mov_b32_e32 v18, 0
	v_cmp_ne_u16_sdwa s0, v75, v41 src0_sel:BYTE_0 src1_sel:DWORD
	s_and_saveexec_b32 s22, s0
	s_cbranch_execz .LBB169_602
; %bb.597:                              ;   in Loop: Header=BB169_424 Depth=1
	v_mov_b32_e32 v17, 0x7f800001
	v_and_b32_e32 v9, 0x7f, v75
	v_mov_b32_e32 v18, 0
	s_mov_b32 s26, exec_lo
	v_cmpx_ne_u32_e32 0x7f, v9
	s_cbranch_execz .LBB169_601
; %bb.598:                              ;   in Loop: Header=BB169_424 Depth=1
	v_and_b32_e32 v5, 7, v75
	v_lshrrev_b32_e32 v7, 3, v9
	s_mov_b32 s27, exec_lo
	v_cmpx_gt_u32_e32 8, v9
; %bb.599:                              ;   in Loop: Header=BB169_424 Depth=1
	v_ffbh_u32_e32 v7, v5
	v_min_u32_e32 v7, 32, v7
	v_subrev_nc_u32_e32 v9, 28, v7
	v_sub_nc_u32_e32 v7, 29, v7
	v_lshlrev_b64 v[17:18], v9, v[5:6]
	v_and_b32_e32 v5, 7, v17
; %bb.600:                              ;   in Loop: Header=BB169_424 Depth=1
	s_or_b32 exec_lo, exec_lo, s27
	v_lshlrev_b32_e32 v9, 24, v75
	v_lshlrev_b32_e32 v5, 20, v5
	v_lshl_add_u32 v7, v7, 23, 0x3c000000
	v_and_b32_e32 v9, 0x80000000, v9
	v_or3_b32 v5, v5, v9, v7
	v_mov_b32_e32 v18, v6
	v_mov_b32_e32 v17, v5
.LBB169_601:                            ;   in Loop: Header=BB169_424 Depth=1
	s_or_b32 exec_lo, exec_lo, s26
.LBB169_602:                            ;   in Loop: Header=BB169_424 Depth=1
	s_or_b32 exec_lo, exec_lo, s22
.LBB169_603:                            ;   in Loop: Header=BB169_424 Depth=1
	s_or_b32 exec_lo, exec_lo, s21
	v_cmp_ne_u16_sdwa s0, v75, v6 src0_sel:BYTE_1 src1_sel:DWORD
	s_and_saveexec_b32 s21, s0
	s_cbranch_execz .LBB169_611
; %bb.604:                              ;   in Loop: Header=BB169_424 Depth=1
	v_mov_b32_e32 v7, v6
	v_mov_b32_e32 v20, v8
	v_cmp_ne_u16_sdwa s0, v75, v41 src0_sel:BYTE_1 src1_sel:DWORD
	v_mov_b32_e32 v19, v7
	s_and_saveexec_b32 s22, s0
	s_cbranch_execz .LBB169_610
; %bb.605:                              ;   in Loop: Header=BB169_424 Depth=1
	v_and_b32_sdwa v5, v42, v75 dst_sel:DWORD dst_unused:UNUSED_PAD src0_sel:DWORD src1_sel:BYTE_1
	v_mov_b32_e32 v9, v6
	v_mov_b32_e32 v20, v10
	s_mov_b32 s26, exec_lo
	v_and_b32_e32 v21, 0x7f, v5
	v_mov_b32_e32 v19, v9
	v_cmpx_ne_u32_e32 0x7f, v21
	s_cbranch_execz .LBB169_609
; %bb.606:                              ;   in Loop: Header=BB169_424 Depth=1
	v_and_b32_e32 v5, 7, v5
	v_lshrrev_b32_e32 v7, 3, v21
	s_mov_b32 s27, exec_lo
	v_cmpx_gt_u32_e32 8, v21
; %bb.607:                              ;   in Loop: Header=BB169_424 Depth=1
	v_ffbh_u32_e32 v7, v5
	v_min_u32_e32 v7, 32, v7
	v_subrev_nc_u32_e32 v9, 28, v7
	v_sub_nc_u32_e32 v7, 29, v7
	v_lshlrev_b64 v[19:20], v9, v[5:6]
	v_and_b32_e32 v5, 7, v19
; %bb.608:                              ;   in Loop: Header=BB169_424 Depth=1
	s_or_b32 exec_lo, exec_lo, s27
	v_lshlrev_b32_e32 v9, 16, v75
	v_lshlrev_b32_e32 v5, 20, v5
	v_lshl_add_u32 v7, v7, 23, 0x3c000000
	v_mov_b32_e32 v19, v6
	v_and_b32_e32 v9, 0x80000000, v9
	v_or3_b32 v20, v5, v9, v7
.LBB169_609:                            ;   in Loop: Header=BB169_424 Depth=1
	s_or_b32 exec_lo, exec_lo, s26
.LBB169_610:                            ;   in Loop: Header=BB169_424 Depth=1
	s_or_b32 exec_lo, exec_lo, s22
.LBB169_611:                            ;   in Loop: Header=BB169_424 Depth=1
	s_or_b32 exec_lo, exec_lo, s21
	v_mov_b32_e32 v23, 0
	v_mov_b32_e32 v21, 0
	v_and_b32_sdwa v5, v75, v43 dst_sel:DWORD dst_unused:UNUSED_PAD src0_sel:WORD_1 src1_sel:DWORD
	v_mov_b32_e32 v24, 0
	v_mov_b32_e32 v22, 0
	s_mov_b32 s21, exec_lo
	v_cmpx_ne_u16_e32 0, v5
	s_cbranch_execz .LBB169_619
; %bb.612:                              ;   in Loop: Header=BB169_424 Depth=1
	v_bfrev_b32_e32 v21, 1
	v_mov_b32_e32 v22, 0
	s_mov_b32 s22, exec_lo
	v_cmpx_ne_u16_e32 0x80, v5
	s_cbranch_execz .LBB169_618
; %bb.613:                              ;   in Loop: Header=BB169_424 Depth=1
	v_mov_b32_e32 v21, 0x7f800001
	v_bfe_u32 v9, v75, 16, 7
	v_mov_b32_e32 v22, 0
	s_mov_b32 s26, exec_lo
	v_cmpx_ne_u32_e32 0x7f, v9
	s_cbranch_execz .LBB169_617
; %bb.614:                              ;   in Loop: Header=BB169_424 Depth=1
	v_and_b32_sdwa v5, v75, v44 dst_sel:DWORD dst_unused:UNUSED_PAD src0_sel:WORD_1 src1_sel:DWORD
	v_lshrrev_b32_e32 v7, 3, v9
	s_mov_b32 s27, exec_lo
	v_cmpx_gt_u32_e32 8, v9
; %bb.615:                              ;   in Loop: Header=BB169_424 Depth=1
	v_ffbh_u32_e32 v7, v5
	v_min_u32_e32 v7, 32, v7
	v_subrev_nc_u32_e32 v9, 28, v7
	v_sub_nc_u32_e32 v7, 29, v7
	v_lshlrev_b64 v[21:22], v9, v[5:6]
	v_and_b32_e32 v5, 7, v21
; %bb.616:                              ;   in Loop: Header=BB169_424 Depth=1
	s_or_b32 exec_lo, exec_lo, s27
	v_lshlrev_b32_sdwa v9, v45, v75 dst_sel:DWORD dst_unused:UNUSED_PAD src0_sel:DWORD src1_sel:WORD_1
	v_lshlrev_b32_e32 v5, 20, v5
	v_lshl_add_u32 v7, v7, 23, 0x3c000000
	v_and_b32_e32 v9, 0x80000000, v9
	v_or3_b32 v5, v5, v9, v7
	v_mov_b32_e32 v22, v6
	v_mov_b32_e32 v21, v5
.LBB169_617:                            ;   in Loop: Header=BB169_424 Depth=1
	s_or_b32 exec_lo, exec_lo, s26
.LBB169_618:                            ;   in Loop: Header=BB169_424 Depth=1
	s_or_b32 exec_lo, exec_lo, s22
.LBB169_619:                            ;   in Loop: Header=BB169_424 Depth=1
	s_or_b32 exec_lo, exec_lo, s21
	s_mov_b32 s21, exec_lo
	v_cmpx_lt_u32_e32 0xffffff, v75
	s_cbranch_execz .LBB169_627
; %bb.620:                              ;   in Loop: Header=BB169_424 Depth=1
	v_mov_b32_e32 v7, v6
	v_mov_b32_e32 v24, v8
	v_cmp_ne_u32_sdwa s0, v75, v41 src0_sel:BYTE_3 src1_sel:DWORD
	v_mov_b32_e32 v23, v7
	s_and_saveexec_b32 s22, s0
	s_cbranch_execz .LBB169_626
; %bb.621:                              ;   in Loop: Header=BB169_424 Depth=1
	v_mov_b32_e32 v9, v6
	v_mov_b32_e32 v24, v10
	v_bfe_u32 v76, v75, 24, 7
	s_mov_b32 s26, exec_lo
	v_mov_b32_e32 v23, v9
	v_cmpx_ne_u32_e32 0x7f, v76
	s_cbranch_execz .LBB169_625
; %bb.622:                              ;   in Loop: Header=BB169_424 Depth=1
	v_and_b32_sdwa v5, v75, v44 dst_sel:DWORD dst_unused:UNUSED_PAD src0_sel:BYTE_3 src1_sel:DWORD
	v_lshrrev_b32_e32 v7, 3, v76
	s_mov_b32 s27, exec_lo
	v_cmpx_gt_u32_e32 8, v76
; %bb.623:                              ;   in Loop: Header=BB169_424 Depth=1
	v_ffbh_u32_e32 v7, v5
	v_min_u32_e32 v7, 32, v7
	v_subrev_nc_u32_e32 v9, 28, v7
	v_sub_nc_u32_e32 v7, 29, v7
	v_lshlrev_b64 v[23:24], v9, v[5:6]
	v_and_b32_e32 v5, 7, v23
; %bb.624:                              ;   in Loop: Header=BB169_424 Depth=1
	s_or_b32 exec_lo, exec_lo, s27
	v_lshlrev_b32_sdwa v9, v45, v75 dst_sel:DWORD dst_unused:UNUSED_PAD src0_sel:DWORD src1_sel:BYTE_3
	v_lshlrev_b32_e32 v5, 20, v5
	v_lshl_add_u32 v7, v7, 23, 0x3c000000
	v_mov_b32_e32 v23, v6
	v_and_b32_e32 v9, 0x80000000, v9
	v_or3_b32 v24, v5, v9, v7
.LBB169_625:                            ;   in Loop: Header=BB169_424 Depth=1
	s_or_b32 exec_lo, exec_lo, s26
.LBB169_626:                            ;   in Loop: Header=BB169_424 Depth=1
	s_or_b32 exec_lo, exec_lo, s22
.LBB169_627:                            ;   in Loop: Header=BB169_424 Depth=1
	s_or_b32 exec_lo, exec_lo, s21
	v_or_b32_e32 v5, v20, v18
	v_or_b32_e32 v7, v19, v17
	;; [unrolled: 1-line block ×4, first 2 shown]
	v_mul_f32_e32 v77, s18, v5
	v_mul_f32_e32 v78, s17, v7
	;; [unrolled: 1-line block ×4, first 2 shown]
	s_and_saveexec_b32 s21, vcc_lo
	s_cbranch_execz .LBB169_629
; %bb.628:                              ;   in Loop: Header=BB169_424 Depth=1
	v_cmp_gt_i32_e64 s0, s33, v53
	v_cndmask_b32_e64 v78, 0, v78, s0
	v_cmp_gt_i32_e64 s0, s33, v56
	v_cndmask_b32_e64 v77, 0, v77, s0
	;; [unrolled: 2-line block ×4, first 2 shown]
.LBB169_629:                            ;   in Loop: Header=BB169_424 Depth=1
	s_or_b32 exec_lo, exec_lo, s21
	global_load_dword v79, v[15:16], off offset:768
	v_mov_b32_e32 v19, 0
	v_mov_b32_e32 v17, 0
	;; [unrolled: 1-line block ×4, first 2 shown]
	s_waitcnt vmcnt(0)
	v_cmp_ne_u16_sdwa s0, v79, v6 src0_sel:BYTE_0 src1_sel:DWORD
	s_and_saveexec_b32 s21, s0
	s_cbranch_execz .LBB169_637
; %bb.630:                              ;   in Loop: Header=BB169_424 Depth=1
	v_bfrev_b32_e32 v17, 1
	v_mov_b32_e32 v18, 0
	v_cmp_ne_u16_sdwa s0, v79, v41 src0_sel:BYTE_0 src1_sel:DWORD
	s_and_saveexec_b32 s22, s0
	s_cbranch_execz .LBB169_636
; %bb.631:                              ;   in Loop: Header=BB169_424 Depth=1
	v_mov_b32_e32 v17, 0x7f800001
	v_and_b32_e32 v9, 0x7f, v79
	v_mov_b32_e32 v18, 0
	s_mov_b32 s26, exec_lo
	v_cmpx_ne_u32_e32 0x7f, v9
	s_cbranch_execz .LBB169_635
; %bb.632:                              ;   in Loop: Header=BB169_424 Depth=1
	v_and_b32_e32 v5, 7, v79
	v_lshrrev_b32_e32 v7, 3, v9
	s_mov_b32 s27, exec_lo
	v_cmpx_gt_u32_e32 8, v9
; %bb.633:                              ;   in Loop: Header=BB169_424 Depth=1
	v_ffbh_u32_e32 v7, v5
	v_min_u32_e32 v7, 32, v7
	v_subrev_nc_u32_e32 v9, 28, v7
	v_sub_nc_u32_e32 v7, 29, v7
	v_lshlrev_b64 v[17:18], v9, v[5:6]
	v_and_b32_e32 v5, 7, v17
; %bb.634:                              ;   in Loop: Header=BB169_424 Depth=1
	s_or_b32 exec_lo, exec_lo, s27
	v_lshlrev_b32_e32 v9, 24, v79
	v_lshlrev_b32_e32 v5, 20, v5
	v_lshl_add_u32 v7, v7, 23, 0x3c000000
	v_and_b32_e32 v9, 0x80000000, v9
	v_or3_b32 v5, v5, v9, v7
	v_mov_b32_e32 v18, v6
	v_mov_b32_e32 v17, v5
.LBB169_635:                            ;   in Loop: Header=BB169_424 Depth=1
	s_or_b32 exec_lo, exec_lo, s26
.LBB169_636:                            ;   in Loop: Header=BB169_424 Depth=1
	s_or_b32 exec_lo, exec_lo, s22
.LBB169_637:                            ;   in Loop: Header=BB169_424 Depth=1
	s_or_b32 exec_lo, exec_lo, s21
	v_cmp_ne_u16_sdwa s0, v79, v6 src0_sel:BYTE_1 src1_sel:DWORD
	s_and_saveexec_b32 s21, s0
	s_cbranch_execz .LBB169_645
; %bb.638:                              ;   in Loop: Header=BB169_424 Depth=1
	v_mov_b32_e32 v7, v6
	v_mov_b32_e32 v20, v8
	v_cmp_ne_u16_sdwa s0, v79, v41 src0_sel:BYTE_1 src1_sel:DWORD
	v_mov_b32_e32 v19, v7
	s_and_saveexec_b32 s22, s0
	s_cbranch_execz .LBB169_644
; %bb.639:                              ;   in Loop: Header=BB169_424 Depth=1
	v_and_b32_sdwa v5, v42, v79 dst_sel:DWORD dst_unused:UNUSED_PAD src0_sel:DWORD src1_sel:BYTE_1
	v_mov_b32_e32 v9, v6
	v_mov_b32_e32 v20, v10
	s_mov_b32 s26, exec_lo
	v_and_b32_e32 v21, 0x7f, v5
	v_mov_b32_e32 v19, v9
	v_cmpx_ne_u32_e32 0x7f, v21
	s_cbranch_execz .LBB169_643
; %bb.640:                              ;   in Loop: Header=BB169_424 Depth=1
	v_and_b32_e32 v5, 7, v5
	v_lshrrev_b32_e32 v7, 3, v21
	s_mov_b32 s27, exec_lo
	v_cmpx_gt_u32_e32 8, v21
; %bb.641:                              ;   in Loop: Header=BB169_424 Depth=1
	v_ffbh_u32_e32 v7, v5
	v_min_u32_e32 v7, 32, v7
	v_subrev_nc_u32_e32 v9, 28, v7
	v_sub_nc_u32_e32 v7, 29, v7
	v_lshlrev_b64 v[19:20], v9, v[5:6]
	v_and_b32_e32 v5, 7, v19
; %bb.642:                              ;   in Loop: Header=BB169_424 Depth=1
	s_or_b32 exec_lo, exec_lo, s27
	v_lshlrev_b32_e32 v9, 16, v79
	v_lshlrev_b32_e32 v5, 20, v5
	v_lshl_add_u32 v7, v7, 23, 0x3c000000
	v_mov_b32_e32 v19, v6
	v_and_b32_e32 v9, 0x80000000, v9
	v_or3_b32 v20, v5, v9, v7
.LBB169_643:                            ;   in Loop: Header=BB169_424 Depth=1
	s_or_b32 exec_lo, exec_lo, s26
.LBB169_644:                            ;   in Loop: Header=BB169_424 Depth=1
	s_or_b32 exec_lo, exec_lo, s22
.LBB169_645:                            ;   in Loop: Header=BB169_424 Depth=1
	s_or_b32 exec_lo, exec_lo, s21
	v_mov_b32_e32 v23, 0
	v_mov_b32_e32 v21, 0
	v_and_b32_sdwa v5, v79, v43 dst_sel:DWORD dst_unused:UNUSED_PAD src0_sel:WORD_1 src1_sel:DWORD
	v_mov_b32_e32 v24, 0
	v_mov_b32_e32 v22, 0
	s_mov_b32 s21, exec_lo
	v_cmpx_ne_u16_e32 0, v5
	s_cbranch_execz .LBB169_653
; %bb.646:                              ;   in Loop: Header=BB169_424 Depth=1
	v_bfrev_b32_e32 v21, 1
	v_mov_b32_e32 v22, 0
	s_mov_b32 s22, exec_lo
	v_cmpx_ne_u16_e32 0x80, v5
	s_cbranch_execz .LBB169_652
; %bb.647:                              ;   in Loop: Header=BB169_424 Depth=1
	v_mov_b32_e32 v21, 0x7f800001
	v_bfe_u32 v9, v79, 16, 7
	v_mov_b32_e32 v22, 0
	s_mov_b32 s26, exec_lo
	v_cmpx_ne_u32_e32 0x7f, v9
	s_cbranch_execz .LBB169_651
; %bb.648:                              ;   in Loop: Header=BB169_424 Depth=1
	v_and_b32_sdwa v5, v79, v44 dst_sel:DWORD dst_unused:UNUSED_PAD src0_sel:WORD_1 src1_sel:DWORD
	v_lshrrev_b32_e32 v7, 3, v9
	s_mov_b32 s27, exec_lo
	v_cmpx_gt_u32_e32 8, v9
; %bb.649:                              ;   in Loop: Header=BB169_424 Depth=1
	v_ffbh_u32_e32 v7, v5
	v_min_u32_e32 v7, 32, v7
	v_subrev_nc_u32_e32 v9, 28, v7
	v_sub_nc_u32_e32 v7, 29, v7
	v_lshlrev_b64 v[21:22], v9, v[5:6]
	v_and_b32_e32 v5, 7, v21
; %bb.650:                              ;   in Loop: Header=BB169_424 Depth=1
	s_or_b32 exec_lo, exec_lo, s27
	v_lshlrev_b32_sdwa v9, v45, v79 dst_sel:DWORD dst_unused:UNUSED_PAD src0_sel:DWORD src1_sel:WORD_1
	v_lshlrev_b32_e32 v5, 20, v5
	v_lshl_add_u32 v7, v7, 23, 0x3c000000
	v_and_b32_e32 v9, 0x80000000, v9
	v_or3_b32 v5, v5, v9, v7
	v_mov_b32_e32 v22, v6
	v_mov_b32_e32 v21, v5
.LBB169_651:                            ;   in Loop: Header=BB169_424 Depth=1
	s_or_b32 exec_lo, exec_lo, s26
.LBB169_652:                            ;   in Loop: Header=BB169_424 Depth=1
	s_or_b32 exec_lo, exec_lo, s22
.LBB169_653:                            ;   in Loop: Header=BB169_424 Depth=1
	s_or_b32 exec_lo, exec_lo, s21
	s_mov_b32 s21, exec_lo
	v_cmpx_lt_u32_e32 0xffffff, v79
	s_cbranch_execz .LBB169_661
; %bb.654:                              ;   in Loop: Header=BB169_424 Depth=1
	v_mov_b32_e32 v7, v6
	v_mov_b32_e32 v24, v8
	v_cmp_ne_u32_sdwa s0, v79, v41 src0_sel:BYTE_3 src1_sel:DWORD
	v_mov_b32_e32 v23, v7
	s_and_saveexec_b32 s22, s0
	s_cbranch_execz .LBB169_660
; %bb.655:                              ;   in Loop: Header=BB169_424 Depth=1
	v_mov_b32_e32 v9, v6
	v_mov_b32_e32 v24, v10
	v_bfe_u32 v80, v79, 24, 7
	s_mov_b32 s26, exec_lo
	v_mov_b32_e32 v23, v9
	v_cmpx_ne_u32_e32 0x7f, v80
	s_cbranch_execz .LBB169_659
; %bb.656:                              ;   in Loop: Header=BB169_424 Depth=1
	v_and_b32_sdwa v5, v79, v44 dst_sel:DWORD dst_unused:UNUSED_PAD src0_sel:BYTE_3 src1_sel:DWORD
	v_lshrrev_b32_e32 v7, 3, v80
	s_mov_b32 s27, exec_lo
	v_cmpx_gt_u32_e32 8, v80
; %bb.657:                              ;   in Loop: Header=BB169_424 Depth=1
	v_ffbh_u32_e32 v7, v5
	v_min_u32_e32 v7, 32, v7
	v_subrev_nc_u32_e32 v9, 28, v7
	v_sub_nc_u32_e32 v7, 29, v7
	v_lshlrev_b64 v[23:24], v9, v[5:6]
	v_and_b32_e32 v5, 7, v23
; %bb.658:                              ;   in Loop: Header=BB169_424 Depth=1
	s_or_b32 exec_lo, exec_lo, s27
	v_lshlrev_b32_sdwa v9, v45, v79 dst_sel:DWORD dst_unused:UNUSED_PAD src0_sel:DWORD src1_sel:BYTE_3
	v_lshlrev_b32_e32 v5, 20, v5
	v_lshl_add_u32 v7, v7, 23, 0x3c000000
	v_mov_b32_e32 v23, v6
	v_and_b32_e32 v9, 0x80000000, v9
	v_or3_b32 v24, v5, v9, v7
.LBB169_659:                            ;   in Loop: Header=BB169_424 Depth=1
	s_or_b32 exec_lo, exec_lo, s26
.LBB169_660:                            ;   in Loop: Header=BB169_424 Depth=1
	s_or_b32 exec_lo, exec_lo, s22
.LBB169_661:                            ;   in Loop: Header=BB169_424 Depth=1
	s_or_b32 exec_lo, exec_lo, s21
	v_or_b32_e32 v5, v20, v18
	v_or_b32_e32 v7, v19, v17
	v_or_b32_e32 v9, v23, v21
	v_or_b32_e32 v17, v24, v22
	v_mul_f32_e32 v81, s18, v5
	v_mul_f32_e32 v82, s17, v7
	;; [unrolled: 1-line block ×4, first 2 shown]
	s_and_saveexec_b32 s21, vcc_lo
	s_cbranch_execz .LBB169_663
; %bb.662:                              ;   in Loop: Header=BB169_424 Depth=1
	v_cmp_gt_i32_e64 s0, s33, v53
	v_cndmask_b32_e64 v82, 0, v82, s0
	v_cmp_gt_i32_e64 s0, s33, v56
	v_cndmask_b32_e64 v81, 0, v81, s0
	;; [unrolled: 2-line block ×4, first 2 shown]
.LBB169_663:                            ;   in Loop: Header=BB169_424 Depth=1
	s_or_b32 exec_lo, exec_lo, s21
	global_load_dword v83, v[15:16], off offset:896
	v_mov_b32_e32 v19, 0
	v_mov_b32_e32 v17, 0
	v_mov_b32_e32 v20, 0
	v_mov_b32_e32 v18, 0
	s_waitcnt vmcnt(0)
	v_cmp_ne_u16_sdwa s0, v83, v6 src0_sel:BYTE_0 src1_sel:DWORD
	s_and_saveexec_b32 s21, s0
	s_cbranch_execz .LBB169_671
; %bb.664:                              ;   in Loop: Header=BB169_424 Depth=1
	v_bfrev_b32_e32 v17, 1
	v_mov_b32_e32 v18, 0
	v_cmp_ne_u16_sdwa s0, v83, v41 src0_sel:BYTE_0 src1_sel:DWORD
	s_and_saveexec_b32 s22, s0
	s_cbranch_execz .LBB169_670
; %bb.665:                              ;   in Loop: Header=BB169_424 Depth=1
	v_mov_b32_e32 v17, 0x7f800001
	v_and_b32_e32 v9, 0x7f, v83
	v_mov_b32_e32 v18, 0
	s_mov_b32 s26, exec_lo
	v_cmpx_ne_u32_e32 0x7f, v9
	s_cbranch_execz .LBB169_669
; %bb.666:                              ;   in Loop: Header=BB169_424 Depth=1
	v_and_b32_e32 v5, 7, v83
	v_lshrrev_b32_e32 v7, 3, v9
	s_mov_b32 s27, exec_lo
	v_cmpx_gt_u32_e32 8, v9
; %bb.667:                              ;   in Loop: Header=BB169_424 Depth=1
	v_ffbh_u32_e32 v7, v5
	v_min_u32_e32 v7, 32, v7
	v_subrev_nc_u32_e32 v9, 28, v7
	v_sub_nc_u32_e32 v7, 29, v7
	v_lshlrev_b64 v[17:18], v9, v[5:6]
	v_and_b32_e32 v5, 7, v17
; %bb.668:                              ;   in Loop: Header=BB169_424 Depth=1
	s_or_b32 exec_lo, exec_lo, s27
	v_lshlrev_b32_e32 v9, 24, v83
	v_lshlrev_b32_e32 v5, 20, v5
	v_lshl_add_u32 v7, v7, 23, 0x3c000000
	v_and_b32_e32 v9, 0x80000000, v9
	v_or3_b32 v5, v5, v9, v7
	v_mov_b32_e32 v18, v6
	v_mov_b32_e32 v17, v5
.LBB169_669:                            ;   in Loop: Header=BB169_424 Depth=1
	s_or_b32 exec_lo, exec_lo, s26
.LBB169_670:                            ;   in Loop: Header=BB169_424 Depth=1
	s_or_b32 exec_lo, exec_lo, s22
.LBB169_671:                            ;   in Loop: Header=BB169_424 Depth=1
	s_or_b32 exec_lo, exec_lo, s21
	v_cmp_ne_u16_sdwa s0, v83, v6 src0_sel:BYTE_1 src1_sel:DWORD
	s_and_saveexec_b32 s21, s0
	s_cbranch_execz .LBB169_679
; %bb.672:                              ;   in Loop: Header=BB169_424 Depth=1
	v_mov_b32_e32 v7, v6
	v_mov_b32_e32 v20, v8
	v_cmp_ne_u16_sdwa s0, v83, v41 src0_sel:BYTE_1 src1_sel:DWORD
	v_mov_b32_e32 v19, v7
	s_and_saveexec_b32 s22, s0
	s_cbranch_execz .LBB169_678
; %bb.673:                              ;   in Loop: Header=BB169_424 Depth=1
	v_and_b32_sdwa v5, v42, v83 dst_sel:DWORD dst_unused:UNUSED_PAD src0_sel:DWORD src1_sel:BYTE_1
	v_mov_b32_e32 v9, v6
	v_mov_b32_e32 v20, v10
	s_mov_b32 s26, exec_lo
	v_and_b32_e32 v21, 0x7f, v5
	v_mov_b32_e32 v19, v9
	v_cmpx_ne_u32_e32 0x7f, v21
	s_cbranch_execz .LBB169_677
; %bb.674:                              ;   in Loop: Header=BB169_424 Depth=1
	v_and_b32_e32 v5, 7, v5
	v_lshrrev_b32_e32 v7, 3, v21
	s_mov_b32 s27, exec_lo
	v_cmpx_gt_u32_e32 8, v21
; %bb.675:                              ;   in Loop: Header=BB169_424 Depth=1
	v_ffbh_u32_e32 v7, v5
	v_min_u32_e32 v7, 32, v7
	v_subrev_nc_u32_e32 v9, 28, v7
	v_sub_nc_u32_e32 v7, 29, v7
	v_lshlrev_b64 v[19:20], v9, v[5:6]
	v_and_b32_e32 v5, 7, v19
; %bb.676:                              ;   in Loop: Header=BB169_424 Depth=1
	s_or_b32 exec_lo, exec_lo, s27
	v_lshlrev_b32_e32 v9, 16, v83
	v_lshlrev_b32_e32 v5, 20, v5
	v_lshl_add_u32 v7, v7, 23, 0x3c000000
	v_mov_b32_e32 v19, v6
	v_and_b32_e32 v9, 0x80000000, v9
	v_or3_b32 v20, v5, v9, v7
.LBB169_677:                            ;   in Loop: Header=BB169_424 Depth=1
	s_or_b32 exec_lo, exec_lo, s26
.LBB169_678:                            ;   in Loop: Header=BB169_424 Depth=1
	s_or_b32 exec_lo, exec_lo, s22
.LBB169_679:                            ;   in Loop: Header=BB169_424 Depth=1
	s_or_b32 exec_lo, exec_lo, s21
	v_mov_b32_e32 v23, 0
	v_mov_b32_e32 v21, 0
	v_and_b32_sdwa v5, v83, v43 dst_sel:DWORD dst_unused:UNUSED_PAD src0_sel:WORD_1 src1_sel:DWORD
	v_mov_b32_e32 v24, 0
	v_mov_b32_e32 v22, 0
	s_mov_b32 s21, exec_lo
	v_cmpx_ne_u16_e32 0, v5
	s_cbranch_execz .LBB169_687
; %bb.680:                              ;   in Loop: Header=BB169_424 Depth=1
	v_bfrev_b32_e32 v21, 1
	v_mov_b32_e32 v22, 0
	s_mov_b32 s22, exec_lo
	v_cmpx_ne_u16_e32 0x80, v5
	s_cbranch_execz .LBB169_686
; %bb.681:                              ;   in Loop: Header=BB169_424 Depth=1
	v_mov_b32_e32 v21, 0x7f800001
	v_bfe_u32 v9, v83, 16, 7
	v_mov_b32_e32 v22, 0
	s_mov_b32 s26, exec_lo
	v_cmpx_ne_u32_e32 0x7f, v9
	s_cbranch_execz .LBB169_685
; %bb.682:                              ;   in Loop: Header=BB169_424 Depth=1
	v_and_b32_sdwa v5, v83, v44 dst_sel:DWORD dst_unused:UNUSED_PAD src0_sel:WORD_1 src1_sel:DWORD
	v_lshrrev_b32_e32 v7, 3, v9
	s_mov_b32 s27, exec_lo
	v_cmpx_gt_u32_e32 8, v9
; %bb.683:                              ;   in Loop: Header=BB169_424 Depth=1
	v_ffbh_u32_e32 v7, v5
	v_min_u32_e32 v7, 32, v7
	v_subrev_nc_u32_e32 v9, 28, v7
	v_sub_nc_u32_e32 v7, 29, v7
	v_lshlrev_b64 v[21:22], v9, v[5:6]
	v_and_b32_e32 v5, 7, v21
; %bb.684:                              ;   in Loop: Header=BB169_424 Depth=1
	s_or_b32 exec_lo, exec_lo, s27
	v_lshlrev_b32_sdwa v9, v45, v83 dst_sel:DWORD dst_unused:UNUSED_PAD src0_sel:DWORD src1_sel:WORD_1
	v_lshlrev_b32_e32 v5, 20, v5
	v_lshl_add_u32 v7, v7, 23, 0x3c000000
	v_and_b32_e32 v9, 0x80000000, v9
	v_or3_b32 v5, v5, v9, v7
	v_mov_b32_e32 v22, v6
	v_mov_b32_e32 v21, v5
.LBB169_685:                            ;   in Loop: Header=BB169_424 Depth=1
	s_or_b32 exec_lo, exec_lo, s26
.LBB169_686:                            ;   in Loop: Header=BB169_424 Depth=1
	s_or_b32 exec_lo, exec_lo, s22
.LBB169_687:                            ;   in Loop: Header=BB169_424 Depth=1
	s_or_b32 exec_lo, exec_lo, s21
	s_mov_b32 s21, exec_lo
	v_cmpx_lt_u32_e32 0xffffff, v83
	s_cbranch_execz .LBB169_695
; %bb.688:                              ;   in Loop: Header=BB169_424 Depth=1
	v_mov_b32_e32 v7, v6
	v_mov_b32_e32 v24, v8
	v_cmp_ne_u32_sdwa s0, v83, v41 src0_sel:BYTE_3 src1_sel:DWORD
	v_mov_b32_e32 v23, v7
	s_and_saveexec_b32 s22, s0
	s_cbranch_execz .LBB169_694
; %bb.689:                              ;   in Loop: Header=BB169_424 Depth=1
	v_mov_b32_e32 v9, v6
	v_mov_b32_e32 v24, v10
	v_bfe_u32 v84, v83, 24, 7
	s_mov_b32 s26, exec_lo
	v_mov_b32_e32 v23, v9
	v_cmpx_ne_u32_e32 0x7f, v84
	s_cbranch_execz .LBB169_693
; %bb.690:                              ;   in Loop: Header=BB169_424 Depth=1
	v_and_b32_sdwa v5, v83, v44 dst_sel:DWORD dst_unused:UNUSED_PAD src0_sel:BYTE_3 src1_sel:DWORD
	v_lshrrev_b32_e32 v7, 3, v84
	s_mov_b32 s27, exec_lo
	v_cmpx_gt_u32_e32 8, v84
; %bb.691:                              ;   in Loop: Header=BB169_424 Depth=1
	v_ffbh_u32_e32 v7, v5
	v_min_u32_e32 v7, 32, v7
	v_subrev_nc_u32_e32 v9, 28, v7
	v_sub_nc_u32_e32 v7, 29, v7
	v_lshlrev_b64 v[23:24], v9, v[5:6]
	v_and_b32_e32 v5, 7, v23
; %bb.692:                              ;   in Loop: Header=BB169_424 Depth=1
	s_or_b32 exec_lo, exec_lo, s27
	v_lshlrev_b32_sdwa v9, v45, v83 dst_sel:DWORD dst_unused:UNUSED_PAD src0_sel:DWORD src1_sel:BYTE_3
	v_lshlrev_b32_e32 v5, 20, v5
	v_lshl_add_u32 v7, v7, 23, 0x3c000000
	v_mov_b32_e32 v23, v6
	v_and_b32_e32 v9, 0x80000000, v9
	v_or3_b32 v24, v5, v9, v7
.LBB169_693:                            ;   in Loop: Header=BB169_424 Depth=1
	s_or_b32 exec_lo, exec_lo, s26
.LBB169_694:                            ;   in Loop: Header=BB169_424 Depth=1
	s_or_b32 exec_lo, exec_lo, s22
.LBB169_695:                            ;   in Loop: Header=BB169_424 Depth=1
	s_or_b32 exec_lo, exec_lo, s21
	v_or_b32_e32 v5, v20, v18
	v_or_b32_e32 v7, v19, v17
	;; [unrolled: 1-line block ×4, first 2 shown]
	v_mul_f32_e32 v85, s18, v5
	v_mul_f32_e32 v86, s17, v7
	;; [unrolled: 1-line block ×4, first 2 shown]
	s_and_saveexec_b32 s21, vcc_lo
	s_cbranch_execz .LBB169_697
; %bb.696:                              ;   in Loop: Header=BB169_424 Depth=1
	v_cmp_gt_i32_e64 s0, s33, v53
	v_cndmask_b32_e64 v86, 0, v86, s0
	v_cmp_gt_i32_e64 s0, s33, v56
	v_cndmask_b32_e64 v85, 0, v85, s0
	;; [unrolled: 2-line block ×4, first 2 shown]
.LBB169_697:                            ;   in Loop: Header=BB169_424 Depth=1
	s_or_b32 exec_lo, exec_lo, s21
	global_load_dword v87, v[15:16], off offset:1024
	v_mov_b32_e32 v19, 0
	v_mov_b32_e32 v17, 0
	;; [unrolled: 1-line block ×4, first 2 shown]
	s_waitcnt vmcnt(0)
	v_cmp_ne_u16_sdwa s0, v87, v6 src0_sel:BYTE_0 src1_sel:DWORD
	s_and_saveexec_b32 s21, s0
	s_cbranch_execz .LBB169_705
; %bb.698:                              ;   in Loop: Header=BB169_424 Depth=1
	v_bfrev_b32_e32 v17, 1
	v_mov_b32_e32 v18, 0
	v_cmp_ne_u16_sdwa s0, v87, v41 src0_sel:BYTE_0 src1_sel:DWORD
	s_and_saveexec_b32 s22, s0
	s_cbranch_execz .LBB169_704
; %bb.699:                              ;   in Loop: Header=BB169_424 Depth=1
	v_mov_b32_e32 v17, 0x7f800001
	v_and_b32_e32 v9, 0x7f, v87
	v_mov_b32_e32 v18, 0
	s_mov_b32 s26, exec_lo
	v_cmpx_ne_u32_e32 0x7f, v9
	s_cbranch_execz .LBB169_703
; %bb.700:                              ;   in Loop: Header=BB169_424 Depth=1
	v_and_b32_e32 v5, 7, v87
	v_lshrrev_b32_e32 v7, 3, v9
	s_mov_b32 s27, exec_lo
	v_cmpx_gt_u32_e32 8, v9
; %bb.701:                              ;   in Loop: Header=BB169_424 Depth=1
	v_ffbh_u32_e32 v7, v5
	v_min_u32_e32 v7, 32, v7
	v_subrev_nc_u32_e32 v9, 28, v7
	v_sub_nc_u32_e32 v7, 29, v7
	v_lshlrev_b64 v[17:18], v9, v[5:6]
	v_and_b32_e32 v5, 7, v17
; %bb.702:                              ;   in Loop: Header=BB169_424 Depth=1
	s_or_b32 exec_lo, exec_lo, s27
	v_lshlrev_b32_e32 v9, 24, v87
	v_lshlrev_b32_e32 v5, 20, v5
	v_lshl_add_u32 v7, v7, 23, 0x3c000000
	v_and_b32_e32 v9, 0x80000000, v9
	v_or3_b32 v5, v5, v9, v7
	v_mov_b32_e32 v18, v6
	v_mov_b32_e32 v17, v5
.LBB169_703:                            ;   in Loop: Header=BB169_424 Depth=1
	s_or_b32 exec_lo, exec_lo, s26
.LBB169_704:                            ;   in Loop: Header=BB169_424 Depth=1
	s_or_b32 exec_lo, exec_lo, s22
.LBB169_705:                            ;   in Loop: Header=BB169_424 Depth=1
	s_or_b32 exec_lo, exec_lo, s21
	v_cmp_ne_u16_sdwa s0, v87, v6 src0_sel:BYTE_1 src1_sel:DWORD
	s_and_saveexec_b32 s21, s0
	s_cbranch_execz .LBB169_713
; %bb.706:                              ;   in Loop: Header=BB169_424 Depth=1
	v_mov_b32_e32 v7, v6
	v_mov_b32_e32 v20, v8
	v_cmp_ne_u16_sdwa s0, v87, v41 src0_sel:BYTE_1 src1_sel:DWORD
	v_mov_b32_e32 v19, v7
	s_and_saveexec_b32 s22, s0
	s_cbranch_execz .LBB169_712
; %bb.707:                              ;   in Loop: Header=BB169_424 Depth=1
	v_and_b32_sdwa v5, v42, v87 dst_sel:DWORD dst_unused:UNUSED_PAD src0_sel:DWORD src1_sel:BYTE_1
	v_mov_b32_e32 v9, v6
	v_mov_b32_e32 v20, v10
	s_mov_b32 s26, exec_lo
	v_and_b32_e32 v21, 0x7f, v5
	v_mov_b32_e32 v19, v9
	v_cmpx_ne_u32_e32 0x7f, v21
	s_cbranch_execz .LBB169_711
; %bb.708:                              ;   in Loop: Header=BB169_424 Depth=1
	v_and_b32_e32 v5, 7, v5
	v_lshrrev_b32_e32 v7, 3, v21
	s_mov_b32 s27, exec_lo
	v_cmpx_gt_u32_e32 8, v21
; %bb.709:                              ;   in Loop: Header=BB169_424 Depth=1
	v_ffbh_u32_e32 v7, v5
	v_min_u32_e32 v7, 32, v7
	v_subrev_nc_u32_e32 v9, 28, v7
	v_sub_nc_u32_e32 v7, 29, v7
	v_lshlrev_b64 v[19:20], v9, v[5:6]
	v_and_b32_e32 v5, 7, v19
; %bb.710:                              ;   in Loop: Header=BB169_424 Depth=1
	s_or_b32 exec_lo, exec_lo, s27
	v_lshlrev_b32_e32 v9, 16, v87
	v_lshlrev_b32_e32 v5, 20, v5
	v_lshl_add_u32 v7, v7, 23, 0x3c000000
	v_mov_b32_e32 v19, v6
	v_and_b32_e32 v9, 0x80000000, v9
	v_or3_b32 v20, v5, v9, v7
.LBB169_711:                            ;   in Loop: Header=BB169_424 Depth=1
	s_or_b32 exec_lo, exec_lo, s26
.LBB169_712:                            ;   in Loop: Header=BB169_424 Depth=1
	s_or_b32 exec_lo, exec_lo, s22
.LBB169_713:                            ;   in Loop: Header=BB169_424 Depth=1
	s_or_b32 exec_lo, exec_lo, s21
	v_mov_b32_e32 v23, 0
	v_mov_b32_e32 v21, 0
	v_and_b32_sdwa v5, v87, v43 dst_sel:DWORD dst_unused:UNUSED_PAD src0_sel:WORD_1 src1_sel:DWORD
	v_mov_b32_e32 v24, 0
	v_mov_b32_e32 v22, 0
	s_mov_b32 s21, exec_lo
	v_cmpx_ne_u16_e32 0, v5
	s_cbranch_execz .LBB169_721
; %bb.714:                              ;   in Loop: Header=BB169_424 Depth=1
	v_bfrev_b32_e32 v21, 1
	v_mov_b32_e32 v22, 0
	s_mov_b32 s22, exec_lo
	v_cmpx_ne_u16_e32 0x80, v5
	s_cbranch_execz .LBB169_720
; %bb.715:                              ;   in Loop: Header=BB169_424 Depth=1
	v_mov_b32_e32 v21, 0x7f800001
	v_bfe_u32 v9, v87, 16, 7
	v_mov_b32_e32 v22, 0
	s_mov_b32 s26, exec_lo
	v_cmpx_ne_u32_e32 0x7f, v9
	s_cbranch_execz .LBB169_719
; %bb.716:                              ;   in Loop: Header=BB169_424 Depth=1
	v_and_b32_sdwa v5, v87, v44 dst_sel:DWORD dst_unused:UNUSED_PAD src0_sel:WORD_1 src1_sel:DWORD
	v_lshrrev_b32_e32 v7, 3, v9
	s_mov_b32 s27, exec_lo
	v_cmpx_gt_u32_e32 8, v9
; %bb.717:                              ;   in Loop: Header=BB169_424 Depth=1
	v_ffbh_u32_e32 v7, v5
	v_min_u32_e32 v7, 32, v7
	v_subrev_nc_u32_e32 v9, 28, v7
	v_sub_nc_u32_e32 v7, 29, v7
	v_lshlrev_b64 v[21:22], v9, v[5:6]
	v_and_b32_e32 v5, 7, v21
; %bb.718:                              ;   in Loop: Header=BB169_424 Depth=1
	s_or_b32 exec_lo, exec_lo, s27
	v_lshlrev_b32_sdwa v9, v45, v87 dst_sel:DWORD dst_unused:UNUSED_PAD src0_sel:DWORD src1_sel:WORD_1
	v_lshlrev_b32_e32 v5, 20, v5
	v_lshl_add_u32 v7, v7, 23, 0x3c000000
	v_and_b32_e32 v9, 0x80000000, v9
	v_or3_b32 v5, v5, v9, v7
	v_mov_b32_e32 v22, v6
	v_mov_b32_e32 v21, v5
.LBB169_719:                            ;   in Loop: Header=BB169_424 Depth=1
	s_or_b32 exec_lo, exec_lo, s26
.LBB169_720:                            ;   in Loop: Header=BB169_424 Depth=1
	s_or_b32 exec_lo, exec_lo, s22
.LBB169_721:                            ;   in Loop: Header=BB169_424 Depth=1
	s_or_b32 exec_lo, exec_lo, s21
	s_mov_b32 s21, exec_lo
	v_cmpx_lt_u32_e32 0xffffff, v87
	s_cbranch_execz .LBB169_729
; %bb.722:                              ;   in Loop: Header=BB169_424 Depth=1
	v_mov_b32_e32 v7, v6
	v_mov_b32_e32 v24, v8
	v_cmp_ne_u32_sdwa s0, v87, v41 src0_sel:BYTE_3 src1_sel:DWORD
	v_mov_b32_e32 v23, v7
	s_and_saveexec_b32 s22, s0
	s_cbranch_execz .LBB169_728
; %bb.723:                              ;   in Loop: Header=BB169_424 Depth=1
	v_mov_b32_e32 v9, v6
	v_mov_b32_e32 v24, v10
	v_bfe_u32 v88, v87, 24, 7
	s_mov_b32 s26, exec_lo
	v_mov_b32_e32 v23, v9
	v_cmpx_ne_u32_e32 0x7f, v88
	s_cbranch_execz .LBB169_727
; %bb.724:                              ;   in Loop: Header=BB169_424 Depth=1
	v_and_b32_sdwa v5, v87, v44 dst_sel:DWORD dst_unused:UNUSED_PAD src0_sel:BYTE_3 src1_sel:DWORD
	v_lshrrev_b32_e32 v7, 3, v88
	s_mov_b32 s27, exec_lo
	v_cmpx_gt_u32_e32 8, v88
; %bb.725:                              ;   in Loop: Header=BB169_424 Depth=1
	v_ffbh_u32_e32 v7, v5
	v_min_u32_e32 v7, 32, v7
	v_subrev_nc_u32_e32 v9, 28, v7
	v_sub_nc_u32_e32 v7, 29, v7
	v_lshlrev_b64 v[23:24], v9, v[5:6]
	v_and_b32_e32 v5, 7, v23
; %bb.726:                              ;   in Loop: Header=BB169_424 Depth=1
	s_or_b32 exec_lo, exec_lo, s27
	v_lshlrev_b32_sdwa v9, v45, v87 dst_sel:DWORD dst_unused:UNUSED_PAD src0_sel:DWORD src1_sel:BYTE_3
	v_lshlrev_b32_e32 v5, 20, v5
	v_lshl_add_u32 v7, v7, 23, 0x3c000000
	v_mov_b32_e32 v23, v6
	v_and_b32_e32 v9, 0x80000000, v9
	v_or3_b32 v24, v5, v9, v7
.LBB169_727:                            ;   in Loop: Header=BB169_424 Depth=1
	s_or_b32 exec_lo, exec_lo, s26
.LBB169_728:                            ;   in Loop: Header=BB169_424 Depth=1
	s_or_b32 exec_lo, exec_lo, s22
.LBB169_729:                            ;   in Loop: Header=BB169_424 Depth=1
	s_or_b32 exec_lo, exec_lo, s21
	v_or_b32_e32 v5, v20, v18
	v_or_b32_e32 v7, v19, v17
	;; [unrolled: 1-line block ×4, first 2 shown]
	v_mul_f32_e32 v89, s18, v5
	v_mul_f32_e32 v90, s17, v7
	;; [unrolled: 1-line block ×4, first 2 shown]
	s_and_saveexec_b32 s21, vcc_lo
	s_cbranch_execz .LBB169_731
; %bb.730:                              ;   in Loop: Header=BB169_424 Depth=1
	v_cmp_gt_i32_e64 s0, s33, v53
	v_cndmask_b32_e64 v90, 0, v90, s0
	v_cmp_gt_i32_e64 s0, s33, v56
	v_cndmask_b32_e64 v89, 0, v89, s0
	;; [unrolled: 2-line block ×4, first 2 shown]
.LBB169_731:                            ;   in Loop: Header=BB169_424 Depth=1
	s_or_b32 exec_lo, exec_lo, s21
	global_load_dword v91, v[15:16], off offset:1152
	v_mov_b32_e32 v19, 0
	v_mov_b32_e32 v17, 0
	;; [unrolled: 1-line block ×4, first 2 shown]
	s_waitcnt vmcnt(0)
	v_cmp_ne_u16_sdwa s0, v91, v6 src0_sel:BYTE_0 src1_sel:DWORD
	s_and_saveexec_b32 s21, s0
	s_cbranch_execz .LBB169_739
; %bb.732:                              ;   in Loop: Header=BB169_424 Depth=1
	v_bfrev_b32_e32 v17, 1
	v_mov_b32_e32 v18, 0
	v_cmp_ne_u16_sdwa s0, v91, v41 src0_sel:BYTE_0 src1_sel:DWORD
	s_and_saveexec_b32 s22, s0
	s_cbranch_execz .LBB169_738
; %bb.733:                              ;   in Loop: Header=BB169_424 Depth=1
	v_mov_b32_e32 v17, 0x7f800001
	v_and_b32_e32 v9, 0x7f, v91
	v_mov_b32_e32 v18, 0
	s_mov_b32 s26, exec_lo
	v_cmpx_ne_u32_e32 0x7f, v9
	s_cbranch_execz .LBB169_737
; %bb.734:                              ;   in Loop: Header=BB169_424 Depth=1
	v_and_b32_e32 v5, 7, v91
	v_lshrrev_b32_e32 v7, 3, v9
	s_mov_b32 s27, exec_lo
	v_cmpx_gt_u32_e32 8, v9
; %bb.735:                              ;   in Loop: Header=BB169_424 Depth=1
	v_ffbh_u32_e32 v7, v5
	v_min_u32_e32 v7, 32, v7
	v_subrev_nc_u32_e32 v9, 28, v7
	v_sub_nc_u32_e32 v7, 29, v7
	v_lshlrev_b64 v[17:18], v9, v[5:6]
	v_and_b32_e32 v5, 7, v17
; %bb.736:                              ;   in Loop: Header=BB169_424 Depth=1
	s_or_b32 exec_lo, exec_lo, s27
	v_lshlrev_b32_e32 v9, 24, v91
	v_lshlrev_b32_e32 v5, 20, v5
	v_lshl_add_u32 v7, v7, 23, 0x3c000000
	v_and_b32_e32 v9, 0x80000000, v9
	v_or3_b32 v5, v5, v9, v7
	v_mov_b32_e32 v18, v6
	v_mov_b32_e32 v17, v5
.LBB169_737:                            ;   in Loop: Header=BB169_424 Depth=1
	s_or_b32 exec_lo, exec_lo, s26
.LBB169_738:                            ;   in Loop: Header=BB169_424 Depth=1
	s_or_b32 exec_lo, exec_lo, s22
.LBB169_739:                            ;   in Loop: Header=BB169_424 Depth=1
	s_or_b32 exec_lo, exec_lo, s21
	v_cmp_ne_u16_sdwa s0, v91, v6 src0_sel:BYTE_1 src1_sel:DWORD
	s_and_saveexec_b32 s21, s0
	s_cbranch_execz .LBB169_747
; %bb.740:                              ;   in Loop: Header=BB169_424 Depth=1
	v_mov_b32_e32 v7, v6
	v_mov_b32_e32 v20, v8
	v_cmp_ne_u16_sdwa s0, v91, v41 src0_sel:BYTE_1 src1_sel:DWORD
	v_mov_b32_e32 v19, v7
	s_and_saveexec_b32 s22, s0
	s_cbranch_execz .LBB169_746
; %bb.741:                              ;   in Loop: Header=BB169_424 Depth=1
	v_and_b32_sdwa v5, v42, v91 dst_sel:DWORD dst_unused:UNUSED_PAD src0_sel:DWORD src1_sel:BYTE_1
	v_mov_b32_e32 v9, v6
	v_mov_b32_e32 v20, v10
	s_mov_b32 s26, exec_lo
	v_and_b32_e32 v21, 0x7f, v5
	v_mov_b32_e32 v19, v9
	v_cmpx_ne_u32_e32 0x7f, v21
	s_cbranch_execz .LBB169_745
; %bb.742:                              ;   in Loop: Header=BB169_424 Depth=1
	v_and_b32_e32 v5, 7, v5
	v_lshrrev_b32_e32 v7, 3, v21
	s_mov_b32 s27, exec_lo
	v_cmpx_gt_u32_e32 8, v21
; %bb.743:                              ;   in Loop: Header=BB169_424 Depth=1
	v_ffbh_u32_e32 v7, v5
	v_min_u32_e32 v7, 32, v7
	v_subrev_nc_u32_e32 v9, 28, v7
	v_sub_nc_u32_e32 v7, 29, v7
	v_lshlrev_b64 v[19:20], v9, v[5:6]
	v_and_b32_e32 v5, 7, v19
; %bb.744:                              ;   in Loop: Header=BB169_424 Depth=1
	s_or_b32 exec_lo, exec_lo, s27
	v_lshlrev_b32_e32 v9, 16, v91
	v_lshlrev_b32_e32 v5, 20, v5
	v_lshl_add_u32 v7, v7, 23, 0x3c000000
	v_mov_b32_e32 v19, v6
	v_and_b32_e32 v9, 0x80000000, v9
	v_or3_b32 v20, v5, v9, v7
.LBB169_745:                            ;   in Loop: Header=BB169_424 Depth=1
	s_or_b32 exec_lo, exec_lo, s26
.LBB169_746:                            ;   in Loop: Header=BB169_424 Depth=1
	s_or_b32 exec_lo, exec_lo, s22
.LBB169_747:                            ;   in Loop: Header=BB169_424 Depth=1
	s_or_b32 exec_lo, exec_lo, s21
	v_mov_b32_e32 v23, 0
	v_mov_b32_e32 v21, 0
	v_and_b32_sdwa v5, v91, v43 dst_sel:DWORD dst_unused:UNUSED_PAD src0_sel:WORD_1 src1_sel:DWORD
	v_mov_b32_e32 v24, 0
	v_mov_b32_e32 v22, 0
	s_mov_b32 s21, exec_lo
	v_cmpx_ne_u16_e32 0, v5
	s_cbranch_execz .LBB169_755
; %bb.748:                              ;   in Loop: Header=BB169_424 Depth=1
	v_bfrev_b32_e32 v21, 1
	v_mov_b32_e32 v22, 0
	s_mov_b32 s22, exec_lo
	v_cmpx_ne_u16_e32 0x80, v5
	s_cbranch_execz .LBB169_754
; %bb.749:                              ;   in Loop: Header=BB169_424 Depth=1
	v_mov_b32_e32 v21, 0x7f800001
	v_bfe_u32 v9, v91, 16, 7
	v_mov_b32_e32 v22, 0
	s_mov_b32 s26, exec_lo
	v_cmpx_ne_u32_e32 0x7f, v9
	s_cbranch_execz .LBB169_753
; %bb.750:                              ;   in Loop: Header=BB169_424 Depth=1
	v_and_b32_sdwa v5, v91, v44 dst_sel:DWORD dst_unused:UNUSED_PAD src0_sel:WORD_1 src1_sel:DWORD
	v_lshrrev_b32_e32 v7, 3, v9
	s_mov_b32 s27, exec_lo
	v_cmpx_gt_u32_e32 8, v9
; %bb.751:                              ;   in Loop: Header=BB169_424 Depth=1
	v_ffbh_u32_e32 v7, v5
	v_min_u32_e32 v7, 32, v7
	v_subrev_nc_u32_e32 v9, 28, v7
	v_sub_nc_u32_e32 v7, 29, v7
	v_lshlrev_b64 v[21:22], v9, v[5:6]
	v_and_b32_e32 v5, 7, v21
; %bb.752:                              ;   in Loop: Header=BB169_424 Depth=1
	s_or_b32 exec_lo, exec_lo, s27
	v_lshlrev_b32_sdwa v9, v45, v91 dst_sel:DWORD dst_unused:UNUSED_PAD src0_sel:DWORD src1_sel:WORD_1
	v_lshlrev_b32_e32 v5, 20, v5
	v_lshl_add_u32 v7, v7, 23, 0x3c000000
	v_and_b32_e32 v9, 0x80000000, v9
	v_or3_b32 v5, v5, v9, v7
	v_mov_b32_e32 v22, v6
	v_mov_b32_e32 v21, v5
.LBB169_753:                            ;   in Loop: Header=BB169_424 Depth=1
	s_or_b32 exec_lo, exec_lo, s26
.LBB169_754:                            ;   in Loop: Header=BB169_424 Depth=1
	s_or_b32 exec_lo, exec_lo, s22
.LBB169_755:                            ;   in Loop: Header=BB169_424 Depth=1
	s_or_b32 exec_lo, exec_lo, s21
	s_mov_b32 s21, exec_lo
	v_cmpx_lt_u32_e32 0xffffff, v91
	s_cbranch_execz .LBB169_763
; %bb.756:                              ;   in Loop: Header=BB169_424 Depth=1
	v_mov_b32_e32 v7, v6
	v_mov_b32_e32 v24, v8
	v_cmp_ne_u32_sdwa s0, v91, v41 src0_sel:BYTE_3 src1_sel:DWORD
	v_mov_b32_e32 v23, v7
	s_and_saveexec_b32 s22, s0
	s_cbranch_execz .LBB169_762
; %bb.757:                              ;   in Loop: Header=BB169_424 Depth=1
	v_mov_b32_e32 v9, v6
	v_mov_b32_e32 v24, v10
	v_bfe_u32 v92, v91, 24, 7
	s_mov_b32 s26, exec_lo
	v_mov_b32_e32 v23, v9
	v_cmpx_ne_u32_e32 0x7f, v92
	s_cbranch_execz .LBB169_761
; %bb.758:                              ;   in Loop: Header=BB169_424 Depth=1
	v_and_b32_sdwa v5, v91, v44 dst_sel:DWORD dst_unused:UNUSED_PAD src0_sel:BYTE_3 src1_sel:DWORD
	v_lshrrev_b32_e32 v7, 3, v92
	s_mov_b32 s27, exec_lo
	v_cmpx_gt_u32_e32 8, v92
; %bb.759:                              ;   in Loop: Header=BB169_424 Depth=1
	v_ffbh_u32_e32 v7, v5
	v_min_u32_e32 v7, 32, v7
	v_subrev_nc_u32_e32 v9, 28, v7
	v_sub_nc_u32_e32 v7, 29, v7
	v_lshlrev_b64 v[23:24], v9, v[5:6]
	v_and_b32_e32 v5, 7, v23
; %bb.760:                              ;   in Loop: Header=BB169_424 Depth=1
	s_or_b32 exec_lo, exec_lo, s27
	v_lshlrev_b32_sdwa v9, v45, v91 dst_sel:DWORD dst_unused:UNUSED_PAD src0_sel:DWORD src1_sel:BYTE_3
	v_lshlrev_b32_e32 v5, 20, v5
	v_lshl_add_u32 v7, v7, 23, 0x3c000000
	v_mov_b32_e32 v23, v6
	v_and_b32_e32 v9, 0x80000000, v9
	v_or3_b32 v24, v5, v9, v7
.LBB169_761:                            ;   in Loop: Header=BB169_424 Depth=1
	s_or_b32 exec_lo, exec_lo, s26
.LBB169_762:                            ;   in Loop: Header=BB169_424 Depth=1
	s_or_b32 exec_lo, exec_lo, s22
.LBB169_763:                            ;   in Loop: Header=BB169_424 Depth=1
	s_or_b32 exec_lo, exec_lo, s21
	v_or_b32_e32 v5, v20, v18
	v_or_b32_e32 v7, v19, v17
	;; [unrolled: 1-line block ×4, first 2 shown]
	v_mul_f32_e32 v93, s18, v5
	v_mul_f32_e32 v94, s17, v7
	;; [unrolled: 1-line block ×4, first 2 shown]
	s_and_saveexec_b32 s21, vcc_lo
	s_cbranch_execz .LBB169_765
; %bb.764:                              ;   in Loop: Header=BB169_424 Depth=1
	v_cmp_gt_i32_e64 s0, s33, v53
	v_cndmask_b32_e64 v94, 0, v94, s0
	v_cmp_gt_i32_e64 s0, s33, v56
	v_cndmask_b32_e64 v93, 0, v93, s0
	;; [unrolled: 2-line block ×4, first 2 shown]
.LBB169_765:                            ;   in Loop: Header=BB169_424 Depth=1
	s_or_b32 exec_lo, exec_lo, s21
	global_load_dword v95, v[15:16], off offset:1280
	v_mov_b32_e32 v19, 0
	v_mov_b32_e32 v17, 0
	;; [unrolled: 1-line block ×4, first 2 shown]
	s_waitcnt vmcnt(0)
	v_cmp_ne_u16_sdwa s0, v95, v6 src0_sel:BYTE_0 src1_sel:DWORD
	s_and_saveexec_b32 s21, s0
	s_cbranch_execz .LBB169_773
; %bb.766:                              ;   in Loop: Header=BB169_424 Depth=1
	v_bfrev_b32_e32 v17, 1
	v_mov_b32_e32 v18, 0
	v_cmp_ne_u16_sdwa s0, v95, v41 src0_sel:BYTE_0 src1_sel:DWORD
	s_and_saveexec_b32 s22, s0
	s_cbranch_execz .LBB169_772
; %bb.767:                              ;   in Loop: Header=BB169_424 Depth=1
	v_mov_b32_e32 v17, 0x7f800001
	v_and_b32_e32 v9, 0x7f, v95
	v_mov_b32_e32 v18, 0
	s_mov_b32 s26, exec_lo
	v_cmpx_ne_u32_e32 0x7f, v9
	s_cbranch_execz .LBB169_771
; %bb.768:                              ;   in Loop: Header=BB169_424 Depth=1
	v_and_b32_e32 v5, 7, v95
	v_lshrrev_b32_e32 v7, 3, v9
	s_mov_b32 s27, exec_lo
	v_cmpx_gt_u32_e32 8, v9
; %bb.769:                              ;   in Loop: Header=BB169_424 Depth=1
	v_ffbh_u32_e32 v7, v5
	v_min_u32_e32 v7, 32, v7
	v_subrev_nc_u32_e32 v9, 28, v7
	v_sub_nc_u32_e32 v7, 29, v7
	v_lshlrev_b64 v[17:18], v9, v[5:6]
	v_and_b32_e32 v5, 7, v17
; %bb.770:                              ;   in Loop: Header=BB169_424 Depth=1
	s_or_b32 exec_lo, exec_lo, s27
	v_lshlrev_b32_e32 v9, 24, v95
	v_lshlrev_b32_e32 v5, 20, v5
	v_lshl_add_u32 v7, v7, 23, 0x3c000000
	v_and_b32_e32 v9, 0x80000000, v9
	v_or3_b32 v5, v5, v9, v7
	v_mov_b32_e32 v18, v6
	v_mov_b32_e32 v17, v5
.LBB169_771:                            ;   in Loop: Header=BB169_424 Depth=1
	s_or_b32 exec_lo, exec_lo, s26
.LBB169_772:                            ;   in Loop: Header=BB169_424 Depth=1
	s_or_b32 exec_lo, exec_lo, s22
.LBB169_773:                            ;   in Loop: Header=BB169_424 Depth=1
	s_or_b32 exec_lo, exec_lo, s21
	v_cmp_ne_u16_sdwa s0, v95, v6 src0_sel:BYTE_1 src1_sel:DWORD
	s_and_saveexec_b32 s21, s0
	s_cbranch_execz .LBB169_781
; %bb.774:                              ;   in Loop: Header=BB169_424 Depth=1
	v_mov_b32_e32 v7, v6
	v_mov_b32_e32 v20, v8
	v_cmp_ne_u16_sdwa s0, v95, v41 src0_sel:BYTE_1 src1_sel:DWORD
	v_mov_b32_e32 v19, v7
	s_and_saveexec_b32 s22, s0
	s_cbranch_execz .LBB169_780
; %bb.775:                              ;   in Loop: Header=BB169_424 Depth=1
	v_and_b32_sdwa v5, v42, v95 dst_sel:DWORD dst_unused:UNUSED_PAD src0_sel:DWORD src1_sel:BYTE_1
	v_mov_b32_e32 v9, v6
	v_mov_b32_e32 v20, v10
	s_mov_b32 s26, exec_lo
	v_and_b32_e32 v21, 0x7f, v5
	v_mov_b32_e32 v19, v9
	v_cmpx_ne_u32_e32 0x7f, v21
	s_cbranch_execz .LBB169_779
; %bb.776:                              ;   in Loop: Header=BB169_424 Depth=1
	v_and_b32_e32 v5, 7, v5
	v_lshrrev_b32_e32 v7, 3, v21
	s_mov_b32 s27, exec_lo
	v_cmpx_gt_u32_e32 8, v21
; %bb.777:                              ;   in Loop: Header=BB169_424 Depth=1
	v_ffbh_u32_e32 v7, v5
	v_min_u32_e32 v7, 32, v7
	v_subrev_nc_u32_e32 v9, 28, v7
	v_sub_nc_u32_e32 v7, 29, v7
	v_lshlrev_b64 v[19:20], v9, v[5:6]
	v_and_b32_e32 v5, 7, v19
; %bb.778:                              ;   in Loop: Header=BB169_424 Depth=1
	s_or_b32 exec_lo, exec_lo, s27
	v_lshlrev_b32_e32 v9, 16, v95
	v_lshlrev_b32_e32 v5, 20, v5
	v_lshl_add_u32 v7, v7, 23, 0x3c000000
	v_mov_b32_e32 v19, v6
	v_and_b32_e32 v9, 0x80000000, v9
	v_or3_b32 v20, v5, v9, v7
.LBB169_779:                            ;   in Loop: Header=BB169_424 Depth=1
	s_or_b32 exec_lo, exec_lo, s26
.LBB169_780:                            ;   in Loop: Header=BB169_424 Depth=1
	s_or_b32 exec_lo, exec_lo, s22
.LBB169_781:                            ;   in Loop: Header=BB169_424 Depth=1
	s_or_b32 exec_lo, exec_lo, s21
	v_mov_b32_e32 v23, 0
	v_mov_b32_e32 v21, 0
	v_and_b32_sdwa v5, v95, v43 dst_sel:DWORD dst_unused:UNUSED_PAD src0_sel:WORD_1 src1_sel:DWORD
	v_mov_b32_e32 v24, 0
	v_mov_b32_e32 v22, 0
	s_mov_b32 s21, exec_lo
	v_cmpx_ne_u16_e32 0, v5
	s_cbranch_execz .LBB169_789
; %bb.782:                              ;   in Loop: Header=BB169_424 Depth=1
	v_bfrev_b32_e32 v21, 1
	v_mov_b32_e32 v22, 0
	s_mov_b32 s22, exec_lo
	v_cmpx_ne_u16_e32 0x80, v5
	s_cbranch_execz .LBB169_788
; %bb.783:                              ;   in Loop: Header=BB169_424 Depth=1
	v_mov_b32_e32 v21, 0x7f800001
	v_bfe_u32 v9, v95, 16, 7
	v_mov_b32_e32 v22, 0
	s_mov_b32 s26, exec_lo
	v_cmpx_ne_u32_e32 0x7f, v9
	s_cbranch_execz .LBB169_787
; %bb.784:                              ;   in Loop: Header=BB169_424 Depth=1
	v_and_b32_sdwa v5, v95, v44 dst_sel:DWORD dst_unused:UNUSED_PAD src0_sel:WORD_1 src1_sel:DWORD
	v_lshrrev_b32_e32 v7, 3, v9
	s_mov_b32 s27, exec_lo
	v_cmpx_gt_u32_e32 8, v9
; %bb.785:                              ;   in Loop: Header=BB169_424 Depth=1
	v_ffbh_u32_e32 v7, v5
	v_min_u32_e32 v7, 32, v7
	v_subrev_nc_u32_e32 v9, 28, v7
	v_sub_nc_u32_e32 v7, 29, v7
	v_lshlrev_b64 v[21:22], v9, v[5:6]
	v_and_b32_e32 v5, 7, v21
; %bb.786:                              ;   in Loop: Header=BB169_424 Depth=1
	s_or_b32 exec_lo, exec_lo, s27
	v_lshlrev_b32_sdwa v9, v45, v95 dst_sel:DWORD dst_unused:UNUSED_PAD src0_sel:DWORD src1_sel:WORD_1
	v_lshlrev_b32_e32 v5, 20, v5
	v_lshl_add_u32 v7, v7, 23, 0x3c000000
	v_and_b32_e32 v9, 0x80000000, v9
	v_or3_b32 v5, v5, v9, v7
	v_mov_b32_e32 v22, v6
	v_mov_b32_e32 v21, v5
.LBB169_787:                            ;   in Loop: Header=BB169_424 Depth=1
	s_or_b32 exec_lo, exec_lo, s26
.LBB169_788:                            ;   in Loop: Header=BB169_424 Depth=1
	s_or_b32 exec_lo, exec_lo, s22
.LBB169_789:                            ;   in Loop: Header=BB169_424 Depth=1
	s_or_b32 exec_lo, exec_lo, s21
	s_mov_b32 s21, exec_lo
	v_cmpx_lt_u32_e32 0xffffff, v95
	s_cbranch_execz .LBB169_797
; %bb.790:                              ;   in Loop: Header=BB169_424 Depth=1
	v_mov_b32_e32 v7, v6
	v_mov_b32_e32 v24, v8
	v_cmp_ne_u32_sdwa s0, v95, v41 src0_sel:BYTE_3 src1_sel:DWORD
	v_mov_b32_e32 v23, v7
	s_and_saveexec_b32 s22, s0
	s_cbranch_execz .LBB169_796
; %bb.791:                              ;   in Loop: Header=BB169_424 Depth=1
	v_mov_b32_e32 v9, v6
	v_mov_b32_e32 v24, v10
	v_bfe_u32 v96, v95, 24, 7
	s_mov_b32 s26, exec_lo
	v_mov_b32_e32 v23, v9
	v_cmpx_ne_u32_e32 0x7f, v96
	s_cbranch_execz .LBB169_795
; %bb.792:                              ;   in Loop: Header=BB169_424 Depth=1
	v_and_b32_sdwa v5, v95, v44 dst_sel:DWORD dst_unused:UNUSED_PAD src0_sel:BYTE_3 src1_sel:DWORD
	v_lshrrev_b32_e32 v7, 3, v96
	s_mov_b32 s27, exec_lo
	v_cmpx_gt_u32_e32 8, v96
; %bb.793:                              ;   in Loop: Header=BB169_424 Depth=1
	v_ffbh_u32_e32 v7, v5
	v_min_u32_e32 v7, 32, v7
	v_subrev_nc_u32_e32 v9, 28, v7
	v_sub_nc_u32_e32 v7, 29, v7
	v_lshlrev_b64 v[23:24], v9, v[5:6]
	v_and_b32_e32 v5, 7, v23
; %bb.794:                              ;   in Loop: Header=BB169_424 Depth=1
	s_or_b32 exec_lo, exec_lo, s27
	v_lshlrev_b32_sdwa v9, v45, v95 dst_sel:DWORD dst_unused:UNUSED_PAD src0_sel:DWORD src1_sel:BYTE_3
	v_lshlrev_b32_e32 v5, 20, v5
	v_lshl_add_u32 v7, v7, 23, 0x3c000000
	v_mov_b32_e32 v23, v6
	v_and_b32_e32 v9, 0x80000000, v9
	v_or3_b32 v24, v5, v9, v7
.LBB169_795:                            ;   in Loop: Header=BB169_424 Depth=1
	s_or_b32 exec_lo, exec_lo, s26
.LBB169_796:                            ;   in Loop: Header=BB169_424 Depth=1
	s_or_b32 exec_lo, exec_lo, s22
.LBB169_797:                            ;   in Loop: Header=BB169_424 Depth=1
	s_or_b32 exec_lo, exec_lo, s21
	v_or_b32_e32 v5, v20, v18
	v_or_b32_e32 v7, v19, v17
	;; [unrolled: 1-line block ×4, first 2 shown]
	v_mul_f32_e32 v95, s18, v5
	v_mul_f32_e32 v96, s17, v7
	;; [unrolled: 1-line block ×4, first 2 shown]
	s_and_saveexec_b32 s21, vcc_lo
	s_cbranch_execz .LBB169_799
; %bb.798:                              ;   in Loop: Header=BB169_424 Depth=1
	v_cmp_gt_i32_e64 s0, s33, v53
	v_cndmask_b32_e64 v96, 0, v96, s0
	v_cmp_gt_i32_e64 s0, s33, v56
	v_cndmask_b32_e64 v95, 0, v95, s0
	;; [unrolled: 2-line block ×4, first 2 shown]
.LBB169_799:                            ;   in Loop: Header=BB169_424 Depth=1
	s_or_b32 exec_lo, exec_lo, s21
	global_load_dword v97, v[15:16], off offset:1408
	v_mov_b32_e32 v17, 0
	v_mov_b32_e32 v15, 0
	;; [unrolled: 1-line block ×4, first 2 shown]
	s_waitcnt vmcnt(0)
	v_cmp_ne_u16_sdwa s0, v97, v6 src0_sel:BYTE_0 src1_sel:DWORD
	s_and_saveexec_b32 s21, s0
	s_cbranch_execz .LBB169_807
; %bb.800:                              ;   in Loop: Header=BB169_424 Depth=1
	v_bfrev_b32_e32 v15, 1
	v_mov_b32_e32 v16, 0
	v_cmp_ne_u16_sdwa s0, v97, v41 src0_sel:BYTE_0 src1_sel:DWORD
	s_and_saveexec_b32 s22, s0
	s_cbranch_execz .LBB169_806
; %bb.801:                              ;   in Loop: Header=BB169_424 Depth=1
	v_mov_b32_e32 v15, 0x7f800001
	v_and_b32_e32 v9, 0x7f, v97
	v_mov_b32_e32 v16, 0
	s_mov_b32 s26, exec_lo
	v_cmpx_ne_u32_e32 0x7f, v9
	s_cbranch_execz .LBB169_805
; %bb.802:                              ;   in Loop: Header=BB169_424 Depth=1
	v_and_b32_e32 v5, 7, v97
	v_lshrrev_b32_e32 v7, 3, v9
	s_mov_b32 s27, exec_lo
	v_cmpx_gt_u32_e32 8, v9
; %bb.803:                              ;   in Loop: Header=BB169_424 Depth=1
	v_ffbh_u32_e32 v7, v5
	v_min_u32_e32 v7, 32, v7
	v_subrev_nc_u32_e32 v9, 28, v7
	v_sub_nc_u32_e32 v7, 29, v7
	v_lshlrev_b64 v[15:16], v9, v[5:6]
	v_and_b32_e32 v5, 7, v15
; %bb.804:                              ;   in Loop: Header=BB169_424 Depth=1
	s_or_b32 exec_lo, exec_lo, s27
	v_lshlrev_b32_e32 v9, 24, v97
	v_lshlrev_b32_e32 v5, 20, v5
	v_lshl_add_u32 v7, v7, 23, 0x3c000000
	v_and_b32_e32 v9, 0x80000000, v9
	v_or3_b32 v5, v5, v9, v7
	v_mov_b32_e32 v16, v6
	v_mov_b32_e32 v15, v5
.LBB169_805:                            ;   in Loop: Header=BB169_424 Depth=1
	s_or_b32 exec_lo, exec_lo, s26
.LBB169_806:                            ;   in Loop: Header=BB169_424 Depth=1
	s_or_b32 exec_lo, exec_lo, s22
.LBB169_807:                            ;   in Loop: Header=BB169_424 Depth=1
	s_or_b32 exec_lo, exec_lo, s21
	v_cmp_ne_u16_sdwa s0, v97, v6 src0_sel:BYTE_1 src1_sel:DWORD
	s_and_saveexec_b32 s21, s0
	s_cbranch_execz .LBB169_815
; %bb.808:                              ;   in Loop: Header=BB169_424 Depth=1
	v_mov_b32_e32 v7, v6
	v_mov_b32_e32 v18, v8
	v_cmp_ne_u16_sdwa s0, v97, v41 src0_sel:BYTE_1 src1_sel:DWORD
	v_mov_b32_e32 v17, v7
	s_and_saveexec_b32 s22, s0
	s_cbranch_execz .LBB169_814
; %bb.809:                              ;   in Loop: Header=BB169_424 Depth=1
	v_and_b32_sdwa v5, v42, v97 dst_sel:DWORD dst_unused:UNUSED_PAD src0_sel:DWORD src1_sel:BYTE_1
	v_mov_b32_e32 v9, v6
	v_mov_b32_e32 v18, v10
	s_mov_b32 s26, exec_lo
	v_and_b32_e32 v19, 0x7f, v5
	v_mov_b32_e32 v17, v9
	v_cmpx_ne_u32_e32 0x7f, v19
	s_cbranch_execz .LBB169_813
; %bb.810:                              ;   in Loop: Header=BB169_424 Depth=1
	v_and_b32_e32 v5, 7, v5
	v_lshrrev_b32_e32 v7, 3, v19
	s_mov_b32 s27, exec_lo
	v_cmpx_gt_u32_e32 8, v19
; %bb.811:                              ;   in Loop: Header=BB169_424 Depth=1
	v_ffbh_u32_e32 v7, v5
	v_min_u32_e32 v7, 32, v7
	v_subrev_nc_u32_e32 v9, 28, v7
	v_sub_nc_u32_e32 v7, 29, v7
	v_lshlrev_b64 v[17:18], v9, v[5:6]
	v_and_b32_e32 v5, 7, v17
; %bb.812:                              ;   in Loop: Header=BB169_424 Depth=1
	s_or_b32 exec_lo, exec_lo, s27
	v_lshlrev_b32_e32 v9, 16, v97
	v_lshlrev_b32_e32 v5, 20, v5
	v_lshl_add_u32 v7, v7, 23, 0x3c000000
	v_mov_b32_e32 v17, v6
	v_and_b32_e32 v9, 0x80000000, v9
	v_or3_b32 v18, v5, v9, v7
.LBB169_813:                            ;   in Loop: Header=BB169_424 Depth=1
	s_or_b32 exec_lo, exec_lo, s26
.LBB169_814:                            ;   in Loop: Header=BB169_424 Depth=1
	s_or_b32 exec_lo, exec_lo, s22
.LBB169_815:                            ;   in Loop: Header=BB169_424 Depth=1
	s_or_b32 exec_lo, exec_lo, s21
	v_mov_b32_e32 v21, 0
	v_mov_b32_e32 v19, 0
	v_and_b32_sdwa v5, v97, v43 dst_sel:DWORD dst_unused:UNUSED_PAD src0_sel:WORD_1 src1_sel:DWORD
	v_mov_b32_e32 v22, 0
	v_mov_b32_e32 v20, 0
	s_mov_b32 s21, exec_lo
	v_cmpx_ne_u16_e32 0, v5
	s_cbranch_execz .LBB169_823
; %bb.816:                              ;   in Loop: Header=BB169_424 Depth=1
	v_bfrev_b32_e32 v19, 1
	v_mov_b32_e32 v20, 0
	s_mov_b32 s22, exec_lo
	v_cmpx_ne_u16_e32 0x80, v5
	s_cbranch_execz .LBB169_822
; %bb.817:                              ;   in Loop: Header=BB169_424 Depth=1
	v_mov_b32_e32 v19, 0x7f800001
	v_bfe_u32 v9, v97, 16, 7
	v_mov_b32_e32 v20, 0
	s_mov_b32 s26, exec_lo
	v_cmpx_ne_u32_e32 0x7f, v9
	s_cbranch_execz .LBB169_821
; %bb.818:                              ;   in Loop: Header=BB169_424 Depth=1
	v_and_b32_sdwa v5, v97, v44 dst_sel:DWORD dst_unused:UNUSED_PAD src0_sel:WORD_1 src1_sel:DWORD
	v_lshrrev_b32_e32 v7, 3, v9
	s_mov_b32 s27, exec_lo
	v_cmpx_gt_u32_e32 8, v9
; %bb.819:                              ;   in Loop: Header=BB169_424 Depth=1
	v_ffbh_u32_e32 v7, v5
	v_min_u32_e32 v7, 32, v7
	v_subrev_nc_u32_e32 v9, 28, v7
	v_sub_nc_u32_e32 v7, 29, v7
	v_lshlrev_b64 v[19:20], v9, v[5:6]
	v_and_b32_e32 v5, 7, v19
; %bb.820:                              ;   in Loop: Header=BB169_424 Depth=1
	s_or_b32 exec_lo, exec_lo, s27
	v_lshlrev_b32_sdwa v9, v45, v97 dst_sel:DWORD dst_unused:UNUSED_PAD src0_sel:DWORD src1_sel:WORD_1
	v_lshlrev_b32_e32 v5, 20, v5
	v_lshl_add_u32 v7, v7, 23, 0x3c000000
	v_and_b32_e32 v9, 0x80000000, v9
	v_or3_b32 v5, v5, v9, v7
	v_mov_b32_e32 v20, v6
	v_mov_b32_e32 v19, v5
.LBB169_821:                            ;   in Loop: Header=BB169_424 Depth=1
	s_or_b32 exec_lo, exec_lo, s26
.LBB169_822:                            ;   in Loop: Header=BB169_424 Depth=1
	s_or_b32 exec_lo, exec_lo, s22
.LBB169_823:                            ;   in Loop: Header=BB169_424 Depth=1
	s_or_b32 exec_lo, exec_lo, s21
	s_mov_b32 s21, exec_lo
	v_cmpx_lt_u32_e32 0xffffff, v97
	s_cbranch_execz .LBB169_831
; %bb.824:                              ;   in Loop: Header=BB169_424 Depth=1
	v_mov_b32_e32 v7, v6
	v_mov_b32_e32 v22, v8
	v_cmp_ne_u32_sdwa s0, v97, v41 src0_sel:BYTE_3 src1_sel:DWORD
	v_mov_b32_e32 v21, v7
	s_and_saveexec_b32 s22, s0
	s_cbranch_execz .LBB169_830
; %bb.825:                              ;   in Loop: Header=BB169_424 Depth=1
	v_mov_b32_e32 v9, v6
	v_mov_b32_e32 v22, v10
	v_bfe_u32 v98, v97, 24, 7
	s_mov_b32 s26, exec_lo
	v_mov_b32_e32 v21, v9
	v_cmpx_ne_u32_e32 0x7f, v98
	s_cbranch_execz .LBB169_829
; %bb.826:                              ;   in Loop: Header=BB169_424 Depth=1
	v_and_b32_sdwa v5, v97, v44 dst_sel:DWORD dst_unused:UNUSED_PAD src0_sel:BYTE_3 src1_sel:DWORD
	v_lshrrev_b32_e32 v7, 3, v98
	s_mov_b32 s27, exec_lo
	v_cmpx_gt_u32_e32 8, v98
; %bb.827:                              ;   in Loop: Header=BB169_424 Depth=1
	v_ffbh_u32_e32 v7, v5
	v_min_u32_e32 v7, 32, v7
	v_subrev_nc_u32_e32 v9, 28, v7
	v_sub_nc_u32_e32 v7, 29, v7
	v_lshlrev_b64 v[21:22], v9, v[5:6]
	v_and_b32_e32 v5, 7, v21
; %bb.828:                              ;   in Loop: Header=BB169_424 Depth=1
	s_or_b32 exec_lo, exec_lo, s27
	v_lshlrev_b32_sdwa v9, v45, v97 dst_sel:DWORD dst_unused:UNUSED_PAD src0_sel:DWORD src1_sel:BYTE_3
	v_lshlrev_b32_e32 v5, 20, v5
	v_lshl_add_u32 v7, v7, 23, 0x3c000000
	v_mov_b32_e32 v21, v6
	v_and_b32_e32 v9, 0x80000000, v9
	v_or3_b32 v22, v5, v9, v7
.LBB169_829:                            ;   in Loop: Header=BB169_424 Depth=1
	s_or_b32 exec_lo, exec_lo, s26
.LBB169_830:                            ;   in Loop: Header=BB169_424 Depth=1
	s_or_b32 exec_lo, exec_lo, s22
.LBB169_831:                            ;   in Loop: Header=BB169_424 Depth=1
	s_or_b32 exec_lo, exec_lo, s21
	v_or_b32_e32 v5, v18, v16
	v_or_b32_e32 v7, v17, v15
	;; [unrolled: 1-line block ×4, first 2 shown]
	v_mul_f32_e32 v9, s18, v5
	v_mul_f32_e32 v15, s17, v7
	;; [unrolled: 1-line block ×4, first 2 shown]
	s_and_saveexec_b32 s0, vcc_lo
	s_cbranch_execz .LBB169_422
; %bb.832:                              ;   in Loop: Header=BB169_424 Depth=1
	v_cmp_gt_i32_e32 vcc_lo, s33, v53
	v_cndmask_b32_e32 v15, 0, v15, vcc_lo
	v_cmp_gt_i32_e32 vcc_lo, s33, v56
	v_cndmask_b32_e32 v9, 0, v9, vcc_lo
	v_cmp_gt_i32_e32 vcc_lo, s33, v55
	v_cndmask_b32_e32 v7, 0, v7, vcc_lo
	v_cmp_gt_i32_e32 vcc_lo, s33, v54
	v_cndmask_b32_e32 v5, 0, v5, vcc_lo
	s_branch .LBB169_422
.LBB169_833:
	s_or_b32 exec_lo, exec_lo, s5
.LBB169_834:
	s_or_b32 exec_lo, exec_lo, s1
	ds_bpermute_b32 v1, v26, v38
	ds_bpermute_b32 v2, v26, v39
	;; [unrolled: 1-line block ×12, first 2 shown]
	v_lshrrev_b32_e32 v13, 1, v25
	v_and_b32_e32 v16, 0x3c1, v0
	v_mul_u32_u24_e32 v15, 0x300, v57
	s_mov_b32 s0, exec_lo
	s_waitcnt lgkmcnt(0)
	v_lshl_add_u32 v14, v13, 2, 0x320
	s_barrier
	buffer_gl0_inv
	v_add_f32_e32 v1, v38, v1
	v_add_f32_e32 v2, v39, v2
	;; [unrolled: 1-line block ×12, first 2 shown]
	v_cmpx_eq_u32_e32 64, v16
	s_cbranch_execz .LBB169_836
; %bb.835:
	v_add_nc_u32_e32 v16, v14, v15
	v_add_nc_u32_e32 v17, 0xfffffa00, v16
	;; [unrolled: 1-line block ×8, first 2 shown]
	ds_write_b32 v17, v1
	ds_write_b32 v18, v2
	;; [unrolled: 1-line block ×7, first 2 shown]
	v_add_nc_u32_e32 v17, 0xfffffbc0, v16
	v_add_nc_u32_e32 v18, 0xfffffc00, v16
	;; [unrolled: 1-line block ×5, first 2 shown]
	ds_write_b32 v17, v8
	ds_write_b32 v18, v9
	;; [unrolled: 1-line block ×5, first 2 shown]
.LBB169_836:
	s_or_b32 exec_lo, exec_lo, s0
	v_lshlrev_b32_e32 v13, 2, v13
	s_mov_b32 s1, exec_lo
	v_cmp_eq_u32_e32 vcc_lo, 0, v27
	s_waitcnt lgkmcnt(0)
	s_barrier
	v_add3_u32 v13, 0x320, v15, v13
	buffer_gl0_inv
	v_cmpx_gt_u32_e32 64, v0
	s_cbranch_execz .LBB169_851
; %bb.837:
	s_and_saveexec_b32 s0, vcc_lo
	s_cbranch_execnz .LBB169_871
; %bb.838:
	s_or_b32 exec_lo, exec_lo, s0
	s_and_saveexec_b32 s0, vcc_lo
	s_cbranch_execnz .LBB169_872
.LBB169_839:
	s_or_b32 exec_lo, exec_lo, s0
	s_and_saveexec_b32 s0, vcc_lo
	s_cbranch_execnz .LBB169_873
.LBB169_840:
	s_or_b32 exec_lo, exec_lo, s0
	s_and_saveexec_b32 s0, vcc_lo
	s_cbranch_execnz .LBB169_874
.LBB169_841:
	s_or_b32 exec_lo, exec_lo, s0
	s_and_saveexec_b32 s0, vcc_lo
	s_cbranch_execnz .LBB169_875
.LBB169_842:
	s_or_b32 exec_lo, exec_lo, s0
	s_and_saveexec_b32 s0, vcc_lo
	s_cbranch_execnz .LBB169_876
.LBB169_843:
	s_or_b32 exec_lo, exec_lo, s0
	s_and_saveexec_b32 s0, vcc_lo
	s_cbranch_execnz .LBB169_877
.LBB169_844:
	s_or_b32 exec_lo, exec_lo, s0
	s_and_saveexec_b32 s0, vcc_lo
	s_cbranch_execnz .LBB169_878
.LBB169_845:
	s_or_b32 exec_lo, exec_lo, s0
	s_and_saveexec_b32 s0, vcc_lo
	s_cbranch_execnz .LBB169_879
.LBB169_846:
	s_or_b32 exec_lo, exec_lo, s0
	s_and_saveexec_b32 s0, vcc_lo
	s_cbranch_execnz .LBB169_880
.LBB169_847:
	s_or_b32 exec_lo, exec_lo, s0
	s_and_saveexec_b32 s0, vcc_lo
	s_cbranch_execnz .LBB169_881
.LBB169_848:
	s_or_b32 exec_lo, exec_lo, s0
	s_and_saveexec_b32 s0, vcc_lo
	s_cbranch_execz .LBB169_850
.LBB169_849:
	ds_read_b32 v15, v13 offset:704
	s_waitcnt lgkmcnt(0)
	v_add_f32_e32 v12, v12, v15
.LBB169_850:
	s_or_b32 exec_lo, exec_lo, s0
.LBB169_851:
	s_or_b32 exec_lo, exec_lo, s1
	v_and_b32_e32 v15, 0x3e1, v0
	s_mov_b32 s1, exec_lo
	s_barrier
	buffer_gl0_inv
	v_cmpx_eq_u32_e32 32, v15
	s_cbranch_execz .LBB169_853
; %bb.852:
	ds_write2_b32 v14, v1, v2 offset1:16
	ds_write2_b32 v14, v3, v4 offset0:32 offset1:48
	ds_write2_b32 v14, v5, v6 offset0:64 offset1:80
	;; [unrolled: 1-line block ×5, first 2 shown]
.LBB169_853:
	s_or_b32 exec_lo, exec_lo, s1
	s_mov_b32 s1, exec_lo
	s_waitcnt lgkmcnt(0)
	s_barrier
	buffer_gl0_inv
	v_cmpx_gt_u32_e32 32, v0
	s_cbranch_execz .LBB169_868
; %bb.854:
	s_and_saveexec_b32 s0, vcc_lo
	s_cbranch_execnz .LBB169_882
; %bb.855:
	s_or_b32 exec_lo, exec_lo, s0
	s_and_saveexec_b32 s0, vcc_lo
	s_cbranch_execnz .LBB169_883
.LBB169_856:
	s_or_b32 exec_lo, exec_lo, s0
	s_and_saveexec_b32 s0, vcc_lo
	s_cbranch_execnz .LBB169_884
.LBB169_857:
	s_or_b32 exec_lo, exec_lo, s0
	s_and_saveexec_b32 s0, vcc_lo
	s_cbranch_execnz .LBB169_885
.LBB169_858:
	s_or_b32 exec_lo, exec_lo, s0
	s_and_saveexec_b32 s0, vcc_lo
	s_cbranch_execnz .LBB169_886
.LBB169_859:
	s_or_b32 exec_lo, exec_lo, s0
	s_and_saveexec_b32 s0, vcc_lo
	s_cbranch_execnz .LBB169_887
.LBB169_860:
	s_or_b32 exec_lo, exec_lo, s0
	s_and_saveexec_b32 s0, vcc_lo
	s_cbranch_execnz .LBB169_888
.LBB169_861:
	s_or_b32 exec_lo, exec_lo, s0
	s_and_saveexec_b32 s0, vcc_lo
	s_cbranch_execnz .LBB169_889
.LBB169_862:
	s_or_b32 exec_lo, exec_lo, s0
	s_and_saveexec_b32 s0, vcc_lo
	s_cbranch_execnz .LBB169_890
.LBB169_863:
	s_or_b32 exec_lo, exec_lo, s0
	s_and_saveexec_b32 s0, vcc_lo
	s_cbranch_execnz .LBB169_891
.LBB169_864:
	s_or_b32 exec_lo, exec_lo, s0
	s_and_saveexec_b32 s0, vcc_lo
	s_cbranch_execnz .LBB169_892
.LBB169_865:
	s_or_b32 exec_lo, exec_lo, s0
	s_and_saveexec_b32 s0, vcc_lo
	s_cbranch_execz .LBB169_867
.LBB169_866:
	ds_read_b32 v13, v13 offset:704
	s_waitcnt lgkmcnt(0)
	v_add_f32_e32 v12, v12, v13
.LBB169_867:
	s_or_b32 exec_lo, exec_lo, s0
.LBB169_868:
	s_or_b32 exec_lo, exec_lo, s1
	s_barrier
	buffer_gl0_inv
	s_mov_b32 s0, exec_lo
	v_cmpx_eq_u32_e32 0, v15
	s_cbranch_execz .LBB169_870
; %bb.869:
	s_mul_i32 s0, s10, s11
	s_mul_i32 s2, s11, s24
	s_mul_i32 s0, s0, s9
	v_lshlrev_b32_e32 v0, 1, v0
	s_mulk_i32 s0, 0xc0
	s_ashr_i32 s1, s0, 31
	s_lshl_b64 s[0:1], s[0:1], 2
	s_add_u32 s4, s6, s0
	s_addc_u32 s5, s7, s1
	s_ashr_i32 s3, s2, 31
	s_lshl_b64 s[0:1], s[2:3], 2
	s_mul_i32 s2, s8, 0xc0
	s_add_u32 s4, s4, s0
	s_addc_u32 s5, s5, s1
	s_ashr_i32 s3, s2, 31
	s_lshl_b64 s[0:1], s[2:3], 2
	s_add_u32 s0, s4, s0
	s_addc_u32 s1, s5, s1
	global_store_dword v0, v1, s[0:1]
	global_store_dword v0, v2, s[0:1] offset:64
	global_store_dword v0, v3, s[0:1] offset:128
	;; [unrolled: 1-line block ×11, first 2 shown]
.LBB169_870:
	s_endpgm
.LBB169_871:
	ds_read_b32 v15, v13
	s_waitcnt lgkmcnt(0)
	v_add_f32_e32 v1, v1, v15
	s_or_b32 exec_lo, exec_lo, s0
	s_and_saveexec_b32 s0, vcc_lo
	s_cbranch_execz .LBB169_839
.LBB169_872:
	ds_read_b32 v15, v13 offset:64
	s_waitcnt lgkmcnt(0)
	v_add_f32_e32 v2, v2, v15
	s_or_b32 exec_lo, exec_lo, s0
	s_and_saveexec_b32 s0, vcc_lo
	s_cbranch_execz .LBB169_840
.LBB169_873:
	ds_read_b32 v15, v13 offset:128
	s_waitcnt lgkmcnt(0)
	v_add_f32_e32 v3, v3, v15
	s_or_b32 exec_lo, exec_lo, s0
	s_and_saveexec_b32 s0, vcc_lo
	s_cbranch_execz .LBB169_841
.LBB169_874:
	ds_read_b32 v15, v13 offset:192
	s_waitcnt lgkmcnt(0)
	v_add_f32_e32 v4, v4, v15
	s_or_b32 exec_lo, exec_lo, s0
	s_and_saveexec_b32 s0, vcc_lo
	s_cbranch_execz .LBB169_842
.LBB169_875:
	ds_read_b32 v15, v13 offset:256
	s_waitcnt lgkmcnt(0)
	v_add_f32_e32 v5, v5, v15
	s_or_b32 exec_lo, exec_lo, s0
	s_and_saveexec_b32 s0, vcc_lo
	s_cbranch_execz .LBB169_843
.LBB169_876:
	ds_read_b32 v15, v13 offset:320
	s_waitcnt lgkmcnt(0)
	v_add_f32_e32 v6, v6, v15
	s_or_b32 exec_lo, exec_lo, s0
	s_and_saveexec_b32 s0, vcc_lo
	s_cbranch_execz .LBB169_844
.LBB169_877:
	ds_read_b32 v15, v13 offset:384
	s_waitcnt lgkmcnt(0)
	v_add_f32_e32 v7, v7, v15
	s_or_b32 exec_lo, exec_lo, s0
	s_and_saveexec_b32 s0, vcc_lo
	s_cbranch_execz .LBB169_845
.LBB169_878:
	ds_read_b32 v15, v13 offset:448
	s_waitcnt lgkmcnt(0)
	v_add_f32_e32 v8, v8, v15
	s_or_b32 exec_lo, exec_lo, s0
	s_and_saveexec_b32 s0, vcc_lo
	s_cbranch_execz .LBB169_846
.LBB169_879:
	ds_read_b32 v15, v13 offset:512
	s_waitcnt lgkmcnt(0)
	v_add_f32_e32 v9, v9, v15
	s_or_b32 exec_lo, exec_lo, s0
	s_and_saveexec_b32 s0, vcc_lo
	s_cbranch_execz .LBB169_847
.LBB169_880:
	ds_read_b32 v15, v13 offset:576
	s_waitcnt lgkmcnt(0)
	v_add_f32_e32 v10, v10, v15
	s_or_b32 exec_lo, exec_lo, s0
	s_and_saveexec_b32 s0, vcc_lo
	s_cbranch_execz .LBB169_848
.LBB169_881:
	ds_read_b32 v15, v13 offset:640
	s_waitcnt lgkmcnt(0)
	v_add_f32_e32 v11, v11, v15
	s_or_b32 exec_lo, exec_lo, s0
	s_and_saveexec_b32 s0, vcc_lo
	s_cbranch_execnz .LBB169_849
	s_branch .LBB169_850
.LBB169_882:
	ds_read_b32 v14, v13
	s_waitcnt lgkmcnt(0)
	v_add_f32_e32 v1, v1, v14
	s_or_b32 exec_lo, exec_lo, s0
	s_and_saveexec_b32 s0, vcc_lo
	s_cbranch_execz .LBB169_856
.LBB169_883:
	ds_read_b32 v14, v13 offset:64
	s_waitcnt lgkmcnt(0)
	v_add_f32_e32 v2, v2, v14
	s_or_b32 exec_lo, exec_lo, s0
	s_and_saveexec_b32 s0, vcc_lo
	s_cbranch_execz .LBB169_857
.LBB169_884:
	ds_read_b32 v14, v13 offset:128
	s_waitcnt lgkmcnt(0)
	v_add_f32_e32 v3, v3, v14
	s_or_b32 exec_lo, exec_lo, s0
	s_and_saveexec_b32 s0, vcc_lo
	s_cbranch_execz .LBB169_858
.LBB169_885:
	ds_read_b32 v14, v13 offset:192
	s_waitcnt lgkmcnt(0)
	v_add_f32_e32 v4, v4, v14
	s_or_b32 exec_lo, exec_lo, s0
	s_and_saveexec_b32 s0, vcc_lo
	s_cbranch_execz .LBB169_859
.LBB169_886:
	ds_read_b32 v14, v13 offset:256
	s_waitcnt lgkmcnt(0)
	v_add_f32_e32 v5, v5, v14
	s_or_b32 exec_lo, exec_lo, s0
	s_and_saveexec_b32 s0, vcc_lo
	s_cbranch_execz .LBB169_860
.LBB169_887:
	ds_read_b32 v14, v13 offset:320
	s_waitcnt lgkmcnt(0)
	v_add_f32_e32 v6, v6, v14
	s_or_b32 exec_lo, exec_lo, s0
	s_and_saveexec_b32 s0, vcc_lo
	s_cbranch_execz .LBB169_861
.LBB169_888:
	ds_read_b32 v14, v13 offset:384
	s_waitcnt lgkmcnt(0)
	v_add_f32_e32 v7, v7, v14
	s_or_b32 exec_lo, exec_lo, s0
	s_and_saveexec_b32 s0, vcc_lo
	s_cbranch_execz .LBB169_862
.LBB169_889:
	ds_read_b32 v14, v13 offset:448
	s_waitcnt lgkmcnt(0)
	v_add_f32_e32 v8, v8, v14
	s_or_b32 exec_lo, exec_lo, s0
	s_and_saveexec_b32 s0, vcc_lo
	s_cbranch_execz .LBB169_863
.LBB169_890:
	ds_read_b32 v14, v13 offset:512
	s_waitcnt lgkmcnt(0)
	v_add_f32_e32 v9, v9, v14
	s_or_b32 exec_lo, exec_lo, s0
	s_and_saveexec_b32 s0, vcc_lo
	s_cbranch_execz .LBB169_864
.LBB169_891:
	ds_read_b32 v14, v13 offset:576
	s_waitcnt lgkmcnt(0)
	v_add_f32_e32 v10, v10, v14
	s_or_b32 exec_lo, exec_lo, s0
	s_and_saveexec_b32 s0, vcc_lo
	s_cbranch_execz .LBB169_865
.LBB169_892:
	ds_read_b32 v14, v13 offset:640
	s_waitcnt lgkmcnt(0)
	v_add_f32_e32 v11, v11, v14
	s_or_b32 exec_lo, exec_lo, s0
	s_and_saveexec_b32 s0, vcc_lo
	s_cbranch_execnz .LBB169_866
	s_branch .LBB169_867
	.section	.rodata,"a",@progbits
	.p2align	6, 0x0
	.amdhsa_kernel _ZN4vllm25paged_attention_v1_kernelIfhLi192ELi8ELi128ELNS_18Fp8KVCacheDataTypeE1ELb1EEEvPT_PKS2_PKT0_S8_ifPKiSA_iPKfiiiSC_SC_iiiii
		.amdhsa_group_segment_fixed_size 800
		.amdhsa_private_segment_fixed_size 0
		.amdhsa_kernarg_size 384
		.amdhsa_user_sgpr_count 6
		.amdhsa_user_sgpr_private_segment_buffer 1
		.amdhsa_user_sgpr_dispatch_ptr 0
		.amdhsa_user_sgpr_queue_ptr 0
		.amdhsa_user_sgpr_kernarg_segment_ptr 1
		.amdhsa_user_sgpr_dispatch_id 0
		.amdhsa_user_sgpr_flat_scratch_init 0
		.amdhsa_user_sgpr_private_segment_size 0
		.amdhsa_wavefront_size32 1
		.amdhsa_uses_dynamic_stack 0
		.amdhsa_system_sgpr_private_segment_wavefront_offset 0
		.amdhsa_system_sgpr_workgroup_id_x 1
		.amdhsa_system_sgpr_workgroup_id_y 1
		.amdhsa_system_sgpr_workgroup_id_z 1
		.amdhsa_system_sgpr_workgroup_info 0
		.amdhsa_system_vgpr_workitem_id 0
		.amdhsa_next_free_vgpr 124
		.amdhsa_next_free_sgpr 45
		.amdhsa_reserve_vcc 1
		.amdhsa_reserve_flat_scratch 0
		.amdhsa_float_round_mode_32 0
		.amdhsa_float_round_mode_16_64 0
		.amdhsa_float_denorm_mode_32 3
		.amdhsa_float_denorm_mode_16_64 3
		.amdhsa_dx10_clamp 1
		.amdhsa_ieee_mode 1
		.amdhsa_fp16_overflow 0
		.amdhsa_workgroup_processor_mode 1
		.amdhsa_memory_ordered 1
		.amdhsa_forward_progress 1
		.amdhsa_shared_vgpr_count 0
		.amdhsa_exception_fp_ieee_invalid_op 0
		.amdhsa_exception_fp_denorm_src 0
		.amdhsa_exception_fp_ieee_div_zero 0
		.amdhsa_exception_fp_ieee_overflow 0
		.amdhsa_exception_fp_ieee_underflow 0
		.amdhsa_exception_fp_ieee_inexact 0
		.amdhsa_exception_int_div_zero 0
	.end_amdhsa_kernel
	.section	.text._ZN4vllm25paged_attention_v1_kernelIfhLi192ELi8ELi128ELNS_18Fp8KVCacheDataTypeE1ELb1EEEvPT_PKS2_PKT0_S8_ifPKiSA_iPKfiiiSC_SC_iiiii,"axG",@progbits,_ZN4vllm25paged_attention_v1_kernelIfhLi192ELi8ELi128ELNS_18Fp8KVCacheDataTypeE1ELb1EEEvPT_PKS2_PKT0_S8_ifPKiSA_iPKfiiiSC_SC_iiiii,comdat
.Lfunc_end169:
	.size	_ZN4vllm25paged_attention_v1_kernelIfhLi192ELi8ELi128ELNS_18Fp8KVCacheDataTypeE1ELb1EEEvPT_PKS2_PKT0_S8_ifPKiSA_iPKfiiiSC_SC_iiiii, .Lfunc_end169-_ZN4vllm25paged_attention_v1_kernelIfhLi192ELi8ELi128ELNS_18Fp8KVCacheDataTypeE1ELb1EEEvPT_PKS2_PKT0_S8_ifPKiSA_iPKfiiiSC_SC_iiiii
                                        ; -- End function
	.set _ZN4vllm25paged_attention_v1_kernelIfhLi192ELi8ELi128ELNS_18Fp8KVCacheDataTypeE1ELb1EEEvPT_PKS2_PKT0_S8_ifPKiSA_iPKfiiiSC_SC_iiiii.num_vgpr, 124
	.set _ZN4vllm25paged_attention_v1_kernelIfhLi192ELi8ELi128ELNS_18Fp8KVCacheDataTypeE1ELb1EEEvPT_PKS2_PKT0_S8_ifPKiSA_iPKfiiiSC_SC_iiiii.num_agpr, 0
	.set _ZN4vllm25paged_attention_v1_kernelIfhLi192ELi8ELi128ELNS_18Fp8KVCacheDataTypeE1ELb1EEEvPT_PKS2_PKT0_S8_ifPKiSA_iPKfiiiSC_SC_iiiii.numbered_sgpr, 45
	.set _ZN4vllm25paged_attention_v1_kernelIfhLi192ELi8ELi128ELNS_18Fp8KVCacheDataTypeE1ELb1EEEvPT_PKS2_PKT0_S8_ifPKiSA_iPKfiiiSC_SC_iiiii.num_named_barrier, 0
	.set _ZN4vllm25paged_attention_v1_kernelIfhLi192ELi8ELi128ELNS_18Fp8KVCacheDataTypeE1ELb1EEEvPT_PKS2_PKT0_S8_ifPKiSA_iPKfiiiSC_SC_iiiii.private_seg_size, 0
	.set _ZN4vllm25paged_attention_v1_kernelIfhLi192ELi8ELi128ELNS_18Fp8KVCacheDataTypeE1ELb1EEEvPT_PKS2_PKT0_S8_ifPKiSA_iPKfiiiSC_SC_iiiii.uses_vcc, 1
	.set _ZN4vllm25paged_attention_v1_kernelIfhLi192ELi8ELi128ELNS_18Fp8KVCacheDataTypeE1ELb1EEEvPT_PKS2_PKT0_S8_ifPKiSA_iPKfiiiSC_SC_iiiii.uses_flat_scratch, 0
	.set _ZN4vllm25paged_attention_v1_kernelIfhLi192ELi8ELi128ELNS_18Fp8KVCacheDataTypeE1ELb1EEEvPT_PKS2_PKT0_S8_ifPKiSA_iPKfiiiSC_SC_iiiii.has_dyn_sized_stack, 0
	.set _ZN4vllm25paged_attention_v1_kernelIfhLi192ELi8ELi128ELNS_18Fp8KVCacheDataTypeE1ELb1EEEvPT_PKS2_PKT0_S8_ifPKiSA_iPKfiiiSC_SC_iiiii.has_recursion, 0
	.set _ZN4vllm25paged_attention_v1_kernelIfhLi192ELi8ELi128ELNS_18Fp8KVCacheDataTypeE1ELb1EEEvPT_PKS2_PKT0_S8_ifPKiSA_iPKfiiiSC_SC_iiiii.has_indirect_call, 0
	.section	.AMDGPU.csdata,"",@progbits
; Kernel info:
; codeLenInByte = 24900
; TotalNumSgprs: 47
; NumVgprs: 124
; ScratchSize: 0
; MemoryBound: 0
; FloatMode: 240
; IeeeMode: 1
; LDSByteSize: 800 bytes/workgroup (compile time only)
; SGPRBlocks: 0
; VGPRBlocks: 15
; NumSGPRsForWavesPerEU: 47
; NumVGPRsForWavesPerEU: 124
; Occupancy: 8
; WaveLimiterHint : 1
; COMPUTE_PGM_RSRC2:SCRATCH_EN: 0
; COMPUTE_PGM_RSRC2:USER_SGPR: 6
; COMPUTE_PGM_RSRC2:TRAP_HANDLER: 0
; COMPUTE_PGM_RSRC2:TGID_X_EN: 1
; COMPUTE_PGM_RSRC2:TGID_Y_EN: 1
; COMPUTE_PGM_RSRC2:TGID_Z_EN: 1
; COMPUTE_PGM_RSRC2:TIDIG_COMP_CNT: 0
	.section	.text._ZN4vllm25paged_attention_v1_kernelIfhLi256ELi8ELi128ELNS_18Fp8KVCacheDataTypeE1ELb1EEEvPT_PKS2_PKT0_S8_ifPKiSA_iPKfiiiSC_SC_iiiii,"axG",@progbits,_ZN4vllm25paged_attention_v1_kernelIfhLi256ELi8ELi128ELNS_18Fp8KVCacheDataTypeE1ELb1EEEvPT_PKS2_PKT0_S8_ifPKiSA_iPKfiiiSC_SC_iiiii,comdat
	.protected	_ZN4vllm25paged_attention_v1_kernelIfhLi256ELi8ELi128ELNS_18Fp8KVCacheDataTypeE1ELb1EEEvPT_PKS2_PKT0_S8_ifPKiSA_iPKfiiiSC_SC_iiiii ; -- Begin function _ZN4vllm25paged_attention_v1_kernelIfhLi256ELi8ELi128ELNS_18Fp8KVCacheDataTypeE1ELb1EEEvPT_PKS2_PKT0_S8_ifPKiSA_iPKfiiiSC_SC_iiiii
	.globl	_ZN4vllm25paged_attention_v1_kernelIfhLi256ELi8ELi128ELNS_18Fp8KVCacheDataTypeE1ELb1EEEvPT_PKS2_PKT0_S8_ifPKiSA_iPKfiiiSC_SC_iiiii
	.p2align	8
	.type	_ZN4vllm25paged_attention_v1_kernelIfhLi256ELi8ELi128ELNS_18Fp8KVCacheDataTypeE1ELb1EEEvPT_PKS2_PKT0_S8_ifPKiSA_iPKfiiiSC_SC_iiiii,@function
_ZN4vllm25paged_attention_v1_kernelIfhLi256ELi8ELi128ELNS_18Fp8KVCacheDataTypeE1ELb1EEEvPT_PKS2_PKT0_S8_ifPKiSA_iPKfiiiSC_SC_iiiii: ; @_ZN4vllm25paged_attention_v1_kernelIfhLi256ELi8ELi128ELNS_18Fp8KVCacheDataTypeE1ELb1EEEvPT_PKS2_PKT0_S8_ifPKiSA_iPKfiiiSC_SC_iiiii
; %bb.0:
	s_mov_b64 s[50:51], s[2:3]
	s_mov_b64 s[48:49], s[0:1]
	s_mov_b32 s10, s7
	s_add_u32 s48, s48, s9
	s_clause 0x2
	s_load_dword s9, s[4:5], 0x80
	s_load_dwordx2 s[0:1], s[4:5], 0x30
	s_load_dwordx2 s[34:35], s[4:5], 0x20
	s_addc_u32 s49, s49, 0
	s_ashr_i32 s11, s7, 31
	v_mov_b32_e32 v44, v0
	s_lshl_b64 s[2:3], s[10:11], 2
	s_mov_b32 s36, 0
	s_waitcnt lgkmcnt(0)
	s_add_u32 s0, s0, s2
	s_addc_u32 s1, s1, s3
	s_abs_i32 s2, s34
	s_abs_i32 s11, s9
	v_cvt_f32_u32_e32 v0, s2
	s_sub_i32 s7, 0, s2
	v_rcp_iflag_f32_e32 v0, v0
	v_mul_f32_e32 v0, 0x4f7ffffe, v0
	v_cvt_u32_f32_e32 v0, v0
	v_readfirstlane_b32 s3, v0
	s_mul_i32 s7, s7, s3
	s_mul_hi_u32 s7, s3, s7
	s_add_i32 s3, s3, s7
	s_xor_b32 s7, s9, s34
	s_mul_hi_u32 s3, s11, s3
	s_ashr_i32 s7, s7, 31
	s_mul_i32 s12, s3, s2
	s_sub_i32 s11, s11, s12
	s_add_i32 s12, s3, 1
	s_sub_i32 s13, s11, s2
	s_cmp_ge_u32 s11, s2
	s_cselect_b32 s3, s12, s3
	s_cselect_b32 s11, s13, s11
	s_add_i32 s12, s3, 1
	s_cmp_ge_u32 s11, s2
	s_cselect_b32 s2, s12, s3
	s_abs_i32 s13, s6
	s_xor_b32 s2, s2, s7
	s_sub_i32 s15, s2, s7
	s_load_dwordx2 s[2:3], s[4:5], 0x40
	s_abs_i32 s12, s15
	v_cvt_f32_u32_e32 v0, s12
	s_sub_i32 s11, 0, s12
	v_rcp_iflag_f32_e32 v0, v0
	v_mul_f32_e32 v0, 0x4f7ffffe, v0
	v_cvt_u32_f32_e32 v0, v0
	v_readfirstlane_b32 s7, v0
	s_mul_i32 s11, s11, s7
	s_mul_hi_u32 s11, s7, s11
	s_add_i32 s7, s7, s11
	s_waitcnt lgkmcnt(0)
	s_cmp_eq_u64 s[2:3], 0
	s_mul_hi_u32 s14, s13, s7
	s_cbranch_scc1 .LBB170_2
; %bb.1:
	s_ashr_i32 s7, s6, 31
	s_lshl_b64 s[16:17], s[6:7], 2
	s_add_u32 s2, s2, s16
	s_addc_u32 s3, s3, s17
	s_load_dword s36, s[2:3], 0x0
.LBB170_2:
	s_load_dword s33, s[0:1], 0x0
	s_clause 0x1
	s_load_dword s11, s[4:5], 0x88
	s_load_dwordx4 s[16:19], s[4:5], 0x48
	v_and_b32_e32 v0, 3, v44
	v_lshlrev_b32_e32 v12, 2, v44
	s_ashr_i32 s2, s6, 31
	s_ashr_i32 s3, s15, 31
	s_lshl_b32 s24, s6, 8
	s_mov_b32 s7, exec_lo
	v_cmpx_gt_u32_e32 0x100, v44
	s_cbranch_execz .LBB170_5
; %bb.3:
	s_load_dwordx2 s[0:1], s[4:5], 0x8
	s_waitcnt lgkmcnt(0)
	s_mul_i32 s20, s16, s10
	v_and_b32_e32 v1, 0x3fc, v44
	s_ashr_i32 s21, s20, 31
	v_cmp_gt_u32_e32 vcc_lo, 0x80, v44
	s_lshl_b64 s[20:21], s[20:21], 2
	v_lshl_add_u32 v1, v0, 8, v1
	s_add_u32 s15, s0, s20
	s_addc_u32 s16, s1, s21
	s_ashr_i32 s25, s24, 31
	s_lshl_b64 s[0:1], s[24:25], 2
	s_add_u32 s0, s15, s0
	s_addc_u32 s1, s16, s1
	global_load_dword v2, v12, s[0:1]
	s_waitcnt vmcnt(0)
	ds_write_b32 v1, v2
	s_and_b32 exec_lo, exec_lo, vcc_lo
	s_cbranch_execz .LBB170_5
; %bb.4:
	v_lshrrev_b32_e32 v2, 2, v44
	v_lshlrev_b32_e32 v3, 2, v0
	v_lshlrev_b32_e32 v2, 4, v2
	v_or3_b32 v2, v2, v3, 0x200
	global_load_dword v2, v2, s[0:1]
	s_waitcnt vmcnt(0)
	ds_write_b32 v1, v2 offset:128
.LBB170_5:
	s_or_b32 exec_lo, exec_lo, s7
	s_load_dwordx4 s[20:23], s[4:5], 0x68
	s_mul_i32 s0, s14, s12
	s_xor_b32 s1, s2, s3
	s_sub_i32 s0, s13, s0
	s_add_i32 s2, s14, 1
	s_sub_i32 s3, s0, s12
	s_cmp_ge_u32 s0, s12
	s_mov_b32 s13, -1
	s_cselect_b32 s2, s2, s14
	s_cselect_b32 s0, s3, s0
	s_add_i32 s3, s2, 1
	s_cmp_ge_u32 s0, s12
	s_load_dword s0, s[4:5], 0x78
	s_cselect_b32 s2, s3, s2
	s_waitcnt lgkmcnt(0)
	s_add_i32 s7, s33, -1
	s_xor_b32 s2, s2, s1
	s_abs_i32 s3, s7
	s_sub_i32 s1, s2, s1
	s_barrier
	s_abs_i32 s16, s23
	buffer_gl0_inv
	v_cvt_f32_u32_e32 v1, s16
	s_sub_i32 s2, 0, s16
                                        ; implicit-def: $sgpr25
	v_rcp_iflag_f32_e32 v1, v1
	v_mul_f32_e32 v1, 0x4f7ffffe, v1
	v_cvt_u32_f32_e32 v1, v1
	v_readfirstlane_b32 s19, v1
	s_mul_i32 s2, s2, s19
	s_mul_hi_u32 s2, s19, s2
	s_add_i32 s19, s19, s2
	s_cmp_lt_i32 s0, 0
	s_mul_hi_u32 s2, s3, s19
	s_cbranch_scc0 .LBB170_7
; %bb.6:
	s_mul_i32 s12, s20, s34
	s_mov_b32 s13, 0
	s_add_i32 s12, s1, s12
	s_mul_i32 s12, s12, s0
	s_sub_i32 s25, 1, s12
.LBB170_7:
	s_load_dwordx2 s[26:27], s[4:5], 0x28
	s_ashr_i32 s12, s7, 31
	s_andn2_b32 vcc_lo, exec_lo, s13
	s_ashr_i32 s23, s23, 31
	s_cbranch_vccnz .LBB170_9
; %bb.8:
	s_mul_i32 s7, s9, s20
	s_add_i32 s6, s7, s6
	s_mul_i32 s0, s6, s0
	s_add_i32 s25, s0, 1
.LBB170_9:
	s_clause 0x2
	s_load_dword s0, s[4:5], 0x38
	s_load_dwordx2 s[6:7], s[4:5], 0x0
	s_load_dwordx2 s[30:31], s[4:5], 0x18
	s_xor_b32 s34, s12, s23
	s_mul_i32 s12, s2, s16
	s_add_i32 s20, s2, 1
	s_sub_i32 s3, s3, s12
	s_load_dwordx4 s[12:15], s[4:5], 0x58
	v_lshrrev_b32_e32 v73, 5, v44
	v_mov_b32_e32 v3, 0xff7fffff
	v_lshrrev_b32_e32 v13, 3, v44
	s_mul_i32 s18, s1, s18
	v_lshlrev_b32_e32 v60, 3, v73
	s_waitcnt lgkmcnt(0)
	s_mul_i32 s28, s0, s10
	s_sub_i32 s0, s3, s16
	s_ashr_i32 s29, s28, 31
	s_cmp_ge_u32 s3, s16
	s_cselect_b32 s2, s20, s2
	s_cselect_b32 s0, s0, s3
	s_add_i32 s3, s2, 1
	s_cmp_ge_u32 s0, s16
	s_cselect_b32 s0, s3, s2
	s_add_i32 s2, s33, 7
	s_ashr_i32 s3, s2, 31
	s_lshr_b32 s3, s3, 29
	s_add_i32 s2, s2, s3
	s_ashr_i32 s20, s2, 3
	s_xor_b32 s2, s0, s34
	v_cmp_gt_i32_e64 s0, s20, v73
	s_sub_i32 s34, s2, s34
	s_and_saveexec_b32 s37, s0
	s_cbranch_execz .LBB170_533
; %bb.10:
	s_load_dwordx2 s[2:3], s[4:5], 0x10
	s_sub_i32 s4, s34, s21
	s_ashr_i32 s1, s18, 31
	v_bfe_u32 v5, v44, 2, 3
	v_and_b32_e32 v2, 0x7c, v13
	v_cmp_eq_u32_e32 vcc_lo, 0, v0
	v_mov_b32_e32 v50, 0
	v_lshlrev_b32_e32 v66, 8, v0
	v_lshlrev_b32_e32 v3, 2, v5
	v_subrev_nc_u32_e32 v4, s33, v5
	buffer_store_dword v5, off, s[48:51], 0 offset:24 ; 4-byte Folded Spill
	v_lshlrev_b32_e32 v5, 4, v5
	v_lshlrev_b32_e32 v67, 3, v73
	v_lshl_or_b32 v3, v73, 5, v3
	v_add_nc_u32_e32 v4, 1, v4
	v_mov_b32_e32 v68, 0x7f
	v_mov_b32_e32 v69, 7
	;; [unrolled: 1-line block ×3, first 2 shown]
	v_add_nc_u32_e32 v71, 0x420, v3
	buffer_store_dword v4, off, s[48:51], 0 offset:28 ; 4-byte Folded Spill
	s_waitcnt lgkmcnt(0)
	s_add_u32 s38, s2, s18
	s_addc_u32 s39, s3, s1
	s_abs_i32 s5, s22
	v_add_co_u32 v4, s38, s38, v5
	v_cvt_f32_u32_e32 v1, s5
	s_sub_i32 s2, 0, s5
	v_add_co_ci_u32_e64 v5, null, s39, 0, s38
	v_cmp_neq_f32_e64 s1, s36, 0
	v_rcp_iflag_f32_e32 v1, v1
	s_mov_b32 s38, 0
	s_mov_b32 s39, s17
	buffer_store_dword v12, off, s[48:51], 0 offset:40 ; 4-byte Folded Spill
	buffer_store_dword v44, off, s[48:51], 0 offset:32 ; 4-byte Folded Spill
	;; [unrolled: 1-line block ×4, first 2 shown]
	v_mul_f32_e32 v1, 0x4f7ffffe, v1
	v_cvt_u32_f32_e32 v1, v1
	v_mul_lo_u32 v3, s2, v1
	s_lshl_b64 s[2:3], s[28:29], 2
	s_add_u32 s2, s26, s2
	s_addc_u32 s3, s27, s3
	v_add_co_u32 v51, s2, s2, v2
	v_add_co_ci_u32_e64 v52, null, s3, 0, s2
	v_mul_hi_u32 v3, v1, v3
	v_add_co_u32 v4, s2, v4, v0
	v_add_co_ci_u32_e64 v5, null, 0, v5, s2
	buffer_store_dword v4, off, s[48:51], 0 offset:16 ; 4-byte Folded Spill
	buffer_store_dword v5, off, s[48:51], 0 offset:20 ; 4-byte Folded Spill
	v_add_nc_u32_e32 v0, v1, v3
	buffer_store_dword v0, off, s[48:51], 0 ; 4-byte Folded Spill
	buffer_store_dword v73, off, s[48:51], 0 offset:36 ; 4-byte Folded Spill
	s_branch .LBB170_13
.LBB170_11:                             ;   in Loop: Header=BB170_13 Depth=1
	s_or_b32 exec_lo, exec_lo, s40
.LBB170_12:                             ;   in Loop: Header=BB170_13 Depth=1
	s_or_b32 exec_lo, exec_lo, s3
	v_add_nc_u32_e32 v73, 4, v73
	v_add_co_u32 v51, s3, v51, 16
	v_add_co_ci_u32_e64 v52, null, 0, v52, s3
	v_cmp_le_i32_e64 s2, s20, v73
	v_add_nc_u32_e32 v67, 32, v67
	v_add_nc_u32_e32 v71, 0x80, v71
	s_or_b32 s38, s2, s38
	s_andn2_b32 exec_lo, exec_lo, s38
	s_cbranch_execz .LBB170_532
.LBB170_13:                             ; =>This Inner Loop Header: Depth=1
	v_mul_hi_u32 v0, v67, s19
	s_waitcnt lgkmcnt(0)
	v_mul_lo_u32 v1, v0, s16
	v_add_nc_u32_e32 v2, 1, v0
	v_sub_nc_u32_e32 v1, v67, v1
	v_subrev_nc_u32_e32 v3, s16, v1
	v_cmp_le_u32_e64 s2, s16, v1
	v_cndmask_b32_e64 v1, v1, v3, s2
	buffer_load_dword v3, off, s[48:51], 0  ; 4-byte Folded Reload
	v_cndmask_b32_e64 v0, v0, v2, s2
	v_cmp_le_u32_e64 s2, s16, v1
	v_add_nc_u32_e32 v2, 1, v0
	v_cndmask_b32_e64 v0, v0, v2, s2
	v_xor_b32_e32 v0, s23, v0
	v_subrev_nc_u32_e32 v0, s23, v0
	v_add_nc_u32_e32 v1, s25, v0
	v_cmp_ge_i32_e64 s3, s4, v0
	v_sub_nc_u32_e32 v2, 0, v1
	v_max_i32_e32 v2, v1, v2
	v_ashrrev_i32_e32 v1, 31, v1
	s_waitcnt vmcnt(0)
	v_mul_hi_u32 v3, v2, v3
	v_mul_lo_u32 v3, v3, s5
	v_sub_nc_u32_e32 v2, v2, v3
	v_subrev_nc_u32_e32 v3, s5, v2
	v_cmp_le_u32_e64 s2, s5, v2
	v_cndmask_b32_e64 v2, v2, v3, s2
	v_subrev_nc_u32_e32 v3, s5, v2
	v_cmp_le_u32_e64 s2, s5, v2
	v_cndmask_b32_e64 v2, v2, v3, s2
	v_xor_b32_e32 v2, v2, v1
	v_sub_nc_u32_e32 v1, v2, v1
	v_cmp_ne_u32_e64 s2, 0, v1
	s_and_b32 s2, s2, s3
	s_and_saveexec_b32 s3, s2
	s_xor_b32 s2, exec_lo, s3
	s_cbranch_execz .LBB170_17
; %bb.14:                               ;   in Loop: Header=BB170_13 Depth=1
	s_and_saveexec_b32 s3, vcc_lo
; %bb.15:                               ;   in Loop: Header=BB170_13 Depth=1
	v_mov_b32_e32 v0, 0xff7fffff
	ds_write_b32 v71, v0
; %bb.16:                               ;   in Loop: Header=BB170_13 Depth=1
	s_or_b32 exec_lo, exec_lo, s3
.LBB170_17:                             ;   in Loop: Header=BB170_13 Depth=1
	s_andn2_saveexec_b32 s3, s2
	s_cbranch_execz .LBB170_12
; %bb.18:                               ;   in Loop: Header=BB170_13 Depth=1
	global_load_dword v0, v[51:52], off
	s_clause 0x1
	buffer_load_dword v1, off, s[48:51], 0 offset:16
	buffer_load_dword v2, off, s[48:51], 0 offset:20
	v_mov_b32_e32 v74, 0
	v_mov_b32_e32 v75, 0
	s_mov_b32 s41, exec_lo
	s_waitcnt vmcnt(0)
	v_mad_i64_i32 v[57:58], null, v0, s39, v[1:2]
	global_load_ubyte v0, v[57:58], off
	ds_read_b128 v[45:48], v66
	ds_read_b128 v[41:44], v66 offset:16
	ds_read_b128 v[37:40], v66 offset:32
	;; [unrolled: 1-line block ×11, first 2 shown]
	ds_read_b64 v[53:54], v66 offset:192
	s_waitcnt lgkmcnt(0)
	buffer_store_dword v53, off, s[48:51], 0 offset:4 ; 4-byte Folded Spill
	buffer_store_dword v54, off, s[48:51], 0 offset:8 ; 4-byte Folded Spill
	s_load_dword s40, s[12:13], 0x0
	s_waitcnt vmcnt(0)
	v_cmpx_ne_u16_e32 0, v0
	s_cbranch_execz .LBB170_26
; %bb.19:                               ;   in Loop: Header=BB170_13 Depth=1
	v_bfrev_b32_e32 v75, 1
	s_mov_b32 s42, exec_lo
	v_cmpx_ne_u16_e32 0x80, v0
	s_cbranch_execz .LBB170_25
; %bb.20:                               ;   in Loop: Header=BB170_13 Depth=1
	v_and_b32_sdwa v54, v0, v68 dst_sel:DWORD dst_unused:UNUSED_PAD src0_sel:WORD_0 src1_sel:DWORD
	v_mov_b32_e32 v75, 0x7f800001
	s_mov_b32 s43, exec_lo
	v_cmpx_ne_u32_e32 0x7f, v54
	s_cbranch_execz .LBB170_24
; %bb.21:                               ;   in Loop: Header=BB170_13 Depth=1
	v_and_b32_sdwa v49, v0, v69 dst_sel:DWORD dst_unused:UNUSED_PAD src0_sel:WORD_0 src1_sel:DWORD
	v_lshrrev_b32_e32 v53, 3, v54
	s_mov_b32 s44, exec_lo
	v_cmpx_gt_u32_e32 8, v54
; %bb.22:                               ;   in Loop: Header=BB170_13 Depth=1
	v_ffbh_u32_e32 v53, v49
	v_min_u32_e32 v53, 32, v53
	v_subrev_nc_u32_e32 v54, 28, v53
	v_sub_nc_u32_e32 v53, 29, v53
	v_lshlrev_b64 v[54:55], v54, v[49:50]
	v_and_b32_e32 v49, 7, v54
; %bb.23:                               ;   in Loop: Header=BB170_13 Depth=1
	s_or_b32 exec_lo, exec_lo, s44
	v_lshlrev_b32_e32 v0, 24, v0
	v_lshlrev_b32_e32 v49, 20, v49
	v_lshl_add_u32 v53, v53, 23, 0x3c000000
	v_and_b32_e32 v0, 0x80000000, v0
	v_or3_b32 v75, v49, v0, v53
.LBB170_24:                             ;   in Loop: Header=BB170_13 Depth=1
	s_or_b32 exec_lo, exec_lo, s43
.LBB170_25:                             ;   in Loop: Header=BB170_13 Depth=1
	s_or_b32 exec_lo, exec_lo, s42
.LBB170_26:                             ;   in Loop: Header=BB170_13 Depth=1
	s_or_b32 exec_lo, exec_lo, s41
	global_load_ubyte v0, v[57:58], off offset:4
	s_mov_b32 s41, exec_lo
	s_waitcnt vmcnt(0)
	v_cmpx_ne_u16_e32 0, v0
	s_cbranch_execz .LBB170_34
; %bb.27:                               ;   in Loop: Header=BB170_13 Depth=1
	v_bfrev_b32_e32 v74, 1
	s_mov_b32 s42, exec_lo
	v_cmpx_ne_u16_e32 0x80, v0
	s_cbranch_execz .LBB170_33
; %bb.28:                               ;   in Loop: Header=BB170_13 Depth=1
	v_and_b32_sdwa v54, v0, v68 dst_sel:DWORD dst_unused:UNUSED_PAD src0_sel:WORD_0 src1_sel:DWORD
	v_mov_b32_e32 v74, 0x7f800001
	s_mov_b32 s43, exec_lo
	v_cmpx_ne_u32_e32 0x7f, v54
	s_cbranch_execz .LBB170_32
; %bb.29:                               ;   in Loop: Header=BB170_13 Depth=1
	v_and_b32_sdwa v49, v0, v69 dst_sel:DWORD dst_unused:UNUSED_PAD src0_sel:WORD_0 src1_sel:DWORD
	v_lshrrev_b32_e32 v53, 3, v54
	s_mov_b32 s44, exec_lo
	v_cmpx_gt_u32_e32 8, v54
; %bb.30:                               ;   in Loop: Header=BB170_13 Depth=1
	v_ffbh_u32_e32 v53, v49
	v_min_u32_e32 v53, 32, v53
	v_subrev_nc_u32_e32 v54, 28, v53
	v_sub_nc_u32_e32 v53, 29, v53
	v_lshlrev_b64 v[54:55], v54, v[49:50]
	v_and_b32_e32 v49, 7, v54
; %bb.31:                               ;   in Loop: Header=BB170_13 Depth=1
	s_or_b32 exec_lo, exec_lo, s44
	v_lshlrev_b32_e32 v0, 24, v0
	v_lshlrev_b32_e32 v49, 20, v49
	v_lshl_add_u32 v53, v53, 23, 0x3c000000
	v_and_b32_e32 v0, 0x80000000, v0
	v_or3_b32 v74, v49, v0, v53
.LBB170_32:                             ;   in Loop: Header=BB170_13 Depth=1
	s_or_b32 exec_lo, exec_lo, s43
.LBB170_33:                             ;   in Loop: Header=BB170_13 Depth=1
	s_or_b32 exec_lo, exec_lo, s42
.LBB170_34:                             ;   in Loop: Header=BB170_13 Depth=1
	s_or_b32 exec_lo, exec_lo, s41
	global_load_ubyte v0, v[57:58], off offset:8
	v_mov_b32_e32 v76, 0
	v_mov_b32_e32 v77, 0
	s_mov_b32 s41, exec_lo
	s_waitcnt vmcnt(0)
	v_cmpx_ne_u16_e32 0, v0
	s_cbranch_execz .LBB170_42
; %bb.35:                               ;   in Loop: Header=BB170_13 Depth=1
	v_bfrev_b32_e32 v77, 1
	s_mov_b32 s42, exec_lo
	v_cmpx_ne_u16_e32 0x80, v0
	s_cbranch_execz .LBB170_41
; %bb.36:                               ;   in Loop: Header=BB170_13 Depth=1
	v_and_b32_sdwa v54, v0, v68 dst_sel:DWORD dst_unused:UNUSED_PAD src0_sel:WORD_0 src1_sel:DWORD
	v_mov_b32_e32 v77, 0x7f800001
	s_mov_b32 s43, exec_lo
	v_cmpx_ne_u32_e32 0x7f, v54
	s_cbranch_execz .LBB170_40
; %bb.37:                               ;   in Loop: Header=BB170_13 Depth=1
	v_and_b32_sdwa v49, v0, v69 dst_sel:DWORD dst_unused:UNUSED_PAD src0_sel:WORD_0 src1_sel:DWORD
	v_lshrrev_b32_e32 v53, 3, v54
	s_mov_b32 s44, exec_lo
	v_cmpx_gt_u32_e32 8, v54
; %bb.38:                               ;   in Loop: Header=BB170_13 Depth=1
	v_ffbh_u32_e32 v53, v49
	v_min_u32_e32 v53, 32, v53
	v_subrev_nc_u32_e32 v54, 28, v53
	v_sub_nc_u32_e32 v53, 29, v53
	v_lshlrev_b64 v[54:55], v54, v[49:50]
	v_and_b32_e32 v49, 7, v54
; %bb.39:                               ;   in Loop: Header=BB170_13 Depth=1
	s_or_b32 exec_lo, exec_lo, s44
	v_lshlrev_b32_e32 v0, 24, v0
	v_lshlrev_b32_e32 v49, 20, v49
	v_lshl_add_u32 v53, v53, 23, 0x3c000000
	v_and_b32_e32 v0, 0x80000000, v0
	v_or3_b32 v77, v49, v0, v53
.LBB170_40:                             ;   in Loop: Header=BB170_13 Depth=1
	s_or_b32 exec_lo, exec_lo, s43
.LBB170_41:                             ;   in Loop: Header=BB170_13 Depth=1
	s_or_b32 exec_lo, exec_lo, s42
.LBB170_42:                             ;   in Loop: Header=BB170_13 Depth=1
	s_or_b32 exec_lo, exec_lo, s41
	global_load_ubyte v0, v[57:58], off offset:12
	s_mov_b32 s41, exec_lo
	s_waitcnt vmcnt(0)
	v_cmpx_ne_u16_e32 0, v0
	s_cbranch_execz .LBB170_50
; %bb.43:                               ;   in Loop: Header=BB170_13 Depth=1
	v_bfrev_b32_e32 v76, 1
	s_mov_b32 s42, exec_lo
	v_cmpx_ne_u16_e32 0x80, v0
	s_cbranch_execz .LBB170_49
; %bb.44:                               ;   in Loop: Header=BB170_13 Depth=1
	v_and_b32_sdwa v54, v0, v68 dst_sel:DWORD dst_unused:UNUSED_PAD src0_sel:WORD_0 src1_sel:DWORD
	v_mov_b32_e32 v76, 0x7f800001
	s_mov_b32 s43, exec_lo
	v_cmpx_ne_u32_e32 0x7f, v54
	s_cbranch_execz .LBB170_48
; %bb.45:                               ;   in Loop: Header=BB170_13 Depth=1
	v_and_b32_sdwa v49, v0, v69 dst_sel:DWORD dst_unused:UNUSED_PAD src0_sel:WORD_0 src1_sel:DWORD
	v_lshrrev_b32_e32 v53, 3, v54
	s_mov_b32 s44, exec_lo
	v_cmpx_gt_u32_e32 8, v54
; %bb.46:                               ;   in Loop: Header=BB170_13 Depth=1
	v_ffbh_u32_e32 v53, v49
	v_min_u32_e32 v53, 32, v53
	v_subrev_nc_u32_e32 v54, 28, v53
	v_sub_nc_u32_e32 v53, 29, v53
	v_lshlrev_b64 v[54:55], v54, v[49:50]
	v_and_b32_e32 v49, 7, v54
; %bb.47:                               ;   in Loop: Header=BB170_13 Depth=1
	s_or_b32 exec_lo, exec_lo, s44
	v_lshlrev_b32_e32 v0, 24, v0
	v_lshlrev_b32_e32 v49, 20, v49
	v_lshl_add_u32 v53, v53, 23, 0x3c000000
	v_and_b32_e32 v0, 0x80000000, v0
	v_or3_b32 v76, v49, v0, v53
.LBB170_48:                             ;   in Loop: Header=BB170_13 Depth=1
	s_or_b32 exec_lo, exec_lo, s43
.LBB170_49:                             ;   in Loop: Header=BB170_13 Depth=1
	s_or_b32 exec_lo, exec_lo, s42
.LBB170_50:                             ;   in Loop: Header=BB170_13 Depth=1
	s_or_b32 exec_lo, exec_lo, s41
	global_load_ubyte v0, v[57:58], off offset:128
	v_mov_b32_e32 v78, 0
	v_mov_b32_e32 v79, 0
	s_mov_b32 s41, exec_lo
	s_waitcnt vmcnt(0)
	v_cmpx_ne_u16_e32 0, v0
	s_cbranch_execz .LBB170_58
; %bb.51:                               ;   in Loop: Header=BB170_13 Depth=1
	v_bfrev_b32_e32 v79, 1
	s_mov_b32 s42, exec_lo
	v_cmpx_ne_u16_e32 0x80, v0
	s_cbranch_execz .LBB170_57
; %bb.52:                               ;   in Loop: Header=BB170_13 Depth=1
	v_and_b32_sdwa v54, v0, v68 dst_sel:DWORD dst_unused:UNUSED_PAD src0_sel:WORD_0 src1_sel:DWORD
	v_mov_b32_e32 v79, 0x7f800001
	s_mov_b32 s43, exec_lo
	v_cmpx_ne_u32_e32 0x7f, v54
	s_cbranch_execz .LBB170_56
; %bb.53:                               ;   in Loop: Header=BB170_13 Depth=1
	v_and_b32_sdwa v49, v0, v69 dst_sel:DWORD dst_unused:UNUSED_PAD src0_sel:WORD_0 src1_sel:DWORD
	v_lshrrev_b32_e32 v53, 3, v54
	s_mov_b32 s44, exec_lo
	v_cmpx_gt_u32_e32 8, v54
; %bb.54:                               ;   in Loop: Header=BB170_13 Depth=1
	v_ffbh_u32_e32 v53, v49
	v_min_u32_e32 v53, 32, v53
	v_subrev_nc_u32_e32 v54, 28, v53
	v_sub_nc_u32_e32 v53, 29, v53
	v_lshlrev_b64 v[54:55], v54, v[49:50]
	v_and_b32_e32 v49, 7, v54
; %bb.55:                               ;   in Loop: Header=BB170_13 Depth=1
	s_or_b32 exec_lo, exec_lo, s44
	v_lshlrev_b32_e32 v0, 24, v0
	v_lshlrev_b32_e32 v49, 20, v49
	v_lshl_add_u32 v53, v53, 23, 0x3c000000
	v_and_b32_e32 v0, 0x80000000, v0
	v_or3_b32 v79, v49, v0, v53
.LBB170_56:                             ;   in Loop: Header=BB170_13 Depth=1
	s_or_b32 exec_lo, exec_lo, s43
.LBB170_57:                             ;   in Loop: Header=BB170_13 Depth=1
	s_or_b32 exec_lo, exec_lo, s42
.LBB170_58:                             ;   in Loop: Header=BB170_13 Depth=1
	s_or_b32 exec_lo, exec_lo, s41
	global_load_ubyte v0, v[57:58], off offset:132
	s_mov_b32 s41, exec_lo
	s_waitcnt vmcnt(0)
	v_cmpx_ne_u16_e32 0, v0
	s_cbranch_execz .LBB170_66
; %bb.59:                               ;   in Loop: Header=BB170_13 Depth=1
	v_bfrev_b32_e32 v78, 1
	s_mov_b32 s42, exec_lo
	v_cmpx_ne_u16_e32 0x80, v0
	s_cbranch_execz .LBB170_65
; %bb.60:                               ;   in Loop: Header=BB170_13 Depth=1
	v_and_b32_sdwa v54, v0, v68 dst_sel:DWORD dst_unused:UNUSED_PAD src0_sel:WORD_0 src1_sel:DWORD
	v_mov_b32_e32 v78, 0x7f800001
	s_mov_b32 s43, exec_lo
	v_cmpx_ne_u32_e32 0x7f, v54
	s_cbranch_execz .LBB170_64
; %bb.61:                               ;   in Loop: Header=BB170_13 Depth=1
	v_and_b32_sdwa v49, v0, v69 dst_sel:DWORD dst_unused:UNUSED_PAD src0_sel:WORD_0 src1_sel:DWORD
	v_lshrrev_b32_e32 v53, 3, v54
	s_mov_b32 s44, exec_lo
	v_cmpx_gt_u32_e32 8, v54
; %bb.62:                               ;   in Loop: Header=BB170_13 Depth=1
	v_ffbh_u32_e32 v53, v49
	v_min_u32_e32 v53, 32, v53
	v_subrev_nc_u32_e32 v54, 28, v53
	v_sub_nc_u32_e32 v53, 29, v53
	v_lshlrev_b64 v[54:55], v54, v[49:50]
	v_and_b32_e32 v49, 7, v54
; %bb.63:                               ;   in Loop: Header=BB170_13 Depth=1
	s_or_b32 exec_lo, exec_lo, s44
	v_lshlrev_b32_e32 v0, 24, v0
	v_lshlrev_b32_e32 v49, 20, v49
	v_lshl_add_u32 v53, v53, 23, 0x3c000000
	v_and_b32_e32 v0, 0x80000000, v0
	v_or3_b32 v78, v49, v0, v53
.LBB170_64:                             ;   in Loop: Header=BB170_13 Depth=1
	s_or_b32 exec_lo, exec_lo, s43
.LBB170_65:                             ;   in Loop: Header=BB170_13 Depth=1
	s_or_b32 exec_lo, exec_lo, s42
.LBB170_66:                             ;   in Loop: Header=BB170_13 Depth=1
	s_or_b32 exec_lo, exec_lo, s41
	global_load_ubyte v0, v[57:58], off offset:136
	v_mov_b32_e32 v80, 0
	v_mov_b32_e32 v81, 0
	s_mov_b32 s41, exec_lo
	s_waitcnt vmcnt(0)
	v_cmpx_ne_u16_e32 0, v0
	s_cbranch_execz .LBB170_74
; %bb.67:                               ;   in Loop: Header=BB170_13 Depth=1
	v_bfrev_b32_e32 v81, 1
	s_mov_b32 s42, exec_lo
	v_cmpx_ne_u16_e32 0x80, v0
	s_cbranch_execz .LBB170_73
; %bb.68:                               ;   in Loop: Header=BB170_13 Depth=1
	v_and_b32_sdwa v54, v0, v68 dst_sel:DWORD dst_unused:UNUSED_PAD src0_sel:WORD_0 src1_sel:DWORD
	v_mov_b32_e32 v81, 0x7f800001
	s_mov_b32 s43, exec_lo
	v_cmpx_ne_u32_e32 0x7f, v54
	s_cbranch_execz .LBB170_72
; %bb.69:                               ;   in Loop: Header=BB170_13 Depth=1
	v_and_b32_sdwa v49, v0, v69 dst_sel:DWORD dst_unused:UNUSED_PAD src0_sel:WORD_0 src1_sel:DWORD
	v_lshrrev_b32_e32 v53, 3, v54
	s_mov_b32 s44, exec_lo
	v_cmpx_gt_u32_e32 8, v54
; %bb.70:                               ;   in Loop: Header=BB170_13 Depth=1
	v_ffbh_u32_e32 v53, v49
	v_min_u32_e32 v53, 32, v53
	v_subrev_nc_u32_e32 v54, 28, v53
	v_sub_nc_u32_e32 v53, 29, v53
	v_lshlrev_b64 v[54:55], v54, v[49:50]
	v_and_b32_e32 v49, 7, v54
; %bb.71:                               ;   in Loop: Header=BB170_13 Depth=1
	s_or_b32 exec_lo, exec_lo, s44
	v_lshlrev_b32_e32 v0, 24, v0
	v_lshlrev_b32_e32 v49, 20, v49
	v_lshl_add_u32 v53, v53, 23, 0x3c000000
	v_and_b32_e32 v0, 0x80000000, v0
	v_or3_b32 v81, v49, v0, v53
.LBB170_72:                             ;   in Loop: Header=BB170_13 Depth=1
	s_or_b32 exec_lo, exec_lo, s43
.LBB170_73:                             ;   in Loop: Header=BB170_13 Depth=1
	s_or_b32 exec_lo, exec_lo, s42
.LBB170_74:                             ;   in Loop: Header=BB170_13 Depth=1
	s_or_b32 exec_lo, exec_lo, s41
	global_load_ubyte v0, v[57:58], off offset:140
	s_mov_b32 s41, exec_lo
	s_waitcnt vmcnt(0)
	v_cmpx_ne_u16_e32 0, v0
	s_cbranch_execz .LBB170_82
; %bb.75:                               ;   in Loop: Header=BB170_13 Depth=1
	v_bfrev_b32_e32 v80, 1
	s_mov_b32 s42, exec_lo
	v_cmpx_ne_u16_e32 0x80, v0
	s_cbranch_execz .LBB170_81
; %bb.76:                               ;   in Loop: Header=BB170_13 Depth=1
	v_and_b32_sdwa v54, v0, v68 dst_sel:DWORD dst_unused:UNUSED_PAD src0_sel:WORD_0 src1_sel:DWORD
	v_mov_b32_e32 v80, 0x7f800001
	s_mov_b32 s43, exec_lo
	v_cmpx_ne_u32_e32 0x7f, v54
	s_cbranch_execz .LBB170_80
; %bb.77:                               ;   in Loop: Header=BB170_13 Depth=1
	v_and_b32_sdwa v49, v0, v69 dst_sel:DWORD dst_unused:UNUSED_PAD src0_sel:WORD_0 src1_sel:DWORD
	v_lshrrev_b32_e32 v53, 3, v54
	s_mov_b32 s44, exec_lo
	v_cmpx_gt_u32_e32 8, v54
; %bb.78:                               ;   in Loop: Header=BB170_13 Depth=1
	v_ffbh_u32_e32 v53, v49
	v_min_u32_e32 v53, 32, v53
	v_subrev_nc_u32_e32 v54, 28, v53
	v_sub_nc_u32_e32 v53, 29, v53
	v_lshlrev_b64 v[54:55], v54, v[49:50]
	v_and_b32_e32 v49, 7, v54
; %bb.79:                               ;   in Loop: Header=BB170_13 Depth=1
	s_or_b32 exec_lo, exec_lo, s44
	v_lshlrev_b32_e32 v0, 24, v0
	v_lshlrev_b32_e32 v49, 20, v49
	v_lshl_add_u32 v53, v53, 23, 0x3c000000
	v_and_b32_e32 v0, 0x80000000, v0
	v_or3_b32 v80, v49, v0, v53
.LBB170_80:                             ;   in Loop: Header=BB170_13 Depth=1
	s_or_b32 exec_lo, exec_lo, s43
.LBB170_81:                             ;   in Loop: Header=BB170_13 Depth=1
	s_or_b32 exec_lo, exec_lo, s42
.LBB170_82:                             ;   in Loop: Header=BB170_13 Depth=1
	s_or_b32 exec_lo, exec_lo, s41
	global_load_ubyte v0, v[57:58], off offset:256
	v_mov_b32_e32 v82, 0
	v_mov_b32_e32 v83, 0
	s_mov_b32 s41, exec_lo
	s_waitcnt vmcnt(0)
	v_cmpx_ne_u16_e32 0, v0
	s_cbranch_execz .LBB170_90
; %bb.83:                               ;   in Loop: Header=BB170_13 Depth=1
	v_bfrev_b32_e32 v83, 1
	s_mov_b32 s42, exec_lo
	v_cmpx_ne_u16_e32 0x80, v0
	s_cbranch_execz .LBB170_89
; %bb.84:                               ;   in Loop: Header=BB170_13 Depth=1
	v_and_b32_sdwa v54, v0, v68 dst_sel:DWORD dst_unused:UNUSED_PAD src0_sel:WORD_0 src1_sel:DWORD
	v_mov_b32_e32 v83, 0x7f800001
	s_mov_b32 s43, exec_lo
	v_cmpx_ne_u32_e32 0x7f, v54
	s_cbranch_execz .LBB170_88
; %bb.85:                               ;   in Loop: Header=BB170_13 Depth=1
	v_and_b32_sdwa v49, v0, v69 dst_sel:DWORD dst_unused:UNUSED_PAD src0_sel:WORD_0 src1_sel:DWORD
	v_lshrrev_b32_e32 v53, 3, v54
	s_mov_b32 s44, exec_lo
	v_cmpx_gt_u32_e32 8, v54
; %bb.86:                               ;   in Loop: Header=BB170_13 Depth=1
	v_ffbh_u32_e32 v53, v49
	v_min_u32_e32 v53, 32, v53
	v_subrev_nc_u32_e32 v54, 28, v53
	v_sub_nc_u32_e32 v53, 29, v53
	v_lshlrev_b64 v[54:55], v54, v[49:50]
	v_and_b32_e32 v49, 7, v54
; %bb.87:                               ;   in Loop: Header=BB170_13 Depth=1
	s_or_b32 exec_lo, exec_lo, s44
	v_lshlrev_b32_e32 v0, 24, v0
	v_lshlrev_b32_e32 v49, 20, v49
	v_lshl_add_u32 v53, v53, 23, 0x3c000000
	v_and_b32_e32 v0, 0x80000000, v0
	v_or3_b32 v83, v49, v0, v53
.LBB170_88:                             ;   in Loop: Header=BB170_13 Depth=1
	s_or_b32 exec_lo, exec_lo, s43
.LBB170_89:                             ;   in Loop: Header=BB170_13 Depth=1
	s_or_b32 exec_lo, exec_lo, s42
.LBB170_90:                             ;   in Loop: Header=BB170_13 Depth=1
	s_or_b32 exec_lo, exec_lo, s41
	global_load_ubyte v0, v[57:58], off offset:260
	s_mov_b32 s41, exec_lo
	s_waitcnt vmcnt(0)
	v_cmpx_ne_u16_e32 0, v0
	s_cbranch_execz .LBB170_98
; %bb.91:                               ;   in Loop: Header=BB170_13 Depth=1
	v_bfrev_b32_e32 v82, 1
	s_mov_b32 s42, exec_lo
	v_cmpx_ne_u16_e32 0x80, v0
	s_cbranch_execz .LBB170_97
; %bb.92:                               ;   in Loop: Header=BB170_13 Depth=1
	v_and_b32_sdwa v54, v0, v68 dst_sel:DWORD dst_unused:UNUSED_PAD src0_sel:WORD_0 src1_sel:DWORD
	v_mov_b32_e32 v82, 0x7f800001
	s_mov_b32 s43, exec_lo
	v_cmpx_ne_u32_e32 0x7f, v54
	s_cbranch_execz .LBB170_96
; %bb.93:                               ;   in Loop: Header=BB170_13 Depth=1
	v_and_b32_sdwa v49, v0, v69 dst_sel:DWORD dst_unused:UNUSED_PAD src0_sel:WORD_0 src1_sel:DWORD
	v_lshrrev_b32_e32 v53, 3, v54
	s_mov_b32 s44, exec_lo
	v_cmpx_gt_u32_e32 8, v54
; %bb.94:                               ;   in Loop: Header=BB170_13 Depth=1
	v_ffbh_u32_e32 v53, v49
	v_min_u32_e32 v53, 32, v53
	v_subrev_nc_u32_e32 v54, 28, v53
	v_sub_nc_u32_e32 v53, 29, v53
	v_lshlrev_b64 v[54:55], v54, v[49:50]
	v_and_b32_e32 v49, 7, v54
; %bb.95:                               ;   in Loop: Header=BB170_13 Depth=1
	s_or_b32 exec_lo, exec_lo, s44
	v_lshlrev_b32_e32 v0, 24, v0
	v_lshlrev_b32_e32 v49, 20, v49
	v_lshl_add_u32 v53, v53, 23, 0x3c000000
	v_and_b32_e32 v0, 0x80000000, v0
	v_or3_b32 v82, v49, v0, v53
.LBB170_96:                             ;   in Loop: Header=BB170_13 Depth=1
	s_or_b32 exec_lo, exec_lo, s43
.LBB170_97:                             ;   in Loop: Header=BB170_13 Depth=1
	s_or_b32 exec_lo, exec_lo, s42
.LBB170_98:                             ;   in Loop: Header=BB170_13 Depth=1
	s_or_b32 exec_lo, exec_lo, s41
	global_load_ubyte v0, v[57:58], off offset:264
	v_mov_b32_e32 v84, 0
	v_mov_b32_e32 v85, 0
	s_mov_b32 s41, exec_lo
	s_waitcnt vmcnt(0)
	v_cmpx_ne_u16_e32 0, v0
	s_cbranch_execz .LBB170_106
; %bb.99:                               ;   in Loop: Header=BB170_13 Depth=1
	v_bfrev_b32_e32 v85, 1
	s_mov_b32 s42, exec_lo
	v_cmpx_ne_u16_e32 0x80, v0
	s_cbranch_execz .LBB170_105
; %bb.100:                              ;   in Loop: Header=BB170_13 Depth=1
	v_and_b32_sdwa v54, v0, v68 dst_sel:DWORD dst_unused:UNUSED_PAD src0_sel:WORD_0 src1_sel:DWORD
	v_mov_b32_e32 v85, 0x7f800001
	s_mov_b32 s43, exec_lo
	v_cmpx_ne_u32_e32 0x7f, v54
	s_cbranch_execz .LBB170_104
; %bb.101:                              ;   in Loop: Header=BB170_13 Depth=1
	v_and_b32_sdwa v49, v0, v69 dst_sel:DWORD dst_unused:UNUSED_PAD src0_sel:WORD_0 src1_sel:DWORD
	v_lshrrev_b32_e32 v53, 3, v54
	s_mov_b32 s44, exec_lo
	v_cmpx_gt_u32_e32 8, v54
; %bb.102:                              ;   in Loop: Header=BB170_13 Depth=1
	v_ffbh_u32_e32 v53, v49
	v_min_u32_e32 v53, 32, v53
	v_subrev_nc_u32_e32 v54, 28, v53
	v_sub_nc_u32_e32 v53, 29, v53
	v_lshlrev_b64 v[54:55], v54, v[49:50]
	v_and_b32_e32 v49, 7, v54
; %bb.103:                              ;   in Loop: Header=BB170_13 Depth=1
	s_or_b32 exec_lo, exec_lo, s44
	v_lshlrev_b32_e32 v0, 24, v0
	v_lshlrev_b32_e32 v49, 20, v49
	v_lshl_add_u32 v53, v53, 23, 0x3c000000
	v_and_b32_e32 v0, 0x80000000, v0
	v_or3_b32 v85, v49, v0, v53
.LBB170_104:                            ;   in Loop: Header=BB170_13 Depth=1
	s_or_b32 exec_lo, exec_lo, s43
.LBB170_105:                            ;   in Loop: Header=BB170_13 Depth=1
	s_or_b32 exec_lo, exec_lo, s42
.LBB170_106:                            ;   in Loop: Header=BB170_13 Depth=1
	s_or_b32 exec_lo, exec_lo, s41
	global_load_ubyte v0, v[57:58], off offset:268
	s_mov_b32 s41, exec_lo
	s_waitcnt vmcnt(0)
	v_cmpx_ne_u16_e32 0, v0
	s_cbranch_execz .LBB170_114
; %bb.107:                              ;   in Loop: Header=BB170_13 Depth=1
	v_bfrev_b32_e32 v84, 1
	s_mov_b32 s42, exec_lo
	v_cmpx_ne_u16_e32 0x80, v0
	s_cbranch_execz .LBB170_113
; %bb.108:                              ;   in Loop: Header=BB170_13 Depth=1
	v_and_b32_sdwa v54, v0, v68 dst_sel:DWORD dst_unused:UNUSED_PAD src0_sel:WORD_0 src1_sel:DWORD
	v_mov_b32_e32 v84, 0x7f800001
	s_mov_b32 s43, exec_lo
	v_cmpx_ne_u32_e32 0x7f, v54
	s_cbranch_execz .LBB170_112
; %bb.109:                              ;   in Loop: Header=BB170_13 Depth=1
	v_and_b32_sdwa v49, v0, v69 dst_sel:DWORD dst_unused:UNUSED_PAD src0_sel:WORD_0 src1_sel:DWORD
	v_lshrrev_b32_e32 v53, 3, v54
	s_mov_b32 s44, exec_lo
	v_cmpx_gt_u32_e32 8, v54
; %bb.110:                              ;   in Loop: Header=BB170_13 Depth=1
	v_ffbh_u32_e32 v53, v49
	v_min_u32_e32 v53, 32, v53
	v_subrev_nc_u32_e32 v54, 28, v53
	v_sub_nc_u32_e32 v53, 29, v53
	v_lshlrev_b64 v[54:55], v54, v[49:50]
	v_and_b32_e32 v49, 7, v54
; %bb.111:                              ;   in Loop: Header=BB170_13 Depth=1
	s_or_b32 exec_lo, exec_lo, s44
	v_lshlrev_b32_e32 v0, 24, v0
	v_lshlrev_b32_e32 v49, 20, v49
	v_lshl_add_u32 v53, v53, 23, 0x3c000000
	v_and_b32_e32 v0, 0x80000000, v0
	v_or3_b32 v84, v49, v0, v53
.LBB170_112:                            ;   in Loop: Header=BB170_13 Depth=1
	s_or_b32 exec_lo, exec_lo, s43
.LBB170_113:                            ;   in Loop: Header=BB170_13 Depth=1
	s_or_b32 exec_lo, exec_lo, s42
.LBB170_114:                            ;   in Loop: Header=BB170_13 Depth=1
	s_or_b32 exec_lo, exec_lo, s41
	global_load_ubyte v0, v[57:58], off offset:384
	v_mov_b32_e32 v86, 0
	v_mov_b32_e32 v87, 0
	s_mov_b32 s41, exec_lo
	s_waitcnt vmcnt(0)
	v_cmpx_ne_u16_e32 0, v0
	s_cbranch_execz .LBB170_122
; %bb.115:                              ;   in Loop: Header=BB170_13 Depth=1
	v_bfrev_b32_e32 v87, 1
	s_mov_b32 s42, exec_lo
	v_cmpx_ne_u16_e32 0x80, v0
	s_cbranch_execz .LBB170_121
; %bb.116:                              ;   in Loop: Header=BB170_13 Depth=1
	v_and_b32_sdwa v54, v0, v68 dst_sel:DWORD dst_unused:UNUSED_PAD src0_sel:WORD_0 src1_sel:DWORD
	v_mov_b32_e32 v87, 0x7f800001
	s_mov_b32 s43, exec_lo
	v_cmpx_ne_u32_e32 0x7f, v54
	s_cbranch_execz .LBB170_120
; %bb.117:                              ;   in Loop: Header=BB170_13 Depth=1
	v_and_b32_sdwa v49, v0, v69 dst_sel:DWORD dst_unused:UNUSED_PAD src0_sel:WORD_0 src1_sel:DWORD
	v_lshrrev_b32_e32 v53, 3, v54
	s_mov_b32 s44, exec_lo
	v_cmpx_gt_u32_e32 8, v54
; %bb.118:                              ;   in Loop: Header=BB170_13 Depth=1
	v_ffbh_u32_e32 v53, v49
	v_min_u32_e32 v53, 32, v53
	v_subrev_nc_u32_e32 v54, 28, v53
	v_sub_nc_u32_e32 v53, 29, v53
	v_lshlrev_b64 v[54:55], v54, v[49:50]
	v_and_b32_e32 v49, 7, v54
; %bb.119:                              ;   in Loop: Header=BB170_13 Depth=1
	s_or_b32 exec_lo, exec_lo, s44
	v_lshlrev_b32_e32 v0, 24, v0
	v_lshlrev_b32_e32 v49, 20, v49
	v_lshl_add_u32 v53, v53, 23, 0x3c000000
	v_and_b32_e32 v0, 0x80000000, v0
	v_or3_b32 v87, v49, v0, v53
.LBB170_120:                            ;   in Loop: Header=BB170_13 Depth=1
	s_or_b32 exec_lo, exec_lo, s43
.LBB170_121:                            ;   in Loop: Header=BB170_13 Depth=1
	s_or_b32 exec_lo, exec_lo, s42
.LBB170_122:                            ;   in Loop: Header=BB170_13 Depth=1
	s_or_b32 exec_lo, exec_lo, s41
	global_load_ubyte v0, v[57:58], off offset:388
	s_mov_b32 s41, exec_lo
	s_waitcnt vmcnt(0)
	v_cmpx_ne_u16_e32 0, v0
	s_cbranch_execz .LBB170_130
; %bb.123:                              ;   in Loop: Header=BB170_13 Depth=1
	v_bfrev_b32_e32 v86, 1
	s_mov_b32 s42, exec_lo
	v_cmpx_ne_u16_e32 0x80, v0
	s_cbranch_execz .LBB170_129
; %bb.124:                              ;   in Loop: Header=BB170_13 Depth=1
	v_and_b32_sdwa v54, v0, v68 dst_sel:DWORD dst_unused:UNUSED_PAD src0_sel:WORD_0 src1_sel:DWORD
	v_mov_b32_e32 v86, 0x7f800001
	s_mov_b32 s43, exec_lo
	v_cmpx_ne_u32_e32 0x7f, v54
	s_cbranch_execz .LBB170_128
; %bb.125:                              ;   in Loop: Header=BB170_13 Depth=1
	v_and_b32_sdwa v49, v0, v69 dst_sel:DWORD dst_unused:UNUSED_PAD src0_sel:WORD_0 src1_sel:DWORD
	v_lshrrev_b32_e32 v53, 3, v54
	s_mov_b32 s44, exec_lo
	v_cmpx_gt_u32_e32 8, v54
; %bb.126:                              ;   in Loop: Header=BB170_13 Depth=1
	v_ffbh_u32_e32 v53, v49
	v_min_u32_e32 v53, 32, v53
	v_subrev_nc_u32_e32 v54, 28, v53
	v_sub_nc_u32_e32 v53, 29, v53
	v_lshlrev_b64 v[54:55], v54, v[49:50]
	v_and_b32_e32 v49, 7, v54
; %bb.127:                              ;   in Loop: Header=BB170_13 Depth=1
	s_or_b32 exec_lo, exec_lo, s44
	v_lshlrev_b32_e32 v0, 24, v0
	v_lshlrev_b32_e32 v49, 20, v49
	v_lshl_add_u32 v53, v53, 23, 0x3c000000
	v_and_b32_e32 v0, 0x80000000, v0
	v_or3_b32 v86, v49, v0, v53
.LBB170_128:                            ;   in Loop: Header=BB170_13 Depth=1
	s_or_b32 exec_lo, exec_lo, s43
.LBB170_129:                            ;   in Loop: Header=BB170_13 Depth=1
	s_or_b32 exec_lo, exec_lo, s42
.LBB170_130:                            ;   in Loop: Header=BB170_13 Depth=1
	s_or_b32 exec_lo, exec_lo, s41
	global_load_ubyte v0, v[57:58], off offset:392
	v_mov_b32_e32 v88, 0
	v_mov_b32_e32 v89, 0
	s_mov_b32 s41, exec_lo
	s_waitcnt vmcnt(0)
	v_cmpx_ne_u16_e32 0, v0
	s_cbranch_execz .LBB170_138
; %bb.131:                              ;   in Loop: Header=BB170_13 Depth=1
	v_bfrev_b32_e32 v89, 1
	s_mov_b32 s42, exec_lo
	v_cmpx_ne_u16_e32 0x80, v0
	s_cbranch_execz .LBB170_137
; %bb.132:                              ;   in Loop: Header=BB170_13 Depth=1
	v_and_b32_sdwa v54, v0, v68 dst_sel:DWORD dst_unused:UNUSED_PAD src0_sel:WORD_0 src1_sel:DWORD
	v_mov_b32_e32 v89, 0x7f800001
	s_mov_b32 s43, exec_lo
	v_cmpx_ne_u32_e32 0x7f, v54
	s_cbranch_execz .LBB170_136
; %bb.133:                              ;   in Loop: Header=BB170_13 Depth=1
	v_and_b32_sdwa v49, v0, v69 dst_sel:DWORD dst_unused:UNUSED_PAD src0_sel:WORD_0 src1_sel:DWORD
	v_lshrrev_b32_e32 v53, 3, v54
	s_mov_b32 s44, exec_lo
	v_cmpx_gt_u32_e32 8, v54
; %bb.134:                              ;   in Loop: Header=BB170_13 Depth=1
	v_ffbh_u32_e32 v53, v49
	v_min_u32_e32 v53, 32, v53
	v_subrev_nc_u32_e32 v54, 28, v53
	v_sub_nc_u32_e32 v53, 29, v53
	v_lshlrev_b64 v[54:55], v54, v[49:50]
	v_and_b32_e32 v49, 7, v54
; %bb.135:                              ;   in Loop: Header=BB170_13 Depth=1
	s_or_b32 exec_lo, exec_lo, s44
	v_lshlrev_b32_e32 v0, 24, v0
	v_lshlrev_b32_e32 v49, 20, v49
	v_lshl_add_u32 v53, v53, 23, 0x3c000000
	v_and_b32_e32 v0, 0x80000000, v0
	v_or3_b32 v89, v49, v0, v53
.LBB170_136:                            ;   in Loop: Header=BB170_13 Depth=1
	s_or_b32 exec_lo, exec_lo, s43
.LBB170_137:                            ;   in Loop: Header=BB170_13 Depth=1
	s_or_b32 exec_lo, exec_lo, s42
.LBB170_138:                            ;   in Loop: Header=BB170_13 Depth=1
	s_or_b32 exec_lo, exec_lo, s41
	global_load_ubyte v0, v[57:58], off offset:396
	s_mov_b32 s41, exec_lo
	s_waitcnt vmcnt(0)
	v_cmpx_ne_u16_e32 0, v0
	s_cbranch_execz .LBB170_146
; %bb.139:                              ;   in Loop: Header=BB170_13 Depth=1
	v_bfrev_b32_e32 v88, 1
	s_mov_b32 s42, exec_lo
	v_cmpx_ne_u16_e32 0x80, v0
	s_cbranch_execz .LBB170_145
; %bb.140:                              ;   in Loop: Header=BB170_13 Depth=1
	v_and_b32_sdwa v54, v0, v68 dst_sel:DWORD dst_unused:UNUSED_PAD src0_sel:WORD_0 src1_sel:DWORD
	v_mov_b32_e32 v88, 0x7f800001
	s_mov_b32 s43, exec_lo
	v_cmpx_ne_u32_e32 0x7f, v54
	s_cbranch_execz .LBB170_144
; %bb.141:                              ;   in Loop: Header=BB170_13 Depth=1
	v_and_b32_sdwa v49, v0, v69 dst_sel:DWORD dst_unused:UNUSED_PAD src0_sel:WORD_0 src1_sel:DWORD
	v_lshrrev_b32_e32 v53, 3, v54
	s_mov_b32 s44, exec_lo
	v_cmpx_gt_u32_e32 8, v54
; %bb.142:                              ;   in Loop: Header=BB170_13 Depth=1
	v_ffbh_u32_e32 v53, v49
	v_min_u32_e32 v53, 32, v53
	v_subrev_nc_u32_e32 v54, 28, v53
	v_sub_nc_u32_e32 v53, 29, v53
	v_lshlrev_b64 v[54:55], v54, v[49:50]
	v_and_b32_e32 v49, 7, v54
; %bb.143:                              ;   in Loop: Header=BB170_13 Depth=1
	s_or_b32 exec_lo, exec_lo, s44
	v_lshlrev_b32_e32 v0, 24, v0
	v_lshlrev_b32_e32 v49, 20, v49
	v_lshl_add_u32 v53, v53, 23, 0x3c000000
	v_and_b32_e32 v0, 0x80000000, v0
	v_or3_b32 v88, v49, v0, v53
.LBB170_144:                            ;   in Loop: Header=BB170_13 Depth=1
	s_or_b32 exec_lo, exec_lo, s43
.LBB170_145:                            ;   in Loop: Header=BB170_13 Depth=1
	s_or_b32 exec_lo, exec_lo, s42
.LBB170_146:                            ;   in Loop: Header=BB170_13 Depth=1
	s_or_b32 exec_lo, exec_lo, s41
	global_load_ubyte v0, v[57:58], off offset:512
	v_mov_b32_e32 v90, 0
	v_mov_b32_e32 v91, 0
	s_mov_b32 s41, exec_lo
	s_waitcnt vmcnt(0)
	v_cmpx_ne_u16_e32 0, v0
	s_cbranch_execz .LBB170_154
; %bb.147:                              ;   in Loop: Header=BB170_13 Depth=1
	v_bfrev_b32_e32 v91, 1
	s_mov_b32 s42, exec_lo
	v_cmpx_ne_u16_e32 0x80, v0
	s_cbranch_execz .LBB170_153
; %bb.148:                              ;   in Loop: Header=BB170_13 Depth=1
	v_and_b32_sdwa v54, v0, v68 dst_sel:DWORD dst_unused:UNUSED_PAD src0_sel:WORD_0 src1_sel:DWORD
	v_mov_b32_e32 v91, 0x7f800001
	s_mov_b32 s43, exec_lo
	v_cmpx_ne_u32_e32 0x7f, v54
	s_cbranch_execz .LBB170_152
; %bb.149:                              ;   in Loop: Header=BB170_13 Depth=1
	v_and_b32_sdwa v49, v0, v69 dst_sel:DWORD dst_unused:UNUSED_PAD src0_sel:WORD_0 src1_sel:DWORD
	v_lshrrev_b32_e32 v53, 3, v54
	s_mov_b32 s44, exec_lo
	v_cmpx_gt_u32_e32 8, v54
; %bb.150:                              ;   in Loop: Header=BB170_13 Depth=1
	v_ffbh_u32_e32 v53, v49
	v_min_u32_e32 v53, 32, v53
	v_subrev_nc_u32_e32 v54, 28, v53
	v_sub_nc_u32_e32 v53, 29, v53
	v_lshlrev_b64 v[54:55], v54, v[49:50]
	v_and_b32_e32 v49, 7, v54
; %bb.151:                              ;   in Loop: Header=BB170_13 Depth=1
	s_or_b32 exec_lo, exec_lo, s44
	v_lshlrev_b32_e32 v0, 24, v0
	v_lshlrev_b32_e32 v49, 20, v49
	v_lshl_add_u32 v53, v53, 23, 0x3c000000
	v_and_b32_e32 v0, 0x80000000, v0
	v_or3_b32 v91, v49, v0, v53
.LBB170_152:                            ;   in Loop: Header=BB170_13 Depth=1
	s_or_b32 exec_lo, exec_lo, s43
.LBB170_153:                            ;   in Loop: Header=BB170_13 Depth=1
	s_or_b32 exec_lo, exec_lo, s42
.LBB170_154:                            ;   in Loop: Header=BB170_13 Depth=1
	s_or_b32 exec_lo, exec_lo, s41
	global_load_ubyte v0, v[57:58], off offset:516
	s_mov_b32 s41, exec_lo
	s_waitcnt vmcnt(0)
	v_cmpx_ne_u16_e32 0, v0
	s_cbranch_execz .LBB170_162
; %bb.155:                              ;   in Loop: Header=BB170_13 Depth=1
	v_bfrev_b32_e32 v90, 1
	s_mov_b32 s42, exec_lo
	v_cmpx_ne_u16_e32 0x80, v0
	s_cbranch_execz .LBB170_161
; %bb.156:                              ;   in Loop: Header=BB170_13 Depth=1
	v_and_b32_sdwa v54, v0, v68 dst_sel:DWORD dst_unused:UNUSED_PAD src0_sel:WORD_0 src1_sel:DWORD
	v_mov_b32_e32 v90, 0x7f800001
	s_mov_b32 s43, exec_lo
	v_cmpx_ne_u32_e32 0x7f, v54
	s_cbranch_execz .LBB170_160
; %bb.157:                              ;   in Loop: Header=BB170_13 Depth=1
	v_and_b32_sdwa v49, v0, v69 dst_sel:DWORD dst_unused:UNUSED_PAD src0_sel:WORD_0 src1_sel:DWORD
	v_lshrrev_b32_e32 v53, 3, v54
	s_mov_b32 s44, exec_lo
	v_cmpx_gt_u32_e32 8, v54
; %bb.158:                              ;   in Loop: Header=BB170_13 Depth=1
	v_ffbh_u32_e32 v53, v49
	v_min_u32_e32 v53, 32, v53
	v_subrev_nc_u32_e32 v54, 28, v53
	v_sub_nc_u32_e32 v53, 29, v53
	v_lshlrev_b64 v[54:55], v54, v[49:50]
	v_and_b32_e32 v49, 7, v54
; %bb.159:                              ;   in Loop: Header=BB170_13 Depth=1
	s_or_b32 exec_lo, exec_lo, s44
	v_lshlrev_b32_e32 v0, 24, v0
	v_lshlrev_b32_e32 v49, 20, v49
	v_lshl_add_u32 v53, v53, 23, 0x3c000000
	v_and_b32_e32 v0, 0x80000000, v0
	v_or3_b32 v90, v49, v0, v53
.LBB170_160:                            ;   in Loop: Header=BB170_13 Depth=1
	s_or_b32 exec_lo, exec_lo, s43
.LBB170_161:                            ;   in Loop: Header=BB170_13 Depth=1
	s_or_b32 exec_lo, exec_lo, s42
.LBB170_162:                            ;   in Loop: Header=BB170_13 Depth=1
	s_or_b32 exec_lo, exec_lo, s41
	global_load_ubyte v0, v[57:58], off offset:520
	v_mov_b32_e32 v92, 0
	v_mov_b32_e32 v93, 0
	s_mov_b32 s41, exec_lo
	s_waitcnt vmcnt(0)
	v_cmpx_ne_u16_e32 0, v0
	s_cbranch_execz .LBB170_170
; %bb.163:                              ;   in Loop: Header=BB170_13 Depth=1
	v_bfrev_b32_e32 v93, 1
	s_mov_b32 s42, exec_lo
	v_cmpx_ne_u16_e32 0x80, v0
	s_cbranch_execz .LBB170_169
; %bb.164:                              ;   in Loop: Header=BB170_13 Depth=1
	v_and_b32_sdwa v54, v0, v68 dst_sel:DWORD dst_unused:UNUSED_PAD src0_sel:WORD_0 src1_sel:DWORD
	v_mov_b32_e32 v93, 0x7f800001
	s_mov_b32 s43, exec_lo
	v_cmpx_ne_u32_e32 0x7f, v54
	s_cbranch_execz .LBB170_168
; %bb.165:                              ;   in Loop: Header=BB170_13 Depth=1
	v_and_b32_sdwa v49, v0, v69 dst_sel:DWORD dst_unused:UNUSED_PAD src0_sel:WORD_0 src1_sel:DWORD
	v_lshrrev_b32_e32 v53, 3, v54
	s_mov_b32 s44, exec_lo
	v_cmpx_gt_u32_e32 8, v54
; %bb.166:                              ;   in Loop: Header=BB170_13 Depth=1
	v_ffbh_u32_e32 v53, v49
	v_min_u32_e32 v53, 32, v53
	v_subrev_nc_u32_e32 v54, 28, v53
	v_sub_nc_u32_e32 v53, 29, v53
	v_lshlrev_b64 v[54:55], v54, v[49:50]
	v_and_b32_e32 v49, 7, v54
; %bb.167:                              ;   in Loop: Header=BB170_13 Depth=1
	s_or_b32 exec_lo, exec_lo, s44
	v_lshlrev_b32_e32 v0, 24, v0
	v_lshlrev_b32_e32 v49, 20, v49
	v_lshl_add_u32 v53, v53, 23, 0x3c000000
	v_and_b32_e32 v0, 0x80000000, v0
	v_or3_b32 v93, v49, v0, v53
.LBB170_168:                            ;   in Loop: Header=BB170_13 Depth=1
	s_or_b32 exec_lo, exec_lo, s43
.LBB170_169:                            ;   in Loop: Header=BB170_13 Depth=1
	s_or_b32 exec_lo, exec_lo, s42
.LBB170_170:                            ;   in Loop: Header=BB170_13 Depth=1
	s_or_b32 exec_lo, exec_lo, s41
	global_load_ubyte v0, v[57:58], off offset:524
	s_mov_b32 s41, exec_lo
	s_waitcnt vmcnt(0)
	v_cmpx_ne_u16_e32 0, v0
	s_cbranch_execz .LBB170_178
; %bb.171:                              ;   in Loop: Header=BB170_13 Depth=1
	v_bfrev_b32_e32 v92, 1
	s_mov_b32 s42, exec_lo
	v_cmpx_ne_u16_e32 0x80, v0
	s_cbranch_execz .LBB170_177
; %bb.172:                              ;   in Loop: Header=BB170_13 Depth=1
	v_and_b32_sdwa v54, v0, v68 dst_sel:DWORD dst_unused:UNUSED_PAD src0_sel:WORD_0 src1_sel:DWORD
	v_mov_b32_e32 v92, 0x7f800001
	s_mov_b32 s43, exec_lo
	v_cmpx_ne_u32_e32 0x7f, v54
	s_cbranch_execz .LBB170_176
; %bb.173:                              ;   in Loop: Header=BB170_13 Depth=1
	v_and_b32_sdwa v49, v0, v69 dst_sel:DWORD dst_unused:UNUSED_PAD src0_sel:WORD_0 src1_sel:DWORD
	v_lshrrev_b32_e32 v53, 3, v54
	s_mov_b32 s44, exec_lo
	v_cmpx_gt_u32_e32 8, v54
; %bb.174:                              ;   in Loop: Header=BB170_13 Depth=1
	v_ffbh_u32_e32 v53, v49
	v_min_u32_e32 v53, 32, v53
	v_subrev_nc_u32_e32 v54, 28, v53
	v_sub_nc_u32_e32 v53, 29, v53
	v_lshlrev_b64 v[54:55], v54, v[49:50]
	v_and_b32_e32 v49, 7, v54
; %bb.175:                              ;   in Loop: Header=BB170_13 Depth=1
	s_or_b32 exec_lo, exec_lo, s44
	v_lshlrev_b32_e32 v0, 24, v0
	v_lshlrev_b32_e32 v49, 20, v49
	v_lshl_add_u32 v53, v53, 23, 0x3c000000
	v_and_b32_e32 v0, 0x80000000, v0
	v_or3_b32 v92, v49, v0, v53
.LBB170_176:                            ;   in Loop: Header=BB170_13 Depth=1
	s_or_b32 exec_lo, exec_lo, s43
.LBB170_177:                            ;   in Loop: Header=BB170_13 Depth=1
	s_or_b32 exec_lo, exec_lo, s42
.LBB170_178:                            ;   in Loop: Header=BB170_13 Depth=1
	s_or_b32 exec_lo, exec_lo, s41
	global_load_ubyte v0, v[57:58], off offset:640
	v_mov_b32_e32 v94, 0
	v_mov_b32_e32 v95, 0
	s_mov_b32 s41, exec_lo
	s_waitcnt vmcnt(0)
	v_cmpx_ne_u16_e32 0, v0
	s_cbranch_execz .LBB170_186
; %bb.179:                              ;   in Loop: Header=BB170_13 Depth=1
	v_bfrev_b32_e32 v95, 1
	s_mov_b32 s42, exec_lo
	v_cmpx_ne_u16_e32 0x80, v0
	s_cbranch_execz .LBB170_185
; %bb.180:                              ;   in Loop: Header=BB170_13 Depth=1
	v_and_b32_sdwa v54, v0, v68 dst_sel:DWORD dst_unused:UNUSED_PAD src0_sel:WORD_0 src1_sel:DWORD
	v_mov_b32_e32 v95, 0x7f800001
	s_mov_b32 s43, exec_lo
	v_cmpx_ne_u32_e32 0x7f, v54
	s_cbranch_execz .LBB170_184
; %bb.181:                              ;   in Loop: Header=BB170_13 Depth=1
	v_and_b32_sdwa v49, v0, v69 dst_sel:DWORD dst_unused:UNUSED_PAD src0_sel:WORD_0 src1_sel:DWORD
	v_lshrrev_b32_e32 v53, 3, v54
	s_mov_b32 s44, exec_lo
	v_cmpx_gt_u32_e32 8, v54
; %bb.182:                              ;   in Loop: Header=BB170_13 Depth=1
	v_ffbh_u32_e32 v53, v49
	v_min_u32_e32 v53, 32, v53
	v_subrev_nc_u32_e32 v54, 28, v53
	v_sub_nc_u32_e32 v53, 29, v53
	v_lshlrev_b64 v[54:55], v54, v[49:50]
	v_and_b32_e32 v49, 7, v54
; %bb.183:                              ;   in Loop: Header=BB170_13 Depth=1
	s_or_b32 exec_lo, exec_lo, s44
	v_lshlrev_b32_e32 v0, 24, v0
	v_lshlrev_b32_e32 v49, 20, v49
	v_lshl_add_u32 v53, v53, 23, 0x3c000000
	v_and_b32_e32 v0, 0x80000000, v0
	v_or3_b32 v95, v49, v0, v53
.LBB170_184:                            ;   in Loop: Header=BB170_13 Depth=1
	s_or_b32 exec_lo, exec_lo, s43
.LBB170_185:                            ;   in Loop: Header=BB170_13 Depth=1
	s_or_b32 exec_lo, exec_lo, s42
.LBB170_186:                            ;   in Loop: Header=BB170_13 Depth=1
	s_or_b32 exec_lo, exec_lo, s41
	global_load_ubyte v0, v[57:58], off offset:644
	s_mov_b32 s41, exec_lo
	s_waitcnt vmcnt(0)
	v_cmpx_ne_u16_e32 0, v0
	s_cbranch_execz .LBB170_194
; %bb.187:                              ;   in Loop: Header=BB170_13 Depth=1
	v_bfrev_b32_e32 v94, 1
	s_mov_b32 s42, exec_lo
	v_cmpx_ne_u16_e32 0x80, v0
	s_cbranch_execz .LBB170_193
; %bb.188:                              ;   in Loop: Header=BB170_13 Depth=1
	v_and_b32_sdwa v54, v0, v68 dst_sel:DWORD dst_unused:UNUSED_PAD src0_sel:WORD_0 src1_sel:DWORD
	v_mov_b32_e32 v94, 0x7f800001
	s_mov_b32 s43, exec_lo
	v_cmpx_ne_u32_e32 0x7f, v54
	s_cbranch_execz .LBB170_192
; %bb.189:                              ;   in Loop: Header=BB170_13 Depth=1
	v_and_b32_sdwa v49, v0, v69 dst_sel:DWORD dst_unused:UNUSED_PAD src0_sel:WORD_0 src1_sel:DWORD
	v_lshrrev_b32_e32 v53, 3, v54
	s_mov_b32 s44, exec_lo
	v_cmpx_gt_u32_e32 8, v54
; %bb.190:                              ;   in Loop: Header=BB170_13 Depth=1
	v_ffbh_u32_e32 v53, v49
	v_min_u32_e32 v53, 32, v53
	v_subrev_nc_u32_e32 v54, 28, v53
	v_sub_nc_u32_e32 v53, 29, v53
	v_lshlrev_b64 v[54:55], v54, v[49:50]
	v_and_b32_e32 v49, 7, v54
; %bb.191:                              ;   in Loop: Header=BB170_13 Depth=1
	s_or_b32 exec_lo, exec_lo, s44
	v_lshlrev_b32_e32 v0, 24, v0
	v_lshlrev_b32_e32 v49, 20, v49
	v_lshl_add_u32 v53, v53, 23, 0x3c000000
	v_and_b32_e32 v0, 0x80000000, v0
	v_or3_b32 v94, v49, v0, v53
.LBB170_192:                            ;   in Loop: Header=BB170_13 Depth=1
	s_or_b32 exec_lo, exec_lo, s43
.LBB170_193:                            ;   in Loop: Header=BB170_13 Depth=1
	s_or_b32 exec_lo, exec_lo, s42
.LBB170_194:                            ;   in Loop: Header=BB170_13 Depth=1
	s_or_b32 exec_lo, exec_lo, s41
	global_load_ubyte v0, v[57:58], off offset:648
	v_mov_b32_e32 v96, 0
	v_mov_b32_e32 v97, 0
	s_mov_b32 s41, exec_lo
	s_waitcnt vmcnt(0)
	v_cmpx_ne_u16_e32 0, v0
	s_cbranch_execz .LBB170_202
; %bb.195:                              ;   in Loop: Header=BB170_13 Depth=1
	v_bfrev_b32_e32 v97, 1
	s_mov_b32 s42, exec_lo
	v_cmpx_ne_u16_e32 0x80, v0
	s_cbranch_execz .LBB170_201
; %bb.196:                              ;   in Loop: Header=BB170_13 Depth=1
	v_and_b32_sdwa v54, v0, v68 dst_sel:DWORD dst_unused:UNUSED_PAD src0_sel:WORD_0 src1_sel:DWORD
	v_mov_b32_e32 v97, 0x7f800001
	s_mov_b32 s43, exec_lo
	v_cmpx_ne_u32_e32 0x7f, v54
	s_cbranch_execz .LBB170_200
; %bb.197:                              ;   in Loop: Header=BB170_13 Depth=1
	v_and_b32_sdwa v49, v0, v69 dst_sel:DWORD dst_unused:UNUSED_PAD src0_sel:WORD_0 src1_sel:DWORD
	v_lshrrev_b32_e32 v53, 3, v54
	s_mov_b32 s44, exec_lo
	v_cmpx_gt_u32_e32 8, v54
; %bb.198:                              ;   in Loop: Header=BB170_13 Depth=1
	v_ffbh_u32_e32 v53, v49
	v_min_u32_e32 v53, 32, v53
	v_subrev_nc_u32_e32 v54, 28, v53
	v_sub_nc_u32_e32 v53, 29, v53
	v_lshlrev_b64 v[54:55], v54, v[49:50]
	v_and_b32_e32 v49, 7, v54
; %bb.199:                              ;   in Loop: Header=BB170_13 Depth=1
	s_or_b32 exec_lo, exec_lo, s44
	v_lshlrev_b32_e32 v0, 24, v0
	v_lshlrev_b32_e32 v49, 20, v49
	v_lshl_add_u32 v53, v53, 23, 0x3c000000
	v_and_b32_e32 v0, 0x80000000, v0
	v_or3_b32 v97, v49, v0, v53
.LBB170_200:                            ;   in Loop: Header=BB170_13 Depth=1
	s_or_b32 exec_lo, exec_lo, s43
.LBB170_201:                            ;   in Loop: Header=BB170_13 Depth=1
	s_or_b32 exec_lo, exec_lo, s42
.LBB170_202:                            ;   in Loop: Header=BB170_13 Depth=1
	s_or_b32 exec_lo, exec_lo, s41
	global_load_ubyte v0, v[57:58], off offset:652
	s_mov_b32 s41, exec_lo
	s_waitcnt vmcnt(0)
	v_cmpx_ne_u16_e32 0, v0
	s_cbranch_execz .LBB170_210
; %bb.203:                              ;   in Loop: Header=BB170_13 Depth=1
	v_bfrev_b32_e32 v96, 1
	s_mov_b32 s42, exec_lo
	v_cmpx_ne_u16_e32 0x80, v0
	s_cbranch_execz .LBB170_209
; %bb.204:                              ;   in Loop: Header=BB170_13 Depth=1
	v_and_b32_sdwa v54, v0, v68 dst_sel:DWORD dst_unused:UNUSED_PAD src0_sel:WORD_0 src1_sel:DWORD
	v_mov_b32_e32 v96, 0x7f800001
	s_mov_b32 s43, exec_lo
	v_cmpx_ne_u32_e32 0x7f, v54
	s_cbranch_execz .LBB170_208
; %bb.205:                              ;   in Loop: Header=BB170_13 Depth=1
	v_and_b32_sdwa v49, v0, v69 dst_sel:DWORD dst_unused:UNUSED_PAD src0_sel:WORD_0 src1_sel:DWORD
	v_lshrrev_b32_e32 v53, 3, v54
	s_mov_b32 s44, exec_lo
	v_cmpx_gt_u32_e32 8, v54
; %bb.206:                              ;   in Loop: Header=BB170_13 Depth=1
	v_ffbh_u32_e32 v53, v49
	v_min_u32_e32 v53, 32, v53
	v_subrev_nc_u32_e32 v54, 28, v53
	v_sub_nc_u32_e32 v53, 29, v53
	v_lshlrev_b64 v[54:55], v54, v[49:50]
	v_and_b32_e32 v49, 7, v54
; %bb.207:                              ;   in Loop: Header=BB170_13 Depth=1
	s_or_b32 exec_lo, exec_lo, s44
	v_lshlrev_b32_e32 v0, 24, v0
	v_lshlrev_b32_e32 v49, 20, v49
	v_lshl_add_u32 v53, v53, 23, 0x3c000000
	v_and_b32_e32 v0, 0x80000000, v0
	v_or3_b32 v96, v49, v0, v53
.LBB170_208:                            ;   in Loop: Header=BB170_13 Depth=1
	s_or_b32 exec_lo, exec_lo, s43
.LBB170_209:                            ;   in Loop: Header=BB170_13 Depth=1
	s_or_b32 exec_lo, exec_lo, s42
.LBB170_210:                            ;   in Loop: Header=BB170_13 Depth=1
	s_or_b32 exec_lo, exec_lo, s41
	global_load_ubyte v0, v[57:58], off offset:768
	v_mov_b32_e32 v98, 0
	v_mov_b32_e32 v99, 0
	s_mov_b32 s41, exec_lo
	s_waitcnt vmcnt(0)
	v_cmpx_ne_u16_e32 0, v0
	s_cbranch_execz .LBB170_218
; %bb.211:                              ;   in Loop: Header=BB170_13 Depth=1
	v_bfrev_b32_e32 v99, 1
	s_mov_b32 s42, exec_lo
	v_cmpx_ne_u16_e32 0x80, v0
	s_cbranch_execz .LBB170_217
; %bb.212:                              ;   in Loop: Header=BB170_13 Depth=1
	v_and_b32_sdwa v54, v0, v68 dst_sel:DWORD dst_unused:UNUSED_PAD src0_sel:WORD_0 src1_sel:DWORD
	v_mov_b32_e32 v99, 0x7f800001
	s_mov_b32 s43, exec_lo
	v_cmpx_ne_u32_e32 0x7f, v54
	s_cbranch_execz .LBB170_216
; %bb.213:                              ;   in Loop: Header=BB170_13 Depth=1
	v_and_b32_sdwa v49, v0, v69 dst_sel:DWORD dst_unused:UNUSED_PAD src0_sel:WORD_0 src1_sel:DWORD
	v_lshrrev_b32_e32 v53, 3, v54
	s_mov_b32 s44, exec_lo
	v_cmpx_gt_u32_e32 8, v54
; %bb.214:                              ;   in Loop: Header=BB170_13 Depth=1
	v_ffbh_u32_e32 v53, v49
	v_min_u32_e32 v53, 32, v53
	v_subrev_nc_u32_e32 v54, 28, v53
	v_sub_nc_u32_e32 v53, 29, v53
	v_lshlrev_b64 v[54:55], v54, v[49:50]
	v_and_b32_e32 v49, 7, v54
; %bb.215:                              ;   in Loop: Header=BB170_13 Depth=1
	s_or_b32 exec_lo, exec_lo, s44
	v_lshlrev_b32_e32 v0, 24, v0
	v_lshlrev_b32_e32 v49, 20, v49
	v_lshl_add_u32 v53, v53, 23, 0x3c000000
	v_and_b32_e32 v0, 0x80000000, v0
	v_or3_b32 v99, v49, v0, v53
.LBB170_216:                            ;   in Loop: Header=BB170_13 Depth=1
	s_or_b32 exec_lo, exec_lo, s43
.LBB170_217:                            ;   in Loop: Header=BB170_13 Depth=1
	s_or_b32 exec_lo, exec_lo, s42
.LBB170_218:                            ;   in Loop: Header=BB170_13 Depth=1
	s_or_b32 exec_lo, exec_lo, s41
	global_load_ubyte v0, v[57:58], off offset:772
	s_mov_b32 s41, exec_lo
	s_waitcnt vmcnt(0)
	v_cmpx_ne_u16_e32 0, v0
	s_cbranch_execz .LBB170_226
; %bb.219:                              ;   in Loop: Header=BB170_13 Depth=1
	v_bfrev_b32_e32 v98, 1
	s_mov_b32 s42, exec_lo
	v_cmpx_ne_u16_e32 0x80, v0
	s_cbranch_execz .LBB170_225
; %bb.220:                              ;   in Loop: Header=BB170_13 Depth=1
	v_and_b32_sdwa v54, v0, v68 dst_sel:DWORD dst_unused:UNUSED_PAD src0_sel:WORD_0 src1_sel:DWORD
	v_mov_b32_e32 v98, 0x7f800001
	s_mov_b32 s43, exec_lo
	v_cmpx_ne_u32_e32 0x7f, v54
	s_cbranch_execz .LBB170_224
; %bb.221:                              ;   in Loop: Header=BB170_13 Depth=1
	v_and_b32_sdwa v49, v0, v69 dst_sel:DWORD dst_unused:UNUSED_PAD src0_sel:WORD_0 src1_sel:DWORD
	v_lshrrev_b32_e32 v53, 3, v54
	s_mov_b32 s44, exec_lo
	v_cmpx_gt_u32_e32 8, v54
; %bb.222:                              ;   in Loop: Header=BB170_13 Depth=1
	v_ffbh_u32_e32 v53, v49
	v_min_u32_e32 v53, 32, v53
	v_subrev_nc_u32_e32 v54, 28, v53
	v_sub_nc_u32_e32 v53, 29, v53
	v_lshlrev_b64 v[54:55], v54, v[49:50]
	v_and_b32_e32 v49, 7, v54
; %bb.223:                              ;   in Loop: Header=BB170_13 Depth=1
	s_or_b32 exec_lo, exec_lo, s44
	v_lshlrev_b32_e32 v0, 24, v0
	v_lshlrev_b32_e32 v49, 20, v49
	v_lshl_add_u32 v53, v53, 23, 0x3c000000
	v_and_b32_e32 v0, 0x80000000, v0
	v_or3_b32 v98, v49, v0, v53
.LBB170_224:                            ;   in Loop: Header=BB170_13 Depth=1
	s_or_b32 exec_lo, exec_lo, s43
.LBB170_225:                            ;   in Loop: Header=BB170_13 Depth=1
	s_or_b32 exec_lo, exec_lo, s42
.LBB170_226:                            ;   in Loop: Header=BB170_13 Depth=1
	s_or_b32 exec_lo, exec_lo, s41
	global_load_ubyte v0, v[57:58], off offset:776
	v_mov_b32_e32 v100, 0
	v_mov_b32_e32 v101, 0
	s_mov_b32 s41, exec_lo
	s_waitcnt vmcnt(0)
	v_cmpx_ne_u16_e32 0, v0
	s_cbranch_execz .LBB170_234
; %bb.227:                              ;   in Loop: Header=BB170_13 Depth=1
	v_bfrev_b32_e32 v101, 1
	s_mov_b32 s42, exec_lo
	v_cmpx_ne_u16_e32 0x80, v0
	s_cbranch_execz .LBB170_233
; %bb.228:                              ;   in Loop: Header=BB170_13 Depth=1
	v_and_b32_sdwa v54, v0, v68 dst_sel:DWORD dst_unused:UNUSED_PAD src0_sel:WORD_0 src1_sel:DWORD
	v_mov_b32_e32 v101, 0x7f800001
	s_mov_b32 s43, exec_lo
	v_cmpx_ne_u32_e32 0x7f, v54
	s_cbranch_execz .LBB170_232
; %bb.229:                              ;   in Loop: Header=BB170_13 Depth=1
	v_and_b32_sdwa v49, v0, v69 dst_sel:DWORD dst_unused:UNUSED_PAD src0_sel:WORD_0 src1_sel:DWORD
	v_lshrrev_b32_e32 v53, 3, v54
	s_mov_b32 s44, exec_lo
	v_cmpx_gt_u32_e32 8, v54
; %bb.230:                              ;   in Loop: Header=BB170_13 Depth=1
	v_ffbh_u32_e32 v53, v49
	v_min_u32_e32 v53, 32, v53
	v_subrev_nc_u32_e32 v54, 28, v53
	v_sub_nc_u32_e32 v53, 29, v53
	v_lshlrev_b64 v[54:55], v54, v[49:50]
	v_and_b32_e32 v49, 7, v54
; %bb.231:                              ;   in Loop: Header=BB170_13 Depth=1
	s_or_b32 exec_lo, exec_lo, s44
	v_lshlrev_b32_e32 v0, 24, v0
	v_lshlrev_b32_e32 v49, 20, v49
	v_lshl_add_u32 v53, v53, 23, 0x3c000000
	v_and_b32_e32 v0, 0x80000000, v0
	v_or3_b32 v101, v49, v0, v53
.LBB170_232:                            ;   in Loop: Header=BB170_13 Depth=1
	s_or_b32 exec_lo, exec_lo, s43
.LBB170_233:                            ;   in Loop: Header=BB170_13 Depth=1
	s_or_b32 exec_lo, exec_lo, s42
.LBB170_234:                            ;   in Loop: Header=BB170_13 Depth=1
	s_or_b32 exec_lo, exec_lo, s41
	global_load_ubyte v0, v[57:58], off offset:780
	s_mov_b32 s41, exec_lo
	s_waitcnt vmcnt(0)
	v_cmpx_ne_u16_e32 0, v0
	s_cbranch_execz .LBB170_242
; %bb.235:                              ;   in Loop: Header=BB170_13 Depth=1
	v_bfrev_b32_e32 v100, 1
	s_mov_b32 s42, exec_lo
	v_cmpx_ne_u16_e32 0x80, v0
	s_cbranch_execz .LBB170_241
; %bb.236:                              ;   in Loop: Header=BB170_13 Depth=1
	v_and_b32_sdwa v54, v0, v68 dst_sel:DWORD dst_unused:UNUSED_PAD src0_sel:WORD_0 src1_sel:DWORD
	v_mov_b32_e32 v100, 0x7f800001
	s_mov_b32 s43, exec_lo
	v_cmpx_ne_u32_e32 0x7f, v54
	s_cbranch_execz .LBB170_240
; %bb.237:                              ;   in Loop: Header=BB170_13 Depth=1
	v_and_b32_sdwa v49, v0, v69 dst_sel:DWORD dst_unused:UNUSED_PAD src0_sel:WORD_0 src1_sel:DWORD
	v_lshrrev_b32_e32 v53, 3, v54
	s_mov_b32 s44, exec_lo
	v_cmpx_gt_u32_e32 8, v54
; %bb.238:                              ;   in Loop: Header=BB170_13 Depth=1
	v_ffbh_u32_e32 v53, v49
	v_min_u32_e32 v53, 32, v53
	v_subrev_nc_u32_e32 v54, 28, v53
	v_sub_nc_u32_e32 v53, 29, v53
	v_lshlrev_b64 v[54:55], v54, v[49:50]
	v_and_b32_e32 v49, 7, v54
; %bb.239:                              ;   in Loop: Header=BB170_13 Depth=1
	s_or_b32 exec_lo, exec_lo, s44
	v_lshlrev_b32_e32 v0, 24, v0
	v_lshlrev_b32_e32 v49, 20, v49
	v_lshl_add_u32 v53, v53, 23, 0x3c000000
	v_and_b32_e32 v0, 0x80000000, v0
	v_or3_b32 v100, v49, v0, v53
.LBB170_240:                            ;   in Loop: Header=BB170_13 Depth=1
	s_or_b32 exec_lo, exec_lo, s43
.LBB170_241:                            ;   in Loop: Header=BB170_13 Depth=1
	s_or_b32 exec_lo, exec_lo, s42
.LBB170_242:                            ;   in Loop: Header=BB170_13 Depth=1
	s_or_b32 exec_lo, exec_lo, s41
	global_load_ubyte v0, v[57:58], off offset:896
	v_mov_b32_e32 v102, 0
	v_mov_b32_e32 v103, 0
	s_mov_b32 s41, exec_lo
	s_waitcnt vmcnt(0)
	v_cmpx_ne_u16_e32 0, v0
	s_cbranch_execz .LBB170_250
; %bb.243:                              ;   in Loop: Header=BB170_13 Depth=1
	v_bfrev_b32_e32 v103, 1
	s_mov_b32 s42, exec_lo
	v_cmpx_ne_u16_e32 0x80, v0
	s_cbranch_execz .LBB170_249
; %bb.244:                              ;   in Loop: Header=BB170_13 Depth=1
	v_and_b32_sdwa v54, v0, v68 dst_sel:DWORD dst_unused:UNUSED_PAD src0_sel:WORD_0 src1_sel:DWORD
	v_mov_b32_e32 v103, 0x7f800001
	s_mov_b32 s43, exec_lo
	v_cmpx_ne_u32_e32 0x7f, v54
	s_cbranch_execz .LBB170_248
; %bb.245:                              ;   in Loop: Header=BB170_13 Depth=1
	v_and_b32_sdwa v49, v0, v69 dst_sel:DWORD dst_unused:UNUSED_PAD src0_sel:WORD_0 src1_sel:DWORD
	v_lshrrev_b32_e32 v53, 3, v54
	s_mov_b32 s44, exec_lo
	v_cmpx_gt_u32_e32 8, v54
; %bb.246:                              ;   in Loop: Header=BB170_13 Depth=1
	v_ffbh_u32_e32 v53, v49
	v_min_u32_e32 v53, 32, v53
	v_subrev_nc_u32_e32 v54, 28, v53
	v_sub_nc_u32_e32 v53, 29, v53
	v_lshlrev_b64 v[54:55], v54, v[49:50]
	v_and_b32_e32 v49, 7, v54
; %bb.247:                              ;   in Loop: Header=BB170_13 Depth=1
	s_or_b32 exec_lo, exec_lo, s44
	v_lshlrev_b32_e32 v0, 24, v0
	v_lshlrev_b32_e32 v49, 20, v49
	v_lshl_add_u32 v53, v53, 23, 0x3c000000
	v_and_b32_e32 v0, 0x80000000, v0
	v_or3_b32 v103, v49, v0, v53
.LBB170_248:                            ;   in Loop: Header=BB170_13 Depth=1
	s_or_b32 exec_lo, exec_lo, s43
.LBB170_249:                            ;   in Loop: Header=BB170_13 Depth=1
	s_or_b32 exec_lo, exec_lo, s42
.LBB170_250:                            ;   in Loop: Header=BB170_13 Depth=1
	s_or_b32 exec_lo, exec_lo, s41
	global_load_ubyte v0, v[57:58], off offset:900
	s_mov_b32 s41, exec_lo
	s_waitcnt vmcnt(0)
	v_cmpx_ne_u16_e32 0, v0
	s_cbranch_execz .LBB170_258
; %bb.251:                              ;   in Loop: Header=BB170_13 Depth=1
	v_bfrev_b32_e32 v102, 1
	s_mov_b32 s42, exec_lo
	v_cmpx_ne_u16_e32 0x80, v0
	s_cbranch_execz .LBB170_257
; %bb.252:                              ;   in Loop: Header=BB170_13 Depth=1
	v_and_b32_sdwa v54, v0, v68 dst_sel:DWORD dst_unused:UNUSED_PAD src0_sel:WORD_0 src1_sel:DWORD
	v_mov_b32_e32 v102, 0x7f800001
	s_mov_b32 s43, exec_lo
	v_cmpx_ne_u32_e32 0x7f, v54
	s_cbranch_execz .LBB170_256
; %bb.253:                              ;   in Loop: Header=BB170_13 Depth=1
	v_and_b32_sdwa v49, v0, v69 dst_sel:DWORD dst_unused:UNUSED_PAD src0_sel:WORD_0 src1_sel:DWORD
	v_lshrrev_b32_e32 v53, 3, v54
	s_mov_b32 s44, exec_lo
	v_cmpx_gt_u32_e32 8, v54
; %bb.254:                              ;   in Loop: Header=BB170_13 Depth=1
	v_ffbh_u32_e32 v53, v49
	v_min_u32_e32 v53, 32, v53
	v_subrev_nc_u32_e32 v54, 28, v53
	v_sub_nc_u32_e32 v53, 29, v53
	v_lshlrev_b64 v[54:55], v54, v[49:50]
	v_and_b32_e32 v49, 7, v54
; %bb.255:                              ;   in Loop: Header=BB170_13 Depth=1
	s_or_b32 exec_lo, exec_lo, s44
	v_lshlrev_b32_e32 v0, 24, v0
	v_lshlrev_b32_e32 v49, 20, v49
	v_lshl_add_u32 v53, v53, 23, 0x3c000000
	v_and_b32_e32 v0, 0x80000000, v0
	v_or3_b32 v102, v49, v0, v53
.LBB170_256:                            ;   in Loop: Header=BB170_13 Depth=1
	s_or_b32 exec_lo, exec_lo, s43
.LBB170_257:                            ;   in Loop: Header=BB170_13 Depth=1
	s_or_b32 exec_lo, exec_lo, s42
.LBB170_258:                            ;   in Loop: Header=BB170_13 Depth=1
	s_or_b32 exec_lo, exec_lo, s41
	global_load_ubyte v0, v[57:58], off offset:904
	v_mov_b32_e32 v104, 0
	v_mov_b32_e32 v105, 0
	s_mov_b32 s41, exec_lo
	s_waitcnt vmcnt(0)
	v_cmpx_ne_u16_e32 0, v0
	s_cbranch_execz .LBB170_266
; %bb.259:                              ;   in Loop: Header=BB170_13 Depth=1
	v_bfrev_b32_e32 v105, 1
	s_mov_b32 s42, exec_lo
	v_cmpx_ne_u16_e32 0x80, v0
	s_cbranch_execz .LBB170_265
; %bb.260:                              ;   in Loop: Header=BB170_13 Depth=1
	v_and_b32_sdwa v54, v0, v68 dst_sel:DWORD dst_unused:UNUSED_PAD src0_sel:WORD_0 src1_sel:DWORD
	v_mov_b32_e32 v105, 0x7f800001
	s_mov_b32 s43, exec_lo
	v_cmpx_ne_u32_e32 0x7f, v54
	s_cbranch_execz .LBB170_264
; %bb.261:                              ;   in Loop: Header=BB170_13 Depth=1
	v_and_b32_sdwa v49, v0, v69 dst_sel:DWORD dst_unused:UNUSED_PAD src0_sel:WORD_0 src1_sel:DWORD
	v_lshrrev_b32_e32 v53, 3, v54
	s_mov_b32 s44, exec_lo
	v_cmpx_gt_u32_e32 8, v54
; %bb.262:                              ;   in Loop: Header=BB170_13 Depth=1
	v_ffbh_u32_e32 v53, v49
	v_min_u32_e32 v53, 32, v53
	v_subrev_nc_u32_e32 v54, 28, v53
	v_sub_nc_u32_e32 v53, 29, v53
	v_lshlrev_b64 v[54:55], v54, v[49:50]
	v_and_b32_e32 v49, 7, v54
; %bb.263:                              ;   in Loop: Header=BB170_13 Depth=1
	s_or_b32 exec_lo, exec_lo, s44
	v_lshlrev_b32_e32 v0, 24, v0
	v_lshlrev_b32_e32 v49, 20, v49
	v_lshl_add_u32 v53, v53, 23, 0x3c000000
	v_and_b32_e32 v0, 0x80000000, v0
	v_or3_b32 v105, v49, v0, v53
.LBB170_264:                            ;   in Loop: Header=BB170_13 Depth=1
	s_or_b32 exec_lo, exec_lo, s43
.LBB170_265:                            ;   in Loop: Header=BB170_13 Depth=1
	s_or_b32 exec_lo, exec_lo, s42
.LBB170_266:                            ;   in Loop: Header=BB170_13 Depth=1
	s_or_b32 exec_lo, exec_lo, s41
	global_load_ubyte v0, v[57:58], off offset:908
	s_mov_b32 s41, exec_lo
	s_waitcnt vmcnt(0)
	v_cmpx_ne_u16_e32 0, v0
	s_cbranch_execz .LBB170_274
; %bb.267:                              ;   in Loop: Header=BB170_13 Depth=1
	v_bfrev_b32_e32 v104, 1
	s_mov_b32 s42, exec_lo
	v_cmpx_ne_u16_e32 0x80, v0
	s_cbranch_execz .LBB170_273
; %bb.268:                              ;   in Loop: Header=BB170_13 Depth=1
	v_and_b32_sdwa v54, v0, v68 dst_sel:DWORD dst_unused:UNUSED_PAD src0_sel:WORD_0 src1_sel:DWORD
	v_mov_b32_e32 v104, 0x7f800001
	s_mov_b32 s43, exec_lo
	v_cmpx_ne_u32_e32 0x7f, v54
	s_cbranch_execz .LBB170_272
; %bb.269:                              ;   in Loop: Header=BB170_13 Depth=1
	v_and_b32_sdwa v49, v0, v69 dst_sel:DWORD dst_unused:UNUSED_PAD src0_sel:WORD_0 src1_sel:DWORD
	v_lshrrev_b32_e32 v53, 3, v54
	s_mov_b32 s44, exec_lo
	v_cmpx_gt_u32_e32 8, v54
; %bb.270:                              ;   in Loop: Header=BB170_13 Depth=1
	v_ffbh_u32_e32 v53, v49
	v_min_u32_e32 v53, 32, v53
	v_subrev_nc_u32_e32 v54, 28, v53
	v_sub_nc_u32_e32 v53, 29, v53
	v_lshlrev_b64 v[54:55], v54, v[49:50]
	v_and_b32_e32 v49, 7, v54
; %bb.271:                              ;   in Loop: Header=BB170_13 Depth=1
	s_or_b32 exec_lo, exec_lo, s44
	v_lshlrev_b32_e32 v0, 24, v0
	v_lshlrev_b32_e32 v49, 20, v49
	v_lshl_add_u32 v53, v53, 23, 0x3c000000
	v_and_b32_e32 v0, 0x80000000, v0
	v_or3_b32 v104, v49, v0, v53
.LBB170_272:                            ;   in Loop: Header=BB170_13 Depth=1
	s_or_b32 exec_lo, exec_lo, s43
.LBB170_273:                            ;   in Loop: Header=BB170_13 Depth=1
	s_or_b32 exec_lo, exec_lo, s42
.LBB170_274:                            ;   in Loop: Header=BB170_13 Depth=1
	s_or_b32 exec_lo, exec_lo, s41
	global_load_ubyte v0, v[57:58], off offset:1024
	v_mov_b32_e32 v106, 0
	v_mov_b32_e32 v107, 0
	s_mov_b32 s41, exec_lo
	s_waitcnt vmcnt(0)
	v_cmpx_ne_u16_e32 0, v0
	s_cbranch_execz .LBB170_282
; %bb.275:                              ;   in Loop: Header=BB170_13 Depth=1
	v_bfrev_b32_e32 v107, 1
	s_mov_b32 s42, exec_lo
	v_cmpx_ne_u16_e32 0x80, v0
	s_cbranch_execz .LBB170_281
; %bb.276:                              ;   in Loop: Header=BB170_13 Depth=1
	v_and_b32_sdwa v54, v0, v68 dst_sel:DWORD dst_unused:UNUSED_PAD src0_sel:WORD_0 src1_sel:DWORD
	v_mov_b32_e32 v107, 0x7f800001
	s_mov_b32 s43, exec_lo
	v_cmpx_ne_u32_e32 0x7f, v54
	s_cbranch_execz .LBB170_280
; %bb.277:                              ;   in Loop: Header=BB170_13 Depth=1
	v_and_b32_sdwa v49, v0, v69 dst_sel:DWORD dst_unused:UNUSED_PAD src0_sel:WORD_0 src1_sel:DWORD
	v_lshrrev_b32_e32 v53, 3, v54
	s_mov_b32 s44, exec_lo
	v_cmpx_gt_u32_e32 8, v54
; %bb.278:                              ;   in Loop: Header=BB170_13 Depth=1
	v_ffbh_u32_e32 v53, v49
	v_min_u32_e32 v53, 32, v53
	v_subrev_nc_u32_e32 v54, 28, v53
	v_sub_nc_u32_e32 v53, 29, v53
	v_lshlrev_b64 v[54:55], v54, v[49:50]
	v_and_b32_e32 v49, 7, v54
; %bb.279:                              ;   in Loop: Header=BB170_13 Depth=1
	s_or_b32 exec_lo, exec_lo, s44
	v_lshlrev_b32_e32 v0, 24, v0
	v_lshlrev_b32_e32 v49, 20, v49
	v_lshl_add_u32 v53, v53, 23, 0x3c000000
	v_and_b32_e32 v0, 0x80000000, v0
	v_or3_b32 v107, v49, v0, v53
.LBB170_280:                            ;   in Loop: Header=BB170_13 Depth=1
	s_or_b32 exec_lo, exec_lo, s43
.LBB170_281:                            ;   in Loop: Header=BB170_13 Depth=1
	s_or_b32 exec_lo, exec_lo, s42
.LBB170_282:                            ;   in Loop: Header=BB170_13 Depth=1
	s_or_b32 exec_lo, exec_lo, s41
	global_load_ubyte v0, v[57:58], off offset:1028
	s_mov_b32 s41, exec_lo
	s_waitcnt vmcnt(0)
	v_cmpx_ne_u16_e32 0, v0
	s_cbranch_execz .LBB170_290
; %bb.283:                              ;   in Loop: Header=BB170_13 Depth=1
	v_bfrev_b32_e32 v106, 1
	s_mov_b32 s42, exec_lo
	v_cmpx_ne_u16_e32 0x80, v0
	s_cbranch_execz .LBB170_289
; %bb.284:                              ;   in Loop: Header=BB170_13 Depth=1
	v_and_b32_sdwa v54, v0, v68 dst_sel:DWORD dst_unused:UNUSED_PAD src0_sel:WORD_0 src1_sel:DWORD
	v_mov_b32_e32 v106, 0x7f800001
	s_mov_b32 s43, exec_lo
	v_cmpx_ne_u32_e32 0x7f, v54
	s_cbranch_execz .LBB170_288
; %bb.285:                              ;   in Loop: Header=BB170_13 Depth=1
	v_and_b32_sdwa v49, v0, v69 dst_sel:DWORD dst_unused:UNUSED_PAD src0_sel:WORD_0 src1_sel:DWORD
	v_lshrrev_b32_e32 v53, 3, v54
	s_mov_b32 s44, exec_lo
	v_cmpx_gt_u32_e32 8, v54
; %bb.286:                              ;   in Loop: Header=BB170_13 Depth=1
	v_ffbh_u32_e32 v53, v49
	v_min_u32_e32 v53, 32, v53
	v_subrev_nc_u32_e32 v54, 28, v53
	v_sub_nc_u32_e32 v53, 29, v53
	v_lshlrev_b64 v[54:55], v54, v[49:50]
	v_and_b32_e32 v49, 7, v54
; %bb.287:                              ;   in Loop: Header=BB170_13 Depth=1
	s_or_b32 exec_lo, exec_lo, s44
	v_lshlrev_b32_e32 v0, 24, v0
	v_lshlrev_b32_e32 v49, 20, v49
	v_lshl_add_u32 v53, v53, 23, 0x3c000000
	v_and_b32_e32 v0, 0x80000000, v0
	v_or3_b32 v106, v49, v0, v53
.LBB170_288:                            ;   in Loop: Header=BB170_13 Depth=1
	s_or_b32 exec_lo, exec_lo, s43
.LBB170_289:                            ;   in Loop: Header=BB170_13 Depth=1
	s_or_b32 exec_lo, exec_lo, s42
.LBB170_290:                            ;   in Loop: Header=BB170_13 Depth=1
	s_or_b32 exec_lo, exec_lo, s41
	global_load_ubyte v0, v[57:58], off offset:1032
	v_mov_b32_e32 v108, 0
	v_mov_b32_e32 v109, 0
	s_mov_b32 s41, exec_lo
	s_waitcnt vmcnt(0)
	v_cmpx_ne_u16_e32 0, v0
	s_cbranch_execz .LBB170_298
; %bb.291:                              ;   in Loop: Header=BB170_13 Depth=1
	v_bfrev_b32_e32 v109, 1
	s_mov_b32 s42, exec_lo
	v_cmpx_ne_u16_e32 0x80, v0
	s_cbranch_execz .LBB170_297
; %bb.292:                              ;   in Loop: Header=BB170_13 Depth=1
	v_and_b32_sdwa v54, v0, v68 dst_sel:DWORD dst_unused:UNUSED_PAD src0_sel:WORD_0 src1_sel:DWORD
	v_mov_b32_e32 v109, 0x7f800001
	s_mov_b32 s43, exec_lo
	v_cmpx_ne_u32_e32 0x7f, v54
	s_cbranch_execz .LBB170_296
; %bb.293:                              ;   in Loop: Header=BB170_13 Depth=1
	v_and_b32_sdwa v49, v0, v69 dst_sel:DWORD dst_unused:UNUSED_PAD src0_sel:WORD_0 src1_sel:DWORD
	v_lshrrev_b32_e32 v53, 3, v54
	s_mov_b32 s44, exec_lo
	v_cmpx_gt_u32_e32 8, v54
; %bb.294:                              ;   in Loop: Header=BB170_13 Depth=1
	v_ffbh_u32_e32 v53, v49
	v_min_u32_e32 v53, 32, v53
	v_subrev_nc_u32_e32 v54, 28, v53
	v_sub_nc_u32_e32 v53, 29, v53
	v_lshlrev_b64 v[54:55], v54, v[49:50]
	v_and_b32_e32 v49, 7, v54
; %bb.295:                              ;   in Loop: Header=BB170_13 Depth=1
	s_or_b32 exec_lo, exec_lo, s44
	v_lshlrev_b32_e32 v0, 24, v0
	v_lshlrev_b32_e32 v49, 20, v49
	v_lshl_add_u32 v53, v53, 23, 0x3c000000
	v_and_b32_e32 v0, 0x80000000, v0
	v_or3_b32 v109, v49, v0, v53
.LBB170_296:                            ;   in Loop: Header=BB170_13 Depth=1
	s_or_b32 exec_lo, exec_lo, s43
.LBB170_297:                            ;   in Loop: Header=BB170_13 Depth=1
	s_or_b32 exec_lo, exec_lo, s42
.LBB170_298:                            ;   in Loop: Header=BB170_13 Depth=1
	s_or_b32 exec_lo, exec_lo, s41
	global_load_ubyte v0, v[57:58], off offset:1036
	s_mov_b32 s41, exec_lo
	s_waitcnt vmcnt(0)
	v_cmpx_ne_u16_e32 0, v0
	s_cbranch_execz .LBB170_306
; %bb.299:                              ;   in Loop: Header=BB170_13 Depth=1
	v_bfrev_b32_e32 v108, 1
	s_mov_b32 s42, exec_lo
	v_cmpx_ne_u16_e32 0x80, v0
	s_cbranch_execz .LBB170_305
; %bb.300:                              ;   in Loop: Header=BB170_13 Depth=1
	v_and_b32_sdwa v54, v0, v68 dst_sel:DWORD dst_unused:UNUSED_PAD src0_sel:WORD_0 src1_sel:DWORD
	v_mov_b32_e32 v108, 0x7f800001
	s_mov_b32 s43, exec_lo
	v_cmpx_ne_u32_e32 0x7f, v54
	s_cbranch_execz .LBB170_304
; %bb.301:                              ;   in Loop: Header=BB170_13 Depth=1
	v_and_b32_sdwa v49, v0, v69 dst_sel:DWORD dst_unused:UNUSED_PAD src0_sel:WORD_0 src1_sel:DWORD
	v_lshrrev_b32_e32 v53, 3, v54
	s_mov_b32 s44, exec_lo
	v_cmpx_gt_u32_e32 8, v54
; %bb.302:                              ;   in Loop: Header=BB170_13 Depth=1
	v_ffbh_u32_e32 v53, v49
	v_min_u32_e32 v53, 32, v53
	v_subrev_nc_u32_e32 v54, 28, v53
	v_sub_nc_u32_e32 v53, 29, v53
	v_lshlrev_b64 v[54:55], v54, v[49:50]
	v_and_b32_e32 v49, 7, v54
; %bb.303:                              ;   in Loop: Header=BB170_13 Depth=1
	s_or_b32 exec_lo, exec_lo, s44
	v_lshlrev_b32_e32 v0, 24, v0
	v_lshlrev_b32_e32 v49, 20, v49
	v_lshl_add_u32 v53, v53, 23, 0x3c000000
	v_and_b32_e32 v0, 0x80000000, v0
	v_or3_b32 v108, v49, v0, v53
.LBB170_304:                            ;   in Loop: Header=BB170_13 Depth=1
	s_or_b32 exec_lo, exec_lo, s43
.LBB170_305:                            ;   in Loop: Header=BB170_13 Depth=1
	s_or_b32 exec_lo, exec_lo, s42
.LBB170_306:                            ;   in Loop: Header=BB170_13 Depth=1
	s_or_b32 exec_lo, exec_lo, s41
	global_load_ubyte v0, v[57:58], off offset:1152
	v_mov_b32_e32 v110, 0
	v_mov_b32_e32 v111, 0
	s_mov_b32 s41, exec_lo
	s_waitcnt vmcnt(0)
	v_cmpx_ne_u16_e32 0, v0
	s_cbranch_execz .LBB170_314
; %bb.307:                              ;   in Loop: Header=BB170_13 Depth=1
	v_bfrev_b32_e32 v111, 1
	s_mov_b32 s42, exec_lo
	v_cmpx_ne_u16_e32 0x80, v0
	s_cbranch_execz .LBB170_313
; %bb.308:                              ;   in Loop: Header=BB170_13 Depth=1
	v_and_b32_sdwa v54, v0, v68 dst_sel:DWORD dst_unused:UNUSED_PAD src0_sel:WORD_0 src1_sel:DWORD
	v_mov_b32_e32 v111, 0x7f800001
	s_mov_b32 s43, exec_lo
	v_cmpx_ne_u32_e32 0x7f, v54
	s_cbranch_execz .LBB170_312
; %bb.309:                              ;   in Loop: Header=BB170_13 Depth=1
	v_and_b32_sdwa v49, v0, v69 dst_sel:DWORD dst_unused:UNUSED_PAD src0_sel:WORD_0 src1_sel:DWORD
	v_lshrrev_b32_e32 v53, 3, v54
	s_mov_b32 s44, exec_lo
	v_cmpx_gt_u32_e32 8, v54
; %bb.310:                              ;   in Loop: Header=BB170_13 Depth=1
	v_ffbh_u32_e32 v53, v49
	v_min_u32_e32 v53, 32, v53
	v_subrev_nc_u32_e32 v54, 28, v53
	v_sub_nc_u32_e32 v53, 29, v53
	v_lshlrev_b64 v[54:55], v54, v[49:50]
	v_and_b32_e32 v49, 7, v54
; %bb.311:                              ;   in Loop: Header=BB170_13 Depth=1
	s_or_b32 exec_lo, exec_lo, s44
	v_lshlrev_b32_e32 v0, 24, v0
	v_lshlrev_b32_e32 v49, 20, v49
	v_lshl_add_u32 v53, v53, 23, 0x3c000000
	v_and_b32_e32 v0, 0x80000000, v0
	v_or3_b32 v111, v49, v0, v53
.LBB170_312:                            ;   in Loop: Header=BB170_13 Depth=1
	s_or_b32 exec_lo, exec_lo, s43
.LBB170_313:                            ;   in Loop: Header=BB170_13 Depth=1
	s_or_b32 exec_lo, exec_lo, s42
.LBB170_314:                            ;   in Loop: Header=BB170_13 Depth=1
	s_or_b32 exec_lo, exec_lo, s41
	global_load_ubyte v0, v[57:58], off offset:1156
	s_mov_b32 s41, exec_lo
	s_waitcnt vmcnt(0)
	v_cmpx_ne_u16_e32 0, v0
	s_cbranch_execz .LBB170_322
; %bb.315:                              ;   in Loop: Header=BB170_13 Depth=1
	v_bfrev_b32_e32 v110, 1
	s_mov_b32 s42, exec_lo
	v_cmpx_ne_u16_e32 0x80, v0
	s_cbranch_execz .LBB170_321
; %bb.316:                              ;   in Loop: Header=BB170_13 Depth=1
	v_and_b32_sdwa v54, v0, v68 dst_sel:DWORD dst_unused:UNUSED_PAD src0_sel:WORD_0 src1_sel:DWORD
	v_mov_b32_e32 v110, 0x7f800001
	s_mov_b32 s43, exec_lo
	v_cmpx_ne_u32_e32 0x7f, v54
	s_cbranch_execz .LBB170_320
; %bb.317:                              ;   in Loop: Header=BB170_13 Depth=1
	v_and_b32_sdwa v49, v0, v69 dst_sel:DWORD dst_unused:UNUSED_PAD src0_sel:WORD_0 src1_sel:DWORD
	v_lshrrev_b32_e32 v53, 3, v54
	s_mov_b32 s44, exec_lo
	v_cmpx_gt_u32_e32 8, v54
; %bb.318:                              ;   in Loop: Header=BB170_13 Depth=1
	v_ffbh_u32_e32 v53, v49
	v_min_u32_e32 v53, 32, v53
	v_subrev_nc_u32_e32 v54, 28, v53
	v_sub_nc_u32_e32 v53, 29, v53
	v_lshlrev_b64 v[54:55], v54, v[49:50]
	v_and_b32_e32 v49, 7, v54
; %bb.319:                              ;   in Loop: Header=BB170_13 Depth=1
	s_or_b32 exec_lo, exec_lo, s44
	v_lshlrev_b32_e32 v0, 24, v0
	v_lshlrev_b32_e32 v49, 20, v49
	v_lshl_add_u32 v53, v53, 23, 0x3c000000
	v_and_b32_e32 v0, 0x80000000, v0
	v_or3_b32 v110, v49, v0, v53
.LBB170_320:                            ;   in Loop: Header=BB170_13 Depth=1
	s_or_b32 exec_lo, exec_lo, s43
.LBB170_321:                            ;   in Loop: Header=BB170_13 Depth=1
	s_or_b32 exec_lo, exec_lo, s42
.LBB170_322:                            ;   in Loop: Header=BB170_13 Depth=1
	s_or_b32 exec_lo, exec_lo, s41
	global_load_ubyte v0, v[57:58], off offset:1160
	v_mov_b32_e32 v112, 0
	v_mov_b32_e32 v113, 0
	s_mov_b32 s41, exec_lo
	s_waitcnt vmcnt(0)
	v_cmpx_ne_u16_e32 0, v0
	s_cbranch_execz .LBB170_330
; %bb.323:                              ;   in Loop: Header=BB170_13 Depth=1
	v_bfrev_b32_e32 v113, 1
	s_mov_b32 s42, exec_lo
	v_cmpx_ne_u16_e32 0x80, v0
	s_cbranch_execz .LBB170_329
; %bb.324:                              ;   in Loop: Header=BB170_13 Depth=1
	v_and_b32_sdwa v54, v0, v68 dst_sel:DWORD dst_unused:UNUSED_PAD src0_sel:WORD_0 src1_sel:DWORD
	v_mov_b32_e32 v113, 0x7f800001
	s_mov_b32 s43, exec_lo
	v_cmpx_ne_u32_e32 0x7f, v54
	s_cbranch_execz .LBB170_328
; %bb.325:                              ;   in Loop: Header=BB170_13 Depth=1
	v_and_b32_sdwa v49, v0, v69 dst_sel:DWORD dst_unused:UNUSED_PAD src0_sel:WORD_0 src1_sel:DWORD
	v_lshrrev_b32_e32 v53, 3, v54
	s_mov_b32 s44, exec_lo
	v_cmpx_gt_u32_e32 8, v54
; %bb.326:                              ;   in Loop: Header=BB170_13 Depth=1
	v_ffbh_u32_e32 v53, v49
	v_min_u32_e32 v53, 32, v53
	v_subrev_nc_u32_e32 v54, 28, v53
	v_sub_nc_u32_e32 v53, 29, v53
	v_lshlrev_b64 v[54:55], v54, v[49:50]
	v_and_b32_e32 v49, 7, v54
; %bb.327:                              ;   in Loop: Header=BB170_13 Depth=1
	s_or_b32 exec_lo, exec_lo, s44
	v_lshlrev_b32_e32 v0, 24, v0
	v_lshlrev_b32_e32 v49, 20, v49
	v_lshl_add_u32 v53, v53, 23, 0x3c000000
	v_and_b32_e32 v0, 0x80000000, v0
	v_or3_b32 v113, v49, v0, v53
.LBB170_328:                            ;   in Loop: Header=BB170_13 Depth=1
	s_or_b32 exec_lo, exec_lo, s43
.LBB170_329:                            ;   in Loop: Header=BB170_13 Depth=1
	s_or_b32 exec_lo, exec_lo, s42
.LBB170_330:                            ;   in Loop: Header=BB170_13 Depth=1
	s_or_b32 exec_lo, exec_lo, s41
	global_load_ubyte v0, v[57:58], off offset:1164
	s_mov_b32 s41, exec_lo
	s_waitcnt vmcnt(0)
	v_cmpx_ne_u16_e32 0, v0
	s_cbranch_execz .LBB170_338
; %bb.331:                              ;   in Loop: Header=BB170_13 Depth=1
	v_bfrev_b32_e32 v112, 1
	s_mov_b32 s42, exec_lo
	v_cmpx_ne_u16_e32 0x80, v0
	s_cbranch_execz .LBB170_337
; %bb.332:                              ;   in Loop: Header=BB170_13 Depth=1
	v_and_b32_sdwa v54, v0, v68 dst_sel:DWORD dst_unused:UNUSED_PAD src0_sel:WORD_0 src1_sel:DWORD
	v_mov_b32_e32 v112, 0x7f800001
	s_mov_b32 s43, exec_lo
	v_cmpx_ne_u32_e32 0x7f, v54
	s_cbranch_execz .LBB170_336
; %bb.333:                              ;   in Loop: Header=BB170_13 Depth=1
	v_and_b32_sdwa v49, v0, v69 dst_sel:DWORD dst_unused:UNUSED_PAD src0_sel:WORD_0 src1_sel:DWORD
	v_lshrrev_b32_e32 v53, 3, v54
	s_mov_b32 s44, exec_lo
	v_cmpx_gt_u32_e32 8, v54
; %bb.334:                              ;   in Loop: Header=BB170_13 Depth=1
	v_ffbh_u32_e32 v53, v49
	v_min_u32_e32 v53, 32, v53
	v_subrev_nc_u32_e32 v54, 28, v53
	v_sub_nc_u32_e32 v53, 29, v53
	v_lshlrev_b64 v[54:55], v54, v[49:50]
	v_and_b32_e32 v49, 7, v54
; %bb.335:                              ;   in Loop: Header=BB170_13 Depth=1
	s_or_b32 exec_lo, exec_lo, s44
	v_lshlrev_b32_e32 v0, 24, v0
	v_lshlrev_b32_e32 v49, 20, v49
	v_lshl_add_u32 v53, v53, 23, 0x3c000000
	v_and_b32_e32 v0, 0x80000000, v0
	v_or3_b32 v112, v49, v0, v53
.LBB170_336:                            ;   in Loop: Header=BB170_13 Depth=1
	s_or_b32 exec_lo, exec_lo, s43
.LBB170_337:                            ;   in Loop: Header=BB170_13 Depth=1
	s_or_b32 exec_lo, exec_lo, s42
.LBB170_338:                            ;   in Loop: Header=BB170_13 Depth=1
	s_or_b32 exec_lo, exec_lo, s41
	global_load_ubyte v0, v[57:58], off offset:1280
	v_mov_b32_e32 v114, 0
	v_mov_b32_e32 v115, 0
	s_mov_b32 s41, exec_lo
	s_waitcnt vmcnt(0)
	v_cmpx_ne_u16_e32 0, v0
	s_cbranch_execz .LBB170_346
; %bb.339:                              ;   in Loop: Header=BB170_13 Depth=1
	v_bfrev_b32_e32 v115, 1
	s_mov_b32 s42, exec_lo
	v_cmpx_ne_u16_e32 0x80, v0
	s_cbranch_execz .LBB170_345
; %bb.340:                              ;   in Loop: Header=BB170_13 Depth=1
	v_and_b32_sdwa v54, v0, v68 dst_sel:DWORD dst_unused:UNUSED_PAD src0_sel:WORD_0 src1_sel:DWORD
	v_mov_b32_e32 v115, 0x7f800001
	s_mov_b32 s43, exec_lo
	v_cmpx_ne_u32_e32 0x7f, v54
	s_cbranch_execz .LBB170_344
; %bb.341:                              ;   in Loop: Header=BB170_13 Depth=1
	v_and_b32_sdwa v49, v0, v69 dst_sel:DWORD dst_unused:UNUSED_PAD src0_sel:WORD_0 src1_sel:DWORD
	v_lshrrev_b32_e32 v53, 3, v54
	s_mov_b32 s44, exec_lo
	v_cmpx_gt_u32_e32 8, v54
; %bb.342:                              ;   in Loop: Header=BB170_13 Depth=1
	v_ffbh_u32_e32 v53, v49
	v_min_u32_e32 v53, 32, v53
	v_subrev_nc_u32_e32 v54, 28, v53
	v_sub_nc_u32_e32 v53, 29, v53
	v_lshlrev_b64 v[54:55], v54, v[49:50]
	v_and_b32_e32 v49, 7, v54
; %bb.343:                              ;   in Loop: Header=BB170_13 Depth=1
	s_or_b32 exec_lo, exec_lo, s44
	v_lshlrev_b32_e32 v0, 24, v0
	v_lshlrev_b32_e32 v49, 20, v49
	v_lshl_add_u32 v53, v53, 23, 0x3c000000
	v_and_b32_e32 v0, 0x80000000, v0
	v_or3_b32 v115, v49, v0, v53
.LBB170_344:                            ;   in Loop: Header=BB170_13 Depth=1
	s_or_b32 exec_lo, exec_lo, s43
.LBB170_345:                            ;   in Loop: Header=BB170_13 Depth=1
	s_or_b32 exec_lo, exec_lo, s42
.LBB170_346:                            ;   in Loop: Header=BB170_13 Depth=1
	s_or_b32 exec_lo, exec_lo, s41
	global_load_ubyte v0, v[57:58], off offset:1284
	s_mov_b32 s41, exec_lo
	s_waitcnt vmcnt(0)
	v_cmpx_ne_u16_e32 0, v0
	s_cbranch_execz .LBB170_354
; %bb.347:                              ;   in Loop: Header=BB170_13 Depth=1
	v_bfrev_b32_e32 v114, 1
	s_mov_b32 s42, exec_lo
	v_cmpx_ne_u16_e32 0x80, v0
	s_cbranch_execz .LBB170_353
; %bb.348:                              ;   in Loop: Header=BB170_13 Depth=1
	v_and_b32_sdwa v54, v0, v68 dst_sel:DWORD dst_unused:UNUSED_PAD src0_sel:WORD_0 src1_sel:DWORD
	v_mov_b32_e32 v114, 0x7f800001
	s_mov_b32 s43, exec_lo
	v_cmpx_ne_u32_e32 0x7f, v54
	s_cbranch_execz .LBB170_352
; %bb.349:                              ;   in Loop: Header=BB170_13 Depth=1
	v_and_b32_sdwa v49, v0, v69 dst_sel:DWORD dst_unused:UNUSED_PAD src0_sel:WORD_0 src1_sel:DWORD
	v_lshrrev_b32_e32 v53, 3, v54
	s_mov_b32 s44, exec_lo
	v_cmpx_gt_u32_e32 8, v54
; %bb.350:                              ;   in Loop: Header=BB170_13 Depth=1
	v_ffbh_u32_e32 v53, v49
	v_min_u32_e32 v53, 32, v53
	v_subrev_nc_u32_e32 v54, 28, v53
	v_sub_nc_u32_e32 v53, 29, v53
	v_lshlrev_b64 v[54:55], v54, v[49:50]
	v_and_b32_e32 v49, 7, v54
; %bb.351:                              ;   in Loop: Header=BB170_13 Depth=1
	s_or_b32 exec_lo, exec_lo, s44
	v_lshlrev_b32_e32 v0, 24, v0
	v_lshlrev_b32_e32 v49, 20, v49
	v_lshl_add_u32 v53, v53, 23, 0x3c000000
	v_and_b32_e32 v0, 0x80000000, v0
	v_or3_b32 v114, v49, v0, v53
.LBB170_352:                            ;   in Loop: Header=BB170_13 Depth=1
	s_or_b32 exec_lo, exec_lo, s43
.LBB170_353:                            ;   in Loop: Header=BB170_13 Depth=1
	s_or_b32 exec_lo, exec_lo, s42
.LBB170_354:                            ;   in Loop: Header=BB170_13 Depth=1
	s_or_b32 exec_lo, exec_lo, s41
	global_load_ubyte v0, v[57:58], off offset:1288
	v_mov_b32_e32 v116, 0
	v_mov_b32_e32 v117, 0
	s_mov_b32 s41, exec_lo
	s_waitcnt vmcnt(0)
	v_cmpx_ne_u16_e32 0, v0
	s_cbranch_execz .LBB170_362
; %bb.355:                              ;   in Loop: Header=BB170_13 Depth=1
	v_bfrev_b32_e32 v117, 1
	s_mov_b32 s42, exec_lo
	v_cmpx_ne_u16_e32 0x80, v0
	s_cbranch_execz .LBB170_361
; %bb.356:                              ;   in Loop: Header=BB170_13 Depth=1
	v_and_b32_sdwa v54, v0, v68 dst_sel:DWORD dst_unused:UNUSED_PAD src0_sel:WORD_0 src1_sel:DWORD
	v_mov_b32_e32 v117, 0x7f800001
	s_mov_b32 s43, exec_lo
	v_cmpx_ne_u32_e32 0x7f, v54
	s_cbranch_execz .LBB170_360
; %bb.357:                              ;   in Loop: Header=BB170_13 Depth=1
	v_and_b32_sdwa v49, v0, v69 dst_sel:DWORD dst_unused:UNUSED_PAD src0_sel:WORD_0 src1_sel:DWORD
	v_lshrrev_b32_e32 v53, 3, v54
	s_mov_b32 s44, exec_lo
	v_cmpx_gt_u32_e32 8, v54
; %bb.358:                              ;   in Loop: Header=BB170_13 Depth=1
	v_ffbh_u32_e32 v53, v49
	v_min_u32_e32 v53, 32, v53
	v_subrev_nc_u32_e32 v54, 28, v53
	v_sub_nc_u32_e32 v53, 29, v53
	v_lshlrev_b64 v[54:55], v54, v[49:50]
	v_and_b32_e32 v49, 7, v54
; %bb.359:                              ;   in Loop: Header=BB170_13 Depth=1
	s_or_b32 exec_lo, exec_lo, s44
	v_lshlrev_b32_e32 v0, 24, v0
	v_lshlrev_b32_e32 v49, 20, v49
	v_lshl_add_u32 v53, v53, 23, 0x3c000000
	v_and_b32_e32 v0, 0x80000000, v0
	v_or3_b32 v117, v49, v0, v53
.LBB170_360:                            ;   in Loop: Header=BB170_13 Depth=1
	s_or_b32 exec_lo, exec_lo, s43
.LBB170_361:                            ;   in Loop: Header=BB170_13 Depth=1
	s_or_b32 exec_lo, exec_lo, s42
.LBB170_362:                            ;   in Loop: Header=BB170_13 Depth=1
	s_or_b32 exec_lo, exec_lo, s41
	global_load_ubyte v0, v[57:58], off offset:1292
	s_mov_b32 s41, exec_lo
	s_waitcnt vmcnt(0)
	v_cmpx_ne_u16_e32 0, v0
	s_cbranch_execz .LBB170_370
; %bb.363:                              ;   in Loop: Header=BB170_13 Depth=1
	v_bfrev_b32_e32 v116, 1
	s_mov_b32 s42, exec_lo
	v_cmpx_ne_u16_e32 0x80, v0
	s_cbranch_execz .LBB170_369
; %bb.364:                              ;   in Loop: Header=BB170_13 Depth=1
	v_and_b32_sdwa v54, v0, v68 dst_sel:DWORD dst_unused:UNUSED_PAD src0_sel:WORD_0 src1_sel:DWORD
	v_mov_b32_e32 v116, 0x7f800001
	s_mov_b32 s43, exec_lo
	v_cmpx_ne_u32_e32 0x7f, v54
	s_cbranch_execz .LBB170_368
; %bb.365:                              ;   in Loop: Header=BB170_13 Depth=1
	v_and_b32_sdwa v49, v0, v69 dst_sel:DWORD dst_unused:UNUSED_PAD src0_sel:WORD_0 src1_sel:DWORD
	v_lshrrev_b32_e32 v53, 3, v54
	s_mov_b32 s44, exec_lo
	v_cmpx_gt_u32_e32 8, v54
; %bb.366:                              ;   in Loop: Header=BB170_13 Depth=1
	v_ffbh_u32_e32 v53, v49
	v_min_u32_e32 v53, 32, v53
	v_subrev_nc_u32_e32 v54, 28, v53
	v_sub_nc_u32_e32 v53, 29, v53
	v_lshlrev_b64 v[54:55], v54, v[49:50]
	v_and_b32_e32 v49, 7, v54
; %bb.367:                              ;   in Loop: Header=BB170_13 Depth=1
	s_or_b32 exec_lo, exec_lo, s44
	v_lshlrev_b32_e32 v0, 24, v0
	v_lshlrev_b32_e32 v49, 20, v49
	v_lshl_add_u32 v53, v53, 23, 0x3c000000
	v_and_b32_e32 v0, 0x80000000, v0
	v_or3_b32 v116, v49, v0, v53
.LBB170_368:                            ;   in Loop: Header=BB170_13 Depth=1
	s_or_b32 exec_lo, exec_lo, s43
.LBB170_369:                            ;   in Loop: Header=BB170_13 Depth=1
	s_or_b32 exec_lo, exec_lo, s42
.LBB170_370:                            ;   in Loop: Header=BB170_13 Depth=1
	s_or_b32 exec_lo, exec_lo, s41
	global_load_ubyte v0, v[57:58], off offset:1408
	v_mov_b32_e32 v118, 0
	v_mov_b32_e32 v119, 0
	s_mov_b32 s41, exec_lo
	s_waitcnt vmcnt(0)
	v_cmpx_ne_u16_e32 0, v0
	s_cbranch_execz .LBB170_378
; %bb.371:                              ;   in Loop: Header=BB170_13 Depth=1
	v_bfrev_b32_e32 v119, 1
	s_mov_b32 s42, exec_lo
	v_cmpx_ne_u16_e32 0x80, v0
	s_cbranch_execz .LBB170_377
; %bb.372:                              ;   in Loop: Header=BB170_13 Depth=1
	v_and_b32_sdwa v54, v0, v68 dst_sel:DWORD dst_unused:UNUSED_PAD src0_sel:WORD_0 src1_sel:DWORD
	v_mov_b32_e32 v119, 0x7f800001
	s_mov_b32 s43, exec_lo
	v_cmpx_ne_u32_e32 0x7f, v54
	s_cbranch_execz .LBB170_376
; %bb.373:                              ;   in Loop: Header=BB170_13 Depth=1
	v_and_b32_sdwa v49, v0, v69 dst_sel:DWORD dst_unused:UNUSED_PAD src0_sel:WORD_0 src1_sel:DWORD
	v_lshrrev_b32_e32 v53, 3, v54
	s_mov_b32 s44, exec_lo
	v_cmpx_gt_u32_e32 8, v54
; %bb.374:                              ;   in Loop: Header=BB170_13 Depth=1
	v_ffbh_u32_e32 v53, v49
	v_min_u32_e32 v53, 32, v53
	v_subrev_nc_u32_e32 v54, 28, v53
	v_sub_nc_u32_e32 v53, 29, v53
	v_lshlrev_b64 v[54:55], v54, v[49:50]
	v_and_b32_e32 v49, 7, v54
; %bb.375:                              ;   in Loop: Header=BB170_13 Depth=1
	s_or_b32 exec_lo, exec_lo, s44
	v_lshlrev_b32_e32 v0, 24, v0
	v_lshlrev_b32_e32 v49, 20, v49
	v_lshl_add_u32 v53, v53, 23, 0x3c000000
	v_and_b32_e32 v0, 0x80000000, v0
	v_or3_b32 v119, v49, v0, v53
.LBB170_376:                            ;   in Loop: Header=BB170_13 Depth=1
	s_or_b32 exec_lo, exec_lo, s43
.LBB170_377:                            ;   in Loop: Header=BB170_13 Depth=1
	s_or_b32 exec_lo, exec_lo, s42
.LBB170_378:                            ;   in Loop: Header=BB170_13 Depth=1
	s_or_b32 exec_lo, exec_lo, s41
	global_load_ubyte v0, v[57:58], off offset:1412
	s_mov_b32 s41, exec_lo
	s_waitcnt vmcnt(0)
	v_cmpx_ne_u16_e32 0, v0
	s_cbranch_execz .LBB170_386
; %bb.379:                              ;   in Loop: Header=BB170_13 Depth=1
	v_bfrev_b32_e32 v118, 1
	s_mov_b32 s42, exec_lo
	v_cmpx_ne_u16_e32 0x80, v0
	s_cbranch_execz .LBB170_385
; %bb.380:                              ;   in Loop: Header=BB170_13 Depth=1
	v_and_b32_sdwa v54, v0, v68 dst_sel:DWORD dst_unused:UNUSED_PAD src0_sel:WORD_0 src1_sel:DWORD
	v_mov_b32_e32 v118, 0x7f800001
	s_mov_b32 s43, exec_lo
	v_cmpx_ne_u32_e32 0x7f, v54
	s_cbranch_execz .LBB170_384
; %bb.381:                              ;   in Loop: Header=BB170_13 Depth=1
	v_and_b32_sdwa v49, v0, v69 dst_sel:DWORD dst_unused:UNUSED_PAD src0_sel:WORD_0 src1_sel:DWORD
	v_lshrrev_b32_e32 v53, 3, v54
	s_mov_b32 s44, exec_lo
	v_cmpx_gt_u32_e32 8, v54
; %bb.382:                              ;   in Loop: Header=BB170_13 Depth=1
	v_ffbh_u32_e32 v53, v49
	v_min_u32_e32 v53, 32, v53
	v_subrev_nc_u32_e32 v54, 28, v53
	v_sub_nc_u32_e32 v53, 29, v53
	v_lshlrev_b64 v[54:55], v54, v[49:50]
	v_and_b32_e32 v49, 7, v54
; %bb.383:                              ;   in Loop: Header=BB170_13 Depth=1
	s_or_b32 exec_lo, exec_lo, s44
	v_lshlrev_b32_e32 v0, 24, v0
	v_lshlrev_b32_e32 v49, 20, v49
	v_lshl_add_u32 v53, v53, 23, 0x3c000000
	v_and_b32_e32 v0, 0x80000000, v0
	v_or3_b32 v118, v49, v0, v53
.LBB170_384:                            ;   in Loop: Header=BB170_13 Depth=1
	s_or_b32 exec_lo, exec_lo, s43
.LBB170_385:                            ;   in Loop: Header=BB170_13 Depth=1
	s_or_b32 exec_lo, exec_lo, s42
.LBB170_386:                            ;   in Loop: Header=BB170_13 Depth=1
	s_or_b32 exec_lo, exec_lo, s41
	global_load_ubyte v0, v[57:58], off offset:1416
	v_mov_b32_e32 v120, 0
	v_mov_b32_e32 v121, 0
	s_mov_b32 s41, exec_lo
	s_waitcnt vmcnt(0)
	v_cmpx_ne_u16_e32 0, v0
	s_cbranch_execz .LBB170_394
; %bb.387:                              ;   in Loop: Header=BB170_13 Depth=1
	v_bfrev_b32_e32 v121, 1
	s_mov_b32 s42, exec_lo
	v_cmpx_ne_u16_e32 0x80, v0
	s_cbranch_execz .LBB170_393
; %bb.388:                              ;   in Loop: Header=BB170_13 Depth=1
	v_and_b32_sdwa v54, v0, v68 dst_sel:DWORD dst_unused:UNUSED_PAD src0_sel:WORD_0 src1_sel:DWORD
	v_mov_b32_e32 v121, 0x7f800001
	s_mov_b32 s43, exec_lo
	v_cmpx_ne_u32_e32 0x7f, v54
	s_cbranch_execz .LBB170_392
; %bb.389:                              ;   in Loop: Header=BB170_13 Depth=1
	v_and_b32_sdwa v49, v0, v69 dst_sel:DWORD dst_unused:UNUSED_PAD src0_sel:WORD_0 src1_sel:DWORD
	v_lshrrev_b32_e32 v53, 3, v54
	s_mov_b32 s44, exec_lo
	v_cmpx_gt_u32_e32 8, v54
; %bb.390:                              ;   in Loop: Header=BB170_13 Depth=1
	v_ffbh_u32_e32 v53, v49
	v_min_u32_e32 v53, 32, v53
	v_subrev_nc_u32_e32 v54, 28, v53
	v_sub_nc_u32_e32 v53, 29, v53
	v_lshlrev_b64 v[54:55], v54, v[49:50]
	v_and_b32_e32 v49, 7, v54
; %bb.391:                              ;   in Loop: Header=BB170_13 Depth=1
	s_or_b32 exec_lo, exec_lo, s44
	v_lshlrev_b32_e32 v0, 24, v0
	v_lshlrev_b32_e32 v49, 20, v49
	v_lshl_add_u32 v53, v53, 23, 0x3c000000
	v_and_b32_e32 v0, 0x80000000, v0
	v_or3_b32 v121, v49, v0, v53
.LBB170_392:                            ;   in Loop: Header=BB170_13 Depth=1
	s_or_b32 exec_lo, exec_lo, s43
.LBB170_393:                            ;   in Loop: Header=BB170_13 Depth=1
	s_or_b32 exec_lo, exec_lo, s42
.LBB170_394:                            ;   in Loop: Header=BB170_13 Depth=1
	s_or_b32 exec_lo, exec_lo, s41
	global_load_ubyte v0, v[57:58], off offset:1420
	s_mov_b32 s41, exec_lo
	s_waitcnt vmcnt(0)
	v_cmpx_ne_u16_e32 0, v0
	s_cbranch_execz .LBB170_402
; %bb.395:                              ;   in Loop: Header=BB170_13 Depth=1
	v_bfrev_b32_e32 v120, 1
	s_mov_b32 s42, exec_lo
	v_cmpx_ne_u16_e32 0x80, v0
	s_cbranch_execz .LBB170_401
; %bb.396:                              ;   in Loop: Header=BB170_13 Depth=1
	v_and_b32_sdwa v54, v0, v68 dst_sel:DWORD dst_unused:UNUSED_PAD src0_sel:WORD_0 src1_sel:DWORD
	v_mov_b32_e32 v120, 0x7f800001
	s_mov_b32 s43, exec_lo
	v_cmpx_ne_u32_e32 0x7f, v54
	s_cbranch_execz .LBB170_400
; %bb.397:                              ;   in Loop: Header=BB170_13 Depth=1
	v_and_b32_sdwa v49, v0, v69 dst_sel:DWORD dst_unused:UNUSED_PAD src0_sel:WORD_0 src1_sel:DWORD
	v_lshrrev_b32_e32 v53, 3, v54
	s_mov_b32 s44, exec_lo
	v_cmpx_gt_u32_e32 8, v54
; %bb.398:                              ;   in Loop: Header=BB170_13 Depth=1
	v_ffbh_u32_e32 v53, v49
	v_min_u32_e32 v53, 32, v53
	v_subrev_nc_u32_e32 v54, 28, v53
	v_sub_nc_u32_e32 v53, 29, v53
	v_lshlrev_b64 v[54:55], v54, v[49:50]
	v_and_b32_e32 v49, 7, v54
; %bb.399:                              ;   in Loop: Header=BB170_13 Depth=1
	s_or_b32 exec_lo, exec_lo, s44
	v_lshlrev_b32_e32 v0, 24, v0
	v_lshlrev_b32_e32 v49, 20, v49
	v_lshl_add_u32 v53, v53, 23, 0x3c000000
	v_and_b32_e32 v0, 0x80000000, v0
	v_or3_b32 v120, v49, v0, v53
.LBB170_400:                            ;   in Loop: Header=BB170_13 Depth=1
	s_or_b32 exec_lo, exec_lo, s43
.LBB170_401:                            ;   in Loop: Header=BB170_13 Depth=1
	s_or_b32 exec_lo, exec_lo, s42
.LBB170_402:                            ;   in Loop: Header=BB170_13 Depth=1
	s_or_b32 exec_lo, exec_lo, s41
	global_load_ubyte v0, v[57:58], off offset:1536
	v_mov_b32_e32 v122, 0
	v_mov_b32_e32 v123, 0
	s_mov_b32 s41, exec_lo
	s_waitcnt vmcnt(0)
	v_cmpx_ne_u16_e32 0, v0
	s_cbranch_execz .LBB170_410
; %bb.403:                              ;   in Loop: Header=BB170_13 Depth=1
	v_bfrev_b32_e32 v123, 1
	s_mov_b32 s42, exec_lo
	v_cmpx_ne_u16_e32 0x80, v0
	s_cbranch_execz .LBB170_409
; %bb.404:                              ;   in Loop: Header=BB170_13 Depth=1
	v_and_b32_sdwa v54, v0, v68 dst_sel:DWORD dst_unused:UNUSED_PAD src0_sel:WORD_0 src1_sel:DWORD
	v_mov_b32_e32 v123, 0x7f800001
	s_mov_b32 s43, exec_lo
	v_cmpx_ne_u32_e32 0x7f, v54
	s_cbranch_execz .LBB170_408
; %bb.405:                              ;   in Loop: Header=BB170_13 Depth=1
	v_and_b32_sdwa v49, v0, v69 dst_sel:DWORD dst_unused:UNUSED_PAD src0_sel:WORD_0 src1_sel:DWORD
	v_lshrrev_b32_e32 v53, 3, v54
	s_mov_b32 s44, exec_lo
	v_cmpx_gt_u32_e32 8, v54
; %bb.406:                              ;   in Loop: Header=BB170_13 Depth=1
	v_ffbh_u32_e32 v53, v49
	v_min_u32_e32 v53, 32, v53
	v_subrev_nc_u32_e32 v54, 28, v53
	v_sub_nc_u32_e32 v53, 29, v53
	v_lshlrev_b64 v[54:55], v54, v[49:50]
	v_and_b32_e32 v49, 7, v54
; %bb.407:                              ;   in Loop: Header=BB170_13 Depth=1
	s_or_b32 exec_lo, exec_lo, s44
	v_lshlrev_b32_e32 v0, 24, v0
	v_lshlrev_b32_e32 v49, 20, v49
	v_lshl_add_u32 v53, v53, 23, 0x3c000000
	v_and_b32_e32 v0, 0x80000000, v0
	v_or3_b32 v123, v49, v0, v53
.LBB170_408:                            ;   in Loop: Header=BB170_13 Depth=1
	s_or_b32 exec_lo, exec_lo, s43
.LBB170_409:                            ;   in Loop: Header=BB170_13 Depth=1
	s_or_b32 exec_lo, exec_lo, s42
.LBB170_410:                            ;   in Loop: Header=BB170_13 Depth=1
	s_or_b32 exec_lo, exec_lo, s41
	global_load_ubyte v0, v[57:58], off offset:1540
	s_mov_b32 s41, exec_lo
	s_waitcnt vmcnt(0)
	v_cmpx_ne_u16_e32 0, v0
	s_cbranch_execz .LBB170_418
; %bb.411:                              ;   in Loop: Header=BB170_13 Depth=1
	v_bfrev_b32_e32 v122, 1
	s_mov_b32 s42, exec_lo
	v_cmpx_ne_u16_e32 0x80, v0
	s_cbranch_execz .LBB170_417
; %bb.412:                              ;   in Loop: Header=BB170_13 Depth=1
	v_and_b32_sdwa v54, v0, v68 dst_sel:DWORD dst_unused:UNUSED_PAD src0_sel:WORD_0 src1_sel:DWORD
	v_mov_b32_e32 v122, 0x7f800001
	s_mov_b32 s43, exec_lo
	v_cmpx_ne_u32_e32 0x7f, v54
	s_cbranch_execz .LBB170_416
; %bb.413:                              ;   in Loop: Header=BB170_13 Depth=1
	v_and_b32_sdwa v49, v0, v69 dst_sel:DWORD dst_unused:UNUSED_PAD src0_sel:WORD_0 src1_sel:DWORD
	v_lshrrev_b32_e32 v53, 3, v54
	s_mov_b32 s44, exec_lo
	v_cmpx_gt_u32_e32 8, v54
; %bb.414:                              ;   in Loop: Header=BB170_13 Depth=1
	v_ffbh_u32_e32 v53, v49
	v_min_u32_e32 v53, 32, v53
	v_subrev_nc_u32_e32 v54, 28, v53
	v_sub_nc_u32_e32 v53, 29, v53
	v_lshlrev_b64 v[54:55], v54, v[49:50]
	v_and_b32_e32 v49, 7, v54
; %bb.415:                              ;   in Loop: Header=BB170_13 Depth=1
	s_or_b32 exec_lo, exec_lo, s44
	v_lshlrev_b32_e32 v0, 24, v0
	v_lshlrev_b32_e32 v49, 20, v49
	v_lshl_add_u32 v53, v53, 23, 0x3c000000
	v_and_b32_e32 v0, 0x80000000, v0
	v_or3_b32 v122, v49, v0, v53
.LBB170_416:                            ;   in Loop: Header=BB170_13 Depth=1
	s_or_b32 exec_lo, exec_lo, s43
.LBB170_417:                            ;   in Loop: Header=BB170_13 Depth=1
	s_or_b32 exec_lo, exec_lo, s42
.LBB170_418:                            ;   in Loop: Header=BB170_13 Depth=1
	s_or_b32 exec_lo, exec_lo, s41
	global_load_ubyte v0, v[57:58], off offset:1544
	v_mov_b32_e32 v124, 0
	v_mov_b32_e32 v125, 0
	s_mov_b32 s41, exec_lo
	s_waitcnt vmcnt(0)
	v_cmpx_ne_u16_e32 0, v0
	s_cbranch_execz .LBB170_426
; %bb.419:                              ;   in Loop: Header=BB170_13 Depth=1
	v_bfrev_b32_e32 v125, 1
	s_mov_b32 s42, exec_lo
	v_cmpx_ne_u16_e32 0x80, v0
	s_cbranch_execz .LBB170_425
; %bb.420:                              ;   in Loop: Header=BB170_13 Depth=1
	v_and_b32_sdwa v54, v0, v68 dst_sel:DWORD dst_unused:UNUSED_PAD src0_sel:WORD_0 src1_sel:DWORD
	v_mov_b32_e32 v125, 0x7f800001
	s_mov_b32 s43, exec_lo
	v_cmpx_ne_u32_e32 0x7f, v54
	s_cbranch_execz .LBB170_424
; %bb.421:                              ;   in Loop: Header=BB170_13 Depth=1
	v_and_b32_sdwa v49, v0, v69 dst_sel:DWORD dst_unused:UNUSED_PAD src0_sel:WORD_0 src1_sel:DWORD
	v_lshrrev_b32_e32 v53, 3, v54
	s_mov_b32 s44, exec_lo
	v_cmpx_gt_u32_e32 8, v54
; %bb.422:                              ;   in Loop: Header=BB170_13 Depth=1
	v_ffbh_u32_e32 v53, v49
	v_min_u32_e32 v53, 32, v53
	v_subrev_nc_u32_e32 v54, 28, v53
	v_sub_nc_u32_e32 v53, 29, v53
	v_lshlrev_b64 v[54:55], v54, v[49:50]
	v_and_b32_e32 v49, 7, v54
; %bb.423:                              ;   in Loop: Header=BB170_13 Depth=1
	s_or_b32 exec_lo, exec_lo, s44
	v_lshlrev_b32_e32 v0, 24, v0
	v_lshlrev_b32_e32 v49, 20, v49
	v_lshl_add_u32 v53, v53, 23, 0x3c000000
	v_and_b32_e32 v0, 0x80000000, v0
	v_or3_b32 v125, v49, v0, v53
.LBB170_424:                            ;   in Loop: Header=BB170_13 Depth=1
	s_or_b32 exec_lo, exec_lo, s43
.LBB170_425:                            ;   in Loop: Header=BB170_13 Depth=1
	s_or_b32 exec_lo, exec_lo, s42
.LBB170_426:                            ;   in Loop: Header=BB170_13 Depth=1
	s_or_b32 exec_lo, exec_lo, s41
	global_load_ubyte v0, v[57:58], off offset:1548
	s_mov_b32 s41, exec_lo
	s_waitcnt vmcnt(0)
	v_cmpx_ne_u16_e32 0, v0
	s_cbranch_execz .LBB170_434
; %bb.427:                              ;   in Loop: Header=BB170_13 Depth=1
	v_bfrev_b32_e32 v124, 1
	s_mov_b32 s42, exec_lo
	v_cmpx_ne_u16_e32 0x80, v0
	s_cbranch_execz .LBB170_433
; %bb.428:                              ;   in Loop: Header=BB170_13 Depth=1
	v_and_b32_sdwa v54, v0, v68 dst_sel:DWORD dst_unused:UNUSED_PAD src0_sel:WORD_0 src1_sel:DWORD
	v_mov_b32_e32 v124, 0x7f800001
	s_mov_b32 s43, exec_lo
	v_cmpx_ne_u32_e32 0x7f, v54
	s_cbranch_execz .LBB170_432
; %bb.429:                              ;   in Loop: Header=BB170_13 Depth=1
	v_and_b32_sdwa v49, v0, v69 dst_sel:DWORD dst_unused:UNUSED_PAD src0_sel:WORD_0 src1_sel:DWORD
	v_lshrrev_b32_e32 v53, 3, v54
	s_mov_b32 s44, exec_lo
	v_cmpx_gt_u32_e32 8, v54
; %bb.430:                              ;   in Loop: Header=BB170_13 Depth=1
	v_ffbh_u32_e32 v53, v49
	v_min_u32_e32 v53, 32, v53
	v_subrev_nc_u32_e32 v54, 28, v53
	v_sub_nc_u32_e32 v53, 29, v53
	v_lshlrev_b64 v[54:55], v54, v[49:50]
	v_and_b32_e32 v49, 7, v54
; %bb.431:                              ;   in Loop: Header=BB170_13 Depth=1
	s_or_b32 exec_lo, exec_lo, s44
	v_lshlrev_b32_e32 v0, 24, v0
	v_lshlrev_b32_e32 v49, 20, v49
	v_lshl_add_u32 v53, v53, 23, 0x3c000000
	v_and_b32_e32 v0, 0x80000000, v0
	v_or3_b32 v124, v49, v0, v53
.LBB170_432:                            ;   in Loop: Header=BB170_13 Depth=1
	s_or_b32 exec_lo, exec_lo, s43
.LBB170_433:                            ;   in Loop: Header=BB170_13 Depth=1
	s_or_b32 exec_lo, exec_lo, s42
.LBB170_434:                            ;   in Loop: Header=BB170_13 Depth=1
	s_or_b32 exec_lo, exec_lo, s41
	global_load_ubyte v0, v[57:58], off offset:1664
	v_mov_b32_e32 v126, 0
	v_mov_b32_e32 v127, 0
	s_mov_b32 s41, exec_lo
	s_waitcnt vmcnt(0)
	v_cmpx_ne_u16_e32 0, v0
	s_cbranch_execz .LBB170_442
; %bb.435:                              ;   in Loop: Header=BB170_13 Depth=1
	v_bfrev_b32_e32 v127, 1
	s_mov_b32 s42, exec_lo
	v_cmpx_ne_u16_e32 0x80, v0
	s_cbranch_execz .LBB170_441
; %bb.436:                              ;   in Loop: Header=BB170_13 Depth=1
	v_and_b32_sdwa v54, v0, v68 dst_sel:DWORD dst_unused:UNUSED_PAD src0_sel:WORD_0 src1_sel:DWORD
	v_mov_b32_e32 v127, 0x7f800001
	s_mov_b32 s43, exec_lo
	v_cmpx_ne_u32_e32 0x7f, v54
	s_cbranch_execz .LBB170_440
; %bb.437:                              ;   in Loop: Header=BB170_13 Depth=1
	v_and_b32_sdwa v49, v0, v69 dst_sel:DWORD dst_unused:UNUSED_PAD src0_sel:WORD_0 src1_sel:DWORD
	v_lshrrev_b32_e32 v53, 3, v54
	s_mov_b32 s44, exec_lo
	v_cmpx_gt_u32_e32 8, v54
; %bb.438:                              ;   in Loop: Header=BB170_13 Depth=1
	v_ffbh_u32_e32 v53, v49
	v_min_u32_e32 v53, 32, v53
	v_subrev_nc_u32_e32 v54, 28, v53
	v_sub_nc_u32_e32 v53, 29, v53
	v_lshlrev_b64 v[54:55], v54, v[49:50]
	v_and_b32_e32 v49, 7, v54
; %bb.439:                              ;   in Loop: Header=BB170_13 Depth=1
	s_or_b32 exec_lo, exec_lo, s44
	v_lshlrev_b32_e32 v0, 24, v0
	v_lshlrev_b32_e32 v49, 20, v49
	v_lshl_add_u32 v53, v53, 23, 0x3c000000
	v_and_b32_e32 v0, 0x80000000, v0
	v_or3_b32 v127, v49, v0, v53
.LBB170_440:                            ;   in Loop: Header=BB170_13 Depth=1
	s_or_b32 exec_lo, exec_lo, s43
.LBB170_441:                            ;   in Loop: Header=BB170_13 Depth=1
	s_or_b32 exec_lo, exec_lo, s42
.LBB170_442:                            ;   in Loop: Header=BB170_13 Depth=1
	s_or_b32 exec_lo, exec_lo, s41
	global_load_ubyte v0, v[57:58], off offset:1668
	s_mov_b32 s41, exec_lo
	s_waitcnt vmcnt(0)
	v_cmpx_ne_u16_e32 0, v0
	s_cbranch_execz .LBB170_450
; %bb.443:                              ;   in Loop: Header=BB170_13 Depth=1
	v_bfrev_b32_e32 v126, 1
	s_mov_b32 s42, exec_lo
	v_cmpx_ne_u16_e32 0x80, v0
	s_cbranch_execz .LBB170_449
; %bb.444:                              ;   in Loop: Header=BB170_13 Depth=1
	v_and_b32_sdwa v54, v0, v68 dst_sel:DWORD dst_unused:UNUSED_PAD src0_sel:WORD_0 src1_sel:DWORD
	v_mov_b32_e32 v126, 0x7f800001
	s_mov_b32 s43, exec_lo
	v_cmpx_ne_u32_e32 0x7f, v54
	s_cbranch_execz .LBB170_448
; %bb.445:                              ;   in Loop: Header=BB170_13 Depth=1
	v_and_b32_sdwa v49, v0, v69 dst_sel:DWORD dst_unused:UNUSED_PAD src0_sel:WORD_0 src1_sel:DWORD
	v_lshrrev_b32_e32 v53, 3, v54
	s_mov_b32 s44, exec_lo
	v_cmpx_gt_u32_e32 8, v54
; %bb.446:                              ;   in Loop: Header=BB170_13 Depth=1
	v_ffbh_u32_e32 v53, v49
	v_min_u32_e32 v53, 32, v53
	v_subrev_nc_u32_e32 v54, 28, v53
	v_sub_nc_u32_e32 v53, 29, v53
	v_lshlrev_b64 v[54:55], v54, v[49:50]
	v_and_b32_e32 v49, 7, v54
; %bb.447:                              ;   in Loop: Header=BB170_13 Depth=1
	s_or_b32 exec_lo, exec_lo, s44
	v_lshlrev_b32_e32 v0, 24, v0
	v_lshlrev_b32_e32 v49, 20, v49
	v_lshl_add_u32 v53, v53, 23, 0x3c000000
	v_and_b32_e32 v0, 0x80000000, v0
	v_or3_b32 v126, v49, v0, v53
.LBB170_448:                            ;   in Loop: Header=BB170_13 Depth=1
	s_or_b32 exec_lo, exec_lo, s43
.LBB170_449:                            ;   in Loop: Header=BB170_13 Depth=1
	s_or_b32 exec_lo, exec_lo, s42
.LBB170_450:                            ;   in Loop: Header=BB170_13 Depth=1
	s_or_b32 exec_lo, exec_lo, s41
	global_load_ubyte v0, v[57:58], off offset:1672
	v_mov_b32_e32 v62, 0
	v_mov_b32_e32 v61, 0
	s_mov_b32 s41, exec_lo
	s_waitcnt vmcnt(0)
	v_cmpx_ne_u16_e32 0, v0
	s_cbranch_execz .LBB170_458
; %bb.451:                              ;   in Loop: Header=BB170_13 Depth=1
	v_bfrev_b32_e32 v61, 1
	s_mov_b32 s42, exec_lo
	v_cmpx_ne_u16_e32 0x80, v0
	s_cbranch_execz .LBB170_457
; %bb.452:                              ;   in Loop: Header=BB170_13 Depth=1
	v_and_b32_sdwa v54, v0, v68 dst_sel:DWORD dst_unused:UNUSED_PAD src0_sel:WORD_0 src1_sel:DWORD
	v_mov_b32_e32 v61, 0x7f800001
	s_mov_b32 s43, exec_lo
	v_cmpx_ne_u32_e32 0x7f, v54
	s_cbranch_execz .LBB170_456
; %bb.453:                              ;   in Loop: Header=BB170_13 Depth=1
	v_and_b32_sdwa v49, v0, v69 dst_sel:DWORD dst_unused:UNUSED_PAD src0_sel:WORD_0 src1_sel:DWORD
	v_lshrrev_b32_e32 v53, 3, v54
	s_mov_b32 s44, exec_lo
	v_cmpx_gt_u32_e32 8, v54
; %bb.454:                              ;   in Loop: Header=BB170_13 Depth=1
	v_ffbh_u32_e32 v53, v49
	v_min_u32_e32 v53, 32, v53
	v_subrev_nc_u32_e32 v54, 28, v53
	v_sub_nc_u32_e32 v53, 29, v53
	v_lshlrev_b64 v[54:55], v54, v[49:50]
	v_and_b32_e32 v49, 7, v54
; %bb.455:                              ;   in Loop: Header=BB170_13 Depth=1
	s_or_b32 exec_lo, exec_lo, s44
	v_lshlrev_b32_e32 v0, 24, v0
	v_lshlrev_b32_e32 v49, 20, v49
	v_lshl_add_u32 v53, v53, 23, 0x3c000000
	v_and_b32_e32 v0, 0x80000000, v0
	v_or3_b32 v61, v49, v0, v53
.LBB170_456:                            ;   in Loop: Header=BB170_13 Depth=1
	s_or_b32 exec_lo, exec_lo, s43
.LBB170_457:                            ;   in Loop: Header=BB170_13 Depth=1
	s_or_b32 exec_lo, exec_lo, s42
.LBB170_458:                            ;   in Loop: Header=BB170_13 Depth=1
	s_or_b32 exec_lo, exec_lo, s41
	global_load_ubyte v0, v[57:58], off offset:1676
	s_mov_b32 s41, exec_lo
	s_waitcnt vmcnt(0)
	v_cmpx_ne_u16_e32 0, v0
	s_cbranch_execz .LBB170_466
; %bb.459:                              ;   in Loop: Header=BB170_13 Depth=1
	v_bfrev_b32_e32 v62, 1
	s_mov_b32 s42, exec_lo
	v_cmpx_ne_u16_e32 0x80, v0
	s_cbranch_execz .LBB170_465
; %bb.460:                              ;   in Loop: Header=BB170_13 Depth=1
	v_and_b32_sdwa v54, v0, v68 dst_sel:DWORD dst_unused:UNUSED_PAD src0_sel:WORD_0 src1_sel:DWORD
	v_mov_b32_e32 v62, 0x7f800001
	s_mov_b32 s43, exec_lo
	v_cmpx_ne_u32_e32 0x7f, v54
	s_cbranch_execz .LBB170_464
; %bb.461:                              ;   in Loop: Header=BB170_13 Depth=1
	v_and_b32_sdwa v49, v0, v69 dst_sel:DWORD dst_unused:UNUSED_PAD src0_sel:WORD_0 src1_sel:DWORD
	v_lshrrev_b32_e32 v53, 3, v54
	s_mov_b32 s44, exec_lo
	v_cmpx_gt_u32_e32 8, v54
; %bb.462:                              ;   in Loop: Header=BB170_13 Depth=1
	v_ffbh_u32_e32 v53, v49
	v_min_u32_e32 v53, 32, v53
	v_subrev_nc_u32_e32 v54, 28, v53
	v_sub_nc_u32_e32 v53, 29, v53
	v_lshlrev_b64 v[54:55], v54, v[49:50]
	v_and_b32_e32 v49, 7, v54
; %bb.463:                              ;   in Loop: Header=BB170_13 Depth=1
	s_or_b32 exec_lo, exec_lo, s44
	v_lshlrev_b32_e32 v0, 24, v0
	v_lshlrev_b32_e32 v49, 20, v49
	v_lshl_add_u32 v53, v53, 23, 0x3c000000
	v_and_b32_e32 v0, 0x80000000, v0
	v_or3_b32 v62, v49, v0, v53
.LBB170_464:                            ;   in Loop: Header=BB170_13 Depth=1
	s_or_b32 exec_lo, exec_lo, s43
.LBB170_465:                            ;   in Loop: Header=BB170_13 Depth=1
	s_or_b32 exec_lo, exec_lo, s42
.LBB170_466:                            ;   in Loop: Header=BB170_13 Depth=1
	s_or_b32 exec_lo, exec_lo, s41
	global_load_ubyte v0, v[57:58], off offset:1792
	v_mov_b32_e32 v59, 0
	v_mov_b32_e32 v64, 0
	s_mov_b32 s41, exec_lo
	s_waitcnt vmcnt(0)
	v_cmpx_ne_u16_e32 0, v0
	s_cbranch_execz .LBB170_474
; %bb.467:                              ;   in Loop: Header=BB170_13 Depth=1
	v_bfrev_b32_e32 v64, 1
	s_mov_b32 s42, exec_lo
	v_cmpx_ne_u16_e32 0x80, v0
	s_cbranch_execz .LBB170_473
; %bb.468:                              ;   in Loop: Header=BB170_13 Depth=1
	v_and_b32_sdwa v54, v0, v68 dst_sel:DWORD dst_unused:UNUSED_PAD src0_sel:WORD_0 src1_sel:DWORD
	v_mov_b32_e32 v64, 0x7f800001
	s_mov_b32 s43, exec_lo
	v_cmpx_ne_u32_e32 0x7f, v54
	s_cbranch_execz .LBB170_472
; %bb.469:                              ;   in Loop: Header=BB170_13 Depth=1
	v_and_b32_sdwa v49, v0, v69 dst_sel:DWORD dst_unused:UNUSED_PAD src0_sel:WORD_0 src1_sel:DWORD
	v_lshrrev_b32_e32 v53, 3, v54
	s_mov_b32 s44, exec_lo
	v_cmpx_gt_u32_e32 8, v54
; %bb.470:                              ;   in Loop: Header=BB170_13 Depth=1
	v_ffbh_u32_e32 v53, v49
	v_min_u32_e32 v53, 32, v53
	v_subrev_nc_u32_e32 v54, 28, v53
	v_sub_nc_u32_e32 v53, 29, v53
	v_lshlrev_b64 v[54:55], v54, v[49:50]
	v_and_b32_e32 v49, 7, v54
; %bb.471:                              ;   in Loop: Header=BB170_13 Depth=1
	s_or_b32 exec_lo, exec_lo, s44
	v_lshlrev_b32_e32 v0, 24, v0
	v_lshlrev_b32_e32 v49, 20, v49
	v_lshl_add_u32 v53, v53, 23, 0x3c000000
	v_and_b32_e32 v0, 0x80000000, v0
	v_or3_b32 v64, v49, v0, v53
.LBB170_472:                            ;   in Loop: Header=BB170_13 Depth=1
	s_or_b32 exec_lo, exec_lo, s43
.LBB170_473:                            ;   in Loop: Header=BB170_13 Depth=1
	s_or_b32 exec_lo, exec_lo, s42
.LBB170_474:                            ;   in Loop: Header=BB170_13 Depth=1
	s_or_b32 exec_lo, exec_lo, s41
	global_load_ubyte v0, v[57:58], off offset:1796
	s_mov_b32 s41, exec_lo
	s_waitcnt vmcnt(0)
	v_cmpx_ne_u16_e32 0, v0
	s_cbranch_execz .LBB170_482
; %bb.475:                              ;   in Loop: Header=BB170_13 Depth=1
	v_bfrev_b32_e32 v59, 1
	s_mov_b32 s42, exec_lo
	v_cmpx_ne_u16_e32 0x80, v0
	s_cbranch_execz .LBB170_481
; %bb.476:                              ;   in Loop: Header=BB170_13 Depth=1
	v_and_b32_sdwa v54, v0, v68 dst_sel:DWORD dst_unused:UNUSED_PAD src0_sel:WORD_0 src1_sel:DWORD
	v_mov_b32_e32 v59, 0x7f800001
	s_mov_b32 s43, exec_lo
	v_cmpx_ne_u32_e32 0x7f, v54
	s_cbranch_execz .LBB170_480
; %bb.477:                              ;   in Loop: Header=BB170_13 Depth=1
	v_and_b32_sdwa v49, v0, v69 dst_sel:DWORD dst_unused:UNUSED_PAD src0_sel:WORD_0 src1_sel:DWORD
	v_lshrrev_b32_e32 v53, 3, v54
	s_mov_b32 s44, exec_lo
	v_cmpx_gt_u32_e32 8, v54
; %bb.478:                              ;   in Loop: Header=BB170_13 Depth=1
	v_ffbh_u32_e32 v53, v49
	v_min_u32_e32 v53, 32, v53
	v_subrev_nc_u32_e32 v54, 28, v53
	v_sub_nc_u32_e32 v53, 29, v53
	v_lshlrev_b64 v[54:55], v54, v[49:50]
	v_and_b32_e32 v49, 7, v54
; %bb.479:                              ;   in Loop: Header=BB170_13 Depth=1
	s_or_b32 exec_lo, exec_lo, s44
	v_lshlrev_b32_e32 v0, 24, v0
	v_lshlrev_b32_e32 v49, 20, v49
	v_lshl_add_u32 v53, v53, 23, 0x3c000000
	v_and_b32_e32 v0, 0x80000000, v0
	v_or3_b32 v59, v49, v0, v53
.LBB170_480:                            ;   in Loop: Header=BB170_13 Depth=1
	s_or_b32 exec_lo, exec_lo, s43
.LBB170_481:                            ;   in Loop: Header=BB170_13 Depth=1
	s_or_b32 exec_lo, exec_lo, s42
.LBB170_482:                            ;   in Loop: Header=BB170_13 Depth=1
	s_or_b32 exec_lo, exec_lo, s41
	global_load_ubyte v0, v[57:58], off offset:1800
	v_mov_b32_e32 v70, 0
	v_mov_b32_e32 v53, 0
	s_mov_b32 s41, exec_lo
	s_waitcnt vmcnt(0)
	v_cmpx_ne_u16_e32 0, v0
	s_cbranch_execz .LBB170_490
; %bb.483:                              ;   in Loop: Header=BB170_13 Depth=1
	v_bfrev_b32_e32 v53, 1
	s_mov_b32 s42, exec_lo
	v_cmpx_ne_u16_e32 0x80, v0
	s_cbranch_execz .LBB170_489
; %bb.484:                              ;   in Loop: Header=BB170_13 Depth=1
	v_and_b32_sdwa v54, v0, v68 dst_sel:DWORD dst_unused:UNUSED_PAD src0_sel:WORD_0 src1_sel:DWORD
	v_mov_b32_e32 v53, 0x7f800001
	s_mov_b32 s43, exec_lo
	v_cmpx_ne_u32_e32 0x7f, v54
	s_cbranch_execz .LBB170_488
; %bb.485:                              ;   in Loop: Header=BB170_13 Depth=1
	v_and_b32_sdwa v49, v0, v69 dst_sel:DWORD dst_unused:UNUSED_PAD src0_sel:WORD_0 src1_sel:DWORD
	v_lshrrev_b32_e32 v53, 3, v54
	s_mov_b32 s44, exec_lo
	v_cmpx_gt_u32_e32 8, v54
; %bb.486:                              ;   in Loop: Header=BB170_13 Depth=1
	v_ffbh_u32_e32 v53, v49
	v_min_u32_e32 v53, 32, v53
	v_subrev_nc_u32_e32 v54, 28, v53
	v_sub_nc_u32_e32 v53, 29, v53
	v_lshlrev_b64 v[54:55], v54, v[49:50]
	v_and_b32_e32 v49, 7, v54
; %bb.487:                              ;   in Loop: Header=BB170_13 Depth=1
	s_or_b32 exec_lo, exec_lo, s44
	v_lshlrev_b32_e32 v0, 24, v0
	v_lshlrev_b32_e32 v49, 20, v49
	v_lshl_add_u32 v53, v53, 23, 0x3c000000
	v_and_b32_e32 v0, 0x80000000, v0
	v_or3_b32 v53, v49, v0, v53
.LBB170_488:                            ;   in Loop: Header=BB170_13 Depth=1
	s_or_b32 exec_lo, exec_lo, s43
.LBB170_489:                            ;   in Loop: Header=BB170_13 Depth=1
	s_or_b32 exec_lo, exec_lo, s42
.LBB170_490:                            ;   in Loop: Header=BB170_13 Depth=1
	s_or_b32 exec_lo, exec_lo, s41
	global_load_ubyte v0, v[57:58], off offset:1804
	s_mov_b32 s41, exec_lo
	s_waitcnt vmcnt(0)
	v_cmpx_ne_u16_e32 0, v0
	s_cbranch_execz .LBB170_498
; %bb.491:                              ;   in Loop: Header=BB170_13 Depth=1
	v_bfrev_b32_e32 v70, 1
	s_mov_b32 s42, exec_lo
	v_cmpx_ne_u16_e32 0x80, v0
	s_cbranch_execz .LBB170_497
; %bb.492:                              ;   in Loop: Header=BB170_13 Depth=1
	v_and_b32_sdwa v63, v0, v68 dst_sel:DWORD dst_unused:UNUSED_PAD src0_sel:WORD_0 src1_sel:DWORD
	v_mov_b32_e32 v70, 0x7f800001
	s_mov_b32 s43, exec_lo
	v_cmpx_ne_u32_e32 0x7f, v63
	s_cbranch_execz .LBB170_496
; %bb.493:                              ;   in Loop: Header=BB170_13 Depth=1
	v_and_b32_sdwa v49, v0, v69 dst_sel:DWORD dst_unused:UNUSED_PAD src0_sel:WORD_0 src1_sel:DWORD
	v_lshrrev_b32_e32 v54, 3, v63
	s_mov_b32 s44, exec_lo
	v_cmpx_gt_u32_e32 8, v63
; %bb.494:                              ;   in Loop: Header=BB170_13 Depth=1
	v_ffbh_u32_e32 v54, v49
	v_min_u32_e32 v54, 32, v54
	v_subrev_nc_u32_e32 v55, 28, v54
	v_sub_nc_u32_e32 v54, 29, v54
	v_lshlrev_b64 v[55:56], v55, v[49:50]
	v_and_b32_e32 v49, 7, v55
; %bb.495:                              ;   in Loop: Header=BB170_13 Depth=1
	s_or_b32 exec_lo, exec_lo, s44
	v_lshlrev_b32_e32 v0, 24, v0
	v_lshlrev_b32_e32 v49, 20, v49
	v_lshl_add_u32 v54, v54, 23, 0x3c000000
	v_and_b32_e32 v0, 0x80000000, v0
	v_or3_b32 v70, v49, v0, v54
.LBB170_496:                            ;   in Loop: Header=BB170_13 Depth=1
	s_or_b32 exec_lo, exec_lo, s43
.LBB170_497:                            ;   in Loop: Header=BB170_13 Depth=1
	s_or_b32 exec_lo, exec_lo, s42
.LBB170_498:                            ;   in Loop: Header=BB170_13 Depth=1
	s_or_b32 exec_lo, exec_lo, s41
	global_load_ubyte v0, v[57:58], off offset:1920
	v_mov_b32_e32 v54, 0
	v_mov_b32_e32 v65, 0
	s_mov_b32 s41, exec_lo
	s_waitcnt vmcnt(0)
	v_cmpx_ne_u16_e32 0, v0
	s_cbranch_execz .LBB170_506
; %bb.499:                              ;   in Loop: Header=BB170_13 Depth=1
	v_bfrev_b32_e32 v65, 1
	s_mov_b32 s42, exec_lo
	v_cmpx_ne_u16_e32 0x80, v0
	s_cbranch_execz .LBB170_505
; %bb.500:                              ;   in Loop: Header=BB170_13 Depth=1
	v_and_b32_sdwa v72, v0, v68 dst_sel:DWORD dst_unused:UNUSED_PAD src0_sel:WORD_0 src1_sel:DWORD
	v_mov_b32_e32 v65, 0x7f800001
	s_mov_b32 s43, exec_lo
	v_cmpx_ne_u32_e32 0x7f, v72
	s_cbranch_execz .LBB170_504
; %bb.501:                              ;   in Loop: Header=BB170_13 Depth=1
	v_and_b32_sdwa v49, v0, v69 dst_sel:DWORD dst_unused:UNUSED_PAD src0_sel:WORD_0 src1_sel:DWORD
	v_lshrrev_b32_e32 v63, 3, v72
	s_mov_b32 s44, exec_lo
	v_cmpx_gt_u32_e32 8, v72
; %bb.502:                              ;   in Loop: Header=BB170_13 Depth=1
	v_ffbh_u32_e32 v55, v49
	v_min_u32_e32 v63, 32, v55
	v_subrev_nc_u32_e32 v55, 28, v63
	v_sub_nc_u32_e32 v63, 29, v63
	v_lshlrev_b64 v[55:56], v55, v[49:50]
	v_and_b32_e32 v49, 7, v55
; %bb.503:                              ;   in Loop: Header=BB170_13 Depth=1
	s_or_b32 exec_lo, exec_lo, s44
	v_lshlrev_b32_e32 v0, 24, v0
	v_lshlrev_b32_e32 v49, 20, v49
	v_lshl_add_u32 v55, v63, 23, 0x3c000000
	v_and_b32_e32 v0, 0x80000000, v0
	v_or3_b32 v65, v49, v0, v55
.LBB170_504:                            ;   in Loop: Header=BB170_13 Depth=1
	s_or_b32 exec_lo, exec_lo, s43
.LBB170_505:                            ;   in Loop: Header=BB170_13 Depth=1
	s_or_b32 exec_lo, exec_lo, s42
.LBB170_506:                            ;   in Loop: Header=BB170_13 Depth=1
	s_or_b32 exec_lo, exec_lo, s41
	global_load_ubyte v0, v[57:58], off offset:1924
	s_mov_b32 s41, exec_lo
	s_waitcnt vmcnt(0)
	v_cmpx_ne_u16_e32 0, v0
	s_cbranch_execz .LBB170_514
; %bb.507:                              ;   in Loop: Header=BB170_13 Depth=1
	v_bfrev_b32_e32 v54, 1
	s_mov_b32 s42, exec_lo
	v_cmpx_ne_u16_e32 0x80, v0
	s_cbranch_execz .LBB170_513
; %bb.508:                              ;   in Loop: Header=BB170_13 Depth=1
	v_and_b32_sdwa v63, v0, v68 dst_sel:DWORD dst_unused:UNUSED_PAD src0_sel:WORD_0 src1_sel:DWORD
	v_mov_b32_e32 v54, 0x7f800001
	s_mov_b32 s43, exec_lo
	v_cmpx_ne_u32_e32 0x7f, v63
	s_cbranch_execz .LBB170_512
; %bb.509:                              ;   in Loop: Header=BB170_13 Depth=1
	v_and_b32_sdwa v49, v0, v69 dst_sel:DWORD dst_unused:UNUSED_PAD src0_sel:WORD_0 src1_sel:DWORD
	v_lshrrev_b32_e32 v54, 3, v63
	s_mov_b32 s44, exec_lo
	v_cmpx_gt_u32_e32 8, v63
; %bb.510:                              ;   in Loop: Header=BB170_13 Depth=1
	v_ffbh_u32_e32 v54, v49
	v_min_u32_e32 v54, 32, v54
	v_subrev_nc_u32_e32 v55, 28, v54
	v_sub_nc_u32_e32 v54, 29, v54
	v_lshlrev_b64 v[55:56], v55, v[49:50]
	v_and_b32_e32 v49, 7, v55
; %bb.511:                              ;   in Loop: Header=BB170_13 Depth=1
	s_or_b32 exec_lo, exec_lo, s44
	v_lshlrev_b32_e32 v0, 24, v0
	v_lshlrev_b32_e32 v49, 20, v49
	v_lshl_add_u32 v54, v54, 23, 0x3c000000
	v_and_b32_e32 v0, 0x80000000, v0
	v_or3_b32 v54, v49, v0, v54
.LBB170_512:                            ;   in Loop: Header=BB170_13 Depth=1
	s_or_b32 exec_lo, exec_lo, s43
.LBB170_513:                            ;   in Loop: Header=BB170_13 Depth=1
	s_or_b32 exec_lo, exec_lo, s42
.LBB170_514:                            ;   in Loop: Header=BB170_13 Depth=1
	s_or_b32 exec_lo, exec_lo, s41
	global_load_ubyte v63, v[57:58], off offset:1928
	v_mov_b32_e32 v0, 0
	v_mov_b32_e32 v72, 0
	s_mov_b32 s41, exec_lo
	s_waitcnt vmcnt(0)
	v_cmpx_ne_u16_e32 0, v63
	s_cbranch_execz .LBB170_522
; %bb.515:                              ;   in Loop: Header=BB170_13 Depth=1
	v_bfrev_b32_e32 v72, 1
	s_mov_b32 s42, exec_lo
	v_cmpx_ne_u16_e32 0x80, v63
	s_cbranch_execz .LBB170_521
; %bb.516:                              ;   in Loop: Header=BB170_13 Depth=1
	v_and_b32_sdwa v55, v63, v68 dst_sel:DWORD dst_unused:UNUSED_PAD src0_sel:WORD_0 src1_sel:DWORD
	v_mov_b32_e32 v72, 0x7f800001
	s_mov_b32 s43, exec_lo
	v_cmpx_ne_u32_e32 0x7f, v55
	s_cbranch_execz .LBB170_520
; %bb.517:                              ;   in Loop: Header=BB170_13 Depth=1
	v_and_b32_sdwa v49, v63, v69 dst_sel:DWORD dst_unused:UNUSED_PAD src0_sel:WORD_0 src1_sel:DWORD
	v_lshrrev_b32_e32 v72, 3, v55
	s_mov_b32 s44, exec_lo
	v_cmpx_gt_u32_e32 8, v55
; %bb.518:                              ;   in Loop: Header=BB170_13 Depth=1
	v_ffbh_u32_e32 v55, v49
	v_min_u32_e32 v72, 32, v55
	v_subrev_nc_u32_e32 v55, 28, v72
	v_sub_nc_u32_e32 v72, 29, v72
	v_lshlrev_b64 v[55:56], v55, v[49:50]
	v_and_b32_e32 v49, 7, v55
; %bb.519:                              ;   in Loop: Header=BB170_13 Depth=1
	s_or_b32 exec_lo, exec_lo, s44
	v_lshlrev_b32_e32 v55, 24, v63
	v_lshlrev_b32_e32 v49, 20, v49
	v_lshl_add_u32 v56, v72, 23, 0x3c000000
	v_and_b32_e32 v55, 0x80000000, v55
	v_or3_b32 v72, v49, v55, v56
.LBB170_520:                            ;   in Loop: Header=BB170_13 Depth=1
	s_or_b32 exec_lo, exec_lo, s43
.LBB170_521:                            ;   in Loop: Header=BB170_13 Depth=1
	s_or_b32 exec_lo, exec_lo, s42
.LBB170_522:                            ;   in Loop: Header=BB170_13 Depth=1
	s_or_b32 exec_lo, exec_lo, s41
	global_load_ubyte v57, v[57:58], off offset:1932
	s_mov_b32 s41, exec_lo
	s_waitcnt vmcnt(0)
	v_cmpx_ne_u16_e32 0, v57
	s_cbranch_execz .LBB170_530
; %bb.523:                              ;   in Loop: Header=BB170_13 Depth=1
	v_bfrev_b32_e32 v0, 1
	s_mov_b32 s42, exec_lo
	v_cmpx_ne_u16_e32 0x80, v57
	s_cbranch_execz .LBB170_529
; %bb.524:                              ;   in Loop: Header=BB170_13 Depth=1
	v_and_b32_sdwa v55, v57, v68 dst_sel:DWORD dst_unused:UNUSED_PAD src0_sel:WORD_0 src1_sel:DWORD
	v_mov_b32_e32 v0, 0x7f800001
	s_mov_b32 s43, exec_lo
	v_cmpx_ne_u32_e32 0x7f, v55
	s_cbranch_execz .LBB170_528
; %bb.525:                              ;   in Loop: Header=BB170_13 Depth=1
	v_and_b32_sdwa v49, v57, v69 dst_sel:DWORD dst_unused:UNUSED_PAD src0_sel:WORD_0 src1_sel:DWORD
	v_lshrrev_b32_e32 v0, 3, v55
	s_mov_b32 s44, exec_lo
	v_cmpx_gt_u32_e32 8, v55
; %bb.526:                              ;   in Loop: Header=BB170_13 Depth=1
	v_ffbh_u32_e32 v0, v49
	v_min_u32_e32 v0, 32, v0
	v_subrev_nc_u32_e32 v55, 28, v0
	v_sub_nc_u32_e32 v0, 29, v0
	v_lshlrev_b64 v[55:56], v55, v[49:50]
	v_and_b32_e32 v49, 7, v55
; %bb.527:                              ;   in Loop: Header=BB170_13 Depth=1
	s_or_b32 exec_lo, exec_lo, s44
	v_lshlrev_b32_e32 v55, 24, v57
	v_lshlrev_b32_e32 v49, 20, v49
	v_lshl_add_u32 v0, v0, 23, 0x3c000000
	v_and_b32_e32 v55, 0x80000000, v55
	v_or3_b32 v0, v49, v55, v0
.LBB170_528:                            ;   in Loop: Header=BB170_13 Depth=1
	s_or_b32 exec_lo, exec_lo, s43
.LBB170_529:                            ;   in Loop: Header=BB170_13 Depth=1
	s_or_b32 exec_lo, exec_lo, s42
.LBB170_530:                            ;   in Loop: Header=BB170_13 Depth=1
	s_or_b32 exec_lo, exec_lo, s41
	s_waitcnt lgkmcnt(0)
	v_mul_f32_e32 v49, s40, v74
	v_mul_f32_e32 v55, s40, v75
	;; [unrolled: 1-line block ×4, first 2 shown]
	v_fmac_f32_e32 v46, v45, v55
	v_mul_f32_e32 v45, s40, v77
	v_fmac_f32_e32 v46, v47, v45
	v_mul_f32_e32 v45, s40, v76
	;; [unrolled: 2-line block ×37, first 2 shown]
	v_mul_f32_e32 v10, s40, v124
	v_fmac_f32_e32 v46, v11, v9
	v_mul_f32_e32 v9, s40, v112
	v_fmac_f32_e32 v46, v12, v9
	;; [unrolled: 2-line block ×3, first 2 shown]
	v_mul_f32_e32 v5, s40, v114
	v_mul_f32_e32 v9, s40, v125
	v_fmac_f32_e32 v46, v6, v5
	v_mul_f32_e32 v5, s40, v117
	v_mul_f32_e32 v6, s40, v122
	v_fmac_f32_e32 v46, v7, v5
	v_mul_f32_e32 v5, s40, v116
	v_fmac_f32_e32 v46, v8, v5
	;; [unrolled: 2-line block ×3, first 2 shown]
	v_mul_f32_e32 v1, s40, v118
	v_mul_f32_e32 v5, s40, v121
	v_fmac_f32_e32 v46, v2, v1
	v_mul_f32_e32 v1, s40, v120
	v_fmac_f32_e32 v46, v3, v5
	v_mul_f32_e32 v5, s40, v123
	v_fmac_f32_e32 v46, v4, v1
	ds_read2_b64 v[1:4], v66 offset0:25 offset1:26
	s_clause 0x1
	buffer_load_dword v7, off, s[48:51], 0 offset:4
	buffer_load_dword v8, off, s[48:51], 0 offset:8
	s_waitcnt vmcnt(1)
	v_fmac_f32_e32 v46, v7, v5
	s_waitcnt vmcnt(0)
	v_fmac_f32_e32 v46, v8, v6
	ds_read2_b64 v[5:8], v66 offset0:27 offset1:28
	s_waitcnt lgkmcnt(1)
	v_fmac_f32_e32 v46, v9, v1
	v_mul_f32_e32 v1, s40, v127
	v_mul_f32_e32 v9, s40, v62
	v_fmac_f32_e32 v46, v10, v2
	v_mul_f32_e32 v2, s40, v126
	v_fmac_f32_e32 v46, v1, v3
	;; [unrolled: 2-line block ×3, first 2 shown]
	s_waitcnt lgkmcnt(0)
	v_fmac_f32_e32 v46, v1, v5
	ds_read2_b64 v[1:4], v66 offset0:29 offset1:30
	v_mul_f32_e32 v5, s40, v64
	v_fmac_f32_e32 v46, v9, v6
	v_mul_f32_e32 v6, s40, v59
	v_fmac_f32_e32 v46, v5, v7
	;; [unrolled: 2-line block ×3, first 2 shown]
	v_mul_f32_e32 v8, s40, v70
	ds_read_b64 v[5:6], v66 offset:248
	s_waitcnt lgkmcnt(1)
	v_fmac_f32_e32 v46, v7, v1
	v_mul_f32_e32 v1, s40, v65
	v_mbcnt_lo_u32_b32 v7, -1, 0
	v_fmac_f32_e32 v46, v8, v2
	v_mul_f32_e32 v2, s40, v54
	v_fmac_f32_e32 v46, v1, v3
	v_xor_b32_e32 v1, 2, v7
	v_mul_f32_e32 v3, s40, v72
	v_fmac_f32_e32 v46, v2, v4
	v_cmp_gt_i32_e64 s2, 32, v1
	s_waitcnt lgkmcnt(0)
	v_fmac_f32_e32 v46, v3, v5
	v_cndmask_b32_e64 v1, v7, v1, s2
	v_fmac_f32_e32 v46, v0, v6
	v_lshlrev_b32_e32 v1, 2, v1
	ds_bpermute_b32 v0, v1, v46
	v_xor_b32_e32 v1, 1, v7
	v_cmp_gt_i32_e64 s2, 32, v1
	v_cndmask_b32_e64 v1, v7, v1, s2
	v_lshlrev_b32_e32 v1, 2, v1
	s_waitcnt lgkmcnt(0)
	v_add_f32_e32 v0, v46, v0
	ds_bpermute_b32 v1, v1, v0
	s_and_saveexec_b32 s40, vcc_lo
	s_cbranch_execz .LBB170_11
; %bb.531:                              ;   in Loop: Header=BB170_13 Depth=1
	buffer_load_dword v2, off, s[48:51], 0 offset:28 ; 4-byte Folded Reload
	s_waitcnt lgkmcnt(0)
	v_add_f32_e32 v0, v0, v1
	buffer_load_dword v3, off, s[48:51], 0 offset:12 ; 4-byte Folded Reload
	s_waitcnt vmcnt(1)
	v_add_nc_u32_e32 v2, v2, v67
	v_cvt_f32_i32_e32 v2, v2
	v_mul_f32_e32 v2, s36, v2
	v_cndmask_b32_e64 v1, 0, v2, s1
	v_fmac_f32_e32 v1, s35, v0
	buffer_load_dword v0, off, s[48:51], 0 offset:24 ; 4-byte Folded Reload
	s_waitcnt vmcnt(1)
	v_max_f32_e32 v2, v3, v3
	v_max_f32_e32 v2, v2, v1
	s_waitcnt vmcnt(0)
	v_add_nc_u32_e32 v0, v0, v67
	v_cmp_gt_i32_e64 s2, s33, v0
	v_cndmask_b32_e64 v0, 0, v1, s2
	v_cndmask_b32_e64 v3, v3, v2, s2
	ds_write_b32 v71, v0
	buffer_store_dword v3, off, s[48:51], 0 offset:12 ; 4-byte Folded Spill
	s_branch .LBB170_11
.LBB170_532:
	s_or_b32 exec_lo, exec_lo, s38
	s_clause 0x4
	buffer_load_dword v44, off, s[48:51], 0 offset:32
	buffer_load_dword v73, off, s[48:51], 0 offset:36
	;; [unrolled: 1-line block ×5, first 2 shown]
.LBB170_533:
	s_or_b32 exec_lo, exec_lo, s37
	v_mbcnt_lo_u32_b32 v5, -1, 0
	s_waitcnt vmcnt(4)
	v_and_b32_e32 v25, 31, v44
	v_xor_b32_e32 v0, 16, v5
	v_xor_b32_e32 v2, 8, v5
	;; [unrolled: 1-line block ×3, first 2 shown]
	v_cmp_gt_i32_e32 vcc_lo, 32, v0
	v_cndmask_b32_e32 v0, v5, v0, vcc_lo
	v_cmp_gt_i32_e32 vcc_lo, 32, v2
	s_waitcnt lgkmcnt(0)
	v_lshlrev_b32_e32 v1, 2, v0
	v_cndmask_b32_e32 v2, v5, v2, vcc_lo
	v_cmp_gt_i32_e32 vcc_lo, 32, v4
	s_waitcnt vmcnt(0)
	ds_bpermute_b32 v0, v1, v3
	v_max_f32_e32 v3, v3, v3
	v_lshlrev_b32_e32 v2, 2, v2
	v_cndmask_b32_e32 v4, v5, v4, vcc_lo
	v_cmp_eq_u32_e32 vcc_lo, 0, v25
	v_lshlrev_b32_e32 v5, 2, v4
	s_waitcnt lgkmcnt(0)
	v_max_f32_e32 v0, v0, v0
	v_max_f32_e32 v0, v3, v0
	ds_bpermute_b32 v3, v2, v0
	s_waitcnt lgkmcnt(0)
	v_max_f32_e32 v3, v3, v3
	v_max_f32_e32 v0, v0, v3
	v_lshlrev_b32_e32 v3, 2, v73
	ds_bpermute_b32 v4, v5, v0
	s_and_saveexec_b32 s1, vcc_lo
	s_cbranch_execz .LBB170_535
; %bb.534:
	s_waitcnt lgkmcnt(0)
	v_max_f32_e32 v4, v4, v4
	v_max_f32_e32 v0, v0, v0
	;; [unrolled: 1-line block ×3, first 2 shown]
	ds_write_b32 v3, v0 offset:1024
.LBB170_535:
	s_or_b32 exec_lo, exec_lo, s1
	v_cmp_gt_u32_e64 s1, 4, v25
	v_mov_b32_e32 v0, 0xff7fffff
	s_waitcnt lgkmcnt(0)
	v_lshlrev_b32_e32 v4, 2, v25
	s_waitcnt_vscnt null, 0x0
	s_barrier
	buffer_gl0_inv
	s_and_saveexec_b32 s2, s1
; %bb.536:
	ds_read_b32 v0, v4 offset:1024
; %bb.537:
	s_or_b32 exec_lo, exec_lo, s2
	v_mbcnt_lo_u32_b32 v9, -1, 0
	v_xor_b32_e32 v6, 2, v9
	v_xor_b32_e32 v8, 1, v9
	v_cmp_gt_i32_e64 s2, 32, v6
	v_cndmask_b32_e64 v6, v9, v6, s2
	v_cmp_gt_i32_e64 s2, 32, v8
	v_lshlrev_b32_e32 v6, 2, v6
	v_cndmask_b32_e64 v8, v9, v8, s2
	s_lshl_b32 s2, s20, 3
	s_min_i32 s4, s2, s33
	s_waitcnt lgkmcnt(0)
	ds_bpermute_b32 v7, v6, v0
	v_max_f32_e32 v0, v0, v0
	v_lshlrev_b32_e32 v26, 2, v8
	v_cmp_gt_i32_e64 s2, s4, v44
	s_waitcnt lgkmcnt(0)
	v_max_f32_e32 v7, v7, v7
	v_max_f32_e32 v0, v0, v7
	ds_bpermute_b32 v7, v26, v0
	s_waitcnt lgkmcnt(0)
	v_max_f32_e32 v7, v7, v7
	v_max_f32_e32 v0, v0, v7
	v_mov_b32_e32 v7, 0
	ds_bpermute_b32 v8, v7, v0
	v_lshl_add_u32 v0, v44, 2, 0x420
	s_and_saveexec_b32 s5, s2
	s_cbranch_execz .LBB170_541
; %bb.538:
	v_lshl_add_u32 v9, v44, 2, 0x420
	v_mov_b32_e32 v7, 0
	v_mov_b32_e32 v10, v44
	s_mov_b32 s12, 0
	.p2align	6
.LBB170_539:                            ; =>This Inner Loop Header: Depth=1
	ds_read_b32 v11, v9
	v_add_nc_u32_e32 v10, 0x80, v10
	v_cmp_le_i32_e64 s3, s4, v10
	s_or_b32 s12, s3, s12
	s_waitcnt lgkmcnt(0)
	v_sub_f32_e32 v11, v11, v8
	v_mul_f32_e32 v11, 0x3fb8aa3b, v11
	v_exp_f32_e32 v11, v11
	ds_write_b32 v9, v11
	v_add_f32_e32 v7, v7, v11
	v_add_nc_u32_e32 v9, 0x200, v9
	s_andn2_b32 exec_lo, exec_lo, s12
	s_cbranch_execnz .LBB170_539
; %bb.540:
	s_or_b32 exec_lo, exec_lo, s12
.LBB170_541:
	s_or_b32 exec_lo, exec_lo, s5
	ds_bpermute_b32 v1, v1, v7
	s_waitcnt lgkmcnt(0)
	v_add_f32_e32 v1, v7, v1
	ds_bpermute_b32 v2, v2, v1
	s_waitcnt lgkmcnt(0)
	v_add_f32_e32 v1, v1, v2
	;; [unrolled: 3-line block ×5, first 2 shown]
	s_and_saveexec_b32 s3, vcc_lo
; %bb.542:
	ds_write_b32 v3, v1 offset:1040
; %bb.543:
	s_or_b32 exec_lo, exec_lo, s3
	s_waitcnt lgkmcnt(0)
	s_barrier
	buffer_gl0_inv
	s_and_saveexec_b32 s3, s1
; %bb.544:
	ds_read_b32 v1, v4 offset:1040
; %bb.545:
	s_or_b32 exec_lo, exec_lo, s3
	s_waitcnt lgkmcnt(0)
	ds_bpermute_b32 v2, v6, v1
	s_waitcnt lgkmcnt(0)
	v_add_f32_e32 v1, v1, v2
	ds_bpermute_b32 v2, v26, v1
	s_waitcnt lgkmcnt(0)
	v_add_f32_e32 v1, v1, v2
	v_mov_b32_e32 v2, 0
	ds_bpermute_b32 v1, v2, v1
	s_and_saveexec_b32 s1, s2
	s_cbranch_execz .LBB170_548
; %bb.546:
	s_waitcnt lgkmcnt(0)
	v_add_f32_e32 v1, 0x358637bd, v1
	s_mov_b32 s2, 0
	v_div_scale_f32 v2, null, v1, v1, 1.0
	v_div_scale_f32 v5, vcc_lo, 1.0, v1, 1.0
	v_rcp_f32_e32 v3, v2
	v_fma_f32 v4, -v2, v3, 1.0
	v_fmac_f32_e32 v3, v4, v3
	v_mul_f32_e32 v4, v5, v3
	v_fma_f32 v6, -v2, v4, v5
	v_fmac_f32_e32 v4, v6, v3
	v_fma_f32 v2, -v2, v4, v5
	v_div_fmas_f32 v2, v2, v3, v4
	v_div_fixup_f32 v1, v2, v1, 1.0
	v_mov_b32_e32 v2, v44
.LBB170_547:                            ; =>This Inner Loop Header: Depth=1
	ds_read_b32 v3, v0
	v_add_nc_u32_e32 v2, 0x80, v2
	v_cmp_le_i32_e32 vcc_lo, s4, v2
	s_or_b32 s2, vcc_lo, s2
	s_waitcnt lgkmcnt(0)
	v_mul_f32_e32 v3, v1, v3
	ds_write_b32 v0, v3
	v_add_nc_u32_e32 v0, 0x200, v0
	s_andn2_b32 exec_lo, exec_lo, s2
	s_cbranch_execnz .LBB170_547
.LBB170_548:
	s_or_b32 exec_lo, exec_lo, s1
	v_mov_b32_e32 v42, 0
	v_and_b32_e32 v27, 1, v44
	v_mov_b32_e32 v43, 0
	v_mov_b32_e32 v41, 0
	;; [unrolled: 1-line block ×15, first 2 shown]
	s_waitcnt lgkmcnt(0)
	s_barrier
	buffer_gl0_inv
	s_and_saveexec_b32 s1, s0
	s_cbranch_execz .LBB170_1098
; %bb.549:
	s_sub_i32 s2, s34, s21
	s_ashr_i32 s0, s18, 31
	s_add_u32 s5, s30, s18
	s_addc_u32 s0, s31, s0
	s_abs_i32 s3, s22
	v_and_b32_e32 v1, 0x7c, v12
	v_cvt_f32_u32_e32 v0, s3
	s_sub_i32 s4, 0, s3
	v_lshlrev_b32_e32 v3, 4, v27
	v_and_b32_e32 v2, 0x7c, v13
	v_add_co_u32 v11, s5, s5, v1
	v_rcp_iflag_f32_e32 v0, v0
	s_lshl_b64 s[12:13], s[28:29], 2
	v_lshl_or_b32 v3, v73, 5, v3
	v_mov_b32_e32 v117, v44
	v_and_b32_e32 v44, 4, v12
	v_add_co_ci_u32_e64 v12, null, s0, 0, s5
	v_mov_b32_e32 v6, 0
	v_mov_b32_e32 v45, 0x80
	v_bfrev_b32_e32 v8, 1
	v_mul_f32_e32 v0, 0x4f7ffffe, v0
	v_mov_b32_e32 v46, 0xffff
	v_mov_b32_e32 v10, 0x7f800001
	;; [unrolled: 1-line block ×4, first 2 shown]
	v_cvt_u32_f32_e32 v0, v0
	v_mov_b32_e32 v49, 24
	v_mov_b32_e32 v28, 0
	;; [unrolled: 1-line block ×4, first 2 shown]
	v_mul_lo_u32 v4, s4, v0
	s_add_i32 s4, s20, -1
	s_add_u32 s0, s26, s12
	s_addc_u32 s5, s27, s13
	v_add_co_u32 v13, s0, s0, v2
	v_mov_b32_e32 v31, 0
	v_mov_b32_e32 v32, 0
	v_mul_hi_u32 v1, v0, v4
	v_mov_b32_e32 v33, 0
	v_mov_b32_e32 v34, 0
	v_add_co_ci_u32_e64 v14, null, s5, 0, s0
	v_add_nc_u32_e32 v50, 0x420, v3
	v_mov_b32_e32 v35, 0
	v_mov_b32_e32 v36, 0
	v_add_nc_u32_e32 v51, v0, v1
	v_mov_b32_e32 v37, 0
	v_mov_b32_e32 v38, 0
	;; [unrolled: 1-line block ×9, first 2 shown]
	s_mov_b32 s12, s17
	s_mov_b32 s5, 0
	s_branch .LBB170_552
.LBB170_550:                            ;   in Loop: Header=BB170_552 Depth=1
	s_or_b32 exec_lo, exec_lo, s0
	v_mul_f32_e32 v16, v1, v114
	v_mul_f32_e32 v17, v1, v113
	;; [unrolled: 1-line block ×5, first 2 shown]
	v_fmac_f32_e32 v16, v2, v24
	v_fmac_f32_e32 v17, v2, v112
	;; [unrolled: 1-line block ×4, first 2 shown]
	v_mul_f32_e32 v21, v1, v98
	v_fmac_f32_e32 v16, v3, v23
	v_fmac_f32_e32 v17, v3, v111
	v_fmac_f32_e32 v18, v3, v108
	v_fmac_f32_e32 v19, v3, v104
	v_fmac_f32_e32 v20, v2, v101
	v_fmac_f32_e32 v16, v4, v0
	v_fmac_f32_e32 v17, v4, v59
	v_fmac_f32_e32 v18, v4, v107
	v_mul_f32_e32 v0, v1, v94
	v_fmac_f32_e32 v19, v4, v103
	v_add_f32_e32 v29, v29, v16
	v_add_f32_e32 v30, v30, v17
	v_add_f32_e32 v31, v31, v18
	v_mul_f32_e32 v16, v1, v90
	v_mul_f32_e32 v17, v1, v86
	;; [unrolled: 1-line block ×3, first 2 shown]
	v_fmac_f32_e32 v0, v2, v93
	v_add_f32_e32 v32, v32, v19
	v_fmac_f32_e32 v16, v2, v89
	v_fmac_f32_e32 v17, v2, v85
	;; [unrolled: 1-line block ×4, first 2 shown]
	v_mul_f32_e32 v19, v1, v78
	v_fmac_f32_e32 v16, v3, v88
	v_fmac_f32_e32 v17, v3, v84
	;; [unrolled: 1-line block ×8, first 2 shown]
	v_add_f32_e32 v35, v35, v0
	v_mul_f32_e32 v0, v1, v74
	v_add_f32_e32 v36, v36, v16
	v_add_f32_e32 v37, v37, v17
	;; [unrolled: 1-line block ×3, first 2 shown]
	v_mul_f32_e32 v16, v1, v70
	v_mul_f32_e32 v17, v1, v66
	;; [unrolled: 1-line block ×4, first 2 shown]
	v_fmac_f32_e32 v19, v2, v77
	v_fmac_f32_e32 v0, v2, v73
	;; [unrolled: 1-line block ×22, first 2 shown]
	v_add_f32_e32 v33, v33, v20
	v_add_f32_e32 v34, v34, v21
	;; [unrolled: 1-line block ×8, first 2 shown]
.LBB170_551:                            ;   in Loop: Header=BB170_552 Depth=1
	s_or_b32 exec_lo, exec_lo, s13
	v_add_nc_u32_e32 v52, 4, v52
	v_add_co_u32 v13, s0, v13, 16
	v_add_co_ci_u32_e64 v14, null, 0, v14, s0
	v_cmp_le_i32_e32 vcc_lo, s20, v52
	v_add_nc_u32_e32 v60, 32, v60
	v_add_nc_u32_e32 v50, 0x80, v50
	s_or_b32 s5, vcc_lo, s5
	s_andn2_b32 exec_lo, exec_lo, s5
	s_cbranch_execz .LBB170_1097
.LBB170_552:                            ; =>This Inner Loop Header: Depth=1
	v_mul_hi_u32 v0, v60, s19
	v_mul_lo_u32 v1, v0, s16
	v_add_nc_u32_e32 v2, 1, v0
	v_sub_nc_u32_e32 v1, v60, v1
	v_subrev_nc_u32_e32 v3, s16, v1
	v_cmp_le_u32_e32 vcc_lo, s16, v1
	v_cndmask_b32_e32 v0, v0, v2, vcc_lo
	v_cndmask_b32_e32 v1, v1, v3, vcc_lo
	v_add_nc_u32_e32 v2, 1, v0
	v_cmp_le_u32_e32 vcc_lo, s16, v1
	v_cndmask_b32_e32 v0, v0, v2, vcc_lo
	v_xor_b32_e32 v0, s23, v0
	v_subrev_nc_u32_e32 v0, s23, v0
	v_add_nc_u32_e32 v1, s25, v0
	v_cmp_lt_i32_e64 s0, s2, v0
	v_sub_nc_u32_e32 v2, 0, v1
	v_max_i32_e32 v2, v1, v2
	v_ashrrev_i32_e32 v1, 31, v1
	v_mul_hi_u32 v3, v2, v51
	v_mul_lo_u32 v3, v3, s3
	v_sub_nc_u32_e32 v2, v2, v3
	v_subrev_nc_u32_e32 v3, s3, v2
	v_cmp_le_u32_e32 vcc_lo, s3, v2
	v_cndmask_b32_e32 v2, v2, v3, vcc_lo
	v_subrev_nc_u32_e32 v3, s3, v2
	v_cmp_le_u32_e32 vcc_lo, s3, v2
	v_cndmask_b32_e32 v2, v2, v3, vcc_lo
	v_xor_b32_e32 v2, v2, v1
	v_sub_nc_u32_e32 v1, v2, v1
	v_cmp_eq_u32_e32 vcc_lo, 0, v1
	s_or_b32 s0, vcc_lo, s0
	s_and_saveexec_b32 s13, s0
	s_cbranch_execz .LBB170_551
; %bb.553:                              ;   in Loop: Header=BB170_552 Depth=1
	global_load_dword v0, v[13:14], off
	ds_read_b128 v[1:4], v50
	s_load_dword s17, s[14:15], 0x0
	v_mov_b32_e32 v19, 0
	v_mov_b32_e32 v17, 0
	;; [unrolled: 1-line block ×4, first 2 shown]
	s_waitcnt vmcnt(0)
	v_mad_i64_i32 v[15:16], null, v0, s12, v[11:12]
	global_load_dword v0, v[15:16], off
	s_waitcnt vmcnt(0)
	v_cmp_ne_u16_sdwa s18, v0, v6 src0_sel:BYTE_0 src1_sel:DWORD
	s_and_saveexec_b32 s0, s18
	s_cbranch_execz .LBB170_561
; %bb.554:                              ;   in Loop: Header=BB170_552 Depth=1
	v_bfrev_b32_e32 v17, 1
	v_mov_b32_e32 v18, 0
	v_cmp_ne_u16_sdwa s21, v0, v45 src0_sel:BYTE_0 src1_sel:DWORD
	s_and_saveexec_b32 s18, s21
	s_cbranch_execz .LBB170_560
; %bb.555:                              ;   in Loop: Header=BB170_552 Depth=1
	v_mov_b32_e32 v17, 0x7f800001
	v_and_b32_e32 v9, 0x7f, v0
	v_mov_b32_e32 v18, 0
	s_mov_b32 s21, exec_lo
	v_cmpx_ne_u32_e32 0x7f, v9
	s_cbranch_execz .LBB170_559
; %bb.556:                              ;   in Loop: Header=BB170_552 Depth=1
	v_and_b32_e32 v5, 7, v0
	v_lshrrev_b32_e32 v7, 3, v9
	s_mov_b32 s22, exec_lo
	v_cmpx_gt_u32_e32 8, v9
; %bb.557:                              ;   in Loop: Header=BB170_552 Depth=1
	v_ffbh_u32_e32 v7, v5
	v_min_u32_e32 v7, 32, v7
	v_subrev_nc_u32_e32 v9, 28, v7
	v_sub_nc_u32_e32 v7, 29, v7
	v_lshlrev_b64 v[17:18], v9, v[5:6]
	v_and_b32_e32 v5, 7, v17
; %bb.558:                              ;   in Loop: Header=BB170_552 Depth=1
	s_or_b32 exec_lo, exec_lo, s22
	v_lshlrev_b32_e32 v9, 24, v0
	v_lshlrev_b32_e32 v5, 20, v5
	v_lshl_add_u32 v7, v7, 23, 0x3c000000
	v_and_b32_e32 v9, 0x80000000, v9
	v_or3_b32 v5, v5, v9, v7
	v_mov_b32_e32 v18, v6
	v_mov_b32_e32 v17, v5
.LBB170_559:                            ;   in Loop: Header=BB170_552 Depth=1
	s_or_b32 exec_lo, exec_lo, s21
.LBB170_560:                            ;   in Loop: Header=BB170_552 Depth=1
	s_or_b32 exec_lo, exec_lo, s18
.LBB170_561:                            ;   in Loop: Header=BB170_552 Depth=1
	s_or_b32 exec_lo, exec_lo, s0
	v_cmp_ne_u16_sdwa s18, v0, v6 src0_sel:BYTE_1 src1_sel:DWORD
	s_and_saveexec_b32 s0, s18
	s_cbranch_execz .LBB170_569
; %bb.562:                              ;   in Loop: Header=BB170_552 Depth=1
	v_mov_b32_e32 v7, v6
	v_mov_b32_e32 v20, v8
	v_cmp_ne_u16_sdwa s21, v0, v45 src0_sel:BYTE_1 src1_sel:DWORD
	v_mov_b32_e32 v19, v7
	s_and_saveexec_b32 s18, s21
	s_cbranch_execz .LBB170_568
; %bb.563:                              ;   in Loop: Header=BB170_552 Depth=1
	v_and_b32_sdwa v5, v46, v0 dst_sel:DWORD dst_unused:UNUSED_PAD src0_sel:DWORD src1_sel:BYTE_1
	v_mov_b32_e32 v9, v6
	v_mov_b32_e32 v20, v10
	s_mov_b32 s21, exec_lo
	v_and_b32_e32 v21, 0x7f, v5
	v_mov_b32_e32 v19, v9
	v_cmpx_ne_u32_e32 0x7f, v21
	s_cbranch_execz .LBB170_567
; %bb.564:                              ;   in Loop: Header=BB170_552 Depth=1
	v_and_b32_e32 v5, 7, v5
	v_lshrrev_b32_e32 v7, 3, v21
	s_mov_b32 s22, exec_lo
	v_cmpx_gt_u32_e32 8, v21
; %bb.565:                              ;   in Loop: Header=BB170_552 Depth=1
	v_ffbh_u32_e32 v7, v5
	v_min_u32_e32 v7, 32, v7
	v_subrev_nc_u32_e32 v9, 28, v7
	v_sub_nc_u32_e32 v7, 29, v7
	v_lshlrev_b64 v[19:20], v9, v[5:6]
	v_and_b32_e32 v5, 7, v19
; %bb.566:                              ;   in Loop: Header=BB170_552 Depth=1
	s_or_b32 exec_lo, exec_lo, s22
	v_lshlrev_b32_e32 v9, 16, v0
	v_lshlrev_b32_e32 v5, 20, v5
	v_lshl_add_u32 v7, v7, 23, 0x3c000000
	v_mov_b32_e32 v19, v6
	v_and_b32_e32 v9, 0x80000000, v9
	v_or3_b32 v20, v5, v9, v7
.LBB170_567:                            ;   in Loop: Header=BB170_552 Depth=1
	s_or_b32 exec_lo, exec_lo, s21
.LBB170_568:                            ;   in Loop: Header=BB170_552 Depth=1
	s_or_b32 exec_lo, exec_lo, s18
.LBB170_569:                            ;   in Loop: Header=BB170_552 Depth=1
	s_or_b32 exec_lo, exec_lo, s0
	v_mov_b32_e32 v23, 0
	v_mov_b32_e32 v21, 0
	v_and_b32_sdwa v5, v0, v47 dst_sel:DWORD dst_unused:UNUSED_PAD src0_sel:WORD_1 src1_sel:DWORD
	v_mov_b32_e32 v24, 0
	v_mov_b32_e32 v22, 0
	s_mov_b32 s0, exec_lo
	v_cmpx_ne_u16_e32 0, v5
	s_cbranch_execz .LBB170_577
; %bb.570:                              ;   in Loop: Header=BB170_552 Depth=1
	v_bfrev_b32_e32 v21, 1
	v_mov_b32_e32 v22, 0
	s_mov_b32 s18, exec_lo
	v_cmpx_ne_u16_e32 0x80, v5
	s_cbranch_execz .LBB170_576
; %bb.571:                              ;   in Loop: Header=BB170_552 Depth=1
	v_mov_b32_e32 v21, 0x7f800001
	v_bfe_u32 v9, v0, 16, 7
	v_mov_b32_e32 v22, 0
	s_mov_b32 s21, exec_lo
	v_cmpx_ne_u32_e32 0x7f, v9
	s_cbranch_execz .LBB170_575
; %bb.572:                              ;   in Loop: Header=BB170_552 Depth=1
	v_and_b32_sdwa v5, v0, v48 dst_sel:DWORD dst_unused:UNUSED_PAD src0_sel:WORD_1 src1_sel:DWORD
	v_lshrrev_b32_e32 v7, 3, v9
	s_mov_b32 s22, exec_lo
	v_cmpx_gt_u32_e32 8, v9
; %bb.573:                              ;   in Loop: Header=BB170_552 Depth=1
	v_ffbh_u32_e32 v7, v5
	v_min_u32_e32 v7, 32, v7
	v_subrev_nc_u32_e32 v9, 28, v7
	v_sub_nc_u32_e32 v7, 29, v7
	v_lshlrev_b64 v[21:22], v9, v[5:6]
	v_and_b32_e32 v5, 7, v21
; %bb.574:                              ;   in Loop: Header=BB170_552 Depth=1
	s_or_b32 exec_lo, exec_lo, s22
	v_lshlrev_b32_sdwa v9, v49, v0 dst_sel:DWORD dst_unused:UNUSED_PAD src0_sel:DWORD src1_sel:WORD_1
	v_lshlrev_b32_e32 v5, 20, v5
	v_lshl_add_u32 v7, v7, 23, 0x3c000000
	v_and_b32_e32 v9, 0x80000000, v9
	v_or3_b32 v5, v5, v9, v7
	v_mov_b32_e32 v22, v6
	v_mov_b32_e32 v21, v5
.LBB170_575:                            ;   in Loop: Header=BB170_552 Depth=1
	s_or_b32 exec_lo, exec_lo, s21
.LBB170_576:                            ;   in Loop: Header=BB170_552 Depth=1
	s_or_b32 exec_lo, exec_lo, s18
.LBB170_577:                            ;   in Loop: Header=BB170_552 Depth=1
	s_or_b32 exec_lo, exec_lo, s0
	s_mov_b32 s0, exec_lo
	v_cmpx_lt_u32_e32 0xffffff, v0
	s_cbranch_execz .LBB170_585
; %bb.578:                              ;   in Loop: Header=BB170_552 Depth=1
	v_mov_b32_e32 v7, v6
	v_mov_b32_e32 v24, v8
	v_cmp_ne_u32_sdwa s21, v0, v45 src0_sel:BYTE_3 src1_sel:DWORD
	v_mov_b32_e32 v23, v7
	s_and_saveexec_b32 s18, s21
	s_cbranch_execz .LBB170_584
; %bb.579:                              ;   in Loop: Header=BB170_552 Depth=1
	v_mov_b32_e32 v9, v6
	v_mov_b32_e32 v24, v10
	v_bfe_u32 v53, v0, 24, 7
	s_mov_b32 s21, exec_lo
	v_mov_b32_e32 v23, v9
	v_cmpx_ne_u32_e32 0x7f, v53
	s_cbranch_execz .LBB170_583
; %bb.580:                              ;   in Loop: Header=BB170_552 Depth=1
	v_and_b32_sdwa v5, v0, v48 dst_sel:DWORD dst_unused:UNUSED_PAD src0_sel:BYTE_3 src1_sel:DWORD
	v_lshrrev_b32_e32 v7, 3, v53
	s_mov_b32 s22, exec_lo
	v_cmpx_gt_u32_e32 8, v53
; %bb.581:                              ;   in Loop: Header=BB170_552 Depth=1
	v_ffbh_u32_e32 v7, v5
	v_min_u32_e32 v7, 32, v7
	v_subrev_nc_u32_e32 v9, 28, v7
	v_sub_nc_u32_e32 v7, 29, v7
	v_lshlrev_b64 v[23:24], v9, v[5:6]
	v_and_b32_e32 v5, 7, v23
; %bb.582:                              ;   in Loop: Header=BB170_552 Depth=1
	s_or_b32 exec_lo, exec_lo, s22
	v_lshlrev_b32_sdwa v0, v49, v0 dst_sel:DWORD dst_unused:UNUSED_PAD src0_sel:DWORD src1_sel:BYTE_3
	v_lshlrev_b32_e32 v5, 20, v5
	v_lshl_add_u32 v7, v7, 23, 0x3c000000
	v_mov_b32_e32 v23, v6
	v_and_b32_e32 v0, 0x80000000, v0
	v_or3_b32 v24, v5, v0, v7
.LBB170_583:                            ;   in Loop: Header=BB170_552 Depth=1
	s_or_b32 exec_lo, exec_lo, s21
.LBB170_584:                            ;   in Loop: Header=BB170_552 Depth=1
	s_or_b32 exec_lo, exec_lo, s18
.LBB170_585:                            ;   in Loop: Header=BB170_552 Depth=1
	s_or_b32 exec_lo, exec_lo, s0
	v_add_nc_u32_e32 v57, v44, v60
	v_or_b32_e32 v0, v20, v18
	v_or_b32_e32 v5, v19, v17
	;; [unrolled: 1-line block ×4, first 2 shown]
	v_cmp_eq_u32_e32 vcc_lo, s4, v52
	s_waitcnt lgkmcnt(0)
	v_mul_f32_e32 v55, s17, v0
	v_mul_f32_e32 v56, s17, v5
	;; [unrolled: 1-line block ×4, first 2 shown]
	v_add_nc_u32_e32 v62, 1, v57
	v_add_nc_u32_e32 v61, 2, v57
	;; [unrolled: 1-line block ×3, first 2 shown]
	s_and_saveexec_b32 s18, vcc_lo
	s_cbranch_execz .LBB170_587
; %bb.586:                              ;   in Loop: Header=BB170_552 Depth=1
	v_cmp_gt_i32_e64 s0, s33, v57
	v_cndmask_b32_e64 v56, 0, v56, s0
	v_cmp_gt_i32_e64 s0, s33, v62
	v_cndmask_b32_e64 v55, 0, v55, s0
	;; [unrolled: 2-line block ×4, first 2 shown]
.LBB170_587:                            ;   in Loop: Header=BB170_552 Depth=1
	s_or_b32 exec_lo, exec_lo, s18
	global_load_dword v0, v[15:16], off offset:128
	v_mov_b32_e32 v19, 0
	v_mov_b32_e32 v17, 0
	;; [unrolled: 1-line block ×4, first 2 shown]
	s_waitcnt vmcnt(0)
	v_cmp_ne_u16_sdwa s0, v0, v6 src0_sel:BYTE_0 src1_sel:DWORD
	s_and_saveexec_b32 s18, s0
	s_cbranch_execz .LBB170_595
; %bb.588:                              ;   in Loop: Header=BB170_552 Depth=1
	v_bfrev_b32_e32 v17, 1
	v_mov_b32_e32 v18, 0
	v_cmp_ne_u16_sdwa s0, v0, v45 src0_sel:BYTE_0 src1_sel:DWORD
	s_and_saveexec_b32 s21, s0
	s_cbranch_execz .LBB170_594
; %bb.589:                              ;   in Loop: Header=BB170_552 Depth=1
	v_mov_b32_e32 v17, 0x7f800001
	v_and_b32_e32 v9, 0x7f, v0
	v_mov_b32_e32 v18, 0
	s_mov_b32 s22, exec_lo
	v_cmpx_ne_u32_e32 0x7f, v9
	s_cbranch_execz .LBB170_593
; %bb.590:                              ;   in Loop: Header=BB170_552 Depth=1
	v_and_b32_e32 v5, 7, v0
	v_lshrrev_b32_e32 v7, 3, v9
	s_mov_b32 s26, exec_lo
	v_cmpx_gt_u32_e32 8, v9
; %bb.591:                              ;   in Loop: Header=BB170_552 Depth=1
	v_ffbh_u32_e32 v7, v5
	v_min_u32_e32 v7, 32, v7
	v_subrev_nc_u32_e32 v9, 28, v7
	v_sub_nc_u32_e32 v7, 29, v7
	v_lshlrev_b64 v[17:18], v9, v[5:6]
	v_and_b32_e32 v5, 7, v17
; %bb.592:                              ;   in Loop: Header=BB170_552 Depth=1
	s_or_b32 exec_lo, exec_lo, s26
	v_lshlrev_b32_e32 v9, 24, v0
	v_lshlrev_b32_e32 v5, 20, v5
	v_lshl_add_u32 v7, v7, 23, 0x3c000000
	v_and_b32_e32 v9, 0x80000000, v9
	v_or3_b32 v5, v5, v9, v7
	v_mov_b32_e32 v18, v6
	v_mov_b32_e32 v17, v5
.LBB170_593:                            ;   in Loop: Header=BB170_552 Depth=1
	s_or_b32 exec_lo, exec_lo, s22
.LBB170_594:                            ;   in Loop: Header=BB170_552 Depth=1
	s_or_b32 exec_lo, exec_lo, s21
.LBB170_595:                            ;   in Loop: Header=BB170_552 Depth=1
	s_or_b32 exec_lo, exec_lo, s18
	v_cmp_ne_u16_sdwa s0, v0, v6 src0_sel:BYTE_1 src1_sel:DWORD
	s_and_saveexec_b32 s18, s0
	s_cbranch_execz .LBB170_603
; %bb.596:                              ;   in Loop: Header=BB170_552 Depth=1
	v_mov_b32_e32 v7, v6
	v_mov_b32_e32 v20, v8
	v_cmp_ne_u16_sdwa s0, v0, v45 src0_sel:BYTE_1 src1_sel:DWORD
	v_mov_b32_e32 v19, v7
	s_and_saveexec_b32 s21, s0
	s_cbranch_execz .LBB170_602
; %bb.597:                              ;   in Loop: Header=BB170_552 Depth=1
	v_and_b32_sdwa v5, v46, v0 dst_sel:DWORD dst_unused:UNUSED_PAD src0_sel:DWORD src1_sel:BYTE_1
	v_mov_b32_e32 v9, v6
	v_mov_b32_e32 v20, v10
	s_mov_b32 s22, exec_lo
	v_and_b32_e32 v21, 0x7f, v5
	v_mov_b32_e32 v19, v9
	v_cmpx_ne_u32_e32 0x7f, v21
	s_cbranch_execz .LBB170_601
; %bb.598:                              ;   in Loop: Header=BB170_552 Depth=1
	v_and_b32_e32 v5, 7, v5
	v_lshrrev_b32_e32 v7, 3, v21
	s_mov_b32 s26, exec_lo
	v_cmpx_gt_u32_e32 8, v21
; %bb.599:                              ;   in Loop: Header=BB170_552 Depth=1
	v_ffbh_u32_e32 v7, v5
	v_min_u32_e32 v7, 32, v7
	v_subrev_nc_u32_e32 v9, 28, v7
	v_sub_nc_u32_e32 v7, 29, v7
	v_lshlrev_b64 v[19:20], v9, v[5:6]
	v_and_b32_e32 v5, 7, v19
; %bb.600:                              ;   in Loop: Header=BB170_552 Depth=1
	s_or_b32 exec_lo, exec_lo, s26
	v_lshlrev_b32_e32 v9, 16, v0
	v_lshlrev_b32_e32 v5, 20, v5
	v_lshl_add_u32 v7, v7, 23, 0x3c000000
	v_mov_b32_e32 v19, v6
	v_and_b32_e32 v9, 0x80000000, v9
	v_or3_b32 v20, v5, v9, v7
.LBB170_601:                            ;   in Loop: Header=BB170_552 Depth=1
	s_or_b32 exec_lo, exec_lo, s22
.LBB170_602:                            ;   in Loop: Header=BB170_552 Depth=1
	s_or_b32 exec_lo, exec_lo, s21
.LBB170_603:                            ;   in Loop: Header=BB170_552 Depth=1
	s_or_b32 exec_lo, exec_lo, s18
	v_mov_b32_e32 v23, 0
	v_mov_b32_e32 v21, 0
	v_and_b32_sdwa v5, v0, v47 dst_sel:DWORD dst_unused:UNUSED_PAD src0_sel:WORD_1 src1_sel:DWORD
	v_mov_b32_e32 v24, 0
	v_mov_b32_e32 v22, 0
	s_mov_b32 s18, exec_lo
	v_cmpx_ne_u16_e32 0, v5
	s_cbranch_execz .LBB170_611
; %bb.604:                              ;   in Loop: Header=BB170_552 Depth=1
	v_bfrev_b32_e32 v21, 1
	v_mov_b32_e32 v22, 0
	s_mov_b32 s21, exec_lo
	v_cmpx_ne_u16_e32 0x80, v5
	s_cbranch_execz .LBB170_610
; %bb.605:                              ;   in Loop: Header=BB170_552 Depth=1
	v_mov_b32_e32 v21, 0x7f800001
	v_bfe_u32 v9, v0, 16, 7
	v_mov_b32_e32 v22, 0
	s_mov_b32 s22, exec_lo
	v_cmpx_ne_u32_e32 0x7f, v9
	s_cbranch_execz .LBB170_609
; %bb.606:                              ;   in Loop: Header=BB170_552 Depth=1
	v_and_b32_sdwa v5, v0, v48 dst_sel:DWORD dst_unused:UNUSED_PAD src0_sel:WORD_1 src1_sel:DWORD
	v_lshrrev_b32_e32 v7, 3, v9
	s_mov_b32 s26, exec_lo
	v_cmpx_gt_u32_e32 8, v9
; %bb.607:                              ;   in Loop: Header=BB170_552 Depth=1
	v_ffbh_u32_e32 v7, v5
	v_min_u32_e32 v7, 32, v7
	v_subrev_nc_u32_e32 v9, 28, v7
	v_sub_nc_u32_e32 v7, 29, v7
	v_lshlrev_b64 v[21:22], v9, v[5:6]
	v_and_b32_e32 v5, 7, v21
; %bb.608:                              ;   in Loop: Header=BB170_552 Depth=1
	s_or_b32 exec_lo, exec_lo, s26
	v_lshlrev_b32_sdwa v9, v49, v0 dst_sel:DWORD dst_unused:UNUSED_PAD src0_sel:DWORD src1_sel:WORD_1
	v_lshlrev_b32_e32 v5, 20, v5
	v_lshl_add_u32 v7, v7, 23, 0x3c000000
	v_and_b32_e32 v9, 0x80000000, v9
	v_or3_b32 v5, v5, v9, v7
	v_mov_b32_e32 v22, v6
	v_mov_b32_e32 v21, v5
.LBB170_609:                            ;   in Loop: Header=BB170_552 Depth=1
	s_or_b32 exec_lo, exec_lo, s22
.LBB170_610:                            ;   in Loop: Header=BB170_552 Depth=1
	s_or_b32 exec_lo, exec_lo, s21
.LBB170_611:                            ;   in Loop: Header=BB170_552 Depth=1
	s_or_b32 exec_lo, exec_lo, s18
	s_mov_b32 s18, exec_lo
	v_cmpx_lt_u32_e32 0xffffff, v0
	s_cbranch_execz .LBB170_619
; %bb.612:                              ;   in Loop: Header=BB170_552 Depth=1
	v_mov_b32_e32 v7, v6
	v_mov_b32_e32 v24, v8
	v_cmp_ne_u32_sdwa s0, v0, v45 src0_sel:BYTE_3 src1_sel:DWORD
	v_mov_b32_e32 v23, v7
	s_and_saveexec_b32 s21, s0
	s_cbranch_execz .LBB170_618
; %bb.613:                              ;   in Loop: Header=BB170_552 Depth=1
	v_mov_b32_e32 v9, v6
	v_mov_b32_e32 v24, v10
	v_bfe_u32 v59, v0, 24, 7
	s_mov_b32 s22, exec_lo
	v_mov_b32_e32 v23, v9
	v_cmpx_ne_u32_e32 0x7f, v59
	s_cbranch_execz .LBB170_617
; %bb.614:                              ;   in Loop: Header=BB170_552 Depth=1
	v_and_b32_sdwa v5, v0, v48 dst_sel:DWORD dst_unused:UNUSED_PAD src0_sel:BYTE_3 src1_sel:DWORD
	v_lshrrev_b32_e32 v7, 3, v59
	s_mov_b32 s26, exec_lo
	v_cmpx_gt_u32_e32 8, v59
; %bb.615:                              ;   in Loop: Header=BB170_552 Depth=1
	v_ffbh_u32_e32 v7, v5
	v_min_u32_e32 v7, 32, v7
	v_subrev_nc_u32_e32 v9, 28, v7
	v_sub_nc_u32_e32 v7, 29, v7
	v_lshlrev_b64 v[23:24], v9, v[5:6]
	v_and_b32_e32 v5, 7, v23
; %bb.616:                              ;   in Loop: Header=BB170_552 Depth=1
	s_or_b32 exec_lo, exec_lo, s26
	v_lshlrev_b32_sdwa v0, v49, v0 dst_sel:DWORD dst_unused:UNUSED_PAD src0_sel:DWORD src1_sel:BYTE_3
	v_lshlrev_b32_e32 v5, 20, v5
	v_lshl_add_u32 v7, v7, 23, 0x3c000000
	v_mov_b32_e32 v23, v6
	v_and_b32_e32 v0, 0x80000000, v0
	v_or3_b32 v24, v5, v0, v7
.LBB170_617:                            ;   in Loop: Header=BB170_552 Depth=1
	s_or_b32 exec_lo, exec_lo, s22
.LBB170_618:                            ;   in Loop: Header=BB170_552 Depth=1
	s_or_b32 exec_lo, exec_lo, s21
.LBB170_619:                            ;   in Loop: Header=BB170_552 Depth=1
	s_or_b32 exec_lo, exec_lo, s18
	v_or_b32_e32 v0, v20, v18
	v_or_b32_e32 v5, v19, v17
	;; [unrolled: 1-line block ×4, first 2 shown]
	s_mov_b32 s18, s17
	v_mul_f32_e32 v65, s18, v0
	v_mul_f32_e32 v66, s17, v5
	;; [unrolled: 1-line block ×4, first 2 shown]
	s_and_saveexec_b32 s21, vcc_lo
	s_cbranch_execz .LBB170_621
; %bb.620:                              ;   in Loop: Header=BB170_552 Depth=1
	v_cmp_gt_i32_e64 s0, s33, v57
	v_cndmask_b32_e64 v66, 0, v66, s0
	v_cmp_gt_i32_e64 s0, s33, v62
	v_cndmask_b32_e64 v65, 0, v65, s0
	;; [unrolled: 2-line block ×4, first 2 shown]
.LBB170_621:                            ;   in Loop: Header=BB170_552 Depth=1
	s_or_b32 exec_lo, exec_lo, s21
	global_load_dword v0, v[15:16], off offset:256
	v_mov_b32_e32 v19, 0
	v_mov_b32_e32 v17, 0
	;; [unrolled: 1-line block ×4, first 2 shown]
	s_waitcnt vmcnt(0)
	v_cmp_ne_u16_sdwa s0, v0, v6 src0_sel:BYTE_0 src1_sel:DWORD
	s_and_saveexec_b32 s21, s0
	s_cbranch_execz .LBB170_629
; %bb.622:                              ;   in Loop: Header=BB170_552 Depth=1
	v_bfrev_b32_e32 v17, 1
	v_mov_b32_e32 v18, 0
	v_cmp_ne_u16_sdwa s0, v0, v45 src0_sel:BYTE_0 src1_sel:DWORD
	s_and_saveexec_b32 s22, s0
	s_cbranch_execz .LBB170_628
; %bb.623:                              ;   in Loop: Header=BB170_552 Depth=1
	v_mov_b32_e32 v17, 0x7f800001
	v_and_b32_e32 v9, 0x7f, v0
	v_mov_b32_e32 v18, 0
	s_mov_b32 s26, exec_lo
	v_cmpx_ne_u32_e32 0x7f, v9
	s_cbranch_execz .LBB170_627
; %bb.624:                              ;   in Loop: Header=BB170_552 Depth=1
	v_and_b32_e32 v5, 7, v0
	v_lshrrev_b32_e32 v7, 3, v9
	s_mov_b32 s27, exec_lo
	v_cmpx_gt_u32_e32 8, v9
; %bb.625:                              ;   in Loop: Header=BB170_552 Depth=1
	v_ffbh_u32_e32 v7, v5
	v_min_u32_e32 v7, 32, v7
	v_subrev_nc_u32_e32 v9, 28, v7
	v_sub_nc_u32_e32 v7, 29, v7
	v_lshlrev_b64 v[17:18], v9, v[5:6]
	v_and_b32_e32 v5, 7, v17
; %bb.626:                              ;   in Loop: Header=BB170_552 Depth=1
	s_or_b32 exec_lo, exec_lo, s27
	v_lshlrev_b32_e32 v9, 24, v0
	v_lshlrev_b32_e32 v5, 20, v5
	v_lshl_add_u32 v7, v7, 23, 0x3c000000
	v_and_b32_e32 v9, 0x80000000, v9
	v_or3_b32 v5, v5, v9, v7
	v_mov_b32_e32 v18, v6
	v_mov_b32_e32 v17, v5
.LBB170_627:                            ;   in Loop: Header=BB170_552 Depth=1
	s_or_b32 exec_lo, exec_lo, s26
.LBB170_628:                            ;   in Loop: Header=BB170_552 Depth=1
	s_or_b32 exec_lo, exec_lo, s22
.LBB170_629:                            ;   in Loop: Header=BB170_552 Depth=1
	s_or_b32 exec_lo, exec_lo, s21
	v_cmp_ne_u16_sdwa s0, v0, v6 src0_sel:BYTE_1 src1_sel:DWORD
	s_and_saveexec_b32 s21, s0
	s_cbranch_execz .LBB170_637
; %bb.630:                              ;   in Loop: Header=BB170_552 Depth=1
	v_mov_b32_e32 v7, v6
	v_mov_b32_e32 v20, v8
	v_cmp_ne_u16_sdwa s0, v0, v45 src0_sel:BYTE_1 src1_sel:DWORD
	v_mov_b32_e32 v19, v7
	s_and_saveexec_b32 s22, s0
	s_cbranch_execz .LBB170_636
; %bb.631:                              ;   in Loop: Header=BB170_552 Depth=1
	v_and_b32_sdwa v5, v46, v0 dst_sel:DWORD dst_unused:UNUSED_PAD src0_sel:DWORD src1_sel:BYTE_1
	v_mov_b32_e32 v9, v6
	v_mov_b32_e32 v20, v10
	s_mov_b32 s26, exec_lo
	v_and_b32_e32 v21, 0x7f, v5
	v_mov_b32_e32 v19, v9
	v_cmpx_ne_u32_e32 0x7f, v21
	s_cbranch_execz .LBB170_635
; %bb.632:                              ;   in Loop: Header=BB170_552 Depth=1
	v_and_b32_e32 v5, 7, v5
	v_lshrrev_b32_e32 v7, 3, v21
	s_mov_b32 s27, exec_lo
	v_cmpx_gt_u32_e32 8, v21
; %bb.633:                              ;   in Loop: Header=BB170_552 Depth=1
	v_ffbh_u32_e32 v7, v5
	v_min_u32_e32 v7, 32, v7
	v_subrev_nc_u32_e32 v9, 28, v7
	v_sub_nc_u32_e32 v7, 29, v7
	v_lshlrev_b64 v[19:20], v9, v[5:6]
	v_and_b32_e32 v5, 7, v19
; %bb.634:                              ;   in Loop: Header=BB170_552 Depth=1
	s_or_b32 exec_lo, exec_lo, s27
	v_lshlrev_b32_e32 v9, 16, v0
	v_lshlrev_b32_e32 v5, 20, v5
	v_lshl_add_u32 v7, v7, 23, 0x3c000000
	v_mov_b32_e32 v19, v6
	v_and_b32_e32 v9, 0x80000000, v9
	v_or3_b32 v20, v5, v9, v7
.LBB170_635:                            ;   in Loop: Header=BB170_552 Depth=1
	s_or_b32 exec_lo, exec_lo, s26
.LBB170_636:                            ;   in Loop: Header=BB170_552 Depth=1
	s_or_b32 exec_lo, exec_lo, s22
.LBB170_637:                            ;   in Loop: Header=BB170_552 Depth=1
	s_or_b32 exec_lo, exec_lo, s21
	v_mov_b32_e32 v23, 0
	v_mov_b32_e32 v21, 0
	v_and_b32_sdwa v5, v0, v47 dst_sel:DWORD dst_unused:UNUSED_PAD src0_sel:WORD_1 src1_sel:DWORD
	v_mov_b32_e32 v24, 0
	v_mov_b32_e32 v22, 0
	s_mov_b32 s21, exec_lo
	v_cmpx_ne_u16_e32 0, v5
	s_cbranch_execz .LBB170_645
; %bb.638:                              ;   in Loop: Header=BB170_552 Depth=1
	v_bfrev_b32_e32 v21, 1
	v_mov_b32_e32 v22, 0
	s_mov_b32 s22, exec_lo
	v_cmpx_ne_u16_e32 0x80, v5
	s_cbranch_execz .LBB170_644
; %bb.639:                              ;   in Loop: Header=BB170_552 Depth=1
	v_mov_b32_e32 v21, 0x7f800001
	v_bfe_u32 v9, v0, 16, 7
	v_mov_b32_e32 v22, 0
	s_mov_b32 s26, exec_lo
	v_cmpx_ne_u32_e32 0x7f, v9
	s_cbranch_execz .LBB170_643
; %bb.640:                              ;   in Loop: Header=BB170_552 Depth=1
	v_and_b32_sdwa v5, v0, v48 dst_sel:DWORD dst_unused:UNUSED_PAD src0_sel:WORD_1 src1_sel:DWORD
	v_lshrrev_b32_e32 v7, 3, v9
	s_mov_b32 s27, exec_lo
	v_cmpx_gt_u32_e32 8, v9
; %bb.641:                              ;   in Loop: Header=BB170_552 Depth=1
	v_ffbh_u32_e32 v7, v5
	v_min_u32_e32 v7, 32, v7
	v_subrev_nc_u32_e32 v9, 28, v7
	v_sub_nc_u32_e32 v7, 29, v7
	v_lshlrev_b64 v[21:22], v9, v[5:6]
	v_and_b32_e32 v5, 7, v21
; %bb.642:                              ;   in Loop: Header=BB170_552 Depth=1
	s_or_b32 exec_lo, exec_lo, s27
	v_lshlrev_b32_sdwa v9, v49, v0 dst_sel:DWORD dst_unused:UNUSED_PAD src0_sel:DWORD src1_sel:WORD_1
	v_lshlrev_b32_e32 v5, 20, v5
	v_lshl_add_u32 v7, v7, 23, 0x3c000000
	v_and_b32_e32 v9, 0x80000000, v9
	v_or3_b32 v5, v5, v9, v7
	v_mov_b32_e32 v22, v6
	v_mov_b32_e32 v21, v5
.LBB170_643:                            ;   in Loop: Header=BB170_552 Depth=1
	s_or_b32 exec_lo, exec_lo, s26
.LBB170_644:                            ;   in Loop: Header=BB170_552 Depth=1
	s_or_b32 exec_lo, exec_lo, s22
.LBB170_645:                            ;   in Loop: Header=BB170_552 Depth=1
	s_or_b32 exec_lo, exec_lo, s21
	s_mov_b32 s21, exec_lo
	v_cmpx_lt_u32_e32 0xffffff, v0
	s_cbranch_execz .LBB170_653
; %bb.646:                              ;   in Loop: Header=BB170_552 Depth=1
	v_mov_b32_e32 v7, v6
	v_mov_b32_e32 v24, v8
	v_cmp_ne_u32_sdwa s0, v0, v45 src0_sel:BYTE_3 src1_sel:DWORD
	v_mov_b32_e32 v23, v7
	s_and_saveexec_b32 s22, s0
	s_cbranch_execz .LBB170_652
; %bb.647:                              ;   in Loop: Header=BB170_552 Depth=1
	v_mov_b32_e32 v9, v6
	v_mov_b32_e32 v24, v10
	v_bfe_u32 v59, v0, 24, 7
	s_mov_b32 s26, exec_lo
	v_mov_b32_e32 v23, v9
	v_cmpx_ne_u32_e32 0x7f, v59
	s_cbranch_execz .LBB170_651
; %bb.648:                              ;   in Loop: Header=BB170_552 Depth=1
	v_and_b32_sdwa v5, v0, v48 dst_sel:DWORD dst_unused:UNUSED_PAD src0_sel:BYTE_3 src1_sel:DWORD
	v_lshrrev_b32_e32 v7, 3, v59
	s_mov_b32 s27, exec_lo
	v_cmpx_gt_u32_e32 8, v59
; %bb.649:                              ;   in Loop: Header=BB170_552 Depth=1
	v_ffbh_u32_e32 v7, v5
	v_min_u32_e32 v7, 32, v7
	v_subrev_nc_u32_e32 v9, 28, v7
	v_sub_nc_u32_e32 v7, 29, v7
	v_lshlrev_b64 v[23:24], v9, v[5:6]
	v_and_b32_e32 v5, 7, v23
; %bb.650:                              ;   in Loop: Header=BB170_552 Depth=1
	s_or_b32 exec_lo, exec_lo, s27
	v_lshlrev_b32_sdwa v0, v49, v0 dst_sel:DWORD dst_unused:UNUSED_PAD src0_sel:DWORD src1_sel:BYTE_3
	v_lshlrev_b32_e32 v5, 20, v5
	v_lshl_add_u32 v7, v7, 23, 0x3c000000
	v_mov_b32_e32 v23, v6
	v_and_b32_e32 v0, 0x80000000, v0
	v_or3_b32 v24, v5, v0, v7
.LBB170_651:                            ;   in Loop: Header=BB170_552 Depth=1
	s_or_b32 exec_lo, exec_lo, s26
.LBB170_652:                            ;   in Loop: Header=BB170_552 Depth=1
	s_or_b32 exec_lo, exec_lo, s22
.LBB170_653:                            ;   in Loop: Header=BB170_552 Depth=1
	s_or_b32 exec_lo, exec_lo, s21
	v_or_b32_e32 v0, v20, v18
	v_or_b32_e32 v5, v19, v17
	;; [unrolled: 1-line block ×4, first 2 shown]
	v_mul_f32_e32 v69, s18, v0
	v_mul_f32_e32 v70, s17, v5
	;; [unrolled: 1-line block ×4, first 2 shown]
	s_and_saveexec_b32 s21, vcc_lo
	s_cbranch_execz .LBB170_655
; %bb.654:                              ;   in Loop: Header=BB170_552 Depth=1
	v_cmp_gt_i32_e64 s0, s33, v57
	v_cndmask_b32_e64 v70, 0, v70, s0
	v_cmp_gt_i32_e64 s0, s33, v62
	v_cndmask_b32_e64 v69, 0, v69, s0
	;; [unrolled: 2-line block ×4, first 2 shown]
.LBB170_655:                            ;   in Loop: Header=BB170_552 Depth=1
	s_or_b32 exec_lo, exec_lo, s21
	global_load_dword v0, v[15:16], off offset:384
	v_mov_b32_e32 v19, 0
	v_mov_b32_e32 v17, 0
	;; [unrolled: 1-line block ×4, first 2 shown]
	s_waitcnt vmcnt(0)
	v_cmp_ne_u16_sdwa s0, v0, v6 src0_sel:BYTE_0 src1_sel:DWORD
	s_and_saveexec_b32 s21, s0
	s_cbranch_execz .LBB170_663
; %bb.656:                              ;   in Loop: Header=BB170_552 Depth=1
	v_bfrev_b32_e32 v17, 1
	v_mov_b32_e32 v18, 0
	v_cmp_ne_u16_sdwa s0, v0, v45 src0_sel:BYTE_0 src1_sel:DWORD
	s_and_saveexec_b32 s22, s0
	s_cbranch_execz .LBB170_662
; %bb.657:                              ;   in Loop: Header=BB170_552 Depth=1
	v_mov_b32_e32 v17, 0x7f800001
	v_and_b32_e32 v9, 0x7f, v0
	v_mov_b32_e32 v18, 0
	s_mov_b32 s26, exec_lo
	v_cmpx_ne_u32_e32 0x7f, v9
	s_cbranch_execz .LBB170_661
; %bb.658:                              ;   in Loop: Header=BB170_552 Depth=1
	v_and_b32_e32 v5, 7, v0
	v_lshrrev_b32_e32 v7, 3, v9
	s_mov_b32 s27, exec_lo
	v_cmpx_gt_u32_e32 8, v9
; %bb.659:                              ;   in Loop: Header=BB170_552 Depth=1
	v_ffbh_u32_e32 v7, v5
	v_min_u32_e32 v7, 32, v7
	v_subrev_nc_u32_e32 v9, 28, v7
	v_sub_nc_u32_e32 v7, 29, v7
	v_lshlrev_b64 v[17:18], v9, v[5:6]
	v_and_b32_e32 v5, 7, v17
; %bb.660:                              ;   in Loop: Header=BB170_552 Depth=1
	s_or_b32 exec_lo, exec_lo, s27
	v_lshlrev_b32_e32 v9, 24, v0
	v_lshlrev_b32_e32 v5, 20, v5
	v_lshl_add_u32 v7, v7, 23, 0x3c000000
	v_and_b32_e32 v9, 0x80000000, v9
	v_or3_b32 v5, v5, v9, v7
	v_mov_b32_e32 v18, v6
	v_mov_b32_e32 v17, v5
.LBB170_661:                            ;   in Loop: Header=BB170_552 Depth=1
	s_or_b32 exec_lo, exec_lo, s26
.LBB170_662:                            ;   in Loop: Header=BB170_552 Depth=1
	s_or_b32 exec_lo, exec_lo, s22
.LBB170_663:                            ;   in Loop: Header=BB170_552 Depth=1
	s_or_b32 exec_lo, exec_lo, s21
	v_cmp_ne_u16_sdwa s0, v0, v6 src0_sel:BYTE_1 src1_sel:DWORD
	s_and_saveexec_b32 s21, s0
	s_cbranch_execz .LBB170_671
; %bb.664:                              ;   in Loop: Header=BB170_552 Depth=1
	v_mov_b32_e32 v7, v6
	v_mov_b32_e32 v20, v8
	v_cmp_ne_u16_sdwa s0, v0, v45 src0_sel:BYTE_1 src1_sel:DWORD
	v_mov_b32_e32 v19, v7
	s_and_saveexec_b32 s22, s0
	s_cbranch_execz .LBB170_670
; %bb.665:                              ;   in Loop: Header=BB170_552 Depth=1
	v_and_b32_sdwa v5, v46, v0 dst_sel:DWORD dst_unused:UNUSED_PAD src0_sel:DWORD src1_sel:BYTE_1
	v_mov_b32_e32 v9, v6
	v_mov_b32_e32 v20, v10
	s_mov_b32 s26, exec_lo
	v_and_b32_e32 v21, 0x7f, v5
	v_mov_b32_e32 v19, v9
	v_cmpx_ne_u32_e32 0x7f, v21
	s_cbranch_execz .LBB170_669
; %bb.666:                              ;   in Loop: Header=BB170_552 Depth=1
	v_and_b32_e32 v5, 7, v5
	v_lshrrev_b32_e32 v7, 3, v21
	s_mov_b32 s27, exec_lo
	v_cmpx_gt_u32_e32 8, v21
; %bb.667:                              ;   in Loop: Header=BB170_552 Depth=1
	v_ffbh_u32_e32 v7, v5
	v_min_u32_e32 v7, 32, v7
	v_subrev_nc_u32_e32 v9, 28, v7
	v_sub_nc_u32_e32 v7, 29, v7
	v_lshlrev_b64 v[19:20], v9, v[5:6]
	v_and_b32_e32 v5, 7, v19
; %bb.668:                              ;   in Loop: Header=BB170_552 Depth=1
	s_or_b32 exec_lo, exec_lo, s27
	v_lshlrev_b32_e32 v9, 16, v0
	v_lshlrev_b32_e32 v5, 20, v5
	v_lshl_add_u32 v7, v7, 23, 0x3c000000
	v_mov_b32_e32 v19, v6
	v_and_b32_e32 v9, 0x80000000, v9
	v_or3_b32 v20, v5, v9, v7
.LBB170_669:                            ;   in Loop: Header=BB170_552 Depth=1
	s_or_b32 exec_lo, exec_lo, s26
.LBB170_670:                            ;   in Loop: Header=BB170_552 Depth=1
	s_or_b32 exec_lo, exec_lo, s22
.LBB170_671:                            ;   in Loop: Header=BB170_552 Depth=1
	s_or_b32 exec_lo, exec_lo, s21
	v_mov_b32_e32 v23, 0
	v_mov_b32_e32 v21, 0
	v_and_b32_sdwa v5, v0, v47 dst_sel:DWORD dst_unused:UNUSED_PAD src0_sel:WORD_1 src1_sel:DWORD
	v_mov_b32_e32 v24, 0
	v_mov_b32_e32 v22, 0
	s_mov_b32 s21, exec_lo
	v_cmpx_ne_u16_e32 0, v5
	s_cbranch_execz .LBB170_679
; %bb.672:                              ;   in Loop: Header=BB170_552 Depth=1
	v_bfrev_b32_e32 v21, 1
	v_mov_b32_e32 v22, 0
	s_mov_b32 s22, exec_lo
	v_cmpx_ne_u16_e32 0x80, v5
	s_cbranch_execz .LBB170_678
; %bb.673:                              ;   in Loop: Header=BB170_552 Depth=1
	v_mov_b32_e32 v21, 0x7f800001
	v_bfe_u32 v9, v0, 16, 7
	v_mov_b32_e32 v22, 0
	s_mov_b32 s26, exec_lo
	v_cmpx_ne_u32_e32 0x7f, v9
	s_cbranch_execz .LBB170_677
; %bb.674:                              ;   in Loop: Header=BB170_552 Depth=1
	v_and_b32_sdwa v5, v0, v48 dst_sel:DWORD dst_unused:UNUSED_PAD src0_sel:WORD_1 src1_sel:DWORD
	v_lshrrev_b32_e32 v7, 3, v9
	s_mov_b32 s27, exec_lo
	v_cmpx_gt_u32_e32 8, v9
; %bb.675:                              ;   in Loop: Header=BB170_552 Depth=1
	v_ffbh_u32_e32 v7, v5
	v_min_u32_e32 v7, 32, v7
	v_subrev_nc_u32_e32 v9, 28, v7
	v_sub_nc_u32_e32 v7, 29, v7
	v_lshlrev_b64 v[21:22], v9, v[5:6]
	v_and_b32_e32 v5, 7, v21
; %bb.676:                              ;   in Loop: Header=BB170_552 Depth=1
	s_or_b32 exec_lo, exec_lo, s27
	v_lshlrev_b32_sdwa v9, v49, v0 dst_sel:DWORD dst_unused:UNUSED_PAD src0_sel:DWORD src1_sel:WORD_1
	v_lshlrev_b32_e32 v5, 20, v5
	v_lshl_add_u32 v7, v7, 23, 0x3c000000
	v_and_b32_e32 v9, 0x80000000, v9
	v_or3_b32 v5, v5, v9, v7
	v_mov_b32_e32 v22, v6
	v_mov_b32_e32 v21, v5
.LBB170_677:                            ;   in Loop: Header=BB170_552 Depth=1
	s_or_b32 exec_lo, exec_lo, s26
.LBB170_678:                            ;   in Loop: Header=BB170_552 Depth=1
	s_or_b32 exec_lo, exec_lo, s22
.LBB170_679:                            ;   in Loop: Header=BB170_552 Depth=1
	s_or_b32 exec_lo, exec_lo, s21
	s_mov_b32 s21, exec_lo
	v_cmpx_lt_u32_e32 0xffffff, v0
	s_cbranch_execz .LBB170_687
; %bb.680:                              ;   in Loop: Header=BB170_552 Depth=1
	v_mov_b32_e32 v7, v6
	v_mov_b32_e32 v24, v8
	v_cmp_ne_u32_sdwa s0, v0, v45 src0_sel:BYTE_3 src1_sel:DWORD
	v_mov_b32_e32 v23, v7
	s_and_saveexec_b32 s22, s0
	s_cbranch_execz .LBB170_686
; %bb.681:                              ;   in Loop: Header=BB170_552 Depth=1
	v_mov_b32_e32 v9, v6
	v_mov_b32_e32 v24, v10
	v_bfe_u32 v59, v0, 24, 7
	s_mov_b32 s26, exec_lo
	v_mov_b32_e32 v23, v9
	v_cmpx_ne_u32_e32 0x7f, v59
	s_cbranch_execz .LBB170_685
; %bb.682:                              ;   in Loop: Header=BB170_552 Depth=1
	v_and_b32_sdwa v5, v0, v48 dst_sel:DWORD dst_unused:UNUSED_PAD src0_sel:BYTE_3 src1_sel:DWORD
	v_lshrrev_b32_e32 v7, 3, v59
	s_mov_b32 s27, exec_lo
	v_cmpx_gt_u32_e32 8, v59
; %bb.683:                              ;   in Loop: Header=BB170_552 Depth=1
	v_ffbh_u32_e32 v7, v5
	v_min_u32_e32 v7, 32, v7
	v_subrev_nc_u32_e32 v9, 28, v7
	v_sub_nc_u32_e32 v7, 29, v7
	v_lshlrev_b64 v[23:24], v9, v[5:6]
	v_and_b32_e32 v5, 7, v23
; %bb.684:                              ;   in Loop: Header=BB170_552 Depth=1
	s_or_b32 exec_lo, exec_lo, s27
	v_lshlrev_b32_sdwa v0, v49, v0 dst_sel:DWORD dst_unused:UNUSED_PAD src0_sel:DWORD src1_sel:BYTE_3
	v_lshlrev_b32_e32 v5, 20, v5
	v_lshl_add_u32 v7, v7, 23, 0x3c000000
	v_mov_b32_e32 v23, v6
	v_and_b32_e32 v0, 0x80000000, v0
	v_or3_b32 v24, v5, v0, v7
.LBB170_685:                            ;   in Loop: Header=BB170_552 Depth=1
	s_or_b32 exec_lo, exec_lo, s26
.LBB170_686:                            ;   in Loop: Header=BB170_552 Depth=1
	s_or_b32 exec_lo, exec_lo, s22
.LBB170_687:                            ;   in Loop: Header=BB170_552 Depth=1
	s_or_b32 exec_lo, exec_lo, s21
	v_or_b32_e32 v0, v20, v18
	v_or_b32_e32 v5, v19, v17
	v_or_b32_e32 v7, v23, v21
	v_or_b32_e32 v9, v24, v22
	v_mul_f32_e32 v73, s18, v0
	v_mul_f32_e32 v74, s17, v5
	;; [unrolled: 1-line block ×4, first 2 shown]
	s_and_saveexec_b32 s21, vcc_lo
	s_cbranch_execz .LBB170_689
; %bb.688:                              ;   in Loop: Header=BB170_552 Depth=1
	v_cmp_gt_i32_e64 s0, s33, v57
	v_cndmask_b32_e64 v74, 0, v74, s0
	v_cmp_gt_i32_e64 s0, s33, v62
	v_cndmask_b32_e64 v73, 0, v73, s0
	;; [unrolled: 2-line block ×4, first 2 shown]
.LBB170_689:                            ;   in Loop: Header=BB170_552 Depth=1
	s_or_b32 exec_lo, exec_lo, s21
	global_load_dword v0, v[15:16], off offset:512
	v_mov_b32_e32 v19, 0
	v_mov_b32_e32 v17, 0
	;; [unrolled: 1-line block ×4, first 2 shown]
	s_waitcnt vmcnt(0)
	v_cmp_ne_u16_sdwa s0, v0, v6 src0_sel:BYTE_0 src1_sel:DWORD
	s_and_saveexec_b32 s21, s0
	s_cbranch_execz .LBB170_697
; %bb.690:                              ;   in Loop: Header=BB170_552 Depth=1
	v_bfrev_b32_e32 v17, 1
	v_mov_b32_e32 v18, 0
	v_cmp_ne_u16_sdwa s0, v0, v45 src0_sel:BYTE_0 src1_sel:DWORD
	s_and_saveexec_b32 s22, s0
	s_cbranch_execz .LBB170_696
; %bb.691:                              ;   in Loop: Header=BB170_552 Depth=1
	v_mov_b32_e32 v17, 0x7f800001
	v_and_b32_e32 v9, 0x7f, v0
	v_mov_b32_e32 v18, 0
	s_mov_b32 s26, exec_lo
	v_cmpx_ne_u32_e32 0x7f, v9
	s_cbranch_execz .LBB170_695
; %bb.692:                              ;   in Loop: Header=BB170_552 Depth=1
	v_and_b32_e32 v5, 7, v0
	v_lshrrev_b32_e32 v7, 3, v9
	s_mov_b32 s27, exec_lo
	v_cmpx_gt_u32_e32 8, v9
; %bb.693:                              ;   in Loop: Header=BB170_552 Depth=1
	v_ffbh_u32_e32 v7, v5
	v_min_u32_e32 v7, 32, v7
	v_subrev_nc_u32_e32 v9, 28, v7
	v_sub_nc_u32_e32 v7, 29, v7
	v_lshlrev_b64 v[17:18], v9, v[5:6]
	v_and_b32_e32 v5, 7, v17
; %bb.694:                              ;   in Loop: Header=BB170_552 Depth=1
	s_or_b32 exec_lo, exec_lo, s27
	v_lshlrev_b32_e32 v9, 24, v0
	v_lshlrev_b32_e32 v5, 20, v5
	v_lshl_add_u32 v7, v7, 23, 0x3c000000
	v_and_b32_e32 v9, 0x80000000, v9
	v_or3_b32 v5, v5, v9, v7
	v_mov_b32_e32 v18, v6
	v_mov_b32_e32 v17, v5
.LBB170_695:                            ;   in Loop: Header=BB170_552 Depth=1
	s_or_b32 exec_lo, exec_lo, s26
.LBB170_696:                            ;   in Loop: Header=BB170_552 Depth=1
	s_or_b32 exec_lo, exec_lo, s22
.LBB170_697:                            ;   in Loop: Header=BB170_552 Depth=1
	s_or_b32 exec_lo, exec_lo, s21
	v_cmp_ne_u16_sdwa s0, v0, v6 src0_sel:BYTE_1 src1_sel:DWORD
	s_and_saveexec_b32 s21, s0
	s_cbranch_execz .LBB170_705
; %bb.698:                              ;   in Loop: Header=BB170_552 Depth=1
	v_mov_b32_e32 v7, v6
	v_mov_b32_e32 v20, v8
	v_cmp_ne_u16_sdwa s0, v0, v45 src0_sel:BYTE_1 src1_sel:DWORD
	v_mov_b32_e32 v19, v7
	s_and_saveexec_b32 s22, s0
	s_cbranch_execz .LBB170_704
; %bb.699:                              ;   in Loop: Header=BB170_552 Depth=1
	v_and_b32_sdwa v5, v46, v0 dst_sel:DWORD dst_unused:UNUSED_PAD src0_sel:DWORD src1_sel:BYTE_1
	v_mov_b32_e32 v9, v6
	v_mov_b32_e32 v20, v10
	s_mov_b32 s26, exec_lo
	v_and_b32_e32 v21, 0x7f, v5
	v_mov_b32_e32 v19, v9
	v_cmpx_ne_u32_e32 0x7f, v21
	s_cbranch_execz .LBB170_703
; %bb.700:                              ;   in Loop: Header=BB170_552 Depth=1
	v_and_b32_e32 v5, 7, v5
	v_lshrrev_b32_e32 v7, 3, v21
	s_mov_b32 s27, exec_lo
	v_cmpx_gt_u32_e32 8, v21
; %bb.701:                              ;   in Loop: Header=BB170_552 Depth=1
	v_ffbh_u32_e32 v7, v5
	v_min_u32_e32 v7, 32, v7
	v_subrev_nc_u32_e32 v9, 28, v7
	v_sub_nc_u32_e32 v7, 29, v7
	v_lshlrev_b64 v[19:20], v9, v[5:6]
	v_and_b32_e32 v5, 7, v19
; %bb.702:                              ;   in Loop: Header=BB170_552 Depth=1
	s_or_b32 exec_lo, exec_lo, s27
	v_lshlrev_b32_e32 v9, 16, v0
	v_lshlrev_b32_e32 v5, 20, v5
	v_lshl_add_u32 v7, v7, 23, 0x3c000000
	v_mov_b32_e32 v19, v6
	v_and_b32_e32 v9, 0x80000000, v9
	v_or3_b32 v20, v5, v9, v7
.LBB170_703:                            ;   in Loop: Header=BB170_552 Depth=1
	s_or_b32 exec_lo, exec_lo, s26
.LBB170_704:                            ;   in Loop: Header=BB170_552 Depth=1
	s_or_b32 exec_lo, exec_lo, s22
.LBB170_705:                            ;   in Loop: Header=BB170_552 Depth=1
	s_or_b32 exec_lo, exec_lo, s21
	v_mov_b32_e32 v23, 0
	v_mov_b32_e32 v21, 0
	v_and_b32_sdwa v5, v0, v47 dst_sel:DWORD dst_unused:UNUSED_PAD src0_sel:WORD_1 src1_sel:DWORD
	v_mov_b32_e32 v24, 0
	v_mov_b32_e32 v22, 0
	s_mov_b32 s21, exec_lo
	v_cmpx_ne_u16_e32 0, v5
	s_cbranch_execz .LBB170_713
; %bb.706:                              ;   in Loop: Header=BB170_552 Depth=1
	v_bfrev_b32_e32 v21, 1
	v_mov_b32_e32 v22, 0
	s_mov_b32 s22, exec_lo
	v_cmpx_ne_u16_e32 0x80, v5
	s_cbranch_execz .LBB170_712
; %bb.707:                              ;   in Loop: Header=BB170_552 Depth=1
	v_mov_b32_e32 v21, 0x7f800001
	v_bfe_u32 v9, v0, 16, 7
	v_mov_b32_e32 v22, 0
	s_mov_b32 s26, exec_lo
	v_cmpx_ne_u32_e32 0x7f, v9
	s_cbranch_execz .LBB170_711
; %bb.708:                              ;   in Loop: Header=BB170_552 Depth=1
	v_and_b32_sdwa v5, v0, v48 dst_sel:DWORD dst_unused:UNUSED_PAD src0_sel:WORD_1 src1_sel:DWORD
	v_lshrrev_b32_e32 v7, 3, v9
	s_mov_b32 s27, exec_lo
	v_cmpx_gt_u32_e32 8, v9
; %bb.709:                              ;   in Loop: Header=BB170_552 Depth=1
	v_ffbh_u32_e32 v7, v5
	v_min_u32_e32 v7, 32, v7
	v_subrev_nc_u32_e32 v9, 28, v7
	v_sub_nc_u32_e32 v7, 29, v7
	v_lshlrev_b64 v[21:22], v9, v[5:6]
	v_and_b32_e32 v5, 7, v21
; %bb.710:                              ;   in Loop: Header=BB170_552 Depth=1
	s_or_b32 exec_lo, exec_lo, s27
	v_lshlrev_b32_sdwa v9, v49, v0 dst_sel:DWORD dst_unused:UNUSED_PAD src0_sel:DWORD src1_sel:WORD_1
	v_lshlrev_b32_e32 v5, 20, v5
	v_lshl_add_u32 v7, v7, 23, 0x3c000000
	v_and_b32_e32 v9, 0x80000000, v9
	v_or3_b32 v5, v5, v9, v7
	v_mov_b32_e32 v22, v6
	v_mov_b32_e32 v21, v5
.LBB170_711:                            ;   in Loop: Header=BB170_552 Depth=1
	s_or_b32 exec_lo, exec_lo, s26
.LBB170_712:                            ;   in Loop: Header=BB170_552 Depth=1
	s_or_b32 exec_lo, exec_lo, s22
.LBB170_713:                            ;   in Loop: Header=BB170_552 Depth=1
	s_or_b32 exec_lo, exec_lo, s21
	s_mov_b32 s21, exec_lo
	v_cmpx_lt_u32_e32 0xffffff, v0
	s_cbranch_execz .LBB170_721
; %bb.714:                              ;   in Loop: Header=BB170_552 Depth=1
	v_mov_b32_e32 v7, v6
	v_mov_b32_e32 v24, v8
	v_cmp_ne_u32_sdwa s0, v0, v45 src0_sel:BYTE_3 src1_sel:DWORD
	v_mov_b32_e32 v23, v7
	s_and_saveexec_b32 s22, s0
	s_cbranch_execz .LBB170_720
; %bb.715:                              ;   in Loop: Header=BB170_552 Depth=1
	v_mov_b32_e32 v9, v6
	v_mov_b32_e32 v24, v10
	v_bfe_u32 v59, v0, 24, 7
	s_mov_b32 s26, exec_lo
	v_mov_b32_e32 v23, v9
	v_cmpx_ne_u32_e32 0x7f, v59
	s_cbranch_execz .LBB170_719
; %bb.716:                              ;   in Loop: Header=BB170_552 Depth=1
	v_and_b32_sdwa v5, v0, v48 dst_sel:DWORD dst_unused:UNUSED_PAD src0_sel:BYTE_3 src1_sel:DWORD
	v_lshrrev_b32_e32 v7, 3, v59
	s_mov_b32 s27, exec_lo
	v_cmpx_gt_u32_e32 8, v59
; %bb.717:                              ;   in Loop: Header=BB170_552 Depth=1
	v_ffbh_u32_e32 v7, v5
	v_min_u32_e32 v7, 32, v7
	v_subrev_nc_u32_e32 v9, 28, v7
	v_sub_nc_u32_e32 v7, 29, v7
	v_lshlrev_b64 v[23:24], v9, v[5:6]
	v_and_b32_e32 v5, 7, v23
; %bb.718:                              ;   in Loop: Header=BB170_552 Depth=1
	s_or_b32 exec_lo, exec_lo, s27
	v_lshlrev_b32_sdwa v0, v49, v0 dst_sel:DWORD dst_unused:UNUSED_PAD src0_sel:DWORD src1_sel:BYTE_3
	v_lshlrev_b32_e32 v5, 20, v5
	v_lshl_add_u32 v7, v7, 23, 0x3c000000
	v_mov_b32_e32 v23, v6
	v_and_b32_e32 v0, 0x80000000, v0
	v_or3_b32 v24, v5, v0, v7
.LBB170_719:                            ;   in Loop: Header=BB170_552 Depth=1
	s_or_b32 exec_lo, exec_lo, s26
.LBB170_720:                            ;   in Loop: Header=BB170_552 Depth=1
	s_or_b32 exec_lo, exec_lo, s22
.LBB170_721:                            ;   in Loop: Header=BB170_552 Depth=1
	s_or_b32 exec_lo, exec_lo, s21
	v_or_b32_e32 v0, v20, v18
	v_or_b32_e32 v5, v19, v17
	;; [unrolled: 1-line block ×4, first 2 shown]
	v_mul_f32_e32 v77, s18, v0
	v_mul_f32_e32 v78, s17, v5
	;; [unrolled: 1-line block ×4, first 2 shown]
	s_and_saveexec_b32 s21, vcc_lo
	s_cbranch_execz .LBB170_723
; %bb.722:                              ;   in Loop: Header=BB170_552 Depth=1
	v_cmp_gt_i32_e64 s0, s33, v57
	v_cndmask_b32_e64 v78, 0, v78, s0
	v_cmp_gt_i32_e64 s0, s33, v62
	v_cndmask_b32_e64 v77, 0, v77, s0
	;; [unrolled: 2-line block ×4, first 2 shown]
.LBB170_723:                            ;   in Loop: Header=BB170_552 Depth=1
	s_or_b32 exec_lo, exec_lo, s21
	global_load_dword v0, v[15:16], off offset:640
	v_mov_b32_e32 v19, 0
	v_mov_b32_e32 v17, 0
	;; [unrolled: 1-line block ×4, first 2 shown]
	s_waitcnt vmcnt(0)
	v_cmp_ne_u16_sdwa s0, v0, v6 src0_sel:BYTE_0 src1_sel:DWORD
	s_and_saveexec_b32 s21, s0
	s_cbranch_execz .LBB170_731
; %bb.724:                              ;   in Loop: Header=BB170_552 Depth=1
	v_bfrev_b32_e32 v17, 1
	v_mov_b32_e32 v18, 0
	v_cmp_ne_u16_sdwa s0, v0, v45 src0_sel:BYTE_0 src1_sel:DWORD
	s_and_saveexec_b32 s22, s0
	s_cbranch_execz .LBB170_730
; %bb.725:                              ;   in Loop: Header=BB170_552 Depth=1
	v_mov_b32_e32 v17, 0x7f800001
	v_and_b32_e32 v9, 0x7f, v0
	v_mov_b32_e32 v18, 0
	s_mov_b32 s26, exec_lo
	v_cmpx_ne_u32_e32 0x7f, v9
	s_cbranch_execz .LBB170_729
; %bb.726:                              ;   in Loop: Header=BB170_552 Depth=1
	v_and_b32_e32 v5, 7, v0
	v_lshrrev_b32_e32 v7, 3, v9
	s_mov_b32 s27, exec_lo
	v_cmpx_gt_u32_e32 8, v9
; %bb.727:                              ;   in Loop: Header=BB170_552 Depth=1
	v_ffbh_u32_e32 v7, v5
	v_min_u32_e32 v7, 32, v7
	v_subrev_nc_u32_e32 v9, 28, v7
	v_sub_nc_u32_e32 v7, 29, v7
	v_lshlrev_b64 v[17:18], v9, v[5:6]
	v_and_b32_e32 v5, 7, v17
; %bb.728:                              ;   in Loop: Header=BB170_552 Depth=1
	s_or_b32 exec_lo, exec_lo, s27
	v_lshlrev_b32_e32 v9, 24, v0
	v_lshlrev_b32_e32 v5, 20, v5
	v_lshl_add_u32 v7, v7, 23, 0x3c000000
	v_and_b32_e32 v9, 0x80000000, v9
	v_or3_b32 v5, v5, v9, v7
	v_mov_b32_e32 v18, v6
	v_mov_b32_e32 v17, v5
.LBB170_729:                            ;   in Loop: Header=BB170_552 Depth=1
	s_or_b32 exec_lo, exec_lo, s26
.LBB170_730:                            ;   in Loop: Header=BB170_552 Depth=1
	s_or_b32 exec_lo, exec_lo, s22
.LBB170_731:                            ;   in Loop: Header=BB170_552 Depth=1
	s_or_b32 exec_lo, exec_lo, s21
	v_cmp_ne_u16_sdwa s0, v0, v6 src0_sel:BYTE_1 src1_sel:DWORD
	s_and_saveexec_b32 s21, s0
	s_cbranch_execz .LBB170_739
; %bb.732:                              ;   in Loop: Header=BB170_552 Depth=1
	v_mov_b32_e32 v7, v6
	v_mov_b32_e32 v20, v8
	v_cmp_ne_u16_sdwa s0, v0, v45 src0_sel:BYTE_1 src1_sel:DWORD
	v_mov_b32_e32 v19, v7
	s_and_saveexec_b32 s22, s0
	s_cbranch_execz .LBB170_738
; %bb.733:                              ;   in Loop: Header=BB170_552 Depth=1
	v_and_b32_sdwa v5, v46, v0 dst_sel:DWORD dst_unused:UNUSED_PAD src0_sel:DWORD src1_sel:BYTE_1
	v_mov_b32_e32 v9, v6
	v_mov_b32_e32 v20, v10
	s_mov_b32 s26, exec_lo
	v_and_b32_e32 v21, 0x7f, v5
	v_mov_b32_e32 v19, v9
	v_cmpx_ne_u32_e32 0x7f, v21
	s_cbranch_execz .LBB170_737
; %bb.734:                              ;   in Loop: Header=BB170_552 Depth=1
	v_and_b32_e32 v5, 7, v5
	v_lshrrev_b32_e32 v7, 3, v21
	s_mov_b32 s27, exec_lo
	v_cmpx_gt_u32_e32 8, v21
; %bb.735:                              ;   in Loop: Header=BB170_552 Depth=1
	v_ffbh_u32_e32 v7, v5
	v_min_u32_e32 v7, 32, v7
	v_subrev_nc_u32_e32 v9, 28, v7
	v_sub_nc_u32_e32 v7, 29, v7
	v_lshlrev_b64 v[19:20], v9, v[5:6]
	v_and_b32_e32 v5, 7, v19
; %bb.736:                              ;   in Loop: Header=BB170_552 Depth=1
	s_or_b32 exec_lo, exec_lo, s27
	v_lshlrev_b32_e32 v9, 16, v0
	v_lshlrev_b32_e32 v5, 20, v5
	v_lshl_add_u32 v7, v7, 23, 0x3c000000
	v_mov_b32_e32 v19, v6
	v_and_b32_e32 v9, 0x80000000, v9
	v_or3_b32 v20, v5, v9, v7
.LBB170_737:                            ;   in Loop: Header=BB170_552 Depth=1
	s_or_b32 exec_lo, exec_lo, s26
.LBB170_738:                            ;   in Loop: Header=BB170_552 Depth=1
	s_or_b32 exec_lo, exec_lo, s22
.LBB170_739:                            ;   in Loop: Header=BB170_552 Depth=1
	s_or_b32 exec_lo, exec_lo, s21
	v_mov_b32_e32 v23, 0
	v_mov_b32_e32 v21, 0
	v_and_b32_sdwa v5, v0, v47 dst_sel:DWORD dst_unused:UNUSED_PAD src0_sel:WORD_1 src1_sel:DWORD
	v_mov_b32_e32 v24, 0
	v_mov_b32_e32 v22, 0
	s_mov_b32 s21, exec_lo
	v_cmpx_ne_u16_e32 0, v5
	s_cbranch_execz .LBB170_747
; %bb.740:                              ;   in Loop: Header=BB170_552 Depth=1
	v_bfrev_b32_e32 v21, 1
	v_mov_b32_e32 v22, 0
	s_mov_b32 s22, exec_lo
	v_cmpx_ne_u16_e32 0x80, v5
	s_cbranch_execz .LBB170_746
; %bb.741:                              ;   in Loop: Header=BB170_552 Depth=1
	v_mov_b32_e32 v21, 0x7f800001
	v_bfe_u32 v9, v0, 16, 7
	v_mov_b32_e32 v22, 0
	s_mov_b32 s26, exec_lo
	v_cmpx_ne_u32_e32 0x7f, v9
	s_cbranch_execz .LBB170_745
; %bb.742:                              ;   in Loop: Header=BB170_552 Depth=1
	v_and_b32_sdwa v5, v0, v48 dst_sel:DWORD dst_unused:UNUSED_PAD src0_sel:WORD_1 src1_sel:DWORD
	v_lshrrev_b32_e32 v7, 3, v9
	s_mov_b32 s27, exec_lo
	v_cmpx_gt_u32_e32 8, v9
; %bb.743:                              ;   in Loop: Header=BB170_552 Depth=1
	v_ffbh_u32_e32 v7, v5
	v_min_u32_e32 v7, 32, v7
	v_subrev_nc_u32_e32 v9, 28, v7
	v_sub_nc_u32_e32 v7, 29, v7
	v_lshlrev_b64 v[21:22], v9, v[5:6]
	v_and_b32_e32 v5, 7, v21
; %bb.744:                              ;   in Loop: Header=BB170_552 Depth=1
	s_or_b32 exec_lo, exec_lo, s27
	v_lshlrev_b32_sdwa v9, v49, v0 dst_sel:DWORD dst_unused:UNUSED_PAD src0_sel:DWORD src1_sel:WORD_1
	v_lshlrev_b32_e32 v5, 20, v5
	v_lshl_add_u32 v7, v7, 23, 0x3c000000
	v_and_b32_e32 v9, 0x80000000, v9
	v_or3_b32 v5, v5, v9, v7
	v_mov_b32_e32 v22, v6
	v_mov_b32_e32 v21, v5
.LBB170_745:                            ;   in Loop: Header=BB170_552 Depth=1
	s_or_b32 exec_lo, exec_lo, s26
.LBB170_746:                            ;   in Loop: Header=BB170_552 Depth=1
	s_or_b32 exec_lo, exec_lo, s22
.LBB170_747:                            ;   in Loop: Header=BB170_552 Depth=1
	s_or_b32 exec_lo, exec_lo, s21
	s_mov_b32 s21, exec_lo
	v_cmpx_lt_u32_e32 0xffffff, v0
	s_cbranch_execz .LBB170_755
; %bb.748:                              ;   in Loop: Header=BB170_552 Depth=1
	v_mov_b32_e32 v7, v6
	v_mov_b32_e32 v24, v8
	v_cmp_ne_u32_sdwa s0, v0, v45 src0_sel:BYTE_3 src1_sel:DWORD
	v_mov_b32_e32 v23, v7
	s_and_saveexec_b32 s22, s0
	s_cbranch_execz .LBB170_754
; %bb.749:                              ;   in Loop: Header=BB170_552 Depth=1
	v_mov_b32_e32 v9, v6
	v_mov_b32_e32 v24, v10
	v_bfe_u32 v59, v0, 24, 7
	s_mov_b32 s26, exec_lo
	v_mov_b32_e32 v23, v9
	v_cmpx_ne_u32_e32 0x7f, v59
	s_cbranch_execz .LBB170_753
; %bb.750:                              ;   in Loop: Header=BB170_552 Depth=1
	v_and_b32_sdwa v5, v0, v48 dst_sel:DWORD dst_unused:UNUSED_PAD src0_sel:BYTE_3 src1_sel:DWORD
	v_lshrrev_b32_e32 v7, 3, v59
	s_mov_b32 s27, exec_lo
	v_cmpx_gt_u32_e32 8, v59
; %bb.751:                              ;   in Loop: Header=BB170_552 Depth=1
	v_ffbh_u32_e32 v7, v5
	v_min_u32_e32 v7, 32, v7
	v_subrev_nc_u32_e32 v9, 28, v7
	v_sub_nc_u32_e32 v7, 29, v7
	v_lshlrev_b64 v[23:24], v9, v[5:6]
	v_and_b32_e32 v5, 7, v23
; %bb.752:                              ;   in Loop: Header=BB170_552 Depth=1
	s_or_b32 exec_lo, exec_lo, s27
	v_lshlrev_b32_sdwa v0, v49, v0 dst_sel:DWORD dst_unused:UNUSED_PAD src0_sel:DWORD src1_sel:BYTE_3
	v_lshlrev_b32_e32 v5, 20, v5
	v_lshl_add_u32 v7, v7, 23, 0x3c000000
	v_mov_b32_e32 v23, v6
	v_and_b32_e32 v0, 0x80000000, v0
	v_or3_b32 v24, v5, v0, v7
.LBB170_753:                            ;   in Loop: Header=BB170_552 Depth=1
	s_or_b32 exec_lo, exec_lo, s26
.LBB170_754:                            ;   in Loop: Header=BB170_552 Depth=1
	s_or_b32 exec_lo, exec_lo, s22
.LBB170_755:                            ;   in Loop: Header=BB170_552 Depth=1
	s_or_b32 exec_lo, exec_lo, s21
	v_or_b32_e32 v0, v20, v18
	v_or_b32_e32 v5, v19, v17
	;; [unrolled: 1-line block ×4, first 2 shown]
	v_mul_f32_e32 v81, s18, v0
	v_mul_f32_e32 v82, s17, v5
	;; [unrolled: 1-line block ×4, first 2 shown]
	s_and_saveexec_b32 s21, vcc_lo
	s_cbranch_execz .LBB170_757
; %bb.756:                              ;   in Loop: Header=BB170_552 Depth=1
	v_cmp_gt_i32_e64 s0, s33, v57
	v_cndmask_b32_e64 v82, 0, v82, s0
	v_cmp_gt_i32_e64 s0, s33, v62
	v_cndmask_b32_e64 v81, 0, v81, s0
	;; [unrolled: 2-line block ×4, first 2 shown]
.LBB170_757:                            ;   in Loop: Header=BB170_552 Depth=1
	s_or_b32 exec_lo, exec_lo, s21
	global_load_dword v0, v[15:16], off offset:768
	v_mov_b32_e32 v19, 0
	v_mov_b32_e32 v17, 0
	;; [unrolled: 1-line block ×4, first 2 shown]
	s_waitcnt vmcnt(0)
	v_cmp_ne_u16_sdwa s0, v0, v6 src0_sel:BYTE_0 src1_sel:DWORD
	s_and_saveexec_b32 s21, s0
	s_cbranch_execz .LBB170_765
; %bb.758:                              ;   in Loop: Header=BB170_552 Depth=1
	v_bfrev_b32_e32 v17, 1
	v_mov_b32_e32 v18, 0
	v_cmp_ne_u16_sdwa s0, v0, v45 src0_sel:BYTE_0 src1_sel:DWORD
	s_and_saveexec_b32 s22, s0
	s_cbranch_execz .LBB170_764
; %bb.759:                              ;   in Loop: Header=BB170_552 Depth=1
	v_mov_b32_e32 v17, 0x7f800001
	v_and_b32_e32 v9, 0x7f, v0
	v_mov_b32_e32 v18, 0
	s_mov_b32 s26, exec_lo
	v_cmpx_ne_u32_e32 0x7f, v9
	s_cbranch_execz .LBB170_763
; %bb.760:                              ;   in Loop: Header=BB170_552 Depth=1
	v_and_b32_e32 v5, 7, v0
	v_lshrrev_b32_e32 v7, 3, v9
	s_mov_b32 s27, exec_lo
	v_cmpx_gt_u32_e32 8, v9
; %bb.761:                              ;   in Loop: Header=BB170_552 Depth=1
	v_ffbh_u32_e32 v7, v5
	v_min_u32_e32 v7, 32, v7
	v_subrev_nc_u32_e32 v9, 28, v7
	v_sub_nc_u32_e32 v7, 29, v7
	v_lshlrev_b64 v[17:18], v9, v[5:6]
	v_and_b32_e32 v5, 7, v17
; %bb.762:                              ;   in Loop: Header=BB170_552 Depth=1
	s_or_b32 exec_lo, exec_lo, s27
	v_lshlrev_b32_e32 v9, 24, v0
	v_lshlrev_b32_e32 v5, 20, v5
	v_lshl_add_u32 v7, v7, 23, 0x3c000000
	v_and_b32_e32 v9, 0x80000000, v9
	v_or3_b32 v5, v5, v9, v7
	v_mov_b32_e32 v18, v6
	v_mov_b32_e32 v17, v5
.LBB170_763:                            ;   in Loop: Header=BB170_552 Depth=1
	s_or_b32 exec_lo, exec_lo, s26
.LBB170_764:                            ;   in Loop: Header=BB170_552 Depth=1
	s_or_b32 exec_lo, exec_lo, s22
.LBB170_765:                            ;   in Loop: Header=BB170_552 Depth=1
	s_or_b32 exec_lo, exec_lo, s21
	v_cmp_ne_u16_sdwa s0, v0, v6 src0_sel:BYTE_1 src1_sel:DWORD
	s_and_saveexec_b32 s21, s0
	s_cbranch_execz .LBB170_773
; %bb.766:                              ;   in Loop: Header=BB170_552 Depth=1
	v_mov_b32_e32 v7, v6
	v_mov_b32_e32 v20, v8
	v_cmp_ne_u16_sdwa s0, v0, v45 src0_sel:BYTE_1 src1_sel:DWORD
	v_mov_b32_e32 v19, v7
	s_and_saveexec_b32 s22, s0
	s_cbranch_execz .LBB170_772
; %bb.767:                              ;   in Loop: Header=BB170_552 Depth=1
	v_and_b32_sdwa v5, v46, v0 dst_sel:DWORD dst_unused:UNUSED_PAD src0_sel:DWORD src1_sel:BYTE_1
	v_mov_b32_e32 v9, v6
	v_mov_b32_e32 v20, v10
	s_mov_b32 s26, exec_lo
	v_and_b32_e32 v21, 0x7f, v5
	v_mov_b32_e32 v19, v9
	v_cmpx_ne_u32_e32 0x7f, v21
	s_cbranch_execz .LBB170_771
; %bb.768:                              ;   in Loop: Header=BB170_552 Depth=1
	v_and_b32_e32 v5, 7, v5
	v_lshrrev_b32_e32 v7, 3, v21
	s_mov_b32 s27, exec_lo
	v_cmpx_gt_u32_e32 8, v21
; %bb.769:                              ;   in Loop: Header=BB170_552 Depth=1
	v_ffbh_u32_e32 v7, v5
	v_min_u32_e32 v7, 32, v7
	v_subrev_nc_u32_e32 v9, 28, v7
	v_sub_nc_u32_e32 v7, 29, v7
	v_lshlrev_b64 v[19:20], v9, v[5:6]
	v_and_b32_e32 v5, 7, v19
; %bb.770:                              ;   in Loop: Header=BB170_552 Depth=1
	s_or_b32 exec_lo, exec_lo, s27
	v_lshlrev_b32_e32 v9, 16, v0
	v_lshlrev_b32_e32 v5, 20, v5
	v_lshl_add_u32 v7, v7, 23, 0x3c000000
	v_mov_b32_e32 v19, v6
	v_and_b32_e32 v9, 0x80000000, v9
	v_or3_b32 v20, v5, v9, v7
.LBB170_771:                            ;   in Loop: Header=BB170_552 Depth=1
	s_or_b32 exec_lo, exec_lo, s26
.LBB170_772:                            ;   in Loop: Header=BB170_552 Depth=1
	s_or_b32 exec_lo, exec_lo, s22
.LBB170_773:                            ;   in Loop: Header=BB170_552 Depth=1
	s_or_b32 exec_lo, exec_lo, s21
	v_mov_b32_e32 v23, 0
	v_mov_b32_e32 v21, 0
	v_and_b32_sdwa v5, v0, v47 dst_sel:DWORD dst_unused:UNUSED_PAD src0_sel:WORD_1 src1_sel:DWORD
	v_mov_b32_e32 v24, 0
	v_mov_b32_e32 v22, 0
	s_mov_b32 s21, exec_lo
	v_cmpx_ne_u16_e32 0, v5
	s_cbranch_execz .LBB170_781
; %bb.774:                              ;   in Loop: Header=BB170_552 Depth=1
	v_bfrev_b32_e32 v21, 1
	v_mov_b32_e32 v22, 0
	s_mov_b32 s22, exec_lo
	v_cmpx_ne_u16_e32 0x80, v5
	s_cbranch_execz .LBB170_780
; %bb.775:                              ;   in Loop: Header=BB170_552 Depth=1
	v_mov_b32_e32 v21, 0x7f800001
	v_bfe_u32 v9, v0, 16, 7
	v_mov_b32_e32 v22, 0
	s_mov_b32 s26, exec_lo
	v_cmpx_ne_u32_e32 0x7f, v9
	s_cbranch_execz .LBB170_779
; %bb.776:                              ;   in Loop: Header=BB170_552 Depth=1
	v_and_b32_sdwa v5, v0, v48 dst_sel:DWORD dst_unused:UNUSED_PAD src0_sel:WORD_1 src1_sel:DWORD
	v_lshrrev_b32_e32 v7, 3, v9
	s_mov_b32 s27, exec_lo
	v_cmpx_gt_u32_e32 8, v9
; %bb.777:                              ;   in Loop: Header=BB170_552 Depth=1
	v_ffbh_u32_e32 v7, v5
	v_min_u32_e32 v7, 32, v7
	v_subrev_nc_u32_e32 v9, 28, v7
	v_sub_nc_u32_e32 v7, 29, v7
	v_lshlrev_b64 v[21:22], v9, v[5:6]
	v_and_b32_e32 v5, 7, v21
; %bb.778:                              ;   in Loop: Header=BB170_552 Depth=1
	s_or_b32 exec_lo, exec_lo, s27
	v_lshlrev_b32_sdwa v9, v49, v0 dst_sel:DWORD dst_unused:UNUSED_PAD src0_sel:DWORD src1_sel:WORD_1
	v_lshlrev_b32_e32 v5, 20, v5
	v_lshl_add_u32 v7, v7, 23, 0x3c000000
	v_and_b32_e32 v9, 0x80000000, v9
	v_or3_b32 v5, v5, v9, v7
	v_mov_b32_e32 v22, v6
	v_mov_b32_e32 v21, v5
.LBB170_779:                            ;   in Loop: Header=BB170_552 Depth=1
	s_or_b32 exec_lo, exec_lo, s26
.LBB170_780:                            ;   in Loop: Header=BB170_552 Depth=1
	s_or_b32 exec_lo, exec_lo, s22
.LBB170_781:                            ;   in Loop: Header=BB170_552 Depth=1
	s_or_b32 exec_lo, exec_lo, s21
	s_mov_b32 s21, exec_lo
	v_cmpx_lt_u32_e32 0xffffff, v0
	s_cbranch_execz .LBB170_789
; %bb.782:                              ;   in Loop: Header=BB170_552 Depth=1
	v_mov_b32_e32 v7, v6
	v_mov_b32_e32 v24, v8
	v_cmp_ne_u32_sdwa s0, v0, v45 src0_sel:BYTE_3 src1_sel:DWORD
	v_mov_b32_e32 v23, v7
	s_and_saveexec_b32 s22, s0
	s_cbranch_execz .LBB170_788
; %bb.783:                              ;   in Loop: Header=BB170_552 Depth=1
	v_mov_b32_e32 v9, v6
	v_mov_b32_e32 v24, v10
	v_bfe_u32 v59, v0, 24, 7
	s_mov_b32 s26, exec_lo
	v_mov_b32_e32 v23, v9
	v_cmpx_ne_u32_e32 0x7f, v59
	s_cbranch_execz .LBB170_787
; %bb.784:                              ;   in Loop: Header=BB170_552 Depth=1
	v_and_b32_sdwa v5, v0, v48 dst_sel:DWORD dst_unused:UNUSED_PAD src0_sel:BYTE_3 src1_sel:DWORD
	v_lshrrev_b32_e32 v7, 3, v59
	s_mov_b32 s27, exec_lo
	v_cmpx_gt_u32_e32 8, v59
; %bb.785:                              ;   in Loop: Header=BB170_552 Depth=1
	v_ffbh_u32_e32 v7, v5
	v_min_u32_e32 v7, 32, v7
	v_subrev_nc_u32_e32 v9, 28, v7
	v_sub_nc_u32_e32 v7, 29, v7
	v_lshlrev_b64 v[23:24], v9, v[5:6]
	v_and_b32_e32 v5, 7, v23
; %bb.786:                              ;   in Loop: Header=BB170_552 Depth=1
	s_or_b32 exec_lo, exec_lo, s27
	v_lshlrev_b32_sdwa v0, v49, v0 dst_sel:DWORD dst_unused:UNUSED_PAD src0_sel:DWORD src1_sel:BYTE_3
	v_lshlrev_b32_e32 v5, 20, v5
	v_lshl_add_u32 v7, v7, 23, 0x3c000000
	v_mov_b32_e32 v23, v6
	v_and_b32_e32 v0, 0x80000000, v0
	v_or3_b32 v24, v5, v0, v7
.LBB170_787:                            ;   in Loop: Header=BB170_552 Depth=1
	s_or_b32 exec_lo, exec_lo, s26
.LBB170_788:                            ;   in Loop: Header=BB170_552 Depth=1
	s_or_b32 exec_lo, exec_lo, s22
.LBB170_789:                            ;   in Loop: Header=BB170_552 Depth=1
	s_or_b32 exec_lo, exec_lo, s21
	v_or_b32_e32 v0, v20, v18
	v_or_b32_e32 v5, v19, v17
	;; [unrolled: 1-line block ×4, first 2 shown]
	v_mul_f32_e32 v85, s18, v0
	v_mul_f32_e32 v86, s17, v5
	;; [unrolled: 1-line block ×4, first 2 shown]
	s_and_saveexec_b32 s21, vcc_lo
	s_cbranch_execz .LBB170_791
; %bb.790:                              ;   in Loop: Header=BB170_552 Depth=1
	v_cmp_gt_i32_e64 s0, s33, v57
	v_cndmask_b32_e64 v86, 0, v86, s0
	v_cmp_gt_i32_e64 s0, s33, v62
	v_cndmask_b32_e64 v85, 0, v85, s0
	;; [unrolled: 2-line block ×4, first 2 shown]
.LBB170_791:                            ;   in Loop: Header=BB170_552 Depth=1
	s_or_b32 exec_lo, exec_lo, s21
	global_load_dword v0, v[15:16], off offset:896
	v_mov_b32_e32 v19, 0
	v_mov_b32_e32 v17, 0
	;; [unrolled: 1-line block ×4, first 2 shown]
	s_waitcnt vmcnt(0)
	v_cmp_ne_u16_sdwa s0, v0, v6 src0_sel:BYTE_0 src1_sel:DWORD
	s_and_saveexec_b32 s21, s0
	s_cbranch_execz .LBB170_799
; %bb.792:                              ;   in Loop: Header=BB170_552 Depth=1
	v_bfrev_b32_e32 v17, 1
	v_mov_b32_e32 v18, 0
	v_cmp_ne_u16_sdwa s0, v0, v45 src0_sel:BYTE_0 src1_sel:DWORD
	s_and_saveexec_b32 s22, s0
	s_cbranch_execz .LBB170_798
; %bb.793:                              ;   in Loop: Header=BB170_552 Depth=1
	v_mov_b32_e32 v17, 0x7f800001
	v_and_b32_e32 v9, 0x7f, v0
	v_mov_b32_e32 v18, 0
	s_mov_b32 s26, exec_lo
	v_cmpx_ne_u32_e32 0x7f, v9
	s_cbranch_execz .LBB170_797
; %bb.794:                              ;   in Loop: Header=BB170_552 Depth=1
	v_and_b32_e32 v5, 7, v0
	v_lshrrev_b32_e32 v7, 3, v9
	s_mov_b32 s27, exec_lo
	v_cmpx_gt_u32_e32 8, v9
; %bb.795:                              ;   in Loop: Header=BB170_552 Depth=1
	v_ffbh_u32_e32 v7, v5
	v_min_u32_e32 v7, 32, v7
	v_subrev_nc_u32_e32 v9, 28, v7
	v_sub_nc_u32_e32 v7, 29, v7
	v_lshlrev_b64 v[17:18], v9, v[5:6]
	v_and_b32_e32 v5, 7, v17
; %bb.796:                              ;   in Loop: Header=BB170_552 Depth=1
	s_or_b32 exec_lo, exec_lo, s27
	v_lshlrev_b32_e32 v9, 24, v0
	v_lshlrev_b32_e32 v5, 20, v5
	v_lshl_add_u32 v7, v7, 23, 0x3c000000
	v_and_b32_e32 v9, 0x80000000, v9
	v_or3_b32 v5, v5, v9, v7
	v_mov_b32_e32 v18, v6
	v_mov_b32_e32 v17, v5
.LBB170_797:                            ;   in Loop: Header=BB170_552 Depth=1
	s_or_b32 exec_lo, exec_lo, s26
.LBB170_798:                            ;   in Loop: Header=BB170_552 Depth=1
	s_or_b32 exec_lo, exec_lo, s22
.LBB170_799:                            ;   in Loop: Header=BB170_552 Depth=1
	s_or_b32 exec_lo, exec_lo, s21
	v_cmp_ne_u16_sdwa s0, v0, v6 src0_sel:BYTE_1 src1_sel:DWORD
	s_and_saveexec_b32 s21, s0
	s_cbranch_execz .LBB170_807
; %bb.800:                              ;   in Loop: Header=BB170_552 Depth=1
	v_mov_b32_e32 v7, v6
	v_mov_b32_e32 v20, v8
	v_cmp_ne_u16_sdwa s0, v0, v45 src0_sel:BYTE_1 src1_sel:DWORD
	v_mov_b32_e32 v19, v7
	s_and_saveexec_b32 s22, s0
	s_cbranch_execz .LBB170_806
; %bb.801:                              ;   in Loop: Header=BB170_552 Depth=1
	v_and_b32_sdwa v5, v46, v0 dst_sel:DWORD dst_unused:UNUSED_PAD src0_sel:DWORD src1_sel:BYTE_1
	v_mov_b32_e32 v9, v6
	v_mov_b32_e32 v20, v10
	s_mov_b32 s26, exec_lo
	v_and_b32_e32 v21, 0x7f, v5
	v_mov_b32_e32 v19, v9
	v_cmpx_ne_u32_e32 0x7f, v21
	s_cbranch_execz .LBB170_805
; %bb.802:                              ;   in Loop: Header=BB170_552 Depth=1
	v_and_b32_e32 v5, 7, v5
	v_lshrrev_b32_e32 v7, 3, v21
	s_mov_b32 s27, exec_lo
	v_cmpx_gt_u32_e32 8, v21
; %bb.803:                              ;   in Loop: Header=BB170_552 Depth=1
	v_ffbh_u32_e32 v7, v5
	v_min_u32_e32 v7, 32, v7
	v_subrev_nc_u32_e32 v9, 28, v7
	v_sub_nc_u32_e32 v7, 29, v7
	v_lshlrev_b64 v[19:20], v9, v[5:6]
	v_and_b32_e32 v5, 7, v19
; %bb.804:                              ;   in Loop: Header=BB170_552 Depth=1
	s_or_b32 exec_lo, exec_lo, s27
	v_lshlrev_b32_e32 v9, 16, v0
	v_lshlrev_b32_e32 v5, 20, v5
	v_lshl_add_u32 v7, v7, 23, 0x3c000000
	v_mov_b32_e32 v19, v6
	v_and_b32_e32 v9, 0x80000000, v9
	v_or3_b32 v20, v5, v9, v7
.LBB170_805:                            ;   in Loop: Header=BB170_552 Depth=1
	s_or_b32 exec_lo, exec_lo, s26
.LBB170_806:                            ;   in Loop: Header=BB170_552 Depth=1
	s_or_b32 exec_lo, exec_lo, s22
.LBB170_807:                            ;   in Loop: Header=BB170_552 Depth=1
	s_or_b32 exec_lo, exec_lo, s21
	v_mov_b32_e32 v23, 0
	v_mov_b32_e32 v21, 0
	v_and_b32_sdwa v5, v0, v47 dst_sel:DWORD dst_unused:UNUSED_PAD src0_sel:WORD_1 src1_sel:DWORD
	v_mov_b32_e32 v24, 0
	v_mov_b32_e32 v22, 0
	s_mov_b32 s21, exec_lo
	v_cmpx_ne_u16_e32 0, v5
	s_cbranch_execz .LBB170_815
; %bb.808:                              ;   in Loop: Header=BB170_552 Depth=1
	v_bfrev_b32_e32 v21, 1
	v_mov_b32_e32 v22, 0
	s_mov_b32 s22, exec_lo
	v_cmpx_ne_u16_e32 0x80, v5
	s_cbranch_execz .LBB170_814
; %bb.809:                              ;   in Loop: Header=BB170_552 Depth=1
	v_mov_b32_e32 v21, 0x7f800001
	v_bfe_u32 v9, v0, 16, 7
	v_mov_b32_e32 v22, 0
	s_mov_b32 s26, exec_lo
	v_cmpx_ne_u32_e32 0x7f, v9
	s_cbranch_execz .LBB170_813
; %bb.810:                              ;   in Loop: Header=BB170_552 Depth=1
	v_and_b32_sdwa v5, v0, v48 dst_sel:DWORD dst_unused:UNUSED_PAD src0_sel:WORD_1 src1_sel:DWORD
	v_lshrrev_b32_e32 v7, 3, v9
	s_mov_b32 s27, exec_lo
	v_cmpx_gt_u32_e32 8, v9
; %bb.811:                              ;   in Loop: Header=BB170_552 Depth=1
	v_ffbh_u32_e32 v7, v5
	v_min_u32_e32 v7, 32, v7
	v_subrev_nc_u32_e32 v9, 28, v7
	v_sub_nc_u32_e32 v7, 29, v7
	v_lshlrev_b64 v[21:22], v9, v[5:6]
	v_and_b32_e32 v5, 7, v21
; %bb.812:                              ;   in Loop: Header=BB170_552 Depth=1
	s_or_b32 exec_lo, exec_lo, s27
	v_lshlrev_b32_sdwa v9, v49, v0 dst_sel:DWORD dst_unused:UNUSED_PAD src0_sel:DWORD src1_sel:WORD_1
	v_lshlrev_b32_e32 v5, 20, v5
	v_lshl_add_u32 v7, v7, 23, 0x3c000000
	v_and_b32_e32 v9, 0x80000000, v9
	v_or3_b32 v5, v5, v9, v7
	v_mov_b32_e32 v22, v6
	v_mov_b32_e32 v21, v5
.LBB170_813:                            ;   in Loop: Header=BB170_552 Depth=1
	s_or_b32 exec_lo, exec_lo, s26
.LBB170_814:                            ;   in Loop: Header=BB170_552 Depth=1
	s_or_b32 exec_lo, exec_lo, s22
.LBB170_815:                            ;   in Loop: Header=BB170_552 Depth=1
	s_or_b32 exec_lo, exec_lo, s21
	s_mov_b32 s21, exec_lo
	v_cmpx_lt_u32_e32 0xffffff, v0
	s_cbranch_execz .LBB170_823
; %bb.816:                              ;   in Loop: Header=BB170_552 Depth=1
	v_mov_b32_e32 v7, v6
	v_mov_b32_e32 v24, v8
	v_cmp_ne_u32_sdwa s0, v0, v45 src0_sel:BYTE_3 src1_sel:DWORD
	v_mov_b32_e32 v23, v7
	s_and_saveexec_b32 s22, s0
	s_cbranch_execz .LBB170_822
; %bb.817:                              ;   in Loop: Header=BB170_552 Depth=1
	v_mov_b32_e32 v9, v6
	v_mov_b32_e32 v24, v10
	v_bfe_u32 v59, v0, 24, 7
	s_mov_b32 s26, exec_lo
	v_mov_b32_e32 v23, v9
	v_cmpx_ne_u32_e32 0x7f, v59
	s_cbranch_execz .LBB170_821
; %bb.818:                              ;   in Loop: Header=BB170_552 Depth=1
	v_and_b32_sdwa v5, v0, v48 dst_sel:DWORD dst_unused:UNUSED_PAD src0_sel:BYTE_3 src1_sel:DWORD
	v_lshrrev_b32_e32 v7, 3, v59
	s_mov_b32 s27, exec_lo
	v_cmpx_gt_u32_e32 8, v59
; %bb.819:                              ;   in Loop: Header=BB170_552 Depth=1
	v_ffbh_u32_e32 v7, v5
	v_min_u32_e32 v7, 32, v7
	v_subrev_nc_u32_e32 v9, 28, v7
	v_sub_nc_u32_e32 v7, 29, v7
	v_lshlrev_b64 v[23:24], v9, v[5:6]
	v_and_b32_e32 v5, 7, v23
; %bb.820:                              ;   in Loop: Header=BB170_552 Depth=1
	s_or_b32 exec_lo, exec_lo, s27
	v_lshlrev_b32_sdwa v0, v49, v0 dst_sel:DWORD dst_unused:UNUSED_PAD src0_sel:DWORD src1_sel:BYTE_3
	v_lshlrev_b32_e32 v5, 20, v5
	v_lshl_add_u32 v7, v7, 23, 0x3c000000
	v_mov_b32_e32 v23, v6
	v_and_b32_e32 v0, 0x80000000, v0
	v_or3_b32 v24, v5, v0, v7
.LBB170_821:                            ;   in Loop: Header=BB170_552 Depth=1
	s_or_b32 exec_lo, exec_lo, s26
.LBB170_822:                            ;   in Loop: Header=BB170_552 Depth=1
	s_or_b32 exec_lo, exec_lo, s22
.LBB170_823:                            ;   in Loop: Header=BB170_552 Depth=1
	s_or_b32 exec_lo, exec_lo, s21
	v_or_b32_e32 v0, v20, v18
	v_or_b32_e32 v5, v19, v17
	;; [unrolled: 1-line block ×4, first 2 shown]
	v_mul_f32_e32 v89, s18, v0
	v_mul_f32_e32 v90, s17, v5
	;; [unrolled: 1-line block ×4, first 2 shown]
	s_and_saveexec_b32 s21, vcc_lo
	s_cbranch_execz .LBB170_825
; %bb.824:                              ;   in Loop: Header=BB170_552 Depth=1
	v_cmp_gt_i32_e64 s0, s33, v57
	v_cndmask_b32_e64 v90, 0, v90, s0
	v_cmp_gt_i32_e64 s0, s33, v62
	v_cndmask_b32_e64 v89, 0, v89, s0
	;; [unrolled: 2-line block ×4, first 2 shown]
.LBB170_825:                            ;   in Loop: Header=BB170_552 Depth=1
	s_or_b32 exec_lo, exec_lo, s21
	global_load_dword v0, v[15:16], off offset:1024
	v_mov_b32_e32 v19, 0
	v_mov_b32_e32 v17, 0
	;; [unrolled: 1-line block ×4, first 2 shown]
	s_waitcnt vmcnt(0)
	v_cmp_ne_u16_sdwa s0, v0, v6 src0_sel:BYTE_0 src1_sel:DWORD
	s_and_saveexec_b32 s21, s0
	s_cbranch_execz .LBB170_833
; %bb.826:                              ;   in Loop: Header=BB170_552 Depth=1
	v_bfrev_b32_e32 v17, 1
	v_mov_b32_e32 v18, 0
	v_cmp_ne_u16_sdwa s0, v0, v45 src0_sel:BYTE_0 src1_sel:DWORD
	s_and_saveexec_b32 s22, s0
	s_cbranch_execz .LBB170_832
; %bb.827:                              ;   in Loop: Header=BB170_552 Depth=1
	v_mov_b32_e32 v17, 0x7f800001
	v_and_b32_e32 v9, 0x7f, v0
	v_mov_b32_e32 v18, 0
	s_mov_b32 s26, exec_lo
	v_cmpx_ne_u32_e32 0x7f, v9
	s_cbranch_execz .LBB170_831
; %bb.828:                              ;   in Loop: Header=BB170_552 Depth=1
	v_and_b32_e32 v5, 7, v0
	v_lshrrev_b32_e32 v7, 3, v9
	s_mov_b32 s27, exec_lo
	v_cmpx_gt_u32_e32 8, v9
; %bb.829:                              ;   in Loop: Header=BB170_552 Depth=1
	v_ffbh_u32_e32 v7, v5
	v_min_u32_e32 v7, 32, v7
	v_subrev_nc_u32_e32 v9, 28, v7
	v_sub_nc_u32_e32 v7, 29, v7
	v_lshlrev_b64 v[17:18], v9, v[5:6]
	v_and_b32_e32 v5, 7, v17
; %bb.830:                              ;   in Loop: Header=BB170_552 Depth=1
	s_or_b32 exec_lo, exec_lo, s27
	v_lshlrev_b32_e32 v9, 24, v0
	v_lshlrev_b32_e32 v5, 20, v5
	v_lshl_add_u32 v7, v7, 23, 0x3c000000
	v_and_b32_e32 v9, 0x80000000, v9
	v_or3_b32 v5, v5, v9, v7
	v_mov_b32_e32 v18, v6
	v_mov_b32_e32 v17, v5
.LBB170_831:                            ;   in Loop: Header=BB170_552 Depth=1
	s_or_b32 exec_lo, exec_lo, s26
.LBB170_832:                            ;   in Loop: Header=BB170_552 Depth=1
	s_or_b32 exec_lo, exec_lo, s22
.LBB170_833:                            ;   in Loop: Header=BB170_552 Depth=1
	s_or_b32 exec_lo, exec_lo, s21
	v_cmp_ne_u16_sdwa s0, v0, v6 src0_sel:BYTE_1 src1_sel:DWORD
	s_and_saveexec_b32 s21, s0
	s_cbranch_execz .LBB170_841
; %bb.834:                              ;   in Loop: Header=BB170_552 Depth=1
	v_mov_b32_e32 v7, v6
	v_mov_b32_e32 v20, v8
	v_cmp_ne_u16_sdwa s0, v0, v45 src0_sel:BYTE_1 src1_sel:DWORD
	v_mov_b32_e32 v19, v7
	s_and_saveexec_b32 s22, s0
	s_cbranch_execz .LBB170_840
; %bb.835:                              ;   in Loop: Header=BB170_552 Depth=1
	v_and_b32_sdwa v5, v46, v0 dst_sel:DWORD dst_unused:UNUSED_PAD src0_sel:DWORD src1_sel:BYTE_1
	v_mov_b32_e32 v9, v6
	v_mov_b32_e32 v20, v10
	s_mov_b32 s26, exec_lo
	v_and_b32_e32 v21, 0x7f, v5
	v_mov_b32_e32 v19, v9
	v_cmpx_ne_u32_e32 0x7f, v21
	s_cbranch_execz .LBB170_839
; %bb.836:                              ;   in Loop: Header=BB170_552 Depth=1
	v_and_b32_e32 v5, 7, v5
	v_lshrrev_b32_e32 v7, 3, v21
	s_mov_b32 s27, exec_lo
	v_cmpx_gt_u32_e32 8, v21
; %bb.837:                              ;   in Loop: Header=BB170_552 Depth=1
	v_ffbh_u32_e32 v7, v5
	v_min_u32_e32 v7, 32, v7
	v_subrev_nc_u32_e32 v9, 28, v7
	v_sub_nc_u32_e32 v7, 29, v7
	v_lshlrev_b64 v[19:20], v9, v[5:6]
	v_and_b32_e32 v5, 7, v19
; %bb.838:                              ;   in Loop: Header=BB170_552 Depth=1
	s_or_b32 exec_lo, exec_lo, s27
	v_lshlrev_b32_e32 v9, 16, v0
	v_lshlrev_b32_e32 v5, 20, v5
	v_lshl_add_u32 v7, v7, 23, 0x3c000000
	v_mov_b32_e32 v19, v6
	v_and_b32_e32 v9, 0x80000000, v9
	v_or3_b32 v20, v5, v9, v7
.LBB170_839:                            ;   in Loop: Header=BB170_552 Depth=1
	s_or_b32 exec_lo, exec_lo, s26
.LBB170_840:                            ;   in Loop: Header=BB170_552 Depth=1
	s_or_b32 exec_lo, exec_lo, s22
.LBB170_841:                            ;   in Loop: Header=BB170_552 Depth=1
	s_or_b32 exec_lo, exec_lo, s21
	v_mov_b32_e32 v23, 0
	v_mov_b32_e32 v21, 0
	v_and_b32_sdwa v5, v0, v47 dst_sel:DWORD dst_unused:UNUSED_PAD src0_sel:WORD_1 src1_sel:DWORD
	v_mov_b32_e32 v24, 0
	v_mov_b32_e32 v22, 0
	s_mov_b32 s21, exec_lo
	v_cmpx_ne_u16_e32 0, v5
	s_cbranch_execz .LBB170_849
; %bb.842:                              ;   in Loop: Header=BB170_552 Depth=1
	v_bfrev_b32_e32 v21, 1
	v_mov_b32_e32 v22, 0
	s_mov_b32 s22, exec_lo
	v_cmpx_ne_u16_e32 0x80, v5
	s_cbranch_execz .LBB170_848
; %bb.843:                              ;   in Loop: Header=BB170_552 Depth=1
	v_mov_b32_e32 v21, 0x7f800001
	v_bfe_u32 v9, v0, 16, 7
	v_mov_b32_e32 v22, 0
	s_mov_b32 s26, exec_lo
	v_cmpx_ne_u32_e32 0x7f, v9
	s_cbranch_execz .LBB170_847
; %bb.844:                              ;   in Loop: Header=BB170_552 Depth=1
	v_and_b32_sdwa v5, v0, v48 dst_sel:DWORD dst_unused:UNUSED_PAD src0_sel:WORD_1 src1_sel:DWORD
	v_lshrrev_b32_e32 v7, 3, v9
	s_mov_b32 s27, exec_lo
	v_cmpx_gt_u32_e32 8, v9
; %bb.845:                              ;   in Loop: Header=BB170_552 Depth=1
	v_ffbh_u32_e32 v7, v5
	v_min_u32_e32 v7, 32, v7
	v_subrev_nc_u32_e32 v9, 28, v7
	v_sub_nc_u32_e32 v7, 29, v7
	v_lshlrev_b64 v[21:22], v9, v[5:6]
	v_and_b32_e32 v5, 7, v21
; %bb.846:                              ;   in Loop: Header=BB170_552 Depth=1
	s_or_b32 exec_lo, exec_lo, s27
	v_lshlrev_b32_sdwa v9, v49, v0 dst_sel:DWORD dst_unused:UNUSED_PAD src0_sel:DWORD src1_sel:WORD_1
	v_lshlrev_b32_e32 v5, 20, v5
	v_lshl_add_u32 v7, v7, 23, 0x3c000000
	v_and_b32_e32 v9, 0x80000000, v9
	v_or3_b32 v5, v5, v9, v7
	v_mov_b32_e32 v22, v6
	v_mov_b32_e32 v21, v5
.LBB170_847:                            ;   in Loop: Header=BB170_552 Depth=1
	s_or_b32 exec_lo, exec_lo, s26
.LBB170_848:                            ;   in Loop: Header=BB170_552 Depth=1
	s_or_b32 exec_lo, exec_lo, s22
.LBB170_849:                            ;   in Loop: Header=BB170_552 Depth=1
	s_or_b32 exec_lo, exec_lo, s21
	s_mov_b32 s21, exec_lo
	v_cmpx_lt_u32_e32 0xffffff, v0
	s_cbranch_execz .LBB170_857
; %bb.850:                              ;   in Loop: Header=BB170_552 Depth=1
	v_mov_b32_e32 v7, v6
	v_mov_b32_e32 v24, v8
	v_cmp_ne_u32_sdwa s0, v0, v45 src0_sel:BYTE_3 src1_sel:DWORD
	v_mov_b32_e32 v23, v7
	s_and_saveexec_b32 s22, s0
	s_cbranch_execz .LBB170_856
; %bb.851:                              ;   in Loop: Header=BB170_552 Depth=1
	v_mov_b32_e32 v9, v6
	v_mov_b32_e32 v24, v10
	v_bfe_u32 v59, v0, 24, 7
	s_mov_b32 s26, exec_lo
	v_mov_b32_e32 v23, v9
	v_cmpx_ne_u32_e32 0x7f, v59
	s_cbranch_execz .LBB170_855
; %bb.852:                              ;   in Loop: Header=BB170_552 Depth=1
	v_and_b32_sdwa v5, v0, v48 dst_sel:DWORD dst_unused:UNUSED_PAD src0_sel:BYTE_3 src1_sel:DWORD
	v_lshrrev_b32_e32 v7, 3, v59
	s_mov_b32 s27, exec_lo
	v_cmpx_gt_u32_e32 8, v59
; %bb.853:                              ;   in Loop: Header=BB170_552 Depth=1
	v_ffbh_u32_e32 v7, v5
	v_min_u32_e32 v7, 32, v7
	v_subrev_nc_u32_e32 v9, 28, v7
	v_sub_nc_u32_e32 v7, 29, v7
	v_lshlrev_b64 v[23:24], v9, v[5:6]
	v_and_b32_e32 v5, 7, v23
; %bb.854:                              ;   in Loop: Header=BB170_552 Depth=1
	s_or_b32 exec_lo, exec_lo, s27
	v_lshlrev_b32_sdwa v0, v49, v0 dst_sel:DWORD dst_unused:UNUSED_PAD src0_sel:DWORD src1_sel:BYTE_3
	v_lshlrev_b32_e32 v5, 20, v5
	v_lshl_add_u32 v7, v7, 23, 0x3c000000
	v_mov_b32_e32 v23, v6
	v_and_b32_e32 v0, 0x80000000, v0
	v_or3_b32 v24, v5, v0, v7
.LBB170_855:                            ;   in Loop: Header=BB170_552 Depth=1
	s_or_b32 exec_lo, exec_lo, s26
.LBB170_856:                            ;   in Loop: Header=BB170_552 Depth=1
	s_or_b32 exec_lo, exec_lo, s22
.LBB170_857:                            ;   in Loop: Header=BB170_552 Depth=1
	s_or_b32 exec_lo, exec_lo, s21
	v_or_b32_e32 v0, v20, v18
	v_or_b32_e32 v5, v19, v17
	;; [unrolled: 1-line block ×4, first 2 shown]
	v_mul_f32_e32 v93, s18, v0
	v_mul_f32_e32 v94, s17, v5
	;; [unrolled: 1-line block ×4, first 2 shown]
	s_and_saveexec_b32 s21, vcc_lo
	s_cbranch_execz .LBB170_859
; %bb.858:                              ;   in Loop: Header=BB170_552 Depth=1
	v_cmp_gt_i32_e64 s0, s33, v57
	v_cndmask_b32_e64 v94, 0, v94, s0
	v_cmp_gt_i32_e64 s0, s33, v62
	v_cndmask_b32_e64 v93, 0, v93, s0
	;; [unrolled: 2-line block ×4, first 2 shown]
.LBB170_859:                            ;   in Loop: Header=BB170_552 Depth=1
	s_or_b32 exec_lo, exec_lo, s21
	global_load_dword v0, v[15:16], off offset:1152
	v_mov_b32_e32 v19, 0
	v_mov_b32_e32 v17, 0
	v_mov_b32_e32 v20, 0
	v_mov_b32_e32 v18, 0
	s_waitcnt vmcnt(0)
	v_cmp_ne_u16_sdwa s0, v0, v6 src0_sel:BYTE_0 src1_sel:DWORD
	s_and_saveexec_b32 s21, s0
	s_cbranch_execz .LBB170_867
; %bb.860:                              ;   in Loop: Header=BB170_552 Depth=1
	v_bfrev_b32_e32 v17, 1
	v_mov_b32_e32 v18, 0
	v_cmp_ne_u16_sdwa s0, v0, v45 src0_sel:BYTE_0 src1_sel:DWORD
	s_and_saveexec_b32 s22, s0
	s_cbranch_execz .LBB170_866
; %bb.861:                              ;   in Loop: Header=BB170_552 Depth=1
	v_mov_b32_e32 v17, 0x7f800001
	v_and_b32_e32 v9, 0x7f, v0
	v_mov_b32_e32 v18, 0
	s_mov_b32 s26, exec_lo
	v_cmpx_ne_u32_e32 0x7f, v9
	s_cbranch_execz .LBB170_865
; %bb.862:                              ;   in Loop: Header=BB170_552 Depth=1
	v_and_b32_e32 v5, 7, v0
	v_lshrrev_b32_e32 v7, 3, v9
	s_mov_b32 s27, exec_lo
	v_cmpx_gt_u32_e32 8, v9
; %bb.863:                              ;   in Loop: Header=BB170_552 Depth=1
	v_ffbh_u32_e32 v7, v5
	v_min_u32_e32 v7, 32, v7
	v_subrev_nc_u32_e32 v9, 28, v7
	v_sub_nc_u32_e32 v7, 29, v7
	v_lshlrev_b64 v[17:18], v9, v[5:6]
	v_and_b32_e32 v5, 7, v17
; %bb.864:                              ;   in Loop: Header=BB170_552 Depth=1
	s_or_b32 exec_lo, exec_lo, s27
	v_lshlrev_b32_e32 v9, 24, v0
	v_lshlrev_b32_e32 v5, 20, v5
	v_lshl_add_u32 v7, v7, 23, 0x3c000000
	v_and_b32_e32 v9, 0x80000000, v9
	v_or3_b32 v5, v5, v9, v7
	v_mov_b32_e32 v18, v6
	v_mov_b32_e32 v17, v5
.LBB170_865:                            ;   in Loop: Header=BB170_552 Depth=1
	s_or_b32 exec_lo, exec_lo, s26
.LBB170_866:                            ;   in Loop: Header=BB170_552 Depth=1
	s_or_b32 exec_lo, exec_lo, s22
.LBB170_867:                            ;   in Loop: Header=BB170_552 Depth=1
	s_or_b32 exec_lo, exec_lo, s21
	v_cmp_ne_u16_sdwa s0, v0, v6 src0_sel:BYTE_1 src1_sel:DWORD
	s_and_saveexec_b32 s21, s0
	s_cbranch_execz .LBB170_875
; %bb.868:                              ;   in Loop: Header=BB170_552 Depth=1
	v_mov_b32_e32 v7, v6
	v_mov_b32_e32 v20, v8
	v_cmp_ne_u16_sdwa s0, v0, v45 src0_sel:BYTE_1 src1_sel:DWORD
	v_mov_b32_e32 v19, v7
	s_and_saveexec_b32 s22, s0
	s_cbranch_execz .LBB170_874
; %bb.869:                              ;   in Loop: Header=BB170_552 Depth=1
	v_and_b32_sdwa v5, v46, v0 dst_sel:DWORD dst_unused:UNUSED_PAD src0_sel:DWORD src1_sel:BYTE_1
	v_mov_b32_e32 v9, v6
	v_mov_b32_e32 v20, v10
	s_mov_b32 s26, exec_lo
	v_and_b32_e32 v21, 0x7f, v5
	v_mov_b32_e32 v19, v9
	v_cmpx_ne_u32_e32 0x7f, v21
	s_cbranch_execz .LBB170_873
; %bb.870:                              ;   in Loop: Header=BB170_552 Depth=1
	v_and_b32_e32 v5, 7, v5
	v_lshrrev_b32_e32 v7, 3, v21
	s_mov_b32 s27, exec_lo
	v_cmpx_gt_u32_e32 8, v21
; %bb.871:                              ;   in Loop: Header=BB170_552 Depth=1
	v_ffbh_u32_e32 v7, v5
	v_min_u32_e32 v7, 32, v7
	v_subrev_nc_u32_e32 v9, 28, v7
	v_sub_nc_u32_e32 v7, 29, v7
	v_lshlrev_b64 v[19:20], v9, v[5:6]
	v_and_b32_e32 v5, 7, v19
; %bb.872:                              ;   in Loop: Header=BB170_552 Depth=1
	s_or_b32 exec_lo, exec_lo, s27
	v_lshlrev_b32_e32 v9, 16, v0
	v_lshlrev_b32_e32 v5, 20, v5
	v_lshl_add_u32 v7, v7, 23, 0x3c000000
	v_mov_b32_e32 v19, v6
	v_and_b32_e32 v9, 0x80000000, v9
	v_or3_b32 v20, v5, v9, v7
.LBB170_873:                            ;   in Loop: Header=BB170_552 Depth=1
	s_or_b32 exec_lo, exec_lo, s26
.LBB170_874:                            ;   in Loop: Header=BB170_552 Depth=1
	s_or_b32 exec_lo, exec_lo, s22
.LBB170_875:                            ;   in Loop: Header=BB170_552 Depth=1
	s_or_b32 exec_lo, exec_lo, s21
	v_mov_b32_e32 v23, 0
	v_mov_b32_e32 v21, 0
	v_and_b32_sdwa v5, v0, v47 dst_sel:DWORD dst_unused:UNUSED_PAD src0_sel:WORD_1 src1_sel:DWORD
	v_mov_b32_e32 v24, 0
	v_mov_b32_e32 v22, 0
	s_mov_b32 s21, exec_lo
	v_cmpx_ne_u16_e32 0, v5
	s_cbranch_execz .LBB170_883
; %bb.876:                              ;   in Loop: Header=BB170_552 Depth=1
	v_bfrev_b32_e32 v21, 1
	v_mov_b32_e32 v22, 0
	s_mov_b32 s22, exec_lo
	v_cmpx_ne_u16_e32 0x80, v5
	s_cbranch_execz .LBB170_882
; %bb.877:                              ;   in Loop: Header=BB170_552 Depth=1
	v_mov_b32_e32 v21, 0x7f800001
	v_bfe_u32 v9, v0, 16, 7
	v_mov_b32_e32 v22, 0
	s_mov_b32 s26, exec_lo
	v_cmpx_ne_u32_e32 0x7f, v9
	s_cbranch_execz .LBB170_881
; %bb.878:                              ;   in Loop: Header=BB170_552 Depth=1
	v_and_b32_sdwa v5, v0, v48 dst_sel:DWORD dst_unused:UNUSED_PAD src0_sel:WORD_1 src1_sel:DWORD
	v_lshrrev_b32_e32 v7, 3, v9
	s_mov_b32 s27, exec_lo
	v_cmpx_gt_u32_e32 8, v9
; %bb.879:                              ;   in Loop: Header=BB170_552 Depth=1
	v_ffbh_u32_e32 v7, v5
	v_min_u32_e32 v7, 32, v7
	v_subrev_nc_u32_e32 v9, 28, v7
	v_sub_nc_u32_e32 v7, 29, v7
	v_lshlrev_b64 v[21:22], v9, v[5:6]
	v_and_b32_e32 v5, 7, v21
; %bb.880:                              ;   in Loop: Header=BB170_552 Depth=1
	s_or_b32 exec_lo, exec_lo, s27
	v_lshlrev_b32_sdwa v9, v49, v0 dst_sel:DWORD dst_unused:UNUSED_PAD src0_sel:DWORD src1_sel:WORD_1
	v_lshlrev_b32_e32 v5, 20, v5
	v_lshl_add_u32 v7, v7, 23, 0x3c000000
	v_and_b32_e32 v9, 0x80000000, v9
	v_or3_b32 v5, v5, v9, v7
	v_mov_b32_e32 v22, v6
	v_mov_b32_e32 v21, v5
.LBB170_881:                            ;   in Loop: Header=BB170_552 Depth=1
	s_or_b32 exec_lo, exec_lo, s26
.LBB170_882:                            ;   in Loop: Header=BB170_552 Depth=1
	s_or_b32 exec_lo, exec_lo, s22
.LBB170_883:                            ;   in Loop: Header=BB170_552 Depth=1
	s_or_b32 exec_lo, exec_lo, s21
	s_mov_b32 s21, exec_lo
	v_cmpx_lt_u32_e32 0xffffff, v0
	s_cbranch_execz .LBB170_891
; %bb.884:                              ;   in Loop: Header=BB170_552 Depth=1
	v_mov_b32_e32 v7, v6
	v_mov_b32_e32 v24, v8
	v_cmp_ne_u32_sdwa s0, v0, v45 src0_sel:BYTE_3 src1_sel:DWORD
	v_mov_b32_e32 v23, v7
	s_and_saveexec_b32 s22, s0
	s_cbranch_execz .LBB170_890
; %bb.885:                              ;   in Loop: Header=BB170_552 Depth=1
	v_mov_b32_e32 v9, v6
	v_mov_b32_e32 v24, v10
	v_bfe_u32 v59, v0, 24, 7
	s_mov_b32 s26, exec_lo
	v_mov_b32_e32 v23, v9
	v_cmpx_ne_u32_e32 0x7f, v59
	s_cbranch_execz .LBB170_889
; %bb.886:                              ;   in Loop: Header=BB170_552 Depth=1
	v_and_b32_sdwa v5, v0, v48 dst_sel:DWORD dst_unused:UNUSED_PAD src0_sel:BYTE_3 src1_sel:DWORD
	v_lshrrev_b32_e32 v7, 3, v59
	s_mov_b32 s27, exec_lo
	v_cmpx_gt_u32_e32 8, v59
; %bb.887:                              ;   in Loop: Header=BB170_552 Depth=1
	v_ffbh_u32_e32 v7, v5
	v_min_u32_e32 v7, 32, v7
	v_subrev_nc_u32_e32 v9, 28, v7
	v_sub_nc_u32_e32 v7, 29, v7
	v_lshlrev_b64 v[23:24], v9, v[5:6]
	v_and_b32_e32 v5, 7, v23
; %bb.888:                              ;   in Loop: Header=BB170_552 Depth=1
	s_or_b32 exec_lo, exec_lo, s27
	v_lshlrev_b32_sdwa v0, v49, v0 dst_sel:DWORD dst_unused:UNUSED_PAD src0_sel:DWORD src1_sel:BYTE_3
	v_lshlrev_b32_e32 v5, 20, v5
	v_lshl_add_u32 v7, v7, 23, 0x3c000000
	v_mov_b32_e32 v23, v6
	v_and_b32_e32 v0, 0x80000000, v0
	v_or3_b32 v24, v5, v0, v7
.LBB170_889:                            ;   in Loop: Header=BB170_552 Depth=1
	s_or_b32 exec_lo, exec_lo, s26
.LBB170_890:                            ;   in Loop: Header=BB170_552 Depth=1
	s_or_b32 exec_lo, exec_lo, s22
.LBB170_891:                            ;   in Loop: Header=BB170_552 Depth=1
	s_or_b32 exec_lo, exec_lo, s21
	v_or_b32_e32 v0, v20, v18
	v_or_b32_e32 v5, v19, v17
	;; [unrolled: 1-line block ×4, first 2 shown]
	v_mul_f32_e32 v97, s18, v0
	v_mul_f32_e32 v98, s17, v5
	;; [unrolled: 1-line block ×4, first 2 shown]
	s_and_saveexec_b32 s21, vcc_lo
	s_cbranch_execz .LBB170_893
; %bb.892:                              ;   in Loop: Header=BB170_552 Depth=1
	v_cmp_gt_i32_e64 s0, s33, v57
	v_cndmask_b32_e64 v98, 0, v98, s0
	v_cmp_gt_i32_e64 s0, s33, v62
	v_cndmask_b32_e64 v97, 0, v97, s0
	;; [unrolled: 2-line block ×4, first 2 shown]
.LBB170_893:                            ;   in Loop: Header=BB170_552 Depth=1
	s_or_b32 exec_lo, exec_lo, s21
	global_load_dword v0, v[15:16], off offset:1280
	v_mov_b32_e32 v19, 0
	v_mov_b32_e32 v17, 0
	;; [unrolled: 1-line block ×4, first 2 shown]
	s_waitcnt vmcnt(0)
	v_cmp_ne_u16_sdwa s0, v0, v6 src0_sel:BYTE_0 src1_sel:DWORD
	s_and_saveexec_b32 s21, s0
	s_cbranch_execz .LBB170_901
; %bb.894:                              ;   in Loop: Header=BB170_552 Depth=1
	v_bfrev_b32_e32 v17, 1
	v_mov_b32_e32 v18, 0
	v_cmp_ne_u16_sdwa s0, v0, v45 src0_sel:BYTE_0 src1_sel:DWORD
	s_and_saveexec_b32 s22, s0
	s_cbranch_execz .LBB170_900
; %bb.895:                              ;   in Loop: Header=BB170_552 Depth=1
	v_mov_b32_e32 v17, 0x7f800001
	v_and_b32_e32 v9, 0x7f, v0
	v_mov_b32_e32 v18, 0
	s_mov_b32 s26, exec_lo
	v_cmpx_ne_u32_e32 0x7f, v9
	s_cbranch_execz .LBB170_899
; %bb.896:                              ;   in Loop: Header=BB170_552 Depth=1
	v_and_b32_e32 v5, 7, v0
	v_lshrrev_b32_e32 v7, 3, v9
	s_mov_b32 s27, exec_lo
	v_cmpx_gt_u32_e32 8, v9
; %bb.897:                              ;   in Loop: Header=BB170_552 Depth=1
	v_ffbh_u32_e32 v7, v5
	v_min_u32_e32 v7, 32, v7
	v_subrev_nc_u32_e32 v9, 28, v7
	v_sub_nc_u32_e32 v7, 29, v7
	v_lshlrev_b64 v[17:18], v9, v[5:6]
	v_and_b32_e32 v5, 7, v17
; %bb.898:                              ;   in Loop: Header=BB170_552 Depth=1
	s_or_b32 exec_lo, exec_lo, s27
	v_lshlrev_b32_e32 v9, 24, v0
	v_lshlrev_b32_e32 v5, 20, v5
	v_lshl_add_u32 v7, v7, 23, 0x3c000000
	v_and_b32_e32 v9, 0x80000000, v9
	v_or3_b32 v5, v5, v9, v7
	v_mov_b32_e32 v18, v6
	v_mov_b32_e32 v17, v5
.LBB170_899:                            ;   in Loop: Header=BB170_552 Depth=1
	s_or_b32 exec_lo, exec_lo, s26
.LBB170_900:                            ;   in Loop: Header=BB170_552 Depth=1
	s_or_b32 exec_lo, exec_lo, s22
.LBB170_901:                            ;   in Loop: Header=BB170_552 Depth=1
	s_or_b32 exec_lo, exec_lo, s21
	v_cmp_ne_u16_sdwa s0, v0, v6 src0_sel:BYTE_1 src1_sel:DWORD
	s_and_saveexec_b32 s21, s0
	s_cbranch_execz .LBB170_909
; %bb.902:                              ;   in Loop: Header=BB170_552 Depth=1
	v_mov_b32_e32 v7, v6
	v_mov_b32_e32 v20, v8
	v_cmp_ne_u16_sdwa s0, v0, v45 src0_sel:BYTE_1 src1_sel:DWORD
	v_mov_b32_e32 v19, v7
	s_and_saveexec_b32 s22, s0
	s_cbranch_execz .LBB170_908
; %bb.903:                              ;   in Loop: Header=BB170_552 Depth=1
	v_and_b32_sdwa v5, v46, v0 dst_sel:DWORD dst_unused:UNUSED_PAD src0_sel:DWORD src1_sel:BYTE_1
	v_mov_b32_e32 v9, v6
	v_mov_b32_e32 v20, v10
	s_mov_b32 s26, exec_lo
	v_and_b32_e32 v21, 0x7f, v5
	v_mov_b32_e32 v19, v9
	v_cmpx_ne_u32_e32 0x7f, v21
	s_cbranch_execz .LBB170_907
; %bb.904:                              ;   in Loop: Header=BB170_552 Depth=1
	v_and_b32_e32 v5, 7, v5
	v_lshrrev_b32_e32 v7, 3, v21
	s_mov_b32 s27, exec_lo
	v_cmpx_gt_u32_e32 8, v21
; %bb.905:                              ;   in Loop: Header=BB170_552 Depth=1
	v_ffbh_u32_e32 v7, v5
	v_min_u32_e32 v7, 32, v7
	v_subrev_nc_u32_e32 v9, 28, v7
	v_sub_nc_u32_e32 v7, 29, v7
	v_lshlrev_b64 v[19:20], v9, v[5:6]
	v_and_b32_e32 v5, 7, v19
; %bb.906:                              ;   in Loop: Header=BB170_552 Depth=1
	s_or_b32 exec_lo, exec_lo, s27
	v_lshlrev_b32_e32 v9, 16, v0
	v_lshlrev_b32_e32 v5, 20, v5
	v_lshl_add_u32 v7, v7, 23, 0x3c000000
	v_mov_b32_e32 v19, v6
	v_and_b32_e32 v9, 0x80000000, v9
	v_or3_b32 v20, v5, v9, v7
.LBB170_907:                            ;   in Loop: Header=BB170_552 Depth=1
	s_or_b32 exec_lo, exec_lo, s26
.LBB170_908:                            ;   in Loop: Header=BB170_552 Depth=1
	s_or_b32 exec_lo, exec_lo, s22
.LBB170_909:                            ;   in Loop: Header=BB170_552 Depth=1
	s_or_b32 exec_lo, exec_lo, s21
	v_mov_b32_e32 v23, 0
	v_mov_b32_e32 v21, 0
	v_and_b32_sdwa v5, v0, v47 dst_sel:DWORD dst_unused:UNUSED_PAD src0_sel:WORD_1 src1_sel:DWORD
	v_mov_b32_e32 v24, 0
	v_mov_b32_e32 v22, 0
	s_mov_b32 s21, exec_lo
	v_cmpx_ne_u16_e32 0, v5
	s_cbranch_execz .LBB170_917
; %bb.910:                              ;   in Loop: Header=BB170_552 Depth=1
	v_bfrev_b32_e32 v21, 1
	v_mov_b32_e32 v22, 0
	s_mov_b32 s22, exec_lo
	v_cmpx_ne_u16_e32 0x80, v5
	s_cbranch_execz .LBB170_916
; %bb.911:                              ;   in Loop: Header=BB170_552 Depth=1
	v_mov_b32_e32 v21, 0x7f800001
	v_bfe_u32 v9, v0, 16, 7
	v_mov_b32_e32 v22, 0
	s_mov_b32 s26, exec_lo
	v_cmpx_ne_u32_e32 0x7f, v9
	s_cbranch_execz .LBB170_915
; %bb.912:                              ;   in Loop: Header=BB170_552 Depth=1
	v_and_b32_sdwa v5, v0, v48 dst_sel:DWORD dst_unused:UNUSED_PAD src0_sel:WORD_1 src1_sel:DWORD
	v_lshrrev_b32_e32 v7, 3, v9
	s_mov_b32 s27, exec_lo
	v_cmpx_gt_u32_e32 8, v9
; %bb.913:                              ;   in Loop: Header=BB170_552 Depth=1
	v_ffbh_u32_e32 v7, v5
	v_min_u32_e32 v7, 32, v7
	v_subrev_nc_u32_e32 v9, 28, v7
	v_sub_nc_u32_e32 v7, 29, v7
	v_lshlrev_b64 v[21:22], v9, v[5:6]
	v_and_b32_e32 v5, 7, v21
; %bb.914:                              ;   in Loop: Header=BB170_552 Depth=1
	s_or_b32 exec_lo, exec_lo, s27
	v_lshlrev_b32_sdwa v9, v49, v0 dst_sel:DWORD dst_unused:UNUSED_PAD src0_sel:DWORD src1_sel:WORD_1
	v_lshlrev_b32_e32 v5, 20, v5
	v_lshl_add_u32 v7, v7, 23, 0x3c000000
	v_and_b32_e32 v9, 0x80000000, v9
	v_or3_b32 v5, v5, v9, v7
	v_mov_b32_e32 v22, v6
	v_mov_b32_e32 v21, v5
.LBB170_915:                            ;   in Loop: Header=BB170_552 Depth=1
	s_or_b32 exec_lo, exec_lo, s26
.LBB170_916:                            ;   in Loop: Header=BB170_552 Depth=1
	s_or_b32 exec_lo, exec_lo, s22
.LBB170_917:                            ;   in Loop: Header=BB170_552 Depth=1
	s_or_b32 exec_lo, exec_lo, s21
	s_mov_b32 s21, exec_lo
	v_cmpx_lt_u32_e32 0xffffff, v0
	s_cbranch_execz .LBB170_925
; %bb.918:                              ;   in Loop: Header=BB170_552 Depth=1
	v_mov_b32_e32 v7, v6
	v_mov_b32_e32 v24, v8
	v_cmp_ne_u32_sdwa s0, v0, v45 src0_sel:BYTE_3 src1_sel:DWORD
	v_mov_b32_e32 v23, v7
	s_and_saveexec_b32 s22, s0
	s_cbranch_execz .LBB170_924
; %bb.919:                              ;   in Loop: Header=BB170_552 Depth=1
	v_mov_b32_e32 v9, v6
	v_mov_b32_e32 v24, v10
	v_bfe_u32 v59, v0, 24, 7
	s_mov_b32 s26, exec_lo
	v_mov_b32_e32 v23, v9
	v_cmpx_ne_u32_e32 0x7f, v59
	s_cbranch_execz .LBB170_923
; %bb.920:                              ;   in Loop: Header=BB170_552 Depth=1
	v_and_b32_sdwa v5, v0, v48 dst_sel:DWORD dst_unused:UNUSED_PAD src0_sel:BYTE_3 src1_sel:DWORD
	v_lshrrev_b32_e32 v7, 3, v59
	s_mov_b32 s27, exec_lo
	v_cmpx_gt_u32_e32 8, v59
; %bb.921:                              ;   in Loop: Header=BB170_552 Depth=1
	v_ffbh_u32_e32 v7, v5
	v_min_u32_e32 v7, 32, v7
	v_subrev_nc_u32_e32 v9, 28, v7
	v_sub_nc_u32_e32 v7, 29, v7
	v_lshlrev_b64 v[23:24], v9, v[5:6]
	v_and_b32_e32 v5, 7, v23
; %bb.922:                              ;   in Loop: Header=BB170_552 Depth=1
	s_or_b32 exec_lo, exec_lo, s27
	v_lshlrev_b32_sdwa v0, v49, v0 dst_sel:DWORD dst_unused:UNUSED_PAD src0_sel:DWORD src1_sel:BYTE_3
	v_lshlrev_b32_e32 v5, 20, v5
	v_lshl_add_u32 v7, v7, 23, 0x3c000000
	v_mov_b32_e32 v23, v6
	v_and_b32_e32 v0, 0x80000000, v0
	v_or3_b32 v24, v5, v0, v7
.LBB170_923:                            ;   in Loop: Header=BB170_552 Depth=1
	s_or_b32 exec_lo, exec_lo, s26
.LBB170_924:                            ;   in Loop: Header=BB170_552 Depth=1
	s_or_b32 exec_lo, exec_lo, s22
.LBB170_925:                            ;   in Loop: Header=BB170_552 Depth=1
	s_or_b32 exec_lo, exec_lo, s21
	v_or_b32_e32 v0, v20, v18
	v_or_b32_e32 v5, v19, v17
	v_or_b32_e32 v7, v23, v21
	v_or_b32_e32 v9, v24, v22
	v_mul_f32_e32 v101, s18, v0
	v_mul_f32_e32 v102, s17, v5
	;; [unrolled: 1-line block ×4, first 2 shown]
	s_and_saveexec_b32 s21, vcc_lo
	s_cbranch_execz .LBB170_927
; %bb.926:                              ;   in Loop: Header=BB170_552 Depth=1
	v_cmp_gt_i32_e64 s0, s33, v57
	v_cndmask_b32_e64 v102, 0, v102, s0
	v_cmp_gt_i32_e64 s0, s33, v62
	v_cndmask_b32_e64 v101, 0, v101, s0
	;; [unrolled: 2-line block ×4, first 2 shown]
.LBB170_927:                            ;   in Loop: Header=BB170_552 Depth=1
	s_or_b32 exec_lo, exec_lo, s21
	global_load_dword v0, v[15:16], off offset:1408
	v_mov_b32_e32 v19, 0
	v_mov_b32_e32 v17, 0
	;; [unrolled: 1-line block ×4, first 2 shown]
	s_waitcnt vmcnt(0)
	v_cmp_ne_u16_sdwa s0, v0, v6 src0_sel:BYTE_0 src1_sel:DWORD
	s_and_saveexec_b32 s21, s0
	s_cbranch_execz .LBB170_935
; %bb.928:                              ;   in Loop: Header=BB170_552 Depth=1
	v_bfrev_b32_e32 v17, 1
	v_mov_b32_e32 v18, 0
	v_cmp_ne_u16_sdwa s0, v0, v45 src0_sel:BYTE_0 src1_sel:DWORD
	s_and_saveexec_b32 s22, s0
	s_cbranch_execz .LBB170_934
; %bb.929:                              ;   in Loop: Header=BB170_552 Depth=1
	v_mov_b32_e32 v17, 0x7f800001
	v_and_b32_e32 v9, 0x7f, v0
	v_mov_b32_e32 v18, 0
	s_mov_b32 s26, exec_lo
	v_cmpx_ne_u32_e32 0x7f, v9
	s_cbranch_execz .LBB170_933
; %bb.930:                              ;   in Loop: Header=BB170_552 Depth=1
	v_and_b32_e32 v5, 7, v0
	v_lshrrev_b32_e32 v7, 3, v9
	s_mov_b32 s27, exec_lo
	v_cmpx_gt_u32_e32 8, v9
; %bb.931:                              ;   in Loop: Header=BB170_552 Depth=1
	v_ffbh_u32_e32 v7, v5
	v_min_u32_e32 v7, 32, v7
	v_subrev_nc_u32_e32 v9, 28, v7
	v_sub_nc_u32_e32 v7, 29, v7
	v_lshlrev_b64 v[17:18], v9, v[5:6]
	v_and_b32_e32 v5, 7, v17
; %bb.932:                              ;   in Loop: Header=BB170_552 Depth=1
	s_or_b32 exec_lo, exec_lo, s27
	v_lshlrev_b32_e32 v9, 24, v0
	v_lshlrev_b32_e32 v5, 20, v5
	v_lshl_add_u32 v7, v7, 23, 0x3c000000
	v_and_b32_e32 v9, 0x80000000, v9
	v_or3_b32 v5, v5, v9, v7
	v_mov_b32_e32 v18, v6
	v_mov_b32_e32 v17, v5
.LBB170_933:                            ;   in Loop: Header=BB170_552 Depth=1
	s_or_b32 exec_lo, exec_lo, s26
.LBB170_934:                            ;   in Loop: Header=BB170_552 Depth=1
	s_or_b32 exec_lo, exec_lo, s22
.LBB170_935:                            ;   in Loop: Header=BB170_552 Depth=1
	s_or_b32 exec_lo, exec_lo, s21
	v_cmp_ne_u16_sdwa s0, v0, v6 src0_sel:BYTE_1 src1_sel:DWORD
	s_and_saveexec_b32 s21, s0
	s_cbranch_execz .LBB170_943
; %bb.936:                              ;   in Loop: Header=BB170_552 Depth=1
	v_mov_b32_e32 v7, v6
	v_mov_b32_e32 v20, v8
	v_cmp_ne_u16_sdwa s0, v0, v45 src0_sel:BYTE_1 src1_sel:DWORD
	v_mov_b32_e32 v19, v7
	s_and_saveexec_b32 s22, s0
	s_cbranch_execz .LBB170_942
; %bb.937:                              ;   in Loop: Header=BB170_552 Depth=1
	v_and_b32_sdwa v5, v46, v0 dst_sel:DWORD dst_unused:UNUSED_PAD src0_sel:DWORD src1_sel:BYTE_1
	v_mov_b32_e32 v9, v6
	v_mov_b32_e32 v20, v10
	s_mov_b32 s26, exec_lo
	v_and_b32_e32 v21, 0x7f, v5
	v_mov_b32_e32 v19, v9
	v_cmpx_ne_u32_e32 0x7f, v21
	s_cbranch_execz .LBB170_941
; %bb.938:                              ;   in Loop: Header=BB170_552 Depth=1
	v_and_b32_e32 v5, 7, v5
	v_lshrrev_b32_e32 v7, 3, v21
	s_mov_b32 s27, exec_lo
	v_cmpx_gt_u32_e32 8, v21
; %bb.939:                              ;   in Loop: Header=BB170_552 Depth=1
	v_ffbh_u32_e32 v7, v5
	v_min_u32_e32 v7, 32, v7
	v_subrev_nc_u32_e32 v9, 28, v7
	v_sub_nc_u32_e32 v7, 29, v7
	v_lshlrev_b64 v[19:20], v9, v[5:6]
	v_and_b32_e32 v5, 7, v19
; %bb.940:                              ;   in Loop: Header=BB170_552 Depth=1
	s_or_b32 exec_lo, exec_lo, s27
	v_lshlrev_b32_e32 v9, 16, v0
	v_lshlrev_b32_e32 v5, 20, v5
	v_lshl_add_u32 v7, v7, 23, 0x3c000000
	v_mov_b32_e32 v19, v6
	v_and_b32_e32 v9, 0x80000000, v9
	v_or3_b32 v20, v5, v9, v7
.LBB170_941:                            ;   in Loop: Header=BB170_552 Depth=1
	s_or_b32 exec_lo, exec_lo, s26
.LBB170_942:                            ;   in Loop: Header=BB170_552 Depth=1
	s_or_b32 exec_lo, exec_lo, s22
.LBB170_943:                            ;   in Loop: Header=BB170_552 Depth=1
	s_or_b32 exec_lo, exec_lo, s21
	v_mov_b32_e32 v23, 0
	v_mov_b32_e32 v21, 0
	v_and_b32_sdwa v5, v0, v47 dst_sel:DWORD dst_unused:UNUSED_PAD src0_sel:WORD_1 src1_sel:DWORD
	v_mov_b32_e32 v24, 0
	v_mov_b32_e32 v22, 0
	s_mov_b32 s21, exec_lo
	v_cmpx_ne_u16_e32 0, v5
	s_cbranch_execz .LBB170_951
; %bb.944:                              ;   in Loop: Header=BB170_552 Depth=1
	v_bfrev_b32_e32 v21, 1
	v_mov_b32_e32 v22, 0
	s_mov_b32 s22, exec_lo
	v_cmpx_ne_u16_e32 0x80, v5
	s_cbranch_execz .LBB170_950
; %bb.945:                              ;   in Loop: Header=BB170_552 Depth=1
	v_mov_b32_e32 v21, 0x7f800001
	v_bfe_u32 v9, v0, 16, 7
	v_mov_b32_e32 v22, 0
	s_mov_b32 s26, exec_lo
	v_cmpx_ne_u32_e32 0x7f, v9
	s_cbranch_execz .LBB170_949
; %bb.946:                              ;   in Loop: Header=BB170_552 Depth=1
	v_and_b32_sdwa v5, v0, v48 dst_sel:DWORD dst_unused:UNUSED_PAD src0_sel:WORD_1 src1_sel:DWORD
	v_lshrrev_b32_e32 v7, 3, v9
	s_mov_b32 s27, exec_lo
	v_cmpx_gt_u32_e32 8, v9
; %bb.947:                              ;   in Loop: Header=BB170_552 Depth=1
	v_ffbh_u32_e32 v7, v5
	v_min_u32_e32 v7, 32, v7
	v_subrev_nc_u32_e32 v9, 28, v7
	v_sub_nc_u32_e32 v7, 29, v7
	v_lshlrev_b64 v[21:22], v9, v[5:6]
	v_and_b32_e32 v5, 7, v21
; %bb.948:                              ;   in Loop: Header=BB170_552 Depth=1
	s_or_b32 exec_lo, exec_lo, s27
	v_lshlrev_b32_sdwa v9, v49, v0 dst_sel:DWORD dst_unused:UNUSED_PAD src0_sel:DWORD src1_sel:WORD_1
	v_lshlrev_b32_e32 v5, 20, v5
	v_lshl_add_u32 v7, v7, 23, 0x3c000000
	v_and_b32_e32 v9, 0x80000000, v9
	v_or3_b32 v5, v5, v9, v7
	v_mov_b32_e32 v22, v6
	v_mov_b32_e32 v21, v5
.LBB170_949:                            ;   in Loop: Header=BB170_552 Depth=1
	s_or_b32 exec_lo, exec_lo, s26
.LBB170_950:                            ;   in Loop: Header=BB170_552 Depth=1
	s_or_b32 exec_lo, exec_lo, s22
.LBB170_951:                            ;   in Loop: Header=BB170_552 Depth=1
	s_or_b32 exec_lo, exec_lo, s21
	s_mov_b32 s21, exec_lo
	v_cmpx_lt_u32_e32 0xffffff, v0
	s_cbranch_execz .LBB170_959
; %bb.952:                              ;   in Loop: Header=BB170_552 Depth=1
	v_mov_b32_e32 v7, v6
	v_mov_b32_e32 v24, v8
	v_cmp_ne_u32_sdwa s0, v0, v45 src0_sel:BYTE_3 src1_sel:DWORD
	v_mov_b32_e32 v23, v7
	s_and_saveexec_b32 s22, s0
	s_cbranch_execz .LBB170_958
; %bb.953:                              ;   in Loop: Header=BB170_552 Depth=1
	v_mov_b32_e32 v9, v6
	v_mov_b32_e32 v24, v10
	v_bfe_u32 v59, v0, 24, 7
	s_mov_b32 s26, exec_lo
	v_mov_b32_e32 v23, v9
	v_cmpx_ne_u32_e32 0x7f, v59
	s_cbranch_execz .LBB170_957
; %bb.954:                              ;   in Loop: Header=BB170_552 Depth=1
	v_and_b32_sdwa v5, v0, v48 dst_sel:DWORD dst_unused:UNUSED_PAD src0_sel:BYTE_3 src1_sel:DWORD
	v_lshrrev_b32_e32 v7, 3, v59
	s_mov_b32 s27, exec_lo
	v_cmpx_gt_u32_e32 8, v59
; %bb.955:                              ;   in Loop: Header=BB170_552 Depth=1
	v_ffbh_u32_e32 v7, v5
	v_min_u32_e32 v7, 32, v7
	v_subrev_nc_u32_e32 v9, 28, v7
	v_sub_nc_u32_e32 v7, 29, v7
	v_lshlrev_b64 v[23:24], v9, v[5:6]
	v_and_b32_e32 v5, 7, v23
; %bb.956:                              ;   in Loop: Header=BB170_552 Depth=1
	s_or_b32 exec_lo, exec_lo, s27
	v_lshlrev_b32_sdwa v0, v49, v0 dst_sel:DWORD dst_unused:UNUSED_PAD src0_sel:DWORD src1_sel:BYTE_3
	v_lshlrev_b32_e32 v5, 20, v5
	v_lshl_add_u32 v7, v7, 23, 0x3c000000
	v_mov_b32_e32 v23, v6
	v_and_b32_e32 v0, 0x80000000, v0
	v_or3_b32 v24, v5, v0, v7
.LBB170_957:                            ;   in Loop: Header=BB170_552 Depth=1
	s_or_b32 exec_lo, exec_lo, s26
.LBB170_958:                            ;   in Loop: Header=BB170_552 Depth=1
	s_or_b32 exec_lo, exec_lo, s22
.LBB170_959:                            ;   in Loop: Header=BB170_552 Depth=1
	s_or_b32 exec_lo, exec_lo, s21
	v_or_b32_e32 v0, v20, v18
	v_or_b32_e32 v5, v19, v17
	;; [unrolled: 1-line block ×4, first 2 shown]
	v_mul_f32_e32 v105, s18, v0
	v_mul_f32_e32 v106, s17, v5
	;; [unrolled: 1-line block ×4, first 2 shown]
	s_and_saveexec_b32 s21, vcc_lo
	s_cbranch_execz .LBB170_961
; %bb.960:                              ;   in Loop: Header=BB170_552 Depth=1
	v_cmp_gt_i32_e64 s0, s33, v57
	v_cndmask_b32_e64 v106, 0, v106, s0
	v_cmp_gt_i32_e64 s0, s33, v62
	v_cndmask_b32_e64 v105, 0, v105, s0
	;; [unrolled: 2-line block ×4, first 2 shown]
.LBB170_961:                            ;   in Loop: Header=BB170_552 Depth=1
	s_or_b32 exec_lo, exec_lo, s21
	global_load_dword v0, v[15:16], off offset:1536
	v_mov_b32_e32 v19, 0
	v_mov_b32_e32 v17, 0
	v_mov_b32_e32 v20, 0
	v_mov_b32_e32 v18, 0
	s_waitcnt vmcnt(0)
	v_cmp_ne_u16_sdwa s0, v0, v6 src0_sel:BYTE_0 src1_sel:DWORD
	s_and_saveexec_b32 s21, s0
	s_cbranch_execz .LBB170_969
; %bb.962:                              ;   in Loop: Header=BB170_552 Depth=1
	v_bfrev_b32_e32 v17, 1
	v_mov_b32_e32 v18, 0
	v_cmp_ne_u16_sdwa s0, v0, v45 src0_sel:BYTE_0 src1_sel:DWORD
	s_and_saveexec_b32 s22, s0
	s_cbranch_execz .LBB170_968
; %bb.963:                              ;   in Loop: Header=BB170_552 Depth=1
	v_mov_b32_e32 v17, 0x7f800001
	v_and_b32_e32 v9, 0x7f, v0
	v_mov_b32_e32 v18, 0
	s_mov_b32 s26, exec_lo
	v_cmpx_ne_u32_e32 0x7f, v9
	s_cbranch_execz .LBB170_967
; %bb.964:                              ;   in Loop: Header=BB170_552 Depth=1
	v_and_b32_e32 v5, 7, v0
	v_lshrrev_b32_e32 v7, 3, v9
	s_mov_b32 s27, exec_lo
	v_cmpx_gt_u32_e32 8, v9
; %bb.965:                              ;   in Loop: Header=BB170_552 Depth=1
	v_ffbh_u32_e32 v7, v5
	v_min_u32_e32 v7, 32, v7
	v_subrev_nc_u32_e32 v9, 28, v7
	v_sub_nc_u32_e32 v7, 29, v7
	v_lshlrev_b64 v[17:18], v9, v[5:6]
	v_and_b32_e32 v5, 7, v17
; %bb.966:                              ;   in Loop: Header=BB170_552 Depth=1
	s_or_b32 exec_lo, exec_lo, s27
	v_lshlrev_b32_e32 v9, 24, v0
	v_lshlrev_b32_e32 v5, 20, v5
	v_lshl_add_u32 v7, v7, 23, 0x3c000000
	v_and_b32_e32 v9, 0x80000000, v9
	v_or3_b32 v5, v5, v9, v7
	v_mov_b32_e32 v18, v6
	v_mov_b32_e32 v17, v5
.LBB170_967:                            ;   in Loop: Header=BB170_552 Depth=1
	s_or_b32 exec_lo, exec_lo, s26
.LBB170_968:                            ;   in Loop: Header=BB170_552 Depth=1
	s_or_b32 exec_lo, exec_lo, s22
.LBB170_969:                            ;   in Loop: Header=BB170_552 Depth=1
	s_or_b32 exec_lo, exec_lo, s21
	v_cmp_ne_u16_sdwa s0, v0, v6 src0_sel:BYTE_1 src1_sel:DWORD
	s_and_saveexec_b32 s21, s0
	s_cbranch_execz .LBB170_977
; %bb.970:                              ;   in Loop: Header=BB170_552 Depth=1
	v_mov_b32_e32 v7, v6
	v_mov_b32_e32 v20, v8
	v_cmp_ne_u16_sdwa s0, v0, v45 src0_sel:BYTE_1 src1_sel:DWORD
	v_mov_b32_e32 v19, v7
	s_and_saveexec_b32 s22, s0
	s_cbranch_execz .LBB170_976
; %bb.971:                              ;   in Loop: Header=BB170_552 Depth=1
	v_and_b32_sdwa v5, v46, v0 dst_sel:DWORD dst_unused:UNUSED_PAD src0_sel:DWORD src1_sel:BYTE_1
	v_mov_b32_e32 v9, v6
	v_mov_b32_e32 v20, v10
	s_mov_b32 s26, exec_lo
	v_and_b32_e32 v21, 0x7f, v5
	v_mov_b32_e32 v19, v9
	v_cmpx_ne_u32_e32 0x7f, v21
	s_cbranch_execz .LBB170_975
; %bb.972:                              ;   in Loop: Header=BB170_552 Depth=1
	v_and_b32_e32 v5, 7, v5
	v_lshrrev_b32_e32 v7, 3, v21
	s_mov_b32 s27, exec_lo
	v_cmpx_gt_u32_e32 8, v21
; %bb.973:                              ;   in Loop: Header=BB170_552 Depth=1
	v_ffbh_u32_e32 v7, v5
	v_min_u32_e32 v7, 32, v7
	v_subrev_nc_u32_e32 v9, 28, v7
	v_sub_nc_u32_e32 v7, 29, v7
	v_lshlrev_b64 v[19:20], v9, v[5:6]
	v_and_b32_e32 v5, 7, v19
; %bb.974:                              ;   in Loop: Header=BB170_552 Depth=1
	s_or_b32 exec_lo, exec_lo, s27
	v_lshlrev_b32_e32 v9, 16, v0
	v_lshlrev_b32_e32 v5, 20, v5
	v_lshl_add_u32 v7, v7, 23, 0x3c000000
	v_mov_b32_e32 v19, v6
	v_and_b32_e32 v9, 0x80000000, v9
	v_or3_b32 v20, v5, v9, v7
.LBB170_975:                            ;   in Loop: Header=BB170_552 Depth=1
	s_or_b32 exec_lo, exec_lo, s26
.LBB170_976:                            ;   in Loop: Header=BB170_552 Depth=1
	s_or_b32 exec_lo, exec_lo, s22
.LBB170_977:                            ;   in Loop: Header=BB170_552 Depth=1
	s_or_b32 exec_lo, exec_lo, s21
	v_mov_b32_e32 v23, 0
	v_mov_b32_e32 v21, 0
	v_and_b32_sdwa v5, v0, v47 dst_sel:DWORD dst_unused:UNUSED_PAD src0_sel:WORD_1 src1_sel:DWORD
	v_mov_b32_e32 v24, 0
	v_mov_b32_e32 v22, 0
	s_mov_b32 s21, exec_lo
	v_cmpx_ne_u16_e32 0, v5
	s_cbranch_execz .LBB170_985
; %bb.978:                              ;   in Loop: Header=BB170_552 Depth=1
	v_bfrev_b32_e32 v21, 1
	v_mov_b32_e32 v22, 0
	s_mov_b32 s22, exec_lo
	v_cmpx_ne_u16_e32 0x80, v5
	s_cbranch_execz .LBB170_984
; %bb.979:                              ;   in Loop: Header=BB170_552 Depth=1
	v_mov_b32_e32 v21, 0x7f800001
	v_bfe_u32 v9, v0, 16, 7
	v_mov_b32_e32 v22, 0
	s_mov_b32 s26, exec_lo
	v_cmpx_ne_u32_e32 0x7f, v9
	s_cbranch_execz .LBB170_983
; %bb.980:                              ;   in Loop: Header=BB170_552 Depth=1
	v_and_b32_sdwa v5, v0, v48 dst_sel:DWORD dst_unused:UNUSED_PAD src0_sel:WORD_1 src1_sel:DWORD
	v_lshrrev_b32_e32 v7, 3, v9
	s_mov_b32 s27, exec_lo
	v_cmpx_gt_u32_e32 8, v9
; %bb.981:                              ;   in Loop: Header=BB170_552 Depth=1
	v_ffbh_u32_e32 v7, v5
	v_min_u32_e32 v7, 32, v7
	v_subrev_nc_u32_e32 v9, 28, v7
	v_sub_nc_u32_e32 v7, 29, v7
	v_lshlrev_b64 v[21:22], v9, v[5:6]
	v_and_b32_e32 v5, 7, v21
; %bb.982:                              ;   in Loop: Header=BB170_552 Depth=1
	s_or_b32 exec_lo, exec_lo, s27
	v_lshlrev_b32_sdwa v9, v49, v0 dst_sel:DWORD dst_unused:UNUSED_PAD src0_sel:DWORD src1_sel:WORD_1
	v_lshlrev_b32_e32 v5, 20, v5
	v_lshl_add_u32 v7, v7, 23, 0x3c000000
	v_and_b32_e32 v9, 0x80000000, v9
	v_or3_b32 v5, v5, v9, v7
	v_mov_b32_e32 v22, v6
	v_mov_b32_e32 v21, v5
.LBB170_983:                            ;   in Loop: Header=BB170_552 Depth=1
	s_or_b32 exec_lo, exec_lo, s26
.LBB170_984:                            ;   in Loop: Header=BB170_552 Depth=1
	s_or_b32 exec_lo, exec_lo, s22
.LBB170_985:                            ;   in Loop: Header=BB170_552 Depth=1
	s_or_b32 exec_lo, exec_lo, s21
	s_mov_b32 s21, exec_lo
	v_cmpx_lt_u32_e32 0xffffff, v0
	s_cbranch_execz .LBB170_993
; %bb.986:                              ;   in Loop: Header=BB170_552 Depth=1
	v_mov_b32_e32 v7, v6
	v_mov_b32_e32 v24, v8
	v_cmp_ne_u32_sdwa s0, v0, v45 src0_sel:BYTE_3 src1_sel:DWORD
	v_mov_b32_e32 v23, v7
	s_and_saveexec_b32 s22, s0
	s_cbranch_execz .LBB170_992
; %bb.987:                              ;   in Loop: Header=BB170_552 Depth=1
	v_mov_b32_e32 v9, v6
	v_mov_b32_e32 v24, v10
	v_bfe_u32 v59, v0, 24, 7
	s_mov_b32 s26, exec_lo
	v_mov_b32_e32 v23, v9
	v_cmpx_ne_u32_e32 0x7f, v59
	s_cbranch_execz .LBB170_991
; %bb.988:                              ;   in Loop: Header=BB170_552 Depth=1
	v_and_b32_sdwa v5, v0, v48 dst_sel:DWORD dst_unused:UNUSED_PAD src0_sel:BYTE_3 src1_sel:DWORD
	v_lshrrev_b32_e32 v7, 3, v59
	s_mov_b32 s27, exec_lo
	v_cmpx_gt_u32_e32 8, v59
; %bb.989:                              ;   in Loop: Header=BB170_552 Depth=1
	v_ffbh_u32_e32 v7, v5
	v_min_u32_e32 v7, 32, v7
	v_subrev_nc_u32_e32 v9, 28, v7
	v_sub_nc_u32_e32 v7, 29, v7
	v_lshlrev_b64 v[23:24], v9, v[5:6]
	v_and_b32_e32 v5, 7, v23
; %bb.990:                              ;   in Loop: Header=BB170_552 Depth=1
	s_or_b32 exec_lo, exec_lo, s27
	v_lshlrev_b32_sdwa v0, v49, v0 dst_sel:DWORD dst_unused:UNUSED_PAD src0_sel:DWORD src1_sel:BYTE_3
	v_lshlrev_b32_e32 v5, 20, v5
	v_lshl_add_u32 v7, v7, 23, 0x3c000000
	v_mov_b32_e32 v23, v6
	v_and_b32_e32 v0, 0x80000000, v0
	v_or3_b32 v24, v5, v0, v7
.LBB170_991:                            ;   in Loop: Header=BB170_552 Depth=1
	s_or_b32 exec_lo, exec_lo, s26
.LBB170_992:                            ;   in Loop: Header=BB170_552 Depth=1
	s_or_b32 exec_lo, exec_lo, s22
.LBB170_993:                            ;   in Loop: Header=BB170_552 Depth=1
	s_or_b32 exec_lo, exec_lo, s21
	v_or_b32_e32 v0, v20, v18
	v_or_b32_e32 v5, v19, v17
	;; [unrolled: 1-line block ×4, first 2 shown]
	v_mul_f32_e32 v109, s18, v0
	v_mul_f32_e32 v110, s17, v5
	v_mul_f32_e32 v108, s17, v7
	v_mul_f32_e32 v107, s18, v9
	s_and_saveexec_b32 s21, vcc_lo
	s_cbranch_execz .LBB170_995
; %bb.994:                              ;   in Loop: Header=BB170_552 Depth=1
	v_cmp_gt_i32_e64 s0, s33, v57
	v_cndmask_b32_e64 v110, 0, v110, s0
	v_cmp_gt_i32_e64 s0, s33, v62
	v_cndmask_b32_e64 v109, 0, v109, s0
	;; [unrolled: 2-line block ×4, first 2 shown]
.LBB170_995:                            ;   in Loop: Header=BB170_552 Depth=1
	s_or_b32 exec_lo, exec_lo, s21
	global_load_dword v0, v[15:16], off offset:1664
	v_mov_b32_e32 v19, 0
	v_mov_b32_e32 v17, 0
	v_mov_b32_e32 v20, 0
	v_mov_b32_e32 v18, 0
	s_waitcnt vmcnt(0)
	v_cmp_ne_u16_sdwa s0, v0, v6 src0_sel:BYTE_0 src1_sel:DWORD
	s_and_saveexec_b32 s21, s0
	s_cbranch_execz .LBB170_1003
; %bb.996:                              ;   in Loop: Header=BB170_552 Depth=1
	v_bfrev_b32_e32 v17, 1
	v_mov_b32_e32 v18, 0
	v_cmp_ne_u16_sdwa s0, v0, v45 src0_sel:BYTE_0 src1_sel:DWORD
	s_and_saveexec_b32 s22, s0
	s_cbranch_execz .LBB170_1002
; %bb.997:                              ;   in Loop: Header=BB170_552 Depth=1
	v_mov_b32_e32 v17, 0x7f800001
	v_and_b32_e32 v9, 0x7f, v0
	v_mov_b32_e32 v18, 0
	s_mov_b32 s26, exec_lo
	v_cmpx_ne_u32_e32 0x7f, v9
	s_cbranch_execz .LBB170_1001
; %bb.998:                              ;   in Loop: Header=BB170_552 Depth=1
	v_and_b32_e32 v5, 7, v0
	v_lshrrev_b32_e32 v7, 3, v9
	s_mov_b32 s27, exec_lo
	v_cmpx_gt_u32_e32 8, v9
; %bb.999:                              ;   in Loop: Header=BB170_552 Depth=1
	v_ffbh_u32_e32 v7, v5
	v_min_u32_e32 v7, 32, v7
	v_subrev_nc_u32_e32 v9, 28, v7
	v_sub_nc_u32_e32 v7, 29, v7
	v_lshlrev_b64 v[17:18], v9, v[5:6]
	v_and_b32_e32 v5, 7, v17
; %bb.1000:                             ;   in Loop: Header=BB170_552 Depth=1
	s_or_b32 exec_lo, exec_lo, s27
	v_lshlrev_b32_e32 v9, 24, v0
	v_lshlrev_b32_e32 v5, 20, v5
	v_lshl_add_u32 v7, v7, 23, 0x3c000000
	v_and_b32_e32 v9, 0x80000000, v9
	v_or3_b32 v5, v5, v9, v7
	v_mov_b32_e32 v18, v6
	v_mov_b32_e32 v17, v5
.LBB170_1001:                           ;   in Loop: Header=BB170_552 Depth=1
	s_or_b32 exec_lo, exec_lo, s26
.LBB170_1002:                           ;   in Loop: Header=BB170_552 Depth=1
	s_or_b32 exec_lo, exec_lo, s22
.LBB170_1003:                           ;   in Loop: Header=BB170_552 Depth=1
	s_or_b32 exec_lo, exec_lo, s21
	v_cmp_ne_u16_sdwa s0, v0, v6 src0_sel:BYTE_1 src1_sel:DWORD
	s_and_saveexec_b32 s21, s0
	s_cbranch_execz .LBB170_1011
; %bb.1004:                             ;   in Loop: Header=BB170_552 Depth=1
	v_mov_b32_e32 v7, v6
	v_mov_b32_e32 v20, v8
	v_cmp_ne_u16_sdwa s0, v0, v45 src0_sel:BYTE_1 src1_sel:DWORD
	v_mov_b32_e32 v19, v7
	s_and_saveexec_b32 s22, s0
	s_cbranch_execz .LBB170_1010
; %bb.1005:                             ;   in Loop: Header=BB170_552 Depth=1
	v_and_b32_sdwa v5, v46, v0 dst_sel:DWORD dst_unused:UNUSED_PAD src0_sel:DWORD src1_sel:BYTE_1
	v_mov_b32_e32 v9, v6
	v_mov_b32_e32 v20, v10
	s_mov_b32 s26, exec_lo
	v_and_b32_e32 v21, 0x7f, v5
	v_mov_b32_e32 v19, v9
	v_cmpx_ne_u32_e32 0x7f, v21
	s_cbranch_execz .LBB170_1009
; %bb.1006:                             ;   in Loop: Header=BB170_552 Depth=1
	v_and_b32_e32 v5, 7, v5
	v_lshrrev_b32_e32 v7, 3, v21
	s_mov_b32 s27, exec_lo
	v_cmpx_gt_u32_e32 8, v21
; %bb.1007:                             ;   in Loop: Header=BB170_552 Depth=1
	v_ffbh_u32_e32 v7, v5
	v_min_u32_e32 v7, 32, v7
	v_subrev_nc_u32_e32 v9, 28, v7
	v_sub_nc_u32_e32 v7, 29, v7
	v_lshlrev_b64 v[19:20], v9, v[5:6]
	v_and_b32_e32 v5, 7, v19
; %bb.1008:                             ;   in Loop: Header=BB170_552 Depth=1
	s_or_b32 exec_lo, exec_lo, s27
	v_lshlrev_b32_e32 v9, 16, v0
	v_lshlrev_b32_e32 v5, 20, v5
	v_lshl_add_u32 v7, v7, 23, 0x3c000000
	v_mov_b32_e32 v19, v6
	v_and_b32_e32 v9, 0x80000000, v9
	v_or3_b32 v20, v5, v9, v7
.LBB170_1009:                           ;   in Loop: Header=BB170_552 Depth=1
	s_or_b32 exec_lo, exec_lo, s26
.LBB170_1010:                           ;   in Loop: Header=BB170_552 Depth=1
	s_or_b32 exec_lo, exec_lo, s22
.LBB170_1011:                           ;   in Loop: Header=BB170_552 Depth=1
	s_or_b32 exec_lo, exec_lo, s21
	v_mov_b32_e32 v23, 0
	v_mov_b32_e32 v21, 0
	v_and_b32_sdwa v5, v0, v47 dst_sel:DWORD dst_unused:UNUSED_PAD src0_sel:WORD_1 src1_sel:DWORD
	v_mov_b32_e32 v24, 0
	v_mov_b32_e32 v22, 0
	s_mov_b32 s21, exec_lo
	v_cmpx_ne_u16_e32 0, v5
	s_cbranch_execz .LBB170_1019
; %bb.1012:                             ;   in Loop: Header=BB170_552 Depth=1
	v_bfrev_b32_e32 v21, 1
	v_mov_b32_e32 v22, 0
	s_mov_b32 s22, exec_lo
	v_cmpx_ne_u16_e32 0x80, v5
	s_cbranch_execz .LBB170_1018
; %bb.1013:                             ;   in Loop: Header=BB170_552 Depth=1
	v_mov_b32_e32 v21, 0x7f800001
	v_bfe_u32 v9, v0, 16, 7
	v_mov_b32_e32 v22, 0
	s_mov_b32 s26, exec_lo
	v_cmpx_ne_u32_e32 0x7f, v9
	s_cbranch_execz .LBB170_1017
; %bb.1014:                             ;   in Loop: Header=BB170_552 Depth=1
	v_and_b32_sdwa v5, v0, v48 dst_sel:DWORD dst_unused:UNUSED_PAD src0_sel:WORD_1 src1_sel:DWORD
	v_lshrrev_b32_e32 v7, 3, v9
	s_mov_b32 s27, exec_lo
	v_cmpx_gt_u32_e32 8, v9
; %bb.1015:                             ;   in Loop: Header=BB170_552 Depth=1
	v_ffbh_u32_e32 v7, v5
	v_min_u32_e32 v7, 32, v7
	v_subrev_nc_u32_e32 v9, 28, v7
	v_sub_nc_u32_e32 v7, 29, v7
	v_lshlrev_b64 v[21:22], v9, v[5:6]
	v_and_b32_e32 v5, 7, v21
; %bb.1016:                             ;   in Loop: Header=BB170_552 Depth=1
	s_or_b32 exec_lo, exec_lo, s27
	v_lshlrev_b32_sdwa v9, v49, v0 dst_sel:DWORD dst_unused:UNUSED_PAD src0_sel:DWORD src1_sel:WORD_1
	v_lshlrev_b32_e32 v5, 20, v5
	v_lshl_add_u32 v7, v7, 23, 0x3c000000
	v_and_b32_e32 v9, 0x80000000, v9
	v_or3_b32 v5, v5, v9, v7
	v_mov_b32_e32 v22, v6
	v_mov_b32_e32 v21, v5
.LBB170_1017:                           ;   in Loop: Header=BB170_552 Depth=1
	s_or_b32 exec_lo, exec_lo, s26
.LBB170_1018:                           ;   in Loop: Header=BB170_552 Depth=1
	s_or_b32 exec_lo, exec_lo, s22
.LBB170_1019:                           ;   in Loop: Header=BB170_552 Depth=1
	s_or_b32 exec_lo, exec_lo, s21
	s_mov_b32 s21, exec_lo
	v_cmpx_lt_u32_e32 0xffffff, v0
	s_cbranch_execz .LBB170_1027
; %bb.1020:                             ;   in Loop: Header=BB170_552 Depth=1
	v_mov_b32_e32 v7, v6
	v_mov_b32_e32 v24, v8
	v_cmp_ne_u32_sdwa s0, v0, v45 src0_sel:BYTE_3 src1_sel:DWORD
	v_mov_b32_e32 v23, v7
	s_and_saveexec_b32 s22, s0
	s_cbranch_execz .LBB170_1026
; %bb.1021:                             ;   in Loop: Header=BB170_552 Depth=1
	v_mov_b32_e32 v9, v6
	v_mov_b32_e32 v24, v10
	v_bfe_u32 v59, v0, 24, 7
	s_mov_b32 s26, exec_lo
	v_mov_b32_e32 v23, v9
	v_cmpx_ne_u32_e32 0x7f, v59
	s_cbranch_execz .LBB170_1025
; %bb.1022:                             ;   in Loop: Header=BB170_552 Depth=1
	v_and_b32_sdwa v5, v0, v48 dst_sel:DWORD dst_unused:UNUSED_PAD src0_sel:BYTE_3 src1_sel:DWORD
	v_lshrrev_b32_e32 v7, 3, v59
	s_mov_b32 s27, exec_lo
	v_cmpx_gt_u32_e32 8, v59
; %bb.1023:                             ;   in Loop: Header=BB170_552 Depth=1
	v_ffbh_u32_e32 v7, v5
	v_min_u32_e32 v7, 32, v7
	v_subrev_nc_u32_e32 v9, 28, v7
	v_sub_nc_u32_e32 v7, 29, v7
	v_lshlrev_b64 v[23:24], v9, v[5:6]
	v_and_b32_e32 v5, 7, v23
; %bb.1024:                             ;   in Loop: Header=BB170_552 Depth=1
	s_or_b32 exec_lo, exec_lo, s27
	v_lshlrev_b32_sdwa v0, v49, v0 dst_sel:DWORD dst_unused:UNUSED_PAD src0_sel:DWORD src1_sel:BYTE_3
	v_lshlrev_b32_e32 v5, 20, v5
	v_lshl_add_u32 v7, v7, 23, 0x3c000000
	v_mov_b32_e32 v23, v6
	v_and_b32_e32 v0, 0x80000000, v0
	v_or3_b32 v24, v5, v0, v7
.LBB170_1025:                           ;   in Loop: Header=BB170_552 Depth=1
	s_or_b32 exec_lo, exec_lo, s26
.LBB170_1026:                           ;   in Loop: Header=BB170_552 Depth=1
	s_or_b32 exec_lo, exec_lo, s22
.LBB170_1027:                           ;   in Loop: Header=BB170_552 Depth=1
	s_or_b32 exec_lo, exec_lo, s21
	v_or_b32_e32 v0, v20, v18
	v_or_b32_e32 v5, v19, v17
	;; [unrolled: 1-line block ×4, first 2 shown]
	v_mul_f32_e32 v112, s18, v0
	v_mul_f32_e32 v113, s17, v5
	;; [unrolled: 1-line block ×4, first 2 shown]
	s_and_saveexec_b32 s21, vcc_lo
	s_cbranch_execz .LBB170_1029
; %bb.1028:                             ;   in Loop: Header=BB170_552 Depth=1
	v_cmp_gt_i32_e64 s0, s33, v57
	v_cndmask_b32_e64 v113, 0, v113, s0
	v_cmp_gt_i32_e64 s0, s33, v62
	v_cndmask_b32_e64 v112, 0, v112, s0
	;; [unrolled: 2-line block ×4, first 2 shown]
.LBB170_1029:                           ;   in Loop: Header=BB170_552 Depth=1
	s_or_b32 exec_lo, exec_lo, s21
	global_load_dword v0, v[15:16], off offset:1792
	v_mov_b32_e32 v19, 0
	v_mov_b32_e32 v17, 0
	;; [unrolled: 1-line block ×4, first 2 shown]
	s_waitcnt vmcnt(0)
	v_cmp_ne_u16_sdwa s0, v0, v6 src0_sel:BYTE_0 src1_sel:DWORD
	s_and_saveexec_b32 s21, s0
	s_cbranch_execz .LBB170_1037
; %bb.1030:                             ;   in Loop: Header=BB170_552 Depth=1
	v_bfrev_b32_e32 v17, 1
	v_mov_b32_e32 v18, 0
	v_cmp_ne_u16_sdwa s0, v0, v45 src0_sel:BYTE_0 src1_sel:DWORD
	s_and_saveexec_b32 s22, s0
	s_cbranch_execz .LBB170_1036
; %bb.1031:                             ;   in Loop: Header=BB170_552 Depth=1
	v_mov_b32_e32 v17, 0x7f800001
	v_and_b32_e32 v9, 0x7f, v0
	v_mov_b32_e32 v18, 0
	s_mov_b32 s26, exec_lo
	v_cmpx_ne_u32_e32 0x7f, v9
	s_cbranch_execz .LBB170_1035
; %bb.1032:                             ;   in Loop: Header=BB170_552 Depth=1
	v_and_b32_e32 v5, 7, v0
	v_lshrrev_b32_e32 v7, 3, v9
	s_mov_b32 s27, exec_lo
	v_cmpx_gt_u32_e32 8, v9
; %bb.1033:                             ;   in Loop: Header=BB170_552 Depth=1
	v_ffbh_u32_e32 v7, v5
	v_min_u32_e32 v7, 32, v7
	v_subrev_nc_u32_e32 v9, 28, v7
	v_sub_nc_u32_e32 v7, 29, v7
	v_lshlrev_b64 v[17:18], v9, v[5:6]
	v_and_b32_e32 v5, 7, v17
; %bb.1034:                             ;   in Loop: Header=BB170_552 Depth=1
	s_or_b32 exec_lo, exec_lo, s27
	v_lshlrev_b32_e32 v9, 24, v0
	v_lshlrev_b32_e32 v5, 20, v5
	v_lshl_add_u32 v7, v7, 23, 0x3c000000
	v_and_b32_e32 v9, 0x80000000, v9
	v_or3_b32 v5, v5, v9, v7
	v_mov_b32_e32 v18, v6
	v_mov_b32_e32 v17, v5
.LBB170_1035:                           ;   in Loop: Header=BB170_552 Depth=1
	s_or_b32 exec_lo, exec_lo, s26
.LBB170_1036:                           ;   in Loop: Header=BB170_552 Depth=1
	s_or_b32 exec_lo, exec_lo, s22
.LBB170_1037:                           ;   in Loop: Header=BB170_552 Depth=1
	s_or_b32 exec_lo, exec_lo, s21
	v_cmp_ne_u16_sdwa s0, v0, v6 src0_sel:BYTE_1 src1_sel:DWORD
	s_and_saveexec_b32 s21, s0
	s_cbranch_execz .LBB170_1045
; %bb.1038:                             ;   in Loop: Header=BB170_552 Depth=1
	v_mov_b32_e32 v7, v6
	v_mov_b32_e32 v20, v8
	v_cmp_ne_u16_sdwa s0, v0, v45 src0_sel:BYTE_1 src1_sel:DWORD
	v_mov_b32_e32 v19, v7
	s_and_saveexec_b32 s22, s0
	s_cbranch_execz .LBB170_1044
; %bb.1039:                             ;   in Loop: Header=BB170_552 Depth=1
	v_and_b32_sdwa v5, v46, v0 dst_sel:DWORD dst_unused:UNUSED_PAD src0_sel:DWORD src1_sel:BYTE_1
	v_mov_b32_e32 v9, v6
	v_mov_b32_e32 v20, v10
	s_mov_b32 s26, exec_lo
	v_and_b32_e32 v21, 0x7f, v5
	v_mov_b32_e32 v19, v9
	v_cmpx_ne_u32_e32 0x7f, v21
	s_cbranch_execz .LBB170_1043
; %bb.1040:                             ;   in Loop: Header=BB170_552 Depth=1
	v_and_b32_e32 v5, 7, v5
	v_lshrrev_b32_e32 v7, 3, v21
	s_mov_b32 s27, exec_lo
	v_cmpx_gt_u32_e32 8, v21
; %bb.1041:                             ;   in Loop: Header=BB170_552 Depth=1
	v_ffbh_u32_e32 v7, v5
	v_min_u32_e32 v7, 32, v7
	v_subrev_nc_u32_e32 v9, 28, v7
	v_sub_nc_u32_e32 v7, 29, v7
	v_lshlrev_b64 v[19:20], v9, v[5:6]
	v_and_b32_e32 v5, 7, v19
; %bb.1042:                             ;   in Loop: Header=BB170_552 Depth=1
	s_or_b32 exec_lo, exec_lo, s27
	v_lshlrev_b32_e32 v9, 16, v0
	v_lshlrev_b32_e32 v5, 20, v5
	v_lshl_add_u32 v7, v7, 23, 0x3c000000
	v_mov_b32_e32 v19, v6
	v_and_b32_e32 v9, 0x80000000, v9
	v_or3_b32 v20, v5, v9, v7
.LBB170_1043:                           ;   in Loop: Header=BB170_552 Depth=1
	s_or_b32 exec_lo, exec_lo, s26
.LBB170_1044:                           ;   in Loop: Header=BB170_552 Depth=1
	s_or_b32 exec_lo, exec_lo, s22
.LBB170_1045:                           ;   in Loop: Header=BB170_552 Depth=1
	s_or_b32 exec_lo, exec_lo, s21
	v_mov_b32_e32 v23, 0
	v_mov_b32_e32 v21, 0
	v_and_b32_sdwa v5, v0, v47 dst_sel:DWORD dst_unused:UNUSED_PAD src0_sel:WORD_1 src1_sel:DWORD
	v_mov_b32_e32 v24, 0
	v_mov_b32_e32 v22, 0
	s_mov_b32 s21, exec_lo
	v_cmpx_ne_u16_e32 0, v5
	s_cbranch_execz .LBB170_1053
; %bb.1046:                             ;   in Loop: Header=BB170_552 Depth=1
	v_bfrev_b32_e32 v21, 1
	v_mov_b32_e32 v22, 0
	s_mov_b32 s22, exec_lo
	v_cmpx_ne_u16_e32 0x80, v5
	s_cbranch_execz .LBB170_1052
; %bb.1047:                             ;   in Loop: Header=BB170_552 Depth=1
	v_mov_b32_e32 v21, 0x7f800001
	v_bfe_u32 v9, v0, 16, 7
	v_mov_b32_e32 v22, 0
	s_mov_b32 s26, exec_lo
	v_cmpx_ne_u32_e32 0x7f, v9
	s_cbranch_execz .LBB170_1051
; %bb.1048:                             ;   in Loop: Header=BB170_552 Depth=1
	v_and_b32_sdwa v5, v0, v48 dst_sel:DWORD dst_unused:UNUSED_PAD src0_sel:WORD_1 src1_sel:DWORD
	v_lshrrev_b32_e32 v7, 3, v9
	s_mov_b32 s27, exec_lo
	v_cmpx_gt_u32_e32 8, v9
; %bb.1049:                             ;   in Loop: Header=BB170_552 Depth=1
	v_ffbh_u32_e32 v7, v5
	v_min_u32_e32 v7, 32, v7
	v_subrev_nc_u32_e32 v9, 28, v7
	v_sub_nc_u32_e32 v7, 29, v7
	v_lshlrev_b64 v[21:22], v9, v[5:6]
	v_and_b32_e32 v5, 7, v21
; %bb.1050:                             ;   in Loop: Header=BB170_552 Depth=1
	s_or_b32 exec_lo, exec_lo, s27
	v_lshlrev_b32_sdwa v9, v49, v0 dst_sel:DWORD dst_unused:UNUSED_PAD src0_sel:DWORD src1_sel:WORD_1
	v_lshlrev_b32_e32 v5, 20, v5
	v_lshl_add_u32 v7, v7, 23, 0x3c000000
	v_and_b32_e32 v9, 0x80000000, v9
	v_or3_b32 v5, v5, v9, v7
	v_mov_b32_e32 v22, v6
	v_mov_b32_e32 v21, v5
.LBB170_1051:                           ;   in Loop: Header=BB170_552 Depth=1
	s_or_b32 exec_lo, exec_lo, s26
.LBB170_1052:                           ;   in Loop: Header=BB170_552 Depth=1
	s_or_b32 exec_lo, exec_lo, s22
.LBB170_1053:                           ;   in Loop: Header=BB170_552 Depth=1
	s_or_b32 exec_lo, exec_lo, s21
	s_mov_b32 s21, exec_lo
	v_cmpx_lt_u32_e32 0xffffff, v0
	s_cbranch_execz .LBB170_1061
; %bb.1054:                             ;   in Loop: Header=BB170_552 Depth=1
	v_mov_b32_e32 v7, v6
	v_mov_b32_e32 v24, v8
	v_cmp_ne_u32_sdwa s0, v0, v45 src0_sel:BYTE_3 src1_sel:DWORD
	v_mov_b32_e32 v23, v7
	s_and_saveexec_b32 s22, s0
	s_cbranch_execz .LBB170_1060
; %bb.1055:                             ;   in Loop: Header=BB170_552 Depth=1
	v_mov_b32_e32 v9, v6
	v_mov_b32_e32 v24, v10
	v_bfe_u32 v114, v0, 24, 7
	s_mov_b32 s26, exec_lo
	v_mov_b32_e32 v23, v9
	v_cmpx_ne_u32_e32 0x7f, v114
	s_cbranch_execz .LBB170_1059
; %bb.1056:                             ;   in Loop: Header=BB170_552 Depth=1
	v_and_b32_sdwa v5, v0, v48 dst_sel:DWORD dst_unused:UNUSED_PAD src0_sel:BYTE_3 src1_sel:DWORD
	v_lshrrev_b32_e32 v7, 3, v114
	s_mov_b32 s27, exec_lo
	v_cmpx_gt_u32_e32 8, v114
; %bb.1057:                             ;   in Loop: Header=BB170_552 Depth=1
	v_ffbh_u32_e32 v7, v5
	v_min_u32_e32 v7, 32, v7
	v_subrev_nc_u32_e32 v9, 28, v7
	v_sub_nc_u32_e32 v7, 29, v7
	v_lshlrev_b64 v[23:24], v9, v[5:6]
	v_and_b32_e32 v5, 7, v23
; %bb.1058:                             ;   in Loop: Header=BB170_552 Depth=1
	s_or_b32 exec_lo, exec_lo, s27
	v_lshlrev_b32_sdwa v0, v49, v0 dst_sel:DWORD dst_unused:UNUSED_PAD src0_sel:DWORD src1_sel:BYTE_3
	v_lshlrev_b32_e32 v5, 20, v5
	v_lshl_add_u32 v7, v7, 23, 0x3c000000
	v_mov_b32_e32 v23, v6
	v_and_b32_e32 v0, 0x80000000, v0
	v_or3_b32 v24, v5, v0, v7
.LBB170_1059:                           ;   in Loop: Header=BB170_552 Depth=1
	s_or_b32 exec_lo, exec_lo, s26
.LBB170_1060:                           ;   in Loop: Header=BB170_552 Depth=1
	s_or_b32 exec_lo, exec_lo, s22
.LBB170_1061:                           ;   in Loop: Header=BB170_552 Depth=1
	s_or_b32 exec_lo, exec_lo, s21
	v_or_b32_e32 v0, v20, v18
	v_or_b32_e32 v5, v19, v17
	;; [unrolled: 1-line block ×4, first 2 shown]
	v_mul_f32_e32 v24, s18, v0
	v_mul_f32_e32 v114, s17, v5
	;; [unrolled: 1-line block ×4, first 2 shown]
	s_and_saveexec_b32 s21, vcc_lo
	s_cbranch_execz .LBB170_1063
; %bb.1062:                             ;   in Loop: Header=BB170_552 Depth=1
	v_cmp_gt_i32_e64 s0, s33, v57
	v_cndmask_b32_e64 v114, 0, v114, s0
	v_cmp_gt_i32_e64 s0, s33, v62
	v_cndmask_b32_e64 v24, 0, v24, s0
	;; [unrolled: 2-line block ×4, first 2 shown]
.LBB170_1063:                           ;   in Loop: Header=BB170_552 Depth=1
	s_or_b32 exec_lo, exec_lo, s21
	global_load_dword v115, v[15:16], off offset:1920
	v_mov_b32_e32 v17, 0
	v_mov_b32_e32 v15, 0
	;; [unrolled: 1-line block ×4, first 2 shown]
	s_waitcnt vmcnt(0)
	v_cmp_ne_u16_sdwa s0, v115, v6 src0_sel:BYTE_0 src1_sel:DWORD
	s_and_saveexec_b32 s21, s0
	s_cbranch_execz .LBB170_1071
; %bb.1064:                             ;   in Loop: Header=BB170_552 Depth=1
	v_bfrev_b32_e32 v15, 1
	v_mov_b32_e32 v16, 0
	v_cmp_ne_u16_sdwa s0, v115, v45 src0_sel:BYTE_0 src1_sel:DWORD
	s_and_saveexec_b32 s22, s0
	s_cbranch_execz .LBB170_1070
; %bb.1065:                             ;   in Loop: Header=BB170_552 Depth=1
	v_mov_b32_e32 v15, 0x7f800001
	v_and_b32_e32 v9, 0x7f, v115
	v_mov_b32_e32 v16, 0
	s_mov_b32 s26, exec_lo
	v_cmpx_ne_u32_e32 0x7f, v9
	s_cbranch_execz .LBB170_1069
; %bb.1066:                             ;   in Loop: Header=BB170_552 Depth=1
	v_and_b32_e32 v5, 7, v115
	v_lshrrev_b32_e32 v7, 3, v9
	s_mov_b32 s27, exec_lo
	v_cmpx_gt_u32_e32 8, v9
; %bb.1067:                             ;   in Loop: Header=BB170_552 Depth=1
	v_ffbh_u32_e32 v7, v5
	v_min_u32_e32 v7, 32, v7
	v_subrev_nc_u32_e32 v9, 28, v7
	v_sub_nc_u32_e32 v7, 29, v7
	v_lshlrev_b64 v[15:16], v9, v[5:6]
	v_and_b32_e32 v5, 7, v15
; %bb.1068:                             ;   in Loop: Header=BB170_552 Depth=1
	s_or_b32 exec_lo, exec_lo, s27
	v_lshlrev_b32_e32 v9, 24, v115
	v_lshlrev_b32_e32 v5, 20, v5
	v_lshl_add_u32 v7, v7, 23, 0x3c000000
	v_and_b32_e32 v9, 0x80000000, v9
	v_or3_b32 v5, v5, v9, v7
	v_mov_b32_e32 v16, v6
	v_mov_b32_e32 v15, v5
.LBB170_1069:                           ;   in Loop: Header=BB170_552 Depth=1
	s_or_b32 exec_lo, exec_lo, s26
.LBB170_1070:                           ;   in Loop: Header=BB170_552 Depth=1
	s_or_b32 exec_lo, exec_lo, s22
.LBB170_1071:                           ;   in Loop: Header=BB170_552 Depth=1
	s_or_b32 exec_lo, exec_lo, s21
	v_cmp_ne_u16_sdwa s0, v115, v6 src0_sel:BYTE_1 src1_sel:DWORD
	s_and_saveexec_b32 s21, s0
	s_cbranch_execz .LBB170_1079
; %bb.1072:                             ;   in Loop: Header=BB170_552 Depth=1
	v_mov_b32_e32 v7, v6
	v_mov_b32_e32 v18, v8
	v_cmp_ne_u16_sdwa s0, v115, v45 src0_sel:BYTE_1 src1_sel:DWORD
	v_mov_b32_e32 v17, v7
	s_and_saveexec_b32 s22, s0
	s_cbranch_execz .LBB170_1078
; %bb.1073:                             ;   in Loop: Header=BB170_552 Depth=1
	v_and_b32_sdwa v5, v46, v115 dst_sel:DWORD dst_unused:UNUSED_PAD src0_sel:DWORD src1_sel:BYTE_1
	v_mov_b32_e32 v9, v6
	v_mov_b32_e32 v18, v10
	s_mov_b32 s26, exec_lo
	v_and_b32_e32 v19, 0x7f, v5
	v_mov_b32_e32 v17, v9
	v_cmpx_ne_u32_e32 0x7f, v19
	s_cbranch_execz .LBB170_1077
; %bb.1074:                             ;   in Loop: Header=BB170_552 Depth=1
	v_and_b32_e32 v5, 7, v5
	v_lshrrev_b32_e32 v7, 3, v19
	s_mov_b32 s27, exec_lo
	v_cmpx_gt_u32_e32 8, v19
; %bb.1075:                             ;   in Loop: Header=BB170_552 Depth=1
	v_ffbh_u32_e32 v7, v5
	v_min_u32_e32 v7, 32, v7
	v_subrev_nc_u32_e32 v9, 28, v7
	v_sub_nc_u32_e32 v7, 29, v7
	v_lshlrev_b64 v[17:18], v9, v[5:6]
	v_and_b32_e32 v5, 7, v17
; %bb.1076:                             ;   in Loop: Header=BB170_552 Depth=1
	s_or_b32 exec_lo, exec_lo, s27
	v_lshlrev_b32_e32 v9, 16, v115
	v_lshlrev_b32_e32 v5, 20, v5
	v_lshl_add_u32 v7, v7, 23, 0x3c000000
	v_mov_b32_e32 v17, v6
	v_and_b32_e32 v9, 0x80000000, v9
	v_or3_b32 v18, v5, v9, v7
.LBB170_1077:                           ;   in Loop: Header=BB170_552 Depth=1
	s_or_b32 exec_lo, exec_lo, s26
.LBB170_1078:                           ;   in Loop: Header=BB170_552 Depth=1
	s_or_b32 exec_lo, exec_lo, s22
.LBB170_1079:                           ;   in Loop: Header=BB170_552 Depth=1
	s_or_b32 exec_lo, exec_lo, s21
	v_mov_b32_e32 v21, 0
	v_mov_b32_e32 v19, 0
	v_and_b32_sdwa v5, v115, v47 dst_sel:DWORD dst_unused:UNUSED_PAD src0_sel:WORD_1 src1_sel:DWORD
	v_mov_b32_e32 v22, 0
	v_mov_b32_e32 v20, 0
	s_mov_b32 s21, exec_lo
	v_cmpx_ne_u16_e32 0, v5
	s_cbranch_execz .LBB170_1087
; %bb.1080:                             ;   in Loop: Header=BB170_552 Depth=1
	v_bfrev_b32_e32 v19, 1
	v_mov_b32_e32 v20, 0
	s_mov_b32 s22, exec_lo
	v_cmpx_ne_u16_e32 0x80, v5
	s_cbranch_execz .LBB170_1086
; %bb.1081:                             ;   in Loop: Header=BB170_552 Depth=1
	v_mov_b32_e32 v19, 0x7f800001
	v_bfe_u32 v9, v115, 16, 7
	v_mov_b32_e32 v20, 0
	s_mov_b32 s26, exec_lo
	v_cmpx_ne_u32_e32 0x7f, v9
	s_cbranch_execz .LBB170_1085
; %bb.1082:                             ;   in Loop: Header=BB170_552 Depth=1
	v_and_b32_sdwa v5, v115, v48 dst_sel:DWORD dst_unused:UNUSED_PAD src0_sel:WORD_1 src1_sel:DWORD
	v_lshrrev_b32_e32 v7, 3, v9
	s_mov_b32 s27, exec_lo
	v_cmpx_gt_u32_e32 8, v9
; %bb.1083:                             ;   in Loop: Header=BB170_552 Depth=1
	v_ffbh_u32_e32 v7, v5
	v_min_u32_e32 v7, 32, v7
	v_subrev_nc_u32_e32 v9, 28, v7
	v_sub_nc_u32_e32 v7, 29, v7
	v_lshlrev_b64 v[19:20], v9, v[5:6]
	v_and_b32_e32 v5, 7, v19
; %bb.1084:                             ;   in Loop: Header=BB170_552 Depth=1
	s_or_b32 exec_lo, exec_lo, s27
	v_lshlrev_b32_sdwa v9, v49, v115 dst_sel:DWORD dst_unused:UNUSED_PAD src0_sel:DWORD src1_sel:WORD_1
	v_lshlrev_b32_e32 v5, 20, v5
	v_lshl_add_u32 v7, v7, 23, 0x3c000000
	v_and_b32_e32 v9, 0x80000000, v9
	v_or3_b32 v5, v5, v9, v7
	v_mov_b32_e32 v20, v6
	v_mov_b32_e32 v19, v5
.LBB170_1085:                           ;   in Loop: Header=BB170_552 Depth=1
	s_or_b32 exec_lo, exec_lo, s26
.LBB170_1086:                           ;   in Loop: Header=BB170_552 Depth=1
	s_or_b32 exec_lo, exec_lo, s22
.LBB170_1087:                           ;   in Loop: Header=BB170_552 Depth=1
	s_or_b32 exec_lo, exec_lo, s21
	s_mov_b32 s21, exec_lo
	v_cmpx_lt_u32_e32 0xffffff, v115
	s_cbranch_execz .LBB170_1095
; %bb.1088:                             ;   in Loop: Header=BB170_552 Depth=1
	v_mov_b32_e32 v7, v6
	v_mov_b32_e32 v22, v8
	v_cmp_ne_u32_sdwa s0, v115, v45 src0_sel:BYTE_3 src1_sel:DWORD
	v_mov_b32_e32 v21, v7
	s_and_saveexec_b32 s22, s0
	s_cbranch_execz .LBB170_1094
; %bb.1089:                             ;   in Loop: Header=BB170_552 Depth=1
	v_mov_b32_e32 v9, v6
	v_mov_b32_e32 v22, v10
	v_bfe_u32 v116, v115, 24, 7
	s_mov_b32 s26, exec_lo
	v_mov_b32_e32 v21, v9
	v_cmpx_ne_u32_e32 0x7f, v116
	s_cbranch_execz .LBB170_1093
; %bb.1090:                             ;   in Loop: Header=BB170_552 Depth=1
	v_and_b32_sdwa v5, v115, v48 dst_sel:DWORD dst_unused:UNUSED_PAD src0_sel:BYTE_3 src1_sel:DWORD
	v_lshrrev_b32_e32 v7, 3, v116
	s_mov_b32 s27, exec_lo
	v_cmpx_gt_u32_e32 8, v116
; %bb.1091:                             ;   in Loop: Header=BB170_552 Depth=1
	v_ffbh_u32_e32 v7, v5
	v_min_u32_e32 v7, 32, v7
	v_subrev_nc_u32_e32 v9, 28, v7
	v_sub_nc_u32_e32 v7, 29, v7
	v_lshlrev_b64 v[21:22], v9, v[5:6]
	v_and_b32_e32 v5, 7, v21
; %bb.1092:                             ;   in Loop: Header=BB170_552 Depth=1
	s_or_b32 exec_lo, exec_lo, s27
	v_lshlrev_b32_sdwa v9, v49, v115 dst_sel:DWORD dst_unused:UNUSED_PAD src0_sel:DWORD src1_sel:BYTE_3
	v_lshlrev_b32_e32 v5, 20, v5
	v_lshl_add_u32 v7, v7, 23, 0x3c000000
	v_mov_b32_e32 v21, v6
	v_and_b32_e32 v9, 0x80000000, v9
	v_or3_b32 v22, v5, v9, v7
.LBB170_1093:                           ;   in Loop: Header=BB170_552 Depth=1
	s_or_b32 exec_lo, exec_lo, s26
.LBB170_1094:                           ;   in Loop: Header=BB170_552 Depth=1
	s_or_b32 exec_lo, exec_lo, s22
.LBB170_1095:                           ;   in Loop: Header=BB170_552 Depth=1
	s_or_b32 exec_lo, exec_lo, s21
	v_or_b32_e32 v5, v18, v16
	v_or_b32_e32 v7, v17, v15
	;; [unrolled: 1-line block ×4, first 2 shown]
	v_mul_f32_e32 v9, s18, v5
	v_mul_f32_e32 v15, s17, v7
	;; [unrolled: 1-line block ×4, first 2 shown]
	s_and_saveexec_b32 s0, vcc_lo
	s_cbranch_execz .LBB170_550
; %bb.1096:                             ;   in Loop: Header=BB170_552 Depth=1
	v_cmp_gt_i32_e32 vcc_lo, s33, v57
	v_cndmask_b32_e32 v15, 0, v15, vcc_lo
	v_cmp_gt_i32_e32 vcc_lo, s33, v62
	v_cndmask_b32_e32 v9, 0, v9, vcc_lo
	;; [unrolled: 2-line block ×4, first 2 shown]
	s_branch .LBB170_550
.LBB170_1097:
	s_or_b32 exec_lo, exec_lo, s5
	v_mov_b32_e32 v44, v117
	v_mov_b32_e32 v73, v118
.LBB170_1098:
	s_or_b32 exec_lo, exec_lo, s1
	ds_bpermute_b32 v0, v26, v42
	ds_bpermute_b32 v2, v26, v43
	;; [unrolled: 1-line block ×16, first 2 shown]
	v_and_b32_e32 v19, 0x3c1, v44
	v_lshlrev_b32_e32 v18, 10, v73
	s_mov_b32 s0, exec_lo
	s_waitcnt lgkmcnt(0)
	v_add_f32_e32 v1, v42, v0
	v_lshrrev_b32_e32 v0, 1, v25
	v_add_f32_e32 v2, v43, v2
	v_add_f32_e32 v3, v41, v3
	;; [unrolled: 1-line block ×15, first 2 shown]
	v_lshl_add_u32 v17, v0, 2, 0x420
	s_barrier
	buffer_gl0_inv
	v_cmpx_eq_u32_e32 64, v19
	s_cbranch_execz .LBB170_1100
; %bb.1099:
	v_add_nc_u32_e32 v19, v17, v18
	v_add_nc_u32_e32 v20, 0xfffff800, v19
	;; [unrolled: 1-line block ×7, first 2 shown]
	ds_write_b32 v20, v1
	ds_write_b32 v21, v2
	;; [unrolled: 1-line block ×6, first 2 shown]
	v_add_nc_u32_e32 v20, 0xfffff980, v19
	v_add_nc_u32_e32 v21, 0xfffff9c0, v19
	;; [unrolled: 1-line block ×5, first 2 shown]
	ds_write_b32 v20, v7
	ds_write_b32 v21, v8
	ds_write_b32 v22, v9
	ds_write_b32 v23, v10
	ds_write_b32 v24, v11
	v_add_nc_u32_e32 v20, 0xfffffac0, v19
	v_add_nc_u32_e32 v21, 0xfffffb00, v19
	;; [unrolled: 1-line block ×5, first 2 shown]
	ds_write_b32 v20, v12
	ds_write_b32 v21, v13
	;; [unrolled: 1-line block ×5, first 2 shown]
.LBB170_1100:
	s_or_b32 exec_lo, exec_lo, s0
	v_lshlrev_b32_e32 v0, 2, v0
	s_mov_b32 s1, exec_lo
	v_cmp_eq_u32_e32 vcc_lo, 0, v27
	s_waitcnt lgkmcnt(0)
	s_barrier
	v_add3_u32 v0, 0x420, v18, v0
	buffer_gl0_inv
	v_cmpx_gt_u32_e32 64, v44
	s_cbranch_execz .LBB170_1119
; %bb.1101:
	s_and_saveexec_b32 s0, vcc_lo
	s_cbranch_execnz .LBB170_1143
; %bb.1102:
	s_or_b32 exec_lo, exec_lo, s0
	s_and_saveexec_b32 s0, vcc_lo
	s_cbranch_execnz .LBB170_1144
.LBB170_1103:
	s_or_b32 exec_lo, exec_lo, s0
	s_and_saveexec_b32 s0, vcc_lo
	s_cbranch_execnz .LBB170_1145
.LBB170_1104:
	s_or_b32 exec_lo, exec_lo, s0
	s_and_saveexec_b32 s0, vcc_lo
	s_cbranch_execnz .LBB170_1146
.LBB170_1105:
	s_or_b32 exec_lo, exec_lo, s0
	s_and_saveexec_b32 s0, vcc_lo
	s_cbranch_execnz .LBB170_1147
.LBB170_1106:
	s_or_b32 exec_lo, exec_lo, s0
	s_and_saveexec_b32 s0, vcc_lo
	s_cbranch_execnz .LBB170_1148
.LBB170_1107:
	s_or_b32 exec_lo, exec_lo, s0
	s_and_saveexec_b32 s0, vcc_lo
	s_cbranch_execnz .LBB170_1149
.LBB170_1108:
	s_or_b32 exec_lo, exec_lo, s0
	s_and_saveexec_b32 s0, vcc_lo
	s_cbranch_execnz .LBB170_1150
.LBB170_1109:
	s_or_b32 exec_lo, exec_lo, s0
	s_and_saveexec_b32 s0, vcc_lo
	s_cbranch_execnz .LBB170_1151
.LBB170_1110:
	s_or_b32 exec_lo, exec_lo, s0
	s_and_saveexec_b32 s0, vcc_lo
	s_cbranch_execnz .LBB170_1152
.LBB170_1111:
	s_or_b32 exec_lo, exec_lo, s0
	s_and_saveexec_b32 s0, vcc_lo
	s_cbranch_execnz .LBB170_1153
.LBB170_1112:
	s_or_b32 exec_lo, exec_lo, s0
	s_and_saveexec_b32 s0, vcc_lo
	s_cbranch_execnz .LBB170_1154
.LBB170_1113:
	s_or_b32 exec_lo, exec_lo, s0
	s_and_saveexec_b32 s0, vcc_lo
	s_cbranch_execnz .LBB170_1155
.LBB170_1114:
	s_or_b32 exec_lo, exec_lo, s0
	s_and_saveexec_b32 s0, vcc_lo
	s_cbranch_execnz .LBB170_1156
.LBB170_1115:
	s_or_b32 exec_lo, exec_lo, s0
	s_and_saveexec_b32 s0, vcc_lo
	s_cbranch_execnz .LBB170_1157
.LBB170_1116:
	s_or_b32 exec_lo, exec_lo, s0
	s_and_saveexec_b32 s0, vcc_lo
	s_cbranch_execz .LBB170_1118
.LBB170_1117:
	ds_read_b32 v18, v0 offset:960
	s_waitcnt lgkmcnt(0)
	v_add_f32_e32 v16, v16, v18
.LBB170_1118:
	s_or_b32 exec_lo, exec_lo, s0
.LBB170_1119:
	s_or_b32 exec_lo, exec_lo, s1
	v_and_b32_e32 v18, 0x3e1, v44
	s_mov_b32 s1, exec_lo
	s_barrier
	buffer_gl0_inv
	v_cmpx_eq_u32_e32 32, v18
	s_cbranch_execz .LBB170_1121
; %bb.1120:
	ds_write2_b32 v17, v1, v2 offset1:16
	ds_write2_b32 v17, v3, v4 offset0:32 offset1:48
	ds_write2_b32 v17, v5, v6 offset0:64 offset1:80
	;; [unrolled: 1-line block ×7, first 2 shown]
.LBB170_1121:
	s_or_b32 exec_lo, exec_lo, s1
	s_mov_b32 s1, exec_lo
	s_waitcnt lgkmcnt(0)
	s_barrier
	buffer_gl0_inv
	v_cmpx_gt_u32_e32 32, v44
	s_cbranch_execz .LBB170_1140
; %bb.1122:
	s_and_saveexec_b32 s0, vcc_lo
	s_cbranch_execnz .LBB170_1158
; %bb.1123:
	s_or_b32 exec_lo, exec_lo, s0
	s_and_saveexec_b32 s0, vcc_lo
	s_cbranch_execnz .LBB170_1159
.LBB170_1124:
	s_or_b32 exec_lo, exec_lo, s0
	s_and_saveexec_b32 s0, vcc_lo
	s_cbranch_execnz .LBB170_1160
.LBB170_1125:
	s_or_b32 exec_lo, exec_lo, s0
	s_and_saveexec_b32 s0, vcc_lo
	s_cbranch_execnz .LBB170_1161
.LBB170_1126:
	s_or_b32 exec_lo, exec_lo, s0
	s_and_saveexec_b32 s0, vcc_lo
	s_cbranch_execnz .LBB170_1162
.LBB170_1127:
	s_or_b32 exec_lo, exec_lo, s0
	s_and_saveexec_b32 s0, vcc_lo
	s_cbranch_execnz .LBB170_1163
.LBB170_1128:
	s_or_b32 exec_lo, exec_lo, s0
	s_and_saveexec_b32 s0, vcc_lo
	s_cbranch_execnz .LBB170_1164
.LBB170_1129:
	s_or_b32 exec_lo, exec_lo, s0
	s_and_saveexec_b32 s0, vcc_lo
	s_cbranch_execnz .LBB170_1165
.LBB170_1130:
	s_or_b32 exec_lo, exec_lo, s0
	s_and_saveexec_b32 s0, vcc_lo
	s_cbranch_execnz .LBB170_1166
.LBB170_1131:
	s_or_b32 exec_lo, exec_lo, s0
	s_and_saveexec_b32 s0, vcc_lo
	s_cbranch_execnz .LBB170_1167
.LBB170_1132:
	s_or_b32 exec_lo, exec_lo, s0
	s_and_saveexec_b32 s0, vcc_lo
	s_cbranch_execnz .LBB170_1168
.LBB170_1133:
	s_or_b32 exec_lo, exec_lo, s0
	s_and_saveexec_b32 s0, vcc_lo
	s_cbranch_execnz .LBB170_1169
.LBB170_1134:
	s_or_b32 exec_lo, exec_lo, s0
	s_and_saveexec_b32 s0, vcc_lo
	s_cbranch_execnz .LBB170_1170
.LBB170_1135:
	s_or_b32 exec_lo, exec_lo, s0
	s_and_saveexec_b32 s0, vcc_lo
	s_cbranch_execnz .LBB170_1171
.LBB170_1136:
	s_or_b32 exec_lo, exec_lo, s0
	s_and_saveexec_b32 s0, vcc_lo
	s_cbranch_execnz .LBB170_1172
.LBB170_1137:
	s_or_b32 exec_lo, exec_lo, s0
	s_and_saveexec_b32 s0, vcc_lo
	s_cbranch_execz .LBB170_1139
.LBB170_1138:
	ds_read_b32 v0, v0 offset:960
	s_waitcnt lgkmcnt(0)
	v_add_f32_e32 v16, v16, v0
.LBB170_1139:
	s_or_b32 exec_lo, exec_lo, s0
.LBB170_1140:
	s_or_b32 exec_lo, exec_lo, s1
	s_barrier
	buffer_gl0_inv
	s_mov_b32 s0, exec_lo
	v_cmpx_eq_u32_e32 0, v18
	s_cbranch_execz .LBB170_1142
; %bb.1141:
	s_mul_i32 s0, s10, s11
	s_mul_i32 s2, s11, s24
	s_mul_i32 s0, s0, s9
	v_lshlrev_b32_e32 v0, 1, v44
	s_lshl_b32 s0, s0, 8
	s_ashr_i32 s1, s0, 31
	s_lshl_b64 s[0:1], s[0:1], 2
	s_add_u32 s4, s6, s0
	s_addc_u32 s5, s7, s1
	s_ashr_i32 s3, s2, 31
	s_lshl_b64 s[0:1], s[2:3], 2
	s_add_u32 s2, s4, s0
	s_addc_u32 s3, s5, s1
	s_lshl_b32 s0, s8, 8
	s_ashr_i32 s1, s0, 31
	s_lshl_b64 s[0:1], s[0:1], 2
	s_add_u32 s0, s2, s0
	s_addc_u32 s1, s3, s1
	global_store_dword v0, v1, s[0:1]
	global_store_dword v0, v2, s[0:1] offset:64
	global_store_dword v0, v3, s[0:1] offset:128
	;; [unrolled: 1-line block ×15, first 2 shown]
.LBB170_1142:
	s_endpgm
.LBB170_1143:
	ds_read_b32 v18, v0
	s_waitcnt lgkmcnt(0)
	v_add_f32_e32 v1, v1, v18
	s_or_b32 exec_lo, exec_lo, s0
	s_and_saveexec_b32 s0, vcc_lo
	s_cbranch_execz .LBB170_1103
.LBB170_1144:
	ds_read_b32 v18, v0 offset:64
	s_waitcnt lgkmcnt(0)
	v_add_f32_e32 v2, v2, v18
	s_or_b32 exec_lo, exec_lo, s0
	s_and_saveexec_b32 s0, vcc_lo
	s_cbranch_execz .LBB170_1104
.LBB170_1145:
	ds_read_b32 v18, v0 offset:128
	s_waitcnt lgkmcnt(0)
	v_add_f32_e32 v3, v3, v18
	s_or_b32 exec_lo, exec_lo, s0
	s_and_saveexec_b32 s0, vcc_lo
	s_cbranch_execz .LBB170_1105
.LBB170_1146:
	ds_read_b32 v18, v0 offset:192
	s_waitcnt lgkmcnt(0)
	v_add_f32_e32 v4, v4, v18
	s_or_b32 exec_lo, exec_lo, s0
	s_and_saveexec_b32 s0, vcc_lo
	s_cbranch_execz .LBB170_1106
.LBB170_1147:
	ds_read_b32 v18, v0 offset:256
	s_waitcnt lgkmcnt(0)
	v_add_f32_e32 v5, v5, v18
	s_or_b32 exec_lo, exec_lo, s0
	s_and_saveexec_b32 s0, vcc_lo
	s_cbranch_execz .LBB170_1107
.LBB170_1148:
	ds_read_b32 v18, v0 offset:320
	s_waitcnt lgkmcnt(0)
	v_add_f32_e32 v6, v6, v18
	s_or_b32 exec_lo, exec_lo, s0
	s_and_saveexec_b32 s0, vcc_lo
	s_cbranch_execz .LBB170_1108
.LBB170_1149:
	ds_read_b32 v18, v0 offset:384
	s_waitcnt lgkmcnt(0)
	v_add_f32_e32 v7, v7, v18
	s_or_b32 exec_lo, exec_lo, s0
	s_and_saveexec_b32 s0, vcc_lo
	s_cbranch_execz .LBB170_1109
.LBB170_1150:
	ds_read_b32 v18, v0 offset:448
	s_waitcnt lgkmcnt(0)
	v_add_f32_e32 v8, v8, v18
	s_or_b32 exec_lo, exec_lo, s0
	s_and_saveexec_b32 s0, vcc_lo
	s_cbranch_execz .LBB170_1110
.LBB170_1151:
	ds_read_b32 v18, v0 offset:512
	s_waitcnt lgkmcnt(0)
	v_add_f32_e32 v9, v9, v18
	s_or_b32 exec_lo, exec_lo, s0
	s_and_saveexec_b32 s0, vcc_lo
	s_cbranch_execz .LBB170_1111
.LBB170_1152:
	ds_read_b32 v18, v0 offset:576
	s_waitcnt lgkmcnt(0)
	v_add_f32_e32 v10, v10, v18
	s_or_b32 exec_lo, exec_lo, s0
	s_and_saveexec_b32 s0, vcc_lo
	s_cbranch_execz .LBB170_1112
.LBB170_1153:
	ds_read_b32 v18, v0 offset:640
	s_waitcnt lgkmcnt(0)
	v_add_f32_e32 v11, v11, v18
	s_or_b32 exec_lo, exec_lo, s0
	s_and_saveexec_b32 s0, vcc_lo
	s_cbranch_execz .LBB170_1113
.LBB170_1154:
	ds_read_b32 v18, v0 offset:704
	s_waitcnt lgkmcnt(0)
	v_add_f32_e32 v12, v12, v18
	s_or_b32 exec_lo, exec_lo, s0
	s_and_saveexec_b32 s0, vcc_lo
	s_cbranch_execz .LBB170_1114
.LBB170_1155:
	ds_read_b32 v18, v0 offset:768
	s_waitcnt lgkmcnt(0)
	v_add_f32_e32 v13, v13, v18
	s_or_b32 exec_lo, exec_lo, s0
	s_and_saveexec_b32 s0, vcc_lo
	s_cbranch_execz .LBB170_1115
.LBB170_1156:
	ds_read_b32 v18, v0 offset:832
	s_waitcnt lgkmcnt(0)
	v_add_f32_e32 v14, v14, v18
	s_or_b32 exec_lo, exec_lo, s0
	s_and_saveexec_b32 s0, vcc_lo
	s_cbranch_execz .LBB170_1116
.LBB170_1157:
	ds_read_b32 v18, v0 offset:896
	s_waitcnt lgkmcnt(0)
	v_add_f32_e32 v15, v15, v18
	s_or_b32 exec_lo, exec_lo, s0
	s_and_saveexec_b32 s0, vcc_lo
	s_cbranch_execnz .LBB170_1117
	s_branch .LBB170_1118
.LBB170_1158:
	ds_read_b32 v17, v0
	s_waitcnt lgkmcnt(0)
	v_add_f32_e32 v1, v1, v17
	s_or_b32 exec_lo, exec_lo, s0
	s_and_saveexec_b32 s0, vcc_lo
	s_cbranch_execz .LBB170_1124
.LBB170_1159:
	ds_read_b32 v17, v0 offset:64
	s_waitcnt lgkmcnt(0)
	v_add_f32_e32 v2, v2, v17
	s_or_b32 exec_lo, exec_lo, s0
	s_and_saveexec_b32 s0, vcc_lo
	s_cbranch_execz .LBB170_1125
.LBB170_1160:
	ds_read_b32 v17, v0 offset:128
	s_waitcnt lgkmcnt(0)
	v_add_f32_e32 v3, v3, v17
	s_or_b32 exec_lo, exec_lo, s0
	s_and_saveexec_b32 s0, vcc_lo
	s_cbranch_execz .LBB170_1126
.LBB170_1161:
	ds_read_b32 v17, v0 offset:192
	s_waitcnt lgkmcnt(0)
	v_add_f32_e32 v4, v4, v17
	s_or_b32 exec_lo, exec_lo, s0
	s_and_saveexec_b32 s0, vcc_lo
	s_cbranch_execz .LBB170_1127
.LBB170_1162:
	ds_read_b32 v17, v0 offset:256
	s_waitcnt lgkmcnt(0)
	v_add_f32_e32 v5, v5, v17
	s_or_b32 exec_lo, exec_lo, s0
	s_and_saveexec_b32 s0, vcc_lo
	s_cbranch_execz .LBB170_1128
.LBB170_1163:
	ds_read_b32 v17, v0 offset:320
	s_waitcnt lgkmcnt(0)
	v_add_f32_e32 v6, v6, v17
	s_or_b32 exec_lo, exec_lo, s0
	s_and_saveexec_b32 s0, vcc_lo
	s_cbranch_execz .LBB170_1129
.LBB170_1164:
	ds_read_b32 v17, v0 offset:384
	s_waitcnt lgkmcnt(0)
	v_add_f32_e32 v7, v7, v17
	s_or_b32 exec_lo, exec_lo, s0
	s_and_saveexec_b32 s0, vcc_lo
	s_cbranch_execz .LBB170_1130
.LBB170_1165:
	ds_read_b32 v17, v0 offset:448
	s_waitcnt lgkmcnt(0)
	v_add_f32_e32 v8, v8, v17
	s_or_b32 exec_lo, exec_lo, s0
	s_and_saveexec_b32 s0, vcc_lo
	s_cbranch_execz .LBB170_1131
.LBB170_1166:
	ds_read_b32 v17, v0 offset:512
	s_waitcnt lgkmcnt(0)
	v_add_f32_e32 v9, v9, v17
	s_or_b32 exec_lo, exec_lo, s0
	s_and_saveexec_b32 s0, vcc_lo
	s_cbranch_execz .LBB170_1132
.LBB170_1167:
	ds_read_b32 v17, v0 offset:576
	s_waitcnt lgkmcnt(0)
	v_add_f32_e32 v10, v10, v17
	s_or_b32 exec_lo, exec_lo, s0
	s_and_saveexec_b32 s0, vcc_lo
	s_cbranch_execz .LBB170_1133
.LBB170_1168:
	ds_read_b32 v17, v0 offset:640
	s_waitcnt lgkmcnt(0)
	v_add_f32_e32 v11, v11, v17
	s_or_b32 exec_lo, exec_lo, s0
	s_and_saveexec_b32 s0, vcc_lo
	s_cbranch_execz .LBB170_1134
.LBB170_1169:
	ds_read_b32 v17, v0 offset:704
	s_waitcnt lgkmcnt(0)
	v_add_f32_e32 v12, v12, v17
	s_or_b32 exec_lo, exec_lo, s0
	s_and_saveexec_b32 s0, vcc_lo
	s_cbranch_execz .LBB170_1135
.LBB170_1170:
	ds_read_b32 v17, v0 offset:768
	s_waitcnt lgkmcnt(0)
	v_add_f32_e32 v13, v13, v17
	s_or_b32 exec_lo, exec_lo, s0
	s_and_saveexec_b32 s0, vcc_lo
	s_cbranch_execz .LBB170_1136
.LBB170_1171:
	ds_read_b32 v17, v0 offset:832
	s_waitcnt lgkmcnt(0)
	v_add_f32_e32 v14, v14, v17
	s_or_b32 exec_lo, exec_lo, s0
	s_and_saveexec_b32 s0, vcc_lo
	s_cbranch_execz .LBB170_1137
.LBB170_1172:
	ds_read_b32 v17, v0 offset:896
	s_waitcnt lgkmcnt(0)
	v_add_f32_e32 v15, v15, v17
	s_or_b32 exec_lo, exec_lo, s0
	s_and_saveexec_b32 s0, vcc_lo
	s_cbranch_execnz .LBB170_1138
	s_branch .LBB170_1139
	.section	.rodata,"a",@progbits
	.p2align	6, 0x0
	.amdhsa_kernel _ZN4vllm25paged_attention_v1_kernelIfhLi256ELi8ELi128ELNS_18Fp8KVCacheDataTypeE1ELb1EEEvPT_PKS2_PKT0_S8_ifPKiSA_iPKfiiiSC_SC_iiiii
		.amdhsa_group_segment_fixed_size 1056
		.amdhsa_private_segment_fixed_size 52
		.amdhsa_kernarg_size 384
		.amdhsa_user_sgpr_count 6
		.amdhsa_user_sgpr_private_segment_buffer 1
		.amdhsa_user_sgpr_dispatch_ptr 0
		.amdhsa_user_sgpr_queue_ptr 0
		.amdhsa_user_sgpr_kernarg_segment_ptr 1
		.amdhsa_user_sgpr_dispatch_id 0
		.amdhsa_user_sgpr_flat_scratch_init 0
		.amdhsa_user_sgpr_private_segment_size 0
		.amdhsa_wavefront_size32 1
		.amdhsa_uses_dynamic_stack 0
		.amdhsa_system_sgpr_private_segment_wavefront_offset 1
		.amdhsa_system_sgpr_workgroup_id_x 1
		.amdhsa_system_sgpr_workgroup_id_y 1
		.amdhsa_system_sgpr_workgroup_id_z 1
		.amdhsa_system_sgpr_workgroup_info 0
		.amdhsa_system_vgpr_workitem_id 0
		.amdhsa_next_free_vgpr 128
		.amdhsa_next_free_sgpr 52
		.amdhsa_reserve_vcc 1
		.amdhsa_reserve_flat_scratch 0
		.amdhsa_float_round_mode_32 0
		.amdhsa_float_round_mode_16_64 0
		.amdhsa_float_denorm_mode_32 3
		.amdhsa_float_denorm_mode_16_64 3
		.amdhsa_dx10_clamp 1
		.amdhsa_ieee_mode 1
		.amdhsa_fp16_overflow 0
		.amdhsa_workgroup_processor_mode 1
		.amdhsa_memory_ordered 1
		.amdhsa_forward_progress 1
		.amdhsa_shared_vgpr_count 0
		.amdhsa_exception_fp_ieee_invalid_op 0
		.amdhsa_exception_fp_denorm_src 0
		.amdhsa_exception_fp_ieee_div_zero 0
		.amdhsa_exception_fp_ieee_overflow 0
		.amdhsa_exception_fp_ieee_underflow 0
		.amdhsa_exception_fp_ieee_inexact 0
		.amdhsa_exception_int_div_zero 0
	.end_amdhsa_kernel
	.section	.text._ZN4vllm25paged_attention_v1_kernelIfhLi256ELi8ELi128ELNS_18Fp8KVCacheDataTypeE1ELb1EEEvPT_PKS2_PKT0_S8_ifPKiSA_iPKfiiiSC_SC_iiiii,"axG",@progbits,_ZN4vllm25paged_attention_v1_kernelIfhLi256ELi8ELi128ELNS_18Fp8KVCacheDataTypeE1ELb1EEEvPT_PKS2_PKT0_S8_ifPKiSA_iPKfiiiSC_SC_iiiii,comdat
.Lfunc_end170:
	.size	_ZN4vllm25paged_attention_v1_kernelIfhLi256ELi8ELi128ELNS_18Fp8KVCacheDataTypeE1ELb1EEEvPT_PKS2_PKT0_S8_ifPKiSA_iPKfiiiSC_SC_iiiii, .Lfunc_end170-_ZN4vllm25paged_attention_v1_kernelIfhLi256ELi8ELi128ELNS_18Fp8KVCacheDataTypeE1ELb1EEEvPT_PKS2_PKT0_S8_ifPKiSA_iPKfiiiSC_SC_iiiii
                                        ; -- End function
	.set _ZN4vllm25paged_attention_v1_kernelIfhLi256ELi8ELi128ELNS_18Fp8KVCacheDataTypeE1ELb1EEEvPT_PKS2_PKT0_S8_ifPKiSA_iPKfiiiSC_SC_iiiii.num_vgpr, 128
	.set _ZN4vllm25paged_attention_v1_kernelIfhLi256ELi8ELi128ELNS_18Fp8KVCacheDataTypeE1ELb1EEEvPT_PKS2_PKT0_S8_ifPKiSA_iPKfiiiSC_SC_iiiii.num_agpr, 0
	.set _ZN4vllm25paged_attention_v1_kernelIfhLi256ELi8ELi128ELNS_18Fp8KVCacheDataTypeE1ELb1EEEvPT_PKS2_PKT0_S8_ifPKiSA_iPKfiiiSC_SC_iiiii.numbered_sgpr, 52
	.set _ZN4vllm25paged_attention_v1_kernelIfhLi256ELi8ELi128ELNS_18Fp8KVCacheDataTypeE1ELb1EEEvPT_PKS2_PKT0_S8_ifPKiSA_iPKfiiiSC_SC_iiiii.num_named_barrier, 0
	.set _ZN4vllm25paged_attention_v1_kernelIfhLi256ELi8ELi128ELNS_18Fp8KVCacheDataTypeE1ELb1EEEvPT_PKS2_PKT0_S8_ifPKiSA_iPKfiiiSC_SC_iiiii.private_seg_size, 52
	.set _ZN4vllm25paged_attention_v1_kernelIfhLi256ELi8ELi128ELNS_18Fp8KVCacheDataTypeE1ELb1EEEvPT_PKS2_PKT0_S8_ifPKiSA_iPKfiiiSC_SC_iiiii.uses_vcc, 1
	.set _ZN4vllm25paged_attention_v1_kernelIfhLi256ELi8ELi128ELNS_18Fp8KVCacheDataTypeE1ELb1EEEvPT_PKS2_PKT0_S8_ifPKiSA_iPKfiiiSC_SC_iiiii.uses_flat_scratch, 0
	.set _ZN4vllm25paged_attention_v1_kernelIfhLi256ELi8ELi128ELNS_18Fp8KVCacheDataTypeE1ELb1EEEvPT_PKS2_PKT0_S8_ifPKiSA_iPKfiiiSC_SC_iiiii.has_dyn_sized_stack, 0
	.set _ZN4vllm25paged_attention_v1_kernelIfhLi256ELi8ELi128ELNS_18Fp8KVCacheDataTypeE1ELb1EEEvPT_PKS2_PKT0_S8_ifPKiSA_iPKfiiiSC_SC_iiiii.has_recursion, 0
	.set _ZN4vllm25paged_attention_v1_kernelIfhLi256ELi8ELi128ELNS_18Fp8KVCacheDataTypeE1ELb1EEEvPT_PKS2_PKT0_S8_ifPKiSA_iPKfiiiSC_SC_iiiii.has_indirect_call, 0
	.section	.AMDGPU.csdata,"",@progbits
; Kernel info:
; codeLenInByte = 32428
; TotalNumSgprs: 54
; NumVgprs: 128
; ScratchSize: 52
; MemoryBound: 0
; FloatMode: 240
; IeeeMode: 1
; LDSByteSize: 1056 bytes/workgroup (compile time only)
; SGPRBlocks: 0
; VGPRBlocks: 15
; NumSGPRsForWavesPerEU: 54
; NumVGPRsForWavesPerEU: 128
; Occupancy: 8
; WaveLimiterHint : 1
; COMPUTE_PGM_RSRC2:SCRATCH_EN: 1
; COMPUTE_PGM_RSRC2:USER_SGPR: 6
; COMPUTE_PGM_RSRC2:TRAP_HANDLER: 0
; COMPUTE_PGM_RSRC2:TGID_X_EN: 1
; COMPUTE_PGM_RSRC2:TGID_Y_EN: 1
; COMPUTE_PGM_RSRC2:TGID_Z_EN: 1
; COMPUTE_PGM_RSRC2:TIDIG_COMP_CNT: 0
	.section	.text._ZN4vllm25paged_attention_v1_kernelIfhLi32ELi8ELi128ELNS_18Fp8KVCacheDataTypeE1ELb0EEEvPT_PKS2_PKT0_S8_ifPKiSA_iPKfiiiSC_SC_iiiii,"axG",@progbits,_ZN4vllm25paged_attention_v1_kernelIfhLi32ELi8ELi128ELNS_18Fp8KVCacheDataTypeE1ELb0EEEvPT_PKS2_PKT0_S8_ifPKiSA_iPKfiiiSC_SC_iiiii,comdat
	.protected	_ZN4vllm25paged_attention_v1_kernelIfhLi32ELi8ELi128ELNS_18Fp8KVCacheDataTypeE1ELb0EEEvPT_PKS2_PKT0_S8_ifPKiSA_iPKfiiiSC_SC_iiiii ; -- Begin function _ZN4vllm25paged_attention_v1_kernelIfhLi32ELi8ELi128ELNS_18Fp8KVCacheDataTypeE1ELb0EEEvPT_PKS2_PKT0_S8_ifPKiSA_iPKfiiiSC_SC_iiiii
	.globl	_ZN4vllm25paged_attention_v1_kernelIfhLi32ELi8ELi128ELNS_18Fp8KVCacheDataTypeE1ELb0EEEvPT_PKS2_PKT0_S8_ifPKiSA_iPKfiiiSC_SC_iiiii
	.p2align	8
	.type	_ZN4vllm25paged_attention_v1_kernelIfhLi32ELi8ELi128ELNS_18Fp8KVCacheDataTypeE1ELb0EEEvPT_PKS2_PKT0_S8_ifPKiSA_iPKfiiiSC_SC_iiiii,@function
_ZN4vllm25paged_attention_v1_kernelIfhLi32ELi8ELi128ELNS_18Fp8KVCacheDataTypeE1ELb0EEEvPT_PKS2_PKT0_S8_ifPKiSA_iPKfiiiSC_SC_iiiii: ; @_ZN4vllm25paged_attention_v1_kernelIfhLi32ELi8ELi128ELNS_18Fp8KVCacheDataTypeE1ELb0EEEvPT_PKS2_PKT0_S8_ifPKiSA_iPKfiiiSC_SC_iiiii
; %bb.0:
	s_clause 0x2
	s_load_dword s9, s[4:5], 0x80
	s_load_dwordx2 s[0:1], s[4:5], 0x30
	s_load_dwordx2 s[28:29], s[4:5], 0x20
	s_mov_b32 s10, s7
	s_ashr_i32 s11, s7, 31
	s_lshl_b64 s[2:3], s[10:11], 2
	s_waitcnt lgkmcnt(0)
	s_add_u32 s0, s0, s2
	s_addc_u32 s1, s1, s3
	s_abs_i32 s2, s28
	s_abs_i32 s11, s9
	v_cvt_f32_u32_e32 v1, s2
	s_sub_i32 s7, 0, s2
	v_rcp_iflag_f32_e32 v1, v1
	v_mul_f32_e32 v1, 0x4f7ffffe, v1
	v_cvt_u32_f32_e32 v1, v1
	v_readfirstlane_b32 s3, v1
	s_mul_i32 s7, s7, s3
	s_mul_hi_u32 s7, s3, s7
	s_add_i32 s3, s3, s7
	s_xor_b32 s7, s9, s28
	s_mul_hi_u32 s3, s11, s3
	s_ashr_i32 s7, s7, 31
	s_mul_i32 s12, s3, s2
	s_mov_b32 s28, 0
	s_sub_i32 s11, s11, s12
	s_add_i32 s12, s3, 1
	s_sub_i32 s13, s11, s2
	s_cmp_ge_u32 s11, s2
	s_cselect_b32 s3, s12, s3
	s_cselect_b32 s11, s13, s11
	s_add_i32 s12, s3, 1
	s_cmp_ge_u32 s11, s2
	s_cselect_b32 s2, s12, s3
	s_abs_i32 s17, s6
	s_xor_b32 s2, s2, s7
	s_sub_i32 s19, s2, s7
	s_load_dwordx2 s[2:3], s[4:5], 0x40
	s_abs_i32 s16, s19
	v_cvt_f32_u32_e32 v1, s16
	s_sub_i32 s11, 0, s16
	v_rcp_iflag_f32_e32 v1, v1
	v_mul_f32_e32 v1, 0x4f7ffffe, v1
	v_cvt_u32_f32_e32 v1, v1
	v_readfirstlane_b32 s7, v1
	s_mul_i32 s11, s11, s7
	s_mul_hi_u32 s11, s7, s11
	s_add_i32 s7, s7, s11
	s_waitcnt lgkmcnt(0)
	s_cmp_eq_u64 s[2:3], 0
	s_mul_hi_u32 s18, s17, s7
	s_cbranch_scc1 .LBB171_2
; %bb.1:
	s_ashr_i32 s7, s6, 31
	s_lshl_b64 s[12:13], s[6:7], 2
	s_add_u32 s2, s2, s12
	s_addc_u32 s3, s3, s13
	s_load_dword s28, s[2:3], 0x0
.LBB171_2:
	s_load_dword s11, s[0:1], 0x0
	s_load_dwordx4 s[12:15], s[4:5], 0x48
	v_and_b32_e32 v9, 3, v0
	v_cmp_gt_u32_e64 s0, 32, v0
	v_lshlrev_b32_e32 v17, 2, v0
	s_ashr_i32 s1, s6, 31
	s_ashr_i32 s2, s19, 31
	s_lshl_b32 s6, s6, 5
	s_and_saveexec_b32 s3, s0
	s_cbranch_execz .LBB171_4
; %bb.3:
	s_load_dwordx2 s[20:21], s[4:5], 0x8
	s_waitcnt lgkmcnt(0)
	s_mul_i32 s22, s12, s10
	v_and_b32_e32 v2, 0x3fc, v0
	s_ashr_i32 s23, s22, 31
	s_lshl_b64 s[22:23], s[22:23], 2
	v_lshl_add_u32 v2, v9, 5, v2
	s_add_u32 s12, s20, s22
	s_addc_u32 s15, s21, s23
	s_ashr_i32 s7, s6, 31
	s_lshl_b64 s[20:21], s[6:7], 2
	s_add_u32 s20, s12, s20
	s_addc_u32 s21, s15, s21
	global_load_dword v1, v17, s[20:21]
	s_waitcnt vmcnt(0)
	ds_write_b32 v2, v1
.LBB171_4:
	s_or_b32 exec_lo, exec_lo, s3
	s_waitcnt lgkmcnt(0)
	s_add_i32 s3, s11, 7
	s_clause 0x1
	s_load_dwordx2 s[22:23], s[4:5], 0x28
	s_load_dword s15, s[4:5], 0x38
	s_ashr_i32 s7, s3, 31
	s_xor_b32 s1, s1, s2
	s_lshr_b32 s7, s7, 29
	s_mul_i32 s2, s18, s16
	s_add_i32 s3, s3, s7
	s_sub_i32 s2, s17, s2
	s_ashr_i32 s12, s3, 3
	s_add_i32 s3, s18, 1
	s_sub_i32 s7, s2, s16
	s_cmp_ge_u32 s2, s16
	v_lshrrev_b32_e32 v25, 5, v0
	s_cselect_b32 s3, s3, s18
	s_cselect_b32 s2, s7, s2
	s_add_i32 s7, s3, 1
	s_cmp_ge_u32 s2, s16
	v_mbcnt_lo_u32_b32 v19, -1, 0
	s_cselect_b32 s2, s7, s3
	s_mov_b32 s3, exec_lo
	s_xor_b32 s2, s2, s1
	s_waitcnt lgkmcnt(0)
	s_mul_i32 s24, s15, s10
	s_sub_i32 s2, s2, s1
	v_cmp_gt_i32_e64 s1, s12, v25
	s_ashr_i32 s25, s24, 31
	s_barrier
	buffer_gl0_inv
                                        ; implicit-def: $vgpr10
                                        ; implicit-def: $vgpr20
	v_cmpx_le_i32_e64 s12, v25
	s_xor_b32 s3, exec_lo, s3
; %bb.5:
	v_mov_b32_e32 v10, 0
	v_mbcnt_lo_u32_b32 v19, -1, 0
	v_mov_b32_e32 v20, 32
                                        ; implicit-def: $vgpr9
; %bb.6:
	s_or_saveexec_b32 s15, s3
	s_clause 0x3
	s_load_dwordx2 s[20:21], s[4:5], 0x0
	s_load_dwordx2 s[26:27], s[4:5], 0x18
	s_load_dword s7, s[4:5], 0x88
	s_load_dwordx4 s[16:19], s[4:5], 0x58
	v_mov_b32_e32 v21, 0xff7fffff
	v_lshrrev_b32_e32 v18, 3, v0
	s_mul_i32 s14, s2, s14
	s_xor_b32 exec_lo, exec_lo, s15
	s_cbranch_execz .LBB171_76
; %bb.7:
	s_load_dwordx2 s[4:5], s[4:5], 0x10
	v_xor_b32_e32 v1, 2, v19
	v_xor_b32_e32 v2, 1, v19
	v_bfe_u32 v13, v0, 2, 3
	v_lshlrev_b32_e32 v5, 5, v9
	s_ashr_i32 s3, s14, 31
	v_cmp_gt_i32_e64 s2, 32, v1
	v_cmp_eq_u32_e32 vcc_lo, 0, v9
	v_lshlrev_b32_e32 v14, 4, v13
	v_lshl_or_b32 v24, v25, 3, v13
	v_mov_b32_e32 v10, 0
	v_cndmask_b32_e64 v11, v19, v1, s2
	v_cmp_gt_i32_e64 s2, 32, v2
	v_mov_b32_e32 v20, 32
	v_mov_b32_e32 v21, 0xff7fffff
	;; [unrolled: 1-line block ×3, first 2 shown]
	v_lshlrev_b32_e32 v22, 2, v11
	v_cndmask_b32_e64 v12, v19, v2, s2
	ds_read_b128 v[1:4], v5
	ds_read_b128 v[5:8], v5 offset:16
	v_mov_b32_e32 v28, 7
	s_waitcnt lgkmcnt(0)
	s_add_u32 s2, s4, s14
	s_addc_u32 s3, s5, s3
	s_load_dword s5, s[16:17], 0x0
	v_add_co_u32 v11, s2, s2, v14
	v_lshlrev_b32_e32 v14, 2, v13
	v_lshlrev_b32_e32 v23, 2, v12
	v_add_co_ci_u32_e64 v12, null, s3, 0, s2
	v_and_b32_e32 v13, 0x7c, v18
	v_add_co_u32 v11, s3, v11, v9
	s_lshl_b64 s[30:31], s[24:25], 2
	v_lshl_or_b32 v9, v25, 5, v14
	s_sub_i32 s16, 1, s11
	v_add_co_ci_u32_e64 v12, null, 0, v12, s3
	s_add_u32 s3, s22, s30
	s_addc_u32 s4, s23, s31
	v_add_co_u32 v13, s3, s3, v13
	v_cmp_neq_f32_e64 s2, s28, 0
	v_add_nc_u32_e32 v26, 0xa0, v9
	v_add_co_ci_u32_e64 v14, null, s4, 0, s3
	v_mov_b32_e32 v29, v25
	s_mov_b32 s30, s13
	s_mov_b32 s17, 0
	s_branch .LBB171_9
.LBB171_8:                              ;   in Loop: Header=BB171_9 Depth=1
	s_or_b32 exec_lo, exec_lo, s4
	v_add_nc_u32_e32 v29, 4, v29
	v_add_co_u32 v13, s4, v13, 16
	v_add_nc_u32_e32 v24, 32, v24
	v_add_nc_u32_e32 v26, 0x80, v26
	v_cmp_le_i32_e64 s3, s12, v29
	v_add_co_ci_u32_e64 v14, null, 0, v14, s4
	s_or_b32 s17, s3, s17
	s_andn2_b32 exec_lo, exec_lo, s17
	s_cbranch_execz .LBB171_75
.LBB171_9:                              ; =>This Inner Loop Header: Depth=1
	global_load_dword v9, v[13:14], off
	v_mov_b32_e32 v30, 0
	v_mov_b32_e32 v31, 0
	s_mov_b32 s4, exec_lo
	s_waitcnt vmcnt(0) lgkmcnt(0)
	v_mad_i64_i32 v[15:16], null, v9, s30, v[11:12]
	global_load_ubyte v32, v[15:16], off
	s_waitcnt vmcnt(0)
	v_cmpx_ne_u16_e32 0, v32
	s_cbranch_execz .LBB171_17
; %bb.10:                               ;   in Loop: Header=BB171_9 Depth=1
	v_bfrev_b32_e32 v31, 1
	s_mov_b32 s31, exec_lo
	v_cmpx_ne_u16_e32 0x80, v32
	s_cbranch_execz .LBB171_16
; %bb.11:                               ;   in Loop: Header=BB171_9 Depth=1
	v_and_b32_sdwa v33, v32, v27 dst_sel:DWORD dst_unused:UNUSED_PAD src0_sel:WORD_0 src1_sel:DWORD
	v_mov_b32_e32 v31, 0x7f800001
	s_mov_b32 s33, exec_lo
	v_cmpx_ne_u32_e32 0x7f, v33
	s_cbranch_execz .LBB171_15
; %bb.12:                               ;   in Loop: Header=BB171_9 Depth=1
	v_and_b32_sdwa v9, v32, v28 dst_sel:DWORD dst_unused:UNUSED_PAD src0_sel:WORD_0 src1_sel:DWORD
	v_lshrrev_b32_e32 v31, 3, v33
	s_mov_b32 s34, exec_lo
	v_cmpx_gt_u32_e32 8, v33
; %bb.13:                               ;   in Loop: Header=BB171_9 Depth=1
	v_ffbh_u32_e32 v31, v9
	v_min_u32_e32 v31, 32, v31
	v_subrev_nc_u32_e32 v33, 28, v31
	v_sub_nc_u32_e32 v31, 29, v31
	v_lshlrev_b64 v[33:34], v33, v[9:10]
	v_and_b32_e32 v9, 7, v33
; %bb.14:                               ;   in Loop: Header=BB171_9 Depth=1
	s_or_b32 exec_lo, exec_lo, s34
	v_lshlrev_b32_e32 v32, 24, v32
	v_lshlrev_b32_e32 v9, 20, v9
	v_lshl_add_u32 v31, v31, 23, 0x3c000000
	v_and_b32_e32 v32, 0x80000000, v32
	v_or3_b32 v31, v9, v32, v31
.LBB171_15:                             ;   in Loop: Header=BB171_9 Depth=1
	s_or_b32 exec_lo, exec_lo, s33
.LBB171_16:                             ;   in Loop: Header=BB171_9 Depth=1
	s_or_b32 exec_lo, exec_lo, s31
.LBB171_17:                             ;   in Loop: Header=BB171_9 Depth=1
	s_or_b32 exec_lo, exec_lo, s4
	global_load_ubyte v32, v[15:16], off offset:4
	s_mov_b32 s4, exec_lo
	s_waitcnt vmcnt(0)
	v_cmpx_ne_u16_e32 0, v32
	s_cbranch_execz .LBB171_25
; %bb.18:                               ;   in Loop: Header=BB171_9 Depth=1
	v_bfrev_b32_e32 v30, 1
	s_mov_b32 s31, exec_lo
	v_cmpx_ne_u16_e32 0x80, v32
	s_cbranch_execz .LBB171_24
; %bb.19:                               ;   in Loop: Header=BB171_9 Depth=1
	v_and_b32_sdwa v33, v32, v27 dst_sel:DWORD dst_unused:UNUSED_PAD src0_sel:WORD_0 src1_sel:DWORD
	v_mov_b32_e32 v30, 0x7f800001
	s_mov_b32 s33, exec_lo
	v_cmpx_ne_u32_e32 0x7f, v33
	s_cbranch_execz .LBB171_23
; %bb.20:                               ;   in Loop: Header=BB171_9 Depth=1
	v_and_b32_sdwa v9, v32, v28 dst_sel:DWORD dst_unused:UNUSED_PAD src0_sel:WORD_0 src1_sel:DWORD
	v_lshrrev_b32_e32 v30, 3, v33
	s_mov_b32 s34, exec_lo
	v_cmpx_gt_u32_e32 8, v33
; %bb.21:                               ;   in Loop: Header=BB171_9 Depth=1
	v_ffbh_u32_e32 v30, v9
	v_min_u32_e32 v30, 32, v30
	v_subrev_nc_u32_e32 v33, 28, v30
	v_sub_nc_u32_e32 v30, 29, v30
	v_lshlrev_b64 v[33:34], v33, v[9:10]
	v_and_b32_e32 v9, 7, v33
; %bb.22:                               ;   in Loop: Header=BB171_9 Depth=1
	s_or_b32 exec_lo, exec_lo, s34
	v_lshlrev_b32_e32 v32, 24, v32
	v_lshlrev_b32_e32 v9, 20, v9
	v_lshl_add_u32 v30, v30, 23, 0x3c000000
	v_and_b32_e32 v32, 0x80000000, v32
	v_or3_b32 v30, v9, v32, v30
.LBB171_23:                             ;   in Loop: Header=BB171_9 Depth=1
	s_or_b32 exec_lo, exec_lo, s33
.LBB171_24:                             ;   in Loop: Header=BB171_9 Depth=1
	s_or_b32 exec_lo, exec_lo, s31
.LBB171_25:                             ;   in Loop: Header=BB171_9 Depth=1
	s_or_b32 exec_lo, exec_lo, s4
	global_load_ubyte v34, v[15:16], off offset:8
	v_mov_b32_e32 v32, 0
	v_mov_b32_e32 v33, 0
	s_mov_b32 s4, exec_lo
	s_waitcnt vmcnt(0)
	v_cmpx_ne_u16_e32 0, v34
	s_cbranch_execz .LBB171_33
; %bb.26:                               ;   in Loop: Header=BB171_9 Depth=1
	v_bfrev_b32_e32 v33, 1
	s_mov_b32 s31, exec_lo
	v_cmpx_ne_u16_e32 0x80, v34
	s_cbranch_execz .LBB171_32
; %bb.27:                               ;   in Loop: Header=BB171_9 Depth=1
	v_and_b32_sdwa v35, v34, v27 dst_sel:DWORD dst_unused:UNUSED_PAD src0_sel:WORD_0 src1_sel:DWORD
	v_mov_b32_e32 v33, 0x7f800001
	s_mov_b32 s33, exec_lo
	v_cmpx_ne_u32_e32 0x7f, v35
	s_cbranch_execz .LBB171_31
; %bb.28:                               ;   in Loop: Header=BB171_9 Depth=1
	v_and_b32_sdwa v9, v34, v28 dst_sel:DWORD dst_unused:UNUSED_PAD src0_sel:WORD_0 src1_sel:DWORD
	v_lshrrev_b32_e32 v33, 3, v35
	s_mov_b32 s34, exec_lo
	v_cmpx_gt_u32_e32 8, v35
; %bb.29:                               ;   in Loop: Header=BB171_9 Depth=1
	v_ffbh_u32_e32 v33, v9
	v_min_u32_e32 v33, 32, v33
	v_subrev_nc_u32_e32 v35, 28, v33
	v_sub_nc_u32_e32 v33, 29, v33
	v_lshlrev_b64 v[35:36], v35, v[9:10]
	v_and_b32_e32 v9, 7, v35
; %bb.30:                               ;   in Loop: Header=BB171_9 Depth=1
	s_or_b32 exec_lo, exec_lo, s34
	v_lshlrev_b32_e32 v34, 24, v34
	v_lshlrev_b32_e32 v9, 20, v9
	v_lshl_add_u32 v33, v33, 23, 0x3c000000
	v_and_b32_e32 v34, 0x80000000, v34
	v_or3_b32 v33, v9, v34, v33
.LBB171_31:                             ;   in Loop: Header=BB171_9 Depth=1
	s_or_b32 exec_lo, exec_lo, s33
.LBB171_32:                             ;   in Loop: Header=BB171_9 Depth=1
	s_or_b32 exec_lo, exec_lo, s31
.LBB171_33:                             ;   in Loop: Header=BB171_9 Depth=1
	s_or_b32 exec_lo, exec_lo, s4
	global_load_ubyte v34, v[15:16], off offset:12
	s_mov_b32 s4, exec_lo
	s_waitcnt vmcnt(0)
	v_cmpx_ne_u16_e32 0, v34
	s_cbranch_execz .LBB171_41
; %bb.34:                               ;   in Loop: Header=BB171_9 Depth=1
	v_bfrev_b32_e32 v32, 1
	s_mov_b32 s31, exec_lo
	v_cmpx_ne_u16_e32 0x80, v34
	s_cbranch_execz .LBB171_40
; %bb.35:                               ;   in Loop: Header=BB171_9 Depth=1
	v_and_b32_sdwa v35, v34, v27 dst_sel:DWORD dst_unused:UNUSED_PAD src0_sel:WORD_0 src1_sel:DWORD
	v_mov_b32_e32 v32, 0x7f800001
	s_mov_b32 s33, exec_lo
	v_cmpx_ne_u32_e32 0x7f, v35
	s_cbranch_execz .LBB171_39
; %bb.36:                               ;   in Loop: Header=BB171_9 Depth=1
	v_and_b32_sdwa v9, v34, v28 dst_sel:DWORD dst_unused:UNUSED_PAD src0_sel:WORD_0 src1_sel:DWORD
	v_lshrrev_b32_e32 v32, 3, v35
	s_mov_b32 s34, exec_lo
	v_cmpx_gt_u32_e32 8, v35
; %bb.37:                               ;   in Loop: Header=BB171_9 Depth=1
	v_ffbh_u32_e32 v32, v9
	v_min_u32_e32 v32, 32, v32
	v_subrev_nc_u32_e32 v35, 28, v32
	v_sub_nc_u32_e32 v32, 29, v32
	v_lshlrev_b64 v[35:36], v35, v[9:10]
	v_and_b32_e32 v9, 7, v35
; %bb.38:                               ;   in Loop: Header=BB171_9 Depth=1
	s_or_b32 exec_lo, exec_lo, s34
	v_lshlrev_b32_e32 v34, 24, v34
	v_lshlrev_b32_e32 v9, 20, v9
	v_lshl_add_u32 v32, v32, 23, 0x3c000000
	v_and_b32_e32 v34, 0x80000000, v34
	v_or3_b32 v32, v9, v34, v32
.LBB171_39:                             ;   in Loop: Header=BB171_9 Depth=1
	s_or_b32 exec_lo, exec_lo, s33
.LBB171_40:                             ;   in Loop: Header=BB171_9 Depth=1
	s_or_b32 exec_lo, exec_lo, s31
.LBB171_41:                             ;   in Loop: Header=BB171_9 Depth=1
	s_or_b32 exec_lo, exec_lo, s4
	global_load_ubyte v36, v[15:16], off offset:128
	v_mov_b32_e32 v34, 0
	v_mov_b32_e32 v35, 0
	s_mov_b32 s4, exec_lo
	s_waitcnt vmcnt(0)
	v_cmpx_ne_u16_e32 0, v36
	s_cbranch_execz .LBB171_49
; %bb.42:                               ;   in Loop: Header=BB171_9 Depth=1
	v_bfrev_b32_e32 v35, 1
	s_mov_b32 s31, exec_lo
	v_cmpx_ne_u16_e32 0x80, v36
	s_cbranch_execz .LBB171_48
; %bb.43:                               ;   in Loop: Header=BB171_9 Depth=1
	v_and_b32_sdwa v37, v36, v27 dst_sel:DWORD dst_unused:UNUSED_PAD src0_sel:WORD_0 src1_sel:DWORD
	v_mov_b32_e32 v35, 0x7f800001
	s_mov_b32 s33, exec_lo
	v_cmpx_ne_u32_e32 0x7f, v37
	s_cbranch_execz .LBB171_47
; %bb.44:                               ;   in Loop: Header=BB171_9 Depth=1
	v_and_b32_sdwa v9, v36, v28 dst_sel:DWORD dst_unused:UNUSED_PAD src0_sel:WORD_0 src1_sel:DWORD
	v_lshrrev_b32_e32 v35, 3, v37
	s_mov_b32 s34, exec_lo
	v_cmpx_gt_u32_e32 8, v37
; %bb.45:                               ;   in Loop: Header=BB171_9 Depth=1
	v_ffbh_u32_e32 v35, v9
	v_min_u32_e32 v35, 32, v35
	v_subrev_nc_u32_e32 v37, 28, v35
	v_sub_nc_u32_e32 v35, 29, v35
	v_lshlrev_b64 v[37:38], v37, v[9:10]
	v_and_b32_e32 v9, 7, v37
; %bb.46:                               ;   in Loop: Header=BB171_9 Depth=1
	s_or_b32 exec_lo, exec_lo, s34
	v_lshlrev_b32_e32 v36, 24, v36
	v_lshlrev_b32_e32 v9, 20, v9
	v_lshl_add_u32 v35, v35, 23, 0x3c000000
	v_and_b32_e32 v36, 0x80000000, v36
	v_or3_b32 v35, v9, v36, v35
.LBB171_47:                             ;   in Loop: Header=BB171_9 Depth=1
	s_or_b32 exec_lo, exec_lo, s33
.LBB171_48:                             ;   in Loop: Header=BB171_9 Depth=1
	s_or_b32 exec_lo, exec_lo, s31
.LBB171_49:                             ;   in Loop: Header=BB171_9 Depth=1
	s_or_b32 exec_lo, exec_lo, s4
	global_load_ubyte v36, v[15:16], off offset:132
	s_mov_b32 s4, exec_lo
	s_waitcnt vmcnt(0)
	v_cmpx_ne_u16_e32 0, v36
	s_cbranch_execz .LBB171_57
; %bb.50:                               ;   in Loop: Header=BB171_9 Depth=1
	v_bfrev_b32_e32 v34, 1
	s_mov_b32 s31, exec_lo
	v_cmpx_ne_u16_e32 0x80, v36
	s_cbranch_execz .LBB171_56
; %bb.51:                               ;   in Loop: Header=BB171_9 Depth=1
	v_and_b32_sdwa v37, v36, v27 dst_sel:DWORD dst_unused:UNUSED_PAD src0_sel:WORD_0 src1_sel:DWORD
	v_mov_b32_e32 v34, 0x7f800001
	s_mov_b32 s33, exec_lo
	v_cmpx_ne_u32_e32 0x7f, v37
	s_cbranch_execz .LBB171_55
; %bb.52:                               ;   in Loop: Header=BB171_9 Depth=1
	v_and_b32_sdwa v9, v36, v28 dst_sel:DWORD dst_unused:UNUSED_PAD src0_sel:WORD_0 src1_sel:DWORD
	v_lshrrev_b32_e32 v34, 3, v37
	s_mov_b32 s34, exec_lo
	v_cmpx_gt_u32_e32 8, v37
; %bb.53:                               ;   in Loop: Header=BB171_9 Depth=1
	v_ffbh_u32_e32 v34, v9
	v_min_u32_e32 v34, 32, v34
	v_subrev_nc_u32_e32 v37, 28, v34
	v_sub_nc_u32_e32 v34, 29, v34
	v_lshlrev_b64 v[37:38], v37, v[9:10]
	v_and_b32_e32 v9, 7, v37
; %bb.54:                               ;   in Loop: Header=BB171_9 Depth=1
	s_or_b32 exec_lo, exec_lo, s34
	v_lshlrev_b32_e32 v36, 24, v36
	v_lshlrev_b32_e32 v9, 20, v9
	v_lshl_add_u32 v34, v34, 23, 0x3c000000
	v_and_b32_e32 v36, 0x80000000, v36
	v_or3_b32 v34, v9, v36, v34
.LBB171_55:                             ;   in Loop: Header=BB171_9 Depth=1
	s_or_b32 exec_lo, exec_lo, s33
.LBB171_56:                             ;   in Loop: Header=BB171_9 Depth=1
	s_or_b32 exec_lo, exec_lo, s31
.LBB171_57:                             ;   in Loop: Header=BB171_9 Depth=1
	s_or_b32 exec_lo, exec_lo, s4
	global_load_ubyte v38, v[15:16], off offset:136
	v_mov_b32_e32 v36, 0
	v_mov_b32_e32 v37, 0
	s_mov_b32 s4, exec_lo
	s_waitcnt vmcnt(0)
	v_cmpx_ne_u16_e32 0, v38
	s_cbranch_execz .LBB171_65
; %bb.58:                               ;   in Loop: Header=BB171_9 Depth=1
	v_bfrev_b32_e32 v37, 1
	s_mov_b32 s31, exec_lo
	v_cmpx_ne_u16_e32 0x80, v38
	s_cbranch_execz .LBB171_64
; %bb.59:                               ;   in Loop: Header=BB171_9 Depth=1
	v_and_b32_sdwa v39, v38, v27 dst_sel:DWORD dst_unused:UNUSED_PAD src0_sel:WORD_0 src1_sel:DWORD
	v_mov_b32_e32 v37, 0x7f800001
	s_mov_b32 s33, exec_lo
	v_cmpx_ne_u32_e32 0x7f, v39
	s_cbranch_execz .LBB171_63
; %bb.60:                               ;   in Loop: Header=BB171_9 Depth=1
	v_and_b32_sdwa v9, v38, v28 dst_sel:DWORD dst_unused:UNUSED_PAD src0_sel:WORD_0 src1_sel:DWORD
	v_lshrrev_b32_e32 v37, 3, v39
	s_mov_b32 s34, exec_lo
	v_cmpx_gt_u32_e32 8, v39
; %bb.61:                               ;   in Loop: Header=BB171_9 Depth=1
	v_ffbh_u32_e32 v37, v9
	v_min_u32_e32 v37, 32, v37
	v_subrev_nc_u32_e32 v39, 28, v37
	v_sub_nc_u32_e32 v37, 29, v37
	v_lshlrev_b64 v[39:40], v39, v[9:10]
	v_and_b32_e32 v9, 7, v39
; %bb.62:                               ;   in Loop: Header=BB171_9 Depth=1
	s_or_b32 exec_lo, exec_lo, s34
	v_lshlrev_b32_e32 v38, 24, v38
	v_lshlrev_b32_e32 v9, 20, v9
	v_lshl_add_u32 v37, v37, 23, 0x3c000000
	v_and_b32_e32 v38, 0x80000000, v38
	v_or3_b32 v37, v9, v38, v37
.LBB171_63:                             ;   in Loop: Header=BB171_9 Depth=1
	s_or_b32 exec_lo, exec_lo, s33
.LBB171_64:                             ;   in Loop: Header=BB171_9 Depth=1
	s_or_b32 exec_lo, exec_lo, s31
.LBB171_65:                             ;   in Loop: Header=BB171_9 Depth=1
	s_or_b32 exec_lo, exec_lo, s4
	global_load_ubyte v15, v[15:16], off offset:140
	s_mov_b32 s4, exec_lo
	s_waitcnt vmcnt(0)
	v_cmpx_ne_u16_e32 0, v15
	s_cbranch_execz .LBB171_73
; %bb.66:                               ;   in Loop: Header=BB171_9 Depth=1
	v_bfrev_b32_e32 v36, 1
	s_mov_b32 s31, exec_lo
	v_cmpx_ne_u16_e32 0x80, v15
	s_cbranch_execz .LBB171_72
; %bb.67:                               ;   in Loop: Header=BB171_9 Depth=1
	v_and_b32_sdwa v38, v15, v27 dst_sel:DWORD dst_unused:UNUSED_PAD src0_sel:WORD_0 src1_sel:DWORD
	v_mov_b32_e32 v36, 0x7f800001
	s_mov_b32 s33, exec_lo
	v_cmpx_ne_u32_e32 0x7f, v38
	s_cbranch_execz .LBB171_71
; %bb.68:                               ;   in Loop: Header=BB171_9 Depth=1
	v_and_b32_sdwa v9, v15, v28 dst_sel:DWORD dst_unused:UNUSED_PAD src0_sel:WORD_0 src1_sel:DWORD
	v_lshrrev_b32_e32 v16, 3, v38
	s_mov_b32 s34, exec_lo
	v_cmpx_gt_u32_e32 8, v38
; %bb.69:                               ;   in Loop: Header=BB171_9 Depth=1
	v_ffbh_u32_e32 v16, v9
	v_min_u32_e32 v16, 32, v16
	v_subrev_nc_u32_e32 v36, 28, v16
	v_sub_nc_u32_e32 v16, 29, v16
	v_lshlrev_b64 v[38:39], v36, v[9:10]
	v_and_b32_e32 v9, 7, v38
; %bb.70:                               ;   in Loop: Header=BB171_9 Depth=1
	s_or_b32 exec_lo, exec_lo, s34
	v_lshlrev_b32_e32 v15, 24, v15
	v_lshlrev_b32_e32 v9, 20, v9
	v_lshl_add_u32 v16, v16, 23, 0x3c000000
	v_and_b32_e32 v15, 0x80000000, v15
	v_or3_b32 v36, v9, v15, v16
.LBB171_71:                             ;   in Loop: Header=BB171_9 Depth=1
	s_or_b32 exec_lo, exec_lo, s33
.LBB171_72:                             ;   in Loop: Header=BB171_9 Depth=1
	s_or_b32 exec_lo, exec_lo, s31
.LBB171_73:                             ;   in Loop: Header=BB171_9 Depth=1
	s_or_b32 exec_lo, exec_lo, s4
	s_waitcnt lgkmcnt(0)
	v_mul_f32_e32 v9, s5, v30
	v_mul_f32_e32 v15, s5, v31
	;; [unrolled: 1-line block ×4, first 2 shown]
	v_fmac_f32_e32 v9, v1, v15
	v_mul_f32_e32 v15, s5, v32
	v_fmac_f32_e32 v9, v3, v16
	v_mul_f32_e32 v16, s5, v35
	;; [unrolled: 2-line block ×5, first 2 shown]
	v_fmac_f32_e32 v9, v7, v16
	v_fmac_f32_e32 v9, v8, v15
	ds_bpermute_b32 v15, v22, v9
	s_waitcnt lgkmcnt(0)
	v_add_f32_e32 v9, v9, v15
	ds_bpermute_b32 v15, v23, v9
	s_and_saveexec_b32 s4, vcc_lo
	s_cbranch_execz .LBB171_8
; %bb.74:                               ;   in Loop: Header=BB171_9 Depth=1
	v_add_nc_u32_e32 v16, s16, v24
	s_waitcnt lgkmcnt(0)
	v_add_f32_e32 v9, v9, v15
	v_cmp_gt_i32_e64 s3, s11, v24
	v_cvt_f32_i32_e32 v16, v16
	v_mul_f32_e32 v16, s28, v16
	v_cndmask_b32_e64 v15, 0, v16, s2
	v_max_f32_e32 v16, v21, v21
	v_fmac_f32_e32 v15, s29, v9
	v_max_f32_e32 v9, v16, v15
	v_cndmask_b32_e64 v15, 0, v15, s3
	v_cndmask_b32_e64 v21, v21, v9, s3
	ds_write_b32 v26, v15
	s_branch .LBB171_8
.LBB171_75:
	s_or_b32 exec_lo, exec_lo, s17
.LBB171_76:
	s_or_b32 exec_lo, exec_lo, s15
	v_xor_b32_e32 v1, 16, v19
	v_xor_b32_e32 v3, 8, v19
	v_max_f32_e32 v4, v21, v21
	v_xor_b32_e32 v5, 4, v19
	v_and_b32_e32 v26, 31, v0
	v_cmp_lt_i32_e32 vcc_lo, v1, v20
	v_cndmask_b32_e32 v1, v19, v1, vcc_lo
	v_cmp_lt_i32_e32 vcc_lo, v3, v20
	v_lshlrev_b32_e32 v2, 2, v1
	v_cndmask_b32_e32 v3, v19, v3, vcc_lo
	v_cmp_lt_i32_e32 vcc_lo, v5, v20
	ds_bpermute_b32 v1, v2, v21
	v_lshlrev_b32_e32 v3, 2, v3
	v_cndmask_b32_e32 v5, v19, v5, vcc_lo
	v_cmp_eq_u32_e32 vcc_lo, 0, v26
	v_lshlrev_b32_e32 v6, 2, v5
	s_waitcnt lgkmcnt(0)
	v_max_f32_e32 v1, v1, v1
	v_max_f32_e32 v1, v4, v1
	ds_bpermute_b32 v4, v3, v1
	s_waitcnt lgkmcnt(0)
	v_max_f32_e32 v4, v4, v4
	v_max_f32_e32 v1, v1, v4
	v_lshlrev_b32_e32 v4, 2, v25
	ds_bpermute_b32 v5, v6, v1
	s_and_saveexec_b32 s2, vcc_lo
	s_cbranch_execz .LBB171_78
; %bb.77:
	s_waitcnt lgkmcnt(0)
	v_max_f32_e32 v5, v5, v5
	v_max_f32_e32 v1, v1, v1
	;; [unrolled: 1-line block ×3, first 2 shown]
	ds_write_b32 v4, v1 offset:128
.LBB171_78:
	s_or_b32 exec_lo, exec_lo, s2
	v_cmp_gt_u32_e64 s2, 4, v26
	v_mov_b32_e32 v1, 0xff7fffff
	s_waitcnt lgkmcnt(0)
	v_lshlrev_b32_e32 v5, 2, v26
	s_barrier
	buffer_gl0_inv
	s_and_saveexec_b32 s3, s2
; %bb.79:
	ds_read_b32 v1, v5 offset:128
; %bb.80:
	s_or_b32 exec_lo, exec_lo, s3
	v_xor_b32_e32 v7, 2, v19
	v_xor_b32_e32 v9, 1, v19
	v_cmp_lt_i32_e64 s3, v7, v20
	v_cndmask_b32_e64 v7, v19, v7, s3
	v_cmp_lt_i32_e64 s3, v9, v20
	v_lshlrev_b32_e32 v7, 2, v7
	v_cndmask_b32_e64 v9, v19, v9, s3
	s_lshl_b32 s3, s12, 3
	s_min_i32 s5, s3, s11
	s_waitcnt lgkmcnt(0)
	ds_bpermute_b32 v8, v7, v1
	v_max_f32_e32 v1, v1, v1
	v_lshlrev_b32_e32 v27, 2, v9
	v_cmp_gt_i32_e64 s3, s5, v0
	s_waitcnt lgkmcnt(0)
	v_max_f32_e32 v8, v8, v8
	v_max_f32_e32 v1, v1, v8
	ds_bpermute_b32 v8, v27, v1
	s_waitcnt lgkmcnt(0)
	v_max_f32_e32 v8, v8, v8
	v_max_f32_e32 v1, v1, v8
	v_lshlrev_b32_e32 v8, 2, v10
	ds_bpermute_b32 v9, v8, v1
	v_mov_b32_e32 v8, 0
	v_lshl_add_u32 v1, v0, 2, 0xa0
	s_and_saveexec_b32 s15, s3
	s_cbranch_execz .LBB171_84
; %bb.81:
	v_lshl_add_u32 v10, v0, 2, 0xa0
	v_mov_b32_e32 v8, 0
	v_mov_b32_e32 v11, v0
	s_mov_b32 s16, 0
	.p2align	6
.LBB171_82:                             ; =>This Inner Loop Header: Depth=1
	ds_read_b32 v12, v10
	v_add_nc_u32_e32 v11, 0x80, v11
	v_cmp_le_i32_e64 s4, s5, v11
	s_or_b32 s16, s4, s16
	s_waitcnt lgkmcnt(0)
	v_sub_f32_e32 v12, v12, v9
	v_mul_f32_e32 v12, 0x3fb8aa3b, v12
	v_exp_f32_e32 v12, v12
	ds_write_b32 v10, v12
	v_add_f32_e32 v8, v8, v12
	v_add_nc_u32_e32 v10, 0x200, v10
	s_andn2_b32 exec_lo, exec_lo, s16
	s_cbranch_execnz .LBB171_82
; %bb.83:
	s_or_b32 exec_lo, exec_lo, s16
.LBB171_84:
	s_or_b32 exec_lo, exec_lo, s15
	ds_bpermute_b32 v2, v2, v8
	s_waitcnt lgkmcnt(0)
	v_add_f32_e32 v2, v8, v2
	ds_bpermute_b32 v3, v3, v2
	s_waitcnt lgkmcnt(0)
	v_add_f32_e32 v2, v2, v3
	;; [unrolled: 3-line block ×5, first 2 shown]
	s_and_saveexec_b32 s4, vcc_lo
; %bb.85:
	ds_write_b32 v4, v2 offset:144
; %bb.86:
	s_or_b32 exec_lo, exec_lo, s4
	s_waitcnt lgkmcnt(0)
	s_barrier
	buffer_gl0_inv
	s_and_saveexec_b32 s4, s2
; %bb.87:
	ds_read_b32 v2, v5 offset:144
; %bb.88:
	s_or_b32 exec_lo, exec_lo, s4
	s_waitcnt lgkmcnt(0)
	ds_bpermute_b32 v3, v7, v2
	v_lshlrev_b32_e32 v4, 2, v19
	s_waitcnt lgkmcnt(0)
	v_add_f32_e32 v2, v2, v3
	ds_bpermute_b32 v3, v27, v2
	s_waitcnt lgkmcnt(0)
	v_add_f32_e32 v2, v2, v3
	v_and_b32_e32 v3, 0xffffff80, v4
	ds_bpermute_b32 v2, v3, v2
	s_and_saveexec_b32 s2, s3
	s_cbranch_execz .LBB171_91
; %bb.89:
	s_waitcnt lgkmcnt(0)
	v_add_f32_e32 v2, 0x358637bd, v2
	s_mov_b32 s3, 0
	v_div_scale_f32 v3, null, v2, v2, 1.0
	v_div_scale_f32 v6, vcc_lo, 1.0, v2, 1.0
	v_rcp_f32_e32 v4, v3
	v_fma_f32 v5, -v3, v4, 1.0
	v_fmac_f32_e32 v4, v5, v4
	v_mul_f32_e32 v5, v6, v4
	v_fma_f32 v7, -v3, v5, v6
	v_fmac_f32_e32 v5, v7, v4
	v_fma_f32 v3, -v3, v5, v6
	v_div_fmas_f32 v3, v3, v4, v5
	v_div_fixup_f32 v2, v3, v2, 1.0
	v_mov_b32_e32 v3, v0
.LBB171_90:                             ; =>This Inner Loop Header: Depth=1
	ds_read_b32 v4, v1
	v_add_nc_u32_e32 v3, 0x80, v3
	v_cmp_le_i32_e32 vcc_lo, s5, v3
	s_or_b32 s3, vcc_lo, s3
	s_waitcnt lgkmcnt(0)
	v_mul_f32_e32 v4, v2, v4
	ds_write_b32 v1, v4
	v_add_nc_u32_e32 v1, 0x200, v1
	s_andn2_b32 exec_lo, exec_lo, s3
	s_cbranch_execnz .LBB171_90
.LBB171_91:
	s_or_b32 exec_lo, exec_lo, s2
	v_mov_b32_e32 v29, 0
	v_and_b32_e32 v28, 1, v0
	v_mov_b32_e32 v30, 0
	s_waitcnt lgkmcnt(0)
	s_barrier
	buffer_gl0_inv
	s_and_saveexec_b32 s2, s1
	s_cbranch_execz .LBB171_163
; %bb.92:
	s_load_dword s3, s[18:19], 0x0
	v_and_b32_e32 v1, 4, v17
	v_lshlrev_b32_e32 v4, 3, v25
	v_and_b32_e32 v2, 0x7c, v17
	v_lshlrev_b32_e32 v3, 4, v28
	s_ashr_i32 s1, s14, 31
	s_add_u32 s5, s26, s14
	v_or3_b32 v31, v4, v1, 3
	v_and_b32_e32 v1, 0x7c, v18
	s_addc_u32 s1, s27, s1
	v_add_co_u32 v7, s5, s5, v2
	s_lshl_b64 s[14:15], s[24:25], 2
	s_add_i32 s4, s12, -1
	v_lshl_or_b32 v3, v25, 5, v3
	v_add_co_ci_u32_e64 v8, null, s1, 0, s5
	s_add_u32 s1, s22, s14
	s_addc_u32 s5, s23, s15
	v_add_co_u32 v9, s1, s1, v1
	v_mov_b32_e32 v6, 0
	v_add_nc_u32_e32 v32, 0xa0, v3
	v_add_co_ci_u32_e64 v10, null, s5, 0, s1
	v_mov_b32_e32 v33, 0x80
	v_bfrev_b32_e32 v12, 1
	v_mov_b32_e32 v34, 0xffff
	v_mov_b32_e32 v14, 0x7f800001
	;; [unrolled: 1-line block ×8, first 2 shown]
	s_mov_b32 s5, s13
	s_waitcnt lgkmcnt(0)
	s_mov_b32 s14, s3
	s_mov_b32 s13, 0
	s_branch .LBB171_94
.LBB171_93:                             ;   in Loop: Header=BB171_94 Depth=1
	s_or_b32 exec_lo, exec_lo, s1
	s_waitcnt lgkmcnt(0)
	v_mul_f32_e32 v16, v1, v40
	v_mul_f32_e32 v1, v1, v15
	v_add_nc_u32_e32 v38, 4, v38
	v_add_co_u32 v9, s1, v9, 16
	v_fmac_f32_e32 v16, v2, v39
	v_fmac_f32_e32 v1, v2, v13
	v_cmp_le_i32_e32 vcc_lo, s12, v38
	v_add_nc_u32_e32 v31, 32, v31
	v_add_nc_u32_e32 v32, 0x80, v32
	v_fmac_f32_e32 v16, v3, v24
	v_fmac_f32_e32 v1, v3, v11
	v_add_co_ci_u32_e64 v10, null, 0, v10, s1
	s_or_b32 s13, vcc_lo, s13
	v_fmac_f32_e32 v16, v4, v23
	v_fmac_f32_e32 v1, v4, v5
	v_add_f32_e32 v29, v29, v16
	v_add_f32_e32 v30, v30, v1
	s_andn2_b32 exec_lo, exec_lo, s13
	s_cbranch_execz .LBB171_162
.LBB171_94:                             ; =>This Inner Loop Header: Depth=1
	global_load_dword v1, v[9:10], off
	v_mov_b32_e32 v19, 0
	v_mov_b32_e32 v17, 0
	;; [unrolled: 1-line block ×4, first 2 shown]
	s_waitcnt vmcnt(0)
	v_mad_i64_i32 v[15:16], null, v1, s5, v[7:8]
	ds_read_b128 v[1:4], v32
	global_load_dword v39, v[15:16], off
	s_waitcnt vmcnt(0)
	v_cmp_ne_u16_sdwa s15, v39, v6 src0_sel:BYTE_0 src1_sel:DWORD
	s_and_saveexec_b32 s1, s15
	s_cbranch_execz .LBB171_102
; %bb.95:                               ;   in Loop: Header=BB171_94 Depth=1
	v_bfrev_b32_e32 v17, 1
	v_mov_b32_e32 v18, 0
	v_cmp_ne_u16_sdwa s16, v39, v33 src0_sel:BYTE_0 src1_sel:DWORD
	s_and_saveexec_b32 s15, s16
	s_cbranch_execz .LBB171_101
; %bb.96:                               ;   in Loop: Header=BB171_94 Depth=1
	v_mov_b32_e32 v17, 0x7f800001
	v_and_b32_e32 v13, 0x7f, v39
	v_mov_b32_e32 v18, 0
	s_mov_b32 s16, exec_lo
	v_cmpx_ne_u32_e32 0x7f, v13
	s_cbranch_execz .LBB171_100
; %bb.97:                               ;   in Loop: Header=BB171_94 Depth=1
	v_and_b32_e32 v5, 7, v39
	v_lshrrev_b32_e32 v11, 3, v13
	s_mov_b32 s17, exec_lo
	v_cmpx_gt_u32_e32 8, v13
; %bb.98:                               ;   in Loop: Header=BB171_94 Depth=1
	v_ffbh_u32_e32 v11, v5
	v_min_u32_e32 v11, 32, v11
	v_subrev_nc_u32_e32 v13, 28, v11
	v_sub_nc_u32_e32 v11, 29, v11
	v_lshlrev_b64 v[17:18], v13, v[5:6]
	v_and_b32_e32 v5, 7, v17
; %bb.99:                               ;   in Loop: Header=BB171_94 Depth=1
	s_or_b32 exec_lo, exec_lo, s17
	v_lshlrev_b32_e32 v13, 24, v39
	v_lshlrev_b32_e32 v5, 20, v5
	v_lshl_add_u32 v11, v11, 23, 0x3c000000
	v_and_b32_e32 v13, 0x80000000, v13
	v_or3_b32 v5, v5, v13, v11
	v_mov_b32_e32 v18, v6
	v_mov_b32_e32 v17, v5
.LBB171_100:                            ;   in Loop: Header=BB171_94 Depth=1
	s_or_b32 exec_lo, exec_lo, s16
.LBB171_101:                            ;   in Loop: Header=BB171_94 Depth=1
	s_or_b32 exec_lo, exec_lo, s15
.LBB171_102:                            ;   in Loop: Header=BB171_94 Depth=1
	s_or_b32 exec_lo, exec_lo, s1
	v_cmp_ne_u16_sdwa s15, v39, v6 src0_sel:BYTE_1 src1_sel:DWORD
	s_and_saveexec_b32 s1, s15
	s_cbranch_execz .LBB171_110
; %bb.103:                              ;   in Loop: Header=BB171_94 Depth=1
	v_mov_b32_e32 v11, v6
	v_mov_b32_e32 v20, v12
	v_cmp_ne_u16_sdwa s16, v39, v33 src0_sel:BYTE_1 src1_sel:DWORD
	v_mov_b32_e32 v19, v11
	s_and_saveexec_b32 s15, s16
	s_cbranch_execz .LBB171_109
; %bb.104:                              ;   in Loop: Header=BB171_94 Depth=1
	v_and_b32_sdwa v5, v34, v39 dst_sel:DWORD dst_unused:UNUSED_PAD src0_sel:DWORD src1_sel:BYTE_1
	v_mov_b32_e32 v13, v6
	v_mov_b32_e32 v20, v14
	s_mov_b32 s16, exec_lo
	v_and_b32_e32 v21, 0x7f, v5
	v_mov_b32_e32 v19, v13
	v_cmpx_ne_u32_e32 0x7f, v21
	s_cbranch_execz .LBB171_108
; %bb.105:                              ;   in Loop: Header=BB171_94 Depth=1
	v_and_b32_e32 v5, 7, v5
	v_lshrrev_b32_e32 v11, 3, v21
	s_mov_b32 s17, exec_lo
	v_cmpx_gt_u32_e32 8, v21
; %bb.106:                              ;   in Loop: Header=BB171_94 Depth=1
	v_ffbh_u32_e32 v11, v5
	v_min_u32_e32 v11, 32, v11
	v_subrev_nc_u32_e32 v13, 28, v11
	v_sub_nc_u32_e32 v11, 29, v11
	v_lshlrev_b64 v[19:20], v13, v[5:6]
	v_and_b32_e32 v5, 7, v19
; %bb.107:                              ;   in Loop: Header=BB171_94 Depth=1
	s_or_b32 exec_lo, exec_lo, s17
	v_lshlrev_b32_e32 v13, 16, v39
	v_lshlrev_b32_e32 v5, 20, v5
	v_lshl_add_u32 v11, v11, 23, 0x3c000000
	v_mov_b32_e32 v19, v6
	v_and_b32_e32 v13, 0x80000000, v13
	v_or3_b32 v20, v5, v13, v11
.LBB171_108:                            ;   in Loop: Header=BB171_94 Depth=1
	s_or_b32 exec_lo, exec_lo, s16
.LBB171_109:                            ;   in Loop: Header=BB171_94 Depth=1
	s_or_b32 exec_lo, exec_lo, s15
.LBB171_110:                            ;   in Loop: Header=BB171_94 Depth=1
	s_or_b32 exec_lo, exec_lo, s1
	v_mov_b32_e32 v23, 0
	v_mov_b32_e32 v21, 0
	v_and_b32_sdwa v5, v39, v35 dst_sel:DWORD dst_unused:UNUSED_PAD src0_sel:WORD_1 src1_sel:DWORD
	v_mov_b32_e32 v24, 0
	v_mov_b32_e32 v22, 0
	s_mov_b32 s1, exec_lo
	v_cmpx_ne_u16_e32 0, v5
	s_cbranch_execz .LBB171_118
; %bb.111:                              ;   in Loop: Header=BB171_94 Depth=1
	v_bfrev_b32_e32 v21, 1
	v_mov_b32_e32 v22, 0
	s_mov_b32 s15, exec_lo
	v_cmpx_ne_u16_e32 0x80, v5
	s_cbranch_execz .LBB171_117
; %bb.112:                              ;   in Loop: Header=BB171_94 Depth=1
	v_mov_b32_e32 v21, 0x7f800001
	v_bfe_u32 v13, v39, 16, 7
	v_mov_b32_e32 v22, 0
	s_mov_b32 s16, exec_lo
	v_cmpx_ne_u32_e32 0x7f, v13
	s_cbranch_execz .LBB171_116
; %bb.113:                              ;   in Loop: Header=BB171_94 Depth=1
	v_and_b32_sdwa v5, v39, v36 dst_sel:DWORD dst_unused:UNUSED_PAD src0_sel:WORD_1 src1_sel:DWORD
	v_lshrrev_b32_e32 v11, 3, v13
	s_mov_b32 s17, exec_lo
	v_cmpx_gt_u32_e32 8, v13
; %bb.114:                              ;   in Loop: Header=BB171_94 Depth=1
	v_ffbh_u32_e32 v11, v5
	v_min_u32_e32 v11, 32, v11
	v_subrev_nc_u32_e32 v13, 28, v11
	v_sub_nc_u32_e32 v11, 29, v11
	v_lshlrev_b64 v[21:22], v13, v[5:6]
	v_and_b32_e32 v5, 7, v21
; %bb.115:                              ;   in Loop: Header=BB171_94 Depth=1
	s_or_b32 exec_lo, exec_lo, s17
	v_lshlrev_b32_sdwa v13, v37, v39 dst_sel:DWORD dst_unused:UNUSED_PAD src0_sel:DWORD src1_sel:WORD_1
	v_lshlrev_b32_e32 v5, 20, v5
	v_lshl_add_u32 v11, v11, 23, 0x3c000000
	v_and_b32_e32 v13, 0x80000000, v13
	v_or3_b32 v5, v5, v13, v11
	v_mov_b32_e32 v22, v6
	v_mov_b32_e32 v21, v5
.LBB171_116:                            ;   in Loop: Header=BB171_94 Depth=1
	s_or_b32 exec_lo, exec_lo, s16
.LBB171_117:                            ;   in Loop: Header=BB171_94 Depth=1
	s_or_b32 exec_lo, exec_lo, s15
.LBB171_118:                            ;   in Loop: Header=BB171_94 Depth=1
	s_or_b32 exec_lo, exec_lo, s1
	s_mov_b32 s1, exec_lo
	v_cmpx_lt_u32_e32 0xffffff, v39
	s_cbranch_execz .LBB171_126
; %bb.119:                              ;   in Loop: Header=BB171_94 Depth=1
	v_mov_b32_e32 v11, v6
	v_mov_b32_e32 v24, v12
	v_cmp_ne_u32_sdwa s16, v39, v33 src0_sel:BYTE_3 src1_sel:DWORD
	v_mov_b32_e32 v23, v11
	s_and_saveexec_b32 s15, s16
	s_cbranch_execz .LBB171_125
; %bb.120:                              ;   in Loop: Header=BB171_94 Depth=1
	v_mov_b32_e32 v13, v6
	v_mov_b32_e32 v24, v14
	v_bfe_u32 v40, v39, 24, 7
	s_mov_b32 s16, exec_lo
	v_mov_b32_e32 v23, v13
	v_cmpx_ne_u32_e32 0x7f, v40
	s_cbranch_execz .LBB171_124
; %bb.121:                              ;   in Loop: Header=BB171_94 Depth=1
	v_and_b32_sdwa v5, v39, v36 dst_sel:DWORD dst_unused:UNUSED_PAD src0_sel:BYTE_3 src1_sel:DWORD
	v_lshrrev_b32_e32 v11, 3, v40
	s_mov_b32 s17, exec_lo
	v_cmpx_gt_u32_e32 8, v40
; %bb.122:                              ;   in Loop: Header=BB171_94 Depth=1
	v_ffbh_u32_e32 v11, v5
	v_min_u32_e32 v11, 32, v11
	v_subrev_nc_u32_e32 v13, 28, v11
	v_sub_nc_u32_e32 v11, 29, v11
	v_lshlrev_b64 v[23:24], v13, v[5:6]
	v_and_b32_e32 v5, 7, v23
; %bb.123:                              ;   in Loop: Header=BB171_94 Depth=1
	s_or_b32 exec_lo, exec_lo, s17
	v_lshlrev_b32_sdwa v13, v37, v39 dst_sel:DWORD dst_unused:UNUSED_PAD src0_sel:DWORD src1_sel:BYTE_3
	v_lshlrev_b32_e32 v5, 20, v5
	v_lshl_add_u32 v11, v11, 23, 0x3c000000
	v_mov_b32_e32 v23, v6
	v_and_b32_e32 v13, 0x80000000, v13
	v_or3_b32 v24, v5, v13, v11
.LBB171_124:                            ;   in Loop: Header=BB171_94 Depth=1
	s_or_b32 exec_lo, exec_lo, s16
.LBB171_125:                            ;   in Loop: Header=BB171_94 Depth=1
	s_or_b32 exec_lo, exec_lo, s15
.LBB171_126:                            ;   in Loop: Header=BB171_94 Depth=1
	s_or_b32 exec_lo, exec_lo, s1
	v_or_b32_e32 v5, v20, v18
	v_or_b32_e32 v11, v19, v17
	;; [unrolled: 1-line block ×4, first 2 shown]
	v_add_nc_u32_e32 v41, -3, v31
	v_cmp_eq_u32_e32 vcc_lo, s4, v38
	v_mul_f32_e32 v39, s14, v5
	v_mul_f32_e32 v40, s3, v11
	;; [unrolled: 1-line block ×4, first 2 shown]
	v_add_nc_u32_e32 v43, -2, v31
	v_add_nc_u32_e32 v42, -1, v31
	s_and_saveexec_b32 s15, vcc_lo
	s_cbranch_execz .LBB171_128
; %bb.127:                              ;   in Loop: Header=BB171_94 Depth=1
	v_cmp_gt_i32_e64 s1, s11, v41
	v_cndmask_b32_e64 v40, 0, v40, s1
	v_cmp_gt_i32_e64 s1, s11, v43
	v_cndmask_b32_e64 v39, 0, v39, s1
	;; [unrolled: 2-line block ×4, first 2 shown]
.LBB171_128:                            ;   in Loop: Header=BB171_94 Depth=1
	s_or_b32 exec_lo, exec_lo, s15
	global_load_dword v44, v[15:16], off offset:128
	v_mov_b32_e32 v17, 0
	v_mov_b32_e32 v15, 0
	v_mov_b32_e32 v18, 0
	v_mov_b32_e32 v16, 0
	s_waitcnt vmcnt(0)
	v_cmp_ne_u16_sdwa s1, v44, v6 src0_sel:BYTE_0 src1_sel:DWORD
	s_and_saveexec_b32 s15, s1
	s_cbranch_execz .LBB171_136
; %bb.129:                              ;   in Loop: Header=BB171_94 Depth=1
	v_bfrev_b32_e32 v15, 1
	v_mov_b32_e32 v16, 0
	v_cmp_ne_u16_sdwa s1, v44, v33 src0_sel:BYTE_0 src1_sel:DWORD
	s_and_saveexec_b32 s16, s1
	s_cbranch_execz .LBB171_135
; %bb.130:                              ;   in Loop: Header=BB171_94 Depth=1
	v_mov_b32_e32 v15, 0x7f800001
	v_and_b32_e32 v13, 0x7f, v44
	v_mov_b32_e32 v16, 0
	s_mov_b32 s17, exec_lo
	v_cmpx_ne_u32_e32 0x7f, v13
	s_cbranch_execz .LBB171_134
; %bb.131:                              ;   in Loop: Header=BB171_94 Depth=1
	v_and_b32_e32 v5, 7, v44
	v_lshrrev_b32_e32 v11, 3, v13
	s_mov_b32 s18, exec_lo
	v_cmpx_gt_u32_e32 8, v13
; %bb.132:                              ;   in Loop: Header=BB171_94 Depth=1
	v_ffbh_u32_e32 v11, v5
	v_min_u32_e32 v11, 32, v11
	v_subrev_nc_u32_e32 v13, 28, v11
	v_sub_nc_u32_e32 v11, 29, v11
	v_lshlrev_b64 v[15:16], v13, v[5:6]
	v_and_b32_e32 v5, 7, v15
; %bb.133:                              ;   in Loop: Header=BB171_94 Depth=1
	s_or_b32 exec_lo, exec_lo, s18
	v_lshlrev_b32_e32 v13, 24, v44
	v_lshlrev_b32_e32 v5, 20, v5
	v_lshl_add_u32 v11, v11, 23, 0x3c000000
	v_and_b32_e32 v13, 0x80000000, v13
	v_or3_b32 v5, v5, v13, v11
	v_mov_b32_e32 v16, v6
	v_mov_b32_e32 v15, v5
.LBB171_134:                            ;   in Loop: Header=BB171_94 Depth=1
	s_or_b32 exec_lo, exec_lo, s17
.LBB171_135:                            ;   in Loop: Header=BB171_94 Depth=1
	s_or_b32 exec_lo, exec_lo, s16
.LBB171_136:                            ;   in Loop: Header=BB171_94 Depth=1
	s_or_b32 exec_lo, exec_lo, s15
	v_cmp_ne_u16_sdwa s1, v44, v6 src0_sel:BYTE_1 src1_sel:DWORD
	s_and_saveexec_b32 s15, s1
	s_cbranch_execz .LBB171_144
; %bb.137:                              ;   in Loop: Header=BB171_94 Depth=1
	v_mov_b32_e32 v11, v6
	v_mov_b32_e32 v18, v12
	v_cmp_ne_u16_sdwa s1, v44, v33 src0_sel:BYTE_1 src1_sel:DWORD
	v_mov_b32_e32 v17, v11
	s_and_saveexec_b32 s16, s1
	s_cbranch_execz .LBB171_143
; %bb.138:                              ;   in Loop: Header=BB171_94 Depth=1
	v_and_b32_sdwa v5, v34, v44 dst_sel:DWORD dst_unused:UNUSED_PAD src0_sel:DWORD src1_sel:BYTE_1
	v_mov_b32_e32 v13, v6
	v_mov_b32_e32 v18, v14
	s_mov_b32 s17, exec_lo
	v_and_b32_e32 v19, 0x7f, v5
	v_mov_b32_e32 v17, v13
	v_cmpx_ne_u32_e32 0x7f, v19
	s_cbranch_execz .LBB171_142
; %bb.139:                              ;   in Loop: Header=BB171_94 Depth=1
	v_and_b32_e32 v5, 7, v5
	v_lshrrev_b32_e32 v11, 3, v19
	s_mov_b32 s18, exec_lo
	v_cmpx_gt_u32_e32 8, v19
; %bb.140:                              ;   in Loop: Header=BB171_94 Depth=1
	v_ffbh_u32_e32 v11, v5
	v_min_u32_e32 v11, 32, v11
	v_subrev_nc_u32_e32 v13, 28, v11
	v_sub_nc_u32_e32 v11, 29, v11
	v_lshlrev_b64 v[17:18], v13, v[5:6]
	v_and_b32_e32 v5, 7, v17
; %bb.141:                              ;   in Loop: Header=BB171_94 Depth=1
	s_or_b32 exec_lo, exec_lo, s18
	v_lshlrev_b32_e32 v13, 16, v44
	v_lshlrev_b32_e32 v5, 20, v5
	v_lshl_add_u32 v11, v11, 23, 0x3c000000
	v_mov_b32_e32 v17, v6
	v_and_b32_e32 v13, 0x80000000, v13
	v_or3_b32 v18, v5, v13, v11
.LBB171_142:                            ;   in Loop: Header=BB171_94 Depth=1
	s_or_b32 exec_lo, exec_lo, s17
.LBB171_143:                            ;   in Loop: Header=BB171_94 Depth=1
	s_or_b32 exec_lo, exec_lo, s16
.LBB171_144:                            ;   in Loop: Header=BB171_94 Depth=1
	s_or_b32 exec_lo, exec_lo, s15
	v_mov_b32_e32 v21, 0
	v_mov_b32_e32 v19, 0
	v_and_b32_sdwa v5, v44, v35 dst_sel:DWORD dst_unused:UNUSED_PAD src0_sel:WORD_1 src1_sel:DWORD
	v_mov_b32_e32 v22, 0
	v_mov_b32_e32 v20, 0
	s_mov_b32 s15, exec_lo
	v_cmpx_ne_u16_e32 0, v5
	s_cbranch_execz .LBB171_152
; %bb.145:                              ;   in Loop: Header=BB171_94 Depth=1
	v_bfrev_b32_e32 v19, 1
	v_mov_b32_e32 v20, 0
	s_mov_b32 s16, exec_lo
	v_cmpx_ne_u16_e32 0x80, v5
	s_cbranch_execz .LBB171_151
; %bb.146:                              ;   in Loop: Header=BB171_94 Depth=1
	v_mov_b32_e32 v19, 0x7f800001
	v_bfe_u32 v13, v44, 16, 7
	v_mov_b32_e32 v20, 0
	s_mov_b32 s17, exec_lo
	v_cmpx_ne_u32_e32 0x7f, v13
	s_cbranch_execz .LBB171_150
; %bb.147:                              ;   in Loop: Header=BB171_94 Depth=1
	v_and_b32_sdwa v5, v44, v36 dst_sel:DWORD dst_unused:UNUSED_PAD src0_sel:WORD_1 src1_sel:DWORD
	v_lshrrev_b32_e32 v11, 3, v13
	s_mov_b32 s18, exec_lo
	v_cmpx_gt_u32_e32 8, v13
; %bb.148:                              ;   in Loop: Header=BB171_94 Depth=1
	v_ffbh_u32_e32 v11, v5
	v_min_u32_e32 v11, 32, v11
	v_subrev_nc_u32_e32 v13, 28, v11
	v_sub_nc_u32_e32 v11, 29, v11
	v_lshlrev_b64 v[19:20], v13, v[5:6]
	v_and_b32_e32 v5, 7, v19
; %bb.149:                              ;   in Loop: Header=BB171_94 Depth=1
	s_or_b32 exec_lo, exec_lo, s18
	v_lshlrev_b32_sdwa v13, v37, v44 dst_sel:DWORD dst_unused:UNUSED_PAD src0_sel:DWORD src1_sel:WORD_1
	v_lshlrev_b32_e32 v5, 20, v5
	v_lshl_add_u32 v11, v11, 23, 0x3c000000
	v_and_b32_e32 v13, 0x80000000, v13
	v_or3_b32 v5, v5, v13, v11
	v_mov_b32_e32 v20, v6
	v_mov_b32_e32 v19, v5
.LBB171_150:                            ;   in Loop: Header=BB171_94 Depth=1
	s_or_b32 exec_lo, exec_lo, s17
.LBB171_151:                            ;   in Loop: Header=BB171_94 Depth=1
	s_or_b32 exec_lo, exec_lo, s16
.LBB171_152:                            ;   in Loop: Header=BB171_94 Depth=1
	s_or_b32 exec_lo, exec_lo, s15
	s_mov_b32 s15, exec_lo
	v_cmpx_lt_u32_e32 0xffffff, v44
	s_cbranch_execz .LBB171_160
; %bb.153:                              ;   in Loop: Header=BB171_94 Depth=1
	v_mov_b32_e32 v11, v6
	v_mov_b32_e32 v22, v12
	v_cmp_ne_u32_sdwa s1, v44, v33 src0_sel:BYTE_3 src1_sel:DWORD
	v_mov_b32_e32 v21, v11
	s_and_saveexec_b32 s16, s1
	s_cbranch_execz .LBB171_159
; %bb.154:                              ;   in Loop: Header=BB171_94 Depth=1
	v_mov_b32_e32 v13, v6
	v_mov_b32_e32 v22, v14
	v_bfe_u32 v45, v44, 24, 7
	s_mov_b32 s17, exec_lo
	v_mov_b32_e32 v21, v13
	v_cmpx_ne_u32_e32 0x7f, v45
	s_cbranch_execz .LBB171_158
; %bb.155:                              ;   in Loop: Header=BB171_94 Depth=1
	v_and_b32_sdwa v5, v44, v36 dst_sel:DWORD dst_unused:UNUSED_PAD src0_sel:BYTE_3 src1_sel:DWORD
	v_lshrrev_b32_e32 v11, 3, v45
	s_mov_b32 s18, exec_lo
	v_cmpx_gt_u32_e32 8, v45
; %bb.156:                              ;   in Loop: Header=BB171_94 Depth=1
	v_ffbh_u32_e32 v11, v5
	v_min_u32_e32 v11, 32, v11
	v_subrev_nc_u32_e32 v13, 28, v11
	v_sub_nc_u32_e32 v11, 29, v11
	v_lshlrev_b64 v[21:22], v13, v[5:6]
	v_and_b32_e32 v5, 7, v21
; %bb.157:                              ;   in Loop: Header=BB171_94 Depth=1
	s_or_b32 exec_lo, exec_lo, s18
	v_lshlrev_b32_sdwa v13, v37, v44 dst_sel:DWORD dst_unused:UNUSED_PAD src0_sel:DWORD src1_sel:BYTE_3
	v_lshlrev_b32_e32 v5, 20, v5
	v_lshl_add_u32 v11, v11, 23, 0x3c000000
	v_mov_b32_e32 v21, v6
	v_and_b32_e32 v13, 0x80000000, v13
	v_or3_b32 v22, v5, v13, v11
.LBB171_158:                            ;   in Loop: Header=BB171_94 Depth=1
	s_or_b32 exec_lo, exec_lo, s17
.LBB171_159:                            ;   in Loop: Header=BB171_94 Depth=1
	s_or_b32 exec_lo, exec_lo, s16
.LBB171_160:                            ;   in Loop: Header=BB171_94 Depth=1
	s_or_b32 exec_lo, exec_lo, s15
	v_or_b32_e32 v5, v18, v16
	v_or_b32_e32 v11, v17, v15
	;; [unrolled: 1-line block ×4, first 2 shown]
	v_mul_f32_e32 v13, s14, v5
	v_mul_f32_e32 v15, s3, v11
	;; [unrolled: 1-line block ×4, first 2 shown]
	s_and_saveexec_b32 s1, vcc_lo
	s_cbranch_execz .LBB171_93
; %bb.161:                              ;   in Loop: Header=BB171_94 Depth=1
	v_cmp_gt_i32_e32 vcc_lo, s11, v41
	v_cndmask_b32_e32 v15, 0, v15, vcc_lo
	v_cmp_gt_i32_e32 vcc_lo, s11, v43
	v_cndmask_b32_e32 v13, 0, v13, vcc_lo
	;; [unrolled: 2-line block ×4, first 2 shown]
	s_branch .LBB171_93
.LBB171_162:
	s_or_b32 exec_lo, exec_lo, s13
.LBB171_163:
	s_or_b32 exec_lo, exec_lo, s2
	ds_bpermute_b32 v1, v27, v29
	ds_bpermute_b32 v2, v27, v30
	v_lshrrev_b32_e32 v3, 1, v26
	v_and_b32_e32 v5, 0x3c1, v0
	s_mov_b32 s1, exec_lo
	s_waitcnt lgkmcnt(0)
	s_barrier
	v_lshl_add_u32 v4, v3, 2, 0xa0
	buffer_gl0_inv
	v_add_f32_e32 v1, v29, v1
	v_add_f32_e32 v2, v30, v2
	v_cmpx_eq_u32_e32 64, v5
	s_cbranch_execz .LBB171_165
; %bb.164:
	v_lshl_add_u32 v5, v25, 7, v4
	v_add_nc_u32_e32 v6, 0xffffff00, v5
	v_add_nc_u32_e32 v5, 0xffffff40, v5
	ds_write_b32 v6, v1
	ds_write_b32 v5, v2
.LBB171_165:
	s_or_b32 exec_lo, exec_lo, s1
	v_and_b32_e32 v5, 0x3e0, v0
	v_lshlrev_b32_e32 v3, 2, v3
	s_mov_b32 s2, exec_lo
	v_cmp_eq_u32_e32 vcc_lo, 0, v28
	s_waitcnt lgkmcnt(0)
	v_lshlrev_b32_e32 v5, 2, v5
	s_barrier
	buffer_gl0_inv
	v_add3_u32 v3, 0xa0, v5, v3
	v_cmpx_gt_u32_e32 64, v0
	s_cbranch_execz .LBB171_171
; %bb.166:
	s_and_saveexec_b32 s1, vcc_lo
	s_cbranch_execz .LBB171_168
; %bb.167:
	ds_read_b32 v5, v3
	s_waitcnt lgkmcnt(0)
	v_add_f32_e32 v1, v1, v5
.LBB171_168:
	s_or_b32 exec_lo, exec_lo, s1
	s_and_saveexec_b32 s1, vcc_lo
	s_cbranch_execz .LBB171_170
; %bb.169:
	ds_read_b32 v5, v3 offset:64
	s_waitcnt lgkmcnt(0)
	v_add_f32_e32 v2, v2, v5
.LBB171_170:
	s_or_b32 exec_lo, exec_lo, s1
.LBB171_171:
	s_or_b32 exec_lo, exec_lo, s2
	v_and_b32_e32 v5, 0x3e1, v0
	s_mov_b32 s2, exec_lo
	s_barrier
	buffer_gl0_inv
	v_cmpx_eq_u32_e32 32, v5
; %bb.172:
	ds_write2_b32 v4, v1, v2 offset1:16
; %bb.173:
	s_or_b32 exec_lo, exec_lo, s2
	s_waitcnt lgkmcnt(0)
	s_barrier
	buffer_gl0_inv
	s_and_saveexec_b32 s1, s0
	s_cbranch_execz .LBB171_179
; %bb.174:
	s_and_saveexec_b32 s0, vcc_lo
	s_cbranch_execz .LBB171_176
; %bb.175:
	ds_read_b32 v4, v3
	s_waitcnt lgkmcnt(0)
	v_add_f32_e32 v1, v1, v4
.LBB171_176:
	s_or_b32 exec_lo, exec_lo, s0
	s_and_saveexec_b32 s0, vcc_lo
	s_cbranch_execz .LBB171_178
; %bb.177:
	ds_read_b32 v3, v3 offset:64
	s_waitcnt lgkmcnt(0)
	v_add_f32_e32 v2, v2, v3
.LBB171_178:
	s_or_b32 exec_lo, exec_lo, s0
.LBB171_179:
	s_or_b32 exec_lo, exec_lo, s1
	s_barrier
	buffer_gl0_inv
	s_mov_b32 s0, exec_lo
	v_cmpx_eq_u32_e32 0, v5
	s_cbranch_execz .LBB171_181
; %bb.180:
	s_mul_i32 s0, s10, s7
	s_mul_i32 s2, s7, s6
	;; [unrolled: 1-line block ×3, first 2 shown]
	v_lshlrev_b32_e32 v0, 1, v0
	s_lshl_b32 s0, s0, 5
	s_ashr_i32 s1, s0, 31
	s_lshl_b64 s[0:1], s[0:1], 2
	s_add_u32 s4, s20, s0
	s_addc_u32 s5, s21, s1
	s_ashr_i32 s3, s2, 31
	s_lshl_b64 s[0:1], s[2:3], 2
	s_add_u32 s2, s4, s0
	s_addc_u32 s3, s5, s1
	s_lshl_b32 s0, s8, 5
	s_ashr_i32 s1, s0, 31
	s_lshl_b64 s[0:1], s[0:1], 2
	s_add_u32 s0, s2, s0
	s_addc_u32 s1, s3, s1
	global_store_dword v0, v1, s[0:1]
	global_store_dword v0, v2, s[0:1] offset:64
.LBB171_181:
	s_endpgm
	.section	.rodata,"a",@progbits
	.p2align	6, 0x0
	.amdhsa_kernel _ZN4vllm25paged_attention_v1_kernelIfhLi32ELi8ELi128ELNS_18Fp8KVCacheDataTypeE1ELb0EEEvPT_PKS2_PKT0_S8_ifPKiSA_iPKfiiiSC_SC_iiiii
		.amdhsa_group_segment_fixed_size 160
		.amdhsa_private_segment_fixed_size 0
		.amdhsa_kernarg_size 384
		.amdhsa_user_sgpr_count 6
		.amdhsa_user_sgpr_private_segment_buffer 1
		.amdhsa_user_sgpr_dispatch_ptr 0
		.amdhsa_user_sgpr_queue_ptr 0
		.amdhsa_user_sgpr_kernarg_segment_ptr 1
		.amdhsa_user_sgpr_dispatch_id 0
		.amdhsa_user_sgpr_flat_scratch_init 0
		.amdhsa_user_sgpr_private_segment_size 0
		.amdhsa_wavefront_size32 1
		.amdhsa_uses_dynamic_stack 0
		.amdhsa_system_sgpr_private_segment_wavefront_offset 0
		.amdhsa_system_sgpr_workgroup_id_x 1
		.amdhsa_system_sgpr_workgroup_id_y 1
		.amdhsa_system_sgpr_workgroup_id_z 1
		.amdhsa_system_sgpr_workgroup_info 0
		.amdhsa_system_vgpr_workitem_id 0
		.amdhsa_next_free_vgpr 46
		.amdhsa_next_free_sgpr 35
		.amdhsa_reserve_vcc 1
		.amdhsa_reserve_flat_scratch 0
		.amdhsa_float_round_mode_32 0
		.amdhsa_float_round_mode_16_64 0
		.amdhsa_float_denorm_mode_32 3
		.amdhsa_float_denorm_mode_16_64 3
		.amdhsa_dx10_clamp 1
		.amdhsa_ieee_mode 1
		.amdhsa_fp16_overflow 0
		.amdhsa_workgroup_processor_mode 1
		.amdhsa_memory_ordered 1
		.amdhsa_forward_progress 1
		.amdhsa_shared_vgpr_count 0
		.amdhsa_exception_fp_ieee_invalid_op 0
		.amdhsa_exception_fp_denorm_src 0
		.amdhsa_exception_fp_ieee_div_zero 0
		.amdhsa_exception_fp_ieee_overflow 0
		.amdhsa_exception_fp_ieee_underflow 0
		.amdhsa_exception_fp_ieee_inexact 0
		.amdhsa_exception_int_div_zero 0
	.end_amdhsa_kernel
	.section	.text._ZN4vllm25paged_attention_v1_kernelIfhLi32ELi8ELi128ELNS_18Fp8KVCacheDataTypeE1ELb0EEEvPT_PKS2_PKT0_S8_ifPKiSA_iPKfiiiSC_SC_iiiii,"axG",@progbits,_ZN4vllm25paged_attention_v1_kernelIfhLi32ELi8ELi128ELNS_18Fp8KVCacheDataTypeE1ELb0EEEvPT_PKS2_PKT0_S8_ifPKiSA_iPKfiiiSC_SC_iiiii,comdat
.Lfunc_end171:
	.size	_ZN4vllm25paged_attention_v1_kernelIfhLi32ELi8ELi128ELNS_18Fp8KVCacheDataTypeE1ELb0EEEvPT_PKS2_PKT0_S8_ifPKiSA_iPKfiiiSC_SC_iiiii, .Lfunc_end171-_ZN4vllm25paged_attention_v1_kernelIfhLi32ELi8ELi128ELNS_18Fp8KVCacheDataTypeE1ELb0EEEvPT_PKS2_PKT0_S8_ifPKiSA_iPKfiiiSC_SC_iiiii
                                        ; -- End function
	.set _ZN4vllm25paged_attention_v1_kernelIfhLi32ELi8ELi128ELNS_18Fp8KVCacheDataTypeE1ELb0EEEvPT_PKS2_PKT0_S8_ifPKiSA_iPKfiiiSC_SC_iiiii.num_vgpr, 46
	.set _ZN4vllm25paged_attention_v1_kernelIfhLi32ELi8ELi128ELNS_18Fp8KVCacheDataTypeE1ELb0EEEvPT_PKS2_PKT0_S8_ifPKiSA_iPKfiiiSC_SC_iiiii.num_agpr, 0
	.set _ZN4vllm25paged_attention_v1_kernelIfhLi32ELi8ELi128ELNS_18Fp8KVCacheDataTypeE1ELb0EEEvPT_PKS2_PKT0_S8_ifPKiSA_iPKfiiiSC_SC_iiiii.numbered_sgpr, 35
	.set _ZN4vllm25paged_attention_v1_kernelIfhLi32ELi8ELi128ELNS_18Fp8KVCacheDataTypeE1ELb0EEEvPT_PKS2_PKT0_S8_ifPKiSA_iPKfiiiSC_SC_iiiii.num_named_barrier, 0
	.set _ZN4vllm25paged_attention_v1_kernelIfhLi32ELi8ELi128ELNS_18Fp8KVCacheDataTypeE1ELb0EEEvPT_PKS2_PKT0_S8_ifPKiSA_iPKfiiiSC_SC_iiiii.private_seg_size, 0
	.set _ZN4vllm25paged_attention_v1_kernelIfhLi32ELi8ELi128ELNS_18Fp8KVCacheDataTypeE1ELb0EEEvPT_PKS2_PKT0_S8_ifPKiSA_iPKfiiiSC_SC_iiiii.uses_vcc, 1
	.set _ZN4vllm25paged_attention_v1_kernelIfhLi32ELi8ELi128ELNS_18Fp8KVCacheDataTypeE1ELb0EEEvPT_PKS2_PKT0_S8_ifPKiSA_iPKfiiiSC_SC_iiiii.uses_flat_scratch, 0
	.set _ZN4vllm25paged_attention_v1_kernelIfhLi32ELi8ELi128ELNS_18Fp8KVCacheDataTypeE1ELb0EEEvPT_PKS2_PKT0_S8_ifPKiSA_iPKfiiiSC_SC_iiiii.has_dyn_sized_stack, 0
	.set _ZN4vllm25paged_attention_v1_kernelIfhLi32ELi8ELi128ELNS_18Fp8KVCacheDataTypeE1ELb0EEEvPT_PKS2_PKT0_S8_ifPKiSA_iPKfiiiSC_SC_iiiii.has_recursion, 0
	.set _ZN4vllm25paged_attention_v1_kernelIfhLi32ELi8ELi128ELNS_18Fp8KVCacheDataTypeE1ELb0EEEvPT_PKS2_PKT0_S8_ifPKiSA_iPKfiiiSC_SC_iiiii.has_indirect_call, 0
	.section	.AMDGPU.csdata,"",@progbits
; Kernel info:
; codeLenInByte = 6068
; TotalNumSgprs: 37
; NumVgprs: 46
; ScratchSize: 0
; MemoryBound: 0
; FloatMode: 240
; IeeeMode: 1
; LDSByteSize: 160 bytes/workgroup (compile time only)
; SGPRBlocks: 0
; VGPRBlocks: 5
; NumSGPRsForWavesPerEU: 37
; NumVGPRsForWavesPerEU: 46
; Occupancy: 16
; WaveLimiterHint : 1
; COMPUTE_PGM_RSRC2:SCRATCH_EN: 0
; COMPUTE_PGM_RSRC2:USER_SGPR: 6
; COMPUTE_PGM_RSRC2:TRAP_HANDLER: 0
; COMPUTE_PGM_RSRC2:TGID_X_EN: 1
; COMPUTE_PGM_RSRC2:TGID_Y_EN: 1
; COMPUTE_PGM_RSRC2:TGID_Z_EN: 1
; COMPUTE_PGM_RSRC2:TIDIG_COMP_CNT: 0
	.section	.text._ZN4vllm25paged_attention_v1_kernelIfhLi64ELi8ELi128ELNS_18Fp8KVCacheDataTypeE1ELb0EEEvPT_PKS2_PKT0_S8_ifPKiSA_iPKfiiiSC_SC_iiiii,"axG",@progbits,_ZN4vllm25paged_attention_v1_kernelIfhLi64ELi8ELi128ELNS_18Fp8KVCacheDataTypeE1ELb0EEEvPT_PKS2_PKT0_S8_ifPKiSA_iPKfiiiSC_SC_iiiii,comdat
	.protected	_ZN4vllm25paged_attention_v1_kernelIfhLi64ELi8ELi128ELNS_18Fp8KVCacheDataTypeE1ELb0EEEvPT_PKS2_PKT0_S8_ifPKiSA_iPKfiiiSC_SC_iiiii ; -- Begin function _ZN4vllm25paged_attention_v1_kernelIfhLi64ELi8ELi128ELNS_18Fp8KVCacheDataTypeE1ELb0EEEvPT_PKS2_PKT0_S8_ifPKiSA_iPKfiiiSC_SC_iiiii
	.globl	_ZN4vllm25paged_attention_v1_kernelIfhLi64ELi8ELi128ELNS_18Fp8KVCacheDataTypeE1ELb0EEEvPT_PKS2_PKT0_S8_ifPKiSA_iPKfiiiSC_SC_iiiii
	.p2align	8
	.type	_ZN4vllm25paged_attention_v1_kernelIfhLi64ELi8ELi128ELNS_18Fp8KVCacheDataTypeE1ELb0EEEvPT_PKS2_PKT0_S8_ifPKiSA_iPKfiiiSC_SC_iiiii,@function
_ZN4vllm25paged_attention_v1_kernelIfhLi64ELi8ELi128ELNS_18Fp8KVCacheDataTypeE1ELb0EEEvPT_PKS2_PKT0_S8_ifPKiSA_iPKfiiiSC_SC_iiiii: ; @_ZN4vllm25paged_attention_v1_kernelIfhLi64ELi8ELi128ELNS_18Fp8KVCacheDataTypeE1ELb0EEEvPT_PKS2_PKT0_S8_ifPKiSA_iPKfiiiSC_SC_iiiii
; %bb.0:
	s_clause 0x2
	s_load_dword s9, s[4:5], 0x80
	s_load_dwordx2 s[0:1], s[4:5], 0x30
	s_load_dwordx2 s[28:29], s[4:5], 0x20
	s_mov_b32 s10, s7
	s_ashr_i32 s11, s7, 31
	s_lshl_b64 s[2:3], s[10:11], 2
	s_waitcnt lgkmcnt(0)
	s_add_u32 s0, s0, s2
	s_addc_u32 s1, s1, s3
	s_abs_i32 s2, s28
	s_abs_i32 s11, s9
	v_cvt_f32_u32_e32 v1, s2
	s_sub_i32 s7, 0, s2
	v_rcp_iflag_f32_e32 v1, v1
	v_mul_f32_e32 v1, 0x4f7ffffe, v1
	v_cvt_u32_f32_e32 v1, v1
	v_readfirstlane_b32 s3, v1
	s_mul_i32 s7, s7, s3
	s_mul_hi_u32 s7, s3, s7
	s_add_i32 s3, s3, s7
	s_xor_b32 s7, s9, s28
	s_mul_hi_u32 s3, s11, s3
	s_ashr_i32 s7, s7, 31
	s_mul_i32 s12, s3, s2
	s_mov_b32 s28, 0
	s_sub_i32 s11, s11, s12
	s_add_i32 s12, s3, 1
	s_sub_i32 s13, s11, s2
	s_cmp_ge_u32 s11, s2
	s_cselect_b32 s3, s12, s3
	s_cselect_b32 s11, s13, s11
	s_add_i32 s12, s3, 1
	s_cmp_ge_u32 s11, s2
	s_cselect_b32 s2, s12, s3
	s_abs_i32 s17, s6
	s_xor_b32 s2, s2, s7
	s_sub_i32 s19, s2, s7
	s_load_dwordx2 s[2:3], s[4:5], 0x40
	s_abs_i32 s16, s19
	v_cvt_f32_u32_e32 v1, s16
	s_sub_i32 s11, 0, s16
	v_rcp_iflag_f32_e32 v1, v1
	v_mul_f32_e32 v1, 0x4f7ffffe, v1
	v_cvt_u32_f32_e32 v1, v1
	v_readfirstlane_b32 s7, v1
	s_mul_i32 s11, s11, s7
	s_mul_hi_u32 s11, s7, s11
	s_add_i32 s7, s7, s11
	s_waitcnt lgkmcnt(0)
	s_cmp_eq_u64 s[2:3], 0
	s_mul_hi_u32 s18, s17, s7
	s_cbranch_scc1 .LBB172_2
; %bb.1:
	s_ashr_i32 s7, s6, 31
	s_lshl_b64 s[12:13], s[6:7], 2
	s_add_u32 s2, s2, s12
	s_addc_u32 s3, s3, s13
	s_load_dword s28, s[2:3], 0x0
.LBB172_2:
	s_load_dword s11, s[0:1], 0x0
	s_load_dwordx4 s[12:15], s[4:5], 0x48
	v_and_b32_e32 v17, 3, v0
	v_cmp_gt_u32_e64 s0, 64, v0
	v_lshlrev_b32_e32 v28, 2, v0
	s_ashr_i32 s1, s6, 31
	s_ashr_i32 s2, s19, 31
	s_lshl_b32 s6, s6, 6
	s_and_saveexec_b32 s3, s0
	s_cbranch_execz .LBB172_4
; %bb.3:
	s_load_dwordx2 s[20:21], s[4:5], 0x8
	s_waitcnt lgkmcnt(0)
	s_mul_i32 s22, s12, s10
	v_and_b32_e32 v2, 0x3fc, v0
	s_ashr_i32 s23, s22, 31
	s_lshl_b64 s[22:23], s[22:23], 2
	v_lshl_add_u32 v2, v17, 6, v2
	s_add_u32 s12, s20, s22
	s_addc_u32 s15, s21, s23
	s_ashr_i32 s7, s6, 31
	s_lshl_b64 s[20:21], s[6:7], 2
	s_add_u32 s20, s12, s20
	s_addc_u32 s21, s15, s21
	global_load_dword v1, v28, s[20:21]
	s_waitcnt vmcnt(0)
	ds_write_b32 v2, v1
.LBB172_4:
	s_or_b32 exec_lo, exec_lo, s3
	s_waitcnt lgkmcnt(0)
	s_add_i32 s3, s11, 7
	s_clause 0x1
	s_load_dwordx2 s[22:23], s[4:5], 0x28
	s_load_dword s15, s[4:5], 0x38
	s_ashr_i32 s7, s3, 31
	s_xor_b32 s1, s1, s2
	s_lshr_b32 s7, s7, 29
	s_mul_i32 s2, s18, s16
	s_add_i32 s3, s3, s7
	s_sub_i32 s2, s17, s2
	s_ashr_i32 s12, s3, 3
	s_add_i32 s3, s18, 1
	s_sub_i32 s7, s2, s16
	s_cmp_ge_u32 s2, s16
	v_lshrrev_b32_e32 v25, 5, v0
	s_cselect_b32 s3, s3, s18
	s_cselect_b32 s2, s7, s2
	s_add_i32 s7, s3, 1
	s_cmp_ge_u32 s2, s16
	v_mbcnt_lo_u32_b32 v30, -1, 0
	s_cselect_b32 s2, s7, s3
	s_mov_b32 s3, exec_lo
	s_xor_b32 s2, s2, s1
	s_waitcnt lgkmcnt(0)
	s_mul_i32 s24, s15, s10
	s_sub_i32 s2, s2, s1
	v_cmp_gt_i32_e64 s1, s12, v25
	s_ashr_i32 s25, s24, 31
	s_barrier
	buffer_gl0_inv
                                        ; implicit-def: $vgpr18
                                        ; implicit-def: $vgpr27
	v_cmpx_le_i32_e64 s12, v25
	s_xor_b32 s3, exec_lo, s3
; %bb.5:
	v_mov_b32_e32 v18, 0
	v_mbcnt_lo_u32_b32 v30, -1, 0
	v_mov_b32_e32 v27, 32
                                        ; implicit-def: $vgpr17
; %bb.6:
	s_or_saveexec_b32 s15, s3
	s_clause 0x3
	s_load_dwordx2 s[20:21], s[4:5], 0x0
	s_load_dwordx2 s[26:27], s[4:5], 0x18
	s_load_dword s7, s[4:5], 0x88
	s_load_dwordx4 s[16:19], s[4:5], 0x58
	v_mov_b32_e32 v26, 0xff7fffff
	v_lshrrev_b32_e32 v29, 3, v0
	s_mul_i32 s14, s2, s14
	s_xor_b32 exec_lo, exec_lo, s15
	s_cbranch_execz .LBB172_140
; %bb.7:
	s_load_dwordx2 s[2:3], s[4:5], 0x10
	v_xor_b32_e32 v9, 2, v30
	v_bfe_u32 v21, v0, 2, 3
	v_xor_b32_e32 v19, 1, v30
	v_lshlrev_b32_e32 v13, 6, v17
	ds_read_b128 v[1:4], v13
	ds_read_b128 v[5:8], v13 offset:16
	v_cmp_gt_i32_e32 vcc_lo, 32, v9
	v_lshlrev_b32_e32 v20, 4, v21
	s_ashr_i32 s4, s14, 31
	v_lshlrev_b32_e32 v23, 2, v21
	v_lshl_or_b32 v33, v25, 3, v21
	v_cndmask_b32_e32 v22, v30, v9, vcc_lo
	v_cmp_gt_i32_e32 vcc_lo, 32, v19
	ds_read_b128 v[9:12], v13 offset:32
	ds_read_b128 v[13:16], v13 offset:48
	s_waitcnt lgkmcnt(0)
	s_load_dword s5, s[16:17], 0x0
	v_and_b32_e32 v21, 0x7c, v29
	s_add_u32 s2, s2, s14
	v_cndmask_b32_e32 v19, v30, v19, vcc_lo
	s_addc_u32 s3, s3, s4
	v_add_co_u32 v20, s2, s2, v20
	v_lshlrev_b32_e32 v31, 2, v22
	v_add_co_ci_u32_e64 v22, null, s3, 0, s2
	v_lshlrev_b32_e32 v32, 2, v19
	v_add_co_u32 v19, s3, v20, v17
	s_lshl_b64 s[30:31], s[24:25], 2
	v_cmp_eq_u32_e32 vcc_lo, 0, v17
	v_lshl_or_b32 v17, v25, 5, v23
	s_sub_i32 s16, 1, s11
	v_add_co_ci_u32_e64 v20, null, 0, v22, s3
	s_add_u32 s3, s22, s30
	s_addc_u32 s4, s23, s31
	v_add_co_u32 v21, s3, s3, v21
	v_mov_b32_e32 v18, 0
	v_mov_b32_e32 v27, 32
	v_cmp_neq_f32_e64 s2, s28, 0
	v_add_nc_u32_e32 v34, 0x120, v17
	v_add_co_ci_u32_e64 v22, null, s4, 0, s3
	v_mov_b32_e32 v26, 0xff7fffff
	v_mov_b32_e32 v35, 0x7f
	;; [unrolled: 1-line block ×4, first 2 shown]
	s_mov_b32 s30, s13
	s_mov_b32 s17, 0
	s_branch .LBB172_9
.LBB172_8:                              ;   in Loop: Header=BB172_9 Depth=1
	s_or_b32 exec_lo, exec_lo, s4
	v_add_nc_u32_e32 v37, 4, v37
	v_add_co_u32 v21, s4, v21, 16
	v_add_nc_u32_e32 v33, 32, v33
	v_add_nc_u32_e32 v34, 0x80, v34
	v_cmp_le_i32_e64 s3, s12, v37
	v_add_co_ci_u32_e64 v22, null, 0, v22, s4
	s_or_b32 s17, s3, s17
	s_andn2_b32 exec_lo, exec_lo, s17
	s_cbranch_execz .LBB172_139
.LBB172_9:                              ; =>This Inner Loop Header: Depth=1
	global_load_dword v17, v[21:22], off
	v_mov_b32_e32 v38, 0
	v_mov_b32_e32 v39, 0
	s_mov_b32 s4, exec_lo
	s_waitcnt vmcnt(0) lgkmcnt(0)
	v_mad_i64_i32 v[23:24], null, v17, s30, v[19:20]
	global_load_ubyte v40, v[23:24], off
	s_waitcnt vmcnt(0)
	v_cmpx_ne_u16_e32 0, v40
	s_cbranch_execz .LBB172_17
; %bb.10:                               ;   in Loop: Header=BB172_9 Depth=1
	v_bfrev_b32_e32 v39, 1
	s_mov_b32 s31, exec_lo
	v_cmpx_ne_u16_e32 0x80, v40
	s_cbranch_execz .LBB172_16
; %bb.11:                               ;   in Loop: Header=BB172_9 Depth=1
	v_and_b32_sdwa v41, v40, v35 dst_sel:DWORD dst_unused:UNUSED_PAD src0_sel:WORD_0 src1_sel:DWORD
	v_mov_b32_e32 v39, 0x7f800001
	s_mov_b32 s33, exec_lo
	v_cmpx_ne_u32_e32 0x7f, v41
	s_cbranch_execz .LBB172_15
; %bb.12:                               ;   in Loop: Header=BB172_9 Depth=1
	v_and_b32_sdwa v17, v40, v36 dst_sel:DWORD dst_unused:UNUSED_PAD src0_sel:WORD_0 src1_sel:DWORD
	v_lshrrev_b32_e32 v39, 3, v41
	s_mov_b32 s34, exec_lo
	v_cmpx_gt_u32_e32 8, v41
; %bb.13:                               ;   in Loop: Header=BB172_9 Depth=1
	v_ffbh_u32_e32 v39, v17
	v_min_u32_e32 v39, 32, v39
	v_subrev_nc_u32_e32 v41, 28, v39
	v_sub_nc_u32_e32 v39, 29, v39
	v_lshlrev_b64 v[41:42], v41, v[17:18]
	v_and_b32_e32 v17, 7, v41
; %bb.14:                               ;   in Loop: Header=BB172_9 Depth=1
	s_or_b32 exec_lo, exec_lo, s34
	v_lshlrev_b32_e32 v40, 24, v40
	v_lshlrev_b32_e32 v17, 20, v17
	v_lshl_add_u32 v39, v39, 23, 0x3c000000
	v_and_b32_e32 v40, 0x80000000, v40
	v_or3_b32 v39, v17, v40, v39
.LBB172_15:                             ;   in Loop: Header=BB172_9 Depth=1
	s_or_b32 exec_lo, exec_lo, s33
.LBB172_16:                             ;   in Loop: Header=BB172_9 Depth=1
	s_or_b32 exec_lo, exec_lo, s31
.LBB172_17:                             ;   in Loop: Header=BB172_9 Depth=1
	s_or_b32 exec_lo, exec_lo, s4
	global_load_ubyte v40, v[23:24], off offset:4
	s_mov_b32 s4, exec_lo
	s_waitcnt vmcnt(0)
	v_cmpx_ne_u16_e32 0, v40
	s_cbranch_execz .LBB172_25
; %bb.18:                               ;   in Loop: Header=BB172_9 Depth=1
	v_bfrev_b32_e32 v38, 1
	s_mov_b32 s31, exec_lo
	v_cmpx_ne_u16_e32 0x80, v40
	s_cbranch_execz .LBB172_24
; %bb.19:                               ;   in Loop: Header=BB172_9 Depth=1
	v_and_b32_sdwa v41, v40, v35 dst_sel:DWORD dst_unused:UNUSED_PAD src0_sel:WORD_0 src1_sel:DWORD
	v_mov_b32_e32 v38, 0x7f800001
	s_mov_b32 s33, exec_lo
	v_cmpx_ne_u32_e32 0x7f, v41
	s_cbranch_execz .LBB172_23
; %bb.20:                               ;   in Loop: Header=BB172_9 Depth=1
	v_and_b32_sdwa v17, v40, v36 dst_sel:DWORD dst_unused:UNUSED_PAD src0_sel:WORD_0 src1_sel:DWORD
	v_lshrrev_b32_e32 v38, 3, v41
	s_mov_b32 s34, exec_lo
	v_cmpx_gt_u32_e32 8, v41
; %bb.21:                               ;   in Loop: Header=BB172_9 Depth=1
	v_ffbh_u32_e32 v38, v17
	v_min_u32_e32 v38, 32, v38
	v_subrev_nc_u32_e32 v41, 28, v38
	v_sub_nc_u32_e32 v38, 29, v38
	v_lshlrev_b64 v[41:42], v41, v[17:18]
	v_and_b32_e32 v17, 7, v41
; %bb.22:                               ;   in Loop: Header=BB172_9 Depth=1
	s_or_b32 exec_lo, exec_lo, s34
	v_lshlrev_b32_e32 v40, 24, v40
	v_lshlrev_b32_e32 v17, 20, v17
	v_lshl_add_u32 v38, v38, 23, 0x3c000000
	v_and_b32_e32 v40, 0x80000000, v40
	v_or3_b32 v38, v17, v40, v38
.LBB172_23:                             ;   in Loop: Header=BB172_9 Depth=1
	s_or_b32 exec_lo, exec_lo, s33
.LBB172_24:                             ;   in Loop: Header=BB172_9 Depth=1
	s_or_b32 exec_lo, exec_lo, s31
.LBB172_25:                             ;   in Loop: Header=BB172_9 Depth=1
	s_or_b32 exec_lo, exec_lo, s4
	global_load_ubyte v42, v[23:24], off offset:8
	v_mov_b32_e32 v40, 0
	v_mov_b32_e32 v41, 0
	s_mov_b32 s4, exec_lo
	s_waitcnt vmcnt(0)
	v_cmpx_ne_u16_e32 0, v42
	s_cbranch_execz .LBB172_33
; %bb.26:                               ;   in Loop: Header=BB172_9 Depth=1
	v_bfrev_b32_e32 v41, 1
	s_mov_b32 s31, exec_lo
	v_cmpx_ne_u16_e32 0x80, v42
	s_cbranch_execz .LBB172_32
; %bb.27:                               ;   in Loop: Header=BB172_9 Depth=1
	v_and_b32_sdwa v43, v42, v35 dst_sel:DWORD dst_unused:UNUSED_PAD src0_sel:WORD_0 src1_sel:DWORD
	v_mov_b32_e32 v41, 0x7f800001
	s_mov_b32 s33, exec_lo
	v_cmpx_ne_u32_e32 0x7f, v43
	s_cbranch_execz .LBB172_31
; %bb.28:                               ;   in Loop: Header=BB172_9 Depth=1
	v_and_b32_sdwa v17, v42, v36 dst_sel:DWORD dst_unused:UNUSED_PAD src0_sel:WORD_0 src1_sel:DWORD
	v_lshrrev_b32_e32 v41, 3, v43
	s_mov_b32 s34, exec_lo
	v_cmpx_gt_u32_e32 8, v43
; %bb.29:                               ;   in Loop: Header=BB172_9 Depth=1
	v_ffbh_u32_e32 v41, v17
	v_min_u32_e32 v41, 32, v41
	v_subrev_nc_u32_e32 v43, 28, v41
	v_sub_nc_u32_e32 v41, 29, v41
	v_lshlrev_b64 v[43:44], v43, v[17:18]
	v_and_b32_e32 v17, 7, v43
; %bb.30:                               ;   in Loop: Header=BB172_9 Depth=1
	s_or_b32 exec_lo, exec_lo, s34
	v_lshlrev_b32_e32 v42, 24, v42
	v_lshlrev_b32_e32 v17, 20, v17
	v_lshl_add_u32 v41, v41, 23, 0x3c000000
	v_and_b32_e32 v42, 0x80000000, v42
	v_or3_b32 v41, v17, v42, v41
.LBB172_31:                             ;   in Loop: Header=BB172_9 Depth=1
	s_or_b32 exec_lo, exec_lo, s33
.LBB172_32:                             ;   in Loop: Header=BB172_9 Depth=1
	s_or_b32 exec_lo, exec_lo, s31
.LBB172_33:                             ;   in Loop: Header=BB172_9 Depth=1
	s_or_b32 exec_lo, exec_lo, s4
	global_load_ubyte v42, v[23:24], off offset:12
	s_mov_b32 s4, exec_lo
	s_waitcnt vmcnt(0)
	v_cmpx_ne_u16_e32 0, v42
	s_cbranch_execz .LBB172_41
; %bb.34:                               ;   in Loop: Header=BB172_9 Depth=1
	v_bfrev_b32_e32 v40, 1
	s_mov_b32 s31, exec_lo
	v_cmpx_ne_u16_e32 0x80, v42
	s_cbranch_execz .LBB172_40
; %bb.35:                               ;   in Loop: Header=BB172_9 Depth=1
	v_and_b32_sdwa v43, v42, v35 dst_sel:DWORD dst_unused:UNUSED_PAD src0_sel:WORD_0 src1_sel:DWORD
	v_mov_b32_e32 v40, 0x7f800001
	s_mov_b32 s33, exec_lo
	v_cmpx_ne_u32_e32 0x7f, v43
	s_cbranch_execz .LBB172_39
; %bb.36:                               ;   in Loop: Header=BB172_9 Depth=1
	v_and_b32_sdwa v17, v42, v36 dst_sel:DWORD dst_unused:UNUSED_PAD src0_sel:WORD_0 src1_sel:DWORD
	v_lshrrev_b32_e32 v40, 3, v43
	s_mov_b32 s34, exec_lo
	v_cmpx_gt_u32_e32 8, v43
; %bb.37:                               ;   in Loop: Header=BB172_9 Depth=1
	v_ffbh_u32_e32 v40, v17
	v_min_u32_e32 v40, 32, v40
	v_subrev_nc_u32_e32 v43, 28, v40
	v_sub_nc_u32_e32 v40, 29, v40
	v_lshlrev_b64 v[43:44], v43, v[17:18]
	v_and_b32_e32 v17, 7, v43
; %bb.38:                               ;   in Loop: Header=BB172_9 Depth=1
	s_or_b32 exec_lo, exec_lo, s34
	v_lshlrev_b32_e32 v42, 24, v42
	v_lshlrev_b32_e32 v17, 20, v17
	v_lshl_add_u32 v40, v40, 23, 0x3c000000
	v_and_b32_e32 v42, 0x80000000, v42
	v_or3_b32 v40, v17, v42, v40
.LBB172_39:                             ;   in Loop: Header=BB172_9 Depth=1
	s_or_b32 exec_lo, exec_lo, s33
.LBB172_40:                             ;   in Loop: Header=BB172_9 Depth=1
	s_or_b32 exec_lo, exec_lo, s31
.LBB172_41:                             ;   in Loop: Header=BB172_9 Depth=1
	s_or_b32 exec_lo, exec_lo, s4
	global_load_ubyte v44, v[23:24], off offset:128
	v_mov_b32_e32 v42, 0
	v_mov_b32_e32 v43, 0
	s_mov_b32 s4, exec_lo
	s_waitcnt vmcnt(0)
	v_cmpx_ne_u16_e32 0, v44
	s_cbranch_execz .LBB172_49
; %bb.42:                               ;   in Loop: Header=BB172_9 Depth=1
	v_bfrev_b32_e32 v43, 1
	s_mov_b32 s31, exec_lo
	v_cmpx_ne_u16_e32 0x80, v44
	s_cbranch_execz .LBB172_48
; %bb.43:                               ;   in Loop: Header=BB172_9 Depth=1
	v_and_b32_sdwa v45, v44, v35 dst_sel:DWORD dst_unused:UNUSED_PAD src0_sel:WORD_0 src1_sel:DWORD
	v_mov_b32_e32 v43, 0x7f800001
	s_mov_b32 s33, exec_lo
	v_cmpx_ne_u32_e32 0x7f, v45
	s_cbranch_execz .LBB172_47
; %bb.44:                               ;   in Loop: Header=BB172_9 Depth=1
	v_and_b32_sdwa v17, v44, v36 dst_sel:DWORD dst_unused:UNUSED_PAD src0_sel:WORD_0 src1_sel:DWORD
	v_lshrrev_b32_e32 v43, 3, v45
	s_mov_b32 s34, exec_lo
	v_cmpx_gt_u32_e32 8, v45
; %bb.45:                               ;   in Loop: Header=BB172_9 Depth=1
	v_ffbh_u32_e32 v43, v17
	v_min_u32_e32 v43, 32, v43
	v_subrev_nc_u32_e32 v45, 28, v43
	v_sub_nc_u32_e32 v43, 29, v43
	v_lshlrev_b64 v[45:46], v45, v[17:18]
	v_and_b32_e32 v17, 7, v45
; %bb.46:                               ;   in Loop: Header=BB172_9 Depth=1
	s_or_b32 exec_lo, exec_lo, s34
	v_lshlrev_b32_e32 v44, 24, v44
	v_lshlrev_b32_e32 v17, 20, v17
	v_lshl_add_u32 v43, v43, 23, 0x3c000000
	v_and_b32_e32 v44, 0x80000000, v44
	v_or3_b32 v43, v17, v44, v43
.LBB172_47:                             ;   in Loop: Header=BB172_9 Depth=1
	s_or_b32 exec_lo, exec_lo, s33
.LBB172_48:                             ;   in Loop: Header=BB172_9 Depth=1
	s_or_b32 exec_lo, exec_lo, s31
.LBB172_49:                             ;   in Loop: Header=BB172_9 Depth=1
	s_or_b32 exec_lo, exec_lo, s4
	global_load_ubyte v44, v[23:24], off offset:132
	s_mov_b32 s4, exec_lo
	s_waitcnt vmcnt(0)
	v_cmpx_ne_u16_e32 0, v44
	s_cbranch_execz .LBB172_57
; %bb.50:                               ;   in Loop: Header=BB172_9 Depth=1
	v_bfrev_b32_e32 v42, 1
	s_mov_b32 s31, exec_lo
	v_cmpx_ne_u16_e32 0x80, v44
	s_cbranch_execz .LBB172_56
; %bb.51:                               ;   in Loop: Header=BB172_9 Depth=1
	v_and_b32_sdwa v45, v44, v35 dst_sel:DWORD dst_unused:UNUSED_PAD src0_sel:WORD_0 src1_sel:DWORD
	v_mov_b32_e32 v42, 0x7f800001
	s_mov_b32 s33, exec_lo
	v_cmpx_ne_u32_e32 0x7f, v45
	s_cbranch_execz .LBB172_55
; %bb.52:                               ;   in Loop: Header=BB172_9 Depth=1
	v_and_b32_sdwa v17, v44, v36 dst_sel:DWORD dst_unused:UNUSED_PAD src0_sel:WORD_0 src1_sel:DWORD
	v_lshrrev_b32_e32 v42, 3, v45
	s_mov_b32 s34, exec_lo
	v_cmpx_gt_u32_e32 8, v45
; %bb.53:                               ;   in Loop: Header=BB172_9 Depth=1
	v_ffbh_u32_e32 v42, v17
	v_min_u32_e32 v42, 32, v42
	v_subrev_nc_u32_e32 v45, 28, v42
	v_sub_nc_u32_e32 v42, 29, v42
	v_lshlrev_b64 v[45:46], v45, v[17:18]
	v_and_b32_e32 v17, 7, v45
; %bb.54:                               ;   in Loop: Header=BB172_9 Depth=1
	s_or_b32 exec_lo, exec_lo, s34
	v_lshlrev_b32_e32 v44, 24, v44
	v_lshlrev_b32_e32 v17, 20, v17
	v_lshl_add_u32 v42, v42, 23, 0x3c000000
	v_and_b32_e32 v44, 0x80000000, v44
	v_or3_b32 v42, v17, v44, v42
.LBB172_55:                             ;   in Loop: Header=BB172_9 Depth=1
	s_or_b32 exec_lo, exec_lo, s33
.LBB172_56:                             ;   in Loop: Header=BB172_9 Depth=1
	s_or_b32 exec_lo, exec_lo, s31
.LBB172_57:                             ;   in Loop: Header=BB172_9 Depth=1
	s_or_b32 exec_lo, exec_lo, s4
	global_load_ubyte v46, v[23:24], off offset:136
	v_mov_b32_e32 v44, 0
	v_mov_b32_e32 v45, 0
	s_mov_b32 s4, exec_lo
	s_waitcnt vmcnt(0)
	v_cmpx_ne_u16_e32 0, v46
	s_cbranch_execz .LBB172_65
; %bb.58:                               ;   in Loop: Header=BB172_9 Depth=1
	v_bfrev_b32_e32 v45, 1
	s_mov_b32 s31, exec_lo
	v_cmpx_ne_u16_e32 0x80, v46
	s_cbranch_execz .LBB172_64
; %bb.59:                               ;   in Loop: Header=BB172_9 Depth=1
	v_and_b32_sdwa v47, v46, v35 dst_sel:DWORD dst_unused:UNUSED_PAD src0_sel:WORD_0 src1_sel:DWORD
	v_mov_b32_e32 v45, 0x7f800001
	s_mov_b32 s33, exec_lo
	v_cmpx_ne_u32_e32 0x7f, v47
	s_cbranch_execz .LBB172_63
; %bb.60:                               ;   in Loop: Header=BB172_9 Depth=1
	v_and_b32_sdwa v17, v46, v36 dst_sel:DWORD dst_unused:UNUSED_PAD src0_sel:WORD_0 src1_sel:DWORD
	v_lshrrev_b32_e32 v45, 3, v47
	s_mov_b32 s34, exec_lo
	v_cmpx_gt_u32_e32 8, v47
; %bb.61:                               ;   in Loop: Header=BB172_9 Depth=1
	v_ffbh_u32_e32 v45, v17
	v_min_u32_e32 v45, 32, v45
	v_subrev_nc_u32_e32 v47, 28, v45
	v_sub_nc_u32_e32 v45, 29, v45
	v_lshlrev_b64 v[47:48], v47, v[17:18]
	v_and_b32_e32 v17, 7, v47
; %bb.62:                               ;   in Loop: Header=BB172_9 Depth=1
	s_or_b32 exec_lo, exec_lo, s34
	v_lshlrev_b32_e32 v46, 24, v46
	v_lshlrev_b32_e32 v17, 20, v17
	v_lshl_add_u32 v45, v45, 23, 0x3c000000
	v_and_b32_e32 v46, 0x80000000, v46
	v_or3_b32 v45, v17, v46, v45
.LBB172_63:                             ;   in Loop: Header=BB172_9 Depth=1
	s_or_b32 exec_lo, exec_lo, s33
.LBB172_64:                             ;   in Loop: Header=BB172_9 Depth=1
	s_or_b32 exec_lo, exec_lo, s31
.LBB172_65:                             ;   in Loop: Header=BB172_9 Depth=1
	s_or_b32 exec_lo, exec_lo, s4
	global_load_ubyte v46, v[23:24], off offset:140
	s_mov_b32 s4, exec_lo
	s_waitcnt vmcnt(0)
	v_cmpx_ne_u16_e32 0, v46
	s_cbranch_execz .LBB172_73
; %bb.66:                               ;   in Loop: Header=BB172_9 Depth=1
	v_bfrev_b32_e32 v44, 1
	s_mov_b32 s31, exec_lo
	v_cmpx_ne_u16_e32 0x80, v46
	s_cbranch_execz .LBB172_72
; %bb.67:                               ;   in Loop: Header=BB172_9 Depth=1
	v_and_b32_sdwa v47, v46, v35 dst_sel:DWORD dst_unused:UNUSED_PAD src0_sel:WORD_0 src1_sel:DWORD
	v_mov_b32_e32 v44, 0x7f800001
	s_mov_b32 s33, exec_lo
	v_cmpx_ne_u32_e32 0x7f, v47
	s_cbranch_execz .LBB172_71
; %bb.68:                               ;   in Loop: Header=BB172_9 Depth=1
	v_and_b32_sdwa v17, v46, v36 dst_sel:DWORD dst_unused:UNUSED_PAD src0_sel:WORD_0 src1_sel:DWORD
	v_lshrrev_b32_e32 v44, 3, v47
	s_mov_b32 s34, exec_lo
	v_cmpx_gt_u32_e32 8, v47
; %bb.69:                               ;   in Loop: Header=BB172_9 Depth=1
	v_ffbh_u32_e32 v44, v17
	v_min_u32_e32 v44, 32, v44
	v_subrev_nc_u32_e32 v47, 28, v44
	v_sub_nc_u32_e32 v44, 29, v44
	v_lshlrev_b64 v[47:48], v47, v[17:18]
	v_and_b32_e32 v17, 7, v47
; %bb.70:                               ;   in Loop: Header=BB172_9 Depth=1
	s_or_b32 exec_lo, exec_lo, s34
	v_lshlrev_b32_e32 v46, 24, v46
	v_lshlrev_b32_e32 v17, 20, v17
	v_lshl_add_u32 v44, v44, 23, 0x3c000000
	v_and_b32_e32 v46, 0x80000000, v46
	v_or3_b32 v44, v17, v46, v44
.LBB172_71:                             ;   in Loop: Header=BB172_9 Depth=1
	s_or_b32 exec_lo, exec_lo, s33
.LBB172_72:                             ;   in Loop: Header=BB172_9 Depth=1
	s_or_b32 exec_lo, exec_lo, s31
.LBB172_73:                             ;   in Loop: Header=BB172_9 Depth=1
	s_or_b32 exec_lo, exec_lo, s4
	global_load_ubyte v48, v[23:24], off offset:256
	v_mov_b32_e32 v46, 0
	v_mov_b32_e32 v47, 0
	s_mov_b32 s4, exec_lo
	s_waitcnt vmcnt(0)
	v_cmpx_ne_u16_e32 0, v48
	s_cbranch_execz .LBB172_81
; %bb.74:                               ;   in Loop: Header=BB172_9 Depth=1
	v_bfrev_b32_e32 v47, 1
	s_mov_b32 s31, exec_lo
	v_cmpx_ne_u16_e32 0x80, v48
	s_cbranch_execz .LBB172_80
; %bb.75:                               ;   in Loop: Header=BB172_9 Depth=1
	v_and_b32_sdwa v49, v48, v35 dst_sel:DWORD dst_unused:UNUSED_PAD src0_sel:WORD_0 src1_sel:DWORD
	v_mov_b32_e32 v47, 0x7f800001
	s_mov_b32 s33, exec_lo
	v_cmpx_ne_u32_e32 0x7f, v49
	s_cbranch_execz .LBB172_79
; %bb.76:                               ;   in Loop: Header=BB172_9 Depth=1
	v_and_b32_sdwa v17, v48, v36 dst_sel:DWORD dst_unused:UNUSED_PAD src0_sel:WORD_0 src1_sel:DWORD
	v_lshrrev_b32_e32 v47, 3, v49
	s_mov_b32 s34, exec_lo
	v_cmpx_gt_u32_e32 8, v49
; %bb.77:                               ;   in Loop: Header=BB172_9 Depth=1
	v_ffbh_u32_e32 v47, v17
	v_min_u32_e32 v47, 32, v47
	v_subrev_nc_u32_e32 v49, 28, v47
	v_sub_nc_u32_e32 v47, 29, v47
	v_lshlrev_b64 v[49:50], v49, v[17:18]
	v_and_b32_e32 v17, 7, v49
; %bb.78:                               ;   in Loop: Header=BB172_9 Depth=1
	s_or_b32 exec_lo, exec_lo, s34
	v_lshlrev_b32_e32 v48, 24, v48
	v_lshlrev_b32_e32 v17, 20, v17
	v_lshl_add_u32 v47, v47, 23, 0x3c000000
	v_and_b32_e32 v48, 0x80000000, v48
	v_or3_b32 v47, v17, v48, v47
.LBB172_79:                             ;   in Loop: Header=BB172_9 Depth=1
	s_or_b32 exec_lo, exec_lo, s33
.LBB172_80:                             ;   in Loop: Header=BB172_9 Depth=1
	s_or_b32 exec_lo, exec_lo, s31
.LBB172_81:                             ;   in Loop: Header=BB172_9 Depth=1
	s_or_b32 exec_lo, exec_lo, s4
	global_load_ubyte v48, v[23:24], off offset:260
	s_mov_b32 s4, exec_lo
	s_waitcnt vmcnt(0)
	v_cmpx_ne_u16_e32 0, v48
	s_cbranch_execz .LBB172_89
; %bb.82:                               ;   in Loop: Header=BB172_9 Depth=1
	v_bfrev_b32_e32 v46, 1
	s_mov_b32 s31, exec_lo
	v_cmpx_ne_u16_e32 0x80, v48
	s_cbranch_execz .LBB172_88
; %bb.83:                               ;   in Loop: Header=BB172_9 Depth=1
	v_and_b32_sdwa v49, v48, v35 dst_sel:DWORD dst_unused:UNUSED_PAD src0_sel:WORD_0 src1_sel:DWORD
	v_mov_b32_e32 v46, 0x7f800001
	s_mov_b32 s33, exec_lo
	v_cmpx_ne_u32_e32 0x7f, v49
	s_cbranch_execz .LBB172_87
; %bb.84:                               ;   in Loop: Header=BB172_9 Depth=1
	v_and_b32_sdwa v17, v48, v36 dst_sel:DWORD dst_unused:UNUSED_PAD src0_sel:WORD_0 src1_sel:DWORD
	v_lshrrev_b32_e32 v46, 3, v49
	s_mov_b32 s34, exec_lo
	v_cmpx_gt_u32_e32 8, v49
; %bb.85:                               ;   in Loop: Header=BB172_9 Depth=1
	v_ffbh_u32_e32 v46, v17
	v_min_u32_e32 v46, 32, v46
	v_subrev_nc_u32_e32 v49, 28, v46
	v_sub_nc_u32_e32 v46, 29, v46
	v_lshlrev_b64 v[49:50], v49, v[17:18]
	v_and_b32_e32 v17, 7, v49
; %bb.86:                               ;   in Loop: Header=BB172_9 Depth=1
	s_or_b32 exec_lo, exec_lo, s34
	v_lshlrev_b32_e32 v48, 24, v48
	v_lshlrev_b32_e32 v17, 20, v17
	v_lshl_add_u32 v46, v46, 23, 0x3c000000
	v_and_b32_e32 v48, 0x80000000, v48
	v_or3_b32 v46, v17, v48, v46
.LBB172_87:                             ;   in Loop: Header=BB172_9 Depth=1
	s_or_b32 exec_lo, exec_lo, s33
.LBB172_88:                             ;   in Loop: Header=BB172_9 Depth=1
	s_or_b32 exec_lo, exec_lo, s31
.LBB172_89:                             ;   in Loop: Header=BB172_9 Depth=1
	s_or_b32 exec_lo, exec_lo, s4
	global_load_ubyte v50, v[23:24], off offset:264
	v_mov_b32_e32 v48, 0
	v_mov_b32_e32 v49, 0
	s_mov_b32 s4, exec_lo
	s_waitcnt vmcnt(0)
	v_cmpx_ne_u16_e32 0, v50
	s_cbranch_execz .LBB172_97
; %bb.90:                               ;   in Loop: Header=BB172_9 Depth=1
	v_bfrev_b32_e32 v49, 1
	s_mov_b32 s31, exec_lo
	v_cmpx_ne_u16_e32 0x80, v50
	s_cbranch_execz .LBB172_96
; %bb.91:                               ;   in Loop: Header=BB172_9 Depth=1
	v_and_b32_sdwa v51, v50, v35 dst_sel:DWORD dst_unused:UNUSED_PAD src0_sel:WORD_0 src1_sel:DWORD
	v_mov_b32_e32 v49, 0x7f800001
	s_mov_b32 s33, exec_lo
	v_cmpx_ne_u32_e32 0x7f, v51
	s_cbranch_execz .LBB172_95
; %bb.92:                               ;   in Loop: Header=BB172_9 Depth=1
	v_and_b32_sdwa v17, v50, v36 dst_sel:DWORD dst_unused:UNUSED_PAD src0_sel:WORD_0 src1_sel:DWORD
	v_lshrrev_b32_e32 v49, 3, v51
	s_mov_b32 s34, exec_lo
	v_cmpx_gt_u32_e32 8, v51
; %bb.93:                               ;   in Loop: Header=BB172_9 Depth=1
	v_ffbh_u32_e32 v49, v17
	v_min_u32_e32 v49, 32, v49
	v_subrev_nc_u32_e32 v51, 28, v49
	v_sub_nc_u32_e32 v49, 29, v49
	v_lshlrev_b64 v[51:52], v51, v[17:18]
	v_and_b32_e32 v17, 7, v51
; %bb.94:                               ;   in Loop: Header=BB172_9 Depth=1
	s_or_b32 exec_lo, exec_lo, s34
	v_lshlrev_b32_e32 v50, 24, v50
	v_lshlrev_b32_e32 v17, 20, v17
	v_lshl_add_u32 v49, v49, 23, 0x3c000000
	v_and_b32_e32 v50, 0x80000000, v50
	v_or3_b32 v49, v17, v50, v49
.LBB172_95:                             ;   in Loop: Header=BB172_9 Depth=1
	s_or_b32 exec_lo, exec_lo, s33
.LBB172_96:                             ;   in Loop: Header=BB172_9 Depth=1
	s_or_b32 exec_lo, exec_lo, s31
.LBB172_97:                             ;   in Loop: Header=BB172_9 Depth=1
	s_or_b32 exec_lo, exec_lo, s4
	global_load_ubyte v50, v[23:24], off offset:268
	s_mov_b32 s4, exec_lo
	s_waitcnt vmcnt(0)
	v_cmpx_ne_u16_e32 0, v50
	s_cbranch_execz .LBB172_105
; %bb.98:                               ;   in Loop: Header=BB172_9 Depth=1
	v_bfrev_b32_e32 v48, 1
	s_mov_b32 s31, exec_lo
	v_cmpx_ne_u16_e32 0x80, v50
	s_cbranch_execz .LBB172_104
; %bb.99:                               ;   in Loop: Header=BB172_9 Depth=1
	v_and_b32_sdwa v51, v50, v35 dst_sel:DWORD dst_unused:UNUSED_PAD src0_sel:WORD_0 src1_sel:DWORD
	v_mov_b32_e32 v48, 0x7f800001
	s_mov_b32 s33, exec_lo
	v_cmpx_ne_u32_e32 0x7f, v51
	s_cbranch_execz .LBB172_103
; %bb.100:                              ;   in Loop: Header=BB172_9 Depth=1
	v_and_b32_sdwa v17, v50, v36 dst_sel:DWORD dst_unused:UNUSED_PAD src0_sel:WORD_0 src1_sel:DWORD
	v_lshrrev_b32_e32 v48, 3, v51
	s_mov_b32 s34, exec_lo
	v_cmpx_gt_u32_e32 8, v51
; %bb.101:                              ;   in Loop: Header=BB172_9 Depth=1
	v_ffbh_u32_e32 v48, v17
	v_min_u32_e32 v48, 32, v48
	v_subrev_nc_u32_e32 v51, 28, v48
	v_sub_nc_u32_e32 v48, 29, v48
	v_lshlrev_b64 v[51:52], v51, v[17:18]
	v_and_b32_e32 v17, 7, v51
; %bb.102:                              ;   in Loop: Header=BB172_9 Depth=1
	s_or_b32 exec_lo, exec_lo, s34
	v_lshlrev_b32_e32 v50, 24, v50
	v_lshlrev_b32_e32 v17, 20, v17
	v_lshl_add_u32 v48, v48, 23, 0x3c000000
	v_and_b32_e32 v50, 0x80000000, v50
	v_or3_b32 v48, v17, v50, v48
.LBB172_103:                            ;   in Loop: Header=BB172_9 Depth=1
	s_or_b32 exec_lo, exec_lo, s33
.LBB172_104:                            ;   in Loop: Header=BB172_9 Depth=1
	s_or_b32 exec_lo, exec_lo, s31
.LBB172_105:                            ;   in Loop: Header=BB172_9 Depth=1
	s_or_b32 exec_lo, exec_lo, s4
	global_load_ubyte v52, v[23:24], off offset:384
	v_mov_b32_e32 v50, 0
	v_mov_b32_e32 v51, 0
	s_mov_b32 s4, exec_lo
	s_waitcnt vmcnt(0)
	v_cmpx_ne_u16_e32 0, v52
	s_cbranch_execz .LBB172_113
; %bb.106:                              ;   in Loop: Header=BB172_9 Depth=1
	v_bfrev_b32_e32 v51, 1
	s_mov_b32 s31, exec_lo
	v_cmpx_ne_u16_e32 0x80, v52
	s_cbranch_execz .LBB172_112
; %bb.107:                              ;   in Loop: Header=BB172_9 Depth=1
	v_and_b32_sdwa v53, v52, v35 dst_sel:DWORD dst_unused:UNUSED_PAD src0_sel:WORD_0 src1_sel:DWORD
	v_mov_b32_e32 v51, 0x7f800001
	s_mov_b32 s33, exec_lo
	v_cmpx_ne_u32_e32 0x7f, v53
	s_cbranch_execz .LBB172_111
; %bb.108:                              ;   in Loop: Header=BB172_9 Depth=1
	v_and_b32_sdwa v17, v52, v36 dst_sel:DWORD dst_unused:UNUSED_PAD src0_sel:WORD_0 src1_sel:DWORD
	v_lshrrev_b32_e32 v51, 3, v53
	s_mov_b32 s34, exec_lo
	v_cmpx_gt_u32_e32 8, v53
; %bb.109:                              ;   in Loop: Header=BB172_9 Depth=1
	v_ffbh_u32_e32 v51, v17
	v_min_u32_e32 v51, 32, v51
	v_subrev_nc_u32_e32 v53, 28, v51
	v_sub_nc_u32_e32 v51, 29, v51
	v_lshlrev_b64 v[53:54], v53, v[17:18]
	v_and_b32_e32 v17, 7, v53
; %bb.110:                              ;   in Loop: Header=BB172_9 Depth=1
	s_or_b32 exec_lo, exec_lo, s34
	v_lshlrev_b32_e32 v52, 24, v52
	v_lshlrev_b32_e32 v17, 20, v17
	v_lshl_add_u32 v51, v51, 23, 0x3c000000
	v_and_b32_e32 v52, 0x80000000, v52
	v_or3_b32 v51, v17, v52, v51
.LBB172_111:                            ;   in Loop: Header=BB172_9 Depth=1
	s_or_b32 exec_lo, exec_lo, s33
.LBB172_112:                            ;   in Loop: Header=BB172_9 Depth=1
	s_or_b32 exec_lo, exec_lo, s31
.LBB172_113:                            ;   in Loop: Header=BB172_9 Depth=1
	s_or_b32 exec_lo, exec_lo, s4
	global_load_ubyte v52, v[23:24], off offset:388
	s_mov_b32 s4, exec_lo
	s_waitcnt vmcnt(0)
	v_cmpx_ne_u16_e32 0, v52
	s_cbranch_execz .LBB172_121
; %bb.114:                              ;   in Loop: Header=BB172_9 Depth=1
	v_bfrev_b32_e32 v50, 1
	s_mov_b32 s31, exec_lo
	v_cmpx_ne_u16_e32 0x80, v52
	s_cbranch_execz .LBB172_120
; %bb.115:                              ;   in Loop: Header=BB172_9 Depth=1
	v_and_b32_sdwa v53, v52, v35 dst_sel:DWORD dst_unused:UNUSED_PAD src0_sel:WORD_0 src1_sel:DWORD
	v_mov_b32_e32 v50, 0x7f800001
	s_mov_b32 s33, exec_lo
	v_cmpx_ne_u32_e32 0x7f, v53
	s_cbranch_execz .LBB172_119
; %bb.116:                              ;   in Loop: Header=BB172_9 Depth=1
	v_and_b32_sdwa v17, v52, v36 dst_sel:DWORD dst_unused:UNUSED_PAD src0_sel:WORD_0 src1_sel:DWORD
	v_lshrrev_b32_e32 v50, 3, v53
	s_mov_b32 s34, exec_lo
	v_cmpx_gt_u32_e32 8, v53
; %bb.117:                              ;   in Loop: Header=BB172_9 Depth=1
	v_ffbh_u32_e32 v50, v17
	v_min_u32_e32 v50, 32, v50
	v_subrev_nc_u32_e32 v53, 28, v50
	v_sub_nc_u32_e32 v50, 29, v50
	v_lshlrev_b64 v[53:54], v53, v[17:18]
	v_and_b32_e32 v17, 7, v53
; %bb.118:                              ;   in Loop: Header=BB172_9 Depth=1
	s_or_b32 exec_lo, exec_lo, s34
	v_lshlrev_b32_e32 v52, 24, v52
	v_lshlrev_b32_e32 v17, 20, v17
	v_lshl_add_u32 v50, v50, 23, 0x3c000000
	v_and_b32_e32 v52, 0x80000000, v52
	v_or3_b32 v50, v17, v52, v50
.LBB172_119:                            ;   in Loop: Header=BB172_9 Depth=1
	s_or_b32 exec_lo, exec_lo, s33
.LBB172_120:                            ;   in Loop: Header=BB172_9 Depth=1
	s_or_b32 exec_lo, exec_lo, s31
.LBB172_121:                            ;   in Loop: Header=BB172_9 Depth=1
	s_or_b32 exec_lo, exec_lo, s4
	global_load_ubyte v54, v[23:24], off offset:392
	v_mov_b32_e32 v52, 0
	v_mov_b32_e32 v53, 0
	s_mov_b32 s4, exec_lo
	s_waitcnt vmcnt(0)
	v_cmpx_ne_u16_e32 0, v54
	s_cbranch_execz .LBB172_129
; %bb.122:                              ;   in Loop: Header=BB172_9 Depth=1
	v_bfrev_b32_e32 v53, 1
	s_mov_b32 s31, exec_lo
	v_cmpx_ne_u16_e32 0x80, v54
	s_cbranch_execz .LBB172_128
; %bb.123:                              ;   in Loop: Header=BB172_9 Depth=1
	v_and_b32_sdwa v55, v54, v35 dst_sel:DWORD dst_unused:UNUSED_PAD src0_sel:WORD_0 src1_sel:DWORD
	v_mov_b32_e32 v53, 0x7f800001
	s_mov_b32 s33, exec_lo
	v_cmpx_ne_u32_e32 0x7f, v55
	s_cbranch_execz .LBB172_127
; %bb.124:                              ;   in Loop: Header=BB172_9 Depth=1
	v_and_b32_sdwa v17, v54, v36 dst_sel:DWORD dst_unused:UNUSED_PAD src0_sel:WORD_0 src1_sel:DWORD
	v_lshrrev_b32_e32 v53, 3, v55
	s_mov_b32 s34, exec_lo
	v_cmpx_gt_u32_e32 8, v55
; %bb.125:                              ;   in Loop: Header=BB172_9 Depth=1
	v_ffbh_u32_e32 v53, v17
	v_min_u32_e32 v53, 32, v53
	v_subrev_nc_u32_e32 v55, 28, v53
	v_sub_nc_u32_e32 v53, 29, v53
	v_lshlrev_b64 v[55:56], v55, v[17:18]
	v_and_b32_e32 v17, 7, v55
; %bb.126:                              ;   in Loop: Header=BB172_9 Depth=1
	s_or_b32 exec_lo, exec_lo, s34
	v_lshlrev_b32_e32 v54, 24, v54
	v_lshlrev_b32_e32 v17, 20, v17
	v_lshl_add_u32 v53, v53, 23, 0x3c000000
	v_and_b32_e32 v54, 0x80000000, v54
	v_or3_b32 v53, v17, v54, v53
.LBB172_127:                            ;   in Loop: Header=BB172_9 Depth=1
	s_or_b32 exec_lo, exec_lo, s33
.LBB172_128:                            ;   in Loop: Header=BB172_9 Depth=1
	s_or_b32 exec_lo, exec_lo, s31
.LBB172_129:                            ;   in Loop: Header=BB172_9 Depth=1
	s_or_b32 exec_lo, exec_lo, s4
	global_load_ubyte v23, v[23:24], off offset:396
	s_mov_b32 s4, exec_lo
	s_waitcnt vmcnt(0)
	v_cmpx_ne_u16_e32 0, v23
	s_cbranch_execz .LBB172_137
; %bb.130:                              ;   in Loop: Header=BB172_9 Depth=1
	v_bfrev_b32_e32 v52, 1
	s_mov_b32 s31, exec_lo
	v_cmpx_ne_u16_e32 0x80, v23
	s_cbranch_execz .LBB172_136
; %bb.131:                              ;   in Loop: Header=BB172_9 Depth=1
	v_and_b32_sdwa v54, v23, v35 dst_sel:DWORD dst_unused:UNUSED_PAD src0_sel:WORD_0 src1_sel:DWORD
	v_mov_b32_e32 v52, 0x7f800001
	s_mov_b32 s33, exec_lo
	v_cmpx_ne_u32_e32 0x7f, v54
	s_cbranch_execz .LBB172_135
; %bb.132:                              ;   in Loop: Header=BB172_9 Depth=1
	v_and_b32_sdwa v17, v23, v36 dst_sel:DWORD dst_unused:UNUSED_PAD src0_sel:WORD_0 src1_sel:DWORD
	v_lshrrev_b32_e32 v24, 3, v54
	s_mov_b32 s34, exec_lo
	v_cmpx_gt_u32_e32 8, v54
; %bb.133:                              ;   in Loop: Header=BB172_9 Depth=1
	v_ffbh_u32_e32 v24, v17
	v_min_u32_e32 v24, 32, v24
	v_subrev_nc_u32_e32 v52, 28, v24
	v_sub_nc_u32_e32 v24, 29, v24
	v_lshlrev_b64 v[54:55], v52, v[17:18]
	v_and_b32_e32 v17, 7, v54
; %bb.134:                              ;   in Loop: Header=BB172_9 Depth=1
	s_or_b32 exec_lo, exec_lo, s34
	v_lshlrev_b32_e32 v23, 24, v23
	v_lshlrev_b32_e32 v17, 20, v17
	v_lshl_add_u32 v24, v24, 23, 0x3c000000
	v_and_b32_e32 v23, 0x80000000, v23
	v_or3_b32 v52, v17, v23, v24
.LBB172_135:                            ;   in Loop: Header=BB172_9 Depth=1
	s_or_b32 exec_lo, exec_lo, s33
.LBB172_136:                            ;   in Loop: Header=BB172_9 Depth=1
	s_or_b32 exec_lo, exec_lo, s31
.LBB172_137:                            ;   in Loop: Header=BB172_9 Depth=1
	s_or_b32 exec_lo, exec_lo, s4
	s_waitcnt lgkmcnt(0)
	v_mul_f32_e32 v17, s5, v38
	v_mul_f32_e32 v23, s5, v39
	;; [unrolled: 1-line block ×4, first 2 shown]
	v_fmac_f32_e32 v17, v1, v23
	v_mul_f32_e32 v23, s5, v40
	v_fmac_f32_e32 v17, v3, v24
	v_mul_f32_e32 v24, s5, v43
	;; [unrolled: 2-line block ×13, first 2 shown]
	v_fmac_f32_e32 v17, v15, v24
	v_fmac_f32_e32 v17, v16, v23
	ds_bpermute_b32 v23, v31, v17
	s_waitcnt lgkmcnt(0)
	v_add_f32_e32 v17, v17, v23
	ds_bpermute_b32 v23, v32, v17
	s_and_saveexec_b32 s4, vcc_lo
	s_cbranch_execz .LBB172_8
; %bb.138:                              ;   in Loop: Header=BB172_9 Depth=1
	v_add_nc_u32_e32 v24, s16, v33
	s_waitcnt lgkmcnt(0)
	v_add_f32_e32 v17, v17, v23
	v_cmp_gt_i32_e64 s3, s11, v33
	v_cvt_f32_i32_e32 v24, v24
	v_mul_f32_e32 v24, s28, v24
	v_cndmask_b32_e64 v23, 0, v24, s2
	v_max_f32_e32 v24, v26, v26
	v_fmac_f32_e32 v23, s29, v17
	v_max_f32_e32 v17, v24, v23
	v_cndmask_b32_e64 v23, 0, v23, s3
	v_cndmask_b32_e64 v26, v26, v17, s3
	ds_write_b32 v34, v23
	s_branch .LBB172_8
.LBB172_139:
	s_or_b32 exec_lo, exec_lo, s17
.LBB172_140:
	s_or_b32 exec_lo, exec_lo, s15
	v_xor_b32_e32 v1, 16, v30
	v_xor_b32_e32 v3, 8, v30
	v_max_f32_e32 v4, v26, v26
	v_xor_b32_e32 v5, 4, v30
	v_cmp_lt_i32_e32 vcc_lo, v1, v27
	v_cndmask_b32_e32 v1, v30, v1, vcc_lo
	v_cmp_lt_i32_e32 vcc_lo, v3, v27
	v_lshlrev_b32_e32 v2, 2, v1
	v_cndmask_b32_e32 v3, v30, v3, vcc_lo
	v_cmp_lt_i32_e32 vcc_lo, v5, v27
	ds_bpermute_b32 v1, v2, v26
	v_lshlrev_b32_e32 v3, 2, v3
	v_cndmask_b32_e32 v5, v30, v5, vcc_lo
	v_and_b32_e32 v26, 31, v0
	v_lshlrev_b32_e32 v6, 2, v5
	v_cmp_eq_u32_e32 vcc_lo, 0, v26
	s_waitcnt lgkmcnt(0)
	v_max_f32_e32 v1, v1, v1
	v_max_f32_e32 v1, v4, v1
	ds_bpermute_b32 v4, v3, v1
	s_waitcnt lgkmcnt(0)
	v_max_f32_e32 v4, v4, v4
	v_max_f32_e32 v1, v1, v4
	v_lshlrev_b32_e32 v4, 2, v25
	ds_bpermute_b32 v5, v6, v1
	s_and_saveexec_b32 s2, vcc_lo
	s_cbranch_execz .LBB172_142
; %bb.141:
	s_waitcnt lgkmcnt(0)
	v_max_f32_e32 v5, v5, v5
	v_max_f32_e32 v1, v1, v1
	;; [unrolled: 1-line block ×3, first 2 shown]
	ds_write_b32 v4, v1 offset:256
.LBB172_142:
	s_or_b32 exec_lo, exec_lo, s2
	v_cmp_gt_u32_e64 s2, 4, v26
	v_mov_b32_e32 v1, 0xff7fffff
	s_waitcnt lgkmcnt(0)
	v_lshlrev_b32_e32 v5, 2, v26
	s_barrier
	buffer_gl0_inv
	s_and_saveexec_b32 s3, s2
; %bb.143:
	ds_read_b32 v1, v5 offset:256
; %bb.144:
	s_or_b32 exec_lo, exec_lo, s3
	v_xor_b32_e32 v7, 2, v30
	v_xor_b32_e32 v9, 1, v30
	v_cmp_lt_i32_e64 s3, v7, v27
	v_cndmask_b32_e64 v7, v30, v7, s3
	v_cmp_lt_i32_e64 s3, v9, v27
	v_lshlrev_b32_e32 v7, 2, v7
	v_cndmask_b32_e64 v9, v30, v9, s3
	s_lshl_b32 s3, s12, 3
	s_min_i32 s5, s3, s11
	s_waitcnt lgkmcnt(0)
	ds_bpermute_b32 v8, v7, v1
	v_max_f32_e32 v1, v1, v1
	v_lshlrev_b32_e32 v27, 2, v9
	v_cmp_gt_i32_e64 s3, s5, v0
	s_waitcnt lgkmcnt(0)
	v_max_f32_e32 v8, v8, v8
	v_max_f32_e32 v1, v1, v8
	ds_bpermute_b32 v8, v27, v1
	s_waitcnt lgkmcnt(0)
	v_max_f32_e32 v8, v8, v8
	v_max_f32_e32 v1, v1, v8
	v_lshlrev_b32_e32 v8, 2, v18
	ds_bpermute_b32 v9, v8, v1
	v_mov_b32_e32 v8, 0
	v_lshl_add_u32 v1, v0, 2, 0x120
	s_and_saveexec_b32 s15, s3
	s_cbranch_execz .LBB172_148
; %bb.145:
	v_lshl_add_u32 v10, v0, 2, 0x120
	v_mov_b32_e32 v8, 0
	v_mov_b32_e32 v11, v0
	s_mov_b32 s16, 0
	.p2align	6
.LBB172_146:                            ; =>This Inner Loop Header: Depth=1
	ds_read_b32 v12, v10
	v_add_nc_u32_e32 v11, 0x80, v11
	v_cmp_le_i32_e64 s4, s5, v11
	s_or_b32 s16, s4, s16
	s_waitcnt lgkmcnt(0)
	v_sub_f32_e32 v12, v12, v9
	v_mul_f32_e32 v12, 0x3fb8aa3b, v12
	v_exp_f32_e32 v12, v12
	ds_write_b32 v10, v12
	v_add_f32_e32 v8, v8, v12
	v_add_nc_u32_e32 v10, 0x200, v10
	s_andn2_b32 exec_lo, exec_lo, s16
	s_cbranch_execnz .LBB172_146
; %bb.147:
	s_or_b32 exec_lo, exec_lo, s16
.LBB172_148:
	s_or_b32 exec_lo, exec_lo, s15
	ds_bpermute_b32 v2, v2, v8
	s_waitcnt lgkmcnt(0)
	v_add_f32_e32 v2, v8, v2
	ds_bpermute_b32 v3, v3, v2
	s_waitcnt lgkmcnt(0)
	v_add_f32_e32 v2, v2, v3
	;; [unrolled: 3-line block ×5, first 2 shown]
	s_and_saveexec_b32 s4, vcc_lo
; %bb.149:
	ds_write_b32 v4, v2 offset:272
; %bb.150:
	s_or_b32 exec_lo, exec_lo, s4
	s_waitcnt lgkmcnt(0)
	s_barrier
	buffer_gl0_inv
	s_and_saveexec_b32 s4, s2
; %bb.151:
	ds_read_b32 v2, v5 offset:272
; %bb.152:
	s_or_b32 exec_lo, exec_lo, s4
	s_waitcnt lgkmcnt(0)
	ds_bpermute_b32 v3, v7, v2
	v_lshlrev_b32_e32 v4, 2, v30
	s_waitcnt lgkmcnt(0)
	v_add_f32_e32 v2, v2, v3
	ds_bpermute_b32 v3, v27, v2
	s_waitcnt lgkmcnt(0)
	v_add_f32_e32 v2, v2, v3
	v_and_b32_e32 v3, 0xffffff80, v4
	ds_bpermute_b32 v2, v3, v2
	s_and_saveexec_b32 s2, s3
	s_cbranch_execz .LBB172_155
; %bb.153:
	s_waitcnt lgkmcnt(0)
	v_add_f32_e32 v2, 0x358637bd, v2
	s_mov_b32 s3, 0
	v_div_scale_f32 v3, null, v2, v2, 1.0
	v_div_scale_f32 v6, vcc_lo, 1.0, v2, 1.0
	v_rcp_f32_e32 v4, v3
	v_fma_f32 v5, -v3, v4, 1.0
	v_fmac_f32_e32 v4, v5, v4
	v_mul_f32_e32 v5, v6, v4
	v_fma_f32 v7, -v3, v5, v6
	v_fmac_f32_e32 v5, v7, v4
	v_fma_f32 v3, -v3, v5, v6
	v_div_fmas_f32 v3, v3, v4, v5
	v_div_fixup_f32 v2, v3, v2, 1.0
	v_mov_b32_e32 v3, v0
.LBB172_154:                            ; =>This Inner Loop Header: Depth=1
	ds_read_b32 v4, v1
	v_add_nc_u32_e32 v3, 0x80, v3
	v_cmp_le_i32_e32 vcc_lo, s5, v3
	s_or_b32 s3, vcc_lo, s3
	s_waitcnt lgkmcnt(0)
	v_mul_f32_e32 v4, v2, v4
	ds_write_b32 v1, v4
	v_add_nc_u32_e32 v1, 0x200, v1
	s_andn2_b32 exec_lo, exec_lo, s3
	s_cbranch_execnz .LBB172_154
.LBB172_155:
	s_or_b32 exec_lo, exec_lo, s2
	v_mov_b32_e32 v32, 0
	v_and_b32_e32 v30, 1, v0
	v_mov_b32_e32 v34, 0
	v_mov_b32_e32 v33, 0
	;; [unrolled: 1-line block ×3, first 2 shown]
	s_waitcnt lgkmcnt(0)
	s_barrier
	buffer_gl0_inv
	s_and_saveexec_b32 s2, s1
	s_cbranch_execz .LBB172_295
; %bb.156:
	s_load_dword s3, s[18:19], 0x0
	v_and_b32_e32 v1, 4, v28
	v_lshlrev_b32_e32 v4, 3, v25
	v_and_b32_e32 v2, 0x7c, v28
	v_lshlrev_b32_e32 v3, 4, v30
	s_ashr_i32 s1, s14, 31
	s_add_u32 s5, s26, s14
	v_or3_b32 v28, v4, v1, 3
	v_and_b32_e32 v1, 0x7c, v29
	s_addc_u32 s1, s27, s1
	v_add_co_u32 v7, s5, s5, v2
	s_lshl_b64 s[14:15], s[24:25], 2
	s_add_i32 s4, s12, -1
	v_lshl_or_b32 v3, v25, 5, v3
	v_add_co_ci_u32_e64 v8, null, s1, 0, s5
	s_add_u32 s1, s22, s14
	s_addc_u32 s5, s23, s15
	v_add_co_u32 v9, s1, s1, v1
	v_mov_b32_e32 v6, 0
	v_add_nc_u32_e32 v29, 0x120, v3
	v_add_co_ci_u32_e64 v10, null, s5, 0, s1
	v_mov_b32_e32 v35, 0x80
	v_bfrev_b32_e32 v12, 1
	v_mov_b32_e32 v36, 0xffff
	v_mov_b32_e32 v14, 0x7f800001
	;; [unrolled: 1-line block ×10, first 2 shown]
	s_mov_b32 s5, s13
	s_waitcnt lgkmcnt(0)
	s_mov_b32 s14, s3
	s_mov_b32 s13, 0
	s_branch .LBB172_158
.LBB172_157:                            ;   in Loop: Header=BB172_158 Depth=1
	s_or_b32 exec_lo, exec_lo, s1
	s_waitcnt lgkmcnt(0)
	v_mul_f32_e32 v16, v1, v53
	v_mul_f32_e32 v17, v1, v51
	;; [unrolled: 1-line block ×4, first 2 shown]
	v_add_nc_u32_e32 v40, 4, v40
	v_fmac_f32_e32 v16, v2, v52
	v_fmac_f32_e32 v17, v2, v50
	;; [unrolled: 1-line block ×4, first 2 shown]
	v_cmp_le_i32_e32 vcc_lo, s12, v40
	v_fmac_f32_e32 v16, v3, v24
	v_fmac_f32_e32 v17, v3, v49
	;; [unrolled: 1-line block ×4, first 2 shown]
	v_add_co_u32 v9, s1, v9, 16
	v_fmac_f32_e32 v16, v4, v23
	v_fmac_f32_e32 v17, v4, v48
	;; [unrolled: 1-line block ×4, first 2 shown]
	v_add_nc_u32_e32 v28, 32, v28
	v_add_f32_e32 v33, v33, v16
	v_add_f32_e32 v34, v34, v17
	;; [unrolled: 1-line block ×4, first 2 shown]
	v_add_nc_u32_e32 v29, 0x80, v29
	v_add_co_ci_u32_e64 v10, null, 0, v10, s1
	s_or_b32 s13, vcc_lo, s13
	s_andn2_b32 exec_lo, exec_lo, s13
	s_cbranch_execz .LBB172_294
.LBB172_158:                            ; =>This Inner Loop Header: Depth=1
	global_load_dword v1, v[9:10], off
	v_mov_b32_e32 v19, 0
	v_mov_b32_e32 v17, 0
	;; [unrolled: 1-line block ×4, first 2 shown]
	s_waitcnt vmcnt(0)
	v_mad_i64_i32 v[15:16], null, v1, s5, v[7:8]
	ds_read_b128 v[1:4], v29
	global_load_dword v41, v[15:16], off
	s_waitcnt vmcnt(0)
	v_cmp_ne_u16_sdwa s15, v41, v6 src0_sel:BYTE_0 src1_sel:DWORD
	s_and_saveexec_b32 s1, s15
	s_cbranch_execz .LBB172_166
; %bb.159:                              ;   in Loop: Header=BB172_158 Depth=1
	v_bfrev_b32_e32 v17, 1
	v_mov_b32_e32 v18, 0
	v_cmp_ne_u16_sdwa s16, v41, v35 src0_sel:BYTE_0 src1_sel:DWORD
	s_and_saveexec_b32 s15, s16
	s_cbranch_execz .LBB172_165
; %bb.160:                              ;   in Loop: Header=BB172_158 Depth=1
	v_mov_b32_e32 v17, 0x7f800001
	v_and_b32_e32 v13, 0x7f, v41
	v_mov_b32_e32 v18, 0
	s_mov_b32 s16, exec_lo
	v_cmpx_ne_u32_e32 0x7f, v13
	s_cbranch_execz .LBB172_164
; %bb.161:                              ;   in Loop: Header=BB172_158 Depth=1
	v_and_b32_e32 v5, 7, v41
	v_lshrrev_b32_e32 v11, 3, v13
	s_mov_b32 s17, exec_lo
	v_cmpx_gt_u32_e32 8, v13
; %bb.162:                              ;   in Loop: Header=BB172_158 Depth=1
	v_ffbh_u32_e32 v11, v5
	v_min_u32_e32 v11, 32, v11
	v_subrev_nc_u32_e32 v13, 28, v11
	v_sub_nc_u32_e32 v11, 29, v11
	v_lshlrev_b64 v[17:18], v13, v[5:6]
	v_and_b32_e32 v5, 7, v17
; %bb.163:                              ;   in Loop: Header=BB172_158 Depth=1
	s_or_b32 exec_lo, exec_lo, s17
	v_lshlrev_b32_e32 v13, 24, v41
	v_lshlrev_b32_e32 v5, 20, v5
	v_lshl_add_u32 v11, v11, 23, 0x3c000000
	v_and_b32_e32 v13, 0x80000000, v13
	v_or3_b32 v5, v5, v13, v11
	v_mov_b32_e32 v18, v6
	v_mov_b32_e32 v17, v5
.LBB172_164:                            ;   in Loop: Header=BB172_158 Depth=1
	s_or_b32 exec_lo, exec_lo, s16
.LBB172_165:                            ;   in Loop: Header=BB172_158 Depth=1
	s_or_b32 exec_lo, exec_lo, s15
.LBB172_166:                            ;   in Loop: Header=BB172_158 Depth=1
	s_or_b32 exec_lo, exec_lo, s1
	v_cmp_ne_u16_sdwa s15, v41, v6 src0_sel:BYTE_1 src1_sel:DWORD
	s_and_saveexec_b32 s1, s15
	s_cbranch_execz .LBB172_174
; %bb.167:                              ;   in Loop: Header=BB172_158 Depth=1
	v_mov_b32_e32 v11, v6
	v_mov_b32_e32 v20, v12
	v_cmp_ne_u16_sdwa s16, v41, v35 src0_sel:BYTE_1 src1_sel:DWORD
	v_mov_b32_e32 v19, v11
	s_and_saveexec_b32 s15, s16
	s_cbranch_execz .LBB172_173
; %bb.168:                              ;   in Loop: Header=BB172_158 Depth=1
	v_and_b32_sdwa v5, v36, v41 dst_sel:DWORD dst_unused:UNUSED_PAD src0_sel:DWORD src1_sel:BYTE_1
	v_mov_b32_e32 v13, v6
	v_mov_b32_e32 v20, v14
	s_mov_b32 s16, exec_lo
	v_and_b32_e32 v21, 0x7f, v5
	v_mov_b32_e32 v19, v13
	v_cmpx_ne_u32_e32 0x7f, v21
	s_cbranch_execz .LBB172_172
; %bb.169:                              ;   in Loop: Header=BB172_158 Depth=1
	v_and_b32_e32 v5, 7, v5
	v_lshrrev_b32_e32 v11, 3, v21
	s_mov_b32 s17, exec_lo
	v_cmpx_gt_u32_e32 8, v21
; %bb.170:                              ;   in Loop: Header=BB172_158 Depth=1
	v_ffbh_u32_e32 v11, v5
	v_min_u32_e32 v11, 32, v11
	v_subrev_nc_u32_e32 v13, 28, v11
	v_sub_nc_u32_e32 v11, 29, v11
	v_lshlrev_b64 v[19:20], v13, v[5:6]
	v_and_b32_e32 v5, 7, v19
; %bb.171:                              ;   in Loop: Header=BB172_158 Depth=1
	s_or_b32 exec_lo, exec_lo, s17
	v_lshlrev_b32_e32 v13, 16, v41
	v_lshlrev_b32_e32 v5, 20, v5
	v_lshl_add_u32 v11, v11, 23, 0x3c000000
	v_mov_b32_e32 v19, v6
	v_and_b32_e32 v13, 0x80000000, v13
	v_or3_b32 v20, v5, v13, v11
.LBB172_172:                            ;   in Loop: Header=BB172_158 Depth=1
	s_or_b32 exec_lo, exec_lo, s16
.LBB172_173:                            ;   in Loop: Header=BB172_158 Depth=1
	s_or_b32 exec_lo, exec_lo, s15
.LBB172_174:                            ;   in Loop: Header=BB172_158 Depth=1
	s_or_b32 exec_lo, exec_lo, s1
	v_mov_b32_e32 v23, 0
	v_mov_b32_e32 v21, 0
	v_and_b32_sdwa v5, v41, v37 dst_sel:DWORD dst_unused:UNUSED_PAD src0_sel:WORD_1 src1_sel:DWORD
	v_mov_b32_e32 v24, 0
	v_mov_b32_e32 v22, 0
	s_mov_b32 s1, exec_lo
	v_cmpx_ne_u16_e32 0, v5
	s_cbranch_execz .LBB172_182
; %bb.175:                              ;   in Loop: Header=BB172_158 Depth=1
	v_bfrev_b32_e32 v21, 1
	v_mov_b32_e32 v22, 0
	s_mov_b32 s15, exec_lo
	v_cmpx_ne_u16_e32 0x80, v5
	s_cbranch_execz .LBB172_181
; %bb.176:                              ;   in Loop: Header=BB172_158 Depth=1
	v_mov_b32_e32 v21, 0x7f800001
	v_bfe_u32 v13, v41, 16, 7
	v_mov_b32_e32 v22, 0
	s_mov_b32 s16, exec_lo
	v_cmpx_ne_u32_e32 0x7f, v13
	s_cbranch_execz .LBB172_180
; %bb.177:                              ;   in Loop: Header=BB172_158 Depth=1
	v_and_b32_sdwa v5, v41, v38 dst_sel:DWORD dst_unused:UNUSED_PAD src0_sel:WORD_1 src1_sel:DWORD
	v_lshrrev_b32_e32 v11, 3, v13
	s_mov_b32 s17, exec_lo
	v_cmpx_gt_u32_e32 8, v13
; %bb.178:                              ;   in Loop: Header=BB172_158 Depth=1
	v_ffbh_u32_e32 v11, v5
	v_min_u32_e32 v11, 32, v11
	v_subrev_nc_u32_e32 v13, 28, v11
	v_sub_nc_u32_e32 v11, 29, v11
	v_lshlrev_b64 v[21:22], v13, v[5:6]
	v_and_b32_e32 v5, 7, v21
; %bb.179:                              ;   in Loop: Header=BB172_158 Depth=1
	s_or_b32 exec_lo, exec_lo, s17
	v_lshlrev_b32_sdwa v13, v39, v41 dst_sel:DWORD dst_unused:UNUSED_PAD src0_sel:DWORD src1_sel:WORD_1
	v_lshlrev_b32_e32 v5, 20, v5
	v_lshl_add_u32 v11, v11, 23, 0x3c000000
	v_and_b32_e32 v13, 0x80000000, v13
	v_or3_b32 v5, v5, v13, v11
	v_mov_b32_e32 v22, v6
	v_mov_b32_e32 v21, v5
.LBB172_180:                            ;   in Loop: Header=BB172_158 Depth=1
	s_or_b32 exec_lo, exec_lo, s16
.LBB172_181:                            ;   in Loop: Header=BB172_158 Depth=1
	s_or_b32 exec_lo, exec_lo, s15
.LBB172_182:                            ;   in Loop: Header=BB172_158 Depth=1
	s_or_b32 exec_lo, exec_lo, s1
	s_mov_b32 s1, exec_lo
	v_cmpx_lt_u32_e32 0xffffff, v41
	s_cbranch_execz .LBB172_190
; %bb.183:                              ;   in Loop: Header=BB172_158 Depth=1
	v_mov_b32_e32 v11, v6
	v_mov_b32_e32 v24, v12
	v_cmp_ne_u32_sdwa s16, v41, v35 src0_sel:BYTE_3 src1_sel:DWORD
	v_mov_b32_e32 v23, v11
	s_and_saveexec_b32 s15, s16
	s_cbranch_execz .LBB172_189
; %bb.184:                              ;   in Loop: Header=BB172_158 Depth=1
	v_mov_b32_e32 v13, v6
	v_mov_b32_e32 v24, v14
	v_bfe_u32 v42, v41, 24, 7
	s_mov_b32 s16, exec_lo
	v_mov_b32_e32 v23, v13
	v_cmpx_ne_u32_e32 0x7f, v42
	s_cbranch_execz .LBB172_188
; %bb.185:                              ;   in Loop: Header=BB172_158 Depth=1
	v_and_b32_sdwa v5, v41, v38 dst_sel:DWORD dst_unused:UNUSED_PAD src0_sel:BYTE_3 src1_sel:DWORD
	v_lshrrev_b32_e32 v11, 3, v42
	s_mov_b32 s17, exec_lo
	v_cmpx_gt_u32_e32 8, v42
; %bb.186:                              ;   in Loop: Header=BB172_158 Depth=1
	v_ffbh_u32_e32 v11, v5
	v_min_u32_e32 v11, 32, v11
	v_subrev_nc_u32_e32 v13, 28, v11
	v_sub_nc_u32_e32 v11, 29, v11
	v_lshlrev_b64 v[23:24], v13, v[5:6]
	v_and_b32_e32 v5, 7, v23
; %bb.187:                              ;   in Loop: Header=BB172_158 Depth=1
	s_or_b32 exec_lo, exec_lo, s17
	v_lshlrev_b32_sdwa v13, v39, v41 dst_sel:DWORD dst_unused:UNUSED_PAD src0_sel:DWORD src1_sel:BYTE_3
	v_lshlrev_b32_e32 v5, 20, v5
	v_lshl_add_u32 v11, v11, 23, 0x3c000000
	v_mov_b32_e32 v23, v6
	v_and_b32_e32 v13, 0x80000000, v13
	v_or3_b32 v24, v5, v13, v11
.LBB172_188:                            ;   in Loop: Header=BB172_158 Depth=1
	s_or_b32 exec_lo, exec_lo, s16
.LBB172_189:                            ;   in Loop: Header=BB172_158 Depth=1
	s_or_b32 exec_lo, exec_lo, s15
.LBB172_190:                            ;   in Loop: Header=BB172_158 Depth=1
	s_or_b32 exec_lo, exec_lo, s1
	v_or_b32_e32 v5, v20, v18
	v_or_b32_e32 v11, v19, v17
	;; [unrolled: 1-line block ×4, first 2 shown]
	v_add_nc_u32_e32 v45, -3, v28
	v_cmp_eq_u32_e32 vcc_lo, s4, v40
	v_mul_f32_e32 v43, s14, v5
	v_mul_f32_e32 v44, s3, v11
	;; [unrolled: 1-line block ×4, first 2 shown]
	v_add_nc_u32_e32 v47, -2, v28
	v_add_nc_u32_e32 v46, -1, v28
	s_and_saveexec_b32 s15, vcc_lo
	s_cbranch_execz .LBB172_192
; %bb.191:                              ;   in Loop: Header=BB172_158 Depth=1
	v_cmp_gt_i32_e64 s1, s11, v45
	v_cndmask_b32_e64 v44, 0, v44, s1
	v_cmp_gt_i32_e64 s1, s11, v47
	v_cndmask_b32_e64 v43, 0, v43, s1
	;; [unrolled: 2-line block ×4, first 2 shown]
.LBB172_192:                            ;   in Loop: Header=BB172_158 Depth=1
	s_or_b32 exec_lo, exec_lo, s15
	global_load_dword v48, v[15:16], off offset:128
	v_mov_b32_e32 v19, 0
	v_mov_b32_e32 v17, 0
	;; [unrolled: 1-line block ×4, first 2 shown]
	s_waitcnt vmcnt(0)
	v_cmp_ne_u16_sdwa s1, v48, v6 src0_sel:BYTE_0 src1_sel:DWORD
	s_and_saveexec_b32 s15, s1
	s_cbranch_execz .LBB172_200
; %bb.193:                              ;   in Loop: Header=BB172_158 Depth=1
	v_bfrev_b32_e32 v17, 1
	v_mov_b32_e32 v18, 0
	v_cmp_ne_u16_sdwa s1, v48, v35 src0_sel:BYTE_0 src1_sel:DWORD
	s_and_saveexec_b32 s16, s1
	s_cbranch_execz .LBB172_199
; %bb.194:                              ;   in Loop: Header=BB172_158 Depth=1
	v_mov_b32_e32 v17, 0x7f800001
	v_and_b32_e32 v13, 0x7f, v48
	v_mov_b32_e32 v18, 0
	s_mov_b32 s17, exec_lo
	v_cmpx_ne_u32_e32 0x7f, v13
	s_cbranch_execz .LBB172_198
; %bb.195:                              ;   in Loop: Header=BB172_158 Depth=1
	v_and_b32_e32 v5, 7, v48
	v_lshrrev_b32_e32 v11, 3, v13
	s_mov_b32 s18, exec_lo
	v_cmpx_gt_u32_e32 8, v13
; %bb.196:                              ;   in Loop: Header=BB172_158 Depth=1
	v_ffbh_u32_e32 v11, v5
	v_min_u32_e32 v11, 32, v11
	v_subrev_nc_u32_e32 v13, 28, v11
	v_sub_nc_u32_e32 v11, 29, v11
	v_lshlrev_b64 v[17:18], v13, v[5:6]
	v_and_b32_e32 v5, 7, v17
; %bb.197:                              ;   in Loop: Header=BB172_158 Depth=1
	s_or_b32 exec_lo, exec_lo, s18
	v_lshlrev_b32_e32 v13, 24, v48
	v_lshlrev_b32_e32 v5, 20, v5
	v_lshl_add_u32 v11, v11, 23, 0x3c000000
	v_and_b32_e32 v13, 0x80000000, v13
	v_or3_b32 v5, v5, v13, v11
	v_mov_b32_e32 v18, v6
	v_mov_b32_e32 v17, v5
.LBB172_198:                            ;   in Loop: Header=BB172_158 Depth=1
	s_or_b32 exec_lo, exec_lo, s17
.LBB172_199:                            ;   in Loop: Header=BB172_158 Depth=1
	s_or_b32 exec_lo, exec_lo, s16
.LBB172_200:                            ;   in Loop: Header=BB172_158 Depth=1
	s_or_b32 exec_lo, exec_lo, s15
	v_cmp_ne_u16_sdwa s1, v48, v6 src0_sel:BYTE_1 src1_sel:DWORD
	s_and_saveexec_b32 s15, s1
	s_cbranch_execz .LBB172_208
; %bb.201:                              ;   in Loop: Header=BB172_158 Depth=1
	v_mov_b32_e32 v11, v6
	v_mov_b32_e32 v20, v12
	v_cmp_ne_u16_sdwa s1, v48, v35 src0_sel:BYTE_1 src1_sel:DWORD
	v_mov_b32_e32 v19, v11
	s_and_saveexec_b32 s16, s1
	s_cbranch_execz .LBB172_207
; %bb.202:                              ;   in Loop: Header=BB172_158 Depth=1
	v_and_b32_sdwa v5, v36, v48 dst_sel:DWORD dst_unused:UNUSED_PAD src0_sel:DWORD src1_sel:BYTE_1
	v_mov_b32_e32 v13, v6
	v_mov_b32_e32 v20, v14
	s_mov_b32 s17, exec_lo
	v_and_b32_e32 v21, 0x7f, v5
	v_mov_b32_e32 v19, v13
	v_cmpx_ne_u32_e32 0x7f, v21
	s_cbranch_execz .LBB172_206
; %bb.203:                              ;   in Loop: Header=BB172_158 Depth=1
	v_and_b32_e32 v5, 7, v5
	v_lshrrev_b32_e32 v11, 3, v21
	s_mov_b32 s18, exec_lo
	v_cmpx_gt_u32_e32 8, v21
; %bb.204:                              ;   in Loop: Header=BB172_158 Depth=1
	v_ffbh_u32_e32 v11, v5
	v_min_u32_e32 v11, 32, v11
	v_subrev_nc_u32_e32 v13, 28, v11
	v_sub_nc_u32_e32 v11, 29, v11
	v_lshlrev_b64 v[19:20], v13, v[5:6]
	v_and_b32_e32 v5, 7, v19
; %bb.205:                              ;   in Loop: Header=BB172_158 Depth=1
	s_or_b32 exec_lo, exec_lo, s18
	v_lshlrev_b32_e32 v13, 16, v48
	v_lshlrev_b32_e32 v5, 20, v5
	v_lshl_add_u32 v11, v11, 23, 0x3c000000
	v_mov_b32_e32 v19, v6
	v_and_b32_e32 v13, 0x80000000, v13
	v_or3_b32 v20, v5, v13, v11
.LBB172_206:                            ;   in Loop: Header=BB172_158 Depth=1
	s_or_b32 exec_lo, exec_lo, s17
.LBB172_207:                            ;   in Loop: Header=BB172_158 Depth=1
	s_or_b32 exec_lo, exec_lo, s16
.LBB172_208:                            ;   in Loop: Header=BB172_158 Depth=1
	s_or_b32 exec_lo, exec_lo, s15
	v_mov_b32_e32 v23, 0
	v_mov_b32_e32 v21, 0
	v_and_b32_sdwa v5, v48, v37 dst_sel:DWORD dst_unused:UNUSED_PAD src0_sel:WORD_1 src1_sel:DWORD
	v_mov_b32_e32 v24, 0
	v_mov_b32_e32 v22, 0
	s_mov_b32 s15, exec_lo
	v_cmpx_ne_u16_e32 0, v5
	s_cbranch_execz .LBB172_216
; %bb.209:                              ;   in Loop: Header=BB172_158 Depth=1
	v_bfrev_b32_e32 v21, 1
	v_mov_b32_e32 v22, 0
	s_mov_b32 s16, exec_lo
	v_cmpx_ne_u16_e32 0x80, v5
	s_cbranch_execz .LBB172_215
; %bb.210:                              ;   in Loop: Header=BB172_158 Depth=1
	v_mov_b32_e32 v21, 0x7f800001
	v_bfe_u32 v13, v48, 16, 7
	v_mov_b32_e32 v22, 0
	s_mov_b32 s17, exec_lo
	v_cmpx_ne_u32_e32 0x7f, v13
	s_cbranch_execz .LBB172_214
; %bb.211:                              ;   in Loop: Header=BB172_158 Depth=1
	v_and_b32_sdwa v5, v48, v38 dst_sel:DWORD dst_unused:UNUSED_PAD src0_sel:WORD_1 src1_sel:DWORD
	v_lshrrev_b32_e32 v11, 3, v13
	s_mov_b32 s18, exec_lo
	v_cmpx_gt_u32_e32 8, v13
; %bb.212:                              ;   in Loop: Header=BB172_158 Depth=1
	v_ffbh_u32_e32 v11, v5
	v_min_u32_e32 v11, 32, v11
	v_subrev_nc_u32_e32 v13, 28, v11
	v_sub_nc_u32_e32 v11, 29, v11
	v_lshlrev_b64 v[21:22], v13, v[5:6]
	v_and_b32_e32 v5, 7, v21
; %bb.213:                              ;   in Loop: Header=BB172_158 Depth=1
	s_or_b32 exec_lo, exec_lo, s18
	v_lshlrev_b32_sdwa v13, v39, v48 dst_sel:DWORD dst_unused:UNUSED_PAD src0_sel:DWORD src1_sel:WORD_1
	v_lshlrev_b32_e32 v5, 20, v5
	v_lshl_add_u32 v11, v11, 23, 0x3c000000
	v_and_b32_e32 v13, 0x80000000, v13
	v_or3_b32 v5, v5, v13, v11
	v_mov_b32_e32 v22, v6
	v_mov_b32_e32 v21, v5
.LBB172_214:                            ;   in Loop: Header=BB172_158 Depth=1
	s_or_b32 exec_lo, exec_lo, s17
.LBB172_215:                            ;   in Loop: Header=BB172_158 Depth=1
	s_or_b32 exec_lo, exec_lo, s16
.LBB172_216:                            ;   in Loop: Header=BB172_158 Depth=1
	s_or_b32 exec_lo, exec_lo, s15
	s_mov_b32 s15, exec_lo
	v_cmpx_lt_u32_e32 0xffffff, v48
	s_cbranch_execz .LBB172_224
; %bb.217:                              ;   in Loop: Header=BB172_158 Depth=1
	v_mov_b32_e32 v11, v6
	v_mov_b32_e32 v24, v12
	v_cmp_ne_u32_sdwa s1, v48, v35 src0_sel:BYTE_3 src1_sel:DWORD
	v_mov_b32_e32 v23, v11
	s_and_saveexec_b32 s16, s1
	s_cbranch_execz .LBB172_223
; %bb.218:                              ;   in Loop: Header=BB172_158 Depth=1
	v_mov_b32_e32 v13, v6
	v_mov_b32_e32 v24, v14
	v_bfe_u32 v49, v48, 24, 7
	s_mov_b32 s17, exec_lo
	v_mov_b32_e32 v23, v13
	v_cmpx_ne_u32_e32 0x7f, v49
	s_cbranch_execz .LBB172_222
; %bb.219:                              ;   in Loop: Header=BB172_158 Depth=1
	v_and_b32_sdwa v5, v48, v38 dst_sel:DWORD dst_unused:UNUSED_PAD src0_sel:BYTE_3 src1_sel:DWORD
	v_lshrrev_b32_e32 v11, 3, v49
	s_mov_b32 s18, exec_lo
	v_cmpx_gt_u32_e32 8, v49
; %bb.220:                              ;   in Loop: Header=BB172_158 Depth=1
	v_ffbh_u32_e32 v11, v5
	v_min_u32_e32 v11, 32, v11
	v_subrev_nc_u32_e32 v13, 28, v11
	v_sub_nc_u32_e32 v11, 29, v11
	v_lshlrev_b64 v[23:24], v13, v[5:6]
	v_and_b32_e32 v5, 7, v23
; %bb.221:                              ;   in Loop: Header=BB172_158 Depth=1
	s_or_b32 exec_lo, exec_lo, s18
	v_lshlrev_b32_sdwa v13, v39, v48 dst_sel:DWORD dst_unused:UNUSED_PAD src0_sel:DWORD src1_sel:BYTE_3
	v_lshlrev_b32_e32 v5, 20, v5
	v_lshl_add_u32 v11, v11, 23, 0x3c000000
	v_mov_b32_e32 v23, v6
	v_and_b32_e32 v13, 0x80000000, v13
	v_or3_b32 v24, v5, v13, v11
.LBB172_222:                            ;   in Loop: Header=BB172_158 Depth=1
	s_or_b32 exec_lo, exec_lo, s17
.LBB172_223:                            ;   in Loop: Header=BB172_158 Depth=1
	s_or_b32 exec_lo, exec_lo, s16
.LBB172_224:                            ;   in Loop: Header=BB172_158 Depth=1
	s_or_b32 exec_lo, exec_lo, s15
	v_or_b32_e32 v5, v20, v18
	v_or_b32_e32 v11, v19, v17
	;; [unrolled: 1-line block ×4, first 2 shown]
	v_mul_f32_e32 v50, s14, v5
	v_mul_f32_e32 v51, s3, v11
	;; [unrolled: 1-line block ×4, first 2 shown]
	s_and_saveexec_b32 s15, vcc_lo
	s_cbranch_execz .LBB172_226
; %bb.225:                              ;   in Loop: Header=BB172_158 Depth=1
	v_cmp_gt_i32_e64 s1, s11, v45
	v_cndmask_b32_e64 v51, 0, v51, s1
	v_cmp_gt_i32_e64 s1, s11, v47
	v_cndmask_b32_e64 v50, 0, v50, s1
	;; [unrolled: 2-line block ×4, first 2 shown]
.LBB172_226:                            ;   in Loop: Header=BB172_158 Depth=1
	s_or_b32 exec_lo, exec_lo, s15
	global_load_dword v52, v[15:16], off offset:256
	v_mov_b32_e32 v19, 0
	v_mov_b32_e32 v17, 0
	;; [unrolled: 1-line block ×4, first 2 shown]
	s_waitcnt vmcnt(0)
	v_cmp_ne_u16_sdwa s1, v52, v6 src0_sel:BYTE_0 src1_sel:DWORD
	s_and_saveexec_b32 s15, s1
	s_cbranch_execz .LBB172_234
; %bb.227:                              ;   in Loop: Header=BB172_158 Depth=1
	v_bfrev_b32_e32 v17, 1
	v_mov_b32_e32 v18, 0
	v_cmp_ne_u16_sdwa s1, v52, v35 src0_sel:BYTE_0 src1_sel:DWORD
	s_and_saveexec_b32 s16, s1
	s_cbranch_execz .LBB172_233
; %bb.228:                              ;   in Loop: Header=BB172_158 Depth=1
	v_mov_b32_e32 v17, 0x7f800001
	v_and_b32_e32 v13, 0x7f, v52
	v_mov_b32_e32 v18, 0
	s_mov_b32 s17, exec_lo
	v_cmpx_ne_u32_e32 0x7f, v13
	s_cbranch_execz .LBB172_232
; %bb.229:                              ;   in Loop: Header=BB172_158 Depth=1
	v_and_b32_e32 v5, 7, v52
	v_lshrrev_b32_e32 v11, 3, v13
	s_mov_b32 s18, exec_lo
	v_cmpx_gt_u32_e32 8, v13
; %bb.230:                              ;   in Loop: Header=BB172_158 Depth=1
	v_ffbh_u32_e32 v11, v5
	v_min_u32_e32 v11, 32, v11
	v_subrev_nc_u32_e32 v13, 28, v11
	v_sub_nc_u32_e32 v11, 29, v11
	v_lshlrev_b64 v[17:18], v13, v[5:6]
	v_and_b32_e32 v5, 7, v17
; %bb.231:                              ;   in Loop: Header=BB172_158 Depth=1
	s_or_b32 exec_lo, exec_lo, s18
	v_lshlrev_b32_e32 v13, 24, v52
	v_lshlrev_b32_e32 v5, 20, v5
	v_lshl_add_u32 v11, v11, 23, 0x3c000000
	v_and_b32_e32 v13, 0x80000000, v13
	v_or3_b32 v5, v5, v13, v11
	v_mov_b32_e32 v18, v6
	v_mov_b32_e32 v17, v5
.LBB172_232:                            ;   in Loop: Header=BB172_158 Depth=1
	s_or_b32 exec_lo, exec_lo, s17
.LBB172_233:                            ;   in Loop: Header=BB172_158 Depth=1
	s_or_b32 exec_lo, exec_lo, s16
.LBB172_234:                            ;   in Loop: Header=BB172_158 Depth=1
	s_or_b32 exec_lo, exec_lo, s15
	v_cmp_ne_u16_sdwa s1, v52, v6 src0_sel:BYTE_1 src1_sel:DWORD
	s_and_saveexec_b32 s15, s1
	s_cbranch_execz .LBB172_242
; %bb.235:                              ;   in Loop: Header=BB172_158 Depth=1
	v_mov_b32_e32 v11, v6
	v_mov_b32_e32 v20, v12
	v_cmp_ne_u16_sdwa s1, v52, v35 src0_sel:BYTE_1 src1_sel:DWORD
	v_mov_b32_e32 v19, v11
	s_and_saveexec_b32 s16, s1
	s_cbranch_execz .LBB172_241
; %bb.236:                              ;   in Loop: Header=BB172_158 Depth=1
	v_and_b32_sdwa v5, v36, v52 dst_sel:DWORD dst_unused:UNUSED_PAD src0_sel:DWORD src1_sel:BYTE_1
	v_mov_b32_e32 v13, v6
	v_mov_b32_e32 v20, v14
	s_mov_b32 s17, exec_lo
	v_and_b32_e32 v21, 0x7f, v5
	v_mov_b32_e32 v19, v13
	v_cmpx_ne_u32_e32 0x7f, v21
	s_cbranch_execz .LBB172_240
; %bb.237:                              ;   in Loop: Header=BB172_158 Depth=1
	v_and_b32_e32 v5, 7, v5
	v_lshrrev_b32_e32 v11, 3, v21
	s_mov_b32 s18, exec_lo
	v_cmpx_gt_u32_e32 8, v21
; %bb.238:                              ;   in Loop: Header=BB172_158 Depth=1
	v_ffbh_u32_e32 v11, v5
	v_min_u32_e32 v11, 32, v11
	v_subrev_nc_u32_e32 v13, 28, v11
	v_sub_nc_u32_e32 v11, 29, v11
	v_lshlrev_b64 v[19:20], v13, v[5:6]
	v_and_b32_e32 v5, 7, v19
; %bb.239:                              ;   in Loop: Header=BB172_158 Depth=1
	s_or_b32 exec_lo, exec_lo, s18
	v_lshlrev_b32_e32 v13, 16, v52
	v_lshlrev_b32_e32 v5, 20, v5
	v_lshl_add_u32 v11, v11, 23, 0x3c000000
	v_mov_b32_e32 v19, v6
	v_and_b32_e32 v13, 0x80000000, v13
	v_or3_b32 v20, v5, v13, v11
.LBB172_240:                            ;   in Loop: Header=BB172_158 Depth=1
	s_or_b32 exec_lo, exec_lo, s17
.LBB172_241:                            ;   in Loop: Header=BB172_158 Depth=1
	s_or_b32 exec_lo, exec_lo, s16
.LBB172_242:                            ;   in Loop: Header=BB172_158 Depth=1
	s_or_b32 exec_lo, exec_lo, s15
	v_mov_b32_e32 v23, 0
	v_mov_b32_e32 v21, 0
	v_and_b32_sdwa v5, v52, v37 dst_sel:DWORD dst_unused:UNUSED_PAD src0_sel:WORD_1 src1_sel:DWORD
	v_mov_b32_e32 v24, 0
	v_mov_b32_e32 v22, 0
	s_mov_b32 s15, exec_lo
	v_cmpx_ne_u16_e32 0, v5
	s_cbranch_execz .LBB172_250
; %bb.243:                              ;   in Loop: Header=BB172_158 Depth=1
	v_bfrev_b32_e32 v21, 1
	v_mov_b32_e32 v22, 0
	s_mov_b32 s16, exec_lo
	v_cmpx_ne_u16_e32 0x80, v5
	s_cbranch_execz .LBB172_249
; %bb.244:                              ;   in Loop: Header=BB172_158 Depth=1
	v_mov_b32_e32 v21, 0x7f800001
	v_bfe_u32 v13, v52, 16, 7
	v_mov_b32_e32 v22, 0
	s_mov_b32 s17, exec_lo
	v_cmpx_ne_u32_e32 0x7f, v13
	s_cbranch_execz .LBB172_248
; %bb.245:                              ;   in Loop: Header=BB172_158 Depth=1
	v_and_b32_sdwa v5, v52, v38 dst_sel:DWORD dst_unused:UNUSED_PAD src0_sel:WORD_1 src1_sel:DWORD
	v_lshrrev_b32_e32 v11, 3, v13
	s_mov_b32 s18, exec_lo
	v_cmpx_gt_u32_e32 8, v13
; %bb.246:                              ;   in Loop: Header=BB172_158 Depth=1
	v_ffbh_u32_e32 v11, v5
	v_min_u32_e32 v11, 32, v11
	v_subrev_nc_u32_e32 v13, 28, v11
	v_sub_nc_u32_e32 v11, 29, v11
	v_lshlrev_b64 v[21:22], v13, v[5:6]
	v_and_b32_e32 v5, 7, v21
; %bb.247:                              ;   in Loop: Header=BB172_158 Depth=1
	s_or_b32 exec_lo, exec_lo, s18
	v_lshlrev_b32_sdwa v13, v39, v52 dst_sel:DWORD dst_unused:UNUSED_PAD src0_sel:DWORD src1_sel:WORD_1
	v_lshlrev_b32_e32 v5, 20, v5
	v_lshl_add_u32 v11, v11, 23, 0x3c000000
	v_and_b32_e32 v13, 0x80000000, v13
	v_or3_b32 v5, v5, v13, v11
	v_mov_b32_e32 v22, v6
	v_mov_b32_e32 v21, v5
.LBB172_248:                            ;   in Loop: Header=BB172_158 Depth=1
	s_or_b32 exec_lo, exec_lo, s17
.LBB172_249:                            ;   in Loop: Header=BB172_158 Depth=1
	s_or_b32 exec_lo, exec_lo, s16
.LBB172_250:                            ;   in Loop: Header=BB172_158 Depth=1
	s_or_b32 exec_lo, exec_lo, s15
	s_mov_b32 s15, exec_lo
	v_cmpx_lt_u32_e32 0xffffff, v52
	s_cbranch_execz .LBB172_258
; %bb.251:                              ;   in Loop: Header=BB172_158 Depth=1
	v_mov_b32_e32 v11, v6
	v_mov_b32_e32 v24, v12
	v_cmp_ne_u32_sdwa s1, v52, v35 src0_sel:BYTE_3 src1_sel:DWORD
	v_mov_b32_e32 v23, v11
	s_and_saveexec_b32 s16, s1
	s_cbranch_execz .LBB172_257
; %bb.252:                              ;   in Loop: Header=BB172_158 Depth=1
	v_mov_b32_e32 v13, v6
	v_mov_b32_e32 v24, v14
	v_bfe_u32 v53, v52, 24, 7
	s_mov_b32 s17, exec_lo
	v_mov_b32_e32 v23, v13
	v_cmpx_ne_u32_e32 0x7f, v53
	s_cbranch_execz .LBB172_256
; %bb.253:                              ;   in Loop: Header=BB172_158 Depth=1
	v_and_b32_sdwa v5, v52, v38 dst_sel:DWORD dst_unused:UNUSED_PAD src0_sel:BYTE_3 src1_sel:DWORD
	v_lshrrev_b32_e32 v11, 3, v53
	s_mov_b32 s18, exec_lo
	v_cmpx_gt_u32_e32 8, v53
; %bb.254:                              ;   in Loop: Header=BB172_158 Depth=1
	v_ffbh_u32_e32 v11, v5
	v_min_u32_e32 v11, 32, v11
	v_subrev_nc_u32_e32 v13, 28, v11
	v_sub_nc_u32_e32 v11, 29, v11
	v_lshlrev_b64 v[23:24], v13, v[5:6]
	v_and_b32_e32 v5, 7, v23
; %bb.255:                              ;   in Loop: Header=BB172_158 Depth=1
	s_or_b32 exec_lo, exec_lo, s18
	v_lshlrev_b32_sdwa v13, v39, v52 dst_sel:DWORD dst_unused:UNUSED_PAD src0_sel:DWORD src1_sel:BYTE_3
	v_lshlrev_b32_e32 v5, 20, v5
	v_lshl_add_u32 v11, v11, 23, 0x3c000000
	v_mov_b32_e32 v23, v6
	v_and_b32_e32 v13, 0x80000000, v13
	v_or3_b32 v24, v5, v13, v11
.LBB172_256:                            ;   in Loop: Header=BB172_158 Depth=1
	s_or_b32 exec_lo, exec_lo, s17
.LBB172_257:                            ;   in Loop: Header=BB172_158 Depth=1
	s_or_b32 exec_lo, exec_lo, s16
.LBB172_258:                            ;   in Loop: Header=BB172_158 Depth=1
	s_or_b32 exec_lo, exec_lo, s15
	v_or_b32_e32 v5, v20, v18
	v_or_b32_e32 v11, v19, v17
	;; [unrolled: 1-line block ×4, first 2 shown]
	v_mul_f32_e32 v52, s14, v5
	v_mul_f32_e32 v53, s3, v11
	;; [unrolled: 1-line block ×4, first 2 shown]
	s_and_saveexec_b32 s15, vcc_lo
	s_cbranch_execz .LBB172_260
; %bb.259:                              ;   in Loop: Header=BB172_158 Depth=1
	v_cmp_gt_i32_e64 s1, s11, v45
	v_cndmask_b32_e64 v53, 0, v53, s1
	v_cmp_gt_i32_e64 s1, s11, v47
	v_cndmask_b32_e64 v52, 0, v52, s1
	;; [unrolled: 2-line block ×4, first 2 shown]
.LBB172_260:                            ;   in Loop: Header=BB172_158 Depth=1
	s_or_b32 exec_lo, exec_lo, s15
	global_load_dword v54, v[15:16], off offset:384
	v_mov_b32_e32 v17, 0
	v_mov_b32_e32 v15, 0
	;; [unrolled: 1-line block ×4, first 2 shown]
	s_waitcnt vmcnt(0)
	v_cmp_ne_u16_sdwa s1, v54, v6 src0_sel:BYTE_0 src1_sel:DWORD
	s_and_saveexec_b32 s15, s1
	s_cbranch_execz .LBB172_268
; %bb.261:                              ;   in Loop: Header=BB172_158 Depth=1
	v_bfrev_b32_e32 v15, 1
	v_mov_b32_e32 v16, 0
	v_cmp_ne_u16_sdwa s1, v54, v35 src0_sel:BYTE_0 src1_sel:DWORD
	s_and_saveexec_b32 s16, s1
	s_cbranch_execz .LBB172_267
; %bb.262:                              ;   in Loop: Header=BB172_158 Depth=1
	v_mov_b32_e32 v15, 0x7f800001
	v_and_b32_e32 v13, 0x7f, v54
	v_mov_b32_e32 v16, 0
	s_mov_b32 s17, exec_lo
	v_cmpx_ne_u32_e32 0x7f, v13
	s_cbranch_execz .LBB172_266
; %bb.263:                              ;   in Loop: Header=BB172_158 Depth=1
	v_and_b32_e32 v5, 7, v54
	v_lshrrev_b32_e32 v11, 3, v13
	s_mov_b32 s18, exec_lo
	v_cmpx_gt_u32_e32 8, v13
; %bb.264:                              ;   in Loop: Header=BB172_158 Depth=1
	v_ffbh_u32_e32 v11, v5
	v_min_u32_e32 v11, 32, v11
	v_subrev_nc_u32_e32 v13, 28, v11
	v_sub_nc_u32_e32 v11, 29, v11
	v_lshlrev_b64 v[15:16], v13, v[5:6]
	v_and_b32_e32 v5, 7, v15
; %bb.265:                              ;   in Loop: Header=BB172_158 Depth=1
	s_or_b32 exec_lo, exec_lo, s18
	v_lshlrev_b32_e32 v13, 24, v54
	v_lshlrev_b32_e32 v5, 20, v5
	v_lshl_add_u32 v11, v11, 23, 0x3c000000
	v_and_b32_e32 v13, 0x80000000, v13
	v_or3_b32 v5, v5, v13, v11
	v_mov_b32_e32 v16, v6
	v_mov_b32_e32 v15, v5
.LBB172_266:                            ;   in Loop: Header=BB172_158 Depth=1
	s_or_b32 exec_lo, exec_lo, s17
.LBB172_267:                            ;   in Loop: Header=BB172_158 Depth=1
	s_or_b32 exec_lo, exec_lo, s16
.LBB172_268:                            ;   in Loop: Header=BB172_158 Depth=1
	s_or_b32 exec_lo, exec_lo, s15
	v_cmp_ne_u16_sdwa s1, v54, v6 src0_sel:BYTE_1 src1_sel:DWORD
	s_and_saveexec_b32 s15, s1
	s_cbranch_execz .LBB172_276
; %bb.269:                              ;   in Loop: Header=BB172_158 Depth=1
	v_mov_b32_e32 v11, v6
	v_mov_b32_e32 v18, v12
	v_cmp_ne_u16_sdwa s1, v54, v35 src0_sel:BYTE_1 src1_sel:DWORD
	v_mov_b32_e32 v17, v11
	s_and_saveexec_b32 s16, s1
	s_cbranch_execz .LBB172_275
; %bb.270:                              ;   in Loop: Header=BB172_158 Depth=1
	v_and_b32_sdwa v5, v36, v54 dst_sel:DWORD dst_unused:UNUSED_PAD src0_sel:DWORD src1_sel:BYTE_1
	v_mov_b32_e32 v13, v6
	v_mov_b32_e32 v18, v14
	s_mov_b32 s17, exec_lo
	v_and_b32_e32 v19, 0x7f, v5
	v_mov_b32_e32 v17, v13
	v_cmpx_ne_u32_e32 0x7f, v19
	s_cbranch_execz .LBB172_274
; %bb.271:                              ;   in Loop: Header=BB172_158 Depth=1
	v_and_b32_e32 v5, 7, v5
	v_lshrrev_b32_e32 v11, 3, v19
	s_mov_b32 s18, exec_lo
	v_cmpx_gt_u32_e32 8, v19
; %bb.272:                              ;   in Loop: Header=BB172_158 Depth=1
	v_ffbh_u32_e32 v11, v5
	v_min_u32_e32 v11, 32, v11
	v_subrev_nc_u32_e32 v13, 28, v11
	v_sub_nc_u32_e32 v11, 29, v11
	v_lshlrev_b64 v[17:18], v13, v[5:6]
	v_and_b32_e32 v5, 7, v17
; %bb.273:                              ;   in Loop: Header=BB172_158 Depth=1
	s_or_b32 exec_lo, exec_lo, s18
	v_lshlrev_b32_e32 v13, 16, v54
	v_lshlrev_b32_e32 v5, 20, v5
	v_lshl_add_u32 v11, v11, 23, 0x3c000000
	v_mov_b32_e32 v17, v6
	v_and_b32_e32 v13, 0x80000000, v13
	v_or3_b32 v18, v5, v13, v11
.LBB172_274:                            ;   in Loop: Header=BB172_158 Depth=1
	s_or_b32 exec_lo, exec_lo, s17
.LBB172_275:                            ;   in Loop: Header=BB172_158 Depth=1
	s_or_b32 exec_lo, exec_lo, s16
.LBB172_276:                            ;   in Loop: Header=BB172_158 Depth=1
	s_or_b32 exec_lo, exec_lo, s15
	v_mov_b32_e32 v21, 0
	v_mov_b32_e32 v19, 0
	v_and_b32_sdwa v5, v54, v37 dst_sel:DWORD dst_unused:UNUSED_PAD src0_sel:WORD_1 src1_sel:DWORD
	v_mov_b32_e32 v22, 0
	v_mov_b32_e32 v20, 0
	s_mov_b32 s15, exec_lo
	v_cmpx_ne_u16_e32 0, v5
	s_cbranch_execz .LBB172_284
; %bb.277:                              ;   in Loop: Header=BB172_158 Depth=1
	v_bfrev_b32_e32 v19, 1
	v_mov_b32_e32 v20, 0
	s_mov_b32 s16, exec_lo
	v_cmpx_ne_u16_e32 0x80, v5
	s_cbranch_execz .LBB172_283
; %bb.278:                              ;   in Loop: Header=BB172_158 Depth=1
	v_mov_b32_e32 v19, 0x7f800001
	v_bfe_u32 v13, v54, 16, 7
	v_mov_b32_e32 v20, 0
	s_mov_b32 s17, exec_lo
	v_cmpx_ne_u32_e32 0x7f, v13
	s_cbranch_execz .LBB172_282
; %bb.279:                              ;   in Loop: Header=BB172_158 Depth=1
	v_and_b32_sdwa v5, v54, v38 dst_sel:DWORD dst_unused:UNUSED_PAD src0_sel:WORD_1 src1_sel:DWORD
	v_lshrrev_b32_e32 v11, 3, v13
	s_mov_b32 s18, exec_lo
	v_cmpx_gt_u32_e32 8, v13
; %bb.280:                              ;   in Loop: Header=BB172_158 Depth=1
	v_ffbh_u32_e32 v11, v5
	v_min_u32_e32 v11, 32, v11
	v_subrev_nc_u32_e32 v13, 28, v11
	v_sub_nc_u32_e32 v11, 29, v11
	v_lshlrev_b64 v[19:20], v13, v[5:6]
	v_and_b32_e32 v5, 7, v19
; %bb.281:                              ;   in Loop: Header=BB172_158 Depth=1
	s_or_b32 exec_lo, exec_lo, s18
	v_lshlrev_b32_sdwa v13, v39, v54 dst_sel:DWORD dst_unused:UNUSED_PAD src0_sel:DWORD src1_sel:WORD_1
	v_lshlrev_b32_e32 v5, 20, v5
	v_lshl_add_u32 v11, v11, 23, 0x3c000000
	v_and_b32_e32 v13, 0x80000000, v13
	v_or3_b32 v5, v5, v13, v11
	v_mov_b32_e32 v20, v6
	v_mov_b32_e32 v19, v5
.LBB172_282:                            ;   in Loop: Header=BB172_158 Depth=1
	s_or_b32 exec_lo, exec_lo, s17
.LBB172_283:                            ;   in Loop: Header=BB172_158 Depth=1
	s_or_b32 exec_lo, exec_lo, s16
.LBB172_284:                            ;   in Loop: Header=BB172_158 Depth=1
	s_or_b32 exec_lo, exec_lo, s15
	s_mov_b32 s15, exec_lo
	v_cmpx_lt_u32_e32 0xffffff, v54
	s_cbranch_execz .LBB172_292
; %bb.285:                              ;   in Loop: Header=BB172_158 Depth=1
	v_mov_b32_e32 v11, v6
	v_mov_b32_e32 v22, v12
	v_cmp_ne_u32_sdwa s1, v54, v35 src0_sel:BYTE_3 src1_sel:DWORD
	v_mov_b32_e32 v21, v11
	s_and_saveexec_b32 s16, s1
	s_cbranch_execz .LBB172_291
; %bb.286:                              ;   in Loop: Header=BB172_158 Depth=1
	v_mov_b32_e32 v13, v6
	v_mov_b32_e32 v22, v14
	v_bfe_u32 v55, v54, 24, 7
	s_mov_b32 s17, exec_lo
	v_mov_b32_e32 v21, v13
	v_cmpx_ne_u32_e32 0x7f, v55
	s_cbranch_execz .LBB172_290
; %bb.287:                              ;   in Loop: Header=BB172_158 Depth=1
	v_and_b32_sdwa v5, v54, v38 dst_sel:DWORD dst_unused:UNUSED_PAD src0_sel:BYTE_3 src1_sel:DWORD
	v_lshrrev_b32_e32 v11, 3, v55
	s_mov_b32 s18, exec_lo
	v_cmpx_gt_u32_e32 8, v55
; %bb.288:                              ;   in Loop: Header=BB172_158 Depth=1
	v_ffbh_u32_e32 v11, v5
	v_min_u32_e32 v11, 32, v11
	v_subrev_nc_u32_e32 v13, 28, v11
	v_sub_nc_u32_e32 v11, 29, v11
	v_lshlrev_b64 v[21:22], v13, v[5:6]
	v_and_b32_e32 v5, 7, v21
; %bb.289:                              ;   in Loop: Header=BB172_158 Depth=1
	s_or_b32 exec_lo, exec_lo, s18
	v_lshlrev_b32_sdwa v13, v39, v54 dst_sel:DWORD dst_unused:UNUSED_PAD src0_sel:DWORD src1_sel:BYTE_3
	v_lshlrev_b32_e32 v5, 20, v5
	v_lshl_add_u32 v11, v11, 23, 0x3c000000
	v_mov_b32_e32 v21, v6
	v_and_b32_e32 v13, 0x80000000, v13
	v_or3_b32 v22, v5, v13, v11
.LBB172_290:                            ;   in Loop: Header=BB172_158 Depth=1
	s_or_b32 exec_lo, exec_lo, s17
.LBB172_291:                            ;   in Loop: Header=BB172_158 Depth=1
	s_or_b32 exec_lo, exec_lo, s16
.LBB172_292:                            ;   in Loop: Header=BB172_158 Depth=1
	s_or_b32 exec_lo, exec_lo, s15
	v_or_b32_e32 v5, v18, v16
	v_or_b32_e32 v11, v17, v15
	;; [unrolled: 1-line block ×4, first 2 shown]
	v_mul_f32_e32 v13, s14, v5
	v_mul_f32_e32 v15, s3, v11
	;; [unrolled: 1-line block ×4, first 2 shown]
	s_and_saveexec_b32 s1, vcc_lo
	s_cbranch_execz .LBB172_157
; %bb.293:                              ;   in Loop: Header=BB172_158 Depth=1
	v_cmp_gt_i32_e32 vcc_lo, s11, v45
	v_cndmask_b32_e32 v15, 0, v15, vcc_lo
	v_cmp_gt_i32_e32 vcc_lo, s11, v47
	v_cndmask_b32_e32 v13, 0, v13, vcc_lo
	;; [unrolled: 2-line block ×4, first 2 shown]
	s_branch .LBB172_157
.LBB172_294:
	s_or_b32 exec_lo, exec_lo, s13
.LBB172_295:
	s_or_b32 exec_lo, exec_lo, s2
	ds_bpermute_b32 v1, v27, v32
	ds_bpermute_b32 v2, v27, v34
	;; [unrolled: 1-line block ×4, first 2 shown]
	v_lshrrev_b32_e32 v5, 1, v26
	v_lshlrev_b32_e32 v7, 8, v25
	v_and_b32_e32 v8, 0x3c1, v0
	s_mov_b32 s1, exec_lo
	s_waitcnt lgkmcnt(0)
	v_lshl_add_u32 v6, v5, 2, 0x120
	s_barrier
	buffer_gl0_inv
	v_add_f32_e32 v1, v32, v1
	v_add_f32_e32 v2, v34, v2
	;; [unrolled: 1-line block ×4, first 2 shown]
	v_cmpx_eq_u32_e32 64, v8
	s_cbranch_execz .LBB172_297
; %bb.296:
	v_add_nc_u32_e32 v8, v6, v7
	v_add_nc_u32_e32 v9, 0xfffffe00, v8
	;; [unrolled: 1-line block ×5, first 2 shown]
	ds_write_b32 v9, v1
	ds_write_b32 v10, v2
	ds_write_b32 v11, v3
	ds_write_b32 v8, v4
.LBB172_297:
	s_or_b32 exec_lo, exec_lo, s1
	v_lshlrev_b32_e32 v5, 2, v5
	v_cmp_eq_u32_e32 vcc_lo, 0, v30
	s_waitcnt lgkmcnt(0)
	s_barrier
	buffer_gl0_inv
	v_add3_u32 v5, 0x120, v7, v5
	s_and_saveexec_b32 s1, s0
	s_cbranch_execz .LBB172_304
; %bb.298:
	s_and_saveexec_b32 s0, vcc_lo
	s_cbranch_execnz .LBB172_316
; %bb.299:
	s_or_b32 exec_lo, exec_lo, s0
	s_and_saveexec_b32 s0, vcc_lo
	s_cbranch_execnz .LBB172_317
.LBB172_300:
	s_or_b32 exec_lo, exec_lo, s0
	s_and_saveexec_b32 s0, vcc_lo
	s_cbranch_execnz .LBB172_318
.LBB172_301:
	s_or_b32 exec_lo, exec_lo, s0
	s_and_saveexec_b32 s0, vcc_lo
	s_cbranch_execz .LBB172_303
.LBB172_302:
	ds_read_b32 v7, v5 offset:192
	s_waitcnt lgkmcnt(0)
	v_add_f32_e32 v4, v4, v7
.LBB172_303:
	s_or_b32 exec_lo, exec_lo, s0
.LBB172_304:
	s_or_b32 exec_lo, exec_lo, s1
	v_and_b32_e32 v7, 0x3e1, v0
	s_mov_b32 s1, exec_lo
	s_barrier
	buffer_gl0_inv
	v_cmpx_eq_u32_e32 32, v7
	s_cbranch_execz .LBB172_306
; %bb.305:
	ds_write2_b32 v6, v1, v2 offset1:16
	ds_write2_b32 v6, v3, v4 offset0:32 offset1:48
.LBB172_306:
	s_or_b32 exec_lo, exec_lo, s1
	s_mov_b32 s1, exec_lo
	s_waitcnt lgkmcnt(0)
	s_barrier
	buffer_gl0_inv
	v_cmpx_gt_u32_e32 32, v0
	s_cbranch_execz .LBB172_313
; %bb.307:
	s_and_saveexec_b32 s0, vcc_lo
	s_cbranch_execnz .LBB172_319
; %bb.308:
	s_or_b32 exec_lo, exec_lo, s0
	s_and_saveexec_b32 s0, vcc_lo
	s_cbranch_execnz .LBB172_320
.LBB172_309:
	s_or_b32 exec_lo, exec_lo, s0
	s_and_saveexec_b32 s0, vcc_lo
	s_cbranch_execnz .LBB172_321
.LBB172_310:
	s_or_b32 exec_lo, exec_lo, s0
	s_and_saveexec_b32 s0, vcc_lo
	s_cbranch_execz .LBB172_312
.LBB172_311:
	ds_read_b32 v5, v5 offset:192
	s_waitcnt lgkmcnt(0)
	v_add_f32_e32 v4, v4, v5
.LBB172_312:
	s_or_b32 exec_lo, exec_lo, s0
.LBB172_313:
	s_or_b32 exec_lo, exec_lo, s1
	s_barrier
	buffer_gl0_inv
	s_mov_b32 s0, exec_lo
	v_cmpx_eq_u32_e32 0, v7
	s_cbranch_execz .LBB172_315
; %bb.314:
	s_mul_i32 s0, s10, s7
	s_mul_i32 s2, s7, s6
	;; [unrolled: 1-line block ×3, first 2 shown]
	v_lshlrev_b32_e32 v0, 1, v0
	s_lshl_b32 s0, s0, 6
	s_ashr_i32 s1, s0, 31
	s_lshl_b64 s[0:1], s[0:1], 2
	s_add_u32 s4, s20, s0
	s_addc_u32 s5, s21, s1
	s_ashr_i32 s3, s2, 31
	s_lshl_b64 s[0:1], s[2:3], 2
	s_add_u32 s2, s4, s0
	s_addc_u32 s3, s5, s1
	s_lshl_b32 s0, s8, 6
	s_ashr_i32 s1, s0, 31
	s_lshl_b64 s[0:1], s[0:1], 2
	s_add_u32 s0, s2, s0
	s_addc_u32 s1, s3, s1
	global_store_dword v0, v1, s[0:1]
	global_store_dword v0, v2, s[0:1] offset:64
	global_store_dword v0, v3, s[0:1] offset:128
	;; [unrolled: 1-line block ×3, first 2 shown]
.LBB172_315:
	s_endpgm
.LBB172_316:
	ds_read_b32 v7, v5
	s_waitcnt lgkmcnt(0)
	v_add_f32_e32 v1, v1, v7
	s_or_b32 exec_lo, exec_lo, s0
	s_and_saveexec_b32 s0, vcc_lo
	s_cbranch_execz .LBB172_300
.LBB172_317:
	ds_read_b32 v7, v5 offset:64
	s_waitcnt lgkmcnt(0)
	v_add_f32_e32 v2, v2, v7
	s_or_b32 exec_lo, exec_lo, s0
	s_and_saveexec_b32 s0, vcc_lo
	s_cbranch_execz .LBB172_301
.LBB172_318:
	ds_read_b32 v7, v5 offset:128
	s_waitcnt lgkmcnt(0)
	v_add_f32_e32 v3, v3, v7
	s_or_b32 exec_lo, exec_lo, s0
	s_and_saveexec_b32 s0, vcc_lo
	s_cbranch_execnz .LBB172_302
	s_branch .LBB172_303
.LBB172_319:
	ds_read_b32 v6, v5
	s_waitcnt lgkmcnt(0)
	v_add_f32_e32 v1, v1, v6
	s_or_b32 exec_lo, exec_lo, s0
	s_and_saveexec_b32 s0, vcc_lo
	s_cbranch_execz .LBB172_309
.LBB172_320:
	ds_read_b32 v6, v5 offset:64
	s_waitcnt lgkmcnt(0)
	v_add_f32_e32 v2, v2, v6
	s_or_b32 exec_lo, exec_lo, s0
	s_and_saveexec_b32 s0, vcc_lo
	s_cbranch_execz .LBB172_310
.LBB172_321:
	ds_read_b32 v6, v5 offset:128
	s_waitcnt lgkmcnt(0)
	v_add_f32_e32 v3, v3, v6
	s_or_b32 exec_lo, exec_lo, s0
	s_and_saveexec_b32 s0, vcc_lo
	s_cbranch_execnz .LBB172_311
	s_branch .LBB172_312
	.section	.rodata,"a",@progbits
	.p2align	6, 0x0
	.amdhsa_kernel _ZN4vllm25paged_attention_v1_kernelIfhLi64ELi8ELi128ELNS_18Fp8KVCacheDataTypeE1ELb0EEEvPT_PKS2_PKT0_S8_ifPKiSA_iPKfiiiSC_SC_iiiii
		.amdhsa_group_segment_fixed_size 288
		.amdhsa_private_segment_fixed_size 0
		.amdhsa_kernarg_size 384
		.amdhsa_user_sgpr_count 6
		.amdhsa_user_sgpr_private_segment_buffer 1
		.amdhsa_user_sgpr_dispatch_ptr 0
		.amdhsa_user_sgpr_queue_ptr 0
		.amdhsa_user_sgpr_kernarg_segment_ptr 1
		.amdhsa_user_sgpr_dispatch_id 0
		.amdhsa_user_sgpr_flat_scratch_init 0
		.amdhsa_user_sgpr_private_segment_size 0
		.amdhsa_wavefront_size32 1
		.amdhsa_uses_dynamic_stack 0
		.amdhsa_system_sgpr_private_segment_wavefront_offset 0
		.amdhsa_system_sgpr_workgroup_id_x 1
		.amdhsa_system_sgpr_workgroup_id_y 1
		.amdhsa_system_sgpr_workgroup_id_z 1
		.amdhsa_system_sgpr_workgroup_info 0
		.amdhsa_system_vgpr_workitem_id 0
		.amdhsa_next_free_vgpr 57
		.amdhsa_next_free_sgpr 35
		.amdhsa_reserve_vcc 1
		.amdhsa_reserve_flat_scratch 0
		.amdhsa_float_round_mode_32 0
		.amdhsa_float_round_mode_16_64 0
		.amdhsa_float_denorm_mode_32 3
		.amdhsa_float_denorm_mode_16_64 3
		.amdhsa_dx10_clamp 1
		.amdhsa_ieee_mode 1
		.amdhsa_fp16_overflow 0
		.amdhsa_workgroup_processor_mode 1
		.amdhsa_memory_ordered 1
		.amdhsa_forward_progress 1
		.amdhsa_shared_vgpr_count 0
		.amdhsa_exception_fp_ieee_invalid_op 0
		.amdhsa_exception_fp_denorm_src 0
		.amdhsa_exception_fp_ieee_div_zero 0
		.amdhsa_exception_fp_ieee_overflow 0
		.amdhsa_exception_fp_ieee_underflow 0
		.amdhsa_exception_fp_ieee_inexact 0
		.amdhsa_exception_int_div_zero 0
	.end_amdhsa_kernel
	.section	.text._ZN4vllm25paged_attention_v1_kernelIfhLi64ELi8ELi128ELNS_18Fp8KVCacheDataTypeE1ELb0EEEvPT_PKS2_PKT0_S8_ifPKiSA_iPKfiiiSC_SC_iiiii,"axG",@progbits,_ZN4vllm25paged_attention_v1_kernelIfhLi64ELi8ELi128ELNS_18Fp8KVCacheDataTypeE1ELb0EEEvPT_PKS2_PKT0_S8_ifPKiSA_iPKfiiiSC_SC_iiiii,comdat
.Lfunc_end172:
	.size	_ZN4vllm25paged_attention_v1_kernelIfhLi64ELi8ELi128ELNS_18Fp8KVCacheDataTypeE1ELb0EEEvPT_PKS2_PKT0_S8_ifPKiSA_iPKfiiiSC_SC_iiiii, .Lfunc_end172-_ZN4vllm25paged_attention_v1_kernelIfhLi64ELi8ELi128ELNS_18Fp8KVCacheDataTypeE1ELb0EEEvPT_PKS2_PKT0_S8_ifPKiSA_iPKfiiiSC_SC_iiiii
                                        ; -- End function
	.set _ZN4vllm25paged_attention_v1_kernelIfhLi64ELi8ELi128ELNS_18Fp8KVCacheDataTypeE1ELb0EEEvPT_PKS2_PKT0_S8_ifPKiSA_iPKfiiiSC_SC_iiiii.num_vgpr, 57
	.set _ZN4vllm25paged_attention_v1_kernelIfhLi64ELi8ELi128ELNS_18Fp8KVCacheDataTypeE1ELb0EEEvPT_PKS2_PKT0_S8_ifPKiSA_iPKfiiiSC_SC_iiiii.num_agpr, 0
	.set _ZN4vllm25paged_attention_v1_kernelIfhLi64ELi8ELi128ELNS_18Fp8KVCacheDataTypeE1ELb0EEEvPT_PKS2_PKT0_S8_ifPKiSA_iPKfiiiSC_SC_iiiii.numbered_sgpr, 35
	.set _ZN4vllm25paged_attention_v1_kernelIfhLi64ELi8ELi128ELNS_18Fp8KVCacheDataTypeE1ELb0EEEvPT_PKS2_PKT0_S8_ifPKiSA_iPKfiiiSC_SC_iiiii.num_named_barrier, 0
	.set _ZN4vllm25paged_attention_v1_kernelIfhLi64ELi8ELi128ELNS_18Fp8KVCacheDataTypeE1ELb0EEEvPT_PKS2_PKT0_S8_ifPKiSA_iPKfiiiSC_SC_iiiii.private_seg_size, 0
	.set _ZN4vllm25paged_attention_v1_kernelIfhLi64ELi8ELi128ELNS_18Fp8KVCacheDataTypeE1ELb0EEEvPT_PKS2_PKT0_S8_ifPKiSA_iPKfiiiSC_SC_iiiii.uses_vcc, 1
	.set _ZN4vllm25paged_attention_v1_kernelIfhLi64ELi8ELi128ELNS_18Fp8KVCacheDataTypeE1ELb0EEEvPT_PKS2_PKT0_S8_ifPKiSA_iPKfiiiSC_SC_iiiii.uses_flat_scratch, 0
	.set _ZN4vllm25paged_attention_v1_kernelIfhLi64ELi8ELi128ELNS_18Fp8KVCacheDataTypeE1ELb0EEEvPT_PKS2_PKT0_S8_ifPKiSA_iPKfiiiSC_SC_iiiii.has_dyn_sized_stack, 0
	.set _ZN4vllm25paged_attention_v1_kernelIfhLi64ELi8ELi128ELNS_18Fp8KVCacheDataTypeE1ELb0EEEvPT_PKS2_PKT0_S8_ifPKiSA_iPKfiiiSC_SC_iiiii.has_recursion, 0
	.set _ZN4vllm25paged_attention_v1_kernelIfhLi64ELi8ELi128ELNS_18Fp8KVCacheDataTypeE1ELb0EEEvPT_PKS2_PKT0_S8_ifPKiSA_iPKfiiiSC_SC_iiiii.has_indirect_call, 0
	.section	.AMDGPU.csdata,"",@progbits
; Kernel info:
; codeLenInByte = 9660
; TotalNumSgprs: 37
; NumVgprs: 57
; ScratchSize: 0
; MemoryBound: 0
; FloatMode: 240
; IeeeMode: 1
; LDSByteSize: 288 bytes/workgroup (compile time only)
; SGPRBlocks: 0
; VGPRBlocks: 7
; NumSGPRsForWavesPerEU: 37
; NumVGPRsForWavesPerEU: 57
; Occupancy: 16
; WaveLimiterHint : 1
; COMPUTE_PGM_RSRC2:SCRATCH_EN: 0
; COMPUTE_PGM_RSRC2:USER_SGPR: 6
; COMPUTE_PGM_RSRC2:TRAP_HANDLER: 0
; COMPUTE_PGM_RSRC2:TGID_X_EN: 1
; COMPUTE_PGM_RSRC2:TGID_Y_EN: 1
; COMPUTE_PGM_RSRC2:TGID_Z_EN: 1
; COMPUTE_PGM_RSRC2:TIDIG_COMP_CNT: 0
	.section	.text._ZN4vllm25paged_attention_v1_kernelIfhLi80ELi8ELi128ELNS_18Fp8KVCacheDataTypeE1ELb0EEEvPT_PKS2_PKT0_S8_ifPKiSA_iPKfiiiSC_SC_iiiii,"axG",@progbits,_ZN4vllm25paged_attention_v1_kernelIfhLi80ELi8ELi128ELNS_18Fp8KVCacheDataTypeE1ELb0EEEvPT_PKS2_PKT0_S8_ifPKiSA_iPKfiiiSC_SC_iiiii,comdat
	.protected	_ZN4vllm25paged_attention_v1_kernelIfhLi80ELi8ELi128ELNS_18Fp8KVCacheDataTypeE1ELb0EEEvPT_PKS2_PKT0_S8_ifPKiSA_iPKfiiiSC_SC_iiiii ; -- Begin function _ZN4vllm25paged_attention_v1_kernelIfhLi80ELi8ELi128ELNS_18Fp8KVCacheDataTypeE1ELb0EEEvPT_PKS2_PKT0_S8_ifPKiSA_iPKfiiiSC_SC_iiiii
	.globl	_ZN4vllm25paged_attention_v1_kernelIfhLi80ELi8ELi128ELNS_18Fp8KVCacheDataTypeE1ELb0EEEvPT_PKS2_PKT0_S8_ifPKiSA_iPKfiiiSC_SC_iiiii
	.p2align	8
	.type	_ZN4vllm25paged_attention_v1_kernelIfhLi80ELi8ELi128ELNS_18Fp8KVCacheDataTypeE1ELb0EEEvPT_PKS2_PKT0_S8_ifPKiSA_iPKfiiiSC_SC_iiiii,@function
_ZN4vllm25paged_attention_v1_kernelIfhLi80ELi8ELi128ELNS_18Fp8KVCacheDataTypeE1ELb0EEEvPT_PKS2_PKT0_S8_ifPKiSA_iPKfiiiSC_SC_iiiii: ; @_ZN4vllm25paged_attention_v1_kernelIfhLi80ELi8ELi128ELNS_18Fp8KVCacheDataTypeE1ELb0EEEvPT_PKS2_PKT0_S8_ifPKiSA_iPKfiiiSC_SC_iiiii
; %bb.0:
	s_clause 0x2
	s_load_dword s9, s[4:5], 0x80
	s_load_dwordx2 s[0:1], s[4:5], 0x30
	s_load_dwordx2 s[28:29], s[4:5], 0x20
	s_mov_b32 s10, s7
	s_ashr_i32 s11, s7, 31
	s_lshl_b64 s[2:3], s[10:11], 2
	s_waitcnt lgkmcnt(0)
	s_add_u32 s0, s0, s2
	s_addc_u32 s1, s1, s3
	s_abs_i32 s2, s28
	s_abs_i32 s11, s9
	v_cvt_f32_u32_e32 v1, s2
	s_sub_i32 s7, 0, s2
	v_rcp_iflag_f32_e32 v1, v1
	v_mul_f32_e32 v1, 0x4f7ffffe, v1
	v_cvt_u32_f32_e32 v1, v1
	v_readfirstlane_b32 s3, v1
	s_mul_i32 s7, s7, s3
	s_mul_hi_u32 s7, s3, s7
	s_add_i32 s3, s3, s7
	s_xor_b32 s7, s9, s28
	s_mul_hi_u32 s3, s11, s3
	s_ashr_i32 s7, s7, 31
	s_mul_i32 s12, s3, s2
	s_mov_b32 s28, 0
	s_sub_i32 s11, s11, s12
	s_add_i32 s12, s3, 1
	s_sub_i32 s13, s11, s2
	s_cmp_ge_u32 s11, s2
	s_cselect_b32 s3, s12, s3
	s_cselect_b32 s11, s13, s11
	s_add_i32 s12, s3, 1
	s_cmp_ge_u32 s11, s2
	s_cselect_b32 s2, s12, s3
	s_abs_i32 s17, s6
	s_xor_b32 s2, s2, s7
	s_sub_i32 s19, s2, s7
	s_load_dwordx2 s[2:3], s[4:5], 0x40
	s_abs_i32 s16, s19
	v_cvt_f32_u32_e32 v1, s16
	s_sub_i32 s11, 0, s16
	v_rcp_iflag_f32_e32 v1, v1
	v_mul_f32_e32 v1, 0x4f7ffffe, v1
	v_cvt_u32_f32_e32 v1, v1
	v_readfirstlane_b32 s7, v1
	s_mul_i32 s11, s11, s7
	s_mul_hi_u32 s11, s7, s11
	s_add_i32 s7, s7, s11
	s_waitcnt lgkmcnt(0)
	s_cmp_eq_u64 s[2:3], 0
	s_mul_hi_u32 s18, s17, s7
	s_cbranch_scc1 .LBB173_2
; %bb.1:
	s_ashr_i32 s7, s6, 31
	s_lshl_b64 s[12:13], s[6:7], 2
	s_add_u32 s2, s2, s12
	s_addc_u32 s3, s3, s13
	s_load_dword s28, s[2:3], 0x0
.LBB173_2:
	s_load_dword s11, s[0:1], 0x0
	s_load_dwordx4 s[12:15], s[4:5], 0x48
	v_and_b32_e32 v21, 3, v0
	v_lshlrev_b32_e32 v30, 2, v0
	s_ashr_i32 s0, s6, 31
	s_ashr_i32 s1, s19, 31
	s_mulk_i32 s6, 0x50
	s_mov_b32 s2, exec_lo
	v_cmpx_gt_u32_e32 0x50, v0
	s_cbranch_execz .LBB173_4
; %bb.3:
	s_load_dwordx2 s[20:21], s[4:5], 0x8
	s_waitcnt lgkmcnt(0)
	s_mul_i32 s22, s12, s10
	v_and_b32_e32 v2, 0x3fc, v0
	s_ashr_i32 s23, s22, 31
	s_lshl_b64 s[22:23], s[22:23], 2
	v_mad_u32_u24 v2, 0x50, v21, v2
	s_add_u32 s3, s20, s22
	s_addc_u32 s12, s21, s23
	s_ashr_i32 s7, s6, 31
	s_lshl_b64 s[20:21], s[6:7], 2
	s_add_u32 s20, s3, s20
	s_addc_u32 s21, s12, s21
	global_load_dword v1, v30, s[20:21]
	s_waitcnt vmcnt(0)
	ds_write_b32 v2, v1
.LBB173_4:
	s_or_b32 exec_lo, exec_lo, s2
	s_waitcnt lgkmcnt(0)
	s_add_i32 s2, s11, 7
	s_clause 0x1
	s_load_dwordx2 s[22:23], s[4:5], 0x28
	s_load_dword s7, s[4:5], 0x38
	s_ashr_i32 s3, s2, 31
	s_xor_b32 s0, s0, s1
	s_lshr_b32 s3, s3, 29
	s_mul_i32 s1, s18, s16
	s_add_i32 s2, s2, s3
	s_sub_i32 s1, s17, s1
	s_ashr_i32 s12, s2, 3
	s_add_i32 s2, s18, 1
	s_sub_i32 s3, s1, s16
	s_cmp_ge_u32 s1, s16
	v_lshrrev_b32_e32 v29, 5, v0
	s_cselect_b32 s2, s2, s18
	s_cselect_b32 s1, s3, s1
	s_add_i32 s3, s2, 1
	s_cmp_ge_u32 s1, s16
	v_mbcnt_lo_u32_b32 v32, -1, 0
	s_cselect_b32 s1, s3, s2
	s_mov_b32 s2, exec_lo
	s_xor_b32 s1, s1, s0
	s_waitcnt lgkmcnt(0)
	s_mul_i32 s24, s7, s10
	s_sub_i32 s1, s1, s0
	v_cmp_gt_i32_e64 s0, s12, v29
	s_ashr_i32 s25, s24, 31
	s_barrier
	buffer_gl0_inv
                                        ; implicit-def: $vgpr22
                                        ; implicit-def: $vgpr33
	v_cmpx_le_i32_e64 s12, v29
	s_xor_b32 s2, exec_lo, s2
; %bb.5:
	v_mov_b32_e32 v22, 0
	v_mbcnt_lo_u32_b32 v32, -1, 0
	v_mov_b32_e32 v33, 32
                                        ; implicit-def: $vgpr21
; %bb.6:
	s_or_saveexec_b32 s15, s2
	s_clause 0x3
	s_load_dwordx2 s[20:21], s[4:5], 0x0
	s_load_dwordx2 s[26:27], s[4:5], 0x18
	s_load_dword s7, s[4:5], 0x88
	s_load_dwordx4 s[16:19], s[4:5], 0x58
	v_mov_b32_e32 v34, 0xff7fffff
	v_lshrrev_b32_e32 v31, 3, v0
	s_mul_i32 s14, s1, s14
	s_xor_b32 exec_lo, exec_lo, s15
	s_cbranch_execz .LBB173_172
; %bb.7:
	s_load_dwordx2 s[2:3], s[4:5], 0x10
	v_xor_b32_e32 v23, 2, v32
	v_bfe_u32 v25, v0, 2, 3
	v_mul_u32_u24_e32 v17, 0x50, v21
	v_xor_b32_e32 v24, 1, v32
	ds_read_b128 v[1:4], v17
	ds_read_b128 v[5:8], v17 offset:16
	ds_read_b128 v[9:12], v17 offset:32
	ds_read_b128 v[13:16], v17 offset:48
	ds_read_b128 v[17:20], v17 offset:64
	v_cmp_gt_i32_e32 vcc_lo, 32, v23
	v_lshlrev_b32_e32 v26, 4, v25
	s_ashr_i32 s1, s14, 31
	s_waitcnt lgkmcnt(0)
	s_load_dword s4, s[16:17], 0x0
	v_lshlrev_b32_e32 v28, 2, v25
	v_cndmask_b32_e32 v23, v32, v23, vcc_lo
	v_cmp_gt_i32_e32 vcc_lo, 32, v24
	v_lshl_or_b32 v37, v29, 3, v25
	v_and_b32_e32 v25, 0x7c, v31
	v_mov_b32_e32 v22, 0
	v_lshlrev_b32_e32 v35, 2, v23
	s_add_u32 s2, s2, s14
	s_addc_u32 s1, s3, s1
	v_add_co_u32 v26, s2, s2, v26
	v_cndmask_b32_e32 v24, v32, v24, vcc_lo
	v_add_co_ci_u32_e64 v27, null, s1, 0, s2
	v_add_co_u32 v23, s2, v26, v21
	v_lshlrev_b32_e32 v36, 2, v24
	v_add_co_ci_u32_e64 v24, null, 0, v27, s2
	s_lshl_b64 s[2:3], s[24:25], 2
	v_cmp_eq_u32_e32 vcc_lo, 0, v21
	v_lshl_or_b32 v21, v29, 5, v28
	s_sub_i32 s5, 1, s11
	s_add_u32 s2, s22, s2
	s_addc_u32 s3, s23, s3
	v_add_co_u32 v25, s2, s2, v25
	v_mov_b32_e32 v33, 32
	v_cmp_neq_f32_e64 s1, s28, 0
	v_add_nc_u32_e32 v38, 0x160, v21
	v_add_co_ci_u32_e64 v26, null, s3, 0, s2
	v_mov_b32_e32 v34, 0xff7fffff
	v_mov_b32_e32 v39, 0x7f
	;; [unrolled: 1-line block ×4, first 2 shown]
	s_mov_b32 s17, s13
	s_mov_b32 s16, 0
	s_branch .LBB173_9
.LBB173_8:                              ;   in Loop: Header=BB173_9 Depth=1
	s_or_b32 exec_lo, exec_lo, s3
	v_add_nc_u32_e32 v41, 4, v41
	v_add_co_u32 v25, s3, v25, 16
	v_add_nc_u32_e32 v37, 32, v37
	v_add_nc_u32_e32 v38, 0x80, v38
	v_cmp_le_i32_e64 s2, s12, v41
	v_add_co_ci_u32_e64 v26, null, 0, v26, s3
	s_or_b32 s16, s2, s16
	s_andn2_b32 exec_lo, exec_lo, s16
	s_cbranch_execz .LBB173_171
.LBB173_9:                              ; =>This Inner Loop Header: Depth=1
	global_load_dword v21, v[25:26], off
	v_mov_b32_e32 v42, 0
	v_mov_b32_e32 v43, 0
	s_mov_b32 s3, exec_lo
	s_waitcnt vmcnt(0) lgkmcnt(0)
	v_mad_i64_i32 v[27:28], null, v21, s17, v[23:24]
	global_load_ubyte v44, v[27:28], off
	s_waitcnt vmcnt(0)
	v_cmpx_ne_u16_e32 0, v44
	s_cbranch_execz .LBB173_17
; %bb.10:                               ;   in Loop: Header=BB173_9 Depth=1
	v_bfrev_b32_e32 v43, 1
	s_mov_b32 s30, exec_lo
	v_cmpx_ne_u16_e32 0x80, v44
	s_cbranch_execz .LBB173_16
; %bb.11:                               ;   in Loop: Header=BB173_9 Depth=1
	v_and_b32_sdwa v45, v44, v39 dst_sel:DWORD dst_unused:UNUSED_PAD src0_sel:WORD_0 src1_sel:DWORD
	v_mov_b32_e32 v43, 0x7f800001
	s_mov_b32 s31, exec_lo
	v_cmpx_ne_u32_e32 0x7f, v45
	s_cbranch_execz .LBB173_15
; %bb.12:                               ;   in Loop: Header=BB173_9 Depth=1
	v_and_b32_sdwa v21, v44, v40 dst_sel:DWORD dst_unused:UNUSED_PAD src0_sel:WORD_0 src1_sel:DWORD
	v_lshrrev_b32_e32 v43, 3, v45
	s_mov_b32 s33, exec_lo
	v_cmpx_gt_u32_e32 8, v45
; %bb.13:                               ;   in Loop: Header=BB173_9 Depth=1
	v_ffbh_u32_e32 v43, v21
	v_min_u32_e32 v43, 32, v43
	v_subrev_nc_u32_e32 v45, 28, v43
	v_sub_nc_u32_e32 v43, 29, v43
	v_lshlrev_b64 v[45:46], v45, v[21:22]
	v_and_b32_e32 v21, 7, v45
; %bb.14:                               ;   in Loop: Header=BB173_9 Depth=1
	s_or_b32 exec_lo, exec_lo, s33
	v_lshlrev_b32_e32 v44, 24, v44
	v_lshlrev_b32_e32 v21, 20, v21
	v_lshl_add_u32 v43, v43, 23, 0x3c000000
	v_and_b32_e32 v44, 0x80000000, v44
	v_or3_b32 v43, v21, v44, v43
.LBB173_15:                             ;   in Loop: Header=BB173_9 Depth=1
	s_or_b32 exec_lo, exec_lo, s31
.LBB173_16:                             ;   in Loop: Header=BB173_9 Depth=1
	s_or_b32 exec_lo, exec_lo, s30
.LBB173_17:                             ;   in Loop: Header=BB173_9 Depth=1
	s_or_b32 exec_lo, exec_lo, s3
	global_load_ubyte v44, v[27:28], off offset:4
	s_mov_b32 s3, exec_lo
	s_waitcnt vmcnt(0)
	v_cmpx_ne_u16_e32 0, v44
	s_cbranch_execz .LBB173_25
; %bb.18:                               ;   in Loop: Header=BB173_9 Depth=1
	v_bfrev_b32_e32 v42, 1
	s_mov_b32 s30, exec_lo
	v_cmpx_ne_u16_e32 0x80, v44
	s_cbranch_execz .LBB173_24
; %bb.19:                               ;   in Loop: Header=BB173_9 Depth=1
	v_and_b32_sdwa v45, v44, v39 dst_sel:DWORD dst_unused:UNUSED_PAD src0_sel:WORD_0 src1_sel:DWORD
	v_mov_b32_e32 v42, 0x7f800001
	s_mov_b32 s31, exec_lo
	v_cmpx_ne_u32_e32 0x7f, v45
	s_cbranch_execz .LBB173_23
; %bb.20:                               ;   in Loop: Header=BB173_9 Depth=1
	v_and_b32_sdwa v21, v44, v40 dst_sel:DWORD dst_unused:UNUSED_PAD src0_sel:WORD_0 src1_sel:DWORD
	v_lshrrev_b32_e32 v42, 3, v45
	s_mov_b32 s33, exec_lo
	v_cmpx_gt_u32_e32 8, v45
; %bb.21:                               ;   in Loop: Header=BB173_9 Depth=1
	v_ffbh_u32_e32 v42, v21
	v_min_u32_e32 v42, 32, v42
	v_subrev_nc_u32_e32 v45, 28, v42
	v_sub_nc_u32_e32 v42, 29, v42
	v_lshlrev_b64 v[45:46], v45, v[21:22]
	v_and_b32_e32 v21, 7, v45
; %bb.22:                               ;   in Loop: Header=BB173_9 Depth=1
	s_or_b32 exec_lo, exec_lo, s33
	v_lshlrev_b32_e32 v44, 24, v44
	v_lshlrev_b32_e32 v21, 20, v21
	v_lshl_add_u32 v42, v42, 23, 0x3c000000
	v_and_b32_e32 v44, 0x80000000, v44
	v_or3_b32 v42, v21, v44, v42
.LBB173_23:                             ;   in Loop: Header=BB173_9 Depth=1
	s_or_b32 exec_lo, exec_lo, s31
.LBB173_24:                             ;   in Loop: Header=BB173_9 Depth=1
	s_or_b32 exec_lo, exec_lo, s30
.LBB173_25:                             ;   in Loop: Header=BB173_9 Depth=1
	s_or_b32 exec_lo, exec_lo, s3
	global_load_ubyte v46, v[27:28], off offset:8
	v_mov_b32_e32 v44, 0
	v_mov_b32_e32 v45, 0
	s_mov_b32 s3, exec_lo
	s_waitcnt vmcnt(0)
	v_cmpx_ne_u16_e32 0, v46
	s_cbranch_execz .LBB173_33
; %bb.26:                               ;   in Loop: Header=BB173_9 Depth=1
	v_bfrev_b32_e32 v45, 1
	s_mov_b32 s30, exec_lo
	v_cmpx_ne_u16_e32 0x80, v46
	s_cbranch_execz .LBB173_32
; %bb.27:                               ;   in Loop: Header=BB173_9 Depth=1
	v_and_b32_sdwa v47, v46, v39 dst_sel:DWORD dst_unused:UNUSED_PAD src0_sel:WORD_0 src1_sel:DWORD
	v_mov_b32_e32 v45, 0x7f800001
	s_mov_b32 s31, exec_lo
	v_cmpx_ne_u32_e32 0x7f, v47
	s_cbranch_execz .LBB173_31
; %bb.28:                               ;   in Loop: Header=BB173_9 Depth=1
	v_and_b32_sdwa v21, v46, v40 dst_sel:DWORD dst_unused:UNUSED_PAD src0_sel:WORD_0 src1_sel:DWORD
	v_lshrrev_b32_e32 v45, 3, v47
	s_mov_b32 s33, exec_lo
	v_cmpx_gt_u32_e32 8, v47
; %bb.29:                               ;   in Loop: Header=BB173_9 Depth=1
	v_ffbh_u32_e32 v45, v21
	v_min_u32_e32 v45, 32, v45
	v_subrev_nc_u32_e32 v47, 28, v45
	v_sub_nc_u32_e32 v45, 29, v45
	v_lshlrev_b64 v[47:48], v47, v[21:22]
	v_and_b32_e32 v21, 7, v47
; %bb.30:                               ;   in Loop: Header=BB173_9 Depth=1
	s_or_b32 exec_lo, exec_lo, s33
	v_lshlrev_b32_e32 v46, 24, v46
	v_lshlrev_b32_e32 v21, 20, v21
	v_lshl_add_u32 v45, v45, 23, 0x3c000000
	v_and_b32_e32 v46, 0x80000000, v46
	v_or3_b32 v45, v21, v46, v45
.LBB173_31:                             ;   in Loop: Header=BB173_9 Depth=1
	s_or_b32 exec_lo, exec_lo, s31
.LBB173_32:                             ;   in Loop: Header=BB173_9 Depth=1
	s_or_b32 exec_lo, exec_lo, s30
.LBB173_33:                             ;   in Loop: Header=BB173_9 Depth=1
	s_or_b32 exec_lo, exec_lo, s3
	global_load_ubyte v46, v[27:28], off offset:12
	s_mov_b32 s3, exec_lo
	s_waitcnt vmcnt(0)
	v_cmpx_ne_u16_e32 0, v46
	s_cbranch_execz .LBB173_41
; %bb.34:                               ;   in Loop: Header=BB173_9 Depth=1
	v_bfrev_b32_e32 v44, 1
	s_mov_b32 s30, exec_lo
	v_cmpx_ne_u16_e32 0x80, v46
	s_cbranch_execz .LBB173_40
; %bb.35:                               ;   in Loop: Header=BB173_9 Depth=1
	v_and_b32_sdwa v47, v46, v39 dst_sel:DWORD dst_unused:UNUSED_PAD src0_sel:WORD_0 src1_sel:DWORD
	v_mov_b32_e32 v44, 0x7f800001
	s_mov_b32 s31, exec_lo
	v_cmpx_ne_u32_e32 0x7f, v47
	s_cbranch_execz .LBB173_39
; %bb.36:                               ;   in Loop: Header=BB173_9 Depth=1
	v_and_b32_sdwa v21, v46, v40 dst_sel:DWORD dst_unused:UNUSED_PAD src0_sel:WORD_0 src1_sel:DWORD
	v_lshrrev_b32_e32 v44, 3, v47
	s_mov_b32 s33, exec_lo
	v_cmpx_gt_u32_e32 8, v47
; %bb.37:                               ;   in Loop: Header=BB173_9 Depth=1
	v_ffbh_u32_e32 v44, v21
	v_min_u32_e32 v44, 32, v44
	v_subrev_nc_u32_e32 v47, 28, v44
	v_sub_nc_u32_e32 v44, 29, v44
	v_lshlrev_b64 v[47:48], v47, v[21:22]
	v_and_b32_e32 v21, 7, v47
; %bb.38:                               ;   in Loop: Header=BB173_9 Depth=1
	s_or_b32 exec_lo, exec_lo, s33
	v_lshlrev_b32_e32 v46, 24, v46
	v_lshlrev_b32_e32 v21, 20, v21
	v_lshl_add_u32 v44, v44, 23, 0x3c000000
	v_and_b32_e32 v46, 0x80000000, v46
	v_or3_b32 v44, v21, v46, v44
.LBB173_39:                             ;   in Loop: Header=BB173_9 Depth=1
	s_or_b32 exec_lo, exec_lo, s31
.LBB173_40:                             ;   in Loop: Header=BB173_9 Depth=1
	s_or_b32 exec_lo, exec_lo, s30
.LBB173_41:                             ;   in Loop: Header=BB173_9 Depth=1
	s_or_b32 exec_lo, exec_lo, s3
	global_load_ubyte v48, v[27:28], off offset:128
	v_mov_b32_e32 v46, 0
	v_mov_b32_e32 v47, 0
	s_mov_b32 s3, exec_lo
	s_waitcnt vmcnt(0)
	v_cmpx_ne_u16_e32 0, v48
	s_cbranch_execz .LBB173_49
; %bb.42:                               ;   in Loop: Header=BB173_9 Depth=1
	v_bfrev_b32_e32 v47, 1
	s_mov_b32 s30, exec_lo
	v_cmpx_ne_u16_e32 0x80, v48
	s_cbranch_execz .LBB173_48
; %bb.43:                               ;   in Loop: Header=BB173_9 Depth=1
	v_and_b32_sdwa v49, v48, v39 dst_sel:DWORD dst_unused:UNUSED_PAD src0_sel:WORD_0 src1_sel:DWORD
	v_mov_b32_e32 v47, 0x7f800001
	s_mov_b32 s31, exec_lo
	v_cmpx_ne_u32_e32 0x7f, v49
	s_cbranch_execz .LBB173_47
; %bb.44:                               ;   in Loop: Header=BB173_9 Depth=1
	v_and_b32_sdwa v21, v48, v40 dst_sel:DWORD dst_unused:UNUSED_PAD src0_sel:WORD_0 src1_sel:DWORD
	v_lshrrev_b32_e32 v47, 3, v49
	s_mov_b32 s33, exec_lo
	v_cmpx_gt_u32_e32 8, v49
; %bb.45:                               ;   in Loop: Header=BB173_9 Depth=1
	v_ffbh_u32_e32 v47, v21
	v_min_u32_e32 v47, 32, v47
	v_subrev_nc_u32_e32 v49, 28, v47
	v_sub_nc_u32_e32 v47, 29, v47
	v_lshlrev_b64 v[49:50], v49, v[21:22]
	v_and_b32_e32 v21, 7, v49
; %bb.46:                               ;   in Loop: Header=BB173_9 Depth=1
	s_or_b32 exec_lo, exec_lo, s33
	v_lshlrev_b32_e32 v48, 24, v48
	v_lshlrev_b32_e32 v21, 20, v21
	v_lshl_add_u32 v47, v47, 23, 0x3c000000
	v_and_b32_e32 v48, 0x80000000, v48
	v_or3_b32 v47, v21, v48, v47
.LBB173_47:                             ;   in Loop: Header=BB173_9 Depth=1
	s_or_b32 exec_lo, exec_lo, s31
.LBB173_48:                             ;   in Loop: Header=BB173_9 Depth=1
	s_or_b32 exec_lo, exec_lo, s30
.LBB173_49:                             ;   in Loop: Header=BB173_9 Depth=1
	s_or_b32 exec_lo, exec_lo, s3
	global_load_ubyte v48, v[27:28], off offset:132
	s_mov_b32 s3, exec_lo
	s_waitcnt vmcnt(0)
	v_cmpx_ne_u16_e32 0, v48
	s_cbranch_execz .LBB173_57
; %bb.50:                               ;   in Loop: Header=BB173_9 Depth=1
	v_bfrev_b32_e32 v46, 1
	s_mov_b32 s30, exec_lo
	v_cmpx_ne_u16_e32 0x80, v48
	s_cbranch_execz .LBB173_56
; %bb.51:                               ;   in Loop: Header=BB173_9 Depth=1
	v_and_b32_sdwa v49, v48, v39 dst_sel:DWORD dst_unused:UNUSED_PAD src0_sel:WORD_0 src1_sel:DWORD
	v_mov_b32_e32 v46, 0x7f800001
	s_mov_b32 s31, exec_lo
	v_cmpx_ne_u32_e32 0x7f, v49
	s_cbranch_execz .LBB173_55
; %bb.52:                               ;   in Loop: Header=BB173_9 Depth=1
	v_and_b32_sdwa v21, v48, v40 dst_sel:DWORD dst_unused:UNUSED_PAD src0_sel:WORD_0 src1_sel:DWORD
	v_lshrrev_b32_e32 v46, 3, v49
	s_mov_b32 s33, exec_lo
	v_cmpx_gt_u32_e32 8, v49
; %bb.53:                               ;   in Loop: Header=BB173_9 Depth=1
	v_ffbh_u32_e32 v46, v21
	v_min_u32_e32 v46, 32, v46
	v_subrev_nc_u32_e32 v49, 28, v46
	v_sub_nc_u32_e32 v46, 29, v46
	v_lshlrev_b64 v[49:50], v49, v[21:22]
	v_and_b32_e32 v21, 7, v49
; %bb.54:                               ;   in Loop: Header=BB173_9 Depth=1
	s_or_b32 exec_lo, exec_lo, s33
	v_lshlrev_b32_e32 v48, 24, v48
	v_lshlrev_b32_e32 v21, 20, v21
	v_lshl_add_u32 v46, v46, 23, 0x3c000000
	v_and_b32_e32 v48, 0x80000000, v48
	v_or3_b32 v46, v21, v48, v46
.LBB173_55:                             ;   in Loop: Header=BB173_9 Depth=1
	s_or_b32 exec_lo, exec_lo, s31
.LBB173_56:                             ;   in Loop: Header=BB173_9 Depth=1
	s_or_b32 exec_lo, exec_lo, s30
.LBB173_57:                             ;   in Loop: Header=BB173_9 Depth=1
	s_or_b32 exec_lo, exec_lo, s3
	global_load_ubyte v50, v[27:28], off offset:136
	v_mov_b32_e32 v48, 0
	v_mov_b32_e32 v49, 0
	s_mov_b32 s3, exec_lo
	s_waitcnt vmcnt(0)
	v_cmpx_ne_u16_e32 0, v50
	s_cbranch_execz .LBB173_65
; %bb.58:                               ;   in Loop: Header=BB173_9 Depth=1
	v_bfrev_b32_e32 v49, 1
	s_mov_b32 s30, exec_lo
	v_cmpx_ne_u16_e32 0x80, v50
	s_cbranch_execz .LBB173_64
; %bb.59:                               ;   in Loop: Header=BB173_9 Depth=1
	v_and_b32_sdwa v51, v50, v39 dst_sel:DWORD dst_unused:UNUSED_PAD src0_sel:WORD_0 src1_sel:DWORD
	v_mov_b32_e32 v49, 0x7f800001
	s_mov_b32 s31, exec_lo
	v_cmpx_ne_u32_e32 0x7f, v51
	s_cbranch_execz .LBB173_63
; %bb.60:                               ;   in Loop: Header=BB173_9 Depth=1
	v_and_b32_sdwa v21, v50, v40 dst_sel:DWORD dst_unused:UNUSED_PAD src0_sel:WORD_0 src1_sel:DWORD
	v_lshrrev_b32_e32 v49, 3, v51
	s_mov_b32 s33, exec_lo
	v_cmpx_gt_u32_e32 8, v51
; %bb.61:                               ;   in Loop: Header=BB173_9 Depth=1
	v_ffbh_u32_e32 v49, v21
	v_min_u32_e32 v49, 32, v49
	v_subrev_nc_u32_e32 v51, 28, v49
	v_sub_nc_u32_e32 v49, 29, v49
	v_lshlrev_b64 v[51:52], v51, v[21:22]
	v_and_b32_e32 v21, 7, v51
; %bb.62:                               ;   in Loop: Header=BB173_9 Depth=1
	s_or_b32 exec_lo, exec_lo, s33
	v_lshlrev_b32_e32 v50, 24, v50
	v_lshlrev_b32_e32 v21, 20, v21
	v_lshl_add_u32 v49, v49, 23, 0x3c000000
	v_and_b32_e32 v50, 0x80000000, v50
	v_or3_b32 v49, v21, v50, v49
.LBB173_63:                             ;   in Loop: Header=BB173_9 Depth=1
	s_or_b32 exec_lo, exec_lo, s31
.LBB173_64:                             ;   in Loop: Header=BB173_9 Depth=1
	s_or_b32 exec_lo, exec_lo, s30
.LBB173_65:                             ;   in Loop: Header=BB173_9 Depth=1
	s_or_b32 exec_lo, exec_lo, s3
	global_load_ubyte v50, v[27:28], off offset:140
	s_mov_b32 s3, exec_lo
	s_waitcnt vmcnt(0)
	v_cmpx_ne_u16_e32 0, v50
	s_cbranch_execz .LBB173_73
; %bb.66:                               ;   in Loop: Header=BB173_9 Depth=1
	v_bfrev_b32_e32 v48, 1
	s_mov_b32 s30, exec_lo
	v_cmpx_ne_u16_e32 0x80, v50
	s_cbranch_execz .LBB173_72
; %bb.67:                               ;   in Loop: Header=BB173_9 Depth=1
	v_and_b32_sdwa v51, v50, v39 dst_sel:DWORD dst_unused:UNUSED_PAD src0_sel:WORD_0 src1_sel:DWORD
	v_mov_b32_e32 v48, 0x7f800001
	s_mov_b32 s31, exec_lo
	v_cmpx_ne_u32_e32 0x7f, v51
	s_cbranch_execz .LBB173_71
; %bb.68:                               ;   in Loop: Header=BB173_9 Depth=1
	v_and_b32_sdwa v21, v50, v40 dst_sel:DWORD dst_unused:UNUSED_PAD src0_sel:WORD_0 src1_sel:DWORD
	v_lshrrev_b32_e32 v48, 3, v51
	s_mov_b32 s33, exec_lo
	v_cmpx_gt_u32_e32 8, v51
; %bb.69:                               ;   in Loop: Header=BB173_9 Depth=1
	v_ffbh_u32_e32 v48, v21
	v_min_u32_e32 v48, 32, v48
	v_subrev_nc_u32_e32 v51, 28, v48
	v_sub_nc_u32_e32 v48, 29, v48
	v_lshlrev_b64 v[51:52], v51, v[21:22]
	v_and_b32_e32 v21, 7, v51
; %bb.70:                               ;   in Loop: Header=BB173_9 Depth=1
	s_or_b32 exec_lo, exec_lo, s33
	v_lshlrev_b32_e32 v50, 24, v50
	v_lshlrev_b32_e32 v21, 20, v21
	v_lshl_add_u32 v48, v48, 23, 0x3c000000
	v_and_b32_e32 v50, 0x80000000, v50
	v_or3_b32 v48, v21, v50, v48
.LBB173_71:                             ;   in Loop: Header=BB173_9 Depth=1
	s_or_b32 exec_lo, exec_lo, s31
.LBB173_72:                             ;   in Loop: Header=BB173_9 Depth=1
	s_or_b32 exec_lo, exec_lo, s30
.LBB173_73:                             ;   in Loop: Header=BB173_9 Depth=1
	s_or_b32 exec_lo, exec_lo, s3
	global_load_ubyte v52, v[27:28], off offset:256
	v_mov_b32_e32 v50, 0
	v_mov_b32_e32 v51, 0
	s_mov_b32 s3, exec_lo
	s_waitcnt vmcnt(0)
	v_cmpx_ne_u16_e32 0, v52
	s_cbranch_execz .LBB173_81
; %bb.74:                               ;   in Loop: Header=BB173_9 Depth=1
	v_bfrev_b32_e32 v51, 1
	s_mov_b32 s30, exec_lo
	v_cmpx_ne_u16_e32 0x80, v52
	s_cbranch_execz .LBB173_80
; %bb.75:                               ;   in Loop: Header=BB173_9 Depth=1
	v_and_b32_sdwa v53, v52, v39 dst_sel:DWORD dst_unused:UNUSED_PAD src0_sel:WORD_0 src1_sel:DWORD
	v_mov_b32_e32 v51, 0x7f800001
	s_mov_b32 s31, exec_lo
	v_cmpx_ne_u32_e32 0x7f, v53
	s_cbranch_execz .LBB173_79
; %bb.76:                               ;   in Loop: Header=BB173_9 Depth=1
	v_and_b32_sdwa v21, v52, v40 dst_sel:DWORD dst_unused:UNUSED_PAD src0_sel:WORD_0 src1_sel:DWORD
	v_lshrrev_b32_e32 v51, 3, v53
	s_mov_b32 s33, exec_lo
	v_cmpx_gt_u32_e32 8, v53
; %bb.77:                               ;   in Loop: Header=BB173_9 Depth=1
	v_ffbh_u32_e32 v51, v21
	v_min_u32_e32 v51, 32, v51
	v_subrev_nc_u32_e32 v53, 28, v51
	v_sub_nc_u32_e32 v51, 29, v51
	v_lshlrev_b64 v[53:54], v53, v[21:22]
	v_and_b32_e32 v21, 7, v53
; %bb.78:                               ;   in Loop: Header=BB173_9 Depth=1
	s_or_b32 exec_lo, exec_lo, s33
	v_lshlrev_b32_e32 v52, 24, v52
	v_lshlrev_b32_e32 v21, 20, v21
	v_lshl_add_u32 v51, v51, 23, 0x3c000000
	v_and_b32_e32 v52, 0x80000000, v52
	v_or3_b32 v51, v21, v52, v51
.LBB173_79:                             ;   in Loop: Header=BB173_9 Depth=1
	s_or_b32 exec_lo, exec_lo, s31
.LBB173_80:                             ;   in Loop: Header=BB173_9 Depth=1
	s_or_b32 exec_lo, exec_lo, s30
.LBB173_81:                             ;   in Loop: Header=BB173_9 Depth=1
	s_or_b32 exec_lo, exec_lo, s3
	global_load_ubyte v52, v[27:28], off offset:260
	s_mov_b32 s3, exec_lo
	s_waitcnt vmcnt(0)
	v_cmpx_ne_u16_e32 0, v52
	s_cbranch_execz .LBB173_89
; %bb.82:                               ;   in Loop: Header=BB173_9 Depth=1
	v_bfrev_b32_e32 v50, 1
	s_mov_b32 s30, exec_lo
	v_cmpx_ne_u16_e32 0x80, v52
	s_cbranch_execz .LBB173_88
; %bb.83:                               ;   in Loop: Header=BB173_9 Depth=1
	v_and_b32_sdwa v53, v52, v39 dst_sel:DWORD dst_unused:UNUSED_PAD src0_sel:WORD_0 src1_sel:DWORD
	v_mov_b32_e32 v50, 0x7f800001
	s_mov_b32 s31, exec_lo
	v_cmpx_ne_u32_e32 0x7f, v53
	s_cbranch_execz .LBB173_87
; %bb.84:                               ;   in Loop: Header=BB173_9 Depth=1
	v_and_b32_sdwa v21, v52, v40 dst_sel:DWORD dst_unused:UNUSED_PAD src0_sel:WORD_0 src1_sel:DWORD
	v_lshrrev_b32_e32 v50, 3, v53
	s_mov_b32 s33, exec_lo
	v_cmpx_gt_u32_e32 8, v53
; %bb.85:                               ;   in Loop: Header=BB173_9 Depth=1
	v_ffbh_u32_e32 v50, v21
	v_min_u32_e32 v50, 32, v50
	v_subrev_nc_u32_e32 v53, 28, v50
	v_sub_nc_u32_e32 v50, 29, v50
	v_lshlrev_b64 v[53:54], v53, v[21:22]
	v_and_b32_e32 v21, 7, v53
; %bb.86:                               ;   in Loop: Header=BB173_9 Depth=1
	s_or_b32 exec_lo, exec_lo, s33
	v_lshlrev_b32_e32 v52, 24, v52
	v_lshlrev_b32_e32 v21, 20, v21
	v_lshl_add_u32 v50, v50, 23, 0x3c000000
	v_and_b32_e32 v52, 0x80000000, v52
	v_or3_b32 v50, v21, v52, v50
.LBB173_87:                             ;   in Loop: Header=BB173_9 Depth=1
	s_or_b32 exec_lo, exec_lo, s31
.LBB173_88:                             ;   in Loop: Header=BB173_9 Depth=1
	s_or_b32 exec_lo, exec_lo, s30
.LBB173_89:                             ;   in Loop: Header=BB173_9 Depth=1
	s_or_b32 exec_lo, exec_lo, s3
	global_load_ubyte v54, v[27:28], off offset:264
	v_mov_b32_e32 v52, 0
	v_mov_b32_e32 v53, 0
	s_mov_b32 s3, exec_lo
	s_waitcnt vmcnt(0)
	v_cmpx_ne_u16_e32 0, v54
	s_cbranch_execz .LBB173_97
; %bb.90:                               ;   in Loop: Header=BB173_9 Depth=1
	v_bfrev_b32_e32 v53, 1
	s_mov_b32 s30, exec_lo
	v_cmpx_ne_u16_e32 0x80, v54
	s_cbranch_execz .LBB173_96
; %bb.91:                               ;   in Loop: Header=BB173_9 Depth=1
	v_and_b32_sdwa v55, v54, v39 dst_sel:DWORD dst_unused:UNUSED_PAD src0_sel:WORD_0 src1_sel:DWORD
	v_mov_b32_e32 v53, 0x7f800001
	s_mov_b32 s31, exec_lo
	v_cmpx_ne_u32_e32 0x7f, v55
	s_cbranch_execz .LBB173_95
; %bb.92:                               ;   in Loop: Header=BB173_9 Depth=1
	v_and_b32_sdwa v21, v54, v40 dst_sel:DWORD dst_unused:UNUSED_PAD src0_sel:WORD_0 src1_sel:DWORD
	v_lshrrev_b32_e32 v53, 3, v55
	s_mov_b32 s33, exec_lo
	v_cmpx_gt_u32_e32 8, v55
; %bb.93:                               ;   in Loop: Header=BB173_9 Depth=1
	v_ffbh_u32_e32 v53, v21
	v_min_u32_e32 v53, 32, v53
	v_subrev_nc_u32_e32 v55, 28, v53
	v_sub_nc_u32_e32 v53, 29, v53
	v_lshlrev_b64 v[55:56], v55, v[21:22]
	v_and_b32_e32 v21, 7, v55
; %bb.94:                               ;   in Loop: Header=BB173_9 Depth=1
	s_or_b32 exec_lo, exec_lo, s33
	v_lshlrev_b32_e32 v54, 24, v54
	v_lshlrev_b32_e32 v21, 20, v21
	v_lshl_add_u32 v53, v53, 23, 0x3c000000
	v_and_b32_e32 v54, 0x80000000, v54
	v_or3_b32 v53, v21, v54, v53
.LBB173_95:                             ;   in Loop: Header=BB173_9 Depth=1
	s_or_b32 exec_lo, exec_lo, s31
.LBB173_96:                             ;   in Loop: Header=BB173_9 Depth=1
	s_or_b32 exec_lo, exec_lo, s30
.LBB173_97:                             ;   in Loop: Header=BB173_9 Depth=1
	s_or_b32 exec_lo, exec_lo, s3
	global_load_ubyte v54, v[27:28], off offset:268
	s_mov_b32 s3, exec_lo
	s_waitcnt vmcnt(0)
	v_cmpx_ne_u16_e32 0, v54
	s_cbranch_execz .LBB173_105
; %bb.98:                               ;   in Loop: Header=BB173_9 Depth=1
	v_bfrev_b32_e32 v52, 1
	s_mov_b32 s30, exec_lo
	v_cmpx_ne_u16_e32 0x80, v54
	s_cbranch_execz .LBB173_104
; %bb.99:                               ;   in Loop: Header=BB173_9 Depth=1
	v_and_b32_sdwa v55, v54, v39 dst_sel:DWORD dst_unused:UNUSED_PAD src0_sel:WORD_0 src1_sel:DWORD
	v_mov_b32_e32 v52, 0x7f800001
	s_mov_b32 s31, exec_lo
	v_cmpx_ne_u32_e32 0x7f, v55
	s_cbranch_execz .LBB173_103
; %bb.100:                              ;   in Loop: Header=BB173_9 Depth=1
	v_and_b32_sdwa v21, v54, v40 dst_sel:DWORD dst_unused:UNUSED_PAD src0_sel:WORD_0 src1_sel:DWORD
	v_lshrrev_b32_e32 v52, 3, v55
	s_mov_b32 s33, exec_lo
	v_cmpx_gt_u32_e32 8, v55
; %bb.101:                              ;   in Loop: Header=BB173_9 Depth=1
	v_ffbh_u32_e32 v52, v21
	v_min_u32_e32 v52, 32, v52
	v_subrev_nc_u32_e32 v55, 28, v52
	v_sub_nc_u32_e32 v52, 29, v52
	v_lshlrev_b64 v[55:56], v55, v[21:22]
	v_and_b32_e32 v21, 7, v55
; %bb.102:                              ;   in Loop: Header=BB173_9 Depth=1
	s_or_b32 exec_lo, exec_lo, s33
	v_lshlrev_b32_e32 v54, 24, v54
	v_lshlrev_b32_e32 v21, 20, v21
	v_lshl_add_u32 v52, v52, 23, 0x3c000000
	v_and_b32_e32 v54, 0x80000000, v54
	v_or3_b32 v52, v21, v54, v52
.LBB173_103:                            ;   in Loop: Header=BB173_9 Depth=1
	s_or_b32 exec_lo, exec_lo, s31
.LBB173_104:                            ;   in Loop: Header=BB173_9 Depth=1
	s_or_b32 exec_lo, exec_lo, s30
.LBB173_105:                            ;   in Loop: Header=BB173_9 Depth=1
	s_or_b32 exec_lo, exec_lo, s3
	global_load_ubyte v56, v[27:28], off offset:384
	v_mov_b32_e32 v54, 0
	v_mov_b32_e32 v55, 0
	s_mov_b32 s3, exec_lo
	s_waitcnt vmcnt(0)
	v_cmpx_ne_u16_e32 0, v56
	s_cbranch_execz .LBB173_113
; %bb.106:                              ;   in Loop: Header=BB173_9 Depth=1
	v_bfrev_b32_e32 v55, 1
	s_mov_b32 s30, exec_lo
	v_cmpx_ne_u16_e32 0x80, v56
	s_cbranch_execz .LBB173_112
; %bb.107:                              ;   in Loop: Header=BB173_9 Depth=1
	v_and_b32_sdwa v57, v56, v39 dst_sel:DWORD dst_unused:UNUSED_PAD src0_sel:WORD_0 src1_sel:DWORD
	v_mov_b32_e32 v55, 0x7f800001
	s_mov_b32 s31, exec_lo
	v_cmpx_ne_u32_e32 0x7f, v57
	s_cbranch_execz .LBB173_111
; %bb.108:                              ;   in Loop: Header=BB173_9 Depth=1
	v_and_b32_sdwa v21, v56, v40 dst_sel:DWORD dst_unused:UNUSED_PAD src0_sel:WORD_0 src1_sel:DWORD
	v_lshrrev_b32_e32 v55, 3, v57
	s_mov_b32 s33, exec_lo
	v_cmpx_gt_u32_e32 8, v57
; %bb.109:                              ;   in Loop: Header=BB173_9 Depth=1
	v_ffbh_u32_e32 v55, v21
	v_min_u32_e32 v55, 32, v55
	v_subrev_nc_u32_e32 v57, 28, v55
	v_sub_nc_u32_e32 v55, 29, v55
	v_lshlrev_b64 v[57:58], v57, v[21:22]
	v_and_b32_e32 v21, 7, v57
; %bb.110:                              ;   in Loop: Header=BB173_9 Depth=1
	s_or_b32 exec_lo, exec_lo, s33
	v_lshlrev_b32_e32 v56, 24, v56
	v_lshlrev_b32_e32 v21, 20, v21
	v_lshl_add_u32 v55, v55, 23, 0x3c000000
	v_and_b32_e32 v56, 0x80000000, v56
	v_or3_b32 v55, v21, v56, v55
.LBB173_111:                            ;   in Loop: Header=BB173_9 Depth=1
	s_or_b32 exec_lo, exec_lo, s31
.LBB173_112:                            ;   in Loop: Header=BB173_9 Depth=1
	s_or_b32 exec_lo, exec_lo, s30
.LBB173_113:                            ;   in Loop: Header=BB173_9 Depth=1
	s_or_b32 exec_lo, exec_lo, s3
	global_load_ubyte v56, v[27:28], off offset:388
	s_mov_b32 s3, exec_lo
	s_waitcnt vmcnt(0)
	v_cmpx_ne_u16_e32 0, v56
	s_cbranch_execz .LBB173_121
; %bb.114:                              ;   in Loop: Header=BB173_9 Depth=1
	v_bfrev_b32_e32 v54, 1
	s_mov_b32 s30, exec_lo
	v_cmpx_ne_u16_e32 0x80, v56
	s_cbranch_execz .LBB173_120
; %bb.115:                              ;   in Loop: Header=BB173_9 Depth=1
	v_and_b32_sdwa v57, v56, v39 dst_sel:DWORD dst_unused:UNUSED_PAD src0_sel:WORD_0 src1_sel:DWORD
	v_mov_b32_e32 v54, 0x7f800001
	s_mov_b32 s31, exec_lo
	v_cmpx_ne_u32_e32 0x7f, v57
	s_cbranch_execz .LBB173_119
; %bb.116:                              ;   in Loop: Header=BB173_9 Depth=1
	v_and_b32_sdwa v21, v56, v40 dst_sel:DWORD dst_unused:UNUSED_PAD src0_sel:WORD_0 src1_sel:DWORD
	v_lshrrev_b32_e32 v54, 3, v57
	s_mov_b32 s33, exec_lo
	v_cmpx_gt_u32_e32 8, v57
; %bb.117:                              ;   in Loop: Header=BB173_9 Depth=1
	v_ffbh_u32_e32 v54, v21
	v_min_u32_e32 v54, 32, v54
	v_subrev_nc_u32_e32 v57, 28, v54
	v_sub_nc_u32_e32 v54, 29, v54
	v_lshlrev_b64 v[57:58], v57, v[21:22]
	v_and_b32_e32 v21, 7, v57
; %bb.118:                              ;   in Loop: Header=BB173_9 Depth=1
	s_or_b32 exec_lo, exec_lo, s33
	v_lshlrev_b32_e32 v56, 24, v56
	v_lshlrev_b32_e32 v21, 20, v21
	v_lshl_add_u32 v54, v54, 23, 0x3c000000
	v_and_b32_e32 v56, 0x80000000, v56
	v_or3_b32 v54, v21, v56, v54
.LBB173_119:                            ;   in Loop: Header=BB173_9 Depth=1
	s_or_b32 exec_lo, exec_lo, s31
.LBB173_120:                            ;   in Loop: Header=BB173_9 Depth=1
	s_or_b32 exec_lo, exec_lo, s30
.LBB173_121:                            ;   in Loop: Header=BB173_9 Depth=1
	s_or_b32 exec_lo, exec_lo, s3
	global_load_ubyte v58, v[27:28], off offset:392
	v_mov_b32_e32 v56, 0
	v_mov_b32_e32 v57, 0
	s_mov_b32 s3, exec_lo
	s_waitcnt vmcnt(0)
	v_cmpx_ne_u16_e32 0, v58
	s_cbranch_execz .LBB173_129
; %bb.122:                              ;   in Loop: Header=BB173_9 Depth=1
	v_bfrev_b32_e32 v57, 1
	s_mov_b32 s30, exec_lo
	v_cmpx_ne_u16_e32 0x80, v58
	s_cbranch_execz .LBB173_128
; %bb.123:                              ;   in Loop: Header=BB173_9 Depth=1
	v_and_b32_sdwa v59, v58, v39 dst_sel:DWORD dst_unused:UNUSED_PAD src0_sel:WORD_0 src1_sel:DWORD
	v_mov_b32_e32 v57, 0x7f800001
	s_mov_b32 s31, exec_lo
	v_cmpx_ne_u32_e32 0x7f, v59
	s_cbranch_execz .LBB173_127
; %bb.124:                              ;   in Loop: Header=BB173_9 Depth=1
	v_and_b32_sdwa v21, v58, v40 dst_sel:DWORD dst_unused:UNUSED_PAD src0_sel:WORD_0 src1_sel:DWORD
	v_lshrrev_b32_e32 v57, 3, v59
	s_mov_b32 s33, exec_lo
	v_cmpx_gt_u32_e32 8, v59
; %bb.125:                              ;   in Loop: Header=BB173_9 Depth=1
	v_ffbh_u32_e32 v57, v21
	v_min_u32_e32 v57, 32, v57
	v_subrev_nc_u32_e32 v59, 28, v57
	v_sub_nc_u32_e32 v57, 29, v57
	v_lshlrev_b64 v[59:60], v59, v[21:22]
	v_and_b32_e32 v21, 7, v59
; %bb.126:                              ;   in Loop: Header=BB173_9 Depth=1
	s_or_b32 exec_lo, exec_lo, s33
	v_lshlrev_b32_e32 v58, 24, v58
	v_lshlrev_b32_e32 v21, 20, v21
	v_lshl_add_u32 v57, v57, 23, 0x3c000000
	v_and_b32_e32 v58, 0x80000000, v58
	v_or3_b32 v57, v21, v58, v57
.LBB173_127:                            ;   in Loop: Header=BB173_9 Depth=1
	s_or_b32 exec_lo, exec_lo, s31
.LBB173_128:                            ;   in Loop: Header=BB173_9 Depth=1
	s_or_b32 exec_lo, exec_lo, s30
.LBB173_129:                            ;   in Loop: Header=BB173_9 Depth=1
	s_or_b32 exec_lo, exec_lo, s3
	global_load_ubyte v58, v[27:28], off offset:396
	s_mov_b32 s3, exec_lo
	s_waitcnt vmcnt(0)
	v_cmpx_ne_u16_e32 0, v58
	s_cbranch_execz .LBB173_137
; %bb.130:                              ;   in Loop: Header=BB173_9 Depth=1
	v_bfrev_b32_e32 v56, 1
	s_mov_b32 s30, exec_lo
	v_cmpx_ne_u16_e32 0x80, v58
	s_cbranch_execz .LBB173_136
; %bb.131:                              ;   in Loop: Header=BB173_9 Depth=1
	v_and_b32_sdwa v59, v58, v39 dst_sel:DWORD dst_unused:UNUSED_PAD src0_sel:WORD_0 src1_sel:DWORD
	v_mov_b32_e32 v56, 0x7f800001
	s_mov_b32 s31, exec_lo
	v_cmpx_ne_u32_e32 0x7f, v59
	s_cbranch_execz .LBB173_135
; %bb.132:                              ;   in Loop: Header=BB173_9 Depth=1
	v_and_b32_sdwa v21, v58, v40 dst_sel:DWORD dst_unused:UNUSED_PAD src0_sel:WORD_0 src1_sel:DWORD
	v_lshrrev_b32_e32 v56, 3, v59
	s_mov_b32 s33, exec_lo
	v_cmpx_gt_u32_e32 8, v59
; %bb.133:                              ;   in Loop: Header=BB173_9 Depth=1
	v_ffbh_u32_e32 v56, v21
	v_min_u32_e32 v56, 32, v56
	v_subrev_nc_u32_e32 v59, 28, v56
	v_sub_nc_u32_e32 v56, 29, v56
	v_lshlrev_b64 v[59:60], v59, v[21:22]
	v_and_b32_e32 v21, 7, v59
; %bb.134:                              ;   in Loop: Header=BB173_9 Depth=1
	s_or_b32 exec_lo, exec_lo, s33
	v_lshlrev_b32_e32 v58, 24, v58
	v_lshlrev_b32_e32 v21, 20, v21
	v_lshl_add_u32 v56, v56, 23, 0x3c000000
	v_and_b32_e32 v58, 0x80000000, v58
	v_or3_b32 v56, v21, v58, v56
.LBB173_135:                            ;   in Loop: Header=BB173_9 Depth=1
	s_or_b32 exec_lo, exec_lo, s31
.LBB173_136:                            ;   in Loop: Header=BB173_9 Depth=1
	s_or_b32 exec_lo, exec_lo, s30
.LBB173_137:                            ;   in Loop: Header=BB173_9 Depth=1
	s_or_b32 exec_lo, exec_lo, s3
	global_load_ubyte v60, v[27:28], off offset:512
	v_mov_b32_e32 v58, 0
	v_mov_b32_e32 v59, 0
	s_mov_b32 s3, exec_lo
	s_waitcnt vmcnt(0)
	v_cmpx_ne_u16_e32 0, v60
	s_cbranch_execz .LBB173_145
; %bb.138:                              ;   in Loop: Header=BB173_9 Depth=1
	v_bfrev_b32_e32 v59, 1
	s_mov_b32 s30, exec_lo
	v_cmpx_ne_u16_e32 0x80, v60
	s_cbranch_execz .LBB173_144
; %bb.139:                              ;   in Loop: Header=BB173_9 Depth=1
	v_and_b32_sdwa v61, v60, v39 dst_sel:DWORD dst_unused:UNUSED_PAD src0_sel:WORD_0 src1_sel:DWORD
	v_mov_b32_e32 v59, 0x7f800001
	s_mov_b32 s31, exec_lo
	v_cmpx_ne_u32_e32 0x7f, v61
	s_cbranch_execz .LBB173_143
; %bb.140:                              ;   in Loop: Header=BB173_9 Depth=1
	v_and_b32_sdwa v21, v60, v40 dst_sel:DWORD dst_unused:UNUSED_PAD src0_sel:WORD_0 src1_sel:DWORD
	v_lshrrev_b32_e32 v59, 3, v61
	s_mov_b32 s33, exec_lo
	v_cmpx_gt_u32_e32 8, v61
; %bb.141:                              ;   in Loop: Header=BB173_9 Depth=1
	v_ffbh_u32_e32 v59, v21
	v_min_u32_e32 v59, 32, v59
	v_subrev_nc_u32_e32 v61, 28, v59
	v_sub_nc_u32_e32 v59, 29, v59
	v_lshlrev_b64 v[61:62], v61, v[21:22]
	v_and_b32_e32 v21, 7, v61
; %bb.142:                              ;   in Loop: Header=BB173_9 Depth=1
	s_or_b32 exec_lo, exec_lo, s33
	v_lshlrev_b32_e32 v60, 24, v60
	v_lshlrev_b32_e32 v21, 20, v21
	v_lshl_add_u32 v59, v59, 23, 0x3c000000
	v_and_b32_e32 v60, 0x80000000, v60
	v_or3_b32 v59, v21, v60, v59
.LBB173_143:                            ;   in Loop: Header=BB173_9 Depth=1
	s_or_b32 exec_lo, exec_lo, s31
.LBB173_144:                            ;   in Loop: Header=BB173_9 Depth=1
	s_or_b32 exec_lo, exec_lo, s30
.LBB173_145:                            ;   in Loop: Header=BB173_9 Depth=1
	s_or_b32 exec_lo, exec_lo, s3
	global_load_ubyte v60, v[27:28], off offset:516
	s_mov_b32 s3, exec_lo
	s_waitcnt vmcnt(0)
	v_cmpx_ne_u16_e32 0, v60
	s_cbranch_execz .LBB173_153
; %bb.146:                              ;   in Loop: Header=BB173_9 Depth=1
	v_bfrev_b32_e32 v58, 1
	s_mov_b32 s30, exec_lo
	v_cmpx_ne_u16_e32 0x80, v60
	s_cbranch_execz .LBB173_152
; %bb.147:                              ;   in Loop: Header=BB173_9 Depth=1
	v_and_b32_sdwa v61, v60, v39 dst_sel:DWORD dst_unused:UNUSED_PAD src0_sel:WORD_0 src1_sel:DWORD
	v_mov_b32_e32 v58, 0x7f800001
	s_mov_b32 s31, exec_lo
	v_cmpx_ne_u32_e32 0x7f, v61
	s_cbranch_execz .LBB173_151
; %bb.148:                              ;   in Loop: Header=BB173_9 Depth=1
	v_and_b32_sdwa v21, v60, v40 dst_sel:DWORD dst_unused:UNUSED_PAD src0_sel:WORD_0 src1_sel:DWORD
	v_lshrrev_b32_e32 v58, 3, v61
	s_mov_b32 s33, exec_lo
	v_cmpx_gt_u32_e32 8, v61
; %bb.149:                              ;   in Loop: Header=BB173_9 Depth=1
	v_ffbh_u32_e32 v58, v21
	v_min_u32_e32 v58, 32, v58
	v_subrev_nc_u32_e32 v61, 28, v58
	v_sub_nc_u32_e32 v58, 29, v58
	v_lshlrev_b64 v[61:62], v61, v[21:22]
	v_and_b32_e32 v21, 7, v61
; %bb.150:                              ;   in Loop: Header=BB173_9 Depth=1
	s_or_b32 exec_lo, exec_lo, s33
	v_lshlrev_b32_e32 v60, 24, v60
	v_lshlrev_b32_e32 v21, 20, v21
	v_lshl_add_u32 v58, v58, 23, 0x3c000000
	v_and_b32_e32 v60, 0x80000000, v60
	v_or3_b32 v58, v21, v60, v58
.LBB173_151:                            ;   in Loop: Header=BB173_9 Depth=1
	s_or_b32 exec_lo, exec_lo, s31
.LBB173_152:                            ;   in Loop: Header=BB173_9 Depth=1
	s_or_b32 exec_lo, exec_lo, s30
.LBB173_153:                            ;   in Loop: Header=BB173_9 Depth=1
	s_or_b32 exec_lo, exec_lo, s3
	global_load_ubyte v62, v[27:28], off offset:520
	v_mov_b32_e32 v60, 0
	v_mov_b32_e32 v61, 0
	s_mov_b32 s3, exec_lo
	s_waitcnt vmcnt(0)
	v_cmpx_ne_u16_e32 0, v62
	s_cbranch_execz .LBB173_161
; %bb.154:                              ;   in Loop: Header=BB173_9 Depth=1
	v_bfrev_b32_e32 v61, 1
	s_mov_b32 s30, exec_lo
	v_cmpx_ne_u16_e32 0x80, v62
	s_cbranch_execz .LBB173_160
; %bb.155:                              ;   in Loop: Header=BB173_9 Depth=1
	v_and_b32_sdwa v63, v62, v39 dst_sel:DWORD dst_unused:UNUSED_PAD src0_sel:WORD_0 src1_sel:DWORD
	v_mov_b32_e32 v61, 0x7f800001
	s_mov_b32 s31, exec_lo
	v_cmpx_ne_u32_e32 0x7f, v63
	s_cbranch_execz .LBB173_159
; %bb.156:                              ;   in Loop: Header=BB173_9 Depth=1
	v_and_b32_sdwa v21, v62, v40 dst_sel:DWORD dst_unused:UNUSED_PAD src0_sel:WORD_0 src1_sel:DWORD
	v_lshrrev_b32_e32 v61, 3, v63
	s_mov_b32 s33, exec_lo
	v_cmpx_gt_u32_e32 8, v63
; %bb.157:                              ;   in Loop: Header=BB173_9 Depth=1
	v_ffbh_u32_e32 v61, v21
	v_min_u32_e32 v61, 32, v61
	v_subrev_nc_u32_e32 v63, 28, v61
	v_sub_nc_u32_e32 v61, 29, v61
	v_lshlrev_b64 v[63:64], v63, v[21:22]
	v_and_b32_e32 v21, 7, v63
; %bb.158:                              ;   in Loop: Header=BB173_9 Depth=1
	s_or_b32 exec_lo, exec_lo, s33
	v_lshlrev_b32_e32 v62, 24, v62
	v_lshlrev_b32_e32 v21, 20, v21
	v_lshl_add_u32 v61, v61, 23, 0x3c000000
	v_and_b32_e32 v62, 0x80000000, v62
	v_or3_b32 v61, v21, v62, v61
.LBB173_159:                            ;   in Loop: Header=BB173_9 Depth=1
	s_or_b32 exec_lo, exec_lo, s31
.LBB173_160:                            ;   in Loop: Header=BB173_9 Depth=1
	s_or_b32 exec_lo, exec_lo, s30
.LBB173_161:                            ;   in Loop: Header=BB173_9 Depth=1
	s_or_b32 exec_lo, exec_lo, s3
	global_load_ubyte v27, v[27:28], off offset:524
	s_mov_b32 s3, exec_lo
	s_waitcnt vmcnt(0)
	v_cmpx_ne_u16_e32 0, v27
	s_cbranch_execz .LBB173_169
; %bb.162:                              ;   in Loop: Header=BB173_9 Depth=1
	v_bfrev_b32_e32 v60, 1
	s_mov_b32 s30, exec_lo
	v_cmpx_ne_u16_e32 0x80, v27
	s_cbranch_execz .LBB173_168
; %bb.163:                              ;   in Loop: Header=BB173_9 Depth=1
	v_and_b32_sdwa v62, v27, v39 dst_sel:DWORD dst_unused:UNUSED_PAD src0_sel:WORD_0 src1_sel:DWORD
	v_mov_b32_e32 v60, 0x7f800001
	s_mov_b32 s31, exec_lo
	v_cmpx_ne_u32_e32 0x7f, v62
	s_cbranch_execz .LBB173_167
; %bb.164:                              ;   in Loop: Header=BB173_9 Depth=1
	v_and_b32_sdwa v21, v27, v40 dst_sel:DWORD dst_unused:UNUSED_PAD src0_sel:WORD_0 src1_sel:DWORD
	v_lshrrev_b32_e32 v28, 3, v62
	s_mov_b32 s33, exec_lo
	v_cmpx_gt_u32_e32 8, v62
; %bb.165:                              ;   in Loop: Header=BB173_9 Depth=1
	v_ffbh_u32_e32 v28, v21
	v_min_u32_e32 v28, 32, v28
	v_subrev_nc_u32_e32 v60, 28, v28
	v_sub_nc_u32_e32 v28, 29, v28
	v_lshlrev_b64 v[62:63], v60, v[21:22]
	v_and_b32_e32 v21, 7, v62
; %bb.166:                              ;   in Loop: Header=BB173_9 Depth=1
	s_or_b32 exec_lo, exec_lo, s33
	v_lshlrev_b32_e32 v27, 24, v27
	v_lshlrev_b32_e32 v21, 20, v21
	v_lshl_add_u32 v28, v28, 23, 0x3c000000
	v_and_b32_e32 v27, 0x80000000, v27
	v_or3_b32 v60, v21, v27, v28
.LBB173_167:                            ;   in Loop: Header=BB173_9 Depth=1
	s_or_b32 exec_lo, exec_lo, s31
.LBB173_168:                            ;   in Loop: Header=BB173_9 Depth=1
	s_or_b32 exec_lo, exec_lo, s30
.LBB173_169:                            ;   in Loop: Header=BB173_9 Depth=1
	s_or_b32 exec_lo, exec_lo, s3
	s_waitcnt lgkmcnt(0)
	v_mul_f32_e32 v21, s4, v42
	v_mul_f32_e32 v27, s4, v43
	;; [unrolled: 1-line block ×4, first 2 shown]
	v_fmac_f32_e32 v21, v1, v27
	v_mul_f32_e32 v27, s4, v44
	v_fmac_f32_e32 v21, v3, v28
	v_mul_f32_e32 v28, s4, v47
	;; [unrolled: 2-line block ×17, first 2 shown]
	v_fmac_f32_e32 v21, v19, v28
	v_fmac_f32_e32 v21, v20, v27
	ds_bpermute_b32 v27, v35, v21
	s_waitcnt lgkmcnt(0)
	v_add_f32_e32 v21, v21, v27
	ds_bpermute_b32 v27, v36, v21
	s_and_saveexec_b32 s3, vcc_lo
	s_cbranch_execz .LBB173_8
; %bb.170:                              ;   in Loop: Header=BB173_9 Depth=1
	v_add_nc_u32_e32 v28, s5, v37
	s_waitcnt lgkmcnt(0)
	v_add_f32_e32 v21, v21, v27
	v_cmp_gt_i32_e64 s2, s11, v37
	v_cvt_f32_i32_e32 v28, v28
	v_mul_f32_e32 v28, s28, v28
	v_cndmask_b32_e64 v27, 0, v28, s1
	v_max_f32_e32 v28, v34, v34
	v_fmac_f32_e32 v27, s29, v21
	v_max_f32_e32 v21, v28, v27
	v_cndmask_b32_e64 v27, 0, v27, s2
	v_cndmask_b32_e64 v34, v34, v21, s2
	ds_write_b32 v38, v27
	s_branch .LBB173_8
.LBB173_171:
	s_or_b32 exec_lo, exec_lo, s16
.LBB173_172:
	s_or_b32 exec_lo, exec_lo, s15
	v_xor_b32_e32 v1, 16, v32
	v_xor_b32_e32 v3, 8, v32
	v_max_f32_e32 v4, v34, v34
	v_xor_b32_e32 v5, 4, v32
	v_and_b32_e32 v25, 31, v0
	v_cmp_lt_i32_e32 vcc_lo, v1, v33
	v_cndmask_b32_e32 v1, v32, v1, vcc_lo
	v_cmp_lt_i32_e32 vcc_lo, v3, v33
	v_lshlrev_b32_e32 v2, 2, v1
	v_cndmask_b32_e32 v3, v32, v3, vcc_lo
	v_cmp_lt_i32_e32 vcc_lo, v5, v33
	ds_bpermute_b32 v1, v2, v34
	v_lshlrev_b32_e32 v3, 2, v3
	v_cndmask_b32_e32 v5, v32, v5, vcc_lo
	v_cmp_eq_u32_e32 vcc_lo, 0, v25
	v_lshlrev_b32_e32 v6, 2, v5
	s_waitcnt lgkmcnt(0)
	v_max_f32_e32 v1, v1, v1
	v_max_f32_e32 v1, v4, v1
	ds_bpermute_b32 v4, v3, v1
	s_waitcnt lgkmcnt(0)
	v_max_f32_e32 v4, v4, v4
	v_max_f32_e32 v1, v1, v4
	v_lshlrev_b32_e32 v4, 2, v29
	ds_bpermute_b32 v5, v6, v1
	s_and_saveexec_b32 s1, vcc_lo
	s_cbranch_execz .LBB173_174
; %bb.173:
	s_waitcnt lgkmcnt(0)
	v_max_f32_e32 v5, v5, v5
	v_max_f32_e32 v1, v1, v1
	;; [unrolled: 1-line block ×3, first 2 shown]
	ds_write_b32 v4, v1 offset:320
.LBB173_174:
	s_or_b32 exec_lo, exec_lo, s1
	v_cmp_gt_u32_e64 s1, 4, v25
	v_mov_b32_e32 v1, 0xff7fffff
	s_waitcnt lgkmcnt(0)
	v_lshlrev_b32_e32 v5, 2, v25
	s_barrier
	buffer_gl0_inv
	s_and_saveexec_b32 s2, s1
; %bb.175:
	ds_read_b32 v1, v5 offset:320
; %bb.176:
	s_or_b32 exec_lo, exec_lo, s2
	v_xor_b32_e32 v7, 2, v32
	v_xor_b32_e32 v9, 1, v32
	v_cmp_lt_i32_e64 s2, v7, v33
	v_cndmask_b32_e64 v7, v32, v7, s2
	v_cmp_lt_i32_e64 s2, v9, v33
	v_lshlrev_b32_e32 v7, 2, v7
	v_cndmask_b32_e64 v9, v32, v9, s2
	s_lshl_b32 s2, s12, 3
	s_min_i32 s4, s2, s11
	s_waitcnt lgkmcnt(0)
	ds_bpermute_b32 v8, v7, v1
	v_max_f32_e32 v1, v1, v1
	v_lshlrev_b32_e32 v26, 2, v9
	v_cmp_gt_i32_e64 s2, s4, v0
	s_waitcnt lgkmcnt(0)
	v_max_f32_e32 v8, v8, v8
	v_max_f32_e32 v1, v1, v8
	ds_bpermute_b32 v8, v26, v1
	s_waitcnt lgkmcnt(0)
	v_max_f32_e32 v8, v8, v8
	v_max_f32_e32 v1, v1, v8
	v_lshlrev_b32_e32 v8, 2, v22
	ds_bpermute_b32 v9, v8, v1
	v_mov_b32_e32 v8, 0
	v_lshl_add_u32 v1, v0, 2, 0x160
	s_and_saveexec_b32 s5, s2
	s_cbranch_execz .LBB173_180
; %bb.177:
	v_lshl_add_u32 v10, v0, 2, 0x160
	v_mov_b32_e32 v8, 0
	v_mov_b32_e32 v11, v0
	s_mov_b32 s15, 0
	.p2align	6
.LBB173_178:                            ; =>This Inner Loop Header: Depth=1
	ds_read_b32 v12, v10
	v_add_nc_u32_e32 v11, 0x80, v11
	v_cmp_le_i32_e64 s3, s4, v11
	s_or_b32 s15, s3, s15
	s_waitcnt lgkmcnt(0)
	v_sub_f32_e32 v12, v12, v9
	v_mul_f32_e32 v12, 0x3fb8aa3b, v12
	v_exp_f32_e32 v12, v12
	ds_write_b32 v10, v12
	v_add_f32_e32 v8, v8, v12
	v_add_nc_u32_e32 v10, 0x200, v10
	s_andn2_b32 exec_lo, exec_lo, s15
	s_cbranch_execnz .LBB173_178
; %bb.179:
	s_or_b32 exec_lo, exec_lo, s15
.LBB173_180:
	s_or_b32 exec_lo, exec_lo, s5
	ds_bpermute_b32 v2, v2, v8
	s_waitcnt lgkmcnt(0)
	v_add_f32_e32 v2, v8, v2
	ds_bpermute_b32 v3, v3, v2
	s_waitcnt lgkmcnt(0)
	v_add_f32_e32 v2, v2, v3
	;; [unrolled: 3-line block ×5, first 2 shown]
	s_and_saveexec_b32 s3, vcc_lo
; %bb.181:
	ds_write_b32 v4, v2 offset:336
; %bb.182:
	s_or_b32 exec_lo, exec_lo, s3
	s_waitcnt lgkmcnt(0)
	s_barrier
	buffer_gl0_inv
	s_and_saveexec_b32 s3, s1
; %bb.183:
	ds_read_b32 v2, v5 offset:336
; %bb.184:
	s_or_b32 exec_lo, exec_lo, s3
	s_waitcnt lgkmcnt(0)
	ds_bpermute_b32 v3, v7, v2
	v_lshlrev_b32_e32 v4, 2, v32
	s_waitcnt lgkmcnt(0)
	v_add_f32_e32 v2, v2, v3
	ds_bpermute_b32 v3, v26, v2
	s_waitcnt lgkmcnt(0)
	v_add_f32_e32 v2, v2, v3
	v_and_b32_e32 v3, 0xffffff80, v4
	ds_bpermute_b32 v2, v3, v2
	s_and_saveexec_b32 s1, s2
	s_cbranch_execz .LBB173_187
; %bb.185:
	s_waitcnt lgkmcnt(0)
	v_add_f32_e32 v2, 0x358637bd, v2
	s_mov_b32 s2, 0
	v_div_scale_f32 v3, null, v2, v2, 1.0
	v_div_scale_f32 v6, vcc_lo, 1.0, v2, 1.0
	v_rcp_f32_e32 v4, v3
	v_fma_f32 v5, -v3, v4, 1.0
	v_fmac_f32_e32 v4, v5, v4
	v_mul_f32_e32 v5, v6, v4
	v_fma_f32 v7, -v3, v5, v6
	v_fmac_f32_e32 v5, v7, v4
	v_fma_f32 v3, -v3, v5, v6
	v_div_fmas_f32 v3, v3, v4, v5
	v_div_fixup_f32 v2, v3, v2, 1.0
	v_mov_b32_e32 v3, v0
.LBB173_186:                            ; =>This Inner Loop Header: Depth=1
	ds_read_b32 v4, v1
	v_add_nc_u32_e32 v3, 0x80, v3
	v_cmp_le_i32_e32 vcc_lo, s4, v3
	s_or_b32 s2, vcc_lo, s2
	s_waitcnt lgkmcnt(0)
	v_mul_f32_e32 v4, v2, v4
	ds_write_b32 v1, v4
	v_add_nc_u32_e32 v1, 0x200, v1
	s_andn2_b32 exec_lo, exec_lo, s2
	s_cbranch_execnz .LBB173_186
.LBB173_187:
	s_or_b32 exec_lo, exec_lo, s1
	v_mov_b32_e32 v33, 0
	v_and_b32_e32 v27, 1, v0
	v_mov_b32_e32 v35, 0
	v_mov_b32_e32 v34, 0
	;; [unrolled: 1-line block ×4, first 2 shown]
	s_waitcnt lgkmcnt(0)
	s_barrier
	buffer_gl0_inv
	s_and_saveexec_b32 s1, s0
	s_cbranch_execz .LBB173_361
; %bb.188:
	s_load_dword s2, s[18:19], 0x0
	v_and_b32_e32 v2, 0x7c, v30
	v_and_b32_e32 v1, 4, v30
	v_lshlrev_b32_e32 v4, 3, v29
	s_ashr_i32 s0, s14, 31
	s_add_u32 s4, s26, s14
	v_lshlrev_b32_e32 v3, 4, v27
	s_addc_u32 s0, s27, s0
	v_add_co_u32 v7, s4, s4, v2
	v_or3_b32 v30, v4, v1, 3
	v_and_b32_e32 v1, 0x7c, v31
	v_add_co_ci_u32_e64 v8, null, s0, 0, s4
	s_lshl_b64 s[4:5], s[24:25], 2
	s_add_i32 s3, s12, -1
	v_lshl_or_b32 v3, v29, 5, v3
	s_add_u32 s0, s22, s4
	s_addc_u32 s4, s23, s5
	v_add_co_u32 v9, s0, s0, v1
	v_mov_b32_e32 v6, 0
	v_add_nc_u32_e32 v31, 0x160, v3
	v_add_co_ci_u32_e64 v10, null, s4, 0, s0
	v_mov_b32_e32 v36, 0x80
	v_bfrev_b32_e32 v12, 1
	v_mov_b32_e32 v37, 0xffff
	v_mov_b32_e32 v14, 0x7f800001
	;; [unrolled: 1-line block ×11, first 2 shown]
	s_mov_b32 s4, s13
	s_waitcnt lgkmcnt(0)
	s_mov_b32 s13, s2
	s_mov_b32 s5, 0
	s_branch .LBB173_190
.LBB173_189:                            ;   in Loop: Header=BB173_190 Depth=1
	s_or_b32 exec_lo, exec_lo, s0
	s_waitcnt lgkmcnt(0)
	v_mul_f32_e32 v16, v1, v58
	v_mul_f32_e32 v17, v1, v56
	;; [unrolled: 1-line block ×5, first 2 shown]
	v_fmac_f32_e32 v16, v2, v57
	v_fmac_f32_e32 v17, v2, v55
	;; [unrolled: 1-line block ×10, first 2 shown]
	v_add_nc_u32_e32 v41, 4, v41
	v_fmac_f32_e32 v16, v4, v23
	v_fmac_f32_e32 v17, v4, v53
	;; [unrolled: 1-line block ×5, first 2 shown]
	v_cmp_le_i32_e32 vcc_lo, s12, v41
	v_add_co_u32 v9, s0, v9, 16
	v_add_f32_e32 v32, v32, v16
	v_add_f32_e32 v34, v34, v17
	v_add_f32_e32 v35, v35, v18
	v_add_f32_e32 v33, v33, v19
	v_add_f32_e32 v28, v28, v1
	v_add_nc_u32_e32 v30, 32, v30
	v_add_nc_u32_e32 v31, 0x80, v31
	v_add_co_ci_u32_e64 v10, null, 0, v10, s0
	s_or_b32 s5, vcc_lo, s5
	s_andn2_b32 exec_lo, exec_lo, s5
	s_cbranch_execz .LBB173_360
.LBB173_190:                            ; =>This Inner Loop Header: Depth=1
	global_load_dword v1, v[9:10], off
	v_mov_b32_e32 v19, 0
	v_mov_b32_e32 v17, 0
	;; [unrolled: 1-line block ×4, first 2 shown]
	s_waitcnt vmcnt(0)
	v_mad_i64_i32 v[15:16], null, v1, s4, v[7:8]
	ds_read_b128 v[1:4], v31
	global_load_dword v42, v[15:16], off
	s_waitcnt vmcnt(0)
	v_cmp_ne_u16_sdwa s14, v42, v6 src0_sel:BYTE_0 src1_sel:DWORD
	s_and_saveexec_b32 s0, s14
	s_cbranch_execz .LBB173_198
; %bb.191:                              ;   in Loop: Header=BB173_190 Depth=1
	v_bfrev_b32_e32 v17, 1
	v_mov_b32_e32 v18, 0
	v_cmp_ne_u16_sdwa s15, v42, v36 src0_sel:BYTE_0 src1_sel:DWORD
	s_and_saveexec_b32 s14, s15
	s_cbranch_execz .LBB173_197
; %bb.192:                              ;   in Loop: Header=BB173_190 Depth=1
	v_mov_b32_e32 v17, 0x7f800001
	v_and_b32_e32 v13, 0x7f, v42
	v_mov_b32_e32 v18, 0
	s_mov_b32 s15, exec_lo
	v_cmpx_ne_u32_e32 0x7f, v13
	s_cbranch_execz .LBB173_196
; %bb.193:                              ;   in Loop: Header=BB173_190 Depth=1
	v_and_b32_e32 v5, 7, v42
	v_lshrrev_b32_e32 v11, 3, v13
	s_mov_b32 s16, exec_lo
	v_cmpx_gt_u32_e32 8, v13
; %bb.194:                              ;   in Loop: Header=BB173_190 Depth=1
	v_ffbh_u32_e32 v11, v5
	v_min_u32_e32 v11, 32, v11
	v_subrev_nc_u32_e32 v13, 28, v11
	v_sub_nc_u32_e32 v11, 29, v11
	v_lshlrev_b64 v[17:18], v13, v[5:6]
	v_and_b32_e32 v5, 7, v17
; %bb.195:                              ;   in Loop: Header=BB173_190 Depth=1
	s_or_b32 exec_lo, exec_lo, s16
	v_lshlrev_b32_e32 v13, 24, v42
	v_lshlrev_b32_e32 v5, 20, v5
	v_lshl_add_u32 v11, v11, 23, 0x3c000000
	v_and_b32_e32 v13, 0x80000000, v13
	v_or3_b32 v5, v5, v13, v11
	v_mov_b32_e32 v18, v6
	v_mov_b32_e32 v17, v5
.LBB173_196:                            ;   in Loop: Header=BB173_190 Depth=1
	s_or_b32 exec_lo, exec_lo, s15
.LBB173_197:                            ;   in Loop: Header=BB173_190 Depth=1
	s_or_b32 exec_lo, exec_lo, s14
.LBB173_198:                            ;   in Loop: Header=BB173_190 Depth=1
	s_or_b32 exec_lo, exec_lo, s0
	v_cmp_ne_u16_sdwa s14, v42, v6 src0_sel:BYTE_1 src1_sel:DWORD
	s_and_saveexec_b32 s0, s14
	s_cbranch_execz .LBB173_206
; %bb.199:                              ;   in Loop: Header=BB173_190 Depth=1
	v_mov_b32_e32 v11, v6
	v_mov_b32_e32 v20, v12
	v_cmp_ne_u16_sdwa s15, v42, v36 src0_sel:BYTE_1 src1_sel:DWORD
	v_mov_b32_e32 v19, v11
	s_and_saveexec_b32 s14, s15
	s_cbranch_execz .LBB173_205
; %bb.200:                              ;   in Loop: Header=BB173_190 Depth=1
	v_and_b32_sdwa v5, v37, v42 dst_sel:DWORD dst_unused:UNUSED_PAD src0_sel:DWORD src1_sel:BYTE_1
	v_mov_b32_e32 v13, v6
	v_mov_b32_e32 v20, v14
	s_mov_b32 s15, exec_lo
	v_and_b32_e32 v21, 0x7f, v5
	v_mov_b32_e32 v19, v13
	v_cmpx_ne_u32_e32 0x7f, v21
	s_cbranch_execz .LBB173_204
; %bb.201:                              ;   in Loop: Header=BB173_190 Depth=1
	v_and_b32_e32 v5, 7, v5
	v_lshrrev_b32_e32 v11, 3, v21
	s_mov_b32 s16, exec_lo
	v_cmpx_gt_u32_e32 8, v21
; %bb.202:                              ;   in Loop: Header=BB173_190 Depth=1
	v_ffbh_u32_e32 v11, v5
	v_min_u32_e32 v11, 32, v11
	v_subrev_nc_u32_e32 v13, 28, v11
	v_sub_nc_u32_e32 v11, 29, v11
	v_lshlrev_b64 v[19:20], v13, v[5:6]
	v_and_b32_e32 v5, 7, v19
; %bb.203:                              ;   in Loop: Header=BB173_190 Depth=1
	s_or_b32 exec_lo, exec_lo, s16
	v_lshlrev_b32_e32 v13, 16, v42
	v_lshlrev_b32_e32 v5, 20, v5
	v_lshl_add_u32 v11, v11, 23, 0x3c000000
	v_mov_b32_e32 v19, v6
	v_and_b32_e32 v13, 0x80000000, v13
	v_or3_b32 v20, v5, v13, v11
.LBB173_204:                            ;   in Loop: Header=BB173_190 Depth=1
	s_or_b32 exec_lo, exec_lo, s15
.LBB173_205:                            ;   in Loop: Header=BB173_190 Depth=1
	s_or_b32 exec_lo, exec_lo, s14
.LBB173_206:                            ;   in Loop: Header=BB173_190 Depth=1
	s_or_b32 exec_lo, exec_lo, s0
	v_mov_b32_e32 v23, 0
	v_mov_b32_e32 v21, 0
	v_and_b32_sdwa v5, v42, v38 dst_sel:DWORD dst_unused:UNUSED_PAD src0_sel:WORD_1 src1_sel:DWORD
	v_mov_b32_e32 v24, 0
	v_mov_b32_e32 v22, 0
	s_mov_b32 s0, exec_lo
	v_cmpx_ne_u16_e32 0, v5
	s_cbranch_execz .LBB173_214
; %bb.207:                              ;   in Loop: Header=BB173_190 Depth=1
	v_bfrev_b32_e32 v21, 1
	v_mov_b32_e32 v22, 0
	s_mov_b32 s14, exec_lo
	v_cmpx_ne_u16_e32 0x80, v5
	s_cbranch_execz .LBB173_213
; %bb.208:                              ;   in Loop: Header=BB173_190 Depth=1
	v_mov_b32_e32 v21, 0x7f800001
	v_bfe_u32 v13, v42, 16, 7
	v_mov_b32_e32 v22, 0
	s_mov_b32 s15, exec_lo
	v_cmpx_ne_u32_e32 0x7f, v13
	s_cbranch_execz .LBB173_212
; %bb.209:                              ;   in Loop: Header=BB173_190 Depth=1
	v_and_b32_sdwa v5, v42, v39 dst_sel:DWORD dst_unused:UNUSED_PAD src0_sel:WORD_1 src1_sel:DWORD
	v_lshrrev_b32_e32 v11, 3, v13
	s_mov_b32 s16, exec_lo
	v_cmpx_gt_u32_e32 8, v13
; %bb.210:                              ;   in Loop: Header=BB173_190 Depth=1
	v_ffbh_u32_e32 v11, v5
	v_min_u32_e32 v11, 32, v11
	v_subrev_nc_u32_e32 v13, 28, v11
	v_sub_nc_u32_e32 v11, 29, v11
	v_lshlrev_b64 v[21:22], v13, v[5:6]
	v_and_b32_e32 v5, 7, v21
; %bb.211:                              ;   in Loop: Header=BB173_190 Depth=1
	s_or_b32 exec_lo, exec_lo, s16
	v_lshlrev_b32_sdwa v13, v40, v42 dst_sel:DWORD dst_unused:UNUSED_PAD src0_sel:DWORD src1_sel:WORD_1
	v_lshlrev_b32_e32 v5, 20, v5
	v_lshl_add_u32 v11, v11, 23, 0x3c000000
	v_and_b32_e32 v13, 0x80000000, v13
	v_or3_b32 v5, v5, v13, v11
	v_mov_b32_e32 v22, v6
	v_mov_b32_e32 v21, v5
.LBB173_212:                            ;   in Loop: Header=BB173_190 Depth=1
	s_or_b32 exec_lo, exec_lo, s15
.LBB173_213:                            ;   in Loop: Header=BB173_190 Depth=1
	s_or_b32 exec_lo, exec_lo, s14
.LBB173_214:                            ;   in Loop: Header=BB173_190 Depth=1
	s_or_b32 exec_lo, exec_lo, s0
	s_mov_b32 s0, exec_lo
	v_cmpx_lt_u32_e32 0xffffff, v42
	s_cbranch_execz .LBB173_222
; %bb.215:                              ;   in Loop: Header=BB173_190 Depth=1
	v_mov_b32_e32 v11, v6
	v_mov_b32_e32 v24, v12
	v_cmp_ne_u32_sdwa s15, v42, v36 src0_sel:BYTE_3 src1_sel:DWORD
	v_mov_b32_e32 v23, v11
	s_and_saveexec_b32 s14, s15
	s_cbranch_execz .LBB173_221
; %bb.216:                              ;   in Loop: Header=BB173_190 Depth=1
	v_mov_b32_e32 v13, v6
	v_mov_b32_e32 v24, v14
	v_bfe_u32 v43, v42, 24, 7
	s_mov_b32 s15, exec_lo
	v_mov_b32_e32 v23, v13
	v_cmpx_ne_u32_e32 0x7f, v43
	s_cbranch_execz .LBB173_220
; %bb.217:                              ;   in Loop: Header=BB173_190 Depth=1
	v_and_b32_sdwa v5, v42, v39 dst_sel:DWORD dst_unused:UNUSED_PAD src0_sel:BYTE_3 src1_sel:DWORD
	v_lshrrev_b32_e32 v11, 3, v43
	s_mov_b32 s16, exec_lo
	v_cmpx_gt_u32_e32 8, v43
; %bb.218:                              ;   in Loop: Header=BB173_190 Depth=1
	v_ffbh_u32_e32 v11, v5
	v_min_u32_e32 v11, 32, v11
	v_subrev_nc_u32_e32 v13, 28, v11
	v_sub_nc_u32_e32 v11, 29, v11
	v_lshlrev_b64 v[23:24], v13, v[5:6]
	v_and_b32_e32 v5, 7, v23
; %bb.219:                              ;   in Loop: Header=BB173_190 Depth=1
	s_or_b32 exec_lo, exec_lo, s16
	v_lshlrev_b32_sdwa v13, v40, v42 dst_sel:DWORD dst_unused:UNUSED_PAD src0_sel:DWORD src1_sel:BYTE_3
	v_lshlrev_b32_e32 v5, 20, v5
	v_lshl_add_u32 v11, v11, 23, 0x3c000000
	v_mov_b32_e32 v23, v6
	v_and_b32_e32 v13, 0x80000000, v13
	v_or3_b32 v24, v5, v13, v11
.LBB173_220:                            ;   in Loop: Header=BB173_190 Depth=1
	s_or_b32 exec_lo, exec_lo, s15
.LBB173_221:                            ;   in Loop: Header=BB173_190 Depth=1
	s_or_b32 exec_lo, exec_lo, s14
.LBB173_222:                            ;   in Loop: Header=BB173_190 Depth=1
	s_or_b32 exec_lo, exec_lo, s0
	v_or_b32_e32 v5, v20, v18
	v_or_b32_e32 v11, v19, v17
	;; [unrolled: 1-line block ×4, first 2 shown]
	v_add_nc_u32_e32 v46, -3, v30
	v_cmp_eq_u32_e32 vcc_lo, s3, v41
	v_mul_f32_e32 v44, s13, v5
	v_mul_f32_e32 v45, s2, v11
	;; [unrolled: 1-line block ×4, first 2 shown]
	v_add_nc_u32_e32 v48, -2, v30
	v_add_nc_u32_e32 v47, -1, v30
	s_and_saveexec_b32 s14, vcc_lo
	s_cbranch_execz .LBB173_224
; %bb.223:                              ;   in Loop: Header=BB173_190 Depth=1
	v_cmp_gt_i32_e64 s0, s11, v46
	v_cndmask_b32_e64 v45, 0, v45, s0
	v_cmp_gt_i32_e64 s0, s11, v48
	v_cndmask_b32_e64 v44, 0, v44, s0
	;; [unrolled: 2-line block ×4, first 2 shown]
.LBB173_224:                            ;   in Loop: Header=BB173_190 Depth=1
	s_or_b32 exec_lo, exec_lo, s14
	global_load_dword v49, v[15:16], off offset:128
	v_mov_b32_e32 v19, 0
	v_mov_b32_e32 v17, 0
	;; [unrolled: 1-line block ×4, first 2 shown]
	s_waitcnt vmcnt(0)
	v_cmp_ne_u16_sdwa s0, v49, v6 src0_sel:BYTE_0 src1_sel:DWORD
	s_and_saveexec_b32 s14, s0
	s_cbranch_execz .LBB173_232
; %bb.225:                              ;   in Loop: Header=BB173_190 Depth=1
	v_bfrev_b32_e32 v17, 1
	v_mov_b32_e32 v18, 0
	v_cmp_ne_u16_sdwa s0, v49, v36 src0_sel:BYTE_0 src1_sel:DWORD
	s_and_saveexec_b32 s15, s0
	s_cbranch_execz .LBB173_231
; %bb.226:                              ;   in Loop: Header=BB173_190 Depth=1
	v_mov_b32_e32 v17, 0x7f800001
	v_and_b32_e32 v13, 0x7f, v49
	v_mov_b32_e32 v18, 0
	s_mov_b32 s16, exec_lo
	v_cmpx_ne_u32_e32 0x7f, v13
	s_cbranch_execz .LBB173_230
; %bb.227:                              ;   in Loop: Header=BB173_190 Depth=1
	v_and_b32_e32 v5, 7, v49
	v_lshrrev_b32_e32 v11, 3, v13
	s_mov_b32 s17, exec_lo
	v_cmpx_gt_u32_e32 8, v13
; %bb.228:                              ;   in Loop: Header=BB173_190 Depth=1
	v_ffbh_u32_e32 v11, v5
	v_min_u32_e32 v11, 32, v11
	v_subrev_nc_u32_e32 v13, 28, v11
	v_sub_nc_u32_e32 v11, 29, v11
	v_lshlrev_b64 v[17:18], v13, v[5:6]
	v_and_b32_e32 v5, 7, v17
; %bb.229:                              ;   in Loop: Header=BB173_190 Depth=1
	s_or_b32 exec_lo, exec_lo, s17
	v_lshlrev_b32_e32 v13, 24, v49
	v_lshlrev_b32_e32 v5, 20, v5
	v_lshl_add_u32 v11, v11, 23, 0x3c000000
	v_and_b32_e32 v13, 0x80000000, v13
	v_or3_b32 v5, v5, v13, v11
	v_mov_b32_e32 v18, v6
	v_mov_b32_e32 v17, v5
.LBB173_230:                            ;   in Loop: Header=BB173_190 Depth=1
	s_or_b32 exec_lo, exec_lo, s16
.LBB173_231:                            ;   in Loop: Header=BB173_190 Depth=1
	s_or_b32 exec_lo, exec_lo, s15
.LBB173_232:                            ;   in Loop: Header=BB173_190 Depth=1
	s_or_b32 exec_lo, exec_lo, s14
	v_cmp_ne_u16_sdwa s0, v49, v6 src0_sel:BYTE_1 src1_sel:DWORD
	s_and_saveexec_b32 s14, s0
	s_cbranch_execz .LBB173_240
; %bb.233:                              ;   in Loop: Header=BB173_190 Depth=1
	v_mov_b32_e32 v11, v6
	v_mov_b32_e32 v20, v12
	v_cmp_ne_u16_sdwa s0, v49, v36 src0_sel:BYTE_1 src1_sel:DWORD
	v_mov_b32_e32 v19, v11
	s_and_saveexec_b32 s15, s0
	s_cbranch_execz .LBB173_239
; %bb.234:                              ;   in Loop: Header=BB173_190 Depth=1
	v_and_b32_sdwa v5, v37, v49 dst_sel:DWORD dst_unused:UNUSED_PAD src0_sel:DWORD src1_sel:BYTE_1
	v_mov_b32_e32 v13, v6
	v_mov_b32_e32 v20, v14
	s_mov_b32 s16, exec_lo
	v_and_b32_e32 v21, 0x7f, v5
	v_mov_b32_e32 v19, v13
	v_cmpx_ne_u32_e32 0x7f, v21
	s_cbranch_execz .LBB173_238
; %bb.235:                              ;   in Loop: Header=BB173_190 Depth=1
	v_and_b32_e32 v5, 7, v5
	v_lshrrev_b32_e32 v11, 3, v21
	s_mov_b32 s17, exec_lo
	v_cmpx_gt_u32_e32 8, v21
; %bb.236:                              ;   in Loop: Header=BB173_190 Depth=1
	v_ffbh_u32_e32 v11, v5
	v_min_u32_e32 v11, 32, v11
	v_subrev_nc_u32_e32 v13, 28, v11
	v_sub_nc_u32_e32 v11, 29, v11
	v_lshlrev_b64 v[19:20], v13, v[5:6]
	v_and_b32_e32 v5, 7, v19
; %bb.237:                              ;   in Loop: Header=BB173_190 Depth=1
	s_or_b32 exec_lo, exec_lo, s17
	v_lshlrev_b32_e32 v13, 16, v49
	v_lshlrev_b32_e32 v5, 20, v5
	v_lshl_add_u32 v11, v11, 23, 0x3c000000
	v_mov_b32_e32 v19, v6
	v_and_b32_e32 v13, 0x80000000, v13
	v_or3_b32 v20, v5, v13, v11
.LBB173_238:                            ;   in Loop: Header=BB173_190 Depth=1
	s_or_b32 exec_lo, exec_lo, s16
.LBB173_239:                            ;   in Loop: Header=BB173_190 Depth=1
	s_or_b32 exec_lo, exec_lo, s15
.LBB173_240:                            ;   in Loop: Header=BB173_190 Depth=1
	s_or_b32 exec_lo, exec_lo, s14
	v_mov_b32_e32 v23, 0
	v_mov_b32_e32 v21, 0
	v_and_b32_sdwa v5, v49, v38 dst_sel:DWORD dst_unused:UNUSED_PAD src0_sel:WORD_1 src1_sel:DWORD
	v_mov_b32_e32 v24, 0
	v_mov_b32_e32 v22, 0
	s_mov_b32 s14, exec_lo
	v_cmpx_ne_u16_e32 0, v5
	s_cbranch_execz .LBB173_248
; %bb.241:                              ;   in Loop: Header=BB173_190 Depth=1
	v_bfrev_b32_e32 v21, 1
	v_mov_b32_e32 v22, 0
	s_mov_b32 s15, exec_lo
	v_cmpx_ne_u16_e32 0x80, v5
	s_cbranch_execz .LBB173_247
; %bb.242:                              ;   in Loop: Header=BB173_190 Depth=1
	v_mov_b32_e32 v21, 0x7f800001
	v_bfe_u32 v13, v49, 16, 7
	v_mov_b32_e32 v22, 0
	s_mov_b32 s16, exec_lo
	v_cmpx_ne_u32_e32 0x7f, v13
	s_cbranch_execz .LBB173_246
; %bb.243:                              ;   in Loop: Header=BB173_190 Depth=1
	v_and_b32_sdwa v5, v49, v39 dst_sel:DWORD dst_unused:UNUSED_PAD src0_sel:WORD_1 src1_sel:DWORD
	v_lshrrev_b32_e32 v11, 3, v13
	s_mov_b32 s17, exec_lo
	v_cmpx_gt_u32_e32 8, v13
; %bb.244:                              ;   in Loop: Header=BB173_190 Depth=1
	v_ffbh_u32_e32 v11, v5
	v_min_u32_e32 v11, 32, v11
	v_subrev_nc_u32_e32 v13, 28, v11
	v_sub_nc_u32_e32 v11, 29, v11
	v_lshlrev_b64 v[21:22], v13, v[5:6]
	v_and_b32_e32 v5, 7, v21
; %bb.245:                              ;   in Loop: Header=BB173_190 Depth=1
	s_or_b32 exec_lo, exec_lo, s17
	v_lshlrev_b32_sdwa v13, v40, v49 dst_sel:DWORD dst_unused:UNUSED_PAD src0_sel:DWORD src1_sel:WORD_1
	v_lshlrev_b32_e32 v5, 20, v5
	v_lshl_add_u32 v11, v11, 23, 0x3c000000
	v_and_b32_e32 v13, 0x80000000, v13
	v_or3_b32 v5, v5, v13, v11
	v_mov_b32_e32 v22, v6
	v_mov_b32_e32 v21, v5
.LBB173_246:                            ;   in Loop: Header=BB173_190 Depth=1
	s_or_b32 exec_lo, exec_lo, s16
.LBB173_247:                            ;   in Loop: Header=BB173_190 Depth=1
	s_or_b32 exec_lo, exec_lo, s15
.LBB173_248:                            ;   in Loop: Header=BB173_190 Depth=1
	s_or_b32 exec_lo, exec_lo, s14
	s_mov_b32 s14, exec_lo
	v_cmpx_lt_u32_e32 0xffffff, v49
	s_cbranch_execz .LBB173_256
; %bb.249:                              ;   in Loop: Header=BB173_190 Depth=1
	v_mov_b32_e32 v11, v6
	v_mov_b32_e32 v24, v12
	v_cmp_ne_u32_sdwa s0, v49, v36 src0_sel:BYTE_3 src1_sel:DWORD
	v_mov_b32_e32 v23, v11
	s_and_saveexec_b32 s15, s0
	s_cbranch_execz .LBB173_255
; %bb.250:                              ;   in Loop: Header=BB173_190 Depth=1
	v_mov_b32_e32 v13, v6
	v_mov_b32_e32 v24, v14
	v_bfe_u32 v50, v49, 24, 7
	s_mov_b32 s16, exec_lo
	v_mov_b32_e32 v23, v13
	v_cmpx_ne_u32_e32 0x7f, v50
	s_cbranch_execz .LBB173_254
; %bb.251:                              ;   in Loop: Header=BB173_190 Depth=1
	v_and_b32_sdwa v5, v49, v39 dst_sel:DWORD dst_unused:UNUSED_PAD src0_sel:BYTE_3 src1_sel:DWORD
	v_lshrrev_b32_e32 v11, 3, v50
	s_mov_b32 s17, exec_lo
	v_cmpx_gt_u32_e32 8, v50
; %bb.252:                              ;   in Loop: Header=BB173_190 Depth=1
	v_ffbh_u32_e32 v11, v5
	v_min_u32_e32 v11, 32, v11
	v_subrev_nc_u32_e32 v13, 28, v11
	v_sub_nc_u32_e32 v11, 29, v11
	v_lshlrev_b64 v[23:24], v13, v[5:6]
	v_and_b32_e32 v5, 7, v23
; %bb.253:                              ;   in Loop: Header=BB173_190 Depth=1
	s_or_b32 exec_lo, exec_lo, s17
	v_lshlrev_b32_sdwa v13, v40, v49 dst_sel:DWORD dst_unused:UNUSED_PAD src0_sel:DWORD src1_sel:BYTE_3
	v_lshlrev_b32_e32 v5, 20, v5
	v_lshl_add_u32 v11, v11, 23, 0x3c000000
	v_mov_b32_e32 v23, v6
	v_and_b32_e32 v13, 0x80000000, v13
	v_or3_b32 v24, v5, v13, v11
.LBB173_254:                            ;   in Loop: Header=BB173_190 Depth=1
	s_or_b32 exec_lo, exec_lo, s16
.LBB173_255:                            ;   in Loop: Header=BB173_190 Depth=1
	s_or_b32 exec_lo, exec_lo, s15
.LBB173_256:                            ;   in Loop: Header=BB173_190 Depth=1
	s_or_b32 exec_lo, exec_lo, s14
	v_or_b32_e32 v5, v20, v18
	v_or_b32_e32 v11, v19, v17
	;; [unrolled: 1-line block ×4, first 2 shown]
	v_mul_f32_e32 v51, s13, v5
	v_mul_f32_e32 v52, s2, v11
	v_mul_f32_e32 v50, s2, v13
	v_mul_f32_e32 v49, s13, v17
	s_and_saveexec_b32 s14, vcc_lo
	s_cbranch_execz .LBB173_258
; %bb.257:                              ;   in Loop: Header=BB173_190 Depth=1
	v_cmp_gt_i32_e64 s0, s11, v46
	v_cndmask_b32_e64 v52, 0, v52, s0
	v_cmp_gt_i32_e64 s0, s11, v48
	v_cndmask_b32_e64 v51, 0, v51, s0
	;; [unrolled: 2-line block ×4, first 2 shown]
.LBB173_258:                            ;   in Loop: Header=BB173_190 Depth=1
	s_or_b32 exec_lo, exec_lo, s14
	global_load_dword v53, v[15:16], off offset:256
	v_mov_b32_e32 v19, 0
	v_mov_b32_e32 v17, 0
	;; [unrolled: 1-line block ×4, first 2 shown]
	s_waitcnt vmcnt(0)
	v_cmp_ne_u16_sdwa s0, v53, v6 src0_sel:BYTE_0 src1_sel:DWORD
	s_and_saveexec_b32 s14, s0
	s_cbranch_execz .LBB173_266
; %bb.259:                              ;   in Loop: Header=BB173_190 Depth=1
	v_bfrev_b32_e32 v17, 1
	v_mov_b32_e32 v18, 0
	v_cmp_ne_u16_sdwa s0, v53, v36 src0_sel:BYTE_0 src1_sel:DWORD
	s_and_saveexec_b32 s15, s0
	s_cbranch_execz .LBB173_265
; %bb.260:                              ;   in Loop: Header=BB173_190 Depth=1
	v_mov_b32_e32 v17, 0x7f800001
	v_and_b32_e32 v13, 0x7f, v53
	v_mov_b32_e32 v18, 0
	s_mov_b32 s16, exec_lo
	v_cmpx_ne_u32_e32 0x7f, v13
	s_cbranch_execz .LBB173_264
; %bb.261:                              ;   in Loop: Header=BB173_190 Depth=1
	v_and_b32_e32 v5, 7, v53
	v_lshrrev_b32_e32 v11, 3, v13
	s_mov_b32 s17, exec_lo
	v_cmpx_gt_u32_e32 8, v13
; %bb.262:                              ;   in Loop: Header=BB173_190 Depth=1
	v_ffbh_u32_e32 v11, v5
	v_min_u32_e32 v11, 32, v11
	v_subrev_nc_u32_e32 v13, 28, v11
	v_sub_nc_u32_e32 v11, 29, v11
	v_lshlrev_b64 v[17:18], v13, v[5:6]
	v_and_b32_e32 v5, 7, v17
; %bb.263:                              ;   in Loop: Header=BB173_190 Depth=1
	s_or_b32 exec_lo, exec_lo, s17
	v_lshlrev_b32_e32 v13, 24, v53
	v_lshlrev_b32_e32 v5, 20, v5
	v_lshl_add_u32 v11, v11, 23, 0x3c000000
	v_and_b32_e32 v13, 0x80000000, v13
	v_or3_b32 v5, v5, v13, v11
	v_mov_b32_e32 v18, v6
	v_mov_b32_e32 v17, v5
.LBB173_264:                            ;   in Loop: Header=BB173_190 Depth=1
	s_or_b32 exec_lo, exec_lo, s16
.LBB173_265:                            ;   in Loop: Header=BB173_190 Depth=1
	s_or_b32 exec_lo, exec_lo, s15
.LBB173_266:                            ;   in Loop: Header=BB173_190 Depth=1
	s_or_b32 exec_lo, exec_lo, s14
	v_cmp_ne_u16_sdwa s0, v53, v6 src0_sel:BYTE_1 src1_sel:DWORD
	s_and_saveexec_b32 s14, s0
	s_cbranch_execz .LBB173_274
; %bb.267:                              ;   in Loop: Header=BB173_190 Depth=1
	v_mov_b32_e32 v11, v6
	v_mov_b32_e32 v20, v12
	v_cmp_ne_u16_sdwa s0, v53, v36 src0_sel:BYTE_1 src1_sel:DWORD
	v_mov_b32_e32 v19, v11
	s_and_saveexec_b32 s15, s0
	s_cbranch_execz .LBB173_273
; %bb.268:                              ;   in Loop: Header=BB173_190 Depth=1
	v_and_b32_sdwa v5, v37, v53 dst_sel:DWORD dst_unused:UNUSED_PAD src0_sel:DWORD src1_sel:BYTE_1
	v_mov_b32_e32 v13, v6
	v_mov_b32_e32 v20, v14
	s_mov_b32 s16, exec_lo
	v_and_b32_e32 v21, 0x7f, v5
	v_mov_b32_e32 v19, v13
	v_cmpx_ne_u32_e32 0x7f, v21
	s_cbranch_execz .LBB173_272
; %bb.269:                              ;   in Loop: Header=BB173_190 Depth=1
	v_and_b32_e32 v5, 7, v5
	v_lshrrev_b32_e32 v11, 3, v21
	s_mov_b32 s17, exec_lo
	v_cmpx_gt_u32_e32 8, v21
; %bb.270:                              ;   in Loop: Header=BB173_190 Depth=1
	v_ffbh_u32_e32 v11, v5
	v_min_u32_e32 v11, 32, v11
	v_subrev_nc_u32_e32 v13, 28, v11
	v_sub_nc_u32_e32 v11, 29, v11
	v_lshlrev_b64 v[19:20], v13, v[5:6]
	v_and_b32_e32 v5, 7, v19
; %bb.271:                              ;   in Loop: Header=BB173_190 Depth=1
	s_or_b32 exec_lo, exec_lo, s17
	v_lshlrev_b32_e32 v13, 16, v53
	v_lshlrev_b32_e32 v5, 20, v5
	v_lshl_add_u32 v11, v11, 23, 0x3c000000
	v_mov_b32_e32 v19, v6
	v_and_b32_e32 v13, 0x80000000, v13
	v_or3_b32 v20, v5, v13, v11
.LBB173_272:                            ;   in Loop: Header=BB173_190 Depth=1
	s_or_b32 exec_lo, exec_lo, s16
.LBB173_273:                            ;   in Loop: Header=BB173_190 Depth=1
	s_or_b32 exec_lo, exec_lo, s15
.LBB173_274:                            ;   in Loop: Header=BB173_190 Depth=1
	s_or_b32 exec_lo, exec_lo, s14
	v_mov_b32_e32 v23, 0
	v_mov_b32_e32 v21, 0
	v_and_b32_sdwa v5, v53, v38 dst_sel:DWORD dst_unused:UNUSED_PAD src0_sel:WORD_1 src1_sel:DWORD
	v_mov_b32_e32 v24, 0
	v_mov_b32_e32 v22, 0
	s_mov_b32 s14, exec_lo
	v_cmpx_ne_u16_e32 0, v5
	s_cbranch_execz .LBB173_282
; %bb.275:                              ;   in Loop: Header=BB173_190 Depth=1
	v_bfrev_b32_e32 v21, 1
	v_mov_b32_e32 v22, 0
	s_mov_b32 s15, exec_lo
	v_cmpx_ne_u16_e32 0x80, v5
	s_cbranch_execz .LBB173_281
; %bb.276:                              ;   in Loop: Header=BB173_190 Depth=1
	v_mov_b32_e32 v21, 0x7f800001
	v_bfe_u32 v13, v53, 16, 7
	v_mov_b32_e32 v22, 0
	s_mov_b32 s16, exec_lo
	v_cmpx_ne_u32_e32 0x7f, v13
	s_cbranch_execz .LBB173_280
; %bb.277:                              ;   in Loop: Header=BB173_190 Depth=1
	v_and_b32_sdwa v5, v53, v39 dst_sel:DWORD dst_unused:UNUSED_PAD src0_sel:WORD_1 src1_sel:DWORD
	v_lshrrev_b32_e32 v11, 3, v13
	s_mov_b32 s17, exec_lo
	v_cmpx_gt_u32_e32 8, v13
; %bb.278:                              ;   in Loop: Header=BB173_190 Depth=1
	v_ffbh_u32_e32 v11, v5
	v_min_u32_e32 v11, 32, v11
	v_subrev_nc_u32_e32 v13, 28, v11
	v_sub_nc_u32_e32 v11, 29, v11
	v_lshlrev_b64 v[21:22], v13, v[5:6]
	v_and_b32_e32 v5, 7, v21
; %bb.279:                              ;   in Loop: Header=BB173_190 Depth=1
	s_or_b32 exec_lo, exec_lo, s17
	v_lshlrev_b32_sdwa v13, v40, v53 dst_sel:DWORD dst_unused:UNUSED_PAD src0_sel:DWORD src1_sel:WORD_1
	v_lshlrev_b32_e32 v5, 20, v5
	v_lshl_add_u32 v11, v11, 23, 0x3c000000
	v_and_b32_e32 v13, 0x80000000, v13
	v_or3_b32 v5, v5, v13, v11
	v_mov_b32_e32 v22, v6
	v_mov_b32_e32 v21, v5
.LBB173_280:                            ;   in Loop: Header=BB173_190 Depth=1
	s_or_b32 exec_lo, exec_lo, s16
.LBB173_281:                            ;   in Loop: Header=BB173_190 Depth=1
	s_or_b32 exec_lo, exec_lo, s15
.LBB173_282:                            ;   in Loop: Header=BB173_190 Depth=1
	s_or_b32 exec_lo, exec_lo, s14
	s_mov_b32 s14, exec_lo
	v_cmpx_lt_u32_e32 0xffffff, v53
	s_cbranch_execz .LBB173_290
; %bb.283:                              ;   in Loop: Header=BB173_190 Depth=1
	v_mov_b32_e32 v11, v6
	v_mov_b32_e32 v24, v12
	v_cmp_ne_u32_sdwa s0, v53, v36 src0_sel:BYTE_3 src1_sel:DWORD
	v_mov_b32_e32 v23, v11
	s_and_saveexec_b32 s15, s0
	s_cbranch_execz .LBB173_289
; %bb.284:                              ;   in Loop: Header=BB173_190 Depth=1
	v_mov_b32_e32 v13, v6
	v_mov_b32_e32 v24, v14
	v_bfe_u32 v54, v53, 24, 7
	s_mov_b32 s16, exec_lo
	v_mov_b32_e32 v23, v13
	v_cmpx_ne_u32_e32 0x7f, v54
	s_cbranch_execz .LBB173_288
; %bb.285:                              ;   in Loop: Header=BB173_190 Depth=1
	v_and_b32_sdwa v5, v53, v39 dst_sel:DWORD dst_unused:UNUSED_PAD src0_sel:BYTE_3 src1_sel:DWORD
	v_lshrrev_b32_e32 v11, 3, v54
	s_mov_b32 s17, exec_lo
	v_cmpx_gt_u32_e32 8, v54
; %bb.286:                              ;   in Loop: Header=BB173_190 Depth=1
	v_ffbh_u32_e32 v11, v5
	v_min_u32_e32 v11, 32, v11
	v_subrev_nc_u32_e32 v13, 28, v11
	v_sub_nc_u32_e32 v11, 29, v11
	v_lshlrev_b64 v[23:24], v13, v[5:6]
	v_and_b32_e32 v5, 7, v23
; %bb.287:                              ;   in Loop: Header=BB173_190 Depth=1
	s_or_b32 exec_lo, exec_lo, s17
	v_lshlrev_b32_sdwa v13, v40, v53 dst_sel:DWORD dst_unused:UNUSED_PAD src0_sel:DWORD src1_sel:BYTE_3
	v_lshlrev_b32_e32 v5, 20, v5
	v_lshl_add_u32 v11, v11, 23, 0x3c000000
	v_mov_b32_e32 v23, v6
	v_and_b32_e32 v13, 0x80000000, v13
	v_or3_b32 v24, v5, v13, v11
.LBB173_288:                            ;   in Loop: Header=BB173_190 Depth=1
	s_or_b32 exec_lo, exec_lo, s16
.LBB173_289:                            ;   in Loop: Header=BB173_190 Depth=1
	s_or_b32 exec_lo, exec_lo, s15
.LBB173_290:                            ;   in Loop: Header=BB173_190 Depth=1
	s_or_b32 exec_lo, exec_lo, s14
	v_or_b32_e32 v5, v20, v18
	v_or_b32_e32 v11, v19, v17
	;; [unrolled: 1-line block ×4, first 2 shown]
	v_mul_f32_e32 v55, s13, v5
	v_mul_f32_e32 v56, s2, v11
	v_mul_f32_e32 v54, s2, v13
	v_mul_f32_e32 v53, s13, v17
	s_and_saveexec_b32 s14, vcc_lo
	s_cbranch_execz .LBB173_292
; %bb.291:                              ;   in Loop: Header=BB173_190 Depth=1
	v_cmp_gt_i32_e64 s0, s11, v46
	v_cndmask_b32_e64 v56, 0, v56, s0
	v_cmp_gt_i32_e64 s0, s11, v48
	v_cndmask_b32_e64 v55, 0, v55, s0
	v_cmp_gt_i32_e64 s0, s11, v47
	v_cndmask_b32_e64 v54, 0, v54, s0
	v_cmp_gt_i32_e64 s0, s11, v30
	v_cndmask_b32_e64 v53, 0, v53, s0
.LBB173_292:                            ;   in Loop: Header=BB173_190 Depth=1
	s_or_b32 exec_lo, exec_lo, s14
	global_load_dword v57, v[15:16], off offset:384
	v_mov_b32_e32 v19, 0
	v_mov_b32_e32 v17, 0
	;; [unrolled: 1-line block ×4, first 2 shown]
	s_waitcnt vmcnt(0)
	v_cmp_ne_u16_sdwa s0, v57, v6 src0_sel:BYTE_0 src1_sel:DWORD
	s_and_saveexec_b32 s14, s0
	s_cbranch_execz .LBB173_300
; %bb.293:                              ;   in Loop: Header=BB173_190 Depth=1
	v_bfrev_b32_e32 v17, 1
	v_mov_b32_e32 v18, 0
	v_cmp_ne_u16_sdwa s0, v57, v36 src0_sel:BYTE_0 src1_sel:DWORD
	s_and_saveexec_b32 s15, s0
	s_cbranch_execz .LBB173_299
; %bb.294:                              ;   in Loop: Header=BB173_190 Depth=1
	v_mov_b32_e32 v17, 0x7f800001
	v_and_b32_e32 v13, 0x7f, v57
	v_mov_b32_e32 v18, 0
	s_mov_b32 s16, exec_lo
	v_cmpx_ne_u32_e32 0x7f, v13
	s_cbranch_execz .LBB173_298
; %bb.295:                              ;   in Loop: Header=BB173_190 Depth=1
	v_and_b32_e32 v5, 7, v57
	v_lshrrev_b32_e32 v11, 3, v13
	s_mov_b32 s17, exec_lo
	v_cmpx_gt_u32_e32 8, v13
; %bb.296:                              ;   in Loop: Header=BB173_190 Depth=1
	v_ffbh_u32_e32 v11, v5
	v_min_u32_e32 v11, 32, v11
	v_subrev_nc_u32_e32 v13, 28, v11
	v_sub_nc_u32_e32 v11, 29, v11
	v_lshlrev_b64 v[17:18], v13, v[5:6]
	v_and_b32_e32 v5, 7, v17
; %bb.297:                              ;   in Loop: Header=BB173_190 Depth=1
	s_or_b32 exec_lo, exec_lo, s17
	v_lshlrev_b32_e32 v13, 24, v57
	v_lshlrev_b32_e32 v5, 20, v5
	v_lshl_add_u32 v11, v11, 23, 0x3c000000
	v_and_b32_e32 v13, 0x80000000, v13
	v_or3_b32 v5, v5, v13, v11
	v_mov_b32_e32 v18, v6
	v_mov_b32_e32 v17, v5
.LBB173_298:                            ;   in Loop: Header=BB173_190 Depth=1
	s_or_b32 exec_lo, exec_lo, s16
.LBB173_299:                            ;   in Loop: Header=BB173_190 Depth=1
	s_or_b32 exec_lo, exec_lo, s15
.LBB173_300:                            ;   in Loop: Header=BB173_190 Depth=1
	s_or_b32 exec_lo, exec_lo, s14
	v_cmp_ne_u16_sdwa s0, v57, v6 src0_sel:BYTE_1 src1_sel:DWORD
	s_and_saveexec_b32 s14, s0
	s_cbranch_execz .LBB173_308
; %bb.301:                              ;   in Loop: Header=BB173_190 Depth=1
	v_mov_b32_e32 v11, v6
	v_mov_b32_e32 v20, v12
	v_cmp_ne_u16_sdwa s0, v57, v36 src0_sel:BYTE_1 src1_sel:DWORD
	v_mov_b32_e32 v19, v11
	s_and_saveexec_b32 s15, s0
	s_cbranch_execz .LBB173_307
; %bb.302:                              ;   in Loop: Header=BB173_190 Depth=1
	v_and_b32_sdwa v5, v37, v57 dst_sel:DWORD dst_unused:UNUSED_PAD src0_sel:DWORD src1_sel:BYTE_1
	v_mov_b32_e32 v13, v6
	v_mov_b32_e32 v20, v14
	s_mov_b32 s16, exec_lo
	v_and_b32_e32 v21, 0x7f, v5
	v_mov_b32_e32 v19, v13
	v_cmpx_ne_u32_e32 0x7f, v21
	s_cbranch_execz .LBB173_306
; %bb.303:                              ;   in Loop: Header=BB173_190 Depth=1
	v_and_b32_e32 v5, 7, v5
	v_lshrrev_b32_e32 v11, 3, v21
	s_mov_b32 s17, exec_lo
	v_cmpx_gt_u32_e32 8, v21
; %bb.304:                              ;   in Loop: Header=BB173_190 Depth=1
	v_ffbh_u32_e32 v11, v5
	v_min_u32_e32 v11, 32, v11
	v_subrev_nc_u32_e32 v13, 28, v11
	v_sub_nc_u32_e32 v11, 29, v11
	v_lshlrev_b64 v[19:20], v13, v[5:6]
	v_and_b32_e32 v5, 7, v19
; %bb.305:                              ;   in Loop: Header=BB173_190 Depth=1
	s_or_b32 exec_lo, exec_lo, s17
	v_lshlrev_b32_e32 v13, 16, v57
	v_lshlrev_b32_e32 v5, 20, v5
	v_lshl_add_u32 v11, v11, 23, 0x3c000000
	v_mov_b32_e32 v19, v6
	v_and_b32_e32 v13, 0x80000000, v13
	v_or3_b32 v20, v5, v13, v11
.LBB173_306:                            ;   in Loop: Header=BB173_190 Depth=1
	s_or_b32 exec_lo, exec_lo, s16
.LBB173_307:                            ;   in Loop: Header=BB173_190 Depth=1
	s_or_b32 exec_lo, exec_lo, s15
.LBB173_308:                            ;   in Loop: Header=BB173_190 Depth=1
	s_or_b32 exec_lo, exec_lo, s14
	v_mov_b32_e32 v23, 0
	v_mov_b32_e32 v21, 0
	v_and_b32_sdwa v5, v57, v38 dst_sel:DWORD dst_unused:UNUSED_PAD src0_sel:WORD_1 src1_sel:DWORD
	v_mov_b32_e32 v24, 0
	v_mov_b32_e32 v22, 0
	s_mov_b32 s14, exec_lo
	v_cmpx_ne_u16_e32 0, v5
	s_cbranch_execz .LBB173_316
; %bb.309:                              ;   in Loop: Header=BB173_190 Depth=1
	v_bfrev_b32_e32 v21, 1
	v_mov_b32_e32 v22, 0
	s_mov_b32 s15, exec_lo
	v_cmpx_ne_u16_e32 0x80, v5
	s_cbranch_execz .LBB173_315
; %bb.310:                              ;   in Loop: Header=BB173_190 Depth=1
	v_mov_b32_e32 v21, 0x7f800001
	v_bfe_u32 v13, v57, 16, 7
	v_mov_b32_e32 v22, 0
	s_mov_b32 s16, exec_lo
	v_cmpx_ne_u32_e32 0x7f, v13
	s_cbranch_execz .LBB173_314
; %bb.311:                              ;   in Loop: Header=BB173_190 Depth=1
	v_and_b32_sdwa v5, v57, v39 dst_sel:DWORD dst_unused:UNUSED_PAD src0_sel:WORD_1 src1_sel:DWORD
	v_lshrrev_b32_e32 v11, 3, v13
	s_mov_b32 s17, exec_lo
	v_cmpx_gt_u32_e32 8, v13
; %bb.312:                              ;   in Loop: Header=BB173_190 Depth=1
	v_ffbh_u32_e32 v11, v5
	v_min_u32_e32 v11, 32, v11
	v_subrev_nc_u32_e32 v13, 28, v11
	v_sub_nc_u32_e32 v11, 29, v11
	v_lshlrev_b64 v[21:22], v13, v[5:6]
	v_and_b32_e32 v5, 7, v21
; %bb.313:                              ;   in Loop: Header=BB173_190 Depth=1
	s_or_b32 exec_lo, exec_lo, s17
	v_lshlrev_b32_sdwa v13, v40, v57 dst_sel:DWORD dst_unused:UNUSED_PAD src0_sel:DWORD src1_sel:WORD_1
	v_lshlrev_b32_e32 v5, 20, v5
	v_lshl_add_u32 v11, v11, 23, 0x3c000000
	v_and_b32_e32 v13, 0x80000000, v13
	v_or3_b32 v5, v5, v13, v11
	v_mov_b32_e32 v22, v6
	v_mov_b32_e32 v21, v5
.LBB173_314:                            ;   in Loop: Header=BB173_190 Depth=1
	s_or_b32 exec_lo, exec_lo, s16
.LBB173_315:                            ;   in Loop: Header=BB173_190 Depth=1
	s_or_b32 exec_lo, exec_lo, s15
.LBB173_316:                            ;   in Loop: Header=BB173_190 Depth=1
	s_or_b32 exec_lo, exec_lo, s14
	s_mov_b32 s14, exec_lo
	v_cmpx_lt_u32_e32 0xffffff, v57
	s_cbranch_execz .LBB173_324
; %bb.317:                              ;   in Loop: Header=BB173_190 Depth=1
	v_mov_b32_e32 v11, v6
	v_mov_b32_e32 v24, v12
	v_cmp_ne_u32_sdwa s0, v57, v36 src0_sel:BYTE_3 src1_sel:DWORD
	v_mov_b32_e32 v23, v11
	s_and_saveexec_b32 s15, s0
	s_cbranch_execz .LBB173_323
; %bb.318:                              ;   in Loop: Header=BB173_190 Depth=1
	v_mov_b32_e32 v13, v6
	v_mov_b32_e32 v24, v14
	v_bfe_u32 v58, v57, 24, 7
	s_mov_b32 s16, exec_lo
	v_mov_b32_e32 v23, v13
	v_cmpx_ne_u32_e32 0x7f, v58
	s_cbranch_execz .LBB173_322
; %bb.319:                              ;   in Loop: Header=BB173_190 Depth=1
	v_and_b32_sdwa v5, v57, v39 dst_sel:DWORD dst_unused:UNUSED_PAD src0_sel:BYTE_3 src1_sel:DWORD
	v_lshrrev_b32_e32 v11, 3, v58
	s_mov_b32 s17, exec_lo
	v_cmpx_gt_u32_e32 8, v58
; %bb.320:                              ;   in Loop: Header=BB173_190 Depth=1
	v_ffbh_u32_e32 v11, v5
	v_min_u32_e32 v11, 32, v11
	v_subrev_nc_u32_e32 v13, 28, v11
	v_sub_nc_u32_e32 v11, 29, v11
	v_lshlrev_b64 v[23:24], v13, v[5:6]
	v_and_b32_e32 v5, 7, v23
; %bb.321:                              ;   in Loop: Header=BB173_190 Depth=1
	s_or_b32 exec_lo, exec_lo, s17
	v_lshlrev_b32_sdwa v13, v40, v57 dst_sel:DWORD dst_unused:UNUSED_PAD src0_sel:DWORD src1_sel:BYTE_3
	v_lshlrev_b32_e32 v5, 20, v5
	v_lshl_add_u32 v11, v11, 23, 0x3c000000
	v_mov_b32_e32 v23, v6
	v_and_b32_e32 v13, 0x80000000, v13
	v_or3_b32 v24, v5, v13, v11
.LBB173_322:                            ;   in Loop: Header=BB173_190 Depth=1
	s_or_b32 exec_lo, exec_lo, s16
.LBB173_323:                            ;   in Loop: Header=BB173_190 Depth=1
	s_or_b32 exec_lo, exec_lo, s15
.LBB173_324:                            ;   in Loop: Header=BB173_190 Depth=1
	s_or_b32 exec_lo, exec_lo, s14
	v_or_b32_e32 v5, v20, v18
	v_or_b32_e32 v11, v19, v17
	;; [unrolled: 1-line block ×4, first 2 shown]
	v_mul_f32_e32 v57, s13, v5
	v_mul_f32_e32 v58, s2, v11
	;; [unrolled: 1-line block ×4, first 2 shown]
	s_and_saveexec_b32 s14, vcc_lo
	s_cbranch_execz .LBB173_326
; %bb.325:                              ;   in Loop: Header=BB173_190 Depth=1
	v_cmp_gt_i32_e64 s0, s11, v46
	v_cndmask_b32_e64 v58, 0, v58, s0
	v_cmp_gt_i32_e64 s0, s11, v48
	v_cndmask_b32_e64 v57, 0, v57, s0
	;; [unrolled: 2-line block ×4, first 2 shown]
.LBB173_326:                            ;   in Loop: Header=BB173_190 Depth=1
	s_or_b32 exec_lo, exec_lo, s14
	global_load_dword v59, v[15:16], off offset:512
	v_mov_b32_e32 v17, 0
	v_mov_b32_e32 v15, 0
	;; [unrolled: 1-line block ×4, first 2 shown]
	s_waitcnt vmcnt(0)
	v_cmp_ne_u16_sdwa s0, v59, v6 src0_sel:BYTE_0 src1_sel:DWORD
	s_and_saveexec_b32 s14, s0
	s_cbranch_execz .LBB173_334
; %bb.327:                              ;   in Loop: Header=BB173_190 Depth=1
	v_bfrev_b32_e32 v15, 1
	v_mov_b32_e32 v16, 0
	v_cmp_ne_u16_sdwa s0, v59, v36 src0_sel:BYTE_0 src1_sel:DWORD
	s_and_saveexec_b32 s15, s0
	s_cbranch_execz .LBB173_333
; %bb.328:                              ;   in Loop: Header=BB173_190 Depth=1
	v_mov_b32_e32 v15, 0x7f800001
	v_and_b32_e32 v13, 0x7f, v59
	v_mov_b32_e32 v16, 0
	s_mov_b32 s16, exec_lo
	v_cmpx_ne_u32_e32 0x7f, v13
	s_cbranch_execz .LBB173_332
; %bb.329:                              ;   in Loop: Header=BB173_190 Depth=1
	v_and_b32_e32 v5, 7, v59
	v_lshrrev_b32_e32 v11, 3, v13
	s_mov_b32 s17, exec_lo
	v_cmpx_gt_u32_e32 8, v13
; %bb.330:                              ;   in Loop: Header=BB173_190 Depth=1
	v_ffbh_u32_e32 v11, v5
	v_min_u32_e32 v11, 32, v11
	v_subrev_nc_u32_e32 v13, 28, v11
	v_sub_nc_u32_e32 v11, 29, v11
	v_lshlrev_b64 v[15:16], v13, v[5:6]
	v_and_b32_e32 v5, 7, v15
; %bb.331:                              ;   in Loop: Header=BB173_190 Depth=1
	s_or_b32 exec_lo, exec_lo, s17
	v_lshlrev_b32_e32 v13, 24, v59
	v_lshlrev_b32_e32 v5, 20, v5
	v_lshl_add_u32 v11, v11, 23, 0x3c000000
	v_and_b32_e32 v13, 0x80000000, v13
	v_or3_b32 v5, v5, v13, v11
	v_mov_b32_e32 v16, v6
	v_mov_b32_e32 v15, v5
.LBB173_332:                            ;   in Loop: Header=BB173_190 Depth=1
	s_or_b32 exec_lo, exec_lo, s16
.LBB173_333:                            ;   in Loop: Header=BB173_190 Depth=1
	s_or_b32 exec_lo, exec_lo, s15
.LBB173_334:                            ;   in Loop: Header=BB173_190 Depth=1
	s_or_b32 exec_lo, exec_lo, s14
	v_cmp_ne_u16_sdwa s0, v59, v6 src0_sel:BYTE_1 src1_sel:DWORD
	s_and_saveexec_b32 s14, s0
	s_cbranch_execz .LBB173_342
; %bb.335:                              ;   in Loop: Header=BB173_190 Depth=1
	v_mov_b32_e32 v11, v6
	v_mov_b32_e32 v18, v12
	v_cmp_ne_u16_sdwa s0, v59, v36 src0_sel:BYTE_1 src1_sel:DWORD
	v_mov_b32_e32 v17, v11
	s_and_saveexec_b32 s15, s0
	s_cbranch_execz .LBB173_341
; %bb.336:                              ;   in Loop: Header=BB173_190 Depth=1
	v_and_b32_sdwa v5, v37, v59 dst_sel:DWORD dst_unused:UNUSED_PAD src0_sel:DWORD src1_sel:BYTE_1
	v_mov_b32_e32 v13, v6
	v_mov_b32_e32 v18, v14
	s_mov_b32 s16, exec_lo
	v_and_b32_e32 v19, 0x7f, v5
	v_mov_b32_e32 v17, v13
	v_cmpx_ne_u32_e32 0x7f, v19
	s_cbranch_execz .LBB173_340
; %bb.337:                              ;   in Loop: Header=BB173_190 Depth=1
	v_and_b32_e32 v5, 7, v5
	v_lshrrev_b32_e32 v11, 3, v19
	s_mov_b32 s17, exec_lo
	v_cmpx_gt_u32_e32 8, v19
; %bb.338:                              ;   in Loop: Header=BB173_190 Depth=1
	v_ffbh_u32_e32 v11, v5
	v_min_u32_e32 v11, 32, v11
	v_subrev_nc_u32_e32 v13, 28, v11
	v_sub_nc_u32_e32 v11, 29, v11
	v_lshlrev_b64 v[17:18], v13, v[5:6]
	v_and_b32_e32 v5, 7, v17
; %bb.339:                              ;   in Loop: Header=BB173_190 Depth=1
	s_or_b32 exec_lo, exec_lo, s17
	v_lshlrev_b32_e32 v13, 16, v59
	v_lshlrev_b32_e32 v5, 20, v5
	v_lshl_add_u32 v11, v11, 23, 0x3c000000
	v_mov_b32_e32 v17, v6
	v_and_b32_e32 v13, 0x80000000, v13
	v_or3_b32 v18, v5, v13, v11
.LBB173_340:                            ;   in Loop: Header=BB173_190 Depth=1
	s_or_b32 exec_lo, exec_lo, s16
.LBB173_341:                            ;   in Loop: Header=BB173_190 Depth=1
	s_or_b32 exec_lo, exec_lo, s15
.LBB173_342:                            ;   in Loop: Header=BB173_190 Depth=1
	s_or_b32 exec_lo, exec_lo, s14
	v_mov_b32_e32 v21, 0
	v_mov_b32_e32 v19, 0
	v_and_b32_sdwa v5, v59, v38 dst_sel:DWORD dst_unused:UNUSED_PAD src0_sel:WORD_1 src1_sel:DWORD
	v_mov_b32_e32 v22, 0
	v_mov_b32_e32 v20, 0
	s_mov_b32 s14, exec_lo
	v_cmpx_ne_u16_e32 0, v5
	s_cbranch_execz .LBB173_350
; %bb.343:                              ;   in Loop: Header=BB173_190 Depth=1
	v_bfrev_b32_e32 v19, 1
	v_mov_b32_e32 v20, 0
	s_mov_b32 s15, exec_lo
	v_cmpx_ne_u16_e32 0x80, v5
	s_cbranch_execz .LBB173_349
; %bb.344:                              ;   in Loop: Header=BB173_190 Depth=1
	v_mov_b32_e32 v19, 0x7f800001
	v_bfe_u32 v13, v59, 16, 7
	v_mov_b32_e32 v20, 0
	s_mov_b32 s16, exec_lo
	v_cmpx_ne_u32_e32 0x7f, v13
	s_cbranch_execz .LBB173_348
; %bb.345:                              ;   in Loop: Header=BB173_190 Depth=1
	v_and_b32_sdwa v5, v59, v39 dst_sel:DWORD dst_unused:UNUSED_PAD src0_sel:WORD_1 src1_sel:DWORD
	v_lshrrev_b32_e32 v11, 3, v13
	s_mov_b32 s17, exec_lo
	v_cmpx_gt_u32_e32 8, v13
; %bb.346:                              ;   in Loop: Header=BB173_190 Depth=1
	v_ffbh_u32_e32 v11, v5
	v_min_u32_e32 v11, 32, v11
	v_subrev_nc_u32_e32 v13, 28, v11
	v_sub_nc_u32_e32 v11, 29, v11
	v_lshlrev_b64 v[19:20], v13, v[5:6]
	v_and_b32_e32 v5, 7, v19
; %bb.347:                              ;   in Loop: Header=BB173_190 Depth=1
	s_or_b32 exec_lo, exec_lo, s17
	v_lshlrev_b32_sdwa v13, v40, v59 dst_sel:DWORD dst_unused:UNUSED_PAD src0_sel:DWORD src1_sel:WORD_1
	v_lshlrev_b32_e32 v5, 20, v5
	v_lshl_add_u32 v11, v11, 23, 0x3c000000
	v_and_b32_e32 v13, 0x80000000, v13
	v_or3_b32 v5, v5, v13, v11
	v_mov_b32_e32 v20, v6
	v_mov_b32_e32 v19, v5
.LBB173_348:                            ;   in Loop: Header=BB173_190 Depth=1
	s_or_b32 exec_lo, exec_lo, s16
.LBB173_349:                            ;   in Loop: Header=BB173_190 Depth=1
	s_or_b32 exec_lo, exec_lo, s15
.LBB173_350:                            ;   in Loop: Header=BB173_190 Depth=1
	s_or_b32 exec_lo, exec_lo, s14
	s_mov_b32 s14, exec_lo
	v_cmpx_lt_u32_e32 0xffffff, v59
	s_cbranch_execz .LBB173_358
; %bb.351:                              ;   in Loop: Header=BB173_190 Depth=1
	v_mov_b32_e32 v11, v6
	v_mov_b32_e32 v22, v12
	v_cmp_ne_u32_sdwa s0, v59, v36 src0_sel:BYTE_3 src1_sel:DWORD
	v_mov_b32_e32 v21, v11
	s_and_saveexec_b32 s15, s0
	s_cbranch_execz .LBB173_357
; %bb.352:                              ;   in Loop: Header=BB173_190 Depth=1
	v_mov_b32_e32 v13, v6
	v_mov_b32_e32 v22, v14
	v_bfe_u32 v60, v59, 24, 7
	s_mov_b32 s16, exec_lo
	v_mov_b32_e32 v21, v13
	v_cmpx_ne_u32_e32 0x7f, v60
	s_cbranch_execz .LBB173_356
; %bb.353:                              ;   in Loop: Header=BB173_190 Depth=1
	v_and_b32_sdwa v5, v59, v39 dst_sel:DWORD dst_unused:UNUSED_PAD src0_sel:BYTE_3 src1_sel:DWORD
	v_lshrrev_b32_e32 v11, 3, v60
	s_mov_b32 s17, exec_lo
	v_cmpx_gt_u32_e32 8, v60
; %bb.354:                              ;   in Loop: Header=BB173_190 Depth=1
	v_ffbh_u32_e32 v11, v5
	v_min_u32_e32 v11, 32, v11
	v_subrev_nc_u32_e32 v13, 28, v11
	v_sub_nc_u32_e32 v11, 29, v11
	v_lshlrev_b64 v[21:22], v13, v[5:6]
	v_and_b32_e32 v5, 7, v21
; %bb.355:                              ;   in Loop: Header=BB173_190 Depth=1
	s_or_b32 exec_lo, exec_lo, s17
	v_lshlrev_b32_sdwa v13, v40, v59 dst_sel:DWORD dst_unused:UNUSED_PAD src0_sel:DWORD src1_sel:BYTE_3
	v_lshlrev_b32_e32 v5, 20, v5
	v_lshl_add_u32 v11, v11, 23, 0x3c000000
	v_mov_b32_e32 v21, v6
	v_and_b32_e32 v13, 0x80000000, v13
	v_or3_b32 v22, v5, v13, v11
.LBB173_356:                            ;   in Loop: Header=BB173_190 Depth=1
	s_or_b32 exec_lo, exec_lo, s16
.LBB173_357:                            ;   in Loop: Header=BB173_190 Depth=1
	s_or_b32 exec_lo, exec_lo, s15
.LBB173_358:                            ;   in Loop: Header=BB173_190 Depth=1
	s_or_b32 exec_lo, exec_lo, s14
	v_or_b32_e32 v5, v18, v16
	v_or_b32_e32 v11, v17, v15
	;; [unrolled: 1-line block ×4, first 2 shown]
	v_mul_f32_e32 v13, s13, v5
	v_mul_f32_e32 v15, s2, v11
	;; [unrolled: 1-line block ×4, first 2 shown]
	s_and_saveexec_b32 s0, vcc_lo
	s_cbranch_execz .LBB173_189
; %bb.359:                              ;   in Loop: Header=BB173_190 Depth=1
	v_cmp_gt_i32_e32 vcc_lo, s11, v46
	v_cndmask_b32_e32 v15, 0, v15, vcc_lo
	v_cmp_gt_i32_e32 vcc_lo, s11, v48
	v_cndmask_b32_e32 v13, 0, v13, vcc_lo
	;; [unrolled: 2-line block ×4, first 2 shown]
	s_branch .LBB173_189
.LBB173_360:
	s_or_b32 exec_lo, exec_lo, s5
.LBB173_361:
	s_or_b32 exec_lo, exec_lo, s1
	ds_bpermute_b32 v1, v26, v33
	ds_bpermute_b32 v2, v26, v35
	;; [unrolled: 1-line block ×5, first 2 shown]
	v_lshrrev_b32_e32 v6, 1, v25
	v_mul_u32_u24_e32 v8, 0x140, v29
	v_and_b32_e32 v9, 0x3c1, v0
	s_mov_b32 s0, exec_lo
	s_waitcnt lgkmcnt(0)
	v_lshl_add_u32 v7, v6, 2, 0x160
	s_barrier
	buffer_gl0_inv
	v_add_f32_e32 v1, v33, v1
	v_add_f32_e32 v2, v35, v2
	;; [unrolled: 1-line block ×5, first 2 shown]
	v_cmpx_eq_u32_e32 64, v9
	s_cbranch_execz .LBB173_363
; %bb.362:
	v_add_nc_u32_e32 v9, v7, v8
	v_add_nc_u32_e32 v10, 0xfffffd80, v9
	;; [unrolled: 1-line block ×6, first 2 shown]
	ds_write_b32 v10, v1
	ds_write_b32 v11, v2
	;; [unrolled: 1-line block ×5, first 2 shown]
.LBB173_363:
	s_or_b32 exec_lo, exec_lo, s0
	v_lshlrev_b32_e32 v6, 2, v6
	s_mov_b32 s1, exec_lo
	v_cmp_eq_u32_e32 vcc_lo, 0, v27
	s_waitcnt lgkmcnt(0)
	s_barrier
	v_add3_u32 v6, 0x160, v8, v6
	buffer_gl0_inv
	v_cmpx_gt_u32_e32 64, v0
	s_cbranch_execz .LBB173_371
; %bb.364:
	s_and_saveexec_b32 s0, vcc_lo
	s_cbranch_execnz .LBB173_384
; %bb.365:
	s_or_b32 exec_lo, exec_lo, s0
	s_and_saveexec_b32 s0, vcc_lo
	s_cbranch_execnz .LBB173_385
.LBB173_366:
	s_or_b32 exec_lo, exec_lo, s0
	s_and_saveexec_b32 s0, vcc_lo
	s_cbranch_execnz .LBB173_386
.LBB173_367:
	s_or_b32 exec_lo, exec_lo, s0
	s_and_saveexec_b32 s0, vcc_lo
	s_cbranch_execnz .LBB173_387
.LBB173_368:
	s_or_b32 exec_lo, exec_lo, s0
	s_and_saveexec_b32 s0, vcc_lo
	s_cbranch_execz .LBB173_370
.LBB173_369:
	ds_read_b32 v8, v6 offset:256
	s_waitcnt lgkmcnt(0)
	v_add_f32_e32 v5, v5, v8
.LBB173_370:
	s_or_b32 exec_lo, exec_lo, s0
.LBB173_371:
	s_or_b32 exec_lo, exec_lo, s1
	v_and_b32_e32 v8, 0x3e1, v0
	s_mov_b32 s1, exec_lo
	s_barrier
	buffer_gl0_inv
	v_cmpx_eq_u32_e32 32, v8
	s_cbranch_execz .LBB173_373
; %bb.372:
	ds_write2_b32 v7, v1, v2 offset1:16
	ds_write2_b32 v7, v3, v4 offset0:32 offset1:48
	ds_write_b32 v7, v5 offset:256
.LBB173_373:
	s_or_b32 exec_lo, exec_lo, s1
	s_mov_b32 s1, exec_lo
	s_waitcnt lgkmcnt(0)
	s_barrier
	buffer_gl0_inv
	v_cmpx_gt_u32_e32 32, v0
	s_cbranch_execz .LBB173_381
; %bb.374:
	s_and_saveexec_b32 s0, vcc_lo
	s_cbranch_execnz .LBB173_388
; %bb.375:
	s_or_b32 exec_lo, exec_lo, s0
	s_and_saveexec_b32 s0, vcc_lo
	s_cbranch_execnz .LBB173_389
.LBB173_376:
	s_or_b32 exec_lo, exec_lo, s0
	s_and_saveexec_b32 s0, vcc_lo
	s_cbranch_execnz .LBB173_390
.LBB173_377:
	s_or_b32 exec_lo, exec_lo, s0
	s_and_saveexec_b32 s0, vcc_lo
	s_cbranch_execnz .LBB173_391
.LBB173_378:
	s_or_b32 exec_lo, exec_lo, s0
	s_and_saveexec_b32 s0, vcc_lo
	s_cbranch_execz .LBB173_380
.LBB173_379:
	ds_read_b32 v6, v6 offset:256
	s_waitcnt lgkmcnt(0)
	v_add_f32_e32 v5, v5, v6
.LBB173_380:
	s_or_b32 exec_lo, exec_lo, s0
.LBB173_381:
	s_or_b32 exec_lo, exec_lo, s1
	s_barrier
	buffer_gl0_inv
	s_mov_b32 s0, exec_lo
	v_cmpx_eq_u32_e32 0, v8
	s_cbranch_execz .LBB173_383
; %bb.382:
	s_mul_i32 s0, s10, s7
	s_mul_i32 s2, s7, s6
	;; [unrolled: 1-line block ×3, first 2 shown]
	v_lshlrev_b32_e32 v0, 1, v0
	s_mulk_i32 s0, 0x50
	s_ashr_i32 s1, s0, 31
	s_lshl_b64 s[0:1], s[0:1], 2
	s_add_u32 s4, s20, s0
	s_addc_u32 s5, s21, s1
	s_ashr_i32 s3, s2, 31
	s_lshl_b64 s[0:1], s[2:3], 2
	s_mul_i32 s2, s8, 0x50
	s_add_u32 s4, s4, s0
	s_addc_u32 s5, s5, s1
	s_ashr_i32 s3, s2, 31
	s_lshl_b64 s[0:1], s[2:3], 2
	s_add_u32 s0, s4, s0
	s_addc_u32 s1, s5, s1
	global_store_dword v0, v1, s[0:1]
	global_store_dword v0, v2, s[0:1] offset:64
	global_store_dword v0, v3, s[0:1] offset:128
	;; [unrolled: 1-line block ×4, first 2 shown]
.LBB173_383:
	s_endpgm
.LBB173_384:
	ds_read_b32 v8, v6
	s_waitcnt lgkmcnt(0)
	v_add_f32_e32 v1, v1, v8
	s_or_b32 exec_lo, exec_lo, s0
	s_and_saveexec_b32 s0, vcc_lo
	s_cbranch_execz .LBB173_366
.LBB173_385:
	ds_read_b32 v8, v6 offset:64
	s_waitcnt lgkmcnt(0)
	v_add_f32_e32 v2, v2, v8
	s_or_b32 exec_lo, exec_lo, s0
	s_and_saveexec_b32 s0, vcc_lo
	s_cbranch_execz .LBB173_367
.LBB173_386:
	ds_read_b32 v8, v6 offset:128
	s_waitcnt lgkmcnt(0)
	v_add_f32_e32 v3, v3, v8
	s_or_b32 exec_lo, exec_lo, s0
	s_and_saveexec_b32 s0, vcc_lo
	s_cbranch_execz .LBB173_368
.LBB173_387:
	ds_read_b32 v8, v6 offset:192
	s_waitcnt lgkmcnt(0)
	v_add_f32_e32 v4, v4, v8
	s_or_b32 exec_lo, exec_lo, s0
	s_and_saveexec_b32 s0, vcc_lo
	s_cbranch_execnz .LBB173_369
	s_branch .LBB173_370
.LBB173_388:
	ds_read_b32 v7, v6
	s_waitcnt lgkmcnt(0)
	v_add_f32_e32 v1, v1, v7
	s_or_b32 exec_lo, exec_lo, s0
	s_and_saveexec_b32 s0, vcc_lo
	s_cbranch_execz .LBB173_376
.LBB173_389:
	ds_read_b32 v7, v6 offset:64
	s_waitcnt lgkmcnt(0)
	v_add_f32_e32 v2, v2, v7
	s_or_b32 exec_lo, exec_lo, s0
	s_and_saveexec_b32 s0, vcc_lo
	s_cbranch_execz .LBB173_377
.LBB173_390:
	ds_read_b32 v7, v6 offset:128
	s_waitcnt lgkmcnt(0)
	v_add_f32_e32 v3, v3, v7
	s_or_b32 exec_lo, exec_lo, s0
	s_and_saveexec_b32 s0, vcc_lo
	s_cbranch_execz .LBB173_378
.LBB173_391:
	ds_read_b32 v7, v6 offset:192
	s_waitcnt lgkmcnt(0)
	v_add_f32_e32 v4, v4, v7
	s_or_b32 exec_lo, exec_lo, s0
	s_and_saveexec_b32 s0, vcc_lo
	s_cbranch_execnz .LBB173_379
	s_branch .LBB173_380
	.section	.rodata,"a",@progbits
	.p2align	6, 0x0
	.amdhsa_kernel _ZN4vllm25paged_attention_v1_kernelIfhLi80ELi8ELi128ELNS_18Fp8KVCacheDataTypeE1ELb0EEEvPT_PKS2_PKT0_S8_ifPKiSA_iPKfiiiSC_SC_iiiii
		.amdhsa_group_segment_fixed_size 352
		.amdhsa_private_segment_fixed_size 0
		.amdhsa_kernarg_size 384
		.amdhsa_user_sgpr_count 6
		.amdhsa_user_sgpr_private_segment_buffer 1
		.amdhsa_user_sgpr_dispatch_ptr 0
		.amdhsa_user_sgpr_queue_ptr 0
		.amdhsa_user_sgpr_kernarg_segment_ptr 1
		.amdhsa_user_sgpr_dispatch_id 0
		.amdhsa_user_sgpr_flat_scratch_init 0
		.amdhsa_user_sgpr_private_segment_size 0
		.amdhsa_wavefront_size32 1
		.amdhsa_uses_dynamic_stack 0
		.amdhsa_system_sgpr_private_segment_wavefront_offset 0
		.amdhsa_system_sgpr_workgroup_id_x 1
		.amdhsa_system_sgpr_workgroup_id_y 1
		.amdhsa_system_sgpr_workgroup_id_z 1
		.amdhsa_system_sgpr_workgroup_info 0
		.amdhsa_system_vgpr_workitem_id 0
		.amdhsa_next_free_vgpr 65
		.amdhsa_next_free_sgpr 34
		.amdhsa_reserve_vcc 1
		.amdhsa_reserve_flat_scratch 0
		.amdhsa_float_round_mode_32 0
		.amdhsa_float_round_mode_16_64 0
		.amdhsa_float_denorm_mode_32 3
		.amdhsa_float_denorm_mode_16_64 3
		.amdhsa_dx10_clamp 1
		.amdhsa_ieee_mode 1
		.amdhsa_fp16_overflow 0
		.amdhsa_workgroup_processor_mode 1
		.amdhsa_memory_ordered 1
		.amdhsa_forward_progress 1
		.amdhsa_shared_vgpr_count 0
		.amdhsa_exception_fp_ieee_invalid_op 0
		.amdhsa_exception_fp_denorm_src 0
		.amdhsa_exception_fp_ieee_div_zero 0
		.amdhsa_exception_fp_ieee_overflow 0
		.amdhsa_exception_fp_ieee_underflow 0
		.amdhsa_exception_fp_ieee_inexact 0
		.amdhsa_exception_int_div_zero 0
	.end_amdhsa_kernel
	.section	.text._ZN4vllm25paged_attention_v1_kernelIfhLi80ELi8ELi128ELNS_18Fp8KVCacheDataTypeE1ELb0EEEvPT_PKS2_PKT0_S8_ifPKiSA_iPKfiiiSC_SC_iiiii,"axG",@progbits,_ZN4vllm25paged_attention_v1_kernelIfhLi80ELi8ELi128ELNS_18Fp8KVCacheDataTypeE1ELb0EEEvPT_PKS2_PKT0_S8_ifPKiSA_iPKfiiiSC_SC_iiiii,comdat
.Lfunc_end173:
	.size	_ZN4vllm25paged_attention_v1_kernelIfhLi80ELi8ELi128ELNS_18Fp8KVCacheDataTypeE1ELb0EEEvPT_PKS2_PKT0_S8_ifPKiSA_iPKfiiiSC_SC_iiiii, .Lfunc_end173-_ZN4vllm25paged_attention_v1_kernelIfhLi80ELi8ELi128ELNS_18Fp8KVCacheDataTypeE1ELb0EEEvPT_PKS2_PKT0_S8_ifPKiSA_iPKfiiiSC_SC_iiiii
                                        ; -- End function
	.set _ZN4vllm25paged_attention_v1_kernelIfhLi80ELi8ELi128ELNS_18Fp8KVCacheDataTypeE1ELb0EEEvPT_PKS2_PKT0_S8_ifPKiSA_iPKfiiiSC_SC_iiiii.num_vgpr, 65
	.set _ZN4vllm25paged_attention_v1_kernelIfhLi80ELi8ELi128ELNS_18Fp8KVCacheDataTypeE1ELb0EEEvPT_PKS2_PKT0_S8_ifPKiSA_iPKfiiiSC_SC_iiiii.num_agpr, 0
	.set _ZN4vllm25paged_attention_v1_kernelIfhLi80ELi8ELi128ELNS_18Fp8KVCacheDataTypeE1ELb0EEEvPT_PKS2_PKT0_S8_ifPKiSA_iPKfiiiSC_SC_iiiii.numbered_sgpr, 34
	.set _ZN4vllm25paged_attention_v1_kernelIfhLi80ELi8ELi128ELNS_18Fp8KVCacheDataTypeE1ELb0EEEvPT_PKS2_PKT0_S8_ifPKiSA_iPKfiiiSC_SC_iiiii.num_named_barrier, 0
	.set _ZN4vllm25paged_attention_v1_kernelIfhLi80ELi8ELi128ELNS_18Fp8KVCacheDataTypeE1ELb0EEEvPT_PKS2_PKT0_S8_ifPKiSA_iPKfiiiSC_SC_iiiii.private_seg_size, 0
	.set _ZN4vllm25paged_attention_v1_kernelIfhLi80ELi8ELi128ELNS_18Fp8KVCacheDataTypeE1ELb0EEEvPT_PKS2_PKT0_S8_ifPKiSA_iPKfiiiSC_SC_iiiii.uses_vcc, 1
	.set _ZN4vllm25paged_attention_v1_kernelIfhLi80ELi8ELi128ELNS_18Fp8KVCacheDataTypeE1ELb0EEEvPT_PKS2_PKT0_S8_ifPKiSA_iPKfiiiSC_SC_iiiii.uses_flat_scratch, 0
	.set _ZN4vllm25paged_attention_v1_kernelIfhLi80ELi8ELi128ELNS_18Fp8KVCacheDataTypeE1ELb0EEEvPT_PKS2_PKT0_S8_ifPKiSA_iPKfiiiSC_SC_iiiii.has_dyn_sized_stack, 0
	.set _ZN4vllm25paged_attention_v1_kernelIfhLi80ELi8ELi128ELNS_18Fp8KVCacheDataTypeE1ELb0EEEvPT_PKS2_PKT0_S8_ifPKiSA_iPKfiiiSC_SC_iiiii.has_recursion, 0
	.set _ZN4vllm25paged_attention_v1_kernelIfhLi80ELi8ELi128ELNS_18Fp8KVCacheDataTypeE1ELb0EEEvPT_PKS2_PKT0_S8_ifPKiSA_iPKfiiiSC_SC_iiiii.has_indirect_call, 0
	.section	.AMDGPU.csdata,"",@progbits
; Kernel info:
; codeLenInByte = 11492
; TotalNumSgprs: 36
; NumVgprs: 65
; ScratchSize: 0
; MemoryBound: 0
; FloatMode: 240
; IeeeMode: 1
; LDSByteSize: 352 bytes/workgroup (compile time only)
; SGPRBlocks: 0
; VGPRBlocks: 8
; NumSGPRsForWavesPerEU: 36
; NumVGPRsForWavesPerEU: 65
; Occupancy: 12
; WaveLimiterHint : 1
; COMPUTE_PGM_RSRC2:SCRATCH_EN: 0
; COMPUTE_PGM_RSRC2:USER_SGPR: 6
; COMPUTE_PGM_RSRC2:TRAP_HANDLER: 0
; COMPUTE_PGM_RSRC2:TGID_X_EN: 1
; COMPUTE_PGM_RSRC2:TGID_Y_EN: 1
; COMPUTE_PGM_RSRC2:TGID_Z_EN: 1
; COMPUTE_PGM_RSRC2:TIDIG_COMP_CNT: 0
	.section	.text._ZN4vllm25paged_attention_v1_kernelIfhLi96ELi8ELi128ELNS_18Fp8KVCacheDataTypeE1ELb0EEEvPT_PKS2_PKT0_S8_ifPKiSA_iPKfiiiSC_SC_iiiii,"axG",@progbits,_ZN4vllm25paged_attention_v1_kernelIfhLi96ELi8ELi128ELNS_18Fp8KVCacheDataTypeE1ELb0EEEvPT_PKS2_PKT0_S8_ifPKiSA_iPKfiiiSC_SC_iiiii,comdat
	.protected	_ZN4vllm25paged_attention_v1_kernelIfhLi96ELi8ELi128ELNS_18Fp8KVCacheDataTypeE1ELb0EEEvPT_PKS2_PKT0_S8_ifPKiSA_iPKfiiiSC_SC_iiiii ; -- Begin function _ZN4vllm25paged_attention_v1_kernelIfhLi96ELi8ELi128ELNS_18Fp8KVCacheDataTypeE1ELb0EEEvPT_PKS2_PKT0_S8_ifPKiSA_iPKfiiiSC_SC_iiiii
	.globl	_ZN4vllm25paged_attention_v1_kernelIfhLi96ELi8ELi128ELNS_18Fp8KVCacheDataTypeE1ELb0EEEvPT_PKS2_PKT0_S8_ifPKiSA_iPKfiiiSC_SC_iiiii
	.p2align	8
	.type	_ZN4vllm25paged_attention_v1_kernelIfhLi96ELi8ELi128ELNS_18Fp8KVCacheDataTypeE1ELb0EEEvPT_PKS2_PKT0_S8_ifPKiSA_iPKfiiiSC_SC_iiiii,@function
_ZN4vllm25paged_attention_v1_kernelIfhLi96ELi8ELi128ELNS_18Fp8KVCacheDataTypeE1ELb0EEEvPT_PKS2_PKT0_S8_ifPKiSA_iPKfiiiSC_SC_iiiii: ; @_ZN4vllm25paged_attention_v1_kernelIfhLi96ELi8ELi128ELNS_18Fp8KVCacheDataTypeE1ELb0EEEvPT_PKS2_PKT0_S8_ifPKiSA_iPKfiiiSC_SC_iiiii
; %bb.0:
	s_clause 0x2
	s_load_dword s9, s[4:5], 0x80
	s_load_dwordx2 s[0:1], s[4:5], 0x30
	s_load_dwordx2 s[28:29], s[4:5], 0x20
	s_mov_b32 s10, s7
	s_ashr_i32 s11, s7, 31
	s_lshl_b64 s[2:3], s[10:11], 2
	s_waitcnt lgkmcnt(0)
	s_add_u32 s0, s0, s2
	s_addc_u32 s1, s1, s3
	s_abs_i32 s2, s28
	s_abs_i32 s11, s9
	v_cvt_f32_u32_e32 v1, s2
	s_sub_i32 s7, 0, s2
	v_rcp_iflag_f32_e32 v1, v1
	v_mul_f32_e32 v1, 0x4f7ffffe, v1
	v_cvt_u32_f32_e32 v1, v1
	v_readfirstlane_b32 s3, v1
	s_mul_i32 s7, s7, s3
	s_mul_hi_u32 s7, s3, s7
	s_add_i32 s3, s3, s7
	s_xor_b32 s7, s9, s28
	s_mul_hi_u32 s3, s11, s3
	s_ashr_i32 s7, s7, 31
	s_mul_i32 s12, s3, s2
	s_mov_b32 s28, 0
	s_sub_i32 s11, s11, s12
	s_add_i32 s12, s3, 1
	s_sub_i32 s13, s11, s2
	s_cmp_ge_u32 s11, s2
	s_cselect_b32 s3, s12, s3
	s_cselect_b32 s11, s13, s11
	s_add_i32 s12, s3, 1
	s_cmp_ge_u32 s11, s2
	s_cselect_b32 s2, s12, s3
	s_abs_i32 s17, s6
	s_xor_b32 s2, s2, s7
	s_sub_i32 s19, s2, s7
	s_load_dwordx2 s[2:3], s[4:5], 0x40
	s_abs_i32 s16, s19
	v_cvt_f32_u32_e32 v1, s16
	s_sub_i32 s11, 0, s16
	v_rcp_iflag_f32_e32 v1, v1
	v_mul_f32_e32 v1, 0x4f7ffffe, v1
	v_cvt_u32_f32_e32 v1, v1
	v_readfirstlane_b32 s7, v1
	s_mul_i32 s11, s11, s7
	s_mul_hi_u32 s11, s7, s11
	s_add_i32 s7, s7, s11
	s_waitcnt lgkmcnt(0)
	s_cmp_eq_u64 s[2:3], 0
	s_mul_hi_u32 s18, s17, s7
	s_cbranch_scc1 .LBB174_2
; %bb.1:
	s_ashr_i32 s7, s6, 31
	s_lshl_b64 s[12:13], s[6:7], 2
	s_add_u32 s2, s2, s12
	s_addc_u32 s3, s3, s13
	s_load_dword s28, s[2:3], 0x0
.LBB174_2:
	s_load_dword s11, s[0:1], 0x0
	s_load_dwordx4 s[12:15], s[4:5], 0x48
	v_and_b32_e32 v25, 3, v0
	v_lshlrev_b32_e32 v34, 2, v0
	s_ashr_i32 s0, s6, 31
	s_ashr_i32 s1, s19, 31
	s_mulk_i32 s6, 0x60
	s_mov_b32 s2, exec_lo
	v_cmpx_gt_u32_e32 0x60, v0
	s_cbranch_execz .LBB174_4
; %bb.3:
	s_load_dwordx2 s[20:21], s[4:5], 0x8
	s_waitcnt lgkmcnt(0)
	s_mul_i32 s22, s12, s10
	v_and_b32_e32 v2, 0x3fc, v0
	s_ashr_i32 s23, s22, 31
	s_lshl_b64 s[22:23], s[22:23], 2
	v_mad_u32_u24 v2, 0x60, v25, v2
	s_add_u32 s3, s20, s22
	s_addc_u32 s12, s21, s23
	s_ashr_i32 s7, s6, 31
	s_lshl_b64 s[20:21], s[6:7], 2
	s_add_u32 s20, s3, s20
	s_addc_u32 s21, s12, s21
	global_load_dword v1, v34, s[20:21]
	s_waitcnt vmcnt(0)
	ds_write_b32 v2, v1
.LBB174_4:
	s_or_b32 exec_lo, exec_lo, s2
	s_waitcnt lgkmcnt(0)
	s_add_i32 s2, s11, 7
	s_clause 0x1
	s_load_dwordx2 s[22:23], s[4:5], 0x28
	s_load_dword s7, s[4:5], 0x38
	s_ashr_i32 s3, s2, 31
	s_xor_b32 s0, s0, s1
	s_lshr_b32 s3, s3, 29
	s_mul_i32 s1, s18, s16
	s_add_i32 s2, s2, s3
	s_sub_i32 s1, s17, s1
	s_ashr_i32 s12, s2, 3
	s_add_i32 s2, s18, 1
	s_sub_i32 s3, s1, s16
	s_cmp_ge_u32 s1, s16
	v_lshrrev_b32_e32 v33, 5, v0
	s_cselect_b32 s2, s2, s18
	s_cselect_b32 s1, s3, s1
	s_add_i32 s3, s2, 1
	s_cmp_ge_u32 s1, s16
	v_mbcnt_lo_u32_b32 v35, -1, 0
	s_cselect_b32 s1, s3, s2
	s_mov_b32 s2, exec_lo
	s_xor_b32 s1, s1, s0
	s_waitcnt lgkmcnt(0)
	s_mul_i32 s24, s7, s10
	s_sub_i32 s1, s1, s0
	v_cmp_gt_i32_e64 s0, s12, v33
	s_ashr_i32 s25, s24, 31
	s_barrier
	buffer_gl0_inv
                                        ; implicit-def: $vgpr26
                                        ; implicit-def: $vgpr37
	v_cmpx_le_i32_e64 s12, v33
	s_xor_b32 s2, exec_lo, s2
; %bb.5:
	v_mov_b32_e32 v26, 0
	v_mbcnt_lo_u32_b32 v35, -1, 0
	v_mov_b32_e32 v37, 32
                                        ; implicit-def: $vgpr25
; %bb.6:
	s_or_saveexec_b32 s15, s2
	s_clause 0x3
	s_load_dwordx2 s[20:21], s[4:5], 0x0
	s_load_dwordx2 s[26:27], s[4:5], 0x18
	s_load_dword s7, s[4:5], 0x88
	s_load_dwordx4 s[16:19], s[4:5], 0x58
	v_mov_b32_e32 v38, 0xff7fffff
	v_lshrrev_b32_e32 v36, 3, v0
	s_mul_i32 s14, s1, s14
	s_xor_b32 exec_lo, exec_lo, s15
	s_cbranch_execz .LBB174_204
; %bb.7:
	s_load_dwordx2 s[2:3], s[4:5], 0x10
	v_xor_b32_e32 v27, 2, v35
	v_mul_u32_u24_e32 v21, 0x60, v25
	v_bfe_u32 v29, v0, 2, 3
	v_xor_b32_e32 v28, 1, v35
	ds_read_b128 v[1:4], v21
	ds_read_b128 v[5:8], v21 offset:16
	ds_read_b128 v[9:12], v21 offset:32
	;; [unrolled: 1-line block ×5, first 2 shown]
	v_cmp_gt_i32_e32 vcc_lo, 32, v27
	v_lshlrev_b32_e32 v30, 4, v29
	s_ashr_i32 s1, s14, 31
	s_waitcnt lgkmcnt(0)
	s_load_dword s4, s[16:17], 0x0
	v_lshlrev_b32_e32 v32, 2, v29
	v_cndmask_b32_e32 v27, v35, v27, vcc_lo
	v_cmp_gt_i32_e32 vcc_lo, 32, v28
	v_lshl_or_b32 v41, v33, 3, v29
	v_and_b32_e32 v29, 0x7c, v36
	v_mov_b32_e32 v26, 0
	v_lshlrev_b32_e32 v39, 2, v27
	v_cndmask_b32_e32 v28, v35, v28, vcc_lo
	s_add_u32 s2, s2, s14
	s_addc_u32 s1, s3, s1
	v_add_co_u32 v30, s2, s2, v30
	v_add_co_ci_u32_e64 v31, null, s1, 0, s2
	v_lshlrev_b32_e32 v40, 2, v28
	v_add_co_u32 v27, s2, v30, v25
	v_add_co_ci_u32_e64 v28, null, 0, v31, s2
	s_lshl_b64 s[2:3], s[24:25], 2
	v_cmp_eq_u32_e32 vcc_lo, 0, v25
	v_lshl_or_b32 v25, v33, 5, v32
	s_sub_i32 s5, 1, s11
	s_add_u32 s2, s22, s2
	s_addc_u32 s3, s23, s3
	v_add_co_u32 v29, s2, s2, v29
	v_mov_b32_e32 v37, 32
	v_cmp_neq_f32_e64 s1, s28, 0
	v_add_nc_u32_e32 v42, 0x1a0, v25
	v_add_co_ci_u32_e64 v30, null, s3, 0, s2
	v_mov_b32_e32 v38, 0xff7fffff
	v_mov_b32_e32 v43, 0x7f
	;; [unrolled: 1-line block ×4, first 2 shown]
	s_mov_b32 s17, s13
	s_mov_b32 s16, 0
	s_branch .LBB174_9
.LBB174_8:                              ;   in Loop: Header=BB174_9 Depth=1
	s_or_b32 exec_lo, exec_lo, s3
	v_add_nc_u32_e32 v45, 4, v45
	v_add_co_u32 v29, s3, v29, 16
	v_add_nc_u32_e32 v41, 32, v41
	v_add_nc_u32_e32 v42, 0x80, v42
	v_cmp_le_i32_e64 s2, s12, v45
	v_add_co_ci_u32_e64 v30, null, 0, v30, s3
	s_or_b32 s16, s2, s16
	s_andn2_b32 exec_lo, exec_lo, s16
	s_cbranch_execz .LBB174_203
.LBB174_9:                              ; =>This Inner Loop Header: Depth=1
	global_load_dword v25, v[29:30], off
	v_mov_b32_e32 v46, 0
	v_mov_b32_e32 v47, 0
	s_mov_b32 s3, exec_lo
	s_waitcnt vmcnt(0) lgkmcnt(0)
	v_mad_i64_i32 v[31:32], null, v25, s17, v[27:28]
	global_load_ubyte v48, v[31:32], off
	s_waitcnt vmcnt(0)
	v_cmpx_ne_u16_e32 0, v48
	s_cbranch_execz .LBB174_17
; %bb.10:                               ;   in Loop: Header=BB174_9 Depth=1
	v_bfrev_b32_e32 v47, 1
	s_mov_b32 s30, exec_lo
	v_cmpx_ne_u16_e32 0x80, v48
	s_cbranch_execz .LBB174_16
; %bb.11:                               ;   in Loop: Header=BB174_9 Depth=1
	v_and_b32_sdwa v49, v48, v43 dst_sel:DWORD dst_unused:UNUSED_PAD src0_sel:WORD_0 src1_sel:DWORD
	v_mov_b32_e32 v47, 0x7f800001
	s_mov_b32 s31, exec_lo
	v_cmpx_ne_u32_e32 0x7f, v49
	s_cbranch_execz .LBB174_15
; %bb.12:                               ;   in Loop: Header=BB174_9 Depth=1
	v_and_b32_sdwa v25, v48, v44 dst_sel:DWORD dst_unused:UNUSED_PAD src0_sel:WORD_0 src1_sel:DWORD
	v_lshrrev_b32_e32 v47, 3, v49
	s_mov_b32 s33, exec_lo
	v_cmpx_gt_u32_e32 8, v49
; %bb.13:                               ;   in Loop: Header=BB174_9 Depth=1
	v_ffbh_u32_e32 v47, v25
	v_min_u32_e32 v47, 32, v47
	v_subrev_nc_u32_e32 v49, 28, v47
	v_sub_nc_u32_e32 v47, 29, v47
	v_lshlrev_b64 v[49:50], v49, v[25:26]
	v_and_b32_e32 v25, 7, v49
; %bb.14:                               ;   in Loop: Header=BB174_9 Depth=1
	s_or_b32 exec_lo, exec_lo, s33
	v_lshlrev_b32_e32 v48, 24, v48
	v_lshlrev_b32_e32 v25, 20, v25
	v_lshl_add_u32 v47, v47, 23, 0x3c000000
	v_and_b32_e32 v48, 0x80000000, v48
	v_or3_b32 v47, v25, v48, v47
.LBB174_15:                             ;   in Loop: Header=BB174_9 Depth=1
	s_or_b32 exec_lo, exec_lo, s31
.LBB174_16:                             ;   in Loop: Header=BB174_9 Depth=1
	s_or_b32 exec_lo, exec_lo, s30
.LBB174_17:                             ;   in Loop: Header=BB174_9 Depth=1
	s_or_b32 exec_lo, exec_lo, s3
	global_load_ubyte v48, v[31:32], off offset:4
	s_mov_b32 s3, exec_lo
	s_waitcnt vmcnt(0)
	v_cmpx_ne_u16_e32 0, v48
	s_cbranch_execz .LBB174_25
; %bb.18:                               ;   in Loop: Header=BB174_9 Depth=1
	v_bfrev_b32_e32 v46, 1
	s_mov_b32 s30, exec_lo
	v_cmpx_ne_u16_e32 0x80, v48
	s_cbranch_execz .LBB174_24
; %bb.19:                               ;   in Loop: Header=BB174_9 Depth=1
	v_and_b32_sdwa v49, v48, v43 dst_sel:DWORD dst_unused:UNUSED_PAD src0_sel:WORD_0 src1_sel:DWORD
	v_mov_b32_e32 v46, 0x7f800001
	s_mov_b32 s31, exec_lo
	v_cmpx_ne_u32_e32 0x7f, v49
	s_cbranch_execz .LBB174_23
; %bb.20:                               ;   in Loop: Header=BB174_9 Depth=1
	v_and_b32_sdwa v25, v48, v44 dst_sel:DWORD dst_unused:UNUSED_PAD src0_sel:WORD_0 src1_sel:DWORD
	v_lshrrev_b32_e32 v46, 3, v49
	s_mov_b32 s33, exec_lo
	v_cmpx_gt_u32_e32 8, v49
; %bb.21:                               ;   in Loop: Header=BB174_9 Depth=1
	v_ffbh_u32_e32 v46, v25
	v_min_u32_e32 v46, 32, v46
	v_subrev_nc_u32_e32 v49, 28, v46
	v_sub_nc_u32_e32 v46, 29, v46
	v_lshlrev_b64 v[49:50], v49, v[25:26]
	v_and_b32_e32 v25, 7, v49
; %bb.22:                               ;   in Loop: Header=BB174_9 Depth=1
	s_or_b32 exec_lo, exec_lo, s33
	v_lshlrev_b32_e32 v48, 24, v48
	v_lshlrev_b32_e32 v25, 20, v25
	v_lshl_add_u32 v46, v46, 23, 0x3c000000
	v_and_b32_e32 v48, 0x80000000, v48
	v_or3_b32 v46, v25, v48, v46
.LBB174_23:                             ;   in Loop: Header=BB174_9 Depth=1
	s_or_b32 exec_lo, exec_lo, s31
.LBB174_24:                             ;   in Loop: Header=BB174_9 Depth=1
	s_or_b32 exec_lo, exec_lo, s30
.LBB174_25:                             ;   in Loop: Header=BB174_9 Depth=1
	s_or_b32 exec_lo, exec_lo, s3
	global_load_ubyte v50, v[31:32], off offset:8
	v_mov_b32_e32 v48, 0
	v_mov_b32_e32 v49, 0
	s_mov_b32 s3, exec_lo
	s_waitcnt vmcnt(0)
	v_cmpx_ne_u16_e32 0, v50
	s_cbranch_execz .LBB174_33
; %bb.26:                               ;   in Loop: Header=BB174_9 Depth=1
	v_bfrev_b32_e32 v49, 1
	s_mov_b32 s30, exec_lo
	v_cmpx_ne_u16_e32 0x80, v50
	s_cbranch_execz .LBB174_32
; %bb.27:                               ;   in Loop: Header=BB174_9 Depth=1
	v_and_b32_sdwa v51, v50, v43 dst_sel:DWORD dst_unused:UNUSED_PAD src0_sel:WORD_0 src1_sel:DWORD
	v_mov_b32_e32 v49, 0x7f800001
	s_mov_b32 s31, exec_lo
	v_cmpx_ne_u32_e32 0x7f, v51
	s_cbranch_execz .LBB174_31
; %bb.28:                               ;   in Loop: Header=BB174_9 Depth=1
	v_and_b32_sdwa v25, v50, v44 dst_sel:DWORD dst_unused:UNUSED_PAD src0_sel:WORD_0 src1_sel:DWORD
	v_lshrrev_b32_e32 v49, 3, v51
	s_mov_b32 s33, exec_lo
	v_cmpx_gt_u32_e32 8, v51
; %bb.29:                               ;   in Loop: Header=BB174_9 Depth=1
	v_ffbh_u32_e32 v49, v25
	v_min_u32_e32 v49, 32, v49
	v_subrev_nc_u32_e32 v51, 28, v49
	v_sub_nc_u32_e32 v49, 29, v49
	v_lshlrev_b64 v[51:52], v51, v[25:26]
	v_and_b32_e32 v25, 7, v51
; %bb.30:                               ;   in Loop: Header=BB174_9 Depth=1
	s_or_b32 exec_lo, exec_lo, s33
	v_lshlrev_b32_e32 v50, 24, v50
	v_lshlrev_b32_e32 v25, 20, v25
	v_lshl_add_u32 v49, v49, 23, 0x3c000000
	v_and_b32_e32 v50, 0x80000000, v50
	v_or3_b32 v49, v25, v50, v49
.LBB174_31:                             ;   in Loop: Header=BB174_9 Depth=1
	s_or_b32 exec_lo, exec_lo, s31
.LBB174_32:                             ;   in Loop: Header=BB174_9 Depth=1
	s_or_b32 exec_lo, exec_lo, s30
.LBB174_33:                             ;   in Loop: Header=BB174_9 Depth=1
	s_or_b32 exec_lo, exec_lo, s3
	global_load_ubyte v50, v[31:32], off offset:12
	s_mov_b32 s3, exec_lo
	s_waitcnt vmcnt(0)
	v_cmpx_ne_u16_e32 0, v50
	s_cbranch_execz .LBB174_41
; %bb.34:                               ;   in Loop: Header=BB174_9 Depth=1
	v_bfrev_b32_e32 v48, 1
	s_mov_b32 s30, exec_lo
	v_cmpx_ne_u16_e32 0x80, v50
	s_cbranch_execz .LBB174_40
; %bb.35:                               ;   in Loop: Header=BB174_9 Depth=1
	v_and_b32_sdwa v51, v50, v43 dst_sel:DWORD dst_unused:UNUSED_PAD src0_sel:WORD_0 src1_sel:DWORD
	v_mov_b32_e32 v48, 0x7f800001
	s_mov_b32 s31, exec_lo
	v_cmpx_ne_u32_e32 0x7f, v51
	s_cbranch_execz .LBB174_39
; %bb.36:                               ;   in Loop: Header=BB174_9 Depth=1
	v_and_b32_sdwa v25, v50, v44 dst_sel:DWORD dst_unused:UNUSED_PAD src0_sel:WORD_0 src1_sel:DWORD
	v_lshrrev_b32_e32 v48, 3, v51
	s_mov_b32 s33, exec_lo
	v_cmpx_gt_u32_e32 8, v51
; %bb.37:                               ;   in Loop: Header=BB174_9 Depth=1
	v_ffbh_u32_e32 v48, v25
	v_min_u32_e32 v48, 32, v48
	v_subrev_nc_u32_e32 v51, 28, v48
	v_sub_nc_u32_e32 v48, 29, v48
	v_lshlrev_b64 v[51:52], v51, v[25:26]
	v_and_b32_e32 v25, 7, v51
; %bb.38:                               ;   in Loop: Header=BB174_9 Depth=1
	s_or_b32 exec_lo, exec_lo, s33
	v_lshlrev_b32_e32 v50, 24, v50
	v_lshlrev_b32_e32 v25, 20, v25
	v_lshl_add_u32 v48, v48, 23, 0x3c000000
	v_and_b32_e32 v50, 0x80000000, v50
	v_or3_b32 v48, v25, v50, v48
.LBB174_39:                             ;   in Loop: Header=BB174_9 Depth=1
	s_or_b32 exec_lo, exec_lo, s31
.LBB174_40:                             ;   in Loop: Header=BB174_9 Depth=1
	s_or_b32 exec_lo, exec_lo, s30
.LBB174_41:                             ;   in Loop: Header=BB174_9 Depth=1
	s_or_b32 exec_lo, exec_lo, s3
	global_load_ubyte v52, v[31:32], off offset:128
	v_mov_b32_e32 v50, 0
	v_mov_b32_e32 v51, 0
	s_mov_b32 s3, exec_lo
	s_waitcnt vmcnt(0)
	v_cmpx_ne_u16_e32 0, v52
	s_cbranch_execz .LBB174_49
; %bb.42:                               ;   in Loop: Header=BB174_9 Depth=1
	v_bfrev_b32_e32 v51, 1
	s_mov_b32 s30, exec_lo
	v_cmpx_ne_u16_e32 0x80, v52
	s_cbranch_execz .LBB174_48
; %bb.43:                               ;   in Loop: Header=BB174_9 Depth=1
	v_and_b32_sdwa v53, v52, v43 dst_sel:DWORD dst_unused:UNUSED_PAD src0_sel:WORD_0 src1_sel:DWORD
	v_mov_b32_e32 v51, 0x7f800001
	s_mov_b32 s31, exec_lo
	v_cmpx_ne_u32_e32 0x7f, v53
	s_cbranch_execz .LBB174_47
; %bb.44:                               ;   in Loop: Header=BB174_9 Depth=1
	v_and_b32_sdwa v25, v52, v44 dst_sel:DWORD dst_unused:UNUSED_PAD src0_sel:WORD_0 src1_sel:DWORD
	v_lshrrev_b32_e32 v51, 3, v53
	s_mov_b32 s33, exec_lo
	v_cmpx_gt_u32_e32 8, v53
; %bb.45:                               ;   in Loop: Header=BB174_9 Depth=1
	v_ffbh_u32_e32 v51, v25
	v_min_u32_e32 v51, 32, v51
	v_subrev_nc_u32_e32 v53, 28, v51
	v_sub_nc_u32_e32 v51, 29, v51
	v_lshlrev_b64 v[53:54], v53, v[25:26]
	v_and_b32_e32 v25, 7, v53
; %bb.46:                               ;   in Loop: Header=BB174_9 Depth=1
	s_or_b32 exec_lo, exec_lo, s33
	v_lshlrev_b32_e32 v52, 24, v52
	v_lshlrev_b32_e32 v25, 20, v25
	v_lshl_add_u32 v51, v51, 23, 0x3c000000
	v_and_b32_e32 v52, 0x80000000, v52
	v_or3_b32 v51, v25, v52, v51
.LBB174_47:                             ;   in Loop: Header=BB174_9 Depth=1
	s_or_b32 exec_lo, exec_lo, s31
.LBB174_48:                             ;   in Loop: Header=BB174_9 Depth=1
	s_or_b32 exec_lo, exec_lo, s30
.LBB174_49:                             ;   in Loop: Header=BB174_9 Depth=1
	s_or_b32 exec_lo, exec_lo, s3
	global_load_ubyte v52, v[31:32], off offset:132
	s_mov_b32 s3, exec_lo
	s_waitcnt vmcnt(0)
	v_cmpx_ne_u16_e32 0, v52
	s_cbranch_execz .LBB174_57
; %bb.50:                               ;   in Loop: Header=BB174_9 Depth=1
	v_bfrev_b32_e32 v50, 1
	s_mov_b32 s30, exec_lo
	v_cmpx_ne_u16_e32 0x80, v52
	s_cbranch_execz .LBB174_56
; %bb.51:                               ;   in Loop: Header=BB174_9 Depth=1
	v_and_b32_sdwa v53, v52, v43 dst_sel:DWORD dst_unused:UNUSED_PAD src0_sel:WORD_0 src1_sel:DWORD
	v_mov_b32_e32 v50, 0x7f800001
	s_mov_b32 s31, exec_lo
	v_cmpx_ne_u32_e32 0x7f, v53
	s_cbranch_execz .LBB174_55
; %bb.52:                               ;   in Loop: Header=BB174_9 Depth=1
	v_and_b32_sdwa v25, v52, v44 dst_sel:DWORD dst_unused:UNUSED_PAD src0_sel:WORD_0 src1_sel:DWORD
	v_lshrrev_b32_e32 v50, 3, v53
	s_mov_b32 s33, exec_lo
	v_cmpx_gt_u32_e32 8, v53
; %bb.53:                               ;   in Loop: Header=BB174_9 Depth=1
	v_ffbh_u32_e32 v50, v25
	v_min_u32_e32 v50, 32, v50
	v_subrev_nc_u32_e32 v53, 28, v50
	v_sub_nc_u32_e32 v50, 29, v50
	v_lshlrev_b64 v[53:54], v53, v[25:26]
	v_and_b32_e32 v25, 7, v53
; %bb.54:                               ;   in Loop: Header=BB174_9 Depth=1
	s_or_b32 exec_lo, exec_lo, s33
	v_lshlrev_b32_e32 v52, 24, v52
	v_lshlrev_b32_e32 v25, 20, v25
	v_lshl_add_u32 v50, v50, 23, 0x3c000000
	v_and_b32_e32 v52, 0x80000000, v52
	v_or3_b32 v50, v25, v52, v50
.LBB174_55:                             ;   in Loop: Header=BB174_9 Depth=1
	s_or_b32 exec_lo, exec_lo, s31
.LBB174_56:                             ;   in Loop: Header=BB174_9 Depth=1
	s_or_b32 exec_lo, exec_lo, s30
.LBB174_57:                             ;   in Loop: Header=BB174_9 Depth=1
	s_or_b32 exec_lo, exec_lo, s3
	global_load_ubyte v54, v[31:32], off offset:136
	v_mov_b32_e32 v52, 0
	v_mov_b32_e32 v53, 0
	s_mov_b32 s3, exec_lo
	s_waitcnt vmcnt(0)
	v_cmpx_ne_u16_e32 0, v54
	s_cbranch_execz .LBB174_65
; %bb.58:                               ;   in Loop: Header=BB174_9 Depth=1
	v_bfrev_b32_e32 v53, 1
	s_mov_b32 s30, exec_lo
	v_cmpx_ne_u16_e32 0x80, v54
	s_cbranch_execz .LBB174_64
; %bb.59:                               ;   in Loop: Header=BB174_9 Depth=1
	v_and_b32_sdwa v55, v54, v43 dst_sel:DWORD dst_unused:UNUSED_PAD src0_sel:WORD_0 src1_sel:DWORD
	v_mov_b32_e32 v53, 0x7f800001
	s_mov_b32 s31, exec_lo
	v_cmpx_ne_u32_e32 0x7f, v55
	s_cbranch_execz .LBB174_63
; %bb.60:                               ;   in Loop: Header=BB174_9 Depth=1
	v_and_b32_sdwa v25, v54, v44 dst_sel:DWORD dst_unused:UNUSED_PAD src0_sel:WORD_0 src1_sel:DWORD
	v_lshrrev_b32_e32 v53, 3, v55
	s_mov_b32 s33, exec_lo
	v_cmpx_gt_u32_e32 8, v55
; %bb.61:                               ;   in Loop: Header=BB174_9 Depth=1
	v_ffbh_u32_e32 v53, v25
	v_min_u32_e32 v53, 32, v53
	v_subrev_nc_u32_e32 v55, 28, v53
	v_sub_nc_u32_e32 v53, 29, v53
	v_lshlrev_b64 v[55:56], v55, v[25:26]
	v_and_b32_e32 v25, 7, v55
; %bb.62:                               ;   in Loop: Header=BB174_9 Depth=1
	s_or_b32 exec_lo, exec_lo, s33
	v_lshlrev_b32_e32 v54, 24, v54
	v_lshlrev_b32_e32 v25, 20, v25
	v_lshl_add_u32 v53, v53, 23, 0x3c000000
	v_and_b32_e32 v54, 0x80000000, v54
	v_or3_b32 v53, v25, v54, v53
.LBB174_63:                             ;   in Loop: Header=BB174_9 Depth=1
	s_or_b32 exec_lo, exec_lo, s31
.LBB174_64:                             ;   in Loop: Header=BB174_9 Depth=1
	s_or_b32 exec_lo, exec_lo, s30
.LBB174_65:                             ;   in Loop: Header=BB174_9 Depth=1
	s_or_b32 exec_lo, exec_lo, s3
	global_load_ubyte v54, v[31:32], off offset:140
	s_mov_b32 s3, exec_lo
	s_waitcnt vmcnt(0)
	v_cmpx_ne_u16_e32 0, v54
	s_cbranch_execz .LBB174_73
; %bb.66:                               ;   in Loop: Header=BB174_9 Depth=1
	v_bfrev_b32_e32 v52, 1
	s_mov_b32 s30, exec_lo
	v_cmpx_ne_u16_e32 0x80, v54
	s_cbranch_execz .LBB174_72
; %bb.67:                               ;   in Loop: Header=BB174_9 Depth=1
	v_and_b32_sdwa v55, v54, v43 dst_sel:DWORD dst_unused:UNUSED_PAD src0_sel:WORD_0 src1_sel:DWORD
	v_mov_b32_e32 v52, 0x7f800001
	s_mov_b32 s31, exec_lo
	v_cmpx_ne_u32_e32 0x7f, v55
	s_cbranch_execz .LBB174_71
; %bb.68:                               ;   in Loop: Header=BB174_9 Depth=1
	v_and_b32_sdwa v25, v54, v44 dst_sel:DWORD dst_unused:UNUSED_PAD src0_sel:WORD_0 src1_sel:DWORD
	v_lshrrev_b32_e32 v52, 3, v55
	s_mov_b32 s33, exec_lo
	v_cmpx_gt_u32_e32 8, v55
; %bb.69:                               ;   in Loop: Header=BB174_9 Depth=1
	v_ffbh_u32_e32 v52, v25
	v_min_u32_e32 v52, 32, v52
	v_subrev_nc_u32_e32 v55, 28, v52
	v_sub_nc_u32_e32 v52, 29, v52
	v_lshlrev_b64 v[55:56], v55, v[25:26]
	v_and_b32_e32 v25, 7, v55
; %bb.70:                               ;   in Loop: Header=BB174_9 Depth=1
	s_or_b32 exec_lo, exec_lo, s33
	v_lshlrev_b32_e32 v54, 24, v54
	v_lshlrev_b32_e32 v25, 20, v25
	v_lshl_add_u32 v52, v52, 23, 0x3c000000
	v_and_b32_e32 v54, 0x80000000, v54
	v_or3_b32 v52, v25, v54, v52
.LBB174_71:                             ;   in Loop: Header=BB174_9 Depth=1
	s_or_b32 exec_lo, exec_lo, s31
.LBB174_72:                             ;   in Loop: Header=BB174_9 Depth=1
	s_or_b32 exec_lo, exec_lo, s30
.LBB174_73:                             ;   in Loop: Header=BB174_9 Depth=1
	s_or_b32 exec_lo, exec_lo, s3
	global_load_ubyte v56, v[31:32], off offset:256
	v_mov_b32_e32 v54, 0
	v_mov_b32_e32 v55, 0
	s_mov_b32 s3, exec_lo
	s_waitcnt vmcnt(0)
	v_cmpx_ne_u16_e32 0, v56
	s_cbranch_execz .LBB174_81
; %bb.74:                               ;   in Loop: Header=BB174_9 Depth=1
	v_bfrev_b32_e32 v55, 1
	s_mov_b32 s30, exec_lo
	v_cmpx_ne_u16_e32 0x80, v56
	s_cbranch_execz .LBB174_80
; %bb.75:                               ;   in Loop: Header=BB174_9 Depth=1
	v_and_b32_sdwa v57, v56, v43 dst_sel:DWORD dst_unused:UNUSED_PAD src0_sel:WORD_0 src1_sel:DWORD
	v_mov_b32_e32 v55, 0x7f800001
	s_mov_b32 s31, exec_lo
	v_cmpx_ne_u32_e32 0x7f, v57
	s_cbranch_execz .LBB174_79
; %bb.76:                               ;   in Loop: Header=BB174_9 Depth=1
	v_and_b32_sdwa v25, v56, v44 dst_sel:DWORD dst_unused:UNUSED_PAD src0_sel:WORD_0 src1_sel:DWORD
	v_lshrrev_b32_e32 v55, 3, v57
	s_mov_b32 s33, exec_lo
	v_cmpx_gt_u32_e32 8, v57
; %bb.77:                               ;   in Loop: Header=BB174_9 Depth=1
	v_ffbh_u32_e32 v55, v25
	v_min_u32_e32 v55, 32, v55
	v_subrev_nc_u32_e32 v57, 28, v55
	v_sub_nc_u32_e32 v55, 29, v55
	v_lshlrev_b64 v[57:58], v57, v[25:26]
	v_and_b32_e32 v25, 7, v57
; %bb.78:                               ;   in Loop: Header=BB174_9 Depth=1
	s_or_b32 exec_lo, exec_lo, s33
	v_lshlrev_b32_e32 v56, 24, v56
	v_lshlrev_b32_e32 v25, 20, v25
	v_lshl_add_u32 v55, v55, 23, 0x3c000000
	v_and_b32_e32 v56, 0x80000000, v56
	v_or3_b32 v55, v25, v56, v55
.LBB174_79:                             ;   in Loop: Header=BB174_9 Depth=1
	s_or_b32 exec_lo, exec_lo, s31
.LBB174_80:                             ;   in Loop: Header=BB174_9 Depth=1
	s_or_b32 exec_lo, exec_lo, s30
.LBB174_81:                             ;   in Loop: Header=BB174_9 Depth=1
	s_or_b32 exec_lo, exec_lo, s3
	global_load_ubyte v56, v[31:32], off offset:260
	s_mov_b32 s3, exec_lo
	s_waitcnt vmcnt(0)
	v_cmpx_ne_u16_e32 0, v56
	s_cbranch_execz .LBB174_89
; %bb.82:                               ;   in Loop: Header=BB174_9 Depth=1
	v_bfrev_b32_e32 v54, 1
	s_mov_b32 s30, exec_lo
	v_cmpx_ne_u16_e32 0x80, v56
	s_cbranch_execz .LBB174_88
; %bb.83:                               ;   in Loop: Header=BB174_9 Depth=1
	v_and_b32_sdwa v57, v56, v43 dst_sel:DWORD dst_unused:UNUSED_PAD src0_sel:WORD_0 src1_sel:DWORD
	v_mov_b32_e32 v54, 0x7f800001
	s_mov_b32 s31, exec_lo
	v_cmpx_ne_u32_e32 0x7f, v57
	s_cbranch_execz .LBB174_87
; %bb.84:                               ;   in Loop: Header=BB174_9 Depth=1
	v_and_b32_sdwa v25, v56, v44 dst_sel:DWORD dst_unused:UNUSED_PAD src0_sel:WORD_0 src1_sel:DWORD
	v_lshrrev_b32_e32 v54, 3, v57
	s_mov_b32 s33, exec_lo
	v_cmpx_gt_u32_e32 8, v57
; %bb.85:                               ;   in Loop: Header=BB174_9 Depth=1
	v_ffbh_u32_e32 v54, v25
	v_min_u32_e32 v54, 32, v54
	v_subrev_nc_u32_e32 v57, 28, v54
	v_sub_nc_u32_e32 v54, 29, v54
	v_lshlrev_b64 v[57:58], v57, v[25:26]
	v_and_b32_e32 v25, 7, v57
; %bb.86:                               ;   in Loop: Header=BB174_9 Depth=1
	s_or_b32 exec_lo, exec_lo, s33
	v_lshlrev_b32_e32 v56, 24, v56
	v_lshlrev_b32_e32 v25, 20, v25
	v_lshl_add_u32 v54, v54, 23, 0x3c000000
	v_and_b32_e32 v56, 0x80000000, v56
	v_or3_b32 v54, v25, v56, v54
.LBB174_87:                             ;   in Loop: Header=BB174_9 Depth=1
	s_or_b32 exec_lo, exec_lo, s31
.LBB174_88:                             ;   in Loop: Header=BB174_9 Depth=1
	s_or_b32 exec_lo, exec_lo, s30
.LBB174_89:                             ;   in Loop: Header=BB174_9 Depth=1
	s_or_b32 exec_lo, exec_lo, s3
	global_load_ubyte v58, v[31:32], off offset:264
	v_mov_b32_e32 v56, 0
	v_mov_b32_e32 v57, 0
	s_mov_b32 s3, exec_lo
	s_waitcnt vmcnt(0)
	v_cmpx_ne_u16_e32 0, v58
	s_cbranch_execz .LBB174_97
; %bb.90:                               ;   in Loop: Header=BB174_9 Depth=1
	v_bfrev_b32_e32 v57, 1
	s_mov_b32 s30, exec_lo
	v_cmpx_ne_u16_e32 0x80, v58
	s_cbranch_execz .LBB174_96
; %bb.91:                               ;   in Loop: Header=BB174_9 Depth=1
	v_and_b32_sdwa v59, v58, v43 dst_sel:DWORD dst_unused:UNUSED_PAD src0_sel:WORD_0 src1_sel:DWORD
	v_mov_b32_e32 v57, 0x7f800001
	s_mov_b32 s31, exec_lo
	v_cmpx_ne_u32_e32 0x7f, v59
	s_cbranch_execz .LBB174_95
; %bb.92:                               ;   in Loop: Header=BB174_9 Depth=1
	v_and_b32_sdwa v25, v58, v44 dst_sel:DWORD dst_unused:UNUSED_PAD src0_sel:WORD_0 src1_sel:DWORD
	v_lshrrev_b32_e32 v57, 3, v59
	s_mov_b32 s33, exec_lo
	v_cmpx_gt_u32_e32 8, v59
; %bb.93:                               ;   in Loop: Header=BB174_9 Depth=1
	v_ffbh_u32_e32 v57, v25
	v_min_u32_e32 v57, 32, v57
	v_subrev_nc_u32_e32 v59, 28, v57
	v_sub_nc_u32_e32 v57, 29, v57
	v_lshlrev_b64 v[59:60], v59, v[25:26]
	v_and_b32_e32 v25, 7, v59
; %bb.94:                               ;   in Loop: Header=BB174_9 Depth=1
	s_or_b32 exec_lo, exec_lo, s33
	v_lshlrev_b32_e32 v58, 24, v58
	v_lshlrev_b32_e32 v25, 20, v25
	v_lshl_add_u32 v57, v57, 23, 0x3c000000
	v_and_b32_e32 v58, 0x80000000, v58
	v_or3_b32 v57, v25, v58, v57
.LBB174_95:                             ;   in Loop: Header=BB174_9 Depth=1
	s_or_b32 exec_lo, exec_lo, s31
.LBB174_96:                             ;   in Loop: Header=BB174_9 Depth=1
	s_or_b32 exec_lo, exec_lo, s30
.LBB174_97:                             ;   in Loop: Header=BB174_9 Depth=1
	s_or_b32 exec_lo, exec_lo, s3
	global_load_ubyte v58, v[31:32], off offset:268
	s_mov_b32 s3, exec_lo
	s_waitcnt vmcnt(0)
	v_cmpx_ne_u16_e32 0, v58
	s_cbranch_execz .LBB174_105
; %bb.98:                               ;   in Loop: Header=BB174_9 Depth=1
	v_bfrev_b32_e32 v56, 1
	s_mov_b32 s30, exec_lo
	v_cmpx_ne_u16_e32 0x80, v58
	s_cbranch_execz .LBB174_104
; %bb.99:                               ;   in Loop: Header=BB174_9 Depth=1
	v_and_b32_sdwa v59, v58, v43 dst_sel:DWORD dst_unused:UNUSED_PAD src0_sel:WORD_0 src1_sel:DWORD
	v_mov_b32_e32 v56, 0x7f800001
	s_mov_b32 s31, exec_lo
	v_cmpx_ne_u32_e32 0x7f, v59
	s_cbranch_execz .LBB174_103
; %bb.100:                              ;   in Loop: Header=BB174_9 Depth=1
	v_and_b32_sdwa v25, v58, v44 dst_sel:DWORD dst_unused:UNUSED_PAD src0_sel:WORD_0 src1_sel:DWORD
	v_lshrrev_b32_e32 v56, 3, v59
	s_mov_b32 s33, exec_lo
	v_cmpx_gt_u32_e32 8, v59
; %bb.101:                              ;   in Loop: Header=BB174_9 Depth=1
	v_ffbh_u32_e32 v56, v25
	v_min_u32_e32 v56, 32, v56
	v_subrev_nc_u32_e32 v59, 28, v56
	v_sub_nc_u32_e32 v56, 29, v56
	v_lshlrev_b64 v[59:60], v59, v[25:26]
	v_and_b32_e32 v25, 7, v59
; %bb.102:                              ;   in Loop: Header=BB174_9 Depth=1
	s_or_b32 exec_lo, exec_lo, s33
	v_lshlrev_b32_e32 v58, 24, v58
	v_lshlrev_b32_e32 v25, 20, v25
	v_lshl_add_u32 v56, v56, 23, 0x3c000000
	v_and_b32_e32 v58, 0x80000000, v58
	v_or3_b32 v56, v25, v58, v56
.LBB174_103:                            ;   in Loop: Header=BB174_9 Depth=1
	s_or_b32 exec_lo, exec_lo, s31
.LBB174_104:                            ;   in Loop: Header=BB174_9 Depth=1
	s_or_b32 exec_lo, exec_lo, s30
.LBB174_105:                            ;   in Loop: Header=BB174_9 Depth=1
	s_or_b32 exec_lo, exec_lo, s3
	global_load_ubyte v60, v[31:32], off offset:384
	v_mov_b32_e32 v58, 0
	v_mov_b32_e32 v59, 0
	s_mov_b32 s3, exec_lo
	s_waitcnt vmcnt(0)
	v_cmpx_ne_u16_e32 0, v60
	s_cbranch_execz .LBB174_113
; %bb.106:                              ;   in Loop: Header=BB174_9 Depth=1
	v_bfrev_b32_e32 v59, 1
	s_mov_b32 s30, exec_lo
	v_cmpx_ne_u16_e32 0x80, v60
	s_cbranch_execz .LBB174_112
; %bb.107:                              ;   in Loop: Header=BB174_9 Depth=1
	v_and_b32_sdwa v61, v60, v43 dst_sel:DWORD dst_unused:UNUSED_PAD src0_sel:WORD_0 src1_sel:DWORD
	v_mov_b32_e32 v59, 0x7f800001
	s_mov_b32 s31, exec_lo
	v_cmpx_ne_u32_e32 0x7f, v61
	s_cbranch_execz .LBB174_111
; %bb.108:                              ;   in Loop: Header=BB174_9 Depth=1
	v_and_b32_sdwa v25, v60, v44 dst_sel:DWORD dst_unused:UNUSED_PAD src0_sel:WORD_0 src1_sel:DWORD
	v_lshrrev_b32_e32 v59, 3, v61
	s_mov_b32 s33, exec_lo
	v_cmpx_gt_u32_e32 8, v61
; %bb.109:                              ;   in Loop: Header=BB174_9 Depth=1
	v_ffbh_u32_e32 v59, v25
	v_min_u32_e32 v59, 32, v59
	v_subrev_nc_u32_e32 v61, 28, v59
	v_sub_nc_u32_e32 v59, 29, v59
	v_lshlrev_b64 v[61:62], v61, v[25:26]
	v_and_b32_e32 v25, 7, v61
; %bb.110:                              ;   in Loop: Header=BB174_9 Depth=1
	s_or_b32 exec_lo, exec_lo, s33
	v_lshlrev_b32_e32 v60, 24, v60
	v_lshlrev_b32_e32 v25, 20, v25
	v_lshl_add_u32 v59, v59, 23, 0x3c000000
	v_and_b32_e32 v60, 0x80000000, v60
	v_or3_b32 v59, v25, v60, v59
.LBB174_111:                            ;   in Loop: Header=BB174_9 Depth=1
	s_or_b32 exec_lo, exec_lo, s31
.LBB174_112:                            ;   in Loop: Header=BB174_9 Depth=1
	s_or_b32 exec_lo, exec_lo, s30
.LBB174_113:                            ;   in Loop: Header=BB174_9 Depth=1
	s_or_b32 exec_lo, exec_lo, s3
	global_load_ubyte v60, v[31:32], off offset:388
	s_mov_b32 s3, exec_lo
	s_waitcnt vmcnt(0)
	v_cmpx_ne_u16_e32 0, v60
	s_cbranch_execz .LBB174_121
; %bb.114:                              ;   in Loop: Header=BB174_9 Depth=1
	v_bfrev_b32_e32 v58, 1
	s_mov_b32 s30, exec_lo
	v_cmpx_ne_u16_e32 0x80, v60
	s_cbranch_execz .LBB174_120
; %bb.115:                              ;   in Loop: Header=BB174_9 Depth=1
	v_and_b32_sdwa v61, v60, v43 dst_sel:DWORD dst_unused:UNUSED_PAD src0_sel:WORD_0 src1_sel:DWORD
	v_mov_b32_e32 v58, 0x7f800001
	s_mov_b32 s31, exec_lo
	v_cmpx_ne_u32_e32 0x7f, v61
	s_cbranch_execz .LBB174_119
; %bb.116:                              ;   in Loop: Header=BB174_9 Depth=1
	v_and_b32_sdwa v25, v60, v44 dst_sel:DWORD dst_unused:UNUSED_PAD src0_sel:WORD_0 src1_sel:DWORD
	v_lshrrev_b32_e32 v58, 3, v61
	s_mov_b32 s33, exec_lo
	v_cmpx_gt_u32_e32 8, v61
; %bb.117:                              ;   in Loop: Header=BB174_9 Depth=1
	v_ffbh_u32_e32 v58, v25
	v_min_u32_e32 v58, 32, v58
	v_subrev_nc_u32_e32 v61, 28, v58
	v_sub_nc_u32_e32 v58, 29, v58
	v_lshlrev_b64 v[61:62], v61, v[25:26]
	v_and_b32_e32 v25, 7, v61
; %bb.118:                              ;   in Loop: Header=BB174_9 Depth=1
	s_or_b32 exec_lo, exec_lo, s33
	v_lshlrev_b32_e32 v60, 24, v60
	v_lshlrev_b32_e32 v25, 20, v25
	v_lshl_add_u32 v58, v58, 23, 0x3c000000
	v_and_b32_e32 v60, 0x80000000, v60
	v_or3_b32 v58, v25, v60, v58
.LBB174_119:                            ;   in Loop: Header=BB174_9 Depth=1
	s_or_b32 exec_lo, exec_lo, s31
.LBB174_120:                            ;   in Loop: Header=BB174_9 Depth=1
	s_or_b32 exec_lo, exec_lo, s30
.LBB174_121:                            ;   in Loop: Header=BB174_9 Depth=1
	s_or_b32 exec_lo, exec_lo, s3
	global_load_ubyte v62, v[31:32], off offset:392
	v_mov_b32_e32 v60, 0
	v_mov_b32_e32 v61, 0
	s_mov_b32 s3, exec_lo
	s_waitcnt vmcnt(0)
	v_cmpx_ne_u16_e32 0, v62
	s_cbranch_execz .LBB174_129
; %bb.122:                              ;   in Loop: Header=BB174_9 Depth=1
	v_bfrev_b32_e32 v61, 1
	s_mov_b32 s30, exec_lo
	v_cmpx_ne_u16_e32 0x80, v62
	s_cbranch_execz .LBB174_128
; %bb.123:                              ;   in Loop: Header=BB174_9 Depth=1
	v_and_b32_sdwa v63, v62, v43 dst_sel:DWORD dst_unused:UNUSED_PAD src0_sel:WORD_0 src1_sel:DWORD
	v_mov_b32_e32 v61, 0x7f800001
	s_mov_b32 s31, exec_lo
	v_cmpx_ne_u32_e32 0x7f, v63
	s_cbranch_execz .LBB174_127
; %bb.124:                              ;   in Loop: Header=BB174_9 Depth=1
	v_and_b32_sdwa v25, v62, v44 dst_sel:DWORD dst_unused:UNUSED_PAD src0_sel:WORD_0 src1_sel:DWORD
	v_lshrrev_b32_e32 v61, 3, v63
	s_mov_b32 s33, exec_lo
	v_cmpx_gt_u32_e32 8, v63
; %bb.125:                              ;   in Loop: Header=BB174_9 Depth=1
	v_ffbh_u32_e32 v61, v25
	v_min_u32_e32 v61, 32, v61
	v_subrev_nc_u32_e32 v63, 28, v61
	v_sub_nc_u32_e32 v61, 29, v61
	v_lshlrev_b64 v[63:64], v63, v[25:26]
	v_and_b32_e32 v25, 7, v63
; %bb.126:                              ;   in Loop: Header=BB174_9 Depth=1
	s_or_b32 exec_lo, exec_lo, s33
	v_lshlrev_b32_e32 v62, 24, v62
	v_lshlrev_b32_e32 v25, 20, v25
	v_lshl_add_u32 v61, v61, 23, 0x3c000000
	v_and_b32_e32 v62, 0x80000000, v62
	v_or3_b32 v61, v25, v62, v61
.LBB174_127:                            ;   in Loop: Header=BB174_9 Depth=1
	s_or_b32 exec_lo, exec_lo, s31
.LBB174_128:                            ;   in Loop: Header=BB174_9 Depth=1
	s_or_b32 exec_lo, exec_lo, s30
.LBB174_129:                            ;   in Loop: Header=BB174_9 Depth=1
	s_or_b32 exec_lo, exec_lo, s3
	global_load_ubyte v62, v[31:32], off offset:396
	s_mov_b32 s3, exec_lo
	s_waitcnt vmcnt(0)
	v_cmpx_ne_u16_e32 0, v62
	s_cbranch_execz .LBB174_137
; %bb.130:                              ;   in Loop: Header=BB174_9 Depth=1
	v_bfrev_b32_e32 v60, 1
	s_mov_b32 s30, exec_lo
	v_cmpx_ne_u16_e32 0x80, v62
	s_cbranch_execz .LBB174_136
; %bb.131:                              ;   in Loop: Header=BB174_9 Depth=1
	v_and_b32_sdwa v63, v62, v43 dst_sel:DWORD dst_unused:UNUSED_PAD src0_sel:WORD_0 src1_sel:DWORD
	v_mov_b32_e32 v60, 0x7f800001
	s_mov_b32 s31, exec_lo
	v_cmpx_ne_u32_e32 0x7f, v63
	s_cbranch_execz .LBB174_135
; %bb.132:                              ;   in Loop: Header=BB174_9 Depth=1
	v_and_b32_sdwa v25, v62, v44 dst_sel:DWORD dst_unused:UNUSED_PAD src0_sel:WORD_0 src1_sel:DWORD
	v_lshrrev_b32_e32 v60, 3, v63
	s_mov_b32 s33, exec_lo
	v_cmpx_gt_u32_e32 8, v63
; %bb.133:                              ;   in Loop: Header=BB174_9 Depth=1
	v_ffbh_u32_e32 v60, v25
	v_min_u32_e32 v60, 32, v60
	v_subrev_nc_u32_e32 v63, 28, v60
	v_sub_nc_u32_e32 v60, 29, v60
	v_lshlrev_b64 v[63:64], v63, v[25:26]
	v_and_b32_e32 v25, 7, v63
; %bb.134:                              ;   in Loop: Header=BB174_9 Depth=1
	s_or_b32 exec_lo, exec_lo, s33
	v_lshlrev_b32_e32 v62, 24, v62
	v_lshlrev_b32_e32 v25, 20, v25
	v_lshl_add_u32 v60, v60, 23, 0x3c000000
	v_and_b32_e32 v62, 0x80000000, v62
	v_or3_b32 v60, v25, v62, v60
.LBB174_135:                            ;   in Loop: Header=BB174_9 Depth=1
	s_or_b32 exec_lo, exec_lo, s31
.LBB174_136:                            ;   in Loop: Header=BB174_9 Depth=1
	s_or_b32 exec_lo, exec_lo, s30
.LBB174_137:                            ;   in Loop: Header=BB174_9 Depth=1
	s_or_b32 exec_lo, exec_lo, s3
	global_load_ubyte v64, v[31:32], off offset:512
	v_mov_b32_e32 v62, 0
	v_mov_b32_e32 v63, 0
	s_mov_b32 s3, exec_lo
	s_waitcnt vmcnt(0)
	v_cmpx_ne_u16_e32 0, v64
	s_cbranch_execz .LBB174_145
; %bb.138:                              ;   in Loop: Header=BB174_9 Depth=1
	v_bfrev_b32_e32 v63, 1
	s_mov_b32 s30, exec_lo
	v_cmpx_ne_u16_e32 0x80, v64
	s_cbranch_execz .LBB174_144
; %bb.139:                              ;   in Loop: Header=BB174_9 Depth=1
	v_and_b32_sdwa v65, v64, v43 dst_sel:DWORD dst_unused:UNUSED_PAD src0_sel:WORD_0 src1_sel:DWORD
	v_mov_b32_e32 v63, 0x7f800001
	s_mov_b32 s31, exec_lo
	v_cmpx_ne_u32_e32 0x7f, v65
	s_cbranch_execz .LBB174_143
; %bb.140:                              ;   in Loop: Header=BB174_9 Depth=1
	v_and_b32_sdwa v25, v64, v44 dst_sel:DWORD dst_unused:UNUSED_PAD src0_sel:WORD_0 src1_sel:DWORD
	v_lshrrev_b32_e32 v63, 3, v65
	s_mov_b32 s33, exec_lo
	v_cmpx_gt_u32_e32 8, v65
; %bb.141:                              ;   in Loop: Header=BB174_9 Depth=1
	v_ffbh_u32_e32 v63, v25
	v_min_u32_e32 v63, 32, v63
	v_subrev_nc_u32_e32 v65, 28, v63
	v_sub_nc_u32_e32 v63, 29, v63
	v_lshlrev_b64 v[65:66], v65, v[25:26]
	v_and_b32_e32 v25, 7, v65
; %bb.142:                              ;   in Loop: Header=BB174_9 Depth=1
	s_or_b32 exec_lo, exec_lo, s33
	v_lshlrev_b32_e32 v64, 24, v64
	v_lshlrev_b32_e32 v25, 20, v25
	v_lshl_add_u32 v63, v63, 23, 0x3c000000
	v_and_b32_e32 v64, 0x80000000, v64
	v_or3_b32 v63, v25, v64, v63
.LBB174_143:                            ;   in Loop: Header=BB174_9 Depth=1
	s_or_b32 exec_lo, exec_lo, s31
.LBB174_144:                            ;   in Loop: Header=BB174_9 Depth=1
	s_or_b32 exec_lo, exec_lo, s30
.LBB174_145:                            ;   in Loop: Header=BB174_9 Depth=1
	s_or_b32 exec_lo, exec_lo, s3
	global_load_ubyte v64, v[31:32], off offset:516
	s_mov_b32 s3, exec_lo
	s_waitcnt vmcnt(0)
	v_cmpx_ne_u16_e32 0, v64
	s_cbranch_execz .LBB174_153
; %bb.146:                              ;   in Loop: Header=BB174_9 Depth=1
	v_bfrev_b32_e32 v62, 1
	s_mov_b32 s30, exec_lo
	v_cmpx_ne_u16_e32 0x80, v64
	s_cbranch_execz .LBB174_152
; %bb.147:                              ;   in Loop: Header=BB174_9 Depth=1
	v_and_b32_sdwa v65, v64, v43 dst_sel:DWORD dst_unused:UNUSED_PAD src0_sel:WORD_0 src1_sel:DWORD
	v_mov_b32_e32 v62, 0x7f800001
	s_mov_b32 s31, exec_lo
	v_cmpx_ne_u32_e32 0x7f, v65
	s_cbranch_execz .LBB174_151
; %bb.148:                              ;   in Loop: Header=BB174_9 Depth=1
	v_and_b32_sdwa v25, v64, v44 dst_sel:DWORD dst_unused:UNUSED_PAD src0_sel:WORD_0 src1_sel:DWORD
	v_lshrrev_b32_e32 v62, 3, v65
	s_mov_b32 s33, exec_lo
	v_cmpx_gt_u32_e32 8, v65
; %bb.149:                              ;   in Loop: Header=BB174_9 Depth=1
	v_ffbh_u32_e32 v62, v25
	v_min_u32_e32 v62, 32, v62
	v_subrev_nc_u32_e32 v65, 28, v62
	v_sub_nc_u32_e32 v62, 29, v62
	v_lshlrev_b64 v[65:66], v65, v[25:26]
	v_and_b32_e32 v25, 7, v65
; %bb.150:                              ;   in Loop: Header=BB174_9 Depth=1
	s_or_b32 exec_lo, exec_lo, s33
	v_lshlrev_b32_e32 v64, 24, v64
	v_lshlrev_b32_e32 v25, 20, v25
	v_lshl_add_u32 v62, v62, 23, 0x3c000000
	v_and_b32_e32 v64, 0x80000000, v64
	v_or3_b32 v62, v25, v64, v62
.LBB174_151:                            ;   in Loop: Header=BB174_9 Depth=1
	s_or_b32 exec_lo, exec_lo, s31
.LBB174_152:                            ;   in Loop: Header=BB174_9 Depth=1
	s_or_b32 exec_lo, exec_lo, s30
.LBB174_153:                            ;   in Loop: Header=BB174_9 Depth=1
	s_or_b32 exec_lo, exec_lo, s3
	global_load_ubyte v66, v[31:32], off offset:520
	v_mov_b32_e32 v64, 0
	v_mov_b32_e32 v65, 0
	s_mov_b32 s3, exec_lo
	s_waitcnt vmcnt(0)
	v_cmpx_ne_u16_e32 0, v66
	s_cbranch_execz .LBB174_161
; %bb.154:                              ;   in Loop: Header=BB174_9 Depth=1
	v_bfrev_b32_e32 v65, 1
	s_mov_b32 s30, exec_lo
	v_cmpx_ne_u16_e32 0x80, v66
	s_cbranch_execz .LBB174_160
; %bb.155:                              ;   in Loop: Header=BB174_9 Depth=1
	v_and_b32_sdwa v67, v66, v43 dst_sel:DWORD dst_unused:UNUSED_PAD src0_sel:WORD_0 src1_sel:DWORD
	v_mov_b32_e32 v65, 0x7f800001
	s_mov_b32 s31, exec_lo
	v_cmpx_ne_u32_e32 0x7f, v67
	s_cbranch_execz .LBB174_159
; %bb.156:                              ;   in Loop: Header=BB174_9 Depth=1
	v_and_b32_sdwa v25, v66, v44 dst_sel:DWORD dst_unused:UNUSED_PAD src0_sel:WORD_0 src1_sel:DWORD
	v_lshrrev_b32_e32 v65, 3, v67
	s_mov_b32 s33, exec_lo
	v_cmpx_gt_u32_e32 8, v67
; %bb.157:                              ;   in Loop: Header=BB174_9 Depth=1
	v_ffbh_u32_e32 v65, v25
	v_min_u32_e32 v65, 32, v65
	v_subrev_nc_u32_e32 v67, 28, v65
	v_sub_nc_u32_e32 v65, 29, v65
	v_lshlrev_b64 v[67:68], v67, v[25:26]
	v_and_b32_e32 v25, 7, v67
; %bb.158:                              ;   in Loop: Header=BB174_9 Depth=1
	s_or_b32 exec_lo, exec_lo, s33
	v_lshlrev_b32_e32 v66, 24, v66
	v_lshlrev_b32_e32 v25, 20, v25
	v_lshl_add_u32 v65, v65, 23, 0x3c000000
	v_and_b32_e32 v66, 0x80000000, v66
	v_or3_b32 v65, v25, v66, v65
.LBB174_159:                            ;   in Loop: Header=BB174_9 Depth=1
	s_or_b32 exec_lo, exec_lo, s31
.LBB174_160:                            ;   in Loop: Header=BB174_9 Depth=1
	s_or_b32 exec_lo, exec_lo, s30
.LBB174_161:                            ;   in Loop: Header=BB174_9 Depth=1
	s_or_b32 exec_lo, exec_lo, s3
	global_load_ubyte v66, v[31:32], off offset:524
	s_mov_b32 s3, exec_lo
	s_waitcnt vmcnt(0)
	v_cmpx_ne_u16_e32 0, v66
	s_cbranch_execz .LBB174_169
; %bb.162:                              ;   in Loop: Header=BB174_9 Depth=1
	v_bfrev_b32_e32 v64, 1
	s_mov_b32 s30, exec_lo
	v_cmpx_ne_u16_e32 0x80, v66
	s_cbranch_execz .LBB174_168
; %bb.163:                              ;   in Loop: Header=BB174_9 Depth=1
	v_and_b32_sdwa v67, v66, v43 dst_sel:DWORD dst_unused:UNUSED_PAD src0_sel:WORD_0 src1_sel:DWORD
	v_mov_b32_e32 v64, 0x7f800001
	s_mov_b32 s31, exec_lo
	v_cmpx_ne_u32_e32 0x7f, v67
	s_cbranch_execz .LBB174_167
; %bb.164:                              ;   in Loop: Header=BB174_9 Depth=1
	v_and_b32_sdwa v25, v66, v44 dst_sel:DWORD dst_unused:UNUSED_PAD src0_sel:WORD_0 src1_sel:DWORD
	v_lshrrev_b32_e32 v64, 3, v67
	s_mov_b32 s33, exec_lo
	v_cmpx_gt_u32_e32 8, v67
; %bb.165:                              ;   in Loop: Header=BB174_9 Depth=1
	v_ffbh_u32_e32 v64, v25
	v_min_u32_e32 v64, 32, v64
	v_subrev_nc_u32_e32 v67, 28, v64
	v_sub_nc_u32_e32 v64, 29, v64
	v_lshlrev_b64 v[67:68], v67, v[25:26]
	v_and_b32_e32 v25, 7, v67
; %bb.166:                              ;   in Loop: Header=BB174_9 Depth=1
	s_or_b32 exec_lo, exec_lo, s33
	v_lshlrev_b32_e32 v66, 24, v66
	v_lshlrev_b32_e32 v25, 20, v25
	v_lshl_add_u32 v64, v64, 23, 0x3c000000
	v_and_b32_e32 v66, 0x80000000, v66
	v_or3_b32 v64, v25, v66, v64
.LBB174_167:                            ;   in Loop: Header=BB174_9 Depth=1
	s_or_b32 exec_lo, exec_lo, s31
.LBB174_168:                            ;   in Loop: Header=BB174_9 Depth=1
	s_or_b32 exec_lo, exec_lo, s30
.LBB174_169:                            ;   in Loop: Header=BB174_9 Depth=1
	s_or_b32 exec_lo, exec_lo, s3
	global_load_ubyte v68, v[31:32], off offset:640
	v_mov_b32_e32 v66, 0
	v_mov_b32_e32 v67, 0
	s_mov_b32 s3, exec_lo
	s_waitcnt vmcnt(0)
	v_cmpx_ne_u16_e32 0, v68
	s_cbranch_execz .LBB174_177
; %bb.170:                              ;   in Loop: Header=BB174_9 Depth=1
	v_bfrev_b32_e32 v67, 1
	s_mov_b32 s30, exec_lo
	v_cmpx_ne_u16_e32 0x80, v68
	s_cbranch_execz .LBB174_176
; %bb.171:                              ;   in Loop: Header=BB174_9 Depth=1
	v_and_b32_sdwa v69, v68, v43 dst_sel:DWORD dst_unused:UNUSED_PAD src0_sel:WORD_0 src1_sel:DWORD
	v_mov_b32_e32 v67, 0x7f800001
	s_mov_b32 s31, exec_lo
	v_cmpx_ne_u32_e32 0x7f, v69
	s_cbranch_execz .LBB174_175
; %bb.172:                              ;   in Loop: Header=BB174_9 Depth=1
	v_and_b32_sdwa v25, v68, v44 dst_sel:DWORD dst_unused:UNUSED_PAD src0_sel:WORD_0 src1_sel:DWORD
	v_lshrrev_b32_e32 v67, 3, v69
	s_mov_b32 s33, exec_lo
	v_cmpx_gt_u32_e32 8, v69
; %bb.173:                              ;   in Loop: Header=BB174_9 Depth=1
	v_ffbh_u32_e32 v67, v25
	v_min_u32_e32 v67, 32, v67
	v_subrev_nc_u32_e32 v69, 28, v67
	v_sub_nc_u32_e32 v67, 29, v67
	v_lshlrev_b64 v[69:70], v69, v[25:26]
	v_and_b32_e32 v25, 7, v69
; %bb.174:                              ;   in Loop: Header=BB174_9 Depth=1
	s_or_b32 exec_lo, exec_lo, s33
	v_lshlrev_b32_e32 v68, 24, v68
	v_lshlrev_b32_e32 v25, 20, v25
	v_lshl_add_u32 v67, v67, 23, 0x3c000000
	v_and_b32_e32 v68, 0x80000000, v68
	v_or3_b32 v67, v25, v68, v67
.LBB174_175:                            ;   in Loop: Header=BB174_9 Depth=1
	s_or_b32 exec_lo, exec_lo, s31
.LBB174_176:                            ;   in Loop: Header=BB174_9 Depth=1
	s_or_b32 exec_lo, exec_lo, s30
.LBB174_177:                            ;   in Loop: Header=BB174_9 Depth=1
	s_or_b32 exec_lo, exec_lo, s3
	global_load_ubyte v68, v[31:32], off offset:644
	s_mov_b32 s3, exec_lo
	s_waitcnt vmcnt(0)
	v_cmpx_ne_u16_e32 0, v68
	s_cbranch_execz .LBB174_185
; %bb.178:                              ;   in Loop: Header=BB174_9 Depth=1
	v_bfrev_b32_e32 v66, 1
	s_mov_b32 s30, exec_lo
	v_cmpx_ne_u16_e32 0x80, v68
	s_cbranch_execz .LBB174_184
; %bb.179:                              ;   in Loop: Header=BB174_9 Depth=1
	v_and_b32_sdwa v69, v68, v43 dst_sel:DWORD dst_unused:UNUSED_PAD src0_sel:WORD_0 src1_sel:DWORD
	v_mov_b32_e32 v66, 0x7f800001
	s_mov_b32 s31, exec_lo
	v_cmpx_ne_u32_e32 0x7f, v69
	s_cbranch_execz .LBB174_183
; %bb.180:                              ;   in Loop: Header=BB174_9 Depth=1
	v_and_b32_sdwa v25, v68, v44 dst_sel:DWORD dst_unused:UNUSED_PAD src0_sel:WORD_0 src1_sel:DWORD
	v_lshrrev_b32_e32 v66, 3, v69
	s_mov_b32 s33, exec_lo
	v_cmpx_gt_u32_e32 8, v69
; %bb.181:                              ;   in Loop: Header=BB174_9 Depth=1
	v_ffbh_u32_e32 v66, v25
	v_min_u32_e32 v66, 32, v66
	v_subrev_nc_u32_e32 v69, 28, v66
	v_sub_nc_u32_e32 v66, 29, v66
	v_lshlrev_b64 v[69:70], v69, v[25:26]
	v_and_b32_e32 v25, 7, v69
; %bb.182:                              ;   in Loop: Header=BB174_9 Depth=1
	s_or_b32 exec_lo, exec_lo, s33
	v_lshlrev_b32_e32 v68, 24, v68
	v_lshlrev_b32_e32 v25, 20, v25
	v_lshl_add_u32 v66, v66, 23, 0x3c000000
	v_and_b32_e32 v68, 0x80000000, v68
	v_or3_b32 v66, v25, v68, v66
.LBB174_183:                            ;   in Loop: Header=BB174_9 Depth=1
	s_or_b32 exec_lo, exec_lo, s31
.LBB174_184:                            ;   in Loop: Header=BB174_9 Depth=1
	s_or_b32 exec_lo, exec_lo, s30
.LBB174_185:                            ;   in Loop: Header=BB174_9 Depth=1
	s_or_b32 exec_lo, exec_lo, s3
	global_load_ubyte v70, v[31:32], off offset:648
	v_mov_b32_e32 v68, 0
	v_mov_b32_e32 v69, 0
	s_mov_b32 s3, exec_lo
	s_waitcnt vmcnt(0)
	v_cmpx_ne_u16_e32 0, v70
	s_cbranch_execz .LBB174_193
; %bb.186:                              ;   in Loop: Header=BB174_9 Depth=1
	v_bfrev_b32_e32 v69, 1
	s_mov_b32 s30, exec_lo
	v_cmpx_ne_u16_e32 0x80, v70
	s_cbranch_execz .LBB174_192
; %bb.187:                              ;   in Loop: Header=BB174_9 Depth=1
	v_and_b32_sdwa v71, v70, v43 dst_sel:DWORD dst_unused:UNUSED_PAD src0_sel:WORD_0 src1_sel:DWORD
	v_mov_b32_e32 v69, 0x7f800001
	s_mov_b32 s31, exec_lo
	v_cmpx_ne_u32_e32 0x7f, v71
	s_cbranch_execz .LBB174_191
; %bb.188:                              ;   in Loop: Header=BB174_9 Depth=1
	v_and_b32_sdwa v25, v70, v44 dst_sel:DWORD dst_unused:UNUSED_PAD src0_sel:WORD_0 src1_sel:DWORD
	v_lshrrev_b32_e32 v69, 3, v71
	s_mov_b32 s33, exec_lo
	v_cmpx_gt_u32_e32 8, v71
; %bb.189:                              ;   in Loop: Header=BB174_9 Depth=1
	v_ffbh_u32_e32 v69, v25
	v_min_u32_e32 v69, 32, v69
	v_subrev_nc_u32_e32 v71, 28, v69
	v_sub_nc_u32_e32 v69, 29, v69
	v_lshlrev_b64 v[71:72], v71, v[25:26]
	v_and_b32_e32 v25, 7, v71
; %bb.190:                              ;   in Loop: Header=BB174_9 Depth=1
	s_or_b32 exec_lo, exec_lo, s33
	v_lshlrev_b32_e32 v70, 24, v70
	v_lshlrev_b32_e32 v25, 20, v25
	v_lshl_add_u32 v69, v69, 23, 0x3c000000
	v_and_b32_e32 v70, 0x80000000, v70
	v_or3_b32 v69, v25, v70, v69
.LBB174_191:                            ;   in Loop: Header=BB174_9 Depth=1
	s_or_b32 exec_lo, exec_lo, s31
.LBB174_192:                            ;   in Loop: Header=BB174_9 Depth=1
	s_or_b32 exec_lo, exec_lo, s30
.LBB174_193:                            ;   in Loop: Header=BB174_9 Depth=1
	s_or_b32 exec_lo, exec_lo, s3
	global_load_ubyte v31, v[31:32], off offset:652
	s_mov_b32 s3, exec_lo
	s_waitcnt vmcnt(0)
	v_cmpx_ne_u16_e32 0, v31
	s_cbranch_execz .LBB174_201
; %bb.194:                              ;   in Loop: Header=BB174_9 Depth=1
	v_bfrev_b32_e32 v68, 1
	s_mov_b32 s30, exec_lo
	v_cmpx_ne_u16_e32 0x80, v31
	s_cbranch_execz .LBB174_200
; %bb.195:                              ;   in Loop: Header=BB174_9 Depth=1
	v_and_b32_sdwa v70, v31, v43 dst_sel:DWORD dst_unused:UNUSED_PAD src0_sel:WORD_0 src1_sel:DWORD
	v_mov_b32_e32 v68, 0x7f800001
	s_mov_b32 s31, exec_lo
	v_cmpx_ne_u32_e32 0x7f, v70
	s_cbranch_execz .LBB174_199
; %bb.196:                              ;   in Loop: Header=BB174_9 Depth=1
	v_and_b32_sdwa v25, v31, v44 dst_sel:DWORD dst_unused:UNUSED_PAD src0_sel:WORD_0 src1_sel:DWORD
	v_lshrrev_b32_e32 v32, 3, v70
	s_mov_b32 s33, exec_lo
	v_cmpx_gt_u32_e32 8, v70
; %bb.197:                              ;   in Loop: Header=BB174_9 Depth=1
	v_ffbh_u32_e32 v32, v25
	v_min_u32_e32 v32, 32, v32
	v_subrev_nc_u32_e32 v68, 28, v32
	v_sub_nc_u32_e32 v32, 29, v32
	v_lshlrev_b64 v[70:71], v68, v[25:26]
	v_and_b32_e32 v25, 7, v70
; %bb.198:                              ;   in Loop: Header=BB174_9 Depth=1
	s_or_b32 exec_lo, exec_lo, s33
	v_lshlrev_b32_e32 v31, 24, v31
	v_lshlrev_b32_e32 v25, 20, v25
	v_lshl_add_u32 v32, v32, 23, 0x3c000000
	v_and_b32_e32 v31, 0x80000000, v31
	v_or3_b32 v68, v25, v31, v32
.LBB174_199:                            ;   in Loop: Header=BB174_9 Depth=1
	s_or_b32 exec_lo, exec_lo, s31
.LBB174_200:                            ;   in Loop: Header=BB174_9 Depth=1
	s_or_b32 exec_lo, exec_lo, s30
.LBB174_201:                            ;   in Loop: Header=BB174_9 Depth=1
	s_or_b32 exec_lo, exec_lo, s3
	s_waitcnt lgkmcnt(0)
	v_mul_f32_e32 v25, s4, v46
	v_mul_f32_e32 v31, s4, v47
	;; [unrolled: 1-line block ×4, first 2 shown]
	v_fmac_f32_e32 v25, v1, v31
	v_mul_f32_e32 v31, s4, v48
	v_fmac_f32_e32 v25, v3, v32
	v_mul_f32_e32 v32, s4, v51
	;; [unrolled: 2-line block ×21, first 2 shown]
	v_fmac_f32_e32 v25, v23, v32
	v_fmac_f32_e32 v25, v24, v31
	ds_bpermute_b32 v31, v39, v25
	s_waitcnt lgkmcnt(0)
	v_add_f32_e32 v25, v25, v31
	ds_bpermute_b32 v31, v40, v25
	s_and_saveexec_b32 s3, vcc_lo
	s_cbranch_execz .LBB174_8
; %bb.202:                              ;   in Loop: Header=BB174_9 Depth=1
	v_add_nc_u32_e32 v32, s5, v41
	s_waitcnt lgkmcnt(0)
	v_add_f32_e32 v25, v25, v31
	v_cmp_gt_i32_e64 s2, s11, v41
	v_cvt_f32_i32_e32 v32, v32
	v_mul_f32_e32 v32, s28, v32
	v_cndmask_b32_e64 v31, 0, v32, s1
	v_max_f32_e32 v32, v38, v38
	v_fmac_f32_e32 v31, s29, v25
	v_max_f32_e32 v25, v32, v31
	v_cndmask_b32_e64 v31, 0, v31, s2
	v_cndmask_b32_e64 v38, v38, v25, s2
	ds_write_b32 v42, v31
	s_branch .LBB174_8
.LBB174_203:
	s_or_b32 exec_lo, exec_lo, s16
.LBB174_204:
	s_or_b32 exec_lo, exec_lo, s15
	v_xor_b32_e32 v1, 16, v35
	v_xor_b32_e32 v3, 8, v35
	v_max_f32_e32 v4, v38, v38
	v_xor_b32_e32 v5, 4, v35
	v_and_b32_e32 v25, 31, v0
	v_cmp_lt_i32_e32 vcc_lo, v1, v37
	v_cndmask_b32_e32 v1, v35, v1, vcc_lo
	v_cmp_lt_i32_e32 vcc_lo, v3, v37
	v_lshlrev_b32_e32 v2, 2, v1
	v_cndmask_b32_e32 v3, v35, v3, vcc_lo
	v_cmp_lt_i32_e32 vcc_lo, v5, v37
	ds_bpermute_b32 v1, v2, v38
	v_lshlrev_b32_e32 v3, 2, v3
	v_cndmask_b32_e32 v5, v35, v5, vcc_lo
	v_cmp_eq_u32_e32 vcc_lo, 0, v25
	v_lshlrev_b32_e32 v6, 2, v5
	s_waitcnt lgkmcnt(0)
	v_max_f32_e32 v1, v1, v1
	v_max_f32_e32 v1, v4, v1
	ds_bpermute_b32 v4, v3, v1
	s_waitcnt lgkmcnt(0)
	v_max_f32_e32 v4, v4, v4
	v_max_f32_e32 v1, v1, v4
	v_lshlrev_b32_e32 v4, 2, v33
	ds_bpermute_b32 v5, v6, v1
	s_and_saveexec_b32 s1, vcc_lo
	s_cbranch_execz .LBB174_206
; %bb.205:
	s_waitcnt lgkmcnt(0)
	v_max_f32_e32 v5, v5, v5
	v_max_f32_e32 v1, v1, v1
	;; [unrolled: 1-line block ×3, first 2 shown]
	ds_write_b32 v4, v1 offset:384
.LBB174_206:
	s_or_b32 exec_lo, exec_lo, s1
	v_cmp_gt_u32_e64 s1, 4, v25
	v_mov_b32_e32 v1, 0xff7fffff
	s_waitcnt lgkmcnt(0)
	v_lshlrev_b32_e32 v5, 2, v25
	s_barrier
	buffer_gl0_inv
	s_and_saveexec_b32 s2, s1
; %bb.207:
	ds_read_b32 v1, v5 offset:384
; %bb.208:
	s_or_b32 exec_lo, exec_lo, s2
	v_xor_b32_e32 v7, 2, v35
	v_xor_b32_e32 v9, 1, v35
	v_cmp_lt_i32_e64 s2, v7, v37
	v_cndmask_b32_e64 v7, v35, v7, s2
	v_cmp_lt_i32_e64 s2, v9, v37
	v_lshlrev_b32_e32 v7, 2, v7
	v_cndmask_b32_e64 v9, v35, v9, s2
	s_lshl_b32 s2, s12, 3
	s_min_i32 s4, s2, s11
	s_waitcnt lgkmcnt(0)
	ds_bpermute_b32 v8, v7, v1
	v_max_f32_e32 v1, v1, v1
	v_lshlrev_b32_e32 v27, 2, v9
	v_cmp_gt_i32_e64 s2, s4, v0
	s_waitcnt lgkmcnt(0)
	v_max_f32_e32 v8, v8, v8
	v_max_f32_e32 v1, v1, v8
	ds_bpermute_b32 v8, v27, v1
	s_waitcnt lgkmcnt(0)
	v_max_f32_e32 v8, v8, v8
	v_max_f32_e32 v1, v1, v8
	v_lshlrev_b32_e32 v8, 2, v26
	ds_bpermute_b32 v9, v8, v1
	v_mov_b32_e32 v8, 0
	v_lshl_add_u32 v1, v0, 2, 0x1a0
	s_and_saveexec_b32 s5, s2
	s_cbranch_execz .LBB174_212
; %bb.209:
	v_lshl_add_u32 v10, v0, 2, 0x1a0
	v_mov_b32_e32 v8, 0
	v_mov_b32_e32 v11, v0
	s_mov_b32 s15, 0
	.p2align	6
.LBB174_210:                            ; =>This Inner Loop Header: Depth=1
	ds_read_b32 v12, v10
	v_add_nc_u32_e32 v11, 0x80, v11
	v_cmp_le_i32_e64 s3, s4, v11
	s_or_b32 s15, s3, s15
	s_waitcnt lgkmcnt(0)
	v_sub_f32_e32 v12, v12, v9
	v_mul_f32_e32 v12, 0x3fb8aa3b, v12
	v_exp_f32_e32 v12, v12
	ds_write_b32 v10, v12
	v_add_f32_e32 v8, v8, v12
	v_add_nc_u32_e32 v10, 0x200, v10
	s_andn2_b32 exec_lo, exec_lo, s15
	s_cbranch_execnz .LBB174_210
; %bb.211:
	s_or_b32 exec_lo, exec_lo, s15
.LBB174_212:
	s_or_b32 exec_lo, exec_lo, s5
	ds_bpermute_b32 v2, v2, v8
	s_waitcnt lgkmcnt(0)
	v_add_f32_e32 v2, v8, v2
	ds_bpermute_b32 v3, v3, v2
	s_waitcnt lgkmcnt(0)
	v_add_f32_e32 v2, v2, v3
	;; [unrolled: 3-line block ×5, first 2 shown]
	s_and_saveexec_b32 s3, vcc_lo
; %bb.213:
	ds_write_b32 v4, v2 offset:400
; %bb.214:
	s_or_b32 exec_lo, exec_lo, s3
	s_waitcnt lgkmcnt(0)
	s_barrier
	buffer_gl0_inv
	s_and_saveexec_b32 s3, s1
; %bb.215:
	ds_read_b32 v2, v5 offset:400
; %bb.216:
	s_or_b32 exec_lo, exec_lo, s3
	s_waitcnt lgkmcnt(0)
	ds_bpermute_b32 v3, v7, v2
	v_lshlrev_b32_e32 v4, 2, v35
	s_waitcnt lgkmcnt(0)
	v_add_f32_e32 v2, v2, v3
	ds_bpermute_b32 v3, v27, v2
	s_waitcnt lgkmcnt(0)
	v_add_f32_e32 v2, v2, v3
	v_and_b32_e32 v3, 0xffffff80, v4
	ds_bpermute_b32 v2, v3, v2
	s_and_saveexec_b32 s1, s2
	s_cbranch_execz .LBB174_219
; %bb.217:
	s_waitcnt lgkmcnt(0)
	v_add_f32_e32 v2, 0x358637bd, v2
	s_mov_b32 s2, 0
	v_div_scale_f32 v3, null, v2, v2, 1.0
	v_div_scale_f32 v6, vcc_lo, 1.0, v2, 1.0
	v_rcp_f32_e32 v4, v3
	v_fma_f32 v5, -v3, v4, 1.0
	v_fmac_f32_e32 v4, v5, v4
	v_mul_f32_e32 v5, v6, v4
	v_fma_f32 v7, -v3, v5, v6
	v_fmac_f32_e32 v5, v7, v4
	v_fma_f32 v3, -v3, v5, v6
	v_div_fmas_f32 v3, v3, v4, v5
	v_div_fixup_f32 v2, v3, v2, 1.0
	v_mov_b32_e32 v3, v0
.LBB174_218:                            ; =>This Inner Loop Header: Depth=1
	ds_read_b32 v4, v1
	v_add_nc_u32_e32 v3, 0x80, v3
	v_cmp_le_i32_e32 vcc_lo, s4, v3
	s_or_b32 s2, vcc_lo, s2
	s_waitcnt lgkmcnt(0)
	v_mul_f32_e32 v4, v2, v4
	ds_write_b32 v1, v4
	v_add_nc_u32_e32 v1, 0x200, v1
	s_andn2_b32 exec_lo, exec_lo, s2
	s_cbranch_execnz .LBB174_218
.LBB174_219:
	s_or_b32 exec_lo, exec_lo, s1
	v_mov_b32_e32 v31, 0
	v_and_b32_e32 v26, 1, v0
	v_mov_b32_e32 v35, 0
	v_mov_b32_e32 v32, 0
	;; [unrolled: 1-line block ×5, first 2 shown]
	s_waitcnt lgkmcnt(0)
	s_barrier
	buffer_gl0_inv
	s_and_saveexec_b32 s1, s0
	s_cbranch_execz .LBB174_427
; %bb.220:
	s_load_dword s2, s[18:19], 0x0
	v_and_b32_e32 v2, 0x7c, v34
	v_and_b32_e32 v1, 4, v34
	v_lshlrev_b32_e32 v4, 3, v33
	s_ashr_i32 s0, s14, 31
	s_add_u32 s4, s26, s14
	v_lshlrev_b32_e32 v3, 4, v26
	s_addc_u32 s0, s27, s0
	v_add_co_u32 v7, s4, s4, v2
	v_or3_b32 v34, v4, v1, 3
	v_and_b32_e32 v1, 0x7c, v36
	v_add_co_ci_u32_e64 v8, null, s0, 0, s4
	s_lshl_b64 s[4:5], s[24:25], 2
	s_add_i32 s3, s12, -1
	v_lshl_or_b32 v3, v33, 5, v3
	s_add_u32 s0, s22, s4
	s_addc_u32 s4, s23, s5
	v_add_co_u32 v9, s0, s0, v1
	v_mov_b32_e32 v6, 0
	v_add_nc_u32_e32 v36, 0x1a0, v3
	v_add_co_ci_u32_e64 v10, null, s4, 0, s0
	v_mov_b32_e32 v37, 0x80
	v_bfrev_b32_e32 v12, 1
	v_mov_b32_e32 v38, 0xffff
	v_mov_b32_e32 v14, 0x7f800001
	;; [unrolled: 1-line block ×12, first 2 shown]
	s_mov_b32 s4, s13
	s_waitcnt lgkmcnt(0)
	s_mov_b32 s13, s2
	s_mov_b32 s5, 0
	s_branch .LBB174_222
.LBB174_221:                            ;   in Loop: Header=BB174_222 Depth=1
	s_or_b32 exec_lo, exec_lo, s0
	s_waitcnt lgkmcnt(0)
	v_mul_f32_e32 v16, v1, v63
	v_mul_f32_e32 v17, v1, v61
	;; [unrolled: 1-line block ×6, first 2 shown]
	v_fmac_f32_e32 v16, v2, v62
	v_fmac_f32_e32 v17, v2, v60
	;; [unrolled: 1-line block ×12, first 2 shown]
	v_add_nc_u32_e32 v42, 4, v42
	v_fmac_f32_e32 v16, v4, v23
	v_fmac_f32_e32 v17, v4, v58
	;; [unrolled: 1-line block ×6, first 2 shown]
	v_cmp_le_i32_e32 vcc_lo, s12, v42
	v_add_co_u32 v9, s0, v9, 16
	v_add_f32_e32 v29, v29, v16
	v_add_f32_e32 v30, v30, v17
	;; [unrolled: 1-line block ×6, first 2 shown]
	v_add_nc_u32_e32 v34, 32, v34
	v_add_nc_u32_e32 v36, 0x80, v36
	v_add_co_ci_u32_e64 v10, null, 0, v10, s0
	s_or_b32 s5, vcc_lo, s5
	s_andn2_b32 exec_lo, exec_lo, s5
	s_cbranch_execz .LBB174_426
.LBB174_222:                            ; =>This Inner Loop Header: Depth=1
	global_load_dword v1, v[9:10], off
	v_mov_b32_e32 v19, 0
	v_mov_b32_e32 v17, 0
	;; [unrolled: 1-line block ×4, first 2 shown]
	s_waitcnt vmcnt(0)
	v_mad_i64_i32 v[15:16], null, v1, s4, v[7:8]
	ds_read_b128 v[1:4], v36
	global_load_dword v43, v[15:16], off
	s_waitcnt vmcnt(0)
	v_cmp_ne_u16_sdwa s14, v43, v6 src0_sel:BYTE_0 src1_sel:DWORD
	s_and_saveexec_b32 s0, s14
	s_cbranch_execz .LBB174_230
; %bb.223:                              ;   in Loop: Header=BB174_222 Depth=1
	v_bfrev_b32_e32 v17, 1
	v_mov_b32_e32 v18, 0
	v_cmp_ne_u16_sdwa s15, v43, v37 src0_sel:BYTE_0 src1_sel:DWORD
	s_and_saveexec_b32 s14, s15
	s_cbranch_execz .LBB174_229
; %bb.224:                              ;   in Loop: Header=BB174_222 Depth=1
	v_mov_b32_e32 v17, 0x7f800001
	v_and_b32_e32 v13, 0x7f, v43
	v_mov_b32_e32 v18, 0
	s_mov_b32 s15, exec_lo
	v_cmpx_ne_u32_e32 0x7f, v13
	s_cbranch_execz .LBB174_228
; %bb.225:                              ;   in Loop: Header=BB174_222 Depth=1
	v_and_b32_e32 v5, 7, v43
	v_lshrrev_b32_e32 v11, 3, v13
	s_mov_b32 s16, exec_lo
	v_cmpx_gt_u32_e32 8, v13
; %bb.226:                              ;   in Loop: Header=BB174_222 Depth=1
	v_ffbh_u32_e32 v11, v5
	v_min_u32_e32 v11, 32, v11
	v_subrev_nc_u32_e32 v13, 28, v11
	v_sub_nc_u32_e32 v11, 29, v11
	v_lshlrev_b64 v[17:18], v13, v[5:6]
	v_and_b32_e32 v5, 7, v17
; %bb.227:                              ;   in Loop: Header=BB174_222 Depth=1
	s_or_b32 exec_lo, exec_lo, s16
	v_lshlrev_b32_e32 v13, 24, v43
	v_lshlrev_b32_e32 v5, 20, v5
	v_lshl_add_u32 v11, v11, 23, 0x3c000000
	v_and_b32_e32 v13, 0x80000000, v13
	v_or3_b32 v5, v5, v13, v11
	v_mov_b32_e32 v18, v6
	v_mov_b32_e32 v17, v5
.LBB174_228:                            ;   in Loop: Header=BB174_222 Depth=1
	s_or_b32 exec_lo, exec_lo, s15
.LBB174_229:                            ;   in Loop: Header=BB174_222 Depth=1
	s_or_b32 exec_lo, exec_lo, s14
.LBB174_230:                            ;   in Loop: Header=BB174_222 Depth=1
	s_or_b32 exec_lo, exec_lo, s0
	v_cmp_ne_u16_sdwa s14, v43, v6 src0_sel:BYTE_1 src1_sel:DWORD
	s_and_saveexec_b32 s0, s14
	s_cbranch_execz .LBB174_238
; %bb.231:                              ;   in Loop: Header=BB174_222 Depth=1
	v_mov_b32_e32 v11, v6
	v_mov_b32_e32 v20, v12
	v_cmp_ne_u16_sdwa s15, v43, v37 src0_sel:BYTE_1 src1_sel:DWORD
	v_mov_b32_e32 v19, v11
	s_and_saveexec_b32 s14, s15
	s_cbranch_execz .LBB174_237
; %bb.232:                              ;   in Loop: Header=BB174_222 Depth=1
	v_and_b32_sdwa v5, v38, v43 dst_sel:DWORD dst_unused:UNUSED_PAD src0_sel:DWORD src1_sel:BYTE_1
	v_mov_b32_e32 v13, v6
	v_mov_b32_e32 v20, v14
	s_mov_b32 s15, exec_lo
	v_and_b32_e32 v21, 0x7f, v5
	v_mov_b32_e32 v19, v13
	v_cmpx_ne_u32_e32 0x7f, v21
	s_cbranch_execz .LBB174_236
; %bb.233:                              ;   in Loop: Header=BB174_222 Depth=1
	v_and_b32_e32 v5, 7, v5
	v_lshrrev_b32_e32 v11, 3, v21
	s_mov_b32 s16, exec_lo
	v_cmpx_gt_u32_e32 8, v21
; %bb.234:                              ;   in Loop: Header=BB174_222 Depth=1
	v_ffbh_u32_e32 v11, v5
	v_min_u32_e32 v11, 32, v11
	v_subrev_nc_u32_e32 v13, 28, v11
	v_sub_nc_u32_e32 v11, 29, v11
	v_lshlrev_b64 v[19:20], v13, v[5:6]
	v_and_b32_e32 v5, 7, v19
; %bb.235:                              ;   in Loop: Header=BB174_222 Depth=1
	s_or_b32 exec_lo, exec_lo, s16
	v_lshlrev_b32_e32 v13, 16, v43
	v_lshlrev_b32_e32 v5, 20, v5
	v_lshl_add_u32 v11, v11, 23, 0x3c000000
	v_mov_b32_e32 v19, v6
	v_and_b32_e32 v13, 0x80000000, v13
	v_or3_b32 v20, v5, v13, v11
.LBB174_236:                            ;   in Loop: Header=BB174_222 Depth=1
	s_or_b32 exec_lo, exec_lo, s15
.LBB174_237:                            ;   in Loop: Header=BB174_222 Depth=1
	s_or_b32 exec_lo, exec_lo, s14
.LBB174_238:                            ;   in Loop: Header=BB174_222 Depth=1
	s_or_b32 exec_lo, exec_lo, s0
	v_mov_b32_e32 v23, 0
	v_mov_b32_e32 v21, 0
	v_and_b32_sdwa v5, v43, v39 dst_sel:DWORD dst_unused:UNUSED_PAD src0_sel:WORD_1 src1_sel:DWORD
	v_mov_b32_e32 v24, 0
	v_mov_b32_e32 v22, 0
	s_mov_b32 s0, exec_lo
	v_cmpx_ne_u16_e32 0, v5
	s_cbranch_execz .LBB174_246
; %bb.239:                              ;   in Loop: Header=BB174_222 Depth=1
	v_bfrev_b32_e32 v21, 1
	v_mov_b32_e32 v22, 0
	s_mov_b32 s14, exec_lo
	v_cmpx_ne_u16_e32 0x80, v5
	s_cbranch_execz .LBB174_245
; %bb.240:                              ;   in Loop: Header=BB174_222 Depth=1
	v_mov_b32_e32 v21, 0x7f800001
	v_bfe_u32 v13, v43, 16, 7
	v_mov_b32_e32 v22, 0
	s_mov_b32 s15, exec_lo
	v_cmpx_ne_u32_e32 0x7f, v13
	s_cbranch_execz .LBB174_244
; %bb.241:                              ;   in Loop: Header=BB174_222 Depth=1
	v_and_b32_sdwa v5, v43, v40 dst_sel:DWORD dst_unused:UNUSED_PAD src0_sel:WORD_1 src1_sel:DWORD
	v_lshrrev_b32_e32 v11, 3, v13
	s_mov_b32 s16, exec_lo
	v_cmpx_gt_u32_e32 8, v13
; %bb.242:                              ;   in Loop: Header=BB174_222 Depth=1
	v_ffbh_u32_e32 v11, v5
	v_min_u32_e32 v11, 32, v11
	v_subrev_nc_u32_e32 v13, 28, v11
	v_sub_nc_u32_e32 v11, 29, v11
	v_lshlrev_b64 v[21:22], v13, v[5:6]
	v_and_b32_e32 v5, 7, v21
; %bb.243:                              ;   in Loop: Header=BB174_222 Depth=1
	s_or_b32 exec_lo, exec_lo, s16
	v_lshlrev_b32_sdwa v13, v41, v43 dst_sel:DWORD dst_unused:UNUSED_PAD src0_sel:DWORD src1_sel:WORD_1
	v_lshlrev_b32_e32 v5, 20, v5
	v_lshl_add_u32 v11, v11, 23, 0x3c000000
	v_and_b32_e32 v13, 0x80000000, v13
	v_or3_b32 v5, v5, v13, v11
	v_mov_b32_e32 v22, v6
	v_mov_b32_e32 v21, v5
.LBB174_244:                            ;   in Loop: Header=BB174_222 Depth=1
	s_or_b32 exec_lo, exec_lo, s15
.LBB174_245:                            ;   in Loop: Header=BB174_222 Depth=1
	s_or_b32 exec_lo, exec_lo, s14
.LBB174_246:                            ;   in Loop: Header=BB174_222 Depth=1
	s_or_b32 exec_lo, exec_lo, s0
	s_mov_b32 s0, exec_lo
	v_cmpx_lt_u32_e32 0xffffff, v43
	s_cbranch_execz .LBB174_254
; %bb.247:                              ;   in Loop: Header=BB174_222 Depth=1
	v_mov_b32_e32 v11, v6
	v_mov_b32_e32 v24, v12
	v_cmp_ne_u32_sdwa s15, v43, v37 src0_sel:BYTE_3 src1_sel:DWORD
	v_mov_b32_e32 v23, v11
	s_and_saveexec_b32 s14, s15
	s_cbranch_execz .LBB174_253
; %bb.248:                              ;   in Loop: Header=BB174_222 Depth=1
	v_mov_b32_e32 v13, v6
	v_mov_b32_e32 v24, v14
	v_bfe_u32 v44, v43, 24, 7
	s_mov_b32 s15, exec_lo
	v_mov_b32_e32 v23, v13
	v_cmpx_ne_u32_e32 0x7f, v44
	s_cbranch_execz .LBB174_252
; %bb.249:                              ;   in Loop: Header=BB174_222 Depth=1
	v_and_b32_sdwa v5, v43, v40 dst_sel:DWORD dst_unused:UNUSED_PAD src0_sel:BYTE_3 src1_sel:DWORD
	v_lshrrev_b32_e32 v11, 3, v44
	s_mov_b32 s16, exec_lo
	v_cmpx_gt_u32_e32 8, v44
; %bb.250:                              ;   in Loop: Header=BB174_222 Depth=1
	v_ffbh_u32_e32 v11, v5
	v_min_u32_e32 v11, 32, v11
	v_subrev_nc_u32_e32 v13, 28, v11
	v_sub_nc_u32_e32 v11, 29, v11
	v_lshlrev_b64 v[23:24], v13, v[5:6]
	v_and_b32_e32 v5, 7, v23
; %bb.251:                              ;   in Loop: Header=BB174_222 Depth=1
	s_or_b32 exec_lo, exec_lo, s16
	v_lshlrev_b32_sdwa v13, v41, v43 dst_sel:DWORD dst_unused:UNUSED_PAD src0_sel:DWORD src1_sel:BYTE_3
	v_lshlrev_b32_e32 v5, 20, v5
	v_lshl_add_u32 v11, v11, 23, 0x3c000000
	v_mov_b32_e32 v23, v6
	v_and_b32_e32 v13, 0x80000000, v13
	v_or3_b32 v24, v5, v13, v11
.LBB174_252:                            ;   in Loop: Header=BB174_222 Depth=1
	s_or_b32 exec_lo, exec_lo, s15
.LBB174_253:                            ;   in Loop: Header=BB174_222 Depth=1
	s_or_b32 exec_lo, exec_lo, s14
.LBB174_254:                            ;   in Loop: Header=BB174_222 Depth=1
	s_or_b32 exec_lo, exec_lo, s0
	v_or_b32_e32 v5, v20, v18
	v_or_b32_e32 v11, v19, v17
	;; [unrolled: 1-line block ×4, first 2 shown]
	v_add_nc_u32_e32 v47, -3, v34
	v_cmp_eq_u32_e32 vcc_lo, s3, v42
	v_mul_f32_e32 v45, s13, v5
	v_mul_f32_e32 v46, s2, v11
	;; [unrolled: 1-line block ×4, first 2 shown]
	v_add_nc_u32_e32 v49, -2, v34
	v_add_nc_u32_e32 v48, -1, v34
	s_and_saveexec_b32 s14, vcc_lo
	s_cbranch_execz .LBB174_256
; %bb.255:                              ;   in Loop: Header=BB174_222 Depth=1
	v_cmp_gt_i32_e64 s0, s11, v47
	v_cndmask_b32_e64 v46, 0, v46, s0
	v_cmp_gt_i32_e64 s0, s11, v49
	v_cndmask_b32_e64 v45, 0, v45, s0
	;; [unrolled: 2-line block ×4, first 2 shown]
.LBB174_256:                            ;   in Loop: Header=BB174_222 Depth=1
	s_or_b32 exec_lo, exec_lo, s14
	global_load_dword v50, v[15:16], off offset:128
	v_mov_b32_e32 v19, 0
	v_mov_b32_e32 v17, 0
	v_mov_b32_e32 v20, 0
	v_mov_b32_e32 v18, 0
	s_waitcnt vmcnt(0)
	v_cmp_ne_u16_sdwa s0, v50, v6 src0_sel:BYTE_0 src1_sel:DWORD
	s_and_saveexec_b32 s14, s0
	s_cbranch_execz .LBB174_264
; %bb.257:                              ;   in Loop: Header=BB174_222 Depth=1
	v_bfrev_b32_e32 v17, 1
	v_mov_b32_e32 v18, 0
	v_cmp_ne_u16_sdwa s0, v50, v37 src0_sel:BYTE_0 src1_sel:DWORD
	s_and_saveexec_b32 s15, s0
	s_cbranch_execz .LBB174_263
; %bb.258:                              ;   in Loop: Header=BB174_222 Depth=1
	v_mov_b32_e32 v17, 0x7f800001
	v_and_b32_e32 v13, 0x7f, v50
	v_mov_b32_e32 v18, 0
	s_mov_b32 s16, exec_lo
	v_cmpx_ne_u32_e32 0x7f, v13
	s_cbranch_execz .LBB174_262
; %bb.259:                              ;   in Loop: Header=BB174_222 Depth=1
	v_and_b32_e32 v5, 7, v50
	v_lshrrev_b32_e32 v11, 3, v13
	s_mov_b32 s17, exec_lo
	v_cmpx_gt_u32_e32 8, v13
; %bb.260:                              ;   in Loop: Header=BB174_222 Depth=1
	v_ffbh_u32_e32 v11, v5
	v_min_u32_e32 v11, 32, v11
	v_subrev_nc_u32_e32 v13, 28, v11
	v_sub_nc_u32_e32 v11, 29, v11
	v_lshlrev_b64 v[17:18], v13, v[5:6]
	v_and_b32_e32 v5, 7, v17
; %bb.261:                              ;   in Loop: Header=BB174_222 Depth=1
	s_or_b32 exec_lo, exec_lo, s17
	v_lshlrev_b32_e32 v13, 24, v50
	v_lshlrev_b32_e32 v5, 20, v5
	v_lshl_add_u32 v11, v11, 23, 0x3c000000
	v_and_b32_e32 v13, 0x80000000, v13
	v_or3_b32 v5, v5, v13, v11
	v_mov_b32_e32 v18, v6
	v_mov_b32_e32 v17, v5
.LBB174_262:                            ;   in Loop: Header=BB174_222 Depth=1
	s_or_b32 exec_lo, exec_lo, s16
.LBB174_263:                            ;   in Loop: Header=BB174_222 Depth=1
	s_or_b32 exec_lo, exec_lo, s15
.LBB174_264:                            ;   in Loop: Header=BB174_222 Depth=1
	s_or_b32 exec_lo, exec_lo, s14
	v_cmp_ne_u16_sdwa s0, v50, v6 src0_sel:BYTE_1 src1_sel:DWORD
	s_and_saveexec_b32 s14, s0
	s_cbranch_execz .LBB174_272
; %bb.265:                              ;   in Loop: Header=BB174_222 Depth=1
	v_mov_b32_e32 v11, v6
	v_mov_b32_e32 v20, v12
	v_cmp_ne_u16_sdwa s0, v50, v37 src0_sel:BYTE_1 src1_sel:DWORD
	v_mov_b32_e32 v19, v11
	s_and_saveexec_b32 s15, s0
	s_cbranch_execz .LBB174_271
; %bb.266:                              ;   in Loop: Header=BB174_222 Depth=1
	v_and_b32_sdwa v5, v38, v50 dst_sel:DWORD dst_unused:UNUSED_PAD src0_sel:DWORD src1_sel:BYTE_1
	v_mov_b32_e32 v13, v6
	v_mov_b32_e32 v20, v14
	s_mov_b32 s16, exec_lo
	v_and_b32_e32 v21, 0x7f, v5
	v_mov_b32_e32 v19, v13
	v_cmpx_ne_u32_e32 0x7f, v21
	s_cbranch_execz .LBB174_270
; %bb.267:                              ;   in Loop: Header=BB174_222 Depth=1
	v_and_b32_e32 v5, 7, v5
	v_lshrrev_b32_e32 v11, 3, v21
	s_mov_b32 s17, exec_lo
	v_cmpx_gt_u32_e32 8, v21
; %bb.268:                              ;   in Loop: Header=BB174_222 Depth=1
	v_ffbh_u32_e32 v11, v5
	v_min_u32_e32 v11, 32, v11
	v_subrev_nc_u32_e32 v13, 28, v11
	v_sub_nc_u32_e32 v11, 29, v11
	v_lshlrev_b64 v[19:20], v13, v[5:6]
	v_and_b32_e32 v5, 7, v19
; %bb.269:                              ;   in Loop: Header=BB174_222 Depth=1
	s_or_b32 exec_lo, exec_lo, s17
	v_lshlrev_b32_e32 v13, 16, v50
	v_lshlrev_b32_e32 v5, 20, v5
	v_lshl_add_u32 v11, v11, 23, 0x3c000000
	v_mov_b32_e32 v19, v6
	v_and_b32_e32 v13, 0x80000000, v13
	v_or3_b32 v20, v5, v13, v11
.LBB174_270:                            ;   in Loop: Header=BB174_222 Depth=1
	s_or_b32 exec_lo, exec_lo, s16
.LBB174_271:                            ;   in Loop: Header=BB174_222 Depth=1
	s_or_b32 exec_lo, exec_lo, s15
.LBB174_272:                            ;   in Loop: Header=BB174_222 Depth=1
	s_or_b32 exec_lo, exec_lo, s14
	v_mov_b32_e32 v23, 0
	v_mov_b32_e32 v21, 0
	v_and_b32_sdwa v5, v50, v39 dst_sel:DWORD dst_unused:UNUSED_PAD src0_sel:WORD_1 src1_sel:DWORD
	v_mov_b32_e32 v24, 0
	v_mov_b32_e32 v22, 0
	s_mov_b32 s14, exec_lo
	v_cmpx_ne_u16_e32 0, v5
	s_cbranch_execz .LBB174_280
; %bb.273:                              ;   in Loop: Header=BB174_222 Depth=1
	v_bfrev_b32_e32 v21, 1
	v_mov_b32_e32 v22, 0
	s_mov_b32 s15, exec_lo
	v_cmpx_ne_u16_e32 0x80, v5
	s_cbranch_execz .LBB174_279
; %bb.274:                              ;   in Loop: Header=BB174_222 Depth=1
	v_mov_b32_e32 v21, 0x7f800001
	v_bfe_u32 v13, v50, 16, 7
	v_mov_b32_e32 v22, 0
	s_mov_b32 s16, exec_lo
	v_cmpx_ne_u32_e32 0x7f, v13
	s_cbranch_execz .LBB174_278
; %bb.275:                              ;   in Loop: Header=BB174_222 Depth=1
	v_and_b32_sdwa v5, v50, v40 dst_sel:DWORD dst_unused:UNUSED_PAD src0_sel:WORD_1 src1_sel:DWORD
	v_lshrrev_b32_e32 v11, 3, v13
	s_mov_b32 s17, exec_lo
	v_cmpx_gt_u32_e32 8, v13
; %bb.276:                              ;   in Loop: Header=BB174_222 Depth=1
	v_ffbh_u32_e32 v11, v5
	v_min_u32_e32 v11, 32, v11
	v_subrev_nc_u32_e32 v13, 28, v11
	v_sub_nc_u32_e32 v11, 29, v11
	v_lshlrev_b64 v[21:22], v13, v[5:6]
	v_and_b32_e32 v5, 7, v21
; %bb.277:                              ;   in Loop: Header=BB174_222 Depth=1
	s_or_b32 exec_lo, exec_lo, s17
	v_lshlrev_b32_sdwa v13, v41, v50 dst_sel:DWORD dst_unused:UNUSED_PAD src0_sel:DWORD src1_sel:WORD_1
	v_lshlrev_b32_e32 v5, 20, v5
	v_lshl_add_u32 v11, v11, 23, 0x3c000000
	v_and_b32_e32 v13, 0x80000000, v13
	v_or3_b32 v5, v5, v13, v11
	v_mov_b32_e32 v22, v6
	v_mov_b32_e32 v21, v5
.LBB174_278:                            ;   in Loop: Header=BB174_222 Depth=1
	s_or_b32 exec_lo, exec_lo, s16
.LBB174_279:                            ;   in Loop: Header=BB174_222 Depth=1
	s_or_b32 exec_lo, exec_lo, s15
.LBB174_280:                            ;   in Loop: Header=BB174_222 Depth=1
	s_or_b32 exec_lo, exec_lo, s14
	s_mov_b32 s14, exec_lo
	v_cmpx_lt_u32_e32 0xffffff, v50
	s_cbranch_execz .LBB174_288
; %bb.281:                              ;   in Loop: Header=BB174_222 Depth=1
	v_mov_b32_e32 v11, v6
	v_mov_b32_e32 v24, v12
	v_cmp_ne_u32_sdwa s0, v50, v37 src0_sel:BYTE_3 src1_sel:DWORD
	v_mov_b32_e32 v23, v11
	s_and_saveexec_b32 s15, s0
	s_cbranch_execz .LBB174_287
; %bb.282:                              ;   in Loop: Header=BB174_222 Depth=1
	v_mov_b32_e32 v13, v6
	v_mov_b32_e32 v24, v14
	v_bfe_u32 v51, v50, 24, 7
	s_mov_b32 s16, exec_lo
	v_mov_b32_e32 v23, v13
	v_cmpx_ne_u32_e32 0x7f, v51
	s_cbranch_execz .LBB174_286
; %bb.283:                              ;   in Loop: Header=BB174_222 Depth=1
	v_and_b32_sdwa v5, v50, v40 dst_sel:DWORD dst_unused:UNUSED_PAD src0_sel:BYTE_3 src1_sel:DWORD
	v_lshrrev_b32_e32 v11, 3, v51
	s_mov_b32 s17, exec_lo
	v_cmpx_gt_u32_e32 8, v51
; %bb.284:                              ;   in Loop: Header=BB174_222 Depth=1
	v_ffbh_u32_e32 v11, v5
	v_min_u32_e32 v11, 32, v11
	v_subrev_nc_u32_e32 v13, 28, v11
	v_sub_nc_u32_e32 v11, 29, v11
	v_lshlrev_b64 v[23:24], v13, v[5:6]
	v_and_b32_e32 v5, 7, v23
; %bb.285:                              ;   in Loop: Header=BB174_222 Depth=1
	s_or_b32 exec_lo, exec_lo, s17
	v_lshlrev_b32_sdwa v13, v41, v50 dst_sel:DWORD dst_unused:UNUSED_PAD src0_sel:DWORD src1_sel:BYTE_3
	v_lshlrev_b32_e32 v5, 20, v5
	v_lshl_add_u32 v11, v11, 23, 0x3c000000
	v_mov_b32_e32 v23, v6
	v_and_b32_e32 v13, 0x80000000, v13
	v_or3_b32 v24, v5, v13, v11
.LBB174_286:                            ;   in Loop: Header=BB174_222 Depth=1
	s_or_b32 exec_lo, exec_lo, s16
.LBB174_287:                            ;   in Loop: Header=BB174_222 Depth=1
	s_or_b32 exec_lo, exec_lo, s15
.LBB174_288:                            ;   in Loop: Header=BB174_222 Depth=1
	s_or_b32 exec_lo, exec_lo, s14
	v_or_b32_e32 v5, v20, v18
	v_or_b32_e32 v11, v19, v17
	;; [unrolled: 1-line block ×4, first 2 shown]
	v_mul_f32_e32 v52, s13, v5
	v_mul_f32_e32 v53, s2, v11
	;; [unrolled: 1-line block ×4, first 2 shown]
	s_and_saveexec_b32 s14, vcc_lo
	s_cbranch_execz .LBB174_290
; %bb.289:                              ;   in Loop: Header=BB174_222 Depth=1
	v_cmp_gt_i32_e64 s0, s11, v47
	v_cndmask_b32_e64 v53, 0, v53, s0
	v_cmp_gt_i32_e64 s0, s11, v49
	v_cndmask_b32_e64 v52, 0, v52, s0
	;; [unrolled: 2-line block ×4, first 2 shown]
.LBB174_290:                            ;   in Loop: Header=BB174_222 Depth=1
	s_or_b32 exec_lo, exec_lo, s14
	global_load_dword v54, v[15:16], off offset:256
	v_mov_b32_e32 v19, 0
	v_mov_b32_e32 v17, 0
	;; [unrolled: 1-line block ×4, first 2 shown]
	s_waitcnt vmcnt(0)
	v_cmp_ne_u16_sdwa s0, v54, v6 src0_sel:BYTE_0 src1_sel:DWORD
	s_and_saveexec_b32 s14, s0
	s_cbranch_execz .LBB174_298
; %bb.291:                              ;   in Loop: Header=BB174_222 Depth=1
	v_bfrev_b32_e32 v17, 1
	v_mov_b32_e32 v18, 0
	v_cmp_ne_u16_sdwa s0, v54, v37 src0_sel:BYTE_0 src1_sel:DWORD
	s_and_saveexec_b32 s15, s0
	s_cbranch_execz .LBB174_297
; %bb.292:                              ;   in Loop: Header=BB174_222 Depth=1
	v_mov_b32_e32 v17, 0x7f800001
	v_and_b32_e32 v13, 0x7f, v54
	v_mov_b32_e32 v18, 0
	s_mov_b32 s16, exec_lo
	v_cmpx_ne_u32_e32 0x7f, v13
	s_cbranch_execz .LBB174_296
; %bb.293:                              ;   in Loop: Header=BB174_222 Depth=1
	v_and_b32_e32 v5, 7, v54
	v_lshrrev_b32_e32 v11, 3, v13
	s_mov_b32 s17, exec_lo
	v_cmpx_gt_u32_e32 8, v13
; %bb.294:                              ;   in Loop: Header=BB174_222 Depth=1
	v_ffbh_u32_e32 v11, v5
	v_min_u32_e32 v11, 32, v11
	v_subrev_nc_u32_e32 v13, 28, v11
	v_sub_nc_u32_e32 v11, 29, v11
	v_lshlrev_b64 v[17:18], v13, v[5:6]
	v_and_b32_e32 v5, 7, v17
; %bb.295:                              ;   in Loop: Header=BB174_222 Depth=1
	s_or_b32 exec_lo, exec_lo, s17
	v_lshlrev_b32_e32 v13, 24, v54
	v_lshlrev_b32_e32 v5, 20, v5
	v_lshl_add_u32 v11, v11, 23, 0x3c000000
	v_and_b32_e32 v13, 0x80000000, v13
	v_or3_b32 v5, v5, v13, v11
	v_mov_b32_e32 v18, v6
	v_mov_b32_e32 v17, v5
.LBB174_296:                            ;   in Loop: Header=BB174_222 Depth=1
	s_or_b32 exec_lo, exec_lo, s16
.LBB174_297:                            ;   in Loop: Header=BB174_222 Depth=1
	s_or_b32 exec_lo, exec_lo, s15
.LBB174_298:                            ;   in Loop: Header=BB174_222 Depth=1
	s_or_b32 exec_lo, exec_lo, s14
	v_cmp_ne_u16_sdwa s0, v54, v6 src0_sel:BYTE_1 src1_sel:DWORD
	s_and_saveexec_b32 s14, s0
	s_cbranch_execz .LBB174_306
; %bb.299:                              ;   in Loop: Header=BB174_222 Depth=1
	v_mov_b32_e32 v11, v6
	v_mov_b32_e32 v20, v12
	v_cmp_ne_u16_sdwa s0, v54, v37 src0_sel:BYTE_1 src1_sel:DWORD
	v_mov_b32_e32 v19, v11
	s_and_saveexec_b32 s15, s0
	s_cbranch_execz .LBB174_305
; %bb.300:                              ;   in Loop: Header=BB174_222 Depth=1
	v_and_b32_sdwa v5, v38, v54 dst_sel:DWORD dst_unused:UNUSED_PAD src0_sel:DWORD src1_sel:BYTE_1
	v_mov_b32_e32 v13, v6
	v_mov_b32_e32 v20, v14
	s_mov_b32 s16, exec_lo
	v_and_b32_e32 v21, 0x7f, v5
	v_mov_b32_e32 v19, v13
	v_cmpx_ne_u32_e32 0x7f, v21
	s_cbranch_execz .LBB174_304
; %bb.301:                              ;   in Loop: Header=BB174_222 Depth=1
	v_and_b32_e32 v5, 7, v5
	v_lshrrev_b32_e32 v11, 3, v21
	s_mov_b32 s17, exec_lo
	v_cmpx_gt_u32_e32 8, v21
; %bb.302:                              ;   in Loop: Header=BB174_222 Depth=1
	v_ffbh_u32_e32 v11, v5
	v_min_u32_e32 v11, 32, v11
	v_subrev_nc_u32_e32 v13, 28, v11
	v_sub_nc_u32_e32 v11, 29, v11
	v_lshlrev_b64 v[19:20], v13, v[5:6]
	v_and_b32_e32 v5, 7, v19
; %bb.303:                              ;   in Loop: Header=BB174_222 Depth=1
	s_or_b32 exec_lo, exec_lo, s17
	v_lshlrev_b32_e32 v13, 16, v54
	v_lshlrev_b32_e32 v5, 20, v5
	v_lshl_add_u32 v11, v11, 23, 0x3c000000
	v_mov_b32_e32 v19, v6
	v_and_b32_e32 v13, 0x80000000, v13
	v_or3_b32 v20, v5, v13, v11
.LBB174_304:                            ;   in Loop: Header=BB174_222 Depth=1
	s_or_b32 exec_lo, exec_lo, s16
.LBB174_305:                            ;   in Loop: Header=BB174_222 Depth=1
	s_or_b32 exec_lo, exec_lo, s15
.LBB174_306:                            ;   in Loop: Header=BB174_222 Depth=1
	s_or_b32 exec_lo, exec_lo, s14
	v_mov_b32_e32 v23, 0
	v_mov_b32_e32 v21, 0
	v_and_b32_sdwa v5, v54, v39 dst_sel:DWORD dst_unused:UNUSED_PAD src0_sel:WORD_1 src1_sel:DWORD
	v_mov_b32_e32 v24, 0
	v_mov_b32_e32 v22, 0
	s_mov_b32 s14, exec_lo
	v_cmpx_ne_u16_e32 0, v5
	s_cbranch_execz .LBB174_314
; %bb.307:                              ;   in Loop: Header=BB174_222 Depth=1
	v_bfrev_b32_e32 v21, 1
	v_mov_b32_e32 v22, 0
	s_mov_b32 s15, exec_lo
	v_cmpx_ne_u16_e32 0x80, v5
	s_cbranch_execz .LBB174_313
; %bb.308:                              ;   in Loop: Header=BB174_222 Depth=1
	v_mov_b32_e32 v21, 0x7f800001
	v_bfe_u32 v13, v54, 16, 7
	v_mov_b32_e32 v22, 0
	s_mov_b32 s16, exec_lo
	v_cmpx_ne_u32_e32 0x7f, v13
	s_cbranch_execz .LBB174_312
; %bb.309:                              ;   in Loop: Header=BB174_222 Depth=1
	v_and_b32_sdwa v5, v54, v40 dst_sel:DWORD dst_unused:UNUSED_PAD src0_sel:WORD_1 src1_sel:DWORD
	v_lshrrev_b32_e32 v11, 3, v13
	s_mov_b32 s17, exec_lo
	v_cmpx_gt_u32_e32 8, v13
; %bb.310:                              ;   in Loop: Header=BB174_222 Depth=1
	v_ffbh_u32_e32 v11, v5
	v_min_u32_e32 v11, 32, v11
	v_subrev_nc_u32_e32 v13, 28, v11
	v_sub_nc_u32_e32 v11, 29, v11
	v_lshlrev_b64 v[21:22], v13, v[5:6]
	v_and_b32_e32 v5, 7, v21
; %bb.311:                              ;   in Loop: Header=BB174_222 Depth=1
	s_or_b32 exec_lo, exec_lo, s17
	v_lshlrev_b32_sdwa v13, v41, v54 dst_sel:DWORD dst_unused:UNUSED_PAD src0_sel:DWORD src1_sel:WORD_1
	v_lshlrev_b32_e32 v5, 20, v5
	v_lshl_add_u32 v11, v11, 23, 0x3c000000
	v_and_b32_e32 v13, 0x80000000, v13
	v_or3_b32 v5, v5, v13, v11
	v_mov_b32_e32 v22, v6
	v_mov_b32_e32 v21, v5
.LBB174_312:                            ;   in Loop: Header=BB174_222 Depth=1
	s_or_b32 exec_lo, exec_lo, s16
.LBB174_313:                            ;   in Loop: Header=BB174_222 Depth=1
	s_or_b32 exec_lo, exec_lo, s15
.LBB174_314:                            ;   in Loop: Header=BB174_222 Depth=1
	s_or_b32 exec_lo, exec_lo, s14
	s_mov_b32 s14, exec_lo
	v_cmpx_lt_u32_e32 0xffffff, v54
	s_cbranch_execz .LBB174_322
; %bb.315:                              ;   in Loop: Header=BB174_222 Depth=1
	v_mov_b32_e32 v11, v6
	v_mov_b32_e32 v24, v12
	v_cmp_ne_u32_sdwa s0, v54, v37 src0_sel:BYTE_3 src1_sel:DWORD
	v_mov_b32_e32 v23, v11
	s_and_saveexec_b32 s15, s0
	s_cbranch_execz .LBB174_321
; %bb.316:                              ;   in Loop: Header=BB174_222 Depth=1
	v_mov_b32_e32 v13, v6
	v_mov_b32_e32 v24, v14
	v_bfe_u32 v55, v54, 24, 7
	s_mov_b32 s16, exec_lo
	v_mov_b32_e32 v23, v13
	v_cmpx_ne_u32_e32 0x7f, v55
	s_cbranch_execz .LBB174_320
; %bb.317:                              ;   in Loop: Header=BB174_222 Depth=1
	v_and_b32_sdwa v5, v54, v40 dst_sel:DWORD dst_unused:UNUSED_PAD src0_sel:BYTE_3 src1_sel:DWORD
	v_lshrrev_b32_e32 v11, 3, v55
	s_mov_b32 s17, exec_lo
	v_cmpx_gt_u32_e32 8, v55
; %bb.318:                              ;   in Loop: Header=BB174_222 Depth=1
	v_ffbh_u32_e32 v11, v5
	v_min_u32_e32 v11, 32, v11
	v_subrev_nc_u32_e32 v13, 28, v11
	v_sub_nc_u32_e32 v11, 29, v11
	v_lshlrev_b64 v[23:24], v13, v[5:6]
	v_and_b32_e32 v5, 7, v23
; %bb.319:                              ;   in Loop: Header=BB174_222 Depth=1
	s_or_b32 exec_lo, exec_lo, s17
	v_lshlrev_b32_sdwa v13, v41, v54 dst_sel:DWORD dst_unused:UNUSED_PAD src0_sel:DWORD src1_sel:BYTE_3
	v_lshlrev_b32_e32 v5, 20, v5
	v_lshl_add_u32 v11, v11, 23, 0x3c000000
	v_mov_b32_e32 v23, v6
	v_and_b32_e32 v13, 0x80000000, v13
	v_or3_b32 v24, v5, v13, v11
.LBB174_320:                            ;   in Loop: Header=BB174_222 Depth=1
	s_or_b32 exec_lo, exec_lo, s16
.LBB174_321:                            ;   in Loop: Header=BB174_222 Depth=1
	s_or_b32 exec_lo, exec_lo, s15
.LBB174_322:                            ;   in Loop: Header=BB174_222 Depth=1
	s_or_b32 exec_lo, exec_lo, s14
	v_or_b32_e32 v5, v20, v18
	v_or_b32_e32 v11, v19, v17
	;; [unrolled: 1-line block ×4, first 2 shown]
	v_mul_f32_e32 v56, s13, v5
	v_mul_f32_e32 v57, s2, v11
	;; [unrolled: 1-line block ×4, first 2 shown]
	s_and_saveexec_b32 s14, vcc_lo
	s_cbranch_execz .LBB174_324
; %bb.323:                              ;   in Loop: Header=BB174_222 Depth=1
	v_cmp_gt_i32_e64 s0, s11, v47
	v_cndmask_b32_e64 v57, 0, v57, s0
	v_cmp_gt_i32_e64 s0, s11, v49
	v_cndmask_b32_e64 v56, 0, v56, s0
	;; [unrolled: 2-line block ×4, first 2 shown]
.LBB174_324:                            ;   in Loop: Header=BB174_222 Depth=1
	s_or_b32 exec_lo, exec_lo, s14
	global_load_dword v58, v[15:16], off offset:384
	v_mov_b32_e32 v19, 0
	v_mov_b32_e32 v17, 0
	;; [unrolled: 1-line block ×4, first 2 shown]
	s_waitcnt vmcnt(0)
	v_cmp_ne_u16_sdwa s0, v58, v6 src0_sel:BYTE_0 src1_sel:DWORD
	s_and_saveexec_b32 s14, s0
	s_cbranch_execz .LBB174_332
; %bb.325:                              ;   in Loop: Header=BB174_222 Depth=1
	v_bfrev_b32_e32 v17, 1
	v_mov_b32_e32 v18, 0
	v_cmp_ne_u16_sdwa s0, v58, v37 src0_sel:BYTE_0 src1_sel:DWORD
	s_and_saveexec_b32 s15, s0
	s_cbranch_execz .LBB174_331
; %bb.326:                              ;   in Loop: Header=BB174_222 Depth=1
	v_mov_b32_e32 v17, 0x7f800001
	v_and_b32_e32 v13, 0x7f, v58
	v_mov_b32_e32 v18, 0
	s_mov_b32 s16, exec_lo
	v_cmpx_ne_u32_e32 0x7f, v13
	s_cbranch_execz .LBB174_330
; %bb.327:                              ;   in Loop: Header=BB174_222 Depth=1
	v_and_b32_e32 v5, 7, v58
	v_lshrrev_b32_e32 v11, 3, v13
	s_mov_b32 s17, exec_lo
	v_cmpx_gt_u32_e32 8, v13
; %bb.328:                              ;   in Loop: Header=BB174_222 Depth=1
	v_ffbh_u32_e32 v11, v5
	v_min_u32_e32 v11, 32, v11
	v_subrev_nc_u32_e32 v13, 28, v11
	v_sub_nc_u32_e32 v11, 29, v11
	v_lshlrev_b64 v[17:18], v13, v[5:6]
	v_and_b32_e32 v5, 7, v17
; %bb.329:                              ;   in Loop: Header=BB174_222 Depth=1
	s_or_b32 exec_lo, exec_lo, s17
	v_lshlrev_b32_e32 v13, 24, v58
	v_lshlrev_b32_e32 v5, 20, v5
	v_lshl_add_u32 v11, v11, 23, 0x3c000000
	v_and_b32_e32 v13, 0x80000000, v13
	v_or3_b32 v5, v5, v13, v11
	v_mov_b32_e32 v18, v6
	v_mov_b32_e32 v17, v5
.LBB174_330:                            ;   in Loop: Header=BB174_222 Depth=1
	s_or_b32 exec_lo, exec_lo, s16
.LBB174_331:                            ;   in Loop: Header=BB174_222 Depth=1
	s_or_b32 exec_lo, exec_lo, s15
.LBB174_332:                            ;   in Loop: Header=BB174_222 Depth=1
	s_or_b32 exec_lo, exec_lo, s14
	v_cmp_ne_u16_sdwa s0, v58, v6 src0_sel:BYTE_1 src1_sel:DWORD
	s_and_saveexec_b32 s14, s0
	s_cbranch_execz .LBB174_340
; %bb.333:                              ;   in Loop: Header=BB174_222 Depth=1
	v_mov_b32_e32 v11, v6
	v_mov_b32_e32 v20, v12
	v_cmp_ne_u16_sdwa s0, v58, v37 src0_sel:BYTE_1 src1_sel:DWORD
	v_mov_b32_e32 v19, v11
	s_and_saveexec_b32 s15, s0
	s_cbranch_execz .LBB174_339
; %bb.334:                              ;   in Loop: Header=BB174_222 Depth=1
	v_and_b32_sdwa v5, v38, v58 dst_sel:DWORD dst_unused:UNUSED_PAD src0_sel:DWORD src1_sel:BYTE_1
	v_mov_b32_e32 v13, v6
	v_mov_b32_e32 v20, v14
	s_mov_b32 s16, exec_lo
	v_and_b32_e32 v21, 0x7f, v5
	v_mov_b32_e32 v19, v13
	v_cmpx_ne_u32_e32 0x7f, v21
	s_cbranch_execz .LBB174_338
; %bb.335:                              ;   in Loop: Header=BB174_222 Depth=1
	v_and_b32_e32 v5, 7, v5
	v_lshrrev_b32_e32 v11, 3, v21
	s_mov_b32 s17, exec_lo
	v_cmpx_gt_u32_e32 8, v21
; %bb.336:                              ;   in Loop: Header=BB174_222 Depth=1
	v_ffbh_u32_e32 v11, v5
	v_min_u32_e32 v11, 32, v11
	v_subrev_nc_u32_e32 v13, 28, v11
	v_sub_nc_u32_e32 v11, 29, v11
	v_lshlrev_b64 v[19:20], v13, v[5:6]
	v_and_b32_e32 v5, 7, v19
; %bb.337:                              ;   in Loop: Header=BB174_222 Depth=1
	s_or_b32 exec_lo, exec_lo, s17
	v_lshlrev_b32_e32 v13, 16, v58
	v_lshlrev_b32_e32 v5, 20, v5
	v_lshl_add_u32 v11, v11, 23, 0x3c000000
	v_mov_b32_e32 v19, v6
	v_and_b32_e32 v13, 0x80000000, v13
	v_or3_b32 v20, v5, v13, v11
.LBB174_338:                            ;   in Loop: Header=BB174_222 Depth=1
	s_or_b32 exec_lo, exec_lo, s16
.LBB174_339:                            ;   in Loop: Header=BB174_222 Depth=1
	s_or_b32 exec_lo, exec_lo, s15
.LBB174_340:                            ;   in Loop: Header=BB174_222 Depth=1
	s_or_b32 exec_lo, exec_lo, s14
	v_mov_b32_e32 v23, 0
	v_mov_b32_e32 v21, 0
	v_and_b32_sdwa v5, v58, v39 dst_sel:DWORD dst_unused:UNUSED_PAD src0_sel:WORD_1 src1_sel:DWORD
	v_mov_b32_e32 v24, 0
	v_mov_b32_e32 v22, 0
	s_mov_b32 s14, exec_lo
	v_cmpx_ne_u16_e32 0, v5
	s_cbranch_execz .LBB174_348
; %bb.341:                              ;   in Loop: Header=BB174_222 Depth=1
	v_bfrev_b32_e32 v21, 1
	v_mov_b32_e32 v22, 0
	s_mov_b32 s15, exec_lo
	v_cmpx_ne_u16_e32 0x80, v5
	s_cbranch_execz .LBB174_347
; %bb.342:                              ;   in Loop: Header=BB174_222 Depth=1
	v_mov_b32_e32 v21, 0x7f800001
	v_bfe_u32 v13, v58, 16, 7
	v_mov_b32_e32 v22, 0
	s_mov_b32 s16, exec_lo
	v_cmpx_ne_u32_e32 0x7f, v13
	s_cbranch_execz .LBB174_346
; %bb.343:                              ;   in Loop: Header=BB174_222 Depth=1
	v_and_b32_sdwa v5, v58, v40 dst_sel:DWORD dst_unused:UNUSED_PAD src0_sel:WORD_1 src1_sel:DWORD
	v_lshrrev_b32_e32 v11, 3, v13
	s_mov_b32 s17, exec_lo
	v_cmpx_gt_u32_e32 8, v13
; %bb.344:                              ;   in Loop: Header=BB174_222 Depth=1
	v_ffbh_u32_e32 v11, v5
	v_min_u32_e32 v11, 32, v11
	v_subrev_nc_u32_e32 v13, 28, v11
	v_sub_nc_u32_e32 v11, 29, v11
	v_lshlrev_b64 v[21:22], v13, v[5:6]
	v_and_b32_e32 v5, 7, v21
; %bb.345:                              ;   in Loop: Header=BB174_222 Depth=1
	s_or_b32 exec_lo, exec_lo, s17
	v_lshlrev_b32_sdwa v13, v41, v58 dst_sel:DWORD dst_unused:UNUSED_PAD src0_sel:DWORD src1_sel:WORD_1
	v_lshlrev_b32_e32 v5, 20, v5
	v_lshl_add_u32 v11, v11, 23, 0x3c000000
	v_and_b32_e32 v13, 0x80000000, v13
	v_or3_b32 v5, v5, v13, v11
	v_mov_b32_e32 v22, v6
	v_mov_b32_e32 v21, v5
.LBB174_346:                            ;   in Loop: Header=BB174_222 Depth=1
	s_or_b32 exec_lo, exec_lo, s16
.LBB174_347:                            ;   in Loop: Header=BB174_222 Depth=1
	s_or_b32 exec_lo, exec_lo, s15
.LBB174_348:                            ;   in Loop: Header=BB174_222 Depth=1
	s_or_b32 exec_lo, exec_lo, s14
	s_mov_b32 s14, exec_lo
	v_cmpx_lt_u32_e32 0xffffff, v58
	s_cbranch_execz .LBB174_356
; %bb.349:                              ;   in Loop: Header=BB174_222 Depth=1
	v_mov_b32_e32 v11, v6
	v_mov_b32_e32 v24, v12
	v_cmp_ne_u32_sdwa s0, v58, v37 src0_sel:BYTE_3 src1_sel:DWORD
	v_mov_b32_e32 v23, v11
	s_and_saveexec_b32 s15, s0
	s_cbranch_execz .LBB174_355
; %bb.350:                              ;   in Loop: Header=BB174_222 Depth=1
	v_mov_b32_e32 v13, v6
	v_mov_b32_e32 v24, v14
	v_bfe_u32 v59, v58, 24, 7
	s_mov_b32 s16, exec_lo
	v_mov_b32_e32 v23, v13
	v_cmpx_ne_u32_e32 0x7f, v59
	s_cbranch_execz .LBB174_354
; %bb.351:                              ;   in Loop: Header=BB174_222 Depth=1
	v_and_b32_sdwa v5, v58, v40 dst_sel:DWORD dst_unused:UNUSED_PAD src0_sel:BYTE_3 src1_sel:DWORD
	v_lshrrev_b32_e32 v11, 3, v59
	s_mov_b32 s17, exec_lo
	v_cmpx_gt_u32_e32 8, v59
; %bb.352:                              ;   in Loop: Header=BB174_222 Depth=1
	v_ffbh_u32_e32 v11, v5
	v_min_u32_e32 v11, 32, v11
	v_subrev_nc_u32_e32 v13, 28, v11
	v_sub_nc_u32_e32 v11, 29, v11
	v_lshlrev_b64 v[23:24], v13, v[5:6]
	v_and_b32_e32 v5, 7, v23
; %bb.353:                              ;   in Loop: Header=BB174_222 Depth=1
	s_or_b32 exec_lo, exec_lo, s17
	v_lshlrev_b32_sdwa v13, v41, v58 dst_sel:DWORD dst_unused:UNUSED_PAD src0_sel:DWORD src1_sel:BYTE_3
	v_lshlrev_b32_e32 v5, 20, v5
	v_lshl_add_u32 v11, v11, 23, 0x3c000000
	v_mov_b32_e32 v23, v6
	v_and_b32_e32 v13, 0x80000000, v13
	v_or3_b32 v24, v5, v13, v11
.LBB174_354:                            ;   in Loop: Header=BB174_222 Depth=1
	s_or_b32 exec_lo, exec_lo, s16
.LBB174_355:                            ;   in Loop: Header=BB174_222 Depth=1
	s_or_b32 exec_lo, exec_lo, s15
.LBB174_356:                            ;   in Loop: Header=BB174_222 Depth=1
	s_or_b32 exec_lo, exec_lo, s14
	v_or_b32_e32 v5, v20, v18
	v_or_b32_e32 v11, v19, v17
	;; [unrolled: 1-line block ×4, first 2 shown]
	v_mul_f32_e32 v60, s13, v5
	v_mul_f32_e32 v61, s2, v11
	;; [unrolled: 1-line block ×4, first 2 shown]
	s_and_saveexec_b32 s14, vcc_lo
	s_cbranch_execz .LBB174_358
; %bb.357:                              ;   in Loop: Header=BB174_222 Depth=1
	v_cmp_gt_i32_e64 s0, s11, v47
	v_cndmask_b32_e64 v61, 0, v61, s0
	v_cmp_gt_i32_e64 s0, s11, v49
	v_cndmask_b32_e64 v60, 0, v60, s0
	;; [unrolled: 2-line block ×4, first 2 shown]
.LBB174_358:                            ;   in Loop: Header=BB174_222 Depth=1
	s_or_b32 exec_lo, exec_lo, s14
	global_load_dword v62, v[15:16], off offset:512
	v_mov_b32_e32 v19, 0
	v_mov_b32_e32 v17, 0
	;; [unrolled: 1-line block ×4, first 2 shown]
	s_waitcnt vmcnt(0)
	v_cmp_ne_u16_sdwa s0, v62, v6 src0_sel:BYTE_0 src1_sel:DWORD
	s_and_saveexec_b32 s14, s0
	s_cbranch_execz .LBB174_366
; %bb.359:                              ;   in Loop: Header=BB174_222 Depth=1
	v_bfrev_b32_e32 v17, 1
	v_mov_b32_e32 v18, 0
	v_cmp_ne_u16_sdwa s0, v62, v37 src0_sel:BYTE_0 src1_sel:DWORD
	s_and_saveexec_b32 s15, s0
	s_cbranch_execz .LBB174_365
; %bb.360:                              ;   in Loop: Header=BB174_222 Depth=1
	v_mov_b32_e32 v17, 0x7f800001
	v_and_b32_e32 v13, 0x7f, v62
	v_mov_b32_e32 v18, 0
	s_mov_b32 s16, exec_lo
	v_cmpx_ne_u32_e32 0x7f, v13
	s_cbranch_execz .LBB174_364
; %bb.361:                              ;   in Loop: Header=BB174_222 Depth=1
	v_and_b32_e32 v5, 7, v62
	v_lshrrev_b32_e32 v11, 3, v13
	s_mov_b32 s17, exec_lo
	v_cmpx_gt_u32_e32 8, v13
; %bb.362:                              ;   in Loop: Header=BB174_222 Depth=1
	v_ffbh_u32_e32 v11, v5
	v_min_u32_e32 v11, 32, v11
	v_subrev_nc_u32_e32 v13, 28, v11
	v_sub_nc_u32_e32 v11, 29, v11
	v_lshlrev_b64 v[17:18], v13, v[5:6]
	v_and_b32_e32 v5, 7, v17
; %bb.363:                              ;   in Loop: Header=BB174_222 Depth=1
	s_or_b32 exec_lo, exec_lo, s17
	v_lshlrev_b32_e32 v13, 24, v62
	v_lshlrev_b32_e32 v5, 20, v5
	v_lshl_add_u32 v11, v11, 23, 0x3c000000
	v_and_b32_e32 v13, 0x80000000, v13
	v_or3_b32 v5, v5, v13, v11
	v_mov_b32_e32 v18, v6
	v_mov_b32_e32 v17, v5
.LBB174_364:                            ;   in Loop: Header=BB174_222 Depth=1
	s_or_b32 exec_lo, exec_lo, s16
.LBB174_365:                            ;   in Loop: Header=BB174_222 Depth=1
	s_or_b32 exec_lo, exec_lo, s15
.LBB174_366:                            ;   in Loop: Header=BB174_222 Depth=1
	s_or_b32 exec_lo, exec_lo, s14
	v_cmp_ne_u16_sdwa s0, v62, v6 src0_sel:BYTE_1 src1_sel:DWORD
	s_and_saveexec_b32 s14, s0
	s_cbranch_execz .LBB174_374
; %bb.367:                              ;   in Loop: Header=BB174_222 Depth=1
	v_mov_b32_e32 v11, v6
	v_mov_b32_e32 v20, v12
	v_cmp_ne_u16_sdwa s0, v62, v37 src0_sel:BYTE_1 src1_sel:DWORD
	v_mov_b32_e32 v19, v11
	s_and_saveexec_b32 s15, s0
	s_cbranch_execz .LBB174_373
; %bb.368:                              ;   in Loop: Header=BB174_222 Depth=1
	v_and_b32_sdwa v5, v38, v62 dst_sel:DWORD dst_unused:UNUSED_PAD src0_sel:DWORD src1_sel:BYTE_1
	v_mov_b32_e32 v13, v6
	v_mov_b32_e32 v20, v14
	s_mov_b32 s16, exec_lo
	v_and_b32_e32 v21, 0x7f, v5
	v_mov_b32_e32 v19, v13
	v_cmpx_ne_u32_e32 0x7f, v21
	s_cbranch_execz .LBB174_372
; %bb.369:                              ;   in Loop: Header=BB174_222 Depth=1
	v_and_b32_e32 v5, 7, v5
	v_lshrrev_b32_e32 v11, 3, v21
	s_mov_b32 s17, exec_lo
	v_cmpx_gt_u32_e32 8, v21
; %bb.370:                              ;   in Loop: Header=BB174_222 Depth=1
	v_ffbh_u32_e32 v11, v5
	v_min_u32_e32 v11, 32, v11
	v_subrev_nc_u32_e32 v13, 28, v11
	v_sub_nc_u32_e32 v11, 29, v11
	v_lshlrev_b64 v[19:20], v13, v[5:6]
	v_and_b32_e32 v5, 7, v19
; %bb.371:                              ;   in Loop: Header=BB174_222 Depth=1
	s_or_b32 exec_lo, exec_lo, s17
	v_lshlrev_b32_e32 v13, 16, v62
	v_lshlrev_b32_e32 v5, 20, v5
	v_lshl_add_u32 v11, v11, 23, 0x3c000000
	v_mov_b32_e32 v19, v6
	v_and_b32_e32 v13, 0x80000000, v13
	v_or3_b32 v20, v5, v13, v11
.LBB174_372:                            ;   in Loop: Header=BB174_222 Depth=1
	s_or_b32 exec_lo, exec_lo, s16
.LBB174_373:                            ;   in Loop: Header=BB174_222 Depth=1
	s_or_b32 exec_lo, exec_lo, s15
.LBB174_374:                            ;   in Loop: Header=BB174_222 Depth=1
	s_or_b32 exec_lo, exec_lo, s14
	v_mov_b32_e32 v23, 0
	v_mov_b32_e32 v21, 0
	v_and_b32_sdwa v5, v62, v39 dst_sel:DWORD dst_unused:UNUSED_PAD src0_sel:WORD_1 src1_sel:DWORD
	v_mov_b32_e32 v24, 0
	v_mov_b32_e32 v22, 0
	s_mov_b32 s14, exec_lo
	v_cmpx_ne_u16_e32 0, v5
	s_cbranch_execz .LBB174_382
; %bb.375:                              ;   in Loop: Header=BB174_222 Depth=1
	v_bfrev_b32_e32 v21, 1
	v_mov_b32_e32 v22, 0
	s_mov_b32 s15, exec_lo
	v_cmpx_ne_u16_e32 0x80, v5
	s_cbranch_execz .LBB174_381
; %bb.376:                              ;   in Loop: Header=BB174_222 Depth=1
	v_mov_b32_e32 v21, 0x7f800001
	v_bfe_u32 v13, v62, 16, 7
	v_mov_b32_e32 v22, 0
	s_mov_b32 s16, exec_lo
	v_cmpx_ne_u32_e32 0x7f, v13
	s_cbranch_execz .LBB174_380
; %bb.377:                              ;   in Loop: Header=BB174_222 Depth=1
	v_and_b32_sdwa v5, v62, v40 dst_sel:DWORD dst_unused:UNUSED_PAD src0_sel:WORD_1 src1_sel:DWORD
	v_lshrrev_b32_e32 v11, 3, v13
	s_mov_b32 s17, exec_lo
	v_cmpx_gt_u32_e32 8, v13
; %bb.378:                              ;   in Loop: Header=BB174_222 Depth=1
	v_ffbh_u32_e32 v11, v5
	v_min_u32_e32 v11, 32, v11
	v_subrev_nc_u32_e32 v13, 28, v11
	v_sub_nc_u32_e32 v11, 29, v11
	v_lshlrev_b64 v[21:22], v13, v[5:6]
	v_and_b32_e32 v5, 7, v21
; %bb.379:                              ;   in Loop: Header=BB174_222 Depth=1
	s_or_b32 exec_lo, exec_lo, s17
	v_lshlrev_b32_sdwa v13, v41, v62 dst_sel:DWORD dst_unused:UNUSED_PAD src0_sel:DWORD src1_sel:WORD_1
	v_lshlrev_b32_e32 v5, 20, v5
	v_lshl_add_u32 v11, v11, 23, 0x3c000000
	v_and_b32_e32 v13, 0x80000000, v13
	v_or3_b32 v5, v5, v13, v11
	v_mov_b32_e32 v22, v6
	v_mov_b32_e32 v21, v5
.LBB174_380:                            ;   in Loop: Header=BB174_222 Depth=1
	s_or_b32 exec_lo, exec_lo, s16
.LBB174_381:                            ;   in Loop: Header=BB174_222 Depth=1
	s_or_b32 exec_lo, exec_lo, s15
.LBB174_382:                            ;   in Loop: Header=BB174_222 Depth=1
	s_or_b32 exec_lo, exec_lo, s14
	s_mov_b32 s14, exec_lo
	v_cmpx_lt_u32_e32 0xffffff, v62
	s_cbranch_execz .LBB174_390
; %bb.383:                              ;   in Loop: Header=BB174_222 Depth=1
	v_mov_b32_e32 v11, v6
	v_mov_b32_e32 v24, v12
	v_cmp_ne_u32_sdwa s0, v62, v37 src0_sel:BYTE_3 src1_sel:DWORD
	v_mov_b32_e32 v23, v11
	s_and_saveexec_b32 s15, s0
	s_cbranch_execz .LBB174_389
; %bb.384:                              ;   in Loop: Header=BB174_222 Depth=1
	v_mov_b32_e32 v13, v6
	v_mov_b32_e32 v24, v14
	v_bfe_u32 v63, v62, 24, 7
	s_mov_b32 s16, exec_lo
	v_mov_b32_e32 v23, v13
	v_cmpx_ne_u32_e32 0x7f, v63
	s_cbranch_execz .LBB174_388
; %bb.385:                              ;   in Loop: Header=BB174_222 Depth=1
	v_and_b32_sdwa v5, v62, v40 dst_sel:DWORD dst_unused:UNUSED_PAD src0_sel:BYTE_3 src1_sel:DWORD
	v_lshrrev_b32_e32 v11, 3, v63
	s_mov_b32 s17, exec_lo
	v_cmpx_gt_u32_e32 8, v63
; %bb.386:                              ;   in Loop: Header=BB174_222 Depth=1
	v_ffbh_u32_e32 v11, v5
	v_min_u32_e32 v11, 32, v11
	v_subrev_nc_u32_e32 v13, 28, v11
	v_sub_nc_u32_e32 v11, 29, v11
	v_lshlrev_b64 v[23:24], v13, v[5:6]
	v_and_b32_e32 v5, 7, v23
; %bb.387:                              ;   in Loop: Header=BB174_222 Depth=1
	s_or_b32 exec_lo, exec_lo, s17
	v_lshlrev_b32_sdwa v13, v41, v62 dst_sel:DWORD dst_unused:UNUSED_PAD src0_sel:DWORD src1_sel:BYTE_3
	v_lshlrev_b32_e32 v5, 20, v5
	v_lshl_add_u32 v11, v11, 23, 0x3c000000
	v_mov_b32_e32 v23, v6
	v_and_b32_e32 v13, 0x80000000, v13
	v_or3_b32 v24, v5, v13, v11
.LBB174_388:                            ;   in Loop: Header=BB174_222 Depth=1
	s_or_b32 exec_lo, exec_lo, s16
.LBB174_389:                            ;   in Loop: Header=BB174_222 Depth=1
	s_or_b32 exec_lo, exec_lo, s15
.LBB174_390:                            ;   in Loop: Header=BB174_222 Depth=1
	s_or_b32 exec_lo, exec_lo, s14
	v_or_b32_e32 v5, v20, v18
	v_or_b32_e32 v11, v19, v17
	;; [unrolled: 1-line block ×4, first 2 shown]
	v_mul_f32_e32 v62, s13, v5
	v_mul_f32_e32 v63, s2, v11
	;; [unrolled: 1-line block ×4, first 2 shown]
	s_and_saveexec_b32 s14, vcc_lo
	s_cbranch_execz .LBB174_392
; %bb.391:                              ;   in Loop: Header=BB174_222 Depth=1
	v_cmp_gt_i32_e64 s0, s11, v47
	v_cndmask_b32_e64 v63, 0, v63, s0
	v_cmp_gt_i32_e64 s0, s11, v49
	v_cndmask_b32_e64 v62, 0, v62, s0
	;; [unrolled: 2-line block ×4, first 2 shown]
.LBB174_392:                            ;   in Loop: Header=BB174_222 Depth=1
	s_or_b32 exec_lo, exec_lo, s14
	global_load_dword v64, v[15:16], off offset:640
	v_mov_b32_e32 v17, 0
	v_mov_b32_e32 v15, 0
	;; [unrolled: 1-line block ×4, first 2 shown]
	s_waitcnt vmcnt(0)
	v_cmp_ne_u16_sdwa s0, v64, v6 src0_sel:BYTE_0 src1_sel:DWORD
	s_and_saveexec_b32 s14, s0
	s_cbranch_execz .LBB174_400
; %bb.393:                              ;   in Loop: Header=BB174_222 Depth=1
	v_bfrev_b32_e32 v15, 1
	v_mov_b32_e32 v16, 0
	v_cmp_ne_u16_sdwa s0, v64, v37 src0_sel:BYTE_0 src1_sel:DWORD
	s_and_saveexec_b32 s15, s0
	s_cbranch_execz .LBB174_399
; %bb.394:                              ;   in Loop: Header=BB174_222 Depth=1
	v_mov_b32_e32 v15, 0x7f800001
	v_and_b32_e32 v13, 0x7f, v64
	v_mov_b32_e32 v16, 0
	s_mov_b32 s16, exec_lo
	v_cmpx_ne_u32_e32 0x7f, v13
	s_cbranch_execz .LBB174_398
; %bb.395:                              ;   in Loop: Header=BB174_222 Depth=1
	v_and_b32_e32 v5, 7, v64
	v_lshrrev_b32_e32 v11, 3, v13
	s_mov_b32 s17, exec_lo
	v_cmpx_gt_u32_e32 8, v13
; %bb.396:                              ;   in Loop: Header=BB174_222 Depth=1
	v_ffbh_u32_e32 v11, v5
	v_min_u32_e32 v11, 32, v11
	v_subrev_nc_u32_e32 v13, 28, v11
	v_sub_nc_u32_e32 v11, 29, v11
	v_lshlrev_b64 v[15:16], v13, v[5:6]
	v_and_b32_e32 v5, 7, v15
; %bb.397:                              ;   in Loop: Header=BB174_222 Depth=1
	s_or_b32 exec_lo, exec_lo, s17
	v_lshlrev_b32_e32 v13, 24, v64
	v_lshlrev_b32_e32 v5, 20, v5
	v_lshl_add_u32 v11, v11, 23, 0x3c000000
	v_and_b32_e32 v13, 0x80000000, v13
	v_or3_b32 v5, v5, v13, v11
	v_mov_b32_e32 v16, v6
	v_mov_b32_e32 v15, v5
.LBB174_398:                            ;   in Loop: Header=BB174_222 Depth=1
	s_or_b32 exec_lo, exec_lo, s16
.LBB174_399:                            ;   in Loop: Header=BB174_222 Depth=1
	s_or_b32 exec_lo, exec_lo, s15
.LBB174_400:                            ;   in Loop: Header=BB174_222 Depth=1
	s_or_b32 exec_lo, exec_lo, s14
	v_cmp_ne_u16_sdwa s0, v64, v6 src0_sel:BYTE_1 src1_sel:DWORD
	s_and_saveexec_b32 s14, s0
	s_cbranch_execz .LBB174_408
; %bb.401:                              ;   in Loop: Header=BB174_222 Depth=1
	v_mov_b32_e32 v11, v6
	v_mov_b32_e32 v18, v12
	v_cmp_ne_u16_sdwa s0, v64, v37 src0_sel:BYTE_1 src1_sel:DWORD
	v_mov_b32_e32 v17, v11
	s_and_saveexec_b32 s15, s0
	s_cbranch_execz .LBB174_407
; %bb.402:                              ;   in Loop: Header=BB174_222 Depth=1
	v_and_b32_sdwa v5, v38, v64 dst_sel:DWORD dst_unused:UNUSED_PAD src0_sel:DWORD src1_sel:BYTE_1
	v_mov_b32_e32 v13, v6
	v_mov_b32_e32 v18, v14
	s_mov_b32 s16, exec_lo
	v_and_b32_e32 v19, 0x7f, v5
	v_mov_b32_e32 v17, v13
	v_cmpx_ne_u32_e32 0x7f, v19
	s_cbranch_execz .LBB174_406
; %bb.403:                              ;   in Loop: Header=BB174_222 Depth=1
	v_and_b32_e32 v5, 7, v5
	v_lshrrev_b32_e32 v11, 3, v19
	s_mov_b32 s17, exec_lo
	v_cmpx_gt_u32_e32 8, v19
; %bb.404:                              ;   in Loop: Header=BB174_222 Depth=1
	v_ffbh_u32_e32 v11, v5
	v_min_u32_e32 v11, 32, v11
	v_subrev_nc_u32_e32 v13, 28, v11
	v_sub_nc_u32_e32 v11, 29, v11
	v_lshlrev_b64 v[17:18], v13, v[5:6]
	v_and_b32_e32 v5, 7, v17
; %bb.405:                              ;   in Loop: Header=BB174_222 Depth=1
	s_or_b32 exec_lo, exec_lo, s17
	v_lshlrev_b32_e32 v13, 16, v64
	v_lshlrev_b32_e32 v5, 20, v5
	v_lshl_add_u32 v11, v11, 23, 0x3c000000
	v_mov_b32_e32 v17, v6
	v_and_b32_e32 v13, 0x80000000, v13
	v_or3_b32 v18, v5, v13, v11
.LBB174_406:                            ;   in Loop: Header=BB174_222 Depth=1
	s_or_b32 exec_lo, exec_lo, s16
.LBB174_407:                            ;   in Loop: Header=BB174_222 Depth=1
	s_or_b32 exec_lo, exec_lo, s15
.LBB174_408:                            ;   in Loop: Header=BB174_222 Depth=1
	s_or_b32 exec_lo, exec_lo, s14
	v_mov_b32_e32 v21, 0
	v_mov_b32_e32 v19, 0
	v_and_b32_sdwa v5, v64, v39 dst_sel:DWORD dst_unused:UNUSED_PAD src0_sel:WORD_1 src1_sel:DWORD
	v_mov_b32_e32 v22, 0
	v_mov_b32_e32 v20, 0
	s_mov_b32 s14, exec_lo
	v_cmpx_ne_u16_e32 0, v5
	s_cbranch_execz .LBB174_416
; %bb.409:                              ;   in Loop: Header=BB174_222 Depth=1
	v_bfrev_b32_e32 v19, 1
	v_mov_b32_e32 v20, 0
	s_mov_b32 s15, exec_lo
	v_cmpx_ne_u16_e32 0x80, v5
	s_cbranch_execz .LBB174_415
; %bb.410:                              ;   in Loop: Header=BB174_222 Depth=1
	v_mov_b32_e32 v19, 0x7f800001
	v_bfe_u32 v13, v64, 16, 7
	v_mov_b32_e32 v20, 0
	s_mov_b32 s16, exec_lo
	v_cmpx_ne_u32_e32 0x7f, v13
	s_cbranch_execz .LBB174_414
; %bb.411:                              ;   in Loop: Header=BB174_222 Depth=1
	v_and_b32_sdwa v5, v64, v40 dst_sel:DWORD dst_unused:UNUSED_PAD src0_sel:WORD_1 src1_sel:DWORD
	v_lshrrev_b32_e32 v11, 3, v13
	s_mov_b32 s17, exec_lo
	v_cmpx_gt_u32_e32 8, v13
; %bb.412:                              ;   in Loop: Header=BB174_222 Depth=1
	v_ffbh_u32_e32 v11, v5
	v_min_u32_e32 v11, 32, v11
	v_subrev_nc_u32_e32 v13, 28, v11
	v_sub_nc_u32_e32 v11, 29, v11
	v_lshlrev_b64 v[19:20], v13, v[5:6]
	v_and_b32_e32 v5, 7, v19
; %bb.413:                              ;   in Loop: Header=BB174_222 Depth=1
	s_or_b32 exec_lo, exec_lo, s17
	v_lshlrev_b32_sdwa v13, v41, v64 dst_sel:DWORD dst_unused:UNUSED_PAD src0_sel:DWORD src1_sel:WORD_1
	v_lshlrev_b32_e32 v5, 20, v5
	v_lshl_add_u32 v11, v11, 23, 0x3c000000
	v_and_b32_e32 v13, 0x80000000, v13
	v_or3_b32 v5, v5, v13, v11
	v_mov_b32_e32 v20, v6
	v_mov_b32_e32 v19, v5
.LBB174_414:                            ;   in Loop: Header=BB174_222 Depth=1
	s_or_b32 exec_lo, exec_lo, s16
.LBB174_415:                            ;   in Loop: Header=BB174_222 Depth=1
	s_or_b32 exec_lo, exec_lo, s15
.LBB174_416:                            ;   in Loop: Header=BB174_222 Depth=1
	s_or_b32 exec_lo, exec_lo, s14
	s_mov_b32 s14, exec_lo
	v_cmpx_lt_u32_e32 0xffffff, v64
	s_cbranch_execz .LBB174_424
; %bb.417:                              ;   in Loop: Header=BB174_222 Depth=1
	v_mov_b32_e32 v11, v6
	v_mov_b32_e32 v22, v12
	v_cmp_ne_u32_sdwa s0, v64, v37 src0_sel:BYTE_3 src1_sel:DWORD
	v_mov_b32_e32 v21, v11
	s_and_saveexec_b32 s15, s0
	s_cbranch_execz .LBB174_423
; %bb.418:                              ;   in Loop: Header=BB174_222 Depth=1
	v_mov_b32_e32 v13, v6
	v_mov_b32_e32 v22, v14
	v_bfe_u32 v65, v64, 24, 7
	s_mov_b32 s16, exec_lo
	v_mov_b32_e32 v21, v13
	v_cmpx_ne_u32_e32 0x7f, v65
	s_cbranch_execz .LBB174_422
; %bb.419:                              ;   in Loop: Header=BB174_222 Depth=1
	v_and_b32_sdwa v5, v64, v40 dst_sel:DWORD dst_unused:UNUSED_PAD src0_sel:BYTE_3 src1_sel:DWORD
	v_lshrrev_b32_e32 v11, 3, v65
	s_mov_b32 s17, exec_lo
	v_cmpx_gt_u32_e32 8, v65
; %bb.420:                              ;   in Loop: Header=BB174_222 Depth=1
	v_ffbh_u32_e32 v11, v5
	v_min_u32_e32 v11, 32, v11
	v_subrev_nc_u32_e32 v13, 28, v11
	v_sub_nc_u32_e32 v11, 29, v11
	v_lshlrev_b64 v[21:22], v13, v[5:6]
	v_and_b32_e32 v5, 7, v21
; %bb.421:                              ;   in Loop: Header=BB174_222 Depth=1
	s_or_b32 exec_lo, exec_lo, s17
	v_lshlrev_b32_sdwa v13, v41, v64 dst_sel:DWORD dst_unused:UNUSED_PAD src0_sel:DWORD src1_sel:BYTE_3
	v_lshlrev_b32_e32 v5, 20, v5
	v_lshl_add_u32 v11, v11, 23, 0x3c000000
	v_mov_b32_e32 v21, v6
	v_and_b32_e32 v13, 0x80000000, v13
	v_or3_b32 v22, v5, v13, v11
.LBB174_422:                            ;   in Loop: Header=BB174_222 Depth=1
	s_or_b32 exec_lo, exec_lo, s16
.LBB174_423:                            ;   in Loop: Header=BB174_222 Depth=1
	s_or_b32 exec_lo, exec_lo, s15
.LBB174_424:                            ;   in Loop: Header=BB174_222 Depth=1
	s_or_b32 exec_lo, exec_lo, s14
	v_or_b32_e32 v5, v18, v16
	v_or_b32_e32 v11, v17, v15
	;; [unrolled: 1-line block ×4, first 2 shown]
	v_mul_f32_e32 v13, s13, v5
	v_mul_f32_e32 v15, s2, v11
	;; [unrolled: 1-line block ×4, first 2 shown]
	s_and_saveexec_b32 s0, vcc_lo
	s_cbranch_execz .LBB174_221
; %bb.425:                              ;   in Loop: Header=BB174_222 Depth=1
	v_cmp_gt_i32_e32 vcc_lo, s11, v47
	v_cndmask_b32_e32 v15, 0, v15, vcc_lo
	v_cmp_gt_i32_e32 vcc_lo, s11, v49
	v_cndmask_b32_e32 v13, 0, v13, vcc_lo
	;; [unrolled: 2-line block ×4, first 2 shown]
	s_branch .LBB174_221
.LBB174_426:
	s_or_b32 exec_lo, exec_lo, s5
.LBB174_427:
	s_or_b32 exec_lo, exec_lo, s1
	ds_bpermute_b32 v1, v27, v31
	ds_bpermute_b32 v2, v27, v35
	;; [unrolled: 1-line block ×6, first 2 shown]
	v_lshrrev_b32_e32 v7, 1, v25
	v_mul_u32_u24_e32 v9, 0x180, v33
	v_and_b32_e32 v10, 0x3c1, v0
	s_mov_b32 s0, exec_lo
	s_waitcnt lgkmcnt(0)
	v_lshl_add_u32 v8, v7, 2, 0x1a0
	s_barrier
	buffer_gl0_inv
	v_add_f32_e32 v1, v31, v1
	v_add_f32_e32 v2, v35, v2
	;; [unrolled: 1-line block ×6, first 2 shown]
	v_cmpx_eq_u32_e32 64, v10
	s_cbranch_execz .LBB174_429
; %bb.428:
	v_add_nc_u32_e32 v10, v8, v9
	v_add_nc_u32_e32 v11, 0xfffffd00, v10
	;; [unrolled: 1-line block ×7, first 2 shown]
	ds_write_b32 v11, v1
	ds_write_b32 v12, v2
	;; [unrolled: 1-line block ×6, first 2 shown]
.LBB174_429:
	s_or_b32 exec_lo, exec_lo, s0
	v_lshlrev_b32_e32 v7, 2, v7
	s_mov_b32 s1, exec_lo
	v_cmp_eq_u32_e32 vcc_lo, 0, v26
	s_waitcnt lgkmcnt(0)
	s_barrier
	v_add3_u32 v7, 0x1a0, v9, v7
	buffer_gl0_inv
	v_cmpx_gt_u32_e32 64, v0
	s_cbranch_execz .LBB174_438
; %bb.430:
	s_and_saveexec_b32 s0, vcc_lo
	s_cbranch_execnz .LBB174_452
; %bb.431:
	s_or_b32 exec_lo, exec_lo, s0
	s_and_saveexec_b32 s0, vcc_lo
	s_cbranch_execnz .LBB174_453
.LBB174_432:
	s_or_b32 exec_lo, exec_lo, s0
	s_and_saveexec_b32 s0, vcc_lo
	s_cbranch_execnz .LBB174_454
.LBB174_433:
	s_or_b32 exec_lo, exec_lo, s0
	s_and_saveexec_b32 s0, vcc_lo
	s_cbranch_execnz .LBB174_455
.LBB174_434:
	s_or_b32 exec_lo, exec_lo, s0
	s_and_saveexec_b32 s0, vcc_lo
	s_cbranch_execnz .LBB174_456
.LBB174_435:
	s_or_b32 exec_lo, exec_lo, s0
	s_and_saveexec_b32 s0, vcc_lo
	s_cbranch_execz .LBB174_437
.LBB174_436:
	ds_read_b32 v9, v7 offset:320
	s_waitcnt lgkmcnt(0)
	v_add_f32_e32 v6, v6, v9
.LBB174_437:
	s_or_b32 exec_lo, exec_lo, s0
.LBB174_438:
	s_or_b32 exec_lo, exec_lo, s1
	v_and_b32_e32 v9, 0x3e1, v0
	s_mov_b32 s1, exec_lo
	s_barrier
	buffer_gl0_inv
	v_cmpx_eq_u32_e32 32, v9
	s_cbranch_execz .LBB174_440
; %bb.439:
	ds_write2_b32 v8, v1, v2 offset1:16
	ds_write2_b32 v8, v3, v4 offset0:32 offset1:48
	ds_write2_b32 v8, v5, v6 offset0:64 offset1:80
.LBB174_440:
	s_or_b32 exec_lo, exec_lo, s1
	s_mov_b32 s1, exec_lo
	s_waitcnt lgkmcnt(0)
	s_barrier
	buffer_gl0_inv
	v_cmpx_gt_u32_e32 32, v0
	s_cbranch_execz .LBB174_449
; %bb.441:
	s_and_saveexec_b32 s0, vcc_lo
	s_cbranch_execnz .LBB174_457
; %bb.442:
	s_or_b32 exec_lo, exec_lo, s0
	s_and_saveexec_b32 s0, vcc_lo
	s_cbranch_execnz .LBB174_458
.LBB174_443:
	s_or_b32 exec_lo, exec_lo, s0
	s_and_saveexec_b32 s0, vcc_lo
	s_cbranch_execnz .LBB174_459
.LBB174_444:
	s_or_b32 exec_lo, exec_lo, s0
	s_and_saveexec_b32 s0, vcc_lo
	s_cbranch_execnz .LBB174_460
.LBB174_445:
	s_or_b32 exec_lo, exec_lo, s0
	s_and_saveexec_b32 s0, vcc_lo
	s_cbranch_execnz .LBB174_461
.LBB174_446:
	s_or_b32 exec_lo, exec_lo, s0
	s_and_saveexec_b32 s0, vcc_lo
	s_cbranch_execz .LBB174_448
.LBB174_447:
	ds_read_b32 v7, v7 offset:320
	s_waitcnt lgkmcnt(0)
	v_add_f32_e32 v6, v6, v7
.LBB174_448:
	s_or_b32 exec_lo, exec_lo, s0
.LBB174_449:
	s_or_b32 exec_lo, exec_lo, s1
	s_barrier
	buffer_gl0_inv
	s_mov_b32 s0, exec_lo
	v_cmpx_eq_u32_e32 0, v9
	s_cbranch_execz .LBB174_451
; %bb.450:
	s_mul_i32 s0, s10, s7
	s_mul_i32 s2, s7, s6
	;; [unrolled: 1-line block ×3, first 2 shown]
	v_lshlrev_b32_e32 v0, 1, v0
	s_mulk_i32 s0, 0x60
	s_ashr_i32 s1, s0, 31
	s_lshl_b64 s[0:1], s[0:1], 2
	s_add_u32 s4, s20, s0
	s_addc_u32 s5, s21, s1
	s_ashr_i32 s3, s2, 31
	s_lshl_b64 s[0:1], s[2:3], 2
	s_mul_i32 s2, s8, 0x60
	s_add_u32 s4, s4, s0
	s_addc_u32 s5, s5, s1
	s_ashr_i32 s3, s2, 31
	s_lshl_b64 s[0:1], s[2:3], 2
	s_add_u32 s0, s4, s0
	s_addc_u32 s1, s5, s1
	global_store_dword v0, v1, s[0:1]
	global_store_dword v0, v2, s[0:1] offset:64
	global_store_dword v0, v3, s[0:1] offset:128
	;; [unrolled: 1-line block ×5, first 2 shown]
.LBB174_451:
	s_endpgm
.LBB174_452:
	ds_read_b32 v9, v7
	s_waitcnt lgkmcnt(0)
	v_add_f32_e32 v1, v1, v9
	s_or_b32 exec_lo, exec_lo, s0
	s_and_saveexec_b32 s0, vcc_lo
	s_cbranch_execz .LBB174_432
.LBB174_453:
	ds_read_b32 v9, v7 offset:64
	s_waitcnt lgkmcnt(0)
	v_add_f32_e32 v2, v2, v9
	s_or_b32 exec_lo, exec_lo, s0
	s_and_saveexec_b32 s0, vcc_lo
	s_cbranch_execz .LBB174_433
.LBB174_454:
	ds_read_b32 v9, v7 offset:128
	s_waitcnt lgkmcnt(0)
	v_add_f32_e32 v3, v3, v9
	s_or_b32 exec_lo, exec_lo, s0
	s_and_saveexec_b32 s0, vcc_lo
	s_cbranch_execz .LBB174_434
.LBB174_455:
	ds_read_b32 v9, v7 offset:192
	s_waitcnt lgkmcnt(0)
	v_add_f32_e32 v4, v4, v9
	s_or_b32 exec_lo, exec_lo, s0
	s_and_saveexec_b32 s0, vcc_lo
	s_cbranch_execz .LBB174_435
.LBB174_456:
	ds_read_b32 v9, v7 offset:256
	s_waitcnt lgkmcnt(0)
	v_add_f32_e32 v5, v5, v9
	s_or_b32 exec_lo, exec_lo, s0
	s_and_saveexec_b32 s0, vcc_lo
	s_cbranch_execnz .LBB174_436
	s_branch .LBB174_437
.LBB174_457:
	ds_read_b32 v8, v7
	s_waitcnt lgkmcnt(0)
	v_add_f32_e32 v1, v1, v8
	s_or_b32 exec_lo, exec_lo, s0
	s_and_saveexec_b32 s0, vcc_lo
	s_cbranch_execz .LBB174_443
.LBB174_458:
	ds_read_b32 v8, v7 offset:64
	s_waitcnt lgkmcnt(0)
	v_add_f32_e32 v2, v2, v8
	s_or_b32 exec_lo, exec_lo, s0
	s_and_saveexec_b32 s0, vcc_lo
	s_cbranch_execz .LBB174_444
.LBB174_459:
	ds_read_b32 v8, v7 offset:128
	s_waitcnt lgkmcnt(0)
	v_add_f32_e32 v3, v3, v8
	s_or_b32 exec_lo, exec_lo, s0
	s_and_saveexec_b32 s0, vcc_lo
	s_cbranch_execz .LBB174_445
.LBB174_460:
	ds_read_b32 v8, v7 offset:192
	s_waitcnt lgkmcnt(0)
	v_add_f32_e32 v4, v4, v8
	s_or_b32 exec_lo, exec_lo, s0
	s_and_saveexec_b32 s0, vcc_lo
	s_cbranch_execz .LBB174_446
.LBB174_461:
	ds_read_b32 v8, v7 offset:256
	s_waitcnt lgkmcnt(0)
	v_add_f32_e32 v5, v5, v8
	s_or_b32 exec_lo, exec_lo, s0
	s_and_saveexec_b32 s0, vcc_lo
	s_cbranch_execnz .LBB174_447
	s_branch .LBB174_448
	.section	.rodata,"a",@progbits
	.p2align	6, 0x0
	.amdhsa_kernel _ZN4vllm25paged_attention_v1_kernelIfhLi96ELi8ELi128ELNS_18Fp8KVCacheDataTypeE1ELb0EEEvPT_PKS2_PKT0_S8_ifPKiSA_iPKfiiiSC_SC_iiiii
		.amdhsa_group_segment_fixed_size 416
		.amdhsa_private_segment_fixed_size 0
		.amdhsa_kernarg_size 384
		.amdhsa_user_sgpr_count 6
		.amdhsa_user_sgpr_private_segment_buffer 1
		.amdhsa_user_sgpr_dispatch_ptr 0
		.amdhsa_user_sgpr_queue_ptr 0
		.amdhsa_user_sgpr_kernarg_segment_ptr 1
		.amdhsa_user_sgpr_dispatch_id 0
		.amdhsa_user_sgpr_flat_scratch_init 0
		.amdhsa_user_sgpr_private_segment_size 0
		.amdhsa_wavefront_size32 1
		.amdhsa_uses_dynamic_stack 0
		.amdhsa_system_sgpr_private_segment_wavefront_offset 0
		.amdhsa_system_sgpr_workgroup_id_x 1
		.amdhsa_system_sgpr_workgroup_id_y 1
		.amdhsa_system_sgpr_workgroup_id_z 1
		.amdhsa_system_sgpr_workgroup_info 0
		.amdhsa_system_vgpr_workitem_id 0
		.amdhsa_next_free_vgpr 73
		.amdhsa_next_free_sgpr 34
		.amdhsa_reserve_vcc 1
		.amdhsa_reserve_flat_scratch 0
		.amdhsa_float_round_mode_32 0
		.amdhsa_float_round_mode_16_64 0
		.amdhsa_float_denorm_mode_32 3
		.amdhsa_float_denorm_mode_16_64 3
		.amdhsa_dx10_clamp 1
		.amdhsa_ieee_mode 1
		.amdhsa_fp16_overflow 0
		.amdhsa_workgroup_processor_mode 1
		.amdhsa_memory_ordered 1
		.amdhsa_forward_progress 1
		.amdhsa_shared_vgpr_count 0
		.amdhsa_exception_fp_ieee_invalid_op 0
		.amdhsa_exception_fp_denorm_src 0
		.amdhsa_exception_fp_ieee_div_zero 0
		.amdhsa_exception_fp_ieee_overflow 0
		.amdhsa_exception_fp_ieee_underflow 0
		.amdhsa_exception_fp_ieee_inexact 0
		.amdhsa_exception_int_div_zero 0
	.end_amdhsa_kernel
	.section	.text._ZN4vllm25paged_attention_v1_kernelIfhLi96ELi8ELi128ELNS_18Fp8KVCacheDataTypeE1ELb0EEEvPT_PKS2_PKT0_S8_ifPKiSA_iPKfiiiSC_SC_iiiii,"axG",@progbits,_ZN4vllm25paged_attention_v1_kernelIfhLi96ELi8ELi128ELNS_18Fp8KVCacheDataTypeE1ELb0EEEvPT_PKS2_PKT0_S8_ifPKiSA_iPKfiiiSC_SC_iiiii,comdat
.Lfunc_end174:
	.size	_ZN4vllm25paged_attention_v1_kernelIfhLi96ELi8ELi128ELNS_18Fp8KVCacheDataTypeE1ELb0EEEvPT_PKS2_PKT0_S8_ifPKiSA_iPKfiiiSC_SC_iiiii, .Lfunc_end174-_ZN4vllm25paged_attention_v1_kernelIfhLi96ELi8ELi128ELNS_18Fp8KVCacheDataTypeE1ELb0EEEvPT_PKS2_PKT0_S8_ifPKiSA_iPKfiiiSC_SC_iiiii
                                        ; -- End function
	.set _ZN4vllm25paged_attention_v1_kernelIfhLi96ELi8ELi128ELNS_18Fp8KVCacheDataTypeE1ELb0EEEvPT_PKS2_PKT0_S8_ifPKiSA_iPKfiiiSC_SC_iiiii.num_vgpr, 73
	.set _ZN4vllm25paged_attention_v1_kernelIfhLi96ELi8ELi128ELNS_18Fp8KVCacheDataTypeE1ELb0EEEvPT_PKS2_PKT0_S8_ifPKiSA_iPKfiiiSC_SC_iiiii.num_agpr, 0
	.set _ZN4vllm25paged_attention_v1_kernelIfhLi96ELi8ELi128ELNS_18Fp8KVCacheDataTypeE1ELb0EEEvPT_PKS2_PKT0_S8_ifPKiSA_iPKfiiiSC_SC_iiiii.numbered_sgpr, 34
	.set _ZN4vllm25paged_attention_v1_kernelIfhLi96ELi8ELi128ELNS_18Fp8KVCacheDataTypeE1ELb0EEEvPT_PKS2_PKT0_S8_ifPKiSA_iPKfiiiSC_SC_iiiii.num_named_barrier, 0
	.set _ZN4vllm25paged_attention_v1_kernelIfhLi96ELi8ELi128ELNS_18Fp8KVCacheDataTypeE1ELb0EEEvPT_PKS2_PKT0_S8_ifPKiSA_iPKfiiiSC_SC_iiiii.private_seg_size, 0
	.set _ZN4vllm25paged_attention_v1_kernelIfhLi96ELi8ELi128ELNS_18Fp8KVCacheDataTypeE1ELb0EEEvPT_PKS2_PKT0_S8_ifPKiSA_iPKfiiiSC_SC_iiiii.uses_vcc, 1
	.set _ZN4vllm25paged_attention_v1_kernelIfhLi96ELi8ELi128ELNS_18Fp8KVCacheDataTypeE1ELb0EEEvPT_PKS2_PKT0_S8_ifPKiSA_iPKfiiiSC_SC_iiiii.uses_flat_scratch, 0
	.set _ZN4vllm25paged_attention_v1_kernelIfhLi96ELi8ELi128ELNS_18Fp8KVCacheDataTypeE1ELb0EEEvPT_PKS2_PKT0_S8_ifPKiSA_iPKfiiiSC_SC_iiiii.has_dyn_sized_stack, 0
	.set _ZN4vllm25paged_attention_v1_kernelIfhLi96ELi8ELi128ELNS_18Fp8KVCacheDataTypeE1ELb0EEEvPT_PKS2_PKT0_S8_ifPKiSA_iPKfiiiSC_SC_iiiii.has_recursion, 0
	.set _ZN4vllm25paged_attention_v1_kernelIfhLi96ELi8ELi128ELNS_18Fp8KVCacheDataTypeE1ELb0EEEvPT_PKS2_PKT0_S8_ifPKiSA_iPKfiiiSC_SC_iiiii.has_indirect_call, 0
	.section	.AMDGPU.csdata,"",@progbits
; Kernel info:
; codeLenInByte = 13304
; TotalNumSgprs: 36
; NumVgprs: 73
; ScratchSize: 0
; MemoryBound: 0
; FloatMode: 240
; IeeeMode: 1
; LDSByteSize: 416 bytes/workgroup (compile time only)
; SGPRBlocks: 0
; VGPRBlocks: 9
; NumSGPRsForWavesPerEU: 36
; NumVGPRsForWavesPerEU: 73
; Occupancy: 12
; WaveLimiterHint : 1
; COMPUTE_PGM_RSRC2:SCRATCH_EN: 0
; COMPUTE_PGM_RSRC2:USER_SGPR: 6
; COMPUTE_PGM_RSRC2:TRAP_HANDLER: 0
; COMPUTE_PGM_RSRC2:TGID_X_EN: 1
; COMPUTE_PGM_RSRC2:TGID_Y_EN: 1
; COMPUTE_PGM_RSRC2:TGID_Z_EN: 1
; COMPUTE_PGM_RSRC2:TIDIG_COMP_CNT: 0
	.section	.text._ZN4vllm25paged_attention_v1_kernelIfhLi112ELi8ELi128ELNS_18Fp8KVCacheDataTypeE1ELb0EEEvPT_PKS2_PKT0_S8_ifPKiSA_iPKfiiiSC_SC_iiiii,"axG",@progbits,_ZN4vllm25paged_attention_v1_kernelIfhLi112ELi8ELi128ELNS_18Fp8KVCacheDataTypeE1ELb0EEEvPT_PKS2_PKT0_S8_ifPKiSA_iPKfiiiSC_SC_iiiii,comdat
	.protected	_ZN4vllm25paged_attention_v1_kernelIfhLi112ELi8ELi128ELNS_18Fp8KVCacheDataTypeE1ELb0EEEvPT_PKS2_PKT0_S8_ifPKiSA_iPKfiiiSC_SC_iiiii ; -- Begin function _ZN4vllm25paged_attention_v1_kernelIfhLi112ELi8ELi128ELNS_18Fp8KVCacheDataTypeE1ELb0EEEvPT_PKS2_PKT0_S8_ifPKiSA_iPKfiiiSC_SC_iiiii
	.globl	_ZN4vllm25paged_attention_v1_kernelIfhLi112ELi8ELi128ELNS_18Fp8KVCacheDataTypeE1ELb0EEEvPT_PKS2_PKT0_S8_ifPKiSA_iPKfiiiSC_SC_iiiii
	.p2align	8
	.type	_ZN4vllm25paged_attention_v1_kernelIfhLi112ELi8ELi128ELNS_18Fp8KVCacheDataTypeE1ELb0EEEvPT_PKS2_PKT0_S8_ifPKiSA_iPKfiiiSC_SC_iiiii,@function
_ZN4vllm25paged_attention_v1_kernelIfhLi112ELi8ELi128ELNS_18Fp8KVCacheDataTypeE1ELb0EEEvPT_PKS2_PKT0_S8_ifPKiSA_iPKfiiiSC_SC_iiiii: ; @_ZN4vllm25paged_attention_v1_kernelIfhLi112ELi8ELi128ELNS_18Fp8KVCacheDataTypeE1ELb0EEEvPT_PKS2_PKT0_S8_ifPKiSA_iPKfiiiSC_SC_iiiii
; %bb.0:
	s_clause 0x2
	s_load_dword s9, s[4:5], 0x80
	s_load_dwordx2 s[0:1], s[4:5], 0x30
	s_load_dwordx2 s[28:29], s[4:5], 0x20
	s_mov_b32 s10, s7
	s_ashr_i32 s11, s7, 31
	s_lshl_b64 s[2:3], s[10:11], 2
	s_waitcnt lgkmcnt(0)
	s_add_u32 s0, s0, s2
	s_addc_u32 s1, s1, s3
	s_abs_i32 s2, s28
	s_abs_i32 s11, s9
	v_cvt_f32_u32_e32 v1, s2
	s_sub_i32 s7, 0, s2
	v_rcp_iflag_f32_e32 v1, v1
	v_mul_f32_e32 v1, 0x4f7ffffe, v1
	v_cvt_u32_f32_e32 v1, v1
	v_readfirstlane_b32 s3, v1
	s_mul_i32 s7, s7, s3
	s_mul_hi_u32 s7, s3, s7
	s_add_i32 s3, s3, s7
	s_xor_b32 s7, s9, s28
	s_mul_hi_u32 s3, s11, s3
	s_ashr_i32 s7, s7, 31
	s_mul_i32 s12, s3, s2
	s_mov_b32 s28, 0
	s_sub_i32 s11, s11, s12
	s_add_i32 s12, s3, 1
	s_sub_i32 s13, s11, s2
	s_cmp_ge_u32 s11, s2
	s_cselect_b32 s3, s12, s3
	s_cselect_b32 s11, s13, s11
	s_add_i32 s12, s3, 1
	s_cmp_ge_u32 s11, s2
	s_cselect_b32 s2, s12, s3
	s_abs_i32 s17, s6
	s_xor_b32 s2, s2, s7
	s_sub_i32 s19, s2, s7
	s_load_dwordx2 s[2:3], s[4:5], 0x40
	s_abs_i32 s16, s19
	v_cvt_f32_u32_e32 v1, s16
	s_sub_i32 s11, 0, s16
	v_rcp_iflag_f32_e32 v1, v1
	v_mul_f32_e32 v1, 0x4f7ffffe, v1
	v_cvt_u32_f32_e32 v1, v1
	v_readfirstlane_b32 s7, v1
	s_mul_i32 s11, s11, s7
	s_mul_hi_u32 s11, s7, s11
	s_add_i32 s7, s7, s11
	s_waitcnt lgkmcnt(0)
	s_cmp_eq_u64 s[2:3], 0
	s_mul_hi_u32 s18, s17, s7
	s_cbranch_scc1 .LBB175_2
; %bb.1:
	s_ashr_i32 s7, s6, 31
	s_lshl_b64 s[12:13], s[6:7], 2
	s_add_u32 s2, s2, s12
	s_addc_u32 s3, s3, s13
	s_load_dword s28, s[2:3], 0x0
.LBB175_2:
	s_load_dword s11, s[0:1], 0x0
	s_load_dwordx4 s[12:15], s[4:5], 0x48
	v_and_b32_e32 v29, 3, v0
	v_lshlrev_b32_e32 v38, 2, v0
	s_ashr_i32 s0, s6, 31
	s_ashr_i32 s1, s19, 31
	s_mulk_i32 s6, 0x70
	s_mov_b32 s2, exec_lo
	v_cmpx_gt_u32_e32 0x70, v0
	s_cbranch_execz .LBB175_4
; %bb.3:
	s_load_dwordx2 s[20:21], s[4:5], 0x8
	s_waitcnt lgkmcnt(0)
	s_mul_i32 s22, s12, s10
	v_and_b32_e32 v2, 0x3fc, v0
	s_ashr_i32 s23, s22, 31
	s_lshl_b64 s[22:23], s[22:23], 2
	v_mad_u32_u24 v2, 0x70, v29, v2
	s_add_u32 s3, s20, s22
	s_addc_u32 s12, s21, s23
	s_ashr_i32 s7, s6, 31
	s_lshl_b64 s[20:21], s[6:7], 2
	s_add_u32 s20, s3, s20
	s_addc_u32 s21, s12, s21
	global_load_dword v1, v38, s[20:21]
	s_waitcnt vmcnt(0)
	ds_write_b32 v2, v1
.LBB175_4:
	s_or_b32 exec_lo, exec_lo, s2
	s_waitcnt lgkmcnt(0)
	s_add_i32 s2, s11, 7
	s_clause 0x1
	s_load_dwordx2 s[22:23], s[4:5], 0x28
	s_load_dword s7, s[4:5], 0x38
	s_ashr_i32 s3, s2, 31
	s_xor_b32 s0, s0, s1
	s_lshr_b32 s3, s3, 29
	s_mul_i32 s1, s18, s16
	s_add_i32 s2, s2, s3
	s_sub_i32 s1, s17, s1
	s_ashr_i32 s12, s2, 3
	s_add_i32 s2, s18, 1
	s_sub_i32 s3, s1, s16
	s_cmp_ge_u32 s1, s16
	v_lshrrev_b32_e32 v37, 5, v0
	s_cselect_b32 s2, s2, s18
	s_cselect_b32 s1, s3, s1
	s_add_i32 s3, s2, 1
	s_cmp_ge_u32 s1, s16
	v_mbcnt_lo_u32_b32 v40, -1, 0
	s_cselect_b32 s1, s3, s2
	s_mov_b32 s2, exec_lo
	s_xor_b32 s1, s1, s0
	s_waitcnt lgkmcnt(0)
	s_mul_i32 s24, s7, s10
	s_sub_i32 s1, s1, s0
	v_cmp_gt_i32_e64 s0, s12, v37
	s_ashr_i32 s25, s24, 31
	s_barrier
	buffer_gl0_inv
                                        ; implicit-def: $vgpr30
                                        ; implicit-def: $vgpr41
	v_cmpx_le_i32_e64 s12, v37
	s_xor_b32 s2, exec_lo, s2
; %bb.5:
	v_mov_b32_e32 v30, 0
	v_mbcnt_lo_u32_b32 v40, -1, 0
	v_mov_b32_e32 v41, 32
                                        ; implicit-def: $vgpr29
; %bb.6:
	s_or_saveexec_b32 s15, s2
	s_clause 0x3
	s_load_dwordx2 s[20:21], s[4:5], 0x0
	s_load_dwordx2 s[26:27], s[4:5], 0x18
	s_load_dword s7, s[4:5], 0x88
	s_load_dwordx4 s[16:19], s[4:5], 0x58
	v_mov_b32_e32 v42, 0xff7fffff
	v_lshrrev_b32_e32 v39, 3, v0
	s_mul_i32 s14, s1, s14
	s_xor_b32 exec_lo, exec_lo, s15
	s_cbranch_execz .LBB175_236
; %bb.7:
	s_load_dwordx2 s[2:3], s[4:5], 0x10
	v_xor_b32_e32 v26, 2, v40
	v_bfe_u32 v33, v0, 2, 3
	v_xor_b32_e32 v27, 1, v40
	v_mul_u32_u24_e32 v25, 0x70, v29
	ds_read_b128 v[1:4], v25
	ds_read_b128 v[5:8], v25 offset:16
	ds_read_b128 v[9:12], v25 offset:32
	;; [unrolled: 1-line block ×5, first 2 shown]
	v_cmp_gt_i32_e32 vcc_lo, 32, v26
	v_lshlrev_b32_e32 v28, 4, v33
	s_ashr_i32 s1, s14, 31
	s_waitcnt lgkmcnt(0)
	s_load_dword s4, s[16:17], 0x0
	v_lshlrev_b32_e32 v36, 2, v33
	v_cndmask_b32_e32 v31, v40, v26, vcc_lo
	v_cmp_gt_i32_e32 vcc_lo, 32, v27
	v_lshl_or_b32 v45, v37, 3, v33
	v_and_b32_e32 v33, 0x7c, v39
	v_mov_b32_e32 v30, 0
	s_add_u32 s2, s2, s14
	v_cndmask_b32_e32 v32, v40, v27, vcc_lo
	v_add_co_u32 v34, s2, s2, v28
	ds_read_b128 v[25:28], v25 offset:96
	s_addc_u32 s1, s3, s1
	v_lshlrev_b32_e32 v43, 2, v31
	v_add_co_ci_u32_e64 v35, null, s1, 0, s2
	v_add_co_u32 v31, s2, v34, v29
	v_lshlrev_b32_e32 v44, 2, v32
	v_add_co_ci_u32_e64 v32, null, 0, v35, s2
	s_lshl_b64 s[2:3], s[24:25], 2
	v_cmp_eq_u32_e32 vcc_lo, 0, v29
	v_lshl_or_b32 v29, v37, 5, v36
	s_sub_i32 s5, 1, s11
	s_add_u32 s2, s22, s2
	s_addc_u32 s3, s23, s3
	v_add_co_u32 v33, s2, s2, v33
	v_mov_b32_e32 v41, 32
	v_cmp_neq_f32_e64 s1, s28, 0
	v_add_nc_u32_e32 v46, 0x1e0, v29
	v_add_co_ci_u32_e64 v34, null, s3, 0, s2
	v_mov_b32_e32 v42, 0xff7fffff
	v_mov_b32_e32 v47, 0x7f
	;; [unrolled: 1-line block ×4, first 2 shown]
	s_mov_b32 s17, s13
	s_mov_b32 s16, 0
	s_branch .LBB175_9
.LBB175_8:                              ;   in Loop: Header=BB175_9 Depth=1
	s_or_b32 exec_lo, exec_lo, s3
	v_add_nc_u32_e32 v49, 4, v49
	v_add_co_u32 v33, s3, v33, 16
	v_add_nc_u32_e32 v45, 32, v45
	v_add_nc_u32_e32 v46, 0x80, v46
	v_cmp_le_i32_e64 s2, s12, v49
	v_add_co_ci_u32_e64 v34, null, 0, v34, s3
	s_or_b32 s16, s2, s16
	s_andn2_b32 exec_lo, exec_lo, s16
	s_cbranch_execz .LBB175_235
.LBB175_9:                              ; =>This Inner Loop Header: Depth=1
	global_load_dword v29, v[33:34], off
	v_mov_b32_e32 v50, 0
	v_mov_b32_e32 v51, 0
	s_mov_b32 s3, exec_lo
	s_waitcnt vmcnt(0) lgkmcnt(0)
	v_mad_i64_i32 v[35:36], null, v29, s17, v[31:32]
	global_load_ubyte v52, v[35:36], off
	s_waitcnt vmcnt(0)
	v_cmpx_ne_u16_e32 0, v52
	s_cbranch_execz .LBB175_17
; %bb.10:                               ;   in Loop: Header=BB175_9 Depth=1
	v_bfrev_b32_e32 v51, 1
	s_mov_b32 s30, exec_lo
	v_cmpx_ne_u16_e32 0x80, v52
	s_cbranch_execz .LBB175_16
; %bb.11:                               ;   in Loop: Header=BB175_9 Depth=1
	v_and_b32_sdwa v53, v52, v47 dst_sel:DWORD dst_unused:UNUSED_PAD src0_sel:WORD_0 src1_sel:DWORD
	v_mov_b32_e32 v51, 0x7f800001
	s_mov_b32 s31, exec_lo
	v_cmpx_ne_u32_e32 0x7f, v53
	s_cbranch_execz .LBB175_15
; %bb.12:                               ;   in Loop: Header=BB175_9 Depth=1
	v_and_b32_sdwa v29, v52, v48 dst_sel:DWORD dst_unused:UNUSED_PAD src0_sel:WORD_0 src1_sel:DWORD
	v_lshrrev_b32_e32 v51, 3, v53
	s_mov_b32 s33, exec_lo
	v_cmpx_gt_u32_e32 8, v53
; %bb.13:                               ;   in Loop: Header=BB175_9 Depth=1
	v_ffbh_u32_e32 v51, v29
	v_min_u32_e32 v51, 32, v51
	v_subrev_nc_u32_e32 v53, 28, v51
	v_sub_nc_u32_e32 v51, 29, v51
	v_lshlrev_b64 v[53:54], v53, v[29:30]
	v_and_b32_e32 v29, 7, v53
; %bb.14:                               ;   in Loop: Header=BB175_9 Depth=1
	s_or_b32 exec_lo, exec_lo, s33
	v_lshlrev_b32_e32 v52, 24, v52
	v_lshlrev_b32_e32 v29, 20, v29
	v_lshl_add_u32 v51, v51, 23, 0x3c000000
	v_and_b32_e32 v52, 0x80000000, v52
	v_or3_b32 v51, v29, v52, v51
.LBB175_15:                             ;   in Loop: Header=BB175_9 Depth=1
	s_or_b32 exec_lo, exec_lo, s31
.LBB175_16:                             ;   in Loop: Header=BB175_9 Depth=1
	s_or_b32 exec_lo, exec_lo, s30
.LBB175_17:                             ;   in Loop: Header=BB175_9 Depth=1
	s_or_b32 exec_lo, exec_lo, s3
	global_load_ubyte v52, v[35:36], off offset:4
	s_mov_b32 s3, exec_lo
	s_waitcnt vmcnt(0)
	v_cmpx_ne_u16_e32 0, v52
	s_cbranch_execz .LBB175_25
; %bb.18:                               ;   in Loop: Header=BB175_9 Depth=1
	v_bfrev_b32_e32 v50, 1
	s_mov_b32 s30, exec_lo
	v_cmpx_ne_u16_e32 0x80, v52
	s_cbranch_execz .LBB175_24
; %bb.19:                               ;   in Loop: Header=BB175_9 Depth=1
	v_and_b32_sdwa v53, v52, v47 dst_sel:DWORD dst_unused:UNUSED_PAD src0_sel:WORD_0 src1_sel:DWORD
	v_mov_b32_e32 v50, 0x7f800001
	s_mov_b32 s31, exec_lo
	v_cmpx_ne_u32_e32 0x7f, v53
	s_cbranch_execz .LBB175_23
; %bb.20:                               ;   in Loop: Header=BB175_9 Depth=1
	v_and_b32_sdwa v29, v52, v48 dst_sel:DWORD dst_unused:UNUSED_PAD src0_sel:WORD_0 src1_sel:DWORD
	v_lshrrev_b32_e32 v50, 3, v53
	s_mov_b32 s33, exec_lo
	v_cmpx_gt_u32_e32 8, v53
; %bb.21:                               ;   in Loop: Header=BB175_9 Depth=1
	v_ffbh_u32_e32 v50, v29
	v_min_u32_e32 v50, 32, v50
	v_subrev_nc_u32_e32 v53, 28, v50
	v_sub_nc_u32_e32 v50, 29, v50
	v_lshlrev_b64 v[53:54], v53, v[29:30]
	v_and_b32_e32 v29, 7, v53
; %bb.22:                               ;   in Loop: Header=BB175_9 Depth=1
	s_or_b32 exec_lo, exec_lo, s33
	v_lshlrev_b32_e32 v52, 24, v52
	v_lshlrev_b32_e32 v29, 20, v29
	v_lshl_add_u32 v50, v50, 23, 0x3c000000
	v_and_b32_e32 v52, 0x80000000, v52
	v_or3_b32 v50, v29, v52, v50
.LBB175_23:                             ;   in Loop: Header=BB175_9 Depth=1
	s_or_b32 exec_lo, exec_lo, s31
.LBB175_24:                             ;   in Loop: Header=BB175_9 Depth=1
	s_or_b32 exec_lo, exec_lo, s30
.LBB175_25:                             ;   in Loop: Header=BB175_9 Depth=1
	s_or_b32 exec_lo, exec_lo, s3
	global_load_ubyte v54, v[35:36], off offset:8
	v_mov_b32_e32 v52, 0
	v_mov_b32_e32 v53, 0
	s_mov_b32 s3, exec_lo
	s_waitcnt vmcnt(0)
	v_cmpx_ne_u16_e32 0, v54
	s_cbranch_execz .LBB175_33
; %bb.26:                               ;   in Loop: Header=BB175_9 Depth=1
	v_bfrev_b32_e32 v53, 1
	s_mov_b32 s30, exec_lo
	v_cmpx_ne_u16_e32 0x80, v54
	s_cbranch_execz .LBB175_32
; %bb.27:                               ;   in Loop: Header=BB175_9 Depth=1
	v_and_b32_sdwa v55, v54, v47 dst_sel:DWORD dst_unused:UNUSED_PAD src0_sel:WORD_0 src1_sel:DWORD
	v_mov_b32_e32 v53, 0x7f800001
	s_mov_b32 s31, exec_lo
	v_cmpx_ne_u32_e32 0x7f, v55
	s_cbranch_execz .LBB175_31
; %bb.28:                               ;   in Loop: Header=BB175_9 Depth=1
	v_and_b32_sdwa v29, v54, v48 dst_sel:DWORD dst_unused:UNUSED_PAD src0_sel:WORD_0 src1_sel:DWORD
	v_lshrrev_b32_e32 v53, 3, v55
	s_mov_b32 s33, exec_lo
	v_cmpx_gt_u32_e32 8, v55
; %bb.29:                               ;   in Loop: Header=BB175_9 Depth=1
	v_ffbh_u32_e32 v53, v29
	v_min_u32_e32 v53, 32, v53
	v_subrev_nc_u32_e32 v55, 28, v53
	v_sub_nc_u32_e32 v53, 29, v53
	v_lshlrev_b64 v[55:56], v55, v[29:30]
	v_and_b32_e32 v29, 7, v55
; %bb.30:                               ;   in Loop: Header=BB175_9 Depth=1
	s_or_b32 exec_lo, exec_lo, s33
	v_lshlrev_b32_e32 v54, 24, v54
	v_lshlrev_b32_e32 v29, 20, v29
	v_lshl_add_u32 v53, v53, 23, 0x3c000000
	v_and_b32_e32 v54, 0x80000000, v54
	v_or3_b32 v53, v29, v54, v53
.LBB175_31:                             ;   in Loop: Header=BB175_9 Depth=1
	s_or_b32 exec_lo, exec_lo, s31
.LBB175_32:                             ;   in Loop: Header=BB175_9 Depth=1
	s_or_b32 exec_lo, exec_lo, s30
.LBB175_33:                             ;   in Loop: Header=BB175_9 Depth=1
	s_or_b32 exec_lo, exec_lo, s3
	global_load_ubyte v54, v[35:36], off offset:12
	s_mov_b32 s3, exec_lo
	s_waitcnt vmcnt(0)
	v_cmpx_ne_u16_e32 0, v54
	s_cbranch_execz .LBB175_41
; %bb.34:                               ;   in Loop: Header=BB175_9 Depth=1
	v_bfrev_b32_e32 v52, 1
	s_mov_b32 s30, exec_lo
	v_cmpx_ne_u16_e32 0x80, v54
	s_cbranch_execz .LBB175_40
; %bb.35:                               ;   in Loop: Header=BB175_9 Depth=1
	v_and_b32_sdwa v55, v54, v47 dst_sel:DWORD dst_unused:UNUSED_PAD src0_sel:WORD_0 src1_sel:DWORD
	v_mov_b32_e32 v52, 0x7f800001
	s_mov_b32 s31, exec_lo
	v_cmpx_ne_u32_e32 0x7f, v55
	s_cbranch_execz .LBB175_39
; %bb.36:                               ;   in Loop: Header=BB175_9 Depth=1
	v_and_b32_sdwa v29, v54, v48 dst_sel:DWORD dst_unused:UNUSED_PAD src0_sel:WORD_0 src1_sel:DWORD
	v_lshrrev_b32_e32 v52, 3, v55
	s_mov_b32 s33, exec_lo
	v_cmpx_gt_u32_e32 8, v55
; %bb.37:                               ;   in Loop: Header=BB175_9 Depth=1
	v_ffbh_u32_e32 v52, v29
	v_min_u32_e32 v52, 32, v52
	v_subrev_nc_u32_e32 v55, 28, v52
	v_sub_nc_u32_e32 v52, 29, v52
	v_lshlrev_b64 v[55:56], v55, v[29:30]
	v_and_b32_e32 v29, 7, v55
; %bb.38:                               ;   in Loop: Header=BB175_9 Depth=1
	s_or_b32 exec_lo, exec_lo, s33
	v_lshlrev_b32_e32 v54, 24, v54
	v_lshlrev_b32_e32 v29, 20, v29
	v_lshl_add_u32 v52, v52, 23, 0x3c000000
	v_and_b32_e32 v54, 0x80000000, v54
	v_or3_b32 v52, v29, v54, v52
.LBB175_39:                             ;   in Loop: Header=BB175_9 Depth=1
	s_or_b32 exec_lo, exec_lo, s31
.LBB175_40:                             ;   in Loop: Header=BB175_9 Depth=1
	s_or_b32 exec_lo, exec_lo, s30
.LBB175_41:                             ;   in Loop: Header=BB175_9 Depth=1
	s_or_b32 exec_lo, exec_lo, s3
	global_load_ubyte v56, v[35:36], off offset:128
	v_mov_b32_e32 v54, 0
	v_mov_b32_e32 v55, 0
	s_mov_b32 s3, exec_lo
	s_waitcnt vmcnt(0)
	v_cmpx_ne_u16_e32 0, v56
	s_cbranch_execz .LBB175_49
; %bb.42:                               ;   in Loop: Header=BB175_9 Depth=1
	v_bfrev_b32_e32 v55, 1
	s_mov_b32 s30, exec_lo
	v_cmpx_ne_u16_e32 0x80, v56
	s_cbranch_execz .LBB175_48
; %bb.43:                               ;   in Loop: Header=BB175_9 Depth=1
	v_and_b32_sdwa v57, v56, v47 dst_sel:DWORD dst_unused:UNUSED_PAD src0_sel:WORD_0 src1_sel:DWORD
	v_mov_b32_e32 v55, 0x7f800001
	s_mov_b32 s31, exec_lo
	v_cmpx_ne_u32_e32 0x7f, v57
	s_cbranch_execz .LBB175_47
; %bb.44:                               ;   in Loop: Header=BB175_9 Depth=1
	v_and_b32_sdwa v29, v56, v48 dst_sel:DWORD dst_unused:UNUSED_PAD src0_sel:WORD_0 src1_sel:DWORD
	v_lshrrev_b32_e32 v55, 3, v57
	s_mov_b32 s33, exec_lo
	v_cmpx_gt_u32_e32 8, v57
; %bb.45:                               ;   in Loop: Header=BB175_9 Depth=1
	v_ffbh_u32_e32 v55, v29
	v_min_u32_e32 v55, 32, v55
	v_subrev_nc_u32_e32 v57, 28, v55
	v_sub_nc_u32_e32 v55, 29, v55
	v_lshlrev_b64 v[57:58], v57, v[29:30]
	v_and_b32_e32 v29, 7, v57
; %bb.46:                               ;   in Loop: Header=BB175_9 Depth=1
	s_or_b32 exec_lo, exec_lo, s33
	v_lshlrev_b32_e32 v56, 24, v56
	v_lshlrev_b32_e32 v29, 20, v29
	v_lshl_add_u32 v55, v55, 23, 0x3c000000
	v_and_b32_e32 v56, 0x80000000, v56
	v_or3_b32 v55, v29, v56, v55
.LBB175_47:                             ;   in Loop: Header=BB175_9 Depth=1
	s_or_b32 exec_lo, exec_lo, s31
.LBB175_48:                             ;   in Loop: Header=BB175_9 Depth=1
	s_or_b32 exec_lo, exec_lo, s30
.LBB175_49:                             ;   in Loop: Header=BB175_9 Depth=1
	s_or_b32 exec_lo, exec_lo, s3
	global_load_ubyte v56, v[35:36], off offset:132
	s_mov_b32 s3, exec_lo
	s_waitcnt vmcnt(0)
	v_cmpx_ne_u16_e32 0, v56
	s_cbranch_execz .LBB175_57
; %bb.50:                               ;   in Loop: Header=BB175_9 Depth=1
	v_bfrev_b32_e32 v54, 1
	s_mov_b32 s30, exec_lo
	v_cmpx_ne_u16_e32 0x80, v56
	s_cbranch_execz .LBB175_56
; %bb.51:                               ;   in Loop: Header=BB175_9 Depth=1
	v_and_b32_sdwa v57, v56, v47 dst_sel:DWORD dst_unused:UNUSED_PAD src0_sel:WORD_0 src1_sel:DWORD
	v_mov_b32_e32 v54, 0x7f800001
	s_mov_b32 s31, exec_lo
	v_cmpx_ne_u32_e32 0x7f, v57
	s_cbranch_execz .LBB175_55
; %bb.52:                               ;   in Loop: Header=BB175_9 Depth=1
	v_and_b32_sdwa v29, v56, v48 dst_sel:DWORD dst_unused:UNUSED_PAD src0_sel:WORD_0 src1_sel:DWORD
	v_lshrrev_b32_e32 v54, 3, v57
	s_mov_b32 s33, exec_lo
	v_cmpx_gt_u32_e32 8, v57
; %bb.53:                               ;   in Loop: Header=BB175_9 Depth=1
	v_ffbh_u32_e32 v54, v29
	v_min_u32_e32 v54, 32, v54
	v_subrev_nc_u32_e32 v57, 28, v54
	v_sub_nc_u32_e32 v54, 29, v54
	v_lshlrev_b64 v[57:58], v57, v[29:30]
	v_and_b32_e32 v29, 7, v57
; %bb.54:                               ;   in Loop: Header=BB175_9 Depth=1
	s_or_b32 exec_lo, exec_lo, s33
	v_lshlrev_b32_e32 v56, 24, v56
	v_lshlrev_b32_e32 v29, 20, v29
	v_lshl_add_u32 v54, v54, 23, 0x3c000000
	v_and_b32_e32 v56, 0x80000000, v56
	v_or3_b32 v54, v29, v56, v54
.LBB175_55:                             ;   in Loop: Header=BB175_9 Depth=1
	s_or_b32 exec_lo, exec_lo, s31
.LBB175_56:                             ;   in Loop: Header=BB175_9 Depth=1
	s_or_b32 exec_lo, exec_lo, s30
.LBB175_57:                             ;   in Loop: Header=BB175_9 Depth=1
	s_or_b32 exec_lo, exec_lo, s3
	global_load_ubyte v58, v[35:36], off offset:136
	v_mov_b32_e32 v56, 0
	v_mov_b32_e32 v57, 0
	s_mov_b32 s3, exec_lo
	s_waitcnt vmcnt(0)
	v_cmpx_ne_u16_e32 0, v58
	s_cbranch_execz .LBB175_65
; %bb.58:                               ;   in Loop: Header=BB175_9 Depth=1
	v_bfrev_b32_e32 v57, 1
	s_mov_b32 s30, exec_lo
	v_cmpx_ne_u16_e32 0x80, v58
	s_cbranch_execz .LBB175_64
; %bb.59:                               ;   in Loop: Header=BB175_9 Depth=1
	v_and_b32_sdwa v59, v58, v47 dst_sel:DWORD dst_unused:UNUSED_PAD src0_sel:WORD_0 src1_sel:DWORD
	v_mov_b32_e32 v57, 0x7f800001
	s_mov_b32 s31, exec_lo
	v_cmpx_ne_u32_e32 0x7f, v59
	s_cbranch_execz .LBB175_63
; %bb.60:                               ;   in Loop: Header=BB175_9 Depth=1
	v_and_b32_sdwa v29, v58, v48 dst_sel:DWORD dst_unused:UNUSED_PAD src0_sel:WORD_0 src1_sel:DWORD
	v_lshrrev_b32_e32 v57, 3, v59
	s_mov_b32 s33, exec_lo
	v_cmpx_gt_u32_e32 8, v59
; %bb.61:                               ;   in Loop: Header=BB175_9 Depth=1
	v_ffbh_u32_e32 v57, v29
	v_min_u32_e32 v57, 32, v57
	v_subrev_nc_u32_e32 v59, 28, v57
	v_sub_nc_u32_e32 v57, 29, v57
	v_lshlrev_b64 v[59:60], v59, v[29:30]
	v_and_b32_e32 v29, 7, v59
; %bb.62:                               ;   in Loop: Header=BB175_9 Depth=1
	s_or_b32 exec_lo, exec_lo, s33
	v_lshlrev_b32_e32 v58, 24, v58
	v_lshlrev_b32_e32 v29, 20, v29
	v_lshl_add_u32 v57, v57, 23, 0x3c000000
	v_and_b32_e32 v58, 0x80000000, v58
	v_or3_b32 v57, v29, v58, v57
.LBB175_63:                             ;   in Loop: Header=BB175_9 Depth=1
	s_or_b32 exec_lo, exec_lo, s31
.LBB175_64:                             ;   in Loop: Header=BB175_9 Depth=1
	s_or_b32 exec_lo, exec_lo, s30
.LBB175_65:                             ;   in Loop: Header=BB175_9 Depth=1
	s_or_b32 exec_lo, exec_lo, s3
	global_load_ubyte v58, v[35:36], off offset:140
	s_mov_b32 s3, exec_lo
	s_waitcnt vmcnt(0)
	v_cmpx_ne_u16_e32 0, v58
	s_cbranch_execz .LBB175_73
; %bb.66:                               ;   in Loop: Header=BB175_9 Depth=1
	v_bfrev_b32_e32 v56, 1
	s_mov_b32 s30, exec_lo
	v_cmpx_ne_u16_e32 0x80, v58
	s_cbranch_execz .LBB175_72
; %bb.67:                               ;   in Loop: Header=BB175_9 Depth=1
	v_and_b32_sdwa v59, v58, v47 dst_sel:DWORD dst_unused:UNUSED_PAD src0_sel:WORD_0 src1_sel:DWORD
	v_mov_b32_e32 v56, 0x7f800001
	s_mov_b32 s31, exec_lo
	v_cmpx_ne_u32_e32 0x7f, v59
	s_cbranch_execz .LBB175_71
; %bb.68:                               ;   in Loop: Header=BB175_9 Depth=1
	v_and_b32_sdwa v29, v58, v48 dst_sel:DWORD dst_unused:UNUSED_PAD src0_sel:WORD_0 src1_sel:DWORD
	v_lshrrev_b32_e32 v56, 3, v59
	s_mov_b32 s33, exec_lo
	v_cmpx_gt_u32_e32 8, v59
; %bb.69:                               ;   in Loop: Header=BB175_9 Depth=1
	v_ffbh_u32_e32 v56, v29
	v_min_u32_e32 v56, 32, v56
	v_subrev_nc_u32_e32 v59, 28, v56
	v_sub_nc_u32_e32 v56, 29, v56
	v_lshlrev_b64 v[59:60], v59, v[29:30]
	v_and_b32_e32 v29, 7, v59
; %bb.70:                               ;   in Loop: Header=BB175_9 Depth=1
	s_or_b32 exec_lo, exec_lo, s33
	v_lshlrev_b32_e32 v58, 24, v58
	v_lshlrev_b32_e32 v29, 20, v29
	v_lshl_add_u32 v56, v56, 23, 0x3c000000
	v_and_b32_e32 v58, 0x80000000, v58
	v_or3_b32 v56, v29, v58, v56
.LBB175_71:                             ;   in Loop: Header=BB175_9 Depth=1
	s_or_b32 exec_lo, exec_lo, s31
.LBB175_72:                             ;   in Loop: Header=BB175_9 Depth=1
	s_or_b32 exec_lo, exec_lo, s30
.LBB175_73:                             ;   in Loop: Header=BB175_9 Depth=1
	s_or_b32 exec_lo, exec_lo, s3
	global_load_ubyte v60, v[35:36], off offset:256
	v_mov_b32_e32 v58, 0
	v_mov_b32_e32 v59, 0
	s_mov_b32 s3, exec_lo
	s_waitcnt vmcnt(0)
	v_cmpx_ne_u16_e32 0, v60
	s_cbranch_execz .LBB175_81
; %bb.74:                               ;   in Loop: Header=BB175_9 Depth=1
	v_bfrev_b32_e32 v59, 1
	s_mov_b32 s30, exec_lo
	v_cmpx_ne_u16_e32 0x80, v60
	s_cbranch_execz .LBB175_80
; %bb.75:                               ;   in Loop: Header=BB175_9 Depth=1
	v_and_b32_sdwa v61, v60, v47 dst_sel:DWORD dst_unused:UNUSED_PAD src0_sel:WORD_0 src1_sel:DWORD
	v_mov_b32_e32 v59, 0x7f800001
	s_mov_b32 s31, exec_lo
	v_cmpx_ne_u32_e32 0x7f, v61
	s_cbranch_execz .LBB175_79
; %bb.76:                               ;   in Loop: Header=BB175_9 Depth=1
	v_and_b32_sdwa v29, v60, v48 dst_sel:DWORD dst_unused:UNUSED_PAD src0_sel:WORD_0 src1_sel:DWORD
	v_lshrrev_b32_e32 v59, 3, v61
	s_mov_b32 s33, exec_lo
	v_cmpx_gt_u32_e32 8, v61
; %bb.77:                               ;   in Loop: Header=BB175_9 Depth=1
	v_ffbh_u32_e32 v59, v29
	v_min_u32_e32 v59, 32, v59
	v_subrev_nc_u32_e32 v61, 28, v59
	v_sub_nc_u32_e32 v59, 29, v59
	v_lshlrev_b64 v[61:62], v61, v[29:30]
	v_and_b32_e32 v29, 7, v61
; %bb.78:                               ;   in Loop: Header=BB175_9 Depth=1
	s_or_b32 exec_lo, exec_lo, s33
	v_lshlrev_b32_e32 v60, 24, v60
	v_lshlrev_b32_e32 v29, 20, v29
	v_lshl_add_u32 v59, v59, 23, 0x3c000000
	v_and_b32_e32 v60, 0x80000000, v60
	v_or3_b32 v59, v29, v60, v59
.LBB175_79:                             ;   in Loop: Header=BB175_9 Depth=1
	s_or_b32 exec_lo, exec_lo, s31
.LBB175_80:                             ;   in Loop: Header=BB175_9 Depth=1
	s_or_b32 exec_lo, exec_lo, s30
.LBB175_81:                             ;   in Loop: Header=BB175_9 Depth=1
	s_or_b32 exec_lo, exec_lo, s3
	global_load_ubyte v60, v[35:36], off offset:260
	s_mov_b32 s3, exec_lo
	s_waitcnt vmcnt(0)
	v_cmpx_ne_u16_e32 0, v60
	s_cbranch_execz .LBB175_89
; %bb.82:                               ;   in Loop: Header=BB175_9 Depth=1
	v_bfrev_b32_e32 v58, 1
	s_mov_b32 s30, exec_lo
	v_cmpx_ne_u16_e32 0x80, v60
	s_cbranch_execz .LBB175_88
; %bb.83:                               ;   in Loop: Header=BB175_9 Depth=1
	v_and_b32_sdwa v61, v60, v47 dst_sel:DWORD dst_unused:UNUSED_PAD src0_sel:WORD_0 src1_sel:DWORD
	v_mov_b32_e32 v58, 0x7f800001
	s_mov_b32 s31, exec_lo
	v_cmpx_ne_u32_e32 0x7f, v61
	s_cbranch_execz .LBB175_87
; %bb.84:                               ;   in Loop: Header=BB175_9 Depth=1
	v_and_b32_sdwa v29, v60, v48 dst_sel:DWORD dst_unused:UNUSED_PAD src0_sel:WORD_0 src1_sel:DWORD
	v_lshrrev_b32_e32 v58, 3, v61
	s_mov_b32 s33, exec_lo
	v_cmpx_gt_u32_e32 8, v61
; %bb.85:                               ;   in Loop: Header=BB175_9 Depth=1
	v_ffbh_u32_e32 v58, v29
	v_min_u32_e32 v58, 32, v58
	v_subrev_nc_u32_e32 v61, 28, v58
	v_sub_nc_u32_e32 v58, 29, v58
	v_lshlrev_b64 v[61:62], v61, v[29:30]
	v_and_b32_e32 v29, 7, v61
; %bb.86:                               ;   in Loop: Header=BB175_9 Depth=1
	s_or_b32 exec_lo, exec_lo, s33
	v_lshlrev_b32_e32 v60, 24, v60
	v_lshlrev_b32_e32 v29, 20, v29
	v_lshl_add_u32 v58, v58, 23, 0x3c000000
	v_and_b32_e32 v60, 0x80000000, v60
	v_or3_b32 v58, v29, v60, v58
.LBB175_87:                             ;   in Loop: Header=BB175_9 Depth=1
	s_or_b32 exec_lo, exec_lo, s31
.LBB175_88:                             ;   in Loop: Header=BB175_9 Depth=1
	s_or_b32 exec_lo, exec_lo, s30
.LBB175_89:                             ;   in Loop: Header=BB175_9 Depth=1
	s_or_b32 exec_lo, exec_lo, s3
	global_load_ubyte v62, v[35:36], off offset:264
	v_mov_b32_e32 v60, 0
	v_mov_b32_e32 v61, 0
	s_mov_b32 s3, exec_lo
	s_waitcnt vmcnt(0)
	v_cmpx_ne_u16_e32 0, v62
	s_cbranch_execz .LBB175_97
; %bb.90:                               ;   in Loop: Header=BB175_9 Depth=1
	v_bfrev_b32_e32 v61, 1
	s_mov_b32 s30, exec_lo
	v_cmpx_ne_u16_e32 0x80, v62
	s_cbranch_execz .LBB175_96
; %bb.91:                               ;   in Loop: Header=BB175_9 Depth=1
	v_and_b32_sdwa v63, v62, v47 dst_sel:DWORD dst_unused:UNUSED_PAD src0_sel:WORD_0 src1_sel:DWORD
	v_mov_b32_e32 v61, 0x7f800001
	s_mov_b32 s31, exec_lo
	v_cmpx_ne_u32_e32 0x7f, v63
	s_cbranch_execz .LBB175_95
; %bb.92:                               ;   in Loop: Header=BB175_9 Depth=1
	v_and_b32_sdwa v29, v62, v48 dst_sel:DWORD dst_unused:UNUSED_PAD src0_sel:WORD_0 src1_sel:DWORD
	v_lshrrev_b32_e32 v61, 3, v63
	s_mov_b32 s33, exec_lo
	v_cmpx_gt_u32_e32 8, v63
; %bb.93:                               ;   in Loop: Header=BB175_9 Depth=1
	v_ffbh_u32_e32 v61, v29
	v_min_u32_e32 v61, 32, v61
	v_subrev_nc_u32_e32 v63, 28, v61
	v_sub_nc_u32_e32 v61, 29, v61
	v_lshlrev_b64 v[63:64], v63, v[29:30]
	v_and_b32_e32 v29, 7, v63
; %bb.94:                               ;   in Loop: Header=BB175_9 Depth=1
	s_or_b32 exec_lo, exec_lo, s33
	v_lshlrev_b32_e32 v62, 24, v62
	v_lshlrev_b32_e32 v29, 20, v29
	v_lshl_add_u32 v61, v61, 23, 0x3c000000
	v_and_b32_e32 v62, 0x80000000, v62
	v_or3_b32 v61, v29, v62, v61
.LBB175_95:                             ;   in Loop: Header=BB175_9 Depth=1
	s_or_b32 exec_lo, exec_lo, s31
.LBB175_96:                             ;   in Loop: Header=BB175_9 Depth=1
	s_or_b32 exec_lo, exec_lo, s30
.LBB175_97:                             ;   in Loop: Header=BB175_9 Depth=1
	s_or_b32 exec_lo, exec_lo, s3
	global_load_ubyte v62, v[35:36], off offset:268
	s_mov_b32 s3, exec_lo
	s_waitcnt vmcnt(0)
	v_cmpx_ne_u16_e32 0, v62
	s_cbranch_execz .LBB175_105
; %bb.98:                               ;   in Loop: Header=BB175_9 Depth=1
	v_bfrev_b32_e32 v60, 1
	s_mov_b32 s30, exec_lo
	v_cmpx_ne_u16_e32 0x80, v62
	s_cbranch_execz .LBB175_104
; %bb.99:                               ;   in Loop: Header=BB175_9 Depth=1
	v_and_b32_sdwa v63, v62, v47 dst_sel:DWORD dst_unused:UNUSED_PAD src0_sel:WORD_0 src1_sel:DWORD
	v_mov_b32_e32 v60, 0x7f800001
	s_mov_b32 s31, exec_lo
	v_cmpx_ne_u32_e32 0x7f, v63
	s_cbranch_execz .LBB175_103
; %bb.100:                              ;   in Loop: Header=BB175_9 Depth=1
	v_and_b32_sdwa v29, v62, v48 dst_sel:DWORD dst_unused:UNUSED_PAD src0_sel:WORD_0 src1_sel:DWORD
	v_lshrrev_b32_e32 v60, 3, v63
	s_mov_b32 s33, exec_lo
	v_cmpx_gt_u32_e32 8, v63
; %bb.101:                              ;   in Loop: Header=BB175_9 Depth=1
	v_ffbh_u32_e32 v60, v29
	v_min_u32_e32 v60, 32, v60
	v_subrev_nc_u32_e32 v63, 28, v60
	v_sub_nc_u32_e32 v60, 29, v60
	v_lshlrev_b64 v[63:64], v63, v[29:30]
	v_and_b32_e32 v29, 7, v63
; %bb.102:                              ;   in Loop: Header=BB175_9 Depth=1
	s_or_b32 exec_lo, exec_lo, s33
	v_lshlrev_b32_e32 v62, 24, v62
	v_lshlrev_b32_e32 v29, 20, v29
	v_lshl_add_u32 v60, v60, 23, 0x3c000000
	v_and_b32_e32 v62, 0x80000000, v62
	v_or3_b32 v60, v29, v62, v60
.LBB175_103:                            ;   in Loop: Header=BB175_9 Depth=1
	s_or_b32 exec_lo, exec_lo, s31
.LBB175_104:                            ;   in Loop: Header=BB175_9 Depth=1
	s_or_b32 exec_lo, exec_lo, s30
.LBB175_105:                            ;   in Loop: Header=BB175_9 Depth=1
	s_or_b32 exec_lo, exec_lo, s3
	global_load_ubyte v64, v[35:36], off offset:384
	v_mov_b32_e32 v62, 0
	v_mov_b32_e32 v63, 0
	s_mov_b32 s3, exec_lo
	s_waitcnt vmcnt(0)
	v_cmpx_ne_u16_e32 0, v64
	s_cbranch_execz .LBB175_113
; %bb.106:                              ;   in Loop: Header=BB175_9 Depth=1
	v_bfrev_b32_e32 v63, 1
	s_mov_b32 s30, exec_lo
	v_cmpx_ne_u16_e32 0x80, v64
	s_cbranch_execz .LBB175_112
; %bb.107:                              ;   in Loop: Header=BB175_9 Depth=1
	v_and_b32_sdwa v65, v64, v47 dst_sel:DWORD dst_unused:UNUSED_PAD src0_sel:WORD_0 src1_sel:DWORD
	v_mov_b32_e32 v63, 0x7f800001
	s_mov_b32 s31, exec_lo
	v_cmpx_ne_u32_e32 0x7f, v65
	s_cbranch_execz .LBB175_111
; %bb.108:                              ;   in Loop: Header=BB175_9 Depth=1
	v_and_b32_sdwa v29, v64, v48 dst_sel:DWORD dst_unused:UNUSED_PAD src0_sel:WORD_0 src1_sel:DWORD
	v_lshrrev_b32_e32 v63, 3, v65
	s_mov_b32 s33, exec_lo
	v_cmpx_gt_u32_e32 8, v65
; %bb.109:                              ;   in Loop: Header=BB175_9 Depth=1
	v_ffbh_u32_e32 v63, v29
	v_min_u32_e32 v63, 32, v63
	v_subrev_nc_u32_e32 v65, 28, v63
	v_sub_nc_u32_e32 v63, 29, v63
	v_lshlrev_b64 v[65:66], v65, v[29:30]
	v_and_b32_e32 v29, 7, v65
; %bb.110:                              ;   in Loop: Header=BB175_9 Depth=1
	s_or_b32 exec_lo, exec_lo, s33
	v_lshlrev_b32_e32 v64, 24, v64
	v_lshlrev_b32_e32 v29, 20, v29
	v_lshl_add_u32 v63, v63, 23, 0x3c000000
	v_and_b32_e32 v64, 0x80000000, v64
	v_or3_b32 v63, v29, v64, v63
.LBB175_111:                            ;   in Loop: Header=BB175_9 Depth=1
	s_or_b32 exec_lo, exec_lo, s31
.LBB175_112:                            ;   in Loop: Header=BB175_9 Depth=1
	s_or_b32 exec_lo, exec_lo, s30
.LBB175_113:                            ;   in Loop: Header=BB175_9 Depth=1
	s_or_b32 exec_lo, exec_lo, s3
	global_load_ubyte v64, v[35:36], off offset:388
	s_mov_b32 s3, exec_lo
	s_waitcnt vmcnt(0)
	v_cmpx_ne_u16_e32 0, v64
	s_cbranch_execz .LBB175_121
; %bb.114:                              ;   in Loop: Header=BB175_9 Depth=1
	v_bfrev_b32_e32 v62, 1
	s_mov_b32 s30, exec_lo
	v_cmpx_ne_u16_e32 0x80, v64
	s_cbranch_execz .LBB175_120
; %bb.115:                              ;   in Loop: Header=BB175_9 Depth=1
	v_and_b32_sdwa v65, v64, v47 dst_sel:DWORD dst_unused:UNUSED_PAD src0_sel:WORD_0 src1_sel:DWORD
	v_mov_b32_e32 v62, 0x7f800001
	s_mov_b32 s31, exec_lo
	v_cmpx_ne_u32_e32 0x7f, v65
	s_cbranch_execz .LBB175_119
; %bb.116:                              ;   in Loop: Header=BB175_9 Depth=1
	v_and_b32_sdwa v29, v64, v48 dst_sel:DWORD dst_unused:UNUSED_PAD src0_sel:WORD_0 src1_sel:DWORD
	v_lshrrev_b32_e32 v62, 3, v65
	s_mov_b32 s33, exec_lo
	v_cmpx_gt_u32_e32 8, v65
; %bb.117:                              ;   in Loop: Header=BB175_9 Depth=1
	v_ffbh_u32_e32 v62, v29
	v_min_u32_e32 v62, 32, v62
	v_subrev_nc_u32_e32 v65, 28, v62
	v_sub_nc_u32_e32 v62, 29, v62
	v_lshlrev_b64 v[65:66], v65, v[29:30]
	v_and_b32_e32 v29, 7, v65
; %bb.118:                              ;   in Loop: Header=BB175_9 Depth=1
	s_or_b32 exec_lo, exec_lo, s33
	v_lshlrev_b32_e32 v64, 24, v64
	v_lshlrev_b32_e32 v29, 20, v29
	v_lshl_add_u32 v62, v62, 23, 0x3c000000
	v_and_b32_e32 v64, 0x80000000, v64
	v_or3_b32 v62, v29, v64, v62
.LBB175_119:                            ;   in Loop: Header=BB175_9 Depth=1
	s_or_b32 exec_lo, exec_lo, s31
.LBB175_120:                            ;   in Loop: Header=BB175_9 Depth=1
	s_or_b32 exec_lo, exec_lo, s30
.LBB175_121:                            ;   in Loop: Header=BB175_9 Depth=1
	s_or_b32 exec_lo, exec_lo, s3
	global_load_ubyte v66, v[35:36], off offset:392
	v_mov_b32_e32 v64, 0
	v_mov_b32_e32 v65, 0
	s_mov_b32 s3, exec_lo
	s_waitcnt vmcnt(0)
	v_cmpx_ne_u16_e32 0, v66
	s_cbranch_execz .LBB175_129
; %bb.122:                              ;   in Loop: Header=BB175_9 Depth=1
	v_bfrev_b32_e32 v65, 1
	s_mov_b32 s30, exec_lo
	v_cmpx_ne_u16_e32 0x80, v66
	s_cbranch_execz .LBB175_128
; %bb.123:                              ;   in Loop: Header=BB175_9 Depth=1
	v_and_b32_sdwa v67, v66, v47 dst_sel:DWORD dst_unused:UNUSED_PAD src0_sel:WORD_0 src1_sel:DWORD
	v_mov_b32_e32 v65, 0x7f800001
	s_mov_b32 s31, exec_lo
	v_cmpx_ne_u32_e32 0x7f, v67
	s_cbranch_execz .LBB175_127
; %bb.124:                              ;   in Loop: Header=BB175_9 Depth=1
	v_and_b32_sdwa v29, v66, v48 dst_sel:DWORD dst_unused:UNUSED_PAD src0_sel:WORD_0 src1_sel:DWORD
	v_lshrrev_b32_e32 v65, 3, v67
	s_mov_b32 s33, exec_lo
	v_cmpx_gt_u32_e32 8, v67
; %bb.125:                              ;   in Loop: Header=BB175_9 Depth=1
	v_ffbh_u32_e32 v65, v29
	v_min_u32_e32 v65, 32, v65
	v_subrev_nc_u32_e32 v67, 28, v65
	v_sub_nc_u32_e32 v65, 29, v65
	v_lshlrev_b64 v[67:68], v67, v[29:30]
	v_and_b32_e32 v29, 7, v67
; %bb.126:                              ;   in Loop: Header=BB175_9 Depth=1
	s_or_b32 exec_lo, exec_lo, s33
	v_lshlrev_b32_e32 v66, 24, v66
	v_lshlrev_b32_e32 v29, 20, v29
	v_lshl_add_u32 v65, v65, 23, 0x3c000000
	v_and_b32_e32 v66, 0x80000000, v66
	v_or3_b32 v65, v29, v66, v65
.LBB175_127:                            ;   in Loop: Header=BB175_9 Depth=1
	s_or_b32 exec_lo, exec_lo, s31
.LBB175_128:                            ;   in Loop: Header=BB175_9 Depth=1
	s_or_b32 exec_lo, exec_lo, s30
.LBB175_129:                            ;   in Loop: Header=BB175_9 Depth=1
	s_or_b32 exec_lo, exec_lo, s3
	global_load_ubyte v66, v[35:36], off offset:396
	s_mov_b32 s3, exec_lo
	s_waitcnt vmcnt(0)
	v_cmpx_ne_u16_e32 0, v66
	s_cbranch_execz .LBB175_137
; %bb.130:                              ;   in Loop: Header=BB175_9 Depth=1
	v_bfrev_b32_e32 v64, 1
	s_mov_b32 s30, exec_lo
	v_cmpx_ne_u16_e32 0x80, v66
	s_cbranch_execz .LBB175_136
; %bb.131:                              ;   in Loop: Header=BB175_9 Depth=1
	v_and_b32_sdwa v67, v66, v47 dst_sel:DWORD dst_unused:UNUSED_PAD src0_sel:WORD_0 src1_sel:DWORD
	v_mov_b32_e32 v64, 0x7f800001
	s_mov_b32 s31, exec_lo
	v_cmpx_ne_u32_e32 0x7f, v67
	s_cbranch_execz .LBB175_135
; %bb.132:                              ;   in Loop: Header=BB175_9 Depth=1
	v_and_b32_sdwa v29, v66, v48 dst_sel:DWORD dst_unused:UNUSED_PAD src0_sel:WORD_0 src1_sel:DWORD
	v_lshrrev_b32_e32 v64, 3, v67
	s_mov_b32 s33, exec_lo
	v_cmpx_gt_u32_e32 8, v67
; %bb.133:                              ;   in Loop: Header=BB175_9 Depth=1
	v_ffbh_u32_e32 v64, v29
	v_min_u32_e32 v64, 32, v64
	v_subrev_nc_u32_e32 v67, 28, v64
	v_sub_nc_u32_e32 v64, 29, v64
	v_lshlrev_b64 v[67:68], v67, v[29:30]
	v_and_b32_e32 v29, 7, v67
; %bb.134:                              ;   in Loop: Header=BB175_9 Depth=1
	s_or_b32 exec_lo, exec_lo, s33
	v_lshlrev_b32_e32 v66, 24, v66
	v_lshlrev_b32_e32 v29, 20, v29
	v_lshl_add_u32 v64, v64, 23, 0x3c000000
	v_and_b32_e32 v66, 0x80000000, v66
	v_or3_b32 v64, v29, v66, v64
.LBB175_135:                            ;   in Loop: Header=BB175_9 Depth=1
	s_or_b32 exec_lo, exec_lo, s31
.LBB175_136:                            ;   in Loop: Header=BB175_9 Depth=1
	s_or_b32 exec_lo, exec_lo, s30
.LBB175_137:                            ;   in Loop: Header=BB175_9 Depth=1
	s_or_b32 exec_lo, exec_lo, s3
	global_load_ubyte v68, v[35:36], off offset:512
	v_mov_b32_e32 v66, 0
	v_mov_b32_e32 v67, 0
	s_mov_b32 s3, exec_lo
	s_waitcnt vmcnt(0)
	v_cmpx_ne_u16_e32 0, v68
	s_cbranch_execz .LBB175_145
; %bb.138:                              ;   in Loop: Header=BB175_9 Depth=1
	v_bfrev_b32_e32 v67, 1
	s_mov_b32 s30, exec_lo
	v_cmpx_ne_u16_e32 0x80, v68
	s_cbranch_execz .LBB175_144
; %bb.139:                              ;   in Loop: Header=BB175_9 Depth=1
	v_and_b32_sdwa v69, v68, v47 dst_sel:DWORD dst_unused:UNUSED_PAD src0_sel:WORD_0 src1_sel:DWORD
	v_mov_b32_e32 v67, 0x7f800001
	s_mov_b32 s31, exec_lo
	v_cmpx_ne_u32_e32 0x7f, v69
	s_cbranch_execz .LBB175_143
; %bb.140:                              ;   in Loop: Header=BB175_9 Depth=1
	v_and_b32_sdwa v29, v68, v48 dst_sel:DWORD dst_unused:UNUSED_PAD src0_sel:WORD_0 src1_sel:DWORD
	v_lshrrev_b32_e32 v67, 3, v69
	s_mov_b32 s33, exec_lo
	v_cmpx_gt_u32_e32 8, v69
; %bb.141:                              ;   in Loop: Header=BB175_9 Depth=1
	v_ffbh_u32_e32 v67, v29
	v_min_u32_e32 v67, 32, v67
	v_subrev_nc_u32_e32 v69, 28, v67
	v_sub_nc_u32_e32 v67, 29, v67
	v_lshlrev_b64 v[69:70], v69, v[29:30]
	v_and_b32_e32 v29, 7, v69
; %bb.142:                              ;   in Loop: Header=BB175_9 Depth=1
	s_or_b32 exec_lo, exec_lo, s33
	v_lshlrev_b32_e32 v68, 24, v68
	v_lshlrev_b32_e32 v29, 20, v29
	v_lshl_add_u32 v67, v67, 23, 0x3c000000
	v_and_b32_e32 v68, 0x80000000, v68
	v_or3_b32 v67, v29, v68, v67
.LBB175_143:                            ;   in Loop: Header=BB175_9 Depth=1
	s_or_b32 exec_lo, exec_lo, s31
.LBB175_144:                            ;   in Loop: Header=BB175_9 Depth=1
	s_or_b32 exec_lo, exec_lo, s30
.LBB175_145:                            ;   in Loop: Header=BB175_9 Depth=1
	s_or_b32 exec_lo, exec_lo, s3
	global_load_ubyte v68, v[35:36], off offset:516
	s_mov_b32 s3, exec_lo
	s_waitcnt vmcnt(0)
	v_cmpx_ne_u16_e32 0, v68
	s_cbranch_execz .LBB175_153
; %bb.146:                              ;   in Loop: Header=BB175_9 Depth=1
	v_bfrev_b32_e32 v66, 1
	s_mov_b32 s30, exec_lo
	v_cmpx_ne_u16_e32 0x80, v68
	s_cbranch_execz .LBB175_152
; %bb.147:                              ;   in Loop: Header=BB175_9 Depth=1
	v_and_b32_sdwa v69, v68, v47 dst_sel:DWORD dst_unused:UNUSED_PAD src0_sel:WORD_0 src1_sel:DWORD
	v_mov_b32_e32 v66, 0x7f800001
	s_mov_b32 s31, exec_lo
	v_cmpx_ne_u32_e32 0x7f, v69
	s_cbranch_execz .LBB175_151
; %bb.148:                              ;   in Loop: Header=BB175_9 Depth=1
	v_and_b32_sdwa v29, v68, v48 dst_sel:DWORD dst_unused:UNUSED_PAD src0_sel:WORD_0 src1_sel:DWORD
	v_lshrrev_b32_e32 v66, 3, v69
	s_mov_b32 s33, exec_lo
	v_cmpx_gt_u32_e32 8, v69
; %bb.149:                              ;   in Loop: Header=BB175_9 Depth=1
	v_ffbh_u32_e32 v66, v29
	v_min_u32_e32 v66, 32, v66
	v_subrev_nc_u32_e32 v69, 28, v66
	v_sub_nc_u32_e32 v66, 29, v66
	v_lshlrev_b64 v[69:70], v69, v[29:30]
	v_and_b32_e32 v29, 7, v69
; %bb.150:                              ;   in Loop: Header=BB175_9 Depth=1
	s_or_b32 exec_lo, exec_lo, s33
	v_lshlrev_b32_e32 v68, 24, v68
	v_lshlrev_b32_e32 v29, 20, v29
	v_lshl_add_u32 v66, v66, 23, 0x3c000000
	v_and_b32_e32 v68, 0x80000000, v68
	v_or3_b32 v66, v29, v68, v66
.LBB175_151:                            ;   in Loop: Header=BB175_9 Depth=1
	s_or_b32 exec_lo, exec_lo, s31
.LBB175_152:                            ;   in Loop: Header=BB175_9 Depth=1
	s_or_b32 exec_lo, exec_lo, s30
.LBB175_153:                            ;   in Loop: Header=BB175_9 Depth=1
	s_or_b32 exec_lo, exec_lo, s3
	global_load_ubyte v70, v[35:36], off offset:520
	v_mov_b32_e32 v68, 0
	v_mov_b32_e32 v69, 0
	s_mov_b32 s3, exec_lo
	s_waitcnt vmcnt(0)
	v_cmpx_ne_u16_e32 0, v70
	s_cbranch_execz .LBB175_161
; %bb.154:                              ;   in Loop: Header=BB175_9 Depth=1
	v_bfrev_b32_e32 v69, 1
	s_mov_b32 s30, exec_lo
	v_cmpx_ne_u16_e32 0x80, v70
	s_cbranch_execz .LBB175_160
; %bb.155:                              ;   in Loop: Header=BB175_9 Depth=1
	v_and_b32_sdwa v71, v70, v47 dst_sel:DWORD dst_unused:UNUSED_PAD src0_sel:WORD_0 src1_sel:DWORD
	v_mov_b32_e32 v69, 0x7f800001
	s_mov_b32 s31, exec_lo
	v_cmpx_ne_u32_e32 0x7f, v71
	s_cbranch_execz .LBB175_159
; %bb.156:                              ;   in Loop: Header=BB175_9 Depth=1
	v_and_b32_sdwa v29, v70, v48 dst_sel:DWORD dst_unused:UNUSED_PAD src0_sel:WORD_0 src1_sel:DWORD
	v_lshrrev_b32_e32 v69, 3, v71
	s_mov_b32 s33, exec_lo
	v_cmpx_gt_u32_e32 8, v71
; %bb.157:                              ;   in Loop: Header=BB175_9 Depth=1
	v_ffbh_u32_e32 v69, v29
	v_min_u32_e32 v69, 32, v69
	v_subrev_nc_u32_e32 v71, 28, v69
	v_sub_nc_u32_e32 v69, 29, v69
	v_lshlrev_b64 v[71:72], v71, v[29:30]
	v_and_b32_e32 v29, 7, v71
; %bb.158:                              ;   in Loop: Header=BB175_9 Depth=1
	s_or_b32 exec_lo, exec_lo, s33
	v_lshlrev_b32_e32 v70, 24, v70
	v_lshlrev_b32_e32 v29, 20, v29
	v_lshl_add_u32 v69, v69, 23, 0x3c000000
	v_and_b32_e32 v70, 0x80000000, v70
	v_or3_b32 v69, v29, v70, v69
.LBB175_159:                            ;   in Loop: Header=BB175_9 Depth=1
	s_or_b32 exec_lo, exec_lo, s31
.LBB175_160:                            ;   in Loop: Header=BB175_9 Depth=1
	s_or_b32 exec_lo, exec_lo, s30
.LBB175_161:                            ;   in Loop: Header=BB175_9 Depth=1
	s_or_b32 exec_lo, exec_lo, s3
	global_load_ubyte v70, v[35:36], off offset:524
	s_mov_b32 s3, exec_lo
	s_waitcnt vmcnt(0)
	v_cmpx_ne_u16_e32 0, v70
	s_cbranch_execz .LBB175_169
; %bb.162:                              ;   in Loop: Header=BB175_9 Depth=1
	v_bfrev_b32_e32 v68, 1
	s_mov_b32 s30, exec_lo
	v_cmpx_ne_u16_e32 0x80, v70
	s_cbranch_execz .LBB175_168
; %bb.163:                              ;   in Loop: Header=BB175_9 Depth=1
	v_and_b32_sdwa v71, v70, v47 dst_sel:DWORD dst_unused:UNUSED_PAD src0_sel:WORD_0 src1_sel:DWORD
	v_mov_b32_e32 v68, 0x7f800001
	s_mov_b32 s31, exec_lo
	v_cmpx_ne_u32_e32 0x7f, v71
	s_cbranch_execz .LBB175_167
; %bb.164:                              ;   in Loop: Header=BB175_9 Depth=1
	v_and_b32_sdwa v29, v70, v48 dst_sel:DWORD dst_unused:UNUSED_PAD src0_sel:WORD_0 src1_sel:DWORD
	v_lshrrev_b32_e32 v68, 3, v71
	s_mov_b32 s33, exec_lo
	v_cmpx_gt_u32_e32 8, v71
; %bb.165:                              ;   in Loop: Header=BB175_9 Depth=1
	v_ffbh_u32_e32 v68, v29
	v_min_u32_e32 v68, 32, v68
	v_subrev_nc_u32_e32 v71, 28, v68
	v_sub_nc_u32_e32 v68, 29, v68
	v_lshlrev_b64 v[71:72], v71, v[29:30]
	v_and_b32_e32 v29, 7, v71
; %bb.166:                              ;   in Loop: Header=BB175_9 Depth=1
	s_or_b32 exec_lo, exec_lo, s33
	v_lshlrev_b32_e32 v70, 24, v70
	v_lshlrev_b32_e32 v29, 20, v29
	v_lshl_add_u32 v68, v68, 23, 0x3c000000
	v_and_b32_e32 v70, 0x80000000, v70
	v_or3_b32 v68, v29, v70, v68
.LBB175_167:                            ;   in Loop: Header=BB175_9 Depth=1
	s_or_b32 exec_lo, exec_lo, s31
.LBB175_168:                            ;   in Loop: Header=BB175_9 Depth=1
	s_or_b32 exec_lo, exec_lo, s30
.LBB175_169:                            ;   in Loop: Header=BB175_9 Depth=1
	s_or_b32 exec_lo, exec_lo, s3
	global_load_ubyte v72, v[35:36], off offset:640
	v_mov_b32_e32 v70, 0
	v_mov_b32_e32 v71, 0
	s_mov_b32 s3, exec_lo
	s_waitcnt vmcnt(0)
	v_cmpx_ne_u16_e32 0, v72
	s_cbranch_execz .LBB175_177
; %bb.170:                              ;   in Loop: Header=BB175_9 Depth=1
	v_bfrev_b32_e32 v71, 1
	s_mov_b32 s30, exec_lo
	v_cmpx_ne_u16_e32 0x80, v72
	s_cbranch_execz .LBB175_176
; %bb.171:                              ;   in Loop: Header=BB175_9 Depth=1
	v_and_b32_sdwa v73, v72, v47 dst_sel:DWORD dst_unused:UNUSED_PAD src0_sel:WORD_0 src1_sel:DWORD
	v_mov_b32_e32 v71, 0x7f800001
	s_mov_b32 s31, exec_lo
	v_cmpx_ne_u32_e32 0x7f, v73
	s_cbranch_execz .LBB175_175
; %bb.172:                              ;   in Loop: Header=BB175_9 Depth=1
	v_and_b32_sdwa v29, v72, v48 dst_sel:DWORD dst_unused:UNUSED_PAD src0_sel:WORD_0 src1_sel:DWORD
	v_lshrrev_b32_e32 v71, 3, v73
	s_mov_b32 s33, exec_lo
	v_cmpx_gt_u32_e32 8, v73
; %bb.173:                              ;   in Loop: Header=BB175_9 Depth=1
	v_ffbh_u32_e32 v71, v29
	v_min_u32_e32 v71, 32, v71
	v_subrev_nc_u32_e32 v73, 28, v71
	v_sub_nc_u32_e32 v71, 29, v71
	v_lshlrev_b64 v[73:74], v73, v[29:30]
	v_and_b32_e32 v29, 7, v73
; %bb.174:                              ;   in Loop: Header=BB175_9 Depth=1
	s_or_b32 exec_lo, exec_lo, s33
	v_lshlrev_b32_e32 v72, 24, v72
	v_lshlrev_b32_e32 v29, 20, v29
	v_lshl_add_u32 v71, v71, 23, 0x3c000000
	v_and_b32_e32 v72, 0x80000000, v72
	v_or3_b32 v71, v29, v72, v71
.LBB175_175:                            ;   in Loop: Header=BB175_9 Depth=1
	s_or_b32 exec_lo, exec_lo, s31
.LBB175_176:                            ;   in Loop: Header=BB175_9 Depth=1
	s_or_b32 exec_lo, exec_lo, s30
.LBB175_177:                            ;   in Loop: Header=BB175_9 Depth=1
	s_or_b32 exec_lo, exec_lo, s3
	global_load_ubyte v72, v[35:36], off offset:644
	s_mov_b32 s3, exec_lo
	s_waitcnt vmcnt(0)
	v_cmpx_ne_u16_e32 0, v72
	s_cbranch_execz .LBB175_185
; %bb.178:                              ;   in Loop: Header=BB175_9 Depth=1
	v_bfrev_b32_e32 v70, 1
	s_mov_b32 s30, exec_lo
	v_cmpx_ne_u16_e32 0x80, v72
	s_cbranch_execz .LBB175_184
; %bb.179:                              ;   in Loop: Header=BB175_9 Depth=1
	v_and_b32_sdwa v73, v72, v47 dst_sel:DWORD dst_unused:UNUSED_PAD src0_sel:WORD_0 src1_sel:DWORD
	v_mov_b32_e32 v70, 0x7f800001
	s_mov_b32 s31, exec_lo
	v_cmpx_ne_u32_e32 0x7f, v73
	s_cbranch_execz .LBB175_183
; %bb.180:                              ;   in Loop: Header=BB175_9 Depth=1
	v_and_b32_sdwa v29, v72, v48 dst_sel:DWORD dst_unused:UNUSED_PAD src0_sel:WORD_0 src1_sel:DWORD
	v_lshrrev_b32_e32 v70, 3, v73
	s_mov_b32 s33, exec_lo
	v_cmpx_gt_u32_e32 8, v73
; %bb.181:                              ;   in Loop: Header=BB175_9 Depth=1
	v_ffbh_u32_e32 v70, v29
	v_min_u32_e32 v70, 32, v70
	v_subrev_nc_u32_e32 v73, 28, v70
	v_sub_nc_u32_e32 v70, 29, v70
	v_lshlrev_b64 v[73:74], v73, v[29:30]
	v_and_b32_e32 v29, 7, v73
; %bb.182:                              ;   in Loop: Header=BB175_9 Depth=1
	s_or_b32 exec_lo, exec_lo, s33
	v_lshlrev_b32_e32 v72, 24, v72
	v_lshlrev_b32_e32 v29, 20, v29
	v_lshl_add_u32 v70, v70, 23, 0x3c000000
	v_and_b32_e32 v72, 0x80000000, v72
	v_or3_b32 v70, v29, v72, v70
.LBB175_183:                            ;   in Loop: Header=BB175_9 Depth=1
	s_or_b32 exec_lo, exec_lo, s31
.LBB175_184:                            ;   in Loop: Header=BB175_9 Depth=1
	s_or_b32 exec_lo, exec_lo, s30
.LBB175_185:                            ;   in Loop: Header=BB175_9 Depth=1
	s_or_b32 exec_lo, exec_lo, s3
	global_load_ubyte v74, v[35:36], off offset:648
	v_mov_b32_e32 v72, 0
	v_mov_b32_e32 v73, 0
	s_mov_b32 s3, exec_lo
	s_waitcnt vmcnt(0)
	v_cmpx_ne_u16_e32 0, v74
	s_cbranch_execz .LBB175_193
; %bb.186:                              ;   in Loop: Header=BB175_9 Depth=1
	v_bfrev_b32_e32 v73, 1
	s_mov_b32 s30, exec_lo
	v_cmpx_ne_u16_e32 0x80, v74
	s_cbranch_execz .LBB175_192
; %bb.187:                              ;   in Loop: Header=BB175_9 Depth=1
	v_and_b32_sdwa v75, v74, v47 dst_sel:DWORD dst_unused:UNUSED_PAD src0_sel:WORD_0 src1_sel:DWORD
	v_mov_b32_e32 v73, 0x7f800001
	s_mov_b32 s31, exec_lo
	v_cmpx_ne_u32_e32 0x7f, v75
	s_cbranch_execz .LBB175_191
; %bb.188:                              ;   in Loop: Header=BB175_9 Depth=1
	v_and_b32_sdwa v29, v74, v48 dst_sel:DWORD dst_unused:UNUSED_PAD src0_sel:WORD_0 src1_sel:DWORD
	v_lshrrev_b32_e32 v73, 3, v75
	s_mov_b32 s33, exec_lo
	v_cmpx_gt_u32_e32 8, v75
; %bb.189:                              ;   in Loop: Header=BB175_9 Depth=1
	v_ffbh_u32_e32 v73, v29
	v_min_u32_e32 v73, 32, v73
	v_subrev_nc_u32_e32 v75, 28, v73
	v_sub_nc_u32_e32 v73, 29, v73
	v_lshlrev_b64 v[75:76], v75, v[29:30]
	v_and_b32_e32 v29, 7, v75
; %bb.190:                              ;   in Loop: Header=BB175_9 Depth=1
	s_or_b32 exec_lo, exec_lo, s33
	v_lshlrev_b32_e32 v74, 24, v74
	v_lshlrev_b32_e32 v29, 20, v29
	v_lshl_add_u32 v73, v73, 23, 0x3c000000
	v_and_b32_e32 v74, 0x80000000, v74
	v_or3_b32 v73, v29, v74, v73
.LBB175_191:                            ;   in Loop: Header=BB175_9 Depth=1
	s_or_b32 exec_lo, exec_lo, s31
.LBB175_192:                            ;   in Loop: Header=BB175_9 Depth=1
	s_or_b32 exec_lo, exec_lo, s30
.LBB175_193:                            ;   in Loop: Header=BB175_9 Depth=1
	s_or_b32 exec_lo, exec_lo, s3
	global_load_ubyte v74, v[35:36], off offset:652
	s_mov_b32 s3, exec_lo
	s_waitcnt vmcnt(0)
	v_cmpx_ne_u16_e32 0, v74
	s_cbranch_execz .LBB175_201
; %bb.194:                              ;   in Loop: Header=BB175_9 Depth=1
	v_bfrev_b32_e32 v72, 1
	s_mov_b32 s30, exec_lo
	v_cmpx_ne_u16_e32 0x80, v74
	s_cbranch_execz .LBB175_200
; %bb.195:                              ;   in Loop: Header=BB175_9 Depth=1
	v_and_b32_sdwa v75, v74, v47 dst_sel:DWORD dst_unused:UNUSED_PAD src0_sel:WORD_0 src1_sel:DWORD
	v_mov_b32_e32 v72, 0x7f800001
	s_mov_b32 s31, exec_lo
	v_cmpx_ne_u32_e32 0x7f, v75
	s_cbranch_execz .LBB175_199
; %bb.196:                              ;   in Loop: Header=BB175_9 Depth=1
	v_and_b32_sdwa v29, v74, v48 dst_sel:DWORD dst_unused:UNUSED_PAD src0_sel:WORD_0 src1_sel:DWORD
	v_lshrrev_b32_e32 v72, 3, v75
	s_mov_b32 s33, exec_lo
	v_cmpx_gt_u32_e32 8, v75
; %bb.197:                              ;   in Loop: Header=BB175_9 Depth=1
	v_ffbh_u32_e32 v72, v29
	v_min_u32_e32 v72, 32, v72
	v_subrev_nc_u32_e32 v75, 28, v72
	v_sub_nc_u32_e32 v72, 29, v72
	v_lshlrev_b64 v[75:76], v75, v[29:30]
	v_and_b32_e32 v29, 7, v75
; %bb.198:                              ;   in Loop: Header=BB175_9 Depth=1
	s_or_b32 exec_lo, exec_lo, s33
	v_lshlrev_b32_e32 v74, 24, v74
	v_lshlrev_b32_e32 v29, 20, v29
	v_lshl_add_u32 v72, v72, 23, 0x3c000000
	v_and_b32_e32 v74, 0x80000000, v74
	v_or3_b32 v72, v29, v74, v72
.LBB175_199:                            ;   in Loop: Header=BB175_9 Depth=1
	s_or_b32 exec_lo, exec_lo, s31
.LBB175_200:                            ;   in Loop: Header=BB175_9 Depth=1
	s_or_b32 exec_lo, exec_lo, s30
.LBB175_201:                            ;   in Loop: Header=BB175_9 Depth=1
	s_or_b32 exec_lo, exec_lo, s3
	global_load_ubyte v76, v[35:36], off offset:768
	v_mov_b32_e32 v74, 0
	v_mov_b32_e32 v75, 0
	s_mov_b32 s3, exec_lo
	s_waitcnt vmcnt(0)
	v_cmpx_ne_u16_e32 0, v76
	s_cbranch_execz .LBB175_209
; %bb.202:                              ;   in Loop: Header=BB175_9 Depth=1
	v_bfrev_b32_e32 v75, 1
	s_mov_b32 s30, exec_lo
	v_cmpx_ne_u16_e32 0x80, v76
	s_cbranch_execz .LBB175_208
; %bb.203:                              ;   in Loop: Header=BB175_9 Depth=1
	v_and_b32_sdwa v77, v76, v47 dst_sel:DWORD dst_unused:UNUSED_PAD src0_sel:WORD_0 src1_sel:DWORD
	v_mov_b32_e32 v75, 0x7f800001
	s_mov_b32 s31, exec_lo
	v_cmpx_ne_u32_e32 0x7f, v77
	s_cbranch_execz .LBB175_207
; %bb.204:                              ;   in Loop: Header=BB175_9 Depth=1
	v_and_b32_sdwa v29, v76, v48 dst_sel:DWORD dst_unused:UNUSED_PAD src0_sel:WORD_0 src1_sel:DWORD
	v_lshrrev_b32_e32 v75, 3, v77
	s_mov_b32 s33, exec_lo
	v_cmpx_gt_u32_e32 8, v77
; %bb.205:                              ;   in Loop: Header=BB175_9 Depth=1
	v_ffbh_u32_e32 v75, v29
	v_min_u32_e32 v75, 32, v75
	v_subrev_nc_u32_e32 v77, 28, v75
	v_sub_nc_u32_e32 v75, 29, v75
	v_lshlrev_b64 v[77:78], v77, v[29:30]
	v_and_b32_e32 v29, 7, v77
; %bb.206:                              ;   in Loop: Header=BB175_9 Depth=1
	s_or_b32 exec_lo, exec_lo, s33
	v_lshlrev_b32_e32 v76, 24, v76
	v_lshlrev_b32_e32 v29, 20, v29
	v_lshl_add_u32 v75, v75, 23, 0x3c000000
	v_and_b32_e32 v76, 0x80000000, v76
	v_or3_b32 v75, v29, v76, v75
.LBB175_207:                            ;   in Loop: Header=BB175_9 Depth=1
	s_or_b32 exec_lo, exec_lo, s31
.LBB175_208:                            ;   in Loop: Header=BB175_9 Depth=1
	s_or_b32 exec_lo, exec_lo, s30
.LBB175_209:                            ;   in Loop: Header=BB175_9 Depth=1
	s_or_b32 exec_lo, exec_lo, s3
	global_load_ubyte v76, v[35:36], off offset:772
	s_mov_b32 s3, exec_lo
	s_waitcnt vmcnt(0)
	v_cmpx_ne_u16_e32 0, v76
	s_cbranch_execz .LBB175_217
; %bb.210:                              ;   in Loop: Header=BB175_9 Depth=1
	v_bfrev_b32_e32 v74, 1
	s_mov_b32 s30, exec_lo
	v_cmpx_ne_u16_e32 0x80, v76
	s_cbranch_execz .LBB175_216
; %bb.211:                              ;   in Loop: Header=BB175_9 Depth=1
	v_and_b32_sdwa v77, v76, v47 dst_sel:DWORD dst_unused:UNUSED_PAD src0_sel:WORD_0 src1_sel:DWORD
	v_mov_b32_e32 v74, 0x7f800001
	s_mov_b32 s31, exec_lo
	v_cmpx_ne_u32_e32 0x7f, v77
	s_cbranch_execz .LBB175_215
; %bb.212:                              ;   in Loop: Header=BB175_9 Depth=1
	v_and_b32_sdwa v29, v76, v48 dst_sel:DWORD dst_unused:UNUSED_PAD src0_sel:WORD_0 src1_sel:DWORD
	v_lshrrev_b32_e32 v74, 3, v77
	s_mov_b32 s33, exec_lo
	v_cmpx_gt_u32_e32 8, v77
; %bb.213:                              ;   in Loop: Header=BB175_9 Depth=1
	v_ffbh_u32_e32 v74, v29
	v_min_u32_e32 v74, 32, v74
	v_subrev_nc_u32_e32 v77, 28, v74
	v_sub_nc_u32_e32 v74, 29, v74
	v_lshlrev_b64 v[77:78], v77, v[29:30]
	v_and_b32_e32 v29, 7, v77
; %bb.214:                              ;   in Loop: Header=BB175_9 Depth=1
	s_or_b32 exec_lo, exec_lo, s33
	v_lshlrev_b32_e32 v76, 24, v76
	v_lshlrev_b32_e32 v29, 20, v29
	v_lshl_add_u32 v74, v74, 23, 0x3c000000
	v_and_b32_e32 v76, 0x80000000, v76
	v_or3_b32 v74, v29, v76, v74
.LBB175_215:                            ;   in Loop: Header=BB175_9 Depth=1
	s_or_b32 exec_lo, exec_lo, s31
.LBB175_216:                            ;   in Loop: Header=BB175_9 Depth=1
	s_or_b32 exec_lo, exec_lo, s30
.LBB175_217:                            ;   in Loop: Header=BB175_9 Depth=1
	s_or_b32 exec_lo, exec_lo, s3
	global_load_ubyte v78, v[35:36], off offset:776
	v_mov_b32_e32 v76, 0
	v_mov_b32_e32 v77, 0
	s_mov_b32 s3, exec_lo
	s_waitcnt vmcnt(0)
	v_cmpx_ne_u16_e32 0, v78
	s_cbranch_execz .LBB175_225
; %bb.218:                              ;   in Loop: Header=BB175_9 Depth=1
	v_bfrev_b32_e32 v77, 1
	s_mov_b32 s30, exec_lo
	v_cmpx_ne_u16_e32 0x80, v78
	s_cbranch_execz .LBB175_224
; %bb.219:                              ;   in Loop: Header=BB175_9 Depth=1
	v_and_b32_sdwa v79, v78, v47 dst_sel:DWORD dst_unused:UNUSED_PAD src0_sel:WORD_0 src1_sel:DWORD
	v_mov_b32_e32 v77, 0x7f800001
	s_mov_b32 s31, exec_lo
	v_cmpx_ne_u32_e32 0x7f, v79
	s_cbranch_execz .LBB175_223
; %bb.220:                              ;   in Loop: Header=BB175_9 Depth=1
	v_and_b32_sdwa v29, v78, v48 dst_sel:DWORD dst_unused:UNUSED_PAD src0_sel:WORD_0 src1_sel:DWORD
	v_lshrrev_b32_e32 v77, 3, v79
	s_mov_b32 s33, exec_lo
	v_cmpx_gt_u32_e32 8, v79
; %bb.221:                              ;   in Loop: Header=BB175_9 Depth=1
	v_ffbh_u32_e32 v77, v29
	v_min_u32_e32 v77, 32, v77
	v_subrev_nc_u32_e32 v79, 28, v77
	v_sub_nc_u32_e32 v77, 29, v77
	v_lshlrev_b64 v[79:80], v79, v[29:30]
	v_and_b32_e32 v29, 7, v79
; %bb.222:                              ;   in Loop: Header=BB175_9 Depth=1
	s_or_b32 exec_lo, exec_lo, s33
	v_lshlrev_b32_e32 v78, 24, v78
	v_lshlrev_b32_e32 v29, 20, v29
	v_lshl_add_u32 v77, v77, 23, 0x3c000000
	v_and_b32_e32 v78, 0x80000000, v78
	v_or3_b32 v77, v29, v78, v77
.LBB175_223:                            ;   in Loop: Header=BB175_9 Depth=1
	s_or_b32 exec_lo, exec_lo, s31
.LBB175_224:                            ;   in Loop: Header=BB175_9 Depth=1
	s_or_b32 exec_lo, exec_lo, s30
.LBB175_225:                            ;   in Loop: Header=BB175_9 Depth=1
	s_or_b32 exec_lo, exec_lo, s3
	global_load_ubyte v35, v[35:36], off offset:780
	s_mov_b32 s3, exec_lo
	s_waitcnt vmcnt(0)
	v_cmpx_ne_u16_e32 0, v35
	s_cbranch_execz .LBB175_233
; %bb.226:                              ;   in Loop: Header=BB175_9 Depth=1
	v_bfrev_b32_e32 v76, 1
	s_mov_b32 s30, exec_lo
	v_cmpx_ne_u16_e32 0x80, v35
	s_cbranch_execz .LBB175_232
; %bb.227:                              ;   in Loop: Header=BB175_9 Depth=1
	v_and_b32_sdwa v78, v35, v47 dst_sel:DWORD dst_unused:UNUSED_PAD src0_sel:WORD_0 src1_sel:DWORD
	v_mov_b32_e32 v76, 0x7f800001
	s_mov_b32 s31, exec_lo
	v_cmpx_ne_u32_e32 0x7f, v78
	s_cbranch_execz .LBB175_231
; %bb.228:                              ;   in Loop: Header=BB175_9 Depth=1
	v_and_b32_sdwa v29, v35, v48 dst_sel:DWORD dst_unused:UNUSED_PAD src0_sel:WORD_0 src1_sel:DWORD
	v_lshrrev_b32_e32 v36, 3, v78
	s_mov_b32 s33, exec_lo
	v_cmpx_gt_u32_e32 8, v78
; %bb.229:                              ;   in Loop: Header=BB175_9 Depth=1
	v_ffbh_u32_e32 v36, v29
	v_min_u32_e32 v36, 32, v36
	v_subrev_nc_u32_e32 v76, 28, v36
	v_sub_nc_u32_e32 v36, 29, v36
	v_lshlrev_b64 v[78:79], v76, v[29:30]
	v_and_b32_e32 v29, 7, v78
; %bb.230:                              ;   in Loop: Header=BB175_9 Depth=1
	s_or_b32 exec_lo, exec_lo, s33
	v_lshlrev_b32_e32 v35, 24, v35
	v_lshlrev_b32_e32 v29, 20, v29
	v_lshl_add_u32 v36, v36, 23, 0x3c000000
	v_and_b32_e32 v35, 0x80000000, v35
	v_or3_b32 v76, v29, v35, v36
.LBB175_231:                            ;   in Loop: Header=BB175_9 Depth=1
	s_or_b32 exec_lo, exec_lo, s31
.LBB175_232:                            ;   in Loop: Header=BB175_9 Depth=1
	s_or_b32 exec_lo, exec_lo, s30
.LBB175_233:                            ;   in Loop: Header=BB175_9 Depth=1
	s_or_b32 exec_lo, exec_lo, s3
	s_waitcnt lgkmcnt(0)
	v_mul_f32_e32 v29, s4, v50
	v_mul_f32_e32 v35, s4, v51
	;; [unrolled: 1-line block ×4, first 2 shown]
	v_fmac_f32_e32 v29, v1, v35
	v_mul_f32_e32 v35, s4, v52
	v_fmac_f32_e32 v29, v3, v36
	v_mul_f32_e32 v36, s4, v55
	;; [unrolled: 2-line block ×25, first 2 shown]
	v_fmac_f32_e32 v29, v27, v36
	v_fmac_f32_e32 v29, v28, v35
	ds_bpermute_b32 v35, v43, v29
	s_waitcnt lgkmcnt(0)
	v_add_f32_e32 v29, v29, v35
	ds_bpermute_b32 v35, v44, v29
	s_and_saveexec_b32 s3, vcc_lo
	s_cbranch_execz .LBB175_8
; %bb.234:                              ;   in Loop: Header=BB175_9 Depth=1
	v_add_nc_u32_e32 v36, s5, v45
	s_waitcnt lgkmcnt(0)
	v_add_f32_e32 v29, v29, v35
	v_cmp_gt_i32_e64 s2, s11, v45
	v_cvt_f32_i32_e32 v36, v36
	v_mul_f32_e32 v36, s28, v36
	v_cndmask_b32_e64 v35, 0, v36, s1
	v_max_f32_e32 v36, v42, v42
	v_fmac_f32_e32 v35, s29, v29
	v_max_f32_e32 v29, v36, v35
	v_cndmask_b32_e64 v35, 0, v35, s2
	v_cndmask_b32_e64 v42, v42, v29, s2
	ds_write_b32 v46, v35
	s_branch .LBB175_8
.LBB175_235:
	s_or_b32 exec_lo, exec_lo, s16
.LBB175_236:
	s_or_b32 exec_lo, exec_lo, s15
	v_xor_b32_e32 v1, 16, v40
	v_xor_b32_e32 v3, 8, v40
	v_max_f32_e32 v4, v42, v42
	v_xor_b32_e32 v5, 4, v40
	v_and_b32_e32 v25, 31, v0
	v_cmp_lt_i32_e32 vcc_lo, v1, v41
	v_cndmask_b32_e32 v1, v40, v1, vcc_lo
	v_cmp_lt_i32_e32 vcc_lo, v3, v41
	v_lshlrev_b32_e32 v2, 2, v1
	v_cndmask_b32_e32 v3, v40, v3, vcc_lo
	v_cmp_lt_i32_e32 vcc_lo, v5, v41
	ds_bpermute_b32 v1, v2, v42
	v_lshlrev_b32_e32 v3, 2, v3
	v_cndmask_b32_e32 v5, v40, v5, vcc_lo
	v_cmp_eq_u32_e32 vcc_lo, 0, v25
	v_lshlrev_b32_e32 v6, 2, v5
	s_waitcnt lgkmcnt(0)
	v_max_f32_e32 v1, v1, v1
	v_max_f32_e32 v1, v4, v1
	ds_bpermute_b32 v4, v3, v1
	s_waitcnt lgkmcnt(0)
	v_max_f32_e32 v4, v4, v4
	v_max_f32_e32 v1, v1, v4
	v_lshlrev_b32_e32 v4, 2, v37
	ds_bpermute_b32 v5, v6, v1
	s_and_saveexec_b32 s1, vcc_lo
	s_cbranch_execz .LBB175_238
; %bb.237:
	s_waitcnt lgkmcnt(0)
	v_max_f32_e32 v5, v5, v5
	v_max_f32_e32 v1, v1, v1
	;; [unrolled: 1-line block ×3, first 2 shown]
	ds_write_b32 v4, v1 offset:448
.LBB175_238:
	s_or_b32 exec_lo, exec_lo, s1
	v_cmp_gt_u32_e64 s1, 4, v25
	v_mov_b32_e32 v1, 0xff7fffff
	s_waitcnt lgkmcnt(0)
	v_lshlrev_b32_e32 v5, 2, v25
	s_barrier
	buffer_gl0_inv
	s_and_saveexec_b32 s2, s1
; %bb.239:
	ds_read_b32 v1, v5 offset:448
; %bb.240:
	s_or_b32 exec_lo, exec_lo, s2
	v_xor_b32_e32 v7, 2, v40
	v_xor_b32_e32 v9, 1, v40
	v_cmp_lt_i32_e64 s2, v7, v41
	v_cndmask_b32_e64 v7, v40, v7, s2
	v_cmp_lt_i32_e64 s2, v9, v41
	v_lshlrev_b32_e32 v7, 2, v7
	v_cndmask_b32_e64 v9, v40, v9, s2
	s_lshl_b32 s2, s12, 3
	s_min_i32 s4, s2, s11
	s_waitcnt lgkmcnt(0)
	ds_bpermute_b32 v8, v7, v1
	v_max_f32_e32 v1, v1, v1
	v_lshlrev_b32_e32 v26, 2, v9
	v_cmp_gt_i32_e64 s2, s4, v0
	s_waitcnt lgkmcnt(0)
	v_max_f32_e32 v8, v8, v8
	v_max_f32_e32 v1, v1, v8
	ds_bpermute_b32 v8, v26, v1
	s_waitcnt lgkmcnt(0)
	v_max_f32_e32 v8, v8, v8
	v_max_f32_e32 v1, v1, v8
	v_lshlrev_b32_e32 v8, 2, v30
	ds_bpermute_b32 v9, v8, v1
	v_mov_b32_e32 v8, 0
	v_lshl_add_u32 v1, v0, 2, 0x1e0
	s_and_saveexec_b32 s5, s2
	s_cbranch_execz .LBB175_244
; %bb.241:
	v_lshl_add_u32 v10, v0, 2, 0x1e0
	v_mov_b32_e32 v8, 0
	v_mov_b32_e32 v11, v0
	s_mov_b32 s15, 0
	.p2align	6
.LBB175_242:                            ; =>This Inner Loop Header: Depth=1
	ds_read_b32 v12, v10
	v_add_nc_u32_e32 v11, 0x80, v11
	v_cmp_le_i32_e64 s3, s4, v11
	s_or_b32 s15, s3, s15
	s_waitcnt lgkmcnt(0)
	v_sub_f32_e32 v12, v12, v9
	v_mul_f32_e32 v12, 0x3fb8aa3b, v12
	v_exp_f32_e32 v12, v12
	ds_write_b32 v10, v12
	v_add_f32_e32 v8, v8, v12
	v_add_nc_u32_e32 v10, 0x200, v10
	s_andn2_b32 exec_lo, exec_lo, s15
	s_cbranch_execnz .LBB175_242
; %bb.243:
	s_or_b32 exec_lo, exec_lo, s15
.LBB175_244:
	s_or_b32 exec_lo, exec_lo, s5
	ds_bpermute_b32 v2, v2, v8
	s_waitcnt lgkmcnt(0)
	v_add_f32_e32 v2, v8, v2
	ds_bpermute_b32 v3, v3, v2
	s_waitcnt lgkmcnt(0)
	v_add_f32_e32 v2, v2, v3
	;; [unrolled: 3-line block ×5, first 2 shown]
	s_and_saveexec_b32 s3, vcc_lo
; %bb.245:
	ds_write_b32 v4, v2 offset:464
; %bb.246:
	s_or_b32 exec_lo, exec_lo, s3
	s_waitcnt lgkmcnt(0)
	s_barrier
	buffer_gl0_inv
	s_and_saveexec_b32 s3, s1
; %bb.247:
	ds_read_b32 v2, v5 offset:464
; %bb.248:
	s_or_b32 exec_lo, exec_lo, s3
	s_waitcnt lgkmcnt(0)
	ds_bpermute_b32 v3, v7, v2
	v_lshlrev_b32_e32 v4, 2, v40
	s_waitcnt lgkmcnt(0)
	v_add_f32_e32 v2, v2, v3
	ds_bpermute_b32 v3, v26, v2
	s_waitcnt lgkmcnt(0)
	v_add_f32_e32 v2, v2, v3
	v_and_b32_e32 v3, 0xffffff80, v4
	ds_bpermute_b32 v2, v3, v2
	s_and_saveexec_b32 s1, s2
	s_cbranch_execz .LBB175_251
; %bb.249:
	s_waitcnt lgkmcnt(0)
	v_add_f32_e32 v2, 0x358637bd, v2
	s_mov_b32 s2, 0
	v_div_scale_f32 v3, null, v2, v2, 1.0
	v_div_scale_f32 v6, vcc_lo, 1.0, v2, 1.0
	v_rcp_f32_e32 v4, v3
	v_fma_f32 v5, -v3, v4, 1.0
	v_fmac_f32_e32 v4, v5, v4
	v_mul_f32_e32 v5, v6, v4
	v_fma_f32 v7, -v3, v5, v6
	v_fmac_f32_e32 v5, v7, v4
	v_fma_f32 v3, -v3, v5, v6
	v_div_fmas_f32 v3, v3, v4, v5
	v_div_fixup_f32 v2, v3, v2, 1.0
	v_mov_b32_e32 v3, v0
.LBB175_250:                            ; =>This Inner Loop Header: Depth=1
	ds_read_b32 v4, v1
	v_add_nc_u32_e32 v3, 0x80, v3
	v_cmp_le_i32_e32 vcc_lo, s4, v3
	s_or_b32 s2, vcc_lo, s2
	s_waitcnt lgkmcnt(0)
	v_mul_f32_e32 v4, v2, v4
	ds_write_b32 v1, v4
	v_add_nc_u32_e32 v1, 0x200, v1
	s_andn2_b32 exec_lo, exec_lo, s2
	s_cbranch_execnz .LBB175_250
.LBB175_251:
	s_or_b32 exec_lo, exec_lo, s1
	v_mov_b32_e32 v32, 0
	v_and_b32_e32 v27, 1, v0
	v_mov_b32_e32 v34, 0
	v_mov_b32_e32 v33, 0
	;; [unrolled: 1-line block ×6, first 2 shown]
	s_waitcnt lgkmcnt(0)
	s_barrier
	buffer_gl0_inv
	s_and_saveexec_b32 s1, s0
	s_cbranch_execz .LBB175_493
; %bb.252:
	s_load_dword s2, s[18:19], 0x0
	v_and_b32_e32 v2, 0x7c, v38
	v_and_b32_e32 v1, 4, v38
	v_lshlrev_b32_e32 v4, 3, v37
	s_ashr_i32 s0, s14, 31
	s_add_u32 s4, s26, s14
	v_lshlrev_b32_e32 v3, 4, v27
	s_addc_u32 s0, s27, s0
	v_add_co_u32 v7, s4, s4, v2
	v_or3_b32 v35, v4, v1, 3
	v_and_b32_e32 v1, 0x7c, v39
	v_add_co_ci_u32_e64 v8, null, s0, 0, s4
	s_lshl_b64 s[4:5], s[24:25], 2
	s_add_i32 s3, s12, -1
	v_lshl_or_b32 v3, v37, 5, v3
	s_add_u32 s0, s22, s4
	s_addc_u32 s4, s23, s5
	v_add_co_u32 v9, s0, s0, v1
	v_mov_b32_e32 v6, 0
	v_add_nc_u32_e32 v36, 0x1e0, v3
	v_add_co_ci_u32_e64 v10, null, s4, 0, s0
	v_mov_b32_e32 v38, 0x80
	v_bfrev_b32_e32 v12, 1
	v_mov_b32_e32 v39, 0xffff
	v_mov_b32_e32 v14, 0x7f800001
	;; [unrolled: 1-line block ×13, first 2 shown]
	s_mov_b32 s4, s13
	s_waitcnt lgkmcnt(0)
	s_mov_b32 s13, s2
	s_mov_b32 s5, 0
	s_branch .LBB175_254
.LBB175_253:                            ;   in Loop: Header=BB175_254 Depth=1
	s_or_b32 exec_lo, exec_lo, s0
	s_waitcnt lgkmcnt(0)
	v_mul_f32_e32 v16, v1, v68
	v_mul_f32_e32 v17, v1, v66
	;; [unrolled: 1-line block ×7, first 2 shown]
	v_fmac_f32_e32 v16, v2, v67
	v_fmac_f32_e32 v17, v2, v65
	v_fmac_f32_e32 v18, v2, v61
	v_fmac_f32_e32 v19, v2, v57
	v_fmac_f32_e32 v20, v2, v53
	v_fmac_f32_e32 v21, v2, v46
	v_fmac_f32_e32 v1, v2, v13
	v_fmac_f32_e32 v16, v3, v24
	v_fmac_f32_e32 v17, v3, v64
	v_fmac_f32_e32 v18, v3, v60
	v_fmac_f32_e32 v19, v3, v56
	v_fmac_f32_e32 v20, v3, v52
	v_fmac_f32_e32 v21, v3, v45
	v_fmac_f32_e32 v1, v3, v11
	v_add_nc_u32_e32 v43, 4, v43
	v_fmac_f32_e32 v16, v4, v23
	v_fmac_f32_e32 v17, v4, v63
	;; [unrolled: 1-line block ×7, first 2 shown]
	v_cmp_le_i32_e32 vcc_lo, s12, v43
	v_add_co_u32 v9, s0, v9, 16
	v_add_f32_e32 v29, v29, v16
	v_add_f32_e32 v30, v30, v17
	;; [unrolled: 1-line block ×7, first 2 shown]
	v_add_nc_u32_e32 v35, 32, v35
	v_add_nc_u32_e32 v36, 0x80, v36
	v_add_co_ci_u32_e64 v10, null, 0, v10, s0
	s_or_b32 s5, vcc_lo, s5
	s_andn2_b32 exec_lo, exec_lo, s5
	s_cbranch_execz .LBB175_492
.LBB175_254:                            ; =>This Inner Loop Header: Depth=1
	global_load_dword v1, v[9:10], off
	v_mov_b32_e32 v19, 0
	v_mov_b32_e32 v17, 0
	;; [unrolled: 1-line block ×4, first 2 shown]
	s_waitcnt vmcnt(0)
	v_mad_i64_i32 v[15:16], null, v1, s4, v[7:8]
	ds_read_b128 v[1:4], v36
	global_load_dword v44, v[15:16], off
	s_waitcnt vmcnt(0)
	v_cmp_ne_u16_sdwa s14, v44, v6 src0_sel:BYTE_0 src1_sel:DWORD
	s_and_saveexec_b32 s0, s14
	s_cbranch_execz .LBB175_262
; %bb.255:                              ;   in Loop: Header=BB175_254 Depth=1
	v_bfrev_b32_e32 v17, 1
	v_mov_b32_e32 v18, 0
	v_cmp_ne_u16_sdwa s15, v44, v38 src0_sel:BYTE_0 src1_sel:DWORD
	s_and_saveexec_b32 s14, s15
	s_cbranch_execz .LBB175_261
; %bb.256:                              ;   in Loop: Header=BB175_254 Depth=1
	v_mov_b32_e32 v17, 0x7f800001
	v_and_b32_e32 v13, 0x7f, v44
	v_mov_b32_e32 v18, 0
	s_mov_b32 s15, exec_lo
	v_cmpx_ne_u32_e32 0x7f, v13
	s_cbranch_execz .LBB175_260
; %bb.257:                              ;   in Loop: Header=BB175_254 Depth=1
	v_and_b32_e32 v5, 7, v44
	v_lshrrev_b32_e32 v11, 3, v13
	s_mov_b32 s16, exec_lo
	v_cmpx_gt_u32_e32 8, v13
; %bb.258:                              ;   in Loop: Header=BB175_254 Depth=1
	v_ffbh_u32_e32 v11, v5
	v_min_u32_e32 v11, 32, v11
	v_subrev_nc_u32_e32 v13, 28, v11
	v_sub_nc_u32_e32 v11, 29, v11
	v_lshlrev_b64 v[17:18], v13, v[5:6]
	v_and_b32_e32 v5, 7, v17
; %bb.259:                              ;   in Loop: Header=BB175_254 Depth=1
	s_or_b32 exec_lo, exec_lo, s16
	v_lshlrev_b32_e32 v13, 24, v44
	v_lshlrev_b32_e32 v5, 20, v5
	v_lshl_add_u32 v11, v11, 23, 0x3c000000
	v_and_b32_e32 v13, 0x80000000, v13
	v_or3_b32 v5, v5, v13, v11
	v_mov_b32_e32 v18, v6
	v_mov_b32_e32 v17, v5
.LBB175_260:                            ;   in Loop: Header=BB175_254 Depth=1
	s_or_b32 exec_lo, exec_lo, s15
.LBB175_261:                            ;   in Loop: Header=BB175_254 Depth=1
	s_or_b32 exec_lo, exec_lo, s14
.LBB175_262:                            ;   in Loop: Header=BB175_254 Depth=1
	s_or_b32 exec_lo, exec_lo, s0
	v_cmp_ne_u16_sdwa s14, v44, v6 src0_sel:BYTE_1 src1_sel:DWORD
	s_and_saveexec_b32 s0, s14
	s_cbranch_execz .LBB175_270
; %bb.263:                              ;   in Loop: Header=BB175_254 Depth=1
	v_mov_b32_e32 v11, v6
	v_mov_b32_e32 v20, v12
	v_cmp_ne_u16_sdwa s15, v44, v38 src0_sel:BYTE_1 src1_sel:DWORD
	v_mov_b32_e32 v19, v11
	s_and_saveexec_b32 s14, s15
	s_cbranch_execz .LBB175_269
; %bb.264:                              ;   in Loop: Header=BB175_254 Depth=1
	v_and_b32_sdwa v5, v39, v44 dst_sel:DWORD dst_unused:UNUSED_PAD src0_sel:DWORD src1_sel:BYTE_1
	v_mov_b32_e32 v13, v6
	v_mov_b32_e32 v20, v14
	s_mov_b32 s15, exec_lo
	v_and_b32_e32 v21, 0x7f, v5
	v_mov_b32_e32 v19, v13
	v_cmpx_ne_u32_e32 0x7f, v21
	s_cbranch_execz .LBB175_268
; %bb.265:                              ;   in Loop: Header=BB175_254 Depth=1
	v_and_b32_e32 v5, 7, v5
	v_lshrrev_b32_e32 v11, 3, v21
	s_mov_b32 s16, exec_lo
	v_cmpx_gt_u32_e32 8, v21
; %bb.266:                              ;   in Loop: Header=BB175_254 Depth=1
	v_ffbh_u32_e32 v11, v5
	v_min_u32_e32 v11, 32, v11
	v_subrev_nc_u32_e32 v13, 28, v11
	v_sub_nc_u32_e32 v11, 29, v11
	v_lshlrev_b64 v[19:20], v13, v[5:6]
	v_and_b32_e32 v5, 7, v19
; %bb.267:                              ;   in Loop: Header=BB175_254 Depth=1
	s_or_b32 exec_lo, exec_lo, s16
	v_lshlrev_b32_e32 v13, 16, v44
	v_lshlrev_b32_e32 v5, 20, v5
	v_lshl_add_u32 v11, v11, 23, 0x3c000000
	v_mov_b32_e32 v19, v6
	v_and_b32_e32 v13, 0x80000000, v13
	v_or3_b32 v20, v5, v13, v11
.LBB175_268:                            ;   in Loop: Header=BB175_254 Depth=1
	s_or_b32 exec_lo, exec_lo, s15
.LBB175_269:                            ;   in Loop: Header=BB175_254 Depth=1
	s_or_b32 exec_lo, exec_lo, s14
.LBB175_270:                            ;   in Loop: Header=BB175_254 Depth=1
	s_or_b32 exec_lo, exec_lo, s0
	v_mov_b32_e32 v23, 0
	v_mov_b32_e32 v21, 0
	v_and_b32_sdwa v5, v44, v40 dst_sel:DWORD dst_unused:UNUSED_PAD src0_sel:WORD_1 src1_sel:DWORD
	v_mov_b32_e32 v24, 0
	v_mov_b32_e32 v22, 0
	s_mov_b32 s0, exec_lo
	v_cmpx_ne_u16_e32 0, v5
	s_cbranch_execz .LBB175_278
; %bb.271:                              ;   in Loop: Header=BB175_254 Depth=1
	v_bfrev_b32_e32 v21, 1
	v_mov_b32_e32 v22, 0
	s_mov_b32 s14, exec_lo
	v_cmpx_ne_u16_e32 0x80, v5
	s_cbranch_execz .LBB175_277
; %bb.272:                              ;   in Loop: Header=BB175_254 Depth=1
	v_mov_b32_e32 v21, 0x7f800001
	v_bfe_u32 v13, v44, 16, 7
	v_mov_b32_e32 v22, 0
	s_mov_b32 s15, exec_lo
	v_cmpx_ne_u32_e32 0x7f, v13
	s_cbranch_execz .LBB175_276
; %bb.273:                              ;   in Loop: Header=BB175_254 Depth=1
	v_and_b32_sdwa v5, v44, v41 dst_sel:DWORD dst_unused:UNUSED_PAD src0_sel:WORD_1 src1_sel:DWORD
	v_lshrrev_b32_e32 v11, 3, v13
	s_mov_b32 s16, exec_lo
	v_cmpx_gt_u32_e32 8, v13
; %bb.274:                              ;   in Loop: Header=BB175_254 Depth=1
	v_ffbh_u32_e32 v11, v5
	v_min_u32_e32 v11, 32, v11
	v_subrev_nc_u32_e32 v13, 28, v11
	v_sub_nc_u32_e32 v11, 29, v11
	v_lshlrev_b64 v[21:22], v13, v[5:6]
	v_and_b32_e32 v5, 7, v21
; %bb.275:                              ;   in Loop: Header=BB175_254 Depth=1
	s_or_b32 exec_lo, exec_lo, s16
	v_lshlrev_b32_sdwa v13, v42, v44 dst_sel:DWORD dst_unused:UNUSED_PAD src0_sel:DWORD src1_sel:WORD_1
	v_lshlrev_b32_e32 v5, 20, v5
	v_lshl_add_u32 v11, v11, 23, 0x3c000000
	v_and_b32_e32 v13, 0x80000000, v13
	v_or3_b32 v5, v5, v13, v11
	v_mov_b32_e32 v22, v6
	v_mov_b32_e32 v21, v5
.LBB175_276:                            ;   in Loop: Header=BB175_254 Depth=1
	s_or_b32 exec_lo, exec_lo, s15
.LBB175_277:                            ;   in Loop: Header=BB175_254 Depth=1
	s_or_b32 exec_lo, exec_lo, s14
.LBB175_278:                            ;   in Loop: Header=BB175_254 Depth=1
	s_or_b32 exec_lo, exec_lo, s0
	s_mov_b32 s0, exec_lo
	v_cmpx_lt_u32_e32 0xffffff, v44
	s_cbranch_execz .LBB175_286
; %bb.279:                              ;   in Loop: Header=BB175_254 Depth=1
	v_mov_b32_e32 v11, v6
	v_mov_b32_e32 v24, v12
	v_cmp_ne_u32_sdwa s15, v44, v38 src0_sel:BYTE_3 src1_sel:DWORD
	v_mov_b32_e32 v23, v11
	s_and_saveexec_b32 s14, s15
	s_cbranch_execz .LBB175_285
; %bb.280:                              ;   in Loop: Header=BB175_254 Depth=1
	v_mov_b32_e32 v13, v6
	v_mov_b32_e32 v24, v14
	v_bfe_u32 v45, v44, 24, 7
	s_mov_b32 s15, exec_lo
	v_mov_b32_e32 v23, v13
	v_cmpx_ne_u32_e32 0x7f, v45
	s_cbranch_execz .LBB175_284
; %bb.281:                              ;   in Loop: Header=BB175_254 Depth=1
	v_and_b32_sdwa v5, v44, v41 dst_sel:DWORD dst_unused:UNUSED_PAD src0_sel:BYTE_3 src1_sel:DWORD
	v_lshrrev_b32_e32 v11, 3, v45
	s_mov_b32 s16, exec_lo
	v_cmpx_gt_u32_e32 8, v45
; %bb.282:                              ;   in Loop: Header=BB175_254 Depth=1
	v_ffbh_u32_e32 v11, v5
	v_min_u32_e32 v11, 32, v11
	v_subrev_nc_u32_e32 v13, 28, v11
	v_sub_nc_u32_e32 v11, 29, v11
	v_lshlrev_b64 v[23:24], v13, v[5:6]
	v_and_b32_e32 v5, 7, v23
; %bb.283:                              ;   in Loop: Header=BB175_254 Depth=1
	s_or_b32 exec_lo, exec_lo, s16
	v_lshlrev_b32_sdwa v13, v42, v44 dst_sel:DWORD dst_unused:UNUSED_PAD src0_sel:DWORD src1_sel:BYTE_3
	v_lshlrev_b32_e32 v5, 20, v5
	v_lshl_add_u32 v11, v11, 23, 0x3c000000
	v_mov_b32_e32 v23, v6
	v_and_b32_e32 v13, 0x80000000, v13
	v_or3_b32 v24, v5, v13, v11
.LBB175_284:                            ;   in Loop: Header=BB175_254 Depth=1
	s_or_b32 exec_lo, exec_lo, s15
.LBB175_285:                            ;   in Loop: Header=BB175_254 Depth=1
	s_or_b32 exec_lo, exec_lo, s14
.LBB175_286:                            ;   in Loop: Header=BB175_254 Depth=1
	s_or_b32 exec_lo, exec_lo, s0
	v_or_b32_e32 v5, v20, v18
	v_or_b32_e32 v11, v19, v17
	;; [unrolled: 1-line block ×4, first 2 shown]
	v_add_nc_u32_e32 v48, -3, v35
	v_cmp_eq_u32_e32 vcc_lo, s3, v43
	v_mul_f32_e32 v46, s13, v5
	v_mul_f32_e32 v47, s2, v11
	;; [unrolled: 1-line block ×4, first 2 shown]
	v_add_nc_u32_e32 v50, -2, v35
	v_add_nc_u32_e32 v49, -1, v35
	s_and_saveexec_b32 s14, vcc_lo
	s_cbranch_execz .LBB175_288
; %bb.287:                              ;   in Loop: Header=BB175_254 Depth=1
	v_cmp_gt_i32_e64 s0, s11, v48
	v_cndmask_b32_e64 v47, 0, v47, s0
	v_cmp_gt_i32_e64 s0, s11, v50
	v_cndmask_b32_e64 v46, 0, v46, s0
	;; [unrolled: 2-line block ×4, first 2 shown]
.LBB175_288:                            ;   in Loop: Header=BB175_254 Depth=1
	s_or_b32 exec_lo, exec_lo, s14
	global_load_dword v51, v[15:16], off offset:128
	v_mov_b32_e32 v19, 0
	v_mov_b32_e32 v17, 0
	v_mov_b32_e32 v20, 0
	v_mov_b32_e32 v18, 0
	s_waitcnt vmcnt(0)
	v_cmp_ne_u16_sdwa s0, v51, v6 src0_sel:BYTE_0 src1_sel:DWORD
	s_and_saveexec_b32 s14, s0
	s_cbranch_execz .LBB175_296
; %bb.289:                              ;   in Loop: Header=BB175_254 Depth=1
	v_bfrev_b32_e32 v17, 1
	v_mov_b32_e32 v18, 0
	v_cmp_ne_u16_sdwa s0, v51, v38 src0_sel:BYTE_0 src1_sel:DWORD
	s_and_saveexec_b32 s15, s0
	s_cbranch_execz .LBB175_295
; %bb.290:                              ;   in Loop: Header=BB175_254 Depth=1
	v_mov_b32_e32 v17, 0x7f800001
	v_and_b32_e32 v13, 0x7f, v51
	v_mov_b32_e32 v18, 0
	s_mov_b32 s16, exec_lo
	v_cmpx_ne_u32_e32 0x7f, v13
	s_cbranch_execz .LBB175_294
; %bb.291:                              ;   in Loop: Header=BB175_254 Depth=1
	v_and_b32_e32 v5, 7, v51
	v_lshrrev_b32_e32 v11, 3, v13
	s_mov_b32 s17, exec_lo
	v_cmpx_gt_u32_e32 8, v13
; %bb.292:                              ;   in Loop: Header=BB175_254 Depth=1
	v_ffbh_u32_e32 v11, v5
	v_min_u32_e32 v11, 32, v11
	v_subrev_nc_u32_e32 v13, 28, v11
	v_sub_nc_u32_e32 v11, 29, v11
	v_lshlrev_b64 v[17:18], v13, v[5:6]
	v_and_b32_e32 v5, 7, v17
; %bb.293:                              ;   in Loop: Header=BB175_254 Depth=1
	s_or_b32 exec_lo, exec_lo, s17
	v_lshlrev_b32_e32 v13, 24, v51
	v_lshlrev_b32_e32 v5, 20, v5
	v_lshl_add_u32 v11, v11, 23, 0x3c000000
	v_and_b32_e32 v13, 0x80000000, v13
	v_or3_b32 v5, v5, v13, v11
	v_mov_b32_e32 v18, v6
	v_mov_b32_e32 v17, v5
.LBB175_294:                            ;   in Loop: Header=BB175_254 Depth=1
	s_or_b32 exec_lo, exec_lo, s16
.LBB175_295:                            ;   in Loop: Header=BB175_254 Depth=1
	s_or_b32 exec_lo, exec_lo, s15
.LBB175_296:                            ;   in Loop: Header=BB175_254 Depth=1
	s_or_b32 exec_lo, exec_lo, s14
	v_cmp_ne_u16_sdwa s0, v51, v6 src0_sel:BYTE_1 src1_sel:DWORD
	s_and_saveexec_b32 s14, s0
	s_cbranch_execz .LBB175_304
; %bb.297:                              ;   in Loop: Header=BB175_254 Depth=1
	v_mov_b32_e32 v11, v6
	v_mov_b32_e32 v20, v12
	v_cmp_ne_u16_sdwa s0, v51, v38 src0_sel:BYTE_1 src1_sel:DWORD
	v_mov_b32_e32 v19, v11
	s_and_saveexec_b32 s15, s0
	s_cbranch_execz .LBB175_303
; %bb.298:                              ;   in Loop: Header=BB175_254 Depth=1
	v_and_b32_sdwa v5, v39, v51 dst_sel:DWORD dst_unused:UNUSED_PAD src0_sel:DWORD src1_sel:BYTE_1
	v_mov_b32_e32 v13, v6
	v_mov_b32_e32 v20, v14
	s_mov_b32 s16, exec_lo
	v_and_b32_e32 v21, 0x7f, v5
	v_mov_b32_e32 v19, v13
	v_cmpx_ne_u32_e32 0x7f, v21
	s_cbranch_execz .LBB175_302
; %bb.299:                              ;   in Loop: Header=BB175_254 Depth=1
	v_and_b32_e32 v5, 7, v5
	v_lshrrev_b32_e32 v11, 3, v21
	s_mov_b32 s17, exec_lo
	v_cmpx_gt_u32_e32 8, v21
; %bb.300:                              ;   in Loop: Header=BB175_254 Depth=1
	v_ffbh_u32_e32 v11, v5
	v_min_u32_e32 v11, 32, v11
	v_subrev_nc_u32_e32 v13, 28, v11
	v_sub_nc_u32_e32 v11, 29, v11
	v_lshlrev_b64 v[19:20], v13, v[5:6]
	v_and_b32_e32 v5, 7, v19
; %bb.301:                              ;   in Loop: Header=BB175_254 Depth=1
	s_or_b32 exec_lo, exec_lo, s17
	v_lshlrev_b32_e32 v13, 16, v51
	v_lshlrev_b32_e32 v5, 20, v5
	v_lshl_add_u32 v11, v11, 23, 0x3c000000
	v_mov_b32_e32 v19, v6
	v_and_b32_e32 v13, 0x80000000, v13
	v_or3_b32 v20, v5, v13, v11
.LBB175_302:                            ;   in Loop: Header=BB175_254 Depth=1
	s_or_b32 exec_lo, exec_lo, s16
.LBB175_303:                            ;   in Loop: Header=BB175_254 Depth=1
	s_or_b32 exec_lo, exec_lo, s15
.LBB175_304:                            ;   in Loop: Header=BB175_254 Depth=1
	s_or_b32 exec_lo, exec_lo, s14
	v_mov_b32_e32 v23, 0
	v_mov_b32_e32 v21, 0
	v_and_b32_sdwa v5, v51, v40 dst_sel:DWORD dst_unused:UNUSED_PAD src0_sel:WORD_1 src1_sel:DWORD
	v_mov_b32_e32 v24, 0
	v_mov_b32_e32 v22, 0
	s_mov_b32 s14, exec_lo
	v_cmpx_ne_u16_e32 0, v5
	s_cbranch_execz .LBB175_312
; %bb.305:                              ;   in Loop: Header=BB175_254 Depth=1
	v_bfrev_b32_e32 v21, 1
	v_mov_b32_e32 v22, 0
	s_mov_b32 s15, exec_lo
	v_cmpx_ne_u16_e32 0x80, v5
	s_cbranch_execz .LBB175_311
; %bb.306:                              ;   in Loop: Header=BB175_254 Depth=1
	v_mov_b32_e32 v21, 0x7f800001
	v_bfe_u32 v13, v51, 16, 7
	v_mov_b32_e32 v22, 0
	s_mov_b32 s16, exec_lo
	v_cmpx_ne_u32_e32 0x7f, v13
	s_cbranch_execz .LBB175_310
; %bb.307:                              ;   in Loop: Header=BB175_254 Depth=1
	v_and_b32_sdwa v5, v51, v41 dst_sel:DWORD dst_unused:UNUSED_PAD src0_sel:WORD_1 src1_sel:DWORD
	v_lshrrev_b32_e32 v11, 3, v13
	s_mov_b32 s17, exec_lo
	v_cmpx_gt_u32_e32 8, v13
; %bb.308:                              ;   in Loop: Header=BB175_254 Depth=1
	v_ffbh_u32_e32 v11, v5
	v_min_u32_e32 v11, 32, v11
	v_subrev_nc_u32_e32 v13, 28, v11
	v_sub_nc_u32_e32 v11, 29, v11
	v_lshlrev_b64 v[21:22], v13, v[5:6]
	v_and_b32_e32 v5, 7, v21
; %bb.309:                              ;   in Loop: Header=BB175_254 Depth=1
	s_or_b32 exec_lo, exec_lo, s17
	v_lshlrev_b32_sdwa v13, v42, v51 dst_sel:DWORD dst_unused:UNUSED_PAD src0_sel:DWORD src1_sel:WORD_1
	v_lshlrev_b32_e32 v5, 20, v5
	v_lshl_add_u32 v11, v11, 23, 0x3c000000
	v_and_b32_e32 v13, 0x80000000, v13
	v_or3_b32 v5, v5, v13, v11
	v_mov_b32_e32 v22, v6
	v_mov_b32_e32 v21, v5
.LBB175_310:                            ;   in Loop: Header=BB175_254 Depth=1
	s_or_b32 exec_lo, exec_lo, s16
.LBB175_311:                            ;   in Loop: Header=BB175_254 Depth=1
	s_or_b32 exec_lo, exec_lo, s15
.LBB175_312:                            ;   in Loop: Header=BB175_254 Depth=1
	s_or_b32 exec_lo, exec_lo, s14
	s_mov_b32 s14, exec_lo
	v_cmpx_lt_u32_e32 0xffffff, v51
	s_cbranch_execz .LBB175_320
; %bb.313:                              ;   in Loop: Header=BB175_254 Depth=1
	v_mov_b32_e32 v11, v6
	v_mov_b32_e32 v24, v12
	v_cmp_ne_u32_sdwa s0, v51, v38 src0_sel:BYTE_3 src1_sel:DWORD
	v_mov_b32_e32 v23, v11
	s_and_saveexec_b32 s15, s0
	s_cbranch_execz .LBB175_319
; %bb.314:                              ;   in Loop: Header=BB175_254 Depth=1
	v_mov_b32_e32 v13, v6
	v_mov_b32_e32 v24, v14
	v_bfe_u32 v52, v51, 24, 7
	s_mov_b32 s16, exec_lo
	v_mov_b32_e32 v23, v13
	v_cmpx_ne_u32_e32 0x7f, v52
	s_cbranch_execz .LBB175_318
; %bb.315:                              ;   in Loop: Header=BB175_254 Depth=1
	v_and_b32_sdwa v5, v51, v41 dst_sel:DWORD dst_unused:UNUSED_PAD src0_sel:BYTE_3 src1_sel:DWORD
	v_lshrrev_b32_e32 v11, 3, v52
	s_mov_b32 s17, exec_lo
	v_cmpx_gt_u32_e32 8, v52
; %bb.316:                              ;   in Loop: Header=BB175_254 Depth=1
	v_ffbh_u32_e32 v11, v5
	v_min_u32_e32 v11, 32, v11
	v_subrev_nc_u32_e32 v13, 28, v11
	v_sub_nc_u32_e32 v11, 29, v11
	v_lshlrev_b64 v[23:24], v13, v[5:6]
	v_and_b32_e32 v5, 7, v23
; %bb.317:                              ;   in Loop: Header=BB175_254 Depth=1
	s_or_b32 exec_lo, exec_lo, s17
	v_lshlrev_b32_sdwa v13, v42, v51 dst_sel:DWORD dst_unused:UNUSED_PAD src0_sel:DWORD src1_sel:BYTE_3
	v_lshlrev_b32_e32 v5, 20, v5
	v_lshl_add_u32 v11, v11, 23, 0x3c000000
	v_mov_b32_e32 v23, v6
	v_and_b32_e32 v13, 0x80000000, v13
	v_or3_b32 v24, v5, v13, v11
.LBB175_318:                            ;   in Loop: Header=BB175_254 Depth=1
	s_or_b32 exec_lo, exec_lo, s16
.LBB175_319:                            ;   in Loop: Header=BB175_254 Depth=1
	s_or_b32 exec_lo, exec_lo, s15
.LBB175_320:                            ;   in Loop: Header=BB175_254 Depth=1
	s_or_b32 exec_lo, exec_lo, s14
	v_or_b32_e32 v5, v20, v18
	v_or_b32_e32 v11, v19, v17
	;; [unrolled: 1-line block ×4, first 2 shown]
	v_mul_f32_e32 v53, s13, v5
	v_mul_f32_e32 v54, s2, v11
	;; [unrolled: 1-line block ×4, first 2 shown]
	s_and_saveexec_b32 s14, vcc_lo
	s_cbranch_execz .LBB175_322
; %bb.321:                              ;   in Loop: Header=BB175_254 Depth=1
	v_cmp_gt_i32_e64 s0, s11, v48
	v_cndmask_b32_e64 v54, 0, v54, s0
	v_cmp_gt_i32_e64 s0, s11, v50
	v_cndmask_b32_e64 v53, 0, v53, s0
	;; [unrolled: 2-line block ×4, first 2 shown]
.LBB175_322:                            ;   in Loop: Header=BB175_254 Depth=1
	s_or_b32 exec_lo, exec_lo, s14
	global_load_dword v55, v[15:16], off offset:256
	v_mov_b32_e32 v19, 0
	v_mov_b32_e32 v17, 0
	;; [unrolled: 1-line block ×4, first 2 shown]
	s_waitcnt vmcnt(0)
	v_cmp_ne_u16_sdwa s0, v55, v6 src0_sel:BYTE_0 src1_sel:DWORD
	s_and_saveexec_b32 s14, s0
	s_cbranch_execz .LBB175_330
; %bb.323:                              ;   in Loop: Header=BB175_254 Depth=1
	v_bfrev_b32_e32 v17, 1
	v_mov_b32_e32 v18, 0
	v_cmp_ne_u16_sdwa s0, v55, v38 src0_sel:BYTE_0 src1_sel:DWORD
	s_and_saveexec_b32 s15, s0
	s_cbranch_execz .LBB175_329
; %bb.324:                              ;   in Loop: Header=BB175_254 Depth=1
	v_mov_b32_e32 v17, 0x7f800001
	v_and_b32_e32 v13, 0x7f, v55
	v_mov_b32_e32 v18, 0
	s_mov_b32 s16, exec_lo
	v_cmpx_ne_u32_e32 0x7f, v13
	s_cbranch_execz .LBB175_328
; %bb.325:                              ;   in Loop: Header=BB175_254 Depth=1
	v_and_b32_e32 v5, 7, v55
	v_lshrrev_b32_e32 v11, 3, v13
	s_mov_b32 s17, exec_lo
	v_cmpx_gt_u32_e32 8, v13
; %bb.326:                              ;   in Loop: Header=BB175_254 Depth=1
	v_ffbh_u32_e32 v11, v5
	v_min_u32_e32 v11, 32, v11
	v_subrev_nc_u32_e32 v13, 28, v11
	v_sub_nc_u32_e32 v11, 29, v11
	v_lshlrev_b64 v[17:18], v13, v[5:6]
	v_and_b32_e32 v5, 7, v17
; %bb.327:                              ;   in Loop: Header=BB175_254 Depth=1
	s_or_b32 exec_lo, exec_lo, s17
	v_lshlrev_b32_e32 v13, 24, v55
	v_lshlrev_b32_e32 v5, 20, v5
	v_lshl_add_u32 v11, v11, 23, 0x3c000000
	v_and_b32_e32 v13, 0x80000000, v13
	v_or3_b32 v5, v5, v13, v11
	v_mov_b32_e32 v18, v6
	v_mov_b32_e32 v17, v5
.LBB175_328:                            ;   in Loop: Header=BB175_254 Depth=1
	s_or_b32 exec_lo, exec_lo, s16
.LBB175_329:                            ;   in Loop: Header=BB175_254 Depth=1
	s_or_b32 exec_lo, exec_lo, s15
.LBB175_330:                            ;   in Loop: Header=BB175_254 Depth=1
	s_or_b32 exec_lo, exec_lo, s14
	v_cmp_ne_u16_sdwa s0, v55, v6 src0_sel:BYTE_1 src1_sel:DWORD
	s_and_saveexec_b32 s14, s0
	s_cbranch_execz .LBB175_338
; %bb.331:                              ;   in Loop: Header=BB175_254 Depth=1
	v_mov_b32_e32 v11, v6
	v_mov_b32_e32 v20, v12
	v_cmp_ne_u16_sdwa s0, v55, v38 src0_sel:BYTE_1 src1_sel:DWORD
	v_mov_b32_e32 v19, v11
	s_and_saveexec_b32 s15, s0
	s_cbranch_execz .LBB175_337
; %bb.332:                              ;   in Loop: Header=BB175_254 Depth=1
	v_and_b32_sdwa v5, v39, v55 dst_sel:DWORD dst_unused:UNUSED_PAD src0_sel:DWORD src1_sel:BYTE_1
	v_mov_b32_e32 v13, v6
	v_mov_b32_e32 v20, v14
	s_mov_b32 s16, exec_lo
	v_and_b32_e32 v21, 0x7f, v5
	v_mov_b32_e32 v19, v13
	v_cmpx_ne_u32_e32 0x7f, v21
	s_cbranch_execz .LBB175_336
; %bb.333:                              ;   in Loop: Header=BB175_254 Depth=1
	v_and_b32_e32 v5, 7, v5
	v_lshrrev_b32_e32 v11, 3, v21
	s_mov_b32 s17, exec_lo
	v_cmpx_gt_u32_e32 8, v21
; %bb.334:                              ;   in Loop: Header=BB175_254 Depth=1
	v_ffbh_u32_e32 v11, v5
	v_min_u32_e32 v11, 32, v11
	v_subrev_nc_u32_e32 v13, 28, v11
	v_sub_nc_u32_e32 v11, 29, v11
	v_lshlrev_b64 v[19:20], v13, v[5:6]
	v_and_b32_e32 v5, 7, v19
; %bb.335:                              ;   in Loop: Header=BB175_254 Depth=1
	s_or_b32 exec_lo, exec_lo, s17
	v_lshlrev_b32_e32 v13, 16, v55
	v_lshlrev_b32_e32 v5, 20, v5
	v_lshl_add_u32 v11, v11, 23, 0x3c000000
	v_mov_b32_e32 v19, v6
	v_and_b32_e32 v13, 0x80000000, v13
	v_or3_b32 v20, v5, v13, v11
.LBB175_336:                            ;   in Loop: Header=BB175_254 Depth=1
	s_or_b32 exec_lo, exec_lo, s16
.LBB175_337:                            ;   in Loop: Header=BB175_254 Depth=1
	s_or_b32 exec_lo, exec_lo, s15
.LBB175_338:                            ;   in Loop: Header=BB175_254 Depth=1
	s_or_b32 exec_lo, exec_lo, s14
	v_mov_b32_e32 v23, 0
	v_mov_b32_e32 v21, 0
	v_and_b32_sdwa v5, v55, v40 dst_sel:DWORD dst_unused:UNUSED_PAD src0_sel:WORD_1 src1_sel:DWORD
	v_mov_b32_e32 v24, 0
	v_mov_b32_e32 v22, 0
	s_mov_b32 s14, exec_lo
	v_cmpx_ne_u16_e32 0, v5
	s_cbranch_execz .LBB175_346
; %bb.339:                              ;   in Loop: Header=BB175_254 Depth=1
	v_bfrev_b32_e32 v21, 1
	v_mov_b32_e32 v22, 0
	s_mov_b32 s15, exec_lo
	v_cmpx_ne_u16_e32 0x80, v5
	s_cbranch_execz .LBB175_345
; %bb.340:                              ;   in Loop: Header=BB175_254 Depth=1
	v_mov_b32_e32 v21, 0x7f800001
	v_bfe_u32 v13, v55, 16, 7
	v_mov_b32_e32 v22, 0
	s_mov_b32 s16, exec_lo
	v_cmpx_ne_u32_e32 0x7f, v13
	s_cbranch_execz .LBB175_344
; %bb.341:                              ;   in Loop: Header=BB175_254 Depth=1
	v_and_b32_sdwa v5, v55, v41 dst_sel:DWORD dst_unused:UNUSED_PAD src0_sel:WORD_1 src1_sel:DWORD
	v_lshrrev_b32_e32 v11, 3, v13
	s_mov_b32 s17, exec_lo
	v_cmpx_gt_u32_e32 8, v13
; %bb.342:                              ;   in Loop: Header=BB175_254 Depth=1
	v_ffbh_u32_e32 v11, v5
	v_min_u32_e32 v11, 32, v11
	v_subrev_nc_u32_e32 v13, 28, v11
	v_sub_nc_u32_e32 v11, 29, v11
	v_lshlrev_b64 v[21:22], v13, v[5:6]
	v_and_b32_e32 v5, 7, v21
; %bb.343:                              ;   in Loop: Header=BB175_254 Depth=1
	s_or_b32 exec_lo, exec_lo, s17
	v_lshlrev_b32_sdwa v13, v42, v55 dst_sel:DWORD dst_unused:UNUSED_PAD src0_sel:DWORD src1_sel:WORD_1
	v_lshlrev_b32_e32 v5, 20, v5
	v_lshl_add_u32 v11, v11, 23, 0x3c000000
	v_and_b32_e32 v13, 0x80000000, v13
	v_or3_b32 v5, v5, v13, v11
	v_mov_b32_e32 v22, v6
	v_mov_b32_e32 v21, v5
.LBB175_344:                            ;   in Loop: Header=BB175_254 Depth=1
	s_or_b32 exec_lo, exec_lo, s16
.LBB175_345:                            ;   in Loop: Header=BB175_254 Depth=1
	s_or_b32 exec_lo, exec_lo, s15
.LBB175_346:                            ;   in Loop: Header=BB175_254 Depth=1
	s_or_b32 exec_lo, exec_lo, s14
	s_mov_b32 s14, exec_lo
	v_cmpx_lt_u32_e32 0xffffff, v55
	s_cbranch_execz .LBB175_354
; %bb.347:                              ;   in Loop: Header=BB175_254 Depth=1
	v_mov_b32_e32 v11, v6
	v_mov_b32_e32 v24, v12
	v_cmp_ne_u32_sdwa s0, v55, v38 src0_sel:BYTE_3 src1_sel:DWORD
	v_mov_b32_e32 v23, v11
	s_and_saveexec_b32 s15, s0
	s_cbranch_execz .LBB175_353
; %bb.348:                              ;   in Loop: Header=BB175_254 Depth=1
	v_mov_b32_e32 v13, v6
	v_mov_b32_e32 v24, v14
	v_bfe_u32 v56, v55, 24, 7
	s_mov_b32 s16, exec_lo
	v_mov_b32_e32 v23, v13
	v_cmpx_ne_u32_e32 0x7f, v56
	s_cbranch_execz .LBB175_352
; %bb.349:                              ;   in Loop: Header=BB175_254 Depth=1
	v_and_b32_sdwa v5, v55, v41 dst_sel:DWORD dst_unused:UNUSED_PAD src0_sel:BYTE_3 src1_sel:DWORD
	v_lshrrev_b32_e32 v11, 3, v56
	s_mov_b32 s17, exec_lo
	v_cmpx_gt_u32_e32 8, v56
; %bb.350:                              ;   in Loop: Header=BB175_254 Depth=1
	v_ffbh_u32_e32 v11, v5
	v_min_u32_e32 v11, 32, v11
	v_subrev_nc_u32_e32 v13, 28, v11
	v_sub_nc_u32_e32 v11, 29, v11
	v_lshlrev_b64 v[23:24], v13, v[5:6]
	v_and_b32_e32 v5, 7, v23
; %bb.351:                              ;   in Loop: Header=BB175_254 Depth=1
	s_or_b32 exec_lo, exec_lo, s17
	v_lshlrev_b32_sdwa v13, v42, v55 dst_sel:DWORD dst_unused:UNUSED_PAD src0_sel:DWORD src1_sel:BYTE_3
	v_lshlrev_b32_e32 v5, 20, v5
	v_lshl_add_u32 v11, v11, 23, 0x3c000000
	v_mov_b32_e32 v23, v6
	v_and_b32_e32 v13, 0x80000000, v13
	v_or3_b32 v24, v5, v13, v11
.LBB175_352:                            ;   in Loop: Header=BB175_254 Depth=1
	s_or_b32 exec_lo, exec_lo, s16
.LBB175_353:                            ;   in Loop: Header=BB175_254 Depth=1
	s_or_b32 exec_lo, exec_lo, s15
.LBB175_354:                            ;   in Loop: Header=BB175_254 Depth=1
	s_or_b32 exec_lo, exec_lo, s14
	v_or_b32_e32 v5, v20, v18
	v_or_b32_e32 v11, v19, v17
	v_or_b32_e32 v13, v23, v21
	v_or_b32_e32 v17, v24, v22
	v_mul_f32_e32 v57, s13, v5
	v_mul_f32_e32 v58, s2, v11
	;; [unrolled: 1-line block ×4, first 2 shown]
	s_and_saveexec_b32 s14, vcc_lo
	s_cbranch_execz .LBB175_356
; %bb.355:                              ;   in Loop: Header=BB175_254 Depth=1
	v_cmp_gt_i32_e64 s0, s11, v48
	v_cndmask_b32_e64 v58, 0, v58, s0
	v_cmp_gt_i32_e64 s0, s11, v50
	v_cndmask_b32_e64 v57, 0, v57, s0
	;; [unrolled: 2-line block ×4, first 2 shown]
.LBB175_356:                            ;   in Loop: Header=BB175_254 Depth=1
	s_or_b32 exec_lo, exec_lo, s14
	global_load_dword v59, v[15:16], off offset:384
	v_mov_b32_e32 v19, 0
	v_mov_b32_e32 v17, 0
	;; [unrolled: 1-line block ×4, first 2 shown]
	s_waitcnt vmcnt(0)
	v_cmp_ne_u16_sdwa s0, v59, v6 src0_sel:BYTE_0 src1_sel:DWORD
	s_and_saveexec_b32 s14, s0
	s_cbranch_execz .LBB175_364
; %bb.357:                              ;   in Loop: Header=BB175_254 Depth=1
	v_bfrev_b32_e32 v17, 1
	v_mov_b32_e32 v18, 0
	v_cmp_ne_u16_sdwa s0, v59, v38 src0_sel:BYTE_0 src1_sel:DWORD
	s_and_saveexec_b32 s15, s0
	s_cbranch_execz .LBB175_363
; %bb.358:                              ;   in Loop: Header=BB175_254 Depth=1
	v_mov_b32_e32 v17, 0x7f800001
	v_and_b32_e32 v13, 0x7f, v59
	v_mov_b32_e32 v18, 0
	s_mov_b32 s16, exec_lo
	v_cmpx_ne_u32_e32 0x7f, v13
	s_cbranch_execz .LBB175_362
; %bb.359:                              ;   in Loop: Header=BB175_254 Depth=1
	v_and_b32_e32 v5, 7, v59
	v_lshrrev_b32_e32 v11, 3, v13
	s_mov_b32 s17, exec_lo
	v_cmpx_gt_u32_e32 8, v13
; %bb.360:                              ;   in Loop: Header=BB175_254 Depth=1
	v_ffbh_u32_e32 v11, v5
	v_min_u32_e32 v11, 32, v11
	v_subrev_nc_u32_e32 v13, 28, v11
	v_sub_nc_u32_e32 v11, 29, v11
	v_lshlrev_b64 v[17:18], v13, v[5:6]
	v_and_b32_e32 v5, 7, v17
; %bb.361:                              ;   in Loop: Header=BB175_254 Depth=1
	s_or_b32 exec_lo, exec_lo, s17
	v_lshlrev_b32_e32 v13, 24, v59
	v_lshlrev_b32_e32 v5, 20, v5
	v_lshl_add_u32 v11, v11, 23, 0x3c000000
	v_and_b32_e32 v13, 0x80000000, v13
	v_or3_b32 v5, v5, v13, v11
	v_mov_b32_e32 v18, v6
	v_mov_b32_e32 v17, v5
.LBB175_362:                            ;   in Loop: Header=BB175_254 Depth=1
	s_or_b32 exec_lo, exec_lo, s16
.LBB175_363:                            ;   in Loop: Header=BB175_254 Depth=1
	s_or_b32 exec_lo, exec_lo, s15
.LBB175_364:                            ;   in Loop: Header=BB175_254 Depth=1
	s_or_b32 exec_lo, exec_lo, s14
	v_cmp_ne_u16_sdwa s0, v59, v6 src0_sel:BYTE_1 src1_sel:DWORD
	s_and_saveexec_b32 s14, s0
	s_cbranch_execz .LBB175_372
; %bb.365:                              ;   in Loop: Header=BB175_254 Depth=1
	v_mov_b32_e32 v11, v6
	v_mov_b32_e32 v20, v12
	v_cmp_ne_u16_sdwa s0, v59, v38 src0_sel:BYTE_1 src1_sel:DWORD
	v_mov_b32_e32 v19, v11
	s_and_saveexec_b32 s15, s0
	s_cbranch_execz .LBB175_371
; %bb.366:                              ;   in Loop: Header=BB175_254 Depth=1
	v_and_b32_sdwa v5, v39, v59 dst_sel:DWORD dst_unused:UNUSED_PAD src0_sel:DWORD src1_sel:BYTE_1
	v_mov_b32_e32 v13, v6
	v_mov_b32_e32 v20, v14
	s_mov_b32 s16, exec_lo
	v_and_b32_e32 v21, 0x7f, v5
	v_mov_b32_e32 v19, v13
	v_cmpx_ne_u32_e32 0x7f, v21
	s_cbranch_execz .LBB175_370
; %bb.367:                              ;   in Loop: Header=BB175_254 Depth=1
	v_and_b32_e32 v5, 7, v5
	v_lshrrev_b32_e32 v11, 3, v21
	s_mov_b32 s17, exec_lo
	v_cmpx_gt_u32_e32 8, v21
; %bb.368:                              ;   in Loop: Header=BB175_254 Depth=1
	v_ffbh_u32_e32 v11, v5
	v_min_u32_e32 v11, 32, v11
	v_subrev_nc_u32_e32 v13, 28, v11
	v_sub_nc_u32_e32 v11, 29, v11
	v_lshlrev_b64 v[19:20], v13, v[5:6]
	v_and_b32_e32 v5, 7, v19
; %bb.369:                              ;   in Loop: Header=BB175_254 Depth=1
	s_or_b32 exec_lo, exec_lo, s17
	v_lshlrev_b32_e32 v13, 16, v59
	v_lshlrev_b32_e32 v5, 20, v5
	v_lshl_add_u32 v11, v11, 23, 0x3c000000
	v_mov_b32_e32 v19, v6
	v_and_b32_e32 v13, 0x80000000, v13
	v_or3_b32 v20, v5, v13, v11
.LBB175_370:                            ;   in Loop: Header=BB175_254 Depth=1
	s_or_b32 exec_lo, exec_lo, s16
.LBB175_371:                            ;   in Loop: Header=BB175_254 Depth=1
	s_or_b32 exec_lo, exec_lo, s15
.LBB175_372:                            ;   in Loop: Header=BB175_254 Depth=1
	s_or_b32 exec_lo, exec_lo, s14
	v_mov_b32_e32 v23, 0
	v_mov_b32_e32 v21, 0
	v_and_b32_sdwa v5, v59, v40 dst_sel:DWORD dst_unused:UNUSED_PAD src0_sel:WORD_1 src1_sel:DWORD
	v_mov_b32_e32 v24, 0
	v_mov_b32_e32 v22, 0
	s_mov_b32 s14, exec_lo
	v_cmpx_ne_u16_e32 0, v5
	s_cbranch_execz .LBB175_380
; %bb.373:                              ;   in Loop: Header=BB175_254 Depth=1
	v_bfrev_b32_e32 v21, 1
	v_mov_b32_e32 v22, 0
	s_mov_b32 s15, exec_lo
	v_cmpx_ne_u16_e32 0x80, v5
	s_cbranch_execz .LBB175_379
; %bb.374:                              ;   in Loop: Header=BB175_254 Depth=1
	v_mov_b32_e32 v21, 0x7f800001
	v_bfe_u32 v13, v59, 16, 7
	v_mov_b32_e32 v22, 0
	s_mov_b32 s16, exec_lo
	v_cmpx_ne_u32_e32 0x7f, v13
	s_cbranch_execz .LBB175_378
; %bb.375:                              ;   in Loop: Header=BB175_254 Depth=1
	v_and_b32_sdwa v5, v59, v41 dst_sel:DWORD dst_unused:UNUSED_PAD src0_sel:WORD_1 src1_sel:DWORD
	v_lshrrev_b32_e32 v11, 3, v13
	s_mov_b32 s17, exec_lo
	v_cmpx_gt_u32_e32 8, v13
; %bb.376:                              ;   in Loop: Header=BB175_254 Depth=1
	v_ffbh_u32_e32 v11, v5
	v_min_u32_e32 v11, 32, v11
	v_subrev_nc_u32_e32 v13, 28, v11
	v_sub_nc_u32_e32 v11, 29, v11
	v_lshlrev_b64 v[21:22], v13, v[5:6]
	v_and_b32_e32 v5, 7, v21
; %bb.377:                              ;   in Loop: Header=BB175_254 Depth=1
	s_or_b32 exec_lo, exec_lo, s17
	v_lshlrev_b32_sdwa v13, v42, v59 dst_sel:DWORD dst_unused:UNUSED_PAD src0_sel:DWORD src1_sel:WORD_1
	v_lshlrev_b32_e32 v5, 20, v5
	v_lshl_add_u32 v11, v11, 23, 0x3c000000
	v_and_b32_e32 v13, 0x80000000, v13
	v_or3_b32 v5, v5, v13, v11
	v_mov_b32_e32 v22, v6
	v_mov_b32_e32 v21, v5
.LBB175_378:                            ;   in Loop: Header=BB175_254 Depth=1
	s_or_b32 exec_lo, exec_lo, s16
.LBB175_379:                            ;   in Loop: Header=BB175_254 Depth=1
	s_or_b32 exec_lo, exec_lo, s15
.LBB175_380:                            ;   in Loop: Header=BB175_254 Depth=1
	s_or_b32 exec_lo, exec_lo, s14
	s_mov_b32 s14, exec_lo
	v_cmpx_lt_u32_e32 0xffffff, v59
	s_cbranch_execz .LBB175_388
; %bb.381:                              ;   in Loop: Header=BB175_254 Depth=1
	v_mov_b32_e32 v11, v6
	v_mov_b32_e32 v24, v12
	v_cmp_ne_u32_sdwa s0, v59, v38 src0_sel:BYTE_3 src1_sel:DWORD
	v_mov_b32_e32 v23, v11
	s_and_saveexec_b32 s15, s0
	s_cbranch_execz .LBB175_387
; %bb.382:                              ;   in Loop: Header=BB175_254 Depth=1
	v_mov_b32_e32 v13, v6
	v_mov_b32_e32 v24, v14
	v_bfe_u32 v60, v59, 24, 7
	s_mov_b32 s16, exec_lo
	v_mov_b32_e32 v23, v13
	v_cmpx_ne_u32_e32 0x7f, v60
	s_cbranch_execz .LBB175_386
; %bb.383:                              ;   in Loop: Header=BB175_254 Depth=1
	v_and_b32_sdwa v5, v59, v41 dst_sel:DWORD dst_unused:UNUSED_PAD src0_sel:BYTE_3 src1_sel:DWORD
	v_lshrrev_b32_e32 v11, 3, v60
	s_mov_b32 s17, exec_lo
	v_cmpx_gt_u32_e32 8, v60
; %bb.384:                              ;   in Loop: Header=BB175_254 Depth=1
	v_ffbh_u32_e32 v11, v5
	v_min_u32_e32 v11, 32, v11
	v_subrev_nc_u32_e32 v13, 28, v11
	v_sub_nc_u32_e32 v11, 29, v11
	v_lshlrev_b64 v[23:24], v13, v[5:6]
	v_and_b32_e32 v5, 7, v23
; %bb.385:                              ;   in Loop: Header=BB175_254 Depth=1
	s_or_b32 exec_lo, exec_lo, s17
	v_lshlrev_b32_sdwa v13, v42, v59 dst_sel:DWORD dst_unused:UNUSED_PAD src0_sel:DWORD src1_sel:BYTE_3
	v_lshlrev_b32_e32 v5, 20, v5
	v_lshl_add_u32 v11, v11, 23, 0x3c000000
	v_mov_b32_e32 v23, v6
	v_and_b32_e32 v13, 0x80000000, v13
	v_or3_b32 v24, v5, v13, v11
.LBB175_386:                            ;   in Loop: Header=BB175_254 Depth=1
	s_or_b32 exec_lo, exec_lo, s16
.LBB175_387:                            ;   in Loop: Header=BB175_254 Depth=1
	s_or_b32 exec_lo, exec_lo, s15
.LBB175_388:                            ;   in Loop: Header=BB175_254 Depth=1
	s_or_b32 exec_lo, exec_lo, s14
	v_or_b32_e32 v5, v20, v18
	v_or_b32_e32 v11, v19, v17
	v_or_b32_e32 v13, v23, v21
	v_or_b32_e32 v17, v24, v22
	v_mul_f32_e32 v61, s13, v5
	v_mul_f32_e32 v62, s2, v11
	v_mul_f32_e32 v60, s2, v13
	v_mul_f32_e32 v59, s13, v17
	s_and_saveexec_b32 s14, vcc_lo
	s_cbranch_execz .LBB175_390
; %bb.389:                              ;   in Loop: Header=BB175_254 Depth=1
	v_cmp_gt_i32_e64 s0, s11, v48
	v_cndmask_b32_e64 v62, 0, v62, s0
	v_cmp_gt_i32_e64 s0, s11, v50
	v_cndmask_b32_e64 v61, 0, v61, s0
	;; [unrolled: 2-line block ×4, first 2 shown]
.LBB175_390:                            ;   in Loop: Header=BB175_254 Depth=1
	s_or_b32 exec_lo, exec_lo, s14
	global_load_dword v63, v[15:16], off offset:512
	v_mov_b32_e32 v19, 0
	v_mov_b32_e32 v17, 0
	;; [unrolled: 1-line block ×4, first 2 shown]
	s_waitcnt vmcnt(0)
	v_cmp_ne_u16_sdwa s0, v63, v6 src0_sel:BYTE_0 src1_sel:DWORD
	s_and_saveexec_b32 s14, s0
	s_cbranch_execz .LBB175_398
; %bb.391:                              ;   in Loop: Header=BB175_254 Depth=1
	v_bfrev_b32_e32 v17, 1
	v_mov_b32_e32 v18, 0
	v_cmp_ne_u16_sdwa s0, v63, v38 src0_sel:BYTE_0 src1_sel:DWORD
	s_and_saveexec_b32 s15, s0
	s_cbranch_execz .LBB175_397
; %bb.392:                              ;   in Loop: Header=BB175_254 Depth=1
	v_mov_b32_e32 v17, 0x7f800001
	v_and_b32_e32 v13, 0x7f, v63
	v_mov_b32_e32 v18, 0
	s_mov_b32 s16, exec_lo
	v_cmpx_ne_u32_e32 0x7f, v13
	s_cbranch_execz .LBB175_396
; %bb.393:                              ;   in Loop: Header=BB175_254 Depth=1
	v_and_b32_e32 v5, 7, v63
	v_lshrrev_b32_e32 v11, 3, v13
	s_mov_b32 s17, exec_lo
	v_cmpx_gt_u32_e32 8, v13
; %bb.394:                              ;   in Loop: Header=BB175_254 Depth=1
	v_ffbh_u32_e32 v11, v5
	v_min_u32_e32 v11, 32, v11
	v_subrev_nc_u32_e32 v13, 28, v11
	v_sub_nc_u32_e32 v11, 29, v11
	v_lshlrev_b64 v[17:18], v13, v[5:6]
	v_and_b32_e32 v5, 7, v17
; %bb.395:                              ;   in Loop: Header=BB175_254 Depth=1
	s_or_b32 exec_lo, exec_lo, s17
	v_lshlrev_b32_e32 v13, 24, v63
	v_lshlrev_b32_e32 v5, 20, v5
	v_lshl_add_u32 v11, v11, 23, 0x3c000000
	v_and_b32_e32 v13, 0x80000000, v13
	v_or3_b32 v5, v5, v13, v11
	v_mov_b32_e32 v18, v6
	v_mov_b32_e32 v17, v5
.LBB175_396:                            ;   in Loop: Header=BB175_254 Depth=1
	s_or_b32 exec_lo, exec_lo, s16
.LBB175_397:                            ;   in Loop: Header=BB175_254 Depth=1
	s_or_b32 exec_lo, exec_lo, s15
.LBB175_398:                            ;   in Loop: Header=BB175_254 Depth=1
	s_or_b32 exec_lo, exec_lo, s14
	v_cmp_ne_u16_sdwa s0, v63, v6 src0_sel:BYTE_1 src1_sel:DWORD
	s_and_saveexec_b32 s14, s0
	s_cbranch_execz .LBB175_406
; %bb.399:                              ;   in Loop: Header=BB175_254 Depth=1
	v_mov_b32_e32 v11, v6
	v_mov_b32_e32 v20, v12
	v_cmp_ne_u16_sdwa s0, v63, v38 src0_sel:BYTE_1 src1_sel:DWORD
	v_mov_b32_e32 v19, v11
	s_and_saveexec_b32 s15, s0
	s_cbranch_execz .LBB175_405
; %bb.400:                              ;   in Loop: Header=BB175_254 Depth=1
	v_and_b32_sdwa v5, v39, v63 dst_sel:DWORD dst_unused:UNUSED_PAD src0_sel:DWORD src1_sel:BYTE_1
	v_mov_b32_e32 v13, v6
	v_mov_b32_e32 v20, v14
	s_mov_b32 s16, exec_lo
	v_and_b32_e32 v21, 0x7f, v5
	v_mov_b32_e32 v19, v13
	v_cmpx_ne_u32_e32 0x7f, v21
	s_cbranch_execz .LBB175_404
; %bb.401:                              ;   in Loop: Header=BB175_254 Depth=1
	v_and_b32_e32 v5, 7, v5
	v_lshrrev_b32_e32 v11, 3, v21
	s_mov_b32 s17, exec_lo
	v_cmpx_gt_u32_e32 8, v21
; %bb.402:                              ;   in Loop: Header=BB175_254 Depth=1
	v_ffbh_u32_e32 v11, v5
	v_min_u32_e32 v11, 32, v11
	v_subrev_nc_u32_e32 v13, 28, v11
	v_sub_nc_u32_e32 v11, 29, v11
	v_lshlrev_b64 v[19:20], v13, v[5:6]
	v_and_b32_e32 v5, 7, v19
; %bb.403:                              ;   in Loop: Header=BB175_254 Depth=1
	s_or_b32 exec_lo, exec_lo, s17
	v_lshlrev_b32_e32 v13, 16, v63
	v_lshlrev_b32_e32 v5, 20, v5
	v_lshl_add_u32 v11, v11, 23, 0x3c000000
	v_mov_b32_e32 v19, v6
	v_and_b32_e32 v13, 0x80000000, v13
	v_or3_b32 v20, v5, v13, v11
.LBB175_404:                            ;   in Loop: Header=BB175_254 Depth=1
	s_or_b32 exec_lo, exec_lo, s16
.LBB175_405:                            ;   in Loop: Header=BB175_254 Depth=1
	s_or_b32 exec_lo, exec_lo, s15
.LBB175_406:                            ;   in Loop: Header=BB175_254 Depth=1
	s_or_b32 exec_lo, exec_lo, s14
	v_mov_b32_e32 v23, 0
	v_mov_b32_e32 v21, 0
	v_and_b32_sdwa v5, v63, v40 dst_sel:DWORD dst_unused:UNUSED_PAD src0_sel:WORD_1 src1_sel:DWORD
	v_mov_b32_e32 v24, 0
	v_mov_b32_e32 v22, 0
	s_mov_b32 s14, exec_lo
	v_cmpx_ne_u16_e32 0, v5
	s_cbranch_execz .LBB175_414
; %bb.407:                              ;   in Loop: Header=BB175_254 Depth=1
	v_bfrev_b32_e32 v21, 1
	v_mov_b32_e32 v22, 0
	s_mov_b32 s15, exec_lo
	v_cmpx_ne_u16_e32 0x80, v5
	s_cbranch_execz .LBB175_413
; %bb.408:                              ;   in Loop: Header=BB175_254 Depth=1
	v_mov_b32_e32 v21, 0x7f800001
	v_bfe_u32 v13, v63, 16, 7
	v_mov_b32_e32 v22, 0
	s_mov_b32 s16, exec_lo
	v_cmpx_ne_u32_e32 0x7f, v13
	s_cbranch_execz .LBB175_412
; %bb.409:                              ;   in Loop: Header=BB175_254 Depth=1
	v_and_b32_sdwa v5, v63, v41 dst_sel:DWORD dst_unused:UNUSED_PAD src0_sel:WORD_1 src1_sel:DWORD
	v_lshrrev_b32_e32 v11, 3, v13
	s_mov_b32 s17, exec_lo
	v_cmpx_gt_u32_e32 8, v13
; %bb.410:                              ;   in Loop: Header=BB175_254 Depth=1
	v_ffbh_u32_e32 v11, v5
	v_min_u32_e32 v11, 32, v11
	v_subrev_nc_u32_e32 v13, 28, v11
	v_sub_nc_u32_e32 v11, 29, v11
	v_lshlrev_b64 v[21:22], v13, v[5:6]
	v_and_b32_e32 v5, 7, v21
; %bb.411:                              ;   in Loop: Header=BB175_254 Depth=1
	s_or_b32 exec_lo, exec_lo, s17
	v_lshlrev_b32_sdwa v13, v42, v63 dst_sel:DWORD dst_unused:UNUSED_PAD src0_sel:DWORD src1_sel:WORD_1
	v_lshlrev_b32_e32 v5, 20, v5
	v_lshl_add_u32 v11, v11, 23, 0x3c000000
	v_and_b32_e32 v13, 0x80000000, v13
	v_or3_b32 v5, v5, v13, v11
	v_mov_b32_e32 v22, v6
	v_mov_b32_e32 v21, v5
.LBB175_412:                            ;   in Loop: Header=BB175_254 Depth=1
	s_or_b32 exec_lo, exec_lo, s16
.LBB175_413:                            ;   in Loop: Header=BB175_254 Depth=1
	s_or_b32 exec_lo, exec_lo, s15
.LBB175_414:                            ;   in Loop: Header=BB175_254 Depth=1
	s_or_b32 exec_lo, exec_lo, s14
	s_mov_b32 s14, exec_lo
	v_cmpx_lt_u32_e32 0xffffff, v63
	s_cbranch_execz .LBB175_422
; %bb.415:                              ;   in Loop: Header=BB175_254 Depth=1
	v_mov_b32_e32 v11, v6
	v_mov_b32_e32 v24, v12
	v_cmp_ne_u32_sdwa s0, v63, v38 src0_sel:BYTE_3 src1_sel:DWORD
	v_mov_b32_e32 v23, v11
	s_and_saveexec_b32 s15, s0
	s_cbranch_execz .LBB175_421
; %bb.416:                              ;   in Loop: Header=BB175_254 Depth=1
	v_mov_b32_e32 v13, v6
	v_mov_b32_e32 v24, v14
	v_bfe_u32 v64, v63, 24, 7
	s_mov_b32 s16, exec_lo
	v_mov_b32_e32 v23, v13
	v_cmpx_ne_u32_e32 0x7f, v64
	s_cbranch_execz .LBB175_420
; %bb.417:                              ;   in Loop: Header=BB175_254 Depth=1
	v_and_b32_sdwa v5, v63, v41 dst_sel:DWORD dst_unused:UNUSED_PAD src0_sel:BYTE_3 src1_sel:DWORD
	v_lshrrev_b32_e32 v11, 3, v64
	s_mov_b32 s17, exec_lo
	v_cmpx_gt_u32_e32 8, v64
; %bb.418:                              ;   in Loop: Header=BB175_254 Depth=1
	v_ffbh_u32_e32 v11, v5
	v_min_u32_e32 v11, 32, v11
	v_subrev_nc_u32_e32 v13, 28, v11
	v_sub_nc_u32_e32 v11, 29, v11
	v_lshlrev_b64 v[23:24], v13, v[5:6]
	v_and_b32_e32 v5, 7, v23
; %bb.419:                              ;   in Loop: Header=BB175_254 Depth=1
	s_or_b32 exec_lo, exec_lo, s17
	v_lshlrev_b32_sdwa v13, v42, v63 dst_sel:DWORD dst_unused:UNUSED_PAD src0_sel:DWORD src1_sel:BYTE_3
	v_lshlrev_b32_e32 v5, 20, v5
	v_lshl_add_u32 v11, v11, 23, 0x3c000000
	v_mov_b32_e32 v23, v6
	v_and_b32_e32 v13, 0x80000000, v13
	v_or3_b32 v24, v5, v13, v11
.LBB175_420:                            ;   in Loop: Header=BB175_254 Depth=1
	s_or_b32 exec_lo, exec_lo, s16
.LBB175_421:                            ;   in Loop: Header=BB175_254 Depth=1
	s_or_b32 exec_lo, exec_lo, s15
.LBB175_422:                            ;   in Loop: Header=BB175_254 Depth=1
	s_or_b32 exec_lo, exec_lo, s14
	v_or_b32_e32 v5, v20, v18
	v_or_b32_e32 v11, v19, v17
	;; [unrolled: 1-line block ×4, first 2 shown]
	v_mul_f32_e32 v65, s13, v5
	v_mul_f32_e32 v66, s2, v11
	;; [unrolled: 1-line block ×4, first 2 shown]
	s_and_saveexec_b32 s14, vcc_lo
	s_cbranch_execz .LBB175_424
; %bb.423:                              ;   in Loop: Header=BB175_254 Depth=1
	v_cmp_gt_i32_e64 s0, s11, v48
	v_cndmask_b32_e64 v66, 0, v66, s0
	v_cmp_gt_i32_e64 s0, s11, v50
	v_cndmask_b32_e64 v65, 0, v65, s0
	;; [unrolled: 2-line block ×4, first 2 shown]
.LBB175_424:                            ;   in Loop: Header=BB175_254 Depth=1
	s_or_b32 exec_lo, exec_lo, s14
	global_load_dword v67, v[15:16], off offset:640
	v_mov_b32_e32 v19, 0
	v_mov_b32_e32 v17, 0
	;; [unrolled: 1-line block ×4, first 2 shown]
	s_waitcnt vmcnt(0)
	v_cmp_ne_u16_sdwa s0, v67, v6 src0_sel:BYTE_0 src1_sel:DWORD
	s_and_saveexec_b32 s14, s0
	s_cbranch_execz .LBB175_432
; %bb.425:                              ;   in Loop: Header=BB175_254 Depth=1
	v_bfrev_b32_e32 v17, 1
	v_mov_b32_e32 v18, 0
	v_cmp_ne_u16_sdwa s0, v67, v38 src0_sel:BYTE_0 src1_sel:DWORD
	s_and_saveexec_b32 s15, s0
	s_cbranch_execz .LBB175_431
; %bb.426:                              ;   in Loop: Header=BB175_254 Depth=1
	v_mov_b32_e32 v17, 0x7f800001
	v_and_b32_e32 v13, 0x7f, v67
	v_mov_b32_e32 v18, 0
	s_mov_b32 s16, exec_lo
	v_cmpx_ne_u32_e32 0x7f, v13
	s_cbranch_execz .LBB175_430
; %bb.427:                              ;   in Loop: Header=BB175_254 Depth=1
	v_and_b32_e32 v5, 7, v67
	v_lshrrev_b32_e32 v11, 3, v13
	s_mov_b32 s17, exec_lo
	v_cmpx_gt_u32_e32 8, v13
; %bb.428:                              ;   in Loop: Header=BB175_254 Depth=1
	v_ffbh_u32_e32 v11, v5
	v_min_u32_e32 v11, 32, v11
	v_subrev_nc_u32_e32 v13, 28, v11
	v_sub_nc_u32_e32 v11, 29, v11
	v_lshlrev_b64 v[17:18], v13, v[5:6]
	v_and_b32_e32 v5, 7, v17
; %bb.429:                              ;   in Loop: Header=BB175_254 Depth=1
	s_or_b32 exec_lo, exec_lo, s17
	v_lshlrev_b32_e32 v13, 24, v67
	v_lshlrev_b32_e32 v5, 20, v5
	v_lshl_add_u32 v11, v11, 23, 0x3c000000
	v_and_b32_e32 v13, 0x80000000, v13
	v_or3_b32 v5, v5, v13, v11
	v_mov_b32_e32 v18, v6
	v_mov_b32_e32 v17, v5
.LBB175_430:                            ;   in Loop: Header=BB175_254 Depth=1
	s_or_b32 exec_lo, exec_lo, s16
.LBB175_431:                            ;   in Loop: Header=BB175_254 Depth=1
	s_or_b32 exec_lo, exec_lo, s15
.LBB175_432:                            ;   in Loop: Header=BB175_254 Depth=1
	s_or_b32 exec_lo, exec_lo, s14
	v_cmp_ne_u16_sdwa s0, v67, v6 src0_sel:BYTE_1 src1_sel:DWORD
	s_and_saveexec_b32 s14, s0
	s_cbranch_execz .LBB175_440
; %bb.433:                              ;   in Loop: Header=BB175_254 Depth=1
	v_mov_b32_e32 v11, v6
	v_mov_b32_e32 v20, v12
	v_cmp_ne_u16_sdwa s0, v67, v38 src0_sel:BYTE_1 src1_sel:DWORD
	v_mov_b32_e32 v19, v11
	s_and_saveexec_b32 s15, s0
	s_cbranch_execz .LBB175_439
; %bb.434:                              ;   in Loop: Header=BB175_254 Depth=1
	v_and_b32_sdwa v5, v39, v67 dst_sel:DWORD dst_unused:UNUSED_PAD src0_sel:DWORD src1_sel:BYTE_1
	v_mov_b32_e32 v13, v6
	v_mov_b32_e32 v20, v14
	s_mov_b32 s16, exec_lo
	v_and_b32_e32 v21, 0x7f, v5
	v_mov_b32_e32 v19, v13
	v_cmpx_ne_u32_e32 0x7f, v21
	s_cbranch_execz .LBB175_438
; %bb.435:                              ;   in Loop: Header=BB175_254 Depth=1
	v_and_b32_e32 v5, 7, v5
	v_lshrrev_b32_e32 v11, 3, v21
	s_mov_b32 s17, exec_lo
	v_cmpx_gt_u32_e32 8, v21
; %bb.436:                              ;   in Loop: Header=BB175_254 Depth=1
	v_ffbh_u32_e32 v11, v5
	v_min_u32_e32 v11, 32, v11
	v_subrev_nc_u32_e32 v13, 28, v11
	v_sub_nc_u32_e32 v11, 29, v11
	v_lshlrev_b64 v[19:20], v13, v[5:6]
	v_and_b32_e32 v5, 7, v19
; %bb.437:                              ;   in Loop: Header=BB175_254 Depth=1
	s_or_b32 exec_lo, exec_lo, s17
	v_lshlrev_b32_e32 v13, 16, v67
	v_lshlrev_b32_e32 v5, 20, v5
	v_lshl_add_u32 v11, v11, 23, 0x3c000000
	v_mov_b32_e32 v19, v6
	v_and_b32_e32 v13, 0x80000000, v13
	v_or3_b32 v20, v5, v13, v11
.LBB175_438:                            ;   in Loop: Header=BB175_254 Depth=1
	s_or_b32 exec_lo, exec_lo, s16
.LBB175_439:                            ;   in Loop: Header=BB175_254 Depth=1
	s_or_b32 exec_lo, exec_lo, s15
.LBB175_440:                            ;   in Loop: Header=BB175_254 Depth=1
	s_or_b32 exec_lo, exec_lo, s14
	v_mov_b32_e32 v23, 0
	v_mov_b32_e32 v21, 0
	v_and_b32_sdwa v5, v67, v40 dst_sel:DWORD dst_unused:UNUSED_PAD src0_sel:WORD_1 src1_sel:DWORD
	v_mov_b32_e32 v24, 0
	v_mov_b32_e32 v22, 0
	s_mov_b32 s14, exec_lo
	v_cmpx_ne_u16_e32 0, v5
	s_cbranch_execz .LBB175_448
; %bb.441:                              ;   in Loop: Header=BB175_254 Depth=1
	v_bfrev_b32_e32 v21, 1
	v_mov_b32_e32 v22, 0
	s_mov_b32 s15, exec_lo
	v_cmpx_ne_u16_e32 0x80, v5
	s_cbranch_execz .LBB175_447
; %bb.442:                              ;   in Loop: Header=BB175_254 Depth=1
	v_mov_b32_e32 v21, 0x7f800001
	v_bfe_u32 v13, v67, 16, 7
	v_mov_b32_e32 v22, 0
	s_mov_b32 s16, exec_lo
	v_cmpx_ne_u32_e32 0x7f, v13
	s_cbranch_execz .LBB175_446
; %bb.443:                              ;   in Loop: Header=BB175_254 Depth=1
	v_and_b32_sdwa v5, v67, v41 dst_sel:DWORD dst_unused:UNUSED_PAD src0_sel:WORD_1 src1_sel:DWORD
	v_lshrrev_b32_e32 v11, 3, v13
	s_mov_b32 s17, exec_lo
	v_cmpx_gt_u32_e32 8, v13
; %bb.444:                              ;   in Loop: Header=BB175_254 Depth=1
	v_ffbh_u32_e32 v11, v5
	v_min_u32_e32 v11, 32, v11
	v_subrev_nc_u32_e32 v13, 28, v11
	v_sub_nc_u32_e32 v11, 29, v11
	v_lshlrev_b64 v[21:22], v13, v[5:6]
	v_and_b32_e32 v5, 7, v21
; %bb.445:                              ;   in Loop: Header=BB175_254 Depth=1
	s_or_b32 exec_lo, exec_lo, s17
	v_lshlrev_b32_sdwa v13, v42, v67 dst_sel:DWORD dst_unused:UNUSED_PAD src0_sel:DWORD src1_sel:WORD_1
	v_lshlrev_b32_e32 v5, 20, v5
	v_lshl_add_u32 v11, v11, 23, 0x3c000000
	v_and_b32_e32 v13, 0x80000000, v13
	v_or3_b32 v5, v5, v13, v11
	v_mov_b32_e32 v22, v6
	v_mov_b32_e32 v21, v5
.LBB175_446:                            ;   in Loop: Header=BB175_254 Depth=1
	s_or_b32 exec_lo, exec_lo, s16
.LBB175_447:                            ;   in Loop: Header=BB175_254 Depth=1
	s_or_b32 exec_lo, exec_lo, s15
.LBB175_448:                            ;   in Loop: Header=BB175_254 Depth=1
	s_or_b32 exec_lo, exec_lo, s14
	s_mov_b32 s14, exec_lo
	v_cmpx_lt_u32_e32 0xffffff, v67
	s_cbranch_execz .LBB175_456
; %bb.449:                              ;   in Loop: Header=BB175_254 Depth=1
	v_mov_b32_e32 v11, v6
	v_mov_b32_e32 v24, v12
	v_cmp_ne_u32_sdwa s0, v67, v38 src0_sel:BYTE_3 src1_sel:DWORD
	v_mov_b32_e32 v23, v11
	s_and_saveexec_b32 s15, s0
	s_cbranch_execz .LBB175_455
; %bb.450:                              ;   in Loop: Header=BB175_254 Depth=1
	v_mov_b32_e32 v13, v6
	v_mov_b32_e32 v24, v14
	v_bfe_u32 v68, v67, 24, 7
	s_mov_b32 s16, exec_lo
	v_mov_b32_e32 v23, v13
	v_cmpx_ne_u32_e32 0x7f, v68
	s_cbranch_execz .LBB175_454
; %bb.451:                              ;   in Loop: Header=BB175_254 Depth=1
	v_and_b32_sdwa v5, v67, v41 dst_sel:DWORD dst_unused:UNUSED_PAD src0_sel:BYTE_3 src1_sel:DWORD
	v_lshrrev_b32_e32 v11, 3, v68
	s_mov_b32 s17, exec_lo
	v_cmpx_gt_u32_e32 8, v68
; %bb.452:                              ;   in Loop: Header=BB175_254 Depth=1
	v_ffbh_u32_e32 v11, v5
	v_min_u32_e32 v11, 32, v11
	v_subrev_nc_u32_e32 v13, 28, v11
	v_sub_nc_u32_e32 v11, 29, v11
	v_lshlrev_b64 v[23:24], v13, v[5:6]
	v_and_b32_e32 v5, 7, v23
; %bb.453:                              ;   in Loop: Header=BB175_254 Depth=1
	s_or_b32 exec_lo, exec_lo, s17
	v_lshlrev_b32_sdwa v13, v42, v67 dst_sel:DWORD dst_unused:UNUSED_PAD src0_sel:DWORD src1_sel:BYTE_3
	v_lshlrev_b32_e32 v5, 20, v5
	v_lshl_add_u32 v11, v11, 23, 0x3c000000
	v_mov_b32_e32 v23, v6
	v_and_b32_e32 v13, 0x80000000, v13
	v_or3_b32 v24, v5, v13, v11
.LBB175_454:                            ;   in Loop: Header=BB175_254 Depth=1
	s_or_b32 exec_lo, exec_lo, s16
.LBB175_455:                            ;   in Loop: Header=BB175_254 Depth=1
	s_or_b32 exec_lo, exec_lo, s15
.LBB175_456:                            ;   in Loop: Header=BB175_254 Depth=1
	s_or_b32 exec_lo, exec_lo, s14
	v_or_b32_e32 v5, v20, v18
	v_or_b32_e32 v11, v19, v17
	;; [unrolled: 1-line block ×4, first 2 shown]
	v_mul_f32_e32 v67, s13, v5
	v_mul_f32_e32 v68, s2, v11
	;; [unrolled: 1-line block ×4, first 2 shown]
	s_and_saveexec_b32 s14, vcc_lo
	s_cbranch_execz .LBB175_458
; %bb.457:                              ;   in Loop: Header=BB175_254 Depth=1
	v_cmp_gt_i32_e64 s0, s11, v48
	v_cndmask_b32_e64 v68, 0, v68, s0
	v_cmp_gt_i32_e64 s0, s11, v50
	v_cndmask_b32_e64 v67, 0, v67, s0
	;; [unrolled: 2-line block ×4, first 2 shown]
.LBB175_458:                            ;   in Loop: Header=BB175_254 Depth=1
	s_or_b32 exec_lo, exec_lo, s14
	global_load_dword v69, v[15:16], off offset:768
	v_mov_b32_e32 v17, 0
	v_mov_b32_e32 v15, 0
	;; [unrolled: 1-line block ×4, first 2 shown]
	s_waitcnt vmcnt(0)
	v_cmp_ne_u16_sdwa s0, v69, v6 src0_sel:BYTE_0 src1_sel:DWORD
	s_and_saveexec_b32 s14, s0
	s_cbranch_execz .LBB175_466
; %bb.459:                              ;   in Loop: Header=BB175_254 Depth=1
	v_bfrev_b32_e32 v15, 1
	v_mov_b32_e32 v16, 0
	v_cmp_ne_u16_sdwa s0, v69, v38 src0_sel:BYTE_0 src1_sel:DWORD
	s_and_saveexec_b32 s15, s0
	s_cbranch_execz .LBB175_465
; %bb.460:                              ;   in Loop: Header=BB175_254 Depth=1
	v_mov_b32_e32 v15, 0x7f800001
	v_and_b32_e32 v13, 0x7f, v69
	v_mov_b32_e32 v16, 0
	s_mov_b32 s16, exec_lo
	v_cmpx_ne_u32_e32 0x7f, v13
	s_cbranch_execz .LBB175_464
; %bb.461:                              ;   in Loop: Header=BB175_254 Depth=1
	v_and_b32_e32 v5, 7, v69
	v_lshrrev_b32_e32 v11, 3, v13
	s_mov_b32 s17, exec_lo
	v_cmpx_gt_u32_e32 8, v13
; %bb.462:                              ;   in Loop: Header=BB175_254 Depth=1
	v_ffbh_u32_e32 v11, v5
	v_min_u32_e32 v11, 32, v11
	v_subrev_nc_u32_e32 v13, 28, v11
	v_sub_nc_u32_e32 v11, 29, v11
	v_lshlrev_b64 v[15:16], v13, v[5:6]
	v_and_b32_e32 v5, 7, v15
; %bb.463:                              ;   in Loop: Header=BB175_254 Depth=1
	s_or_b32 exec_lo, exec_lo, s17
	v_lshlrev_b32_e32 v13, 24, v69
	v_lshlrev_b32_e32 v5, 20, v5
	v_lshl_add_u32 v11, v11, 23, 0x3c000000
	v_and_b32_e32 v13, 0x80000000, v13
	v_or3_b32 v5, v5, v13, v11
	v_mov_b32_e32 v16, v6
	v_mov_b32_e32 v15, v5
.LBB175_464:                            ;   in Loop: Header=BB175_254 Depth=1
	s_or_b32 exec_lo, exec_lo, s16
.LBB175_465:                            ;   in Loop: Header=BB175_254 Depth=1
	s_or_b32 exec_lo, exec_lo, s15
.LBB175_466:                            ;   in Loop: Header=BB175_254 Depth=1
	s_or_b32 exec_lo, exec_lo, s14
	v_cmp_ne_u16_sdwa s0, v69, v6 src0_sel:BYTE_1 src1_sel:DWORD
	s_and_saveexec_b32 s14, s0
	s_cbranch_execz .LBB175_474
; %bb.467:                              ;   in Loop: Header=BB175_254 Depth=1
	v_mov_b32_e32 v11, v6
	v_mov_b32_e32 v18, v12
	v_cmp_ne_u16_sdwa s0, v69, v38 src0_sel:BYTE_1 src1_sel:DWORD
	v_mov_b32_e32 v17, v11
	s_and_saveexec_b32 s15, s0
	s_cbranch_execz .LBB175_473
; %bb.468:                              ;   in Loop: Header=BB175_254 Depth=1
	v_and_b32_sdwa v5, v39, v69 dst_sel:DWORD dst_unused:UNUSED_PAD src0_sel:DWORD src1_sel:BYTE_1
	v_mov_b32_e32 v13, v6
	v_mov_b32_e32 v18, v14
	s_mov_b32 s16, exec_lo
	v_and_b32_e32 v19, 0x7f, v5
	v_mov_b32_e32 v17, v13
	v_cmpx_ne_u32_e32 0x7f, v19
	s_cbranch_execz .LBB175_472
; %bb.469:                              ;   in Loop: Header=BB175_254 Depth=1
	v_and_b32_e32 v5, 7, v5
	v_lshrrev_b32_e32 v11, 3, v19
	s_mov_b32 s17, exec_lo
	v_cmpx_gt_u32_e32 8, v19
; %bb.470:                              ;   in Loop: Header=BB175_254 Depth=1
	v_ffbh_u32_e32 v11, v5
	v_min_u32_e32 v11, 32, v11
	v_subrev_nc_u32_e32 v13, 28, v11
	v_sub_nc_u32_e32 v11, 29, v11
	v_lshlrev_b64 v[17:18], v13, v[5:6]
	v_and_b32_e32 v5, 7, v17
; %bb.471:                              ;   in Loop: Header=BB175_254 Depth=1
	s_or_b32 exec_lo, exec_lo, s17
	v_lshlrev_b32_e32 v13, 16, v69
	v_lshlrev_b32_e32 v5, 20, v5
	v_lshl_add_u32 v11, v11, 23, 0x3c000000
	v_mov_b32_e32 v17, v6
	v_and_b32_e32 v13, 0x80000000, v13
	v_or3_b32 v18, v5, v13, v11
.LBB175_472:                            ;   in Loop: Header=BB175_254 Depth=1
	s_or_b32 exec_lo, exec_lo, s16
.LBB175_473:                            ;   in Loop: Header=BB175_254 Depth=1
	s_or_b32 exec_lo, exec_lo, s15
.LBB175_474:                            ;   in Loop: Header=BB175_254 Depth=1
	s_or_b32 exec_lo, exec_lo, s14
	v_mov_b32_e32 v21, 0
	v_mov_b32_e32 v19, 0
	v_and_b32_sdwa v5, v69, v40 dst_sel:DWORD dst_unused:UNUSED_PAD src0_sel:WORD_1 src1_sel:DWORD
	v_mov_b32_e32 v22, 0
	v_mov_b32_e32 v20, 0
	s_mov_b32 s14, exec_lo
	v_cmpx_ne_u16_e32 0, v5
	s_cbranch_execz .LBB175_482
; %bb.475:                              ;   in Loop: Header=BB175_254 Depth=1
	v_bfrev_b32_e32 v19, 1
	v_mov_b32_e32 v20, 0
	s_mov_b32 s15, exec_lo
	v_cmpx_ne_u16_e32 0x80, v5
	s_cbranch_execz .LBB175_481
; %bb.476:                              ;   in Loop: Header=BB175_254 Depth=1
	v_mov_b32_e32 v19, 0x7f800001
	v_bfe_u32 v13, v69, 16, 7
	v_mov_b32_e32 v20, 0
	s_mov_b32 s16, exec_lo
	v_cmpx_ne_u32_e32 0x7f, v13
	s_cbranch_execz .LBB175_480
; %bb.477:                              ;   in Loop: Header=BB175_254 Depth=1
	v_and_b32_sdwa v5, v69, v41 dst_sel:DWORD dst_unused:UNUSED_PAD src0_sel:WORD_1 src1_sel:DWORD
	v_lshrrev_b32_e32 v11, 3, v13
	s_mov_b32 s17, exec_lo
	v_cmpx_gt_u32_e32 8, v13
; %bb.478:                              ;   in Loop: Header=BB175_254 Depth=1
	v_ffbh_u32_e32 v11, v5
	v_min_u32_e32 v11, 32, v11
	v_subrev_nc_u32_e32 v13, 28, v11
	v_sub_nc_u32_e32 v11, 29, v11
	v_lshlrev_b64 v[19:20], v13, v[5:6]
	v_and_b32_e32 v5, 7, v19
; %bb.479:                              ;   in Loop: Header=BB175_254 Depth=1
	s_or_b32 exec_lo, exec_lo, s17
	v_lshlrev_b32_sdwa v13, v42, v69 dst_sel:DWORD dst_unused:UNUSED_PAD src0_sel:DWORD src1_sel:WORD_1
	v_lshlrev_b32_e32 v5, 20, v5
	v_lshl_add_u32 v11, v11, 23, 0x3c000000
	v_and_b32_e32 v13, 0x80000000, v13
	v_or3_b32 v5, v5, v13, v11
	v_mov_b32_e32 v20, v6
	v_mov_b32_e32 v19, v5
.LBB175_480:                            ;   in Loop: Header=BB175_254 Depth=1
	s_or_b32 exec_lo, exec_lo, s16
.LBB175_481:                            ;   in Loop: Header=BB175_254 Depth=1
	s_or_b32 exec_lo, exec_lo, s15
.LBB175_482:                            ;   in Loop: Header=BB175_254 Depth=1
	s_or_b32 exec_lo, exec_lo, s14
	s_mov_b32 s14, exec_lo
	v_cmpx_lt_u32_e32 0xffffff, v69
	s_cbranch_execz .LBB175_490
; %bb.483:                              ;   in Loop: Header=BB175_254 Depth=1
	v_mov_b32_e32 v11, v6
	v_mov_b32_e32 v22, v12
	v_cmp_ne_u32_sdwa s0, v69, v38 src0_sel:BYTE_3 src1_sel:DWORD
	v_mov_b32_e32 v21, v11
	s_and_saveexec_b32 s15, s0
	s_cbranch_execz .LBB175_489
; %bb.484:                              ;   in Loop: Header=BB175_254 Depth=1
	v_mov_b32_e32 v13, v6
	v_mov_b32_e32 v22, v14
	v_bfe_u32 v70, v69, 24, 7
	s_mov_b32 s16, exec_lo
	v_mov_b32_e32 v21, v13
	v_cmpx_ne_u32_e32 0x7f, v70
	s_cbranch_execz .LBB175_488
; %bb.485:                              ;   in Loop: Header=BB175_254 Depth=1
	v_and_b32_sdwa v5, v69, v41 dst_sel:DWORD dst_unused:UNUSED_PAD src0_sel:BYTE_3 src1_sel:DWORD
	v_lshrrev_b32_e32 v11, 3, v70
	s_mov_b32 s17, exec_lo
	v_cmpx_gt_u32_e32 8, v70
; %bb.486:                              ;   in Loop: Header=BB175_254 Depth=1
	v_ffbh_u32_e32 v11, v5
	v_min_u32_e32 v11, 32, v11
	v_subrev_nc_u32_e32 v13, 28, v11
	v_sub_nc_u32_e32 v11, 29, v11
	v_lshlrev_b64 v[21:22], v13, v[5:6]
	v_and_b32_e32 v5, 7, v21
; %bb.487:                              ;   in Loop: Header=BB175_254 Depth=1
	s_or_b32 exec_lo, exec_lo, s17
	v_lshlrev_b32_sdwa v13, v42, v69 dst_sel:DWORD dst_unused:UNUSED_PAD src0_sel:DWORD src1_sel:BYTE_3
	v_lshlrev_b32_e32 v5, 20, v5
	v_lshl_add_u32 v11, v11, 23, 0x3c000000
	v_mov_b32_e32 v21, v6
	v_and_b32_e32 v13, 0x80000000, v13
	v_or3_b32 v22, v5, v13, v11
.LBB175_488:                            ;   in Loop: Header=BB175_254 Depth=1
	s_or_b32 exec_lo, exec_lo, s16
.LBB175_489:                            ;   in Loop: Header=BB175_254 Depth=1
	s_or_b32 exec_lo, exec_lo, s15
.LBB175_490:                            ;   in Loop: Header=BB175_254 Depth=1
	s_or_b32 exec_lo, exec_lo, s14
	v_or_b32_e32 v5, v18, v16
	v_or_b32_e32 v11, v17, v15
	;; [unrolled: 1-line block ×4, first 2 shown]
	v_mul_f32_e32 v13, s13, v5
	v_mul_f32_e32 v15, s2, v11
	;; [unrolled: 1-line block ×4, first 2 shown]
	s_and_saveexec_b32 s0, vcc_lo
	s_cbranch_execz .LBB175_253
; %bb.491:                              ;   in Loop: Header=BB175_254 Depth=1
	v_cmp_gt_i32_e32 vcc_lo, s11, v48
	v_cndmask_b32_e32 v15, 0, v15, vcc_lo
	v_cmp_gt_i32_e32 vcc_lo, s11, v50
	v_cndmask_b32_e32 v13, 0, v13, vcc_lo
	;; [unrolled: 2-line block ×4, first 2 shown]
	s_branch .LBB175_253
.LBB175_492:
	s_or_b32 exec_lo, exec_lo, s5
.LBB175_493:
	s_or_b32 exec_lo, exec_lo, s1
	ds_bpermute_b32 v1, v26, v32
	ds_bpermute_b32 v2, v26, v34
	;; [unrolled: 1-line block ×7, first 2 shown]
	v_lshrrev_b32_e32 v8, 1, v25
	v_mul_u32_u24_e32 v10, 0x1c0, v37
	v_and_b32_e32 v11, 0x3c1, v0
	s_mov_b32 s0, exec_lo
	s_waitcnt lgkmcnt(0)
	v_lshl_add_u32 v9, v8, 2, 0x1e0
	s_barrier
	buffer_gl0_inv
	v_add_f32_e32 v1, v32, v1
	v_add_f32_e32 v2, v34, v2
	;; [unrolled: 1-line block ×7, first 2 shown]
	v_cmpx_eq_u32_e32 64, v11
	s_cbranch_execz .LBB175_495
; %bb.494:
	v_add_nc_u32_e32 v11, v9, v10
	v_add_nc_u32_e32 v12, 0xfffffc80, v11
	;; [unrolled: 1-line block ×8, first 2 shown]
	ds_write_b32 v12, v1
	ds_write_b32 v13, v2
	;; [unrolled: 1-line block ×7, first 2 shown]
.LBB175_495:
	s_or_b32 exec_lo, exec_lo, s0
	v_lshlrev_b32_e32 v8, 2, v8
	s_mov_b32 s1, exec_lo
	v_cmp_eq_u32_e32 vcc_lo, 0, v27
	s_waitcnt lgkmcnt(0)
	s_barrier
	v_add3_u32 v8, 0x1e0, v10, v8
	buffer_gl0_inv
	v_cmpx_gt_u32_e32 64, v0
	s_cbranch_execz .LBB175_505
; %bb.496:
	s_and_saveexec_b32 s0, vcc_lo
	s_cbranch_execnz .LBB175_520
; %bb.497:
	s_or_b32 exec_lo, exec_lo, s0
	s_and_saveexec_b32 s0, vcc_lo
	s_cbranch_execnz .LBB175_521
.LBB175_498:
	s_or_b32 exec_lo, exec_lo, s0
	s_and_saveexec_b32 s0, vcc_lo
	s_cbranch_execnz .LBB175_522
.LBB175_499:
	s_or_b32 exec_lo, exec_lo, s0
	s_and_saveexec_b32 s0, vcc_lo
	s_cbranch_execnz .LBB175_523
.LBB175_500:
	s_or_b32 exec_lo, exec_lo, s0
	s_and_saveexec_b32 s0, vcc_lo
	s_cbranch_execnz .LBB175_524
.LBB175_501:
	s_or_b32 exec_lo, exec_lo, s0
	s_and_saveexec_b32 s0, vcc_lo
	s_cbranch_execnz .LBB175_525
.LBB175_502:
	s_or_b32 exec_lo, exec_lo, s0
	s_and_saveexec_b32 s0, vcc_lo
	s_cbranch_execz .LBB175_504
.LBB175_503:
	ds_read_b32 v10, v8 offset:384
	s_waitcnt lgkmcnt(0)
	v_add_f32_e32 v7, v7, v10
.LBB175_504:
	s_or_b32 exec_lo, exec_lo, s0
.LBB175_505:
	s_or_b32 exec_lo, exec_lo, s1
	v_and_b32_e32 v10, 0x3e1, v0
	s_mov_b32 s1, exec_lo
	s_barrier
	buffer_gl0_inv
	v_cmpx_eq_u32_e32 32, v10
	s_cbranch_execz .LBB175_507
; %bb.506:
	ds_write2_b32 v9, v1, v2 offset1:16
	ds_write2_b32 v9, v3, v4 offset0:32 offset1:48
	ds_write2_b32 v9, v5, v6 offset0:64 offset1:80
	ds_write_b32 v9, v7 offset:384
.LBB175_507:
	s_or_b32 exec_lo, exec_lo, s1
	s_mov_b32 s1, exec_lo
	s_waitcnt lgkmcnt(0)
	s_barrier
	buffer_gl0_inv
	v_cmpx_gt_u32_e32 32, v0
	s_cbranch_execz .LBB175_517
; %bb.508:
	s_and_saveexec_b32 s0, vcc_lo
	s_cbranch_execnz .LBB175_526
; %bb.509:
	s_or_b32 exec_lo, exec_lo, s0
	s_and_saveexec_b32 s0, vcc_lo
	s_cbranch_execnz .LBB175_527
.LBB175_510:
	s_or_b32 exec_lo, exec_lo, s0
	s_and_saveexec_b32 s0, vcc_lo
	s_cbranch_execnz .LBB175_528
.LBB175_511:
	s_or_b32 exec_lo, exec_lo, s0
	s_and_saveexec_b32 s0, vcc_lo
	s_cbranch_execnz .LBB175_529
.LBB175_512:
	s_or_b32 exec_lo, exec_lo, s0
	s_and_saveexec_b32 s0, vcc_lo
	s_cbranch_execnz .LBB175_530
.LBB175_513:
	s_or_b32 exec_lo, exec_lo, s0
	s_and_saveexec_b32 s0, vcc_lo
	s_cbranch_execnz .LBB175_531
.LBB175_514:
	s_or_b32 exec_lo, exec_lo, s0
	s_and_saveexec_b32 s0, vcc_lo
	s_cbranch_execz .LBB175_516
.LBB175_515:
	ds_read_b32 v8, v8 offset:384
	s_waitcnt lgkmcnt(0)
	v_add_f32_e32 v7, v7, v8
.LBB175_516:
	s_or_b32 exec_lo, exec_lo, s0
.LBB175_517:
	s_or_b32 exec_lo, exec_lo, s1
	s_barrier
	buffer_gl0_inv
	s_mov_b32 s0, exec_lo
	v_cmpx_eq_u32_e32 0, v10
	s_cbranch_execz .LBB175_519
; %bb.518:
	s_mul_i32 s0, s10, s7
	s_mul_i32 s2, s7, s6
	;; [unrolled: 1-line block ×3, first 2 shown]
	v_lshlrev_b32_e32 v0, 1, v0
	s_mulk_i32 s0, 0x70
	s_ashr_i32 s1, s0, 31
	s_lshl_b64 s[0:1], s[0:1], 2
	s_add_u32 s4, s20, s0
	s_addc_u32 s5, s21, s1
	s_ashr_i32 s3, s2, 31
	s_lshl_b64 s[0:1], s[2:3], 2
	s_mul_i32 s2, s8, 0x70
	s_add_u32 s4, s4, s0
	s_addc_u32 s5, s5, s1
	s_ashr_i32 s3, s2, 31
	s_lshl_b64 s[0:1], s[2:3], 2
	s_add_u32 s0, s4, s0
	s_addc_u32 s1, s5, s1
	global_store_dword v0, v1, s[0:1]
	global_store_dword v0, v2, s[0:1] offset:64
	global_store_dword v0, v3, s[0:1] offset:128
	;; [unrolled: 1-line block ×6, first 2 shown]
.LBB175_519:
	s_endpgm
.LBB175_520:
	ds_read_b32 v10, v8
	s_waitcnt lgkmcnt(0)
	v_add_f32_e32 v1, v1, v10
	s_or_b32 exec_lo, exec_lo, s0
	s_and_saveexec_b32 s0, vcc_lo
	s_cbranch_execz .LBB175_498
.LBB175_521:
	ds_read_b32 v10, v8 offset:64
	s_waitcnt lgkmcnt(0)
	v_add_f32_e32 v2, v2, v10
	s_or_b32 exec_lo, exec_lo, s0
	s_and_saveexec_b32 s0, vcc_lo
	s_cbranch_execz .LBB175_499
.LBB175_522:
	ds_read_b32 v10, v8 offset:128
	s_waitcnt lgkmcnt(0)
	v_add_f32_e32 v3, v3, v10
	s_or_b32 exec_lo, exec_lo, s0
	s_and_saveexec_b32 s0, vcc_lo
	s_cbranch_execz .LBB175_500
.LBB175_523:
	ds_read_b32 v10, v8 offset:192
	s_waitcnt lgkmcnt(0)
	v_add_f32_e32 v4, v4, v10
	s_or_b32 exec_lo, exec_lo, s0
	s_and_saveexec_b32 s0, vcc_lo
	s_cbranch_execz .LBB175_501
.LBB175_524:
	ds_read_b32 v10, v8 offset:256
	s_waitcnt lgkmcnt(0)
	v_add_f32_e32 v5, v5, v10
	s_or_b32 exec_lo, exec_lo, s0
	s_and_saveexec_b32 s0, vcc_lo
	s_cbranch_execz .LBB175_502
.LBB175_525:
	ds_read_b32 v10, v8 offset:320
	s_waitcnt lgkmcnt(0)
	v_add_f32_e32 v6, v6, v10
	s_or_b32 exec_lo, exec_lo, s0
	s_and_saveexec_b32 s0, vcc_lo
	s_cbranch_execnz .LBB175_503
	s_branch .LBB175_504
.LBB175_526:
	ds_read_b32 v9, v8
	s_waitcnt lgkmcnt(0)
	v_add_f32_e32 v1, v1, v9
	s_or_b32 exec_lo, exec_lo, s0
	s_and_saveexec_b32 s0, vcc_lo
	s_cbranch_execz .LBB175_510
.LBB175_527:
	ds_read_b32 v9, v8 offset:64
	s_waitcnt lgkmcnt(0)
	v_add_f32_e32 v2, v2, v9
	s_or_b32 exec_lo, exec_lo, s0
	s_and_saveexec_b32 s0, vcc_lo
	s_cbranch_execz .LBB175_511
.LBB175_528:
	ds_read_b32 v9, v8 offset:128
	s_waitcnt lgkmcnt(0)
	v_add_f32_e32 v3, v3, v9
	s_or_b32 exec_lo, exec_lo, s0
	s_and_saveexec_b32 s0, vcc_lo
	s_cbranch_execz .LBB175_512
.LBB175_529:
	ds_read_b32 v9, v8 offset:192
	s_waitcnt lgkmcnt(0)
	v_add_f32_e32 v4, v4, v9
	s_or_b32 exec_lo, exec_lo, s0
	s_and_saveexec_b32 s0, vcc_lo
	s_cbranch_execz .LBB175_513
.LBB175_530:
	ds_read_b32 v9, v8 offset:256
	s_waitcnt lgkmcnt(0)
	v_add_f32_e32 v5, v5, v9
	s_or_b32 exec_lo, exec_lo, s0
	s_and_saveexec_b32 s0, vcc_lo
	s_cbranch_execz .LBB175_514
.LBB175_531:
	ds_read_b32 v9, v8 offset:320
	s_waitcnt lgkmcnt(0)
	v_add_f32_e32 v6, v6, v9
	s_or_b32 exec_lo, exec_lo, s0
	s_and_saveexec_b32 s0, vcc_lo
	s_cbranch_execnz .LBB175_515
	s_branch .LBB175_516
	.section	.rodata,"a",@progbits
	.p2align	6, 0x0
	.amdhsa_kernel _ZN4vllm25paged_attention_v1_kernelIfhLi112ELi8ELi128ELNS_18Fp8KVCacheDataTypeE1ELb0EEEvPT_PKS2_PKT0_S8_ifPKiSA_iPKfiiiSC_SC_iiiii
		.amdhsa_group_segment_fixed_size 480
		.amdhsa_private_segment_fixed_size 0
		.amdhsa_kernarg_size 384
		.amdhsa_user_sgpr_count 6
		.amdhsa_user_sgpr_private_segment_buffer 1
		.amdhsa_user_sgpr_dispatch_ptr 0
		.amdhsa_user_sgpr_queue_ptr 0
		.amdhsa_user_sgpr_kernarg_segment_ptr 1
		.amdhsa_user_sgpr_dispatch_id 0
		.amdhsa_user_sgpr_flat_scratch_init 0
		.amdhsa_user_sgpr_private_segment_size 0
		.amdhsa_wavefront_size32 1
		.amdhsa_uses_dynamic_stack 0
		.amdhsa_system_sgpr_private_segment_wavefront_offset 0
		.amdhsa_system_sgpr_workgroup_id_x 1
		.amdhsa_system_sgpr_workgroup_id_y 1
		.amdhsa_system_sgpr_workgroup_id_z 1
		.amdhsa_system_sgpr_workgroup_info 0
		.amdhsa_system_vgpr_workitem_id 0
		.amdhsa_next_free_vgpr 81
		.amdhsa_next_free_sgpr 34
		.amdhsa_reserve_vcc 1
		.amdhsa_reserve_flat_scratch 0
		.amdhsa_float_round_mode_32 0
		.amdhsa_float_round_mode_16_64 0
		.amdhsa_float_denorm_mode_32 3
		.amdhsa_float_denorm_mode_16_64 3
		.amdhsa_dx10_clamp 1
		.amdhsa_ieee_mode 1
		.amdhsa_fp16_overflow 0
		.amdhsa_workgroup_processor_mode 1
		.amdhsa_memory_ordered 1
		.amdhsa_forward_progress 1
		.amdhsa_shared_vgpr_count 0
		.amdhsa_exception_fp_ieee_invalid_op 0
		.amdhsa_exception_fp_denorm_src 0
		.amdhsa_exception_fp_ieee_div_zero 0
		.amdhsa_exception_fp_ieee_overflow 0
		.amdhsa_exception_fp_ieee_underflow 0
		.amdhsa_exception_fp_ieee_inexact 0
		.amdhsa_exception_int_div_zero 0
	.end_amdhsa_kernel
	.section	.text._ZN4vllm25paged_attention_v1_kernelIfhLi112ELi8ELi128ELNS_18Fp8KVCacheDataTypeE1ELb0EEEvPT_PKS2_PKT0_S8_ifPKiSA_iPKfiiiSC_SC_iiiii,"axG",@progbits,_ZN4vllm25paged_attention_v1_kernelIfhLi112ELi8ELi128ELNS_18Fp8KVCacheDataTypeE1ELb0EEEvPT_PKS2_PKT0_S8_ifPKiSA_iPKfiiiSC_SC_iiiii,comdat
.Lfunc_end175:
	.size	_ZN4vllm25paged_attention_v1_kernelIfhLi112ELi8ELi128ELNS_18Fp8KVCacheDataTypeE1ELb0EEEvPT_PKS2_PKT0_S8_ifPKiSA_iPKfiiiSC_SC_iiiii, .Lfunc_end175-_ZN4vllm25paged_attention_v1_kernelIfhLi112ELi8ELi128ELNS_18Fp8KVCacheDataTypeE1ELb0EEEvPT_PKS2_PKT0_S8_ifPKiSA_iPKfiiiSC_SC_iiiii
                                        ; -- End function
	.set _ZN4vllm25paged_attention_v1_kernelIfhLi112ELi8ELi128ELNS_18Fp8KVCacheDataTypeE1ELb0EEEvPT_PKS2_PKT0_S8_ifPKiSA_iPKfiiiSC_SC_iiiii.num_vgpr, 81
	.set _ZN4vllm25paged_attention_v1_kernelIfhLi112ELi8ELi128ELNS_18Fp8KVCacheDataTypeE1ELb0EEEvPT_PKS2_PKT0_S8_ifPKiSA_iPKfiiiSC_SC_iiiii.num_agpr, 0
	.set _ZN4vllm25paged_attention_v1_kernelIfhLi112ELi8ELi128ELNS_18Fp8KVCacheDataTypeE1ELb0EEEvPT_PKS2_PKT0_S8_ifPKiSA_iPKfiiiSC_SC_iiiii.numbered_sgpr, 34
	.set _ZN4vllm25paged_attention_v1_kernelIfhLi112ELi8ELi128ELNS_18Fp8KVCacheDataTypeE1ELb0EEEvPT_PKS2_PKT0_S8_ifPKiSA_iPKfiiiSC_SC_iiiii.num_named_barrier, 0
	.set _ZN4vllm25paged_attention_v1_kernelIfhLi112ELi8ELi128ELNS_18Fp8KVCacheDataTypeE1ELb0EEEvPT_PKS2_PKT0_S8_ifPKiSA_iPKfiiiSC_SC_iiiii.private_seg_size, 0
	.set _ZN4vllm25paged_attention_v1_kernelIfhLi112ELi8ELi128ELNS_18Fp8KVCacheDataTypeE1ELb0EEEvPT_PKS2_PKT0_S8_ifPKiSA_iPKfiiiSC_SC_iiiii.uses_vcc, 1
	.set _ZN4vllm25paged_attention_v1_kernelIfhLi112ELi8ELi128ELNS_18Fp8KVCacheDataTypeE1ELb0EEEvPT_PKS2_PKT0_S8_ifPKiSA_iPKfiiiSC_SC_iiiii.uses_flat_scratch, 0
	.set _ZN4vllm25paged_attention_v1_kernelIfhLi112ELi8ELi128ELNS_18Fp8KVCacheDataTypeE1ELb0EEEvPT_PKS2_PKT0_S8_ifPKiSA_iPKfiiiSC_SC_iiiii.has_dyn_sized_stack, 0
	.set _ZN4vllm25paged_attention_v1_kernelIfhLi112ELi8ELi128ELNS_18Fp8KVCacheDataTypeE1ELb0EEEvPT_PKS2_PKT0_S8_ifPKiSA_iPKfiiiSC_SC_iiiii.has_recursion, 0
	.set _ZN4vllm25paged_attention_v1_kernelIfhLi112ELi8ELi128ELNS_18Fp8KVCacheDataTypeE1ELb0EEEvPT_PKS2_PKT0_S8_ifPKiSA_iPKfiiiSC_SC_iiiii.has_indirect_call, 0
	.section	.AMDGPU.csdata,"",@progbits
; Kernel info:
; codeLenInByte = 15124
; TotalNumSgprs: 36
; NumVgprs: 81
; ScratchSize: 0
; MemoryBound: 0
; FloatMode: 240
; IeeeMode: 1
; LDSByteSize: 480 bytes/workgroup (compile time only)
; SGPRBlocks: 0
; VGPRBlocks: 10
; NumSGPRsForWavesPerEU: 36
; NumVGPRsForWavesPerEU: 81
; Occupancy: 10
; WaveLimiterHint : 1
; COMPUTE_PGM_RSRC2:SCRATCH_EN: 0
; COMPUTE_PGM_RSRC2:USER_SGPR: 6
; COMPUTE_PGM_RSRC2:TRAP_HANDLER: 0
; COMPUTE_PGM_RSRC2:TGID_X_EN: 1
; COMPUTE_PGM_RSRC2:TGID_Y_EN: 1
; COMPUTE_PGM_RSRC2:TGID_Z_EN: 1
; COMPUTE_PGM_RSRC2:TIDIG_COMP_CNT: 0
	.section	.text._ZN4vllm25paged_attention_v1_kernelIfhLi120ELi8ELi128ELNS_18Fp8KVCacheDataTypeE1ELb0EEEvPT_PKS2_PKT0_S8_ifPKiSA_iPKfiiiSC_SC_iiiii,"axG",@progbits,_ZN4vllm25paged_attention_v1_kernelIfhLi120ELi8ELi128ELNS_18Fp8KVCacheDataTypeE1ELb0EEEvPT_PKS2_PKT0_S8_ifPKiSA_iPKfiiiSC_SC_iiiii,comdat
	.protected	_ZN4vllm25paged_attention_v1_kernelIfhLi120ELi8ELi128ELNS_18Fp8KVCacheDataTypeE1ELb0EEEvPT_PKS2_PKT0_S8_ifPKiSA_iPKfiiiSC_SC_iiiii ; -- Begin function _ZN4vllm25paged_attention_v1_kernelIfhLi120ELi8ELi128ELNS_18Fp8KVCacheDataTypeE1ELb0EEEvPT_PKS2_PKT0_S8_ifPKiSA_iPKfiiiSC_SC_iiiii
	.globl	_ZN4vllm25paged_attention_v1_kernelIfhLi120ELi8ELi128ELNS_18Fp8KVCacheDataTypeE1ELb0EEEvPT_PKS2_PKT0_S8_ifPKiSA_iPKfiiiSC_SC_iiiii
	.p2align	8
	.type	_ZN4vllm25paged_attention_v1_kernelIfhLi120ELi8ELi128ELNS_18Fp8KVCacheDataTypeE1ELb0EEEvPT_PKS2_PKT0_S8_ifPKiSA_iPKfiiiSC_SC_iiiii,@function
_ZN4vllm25paged_attention_v1_kernelIfhLi120ELi8ELi128ELNS_18Fp8KVCacheDataTypeE1ELb0EEEvPT_PKS2_PKT0_S8_ifPKiSA_iPKfiiiSC_SC_iiiii: ; @_ZN4vllm25paged_attention_v1_kernelIfhLi120ELi8ELi128ELNS_18Fp8KVCacheDataTypeE1ELb0EEEvPT_PKS2_PKT0_S8_ifPKiSA_iPKfiiiSC_SC_iiiii
; %bb.0:
	s_clause 0x2
	s_load_dword s9, s[4:5], 0x80
	s_load_dwordx2 s[0:1], s[4:5], 0x30
	s_load_dwordx2 s[28:29], s[4:5], 0x20
	s_mov_b32 s10, s7
	s_ashr_i32 s11, s7, 31
	s_lshl_b64 s[2:3], s[10:11], 2
	s_waitcnt lgkmcnt(0)
	s_add_u32 s0, s0, s2
	s_addc_u32 s1, s1, s3
	s_abs_i32 s2, s28
	s_abs_i32 s11, s9
	v_cvt_f32_u32_e32 v1, s2
	s_sub_i32 s7, 0, s2
	v_rcp_iflag_f32_e32 v1, v1
	v_mul_f32_e32 v1, 0x4f7ffffe, v1
	v_cvt_u32_f32_e32 v1, v1
	v_readfirstlane_b32 s3, v1
	s_mul_i32 s7, s7, s3
	s_mul_hi_u32 s7, s3, s7
	s_add_i32 s3, s3, s7
	s_xor_b32 s7, s9, s28
	s_mul_hi_u32 s3, s11, s3
	s_ashr_i32 s7, s7, 31
	s_mul_i32 s12, s3, s2
	s_mov_b32 s28, 0
	s_sub_i32 s11, s11, s12
	s_add_i32 s12, s3, 1
	s_sub_i32 s13, s11, s2
	s_cmp_ge_u32 s11, s2
	s_cselect_b32 s3, s12, s3
	s_cselect_b32 s11, s13, s11
	s_add_i32 s12, s3, 1
	s_cmp_ge_u32 s11, s2
	s_cselect_b32 s2, s12, s3
	s_abs_i32 s17, s6
	s_xor_b32 s2, s2, s7
	s_sub_i32 s19, s2, s7
	s_load_dwordx2 s[2:3], s[4:5], 0x40
	s_abs_i32 s16, s19
	v_cvt_f32_u32_e32 v1, s16
	s_sub_i32 s11, 0, s16
	v_rcp_iflag_f32_e32 v1, v1
	v_mul_f32_e32 v1, 0x4f7ffffe, v1
	v_cvt_u32_f32_e32 v1, v1
	v_readfirstlane_b32 s7, v1
	s_mul_i32 s11, s11, s7
	s_mul_hi_u32 s11, s7, s11
	s_add_i32 s7, s7, s11
	s_waitcnt lgkmcnt(0)
	s_cmp_eq_u64 s[2:3], 0
	s_mul_hi_u32 s18, s17, s7
	s_cbranch_scc1 .LBB176_2
; %bb.1:
	s_ashr_i32 s7, s6, 31
	s_lshl_b64 s[12:13], s[6:7], 2
	s_add_u32 s2, s2, s12
	s_addc_u32 s3, s3, s13
	s_load_dword s28, s[2:3], 0x0
.LBB176_2:
	s_load_dword s11, s[0:1], 0x0
	s_load_dwordx4 s[12:15], s[4:5], 0x48
	v_and_b32_e32 v29, 3, v0
	v_lshlrev_b32_e32 v40, 2, v0
	s_ashr_i32 s0, s6, 31
	s_ashr_i32 s1, s19, 31
	s_mulk_i32 s6, 0x78
	s_mov_b32 s2, exec_lo
	v_cmpx_gt_u32_e32 0x78, v0
	s_cbranch_execz .LBB176_4
; %bb.3:
	s_load_dwordx2 s[20:21], s[4:5], 0x8
	s_waitcnt lgkmcnt(0)
	s_mul_i32 s22, s12, s10
	v_and_b32_e32 v2, 0x3fc, v0
	s_ashr_i32 s23, s22, 31
	s_lshl_b64 s[22:23], s[22:23], 2
	v_mad_u32_u24 v2, 0x78, v29, v2
	s_add_u32 s3, s20, s22
	s_addc_u32 s12, s21, s23
	s_ashr_i32 s7, s6, 31
	s_lshl_b64 s[20:21], s[6:7], 2
	s_add_u32 s20, s3, s20
	s_addc_u32 s21, s12, s21
	global_load_dword v1, v40, s[20:21]
	s_waitcnt vmcnt(0)
	ds_write_b32 v2, v1
.LBB176_4:
	s_or_b32 exec_lo, exec_lo, s2
	s_waitcnt lgkmcnt(0)
	s_add_i32 s2, s11, 7
	s_clause 0x1
	s_load_dwordx2 s[22:23], s[4:5], 0x28
	s_load_dword s7, s[4:5], 0x38
	s_ashr_i32 s3, s2, 31
	s_xor_b32 s0, s0, s1
	s_lshr_b32 s3, s3, 29
	s_mul_i32 s1, s18, s16
	s_add_i32 s2, s2, s3
	s_sub_i32 s1, s17, s1
	s_ashr_i32 s12, s2, 3
	s_add_i32 s2, s18, 1
	s_sub_i32 s3, s1, s16
	s_cmp_ge_u32 s1, s16
	v_lshrrev_b32_e32 v39, 5, v0
	s_cselect_b32 s2, s2, s18
	s_cselect_b32 s1, s3, s1
	s_add_i32 s3, s2, 1
	s_cmp_ge_u32 s1, s16
	v_mbcnt_lo_u32_b32 v42, -1, 0
	s_cselect_b32 s1, s3, s2
	s_waitcnt lgkmcnt(0)
	s_xor_b32 s1, s1, s0
	s_mul_i32 s24, s7, s10
	s_sub_i32 s1, s1, s0
	v_cmp_le_i32_e64 s0, s12, v39
	s_ashr_i32 s25, s24, 31
	s_barrier
	buffer_gl0_inv
                                        ; implicit-def: $vgpr30
                                        ; implicit-def: $vgpr43
	s_and_saveexec_b32 s2, s0
	s_xor_b32 s2, exec_lo, s2
; %bb.5:
	v_mov_b32_e32 v30, 0
	v_mbcnt_lo_u32_b32 v42, -1, 0
	v_mov_b32_e32 v43, 32
                                        ; implicit-def: $vgpr29
; %bb.6:
	s_or_saveexec_b32 s15, s2
	s_clause 0x3
	s_load_dwordx2 s[20:21], s[4:5], 0x0
	s_load_dwordx2 s[26:27], s[4:5], 0x18
	s_load_dword s7, s[4:5], 0x88
	s_load_dwordx4 s[16:19], s[4:5], 0x58
	v_mov_b32_e32 v44, 0xff7fffff
	v_lshrrev_b32_e32 v41, 3, v0
	s_mul_i32 s14, s1, s14
	s_xor_b32 exec_lo, exec_lo, s15
	s_cbranch_execz .LBB176_252
; %bb.7:
	s_load_dwordx2 s[2:3], s[4:5], 0x10
	v_xor_b32_e32 v25, 2, v42
	v_bfe_u32 v35, v0, 2, 3
	v_xor_b32_e32 v26, 1, v42
	v_mul_u32_u24_e32 v31, 0x78, v29
	ds_read2_b64 v[1:4], v31 offset1:1
	ds_read2_b64 v[5:8], v31 offset0:2 offset1:3
	ds_read2_b64 v[9:12], v31 offset0:4 offset1:5
	;; [unrolled: 1-line block ×5, first 2 shown]
	v_cmp_gt_i32_e32 vcc_lo, 32, v25
	v_lshlrev_b32_e32 v27, 4, v35
	s_ashr_i32 s1, s14, 31
	v_lshlrev_b32_e32 v38, 2, v35
	v_lshl_or_b32 v47, v39, 3, v35
	v_cndmask_b32_e32 v33, v42, v25, vcc_lo
	v_cmp_gt_i32_e32 vcc_lo, 32, v26
	v_and_b32_e32 v35, 0x7c, v41
	v_mov_b32_e32 v30, 0
	v_mov_b32_e32 v43, 32
	s_waitcnt lgkmcnt(0)
	s_add_u32 s2, s2, s14
	v_cndmask_b32_e32 v34, v42, v26, vcc_lo
	v_add_co_u32 v36, s2, s2, v27
	ds_read2_b64 v[25:28], v31 offset0:12 offset1:13
	ds_read_b64 v[31:32], v31 offset:112
	s_load_dword s4, s[16:17], 0x0
	s_addc_u32 s1, s3, s1
	v_lshlrev_b32_e32 v45, 2, v33
	v_add_co_ci_u32_e64 v37, null, s1, 0, s2
	v_add_co_u32 v33, s2, v36, v29
	v_lshlrev_b32_e32 v46, 2, v34
	v_add_co_ci_u32_e64 v34, null, 0, v37, s2
	s_lshl_b64 s[2:3], s[24:25], 2
	v_cmp_eq_u32_e32 vcc_lo, 0, v29
	v_lshl_or_b32 v29, v39, 5, v38
	s_sub_i32 s5, 1, s11
	s_add_u32 s2, s22, s2
	s_addc_u32 s3, s23, s3
	v_add_co_u32 v35, s2, s2, v35
	v_cmp_neq_f32_e64 s1, s28, 0
	v_add_nc_u32_e32 v48, 0x200, v29
	v_add_co_ci_u32_e64 v36, null, s3, 0, s2
	v_mov_b32_e32 v44, 0xff7fffff
	v_mov_b32_e32 v49, 0x7f
	;; [unrolled: 1-line block ×4, first 2 shown]
	s_mov_b32 s17, s13
	s_mov_b32 s16, 0
	s_branch .LBB176_9
.LBB176_8:                              ;   in Loop: Header=BB176_9 Depth=1
	s_or_b32 exec_lo, exec_lo, s3
	v_add_nc_u32_e32 v51, 4, v51
	v_add_co_u32 v35, s3, v35, 16
	v_add_nc_u32_e32 v47, 32, v47
	v_add_nc_u32_e32 v48, 0x80, v48
	v_cmp_le_i32_e64 s2, s12, v51
	v_add_co_ci_u32_e64 v36, null, 0, v36, s3
	s_or_b32 s16, s2, s16
	s_andn2_b32 exec_lo, exec_lo, s16
	s_cbranch_execz .LBB176_251
.LBB176_9:                              ; =>This Inner Loop Header: Depth=1
	global_load_dword v29, v[35:36], off
	v_mov_b32_e32 v52, 0
	v_mov_b32_e32 v53, 0
	s_mov_b32 s3, exec_lo
	s_waitcnt vmcnt(0) lgkmcnt(0)
	v_mad_i64_i32 v[37:38], null, v29, s17, v[33:34]
	global_load_ubyte v54, v[37:38], off
	s_waitcnt vmcnt(0)
	v_cmpx_ne_u16_e32 0, v54
	s_cbranch_execz .LBB176_17
; %bb.10:                               ;   in Loop: Header=BB176_9 Depth=1
	v_bfrev_b32_e32 v53, 1
	s_mov_b32 s30, exec_lo
	v_cmpx_ne_u16_e32 0x80, v54
	s_cbranch_execz .LBB176_16
; %bb.11:                               ;   in Loop: Header=BB176_9 Depth=1
	v_and_b32_sdwa v55, v54, v49 dst_sel:DWORD dst_unused:UNUSED_PAD src0_sel:WORD_0 src1_sel:DWORD
	v_mov_b32_e32 v53, 0x7f800001
	s_mov_b32 s31, exec_lo
	v_cmpx_ne_u32_e32 0x7f, v55
	s_cbranch_execz .LBB176_15
; %bb.12:                               ;   in Loop: Header=BB176_9 Depth=1
	v_and_b32_sdwa v29, v54, v50 dst_sel:DWORD dst_unused:UNUSED_PAD src0_sel:WORD_0 src1_sel:DWORD
	v_lshrrev_b32_e32 v53, 3, v55
	s_mov_b32 s33, exec_lo
	v_cmpx_gt_u32_e32 8, v55
; %bb.13:                               ;   in Loop: Header=BB176_9 Depth=1
	v_ffbh_u32_e32 v53, v29
	v_min_u32_e32 v53, 32, v53
	v_subrev_nc_u32_e32 v55, 28, v53
	v_sub_nc_u32_e32 v53, 29, v53
	v_lshlrev_b64 v[55:56], v55, v[29:30]
	v_and_b32_e32 v29, 7, v55
; %bb.14:                               ;   in Loop: Header=BB176_9 Depth=1
	s_or_b32 exec_lo, exec_lo, s33
	v_lshlrev_b32_e32 v54, 24, v54
	v_lshlrev_b32_e32 v29, 20, v29
	v_lshl_add_u32 v53, v53, 23, 0x3c000000
	v_and_b32_e32 v54, 0x80000000, v54
	v_or3_b32 v53, v29, v54, v53
.LBB176_15:                             ;   in Loop: Header=BB176_9 Depth=1
	s_or_b32 exec_lo, exec_lo, s31
.LBB176_16:                             ;   in Loop: Header=BB176_9 Depth=1
	s_or_b32 exec_lo, exec_lo, s30
.LBB176_17:                             ;   in Loop: Header=BB176_9 Depth=1
	s_or_b32 exec_lo, exec_lo, s3
	global_load_ubyte v54, v[37:38], off offset:4
	s_mov_b32 s3, exec_lo
	s_waitcnt vmcnt(0)
	v_cmpx_ne_u16_e32 0, v54
	s_cbranch_execz .LBB176_25
; %bb.18:                               ;   in Loop: Header=BB176_9 Depth=1
	v_bfrev_b32_e32 v52, 1
	s_mov_b32 s30, exec_lo
	v_cmpx_ne_u16_e32 0x80, v54
	s_cbranch_execz .LBB176_24
; %bb.19:                               ;   in Loop: Header=BB176_9 Depth=1
	v_and_b32_sdwa v55, v54, v49 dst_sel:DWORD dst_unused:UNUSED_PAD src0_sel:WORD_0 src1_sel:DWORD
	v_mov_b32_e32 v52, 0x7f800001
	s_mov_b32 s31, exec_lo
	v_cmpx_ne_u32_e32 0x7f, v55
	s_cbranch_execz .LBB176_23
; %bb.20:                               ;   in Loop: Header=BB176_9 Depth=1
	v_and_b32_sdwa v29, v54, v50 dst_sel:DWORD dst_unused:UNUSED_PAD src0_sel:WORD_0 src1_sel:DWORD
	v_lshrrev_b32_e32 v52, 3, v55
	s_mov_b32 s33, exec_lo
	v_cmpx_gt_u32_e32 8, v55
; %bb.21:                               ;   in Loop: Header=BB176_9 Depth=1
	v_ffbh_u32_e32 v52, v29
	v_min_u32_e32 v52, 32, v52
	v_subrev_nc_u32_e32 v55, 28, v52
	v_sub_nc_u32_e32 v52, 29, v52
	v_lshlrev_b64 v[55:56], v55, v[29:30]
	v_and_b32_e32 v29, 7, v55
; %bb.22:                               ;   in Loop: Header=BB176_9 Depth=1
	s_or_b32 exec_lo, exec_lo, s33
	v_lshlrev_b32_e32 v54, 24, v54
	v_lshlrev_b32_e32 v29, 20, v29
	v_lshl_add_u32 v52, v52, 23, 0x3c000000
	v_and_b32_e32 v54, 0x80000000, v54
	v_or3_b32 v52, v29, v54, v52
.LBB176_23:                             ;   in Loop: Header=BB176_9 Depth=1
	s_or_b32 exec_lo, exec_lo, s31
.LBB176_24:                             ;   in Loop: Header=BB176_9 Depth=1
	s_or_b32 exec_lo, exec_lo, s30
.LBB176_25:                             ;   in Loop: Header=BB176_9 Depth=1
	s_or_b32 exec_lo, exec_lo, s3
	global_load_ubyte v56, v[37:38], off offset:8
	v_mov_b32_e32 v54, 0
	v_mov_b32_e32 v55, 0
	s_mov_b32 s3, exec_lo
	s_waitcnt vmcnt(0)
	v_cmpx_ne_u16_e32 0, v56
	s_cbranch_execz .LBB176_33
; %bb.26:                               ;   in Loop: Header=BB176_9 Depth=1
	v_bfrev_b32_e32 v55, 1
	s_mov_b32 s30, exec_lo
	v_cmpx_ne_u16_e32 0x80, v56
	s_cbranch_execz .LBB176_32
; %bb.27:                               ;   in Loop: Header=BB176_9 Depth=1
	v_and_b32_sdwa v57, v56, v49 dst_sel:DWORD dst_unused:UNUSED_PAD src0_sel:WORD_0 src1_sel:DWORD
	v_mov_b32_e32 v55, 0x7f800001
	s_mov_b32 s31, exec_lo
	v_cmpx_ne_u32_e32 0x7f, v57
	s_cbranch_execz .LBB176_31
; %bb.28:                               ;   in Loop: Header=BB176_9 Depth=1
	v_and_b32_sdwa v29, v56, v50 dst_sel:DWORD dst_unused:UNUSED_PAD src0_sel:WORD_0 src1_sel:DWORD
	v_lshrrev_b32_e32 v55, 3, v57
	s_mov_b32 s33, exec_lo
	v_cmpx_gt_u32_e32 8, v57
; %bb.29:                               ;   in Loop: Header=BB176_9 Depth=1
	v_ffbh_u32_e32 v55, v29
	v_min_u32_e32 v55, 32, v55
	v_subrev_nc_u32_e32 v57, 28, v55
	v_sub_nc_u32_e32 v55, 29, v55
	v_lshlrev_b64 v[57:58], v57, v[29:30]
	v_and_b32_e32 v29, 7, v57
; %bb.30:                               ;   in Loop: Header=BB176_9 Depth=1
	s_or_b32 exec_lo, exec_lo, s33
	v_lshlrev_b32_e32 v56, 24, v56
	v_lshlrev_b32_e32 v29, 20, v29
	v_lshl_add_u32 v55, v55, 23, 0x3c000000
	v_and_b32_e32 v56, 0x80000000, v56
	v_or3_b32 v55, v29, v56, v55
.LBB176_31:                             ;   in Loop: Header=BB176_9 Depth=1
	s_or_b32 exec_lo, exec_lo, s31
.LBB176_32:                             ;   in Loop: Header=BB176_9 Depth=1
	s_or_b32 exec_lo, exec_lo, s30
.LBB176_33:                             ;   in Loop: Header=BB176_9 Depth=1
	s_or_b32 exec_lo, exec_lo, s3
	global_load_ubyte v56, v[37:38], off offset:12
	s_mov_b32 s3, exec_lo
	s_waitcnt vmcnt(0)
	v_cmpx_ne_u16_e32 0, v56
	s_cbranch_execz .LBB176_41
; %bb.34:                               ;   in Loop: Header=BB176_9 Depth=1
	v_bfrev_b32_e32 v54, 1
	s_mov_b32 s30, exec_lo
	v_cmpx_ne_u16_e32 0x80, v56
	s_cbranch_execz .LBB176_40
; %bb.35:                               ;   in Loop: Header=BB176_9 Depth=1
	v_and_b32_sdwa v57, v56, v49 dst_sel:DWORD dst_unused:UNUSED_PAD src0_sel:WORD_0 src1_sel:DWORD
	v_mov_b32_e32 v54, 0x7f800001
	s_mov_b32 s31, exec_lo
	v_cmpx_ne_u32_e32 0x7f, v57
	s_cbranch_execz .LBB176_39
; %bb.36:                               ;   in Loop: Header=BB176_9 Depth=1
	v_and_b32_sdwa v29, v56, v50 dst_sel:DWORD dst_unused:UNUSED_PAD src0_sel:WORD_0 src1_sel:DWORD
	v_lshrrev_b32_e32 v54, 3, v57
	s_mov_b32 s33, exec_lo
	v_cmpx_gt_u32_e32 8, v57
; %bb.37:                               ;   in Loop: Header=BB176_9 Depth=1
	v_ffbh_u32_e32 v54, v29
	v_min_u32_e32 v54, 32, v54
	v_subrev_nc_u32_e32 v57, 28, v54
	v_sub_nc_u32_e32 v54, 29, v54
	v_lshlrev_b64 v[57:58], v57, v[29:30]
	v_and_b32_e32 v29, 7, v57
; %bb.38:                               ;   in Loop: Header=BB176_9 Depth=1
	s_or_b32 exec_lo, exec_lo, s33
	v_lshlrev_b32_e32 v56, 24, v56
	v_lshlrev_b32_e32 v29, 20, v29
	v_lshl_add_u32 v54, v54, 23, 0x3c000000
	v_and_b32_e32 v56, 0x80000000, v56
	v_or3_b32 v54, v29, v56, v54
.LBB176_39:                             ;   in Loop: Header=BB176_9 Depth=1
	s_or_b32 exec_lo, exec_lo, s31
.LBB176_40:                             ;   in Loop: Header=BB176_9 Depth=1
	s_or_b32 exec_lo, exec_lo, s30
.LBB176_41:                             ;   in Loop: Header=BB176_9 Depth=1
	s_or_b32 exec_lo, exec_lo, s3
	global_load_ubyte v58, v[37:38], off offset:128
	v_mov_b32_e32 v56, 0
	v_mov_b32_e32 v57, 0
	s_mov_b32 s3, exec_lo
	s_waitcnt vmcnt(0)
	v_cmpx_ne_u16_e32 0, v58
	s_cbranch_execz .LBB176_49
; %bb.42:                               ;   in Loop: Header=BB176_9 Depth=1
	v_bfrev_b32_e32 v57, 1
	s_mov_b32 s30, exec_lo
	v_cmpx_ne_u16_e32 0x80, v58
	s_cbranch_execz .LBB176_48
; %bb.43:                               ;   in Loop: Header=BB176_9 Depth=1
	v_and_b32_sdwa v59, v58, v49 dst_sel:DWORD dst_unused:UNUSED_PAD src0_sel:WORD_0 src1_sel:DWORD
	v_mov_b32_e32 v57, 0x7f800001
	s_mov_b32 s31, exec_lo
	v_cmpx_ne_u32_e32 0x7f, v59
	s_cbranch_execz .LBB176_47
; %bb.44:                               ;   in Loop: Header=BB176_9 Depth=1
	v_and_b32_sdwa v29, v58, v50 dst_sel:DWORD dst_unused:UNUSED_PAD src0_sel:WORD_0 src1_sel:DWORD
	v_lshrrev_b32_e32 v57, 3, v59
	s_mov_b32 s33, exec_lo
	v_cmpx_gt_u32_e32 8, v59
; %bb.45:                               ;   in Loop: Header=BB176_9 Depth=1
	v_ffbh_u32_e32 v57, v29
	v_min_u32_e32 v57, 32, v57
	v_subrev_nc_u32_e32 v59, 28, v57
	v_sub_nc_u32_e32 v57, 29, v57
	v_lshlrev_b64 v[59:60], v59, v[29:30]
	v_and_b32_e32 v29, 7, v59
; %bb.46:                               ;   in Loop: Header=BB176_9 Depth=1
	s_or_b32 exec_lo, exec_lo, s33
	v_lshlrev_b32_e32 v58, 24, v58
	v_lshlrev_b32_e32 v29, 20, v29
	v_lshl_add_u32 v57, v57, 23, 0x3c000000
	v_and_b32_e32 v58, 0x80000000, v58
	v_or3_b32 v57, v29, v58, v57
.LBB176_47:                             ;   in Loop: Header=BB176_9 Depth=1
	s_or_b32 exec_lo, exec_lo, s31
.LBB176_48:                             ;   in Loop: Header=BB176_9 Depth=1
	s_or_b32 exec_lo, exec_lo, s30
.LBB176_49:                             ;   in Loop: Header=BB176_9 Depth=1
	s_or_b32 exec_lo, exec_lo, s3
	global_load_ubyte v58, v[37:38], off offset:132
	s_mov_b32 s3, exec_lo
	s_waitcnt vmcnt(0)
	v_cmpx_ne_u16_e32 0, v58
	s_cbranch_execz .LBB176_57
; %bb.50:                               ;   in Loop: Header=BB176_9 Depth=1
	v_bfrev_b32_e32 v56, 1
	s_mov_b32 s30, exec_lo
	v_cmpx_ne_u16_e32 0x80, v58
	s_cbranch_execz .LBB176_56
; %bb.51:                               ;   in Loop: Header=BB176_9 Depth=1
	v_and_b32_sdwa v59, v58, v49 dst_sel:DWORD dst_unused:UNUSED_PAD src0_sel:WORD_0 src1_sel:DWORD
	v_mov_b32_e32 v56, 0x7f800001
	s_mov_b32 s31, exec_lo
	v_cmpx_ne_u32_e32 0x7f, v59
	s_cbranch_execz .LBB176_55
; %bb.52:                               ;   in Loop: Header=BB176_9 Depth=1
	v_and_b32_sdwa v29, v58, v50 dst_sel:DWORD dst_unused:UNUSED_PAD src0_sel:WORD_0 src1_sel:DWORD
	v_lshrrev_b32_e32 v56, 3, v59
	s_mov_b32 s33, exec_lo
	v_cmpx_gt_u32_e32 8, v59
; %bb.53:                               ;   in Loop: Header=BB176_9 Depth=1
	v_ffbh_u32_e32 v56, v29
	v_min_u32_e32 v56, 32, v56
	v_subrev_nc_u32_e32 v59, 28, v56
	v_sub_nc_u32_e32 v56, 29, v56
	v_lshlrev_b64 v[59:60], v59, v[29:30]
	v_and_b32_e32 v29, 7, v59
; %bb.54:                               ;   in Loop: Header=BB176_9 Depth=1
	s_or_b32 exec_lo, exec_lo, s33
	v_lshlrev_b32_e32 v58, 24, v58
	v_lshlrev_b32_e32 v29, 20, v29
	v_lshl_add_u32 v56, v56, 23, 0x3c000000
	v_and_b32_e32 v58, 0x80000000, v58
	v_or3_b32 v56, v29, v58, v56
.LBB176_55:                             ;   in Loop: Header=BB176_9 Depth=1
	s_or_b32 exec_lo, exec_lo, s31
.LBB176_56:                             ;   in Loop: Header=BB176_9 Depth=1
	s_or_b32 exec_lo, exec_lo, s30
.LBB176_57:                             ;   in Loop: Header=BB176_9 Depth=1
	s_or_b32 exec_lo, exec_lo, s3
	global_load_ubyte v60, v[37:38], off offset:136
	v_mov_b32_e32 v58, 0
	v_mov_b32_e32 v59, 0
	s_mov_b32 s3, exec_lo
	s_waitcnt vmcnt(0)
	v_cmpx_ne_u16_e32 0, v60
	s_cbranch_execz .LBB176_65
; %bb.58:                               ;   in Loop: Header=BB176_9 Depth=1
	v_bfrev_b32_e32 v59, 1
	s_mov_b32 s30, exec_lo
	v_cmpx_ne_u16_e32 0x80, v60
	s_cbranch_execz .LBB176_64
; %bb.59:                               ;   in Loop: Header=BB176_9 Depth=1
	v_and_b32_sdwa v61, v60, v49 dst_sel:DWORD dst_unused:UNUSED_PAD src0_sel:WORD_0 src1_sel:DWORD
	v_mov_b32_e32 v59, 0x7f800001
	s_mov_b32 s31, exec_lo
	v_cmpx_ne_u32_e32 0x7f, v61
	s_cbranch_execz .LBB176_63
; %bb.60:                               ;   in Loop: Header=BB176_9 Depth=1
	v_and_b32_sdwa v29, v60, v50 dst_sel:DWORD dst_unused:UNUSED_PAD src0_sel:WORD_0 src1_sel:DWORD
	v_lshrrev_b32_e32 v59, 3, v61
	s_mov_b32 s33, exec_lo
	v_cmpx_gt_u32_e32 8, v61
; %bb.61:                               ;   in Loop: Header=BB176_9 Depth=1
	v_ffbh_u32_e32 v59, v29
	v_min_u32_e32 v59, 32, v59
	v_subrev_nc_u32_e32 v61, 28, v59
	v_sub_nc_u32_e32 v59, 29, v59
	v_lshlrev_b64 v[61:62], v61, v[29:30]
	v_and_b32_e32 v29, 7, v61
; %bb.62:                               ;   in Loop: Header=BB176_9 Depth=1
	s_or_b32 exec_lo, exec_lo, s33
	v_lshlrev_b32_e32 v60, 24, v60
	v_lshlrev_b32_e32 v29, 20, v29
	v_lshl_add_u32 v59, v59, 23, 0x3c000000
	v_and_b32_e32 v60, 0x80000000, v60
	v_or3_b32 v59, v29, v60, v59
.LBB176_63:                             ;   in Loop: Header=BB176_9 Depth=1
	s_or_b32 exec_lo, exec_lo, s31
.LBB176_64:                             ;   in Loop: Header=BB176_9 Depth=1
	s_or_b32 exec_lo, exec_lo, s30
.LBB176_65:                             ;   in Loop: Header=BB176_9 Depth=1
	s_or_b32 exec_lo, exec_lo, s3
	global_load_ubyte v60, v[37:38], off offset:140
	s_mov_b32 s3, exec_lo
	s_waitcnt vmcnt(0)
	v_cmpx_ne_u16_e32 0, v60
	s_cbranch_execz .LBB176_73
; %bb.66:                               ;   in Loop: Header=BB176_9 Depth=1
	v_bfrev_b32_e32 v58, 1
	s_mov_b32 s30, exec_lo
	v_cmpx_ne_u16_e32 0x80, v60
	s_cbranch_execz .LBB176_72
; %bb.67:                               ;   in Loop: Header=BB176_9 Depth=1
	v_and_b32_sdwa v61, v60, v49 dst_sel:DWORD dst_unused:UNUSED_PAD src0_sel:WORD_0 src1_sel:DWORD
	v_mov_b32_e32 v58, 0x7f800001
	s_mov_b32 s31, exec_lo
	v_cmpx_ne_u32_e32 0x7f, v61
	s_cbranch_execz .LBB176_71
; %bb.68:                               ;   in Loop: Header=BB176_9 Depth=1
	v_and_b32_sdwa v29, v60, v50 dst_sel:DWORD dst_unused:UNUSED_PAD src0_sel:WORD_0 src1_sel:DWORD
	v_lshrrev_b32_e32 v58, 3, v61
	s_mov_b32 s33, exec_lo
	v_cmpx_gt_u32_e32 8, v61
; %bb.69:                               ;   in Loop: Header=BB176_9 Depth=1
	v_ffbh_u32_e32 v58, v29
	v_min_u32_e32 v58, 32, v58
	v_subrev_nc_u32_e32 v61, 28, v58
	v_sub_nc_u32_e32 v58, 29, v58
	v_lshlrev_b64 v[61:62], v61, v[29:30]
	v_and_b32_e32 v29, 7, v61
; %bb.70:                               ;   in Loop: Header=BB176_9 Depth=1
	s_or_b32 exec_lo, exec_lo, s33
	v_lshlrev_b32_e32 v60, 24, v60
	v_lshlrev_b32_e32 v29, 20, v29
	v_lshl_add_u32 v58, v58, 23, 0x3c000000
	v_and_b32_e32 v60, 0x80000000, v60
	v_or3_b32 v58, v29, v60, v58
.LBB176_71:                             ;   in Loop: Header=BB176_9 Depth=1
	s_or_b32 exec_lo, exec_lo, s31
.LBB176_72:                             ;   in Loop: Header=BB176_9 Depth=1
	s_or_b32 exec_lo, exec_lo, s30
.LBB176_73:                             ;   in Loop: Header=BB176_9 Depth=1
	s_or_b32 exec_lo, exec_lo, s3
	global_load_ubyte v62, v[37:38], off offset:256
	v_mov_b32_e32 v60, 0
	v_mov_b32_e32 v61, 0
	s_mov_b32 s3, exec_lo
	s_waitcnt vmcnt(0)
	v_cmpx_ne_u16_e32 0, v62
	s_cbranch_execz .LBB176_81
; %bb.74:                               ;   in Loop: Header=BB176_9 Depth=1
	v_bfrev_b32_e32 v61, 1
	s_mov_b32 s30, exec_lo
	v_cmpx_ne_u16_e32 0x80, v62
	s_cbranch_execz .LBB176_80
; %bb.75:                               ;   in Loop: Header=BB176_9 Depth=1
	v_and_b32_sdwa v63, v62, v49 dst_sel:DWORD dst_unused:UNUSED_PAD src0_sel:WORD_0 src1_sel:DWORD
	v_mov_b32_e32 v61, 0x7f800001
	s_mov_b32 s31, exec_lo
	v_cmpx_ne_u32_e32 0x7f, v63
	s_cbranch_execz .LBB176_79
; %bb.76:                               ;   in Loop: Header=BB176_9 Depth=1
	v_and_b32_sdwa v29, v62, v50 dst_sel:DWORD dst_unused:UNUSED_PAD src0_sel:WORD_0 src1_sel:DWORD
	v_lshrrev_b32_e32 v61, 3, v63
	s_mov_b32 s33, exec_lo
	v_cmpx_gt_u32_e32 8, v63
; %bb.77:                               ;   in Loop: Header=BB176_9 Depth=1
	v_ffbh_u32_e32 v61, v29
	v_min_u32_e32 v61, 32, v61
	v_subrev_nc_u32_e32 v63, 28, v61
	v_sub_nc_u32_e32 v61, 29, v61
	v_lshlrev_b64 v[63:64], v63, v[29:30]
	v_and_b32_e32 v29, 7, v63
; %bb.78:                               ;   in Loop: Header=BB176_9 Depth=1
	s_or_b32 exec_lo, exec_lo, s33
	v_lshlrev_b32_e32 v62, 24, v62
	v_lshlrev_b32_e32 v29, 20, v29
	v_lshl_add_u32 v61, v61, 23, 0x3c000000
	v_and_b32_e32 v62, 0x80000000, v62
	v_or3_b32 v61, v29, v62, v61
.LBB176_79:                             ;   in Loop: Header=BB176_9 Depth=1
	s_or_b32 exec_lo, exec_lo, s31
.LBB176_80:                             ;   in Loop: Header=BB176_9 Depth=1
	s_or_b32 exec_lo, exec_lo, s30
.LBB176_81:                             ;   in Loop: Header=BB176_9 Depth=1
	s_or_b32 exec_lo, exec_lo, s3
	global_load_ubyte v62, v[37:38], off offset:260
	s_mov_b32 s3, exec_lo
	s_waitcnt vmcnt(0)
	v_cmpx_ne_u16_e32 0, v62
	s_cbranch_execz .LBB176_89
; %bb.82:                               ;   in Loop: Header=BB176_9 Depth=1
	v_bfrev_b32_e32 v60, 1
	s_mov_b32 s30, exec_lo
	v_cmpx_ne_u16_e32 0x80, v62
	s_cbranch_execz .LBB176_88
; %bb.83:                               ;   in Loop: Header=BB176_9 Depth=1
	v_and_b32_sdwa v63, v62, v49 dst_sel:DWORD dst_unused:UNUSED_PAD src0_sel:WORD_0 src1_sel:DWORD
	v_mov_b32_e32 v60, 0x7f800001
	s_mov_b32 s31, exec_lo
	v_cmpx_ne_u32_e32 0x7f, v63
	s_cbranch_execz .LBB176_87
; %bb.84:                               ;   in Loop: Header=BB176_9 Depth=1
	v_and_b32_sdwa v29, v62, v50 dst_sel:DWORD dst_unused:UNUSED_PAD src0_sel:WORD_0 src1_sel:DWORD
	v_lshrrev_b32_e32 v60, 3, v63
	s_mov_b32 s33, exec_lo
	v_cmpx_gt_u32_e32 8, v63
; %bb.85:                               ;   in Loop: Header=BB176_9 Depth=1
	v_ffbh_u32_e32 v60, v29
	v_min_u32_e32 v60, 32, v60
	v_subrev_nc_u32_e32 v63, 28, v60
	v_sub_nc_u32_e32 v60, 29, v60
	v_lshlrev_b64 v[63:64], v63, v[29:30]
	v_and_b32_e32 v29, 7, v63
; %bb.86:                               ;   in Loop: Header=BB176_9 Depth=1
	s_or_b32 exec_lo, exec_lo, s33
	v_lshlrev_b32_e32 v62, 24, v62
	v_lshlrev_b32_e32 v29, 20, v29
	v_lshl_add_u32 v60, v60, 23, 0x3c000000
	v_and_b32_e32 v62, 0x80000000, v62
	v_or3_b32 v60, v29, v62, v60
.LBB176_87:                             ;   in Loop: Header=BB176_9 Depth=1
	s_or_b32 exec_lo, exec_lo, s31
.LBB176_88:                             ;   in Loop: Header=BB176_9 Depth=1
	s_or_b32 exec_lo, exec_lo, s30
.LBB176_89:                             ;   in Loop: Header=BB176_9 Depth=1
	s_or_b32 exec_lo, exec_lo, s3
	global_load_ubyte v64, v[37:38], off offset:264
	v_mov_b32_e32 v62, 0
	v_mov_b32_e32 v63, 0
	s_mov_b32 s3, exec_lo
	s_waitcnt vmcnt(0)
	v_cmpx_ne_u16_e32 0, v64
	s_cbranch_execz .LBB176_97
; %bb.90:                               ;   in Loop: Header=BB176_9 Depth=1
	v_bfrev_b32_e32 v63, 1
	s_mov_b32 s30, exec_lo
	v_cmpx_ne_u16_e32 0x80, v64
	s_cbranch_execz .LBB176_96
; %bb.91:                               ;   in Loop: Header=BB176_9 Depth=1
	v_and_b32_sdwa v65, v64, v49 dst_sel:DWORD dst_unused:UNUSED_PAD src0_sel:WORD_0 src1_sel:DWORD
	v_mov_b32_e32 v63, 0x7f800001
	s_mov_b32 s31, exec_lo
	v_cmpx_ne_u32_e32 0x7f, v65
	s_cbranch_execz .LBB176_95
; %bb.92:                               ;   in Loop: Header=BB176_9 Depth=1
	v_and_b32_sdwa v29, v64, v50 dst_sel:DWORD dst_unused:UNUSED_PAD src0_sel:WORD_0 src1_sel:DWORD
	v_lshrrev_b32_e32 v63, 3, v65
	s_mov_b32 s33, exec_lo
	v_cmpx_gt_u32_e32 8, v65
; %bb.93:                               ;   in Loop: Header=BB176_9 Depth=1
	v_ffbh_u32_e32 v63, v29
	v_min_u32_e32 v63, 32, v63
	v_subrev_nc_u32_e32 v65, 28, v63
	v_sub_nc_u32_e32 v63, 29, v63
	v_lshlrev_b64 v[65:66], v65, v[29:30]
	v_and_b32_e32 v29, 7, v65
; %bb.94:                               ;   in Loop: Header=BB176_9 Depth=1
	s_or_b32 exec_lo, exec_lo, s33
	v_lshlrev_b32_e32 v64, 24, v64
	v_lshlrev_b32_e32 v29, 20, v29
	v_lshl_add_u32 v63, v63, 23, 0x3c000000
	v_and_b32_e32 v64, 0x80000000, v64
	v_or3_b32 v63, v29, v64, v63
.LBB176_95:                             ;   in Loop: Header=BB176_9 Depth=1
	s_or_b32 exec_lo, exec_lo, s31
.LBB176_96:                             ;   in Loop: Header=BB176_9 Depth=1
	s_or_b32 exec_lo, exec_lo, s30
.LBB176_97:                             ;   in Loop: Header=BB176_9 Depth=1
	s_or_b32 exec_lo, exec_lo, s3
	global_load_ubyte v64, v[37:38], off offset:268
	s_mov_b32 s3, exec_lo
	s_waitcnt vmcnt(0)
	v_cmpx_ne_u16_e32 0, v64
	s_cbranch_execz .LBB176_105
; %bb.98:                               ;   in Loop: Header=BB176_9 Depth=1
	v_bfrev_b32_e32 v62, 1
	s_mov_b32 s30, exec_lo
	v_cmpx_ne_u16_e32 0x80, v64
	s_cbranch_execz .LBB176_104
; %bb.99:                               ;   in Loop: Header=BB176_9 Depth=1
	v_and_b32_sdwa v65, v64, v49 dst_sel:DWORD dst_unused:UNUSED_PAD src0_sel:WORD_0 src1_sel:DWORD
	v_mov_b32_e32 v62, 0x7f800001
	s_mov_b32 s31, exec_lo
	v_cmpx_ne_u32_e32 0x7f, v65
	s_cbranch_execz .LBB176_103
; %bb.100:                              ;   in Loop: Header=BB176_9 Depth=1
	v_and_b32_sdwa v29, v64, v50 dst_sel:DWORD dst_unused:UNUSED_PAD src0_sel:WORD_0 src1_sel:DWORD
	v_lshrrev_b32_e32 v62, 3, v65
	s_mov_b32 s33, exec_lo
	v_cmpx_gt_u32_e32 8, v65
; %bb.101:                              ;   in Loop: Header=BB176_9 Depth=1
	v_ffbh_u32_e32 v62, v29
	v_min_u32_e32 v62, 32, v62
	v_subrev_nc_u32_e32 v65, 28, v62
	v_sub_nc_u32_e32 v62, 29, v62
	v_lshlrev_b64 v[65:66], v65, v[29:30]
	v_and_b32_e32 v29, 7, v65
; %bb.102:                              ;   in Loop: Header=BB176_9 Depth=1
	s_or_b32 exec_lo, exec_lo, s33
	v_lshlrev_b32_e32 v64, 24, v64
	v_lshlrev_b32_e32 v29, 20, v29
	v_lshl_add_u32 v62, v62, 23, 0x3c000000
	v_and_b32_e32 v64, 0x80000000, v64
	v_or3_b32 v62, v29, v64, v62
.LBB176_103:                            ;   in Loop: Header=BB176_9 Depth=1
	s_or_b32 exec_lo, exec_lo, s31
.LBB176_104:                            ;   in Loop: Header=BB176_9 Depth=1
	s_or_b32 exec_lo, exec_lo, s30
.LBB176_105:                            ;   in Loop: Header=BB176_9 Depth=1
	s_or_b32 exec_lo, exec_lo, s3
	global_load_ubyte v66, v[37:38], off offset:384
	v_mov_b32_e32 v64, 0
	v_mov_b32_e32 v65, 0
	s_mov_b32 s3, exec_lo
	s_waitcnt vmcnt(0)
	v_cmpx_ne_u16_e32 0, v66
	s_cbranch_execz .LBB176_113
; %bb.106:                              ;   in Loop: Header=BB176_9 Depth=1
	v_bfrev_b32_e32 v65, 1
	s_mov_b32 s30, exec_lo
	v_cmpx_ne_u16_e32 0x80, v66
	s_cbranch_execz .LBB176_112
; %bb.107:                              ;   in Loop: Header=BB176_9 Depth=1
	v_and_b32_sdwa v67, v66, v49 dst_sel:DWORD dst_unused:UNUSED_PAD src0_sel:WORD_0 src1_sel:DWORD
	v_mov_b32_e32 v65, 0x7f800001
	s_mov_b32 s31, exec_lo
	v_cmpx_ne_u32_e32 0x7f, v67
	s_cbranch_execz .LBB176_111
; %bb.108:                              ;   in Loop: Header=BB176_9 Depth=1
	v_and_b32_sdwa v29, v66, v50 dst_sel:DWORD dst_unused:UNUSED_PAD src0_sel:WORD_0 src1_sel:DWORD
	v_lshrrev_b32_e32 v65, 3, v67
	s_mov_b32 s33, exec_lo
	v_cmpx_gt_u32_e32 8, v67
; %bb.109:                              ;   in Loop: Header=BB176_9 Depth=1
	v_ffbh_u32_e32 v65, v29
	v_min_u32_e32 v65, 32, v65
	v_subrev_nc_u32_e32 v67, 28, v65
	v_sub_nc_u32_e32 v65, 29, v65
	v_lshlrev_b64 v[67:68], v67, v[29:30]
	v_and_b32_e32 v29, 7, v67
; %bb.110:                              ;   in Loop: Header=BB176_9 Depth=1
	s_or_b32 exec_lo, exec_lo, s33
	v_lshlrev_b32_e32 v66, 24, v66
	v_lshlrev_b32_e32 v29, 20, v29
	v_lshl_add_u32 v65, v65, 23, 0x3c000000
	v_and_b32_e32 v66, 0x80000000, v66
	v_or3_b32 v65, v29, v66, v65
.LBB176_111:                            ;   in Loop: Header=BB176_9 Depth=1
	s_or_b32 exec_lo, exec_lo, s31
.LBB176_112:                            ;   in Loop: Header=BB176_9 Depth=1
	s_or_b32 exec_lo, exec_lo, s30
.LBB176_113:                            ;   in Loop: Header=BB176_9 Depth=1
	s_or_b32 exec_lo, exec_lo, s3
	global_load_ubyte v66, v[37:38], off offset:388
	s_mov_b32 s3, exec_lo
	s_waitcnt vmcnt(0)
	v_cmpx_ne_u16_e32 0, v66
	s_cbranch_execz .LBB176_121
; %bb.114:                              ;   in Loop: Header=BB176_9 Depth=1
	v_bfrev_b32_e32 v64, 1
	s_mov_b32 s30, exec_lo
	v_cmpx_ne_u16_e32 0x80, v66
	s_cbranch_execz .LBB176_120
; %bb.115:                              ;   in Loop: Header=BB176_9 Depth=1
	v_and_b32_sdwa v67, v66, v49 dst_sel:DWORD dst_unused:UNUSED_PAD src0_sel:WORD_0 src1_sel:DWORD
	v_mov_b32_e32 v64, 0x7f800001
	s_mov_b32 s31, exec_lo
	v_cmpx_ne_u32_e32 0x7f, v67
	s_cbranch_execz .LBB176_119
; %bb.116:                              ;   in Loop: Header=BB176_9 Depth=1
	v_and_b32_sdwa v29, v66, v50 dst_sel:DWORD dst_unused:UNUSED_PAD src0_sel:WORD_0 src1_sel:DWORD
	v_lshrrev_b32_e32 v64, 3, v67
	s_mov_b32 s33, exec_lo
	v_cmpx_gt_u32_e32 8, v67
; %bb.117:                              ;   in Loop: Header=BB176_9 Depth=1
	v_ffbh_u32_e32 v64, v29
	v_min_u32_e32 v64, 32, v64
	v_subrev_nc_u32_e32 v67, 28, v64
	v_sub_nc_u32_e32 v64, 29, v64
	v_lshlrev_b64 v[67:68], v67, v[29:30]
	v_and_b32_e32 v29, 7, v67
; %bb.118:                              ;   in Loop: Header=BB176_9 Depth=1
	s_or_b32 exec_lo, exec_lo, s33
	v_lshlrev_b32_e32 v66, 24, v66
	v_lshlrev_b32_e32 v29, 20, v29
	v_lshl_add_u32 v64, v64, 23, 0x3c000000
	v_and_b32_e32 v66, 0x80000000, v66
	v_or3_b32 v64, v29, v66, v64
.LBB176_119:                            ;   in Loop: Header=BB176_9 Depth=1
	s_or_b32 exec_lo, exec_lo, s31
.LBB176_120:                            ;   in Loop: Header=BB176_9 Depth=1
	s_or_b32 exec_lo, exec_lo, s30
.LBB176_121:                            ;   in Loop: Header=BB176_9 Depth=1
	s_or_b32 exec_lo, exec_lo, s3
	global_load_ubyte v68, v[37:38], off offset:392
	v_mov_b32_e32 v66, 0
	v_mov_b32_e32 v67, 0
	s_mov_b32 s3, exec_lo
	s_waitcnt vmcnt(0)
	v_cmpx_ne_u16_e32 0, v68
	s_cbranch_execz .LBB176_129
; %bb.122:                              ;   in Loop: Header=BB176_9 Depth=1
	v_bfrev_b32_e32 v67, 1
	s_mov_b32 s30, exec_lo
	v_cmpx_ne_u16_e32 0x80, v68
	s_cbranch_execz .LBB176_128
; %bb.123:                              ;   in Loop: Header=BB176_9 Depth=1
	v_and_b32_sdwa v69, v68, v49 dst_sel:DWORD dst_unused:UNUSED_PAD src0_sel:WORD_0 src1_sel:DWORD
	v_mov_b32_e32 v67, 0x7f800001
	s_mov_b32 s31, exec_lo
	v_cmpx_ne_u32_e32 0x7f, v69
	s_cbranch_execz .LBB176_127
; %bb.124:                              ;   in Loop: Header=BB176_9 Depth=1
	v_and_b32_sdwa v29, v68, v50 dst_sel:DWORD dst_unused:UNUSED_PAD src0_sel:WORD_0 src1_sel:DWORD
	v_lshrrev_b32_e32 v67, 3, v69
	s_mov_b32 s33, exec_lo
	v_cmpx_gt_u32_e32 8, v69
; %bb.125:                              ;   in Loop: Header=BB176_9 Depth=1
	v_ffbh_u32_e32 v67, v29
	v_min_u32_e32 v67, 32, v67
	v_subrev_nc_u32_e32 v69, 28, v67
	v_sub_nc_u32_e32 v67, 29, v67
	v_lshlrev_b64 v[69:70], v69, v[29:30]
	v_and_b32_e32 v29, 7, v69
; %bb.126:                              ;   in Loop: Header=BB176_9 Depth=1
	s_or_b32 exec_lo, exec_lo, s33
	v_lshlrev_b32_e32 v68, 24, v68
	v_lshlrev_b32_e32 v29, 20, v29
	v_lshl_add_u32 v67, v67, 23, 0x3c000000
	v_and_b32_e32 v68, 0x80000000, v68
	v_or3_b32 v67, v29, v68, v67
.LBB176_127:                            ;   in Loop: Header=BB176_9 Depth=1
	s_or_b32 exec_lo, exec_lo, s31
.LBB176_128:                            ;   in Loop: Header=BB176_9 Depth=1
	s_or_b32 exec_lo, exec_lo, s30
.LBB176_129:                            ;   in Loop: Header=BB176_9 Depth=1
	s_or_b32 exec_lo, exec_lo, s3
	global_load_ubyte v68, v[37:38], off offset:396
	s_mov_b32 s3, exec_lo
	s_waitcnt vmcnt(0)
	v_cmpx_ne_u16_e32 0, v68
	s_cbranch_execz .LBB176_137
; %bb.130:                              ;   in Loop: Header=BB176_9 Depth=1
	v_bfrev_b32_e32 v66, 1
	s_mov_b32 s30, exec_lo
	v_cmpx_ne_u16_e32 0x80, v68
	s_cbranch_execz .LBB176_136
; %bb.131:                              ;   in Loop: Header=BB176_9 Depth=1
	v_and_b32_sdwa v69, v68, v49 dst_sel:DWORD dst_unused:UNUSED_PAD src0_sel:WORD_0 src1_sel:DWORD
	v_mov_b32_e32 v66, 0x7f800001
	s_mov_b32 s31, exec_lo
	v_cmpx_ne_u32_e32 0x7f, v69
	s_cbranch_execz .LBB176_135
; %bb.132:                              ;   in Loop: Header=BB176_9 Depth=1
	v_and_b32_sdwa v29, v68, v50 dst_sel:DWORD dst_unused:UNUSED_PAD src0_sel:WORD_0 src1_sel:DWORD
	v_lshrrev_b32_e32 v66, 3, v69
	s_mov_b32 s33, exec_lo
	v_cmpx_gt_u32_e32 8, v69
; %bb.133:                              ;   in Loop: Header=BB176_9 Depth=1
	v_ffbh_u32_e32 v66, v29
	v_min_u32_e32 v66, 32, v66
	v_subrev_nc_u32_e32 v69, 28, v66
	v_sub_nc_u32_e32 v66, 29, v66
	v_lshlrev_b64 v[69:70], v69, v[29:30]
	v_and_b32_e32 v29, 7, v69
; %bb.134:                              ;   in Loop: Header=BB176_9 Depth=1
	s_or_b32 exec_lo, exec_lo, s33
	v_lshlrev_b32_e32 v68, 24, v68
	v_lshlrev_b32_e32 v29, 20, v29
	v_lshl_add_u32 v66, v66, 23, 0x3c000000
	v_and_b32_e32 v68, 0x80000000, v68
	v_or3_b32 v66, v29, v68, v66
.LBB176_135:                            ;   in Loop: Header=BB176_9 Depth=1
	s_or_b32 exec_lo, exec_lo, s31
.LBB176_136:                            ;   in Loop: Header=BB176_9 Depth=1
	s_or_b32 exec_lo, exec_lo, s30
.LBB176_137:                            ;   in Loop: Header=BB176_9 Depth=1
	s_or_b32 exec_lo, exec_lo, s3
	global_load_ubyte v70, v[37:38], off offset:512
	v_mov_b32_e32 v68, 0
	v_mov_b32_e32 v69, 0
	s_mov_b32 s3, exec_lo
	s_waitcnt vmcnt(0)
	v_cmpx_ne_u16_e32 0, v70
	s_cbranch_execz .LBB176_145
; %bb.138:                              ;   in Loop: Header=BB176_9 Depth=1
	v_bfrev_b32_e32 v69, 1
	s_mov_b32 s30, exec_lo
	v_cmpx_ne_u16_e32 0x80, v70
	s_cbranch_execz .LBB176_144
; %bb.139:                              ;   in Loop: Header=BB176_9 Depth=1
	v_and_b32_sdwa v71, v70, v49 dst_sel:DWORD dst_unused:UNUSED_PAD src0_sel:WORD_0 src1_sel:DWORD
	v_mov_b32_e32 v69, 0x7f800001
	s_mov_b32 s31, exec_lo
	v_cmpx_ne_u32_e32 0x7f, v71
	s_cbranch_execz .LBB176_143
; %bb.140:                              ;   in Loop: Header=BB176_9 Depth=1
	v_and_b32_sdwa v29, v70, v50 dst_sel:DWORD dst_unused:UNUSED_PAD src0_sel:WORD_0 src1_sel:DWORD
	v_lshrrev_b32_e32 v69, 3, v71
	s_mov_b32 s33, exec_lo
	v_cmpx_gt_u32_e32 8, v71
; %bb.141:                              ;   in Loop: Header=BB176_9 Depth=1
	v_ffbh_u32_e32 v69, v29
	v_min_u32_e32 v69, 32, v69
	v_subrev_nc_u32_e32 v71, 28, v69
	v_sub_nc_u32_e32 v69, 29, v69
	v_lshlrev_b64 v[71:72], v71, v[29:30]
	v_and_b32_e32 v29, 7, v71
; %bb.142:                              ;   in Loop: Header=BB176_9 Depth=1
	s_or_b32 exec_lo, exec_lo, s33
	v_lshlrev_b32_e32 v70, 24, v70
	v_lshlrev_b32_e32 v29, 20, v29
	v_lshl_add_u32 v69, v69, 23, 0x3c000000
	v_and_b32_e32 v70, 0x80000000, v70
	v_or3_b32 v69, v29, v70, v69
.LBB176_143:                            ;   in Loop: Header=BB176_9 Depth=1
	s_or_b32 exec_lo, exec_lo, s31
.LBB176_144:                            ;   in Loop: Header=BB176_9 Depth=1
	s_or_b32 exec_lo, exec_lo, s30
.LBB176_145:                            ;   in Loop: Header=BB176_9 Depth=1
	s_or_b32 exec_lo, exec_lo, s3
	global_load_ubyte v70, v[37:38], off offset:516
	s_mov_b32 s3, exec_lo
	s_waitcnt vmcnt(0)
	v_cmpx_ne_u16_e32 0, v70
	s_cbranch_execz .LBB176_153
; %bb.146:                              ;   in Loop: Header=BB176_9 Depth=1
	v_bfrev_b32_e32 v68, 1
	s_mov_b32 s30, exec_lo
	v_cmpx_ne_u16_e32 0x80, v70
	s_cbranch_execz .LBB176_152
; %bb.147:                              ;   in Loop: Header=BB176_9 Depth=1
	v_and_b32_sdwa v71, v70, v49 dst_sel:DWORD dst_unused:UNUSED_PAD src0_sel:WORD_0 src1_sel:DWORD
	v_mov_b32_e32 v68, 0x7f800001
	s_mov_b32 s31, exec_lo
	v_cmpx_ne_u32_e32 0x7f, v71
	s_cbranch_execz .LBB176_151
; %bb.148:                              ;   in Loop: Header=BB176_9 Depth=1
	v_and_b32_sdwa v29, v70, v50 dst_sel:DWORD dst_unused:UNUSED_PAD src0_sel:WORD_0 src1_sel:DWORD
	v_lshrrev_b32_e32 v68, 3, v71
	s_mov_b32 s33, exec_lo
	v_cmpx_gt_u32_e32 8, v71
; %bb.149:                              ;   in Loop: Header=BB176_9 Depth=1
	v_ffbh_u32_e32 v68, v29
	v_min_u32_e32 v68, 32, v68
	v_subrev_nc_u32_e32 v71, 28, v68
	v_sub_nc_u32_e32 v68, 29, v68
	v_lshlrev_b64 v[71:72], v71, v[29:30]
	v_and_b32_e32 v29, 7, v71
; %bb.150:                              ;   in Loop: Header=BB176_9 Depth=1
	s_or_b32 exec_lo, exec_lo, s33
	v_lshlrev_b32_e32 v70, 24, v70
	v_lshlrev_b32_e32 v29, 20, v29
	v_lshl_add_u32 v68, v68, 23, 0x3c000000
	v_and_b32_e32 v70, 0x80000000, v70
	v_or3_b32 v68, v29, v70, v68
.LBB176_151:                            ;   in Loop: Header=BB176_9 Depth=1
	s_or_b32 exec_lo, exec_lo, s31
.LBB176_152:                            ;   in Loop: Header=BB176_9 Depth=1
	s_or_b32 exec_lo, exec_lo, s30
.LBB176_153:                            ;   in Loop: Header=BB176_9 Depth=1
	s_or_b32 exec_lo, exec_lo, s3
	global_load_ubyte v72, v[37:38], off offset:520
	v_mov_b32_e32 v70, 0
	v_mov_b32_e32 v71, 0
	s_mov_b32 s3, exec_lo
	s_waitcnt vmcnt(0)
	v_cmpx_ne_u16_e32 0, v72
	s_cbranch_execz .LBB176_161
; %bb.154:                              ;   in Loop: Header=BB176_9 Depth=1
	v_bfrev_b32_e32 v71, 1
	s_mov_b32 s30, exec_lo
	v_cmpx_ne_u16_e32 0x80, v72
	s_cbranch_execz .LBB176_160
; %bb.155:                              ;   in Loop: Header=BB176_9 Depth=1
	v_and_b32_sdwa v73, v72, v49 dst_sel:DWORD dst_unused:UNUSED_PAD src0_sel:WORD_0 src1_sel:DWORD
	v_mov_b32_e32 v71, 0x7f800001
	s_mov_b32 s31, exec_lo
	v_cmpx_ne_u32_e32 0x7f, v73
	s_cbranch_execz .LBB176_159
; %bb.156:                              ;   in Loop: Header=BB176_9 Depth=1
	v_and_b32_sdwa v29, v72, v50 dst_sel:DWORD dst_unused:UNUSED_PAD src0_sel:WORD_0 src1_sel:DWORD
	v_lshrrev_b32_e32 v71, 3, v73
	s_mov_b32 s33, exec_lo
	v_cmpx_gt_u32_e32 8, v73
; %bb.157:                              ;   in Loop: Header=BB176_9 Depth=1
	v_ffbh_u32_e32 v71, v29
	v_min_u32_e32 v71, 32, v71
	v_subrev_nc_u32_e32 v73, 28, v71
	v_sub_nc_u32_e32 v71, 29, v71
	v_lshlrev_b64 v[73:74], v73, v[29:30]
	v_and_b32_e32 v29, 7, v73
; %bb.158:                              ;   in Loop: Header=BB176_9 Depth=1
	s_or_b32 exec_lo, exec_lo, s33
	v_lshlrev_b32_e32 v72, 24, v72
	v_lshlrev_b32_e32 v29, 20, v29
	v_lshl_add_u32 v71, v71, 23, 0x3c000000
	v_and_b32_e32 v72, 0x80000000, v72
	v_or3_b32 v71, v29, v72, v71
.LBB176_159:                            ;   in Loop: Header=BB176_9 Depth=1
	s_or_b32 exec_lo, exec_lo, s31
.LBB176_160:                            ;   in Loop: Header=BB176_9 Depth=1
	s_or_b32 exec_lo, exec_lo, s30
.LBB176_161:                            ;   in Loop: Header=BB176_9 Depth=1
	s_or_b32 exec_lo, exec_lo, s3
	global_load_ubyte v72, v[37:38], off offset:524
	s_mov_b32 s3, exec_lo
	s_waitcnt vmcnt(0)
	v_cmpx_ne_u16_e32 0, v72
	s_cbranch_execz .LBB176_169
; %bb.162:                              ;   in Loop: Header=BB176_9 Depth=1
	v_bfrev_b32_e32 v70, 1
	s_mov_b32 s30, exec_lo
	v_cmpx_ne_u16_e32 0x80, v72
	s_cbranch_execz .LBB176_168
; %bb.163:                              ;   in Loop: Header=BB176_9 Depth=1
	v_and_b32_sdwa v73, v72, v49 dst_sel:DWORD dst_unused:UNUSED_PAD src0_sel:WORD_0 src1_sel:DWORD
	v_mov_b32_e32 v70, 0x7f800001
	s_mov_b32 s31, exec_lo
	v_cmpx_ne_u32_e32 0x7f, v73
	s_cbranch_execz .LBB176_167
; %bb.164:                              ;   in Loop: Header=BB176_9 Depth=1
	v_and_b32_sdwa v29, v72, v50 dst_sel:DWORD dst_unused:UNUSED_PAD src0_sel:WORD_0 src1_sel:DWORD
	v_lshrrev_b32_e32 v70, 3, v73
	s_mov_b32 s33, exec_lo
	v_cmpx_gt_u32_e32 8, v73
; %bb.165:                              ;   in Loop: Header=BB176_9 Depth=1
	v_ffbh_u32_e32 v70, v29
	v_min_u32_e32 v70, 32, v70
	v_subrev_nc_u32_e32 v73, 28, v70
	v_sub_nc_u32_e32 v70, 29, v70
	v_lshlrev_b64 v[73:74], v73, v[29:30]
	v_and_b32_e32 v29, 7, v73
; %bb.166:                              ;   in Loop: Header=BB176_9 Depth=1
	s_or_b32 exec_lo, exec_lo, s33
	v_lshlrev_b32_e32 v72, 24, v72
	v_lshlrev_b32_e32 v29, 20, v29
	v_lshl_add_u32 v70, v70, 23, 0x3c000000
	v_and_b32_e32 v72, 0x80000000, v72
	v_or3_b32 v70, v29, v72, v70
.LBB176_167:                            ;   in Loop: Header=BB176_9 Depth=1
	s_or_b32 exec_lo, exec_lo, s31
.LBB176_168:                            ;   in Loop: Header=BB176_9 Depth=1
	s_or_b32 exec_lo, exec_lo, s30
.LBB176_169:                            ;   in Loop: Header=BB176_9 Depth=1
	s_or_b32 exec_lo, exec_lo, s3
	global_load_ubyte v74, v[37:38], off offset:640
	v_mov_b32_e32 v72, 0
	v_mov_b32_e32 v73, 0
	s_mov_b32 s3, exec_lo
	s_waitcnt vmcnt(0)
	v_cmpx_ne_u16_e32 0, v74
	s_cbranch_execz .LBB176_177
; %bb.170:                              ;   in Loop: Header=BB176_9 Depth=1
	v_bfrev_b32_e32 v73, 1
	s_mov_b32 s30, exec_lo
	v_cmpx_ne_u16_e32 0x80, v74
	s_cbranch_execz .LBB176_176
; %bb.171:                              ;   in Loop: Header=BB176_9 Depth=1
	v_and_b32_sdwa v75, v74, v49 dst_sel:DWORD dst_unused:UNUSED_PAD src0_sel:WORD_0 src1_sel:DWORD
	v_mov_b32_e32 v73, 0x7f800001
	s_mov_b32 s31, exec_lo
	v_cmpx_ne_u32_e32 0x7f, v75
	s_cbranch_execz .LBB176_175
; %bb.172:                              ;   in Loop: Header=BB176_9 Depth=1
	v_and_b32_sdwa v29, v74, v50 dst_sel:DWORD dst_unused:UNUSED_PAD src0_sel:WORD_0 src1_sel:DWORD
	v_lshrrev_b32_e32 v73, 3, v75
	s_mov_b32 s33, exec_lo
	v_cmpx_gt_u32_e32 8, v75
; %bb.173:                              ;   in Loop: Header=BB176_9 Depth=1
	v_ffbh_u32_e32 v73, v29
	v_min_u32_e32 v73, 32, v73
	v_subrev_nc_u32_e32 v75, 28, v73
	v_sub_nc_u32_e32 v73, 29, v73
	v_lshlrev_b64 v[75:76], v75, v[29:30]
	v_and_b32_e32 v29, 7, v75
; %bb.174:                              ;   in Loop: Header=BB176_9 Depth=1
	s_or_b32 exec_lo, exec_lo, s33
	v_lshlrev_b32_e32 v74, 24, v74
	v_lshlrev_b32_e32 v29, 20, v29
	v_lshl_add_u32 v73, v73, 23, 0x3c000000
	v_and_b32_e32 v74, 0x80000000, v74
	v_or3_b32 v73, v29, v74, v73
.LBB176_175:                            ;   in Loop: Header=BB176_9 Depth=1
	s_or_b32 exec_lo, exec_lo, s31
.LBB176_176:                            ;   in Loop: Header=BB176_9 Depth=1
	s_or_b32 exec_lo, exec_lo, s30
.LBB176_177:                            ;   in Loop: Header=BB176_9 Depth=1
	s_or_b32 exec_lo, exec_lo, s3
	global_load_ubyte v74, v[37:38], off offset:644
	s_mov_b32 s3, exec_lo
	s_waitcnt vmcnt(0)
	v_cmpx_ne_u16_e32 0, v74
	s_cbranch_execz .LBB176_185
; %bb.178:                              ;   in Loop: Header=BB176_9 Depth=1
	v_bfrev_b32_e32 v72, 1
	s_mov_b32 s30, exec_lo
	v_cmpx_ne_u16_e32 0x80, v74
	s_cbranch_execz .LBB176_184
; %bb.179:                              ;   in Loop: Header=BB176_9 Depth=1
	v_and_b32_sdwa v75, v74, v49 dst_sel:DWORD dst_unused:UNUSED_PAD src0_sel:WORD_0 src1_sel:DWORD
	v_mov_b32_e32 v72, 0x7f800001
	s_mov_b32 s31, exec_lo
	v_cmpx_ne_u32_e32 0x7f, v75
	s_cbranch_execz .LBB176_183
; %bb.180:                              ;   in Loop: Header=BB176_9 Depth=1
	v_and_b32_sdwa v29, v74, v50 dst_sel:DWORD dst_unused:UNUSED_PAD src0_sel:WORD_0 src1_sel:DWORD
	v_lshrrev_b32_e32 v72, 3, v75
	s_mov_b32 s33, exec_lo
	v_cmpx_gt_u32_e32 8, v75
; %bb.181:                              ;   in Loop: Header=BB176_9 Depth=1
	v_ffbh_u32_e32 v72, v29
	v_min_u32_e32 v72, 32, v72
	v_subrev_nc_u32_e32 v75, 28, v72
	v_sub_nc_u32_e32 v72, 29, v72
	v_lshlrev_b64 v[75:76], v75, v[29:30]
	v_and_b32_e32 v29, 7, v75
; %bb.182:                              ;   in Loop: Header=BB176_9 Depth=1
	s_or_b32 exec_lo, exec_lo, s33
	v_lshlrev_b32_e32 v74, 24, v74
	v_lshlrev_b32_e32 v29, 20, v29
	v_lshl_add_u32 v72, v72, 23, 0x3c000000
	v_and_b32_e32 v74, 0x80000000, v74
	v_or3_b32 v72, v29, v74, v72
.LBB176_183:                            ;   in Loop: Header=BB176_9 Depth=1
	s_or_b32 exec_lo, exec_lo, s31
.LBB176_184:                            ;   in Loop: Header=BB176_9 Depth=1
	s_or_b32 exec_lo, exec_lo, s30
.LBB176_185:                            ;   in Loop: Header=BB176_9 Depth=1
	s_or_b32 exec_lo, exec_lo, s3
	global_load_ubyte v76, v[37:38], off offset:648
	v_mov_b32_e32 v74, 0
	v_mov_b32_e32 v75, 0
	s_mov_b32 s3, exec_lo
	s_waitcnt vmcnt(0)
	v_cmpx_ne_u16_e32 0, v76
	s_cbranch_execz .LBB176_193
; %bb.186:                              ;   in Loop: Header=BB176_9 Depth=1
	v_bfrev_b32_e32 v75, 1
	s_mov_b32 s30, exec_lo
	v_cmpx_ne_u16_e32 0x80, v76
	s_cbranch_execz .LBB176_192
; %bb.187:                              ;   in Loop: Header=BB176_9 Depth=1
	v_and_b32_sdwa v77, v76, v49 dst_sel:DWORD dst_unused:UNUSED_PAD src0_sel:WORD_0 src1_sel:DWORD
	v_mov_b32_e32 v75, 0x7f800001
	s_mov_b32 s31, exec_lo
	v_cmpx_ne_u32_e32 0x7f, v77
	s_cbranch_execz .LBB176_191
; %bb.188:                              ;   in Loop: Header=BB176_9 Depth=1
	v_and_b32_sdwa v29, v76, v50 dst_sel:DWORD dst_unused:UNUSED_PAD src0_sel:WORD_0 src1_sel:DWORD
	v_lshrrev_b32_e32 v75, 3, v77
	s_mov_b32 s33, exec_lo
	v_cmpx_gt_u32_e32 8, v77
; %bb.189:                              ;   in Loop: Header=BB176_9 Depth=1
	v_ffbh_u32_e32 v75, v29
	v_min_u32_e32 v75, 32, v75
	v_subrev_nc_u32_e32 v77, 28, v75
	v_sub_nc_u32_e32 v75, 29, v75
	v_lshlrev_b64 v[77:78], v77, v[29:30]
	v_and_b32_e32 v29, 7, v77
; %bb.190:                              ;   in Loop: Header=BB176_9 Depth=1
	s_or_b32 exec_lo, exec_lo, s33
	v_lshlrev_b32_e32 v76, 24, v76
	v_lshlrev_b32_e32 v29, 20, v29
	v_lshl_add_u32 v75, v75, 23, 0x3c000000
	v_and_b32_e32 v76, 0x80000000, v76
	v_or3_b32 v75, v29, v76, v75
.LBB176_191:                            ;   in Loop: Header=BB176_9 Depth=1
	s_or_b32 exec_lo, exec_lo, s31
.LBB176_192:                            ;   in Loop: Header=BB176_9 Depth=1
	s_or_b32 exec_lo, exec_lo, s30
.LBB176_193:                            ;   in Loop: Header=BB176_9 Depth=1
	s_or_b32 exec_lo, exec_lo, s3
	global_load_ubyte v76, v[37:38], off offset:652
	s_mov_b32 s3, exec_lo
	s_waitcnt vmcnt(0)
	v_cmpx_ne_u16_e32 0, v76
	s_cbranch_execz .LBB176_201
; %bb.194:                              ;   in Loop: Header=BB176_9 Depth=1
	v_bfrev_b32_e32 v74, 1
	s_mov_b32 s30, exec_lo
	v_cmpx_ne_u16_e32 0x80, v76
	s_cbranch_execz .LBB176_200
; %bb.195:                              ;   in Loop: Header=BB176_9 Depth=1
	v_and_b32_sdwa v77, v76, v49 dst_sel:DWORD dst_unused:UNUSED_PAD src0_sel:WORD_0 src1_sel:DWORD
	v_mov_b32_e32 v74, 0x7f800001
	s_mov_b32 s31, exec_lo
	v_cmpx_ne_u32_e32 0x7f, v77
	s_cbranch_execz .LBB176_199
; %bb.196:                              ;   in Loop: Header=BB176_9 Depth=1
	v_and_b32_sdwa v29, v76, v50 dst_sel:DWORD dst_unused:UNUSED_PAD src0_sel:WORD_0 src1_sel:DWORD
	v_lshrrev_b32_e32 v74, 3, v77
	s_mov_b32 s33, exec_lo
	v_cmpx_gt_u32_e32 8, v77
; %bb.197:                              ;   in Loop: Header=BB176_9 Depth=1
	v_ffbh_u32_e32 v74, v29
	v_min_u32_e32 v74, 32, v74
	v_subrev_nc_u32_e32 v77, 28, v74
	v_sub_nc_u32_e32 v74, 29, v74
	v_lshlrev_b64 v[77:78], v77, v[29:30]
	v_and_b32_e32 v29, 7, v77
; %bb.198:                              ;   in Loop: Header=BB176_9 Depth=1
	s_or_b32 exec_lo, exec_lo, s33
	v_lshlrev_b32_e32 v76, 24, v76
	v_lshlrev_b32_e32 v29, 20, v29
	v_lshl_add_u32 v74, v74, 23, 0x3c000000
	v_and_b32_e32 v76, 0x80000000, v76
	v_or3_b32 v74, v29, v76, v74
.LBB176_199:                            ;   in Loop: Header=BB176_9 Depth=1
	s_or_b32 exec_lo, exec_lo, s31
.LBB176_200:                            ;   in Loop: Header=BB176_9 Depth=1
	s_or_b32 exec_lo, exec_lo, s30
.LBB176_201:                            ;   in Loop: Header=BB176_9 Depth=1
	s_or_b32 exec_lo, exec_lo, s3
	global_load_ubyte v78, v[37:38], off offset:768
	v_mov_b32_e32 v76, 0
	v_mov_b32_e32 v77, 0
	s_mov_b32 s3, exec_lo
	s_waitcnt vmcnt(0)
	v_cmpx_ne_u16_e32 0, v78
	s_cbranch_execz .LBB176_209
; %bb.202:                              ;   in Loop: Header=BB176_9 Depth=1
	v_bfrev_b32_e32 v77, 1
	s_mov_b32 s30, exec_lo
	v_cmpx_ne_u16_e32 0x80, v78
	s_cbranch_execz .LBB176_208
; %bb.203:                              ;   in Loop: Header=BB176_9 Depth=1
	v_and_b32_sdwa v79, v78, v49 dst_sel:DWORD dst_unused:UNUSED_PAD src0_sel:WORD_0 src1_sel:DWORD
	v_mov_b32_e32 v77, 0x7f800001
	s_mov_b32 s31, exec_lo
	v_cmpx_ne_u32_e32 0x7f, v79
	s_cbranch_execz .LBB176_207
; %bb.204:                              ;   in Loop: Header=BB176_9 Depth=1
	v_and_b32_sdwa v29, v78, v50 dst_sel:DWORD dst_unused:UNUSED_PAD src0_sel:WORD_0 src1_sel:DWORD
	v_lshrrev_b32_e32 v77, 3, v79
	s_mov_b32 s33, exec_lo
	v_cmpx_gt_u32_e32 8, v79
; %bb.205:                              ;   in Loop: Header=BB176_9 Depth=1
	v_ffbh_u32_e32 v77, v29
	v_min_u32_e32 v77, 32, v77
	v_subrev_nc_u32_e32 v79, 28, v77
	v_sub_nc_u32_e32 v77, 29, v77
	v_lshlrev_b64 v[79:80], v79, v[29:30]
	v_and_b32_e32 v29, 7, v79
; %bb.206:                              ;   in Loop: Header=BB176_9 Depth=1
	s_or_b32 exec_lo, exec_lo, s33
	v_lshlrev_b32_e32 v78, 24, v78
	v_lshlrev_b32_e32 v29, 20, v29
	v_lshl_add_u32 v77, v77, 23, 0x3c000000
	v_and_b32_e32 v78, 0x80000000, v78
	v_or3_b32 v77, v29, v78, v77
.LBB176_207:                            ;   in Loop: Header=BB176_9 Depth=1
	s_or_b32 exec_lo, exec_lo, s31
.LBB176_208:                            ;   in Loop: Header=BB176_9 Depth=1
	s_or_b32 exec_lo, exec_lo, s30
.LBB176_209:                            ;   in Loop: Header=BB176_9 Depth=1
	s_or_b32 exec_lo, exec_lo, s3
	global_load_ubyte v78, v[37:38], off offset:772
	s_mov_b32 s3, exec_lo
	s_waitcnt vmcnt(0)
	v_cmpx_ne_u16_e32 0, v78
	s_cbranch_execz .LBB176_217
; %bb.210:                              ;   in Loop: Header=BB176_9 Depth=1
	v_bfrev_b32_e32 v76, 1
	s_mov_b32 s30, exec_lo
	v_cmpx_ne_u16_e32 0x80, v78
	s_cbranch_execz .LBB176_216
; %bb.211:                              ;   in Loop: Header=BB176_9 Depth=1
	v_and_b32_sdwa v79, v78, v49 dst_sel:DWORD dst_unused:UNUSED_PAD src0_sel:WORD_0 src1_sel:DWORD
	v_mov_b32_e32 v76, 0x7f800001
	s_mov_b32 s31, exec_lo
	v_cmpx_ne_u32_e32 0x7f, v79
	s_cbranch_execz .LBB176_215
; %bb.212:                              ;   in Loop: Header=BB176_9 Depth=1
	v_and_b32_sdwa v29, v78, v50 dst_sel:DWORD dst_unused:UNUSED_PAD src0_sel:WORD_0 src1_sel:DWORD
	v_lshrrev_b32_e32 v76, 3, v79
	s_mov_b32 s33, exec_lo
	v_cmpx_gt_u32_e32 8, v79
; %bb.213:                              ;   in Loop: Header=BB176_9 Depth=1
	v_ffbh_u32_e32 v76, v29
	v_min_u32_e32 v76, 32, v76
	v_subrev_nc_u32_e32 v79, 28, v76
	v_sub_nc_u32_e32 v76, 29, v76
	v_lshlrev_b64 v[79:80], v79, v[29:30]
	v_and_b32_e32 v29, 7, v79
; %bb.214:                              ;   in Loop: Header=BB176_9 Depth=1
	s_or_b32 exec_lo, exec_lo, s33
	v_lshlrev_b32_e32 v78, 24, v78
	v_lshlrev_b32_e32 v29, 20, v29
	v_lshl_add_u32 v76, v76, 23, 0x3c000000
	v_and_b32_e32 v78, 0x80000000, v78
	v_or3_b32 v76, v29, v78, v76
.LBB176_215:                            ;   in Loop: Header=BB176_9 Depth=1
	s_or_b32 exec_lo, exec_lo, s31
.LBB176_216:                            ;   in Loop: Header=BB176_9 Depth=1
	s_or_b32 exec_lo, exec_lo, s30
.LBB176_217:                            ;   in Loop: Header=BB176_9 Depth=1
	s_or_b32 exec_lo, exec_lo, s3
	global_load_ubyte v80, v[37:38], off offset:776
	v_mov_b32_e32 v78, 0
	v_mov_b32_e32 v79, 0
	s_mov_b32 s3, exec_lo
	s_waitcnt vmcnt(0)
	v_cmpx_ne_u16_e32 0, v80
	s_cbranch_execz .LBB176_225
; %bb.218:                              ;   in Loop: Header=BB176_9 Depth=1
	v_bfrev_b32_e32 v79, 1
	s_mov_b32 s30, exec_lo
	v_cmpx_ne_u16_e32 0x80, v80
	s_cbranch_execz .LBB176_224
; %bb.219:                              ;   in Loop: Header=BB176_9 Depth=1
	v_and_b32_sdwa v81, v80, v49 dst_sel:DWORD dst_unused:UNUSED_PAD src0_sel:WORD_0 src1_sel:DWORD
	v_mov_b32_e32 v79, 0x7f800001
	s_mov_b32 s31, exec_lo
	v_cmpx_ne_u32_e32 0x7f, v81
	s_cbranch_execz .LBB176_223
; %bb.220:                              ;   in Loop: Header=BB176_9 Depth=1
	v_and_b32_sdwa v29, v80, v50 dst_sel:DWORD dst_unused:UNUSED_PAD src0_sel:WORD_0 src1_sel:DWORD
	v_lshrrev_b32_e32 v79, 3, v81
	s_mov_b32 s33, exec_lo
	v_cmpx_gt_u32_e32 8, v81
; %bb.221:                              ;   in Loop: Header=BB176_9 Depth=1
	v_ffbh_u32_e32 v79, v29
	v_min_u32_e32 v79, 32, v79
	v_subrev_nc_u32_e32 v81, 28, v79
	v_sub_nc_u32_e32 v79, 29, v79
	v_lshlrev_b64 v[81:82], v81, v[29:30]
	v_and_b32_e32 v29, 7, v81
; %bb.222:                              ;   in Loop: Header=BB176_9 Depth=1
	s_or_b32 exec_lo, exec_lo, s33
	v_lshlrev_b32_e32 v80, 24, v80
	v_lshlrev_b32_e32 v29, 20, v29
	v_lshl_add_u32 v79, v79, 23, 0x3c000000
	v_and_b32_e32 v80, 0x80000000, v80
	v_or3_b32 v79, v29, v80, v79
.LBB176_223:                            ;   in Loop: Header=BB176_9 Depth=1
	s_or_b32 exec_lo, exec_lo, s31
.LBB176_224:                            ;   in Loop: Header=BB176_9 Depth=1
	s_or_b32 exec_lo, exec_lo, s30
.LBB176_225:                            ;   in Loop: Header=BB176_9 Depth=1
	s_or_b32 exec_lo, exec_lo, s3
	global_load_ubyte v80, v[37:38], off offset:780
	s_mov_b32 s3, exec_lo
	s_waitcnt vmcnt(0)
	v_cmpx_ne_u16_e32 0, v80
	s_cbranch_execz .LBB176_233
; %bb.226:                              ;   in Loop: Header=BB176_9 Depth=1
	v_bfrev_b32_e32 v78, 1
	s_mov_b32 s30, exec_lo
	v_cmpx_ne_u16_e32 0x80, v80
	s_cbranch_execz .LBB176_232
; %bb.227:                              ;   in Loop: Header=BB176_9 Depth=1
	v_and_b32_sdwa v81, v80, v49 dst_sel:DWORD dst_unused:UNUSED_PAD src0_sel:WORD_0 src1_sel:DWORD
	v_mov_b32_e32 v78, 0x7f800001
	s_mov_b32 s31, exec_lo
	v_cmpx_ne_u32_e32 0x7f, v81
	s_cbranch_execz .LBB176_231
; %bb.228:                              ;   in Loop: Header=BB176_9 Depth=1
	v_and_b32_sdwa v29, v80, v50 dst_sel:DWORD dst_unused:UNUSED_PAD src0_sel:WORD_0 src1_sel:DWORD
	v_lshrrev_b32_e32 v78, 3, v81
	s_mov_b32 s33, exec_lo
	v_cmpx_gt_u32_e32 8, v81
; %bb.229:                              ;   in Loop: Header=BB176_9 Depth=1
	v_ffbh_u32_e32 v78, v29
	v_min_u32_e32 v78, 32, v78
	v_subrev_nc_u32_e32 v81, 28, v78
	v_sub_nc_u32_e32 v78, 29, v78
	v_lshlrev_b64 v[81:82], v81, v[29:30]
	v_and_b32_e32 v29, 7, v81
; %bb.230:                              ;   in Loop: Header=BB176_9 Depth=1
	s_or_b32 exec_lo, exec_lo, s33
	v_lshlrev_b32_e32 v80, 24, v80
	v_lshlrev_b32_e32 v29, 20, v29
	v_lshl_add_u32 v78, v78, 23, 0x3c000000
	v_and_b32_e32 v80, 0x80000000, v80
	v_or3_b32 v78, v29, v80, v78
.LBB176_231:                            ;   in Loop: Header=BB176_9 Depth=1
	s_or_b32 exec_lo, exec_lo, s31
.LBB176_232:                            ;   in Loop: Header=BB176_9 Depth=1
	s_or_b32 exec_lo, exec_lo, s30
.LBB176_233:                            ;   in Loop: Header=BB176_9 Depth=1
	s_or_b32 exec_lo, exec_lo, s3
	global_load_ubyte v82, v[37:38], off offset:896
	v_mov_b32_e32 v80, 0
	v_mov_b32_e32 v81, 0
	s_mov_b32 s3, exec_lo
	s_waitcnt vmcnt(0)
	v_cmpx_ne_u16_e32 0, v82
	s_cbranch_execz .LBB176_241
; %bb.234:                              ;   in Loop: Header=BB176_9 Depth=1
	v_bfrev_b32_e32 v81, 1
	s_mov_b32 s30, exec_lo
	v_cmpx_ne_u16_e32 0x80, v82
	s_cbranch_execz .LBB176_240
; %bb.235:                              ;   in Loop: Header=BB176_9 Depth=1
	v_and_b32_sdwa v83, v82, v49 dst_sel:DWORD dst_unused:UNUSED_PAD src0_sel:WORD_0 src1_sel:DWORD
	v_mov_b32_e32 v81, 0x7f800001
	s_mov_b32 s31, exec_lo
	v_cmpx_ne_u32_e32 0x7f, v83
	s_cbranch_execz .LBB176_239
; %bb.236:                              ;   in Loop: Header=BB176_9 Depth=1
	v_and_b32_sdwa v29, v82, v50 dst_sel:DWORD dst_unused:UNUSED_PAD src0_sel:WORD_0 src1_sel:DWORD
	v_lshrrev_b32_e32 v81, 3, v83
	s_mov_b32 s33, exec_lo
	v_cmpx_gt_u32_e32 8, v83
; %bb.237:                              ;   in Loop: Header=BB176_9 Depth=1
	v_ffbh_u32_e32 v81, v29
	v_min_u32_e32 v81, 32, v81
	v_subrev_nc_u32_e32 v83, 28, v81
	v_sub_nc_u32_e32 v81, 29, v81
	v_lshlrev_b64 v[83:84], v83, v[29:30]
	v_and_b32_e32 v29, 7, v83
; %bb.238:                              ;   in Loop: Header=BB176_9 Depth=1
	s_or_b32 exec_lo, exec_lo, s33
	v_lshlrev_b32_e32 v82, 24, v82
	v_lshlrev_b32_e32 v29, 20, v29
	v_lshl_add_u32 v81, v81, 23, 0x3c000000
	v_and_b32_e32 v82, 0x80000000, v82
	v_or3_b32 v81, v29, v82, v81
.LBB176_239:                            ;   in Loop: Header=BB176_9 Depth=1
	s_or_b32 exec_lo, exec_lo, s31
.LBB176_240:                            ;   in Loop: Header=BB176_9 Depth=1
	s_or_b32 exec_lo, exec_lo, s30
.LBB176_241:                            ;   in Loop: Header=BB176_9 Depth=1
	s_or_b32 exec_lo, exec_lo, s3
	global_load_ubyte v37, v[37:38], off offset:900
	s_mov_b32 s3, exec_lo
	s_waitcnt vmcnt(0)
	v_cmpx_ne_u16_e32 0, v37
	s_cbranch_execz .LBB176_249
; %bb.242:                              ;   in Loop: Header=BB176_9 Depth=1
	v_bfrev_b32_e32 v80, 1
	s_mov_b32 s30, exec_lo
	v_cmpx_ne_u16_e32 0x80, v37
	s_cbranch_execz .LBB176_248
; %bb.243:                              ;   in Loop: Header=BB176_9 Depth=1
	v_and_b32_sdwa v82, v37, v49 dst_sel:DWORD dst_unused:UNUSED_PAD src0_sel:WORD_0 src1_sel:DWORD
	v_mov_b32_e32 v80, 0x7f800001
	s_mov_b32 s31, exec_lo
	v_cmpx_ne_u32_e32 0x7f, v82
	s_cbranch_execz .LBB176_247
; %bb.244:                              ;   in Loop: Header=BB176_9 Depth=1
	v_and_b32_sdwa v29, v37, v50 dst_sel:DWORD dst_unused:UNUSED_PAD src0_sel:WORD_0 src1_sel:DWORD
	v_lshrrev_b32_e32 v38, 3, v82
	s_mov_b32 s33, exec_lo
	v_cmpx_gt_u32_e32 8, v82
; %bb.245:                              ;   in Loop: Header=BB176_9 Depth=1
	v_ffbh_u32_e32 v38, v29
	v_min_u32_e32 v38, 32, v38
	v_subrev_nc_u32_e32 v80, 28, v38
	v_sub_nc_u32_e32 v38, 29, v38
	v_lshlrev_b64 v[82:83], v80, v[29:30]
	v_and_b32_e32 v29, 7, v82
; %bb.246:                              ;   in Loop: Header=BB176_9 Depth=1
	s_or_b32 exec_lo, exec_lo, s33
	v_lshlrev_b32_e32 v37, 24, v37
	v_lshlrev_b32_e32 v29, 20, v29
	v_lshl_add_u32 v38, v38, 23, 0x3c000000
	v_and_b32_e32 v37, 0x80000000, v37
	v_or3_b32 v80, v29, v37, v38
.LBB176_247:                            ;   in Loop: Header=BB176_9 Depth=1
	s_or_b32 exec_lo, exec_lo, s31
.LBB176_248:                            ;   in Loop: Header=BB176_9 Depth=1
	s_or_b32 exec_lo, exec_lo, s30
.LBB176_249:                            ;   in Loop: Header=BB176_9 Depth=1
	s_or_b32 exec_lo, exec_lo, s3
	s_waitcnt lgkmcnt(0)
	v_mul_f32_e32 v29, s4, v52
	v_mul_f32_e32 v37, s4, v53
	;; [unrolled: 1-line block ×4, first 2 shown]
	v_fmac_f32_e32 v29, v1, v37
	v_mul_f32_e32 v37, s4, v54
	v_fmac_f32_e32 v29, v3, v38
	v_mul_f32_e32 v38, s4, v57
	;; [unrolled: 2-line block ×27, first 2 shown]
	v_fmac_f32_e32 v29, v31, v38
	v_fmac_f32_e32 v29, v32, v37
	ds_bpermute_b32 v37, v45, v29
	s_waitcnt lgkmcnt(0)
	v_add_f32_e32 v29, v29, v37
	ds_bpermute_b32 v37, v46, v29
	s_and_saveexec_b32 s3, vcc_lo
	s_cbranch_execz .LBB176_8
; %bb.250:                              ;   in Loop: Header=BB176_9 Depth=1
	v_add_nc_u32_e32 v38, s5, v47
	s_waitcnt lgkmcnt(0)
	v_add_f32_e32 v29, v29, v37
	v_cmp_gt_i32_e64 s2, s11, v47
	v_cvt_f32_i32_e32 v38, v38
	v_mul_f32_e32 v38, s28, v38
	v_cndmask_b32_e64 v37, 0, v38, s1
	v_max_f32_e32 v38, v44, v44
	v_fmac_f32_e32 v37, s29, v29
	v_max_f32_e32 v29, v38, v37
	v_cndmask_b32_e64 v37, 0, v37, s2
	v_cndmask_b32_e64 v44, v44, v29, s2
	ds_write_b32 v48, v37
	s_branch .LBB176_8
.LBB176_251:
	s_or_b32 exec_lo, exec_lo, s16
.LBB176_252:
	s_or_b32 exec_lo, exec_lo, s15
	v_xor_b32_e32 v1, 16, v42
	v_xor_b32_e32 v2, 8, v42
	v_max_f32_e32 v5, v44, v44
	v_cmp_lt_i32_e32 vcc_lo, v1, v43
	v_cndmask_b32_e32 v1, v42, v1, vcc_lo
	v_cmp_lt_i32_e32 vcc_lo, v2, v43
	v_lshlrev_b32_e32 v3, 2, v1
	v_cndmask_b32_e32 v2, v42, v2, vcc_lo
	ds_bpermute_b32 v1, v3, v44
	v_lshlrev_b32_e32 v4, 2, v2
	s_waitcnt lgkmcnt(0)
	v_max_f32_e32 v1, v1, v1
	v_max_f32_e32 v1, v5, v1
	v_xor_b32_e32 v5, 4, v42
	ds_bpermute_b32 v2, v4, v1
	v_cmp_lt_i32_e32 vcc_lo, v5, v43
	v_cndmask_b32_e32 v5, v42, v5, vcc_lo
	v_lshlrev_b32_e32 v7, 2, v5
	v_lshlrev_b32_e32 v5, 2, v39
	s_waitcnt lgkmcnt(0)
	v_max_f32_e32 v2, v2, v2
	v_max_f32_e32 v2, v1, v2
	v_and_b32_e32 v1, 31, v0
	ds_bpermute_b32 v6, v7, v2
	v_cmp_eq_u32_e32 vcc_lo, 0, v1
	s_and_saveexec_b32 s1, vcc_lo
	s_cbranch_execz .LBB176_254
; %bb.253:
	s_waitcnt lgkmcnt(0)
	v_max_f32_e32 v6, v6, v6
	v_max_f32_e32 v2, v2, v2
	;; [unrolled: 1-line block ×3, first 2 shown]
	ds_write_b32 v5, v2 offset:480
.LBB176_254:
	s_or_b32 exec_lo, exec_lo, s1
	v_cmp_gt_u32_e64 s1, 4, v1
	v_mov_b32_e32 v2, 0xff7fffff
	s_waitcnt lgkmcnt(0)
	v_lshlrev_b32_e32 v6, 2, v1
	s_barrier
	buffer_gl0_inv
	s_and_saveexec_b32 s2, s1
; %bb.255:
	ds_read_b32 v2, v6 offset:480
; %bb.256:
	s_or_b32 exec_lo, exec_lo, s2
	v_xor_b32_e32 v8, 2, v42
	v_xor_b32_e32 v10, 1, v42
	v_cmp_lt_i32_e64 s2, v8, v43
	v_cndmask_b32_e64 v8, v42, v8, s2
	v_cmp_lt_i32_e64 s2, v10, v43
	v_lshlrev_b32_e32 v8, 2, v8
	v_cndmask_b32_e64 v10, v42, v10, s2
	s_lshl_b32 s2, s12, 3
	s_min_i32 s4, s2, s11
	s_waitcnt lgkmcnt(0)
	ds_bpermute_b32 v9, v8, v2
	v_max_f32_e32 v2, v2, v2
	v_lshlrev_b32_e32 v26, 2, v10
	v_cmp_gt_i32_e64 s2, s4, v0
	s_waitcnt lgkmcnt(0)
	v_max_f32_e32 v9, v9, v9
	v_max_f32_e32 v2, v2, v9
	ds_bpermute_b32 v9, v26, v2
	s_waitcnt lgkmcnt(0)
	v_max_f32_e32 v9, v9, v9
	v_max_f32_e32 v2, v2, v9
	v_lshlrev_b32_e32 v9, 2, v30
	ds_bpermute_b32 v10, v9, v2
	v_mov_b32_e32 v9, 0
	v_lshl_add_u32 v2, v0, 2, 0x200
	s_and_saveexec_b32 s5, s2
	s_cbranch_execz .LBB176_260
; %bb.257:
	v_lshl_add_u32 v11, v0, 2, 0x200
	v_mov_b32_e32 v9, 0
	v_mov_b32_e32 v12, v0
	s_mov_b32 s15, 0
	.p2align	6
.LBB176_258:                            ; =>This Inner Loop Header: Depth=1
	ds_read_b32 v13, v11
	v_add_nc_u32_e32 v12, 0x80, v12
	v_cmp_le_i32_e64 s3, s4, v12
	s_or_b32 s15, s3, s15
	s_waitcnt lgkmcnt(0)
	v_sub_f32_e32 v13, v13, v10
	v_mul_f32_e32 v13, 0x3fb8aa3b, v13
	v_exp_f32_e32 v13, v13
	ds_write_b32 v11, v13
	v_add_f32_e32 v9, v9, v13
	v_add_nc_u32_e32 v11, 0x200, v11
	s_andn2_b32 exec_lo, exec_lo, s15
	s_cbranch_execnz .LBB176_258
; %bb.259:
	s_or_b32 exec_lo, exec_lo, s15
.LBB176_260:
	s_or_b32 exec_lo, exec_lo, s5
	ds_bpermute_b32 v3, v3, v9
	s_waitcnt lgkmcnt(0)
	v_add_f32_e32 v3, v9, v3
	ds_bpermute_b32 v4, v4, v3
	s_waitcnt lgkmcnt(0)
	v_add_f32_e32 v3, v3, v4
	;; [unrolled: 3-line block ×5, first 2 shown]
	s_and_saveexec_b32 s3, vcc_lo
; %bb.261:
	ds_write_b32 v5, v3 offset:496
; %bb.262:
	s_or_b32 exec_lo, exec_lo, s3
	s_waitcnt lgkmcnt(0)
	s_barrier
	buffer_gl0_inv
	s_and_saveexec_b32 s3, s1
; %bb.263:
	ds_read_b32 v3, v6 offset:496
; %bb.264:
	s_or_b32 exec_lo, exec_lo, s3
	s_waitcnt lgkmcnt(0)
	ds_bpermute_b32 v4, v8, v3
	v_lshlrev_b32_e32 v5, 2, v42
	s_waitcnt lgkmcnt(0)
	v_add_f32_e32 v3, v3, v4
	ds_bpermute_b32 v4, v26, v3
	s_waitcnt lgkmcnt(0)
	v_add_f32_e32 v3, v3, v4
	v_and_b32_e32 v4, 0xffffff80, v5
	ds_bpermute_b32 v3, v4, v3
	s_and_saveexec_b32 s1, s2
	s_cbranch_execz .LBB176_267
; %bb.265:
	s_waitcnt lgkmcnt(0)
	v_add_f32_e32 v3, 0x358637bd, v3
	s_mov_b32 s2, 0
	v_div_scale_f32 v4, null, v3, v3, 1.0
	v_div_scale_f32 v7, vcc_lo, 1.0, v3, 1.0
	v_rcp_f32_e32 v5, v4
	v_fma_f32 v6, -v4, v5, 1.0
	v_fmac_f32_e32 v5, v6, v5
	v_mul_f32_e32 v6, v7, v5
	v_fma_f32 v8, -v4, v6, v7
	v_fmac_f32_e32 v6, v8, v5
	v_fma_f32 v4, -v4, v6, v7
	v_div_fmas_f32 v4, v4, v5, v6
	v_div_fixup_f32 v3, v4, v3, 1.0
	v_mov_b32_e32 v4, v0
.LBB176_266:                            ; =>This Inner Loop Header: Depth=1
	ds_read_b32 v5, v2
	v_add_nc_u32_e32 v4, 0x80, v4
	v_cmp_le_i32_e32 vcc_lo, s4, v4
	s_or_b32 s2, vcc_lo, s2
	s_waitcnt lgkmcnt(0)
	v_mul_f32_e32 v5, v3, v5
	ds_write_b32 v2, v5
	v_add_nc_u32_e32 v2, 0x200, v2
	s_andn2_b32 exec_lo, exec_lo, s2
	s_cbranch_execnz .LBB176_266
.LBB176_267:
	s_or_b32 exec_lo, exec_lo, s1
	v_lshrrev_b32_e32 v25, 1, v1
	s_waitcnt lgkmcnt(0)
	s_barrier
	buffer_gl0_inv
	s_and_saveexec_b32 s1, s0
	s_xor_b32 s0, exec_lo, s1
; %bb.268:
	v_lshrrev_b32_e32 v25, 1, v1
                                        ; implicit-def: $vgpr40
                                        ; implicit-def: $vgpr41
; %bb.269:
	s_or_saveexec_b32 s4, s0
	v_mov_b32_e32 v33, 0
	v_and_b32_e32 v27, 1, v0
	v_mov_b32_e32 v35, 0
	v_mov_b32_e32 v34, 0
	;; [unrolled: 1-line block ×7, first 2 shown]
	s_xor_b32 exec_lo, exec_lo, s4
	s_cbranch_execz .LBB176_547
; %bb.270:
	s_ashr_i32 s0, s14, 31
	s_add_u32 s2, s26, s14
	s_load_dword s14, s[18:19], 0x0
	v_and_b32_e32 v1, 4, v40
	v_or_b32_e32 v2, 0x70, v25
	v_lshlrev_b32_e32 v4, 3, v39
	v_lshlrev_b32_e32 v3, 4, v27
	s_addc_u32 s3, s27, s0
	v_lshl_or_b32 v36, v25, 3, v1
	v_lshl_or_b32 v37, v2, 3, v1
	v_or3_b32 v38, v4, v1, 3
	v_and_b32_e32 v1, 0x7c, v41
	s_lshl_b64 s[0:1], s[24:25], 2
	s_add_i32 s5, s12, -1
	v_lshl_or_b32 v3, v39, 5, v3
	s_add_u32 s0, s22, s0
	s_addc_u32 s1, s23, s1
	v_add_co_u32 v7, s0, s0, v1
	v_mov_b32_e32 v6, 0
	v_add_nc_u32_e32 v40, 0x200, v3
	v_add_co_ci_u32_e64 v8, null, s1, 0, s0
	v_mov_b32_e32 v41, 0x80
	v_bfrev_b32_e32 v10, 1
	v_mov_b32_e32 v42, 0xffff
	v_mov_b32_e32 v12, 0x7f800001
	;; [unrolled: 1-line block ×14, first 2 shown]
	s_waitcnt lgkmcnt(0)
	s_mov_b32 s16, s14
	s_mov_b32 s15, 0
	v_cmp_gt_u32_e32 vcc_lo, 0x78, v2
	s_branch .LBB176_273
.LBB176_271:                            ;   in Loop: Header=BB176_273 Depth=1
	s_or_b32 exec_lo, exec_lo, s1
	s_waitcnt lgkmcnt(0)
	v_mul_f32_e32 v13, v1, v13
	v_fmac_f32_e32 v13, v2, v11
	v_fmac_f32_e32 v13, v3, v9
	v_fmac_f32_e32 v13, v4, v5
	v_add_f32_e32 v28, v28, v13
.LBB176_272:                            ;   in Loop: Header=BB176_273 Depth=1
	s_or_b32 exec_lo, exec_lo, s17
	s_waitcnt lgkmcnt(0)
	v_mul_f32_e32 v5, v1, v71
	v_mul_f32_e32 v9, v1, v69
	;; [unrolled: 1-line block ×7, first 2 shown]
	v_fmac_f32_e32 v5, v2, v70
	v_fmac_f32_e32 v9, v2, v68
	;; [unrolled: 1-line block ×14, first 2 shown]
	v_add_nc_u32_e32 v46, 4, v46
	v_fmac_f32_e32 v5, v4, v21
	v_fmac_f32_e32 v9, v4, v23
	;; [unrolled: 1-line block ×7, first 2 shown]
	v_cmp_le_i32_e64 s0, s12, v46
	v_add_co_u32 v7, s1, v7, 16
	v_add_f32_e32 v29, v29, v5
	v_add_f32_e32 v30, v30, v9
	;; [unrolled: 1-line block ×7, first 2 shown]
	v_add_nc_u32_e32 v38, 32, v38
	v_add_nc_u32_e32 v40, 0x80, v40
	v_add_co_ci_u32_e64 v8, null, 0, v8, s1
	s_or_b32 s15, s0, s15
	s_andn2_b32 exec_lo, exec_lo, s15
	s_cbranch_execz .LBB176_546
.LBB176_273:                            ; =>This Inner Loop Header: Depth=1
	global_load_dword v1, v[7:8], off
	v_mov_b32_e32 v19, 0
	v_mov_b32_e32 v17, 0
	;; [unrolled: 1-line block ×4, first 2 shown]
	s_waitcnt vmcnt(0)
	v_mad_i64_i32 v[13:14], null, v1, s13, s[2:3]
	ds_read_b128 v[1:4], v40
	v_add_co_u32 v15, s0, v13, v36
	v_add_co_ci_u32_e64 v16, null, 0, v14, s0
	global_load_dword v47, v[15:16], off
	s_waitcnt vmcnt(0)
	v_cmp_ne_u16_sdwa s0, v47, v6 src0_sel:BYTE_0 src1_sel:DWORD
	s_and_saveexec_b32 s1, s0
	s_cbranch_execz .LBB176_281
; %bb.274:                              ;   in Loop: Header=BB176_273 Depth=1
	v_bfrev_b32_e32 v17, 1
	v_mov_b32_e32 v18, 0
	v_cmp_ne_u16_sdwa s0, v47, v41 src0_sel:BYTE_0 src1_sel:DWORD
	s_and_saveexec_b32 s17, s0
	s_cbranch_execz .LBB176_280
; %bb.275:                              ;   in Loop: Header=BB176_273 Depth=1
	v_mov_b32_e32 v17, 0x7f800001
	v_and_b32_e32 v11, 0x7f, v47
	v_mov_b32_e32 v18, 0
	s_mov_b32 s18, exec_lo
	v_cmpx_ne_u32_e32 0x7f, v11
	s_cbranch_execz .LBB176_279
; %bb.276:                              ;   in Loop: Header=BB176_273 Depth=1
	v_and_b32_e32 v5, 7, v47
	v_lshrrev_b32_e32 v9, 3, v11
	s_mov_b32 s19, exec_lo
	v_cmpx_gt_u32_e32 8, v11
; %bb.277:                              ;   in Loop: Header=BB176_273 Depth=1
	v_ffbh_u32_e32 v9, v5
	v_min_u32_e32 v9, 32, v9
	v_subrev_nc_u32_e32 v11, 28, v9
	v_sub_nc_u32_e32 v9, 29, v9
	v_lshlrev_b64 v[17:18], v11, v[5:6]
	v_and_b32_e32 v5, 7, v17
; %bb.278:                              ;   in Loop: Header=BB176_273 Depth=1
	s_or_b32 exec_lo, exec_lo, s19
	v_lshlrev_b32_e32 v11, 24, v47
	v_lshlrev_b32_e32 v5, 20, v5
	v_lshl_add_u32 v9, v9, 23, 0x3c000000
	v_and_b32_e32 v11, 0x80000000, v11
	v_or3_b32 v5, v5, v11, v9
	v_mov_b32_e32 v18, v6
	v_mov_b32_e32 v17, v5
.LBB176_279:                            ;   in Loop: Header=BB176_273 Depth=1
	s_or_b32 exec_lo, exec_lo, s18
.LBB176_280:                            ;   in Loop: Header=BB176_273 Depth=1
	s_or_b32 exec_lo, exec_lo, s17
.LBB176_281:                            ;   in Loop: Header=BB176_273 Depth=1
	s_or_b32 exec_lo, exec_lo, s1
	v_cmp_ne_u16_sdwa s0, v47, v6 src0_sel:BYTE_1 src1_sel:DWORD
	s_and_saveexec_b32 s1, s0
	s_cbranch_execz .LBB176_289
; %bb.282:                              ;   in Loop: Header=BB176_273 Depth=1
	v_mov_b32_e32 v9, v6
	v_mov_b32_e32 v20, v10
	v_cmp_ne_u16_sdwa s0, v47, v41 src0_sel:BYTE_1 src1_sel:DWORD
	v_mov_b32_e32 v19, v9
	s_and_saveexec_b32 s17, s0
	s_cbranch_execz .LBB176_288
; %bb.283:                              ;   in Loop: Header=BB176_273 Depth=1
	v_and_b32_sdwa v5, v42, v47 dst_sel:DWORD dst_unused:UNUSED_PAD src0_sel:DWORD src1_sel:BYTE_1
	v_mov_b32_e32 v11, v6
	v_mov_b32_e32 v20, v12
	s_mov_b32 s18, exec_lo
	v_and_b32_e32 v21, 0x7f, v5
	v_mov_b32_e32 v19, v11
	v_cmpx_ne_u32_e32 0x7f, v21
	s_cbranch_execz .LBB176_287
; %bb.284:                              ;   in Loop: Header=BB176_273 Depth=1
	v_and_b32_e32 v5, 7, v5
	v_lshrrev_b32_e32 v9, 3, v21
	s_mov_b32 s19, exec_lo
	v_cmpx_gt_u32_e32 8, v21
; %bb.285:                              ;   in Loop: Header=BB176_273 Depth=1
	v_ffbh_u32_e32 v9, v5
	v_min_u32_e32 v9, 32, v9
	v_subrev_nc_u32_e32 v11, 28, v9
	v_sub_nc_u32_e32 v9, 29, v9
	v_lshlrev_b64 v[19:20], v11, v[5:6]
	v_and_b32_e32 v5, 7, v19
; %bb.286:                              ;   in Loop: Header=BB176_273 Depth=1
	s_or_b32 exec_lo, exec_lo, s19
	v_lshlrev_b32_e32 v11, 16, v47
	v_lshlrev_b32_e32 v5, 20, v5
	v_lshl_add_u32 v9, v9, 23, 0x3c000000
	v_mov_b32_e32 v19, v6
	v_and_b32_e32 v11, 0x80000000, v11
	v_or3_b32 v20, v5, v11, v9
.LBB176_287:                            ;   in Loop: Header=BB176_273 Depth=1
	s_or_b32 exec_lo, exec_lo, s18
.LBB176_288:                            ;   in Loop: Header=BB176_273 Depth=1
	s_or_b32 exec_lo, exec_lo, s17
.LBB176_289:                            ;   in Loop: Header=BB176_273 Depth=1
	s_or_b32 exec_lo, exec_lo, s1
	v_mov_b32_e32 v23, 0
	v_mov_b32_e32 v21, 0
	v_and_b32_sdwa v5, v47, v43 dst_sel:DWORD dst_unused:UNUSED_PAD src0_sel:WORD_1 src1_sel:DWORD
	v_mov_b32_e32 v24, 0
	v_mov_b32_e32 v22, 0
	s_mov_b32 s1, exec_lo
	v_cmpx_ne_u16_e32 0, v5
	s_cbranch_execz .LBB176_297
; %bb.290:                              ;   in Loop: Header=BB176_273 Depth=1
	v_bfrev_b32_e32 v21, 1
	v_mov_b32_e32 v22, 0
	s_mov_b32 s17, exec_lo
	v_cmpx_ne_u16_e32 0x80, v5
	s_cbranch_execz .LBB176_296
; %bb.291:                              ;   in Loop: Header=BB176_273 Depth=1
	v_mov_b32_e32 v21, 0x7f800001
	v_bfe_u32 v11, v47, 16, 7
	v_mov_b32_e32 v22, 0
	s_mov_b32 s18, exec_lo
	v_cmpx_ne_u32_e32 0x7f, v11
	s_cbranch_execz .LBB176_295
; %bb.292:                              ;   in Loop: Header=BB176_273 Depth=1
	v_and_b32_sdwa v5, v47, v44 dst_sel:DWORD dst_unused:UNUSED_PAD src0_sel:WORD_1 src1_sel:DWORD
	v_lshrrev_b32_e32 v9, 3, v11
	s_mov_b32 s19, exec_lo
	v_cmpx_gt_u32_e32 8, v11
; %bb.293:                              ;   in Loop: Header=BB176_273 Depth=1
	v_ffbh_u32_e32 v9, v5
	v_min_u32_e32 v9, 32, v9
	v_subrev_nc_u32_e32 v11, 28, v9
	v_sub_nc_u32_e32 v9, 29, v9
	v_lshlrev_b64 v[21:22], v11, v[5:6]
	v_and_b32_e32 v5, 7, v21
; %bb.294:                              ;   in Loop: Header=BB176_273 Depth=1
	s_or_b32 exec_lo, exec_lo, s19
	v_lshlrev_b32_sdwa v11, v45, v47 dst_sel:DWORD dst_unused:UNUSED_PAD src0_sel:DWORD src1_sel:WORD_1
	v_lshlrev_b32_e32 v5, 20, v5
	v_lshl_add_u32 v9, v9, 23, 0x3c000000
	v_and_b32_e32 v11, 0x80000000, v11
	v_or3_b32 v5, v5, v11, v9
	v_mov_b32_e32 v22, v6
	v_mov_b32_e32 v21, v5
.LBB176_295:                            ;   in Loop: Header=BB176_273 Depth=1
	s_or_b32 exec_lo, exec_lo, s18
.LBB176_296:                            ;   in Loop: Header=BB176_273 Depth=1
	s_or_b32 exec_lo, exec_lo, s17
.LBB176_297:                            ;   in Loop: Header=BB176_273 Depth=1
	s_or_b32 exec_lo, exec_lo, s1
	s_mov_b32 s1, exec_lo
	v_cmpx_lt_u32_e32 0xffffff, v47
	s_cbranch_execz .LBB176_305
; %bb.298:                              ;   in Loop: Header=BB176_273 Depth=1
	v_mov_b32_e32 v9, v6
	v_mov_b32_e32 v24, v10
	v_cmp_ne_u32_sdwa s0, v47, v41 src0_sel:BYTE_3 src1_sel:DWORD
	v_mov_b32_e32 v23, v9
	s_and_saveexec_b32 s17, s0
	s_cbranch_execz .LBB176_304
; %bb.299:                              ;   in Loop: Header=BB176_273 Depth=1
	v_mov_b32_e32 v11, v6
	v_mov_b32_e32 v24, v12
	v_bfe_u32 v48, v47, 24, 7
	s_mov_b32 s18, exec_lo
	v_mov_b32_e32 v23, v11
	v_cmpx_ne_u32_e32 0x7f, v48
	s_cbranch_execz .LBB176_303
; %bb.300:                              ;   in Loop: Header=BB176_273 Depth=1
	v_and_b32_sdwa v5, v47, v44 dst_sel:DWORD dst_unused:UNUSED_PAD src0_sel:BYTE_3 src1_sel:DWORD
	v_lshrrev_b32_e32 v9, 3, v48
	s_mov_b32 s19, exec_lo
	v_cmpx_gt_u32_e32 8, v48
; %bb.301:                              ;   in Loop: Header=BB176_273 Depth=1
	v_ffbh_u32_e32 v9, v5
	v_min_u32_e32 v9, 32, v9
	v_subrev_nc_u32_e32 v11, 28, v9
	v_sub_nc_u32_e32 v9, 29, v9
	v_lshlrev_b64 v[23:24], v11, v[5:6]
	v_and_b32_e32 v5, 7, v23
; %bb.302:                              ;   in Loop: Header=BB176_273 Depth=1
	s_or_b32 exec_lo, exec_lo, s19
	v_lshlrev_b32_sdwa v11, v45, v47 dst_sel:DWORD dst_unused:UNUSED_PAD src0_sel:DWORD src1_sel:BYTE_3
	v_lshlrev_b32_e32 v5, 20, v5
	v_lshl_add_u32 v9, v9, 23, 0x3c000000
	v_mov_b32_e32 v23, v6
	v_and_b32_e32 v11, 0x80000000, v11
	v_or3_b32 v24, v5, v11, v9
.LBB176_303:                            ;   in Loop: Header=BB176_273 Depth=1
	s_or_b32 exec_lo, exec_lo, s18
.LBB176_304:                            ;   in Loop: Header=BB176_273 Depth=1
	s_or_b32 exec_lo, exec_lo, s17
.LBB176_305:                            ;   in Loop: Header=BB176_273 Depth=1
	s_or_b32 exec_lo, exec_lo, s1
	v_or_b32_e32 v5, v20, v18
	v_or_b32_e32 v9, v19, v17
	;; [unrolled: 1-line block ×4, first 2 shown]
	v_add_nc_u32_e32 v51, -3, v38
	v_cmp_eq_u32_e64 s0, s5, v46
	v_mul_f32_e32 v49, s16, v5
	v_mul_f32_e32 v50, s14, v9
	;; [unrolled: 1-line block ×4, first 2 shown]
	s_and_saveexec_b32 s17, s0
	s_cbranch_execz .LBB176_307
; %bb.306:                              ;   in Loop: Header=BB176_273 Depth=1
	v_add_nc_u32_e32 v5, -2, v38
	v_cmp_gt_i32_e64 s1, s11, v51
	v_add_nc_u32_e32 v9, -1, v38
	v_cndmask_b32_e64 v50, 0, v50, s1
	v_cmp_gt_i32_e64 s1, s11, v5
	v_cndmask_b32_e64 v49, 0, v49, s1
	v_cmp_gt_i32_e64 s1, s11, v9
	;; [unrolled: 2-line block ×3, first 2 shown]
	v_cndmask_b32_e64 v47, 0, v47, s1
.LBB176_307:                            ;   in Loop: Header=BB176_273 Depth=1
	s_or_b32 exec_lo, exec_lo, s17
	global_load_dword v52, v[15:16], off offset:128
	v_mov_b32_e32 v19, 0
	v_mov_b32_e32 v17, 0
	;; [unrolled: 1-line block ×4, first 2 shown]
	s_waitcnt vmcnt(0)
	v_cmp_ne_u16_sdwa s1, v52, v6 src0_sel:BYTE_0 src1_sel:DWORD
	s_and_saveexec_b32 s17, s1
	s_cbranch_execz .LBB176_315
; %bb.308:                              ;   in Loop: Header=BB176_273 Depth=1
	v_bfrev_b32_e32 v17, 1
	v_mov_b32_e32 v18, 0
	v_cmp_ne_u16_sdwa s1, v52, v41 src0_sel:BYTE_0 src1_sel:DWORD
	s_and_saveexec_b32 s18, s1
	s_cbranch_execz .LBB176_314
; %bb.309:                              ;   in Loop: Header=BB176_273 Depth=1
	v_mov_b32_e32 v17, 0x7f800001
	v_and_b32_e32 v11, 0x7f, v52
	v_mov_b32_e32 v18, 0
	s_mov_b32 s19, exec_lo
	v_cmpx_ne_u32_e32 0x7f, v11
	s_cbranch_execz .LBB176_313
; %bb.310:                              ;   in Loop: Header=BB176_273 Depth=1
	v_and_b32_e32 v5, 7, v52
	v_lshrrev_b32_e32 v9, 3, v11
	s_mov_b32 s22, exec_lo
	v_cmpx_gt_u32_e32 8, v11
; %bb.311:                              ;   in Loop: Header=BB176_273 Depth=1
	v_ffbh_u32_e32 v9, v5
	v_min_u32_e32 v9, 32, v9
	v_subrev_nc_u32_e32 v11, 28, v9
	v_sub_nc_u32_e32 v9, 29, v9
	v_lshlrev_b64 v[17:18], v11, v[5:6]
	v_and_b32_e32 v5, 7, v17
; %bb.312:                              ;   in Loop: Header=BB176_273 Depth=1
	s_or_b32 exec_lo, exec_lo, s22
	v_lshlrev_b32_e32 v11, 24, v52
	v_lshlrev_b32_e32 v5, 20, v5
	v_lshl_add_u32 v9, v9, 23, 0x3c000000
	v_and_b32_e32 v11, 0x80000000, v11
	v_or3_b32 v5, v5, v11, v9
	v_mov_b32_e32 v18, v6
	v_mov_b32_e32 v17, v5
.LBB176_313:                            ;   in Loop: Header=BB176_273 Depth=1
	s_or_b32 exec_lo, exec_lo, s19
.LBB176_314:                            ;   in Loop: Header=BB176_273 Depth=1
	s_or_b32 exec_lo, exec_lo, s18
.LBB176_315:                            ;   in Loop: Header=BB176_273 Depth=1
	s_or_b32 exec_lo, exec_lo, s17
	v_cmp_ne_u16_sdwa s1, v52, v6 src0_sel:BYTE_1 src1_sel:DWORD
	s_and_saveexec_b32 s17, s1
	s_cbranch_execz .LBB176_323
; %bb.316:                              ;   in Loop: Header=BB176_273 Depth=1
	v_mov_b32_e32 v9, v6
	v_mov_b32_e32 v20, v10
	v_cmp_ne_u16_sdwa s1, v52, v41 src0_sel:BYTE_1 src1_sel:DWORD
	v_mov_b32_e32 v19, v9
	s_and_saveexec_b32 s18, s1
	s_cbranch_execz .LBB176_322
; %bb.317:                              ;   in Loop: Header=BB176_273 Depth=1
	v_and_b32_sdwa v5, v42, v52 dst_sel:DWORD dst_unused:UNUSED_PAD src0_sel:DWORD src1_sel:BYTE_1
	v_mov_b32_e32 v11, v6
	v_mov_b32_e32 v20, v12
	s_mov_b32 s19, exec_lo
	v_and_b32_e32 v21, 0x7f, v5
	v_mov_b32_e32 v19, v11
	v_cmpx_ne_u32_e32 0x7f, v21
	s_cbranch_execz .LBB176_321
; %bb.318:                              ;   in Loop: Header=BB176_273 Depth=1
	v_and_b32_e32 v5, 7, v5
	v_lshrrev_b32_e32 v9, 3, v21
	s_mov_b32 s22, exec_lo
	v_cmpx_gt_u32_e32 8, v21
; %bb.319:                              ;   in Loop: Header=BB176_273 Depth=1
	v_ffbh_u32_e32 v9, v5
	v_min_u32_e32 v9, 32, v9
	v_subrev_nc_u32_e32 v11, 28, v9
	v_sub_nc_u32_e32 v9, 29, v9
	v_lshlrev_b64 v[19:20], v11, v[5:6]
	v_and_b32_e32 v5, 7, v19
; %bb.320:                              ;   in Loop: Header=BB176_273 Depth=1
	s_or_b32 exec_lo, exec_lo, s22
	v_lshlrev_b32_e32 v11, 16, v52
	v_lshlrev_b32_e32 v5, 20, v5
	v_lshl_add_u32 v9, v9, 23, 0x3c000000
	v_mov_b32_e32 v19, v6
	v_and_b32_e32 v11, 0x80000000, v11
	v_or3_b32 v20, v5, v11, v9
.LBB176_321:                            ;   in Loop: Header=BB176_273 Depth=1
	s_or_b32 exec_lo, exec_lo, s19
.LBB176_322:                            ;   in Loop: Header=BB176_273 Depth=1
	s_or_b32 exec_lo, exec_lo, s18
.LBB176_323:                            ;   in Loop: Header=BB176_273 Depth=1
	s_or_b32 exec_lo, exec_lo, s17
	v_mov_b32_e32 v23, 0
	v_mov_b32_e32 v21, 0
	v_and_b32_sdwa v5, v52, v43 dst_sel:DWORD dst_unused:UNUSED_PAD src0_sel:WORD_1 src1_sel:DWORD
	v_mov_b32_e32 v24, 0
	v_mov_b32_e32 v22, 0
	s_mov_b32 s17, exec_lo
	v_cmpx_ne_u16_e32 0, v5
	s_cbranch_execz .LBB176_331
; %bb.324:                              ;   in Loop: Header=BB176_273 Depth=1
	v_bfrev_b32_e32 v21, 1
	v_mov_b32_e32 v22, 0
	s_mov_b32 s18, exec_lo
	v_cmpx_ne_u16_e32 0x80, v5
	s_cbranch_execz .LBB176_330
; %bb.325:                              ;   in Loop: Header=BB176_273 Depth=1
	v_mov_b32_e32 v21, 0x7f800001
	v_bfe_u32 v11, v52, 16, 7
	v_mov_b32_e32 v22, 0
	s_mov_b32 s19, exec_lo
	v_cmpx_ne_u32_e32 0x7f, v11
	s_cbranch_execz .LBB176_329
; %bb.326:                              ;   in Loop: Header=BB176_273 Depth=1
	v_and_b32_sdwa v5, v52, v44 dst_sel:DWORD dst_unused:UNUSED_PAD src0_sel:WORD_1 src1_sel:DWORD
	v_lshrrev_b32_e32 v9, 3, v11
	s_mov_b32 s22, exec_lo
	v_cmpx_gt_u32_e32 8, v11
; %bb.327:                              ;   in Loop: Header=BB176_273 Depth=1
	v_ffbh_u32_e32 v9, v5
	v_min_u32_e32 v9, 32, v9
	v_subrev_nc_u32_e32 v11, 28, v9
	v_sub_nc_u32_e32 v9, 29, v9
	v_lshlrev_b64 v[21:22], v11, v[5:6]
	v_and_b32_e32 v5, 7, v21
; %bb.328:                              ;   in Loop: Header=BB176_273 Depth=1
	s_or_b32 exec_lo, exec_lo, s22
	v_lshlrev_b32_sdwa v11, v45, v52 dst_sel:DWORD dst_unused:UNUSED_PAD src0_sel:DWORD src1_sel:WORD_1
	v_lshlrev_b32_e32 v5, 20, v5
	v_lshl_add_u32 v9, v9, 23, 0x3c000000
	v_and_b32_e32 v11, 0x80000000, v11
	v_or3_b32 v5, v5, v11, v9
	v_mov_b32_e32 v22, v6
	v_mov_b32_e32 v21, v5
.LBB176_329:                            ;   in Loop: Header=BB176_273 Depth=1
	s_or_b32 exec_lo, exec_lo, s19
.LBB176_330:                            ;   in Loop: Header=BB176_273 Depth=1
	s_or_b32 exec_lo, exec_lo, s18
.LBB176_331:                            ;   in Loop: Header=BB176_273 Depth=1
	s_or_b32 exec_lo, exec_lo, s17
	s_mov_b32 s17, exec_lo
	v_cmpx_lt_u32_e32 0xffffff, v52
	s_cbranch_execz .LBB176_339
; %bb.332:                              ;   in Loop: Header=BB176_273 Depth=1
	v_mov_b32_e32 v9, v6
	v_mov_b32_e32 v24, v10
	v_cmp_ne_u32_sdwa s1, v52, v41 src0_sel:BYTE_3 src1_sel:DWORD
	v_mov_b32_e32 v23, v9
	s_and_saveexec_b32 s18, s1
	s_cbranch_execz .LBB176_338
; %bb.333:                              ;   in Loop: Header=BB176_273 Depth=1
	v_mov_b32_e32 v11, v6
	v_mov_b32_e32 v24, v12
	v_bfe_u32 v53, v52, 24, 7
	s_mov_b32 s19, exec_lo
	v_mov_b32_e32 v23, v11
	v_cmpx_ne_u32_e32 0x7f, v53
	s_cbranch_execz .LBB176_337
; %bb.334:                              ;   in Loop: Header=BB176_273 Depth=1
	v_and_b32_sdwa v5, v52, v44 dst_sel:DWORD dst_unused:UNUSED_PAD src0_sel:BYTE_3 src1_sel:DWORD
	v_lshrrev_b32_e32 v9, 3, v53
	s_mov_b32 s22, exec_lo
	v_cmpx_gt_u32_e32 8, v53
; %bb.335:                              ;   in Loop: Header=BB176_273 Depth=1
	v_ffbh_u32_e32 v9, v5
	v_min_u32_e32 v9, 32, v9
	v_subrev_nc_u32_e32 v11, 28, v9
	v_sub_nc_u32_e32 v9, 29, v9
	v_lshlrev_b64 v[23:24], v11, v[5:6]
	v_and_b32_e32 v5, 7, v23
; %bb.336:                              ;   in Loop: Header=BB176_273 Depth=1
	s_or_b32 exec_lo, exec_lo, s22
	v_lshlrev_b32_sdwa v11, v45, v52 dst_sel:DWORD dst_unused:UNUSED_PAD src0_sel:DWORD src1_sel:BYTE_3
	v_lshlrev_b32_e32 v5, 20, v5
	v_lshl_add_u32 v9, v9, 23, 0x3c000000
	v_mov_b32_e32 v23, v6
	v_and_b32_e32 v11, 0x80000000, v11
	v_or3_b32 v24, v5, v11, v9
.LBB176_337:                            ;   in Loop: Header=BB176_273 Depth=1
	s_or_b32 exec_lo, exec_lo, s19
.LBB176_338:                            ;   in Loop: Header=BB176_273 Depth=1
	s_or_b32 exec_lo, exec_lo, s18
.LBB176_339:                            ;   in Loop: Header=BB176_273 Depth=1
	s_or_b32 exec_lo, exec_lo, s17
	v_or_b32_e32 v5, v20, v18
	v_or_b32_e32 v9, v19, v17
	;; [unrolled: 1-line block ×4, first 2 shown]
	v_mul_f32_e32 v54, s16, v5
	v_mul_f32_e32 v55, s14, v9
	;; [unrolled: 1-line block ×4, first 2 shown]
	s_and_saveexec_b32 s17, s0
	s_cbranch_execz .LBB176_341
; %bb.340:                              ;   in Loop: Header=BB176_273 Depth=1
	v_add_nc_u32_e32 v5, -2, v38
	v_cmp_gt_i32_e64 s1, s11, v51
	v_add_nc_u32_e32 v9, -1, v38
	v_cndmask_b32_e64 v55, 0, v55, s1
	v_cmp_gt_i32_e64 s1, s11, v5
	v_cndmask_b32_e64 v54, 0, v54, s1
	v_cmp_gt_i32_e64 s1, s11, v9
	;; [unrolled: 2-line block ×3, first 2 shown]
	v_cndmask_b32_e64 v52, 0, v52, s1
.LBB176_341:                            ;   in Loop: Header=BB176_273 Depth=1
	s_or_b32 exec_lo, exec_lo, s17
	global_load_dword v56, v[15:16], off offset:256
	v_mov_b32_e32 v19, 0
	v_mov_b32_e32 v17, 0
	;; [unrolled: 1-line block ×4, first 2 shown]
	s_waitcnt vmcnt(0)
	v_cmp_ne_u16_sdwa s1, v56, v6 src0_sel:BYTE_0 src1_sel:DWORD
	s_and_saveexec_b32 s17, s1
	s_cbranch_execz .LBB176_349
; %bb.342:                              ;   in Loop: Header=BB176_273 Depth=1
	v_bfrev_b32_e32 v17, 1
	v_mov_b32_e32 v18, 0
	v_cmp_ne_u16_sdwa s1, v56, v41 src0_sel:BYTE_0 src1_sel:DWORD
	s_and_saveexec_b32 s18, s1
	s_cbranch_execz .LBB176_348
; %bb.343:                              ;   in Loop: Header=BB176_273 Depth=1
	v_mov_b32_e32 v17, 0x7f800001
	v_and_b32_e32 v11, 0x7f, v56
	v_mov_b32_e32 v18, 0
	s_mov_b32 s19, exec_lo
	v_cmpx_ne_u32_e32 0x7f, v11
	s_cbranch_execz .LBB176_347
; %bb.344:                              ;   in Loop: Header=BB176_273 Depth=1
	v_and_b32_e32 v5, 7, v56
	v_lshrrev_b32_e32 v9, 3, v11
	s_mov_b32 s22, exec_lo
	v_cmpx_gt_u32_e32 8, v11
; %bb.345:                              ;   in Loop: Header=BB176_273 Depth=1
	v_ffbh_u32_e32 v9, v5
	v_min_u32_e32 v9, 32, v9
	v_subrev_nc_u32_e32 v11, 28, v9
	v_sub_nc_u32_e32 v9, 29, v9
	v_lshlrev_b64 v[17:18], v11, v[5:6]
	v_and_b32_e32 v5, 7, v17
; %bb.346:                              ;   in Loop: Header=BB176_273 Depth=1
	s_or_b32 exec_lo, exec_lo, s22
	v_lshlrev_b32_e32 v11, 24, v56
	v_lshlrev_b32_e32 v5, 20, v5
	v_lshl_add_u32 v9, v9, 23, 0x3c000000
	v_and_b32_e32 v11, 0x80000000, v11
	v_or3_b32 v5, v5, v11, v9
	v_mov_b32_e32 v18, v6
	v_mov_b32_e32 v17, v5
.LBB176_347:                            ;   in Loop: Header=BB176_273 Depth=1
	s_or_b32 exec_lo, exec_lo, s19
.LBB176_348:                            ;   in Loop: Header=BB176_273 Depth=1
	s_or_b32 exec_lo, exec_lo, s18
.LBB176_349:                            ;   in Loop: Header=BB176_273 Depth=1
	s_or_b32 exec_lo, exec_lo, s17
	v_cmp_ne_u16_sdwa s1, v56, v6 src0_sel:BYTE_1 src1_sel:DWORD
	s_and_saveexec_b32 s17, s1
	s_cbranch_execz .LBB176_357
; %bb.350:                              ;   in Loop: Header=BB176_273 Depth=1
	v_mov_b32_e32 v9, v6
	v_mov_b32_e32 v20, v10
	v_cmp_ne_u16_sdwa s1, v56, v41 src0_sel:BYTE_1 src1_sel:DWORD
	v_mov_b32_e32 v19, v9
	s_and_saveexec_b32 s18, s1
	s_cbranch_execz .LBB176_356
; %bb.351:                              ;   in Loop: Header=BB176_273 Depth=1
	v_and_b32_sdwa v5, v42, v56 dst_sel:DWORD dst_unused:UNUSED_PAD src0_sel:DWORD src1_sel:BYTE_1
	v_mov_b32_e32 v11, v6
	v_mov_b32_e32 v20, v12
	s_mov_b32 s19, exec_lo
	v_and_b32_e32 v21, 0x7f, v5
	v_mov_b32_e32 v19, v11
	v_cmpx_ne_u32_e32 0x7f, v21
	s_cbranch_execz .LBB176_355
; %bb.352:                              ;   in Loop: Header=BB176_273 Depth=1
	v_and_b32_e32 v5, 7, v5
	v_lshrrev_b32_e32 v9, 3, v21
	s_mov_b32 s22, exec_lo
	v_cmpx_gt_u32_e32 8, v21
; %bb.353:                              ;   in Loop: Header=BB176_273 Depth=1
	v_ffbh_u32_e32 v9, v5
	v_min_u32_e32 v9, 32, v9
	v_subrev_nc_u32_e32 v11, 28, v9
	v_sub_nc_u32_e32 v9, 29, v9
	v_lshlrev_b64 v[19:20], v11, v[5:6]
	v_and_b32_e32 v5, 7, v19
; %bb.354:                              ;   in Loop: Header=BB176_273 Depth=1
	s_or_b32 exec_lo, exec_lo, s22
	v_lshlrev_b32_e32 v11, 16, v56
	v_lshlrev_b32_e32 v5, 20, v5
	v_lshl_add_u32 v9, v9, 23, 0x3c000000
	v_mov_b32_e32 v19, v6
	v_and_b32_e32 v11, 0x80000000, v11
	v_or3_b32 v20, v5, v11, v9
.LBB176_355:                            ;   in Loop: Header=BB176_273 Depth=1
	s_or_b32 exec_lo, exec_lo, s19
.LBB176_356:                            ;   in Loop: Header=BB176_273 Depth=1
	s_or_b32 exec_lo, exec_lo, s18
.LBB176_357:                            ;   in Loop: Header=BB176_273 Depth=1
	s_or_b32 exec_lo, exec_lo, s17
	v_mov_b32_e32 v23, 0
	v_mov_b32_e32 v21, 0
	v_and_b32_sdwa v5, v56, v43 dst_sel:DWORD dst_unused:UNUSED_PAD src0_sel:WORD_1 src1_sel:DWORD
	v_mov_b32_e32 v24, 0
	v_mov_b32_e32 v22, 0
	s_mov_b32 s17, exec_lo
	v_cmpx_ne_u16_e32 0, v5
	s_cbranch_execz .LBB176_365
; %bb.358:                              ;   in Loop: Header=BB176_273 Depth=1
	v_bfrev_b32_e32 v21, 1
	v_mov_b32_e32 v22, 0
	s_mov_b32 s18, exec_lo
	v_cmpx_ne_u16_e32 0x80, v5
	s_cbranch_execz .LBB176_364
; %bb.359:                              ;   in Loop: Header=BB176_273 Depth=1
	v_mov_b32_e32 v21, 0x7f800001
	v_bfe_u32 v11, v56, 16, 7
	v_mov_b32_e32 v22, 0
	s_mov_b32 s19, exec_lo
	v_cmpx_ne_u32_e32 0x7f, v11
	s_cbranch_execz .LBB176_363
; %bb.360:                              ;   in Loop: Header=BB176_273 Depth=1
	v_and_b32_sdwa v5, v56, v44 dst_sel:DWORD dst_unused:UNUSED_PAD src0_sel:WORD_1 src1_sel:DWORD
	v_lshrrev_b32_e32 v9, 3, v11
	s_mov_b32 s22, exec_lo
	v_cmpx_gt_u32_e32 8, v11
; %bb.361:                              ;   in Loop: Header=BB176_273 Depth=1
	v_ffbh_u32_e32 v9, v5
	v_min_u32_e32 v9, 32, v9
	v_subrev_nc_u32_e32 v11, 28, v9
	v_sub_nc_u32_e32 v9, 29, v9
	v_lshlrev_b64 v[21:22], v11, v[5:6]
	v_and_b32_e32 v5, 7, v21
; %bb.362:                              ;   in Loop: Header=BB176_273 Depth=1
	s_or_b32 exec_lo, exec_lo, s22
	v_lshlrev_b32_sdwa v11, v45, v56 dst_sel:DWORD dst_unused:UNUSED_PAD src0_sel:DWORD src1_sel:WORD_1
	v_lshlrev_b32_e32 v5, 20, v5
	v_lshl_add_u32 v9, v9, 23, 0x3c000000
	v_and_b32_e32 v11, 0x80000000, v11
	v_or3_b32 v5, v5, v11, v9
	v_mov_b32_e32 v22, v6
	v_mov_b32_e32 v21, v5
.LBB176_363:                            ;   in Loop: Header=BB176_273 Depth=1
	s_or_b32 exec_lo, exec_lo, s19
.LBB176_364:                            ;   in Loop: Header=BB176_273 Depth=1
	s_or_b32 exec_lo, exec_lo, s18
.LBB176_365:                            ;   in Loop: Header=BB176_273 Depth=1
	s_or_b32 exec_lo, exec_lo, s17
	s_mov_b32 s17, exec_lo
	v_cmpx_lt_u32_e32 0xffffff, v56
	s_cbranch_execz .LBB176_373
; %bb.366:                              ;   in Loop: Header=BB176_273 Depth=1
	v_mov_b32_e32 v9, v6
	v_mov_b32_e32 v24, v10
	v_cmp_ne_u32_sdwa s1, v56, v41 src0_sel:BYTE_3 src1_sel:DWORD
	v_mov_b32_e32 v23, v9
	s_and_saveexec_b32 s18, s1
	s_cbranch_execz .LBB176_372
; %bb.367:                              ;   in Loop: Header=BB176_273 Depth=1
	v_mov_b32_e32 v11, v6
	v_mov_b32_e32 v24, v12
	v_bfe_u32 v57, v56, 24, 7
	s_mov_b32 s19, exec_lo
	v_mov_b32_e32 v23, v11
	v_cmpx_ne_u32_e32 0x7f, v57
	s_cbranch_execz .LBB176_371
; %bb.368:                              ;   in Loop: Header=BB176_273 Depth=1
	v_and_b32_sdwa v5, v56, v44 dst_sel:DWORD dst_unused:UNUSED_PAD src0_sel:BYTE_3 src1_sel:DWORD
	v_lshrrev_b32_e32 v9, 3, v57
	s_mov_b32 s22, exec_lo
	v_cmpx_gt_u32_e32 8, v57
; %bb.369:                              ;   in Loop: Header=BB176_273 Depth=1
	v_ffbh_u32_e32 v9, v5
	v_min_u32_e32 v9, 32, v9
	v_subrev_nc_u32_e32 v11, 28, v9
	v_sub_nc_u32_e32 v9, 29, v9
	v_lshlrev_b64 v[23:24], v11, v[5:6]
	v_and_b32_e32 v5, 7, v23
; %bb.370:                              ;   in Loop: Header=BB176_273 Depth=1
	s_or_b32 exec_lo, exec_lo, s22
	v_lshlrev_b32_sdwa v11, v45, v56 dst_sel:DWORD dst_unused:UNUSED_PAD src0_sel:DWORD src1_sel:BYTE_3
	v_lshlrev_b32_e32 v5, 20, v5
	v_lshl_add_u32 v9, v9, 23, 0x3c000000
	v_mov_b32_e32 v23, v6
	v_and_b32_e32 v11, 0x80000000, v11
	v_or3_b32 v24, v5, v11, v9
.LBB176_371:                            ;   in Loop: Header=BB176_273 Depth=1
	s_or_b32 exec_lo, exec_lo, s19
.LBB176_372:                            ;   in Loop: Header=BB176_273 Depth=1
	s_or_b32 exec_lo, exec_lo, s18
.LBB176_373:                            ;   in Loop: Header=BB176_273 Depth=1
	s_or_b32 exec_lo, exec_lo, s17
	v_or_b32_e32 v5, v20, v18
	v_or_b32_e32 v9, v19, v17
	;; [unrolled: 1-line block ×4, first 2 shown]
	v_mul_f32_e32 v58, s16, v5
	v_mul_f32_e32 v59, s14, v9
	v_mul_f32_e32 v57, s14, v11
	v_mul_f32_e32 v56, s16, v17
	s_and_saveexec_b32 s17, s0
	s_cbranch_execz .LBB176_375
; %bb.374:                              ;   in Loop: Header=BB176_273 Depth=1
	v_add_nc_u32_e32 v5, -2, v38
	v_cmp_gt_i32_e64 s1, s11, v51
	v_add_nc_u32_e32 v9, -1, v38
	v_cndmask_b32_e64 v59, 0, v59, s1
	v_cmp_gt_i32_e64 s1, s11, v5
	v_cndmask_b32_e64 v58, 0, v58, s1
	v_cmp_gt_i32_e64 s1, s11, v9
	;; [unrolled: 2-line block ×3, first 2 shown]
	v_cndmask_b32_e64 v56, 0, v56, s1
.LBB176_375:                            ;   in Loop: Header=BB176_273 Depth=1
	s_or_b32 exec_lo, exec_lo, s17
	global_load_dword v60, v[15:16], off offset:384
	v_mov_b32_e32 v19, 0
	v_mov_b32_e32 v17, 0
	;; [unrolled: 1-line block ×4, first 2 shown]
	s_waitcnt vmcnt(0)
	v_cmp_ne_u16_sdwa s1, v60, v6 src0_sel:BYTE_0 src1_sel:DWORD
	s_and_saveexec_b32 s17, s1
	s_cbranch_execz .LBB176_383
; %bb.376:                              ;   in Loop: Header=BB176_273 Depth=1
	v_bfrev_b32_e32 v17, 1
	v_mov_b32_e32 v18, 0
	v_cmp_ne_u16_sdwa s1, v60, v41 src0_sel:BYTE_0 src1_sel:DWORD
	s_and_saveexec_b32 s18, s1
	s_cbranch_execz .LBB176_382
; %bb.377:                              ;   in Loop: Header=BB176_273 Depth=1
	v_mov_b32_e32 v17, 0x7f800001
	v_and_b32_e32 v11, 0x7f, v60
	v_mov_b32_e32 v18, 0
	s_mov_b32 s19, exec_lo
	v_cmpx_ne_u32_e32 0x7f, v11
	s_cbranch_execz .LBB176_381
; %bb.378:                              ;   in Loop: Header=BB176_273 Depth=1
	v_and_b32_e32 v5, 7, v60
	v_lshrrev_b32_e32 v9, 3, v11
	s_mov_b32 s22, exec_lo
	v_cmpx_gt_u32_e32 8, v11
; %bb.379:                              ;   in Loop: Header=BB176_273 Depth=1
	v_ffbh_u32_e32 v9, v5
	v_min_u32_e32 v9, 32, v9
	v_subrev_nc_u32_e32 v11, 28, v9
	v_sub_nc_u32_e32 v9, 29, v9
	v_lshlrev_b64 v[17:18], v11, v[5:6]
	v_and_b32_e32 v5, 7, v17
; %bb.380:                              ;   in Loop: Header=BB176_273 Depth=1
	s_or_b32 exec_lo, exec_lo, s22
	v_lshlrev_b32_e32 v11, 24, v60
	v_lshlrev_b32_e32 v5, 20, v5
	v_lshl_add_u32 v9, v9, 23, 0x3c000000
	v_and_b32_e32 v11, 0x80000000, v11
	v_or3_b32 v5, v5, v11, v9
	v_mov_b32_e32 v18, v6
	v_mov_b32_e32 v17, v5
.LBB176_381:                            ;   in Loop: Header=BB176_273 Depth=1
	s_or_b32 exec_lo, exec_lo, s19
.LBB176_382:                            ;   in Loop: Header=BB176_273 Depth=1
	s_or_b32 exec_lo, exec_lo, s18
.LBB176_383:                            ;   in Loop: Header=BB176_273 Depth=1
	s_or_b32 exec_lo, exec_lo, s17
	v_cmp_ne_u16_sdwa s1, v60, v6 src0_sel:BYTE_1 src1_sel:DWORD
	s_and_saveexec_b32 s17, s1
	s_cbranch_execz .LBB176_391
; %bb.384:                              ;   in Loop: Header=BB176_273 Depth=1
	v_mov_b32_e32 v9, v6
	v_mov_b32_e32 v20, v10
	v_cmp_ne_u16_sdwa s1, v60, v41 src0_sel:BYTE_1 src1_sel:DWORD
	v_mov_b32_e32 v19, v9
	s_and_saveexec_b32 s18, s1
	s_cbranch_execz .LBB176_390
; %bb.385:                              ;   in Loop: Header=BB176_273 Depth=1
	v_and_b32_sdwa v5, v42, v60 dst_sel:DWORD dst_unused:UNUSED_PAD src0_sel:DWORD src1_sel:BYTE_1
	v_mov_b32_e32 v11, v6
	v_mov_b32_e32 v20, v12
	s_mov_b32 s19, exec_lo
	v_and_b32_e32 v21, 0x7f, v5
	v_mov_b32_e32 v19, v11
	v_cmpx_ne_u32_e32 0x7f, v21
	s_cbranch_execz .LBB176_389
; %bb.386:                              ;   in Loop: Header=BB176_273 Depth=1
	v_and_b32_e32 v5, 7, v5
	v_lshrrev_b32_e32 v9, 3, v21
	s_mov_b32 s22, exec_lo
	v_cmpx_gt_u32_e32 8, v21
; %bb.387:                              ;   in Loop: Header=BB176_273 Depth=1
	v_ffbh_u32_e32 v9, v5
	v_min_u32_e32 v9, 32, v9
	v_subrev_nc_u32_e32 v11, 28, v9
	v_sub_nc_u32_e32 v9, 29, v9
	v_lshlrev_b64 v[19:20], v11, v[5:6]
	v_and_b32_e32 v5, 7, v19
; %bb.388:                              ;   in Loop: Header=BB176_273 Depth=1
	s_or_b32 exec_lo, exec_lo, s22
	v_lshlrev_b32_e32 v11, 16, v60
	v_lshlrev_b32_e32 v5, 20, v5
	v_lshl_add_u32 v9, v9, 23, 0x3c000000
	v_mov_b32_e32 v19, v6
	v_and_b32_e32 v11, 0x80000000, v11
	v_or3_b32 v20, v5, v11, v9
.LBB176_389:                            ;   in Loop: Header=BB176_273 Depth=1
	s_or_b32 exec_lo, exec_lo, s19
.LBB176_390:                            ;   in Loop: Header=BB176_273 Depth=1
	s_or_b32 exec_lo, exec_lo, s18
.LBB176_391:                            ;   in Loop: Header=BB176_273 Depth=1
	s_or_b32 exec_lo, exec_lo, s17
	v_mov_b32_e32 v23, 0
	v_mov_b32_e32 v21, 0
	v_and_b32_sdwa v5, v60, v43 dst_sel:DWORD dst_unused:UNUSED_PAD src0_sel:WORD_1 src1_sel:DWORD
	v_mov_b32_e32 v24, 0
	v_mov_b32_e32 v22, 0
	s_mov_b32 s17, exec_lo
	v_cmpx_ne_u16_e32 0, v5
	s_cbranch_execz .LBB176_399
; %bb.392:                              ;   in Loop: Header=BB176_273 Depth=1
	v_bfrev_b32_e32 v21, 1
	v_mov_b32_e32 v22, 0
	s_mov_b32 s18, exec_lo
	v_cmpx_ne_u16_e32 0x80, v5
	s_cbranch_execz .LBB176_398
; %bb.393:                              ;   in Loop: Header=BB176_273 Depth=1
	v_mov_b32_e32 v21, 0x7f800001
	v_bfe_u32 v11, v60, 16, 7
	v_mov_b32_e32 v22, 0
	s_mov_b32 s19, exec_lo
	v_cmpx_ne_u32_e32 0x7f, v11
	s_cbranch_execz .LBB176_397
; %bb.394:                              ;   in Loop: Header=BB176_273 Depth=1
	v_and_b32_sdwa v5, v60, v44 dst_sel:DWORD dst_unused:UNUSED_PAD src0_sel:WORD_1 src1_sel:DWORD
	v_lshrrev_b32_e32 v9, 3, v11
	s_mov_b32 s22, exec_lo
	v_cmpx_gt_u32_e32 8, v11
; %bb.395:                              ;   in Loop: Header=BB176_273 Depth=1
	v_ffbh_u32_e32 v9, v5
	v_min_u32_e32 v9, 32, v9
	v_subrev_nc_u32_e32 v11, 28, v9
	v_sub_nc_u32_e32 v9, 29, v9
	v_lshlrev_b64 v[21:22], v11, v[5:6]
	v_and_b32_e32 v5, 7, v21
; %bb.396:                              ;   in Loop: Header=BB176_273 Depth=1
	s_or_b32 exec_lo, exec_lo, s22
	v_lshlrev_b32_sdwa v11, v45, v60 dst_sel:DWORD dst_unused:UNUSED_PAD src0_sel:DWORD src1_sel:WORD_1
	v_lshlrev_b32_e32 v5, 20, v5
	v_lshl_add_u32 v9, v9, 23, 0x3c000000
	v_and_b32_e32 v11, 0x80000000, v11
	v_or3_b32 v5, v5, v11, v9
	v_mov_b32_e32 v22, v6
	v_mov_b32_e32 v21, v5
.LBB176_397:                            ;   in Loop: Header=BB176_273 Depth=1
	s_or_b32 exec_lo, exec_lo, s19
.LBB176_398:                            ;   in Loop: Header=BB176_273 Depth=1
	s_or_b32 exec_lo, exec_lo, s18
.LBB176_399:                            ;   in Loop: Header=BB176_273 Depth=1
	s_or_b32 exec_lo, exec_lo, s17
	s_mov_b32 s17, exec_lo
	v_cmpx_lt_u32_e32 0xffffff, v60
	s_cbranch_execz .LBB176_407
; %bb.400:                              ;   in Loop: Header=BB176_273 Depth=1
	v_mov_b32_e32 v9, v6
	v_mov_b32_e32 v24, v10
	v_cmp_ne_u32_sdwa s1, v60, v41 src0_sel:BYTE_3 src1_sel:DWORD
	v_mov_b32_e32 v23, v9
	s_and_saveexec_b32 s18, s1
	s_cbranch_execz .LBB176_406
; %bb.401:                              ;   in Loop: Header=BB176_273 Depth=1
	v_mov_b32_e32 v11, v6
	v_mov_b32_e32 v24, v12
	v_bfe_u32 v61, v60, 24, 7
	s_mov_b32 s19, exec_lo
	v_mov_b32_e32 v23, v11
	v_cmpx_ne_u32_e32 0x7f, v61
	s_cbranch_execz .LBB176_405
; %bb.402:                              ;   in Loop: Header=BB176_273 Depth=1
	v_and_b32_sdwa v5, v60, v44 dst_sel:DWORD dst_unused:UNUSED_PAD src0_sel:BYTE_3 src1_sel:DWORD
	v_lshrrev_b32_e32 v9, 3, v61
	s_mov_b32 s22, exec_lo
	v_cmpx_gt_u32_e32 8, v61
; %bb.403:                              ;   in Loop: Header=BB176_273 Depth=1
	v_ffbh_u32_e32 v9, v5
	v_min_u32_e32 v9, 32, v9
	v_subrev_nc_u32_e32 v11, 28, v9
	v_sub_nc_u32_e32 v9, 29, v9
	v_lshlrev_b64 v[23:24], v11, v[5:6]
	v_and_b32_e32 v5, 7, v23
; %bb.404:                              ;   in Loop: Header=BB176_273 Depth=1
	s_or_b32 exec_lo, exec_lo, s22
	v_lshlrev_b32_sdwa v11, v45, v60 dst_sel:DWORD dst_unused:UNUSED_PAD src0_sel:DWORD src1_sel:BYTE_3
	v_lshlrev_b32_e32 v5, 20, v5
	v_lshl_add_u32 v9, v9, 23, 0x3c000000
	v_mov_b32_e32 v23, v6
	v_and_b32_e32 v11, 0x80000000, v11
	v_or3_b32 v24, v5, v11, v9
.LBB176_405:                            ;   in Loop: Header=BB176_273 Depth=1
	s_or_b32 exec_lo, exec_lo, s19
.LBB176_406:                            ;   in Loop: Header=BB176_273 Depth=1
	s_or_b32 exec_lo, exec_lo, s18
.LBB176_407:                            ;   in Loop: Header=BB176_273 Depth=1
	s_or_b32 exec_lo, exec_lo, s17
	v_or_b32_e32 v5, v20, v18
	v_or_b32_e32 v9, v19, v17
	;; [unrolled: 1-line block ×4, first 2 shown]
	v_mul_f32_e32 v62, s16, v5
	v_mul_f32_e32 v63, s14, v9
	;; [unrolled: 1-line block ×4, first 2 shown]
	s_and_saveexec_b32 s17, s0
	s_cbranch_execz .LBB176_409
; %bb.408:                              ;   in Loop: Header=BB176_273 Depth=1
	v_add_nc_u32_e32 v5, -2, v38
	v_cmp_gt_i32_e64 s1, s11, v51
	v_add_nc_u32_e32 v9, -1, v38
	v_cndmask_b32_e64 v63, 0, v63, s1
	v_cmp_gt_i32_e64 s1, s11, v5
	v_cndmask_b32_e64 v62, 0, v62, s1
	v_cmp_gt_i32_e64 s1, s11, v9
	;; [unrolled: 2-line block ×3, first 2 shown]
	v_cndmask_b32_e64 v60, 0, v60, s1
.LBB176_409:                            ;   in Loop: Header=BB176_273 Depth=1
	s_or_b32 exec_lo, exec_lo, s17
	global_load_dword v64, v[15:16], off offset:512
	v_mov_b32_e32 v19, 0
	v_mov_b32_e32 v17, 0
	;; [unrolled: 1-line block ×4, first 2 shown]
	s_waitcnt vmcnt(0)
	v_cmp_ne_u16_sdwa s1, v64, v6 src0_sel:BYTE_0 src1_sel:DWORD
	s_and_saveexec_b32 s17, s1
	s_cbranch_execz .LBB176_417
; %bb.410:                              ;   in Loop: Header=BB176_273 Depth=1
	v_bfrev_b32_e32 v17, 1
	v_mov_b32_e32 v18, 0
	v_cmp_ne_u16_sdwa s1, v64, v41 src0_sel:BYTE_0 src1_sel:DWORD
	s_and_saveexec_b32 s18, s1
	s_cbranch_execz .LBB176_416
; %bb.411:                              ;   in Loop: Header=BB176_273 Depth=1
	v_mov_b32_e32 v17, 0x7f800001
	v_and_b32_e32 v11, 0x7f, v64
	v_mov_b32_e32 v18, 0
	s_mov_b32 s19, exec_lo
	v_cmpx_ne_u32_e32 0x7f, v11
	s_cbranch_execz .LBB176_415
; %bb.412:                              ;   in Loop: Header=BB176_273 Depth=1
	v_and_b32_e32 v5, 7, v64
	v_lshrrev_b32_e32 v9, 3, v11
	s_mov_b32 s22, exec_lo
	v_cmpx_gt_u32_e32 8, v11
; %bb.413:                              ;   in Loop: Header=BB176_273 Depth=1
	v_ffbh_u32_e32 v9, v5
	v_min_u32_e32 v9, 32, v9
	v_subrev_nc_u32_e32 v11, 28, v9
	v_sub_nc_u32_e32 v9, 29, v9
	v_lshlrev_b64 v[17:18], v11, v[5:6]
	v_and_b32_e32 v5, 7, v17
; %bb.414:                              ;   in Loop: Header=BB176_273 Depth=1
	s_or_b32 exec_lo, exec_lo, s22
	v_lshlrev_b32_e32 v11, 24, v64
	v_lshlrev_b32_e32 v5, 20, v5
	v_lshl_add_u32 v9, v9, 23, 0x3c000000
	v_and_b32_e32 v11, 0x80000000, v11
	v_or3_b32 v5, v5, v11, v9
	v_mov_b32_e32 v18, v6
	v_mov_b32_e32 v17, v5
.LBB176_415:                            ;   in Loop: Header=BB176_273 Depth=1
	s_or_b32 exec_lo, exec_lo, s19
.LBB176_416:                            ;   in Loop: Header=BB176_273 Depth=1
	s_or_b32 exec_lo, exec_lo, s18
.LBB176_417:                            ;   in Loop: Header=BB176_273 Depth=1
	s_or_b32 exec_lo, exec_lo, s17
	v_cmp_ne_u16_sdwa s1, v64, v6 src0_sel:BYTE_1 src1_sel:DWORD
	s_and_saveexec_b32 s17, s1
	s_cbranch_execz .LBB176_425
; %bb.418:                              ;   in Loop: Header=BB176_273 Depth=1
	v_mov_b32_e32 v9, v6
	v_mov_b32_e32 v20, v10
	v_cmp_ne_u16_sdwa s1, v64, v41 src0_sel:BYTE_1 src1_sel:DWORD
	v_mov_b32_e32 v19, v9
	s_and_saveexec_b32 s18, s1
	s_cbranch_execz .LBB176_424
; %bb.419:                              ;   in Loop: Header=BB176_273 Depth=1
	v_and_b32_sdwa v5, v42, v64 dst_sel:DWORD dst_unused:UNUSED_PAD src0_sel:DWORD src1_sel:BYTE_1
	v_mov_b32_e32 v11, v6
	v_mov_b32_e32 v20, v12
	s_mov_b32 s19, exec_lo
	v_and_b32_e32 v21, 0x7f, v5
	v_mov_b32_e32 v19, v11
	v_cmpx_ne_u32_e32 0x7f, v21
	s_cbranch_execz .LBB176_423
; %bb.420:                              ;   in Loop: Header=BB176_273 Depth=1
	v_and_b32_e32 v5, 7, v5
	v_lshrrev_b32_e32 v9, 3, v21
	s_mov_b32 s22, exec_lo
	v_cmpx_gt_u32_e32 8, v21
; %bb.421:                              ;   in Loop: Header=BB176_273 Depth=1
	v_ffbh_u32_e32 v9, v5
	v_min_u32_e32 v9, 32, v9
	v_subrev_nc_u32_e32 v11, 28, v9
	v_sub_nc_u32_e32 v9, 29, v9
	v_lshlrev_b64 v[19:20], v11, v[5:6]
	v_and_b32_e32 v5, 7, v19
; %bb.422:                              ;   in Loop: Header=BB176_273 Depth=1
	s_or_b32 exec_lo, exec_lo, s22
	v_lshlrev_b32_e32 v11, 16, v64
	v_lshlrev_b32_e32 v5, 20, v5
	v_lshl_add_u32 v9, v9, 23, 0x3c000000
	v_mov_b32_e32 v19, v6
	v_and_b32_e32 v11, 0x80000000, v11
	v_or3_b32 v20, v5, v11, v9
.LBB176_423:                            ;   in Loop: Header=BB176_273 Depth=1
	s_or_b32 exec_lo, exec_lo, s19
.LBB176_424:                            ;   in Loop: Header=BB176_273 Depth=1
	s_or_b32 exec_lo, exec_lo, s18
.LBB176_425:                            ;   in Loop: Header=BB176_273 Depth=1
	s_or_b32 exec_lo, exec_lo, s17
	v_mov_b32_e32 v23, 0
	v_mov_b32_e32 v21, 0
	v_and_b32_sdwa v5, v64, v43 dst_sel:DWORD dst_unused:UNUSED_PAD src0_sel:WORD_1 src1_sel:DWORD
	v_mov_b32_e32 v24, 0
	v_mov_b32_e32 v22, 0
	s_mov_b32 s17, exec_lo
	v_cmpx_ne_u16_e32 0, v5
	s_cbranch_execz .LBB176_433
; %bb.426:                              ;   in Loop: Header=BB176_273 Depth=1
	v_bfrev_b32_e32 v21, 1
	v_mov_b32_e32 v22, 0
	s_mov_b32 s18, exec_lo
	v_cmpx_ne_u16_e32 0x80, v5
	s_cbranch_execz .LBB176_432
; %bb.427:                              ;   in Loop: Header=BB176_273 Depth=1
	v_mov_b32_e32 v21, 0x7f800001
	v_bfe_u32 v11, v64, 16, 7
	v_mov_b32_e32 v22, 0
	s_mov_b32 s19, exec_lo
	v_cmpx_ne_u32_e32 0x7f, v11
	s_cbranch_execz .LBB176_431
; %bb.428:                              ;   in Loop: Header=BB176_273 Depth=1
	v_and_b32_sdwa v5, v64, v44 dst_sel:DWORD dst_unused:UNUSED_PAD src0_sel:WORD_1 src1_sel:DWORD
	v_lshrrev_b32_e32 v9, 3, v11
	s_mov_b32 s22, exec_lo
	v_cmpx_gt_u32_e32 8, v11
; %bb.429:                              ;   in Loop: Header=BB176_273 Depth=1
	v_ffbh_u32_e32 v9, v5
	v_min_u32_e32 v9, 32, v9
	v_subrev_nc_u32_e32 v11, 28, v9
	v_sub_nc_u32_e32 v9, 29, v9
	v_lshlrev_b64 v[21:22], v11, v[5:6]
	v_and_b32_e32 v5, 7, v21
; %bb.430:                              ;   in Loop: Header=BB176_273 Depth=1
	s_or_b32 exec_lo, exec_lo, s22
	v_lshlrev_b32_sdwa v11, v45, v64 dst_sel:DWORD dst_unused:UNUSED_PAD src0_sel:DWORD src1_sel:WORD_1
	v_lshlrev_b32_e32 v5, 20, v5
	v_lshl_add_u32 v9, v9, 23, 0x3c000000
	v_and_b32_e32 v11, 0x80000000, v11
	v_or3_b32 v5, v5, v11, v9
	v_mov_b32_e32 v22, v6
	v_mov_b32_e32 v21, v5
.LBB176_431:                            ;   in Loop: Header=BB176_273 Depth=1
	s_or_b32 exec_lo, exec_lo, s19
.LBB176_432:                            ;   in Loop: Header=BB176_273 Depth=1
	s_or_b32 exec_lo, exec_lo, s18
.LBB176_433:                            ;   in Loop: Header=BB176_273 Depth=1
	s_or_b32 exec_lo, exec_lo, s17
	s_mov_b32 s17, exec_lo
	v_cmpx_lt_u32_e32 0xffffff, v64
	s_cbranch_execz .LBB176_441
; %bb.434:                              ;   in Loop: Header=BB176_273 Depth=1
	v_mov_b32_e32 v9, v6
	v_mov_b32_e32 v24, v10
	v_cmp_ne_u32_sdwa s1, v64, v41 src0_sel:BYTE_3 src1_sel:DWORD
	v_mov_b32_e32 v23, v9
	s_and_saveexec_b32 s18, s1
	s_cbranch_execz .LBB176_440
; %bb.435:                              ;   in Loop: Header=BB176_273 Depth=1
	v_mov_b32_e32 v11, v6
	v_mov_b32_e32 v24, v12
	v_bfe_u32 v65, v64, 24, 7
	s_mov_b32 s19, exec_lo
	v_mov_b32_e32 v23, v11
	v_cmpx_ne_u32_e32 0x7f, v65
	s_cbranch_execz .LBB176_439
; %bb.436:                              ;   in Loop: Header=BB176_273 Depth=1
	v_and_b32_sdwa v5, v64, v44 dst_sel:DWORD dst_unused:UNUSED_PAD src0_sel:BYTE_3 src1_sel:DWORD
	v_lshrrev_b32_e32 v9, 3, v65
	s_mov_b32 s22, exec_lo
	v_cmpx_gt_u32_e32 8, v65
; %bb.437:                              ;   in Loop: Header=BB176_273 Depth=1
	v_ffbh_u32_e32 v9, v5
	v_min_u32_e32 v9, 32, v9
	v_subrev_nc_u32_e32 v11, 28, v9
	v_sub_nc_u32_e32 v9, 29, v9
	v_lshlrev_b64 v[23:24], v11, v[5:6]
	v_and_b32_e32 v5, 7, v23
; %bb.438:                              ;   in Loop: Header=BB176_273 Depth=1
	s_or_b32 exec_lo, exec_lo, s22
	v_lshlrev_b32_sdwa v11, v45, v64 dst_sel:DWORD dst_unused:UNUSED_PAD src0_sel:DWORD src1_sel:BYTE_3
	v_lshlrev_b32_e32 v5, 20, v5
	v_lshl_add_u32 v9, v9, 23, 0x3c000000
	v_mov_b32_e32 v23, v6
	v_and_b32_e32 v11, 0x80000000, v11
	v_or3_b32 v24, v5, v11, v9
.LBB176_439:                            ;   in Loop: Header=BB176_273 Depth=1
	s_or_b32 exec_lo, exec_lo, s19
.LBB176_440:                            ;   in Loop: Header=BB176_273 Depth=1
	s_or_b32 exec_lo, exec_lo, s18
.LBB176_441:                            ;   in Loop: Header=BB176_273 Depth=1
	s_or_b32 exec_lo, exec_lo, s17
	v_or_b32_e32 v5, v20, v18
	v_or_b32_e32 v9, v19, v17
	v_or_b32_e32 v11, v23, v21
	v_or_b32_e32 v17, v24, v22
	v_mul_f32_e32 v66, s16, v5
	v_mul_f32_e32 v67, s14, v9
	;; [unrolled: 1-line block ×4, first 2 shown]
	s_and_saveexec_b32 s17, s0
	s_cbranch_execz .LBB176_443
; %bb.442:                              ;   in Loop: Header=BB176_273 Depth=1
	v_add_nc_u32_e32 v5, -2, v38
	v_cmp_gt_i32_e64 s1, s11, v51
	v_add_nc_u32_e32 v9, -1, v38
	v_cndmask_b32_e64 v67, 0, v67, s1
	v_cmp_gt_i32_e64 s1, s11, v5
	v_cndmask_b32_e64 v66, 0, v66, s1
	v_cmp_gt_i32_e64 s1, s11, v9
	;; [unrolled: 2-line block ×3, first 2 shown]
	v_cndmask_b32_e64 v64, 0, v64, s1
.LBB176_443:                            ;   in Loop: Header=BB176_273 Depth=1
	s_or_b32 exec_lo, exec_lo, s17
	global_load_dword v68, v[15:16], off offset:640
	v_mov_b32_e32 v19, 0
	v_mov_b32_e32 v17, 0
	;; [unrolled: 1-line block ×4, first 2 shown]
	s_waitcnt vmcnt(0)
	v_cmp_ne_u16_sdwa s1, v68, v6 src0_sel:BYTE_0 src1_sel:DWORD
	s_and_saveexec_b32 s17, s1
	s_cbranch_execz .LBB176_451
; %bb.444:                              ;   in Loop: Header=BB176_273 Depth=1
	v_bfrev_b32_e32 v17, 1
	v_mov_b32_e32 v18, 0
	v_cmp_ne_u16_sdwa s1, v68, v41 src0_sel:BYTE_0 src1_sel:DWORD
	s_and_saveexec_b32 s18, s1
	s_cbranch_execz .LBB176_450
; %bb.445:                              ;   in Loop: Header=BB176_273 Depth=1
	v_mov_b32_e32 v17, 0x7f800001
	v_and_b32_e32 v11, 0x7f, v68
	v_mov_b32_e32 v18, 0
	s_mov_b32 s19, exec_lo
	v_cmpx_ne_u32_e32 0x7f, v11
	s_cbranch_execz .LBB176_449
; %bb.446:                              ;   in Loop: Header=BB176_273 Depth=1
	v_and_b32_e32 v5, 7, v68
	v_lshrrev_b32_e32 v9, 3, v11
	s_mov_b32 s22, exec_lo
	v_cmpx_gt_u32_e32 8, v11
; %bb.447:                              ;   in Loop: Header=BB176_273 Depth=1
	v_ffbh_u32_e32 v9, v5
	v_min_u32_e32 v9, 32, v9
	v_subrev_nc_u32_e32 v11, 28, v9
	v_sub_nc_u32_e32 v9, 29, v9
	v_lshlrev_b64 v[17:18], v11, v[5:6]
	v_and_b32_e32 v5, 7, v17
; %bb.448:                              ;   in Loop: Header=BB176_273 Depth=1
	s_or_b32 exec_lo, exec_lo, s22
	v_lshlrev_b32_e32 v11, 24, v68
	v_lshlrev_b32_e32 v5, 20, v5
	v_lshl_add_u32 v9, v9, 23, 0x3c000000
	v_and_b32_e32 v11, 0x80000000, v11
	v_or3_b32 v5, v5, v11, v9
	v_mov_b32_e32 v18, v6
	v_mov_b32_e32 v17, v5
.LBB176_449:                            ;   in Loop: Header=BB176_273 Depth=1
	s_or_b32 exec_lo, exec_lo, s19
.LBB176_450:                            ;   in Loop: Header=BB176_273 Depth=1
	s_or_b32 exec_lo, exec_lo, s18
.LBB176_451:                            ;   in Loop: Header=BB176_273 Depth=1
	s_or_b32 exec_lo, exec_lo, s17
	v_cmp_ne_u16_sdwa s1, v68, v6 src0_sel:BYTE_1 src1_sel:DWORD
	s_and_saveexec_b32 s17, s1
	s_cbranch_execz .LBB176_459
; %bb.452:                              ;   in Loop: Header=BB176_273 Depth=1
	v_mov_b32_e32 v9, v6
	v_mov_b32_e32 v20, v10
	v_cmp_ne_u16_sdwa s1, v68, v41 src0_sel:BYTE_1 src1_sel:DWORD
	v_mov_b32_e32 v19, v9
	s_and_saveexec_b32 s18, s1
	s_cbranch_execz .LBB176_458
; %bb.453:                              ;   in Loop: Header=BB176_273 Depth=1
	v_and_b32_sdwa v5, v42, v68 dst_sel:DWORD dst_unused:UNUSED_PAD src0_sel:DWORD src1_sel:BYTE_1
	v_mov_b32_e32 v11, v6
	v_mov_b32_e32 v20, v12
	s_mov_b32 s19, exec_lo
	v_and_b32_e32 v21, 0x7f, v5
	v_mov_b32_e32 v19, v11
	v_cmpx_ne_u32_e32 0x7f, v21
	s_cbranch_execz .LBB176_457
; %bb.454:                              ;   in Loop: Header=BB176_273 Depth=1
	v_and_b32_e32 v5, 7, v5
	v_lshrrev_b32_e32 v9, 3, v21
	s_mov_b32 s22, exec_lo
	v_cmpx_gt_u32_e32 8, v21
; %bb.455:                              ;   in Loop: Header=BB176_273 Depth=1
	v_ffbh_u32_e32 v9, v5
	v_min_u32_e32 v9, 32, v9
	v_subrev_nc_u32_e32 v11, 28, v9
	v_sub_nc_u32_e32 v9, 29, v9
	v_lshlrev_b64 v[19:20], v11, v[5:6]
	v_and_b32_e32 v5, 7, v19
; %bb.456:                              ;   in Loop: Header=BB176_273 Depth=1
	s_or_b32 exec_lo, exec_lo, s22
	v_lshlrev_b32_e32 v11, 16, v68
	v_lshlrev_b32_e32 v5, 20, v5
	v_lshl_add_u32 v9, v9, 23, 0x3c000000
	v_mov_b32_e32 v19, v6
	v_and_b32_e32 v11, 0x80000000, v11
	v_or3_b32 v20, v5, v11, v9
.LBB176_457:                            ;   in Loop: Header=BB176_273 Depth=1
	s_or_b32 exec_lo, exec_lo, s19
.LBB176_458:                            ;   in Loop: Header=BB176_273 Depth=1
	s_or_b32 exec_lo, exec_lo, s18
.LBB176_459:                            ;   in Loop: Header=BB176_273 Depth=1
	s_or_b32 exec_lo, exec_lo, s17
	v_mov_b32_e32 v23, 0
	v_mov_b32_e32 v21, 0
	v_and_b32_sdwa v5, v68, v43 dst_sel:DWORD dst_unused:UNUSED_PAD src0_sel:WORD_1 src1_sel:DWORD
	v_mov_b32_e32 v24, 0
	v_mov_b32_e32 v22, 0
	s_mov_b32 s17, exec_lo
	v_cmpx_ne_u16_e32 0, v5
	s_cbranch_execz .LBB176_467
; %bb.460:                              ;   in Loop: Header=BB176_273 Depth=1
	v_bfrev_b32_e32 v21, 1
	v_mov_b32_e32 v22, 0
	s_mov_b32 s18, exec_lo
	v_cmpx_ne_u16_e32 0x80, v5
	s_cbranch_execz .LBB176_466
; %bb.461:                              ;   in Loop: Header=BB176_273 Depth=1
	v_mov_b32_e32 v21, 0x7f800001
	v_bfe_u32 v11, v68, 16, 7
	v_mov_b32_e32 v22, 0
	s_mov_b32 s19, exec_lo
	v_cmpx_ne_u32_e32 0x7f, v11
	s_cbranch_execz .LBB176_465
; %bb.462:                              ;   in Loop: Header=BB176_273 Depth=1
	v_and_b32_sdwa v5, v68, v44 dst_sel:DWORD dst_unused:UNUSED_PAD src0_sel:WORD_1 src1_sel:DWORD
	v_lshrrev_b32_e32 v9, 3, v11
	s_mov_b32 s22, exec_lo
	v_cmpx_gt_u32_e32 8, v11
; %bb.463:                              ;   in Loop: Header=BB176_273 Depth=1
	v_ffbh_u32_e32 v9, v5
	v_min_u32_e32 v9, 32, v9
	v_subrev_nc_u32_e32 v11, 28, v9
	v_sub_nc_u32_e32 v9, 29, v9
	v_lshlrev_b64 v[21:22], v11, v[5:6]
	v_and_b32_e32 v5, 7, v21
; %bb.464:                              ;   in Loop: Header=BB176_273 Depth=1
	s_or_b32 exec_lo, exec_lo, s22
	v_lshlrev_b32_sdwa v11, v45, v68 dst_sel:DWORD dst_unused:UNUSED_PAD src0_sel:DWORD src1_sel:WORD_1
	v_lshlrev_b32_e32 v5, 20, v5
	v_lshl_add_u32 v9, v9, 23, 0x3c000000
	v_and_b32_e32 v11, 0x80000000, v11
	v_or3_b32 v5, v5, v11, v9
	v_mov_b32_e32 v22, v6
	v_mov_b32_e32 v21, v5
.LBB176_465:                            ;   in Loop: Header=BB176_273 Depth=1
	s_or_b32 exec_lo, exec_lo, s19
.LBB176_466:                            ;   in Loop: Header=BB176_273 Depth=1
	s_or_b32 exec_lo, exec_lo, s18
.LBB176_467:                            ;   in Loop: Header=BB176_273 Depth=1
	s_or_b32 exec_lo, exec_lo, s17
	s_mov_b32 s17, exec_lo
	v_cmpx_lt_u32_e32 0xffffff, v68
	s_cbranch_execz .LBB176_475
; %bb.468:                              ;   in Loop: Header=BB176_273 Depth=1
	v_mov_b32_e32 v9, v6
	v_mov_b32_e32 v24, v10
	v_cmp_ne_u32_sdwa s1, v68, v41 src0_sel:BYTE_3 src1_sel:DWORD
	v_mov_b32_e32 v23, v9
	s_and_saveexec_b32 s18, s1
	s_cbranch_execz .LBB176_474
; %bb.469:                              ;   in Loop: Header=BB176_273 Depth=1
	v_mov_b32_e32 v11, v6
	v_mov_b32_e32 v24, v12
	v_bfe_u32 v69, v68, 24, 7
	s_mov_b32 s19, exec_lo
	v_mov_b32_e32 v23, v11
	v_cmpx_ne_u32_e32 0x7f, v69
	s_cbranch_execz .LBB176_473
; %bb.470:                              ;   in Loop: Header=BB176_273 Depth=1
	v_and_b32_sdwa v5, v68, v44 dst_sel:DWORD dst_unused:UNUSED_PAD src0_sel:BYTE_3 src1_sel:DWORD
	v_lshrrev_b32_e32 v9, 3, v69
	s_mov_b32 s22, exec_lo
	v_cmpx_gt_u32_e32 8, v69
; %bb.471:                              ;   in Loop: Header=BB176_273 Depth=1
	v_ffbh_u32_e32 v9, v5
	v_min_u32_e32 v9, 32, v9
	v_subrev_nc_u32_e32 v11, 28, v9
	v_sub_nc_u32_e32 v9, 29, v9
	v_lshlrev_b64 v[23:24], v11, v[5:6]
	v_and_b32_e32 v5, 7, v23
; %bb.472:                              ;   in Loop: Header=BB176_273 Depth=1
	s_or_b32 exec_lo, exec_lo, s22
	v_lshlrev_b32_sdwa v11, v45, v68 dst_sel:DWORD dst_unused:UNUSED_PAD src0_sel:DWORD src1_sel:BYTE_3
	v_lshlrev_b32_e32 v5, 20, v5
	v_lshl_add_u32 v9, v9, 23, 0x3c000000
	v_mov_b32_e32 v23, v6
	v_and_b32_e32 v11, 0x80000000, v11
	v_or3_b32 v24, v5, v11, v9
.LBB176_473:                            ;   in Loop: Header=BB176_273 Depth=1
	s_or_b32 exec_lo, exec_lo, s19
.LBB176_474:                            ;   in Loop: Header=BB176_273 Depth=1
	s_or_b32 exec_lo, exec_lo, s18
.LBB176_475:                            ;   in Loop: Header=BB176_273 Depth=1
	s_or_b32 exec_lo, exec_lo, s17
	v_or_b32_e32 v5, v20, v18
	v_or_b32_e32 v9, v19, v17
	;; [unrolled: 1-line block ×4, first 2 shown]
	v_mul_f32_e32 v68, s16, v5
	v_mul_f32_e32 v69, s14, v9
	;; [unrolled: 1-line block ×4, first 2 shown]
	s_and_saveexec_b32 s17, s0
	s_cbranch_execz .LBB176_477
; %bb.476:                              ;   in Loop: Header=BB176_273 Depth=1
	v_add_nc_u32_e32 v5, -2, v38
	v_cmp_gt_i32_e64 s1, s11, v51
	v_add_nc_u32_e32 v9, -1, v38
	v_cndmask_b32_e64 v69, 0, v69, s1
	v_cmp_gt_i32_e64 s1, s11, v5
	v_cndmask_b32_e64 v68, 0, v68, s1
	v_cmp_gt_i32_e64 s1, s11, v9
	;; [unrolled: 2-line block ×3, first 2 shown]
	v_cndmask_b32_e64 v23, 0, v23, s1
.LBB176_477:                            ;   in Loop: Header=BB176_273 Depth=1
	s_or_b32 exec_lo, exec_lo, s17
	global_load_dword v70, v[15:16], off offset:768
	v_mov_b32_e32 v17, 0
	v_mov_b32_e32 v15, 0
	;; [unrolled: 1-line block ×4, first 2 shown]
	s_waitcnt vmcnt(0)
	v_cmp_ne_u16_sdwa s1, v70, v6 src0_sel:BYTE_0 src1_sel:DWORD
	s_and_saveexec_b32 s17, s1
	s_cbranch_execz .LBB176_485
; %bb.478:                              ;   in Loop: Header=BB176_273 Depth=1
	v_bfrev_b32_e32 v15, 1
	v_mov_b32_e32 v16, 0
	v_cmp_ne_u16_sdwa s1, v70, v41 src0_sel:BYTE_0 src1_sel:DWORD
	s_and_saveexec_b32 s18, s1
	s_cbranch_execz .LBB176_484
; %bb.479:                              ;   in Loop: Header=BB176_273 Depth=1
	v_mov_b32_e32 v15, 0x7f800001
	v_and_b32_e32 v11, 0x7f, v70
	v_mov_b32_e32 v16, 0
	s_mov_b32 s19, exec_lo
	v_cmpx_ne_u32_e32 0x7f, v11
	s_cbranch_execz .LBB176_483
; %bb.480:                              ;   in Loop: Header=BB176_273 Depth=1
	v_and_b32_e32 v5, 7, v70
	v_lshrrev_b32_e32 v9, 3, v11
	s_mov_b32 s22, exec_lo
	v_cmpx_gt_u32_e32 8, v11
; %bb.481:                              ;   in Loop: Header=BB176_273 Depth=1
	v_ffbh_u32_e32 v9, v5
	v_min_u32_e32 v9, 32, v9
	v_subrev_nc_u32_e32 v11, 28, v9
	v_sub_nc_u32_e32 v9, 29, v9
	v_lshlrev_b64 v[15:16], v11, v[5:6]
	v_and_b32_e32 v5, 7, v15
; %bb.482:                              ;   in Loop: Header=BB176_273 Depth=1
	s_or_b32 exec_lo, exec_lo, s22
	v_lshlrev_b32_e32 v11, 24, v70
	v_lshlrev_b32_e32 v5, 20, v5
	v_lshl_add_u32 v9, v9, 23, 0x3c000000
	v_and_b32_e32 v11, 0x80000000, v11
	v_or3_b32 v5, v5, v11, v9
	v_mov_b32_e32 v16, v6
	v_mov_b32_e32 v15, v5
.LBB176_483:                            ;   in Loop: Header=BB176_273 Depth=1
	s_or_b32 exec_lo, exec_lo, s19
.LBB176_484:                            ;   in Loop: Header=BB176_273 Depth=1
	s_or_b32 exec_lo, exec_lo, s18
.LBB176_485:                            ;   in Loop: Header=BB176_273 Depth=1
	s_or_b32 exec_lo, exec_lo, s17
	v_cmp_ne_u16_sdwa s1, v70, v6 src0_sel:BYTE_1 src1_sel:DWORD
	s_and_saveexec_b32 s17, s1
	s_cbranch_execz .LBB176_493
; %bb.486:                              ;   in Loop: Header=BB176_273 Depth=1
	v_mov_b32_e32 v9, v6
	v_mov_b32_e32 v18, v10
	v_cmp_ne_u16_sdwa s1, v70, v41 src0_sel:BYTE_1 src1_sel:DWORD
	v_mov_b32_e32 v17, v9
	s_and_saveexec_b32 s18, s1
	s_cbranch_execz .LBB176_492
; %bb.487:                              ;   in Loop: Header=BB176_273 Depth=1
	v_and_b32_sdwa v5, v42, v70 dst_sel:DWORD dst_unused:UNUSED_PAD src0_sel:DWORD src1_sel:BYTE_1
	v_mov_b32_e32 v11, v6
	v_mov_b32_e32 v18, v12
	s_mov_b32 s19, exec_lo
	v_and_b32_e32 v19, 0x7f, v5
	v_mov_b32_e32 v17, v11
	v_cmpx_ne_u32_e32 0x7f, v19
	s_cbranch_execz .LBB176_491
; %bb.488:                              ;   in Loop: Header=BB176_273 Depth=1
	v_and_b32_e32 v5, 7, v5
	v_lshrrev_b32_e32 v9, 3, v19
	s_mov_b32 s22, exec_lo
	v_cmpx_gt_u32_e32 8, v19
; %bb.489:                              ;   in Loop: Header=BB176_273 Depth=1
	v_ffbh_u32_e32 v9, v5
	v_min_u32_e32 v9, 32, v9
	v_subrev_nc_u32_e32 v11, 28, v9
	v_sub_nc_u32_e32 v9, 29, v9
	v_lshlrev_b64 v[17:18], v11, v[5:6]
	v_and_b32_e32 v5, 7, v17
; %bb.490:                              ;   in Loop: Header=BB176_273 Depth=1
	s_or_b32 exec_lo, exec_lo, s22
	v_lshlrev_b32_e32 v11, 16, v70
	v_lshlrev_b32_e32 v5, 20, v5
	v_lshl_add_u32 v9, v9, 23, 0x3c000000
	v_mov_b32_e32 v17, v6
	v_and_b32_e32 v11, 0x80000000, v11
	v_or3_b32 v18, v5, v11, v9
.LBB176_491:                            ;   in Loop: Header=BB176_273 Depth=1
	s_or_b32 exec_lo, exec_lo, s19
.LBB176_492:                            ;   in Loop: Header=BB176_273 Depth=1
	s_or_b32 exec_lo, exec_lo, s18
.LBB176_493:                            ;   in Loop: Header=BB176_273 Depth=1
	s_or_b32 exec_lo, exec_lo, s17
	v_mov_b32_e32 v21, 0
	v_mov_b32_e32 v19, 0
	v_and_b32_sdwa v5, v70, v43 dst_sel:DWORD dst_unused:UNUSED_PAD src0_sel:WORD_1 src1_sel:DWORD
	v_mov_b32_e32 v22, 0
	v_mov_b32_e32 v20, 0
	s_mov_b32 s17, exec_lo
	v_cmpx_ne_u16_e32 0, v5
	s_cbranch_execz .LBB176_501
; %bb.494:                              ;   in Loop: Header=BB176_273 Depth=1
	v_bfrev_b32_e32 v19, 1
	v_mov_b32_e32 v20, 0
	s_mov_b32 s18, exec_lo
	v_cmpx_ne_u16_e32 0x80, v5
	s_cbranch_execz .LBB176_500
; %bb.495:                              ;   in Loop: Header=BB176_273 Depth=1
	v_mov_b32_e32 v19, 0x7f800001
	v_bfe_u32 v11, v70, 16, 7
	v_mov_b32_e32 v20, 0
	s_mov_b32 s19, exec_lo
	v_cmpx_ne_u32_e32 0x7f, v11
	s_cbranch_execz .LBB176_499
; %bb.496:                              ;   in Loop: Header=BB176_273 Depth=1
	v_and_b32_sdwa v5, v70, v44 dst_sel:DWORD dst_unused:UNUSED_PAD src0_sel:WORD_1 src1_sel:DWORD
	v_lshrrev_b32_e32 v9, 3, v11
	s_mov_b32 s22, exec_lo
	v_cmpx_gt_u32_e32 8, v11
; %bb.497:                              ;   in Loop: Header=BB176_273 Depth=1
	v_ffbh_u32_e32 v9, v5
	v_min_u32_e32 v9, 32, v9
	v_subrev_nc_u32_e32 v11, 28, v9
	v_sub_nc_u32_e32 v9, 29, v9
	v_lshlrev_b64 v[19:20], v11, v[5:6]
	v_and_b32_e32 v5, 7, v19
; %bb.498:                              ;   in Loop: Header=BB176_273 Depth=1
	s_or_b32 exec_lo, exec_lo, s22
	v_lshlrev_b32_sdwa v11, v45, v70 dst_sel:DWORD dst_unused:UNUSED_PAD src0_sel:DWORD src1_sel:WORD_1
	v_lshlrev_b32_e32 v5, 20, v5
	v_lshl_add_u32 v9, v9, 23, 0x3c000000
	v_and_b32_e32 v11, 0x80000000, v11
	v_or3_b32 v5, v5, v11, v9
	v_mov_b32_e32 v20, v6
	v_mov_b32_e32 v19, v5
.LBB176_499:                            ;   in Loop: Header=BB176_273 Depth=1
	s_or_b32 exec_lo, exec_lo, s19
.LBB176_500:                            ;   in Loop: Header=BB176_273 Depth=1
	s_or_b32 exec_lo, exec_lo, s18
.LBB176_501:                            ;   in Loop: Header=BB176_273 Depth=1
	s_or_b32 exec_lo, exec_lo, s17
	s_mov_b32 s17, exec_lo
	v_cmpx_lt_u32_e32 0xffffff, v70
	s_cbranch_execz .LBB176_509
; %bb.502:                              ;   in Loop: Header=BB176_273 Depth=1
	v_mov_b32_e32 v9, v6
	v_mov_b32_e32 v22, v10
	v_cmp_ne_u32_sdwa s1, v70, v41 src0_sel:BYTE_3 src1_sel:DWORD
	v_mov_b32_e32 v21, v9
	s_and_saveexec_b32 s18, s1
	s_cbranch_execz .LBB176_508
; %bb.503:                              ;   in Loop: Header=BB176_273 Depth=1
	v_mov_b32_e32 v11, v6
	v_mov_b32_e32 v22, v12
	v_bfe_u32 v71, v70, 24, 7
	s_mov_b32 s19, exec_lo
	v_mov_b32_e32 v21, v11
	v_cmpx_ne_u32_e32 0x7f, v71
	s_cbranch_execz .LBB176_507
; %bb.504:                              ;   in Loop: Header=BB176_273 Depth=1
	v_and_b32_sdwa v5, v70, v44 dst_sel:DWORD dst_unused:UNUSED_PAD src0_sel:BYTE_3 src1_sel:DWORD
	v_lshrrev_b32_e32 v9, 3, v71
	s_mov_b32 s22, exec_lo
	v_cmpx_gt_u32_e32 8, v71
; %bb.505:                              ;   in Loop: Header=BB176_273 Depth=1
	v_ffbh_u32_e32 v9, v5
	v_min_u32_e32 v9, 32, v9
	v_subrev_nc_u32_e32 v11, 28, v9
	v_sub_nc_u32_e32 v9, 29, v9
	v_lshlrev_b64 v[21:22], v11, v[5:6]
	v_and_b32_e32 v5, 7, v21
; %bb.506:                              ;   in Loop: Header=BB176_273 Depth=1
	s_or_b32 exec_lo, exec_lo, s22
	v_lshlrev_b32_sdwa v11, v45, v70 dst_sel:DWORD dst_unused:UNUSED_PAD src0_sel:DWORD src1_sel:BYTE_3
	v_lshlrev_b32_e32 v5, 20, v5
	v_lshl_add_u32 v9, v9, 23, 0x3c000000
	v_mov_b32_e32 v21, v6
	v_and_b32_e32 v11, 0x80000000, v11
	v_or3_b32 v22, v5, v11, v9
.LBB176_507:                            ;   in Loop: Header=BB176_273 Depth=1
	s_or_b32 exec_lo, exec_lo, s19
.LBB176_508:                            ;   in Loop: Header=BB176_273 Depth=1
	s_or_b32 exec_lo, exec_lo, s18
.LBB176_509:                            ;   in Loop: Header=BB176_273 Depth=1
	s_or_b32 exec_lo, exec_lo, s17
	v_or_b32_e32 v5, v18, v16
	v_or_b32_e32 v9, v17, v15
	;; [unrolled: 1-line block ×4, first 2 shown]
	v_mul_f32_e32 v70, s16, v5
	v_mul_f32_e32 v71, s14, v9
	;; [unrolled: 1-line block ×4, first 2 shown]
	s_and_saveexec_b32 s17, s0
	s_cbranch_execz .LBB176_511
; %bb.510:                              ;   in Loop: Header=BB176_273 Depth=1
	v_add_nc_u32_e32 v5, -2, v38
	v_cmp_gt_i32_e64 s1, s11, v51
	v_add_nc_u32_e32 v9, -1, v38
	v_cndmask_b32_e64 v71, 0, v71, s1
	v_cmp_gt_i32_e64 s1, s11, v5
	v_cndmask_b32_e64 v70, 0, v70, s1
	v_cmp_gt_i32_e64 s1, s11, v9
	;; [unrolled: 2-line block ×3, first 2 shown]
	v_cndmask_b32_e64 v21, 0, v21, s1
.LBB176_511:                            ;   in Loop: Header=BB176_273 Depth=1
	s_or_b32 exec_lo, exec_lo, s17
	s_and_saveexec_b32 s17, vcc_lo
	s_cbranch_execz .LBB176_272
; %bb.512:                              ;   in Loop: Header=BB176_273 Depth=1
	v_add_co_u32 v13, s1, v13, v37
	v_add_co_ci_u32_e64 v14, null, 0, v14, s1
	v_mov_b32_e32 v15, 0
	v_mov_b32_e32 v16, 0
	global_load_dword v72, v[13:14], off
	v_mov_b32_e32 v13, 0
	v_mov_b32_e32 v14, 0
	s_waitcnt vmcnt(0)
	v_cmp_ne_u16_sdwa s1, v72, v6 src0_sel:BYTE_0 src1_sel:DWORD
	s_and_saveexec_b32 s18, s1
	s_cbranch_execz .LBB176_520
; %bb.513:                              ;   in Loop: Header=BB176_273 Depth=1
	v_bfrev_b32_e32 v13, 1
	v_mov_b32_e32 v14, 0
	v_cmp_ne_u16_sdwa s1, v72, v41 src0_sel:BYTE_0 src1_sel:DWORD
	s_and_saveexec_b32 s19, s1
	s_cbranch_execz .LBB176_519
; %bb.514:                              ;   in Loop: Header=BB176_273 Depth=1
	v_mov_b32_e32 v13, 0x7f800001
	v_and_b32_e32 v11, 0x7f, v72
	v_mov_b32_e32 v14, 0
	s_mov_b32 s22, exec_lo
	v_cmpx_ne_u32_e32 0x7f, v11
	s_cbranch_execz .LBB176_518
; %bb.515:                              ;   in Loop: Header=BB176_273 Depth=1
	v_and_b32_e32 v5, 7, v72
	v_lshrrev_b32_e32 v9, 3, v11
	s_mov_b32 s23, exec_lo
	v_cmpx_gt_u32_e32 8, v11
; %bb.516:                              ;   in Loop: Header=BB176_273 Depth=1
	v_ffbh_u32_e32 v9, v5
	v_min_u32_e32 v9, 32, v9
	v_subrev_nc_u32_e32 v11, 28, v9
	v_sub_nc_u32_e32 v9, 29, v9
	v_lshlrev_b64 v[13:14], v11, v[5:6]
	v_and_b32_e32 v5, 7, v13
; %bb.517:                              ;   in Loop: Header=BB176_273 Depth=1
	s_or_b32 exec_lo, exec_lo, s23
	v_lshlrev_b32_e32 v11, 24, v72
	v_lshlrev_b32_e32 v5, 20, v5
	v_lshl_add_u32 v9, v9, 23, 0x3c000000
	v_and_b32_e32 v11, 0x80000000, v11
	v_or3_b32 v5, v5, v11, v9
	v_mov_b32_e32 v14, v6
	v_mov_b32_e32 v13, v5
.LBB176_518:                            ;   in Loop: Header=BB176_273 Depth=1
	s_or_b32 exec_lo, exec_lo, s22
.LBB176_519:                            ;   in Loop: Header=BB176_273 Depth=1
	s_or_b32 exec_lo, exec_lo, s19
.LBB176_520:                            ;   in Loop: Header=BB176_273 Depth=1
	s_or_b32 exec_lo, exec_lo, s18
	v_cmp_ne_u16_sdwa s1, v72, v6 src0_sel:BYTE_1 src1_sel:DWORD
	s_and_saveexec_b32 s18, s1
	s_cbranch_execz .LBB176_528
; %bb.521:                              ;   in Loop: Header=BB176_273 Depth=1
	v_mov_b32_e32 v9, v6
	v_mov_b32_e32 v16, v10
	v_cmp_ne_u16_sdwa s1, v72, v41 src0_sel:BYTE_1 src1_sel:DWORD
	v_mov_b32_e32 v15, v9
	s_and_saveexec_b32 s19, s1
	s_cbranch_execz .LBB176_527
; %bb.522:                              ;   in Loop: Header=BB176_273 Depth=1
	v_and_b32_sdwa v5, v42, v72 dst_sel:DWORD dst_unused:UNUSED_PAD src0_sel:DWORD src1_sel:BYTE_1
	v_mov_b32_e32 v11, v6
	v_mov_b32_e32 v16, v12
	s_mov_b32 s22, exec_lo
	v_and_b32_e32 v17, 0x7f, v5
	v_mov_b32_e32 v15, v11
	v_cmpx_ne_u32_e32 0x7f, v17
	s_cbranch_execz .LBB176_526
; %bb.523:                              ;   in Loop: Header=BB176_273 Depth=1
	v_and_b32_e32 v5, 7, v5
	v_lshrrev_b32_e32 v9, 3, v17
	s_mov_b32 s23, exec_lo
	v_cmpx_gt_u32_e32 8, v17
; %bb.524:                              ;   in Loop: Header=BB176_273 Depth=1
	v_ffbh_u32_e32 v9, v5
	v_min_u32_e32 v9, 32, v9
	v_subrev_nc_u32_e32 v11, 28, v9
	v_sub_nc_u32_e32 v9, 29, v9
	v_lshlrev_b64 v[15:16], v11, v[5:6]
	v_and_b32_e32 v5, 7, v15
; %bb.525:                              ;   in Loop: Header=BB176_273 Depth=1
	s_or_b32 exec_lo, exec_lo, s23
	v_lshlrev_b32_e32 v11, 16, v72
	v_lshlrev_b32_e32 v5, 20, v5
	v_lshl_add_u32 v9, v9, 23, 0x3c000000
	v_mov_b32_e32 v15, v6
	v_and_b32_e32 v11, 0x80000000, v11
	v_or3_b32 v16, v5, v11, v9
.LBB176_526:                            ;   in Loop: Header=BB176_273 Depth=1
	s_or_b32 exec_lo, exec_lo, s22
.LBB176_527:                            ;   in Loop: Header=BB176_273 Depth=1
	s_or_b32 exec_lo, exec_lo, s19
.LBB176_528:                            ;   in Loop: Header=BB176_273 Depth=1
	s_or_b32 exec_lo, exec_lo, s18
	v_mov_b32_e32 v19, 0
	v_mov_b32_e32 v17, 0
	v_and_b32_sdwa v5, v72, v43 dst_sel:DWORD dst_unused:UNUSED_PAD src0_sel:WORD_1 src1_sel:DWORD
	v_mov_b32_e32 v20, 0
	v_mov_b32_e32 v18, 0
	s_mov_b32 s18, exec_lo
	v_cmpx_ne_u16_e32 0, v5
	s_cbranch_execz .LBB176_536
; %bb.529:                              ;   in Loop: Header=BB176_273 Depth=1
	v_bfrev_b32_e32 v17, 1
	v_mov_b32_e32 v18, 0
	s_mov_b32 s19, exec_lo
	v_cmpx_ne_u16_e32 0x80, v5
	s_cbranch_execz .LBB176_535
; %bb.530:                              ;   in Loop: Header=BB176_273 Depth=1
	v_mov_b32_e32 v17, 0x7f800001
	v_bfe_u32 v11, v72, 16, 7
	v_mov_b32_e32 v18, 0
	s_mov_b32 s22, exec_lo
	v_cmpx_ne_u32_e32 0x7f, v11
	s_cbranch_execz .LBB176_534
; %bb.531:                              ;   in Loop: Header=BB176_273 Depth=1
	v_and_b32_sdwa v5, v72, v44 dst_sel:DWORD dst_unused:UNUSED_PAD src0_sel:WORD_1 src1_sel:DWORD
	v_lshrrev_b32_e32 v9, 3, v11
	s_mov_b32 s23, exec_lo
	v_cmpx_gt_u32_e32 8, v11
; %bb.532:                              ;   in Loop: Header=BB176_273 Depth=1
	v_ffbh_u32_e32 v9, v5
	v_min_u32_e32 v9, 32, v9
	v_subrev_nc_u32_e32 v11, 28, v9
	v_sub_nc_u32_e32 v9, 29, v9
	v_lshlrev_b64 v[17:18], v11, v[5:6]
	v_and_b32_e32 v5, 7, v17
; %bb.533:                              ;   in Loop: Header=BB176_273 Depth=1
	s_or_b32 exec_lo, exec_lo, s23
	v_lshlrev_b32_sdwa v11, v45, v72 dst_sel:DWORD dst_unused:UNUSED_PAD src0_sel:DWORD src1_sel:WORD_1
	v_lshlrev_b32_e32 v5, 20, v5
	v_lshl_add_u32 v9, v9, 23, 0x3c000000
	v_and_b32_e32 v11, 0x80000000, v11
	v_or3_b32 v5, v5, v11, v9
	v_mov_b32_e32 v18, v6
	v_mov_b32_e32 v17, v5
.LBB176_534:                            ;   in Loop: Header=BB176_273 Depth=1
	s_or_b32 exec_lo, exec_lo, s22
.LBB176_535:                            ;   in Loop: Header=BB176_273 Depth=1
	s_or_b32 exec_lo, exec_lo, s19
.LBB176_536:                            ;   in Loop: Header=BB176_273 Depth=1
	s_or_b32 exec_lo, exec_lo, s18
	s_mov_b32 s18, exec_lo
	v_cmpx_lt_u32_e32 0xffffff, v72
	s_cbranch_execz .LBB176_544
; %bb.537:                              ;   in Loop: Header=BB176_273 Depth=1
	v_mov_b32_e32 v9, v6
	v_mov_b32_e32 v20, v10
	v_cmp_ne_u32_sdwa s1, v72, v41 src0_sel:BYTE_3 src1_sel:DWORD
	v_mov_b32_e32 v19, v9
	s_and_saveexec_b32 s19, s1
	s_cbranch_execz .LBB176_543
; %bb.538:                              ;   in Loop: Header=BB176_273 Depth=1
	v_mov_b32_e32 v11, v6
	v_mov_b32_e32 v20, v12
	v_bfe_u32 v73, v72, 24, 7
	s_mov_b32 s22, exec_lo
	v_mov_b32_e32 v19, v11
	v_cmpx_ne_u32_e32 0x7f, v73
	s_cbranch_execz .LBB176_542
; %bb.539:                              ;   in Loop: Header=BB176_273 Depth=1
	v_and_b32_sdwa v5, v72, v44 dst_sel:DWORD dst_unused:UNUSED_PAD src0_sel:BYTE_3 src1_sel:DWORD
	v_lshrrev_b32_e32 v9, 3, v73
	s_mov_b32 s23, exec_lo
	v_cmpx_gt_u32_e32 8, v73
; %bb.540:                              ;   in Loop: Header=BB176_273 Depth=1
	v_ffbh_u32_e32 v9, v5
	v_min_u32_e32 v9, 32, v9
	v_subrev_nc_u32_e32 v11, 28, v9
	v_sub_nc_u32_e32 v9, 29, v9
	v_lshlrev_b64 v[19:20], v11, v[5:6]
	v_and_b32_e32 v5, 7, v19
; %bb.541:                              ;   in Loop: Header=BB176_273 Depth=1
	s_or_b32 exec_lo, exec_lo, s23
	v_lshlrev_b32_sdwa v11, v45, v72 dst_sel:DWORD dst_unused:UNUSED_PAD src0_sel:DWORD src1_sel:BYTE_3
	v_lshlrev_b32_e32 v5, 20, v5
	v_lshl_add_u32 v9, v9, 23, 0x3c000000
	v_mov_b32_e32 v19, v6
	v_and_b32_e32 v11, 0x80000000, v11
	v_or3_b32 v20, v5, v11, v9
.LBB176_542:                            ;   in Loop: Header=BB176_273 Depth=1
	s_or_b32 exec_lo, exec_lo, s22
.LBB176_543:                            ;   in Loop: Header=BB176_273 Depth=1
	s_or_b32 exec_lo, exec_lo, s19
.LBB176_544:                            ;   in Loop: Header=BB176_273 Depth=1
	s_or_b32 exec_lo, exec_lo, s18
	v_or_b32_e32 v5, v16, v14
	v_or_b32_e32 v9, v15, v13
	v_or_b32_e32 v14, v19, v17
	v_or_b32_e32 v15, v20, v18
	v_mul_f32_e32 v11, s16, v5
	v_mul_f32_e32 v13, s14, v9
	;; [unrolled: 1-line block ×4, first 2 shown]
	s_and_saveexec_b32 s1, s0
	s_cbranch_execz .LBB176_271
; %bb.545:                              ;   in Loop: Header=BB176_273 Depth=1
	v_add_nc_u32_e32 v14, -2, v38
	v_cmp_gt_i32_e64 s0, s11, v51
	v_add_nc_u32_e32 v15, -1, v38
	v_cndmask_b32_e64 v13, 0, v13, s0
	v_cmp_gt_i32_e64 s0, s11, v14
	v_cndmask_b32_e64 v11, 0, v11, s0
	v_cmp_gt_i32_e64 s0, s11, v15
	v_cndmask_b32_e64 v9, 0, v9, s0
	v_cmp_gt_i32_e64 s0, s11, v38
	v_cndmask_b32_e64 v5, 0, v5, s0
	s_branch .LBB176_271
.LBB176_546:
	s_or_b32 exec_lo, exec_lo, s15
.LBB176_547:
	s_or_b32 exec_lo, exec_lo, s4
	ds_bpermute_b32 v1, v26, v33
	ds_bpermute_b32 v3, v26, v35
	;; [unrolled: 1-line block ×8, first 2 shown]
	s_movk_i32 s0, 0x1e0
	v_and_b32_e32 v11, 0x3c0, v0
	v_mad_u32_u24 v9, v39, s0, 0x200
	s_mov_b32 s1, exec_lo
	v_cmp_eq_u32_e32 vcc_lo, 0, v27
	s_waitcnt lgkmcnt(0)
	s_barrier
	buffer_gl0_inv
	v_add_f32_e32 v2, v33, v1
	v_add_f32_e32 v3, v35, v3
	;; [unrolled: 1-line block ×8, first 2 shown]
	v_cmpx_eq_u32_e32 64, v11
	s_cbranch_execz .LBB176_552
; %bb.548:
	v_add_nc_u32_e32 v10, 0xfffffc40, v9
	s_and_saveexec_b32 s0, vcc_lo
	s_cbranch_execz .LBB176_550
; %bb.549:
	v_lshl_add_u32 v11, v25, 2, v10
	ds_write2_b32 v11, v2, v3 offset1:16
	ds_write2_b32 v11, v4, v5 offset0:32 offset1:48
	ds_write2_b32 v11, v6, v7 offset0:64 offset1:80
	ds_write_b32 v11, v8 offset:384
.LBB176_550:
	s_or_b32 exec_lo, exec_lo, s0
	v_or_b32_e32 v11, 0x70, v25
	v_cmp_gt_u32_e64 s0, 0x78, v11
	s_and_b32 s0, vcc_lo, s0
	s_and_b32 exec_lo, exec_lo, s0
; %bb.551:
	v_lshl_add_u32 v10, v11, 2, v10
	ds_write_b32 v10, v1
.LBB176_552:
	s_or_b32 exec_lo, exec_lo, s1
	s_mov_b32 s1, exec_lo
	s_waitcnt lgkmcnt(0)
	s_barrier
	buffer_gl0_inv
	v_cmpx_gt_u32_e32 64, v0
	s_cbranch_execz .LBB176_564
; %bb.553:
	s_and_saveexec_b32 s0, vcc_lo
	s_cbranch_execnz .LBB176_587
; %bb.554:
	s_or_b32 exec_lo, exec_lo, s0
	s_and_saveexec_b32 s0, vcc_lo
	s_cbranch_execnz .LBB176_588
.LBB176_555:
	s_or_b32 exec_lo, exec_lo, s0
	s_and_saveexec_b32 s0, vcc_lo
	s_cbranch_execnz .LBB176_589
.LBB176_556:
	s_or_b32 exec_lo, exec_lo, s0
	s_and_saveexec_b32 s0, vcc_lo
	s_cbranch_execnz .LBB176_590
.LBB176_557:
	s_or_b32 exec_lo, exec_lo, s0
	s_and_saveexec_b32 s0, vcc_lo
	s_cbranch_execnz .LBB176_591
.LBB176_558:
	s_or_b32 exec_lo, exec_lo, s0
	s_and_saveexec_b32 s0, vcc_lo
	s_cbranch_execnz .LBB176_592
.LBB176_559:
	s_or_b32 exec_lo, exec_lo, s0
	s_and_saveexec_b32 s0, vcc_lo
	s_cbranch_execz .LBB176_561
.LBB176_560:
	v_lshl_add_u32 v10, v25, 2, v9
	ds_read_b32 v10, v10 offset:384
	s_waitcnt lgkmcnt(0)
	v_add_f32_e32 v8, v8, v10
.LBB176_561:
	s_or_b32 exec_lo, exec_lo, s0
	v_or_b32_e32 v10, 0x70, v25
	v_cmp_gt_u32_e64 s0, 0x78, v10
	s_and_b32 s2, vcc_lo, s0
	s_and_saveexec_b32 s0, s2
	s_cbranch_execz .LBB176_563
; %bb.562:
	v_lshl_add_u32 v10, v25, 2, v9
	ds_read_b32 v10, v10 offset:448
	s_waitcnt lgkmcnt(0)
	v_add_f32_e32 v1, v1, v10
.LBB176_563:
	s_or_b32 exec_lo, exec_lo, s0
.LBB176_564:
	s_or_b32 exec_lo, exec_lo, s1
	v_and_b32_e32 v10, 0x3e0, v0
	s_mov_b32 s1, exec_lo
	s_barrier
	buffer_gl0_inv
	v_cmpx_eq_u32_e32 32, v10
	s_cbranch_execz .LBB176_569
; %bb.565:
	v_lshl_add_u32 v10, v25, 2, 0x200
	s_and_saveexec_b32 s0, vcc_lo
	s_cbranch_execz .LBB176_567
; %bb.566:
	ds_write2_b32 v10, v2, v3 offset1:16
	ds_write2_b32 v10, v4, v5 offset0:32 offset1:48
	ds_write2_b32 v10, v6, v7 offset0:64 offset1:80
	ds_write_b32 v10, v8 offset:384
.LBB176_567:
	s_or_b32 exec_lo, exec_lo, s0
	v_or_b32_e32 v11, 0x70, v25
	v_cmp_gt_u32_e64 s0, 0x78, v11
	s_and_b32 s0, vcc_lo, s0
	s_and_b32 exec_lo, exec_lo, s0
; %bb.568:
	ds_write_b32 v10, v1 offset:448
.LBB176_569:
	s_or_b32 exec_lo, exec_lo, s1
	v_cmp_gt_u32_e64 s0, 32, v0
	s_waitcnt lgkmcnt(0)
	s_barrier
	buffer_gl0_inv
	s_and_saveexec_b32 s2, s0
	s_cbranch_execz .LBB176_581
; %bb.570:
	v_lshl_add_u32 v9, v25, 2, v9
	s_and_saveexec_b32 s1, vcc_lo
	s_cbranch_execnz .LBB176_593
; %bb.571:
	s_or_b32 exec_lo, exec_lo, s1
	s_and_saveexec_b32 s1, vcc_lo
	s_cbranch_execnz .LBB176_594
.LBB176_572:
	s_or_b32 exec_lo, exec_lo, s1
	s_and_saveexec_b32 s1, vcc_lo
	s_cbranch_execnz .LBB176_595
.LBB176_573:
	s_or_b32 exec_lo, exec_lo, s1
	s_and_saveexec_b32 s1, vcc_lo
	s_cbranch_execnz .LBB176_596
.LBB176_574:
	s_or_b32 exec_lo, exec_lo, s1
	s_and_saveexec_b32 s1, vcc_lo
	s_cbranch_execnz .LBB176_597
.LBB176_575:
	s_or_b32 exec_lo, exec_lo, s1
	s_and_saveexec_b32 s1, vcc_lo
	s_cbranch_execnz .LBB176_598
.LBB176_576:
	s_or_b32 exec_lo, exec_lo, s1
	s_and_saveexec_b32 s1, vcc_lo
	s_cbranch_execz .LBB176_578
.LBB176_577:
	ds_read_b32 v10, v9 offset:384
	s_waitcnt lgkmcnt(0)
	v_add_f32_e32 v8, v8, v10
.LBB176_578:
	s_or_b32 exec_lo, exec_lo, s1
	v_or_b32_e32 v10, 0x70, v25
	v_cmp_gt_u32_e64 s1, 0x78, v10
	s_and_b32 s3, vcc_lo, s1
	s_and_saveexec_b32 s1, s3
	s_cbranch_execz .LBB176_580
; %bb.579:
	ds_read_b32 v9, v9 offset:448
	s_waitcnt lgkmcnt(0)
	v_add_f32_e32 v1, v1, v9
.LBB176_580:
	s_or_b32 exec_lo, exec_lo, s1
.LBB176_581:
	s_or_b32 exec_lo, exec_lo, s2
	s_barrier
	buffer_gl0_inv
	s_and_saveexec_b32 s1, s0
	s_cbranch_execz .LBB176_586
; %bb.582:
	s_mul_i32 s0, s10, s7
	s_mul_i32 s2, s7, s6
	;; [unrolled: 1-line block ×3, first 2 shown]
	v_lshrrev_b32_e32 v9, 1, v0
	s_mulk_i32 s0, 0x78
	s_ashr_i32 s1, s0, 31
	v_lshlrev_b32_e32 v0, 2, v9
	s_lshl_b64 s[0:1], s[0:1], 2
	s_add_u32 s4, s20, s0
	s_addc_u32 s1, s21, s1
	s_ashr_i32 s3, s2, 31
	s_mul_i32 s0, s8, 0x78
	s_lshl_b64 s[2:3], s[2:3], 2
	s_add_u32 s2, s4, s2
	s_addc_u32 s3, s1, s3
	s_ashr_i32 s1, s0, 31
	s_lshl_b64 s[0:1], s[0:1], 2
	s_add_u32 s2, s2, s0
	s_addc_u32 s3, s3, s1
	s_and_saveexec_b32 s0, vcc_lo
	s_cbranch_execz .LBB176_584
; %bb.583:
	global_store_dword v0, v2, s[2:3]
	global_store_dword v0, v3, s[2:3] offset:64
	global_store_dword v0, v4, s[2:3] offset:128
	;; [unrolled: 1-line block ×6, first 2 shown]
.LBB176_584:
	s_or_b32 exec_lo, exec_lo, s0
	v_or_b32_e32 v2, 0x70, v9
	v_cmp_gt_u32_e64 s0, 0x78, v2
	s_and_b32 s0, vcc_lo, s0
	s_and_b32 exec_lo, exec_lo, s0
	s_cbranch_execz .LBB176_586
; %bb.585:
	global_store_dword v0, v1, s[2:3] offset:448
.LBB176_586:
	s_endpgm
.LBB176_587:
	v_lshl_add_u32 v10, v25, 2, v9
	ds_read_b32 v10, v10
	s_waitcnt lgkmcnt(0)
	v_add_f32_e32 v2, v2, v10
	s_or_b32 exec_lo, exec_lo, s0
	s_and_saveexec_b32 s0, vcc_lo
	s_cbranch_execz .LBB176_555
.LBB176_588:
	v_lshl_add_u32 v10, v25, 2, v9
	ds_read_b32 v10, v10 offset:64
	s_waitcnt lgkmcnt(0)
	v_add_f32_e32 v3, v3, v10
	s_or_b32 exec_lo, exec_lo, s0
	s_and_saveexec_b32 s0, vcc_lo
	s_cbranch_execz .LBB176_556
.LBB176_589:
	v_lshl_add_u32 v10, v25, 2, v9
	ds_read_b32 v10, v10 offset:128
	s_waitcnt lgkmcnt(0)
	v_add_f32_e32 v4, v4, v10
	s_or_b32 exec_lo, exec_lo, s0
	s_and_saveexec_b32 s0, vcc_lo
	s_cbranch_execz .LBB176_557
.LBB176_590:
	v_lshl_add_u32 v10, v25, 2, v9
	ds_read_b32 v10, v10 offset:192
	s_waitcnt lgkmcnt(0)
	v_add_f32_e32 v5, v5, v10
	s_or_b32 exec_lo, exec_lo, s0
	s_and_saveexec_b32 s0, vcc_lo
	s_cbranch_execz .LBB176_558
.LBB176_591:
	v_lshl_add_u32 v10, v25, 2, v9
	ds_read_b32 v10, v10 offset:256
	s_waitcnt lgkmcnt(0)
	v_add_f32_e32 v6, v6, v10
	s_or_b32 exec_lo, exec_lo, s0
	s_and_saveexec_b32 s0, vcc_lo
	s_cbranch_execz .LBB176_559
.LBB176_592:
	v_lshl_add_u32 v10, v25, 2, v9
	ds_read_b32 v10, v10 offset:320
	s_waitcnt lgkmcnt(0)
	v_add_f32_e32 v7, v7, v10
	s_or_b32 exec_lo, exec_lo, s0
	s_and_saveexec_b32 s0, vcc_lo
	s_cbranch_execnz .LBB176_560
	s_branch .LBB176_561
.LBB176_593:
	ds_read_b32 v10, v9
	s_waitcnt lgkmcnt(0)
	v_add_f32_e32 v2, v2, v10
	s_or_b32 exec_lo, exec_lo, s1
	s_and_saveexec_b32 s1, vcc_lo
	s_cbranch_execz .LBB176_572
.LBB176_594:
	ds_read_b32 v10, v9 offset:64
	s_waitcnt lgkmcnt(0)
	v_add_f32_e32 v3, v3, v10
	s_or_b32 exec_lo, exec_lo, s1
	s_and_saveexec_b32 s1, vcc_lo
	s_cbranch_execz .LBB176_573
.LBB176_595:
	ds_read_b32 v10, v9 offset:128
	s_waitcnt lgkmcnt(0)
	v_add_f32_e32 v4, v4, v10
	s_or_b32 exec_lo, exec_lo, s1
	s_and_saveexec_b32 s1, vcc_lo
	s_cbranch_execz .LBB176_574
.LBB176_596:
	ds_read_b32 v10, v9 offset:192
	s_waitcnt lgkmcnt(0)
	v_add_f32_e32 v5, v5, v10
	s_or_b32 exec_lo, exec_lo, s1
	s_and_saveexec_b32 s1, vcc_lo
	s_cbranch_execz .LBB176_575
.LBB176_597:
	ds_read_b32 v10, v9 offset:256
	s_waitcnt lgkmcnt(0)
	v_add_f32_e32 v6, v6, v10
	s_or_b32 exec_lo, exec_lo, s1
	s_and_saveexec_b32 s1, vcc_lo
	s_cbranch_execz .LBB176_576
.LBB176_598:
	ds_read_b32 v10, v9 offset:320
	s_waitcnt lgkmcnt(0)
	v_add_f32_e32 v7, v7, v10
	s_or_b32 exec_lo, exec_lo, s1
	s_and_saveexec_b32 s1, vcc_lo
	s_cbranch_execnz .LBB176_577
	s_branch .LBB176_578
	.section	.rodata,"a",@progbits
	.p2align	6, 0x0
	.amdhsa_kernel _ZN4vllm25paged_attention_v1_kernelIfhLi120ELi8ELi128ELNS_18Fp8KVCacheDataTypeE1ELb0EEEvPT_PKS2_PKT0_S8_ifPKiSA_iPKfiiiSC_SC_iiiii
		.amdhsa_group_segment_fixed_size 512
		.amdhsa_private_segment_fixed_size 0
		.amdhsa_kernarg_size 384
		.amdhsa_user_sgpr_count 6
		.amdhsa_user_sgpr_private_segment_buffer 1
		.amdhsa_user_sgpr_dispatch_ptr 0
		.amdhsa_user_sgpr_queue_ptr 0
		.amdhsa_user_sgpr_kernarg_segment_ptr 1
		.amdhsa_user_sgpr_dispatch_id 0
		.amdhsa_user_sgpr_flat_scratch_init 0
		.amdhsa_user_sgpr_private_segment_size 0
		.amdhsa_wavefront_size32 1
		.amdhsa_uses_dynamic_stack 0
		.amdhsa_system_sgpr_private_segment_wavefront_offset 0
		.amdhsa_system_sgpr_workgroup_id_x 1
		.amdhsa_system_sgpr_workgroup_id_y 1
		.amdhsa_system_sgpr_workgroup_id_z 1
		.amdhsa_system_sgpr_workgroup_info 0
		.amdhsa_system_vgpr_workitem_id 0
		.amdhsa_next_free_vgpr 85
		.amdhsa_next_free_sgpr 34
		.amdhsa_reserve_vcc 1
		.amdhsa_reserve_flat_scratch 0
		.amdhsa_float_round_mode_32 0
		.amdhsa_float_round_mode_16_64 0
		.amdhsa_float_denorm_mode_32 3
		.amdhsa_float_denorm_mode_16_64 3
		.amdhsa_dx10_clamp 1
		.amdhsa_ieee_mode 1
		.amdhsa_fp16_overflow 0
		.amdhsa_workgroup_processor_mode 1
		.amdhsa_memory_ordered 1
		.amdhsa_forward_progress 1
		.amdhsa_shared_vgpr_count 0
		.amdhsa_exception_fp_ieee_invalid_op 0
		.amdhsa_exception_fp_denorm_src 0
		.amdhsa_exception_fp_ieee_div_zero 0
		.amdhsa_exception_fp_ieee_overflow 0
		.amdhsa_exception_fp_ieee_underflow 0
		.amdhsa_exception_fp_ieee_inexact 0
		.amdhsa_exception_int_div_zero 0
	.end_amdhsa_kernel
	.section	.text._ZN4vllm25paged_attention_v1_kernelIfhLi120ELi8ELi128ELNS_18Fp8KVCacheDataTypeE1ELb0EEEvPT_PKS2_PKT0_S8_ifPKiSA_iPKfiiiSC_SC_iiiii,"axG",@progbits,_ZN4vllm25paged_attention_v1_kernelIfhLi120ELi8ELi128ELNS_18Fp8KVCacheDataTypeE1ELb0EEEvPT_PKS2_PKT0_S8_ifPKiSA_iPKfiiiSC_SC_iiiii,comdat
.Lfunc_end176:
	.size	_ZN4vllm25paged_attention_v1_kernelIfhLi120ELi8ELi128ELNS_18Fp8KVCacheDataTypeE1ELb0EEEvPT_PKS2_PKT0_S8_ifPKiSA_iPKfiiiSC_SC_iiiii, .Lfunc_end176-_ZN4vllm25paged_attention_v1_kernelIfhLi120ELi8ELi128ELNS_18Fp8KVCacheDataTypeE1ELb0EEEvPT_PKS2_PKT0_S8_ifPKiSA_iPKfiiiSC_SC_iiiii
                                        ; -- End function
	.set _ZN4vllm25paged_attention_v1_kernelIfhLi120ELi8ELi128ELNS_18Fp8KVCacheDataTypeE1ELb0EEEvPT_PKS2_PKT0_S8_ifPKiSA_iPKfiiiSC_SC_iiiii.num_vgpr, 85
	.set _ZN4vllm25paged_attention_v1_kernelIfhLi120ELi8ELi128ELNS_18Fp8KVCacheDataTypeE1ELb0EEEvPT_PKS2_PKT0_S8_ifPKiSA_iPKfiiiSC_SC_iiiii.num_agpr, 0
	.set _ZN4vllm25paged_attention_v1_kernelIfhLi120ELi8ELi128ELNS_18Fp8KVCacheDataTypeE1ELb0EEEvPT_PKS2_PKT0_S8_ifPKiSA_iPKfiiiSC_SC_iiiii.numbered_sgpr, 34
	.set _ZN4vllm25paged_attention_v1_kernelIfhLi120ELi8ELi128ELNS_18Fp8KVCacheDataTypeE1ELb0EEEvPT_PKS2_PKT0_S8_ifPKiSA_iPKfiiiSC_SC_iiiii.num_named_barrier, 0
	.set _ZN4vllm25paged_attention_v1_kernelIfhLi120ELi8ELi128ELNS_18Fp8KVCacheDataTypeE1ELb0EEEvPT_PKS2_PKT0_S8_ifPKiSA_iPKfiiiSC_SC_iiiii.private_seg_size, 0
	.set _ZN4vllm25paged_attention_v1_kernelIfhLi120ELi8ELi128ELNS_18Fp8KVCacheDataTypeE1ELb0EEEvPT_PKS2_PKT0_S8_ifPKiSA_iPKfiiiSC_SC_iiiii.uses_vcc, 1
	.set _ZN4vllm25paged_attention_v1_kernelIfhLi120ELi8ELi128ELNS_18Fp8KVCacheDataTypeE1ELb0EEEvPT_PKS2_PKT0_S8_ifPKiSA_iPKfiiiSC_SC_iiiii.uses_flat_scratch, 0
	.set _ZN4vllm25paged_attention_v1_kernelIfhLi120ELi8ELi128ELNS_18Fp8KVCacheDataTypeE1ELb0EEEvPT_PKS2_PKT0_S8_ifPKiSA_iPKfiiiSC_SC_iiiii.has_dyn_sized_stack, 0
	.set _ZN4vllm25paged_attention_v1_kernelIfhLi120ELi8ELi128ELNS_18Fp8KVCacheDataTypeE1ELb0EEEvPT_PKS2_PKT0_S8_ifPKiSA_iPKfiiiSC_SC_iiiii.has_recursion, 0
	.set _ZN4vllm25paged_attention_v1_kernelIfhLi120ELi8ELi128ELNS_18Fp8KVCacheDataTypeE1ELb0EEEvPT_PKS2_PKT0_S8_ifPKiSA_iPKfiiiSC_SC_iiiii.has_indirect_call, 0
	.section	.AMDGPU.csdata,"",@progbits
; Kernel info:
; codeLenInByte = 16872
; TotalNumSgprs: 36
; NumVgprs: 85
; ScratchSize: 0
; MemoryBound: 0
; FloatMode: 240
; IeeeMode: 1
; LDSByteSize: 512 bytes/workgroup (compile time only)
; SGPRBlocks: 0
; VGPRBlocks: 10
; NumSGPRsForWavesPerEU: 36
; NumVGPRsForWavesPerEU: 85
; Occupancy: 10
; WaveLimiterHint : 1
; COMPUTE_PGM_RSRC2:SCRATCH_EN: 0
; COMPUTE_PGM_RSRC2:USER_SGPR: 6
; COMPUTE_PGM_RSRC2:TRAP_HANDLER: 0
; COMPUTE_PGM_RSRC2:TGID_X_EN: 1
; COMPUTE_PGM_RSRC2:TGID_Y_EN: 1
; COMPUTE_PGM_RSRC2:TGID_Z_EN: 1
; COMPUTE_PGM_RSRC2:TIDIG_COMP_CNT: 0
	.section	.text._ZN4vllm25paged_attention_v1_kernelIfhLi128ELi8ELi128ELNS_18Fp8KVCacheDataTypeE1ELb0EEEvPT_PKS2_PKT0_S8_ifPKiSA_iPKfiiiSC_SC_iiiii,"axG",@progbits,_ZN4vllm25paged_attention_v1_kernelIfhLi128ELi8ELi128ELNS_18Fp8KVCacheDataTypeE1ELb0EEEvPT_PKS2_PKT0_S8_ifPKiSA_iPKfiiiSC_SC_iiiii,comdat
	.protected	_ZN4vllm25paged_attention_v1_kernelIfhLi128ELi8ELi128ELNS_18Fp8KVCacheDataTypeE1ELb0EEEvPT_PKS2_PKT0_S8_ifPKiSA_iPKfiiiSC_SC_iiiii ; -- Begin function _ZN4vllm25paged_attention_v1_kernelIfhLi128ELi8ELi128ELNS_18Fp8KVCacheDataTypeE1ELb0EEEvPT_PKS2_PKT0_S8_ifPKiSA_iPKfiiiSC_SC_iiiii
	.globl	_ZN4vllm25paged_attention_v1_kernelIfhLi128ELi8ELi128ELNS_18Fp8KVCacheDataTypeE1ELb0EEEvPT_PKS2_PKT0_S8_ifPKiSA_iPKfiiiSC_SC_iiiii
	.p2align	8
	.type	_ZN4vllm25paged_attention_v1_kernelIfhLi128ELi8ELi128ELNS_18Fp8KVCacheDataTypeE1ELb0EEEvPT_PKS2_PKT0_S8_ifPKiSA_iPKfiiiSC_SC_iiiii,@function
_ZN4vllm25paged_attention_v1_kernelIfhLi128ELi8ELi128ELNS_18Fp8KVCacheDataTypeE1ELb0EEEvPT_PKS2_PKT0_S8_ifPKiSA_iPKfiiiSC_SC_iiiii: ; @_ZN4vllm25paged_attention_v1_kernelIfhLi128ELi8ELi128ELNS_18Fp8KVCacheDataTypeE1ELb0EEEvPT_PKS2_PKT0_S8_ifPKiSA_iPKfiiiSC_SC_iiiii
; %bb.0:
	s_clause 0x2
	s_load_dword s9, s[4:5], 0x80
	s_load_dwordx2 s[0:1], s[4:5], 0x30
	s_load_dwordx2 s[28:29], s[4:5], 0x20
	s_mov_b32 s10, s7
	s_ashr_i32 s11, s7, 31
	s_lshl_b64 s[2:3], s[10:11], 2
	s_waitcnt lgkmcnt(0)
	s_add_u32 s0, s0, s2
	s_addc_u32 s1, s1, s3
	s_abs_i32 s2, s28
	s_abs_i32 s11, s9
	v_cvt_f32_u32_e32 v1, s2
	s_sub_i32 s7, 0, s2
	v_rcp_iflag_f32_e32 v1, v1
	v_mul_f32_e32 v1, 0x4f7ffffe, v1
	v_cvt_u32_f32_e32 v1, v1
	v_readfirstlane_b32 s3, v1
	s_mul_i32 s7, s7, s3
	s_mul_hi_u32 s7, s3, s7
	s_add_i32 s3, s3, s7
	s_xor_b32 s7, s9, s28
	s_mul_hi_u32 s3, s11, s3
	s_ashr_i32 s7, s7, 31
	s_mul_i32 s12, s3, s2
	s_mov_b32 s28, 0
	s_sub_i32 s11, s11, s12
	s_add_i32 s12, s3, 1
	s_sub_i32 s13, s11, s2
	s_cmp_ge_u32 s11, s2
	s_cselect_b32 s3, s12, s3
	s_cselect_b32 s11, s13, s11
	s_add_i32 s12, s3, 1
	s_cmp_ge_u32 s11, s2
	s_cselect_b32 s2, s12, s3
	s_abs_i32 s17, s6
	s_xor_b32 s2, s2, s7
	s_sub_i32 s19, s2, s7
	s_load_dwordx2 s[2:3], s[4:5], 0x40
	s_abs_i32 s16, s19
	v_cvt_f32_u32_e32 v1, s16
	s_sub_i32 s11, 0, s16
	v_rcp_iflag_f32_e32 v1, v1
	v_mul_f32_e32 v1, 0x4f7ffffe, v1
	v_cvt_u32_f32_e32 v1, v1
	v_readfirstlane_b32 s7, v1
	s_mul_i32 s11, s11, s7
	s_mul_hi_u32 s11, s7, s11
	s_add_i32 s7, s7, s11
	s_waitcnt lgkmcnt(0)
	s_cmp_eq_u64 s[2:3], 0
	s_mul_hi_u32 s18, s17, s7
	s_cbranch_scc1 .LBB177_2
; %bb.1:
	s_ashr_i32 s7, s6, 31
	s_lshl_b64 s[12:13], s[6:7], 2
	s_add_u32 s2, s2, s12
	s_addc_u32 s3, s3, s13
	s_load_dword s28, s[2:3], 0x0
.LBB177_2:
	s_load_dword s11, s[0:1], 0x0
	s_load_dwordx4 s[12:15], s[4:5], 0x48
	v_and_b32_e32 v33, 3, v0
	v_lshlrev_b32_e32 v42, 2, v0
	s_ashr_i32 s0, s6, 31
	s_ashr_i32 s1, s19, 31
	s_lshl_b32 s6, s6, 7
	s_mov_b32 s2, exec_lo
	v_cmpx_gt_u32_e32 0x80, v0
	s_cbranch_execz .LBB177_4
; %bb.3:
	s_load_dwordx2 s[20:21], s[4:5], 0x8
	s_waitcnt lgkmcnt(0)
	s_mul_i32 s22, s12, s10
	v_and_b32_e32 v2, 0x3fc, v0
	s_ashr_i32 s23, s22, 31
	s_lshl_b64 s[22:23], s[22:23], 2
	v_lshl_add_u32 v2, v33, 7, v2
	s_add_u32 s3, s20, s22
	s_addc_u32 s12, s21, s23
	s_ashr_i32 s7, s6, 31
	s_lshl_b64 s[20:21], s[6:7], 2
	s_add_u32 s20, s3, s20
	s_addc_u32 s21, s12, s21
	global_load_dword v1, v42, s[20:21]
	s_waitcnt vmcnt(0)
	ds_write_b32 v2, v1
.LBB177_4:
	s_or_b32 exec_lo, exec_lo, s2
	s_waitcnt lgkmcnt(0)
	s_add_i32 s2, s11, 7
	s_clause 0x1
	s_load_dwordx2 s[22:23], s[4:5], 0x28
	s_load_dword s7, s[4:5], 0x38
	s_ashr_i32 s3, s2, 31
	s_xor_b32 s0, s0, s1
	s_lshr_b32 s3, s3, 29
	s_mul_i32 s1, s18, s16
	s_add_i32 s2, s2, s3
	s_sub_i32 s1, s17, s1
	s_ashr_i32 s12, s2, 3
	s_add_i32 s2, s18, 1
	s_sub_i32 s3, s1, s16
	s_cmp_ge_u32 s1, s16
	v_lshrrev_b32_e32 v41, 5, v0
	s_cselect_b32 s2, s2, s18
	s_cselect_b32 s1, s3, s1
	s_add_i32 s3, s2, 1
	s_cmp_ge_u32 s1, s16
	v_mbcnt_lo_u32_b32 v44, -1, 0
	s_cselect_b32 s1, s3, s2
	s_mov_b32 s2, exec_lo
	s_xor_b32 s1, s1, s0
	s_waitcnt lgkmcnt(0)
	s_mul_i32 s24, s7, s10
	s_sub_i32 s1, s1, s0
	v_cmp_gt_i32_e64 s0, s12, v41
	s_ashr_i32 s25, s24, 31
	s_barrier
	buffer_gl0_inv
                                        ; implicit-def: $vgpr34
                                        ; implicit-def: $vgpr45
	v_cmpx_le_i32_e64 s12, v41
	s_xor_b32 s2, exec_lo, s2
; %bb.5:
	v_mov_b32_e32 v34, 0
	v_mbcnt_lo_u32_b32 v44, -1, 0
	v_mov_b32_e32 v45, 32
                                        ; implicit-def: $vgpr33
; %bb.6:
	s_or_saveexec_b32 s15, s2
	s_clause 0x3
	s_load_dwordx2 s[20:21], s[4:5], 0x0
	s_load_dwordx2 s[26:27], s[4:5], 0x18
	s_load_dword s7, s[4:5], 0x88
	s_load_dwordx4 s[16:19], s[4:5], 0x58
	v_mov_b32_e32 v46, 0xff7fffff
	v_lshrrev_b32_e32 v43, 3, v0
	s_mul_i32 s14, s1, s14
	s_xor_b32 exec_lo, exec_lo, s15
	s_cbranch_execz .LBB177_268
; %bb.7:
	s_load_dwordx2 s[2:3], s[4:5], 0x10
	v_xor_b32_e32 v25, 2, v44
	v_bfe_u32 v37, v0, 2, 3
	v_xor_b32_e32 v26, 1, v44
	v_lshlrev_b32_e32 v29, 7, v33
	ds_read_b128 v[1:4], v29
	ds_read_b128 v[5:8], v29 offset:16
	ds_read_b128 v[9:12], v29 offset:32
	;; [unrolled: 1-line block ×5, first 2 shown]
	v_cmp_gt_i32_e32 vcc_lo, 32, v25
	v_lshlrev_b32_e32 v27, 4, v37
	s_ashr_i32 s1, s14, 31
	v_lshlrev_b32_e32 v40, 2, v37
	v_lshl_or_b32 v49, v41, 3, v37
	v_cndmask_b32_e32 v35, v44, v25, vcc_lo
	v_cmp_gt_i32_e32 vcc_lo, 32, v26
	v_and_b32_e32 v37, 0x7c, v43
	v_mov_b32_e32 v34, 0
	v_mov_b32_e32 v45, 32
	s_waitcnt lgkmcnt(0)
	s_add_u32 s2, s2, s14
	v_cndmask_b32_e32 v36, v44, v26, vcc_lo
	v_add_co_u32 v38, s2, s2, v27
	ds_read_b128 v[25:28], v29 offset:96
	ds_read_b128 v[29:32], v29 offset:112
	s_load_dword s4, s[16:17], 0x0
	s_addc_u32 s1, s3, s1
	v_lshlrev_b32_e32 v47, 2, v35
	v_add_co_ci_u32_e64 v39, null, s1, 0, s2
	v_add_co_u32 v35, s2, v38, v33
	v_lshlrev_b32_e32 v48, 2, v36
	v_add_co_ci_u32_e64 v36, null, 0, v39, s2
	s_lshl_b64 s[2:3], s[24:25], 2
	v_cmp_eq_u32_e32 vcc_lo, 0, v33
	v_lshl_or_b32 v33, v41, 5, v40
	s_sub_i32 s5, 1, s11
	s_add_u32 s2, s22, s2
	s_addc_u32 s3, s23, s3
	v_add_co_u32 v37, s2, s2, v37
	v_cmp_neq_f32_e64 s1, s28, 0
	v_add_nc_u32_e32 v50, 0x220, v33
	v_add_co_ci_u32_e64 v38, null, s3, 0, s2
	v_mov_b32_e32 v46, 0xff7fffff
	v_mov_b32_e32 v51, 0x7f
	;; [unrolled: 1-line block ×4, first 2 shown]
	s_mov_b32 s17, s13
	s_mov_b32 s16, 0
	s_branch .LBB177_9
.LBB177_8:                              ;   in Loop: Header=BB177_9 Depth=1
	s_or_b32 exec_lo, exec_lo, s3
	v_add_nc_u32_e32 v53, 4, v53
	v_add_co_u32 v37, s3, v37, 16
	v_add_nc_u32_e32 v49, 32, v49
	v_add_nc_u32_e32 v50, 0x80, v50
	v_cmp_le_i32_e64 s2, s12, v53
	v_add_co_ci_u32_e64 v38, null, 0, v38, s3
	s_or_b32 s16, s2, s16
	s_andn2_b32 exec_lo, exec_lo, s16
	s_cbranch_execz .LBB177_267
.LBB177_9:                              ; =>This Inner Loop Header: Depth=1
	global_load_dword v33, v[37:38], off
	v_mov_b32_e32 v54, 0
	v_mov_b32_e32 v55, 0
	s_mov_b32 s3, exec_lo
	s_waitcnt vmcnt(0) lgkmcnt(0)
	v_mad_i64_i32 v[39:40], null, v33, s17, v[35:36]
	global_load_ubyte v56, v[39:40], off
	s_waitcnt vmcnt(0)
	v_cmpx_ne_u16_e32 0, v56
	s_cbranch_execz .LBB177_17
; %bb.10:                               ;   in Loop: Header=BB177_9 Depth=1
	v_bfrev_b32_e32 v55, 1
	s_mov_b32 s30, exec_lo
	v_cmpx_ne_u16_e32 0x80, v56
	s_cbranch_execz .LBB177_16
; %bb.11:                               ;   in Loop: Header=BB177_9 Depth=1
	v_and_b32_sdwa v57, v56, v51 dst_sel:DWORD dst_unused:UNUSED_PAD src0_sel:WORD_0 src1_sel:DWORD
	v_mov_b32_e32 v55, 0x7f800001
	s_mov_b32 s31, exec_lo
	v_cmpx_ne_u32_e32 0x7f, v57
	s_cbranch_execz .LBB177_15
; %bb.12:                               ;   in Loop: Header=BB177_9 Depth=1
	v_and_b32_sdwa v33, v56, v52 dst_sel:DWORD dst_unused:UNUSED_PAD src0_sel:WORD_0 src1_sel:DWORD
	v_lshrrev_b32_e32 v55, 3, v57
	s_mov_b32 s33, exec_lo
	v_cmpx_gt_u32_e32 8, v57
; %bb.13:                               ;   in Loop: Header=BB177_9 Depth=1
	v_ffbh_u32_e32 v55, v33
	v_min_u32_e32 v55, 32, v55
	v_subrev_nc_u32_e32 v57, 28, v55
	v_sub_nc_u32_e32 v55, 29, v55
	v_lshlrev_b64 v[57:58], v57, v[33:34]
	v_and_b32_e32 v33, 7, v57
; %bb.14:                               ;   in Loop: Header=BB177_9 Depth=1
	s_or_b32 exec_lo, exec_lo, s33
	v_lshlrev_b32_e32 v56, 24, v56
	v_lshlrev_b32_e32 v33, 20, v33
	v_lshl_add_u32 v55, v55, 23, 0x3c000000
	v_and_b32_e32 v56, 0x80000000, v56
	v_or3_b32 v55, v33, v56, v55
.LBB177_15:                             ;   in Loop: Header=BB177_9 Depth=1
	s_or_b32 exec_lo, exec_lo, s31
.LBB177_16:                             ;   in Loop: Header=BB177_9 Depth=1
	s_or_b32 exec_lo, exec_lo, s30
.LBB177_17:                             ;   in Loop: Header=BB177_9 Depth=1
	s_or_b32 exec_lo, exec_lo, s3
	global_load_ubyte v56, v[39:40], off offset:4
	s_mov_b32 s3, exec_lo
	s_waitcnt vmcnt(0)
	v_cmpx_ne_u16_e32 0, v56
	s_cbranch_execz .LBB177_25
; %bb.18:                               ;   in Loop: Header=BB177_9 Depth=1
	v_bfrev_b32_e32 v54, 1
	s_mov_b32 s30, exec_lo
	v_cmpx_ne_u16_e32 0x80, v56
	s_cbranch_execz .LBB177_24
; %bb.19:                               ;   in Loop: Header=BB177_9 Depth=1
	v_and_b32_sdwa v57, v56, v51 dst_sel:DWORD dst_unused:UNUSED_PAD src0_sel:WORD_0 src1_sel:DWORD
	v_mov_b32_e32 v54, 0x7f800001
	s_mov_b32 s31, exec_lo
	v_cmpx_ne_u32_e32 0x7f, v57
	s_cbranch_execz .LBB177_23
; %bb.20:                               ;   in Loop: Header=BB177_9 Depth=1
	v_and_b32_sdwa v33, v56, v52 dst_sel:DWORD dst_unused:UNUSED_PAD src0_sel:WORD_0 src1_sel:DWORD
	v_lshrrev_b32_e32 v54, 3, v57
	s_mov_b32 s33, exec_lo
	v_cmpx_gt_u32_e32 8, v57
; %bb.21:                               ;   in Loop: Header=BB177_9 Depth=1
	v_ffbh_u32_e32 v54, v33
	v_min_u32_e32 v54, 32, v54
	v_subrev_nc_u32_e32 v57, 28, v54
	v_sub_nc_u32_e32 v54, 29, v54
	v_lshlrev_b64 v[57:58], v57, v[33:34]
	v_and_b32_e32 v33, 7, v57
; %bb.22:                               ;   in Loop: Header=BB177_9 Depth=1
	s_or_b32 exec_lo, exec_lo, s33
	v_lshlrev_b32_e32 v56, 24, v56
	v_lshlrev_b32_e32 v33, 20, v33
	v_lshl_add_u32 v54, v54, 23, 0x3c000000
	v_and_b32_e32 v56, 0x80000000, v56
	v_or3_b32 v54, v33, v56, v54
.LBB177_23:                             ;   in Loop: Header=BB177_9 Depth=1
	s_or_b32 exec_lo, exec_lo, s31
.LBB177_24:                             ;   in Loop: Header=BB177_9 Depth=1
	s_or_b32 exec_lo, exec_lo, s30
.LBB177_25:                             ;   in Loop: Header=BB177_9 Depth=1
	s_or_b32 exec_lo, exec_lo, s3
	global_load_ubyte v58, v[39:40], off offset:8
	v_mov_b32_e32 v56, 0
	v_mov_b32_e32 v57, 0
	s_mov_b32 s3, exec_lo
	s_waitcnt vmcnt(0)
	v_cmpx_ne_u16_e32 0, v58
	s_cbranch_execz .LBB177_33
; %bb.26:                               ;   in Loop: Header=BB177_9 Depth=1
	v_bfrev_b32_e32 v57, 1
	s_mov_b32 s30, exec_lo
	v_cmpx_ne_u16_e32 0x80, v58
	s_cbranch_execz .LBB177_32
; %bb.27:                               ;   in Loop: Header=BB177_9 Depth=1
	v_and_b32_sdwa v59, v58, v51 dst_sel:DWORD dst_unused:UNUSED_PAD src0_sel:WORD_0 src1_sel:DWORD
	v_mov_b32_e32 v57, 0x7f800001
	s_mov_b32 s31, exec_lo
	v_cmpx_ne_u32_e32 0x7f, v59
	s_cbranch_execz .LBB177_31
; %bb.28:                               ;   in Loop: Header=BB177_9 Depth=1
	v_and_b32_sdwa v33, v58, v52 dst_sel:DWORD dst_unused:UNUSED_PAD src0_sel:WORD_0 src1_sel:DWORD
	v_lshrrev_b32_e32 v57, 3, v59
	s_mov_b32 s33, exec_lo
	v_cmpx_gt_u32_e32 8, v59
; %bb.29:                               ;   in Loop: Header=BB177_9 Depth=1
	v_ffbh_u32_e32 v57, v33
	v_min_u32_e32 v57, 32, v57
	v_subrev_nc_u32_e32 v59, 28, v57
	v_sub_nc_u32_e32 v57, 29, v57
	v_lshlrev_b64 v[59:60], v59, v[33:34]
	v_and_b32_e32 v33, 7, v59
; %bb.30:                               ;   in Loop: Header=BB177_9 Depth=1
	s_or_b32 exec_lo, exec_lo, s33
	v_lshlrev_b32_e32 v58, 24, v58
	v_lshlrev_b32_e32 v33, 20, v33
	v_lshl_add_u32 v57, v57, 23, 0x3c000000
	v_and_b32_e32 v58, 0x80000000, v58
	v_or3_b32 v57, v33, v58, v57
.LBB177_31:                             ;   in Loop: Header=BB177_9 Depth=1
	s_or_b32 exec_lo, exec_lo, s31
.LBB177_32:                             ;   in Loop: Header=BB177_9 Depth=1
	s_or_b32 exec_lo, exec_lo, s30
.LBB177_33:                             ;   in Loop: Header=BB177_9 Depth=1
	s_or_b32 exec_lo, exec_lo, s3
	global_load_ubyte v58, v[39:40], off offset:12
	s_mov_b32 s3, exec_lo
	s_waitcnt vmcnt(0)
	v_cmpx_ne_u16_e32 0, v58
	s_cbranch_execz .LBB177_41
; %bb.34:                               ;   in Loop: Header=BB177_9 Depth=1
	v_bfrev_b32_e32 v56, 1
	s_mov_b32 s30, exec_lo
	v_cmpx_ne_u16_e32 0x80, v58
	s_cbranch_execz .LBB177_40
; %bb.35:                               ;   in Loop: Header=BB177_9 Depth=1
	v_and_b32_sdwa v59, v58, v51 dst_sel:DWORD dst_unused:UNUSED_PAD src0_sel:WORD_0 src1_sel:DWORD
	v_mov_b32_e32 v56, 0x7f800001
	s_mov_b32 s31, exec_lo
	v_cmpx_ne_u32_e32 0x7f, v59
	s_cbranch_execz .LBB177_39
; %bb.36:                               ;   in Loop: Header=BB177_9 Depth=1
	v_and_b32_sdwa v33, v58, v52 dst_sel:DWORD dst_unused:UNUSED_PAD src0_sel:WORD_0 src1_sel:DWORD
	v_lshrrev_b32_e32 v56, 3, v59
	s_mov_b32 s33, exec_lo
	v_cmpx_gt_u32_e32 8, v59
; %bb.37:                               ;   in Loop: Header=BB177_9 Depth=1
	v_ffbh_u32_e32 v56, v33
	v_min_u32_e32 v56, 32, v56
	v_subrev_nc_u32_e32 v59, 28, v56
	v_sub_nc_u32_e32 v56, 29, v56
	v_lshlrev_b64 v[59:60], v59, v[33:34]
	v_and_b32_e32 v33, 7, v59
; %bb.38:                               ;   in Loop: Header=BB177_9 Depth=1
	s_or_b32 exec_lo, exec_lo, s33
	v_lshlrev_b32_e32 v58, 24, v58
	v_lshlrev_b32_e32 v33, 20, v33
	v_lshl_add_u32 v56, v56, 23, 0x3c000000
	v_and_b32_e32 v58, 0x80000000, v58
	v_or3_b32 v56, v33, v58, v56
.LBB177_39:                             ;   in Loop: Header=BB177_9 Depth=1
	s_or_b32 exec_lo, exec_lo, s31
.LBB177_40:                             ;   in Loop: Header=BB177_9 Depth=1
	s_or_b32 exec_lo, exec_lo, s30
.LBB177_41:                             ;   in Loop: Header=BB177_9 Depth=1
	s_or_b32 exec_lo, exec_lo, s3
	global_load_ubyte v60, v[39:40], off offset:128
	v_mov_b32_e32 v58, 0
	v_mov_b32_e32 v59, 0
	s_mov_b32 s3, exec_lo
	s_waitcnt vmcnt(0)
	v_cmpx_ne_u16_e32 0, v60
	s_cbranch_execz .LBB177_49
; %bb.42:                               ;   in Loop: Header=BB177_9 Depth=1
	v_bfrev_b32_e32 v59, 1
	s_mov_b32 s30, exec_lo
	v_cmpx_ne_u16_e32 0x80, v60
	s_cbranch_execz .LBB177_48
; %bb.43:                               ;   in Loop: Header=BB177_9 Depth=1
	v_and_b32_sdwa v61, v60, v51 dst_sel:DWORD dst_unused:UNUSED_PAD src0_sel:WORD_0 src1_sel:DWORD
	v_mov_b32_e32 v59, 0x7f800001
	s_mov_b32 s31, exec_lo
	v_cmpx_ne_u32_e32 0x7f, v61
	s_cbranch_execz .LBB177_47
; %bb.44:                               ;   in Loop: Header=BB177_9 Depth=1
	v_and_b32_sdwa v33, v60, v52 dst_sel:DWORD dst_unused:UNUSED_PAD src0_sel:WORD_0 src1_sel:DWORD
	v_lshrrev_b32_e32 v59, 3, v61
	s_mov_b32 s33, exec_lo
	v_cmpx_gt_u32_e32 8, v61
; %bb.45:                               ;   in Loop: Header=BB177_9 Depth=1
	v_ffbh_u32_e32 v59, v33
	v_min_u32_e32 v59, 32, v59
	v_subrev_nc_u32_e32 v61, 28, v59
	v_sub_nc_u32_e32 v59, 29, v59
	v_lshlrev_b64 v[61:62], v61, v[33:34]
	v_and_b32_e32 v33, 7, v61
; %bb.46:                               ;   in Loop: Header=BB177_9 Depth=1
	s_or_b32 exec_lo, exec_lo, s33
	v_lshlrev_b32_e32 v60, 24, v60
	v_lshlrev_b32_e32 v33, 20, v33
	v_lshl_add_u32 v59, v59, 23, 0x3c000000
	v_and_b32_e32 v60, 0x80000000, v60
	v_or3_b32 v59, v33, v60, v59
.LBB177_47:                             ;   in Loop: Header=BB177_9 Depth=1
	s_or_b32 exec_lo, exec_lo, s31
.LBB177_48:                             ;   in Loop: Header=BB177_9 Depth=1
	s_or_b32 exec_lo, exec_lo, s30
.LBB177_49:                             ;   in Loop: Header=BB177_9 Depth=1
	s_or_b32 exec_lo, exec_lo, s3
	global_load_ubyte v60, v[39:40], off offset:132
	s_mov_b32 s3, exec_lo
	s_waitcnt vmcnt(0)
	v_cmpx_ne_u16_e32 0, v60
	s_cbranch_execz .LBB177_57
; %bb.50:                               ;   in Loop: Header=BB177_9 Depth=1
	v_bfrev_b32_e32 v58, 1
	s_mov_b32 s30, exec_lo
	v_cmpx_ne_u16_e32 0x80, v60
	s_cbranch_execz .LBB177_56
; %bb.51:                               ;   in Loop: Header=BB177_9 Depth=1
	v_and_b32_sdwa v61, v60, v51 dst_sel:DWORD dst_unused:UNUSED_PAD src0_sel:WORD_0 src1_sel:DWORD
	v_mov_b32_e32 v58, 0x7f800001
	s_mov_b32 s31, exec_lo
	v_cmpx_ne_u32_e32 0x7f, v61
	s_cbranch_execz .LBB177_55
; %bb.52:                               ;   in Loop: Header=BB177_9 Depth=1
	v_and_b32_sdwa v33, v60, v52 dst_sel:DWORD dst_unused:UNUSED_PAD src0_sel:WORD_0 src1_sel:DWORD
	v_lshrrev_b32_e32 v58, 3, v61
	s_mov_b32 s33, exec_lo
	v_cmpx_gt_u32_e32 8, v61
; %bb.53:                               ;   in Loop: Header=BB177_9 Depth=1
	v_ffbh_u32_e32 v58, v33
	v_min_u32_e32 v58, 32, v58
	v_subrev_nc_u32_e32 v61, 28, v58
	v_sub_nc_u32_e32 v58, 29, v58
	v_lshlrev_b64 v[61:62], v61, v[33:34]
	v_and_b32_e32 v33, 7, v61
; %bb.54:                               ;   in Loop: Header=BB177_9 Depth=1
	s_or_b32 exec_lo, exec_lo, s33
	v_lshlrev_b32_e32 v60, 24, v60
	v_lshlrev_b32_e32 v33, 20, v33
	v_lshl_add_u32 v58, v58, 23, 0x3c000000
	v_and_b32_e32 v60, 0x80000000, v60
	v_or3_b32 v58, v33, v60, v58
.LBB177_55:                             ;   in Loop: Header=BB177_9 Depth=1
	s_or_b32 exec_lo, exec_lo, s31
.LBB177_56:                             ;   in Loop: Header=BB177_9 Depth=1
	s_or_b32 exec_lo, exec_lo, s30
.LBB177_57:                             ;   in Loop: Header=BB177_9 Depth=1
	s_or_b32 exec_lo, exec_lo, s3
	global_load_ubyte v62, v[39:40], off offset:136
	v_mov_b32_e32 v60, 0
	v_mov_b32_e32 v61, 0
	s_mov_b32 s3, exec_lo
	s_waitcnt vmcnt(0)
	v_cmpx_ne_u16_e32 0, v62
	s_cbranch_execz .LBB177_65
; %bb.58:                               ;   in Loop: Header=BB177_9 Depth=1
	v_bfrev_b32_e32 v61, 1
	s_mov_b32 s30, exec_lo
	v_cmpx_ne_u16_e32 0x80, v62
	s_cbranch_execz .LBB177_64
; %bb.59:                               ;   in Loop: Header=BB177_9 Depth=1
	v_and_b32_sdwa v63, v62, v51 dst_sel:DWORD dst_unused:UNUSED_PAD src0_sel:WORD_0 src1_sel:DWORD
	v_mov_b32_e32 v61, 0x7f800001
	s_mov_b32 s31, exec_lo
	v_cmpx_ne_u32_e32 0x7f, v63
	s_cbranch_execz .LBB177_63
; %bb.60:                               ;   in Loop: Header=BB177_9 Depth=1
	v_and_b32_sdwa v33, v62, v52 dst_sel:DWORD dst_unused:UNUSED_PAD src0_sel:WORD_0 src1_sel:DWORD
	v_lshrrev_b32_e32 v61, 3, v63
	s_mov_b32 s33, exec_lo
	v_cmpx_gt_u32_e32 8, v63
; %bb.61:                               ;   in Loop: Header=BB177_9 Depth=1
	v_ffbh_u32_e32 v61, v33
	v_min_u32_e32 v61, 32, v61
	v_subrev_nc_u32_e32 v63, 28, v61
	v_sub_nc_u32_e32 v61, 29, v61
	v_lshlrev_b64 v[63:64], v63, v[33:34]
	v_and_b32_e32 v33, 7, v63
; %bb.62:                               ;   in Loop: Header=BB177_9 Depth=1
	s_or_b32 exec_lo, exec_lo, s33
	v_lshlrev_b32_e32 v62, 24, v62
	v_lshlrev_b32_e32 v33, 20, v33
	v_lshl_add_u32 v61, v61, 23, 0x3c000000
	v_and_b32_e32 v62, 0x80000000, v62
	v_or3_b32 v61, v33, v62, v61
.LBB177_63:                             ;   in Loop: Header=BB177_9 Depth=1
	s_or_b32 exec_lo, exec_lo, s31
.LBB177_64:                             ;   in Loop: Header=BB177_9 Depth=1
	s_or_b32 exec_lo, exec_lo, s30
.LBB177_65:                             ;   in Loop: Header=BB177_9 Depth=1
	s_or_b32 exec_lo, exec_lo, s3
	global_load_ubyte v62, v[39:40], off offset:140
	s_mov_b32 s3, exec_lo
	s_waitcnt vmcnt(0)
	v_cmpx_ne_u16_e32 0, v62
	s_cbranch_execz .LBB177_73
; %bb.66:                               ;   in Loop: Header=BB177_9 Depth=1
	v_bfrev_b32_e32 v60, 1
	s_mov_b32 s30, exec_lo
	v_cmpx_ne_u16_e32 0x80, v62
	s_cbranch_execz .LBB177_72
; %bb.67:                               ;   in Loop: Header=BB177_9 Depth=1
	v_and_b32_sdwa v63, v62, v51 dst_sel:DWORD dst_unused:UNUSED_PAD src0_sel:WORD_0 src1_sel:DWORD
	v_mov_b32_e32 v60, 0x7f800001
	s_mov_b32 s31, exec_lo
	v_cmpx_ne_u32_e32 0x7f, v63
	s_cbranch_execz .LBB177_71
; %bb.68:                               ;   in Loop: Header=BB177_9 Depth=1
	v_and_b32_sdwa v33, v62, v52 dst_sel:DWORD dst_unused:UNUSED_PAD src0_sel:WORD_0 src1_sel:DWORD
	v_lshrrev_b32_e32 v60, 3, v63
	s_mov_b32 s33, exec_lo
	v_cmpx_gt_u32_e32 8, v63
; %bb.69:                               ;   in Loop: Header=BB177_9 Depth=1
	v_ffbh_u32_e32 v60, v33
	v_min_u32_e32 v60, 32, v60
	v_subrev_nc_u32_e32 v63, 28, v60
	v_sub_nc_u32_e32 v60, 29, v60
	v_lshlrev_b64 v[63:64], v63, v[33:34]
	v_and_b32_e32 v33, 7, v63
; %bb.70:                               ;   in Loop: Header=BB177_9 Depth=1
	s_or_b32 exec_lo, exec_lo, s33
	v_lshlrev_b32_e32 v62, 24, v62
	v_lshlrev_b32_e32 v33, 20, v33
	v_lshl_add_u32 v60, v60, 23, 0x3c000000
	v_and_b32_e32 v62, 0x80000000, v62
	v_or3_b32 v60, v33, v62, v60
.LBB177_71:                             ;   in Loop: Header=BB177_9 Depth=1
	s_or_b32 exec_lo, exec_lo, s31
.LBB177_72:                             ;   in Loop: Header=BB177_9 Depth=1
	s_or_b32 exec_lo, exec_lo, s30
.LBB177_73:                             ;   in Loop: Header=BB177_9 Depth=1
	s_or_b32 exec_lo, exec_lo, s3
	global_load_ubyte v64, v[39:40], off offset:256
	v_mov_b32_e32 v62, 0
	v_mov_b32_e32 v63, 0
	s_mov_b32 s3, exec_lo
	s_waitcnt vmcnt(0)
	v_cmpx_ne_u16_e32 0, v64
	s_cbranch_execz .LBB177_81
; %bb.74:                               ;   in Loop: Header=BB177_9 Depth=1
	v_bfrev_b32_e32 v63, 1
	s_mov_b32 s30, exec_lo
	v_cmpx_ne_u16_e32 0x80, v64
	s_cbranch_execz .LBB177_80
; %bb.75:                               ;   in Loop: Header=BB177_9 Depth=1
	v_and_b32_sdwa v65, v64, v51 dst_sel:DWORD dst_unused:UNUSED_PAD src0_sel:WORD_0 src1_sel:DWORD
	v_mov_b32_e32 v63, 0x7f800001
	s_mov_b32 s31, exec_lo
	v_cmpx_ne_u32_e32 0x7f, v65
	s_cbranch_execz .LBB177_79
; %bb.76:                               ;   in Loop: Header=BB177_9 Depth=1
	v_and_b32_sdwa v33, v64, v52 dst_sel:DWORD dst_unused:UNUSED_PAD src0_sel:WORD_0 src1_sel:DWORD
	v_lshrrev_b32_e32 v63, 3, v65
	s_mov_b32 s33, exec_lo
	v_cmpx_gt_u32_e32 8, v65
; %bb.77:                               ;   in Loop: Header=BB177_9 Depth=1
	v_ffbh_u32_e32 v63, v33
	v_min_u32_e32 v63, 32, v63
	v_subrev_nc_u32_e32 v65, 28, v63
	v_sub_nc_u32_e32 v63, 29, v63
	v_lshlrev_b64 v[65:66], v65, v[33:34]
	v_and_b32_e32 v33, 7, v65
; %bb.78:                               ;   in Loop: Header=BB177_9 Depth=1
	s_or_b32 exec_lo, exec_lo, s33
	v_lshlrev_b32_e32 v64, 24, v64
	v_lshlrev_b32_e32 v33, 20, v33
	v_lshl_add_u32 v63, v63, 23, 0x3c000000
	v_and_b32_e32 v64, 0x80000000, v64
	v_or3_b32 v63, v33, v64, v63
.LBB177_79:                             ;   in Loop: Header=BB177_9 Depth=1
	s_or_b32 exec_lo, exec_lo, s31
.LBB177_80:                             ;   in Loop: Header=BB177_9 Depth=1
	s_or_b32 exec_lo, exec_lo, s30
.LBB177_81:                             ;   in Loop: Header=BB177_9 Depth=1
	s_or_b32 exec_lo, exec_lo, s3
	global_load_ubyte v64, v[39:40], off offset:260
	s_mov_b32 s3, exec_lo
	s_waitcnt vmcnt(0)
	v_cmpx_ne_u16_e32 0, v64
	s_cbranch_execz .LBB177_89
; %bb.82:                               ;   in Loop: Header=BB177_9 Depth=1
	v_bfrev_b32_e32 v62, 1
	s_mov_b32 s30, exec_lo
	v_cmpx_ne_u16_e32 0x80, v64
	s_cbranch_execz .LBB177_88
; %bb.83:                               ;   in Loop: Header=BB177_9 Depth=1
	v_and_b32_sdwa v65, v64, v51 dst_sel:DWORD dst_unused:UNUSED_PAD src0_sel:WORD_0 src1_sel:DWORD
	v_mov_b32_e32 v62, 0x7f800001
	s_mov_b32 s31, exec_lo
	v_cmpx_ne_u32_e32 0x7f, v65
	s_cbranch_execz .LBB177_87
; %bb.84:                               ;   in Loop: Header=BB177_9 Depth=1
	v_and_b32_sdwa v33, v64, v52 dst_sel:DWORD dst_unused:UNUSED_PAD src0_sel:WORD_0 src1_sel:DWORD
	v_lshrrev_b32_e32 v62, 3, v65
	s_mov_b32 s33, exec_lo
	v_cmpx_gt_u32_e32 8, v65
; %bb.85:                               ;   in Loop: Header=BB177_9 Depth=1
	v_ffbh_u32_e32 v62, v33
	v_min_u32_e32 v62, 32, v62
	v_subrev_nc_u32_e32 v65, 28, v62
	v_sub_nc_u32_e32 v62, 29, v62
	v_lshlrev_b64 v[65:66], v65, v[33:34]
	v_and_b32_e32 v33, 7, v65
; %bb.86:                               ;   in Loop: Header=BB177_9 Depth=1
	s_or_b32 exec_lo, exec_lo, s33
	v_lshlrev_b32_e32 v64, 24, v64
	v_lshlrev_b32_e32 v33, 20, v33
	v_lshl_add_u32 v62, v62, 23, 0x3c000000
	v_and_b32_e32 v64, 0x80000000, v64
	v_or3_b32 v62, v33, v64, v62
.LBB177_87:                             ;   in Loop: Header=BB177_9 Depth=1
	s_or_b32 exec_lo, exec_lo, s31
.LBB177_88:                             ;   in Loop: Header=BB177_9 Depth=1
	s_or_b32 exec_lo, exec_lo, s30
.LBB177_89:                             ;   in Loop: Header=BB177_9 Depth=1
	s_or_b32 exec_lo, exec_lo, s3
	global_load_ubyte v66, v[39:40], off offset:264
	v_mov_b32_e32 v64, 0
	v_mov_b32_e32 v65, 0
	s_mov_b32 s3, exec_lo
	s_waitcnt vmcnt(0)
	v_cmpx_ne_u16_e32 0, v66
	s_cbranch_execz .LBB177_97
; %bb.90:                               ;   in Loop: Header=BB177_9 Depth=1
	v_bfrev_b32_e32 v65, 1
	s_mov_b32 s30, exec_lo
	v_cmpx_ne_u16_e32 0x80, v66
	s_cbranch_execz .LBB177_96
; %bb.91:                               ;   in Loop: Header=BB177_9 Depth=1
	v_and_b32_sdwa v67, v66, v51 dst_sel:DWORD dst_unused:UNUSED_PAD src0_sel:WORD_0 src1_sel:DWORD
	v_mov_b32_e32 v65, 0x7f800001
	s_mov_b32 s31, exec_lo
	v_cmpx_ne_u32_e32 0x7f, v67
	s_cbranch_execz .LBB177_95
; %bb.92:                               ;   in Loop: Header=BB177_9 Depth=1
	v_and_b32_sdwa v33, v66, v52 dst_sel:DWORD dst_unused:UNUSED_PAD src0_sel:WORD_0 src1_sel:DWORD
	v_lshrrev_b32_e32 v65, 3, v67
	s_mov_b32 s33, exec_lo
	v_cmpx_gt_u32_e32 8, v67
; %bb.93:                               ;   in Loop: Header=BB177_9 Depth=1
	v_ffbh_u32_e32 v65, v33
	v_min_u32_e32 v65, 32, v65
	v_subrev_nc_u32_e32 v67, 28, v65
	v_sub_nc_u32_e32 v65, 29, v65
	v_lshlrev_b64 v[67:68], v67, v[33:34]
	v_and_b32_e32 v33, 7, v67
; %bb.94:                               ;   in Loop: Header=BB177_9 Depth=1
	s_or_b32 exec_lo, exec_lo, s33
	v_lshlrev_b32_e32 v66, 24, v66
	v_lshlrev_b32_e32 v33, 20, v33
	v_lshl_add_u32 v65, v65, 23, 0x3c000000
	v_and_b32_e32 v66, 0x80000000, v66
	v_or3_b32 v65, v33, v66, v65
.LBB177_95:                             ;   in Loop: Header=BB177_9 Depth=1
	s_or_b32 exec_lo, exec_lo, s31
.LBB177_96:                             ;   in Loop: Header=BB177_9 Depth=1
	s_or_b32 exec_lo, exec_lo, s30
.LBB177_97:                             ;   in Loop: Header=BB177_9 Depth=1
	s_or_b32 exec_lo, exec_lo, s3
	global_load_ubyte v66, v[39:40], off offset:268
	s_mov_b32 s3, exec_lo
	s_waitcnt vmcnt(0)
	v_cmpx_ne_u16_e32 0, v66
	s_cbranch_execz .LBB177_105
; %bb.98:                               ;   in Loop: Header=BB177_9 Depth=1
	v_bfrev_b32_e32 v64, 1
	s_mov_b32 s30, exec_lo
	v_cmpx_ne_u16_e32 0x80, v66
	s_cbranch_execz .LBB177_104
; %bb.99:                               ;   in Loop: Header=BB177_9 Depth=1
	v_and_b32_sdwa v67, v66, v51 dst_sel:DWORD dst_unused:UNUSED_PAD src0_sel:WORD_0 src1_sel:DWORD
	v_mov_b32_e32 v64, 0x7f800001
	s_mov_b32 s31, exec_lo
	v_cmpx_ne_u32_e32 0x7f, v67
	s_cbranch_execz .LBB177_103
; %bb.100:                              ;   in Loop: Header=BB177_9 Depth=1
	v_and_b32_sdwa v33, v66, v52 dst_sel:DWORD dst_unused:UNUSED_PAD src0_sel:WORD_0 src1_sel:DWORD
	v_lshrrev_b32_e32 v64, 3, v67
	s_mov_b32 s33, exec_lo
	v_cmpx_gt_u32_e32 8, v67
; %bb.101:                              ;   in Loop: Header=BB177_9 Depth=1
	v_ffbh_u32_e32 v64, v33
	v_min_u32_e32 v64, 32, v64
	v_subrev_nc_u32_e32 v67, 28, v64
	v_sub_nc_u32_e32 v64, 29, v64
	v_lshlrev_b64 v[67:68], v67, v[33:34]
	v_and_b32_e32 v33, 7, v67
; %bb.102:                              ;   in Loop: Header=BB177_9 Depth=1
	s_or_b32 exec_lo, exec_lo, s33
	v_lshlrev_b32_e32 v66, 24, v66
	v_lshlrev_b32_e32 v33, 20, v33
	v_lshl_add_u32 v64, v64, 23, 0x3c000000
	v_and_b32_e32 v66, 0x80000000, v66
	v_or3_b32 v64, v33, v66, v64
.LBB177_103:                            ;   in Loop: Header=BB177_9 Depth=1
	s_or_b32 exec_lo, exec_lo, s31
.LBB177_104:                            ;   in Loop: Header=BB177_9 Depth=1
	s_or_b32 exec_lo, exec_lo, s30
.LBB177_105:                            ;   in Loop: Header=BB177_9 Depth=1
	s_or_b32 exec_lo, exec_lo, s3
	global_load_ubyte v68, v[39:40], off offset:384
	v_mov_b32_e32 v66, 0
	v_mov_b32_e32 v67, 0
	s_mov_b32 s3, exec_lo
	s_waitcnt vmcnt(0)
	v_cmpx_ne_u16_e32 0, v68
	s_cbranch_execz .LBB177_113
; %bb.106:                              ;   in Loop: Header=BB177_9 Depth=1
	v_bfrev_b32_e32 v67, 1
	s_mov_b32 s30, exec_lo
	v_cmpx_ne_u16_e32 0x80, v68
	s_cbranch_execz .LBB177_112
; %bb.107:                              ;   in Loop: Header=BB177_9 Depth=1
	v_and_b32_sdwa v69, v68, v51 dst_sel:DWORD dst_unused:UNUSED_PAD src0_sel:WORD_0 src1_sel:DWORD
	v_mov_b32_e32 v67, 0x7f800001
	s_mov_b32 s31, exec_lo
	v_cmpx_ne_u32_e32 0x7f, v69
	s_cbranch_execz .LBB177_111
; %bb.108:                              ;   in Loop: Header=BB177_9 Depth=1
	v_and_b32_sdwa v33, v68, v52 dst_sel:DWORD dst_unused:UNUSED_PAD src0_sel:WORD_0 src1_sel:DWORD
	v_lshrrev_b32_e32 v67, 3, v69
	s_mov_b32 s33, exec_lo
	v_cmpx_gt_u32_e32 8, v69
; %bb.109:                              ;   in Loop: Header=BB177_9 Depth=1
	v_ffbh_u32_e32 v67, v33
	v_min_u32_e32 v67, 32, v67
	v_subrev_nc_u32_e32 v69, 28, v67
	v_sub_nc_u32_e32 v67, 29, v67
	v_lshlrev_b64 v[69:70], v69, v[33:34]
	v_and_b32_e32 v33, 7, v69
; %bb.110:                              ;   in Loop: Header=BB177_9 Depth=1
	s_or_b32 exec_lo, exec_lo, s33
	v_lshlrev_b32_e32 v68, 24, v68
	v_lshlrev_b32_e32 v33, 20, v33
	v_lshl_add_u32 v67, v67, 23, 0x3c000000
	v_and_b32_e32 v68, 0x80000000, v68
	v_or3_b32 v67, v33, v68, v67
.LBB177_111:                            ;   in Loop: Header=BB177_9 Depth=1
	s_or_b32 exec_lo, exec_lo, s31
.LBB177_112:                            ;   in Loop: Header=BB177_9 Depth=1
	s_or_b32 exec_lo, exec_lo, s30
.LBB177_113:                            ;   in Loop: Header=BB177_9 Depth=1
	s_or_b32 exec_lo, exec_lo, s3
	global_load_ubyte v68, v[39:40], off offset:388
	s_mov_b32 s3, exec_lo
	s_waitcnt vmcnt(0)
	v_cmpx_ne_u16_e32 0, v68
	s_cbranch_execz .LBB177_121
; %bb.114:                              ;   in Loop: Header=BB177_9 Depth=1
	v_bfrev_b32_e32 v66, 1
	s_mov_b32 s30, exec_lo
	v_cmpx_ne_u16_e32 0x80, v68
	s_cbranch_execz .LBB177_120
; %bb.115:                              ;   in Loop: Header=BB177_9 Depth=1
	v_and_b32_sdwa v69, v68, v51 dst_sel:DWORD dst_unused:UNUSED_PAD src0_sel:WORD_0 src1_sel:DWORD
	v_mov_b32_e32 v66, 0x7f800001
	s_mov_b32 s31, exec_lo
	v_cmpx_ne_u32_e32 0x7f, v69
	s_cbranch_execz .LBB177_119
; %bb.116:                              ;   in Loop: Header=BB177_9 Depth=1
	v_and_b32_sdwa v33, v68, v52 dst_sel:DWORD dst_unused:UNUSED_PAD src0_sel:WORD_0 src1_sel:DWORD
	v_lshrrev_b32_e32 v66, 3, v69
	s_mov_b32 s33, exec_lo
	v_cmpx_gt_u32_e32 8, v69
; %bb.117:                              ;   in Loop: Header=BB177_9 Depth=1
	v_ffbh_u32_e32 v66, v33
	v_min_u32_e32 v66, 32, v66
	v_subrev_nc_u32_e32 v69, 28, v66
	v_sub_nc_u32_e32 v66, 29, v66
	v_lshlrev_b64 v[69:70], v69, v[33:34]
	v_and_b32_e32 v33, 7, v69
; %bb.118:                              ;   in Loop: Header=BB177_9 Depth=1
	s_or_b32 exec_lo, exec_lo, s33
	v_lshlrev_b32_e32 v68, 24, v68
	v_lshlrev_b32_e32 v33, 20, v33
	v_lshl_add_u32 v66, v66, 23, 0x3c000000
	v_and_b32_e32 v68, 0x80000000, v68
	v_or3_b32 v66, v33, v68, v66
.LBB177_119:                            ;   in Loop: Header=BB177_9 Depth=1
	s_or_b32 exec_lo, exec_lo, s31
.LBB177_120:                            ;   in Loop: Header=BB177_9 Depth=1
	s_or_b32 exec_lo, exec_lo, s30
.LBB177_121:                            ;   in Loop: Header=BB177_9 Depth=1
	s_or_b32 exec_lo, exec_lo, s3
	global_load_ubyte v70, v[39:40], off offset:392
	v_mov_b32_e32 v68, 0
	v_mov_b32_e32 v69, 0
	s_mov_b32 s3, exec_lo
	s_waitcnt vmcnt(0)
	v_cmpx_ne_u16_e32 0, v70
	s_cbranch_execz .LBB177_129
; %bb.122:                              ;   in Loop: Header=BB177_9 Depth=1
	v_bfrev_b32_e32 v69, 1
	s_mov_b32 s30, exec_lo
	v_cmpx_ne_u16_e32 0x80, v70
	s_cbranch_execz .LBB177_128
; %bb.123:                              ;   in Loop: Header=BB177_9 Depth=1
	v_and_b32_sdwa v71, v70, v51 dst_sel:DWORD dst_unused:UNUSED_PAD src0_sel:WORD_0 src1_sel:DWORD
	v_mov_b32_e32 v69, 0x7f800001
	s_mov_b32 s31, exec_lo
	v_cmpx_ne_u32_e32 0x7f, v71
	s_cbranch_execz .LBB177_127
; %bb.124:                              ;   in Loop: Header=BB177_9 Depth=1
	v_and_b32_sdwa v33, v70, v52 dst_sel:DWORD dst_unused:UNUSED_PAD src0_sel:WORD_0 src1_sel:DWORD
	v_lshrrev_b32_e32 v69, 3, v71
	s_mov_b32 s33, exec_lo
	v_cmpx_gt_u32_e32 8, v71
; %bb.125:                              ;   in Loop: Header=BB177_9 Depth=1
	v_ffbh_u32_e32 v69, v33
	v_min_u32_e32 v69, 32, v69
	v_subrev_nc_u32_e32 v71, 28, v69
	v_sub_nc_u32_e32 v69, 29, v69
	v_lshlrev_b64 v[71:72], v71, v[33:34]
	v_and_b32_e32 v33, 7, v71
; %bb.126:                              ;   in Loop: Header=BB177_9 Depth=1
	s_or_b32 exec_lo, exec_lo, s33
	v_lshlrev_b32_e32 v70, 24, v70
	v_lshlrev_b32_e32 v33, 20, v33
	v_lshl_add_u32 v69, v69, 23, 0x3c000000
	v_and_b32_e32 v70, 0x80000000, v70
	v_or3_b32 v69, v33, v70, v69
.LBB177_127:                            ;   in Loop: Header=BB177_9 Depth=1
	s_or_b32 exec_lo, exec_lo, s31
.LBB177_128:                            ;   in Loop: Header=BB177_9 Depth=1
	s_or_b32 exec_lo, exec_lo, s30
.LBB177_129:                            ;   in Loop: Header=BB177_9 Depth=1
	s_or_b32 exec_lo, exec_lo, s3
	global_load_ubyte v70, v[39:40], off offset:396
	s_mov_b32 s3, exec_lo
	s_waitcnt vmcnt(0)
	v_cmpx_ne_u16_e32 0, v70
	s_cbranch_execz .LBB177_137
; %bb.130:                              ;   in Loop: Header=BB177_9 Depth=1
	v_bfrev_b32_e32 v68, 1
	s_mov_b32 s30, exec_lo
	v_cmpx_ne_u16_e32 0x80, v70
	s_cbranch_execz .LBB177_136
; %bb.131:                              ;   in Loop: Header=BB177_9 Depth=1
	v_and_b32_sdwa v71, v70, v51 dst_sel:DWORD dst_unused:UNUSED_PAD src0_sel:WORD_0 src1_sel:DWORD
	v_mov_b32_e32 v68, 0x7f800001
	s_mov_b32 s31, exec_lo
	v_cmpx_ne_u32_e32 0x7f, v71
	s_cbranch_execz .LBB177_135
; %bb.132:                              ;   in Loop: Header=BB177_9 Depth=1
	v_and_b32_sdwa v33, v70, v52 dst_sel:DWORD dst_unused:UNUSED_PAD src0_sel:WORD_0 src1_sel:DWORD
	v_lshrrev_b32_e32 v68, 3, v71
	s_mov_b32 s33, exec_lo
	v_cmpx_gt_u32_e32 8, v71
; %bb.133:                              ;   in Loop: Header=BB177_9 Depth=1
	v_ffbh_u32_e32 v68, v33
	v_min_u32_e32 v68, 32, v68
	v_subrev_nc_u32_e32 v71, 28, v68
	v_sub_nc_u32_e32 v68, 29, v68
	v_lshlrev_b64 v[71:72], v71, v[33:34]
	v_and_b32_e32 v33, 7, v71
; %bb.134:                              ;   in Loop: Header=BB177_9 Depth=1
	s_or_b32 exec_lo, exec_lo, s33
	v_lshlrev_b32_e32 v70, 24, v70
	v_lshlrev_b32_e32 v33, 20, v33
	v_lshl_add_u32 v68, v68, 23, 0x3c000000
	v_and_b32_e32 v70, 0x80000000, v70
	v_or3_b32 v68, v33, v70, v68
.LBB177_135:                            ;   in Loop: Header=BB177_9 Depth=1
	s_or_b32 exec_lo, exec_lo, s31
.LBB177_136:                            ;   in Loop: Header=BB177_9 Depth=1
	s_or_b32 exec_lo, exec_lo, s30
.LBB177_137:                            ;   in Loop: Header=BB177_9 Depth=1
	s_or_b32 exec_lo, exec_lo, s3
	global_load_ubyte v72, v[39:40], off offset:512
	v_mov_b32_e32 v70, 0
	v_mov_b32_e32 v71, 0
	s_mov_b32 s3, exec_lo
	s_waitcnt vmcnt(0)
	v_cmpx_ne_u16_e32 0, v72
	s_cbranch_execz .LBB177_145
; %bb.138:                              ;   in Loop: Header=BB177_9 Depth=1
	v_bfrev_b32_e32 v71, 1
	s_mov_b32 s30, exec_lo
	v_cmpx_ne_u16_e32 0x80, v72
	s_cbranch_execz .LBB177_144
; %bb.139:                              ;   in Loop: Header=BB177_9 Depth=1
	v_and_b32_sdwa v73, v72, v51 dst_sel:DWORD dst_unused:UNUSED_PAD src0_sel:WORD_0 src1_sel:DWORD
	v_mov_b32_e32 v71, 0x7f800001
	s_mov_b32 s31, exec_lo
	v_cmpx_ne_u32_e32 0x7f, v73
	s_cbranch_execz .LBB177_143
; %bb.140:                              ;   in Loop: Header=BB177_9 Depth=1
	v_and_b32_sdwa v33, v72, v52 dst_sel:DWORD dst_unused:UNUSED_PAD src0_sel:WORD_0 src1_sel:DWORD
	v_lshrrev_b32_e32 v71, 3, v73
	s_mov_b32 s33, exec_lo
	v_cmpx_gt_u32_e32 8, v73
; %bb.141:                              ;   in Loop: Header=BB177_9 Depth=1
	v_ffbh_u32_e32 v71, v33
	v_min_u32_e32 v71, 32, v71
	v_subrev_nc_u32_e32 v73, 28, v71
	v_sub_nc_u32_e32 v71, 29, v71
	v_lshlrev_b64 v[73:74], v73, v[33:34]
	v_and_b32_e32 v33, 7, v73
; %bb.142:                              ;   in Loop: Header=BB177_9 Depth=1
	s_or_b32 exec_lo, exec_lo, s33
	v_lshlrev_b32_e32 v72, 24, v72
	v_lshlrev_b32_e32 v33, 20, v33
	v_lshl_add_u32 v71, v71, 23, 0x3c000000
	v_and_b32_e32 v72, 0x80000000, v72
	v_or3_b32 v71, v33, v72, v71
.LBB177_143:                            ;   in Loop: Header=BB177_9 Depth=1
	s_or_b32 exec_lo, exec_lo, s31
.LBB177_144:                            ;   in Loop: Header=BB177_9 Depth=1
	s_or_b32 exec_lo, exec_lo, s30
.LBB177_145:                            ;   in Loop: Header=BB177_9 Depth=1
	s_or_b32 exec_lo, exec_lo, s3
	global_load_ubyte v72, v[39:40], off offset:516
	s_mov_b32 s3, exec_lo
	s_waitcnt vmcnt(0)
	v_cmpx_ne_u16_e32 0, v72
	s_cbranch_execz .LBB177_153
; %bb.146:                              ;   in Loop: Header=BB177_9 Depth=1
	v_bfrev_b32_e32 v70, 1
	s_mov_b32 s30, exec_lo
	v_cmpx_ne_u16_e32 0x80, v72
	s_cbranch_execz .LBB177_152
; %bb.147:                              ;   in Loop: Header=BB177_9 Depth=1
	v_and_b32_sdwa v73, v72, v51 dst_sel:DWORD dst_unused:UNUSED_PAD src0_sel:WORD_0 src1_sel:DWORD
	v_mov_b32_e32 v70, 0x7f800001
	s_mov_b32 s31, exec_lo
	v_cmpx_ne_u32_e32 0x7f, v73
	s_cbranch_execz .LBB177_151
; %bb.148:                              ;   in Loop: Header=BB177_9 Depth=1
	v_and_b32_sdwa v33, v72, v52 dst_sel:DWORD dst_unused:UNUSED_PAD src0_sel:WORD_0 src1_sel:DWORD
	v_lshrrev_b32_e32 v70, 3, v73
	s_mov_b32 s33, exec_lo
	v_cmpx_gt_u32_e32 8, v73
; %bb.149:                              ;   in Loop: Header=BB177_9 Depth=1
	v_ffbh_u32_e32 v70, v33
	v_min_u32_e32 v70, 32, v70
	v_subrev_nc_u32_e32 v73, 28, v70
	v_sub_nc_u32_e32 v70, 29, v70
	v_lshlrev_b64 v[73:74], v73, v[33:34]
	v_and_b32_e32 v33, 7, v73
; %bb.150:                              ;   in Loop: Header=BB177_9 Depth=1
	s_or_b32 exec_lo, exec_lo, s33
	v_lshlrev_b32_e32 v72, 24, v72
	v_lshlrev_b32_e32 v33, 20, v33
	v_lshl_add_u32 v70, v70, 23, 0x3c000000
	v_and_b32_e32 v72, 0x80000000, v72
	v_or3_b32 v70, v33, v72, v70
.LBB177_151:                            ;   in Loop: Header=BB177_9 Depth=1
	s_or_b32 exec_lo, exec_lo, s31
.LBB177_152:                            ;   in Loop: Header=BB177_9 Depth=1
	s_or_b32 exec_lo, exec_lo, s30
.LBB177_153:                            ;   in Loop: Header=BB177_9 Depth=1
	s_or_b32 exec_lo, exec_lo, s3
	global_load_ubyte v74, v[39:40], off offset:520
	v_mov_b32_e32 v72, 0
	v_mov_b32_e32 v73, 0
	s_mov_b32 s3, exec_lo
	s_waitcnt vmcnt(0)
	v_cmpx_ne_u16_e32 0, v74
	s_cbranch_execz .LBB177_161
; %bb.154:                              ;   in Loop: Header=BB177_9 Depth=1
	v_bfrev_b32_e32 v73, 1
	s_mov_b32 s30, exec_lo
	v_cmpx_ne_u16_e32 0x80, v74
	s_cbranch_execz .LBB177_160
; %bb.155:                              ;   in Loop: Header=BB177_9 Depth=1
	v_and_b32_sdwa v75, v74, v51 dst_sel:DWORD dst_unused:UNUSED_PAD src0_sel:WORD_0 src1_sel:DWORD
	v_mov_b32_e32 v73, 0x7f800001
	s_mov_b32 s31, exec_lo
	v_cmpx_ne_u32_e32 0x7f, v75
	s_cbranch_execz .LBB177_159
; %bb.156:                              ;   in Loop: Header=BB177_9 Depth=1
	v_and_b32_sdwa v33, v74, v52 dst_sel:DWORD dst_unused:UNUSED_PAD src0_sel:WORD_0 src1_sel:DWORD
	v_lshrrev_b32_e32 v73, 3, v75
	s_mov_b32 s33, exec_lo
	v_cmpx_gt_u32_e32 8, v75
; %bb.157:                              ;   in Loop: Header=BB177_9 Depth=1
	v_ffbh_u32_e32 v73, v33
	v_min_u32_e32 v73, 32, v73
	v_subrev_nc_u32_e32 v75, 28, v73
	v_sub_nc_u32_e32 v73, 29, v73
	v_lshlrev_b64 v[75:76], v75, v[33:34]
	v_and_b32_e32 v33, 7, v75
; %bb.158:                              ;   in Loop: Header=BB177_9 Depth=1
	s_or_b32 exec_lo, exec_lo, s33
	v_lshlrev_b32_e32 v74, 24, v74
	v_lshlrev_b32_e32 v33, 20, v33
	v_lshl_add_u32 v73, v73, 23, 0x3c000000
	v_and_b32_e32 v74, 0x80000000, v74
	v_or3_b32 v73, v33, v74, v73
.LBB177_159:                            ;   in Loop: Header=BB177_9 Depth=1
	s_or_b32 exec_lo, exec_lo, s31
.LBB177_160:                            ;   in Loop: Header=BB177_9 Depth=1
	s_or_b32 exec_lo, exec_lo, s30
.LBB177_161:                            ;   in Loop: Header=BB177_9 Depth=1
	s_or_b32 exec_lo, exec_lo, s3
	global_load_ubyte v74, v[39:40], off offset:524
	s_mov_b32 s3, exec_lo
	s_waitcnt vmcnt(0)
	v_cmpx_ne_u16_e32 0, v74
	s_cbranch_execz .LBB177_169
; %bb.162:                              ;   in Loop: Header=BB177_9 Depth=1
	v_bfrev_b32_e32 v72, 1
	s_mov_b32 s30, exec_lo
	v_cmpx_ne_u16_e32 0x80, v74
	s_cbranch_execz .LBB177_168
; %bb.163:                              ;   in Loop: Header=BB177_9 Depth=1
	v_and_b32_sdwa v75, v74, v51 dst_sel:DWORD dst_unused:UNUSED_PAD src0_sel:WORD_0 src1_sel:DWORD
	v_mov_b32_e32 v72, 0x7f800001
	s_mov_b32 s31, exec_lo
	v_cmpx_ne_u32_e32 0x7f, v75
	s_cbranch_execz .LBB177_167
; %bb.164:                              ;   in Loop: Header=BB177_9 Depth=1
	v_and_b32_sdwa v33, v74, v52 dst_sel:DWORD dst_unused:UNUSED_PAD src0_sel:WORD_0 src1_sel:DWORD
	v_lshrrev_b32_e32 v72, 3, v75
	s_mov_b32 s33, exec_lo
	v_cmpx_gt_u32_e32 8, v75
; %bb.165:                              ;   in Loop: Header=BB177_9 Depth=1
	v_ffbh_u32_e32 v72, v33
	v_min_u32_e32 v72, 32, v72
	v_subrev_nc_u32_e32 v75, 28, v72
	v_sub_nc_u32_e32 v72, 29, v72
	v_lshlrev_b64 v[75:76], v75, v[33:34]
	v_and_b32_e32 v33, 7, v75
; %bb.166:                              ;   in Loop: Header=BB177_9 Depth=1
	s_or_b32 exec_lo, exec_lo, s33
	v_lshlrev_b32_e32 v74, 24, v74
	v_lshlrev_b32_e32 v33, 20, v33
	v_lshl_add_u32 v72, v72, 23, 0x3c000000
	v_and_b32_e32 v74, 0x80000000, v74
	v_or3_b32 v72, v33, v74, v72
.LBB177_167:                            ;   in Loop: Header=BB177_9 Depth=1
	s_or_b32 exec_lo, exec_lo, s31
.LBB177_168:                            ;   in Loop: Header=BB177_9 Depth=1
	s_or_b32 exec_lo, exec_lo, s30
.LBB177_169:                            ;   in Loop: Header=BB177_9 Depth=1
	s_or_b32 exec_lo, exec_lo, s3
	global_load_ubyte v76, v[39:40], off offset:640
	v_mov_b32_e32 v74, 0
	v_mov_b32_e32 v75, 0
	s_mov_b32 s3, exec_lo
	s_waitcnt vmcnt(0)
	v_cmpx_ne_u16_e32 0, v76
	s_cbranch_execz .LBB177_177
; %bb.170:                              ;   in Loop: Header=BB177_9 Depth=1
	v_bfrev_b32_e32 v75, 1
	s_mov_b32 s30, exec_lo
	v_cmpx_ne_u16_e32 0x80, v76
	s_cbranch_execz .LBB177_176
; %bb.171:                              ;   in Loop: Header=BB177_9 Depth=1
	v_and_b32_sdwa v77, v76, v51 dst_sel:DWORD dst_unused:UNUSED_PAD src0_sel:WORD_0 src1_sel:DWORD
	v_mov_b32_e32 v75, 0x7f800001
	s_mov_b32 s31, exec_lo
	v_cmpx_ne_u32_e32 0x7f, v77
	s_cbranch_execz .LBB177_175
; %bb.172:                              ;   in Loop: Header=BB177_9 Depth=1
	v_and_b32_sdwa v33, v76, v52 dst_sel:DWORD dst_unused:UNUSED_PAD src0_sel:WORD_0 src1_sel:DWORD
	v_lshrrev_b32_e32 v75, 3, v77
	s_mov_b32 s33, exec_lo
	v_cmpx_gt_u32_e32 8, v77
; %bb.173:                              ;   in Loop: Header=BB177_9 Depth=1
	v_ffbh_u32_e32 v75, v33
	v_min_u32_e32 v75, 32, v75
	v_subrev_nc_u32_e32 v77, 28, v75
	v_sub_nc_u32_e32 v75, 29, v75
	v_lshlrev_b64 v[77:78], v77, v[33:34]
	v_and_b32_e32 v33, 7, v77
; %bb.174:                              ;   in Loop: Header=BB177_9 Depth=1
	s_or_b32 exec_lo, exec_lo, s33
	v_lshlrev_b32_e32 v76, 24, v76
	v_lshlrev_b32_e32 v33, 20, v33
	v_lshl_add_u32 v75, v75, 23, 0x3c000000
	v_and_b32_e32 v76, 0x80000000, v76
	v_or3_b32 v75, v33, v76, v75
.LBB177_175:                            ;   in Loop: Header=BB177_9 Depth=1
	s_or_b32 exec_lo, exec_lo, s31
.LBB177_176:                            ;   in Loop: Header=BB177_9 Depth=1
	s_or_b32 exec_lo, exec_lo, s30
.LBB177_177:                            ;   in Loop: Header=BB177_9 Depth=1
	s_or_b32 exec_lo, exec_lo, s3
	global_load_ubyte v76, v[39:40], off offset:644
	s_mov_b32 s3, exec_lo
	s_waitcnt vmcnt(0)
	v_cmpx_ne_u16_e32 0, v76
	s_cbranch_execz .LBB177_185
; %bb.178:                              ;   in Loop: Header=BB177_9 Depth=1
	v_bfrev_b32_e32 v74, 1
	s_mov_b32 s30, exec_lo
	v_cmpx_ne_u16_e32 0x80, v76
	s_cbranch_execz .LBB177_184
; %bb.179:                              ;   in Loop: Header=BB177_9 Depth=1
	v_and_b32_sdwa v77, v76, v51 dst_sel:DWORD dst_unused:UNUSED_PAD src0_sel:WORD_0 src1_sel:DWORD
	v_mov_b32_e32 v74, 0x7f800001
	s_mov_b32 s31, exec_lo
	v_cmpx_ne_u32_e32 0x7f, v77
	s_cbranch_execz .LBB177_183
; %bb.180:                              ;   in Loop: Header=BB177_9 Depth=1
	v_and_b32_sdwa v33, v76, v52 dst_sel:DWORD dst_unused:UNUSED_PAD src0_sel:WORD_0 src1_sel:DWORD
	v_lshrrev_b32_e32 v74, 3, v77
	s_mov_b32 s33, exec_lo
	v_cmpx_gt_u32_e32 8, v77
; %bb.181:                              ;   in Loop: Header=BB177_9 Depth=1
	v_ffbh_u32_e32 v74, v33
	v_min_u32_e32 v74, 32, v74
	v_subrev_nc_u32_e32 v77, 28, v74
	v_sub_nc_u32_e32 v74, 29, v74
	v_lshlrev_b64 v[77:78], v77, v[33:34]
	v_and_b32_e32 v33, 7, v77
; %bb.182:                              ;   in Loop: Header=BB177_9 Depth=1
	s_or_b32 exec_lo, exec_lo, s33
	v_lshlrev_b32_e32 v76, 24, v76
	v_lshlrev_b32_e32 v33, 20, v33
	v_lshl_add_u32 v74, v74, 23, 0x3c000000
	v_and_b32_e32 v76, 0x80000000, v76
	v_or3_b32 v74, v33, v76, v74
.LBB177_183:                            ;   in Loop: Header=BB177_9 Depth=1
	s_or_b32 exec_lo, exec_lo, s31
.LBB177_184:                            ;   in Loop: Header=BB177_9 Depth=1
	s_or_b32 exec_lo, exec_lo, s30
.LBB177_185:                            ;   in Loop: Header=BB177_9 Depth=1
	s_or_b32 exec_lo, exec_lo, s3
	global_load_ubyte v78, v[39:40], off offset:648
	v_mov_b32_e32 v76, 0
	v_mov_b32_e32 v77, 0
	s_mov_b32 s3, exec_lo
	s_waitcnt vmcnt(0)
	v_cmpx_ne_u16_e32 0, v78
	s_cbranch_execz .LBB177_193
; %bb.186:                              ;   in Loop: Header=BB177_9 Depth=1
	v_bfrev_b32_e32 v77, 1
	s_mov_b32 s30, exec_lo
	v_cmpx_ne_u16_e32 0x80, v78
	s_cbranch_execz .LBB177_192
; %bb.187:                              ;   in Loop: Header=BB177_9 Depth=1
	v_and_b32_sdwa v79, v78, v51 dst_sel:DWORD dst_unused:UNUSED_PAD src0_sel:WORD_0 src1_sel:DWORD
	v_mov_b32_e32 v77, 0x7f800001
	s_mov_b32 s31, exec_lo
	v_cmpx_ne_u32_e32 0x7f, v79
	s_cbranch_execz .LBB177_191
; %bb.188:                              ;   in Loop: Header=BB177_9 Depth=1
	v_and_b32_sdwa v33, v78, v52 dst_sel:DWORD dst_unused:UNUSED_PAD src0_sel:WORD_0 src1_sel:DWORD
	v_lshrrev_b32_e32 v77, 3, v79
	s_mov_b32 s33, exec_lo
	v_cmpx_gt_u32_e32 8, v79
; %bb.189:                              ;   in Loop: Header=BB177_9 Depth=1
	v_ffbh_u32_e32 v77, v33
	v_min_u32_e32 v77, 32, v77
	v_subrev_nc_u32_e32 v79, 28, v77
	v_sub_nc_u32_e32 v77, 29, v77
	v_lshlrev_b64 v[79:80], v79, v[33:34]
	v_and_b32_e32 v33, 7, v79
; %bb.190:                              ;   in Loop: Header=BB177_9 Depth=1
	s_or_b32 exec_lo, exec_lo, s33
	v_lshlrev_b32_e32 v78, 24, v78
	v_lshlrev_b32_e32 v33, 20, v33
	v_lshl_add_u32 v77, v77, 23, 0x3c000000
	v_and_b32_e32 v78, 0x80000000, v78
	v_or3_b32 v77, v33, v78, v77
.LBB177_191:                            ;   in Loop: Header=BB177_9 Depth=1
	s_or_b32 exec_lo, exec_lo, s31
.LBB177_192:                            ;   in Loop: Header=BB177_9 Depth=1
	s_or_b32 exec_lo, exec_lo, s30
.LBB177_193:                            ;   in Loop: Header=BB177_9 Depth=1
	s_or_b32 exec_lo, exec_lo, s3
	global_load_ubyte v78, v[39:40], off offset:652
	s_mov_b32 s3, exec_lo
	s_waitcnt vmcnt(0)
	v_cmpx_ne_u16_e32 0, v78
	s_cbranch_execz .LBB177_201
; %bb.194:                              ;   in Loop: Header=BB177_9 Depth=1
	v_bfrev_b32_e32 v76, 1
	s_mov_b32 s30, exec_lo
	v_cmpx_ne_u16_e32 0x80, v78
	s_cbranch_execz .LBB177_200
; %bb.195:                              ;   in Loop: Header=BB177_9 Depth=1
	v_and_b32_sdwa v79, v78, v51 dst_sel:DWORD dst_unused:UNUSED_PAD src0_sel:WORD_0 src1_sel:DWORD
	v_mov_b32_e32 v76, 0x7f800001
	s_mov_b32 s31, exec_lo
	v_cmpx_ne_u32_e32 0x7f, v79
	s_cbranch_execz .LBB177_199
; %bb.196:                              ;   in Loop: Header=BB177_9 Depth=1
	v_and_b32_sdwa v33, v78, v52 dst_sel:DWORD dst_unused:UNUSED_PAD src0_sel:WORD_0 src1_sel:DWORD
	v_lshrrev_b32_e32 v76, 3, v79
	s_mov_b32 s33, exec_lo
	v_cmpx_gt_u32_e32 8, v79
; %bb.197:                              ;   in Loop: Header=BB177_9 Depth=1
	v_ffbh_u32_e32 v76, v33
	v_min_u32_e32 v76, 32, v76
	v_subrev_nc_u32_e32 v79, 28, v76
	v_sub_nc_u32_e32 v76, 29, v76
	v_lshlrev_b64 v[79:80], v79, v[33:34]
	v_and_b32_e32 v33, 7, v79
; %bb.198:                              ;   in Loop: Header=BB177_9 Depth=1
	s_or_b32 exec_lo, exec_lo, s33
	v_lshlrev_b32_e32 v78, 24, v78
	v_lshlrev_b32_e32 v33, 20, v33
	v_lshl_add_u32 v76, v76, 23, 0x3c000000
	v_and_b32_e32 v78, 0x80000000, v78
	v_or3_b32 v76, v33, v78, v76
.LBB177_199:                            ;   in Loop: Header=BB177_9 Depth=1
	s_or_b32 exec_lo, exec_lo, s31
.LBB177_200:                            ;   in Loop: Header=BB177_9 Depth=1
	s_or_b32 exec_lo, exec_lo, s30
.LBB177_201:                            ;   in Loop: Header=BB177_9 Depth=1
	s_or_b32 exec_lo, exec_lo, s3
	global_load_ubyte v80, v[39:40], off offset:768
	v_mov_b32_e32 v78, 0
	v_mov_b32_e32 v79, 0
	s_mov_b32 s3, exec_lo
	s_waitcnt vmcnt(0)
	v_cmpx_ne_u16_e32 0, v80
	s_cbranch_execz .LBB177_209
; %bb.202:                              ;   in Loop: Header=BB177_9 Depth=1
	v_bfrev_b32_e32 v79, 1
	s_mov_b32 s30, exec_lo
	v_cmpx_ne_u16_e32 0x80, v80
	s_cbranch_execz .LBB177_208
; %bb.203:                              ;   in Loop: Header=BB177_9 Depth=1
	v_and_b32_sdwa v81, v80, v51 dst_sel:DWORD dst_unused:UNUSED_PAD src0_sel:WORD_0 src1_sel:DWORD
	v_mov_b32_e32 v79, 0x7f800001
	s_mov_b32 s31, exec_lo
	v_cmpx_ne_u32_e32 0x7f, v81
	s_cbranch_execz .LBB177_207
; %bb.204:                              ;   in Loop: Header=BB177_9 Depth=1
	v_and_b32_sdwa v33, v80, v52 dst_sel:DWORD dst_unused:UNUSED_PAD src0_sel:WORD_0 src1_sel:DWORD
	v_lshrrev_b32_e32 v79, 3, v81
	s_mov_b32 s33, exec_lo
	v_cmpx_gt_u32_e32 8, v81
; %bb.205:                              ;   in Loop: Header=BB177_9 Depth=1
	v_ffbh_u32_e32 v79, v33
	v_min_u32_e32 v79, 32, v79
	v_subrev_nc_u32_e32 v81, 28, v79
	v_sub_nc_u32_e32 v79, 29, v79
	v_lshlrev_b64 v[81:82], v81, v[33:34]
	v_and_b32_e32 v33, 7, v81
; %bb.206:                              ;   in Loop: Header=BB177_9 Depth=1
	s_or_b32 exec_lo, exec_lo, s33
	v_lshlrev_b32_e32 v80, 24, v80
	v_lshlrev_b32_e32 v33, 20, v33
	v_lshl_add_u32 v79, v79, 23, 0x3c000000
	v_and_b32_e32 v80, 0x80000000, v80
	v_or3_b32 v79, v33, v80, v79
.LBB177_207:                            ;   in Loop: Header=BB177_9 Depth=1
	s_or_b32 exec_lo, exec_lo, s31
.LBB177_208:                            ;   in Loop: Header=BB177_9 Depth=1
	s_or_b32 exec_lo, exec_lo, s30
.LBB177_209:                            ;   in Loop: Header=BB177_9 Depth=1
	s_or_b32 exec_lo, exec_lo, s3
	global_load_ubyte v80, v[39:40], off offset:772
	s_mov_b32 s3, exec_lo
	s_waitcnt vmcnt(0)
	v_cmpx_ne_u16_e32 0, v80
	s_cbranch_execz .LBB177_217
; %bb.210:                              ;   in Loop: Header=BB177_9 Depth=1
	v_bfrev_b32_e32 v78, 1
	s_mov_b32 s30, exec_lo
	v_cmpx_ne_u16_e32 0x80, v80
	s_cbranch_execz .LBB177_216
; %bb.211:                              ;   in Loop: Header=BB177_9 Depth=1
	v_and_b32_sdwa v81, v80, v51 dst_sel:DWORD dst_unused:UNUSED_PAD src0_sel:WORD_0 src1_sel:DWORD
	v_mov_b32_e32 v78, 0x7f800001
	s_mov_b32 s31, exec_lo
	v_cmpx_ne_u32_e32 0x7f, v81
	s_cbranch_execz .LBB177_215
; %bb.212:                              ;   in Loop: Header=BB177_9 Depth=1
	v_and_b32_sdwa v33, v80, v52 dst_sel:DWORD dst_unused:UNUSED_PAD src0_sel:WORD_0 src1_sel:DWORD
	v_lshrrev_b32_e32 v78, 3, v81
	s_mov_b32 s33, exec_lo
	v_cmpx_gt_u32_e32 8, v81
; %bb.213:                              ;   in Loop: Header=BB177_9 Depth=1
	v_ffbh_u32_e32 v78, v33
	v_min_u32_e32 v78, 32, v78
	v_subrev_nc_u32_e32 v81, 28, v78
	v_sub_nc_u32_e32 v78, 29, v78
	v_lshlrev_b64 v[81:82], v81, v[33:34]
	v_and_b32_e32 v33, 7, v81
; %bb.214:                              ;   in Loop: Header=BB177_9 Depth=1
	s_or_b32 exec_lo, exec_lo, s33
	v_lshlrev_b32_e32 v80, 24, v80
	v_lshlrev_b32_e32 v33, 20, v33
	v_lshl_add_u32 v78, v78, 23, 0x3c000000
	v_and_b32_e32 v80, 0x80000000, v80
	v_or3_b32 v78, v33, v80, v78
.LBB177_215:                            ;   in Loop: Header=BB177_9 Depth=1
	s_or_b32 exec_lo, exec_lo, s31
.LBB177_216:                            ;   in Loop: Header=BB177_9 Depth=1
	s_or_b32 exec_lo, exec_lo, s30
.LBB177_217:                            ;   in Loop: Header=BB177_9 Depth=1
	s_or_b32 exec_lo, exec_lo, s3
	global_load_ubyte v82, v[39:40], off offset:776
	v_mov_b32_e32 v80, 0
	v_mov_b32_e32 v81, 0
	s_mov_b32 s3, exec_lo
	s_waitcnt vmcnt(0)
	v_cmpx_ne_u16_e32 0, v82
	s_cbranch_execz .LBB177_225
; %bb.218:                              ;   in Loop: Header=BB177_9 Depth=1
	v_bfrev_b32_e32 v81, 1
	s_mov_b32 s30, exec_lo
	v_cmpx_ne_u16_e32 0x80, v82
	s_cbranch_execz .LBB177_224
; %bb.219:                              ;   in Loop: Header=BB177_9 Depth=1
	v_and_b32_sdwa v83, v82, v51 dst_sel:DWORD dst_unused:UNUSED_PAD src0_sel:WORD_0 src1_sel:DWORD
	v_mov_b32_e32 v81, 0x7f800001
	s_mov_b32 s31, exec_lo
	v_cmpx_ne_u32_e32 0x7f, v83
	s_cbranch_execz .LBB177_223
; %bb.220:                              ;   in Loop: Header=BB177_9 Depth=1
	v_and_b32_sdwa v33, v82, v52 dst_sel:DWORD dst_unused:UNUSED_PAD src0_sel:WORD_0 src1_sel:DWORD
	v_lshrrev_b32_e32 v81, 3, v83
	s_mov_b32 s33, exec_lo
	v_cmpx_gt_u32_e32 8, v83
; %bb.221:                              ;   in Loop: Header=BB177_9 Depth=1
	v_ffbh_u32_e32 v81, v33
	v_min_u32_e32 v81, 32, v81
	v_subrev_nc_u32_e32 v83, 28, v81
	v_sub_nc_u32_e32 v81, 29, v81
	v_lshlrev_b64 v[83:84], v83, v[33:34]
	v_and_b32_e32 v33, 7, v83
; %bb.222:                              ;   in Loop: Header=BB177_9 Depth=1
	s_or_b32 exec_lo, exec_lo, s33
	v_lshlrev_b32_e32 v82, 24, v82
	v_lshlrev_b32_e32 v33, 20, v33
	v_lshl_add_u32 v81, v81, 23, 0x3c000000
	v_and_b32_e32 v82, 0x80000000, v82
	v_or3_b32 v81, v33, v82, v81
.LBB177_223:                            ;   in Loop: Header=BB177_9 Depth=1
	s_or_b32 exec_lo, exec_lo, s31
.LBB177_224:                            ;   in Loop: Header=BB177_9 Depth=1
	s_or_b32 exec_lo, exec_lo, s30
.LBB177_225:                            ;   in Loop: Header=BB177_9 Depth=1
	s_or_b32 exec_lo, exec_lo, s3
	global_load_ubyte v82, v[39:40], off offset:780
	s_mov_b32 s3, exec_lo
	s_waitcnt vmcnt(0)
	v_cmpx_ne_u16_e32 0, v82
	s_cbranch_execz .LBB177_233
; %bb.226:                              ;   in Loop: Header=BB177_9 Depth=1
	v_bfrev_b32_e32 v80, 1
	s_mov_b32 s30, exec_lo
	v_cmpx_ne_u16_e32 0x80, v82
	s_cbranch_execz .LBB177_232
; %bb.227:                              ;   in Loop: Header=BB177_9 Depth=1
	v_and_b32_sdwa v83, v82, v51 dst_sel:DWORD dst_unused:UNUSED_PAD src0_sel:WORD_0 src1_sel:DWORD
	v_mov_b32_e32 v80, 0x7f800001
	s_mov_b32 s31, exec_lo
	v_cmpx_ne_u32_e32 0x7f, v83
	s_cbranch_execz .LBB177_231
; %bb.228:                              ;   in Loop: Header=BB177_9 Depth=1
	v_and_b32_sdwa v33, v82, v52 dst_sel:DWORD dst_unused:UNUSED_PAD src0_sel:WORD_0 src1_sel:DWORD
	v_lshrrev_b32_e32 v80, 3, v83
	s_mov_b32 s33, exec_lo
	v_cmpx_gt_u32_e32 8, v83
; %bb.229:                              ;   in Loop: Header=BB177_9 Depth=1
	v_ffbh_u32_e32 v80, v33
	v_min_u32_e32 v80, 32, v80
	v_subrev_nc_u32_e32 v83, 28, v80
	v_sub_nc_u32_e32 v80, 29, v80
	v_lshlrev_b64 v[83:84], v83, v[33:34]
	v_and_b32_e32 v33, 7, v83
; %bb.230:                              ;   in Loop: Header=BB177_9 Depth=1
	s_or_b32 exec_lo, exec_lo, s33
	v_lshlrev_b32_e32 v82, 24, v82
	v_lshlrev_b32_e32 v33, 20, v33
	v_lshl_add_u32 v80, v80, 23, 0x3c000000
	v_and_b32_e32 v82, 0x80000000, v82
	v_or3_b32 v80, v33, v82, v80
.LBB177_231:                            ;   in Loop: Header=BB177_9 Depth=1
	s_or_b32 exec_lo, exec_lo, s31
.LBB177_232:                            ;   in Loop: Header=BB177_9 Depth=1
	s_or_b32 exec_lo, exec_lo, s30
.LBB177_233:                            ;   in Loop: Header=BB177_9 Depth=1
	s_or_b32 exec_lo, exec_lo, s3
	global_load_ubyte v84, v[39:40], off offset:896
	v_mov_b32_e32 v82, 0
	v_mov_b32_e32 v83, 0
	s_mov_b32 s3, exec_lo
	s_waitcnt vmcnt(0)
	v_cmpx_ne_u16_e32 0, v84
	s_cbranch_execz .LBB177_241
; %bb.234:                              ;   in Loop: Header=BB177_9 Depth=1
	v_bfrev_b32_e32 v83, 1
	s_mov_b32 s30, exec_lo
	v_cmpx_ne_u16_e32 0x80, v84
	s_cbranch_execz .LBB177_240
; %bb.235:                              ;   in Loop: Header=BB177_9 Depth=1
	v_and_b32_sdwa v85, v84, v51 dst_sel:DWORD dst_unused:UNUSED_PAD src0_sel:WORD_0 src1_sel:DWORD
	v_mov_b32_e32 v83, 0x7f800001
	s_mov_b32 s31, exec_lo
	v_cmpx_ne_u32_e32 0x7f, v85
	s_cbranch_execz .LBB177_239
; %bb.236:                              ;   in Loop: Header=BB177_9 Depth=1
	v_and_b32_sdwa v33, v84, v52 dst_sel:DWORD dst_unused:UNUSED_PAD src0_sel:WORD_0 src1_sel:DWORD
	v_lshrrev_b32_e32 v83, 3, v85
	s_mov_b32 s33, exec_lo
	v_cmpx_gt_u32_e32 8, v85
; %bb.237:                              ;   in Loop: Header=BB177_9 Depth=1
	v_ffbh_u32_e32 v83, v33
	v_min_u32_e32 v83, 32, v83
	v_subrev_nc_u32_e32 v85, 28, v83
	v_sub_nc_u32_e32 v83, 29, v83
	v_lshlrev_b64 v[85:86], v85, v[33:34]
	v_and_b32_e32 v33, 7, v85
; %bb.238:                              ;   in Loop: Header=BB177_9 Depth=1
	s_or_b32 exec_lo, exec_lo, s33
	v_lshlrev_b32_e32 v84, 24, v84
	v_lshlrev_b32_e32 v33, 20, v33
	v_lshl_add_u32 v83, v83, 23, 0x3c000000
	v_and_b32_e32 v84, 0x80000000, v84
	v_or3_b32 v83, v33, v84, v83
.LBB177_239:                            ;   in Loop: Header=BB177_9 Depth=1
	s_or_b32 exec_lo, exec_lo, s31
.LBB177_240:                            ;   in Loop: Header=BB177_9 Depth=1
	s_or_b32 exec_lo, exec_lo, s30
.LBB177_241:                            ;   in Loop: Header=BB177_9 Depth=1
	s_or_b32 exec_lo, exec_lo, s3
	global_load_ubyte v84, v[39:40], off offset:900
	s_mov_b32 s3, exec_lo
	s_waitcnt vmcnt(0)
	v_cmpx_ne_u16_e32 0, v84
	s_cbranch_execz .LBB177_249
; %bb.242:                              ;   in Loop: Header=BB177_9 Depth=1
	v_bfrev_b32_e32 v82, 1
	s_mov_b32 s30, exec_lo
	v_cmpx_ne_u16_e32 0x80, v84
	s_cbranch_execz .LBB177_248
; %bb.243:                              ;   in Loop: Header=BB177_9 Depth=1
	v_and_b32_sdwa v85, v84, v51 dst_sel:DWORD dst_unused:UNUSED_PAD src0_sel:WORD_0 src1_sel:DWORD
	v_mov_b32_e32 v82, 0x7f800001
	s_mov_b32 s31, exec_lo
	v_cmpx_ne_u32_e32 0x7f, v85
	s_cbranch_execz .LBB177_247
; %bb.244:                              ;   in Loop: Header=BB177_9 Depth=1
	v_and_b32_sdwa v33, v84, v52 dst_sel:DWORD dst_unused:UNUSED_PAD src0_sel:WORD_0 src1_sel:DWORD
	v_lshrrev_b32_e32 v82, 3, v85
	s_mov_b32 s33, exec_lo
	v_cmpx_gt_u32_e32 8, v85
; %bb.245:                              ;   in Loop: Header=BB177_9 Depth=1
	v_ffbh_u32_e32 v82, v33
	v_min_u32_e32 v82, 32, v82
	v_subrev_nc_u32_e32 v85, 28, v82
	v_sub_nc_u32_e32 v82, 29, v82
	v_lshlrev_b64 v[85:86], v85, v[33:34]
	v_and_b32_e32 v33, 7, v85
; %bb.246:                              ;   in Loop: Header=BB177_9 Depth=1
	s_or_b32 exec_lo, exec_lo, s33
	v_lshlrev_b32_e32 v84, 24, v84
	v_lshlrev_b32_e32 v33, 20, v33
	v_lshl_add_u32 v82, v82, 23, 0x3c000000
	v_and_b32_e32 v84, 0x80000000, v84
	v_or3_b32 v82, v33, v84, v82
.LBB177_247:                            ;   in Loop: Header=BB177_9 Depth=1
	s_or_b32 exec_lo, exec_lo, s31
.LBB177_248:                            ;   in Loop: Header=BB177_9 Depth=1
	s_or_b32 exec_lo, exec_lo, s30
.LBB177_249:                            ;   in Loop: Header=BB177_9 Depth=1
	s_or_b32 exec_lo, exec_lo, s3
	global_load_ubyte v86, v[39:40], off offset:904
	v_mov_b32_e32 v84, 0
	v_mov_b32_e32 v85, 0
	s_mov_b32 s3, exec_lo
	s_waitcnt vmcnt(0)
	v_cmpx_ne_u16_e32 0, v86
	s_cbranch_execz .LBB177_257
; %bb.250:                              ;   in Loop: Header=BB177_9 Depth=1
	v_bfrev_b32_e32 v85, 1
	s_mov_b32 s30, exec_lo
	v_cmpx_ne_u16_e32 0x80, v86
	s_cbranch_execz .LBB177_256
; %bb.251:                              ;   in Loop: Header=BB177_9 Depth=1
	v_and_b32_sdwa v87, v86, v51 dst_sel:DWORD dst_unused:UNUSED_PAD src0_sel:WORD_0 src1_sel:DWORD
	v_mov_b32_e32 v85, 0x7f800001
	s_mov_b32 s31, exec_lo
	v_cmpx_ne_u32_e32 0x7f, v87
	s_cbranch_execz .LBB177_255
; %bb.252:                              ;   in Loop: Header=BB177_9 Depth=1
	v_and_b32_sdwa v33, v86, v52 dst_sel:DWORD dst_unused:UNUSED_PAD src0_sel:WORD_0 src1_sel:DWORD
	v_lshrrev_b32_e32 v85, 3, v87
	s_mov_b32 s33, exec_lo
	v_cmpx_gt_u32_e32 8, v87
; %bb.253:                              ;   in Loop: Header=BB177_9 Depth=1
	v_ffbh_u32_e32 v85, v33
	v_min_u32_e32 v85, 32, v85
	v_subrev_nc_u32_e32 v87, 28, v85
	v_sub_nc_u32_e32 v85, 29, v85
	v_lshlrev_b64 v[87:88], v87, v[33:34]
	v_and_b32_e32 v33, 7, v87
; %bb.254:                              ;   in Loop: Header=BB177_9 Depth=1
	s_or_b32 exec_lo, exec_lo, s33
	v_lshlrev_b32_e32 v86, 24, v86
	v_lshlrev_b32_e32 v33, 20, v33
	v_lshl_add_u32 v85, v85, 23, 0x3c000000
	v_and_b32_e32 v86, 0x80000000, v86
	v_or3_b32 v85, v33, v86, v85
.LBB177_255:                            ;   in Loop: Header=BB177_9 Depth=1
	s_or_b32 exec_lo, exec_lo, s31
.LBB177_256:                            ;   in Loop: Header=BB177_9 Depth=1
	s_or_b32 exec_lo, exec_lo, s30
.LBB177_257:                            ;   in Loop: Header=BB177_9 Depth=1
	s_or_b32 exec_lo, exec_lo, s3
	global_load_ubyte v39, v[39:40], off offset:908
	s_mov_b32 s3, exec_lo
	s_waitcnt vmcnt(0)
	v_cmpx_ne_u16_e32 0, v39
	s_cbranch_execz .LBB177_265
; %bb.258:                              ;   in Loop: Header=BB177_9 Depth=1
	v_bfrev_b32_e32 v84, 1
	s_mov_b32 s30, exec_lo
	v_cmpx_ne_u16_e32 0x80, v39
	s_cbranch_execz .LBB177_264
; %bb.259:                              ;   in Loop: Header=BB177_9 Depth=1
	v_and_b32_sdwa v86, v39, v51 dst_sel:DWORD dst_unused:UNUSED_PAD src0_sel:WORD_0 src1_sel:DWORD
	v_mov_b32_e32 v84, 0x7f800001
	s_mov_b32 s31, exec_lo
	v_cmpx_ne_u32_e32 0x7f, v86
	s_cbranch_execz .LBB177_263
; %bb.260:                              ;   in Loop: Header=BB177_9 Depth=1
	v_and_b32_sdwa v33, v39, v52 dst_sel:DWORD dst_unused:UNUSED_PAD src0_sel:WORD_0 src1_sel:DWORD
	v_lshrrev_b32_e32 v40, 3, v86
	s_mov_b32 s33, exec_lo
	v_cmpx_gt_u32_e32 8, v86
; %bb.261:                              ;   in Loop: Header=BB177_9 Depth=1
	v_ffbh_u32_e32 v40, v33
	v_min_u32_e32 v40, 32, v40
	v_subrev_nc_u32_e32 v84, 28, v40
	v_sub_nc_u32_e32 v40, 29, v40
	v_lshlrev_b64 v[86:87], v84, v[33:34]
	v_and_b32_e32 v33, 7, v86
; %bb.262:                              ;   in Loop: Header=BB177_9 Depth=1
	s_or_b32 exec_lo, exec_lo, s33
	v_lshlrev_b32_e32 v39, 24, v39
	v_lshlrev_b32_e32 v33, 20, v33
	v_lshl_add_u32 v40, v40, 23, 0x3c000000
	v_and_b32_e32 v39, 0x80000000, v39
	v_or3_b32 v84, v33, v39, v40
.LBB177_263:                            ;   in Loop: Header=BB177_9 Depth=1
	s_or_b32 exec_lo, exec_lo, s31
.LBB177_264:                            ;   in Loop: Header=BB177_9 Depth=1
	s_or_b32 exec_lo, exec_lo, s30
.LBB177_265:                            ;   in Loop: Header=BB177_9 Depth=1
	s_or_b32 exec_lo, exec_lo, s3
	s_waitcnt lgkmcnt(0)
	v_mul_f32_e32 v33, s4, v54
	v_mul_f32_e32 v39, s4, v55
	;; [unrolled: 1-line block ×4, first 2 shown]
	v_fmac_f32_e32 v33, v1, v39
	v_mul_f32_e32 v39, s4, v56
	v_fmac_f32_e32 v33, v3, v40
	v_mul_f32_e32 v40, s4, v59
	;; [unrolled: 2-line block ×29, first 2 shown]
	v_fmac_f32_e32 v33, v31, v40
	v_fmac_f32_e32 v33, v32, v39
	ds_bpermute_b32 v39, v47, v33
	s_waitcnt lgkmcnt(0)
	v_add_f32_e32 v33, v33, v39
	ds_bpermute_b32 v39, v48, v33
	s_and_saveexec_b32 s3, vcc_lo
	s_cbranch_execz .LBB177_8
; %bb.266:                              ;   in Loop: Header=BB177_9 Depth=1
	v_add_nc_u32_e32 v40, s5, v49
	s_waitcnt lgkmcnt(0)
	v_add_f32_e32 v33, v33, v39
	v_cmp_gt_i32_e64 s2, s11, v49
	v_cvt_f32_i32_e32 v40, v40
	v_mul_f32_e32 v40, s28, v40
	v_cndmask_b32_e64 v39, 0, v40, s1
	v_max_f32_e32 v40, v46, v46
	v_fmac_f32_e32 v39, s29, v33
	v_max_f32_e32 v33, v40, v39
	v_cndmask_b32_e64 v39, 0, v39, s2
	v_cndmask_b32_e64 v46, v46, v33, s2
	ds_write_b32 v50, v39
	s_branch .LBB177_8
.LBB177_267:
	s_or_b32 exec_lo, exec_lo, s16
.LBB177_268:
	s_or_b32 exec_lo, exec_lo, s15
	v_xor_b32_e32 v1, 16, v44
	v_xor_b32_e32 v3, 8, v44
	v_max_f32_e32 v4, v46, v46
	v_xor_b32_e32 v5, 4, v44
	v_and_b32_e32 v25, 31, v0
	v_cmp_lt_i32_e32 vcc_lo, v1, v45
	v_cndmask_b32_e32 v1, v44, v1, vcc_lo
	v_cmp_lt_i32_e32 vcc_lo, v3, v45
	v_lshlrev_b32_e32 v2, 2, v1
	v_cndmask_b32_e32 v3, v44, v3, vcc_lo
	v_cmp_lt_i32_e32 vcc_lo, v5, v45
	ds_bpermute_b32 v1, v2, v46
	v_lshlrev_b32_e32 v3, 2, v3
	v_cndmask_b32_e32 v5, v44, v5, vcc_lo
	v_cmp_eq_u32_e32 vcc_lo, 0, v25
	v_lshlrev_b32_e32 v6, 2, v5
	s_waitcnt lgkmcnt(0)
	v_max_f32_e32 v1, v1, v1
	v_max_f32_e32 v1, v4, v1
	ds_bpermute_b32 v4, v3, v1
	s_waitcnt lgkmcnt(0)
	v_max_f32_e32 v4, v4, v4
	v_max_f32_e32 v1, v1, v4
	v_lshlrev_b32_e32 v4, 2, v41
	ds_bpermute_b32 v5, v6, v1
	s_and_saveexec_b32 s1, vcc_lo
	s_cbranch_execz .LBB177_270
; %bb.269:
	s_waitcnt lgkmcnt(0)
	v_max_f32_e32 v5, v5, v5
	v_max_f32_e32 v1, v1, v1
	;; [unrolled: 1-line block ×3, first 2 shown]
	ds_write_b32 v4, v1 offset:512
.LBB177_270:
	s_or_b32 exec_lo, exec_lo, s1
	v_cmp_gt_u32_e64 s1, 4, v25
	v_mov_b32_e32 v1, 0xff7fffff
	s_waitcnt lgkmcnt(0)
	v_lshlrev_b32_e32 v5, 2, v25
	s_barrier
	buffer_gl0_inv
	s_and_saveexec_b32 s2, s1
; %bb.271:
	ds_read_b32 v1, v5 offset:512
; %bb.272:
	s_or_b32 exec_lo, exec_lo, s2
	v_xor_b32_e32 v7, 2, v44
	v_xor_b32_e32 v9, 1, v44
	v_cmp_lt_i32_e64 s2, v7, v45
	v_cndmask_b32_e64 v7, v44, v7, s2
	v_cmp_lt_i32_e64 s2, v9, v45
	v_lshlrev_b32_e32 v7, 2, v7
	v_cndmask_b32_e64 v9, v44, v9, s2
	s_lshl_b32 s2, s12, 3
	s_min_i32 s4, s2, s11
	s_waitcnt lgkmcnt(0)
	ds_bpermute_b32 v8, v7, v1
	v_max_f32_e32 v1, v1, v1
	v_lshlrev_b32_e32 v26, 2, v9
	v_cmp_gt_i32_e64 s2, s4, v0
	s_waitcnt lgkmcnt(0)
	v_max_f32_e32 v8, v8, v8
	v_max_f32_e32 v1, v1, v8
	ds_bpermute_b32 v8, v26, v1
	s_waitcnt lgkmcnt(0)
	v_max_f32_e32 v8, v8, v8
	v_max_f32_e32 v1, v1, v8
	v_lshlrev_b32_e32 v8, 2, v34
	ds_bpermute_b32 v9, v8, v1
	v_mov_b32_e32 v8, 0
	v_lshl_add_u32 v1, v0, 2, 0x220
	s_and_saveexec_b32 s5, s2
	s_cbranch_execz .LBB177_276
; %bb.273:
	v_lshl_add_u32 v10, v0, 2, 0x220
	v_mov_b32_e32 v8, 0
	v_mov_b32_e32 v11, v0
	s_mov_b32 s15, 0
	.p2align	6
.LBB177_274:                            ; =>This Inner Loop Header: Depth=1
	ds_read_b32 v12, v10
	v_add_nc_u32_e32 v11, 0x80, v11
	v_cmp_le_i32_e64 s3, s4, v11
	s_or_b32 s15, s3, s15
	s_waitcnt lgkmcnt(0)
	v_sub_f32_e32 v12, v12, v9
	v_mul_f32_e32 v12, 0x3fb8aa3b, v12
	v_exp_f32_e32 v12, v12
	ds_write_b32 v10, v12
	v_add_f32_e32 v8, v8, v12
	v_add_nc_u32_e32 v10, 0x200, v10
	s_andn2_b32 exec_lo, exec_lo, s15
	s_cbranch_execnz .LBB177_274
; %bb.275:
	s_or_b32 exec_lo, exec_lo, s15
.LBB177_276:
	s_or_b32 exec_lo, exec_lo, s5
	ds_bpermute_b32 v2, v2, v8
	s_waitcnt lgkmcnt(0)
	v_add_f32_e32 v2, v8, v2
	ds_bpermute_b32 v3, v3, v2
	s_waitcnt lgkmcnt(0)
	v_add_f32_e32 v2, v2, v3
	ds_bpermute_b32 v3, v6, v2
	s_waitcnt lgkmcnt(0)
	v_add_f32_e32 v2, v2, v3
	ds_bpermute_b32 v3, v7, v2
	s_waitcnt lgkmcnt(0)
	v_add_f32_e32 v2, v2, v3
	ds_bpermute_b32 v3, v26, v2
	s_waitcnt lgkmcnt(0)
	v_add_f32_e32 v2, v2, v3
	s_and_saveexec_b32 s3, vcc_lo
; %bb.277:
	ds_write_b32 v4, v2 offset:528
; %bb.278:
	s_or_b32 exec_lo, exec_lo, s3
	s_waitcnt lgkmcnt(0)
	s_barrier
	buffer_gl0_inv
	s_and_saveexec_b32 s3, s1
; %bb.279:
	ds_read_b32 v2, v5 offset:528
; %bb.280:
	s_or_b32 exec_lo, exec_lo, s3
	s_waitcnt lgkmcnt(0)
	ds_bpermute_b32 v3, v7, v2
	v_lshlrev_b32_e32 v4, 2, v44
	s_waitcnt lgkmcnt(0)
	v_add_f32_e32 v2, v2, v3
	ds_bpermute_b32 v3, v26, v2
	s_waitcnt lgkmcnt(0)
	v_add_f32_e32 v2, v2, v3
	v_and_b32_e32 v3, 0xffffff80, v4
	ds_bpermute_b32 v2, v3, v2
	s_and_saveexec_b32 s1, s2
	s_cbranch_execz .LBB177_283
; %bb.281:
	s_waitcnt lgkmcnt(0)
	v_add_f32_e32 v2, 0x358637bd, v2
	s_mov_b32 s2, 0
	v_div_scale_f32 v3, null, v2, v2, 1.0
	v_div_scale_f32 v6, vcc_lo, 1.0, v2, 1.0
	v_rcp_f32_e32 v4, v3
	v_fma_f32 v5, -v3, v4, 1.0
	v_fmac_f32_e32 v4, v5, v4
	v_mul_f32_e32 v5, v6, v4
	v_fma_f32 v7, -v3, v5, v6
	v_fmac_f32_e32 v5, v7, v4
	v_fma_f32 v3, -v3, v5, v6
	v_div_fmas_f32 v3, v3, v4, v5
	v_div_fixup_f32 v2, v3, v2, 1.0
	v_mov_b32_e32 v3, v0
.LBB177_282:                            ; =>This Inner Loop Header: Depth=1
	ds_read_b32 v4, v1
	v_add_nc_u32_e32 v3, 0x80, v3
	v_cmp_le_i32_e32 vcc_lo, s4, v3
	s_or_b32 s2, vcc_lo, s2
	s_waitcnt lgkmcnt(0)
	v_mul_f32_e32 v4, v2, v4
	ds_write_b32 v1, v4
	v_add_nc_u32_e32 v1, 0x200, v1
	s_andn2_b32 exec_lo, exec_lo, s2
	s_cbranch_execnz .LBB177_282
.LBB177_283:
	s_or_b32 exec_lo, exec_lo, s1
	v_mov_b32_e32 v33, 0
	v_and_b32_e32 v27, 1, v0
	v_mov_b32_e32 v35, 0
	v_mov_b32_e32 v34, 0
	;; [unrolled: 1-line block ×7, first 2 shown]
	s_waitcnt lgkmcnt(0)
	s_barrier
	buffer_gl0_inv
	s_and_saveexec_b32 s1, s0
	s_cbranch_execz .LBB177_559
; %bb.284:
	s_load_dword s2, s[18:19], 0x0
	v_and_b32_e32 v2, 0x7c, v42
	v_and_b32_e32 v1, 4, v42
	v_lshlrev_b32_e32 v4, 3, v41
	s_ashr_i32 s0, s14, 31
	s_add_u32 s4, s26, s14
	v_lshlrev_b32_e32 v3, 4, v27
	s_addc_u32 s0, s27, s0
	v_add_co_u32 v7, s4, s4, v2
	v_or3_b32 v36, v4, v1, 3
	v_and_b32_e32 v1, 0x7c, v43
	v_add_co_ci_u32_e64 v8, null, s0, 0, s4
	s_lshl_b64 s[4:5], s[24:25], 2
	s_add_i32 s3, s12, -1
	v_lshl_or_b32 v3, v41, 5, v3
	s_add_u32 s0, s22, s4
	s_addc_u32 s4, s23, s5
	v_add_co_u32 v9, s0, s0, v1
	v_mov_b32_e32 v6, 0
	v_add_nc_u32_e32 v37, 0x220, v3
	v_add_co_ci_u32_e64 v10, null, s4, 0, s0
	v_mov_b32_e32 v38, 0x80
	v_bfrev_b32_e32 v12, 1
	v_mov_b32_e32 v39, 0xffff
	v_mov_b32_e32 v14, 0x7f800001
	;; [unrolled: 1-line block ×14, first 2 shown]
	s_mov_b32 s4, s13
	s_waitcnt lgkmcnt(0)
	s_mov_b32 s13, s2
	s_mov_b32 s5, 0
	s_branch .LBB177_286
.LBB177_285:                            ;   in Loop: Header=BB177_286 Depth=1
	s_or_b32 exec_lo, exec_lo, s0
	s_waitcnt lgkmcnt(0)
	v_mul_f32_e32 v16, v1, v73
	v_mul_f32_e32 v17, v1, v71
	v_mul_f32_e32 v18, v1, v67
	v_mul_f32_e32 v19, v1, v63
	v_mul_f32_e32 v20, v1, v59
	v_mul_f32_e32 v21, v1, v55
	v_mul_f32_e32 v22, v1, v48
	v_mul_f32_e32 v1, v1, v15
	v_fmac_f32_e32 v16, v2, v72
	v_fmac_f32_e32 v17, v2, v70
	;; [unrolled: 1-line block ×16, first 2 shown]
	v_add_nc_u32_e32 v44, 4, v44
	v_fmac_f32_e32 v16, v4, v23
	v_fmac_f32_e32 v17, v4, v68
	;; [unrolled: 1-line block ×8, first 2 shown]
	v_cmp_le_i32_e32 vcc_lo, s12, v44
	v_add_co_u32 v9, s0, v9, 16
	v_add_f32_e32 v29, v29, v16
	v_add_f32_e32 v30, v30, v17
	;; [unrolled: 1-line block ×8, first 2 shown]
	v_add_nc_u32_e32 v36, 32, v36
	v_add_nc_u32_e32 v37, 0x80, v37
	v_add_co_ci_u32_e64 v10, null, 0, v10, s0
	s_or_b32 s5, vcc_lo, s5
	s_andn2_b32 exec_lo, exec_lo, s5
	s_cbranch_execz .LBB177_558
.LBB177_286:                            ; =>This Inner Loop Header: Depth=1
	global_load_dword v1, v[9:10], off
	v_mov_b32_e32 v19, 0
	v_mov_b32_e32 v17, 0
	;; [unrolled: 1-line block ×4, first 2 shown]
	s_waitcnt vmcnt(0)
	v_mad_i64_i32 v[15:16], null, v1, s4, v[7:8]
	ds_read_b128 v[1:4], v37
	global_load_dword v45, v[15:16], off
	s_waitcnt vmcnt(0)
	v_cmp_ne_u16_sdwa s14, v45, v6 src0_sel:BYTE_0 src1_sel:DWORD
	s_and_saveexec_b32 s0, s14
	s_cbranch_execz .LBB177_294
; %bb.287:                              ;   in Loop: Header=BB177_286 Depth=1
	v_bfrev_b32_e32 v17, 1
	v_mov_b32_e32 v18, 0
	v_cmp_ne_u16_sdwa s15, v45, v38 src0_sel:BYTE_0 src1_sel:DWORD
	s_and_saveexec_b32 s14, s15
	s_cbranch_execz .LBB177_293
; %bb.288:                              ;   in Loop: Header=BB177_286 Depth=1
	v_mov_b32_e32 v17, 0x7f800001
	v_and_b32_e32 v13, 0x7f, v45
	v_mov_b32_e32 v18, 0
	s_mov_b32 s15, exec_lo
	v_cmpx_ne_u32_e32 0x7f, v13
	s_cbranch_execz .LBB177_292
; %bb.289:                              ;   in Loop: Header=BB177_286 Depth=1
	v_and_b32_e32 v5, 7, v45
	v_lshrrev_b32_e32 v11, 3, v13
	s_mov_b32 s16, exec_lo
	v_cmpx_gt_u32_e32 8, v13
; %bb.290:                              ;   in Loop: Header=BB177_286 Depth=1
	v_ffbh_u32_e32 v11, v5
	v_min_u32_e32 v11, 32, v11
	v_subrev_nc_u32_e32 v13, 28, v11
	v_sub_nc_u32_e32 v11, 29, v11
	v_lshlrev_b64 v[17:18], v13, v[5:6]
	v_and_b32_e32 v5, 7, v17
; %bb.291:                              ;   in Loop: Header=BB177_286 Depth=1
	s_or_b32 exec_lo, exec_lo, s16
	v_lshlrev_b32_e32 v13, 24, v45
	v_lshlrev_b32_e32 v5, 20, v5
	v_lshl_add_u32 v11, v11, 23, 0x3c000000
	v_and_b32_e32 v13, 0x80000000, v13
	v_or3_b32 v5, v5, v13, v11
	v_mov_b32_e32 v18, v6
	v_mov_b32_e32 v17, v5
.LBB177_292:                            ;   in Loop: Header=BB177_286 Depth=1
	s_or_b32 exec_lo, exec_lo, s15
.LBB177_293:                            ;   in Loop: Header=BB177_286 Depth=1
	s_or_b32 exec_lo, exec_lo, s14
.LBB177_294:                            ;   in Loop: Header=BB177_286 Depth=1
	s_or_b32 exec_lo, exec_lo, s0
	v_cmp_ne_u16_sdwa s14, v45, v6 src0_sel:BYTE_1 src1_sel:DWORD
	s_and_saveexec_b32 s0, s14
	s_cbranch_execz .LBB177_302
; %bb.295:                              ;   in Loop: Header=BB177_286 Depth=1
	v_mov_b32_e32 v11, v6
	v_mov_b32_e32 v20, v12
	v_cmp_ne_u16_sdwa s15, v45, v38 src0_sel:BYTE_1 src1_sel:DWORD
	v_mov_b32_e32 v19, v11
	s_and_saveexec_b32 s14, s15
	s_cbranch_execz .LBB177_301
; %bb.296:                              ;   in Loop: Header=BB177_286 Depth=1
	v_and_b32_sdwa v5, v39, v45 dst_sel:DWORD dst_unused:UNUSED_PAD src0_sel:DWORD src1_sel:BYTE_1
	v_mov_b32_e32 v13, v6
	v_mov_b32_e32 v20, v14
	s_mov_b32 s15, exec_lo
	v_and_b32_e32 v21, 0x7f, v5
	v_mov_b32_e32 v19, v13
	v_cmpx_ne_u32_e32 0x7f, v21
	s_cbranch_execz .LBB177_300
; %bb.297:                              ;   in Loop: Header=BB177_286 Depth=1
	v_and_b32_e32 v5, 7, v5
	v_lshrrev_b32_e32 v11, 3, v21
	s_mov_b32 s16, exec_lo
	v_cmpx_gt_u32_e32 8, v21
; %bb.298:                              ;   in Loop: Header=BB177_286 Depth=1
	v_ffbh_u32_e32 v11, v5
	v_min_u32_e32 v11, 32, v11
	v_subrev_nc_u32_e32 v13, 28, v11
	v_sub_nc_u32_e32 v11, 29, v11
	v_lshlrev_b64 v[19:20], v13, v[5:6]
	v_and_b32_e32 v5, 7, v19
; %bb.299:                              ;   in Loop: Header=BB177_286 Depth=1
	s_or_b32 exec_lo, exec_lo, s16
	v_lshlrev_b32_e32 v13, 16, v45
	v_lshlrev_b32_e32 v5, 20, v5
	v_lshl_add_u32 v11, v11, 23, 0x3c000000
	v_mov_b32_e32 v19, v6
	v_and_b32_e32 v13, 0x80000000, v13
	v_or3_b32 v20, v5, v13, v11
.LBB177_300:                            ;   in Loop: Header=BB177_286 Depth=1
	s_or_b32 exec_lo, exec_lo, s15
.LBB177_301:                            ;   in Loop: Header=BB177_286 Depth=1
	s_or_b32 exec_lo, exec_lo, s14
.LBB177_302:                            ;   in Loop: Header=BB177_286 Depth=1
	s_or_b32 exec_lo, exec_lo, s0
	v_mov_b32_e32 v23, 0
	v_mov_b32_e32 v21, 0
	v_and_b32_sdwa v5, v45, v40 dst_sel:DWORD dst_unused:UNUSED_PAD src0_sel:WORD_1 src1_sel:DWORD
	v_mov_b32_e32 v24, 0
	v_mov_b32_e32 v22, 0
	s_mov_b32 s0, exec_lo
	v_cmpx_ne_u16_e32 0, v5
	s_cbranch_execz .LBB177_310
; %bb.303:                              ;   in Loop: Header=BB177_286 Depth=1
	v_bfrev_b32_e32 v21, 1
	v_mov_b32_e32 v22, 0
	s_mov_b32 s14, exec_lo
	v_cmpx_ne_u16_e32 0x80, v5
	s_cbranch_execz .LBB177_309
; %bb.304:                              ;   in Loop: Header=BB177_286 Depth=1
	v_mov_b32_e32 v21, 0x7f800001
	v_bfe_u32 v13, v45, 16, 7
	v_mov_b32_e32 v22, 0
	s_mov_b32 s15, exec_lo
	v_cmpx_ne_u32_e32 0x7f, v13
	s_cbranch_execz .LBB177_308
; %bb.305:                              ;   in Loop: Header=BB177_286 Depth=1
	v_and_b32_sdwa v5, v45, v42 dst_sel:DWORD dst_unused:UNUSED_PAD src0_sel:WORD_1 src1_sel:DWORD
	v_lshrrev_b32_e32 v11, 3, v13
	s_mov_b32 s16, exec_lo
	v_cmpx_gt_u32_e32 8, v13
; %bb.306:                              ;   in Loop: Header=BB177_286 Depth=1
	v_ffbh_u32_e32 v11, v5
	v_min_u32_e32 v11, 32, v11
	v_subrev_nc_u32_e32 v13, 28, v11
	v_sub_nc_u32_e32 v11, 29, v11
	v_lshlrev_b64 v[21:22], v13, v[5:6]
	v_and_b32_e32 v5, 7, v21
; %bb.307:                              ;   in Loop: Header=BB177_286 Depth=1
	s_or_b32 exec_lo, exec_lo, s16
	v_lshlrev_b32_sdwa v13, v43, v45 dst_sel:DWORD dst_unused:UNUSED_PAD src0_sel:DWORD src1_sel:WORD_1
	v_lshlrev_b32_e32 v5, 20, v5
	v_lshl_add_u32 v11, v11, 23, 0x3c000000
	v_and_b32_e32 v13, 0x80000000, v13
	v_or3_b32 v5, v5, v13, v11
	v_mov_b32_e32 v22, v6
	v_mov_b32_e32 v21, v5
.LBB177_308:                            ;   in Loop: Header=BB177_286 Depth=1
	s_or_b32 exec_lo, exec_lo, s15
.LBB177_309:                            ;   in Loop: Header=BB177_286 Depth=1
	s_or_b32 exec_lo, exec_lo, s14
.LBB177_310:                            ;   in Loop: Header=BB177_286 Depth=1
	s_or_b32 exec_lo, exec_lo, s0
	s_mov_b32 s0, exec_lo
	v_cmpx_lt_u32_e32 0xffffff, v45
	s_cbranch_execz .LBB177_318
; %bb.311:                              ;   in Loop: Header=BB177_286 Depth=1
	v_mov_b32_e32 v11, v6
	v_mov_b32_e32 v24, v12
	v_cmp_ne_u32_sdwa s15, v45, v38 src0_sel:BYTE_3 src1_sel:DWORD
	v_mov_b32_e32 v23, v11
	s_and_saveexec_b32 s14, s15
	s_cbranch_execz .LBB177_317
; %bb.312:                              ;   in Loop: Header=BB177_286 Depth=1
	v_mov_b32_e32 v13, v6
	v_mov_b32_e32 v24, v14
	v_bfe_u32 v46, v45, 24, 7
	s_mov_b32 s15, exec_lo
	v_mov_b32_e32 v23, v13
	v_cmpx_ne_u32_e32 0x7f, v46
	s_cbranch_execz .LBB177_316
; %bb.313:                              ;   in Loop: Header=BB177_286 Depth=1
	v_and_b32_sdwa v5, v45, v42 dst_sel:DWORD dst_unused:UNUSED_PAD src0_sel:BYTE_3 src1_sel:DWORD
	v_lshrrev_b32_e32 v11, 3, v46
	s_mov_b32 s16, exec_lo
	v_cmpx_gt_u32_e32 8, v46
; %bb.314:                              ;   in Loop: Header=BB177_286 Depth=1
	v_ffbh_u32_e32 v11, v5
	v_min_u32_e32 v11, 32, v11
	v_subrev_nc_u32_e32 v13, 28, v11
	v_sub_nc_u32_e32 v11, 29, v11
	v_lshlrev_b64 v[23:24], v13, v[5:6]
	v_and_b32_e32 v5, 7, v23
; %bb.315:                              ;   in Loop: Header=BB177_286 Depth=1
	s_or_b32 exec_lo, exec_lo, s16
	v_lshlrev_b32_sdwa v13, v43, v45 dst_sel:DWORD dst_unused:UNUSED_PAD src0_sel:DWORD src1_sel:BYTE_3
	v_lshlrev_b32_e32 v5, 20, v5
	v_lshl_add_u32 v11, v11, 23, 0x3c000000
	v_mov_b32_e32 v23, v6
	v_and_b32_e32 v13, 0x80000000, v13
	v_or3_b32 v24, v5, v13, v11
.LBB177_316:                            ;   in Loop: Header=BB177_286 Depth=1
	s_or_b32 exec_lo, exec_lo, s15
.LBB177_317:                            ;   in Loop: Header=BB177_286 Depth=1
	s_or_b32 exec_lo, exec_lo, s14
.LBB177_318:                            ;   in Loop: Header=BB177_286 Depth=1
	s_or_b32 exec_lo, exec_lo, s0
	v_or_b32_e32 v5, v20, v18
	v_or_b32_e32 v11, v19, v17
	;; [unrolled: 1-line block ×4, first 2 shown]
	v_add_nc_u32_e32 v49, -3, v36
	v_cmp_eq_u32_e32 vcc_lo, s3, v44
	v_mul_f32_e32 v47, s13, v5
	v_mul_f32_e32 v48, s2, v11
	;; [unrolled: 1-line block ×4, first 2 shown]
	v_add_nc_u32_e32 v51, -2, v36
	v_add_nc_u32_e32 v50, -1, v36
	s_and_saveexec_b32 s14, vcc_lo
	s_cbranch_execz .LBB177_320
; %bb.319:                              ;   in Loop: Header=BB177_286 Depth=1
	v_cmp_gt_i32_e64 s0, s11, v49
	v_cndmask_b32_e64 v48, 0, v48, s0
	v_cmp_gt_i32_e64 s0, s11, v51
	v_cndmask_b32_e64 v47, 0, v47, s0
	;; [unrolled: 2-line block ×4, first 2 shown]
.LBB177_320:                            ;   in Loop: Header=BB177_286 Depth=1
	s_or_b32 exec_lo, exec_lo, s14
	global_load_dword v52, v[15:16], off offset:128
	v_mov_b32_e32 v19, 0
	v_mov_b32_e32 v17, 0
	;; [unrolled: 1-line block ×4, first 2 shown]
	s_waitcnt vmcnt(0)
	v_cmp_ne_u16_sdwa s0, v52, v6 src0_sel:BYTE_0 src1_sel:DWORD
	s_and_saveexec_b32 s14, s0
	s_cbranch_execz .LBB177_328
; %bb.321:                              ;   in Loop: Header=BB177_286 Depth=1
	v_bfrev_b32_e32 v17, 1
	v_mov_b32_e32 v18, 0
	v_cmp_ne_u16_sdwa s0, v52, v38 src0_sel:BYTE_0 src1_sel:DWORD
	s_and_saveexec_b32 s15, s0
	s_cbranch_execz .LBB177_327
; %bb.322:                              ;   in Loop: Header=BB177_286 Depth=1
	v_mov_b32_e32 v17, 0x7f800001
	v_and_b32_e32 v13, 0x7f, v52
	v_mov_b32_e32 v18, 0
	s_mov_b32 s16, exec_lo
	v_cmpx_ne_u32_e32 0x7f, v13
	s_cbranch_execz .LBB177_326
; %bb.323:                              ;   in Loop: Header=BB177_286 Depth=1
	v_and_b32_e32 v5, 7, v52
	v_lshrrev_b32_e32 v11, 3, v13
	s_mov_b32 s17, exec_lo
	v_cmpx_gt_u32_e32 8, v13
; %bb.324:                              ;   in Loop: Header=BB177_286 Depth=1
	v_ffbh_u32_e32 v11, v5
	v_min_u32_e32 v11, 32, v11
	v_subrev_nc_u32_e32 v13, 28, v11
	v_sub_nc_u32_e32 v11, 29, v11
	v_lshlrev_b64 v[17:18], v13, v[5:6]
	v_and_b32_e32 v5, 7, v17
; %bb.325:                              ;   in Loop: Header=BB177_286 Depth=1
	s_or_b32 exec_lo, exec_lo, s17
	v_lshlrev_b32_e32 v13, 24, v52
	v_lshlrev_b32_e32 v5, 20, v5
	v_lshl_add_u32 v11, v11, 23, 0x3c000000
	v_and_b32_e32 v13, 0x80000000, v13
	v_or3_b32 v5, v5, v13, v11
	v_mov_b32_e32 v18, v6
	v_mov_b32_e32 v17, v5
.LBB177_326:                            ;   in Loop: Header=BB177_286 Depth=1
	s_or_b32 exec_lo, exec_lo, s16
.LBB177_327:                            ;   in Loop: Header=BB177_286 Depth=1
	s_or_b32 exec_lo, exec_lo, s15
.LBB177_328:                            ;   in Loop: Header=BB177_286 Depth=1
	s_or_b32 exec_lo, exec_lo, s14
	v_cmp_ne_u16_sdwa s0, v52, v6 src0_sel:BYTE_1 src1_sel:DWORD
	s_and_saveexec_b32 s14, s0
	s_cbranch_execz .LBB177_336
; %bb.329:                              ;   in Loop: Header=BB177_286 Depth=1
	v_mov_b32_e32 v11, v6
	v_mov_b32_e32 v20, v12
	v_cmp_ne_u16_sdwa s0, v52, v38 src0_sel:BYTE_1 src1_sel:DWORD
	v_mov_b32_e32 v19, v11
	s_and_saveexec_b32 s15, s0
	s_cbranch_execz .LBB177_335
; %bb.330:                              ;   in Loop: Header=BB177_286 Depth=1
	v_and_b32_sdwa v5, v39, v52 dst_sel:DWORD dst_unused:UNUSED_PAD src0_sel:DWORD src1_sel:BYTE_1
	v_mov_b32_e32 v13, v6
	v_mov_b32_e32 v20, v14
	s_mov_b32 s16, exec_lo
	v_and_b32_e32 v21, 0x7f, v5
	v_mov_b32_e32 v19, v13
	v_cmpx_ne_u32_e32 0x7f, v21
	s_cbranch_execz .LBB177_334
; %bb.331:                              ;   in Loop: Header=BB177_286 Depth=1
	v_and_b32_e32 v5, 7, v5
	v_lshrrev_b32_e32 v11, 3, v21
	s_mov_b32 s17, exec_lo
	v_cmpx_gt_u32_e32 8, v21
; %bb.332:                              ;   in Loop: Header=BB177_286 Depth=1
	v_ffbh_u32_e32 v11, v5
	v_min_u32_e32 v11, 32, v11
	v_subrev_nc_u32_e32 v13, 28, v11
	v_sub_nc_u32_e32 v11, 29, v11
	v_lshlrev_b64 v[19:20], v13, v[5:6]
	v_and_b32_e32 v5, 7, v19
; %bb.333:                              ;   in Loop: Header=BB177_286 Depth=1
	s_or_b32 exec_lo, exec_lo, s17
	v_lshlrev_b32_e32 v13, 16, v52
	v_lshlrev_b32_e32 v5, 20, v5
	v_lshl_add_u32 v11, v11, 23, 0x3c000000
	v_mov_b32_e32 v19, v6
	v_and_b32_e32 v13, 0x80000000, v13
	v_or3_b32 v20, v5, v13, v11
.LBB177_334:                            ;   in Loop: Header=BB177_286 Depth=1
	s_or_b32 exec_lo, exec_lo, s16
.LBB177_335:                            ;   in Loop: Header=BB177_286 Depth=1
	s_or_b32 exec_lo, exec_lo, s15
.LBB177_336:                            ;   in Loop: Header=BB177_286 Depth=1
	s_or_b32 exec_lo, exec_lo, s14
	v_mov_b32_e32 v23, 0
	v_mov_b32_e32 v21, 0
	v_and_b32_sdwa v5, v52, v40 dst_sel:DWORD dst_unused:UNUSED_PAD src0_sel:WORD_1 src1_sel:DWORD
	v_mov_b32_e32 v24, 0
	v_mov_b32_e32 v22, 0
	s_mov_b32 s14, exec_lo
	v_cmpx_ne_u16_e32 0, v5
	s_cbranch_execz .LBB177_344
; %bb.337:                              ;   in Loop: Header=BB177_286 Depth=1
	v_bfrev_b32_e32 v21, 1
	v_mov_b32_e32 v22, 0
	s_mov_b32 s15, exec_lo
	v_cmpx_ne_u16_e32 0x80, v5
	s_cbranch_execz .LBB177_343
; %bb.338:                              ;   in Loop: Header=BB177_286 Depth=1
	v_mov_b32_e32 v21, 0x7f800001
	v_bfe_u32 v13, v52, 16, 7
	v_mov_b32_e32 v22, 0
	s_mov_b32 s16, exec_lo
	v_cmpx_ne_u32_e32 0x7f, v13
	s_cbranch_execz .LBB177_342
; %bb.339:                              ;   in Loop: Header=BB177_286 Depth=1
	v_and_b32_sdwa v5, v52, v42 dst_sel:DWORD dst_unused:UNUSED_PAD src0_sel:WORD_1 src1_sel:DWORD
	v_lshrrev_b32_e32 v11, 3, v13
	s_mov_b32 s17, exec_lo
	v_cmpx_gt_u32_e32 8, v13
; %bb.340:                              ;   in Loop: Header=BB177_286 Depth=1
	v_ffbh_u32_e32 v11, v5
	v_min_u32_e32 v11, 32, v11
	v_subrev_nc_u32_e32 v13, 28, v11
	v_sub_nc_u32_e32 v11, 29, v11
	v_lshlrev_b64 v[21:22], v13, v[5:6]
	v_and_b32_e32 v5, 7, v21
; %bb.341:                              ;   in Loop: Header=BB177_286 Depth=1
	s_or_b32 exec_lo, exec_lo, s17
	v_lshlrev_b32_sdwa v13, v43, v52 dst_sel:DWORD dst_unused:UNUSED_PAD src0_sel:DWORD src1_sel:WORD_1
	v_lshlrev_b32_e32 v5, 20, v5
	v_lshl_add_u32 v11, v11, 23, 0x3c000000
	v_and_b32_e32 v13, 0x80000000, v13
	v_or3_b32 v5, v5, v13, v11
	v_mov_b32_e32 v22, v6
	v_mov_b32_e32 v21, v5
.LBB177_342:                            ;   in Loop: Header=BB177_286 Depth=1
	s_or_b32 exec_lo, exec_lo, s16
.LBB177_343:                            ;   in Loop: Header=BB177_286 Depth=1
	s_or_b32 exec_lo, exec_lo, s15
.LBB177_344:                            ;   in Loop: Header=BB177_286 Depth=1
	s_or_b32 exec_lo, exec_lo, s14
	s_mov_b32 s14, exec_lo
	v_cmpx_lt_u32_e32 0xffffff, v52
	s_cbranch_execz .LBB177_352
; %bb.345:                              ;   in Loop: Header=BB177_286 Depth=1
	v_mov_b32_e32 v11, v6
	v_mov_b32_e32 v24, v12
	v_cmp_ne_u32_sdwa s0, v52, v38 src0_sel:BYTE_3 src1_sel:DWORD
	v_mov_b32_e32 v23, v11
	s_and_saveexec_b32 s15, s0
	s_cbranch_execz .LBB177_351
; %bb.346:                              ;   in Loop: Header=BB177_286 Depth=1
	v_mov_b32_e32 v13, v6
	v_mov_b32_e32 v24, v14
	v_bfe_u32 v53, v52, 24, 7
	s_mov_b32 s16, exec_lo
	v_mov_b32_e32 v23, v13
	v_cmpx_ne_u32_e32 0x7f, v53
	s_cbranch_execz .LBB177_350
; %bb.347:                              ;   in Loop: Header=BB177_286 Depth=1
	v_and_b32_sdwa v5, v52, v42 dst_sel:DWORD dst_unused:UNUSED_PAD src0_sel:BYTE_3 src1_sel:DWORD
	v_lshrrev_b32_e32 v11, 3, v53
	s_mov_b32 s17, exec_lo
	v_cmpx_gt_u32_e32 8, v53
; %bb.348:                              ;   in Loop: Header=BB177_286 Depth=1
	v_ffbh_u32_e32 v11, v5
	v_min_u32_e32 v11, 32, v11
	v_subrev_nc_u32_e32 v13, 28, v11
	v_sub_nc_u32_e32 v11, 29, v11
	v_lshlrev_b64 v[23:24], v13, v[5:6]
	v_and_b32_e32 v5, 7, v23
; %bb.349:                              ;   in Loop: Header=BB177_286 Depth=1
	s_or_b32 exec_lo, exec_lo, s17
	v_lshlrev_b32_sdwa v13, v43, v52 dst_sel:DWORD dst_unused:UNUSED_PAD src0_sel:DWORD src1_sel:BYTE_3
	v_lshlrev_b32_e32 v5, 20, v5
	v_lshl_add_u32 v11, v11, 23, 0x3c000000
	v_mov_b32_e32 v23, v6
	v_and_b32_e32 v13, 0x80000000, v13
	v_or3_b32 v24, v5, v13, v11
.LBB177_350:                            ;   in Loop: Header=BB177_286 Depth=1
	s_or_b32 exec_lo, exec_lo, s16
.LBB177_351:                            ;   in Loop: Header=BB177_286 Depth=1
	s_or_b32 exec_lo, exec_lo, s15
.LBB177_352:                            ;   in Loop: Header=BB177_286 Depth=1
	s_or_b32 exec_lo, exec_lo, s14
	v_or_b32_e32 v5, v20, v18
	v_or_b32_e32 v11, v19, v17
	;; [unrolled: 1-line block ×4, first 2 shown]
	v_mul_f32_e32 v54, s13, v5
	v_mul_f32_e32 v55, s2, v11
	;; [unrolled: 1-line block ×4, first 2 shown]
	s_and_saveexec_b32 s14, vcc_lo
	s_cbranch_execz .LBB177_354
; %bb.353:                              ;   in Loop: Header=BB177_286 Depth=1
	v_cmp_gt_i32_e64 s0, s11, v49
	v_cndmask_b32_e64 v55, 0, v55, s0
	v_cmp_gt_i32_e64 s0, s11, v51
	v_cndmask_b32_e64 v54, 0, v54, s0
	;; [unrolled: 2-line block ×4, first 2 shown]
.LBB177_354:                            ;   in Loop: Header=BB177_286 Depth=1
	s_or_b32 exec_lo, exec_lo, s14
	global_load_dword v56, v[15:16], off offset:256
	v_mov_b32_e32 v19, 0
	v_mov_b32_e32 v17, 0
	;; [unrolled: 1-line block ×4, first 2 shown]
	s_waitcnt vmcnt(0)
	v_cmp_ne_u16_sdwa s0, v56, v6 src0_sel:BYTE_0 src1_sel:DWORD
	s_and_saveexec_b32 s14, s0
	s_cbranch_execz .LBB177_362
; %bb.355:                              ;   in Loop: Header=BB177_286 Depth=1
	v_bfrev_b32_e32 v17, 1
	v_mov_b32_e32 v18, 0
	v_cmp_ne_u16_sdwa s0, v56, v38 src0_sel:BYTE_0 src1_sel:DWORD
	s_and_saveexec_b32 s15, s0
	s_cbranch_execz .LBB177_361
; %bb.356:                              ;   in Loop: Header=BB177_286 Depth=1
	v_mov_b32_e32 v17, 0x7f800001
	v_and_b32_e32 v13, 0x7f, v56
	v_mov_b32_e32 v18, 0
	s_mov_b32 s16, exec_lo
	v_cmpx_ne_u32_e32 0x7f, v13
	s_cbranch_execz .LBB177_360
; %bb.357:                              ;   in Loop: Header=BB177_286 Depth=1
	v_and_b32_e32 v5, 7, v56
	v_lshrrev_b32_e32 v11, 3, v13
	s_mov_b32 s17, exec_lo
	v_cmpx_gt_u32_e32 8, v13
; %bb.358:                              ;   in Loop: Header=BB177_286 Depth=1
	v_ffbh_u32_e32 v11, v5
	v_min_u32_e32 v11, 32, v11
	v_subrev_nc_u32_e32 v13, 28, v11
	v_sub_nc_u32_e32 v11, 29, v11
	v_lshlrev_b64 v[17:18], v13, v[5:6]
	v_and_b32_e32 v5, 7, v17
; %bb.359:                              ;   in Loop: Header=BB177_286 Depth=1
	s_or_b32 exec_lo, exec_lo, s17
	v_lshlrev_b32_e32 v13, 24, v56
	v_lshlrev_b32_e32 v5, 20, v5
	v_lshl_add_u32 v11, v11, 23, 0x3c000000
	v_and_b32_e32 v13, 0x80000000, v13
	v_or3_b32 v5, v5, v13, v11
	v_mov_b32_e32 v18, v6
	v_mov_b32_e32 v17, v5
.LBB177_360:                            ;   in Loop: Header=BB177_286 Depth=1
	s_or_b32 exec_lo, exec_lo, s16
.LBB177_361:                            ;   in Loop: Header=BB177_286 Depth=1
	s_or_b32 exec_lo, exec_lo, s15
.LBB177_362:                            ;   in Loop: Header=BB177_286 Depth=1
	s_or_b32 exec_lo, exec_lo, s14
	v_cmp_ne_u16_sdwa s0, v56, v6 src0_sel:BYTE_1 src1_sel:DWORD
	s_and_saveexec_b32 s14, s0
	s_cbranch_execz .LBB177_370
; %bb.363:                              ;   in Loop: Header=BB177_286 Depth=1
	v_mov_b32_e32 v11, v6
	v_mov_b32_e32 v20, v12
	v_cmp_ne_u16_sdwa s0, v56, v38 src0_sel:BYTE_1 src1_sel:DWORD
	v_mov_b32_e32 v19, v11
	s_and_saveexec_b32 s15, s0
	s_cbranch_execz .LBB177_369
; %bb.364:                              ;   in Loop: Header=BB177_286 Depth=1
	v_and_b32_sdwa v5, v39, v56 dst_sel:DWORD dst_unused:UNUSED_PAD src0_sel:DWORD src1_sel:BYTE_1
	v_mov_b32_e32 v13, v6
	v_mov_b32_e32 v20, v14
	s_mov_b32 s16, exec_lo
	v_and_b32_e32 v21, 0x7f, v5
	v_mov_b32_e32 v19, v13
	v_cmpx_ne_u32_e32 0x7f, v21
	s_cbranch_execz .LBB177_368
; %bb.365:                              ;   in Loop: Header=BB177_286 Depth=1
	v_and_b32_e32 v5, 7, v5
	v_lshrrev_b32_e32 v11, 3, v21
	s_mov_b32 s17, exec_lo
	v_cmpx_gt_u32_e32 8, v21
; %bb.366:                              ;   in Loop: Header=BB177_286 Depth=1
	v_ffbh_u32_e32 v11, v5
	v_min_u32_e32 v11, 32, v11
	v_subrev_nc_u32_e32 v13, 28, v11
	v_sub_nc_u32_e32 v11, 29, v11
	v_lshlrev_b64 v[19:20], v13, v[5:6]
	v_and_b32_e32 v5, 7, v19
; %bb.367:                              ;   in Loop: Header=BB177_286 Depth=1
	s_or_b32 exec_lo, exec_lo, s17
	v_lshlrev_b32_e32 v13, 16, v56
	v_lshlrev_b32_e32 v5, 20, v5
	v_lshl_add_u32 v11, v11, 23, 0x3c000000
	v_mov_b32_e32 v19, v6
	v_and_b32_e32 v13, 0x80000000, v13
	v_or3_b32 v20, v5, v13, v11
.LBB177_368:                            ;   in Loop: Header=BB177_286 Depth=1
	s_or_b32 exec_lo, exec_lo, s16
.LBB177_369:                            ;   in Loop: Header=BB177_286 Depth=1
	s_or_b32 exec_lo, exec_lo, s15
.LBB177_370:                            ;   in Loop: Header=BB177_286 Depth=1
	s_or_b32 exec_lo, exec_lo, s14
	v_mov_b32_e32 v23, 0
	v_mov_b32_e32 v21, 0
	v_and_b32_sdwa v5, v56, v40 dst_sel:DWORD dst_unused:UNUSED_PAD src0_sel:WORD_1 src1_sel:DWORD
	v_mov_b32_e32 v24, 0
	v_mov_b32_e32 v22, 0
	s_mov_b32 s14, exec_lo
	v_cmpx_ne_u16_e32 0, v5
	s_cbranch_execz .LBB177_378
; %bb.371:                              ;   in Loop: Header=BB177_286 Depth=1
	v_bfrev_b32_e32 v21, 1
	v_mov_b32_e32 v22, 0
	s_mov_b32 s15, exec_lo
	v_cmpx_ne_u16_e32 0x80, v5
	s_cbranch_execz .LBB177_377
; %bb.372:                              ;   in Loop: Header=BB177_286 Depth=1
	v_mov_b32_e32 v21, 0x7f800001
	v_bfe_u32 v13, v56, 16, 7
	v_mov_b32_e32 v22, 0
	s_mov_b32 s16, exec_lo
	v_cmpx_ne_u32_e32 0x7f, v13
	s_cbranch_execz .LBB177_376
; %bb.373:                              ;   in Loop: Header=BB177_286 Depth=1
	v_and_b32_sdwa v5, v56, v42 dst_sel:DWORD dst_unused:UNUSED_PAD src0_sel:WORD_1 src1_sel:DWORD
	v_lshrrev_b32_e32 v11, 3, v13
	s_mov_b32 s17, exec_lo
	v_cmpx_gt_u32_e32 8, v13
; %bb.374:                              ;   in Loop: Header=BB177_286 Depth=1
	v_ffbh_u32_e32 v11, v5
	v_min_u32_e32 v11, 32, v11
	v_subrev_nc_u32_e32 v13, 28, v11
	v_sub_nc_u32_e32 v11, 29, v11
	v_lshlrev_b64 v[21:22], v13, v[5:6]
	v_and_b32_e32 v5, 7, v21
; %bb.375:                              ;   in Loop: Header=BB177_286 Depth=1
	s_or_b32 exec_lo, exec_lo, s17
	v_lshlrev_b32_sdwa v13, v43, v56 dst_sel:DWORD dst_unused:UNUSED_PAD src0_sel:DWORD src1_sel:WORD_1
	v_lshlrev_b32_e32 v5, 20, v5
	v_lshl_add_u32 v11, v11, 23, 0x3c000000
	v_and_b32_e32 v13, 0x80000000, v13
	v_or3_b32 v5, v5, v13, v11
	v_mov_b32_e32 v22, v6
	v_mov_b32_e32 v21, v5
.LBB177_376:                            ;   in Loop: Header=BB177_286 Depth=1
	s_or_b32 exec_lo, exec_lo, s16
.LBB177_377:                            ;   in Loop: Header=BB177_286 Depth=1
	s_or_b32 exec_lo, exec_lo, s15
.LBB177_378:                            ;   in Loop: Header=BB177_286 Depth=1
	s_or_b32 exec_lo, exec_lo, s14
	s_mov_b32 s14, exec_lo
	v_cmpx_lt_u32_e32 0xffffff, v56
	s_cbranch_execz .LBB177_386
; %bb.379:                              ;   in Loop: Header=BB177_286 Depth=1
	v_mov_b32_e32 v11, v6
	v_mov_b32_e32 v24, v12
	v_cmp_ne_u32_sdwa s0, v56, v38 src0_sel:BYTE_3 src1_sel:DWORD
	v_mov_b32_e32 v23, v11
	s_and_saveexec_b32 s15, s0
	s_cbranch_execz .LBB177_385
; %bb.380:                              ;   in Loop: Header=BB177_286 Depth=1
	v_mov_b32_e32 v13, v6
	v_mov_b32_e32 v24, v14
	v_bfe_u32 v57, v56, 24, 7
	s_mov_b32 s16, exec_lo
	v_mov_b32_e32 v23, v13
	v_cmpx_ne_u32_e32 0x7f, v57
	s_cbranch_execz .LBB177_384
; %bb.381:                              ;   in Loop: Header=BB177_286 Depth=1
	v_and_b32_sdwa v5, v56, v42 dst_sel:DWORD dst_unused:UNUSED_PAD src0_sel:BYTE_3 src1_sel:DWORD
	v_lshrrev_b32_e32 v11, 3, v57
	s_mov_b32 s17, exec_lo
	v_cmpx_gt_u32_e32 8, v57
; %bb.382:                              ;   in Loop: Header=BB177_286 Depth=1
	v_ffbh_u32_e32 v11, v5
	v_min_u32_e32 v11, 32, v11
	v_subrev_nc_u32_e32 v13, 28, v11
	v_sub_nc_u32_e32 v11, 29, v11
	v_lshlrev_b64 v[23:24], v13, v[5:6]
	v_and_b32_e32 v5, 7, v23
; %bb.383:                              ;   in Loop: Header=BB177_286 Depth=1
	s_or_b32 exec_lo, exec_lo, s17
	v_lshlrev_b32_sdwa v13, v43, v56 dst_sel:DWORD dst_unused:UNUSED_PAD src0_sel:DWORD src1_sel:BYTE_3
	v_lshlrev_b32_e32 v5, 20, v5
	v_lshl_add_u32 v11, v11, 23, 0x3c000000
	v_mov_b32_e32 v23, v6
	v_and_b32_e32 v13, 0x80000000, v13
	v_or3_b32 v24, v5, v13, v11
.LBB177_384:                            ;   in Loop: Header=BB177_286 Depth=1
	s_or_b32 exec_lo, exec_lo, s16
.LBB177_385:                            ;   in Loop: Header=BB177_286 Depth=1
	s_or_b32 exec_lo, exec_lo, s15
.LBB177_386:                            ;   in Loop: Header=BB177_286 Depth=1
	s_or_b32 exec_lo, exec_lo, s14
	v_or_b32_e32 v5, v20, v18
	v_or_b32_e32 v11, v19, v17
	;; [unrolled: 1-line block ×4, first 2 shown]
	v_mul_f32_e32 v58, s13, v5
	v_mul_f32_e32 v59, s2, v11
	;; [unrolled: 1-line block ×4, first 2 shown]
	s_and_saveexec_b32 s14, vcc_lo
	s_cbranch_execz .LBB177_388
; %bb.387:                              ;   in Loop: Header=BB177_286 Depth=1
	v_cmp_gt_i32_e64 s0, s11, v49
	v_cndmask_b32_e64 v59, 0, v59, s0
	v_cmp_gt_i32_e64 s0, s11, v51
	v_cndmask_b32_e64 v58, 0, v58, s0
	;; [unrolled: 2-line block ×4, first 2 shown]
.LBB177_388:                            ;   in Loop: Header=BB177_286 Depth=1
	s_or_b32 exec_lo, exec_lo, s14
	global_load_dword v60, v[15:16], off offset:384
	v_mov_b32_e32 v19, 0
	v_mov_b32_e32 v17, 0
	;; [unrolled: 1-line block ×4, first 2 shown]
	s_waitcnt vmcnt(0)
	v_cmp_ne_u16_sdwa s0, v60, v6 src0_sel:BYTE_0 src1_sel:DWORD
	s_and_saveexec_b32 s14, s0
	s_cbranch_execz .LBB177_396
; %bb.389:                              ;   in Loop: Header=BB177_286 Depth=1
	v_bfrev_b32_e32 v17, 1
	v_mov_b32_e32 v18, 0
	v_cmp_ne_u16_sdwa s0, v60, v38 src0_sel:BYTE_0 src1_sel:DWORD
	s_and_saveexec_b32 s15, s0
	s_cbranch_execz .LBB177_395
; %bb.390:                              ;   in Loop: Header=BB177_286 Depth=1
	v_mov_b32_e32 v17, 0x7f800001
	v_and_b32_e32 v13, 0x7f, v60
	v_mov_b32_e32 v18, 0
	s_mov_b32 s16, exec_lo
	v_cmpx_ne_u32_e32 0x7f, v13
	s_cbranch_execz .LBB177_394
; %bb.391:                              ;   in Loop: Header=BB177_286 Depth=1
	v_and_b32_e32 v5, 7, v60
	v_lshrrev_b32_e32 v11, 3, v13
	s_mov_b32 s17, exec_lo
	v_cmpx_gt_u32_e32 8, v13
; %bb.392:                              ;   in Loop: Header=BB177_286 Depth=1
	v_ffbh_u32_e32 v11, v5
	v_min_u32_e32 v11, 32, v11
	v_subrev_nc_u32_e32 v13, 28, v11
	v_sub_nc_u32_e32 v11, 29, v11
	v_lshlrev_b64 v[17:18], v13, v[5:6]
	v_and_b32_e32 v5, 7, v17
; %bb.393:                              ;   in Loop: Header=BB177_286 Depth=1
	s_or_b32 exec_lo, exec_lo, s17
	v_lshlrev_b32_e32 v13, 24, v60
	v_lshlrev_b32_e32 v5, 20, v5
	v_lshl_add_u32 v11, v11, 23, 0x3c000000
	v_and_b32_e32 v13, 0x80000000, v13
	v_or3_b32 v5, v5, v13, v11
	v_mov_b32_e32 v18, v6
	v_mov_b32_e32 v17, v5
.LBB177_394:                            ;   in Loop: Header=BB177_286 Depth=1
	s_or_b32 exec_lo, exec_lo, s16
.LBB177_395:                            ;   in Loop: Header=BB177_286 Depth=1
	s_or_b32 exec_lo, exec_lo, s15
.LBB177_396:                            ;   in Loop: Header=BB177_286 Depth=1
	s_or_b32 exec_lo, exec_lo, s14
	v_cmp_ne_u16_sdwa s0, v60, v6 src0_sel:BYTE_1 src1_sel:DWORD
	s_and_saveexec_b32 s14, s0
	s_cbranch_execz .LBB177_404
; %bb.397:                              ;   in Loop: Header=BB177_286 Depth=1
	v_mov_b32_e32 v11, v6
	v_mov_b32_e32 v20, v12
	v_cmp_ne_u16_sdwa s0, v60, v38 src0_sel:BYTE_1 src1_sel:DWORD
	v_mov_b32_e32 v19, v11
	s_and_saveexec_b32 s15, s0
	s_cbranch_execz .LBB177_403
; %bb.398:                              ;   in Loop: Header=BB177_286 Depth=1
	v_and_b32_sdwa v5, v39, v60 dst_sel:DWORD dst_unused:UNUSED_PAD src0_sel:DWORD src1_sel:BYTE_1
	v_mov_b32_e32 v13, v6
	v_mov_b32_e32 v20, v14
	s_mov_b32 s16, exec_lo
	v_and_b32_e32 v21, 0x7f, v5
	v_mov_b32_e32 v19, v13
	v_cmpx_ne_u32_e32 0x7f, v21
	s_cbranch_execz .LBB177_402
; %bb.399:                              ;   in Loop: Header=BB177_286 Depth=1
	v_and_b32_e32 v5, 7, v5
	v_lshrrev_b32_e32 v11, 3, v21
	s_mov_b32 s17, exec_lo
	v_cmpx_gt_u32_e32 8, v21
; %bb.400:                              ;   in Loop: Header=BB177_286 Depth=1
	v_ffbh_u32_e32 v11, v5
	v_min_u32_e32 v11, 32, v11
	v_subrev_nc_u32_e32 v13, 28, v11
	v_sub_nc_u32_e32 v11, 29, v11
	v_lshlrev_b64 v[19:20], v13, v[5:6]
	v_and_b32_e32 v5, 7, v19
; %bb.401:                              ;   in Loop: Header=BB177_286 Depth=1
	s_or_b32 exec_lo, exec_lo, s17
	v_lshlrev_b32_e32 v13, 16, v60
	v_lshlrev_b32_e32 v5, 20, v5
	v_lshl_add_u32 v11, v11, 23, 0x3c000000
	v_mov_b32_e32 v19, v6
	v_and_b32_e32 v13, 0x80000000, v13
	v_or3_b32 v20, v5, v13, v11
.LBB177_402:                            ;   in Loop: Header=BB177_286 Depth=1
	s_or_b32 exec_lo, exec_lo, s16
.LBB177_403:                            ;   in Loop: Header=BB177_286 Depth=1
	s_or_b32 exec_lo, exec_lo, s15
.LBB177_404:                            ;   in Loop: Header=BB177_286 Depth=1
	s_or_b32 exec_lo, exec_lo, s14
	v_mov_b32_e32 v23, 0
	v_mov_b32_e32 v21, 0
	v_and_b32_sdwa v5, v60, v40 dst_sel:DWORD dst_unused:UNUSED_PAD src0_sel:WORD_1 src1_sel:DWORD
	v_mov_b32_e32 v24, 0
	v_mov_b32_e32 v22, 0
	s_mov_b32 s14, exec_lo
	v_cmpx_ne_u16_e32 0, v5
	s_cbranch_execz .LBB177_412
; %bb.405:                              ;   in Loop: Header=BB177_286 Depth=1
	v_bfrev_b32_e32 v21, 1
	v_mov_b32_e32 v22, 0
	s_mov_b32 s15, exec_lo
	v_cmpx_ne_u16_e32 0x80, v5
	s_cbranch_execz .LBB177_411
; %bb.406:                              ;   in Loop: Header=BB177_286 Depth=1
	v_mov_b32_e32 v21, 0x7f800001
	v_bfe_u32 v13, v60, 16, 7
	v_mov_b32_e32 v22, 0
	s_mov_b32 s16, exec_lo
	v_cmpx_ne_u32_e32 0x7f, v13
	s_cbranch_execz .LBB177_410
; %bb.407:                              ;   in Loop: Header=BB177_286 Depth=1
	v_and_b32_sdwa v5, v60, v42 dst_sel:DWORD dst_unused:UNUSED_PAD src0_sel:WORD_1 src1_sel:DWORD
	v_lshrrev_b32_e32 v11, 3, v13
	s_mov_b32 s17, exec_lo
	v_cmpx_gt_u32_e32 8, v13
; %bb.408:                              ;   in Loop: Header=BB177_286 Depth=1
	v_ffbh_u32_e32 v11, v5
	v_min_u32_e32 v11, 32, v11
	v_subrev_nc_u32_e32 v13, 28, v11
	v_sub_nc_u32_e32 v11, 29, v11
	v_lshlrev_b64 v[21:22], v13, v[5:6]
	v_and_b32_e32 v5, 7, v21
; %bb.409:                              ;   in Loop: Header=BB177_286 Depth=1
	s_or_b32 exec_lo, exec_lo, s17
	v_lshlrev_b32_sdwa v13, v43, v60 dst_sel:DWORD dst_unused:UNUSED_PAD src0_sel:DWORD src1_sel:WORD_1
	v_lshlrev_b32_e32 v5, 20, v5
	v_lshl_add_u32 v11, v11, 23, 0x3c000000
	v_and_b32_e32 v13, 0x80000000, v13
	v_or3_b32 v5, v5, v13, v11
	v_mov_b32_e32 v22, v6
	v_mov_b32_e32 v21, v5
.LBB177_410:                            ;   in Loop: Header=BB177_286 Depth=1
	s_or_b32 exec_lo, exec_lo, s16
.LBB177_411:                            ;   in Loop: Header=BB177_286 Depth=1
	s_or_b32 exec_lo, exec_lo, s15
.LBB177_412:                            ;   in Loop: Header=BB177_286 Depth=1
	s_or_b32 exec_lo, exec_lo, s14
	s_mov_b32 s14, exec_lo
	v_cmpx_lt_u32_e32 0xffffff, v60
	s_cbranch_execz .LBB177_420
; %bb.413:                              ;   in Loop: Header=BB177_286 Depth=1
	v_mov_b32_e32 v11, v6
	v_mov_b32_e32 v24, v12
	v_cmp_ne_u32_sdwa s0, v60, v38 src0_sel:BYTE_3 src1_sel:DWORD
	v_mov_b32_e32 v23, v11
	s_and_saveexec_b32 s15, s0
	s_cbranch_execz .LBB177_419
; %bb.414:                              ;   in Loop: Header=BB177_286 Depth=1
	v_mov_b32_e32 v13, v6
	v_mov_b32_e32 v24, v14
	v_bfe_u32 v61, v60, 24, 7
	s_mov_b32 s16, exec_lo
	v_mov_b32_e32 v23, v13
	v_cmpx_ne_u32_e32 0x7f, v61
	s_cbranch_execz .LBB177_418
; %bb.415:                              ;   in Loop: Header=BB177_286 Depth=1
	v_and_b32_sdwa v5, v60, v42 dst_sel:DWORD dst_unused:UNUSED_PAD src0_sel:BYTE_3 src1_sel:DWORD
	v_lshrrev_b32_e32 v11, 3, v61
	s_mov_b32 s17, exec_lo
	v_cmpx_gt_u32_e32 8, v61
; %bb.416:                              ;   in Loop: Header=BB177_286 Depth=1
	v_ffbh_u32_e32 v11, v5
	v_min_u32_e32 v11, 32, v11
	v_subrev_nc_u32_e32 v13, 28, v11
	v_sub_nc_u32_e32 v11, 29, v11
	v_lshlrev_b64 v[23:24], v13, v[5:6]
	v_and_b32_e32 v5, 7, v23
; %bb.417:                              ;   in Loop: Header=BB177_286 Depth=1
	s_or_b32 exec_lo, exec_lo, s17
	v_lshlrev_b32_sdwa v13, v43, v60 dst_sel:DWORD dst_unused:UNUSED_PAD src0_sel:DWORD src1_sel:BYTE_3
	v_lshlrev_b32_e32 v5, 20, v5
	v_lshl_add_u32 v11, v11, 23, 0x3c000000
	v_mov_b32_e32 v23, v6
	v_and_b32_e32 v13, 0x80000000, v13
	v_or3_b32 v24, v5, v13, v11
.LBB177_418:                            ;   in Loop: Header=BB177_286 Depth=1
	s_or_b32 exec_lo, exec_lo, s16
.LBB177_419:                            ;   in Loop: Header=BB177_286 Depth=1
	s_or_b32 exec_lo, exec_lo, s15
.LBB177_420:                            ;   in Loop: Header=BB177_286 Depth=1
	s_or_b32 exec_lo, exec_lo, s14
	v_or_b32_e32 v5, v20, v18
	v_or_b32_e32 v11, v19, v17
	;; [unrolled: 1-line block ×4, first 2 shown]
	v_mul_f32_e32 v62, s13, v5
	v_mul_f32_e32 v63, s2, v11
	;; [unrolled: 1-line block ×4, first 2 shown]
	s_and_saveexec_b32 s14, vcc_lo
	s_cbranch_execz .LBB177_422
; %bb.421:                              ;   in Loop: Header=BB177_286 Depth=1
	v_cmp_gt_i32_e64 s0, s11, v49
	v_cndmask_b32_e64 v63, 0, v63, s0
	v_cmp_gt_i32_e64 s0, s11, v51
	v_cndmask_b32_e64 v62, 0, v62, s0
	;; [unrolled: 2-line block ×4, first 2 shown]
.LBB177_422:                            ;   in Loop: Header=BB177_286 Depth=1
	s_or_b32 exec_lo, exec_lo, s14
	global_load_dword v64, v[15:16], off offset:512
	v_mov_b32_e32 v19, 0
	v_mov_b32_e32 v17, 0
	;; [unrolled: 1-line block ×4, first 2 shown]
	s_waitcnt vmcnt(0)
	v_cmp_ne_u16_sdwa s0, v64, v6 src0_sel:BYTE_0 src1_sel:DWORD
	s_and_saveexec_b32 s14, s0
	s_cbranch_execz .LBB177_430
; %bb.423:                              ;   in Loop: Header=BB177_286 Depth=1
	v_bfrev_b32_e32 v17, 1
	v_mov_b32_e32 v18, 0
	v_cmp_ne_u16_sdwa s0, v64, v38 src0_sel:BYTE_0 src1_sel:DWORD
	s_and_saveexec_b32 s15, s0
	s_cbranch_execz .LBB177_429
; %bb.424:                              ;   in Loop: Header=BB177_286 Depth=1
	v_mov_b32_e32 v17, 0x7f800001
	v_and_b32_e32 v13, 0x7f, v64
	v_mov_b32_e32 v18, 0
	s_mov_b32 s16, exec_lo
	v_cmpx_ne_u32_e32 0x7f, v13
	s_cbranch_execz .LBB177_428
; %bb.425:                              ;   in Loop: Header=BB177_286 Depth=1
	v_and_b32_e32 v5, 7, v64
	v_lshrrev_b32_e32 v11, 3, v13
	s_mov_b32 s17, exec_lo
	v_cmpx_gt_u32_e32 8, v13
; %bb.426:                              ;   in Loop: Header=BB177_286 Depth=1
	v_ffbh_u32_e32 v11, v5
	v_min_u32_e32 v11, 32, v11
	v_subrev_nc_u32_e32 v13, 28, v11
	v_sub_nc_u32_e32 v11, 29, v11
	v_lshlrev_b64 v[17:18], v13, v[5:6]
	v_and_b32_e32 v5, 7, v17
; %bb.427:                              ;   in Loop: Header=BB177_286 Depth=1
	s_or_b32 exec_lo, exec_lo, s17
	v_lshlrev_b32_e32 v13, 24, v64
	v_lshlrev_b32_e32 v5, 20, v5
	v_lshl_add_u32 v11, v11, 23, 0x3c000000
	v_and_b32_e32 v13, 0x80000000, v13
	v_or3_b32 v5, v5, v13, v11
	v_mov_b32_e32 v18, v6
	v_mov_b32_e32 v17, v5
.LBB177_428:                            ;   in Loop: Header=BB177_286 Depth=1
	s_or_b32 exec_lo, exec_lo, s16
.LBB177_429:                            ;   in Loop: Header=BB177_286 Depth=1
	s_or_b32 exec_lo, exec_lo, s15
.LBB177_430:                            ;   in Loop: Header=BB177_286 Depth=1
	s_or_b32 exec_lo, exec_lo, s14
	v_cmp_ne_u16_sdwa s0, v64, v6 src0_sel:BYTE_1 src1_sel:DWORD
	s_and_saveexec_b32 s14, s0
	s_cbranch_execz .LBB177_438
; %bb.431:                              ;   in Loop: Header=BB177_286 Depth=1
	v_mov_b32_e32 v11, v6
	v_mov_b32_e32 v20, v12
	v_cmp_ne_u16_sdwa s0, v64, v38 src0_sel:BYTE_1 src1_sel:DWORD
	v_mov_b32_e32 v19, v11
	s_and_saveexec_b32 s15, s0
	s_cbranch_execz .LBB177_437
; %bb.432:                              ;   in Loop: Header=BB177_286 Depth=1
	v_and_b32_sdwa v5, v39, v64 dst_sel:DWORD dst_unused:UNUSED_PAD src0_sel:DWORD src1_sel:BYTE_1
	v_mov_b32_e32 v13, v6
	v_mov_b32_e32 v20, v14
	s_mov_b32 s16, exec_lo
	v_and_b32_e32 v21, 0x7f, v5
	v_mov_b32_e32 v19, v13
	v_cmpx_ne_u32_e32 0x7f, v21
	s_cbranch_execz .LBB177_436
; %bb.433:                              ;   in Loop: Header=BB177_286 Depth=1
	v_and_b32_e32 v5, 7, v5
	v_lshrrev_b32_e32 v11, 3, v21
	s_mov_b32 s17, exec_lo
	v_cmpx_gt_u32_e32 8, v21
; %bb.434:                              ;   in Loop: Header=BB177_286 Depth=1
	v_ffbh_u32_e32 v11, v5
	v_min_u32_e32 v11, 32, v11
	v_subrev_nc_u32_e32 v13, 28, v11
	v_sub_nc_u32_e32 v11, 29, v11
	v_lshlrev_b64 v[19:20], v13, v[5:6]
	v_and_b32_e32 v5, 7, v19
; %bb.435:                              ;   in Loop: Header=BB177_286 Depth=1
	s_or_b32 exec_lo, exec_lo, s17
	v_lshlrev_b32_e32 v13, 16, v64
	v_lshlrev_b32_e32 v5, 20, v5
	v_lshl_add_u32 v11, v11, 23, 0x3c000000
	v_mov_b32_e32 v19, v6
	v_and_b32_e32 v13, 0x80000000, v13
	v_or3_b32 v20, v5, v13, v11
.LBB177_436:                            ;   in Loop: Header=BB177_286 Depth=1
	s_or_b32 exec_lo, exec_lo, s16
.LBB177_437:                            ;   in Loop: Header=BB177_286 Depth=1
	s_or_b32 exec_lo, exec_lo, s15
.LBB177_438:                            ;   in Loop: Header=BB177_286 Depth=1
	s_or_b32 exec_lo, exec_lo, s14
	v_mov_b32_e32 v23, 0
	v_mov_b32_e32 v21, 0
	v_and_b32_sdwa v5, v64, v40 dst_sel:DWORD dst_unused:UNUSED_PAD src0_sel:WORD_1 src1_sel:DWORD
	v_mov_b32_e32 v24, 0
	v_mov_b32_e32 v22, 0
	s_mov_b32 s14, exec_lo
	v_cmpx_ne_u16_e32 0, v5
	s_cbranch_execz .LBB177_446
; %bb.439:                              ;   in Loop: Header=BB177_286 Depth=1
	v_bfrev_b32_e32 v21, 1
	v_mov_b32_e32 v22, 0
	s_mov_b32 s15, exec_lo
	v_cmpx_ne_u16_e32 0x80, v5
	s_cbranch_execz .LBB177_445
; %bb.440:                              ;   in Loop: Header=BB177_286 Depth=1
	v_mov_b32_e32 v21, 0x7f800001
	v_bfe_u32 v13, v64, 16, 7
	v_mov_b32_e32 v22, 0
	s_mov_b32 s16, exec_lo
	v_cmpx_ne_u32_e32 0x7f, v13
	s_cbranch_execz .LBB177_444
; %bb.441:                              ;   in Loop: Header=BB177_286 Depth=1
	v_and_b32_sdwa v5, v64, v42 dst_sel:DWORD dst_unused:UNUSED_PAD src0_sel:WORD_1 src1_sel:DWORD
	v_lshrrev_b32_e32 v11, 3, v13
	s_mov_b32 s17, exec_lo
	v_cmpx_gt_u32_e32 8, v13
; %bb.442:                              ;   in Loop: Header=BB177_286 Depth=1
	v_ffbh_u32_e32 v11, v5
	v_min_u32_e32 v11, 32, v11
	v_subrev_nc_u32_e32 v13, 28, v11
	v_sub_nc_u32_e32 v11, 29, v11
	v_lshlrev_b64 v[21:22], v13, v[5:6]
	v_and_b32_e32 v5, 7, v21
; %bb.443:                              ;   in Loop: Header=BB177_286 Depth=1
	s_or_b32 exec_lo, exec_lo, s17
	v_lshlrev_b32_sdwa v13, v43, v64 dst_sel:DWORD dst_unused:UNUSED_PAD src0_sel:DWORD src1_sel:WORD_1
	v_lshlrev_b32_e32 v5, 20, v5
	v_lshl_add_u32 v11, v11, 23, 0x3c000000
	v_and_b32_e32 v13, 0x80000000, v13
	v_or3_b32 v5, v5, v13, v11
	v_mov_b32_e32 v22, v6
	v_mov_b32_e32 v21, v5
.LBB177_444:                            ;   in Loop: Header=BB177_286 Depth=1
	s_or_b32 exec_lo, exec_lo, s16
.LBB177_445:                            ;   in Loop: Header=BB177_286 Depth=1
	s_or_b32 exec_lo, exec_lo, s15
.LBB177_446:                            ;   in Loop: Header=BB177_286 Depth=1
	s_or_b32 exec_lo, exec_lo, s14
	s_mov_b32 s14, exec_lo
	v_cmpx_lt_u32_e32 0xffffff, v64
	s_cbranch_execz .LBB177_454
; %bb.447:                              ;   in Loop: Header=BB177_286 Depth=1
	v_mov_b32_e32 v11, v6
	v_mov_b32_e32 v24, v12
	v_cmp_ne_u32_sdwa s0, v64, v38 src0_sel:BYTE_3 src1_sel:DWORD
	v_mov_b32_e32 v23, v11
	s_and_saveexec_b32 s15, s0
	s_cbranch_execz .LBB177_453
; %bb.448:                              ;   in Loop: Header=BB177_286 Depth=1
	v_mov_b32_e32 v13, v6
	v_mov_b32_e32 v24, v14
	v_bfe_u32 v65, v64, 24, 7
	s_mov_b32 s16, exec_lo
	v_mov_b32_e32 v23, v13
	v_cmpx_ne_u32_e32 0x7f, v65
	s_cbranch_execz .LBB177_452
; %bb.449:                              ;   in Loop: Header=BB177_286 Depth=1
	v_and_b32_sdwa v5, v64, v42 dst_sel:DWORD dst_unused:UNUSED_PAD src0_sel:BYTE_3 src1_sel:DWORD
	v_lshrrev_b32_e32 v11, 3, v65
	s_mov_b32 s17, exec_lo
	v_cmpx_gt_u32_e32 8, v65
; %bb.450:                              ;   in Loop: Header=BB177_286 Depth=1
	v_ffbh_u32_e32 v11, v5
	v_min_u32_e32 v11, 32, v11
	v_subrev_nc_u32_e32 v13, 28, v11
	v_sub_nc_u32_e32 v11, 29, v11
	v_lshlrev_b64 v[23:24], v13, v[5:6]
	v_and_b32_e32 v5, 7, v23
; %bb.451:                              ;   in Loop: Header=BB177_286 Depth=1
	s_or_b32 exec_lo, exec_lo, s17
	v_lshlrev_b32_sdwa v13, v43, v64 dst_sel:DWORD dst_unused:UNUSED_PAD src0_sel:DWORD src1_sel:BYTE_3
	v_lshlrev_b32_e32 v5, 20, v5
	v_lshl_add_u32 v11, v11, 23, 0x3c000000
	v_mov_b32_e32 v23, v6
	v_and_b32_e32 v13, 0x80000000, v13
	v_or3_b32 v24, v5, v13, v11
.LBB177_452:                            ;   in Loop: Header=BB177_286 Depth=1
	s_or_b32 exec_lo, exec_lo, s16
.LBB177_453:                            ;   in Loop: Header=BB177_286 Depth=1
	s_or_b32 exec_lo, exec_lo, s15
.LBB177_454:                            ;   in Loop: Header=BB177_286 Depth=1
	s_or_b32 exec_lo, exec_lo, s14
	v_or_b32_e32 v5, v20, v18
	v_or_b32_e32 v11, v19, v17
	;; [unrolled: 1-line block ×4, first 2 shown]
	v_mul_f32_e32 v66, s13, v5
	v_mul_f32_e32 v67, s2, v11
	;; [unrolled: 1-line block ×4, first 2 shown]
	s_and_saveexec_b32 s14, vcc_lo
	s_cbranch_execz .LBB177_456
; %bb.455:                              ;   in Loop: Header=BB177_286 Depth=1
	v_cmp_gt_i32_e64 s0, s11, v49
	v_cndmask_b32_e64 v67, 0, v67, s0
	v_cmp_gt_i32_e64 s0, s11, v51
	v_cndmask_b32_e64 v66, 0, v66, s0
	;; [unrolled: 2-line block ×4, first 2 shown]
.LBB177_456:                            ;   in Loop: Header=BB177_286 Depth=1
	s_or_b32 exec_lo, exec_lo, s14
	global_load_dword v68, v[15:16], off offset:640
	v_mov_b32_e32 v19, 0
	v_mov_b32_e32 v17, 0
	;; [unrolled: 1-line block ×4, first 2 shown]
	s_waitcnt vmcnt(0)
	v_cmp_ne_u16_sdwa s0, v68, v6 src0_sel:BYTE_0 src1_sel:DWORD
	s_and_saveexec_b32 s14, s0
	s_cbranch_execz .LBB177_464
; %bb.457:                              ;   in Loop: Header=BB177_286 Depth=1
	v_bfrev_b32_e32 v17, 1
	v_mov_b32_e32 v18, 0
	v_cmp_ne_u16_sdwa s0, v68, v38 src0_sel:BYTE_0 src1_sel:DWORD
	s_and_saveexec_b32 s15, s0
	s_cbranch_execz .LBB177_463
; %bb.458:                              ;   in Loop: Header=BB177_286 Depth=1
	v_mov_b32_e32 v17, 0x7f800001
	v_and_b32_e32 v13, 0x7f, v68
	v_mov_b32_e32 v18, 0
	s_mov_b32 s16, exec_lo
	v_cmpx_ne_u32_e32 0x7f, v13
	s_cbranch_execz .LBB177_462
; %bb.459:                              ;   in Loop: Header=BB177_286 Depth=1
	v_and_b32_e32 v5, 7, v68
	v_lshrrev_b32_e32 v11, 3, v13
	s_mov_b32 s17, exec_lo
	v_cmpx_gt_u32_e32 8, v13
; %bb.460:                              ;   in Loop: Header=BB177_286 Depth=1
	v_ffbh_u32_e32 v11, v5
	v_min_u32_e32 v11, 32, v11
	v_subrev_nc_u32_e32 v13, 28, v11
	v_sub_nc_u32_e32 v11, 29, v11
	v_lshlrev_b64 v[17:18], v13, v[5:6]
	v_and_b32_e32 v5, 7, v17
; %bb.461:                              ;   in Loop: Header=BB177_286 Depth=1
	s_or_b32 exec_lo, exec_lo, s17
	v_lshlrev_b32_e32 v13, 24, v68
	v_lshlrev_b32_e32 v5, 20, v5
	v_lshl_add_u32 v11, v11, 23, 0x3c000000
	v_and_b32_e32 v13, 0x80000000, v13
	v_or3_b32 v5, v5, v13, v11
	v_mov_b32_e32 v18, v6
	v_mov_b32_e32 v17, v5
.LBB177_462:                            ;   in Loop: Header=BB177_286 Depth=1
	s_or_b32 exec_lo, exec_lo, s16
.LBB177_463:                            ;   in Loop: Header=BB177_286 Depth=1
	s_or_b32 exec_lo, exec_lo, s15
.LBB177_464:                            ;   in Loop: Header=BB177_286 Depth=1
	s_or_b32 exec_lo, exec_lo, s14
	v_cmp_ne_u16_sdwa s0, v68, v6 src0_sel:BYTE_1 src1_sel:DWORD
	s_and_saveexec_b32 s14, s0
	s_cbranch_execz .LBB177_472
; %bb.465:                              ;   in Loop: Header=BB177_286 Depth=1
	v_mov_b32_e32 v11, v6
	v_mov_b32_e32 v20, v12
	v_cmp_ne_u16_sdwa s0, v68, v38 src0_sel:BYTE_1 src1_sel:DWORD
	v_mov_b32_e32 v19, v11
	s_and_saveexec_b32 s15, s0
	s_cbranch_execz .LBB177_471
; %bb.466:                              ;   in Loop: Header=BB177_286 Depth=1
	v_and_b32_sdwa v5, v39, v68 dst_sel:DWORD dst_unused:UNUSED_PAD src0_sel:DWORD src1_sel:BYTE_1
	v_mov_b32_e32 v13, v6
	v_mov_b32_e32 v20, v14
	s_mov_b32 s16, exec_lo
	v_and_b32_e32 v21, 0x7f, v5
	v_mov_b32_e32 v19, v13
	v_cmpx_ne_u32_e32 0x7f, v21
	s_cbranch_execz .LBB177_470
; %bb.467:                              ;   in Loop: Header=BB177_286 Depth=1
	v_and_b32_e32 v5, 7, v5
	v_lshrrev_b32_e32 v11, 3, v21
	s_mov_b32 s17, exec_lo
	v_cmpx_gt_u32_e32 8, v21
; %bb.468:                              ;   in Loop: Header=BB177_286 Depth=1
	v_ffbh_u32_e32 v11, v5
	v_min_u32_e32 v11, 32, v11
	v_subrev_nc_u32_e32 v13, 28, v11
	v_sub_nc_u32_e32 v11, 29, v11
	v_lshlrev_b64 v[19:20], v13, v[5:6]
	v_and_b32_e32 v5, 7, v19
; %bb.469:                              ;   in Loop: Header=BB177_286 Depth=1
	s_or_b32 exec_lo, exec_lo, s17
	v_lshlrev_b32_e32 v13, 16, v68
	v_lshlrev_b32_e32 v5, 20, v5
	v_lshl_add_u32 v11, v11, 23, 0x3c000000
	v_mov_b32_e32 v19, v6
	v_and_b32_e32 v13, 0x80000000, v13
	v_or3_b32 v20, v5, v13, v11
.LBB177_470:                            ;   in Loop: Header=BB177_286 Depth=1
	s_or_b32 exec_lo, exec_lo, s16
.LBB177_471:                            ;   in Loop: Header=BB177_286 Depth=1
	s_or_b32 exec_lo, exec_lo, s15
.LBB177_472:                            ;   in Loop: Header=BB177_286 Depth=1
	s_or_b32 exec_lo, exec_lo, s14
	v_mov_b32_e32 v23, 0
	v_mov_b32_e32 v21, 0
	v_and_b32_sdwa v5, v68, v40 dst_sel:DWORD dst_unused:UNUSED_PAD src0_sel:WORD_1 src1_sel:DWORD
	v_mov_b32_e32 v24, 0
	v_mov_b32_e32 v22, 0
	s_mov_b32 s14, exec_lo
	v_cmpx_ne_u16_e32 0, v5
	s_cbranch_execz .LBB177_480
; %bb.473:                              ;   in Loop: Header=BB177_286 Depth=1
	v_bfrev_b32_e32 v21, 1
	v_mov_b32_e32 v22, 0
	s_mov_b32 s15, exec_lo
	v_cmpx_ne_u16_e32 0x80, v5
	s_cbranch_execz .LBB177_479
; %bb.474:                              ;   in Loop: Header=BB177_286 Depth=1
	v_mov_b32_e32 v21, 0x7f800001
	v_bfe_u32 v13, v68, 16, 7
	v_mov_b32_e32 v22, 0
	s_mov_b32 s16, exec_lo
	v_cmpx_ne_u32_e32 0x7f, v13
	s_cbranch_execz .LBB177_478
; %bb.475:                              ;   in Loop: Header=BB177_286 Depth=1
	v_and_b32_sdwa v5, v68, v42 dst_sel:DWORD dst_unused:UNUSED_PAD src0_sel:WORD_1 src1_sel:DWORD
	v_lshrrev_b32_e32 v11, 3, v13
	s_mov_b32 s17, exec_lo
	v_cmpx_gt_u32_e32 8, v13
; %bb.476:                              ;   in Loop: Header=BB177_286 Depth=1
	v_ffbh_u32_e32 v11, v5
	v_min_u32_e32 v11, 32, v11
	v_subrev_nc_u32_e32 v13, 28, v11
	v_sub_nc_u32_e32 v11, 29, v11
	v_lshlrev_b64 v[21:22], v13, v[5:6]
	v_and_b32_e32 v5, 7, v21
; %bb.477:                              ;   in Loop: Header=BB177_286 Depth=1
	s_or_b32 exec_lo, exec_lo, s17
	v_lshlrev_b32_sdwa v13, v43, v68 dst_sel:DWORD dst_unused:UNUSED_PAD src0_sel:DWORD src1_sel:WORD_1
	v_lshlrev_b32_e32 v5, 20, v5
	v_lshl_add_u32 v11, v11, 23, 0x3c000000
	v_and_b32_e32 v13, 0x80000000, v13
	v_or3_b32 v5, v5, v13, v11
	v_mov_b32_e32 v22, v6
	v_mov_b32_e32 v21, v5
.LBB177_478:                            ;   in Loop: Header=BB177_286 Depth=1
	s_or_b32 exec_lo, exec_lo, s16
.LBB177_479:                            ;   in Loop: Header=BB177_286 Depth=1
	s_or_b32 exec_lo, exec_lo, s15
.LBB177_480:                            ;   in Loop: Header=BB177_286 Depth=1
	s_or_b32 exec_lo, exec_lo, s14
	s_mov_b32 s14, exec_lo
	v_cmpx_lt_u32_e32 0xffffff, v68
	s_cbranch_execz .LBB177_488
; %bb.481:                              ;   in Loop: Header=BB177_286 Depth=1
	v_mov_b32_e32 v11, v6
	v_mov_b32_e32 v24, v12
	v_cmp_ne_u32_sdwa s0, v68, v38 src0_sel:BYTE_3 src1_sel:DWORD
	v_mov_b32_e32 v23, v11
	s_and_saveexec_b32 s15, s0
	s_cbranch_execz .LBB177_487
; %bb.482:                              ;   in Loop: Header=BB177_286 Depth=1
	v_mov_b32_e32 v13, v6
	v_mov_b32_e32 v24, v14
	v_bfe_u32 v69, v68, 24, 7
	s_mov_b32 s16, exec_lo
	v_mov_b32_e32 v23, v13
	v_cmpx_ne_u32_e32 0x7f, v69
	s_cbranch_execz .LBB177_486
; %bb.483:                              ;   in Loop: Header=BB177_286 Depth=1
	v_and_b32_sdwa v5, v68, v42 dst_sel:DWORD dst_unused:UNUSED_PAD src0_sel:BYTE_3 src1_sel:DWORD
	v_lshrrev_b32_e32 v11, 3, v69
	s_mov_b32 s17, exec_lo
	v_cmpx_gt_u32_e32 8, v69
; %bb.484:                              ;   in Loop: Header=BB177_286 Depth=1
	v_ffbh_u32_e32 v11, v5
	v_min_u32_e32 v11, 32, v11
	v_subrev_nc_u32_e32 v13, 28, v11
	v_sub_nc_u32_e32 v11, 29, v11
	v_lshlrev_b64 v[23:24], v13, v[5:6]
	v_and_b32_e32 v5, 7, v23
; %bb.485:                              ;   in Loop: Header=BB177_286 Depth=1
	s_or_b32 exec_lo, exec_lo, s17
	v_lshlrev_b32_sdwa v13, v43, v68 dst_sel:DWORD dst_unused:UNUSED_PAD src0_sel:DWORD src1_sel:BYTE_3
	v_lshlrev_b32_e32 v5, 20, v5
	v_lshl_add_u32 v11, v11, 23, 0x3c000000
	v_mov_b32_e32 v23, v6
	v_and_b32_e32 v13, 0x80000000, v13
	v_or3_b32 v24, v5, v13, v11
.LBB177_486:                            ;   in Loop: Header=BB177_286 Depth=1
	s_or_b32 exec_lo, exec_lo, s16
.LBB177_487:                            ;   in Loop: Header=BB177_286 Depth=1
	s_or_b32 exec_lo, exec_lo, s15
.LBB177_488:                            ;   in Loop: Header=BB177_286 Depth=1
	s_or_b32 exec_lo, exec_lo, s14
	v_or_b32_e32 v5, v20, v18
	v_or_b32_e32 v11, v19, v17
	;; [unrolled: 1-line block ×4, first 2 shown]
	v_mul_f32_e32 v70, s13, v5
	v_mul_f32_e32 v71, s2, v11
	;; [unrolled: 1-line block ×4, first 2 shown]
	s_and_saveexec_b32 s14, vcc_lo
	s_cbranch_execz .LBB177_490
; %bb.489:                              ;   in Loop: Header=BB177_286 Depth=1
	v_cmp_gt_i32_e64 s0, s11, v49
	v_cndmask_b32_e64 v71, 0, v71, s0
	v_cmp_gt_i32_e64 s0, s11, v51
	v_cndmask_b32_e64 v70, 0, v70, s0
	;; [unrolled: 2-line block ×4, first 2 shown]
.LBB177_490:                            ;   in Loop: Header=BB177_286 Depth=1
	s_or_b32 exec_lo, exec_lo, s14
	global_load_dword v72, v[15:16], off offset:768
	v_mov_b32_e32 v19, 0
	v_mov_b32_e32 v17, 0
	;; [unrolled: 1-line block ×4, first 2 shown]
	s_waitcnt vmcnt(0)
	v_cmp_ne_u16_sdwa s0, v72, v6 src0_sel:BYTE_0 src1_sel:DWORD
	s_and_saveexec_b32 s14, s0
	s_cbranch_execz .LBB177_498
; %bb.491:                              ;   in Loop: Header=BB177_286 Depth=1
	v_bfrev_b32_e32 v17, 1
	v_mov_b32_e32 v18, 0
	v_cmp_ne_u16_sdwa s0, v72, v38 src0_sel:BYTE_0 src1_sel:DWORD
	s_and_saveexec_b32 s15, s0
	s_cbranch_execz .LBB177_497
; %bb.492:                              ;   in Loop: Header=BB177_286 Depth=1
	v_mov_b32_e32 v17, 0x7f800001
	v_and_b32_e32 v13, 0x7f, v72
	v_mov_b32_e32 v18, 0
	s_mov_b32 s16, exec_lo
	v_cmpx_ne_u32_e32 0x7f, v13
	s_cbranch_execz .LBB177_496
; %bb.493:                              ;   in Loop: Header=BB177_286 Depth=1
	v_and_b32_e32 v5, 7, v72
	v_lshrrev_b32_e32 v11, 3, v13
	s_mov_b32 s17, exec_lo
	v_cmpx_gt_u32_e32 8, v13
; %bb.494:                              ;   in Loop: Header=BB177_286 Depth=1
	v_ffbh_u32_e32 v11, v5
	v_min_u32_e32 v11, 32, v11
	v_subrev_nc_u32_e32 v13, 28, v11
	v_sub_nc_u32_e32 v11, 29, v11
	v_lshlrev_b64 v[17:18], v13, v[5:6]
	v_and_b32_e32 v5, 7, v17
; %bb.495:                              ;   in Loop: Header=BB177_286 Depth=1
	s_or_b32 exec_lo, exec_lo, s17
	v_lshlrev_b32_e32 v13, 24, v72
	v_lshlrev_b32_e32 v5, 20, v5
	v_lshl_add_u32 v11, v11, 23, 0x3c000000
	v_and_b32_e32 v13, 0x80000000, v13
	v_or3_b32 v5, v5, v13, v11
	v_mov_b32_e32 v18, v6
	v_mov_b32_e32 v17, v5
.LBB177_496:                            ;   in Loop: Header=BB177_286 Depth=1
	s_or_b32 exec_lo, exec_lo, s16
.LBB177_497:                            ;   in Loop: Header=BB177_286 Depth=1
	s_or_b32 exec_lo, exec_lo, s15
.LBB177_498:                            ;   in Loop: Header=BB177_286 Depth=1
	s_or_b32 exec_lo, exec_lo, s14
	v_cmp_ne_u16_sdwa s0, v72, v6 src0_sel:BYTE_1 src1_sel:DWORD
	s_and_saveexec_b32 s14, s0
	s_cbranch_execz .LBB177_506
; %bb.499:                              ;   in Loop: Header=BB177_286 Depth=1
	v_mov_b32_e32 v11, v6
	v_mov_b32_e32 v20, v12
	v_cmp_ne_u16_sdwa s0, v72, v38 src0_sel:BYTE_1 src1_sel:DWORD
	v_mov_b32_e32 v19, v11
	s_and_saveexec_b32 s15, s0
	s_cbranch_execz .LBB177_505
; %bb.500:                              ;   in Loop: Header=BB177_286 Depth=1
	v_and_b32_sdwa v5, v39, v72 dst_sel:DWORD dst_unused:UNUSED_PAD src0_sel:DWORD src1_sel:BYTE_1
	v_mov_b32_e32 v13, v6
	v_mov_b32_e32 v20, v14
	s_mov_b32 s16, exec_lo
	v_and_b32_e32 v21, 0x7f, v5
	v_mov_b32_e32 v19, v13
	v_cmpx_ne_u32_e32 0x7f, v21
	s_cbranch_execz .LBB177_504
; %bb.501:                              ;   in Loop: Header=BB177_286 Depth=1
	v_and_b32_e32 v5, 7, v5
	v_lshrrev_b32_e32 v11, 3, v21
	s_mov_b32 s17, exec_lo
	v_cmpx_gt_u32_e32 8, v21
; %bb.502:                              ;   in Loop: Header=BB177_286 Depth=1
	v_ffbh_u32_e32 v11, v5
	v_min_u32_e32 v11, 32, v11
	v_subrev_nc_u32_e32 v13, 28, v11
	v_sub_nc_u32_e32 v11, 29, v11
	v_lshlrev_b64 v[19:20], v13, v[5:6]
	v_and_b32_e32 v5, 7, v19
; %bb.503:                              ;   in Loop: Header=BB177_286 Depth=1
	s_or_b32 exec_lo, exec_lo, s17
	v_lshlrev_b32_e32 v13, 16, v72
	v_lshlrev_b32_e32 v5, 20, v5
	v_lshl_add_u32 v11, v11, 23, 0x3c000000
	v_mov_b32_e32 v19, v6
	v_and_b32_e32 v13, 0x80000000, v13
	v_or3_b32 v20, v5, v13, v11
.LBB177_504:                            ;   in Loop: Header=BB177_286 Depth=1
	s_or_b32 exec_lo, exec_lo, s16
.LBB177_505:                            ;   in Loop: Header=BB177_286 Depth=1
	s_or_b32 exec_lo, exec_lo, s15
.LBB177_506:                            ;   in Loop: Header=BB177_286 Depth=1
	s_or_b32 exec_lo, exec_lo, s14
	v_mov_b32_e32 v23, 0
	v_mov_b32_e32 v21, 0
	v_and_b32_sdwa v5, v72, v40 dst_sel:DWORD dst_unused:UNUSED_PAD src0_sel:WORD_1 src1_sel:DWORD
	v_mov_b32_e32 v24, 0
	v_mov_b32_e32 v22, 0
	s_mov_b32 s14, exec_lo
	v_cmpx_ne_u16_e32 0, v5
	s_cbranch_execz .LBB177_514
; %bb.507:                              ;   in Loop: Header=BB177_286 Depth=1
	v_bfrev_b32_e32 v21, 1
	v_mov_b32_e32 v22, 0
	s_mov_b32 s15, exec_lo
	v_cmpx_ne_u16_e32 0x80, v5
	s_cbranch_execz .LBB177_513
; %bb.508:                              ;   in Loop: Header=BB177_286 Depth=1
	v_mov_b32_e32 v21, 0x7f800001
	v_bfe_u32 v13, v72, 16, 7
	v_mov_b32_e32 v22, 0
	s_mov_b32 s16, exec_lo
	v_cmpx_ne_u32_e32 0x7f, v13
	s_cbranch_execz .LBB177_512
; %bb.509:                              ;   in Loop: Header=BB177_286 Depth=1
	v_and_b32_sdwa v5, v72, v42 dst_sel:DWORD dst_unused:UNUSED_PAD src0_sel:WORD_1 src1_sel:DWORD
	v_lshrrev_b32_e32 v11, 3, v13
	s_mov_b32 s17, exec_lo
	v_cmpx_gt_u32_e32 8, v13
; %bb.510:                              ;   in Loop: Header=BB177_286 Depth=1
	v_ffbh_u32_e32 v11, v5
	v_min_u32_e32 v11, 32, v11
	v_subrev_nc_u32_e32 v13, 28, v11
	v_sub_nc_u32_e32 v11, 29, v11
	v_lshlrev_b64 v[21:22], v13, v[5:6]
	v_and_b32_e32 v5, 7, v21
; %bb.511:                              ;   in Loop: Header=BB177_286 Depth=1
	s_or_b32 exec_lo, exec_lo, s17
	v_lshlrev_b32_sdwa v13, v43, v72 dst_sel:DWORD dst_unused:UNUSED_PAD src0_sel:DWORD src1_sel:WORD_1
	v_lshlrev_b32_e32 v5, 20, v5
	v_lshl_add_u32 v11, v11, 23, 0x3c000000
	v_and_b32_e32 v13, 0x80000000, v13
	v_or3_b32 v5, v5, v13, v11
	v_mov_b32_e32 v22, v6
	v_mov_b32_e32 v21, v5
.LBB177_512:                            ;   in Loop: Header=BB177_286 Depth=1
	s_or_b32 exec_lo, exec_lo, s16
.LBB177_513:                            ;   in Loop: Header=BB177_286 Depth=1
	s_or_b32 exec_lo, exec_lo, s15
.LBB177_514:                            ;   in Loop: Header=BB177_286 Depth=1
	s_or_b32 exec_lo, exec_lo, s14
	s_mov_b32 s14, exec_lo
	v_cmpx_lt_u32_e32 0xffffff, v72
	s_cbranch_execz .LBB177_522
; %bb.515:                              ;   in Loop: Header=BB177_286 Depth=1
	v_mov_b32_e32 v11, v6
	v_mov_b32_e32 v24, v12
	v_cmp_ne_u32_sdwa s0, v72, v38 src0_sel:BYTE_3 src1_sel:DWORD
	v_mov_b32_e32 v23, v11
	s_and_saveexec_b32 s15, s0
	s_cbranch_execz .LBB177_521
; %bb.516:                              ;   in Loop: Header=BB177_286 Depth=1
	v_mov_b32_e32 v13, v6
	v_mov_b32_e32 v24, v14
	v_bfe_u32 v73, v72, 24, 7
	s_mov_b32 s16, exec_lo
	v_mov_b32_e32 v23, v13
	v_cmpx_ne_u32_e32 0x7f, v73
	s_cbranch_execz .LBB177_520
; %bb.517:                              ;   in Loop: Header=BB177_286 Depth=1
	v_and_b32_sdwa v5, v72, v42 dst_sel:DWORD dst_unused:UNUSED_PAD src0_sel:BYTE_3 src1_sel:DWORD
	v_lshrrev_b32_e32 v11, 3, v73
	s_mov_b32 s17, exec_lo
	v_cmpx_gt_u32_e32 8, v73
; %bb.518:                              ;   in Loop: Header=BB177_286 Depth=1
	v_ffbh_u32_e32 v11, v5
	v_min_u32_e32 v11, 32, v11
	v_subrev_nc_u32_e32 v13, 28, v11
	v_sub_nc_u32_e32 v11, 29, v11
	v_lshlrev_b64 v[23:24], v13, v[5:6]
	v_and_b32_e32 v5, 7, v23
; %bb.519:                              ;   in Loop: Header=BB177_286 Depth=1
	s_or_b32 exec_lo, exec_lo, s17
	v_lshlrev_b32_sdwa v13, v43, v72 dst_sel:DWORD dst_unused:UNUSED_PAD src0_sel:DWORD src1_sel:BYTE_3
	v_lshlrev_b32_e32 v5, 20, v5
	v_lshl_add_u32 v11, v11, 23, 0x3c000000
	v_mov_b32_e32 v23, v6
	v_and_b32_e32 v13, 0x80000000, v13
	v_or3_b32 v24, v5, v13, v11
.LBB177_520:                            ;   in Loop: Header=BB177_286 Depth=1
	s_or_b32 exec_lo, exec_lo, s16
.LBB177_521:                            ;   in Loop: Header=BB177_286 Depth=1
	s_or_b32 exec_lo, exec_lo, s15
.LBB177_522:                            ;   in Loop: Header=BB177_286 Depth=1
	s_or_b32 exec_lo, exec_lo, s14
	v_or_b32_e32 v5, v20, v18
	v_or_b32_e32 v11, v19, v17
	;; [unrolled: 1-line block ×4, first 2 shown]
	v_mul_f32_e32 v72, s13, v5
	v_mul_f32_e32 v73, s2, v11
	;; [unrolled: 1-line block ×4, first 2 shown]
	s_and_saveexec_b32 s14, vcc_lo
	s_cbranch_execz .LBB177_524
; %bb.523:                              ;   in Loop: Header=BB177_286 Depth=1
	v_cmp_gt_i32_e64 s0, s11, v49
	v_cndmask_b32_e64 v73, 0, v73, s0
	v_cmp_gt_i32_e64 s0, s11, v51
	v_cndmask_b32_e64 v72, 0, v72, s0
	;; [unrolled: 2-line block ×4, first 2 shown]
.LBB177_524:                            ;   in Loop: Header=BB177_286 Depth=1
	s_or_b32 exec_lo, exec_lo, s14
	global_load_dword v74, v[15:16], off offset:896
	v_mov_b32_e32 v17, 0
	v_mov_b32_e32 v15, 0
	;; [unrolled: 1-line block ×4, first 2 shown]
	s_waitcnt vmcnt(0)
	v_cmp_ne_u16_sdwa s0, v74, v6 src0_sel:BYTE_0 src1_sel:DWORD
	s_and_saveexec_b32 s14, s0
	s_cbranch_execz .LBB177_532
; %bb.525:                              ;   in Loop: Header=BB177_286 Depth=1
	v_bfrev_b32_e32 v15, 1
	v_mov_b32_e32 v16, 0
	v_cmp_ne_u16_sdwa s0, v74, v38 src0_sel:BYTE_0 src1_sel:DWORD
	s_and_saveexec_b32 s15, s0
	s_cbranch_execz .LBB177_531
; %bb.526:                              ;   in Loop: Header=BB177_286 Depth=1
	v_mov_b32_e32 v15, 0x7f800001
	v_and_b32_e32 v13, 0x7f, v74
	v_mov_b32_e32 v16, 0
	s_mov_b32 s16, exec_lo
	v_cmpx_ne_u32_e32 0x7f, v13
	s_cbranch_execz .LBB177_530
; %bb.527:                              ;   in Loop: Header=BB177_286 Depth=1
	v_and_b32_e32 v5, 7, v74
	v_lshrrev_b32_e32 v11, 3, v13
	s_mov_b32 s17, exec_lo
	v_cmpx_gt_u32_e32 8, v13
; %bb.528:                              ;   in Loop: Header=BB177_286 Depth=1
	v_ffbh_u32_e32 v11, v5
	v_min_u32_e32 v11, 32, v11
	v_subrev_nc_u32_e32 v13, 28, v11
	v_sub_nc_u32_e32 v11, 29, v11
	v_lshlrev_b64 v[15:16], v13, v[5:6]
	v_and_b32_e32 v5, 7, v15
; %bb.529:                              ;   in Loop: Header=BB177_286 Depth=1
	s_or_b32 exec_lo, exec_lo, s17
	v_lshlrev_b32_e32 v13, 24, v74
	v_lshlrev_b32_e32 v5, 20, v5
	v_lshl_add_u32 v11, v11, 23, 0x3c000000
	v_and_b32_e32 v13, 0x80000000, v13
	v_or3_b32 v5, v5, v13, v11
	v_mov_b32_e32 v16, v6
	v_mov_b32_e32 v15, v5
.LBB177_530:                            ;   in Loop: Header=BB177_286 Depth=1
	s_or_b32 exec_lo, exec_lo, s16
.LBB177_531:                            ;   in Loop: Header=BB177_286 Depth=1
	s_or_b32 exec_lo, exec_lo, s15
.LBB177_532:                            ;   in Loop: Header=BB177_286 Depth=1
	s_or_b32 exec_lo, exec_lo, s14
	v_cmp_ne_u16_sdwa s0, v74, v6 src0_sel:BYTE_1 src1_sel:DWORD
	s_and_saveexec_b32 s14, s0
	s_cbranch_execz .LBB177_540
; %bb.533:                              ;   in Loop: Header=BB177_286 Depth=1
	v_mov_b32_e32 v11, v6
	v_mov_b32_e32 v18, v12
	v_cmp_ne_u16_sdwa s0, v74, v38 src0_sel:BYTE_1 src1_sel:DWORD
	v_mov_b32_e32 v17, v11
	s_and_saveexec_b32 s15, s0
	s_cbranch_execz .LBB177_539
; %bb.534:                              ;   in Loop: Header=BB177_286 Depth=1
	v_and_b32_sdwa v5, v39, v74 dst_sel:DWORD dst_unused:UNUSED_PAD src0_sel:DWORD src1_sel:BYTE_1
	v_mov_b32_e32 v13, v6
	v_mov_b32_e32 v18, v14
	s_mov_b32 s16, exec_lo
	v_and_b32_e32 v19, 0x7f, v5
	v_mov_b32_e32 v17, v13
	v_cmpx_ne_u32_e32 0x7f, v19
	s_cbranch_execz .LBB177_538
; %bb.535:                              ;   in Loop: Header=BB177_286 Depth=1
	v_and_b32_e32 v5, 7, v5
	v_lshrrev_b32_e32 v11, 3, v19
	s_mov_b32 s17, exec_lo
	v_cmpx_gt_u32_e32 8, v19
; %bb.536:                              ;   in Loop: Header=BB177_286 Depth=1
	v_ffbh_u32_e32 v11, v5
	v_min_u32_e32 v11, 32, v11
	v_subrev_nc_u32_e32 v13, 28, v11
	v_sub_nc_u32_e32 v11, 29, v11
	v_lshlrev_b64 v[17:18], v13, v[5:6]
	v_and_b32_e32 v5, 7, v17
; %bb.537:                              ;   in Loop: Header=BB177_286 Depth=1
	s_or_b32 exec_lo, exec_lo, s17
	v_lshlrev_b32_e32 v13, 16, v74
	v_lshlrev_b32_e32 v5, 20, v5
	v_lshl_add_u32 v11, v11, 23, 0x3c000000
	v_mov_b32_e32 v17, v6
	v_and_b32_e32 v13, 0x80000000, v13
	v_or3_b32 v18, v5, v13, v11
.LBB177_538:                            ;   in Loop: Header=BB177_286 Depth=1
	s_or_b32 exec_lo, exec_lo, s16
.LBB177_539:                            ;   in Loop: Header=BB177_286 Depth=1
	s_or_b32 exec_lo, exec_lo, s15
.LBB177_540:                            ;   in Loop: Header=BB177_286 Depth=1
	s_or_b32 exec_lo, exec_lo, s14
	v_mov_b32_e32 v21, 0
	v_mov_b32_e32 v19, 0
	v_and_b32_sdwa v5, v74, v40 dst_sel:DWORD dst_unused:UNUSED_PAD src0_sel:WORD_1 src1_sel:DWORD
	v_mov_b32_e32 v22, 0
	v_mov_b32_e32 v20, 0
	s_mov_b32 s14, exec_lo
	v_cmpx_ne_u16_e32 0, v5
	s_cbranch_execz .LBB177_548
; %bb.541:                              ;   in Loop: Header=BB177_286 Depth=1
	v_bfrev_b32_e32 v19, 1
	v_mov_b32_e32 v20, 0
	s_mov_b32 s15, exec_lo
	v_cmpx_ne_u16_e32 0x80, v5
	s_cbranch_execz .LBB177_547
; %bb.542:                              ;   in Loop: Header=BB177_286 Depth=1
	v_mov_b32_e32 v19, 0x7f800001
	v_bfe_u32 v13, v74, 16, 7
	v_mov_b32_e32 v20, 0
	s_mov_b32 s16, exec_lo
	v_cmpx_ne_u32_e32 0x7f, v13
	s_cbranch_execz .LBB177_546
; %bb.543:                              ;   in Loop: Header=BB177_286 Depth=1
	v_and_b32_sdwa v5, v74, v42 dst_sel:DWORD dst_unused:UNUSED_PAD src0_sel:WORD_1 src1_sel:DWORD
	v_lshrrev_b32_e32 v11, 3, v13
	s_mov_b32 s17, exec_lo
	v_cmpx_gt_u32_e32 8, v13
; %bb.544:                              ;   in Loop: Header=BB177_286 Depth=1
	v_ffbh_u32_e32 v11, v5
	v_min_u32_e32 v11, 32, v11
	v_subrev_nc_u32_e32 v13, 28, v11
	v_sub_nc_u32_e32 v11, 29, v11
	v_lshlrev_b64 v[19:20], v13, v[5:6]
	v_and_b32_e32 v5, 7, v19
; %bb.545:                              ;   in Loop: Header=BB177_286 Depth=1
	s_or_b32 exec_lo, exec_lo, s17
	v_lshlrev_b32_sdwa v13, v43, v74 dst_sel:DWORD dst_unused:UNUSED_PAD src0_sel:DWORD src1_sel:WORD_1
	v_lshlrev_b32_e32 v5, 20, v5
	v_lshl_add_u32 v11, v11, 23, 0x3c000000
	v_and_b32_e32 v13, 0x80000000, v13
	v_or3_b32 v5, v5, v13, v11
	v_mov_b32_e32 v20, v6
	v_mov_b32_e32 v19, v5
.LBB177_546:                            ;   in Loop: Header=BB177_286 Depth=1
	s_or_b32 exec_lo, exec_lo, s16
.LBB177_547:                            ;   in Loop: Header=BB177_286 Depth=1
	s_or_b32 exec_lo, exec_lo, s15
.LBB177_548:                            ;   in Loop: Header=BB177_286 Depth=1
	s_or_b32 exec_lo, exec_lo, s14
	s_mov_b32 s14, exec_lo
	v_cmpx_lt_u32_e32 0xffffff, v74
	s_cbranch_execz .LBB177_556
; %bb.549:                              ;   in Loop: Header=BB177_286 Depth=1
	v_mov_b32_e32 v11, v6
	v_mov_b32_e32 v22, v12
	v_cmp_ne_u32_sdwa s0, v74, v38 src0_sel:BYTE_3 src1_sel:DWORD
	v_mov_b32_e32 v21, v11
	s_and_saveexec_b32 s15, s0
	s_cbranch_execz .LBB177_555
; %bb.550:                              ;   in Loop: Header=BB177_286 Depth=1
	v_mov_b32_e32 v13, v6
	v_mov_b32_e32 v22, v14
	v_bfe_u32 v75, v74, 24, 7
	s_mov_b32 s16, exec_lo
	v_mov_b32_e32 v21, v13
	v_cmpx_ne_u32_e32 0x7f, v75
	s_cbranch_execz .LBB177_554
; %bb.551:                              ;   in Loop: Header=BB177_286 Depth=1
	v_and_b32_sdwa v5, v74, v42 dst_sel:DWORD dst_unused:UNUSED_PAD src0_sel:BYTE_3 src1_sel:DWORD
	v_lshrrev_b32_e32 v11, 3, v75
	s_mov_b32 s17, exec_lo
	v_cmpx_gt_u32_e32 8, v75
; %bb.552:                              ;   in Loop: Header=BB177_286 Depth=1
	v_ffbh_u32_e32 v11, v5
	v_min_u32_e32 v11, 32, v11
	v_subrev_nc_u32_e32 v13, 28, v11
	v_sub_nc_u32_e32 v11, 29, v11
	v_lshlrev_b64 v[21:22], v13, v[5:6]
	v_and_b32_e32 v5, 7, v21
; %bb.553:                              ;   in Loop: Header=BB177_286 Depth=1
	s_or_b32 exec_lo, exec_lo, s17
	v_lshlrev_b32_sdwa v13, v43, v74 dst_sel:DWORD dst_unused:UNUSED_PAD src0_sel:DWORD src1_sel:BYTE_3
	v_lshlrev_b32_e32 v5, 20, v5
	v_lshl_add_u32 v11, v11, 23, 0x3c000000
	v_mov_b32_e32 v21, v6
	v_and_b32_e32 v13, 0x80000000, v13
	v_or3_b32 v22, v5, v13, v11
.LBB177_554:                            ;   in Loop: Header=BB177_286 Depth=1
	s_or_b32 exec_lo, exec_lo, s16
.LBB177_555:                            ;   in Loop: Header=BB177_286 Depth=1
	s_or_b32 exec_lo, exec_lo, s15
.LBB177_556:                            ;   in Loop: Header=BB177_286 Depth=1
	s_or_b32 exec_lo, exec_lo, s14
	v_or_b32_e32 v5, v18, v16
	v_or_b32_e32 v11, v17, v15
	;; [unrolled: 1-line block ×4, first 2 shown]
	v_mul_f32_e32 v13, s13, v5
	v_mul_f32_e32 v15, s2, v11
	;; [unrolled: 1-line block ×4, first 2 shown]
	s_and_saveexec_b32 s0, vcc_lo
	s_cbranch_execz .LBB177_285
; %bb.557:                              ;   in Loop: Header=BB177_286 Depth=1
	v_cmp_gt_i32_e32 vcc_lo, s11, v49
	v_cndmask_b32_e32 v15, 0, v15, vcc_lo
	v_cmp_gt_i32_e32 vcc_lo, s11, v51
	v_cndmask_b32_e32 v13, 0, v13, vcc_lo
	v_cmp_gt_i32_e32 vcc_lo, s11, v50
	v_cndmask_b32_e32 v11, 0, v11, vcc_lo
	v_cmp_gt_i32_e32 vcc_lo, s11, v36
	v_cndmask_b32_e32 v5, 0, v5, vcc_lo
	s_branch .LBB177_285
.LBB177_558:
	s_or_b32 exec_lo, exec_lo, s5
.LBB177_559:
	s_or_b32 exec_lo, exec_lo, s1
	ds_bpermute_b32 v1, v26, v33
	ds_bpermute_b32 v2, v26, v35
	;; [unrolled: 1-line block ×8, first 2 shown]
	v_lshrrev_b32_e32 v9, 1, v25
	v_lshlrev_b32_e32 v11, 9, v41
	v_and_b32_e32 v12, 0x3c1, v0
	s_mov_b32 s0, exec_lo
	s_waitcnt lgkmcnt(0)
	v_lshl_add_u32 v10, v9, 2, 0x220
	s_barrier
	buffer_gl0_inv
	v_add_f32_e32 v1, v33, v1
	v_add_f32_e32 v2, v35, v2
	;; [unrolled: 1-line block ×8, first 2 shown]
	v_cmpx_eq_u32_e32 64, v12
	s_cbranch_execz .LBB177_561
; %bb.560:
	v_add_nc_u32_e32 v12, v10, v11
	v_add_nc_u32_e32 v13, 0xfffffc00, v12
	;; [unrolled: 1-line block ×9, first 2 shown]
	ds_write_b32 v13, v1
	ds_write_b32 v14, v2
	;; [unrolled: 1-line block ×8, first 2 shown]
.LBB177_561:
	s_or_b32 exec_lo, exec_lo, s0
	v_lshlrev_b32_e32 v9, 2, v9
	s_mov_b32 s1, exec_lo
	v_cmp_eq_u32_e32 vcc_lo, 0, v27
	s_waitcnt lgkmcnt(0)
	s_barrier
	v_add3_u32 v9, 0x220, v11, v9
	buffer_gl0_inv
	v_cmpx_gt_u32_e32 64, v0
	s_cbranch_execz .LBB177_572
; %bb.562:
	s_and_saveexec_b32 s0, vcc_lo
	s_cbranch_execnz .LBB177_588
; %bb.563:
	s_or_b32 exec_lo, exec_lo, s0
	s_and_saveexec_b32 s0, vcc_lo
	s_cbranch_execnz .LBB177_589
.LBB177_564:
	s_or_b32 exec_lo, exec_lo, s0
	s_and_saveexec_b32 s0, vcc_lo
	s_cbranch_execnz .LBB177_590
.LBB177_565:
	s_or_b32 exec_lo, exec_lo, s0
	s_and_saveexec_b32 s0, vcc_lo
	s_cbranch_execnz .LBB177_591
.LBB177_566:
	s_or_b32 exec_lo, exec_lo, s0
	s_and_saveexec_b32 s0, vcc_lo
	s_cbranch_execnz .LBB177_592
.LBB177_567:
	s_or_b32 exec_lo, exec_lo, s0
	s_and_saveexec_b32 s0, vcc_lo
	s_cbranch_execnz .LBB177_593
.LBB177_568:
	s_or_b32 exec_lo, exec_lo, s0
	s_and_saveexec_b32 s0, vcc_lo
	s_cbranch_execnz .LBB177_594
.LBB177_569:
	s_or_b32 exec_lo, exec_lo, s0
	s_and_saveexec_b32 s0, vcc_lo
	s_cbranch_execz .LBB177_571
.LBB177_570:
	ds_read_b32 v11, v9 offset:448
	s_waitcnt lgkmcnt(0)
	v_add_f32_e32 v8, v8, v11
.LBB177_571:
	s_or_b32 exec_lo, exec_lo, s0
.LBB177_572:
	s_or_b32 exec_lo, exec_lo, s1
	v_and_b32_e32 v11, 0x3e1, v0
	s_mov_b32 s1, exec_lo
	s_barrier
	buffer_gl0_inv
	v_cmpx_eq_u32_e32 32, v11
	s_cbranch_execz .LBB177_574
; %bb.573:
	ds_write2_b32 v10, v1, v2 offset1:16
	ds_write2_b32 v10, v3, v4 offset0:32 offset1:48
	ds_write2_b32 v10, v5, v6 offset0:64 offset1:80
	;; [unrolled: 1-line block ×3, first 2 shown]
.LBB177_574:
	s_or_b32 exec_lo, exec_lo, s1
	s_mov_b32 s1, exec_lo
	s_waitcnt lgkmcnt(0)
	s_barrier
	buffer_gl0_inv
	v_cmpx_gt_u32_e32 32, v0
	s_cbranch_execz .LBB177_585
; %bb.575:
	s_and_saveexec_b32 s0, vcc_lo
	s_cbranch_execnz .LBB177_595
; %bb.576:
	s_or_b32 exec_lo, exec_lo, s0
	s_and_saveexec_b32 s0, vcc_lo
	s_cbranch_execnz .LBB177_596
.LBB177_577:
	s_or_b32 exec_lo, exec_lo, s0
	s_and_saveexec_b32 s0, vcc_lo
	s_cbranch_execnz .LBB177_597
.LBB177_578:
	s_or_b32 exec_lo, exec_lo, s0
	s_and_saveexec_b32 s0, vcc_lo
	s_cbranch_execnz .LBB177_598
.LBB177_579:
	s_or_b32 exec_lo, exec_lo, s0
	s_and_saveexec_b32 s0, vcc_lo
	s_cbranch_execnz .LBB177_599
.LBB177_580:
	s_or_b32 exec_lo, exec_lo, s0
	s_and_saveexec_b32 s0, vcc_lo
	s_cbranch_execnz .LBB177_600
.LBB177_581:
	s_or_b32 exec_lo, exec_lo, s0
	s_and_saveexec_b32 s0, vcc_lo
	s_cbranch_execnz .LBB177_601
.LBB177_582:
	s_or_b32 exec_lo, exec_lo, s0
	s_and_saveexec_b32 s0, vcc_lo
	s_cbranch_execz .LBB177_584
.LBB177_583:
	ds_read_b32 v9, v9 offset:448
	s_waitcnt lgkmcnt(0)
	v_add_f32_e32 v8, v8, v9
.LBB177_584:
	s_or_b32 exec_lo, exec_lo, s0
.LBB177_585:
	s_or_b32 exec_lo, exec_lo, s1
	s_barrier
	buffer_gl0_inv
	s_mov_b32 s0, exec_lo
	v_cmpx_eq_u32_e32 0, v11
	s_cbranch_execz .LBB177_587
; %bb.586:
	s_mul_i32 s0, s10, s7
	s_mul_i32 s2, s7, s6
	;; [unrolled: 1-line block ×3, first 2 shown]
	v_lshlrev_b32_e32 v0, 1, v0
	s_lshl_b32 s0, s0, 7
	s_ashr_i32 s1, s0, 31
	s_lshl_b64 s[0:1], s[0:1], 2
	s_add_u32 s4, s20, s0
	s_addc_u32 s5, s21, s1
	s_ashr_i32 s3, s2, 31
	s_lshl_b64 s[0:1], s[2:3], 2
	s_add_u32 s2, s4, s0
	s_addc_u32 s3, s5, s1
	s_lshl_b32 s0, s8, 7
	s_ashr_i32 s1, s0, 31
	s_lshl_b64 s[0:1], s[0:1], 2
	s_add_u32 s0, s2, s0
	s_addc_u32 s1, s3, s1
	global_store_dword v0, v1, s[0:1]
	global_store_dword v0, v2, s[0:1] offset:64
	global_store_dword v0, v3, s[0:1] offset:128
	;; [unrolled: 1-line block ×7, first 2 shown]
.LBB177_587:
	s_endpgm
.LBB177_588:
	ds_read_b32 v11, v9
	s_waitcnt lgkmcnt(0)
	v_add_f32_e32 v1, v1, v11
	s_or_b32 exec_lo, exec_lo, s0
	s_and_saveexec_b32 s0, vcc_lo
	s_cbranch_execz .LBB177_564
.LBB177_589:
	ds_read_b32 v11, v9 offset:64
	s_waitcnt lgkmcnt(0)
	v_add_f32_e32 v2, v2, v11
	s_or_b32 exec_lo, exec_lo, s0
	s_and_saveexec_b32 s0, vcc_lo
	s_cbranch_execz .LBB177_565
.LBB177_590:
	ds_read_b32 v11, v9 offset:128
	s_waitcnt lgkmcnt(0)
	v_add_f32_e32 v3, v3, v11
	s_or_b32 exec_lo, exec_lo, s0
	s_and_saveexec_b32 s0, vcc_lo
	s_cbranch_execz .LBB177_566
.LBB177_591:
	ds_read_b32 v11, v9 offset:192
	s_waitcnt lgkmcnt(0)
	v_add_f32_e32 v4, v4, v11
	s_or_b32 exec_lo, exec_lo, s0
	s_and_saveexec_b32 s0, vcc_lo
	s_cbranch_execz .LBB177_567
.LBB177_592:
	ds_read_b32 v11, v9 offset:256
	s_waitcnt lgkmcnt(0)
	v_add_f32_e32 v5, v5, v11
	s_or_b32 exec_lo, exec_lo, s0
	s_and_saveexec_b32 s0, vcc_lo
	s_cbranch_execz .LBB177_568
.LBB177_593:
	ds_read_b32 v11, v9 offset:320
	s_waitcnt lgkmcnt(0)
	v_add_f32_e32 v6, v6, v11
	s_or_b32 exec_lo, exec_lo, s0
	s_and_saveexec_b32 s0, vcc_lo
	s_cbranch_execz .LBB177_569
.LBB177_594:
	ds_read_b32 v11, v9 offset:384
	s_waitcnt lgkmcnt(0)
	v_add_f32_e32 v7, v7, v11
	s_or_b32 exec_lo, exec_lo, s0
	s_and_saveexec_b32 s0, vcc_lo
	s_cbranch_execnz .LBB177_570
	s_branch .LBB177_571
.LBB177_595:
	ds_read_b32 v10, v9
	s_waitcnt lgkmcnt(0)
	v_add_f32_e32 v1, v1, v10
	s_or_b32 exec_lo, exec_lo, s0
	s_and_saveexec_b32 s0, vcc_lo
	s_cbranch_execz .LBB177_577
.LBB177_596:
	ds_read_b32 v10, v9 offset:64
	s_waitcnt lgkmcnt(0)
	v_add_f32_e32 v2, v2, v10
	s_or_b32 exec_lo, exec_lo, s0
	s_and_saveexec_b32 s0, vcc_lo
	s_cbranch_execz .LBB177_578
.LBB177_597:
	ds_read_b32 v10, v9 offset:128
	s_waitcnt lgkmcnt(0)
	v_add_f32_e32 v3, v3, v10
	s_or_b32 exec_lo, exec_lo, s0
	s_and_saveexec_b32 s0, vcc_lo
	s_cbranch_execz .LBB177_579
.LBB177_598:
	ds_read_b32 v10, v9 offset:192
	s_waitcnt lgkmcnt(0)
	v_add_f32_e32 v4, v4, v10
	s_or_b32 exec_lo, exec_lo, s0
	s_and_saveexec_b32 s0, vcc_lo
	s_cbranch_execz .LBB177_580
.LBB177_599:
	ds_read_b32 v10, v9 offset:256
	s_waitcnt lgkmcnt(0)
	v_add_f32_e32 v5, v5, v10
	s_or_b32 exec_lo, exec_lo, s0
	s_and_saveexec_b32 s0, vcc_lo
	s_cbranch_execz .LBB177_581
.LBB177_600:
	ds_read_b32 v10, v9 offset:320
	s_waitcnt lgkmcnt(0)
	v_add_f32_e32 v6, v6, v10
	s_or_b32 exec_lo, exec_lo, s0
	s_and_saveexec_b32 s0, vcc_lo
	s_cbranch_execz .LBB177_582
.LBB177_601:
	ds_read_b32 v10, v9 offset:384
	s_waitcnt lgkmcnt(0)
	v_add_f32_e32 v7, v7, v10
	s_or_b32 exec_lo, exec_lo, s0
	s_and_saveexec_b32 s0, vcc_lo
	s_cbranch_execnz .LBB177_583
	s_branch .LBB177_584
	.section	.rodata,"a",@progbits
	.p2align	6, 0x0
	.amdhsa_kernel _ZN4vllm25paged_attention_v1_kernelIfhLi128ELi8ELi128ELNS_18Fp8KVCacheDataTypeE1ELb0EEEvPT_PKS2_PKT0_S8_ifPKiSA_iPKfiiiSC_SC_iiiii
		.amdhsa_group_segment_fixed_size 544
		.amdhsa_private_segment_fixed_size 0
		.amdhsa_kernarg_size 384
		.amdhsa_user_sgpr_count 6
		.amdhsa_user_sgpr_private_segment_buffer 1
		.amdhsa_user_sgpr_dispatch_ptr 0
		.amdhsa_user_sgpr_queue_ptr 0
		.amdhsa_user_sgpr_kernarg_segment_ptr 1
		.amdhsa_user_sgpr_dispatch_id 0
		.amdhsa_user_sgpr_flat_scratch_init 0
		.amdhsa_user_sgpr_private_segment_size 0
		.amdhsa_wavefront_size32 1
		.amdhsa_uses_dynamic_stack 0
		.amdhsa_system_sgpr_private_segment_wavefront_offset 0
		.amdhsa_system_sgpr_workgroup_id_x 1
		.amdhsa_system_sgpr_workgroup_id_y 1
		.amdhsa_system_sgpr_workgroup_id_z 1
		.amdhsa_system_sgpr_workgroup_info 0
		.amdhsa_system_vgpr_workitem_id 0
		.amdhsa_next_free_vgpr 89
		.amdhsa_next_free_sgpr 34
		.amdhsa_reserve_vcc 1
		.amdhsa_reserve_flat_scratch 0
		.amdhsa_float_round_mode_32 0
		.amdhsa_float_round_mode_16_64 0
		.amdhsa_float_denorm_mode_32 3
		.amdhsa_float_denorm_mode_16_64 3
		.amdhsa_dx10_clamp 1
		.amdhsa_ieee_mode 1
		.amdhsa_fp16_overflow 0
		.amdhsa_workgroup_processor_mode 1
		.amdhsa_memory_ordered 1
		.amdhsa_forward_progress 1
		.amdhsa_shared_vgpr_count 0
		.amdhsa_exception_fp_ieee_invalid_op 0
		.amdhsa_exception_fp_denorm_src 0
		.amdhsa_exception_fp_ieee_div_zero 0
		.amdhsa_exception_fp_ieee_overflow 0
		.amdhsa_exception_fp_ieee_underflow 0
		.amdhsa_exception_fp_ieee_inexact 0
		.amdhsa_exception_int_div_zero 0
	.end_amdhsa_kernel
	.section	.text._ZN4vllm25paged_attention_v1_kernelIfhLi128ELi8ELi128ELNS_18Fp8KVCacheDataTypeE1ELb0EEEvPT_PKS2_PKT0_S8_ifPKiSA_iPKfiiiSC_SC_iiiii,"axG",@progbits,_ZN4vllm25paged_attention_v1_kernelIfhLi128ELi8ELi128ELNS_18Fp8KVCacheDataTypeE1ELb0EEEvPT_PKS2_PKT0_S8_ifPKiSA_iPKfiiiSC_SC_iiiii,comdat
.Lfunc_end177:
	.size	_ZN4vllm25paged_attention_v1_kernelIfhLi128ELi8ELi128ELNS_18Fp8KVCacheDataTypeE1ELb0EEEvPT_PKS2_PKT0_S8_ifPKiSA_iPKfiiiSC_SC_iiiii, .Lfunc_end177-_ZN4vllm25paged_attention_v1_kernelIfhLi128ELi8ELi128ELNS_18Fp8KVCacheDataTypeE1ELb0EEEvPT_PKS2_PKT0_S8_ifPKiSA_iPKfiiiSC_SC_iiiii
                                        ; -- End function
	.set _ZN4vllm25paged_attention_v1_kernelIfhLi128ELi8ELi128ELNS_18Fp8KVCacheDataTypeE1ELb0EEEvPT_PKS2_PKT0_S8_ifPKiSA_iPKfiiiSC_SC_iiiii.num_vgpr, 89
	.set _ZN4vllm25paged_attention_v1_kernelIfhLi128ELi8ELi128ELNS_18Fp8KVCacheDataTypeE1ELb0EEEvPT_PKS2_PKT0_S8_ifPKiSA_iPKfiiiSC_SC_iiiii.num_agpr, 0
	.set _ZN4vllm25paged_attention_v1_kernelIfhLi128ELi8ELi128ELNS_18Fp8KVCacheDataTypeE1ELb0EEEvPT_PKS2_PKT0_S8_ifPKiSA_iPKfiiiSC_SC_iiiii.numbered_sgpr, 34
	.set _ZN4vllm25paged_attention_v1_kernelIfhLi128ELi8ELi128ELNS_18Fp8KVCacheDataTypeE1ELb0EEEvPT_PKS2_PKT0_S8_ifPKiSA_iPKfiiiSC_SC_iiiii.num_named_barrier, 0
	.set _ZN4vllm25paged_attention_v1_kernelIfhLi128ELi8ELi128ELNS_18Fp8KVCacheDataTypeE1ELb0EEEvPT_PKS2_PKT0_S8_ifPKiSA_iPKfiiiSC_SC_iiiii.private_seg_size, 0
	.set _ZN4vllm25paged_attention_v1_kernelIfhLi128ELi8ELi128ELNS_18Fp8KVCacheDataTypeE1ELb0EEEvPT_PKS2_PKT0_S8_ifPKiSA_iPKfiiiSC_SC_iiiii.uses_vcc, 1
	.set _ZN4vllm25paged_attention_v1_kernelIfhLi128ELi8ELi128ELNS_18Fp8KVCacheDataTypeE1ELb0EEEvPT_PKS2_PKT0_S8_ifPKiSA_iPKfiiiSC_SC_iiiii.uses_flat_scratch, 0
	.set _ZN4vllm25paged_attention_v1_kernelIfhLi128ELi8ELi128ELNS_18Fp8KVCacheDataTypeE1ELb0EEEvPT_PKS2_PKT0_S8_ifPKiSA_iPKfiiiSC_SC_iiiii.has_dyn_sized_stack, 0
	.set _ZN4vllm25paged_attention_v1_kernelIfhLi128ELi8ELi128ELNS_18Fp8KVCacheDataTypeE1ELb0EEEvPT_PKS2_PKT0_S8_ifPKiSA_iPKfiiiSC_SC_iiiii.has_recursion, 0
	.set _ZN4vllm25paged_attention_v1_kernelIfhLi128ELi8ELi128ELNS_18Fp8KVCacheDataTypeE1ELb0EEEvPT_PKS2_PKT0_S8_ifPKiSA_iPKfiiiSC_SC_iiiii.has_indirect_call, 0
	.section	.AMDGPU.csdata,"",@progbits
; Kernel info:
; codeLenInByte = 16928
; TotalNumSgprs: 36
; NumVgprs: 89
; ScratchSize: 0
; MemoryBound: 0
; FloatMode: 240
; IeeeMode: 1
; LDSByteSize: 544 bytes/workgroup (compile time only)
; SGPRBlocks: 0
; VGPRBlocks: 11
; NumSGPRsForWavesPerEU: 36
; NumVGPRsForWavesPerEU: 89
; Occupancy: 10
; WaveLimiterHint : 1
; COMPUTE_PGM_RSRC2:SCRATCH_EN: 0
; COMPUTE_PGM_RSRC2:USER_SGPR: 6
; COMPUTE_PGM_RSRC2:TRAP_HANDLER: 0
; COMPUTE_PGM_RSRC2:TGID_X_EN: 1
; COMPUTE_PGM_RSRC2:TGID_Y_EN: 1
; COMPUTE_PGM_RSRC2:TGID_Z_EN: 1
; COMPUTE_PGM_RSRC2:TIDIG_COMP_CNT: 0
	.section	.text._ZN4vllm25paged_attention_v1_kernelIfhLi192ELi8ELi128ELNS_18Fp8KVCacheDataTypeE1ELb0EEEvPT_PKS2_PKT0_S8_ifPKiSA_iPKfiiiSC_SC_iiiii,"axG",@progbits,_ZN4vllm25paged_attention_v1_kernelIfhLi192ELi8ELi128ELNS_18Fp8KVCacheDataTypeE1ELb0EEEvPT_PKS2_PKT0_S8_ifPKiSA_iPKfiiiSC_SC_iiiii,comdat
	.protected	_ZN4vllm25paged_attention_v1_kernelIfhLi192ELi8ELi128ELNS_18Fp8KVCacheDataTypeE1ELb0EEEvPT_PKS2_PKT0_S8_ifPKiSA_iPKfiiiSC_SC_iiiii ; -- Begin function _ZN4vllm25paged_attention_v1_kernelIfhLi192ELi8ELi128ELNS_18Fp8KVCacheDataTypeE1ELb0EEEvPT_PKS2_PKT0_S8_ifPKiSA_iPKfiiiSC_SC_iiiii
	.globl	_ZN4vllm25paged_attention_v1_kernelIfhLi192ELi8ELi128ELNS_18Fp8KVCacheDataTypeE1ELb0EEEvPT_PKS2_PKT0_S8_ifPKiSA_iPKfiiiSC_SC_iiiii
	.p2align	8
	.type	_ZN4vllm25paged_attention_v1_kernelIfhLi192ELi8ELi128ELNS_18Fp8KVCacheDataTypeE1ELb0EEEvPT_PKS2_PKT0_S8_ifPKiSA_iPKfiiiSC_SC_iiiii,@function
_ZN4vllm25paged_attention_v1_kernelIfhLi192ELi8ELi128ELNS_18Fp8KVCacheDataTypeE1ELb0EEEvPT_PKS2_PKT0_S8_ifPKiSA_iPKfiiiSC_SC_iiiii: ; @_ZN4vllm25paged_attention_v1_kernelIfhLi192ELi8ELi128ELNS_18Fp8KVCacheDataTypeE1ELb0EEEvPT_PKS2_PKT0_S8_ifPKiSA_iPKfiiiSC_SC_iiiii
; %bb.0:
	s_clause 0x2
	s_load_dword s9, s[4:5], 0x80
	s_load_dwordx2 s[0:1], s[4:5], 0x30
	s_load_dwordx2 s[28:29], s[4:5], 0x20
	s_mov_b32 s10, s7
	s_ashr_i32 s11, s7, 31
	s_mov_b32 s30, 0
	s_lshl_b64 s[2:3], s[10:11], 2
	s_waitcnt lgkmcnt(0)
	s_add_u32 s0, s0, s2
	s_addc_u32 s1, s1, s3
	s_abs_i32 s2, s28
	s_abs_i32 s11, s9
	v_cvt_f32_u32_e32 v1, s2
	s_sub_i32 s7, 0, s2
	v_rcp_iflag_f32_e32 v1, v1
	v_mul_f32_e32 v1, 0x4f7ffffe, v1
	v_cvt_u32_f32_e32 v1, v1
	v_readfirstlane_b32 s3, v1
	s_mul_i32 s7, s7, s3
	s_mul_hi_u32 s7, s3, s7
	s_add_i32 s3, s3, s7
	s_xor_b32 s7, s9, s28
	s_mul_hi_u32 s3, s11, s3
	s_ashr_i32 s7, s7, 31
	s_mul_i32 s12, s3, s2
	s_sub_i32 s11, s11, s12
	s_add_i32 s12, s3, 1
	s_sub_i32 s13, s11, s2
	s_cmp_ge_u32 s11, s2
	s_cselect_b32 s3, s12, s3
	s_cselect_b32 s11, s13, s11
	s_add_i32 s12, s3, 1
	s_cmp_ge_u32 s11, s2
	s_cselect_b32 s2, s12, s3
	s_abs_i32 s17, s6
	s_xor_b32 s2, s2, s7
	s_sub_i32 s19, s2, s7
	s_load_dwordx2 s[2:3], s[4:5], 0x40
	s_abs_i32 s16, s19
	v_cvt_f32_u32_e32 v1, s16
	s_sub_i32 s11, 0, s16
	v_rcp_iflag_f32_e32 v1, v1
	v_mul_f32_e32 v1, 0x4f7ffffe, v1
	v_cvt_u32_f32_e32 v1, v1
	v_readfirstlane_b32 s7, v1
	s_mul_i32 s11, s11, s7
	s_mul_hi_u32 s11, s7, s11
	s_add_i32 s7, s7, s11
	s_waitcnt lgkmcnt(0)
	s_cmp_eq_u64 s[2:3], 0
	s_mul_hi_u32 s18, s17, s7
	s_cbranch_scc1 .LBB178_2
; %bb.1:
	s_ashr_i32 s7, s6, 31
	s_lshl_b64 s[12:13], s[6:7], 2
	s_add_u32 s2, s2, s12
	s_addc_u32 s3, s3, s13
	s_load_dword s30, s[2:3], 0x0
.LBB178_2:
	s_load_dword s28, s[0:1], 0x0
	s_clause 0x1
	s_load_dword s11, s[4:5], 0x88
	s_load_dwordx4 s[12:15], s[4:5], 0x48
	v_and_b32_e32 v41, 3, v0
	v_lshlrev_b32_e32 v58, 2, v0
	s_ashr_i32 s2, s6, 31
	s_ashr_i32 s3, s19, 31
	s_mulk_i32 s6, 0xc0
	s_waitcnt lgkmcnt(0)
	s_mov_b32 s15, exec_lo
	v_cmpx_gt_u32_e32 0xc0, v0
	s_cbranch_execz .LBB178_5
; %bb.3:
	s_load_dwordx2 s[0:1], s[4:5], 0x8
	s_mul_i32 s20, s12, s10
	v_and_b32_e32 v1, 0x3fc, v0
	s_ashr_i32 s21, s20, 31
	v_cmp_gt_u32_e32 vcc_lo, 64, v0
	s_lshl_b64 s[20:21], s[20:21], 2
	v_mad_u32_u24 v1, 0xc0, v41, v1
	s_waitcnt lgkmcnt(0)
	s_add_u32 s12, s0, s20
	s_addc_u32 s19, s1, s21
	s_ashr_i32 s7, s6, 31
	s_lshl_b64 s[0:1], s[6:7], 2
	s_add_u32 s0, s12, s0
	s_addc_u32 s1, s19, s1
	global_load_dword v2, v58, s[0:1]
	s_waitcnt vmcnt(0)
	ds_write_b32 v1, v2
	s_and_b32 exec_lo, exec_lo, vcc_lo
	s_cbranch_execz .LBB178_5
; %bb.4:
	v_lshrrev_b32_e32 v2, 2, v0
	v_lshlrev_b32_e32 v3, 2, v41
	v_lshlrev_b32_e32 v2, 4, v2
	v_or3_b32 v2, v2, v3, 0x200
	global_load_dword v2, v2, s[0:1]
	s_waitcnt vmcnt(0)
	ds_write_b32 v1, v2 offset:128
.LBB178_5:
	s_or_b32 exec_lo, exec_lo, s15
	s_add_i32 s0, s28, 7
	s_clause 0x1
	s_load_dwordx2 s[22:23], s[4:5], 0x28
	s_load_dword s15, s[4:5], 0x38
	s_ashr_i32 s1, s0, 31
	s_xor_b32 s2, s2, s3
	s_lshr_b32 s1, s1, 29
	v_lshrrev_b32_e32 v57, 5, v0
	s_add_i32 s0, s0, s1
	s_mul_i32 s1, s18, s16
	s_ashr_i32 s7, s0, 3
	s_sub_i32 s0, s17, s1
	s_add_i32 s1, s18, 1
	s_sub_i32 s3, s0, s16
	s_cmp_ge_u32 s0, s16
	v_mbcnt_lo_u32_b32 v60, -1, 0
	s_cselect_b32 s1, s1, s18
	s_cselect_b32 s0, s3, s0
	s_add_i32 s3, s1, 1
	s_cmp_ge_u32 s0, s16
	s_waitcnt lgkmcnt(0)
	s_cselect_b32 s0, s3, s1
	s_mov_b32 s1, exec_lo
	s_xor_b32 s0, s0, s2
	s_mul_i32 s24, s15, s10
	s_sub_i32 s12, s0, s2
	v_cmp_gt_i32_e64 s0, s7, v57
	s_ashr_i32 s25, s24, 31
	s_barrier
	buffer_gl0_inv
                                        ; implicit-def: $vgpr50
                                        ; implicit-def: $vgpr61
	v_cmpx_le_i32_e64 s7, v57
	s_xor_b32 s1, exec_lo, s1
; %bb.6:
	v_mov_b32_e32 v50, 0
	v_mbcnt_lo_u32_b32 v60, -1, 0
	v_mov_b32_e32 v61, 32
                                        ; implicit-def: $vgpr41
; %bb.7:
	s_or_saveexec_b32 s15, s1
	s_clause 0x2
	s_load_dwordx2 s[20:21], s[4:5], 0x0
	s_load_dwordx2 s[26:27], s[4:5], 0x18
	s_load_dwordx4 s[16:19], s[4:5], 0x58
	v_mov_b32_e32 v64, 0xff7fffff
	v_lshrrev_b32_e32 v59, 3, v0
	s_mul_i32 s12, s12, s14
	s_xor_b32 exec_lo, exec_lo, s15
	s_cbranch_execz .LBB178_397
; %bb.8:
	s_load_dwordx2 s[2:3], s[4:5], 0x10
	v_xor_b32_e32 v33, 2, v60
	v_bfe_u32 v49, v0, 2, 3
	v_xor_b32_e32 v34, 1, v60
	v_mul_u32_u24_e32 v45, 0xc0, v41
	s_ashr_i32 s1, s12, 31
	v_cmp_gt_i32_e32 vcc_lo, 32, v33
	v_lshlrev_b32_e32 v35, 4, v49
	ds_read_b128 v[1:4], v45
	ds_read_b128 v[5:8], v45 offset:16
	ds_read_b128 v[9:12], v45 offset:32
	;; [unrolled: 1-line block ×7, first 2 shown]
	v_lshl_or_b32 v65, v57, 3, v49
	v_cndmask_b32_e32 v42, v60, v33, vcc_lo
	v_cmp_gt_i32_e32 vcc_lo, 32, v34
	v_mov_b32_e32 v50, 0
	v_mov_b32_e32 v61, 32
	;; [unrolled: 1-line block ×3, first 2 shown]
	v_lshlrev_b32_e32 v62, 2, v42
	v_cndmask_b32_e32 v46, v60, v34, vcc_lo
	v_lshlrev_b32_e32 v42, 2, v49
	v_cmp_eq_u32_e32 vcc_lo, 0, v41
	s_waitcnt lgkmcnt(0)
	s_add_u32 s2, s2, s12
	s_addc_u32 s1, s3, s1
	v_add_co_u32 v43, s2, s2, v35
	v_add_co_ci_u32_e64 v44, null, s1, 0, s2
	ds_read_b128 v[33:36], v45 offset:128
	ds_read_b128 v[37:40], v45 offset:144
	v_add_co_u32 v51, s2, v43, v41
	v_lshlrev_b32_e32 v63, 2, v46
	s_load_dword s4, s[16:17], 0x0
	v_add_co_ci_u32_e64 v52, null, 0, v44, s2
	v_lshl_or_b32 v53, v57, 5, v42
	ds_read_b128 v[41:44], v45 offset:160
	ds_read_b128 v[45:48], v45 offset:176
	v_and_b32_e32 v49, 0x7c, v59
	s_lshl_b64 s[2:3], s[24:25], 2
	s_sub_i32 s5, 1, s28
	s_add_u32 s2, s22, s2
	v_add_nc_u32_e32 v66, 0x320, v53
	s_addc_u32 s3, s23, s3
	v_add_co_u32 v53, s2, s2, v49
	v_cmp_neq_f32_e64 s1, s30, 0
	v_add_co_ci_u32_e64 v54, null, s3, 0, s2
	v_mov_b32_e32 v67, 0x7f
	v_mov_b32_e32 v68, 7
	;; [unrolled: 1-line block ×3, first 2 shown]
	s_mov_b32 s16, s13
	s_mov_b32 s14, 0
	s_branch .LBB178_10
.LBB178_9:                              ;   in Loop: Header=BB178_10 Depth=1
	s_or_b32 exec_lo, exec_lo, s3
	v_add_nc_u32_e32 v69, 4, v69
	v_add_co_u32 v53, s3, v53, 16
	v_add_nc_u32_e32 v65, 32, v65
	v_add_nc_u32_e32 v66, 0x80, v66
	v_cmp_le_i32_e64 s2, s7, v69
	v_add_co_ci_u32_e64 v54, null, 0, v54, s3
	s_or_b32 s14, s2, s14
	s_andn2_b32 exec_lo, exec_lo, s14
	s_cbranch_execz .LBB178_396
.LBB178_10:                             ; =>This Inner Loop Header: Depth=1
	global_load_dword v49, v[53:54], off
	v_mov_b32_e32 v70, 0
	v_mov_b32_e32 v71, 0
	s_mov_b32 s3, exec_lo
	s_waitcnt vmcnt(0) lgkmcnt(0)
	v_mad_i64_i32 v[55:56], null, v49, s16, v[51:52]
	global_load_ubyte v72, v[55:56], off
	s_waitcnt vmcnt(0)
	v_cmpx_ne_u16_e32 0, v72
	s_cbranch_execz .LBB178_18
; %bb.11:                               ;   in Loop: Header=BB178_10 Depth=1
	v_bfrev_b32_e32 v71, 1
	s_mov_b32 s17, exec_lo
	v_cmpx_ne_u16_e32 0x80, v72
	s_cbranch_execz .LBB178_17
; %bb.12:                               ;   in Loop: Header=BB178_10 Depth=1
	v_and_b32_sdwa v73, v72, v67 dst_sel:DWORD dst_unused:UNUSED_PAD src0_sel:WORD_0 src1_sel:DWORD
	v_mov_b32_e32 v71, 0x7f800001
	s_mov_b32 s31, exec_lo
	v_cmpx_ne_u32_e32 0x7f, v73
	s_cbranch_execz .LBB178_16
; %bb.13:                               ;   in Loop: Header=BB178_10 Depth=1
	v_and_b32_sdwa v49, v72, v68 dst_sel:DWORD dst_unused:UNUSED_PAD src0_sel:WORD_0 src1_sel:DWORD
	v_lshrrev_b32_e32 v71, 3, v73
	s_mov_b32 s33, exec_lo
	v_cmpx_gt_u32_e32 8, v73
; %bb.14:                               ;   in Loop: Header=BB178_10 Depth=1
	v_ffbh_u32_e32 v71, v49
	v_min_u32_e32 v71, 32, v71
	v_subrev_nc_u32_e32 v73, 28, v71
	v_sub_nc_u32_e32 v71, 29, v71
	v_lshlrev_b64 v[73:74], v73, v[49:50]
	v_and_b32_e32 v49, 7, v73
; %bb.15:                               ;   in Loop: Header=BB178_10 Depth=1
	s_or_b32 exec_lo, exec_lo, s33
	v_lshlrev_b32_e32 v72, 24, v72
	v_lshlrev_b32_e32 v49, 20, v49
	v_lshl_add_u32 v71, v71, 23, 0x3c000000
	v_and_b32_e32 v72, 0x80000000, v72
	v_or3_b32 v71, v49, v72, v71
.LBB178_16:                             ;   in Loop: Header=BB178_10 Depth=1
	s_or_b32 exec_lo, exec_lo, s31
.LBB178_17:                             ;   in Loop: Header=BB178_10 Depth=1
	s_or_b32 exec_lo, exec_lo, s17
.LBB178_18:                             ;   in Loop: Header=BB178_10 Depth=1
	s_or_b32 exec_lo, exec_lo, s3
	global_load_ubyte v72, v[55:56], off offset:4
	s_mov_b32 s3, exec_lo
	s_waitcnt vmcnt(0)
	v_cmpx_ne_u16_e32 0, v72
	s_cbranch_execz .LBB178_26
; %bb.19:                               ;   in Loop: Header=BB178_10 Depth=1
	v_bfrev_b32_e32 v70, 1
	s_mov_b32 s17, exec_lo
	v_cmpx_ne_u16_e32 0x80, v72
	s_cbranch_execz .LBB178_25
; %bb.20:                               ;   in Loop: Header=BB178_10 Depth=1
	v_and_b32_sdwa v73, v72, v67 dst_sel:DWORD dst_unused:UNUSED_PAD src0_sel:WORD_0 src1_sel:DWORD
	v_mov_b32_e32 v70, 0x7f800001
	s_mov_b32 s31, exec_lo
	v_cmpx_ne_u32_e32 0x7f, v73
	s_cbranch_execz .LBB178_24
; %bb.21:                               ;   in Loop: Header=BB178_10 Depth=1
	v_and_b32_sdwa v49, v72, v68 dst_sel:DWORD dst_unused:UNUSED_PAD src0_sel:WORD_0 src1_sel:DWORD
	v_lshrrev_b32_e32 v70, 3, v73
	s_mov_b32 s33, exec_lo
	v_cmpx_gt_u32_e32 8, v73
; %bb.22:                               ;   in Loop: Header=BB178_10 Depth=1
	v_ffbh_u32_e32 v70, v49
	v_min_u32_e32 v70, 32, v70
	v_subrev_nc_u32_e32 v73, 28, v70
	v_sub_nc_u32_e32 v70, 29, v70
	v_lshlrev_b64 v[73:74], v73, v[49:50]
	v_and_b32_e32 v49, 7, v73
; %bb.23:                               ;   in Loop: Header=BB178_10 Depth=1
	s_or_b32 exec_lo, exec_lo, s33
	v_lshlrev_b32_e32 v72, 24, v72
	v_lshlrev_b32_e32 v49, 20, v49
	v_lshl_add_u32 v70, v70, 23, 0x3c000000
	v_and_b32_e32 v72, 0x80000000, v72
	v_or3_b32 v70, v49, v72, v70
.LBB178_24:                             ;   in Loop: Header=BB178_10 Depth=1
	s_or_b32 exec_lo, exec_lo, s31
.LBB178_25:                             ;   in Loop: Header=BB178_10 Depth=1
	s_or_b32 exec_lo, exec_lo, s17
.LBB178_26:                             ;   in Loop: Header=BB178_10 Depth=1
	s_or_b32 exec_lo, exec_lo, s3
	global_load_ubyte v74, v[55:56], off offset:8
	v_mov_b32_e32 v72, 0
	v_mov_b32_e32 v73, 0
	s_mov_b32 s3, exec_lo
	s_waitcnt vmcnt(0)
	v_cmpx_ne_u16_e32 0, v74
	s_cbranch_execz .LBB178_34
; %bb.27:                               ;   in Loop: Header=BB178_10 Depth=1
	v_bfrev_b32_e32 v73, 1
	s_mov_b32 s17, exec_lo
	v_cmpx_ne_u16_e32 0x80, v74
	s_cbranch_execz .LBB178_33
; %bb.28:                               ;   in Loop: Header=BB178_10 Depth=1
	v_and_b32_sdwa v75, v74, v67 dst_sel:DWORD dst_unused:UNUSED_PAD src0_sel:WORD_0 src1_sel:DWORD
	v_mov_b32_e32 v73, 0x7f800001
	s_mov_b32 s31, exec_lo
	v_cmpx_ne_u32_e32 0x7f, v75
	s_cbranch_execz .LBB178_32
; %bb.29:                               ;   in Loop: Header=BB178_10 Depth=1
	v_and_b32_sdwa v49, v74, v68 dst_sel:DWORD dst_unused:UNUSED_PAD src0_sel:WORD_0 src1_sel:DWORD
	v_lshrrev_b32_e32 v73, 3, v75
	s_mov_b32 s33, exec_lo
	v_cmpx_gt_u32_e32 8, v75
; %bb.30:                               ;   in Loop: Header=BB178_10 Depth=1
	v_ffbh_u32_e32 v73, v49
	v_min_u32_e32 v73, 32, v73
	v_subrev_nc_u32_e32 v75, 28, v73
	v_sub_nc_u32_e32 v73, 29, v73
	v_lshlrev_b64 v[75:76], v75, v[49:50]
	v_and_b32_e32 v49, 7, v75
; %bb.31:                               ;   in Loop: Header=BB178_10 Depth=1
	s_or_b32 exec_lo, exec_lo, s33
	v_lshlrev_b32_e32 v74, 24, v74
	v_lshlrev_b32_e32 v49, 20, v49
	v_lshl_add_u32 v73, v73, 23, 0x3c000000
	v_and_b32_e32 v74, 0x80000000, v74
	v_or3_b32 v73, v49, v74, v73
.LBB178_32:                             ;   in Loop: Header=BB178_10 Depth=1
	s_or_b32 exec_lo, exec_lo, s31
.LBB178_33:                             ;   in Loop: Header=BB178_10 Depth=1
	s_or_b32 exec_lo, exec_lo, s17
.LBB178_34:                             ;   in Loop: Header=BB178_10 Depth=1
	s_or_b32 exec_lo, exec_lo, s3
	global_load_ubyte v74, v[55:56], off offset:12
	s_mov_b32 s3, exec_lo
	s_waitcnt vmcnt(0)
	v_cmpx_ne_u16_e32 0, v74
	s_cbranch_execz .LBB178_42
; %bb.35:                               ;   in Loop: Header=BB178_10 Depth=1
	v_bfrev_b32_e32 v72, 1
	s_mov_b32 s17, exec_lo
	v_cmpx_ne_u16_e32 0x80, v74
	s_cbranch_execz .LBB178_41
; %bb.36:                               ;   in Loop: Header=BB178_10 Depth=1
	v_and_b32_sdwa v75, v74, v67 dst_sel:DWORD dst_unused:UNUSED_PAD src0_sel:WORD_0 src1_sel:DWORD
	v_mov_b32_e32 v72, 0x7f800001
	s_mov_b32 s31, exec_lo
	v_cmpx_ne_u32_e32 0x7f, v75
	s_cbranch_execz .LBB178_40
; %bb.37:                               ;   in Loop: Header=BB178_10 Depth=1
	v_and_b32_sdwa v49, v74, v68 dst_sel:DWORD dst_unused:UNUSED_PAD src0_sel:WORD_0 src1_sel:DWORD
	v_lshrrev_b32_e32 v72, 3, v75
	s_mov_b32 s33, exec_lo
	v_cmpx_gt_u32_e32 8, v75
; %bb.38:                               ;   in Loop: Header=BB178_10 Depth=1
	v_ffbh_u32_e32 v72, v49
	v_min_u32_e32 v72, 32, v72
	v_subrev_nc_u32_e32 v75, 28, v72
	v_sub_nc_u32_e32 v72, 29, v72
	v_lshlrev_b64 v[75:76], v75, v[49:50]
	v_and_b32_e32 v49, 7, v75
; %bb.39:                               ;   in Loop: Header=BB178_10 Depth=1
	s_or_b32 exec_lo, exec_lo, s33
	v_lshlrev_b32_e32 v74, 24, v74
	v_lshlrev_b32_e32 v49, 20, v49
	v_lshl_add_u32 v72, v72, 23, 0x3c000000
	v_and_b32_e32 v74, 0x80000000, v74
	v_or3_b32 v72, v49, v74, v72
.LBB178_40:                             ;   in Loop: Header=BB178_10 Depth=1
	s_or_b32 exec_lo, exec_lo, s31
.LBB178_41:                             ;   in Loop: Header=BB178_10 Depth=1
	s_or_b32 exec_lo, exec_lo, s17
.LBB178_42:                             ;   in Loop: Header=BB178_10 Depth=1
	s_or_b32 exec_lo, exec_lo, s3
	global_load_ubyte v76, v[55:56], off offset:128
	v_mov_b32_e32 v74, 0
	v_mov_b32_e32 v75, 0
	s_mov_b32 s3, exec_lo
	s_waitcnt vmcnt(0)
	v_cmpx_ne_u16_e32 0, v76
	s_cbranch_execz .LBB178_50
; %bb.43:                               ;   in Loop: Header=BB178_10 Depth=1
	v_bfrev_b32_e32 v75, 1
	s_mov_b32 s17, exec_lo
	v_cmpx_ne_u16_e32 0x80, v76
	s_cbranch_execz .LBB178_49
; %bb.44:                               ;   in Loop: Header=BB178_10 Depth=1
	v_and_b32_sdwa v77, v76, v67 dst_sel:DWORD dst_unused:UNUSED_PAD src0_sel:WORD_0 src1_sel:DWORD
	v_mov_b32_e32 v75, 0x7f800001
	s_mov_b32 s31, exec_lo
	v_cmpx_ne_u32_e32 0x7f, v77
	s_cbranch_execz .LBB178_48
; %bb.45:                               ;   in Loop: Header=BB178_10 Depth=1
	v_and_b32_sdwa v49, v76, v68 dst_sel:DWORD dst_unused:UNUSED_PAD src0_sel:WORD_0 src1_sel:DWORD
	v_lshrrev_b32_e32 v75, 3, v77
	s_mov_b32 s33, exec_lo
	v_cmpx_gt_u32_e32 8, v77
; %bb.46:                               ;   in Loop: Header=BB178_10 Depth=1
	v_ffbh_u32_e32 v75, v49
	v_min_u32_e32 v75, 32, v75
	v_subrev_nc_u32_e32 v77, 28, v75
	v_sub_nc_u32_e32 v75, 29, v75
	v_lshlrev_b64 v[77:78], v77, v[49:50]
	v_and_b32_e32 v49, 7, v77
; %bb.47:                               ;   in Loop: Header=BB178_10 Depth=1
	s_or_b32 exec_lo, exec_lo, s33
	v_lshlrev_b32_e32 v76, 24, v76
	v_lshlrev_b32_e32 v49, 20, v49
	v_lshl_add_u32 v75, v75, 23, 0x3c000000
	v_and_b32_e32 v76, 0x80000000, v76
	v_or3_b32 v75, v49, v76, v75
.LBB178_48:                             ;   in Loop: Header=BB178_10 Depth=1
	s_or_b32 exec_lo, exec_lo, s31
.LBB178_49:                             ;   in Loop: Header=BB178_10 Depth=1
	s_or_b32 exec_lo, exec_lo, s17
.LBB178_50:                             ;   in Loop: Header=BB178_10 Depth=1
	s_or_b32 exec_lo, exec_lo, s3
	global_load_ubyte v76, v[55:56], off offset:132
	s_mov_b32 s3, exec_lo
	s_waitcnt vmcnt(0)
	v_cmpx_ne_u16_e32 0, v76
	s_cbranch_execz .LBB178_58
; %bb.51:                               ;   in Loop: Header=BB178_10 Depth=1
	v_bfrev_b32_e32 v74, 1
	s_mov_b32 s17, exec_lo
	v_cmpx_ne_u16_e32 0x80, v76
	s_cbranch_execz .LBB178_57
; %bb.52:                               ;   in Loop: Header=BB178_10 Depth=1
	v_and_b32_sdwa v77, v76, v67 dst_sel:DWORD dst_unused:UNUSED_PAD src0_sel:WORD_0 src1_sel:DWORD
	v_mov_b32_e32 v74, 0x7f800001
	s_mov_b32 s31, exec_lo
	v_cmpx_ne_u32_e32 0x7f, v77
	s_cbranch_execz .LBB178_56
; %bb.53:                               ;   in Loop: Header=BB178_10 Depth=1
	v_and_b32_sdwa v49, v76, v68 dst_sel:DWORD dst_unused:UNUSED_PAD src0_sel:WORD_0 src1_sel:DWORD
	v_lshrrev_b32_e32 v74, 3, v77
	s_mov_b32 s33, exec_lo
	v_cmpx_gt_u32_e32 8, v77
; %bb.54:                               ;   in Loop: Header=BB178_10 Depth=1
	v_ffbh_u32_e32 v74, v49
	v_min_u32_e32 v74, 32, v74
	v_subrev_nc_u32_e32 v77, 28, v74
	v_sub_nc_u32_e32 v74, 29, v74
	v_lshlrev_b64 v[77:78], v77, v[49:50]
	v_and_b32_e32 v49, 7, v77
; %bb.55:                               ;   in Loop: Header=BB178_10 Depth=1
	s_or_b32 exec_lo, exec_lo, s33
	v_lshlrev_b32_e32 v76, 24, v76
	v_lshlrev_b32_e32 v49, 20, v49
	v_lshl_add_u32 v74, v74, 23, 0x3c000000
	v_and_b32_e32 v76, 0x80000000, v76
	v_or3_b32 v74, v49, v76, v74
.LBB178_56:                             ;   in Loop: Header=BB178_10 Depth=1
	s_or_b32 exec_lo, exec_lo, s31
.LBB178_57:                             ;   in Loop: Header=BB178_10 Depth=1
	s_or_b32 exec_lo, exec_lo, s17
.LBB178_58:                             ;   in Loop: Header=BB178_10 Depth=1
	s_or_b32 exec_lo, exec_lo, s3
	global_load_ubyte v78, v[55:56], off offset:136
	v_mov_b32_e32 v76, 0
	v_mov_b32_e32 v77, 0
	s_mov_b32 s3, exec_lo
	s_waitcnt vmcnt(0)
	v_cmpx_ne_u16_e32 0, v78
	s_cbranch_execz .LBB178_66
; %bb.59:                               ;   in Loop: Header=BB178_10 Depth=1
	v_bfrev_b32_e32 v77, 1
	s_mov_b32 s17, exec_lo
	v_cmpx_ne_u16_e32 0x80, v78
	s_cbranch_execz .LBB178_65
; %bb.60:                               ;   in Loop: Header=BB178_10 Depth=1
	v_and_b32_sdwa v79, v78, v67 dst_sel:DWORD dst_unused:UNUSED_PAD src0_sel:WORD_0 src1_sel:DWORD
	v_mov_b32_e32 v77, 0x7f800001
	s_mov_b32 s31, exec_lo
	v_cmpx_ne_u32_e32 0x7f, v79
	s_cbranch_execz .LBB178_64
; %bb.61:                               ;   in Loop: Header=BB178_10 Depth=1
	v_and_b32_sdwa v49, v78, v68 dst_sel:DWORD dst_unused:UNUSED_PAD src0_sel:WORD_0 src1_sel:DWORD
	v_lshrrev_b32_e32 v77, 3, v79
	s_mov_b32 s33, exec_lo
	v_cmpx_gt_u32_e32 8, v79
; %bb.62:                               ;   in Loop: Header=BB178_10 Depth=1
	v_ffbh_u32_e32 v77, v49
	v_min_u32_e32 v77, 32, v77
	v_subrev_nc_u32_e32 v79, 28, v77
	v_sub_nc_u32_e32 v77, 29, v77
	v_lshlrev_b64 v[79:80], v79, v[49:50]
	v_and_b32_e32 v49, 7, v79
; %bb.63:                               ;   in Loop: Header=BB178_10 Depth=1
	s_or_b32 exec_lo, exec_lo, s33
	v_lshlrev_b32_e32 v78, 24, v78
	v_lshlrev_b32_e32 v49, 20, v49
	v_lshl_add_u32 v77, v77, 23, 0x3c000000
	v_and_b32_e32 v78, 0x80000000, v78
	v_or3_b32 v77, v49, v78, v77
.LBB178_64:                             ;   in Loop: Header=BB178_10 Depth=1
	s_or_b32 exec_lo, exec_lo, s31
.LBB178_65:                             ;   in Loop: Header=BB178_10 Depth=1
	s_or_b32 exec_lo, exec_lo, s17
.LBB178_66:                             ;   in Loop: Header=BB178_10 Depth=1
	s_or_b32 exec_lo, exec_lo, s3
	global_load_ubyte v78, v[55:56], off offset:140
	s_mov_b32 s3, exec_lo
	s_waitcnt vmcnt(0)
	v_cmpx_ne_u16_e32 0, v78
	s_cbranch_execz .LBB178_74
; %bb.67:                               ;   in Loop: Header=BB178_10 Depth=1
	v_bfrev_b32_e32 v76, 1
	s_mov_b32 s17, exec_lo
	v_cmpx_ne_u16_e32 0x80, v78
	s_cbranch_execz .LBB178_73
; %bb.68:                               ;   in Loop: Header=BB178_10 Depth=1
	v_and_b32_sdwa v79, v78, v67 dst_sel:DWORD dst_unused:UNUSED_PAD src0_sel:WORD_0 src1_sel:DWORD
	v_mov_b32_e32 v76, 0x7f800001
	s_mov_b32 s31, exec_lo
	v_cmpx_ne_u32_e32 0x7f, v79
	s_cbranch_execz .LBB178_72
; %bb.69:                               ;   in Loop: Header=BB178_10 Depth=1
	v_and_b32_sdwa v49, v78, v68 dst_sel:DWORD dst_unused:UNUSED_PAD src0_sel:WORD_0 src1_sel:DWORD
	v_lshrrev_b32_e32 v76, 3, v79
	s_mov_b32 s33, exec_lo
	v_cmpx_gt_u32_e32 8, v79
; %bb.70:                               ;   in Loop: Header=BB178_10 Depth=1
	v_ffbh_u32_e32 v76, v49
	v_min_u32_e32 v76, 32, v76
	v_subrev_nc_u32_e32 v79, 28, v76
	v_sub_nc_u32_e32 v76, 29, v76
	v_lshlrev_b64 v[79:80], v79, v[49:50]
	v_and_b32_e32 v49, 7, v79
; %bb.71:                               ;   in Loop: Header=BB178_10 Depth=1
	s_or_b32 exec_lo, exec_lo, s33
	v_lshlrev_b32_e32 v78, 24, v78
	v_lshlrev_b32_e32 v49, 20, v49
	v_lshl_add_u32 v76, v76, 23, 0x3c000000
	v_and_b32_e32 v78, 0x80000000, v78
	v_or3_b32 v76, v49, v78, v76
.LBB178_72:                             ;   in Loop: Header=BB178_10 Depth=1
	s_or_b32 exec_lo, exec_lo, s31
.LBB178_73:                             ;   in Loop: Header=BB178_10 Depth=1
	s_or_b32 exec_lo, exec_lo, s17
.LBB178_74:                             ;   in Loop: Header=BB178_10 Depth=1
	s_or_b32 exec_lo, exec_lo, s3
	global_load_ubyte v80, v[55:56], off offset:256
	v_mov_b32_e32 v78, 0
	v_mov_b32_e32 v79, 0
	s_mov_b32 s3, exec_lo
	s_waitcnt vmcnt(0)
	v_cmpx_ne_u16_e32 0, v80
	s_cbranch_execz .LBB178_82
; %bb.75:                               ;   in Loop: Header=BB178_10 Depth=1
	v_bfrev_b32_e32 v79, 1
	s_mov_b32 s17, exec_lo
	v_cmpx_ne_u16_e32 0x80, v80
	s_cbranch_execz .LBB178_81
; %bb.76:                               ;   in Loop: Header=BB178_10 Depth=1
	v_and_b32_sdwa v81, v80, v67 dst_sel:DWORD dst_unused:UNUSED_PAD src0_sel:WORD_0 src1_sel:DWORD
	v_mov_b32_e32 v79, 0x7f800001
	s_mov_b32 s31, exec_lo
	v_cmpx_ne_u32_e32 0x7f, v81
	s_cbranch_execz .LBB178_80
; %bb.77:                               ;   in Loop: Header=BB178_10 Depth=1
	v_and_b32_sdwa v49, v80, v68 dst_sel:DWORD dst_unused:UNUSED_PAD src0_sel:WORD_0 src1_sel:DWORD
	v_lshrrev_b32_e32 v79, 3, v81
	s_mov_b32 s33, exec_lo
	v_cmpx_gt_u32_e32 8, v81
; %bb.78:                               ;   in Loop: Header=BB178_10 Depth=1
	v_ffbh_u32_e32 v79, v49
	v_min_u32_e32 v79, 32, v79
	v_subrev_nc_u32_e32 v81, 28, v79
	v_sub_nc_u32_e32 v79, 29, v79
	v_lshlrev_b64 v[81:82], v81, v[49:50]
	v_and_b32_e32 v49, 7, v81
; %bb.79:                               ;   in Loop: Header=BB178_10 Depth=1
	s_or_b32 exec_lo, exec_lo, s33
	v_lshlrev_b32_e32 v80, 24, v80
	v_lshlrev_b32_e32 v49, 20, v49
	v_lshl_add_u32 v79, v79, 23, 0x3c000000
	v_and_b32_e32 v80, 0x80000000, v80
	v_or3_b32 v79, v49, v80, v79
.LBB178_80:                             ;   in Loop: Header=BB178_10 Depth=1
	s_or_b32 exec_lo, exec_lo, s31
.LBB178_81:                             ;   in Loop: Header=BB178_10 Depth=1
	s_or_b32 exec_lo, exec_lo, s17
.LBB178_82:                             ;   in Loop: Header=BB178_10 Depth=1
	s_or_b32 exec_lo, exec_lo, s3
	global_load_ubyte v80, v[55:56], off offset:260
	s_mov_b32 s3, exec_lo
	s_waitcnt vmcnt(0)
	v_cmpx_ne_u16_e32 0, v80
	s_cbranch_execz .LBB178_90
; %bb.83:                               ;   in Loop: Header=BB178_10 Depth=1
	v_bfrev_b32_e32 v78, 1
	s_mov_b32 s17, exec_lo
	v_cmpx_ne_u16_e32 0x80, v80
	s_cbranch_execz .LBB178_89
; %bb.84:                               ;   in Loop: Header=BB178_10 Depth=1
	v_and_b32_sdwa v81, v80, v67 dst_sel:DWORD dst_unused:UNUSED_PAD src0_sel:WORD_0 src1_sel:DWORD
	v_mov_b32_e32 v78, 0x7f800001
	s_mov_b32 s31, exec_lo
	v_cmpx_ne_u32_e32 0x7f, v81
	s_cbranch_execz .LBB178_88
; %bb.85:                               ;   in Loop: Header=BB178_10 Depth=1
	v_and_b32_sdwa v49, v80, v68 dst_sel:DWORD dst_unused:UNUSED_PAD src0_sel:WORD_0 src1_sel:DWORD
	v_lshrrev_b32_e32 v78, 3, v81
	s_mov_b32 s33, exec_lo
	v_cmpx_gt_u32_e32 8, v81
; %bb.86:                               ;   in Loop: Header=BB178_10 Depth=1
	v_ffbh_u32_e32 v78, v49
	v_min_u32_e32 v78, 32, v78
	v_subrev_nc_u32_e32 v81, 28, v78
	v_sub_nc_u32_e32 v78, 29, v78
	v_lshlrev_b64 v[81:82], v81, v[49:50]
	v_and_b32_e32 v49, 7, v81
; %bb.87:                               ;   in Loop: Header=BB178_10 Depth=1
	s_or_b32 exec_lo, exec_lo, s33
	v_lshlrev_b32_e32 v80, 24, v80
	v_lshlrev_b32_e32 v49, 20, v49
	v_lshl_add_u32 v78, v78, 23, 0x3c000000
	v_and_b32_e32 v80, 0x80000000, v80
	v_or3_b32 v78, v49, v80, v78
.LBB178_88:                             ;   in Loop: Header=BB178_10 Depth=1
	s_or_b32 exec_lo, exec_lo, s31
.LBB178_89:                             ;   in Loop: Header=BB178_10 Depth=1
	s_or_b32 exec_lo, exec_lo, s17
.LBB178_90:                             ;   in Loop: Header=BB178_10 Depth=1
	s_or_b32 exec_lo, exec_lo, s3
	global_load_ubyte v82, v[55:56], off offset:264
	v_mov_b32_e32 v80, 0
	v_mov_b32_e32 v81, 0
	s_mov_b32 s3, exec_lo
	s_waitcnt vmcnt(0)
	v_cmpx_ne_u16_e32 0, v82
	s_cbranch_execz .LBB178_98
; %bb.91:                               ;   in Loop: Header=BB178_10 Depth=1
	v_bfrev_b32_e32 v81, 1
	s_mov_b32 s17, exec_lo
	v_cmpx_ne_u16_e32 0x80, v82
	s_cbranch_execz .LBB178_97
; %bb.92:                               ;   in Loop: Header=BB178_10 Depth=1
	v_and_b32_sdwa v83, v82, v67 dst_sel:DWORD dst_unused:UNUSED_PAD src0_sel:WORD_0 src1_sel:DWORD
	v_mov_b32_e32 v81, 0x7f800001
	s_mov_b32 s31, exec_lo
	v_cmpx_ne_u32_e32 0x7f, v83
	s_cbranch_execz .LBB178_96
; %bb.93:                               ;   in Loop: Header=BB178_10 Depth=1
	v_and_b32_sdwa v49, v82, v68 dst_sel:DWORD dst_unused:UNUSED_PAD src0_sel:WORD_0 src1_sel:DWORD
	v_lshrrev_b32_e32 v81, 3, v83
	s_mov_b32 s33, exec_lo
	v_cmpx_gt_u32_e32 8, v83
; %bb.94:                               ;   in Loop: Header=BB178_10 Depth=1
	v_ffbh_u32_e32 v81, v49
	v_min_u32_e32 v81, 32, v81
	v_subrev_nc_u32_e32 v83, 28, v81
	v_sub_nc_u32_e32 v81, 29, v81
	v_lshlrev_b64 v[83:84], v83, v[49:50]
	v_and_b32_e32 v49, 7, v83
; %bb.95:                               ;   in Loop: Header=BB178_10 Depth=1
	s_or_b32 exec_lo, exec_lo, s33
	v_lshlrev_b32_e32 v82, 24, v82
	v_lshlrev_b32_e32 v49, 20, v49
	v_lshl_add_u32 v81, v81, 23, 0x3c000000
	v_and_b32_e32 v82, 0x80000000, v82
	v_or3_b32 v81, v49, v82, v81
.LBB178_96:                             ;   in Loop: Header=BB178_10 Depth=1
	s_or_b32 exec_lo, exec_lo, s31
.LBB178_97:                             ;   in Loop: Header=BB178_10 Depth=1
	s_or_b32 exec_lo, exec_lo, s17
.LBB178_98:                             ;   in Loop: Header=BB178_10 Depth=1
	s_or_b32 exec_lo, exec_lo, s3
	global_load_ubyte v82, v[55:56], off offset:268
	s_mov_b32 s3, exec_lo
	s_waitcnt vmcnt(0)
	v_cmpx_ne_u16_e32 0, v82
	s_cbranch_execz .LBB178_106
; %bb.99:                               ;   in Loop: Header=BB178_10 Depth=1
	v_bfrev_b32_e32 v80, 1
	s_mov_b32 s17, exec_lo
	v_cmpx_ne_u16_e32 0x80, v82
	s_cbranch_execz .LBB178_105
; %bb.100:                              ;   in Loop: Header=BB178_10 Depth=1
	v_and_b32_sdwa v83, v82, v67 dst_sel:DWORD dst_unused:UNUSED_PAD src0_sel:WORD_0 src1_sel:DWORD
	v_mov_b32_e32 v80, 0x7f800001
	s_mov_b32 s31, exec_lo
	v_cmpx_ne_u32_e32 0x7f, v83
	s_cbranch_execz .LBB178_104
; %bb.101:                              ;   in Loop: Header=BB178_10 Depth=1
	v_and_b32_sdwa v49, v82, v68 dst_sel:DWORD dst_unused:UNUSED_PAD src0_sel:WORD_0 src1_sel:DWORD
	v_lshrrev_b32_e32 v80, 3, v83
	s_mov_b32 s33, exec_lo
	v_cmpx_gt_u32_e32 8, v83
; %bb.102:                              ;   in Loop: Header=BB178_10 Depth=1
	v_ffbh_u32_e32 v80, v49
	v_min_u32_e32 v80, 32, v80
	v_subrev_nc_u32_e32 v83, 28, v80
	v_sub_nc_u32_e32 v80, 29, v80
	v_lshlrev_b64 v[83:84], v83, v[49:50]
	v_and_b32_e32 v49, 7, v83
; %bb.103:                              ;   in Loop: Header=BB178_10 Depth=1
	s_or_b32 exec_lo, exec_lo, s33
	v_lshlrev_b32_e32 v82, 24, v82
	v_lshlrev_b32_e32 v49, 20, v49
	v_lshl_add_u32 v80, v80, 23, 0x3c000000
	v_and_b32_e32 v82, 0x80000000, v82
	v_or3_b32 v80, v49, v82, v80
.LBB178_104:                            ;   in Loop: Header=BB178_10 Depth=1
	s_or_b32 exec_lo, exec_lo, s31
.LBB178_105:                            ;   in Loop: Header=BB178_10 Depth=1
	s_or_b32 exec_lo, exec_lo, s17
.LBB178_106:                            ;   in Loop: Header=BB178_10 Depth=1
	s_or_b32 exec_lo, exec_lo, s3
	global_load_ubyte v84, v[55:56], off offset:384
	v_mov_b32_e32 v82, 0
	v_mov_b32_e32 v83, 0
	s_mov_b32 s3, exec_lo
	s_waitcnt vmcnt(0)
	v_cmpx_ne_u16_e32 0, v84
	s_cbranch_execz .LBB178_114
; %bb.107:                              ;   in Loop: Header=BB178_10 Depth=1
	v_bfrev_b32_e32 v83, 1
	s_mov_b32 s17, exec_lo
	v_cmpx_ne_u16_e32 0x80, v84
	s_cbranch_execz .LBB178_113
; %bb.108:                              ;   in Loop: Header=BB178_10 Depth=1
	v_and_b32_sdwa v85, v84, v67 dst_sel:DWORD dst_unused:UNUSED_PAD src0_sel:WORD_0 src1_sel:DWORD
	v_mov_b32_e32 v83, 0x7f800001
	s_mov_b32 s31, exec_lo
	v_cmpx_ne_u32_e32 0x7f, v85
	s_cbranch_execz .LBB178_112
; %bb.109:                              ;   in Loop: Header=BB178_10 Depth=1
	v_and_b32_sdwa v49, v84, v68 dst_sel:DWORD dst_unused:UNUSED_PAD src0_sel:WORD_0 src1_sel:DWORD
	v_lshrrev_b32_e32 v83, 3, v85
	s_mov_b32 s33, exec_lo
	v_cmpx_gt_u32_e32 8, v85
; %bb.110:                              ;   in Loop: Header=BB178_10 Depth=1
	v_ffbh_u32_e32 v83, v49
	v_min_u32_e32 v83, 32, v83
	v_subrev_nc_u32_e32 v85, 28, v83
	v_sub_nc_u32_e32 v83, 29, v83
	v_lshlrev_b64 v[85:86], v85, v[49:50]
	v_and_b32_e32 v49, 7, v85
; %bb.111:                              ;   in Loop: Header=BB178_10 Depth=1
	s_or_b32 exec_lo, exec_lo, s33
	v_lshlrev_b32_e32 v84, 24, v84
	v_lshlrev_b32_e32 v49, 20, v49
	v_lshl_add_u32 v83, v83, 23, 0x3c000000
	v_and_b32_e32 v84, 0x80000000, v84
	v_or3_b32 v83, v49, v84, v83
.LBB178_112:                            ;   in Loop: Header=BB178_10 Depth=1
	s_or_b32 exec_lo, exec_lo, s31
.LBB178_113:                            ;   in Loop: Header=BB178_10 Depth=1
	s_or_b32 exec_lo, exec_lo, s17
.LBB178_114:                            ;   in Loop: Header=BB178_10 Depth=1
	s_or_b32 exec_lo, exec_lo, s3
	global_load_ubyte v84, v[55:56], off offset:388
	s_mov_b32 s3, exec_lo
	s_waitcnt vmcnt(0)
	v_cmpx_ne_u16_e32 0, v84
	s_cbranch_execz .LBB178_122
; %bb.115:                              ;   in Loop: Header=BB178_10 Depth=1
	v_bfrev_b32_e32 v82, 1
	s_mov_b32 s17, exec_lo
	v_cmpx_ne_u16_e32 0x80, v84
	s_cbranch_execz .LBB178_121
; %bb.116:                              ;   in Loop: Header=BB178_10 Depth=1
	v_and_b32_sdwa v85, v84, v67 dst_sel:DWORD dst_unused:UNUSED_PAD src0_sel:WORD_0 src1_sel:DWORD
	v_mov_b32_e32 v82, 0x7f800001
	s_mov_b32 s31, exec_lo
	v_cmpx_ne_u32_e32 0x7f, v85
	s_cbranch_execz .LBB178_120
; %bb.117:                              ;   in Loop: Header=BB178_10 Depth=1
	v_and_b32_sdwa v49, v84, v68 dst_sel:DWORD dst_unused:UNUSED_PAD src0_sel:WORD_0 src1_sel:DWORD
	v_lshrrev_b32_e32 v82, 3, v85
	s_mov_b32 s33, exec_lo
	v_cmpx_gt_u32_e32 8, v85
; %bb.118:                              ;   in Loop: Header=BB178_10 Depth=1
	v_ffbh_u32_e32 v82, v49
	v_min_u32_e32 v82, 32, v82
	v_subrev_nc_u32_e32 v85, 28, v82
	v_sub_nc_u32_e32 v82, 29, v82
	v_lshlrev_b64 v[85:86], v85, v[49:50]
	v_and_b32_e32 v49, 7, v85
; %bb.119:                              ;   in Loop: Header=BB178_10 Depth=1
	s_or_b32 exec_lo, exec_lo, s33
	v_lshlrev_b32_e32 v84, 24, v84
	v_lshlrev_b32_e32 v49, 20, v49
	v_lshl_add_u32 v82, v82, 23, 0x3c000000
	v_and_b32_e32 v84, 0x80000000, v84
	v_or3_b32 v82, v49, v84, v82
.LBB178_120:                            ;   in Loop: Header=BB178_10 Depth=1
	s_or_b32 exec_lo, exec_lo, s31
.LBB178_121:                            ;   in Loop: Header=BB178_10 Depth=1
	s_or_b32 exec_lo, exec_lo, s17
.LBB178_122:                            ;   in Loop: Header=BB178_10 Depth=1
	s_or_b32 exec_lo, exec_lo, s3
	global_load_ubyte v86, v[55:56], off offset:392
	v_mov_b32_e32 v84, 0
	v_mov_b32_e32 v85, 0
	s_mov_b32 s3, exec_lo
	s_waitcnt vmcnt(0)
	v_cmpx_ne_u16_e32 0, v86
	s_cbranch_execz .LBB178_130
; %bb.123:                              ;   in Loop: Header=BB178_10 Depth=1
	v_bfrev_b32_e32 v85, 1
	s_mov_b32 s17, exec_lo
	v_cmpx_ne_u16_e32 0x80, v86
	s_cbranch_execz .LBB178_129
; %bb.124:                              ;   in Loop: Header=BB178_10 Depth=1
	v_and_b32_sdwa v87, v86, v67 dst_sel:DWORD dst_unused:UNUSED_PAD src0_sel:WORD_0 src1_sel:DWORD
	v_mov_b32_e32 v85, 0x7f800001
	s_mov_b32 s31, exec_lo
	v_cmpx_ne_u32_e32 0x7f, v87
	s_cbranch_execz .LBB178_128
; %bb.125:                              ;   in Loop: Header=BB178_10 Depth=1
	v_and_b32_sdwa v49, v86, v68 dst_sel:DWORD dst_unused:UNUSED_PAD src0_sel:WORD_0 src1_sel:DWORD
	v_lshrrev_b32_e32 v85, 3, v87
	s_mov_b32 s33, exec_lo
	v_cmpx_gt_u32_e32 8, v87
; %bb.126:                              ;   in Loop: Header=BB178_10 Depth=1
	v_ffbh_u32_e32 v85, v49
	v_min_u32_e32 v85, 32, v85
	v_subrev_nc_u32_e32 v87, 28, v85
	v_sub_nc_u32_e32 v85, 29, v85
	v_lshlrev_b64 v[87:88], v87, v[49:50]
	v_and_b32_e32 v49, 7, v87
; %bb.127:                              ;   in Loop: Header=BB178_10 Depth=1
	s_or_b32 exec_lo, exec_lo, s33
	v_lshlrev_b32_e32 v86, 24, v86
	v_lshlrev_b32_e32 v49, 20, v49
	v_lshl_add_u32 v85, v85, 23, 0x3c000000
	v_and_b32_e32 v86, 0x80000000, v86
	v_or3_b32 v85, v49, v86, v85
.LBB178_128:                            ;   in Loop: Header=BB178_10 Depth=1
	s_or_b32 exec_lo, exec_lo, s31
.LBB178_129:                            ;   in Loop: Header=BB178_10 Depth=1
	s_or_b32 exec_lo, exec_lo, s17
.LBB178_130:                            ;   in Loop: Header=BB178_10 Depth=1
	s_or_b32 exec_lo, exec_lo, s3
	global_load_ubyte v86, v[55:56], off offset:396
	s_mov_b32 s3, exec_lo
	s_waitcnt vmcnt(0)
	v_cmpx_ne_u16_e32 0, v86
	s_cbranch_execz .LBB178_138
; %bb.131:                              ;   in Loop: Header=BB178_10 Depth=1
	v_bfrev_b32_e32 v84, 1
	s_mov_b32 s17, exec_lo
	v_cmpx_ne_u16_e32 0x80, v86
	s_cbranch_execz .LBB178_137
; %bb.132:                              ;   in Loop: Header=BB178_10 Depth=1
	v_and_b32_sdwa v87, v86, v67 dst_sel:DWORD dst_unused:UNUSED_PAD src0_sel:WORD_0 src1_sel:DWORD
	v_mov_b32_e32 v84, 0x7f800001
	s_mov_b32 s31, exec_lo
	v_cmpx_ne_u32_e32 0x7f, v87
	s_cbranch_execz .LBB178_136
; %bb.133:                              ;   in Loop: Header=BB178_10 Depth=1
	v_and_b32_sdwa v49, v86, v68 dst_sel:DWORD dst_unused:UNUSED_PAD src0_sel:WORD_0 src1_sel:DWORD
	v_lshrrev_b32_e32 v84, 3, v87
	s_mov_b32 s33, exec_lo
	v_cmpx_gt_u32_e32 8, v87
; %bb.134:                              ;   in Loop: Header=BB178_10 Depth=1
	v_ffbh_u32_e32 v84, v49
	v_min_u32_e32 v84, 32, v84
	v_subrev_nc_u32_e32 v87, 28, v84
	v_sub_nc_u32_e32 v84, 29, v84
	v_lshlrev_b64 v[87:88], v87, v[49:50]
	v_and_b32_e32 v49, 7, v87
; %bb.135:                              ;   in Loop: Header=BB178_10 Depth=1
	s_or_b32 exec_lo, exec_lo, s33
	v_lshlrev_b32_e32 v86, 24, v86
	v_lshlrev_b32_e32 v49, 20, v49
	v_lshl_add_u32 v84, v84, 23, 0x3c000000
	v_and_b32_e32 v86, 0x80000000, v86
	v_or3_b32 v84, v49, v86, v84
.LBB178_136:                            ;   in Loop: Header=BB178_10 Depth=1
	s_or_b32 exec_lo, exec_lo, s31
.LBB178_137:                            ;   in Loop: Header=BB178_10 Depth=1
	s_or_b32 exec_lo, exec_lo, s17
.LBB178_138:                            ;   in Loop: Header=BB178_10 Depth=1
	s_or_b32 exec_lo, exec_lo, s3
	global_load_ubyte v88, v[55:56], off offset:512
	v_mov_b32_e32 v86, 0
	v_mov_b32_e32 v87, 0
	s_mov_b32 s3, exec_lo
	s_waitcnt vmcnt(0)
	v_cmpx_ne_u16_e32 0, v88
	s_cbranch_execz .LBB178_146
; %bb.139:                              ;   in Loop: Header=BB178_10 Depth=1
	v_bfrev_b32_e32 v87, 1
	s_mov_b32 s17, exec_lo
	v_cmpx_ne_u16_e32 0x80, v88
	s_cbranch_execz .LBB178_145
; %bb.140:                              ;   in Loop: Header=BB178_10 Depth=1
	v_and_b32_sdwa v89, v88, v67 dst_sel:DWORD dst_unused:UNUSED_PAD src0_sel:WORD_0 src1_sel:DWORD
	v_mov_b32_e32 v87, 0x7f800001
	s_mov_b32 s31, exec_lo
	v_cmpx_ne_u32_e32 0x7f, v89
	s_cbranch_execz .LBB178_144
; %bb.141:                              ;   in Loop: Header=BB178_10 Depth=1
	v_and_b32_sdwa v49, v88, v68 dst_sel:DWORD dst_unused:UNUSED_PAD src0_sel:WORD_0 src1_sel:DWORD
	v_lshrrev_b32_e32 v87, 3, v89
	s_mov_b32 s33, exec_lo
	v_cmpx_gt_u32_e32 8, v89
; %bb.142:                              ;   in Loop: Header=BB178_10 Depth=1
	v_ffbh_u32_e32 v87, v49
	v_min_u32_e32 v87, 32, v87
	v_subrev_nc_u32_e32 v89, 28, v87
	v_sub_nc_u32_e32 v87, 29, v87
	v_lshlrev_b64 v[89:90], v89, v[49:50]
	v_and_b32_e32 v49, 7, v89
; %bb.143:                              ;   in Loop: Header=BB178_10 Depth=1
	s_or_b32 exec_lo, exec_lo, s33
	v_lshlrev_b32_e32 v88, 24, v88
	v_lshlrev_b32_e32 v49, 20, v49
	v_lshl_add_u32 v87, v87, 23, 0x3c000000
	v_and_b32_e32 v88, 0x80000000, v88
	v_or3_b32 v87, v49, v88, v87
.LBB178_144:                            ;   in Loop: Header=BB178_10 Depth=1
	s_or_b32 exec_lo, exec_lo, s31
.LBB178_145:                            ;   in Loop: Header=BB178_10 Depth=1
	s_or_b32 exec_lo, exec_lo, s17
.LBB178_146:                            ;   in Loop: Header=BB178_10 Depth=1
	s_or_b32 exec_lo, exec_lo, s3
	global_load_ubyte v88, v[55:56], off offset:516
	s_mov_b32 s3, exec_lo
	s_waitcnt vmcnt(0)
	v_cmpx_ne_u16_e32 0, v88
	s_cbranch_execz .LBB178_154
; %bb.147:                              ;   in Loop: Header=BB178_10 Depth=1
	v_bfrev_b32_e32 v86, 1
	s_mov_b32 s17, exec_lo
	v_cmpx_ne_u16_e32 0x80, v88
	s_cbranch_execz .LBB178_153
; %bb.148:                              ;   in Loop: Header=BB178_10 Depth=1
	v_and_b32_sdwa v89, v88, v67 dst_sel:DWORD dst_unused:UNUSED_PAD src0_sel:WORD_0 src1_sel:DWORD
	v_mov_b32_e32 v86, 0x7f800001
	s_mov_b32 s31, exec_lo
	v_cmpx_ne_u32_e32 0x7f, v89
	s_cbranch_execz .LBB178_152
; %bb.149:                              ;   in Loop: Header=BB178_10 Depth=1
	v_and_b32_sdwa v49, v88, v68 dst_sel:DWORD dst_unused:UNUSED_PAD src0_sel:WORD_0 src1_sel:DWORD
	v_lshrrev_b32_e32 v86, 3, v89
	s_mov_b32 s33, exec_lo
	v_cmpx_gt_u32_e32 8, v89
; %bb.150:                              ;   in Loop: Header=BB178_10 Depth=1
	v_ffbh_u32_e32 v86, v49
	v_min_u32_e32 v86, 32, v86
	v_subrev_nc_u32_e32 v89, 28, v86
	v_sub_nc_u32_e32 v86, 29, v86
	v_lshlrev_b64 v[89:90], v89, v[49:50]
	v_and_b32_e32 v49, 7, v89
; %bb.151:                              ;   in Loop: Header=BB178_10 Depth=1
	s_or_b32 exec_lo, exec_lo, s33
	v_lshlrev_b32_e32 v88, 24, v88
	v_lshlrev_b32_e32 v49, 20, v49
	v_lshl_add_u32 v86, v86, 23, 0x3c000000
	v_and_b32_e32 v88, 0x80000000, v88
	v_or3_b32 v86, v49, v88, v86
.LBB178_152:                            ;   in Loop: Header=BB178_10 Depth=1
	s_or_b32 exec_lo, exec_lo, s31
.LBB178_153:                            ;   in Loop: Header=BB178_10 Depth=1
	s_or_b32 exec_lo, exec_lo, s17
.LBB178_154:                            ;   in Loop: Header=BB178_10 Depth=1
	s_or_b32 exec_lo, exec_lo, s3
	global_load_ubyte v90, v[55:56], off offset:520
	v_mov_b32_e32 v88, 0
	v_mov_b32_e32 v89, 0
	s_mov_b32 s3, exec_lo
	s_waitcnt vmcnt(0)
	v_cmpx_ne_u16_e32 0, v90
	s_cbranch_execz .LBB178_162
; %bb.155:                              ;   in Loop: Header=BB178_10 Depth=1
	v_bfrev_b32_e32 v89, 1
	s_mov_b32 s17, exec_lo
	v_cmpx_ne_u16_e32 0x80, v90
	s_cbranch_execz .LBB178_161
; %bb.156:                              ;   in Loop: Header=BB178_10 Depth=1
	v_and_b32_sdwa v91, v90, v67 dst_sel:DWORD dst_unused:UNUSED_PAD src0_sel:WORD_0 src1_sel:DWORD
	v_mov_b32_e32 v89, 0x7f800001
	s_mov_b32 s31, exec_lo
	v_cmpx_ne_u32_e32 0x7f, v91
	s_cbranch_execz .LBB178_160
; %bb.157:                              ;   in Loop: Header=BB178_10 Depth=1
	v_and_b32_sdwa v49, v90, v68 dst_sel:DWORD dst_unused:UNUSED_PAD src0_sel:WORD_0 src1_sel:DWORD
	v_lshrrev_b32_e32 v89, 3, v91
	s_mov_b32 s33, exec_lo
	v_cmpx_gt_u32_e32 8, v91
; %bb.158:                              ;   in Loop: Header=BB178_10 Depth=1
	v_ffbh_u32_e32 v89, v49
	v_min_u32_e32 v89, 32, v89
	v_subrev_nc_u32_e32 v91, 28, v89
	v_sub_nc_u32_e32 v89, 29, v89
	v_lshlrev_b64 v[91:92], v91, v[49:50]
	v_and_b32_e32 v49, 7, v91
; %bb.159:                              ;   in Loop: Header=BB178_10 Depth=1
	s_or_b32 exec_lo, exec_lo, s33
	v_lshlrev_b32_e32 v90, 24, v90
	v_lshlrev_b32_e32 v49, 20, v49
	v_lshl_add_u32 v89, v89, 23, 0x3c000000
	v_and_b32_e32 v90, 0x80000000, v90
	v_or3_b32 v89, v49, v90, v89
.LBB178_160:                            ;   in Loop: Header=BB178_10 Depth=1
	s_or_b32 exec_lo, exec_lo, s31
.LBB178_161:                            ;   in Loop: Header=BB178_10 Depth=1
	s_or_b32 exec_lo, exec_lo, s17
.LBB178_162:                            ;   in Loop: Header=BB178_10 Depth=1
	s_or_b32 exec_lo, exec_lo, s3
	global_load_ubyte v90, v[55:56], off offset:524
	s_mov_b32 s3, exec_lo
	s_waitcnt vmcnt(0)
	v_cmpx_ne_u16_e32 0, v90
	s_cbranch_execz .LBB178_170
; %bb.163:                              ;   in Loop: Header=BB178_10 Depth=1
	v_bfrev_b32_e32 v88, 1
	s_mov_b32 s17, exec_lo
	v_cmpx_ne_u16_e32 0x80, v90
	s_cbranch_execz .LBB178_169
; %bb.164:                              ;   in Loop: Header=BB178_10 Depth=1
	v_and_b32_sdwa v91, v90, v67 dst_sel:DWORD dst_unused:UNUSED_PAD src0_sel:WORD_0 src1_sel:DWORD
	v_mov_b32_e32 v88, 0x7f800001
	s_mov_b32 s31, exec_lo
	v_cmpx_ne_u32_e32 0x7f, v91
	s_cbranch_execz .LBB178_168
; %bb.165:                              ;   in Loop: Header=BB178_10 Depth=1
	v_and_b32_sdwa v49, v90, v68 dst_sel:DWORD dst_unused:UNUSED_PAD src0_sel:WORD_0 src1_sel:DWORD
	v_lshrrev_b32_e32 v88, 3, v91
	s_mov_b32 s33, exec_lo
	v_cmpx_gt_u32_e32 8, v91
; %bb.166:                              ;   in Loop: Header=BB178_10 Depth=1
	v_ffbh_u32_e32 v88, v49
	v_min_u32_e32 v88, 32, v88
	v_subrev_nc_u32_e32 v91, 28, v88
	v_sub_nc_u32_e32 v88, 29, v88
	v_lshlrev_b64 v[91:92], v91, v[49:50]
	v_and_b32_e32 v49, 7, v91
; %bb.167:                              ;   in Loop: Header=BB178_10 Depth=1
	s_or_b32 exec_lo, exec_lo, s33
	v_lshlrev_b32_e32 v90, 24, v90
	v_lshlrev_b32_e32 v49, 20, v49
	v_lshl_add_u32 v88, v88, 23, 0x3c000000
	v_and_b32_e32 v90, 0x80000000, v90
	v_or3_b32 v88, v49, v90, v88
.LBB178_168:                            ;   in Loop: Header=BB178_10 Depth=1
	s_or_b32 exec_lo, exec_lo, s31
.LBB178_169:                            ;   in Loop: Header=BB178_10 Depth=1
	s_or_b32 exec_lo, exec_lo, s17
.LBB178_170:                            ;   in Loop: Header=BB178_10 Depth=1
	s_or_b32 exec_lo, exec_lo, s3
	global_load_ubyte v92, v[55:56], off offset:640
	v_mov_b32_e32 v90, 0
	v_mov_b32_e32 v91, 0
	s_mov_b32 s3, exec_lo
	s_waitcnt vmcnt(0)
	v_cmpx_ne_u16_e32 0, v92
	s_cbranch_execz .LBB178_178
; %bb.171:                              ;   in Loop: Header=BB178_10 Depth=1
	v_bfrev_b32_e32 v91, 1
	s_mov_b32 s17, exec_lo
	v_cmpx_ne_u16_e32 0x80, v92
	s_cbranch_execz .LBB178_177
; %bb.172:                              ;   in Loop: Header=BB178_10 Depth=1
	v_and_b32_sdwa v93, v92, v67 dst_sel:DWORD dst_unused:UNUSED_PAD src0_sel:WORD_0 src1_sel:DWORD
	v_mov_b32_e32 v91, 0x7f800001
	s_mov_b32 s31, exec_lo
	v_cmpx_ne_u32_e32 0x7f, v93
	s_cbranch_execz .LBB178_176
; %bb.173:                              ;   in Loop: Header=BB178_10 Depth=1
	v_and_b32_sdwa v49, v92, v68 dst_sel:DWORD dst_unused:UNUSED_PAD src0_sel:WORD_0 src1_sel:DWORD
	v_lshrrev_b32_e32 v91, 3, v93
	s_mov_b32 s33, exec_lo
	v_cmpx_gt_u32_e32 8, v93
; %bb.174:                              ;   in Loop: Header=BB178_10 Depth=1
	v_ffbh_u32_e32 v91, v49
	v_min_u32_e32 v91, 32, v91
	v_subrev_nc_u32_e32 v93, 28, v91
	v_sub_nc_u32_e32 v91, 29, v91
	v_lshlrev_b64 v[93:94], v93, v[49:50]
	v_and_b32_e32 v49, 7, v93
; %bb.175:                              ;   in Loop: Header=BB178_10 Depth=1
	s_or_b32 exec_lo, exec_lo, s33
	v_lshlrev_b32_e32 v92, 24, v92
	v_lshlrev_b32_e32 v49, 20, v49
	v_lshl_add_u32 v91, v91, 23, 0x3c000000
	v_and_b32_e32 v92, 0x80000000, v92
	v_or3_b32 v91, v49, v92, v91
.LBB178_176:                            ;   in Loop: Header=BB178_10 Depth=1
	s_or_b32 exec_lo, exec_lo, s31
.LBB178_177:                            ;   in Loop: Header=BB178_10 Depth=1
	s_or_b32 exec_lo, exec_lo, s17
.LBB178_178:                            ;   in Loop: Header=BB178_10 Depth=1
	s_or_b32 exec_lo, exec_lo, s3
	global_load_ubyte v92, v[55:56], off offset:644
	s_mov_b32 s3, exec_lo
	s_waitcnt vmcnt(0)
	v_cmpx_ne_u16_e32 0, v92
	s_cbranch_execz .LBB178_186
; %bb.179:                              ;   in Loop: Header=BB178_10 Depth=1
	v_bfrev_b32_e32 v90, 1
	s_mov_b32 s17, exec_lo
	v_cmpx_ne_u16_e32 0x80, v92
	s_cbranch_execz .LBB178_185
; %bb.180:                              ;   in Loop: Header=BB178_10 Depth=1
	v_and_b32_sdwa v93, v92, v67 dst_sel:DWORD dst_unused:UNUSED_PAD src0_sel:WORD_0 src1_sel:DWORD
	v_mov_b32_e32 v90, 0x7f800001
	s_mov_b32 s31, exec_lo
	v_cmpx_ne_u32_e32 0x7f, v93
	s_cbranch_execz .LBB178_184
; %bb.181:                              ;   in Loop: Header=BB178_10 Depth=1
	v_and_b32_sdwa v49, v92, v68 dst_sel:DWORD dst_unused:UNUSED_PAD src0_sel:WORD_0 src1_sel:DWORD
	v_lshrrev_b32_e32 v90, 3, v93
	s_mov_b32 s33, exec_lo
	v_cmpx_gt_u32_e32 8, v93
; %bb.182:                              ;   in Loop: Header=BB178_10 Depth=1
	v_ffbh_u32_e32 v90, v49
	v_min_u32_e32 v90, 32, v90
	v_subrev_nc_u32_e32 v93, 28, v90
	v_sub_nc_u32_e32 v90, 29, v90
	v_lshlrev_b64 v[93:94], v93, v[49:50]
	v_and_b32_e32 v49, 7, v93
; %bb.183:                              ;   in Loop: Header=BB178_10 Depth=1
	s_or_b32 exec_lo, exec_lo, s33
	v_lshlrev_b32_e32 v92, 24, v92
	v_lshlrev_b32_e32 v49, 20, v49
	v_lshl_add_u32 v90, v90, 23, 0x3c000000
	v_and_b32_e32 v92, 0x80000000, v92
	v_or3_b32 v90, v49, v92, v90
.LBB178_184:                            ;   in Loop: Header=BB178_10 Depth=1
	s_or_b32 exec_lo, exec_lo, s31
.LBB178_185:                            ;   in Loop: Header=BB178_10 Depth=1
	s_or_b32 exec_lo, exec_lo, s17
.LBB178_186:                            ;   in Loop: Header=BB178_10 Depth=1
	s_or_b32 exec_lo, exec_lo, s3
	global_load_ubyte v94, v[55:56], off offset:648
	v_mov_b32_e32 v92, 0
	v_mov_b32_e32 v93, 0
	s_mov_b32 s3, exec_lo
	s_waitcnt vmcnt(0)
	v_cmpx_ne_u16_e32 0, v94
	s_cbranch_execz .LBB178_194
; %bb.187:                              ;   in Loop: Header=BB178_10 Depth=1
	v_bfrev_b32_e32 v93, 1
	s_mov_b32 s17, exec_lo
	v_cmpx_ne_u16_e32 0x80, v94
	s_cbranch_execz .LBB178_193
; %bb.188:                              ;   in Loop: Header=BB178_10 Depth=1
	v_and_b32_sdwa v95, v94, v67 dst_sel:DWORD dst_unused:UNUSED_PAD src0_sel:WORD_0 src1_sel:DWORD
	v_mov_b32_e32 v93, 0x7f800001
	s_mov_b32 s31, exec_lo
	v_cmpx_ne_u32_e32 0x7f, v95
	s_cbranch_execz .LBB178_192
; %bb.189:                              ;   in Loop: Header=BB178_10 Depth=1
	v_and_b32_sdwa v49, v94, v68 dst_sel:DWORD dst_unused:UNUSED_PAD src0_sel:WORD_0 src1_sel:DWORD
	v_lshrrev_b32_e32 v93, 3, v95
	s_mov_b32 s33, exec_lo
	v_cmpx_gt_u32_e32 8, v95
; %bb.190:                              ;   in Loop: Header=BB178_10 Depth=1
	v_ffbh_u32_e32 v93, v49
	v_min_u32_e32 v93, 32, v93
	v_subrev_nc_u32_e32 v95, 28, v93
	v_sub_nc_u32_e32 v93, 29, v93
	v_lshlrev_b64 v[95:96], v95, v[49:50]
	v_and_b32_e32 v49, 7, v95
; %bb.191:                              ;   in Loop: Header=BB178_10 Depth=1
	s_or_b32 exec_lo, exec_lo, s33
	v_lshlrev_b32_e32 v94, 24, v94
	v_lshlrev_b32_e32 v49, 20, v49
	v_lshl_add_u32 v93, v93, 23, 0x3c000000
	v_and_b32_e32 v94, 0x80000000, v94
	v_or3_b32 v93, v49, v94, v93
.LBB178_192:                            ;   in Loop: Header=BB178_10 Depth=1
	s_or_b32 exec_lo, exec_lo, s31
.LBB178_193:                            ;   in Loop: Header=BB178_10 Depth=1
	s_or_b32 exec_lo, exec_lo, s17
.LBB178_194:                            ;   in Loop: Header=BB178_10 Depth=1
	s_or_b32 exec_lo, exec_lo, s3
	global_load_ubyte v94, v[55:56], off offset:652
	s_mov_b32 s3, exec_lo
	s_waitcnt vmcnt(0)
	v_cmpx_ne_u16_e32 0, v94
	s_cbranch_execz .LBB178_202
; %bb.195:                              ;   in Loop: Header=BB178_10 Depth=1
	v_bfrev_b32_e32 v92, 1
	s_mov_b32 s17, exec_lo
	v_cmpx_ne_u16_e32 0x80, v94
	s_cbranch_execz .LBB178_201
; %bb.196:                              ;   in Loop: Header=BB178_10 Depth=1
	v_and_b32_sdwa v95, v94, v67 dst_sel:DWORD dst_unused:UNUSED_PAD src0_sel:WORD_0 src1_sel:DWORD
	v_mov_b32_e32 v92, 0x7f800001
	s_mov_b32 s31, exec_lo
	v_cmpx_ne_u32_e32 0x7f, v95
	s_cbranch_execz .LBB178_200
; %bb.197:                              ;   in Loop: Header=BB178_10 Depth=1
	v_and_b32_sdwa v49, v94, v68 dst_sel:DWORD dst_unused:UNUSED_PAD src0_sel:WORD_0 src1_sel:DWORD
	v_lshrrev_b32_e32 v92, 3, v95
	s_mov_b32 s33, exec_lo
	v_cmpx_gt_u32_e32 8, v95
; %bb.198:                              ;   in Loop: Header=BB178_10 Depth=1
	v_ffbh_u32_e32 v92, v49
	v_min_u32_e32 v92, 32, v92
	v_subrev_nc_u32_e32 v95, 28, v92
	v_sub_nc_u32_e32 v92, 29, v92
	v_lshlrev_b64 v[95:96], v95, v[49:50]
	v_and_b32_e32 v49, 7, v95
; %bb.199:                              ;   in Loop: Header=BB178_10 Depth=1
	s_or_b32 exec_lo, exec_lo, s33
	v_lshlrev_b32_e32 v94, 24, v94
	v_lshlrev_b32_e32 v49, 20, v49
	v_lshl_add_u32 v92, v92, 23, 0x3c000000
	v_and_b32_e32 v94, 0x80000000, v94
	v_or3_b32 v92, v49, v94, v92
.LBB178_200:                            ;   in Loop: Header=BB178_10 Depth=1
	s_or_b32 exec_lo, exec_lo, s31
.LBB178_201:                            ;   in Loop: Header=BB178_10 Depth=1
	s_or_b32 exec_lo, exec_lo, s17
.LBB178_202:                            ;   in Loop: Header=BB178_10 Depth=1
	s_or_b32 exec_lo, exec_lo, s3
	global_load_ubyte v96, v[55:56], off offset:768
	v_mov_b32_e32 v94, 0
	v_mov_b32_e32 v95, 0
	s_mov_b32 s3, exec_lo
	s_waitcnt vmcnt(0)
	v_cmpx_ne_u16_e32 0, v96
	s_cbranch_execz .LBB178_210
; %bb.203:                              ;   in Loop: Header=BB178_10 Depth=1
	v_bfrev_b32_e32 v95, 1
	s_mov_b32 s17, exec_lo
	v_cmpx_ne_u16_e32 0x80, v96
	s_cbranch_execz .LBB178_209
; %bb.204:                              ;   in Loop: Header=BB178_10 Depth=1
	v_and_b32_sdwa v97, v96, v67 dst_sel:DWORD dst_unused:UNUSED_PAD src0_sel:WORD_0 src1_sel:DWORD
	v_mov_b32_e32 v95, 0x7f800001
	s_mov_b32 s31, exec_lo
	v_cmpx_ne_u32_e32 0x7f, v97
	s_cbranch_execz .LBB178_208
; %bb.205:                              ;   in Loop: Header=BB178_10 Depth=1
	v_and_b32_sdwa v49, v96, v68 dst_sel:DWORD dst_unused:UNUSED_PAD src0_sel:WORD_0 src1_sel:DWORD
	v_lshrrev_b32_e32 v95, 3, v97
	s_mov_b32 s33, exec_lo
	v_cmpx_gt_u32_e32 8, v97
; %bb.206:                              ;   in Loop: Header=BB178_10 Depth=1
	v_ffbh_u32_e32 v95, v49
	v_min_u32_e32 v95, 32, v95
	v_subrev_nc_u32_e32 v97, 28, v95
	v_sub_nc_u32_e32 v95, 29, v95
	v_lshlrev_b64 v[97:98], v97, v[49:50]
	v_and_b32_e32 v49, 7, v97
; %bb.207:                              ;   in Loop: Header=BB178_10 Depth=1
	s_or_b32 exec_lo, exec_lo, s33
	v_lshlrev_b32_e32 v96, 24, v96
	v_lshlrev_b32_e32 v49, 20, v49
	v_lshl_add_u32 v95, v95, 23, 0x3c000000
	v_and_b32_e32 v96, 0x80000000, v96
	v_or3_b32 v95, v49, v96, v95
.LBB178_208:                            ;   in Loop: Header=BB178_10 Depth=1
	s_or_b32 exec_lo, exec_lo, s31
.LBB178_209:                            ;   in Loop: Header=BB178_10 Depth=1
	s_or_b32 exec_lo, exec_lo, s17
.LBB178_210:                            ;   in Loop: Header=BB178_10 Depth=1
	s_or_b32 exec_lo, exec_lo, s3
	global_load_ubyte v96, v[55:56], off offset:772
	s_mov_b32 s3, exec_lo
	s_waitcnt vmcnt(0)
	v_cmpx_ne_u16_e32 0, v96
	s_cbranch_execz .LBB178_218
; %bb.211:                              ;   in Loop: Header=BB178_10 Depth=1
	v_bfrev_b32_e32 v94, 1
	s_mov_b32 s17, exec_lo
	v_cmpx_ne_u16_e32 0x80, v96
	s_cbranch_execz .LBB178_217
; %bb.212:                              ;   in Loop: Header=BB178_10 Depth=1
	v_and_b32_sdwa v97, v96, v67 dst_sel:DWORD dst_unused:UNUSED_PAD src0_sel:WORD_0 src1_sel:DWORD
	v_mov_b32_e32 v94, 0x7f800001
	s_mov_b32 s31, exec_lo
	v_cmpx_ne_u32_e32 0x7f, v97
	s_cbranch_execz .LBB178_216
; %bb.213:                              ;   in Loop: Header=BB178_10 Depth=1
	v_and_b32_sdwa v49, v96, v68 dst_sel:DWORD dst_unused:UNUSED_PAD src0_sel:WORD_0 src1_sel:DWORD
	v_lshrrev_b32_e32 v94, 3, v97
	s_mov_b32 s33, exec_lo
	v_cmpx_gt_u32_e32 8, v97
; %bb.214:                              ;   in Loop: Header=BB178_10 Depth=1
	v_ffbh_u32_e32 v94, v49
	v_min_u32_e32 v94, 32, v94
	v_subrev_nc_u32_e32 v97, 28, v94
	v_sub_nc_u32_e32 v94, 29, v94
	v_lshlrev_b64 v[97:98], v97, v[49:50]
	v_and_b32_e32 v49, 7, v97
; %bb.215:                              ;   in Loop: Header=BB178_10 Depth=1
	s_or_b32 exec_lo, exec_lo, s33
	v_lshlrev_b32_e32 v96, 24, v96
	v_lshlrev_b32_e32 v49, 20, v49
	v_lshl_add_u32 v94, v94, 23, 0x3c000000
	v_and_b32_e32 v96, 0x80000000, v96
	v_or3_b32 v94, v49, v96, v94
.LBB178_216:                            ;   in Loop: Header=BB178_10 Depth=1
	s_or_b32 exec_lo, exec_lo, s31
.LBB178_217:                            ;   in Loop: Header=BB178_10 Depth=1
	s_or_b32 exec_lo, exec_lo, s17
.LBB178_218:                            ;   in Loop: Header=BB178_10 Depth=1
	s_or_b32 exec_lo, exec_lo, s3
	global_load_ubyte v98, v[55:56], off offset:776
	v_mov_b32_e32 v96, 0
	v_mov_b32_e32 v97, 0
	s_mov_b32 s3, exec_lo
	s_waitcnt vmcnt(0)
	v_cmpx_ne_u16_e32 0, v98
	s_cbranch_execz .LBB178_226
; %bb.219:                              ;   in Loop: Header=BB178_10 Depth=1
	v_bfrev_b32_e32 v97, 1
	s_mov_b32 s17, exec_lo
	v_cmpx_ne_u16_e32 0x80, v98
	s_cbranch_execz .LBB178_225
; %bb.220:                              ;   in Loop: Header=BB178_10 Depth=1
	v_and_b32_sdwa v99, v98, v67 dst_sel:DWORD dst_unused:UNUSED_PAD src0_sel:WORD_0 src1_sel:DWORD
	v_mov_b32_e32 v97, 0x7f800001
	s_mov_b32 s31, exec_lo
	v_cmpx_ne_u32_e32 0x7f, v99
	s_cbranch_execz .LBB178_224
; %bb.221:                              ;   in Loop: Header=BB178_10 Depth=1
	v_and_b32_sdwa v49, v98, v68 dst_sel:DWORD dst_unused:UNUSED_PAD src0_sel:WORD_0 src1_sel:DWORD
	v_lshrrev_b32_e32 v97, 3, v99
	s_mov_b32 s33, exec_lo
	v_cmpx_gt_u32_e32 8, v99
; %bb.222:                              ;   in Loop: Header=BB178_10 Depth=1
	v_ffbh_u32_e32 v97, v49
	v_min_u32_e32 v97, 32, v97
	v_subrev_nc_u32_e32 v99, 28, v97
	v_sub_nc_u32_e32 v97, 29, v97
	v_lshlrev_b64 v[99:100], v99, v[49:50]
	v_and_b32_e32 v49, 7, v99
; %bb.223:                              ;   in Loop: Header=BB178_10 Depth=1
	s_or_b32 exec_lo, exec_lo, s33
	v_lshlrev_b32_e32 v98, 24, v98
	v_lshlrev_b32_e32 v49, 20, v49
	v_lshl_add_u32 v97, v97, 23, 0x3c000000
	v_and_b32_e32 v98, 0x80000000, v98
	v_or3_b32 v97, v49, v98, v97
.LBB178_224:                            ;   in Loop: Header=BB178_10 Depth=1
	s_or_b32 exec_lo, exec_lo, s31
.LBB178_225:                            ;   in Loop: Header=BB178_10 Depth=1
	s_or_b32 exec_lo, exec_lo, s17
.LBB178_226:                            ;   in Loop: Header=BB178_10 Depth=1
	s_or_b32 exec_lo, exec_lo, s3
	global_load_ubyte v98, v[55:56], off offset:780
	s_mov_b32 s3, exec_lo
	s_waitcnt vmcnt(0)
	v_cmpx_ne_u16_e32 0, v98
	s_cbranch_execz .LBB178_234
; %bb.227:                              ;   in Loop: Header=BB178_10 Depth=1
	v_bfrev_b32_e32 v96, 1
	s_mov_b32 s17, exec_lo
	v_cmpx_ne_u16_e32 0x80, v98
	s_cbranch_execz .LBB178_233
; %bb.228:                              ;   in Loop: Header=BB178_10 Depth=1
	v_and_b32_sdwa v99, v98, v67 dst_sel:DWORD dst_unused:UNUSED_PAD src0_sel:WORD_0 src1_sel:DWORD
	v_mov_b32_e32 v96, 0x7f800001
	s_mov_b32 s31, exec_lo
	v_cmpx_ne_u32_e32 0x7f, v99
	s_cbranch_execz .LBB178_232
; %bb.229:                              ;   in Loop: Header=BB178_10 Depth=1
	v_and_b32_sdwa v49, v98, v68 dst_sel:DWORD dst_unused:UNUSED_PAD src0_sel:WORD_0 src1_sel:DWORD
	v_lshrrev_b32_e32 v96, 3, v99
	s_mov_b32 s33, exec_lo
	v_cmpx_gt_u32_e32 8, v99
; %bb.230:                              ;   in Loop: Header=BB178_10 Depth=1
	v_ffbh_u32_e32 v96, v49
	v_min_u32_e32 v96, 32, v96
	v_subrev_nc_u32_e32 v99, 28, v96
	v_sub_nc_u32_e32 v96, 29, v96
	v_lshlrev_b64 v[99:100], v99, v[49:50]
	v_and_b32_e32 v49, 7, v99
; %bb.231:                              ;   in Loop: Header=BB178_10 Depth=1
	s_or_b32 exec_lo, exec_lo, s33
	v_lshlrev_b32_e32 v98, 24, v98
	v_lshlrev_b32_e32 v49, 20, v49
	v_lshl_add_u32 v96, v96, 23, 0x3c000000
	v_and_b32_e32 v98, 0x80000000, v98
	v_or3_b32 v96, v49, v98, v96
.LBB178_232:                            ;   in Loop: Header=BB178_10 Depth=1
	s_or_b32 exec_lo, exec_lo, s31
.LBB178_233:                            ;   in Loop: Header=BB178_10 Depth=1
	s_or_b32 exec_lo, exec_lo, s17
.LBB178_234:                            ;   in Loop: Header=BB178_10 Depth=1
	s_or_b32 exec_lo, exec_lo, s3
	global_load_ubyte v100, v[55:56], off offset:896
	v_mov_b32_e32 v98, 0
	v_mov_b32_e32 v99, 0
	s_mov_b32 s3, exec_lo
	s_waitcnt vmcnt(0)
	v_cmpx_ne_u16_e32 0, v100
	s_cbranch_execz .LBB178_242
; %bb.235:                              ;   in Loop: Header=BB178_10 Depth=1
	v_bfrev_b32_e32 v99, 1
	s_mov_b32 s17, exec_lo
	v_cmpx_ne_u16_e32 0x80, v100
	s_cbranch_execz .LBB178_241
; %bb.236:                              ;   in Loop: Header=BB178_10 Depth=1
	v_and_b32_sdwa v101, v100, v67 dst_sel:DWORD dst_unused:UNUSED_PAD src0_sel:WORD_0 src1_sel:DWORD
	v_mov_b32_e32 v99, 0x7f800001
	s_mov_b32 s31, exec_lo
	v_cmpx_ne_u32_e32 0x7f, v101
	s_cbranch_execz .LBB178_240
; %bb.237:                              ;   in Loop: Header=BB178_10 Depth=1
	v_and_b32_sdwa v49, v100, v68 dst_sel:DWORD dst_unused:UNUSED_PAD src0_sel:WORD_0 src1_sel:DWORD
	v_lshrrev_b32_e32 v99, 3, v101
	s_mov_b32 s33, exec_lo
	v_cmpx_gt_u32_e32 8, v101
; %bb.238:                              ;   in Loop: Header=BB178_10 Depth=1
	v_ffbh_u32_e32 v99, v49
	v_min_u32_e32 v99, 32, v99
	v_subrev_nc_u32_e32 v101, 28, v99
	v_sub_nc_u32_e32 v99, 29, v99
	v_lshlrev_b64 v[101:102], v101, v[49:50]
	v_and_b32_e32 v49, 7, v101
; %bb.239:                              ;   in Loop: Header=BB178_10 Depth=1
	s_or_b32 exec_lo, exec_lo, s33
	v_lshlrev_b32_e32 v100, 24, v100
	v_lshlrev_b32_e32 v49, 20, v49
	v_lshl_add_u32 v99, v99, 23, 0x3c000000
	v_and_b32_e32 v100, 0x80000000, v100
	v_or3_b32 v99, v49, v100, v99
.LBB178_240:                            ;   in Loop: Header=BB178_10 Depth=1
	s_or_b32 exec_lo, exec_lo, s31
.LBB178_241:                            ;   in Loop: Header=BB178_10 Depth=1
	s_or_b32 exec_lo, exec_lo, s17
.LBB178_242:                            ;   in Loop: Header=BB178_10 Depth=1
	s_or_b32 exec_lo, exec_lo, s3
	global_load_ubyte v100, v[55:56], off offset:900
	s_mov_b32 s3, exec_lo
	s_waitcnt vmcnt(0)
	v_cmpx_ne_u16_e32 0, v100
	s_cbranch_execz .LBB178_250
; %bb.243:                              ;   in Loop: Header=BB178_10 Depth=1
	v_bfrev_b32_e32 v98, 1
	s_mov_b32 s17, exec_lo
	v_cmpx_ne_u16_e32 0x80, v100
	s_cbranch_execz .LBB178_249
; %bb.244:                              ;   in Loop: Header=BB178_10 Depth=1
	v_and_b32_sdwa v101, v100, v67 dst_sel:DWORD dst_unused:UNUSED_PAD src0_sel:WORD_0 src1_sel:DWORD
	v_mov_b32_e32 v98, 0x7f800001
	s_mov_b32 s31, exec_lo
	v_cmpx_ne_u32_e32 0x7f, v101
	s_cbranch_execz .LBB178_248
; %bb.245:                              ;   in Loop: Header=BB178_10 Depth=1
	v_and_b32_sdwa v49, v100, v68 dst_sel:DWORD dst_unused:UNUSED_PAD src0_sel:WORD_0 src1_sel:DWORD
	v_lshrrev_b32_e32 v98, 3, v101
	s_mov_b32 s33, exec_lo
	v_cmpx_gt_u32_e32 8, v101
; %bb.246:                              ;   in Loop: Header=BB178_10 Depth=1
	v_ffbh_u32_e32 v98, v49
	v_min_u32_e32 v98, 32, v98
	v_subrev_nc_u32_e32 v101, 28, v98
	v_sub_nc_u32_e32 v98, 29, v98
	v_lshlrev_b64 v[101:102], v101, v[49:50]
	v_and_b32_e32 v49, 7, v101
; %bb.247:                              ;   in Loop: Header=BB178_10 Depth=1
	s_or_b32 exec_lo, exec_lo, s33
	v_lshlrev_b32_e32 v100, 24, v100
	v_lshlrev_b32_e32 v49, 20, v49
	v_lshl_add_u32 v98, v98, 23, 0x3c000000
	v_and_b32_e32 v100, 0x80000000, v100
	v_or3_b32 v98, v49, v100, v98
.LBB178_248:                            ;   in Loop: Header=BB178_10 Depth=1
	s_or_b32 exec_lo, exec_lo, s31
.LBB178_249:                            ;   in Loop: Header=BB178_10 Depth=1
	s_or_b32 exec_lo, exec_lo, s17
.LBB178_250:                            ;   in Loop: Header=BB178_10 Depth=1
	s_or_b32 exec_lo, exec_lo, s3
	global_load_ubyte v102, v[55:56], off offset:904
	v_mov_b32_e32 v100, 0
	v_mov_b32_e32 v101, 0
	s_mov_b32 s3, exec_lo
	s_waitcnt vmcnt(0)
	v_cmpx_ne_u16_e32 0, v102
	s_cbranch_execz .LBB178_258
; %bb.251:                              ;   in Loop: Header=BB178_10 Depth=1
	v_bfrev_b32_e32 v101, 1
	s_mov_b32 s17, exec_lo
	v_cmpx_ne_u16_e32 0x80, v102
	s_cbranch_execz .LBB178_257
; %bb.252:                              ;   in Loop: Header=BB178_10 Depth=1
	v_and_b32_sdwa v103, v102, v67 dst_sel:DWORD dst_unused:UNUSED_PAD src0_sel:WORD_0 src1_sel:DWORD
	v_mov_b32_e32 v101, 0x7f800001
	s_mov_b32 s31, exec_lo
	v_cmpx_ne_u32_e32 0x7f, v103
	s_cbranch_execz .LBB178_256
; %bb.253:                              ;   in Loop: Header=BB178_10 Depth=1
	v_and_b32_sdwa v49, v102, v68 dst_sel:DWORD dst_unused:UNUSED_PAD src0_sel:WORD_0 src1_sel:DWORD
	v_lshrrev_b32_e32 v101, 3, v103
	s_mov_b32 s33, exec_lo
	v_cmpx_gt_u32_e32 8, v103
; %bb.254:                              ;   in Loop: Header=BB178_10 Depth=1
	v_ffbh_u32_e32 v101, v49
	v_min_u32_e32 v101, 32, v101
	v_subrev_nc_u32_e32 v103, 28, v101
	v_sub_nc_u32_e32 v101, 29, v101
	v_lshlrev_b64 v[103:104], v103, v[49:50]
	v_and_b32_e32 v49, 7, v103
; %bb.255:                              ;   in Loop: Header=BB178_10 Depth=1
	s_or_b32 exec_lo, exec_lo, s33
	v_lshlrev_b32_e32 v102, 24, v102
	v_lshlrev_b32_e32 v49, 20, v49
	v_lshl_add_u32 v101, v101, 23, 0x3c000000
	v_and_b32_e32 v102, 0x80000000, v102
	v_or3_b32 v101, v49, v102, v101
.LBB178_256:                            ;   in Loop: Header=BB178_10 Depth=1
	s_or_b32 exec_lo, exec_lo, s31
.LBB178_257:                            ;   in Loop: Header=BB178_10 Depth=1
	s_or_b32 exec_lo, exec_lo, s17
.LBB178_258:                            ;   in Loop: Header=BB178_10 Depth=1
	s_or_b32 exec_lo, exec_lo, s3
	global_load_ubyte v102, v[55:56], off offset:908
	s_mov_b32 s3, exec_lo
	s_waitcnt vmcnt(0)
	v_cmpx_ne_u16_e32 0, v102
	s_cbranch_execz .LBB178_266
; %bb.259:                              ;   in Loop: Header=BB178_10 Depth=1
	v_bfrev_b32_e32 v100, 1
	s_mov_b32 s17, exec_lo
	v_cmpx_ne_u16_e32 0x80, v102
	s_cbranch_execz .LBB178_265
; %bb.260:                              ;   in Loop: Header=BB178_10 Depth=1
	v_and_b32_sdwa v103, v102, v67 dst_sel:DWORD dst_unused:UNUSED_PAD src0_sel:WORD_0 src1_sel:DWORD
	v_mov_b32_e32 v100, 0x7f800001
	s_mov_b32 s31, exec_lo
	v_cmpx_ne_u32_e32 0x7f, v103
	s_cbranch_execz .LBB178_264
; %bb.261:                              ;   in Loop: Header=BB178_10 Depth=1
	v_and_b32_sdwa v49, v102, v68 dst_sel:DWORD dst_unused:UNUSED_PAD src0_sel:WORD_0 src1_sel:DWORD
	v_lshrrev_b32_e32 v100, 3, v103
	s_mov_b32 s33, exec_lo
	v_cmpx_gt_u32_e32 8, v103
; %bb.262:                              ;   in Loop: Header=BB178_10 Depth=1
	v_ffbh_u32_e32 v100, v49
	v_min_u32_e32 v100, 32, v100
	v_subrev_nc_u32_e32 v103, 28, v100
	v_sub_nc_u32_e32 v100, 29, v100
	v_lshlrev_b64 v[103:104], v103, v[49:50]
	v_and_b32_e32 v49, 7, v103
; %bb.263:                              ;   in Loop: Header=BB178_10 Depth=1
	s_or_b32 exec_lo, exec_lo, s33
	v_lshlrev_b32_e32 v102, 24, v102
	v_lshlrev_b32_e32 v49, 20, v49
	v_lshl_add_u32 v100, v100, 23, 0x3c000000
	v_and_b32_e32 v102, 0x80000000, v102
	v_or3_b32 v100, v49, v102, v100
.LBB178_264:                            ;   in Loop: Header=BB178_10 Depth=1
	s_or_b32 exec_lo, exec_lo, s31
.LBB178_265:                            ;   in Loop: Header=BB178_10 Depth=1
	s_or_b32 exec_lo, exec_lo, s17
.LBB178_266:                            ;   in Loop: Header=BB178_10 Depth=1
	s_or_b32 exec_lo, exec_lo, s3
	global_load_ubyte v104, v[55:56], off offset:1024
	v_mov_b32_e32 v102, 0
	v_mov_b32_e32 v103, 0
	s_mov_b32 s3, exec_lo
	s_waitcnt vmcnt(0)
	v_cmpx_ne_u16_e32 0, v104
	s_cbranch_execz .LBB178_274
; %bb.267:                              ;   in Loop: Header=BB178_10 Depth=1
	v_bfrev_b32_e32 v103, 1
	s_mov_b32 s17, exec_lo
	v_cmpx_ne_u16_e32 0x80, v104
	s_cbranch_execz .LBB178_273
; %bb.268:                              ;   in Loop: Header=BB178_10 Depth=1
	v_and_b32_sdwa v105, v104, v67 dst_sel:DWORD dst_unused:UNUSED_PAD src0_sel:WORD_0 src1_sel:DWORD
	v_mov_b32_e32 v103, 0x7f800001
	s_mov_b32 s31, exec_lo
	v_cmpx_ne_u32_e32 0x7f, v105
	s_cbranch_execz .LBB178_272
; %bb.269:                              ;   in Loop: Header=BB178_10 Depth=1
	v_and_b32_sdwa v49, v104, v68 dst_sel:DWORD dst_unused:UNUSED_PAD src0_sel:WORD_0 src1_sel:DWORD
	v_lshrrev_b32_e32 v103, 3, v105
	s_mov_b32 s33, exec_lo
	v_cmpx_gt_u32_e32 8, v105
; %bb.270:                              ;   in Loop: Header=BB178_10 Depth=1
	v_ffbh_u32_e32 v103, v49
	v_min_u32_e32 v103, 32, v103
	v_subrev_nc_u32_e32 v105, 28, v103
	v_sub_nc_u32_e32 v103, 29, v103
	v_lshlrev_b64 v[105:106], v105, v[49:50]
	v_and_b32_e32 v49, 7, v105
; %bb.271:                              ;   in Loop: Header=BB178_10 Depth=1
	s_or_b32 exec_lo, exec_lo, s33
	v_lshlrev_b32_e32 v104, 24, v104
	v_lshlrev_b32_e32 v49, 20, v49
	v_lshl_add_u32 v103, v103, 23, 0x3c000000
	v_and_b32_e32 v104, 0x80000000, v104
	v_or3_b32 v103, v49, v104, v103
.LBB178_272:                            ;   in Loop: Header=BB178_10 Depth=1
	s_or_b32 exec_lo, exec_lo, s31
.LBB178_273:                            ;   in Loop: Header=BB178_10 Depth=1
	s_or_b32 exec_lo, exec_lo, s17
.LBB178_274:                            ;   in Loop: Header=BB178_10 Depth=1
	s_or_b32 exec_lo, exec_lo, s3
	global_load_ubyte v104, v[55:56], off offset:1028
	s_mov_b32 s3, exec_lo
	s_waitcnt vmcnt(0)
	v_cmpx_ne_u16_e32 0, v104
	s_cbranch_execz .LBB178_282
; %bb.275:                              ;   in Loop: Header=BB178_10 Depth=1
	v_bfrev_b32_e32 v102, 1
	s_mov_b32 s17, exec_lo
	v_cmpx_ne_u16_e32 0x80, v104
	s_cbranch_execz .LBB178_281
; %bb.276:                              ;   in Loop: Header=BB178_10 Depth=1
	v_and_b32_sdwa v105, v104, v67 dst_sel:DWORD dst_unused:UNUSED_PAD src0_sel:WORD_0 src1_sel:DWORD
	v_mov_b32_e32 v102, 0x7f800001
	s_mov_b32 s31, exec_lo
	v_cmpx_ne_u32_e32 0x7f, v105
	s_cbranch_execz .LBB178_280
; %bb.277:                              ;   in Loop: Header=BB178_10 Depth=1
	v_and_b32_sdwa v49, v104, v68 dst_sel:DWORD dst_unused:UNUSED_PAD src0_sel:WORD_0 src1_sel:DWORD
	v_lshrrev_b32_e32 v102, 3, v105
	s_mov_b32 s33, exec_lo
	v_cmpx_gt_u32_e32 8, v105
; %bb.278:                              ;   in Loop: Header=BB178_10 Depth=1
	v_ffbh_u32_e32 v102, v49
	v_min_u32_e32 v102, 32, v102
	v_subrev_nc_u32_e32 v105, 28, v102
	v_sub_nc_u32_e32 v102, 29, v102
	v_lshlrev_b64 v[105:106], v105, v[49:50]
	v_and_b32_e32 v49, 7, v105
; %bb.279:                              ;   in Loop: Header=BB178_10 Depth=1
	s_or_b32 exec_lo, exec_lo, s33
	v_lshlrev_b32_e32 v104, 24, v104
	v_lshlrev_b32_e32 v49, 20, v49
	v_lshl_add_u32 v102, v102, 23, 0x3c000000
	v_and_b32_e32 v104, 0x80000000, v104
	v_or3_b32 v102, v49, v104, v102
.LBB178_280:                            ;   in Loop: Header=BB178_10 Depth=1
	s_or_b32 exec_lo, exec_lo, s31
.LBB178_281:                            ;   in Loop: Header=BB178_10 Depth=1
	s_or_b32 exec_lo, exec_lo, s17
.LBB178_282:                            ;   in Loop: Header=BB178_10 Depth=1
	s_or_b32 exec_lo, exec_lo, s3
	global_load_ubyte v106, v[55:56], off offset:1032
	v_mov_b32_e32 v104, 0
	v_mov_b32_e32 v105, 0
	s_mov_b32 s3, exec_lo
	s_waitcnt vmcnt(0)
	v_cmpx_ne_u16_e32 0, v106
	s_cbranch_execz .LBB178_290
; %bb.283:                              ;   in Loop: Header=BB178_10 Depth=1
	v_bfrev_b32_e32 v105, 1
	s_mov_b32 s17, exec_lo
	v_cmpx_ne_u16_e32 0x80, v106
	s_cbranch_execz .LBB178_289
; %bb.284:                              ;   in Loop: Header=BB178_10 Depth=1
	v_and_b32_sdwa v107, v106, v67 dst_sel:DWORD dst_unused:UNUSED_PAD src0_sel:WORD_0 src1_sel:DWORD
	v_mov_b32_e32 v105, 0x7f800001
	s_mov_b32 s31, exec_lo
	v_cmpx_ne_u32_e32 0x7f, v107
	s_cbranch_execz .LBB178_288
; %bb.285:                              ;   in Loop: Header=BB178_10 Depth=1
	v_and_b32_sdwa v49, v106, v68 dst_sel:DWORD dst_unused:UNUSED_PAD src0_sel:WORD_0 src1_sel:DWORD
	v_lshrrev_b32_e32 v105, 3, v107
	s_mov_b32 s33, exec_lo
	v_cmpx_gt_u32_e32 8, v107
; %bb.286:                              ;   in Loop: Header=BB178_10 Depth=1
	v_ffbh_u32_e32 v105, v49
	v_min_u32_e32 v105, 32, v105
	v_subrev_nc_u32_e32 v107, 28, v105
	v_sub_nc_u32_e32 v105, 29, v105
	v_lshlrev_b64 v[107:108], v107, v[49:50]
	v_and_b32_e32 v49, 7, v107
; %bb.287:                              ;   in Loop: Header=BB178_10 Depth=1
	s_or_b32 exec_lo, exec_lo, s33
	v_lshlrev_b32_e32 v106, 24, v106
	v_lshlrev_b32_e32 v49, 20, v49
	v_lshl_add_u32 v105, v105, 23, 0x3c000000
	v_and_b32_e32 v106, 0x80000000, v106
	v_or3_b32 v105, v49, v106, v105
.LBB178_288:                            ;   in Loop: Header=BB178_10 Depth=1
	s_or_b32 exec_lo, exec_lo, s31
.LBB178_289:                            ;   in Loop: Header=BB178_10 Depth=1
	s_or_b32 exec_lo, exec_lo, s17
.LBB178_290:                            ;   in Loop: Header=BB178_10 Depth=1
	s_or_b32 exec_lo, exec_lo, s3
	global_load_ubyte v106, v[55:56], off offset:1036
	s_mov_b32 s3, exec_lo
	s_waitcnt vmcnt(0)
	v_cmpx_ne_u16_e32 0, v106
	s_cbranch_execz .LBB178_298
; %bb.291:                              ;   in Loop: Header=BB178_10 Depth=1
	v_bfrev_b32_e32 v104, 1
	s_mov_b32 s17, exec_lo
	v_cmpx_ne_u16_e32 0x80, v106
	s_cbranch_execz .LBB178_297
; %bb.292:                              ;   in Loop: Header=BB178_10 Depth=1
	v_and_b32_sdwa v107, v106, v67 dst_sel:DWORD dst_unused:UNUSED_PAD src0_sel:WORD_0 src1_sel:DWORD
	v_mov_b32_e32 v104, 0x7f800001
	s_mov_b32 s31, exec_lo
	v_cmpx_ne_u32_e32 0x7f, v107
	s_cbranch_execz .LBB178_296
; %bb.293:                              ;   in Loop: Header=BB178_10 Depth=1
	v_and_b32_sdwa v49, v106, v68 dst_sel:DWORD dst_unused:UNUSED_PAD src0_sel:WORD_0 src1_sel:DWORD
	v_lshrrev_b32_e32 v104, 3, v107
	s_mov_b32 s33, exec_lo
	v_cmpx_gt_u32_e32 8, v107
; %bb.294:                              ;   in Loop: Header=BB178_10 Depth=1
	v_ffbh_u32_e32 v104, v49
	v_min_u32_e32 v104, 32, v104
	v_subrev_nc_u32_e32 v107, 28, v104
	v_sub_nc_u32_e32 v104, 29, v104
	v_lshlrev_b64 v[107:108], v107, v[49:50]
	v_and_b32_e32 v49, 7, v107
; %bb.295:                              ;   in Loop: Header=BB178_10 Depth=1
	s_or_b32 exec_lo, exec_lo, s33
	v_lshlrev_b32_e32 v106, 24, v106
	v_lshlrev_b32_e32 v49, 20, v49
	v_lshl_add_u32 v104, v104, 23, 0x3c000000
	v_and_b32_e32 v106, 0x80000000, v106
	v_or3_b32 v104, v49, v106, v104
.LBB178_296:                            ;   in Loop: Header=BB178_10 Depth=1
	s_or_b32 exec_lo, exec_lo, s31
.LBB178_297:                            ;   in Loop: Header=BB178_10 Depth=1
	s_or_b32 exec_lo, exec_lo, s17
.LBB178_298:                            ;   in Loop: Header=BB178_10 Depth=1
	s_or_b32 exec_lo, exec_lo, s3
	global_load_ubyte v108, v[55:56], off offset:1152
	v_mov_b32_e32 v106, 0
	v_mov_b32_e32 v107, 0
	s_mov_b32 s3, exec_lo
	s_waitcnt vmcnt(0)
	v_cmpx_ne_u16_e32 0, v108
	s_cbranch_execz .LBB178_306
; %bb.299:                              ;   in Loop: Header=BB178_10 Depth=1
	v_bfrev_b32_e32 v107, 1
	s_mov_b32 s17, exec_lo
	v_cmpx_ne_u16_e32 0x80, v108
	s_cbranch_execz .LBB178_305
; %bb.300:                              ;   in Loop: Header=BB178_10 Depth=1
	v_and_b32_sdwa v109, v108, v67 dst_sel:DWORD dst_unused:UNUSED_PAD src0_sel:WORD_0 src1_sel:DWORD
	v_mov_b32_e32 v107, 0x7f800001
	s_mov_b32 s31, exec_lo
	v_cmpx_ne_u32_e32 0x7f, v109
	s_cbranch_execz .LBB178_304
; %bb.301:                              ;   in Loop: Header=BB178_10 Depth=1
	v_and_b32_sdwa v49, v108, v68 dst_sel:DWORD dst_unused:UNUSED_PAD src0_sel:WORD_0 src1_sel:DWORD
	v_lshrrev_b32_e32 v107, 3, v109
	s_mov_b32 s33, exec_lo
	v_cmpx_gt_u32_e32 8, v109
; %bb.302:                              ;   in Loop: Header=BB178_10 Depth=1
	v_ffbh_u32_e32 v107, v49
	v_min_u32_e32 v107, 32, v107
	v_subrev_nc_u32_e32 v109, 28, v107
	v_sub_nc_u32_e32 v107, 29, v107
	v_lshlrev_b64 v[109:110], v109, v[49:50]
	v_and_b32_e32 v49, 7, v109
; %bb.303:                              ;   in Loop: Header=BB178_10 Depth=1
	s_or_b32 exec_lo, exec_lo, s33
	v_lshlrev_b32_e32 v108, 24, v108
	v_lshlrev_b32_e32 v49, 20, v49
	v_lshl_add_u32 v107, v107, 23, 0x3c000000
	v_and_b32_e32 v108, 0x80000000, v108
	v_or3_b32 v107, v49, v108, v107
.LBB178_304:                            ;   in Loop: Header=BB178_10 Depth=1
	s_or_b32 exec_lo, exec_lo, s31
.LBB178_305:                            ;   in Loop: Header=BB178_10 Depth=1
	s_or_b32 exec_lo, exec_lo, s17
.LBB178_306:                            ;   in Loop: Header=BB178_10 Depth=1
	s_or_b32 exec_lo, exec_lo, s3
	global_load_ubyte v108, v[55:56], off offset:1156
	s_mov_b32 s3, exec_lo
	s_waitcnt vmcnt(0)
	v_cmpx_ne_u16_e32 0, v108
	s_cbranch_execz .LBB178_314
; %bb.307:                              ;   in Loop: Header=BB178_10 Depth=1
	v_bfrev_b32_e32 v106, 1
	s_mov_b32 s17, exec_lo
	v_cmpx_ne_u16_e32 0x80, v108
	s_cbranch_execz .LBB178_313
; %bb.308:                              ;   in Loop: Header=BB178_10 Depth=1
	v_and_b32_sdwa v109, v108, v67 dst_sel:DWORD dst_unused:UNUSED_PAD src0_sel:WORD_0 src1_sel:DWORD
	v_mov_b32_e32 v106, 0x7f800001
	s_mov_b32 s31, exec_lo
	v_cmpx_ne_u32_e32 0x7f, v109
	s_cbranch_execz .LBB178_312
; %bb.309:                              ;   in Loop: Header=BB178_10 Depth=1
	v_and_b32_sdwa v49, v108, v68 dst_sel:DWORD dst_unused:UNUSED_PAD src0_sel:WORD_0 src1_sel:DWORD
	v_lshrrev_b32_e32 v106, 3, v109
	s_mov_b32 s33, exec_lo
	v_cmpx_gt_u32_e32 8, v109
; %bb.310:                              ;   in Loop: Header=BB178_10 Depth=1
	v_ffbh_u32_e32 v106, v49
	v_min_u32_e32 v106, 32, v106
	v_subrev_nc_u32_e32 v109, 28, v106
	v_sub_nc_u32_e32 v106, 29, v106
	v_lshlrev_b64 v[109:110], v109, v[49:50]
	v_and_b32_e32 v49, 7, v109
; %bb.311:                              ;   in Loop: Header=BB178_10 Depth=1
	s_or_b32 exec_lo, exec_lo, s33
	v_lshlrev_b32_e32 v108, 24, v108
	v_lshlrev_b32_e32 v49, 20, v49
	v_lshl_add_u32 v106, v106, 23, 0x3c000000
	v_and_b32_e32 v108, 0x80000000, v108
	v_or3_b32 v106, v49, v108, v106
.LBB178_312:                            ;   in Loop: Header=BB178_10 Depth=1
	s_or_b32 exec_lo, exec_lo, s31
.LBB178_313:                            ;   in Loop: Header=BB178_10 Depth=1
	s_or_b32 exec_lo, exec_lo, s17
.LBB178_314:                            ;   in Loop: Header=BB178_10 Depth=1
	s_or_b32 exec_lo, exec_lo, s3
	global_load_ubyte v110, v[55:56], off offset:1160
	v_mov_b32_e32 v108, 0
	v_mov_b32_e32 v109, 0
	s_mov_b32 s3, exec_lo
	s_waitcnt vmcnt(0)
	v_cmpx_ne_u16_e32 0, v110
	s_cbranch_execz .LBB178_322
; %bb.315:                              ;   in Loop: Header=BB178_10 Depth=1
	v_bfrev_b32_e32 v109, 1
	s_mov_b32 s17, exec_lo
	v_cmpx_ne_u16_e32 0x80, v110
	s_cbranch_execz .LBB178_321
; %bb.316:                              ;   in Loop: Header=BB178_10 Depth=1
	v_and_b32_sdwa v111, v110, v67 dst_sel:DWORD dst_unused:UNUSED_PAD src0_sel:WORD_0 src1_sel:DWORD
	v_mov_b32_e32 v109, 0x7f800001
	s_mov_b32 s31, exec_lo
	v_cmpx_ne_u32_e32 0x7f, v111
	s_cbranch_execz .LBB178_320
; %bb.317:                              ;   in Loop: Header=BB178_10 Depth=1
	v_and_b32_sdwa v49, v110, v68 dst_sel:DWORD dst_unused:UNUSED_PAD src0_sel:WORD_0 src1_sel:DWORD
	v_lshrrev_b32_e32 v109, 3, v111
	s_mov_b32 s33, exec_lo
	v_cmpx_gt_u32_e32 8, v111
; %bb.318:                              ;   in Loop: Header=BB178_10 Depth=1
	v_ffbh_u32_e32 v109, v49
	v_min_u32_e32 v109, 32, v109
	v_subrev_nc_u32_e32 v111, 28, v109
	v_sub_nc_u32_e32 v109, 29, v109
	v_lshlrev_b64 v[111:112], v111, v[49:50]
	v_and_b32_e32 v49, 7, v111
; %bb.319:                              ;   in Loop: Header=BB178_10 Depth=1
	s_or_b32 exec_lo, exec_lo, s33
	v_lshlrev_b32_e32 v110, 24, v110
	v_lshlrev_b32_e32 v49, 20, v49
	v_lshl_add_u32 v109, v109, 23, 0x3c000000
	v_and_b32_e32 v110, 0x80000000, v110
	v_or3_b32 v109, v49, v110, v109
.LBB178_320:                            ;   in Loop: Header=BB178_10 Depth=1
	s_or_b32 exec_lo, exec_lo, s31
.LBB178_321:                            ;   in Loop: Header=BB178_10 Depth=1
	s_or_b32 exec_lo, exec_lo, s17
.LBB178_322:                            ;   in Loop: Header=BB178_10 Depth=1
	s_or_b32 exec_lo, exec_lo, s3
	global_load_ubyte v110, v[55:56], off offset:1164
	s_mov_b32 s3, exec_lo
	s_waitcnt vmcnt(0)
	v_cmpx_ne_u16_e32 0, v110
	s_cbranch_execz .LBB178_330
; %bb.323:                              ;   in Loop: Header=BB178_10 Depth=1
	v_bfrev_b32_e32 v108, 1
	s_mov_b32 s17, exec_lo
	v_cmpx_ne_u16_e32 0x80, v110
	s_cbranch_execz .LBB178_329
; %bb.324:                              ;   in Loop: Header=BB178_10 Depth=1
	v_and_b32_sdwa v111, v110, v67 dst_sel:DWORD dst_unused:UNUSED_PAD src0_sel:WORD_0 src1_sel:DWORD
	v_mov_b32_e32 v108, 0x7f800001
	s_mov_b32 s31, exec_lo
	v_cmpx_ne_u32_e32 0x7f, v111
	s_cbranch_execz .LBB178_328
; %bb.325:                              ;   in Loop: Header=BB178_10 Depth=1
	v_and_b32_sdwa v49, v110, v68 dst_sel:DWORD dst_unused:UNUSED_PAD src0_sel:WORD_0 src1_sel:DWORD
	v_lshrrev_b32_e32 v108, 3, v111
	s_mov_b32 s33, exec_lo
	v_cmpx_gt_u32_e32 8, v111
; %bb.326:                              ;   in Loop: Header=BB178_10 Depth=1
	v_ffbh_u32_e32 v108, v49
	v_min_u32_e32 v108, 32, v108
	v_subrev_nc_u32_e32 v111, 28, v108
	v_sub_nc_u32_e32 v108, 29, v108
	v_lshlrev_b64 v[111:112], v111, v[49:50]
	v_and_b32_e32 v49, 7, v111
; %bb.327:                              ;   in Loop: Header=BB178_10 Depth=1
	s_or_b32 exec_lo, exec_lo, s33
	v_lshlrev_b32_e32 v110, 24, v110
	v_lshlrev_b32_e32 v49, 20, v49
	v_lshl_add_u32 v108, v108, 23, 0x3c000000
	v_and_b32_e32 v110, 0x80000000, v110
	v_or3_b32 v108, v49, v110, v108
.LBB178_328:                            ;   in Loop: Header=BB178_10 Depth=1
	s_or_b32 exec_lo, exec_lo, s31
.LBB178_329:                            ;   in Loop: Header=BB178_10 Depth=1
	s_or_b32 exec_lo, exec_lo, s17
.LBB178_330:                            ;   in Loop: Header=BB178_10 Depth=1
	s_or_b32 exec_lo, exec_lo, s3
	global_load_ubyte v112, v[55:56], off offset:1280
	v_mov_b32_e32 v110, 0
	v_mov_b32_e32 v111, 0
	s_mov_b32 s3, exec_lo
	s_waitcnt vmcnt(0)
	v_cmpx_ne_u16_e32 0, v112
	s_cbranch_execz .LBB178_338
; %bb.331:                              ;   in Loop: Header=BB178_10 Depth=1
	v_bfrev_b32_e32 v111, 1
	s_mov_b32 s17, exec_lo
	v_cmpx_ne_u16_e32 0x80, v112
	s_cbranch_execz .LBB178_337
; %bb.332:                              ;   in Loop: Header=BB178_10 Depth=1
	v_and_b32_sdwa v113, v112, v67 dst_sel:DWORD dst_unused:UNUSED_PAD src0_sel:WORD_0 src1_sel:DWORD
	v_mov_b32_e32 v111, 0x7f800001
	s_mov_b32 s31, exec_lo
	v_cmpx_ne_u32_e32 0x7f, v113
	s_cbranch_execz .LBB178_336
; %bb.333:                              ;   in Loop: Header=BB178_10 Depth=1
	v_and_b32_sdwa v49, v112, v68 dst_sel:DWORD dst_unused:UNUSED_PAD src0_sel:WORD_0 src1_sel:DWORD
	v_lshrrev_b32_e32 v111, 3, v113
	s_mov_b32 s33, exec_lo
	v_cmpx_gt_u32_e32 8, v113
; %bb.334:                              ;   in Loop: Header=BB178_10 Depth=1
	v_ffbh_u32_e32 v111, v49
	v_min_u32_e32 v111, 32, v111
	v_subrev_nc_u32_e32 v113, 28, v111
	v_sub_nc_u32_e32 v111, 29, v111
	v_lshlrev_b64 v[113:114], v113, v[49:50]
	v_and_b32_e32 v49, 7, v113
; %bb.335:                              ;   in Loop: Header=BB178_10 Depth=1
	s_or_b32 exec_lo, exec_lo, s33
	v_lshlrev_b32_e32 v112, 24, v112
	v_lshlrev_b32_e32 v49, 20, v49
	v_lshl_add_u32 v111, v111, 23, 0x3c000000
	v_and_b32_e32 v112, 0x80000000, v112
	v_or3_b32 v111, v49, v112, v111
.LBB178_336:                            ;   in Loop: Header=BB178_10 Depth=1
	s_or_b32 exec_lo, exec_lo, s31
.LBB178_337:                            ;   in Loop: Header=BB178_10 Depth=1
	s_or_b32 exec_lo, exec_lo, s17
.LBB178_338:                            ;   in Loop: Header=BB178_10 Depth=1
	s_or_b32 exec_lo, exec_lo, s3
	global_load_ubyte v112, v[55:56], off offset:1284
	s_mov_b32 s3, exec_lo
	s_waitcnt vmcnt(0)
	v_cmpx_ne_u16_e32 0, v112
	s_cbranch_execz .LBB178_346
; %bb.339:                              ;   in Loop: Header=BB178_10 Depth=1
	v_bfrev_b32_e32 v110, 1
	s_mov_b32 s17, exec_lo
	v_cmpx_ne_u16_e32 0x80, v112
	s_cbranch_execz .LBB178_345
; %bb.340:                              ;   in Loop: Header=BB178_10 Depth=1
	v_and_b32_sdwa v113, v112, v67 dst_sel:DWORD dst_unused:UNUSED_PAD src0_sel:WORD_0 src1_sel:DWORD
	v_mov_b32_e32 v110, 0x7f800001
	s_mov_b32 s31, exec_lo
	v_cmpx_ne_u32_e32 0x7f, v113
	s_cbranch_execz .LBB178_344
; %bb.341:                              ;   in Loop: Header=BB178_10 Depth=1
	v_and_b32_sdwa v49, v112, v68 dst_sel:DWORD dst_unused:UNUSED_PAD src0_sel:WORD_0 src1_sel:DWORD
	v_lshrrev_b32_e32 v110, 3, v113
	s_mov_b32 s33, exec_lo
	v_cmpx_gt_u32_e32 8, v113
; %bb.342:                              ;   in Loop: Header=BB178_10 Depth=1
	v_ffbh_u32_e32 v110, v49
	v_min_u32_e32 v110, 32, v110
	v_subrev_nc_u32_e32 v113, 28, v110
	v_sub_nc_u32_e32 v110, 29, v110
	v_lshlrev_b64 v[113:114], v113, v[49:50]
	v_and_b32_e32 v49, 7, v113
; %bb.343:                              ;   in Loop: Header=BB178_10 Depth=1
	s_or_b32 exec_lo, exec_lo, s33
	v_lshlrev_b32_e32 v112, 24, v112
	v_lshlrev_b32_e32 v49, 20, v49
	v_lshl_add_u32 v110, v110, 23, 0x3c000000
	v_and_b32_e32 v112, 0x80000000, v112
	v_or3_b32 v110, v49, v112, v110
.LBB178_344:                            ;   in Loop: Header=BB178_10 Depth=1
	s_or_b32 exec_lo, exec_lo, s31
.LBB178_345:                            ;   in Loop: Header=BB178_10 Depth=1
	s_or_b32 exec_lo, exec_lo, s17
.LBB178_346:                            ;   in Loop: Header=BB178_10 Depth=1
	s_or_b32 exec_lo, exec_lo, s3
	global_load_ubyte v114, v[55:56], off offset:1288
	v_mov_b32_e32 v112, 0
	v_mov_b32_e32 v113, 0
	s_mov_b32 s3, exec_lo
	s_waitcnt vmcnt(0)
	v_cmpx_ne_u16_e32 0, v114
	s_cbranch_execz .LBB178_354
; %bb.347:                              ;   in Loop: Header=BB178_10 Depth=1
	v_bfrev_b32_e32 v113, 1
	s_mov_b32 s17, exec_lo
	v_cmpx_ne_u16_e32 0x80, v114
	s_cbranch_execz .LBB178_353
; %bb.348:                              ;   in Loop: Header=BB178_10 Depth=1
	v_and_b32_sdwa v115, v114, v67 dst_sel:DWORD dst_unused:UNUSED_PAD src0_sel:WORD_0 src1_sel:DWORD
	v_mov_b32_e32 v113, 0x7f800001
	s_mov_b32 s31, exec_lo
	v_cmpx_ne_u32_e32 0x7f, v115
	s_cbranch_execz .LBB178_352
; %bb.349:                              ;   in Loop: Header=BB178_10 Depth=1
	v_and_b32_sdwa v49, v114, v68 dst_sel:DWORD dst_unused:UNUSED_PAD src0_sel:WORD_0 src1_sel:DWORD
	v_lshrrev_b32_e32 v113, 3, v115
	s_mov_b32 s33, exec_lo
	v_cmpx_gt_u32_e32 8, v115
; %bb.350:                              ;   in Loop: Header=BB178_10 Depth=1
	v_ffbh_u32_e32 v113, v49
	v_min_u32_e32 v113, 32, v113
	v_subrev_nc_u32_e32 v115, 28, v113
	v_sub_nc_u32_e32 v113, 29, v113
	v_lshlrev_b64 v[115:116], v115, v[49:50]
	v_and_b32_e32 v49, 7, v115
; %bb.351:                              ;   in Loop: Header=BB178_10 Depth=1
	s_or_b32 exec_lo, exec_lo, s33
	v_lshlrev_b32_e32 v114, 24, v114
	v_lshlrev_b32_e32 v49, 20, v49
	v_lshl_add_u32 v113, v113, 23, 0x3c000000
	v_and_b32_e32 v114, 0x80000000, v114
	v_or3_b32 v113, v49, v114, v113
.LBB178_352:                            ;   in Loop: Header=BB178_10 Depth=1
	s_or_b32 exec_lo, exec_lo, s31
.LBB178_353:                            ;   in Loop: Header=BB178_10 Depth=1
	s_or_b32 exec_lo, exec_lo, s17
.LBB178_354:                            ;   in Loop: Header=BB178_10 Depth=1
	s_or_b32 exec_lo, exec_lo, s3
	global_load_ubyte v114, v[55:56], off offset:1292
	s_mov_b32 s3, exec_lo
	s_waitcnt vmcnt(0)
	v_cmpx_ne_u16_e32 0, v114
	s_cbranch_execz .LBB178_362
; %bb.355:                              ;   in Loop: Header=BB178_10 Depth=1
	v_bfrev_b32_e32 v112, 1
	s_mov_b32 s17, exec_lo
	v_cmpx_ne_u16_e32 0x80, v114
	s_cbranch_execz .LBB178_361
; %bb.356:                              ;   in Loop: Header=BB178_10 Depth=1
	v_and_b32_sdwa v115, v114, v67 dst_sel:DWORD dst_unused:UNUSED_PAD src0_sel:WORD_0 src1_sel:DWORD
	v_mov_b32_e32 v112, 0x7f800001
	s_mov_b32 s31, exec_lo
	v_cmpx_ne_u32_e32 0x7f, v115
	s_cbranch_execz .LBB178_360
; %bb.357:                              ;   in Loop: Header=BB178_10 Depth=1
	v_and_b32_sdwa v49, v114, v68 dst_sel:DWORD dst_unused:UNUSED_PAD src0_sel:WORD_0 src1_sel:DWORD
	v_lshrrev_b32_e32 v112, 3, v115
	s_mov_b32 s33, exec_lo
	v_cmpx_gt_u32_e32 8, v115
; %bb.358:                              ;   in Loop: Header=BB178_10 Depth=1
	v_ffbh_u32_e32 v112, v49
	v_min_u32_e32 v112, 32, v112
	v_subrev_nc_u32_e32 v115, 28, v112
	v_sub_nc_u32_e32 v112, 29, v112
	v_lshlrev_b64 v[115:116], v115, v[49:50]
	v_and_b32_e32 v49, 7, v115
; %bb.359:                              ;   in Loop: Header=BB178_10 Depth=1
	s_or_b32 exec_lo, exec_lo, s33
	v_lshlrev_b32_e32 v114, 24, v114
	v_lshlrev_b32_e32 v49, 20, v49
	v_lshl_add_u32 v112, v112, 23, 0x3c000000
	v_and_b32_e32 v114, 0x80000000, v114
	v_or3_b32 v112, v49, v114, v112
.LBB178_360:                            ;   in Loop: Header=BB178_10 Depth=1
	s_or_b32 exec_lo, exec_lo, s31
.LBB178_361:                            ;   in Loop: Header=BB178_10 Depth=1
	s_or_b32 exec_lo, exec_lo, s17
.LBB178_362:                            ;   in Loop: Header=BB178_10 Depth=1
	s_or_b32 exec_lo, exec_lo, s3
	global_load_ubyte v116, v[55:56], off offset:1408
	v_mov_b32_e32 v114, 0
	v_mov_b32_e32 v115, 0
	s_mov_b32 s3, exec_lo
	s_waitcnt vmcnt(0)
	v_cmpx_ne_u16_e32 0, v116
	s_cbranch_execz .LBB178_370
; %bb.363:                              ;   in Loop: Header=BB178_10 Depth=1
	v_bfrev_b32_e32 v115, 1
	s_mov_b32 s17, exec_lo
	v_cmpx_ne_u16_e32 0x80, v116
	s_cbranch_execz .LBB178_369
; %bb.364:                              ;   in Loop: Header=BB178_10 Depth=1
	v_and_b32_sdwa v117, v116, v67 dst_sel:DWORD dst_unused:UNUSED_PAD src0_sel:WORD_0 src1_sel:DWORD
	v_mov_b32_e32 v115, 0x7f800001
	s_mov_b32 s31, exec_lo
	v_cmpx_ne_u32_e32 0x7f, v117
	s_cbranch_execz .LBB178_368
; %bb.365:                              ;   in Loop: Header=BB178_10 Depth=1
	v_and_b32_sdwa v49, v116, v68 dst_sel:DWORD dst_unused:UNUSED_PAD src0_sel:WORD_0 src1_sel:DWORD
	v_lshrrev_b32_e32 v115, 3, v117
	s_mov_b32 s33, exec_lo
	v_cmpx_gt_u32_e32 8, v117
; %bb.366:                              ;   in Loop: Header=BB178_10 Depth=1
	v_ffbh_u32_e32 v115, v49
	v_min_u32_e32 v115, 32, v115
	v_subrev_nc_u32_e32 v117, 28, v115
	v_sub_nc_u32_e32 v115, 29, v115
	v_lshlrev_b64 v[117:118], v117, v[49:50]
	v_and_b32_e32 v49, 7, v117
; %bb.367:                              ;   in Loop: Header=BB178_10 Depth=1
	s_or_b32 exec_lo, exec_lo, s33
	v_lshlrev_b32_e32 v116, 24, v116
	v_lshlrev_b32_e32 v49, 20, v49
	v_lshl_add_u32 v115, v115, 23, 0x3c000000
	v_and_b32_e32 v116, 0x80000000, v116
	v_or3_b32 v115, v49, v116, v115
.LBB178_368:                            ;   in Loop: Header=BB178_10 Depth=1
	s_or_b32 exec_lo, exec_lo, s31
.LBB178_369:                            ;   in Loop: Header=BB178_10 Depth=1
	s_or_b32 exec_lo, exec_lo, s17
.LBB178_370:                            ;   in Loop: Header=BB178_10 Depth=1
	s_or_b32 exec_lo, exec_lo, s3
	global_load_ubyte v116, v[55:56], off offset:1412
	s_mov_b32 s3, exec_lo
	s_waitcnt vmcnt(0)
	v_cmpx_ne_u16_e32 0, v116
	s_cbranch_execz .LBB178_378
; %bb.371:                              ;   in Loop: Header=BB178_10 Depth=1
	v_bfrev_b32_e32 v114, 1
	s_mov_b32 s17, exec_lo
	v_cmpx_ne_u16_e32 0x80, v116
	s_cbranch_execz .LBB178_377
; %bb.372:                              ;   in Loop: Header=BB178_10 Depth=1
	v_and_b32_sdwa v117, v116, v67 dst_sel:DWORD dst_unused:UNUSED_PAD src0_sel:WORD_0 src1_sel:DWORD
	v_mov_b32_e32 v114, 0x7f800001
	s_mov_b32 s31, exec_lo
	v_cmpx_ne_u32_e32 0x7f, v117
	s_cbranch_execz .LBB178_376
; %bb.373:                              ;   in Loop: Header=BB178_10 Depth=1
	v_and_b32_sdwa v49, v116, v68 dst_sel:DWORD dst_unused:UNUSED_PAD src0_sel:WORD_0 src1_sel:DWORD
	v_lshrrev_b32_e32 v114, 3, v117
	s_mov_b32 s33, exec_lo
	v_cmpx_gt_u32_e32 8, v117
; %bb.374:                              ;   in Loop: Header=BB178_10 Depth=1
	v_ffbh_u32_e32 v114, v49
	v_min_u32_e32 v114, 32, v114
	v_subrev_nc_u32_e32 v117, 28, v114
	v_sub_nc_u32_e32 v114, 29, v114
	v_lshlrev_b64 v[117:118], v117, v[49:50]
	v_and_b32_e32 v49, 7, v117
; %bb.375:                              ;   in Loop: Header=BB178_10 Depth=1
	s_or_b32 exec_lo, exec_lo, s33
	v_lshlrev_b32_e32 v116, 24, v116
	v_lshlrev_b32_e32 v49, 20, v49
	v_lshl_add_u32 v114, v114, 23, 0x3c000000
	v_and_b32_e32 v116, 0x80000000, v116
	v_or3_b32 v114, v49, v116, v114
.LBB178_376:                            ;   in Loop: Header=BB178_10 Depth=1
	s_or_b32 exec_lo, exec_lo, s31
.LBB178_377:                            ;   in Loop: Header=BB178_10 Depth=1
	s_or_b32 exec_lo, exec_lo, s17
.LBB178_378:                            ;   in Loop: Header=BB178_10 Depth=1
	s_or_b32 exec_lo, exec_lo, s3
	global_load_ubyte v118, v[55:56], off offset:1416
	v_mov_b32_e32 v116, 0
	v_mov_b32_e32 v117, 0
	s_mov_b32 s3, exec_lo
	s_waitcnt vmcnt(0)
	v_cmpx_ne_u16_e32 0, v118
	s_cbranch_execz .LBB178_386
; %bb.379:                              ;   in Loop: Header=BB178_10 Depth=1
	v_bfrev_b32_e32 v117, 1
	s_mov_b32 s17, exec_lo
	v_cmpx_ne_u16_e32 0x80, v118
	s_cbranch_execz .LBB178_385
; %bb.380:                              ;   in Loop: Header=BB178_10 Depth=1
	v_and_b32_sdwa v119, v118, v67 dst_sel:DWORD dst_unused:UNUSED_PAD src0_sel:WORD_0 src1_sel:DWORD
	v_mov_b32_e32 v117, 0x7f800001
	s_mov_b32 s31, exec_lo
	v_cmpx_ne_u32_e32 0x7f, v119
	s_cbranch_execz .LBB178_384
; %bb.381:                              ;   in Loop: Header=BB178_10 Depth=1
	v_and_b32_sdwa v49, v118, v68 dst_sel:DWORD dst_unused:UNUSED_PAD src0_sel:WORD_0 src1_sel:DWORD
	v_lshrrev_b32_e32 v117, 3, v119
	s_mov_b32 s33, exec_lo
	v_cmpx_gt_u32_e32 8, v119
; %bb.382:                              ;   in Loop: Header=BB178_10 Depth=1
	v_ffbh_u32_e32 v117, v49
	v_min_u32_e32 v117, 32, v117
	v_subrev_nc_u32_e32 v119, 28, v117
	v_sub_nc_u32_e32 v117, 29, v117
	v_lshlrev_b64 v[119:120], v119, v[49:50]
	v_and_b32_e32 v49, 7, v119
; %bb.383:                              ;   in Loop: Header=BB178_10 Depth=1
	s_or_b32 exec_lo, exec_lo, s33
	v_lshlrev_b32_e32 v118, 24, v118
	v_lshlrev_b32_e32 v49, 20, v49
	v_lshl_add_u32 v117, v117, 23, 0x3c000000
	v_and_b32_e32 v118, 0x80000000, v118
	v_or3_b32 v117, v49, v118, v117
.LBB178_384:                            ;   in Loop: Header=BB178_10 Depth=1
	s_or_b32 exec_lo, exec_lo, s31
.LBB178_385:                            ;   in Loop: Header=BB178_10 Depth=1
	s_or_b32 exec_lo, exec_lo, s17
.LBB178_386:                            ;   in Loop: Header=BB178_10 Depth=1
	s_or_b32 exec_lo, exec_lo, s3
	global_load_ubyte v55, v[55:56], off offset:1420
	s_mov_b32 s3, exec_lo
	s_waitcnt vmcnt(0)
	v_cmpx_ne_u16_e32 0, v55
	s_cbranch_execz .LBB178_394
; %bb.387:                              ;   in Loop: Header=BB178_10 Depth=1
	v_bfrev_b32_e32 v116, 1
	s_mov_b32 s17, exec_lo
	v_cmpx_ne_u16_e32 0x80, v55
	s_cbranch_execz .LBB178_393
; %bb.388:                              ;   in Loop: Header=BB178_10 Depth=1
	v_and_b32_sdwa v118, v55, v67 dst_sel:DWORD dst_unused:UNUSED_PAD src0_sel:WORD_0 src1_sel:DWORD
	v_mov_b32_e32 v116, 0x7f800001
	s_mov_b32 s31, exec_lo
	v_cmpx_ne_u32_e32 0x7f, v118
	s_cbranch_execz .LBB178_392
; %bb.389:                              ;   in Loop: Header=BB178_10 Depth=1
	v_and_b32_sdwa v49, v55, v68 dst_sel:DWORD dst_unused:UNUSED_PAD src0_sel:WORD_0 src1_sel:DWORD
	v_lshrrev_b32_e32 v56, 3, v118
	s_mov_b32 s33, exec_lo
	v_cmpx_gt_u32_e32 8, v118
; %bb.390:                              ;   in Loop: Header=BB178_10 Depth=1
	v_ffbh_u32_e32 v56, v49
	v_min_u32_e32 v56, 32, v56
	v_subrev_nc_u32_e32 v116, 28, v56
	v_sub_nc_u32_e32 v56, 29, v56
	v_lshlrev_b64 v[118:119], v116, v[49:50]
	v_and_b32_e32 v49, 7, v118
; %bb.391:                              ;   in Loop: Header=BB178_10 Depth=1
	s_or_b32 exec_lo, exec_lo, s33
	v_lshlrev_b32_e32 v55, 24, v55
	v_lshlrev_b32_e32 v49, 20, v49
	v_lshl_add_u32 v56, v56, 23, 0x3c000000
	v_and_b32_e32 v55, 0x80000000, v55
	v_or3_b32 v116, v49, v55, v56
.LBB178_392:                            ;   in Loop: Header=BB178_10 Depth=1
	s_or_b32 exec_lo, exec_lo, s31
.LBB178_393:                            ;   in Loop: Header=BB178_10 Depth=1
	s_or_b32 exec_lo, exec_lo, s17
.LBB178_394:                            ;   in Loop: Header=BB178_10 Depth=1
	s_or_b32 exec_lo, exec_lo, s3
	s_waitcnt lgkmcnt(0)
	v_mul_f32_e32 v49, s4, v70
	v_mul_f32_e32 v55, s4, v71
	;; [unrolled: 1-line block ×4, first 2 shown]
	v_fmac_f32_e32 v49, v1, v55
	v_mul_f32_e32 v55, s4, v72
	v_fmac_f32_e32 v49, v3, v56
	v_mul_f32_e32 v56, s4, v75
	;; [unrolled: 2-line block ×45, first 2 shown]
	v_fmac_f32_e32 v49, v47, v56
	v_fmac_f32_e32 v49, v48, v55
	ds_bpermute_b32 v55, v62, v49
	s_waitcnt lgkmcnt(0)
	v_add_f32_e32 v49, v49, v55
	ds_bpermute_b32 v55, v63, v49
	s_and_saveexec_b32 s3, vcc_lo
	s_cbranch_execz .LBB178_9
; %bb.395:                              ;   in Loop: Header=BB178_10 Depth=1
	v_add_nc_u32_e32 v56, s5, v65
	s_waitcnt lgkmcnt(0)
	v_add_f32_e32 v49, v49, v55
	v_cmp_gt_i32_e64 s2, s28, v65
	v_cvt_f32_i32_e32 v56, v56
	v_mul_f32_e32 v56, s30, v56
	v_cndmask_b32_e64 v55, 0, v56, s1
	v_max_f32_e32 v56, v64, v64
	v_fmac_f32_e32 v55, s29, v49
	v_max_f32_e32 v49, v56, v55
	v_cndmask_b32_e64 v55, 0, v55, s2
	v_cndmask_b32_e64 v64, v64, v49, s2
	ds_write_b32 v66, v55
	s_branch .LBB178_9
.LBB178_396:
	s_or_b32 exec_lo, exec_lo, s14
.LBB178_397:
	s_or_b32 exec_lo, exec_lo, s15
	v_xor_b32_e32 v1, 16, v60
	v_xor_b32_e32 v3, 8, v60
	v_max_f32_e32 v4, v64, v64
	v_xor_b32_e32 v5, 4, v60
	v_and_b32_e32 v25, 31, v0
	v_cmp_lt_i32_e32 vcc_lo, v1, v61
	v_cndmask_b32_e32 v1, v60, v1, vcc_lo
	v_cmp_lt_i32_e32 vcc_lo, v3, v61
	v_lshlrev_b32_e32 v2, 2, v1
	v_cndmask_b32_e32 v3, v60, v3, vcc_lo
	v_cmp_lt_i32_e32 vcc_lo, v5, v61
	ds_bpermute_b32 v1, v2, v64
	v_lshlrev_b32_e32 v3, 2, v3
	v_cndmask_b32_e32 v5, v60, v5, vcc_lo
	v_cmp_eq_u32_e32 vcc_lo, 0, v25
	v_lshlrev_b32_e32 v6, 2, v5
	s_waitcnt lgkmcnt(0)
	v_max_f32_e32 v1, v1, v1
	v_max_f32_e32 v1, v4, v1
	ds_bpermute_b32 v4, v3, v1
	s_waitcnt lgkmcnt(0)
	v_max_f32_e32 v4, v4, v4
	v_max_f32_e32 v1, v1, v4
	v_lshlrev_b32_e32 v4, 2, v57
	ds_bpermute_b32 v5, v6, v1
	s_and_saveexec_b32 s1, vcc_lo
	s_cbranch_execz .LBB178_399
; %bb.398:
	s_waitcnt lgkmcnt(0)
	v_max_f32_e32 v5, v5, v5
	v_max_f32_e32 v1, v1, v1
	;; [unrolled: 1-line block ×3, first 2 shown]
	ds_write_b32 v4, v1 offset:768
.LBB178_399:
	s_or_b32 exec_lo, exec_lo, s1
	v_cmp_gt_u32_e64 s1, 4, v25
	v_mov_b32_e32 v1, 0xff7fffff
	s_waitcnt lgkmcnt(0)
	v_lshlrev_b32_e32 v5, 2, v25
	s_barrier
	buffer_gl0_inv
	s_and_saveexec_b32 s2, s1
; %bb.400:
	ds_read_b32 v1, v5 offset:768
; %bb.401:
	s_or_b32 exec_lo, exec_lo, s2
	v_xor_b32_e32 v7, 2, v60
	v_xor_b32_e32 v9, 1, v60
	v_cmp_lt_i32_e64 s2, v7, v61
	v_cndmask_b32_e64 v7, v60, v7, s2
	v_cmp_lt_i32_e64 s2, v9, v61
	v_lshlrev_b32_e32 v7, 2, v7
	v_cndmask_b32_e64 v9, v60, v9, s2
	s_lshl_b32 s2, s7, 3
	s_min_i32 s4, s2, s28
	s_waitcnt lgkmcnt(0)
	ds_bpermute_b32 v8, v7, v1
	v_max_f32_e32 v1, v1, v1
	v_lshlrev_b32_e32 v26, 2, v9
	v_cmp_gt_i32_e64 s2, s4, v0
	s_waitcnt lgkmcnt(0)
	v_max_f32_e32 v8, v8, v8
	v_max_f32_e32 v1, v1, v8
	ds_bpermute_b32 v8, v26, v1
	s_waitcnt lgkmcnt(0)
	v_max_f32_e32 v8, v8, v8
	v_max_f32_e32 v1, v1, v8
	v_lshlrev_b32_e32 v8, 2, v50
	ds_bpermute_b32 v9, v8, v1
	v_mov_b32_e32 v8, 0
	v_lshl_add_u32 v1, v0, 2, 0x320
	s_and_saveexec_b32 s5, s2
	s_cbranch_execz .LBB178_405
; %bb.402:
	v_lshl_add_u32 v10, v0, 2, 0x320
	v_mov_b32_e32 v8, 0
	v_mov_b32_e32 v11, v0
	s_mov_b32 s14, 0
	.p2align	6
.LBB178_403:                            ; =>This Inner Loop Header: Depth=1
	ds_read_b32 v12, v10
	v_add_nc_u32_e32 v11, 0x80, v11
	v_cmp_le_i32_e64 s3, s4, v11
	s_or_b32 s14, s3, s14
	s_waitcnt lgkmcnt(0)
	v_sub_f32_e32 v12, v12, v9
	v_mul_f32_e32 v12, 0x3fb8aa3b, v12
	v_exp_f32_e32 v12, v12
	ds_write_b32 v10, v12
	v_add_f32_e32 v8, v8, v12
	v_add_nc_u32_e32 v10, 0x200, v10
	s_andn2_b32 exec_lo, exec_lo, s14
	s_cbranch_execnz .LBB178_403
; %bb.404:
	s_or_b32 exec_lo, exec_lo, s14
.LBB178_405:
	s_or_b32 exec_lo, exec_lo, s5
	ds_bpermute_b32 v2, v2, v8
	s_waitcnt lgkmcnt(0)
	v_add_f32_e32 v2, v8, v2
	ds_bpermute_b32 v3, v3, v2
	s_waitcnt lgkmcnt(0)
	v_add_f32_e32 v2, v2, v3
	;; [unrolled: 3-line block ×5, first 2 shown]
	s_and_saveexec_b32 s3, vcc_lo
; %bb.406:
	ds_write_b32 v4, v2 offset:784
; %bb.407:
	s_or_b32 exec_lo, exec_lo, s3
	s_waitcnt lgkmcnt(0)
	s_barrier
	buffer_gl0_inv
	s_and_saveexec_b32 s3, s1
; %bb.408:
	ds_read_b32 v2, v5 offset:784
; %bb.409:
	s_or_b32 exec_lo, exec_lo, s3
	s_waitcnt lgkmcnt(0)
	ds_bpermute_b32 v3, v7, v2
	v_lshlrev_b32_e32 v4, 2, v60
	s_waitcnt lgkmcnt(0)
	v_add_f32_e32 v2, v2, v3
	ds_bpermute_b32 v3, v26, v2
	s_waitcnt lgkmcnt(0)
	v_add_f32_e32 v2, v2, v3
	v_and_b32_e32 v3, 0xffffff80, v4
	ds_bpermute_b32 v2, v3, v2
	s_and_saveexec_b32 s1, s2
	s_cbranch_execz .LBB178_412
; %bb.410:
	s_waitcnt lgkmcnt(0)
	v_add_f32_e32 v2, 0x358637bd, v2
	s_mov_b32 s2, 0
	v_div_scale_f32 v3, null, v2, v2, 1.0
	v_div_scale_f32 v6, vcc_lo, 1.0, v2, 1.0
	v_rcp_f32_e32 v4, v3
	v_fma_f32 v5, -v3, v4, 1.0
	v_fmac_f32_e32 v4, v5, v4
	v_mul_f32_e32 v5, v6, v4
	v_fma_f32 v7, -v3, v5, v6
	v_fmac_f32_e32 v5, v7, v4
	v_fma_f32 v3, -v3, v5, v6
	v_div_fmas_f32 v3, v3, v4, v5
	v_div_fixup_f32 v2, v3, v2, 1.0
	v_mov_b32_e32 v3, v0
.LBB178_411:                            ; =>This Inner Loop Header: Depth=1
	ds_read_b32 v4, v1
	v_add_nc_u32_e32 v3, 0x80, v3
	v_cmp_le_i32_e32 vcc_lo, s4, v3
	s_or_b32 s2, vcc_lo, s2
	s_waitcnt lgkmcnt(0)
	v_mul_f32_e32 v4, v2, v4
	ds_write_b32 v1, v4
	v_add_nc_u32_e32 v1, 0x200, v1
	s_andn2_b32 exec_lo, exec_lo, s2
	s_cbranch_execnz .LBB178_411
.LBB178_412:
	s_or_b32 exec_lo, exec_lo, s1
	v_mov_b32_e32 v37, 0
	v_and_b32_e32 v27, 1, v0
	v_mov_b32_e32 v39, 0
	v_mov_b32_e32 v38, 0
	v_mov_b32_e32 v36, 0
	v_mov_b32_e32 v35, 0
	v_mov_b32_e32 v34, 0
	v_mov_b32_e32 v33, 0
	v_mov_b32_e32 v32, 0
	v_mov_b32_e32 v31, 0
	v_mov_b32_e32 v30, 0
	v_mov_b32_e32 v29, 0
	v_mov_b32_e32 v28, 0
	s_waitcnt lgkmcnt(0)
	s_barrier
	buffer_gl0_inv
	s_and_saveexec_b32 s1, s0
	s_cbranch_execz .LBB178_824
; %bb.413:
	s_load_dword s2, s[18:19], 0x0
	v_and_b32_e32 v2, 0x7c, v58
	v_and_b32_e32 v1, 4, v58
	v_lshlrev_b32_e32 v4, 3, v57
	s_ashr_i32 s0, s12, 31
	s_add_u32 s4, s26, s12
	v_lshlrev_b32_e32 v3, 4, v27
	s_addc_u32 s0, s27, s0
	v_add_co_u32 v7, s4, s4, v2
	v_or3_b32 v40, v4, v1, 3
	v_and_b32_e32 v1, 0x7c, v59
	v_add_co_ci_u32_e64 v8, null, s0, 0, s4
	s_lshl_b64 s[4:5], s[24:25], 2
	s_add_i32 s3, s7, -1
	v_lshl_or_b32 v3, v57, 5, v3
	s_add_u32 s0, s22, s4
	s_addc_u32 s4, s23, s5
	v_add_co_u32 v9, s0, s0, v1
	v_mov_b32_e32 v6, 0
	v_add_nc_u32_e32 v41, 0x320, v3
	v_add_co_ci_u32_e64 v10, null, s4, 0, s0
	v_mov_b32_e32 v42, 0x80
	v_bfrev_b32_e32 v12, 1
	v_mov_b32_e32 v43, 0xffff
	v_mov_b32_e32 v14, 0x7f800001
	v_mov_b32_e32 v44, 0xff
	v_mov_b32_e32 v45, 7
	v_mov_b32_e32 v46, 24
	v_mov_b32_e32 v28, 0
	v_mov_b32_e32 v29, 0
	v_mov_b32_e32 v30, 0
	v_mov_b32_e32 v31, 0
	v_mov_b32_e32 v32, 0
	v_mov_b32_e32 v33, 0
	v_mov_b32_e32 v34, 0
	v_mov_b32_e32 v35, 0
	v_mov_b32_e32 v36, 0
	v_mov_b32_e32 v38, 0
	v_mov_b32_e32 v39, 0
	v_mov_b32_e32 v37, 0
	v_mov_b32_e32 v47, v57
	s_mov_b32 s4, s13
	s_waitcnt lgkmcnt(0)
	s_mov_b32 s12, s2
	s_mov_b32 s5, 0
	s_branch .LBB178_415
.LBB178_414:                            ;   in Loop: Header=BB178_415 Depth=1
	s_or_b32 exec_lo, exec_lo, s0
	s_waitcnt lgkmcnt(0)
	v_mul_f32_e32 v16, v1, v93
	v_mul_f32_e32 v17, v1, v91
	;; [unrolled: 1-line block ×5, first 2 shown]
	v_fmac_f32_e32 v16, v2, v92
	v_fmac_f32_e32 v17, v2, v90
	;; [unrolled: 1-line block ×4, first 2 shown]
	v_mul_f32_e32 v21, v1, v75
	v_fmac_f32_e32 v16, v3, v24
	v_fmac_f32_e32 v17, v3, v89
	;; [unrolled: 1-line block ×4, first 2 shown]
	v_mul_f32_e32 v22, v1, v71
	v_fmac_f32_e32 v16, v4, v23
	v_fmac_f32_e32 v17, v4, v88
	;; [unrolled: 1-line block ×5, first 2 shown]
	v_add_f32_e32 v29, v29, v16
	v_add_f32_e32 v30, v30, v17
	;; [unrolled: 1-line block ×4, first 2 shown]
	v_mul_f32_e32 v16, v1, v67
	v_mul_f32_e32 v17, v1, v63
	;; [unrolled: 1-line block ×5, first 2 shown]
	v_fmac_f32_e32 v21, v2, v74
	v_fmac_f32_e32 v22, v2, v70
	;; [unrolled: 1-line block ×15, first 2 shown]
	v_add_nc_u32_e32 v47, 4, v47
	v_fmac_f32_e32 v20, v4, v76
	v_fmac_f32_e32 v21, v4, v72
	;; [unrolled: 1-line block ×8, first 2 shown]
	v_cmp_le_i32_e32 vcc_lo, s7, v47
	v_add_co_u32 v9, s0, v9, 16
	v_add_f32_e32 v33, v33, v20
	v_add_f32_e32 v34, v34, v21
	;; [unrolled: 1-line block ×8, first 2 shown]
	v_add_nc_u32_e32 v40, 32, v40
	v_add_nc_u32_e32 v41, 0x80, v41
	v_add_co_ci_u32_e64 v10, null, 0, v10, s0
	s_or_b32 s5, vcc_lo, s5
	s_andn2_b32 exec_lo, exec_lo, s5
	s_cbranch_execz .LBB178_823
.LBB178_415:                            ; =>This Inner Loop Header: Depth=1
	global_load_dword v1, v[9:10], off
	v_mov_b32_e32 v19, 0
	v_mov_b32_e32 v17, 0
	v_mov_b32_e32 v20, 0
	v_mov_b32_e32 v18, 0
	s_waitcnt vmcnt(0)
	v_mad_i64_i32 v[15:16], null, v1, s4, v[7:8]
	ds_read_b128 v[1:4], v41
	global_load_dword v48, v[15:16], off
	s_waitcnt vmcnt(0)
	v_cmp_ne_u16_sdwa s13, v48, v6 src0_sel:BYTE_0 src1_sel:DWORD
	s_and_saveexec_b32 s0, s13
	s_cbranch_execz .LBB178_423
; %bb.416:                              ;   in Loop: Header=BB178_415 Depth=1
	v_bfrev_b32_e32 v17, 1
	v_mov_b32_e32 v18, 0
	v_cmp_ne_u16_sdwa s14, v48, v42 src0_sel:BYTE_0 src1_sel:DWORD
	s_and_saveexec_b32 s13, s14
	s_cbranch_execz .LBB178_422
; %bb.417:                              ;   in Loop: Header=BB178_415 Depth=1
	v_mov_b32_e32 v17, 0x7f800001
	v_and_b32_e32 v13, 0x7f, v48
	v_mov_b32_e32 v18, 0
	s_mov_b32 s14, exec_lo
	v_cmpx_ne_u32_e32 0x7f, v13
	s_cbranch_execz .LBB178_421
; %bb.418:                              ;   in Loop: Header=BB178_415 Depth=1
	v_and_b32_e32 v5, 7, v48
	v_lshrrev_b32_e32 v11, 3, v13
	s_mov_b32 s15, exec_lo
	v_cmpx_gt_u32_e32 8, v13
; %bb.419:                              ;   in Loop: Header=BB178_415 Depth=1
	v_ffbh_u32_e32 v11, v5
	v_min_u32_e32 v11, 32, v11
	v_subrev_nc_u32_e32 v13, 28, v11
	v_sub_nc_u32_e32 v11, 29, v11
	v_lshlrev_b64 v[17:18], v13, v[5:6]
	v_and_b32_e32 v5, 7, v17
; %bb.420:                              ;   in Loop: Header=BB178_415 Depth=1
	s_or_b32 exec_lo, exec_lo, s15
	v_lshlrev_b32_e32 v13, 24, v48
	v_lshlrev_b32_e32 v5, 20, v5
	v_lshl_add_u32 v11, v11, 23, 0x3c000000
	v_and_b32_e32 v13, 0x80000000, v13
	v_or3_b32 v5, v5, v13, v11
	v_mov_b32_e32 v18, v6
	v_mov_b32_e32 v17, v5
.LBB178_421:                            ;   in Loop: Header=BB178_415 Depth=1
	s_or_b32 exec_lo, exec_lo, s14
.LBB178_422:                            ;   in Loop: Header=BB178_415 Depth=1
	s_or_b32 exec_lo, exec_lo, s13
.LBB178_423:                            ;   in Loop: Header=BB178_415 Depth=1
	s_or_b32 exec_lo, exec_lo, s0
	v_cmp_ne_u16_sdwa s13, v48, v6 src0_sel:BYTE_1 src1_sel:DWORD
	s_and_saveexec_b32 s0, s13
	s_cbranch_execz .LBB178_431
; %bb.424:                              ;   in Loop: Header=BB178_415 Depth=1
	v_mov_b32_e32 v11, v6
	v_mov_b32_e32 v20, v12
	v_cmp_ne_u16_sdwa s14, v48, v42 src0_sel:BYTE_1 src1_sel:DWORD
	v_mov_b32_e32 v19, v11
	s_and_saveexec_b32 s13, s14
	s_cbranch_execz .LBB178_430
; %bb.425:                              ;   in Loop: Header=BB178_415 Depth=1
	v_and_b32_sdwa v5, v43, v48 dst_sel:DWORD dst_unused:UNUSED_PAD src0_sel:DWORD src1_sel:BYTE_1
	v_mov_b32_e32 v13, v6
	v_mov_b32_e32 v20, v14
	s_mov_b32 s14, exec_lo
	v_and_b32_e32 v21, 0x7f, v5
	v_mov_b32_e32 v19, v13
	v_cmpx_ne_u32_e32 0x7f, v21
	s_cbranch_execz .LBB178_429
; %bb.426:                              ;   in Loop: Header=BB178_415 Depth=1
	v_and_b32_e32 v5, 7, v5
	v_lshrrev_b32_e32 v11, 3, v21
	s_mov_b32 s15, exec_lo
	v_cmpx_gt_u32_e32 8, v21
; %bb.427:                              ;   in Loop: Header=BB178_415 Depth=1
	v_ffbh_u32_e32 v11, v5
	v_min_u32_e32 v11, 32, v11
	v_subrev_nc_u32_e32 v13, 28, v11
	v_sub_nc_u32_e32 v11, 29, v11
	v_lshlrev_b64 v[19:20], v13, v[5:6]
	v_and_b32_e32 v5, 7, v19
; %bb.428:                              ;   in Loop: Header=BB178_415 Depth=1
	s_or_b32 exec_lo, exec_lo, s15
	v_lshlrev_b32_e32 v13, 16, v48
	v_lshlrev_b32_e32 v5, 20, v5
	v_lshl_add_u32 v11, v11, 23, 0x3c000000
	v_mov_b32_e32 v19, v6
	v_and_b32_e32 v13, 0x80000000, v13
	v_or3_b32 v20, v5, v13, v11
.LBB178_429:                            ;   in Loop: Header=BB178_415 Depth=1
	s_or_b32 exec_lo, exec_lo, s14
.LBB178_430:                            ;   in Loop: Header=BB178_415 Depth=1
	s_or_b32 exec_lo, exec_lo, s13
.LBB178_431:                            ;   in Loop: Header=BB178_415 Depth=1
	s_or_b32 exec_lo, exec_lo, s0
	v_mov_b32_e32 v23, 0
	v_mov_b32_e32 v21, 0
	v_and_b32_sdwa v5, v48, v44 dst_sel:DWORD dst_unused:UNUSED_PAD src0_sel:WORD_1 src1_sel:DWORD
	v_mov_b32_e32 v24, 0
	v_mov_b32_e32 v22, 0
	s_mov_b32 s0, exec_lo
	v_cmpx_ne_u16_e32 0, v5
	s_cbranch_execz .LBB178_439
; %bb.432:                              ;   in Loop: Header=BB178_415 Depth=1
	v_bfrev_b32_e32 v21, 1
	v_mov_b32_e32 v22, 0
	s_mov_b32 s13, exec_lo
	v_cmpx_ne_u16_e32 0x80, v5
	s_cbranch_execz .LBB178_438
; %bb.433:                              ;   in Loop: Header=BB178_415 Depth=1
	v_mov_b32_e32 v21, 0x7f800001
	v_bfe_u32 v13, v48, 16, 7
	v_mov_b32_e32 v22, 0
	s_mov_b32 s14, exec_lo
	v_cmpx_ne_u32_e32 0x7f, v13
	s_cbranch_execz .LBB178_437
; %bb.434:                              ;   in Loop: Header=BB178_415 Depth=1
	v_and_b32_sdwa v5, v48, v45 dst_sel:DWORD dst_unused:UNUSED_PAD src0_sel:WORD_1 src1_sel:DWORD
	v_lshrrev_b32_e32 v11, 3, v13
	s_mov_b32 s15, exec_lo
	v_cmpx_gt_u32_e32 8, v13
; %bb.435:                              ;   in Loop: Header=BB178_415 Depth=1
	v_ffbh_u32_e32 v11, v5
	v_min_u32_e32 v11, 32, v11
	v_subrev_nc_u32_e32 v13, 28, v11
	v_sub_nc_u32_e32 v11, 29, v11
	v_lshlrev_b64 v[21:22], v13, v[5:6]
	v_and_b32_e32 v5, 7, v21
; %bb.436:                              ;   in Loop: Header=BB178_415 Depth=1
	s_or_b32 exec_lo, exec_lo, s15
	v_lshlrev_b32_sdwa v13, v46, v48 dst_sel:DWORD dst_unused:UNUSED_PAD src0_sel:DWORD src1_sel:WORD_1
	v_lshlrev_b32_e32 v5, 20, v5
	v_lshl_add_u32 v11, v11, 23, 0x3c000000
	v_and_b32_e32 v13, 0x80000000, v13
	v_or3_b32 v5, v5, v13, v11
	v_mov_b32_e32 v22, v6
	v_mov_b32_e32 v21, v5
.LBB178_437:                            ;   in Loop: Header=BB178_415 Depth=1
	s_or_b32 exec_lo, exec_lo, s14
.LBB178_438:                            ;   in Loop: Header=BB178_415 Depth=1
	s_or_b32 exec_lo, exec_lo, s13
.LBB178_439:                            ;   in Loop: Header=BB178_415 Depth=1
	s_or_b32 exec_lo, exec_lo, s0
	s_mov_b32 s0, exec_lo
	v_cmpx_lt_u32_e32 0xffffff, v48
	s_cbranch_execz .LBB178_447
; %bb.440:                              ;   in Loop: Header=BB178_415 Depth=1
	v_mov_b32_e32 v11, v6
	v_mov_b32_e32 v24, v12
	v_cmp_ne_u32_sdwa s14, v48, v42 src0_sel:BYTE_3 src1_sel:DWORD
	v_mov_b32_e32 v23, v11
	s_and_saveexec_b32 s13, s14
	s_cbranch_execz .LBB178_446
; %bb.441:                              ;   in Loop: Header=BB178_415 Depth=1
	v_mov_b32_e32 v13, v6
	v_mov_b32_e32 v24, v14
	v_bfe_u32 v49, v48, 24, 7
	s_mov_b32 s14, exec_lo
	v_mov_b32_e32 v23, v13
	v_cmpx_ne_u32_e32 0x7f, v49
	s_cbranch_execz .LBB178_445
; %bb.442:                              ;   in Loop: Header=BB178_415 Depth=1
	v_and_b32_sdwa v5, v48, v45 dst_sel:DWORD dst_unused:UNUSED_PAD src0_sel:BYTE_3 src1_sel:DWORD
	v_lshrrev_b32_e32 v11, 3, v49
	s_mov_b32 s15, exec_lo
	v_cmpx_gt_u32_e32 8, v49
; %bb.443:                              ;   in Loop: Header=BB178_415 Depth=1
	v_ffbh_u32_e32 v11, v5
	v_min_u32_e32 v11, 32, v11
	v_subrev_nc_u32_e32 v13, 28, v11
	v_sub_nc_u32_e32 v11, 29, v11
	v_lshlrev_b64 v[23:24], v13, v[5:6]
	v_and_b32_e32 v5, 7, v23
; %bb.444:                              ;   in Loop: Header=BB178_415 Depth=1
	s_or_b32 exec_lo, exec_lo, s15
	v_lshlrev_b32_sdwa v13, v46, v48 dst_sel:DWORD dst_unused:UNUSED_PAD src0_sel:DWORD src1_sel:BYTE_3
	v_lshlrev_b32_e32 v5, 20, v5
	v_lshl_add_u32 v11, v11, 23, 0x3c000000
	v_mov_b32_e32 v23, v6
	v_and_b32_e32 v13, 0x80000000, v13
	v_or3_b32 v24, v5, v13, v11
.LBB178_445:                            ;   in Loop: Header=BB178_415 Depth=1
	s_or_b32 exec_lo, exec_lo, s14
.LBB178_446:                            ;   in Loop: Header=BB178_415 Depth=1
	s_or_b32 exec_lo, exec_lo, s13
.LBB178_447:                            ;   in Loop: Header=BB178_415 Depth=1
	s_or_b32 exec_lo, exec_lo, s0
	v_or_b32_e32 v5, v20, v18
	v_or_b32_e32 v11, v19, v17
	v_or_b32_e32 v13, v23, v21
	v_or_b32_e32 v17, v24, v22
	v_add_nc_u32_e32 v52, -3, v40
	v_cmp_eq_u32_e32 vcc_lo, s3, v47
	v_mul_f32_e32 v50, s12, v5
	v_mul_f32_e32 v51, s2, v11
	;; [unrolled: 1-line block ×4, first 2 shown]
	v_add_nc_u32_e32 v54, -2, v40
	v_add_nc_u32_e32 v53, -1, v40
	s_and_saveexec_b32 s13, vcc_lo
	s_cbranch_execz .LBB178_449
; %bb.448:                              ;   in Loop: Header=BB178_415 Depth=1
	v_cmp_gt_i32_e64 s0, s28, v52
	v_cndmask_b32_e64 v51, 0, v51, s0
	v_cmp_gt_i32_e64 s0, s28, v54
	v_cndmask_b32_e64 v50, 0, v50, s0
	;; [unrolled: 2-line block ×4, first 2 shown]
.LBB178_449:                            ;   in Loop: Header=BB178_415 Depth=1
	s_or_b32 exec_lo, exec_lo, s13
	global_load_dword v55, v[15:16], off offset:128
	v_mov_b32_e32 v19, 0
	v_mov_b32_e32 v17, 0
	;; [unrolled: 1-line block ×4, first 2 shown]
	s_waitcnt vmcnt(0)
	v_cmp_ne_u16_sdwa s0, v55, v6 src0_sel:BYTE_0 src1_sel:DWORD
	s_and_saveexec_b32 s13, s0
	s_cbranch_execz .LBB178_457
; %bb.450:                              ;   in Loop: Header=BB178_415 Depth=1
	v_bfrev_b32_e32 v17, 1
	v_mov_b32_e32 v18, 0
	v_cmp_ne_u16_sdwa s0, v55, v42 src0_sel:BYTE_0 src1_sel:DWORD
	s_and_saveexec_b32 s14, s0
	s_cbranch_execz .LBB178_456
; %bb.451:                              ;   in Loop: Header=BB178_415 Depth=1
	v_mov_b32_e32 v17, 0x7f800001
	v_and_b32_e32 v13, 0x7f, v55
	v_mov_b32_e32 v18, 0
	s_mov_b32 s15, exec_lo
	v_cmpx_ne_u32_e32 0x7f, v13
	s_cbranch_execz .LBB178_455
; %bb.452:                              ;   in Loop: Header=BB178_415 Depth=1
	v_and_b32_e32 v5, 7, v55
	v_lshrrev_b32_e32 v11, 3, v13
	s_mov_b32 s16, exec_lo
	v_cmpx_gt_u32_e32 8, v13
; %bb.453:                              ;   in Loop: Header=BB178_415 Depth=1
	v_ffbh_u32_e32 v11, v5
	v_min_u32_e32 v11, 32, v11
	v_subrev_nc_u32_e32 v13, 28, v11
	v_sub_nc_u32_e32 v11, 29, v11
	v_lshlrev_b64 v[17:18], v13, v[5:6]
	v_and_b32_e32 v5, 7, v17
; %bb.454:                              ;   in Loop: Header=BB178_415 Depth=1
	s_or_b32 exec_lo, exec_lo, s16
	v_lshlrev_b32_e32 v13, 24, v55
	v_lshlrev_b32_e32 v5, 20, v5
	v_lshl_add_u32 v11, v11, 23, 0x3c000000
	v_and_b32_e32 v13, 0x80000000, v13
	v_or3_b32 v5, v5, v13, v11
	v_mov_b32_e32 v18, v6
	v_mov_b32_e32 v17, v5
.LBB178_455:                            ;   in Loop: Header=BB178_415 Depth=1
	s_or_b32 exec_lo, exec_lo, s15
.LBB178_456:                            ;   in Loop: Header=BB178_415 Depth=1
	s_or_b32 exec_lo, exec_lo, s14
.LBB178_457:                            ;   in Loop: Header=BB178_415 Depth=1
	s_or_b32 exec_lo, exec_lo, s13
	v_cmp_ne_u16_sdwa s0, v55, v6 src0_sel:BYTE_1 src1_sel:DWORD
	s_and_saveexec_b32 s13, s0
	s_cbranch_execz .LBB178_465
; %bb.458:                              ;   in Loop: Header=BB178_415 Depth=1
	v_mov_b32_e32 v11, v6
	v_mov_b32_e32 v20, v12
	v_cmp_ne_u16_sdwa s0, v55, v42 src0_sel:BYTE_1 src1_sel:DWORD
	v_mov_b32_e32 v19, v11
	s_and_saveexec_b32 s14, s0
	s_cbranch_execz .LBB178_464
; %bb.459:                              ;   in Loop: Header=BB178_415 Depth=1
	v_and_b32_sdwa v5, v43, v55 dst_sel:DWORD dst_unused:UNUSED_PAD src0_sel:DWORD src1_sel:BYTE_1
	v_mov_b32_e32 v13, v6
	v_mov_b32_e32 v20, v14
	s_mov_b32 s15, exec_lo
	v_and_b32_e32 v21, 0x7f, v5
	v_mov_b32_e32 v19, v13
	v_cmpx_ne_u32_e32 0x7f, v21
	s_cbranch_execz .LBB178_463
; %bb.460:                              ;   in Loop: Header=BB178_415 Depth=1
	v_and_b32_e32 v5, 7, v5
	v_lshrrev_b32_e32 v11, 3, v21
	s_mov_b32 s16, exec_lo
	v_cmpx_gt_u32_e32 8, v21
; %bb.461:                              ;   in Loop: Header=BB178_415 Depth=1
	v_ffbh_u32_e32 v11, v5
	v_min_u32_e32 v11, 32, v11
	v_subrev_nc_u32_e32 v13, 28, v11
	v_sub_nc_u32_e32 v11, 29, v11
	v_lshlrev_b64 v[19:20], v13, v[5:6]
	v_and_b32_e32 v5, 7, v19
; %bb.462:                              ;   in Loop: Header=BB178_415 Depth=1
	s_or_b32 exec_lo, exec_lo, s16
	v_lshlrev_b32_e32 v13, 16, v55
	v_lshlrev_b32_e32 v5, 20, v5
	v_lshl_add_u32 v11, v11, 23, 0x3c000000
	v_mov_b32_e32 v19, v6
	v_and_b32_e32 v13, 0x80000000, v13
	v_or3_b32 v20, v5, v13, v11
.LBB178_463:                            ;   in Loop: Header=BB178_415 Depth=1
	s_or_b32 exec_lo, exec_lo, s15
.LBB178_464:                            ;   in Loop: Header=BB178_415 Depth=1
	s_or_b32 exec_lo, exec_lo, s14
.LBB178_465:                            ;   in Loop: Header=BB178_415 Depth=1
	s_or_b32 exec_lo, exec_lo, s13
	v_mov_b32_e32 v23, 0
	v_mov_b32_e32 v21, 0
	v_and_b32_sdwa v5, v55, v44 dst_sel:DWORD dst_unused:UNUSED_PAD src0_sel:WORD_1 src1_sel:DWORD
	v_mov_b32_e32 v24, 0
	v_mov_b32_e32 v22, 0
	s_mov_b32 s13, exec_lo
	v_cmpx_ne_u16_e32 0, v5
	s_cbranch_execz .LBB178_473
; %bb.466:                              ;   in Loop: Header=BB178_415 Depth=1
	v_bfrev_b32_e32 v21, 1
	v_mov_b32_e32 v22, 0
	s_mov_b32 s14, exec_lo
	v_cmpx_ne_u16_e32 0x80, v5
	s_cbranch_execz .LBB178_472
; %bb.467:                              ;   in Loop: Header=BB178_415 Depth=1
	v_mov_b32_e32 v21, 0x7f800001
	v_bfe_u32 v13, v55, 16, 7
	v_mov_b32_e32 v22, 0
	s_mov_b32 s15, exec_lo
	v_cmpx_ne_u32_e32 0x7f, v13
	s_cbranch_execz .LBB178_471
; %bb.468:                              ;   in Loop: Header=BB178_415 Depth=1
	v_and_b32_sdwa v5, v55, v45 dst_sel:DWORD dst_unused:UNUSED_PAD src0_sel:WORD_1 src1_sel:DWORD
	v_lshrrev_b32_e32 v11, 3, v13
	s_mov_b32 s16, exec_lo
	v_cmpx_gt_u32_e32 8, v13
; %bb.469:                              ;   in Loop: Header=BB178_415 Depth=1
	v_ffbh_u32_e32 v11, v5
	v_min_u32_e32 v11, 32, v11
	v_subrev_nc_u32_e32 v13, 28, v11
	v_sub_nc_u32_e32 v11, 29, v11
	v_lshlrev_b64 v[21:22], v13, v[5:6]
	v_and_b32_e32 v5, 7, v21
; %bb.470:                              ;   in Loop: Header=BB178_415 Depth=1
	s_or_b32 exec_lo, exec_lo, s16
	v_lshlrev_b32_sdwa v13, v46, v55 dst_sel:DWORD dst_unused:UNUSED_PAD src0_sel:DWORD src1_sel:WORD_1
	v_lshlrev_b32_e32 v5, 20, v5
	v_lshl_add_u32 v11, v11, 23, 0x3c000000
	v_and_b32_e32 v13, 0x80000000, v13
	v_or3_b32 v5, v5, v13, v11
	v_mov_b32_e32 v22, v6
	v_mov_b32_e32 v21, v5
.LBB178_471:                            ;   in Loop: Header=BB178_415 Depth=1
	s_or_b32 exec_lo, exec_lo, s15
.LBB178_472:                            ;   in Loop: Header=BB178_415 Depth=1
	s_or_b32 exec_lo, exec_lo, s14
.LBB178_473:                            ;   in Loop: Header=BB178_415 Depth=1
	s_or_b32 exec_lo, exec_lo, s13
	s_mov_b32 s13, exec_lo
	v_cmpx_lt_u32_e32 0xffffff, v55
	s_cbranch_execz .LBB178_481
; %bb.474:                              ;   in Loop: Header=BB178_415 Depth=1
	v_mov_b32_e32 v11, v6
	v_mov_b32_e32 v24, v12
	v_cmp_ne_u32_sdwa s0, v55, v42 src0_sel:BYTE_3 src1_sel:DWORD
	v_mov_b32_e32 v23, v11
	s_and_saveexec_b32 s14, s0
	s_cbranch_execz .LBB178_480
; %bb.475:                              ;   in Loop: Header=BB178_415 Depth=1
	v_mov_b32_e32 v13, v6
	v_mov_b32_e32 v24, v14
	v_bfe_u32 v56, v55, 24, 7
	s_mov_b32 s15, exec_lo
	v_mov_b32_e32 v23, v13
	v_cmpx_ne_u32_e32 0x7f, v56
	s_cbranch_execz .LBB178_479
; %bb.476:                              ;   in Loop: Header=BB178_415 Depth=1
	v_and_b32_sdwa v5, v55, v45 dst_sel:DWORD dst_unused:UNUSED_PAD src0_sel:BYTE_3 src1_sel:DWORD
	v_lshrrev_b32_e32 v11, 3, v56
	s_mov_b32 s16, exec_lo
	v_cmpx_gt_u32_e32 8, v56
; %bb.477:                              ;   in Loop: Header=BB178_415 Depth=1
	v_ffbh_u32_e32 v11, v5
	v_min_u32_e32 v11, 32, v11
	v_subrev_nc_u32_e32 v13, 28, v11
	v_sub_nc_u32_e32 v11, 29, v11
	v_lshlrev_b64 v[23:24], v13, v[5:6]
	v_and_b32_e32 v5, 7, v23
; %bb.478:                              ;   in Loop: Header=BB178_415 Depth=1
	s_or_b32 exec_lo, exec_lo, s16
	v_lshlrev_b32_sdwa v13, v46, v55 dst_sel:DWORD dst_unused:UNUSED_PAD src0_sel:DWORD src1_sel:BYTE_3
	v_lshlrev_b32_e32 v5, 20, v5
	v_lshl_add_u32 v11, v11, 23, 0x3c000000
	v_mov_b32_e32 v23, v6
	v_and_b32_e32 v13, 0x80000000, v13
	v_or3_b32 v24, v5, v13, v11
.LBB178_479:                            ;   in Loop: Header=BB178_415 Depth=1
	s_or_b32 exec_lo, exec_lo, s15
.LBB178_480:                            ;   in Loop: Header=BB178_415 Depth=1
	s_or_b32 exec_lo, exec_lo, s14
.LBB178_481:                            ;   in Loop: Header=BB178_415 Depth=1
	s_or_b32 exec_lo, exec_lo, s13
	v_or_b32_e32 v5, v20, v18
	v_or_b32_e32 v11, v19, v17
	;; [unrolled: 1-line block ×4, first 2 shown]
	v_mul_f32_e32 v58, s12, v5
	v_mul_f32_e32 v59, s2, v11
	;; [unrolled: 1-line block ×4, first 2 shown]
	s_and_saveexec_b32 s13, vcc_lo
	s_cbranch_execz .LBB178_483
; %bb.482:                              ;   in Loop: Header=BB178_415 Depth=1
	v_cmp_gt_i32_e64 s0, s28, v52
	v_cndmask_b32_e64 v59, 0, v59, s0
	v_cmp_gt_i32_e64 s0, s28, v54
	v_cndmask_b32_e64 v58, 0, v58, s0
	;; [unrolled: 2-line block ×4, first 2 shown]
.LBB178_483:                            ;   in Loop: Header=BB178_415 Depth=1
	s_or_b32 exec_lo, exec_lo, s13
	global_load_dword v60, v[15:16], off offset:256
	v_mov_b32_e32 v19, 0
	v_mov_b32_e32 v17, 0
	;; [unrolled: 1-line block ×4, first 2 shown]
	s_waitcnt vmcnt(0)
	v_cmp_ne_u16_sdwa s0, v60, v6 src0_sel:BYTE_0 src1_sel:DWORD
	s_and_saveexec_b32 s13, s0
	s_cbranch_execz .LBB178_491
; %bb.484:                              ;   in Loop: Header=BB178_415 Depth=1
	v_bfrev_b32_e32 v17, 1
	v_mov_b32_e32 v18, 0
	v_cmp_ne_u16_sdwa s0, v60, v42 src0_sel:BYTE_0 src1_sel:DWORD
	s_and_saveexec_b32 s14, s0
	s_cbranch_execz .LBB178_490
; %bb.485:                              ;   in Loop: Header=BB178_415 Depth=1
	v_mov_b32_e32 v17, 0x7f800001
	v_and_b32_e32 v13, 0x7f, v60
	v_mov_b32_e32 v18, 0
	s_mov_b32 s15, exec_lo
	v_cmpx_ne_u32_e32 0x7f, v13
	s_cbranch_execz .LBB178_489
; %bb.486:                              ;   in Loop: Header=BB178_415 Depth=1
	v_and_b32_e32 v5, 7, v60
	v_lshrrev_b32_e32 v11, 3, v13
	s_mov_b32 s16, exec_lo
	v_cmpx_gt_u32_e32 8, v13
; %bb.487:                              ;   in Loop: Header=BB178_415 Depth=1
	v_ffbh_u32_e32 v11, v5
	v_min_u32_e32 v11, 32, v11
	v_subrev_nc_u32_e32 v13, 28, v11
	v_sub_nc_u32_e32 v11, 29, v11
	v_lshlrev_b64 v[17:18], v13, v[5:6]
	v_and_b32_e32 v5, 7, v17
; %bb.488:                              ;   in Loop: Header=BB178_415 Depth=1
	s_or_b32 exec_lo, exec_lo, s16
	v_lshlrev_b32_e32 v13, 24, v60
	v_lshlrev_b32_e32 v5, 20, v5
	v_lshl_add_u32 v11, v11, 23, 0x3c000000
	v_and_b32_e32 v13, 0x80000000, v13
	v_or3_b32 v5, v5, v13, v11
	v_mov_b32_e32 v18, v6
	v_mov_b32_e32 v17, v5
.LBB178_489:                            ;   in Loop: Header=BB178_415 Depth=1
	s_or_b32 exec_lo, exec_lo, s15
.LBB178_490:                            ;   in Loop: Header=BB178_415 Depth=1
	s_or_b32 exec_lo, exec_lo, s14
.LBB178_491:                            ;   in Loop: Header=BB178_415 Depth=1
	s_or_b32 exec_lo, exec_lo, s13
	v_cmp_ne_u16_sdwa s0, v60, v6 src0_sel:BYTE_1 src1_sel:DWORD
	s_and_saveexec_b32 s13, s0
	s_cbranch_execz .LBB178_499
; %bb.492:                              ;   in Loop: Header=BB178_415 Depth=1
	v_mov_b32_e32 v11, v6
	v_mov_b32_e32 v20, v12
	v_cmp_ne_u16_sdwa s0, v60, v42 src0_sel:BYTE_1 src1_sel:DWORD
	v_mov_b32_e32 v19, v11
	s_and_saveexec_b32 s14, s0
	s_cbranch_execz .LBB178_498
; %bb.493:                              ;   in Loop: Header=BB178_415 Depth=1
	v_and_b32_sdwa v5, v43, v60 dst_sel:DWORD dst_unused:UNUSED_PAD src0_sel:DWORD src1_sel:BYTE_1
	v_mov_b32_e32 v13, v6
	v_mov_b32_e32 v20, v14
	s_mov_b32 s15, exec_lo
	v_and_b32_e32 v21, 0x7f, v5
	v_mov_b32_e32 v19, v13
	v_cmpx_ne_u32_e32 0x7f, v21
	s_cbranch_execz .LBB178_497
; %bb.494:                              ;   in Loop: Header=BB178_415 Depth=1
	v_and_b32_e32 v5, 7, v5
	v_lshrrev_b32_e32 v11, 3, v21
	s_mov_b32 s16, exec_lo
	v_cmpx_gt_u32_e32 8, v21
; %bb.495:                              ;   in Loop: Header=BB178_415 Depth=1
	v_ffbh_u32_e32 v11, v5
	v_min_u32_e32 v11, 32, v11
	v_subrev_nc_u32_e32 v13, 28, v11
	v_sub_nc_u32_e32 v11, 29, v11
	v_lshlrev_b64 v[19:20], v13, v[5:6]
	v_and_b32_e32 v5, 7, v19
; %bb.496:                              ;   in Loop: Header=BB178_415 Depth=1
	s_or_b32 exec_lo, exec_lo, s16
	v_lshlrev_b32_e32 v13, 16, v60
	v_lshlrev_b32_e32 v5, 20, v5
	v_lshl_add_u32 v11, v11, 23, 0x3c000000
	v_mov_b32_e32 v19, v6
	v_and_b32_e32 v13, 0x80000000, v13
	v_or3_b32 v20, v5, v13, v11
.LBB178_497:                            ;   in Loop: Header=BB178_415 Depth=1
	s_or_b32 exec_lo, exec_lo, s15
.LBB178_498:                            ;   in Loop: Header=BB178_415 Depth=1
	s_or_b32 exec_lo, exec_lo, s14
.LBB178_499:                            ;   in Loop: Header=BB178_415 Depth=1
	s_or_b32 exec_lo, exec_lo, s13
	v_mov_b32_e32 v23, 0
	v_mov_b32_e32 v21, 0
	v_and_b32_sdwa v5, v60, v44 dst_sel:DWORD dst_unused:UNUSED_PAD src0_sel:WORD_1 src1_sel:DWORD
	v_mov_b32_e32 v24, 0
	v_mov_b32_e32 v22, 0
	s_mov_b32 s13, exec_lo
	v_cmpx_ne_u16_e32 0, v5
	s_cbranch_execz .LBB178_507
; %bb.500:                              ;   in Loop: Header=BB178_415 Depth=1
	v_bfrev_b32_e32 v21, 1
	v_mov_b32_e32 v22, 0
	s_mov_b32 s14, exec_lo
	v_cmpx_ne_u16_e32 0x80, v5
	s_cbranch_execz .LBB178_506
; %bb.501:                              ;   in Loop: Header=BB178_415 Depth=1
	v_mov_b32_e32 v21, 0x7f800001
	v_bfe_u32 v13, v60, 16, 7
	v_mov_b32_e32 v22, 0
	s_mov_b32 s15, exec_lo
	v_cmpx_ne_u32_e32 0x7f, v13
	s_cbranch_execz .LBB178_505
; %bb.502:                              ;   in Loop: Header=BB178_415 Depth=1
	v_and_b32_sdwa v5, v60, v45 dst_sel:DWORD dst_unused:UNUSED_PAD src0_sel:WORD_1 src1_sel:DWORD
	v_lshrrev_b32_e32 v11, 3, v13
	s_mov_b32 s16, exec_lo
	v_cmpx_gt_u32_e32 8, v13
; %bb.503:                              ;   in Loop: Header=BB178_415 Depth=1
	v_ffbh_u32_e32 v11, v5
	v_min_u32_e32 v11, 32, v11
	v_subrev_nc_u32_e32 v13, 28, v11
	v_sub_nc_u32_e32 v11, 29, v11
	v_lshlrev_b64 v[21:22], v13, v[5:6]
	v_and_b32_e32 v5, 7, v21
; %bb.504:                              ;   in Loop: Header=BB178_415 Depth=1
	s_or_b32 exec_lo, exec_lo, s16
	v_lshlrev_b32_sdwa v13, v46, v60 dst_sel:DWORD dst_unused:UNUSED_PAD src0_sel:DWORD src1_sel:WORD_1
	v_lshlrev_b32_e32 v5, 20, v5
	v_lshl_add_u32 v11, v11, 23, 0x3c000000
	v_and_b32_e32 v13, 0x80000000, v13
	v_or3_b32 v5, v5, v13, v11
	v_mov_b32_e32 v22, v6
	v_mov_b32_e32 v21, v5
.LBB178_505:                            ;   in Loop: Header=BB178_415 Depth=1
	s_or_b32 exec_lo, exec_lo, s15
.LBB178_506:                            ;   in Loop: Header=BB178_415 Depth=1
	s_or_b32 exec_lo, exec_lo, s14
.LBB178_507:                            ;   in Loop: Header=BB178_415 Depth=1
	s_or_b32 exec_lo, exec_lo, s13
	s_mov_b32 s13, exec_lo
	v_cmpx_lt_u32_e32 0xffffff, v60
	s_cbranch_execz .LBB178_515
; %bb.508:                              ;   in Loop: Header=BB178_415 Depth=1
	v_mov_b32_e32 v11, v6
	v_mov_b32_e32 v24, v12
	v_cmp_ne_u32_sdwa s0, v60, v42 src0_sel:BYTE_3 src1_sel:DWORD
	v_mov_b32_e32 v23, v11
	s_and_saveexec_b32 s14, s0
	s_cbranch_execz .LBB178_514
; %bb.509:                              ;   in Loop: Header=BB178_415 Depth=1
	v_mov_b32_e32 v13, v6
	v_mov_b32_e32 v24, v14
	v_bfe_u32 v61, v60, 24, 7
	s_mov_b32 s15, exec_lo
	v_mov_b32_e32 v23, v13
	v_cmpx_ne_u32_e32 0x7f, v61
	s_cbranch_execz .LBB178_513
; %bb.510:                              ;   in Loop: Header=BB178_415 Depth=1
	v_and_b32_sdwa v5, v60, v45 dst_sel:DWORD dst_unused:UNUSED_PAD src0_sel:BYTE_3 src1_sel:DWORD
	v_lshrrev_b32_e32 v11, 3, v61
	s_mov_b32 s16, exec_lo
	v_cmpx_gt_u32_e32 8, v61
; %bb.511:                              ;   in Loop: Header=BB178_415 Depth=1
	v_ffbh_u32_e32 v11, v5
	v_min_u32_e32 v11, 32, v11
	v_subrev_nc_u32_e32 v13, 28, v11
	v_sub_nc_u32_e32 v11, 29, v11
	v_lshlrev_b64 v[23:24], v13, v[5:6]
	v_and_b32_e32 v5, 7, v23
; %bb.512:                              ;   in Loop: Header=BB178_415 Depth=1
	s_or_b32 exec_lo, exec_lo, s16
	v_lshlrev_b32_sdwa v13, v46, v60 dst_sel:DWORD dst_unused:UNUSED_PAD src0_sel:DWORD src1_sel:BYTE_3
	v_lshlrev_b32_e32 v5, 20, v5
	v_lshl_add_u32 v11, v11, 23, 0x3c000000
	v_mov_b32_e32 v23, v6
	v_and_b32_e32 v13, 0x80000000, v13
	v_or3_b32 v24, v5, v13, v11
.LBB178_513:                            ;   in Loop: Header=BB178_415 Depth=1
	s_or_b32 exec_lo, exec_lo, s15
.LBB178_514:                            ;   in Loop: Header=BB178_415 Depth=1
	s_or_b32 exec_lo, exec_lo, s14
.LBB178_515:                            ;   in Loop: Header=BB178_415 Depth=1
	s_or_b32 exec_lo, exec_lo, s13
	v_or_b32_e32 v5, v20, v18
	v_or_b32_e32 v11, v19, v17
	;; [unrolled: 1-line block ×4, first 2 shown]
	v_mul_f32_e32 v62, s12, v5
	v_mul_f32_e32 v63, s2, v11
	;; [unrolled: 1-line block ×4, first 2 shown]
	s_and_saveexec_b32 s13, vcc_lo
	s_cbranch_execz .LBB178_517
; %bb.516:                              ;   in Loop: Header=BB178_415 Depth=1
	v_cmp_gt_i32_e64 s0, s28, v52
	v_cndmask_b32_e64 v63, 0, v63, s0
	v_cmp_gt_i32_e64 s0, s28, v54
	v_cndmask_b32_e64 v62, 0, v62, s0
	v_cmp_gt_i32_e64 s0, s28, v53
	v_cndmask_b32_e64 v61, 0, v61, s0
	v_cmp_gt_i32_e64 s0, s28, v40
	v_cndmask_b32_e64 v60, 0, v60, s0
.LBB178_517:                            ;   in Loop: Header=BB178_415 Depth=1
	s_or_b32 exec_lo, exec_lo, s13
	global_load_dword v64, v[15:16], off offset:384
	v_mov_b32_e32 v19, 0
	v_mov_b32_e32 v17, 0
	;; [unrolled: 1-line block ×4, first 2 shown]
	s_waitcnt vmcnt(0)
	v_cmp_ne_u16_sdwa s0, v64, v6 src0_sel:BYTE_0 src1_sel:DWORD
	s_and_saveexec_b32 s13, s0
	s_cbranch_execz .LBB178_525
; %bb.518:                              ;   in Loop: Header=BB178_415 Depth=1
	v_bfrev_b32_e32 v17, 1
	v_mov_b32_e32 v18, 0
	v_cmp_ne_u16_sdwa s0, v64, v42 src0_sel:BYTE_0 src1_sel:DWORD
	s_and_saveexec_b32 s14, s0
	s_cbranch_execz .LBB178_524
; %bb.519:                              ;   in Loop: Header=BB178_415 Depth=1
	v_mov_b32_e32 v17, 0x7f800001
	v_and_b32_e32 v13, 0x7f, v64
	v_mov_b32_e32 v18, 0
	s_mov_b32 s15, exec_lo
	v_cmpx_ne_u32_e32 0x7f, v13
	s_cbranch_execz .LBB178_523
; %bb.520:                              ;   in Loop: Header=BB178_415 Depth=1
	v_and_b32_e32 v5, 7, v64
	v_lshrrev_b32_e32 v11, 3, v13
	s_mov_b32 s16, exec_lo
	v_cmpx_gt_u32_e32 8, v13
; %bb.521:                              ;   in Loop: Header=BB178_415 Depth=1
	v_ffbh_u32_e32 v11, v5
	v_min_u32_e32 v11, 32, v11
	v_subrev_nc_u32_e32 v13, 28, v11
	v_sub_nc_u32_e32 v11, 29, v11
	v_lshlrev_b64 v[17:18], v13, v[5:6]
	v_and_b32_e32 v5, 7, v17
; %bb.522:                              ;   in Loop: Header=BB178_415 Depth=1
	s_or_b32 exec_lo, exec_lo, s16
	v_lshlrev_b32_e32 v13, 24, v64
	v_lshlrev_b32_e32 v5, 20, v5
	v_lshl_add_u32 v11, v11, 23, 0x3c000000
	v_and_b32_e32 v13, 0x80000000, v13
	v_or3_b32 v5, v5, v13, v11
	v_mov_b32_e32 v18, v6
	v_mov_b32_e32 v17, v5
.LBB178_523:                            ;   in Loop: Header=BB178_415 Depth=1
	s_or_b32 exec_lo, exec_lo, s15
.LBB178_524:                            ;   in Loop: Header=BB178_415 Depth=1
	s_or_b32 exec_lo, exec_lo, s14
.LBB178_525:                            ;   in Loop: Header=BB178_415 Depth=1
	s_or_b32 exec_lo, exec_lo, s13
	v_cmp_ne_u16_sdwa s0, v64, v6 src0_sel:BYTE_1 src1_sel:DWORD
	s_and_saveexec_b32 s13, s0
	s_cbranch_execz .LBB178_533
; %bb.526:                              ;   in Loop: Header=BB178_415 Depth=1
	v_mov_b32_e32 v11, v6
	v_mov_b32_e32 v20, v12
	v_cmp_ne_u16_sdwa s0, v64, v42 src0_sel:BYTE_1 src1_sel:DWORD
	v_mov_b32_e32 v19, v11
	s_and_saveexec_b32 s14, s0
	s_cbranch_execz .LBB178_532
; %bb.527:                              ;   in Loop: Header=BB178_415 Depth=1
	v_and_b32_sdwa v5, v43, v64 dst_sel:DWORD dst_unused:UNUSED_PAD src0_sel:DWORD src1_sel:BYTE_1
	v_mov_b32_e32 v13, v6
	v_mov_b32_e32 v20, v14
	s_mov_b32 s15, exec_lo
	v_and_b32_e32 v21, 0x7f, v5
	v_mov_b32_e32 v19, v13
	v_cmpx_ne_u32_e32 0x7f, v21
	s_cbranch_execz .LBB178_531
; %bb.528:                              ;   in Loop: Header=BB178_415 Depth=1
	v_and_b32_e32 v5, 7, v5
	v_lshrrev_b32_e32 v11, 3, v21
	s_mov_b32 s16, exec_lo
	v_cmpx_gt_u32_e32 8, v21
; %bb.529:                              ;   in Loop: Header=BB178_415 Depth=1
	v_ffbh_u32_e32 v11, v5
	v_min_u32_e32 v11, 32, v11
	v_subrev_nc_u32_e32 v13, 28, v11
	v_sub_nc_u32_e32 v11, 29, v11
	v_lshlrev_b64 v[19:20], v13, v[5:6]
	v_and_b32_e32 v5, 7, v19
; %bb.530:                              ;   in Loop: Header=BB178_415 Depth=1
	s_or_b32 exec_lo, exec_lo, s16
	v_lshlrev_b32_e32 v13, 16, v64
	v_lshlrev_b32_e32 v5, 20, v5
	v_lshl_add_u32 v11, v11, 23, 0x3c000000
	v_mov_b32_e32 v19, v6
	v_and_b32_e32 v13, 0x80000000, v13
	v_or3_b32 v20, v5, v13, v11
.LBB178_531:                            ;   in Loop: Header=BB178_415 Depth=1
	s_or_b32 exec_lo, exec_lo, s15
.LBB178_532:                            ;   in Loop: Header=BB178_415 Depth=1
	s_or_b32 exec_lo, exec_lo, s14
.LBB178_533:                            ;   in Loop: Header=BB178_415 Depth=1
	s_or_b32 exec_lo, exec_lo, s13
	v_mov_b32_e32 v23, 0
	v_mov_b32_e32 v21, 0
	v_and_b32_sdwa v5, v64, v44 dst_sel:DWORD dst_unused:UNUSED_PAD src0_sel:WORD_1 src1_sel:DWORD
	v_mov_b32_e32 v24, 0
	v_mov_b32_e32 v22, 0
	s_mov_b32 s13, exec_lo
	v_cmpx_ne_u16_e32 0, v5
	s_cbranch_execz .LBB178_541
; %bb.534:                              ;   in Loop: Header=BB178_415 Depth=1
	v_bfrev_b32_e32 v21, 1
	v_mov_b32_e32 v22, 0
	s_mov_b32 s14, exec_lo
	v_cmpx_ne_u16_e32 0x80, v5
	s_cbranch_execz .LBB178_540
; %bb.535:                              ;   in Loop: Header=BB178_415 Depth=1
	v_mov_b32_e32 v21, 0x7f800001
	v_bfe_u32 v13, v64, 16, 7
	v_mov_b32_e32 v22, 0
	s_mov_b32 s15, exec_lo
	v_cmpx_ne_u32_e32 0x7f, v13
	s_cbranch_execz .LBB178_539
; %bb.536:                              ;   in Loop: Header=BB178_415 Depth=1
	v_and_b32_sdwa v5, v64, v45 dst_sel:DWORD dst_unused:UNUSED_PAD src0_sel:WORD_1 src1_sel:DWORD
	v_lshrrev_b32_e32 v11, 3, v13
	s_mov_b32 s16, exec_lo
	v_cmpx_gt_u32_e32 8, v13
; %bb.537:                              ;   in Loop: Header=BB178_415 Depth=1
	v_ffbh_u32_e32 v11, v5
	v_min_u32_e32 v11, 32, v11
	v_subrev_nc_u32_e32 v13, 28, v11
	v_sub_nc_u32_e32 v11, 29, v11
	v_lshlrev_b64 v[21:22], v13, v[5:6]
	v_and_b32_e32 v5, 7, v21
; %bb.538:                              ;   in Loop: Header=BB178_415 Depth=1
	s_or_b32 exec_lo, exec_lo, s16
	v_lshlrev_b32_sdwa v13, v46, v64 dst_sel:DWORD dst_unused:UNUSED_PAD src0_sel:DWORD src1_sel:WORD_1
	v_lshlrev_b32_e32 v5, 20, v5
	v_lshl_add_u32 v11, v11, 23, 0x3c000000
	v_and_b32_e32 v13, 0x80000000, v13
	v_or3_b32 v5, v5, v13, v11
	v_mov_b32_e32 v22, v6
	v_mov_b32_e32 v21, v5
.LBB178_539:                            ;   in Loop: Header=BB178_415 Depth=1
	s_or_b32 exec_lo, exec_lo, s15
.LBB178_540:                            ;   in Loop: Header=BB178_415 Depth=1
	s_or_b32 exec_lo, exec_lo, s14
.LBB178_541:                            ;   in Loop: Header=BB178_415 Depth=1
	s_or_b32 exec_lo, exec_lo, s13
	s_mov_b32 s13, exec_lo
	v_cmpx_lt_u32_e32 0xffffff, v64
	s_cbranch_execz .LBB178_549
; %bb.542:                              ;   in Loop: Header=BB178_415 Depth=1
	v_mov_b32_e32 v11, v6
	v_mov_b32_e32 v24, v12
	v_cmp_ne_u32_sdwa s0, v64, v42 src0_sel:BYTE_3 src1_sel:DWORD
	v_mov_b32_e32 v23, v11
	s_and_saveexec_b32 s14, s0
	s_cbranch_execz .LBB178_548
; %bb.543:                              ;   in Loop: Header=BB178_415 Depth=1
	v_mov_b32_e32 v13, v6
	v_mov_b32_e32 v24, v14
	v_bfe_u32 v65, v64, 24, 7
	s_mov_b32 s15, exec_lo
	v_mov_b32_e32 v23, v13
	v_cmpx_ne_u32_e32 0x7f, v65
	s_cbranch_execz .LBB178_547
; %bb.544:                              ;   in Loop: Header=BB178_415 Depth=1
	v_and_b32_sdwa v5, v64, v45 dst_sel:DWORD dst_unused:UNUSED_PAD src0_sel:BYTE_3 src1_sel:DWORD
	v_lshrrev_b32_e32 v11, 3, v65
	s_mov_b32 s16, exec_lo
	v_cmpx_gt_u32_e32 8, v65
; %bb.545:                              ;   in Loop: Header=BB178_415 Depth=1
	v_ffbh_u32_e32 v11, v5
	v_min_u32_e32 v11, 32, v11
	v_subrev_nc_u32_e32 v13, 28, v11
	v_sub_nc_u32_e32 v11, 29, v11
	v_lshlrev_b64 v[23:24], v13, v[5:6]
	v_and_b32_e32 v5, 7, v23
; %bb.546:                              ;   in Loop: Header=BB178_415 Depth=1
	s_or_b32 exec_lo, exec_lo, s16
	v_lshlrev_b32_sdwa v13, v46, v64 dst_sel:DWORD dst_unused:UNUSED_PAD src0_sel:DWORD src1_sel:BYTE_3
	v_lshlrev_b32_e32 v5, 20, v5
	v_lshl_add_u32 v11, v11, 23, 0x3c000000
	v_mov_b32_e32 v23, v6
	v_and_b32_e32 v13, 0x80000000, v13
	v_or3_b32 v24, v5, v13, v11
.LBB178_547:                            ;   in Loop: Header=BB178_415 Depth=1
	s_or_b32 exec_lo, exec_lo, s15
.LBB178_548:                            ;   in Loop: Header=BB178_415 Depth=1
	s_or_b32 exec_lo, exec_lo, s14
.LBB178_549:                            ;   in Loop: Header=BB178_415 Depth=1
	s_or_b32 exec_lo, exec_lo, s13
	v_or_b32_e32 v5, v20, v18
	v_or_b32_e32 v11, v19, v17
	;; [unrolled: 1-line block ×4, first 2 shown]
	v_mul_f32_e32 v66, s12, v5
	v_mul_f32_e32 v67, s2, v11
	;; [unrolled: 1-line block ×4, first 2 shown]
	s_and_saveexec_b32 s13, vcc_lo
	s_cbranch_execz .LBB178_551
; %bb.550:                              ;   in Loop: Header=BB178_415 Depth=1
	v_cmp_gt_i32_e64 s0, s28, v52
	v_cndmask_b32_e64 v67, 0, v67, s0
	v_cmp_gt_i32_e64 s0, s28, v54
	v_cndmask_b32_e64 v66, 0, v66, s0
	v_cmp_gt_i32_e64 s0, s28, v53
	v_cndmask_b32_e64 v65, 0, v65, s0
	v_cmp_gt_i32_e64 s0, s28, v40
	v_cndmask_b32_e64 v64, 0, v64, s0
.LBB178_551:                            ;   in Loop: Header=BB178_415 Depth=1
	s_or_b32 exec_lo, exec_lo, s13
	global_load_dword v68, v[15:16], off offset:512
	v_mov_b32_e32 v19, 0
	v_mov_b32_e32 v17, 0
	;; [unrolled: 1-line block ×4, first 2 shown]
	s_waitcnt vmcnt(0)
	v_cmp_ne_u16_sdwa s0, v68, v6 src0_sel:BYTE_0 src1_sel:DWORD
	s_and_saveexec_b32 s13, s0
	s_cbranch_execz .LBB178_559
; %bb.552:                              ;   in Loop: Header=BB178_415 Depth=1
	v_bfrev_b32_e32 v17, 1
	v_mov_b32_e32 v18, 0
	v_cmp_ne_u16_sdwa s0, v68, v42 src0_sel:BYTE_0 src1_sel:DWORD
	s_and_saveexec_b32 s14, s0
	s_cbranch_execz .LBB178_558
; %bb.553:                              ;   in Loop: Header=BB178_415 Depth=1
	v_mov_b32_e32 v17, 0x7f800001
	v_and_b32_e32 v13, 0x7f, v68
	v_mov_b32_e32 v18, 0
	s_mov_b32 s15, exec_lo
	v_cmpx_ne_u32_e32 0x7f, v13
	s_cbranch_execz .LBB178_557
; %bb.554:                              ;   in Loop: Header=BB178_415 Depth=1
	v_and_b32_e32 v5, 7, v68
	v_lshrrev_b32_e32 v11, 3, v13
	s_mov_b32 s16, exec_lo
	v_cmpx_gt_u32_e32 8, v13
; %bb.555:                              ;   in Loop: Header=BB178_415 Depth=1
	v_ffbh_u32_e32 v11, v5
	v_min_u32_e32 v11, 32, v11
	v_subrev_nc_u32_e32 v13, 28, v11
	v_sub_nc_u32_e32 v11, 29, v11
	v_lshlrev_b64 v[17:18], v13, v[5:6]
	v_and_b32_e32 v5, 7, v17
; %bb.556:                              ;   in Loop: Header=BB178_415 Depth=1
	s_or_b32 exec_lo, exec_lo, s16
	v_lshlrev_b32_e32 v13, 24, v68
	v_lshlrev_b32_e32 v5, 20, v5
	v_lshl_add_u32 v11, v11, 23, 0x3c000000
	v_and_b32_e32 v13, 0x80000000, v13
	v_or3_b32 v5, v5, v13, v11
	v_mov_b32_e32 v18, v6
	v_mov_b32_e32 v17, v5
.LBB178_557:                            ;   in Loop: Header=BB178_415 Depth=1
	s_or_b32 exec_lo, exec_lo, s15
.LBB178_558:                            ;   in Loop: Header=BB178_415 Depth=1
	s_or_b32 exec_lo, exec_lo, s14
.LBB178_559:                            ;   in Loop: Header=BB178_415 Depth=1
	s_or_b32 exec_lo, exec_lo, s13
	v_cmp_ne_u16_sdwa s0, v68, v6 src0_sel:BYTE_1 src1_sel:DWORD
	s_and_saveexec_b32 s13, s0
	s_cbranch_execz .LBB178_567
; %bb.560:                              ;   in Loop: Header=BB178_415 Depth=1
	v_mov_b32_e32 v11, v6
	v_mov_b32_e32 v20, v12
	v_cmp_ne_u16_sdwa s0, v68, v42 src0_sel:BYTE_1 src1_sel:DWORD
	v_mov_b32_e32 v19, v11
	s_and_saveexec_b32 s14, s0
	s_cbranch_execz .LBB178_566
; %bb.561:                              ;   in Loop: Header=BB178_415 Depth=1
	v_and_b32_sdwa v5, v43, v68 dst_sel:DWORD dst_unused:UNUSED_PAD src0_sel:DWORD src1_sel:BYTE_1
	v_mov_b32_e32 v13, v6
	v_mov_b32_e32 v20, v14
	s_mov_b32 s15, exec_lo
	v_and_b32_e32 v21, 0x7f, v5
	v_mov_b32_e32 v19, v13
	v_cmpx_ne_u32_e32 0x7f, v21
	s_cbranch_execz .LBB178_565
; %bb.562:                              ;   in Loop: Header=BB178_415 Depth=1
	v_and_b32_e32 v5, 7, v5
	v_lshrrev_b32_e32 v11, 3, v21
	s_mov_b32 s16, exec_lo
	v_cmpx_gt_u32_e32 8, v21
; %bb.563:                              ;   in Loop: Header=BB178_415 Depth=1
	v_ffbh_u32_e32 v11, v5
	v_min_u32_e32 v11, 32, v11
	v_subrev_nc_u32_e32 v13, 28, v11
	v_sub_nc_u32_e32 v11, 29, v11
	v_lshlrev_b64 v[19:20], v13, v[5:6]
	v_and_b32_e32 v5, 7, v19
; %bb.564:                              ;   in Loop: Header=BB178_415 Depth=1
	s_or_b32 exec_lo, exec_lo, s16
	v_lshlrev_b32_e32 v13, 16, v68
	v_lshlrev_b32_e32 v5, 20, v5
	v_lshl_add_u32 v11, v11, 23, 0x3c000000
	v_mov_b32_e32 v19, v6
	v_and_b32_e32 v13, 0x80000000, v13
	v_or3_b32 v20, v5, v13, v11
.LBB178_565:                            ;   in Loop: Header=BB178_415 Depth=1
	s_or_b32 exec_lo, exec_lo, s15
.LBB178_566:                            ;   in Loop: Header=BB178_415 Depth=1
	s_or_b32 exec_lo, exec_lo, s14
.LBB178_567:                            ;   in Loop: Header=BB178_415 Depth=1
	s_or_b32 exec_lo, exec_lo, s13
	v_mov_b32_e32 v23, 0
	v_mov_b32_e32 v21, 0
	v_and_b32_sdwa v5, v68, v44 dst_sel:DWORD dst_unused:UNUSED_PAD src0_sel:WORD_1 src1_sel:DWORD
	v_mov_b32_e32 v24, 0
	v_mov_b32_e32 v22, 0
	s_mov_b32 s13, exec_lo
	v_cmpx_ne_u16_e32 0, v5
	s_cbranch_execz .LBB178_575
; %bb.568:                              ;   in Loop: Header=BB178_415 Depth=1
	v_bfrev_b32_e32 v21, 1
	v_mov_b32_e32 v22, 0
	s_mov_b32 s14, exec_lo
	v_cmpx_ne_u16_e32 0x80, v5
	s_cbranch_execz .LBB178_574
; %bb.569:                              ;   in Loop: Header=BB178_415 Depth=1
	v_mov_b32_e32 v21, 0x7f800001
	v_bfe_u32 v13, v68, 16, 7
	v_mov_b32_e32 v22, 0
	s_mov_b32 s15, exec_lo
	v_cmpx_ne_u32_e32 0x7f, v13
	s_cbranch_execz .LBB178_573
; %bb.570:                              ;   in Loop: Header=BB178_415 Depth=1
	v_and_b32_sdwa v5, v68, v45 dst_sel:DWORD dst_unused:UNUSED_PAD src0_sel:WORD_1 src1_sel:DWORD
	v_lshrrev_b32_e32 v11, 3, v13
	s_mov_b32 s16, exec_lo
	v_cmpx_gt_u32_e32 8, v13
; %bb.571:                              ;   in Loop: Header=BB178_415 Depth=1
	v_ffbh_u32_e32 v11, v5
	v_min_u32_e32 v11, 32, v11
	v_subrev_nc_u32_e32 v13, 28, v11
	v_sub_nc_u32_e32 v11, 29, v11
	v_lshlrev_b64 v[21:22], v13, v[5:6]
	v_and_b32_e32 v5, 7, v21
; %bb.572:                              ;   in Loop: Header=BB178_415 Depth=1
	s_or_b32 exec_lo, exec_lo, s16
	v_lshlrev_b32_sdwa v13, v46, v68 dst_sel:DWORD dst_unused:UNUSED_PAD src0_sel:DWORD src1_sel:WORD_1
	v_lshlrev_b32_e32 v5, 20, v5
	v_lshl_add_u32 v11, v11, 23, 0x3c000000
	v_and_b32_e32 v13, 0x80000000, v13
	v_or3_b32 v5, v5, v13, v11
	v_mov_b32_e32 v22, v6
	v_mov_b32_e32 v21, v5
.LBB178_573:                            ;   in Loop: Header=BB178_415 Depth=1
	s_or_b32 exec_lo, exec_lo, s15
.LBB178_574:                            ;   in Loop: Header=BB178_415 Depth=1
	s_or_b32 exec_lo, exec_lo, s14
.LBB178_575:                            ;   in Loop: Header=BB178_415 Depth=1
	s_or_b32 exec_lo, exec_lo, s13
	s_mov_b32 s13, exec_lo
	v_cmpx_lt_u32_e32 0xffffff, v68
	s_cbranch_execz .LBB178_583
; %bb.576:                              ;   in Loop: Header=BB178_415 Depth=1
	v_mov_b32_e32 v11, v6
	v_mov_b32_e32 v24, v12
	v_cmp_ne_u32_sdwa s0, v68, v42 src0_sel:BYTE_3 src1_sel:DWORD
	v_mov_b32_e32 v23, v11
	s_and_saveexec_b32 s14, s0
	s_cbranch_execz .LBB178_582
; %bb.577:                              ;   in Loop: Header=BB178_415 Depth=1
	v_mov_b32_e32 v13, v6
	v_mov_b32_e32 v24, v14
	v_bfe_u32 v69, v68, 24, 7
	s_mov_b32 s15, exec_lo
	v_mov_b32_e32 v23, v13
	v_cmpx_ne_u32_e32 0x7f, v69
	s_cbranch_execz .LBB178_581
; %bb.578:                              ;   in Loop: Header=BB178_415 Depth=1
	v_and_b32_sdwa v5, v68, v45 dst_sel:DWORD dst_unused:UNUSED_PAD src0_sel:BYTE_3 src1_sel:DWORD
	v_lshrrev_b32_e32 v11, 3, v69
	s_mov_b32 s16, exec_lo
	v_cmpx_gt_u32_e32 8, v69
; %bb.579:                              ;   in Loop: Header=BB178_415 Depth=1
	v_ffbh_u32_e32 v11, v5
	v_min_u32_e32 v11, 32, v11
	v_subrev_nc_u32_e32 v13, 28, v11
	v_sub_nc_u32_e32 v11, 29, v11
	v_lshlrev_b64 v[23:24], v13, v[5:6]
	v_and_b32_e32 v5, 7, v23
; %bb.580:                              ;   in Loop: Header=BB178_415 Depth=1
	s_or_b32 exec_lo, exec_lo, s16
	v_lshlrev_b32_sdwa v13, v46, v68 dst_sel:DWORD dst_unused:UNUSED_PAD src0_sel:DWORD src1_sel:BYTE_3
	v_lshlrev_b32_e32 v5, 20, v5
	v_lshl_add_u32 v11, v11, 23, 0x3c000000
	v_mov_b32_e32 v23, v6
	v_and_b32_e32 v13, 0x80000000, v13
	v_or3_b32 v24, v5, v13, v11
.LBB178_581:                            ;   in Loop: Header=BB178_415 Depth=1
	s_or_b32 exec_lo, exec_lo, s15
.LBB178_582:                            ;   in Loop: Header=BB178_415 Depth=1
	s_or_b32 exec_lo, exec_lo, s14
.LBB178_583:                            ;   in Loop: Header=BB178_415 Depth=1
	s_or_b32 exec_lo, exec_lo, s13
	v_or_b32_e32 v5, v20, v18
	v_or_b32_e32 v11, v19, v17
	;; [unrolled: 1-line block ×4, first 2 shown]
	v_mul_f32_e32 v70, s12, v5
	v_mul_f32_e32 v71, s2, v11
	v_mul_f32_e32 v69, s2, v13
	v_mul_f32_e32 v68, s12, v17
	s_and_saveexec_b32 s13, vcc_lo
	s_cbranch_execz .LBB178_585
; %bb.584:                              ;   in Loop: Header=BB178_415 Depth=1
	v_cmp_gt_i32_e64 s0, s28, v52
	v_cndmask_b32_e64 v71, 0, v71, s0
	v_cmp_gt_i32_e64 s0, s28, v54
	v_cndmask_b32_e64 v70, 0, v70, s0
	;; [unrolled: 2-line block ×4, first 2 shown]
.LBB178_585:                            ;   in Loop: Header=BB178_415 Depth=1
	s_or_b32 exec_lo, exec_lo, s13
	global_load_dword v72, v[15:16], off offset:640
	v_mov_b32_e32 v19, 0
	v_mov_b32_e32 v17, 0
	;; [unrolled: 1-line block ×4, first 2 shown]
	s_waitcnt vmcnt(0)
	v_cmp_ne_u16_sdwa s0, v72, v6 src0_sel:BYTE_0 src1_sel:DWORD
	s_and_saveexec_b32 s13, s0
	s_cbranch_execz .LBB178_593
; %bb.586:                              ;   in Loop: Header=BB178_415 Depth=1
	v_bfrev_b32_e32 v17, 1
	v_mov_b32_e32 v18, 0
	v_cmp_ne_u16_sdwa s0, v72, v42 src0_sel:BYTE_0 src1_sel:DWORD
	s_and_saveexec_b32 s14, s0
	s_cbranch_execz .LBB178_592
; %bb.587:                              ;   in Loop: Header=BB178_415 Depth=1
	v_mov_b32_e32 v17, 0x7f800001
	v_and_b32_e32 v13, 0x7f, v72
	v_mov_b32_e32 v18, 0
	s_mov_b32 s15, exec_lo
	v_cmpx_ne_u32_e32 0x7f, v13
	s_cbranch_execz .LBB178_591
; %bb.588:                              ;   in Loop: Header=BB178_415 Depth=1
	v_and_b32_e32 v5, 7, v72
	v_lshrrev_b32_e32 v11, 3, v13
	s_mov_b32 s16, exec_lo
	v_cmpx_gt_u32_e32 8, v13
; %bb.589:                              ;   in Loop: Header=BB178_415 Depth=1
	v_ffbh_u32_e32 v11, v5
	v_min_u32_e32 v11, 32, v11
	v_subrev_nc_u32_e32 v13, 28, v11
	v_sub_nc_u32_e32 v11, 29, v11
	v_lshlrev_b64 v[17:18], v13, v[5:6]
	v_and_b32_e32 v5, 7, v17
; %bb.590:                              ;   in Loop: Header=BB178_415 Depth=1
	s_or_b32 exec_lo, exec_lo, s16
	v_lshlrev_b32_e32 v13, 24, v72
	v_lshlrev_b32_e32 v5, 20, v5
	v_lshl_add_u32 v11, v11, 23, 0x3c000000
	v_and_b32_e32 v13, 0x80000000, v13
	v_or3_b32 v5, v5, v13, v11
	v_mov_b32_e32 v18, v6
	v_mov_b32_e32 v17, v5
.LBB178_591:                            ;   in Loop: Header=BB178_415 Depth=1
	s_or_b32 exec_lo, exec_lo, s15
.LBB178_592:                            ;   in Loop: Header=BB178_415 Depth=1
	s_or_b32 exec_lo, exec_lo, s14
.LBB178_593:                            ;   in Loop: Header=BB178_415 Depth=1
	s_or_b32 exec_lo, exec_lo, s13
	v_cmp_ne_u16_sdwa s0, v72, v6 src0_sel:BYTE_1 src1_sel:DWORD
	s_and_saveexec_b32 s13, s0
	s_cbranch_execz .LBB178_601
; %bb.594:                              ;   in Loop: Header=BB178_415 Depth=1
	v_mov_b32_e32 v11, v6
	v_mov_b32_e32 v20, v12
	v_cmp_ne_u16_sdwa s0, v72, v42 src0_sel:BYTE_1 src1_sel:DWORD
	v_mov_b32_e32 v19, v11
	s_and_saveexec_b32 s14, s0
	s_cbranch_execz .LBB178_600
; %bb.595:                              ;   in Loop: Header=BB178_415 Depth=1
	v_and_b32_sdwa v5, v43, v72 dst_sel:DWORD dst_unused:UNUSED_PAD src0_sel:DWORD src1_sel:BYTE_1
	v_mov_b32_e32 v13, v6
	v_mov_b32_e32 v20, v14
	s_mov_b32 s15, exec_lo
	v_and_b32_e32 v21, 0x7f, v5
	v_mov_b32_e32 v19, v13
	v_cmpx_ne_u32_e32 0x7f, v21
	s_cbranch_execz .LBB178_599
; %bb.596:                              ;   in Loop: Header=BB178_415 Depth=1
	v_and_b32_e32 v5, 7, v5
	v_lshrrev_b32_e32 v11, 3, v21
	s_mov_b32 s16, exec_lo
	v_cmpx_gt_u32_e32 8, v21
; %bb.597:                              ;   in Loop: Header=BB178_415 Depth=1
	v_ffbh_u32_e32 v11, v5
	v_min_u32_e32 v11, 32, v11
	v_subrev_nc_u32_e32 v13, 28, v11
	v_sub_nc_u32_e32 v11, 29, v11
	v_lshlrev_b64 v[19:20], v13, v[5:6]
	v_and_b32_e32 v5, 7, v19
; %bb.598:                              ;   in Loop: Header=BB178_415 Depth=1
	s_or_b32 exec_lo, exec_lo, s16
	v_lshlrev_b32_e32 v13, 16, v72
	v_lshlrev_b32_e32 v5, 20, v5
	v_lshl_add_u32 v11, v11, 23, 0x3c000000
	v_mov_b32_e32 v19, v6
	v_and_b32_e32 v13, 0x80000000, v13
	v_or3_b32 v20, v5, v13, v11
.LBB178_599:                            ;   in Loop: Header=BB178_415 Depth=1
	s_or_b32 exec_lo, exec_lo, s15
.LBB178_600:                            ;   in Loop: Header=BB178_415 Depth=1
	s_or_b32 exec_lo, exec_lo, s14
.LBB178_601:                            ;   in Loop: Header=BB178_415 Depth=1
	s_or_b32 exec_lo, exec_lo, s13
	v_mov_b32_e32 v23, 0
	v_mov_b32_e32 v21, 0
	v_and_b32_sdwa v5, v72, v44 dst_sel:DWORD dst_unused:UNUSED_PAD src0_sel:WORD_1 src1_sel:DWORD
	v_mov_b32_e32 v24, 0
	v_mov_b32_e32 v22, 0
	s_mov_b32 s13, exec_lo
	v_cmpx_ne_u16_e32 0, v5
	s_cbranch_execz .LBB178_609
; %bb.602:                              ;   in Loop: Header=BB178_415 Depth=1
	v_bfrev_b32_e32 v21, 1
	v_mov_b32_e32 v22, 0
	s_mov_b32 s14, exec_lo
	v_cmpx_ne_u16_e32 0x80, v5
	s_cbranch_execz .LBB178_608
; %bb.603:                              ;   in Loop: Header=BB178_415 Depth=1
	v_mov_b32_e32 v21, 0x7f800001
	v_bfe_u32 v13, v72, 16, 7
	v_mov_b32_e32 v22, 0
	s_mov_b32 s15, exec_lo
	v_cmpx_ne_u32_e32 0x7f, v13
	s_cbranch_execz .LBB178_607
; %bb.604:                              ;   in Loop: Header=BB178_415 Depth=1
	v_and_b32_sdwa v5, v72, v45 dst_sel:DWORD dst_unused:UNUSED_PAD src0_sel:WORD_1 src1_sel:DWORD
	v_lshrrev_b32_e32 v11, 3, v13
	s_mov_b32 s16, exec_lo
	v_cmpx_gt_u32_e32 8, v13
; %bb.605:                              ;   in Loop: Header=BB178_415 Depth=1
	v_ffbh_u32_e32 v11, v5
	v_min_u32_e32 v11, 32, v11
	v_subrev_nc_u32_e32 v13, 28, v11
	v_sub_nc_u32_e32 v11, 29, v11
	v_lshlrev_b64 v[21:22], v13, v[5:6]
	v_and_b32_e32 v5, 7, v21
; %bb.606:                              ;   in Loop: Header=BB178_415 Depth=1
	s_or_b32 exec_lo, exec_lo, s16
	v_lshlrev_b32_sdwa v13, v46, v72 dst_sel:DWORD dst_unused:UNUSED_PAD src0_sel:DWORD src1_sel:WORD_1
	v_lshlrev_b32_e32 v5, 20, v5
	v_lshl_add_u32 v11, v11, 23, 0x3c000000
	v_and_b32_e32 v13, 0x80000000, v13
	v_or3_b32 v5, v5, v13, v11
	v_mov_b32_e32 v22, v6
	v_mov_b32_e32 v21, v5
.LBB178_607:                            ;   in Loop: Header=BB178_415 Depth=1
	s_or_b32 exec_lo, exec_lo, s15
.LBB178_608:                            ;   in Loop: Header=BB178_415 Depth=1
	s_or_b32 exec_lo, exec_lo, s14
.LBB178_609:                            ;   in Loop: Header=BB178_415 Depth=1
	s_or_b32 exec_lo, exec_lo, s13
	s_mov_b32 s13, exec_lo
	v_cmpx_lt_u32_e32 0xffffff, v72
	s_cbranch_execz .LBB178_617
; %bb.610:                              ;   in Loop: Header=BB178_415 Depth=1
	v_mov_b32_e32 v11, v6
	v_mov_b32_e32 v24, v12
	v_cmp_ne_u32_sdwa s0, v72, v42 src0_sel:BYTE_3 src1_sel:DWORD
	v_mov_b32_e32 v23, v11
	s_and_saveexec_b32 s14, s0
	s_cbranch_execz .LBB178_616
; %bb.611:                              ;   in Loop: Header=BB178_415 Depth=1
	v_mov_b32_e32 v13, v6
	v_mov_b32_e32 v24, v14
	v_bfe_u32 v73, v72, 24, 7
	s_mov_b32 s15, exec_lo
	v_mov_b32_e32 v23, v13
	v_cmpx_ne_u32_e32 0x7f, v73
	s_cbranch_execz .LBB178_615
; %bb.612:                              ;   in Loop: Header=BB178_415 Depth=1
	v_and_b32_sdwa v5, v72, v45 dst_sel:DWORD dst_unused:UNUSED_PAD src0_sel:BYTE_3 src1_sel:DWORD
	v_lshrrev_b32_e32 v11, 3, v73
	s_mov_b32 s16, exec_lo
	v_cmpx_gt_u32_e32 8, v73
; %bb.613:                              ;   in Loop: Header=BB178_415 Depth=1
	v_ffbh_u32_e32 v11, v5
	v_min_u32_e32 v11, 32, v11
	v_subrev_nc_u32_e32 v13, 28, v11
	v_sub_nc_u32_e32 v11, 29, v11
	v_lshlrev_b64 v[23:24], v13, v[5:6]
	v_and_b32_e32 v5, 7, v23
; %bb.614:                              ;   in Loop: Header=BB178_415 Depth=1
	s_or_b32 exec_lo, exec_lo, s16
	v_lshlrev_b32_sdwa v13, v46, v72 dst_sel:DWORD dst_unused:UNUSED_PAD src0_sel:DWORD src1_sel:BYTE_3
	v_lshlrev_b32_e32 v5, 20, v5
	v_lshl_add_u32 v11, v11, 23, 0x3c000000
	v_mov_b32_e32 v23, v6
	v_and_b32_e32 v13, 0x80000000, v13
	v_or3_b32 v24, v5, v13, v11
.LBB178_615:                            ;   in Loop: Header=BB178_415 Depth=1
	s_or_b32 exec_lo, exec_lo, s15
.LBB178_616:                            ;   in Loop: Header=BB178_415 Depth=1
	s_or_b32 exec_lo, exec_lo, s14
.LBB178_617:                            ;   in Loop: Header=BB178_415 Depth=1
	s_or_b32 exec_lo, exec_lo, s13
	v_or_b32_e32 v5, v20, v18
	v_or_b32_e32 v11, v19, v17
	;; [unrolled: 1-line block ×4, first 2 shown]
	v_mul_f32_e32 v74, s12, v5
	v_mul_f32_e32 v75, s2, v11
	;; [unrolled: 1-line block ×4, first 2 shown]
	s_and_saveexec_b32 s13, vcc_lo
	s_cbranch_execz .LBB178_619
; %bb.618:                              ;   in Loop: Header=BB178_415 Depth=1
	v_cmp_gt_i32_e64 s0, s28, v52
	v_cndmask_b32_e64 v75, 0, v75, s0
	v_cmp_gt_i32_e64 s0, s28, v54
	v_cndmask_b32_e64 v74, 0, v74, s0
	v_cmp_gt_i32_e64 s0, s28, v53
	v_cndmask_b32_e64 v73, 0, v73, s0
	v_cmp_gt_i32_e64 s0, s28, v40
	v_cndmask_b32_e64 v72, 0, v72, s0
.LBB178_619:                            ;   in Loop: Header=BB178_415 Depth=1
	s_or_b32 exec_lo, exec_lo, s13
	global_load_dword v76, v[15:16], off offset:768
	v_mov_b32_e32 v19, 0
	v_mov_b32_e32 v17, 0
	;; [unrolled: 1-line block ×4, first 2 shown]
	s_waitcnt vmcnt(0)
	v_cmp_ne_u16_sdwa s0, v76, v6 src0_sel:BYTE_0 src1_sel:DWORD
	s_and_saveexec_b32 s13, s0
	s_cbranch_execz .LBB178_627
; %bb.620:                              ;   in Loop: Header=BB178_415 Depth=1
	v_bfrev_b32_e32 v17, 1
	v_mov_b32_e32 v18, 0
	v_cmp_ne_u16_sdwa s0, v76, v42 src0_sel:BYTE_0 src1_sel:DWORD
	s_and_saveexec_b32 s14, s0
	s_cbranch_execz .LBB178_626
; %bb.621:                              ;   in Loop: Header=BB178_415 Depth=1
	v_mov_b32_e32 v17, 0x7f800001
	v_and_b32_e32 v13, 0x7f, v76
	v_mov_b32_e32 v18, 0
	s_mov_b32 s15, exec_lo
	v_cmpx_ne_u32_e32 0x7f, v13
	s_cbranch_execz .LBB178_625
; %bb.622:                              ;   in Loop: Header=BB178_415 Depth=1
	v_and_b32_e32 v5, 7, v76
	v_lshrrev_b32_e32 v11, 3, v13
	s_mov_b32 s16, exec_lo
	v_cmpx_gt_u32_e32 8, v13
; %bb.623:                              ;   in Loop: Header=BB178_415 Depth=1
	v_ffbh_u32_e32 v11, v5
	v_min_u32_e32 v11, 32, v11
	v_subrev_nc_u32_e32 v13, 28, v11
	v_sub_nc_u32_e32 v11, 29, v11
	v_lshlrev_b64 v[17:18], v13, v[5:6]
	v_and_b32_e32 v5, 7, v17
; %bb.624:                              ;   in Loop: Header=BB178_415 Depth=1
	s_or_b32 exec_lo, exec_lo, s16
	v_lshlrev_b32_e32 v13, 24, v76
	v_lshlrev_b32_e32 v5, 20, v5
	v_lshl_add_u32 v11, v11, 23, 0x3c000000
	v_and_b32_e32 v13, 0x80000000, v13
	v_or3_b32 v5, v5, v13, v11
	v_mov_b32_e32 v18, v6
	v_mov_b32_e32 v17, v5
.LBB178_625:                            ;   in Loop: Header=BB178_415 Depth=1
	s_or_b32 exec_lo, exec_lo, s15
.LBB178_626:                            ;   in Loop: Header=BB178_415 Depth=1
	s_or_b32 exec_lo, exec_lo, s14
.LBB178_627:                            ;   in Loop: Header=BB178_415 Depth=1
	s_or_b32 exec_lo, exec_lo, s13
	v_cmp_ne_u16_sdwa s0, v76, v6 src0_sel:BYTE_1 src1_sel:DWORD
	s_and_saveexec_b32 s13, s0
	s_cbranch_execz .LBB178_635
; %bb.628:                              ;   in Loop: Header=BB178_415 Depth=1
	v_mov_b32_e32 v11, v6
	v_mov_b32_e32 v20, v12
	v_cmp_ne_u16_sdwa s0, v76, v42 src0_sel:BYTE_1 src1_sel:DWORD
	v_mov_b32_e32 v19, v11
	s_and_saveexec_b32 s14, s0
	s_cbranch_execz .LBB178_634
; %bb.629:                              ;   in Loop: Header=BB178_415 Depth=1
	v_and_b32_sdwa v5, v43, v76 dst_sel:DWORD dst_unused:UNUSED_PAD src0_sel:DWORD src1_sel:BYTE_1
	v_mov_b32_e32 v13, v6
	v_mov_b32_e32 v20, v14
	s_mov_b32 s15, exec_lo
	v_and_b32_e32 v21, 0x7f, v5
	v_mov_b32_e32 v19, v13
	v_cmpx_ne_u32_e32 0x7f, v21
	s_cbranch_execz .LBB178_633
; %bb.630:                              ;   in Loop: Header=BB178_415 Depth=1
	v_and_b32_e32 v5, 7, v5
	v_lshrrev_b32_e32 v11, 3, v21
	s_mov_b32 s16, exec_lo
	v_cmpx_gt_u32_e32 8, v21
; %bb.631:                              ;   in Loop: Header=BB178_415 Depth=1
	v_ffbh_u32_e32 v11, v5
	v_min_u32_e32 v11, 32, v11
	v_subrev_nc_u32_e32 v13, 28, v11
	v_sub_nc_u32_e32 v11, 29, v11
	v_lshlrev_b64 v[19:20], v13, v[5:6]
	v_and_b32_e32 v5, 7, v19
; %bb.632:                              ;   in Loop: Header=BB178_415 Depth=1
	s_or_b32 exec_lo, exec_lo, s16
	v_lshlrev_b32_e32 v13, 16, v76
	v_lshlrev_b32_e32 v5, 20, v5
	v_lshl_add_u32 v11, v11, 23, 0x3c000000
	v_mov_b32_e32 v19, v6
	v_and_b32_e32 v13, 0x80000000, v13
	v_or3_b32 v20, v5, v13, v11
.LBB178_633:                            ;   in Loop: Header=BB178_415 Depth=1
	s_or_b32 exec_lo, exec_lo, s15
.LBB178_634:                            ;   in Loop: Header=BB178_415 Depth=1
	s_or_b32 exec_lo, exec_lo, s14
.LBB178_635:                            ;   in Loop: Header=BB178_415 Depth=1
	s_or_b32 exec_lo, exec_lo, s13
	v_mov_b32_e32 v23, 0
	v_mov_b32_e32 v21, 0
	v_and_b32_sdwa v5, v76, v44 dst_sel:DWORD dst_unused:UNUSED_PAD src0_sel:WORD_1 src1_sel:DWORD
	v_mov_b32_e32 v24, 0
	v_mov_b32_e32 v22, 0
	s_mov_b32 s13, exec_lo
	v_cmpx_ne_u16_e32 0, v5
	s_cbranch_execz .LBB178_643
; %bb.636:                              ;   in Loop: Header=BB178_415 Depth=1
	v_bfrev_b32_e32 v21, 1
	v_mov_b32_e32 v22, 0
	s_mov_b32 s14, exec_lo
	v_cmpx_ne_u16_e32 0x80, v5
	s_cbranch_execz .LBB178_642
; %bb.637:                              ;   in Loop: Header=BB178_415 Depth=1
	v_mov_b32_e32 v21, 0x7f800001
	v_bfe_u32 v13, v76, 16, 7
	v_mov_b32_e32 v22, 0
	s_mov_b32 s15, exec_lo
	v_cmpx_ne_u32_e32 0x7f, v13
	s_cbranch_execz .LBB178_641
; %bb.638:                              ;   in Loop: Header=BB178_415 Depth=1
	v_and_b32_sdwa v5, v76, v45 dst_sel:DWORD dst_unused:UNUSED_PAD src0_sel:WORD_1 src1_sel:DWORD
	v_lshrrev_b32_e32 v11, 3, v13
	s_mov_b32 s16, exec_lo
	v_cmpx_gt_u32_e32 8, v13
; %bb.639:                              ;   in Loop: Header=BB178_415 Depth=1
	v_ffbh_u32_e32 v11, v5
	v_min_u32_e32 v11, 32, v11
	v_subrev_nc_u32_e32 v13, 28, v11
	v_sub_nc_u32_e32 v11, 29, v11
	v_lshlrev_b64 v[21:22], v13, v[5:6]
	v_and_b32_e32 v5, 7, v21
; %bb.640:                              ;   in Loop: Header=BB178_415 Depth=1
	s_or_b32 exec_lo, exec_lo, s16
	v_lshlrev_b32_sdwa v13, v46, v76 dst_sel:DWORD dst_unused:UNUSED_PAD src0_sel:DWORD src1_sel:WORD_1
	v_lshlrev_b32_e32 v5, 20, v5
	v_lshl_add_u32 v11, v11, 23, 0x3c000000
	v_and_b32_e32 v13, 0x80000000, v13
	v_or3_b32 v5, v5, v13, v11
	v_mov_b32_e32 v22, v6
	v_mov_b32_e32 v21, v5
.LBB178_641:                            ;   in Loop: Header=BB178_415 Depth=1
	s_or_b32 exec_lo, exec_lo, s15
.LBB178_642:                            ;   in Loop: Header=BB178_415 Depth=1
	s_or_b32 exec_lo, exec_lo, s14
.LBB178_643:                            ;   in Loop: Header=BB178_415 Depth=1
	s_or_b32 exec_lo, exec_lo, s13
	s_mov_b32 s13, exec_lo
	v_cmpx_lt_u32_e32 0xffffff, v76
	s_cbranch_execz .LBB178_651
; %bb.644:                              ;   in Loop: Header=BB178_415 Depth=1
	v_mov_b32_e32 v11, v6
	v_mov_b32_e32 v24, v12
	v_cmp_ne_u32_sdwa s0, v76, v42 src0_sel:BYTE_3 src1_sel:DWORD
	v_mov_b32_e32 v23, v11
	s_and_saveexec_b32 s14, s0
	s_cbranch_execz .LBB178_650
; %bb.645:                              ;   in Loop: Header=BB178_415 Depth=1
	v_mov_b32_e32 v13, v6
	v_mov_b32_e32 v24, v14
	v_bfe_u32 v77, v76, 24, 7
	s_mov_b32 s15, exec_lo
	v_mov_b32_e32 v23, v13
	v_cmpx_ne_u32_e32 0x7f, v77
	s_cbranch_execz .LBB178_649
; %bb.646:                              ;   in Loop: Header=BB178_415 Depth=1
	v_and_b32_sdwa v5, v76, v45 dst_sel:DWORD dst_unused:UNUSED_PAD src0_sel:BYTE_3 src1_sel:DWORD
	v_lshrrev_b32_e32 v11, 3, v77
	s_mov_b32 s16, exec_lo
	v_cmpx_gt_u32_e32 8, v77
; %bb.647:                              ;   in Loop: Header=BB178_415 Depth=1
	v_ffbh_u32_e32 v11, v5
	v_min_u32_e32 v11, 32, v11
	v_subrev_nc_u32_e32 v13, 28, v11
	v_sub_nc_u32_e32 v11, 29, v11
	v_lshlrev_b64 v[23:24], v13, v[5:6]
	v_and_b32_e32 v5, 7, v23
; %bb.648:                              ;   in Loop: Header=BB178_415 Depth=1
	s_or_b32 exec_lo, exec_lo, s16
	v_lshlrev_b32_sdwa v13, v46, v76 dst_sel:DWORD dst_unused:UNUSED_PAD src0_sel:DWORD src1_sel:BYTE_3
	v_lshlrev_b32_e32 v5, 20, v5
	v_lshl_add_u32 v11, v11, 23, 0x3c000000
	v_mov_b32_e32 v23, v6
	v_and_b32_e32 v13, 0x80000000, v13
	v_or3_b32 v24, v5, v13, v11
.LBB178_649:                            ;   in Loop: Header=BB178_415 Depth=1
	s_or_b32 exec_lo, exec_lo, s15
.LBB178_650:                            ;   in Loop: Header=BB178_415 Depth=1
	s_or_b32 exec_lo, exec_lo, s14
.LBB178_651:                            ;   in Loop: Header=BB178_415 Depth=1
	s_or_b32 exec_lo, exec_lo, s13
	v_or_b32_e32 v5, v20, v18
	v_or_b32_e32 v11, v19, v17
	;; [unrolled: 1-line block ×4, first 2 shown]
	v_mul_f32_e32 v78, s12, v5
	v_mul_f32_e32 v79, s2, v11
	;; [unrolled: 1-line block ×4, first 2 shown]
	s_and_saveexec_b32 s13, vcc_lo
	s_cbranch_execz .LBB178_653
; %bb.652:                              ;   in Loop: Header=BB178_415 Depth=1
	v_cmp_gt_i32_e64 s0, s28, v52
	v_cndmask_b32_e64 v79, 0, v79, s0
	v_cmp_gt_i32_e64 s0, s28, v54
	v_cndmask_b32_e64 v78, 0, v78, s0
	;; [unrolled: 2-line block ×4, first 2 shown]
.LBB178_653:                            ;   in Loop: Header=BB178_415 Depth=1
	s_or_b32 exec_lo, exec_lo, s13
	global_load_dword v80, v[15:16], off offset:896
	v_mov_b32_e32 v19, 0
	v_mov_b32_e32 v17, 0
	;; [unrolled: 1-line block ×4, first 2 shown]
	s_waitcnt vmcnt(0)
	v_cmp_ne_u16_sdwa s0, v80, v6 src0_sel:BYTE_0 src1_sel:DWORD
	s_and_saveexec_b32 s13, s0
	s_cbranch_execz .LBB178_661
; %bb.654:                              ;   in Loop: Header=BB178_415 Depth=1
	v_bfrev_b32_e32 v17, 1
	v_mov_b32_e32 v18, 0
	v_cmp_ne_u16_sdwa s0, v80, v42 src0_sel:BYTE_0 src1_sel:DWORD
	s_and_saveexec_b32 s14, s0
	s_cbranch_execz .LBB178_660
; %bb.655:                              ;   in Loop: Header=BB178_415 Depth=1
	v_mov_b32_e32 v17, 0x7f800001
	v_and_b32_e32 v13, 0x7f, v80
	v_mov_b32_e32 v18, 0
	s_mov_b32 s15, exec_lo
	v_cmpx_ne_u32_e32 0x7f, v13
	s_cbranch_execz .LBB178_659
; %bb.656:                              ;   in Loop: Header=BB178_415 Depth=1
	v_and_b32_e32 v5, 7, v80
	v_lshrrev_b32_e32 v11, 3, v13
	s_mov_b32 s16, exec_lo
	v_cmpx_gt_u32_e32 8, v13
; %bb.657:                              ;   in Loop: Header=BB178_415 Depth=1
	v_ffbh_u32_e32 v11, v5
	v_min_u32_e32 v11, 32, v11
	v_subrev_nc_u32_e32 v13, 28, v11
	v_sub_nc_u32_e32 v11, 29, v11
	v_lshlrev_b64 v[17:18], v13, v[5:6]
	v_and_b32_e32 v5, 7, v17
; %bb.658:                              ;   in Loop: Header=BB178_415 Depth=1
	s_or_b32 exec_lo, exec_lo, s16
	v_lshlrev_b32_e32 v13, 24, v80
	v_lshlrev_b32_e32 v5, 20, v5
	v_lshl_add_u32 v11, v11, 23, 0x3c000000
	v_and_b32_e32 v13, 0x80000000, v13
	v_or3_b32 v5, v5, v13, v11
	v_mov_b32_e32 v18, v6
	v_mov_b32_e32 v17, v5
.LBB178_659:                            ;   in Loop: Header=BB178_415 Depth=1
	s_or_b32 exec_lo, exec_lo, s15
.LBB178_660:                            ;   in Loop: Header=BB178_415 Depth=1
	s_or_b32 exec_lo, exec_lo, s14
.LBB178_661:                            ;   in Loop: Header=BB178_415 Depth=1
	s_or_b32 exec_lo, exec_lo, s13
	v_cmp_ne_u16_sdwa s0, v80, v6 src0_sel:BYTE_1 src1_sel:DWORD
	s_and_saveexec_b32 s13, s0
	s_cbranch_execz .LBB178_669
; %bb.662:                              ;   in Loop: Header=BB178_415 Depth=1
	v_mov_b32_e32 v11, v6
	v_mov_b32_e32 v20, v12
	v_cmp_ne_u16_sdwa s0, v80, v42 src0_sel:BYTE_1 src1_sel:DWORD
	v_mov_b32_e32 v19, v11
	s_and_saveexec_b32 s14, s0
	s_cbranch_execz .LBB178_668
; %bb.663:                              ;   in Loop: Header=BB178_415 Depth=1
	v_and_b32_sdwa v5, v43, v80 dst_sel:DWORD dst_unused:UNUSED_PAD src0_sel:DWORD src1_sel:BYTE_1
	v_mov_b32_e32 v13, v6
	v_mov_b32_e32 v20, v14
	s_mov_b32 s15, exec_lo
	v_and_b32_e32 v21, 0x7f, v5
	v_mov_b32_e32 v19, v13
	v_cmpx_ne_u32_e32 0x7f, v21
	s_cbranch_execz .LBB178_667
; %bb.664:                              ;   in Loop: Header=BB178_415 Depth=1
	v_and_b32_e32 v5, 7, v5
	v_lshrrev_b32_e32 v11, 3, v21
	s_mov_b32 s16, exec_lo
	v_cmpx_gt_u32_e32 8, v21
; %bb.665:                              ;   in Loop: Header=BB178_415 Depth=1
	v_ffbh_u32_e32 v11, v5
	v_min_u32_e32 v11, 32, v11
	v_subrev_nc_u32_e32 v13, 28, v11
	v_sub_nc_u32_e32 v11, 29, v11
	v_lshlrev_b64 v[19:20], v13, v[5:6]
	v_and_b32_e32 v5, 7, v19
; %bb.666:                              ;   in Loop: Header=BB178_415 Depth=1
	s_or_b32 exec_lo, exec_lo, s16
	v_lshlrev_b32_e32 v13, 16, v80
	v_lshlrev_b32_e32 v5, 20, v5
	v_lshl_add_u32 v11, v11, 23, 0x3c000000
	v_mov_b32_e32 v19, v6
	v_and_b32_e32 v13, 0x80000000, v13
	v_or3_b32 v20, v5, v13, v11
.LBB178_667:                            ;   in Loop: Header=BB178_415 Depth=1
	s_or_b32 exec_lo, exec_lo, s15
.LBB178_668:                            ;   in Loop: Header=BB178_415 Depth=1
	s_or_b32 exec_lo, exec_lo, s14
.LBB178_669:                            ;   in Loop: Header=BB178_415 Depth=1
	s_or_b32 exec_lo, exec_lo, s13
	v_mov_b32_e32 v23, 0
	v_mov_b32_e32 v21, 0
	v_and_b32_sdwa v5, v80, v44 dst_sel:DWORD dst_unused:UNUSED_PAD src0_sel:WORD_1 src1_sel:DWORD
	v_mov_b32_e32 v24, 0
	v_mov_b32_e32 v22, 0
	s_mov_b32 s13, exec_lo
	v_cmpx_ne_u16_e32 0, v5
	s_cbranch_execz .LBB178_677
; %bb.670:                              ;   in Loop: Header=BB178_415 Depth=1
	v_bfrev_b32_e32 v21, 1
	v_mov_b32_e32 v22, 0
	s_mov_b32 s14, exec_lo
	v_cmpx_ne_u16_e32 0x80, v5
	s_cbranch_execz .LBB178_676
; %bb.671:                              ;   in Loop: Header=BB178_415 Depth=1
	v_mov_b32_e32 v21, 0x7f800001
	v_bfe_u32 v13, v80, 16, 7
	v_mov_b32_e32 v22, 0
	s_mov_b32 s15, exec_lo
	v_cmpx_ne_u32_e32 0x7f, v13
	s_cbranch_execz .LBB178_675
; %bb.672:                              ;   in Loop: Header=BB178_415 Depth=1
	v_and_b32_sdwa v5, v80, v45 dst_sel:DWORD dst_unused:UNUSED_PAD src0_sel:WORD_1 src1_sel:DWORD
	v_lshrrev_b32_e32 v11, 3, v13
	s_mov_b32 s16, exec_lo
	v_cmpx_gt_u32_e32 8, v13
; %bb.673:                              ;   in Loop: Header=BB178_415 Depth=1
	v_ffbh_u32_e32 v11, v5
	v_min_u32_e32 v11, 32, v11
	v_subrev_nc_u32_e32 v13, 28, v11
	v_sub_nc_u32_e32 v11, 29, v11
	v_lshlrev_b64 v[21:22], v13, v[5:6]
	v_and_b32_e32 v5, 7, v21
; %bb.674:                              ;   in Loop: Header=BB178_415 Depth=1
	s_or_b32 exec_lo, exec_lo, s16
	v_lshlrev_b32_sdwa v13, v46, v80 dst_sel:DWORD dst_unused:UNUSED_PAD src0_sel:DWORD src1_sel:WORD_1
	v_lshlrev_b32_e32 v5, 20, v5
	v_lshl_add_u32 v11, v11, 23, 0x3c000000
	v_and_b32_e32 v13, 0x80000000, v13
	v_or3_b32 v5, v5, v13, v11
	v_mov_b32_e32 v22, v6
	v_mov_b32_e32 v21, v5
.LBB178_675:                            ;   in Loop: Header=BB178_415 Depth=1
	s_or_b32 exec_lo, exec_lo, s15
.LBB178_676:                            ;   in Loop: Header=BB178_415 Depth=1
	s_or_b32 exec_lo, exec_lo, s14
.LBB178_677:                            ;   in Loop: Header=BB178_415 Depth=1
	s_or_b32 exec_lo, exec_lo, s13
	s_mov_b32 s13, exec_lo
	v_cmpx_lt_u32_e32 0xffffff, v80
	s_cbranch_execz .LBB178_685
; %bb.678:                              ;   in Loop: Header=BB178_415 Depth=1
	v_mov_b32_e32 v11, v6
	v_mov_b32_e32 v24, v12
	v_cmp_ne_u32_sdwa s0, v80, v42 src0_sel:BYTE_3 src1_sel:DWORD
	v_mov_b32_e32 v23, v11
	s_and_saveexec_b32 s14, s0
	s_cbranch_execz .LBB178_684
; %bb.679:                              ;   in Loop: Header=BB178_415 Depth=1
	v_mov_b32_e32 v13, v6
	v_mov_b32_e32 v24, v14
	v_bfe_u32 v81, v80, 24, 7
	s_mov_b32 s15, exec_lo
	v_mov_b32_e32 v23, v13
	v_cmpx_ne_u32_e32 0x7f, v81
	s_cbranch_execz .LBB178_683
; %bb.680:                              ;   in Loop: Header=BB178_415 Depth=1
	v_and_b32_sdwa v5, v80, v45 dst_sel:DWORD dst_unused:UNUSED_PAD src0_sel:BYTE_3 src1_sel:DWORD
	v_lshrrev_b32_e32 v11, 3, v81
	s_mov_b32 s16, exec_lo
	v_cmpx_gt_u32_e32 8, v81
; %bb.681:                              ;   in Loop: Header=BB178_415 Depth=1
	v_ffbh_u32_e32 v11, v5
	v_min_u32_e32 v11, 32, v11
	v_subrev_nc_u32_e32 v13, 28, v11
	v_sub_nc_u32_e32 v11, 29, v11
	v_lshlrev_b64 v[23:24], v13, v[5:6]
	v_and_b32_e32 v5, 7, v23
; %bb.682:                              ;   in Loop: Header=BB178_415 Depth=1
	s_or_b32 exec_lo, exec_lo, s16
	v_lshlrev_b32_sdwa v13, v46, v80 dst_sel:DWORD dst_unused:UNUSED_PAD src0_sel:DWORD src1_sel:BYTE_3
	v_lshlrev_b32_e32 v5, 20, v5
	v_lshl_add_u32 v11, v11, 23, 0x3c000000
	v_mov_b32_e32 v23, v6
	v_and_b32_e32 v13, 0x80000000, v13
	v_or3_b32 v24, v5, v13, v11
.LBB178_683:                            ;   in Loop: Header=BB178_415 Depth=1
	s_or_b32 exec_lo, exec_lo, s15
.LBB178_684:                            ;   in Loop: Header=BB178_415 Depth=1
	s_or_b32 exec_lo, exec_lo, s14
.LBB178_685:                            ;   in Loop: Header=BB178_415 Depth=1
	s_or_b32 exec_lo, exec_lo, s13
	v_or_b32_e32 v5, v20, v18
	v_or_b32_e32 v11, v19, v17
	;; [unrolled: 1-line block ×4, first 2 shown]
	v_mul_f32_e32 v82, s12, v5
	v_mul_f32_e32 v83, s2, v11
	;; [unrolled: 1-line block ×4, first 2 shown]
	s_and_saveexec_b32 s13, vcc_lo
	s_cbranch_execz .LBB178_687
; %bb.686:                              ;   in Loop: Header=BB178_415 Depth=1
	v_cmp_gt_i32_e64 s0, s28, v52
	v_cndmask_b32_e64 v83, 0, v83, s0
	v_cmp_gt_i32_e64 s0, s28, v54
	v_cndmask_b32_e64 v82, 0, v82, s0
	;; [unrolled: 2-line block ×4, first 2 shown]
.LBB178_687:                            ;   in Loop: Header=BB178_415 Depth=1
	s_or_b32 exec_lo, exec_lo, s13
	global_load_dword v84, v[15:16], off offset:1024
	v_mov_b32_e32 v19, 0
	v_mov_b32_e32 v17, 0
	;; [unrolled: 1-line block ×4, first 2 shown]
	s_waitcnt vmcnt(0)
	v_cmp_ne_u16_sdwa s0, v84, v6 src0_sel:BYTE_0 src1_sel:DWORD
	s_and_saveexec_b32 s13, s0
	s_cbranch_execz .LBB178_695
; %bb.688:                              ;   in Loop: Header=BB178_415 Depth=1
	v_bfrev_b32_e32 v17, 1
	v_mov_b32_e32 v18, 0
	v_cmp_ne_u16_sdwa s0, v84, v42 src0_sel:BYTE_0 src1_sel:DWORD
	s_and_saveexec_b32 s14, s0
	s_cbranch_execz .LBB178_694
; %bb.689:                              ;   in Loop: Header=BB178_415 Depth=1
	v_mov_b32_e32 v17, 0x7f800001
	v_and_b32_e32 v13, 0x7f, v84
	v_mov_b32_e32 v18, 0
	s_mov_b32 s15, exec_lo
	v_cmpx_ne_u32_e32 0x7f, v13
	s_cbranch_execz .LBB178_693
; %bb.690:                              ;   in Loop: Header=BB178_415 Depth=1
	v_and_b32_e32 v5, 7, v84
	v_lshrrev_b32_e32 v11, 3, v13
	s_mov_b32 s16, exec_lo
	v_cmpx_gt_u32_e32 8, v13
; %bb.691:                              ;   in Loop: Header=BB178_415 Depth=1
	v_ffbh_u32_e32 v11, v5
	v_min_u32_e32 v11, 32, v11
	v_subrev_nc_u32_e32 v13, 28, v11
	v_sub_nc_u32_e32 v11, 29, v11
	v_lshlrev_b64 v[17:18], v13, v[5:6]
	v_and_b32_e32 v5, 7, v17
; %bb.692:                              ;   in Loop: Header=BB178_415 Depth=1
	s_or_b32 exec_lo, exec_lo, s16
	v_lshlrev_b32_e32 v13, 24, v84
	v_lshlrev_b32_e32 v5, 20, v5
	v_lshl_add_u32 v11, v11, 23, 0x3c000000
	v_and_b32_e32 v13, 0x80000000, v13
	v_or3_b32 v5, v5, v13, v11
	v_mov_b32_e32 v18, v6
	v_mov_b32_e32 v17, v5
.LBB178_693:                            ;   in Loop: Header=BB178_415 Depth=1
	s_or_b32 exec_lo, exec_lo, s15
.LBB178_694:                            ;   in Loop: Header=BB178_415 Depth=1
	s_or_b32 exec_lo, exec_lo, s14
.LBB178_695:                            ;   in Loop: Header=BB178_415 Depth=1
	s_or_b32 exec_lo, exec_lo, s13
	v_cmp_ne_u16_sdwa s0, v84, v6 src0_sel:BYTE_1 src1_sel:DWORD
	s_and_saveexec_b32 s13, s0
	s_cbranch_execz .LBB178_703
; %bb.696:                              ;   in Loop: Header=BB178_415 Depth=1
	v_mov_b32_e32 v11, v6
	v_mov_b32_e32 v20, v12
	v_cmp_ne_u16_sdwa s0, v84, v42 src0_sel:BYTE_1 src1_sel:DWORD
	v_mov_b32_e32 v19, v11
	s_and_saveexec_b32 s14, s0
	s_cbranch_execz .LBB178_702
; %bb.697:                              ;   in Loop: Header=BB178_415 Depth=1
	v_and_b32_sdwa v5, v43, v84 dst_sel:DWORD dst_unused:UNUSED_PAD src0_sel:DWORD src1_sel:BYTE_1
	v_mov_b32_e32 v13, v6
	v_mov_b32_e32 v20, v14
	s_mov_b32 s15, exec_lo
	v_and_b32_e32 v21, 0x7f, v5
	v_mov_b32_e32 v19, v13
	v_cmpx_ne_u32_e32 0x7f, v21
	s_cbranch_execz .LBB178_701
; %bb.698:                              ;   in Loop: Header=BB178_415 Depth=1
	v_and_b32_e32 v5, 7, v5
	v_lshrrev_b32_e32 v11, 3, v21
	s_mov_b32 s16, exec_lo
	v_cmpx_gt_u32_e32 8, v21
; %bb.699:                              ;   in Loop: Header=BB178_415 Depth=1
	v_ffbh_u32_e32 v11, v5
	v_min_u32_e32 v11, 32, v11
	v_subrev_nc_u32_e32 v13, 28, v11
	v_sub_nc_u32_e32 v11, 29, v11
	v_lshlrev_b64 v[19:20], v13, v[5:6]
	v_and_b32_e32 v5, 7, v19
; %bb.700:                              ;   in Loop: Header=BB178_415 Depth=1
	s_or_b32 exec_lo, exec_lo, s16
	v_lshlrev_b32_e32 v13, 16, v84
	v_lshlrev_b32_e32 v5, 20, v5
	v_lshl_add_u32 v11, v11, 23, 0x3c000000
	v_mov_b32_e32 v19, v6
	v_and_b32_e32 v13, 0x80000000, v13
	v_or3_b32 v20, v5, v13, v11
.LBB178_701:                            ;   in Loop: Header=BB178_415 Depth=1
	s_or_b32 exec_lo, exec_lo, s15
.LBB178_702:                            ;   in Loop: Header=BB178_415 Depth=1
	s_or_b32 exec_lo, exec_lo, s14
.LBB178_703:                            ;   in Loop: Header=BB178_415 Depth=1
	s_or_b32 exec_lo, exec_lo, s13
	v_mov_b32_e32 v23, 0
	v_mov_b32_e32 v21, 0
	v_and_b32_sdwa v5, v84, v44 dst_sel:DWORD dst_unused:UNUSED_PAD src0_sel:WORD_1 src1_sel:DWORD
	v_mov_b32_e32 v24, 0
	v_mov_b32_e32 v22, 0
	s_mov_b32 s13, exec_lo
	v_cmpx_ne_u16_e32 0, v5
	s_cbranch_execz .LBB178_711
; %bb.704:                              ;   in Loop: Header=BB178_415 Depth=1
	v_bfrev_b32_e32 v21, 1
	v_mov_b32_e32 v22, 0
	s_mov_b32 s14, exec_lo
	v_cmpx_ne_u16_e32 0x80, v5
	s_cbranch_execz .LBB178_710
; %bb.705:                              ;   in Loop: Header=BB178_415 Depth=1
	v_mov_b32_e32 v21, 0x7f800001
	v_bfe_u32 v13, v84, 16, 7
	v_mov_b32_e32 v22, 0
	s_mov_b32 s15, exec_lo
	v_cmpx_ne_u32_e32 0x7f, v13
	s_cbranch_execz .LBB178_709
; %bb.706:                              ;   in Loop: Header=BB178_415 Depth=1
	v_and_b32_sdwa v5, v84, v45 dst_sel:DWORD dst_unused:UNUSED_PAD src0_sel:WORD_1 src1_sel:DWORD
	v_lshrrev_b32_e32 v11, 3, v13
	s_mov_b32 s16, exec_lo
	v_cmpx_gt_u32_e32 8, v13
; %bb.707:                              ;   in Loop: Header=BB178_415 Depth=1
	v_ffbh_u32_e32 v11, v5
	v_min_u32_e32 v11, 32, v11
	v_subrev_nc_u32_e32 v13, 28, v11
	v_sub_nc_u32_e32 v11, 29, v11
	v_lshlrev_b64 v[21:22], v13, v[5:6]
	v_and_b32_e32 v5, 7, v21
; %bb.708:                              ;   in Loop: Header=BB178_415 Depth=1
	s_or_b32 exec_lo, exec_lo, s16
	v_lshlrev_b32_sdwa v13, v46, v84 dst_sel:DWORD dst_unused:UNUSED_PAD src0_sel:DWORD src1_sel:WORD_1
	v_lshlrev_b32_e32 v5, 20, v5
	v_lshl_add_u32 v11, v11, 23, 0x3c000000
	v_and_b32_e32 v13, 0x80000000, v13
	v_or3_b32 v5, v5, v13, v11
	v_mov_b32_e32 v22, v6
	v_mov_b32_e32 v21, v5
.LBB178_709:                            ;   in Loop: Header=BB178_415 Depth=1
	s_or_b32 exec_lo, exec_lo, s15
.LBB178_710:                            ;   in Loop: Header=BB178_415 Depth=1
	s_or_b32 exec_lo, exec_lo, s14
.LBB178_711:                            ;   in Loop: Header=BB178_415 Depth=1
	s_or_b32 exec_lo, exec_lo, s13
	s_mov_b32 s13, exec_lo
	v_cmpx_lt_u32_e32 0xffffff, v84
	s_cbranch_execz .LBB178_719
; %bb.712:                              ;   in Loop: Header=BB178_415 Depth=1
	v_mov_b32_e32 v11, v6
	v_mov_b32_e32 v24, v12
	v_cmp_ne_u32_sdwa s0, v84, v42 src0_sel:BYTE_3 src1_sel:DWORD
	v_mov_b32_e32 v23, v11
	s_and_saveexec_b32 s14, s0
	s_cbranch_execz .LBB178_718
; %bb.713:                              ;   in Loop: Header=BB178_415 Depth=1
	v_mov_b32_e32 v13, v6
	v_mov_b32_e32 v24, v14
	v_bfe_u32 v85, v84, 24, 7
	s_mov_b32 s15, exec_lo
	v_mov_b32_e32 v23, v13
	v_cmpx_ne_u32_e32 0x7f, v85
	s_cbranch_execz .LBB178_717
; %bb.714:                              ;   in Loop: Header=BB178_415 Depth=1
	v_and_b32_sdwa v5, v84, v45 dst_sel:DWORD dst_unused:UNUSED_PAD src0_sel:BYTE_3 src1_sel:DWORD
	v_lshrrev_b32_e32 v11, 3, v85
	s_mov_b32 s16, exec_lo
	v_cmpx_gt_u32_e32 8, v85
; %bb.715:                              ;   in Loop: Header=BB178_415 Depth=1
	v_ffbh_u32_e32 v11, v5
	v_min_u32_e32 v11, 32, v11
	v_subrev_nc_u32_e32 v13, 28, v11
	v_sub_nc_u32_e32 v11, 29, v11
	v_lshlrev_b64 v[23:24], v13, v[5:6]
	v_and_b32_e32 v5, 7, v23
; %bb.716:                              ;   in Loop: Header=BB178_415 Depth=1
	s_or_b32 exec_lo, exec_lo, s16
	v_lshlrev_b32_sdwa v13, v46, v84 dst_sel:DWORD dst_unused:UNUSED_PAD src0_sel:DWORD src1_sel:BYTE_3
	v_lshlrev_b32_e32 v5, 20, v5
	v_lshl_add_u32 v11, v11, 23, 0x3c000000
	v_mov_b32_e32 v23, v6
	v_and_b32_e32 v13, 0x80000000, v13
	v_or3_b32 v24, v5, v13, v11
.LBB178_717:                            ;   in Loop: Header=BB178_415 Depth=1
	s_or_b32 exec_lo, exec_lo, s15
.LBB178_718:                            ;   in Loop: Header=BB178_415 Depth=1
	s_or_b32 exec_lo, exec_lo, s14
.LBB178_719:                            ;   in Loop: Header=BB178_415 Depth=1
	s_or_b32 exec_lo, exec_lo, s13
	v_or_b32_e32 v5, v20, v18
	v_or_b32_e32 v11, v19, v17
	;; [unrolled: 1-line block ×4, first 2 shown]
	v_mul_f32_e32 v86, s12, v5
	v_mul_f32_e32 v87, s2, v11
	;; [unrolled: 1-line block ×4, first 2 shown]
	s_and_saveexec_b32 s13, vcc_lo
	s_cbranch_execz .LBB178_721
; %bb.720:                              ;   in Loop: Header=BB178_415 Depth=1
	v_cmp_gt_i32_e64 s0, s28, v52
	v_cndmask_b32_e64 v87, 0, v87, s0
	v_cmp_gt_i32_e64 s0, s28, v54
	v_cndmask_b32_e64 v86, 0, v86, s0
	;; [unrolled: 2-line block ×4, first 2 shown]
.LBB178_721:                            ;   in Loop: Header=BB178_415 Depth=1
	s_or_b32 exec_lo, exec_lo, s13
	global_load_dword v88, v[15:16], off offset:1152
	v_mov_b32_e32 v19, 0
	v_mov_b32_e32 v17, 0
	;; [unrolled: 1-line block ×4, first 2 shown]
	s_waitcnt vmcnt(0)
	v_cmp_ne_u16_sdwa s0, v88, v6 src0_sel:BYTE_0 src1_sel:DWORD
	s_and_saveexec_b32 s13, s0
	s_cbranch_execz .LBB178_729
; %bb.722:                              ;   in Loop: Header=BB178_415 Depth=1
	v_bfrev_b32_e32 v17, 1
	v_mov_b32_e32 v18, 0
	v_cmp_ne_u16_sdwa s0, v88, v42 src0_sel:BYTE_0 src1_sel:DWORD
	s_and_saveexec_b32 s14, s0
	s_cbranch_execz .LBB178_728
; %bb.723:                              ;   in Loop: Header=BB178_415 Depth=1
	v_mov_b32_e32 v17, 0x7f800001
	v_and_b32_e32 v13, 0x7f, v88
	v_mov_b32_e32 v18, 0
	s_mov_b32 s15, exec_lo
	v_cmpx_ne_u32_e32 0x7f, v13
	s_cbranch_execz .LBB178_727
; %bb.724:                              ;   in Loop: Header=BB178_415 Depth=1
	v_and_b32_e32 v5, 7, v88
	v_lshrrev_b32_e32 v11, 3, v13
	s_mov_b32 s16, exec_lo
	v_cmpx_gt_u32_e32 8, v13
; %bb.725:                              ;   in Loop: Header=BB178_415 Depth=1
	v_ffbh_u32_e32 v11, v5
	v_min_u32_e32 v11, 32, v11
	v_subrev_nc_u32_e32 v13, 28, v11
	v_sub_nc_u32_e32 v11, 29, v11
	v_lshlrev_b64 v[17:18], v13, v[5:6]
	v_and_b32_e32 v5, 7, v17
; %bb.726:                              ;   in Loop: Header=BB178_415 Depth=1
	s_or_b32 exec_lo, exec_lo, s16
	v_lshlrev_b32_e32 v13, 24, v88
	v_lshlrev_b32_e32 v5, 20, v5
	v_lshl_add_u32 v11, v11, 23, 0x3c000000
	v_and_b32_e32 v13, 0x80000000, v13
	v_or3_b32 v5, v5, v13, v11
	v_mov_b32_e32 v18, v6
	v_mov_b32_e32 v17, v5
.LBB178_727:                            ;   in Loop: Header=BB178_415 Depth=1
	s_or_b32 exec_lo, exec_lo, s15
.LBB178_728:                            ;   in Loop: Header=BB178_415 Depth=1
	s_or_b32 exec_lo, exec_lo, s14
.LBB178_729:                            ;   in Loop: Header=BB178_415 Depth=1
	s_or_b32 exec_lo, exec_lo, s13
	v_cmp_ne_u16_sdwa s0, v88, v6 src0_sel:BYTE_1 src1_sel:DWORD
	s_and_saveexec_b32 s13, s0
	s_cbranch_execz .LBB178_737
; %bb.730:                              ;   in Loop: Header=BB178_415 Depth=1
	v_mov_b32_e32 v11, v6
	v_mov_b32_e32 v20, v12
	v_cmp_ne_u16_sdwa s0, v88, v42 src0_sel:BYTE_1 src1_sel:DWORD
	v_mov_b32_e32 v19, v11
	s_and_saveexec_b32 s14, s0
	s_cbranch_execz .LBB178_736
; %bb.731:                              ;   in Loop: Header=BB178_415 Depth=1
	v_and_b32_sdwa v5, v43, v88 dst_sel:DWORD dst_unused:UNUSED_PAD src0_sel:DWORD src1_sel:BYTE_1
	v_mov_b32_e32 v13, v6
	v_mov_b32_e32 v20, v14
	s_mov_b32 s15, exec_lo
	v_and_b32_e32 v21, 0x7f, v5
	v_mov_b32_e32 v19, v13
	v_cmpx_ne_u32_e32 0x7f, v21
	s_cbranch_execz .LBB178_735
; %bb.732:                              ;   in Loop: Header=BB178_415 Depth=1
	v_and_b32_e32 v5, 7, v5
	v_lshrrev_b32_e32 v11, 3, v21
	s_mov_b32 s16, exec_lo
	v_cmpx_gt_u32_e32 8, v21
; %bb.733:                              ;   in Loop: Header=BB178_415 Depth=1
	v_ffbh_u32_e32 v11, v5
	v_min_u32_e32 v11, 32, v11
	v_subrev_nc_u32_e32 v13, 28, v11
	v_sub_nc_u32_e32 v11, 29, v11
	v_lshlrev_b64 v[19:20], v13, v[5:6]
	v_and_b32_e32 v5, 7, v19
; %bb.734:                              ;   in Loop: Header=BB178_415 Depth=1
	s_or_b32 exec_lo, exec_lo, s16
	v_lshlrev_b32_e32 v13, 16, v88
	v_lshlrev_b32_e32 v5, 20, v5
	v_lshl_add_u32 v11, v11, 23, 0x3c000000
	v_mov_b32_e32 v19, v6
	v_and_b32_e32 v13, 0x80000000, v13
	v_or3_b32 v20, v5, v13, v11
.LBB178_735:                            ;   in Loop: Header=BB178_415 Depth=1
	s_or_b32 exec_lo, exec_lo, s15
.LBB178_736:                            ;   in Loop: Header=BB178_415 Depth=1
	s_or_b32 exec_lo, exec_lo, s14
.LBB178_737:                            ;   in Loop: Header=BB178_415 Depth=1
	s_or_b32 exec_lo, exec_lo, s13
	v_mov_b32_e32 v23, 0
	v_mov_b32_e32 v21, 0
	v_and_b32_sdwa v5, v88, v44 dst_sel:DWORD dst_unused:UNUSED_PAD src0_sel:WORD_1 src1_sel:DWORD
	v_mov_b32_e32 v24, 0
	v_mov_b32_e32 v22, 0
	s_mov_b32 s13, exec_lo
	v_cmpx_ne_u16_e32 0, v5
	s_cbranch_execz .LBB178_745
; %bb.738:                              ;   in Loop: Header=BB178_415 Depth=1
	v_bfrev_b32_e32 v21, 1
	v_mov_b32_e32 v22, 0
	s_mov_b32 s14, exec_lo
	v_cmpx_ne_u16_e32 0x80, v5
	s_cbranch_execz .LBB178_744
; %bb.739:                              ;   in Loop: Header=BB178_415 Depth=1
	v_mov_b32_e32 v21, 0x7f800001
	v_bfe_u32 v13, v88, 16, 7
	v_mov_b32_e32 v22, 0
	s_mov_b32 s15, exec_lo
	v_cmpx_ne_u32_e32 0x7f, v13
	s_cbranch_execz .LBB178_743
; %bb.740:                              ;   in Loop: Header=BB178_415 Depth=1
	v_and_b32_sdwa v5, v88, v45 dst_sel:DWORD dst_unused:UNUSED_PAD src0_sel:WORD_1 src1_sel:DWORD
	v_lshrrev_b32_e32 v11, 3, v13
	s_mov_b32 s16, exec_lo
	v_cmpx_gt_u32_e32 8, v13
; %bb.741:                              ;   in Loop: Header=BB178_415 Depth=1
	v_ffbh_u32_e32 v11, v5
	v_min_u32_e32 v11, 32, v11
	v_subrev_nc_u32_e32 v13, 28, v11
	v_sub_nc_u32_e32 v11, 29, v11
	v_lshlrev_b64 v[21:22], v13, v[5:6]
	v_and_b32_e32 v5, 7, v21
; %bb.742:                              ;   in Loop: Header=BB178_415 Depth=1
	s_or_b32 exec_lo, exec_lo, s16
	v_lshlrev_b32_sdwa v13, v46, v88 dst_sel:DWORD dst_unused:UNUSED_PAD src0_sel:DWORD src1_sel:WORD_1
	v_lshlrev_b32_e32 v5, 20, v5
	v_lshl_add_u32 v11, v11, 23, 0x3c000000
	v_and_b32_e32 v13, 0x80000000, v13
	v_or3_b32 v5, v5, v13, v11
	v_mov_b32_e32 v22, v6
	v_mov_b32_e32 v21, v5
.LBB178_743:                            ;   in Loop: Header=BB178_415 Depth=1
	s_or_b32 exec_lo, exec_lo, s15
.LBB178_744:                            ;   in Loop: Header=BB178_415 Depth=1
	s_or_b32 exec_lo, exec_lo, s14
.LBB178_745:                            ;   in Loop: Header=BB178_415 Depth=1
	s_or_b32 exec_lo, exec_lo, s13
	s_mov_b32 s13, exec_lo
	v_cmpx_lt_u32_e32 0xffffff, v88
	s_cbranch_execz .LBB178_753
; %bb.746:                              ;   in Loop: Header=BB178_415 Depth=1
	v_mov_b32_e32 v11, v6
	v_mov_b32_e32 v24, v12
	v_cmp_ne_u32_sdwa s0, v88, v42 src0_sel:BYTE_3 src1_sel:DWORD
	v_mov_b32_e32 v23, v11
	s_and_saveexec_b32 s14, s0
	s_cbranch_execz .LBB178_752
; %bb.747:                              ;   in Loop: Header=BB178_415 Depth=1
	v_mov_b32_e32 v13, v6
	v_mov_b32_e32 v24, v14
	v_bfe_u32 v89, v88, 24, 7
	s_mov_b32 s15, exec_lo
	v_mov_b32_e32 v23, v13
	v_cmpx_ne_u32_e32 0x7f, v89
	s_cbranch_execz .LBB178_751
; %bb.748:                              ;   in Loop: Header=BB178_415 Depth=1
	v_and_b32_sdwa v5, v88, v45 dst_sel:DWORD dst_unused:UNUSED_PAD src0_sel:BYTE_3 src1_sel:DWORD
	v_lshrrev_b32_e32 v11, 3, v89
	s_mov_b32 s16, exec_lo
	v_cmpx_gt_u32_e32 8, v89
; %bb.749:                              ;   in Loop: Header=BB178_415 Depth=1
	v_ffbh_u32_e32 v11, v5
	v_min_u32_e32 v11, 32, v11
	v_subrev_nc_u32_e32 v13, 28, v11
	v_sub_nc_u32_e32 v11, 29, v11
	v_lshlrev_b64 v[23:24], v13, v[5:6]
	v_and_b32_e32 v5, 7, v23
; %bb.750:                              ;   in Loop: Header=BB178_415 Depth=1
	s_or_b32 exec_lo, exec_lo, s16
	v_lshlrev_b32_sdwa v13, v46, v88 dst_sel:DWORD dst_unused:UNUSED_PAD src0_sel:DWORD src1_sel:BYTE_3
	v_lshlrev_b32_e32 v5, 20, v5
	v_lshl_add_u32 v11, v11, 23, 0x3c000000
	v_mov_b32_e32 v23, v6
	v_and_b32_e32 v13, 0x80000000, v13
	v_or3_b32 v24, v5, v13, v11
.LBB178_751:                            ;   in Loop: Header=BB178_415 Depth=1
	s_or_b32 exec_lo, exec_lo, s15
.LBB178_752:                            ;   in Loop: Header=BB178_415 Depth=1
	s_or_b32 exec_lo, exec_lo, s14
.LBB178_753:                            ;   in Loop: Header=BB178_415 Depth=1
	s_or_b32 exec_lo, exec_lo, s13
	v_or_b32_e32 v5, v20, v18
	v_or_b32_e32 v11, v19, v17
	;; [unrolled: 1-line block ×4, first 2 shown]
	v_mul_f32_e32 v90, s12, v5
	v_mul_f32_e32 v91, s2, v11
	;; [unrolled: 1-line block ×4, first 2 shown]
	s_and_saveexec_b32 s13, vcc_lo
	s_cbranch_execz .LBB178_755
; %bb.754:                              ;   in Loop: Header=BB178_415 Depth=1
	v_cmp_gt_i32_e64 s0, s28, v52
	v_cndmask_b32_e64 v91, 0, v91, s0
	v_cmp_gt_i32_e64 s0, s28, v54
	v_cndmask_b32_e64 v90, 0, v90, s0
	;; [unrolled: 2-line block ×4, first 2 shown]
.LBB178_755:                            ;   in Loop: Header=BB178_415 Depth=1
	s_or_b32 exec_lo, exec_lo, s13
	global_load_dword v92, v[15:16], off offset:1280
	v_mov_b32_e32 v19, 0
	v_mov_b32_e32 v17, 0
	;; [unrolled: 1-line block ×4, first 2 shown]
	s_waitcnt vmcnt(0)
	v_cmp_ne_u16_sdwa s0, v92, v6 src0_sel:BYTE_0 src1_sel:DWORD
	s_and_saveexec_b32 s13, s0
	s_cbranch_execz .LBB178_763
; %bb.756:                              ;   in Loop: Header=BB178_415 Depth=1
	v_bfrev_b32_e32 v17, 1
	v_mov_b32_e32 v18, 0
	v_cmp_ne_u16_sdwa s0, v92, v42 src0_sel:BYTE_0 src1_sel:DWORD
	s_and_saveexec_b32 s14, s0
	s_cbranch_execz .LBB178_762
; %bb.757:                              ;   in Loop: Header=BB178_415 Depth=1
	v_mov_b32_e32 v17, 0x7f800001
	v_and_b32_e32 v13, 0x7f, v92
	v_mov_b32_e32 v18, 0
	s_mov_b32 s15, exec_lo
	v_cmpx_ne_u32_e32 0x7f, v13
	s_cbranch_execz .LBB178_761
; %bb.758:                              ;   in Loop: Header=BB178_415 Depth=1
	v_and_b32_e32 v5, 7, v92
	v_lshrrev_b32_e32 v11, 3, v13
	s_mov_b32 s16, exec_lo
	v_cmpx_gt_u32_e32 8, v13
; %bb.759:                              ;   in Loop: Header=BB178_415 Depth=1
	v_ffbh_u32_e32 v11, v5
	v_min_u32_e32 v11, 32, v11
	v_subrev_nc_u32_e32 v13, 28, v11
	v_sub_nc_u32_e32 v11, 29, v11
	v_lshlrev_b64 v[17:18], v13, v[5:6]
	v_and_b32_e32 v5, 7, v17
; %bb.760:                              ;   in Loop: Header=BB178_415 Depth=1
	s_or_b32 exec_lo, exec_lo, s16
	v_lshlrev_b32_e32 v13, 24, v92
	v_lshlrev_b32_e32 v5, 20, v5
	v_lshl_add_u32 v11, v11, 23, 0x3c000000
	v_and_b32_e32 v13, 0x80000000, v13
	v_or3_b32 v5, v5, v13, v11
	v_mov_b32_e32 v18, v6
	v_mov_b32_e32 v17, v5
.LBB178_761:                            ;   in Loop: Header=BB178_415 Depth=1
	s_or_b32 exec_lo, exec_lo, s15
.LBB178_762:                            ;   in Loop: Header=BB178_415 Depth=1
	s_or_b32 exec_lo, exec_lo, s14
.LBB178_763:                            ;   in Loop: Header=BB178_415 Depth=1
	s_or_b32 exec_lo, exec_lo, s13
	v_cmp_ne_u16_sdwa s0, v92, v6 src0_sel:BYTE_1 src1_sel:DWORD
	s_and_saveexec_b32 s13, s0
	s_cbranch_execz .LBB178_771
; %bb.764:                              ;   in Loop: Header=BB178_415 Depth=1
	v_mov_b32_e32 v11, v6
	v_mov_b32_e32 v20, v12
	v_cmp_ne_u16_sdwa s0, v92, v42 src0_sel:BYTE_1 src1_sel:DWORD
	v_mov_b32_e32 v19, v11
	s_and_saveexec_b32 s14, s0
	s_cbranch_execz .LBB178_770
; %bb.765:                              ;   in Loop: Header=BB178_415 Depth=1
	v_and_b32_sdwa v5, v43, v92 dst_sel:DWORD dst_unused:UNUSED_PAD src0_sel:DWORD src1_sel:BYTE_1
	v_mov_b32_e32 v13, v6
	v_mov_b32_e32 v20, v14
	s_mov_b32 s15, exec_lo
	v_and_b32_e32 v21, 0x7f, v5
	v_mov_b32_e32 v19, v13
	v_cmpx_ne_u32_e32 0x7f, v21
	s_cbranch_execz .LBB178_769
; %bb.766:                              ;   in Loop: Header=BB178_415 Depth=1
	v_and_b32_e32 v5, 7, v5
	v_lshrrev_b32_e32 v11, 3, v21
	s_mov_b32 s16, exec_lo
	v_cmpx_gt_u32_e32 8, v21
; %bb.767:                              ;   in Loop: Header=BB178_415 Depth=1
	v_ffbh_u32_e32 v11, v5
	v_min_u32_e32 v11, 32, v11
	v_subrev_nc_u32_e32 v13, 28, v11
	v_sub_nc_u32_e32 v11, 29, v11
	v_lshlrev_b64 v[19:20], v13, v[5:6]
	v_and_b32_e32 v5, 7, v19
; %bb.768:                              ;   in Loop: Header=BB178_415 Depth=1
	s_or_b32 exec_lo, exec_lo, s16
	v_lshlrev_b32_e32 v13, 16, v92
	v_lshlrev_b32_e32 v5, 20, v5
	v_lshl_add_u32 v11, v11, 23, 0x3c000000
	v_mov_b32_e32 v19, v6
	v_and_b32_e32 v13, 0x80000000, v13
	v_or3_b32 v20, v5, v13, v11
.LBB178_769:                            ;   in Loop: Header=BB178_415 Depth=1
	s_or_b32 exec_lo, exec_lo, s15
.LBB178_770:                            ;   in Loop: Header=BB178_415 Depth=1
	s_or_b32 exec_lo, exec_lo, s14
.LBB178_771:                            ;   in Loop: Header=BB178_415 Depth=1
	s_or_b32 exec_lo, exec_lo, s13
	v_mov_b32_e32 v23, 0
	v_mov_b32_e32 v21, 0
	v_and_b32_sdwa v5, v92, v44 dst_sel:DWORD dst_unused:UNUSED_PAD src0_sel:WORD_1 src1_sel:DWORD
	v_mov_b32_e32 v24, 0
	v_mov_b32_e32 v22, 0
	s_mov_b32 s13, exec_lo
	v_cmpx_ne_u16_e32 0, v5
	s_cbranch_execz .LBB178_779
; %bb.772:                              ;   in Loop: Header=BB178_415 Depth=1
	v_bfrev_b32_e32 v21, 1
	v_mov_b32_e32 v22, 0
	s_mov_b32 s14, exec_lo
	v_cmpx_ne_u16_e32 0x80, v5
	s_cbranch_execz .LBB178_778
; %bb.773:                              ;   in Loop: Header=BB178_415 Depth=1
	v_mov_b32_e32 v21, 0x7f800001
	v_bfe_u32 v13, v92, 16, 7
	v_mov_b32_e32 v22, 0
	s_mov_b32 s15, exec_lo
	v_cmpx_ne_u32_e32 0x7f, v13
	s_cbranch_execz .LBB178_777
; %bb.774:                              ;   in Loop: Header=BB178_415 Depth=1
	v_and_b32_sdwa v5, v92, v45 dst_sel:DWORD dst_unused:UNUSED_PAD src0_sel:WORD_1 src1_sel:DWORD
	v_lshrrev_b32_e32 v11, 3, v13
	s_mov_b32 s16, exec_lo
	v_cmpx_gt_u32_e32 8, v13
; %bb.775:                              ;   in Loop: Header=BB178_415 Depth=1
	v_ffbh_u32_e32 v11, v5
	v_min_u32_e32 v11, 32, v11
	v_subrev_nc_u32_e32 v13, 28, v11
	v_sub_nc_u32_e32 v11, 29, v11
	v_lshlrev_b64 v[21:22], v13, v[5:6]
	v_and_b32_e32 v5, 7, v21
; %bb.776:                              ;   in Loop: Header=BB178_415 Depth=1
	s_or_b32 exec_lo, exec_lo, s16
	v_lshlrev_b32_sdwa v13, v46, v92 dst_sel:DWORD dst_unused:UNUSED_PAD src0_sel:DWORD src1_sel:WORD_1
	v_lshlrev_b32_e32 v5, 20, v5
	v_lshl_add_u32 v11, v11, 23, 0x3c000000
	v_and_b32_e32 v13, 0x80000000, v13
	v_or3_b32 v5, v5, v13, v11
	v_mov_b32_e32 v22, v6
	v_mov_b32_e32 v21, v5
.LBB178_777:                            ;   in Loop: Header=BB178_415 Depth=1
	s_or_b32 exec_lo, exec_lo, s15
.LBB178_778:                            ;   in Loop: Header=BB178_415 Depth=1
	s_or_b32 exec_lo, exec_lo, s14
.LBB178_779:                            ;   in Loop: Header=BB178_415 Depth=1
	s_or_b32 exec_lo, exec_lo, s13
	s_mov_b32 s13, exec_lo
	v_cmpx_lt_u32_e32 0xffffff, v92
	s_cbranch_execz .LBB178_787
; %bb.780:                              ;   in Loop: Header=BB178_415 Depth=1
	v_mov_b32_e32 v11, v6
	v_mov_b32_e32 v24, v12
	v_cmp_ne_u32_sdwa s0, v92, v42 src0_sel:BYTE_3 src1_sel:DWORD
	v_mov_b32_e32 v23, v11
	s_and_saveexec_b32 s14, s0
	s_cbranch_execz .LBB178_786
; %bb.781:                              ;   in Loop: Header=BB178_415 Depth=1
	v_mov_b32_e32 v13, v6
	v_mov_b32_e32 v24, v14
	v_bfe_u32 v93, v92, 24, 7
	s_mov_b32 s15, exec_lo
	v_mov_b32_e32 v23, v13
	v_cmpx_ne_u32_e32 0x7f, v93
	s_cbranch_execz .LBB178_785
; %bb.782:                              ;   in Loop: Header=BB178_415 Depth=1
	v_and_b32_sdwa v5, v92, v45 dst_sel:DWORD dst_unused:UNUSED_PAD src0_sel:BYTE_3 src1_sel:DWORD
	v_lshrrev_b32_e32 v11, 3, v93
	s_mov_b32 s16, exec_lo
	v_cmpx_gt_u32_e32 8, v93
; %bb.783:                              ;   in Loop: Header=BB178_415 Depth=1
	v_ffbh_u32_e32 v11, v5
	v_min_u32_e32 v11, 32, v11
	v_subrev_nc_u32_e32 v13, 28, v11
	v_sub_nc_u32_e32 v11, 29, v11
	v_lshlrev_b64 v[23:24], v13, v[5:6]
	v_and_b32_e32 v5, 7, v23
; %bb.784:                              ;   in Loop: Header=BB178_415 Depth=1
	s_or_b32 exec_lo, exec_lo, s16
	v_lshlrev_b32_sdwa v13, v46, v92 dst_sel:DWORD dst_unused:UNUSED_PAD src0_sel:DWORD src1_sel:BYTE_3
	v_lshlrev_b32_e32 v5, 20, v5
	v_lshl_add_u32 v11, v11, 23, 0x3c000000
	v_mov_b32_e32 v23, v6
	v_and_b32_e32 v13, 0x80000000, v13
	v_or3_b32 v24, v5, v13, v11
.LBB178_785:                            ;   in Loop: Header=BB178_415 Depth=1
	s_or_b32 exec_lo, exec_lo, s15
.LBB178_786:                            ;   in Loop: Header=BB178_415 Depth=1
	s_or_b32 exec_lo, exec_lo, s14
.LBB178_787:                            ;   in Loop: Header=BB178_415 Depth=1
	s_or_b32 exec_lo, exec_lo, s13
	v_or_b32_e32 v5, v20, v18
	v_or_b32_e32 v11, v19, v17
	;; [unrolled: 1-line block ×4, first 2 shown]
	v_mul_f32_e32 v92, s12, v5
	v_mul_f32_e32 v93, s2, v11
	;; [unrolled: 1-line block ×4, first 2 shown]
	s_and_saveexec_b32 s13, vcc_lo
	s_cbranch_execz .LBB178_789
; %bb.788:                              ;   in Loop: Header=BB178_415 Depth=1
	v_cmp_gt_i32_e64 s0, s28, v52
	v_cndmask_b32_e64 v93, 0, v93, s0
	v_cmp_gt_i32_e64 s0, s28, v54
	v_cndmask_b32_e64 v92, 0, v92, s0
	;; [unrolled: 2-line block ×4, first 2 shown]
.LBB178_789:                            ;   in Loop: Header=BB178_415 Depth=1
	s_or_b32 exec_lo, exec_lo, s13
	global_load_dword v94, v[15:16], off offset:1408
	v_mov_b32_e32 v17, 0
	v_mov_b32_e32 v15, 0
	;; [unrolled: 1-line block ×4, first 2 shown]
	s_waitcnt vmcnt(0)
	v_cmp_ne_u16_sdwa s0, v94, v6 src0_sel:BYTE_0 src1_sel:DWORD
	s_and_saveexec_b32 s13, s0
	s_cbranch_execz .LBB178_797
; %bb.790:                              ;   in Loop: Header=BB178_415 Depth=1
	v_bfrev_b32_e32 v15, 1
	v_mov_b32_e32 v16, 0
	v_cmp_ne_u16_sdwa s0, v94, v42 src0_sel:BYTE_0 src1_sel:DWORD
	s_and_saveexec_b32 s14, s0
	s_cbranch_execz .LBB178_796
; %bb.791:                              ;   in Loop: Header=BB178_415 Depth=1
	v_mov_b32_e32 v15, 0x7f800001
	v_and_b32_e32 v13, 0x7f, v94
	v_mov_b32_e32 v16, 0
	s_mov_b32 s15, exec_lo
	v_cmpx_ne_u32_e32 0x7f, v13
	s_cbranch_execz .LBB178_795
; %bb.792:                              ;   in Loop: Header=BB178_415 Depth=1
	v_and_b32_e32 v5, 7, v94
	v_lshrrev_b32_e32 v11, 3, v13
	s_mov_b32 s16, exec_lo
	v_cmpx_gt_u32_e32 8, v13
; %bb.793:                              ;   in Loop: Header=BB178_415 Depth=1
	v_ffbh_u32_e32 v11, v5
	v_min_u32_e32 v11, 32, v11
	v_subrev_nc_u32_e32 v13, 28, v11
	v_sub_nc_u32_e32 v11, 29, v11
	v_lshlrev_b64 v[15:16], v13, v[5:6]
	v_and_b32_e32 v5, 7, v15
; %bb.794:                              ;   in Loop: Header=BB178_415 Depth=1
	s_or_b32 exec_lo, exec_lo, s16
	v_lshlrev_b32_e32 v13, 24, v94
	v_lshlrev_b32_e32 v5, 20, v5
	v_lshl_add_u32 v11, v11, 23, 0x3c000000
	v_and_b32_e32 v13, 0x80000000, v13
	v_or3_b32 v5, v5, v13, v11
	v_mov_b32_e32 v16, v6
	v_mov_b32_e32 v15, v5
.LBB178_795:                            ;   in Loop: Header=BB178_415 Depth=1
	s_or_b32 exec_lo, exec_lo, s15
.LBB178_796:                            ;   in Loop: Header=BB178_415 Depth=1
	s_or_b32 exec_lo, exec_lo, s14
.LBB178_797:                            ;   in Loop: Header=BB178_415 Depth=1
	s_or_b32 exec_lo, exec_lo, s13
	v_cmp_ne_u16_sdwa s0, v94, v6 src0_sel:BYTE_1 src1_sel:DWORD
	s_and_saveexec_b32 s13, s0
	s_cbranch_execz .LBB178_805
; %bb.798:                              ;   in Loop: Header=BB178_415 Depth=1
	v_mov_b32_e32 v11, v6
	v_mov_b32_e32 v18, v12
	v_cmp_ne_u16_sdwa s0, v94, v42 src0_sel:BYTE_1 src1_sel:DWORD
	v_mov_b32_e32 v17, v11
	s_and_saveexec_b32 s14, s0
	s_cbranch_execz .LBB178_804
; %bb.799:                              ;   in Loop: Header=BB178_415 Depth=1
	v_and_b32_sdwa v5, v43, v94 dst_sel:DWORD dst_unused:UNUSED_PAD src0_sel:DWORD src1_sel:BYTE_1
	v_mov_b32_e32 v13, v6
	v_mov_b32_e32 v18, v14
	s_mov_b32 s15, exec_lo
	v_and_b32_e32 v19, 0x7f, v5
	v_mov_b32_e32 v17, v13
	v_cmpx_ne_u32_e32 0x7f, v19
	s_cbranch_execz .LBB178_803
; %bb.800:                              ;   in Loop: Header=BB178_415 Depth=1
	v_and_b32_e32 v5, 7, v5
	v_lshrrev_b32_e32 v11, 3, v19
	s_mov_b32 s16, exec_lo
	v_cmpx_gt_u32_e32 8, v19
; %bb.801:                              ;   in Loop: Header=BB178_415 Depth=1
	v_ffbh_u32_e32 v11, v5
	v_min_u32_e32 v11, 32, v11
	v_subrev_nc_u32_e32 v13, 28, v11
	v_sub_nc_u32_e32 v11, 29, v11
	v_lshlrev_b64 v[17:18], v13, v[5:6]
	v_and_b32_e32 v5, 7, v17
; %bb.802:                              ;   in Loop: Header=BB178_415 Depth=1
	s_or_b32 exec_lo, exec_lo, s16
	v_lshlrev_b32_e32 v13, 16, v94
	v_lshlrev_b32_e32 v5, 20, v5
	v_lshl_add_u32 v11, v11, 23, 0x3c000000
	v_mov_b32_e32 v17, v6
	v_and_b32_e32 v13, 0x80000000, v13
	v_or3_b32 v18, v5, v13, v11
.LBB178_803:                            ;   in Loop: Header=BB178_415 Depth=1
	s_or_b32 exec_lo, exec_lo, s15
.LBB178_804:                            ;   in Loop: Header=BB178_415 Depth=1
	s_or_b32 exec_lo, exec_lo, s14
.LBB178_805:                            ;   in Loop: Header=BB178_415 Depth=1
	s_or_b32 exec_lo, exec_lo, s13
	v_mov_b32_e32 v21, 0
	v_mov_b32_e32 v19, 0
	v_and_b32_sdwa v5, v94, v44 dst_sel:DWORD dst_unused:UNUSED_PAD src0_sel:WORD_1 src1_sel:DWORD
	v_mov_b32_e32 v22, 0
	v_mov_b32_e32 v20, 0
	s_mov_b32 s13, exec_lo
	v_cmpx_ne_u16_e32 0, v5
	s_cbranch_execz .LBB178_813
; %bb.806:                              ;   in Loop: Header=BB178_415 Depth=1
	v_bfrev_b32_e32 v19, 1
	v_mov_b32_e32 v20, 0
	s_mov_b32 s14, exec_lo
	v_cmpx_ne_u16_e32 0x80, v5
	s_cbranch_execz .LBB178_812
; %bb.807:                              ;   in Loop: Header=BB178_415 Depth=1
	v_mov_b32_e32 v19, 0x7f800001
	v_bfe_u32 v13, v94, 16, 7
	v_mov_b32_e32 v20, 0
	s_mov_b32 s15, exec_lo
	v_cmpx_ne_u32_e32 0x7f, v13
	s_cbranch_execz .LBB178_811
; %bb.808:                              ;   in Loop: Header=BB178_415 Depth=1
	v_and_b32_sdwa v5, v94, v45 dst_sel:DWORD dst_unused:UNUSED_PAD src0_sel:WORD_1 src1_sel:DWORD
	v_lshrrev_b32_e32 v11, 3, v13
	s_mov_b32 s16, exec_lo
	v_cmpx_gt_u32_e32 8, v13
; %bb.809:                              ;   in Loop: Header=BB178_415 Depth=1
	v_ffbh_u32_e32 v11, v5
	v_min_u32_e32 v11, 32, v11
	v_subrev_nc_u32_e32 v13, 28, v11
	v_sub_nc_u32_e32 v11, 29, v11
	v_lshlrev_b64 v[19:20], v13, v[5:6]
	v_and_b32_e32 v5, 7, v19
; %bb.810:                              ;   in Loop: Header=BB178_415 Depth=1
	s_or_b32 exec_lo, exec_lo, s16
	v_lshlrev_b32_sdwa v13, v46, v94 dst_sel:DWORD dst_unused:UNUSED_PAD src0_sel:DWORD src1_sel:WORD_1
	v_lshlrev_b32_e32 v5, 20, v5
	v_lshl_add_u32 v11, v11, 23, 0x3c000000
	v_and_b32_e32 v13, 0x80000000, v13
	v_or3_b32 v5, v5, v13, v11
	v_mov_b32_e32 v20, v6
	v_mov_b32_e32 v19, v5
.LBB178_811:                            ;   in Loop: Header=BB178_415 Depth=1
	s_or_b32 exec_lo, exec_lo, s15
.LBB178_812:                            ;   in Loop: Header=BB178_415 Depth=1
	s_or_b32 exec_lo, exec_lo, s14
.LBB178_813:                            ;   in Loop: Header=BB178_415 Depth=1
	s_or_b32 exec_lo, exec_lo, s13
	s_mov_b32 s13, exec_lo
	v_cmpx_lt_u32_e32 0xffffff, v94
	s_cbranch_execz .LBB178_821
; %bb.814:                              ;   in Loop: Header=BB178_415 Depth=1
	v_mov_b32_e32 v11, v6
	v_mov_b32_e32 v22, v12
	v_cmp_ne_u32_sdwa s0, v94, v42 src0_sel:BYTE_3 src1_sel:DWORD
	v_mov_b32_e32 v21, v11
	s_and_saveexec_b32 s14, s0
	s_cbranch_execz .LBB178_820
; %bb.815:                              ;   in Loop: Header=BB178_415 Depth=1
	v_mov_b32_e32 v13, v6
	v_mov_b32_e32 v22, v14
	v_bfe_u32 v95, v94, 24, 7
	s_mov_b32 s15, exec_lo
	v_mov_b32_e32 v21, v13
	v_cmpx_ne_u32_e32 0x7f, v95
	s_cbranch_execz .LBB178_819
; %bb.816:                              ;   in Loop: Header=BB178_415 Depth=1
	v_and_b32_sdwa v5, v94, v45 dst_sel:DWORD dst_unused:UNUSED_PAD src0_sel:BYTE_3 src1_sel:DWORD
	v_lshrrev_b32_e32 v11, 3, v95
	s_mov_b32 s16, exec_lo
	v_cmpx_gt_u32_e32 8, v95
; %bb.817:                              ;   in Loop: Header=BB178_415 Depth=1
	v_ffbh_u32_e32 v11, v5
	v_min_u32_e32 v11, 32, v11
	v_subrev_nc_u32_e32 v13, 28, v11
	v_sub_nc_u32_e32 v11, 29, v11
	v_lshlrev_b64 v[21:22], v13, v[5:6]
	v_and_b32_e32 v5, 7, v21
; %bb.818:                              ;   in Loop: Header=BB178_415 Depth=1
	s_or_b32 exec_lo, exec_lo, s16
	v_lshlrev_b32_sdwa v13, v46, v94 dst_sel:DWORD dst_unused:UNUSED_PAD src0_sel:DWORD src1_sel:BYTE_3
	v_lshlrev_b32_e32 v5, 20, v5
	v_lshl_add_u32 v11, v11, 23, 0x3c000000
	v_mov_b32_e32 v21, v6
	v_and_b32_e32 v13, 0x80000000, v13
	v_or3_b32 v22, v5, v13, v11
.LBB178_819:                            ;   in Loop: Header=BB178_415 Depth=1
	s_or_b32 exec_lo, exec_lo, s15
.LBB178_820:                            ;   in Loop: Header=BB178_415 Depth=1
	s_or_b32 exec_lo, exec_lo, s14
.LBB178_821:                            ;   in Loop: Header=BB178_415 Depth=1
	s_or_b32 exec_lo, exec_lo, s13
	v_or_b32_e32 v5, v18, v16
	v_or_b32_e32 v11, v17, v15
	;; [unrolled: 1-line block ×4, first 2 shown]
	v_mul_f32_e32 v13, s12, v5
	v_mul_f32_e32 v15, s2, v11
	;; [unrolled: 1-line block ×4, first 2 shown]
	s_and_saveexec_b32 s0, vcc_lo
	s_cbranch_execz .LBB178_414
; %bb.822:                              ;   in Loop: Header=BB178_415 Depth=1
	v_cmp_gt_i32_e32 vcc_lo, s28, v52
	v_cndmask_b32_e32 v15, 0, v15, vcc_lo
	v_cmp_gt_i32_e32 vcc_lo, s28, v54
	v_cndmask_b32_e32 v13, 0, v13, vcc_lo
	;; [unrolled: 2-line block ×4, first 2 shown]
	s_branch .LBB178_414
.LBB178_823:
	s_or_b32 exec_lo, exec_lo, s5
.LBB178_824:
	s_or_b32 exec_lo, exec_lo, s1
	ds_bpermute_b32 v1, v26, v37
	ds_bpermute_b32 v2, v26, v39
	;; [unrolled: 1-line block ×12, first 2 shown]
	v_lshrrev_b32_e32 v13, 1, v25
	v_and_b32_e32 v16, 0x3c1, v0
	v_mul_u32_u24_e32 v15, 0x300, v57
	s_mov_b32 s0, exec_lo
	s_waitcnt lgkmcnt(0)
	v_lshl_add_u32 v14, v13, 2, 0x320
	s_barrier
	buffer_gl0_inv
	v_add_f32_e32 v1, v37, v1
	v_add_f32_e32 v2, v39, v2
	;; [unrolled: 1-line block ×12, first 2 shown]
	v_cmpx_eq_u32_e32 64, v16
	s_cbranch_execz .LBB178_826
; %bb.825:
	v_add_nc_u32_e32 v16, v14, v15
	v_add_nc_u32_e32 v17, 0xfffffa00, v16
	;; [unrolled: 1-line block ×8, first 2 shown]
	ds_write_b32 v17, v1
	ds_write_b32 v18, v2
	;; [unrolled: 1-line block ×7, first 2 shown]
	v_add_nc_u32_e32 v17, 0xfffffbc0, v16
	v_add_nc_u32_e32 v18, 0xfffffc00, v16
	;; [unrolled: 1-line block ×5, first 2 shown]
	ds_write_b32 v17, v8
	ds_write_b32 v18, v9
	;; [unrolled: 1-line block ×5, first 2 shown]
.LBB178_826:
	s_or_b32 exec_lo, exec_lo, s0
	v_lshlrev_b32_e32 v13, 2, v13
	s_mov_b32 s1, exec_lo
	v_cmp_eq_u32_e32 vcc_lo, 0, v27
	s_waitcnt lgkmcnt(0)
	s_barrier
	v_add3_u32 v13, 0x320, v15, v13
	buffer_gl0_inv
	v_cmpx_gt_u32_e32 64, v0
	s_cbranch_execz .LBB178_841
; %bb.827:
	s_and_saveexec_b32 s0, vcc_lo
	s_cbranch_execnz .LBB178_861
; %bb.828:
	s_or_b32 exec_lo, exec_lo, s0
	s_and_saveexec_b32 s0, vcc_lo
	s_cbranch_execnz .LBB178_862
.LBB178_829:
	s_or_b32 exec_lo, exec_lo, s0
	s_and_saveexec_b32 s0, vcc_lo
	s_cbranch_execnz .LBB178_863
.LBB178_830:
	s_or_b32 exec_lo, exec_lo, s0
	s_and_saveexec_b32 s0, vcc_lo
	s_cbranch_execnz .LBB178_864
.LBB178_831:
	s_or_b32 exec_lo, exec_lo, s0
	s_and_saveexec_b32 s0, vcc_lo
	s_cbranch_execnz .LBB178_865
.LBB178_832:
	s_or_b32 exec_lo, exec_lo, s0
	s_and_saveexec_b32 s0, vcc_lo
	s_cbranch_execnz .LBB178_866
.LBB178_833:
	s_or_b32 exec_lo, exec_lo, s0
	s_and_saveexec_b32 s0, vcc_lo
	s_cbranch_execnz .LBB178_867
.LBB178_834:
	s_or_b32 exec_lo, exec_lo, s0
	s_and_saveexec_b32 s0, vcc_lo
	s_cbranch_execnz .LBB178_868
.LBB178_835:
	s_or_b32 exec_lo, exec_lo, s0
	s_and_saveexec_b32 s0, vcc_lo
	s_cbranch_execnz .LBB178_869
.LBB178_836:
	s_or_b32 exec_lo, exec_lo, s0
	s_and_saveexec_b32 s0, vcc_lo
	s_cbranch_execnz .LBB178_870
.LBB178_837:
	s_or_b32 exec_lo, exec_lo, s0
	s_and_saveexec_b32 s0, vcc_lo
	s_cbranch_execnz .LBB178_871
.LBB178_838:
	s_or_b32 exec_lo, exec_lo, s0
	s_and_saveexec_b32 s0, vcc_lo
	s_cbranch_execz .LBB178_840
.LBB178_839:
	ds_read_b32 v15, v13 offset:704
	s_waitcnt lgkmcnt(0)
	v_add_f32_e32 v12, v12, v15
.LBB178_840:
	s_or_b32 exec_lo, exec_lo, s0
.LBB178_841:
	s_or_b32 exec_lo, exec_lo, s1
	v_and_b32_e32 v15, 0x3e1, v0
	s_mov_b32 s1, exec_lo
	s_barrier
	buffer_gl0_inv
	v_cmpx_eq_u32_e32 32, v15
	s_cbranch_execz .LBB178_843
; %bb.842:
	ds_write2_b32 v14, v1, v2 offset1:16
	ds_write2_b32 v14, v3, v4 offset0:32 offset1:48
	ds_write2_b32 v14, v5, v6 offset0:64 offset1:80
	;; [unrolled: 1-line block ×5, first 2 shown]
.LBB178_843:
	s_or_b32 exec_lo, exec_lo, s1
	s_mov_b32 s1, exec_lo
	s_waitcnt lgkmcnt(0)
	s_barrier
	buffer_gl0_inv
	v_cmpx_gt_u32_e32 32, v0
	s_cbranch_execz .LBB178_858
; %bb.844:
	s_and_saveexec_b32 s0, vcc_lo
	s_cbranch_execnz .LBB178_872
; %bb.845:
	s_or_b32 exec_lo, exec_lo, s0
	s_and_saveexec_b32 s0, vcc_lo
	s_cbranch_execnz .LBB178_873
.LBB178_846:
	s_or_b32 exec_lo, exec_lo, s0
	s_and_saveexec_b32 s0, vcc_lo
	s_cbranch_execnz .LBB178_874
.LBB178_847:
	s_or_b32 exec_lo, exec_lo, s0
	s_and_saveexec_b32 s0, vcc_lo
	s_cbranch_execnz .LBB178_875
.LBB178_848:
	s_or_b32 exec_lo, exec_lo, s0
	s_and_saveexec_b32 s0, vcc_lo
	s_cbranch_execnz .LBB178_876
.LBB178_849:
	s_or_b32 exec_lo, exec_lo, s0
	s_and_saveexec_b32 s0, vcc_lo
	s_cbranch_execnz .LBB178_877
.LBB178_850:
	s_or_b32 exec_lo, exec_lo, s0
	s_and_saveexec_b32 s0, vcc_lo
	s_cbranch_execnz .LBB178_878
.LBB178_851:
	s_or_b32 exec_lo, exec_lo, s0
	s_and_saveexec_b32 s0, vcc_lo
	s_cbranch_execnz .LBB178_879
.LBB178_852:
	s_or_b32 exec_lo, exec_lo, s0
	s_and_saveexec_b32 s0, vcc_lo
	s_cbranch_execnz .LBB178_880
.LBB178_853:
	s_or_b32 exec_lo, exec_lo, s0
	s_and_saveexec_b32 s0, vcc_lo
	s_cbranch_execnz .LBB178_881
.LBB178_854:
	s_or_b32 exec_lo, exec_lo, s0
	s_and_saveexec_b32 s0, vcc_lo
	s_cbranch_execnz .LBB178_882
.LBB178_855:
	s_or_b32 exec_lo, exec_lo, s0
	s_and_saveexec_b32 s0, vcc_lo
	s_cbranch_execz .LBB178_857
.LBB178_856:
	ds_read_b32 v13, v13 offset:704
	s_waitcnt lgkmcnt(0)
	v_add_f32_e32 v12, v12, v13
.LBB178_857:
	s_or_b32 exec_lo, exec_lo, s0
.LBB178_858:
	s_or_b32 exec_lo, exec_lo, s1
	s_barrier
	buffer_gl0_inv
	s_mov_b32 s0, exec_lo
	v_cmpx_eq_u32_e32 0, v15
	s_cbranch_execz .LBB178_860
; %bb.859:
	s_mul_i32 s0, s10, s11
	s_mul_i32 s2, s11, s6
	;; [unrolled: 1-line block ×3, first 2 shown]
	v_lshlrev_b32_e32 v0, 1, v0
	s_mulk_i32 s0, 0xc0
	s_ashr_i32 s1, s0, 31
	s_lshl_b64 s[0:1], s[0:1], 2
	s_add_u32 s4, s20, s0
	s_addc_u32 s5, s21, s1
	s_ashr_i32 s3, s2, 31
	s_lshl_b64 s[0:1], s[2:3], 2
	s_mul_i32 s2, s8, 0xc0
	s_add_u32 s4, s4, s0
	s_addc_u32 s5, s5, s1
	s_ashr_i32 s3, s2, 31
	s_lshl_b64 s[0:1], s[2:3], 2
	s_add_u32 s0, s4, s0
	s_addc_u32 s1, s5, s1
	global_store_dword v0, v1, s[0:1]
	global_store_dword v0, v2, s[0:1] offset:64
	global_store_dword v0, v3, s[0:1] offset:128
	;; [unrolled: 1-line block ×11, first 2 shown]
.LBB178_860:
	s_endpgm
.LBB178_861:
	ds_read_b32 v15, v13
	s_waitcnt lgkmcnt(0)
	v_add_f32_e32 v1, v1, v15
	s_or_b32 exec_lo, exec_lo, s0
	s_and_saveexec_b32 s0, vcc_lo
	s_cbranch_execz .LBB178_829
.LBB178_862:
	ds_read_b32 v15, v13 offset:64
	s_waitcnt lgkmcnt(0)
	v_add_f32_e32 v2, v2, v15
	s_or_b32 exec_lo, exec_lo, s0
	s_and_saveexec_b32 s0, vcc_lo
	s_cbranch_execz .LBB178_830
.LBB178_863:
	ds_read_b32 v15, v13 offset:128
	s_waitcnt lgkmcnt(0)
	v_add_f32_e32 v3, v3, v15
	s_or_b32 exec_lo, exec_lo, s0
	s_and_saveexec_b32 s0, vcc_lo
	s_cbranch_execz .LBB178_831
.LBB178_864:
	ds_read_b32 v15, v13 offset:192
	s_waitcnt lgkmcnt(0)
	v_add_f32_e32 v4, v4, v15
	s_or_b32 exec_lo, exec_lo, s0
	s_and_saveexec_b32 s0, vcc_lo
	s_cbranch_execz .LBB178_832
.LBB178_865:
	ds_read_b32 v15, v13 offset:256
	s_waitcnt lgkmcnt(0)
	v_add_f32_e32 v5, v5, v15
	s_or_b32 exec_lo, exec_lo, s0
	s_and_saveexec_b32 s0, vcc_lo
	s_cbranch_execz .LBB178_833
.LBB178_866:
	ds_read_b32 v15, v13 offset:320
	s_waitcnt lgkmcnt(0)
	v_add_f32_e32 v6, v6, v15
	s_or_b32 exec_lo, exec_lo, s0
	s_and_saveexec_b32 s0, vcc_lo
	s_cbranch_execz .LBB178_834
.LBB178_867:
	ds_read_b32 v15, v13 offset:384
	s_waitcnt lgkmcnt(0)
	v_add_f32_e32 v7, v7, v15
	s_or_b32 exec_lo, exec_lo, s0
	s_and_saveexec_b32 s0, vcc_lo
	s_cbranch_execz .LBB178_835
.LBB178_868:
	ds_read_b32 v15, v13 offset:448
	s_waitcnt lgkmcnt(0)
	v_add_f32_e32 v8, v8, v15
	s_or_b32 exec_lo, exec_lo, s0
	s_and_saveexec_b32 s0, vcc_lo
	s_cbranch_execz .LBB178_836
.LBB178_869:
	ds_read_b32 v15, v13 offset:512
	s_waitcnt lgkmcnt(0)
	v_add_f32_e32 v9, v9, v15
	s_or_b32 exec_lo, exec_lo, s0
	s_and_saveexec_b32 s0, vcc_lo
	s_cbranch_execz .LBB178_837
.LBB178_870:
	ds_read_b32 v15, v13 offset:576
	s_waitcnt lgkmcnt(0)
	v_add_f32_e32 v10, v10, v15
	s_or_b32 exec_lo, exec_lo, s0
	s_and_saveexec_b32 s0, vcc_lo
	s_cbranch_execz .LBB178_838
.LBB178_871:
	ds_read_b32 v15, v13 offset:640
	s_waitcnt lgkmcnt(0)
	v_add_f32_e32 v11, v11, v15
	s_or_b32 exec_lo, exec_lo, s0
	s_and_saveexec_b32 s0, vcc_lo
	s_cbranch_execnz .LBB178_839
	s_branch .LBB178_840
.LBB178_872:
	ds_read_b32 v14, v13
	s_waitcnt lgkmcnt(0)
	v_add_f32_e32 v1, v1, v14
	s_or_b32 exec_lo, exec_lo, s0
	s_and_saveexec_b32 s0, vcc_lo
	s_cbranch_execz .LBB178_846
.LBB178_873:
	ds_read_b32 v14, v13 offset:64
	s_waitcnt lgkmcnt(0)
	v_add_f32_e32 v2, v2, v14
	s_or_b32 exec_lo, exec_lo, s0
	s_and_saveexec_b32 s0, vcc_lo
	s_cbranch_execz .LBB178_847
.LBB178_874:
	ds_read_b32 v14, v13 offset:128
	s_waitcnt lgkmcnt(0)
	v_add_f32_e32 v3, v3, v14
	s_or_b32 exec_lo, exec_lo, s0
	s_and_saveexec_b32 s0, vcc_lo
	s_cbranch_execz .LBB178_848
.LBB178_875:
	ds_read_b32 v14, v13 offset:192
	s_waitcnt lgkmcnt(0)
	v_add_f32_e32 v4, v4, v14
	s_or_b32 exec_lo, exec_lo, s0
	s_and_saveexec_b32 s0, vcc_lo
	s_cbranch_execz .LBB178_849
.LBB178_876:
	ds_read_b32 v14, v13 offset:256
	s_waitcnt lgkmcnt(0)
	v_add_f32_e32 v5, v5, v14
	s_or_b32 exec_lo, exec_lo, s0
	s_and_saveexec_b32 s0, vcc_lo
	s_cbranch_execz .LBB178_850
.LBB178_877:
	ds_read_b32 v14, v13 offset:320
	s_waitcnt lgkmcnt(0)
	v_add_f32_e32 v6, v6, v14
	s_or_b32 exec_lo, exec_lo, s0
	s_and_saveexec_b32 s0, vcc_lo
	s_cbranch_execz .LBB178_851
.LBB178_878:
	ds_read_b32 v14, v13 offset:384
	s_waitcnt lgkmcnt(0)
	v_add_f32_e32 v7, v7, v14
	s_or_b32 exec_lo, exec_lo, s0
	s_and_saveexec_b32 s0, vcc_lo
	s_cbranch_execz .LBB178_852
.LBB178_879:
	ds_read_b32 v14, v13 offset:448
	s_waitcnt lgkmcnt(0)
	v_add_f32_e32 v8, v8, v14
	s_or_b32 exec_lo, exec_lo, s0
	s_and_saveexec_b32 s0, vcc_lo
	s_cbranch_execz .LBB178_853
.LBB178_880:
	ds_read_b32 v14, v13 offset:512
	s_waitcnt lgkmcnt(0)
	v_add_f32_e32 v9, v9, v14
	s_or_b32 exec_lo, exec_lo, s0
	s_and_saveexec_b32 s0, vcc_lo
	s_cbranch_execz .LBB178_854
.LBB178_881:
	ds_read_b32 v14, v13 offset:576
	s_waitcnt lgkmcnt(0)
	v_add_f32_e32 v10, v10, v14
	s_or_b32 exec_lo, exec_lo, s0
	s_and_saveexec_b32 s0, vcc_lo
	s_cbranch_execz .LBB178_855
.LBB178_882:
	ds_read_b32 v14, v13 offset:640
	s_waitcnt lgkmcnt(0)
	v_add_f32_e32 v11, v11, v14
	s_or_b32 exec_lo, exec_lo, s0
	s_and_saveexec_b32 s0, vcc_lo
	s_cbranch_execnz .LBB178_856
	s_branch .LBB178_857
	.section	.rodata,"a",@progbits
	.p2align	6, 0x0
	.amdhsa_kernel _ZN4vllm25paged_attention_v1_kernelIfhLi192ELi8ELi128ELNS_18Fp8KVCacheDataTypeE1ELb0EEEvPT_PKS2_PKT0_S8_ifPKiSA_iPKfiiiSC_SC_iiiii
		.amdhsa_group_segment_fixed_size 800
		.amdhsa_private_segment_fixed_size 0
		.amdhsa_kernarg_size 384
		.amdhsa_user_sgpr_count 6
		.amdhsa_user_sgpr_private_segment_buffer 1
		.amdhsa_user_sgpr_dispatch_ptr 0
		.amdhsa_user_sgpr_queue_ptr 0
		.amdhsa_user_sgpr_kernarg_segment_ptr 1
		.amdhsa_user_sgpr_dispatch_id 0
		.amdhsa_user_sgpr_flat_scratch_init 0
		.amdhsa_user_sgpr_private_segment_size 0
		.amdhsa_wavefront_size32 1
		.amdhsa_uses_dynamic_stack 0
		.amdhsa_system_sgpr_private_segment_wavefront_offset 0
		.amdhsa_system_sgpr_workgroup_id_x 1
		.amdhsa_system_sgpr_workgroup_id_y 1
		.amdhsa_system_sgpr_workgroup_id_z 1
		.amdhsa_system_sgpr_workgroup_info 0
		.amdhsa_system_vgpr_workitem_id 0
		.amdhsa_next_free_vgpr 121
		.amdhsa_next_free_sgpr 34
		.amdhsa_reserve_vcc 1
		.amdhsa_reserve_flat_scratch 0
		.amdhsa_float_round_mode_32 0
		.amdhsa_float_round_mode_16_64 0
		.amdhsa_float_denorm_mode_32 3
		.amdhsa_float_denorm_mode_16_64 3
		.amdhsa_dx10_clamp 1
		.amdhsa_ieee_mode 1
		.amdhsa_fp16_overflow 0
		.amdhsa_workgroup_processor_mode 1
		.amdhsa_memory_ordered 1
		.amdhsa_forward_progress 1
		.amdhsa_shared_vgpr_count 0
		.amdhsa_exception_fp_ieee_invalid_op 0
		.amdhsa_exception_fp_denorm_src 0
		.amdhsa_exception_fp_ieee_div_zero 0
		.amdhsa_exception_fp_ieee_overflow 0
		.amdhsa_exception_fp_ieee_underflow 0
		.amdhsa_exception_fp_ieee_inexact 0
		.amdhsa_exception_int_div_zero 0
	.end_amdhsa_kernel
	.section	.text._ZN4vllm25paged_attention_v1_kernelIfhLi192ELi8ELi128ELNS_18Fp8KVCacheDataTypeE1ELb0EEEvPT_PKS2_PKT0_S8_ifPKiSA_iPKfiiiSC_SC_iiiii,"axG",@progbits,_ZN4vllm25paged_attention_v1_kernelIfhLi192ELi8ELi128ELNS_18Fp8KVCacheDataTypeE1ELb0EEEvPT_PKS2_PKT0_S8_ifPKiSA_iPKfiiiSC_SC_iiiii,comdat
.Lfunc_end178:
	.size	_ZN4vllm25paged_attention_v1_kernelIfhLi192ELi8ELi128ELNS_18Fp8KVCacheDataTypeE1ELb0EEEvPT_PKS2_PKT0_S8_ifPKiSA_iPKfiiiSC_SC_iiiii, .Lfunc_end178-_ZN4vllm25paged_attention_v1_kernelIfhLi192ELi8ELi128ELNS_18Fp8KVCacheDataTypeE1ELb0EEEvPT_PKS2_PKT0_S8_ifPKiSA_iPKfiiiSC_SC_iiiii
                                        ; -- End function
	.set _ZN4vllm25paged_attention_v1_kernelIfhLi192ELi8ELi128ELNS_18Fp8KVCacheDataTypeE1ELb0EEEvPT_PKS2_PKT0_S8_ifPKiSA_iPKfiiiSC_SC_iiiii.num_vgpr, 121
	.set _ZN4vllm25paged_attention_v1_kernelIfhLi192ELi8ELi128ELNS_18Fp8KVCacheDataTypeE1ELb0EEEvPT_PKS2_PKT0_S8_ifPKiSA_iPKfiiiSC_SC_iiiii.num_agpr, 0
	.set _ZN4vllm25paged_attention_v1_kernelIfhLi192ELi8ELi128ELNS_18Fp8KVCacheDataTypeE1ELb0EEEvPT_PKS2_PKT0_S8_ifPKiSA_iPKfiiiSC_SC_iiiii.numbered_sgpr, 34
	.set _ZN4vllm25paged_attention_v1_kernelIfhLi192ELi8ELi128ELNS_18Fp8KVCacheDataTypeE1ELb0EEEvPT_PKS2_PKT0_S8_ifPKiSA_iPKfiiiSC_SC_iiiii.num_named_barrier, 0
	.set _ZN4vllm25paged_attention_v1_kernelIfhLi192ELi8ELi128ELNS_18Fp8KVCacheDataTypeE1ELb0EEEvPT_PKS2_PKT0_S8_ifPKiSA_iPKfiiiSC_SC_iiiii.private_seg_size, 0
	.set _ZN4vllm25paged_attention_v1_kernelIfhLi192ELi8ELi128ELNS_18Fp8KVCacheDataTypeE1ELb0EEEvPT_PKS2_PKT0_S8_ifPKiSA_iPKfiiiSC_SC_iiiii.uses_vcc, 1
	.set _ZN4vllm25paged_attention_v1_kernelIfhLi192ELi8ELi128ELNS_18Fp8KVCacheDataTypeE1ELb0EEEvPT_PKS2_PKT0_S8_ifPKiSA_iPKfiiiSC_SC_iiiii.uses_flat_scratch, 0
	.set _ZN4vllm25paged_attention_v1_kernelIfhLi192ELi8ELi128ELNS_18Fp8KVCacheDataTypeE1ELb0EEEvPT_PKS2_PKT0_S8_ifPKiSA_iPKfiiiSC_SC_iiiii.has_dyn_sized_stack, 0
	.set _ZN4vllm25paged_attention_v1_kernelIfhLi192ELi8ELi128ELNS_18Fp8KVCacheDataTypeE1ELb0EEEvPT_PKS2_PKT0_S8_ifPKiSA_iPKfiiiSC_SC_iiiii.has_recursion, 0
	.set _ZN4vllm25paged_attention_v1_kernelIfhLi192ELi8ELi128ELNS_18Fp8KVCacheDataTypeE1ELb0EEEvPT_PKS2_PKT0_S8_ifPKiSA_iPKfiiiSC_SC_iiiii.has_indirect_call, 0
	.section	.AMDGPU.csdata,"",@progbits
; Kernel info:
; codeLenInByte = 24264
; TotalNumSgprs: 36
; NumVgprs: 121
; ScratchSize: 0
; MemoryBound: 0
; FloatMode: 240
; IeeeMode: 1
; LDSByteSize: 800 bytes/workgroup (compile time only)
; SGPRBlocks: 0
; VGPRBlocks: 15
; NumSGPRsForWavesPerEU: 36
; NumVGPRsForWavesPerEU: 121
; Occupancy: 8
; WaveLimiterHint : 1
; COMPUTE_PGM_RSRC2:SCRATCH_EN: 0
; COMPUTE_PGM_RSRC2:USER_SGPR: 6
; COMPUTE_PGM_RSRC2:TRAP_HANDLER: 0
; COMPUTE_PGM_RSRC2:TGID_X_EN: 1
; COMPUTE_PGM_RSRC2:TGID_Y_EN: 1
; COMPUTE_PGM_RSRC2:TGID_Z_EN: 1
; COMPUTE_PGM_RSRC2:TIDIG_COMP_CNT: 0
	.section	.text._ZN4vllm25paged_attention_v1_kernelIfhLi256ELi8ELi128ELNS_18Fp8KVCacheDataTypeE1ELb0EEEvPT_PKS2_PKT0_S8_ifPKiSA_iPKfiiiSC_SC_iiiii,"axG",@progbits,_ZN4vllm25paged_attention_v1_kernelIfhLi256ELi8ELi128ELNS_18Fp8KVCacheDataTypeE1ELb0EEEvPT_PKS2_PKT0_S8_ifPKiSA_iPKfiiiSC_SC_iiiii,comdat
	.protected	_ZN4vllm25paged_attention_v1_kernelIfhLi256ELi8ELi128ELNS_18Fp8KVCacheDataTypeE1ELb0EEEvPT_PKS2_PKT0_S8_ifPKiSA_iPKfiiiSC_SC_iiiii ; -- Begin function _ZN4vllm25paged_attention_v1_kernelIfhLi256ELi8ELi128ELNS_18Fp8KVCacheDataTypeE1ELb0EEEvPT_PKS2_PKT0_S8_ifPKiSA_iPKfiiiSC_SC_iiiii
	.globl	_ZN4vllm25paged_attention_v1_kernelIfhLi256ELi8ELi128ELNS_18Fp8KVCacheDataTypeE1ELb0EEEvPT_PKS2_PKT0_S8_ifPKiSA_iPKfiiiSC_SC_iiiii
	.p2align	8
	.type	_ZN4vllm25paged_attention_v1_kernelIfhLi256ELi8ELi128ELNS_18Fp8KVCacheDataTypeE1ELb0EEEvPT_PKS2_PKT0_S8_ifPKiSA_iPKfiiiSC_SC_iiiii,@function
_ZN4vllm25paged_attention_v1_kernelIfhLi256ELi8ELi128ELNS_18Fp8KVCacheDataTypeE1ELb0EEEvPT_PKS2_PKT0_S8_ifPKiSA_iPKfiiiSC_SC_iiiii: ; @_ZN4vllm25paged_attention_v1_kernelIfhLi256ELi8ELi128ELNS_18Fp8KVCacheDataTypeE1ELb0EEEvPT_PKS2_PKT0_S8_ifPKiSA_iPKfiiiSC_SC_iiiii
; %bb.0:
	s_mov_b64 s[38:39], s[2:3]
	s_mov_b64 s[36:37], s[0:1]
	s_mov_b32 s10, s7
	s_add_u32 s36, s36, s9
	s_clause 0x2
	s_load_dword s9, s[4:5], 0x80
	s_load_dwordx2 s[0:1], s[4:5], 0x30
	s_load_dwordx2 s[28:29], s[4:5], 0x20
	s_addc_u32 s37, s37, 0
	s_ashr_i32 s11, s7, 31
	v_mov_b32_e32 v44, v0
	s_lshl_b64 s[2:3], s[10:11], 2
	s_mov_b32 s30, 0
	s_waitcnt lgkmcnt(0)
	s_add_u32 s0, s0, s2
	s_addc_u32 s1, s1, s3
	s_abs_i32 s2, s28
	s_abs_i32 s11, s9
	v_cvt_f32_u32_e32 v0, s2
	s_sub_i32 s7, 0, s2
	v_rcp_iflag_f32_e32 v0, v0
	v_mul_f32_e32 v0, 0x4f7ffffe, v0
	v_cvt_u32_f32_e32 v0, v0
	v_readfirstlane_b32 s3, v0
	s_mul_i32 s7, s7, s3
	s_mul_hi_u32 s7, s3, s7
	s_add_i32 s3, s3, s7
	s_xor_b32 s7, s9, s28
	s_mul_hi_u32 s3, s11, s3
	s_ashr_i32 s7, s7, 31
	s_mul_i32 s12, s3, s2
	s_sub_i32 s11, s11, s12
	s_add_i32 s12, s3, 1
	s_sub_i32 s13, s11, s2
	s_cmp_ge_u32 s11, s2
	s_cselect_b32 s3, s12, s3
	s_cselect_b32 s11, s13, s11
	s_add_i32 s12, s3, 1
	s_cmp_ge_u32 s11, s2
	s_cselect_b32 s2, s12, s3
	s_abs_i32 s17, s6
	s_xor_b32 s2, s2, s7
	s_sub_i32 s19, s2, s7
	s_load_dwordx2 s[2:3], s[4:5], 0x40
	s_abs_i32 s16, s19
	v_cvt_f32_u32_e32 v0, s16
	s_sub_i32 s11, 0, s16
	v_rcp_iflag_f32_e32 v0, v0
	v_mul_f32_e32 v0, 0x4f7ffffe, v0
	v_cvt_u32_f32_e32 v0, v0
	v_readfirstlane_b32 s7, v0
	s_mul_i32 s11, s11, s7
	s_mul_hi_u32 s11, s7, s11
	s_add_i32 s7, s7, s11
	s_waitcnt lgkmcnt(0)
	s_cmp_eq_u64 s[2:3], 0
	s_mul_hi_u32 s18, s17, s7
	s_cbranch_scc1 .LBB179_2
; %bb.1:
	s_ashr_i32 s7, s6, 31
	s_lshl_b64 s[12:13], s[6:7], 2
	s_add_u32 s2, s2, s12
	s_addc_u32 s3, s3, s13
	s_load_dword s30, s[2:3], 0x0
.LBB179_2:
	s_load_dword s28, s[0:1], 0x0
	s_clause 0x1
	s_load_dword s11, s[4:5], 0x88
	s_load_dwordx4 s[12:15], s[4:5], 0x48
	v_and_b32_e32 v0, 3, v44
	v_lshlrev_b32_e32 v12, 2, v44
	s_ashr_i32 s2, s6, 31
	s_ashr_i32 s3, s19, 31
	s_lshl_b32 s6, s6, 8
	s_waitcnt lgkmcnt(0)
	s_mov_b32 s15, exec_lo
	v_cmpx_gt_u32_e32 0x100, v44
	s_cbranch_execz .LBB179_5
; %bb.3:
	s_load_dwordx2 s[0:1], s[4:5], 0x8
	s_mul_i32 s20, s12, s10
	v_and_b32_e32 v1, 0x3fc, v44
	s_ashr_i32 s21, s20, 31
	v_cmp_gt_u32_e32 vcc_lo, 0x80, v44
	s_lshl_b64 s[20:21], s[20:21], 2
	v_lshl_add_u32 v1, v0, 8, v1
	s_waitcnt lgkmcnt(0)
	s_add_u32 s12, s0, s20
	s_addc_u32 s19, s1, s21
	s_ashr_i32 s7, s6, 31
	s_lshl_b64 s[0:1], s[6:7], 2
	s_add_u32 s0, s12, s0
	s_addc_u32 s1, s19, s1
	global_load_dword v2, v12, s[0:1]
	s_waitcnt vmcnt(0)
	ds_write_b32 v1, v2
	s_and_b32 exec_lo, exec_lo, vcc_lo
	s_cbranch_execz .LBB179_5
; %bb.4:
	v_lshrrev_b32_e32 v2, 2, v44
	v_lshlrev_b32_e32 v3, 2, v0
	v_lshlrev_b32_e32 v2, 4, v2
	v_or3_b32 v2, v2, v3, 0x200
	global_load_dword v2, v2, s[0:1]
	s_waitcnt vmcnt(0)
	ds_write_b32 v1, v2 offset:128
.LBB179_5:
	s_or_b32 exec_lo, exec_lo, s15
	s_add_i32 s0, s28, 7
	s_clause 0x1
	s_load_dwordx2 s[22:23], s[4:5], 0x28
	s_load_dword s15, s[4:5], 0x38
	s_ashr_i32 s1, s0, 31
	s_xor_b32 s2, s2, s3
	s_lshr_b32 s1, s1, 29
	v_lshrrev_b32_e32 v87, 5, v44
	s_add_i32 s0, s0, s1
	s_mul_i32 s1, s18, s16
	s_ashr_i32 s7, s0, 3
	s_sub_i32 s0, s17, s1
	s_add_i32 s1, s18, 1
	s_sub_i32 s3, s0, s16
	s_cmp_ge_u32 s0, s16
	v_mbcnt_lo_u32_b32 v36, -1, 0
	s_cselect_b32 s1, s1, s18
	s_cselect_b32 s0, s3, s0
	s_add_i32 s3, s1, 1
	s_cmp_ge_u32 s0, s16
	s_waitcnt lgkmcnt(0)
	s_cselect_b32 s0, s3, s1
	s_mov_b32 s1, exec_lo
	s_xor_b32 s0, s0, s2
	s_mul_i32 s24, s15, s10
	s_sub_i32 s12, s0, s2
	v_cmp_gt_i32_e64 s0, s7, v87
	s_ashr_i32 s25, s24, 31
	s_barrier
	buffer_gl0_inv
                                        ; implicit-def: $vgpr66
                                        ; implicit-def: $vgpr9
	v_cmpx_le_i32_e64 s7, v87
	s_xor_b32 s1, exec_lo, s1
; %bb.6:
	v_mov_b32_e32 v66, 0
	v_mbcnt_lo_u32_b32 v36, -1, 0
	v_mov_b32_e32 v9, 32
                                        ; implicit-def: $vgpr0
; %bb.7:
	s_or_saveexec_b32 s15, s1
	s_clause 0x2
	s_load_dwordx2 s[20:21], s[4:5], 0x0
	s_load_dwordx2 s[26:27], s[4:5], 0x18
	s_load_dwordx4 s[16:19], s[4:5], 0x58
	v_mov_b32_e32 v3, 0xff7fffff
	v_lshrrev_b32_e32 v67, 3, v44
	s_mul_i32 s12, s12, s14
	s_xor_b32 exec_lo, exec_lo, s15
	s_cbranch_execz .LBB179_525
; %bb.8:
	s_load_dwordx2 s[2:3], s[4:5], 0x10
	v_xor_b32_e32 v33, 2, v36
	v_xor_b32_e32 v34, 1, v36
	v_bfe_u32 v65, v44, 2, 3
	s_ashr_i32 s1, s12, 31
	v_lshlrev_b32_e32 v61, 8, v0
	v_cmp_gt_i32_e32 vcc_lo, 32, v33
	buffer_store_dword v44, off, s[36:39], 0 offset:76 ; 4-byte Folded Spill
	v_lshlrev_b32_e32 v35, 4, v65
	buffer_store_dword v12, off, s[36:39], 0 offset:84 ; 4-byte Folded Spill
	ds_read_b128 v[1:4], v61
	ds_read_b128 v[5:8], v61 offset:16
	ds_read_b128 v[9:12], v61 offset:32
	;; [unrolled: 1-line block ×7, first 2 shown]
	v_cndmask_b32_e32 v41, v36, v33, vcc_lo
	v_cmp_gt_i32_e32 vcc_lo, 32, v34
	buffer_store_dword v36, off, s[36:39], 0 offset:92 ; 4-byte Folded Spill
	v_lshl_or_b32 v83, v87, 3, v65
	v_mov_b32_e32 v66, 0
	v_lshlrev_b32_e32 v41, 2, v41
	v_cndmask_b32_e32 v44, v36, v34, vcc_lo
	v_cmp_eq_u32_e32 vcc_lo, 0, v0
	v_mov_b32_e32 v85, 0x7f
	s_waitcnt lgkmcnt(0)
	s_add_u32 s2, s2, s12
	s_addc_u32 s1, s3, s1
	v_add_co_u32 v42, s2, s2, v35
	v_add_co_ci_u32_e64 v43, null, s1, 0, s2
	ds_read_b128 v[33:36], v61 offset:128
	ds_read_b128 v[37:40], v61 offset:144
	buffer_store_dword v41, off, s[36:39], 0 offset:60 ; 4-byte Folded Spill
	v_lshlrev_b32_e32 v41, 2, v44
	v_add_co_u32 v42, s2, v42, v0
	v_add_co_ci_u32_e64 v43, null, 0, v43, s2
	buffer_store_dword v41, off, s[36:39], 0 offset:64 ; 4-byte Folded Spill
	v_lshlrev_b32_e32 v41, 2, v65
	s_load_dword s4, s[16:17], 0x0
	buffer_store_dword v42, off, s[36:39], 0 offset:68 ; 4-byte Folded Spill
	buffer_store_dword v43, off, s[36:39], 0 offset:72 ; 4-byte Folded Spill
	v_and_b32_e32 v65, 0x7c, v67
	s_lshl_b64 s[2:3], s[24:25], 2
	v_lshl_or_b32 v0, v87, 5, v41
	ds_read_b128 v[41:44], v61 offset:160
	ds_read_b128 v[45:48], v61 offset:176
	;; [unrolled: 1-line block ×6, first 2 shown]
	s_sub_i32 s5, 1, s28
	s_add_u32 s2, s22, s2
	s_addc_u32 s3, s23, s3
	v_add_co_u32 v69, s2, s2, v65
	v_cmp_neq_f32_e64 s1, s30, 0
	v_add_nc_u32_e32 v84, 0x420, v0
	v_add_co_ci_u32_e64 v70, null, s3, 0, s2
	v_mov_b32_e32 v0, 0xff7fffff
	v_mov_b32_e32 v86, 7
	s_mov_b32 s16, s13
	s_mov_b32 s14, 0
	buffer_store_dword v67, off, s[36:39], 0 offset:88 ; 4-byte Folded Spill
	buffer_store_dword v0, off, s[36:39], 0 offset:56 ; 4-byte Folded Spill
	;; [unrolled: 1-line block ×3, first 2 shown]
	s_branch .LBB179_10
.LBB179_9:                              ;   in Loop: Header=BB179_10 Depth=1
	s_or_b32 exec_lo, exec_lo, s3
	v_add_nc_u32_e32 v87, 4, v87
	v_add_co_u32 v69, s3, v69, 16
	v_add_nc_u32_e32 v83, 32, v83
	v_add_nc_u32_e32 v84, 0x80, v84
	v_cmp_le_i32_e64 s2, s7, v87
	v_add_co_ci_u32_e64 v70, null, 0, v70, s3
	s_or_b32 s14, s2, s14
	s_andn2_b32 exec_lo, exec_lo, s14
	s_cbranch_execz .LBB179_524
.LBB179_10:                             ; =>This Inner Loop Header: Depth=1
	global_load_dword v0, v[69:70], off
	s_clause 0x1
	buffer_load_dword v67, off, s[36:39], 0 offset:68
	buffer_load_dword v68, off, s[36:39], 0 offset:72
	s_waitcnt lgkmcnt(0)
	v_mov_b32_e32 v65, 0
	s_mov_b32 s3, exec_lo
	buffer_store_dword v65, off, s[36:39], 0 ; 4-byte Folded Spill
	v_mov_b32_e32 v65, 0
	buffer_store_dword v65, off, s[36:39], 0 offset:4 ; 4-byte Folded Spill
	s_waitcnt vmcnt(0)
	v_mad_i64_i32 v[71:72], null, v0, s16, v[67:68]
	global_load_ubyte v0, v[71:72], off
	s_waitcnt vmcnt(0)
	v_cmpx_ne_u16_e32 0, v0
	s_cbranch_execz .LBB179_18
; %bb.11:                               ;   in Loop: Header=BB179_10 Depth=1
	v_bfrev_b32_e32 v65, 1
	s_mov_b32 s17, exec_lo
	buffer_store_dword v65, off, s[36:39], 0 offset:4 ; 4-byte Folded Spill
	v_cmpx_ne_u16_e32 0x80, v0
	s_cbranch_execz .LBB179_17
; %bb.12:                               ;   in Loop: Header=BB179_10 Depth=1
	v_and_b32_sdwa v68, v0, v85 dst_sel:DWORD dst_unused:UNUSED_PAD src0_sel:WORD_0 src1_sel:DWORD
	v_mov_b32_e32 v65, 0x7f800001
	s_mov_b32 s31, exec_lo
	buffer_store_dword v65, off, s[36:39], 0 offset:4 ; 4-byte Folded Spill
	v_cmpx_ne_u32_e32 0x7f, v68
	s_cbranch_execz .LBB179_16
; %bb.13:                               ;   in Loop: Header=BB179_10 Depth=1
	v_and_b32_sdwa v65, v0, v86 dst_sel:DWORD dst_unused:UNUSED_PAD src0_sel:WORD_0 src1_sel:DWORD
	v_lshrrev_b32_e32 v67, 3, v68
	s_mov_b32 s33, exec_lo
	v_cmpx_gt_u32_e32 8, v68
; %bb.14:                               ;   in Loop: Header=BB179_10 Depth=1
	v_ffbh_u32_e32 v67, v65
	v_min_u32_e32 v67, 32, v67
	v_subrev_nc_u32_e32 v68, 28, v67
	v_sub_nc_u32_e32 v67, 29, v67
	v_lshlrev_b64 v[73:74], v68, v[65:66]
	v_and_b32_e32 v65, 7, v73
; %bb.15:                               ;   in Loop: Header=BB179_10 Depth=1
	s_or_b32 exec_lo, exec_lo, s33
	v_lshlrev_b32_e32 v0, 24, v0
	v_lshlrev_b32_e32 v65, 20, v65
	v_lshl_add_u32 v67, v67, 23, 0x3c000000
	v_and_b32_e32 v0, 0x80000000, v0
	v_or3_b32 v0, v65, v0, v67
	buffer_store_dword v0, off, s[36:39], 0 offset:4 ; 4-byte Folded Spill
.LBB179_16:                             ;   in Loop: Header=BB179_10 Depth=1
	s_or_b32 exec_lo, exec_lo, s31
.LBB179_17:                             ;   in Loop: Header=BB179_10 Depth=1
	s_or_b32 exec_lo, exec_lo, s17
.LBB179_18:                             ;   in Loop: Header=BB179_10 Depth=1
	s_or_b32 exec_lo, exec_lo, s3
	global_load_ubyte v0, v[71:72], off offset:4
	s_mov_b32 s3, exec_lo
	s_waitcnt vmcnt(0)
	v_cmpx_ne_u16_e32 0, v0
	s_cbranch_execz .LBB179_26
; %bb.19:                               ;   in Loop: Header=BB179_10 Depth=1
	v_bfrev_b32_e32 v65, 1
	s_mov_b32 s17, exec_lo
	buffer_store_dword v65, off, s[36:39], 0 ; 4-byte Folded Spill
	v_cmpx_ne_u16_e32 0x80, v0
	s_cbranch_execz .LBB179_25
; %bb.20:                               ;   in Loop: Header=BB179_10 Depth=1
	v_and_b32_sdwa v68, v0, v85 dst_sel:DWORD dst_unused:UNUSED_PAD src0_sel:WORD_0 src1_sel:DWORD
	v_mov_b32_e32 v65, 0x7f800001
	s_mov_b32 s31, exec_lo
	buffer_store_dword v65, off, s[36:39], 0 ; 4-byte Folded Spill
	v_cmpx_ne_u32_e32 0x7f, v68
	s_cbranch_execz .LBB179_24
; %bb.21:                               ;   in Loop: Header=BB179_10 Depth=1
	v_and_b32_sdwa v65, v0, v86 dst_sel:DWORD dst_unused:UNUSED_PAD src0_sel:WORD_0 src1_sel:DWORD
	v_lshrrev_b32_e32 v67, 3, v68
	s_mov_b32 s33, exec_lo
	v_cmpx_gt_u32_e32 8, v68
; %bb.22:                               ;   in Loop: Header=BB179_10 Depth=1
	v_ffbh_u32_e32 v67, v65
	v_min_u32_e32 v67, 32, v67
	v_subrev_nc_u32_e32 v68, 28, v67
	v_sub_nc_u32_e32 v67, 29, v67
	v_lshlrev_b64 v[73:74], v68, v[65:66]
	v_and_b32_e32 v65, 7, v73
; %bb.23:                               ;   in Loop: Header=BB179_10 Depth=1
	s_or_b32 exec_lo, exec_lo, s33
	v_lshlrev_b32_e32 v0, 24, v0
	v_lshlrev_b32_e32 v65, 20, v65
	v_lshl_add_u32 v67, v67, 23, 0x3c000000
	v_and_b32_e32 v0, 0x80000000, v0
	v_or3_b32 v0, v65, v0, v67
	buffer_store_dword v0, off, s[36:39], 0 ; 4-byte Folded Spill
.LBB179_24:                             ;   in Loop: Header=BB179_10 Depth=1
	s_or_b32 exec_lo, exec_lo, s31
.LBB179_25:                             ;   in Loop: Header=BB179_10 Depth=1
	s_or_b32 exec_lo, exec_lo, s17
.LBB179_26:                             ;   in Loop: Header=BB179_10 Depth=1
	s_or_b32 exec_lo, exec_lo, s3
	global_load_ubyte v0, v[71:72], off offset:8
	v_mov_b32_e32 v65, 0
	s_mov_b32 s3, exec_lo
	buffer_store_dword v65, off, s[36:39], 0 offset:8 ; 4-byte Folded Spill
	v_mov_b32_e32 v65, 0
	buffer_store_dword v65, off, s[36:39], 0 offset:12 ; 4-byte Folded Spill
	s_waitcnt vmcnt(0)
	v_cmpx_ne_u16_e32 0, v0
	s_cbranch_execz .LBB179_34
; %bb.27:                               ;   in Loop: Header=BB179_10 Depth=1
	v_bfrev_b32_e32 v65, 1
	s_mov_b32 s17, exec_lo
	buffer_store_dword v65, off, s[36:39], 0 offset:12 ; 4-byte Folded Spill
	v_cmpx_ne_u16_e32 0x80, v0
	s_cbranch_execz .LBB179_33
; %bb.28:                               ;   in Loop: Header=BB179_10 Depth=1
	v_and_b32_sdwa v68, v0, v85 dst_sel:DWORD dst_unused:UNUSED_PAD src0_sel:WORD_0 src1_sel:DWORD
	v_mov_b32_e32 v65, 0x7f800001
	s_mov_b32 s31, exec_lo
	buffer_store_dword v65, off, s[36:39], 0 offset:12 ; 4-byte Folded Spill
	v_cmpx_ne_u32_e32 0x7f, v68
	s_cbranch_execz .LBB179_32
; %bb.29:                               ;   in Loop: Header=BB179_10 Depth=1
	v_and_b32_sdwa v65, v0, v86 dst_sel:DWORD dst_unused:UNUSED_PAD src0_sel:WORD_0 src1_sel:DWORD
	v_lshrrev_b32_e32 v67, 3, v68
	s_mov_b32 s33, exec_lo
	v_cmpx_gt_u32_e32 8, v68
; %bb.30:                               ;   in Loop: Header=BB179_10 Depth=1
	v_ffbh_u32_e32 v67, v65
	v_min_u32_e32 v67, 32, v67
	v_subrev_nc_u32_e32 v68, 28, v67
	v_sub_nc_u32_e32 v67, 29, v67
	v_lshlrev_b64 v[73:74], v68, v[65:66]
	v_and_b32_e32 v65, 7, v73
; %bb.31:                               ;   in Loop: Header=BB179_10 Depth=1
	s_or_b32 exec_lo, exec_lo, s33
	v_lshlrev_b32_e32 v0, 24, v0
	v_lshlrev_b32_e32 v65, 20, v65
	v_lshl_add_u32 v67, v67, 23, 0x3c000000
	v_and_b32_e32 v0, 0x80000000, v0
	v_or3_b32 v0, v65, v0, v67
	buffer_store_dword v0, off, s[36:39], 0 offset:12 ; 4-byte Folded Spill
.LBB179_32:                             ;   in Loop: Header=BB179_10 Depth=1
	s_or_b32 exec_lo, exec_lo, s31
.LBB179_33:                             ;   in Loop: Header=BB179_10 Depth=1
	s_or_b32 exec_lo, exec_lo, s17
.LBB179_34:                             ;   in Loop: Header=BB179_10 Depth=1
	s_or_b32 exec_lo, exec_lo, s3
	global_load_ubyte v0, v[71:72], off offset:12
	s_mov_b32 s3, exec_lo
	s_waitcnt vmcnt(0)
	v_cmpx_ne_u16_e32 0, v0
	s_cbranch_execz .LBB179_42
; %bb.35:                               ;   in Loop: Header=BB179_10 Depth=1
	v_bfrev_b32_e32 v65, 1
	s_mov_b32 s17, exec_lo
	buffer_store_dword v65, off, s[36:39], 0 offset:8 ; 4-byte Folded Spill
	v_cmpx_ne_u16_e32 0x80, v0
	s_cbranch_execz .LBB179_41
; %bb.36:                               ;   in Loop: Header=BB179_10 Depth=1
	v_and_b32_sdwa v68, v0, v85 dst_sel:DWORD dst_unused:UNUSED_PAD src0_sel:WORD_0 src1_sel:DWORD
	v_mov_b32_e32 v65, 0x7f800001
	s_mov_b32 s31, exec_lo
	buffer_store_dword v65, off, s[36:39], 0 offset:8 ; 4-byte Folded Spill
	v_cmpx_ne_u32_e32 0x7f, v68
	s_cbranch_execz .LBB179_40
; %bb.37:                               ;   in Loop: Header=BB179_10 Depth=1
	v_and_b32_sdwa v65, v0, v86 dst_sel:DWORD dst_unused:UNUSED_PAD src0_sel:WORD_0 src1_sel:DWORD
	v_lshrrev_b32_e32 v67, 3, v68
	s_mov_b32 s33, exec_lo
	v_cmpx_gt_u32_e32 8, v68
; %bb.38:                               ;   in Loop: Header=BB179_10 Depth=1
	v_ffbh_u32_e32 v67, v65
	v_min_u32_e32 v67, 32, v67
	v_subrev_nc_u32_e32 v68, 28, v67
	v_sub_nc_u32_e32 v67, 29, v67
	v_lshlrev_b64 v[73:74], v68, v[65:66]
	v_and_b32_e32 v65, 7, v73
; %bb.39:                               ;   in Loop: Header=BB179_10 Depth=1
	s_or_b32 exec_lo, exec_lo, s33
	v_lshlrev_b32_e32 v0, 24, v0
	v_lshlrev_b32_e32 v65, 20, v65
	v_lshl_add_u32 v67, v67, 23, 0x3c000000
	v_and_b32_e32 v0, 0x80000000, v0
	v_or3_b32 v0, v65, v0, v67
	buffer_store_dword v0, off, s[36:39], 0 offset:8 ; 4-byte Folded Spill
.LBB179_40:                             ;   in Loop: Header=BB179_10 Depth=1
	s_or_b32 exec_lo, exec_lo, s31
.LBB179_41:                             ;   in Loop: Header=BB179_10 Depth=1
	s_or_b32 exec_lo, exec_lo, s17
.LBB179_42:                             ;   in Loop: Header=BB179_10 Depth=1
	s_or_b32 exec_lo, exec_lo, s3
	global_load_ubyte v0, v[71:72], off offset:128
	v_mov_b32_e32 v65, 0
	s_mov_b32 s3, exec_lo
	buffer_store_dword v65, off, s[36:39], 0 offset:16 ; 4-byte Folded Spill
	v_mov_b32_e32 v65, 0
	buffer_store_dword v65, off, s[36:39], 0 offset:20 ; 4-byte Folded Spill
	s_waitcnt vmcnt(0)
	v_cmpx_ne_u16_e32 0, v0
	s_cbranch_execz .LBB179_50
; %bb.43:                               ;   in Loop: Header=BB179_10 Depth=1
	v_bfrev_b32_e32 v65, 1
	s_mov_b32 s17, exec_lo
	buffer_store_dword v65, off, s[36:39], 0 offset:20 ; 4-byte Folded Spill
	v_cmpx_ne_u16_e32 0x80, v0
	s_cbranch_execz .LBB179_49
; %bb.44:                               ;   in Loop: Header=BB179_10 Depth=1
	v_and_b32_sdwa v68, v0, v85 dst_sel:DWORD dst_unused:UNUSED_PAD src0_sel:WORD_0 src1_sel:DWORD
	v_mov_b32_e32 v65, 0x7f800001
	s_mov_b32 s31, exec_lo
	buffer_store_dword v65, off, s[36:39], 0 offset:20 ; 4-byte Folded Spill
	v_cmpx_ne_u32_e32 0x7f, v68
	s_cbranch_execz .LBB179_48
; %bb.45:                               ;   in Loop: Header=BB179_10 Depth=1
	v_and_b32_sdwa v65, v0, v86 dst_sel:DWORD dst_unused:UNUSED_PAD src0_sel:WORD_0 src1_sel:DWORD
	v_lshrrev_b32_e32 v67, 3, v68
	s_mov_b32 s33, exec_lo
	v_cmpx_gt_u32_e32 8, v68
; %bb.46:                               ;   in Loop: Header=BB179_10 Depth=1
	v_ffbh_u32_e32 v67, v65
	v_min_u32_e32 v67, 32, v67
	v_subrev_nc_u32_e32 v68, 28, v67
	v_sub_nc_u32_e32 v67, 29, v67
	v_lshlrev_b64 v[73:74], v68, v[65:66]
	v_and_b32_e32 v65, 7, v73
; %bb.47:                               ;   in Loop: Header=BB179_10 Depth=1
	s_or_b32 exec_lo, exec_lo, s33
	v_lshlrev_b32_e32 v0, 24, v0
	v_lshlrev_b32_e32 v65, 20, v65
	v_lshl_add_u32 v67, v67, 23, 0x3c000000
	v_and_b32_e32 v0, 0x80000000, v0
	v_or3_b32 v0, v65, v0, v67
	buffer_store_dword v0, off, s[36:39], 0 offset:20 ; 4-byte Folded Spill
.LBB179_48:                             ;   in Loop: Header=BB179_10 Depth=1
	s_or_b32 exec_lo, exec_lo, s31
.LBB179_49:                             ;   in Loop: Header=BB179_10 Depth=1
	s_or_b32 exec_lo, exec_lo, s17
.LBB179_50:                             ;   in Loop: Header=BB179_10 Depth=1
	s_or_b32 exec_lo, exec_lo, s3
	global_load_ubyte v0, v[71:72], off offset:132
	s_mov_b32 s3, exec_lo
	s_waitcnt vmcnt(0)
	v_cmpx_ne_u16_e32 0, v0
	s_cbranch_execz .LBB179_58
; %bb.51:                               ;   in Loop: Header=BB179_10 Depth=1
	v_bfrev_b32_e32 v65, 1
	s_mov_b32 s17, exec_lo
	buffer_store_dword v65, off, s[36:39], 0 offset:16 ; 4-byte Folded Spill
	v_cmpx_ne_u16_e32 0x80, v0
	s_cbranch_execz .LBB179_57
; %bb.52:                               ;   in Loop: Header=BB179_10 Depth=1
	v_and_b32_sdwa v68, v0, v85 dst_sel:DWORD dst_unused:UNUSED_PAD src0_sel:WORD_0 src1_sel:DWORD
	v_mov_b32_e32 v65, 0x7f800001
	s_mov_b32 s31, exec_lo
	buffer_store_dword v65, off, s[36:39], 0 offset:16 ; 4-byte Folded Spill
	v_cmpx_ne_u32_e32 0x7f, v68
	s_cbranch_execz .LBB179_56
; %bb.53:                               ;   in Loop: Header=BB179_10 Depth=1
	v_and_b32_sdwa v65, v0, v86 dst_sel:DWORD dst_unused:UNUSED_PAD src0_sel:WORD_0 src1_sel:DWORD
	v_lshrrev_b32_e32 v67, 3, v68
	s_mov_b32 s33, exec_lo
	v_cmpx_gt_u32_e32 8, v68
; %bb.54:                               ;   in Loop: Header=BB179_10 Depth=1
	v_ffbh_u32_e32 v67, v65
	v_min_u32_e32 v67, 32, v67
	v_subrev_nc_u32_e32 v68, 28, v67
	v_sub_nc_u32_e32 v67, 29, v67
	v_lshlrev_b64 v[73:74], v68, v[65:66]
	v_and_b32_e32 v65, 7, v73
; %bb.55:                               ;   in Loop: Header=BB179_10 Depth=1
	s_or_b32 exec_lo, exec_lo, s33
	v_lshlrev_b32_e32 v0, 24, v0
	v_lshlrev_b32_e32 v65, 20, v65
	v_lshl_add_u32 v67, v67, 23, 0x3c000000
	v_and_b32_e32 v0, 0x80000000, v0
	v_or3_b32 v0, v65, v0, v67
	buffer_store_dword v0, off, s[36:39], 0 offset:16 ; 4-byte Folded Spill
.LBB179_56:                             ;   in Loop: Header=BB179_10 Depth=1
	s_or_b32 exec_lo, exec_lo, s31
.LBB179_57:                             ;   in Loop: Header=BB179_10 Depth=1
	s_or_b32 exec_lo, exec_lo, s17
.LBB179_58:                             ;   in Loop: Header=BB179_10 Depth=1
	s_or_b32 exec_lo, exec_lo, s3
	global_load_ubyte v0, v[71:72], off offset:136
	v_mov_b32_e32 v65, 0
	s_mov_b32 s3, exec_lo
	buffer_store_dword v65, off, s[36:39], 0 offset:24 ; 4-byte Folded Spill
	v_mov_b32_e32 v65, 0
	buffer_store_dword v65, off, s[36:39], 0 offset:28 ; 4-byte Folded Spill
	s_waitcnt vmcnt(0)
	v_cmpx_ne_u16_e32 0, v0
	s_cbranch_execz .LBB179_66
; %bb.59:                               ;   in Loop: Header=BB179_10 Depth=1
	v_bfrev_b32_e32 v65, 1
	s_mov_b32 s17, exec_lo
	buffer_store_dword v65, off, s[36:39], 0 offset:28 ; 4-byte Folded Spill
	v_cmpx_ne_u16_e32 0x80, v0
	s_cbranch_execz .LBB179_65
; %bb.60:                               ;   in Loop: Header=BB179_10 Depth=1
	v_and_b32_sdwa v68, v0, v85 dst_sel:DWORD dst_unused:UNUSED_PAD src0_sel:WORD_0 src1_sel:DWORD
	v_mov_b32_e32 v65, 0x7f800001
	s_mov_b32 s31, exec_lo
	buffer_store_dword v65, off, s[36:39], 0 offset:28 ; 4-byte Folded Spill
	v_cmpx_ne_u32_e32 0x7f, v68
	s_cbranch_execz .LBB179_64
; %bb.61:                               ;   in Loop: Header=BB179_10 Depth=1
	v_and_b32_sdwa v65, v0, v86 dst_sel:DWORD dst_unused:UNUSED_PAD src0_sel:WORD_0 src1_sel:DWORD
	v_lshrrev_b32_e32 v67, 3, v68
	s_mov_b32 s33, exec_lo
	v_cmpx_gt_u32_e32 8, v68
; %bb.62:                               ;   in Loop: Header=BB179_10 Depth=1
	v_ffbh_u32_e32 v67, v65
	v_min_u32_e32 v67, 32, v67
	v_subrev_nc_u32_e32 v68, 28, v67
	v_sub_nc_u32_e32 v67, 29, v67
	v_lshlrev_b64 v[73:74], v68, v[65:66]
	v_and_b32_e32 v65, 7, v73
; %bb.63:                               ;   in Loop: Header=BB179_10 Depth=1
	s_or_b32 exec_lo, exec_lo, s33
	v_lshlrev_b32_e32 v0, 24, v0
	v_lshlrev_b32_e32 v65, 20, v65
	v_lshl_add_u32 v67, v67, 23, 0x3c000000
	v_and_b32_e32 v0, 0x80000000, v0
	v_or3_b32 v0, v65, v0, v67
	buffer_store_dword v0, off, s[36:39], 0 offset:28 ; 4-byte Folded Spill
.LBB179_64:                             ;   in Loop: Header=BB179_10 Depth=1
	s_or_b32 exec_lo, exec_lo, s31
.LBB179_65:                             ;   in Loop: Header=BB179_10 Depth=1
	s_or_b32 exec_lo, exec_lo, s17
.LBB179_66:                             ;   in Loop: Header=BB179_10 Depth=1
	s_or_b32 exec_lo, exec_lo, s3
	global_load_ubyte v0, v[71:72], off offset:140
	s_mov_b32 s3, exec_lo
	s_waitcnt vmcnt(0)
	v_cmpx_ne_u16_e32 0, v0
	s_cbranch_execz .LBB179_74
; %bb.67:                               ;   in Loop: Header=BB179_10 Depth=1
	v_bfrev_b32_e32 v65, 1
	s_mov_b32 s17, exec_lo
	buffer_store_dword v65, off, s[36:39], 0 offset:24 ; 4-byte Folded Spill
	v_cmpx_ne_u16_e32 0x80, v0
	s_cbranch_execz .LBB179_73
; %bb.68:                               ;   in Loop: Header=BB179_10 Depth=1
	v_and_b32_sdwa v68, v0, v85 dst_sel:DWORD dst_unused:UNUSED_PAD src0_sel:WORD_0 src1_sel:DWORD
	v_mov_b32_e32 v65, 0x7f800001
	s_mov_b32 s31, exec_lo
	buffer_store_dword v65, off, s[36:39], 0 offset:24 ; 4-byte Folded Spill
	v_cmpx_ne_u32_e32 0x7f, v68
	s_cbranch_execz .LBB179_72
; %bb.69:                               ;   in Loop: Header=BB179_10 Depth=1
	v_and_b32_sdwa v65, v0, v86 dst_sel:DWORD dst_unused:UNUSED_PAD src0_sel:WORD_0 src1_sel:DWORD
	v_lshrrev_b32_e32 v67, 3, v68
	s_mov_b32 s33, exec_lo
	v_cmpx_gt_u32_e32 8, v68
; %bb.70:                               ;   in Loop: Header=BB179_10 Depth=1
	v_ffbh_u32_e32 v67, v65
	v_min_u32_e32 v67, 32, v67
	v_subrev_nc_u32_e32 v68, 28, v67
	v_sub_nc_u32_e32 v67, 29, v67
	v_lshlrev_b64 v[73:74], v68, v[65:66]
	v_and_b32_e32 v65, 7, v73
; %bb.71:                               ;   in Loop: Header=BB179_10 Depth=1
	s_or_b32 exec_lo, exec_lo, s33
	v_lshlrev_b32_e32 v0, 24, v0
	v_lshlrev_b32_e32 v65, 20, v65
	v_lshl_add_u32 v67, v67, 23, 0x3c000000
	v_and_b32_e32 v0, 0x80000000, v0
	v_or3_b32 v0, v65, v0, v67
	buffer_store_dword v0, off, s[36:39], 0 offset:24 ; 4-byte Folded Spill
.LBB179_72:                             ;   in Loop: Header=BB179_10 Depth=1
	s_or_b32 exec_lo, exec_lo, s31
.LBB179_73:                             ;   in Loop: Header=BB179_10 Depth=1
	s_or_b32 exec_lo, exec_lo, s17
.LBB179_74:                             ;   in Loop: Header=BB179_10 Depth=1
	s_or_b32 exec_lo, exec_lo, s3
	global_load_ubyte v0, v[71:72], off offset:256
	v_mov_b32_e32 v65, 0
	s_mov_b32 s3, exec_lo
	buffer_store_dword v65, off, s[36:39], 0 offset:32 ; 4-byte Folded Spill
	v_mov_b32_e32 v65, 0
	buffer_store_dword v65, off, s[36:39], 0 offset:36 ; 4-byte Folded Spill
	s_waitcnt vmcnt(0)
	v_cmpx_ne_u16_e32 0, v0
	s_cbranch_execz .LBB179_82
; %bb.75:                               ;   in Loop: Header=BB179_10 Depth=1
	v_bfrev_b32_e32 v65, 1
	s_mov_b32 s17, exec_lo
	buffer_store_dword v65, off, s[36:39], 0 offset:36 ; 4-byte Folded Spill
	v_cmpx_ne_u16_e32 0x80, v0
	s_cbranch_execz .LBB179_81
; %bb.76:                               ;   in Loop: Header=BB179_10 Depth=1
	v_and_b32_sdwa v68, v0, v85 dst_sel:DWORD dst_unused:UNUSED_PAD src0_sel:WORD_0 src1_sel:DWORD
	v_mov_b32_e32 v65, 0x7f800001
	s_mov_b32 s31, exec_lo
	buffer_store_dword v65, off, s[36:39], 0 offset:36 ; 4-byte Folded Spill
	v_cmpx_ne_u32_e32 0x7f, v68
	s_cbranch_execz .LBB179_80
; %bb.77:                               ;   in Loop: Header=BB179_10 Depth=1
	v_and_b32_sdwa v65, v0, v86 dst_sel:DWORD dst_unused:UNUSED_PAD src0_sel:WORD_0 src1_sel:DWORD
	v_lshrrev_b32_e32 v67, 3, v68
	s_mov_b32 s33, exec_lo
	v_cmpx_gt_u32_e32 8, v68
; %bb.78:                               ;   in Loop: Header=BB179_10 Depth=1
	v_ffbh_u32_e32 v67, v65
	v_min_u32_e32 v67, 32, v67
	v_subrev_nc_u32_e32 v68, 28, v67
	v_sub_nc_u32_e32 v67, 29, v67
	v_lshlrev_b64 v[73:74], v68, v[65:66]
	v_and_b32_e32 v65, 7, v73
; %bb.79:                               ;   in Loop: Header=BB179_10 Depth=1
	s_or_b32 exec_lo, exec_lo, s33
	v_lshlrev_b32_e32 v0, 24, v0
	v_lshlrev_b32_e32 v65, 20, v65
	v_lshl_add_u32 v67, v67, 23, 0x3c000000
	v_and_b32_e32 v0, 0x80000000, v0
	v_or3_b32 v0, v65, v0, v67
	buffer_store_dword v0, off, s[36:39], 0 offset:36 ; 4-byte Folded Spill
.LBB179_80:                             ;   in Loop: Header=BB179_10 Depth=1
	s_or_b32 exec_lo, exec_lo, s31
.LBB179_81:                             ;   in Loop: Header=BB179_10 Depth=1
	s_or_b32 exec_lo, exec_lo, s17
.LBB179_82:                             ;   in Loop: Header=BB179_10 Depth=1
	s_or_b32 exec_lo, exec_lo, s3
	global_load_ubyte v0, v[71:72], off offset:260
	s_mov_b32 s3, exec_lo
	s_waitcnt vmcnt(0)
	v_cmpx_ne_u16_e32 0, v0
	s_cbranch_execz .LBB179_90
; %bb.83:                               ;   in Loop: Header=BB179_10 Depth=1
	v_bfrev_b32_e32 v65, 1
	s_mov_b32 s17, exec_lo
	buffer_store_dword v65, off, s[36:39], 0 offset:32 ; 4-byte Folded Spill
	v_cmpx_ne_u16_e32 0x80, v0
	s_cbranch_execz .LBB179_89
; %bb.84:                               ;   in Loop: Header=BB179_10 Depth=1
	v_and_b32_sdwa v68, v0, v85 dst_sel:DWORD dst_unused:UNUSED_PAD src0_sel:WORD_0 src1_sel:DWORD
	v_mov_b32_e32 v65, 0x7f800001
	s_mov_b32 s31, exec_lo
	buffer_store_dword v65, off, s[36:39], 0 offset:32 ; 4-byte Folded Spill
	v_cmpx_ne_u32_e32 0x7f, v68
	s_cbranch_execz .LBB179_88
; %bb.85:                               ;   in Loop: Header=BB179_10 Depth=1
	v_and_b32_sdwa v65, v0, v86 dst_sel:DWORD dst_unused:UNUSED_PAD src0_sel:WORD_0 src1_sel:DWORD
	v_lshrrev_b32_e32 v67, 3, v68
	s_mov_b32 s33, exec_lo
	v_cmpx_gt_u32_e32 8, v68
; %bb.86:                               ;   in Loop: Header=BB179_10 Depth=1
	v_ffbh_u32_e32 v67, v65
	v_min_u32_e32 v67, 32, v67
	v_subrev_nc_u32_e32 v68, 28, v67
	v_sub_nc_u32_e32 v67, 29, v67
	v_lshlrev_b64 v[73:74], v68, v[65:66]
	v_and_b32_e32 v65, 7, v73
; %bb.87:                               ;   in Loop: Header=BB179_10 Depth=1
	s_or_b32 exec_lo, exec_lo, s33
	v_lshlrev_b32_e32 v0, 24, v0
	v_lshlrev_b32_e32 v65, 20, v65
	v_lshl_add_u32 v67, v67, 23, 0x3c000000
	v_and_b32_e32 v0, 0x80000000, v0
	v_or3_b32 v0, v65, v0, v67
	buffer_store_dword v0, off, s[36:39], 0 offset:32 ; 4-byte Folded Spill
.LBB179_88:                             ;   in Loop: Header=BB179_10 Depth=1
	s_or_b32 exec_lo, exec_lo, s31
.LBB179_89:                             ;   in Loop: Header=BB179_10 Depth=1
	s_or_b32 exec_lo, exec_lo, s17
.LBB179_90:                             ;   in Loop: Header=BB179_10 Depth=1
	s_or_b32 exec_lo, exec_lo, s3
	global_load_ubyte v0, v[71:72], off offset:264
	v_mov_b32_e32 v65, 0
	s_mov_b32 s3, exec_lo
	buffer_store_dword v65, off, s[36:39], 0 offset:40 ; 4-byte Folded Spill
	v_mov_b32_e32 v65, 0
	buffer_store_dword v65, off, s[36:39], 0 offset:44 ; 4-byte Folded Spill
	s_waitcnt vmcnt(0)
	v_cmpx_ne_u16_e32 0, v0
	s_cbranch_execz .LBB179_98
; %bb.91:                               ;   in Loop: Header=BB179_10 Depth=1
	v_bfrev_b32_e32 v65, 1
	s_mov_b32 s17, exec_lo
	buffer_store_dword v65, off, s[36:39], 0 offset:44 ; 4-byte Folded Spill
	v_cmpx_ne_u16_e32 0x80, v0
	s_cbranch_execz .LBB179_97
; %bb.92:                               ;   in Loop: Header=BB179_10 Depth=1
	v_and_b32_sdwa v68, v0, v85 dst_sel:DWORD dst_unused:UNUSED_PAD src0_sel:WORD_0 src1_sel:DWORD
	v_mov_b32_e32 v65, 0x7f800001
	s_mov_b32 s31, exec_lo
	buffer_store_dword v65, off, s[36:39], 0 offset:44 ; 4-byte Folded Spill
	v_cmpx_ne_u32_e32 0x7f, v68
	s_cbranch_execz .LBB179_96
; %bb.93:                               ;   in Loop: Header=BB179_10 Depth=1
	v_and_b32_sdwa v65, v0, v86 dst_sel:DWORD dst_unused:UNUSED_PAD src0_sel:WORD_0 src1_sel:DWORD
	v_lshrrev_b32_e32 v67, 3, v68
	s_mov_b32 s33, exec_lo
	v_cmpx_gt_u32_e32 8, v68
; %bb.94:                               ;   in Loop: Header=BB179_10 Depth=1
	v_ffbh_u32_e32 v67, v65
	v_min_u32_e32 v67, 32, v67
	v_subrev_nc_u32_e32 v68, 28, v67
	v_sub_nc_u32_e32 v67, 29, v67
	v_lshlrev_b64 v[73:74], v68, v[65:66]
	v_and_b32_e32 v65, 7, v73
; %bb.95:                               ;   in Loop: Header=BB179_10 Depth=1
	s_or_b32 exec_lo, exec_lo, s33
	v_lshlrev_b32_e32 v0, 24, v0
	v_lshlrev_b32_e32 v65, 20, v65
	v_lshl_add_u32 v67, v67, 23, 0x3c000000
	v_and_b32_e32 v0, 0x80000000, v0
	v_or3_b32 v0, v65, v0, v67
	buffer_store_dword v0, off, s[36:39], 0 offset:44 ; 4-byte Folded Spill
.LBB179_96:                             ;   in Loop: Header=BB179_10 Depth=1
	s_or_b32 exec_lo, exec_lo, s31
.LBB179_97:                             ;   in Loop: Header=BB179_10 Depth=1
	s_or_b32 exec_lo, exec_lo, s17
.LBB179_98:                             ;   in Loop: Header=BB179_10 Depth=1
	s_or_b32 exec_lo, exec_lo, s3
	global_load_ubyte v0, v[71:72], off offset:268
	s_mov_b32 s3, exec_lo
	s_waitcnt vmcnt(0)
	v_cmpx_ne_u16_e32 0, v0
	s_cbranch_execz .LBB179_106
; %bb.99:                               ;   in Loop: Header=BB179_10 Depth=1
	v_bfrev_b32_e32 v65, 1
	s_mov_b32 s17, exec_lo
	buffer_store_dword v65, off, s[36:39], 0 offset:40 ; 4-byte Folded Spill
	v_cmpx_ne_u16_e32 0x80, v0
	s_cbranch_execz .LBB179_105
; %bb.100:                              ;   in Loop: Header=BB179_10 Depth=1
	v_and_b32_sdwa v68, v0, v85 dst_sel:DWORD dst_unused:UNUSED_PAD src0_sel:WORD_0 src1_sel:DWORD
	v_mov_b32_e32 v65, 0x7f800001
	s_mov_b32 s31, exec_lo
	buffer_store_dword v65, off, s[36:39], 0 offset:40 ; 4-byte Folded Spill
	v_cmpx_ne_u32_e32 0x7f, v68
	s_cbranch_execz .LBB179_104
; %bb.101:                              ;   in Loop: Header=BB179_10 Depth=1
	v_and_b32_sdwa v65, v0, v86 dst_sel:DWORD dst_unused:UNUSED_PAD src0_sel:WORD_0 src1_sel:DWORD
	v_lshrrev_b32_e32 v67, 3, v68
	s_mov_b32 s33, exec_lo
	v_cmpx_gt_u32_e32 8, v68
; %bb.102:                              ;   in Loop: Header=BB179_10 Depth=1
	v_ffbh_u32_e32 v67, v65
	v_min_u32_e32 v67, 32, v67
	v_subrev_nc_u32_e32 v68, 28, v67
	v_sub_nc_u32_e32 v67, 29, v67
	v_lshlrev_b64 v[73:74], v68, v[65:66]
	v_and_b32_e32 v65, 7, v73
; %bb.103:                              ;   in Loop: Header=BB179_10 Depth=1
	s_or_b32 exec_lo, exec_lo, s33
	v_lshlrev_b32_e32 v0, 24, v0
	v_lshlrev_b32_e32 v65, 20, v65
	v_lshl_add_u32 v67, v67, 23, 0x3c000000
	v_and_b32_e32 v0, 0x80000000, v0
	v_or3_b32 v0, v65, v0, v67
	buffer_store_dword v0, off, s[36:39], 0 offset:40 ; 4-byte Folded Spill
.LBB179_104:                            ;   in Loop: Header=BB179_10 Depth=1
	s_or_b32 exec_lo, exec_lo, s31
.LBB179_105:                            ;   in Loop: Header=BB179_10 Depth=1
	s_or_b32 exec_lo, exec_lo, s17
.LBB179_106:                            ;   in Loop: Header=BB179_10 Depth=1
	s_or_b32 exec_lo, exec_lo, s3
	global_load_ubyte v0, v[71:72], off offset:384
	v_mov_b32_e32 v65, 0
	s_mov_b32 s3, exec_lo
	buffer_store_dword v65, off, s[36:39], 0 offset:48 ; 4-byte Folded Spill
	v_mov_b32_e32 v65, 0
	buffer_store_dword v65, off, s[36:39], 0 offset:52 ; 4-byte Folded Spill
	s_waitcnt vmcnt(0)
	v_cmpx_ne_u16_e32 0, v0
	s_cbranch_execz .LBB179_114
; %bb.107:                              ;   in Loop: Header=BB179_10 Depth=1
	v_bfrev_b32_e32 v65, 1
	s_mov_b32 s17, exec_lo
	buffer_store_dword v65, off, s[36:39], 0 offset:52 ; 4-byte Folded Spill
	v_cmpx_ne_u16_e32 0x80, v0
	s_cbranch_execz .LBB179_113
; %bb.108:                              ;   in Loop: Header=BB179_10 Depth=1
	v_and_b32_sdwa v68, v0, v85 dst_sel:DWORD dst_unused:UNUSED_PAD src0_sel:WORD_0 src1_sel:DWORD
	v_mov_b32_e32 v65, 0x7f800001
	s_mov_b32 s31, exec_lo
	buffer_store_dword v65, off, s[36:39], 0 offset:52 ; 4-byte Folded Spill
	v_cmpx_ne_u32_e32 0x7f, v68
	s_cbranch_execz .LBB179_112
; %bb.109:                              ;   in Loop: Header=BB179_10 Depth=1
	v_and_b32_sdwa v65, v0, v86 dst_sel:DWORD dst_unused:UNUSED_PAD src0_sel:WORD_0 src1_sel:DWORD
	v_lshrrev_b32_e32 v67, 3, v68
	s_mov_b32 s33, exec_lo
	v_cmpx_gt_u32_e32 8, v68
; %bb.110:                              ;   in Loop: Header=BB179_10 Depth=1
	v_ffbh_u32_e32 v67, v65
	v_min_u32_e32 v67, 32, v67
	v_subrev_nc_u32_e32 v68, 28, v67
	v_sub_nc_u32_e32 v67, 29, v67
	v_lshlrev_b64 v[73:74], v68, v[65:66]
	v_and_b32_e32 v65, 7, v73
; %bb.111:                              ;   in Loop: Header=BB179_10 Depth=1
	s_or_b32 exec_lo, exec_lo, s33
	v_lshlrev_b32_e32 v0, 24, v0
	v_lshlrev_b32_e32 v65, 20, v65
	v_lshl_add_u32 v67, v67, 23, 0x3c000000
	v_and_b32_e32 v0, 0x80000000, v0
	v_or3_b32 v0, v65, v0, v67
	buffer_store_dword v0, off, s[36:39], 0 offset:52 ; 4-byte Folded Spill
.LBB179_112:                            ;   in Loop: Header=BB179_10 Depth=1
	s_or_b32 exec_lo, exec_lo, s31
.LBB179_113:                            ;   in Loop: Header=BB179_10 Depth=1
	s_or_b32 exec_lo, exec_lo, s17
.LBB179_114:                            ;   in Loop: Header=BB179_10 Depth=1
	s_or_b32 exec_lo, exec_lo, s3
	global_load_ubyte v0, v[71:72], off offset:388
	s_mov_b32 s3, exec_lo
	s_waitcnt vmcnt(0)
	v_cmpx_ne_u16_e32 0, v0
	s_cbranch_execz .LBB179_122
; %bb.115:                              ;   in Loop: Header=BB179_10 Depth=1
	v_bfrev_b32_e32 v65, 1
	s_mov_b32 s17, exec_lo
	buffer_store_dword v65, off, s[36:39], 0 offset:48 ; 4-byte Folded Spill
	v_cmpx_ne_u16_e32 0x80, v0
	s_cbranch_execz .LBB179_121
; %bb.116:                              ;   in Loop: Header=BB179_10 Depth=1
	v_and_b32_sdwa v68, v0, v85 dst_sel:DWORD dst_unused:UNUSED_PAD src0_sel:WORD_0 src1_sel:DWORD
	v_mov_b32_e32 v65, 0x7f800001
	s_mov_b32 s31, exec_lo
	buffer_store_dword v65, off, s[36:39], 0 offset:48 ; 4-byte Folded Spill
	v_cmpx_ne_u32_e32 0x7f, v68
	s_cbranch_execz .LBB179_120
; %bb.117:                              ;   in Loop: Header=BB179_10 Depth=1
	v_and_b32_sdwa v65, v0, v86 dst_sel:DWORD dst_unused:UNUSED_PAD src0_sel:WORD_0 src1_sel:DWORD
	v_lshrrev_b32_e32 v67, 3, v68
	s_mov_b32 s33, exec_lo
	v_cmpx_gt_u32_e32 8, v68
; %bb.118:                              ;   in Loop: Header=BB179_10 Depth=1
	v_ffbh_u32_e32 v67, v65
	v_min_u32_e32 v67, 32, v67
	v_subrev_nc_u32_e32 v68, 28, v67
	v_sub_nc_u32_e32 v67, 29, v67
	v_lshlrev_b64 v[73:74], v68, v[65:66]
	v_and_b32_e32 v65, 7, v73
; %bb.119:                              ;   in Loop: Header=BB179_10 Depth=1
	s_or_b32 exec_lo, exec_lo, s33
	v_lshlrev_b32_e32 v0, 24, v0
	v_lshlrev_b32_e32 v65, 20, v65
	v_lshl_add_u32 v67, v67, 23, 0x3c000000
	v_and_b32_e32 v0, 0x80000000, v0
	v_or3_b32 v0, v65, v0, v67
	buffer_store_dword v0, off, s[36:39], 0 offset:48 ; 4-byte Folded Spill
.LBB179_120:                            ;   in Loop: Header=BB179_10 Depth=1
	s_or_b32 exec_lo, exec_lo, s31
.LBB179_121:                            ;   in Loop: Header=BB179_10 Depth=1
	s_or_b32 exec_lo, exec_lo, s17
.LBB179_122:                            ;   in Loop: Header=BB179_10 Depth=1
	s_or_b32 exec_lo, exec_lo, s3
	global_load_ubyte v0, v[71:72], off offset:392
	v_mov_b32_e32 v102, 0
	v_mov_b32_e32 v103, 0
	s_mov_b32 s3, exec_lo
	s_waitcnt vmcnt(0)
	v_cmpx_ne_u16_e32 0, v0
	s_cbranch_execz .LBB179_130
; %bb.123:                              ;   in Loop: Header=BB179_10 Depth=1
	v_bfrev_b32_e32 v103, 1
	s_mov_b32 s17, exec_lo
	v_cmpx_ne_u16_e32 0x80, v0
	s_cbranch_execz .LBB179_129
; %bb.124:                              ;   in Loop: Header=BB179_10 Depth=1
	v_and_b32_sdwa v68, v0, v85 dst_sel:DWORD dst_unused:UNUSED_PAD src0_sel:WORD_0 src1_sel:DWORD
	v_mov_b32_e32 v103, 0x7f800001
	s_mov_b32 s31, exec_lo
	v_cmpx_ne_u32_e32 0x7f, v68
	s_cbranch_execz .LBB179_128
; %bb.125:                              ;   in Loop: Header=BB179_10 Depth=1
	v_and_b32_sdwa v65, v0, v86 dst_sel:DWORD dst_unused:UNUSED_PAD src0_sel:WORD_0 src1_sel:DWORD
	v_lshrrev_b32_e32 v67, 3, v68
	s_mov_b32 s33, exec_lo
	v_cmpx_gt_u32_e32 8, v68
; %bb.126:                              ;   in Loop: Header=BB179_10 Depth=1
	v_ffbh_u32_e32 v67, v65
	v_min_u32_e32 v67, 32, v67
	v_subrev_nc_u32_e32 v68, 28, v67
	v_sub_nc_u32_e32 v67, 29, v67
	v_lshlrev_b64 v[73:74], v68, v[65:66]
	v_and_b32_e32 v65, 7, v73
; %bb.127:                              ;   in Loop: Header=BB179_10 Depth=1
	s_or_b32 exec_lo, exec_lo, s33
	v_lshlrev_b32_e32 v0, 24, v0
	v_lshlrev_b32_e32 v65, 20, v65
	v_lshl_add_u32 v67, v67, 23, 0x3c000000
	v_and_b32_e32 v0, 0x80000000, v0
	v_or3_b32 v103, v65, v0, v67
.LBB179_128:                            ;   in Loop: Header=BB179_10 Depth=1
	s_or_b32 exec_lo, exec_lo, s31
.LBB179_129:                            ;   in Loop: Header=BB179_10 Depth=1
	s_or_b32 exec_lo, exec_lo, s17
.LBB179_130:                            ;   in Loop: Header=BB179_10 Depth=1
	s_or_b32 exec_lo, exec_lo, s3
	global_load_ubyte v0, v[71:72], off offset:396
	s_mov_b32 s3, exec_lo
	s_waitcnt vmcnt(0)
	v_cmpx_ne_u16_e32 0, v0
	s_cbranch_execz .LBB179_138
; %bb.131:                              ;   in Loop: Header=BB179_10 Depth=1
	v_bfrev_b32_e32 v102, 1
	s_mov_b32 s17, exec_lo
	v_cmpx_ne_u16_e32 0x80, v0
	s_cbranch_execz .LBB179_137
; %bb.132:                              ;   in Loop: Header=BB179_10 Depth=1
	v_and_b32_sdwa v68, v0, v85 dst_sel:DWORD dst_unused:UNUSED_PAD src0_sel:WORD_0 src1_sel:DWORD
	v_mov_b32_e32 v102, 0x7f800001
	s_mov_b32 s31, exec_lo
	v_cmpx_ne_u32_e32 0x7f, v68
	s_cbranch_execz .LBB179_136
; %bb.133:                              ;   in Loop: Header=BB179_10 Depth=1
	v_and_b32_sdwa v65, v0, v86 dst_sel:DWORD dst_unused:UNUSED_PAD src0_sel:WORD_0 src1_sel:DWORD
	v_lshrrev_b32_e32 v67, 3, v68
	s_mov_b32 s33, exec_lo
	v_cmpx_gt_u32_e32 8, v68
; %bb.134:                              ;   in Loop: Header=BB179_10 Depth=1
	v_ffbh_u32_e32 v67, v65
	v_min_u32_e32 v67, 32, v67
	v_subrev_nc_u32_e32 v68, 28, v67
	v_sub_nc_u32_e32 v67, 29, v67
	v_lshlrev_b64 v[73:74], v68, v[65:66]
	v_and_b32_e32 v65, 7, v73
; %bb.135:                              ;   in Loop: Header=BB179_10 Depth=1
	s_or_b32 exec_lo, exec_lo, s33
	v_lshlrev_b32_e32 v0, 24, v0
	v_lshlrev_b32_e32 v65, 20, v65
	v_lshl_add_u32 v67, v67, 23, 0x3c000000
	v_and_b32_e32 v0, 0x80000000, v0
	v_or3_b32 v102, v65, v0, v67
.LBB179_136:                            ;   in Loop: Header=BB179_10 Depth=1
	s_or_b32 exec_lo, exec_lo, s31
.LBB179_137:                            ;   in Loop: Header=BB179_10 Depth=1
	s_or_b32 exec_lo, exec_lo, s17
.LBB179_138:                            ;   in Loop: Header=BB179_10 Depth=1
	s_or_b32 exec_lo, exec_lo, s3
	global_load_ubyte v0, v[71:72], off offset:512
	v_mov_b32_e32 v104, 0
	v_mov_b32_e32 v105, 0
	s_mov_b32 s3, exec_lo
	s_waitcnt vmcnt(0)
	v_cmpx_ne_u16_e32 0, v0
	s_cbranch_execz .LBB179_146
; %bb.139:                              ;   in Loop: Header=BB179_10 Depth=1
	v_bfrev_b32_e32 v105, 1
	s_mov_b32 s17, exec_lo
	v_cmpx_ne_u16_e32 0x80, v0
	s_cbranch_execz .LBB179_145
; %bb.140:                              ;   in Loop: Header=BB179_10 Depth=1
	v_and_b32_sdwa v68, v0, v85 dst_sel:DWORD dst_unused:UNUSED_PAD src0_sel:WORD_0 src1_sel:DWORD
	v_mov_b32_e32 v105, 0x7f800001
	s_mov_b32 s31, exec_lo
	v_cmpx_ne_u32_e32 0x7f, v68
	s_cbranch_execz .LBB179_144
; %bb.141:                              ;   in Loop: Header=BB179_10 Depth=1
	v_and_b32_sdwa v65, v0, v86 dst_sel:DWORD dst_unused:UNUSED_PAD src0_sel:WORD_0 src1_sel:DWORD
	v_lshrrev_b32_e32 v67, 3, v68
	s_mov_b32 s33, exec_lo
	v_cmpx_gt_u32_e32 8, v68
; %bb.142:                              ;   in Loop: Header=BB179_10 Depth=1
	v_ffbh_u32_e32 v67, v65
	v_min_u32_e32 v67, 32, v67
	v_subrev_nc_u32_e32 v68, 28, v67
	v_sub_nc_u32_e32 v67, 29, v67
	v_lshlrev_b64 v[73:74], v68, v[65:66]
	v_and_b32_e32 v65, 7, v73
; %bb.143:                              ;   in Loop: Header=BB179_10 Depth=1
	s_or_b32 exec_lo, exec_lo, s33
	v_lshlrev_b32_e32 v0, 24, v0
	v_lshlrev_b32_e32 v65, 20, v65
	v_lshl_add_u32 v67, v67, 23, 0x3c000000
	v_and_b32_e32 v0, 0x80000000, v0
	v_or3_b32 v105, v65, v0, v67
.LBB179_144:                            ;   in Loop: Header=BB179_10 Depth=1
	s_or_b32 exec_lo, exec_lo, s31
.LBB179_145:                            ;   in Loop: Header=BB179_10 Depth=1
	s_or_b32 exec_lo, exec_lo, s17
.LBB179_146:                            ;   in Loop: Header=BB179_10 Depth=1
	s_or_b32 exec_lo, exec_lo, s3
	global_load_ubyte v0, v[71:72], off offset:516
	s_mov_b32 s3, exec_lo
	s_waitcnt vmcnt(0)
	v_cmpx_ne_u16_e32 0, v0
	s_cbranch_execz .LBB179_154
; %bb.147:                              ;   in Loop: Header=BB179_10 Depth=1
	v_bfrev_b32_e32 v104, 1
	s_mov_b32 s17, exec_lo
	v_cmpx_ne_u16_e32 0x80, v0
	s_cbranch_execz .LBB179_153
; %bb.148:                              ;   in Loop: Header=BB179_10 Depth=1
	v_and_b32_sdwa v68, v0, v85 dst_sel:DWORD dst_unused:UNUSED_PAD src0_sel:WORD_0 src1_sel:DWORD
	v_mov_b32_e32 v104, 0x7f800001
	s_mov_b32 s31, exec_lo
	v_cmpx_ne_u32_e32 0x7f, v68
	s_cbranch_execz .LBB179_152
; %bb.149:                              ;   in Loop: Header=BB179_10 Depth=1
	v_and_b32_sdwa v65, v0, v86 dst_sel:DWORD dst_unused:UNUSED_PAD src0_sel:WORD_0 src1_sel:DWORD
	v_lshrrev_b32_e32 v67, 3, v68
	s_mov_b32 s33, exec_lo
	v_cmpx_gt_u32_e32 8, v68
; %bb.150:                              ;   in Loop: Header=BB179_10 Depth=1
	v_ffbh_u32_e32 v67, v65
	v_min_u32_e32 v67, 32, v67
	v_subrev_nc_u32_e32 v68, 28, v67
	v_sub_nc_u32_e32 v67, 29, v67
	v_lshlrev_b64 v[73:74], v68, v[65:66]
	v_and_b32_e32 v65, 7, v73
; %bb.151:                              ;   in Loop: Header=BB179_10 Depth=1
	s_or_b32 exec_lo, exec_lo, s33
	v_lshlrev_b32_e32 v0, 24, v0
	v_lshlrev_b32_e32 v65, 20, v65
	v_lshl_add_u32 v67, v67, 23, 0x3c000000
	v_and_b32_e32 v0, 0x80000000, v0
	v_or3_b32 v104, v65, v0, v67
.LBB179_152:                            ;   in Loop: Header=BB179_10 Depth=1
	s_or_b32 exec_lo, exec_lo, s31
.LBB179_153:                            ;   in Loop: Header=BB179_10 Depth=1
	s_or_b32 exec_lo, exec_lo, s17
.LBB179_154:                            ;   in Loop: Header=BB179_10 Depth=1
	s_or_b32 exec_lo, exec_lo, s3
	global_load_ubyte v0, v[71:72], off offset:520
	v_mov_b32_e32 v106, 0
	v_mov_b32_e32 v107, 0
	s_mov_b32 s3, exec_lo
	s_waitcnt vmcnt(0)
	v_cmpx_ne_u16_e32 0, v0
	s_cbranch_execz .LBB179_162
; %bb.155:                              ;   in Loop: Header=BB179_10 Depth=1
	v_bfrev_b32_e32 v107, 1
	s_mov_b32 s17, exec_lo
	v_cmpx_ne_u16_e32 0x80, v0
	s_cbranch_execz .LBB179_161
; %bb.156:                              ;   in Loop: Header=BB179_10 Depth=1
	v_and_b32_sdwa v68, v0, v85 dst_sel:DWORD dst_unused:UNUSED_PAD src0_sel:WORD_0 src1_sel:DWORD
	v_mov_b32_e32 v107, 0x7f800001
	s_mov_b32 s31, exec_lo
	v_cmpx_ne_u32_e32 0x7f, v68
	s_cbranch_execz .LBB179_160
; %bb.157:                              ;   in Loop: Header=BB179_10 Depth=1
	v_and_b32_sdwa v65, v0, v86 dst_sel:DWORD dst_unused:UNUSED_PAD src0_sel:WORD_0 src1_sel:DWORD
	v_lshrrev_b32_e32 v67, 3, v68
	s_mov_b32 s33, exec_lo
	v_cmpx_gt_u32_e32 8, v68
; %bb.158:                              ;   in Loop: Header=BB179_10 Depth=1
	v_ffbh_u32_e32 v67, v65
	v_min_u32_e32 v67, 32, v67
	v_subrev_nc_u32_e32 v68, 28, v67
	v_sub_nc_u32_e32 v67, 29, v67
	v_lshlrev_b64 v[73:74], v68, v[65:66]
	v_and_b32_e32 v65, 7, v73
; %bb.159:                              ;   in Loop: Header=BB179_10 Depth=1
	s_or_b32 exec_lo, exec_lo, s33
	v_lshlrev_b32_e32 v0, 24, v0
	v_lshlrev_b32_e32 v65, 20, v65
	v_lshl_add_u32 v67, v67, 23, 0x3c000000
	v_and_b32_e32 v0, 0x80000000, v0
	v_or3_b32 v107, v65, v0, v67
.LBB179_160:                            ;   in Loop: Header=BB179_10 Depth=1
	s_or_b32 exec_lo, exec_lo, s31
.LBB179_161:                            ;   in Loop: Header=BB179_10 Depth=1
	s_or_b32 exec_lo, exec_lo, s17
.LBB179_162:                            ;   in Loop: Header=BB179_10 Depth=1
	s_or_b32 exec_lo, exec_lo, s3
	global_load_ubyte v0, v[71:72], off offset:524
	s_mov_b32 s3, exec_lo
	s_waitcnt vmcnt(0)
	v_cmpx_ne_u16_e32 0, v0
	s_cbranch_execz .LBB179_170
; %bb.163:                              ;   in Loop: Header=BB179_10 Depth=1
	v_bfrev_b32_e32 v106, 1
	s_mov_b32 s17, exec_lo
	v_cmpx_ne_u16_e32 0x80, v0
	s_cbranch_execz .LBB179_169
; %bb.164:                              ;   in Loop: Header=BB179_10 Depth=1
	v_and_b32_sdwa v68, v0, v85 dst_sel:DWORD dst_unused:UNUSED_PAD src0_sel:WORD_0 src1_sel:DWORD
	v_mov_b32_e32 v106, 0x7f800001
	s_mov_b32 s31, exec_lo
	v_cmpx_ne_u32_e32 0x7f, v68
	s_cbranch_execz .LBB179_168
; %bb.165:                              ;   in Loop: Header=BB179_10 Depth=1
	v_and_b32_sdwa v65, v0, v86 dst_sel:DWORD dst_unused:UNUSED_PAD src0_sel:WORD_0 src1_sel:DWORD
	v_lshrrev_b32_e32 v67, 3, v68
	s_mov_b32 s33, exec_lo
	v_cmpx_gt_u32_e32 8, v68
; %bb.166:                              ;   in Loop: Header=BB179_10 Depth=1
	v_ffbh_u32_e32 v67, v65
	v_min_u32_e32 v67, 32, v67
	v_subrev_nc_u32_e32 v68, 28, v67
	v_sub_nc_u32_e32 v67, 29, v67
	v_lshlrev_b64 v[73:74], v68, v[65:66]
	v_and_b32_e32 v65, 7, v73
; %bb.167:                              ;   in Loop: Header=BB179_10 Depth=1
	s_or_b32 exec_lo, exec_lo, s33
	v_lshlrev_b32_e32 v0, 24, v0
	v_lshlrev_b32_e32 v65, 20, v65
	v_lshl_add_u32 v67, v67, 23, 0x3c000000
	v_and_b32_e32 v0, 0x80000000, v0
	v_or3_b32 v106, v65, v0, v67
.LBB179_168:                            ;   in Loop: Header=BB179_10 Depth=1
	s_or_b32 exec_lo, exec_lo, s31
.LBB179_169:                            ;   in Loop: Header=BB179_10 Depth=1
	s_or_b32 exec_lo, exec_lo, s17
.LBB179_170:                            ;   in Loop: Header=BB179_10 Depth=1
	s_or_b32 exec_lo, exec_lo, s3
	global_load_ubyte v0, v[71:72], off offset:640
	v_mov_b32_e32 v108, 0
	v_mov_b32_e32 v109, 0
	s_mov_b32 s3, exec_lo
	s_waitcnt vmcnt(0)
	v_cmpx_ne_u16_e32 0, v0
	s_cbranch_execz .LBB179_178
; %bb.171:                              ;   in Loop: Header=BB179_10 Depth=1
	v_bfrev_b32_e32 v109, 1
	s_mov_b32 s17, exec_lo
	v_cmpx_ne_u16_e32 0x80, v0
	s_cbranch_execz .LBB179_177
; %bb.172:                              ;   in Loop: Header=BB179_10 Depth=1
	v_and_b32_sdwa v68, v0, v85 dst_sel:DWORD dst_unused:UNUSED_PAD src0_sel:WORD_0 src1_sel:DWORD
	v_mov_b32_e32 v109, 0x7f800001
	s_mov_b32 s31, exec_lo
	v_cmpx_ne_u32_e32 0x7f, v68
	s_cbranch_execz .LBB179_176
; %bb.173:                              ;   in Loop: Header=BB179_10 Depth=1
	v_and_b32_sdwa v65, v0, v86 dst_sel:DWORD dst_unused:UNUSED_PAD src0_sel:WORD_0 src1_sel:DWORD
	v_lshrrev_b32_e32 v67, 3, v68
	s_mov_b32 s33, exec_lo
	v_cmpx_gt_u32_e32 8, v68
; %bb.174:                              ;   in Loop: Header=BB179_10 Depth=1
	v_ffbh_u32_e32 v67, v65
	v_min_u32_e32 v67, 32, v67
	v_subrev_nc_u32_e32 v68, 28, v67
	v_sub_nc_u32_e32 v67, 29, v67
	v_lshlrev_b64 v[73:74], v68, v[65:66]
	v_and_b32_e32 v65, 7, v73
; %bb.175:                              ;   in Loop: Header=BB179_10 Depth=1
	s_or_b32 exec_lo, exec_lo, s33
	v_lshlrev_b32_e32 v0, 24, v0
	v_lshlrev_b32_e32 v65, 20, v65
	v_lshl_add_u32 v67, v67, 23, 0x3c000000
	v_and_b32_e32 v0, 0x80000000, v0
	v_or3_b32 v109, v65, v0, v67
.LBB179_176:                            ;   in Loop: Header=BB179_10 Depth=1
	s_or_b32 exec_lo, exec_lo, s31
.LBB179_177:                            ;   in Loop: Header=BB179_10 Depth=1
	s_or_b32 exec_lo, exec_lo, s17
.LBB179_178:                            ;   in Loop: Header=BB179_10 Depth=1
	s_or_b32 exec_lo, exec_lo, s3
	global_load_ubyte v0, v[71:72], off offset:644
	s_mov_b32 s3, exec_lo
	s_waitcnt vmcnt(0)
	v_cmpx_ne_u16_e32 0, v0
	s_cbranch_execz .LBB179_186
; %bb.179:                              ;   in Loop: Header=BB179_10 Depth=1
	v_bfrev_b32_e32 v108, 1
	s_mov_b32 s17, exec_lo
	v_cmpx_ne_u16_e32 0x80, v0
	s_cbranch_execz .LBB179_185
; %bb.180:                              ;   in Loop: Header=BB179_10 Depth=1
	v_and_b32_sdwa v68, v0, v85 dst_sel:DWORD dst_unused:UNUSED_PAD src0_sel:WORD_0 src1_sel:DWORD
	v_mov_b32_e32 v108, 0x7f800001
	s_mov_b32 s31, exec_lo
	v_cmpx_ne_u32_e32 0x7f, v68
	s_cbranch_execz .LBB179_184
; %bb.181:                              ;   in Loop: Header=BB179_10 Depth=1
	v_and_b32_sdwa v65, v0, v86 dst_sel:DWORD dst_unused:UNUSED_PAD src0_sel:WORD_0 src1_sel:DWORD
	v_lshrrev_b32_e32 v67, 3, v68
	s_mov_b32 s33, exec_lo
	v_cmpx_gt_u32_e32 8, v68
; %bb.182:                              ;   in Loop: Header=BB179_10 Depth=1
	v_ffbh_u32_e32 v67, v65
	v_min_u32_e32 v67, 32, v67
	v_subrev_nc_u32_e32 v68, 28, v67
	v_sub_nc_u32_e32 v67, 29, v67
	v_lshlrev_b64 v[73:74], v68, v[65:66]
	v_and_b32_e32 v65, 7, v73
; %bb.183:                              ;   in Loop: Header=BB179_10 Depth=1
	s_or_b32 exec_lo, exec_lo, s33
	v_lshlrev_b32_e32 v0, 24, v0
	v_lshlrev_b32_e32 v65, 20, v65
	v_lshl_add_u32 v67, v67, 23, 0x3c000000
	v_and_b32_e32 v0, 0x80000000, v0
	v_or3_b32 v108, v65, v0, v67
.LBB179_184:                            ;   in Loop: Header=BB179_10 Depth=1
	s_or_b32 exec_lo, exec_lo, s31
.LBB179_185:                            ;   in Loop: Header=BB179_10 Depth=1
	s_or_b32 exec_lo, exec_lo, s17
.LBB179_186:                            ;   in Loop: Header=BB179_10 Depth=1
	s_or_b32 exec_lo, exec_lo, s3
	global_load_ubyte v0, v[71:72], off offset:648
	v_mov_b32_e32 v110, 0
	v_mov_b32_e32 v111, 0
	s_mov_b32 s3, exec_lo
	s_waitcnt vmcnt(0)
	v_cmpx_ne_u16_e32 0, v0
	s_cbranch_execz .LBB179_194
; %bb.187:                              ;   in Loop: Header=BB179_10 Depth=1
	v_bfrev_b32_e32 v111, 1
	s_mov_b32 s17, exec_lo
	v_cmpx_ne_u16_e32 0x80, v0
	s_cbranch_execz .LBB179_193
; %bb.188:                              ;   in Loop: Header=BB179_10 Depth=1
	v_and_b32_sdwa v68, v0, v85 dst_sel:DWORD dst_unused:UNUSED_PAD src0_sel:WORD_0 src1_sel:DWORD
	v_mov_b32_e32 v111, 0x7f800001
	s_mov_b32 s31, exec_lo
	v_cmpx_ne_u32_e32 0x7f, v68
	s_cbranch_execz .LBB179_192
; %bb.189:                              ;   in Loop: Header=BB179_10 Depth=1
	v_and_b32_sdwa v65, v0, v86 dst_sel:DWORD dst_unused:UNUSED_PAD src0_sel:WORD_0 src1_sel:DWORD
	v_lshrrev_b32_e32 v67, 3, v68
	s_mov_b32 s33, exec_lo
	v_cmpx_gt_u32_e32 8, v68
; %bb.190:                              ;   in Loop: Header=BB179_10 Depth=1
	v_ffbh_u32_e32 v67, v65
	v_min_u32_e32 v67, 32, v67
	v_subrev_nc_u32_e32 v68, 28, v67
	v_sub_nc_u32_e32 v67, 29, v67
	v_lshlrev_b64 v[73:74], v68, v[65:66]
	v_and_b32_e32 v65, 7, v73
; %bb.191:                              ;   in Loop: Header=BB179_10 Depth=1
	s_or_b32 exec_lo, exec_lo, s33
	v_lshlrev_b32_e32 v0, 24, v0
	v_lshlrev_b32_e32 v65, 20, v65
	v_lshl_add_u32 v67, v67, 23, 0x3c000000
	v_and_b32_e32 v0, 0x80000000, v0
	v_or3_b32 v111, v65, v0, v67
.LBB179_192:                            ;   in Loop: Header=BB179_10 Depth=1
	s_or_b32 exec_lo, exec_lo, s31
.LBB179_193:                            ;   in Loop: Header=BB179_10 Depth=1
	s_or_b32 exec_lo, exec_lo, s17
.LBB179_194:                            ;   in Loop: Header=BB179_10 Depth=1
	s_or_b32 exec_lo, exec_lo, s3
	global_load_ubyte v0, v[71:72], off offset:652
	s_mov_b32 s3, exec_lo
	s_waitcnt vmcnt(0)
	v_cmpx_ne_u16_e32 0, v0
	s_cbranch_execz .LBB179_202
; %bb.195:                              ;   in Loop: Header=BB179_10 Depth=1
	v_bfrev_b32_e32 v110, 1
	s_mov_b32 s17, exec_lo
	v_cmpx_ne_u16_e32 0x80, v0
	s_cbranch_execz .LBB179_201
; %bb.196:                              ;   in Loop: Header=BB179_10 Depth=1
	v_and_b32_sdwa v68, v0, v85 dst_sel:DWORD dst_unused:UNUSED_PAD src0_sel:WORD_0 src1_sel:DWORD
	v_mov_b32_e32 v110, 0x7f800001
	s_mov_b32 s31, exec_lo
	v_cmpx_ne_u32_e32 0x7f, v68
	s_cbranch_execz .LBB179_200
; %bb.197:                              ;   in Loop: Header=BB179_10 Depth=1
	v_and_b32_sdwa v65, v0, v86 dst_sel:DWORD dst_unused:UNUSED_PAD src0_sel:WORD_0 src1_sel:DWORD
	v_lshrrev_b32_e32 v67, 3, v68
	s_mov_b32 s33, exec_lo
	v_cmpx_gt_u32_e32 8, v68
; %bb.198:                              ;   in Loop: Header=BB179_10 Depth=1
	v_ffbh_u32_e32 v67, v65
	v_min_u32_e32 v67, 32, v67
	v_subrev_nc_u32_e32 v68, 28, v67
	v_sub_nc_u32_e32 v67, 29, v67
	v_lshlrev_b64 v[73:74], v68, v[65:66]
	v_and_b32_e32 v65, 7, v73
; %bb.199:                              ;   in Loop: Header=BB179_10 Depth=1
	s_or_b32 exec_lo, exec_lo, s33
	v_lshlrev_b32_e32 v0, 24, v0
	v_lshlrev_b32_e32 v65, 20, v65
	v_lshl_add_u32 v67, v67, 23, 0x3c000000
	v_and_b32_e32 v0, 0x80000000, v0
	v_or3_b32 v110, v65, v0, v67
.LBB179_200:                            ;   in Loop: Header=BB179_10 Depth=1
	s_or_b32 exec_lo, exec_lo, s31
.LBB179_201:                            ;   in Loop: Header=BB179_10 Depth=1
	s_or_b32 exec_lo, exec_lo, s17
.LBB179_202:                            ;   in Loop: Header=BB179_10 Depth=1
	s_or_b32 exec_lo, exec_lo, s3
	global_load_ubyte v0, v[71:72], off offset:768
	v_mov_b32_e32 v112, 0
	v_mov_b32_e32 v113, 0
	s_mov_b32 s3, exec_lo
	s_waitcnt vmcnt(0)
	v_cmpx_ne_u16_e32 0, v0
	s_cbranch_execz .LBB179_210
; %bb.203:                              ;   in Loop: Header=BB179_10 Depth=1
	v_bfrev_b32_e32 v113, 1
	s_mov_b32 s17, exec_lo
	v_cmpx_ne_u16_e32 0x80, v0
	s_cbranch_execz .LBB179_209
; %bb.204:                              ;   in Loop: Header=BB179_10 Depth=1
	v_and_b32_sdwa v68, v0, v85 dst_sel:DWORD dst_unused:UNUSED_PAD src0_sel:WORD_0 src1_sel:DWORD
	v_mov_b32_e32 v113, 0x7f800001
	s_mov_b32 s31, exec_lo
	v_cmpx_ne_u32_e32 0x7f, v68
	s_cbranch_execz .LBB179_208
; %bb.205:                              ;   in Loop: Header=BB179_10 Depth=1
	v_and_b32_sdwa v65, v0, v86 dst_sel:DWORD dst_unused:UNUSED_PAD src0_sel:WORD_0 src1_sel:DWORD
	v_lshrrev_b32_e32 v67, 3, v68
	s_mov_b32 s33, exec_lo
	v_cmpx_gt_u32_e32 8, v68
; %bb.206:                              ;   in Loop: Header=BB179_10 Depth=1
	v_ffbh_u32_e32 v67, v65
	v_min_u32_e32 v67, 32, v67
	v_subrev_nc_u32_e32 v68, 28, v67
	v_sub_nc_u32_e32 v67, 29, v67
	v_lshlrev_b64 v[73:74], v68, v[65:66]
	v_and_b32_e32 v65, 7, v73
; %bb.207:                              ;   in Loop: Header=BB179_10 Depth=1
	s_or_b32 exec_lo, exec_lo, s33
	v_lshlrev_b32_e32 v0, 24, v0
	v_lshlrev_b32_e32 v65, 20, v65
	v_lshl_add_u32 v67, v67, 23, 0x3c000000
	v_and_b32_e32 v0, 0x80000000, v0
	v_or3_b32 v113, v65, v0, v67
.LBB179_208:                            ;   in Loop: Header=BB179_10 Depth=1
	s_or_b32 exec_lo, exec_lo, s31
.LBB179_209:                            ;   in Loop: Header=BB179_10 Depth=1
	s_or_b32 exec_lo, exec_lo, s17
.LBB179_210:                            ;   in Loop: Header=BB179_10 Depth=1
	s_or_b32 exec_lo, exec_lo, s3
	global_load_ubyte v0, v[71:72], off offset:772
	s_mov_b32 s3, exec_lo
	s_waitcnt vmcnt(0)
	v_cmpx_ne_u16_e32 0, v0
	s_cbranch_execz .LBB179_218
; %bb.211:                              ;   in Loop: Header=BB179_10 Depth=1
	v_bfrev_b32_e32 v112, 1
	s_mov_b32 s17, exec_lo
	v_cmpx_ne_u16_e32 0x80, v0
	s_cbranch_execz .LBB179_217
; %bb.212:                              ;   in Loop: Header=BB179_10 Depth=1
	v_and_b32_sdwa v68, v0, v85 dst_sel:DWORD dst_unused:UNUSED_PAD src0_sel:WORD_0 src1_sel:DWORD
	v_mov_b32_e32 v112, 0x7f800001
	s_mov_b32 s31, exec_lo
	v_cmpx_ne_u32_e32 0x7f, v68
	s_cbranch_execz .LBB179_216
; %bb.213:                              ;   in Loop: Header=BB179_10 Depth=1
	v_and_b32_sdwa v65, v0, v86 dst_sel:DWORD dst_unused:UNUSED_PAD src0_sel:WORD_0 src1_sel:DWORD
	v_lshrrev_b32_e32 v67, 3, v68
	s_mov_b32 s33, exec_lo
	v_cmpx_gt_u32_e32 8, v68
; %bb.214:                              ;   in Loop: Header=BB179_10 Depth=1
	v_ffbh_u32_e32 v67, v65
	v_min_u32_e32 v67, 32, v67
	v_subrev_nc_u32_e32 v68, 28, v67
	v_sub_nc_u32_e32 v67, 29, v67
	v_lshlrev_b64 v[73:74], v68, v[65:66]
	v_and_b32_e32 v65, 7, v73
; %bb.215:                              ;   in Loop: Header=BB179_10 Depth=1
	s_or_b32 exec_lo, exec_lo, s33
	v_lshlrev_b32_e32 v0, 24, v0
	v_lshlrev_b32_e32 v65, 20, v65
	v_lshl_add_u32 v67, v67, 23, 0x3c000000
	v_and_b32_e32 v0, 0x80000000, v0
	v_or3_b32 v112, v65, v0, v67
.LBB179_216:                            ;   in Loop: Header=BB179_10 Depth=1
	s_or_b32 exec_lo, exec_lo, s31
.LBB179_217:                            ;   in Loop: Header=BB179_10 Depth=1
	s_or_b32 exec_lo, exec_lo, s17
.LBB179_218:                            ;   in Loop: Header=BB179_10 Depth=1
	s_or_b32 exec_lo, exec_lo, s3
	global_load_ubyte v0, v[71:72], off offset:776
	v_mov_b32_e32 v114, 0
	v_mov_b32_e32 v115, 0
	s_mov_b32 s3, exec_lo
	s_waitcnt vmcnt(0)
	v_cmpx_ne_u16_e32 0, v0
	s_cbranch_execz .LBB179_226
; %bb.219:                              ;   in Loop: Header=BB179_10 Depth=1
	v_bfrev_b32_e32 v115, 1
	s_mov_b32 s17, exec_lo
	v_cmpx_ne_u16_e32 0x80, v0
	s_cbranch_execz .LBB179_225
; %bb.220:                              ;   in Loop: Header=BB179_10 Depth=1
	v_and_b32_sdwa v68, v0, v85 dst_sel:DWORD dst_unused:UNUSED_PAD src0_sel:WORD_0 src1_sel:DWORD
	v_mov_b32_e32 v115, 0x7f800001
	s_mov_b32 s31, exec_lo
	v_cmpx_ne_u32_e32 0x7f, v68
	s_cbranch_execz .LBB179_224
; %bb.221:                              ;   in Loop: Header=BB179_10 Depth=1
	v_and_b32_sdwa v65, v0, v86 dst_sel:DWORD dst_unused:UNUSED_PAD src0_sel:WORD_0 src1_sel:DWORD
	v_lshrrev_b32_e32 v67, 3, v68
	s_mov_b32 s33, exec_lo
	v_cmpx_gt_u32_e32 8, v68
; %bb.222:                              ;   in Loop: Header=BB179_10 Depth=1
	v_ffbh_u32_e32 v67, v65
	v_min_u32_e32 v67, 32, v67
	v_subrev_nc_u32_e32 v68, 28, v67
	v_sub_nc_u32_e32 v67, 29, v67
	v_lshlrev_b64 v[73:74], v68, v[65:66]
	v_and_b32_e32 v65, 7, v73
; %bb.223:                              ;   in Loop: Header=BB179_10 Depth=1
	s_or_b32 exec_lo, exec_lo, s33
	v_lshlrev_b32_e32 v0, 24, v0
	v_lshlrev_b32_e32 v65, 20, v65
	v_lshl_add_u32 v67, v67, 23, 0x3c000000
	v_and_b32_e32 v0, 0x80000000, v0
	v_or3_b32 v115, v65, v0, v67
.LBB179_224:                            ;   in Loop: Header=BB179_10 Depth=1
	s_or_b32 exec_lo, exec_lo, s31
.LBB179_225:                            ;   in Loop: Header=BB179_10 Depth=1
	s_or_b32 exec_lo, exec_lo, s17
.LBB179_226:                            ;   in Loop: Header=BB179_10 Depth=1
	s_or_b32 exec_lo, exec_lo, s3
	global_load_ubyte v0, v[71:72], off offset:780
	s_mov_b32 s3, exec_lo
	s_waitcnt vmcnt(0)
	v_cmpx_ne_u16_e32 0, v0
	s_cbranch_execz .LBB179_234
; %bb.227:                              ;   in Loop: Header=BB179_10 Depth=1
	v_bfrev_b32_e32 v114, 1
	s_mov_b32 s17, exec_lo
	v_cmpx_ne_u16_e32 0x80, v0
	s_cbranch_execz .LBB179_233
; %bb.228:                              ;   in Loop: Header=BB179_10 Depth=1
	v_and_b32_sdwa v68, v0, v85 dst_sel:DWORD dst_unused:UNUSED_PAD src0_sel:WORD_0 src1_sel:DWORD
	v_mov_b32_e32 v114, 0x7f800001
	s_mov_b32 s31, exec_lo
	v_cmpx_ne_u32_e32 0x7f, v68
	s_cbranch_execz .LBB179_232
; %bb.229:                              ;   in Loop: Header=BB179_10 Depth=1
	v_and_b32_sdwa v65, v0, v86 dst_sel:DWORD dst_unused:UNUSED_PAD src0_sel:WORD_0 src1_sel:DWORD
	v_lshrrev_b32_e32 v67, 3, v68
	s_mov_b32 s33, exec_lo
	v_cmpx_gt_u32_e32 8, v68
; %bb.230:                              ;   in Loop: Header=BB179_10 Depth=1
	v_ffbh_u32_e32 v67, v65
	v_min_u32_e32 v67, 32, v67
	v_subrev_nc_u32_e32 v68, 28, v67
	v_sub_nc_u32_e32 v67, 29, v67
	v_lshlrev_b64 v[73:74], v68, v[65:66]
	v_and_b32_e32 v65, 7, v73
; %bb.231:                              ;   in Loop: Header=BB179_10 Depth=1
	s_or_b32 exec_lo, exec_lo, s33
	v_lshlrev_b32_e32 v0, 24, v0
	v_lshlrev_b32_e32 v65, 20, v65
	v_lshl_add_u32 v67, v67, 23, 0x3c000000
	v_and_b32_e32 v0, 0x80000000, v0
	v_or3_b32 v114, v65, v0, v67
.LBB179_232:                            ;   in Loop: Header=BB179_10 Depth=1
	s_or_b32 exec_lo, exec_lo, s31
.LBB179_233:                            ;   in Loop: Header=BB179_10 Depth=1
	s_or_b32 exec_lo, exec_lo, s17
.LBB179_234:                            ;   in Loop: Header=BB179_10 Depth=1
	s_or_b32 exec_lo, exec_lo, s3
	global_load_ubyte v0, v[71:72], off offset:896
	v_mov_b32_e32 v116, 0
	v_mov_b32_e32 v117, 0
	s_mov_b32 s3, exec_lo
	s_waitcnt vmcnt(0)
	v_cmpx_ne_u16_e32 0, v0
	s_cbranch_execz .LBB179_242
; %bb.235:                              ;   in Loop: Header=BB179_10 Depth=1
	v_bfrev_b32_e32 v117, 1
	s_mov_b32 s17, exec_lo
	v_cmpx_ne_u16_e32 0x80, v0
	s_cbranch_execz .LBB179_241
; %bb.236:                              ;   in Loop: Header=BB179_10 Depth=1
	v_and_b32_sdwa v68, v0, v85 dst_sel:DWORD dst_unused:UNUSED_PAD src0_sel:WORD_0 src1_sel:DWORD
	v_mov_b32_e32 v117, 0x7f800001
	s_mov_b32 s31, exec_lo
	v_cmpx_ne_u32_e32 0x7f, v68
	s_cbranch_execz .LBB179_240
; %bb.237:                              ;   in Loop: Header=BB179_10 Depth=1
	v_and_b32_sdwa v65, v0, v86 dst_sel:DWORD dst_unused:UNUSED_PAD src0_sel:WORD_0 src1_sel:DWORD
	v_lshrrev_b32_e32 v67, 3, v68
	s_mov_b32 s33, exec_lo
	v_cmpx_gt_u32_e32 8, v68
; %bb.238:                              ;   in Loop: Header=BB179_10 Depth=1
	v_ffbh_u32_e32 v67, v65
	v_min_u32_e32 v67, 32, v67
	v_subrev_nc_u32_e32 v68, 28, v67
	v_sub_nc_u32_e32 v67, 29, v67
	v_lshlrev_b64 v[73:74], v68, v[65:66]
	v_and_b32_e32 v65, 7, v73
; %bb.239:                              ;   in Loop: Header=BB179_10 Depth=1
	s_or_b32 exec_lo, exec_lo, s33
	v_lshlrev_b32_e32 v0, 24, v0
	v_lshlrev_b32_e32 v65, 20, v65
	v_lshl_add_u32 v67, v67, 23, 0x3c000000
	v_and_b32_e32 v0, 0x80000000, v0
	v_or3_b32 v117, v65, v0, v67
.LBB179_240:                            ;   in Loop: Header=BB179_10 Depth=1
	s_or_b32 exec_lo, exec_lo, s31
.LBB179_241:                            ;   in Loop: Header=BB179_10 Depth=1
	s_or_b32 exec_lo, exec_lo, s17
.LBB179_242:                            ;   in Loop: Header=BB179_10 Depth=1
	s_or_b32 exec_lo, exec_lo, s3
	global_load_ubyte v0, v[71:72], off offset:900
	s_mov_b32 s3, exec_lo
	s_waitcnt vmcnt(0)
	v_cmpx_ne_u16_e32 0, v0
	s_cbranch_execz .LBB179_250
; %bb.243:                              ;   in Loop: Header=BB179_10 Depth=1
	v_bfrev_b32_e32 v116, 1
	s_mov_b32 s17, exec_lo
	v_cmpx_ne_u16_e32 0x80, v0
	s_cbranch_execz .LBB179_249
; %bb.244:                              ;   in Loop: Header=BB179_10 Depth=1
	v_and_b32_sdwa v68, v0, v85 dst_sel:DWORD dst_unused:UNUSED_PAD src0_sel:WORD_0 src1_sel:DWORD
	v_mov_b32_e32 v116, 0x7f800001
	s_mov_b32 s31, exec_lo
	v_cmpx_ne_u32_e32 0x7f, v68
	s_cbranch_execz .LBB179_248
; %bb.245:                              ;   in Loop: Header=BB179_10 Depth=1
	v_and_b32_sdwa v65, v0, v86 dst_sel:DWORD dst_unused:UNUSED_PAD src0_sel:WORD_0 src1_sel:DWORD
	v_lshrrev_b32_e32 v67, 3, v68
	s_mov_b32 s33, exec_lo
	v_cmpx_gt_u32_e32 8, v68
; %bb.246:                              ;   in Loop: Header=BB179_10 Depth=1
	v_ffbh_u32_e32 v67, v65
	v_min_u32_e32 v67, 32, v67
	v_subrev_nc_u32_e32 v68, 28, v67
	v_sub_nc_u32_e32 v67, 29, v67
	v_lshlrev_b64 v[73:74], v68, v[65:66]
	v_and_b32_e32 v65, 7, v73
; %bb.247:                              ;   in Loop: Header=BB179_10 Depth=1
	s_or_b32 exec_lo, exec_lo, s33
	v_lshlrev_b32_e32 v0, 24, v0
	v_lshlrev_b32_e32 v65, 20, v65
	v_lshl_add_u32 v67, v67, 23, 0x3c000000
	v_and_b32_e32 v0, 0x80000000, v0
	v_or3_b32 v116, v65, v0, v67
.LBB179_248:                            ;   in Loop: Header=BB179_10 Depth=1
	s_or_b32 exec_lo, exec_lo, s31
.LBB179_249:                            ;   in Loop: Header=BB179_10 Depth=1
	s_or_b32 exec_lo, exec_lo, s17
.LBB179_250:                            ;   in Loop: Header=BB179_10 Depth=1
	s_or_b32 exec_lo, exec_lo, s3
	global_load_ubyte v0, v[71:72], off offset:904
	v_mov_b32_e32 v118, 0
	v_mov_b32_e32 v119, 0
	s_mov_b32 s3, exec_lo
	s_waitcnt vmcnt(0)
	v_cmpx_ne_u16_e32 0, v0
	s_cbranch_execz .LBB179_258
; %bb.251:                              ;   in Loop: Header=BB179_10 Depth=1
	v_bfrev_b32_e32 v119, 1
	s_mov_b32 s17, exec_lo
	v_cmpx_ne_u16_e32 0x80, v0
	s_cbranch_execz .LBB179_257
; %bb.252:                              ;   in Loop: Header=BB179_10 Depth=1
	v_and_b32_sdwa v68, v0, v85 dst_sel:DWORD dst_unused:UNUSED_PAD src0_sel:WORD_0 src1_sel:DWORD
	v_mov_b32_e32 v119, 0x7f800001
	s_mov_b32 s31, exec_lo
	v_cmpx_ne_u32_e32 0x7f, v68
	s_cbranch_execz .LBB179_256
; %bb.253:                              ;   in Loop: Header=BB179_10 Depth=1
	v_and_b32_sdwa v65, v0, v86 dst_sel:DWORD dst_unused:UNUSED_PAD src0_sel:WORD_0 src1_sel:DWORD
	v_lshrrev_b32_e32 v67, 3, v68
	s_mov_b32 s33, exec_lo
	v_cmpx_gt_u32_e32 8, v68
; %bb.254:                              ;   in Loop: Header=BB179_10 Depth=1
	v_ffbh_u32_e32 v67, v65
	v_min_u32_e32 v67, 32, v67
	v_subrev_nc_u32_e32 v68, 28, v67
	v_sub_nc_u32_e32 v67, 29, v67
	v_lshlrev_b64 v[73:74], v68, v[65:66]
	v_and_b32_e32 v65, 7, v73
; %bb.255:                              ;   in Loop: Header=BB179_10 Depth=1
	s_or_b32 exec_lo, exec_lo, s33
	v_lshlrev_b32_e32 v0, 24, v0
	v_lshlrev_b32_e32 v65, 20, v65
	v_lshl_add_u32 v67, v67, 23, 0x3c000000
	v_and_b32_e32 v0, 0x80000000, v0
	v_or3_b32 v119, v65, v0, v67
.LBB179_256:                            ;   in Loop: Header=BB179_10 Depth=1
	s_or_b32 exec_lo, exec_lo, s31
.LBB179_257:                            ;   in Loop: Header=BB179_10 Depth=1
	s_or_b32 exec_lo, exec_lo, s17
.LBB179_258:                            ;   in Loop: Header=BB179_10 Depth=1
	s_or_b32 exec_lo, exec_lo, s3
	global_load_ubyte v0, v[71:72], off offset:908
	s_mov_b32 s3, exec_lo
	s_waitcnt vmcnt(0)
	v_cmpx_ne_u16_e32 0, v0
	s_cbranch_execz .LBB179_266
; %bb.259:                              ;   in Loop: Header=BB179_10 Depth=1
	v_bfrev_b32_e32 v118, 1
	s_mov_b32 s17, exec_lo
	v_cmpx_ne_u16_e32 0x80, v0
	s_cbranch_execz .LBB179_265
; %bb.260:                              ;   in Loop: Header=BB179_10 Depth=1
	v_and_b32_sdwa v68, v0, v85 dst_sel:DWORD dst_unused:UNUSED_PAD src0_sel:WORD_0 src1_sel:DWORD
	v_mov_b32_e32 v118, 0x7f800001
	s_mov_b32 s31, exec_lo
	v_cmpx_ne_u32_e32 0x7f, v68
	s_cbranch_execz .LBB179_264
; %bb.261:                              ;   in Loop: Header=BB179_10 Depth=1
	v_and_b32_sdwa v65, v0, v86 dst_sel:DWORD dst_unused:UNUSED_PAD src0_sel:WORD_0 src1_sel:DWORD
	v_lshrrev_b32_e32 v67, 3, v68
	s_mov_b32 s33, exec_lo
	v_cmpx_gt_u32_e32 8, v68
; %bb.262:                              ;   in Loop: Header=BB179_10 Depth=1
	v_ffbh_u32_e32 v67, v65
	v_min_u32_e32 v67, 32, v67
	v_subrev_nc_u32_e32 v68, 28, v67
	v_sub_nc_u32_e32 v67, 29, v67
	v_lshlrev_b64 v[73:74], v68, v[65:66]
	v_and_b32_e32 v65, 7, v73
; %bb.263:                              ;   in Loop: Header=BB179_10 Depth=1
	s_or_b32 exec_lo, exec_lo, s33
	v_lshlrev_b32_e32 v0, 24, v0
	v_lshlrev_b32_e32 v65, 20, v65
	v_lshl_add_u32 v67, v67, 23, 0x3c000000
	v_and_b32_e32 v0, 0x80000000, v0
	v_or3_b32 v118, v65, v0, v67
.LBB179_264:                            ;   in Loop: Header=BB179_10 Depth=1
	s_or_b32 exec_lo, exec_lo, s31
.LBB179_265:                            ;   in Loop: Header=BB179_10 Depth=1
	s_or_b32 exec_lo, exec_lo, s17
.LBB179_266:                            ;   in Loop: Header=BB179_10 Depth=1
	s_or_b32 exec_lo, exec_lo, s3
	global_load_ubyte v0, v[71:72], off offset:1024
	v_mov_b32_e32 v120, 0
	v_mov_b32_e32 v121, 0
	s_mov_b32 s3, exec_lo
	s_waitcnt vmcnt(0)
	v_cmpx_ne_u16_e32 0, v0
	s_cbranch_execz .LBB179_274
; %bb.267:                              ;   in Loop: Header=BB179_10 Depth=1
	v_bfrev_b32_e32 v121, 1
	s_mov_b32 s17, exec_lo
	v_cmpx_ne_u16_e32 0x80, v0
	s_cbranch_execz .LBB179_273
; %bb.268:                              ;   in Loop: Header=BB179_10 Depth=1
	v_and_b32_sdwa v68, v0, v85 dst_sel:DWORD dst_unused:UNUSED_PAD src0_sel:WORD_0 src1_sel:DWORD
	v_mov_b32_e32 v121, 0x7f800001
	s_mov_b32 s31, exec_lo
	v_cmpx_ne_u32_e32 0x7f, v68
	s_cbranch_execz .LBB179_272
; %bb.269:                              ;   in Loop: Header=BB179_10 Depth=1
	v_and_b32_sdwa v65, v0, v86 dst_sel:DWORD dst_unused:UNUSED_PAD src0_sel:WORD_0 src1_sel:DWORD
	v_lshrrev_b32_e32 v67, 3, v68
	s_mov_b32 s33, exec_lo
	v_cmpx_gt_u32_e32 8, v68
; %bb.270:                              ;   in Loop: Header=BB179_10 Depth=1
	v_ffbh_u32_e32 v67, v65
	v_min_u32_e32 v67, 32, v67
	v_subrev_nc_u32_e32 v68, 28, v67
	v_sub_nc_u32_e32 v67, 29, v67
	v_lshlrev_b64 v[73:74], v68, v[65:66]
	v_and_b32_e32 v65, 7, v73
; %bb.271:                              ;   in Loop: Header=BB179_10 Depth=1
	s_or_b32 exec_lo, exec_lo, s33
	v_lshlrev_b32_e32 v0, 24, v0
	v_lshlrev_b32_e32 v65, 20, v65
	v_lshl_add_u32 v67, v67, 23, 0x3c000000
	v_and_b32_e32 v0, 0x80000000, v0
	v_or3_b32 v121, v65, v0, v67
.LBB179_272:                            ;   in Loop: Header=BB179_10 Depth=1
	s_or_b32 exec_lo, exec_lo, s31
.LBB179_273:                            ;   in Loop: Header=BB179_10 Depth=1
	s_or_b32 exec_lo, exec_lo, s17
.LBB179_274:                            ;   in Loop: Header=BB179_10 Depth=1
	s_or_b32 exec_lo, exec_lo, s3
	global_load_ubyte v0, v[71:72], off offset:1028
	s_mov_b32 s3, exec_lo
	s_waitcnt vmcnt(0)
	v_cmpx_ne_u16_e32 0, v0
	s_cbranch_execz .LBB179_282
; %bb.275:                              ;   in Loop: Header=BB179_10 Depth=1
	v_bfrev_b32_e32 v120, 1
	s_mov_b32 s17, exec_lo
	v_cmpx_ne_u16_e32 0x80, v0
	s_cbranch_execz .LBB179_281
; %bb.276:                              ;   in Loop: Header=BB179_10 Depth=1
	v_and_b32_sdwa v68, v0, v85 dst_sel:DWORD dst_unused:UNUSED_PAD src0_sel:WORD_0 src1_sel:DWORD
	v_mov_b32_e32 v120, 0x7f800001
	s_mov_b32 s31, exec_lo
	v_cmpx_ne_u32_e32 0x7f, v68
	s_cbranch_execz .LBB179_280
; %bb.277:                              ;   in Loop: Header=BB179_10 Depth=1
	v_and_b32_sdwa v65, v0, v86 dst_sel:DWORD dst_unused:UNUSED_PAD src0_sel:WORD_0 src1_sel:DWORD
	v_lshrrev_b32_e32 v67, 3, v68
	s_mov_b32 s33, exec_lo
	v_cmpx_gt_u32_e32 8, v68
; %bb.278:                              ;   in Loop: Header=BB179_10 Depth=1
	v_ffbh_u32_e32 v67, v65
	v_min_u32_e32 v67, 32, v67
	v_subrev_nc_u32_e32 v68, 28, v67
	v_sub_nc_u32_e32 v67, 29, v67
	v_lshlrev_b64 v[73:74], v68, v[65:66]
	v_and_b32_e32 v65, 7, v73
; %bb.279:                              ;   in Loop: Header=BB179_10 Depth=1
	s_or_b32 exec_lo, exec_lo, s33
	v_lshlrev_b32_e32 v0, 24, v0
	v_lshlrev_b32_e32 v65, 20, v65
	v_lshl_add_u32 v67, v67, 23, 0x3c000000
	v_and_b32_e32 v0, 0x80000000, v0
	v_or3_b32 v120, v65, v0, v67
.LBB179_280:                            ;   in Loop: Header=BB179_10 Depth=1
	s_or_b32 exec_lo, exec_lo, s31
.LBB179_281:                            ;   in Loop: Header=BB179_10 Depth=1
	s_or_b32 exec_lo, exec_lo, s17
.LBB179_282:                            ;   in Loop: Header=BB179_10 Depth=1
	s_or_b32 exec_lo, exec_lo, s3
	global_load_ubyte v0, v[71:72], off offset:1032
	v_mov_b32_e32 v122, 0
	v_mov_b32_e32 v123, 0
	s_mov_b32 s3, exec_lo
	s_waitcnt vmcnt(0)
	v_cmpx_ne_u16_e32 0, v0
	s_cbranch_execz .LBB179_290
; %bb.283:                              ;   in Loop: Header=BB179_10 Depth=1
	v_bfrev_b32_e32 v123, 1
	s_mov_b32 s17, exec_lo
	v_cmpx_ne_u16_e32 0x80, v0
	s_cbranch_execz .LBB179_289
; %bb.284:                              ;   in Loop: Header=BB179_10 Depth=1
	v_and_b32_sdwa v68, v0, v85 dst_sel:DWORD dst_unused:UNUSED_PAD src0_sel:WORD_0 src1_sel:DWORD
	v_mov_b32_e32 v123, 0x7f800001
	s_mov_b32 s31, exec_lo
	v_cmpx_ne_u32_e32 0x7f, v68
	s_cbranch_execz .LBB179_288
; %bb.285:                              ;   in Loop: Header=BB179_10 Depth=1
	v_and_b32_sdwa v65, v0, v86 dst_sel:DWORD dst_unused:UNUSED_PAD src0_sel:WORD_0 src1_sel:DWORD
	v_lshrrev_b32_e32 v67, 3, v68
	s_mov_b32 s33, exec_lo
	v_cmpx_gt_u32_e32 8, v68
; %bb.286:                              ;   in Loop: Header=BB179_10 Depth=1
	v_ffbh_u32_e32 v67, v65
	v_min_u32_e32 v67, 32, v67
	v_subrev_nc_u32_e32 v68, 28, v67
	v_sub_nc_u32_e32 v67, 29, v67
	v_lshlrev_b64 v[73:74], v68, v[65:66]
	v_and_b32_e32 v65, 7, v73
; %bb.287:                              ;   in Loop: Header=BB179_10 Depth=1
	s_or_b32 exec_lo, exec_lo, s33
	v_lshlrev_b32_e32 v0, 24, v0
	v_lshlrev_b32_e32 v65, 20, v65
	v_lshl_add_u32 v67, v67, 23, 0x3c000000
	v_and_b32_e32 v0, 0x80000000, v0
	v_or3_b32 v123, v65, v0, v67
.LBB179_288:                            ;   in Loop: Header=BB179_10 Depth=1
	s_or_b32 exec_lo, exec_lo, s31
.LBB179_289:                            ;   in Loop: Header=BB179_10 Depth=1
	s_or_b32 exec_lo, exec_lo, s17
.LBB179_290:                            ;   in Loop: Header=BB179_10 Depth=1
	s_or_b32 exec_lo, exec_lo, s3
	global_load_ubyte v0, v[71:72], off offset:1036
	s_mov_b32 s3, exec_lo
	s_waitcnt vmcnt(0)
	v_cmpx_ne_u16_e32 0, v0
	s_cbranch_execz .LBB179_298
; %bb.291:                              ;   in Loop: Header=BB179_10 Depth=1
	v_bfrev_b32_e32 v122, 1
	s_mov_b32 s17, exec_lo
	v_cmpx_ne_u16_e32 0x80, v0
	s_cbranch_execz .LBB179_297
; %bb.292:                              ;   in Loop: Header=BB179_10 Depth=1
	v_and_b32_sdwa v68, v0, v85 dst_sel:DWORD dst_unused:UNUSED_PAD src0_sel:WORD_0 src1_sel:DWORD
	v_mov_b32_e32 v122, 0x7f800001
	s_mov_b32 s31, exec_lo
	v_cmpx_ne_u32_e32 0x7f, v68
	s_cbranch_execz .LBB179_296
; %bb.293:                              ;   in Loop: Header=BB179_10 Depth=1
	v_and_b32_sdwa v65, v0, v86 dst_sel:DWORD dst_unused:UNUSED_PAD src0_sel:WORD_0 src1_sel:DWORD
	v_lshrrev_b32_e32 v67, 3, v68
	s_mov_b32 s33, exec_lo
	v_cmpx_gt_u32_e32 8, v68
; %bb.294:                              ;   in Loop: Header=BB179_10 Depth=1
	v_ffbh_u32_e32 v67, v65
	v_min_u32_e32 v67, 32, v67
	v_subrev_nc_u32_e32 v68, 28, v67
	v_sub_nc_u32_e32 v67, 29, v67
	v_lshlrev_b64 v[73:74], v68, v[65:66]
	v_and_b32_e32 v65, 7, v73
; %bb.295:                              ;   in Loop: Header=BB179_10 Depth=1
	s_or_b32 exec_lo, exec_lo, s33
	v_lshlrev_b32_e32 v0, 24, v0
	v_lshlrev_b32_e32 v65, 20, v65
	v_lshl_add_u32 v67, v67, 23, 0x3c000000
	v_and_b32_e32 v0, 0x80000000, v0
	v_or3_b32 v122, v65, v0, v67
.LBB179_296:                            ;   in Loop: Header=BB179_10 Depth=1
	s_or_b32 exec_lo, exec_lo, s31
.LBB179_297:                            ;   in Loop: Header=BB179_10 Depth=1
	s_or_b32 exec_lo, exec_lo, s17
.LBB179_298:                            ;   in Loop: Header=BB179_10 Depth=1
	s_or_b32 exec_lo, exec_lo, s3
	global_load_ubyte v0, v[71:72], off offset:1152
	v_mov_b32_e32 v124, 0
	v_mov_b32_e32 v125, 0
	s_mov_b32 s3, exec_lo
	s_waitcnt vmcnt(0)
	v_cmpx_ne_u16_e32 0, v0
	s_cbranch_execz .LBB179_306
; %bb.299:                              ;   in Loop: Header=BB179_10 Depth=1
	v_bfrev_b32_e32 v125, 1
	s_mov_b32 s17, exec_lo
	v_cmpx_ne_u16_e32 0x80, v0
	s_cbranch_execz .LBB179_305
; %bb.300:                              ;   in Loop: Header=BB179_10 Depth=1
	v_and_b32_sdwa v68, v0, v85 dst_sel:DWORD dst_unused:UNUSED_PAD src0_sel:WORD_0 src1_sel:DWORD
	v_mov_b32_e32 v125, 0x7f800001
	s_mov_b32 s31, exec_lo
	v_cmpx_ne_u32_e32 0x7f, v68
	s_cbranch_execz .LBB179_304
; %bb.301:                              ;   in Loop: Header=BB179_10 Depth=1
	v_and_b32_sdwa v65, v0, v86 dst_sel:DWORD dst_unused:UNUSED_PAD src0_sel:WORD_0 src1_sel:DWORD
	v_lshrrev_b32_e32 v67, 3, v68
	s_mov_b32 s33, exec_lo
	v_cmpx_gt_u32_e32 8, v68
; %bb.302:                              ;   in Loop: Header=BB179_10 Depth=1
	v_ffbh_u32_e32 v67, v65
	v_min_u32_e32 v67, 32, v67
	v_subrev_nc_u32_e32 v68, 28, v67
	v_sub_nc_u32_e32 v67, 29, v67
	v_lshlrev_b64 v[73:74], v68, v[65:66]
	v_and_b32_e32 v65, 7, v73
; %bb.303:                              ;   in Loop: Header=BB179_10 Depth=1
	s_or_b32 exec_lo, exec_lo, s33
	v_lshlrev_b32_e32 v0, 24, v0
	v_lshlrev_b32_e32 v65, 20, v65
	v_lshl_add_u32 v67, v67, 23, 0x3c000000
	v_and_b32_e32 v0, 0x80000000, v0
	v_or3_b32 v125, v65, v0, v67
.LBB179_304:                            ;   in Loop: Header=BB179_10 Depth=1
	s_or_b32 exec_lo, exec_lo, s31
.LBB179_305:                            ;   in Loop: Header=BB179_10 Depth=1
	s_or_b32 exec_lo, exec_lo, s17
.LBB179_306:                            ;   in Loop: Header=BB179_10 Depth=1
	s_or_b32 exec_lo, exec_lo, s3
	global_load_ubyte v0, v[71:72], off offset:1156
	s_mov_b32 s3, exec_lo
	s_waitcnt vmcnt(0)
	v_cmpx_ne_u16_e32 0, v0
	s_cbranch_execz .LBB179_314
; %bb.307:                              ;   in Loop: Header=BB179_10 Depth=1
	v_bfrev_b32_e32 v124, 1
	s_mov_b32 s17, exec_lo
	v_cmpx_ne_u16_e32 0x80, v0
	s_cbranch_execz .LBB179_313
; %bb.308:                              ;   in Loop: Header=BB179_10 Depth=1
	v_and_b32_sdwa v68, v0, v85 dst_sel:DWORD dst_unused:UNUSED_PAD src0_sel:WORD_0 src1_sel:DWORD
	v_mov_b32_e32 v124, 0x7f800001
	s_mov_b32 s31, exec_lo
	v_cmpx_ne_u32_e32 0x7f, v68
	s_cbranch_execz .LBB179_312
; %bb.309:                              ;   in Loop: Header=BB179_10 Depth=1
	v_and_b32_sdwa v65, v0, v86 dst_sel:DWORD dst_unused:UNUSED_PAD src0_sel:WORD_0 src1_sel:DWORD
	v_lshrrev_b32_e32 v67, 3, v68
	s_mov_b32 s33, exec_lo
	v_cmpx_gt_u32_e32 8, v68
; %bb.310:                              ;   in Loop: Header=BB179_10 Depth=1
	v_ffbh_u32_e32 v67, v65
	v_min_u32_e32 v67, 32, v67
	v_subrev_nc_u32_e32 v68, 28, v67
	v_sub_nc_u32_e32 v67, 29, v67
	v_lshlrev_b64 v[73:74], v68, v[65:66]
	v_and_b32_e32 v65, 7, v73
; %bb.311:                              ;   in Loop: Header=BB179_10 Depth=1
	s_or_b32 exec_lo, exec_lo, s33
	v_lshlrev_b32_e32 v0, 24, v0
	v_lshlrev_b32_e32 v65, 20, v65
	v_lshl_add_u32 v67, v67, 23, 0x3c000000
	v_and_b32_e32 v0, 0x80000000, v0
	v_or3_b32 v124, v65, v0, v67
.LBB179_312:                            ;   in Loop: Header=BB179_10 Depth=1
	s_or_b32 exec_lo, exec_lo, s31
.LBB179_313:                            ;   in Loop: Header=BB179_10 Depth=1
	s_or_b32 exec_lo, exec_lo, s17
.LBB179_314:                            ;   in Loop: Header=BB179_10 Depth=1
	s_or_b32 exec_lo, exec_lo, s3
	global_load_ubyte v0, v[71:72], off offset:1160
	v_mov_b32_e32 v126, 0
	v_mov_b32_e32 v127, 0
	s_mov_b32 s3, exec_lo
	s_waitcnt vmcnt(0)
	v_cmpx_ne_u16_e32 0, v0
	s_cbranch_execz .LBB179_322
; %bb.315:                              ;   in Loop: Header=BB179_10 Depth=1
	v_bfrev_b32_e32 v127, 1
	s_mov_b32 s17, exec_lo
	v_cmpx_ne_u16_e32 0x80, v0
	s_cbranch_execz .LBB179_321
; %bb.316:                              ;   in Loop: Header=BB179_10 Depth=1
	v_and_b32_sdwa v68, v0, v85 dst_sel:DWORD dst_unused:UNUSED_PAD src0_sel:WORD_0 src1_sel:DWORD
	v_mov_b32_e32 v127, 0x7f800001
	s_mov_b32 s31, exec_lo
	v_cmpx_ne_u32_e32 0x7f, v68
	s_cbranch_execz .LBB179_320
; %bb.317:                              ;   in Loop: Header=BB179_10 Depth=1
	v_and_b32_sdwa v65, v0, v86 dst_sel:DWORD dst_unused:UNUSED_PAD src0_sel:WORD_0 src1_sel:DWORD
	v_lshrrev_b32_e32 v67, 3, v68
	s_mov_b32 s33, exec_lo
	v_cmpx_gt_u32_e32 8, v68
; %bb.318:                              ;   in Loop: Header=BB179_10 Depth=1
	v_ffbh_u32_e32 v67, v65
	v_min_u32_e32 v67, 32, v67
	v_subrev_nc_u32_e32 v68, 28, v67
	v_sub_nc_u32_e32 v67, 29, v67
	v_lshlrev_b64 v[73:74], v68, v[65:66]
	v_and_b32_e32 v65, 7, v73
; %bb.319:                              ;   in Loop: Header=BB179_10 Depth=1
	s_or_b32 exec_lo, exec_lo, s33
	v_lshlrev_b32_e32 v0, 24, v0
	v_lshlrev_b32_e32 v65, 20, v65
	v_lshl_add_u32 v67, v67, 23, 0x3c000000
	v_and_b32_e32 v0, 0x80000000, v0
	v_or3_b32 v127, v65, v0, v67
.LBB179_320:                            ;   in Loop: Header=BB179_10 Depth=1
	s_or_b32 exec_lo, exec_lo, s31
.LBB179_321:                            ;   in Loop: Header=BB179_10 Depth=1
	s_or_b32 exec_lo, exec_lo, s17
.LBB179_322:                            ;   in Loop: Header=BB179_10 Depth=1
	s_or_b32 exec_lo, exec_lo, s3
	global_load_ubyte v0, v[71:72], off offset:1164
	s_mov_b32 s3, exec_lo
	s_waitcnt vmcnt(0)
	v_cmpx_ne_u16_e32 0, v0
	s_cbranch_execz .LBB179_330
; %bb.323:                              ;   in Loop: Header=BB179_10 Depth=1
	v_bfrev_b32_e32 v126, 1
	s_mov_b32 s17, exec_lo
	v_cmpx_ne_u16_e32 0x80, v0
	s_cbranch_execz .LBB179_329
; %bb.324:                              ;   in Loop: Header=BB179_10 Depth=1
	v_and_b32_sdwa v68, v0, v85 dst_sel:DWORD dst_unused:UNUSED_PAD src0_sel:WORD_0 src1_sel:DWORD
	v_mov_b32_e32 v126, 0x7f800001
	s_mov_b32 s31, exec_lo
	v_cmpx_ne_u32_e32 0x7f, v68
	s_cbranch_execz .LBB179_328
; %bb.325:                              ;   in Loop: Header=BB179_10 Depth=1
	v_and_b32_sdwa v65, v0, v86 dst_sel:DWORD dst_unused:UNUSED_PAD src0_sel:WORD_0 src1_sel:DWORD
	v_lshrrev_b32_e32 v67, 3, v68
	s_mov_b32 s33, exec_lo
	v_cmpx_gt_u32_e32 8, v68
; %bb.326:                              ;   in Loop: Header=BB179_10 Depth=1
	v_ffbh_u32_e32 v67, v65
	v_min_u32_e32 v67, 32, v67
	v_subrev_nc_u32_e32 v68, 28, v67
	v_sub_nc_u32_e32 v67, 29, v67
	v_lshlrev_b64 v[73:74], v68, v[65:66]
	v_and_b32_e32 v65, 7, v73
; %bb.327:                              ;   in Loop: Header=BB179_10 Depth=1
	s_or_b32 exec_lo, exec_lo, s33
	v_lshlrev_b32_e32 v0, 24, v0
	v_lshlrev_b32_e32 v65, 20, v65
	v_lshl_add_u32 v67, v67, 23, 0x3c000000
	v_and_b32_e32 v0, 0x80000000, v0
	v_or3_b32 v126, v65, v0, v67
.LBB179_328:                            ;   in Loop: Header=BB179_10 Depth=1
	s_or_b32 exec_lo, exec_lo, s31
.LBB179_329:                            ;   in Loop: Header=BB179_10 Depth=1
	s_or_b32 exec_lo, exec_lo, s17
.LBB179_330:                            ;   in Loop: Header=BB179_10 Depth=1
	s_or_b32 exec_lo, exec_lo, s3
	global_load_ubyte v0, v[71:72], off offset:1280
	v_mov_b32_e32 v77, 0
	v_mov_b32_e32 v76, 0
	s_mov_b32 s3, exec_lo
	s_waitcnt vmcnt(0)
	v_cmpx_ne_u16_e32 0, v0
	s_cbranch_execz .LBB179_338
; %bb.331:                              ;   in Loop: Header=BB179_10 Depth=1
	v_bfrev_b32_e32 v76, 1
	s_mov_b32 s17, exec_lo
	v_cmpx_ne_u16_e32 0x80, v0
	s_cbranch_execz .LBB179_337
; %bb.332:                              ;   in Loop: Header=BB179_10 Depth=1
	v_and_b32_sdwa v68, v0, v85 dst_sel:DWORD dst_unused:UNUSED_PAD src0_sel:WORD_0 src1_sel:DWORD
	v_mov_b32_e32 v76, 0x7f800001
	s_mov_b32 s31, exec_lo
	v_cmpx_ne_u32_e32 0x7f, v68
	s_cbranch_execz .LBB179_336
; %bb.333:                              ;   in Loop: Header=BB179_10 Depth=1
	v_and_b32_sdwa v65, v0, v86 dst_sel:DWORD dst_unused:UNUSED_PAD src0_sel:WORD_0 src1_sel:DWORD
	v_lshrrev_b32_e32 v67, 3, v68
	s_mov_b32 s33, exec_lo
	v_cmpx_gt_u32_e32 8, v68
; %bb.334:                              ;   in Loop: Header=BB179_10 Depth=1
	v_ffbh_u32_e32 v67, v65
	v_min_u32_e32 v67, 32, v67
	v_subrev_nc_u32_e32 v68, 28, v67
	v_sub_nc_u32_e32 v67, 29, v67
	v_lshlrev_b64 v[73:74], v68, v[65:66]
	v_and_b32_e32 v65, 7, v73
; %bb.335:                              ;   in Loop: Header=BB179_10 Depth=1
	s_or_b32 exec_lo, exec_lo, s33
	v_lshlrev_b32_e32 v0, 24, v0
	v_lshlrev_b32_e32 v65, 20, v65
	v_lshl_add_u32 v67, v67, 23, 0x3c000000
	v_and_b32_e32 v0, 0x80000000, v0
	v_or3_b32 v76, v65, v0, v67
.LBB179_336:                            ;   in Loop: Header=BB179_10 Depth=1
	s_or_b32 exec_lo, exec_lo, s31
.LBB179_337:                            ;   in Loop: Header=BB179_10 Depth=1
	s_or_b32 exec_lo, exec_lo, s17
.LBB179_338:                            ;   in Loop: Header=BB179_10 Depth=1
	s_or_b32 exec_lo, exec_lo, s3
	global_load_ubyte v0, v[71:72], off offset:1284
	s_mov_b32 s3, exec_lo
	s_waitcnt vmcnt(0)
	v_cmpx_ne_u16_e32 0, v0
	s_cbranch_execz .LBB179_346
; %bb.339:                              ;   in Loop: Header=BB179_10 Depth=1
	v_bfrev_b32_e32 v77, 1
	s_mov_b32 s17, exec_lo
	v_cmpx_ne_u16_e32 0x80, v0
	s_cbranch_execz .LBB179_345
; %bb.340:                              ;   in Loop: Header=BB179_10 Depth=1
	v_and_b32_sdwa v68, v0, v85 dst_sel:DWORD dst_unused:UNUSED_PAD src0_sel:WORD_0 src1_sel:DWORD
	v_mov_b32_e32 v77, 0x7f800001
	s_mov_b32 s31, exec_lo
	v_cmpx_ne_u32_e32 0x7f, v68
	s_cbranch_execz .LBB179_344
; %bb.341:                              ;   in Loop: Header=BB179_10 Depth=1
	v_and_b32_sdwa v65, v0, v86 dst_sel:DWORD dst_unused:UNUSED_PAD src0_sel:WORD_0 src1_sel:DWORD
	v_lshrrev_b32_e32 v67, 3, v68
	s_mov_b32 s33, exec_lo
	v_cmpx_gt_u32_e32 8, v68
; %bb.342:                              ;   in Loop: Header=BB179_10 Depth=1
	v_ffbh_u32_e32 v67, v65
	v_min_u32_e32 v67, 32, v67
	v_subrev_nc_u32_e32 v68, 28, v67
	v_sub_nc_u32_e32 v67, 29, v67
	v_lshlrev_b64 v[73:74], v68, v[65:66]
	v_and_b32_e32 v65, 7, v73
; %bb.343:                              ;   in Loop: Header=BB179_10 Depth=1
	s_or_b32 exec_lo, exec_lo, s33
	v_lshlrev_b32_e32 v0, 24, v0
	v_lshlrev_b32_e32 v65, 20, v65
	v_lshl_add_u32 v67, v67, 23, 0x3c000000
	v_and_b32_e32 v0, 0x80000000, v0
	v_or3_b32 v77, v65, v0, v67
.LBB179_344:                            ;   in Loop: Header=BB179_10 Depth=1
	s_or_b32 exec_lo, exec_lo, s31
.LBB179_345:                            ;   in Loop: Header=BB179_10 Depth=1
	s_or_b32 exec_lo, exec_lo, s17
.LBB179_346:                            ;   in Loop: Header=BB179_10 Depth=1
	s_or_b32 exec_lo, exec_lo, s3
	global_load_ubyte v0, v[71:72], off offset:1288
	v_mov_b32_e32 v75, 0
	v_mov_b32_e32 v79, 0
	s_mov_b32 s3, exec_lo
	s_waitcnt vmcnt(0)
	v_cmpx_ne_u16_e32 0, v0
	s_cbranch_execz .LBB179_354
; %bb.347:                              ;   in Loop: Header=BB179_10 Depth=1
	v_bfrev_b32_e32 v79, 1
	s_mov_b32 s17, exec_lo
	v_cmpx_ne_u16_e32 0x80, v0
	s_cbranch_execz .LBB179_353
; %bb.348:                              ;   in Loop: Header=BB179_10 Depth=1
	v_and_b32_sdwa v68, v0, v85 dst_sel:DWORD dst_unused:UNUSED_PAD src0_sel:WORD_0 src1_sel:DWORD
	v_mov_b32_e32 v79, 0x7f800001
	s_mov_b32 s31, exec_lo
	v_cmpx_ne_u32_e32 0x7f, v68
	s_cbranch_execz .LBB179_352
; %bb.349:                              ;   in Loop: Header=BB179_10 Depth=1
	v_and_b32_sdwa v65, v0, v86 dst_sel:DWORD dst_unused:UNUSED_PAD src0_sel:WORD_0 src1_sel:DWORD
	v_lshrrev_b32_e32 v67, 3, v68
	s_mov_b32 s33, exec_lo
	v_cmpx_gt_u32_e32 8, v68
; %bb.350:                              ;   in Loop: Header=BB179_10 Depth=1
	v_ffbh_u32_e32 v67, v65
	v_min_u32_e32 v67, 32, v67
	v_subrev_nc_u32_e32 v68, 28, v67
	v_sub_nc_u32_e32 v67, 29, v67
	v_lshlrev_b64 v[73:74], v68, v[65:66]
	v_and_b32_e32 v65, 7, v73
; %bb.351:                              ;   in Loop: Header=BB179_10 Depth=1
	s_or_b32 exec_lo, exec_lo, s33
	v_lshlrev_b32_e32 v0, 24, v0
	v_lshlrev_b32_e32 v65, 20, v65
	v_lshl_add_u32 v67, v67, 23, 0x3c000000
	v_and_b32_e32 v0, 0x80000000, v0
	v_or3_b32 v79, v65, v0, v67
.LBB179_352:                            ;   in Loop: Header=BB179_10 Depth=1
	s_or_b32 exec_lo, exec_lo, s31
.LBB179_353:                            ;   in Loop: Header=BB179_10 Depth=1
	s_or_b32 exec_lo, exec_lo, s17
.LBB179_354:                            ;   in Loop: Header=BB179_10 Depth=1
	s_or_b32 exec_lo, exec_lo, s3
	global_load_ubyte v0, v[71:72], off offset:1292
	s_mov_b32 s3, exec_lo
	s_waitcnt vmcnt(0)
	v_cmpx_ne_u16_e32 0, v0
	s_cbranch_execz .LBB179_362
; %bb.355:                              ;   in Loop: Header=BB179_10 Depth=1
	v_bfrev_b32_e32 v75, 1
	s_mov_b32 s17, exec_lo
	v_cmpx_ne_u16_e32 0x80, v0
	s_cbranch_execz .LBB179_361
; %bb.356:                              ;   in Loop: Header=BB179_10 Depth=1
	v_and_b32_sdwa v68, v0, v85 dst_sel:DWORD dst_unused:UNUSED_PAD src0_sel:WORD_0 src1_sel:DWORD
	v_mov_b32_e32 v75, 0x7f800001
	s_mov_b32 s31, exec_lo
	v_cmpx_ne_u32_e32 0x7f, v68
	s_cbranch_execz .LBB179_360
; %bb.357:                              ;   in Loop: Header=BB179_10 Depth=1
	v_and_b32_sdwa v65, v0, v86 dst_sel:DWORD dst_unused:UNUSED_PAD src0_sel:WORD_0 src1_sel:DWORD
	v_lshrrev_b32_e32 v67, 3, v68
	s_mov_b32 s33, exec_lo
	v_cmpx_gt_u32_e32 8, v68
; %bb.358:                              ;   in Loop: Header=BB179_10 Depth=1
	v_ffbh_u32_e32 v67, v65
	v_min_u32_e32 v67, 32, v67
	v_subrev_nc_u32_e32 v68, 28, v67
	v_sub_nc_u32_e32 v67, 29, v67
	v_lshlrev_b64 v[73:74], v68, v[65:66]
	v_and_b32_e32 v65, 7, v73
; %bb.359:                              ;   in Loop: Header=BB179_10 Depth=1
	s_or_b32 exec_lo, exec_lo, s33
	v_lshlrev_b32_e32 v0, 24, v0
	v_lshlrev_b32_e32 v65, 20, v65
	v_lshl_add_u32 v67, v67, 23, 0x3c000000
	v_and_b32_e32 v0, 0x80000000, v0
	v_or3_b32 v75, v65, v0, v67
.LBB179_360:                            ;   in Loop: Header=BB179_10 Depth=1
	s_or_b32 exec_lo, exec_lo, s31
.LBB179_361:                            ;   in Loop: Header=BB179_10 Depth=1
	s_or_b32 exec_lo, exec_lo, s17
.LBB179_362:                            ;   in Loop: Header=BB179_10 Depth=1
	s_or_b32 exec_lo, exec_lo, s3
	global_load_ubyte v67, v[71:72], off offset:1408
	v_mov_b32_e32 v78, 0
	v_mov_b32_e32 v0, 0
	s_mov_b32 s3, exec_lo
	s_waitcnt vmcnt(0)
	v_cmpx_ne_u16_e32 0, v67
	s_cbranch_execz .LBB179_370
; %bb.363:                              ;   in Loop: Header=BB179_10 Depth=1
	v_bfrev_b32_e32 v0, 1
	s_mov_b32 s17, exec_lo
	v_cmpx_ne_u16_e32 0x80, v67
	s_cbranch_execz .LBB179_369
; %bb.364:                              ;   in Loop: Header=BB179_10 Depth=1
	v_and_b32_sdwa v68, v67, v85 dst_sel:DWORD dst_unused:UNUSED_PAD src0_sel:WORD_0 src1_sel:DWORD
	v_mov_b32_e32 v0, 0x7f800001
	s_mov_b32 s31, exec_lo
	v_cmpx_ne_u32_e32 0x7f, v68
	s_cbranch_execz .LBB179_368
; %bb.365:                              ;   in Loop: Header=BB179_10 Depth=1
	v_and_b32_sdwa v65, v67, v86 dst_sel:DWORD dst_unused:UNUSED_PAD src0_sel:WORD_0 src1_sel:DWORD
	v_lshrrev_b32_e32 v0, 3, v68
	s_mov_b32 s33, exec_lo
	v_cmpx_gt_u32_e32 8, v68
; %bb.366:                              ;   in Loop: Header=BB179_10 Depth=1
	v_ffbh_u32_e32 v0, v65
	v_min_u32_e32 v0, 32, v0
	v_subrev_nc_u32_e32 v68, 28, v0
	v_sub_nc_u32_e32 v0, 29, v0
	v_lshlrev_b64 v[73:74], v68, v[65:66]
	v_and_b32_e32 v65, 7, v73
; %bb.367:                              ;   in Loop: Header=BB179_10 Depth=1
	s_or_b32 exec_lo, exec_lo, s33
	v_lshlrev_b32_e32 v67, 24, v67
	v_lshlrev_b32_e32 v65, 20, v65
	v_lshl_add_u32 v0, v0, 23, 0x3c000000
	v_and_b32_e32 v67, 0x80000000, v67
	v_or3_b32 v0, v65, v67, v0
.LBB179_368:                            ;   in Loop: Header=BB179_10 Depth=1
	s_or_b32 exec_lo, exec_lo, s31
.LBB179_369:                            ;   in Loop: Header=BB179_10 Depth=1
	s_or_b32 exec_lo, exec_lo, s17
.LBB179_370:                            ;   in Loop: Header=BB179_10 Depth=1
	s_or_b32 exec_lo, exec_lo, s3
	global_load_ubyte v67, v[71:72], off offset:1412
	s_mov_b32 s3, exec_lo
	s_waitcnt vmcnt(0)
	v_cmpx_ne_u16_e32 0, v67
	s_cbranch_execz .LBB179_378
; %bb.371:                              ;   in Loop: Header=BB179_10 Depth=1
	v_bfrev_b32_e32 v78, 1
	s_mov_b32 s17, exec_lo
	v_cmpx_ne_u16_e32 0x80, v67
	s_cbranch_execz .LBB179_377
; %bb.372:                              ;   in Loop: Header=BB179_10 Depth=1
	v_and_b32_sdwa v73, v67, v85 dst_sel:DWORD dst_unused:UNUSED_PAD src0_sel:WORD_0 src1_sel:DWORD
	v_mov_b32_e32 v78, 0x7f800001
	s_mov_b32 s31, exec_lo
	v_cmpx_ne_u32_e32 0x7f, v73
	s_cbranch_execz .LBB179_376
; %bb.373:                              ;   in Loop: Header=BB179_10 Depth=1
	v_and_b32_sdwa v65, v67, v86 dst_sel:DWORD dst_unused:UNUSED_PAD src0_sel:WORD_0 src1_sel:DWORD
	v_lshrrev_b32_e32 v68, 3, v73
	s_mov_b32 s33, exec_lo
	v_cmpx_gt_u32_e32 8, v73
; %bb.374:                              ;   in Loop: Header=BB179_10 Depth=1
	v_ffbh_u32_e32 v68, v65
	v_min_u32_e32 v68, 32, v68
	v_subrev_nc_u32_e32 v73, 28, v68
	v_sub_nc_u32_e32 v68, 29, v68
	v_lshlrev_b64 v[73:74], v73, v[65:66]
	v_and_b32_e32 v65, 7, v73
; %bb.375:                              ;   in Loop: Header=BB179_10 Depth=1
	s_or_b32 exec_lo, exec_lo, s33
	v_lshlrev_b32_e32 v67, 24, v67
	v_lshlrev_b32_e32 v65, 20, v65
	v_lshl_add_u32 v68, v68, 23, 0x3c000000
	v_and_b32_e32 v67, 0x80000000, v67
	v_or3_b32 v78, v65, v67, v68
.LBB179_376:                            ;   in Loop: Header=BB179_10 Depth=1
	s_or_b32 exec_lo, exec_lo, s31
.LBB179_377:                            ;   in Loop: Header=BB179_10 Depth=1
	s_or_b32 exec_lo, exec_lo, s17
.LBB179_378:                            ;   in Loop: Header=BB179_10 Depth=1
	s_or_b32 exec_lo, exec_lo, s3
	global_load_ubyte v67, v[71:72], off offset:1416
	v_mov_b32_e32 v80, 0
	v_mov_b32_e32 v81, 0
	s_mov_b32 s3, exec_lo
	s_waitcnt vmcnt(0)
	v_cmpx_ne_u16_e32 0, v67
	s_cbranch_execz .LBB179_386
; %bb.379:                              ;   in Loop: Header=BB179_10 Depth=1
	v_bfrev_b32_e32 v81, 1
	s_mov_b32 s17, exec_lo
	v_cmpx_ne_u16_e32 0x80, v67
	s_cbranch_execz .LBB179_385
; %bb.380:                              ;   in Loop: Header=BB179_10 Depth=1
	v_and_b32_sdwa v73, v67, v85 dst_sel:DWORD dst_unused:UNUSED_PAD src0_sel:WORD_0 src1_sel:DWORD
	v_mov_b32_e32 v81, 0x7f800001
	s_mov_b32 s31, exec_lo
	v_cmpx_ne_u32_e32 0x7f, v73
	s_cbranch_execz .LBB179_384
; %bb.381:                              ;   in Loop: Header=BB179_10 Depth=1
	v_and_b32_sdwa v65, v67, v86 dst_sel:DWORD dst_unused:UNUSED_PAD src0_sel:WORD_0 src1_sel:DWORD
	v_lshrrev_b32_e32 v68, 3, v73
	s_mov_b32 s33, exec_lo
	v_cmpx_gt_u32_e32 8, v73
; %bb.382:                              ;   in Loop: Header=BB179_10 Depth=1
	v_ffbh_u32_e32 v68, v65
	v_min_u32_e32 v68, 32, v68
	v_subrev_nc_u32_e32 v73, 28, v68
	v_sub_nc_u32_e32 v68, 29, v68
	v_lshlrev_b64 v[73:74], v73, v[65:66]
	v_and_b32_e32 v65, 7, v73
; %bb.383:                              ;   in Loop: Header=BB179_10 Depth=1
	s_or_b32 exec_lo, exec_lo, s33
	v_lshlrev_b32_e32 v67, 24, v67
	v_lshlrev_b32_e32 v65, 20, v65
	v_lshl_add_u32 v68, v68, 23, 0x3c000000
	v_and_b32_e32 v67, 0x80000000, v67
	v_or3_b32 v81, v65, v67, v68
.LBB179_384:                            ;   in Loop: Header=BB179_10 Depth=1
	s_or_b32 exec_lo, exec_lo, s31
.LBB179_385:                            ;   in Loop: Header=BB179_10 Depth=1
	s_or_b32 exec_lo, exec_lo, s17
.LBB179_386:                            ;   in Loop: Header=BB179_10 Depth=1
	s_or_b32 exec_lo, exec_lo, s3
	global_load_ubyte v67, v[71:72], off offset:1420
	s_mov_b32 s3, exec_lo
	s_waitcnt vmcnt(0)
	v_cmpx_ne_u16_e32 0, v67
	s_cbranch_execz .LBB179_394
; %bb.387:                              ;   in Loop: Header=BB179_10 Depth=1
	v_bfrev_b32_e32 v80, 1
	s_mov_b32 s17, exec_lo
	v_cmpx_ne_u16_e32 0x80, v67
	s_cbranch_execz .LBB179_393
; %bb.388:                              ;   in Loop: Header=BB179_10 Depth=1
	v_and_b32_sdwa v73, v67, v85 dst_sel:DWORD dst_unused:UNUSED_PAD src0_sel:WORD_0 src1_sel:DWORD
	v_mov_b32_e32 v80, 0x7f800001
	s_mov_b32 s31, exec_lo
	v_cmpx_ne_u32_e32 0x7f, v73
	s_cbranch_execz .LBB179_392
; %bb.389:                              ;   in Loop: Header=BB179_10 Depth=1
	v_and_b32_sdwa v65, v67, v86 dst_sel:DWORD dst_unused:UNUSED_PAD src0_sel:WORD_0 src1_sel:DWORD
	v_lshrrev_b32_e32 v68, 3, v73
	s_mov_b32 s33, exec_lo
	v_cmpx_gt_u32_e32 8, v73
; %bb.390:                              ;   in Loop: Header=BB179_10 Depth=1
	v_ffbh_u32_e32 v68, v65
	v_min_u32_e32 v68, 32, v68
	v_subrev_nc_u32_e32 v73, 28, v68
	v_sub_nc_u32_e32 v68, 29, v68
	v_lshlrev_b64 v[73:74], v73, v[65:66]
	v_and_b32_e32 v65, 7, v73
; %bb.391:                              ;   in Loop: Header=BB179_10 Depth=1
	s_or_b32 exec_lo, exec_lo, s33
	v_lshlrev_b32_e32 v67, 24, v67
	v_lshlrev_b32_e32 v65, 20, v65
	v_lshl_add_u32 v68, v68, 23, 0x3c000000
	v_and_b32_e32 v67, 0x80000000, v67
	v_or3_b32 v80, v65, v67, v68
.LBB179_392:                            ;   in Loop: Header=BB179_10 Depth=1
	s_or_b32 exec_lo, exec_lo, s31
.LBB179_393:                            ;   in Loop: Header=BB179_10 Depth=1
	s_or_b32 exec_lo, exec_lo, s17
.LBB179_394:                            ;   in Loop: Header=BB179_10 Depth=1
	s_or_b32 exec_lo, exec_lo, s3
	global_load_ubyte v73, v[71:72], off offset:1536
	v_mov_b32_e32 v67, 0
	v_mov_b32_e32 v68, 0
	s_mov_b32 s3, exec_lo
	s_waitcnt vmcnt(0)
	v_cmpx_ne_u16_e32 0, v73
	s_cbranch_execz .LBB179_402
; %bb.395:                              ;   in Loop: Header=BB179_10 Depth=1
	v_bfrev_b32_e32 v68, 1
	s_mov_b32 s17, exec_lo
	v_cmpx_ne_u16_e32 0x80, v73
	s_cbranch_execz .LBB179_401
; %bb.396:                              ;   in Loop: Header=BB179_10 Depth=1
	v_and_b32_sdwa v74, v73, v85 dst_sel:DWORD dst_unused:UNUSED_PAD src0_sel:WORD_0 src1_sel:DWORD
	v_mov_b32_e32 v68, 0x7f800001
	s_mov_b32 s31, exec_lo
	v_cmpx_ne_u32_e32 0x7f, v74
	s_cbranch_execz .LBB179_400
; %bb.397:                              ;   in Loop: Header=BB179_10 Depth=1
	v_and_b32_sdwa v65, v73, v86 dst_sel:DWORD dst_unused:UNUSED_PAD src0_sel:WORD_0 src1_sel:DWORD
	v_lshrrev_b32_e32 v68, 3, v74
	s_mov_b32 s33, exec_lo
	v_cmpx_gt_u32_e32 8, v74
; %bb.398:                              ;   in Loop: Header=BB179_10 Depth=1
	v_ffbh_u32_e32 v68, v65
	v_min_u32_e32 v68, 32, v68
	v_subrev_nc_u32_e32 v74, 28, v68
	v_sub_nc_u32_e32 v68, 29, v68
	v_lshlrev_b64 v[88:89], v74, v[65:66]
	v_and_b32_e32 v65, 7, v88
; %bb.399:                              ;   in Loop: Header=BB179_10 Depth=1
	s_or_b32 exec_lo, exec_lo, s33
	v_lshlrev_b32_e32 v73, 24, v73
	v_lshlrev_b32_e32 v65, 20, v65
	v_lshl_add_u32 v68, v68, 23, 0x3c000000
	v_and_b32_e32 v73, 0x80000000, v73
	v_or3_b32 v68, v65, v73, v68
.LBB179_400:                            ;   in Loop: Header=BB179_10 Depth=1
	s_or_b32 exec_lo, exec_lo, s31
.LBB179_401:                            ;   in Loop: Header=BB179_10 Depth=1
	s_or_b32 exec_lo, exec_lo, s17
.LBB179_402:                            ;   in Loop: Header=BB179_10 Depth=1
	s_or_b32 exec_lo, exec_lo, s3
	global_load_ubyte v73, v[71:72], off offset:1540
	s_mov_b32 s3, exec_lo
	s_waitcnt vmcnt(0)
	v_cmpx_ne_u16_e32 0, v73
	s_cbranch_execz .LBB179_410
; %bb.403:                              ;   in Loop: Header=BB179_10 Depth=1
	v_bfrev_b32_e32 v67, 1
	s_mov_b32 s17, exec_lo
	v_cmpx_ne_u16_e32 0x80, v73
	s_cbranch_execz .LBB179_409
; %bb.404:                              ;   in Loop: Header=BB179_10 Depth=1
	v_and_b32_sdwa v74, v73, v85 dst_sel:DWORD dst_unused:UNUSED_PAD src0_sel:WORD_0 src1_sel:DWORD
	v_mov_b32_e32 v67, 0x7f800001
	s_mov_b32 s31, exec_lo
	v_cmpx_ne_u32_e32 0x7f, v74
	s_cbranch_execz .LBB179_408
; %bb.405:                              ;   in Loop: Header=BB179_10 Depth=1
	v_and_b32_sdwa v65, v73, v86 dst_sel:DWORD dst_unused:UNUSED_PAD src0_sel:WORD_0 src1_sel:DWORD
	v_lshrrev_b32_e32 v67, 3, v74
	s_mov_b32 s33, exec_lo
	v_cmpx_gt_u32_e32 8, v74
; %bb.406:                              ;   in Loop: Header=BB179_10 Depth=1
	v_ffbh_u32_e32 v67, v65
	v_min_u32_e32 v67, 32, v67
	v_subrev_nc_u32_e32 v74, 28, v67
	v_sub_nc_u32_e32 v67, 29, v67
	v_lshlrev_b64 v[88:89], v74, v[65:66]
	v_and_b32_e32 v65, 7, v88
; %bb.407:                              ;   in Loop: Header=BB179_10 Depth=1
	s_or_b32 exec_lo, exec_lo, s33
	v_lshlrev_b32_e32 v73, 24, v73
	v_lshlrev_b32_e32 v65, 20, v65
	v_lshl_add_u32 v67, v67, 23, 0x3c000000
	v_and_b32_e32 v73, 0x80000000, v73
	v_or3_b32 v67, v65, v73, v67
.LBB179_408:                            ;   in Loop: Header=BB179_10 Depth=1
	s_or_b32 exec_lo, exec_lo, s31
.LBB179_409:                            ;   in Loop: Header=BB179_10 Depth=1
	s_or_b32 exec_lo, exec_lo, s17
.LBB179_410:                            ;   in Loop: Header=BB179_10 Depth=1
	s_or_b32 exec_lo, exec_lo, s3
	global_load_ubyte v73, v[71:72], off offset:1544
	v_mov_b32_e32 v82, 0
	v_mov_b32_e32 v88, 0
	s_mov_b32 s3, exec_lo
	s_waitcnt vmcnt(0)
	v_cmpx_ne_u16_e32 0, v73
	s_cbranch_execz .LBB179_418
; %bb.411:                              ;   in Loop: Header=BB179_10 Depth=1
	v_bfrev_b32_e32 v88, 1
	s_mov_b32 s17, exec_lo
	v_cmpx_ne_u16_e32 0x80, v73
	s_cbranch_execz .LBB179_417
; %bb.412:                              ;   in Loop: Header=BB179_10 Depth=1
	v_and_b32_sdwa v89, v73, v85 dst_sel:DWORD dst_unused:UNUSED_PAD src0_sel:WORD_0 src1_sel:DWORD
	v_mov_b32_e32 v88, 0x7f800001
	s_mov_b32 s31, exec_lo
	v_cmpx_ne_u32_e32 0x7f, v89
	s_cbranch_execz .LBB179_416
; %bb.413:                              ;   in Loop: Header=BB179_10 Depth=1
	v_and_b32_sdwa v65, v73, v86 dst_sel:DWORD dst_unused:UNUSED_PAD src0_sel:WORD_0 src1_sel:DWORD
	v_lshrrev_b32_e32 v74, 3, v89
	s_mov_b32 s33, exec_lo
	v_cmpx_gt_u32_e32 8, v89
; %bb.414:                              ;   in Loop: Header=BB179_10 Depth=1
	v_ffbh_u32_e32 v74, v65
	v_min_u32_e32 v74, 32, v74
	v_subrev_nc_u32_e32 v88, 28, v74
	v_sub_nc_u32_e32 v74, 29, v74
	v_lshlrev_b64 v[88:89], v88, v[65:66]
	v_and_b32_e32 v65, 7, v88
; %bb.415:                              ;   in Loop: Header=BB179_10 Depth=1
	s_or_b32 exec_lo, exec_lo, s33
	v_lshlrev_b32_e32 v73, 24, v73
	v_lshlrev_b32_e32 v65, 20, v65
	v_lshl_add_u32 v74, v74, 23, 0x3c000000
	v_and_b32_e32 v73, 0x80000000, v73
	v_or3_b32 v88, v65, v73, v74
.LBB179_416:                            ;   in Loop: Header=BB179_10 Depth=1
	s_or_b32 exec_lo, exec_lo, s31
.LBB179_417:                            ;   in Loop: Header=BB179_10 Depth=1
	s_or_b32 exec_lo, exec_lo, s17
.LBB179_418:                            ;   in Loop: Header=BB179_10 Depth=1
	s_or_b32 exec_lo, exec_lo, s3
	global_load_ubyte v73, v[71:72], off offset:1548
	s_mov_b32 s3, exec_lo
	s_waitcnt vmcnt(0)
	v_cmpx_ne_u16_e32 0, v73
	s_cbranch_execz .LBB179_426
; %bb.419:                              ;   in Loop: Header=BB179_10 Depth=1
	v_bfrev_b32_e32 v82, 1
	s_mov_b32 s17, exec_lo
	v_cmpx_ne_u16_e32 0x80, v73
	s_cbranch_execz .LBB179_425
; %bb.420:                              ;   in Loop: Header=BB179_10 Depth=1
	v_and_b32_sdwa v89, v73, v85 dst_sel:DWORD dst_unused:UNUSED_PAD src0_sel:WORD_0 src1_sel:DWORD
	v_mov_b32_e32 v82, 0x7f800001
	s_mov_b32 s31, exec_lo
	v_cmpx_ne_u32_e32 0x7f, v89
	s_cbranch_execz .LBB179_424
; %bb.421:                              ;   in Loop: Header=BB179_10 Depth=1
	v_and_b32_sdwa v65, v73, v86 dst_sel:DWORD dst_unused:UNUSED_PAD src0_sel:WORD_0 src1_sel:DWORD
	v_lshrrev_b32_e32 v74, 3, v89
	s_mov_b32 s33, exec_lo
	v_cmpx_gt_u32_e32 8, v89
; %bb.422:                              ;   in Loop: Header=BB179_10 Depth=1
	v_ffbh_u32_e32 v74, v65
	v_min_u32_e32 v74, 32, v74
	v_subrev_nc_u32_e32 v82, 28, v74
	v_sub_nc_u32_e32 v74, 29, v74
	v_lshlrev_b64 v[89:90], v82, v[65:66]
	v_and_b32_e32 v65, 7, v89
; %bb.423:                              ;   in Loop: Header=BB179_10 Depth=1
	s_or_b32 exec_lo, exec_lo, s33
	v_lshlrev_b32_e32 v73, 24, v73
	v_lshlrev_b32_e32 v65, 20, v65
	v_lshl_add_u32 v74, v74, 23, 0x3c000000
	v_and_b32_e32 v73, 0x80000000, v73
	v_or3_b32 v82, v65, v73, v74
.LBB179_424:                            ;   in Loop: Header=BB179_10 Depth=1
	s_or_b32 exec_lo, exec_lo, s31
.LBB179_425:                            ;   in Loop: Header=BB179_10 Depth=1
	s_or_b32 exec_lo, exec_lo, s17
.LBB179_426:                            ;   in Loop: Header=BB179_10 Depth=1
	s_or_b32 exec_lo, exec_lo, s3
	global_load_ubyte v73, v[71:72], off offset:1664
	v_mov_b32_e32 v89, 0
	v_mov_b32_e32 v90, 0
	s_mov_b32 s3, exec_lo
	s_waitcnt vmcnt(0)
	v_cmpx_ne_u16_e32 0, v73
	s_cbranch_execz .LBB179_434
; %bb.427:                              ;   in Loop: Header=BB179_10 Depth=1
	v_bfrev_b32_e32 v90, 1
	s_mov_b32 s17, exec_lo
	v_cmpx_ne_u16_e32 0x80, v73
	s_cbranch_execz .LBB179_433
; %bb.428:                              ;   in Loop: Header=BB179_10 Depth=1
	v_and_b32_sdwa v91, v73, v85 dst_sel:DWORD dst_unused:UNUSED_PAD src0_sel:WORD_0 src1_sel:DWORD
	v_mov_b32_e32 v90, 0x7f800001
	s_mov_b32 s31, exec_lo
	v_cmpx_ne_u32_e32 0x7f, v91
	s_cbranch_execz .LBB179_432
; %bb.429:                              ;   in Loop: Header=BB179_10 Depth=1
	v_and_b32_sdwa v65, v73, v86 dst_sel:DWORD dst_unused:UNUSED_PAD src0_sel:WORD_0 src1_sel:DWORD
	v_lshrrev_b32_e32 v74, 3, v91
	s_mov_b32 s33, exec_lo
	v_cmpx_gt_u32_e32 8, v91
; %bb.430:                              ;   in Loop: Header=BB179_10 Depth=1
	v_ffbh_u32_e32 v74, v65
	v_min_u32_e32 v74, 32, v74
	v_subrev_nc_u32_e32 v90, 28, v74
	v_sub_nc_u32_e32 v74, 29, v74
	v_lshlrev_b64 v[90:91], v90, v[65:66]
	v_and_b32_e32 v65, 7, v90
; %bb.431:                              ;   in Loop: Header=BB179_10 Depth=1
	s_or_b32 exec_lo, exec_lo, s33
	v_lshlrev_b32_e32 v73, 24, v73
	v_lshlrev_b32_e32 v65, 20, v65
	v_lshl_add_u32 v74, v74, 23, 0x3c000000
	v_and_b32_e32 v73, 0x80000000, v73
	v_or3_b32 v90, v65, v73, v74
.LBB179_432:                            ;   in Loop: Header=BB179_10 Depth=1
	s_or_b32 exec_lo, exec_lo, s31
.LBB179_433:                            ;   in Loop: Header=BB179_10 Depth=1
	s_or_b32 exec_lo, exec_lo, s17
.LBB179_434:                            ;   in Loop: Header=BB179_10 Depth=1
	s_or_b32 exec_lo, exec_lo, s3
	global_load_ubyte v73, v[71:72], off offset:1668
	s_mov_b32 s3, exec_lo
	s_waitcnt vmcnt(0)
	v_cmpx_ne_u16_e32 0, v73
	s_cbranch_execz .LBB179_442
; %bb.435:                              ;   in Loop: Header=BB179_10 Depth=1
	v_bfrev_b32_e32 v89, 1
	s_mov_b32 s17, exec_lo
	v_cmpx_ne_u16_e32 0x80, v73
	s_cbranch_execz .LBB179_441
; %bb.436:                              ;   in Loop: Header=BB179_10 Depth=1
	v_and_b32_sdwa v91, v73, v85 dst_sel:DWORD dst_unused:UNUSED_PAD src0_sel:WORD_0 src1_sel:DWORD
	v_mov_b32_e32 v89, 0x7f800001
	s_mov_b32 s31, exec_lo
	v_cmpx_ne_u32_e32 0x7f, v91
	s_cbranch_execz .LBB179_440
; %bb.437:                              ;   in Loop: Header=BB179_10 Depth=1
	v_and_b32_sdwa v65, v73, v86 dst_sel:DWORD dst_unused:UNUSED_PAD src0_sel:WORD_0 src1_sel:DWORD
	v_lshrrev_b32_e32 v74, 3, v91
	s_mov_b32 s33, exec_lo
	v_cmpx_gt_u32_e32 8, v91
; %bb.438:                              ;   in Loop: Header=BB179_10 Depth=1
	v_ffbh_u32_e32 v74, v65
	v_min_u32_e32 v74, 32, v74
	v_subrev_nc_u32_e32 v89, 28, v74
	v_sub_nc_u32_e32 v74, 29, v74
	v_lshlrev_b64 v[91:92], v89, v[65:66]
	v_and_b32_e32 v65, 7, v91
; %bb.439:                              ;   in Loop: Header=BB179_10 Depth=1
	s_or_b32 exec_lo, exec_lo, s33
	v_lshlrev_b32_e32 v73, 24, v73
	v_lshlrev_b32_e32 v65, 20, v65
	v_lshl_add_u32 v74, v74, 23, 0x3c000000
	v_and_b32_e32 v73, 0x80000000, v73
	v_or3_b32 v89, v65, v73, v74
.LBB179_440:                            ;   in Loop: Header=BB179_10 Depth=1
	s_or_b32 exec_lo, exec_lo, s31
.LBB179_441:                            ;   in Loop: Header=BB179_10 Depth=1
	s_or_b32 exec_lo, exec_lo, s17
.LBB179_442:                            ;   in Loop: Header=BB179_10 Depth=1
	s_or_b32 exec_lo, exec_lo, s3
	global_load_ubyte v73, v[71:72], off offset:1672
	v_mov_b32_e32 v91, 0
	v_mov_b32_e32 v92, 0
	s_mov_b32 s3, exec_lo
	s_waitcnt vmcnt(0)
	v_cmpx_ne_u16_e32 0, v73
	s_cbranch_execz .LBB179_450
; %bb.443:                              ;   in Loop: Header=BB179_10 Depth=1
	v_bfrev_b32_e32 v92, 1
	s_mov_b32 s17, exec_lo
	v_cmpx_ne_u16_e32 0x80, v73
	s_cbranch_execz .LBB179_449
; %bb.444:                              ;   in Loop: Header=BB179_10 Depth=1
	v_and_b32_sdwa v93, v73, v85 dst_sel:DWORD dst_unused:UNUSED_PAD src0_sel:WORD_0 src1_sel:DWORD
	v_mov_b32_e32 v92, 0x7f800001
	s_mov_b32 s31, exec_lo
	v_cmpx_ne_u32_e32 0x7f, v93
	s_cbranch_execz .LBB179_448
; %bb.445:                              ;   in Loop: Header=BB179_10 Depth=1
	v_and_b32_sdwa v65, v73, v86 dst_sel:DWORD dst_unused:UNUSED_PAD src0_sel:WORD_0 src1_sel:DWORD
	v_lshrrev_b32_e32 v74, 3, v93
	s_mov_b32 s33, exec_lo
	v_cmpx_gt_u32_e32 8, v93
; %bb.446:                              ;   in Loop: Header=BB179_10 Depth=1
	v_ffbh_u32_e32 v74, v65
	v_min_u32_e32 v74, 32, v74
	v_subrev_nc_u32_e32 v92, 28, v74
	v_sub_nc_u32_e32 v74, 29, v74
	v_lshlrev_b64 v[92:93], v92, v[65:66]
	v_and_b32_e32 v65, 7, v92
; %bb.447:                              ;   in Loop: Header=BB179_10 Depth=1
	s_or_b32 exec_lo, exec_lo, s33
	v_lshlrev_b32_e32 v73, 24, v73
	v_lshlrev_b32_e32 v65, 20, v65
	v_lshl_add_u32 v74, v74, 23, 0x3c000000
	v_and_b32_e32 v73, 0x80000000, v73
	v_or3_b32 v92, v65, v73, v74
.LBB179_448:                            ;   in Loop: Header=BB179_10 Depth=1
	s_or_b32 exec_lo, exec_lo, s31
.LBB179_449:                            ;   in Loop: Header=BB179_10 Depth=1
	s_or_b32 exec_lo, exec_lo, s17
.LBB179_450:                            ;   in Loop: Header=BB179_10 Depth=1
	s_or_b32 exec_lo, exec_lo, s3
	global_load_ubyte v73, v[71:72], off offset:1676
	s_mov_b32 s3, exec_lo
	s_waitcnt vmcnt(0)
	v_cmpx_ne_u16_e32 0, v73
	s_cbranch_execz .LBB179_458
; %bb.451:                              ;   in Loop: Header=BB179_10 Depth=1
	v_bfrev_b32_e32 v91, 1
	s_mov_b32 s17, exec_lo
	v_cmpx_ne_u16_e32 0x80, v73
	s_cbranch_execz .LBB179_457
; %bb.452:                              ;   in Loop: Header=BB179_10 Depth=1
	v_and_b32_sdwa v93, v73, v85 dst_sel:DWORD dst_unused:UNUSED_PAD src0_sel:WORD_0 src1_sel:DWORD
	v_mov_b32_e32 v91, 0x7f800001
	s_mov_b32 s31, exec_lo
	v_cmpx_ne_u32_e32 0x7f, v93
	s_cbranch_execz .LBB179_456
; %bb.453:                              ;   in Loop: Header=BB179_10 Depth=1
	v_and_b32_sdwa v65, v73, v86 dst_sel:DWORD dst_unused:UNUSED_PAD src0_sel:WORD_0 src1_sel:DWORD
	v_lshrrev_b32_e32 v74, 3, v93
	s_mov_b32 s33, exec_lo
	v_cmpx_gt_u32_e32 8, v93
; %bb.454:                              ;   in Loop: Header=BB179_10 Depth=1
	v_ffbh_u32_e32 v74, v65
	v_min_u32_e32 v74, 32, v74
	v_subrev_nc_u32_e32 v91, 28, v74
	v_sub_nc_u32_e32 v74, 29, v74
	v_lshlrev_b64 v[93:94], v91, v[65:66]
	v_and_b32_e32 v65, 7, v93
; %bb.455:                              ;   in Loop: Header=BB179_10 Depth=1
	s_or_b32 exec_lo, exec_lo, s33
	v_lshlrev_b32_e32 v73, 24, v73
	v_lshlrev_b32_e32 v65, 20, v65
	v_lshl_add_u32 v74, v74, 23, 0x3c000000
	v_and_b32_e32 v73, 0x80000000, v73
	v_or3_b32 v91, v65, v73, v74
.LBB179_456:                            ;   in Loop: Header=BB179_10 Depth=1
	s_or_b32 exec_lo, exec_lo, s31
.LBB179_457:                            ;   in Loop: Header=BB179_10 Depth=1
	s_or_b32 exec_lo, exec_lo, s17
.LBB179_458:                            ;   in Loop: Header=BB179_10 Depth=1
	s_or_b32 exec_lo, exec_lo, s3
	global_load_ubyte v73, v[71:72], off offset:1792
	v_mov_b32_e32 v93, 0
	v_mov_b32_e32 v94, 0
	s_mov_b32 s3, exec_lo
	s_waitcnt vmcnt(0)
	v_cmpx_ne_u16_e32 0, v73
	s_cbranch_execz .LBB179_466
; %bb.459:                              ;   in Loop: Header=BB179_10 Depth=1
	v_bfrev_b32_e32 v94, 1
	s_mov_b32 s17, exec_lo
	v_cmpx_ne_u16_e32 0x80, v73
	s_cbranch_execz .LBB179_465
; %bb.460:                              ;   in Loop: Header=BB179_10 Depth=1
	v_and_b32_sdwa v95, v73, v85 dst_sel:DWORD dst_unused:UNUSED_PAD src0_sel:WORD_0 src1_sel:DWORD
	v_mov_b32_e32 v94, 0x7f800001
	s_mov_b32 s31, exec_lo
	v_cmpx_ne_u32_e32 0x7f, v95
	s_cbranch_execz .LBB179_464
; %bb.461:                              ;   in Loop: Header=BB179_10 Depth=1
	v_and_b32_sdwa v65, v73, v86 dst_sel:DWORD dst_unused:UNUSED_PAD src0_sel:WORD_0 src1_sel:DWORD
	v_lshrrev_b32_e32 v74, 3, v95
	s_mov_b32 s33, exec_lo
	v_cmpx_gt_u32_e32 8, v95
; %bb.462:                              ;   in Loop: Header=BB179_10 Depth=1
	v_ffbh_u32_e32 v74, v65
	v_min_u32_e32 v74, 32, v74
	v_subrev_nc_u32_e32 v94, 28, v74
	v_sub_nc_u32_e32 v74, 29, v74
	v_lshlrev_b64 v[94:95], v94, v[65:66]
	v_and_b32_e32 v65, 7, v94
; %bb.463:                              ;   in Loop: Header=BB179_10 Depth=1
	s_or_b32 exec_lo, exec_lo, s33
	v_lshlrev_b32_e32 v73, 24, v73
	v_lshlrev_b32_e32 v65, 20, v65
	v_lshl_add_u32 v74, v74, 23, 0x3c000000
	v_and_b32_e32 v73, 0x80000000, v73
	v_or3_b32 v94, v65, v73, v74
.LBB179_464:                            ;   in Loop: Header=BB179_10 Depth=1
	s_or_b32 exec_lo, exec_lo, s31
.LBB179_465:                            ;   in Loop: Header=BB179_10 Depth=1
	s_or_b32 exec_lo, exec_lo, s17
.LBB179_466:                            ;   in Loop: Header=BB179_10 Depth=1
	s_or_b32 exec_lo, exec_lo, s3
	global_load_ubyte v73, v[71:72], off offset:1796
	s_mov_b32 s3, exec_lo
	s_waitcnt vmcnt(0)
	v_cmpx_ne_u16_e32 0, v73
	s_cbranch_execz .LBB179_474
; %bb.467:                              ;   in Loop: Header=BB179_10 Depth=1
	v_bfrev_b32_e32 v93, 1
	s_mov_b32 s17, exec_lo
	v_cmpx_ne_u16_e32 0x80, v73
	s_cbranch_execz .LBB179_473
; %bb.468:                              ;   in Loop: Header=BB179_10 Depth=1
	v_and_b32_sdwa v95, v73, v85 dst_sel:DWORD dst_unused:UNUSED_PAD src0_sel:WORD_0 src1_sel:DWORD
	v_mov_b32_e32 v93, 0x7f800001
	s_mov_b32 s31, exec_lo
	v_cmpx_ne_u32_e32 0x7f, v95
	s_cbranch_execz .LBB179_472
; %bb.469:                              ;   in Loop: Header=BB179_10 Depth=1
	v_and_b32_sdwa v65, v73, v86 dst_sel:DWORD dst_unused:UNUSED_PAD src0_sel:WORD_0 src1_sel:DWORD
	v_lshrrev_b32_e32 v74, 3, v95
	s_mov_b32 s33, exec_lo
	v_cmpx_gt_u32_e32 8, v95
; %bb.470:                              ;   in Loop: Header=BB179_10 Depth=1
	v_ffbh_u32_e32 v74, v65
	v_min_u32_e32 v74, 32, v74
	v_subrev_nc_u32_e32 v93, 28, v74
	v_sub_nc_u32_e32 v74, 29, v74
	v_lshlrev_b64 v[95:96], v93, v[65:66]
	v_and_b32_e32 v65, 7, v95
; %bb.471:                              ;   in Loop: Header=BB179_10 Depth=1
	s_or_b32 exec_lo, exec_lo, s33
	v_lshlrev_b32_e32 v73, 24, v73
	v_lshlrev_b32_e32 v65, 20, v65
	v_lshl_add_u32 v74, v74, 23, 0x3c000000
	v_and_b32_e32 v73, 0x80000000, v73
	v_or3_b32 v93, v65, v73, v74
.LBB179_472:                            ;   in Loop: Header=BB179_10 Depth=1
	s_or_b32 exec_lo, exec_lo, s31
.LBB179_473:                            ;   in Loop: Header=BB179_10 Depth=1
	s_or_b32 exec_lo, exec_lo, s17
.LBB179_474:                            ;   in Loop: Header=BB179_10 Depth=1
	s_or_b32 exec_lo, exec_lo, s3
	global_load_ubyte v73, v[71:72], off offset:1800
	v_mov_b32_e32 v95, 0
	v_mov_b32_e32 v96, 0
	s_mov_b32 s3, exec_lo
	s_waitcnt vmcnt(0)
	v_cmpx_ne_u16_e32 0, v73
	s_cbranch_execz .LBB179_482
; %bb.475:                              ;   in Loop: Header=BB179_10 Depth=1
	v_bfrev_b32_e32 v96, 1
	s_mov_b32 s17, exec_lo
	v_cmpx_ne_u16_e32 0x80, v73
	s_cbranch_execz .LBB179_481
; %bb.476:                              ;   in Loop: Header=BB179_10 Depth=1
	v_and_b32_sdwa v97, v73, v85 dst_sel:DWORD dst_unused:UNUSED_PAD src0_sel:WORD_0 src1_sel:DWORD
	v_mov_b32_e32 v96, 0x7f800001
	s_mov_b32 s31, exec_lo
	v_cmpx_ne_u32_e32 0x7f, v97
	s_cbranch_execz .LBB179_480
; %bb.477:                              ;   in Loop: Header=BB179_10 Depth=1
	v_and_b32_sdwa v65, v73, v86 dst_sel:DWORD dst_unused:UNUSED_PAD src0_sel:WORD_0 src1_sel:DWORD
	v_lshrrev_b32_e32 v74, 3, v97
	s_mov_b32 s33, exec_lo
	v_cmpx_gt_u32_e32 8, v97
; %bb.478:                              ;   in Loop: Header=BB179_10 Depth=1
	v_ffbh_u32_e32 v74, v65
	v_min_u32_e32 v74, 32, v74
	v_subrev_nc_u32_e32 v96, 28, v74
	v_sub_nc_u32_e32 v74, 29, v74
	v_lshlrev_b64 v[96:97], v96, v[65:66]
	v_and_b32_e32 v65, 7, v96
; %bb.479:                              ;   in Loop: Header=BB179_10 Depth=1
	s_or_b32 exec_lo, exec_lo, s33
	v_lshlrev_b32_e32 v73, 24, v73
	v_lshlrev_b32_e32 v65, 20, v65
	v_lshl_add_u32 v74, v74, 23, 0x3c000000
	v_and_b32_e32 v73, 0x80000000, v73
	v_or3_b32 v96, v65, v73, v74
.LBB179_480:                            ;   in Loop: Header=BB179_10 Depth=1
	s_or_b32 exec_lo, exec_lo, s31
.LBB179_481:                            ;   in Loop: Header=BB179_10 Depth=1
	s_or_b32 exec_lo, exec_lo, s17
.LBB179_482:                            ;   in Loop: Header=BB179_10 Depth=1
	s_or_b32 exec_lo, exec_lo, s3
	global_load_ubyte v73, v[71:72], off offset:1804
	s_mov_b32 s3, exec_lo
	s_waitcnt vmcnt(0)
	v_cmpx_ne_u16_e32 0, v73
	s_cbranch_execz .LBB179_490
; %bb.483:                              ;   in Loop: Header=BB179_10 Depth=1
	v_bfrev_b32_e32 v95, 1
	s_mov_b32 s17, exec_lo
	v_cmpx_ne_u16_e32 0x80, v73
	s_cbranch_execz .LBB179_489
; %bb.484:                              ;   in Loop: Header=BB179_10 Depth=1
	v_and_b32_sdwa v97, v73, v85 dst_sel:DWORD dst_unused:UNUSED_PAD src0_sel:WORD_0 src1_sel:DWORD
	v_mov_b32_e32 v95, 0x7f800001
	s_mov_b32 s31, exec_lo
	v_cmpx_ne_u32_e32 0x7f, v97
	s_cbranch_execz .LBB179_488
; %bb.485:                              ;   in Loop: Header=BB179_10 Depth=1
	v_and_b32_sdwa v65, v73, v86 dst_sel:DWORD dst_unused:UNUSED_PAD src0_sel:WORD_0 src1_sel:DWORD
	v_lshrrev_b32_e32 v74, 3, v97
	s_mov_b32 s33, exec_lo
	v_cmpx_gt_u32_e32 8, v97
; %bb.486:                              ;   in Loop: Header=BB179_10 Depth=1
	v_ffbh_u32_e32 v74, v65
	v_min_u32_e32 v74, 32, v74
	v_subrev_nc_u32_e32 v95, 28, v74
	v_sub_nc_u32_e32 v74, 29, v74
	v_lshlrev_b64 v[97:98], v95, v[65:66]
	v_and_b32_e32 v65, 7, v97
; %bb.487:                              ;   in Loop: Header=BB179_10 Depth=1
	s_or_b32 exec_lo, exec_lo, s33
	v_lshlrev_b32_e32 v73, 24, v73
	v_lshlrev_b32_e32 v65, 20, v65
	v_lshl_add_u32 v74, v74, 23, 0x3c000000
	v_and_b32_e32 v73, 0x80000000, v73
	v_or3_b32 v95, v65, v73, v74
.LBB179_488:                            ;   in Loop: Header=BB179_10 Depth=1
	s_or_b32 exec_lo, exec_lo, s31
.LBB179_489:                            ;   in Loop: Header=BB179_10 Depth=1
	s_or_b32 exec_lo, exec_lo, s17
.LBB179_490:                            ;   in Loop: Header=BB179_10 Depth=1
	s_or_b32 exec_lo, exec_lo, s3
	global_load_ubyte v73, v[71:72], off offset:1920
	v_mov_b32_e32 v97, 0
	v_mov_b32_e32 v98, 0
	s_mov_b32 s3, exec_lo
	s_waitcnt vmcnt(0)
	v_cmpx_ne_u16_e32 0, v73
	s_cbranch_execz .LBB179_498
; %bb.491:                              ;   in Loop: Header=BB179_10 Depth=1
	v_bfrev_b32_e32 v98, 1
	s_mov_b32 s17, exec_lo
	v_cmpx_ne_u16_e32 0x80, v73
	s_cbranch_execz .LBB179_497
; %bb.492:                              ;   in Loop: Header=BB179_10 Depth=1
	v_and_b32_sdwa v99, v73, v85 dst_sel:DWORD dst_unused:UNUSED_PAD src0_sel:WORD_0 src1_sel:DWORD
	v_mov_b32_e32 v98, 0x7f800001
	s_mov_b32 s31, exec_lo
	v_cmpx_ne_u32_e32 0x7f, v99
	s_cbranch_execz .LBB179_496
; %bb.493:                              ;   in Loop: Header=BB179_10 Depth=1
	v_and_b32_sdwa v65, v73, v86 dst_sel:DWORD dst_unused:UNUSED_PAD src0_sel:WORD_0 src1_sel:DWORD
	v_lshrrev_b32_e32 v74, 3, v99
	s_mov_b32 s33, exec_lo
	v_cmpx_gt_u32_e32 8, v99
; %bb.494:                              ;   in Loop: Header=BB179_10 Depth=1
	v_ffbh_u32_e32 v74, v65
	v_min_u32_e32 v74, 32, v74
	v_subrev_nc_u32_e32 v98, 28, v74
	v_sub_nc_u32_e32 v74, 29, v74
	v_lshlrev_b64 v[98:99], v98, v[65:66]
	v_and_b32_e32 v65, 7, v98
; %bb.495:                              ;   in Loop: Header=BB179_10 Depth=1
	s_or_b32 exec_lo, exec_lo, s33
	v_lshlrev_b32_e32 v73, 24, v73
	v_lshlrev_b32_e32 v65, 20, v65
	v_lshl_add_u32 v74, v74, 23, 0x3c000000
	v_and_b32_e32 v73, 0x80000000, v73
	v_or3_b32 v98, v65, v73, v74
.LBB179_496:                            ;   in Loop: Header=BB179_10 Depth=1
	s_or_b32 exec_lo, exec_lo, s31
.LBB179_497:                            ;   in Loop: Header=BB179_10 Depth=1
	s_or_b32 exec_lo, exec_lo, s17
.LBB179_498:                            ;   in Loop: Header=BB179_10 Depth=1
	s_or_b32 exec_lo, exec_lo, s3
	global_load_ubyte v99, v[71:72], off offset:1924
	s_mov_b32 s3, exec_lo
	s_waitcnt vmcnt(0)
	v_cmpx_ne_u16_e32 0, v99
	s_cbranch_execz .LBB179_506
; %bb.499:                              ;   in Loop: Header=BB179_10 Depth=1
	v_bfrev_b32_e32 v97, 1
	s_mov_b32 s17, exec_lo
	v_cmpx_ne_u16_e32 0x80, v99
	s_cbranch_execz .LBB179_505
; %bb.500:                              ;   in Loop: Header=BB179_10 Depth=1
	v_and_b32_sdwa v73, v99, v85 dst_sel:DWORD dst_unused:UNUSED_PAD src0_sel:WORD_0 src1_sel:DWORD
	v_mov_b32_e32 v97, 0x7f800001
	s_mov_b32 s31, exec_lo
	v_cmpx_ne_u32_e32 0x7f, v73
	s_cbranch_execz .LBB179_504
; %bb.501:                              ;   in Loop: Header=BB179_10 Depth=1
	v_and_b32_sdwa v65, v99, v86 dst_sel:DWORD dst_unused:UNUSED_PAD src0_sel:WORD_0 src1_sel:DWORD
	v_lshrrev_b32_e32 v97, 3, v73
	v_cmp_gt_u32_e64 s2, 8, v73
	v_mov_b32_e32 v74, v66
	v_mov_b32_e32 v73, v65
	s_and_saveexec_b32 s33, s2
; %bb.502:                              ;   in Loop: Header=BB179_10 Depth=1
	v_ffbh_u32_e32 v73, v65
	v_min_u32_e32 v97, 32, v73
	v_subrev_nc_u32_e32 v73, 28, v97
	v_sub_nc_u32_e32 v97, 29, v97
	v_lshlrev_b64 v[73:74], v73, v[65:66]
	v_and_b32_e32 v73, 7, v73
; %bb.503:                              ;   in Loop: Header=BB179_10 Depth=1
	s_or_b32 exec_lo, exec_lo, s33
	v_lshlrev_b32_e32 v65, 24, v99
	v_lshlrev_b32_e32 v73, 20, v73
	v_lshl_add_u32 v74, v97, 23, 0x3c000000
	v_and_b32_e32 v65, 0x80000000, v65
	v_or3_b32 v97, v73, v65, v74
.LBB179_504:                            ;   in Loop: Header=BB179_10 Depth=1
	s_or_b32 exec_lo, exec_lo, s31
.LBB179_505:                            ;   in Loop: Header=BB179_10 Depth=1
	s_or_b32 exec_lo, exec_lo, s17
.LBB179_506:                            ;   in Loop: Header=BB179_10 Depth=1
	s_or_b32 exec_lo, exec_lo, s3
	global_load_ubyte v100, v[71:72], off offset:1928
	v_mov_b32_e32 v99, 0
	v_mov_b32_e32 v73, 0
	s_mov_b32 s3, exec_lo
	s_waitcnt vmcnt(0)
	v_cmpx_ne_u16_e32 0, v100
	s_cbranch_execz .LBB179_514
; %bb.507:                              ;   in Loop: Header=BB179_10 Depth=1
	v_bfrev_b32_e32 v73, 1
	s_mov_b32 s17, exec_lo
	v_cmpx_ne_u16_e32 0x80, v100
	s_cbranch_execz .LBB179_513
; %bb.508:                              ;   in Loop: Header=BB179_10 Depth=1
	v_and_b32_sdwa v74, v100, v85 dst_sel:DWORD dst_unused:UNUSED_PAD src0_sel:WORD_0 src1_sel:DWORD
	v_mov_b32_e32 v73, 0x7f800001
	s_mov_b32 s31, exec_lo
	v_cmpx_ne_u32_e32 0x7f, v74
	s_cbranch_execz .LBB179_512
; %bb.509:                              ;   in Loop: Header=BB179_10 Depth=1
	v_and_b32_sdwa v65, v100, v86 dst_sel:DWORD dst_unused:UNUSED_PAD src0_sel:WORD_0 src1_sel:DWORD
	v_lshrrev_b32_e32 v101, 3, v74
	v_cmp_gt_u32_e64 s2, 8, v74
	v_mov_b32_e32 v74, v66
	v_mov_b32_e32 v73, v65
	s_and_saveexec_b32 s33, s2
; %bb.510:                              ;   in Loop: Header=BB179_10 Depth=1
	v_ffbh_u32_e32 v73, v65
	v_min_u32_e32 v101, 32, v73
	v_subrev_nc_u32_e32 v73, 28, v101
	v_sub_nc_u32_e32 v101, 29, v101
	v_lshlrev_b64 v[73:74], v73, v[65:66]
	v_and_b32_e32 v73, 7, v73
; %bb.511:                              ;   in Loop: Header=BB179_10 Depth=1
	s_or_b32 exec_lo, exec_lo, s33
	v_lshlrev_b32_e32 v65, 24, v100
	v_lshlrev_b32_e32 v73, 20, v73
	v_lshl_add_u32 v74, v101, 23, 0x3c000000
	v_and_b32_e32 v65, 0x80000000, v65
	v_or3_b32 v73, v73, v65, v74
.LBB179_512:                            ;   in Loop: Header=BB179_10 Depth=1
	s_or_b32 exec_lo, exec_lo, s31
.LBB179_513:                            ;   in Loop: Header=BB179_10 Depth=1
	s_or_b32 exec_lo, exec_lo, s17
.LBB179_514:                            ;   in Loop: Header=BB179_10 Depth=1
	s_or_b32 exec_lo, exec_lo, s3
	global_load_ubyte v74, v[71:72], off offset:1932
	s_mov_b32 s3, exec_lo
	s_waitcnt vmcnt(0)
	v_cmpx_ne_u16_e32 0, v74
	s_cbranch_execz .LBB179_522
; %bb.515:                              ;   in Loop: Header=BB179_10 Depth=1
	v_bfrev_b32_e32 v99, 1
	s_mov_b32 s17, exec_lo
	v_cmpx_ne_u16_e32 0x80, v74
	s_cbranch_execz .LBB179_521
; %bb.516:                              ;   in Loop: Header=BB179_10 Depth=1
	v_and_b32_sdwa v71, v74, v85 dst_sel:DWORD dst_unused:UNUSED_PAD src0_sel:WORD_0 src1_sel:DWORD
	v_mov_b32_e32 v99, 0x7f800001
	s_mov_b32 s31, exec_lo
	v_cmpx_ne_u32_e32 0x7f, v71
	s_cbranch_execz .LBB179_520
; %bb.517:                              ;   in Loop: Header=BB179_10 Depth=1
	v_and_b32_sdwa v65, v74, v86 dst_sel:DWORD dst_unused:UNUSED_PAD src0_sel:WORD_0 src1_sel:DWORD
	v_lshrrev_b32_e32 v99, 3, v71
	v_cmp_gt_u32_e64 s2, 8, v71
	v_mov_b32_e32 v72, v66
	v_mov_b32_e32 v71, v65
	s_and_saveexec_b32 s33, s2
; %bb.518:                              ;   in Loop: Header=BB179_10 Depth=1
	v_ffbh_u32_e32 v71, v65
	v_min_u32_e32 v99, 32, v71
	v_subrev_nc_u32_e32 v71, 28, v99
	v_sub_nc_u32_e32 v99, 29, v99
	v_lshlrev_b64 v[71:72], v71, v[65:66]
	v_and_b32_e32 v71, 7, v71
; %bb.519:                              ;   in Loop: Header=BB179_10 Depth=1
	s_or_b32 exec_lo, exec_lo, s33
	v_lshlrev_b32_e32 v65, 24, v74
	v_lshlrev_b32_e32 v71, 20, v71
	v_lshl_add_u32 v72, v99, 23, 0x3c000000
	v_and_b32_e32 v65, 0x80000000, v65
	v_or3_b32 v99, v71, v65, v72
.LBB179_520:                            ;   in Loop: Header=BB179_10 Depth=1
	s_or_b32 exec_lo, exec_lo, s31
.LBB179_521:                            ;   in Loop: Header=BB179_10 Depth=1
	s_or_b32 exec_lo, exec_lo, s17
.LBB179_522:                            ;   in Loop: Header=BB179_10 Depth=1
	s_or_b32 exec_lo, exec_lo, s3
	s_clause 0x1
	buffer_load_dword v65, off, s[36:39], 0
	buffer_load_dword v71, off, s[36:39], 0 offset:4
	s_waitcnt lgkmcnt(0)
	v_mul_f32_e32 v0, s4, v0
	s_waitcnt vmcnt(1)
	v_mul_f32_e32 v65, s4, v65
	s_waitcnt vmcnt(0)
	v_mul_f32_e32 v71, s4, v71
	v_mul_f32_e32 v65, v2, v65
	v_fmac_f32_e32 v65, v1, v71
	buffer_load_dword v71, off, s[36:39], 0 offset:12 ; 4-byte Folded Reload
	s_waitcnt vmcnt(0)
	v_mul_f32_e32 v71, s4, v71
	v_fmac_f32_e32 v65, v3, v71
	buffer_load_dword v71, off, s[36:39], 0 offset:8 ; 4-byte Folded Reload
	s_waitcnt vmcnt(0)
	;; [unrolled: 4-line block ×12, first 2 shown]
	v_mul_f32_e32 v71, s4, v71
	v_fmac_f32_e32 v65, v14, v71
	v_mul_f32_e32 v71, s4, v103
	v_fmac_f32_e32 v65, v15, v71
	;; [unrolled: 2-line block ×31, first 2 shown]
	v_fmac_f32_e32 v65, v45, v0
	v_mul_f32_e32 v0, s4, v78
	v_fmac_f32_e32 v65, v46, v0
	v_mul_f32_e32 v0, s4, v81
	;; [unrolled: 2-line block ×19, first 2 shown]
	v_fmac_f32_e32 v65, v64, v0
	buffer_load_dword v0, off, s[36:39], 0 offset:60 ; 4-byte Folded Reload
	s_waitcnt vmcnt(0)
	ds_bpermute_b32 v0, v0, v65
	s_waitcnt lgkmcnt(0)
	v_add_f32_e32 v0, v65, v0
	buffer_load_dword v65, off, s[36:39], 0 offset:64 ; 4-byte Folded Reload
	s_waitcnt vmcnt(0)
	ds_bpermute_b32 v65, v65, v0
	s_and_saveexec_b32 s3, vcc_lo
	s_cbranch_execz .LBB179_9
; %bb.523:                              ;   in Loop: Header=BB179_10 Depth=1
	buffer_load_dword v68, off, s[36:39], 0 offset:56 ; 4-byte Folded Reload
	v_add_nc_u32_e32 v67, s5, v83
	s_waitcnt lgkmcnt(0)
	v_add_f32_e32 v0, v0, v65
	v_cmp_gt_i32_e64 s2, s28, v83
	v_cvt_f32_i32_e32 v67, v67
	v_mul_f32_e32 v67, s30, v67
	v_cndmask_b32_e64 v65, 0, v67, s1
	v_fmac_f32_e32 v65, s29, v0
	s_waitcnt vmcnt(0)
	v_max_f32_e32 v67, v68, v68
	v_max_f32_e32 v0, v67, v65
	v_cndmask_b32_e64 v65, 0, v65, s2
	v_cndmask_b32_e64 v68, v68, v0, s2
	ds_write_b32 v84, v65
	buffer_store_dword v68, off, s[36:39], 0 offset:56 ; 4-byte Folded Spill
	s_branch .LBB179_9
.LBB179_524:
	s_or_b32 exec_lo, exec_lo, s14
	s_clause 0x5
	buffer_load_dword v44, off, s[36:39], 0 offset:76
	buffer_load_dword v87, off, s[36:39], 0 offset:80
	;; [unrolled: 1-line block ×6, first 2 shown]
	v_mov_b32_e32 v9, 32
.LBB179_525:
	s_or_b32 exec_lo, exec_lo, s15
	s_waitcnt vmcnt(1)
	v_xor_b32_e32 v0, 16, v36
	v_xor_b32_e32 v2, 8, v36
	;; [unrolled: 1-line block ×3, first 2 shown]
	v_and_b32_e32 v25, 31, v44
	v_cmp_lt_i32_e32 vcc_lo, v0, v9
	v_cndmask_b32_e32 v0, v36, v0, vcc_lo
	v_cmp_lt_i32_e32 vcc_lo, v2, v9
	v_lshlrev_b32_e32 v1, 2, v0
	v_cndmask_b32_e32 v2, v36, v2, vcc_lo
	v_cmp_lt_i32_e32 vcc_lo, v4, v9
	s_waitcnt vmcnt(0)
	ds_bpermute_b32 v0, v1, v3
	v_max_f32_e32 v3, v3, v3
	v_lshlrev_b32_e32 v2, 2, v2
	v_cndmask_b32_e32 v4, v36, v4, vcc_lo
	v_cmp_eq_u32_e32 vcc_lo, 0, v25
	v_lshlrev_b32_e32 v5, 2, v4
	s_waitcnt lgkmcnt(0)
	v_max_f32_e32 v0, v0, v0
	v_max_f32_e32 v0, v3, v0
	ds_bpermute_b32 v3, v2, v0
	s_waitcnt lgkmcnt(0)
	v_max_f32_e32 v3, v3, v3
	v_max_f32_e32 v0, v0, v3
	v_lshlrev_b32_e32 v3, 2, v87
	ds_bpermute_b32 v4, v5, v0
	s_and_saveexec_b32 s1, vcc_lo
	s_cbranch_execz .LBB179_527
; %bb.526:
	s_waitcnt lgkmcnt(0)
	v_max_f32_e32 v4, v4, v4
	v_max_f32_e32 v0, v0, v0
	;; [unrolled: 1-line block ×3, first 2 shown]
	ds_write_b32 v3, v0 offset:1024
.LBB179_527:
	s_or_b32 exec_lo, exec_lo, s1
	v_cmp_gt_u32_e64 s1, 4, v25
	v_mov_b32_e32 v0, 0xff7fffff
	s_waitcnt lgkmcnt(0)
	v_lshlrev_b32_e32 v4, 2, v25
	s_waitcnt_vscnt null, 0x0
	s_barrier
	buffer_gl0_inv
	s_and_saveexec_b32 s2, s1
; %bb.528:
	ds_read_b32 v0, v4 offset:1024
; %bb.529:
	s_or_b32 exec_lo, exec_lo, s2
	v_xor_b32_e32 v6, 2, v36
	v_xor_b32_e32 v8, 1, v36
	v_cmp_lt_i32_e64 s2, v6, v9
	v_cndmask_b32_e64 v6, v36, v6, s2
	v_cmp_lt_i32_e64 s2, v8, v9
	v_lshlrev_b32_e32 v6, 2, v6
	v_cndmask_b32_e64 v8, v36, v8, s2
	s_lshl_b32 s2, s7, 3
	s_min_i32 s4, s2, s28
	s_waitcnt lgkmcnt(0)
	ds_bpermute_b32 v7, v6, v0
	v_max_f32_e32 v0, v0, v0
	v_lshlrev_b32_e32 v26, 2, v8
	v_cmp_gt_i32_e64 s2, s4, v44
	s_waitcnt lgkmcnt(0)
	v_max_f32_e32 v7, v7, v7
	v_max_f32_e32 v0, v0, v7
	ds_bpermute_b32 v7, v26, v0
	s_waitcnt lgkmcnt(0)
	v_max_f32_e32 v7, v7, v7
	v_max_f32_e32 v0, v0, v7
	v_lshlrev_b32_e32 v7, 2, v66
	ds_bpermute_b32 v8, v7, v0
	v_mov_b32_e32 v7, 0
	v_lshl_add_u32 v0, v44, 2, 0x420
	s_and_saveexec_b32 s5, s2
	s_cbranch_execz .LBB179_533
; %bb.530:
	v_lshl_add_u32 v9, v44, 2, 0x420
	v_mov_b32_e32 v7, 0
	v_mov_b32_e32 v10, v44
	s_mov_b32 s14, 0
	.p2align	6
.LBB179_531:                            ; =>This Inner Loop Header: Depth=1
	ds_read_b32 v11, v9
	v_add_nc_u32_e32 v10, 0x80, v10
	v_cmp_le_i32_e64 s3, s4, v10
	s_or_b32 s14, s3, s14
	s_waitcnt lgkmcnt(0)
	v_sub_f32_e32 v11, v11, v8
	v_mul_f32_e32 v11, 0x3fb8aa3b, v11
	v_exp_f32_e32 v11, v11
	ds_write_b32 v9, v11
	v_add_f32_e32 v7, v7, v11
	v_add_nc_u32_e32 v9, 0x200, v9
	s_andn2_b32 exec_lo, exec_lo, s14
	s_cbranch_execnz .LBB179_531
; %bb.532:
	s_or_b32 exec_lo, exec_lo, s14
.LBB179_533:
	s_or_b32 exec_lo, exec_lo, s5
	ds_bpermute_b32 v1, v1, v7
	s_waitcnt lgkmcnt(0)
	v_add_f32_e32 v1, v7, v1
	ds_bpermute_b32 v2, v2, v1
	s_waitcnt lgkmcnt(0)
	v_add_f32_e32 v1, v1, v2
	;; [unrolled: 3-line block ×5, first 2 shown]
	s_and_saveexec_b32 s3, vcc_lo
; %bb.534:
	ds_write_b32 v3, v1 offset:1040
; %bb.535:
	s_or_b32 exec_lo, exec_lo, s3
	s_waitcnt lgkmcnt(0)
	s_barrier
	buffer_gl0_inv
	s_and_saveexec_b32 s3, s1
; %bb.536:
	ds_read_b32 v1, v4 offset:1040
; %bb.537:
	s_or_b32 exec_lo, exec_lo, s3
	s_waitcnt lgkmcnt(0)
	ds_bpermute_b32 v2, v6, v1
	v_lshlrev_b32_e32 v3, 2, v36
	s_waitcnt lgkmcnt(0)
	v_add_f32_e32 v1, v1, v2
	ds_bpermute_b32 v2, v26, v1
	s_waitcnt lgkmcnt(0)
	v_add_f32_e32 v1, v1, v2
	v_and_b32_e32 v2, 0xffffff80, v3
	ds_bpermute_b32 v1, v2, v1
	s_and_saveexec_b32 s1, s2
	s_cbranch_execz .LBB179_540
; %bb.538:
	s_waitcnt lgkmcnt(0)
	v_add_f32_e32 v1, 0x358637bd, v1
	s_mov_b32 s2, 0
	v_div_scale_f32 v2, null, v1, v1, 1.0
	v_div_scale_f32 v5, vcc_lo, 1.0, v1, 1.0
	v_rcp_f32_e32 v3, v2
	v_fma_f32 v4, -v2, v3, 1.0
	v_fmac_f32_e32 v3, v4, v3
	v_mul_f32_e32 v4, v5, v3
	v_fma_f32 v6, -v2, v4, v5
	v_fmac_f32_e32 v4, v6, v3
	v_fma_f32 v2, -v2, v4, v5
	v_div_fmas_f32 v2, v2, v3, v4
	v_div_fixup_f32 v1, v2, v1, 1.0
	v_mov_b32_e32 v2, v44
.LBB179_539:                            ; =>This Inner Loop Header: Depth=1
	ds_read_b32 v3, v0
	v_add_nc_u32_e32 v2, 0x80, v2
	v_cmp_le_i32_e32 vcc_lo, s4, v2
	s_or_b32 s2, vcc_lo, s2
	s_waitcnt lgkmcnt(0)
	v_mul_f32_e32 v3, v1, v3
	ds_write_b32 v0, v3
	v_add_nc_u32_e32 v0, 0x200, v0
	s_andn2_b32 exec_lo, exec_lo, s2
	s_cbranch_execnz .LBB179_539
.LBB179_540:
	s_or_b32 exec_lo, exec_lo, s1
	v_mov_b32_e32 v41, 0
	v_and_b32_e32 v27, 1, v44
	v_mov_b32_e32 v43, 0
	v_mov_b32_e32 v42, 0
	;; [unrolled: 1-line block ×15, first 2 shown]
	s_waitcnt lgkmcnt(0)
	s_barrier
	buffer_gl0_inv
	s_and_saveexec_b32 s1, s0
	s_cbranch_execz .LBB179_1088
; %bb.541:
	s_load_dword s2, s[18:19], 0x0
	v_and_b32_e32 v1, 0x7c, v12
	v_and_b32_e32 v0, 4, v12
	v_lshlrev_b32_e32 v3, 3, v87
	s_ashr_i32 s0, s12, 31
	s_add_u32 s4, s26, s12
	v_lshlrev_b32_e32 v2, 4, v27
	s_addc_u32 s0, s27, s0
	v_add_co_u32 v7, s4, s4, v1
	v_mov_b32_e32 v114, v44
	v_or3_b32 v44, v3, v0, 3
	v_and_b32_e32 v0, 0x7c, v67
	v_add_co_ci_u32_e64 v8, null, s0, 0, s4
	s_lshl_b64 s[4:5], s[24:25], 2
	s_add_i32 s3, s7, -1
	v_lshl_or_b32 v2, v87, 5, v2
	s_add_u32 s0, s22, s4
	s_addc_u32 s4, s23, s5
	v_add_co_u32 v9, s0, s0, v0
	v_mov_b32_e32 v6, 0
	v_add_nc_u32_e32 v45, 0x420, v2
	v_add_co_ci_u32_e64 v10, null, s4, 0, s0
	v_mov_b32_e32 v46, 0x80
	v_bfrev_b32_e32 v12, 1
	v_mov_b32_e32 v47, 0xffff
	v_mov_b32_e32 v14, 0x7f800001
	;; [unrolled: 1-line block ×23, first 2 shown]
	s_mov_b32 s4, s13
	s_waitcnt lgkmcnt(0)
	s_mov_b32 s12, s2
	s_mov_b32 s5, 0
	s_branch .LBB179_543
.LBB179_542:                            ;   in Loop: Header=BB179_543 Depth=1
	s_or_b32 exec_lo, exec_lo, s0
	s_waitcnt lgkmcnt(0)
	v_mul_f32_e32 v16, v1, v111
	v_mul_f32_e32 v17, v1, v109
	;; [unrolled: 1-line block ×5, first 2 shown]
	v_fmac_f32_e32 v16, v2, v110
	v_fmac_f32_e32 v17, v2, v108
	;; [unrolled: 1-line block ×4, first 2 shown]
	v_mul_f32_e32 v21, v1, v95
	v_fmac_f32_e32 v16, v3, v24
	v_fmac_f32_e32 v17, v3, v107
	v_fmac_f32_e32 v18, v3, v103
	v_fmac_f32_e32 v19, v3, v99
	v_fmac_f32_e32 v20, v2, v97
	v_fmac_f32_e32 v16, v4, v23
	v_fmac_f32_e32 v17, v4, v106
	v_fmac_f32_e32 v18, v4, v102
	v_fmac_f32_e32 v19, v4, v0
	v_mul_f32_e32 v0, v1, v91
	v_add_f32_e32 v29, v29, v16
	v_add_f32_e32 v30, v30, v17
	;; [unrolled: 1-line block ×3, first 2 shown]
	v_mul_f32_e32 v16, v1, v87
	v_mul_f32_e32 v17, v1, v83
	;; [unrolled: 1-line block ×3, first 2 shown]
	v_fmac_f32_e32 v0, v2, v90
	v_add_f32_e32 v32, v32, v19
	v_fmac_f32_e32 v16, v2, v86
	v_fmac_f32_e32 v17, v2, v82
	;; [unrolled: 1-line block ×4, first 2 shown]
	v_mul_f32_e32 v19, v1, v74
	v_fmac_f32_e32 v16, v3, v85
	v_fmac_f32_e32 v17, v3, v81
	;; [unrolled: 1-line block ×8, first 2 shown]
	v_add_f32_e32 v35, v35, v0
	v_mul_f32_e32 v0, v1, v70
	v_add_f32_e32 v36, v36, v16
	v_add_f32_e32 v37, v37, v17
	;; [unrolled: 1-line block ×3, first 2 shown]
	v_mul_f32_e32 v16, v1, v66
	v_mul_f32_e32 v17, v1, v62
	;; [unrolled: 1-line block ×4, first 2 shown]
	v_fmac_f32_e32 v19, v2, v73
	v_fmac_f32_e32 v0, v2, v69
	;; [unrolled: 1-line block ×14, first 2 shown]
	v_add_nc_u32_e32 v51, 4, v51
	v_fmac_f32_e32 v20, v4, v75
	v_fmac_f32_e32 v21, v4, v92
	v_fmac_f32_e32 v19, v4, v71
	v_fmac_f32_e32 v0, v4, v67
	v_fmac_f32_e32 v16, v4, v63
	v_fmac_f32_e32 v17, v4, v59
	v_fmac_f32_e32 v18, v4, v52
	v_fmac_f32_e32 v1, v4, v5
	v_cmp_le_i32_e32 vcc_lo, s7, v51
	v_add_co_u32 v9, s0, v9, 16
	v_add_f32_e32 v33, v33, v20
	v_add_f32_e32 v34, v34, v21
	;; [unrolled: 1-line block ×8, first 2 shown]
	v_add_nc_u32_e32 v44, 32, v44
	v_add_nc_u32_e32 v45, 0x80, v45
	v_add_co_ci_u32_e64 v10, null, 0, v10, s0
	s_or_b32 s5, vcc_lo, s5
	s_andn2_b32 exec_lo, exec_lo, s5
	s_cbranch_execz .LBB179_1087
.LBB179_543:                            ; =>This Inner Loop Header: Depth=1
	global_load_dword v0, v[9:10], off
	ds_read_b128 v[1:4], v45
	v_mov_b32_e32 v19, 0
	v_mov_b32_e32 v17, 0
	;; [unrolled: 1-line block ×4, first 2 shown]
	s_waitcnt vmcnt(0)
	v_mad_i64_i32 v[15:16], null, v0, s4, v[7:8]
	global_load_dword v0, v[15:16], off
	s_waitcnt vmcnt(0)
	v_cmp_ne_u16_sdwa s13, v0, v6 src0_sel:BYTE_0 src1_sel:DWORD
	s_and_saveexec_b32 s0, s13
	s_cbranch_execz .LBB179_551
; %bb.544:                              ;   in Loop: Header=BB179_543 Depth=1
	v_bfrev_b32_e32 v17, 1
	v_mov_b32_e32 v18, 0
	v_cmp_ne_u16_sdwa s14, v0, v46 src0_sel:BYTE_0 src1_sel:DWORD
	s_and_saveexec_b32 s13, s14
	s_cbranch_execz .LBB179_550
; %bb.545:                              ;   in Loop: Header=BB179_543 Depth=1
	v_mov_b32_e32 v17, 0x7f800001
	v_and_b32_e32 v13, 0x7f, v0
	v_mov_b32_e32 v18, 0
	s_mov_b32 s14, exec_lo
	v_cmpx_ne_u32_e32 0x7f, v13
	s_cbranch_execz .LBB179_549
; %bb.546:                              ;   in Loop: Header=BB179_543 Depth=1
	v_and_b32_e32 v5, 7, v0
	v_lshrrev_b32_e32 v11, 3, v13
	s_mov_b32 s15, exec_lo
	v_cmpx_gt_u32_e32 8, v13
; %bb.547:                              ;   in Loop: Header=BB179_543 Depth=1
	v_ffbh_u32_e32 v11, v5
	v_min_u32_e32 v11, 32, v11
	v_subrev_nc_u32_e32 v13, 28, v11
	v_sub_nc_u32_e32 v11, 29, v11
	v_lshlrev_b64 v[17:18], v13, v[5:6]
	v_and_b32_e32 v5, 7, v17
; %bb.548:                              ;   in Loop: Header=BB179_543 Depth=1
	s_or_b32 exec_lo, exec_lo, s15
	v_lshlrev_b32_e32 v13, 24, v0
	v_lshlrev_b32_e32 v5, 20, v5
	v_lshl_add_u32 v11, v11, 23, 0x3c000000
	v_and_b32_e32 v13, 0x80000000, v13
	v_or3_b32 v5, v5, v13, v11
	v_mov_b32_e32 v18, v6
	v_mov_b32_e32 v17, v5
.LBB179_549:                            ;   in Loop: Header=BB179_543 Depth=1
	s_or_b32 exec_lo, exec_lo, s14
.LBB179_550:                            ;   in Loop: Header=BB179_543 Depth=1
	s_or_b32 exec_lo, exec_lo, s13
.LBB179_551:                            ;   in Loop: Header=BB179_543 Depth=1
	s_or_b32 exec_lo, exec_lo, s0
	v_cmp_ne_u16_sdwa s13, v0, v6 src0_sel:BYTE_1 src1_sel:DWORD
	s_and_saveexec_b32 s0, s13
	s_cbranch_execz .LBB179_559
; %bb.552:                              ;   in Loop: Header=BB179_543 Depth=1
	v_mov_b32_e32 v11, v6
	v_mov_b32_e32 v20, v12
	v_cmp_ne_u16_sdwa s14, v0, v46 src0_sel:BYTE_1 src1_sel:DWORD
	v_mov_b32_e32 v19, v11
	s_and_saveexec_b32 s13, s14
	s_cbranch_execz .LBB179_558
; %bb.553:                              ;   in Loop: Header=BB179_543 Depth=1
	v_and_b32_sdwa v5, v47, v0 dst_sel:DWORD dst_unused:UNUSED_PAD src0_sel:DWORD src1_sel:BYTE_1
	v_mov_b32_e32 v13, v6
	v_mov_b32_e32 v20, v14
	s_mov_b32 s14, exec_lo
	v_and_b32_e32 v21, 0x7f, v5
	v_mov_b32_e32 v19, v13
	v_cmpx_ne_u32_e32 0x7f, v21
	s_cbranch_execz .LBB179_557
; %bb.554:                              ;   in Loop: Header=BB179_543 Depth=1
	v_and_b32_e32 v5, 7, v5
	v_lshrrev_b32_e32 v11, 3, v21
	s_mov_b32 s15, exec_lo
	v_cmpx_gt_u32_e32 8, v21
; %bb.555:                              ;   in Loop: Header=BB179_543 Depth=1
	v_ffbh_u32_e32 v11, v5
	v_min_u32_e32 v11, 32, v11
	v_subrev_nc_u32_e32 v13, 28, v11
	v_sub_nc_u32_e32 v11, 29, v11
	v_lshlrev_b64 v[19:20], v13, v[5:6]
	v_and_b32_e32 v5, 7, v19
; %bb.556:                              ;   in Loop: Header=BB179_543 Depth=1
	s_or_b32 exec_lo, exec_lo, s15
	v_lshlrev_b32_e32 v13, 16, v0
	v_lshlrev_b32_e32 v5, 20, v5
	v_lshl_add_u32 v11, v11, 23, 0x3c000000
	v_mov_b32_e32 v19, v6
	v_and_b32_e32 v13, 0x80000000, v13
	v_or3_b32 v20, v5, v13, v11
.LBB179_557:                            ;   in Loop: Header=BB179_543 Depth=1
	s_or_b32 exec_lo, exec_lo, s14
.LBB179_558:                            ;   in Loop: Header=BB179_543 Depth=1
	s_or_b32 exec_lo, exec_lo, s13
.LBB179_559:                            ;   in Loop: Header=BB179_543 Depth=1
	s_or_b32 exec_lo, exec_lo, s0
	v_mov_b32_e32 v23, 0
	v_mov_b32_e32 v21, 0
	v_and_b32_sdwa v5, v0, v48 dst_sel:DWORD dst_unused:UNUSED_PAD src0_sel:WORD_1 src1_sel:DWORD
	v_mov_b32_e32 v24, 0
	v_mov_b32_e32 v22, 0
	s_mov_b32 s0, exec_lo
	v_cmpx_ne_u16_e32 0, v5
	s_cbranch_execz .LBB179_567
; %bb.560:                              ;   in Loop: Header=BB179_543 Depth=1
	v_bfrev_b32_e32 v21, 1
	v_mov_b32_e32 v22, 0
	s_mov_b32 s13, exec_lo
	v_cmpx_ne_u16_e32 0x80, v5
	s_cbranch_execz .LBB179_566
; %bb.561:                              ;   in Loop: Header=BB179_543 Depth=1
	v_mov_b32_e32 v21, 0x7f800001
	v_bfe_u32 v13, v0, 16, 7
	v_mov_b32_e32 v22, 0
	s_mov_b32 s14, exec_lo
	v_cmpx_ne_u32_e32 0x7f, v13
	s_cbranch_execz .LBB179_565
; %bb.562:                              ;   in Loop: Header=BB179_543 Depth=1
	v_and_b32_sdwa v5, v0, v49 dst_sel:DWORD dst_unused:UNUSED_PAD src0_sel:WORD_1 src1_sel:DWORD
	v_lshrrev_b32_e32 v11, 3, v13
	s_mov_b32 s15, exec_lo
	v_cmpx_gt_u32_e32 8, v13
; %bb.563:                              ;   in Loop: Header=BB179_543 Depth=1
	v_ffbh_u32_e32 v11, v5
	v_min_u32_e32 v11, 32, v11
	v_subrev_nc_u32_e32 v13, 28, v11
	v_sub_nc_u32_e32 v11, 29, v11
	v_lshlrev_b64 v[21:22], v13, v[5:6]
	v_and_b32_e32 v5, 7, v21
; %bb.564:                              ;   in Loop: Header=BB179_543 Depth=1
	s_or_b32 exec_lo, exec_lo, s15
	v_lshlrev_b32_sdwa v13, v50, v0 dst_sel:DWORD dst_unused:UNUSED_PAD src0_sel:DWORD src1_sel:WORD_1
	v_lshlrev_b32_e32 v5, 20, v5
	v_lshl_add_u32 v11, v11, 23, 0x3c000000
	v_and_b32_e32 v13, 0x80000000, v13
	v_or3_b32 v5, v5, v13, v11
	v_mov_b32_e32 v22, v6
	v_mov_b32_e32 v21, v5
.LBB179_565:                            ;   in Loop: Header=BB179_543 Depth=1
	s_or_b32 exec_lo, exec_lo, s14
.LBB179_566:                            ;   in Loop: Header=BB179_543 Depth=1
	s_or_b32 exec_lo, exec_lo, s13
.LBB179_567:                            ;   in Loop: Header=BB179_543 Depth=1
	s_or_b32 exec_lo, exec_lo, s0
	s_mov_b32 s0, exec_lo
	v_cmpx_lt_u32_e32 0xffffff, v0
	s_cbranch_execz .LBB179_575
; %bb.568:                              ;   in Loop: Header=BB179_543 Depth=1
	v_mov_b32_e32 v11, v6
	v_mov_b32_e32 v24, v12
	v_cmp_ne_u32_sdwa s14, v0, v46 src0_sel:BYTE_3 src1_sel:DWORD
	v_mov_b32_e32 v23, v11
	s_and_saveexec_b32 s13, s14
	s_cbranch_execz .LBB179_574
; %bb.569:                              ;   in Loop: Header=BB179_543 Depth=1
	v_mov_b32_e32 v13, v6
	v_mov_b32_e32 v24, v14
	v_bfe_u32 v52, v0, 24, 7
	s_mov_b32 s14, exec_lo
	v_mov_b32_e32 v23, v13
	v_cmpx_ne_u32_e32 0x7f, v52
	s_cbranch_execz .LBB179_573
; %bb.570:                              ;   in Loop: Header=BB179_543 Depth=1
	v_and_b32_sdwa v5, v0, v49 dst_sel:DWORD dst_unused:UNUSED_PAD src0_sel:BYTE_3 src1_sel:DWORD
	v_lshrrev_b32_e32 v11, 3, v52
	s_mov_b32 s15, exec_lo
	v_cmpx_gt_u32_e32 8, v52
; %bb.571:                              ;   in Loop: Header=BB179_543 Depth=1
	v_ffbh_u32_e32 v11, v5
	v_min_u32_e32 v11, 32, v11
	v_subrev_nc_u32_e32 v13, 28, v11
	v_sub_nc_u32_e32 v11, 29, v11
	v_lshlrev_b64 v[23:24], v13, v[5:6]
	v_and_b32_e32 v5, 7, v23
; %bb.572:                              ;   in Loop: Header=BB179_543 Depth=1
	s_or_b32 exec_lo, exec_lo, s15
	v_lshlrev_b32_sdwa v0, v50, v0 dst_sel:DWORD dst_unused:UNUSED_PAD src0_sel:DWORD src1_sel:BYTE_3
	v_lshlrev_b32_e32 v5, 20, v5
	v_lshl_add_u32 v11, v11, 23, 0x3c000000
	v_mov_b32_e32 v23, v6
	v_and_b32_e32 v0, 0x80000000, v0
	v_or3_b32 v24, v5, v0, v11
.LBB179_573:                            ;   in Loop: Header=BB179_543 Depth=1
	s_or_b32 exec_lo, exec_lo, s14
.LBB179_574:                            ;   in Loop: Header=BB179_543 Depth=1
	s_or_b32 exec_lo, exec_lo, s13
.LBB179_575:                            ;   in Loop: Header=BB179_543 Depth=1
	s_or_b32 exec_lo, exec_lo, s0
	v_or_b32_e32 v0, v20, v18
	v_or_b32_e32 v5, v19, v17
	;; [unrolled: 1-line block ×4, first 2 shown]
	v_add_nc_u32_e32 v56, -3, v44
	v_cmp_eq_u32_e32 vcc_lo, s3, v51
	v_mul_f32_e32 v54, s12, v0
	v_mul_f32_e32 v55, s2, v5
	;; [unrolled: 1-line block ×4, first 2 shown]
	v_add_nc_u32_e32 v58, -2, v44
	v_add_nc_u32_e32 v57, -1, v44
	s_and_saveexec_b32 s13, vcc_lo
	s_cbranch_execz .LBB179_577
; %bb.576:                              ;   in Loop: Header=BB179_543 Depth=1
	v_cmp_gt_i32_e64 s0, s28, v56
	v_cndmask_b32_e64 v55, 0, v55, s0
	v_cmp_gt_i32_e64 s0, s28, v58
	v_cndmask_b32_e64 v54, 0, v54, s0
	;; [unrolled: 2-line block ×4, first 2 shown]
.LBB179_577:                            ;   in Loop: Header=BB179_543 Depth=1
	s_or_b32 exec_lo, exec_lo, s13
	global_load_dword v0, v[15:16], off offset:128
	v_mov_b32_e32 v19, 0
	v_mov_b32_e32 v17, 0
	;; [unrolled: 1-line block ×4, first 2 shown]
	s_waitcnt vmcnt(0)
	v_cmp_ne_u16_sdwa s0, v0, v6 src0_sel:BYTE_0 src1_sel:DWORD
	s_and_saveexec_b32 s13, s0
	s_cbranch_execz .LBB179_585
; %bb.578:                              ;   in Loop: Header=BB179_543 Depth=1
	v_bfrev_b32_e32 v17, 1
	v_mov_b32_e32 v18, 0
	v_cmp_ne_u16_sdwa s0, v0, v46 src0_sel:BYTE_0 src1_sel:DWORD
	s_and_saveexec_b32 s14, s0
	s_cbranch_execz .LBB179_584
; %bb.579:                              ;   in Loop: Header=BB179_543 Depth=1
	v_mov_b32_e32 v17, 0x7f800001
	v_and_b32_e32 v13, 0x7f, v0
	v_mov_b32_e32 v18, 0
	s_mov_b32 s15, exec_lo
	v_cmpx_ne_u32_e32 0x7f, v13
	s_cbranch_execz .LBB179_583
; %bb.580:                              ;   in Loop: Header=BB179_543 Depth=1
	v_and_b32_e32 v5, 7, v0
	v_lshrrev_b32_e32 v11, 3, v13
	s_mov_b32 s16, exec_lo
	v_cmpx_gt_u32_e32 8, v13
; %bb.581:                              ;   in Loop: Header=BB179_543 Depth=1
	v_ffbh_u32_e32 v11, v5
	v_min_u32_e32 v11, 32, v11
	v_subrev_nc_u32_e32 v13, 28, v11
	v_sub_nc_u32_e32 v11, 29, v11
	v_lshlrev_b64 v[17:18], v13, v[5:6]
	v_and_b32_e32 v5, 7, v17
; %bb.582:                              ;   in Loop: Header=BB179_543 Depth=1
	s_or_b32 exec_lo, exec_lo, s16
	v_lshlrev_b32_e32 v13, 24, v0
	v_lshlrev_b32_e32 v5, 20, v5
	v_lshl_add_u32 v11, v11, 23, 0x3c000000
	v_and_b32_e32 v13, 0x80000000, v13
	v_or3_b32 v5, v5, v13, v11
	v_mov_b32_e32 v18, v6
	v_mov_b32_e32 v17, v5
.LBB179_583:                            ;   in Loop: Header=BB179_543 Depth=1
	s_or_b32 exec_lo, exec_lo, s15
.LBB179_584:                            ;   in Loop: Header=BB179_543 Depth=1
	s_or_b32 exec_lo, exec_lo, s14
.LBB179_585:                            ;   in Loop: Header=BB179_543 Depth=1
	s_or_b32 exec_lo, exec_lo, s13
	v_cmp_ne_u16_sdwa s0, v0, v6 src0_sel:BYTE_1 src1_sel:DWORD
	s_and_saveexec_b32 s13, s0
	s_cbranch_execz .LBB179_593
; %bb.586:                              ;   in Loop: Header=BB179_543 Depth=1
	v_mov_b32_e32 v11, v6
	v_mov_b32_e32 v20, v12
	v_cmp_ne_u16_sdwa s0, v0, v46 src0_sel:BYTE_1 src1_sel:DWORD
	v_mov_b32_e32 v19, v11
	s_and_saveexec_b32 s14, s0
	s_cbranch_execz .LBB179_592
; %bb.587:                              ;   in Loop: Header=BB179_543 Depth=1
	v_and_b32_sdwa v5, v47, v0 dst_sel:DWORD dst_unused:UNUSED_PAD src0_sel:DWORD src1_sel:BYTE_1
	v_mov_b32_e32 v13, v6
	v_mov_b32_e32 v20, v14
	s_mov_b32 s15, exec_lo
	v_and_b32_e32 v21, 0x7f, v5
	v_mov_b32_e32 v19, v13
	v_cmpx_ne_u32_e32 0x7f, v21
	s_cbranch_execz .LBB179_591
; %bb.588:                              ;   in Loop: Header=BB179_543 Depth=1
	v_and_b32_e32 v5, 7, v5
	v_lshrrev_b32_e32 v11, 3, v21
	s_mov_b32 s16, exec_lo
	v_cmpx_gt_u32_e32 8, v21
; %bb.589:                              ;   in Loop: Header=BB179_543 Depth=1
	v_ffbh_u32_e32 v11, v5
	v_min_u32_e32 v11, 32, v11
	v_subrev_nc_u32_e32 v13, 28, v11
	v_sub_nc_u32_e32 v11, 29, v11
	v_lshlrev_b64 v[19:20], v13, v[5:6]
	v_and_b32_e32 v5, 7, v19
; %bb.590:                              ;   in Loop: Header=BB179_543 Depth=1
	s_or_b32 exec_lo, exec_lo, s16
	v_lshlrev_b32_e32 v13, 16, v0
	v_lshlrev_b32_e32 v5, 20, v5
	v_lshl_add_u32 v11, v11, 23, 0x3c000000
	v_mov_b32_e32 v19, v6
	v_and_b32_e32 v13, 0x80000000, v13
	v_or3_b32 v20, v5, v13, v11
.LBB179_591:                            ;   in Loop: Header=BB179_543 Depth=1
	s_or_b32 exec_lo, exec_lo, s15
.LBB179_592:                            ;   in Loop: Header=BB179_543 Depth=1
	s_or_b32 exec_lo, exec_lo, s14
.LBB179_593:                            ;   in Loop: Header=BB179_543 Depth=1
	s_or_b32 exec_lo, exec_lo, s13
	v_mov_b32_e32 v23, 0
	v_mov_b32_e32 v21, 0
	v_and_b32_sdwa v5, v0, v48 dst_sel:DWORD dst_unused:UNUSED_PAD src0_sel:WORD_1 src1_sel:DWORD
	v_mov_b32_e32 v24, 0
	v_mov_b32_e32 v22, 0
	s_mov_b32 s13, exec_lo
	v_cmpx_ne_u16_e32 0, v5
	s_cbranch_execz .LBB179_601
; %bb.594:                              ;   in Loop: Header=BB179_543 Depth=1
	v_bfrev_b32_e32 v21, 1
	v_mov_b32_e32 v22, 0
	s_mov_b32 s14, exec_lo
	v_cmpx_ne_u16_e32 0x80, v5
	s_cbranch_execz .LBB179_600
; %bb.595:                              ;   in Loop: Header=BB179_543 Depth=1
	v_mov_b32_e32 v21, 0x7f800001
	v_bfe_u32 v13, v0, 16, 7
	v_mov_b32_e32 v22, 0
	s_mov_b32 s15, exec_lo
	v_cmpx_ne_u32_e32 0x7f, v13
	s_cbranch_execz .LBB179_599
; %bb.596:                              ;   in Loop: Header=BB179_543 Depth=1
	v_and_b32_sdwa v5, v0, v49 dst_sel:DWORD dst_unused:UNUSED_PAD src0_sel:WORD_1 src1_sel:DWORD
	v_lshrrev_b32_e32 v11, 3, v13
	s_mov_b32 s16, exec_lo
	v_cmpx_gt_u32_e32 8, v13
; %bb.597:                              ;   in Loop: Header=BB179_543 Depth=1
	v_ffbh_u32_e32 v11, v5
	v_min_u32_e32 v11, 32, v11
	v_subrev_nc_u32_e32 v13, 28, v11
	v_sub_nc_u32_e32 v11, 29, v11
	v_lshlrev_b64 v[21:22], v13, v[5:6]
	v_and_b32_e32 v5, 7, v21
; %bb.598:                              ;   in Loop: Header=BB179_543 Depth=1
	s_or_b32 exec_lo, exec_lo, s16
	v_lshlrev_b32_sdwa v13, v50, v0 dst_sel:DWORD dst_unused:UNUSED_PAD src0_sel:DWORD src1_sel:WORD_1
	v_lshlrev_b32_e32 v5, 20, v5
	v_lshl_add_u32 v11, v11, 23, 0x3c000000
	v_and_b32_e32 v13, 0x80000000, v13
	v_or3_b32 v5, v5, v13, v11
	v_mov_b32_e32 v22, v6
	v_mov_b32_e32 v21, v5
.LBB179_599:                            ;   in Loop: Header=BB179_543 Depth=1
	s_or_b32 exec_lo, exec_lo, s15
.LBB179_600:                            ;   in Loop: Header=BB179_543 Depth=1
	s_or_b32 exec_lo, exec_lo, s14
.LBB179_601:                            ;   in Loop: Header=BB179_543 Depth=1
	s_or_b32 exec_lo, exec_lo, s13
	s_mov_b32 s13, exec_lo
	v_cmpx_lt_u32_e32 0xffffff, v0
	s_cbranch_execz .LBB179_609
; %bb.602:                              ;   in Loop: Header=BB179_543 Depth=1
	v_mov_b32_e32 v11, v6
	v_mov_b32_e32 v24, v12
	v_cmp_ne_u32_sdwa s0, v0, v46 src0_sel:BYTE_3 src1_sel:DWORD
	v_mov_b32_e32 v23, v11
	s_and_saveexec_b32 s14, s0
	s_cbranch_execz .LBB179_608
; %bb.603:                              ;   in Loop: Header=BB179_543 Depth=1
	v_mov_b32_e32 v13, v6
	v_mov_b32_e32 v24, v14
	v_bfe_u32 v59, v0, 24, 7
	s_mov_b32 s15, exec_lo
	v_mov_b32_e32 v23, v13
	v_cmpx_ne_u32_e32 0x7f, v59
	s_cbranch_execz .LBB179_607
; %bb.604:                              ;   in Loop: Header=BB179_543 Depth=1
	v_and_b32_sdwa v5, v0, v49 dst_sel:DWORD dst_unused:UNUSED_PAD src0_sel:BYTE_3 src1_sel:DWORD
	v_lshrrev_b32_e32 v11, 3, v59
	s_mov_b32 s16, exec_lo
	v_cmpx_gt_u32_e32 8, v59
; %bb.605:                              ;   in Loop: Header=BB179_543 Depth=1
	v_ffbh_u32_e32 v11, v5
	v_min_u32_e32 v11, 32, v11
	v_subrev_nc_u32_e32 v13, 28, v11
	v_sub_nc_u32_e32 v11, 29, v11
	v_lshlrev_b64 v[23:24], v13, v[5:6]
	v_and_b32_e32 v5, 7, v23
; %bb.606:                              ;   in Loop: Header=BB179_543 Depth=1
	s_or_b32 exec_lo, exec_lo, s16
	v_lshlrev_b32_sdwa v0, v50, v0 dst_sel:DWORD dst_unused:UNUSED_PAD src0_sel:DWORD src1_sel:BYTE_3
	v_lshlrev_b32_e32 v5, 20, v5
	v_lshl_add_u32 v11, v11, 23, 0x3c000000
	v_mov_b32_e32 v23, v6
	v_and_b32_e32 v0, 0x80000000, v0
	v_or3_b32 v24, v5, v0, v11
.LBB179_607:                            ;   in Loop: Header=BB179_543 Depth=1
	s_or_b32 exec_lo, exec_lo, s15
.LBB179_608:                            ;   in Loop: Header=BB179_543 Depth=1
	s_or_b32 exec_lo, exec_lo, s14
.LBB179_609:                            ;   in Loop: Header=BB179_543 Depth=1
	s_or_b32 exec_lo, exec_lo, s13
	v_or_b32_e32 v0, v20, v18
	v_or_b32_e32 v5, v19, v17
	;; [unrolled: 1-line block ×4, first 2 shown]
	v_mul_f32_e32 v61, s12, v0
	v_mul_f32_e32 v62, s2, v5
	;; [unrolled: 1-line block ×4, first 2 shown]
	s_and_saveexec_b32 s13, vcc_lo
	s_cbranch_execz .LBB179_611
; %bb.610:                              ;   in Loop: Header=BB179_543 Depth=1
	v_cmp_gt_i32_e64 s0, s28, v56
	v_cndmask_b32_e64 v62, 0, v62, s0
	v_cmp_gt_i32_e64 s0, s28, v58
	v_cndmask_b32_e64 v61, 0, v61, s0
	;; [unrolled: 2-line block ×4, first 2 shown]
.LBB179_611:                            ;   in Loop: Header=BB179_543 Depth=1
	s_or_b32 exec_lo, exec_lo, s13
	global_load_dword v0, v[15:16], off offset:256
	v_mov_b32_e32 v19, 0
	v_mov_b32_e32 v17, 0
	;; [unrolled: 1-line block ×4, first 2 shown]
	s_waitcnt vmcnt(0)
	v_cmp_ne_u16_sdwa s0, v0, v6 src0_sel:BYTE_0 src1_sel:DWORD
	s_and_saveexec_b32 s13, s0
	s_cbranch_execz .LBB179_619
; %bb.612:                              ;   in Loop: Header=BB179_543 Depth=1
	v_bfrev_b32_e32 v17, 1
	v_mov_b32_e32 v18, 0
	v_cmp_ne_u16_sdwa s0, v0, v46 src0_sel:BYTE_0 src1_sel:DWORD
	s_and_saveexec_b32 s14, s0
	s_cbranch_execz .LBB179_618
; %bb.613:                              ;   in Loop: Header=BB179_543 Depth=1
	v_mov_b32_e32 v17, 0x7f800001
	v_and_b32_e32 v13, 0x7f, v0
	v_mov_b32_e32 v18, 0
	s_mov_b32 s15, exec_lo
	v_cmpx_ne_u32_e32 0x7f, v13
	s_cbranch_execz .LBB179_617
; %bb.614:                              ;   in Loop: Header=BB179_543 Depth=1
	v_and_b32_e32 v5, 7, v0
	v_lshrrev_b32_e32 v11, 3, v13
	s_mov_b32 s16, exec_lo
	v_cmpx_gt_u32_e32 8, v13
; %bb.615:                              ;   in Loop: Header=BB179_543 Depth=1
	v_ffbh_u32_e32 v11, v5
	v_min_u32_e32 v11, 32, v11
	v_subrev_nc_u32_e32 v13, 28, v11
	v_sub_nc_u32_e32 v11, 29, v11
	v_lshlrev_b64 v[17:18], v13, v[5:6]
	v_and_b32_e32 v5, 7, v17
; %bb.616:                              ;   in Loop: Header=BB179_543 Depth=1
	s_or_b32 exec_lo, exec_lo, s16
	v_lshlrev_b32_e32 v13, 24, v0
	v_lshlrev_b32_e32 v5, 20, v5
	v_lshl_add_u32 v11, v11, 23, 0x3c000000
	v_and_b32_e32 v13, 0x80000000, v13
	v_or3_b32 v5, v5, v13, v11
	v_mov_b32_e32 v18, v6
	v_mov_b32_e32 v17, v5
.LBB179_617:                            ;   in Loop: Header=BB179_543 Depth=1
	s_or_b32 exec_lo, exec_lo, s15
.LBB179_618:                            ;   in Loop: Header=BB179_543 Depth=1
	s_or_b32 exec_lo, exec_lo, s14
.LBB179_619:                            ;   in Loop: Header=BB179_543 Depth=1
	s_or_b32 exec_lo, exec_lo, s13
	v_cmp_ne_u16_sdwa s0, v0, v6 src0_sel:BYTE_1 src1_sel:DWORD
	s_and_saveexec_b32 s13, s0
	s_cbranch_execz .LBB179_627
; %bb.620:                              ;   in Loop: Header=BB179_543 Depth=1
	v_mov_b32_e32 v11, v6
	v_mov_b32_e32 v20, v12
	v_cmp_ne_u16_sdwa s0, v0, v46 src0_sel:BYTE_1 src1_sel:DWORD
	v_mov_b32_e32 v19, v11
	s_and_saveexec_b32 s14, s0
	s_cbranch_execz .LBB179_626
; %bb.621:                              ;   in Loop: Header=BB179_543 Depth=1
	v_and_b32_sdwa v5, v47, v0 dst_sel:DWORD dst_unused:UNUSED_PAD src0_sel:DWORD src1_sel:BYTE_1
	v_mov_b32_e32 v13, v6
	v_mov_b32_e32 v20, v14
	s_mov_b32 s15, exec_lo
	v_and_b32_e32 v21, 0x7f, v5
	v_mov_b32_e32 v19, v13
	v_cmpx_ne_u32_e32 0x7f, v21
	s_cbranch_execz .LBB179_625
; %bb.622:                              ;   in Loop: Header=BB179_543 Depth=1
	v_and_b32_e32 v5, 7, v5
	v_lshrrev_b32_e32 v11, 3, v21
	s_mov_b32 s16, exec_lo
	v_cmpx_gt_u32_e32 8, v21
; %bb.623:                              ;   in Loop: Header=BB179_543 Depth=1
	v_ffbh_u32_e32 v11, v5
	v_min_u32_e32 v11, 32, v11
	v_subrev_nc_u32_e32 v13, 28, v11
	v_sub_nc_u32_e32 v11, 29, v11
	v_lshlrev_b64 v[19:20], v13, v[5:6]
	v_and_b32_e32 v5, 7, v19
; %bb.624:                              ;   in Loop: Header=BB179_543 Depth=1
	s_or_b32 exec_lo, exec_lo, s16
	v_lshlrev_b32_e32 v13, 16, v0
	v_lshlrev_b32_e32 v5, 20, v5
	v_lshl_add_u32 v11, v11, 23, 0x3c000000
	v_mov_b32_e32 v19, v6
	v_and_b32_e32 v13, 0x80000000, v13
	v_or3_b32 v20, v5, v13, v11
.LBB179_625:                            ;   in Loop: Header=BB179_543 Depth=1
	s_or_b32 exec_lo, exec_lo, s15
.LBB179_626:                            ;   in Loop: Header=BB179_543 Depth=1
	s_or_b32 exec_lo, exec_lo, s14
.LBB179_627:                            ;   in Loop: Header=BB179_543 Depth=1
	s_or_b32 exec_lo, exec_lo, s13
	v_mov_b32_e32 v23, 0
	v_mov_b32_e32 v21, 0
	v_and_b32_sdwa v5, v0, v48 dst_sel:DWORD dst_unused:UNUSED_PAD src0_sel:WORD_1 src1_sel:DWORD
	v_mov_b32_e32 v24, 0
	v_mov_b32_e32 v22, 0
	s_mov_b32 s13, exec_lo
	v_cmpx_ne_u16_e32 0, v5
	s_cbranch_execz .LBB179_635
; %bb.628:                              ;   in Loop: Header=BB179_543 Depth=1
	v_bfrev_b32_e32 v21, 1
	v_mov_b32_e32 v22, 0
	s_mov_b32 s14, exec_lo
	v_cmpx_ne_u16_e32 0x80, v5
	s_cbranch_execz .LBB179_634
; %bb.629:                              ;   in Loop: Header=BB179_543 Depth=1
	v_mov_b32_e32 v21, 0x7f800001
	v_bfe_u32 v13, v0, 16, 7
	v_mov_b32_e32 v22, 0
	s_mov_b32 s15, exec_lo
	v_cmpx_ne_u32_e32 0x7f, v13
	s_cbranch_execz .LBB179_633
; %bb.630:                              ;   in Loop: Header=BB179_543 Depth=1
	v_and_b32_sdwa v5, v0, v49 dst_sel:DWORD dst_unused:UNUSED_PAD src0_sel:WORD_1 src1_sel:DWORD
	v_lshrrev_b32_e32 v11, 3, v13
	s_mov_b32 s16, exec_lo
	v_cmpx_gt_u32_e32 8, v13
; %bb.631:                              ;   in Loop: Header=BB179_543 Depth=1
	v_ffbh_u32_e32 v11, v5
	v_min_u32_e32 v11, 32, v11
	v_subrev_nc_u32_e32 v13, 28, v11
	v_sub_nc_u32_e32 v11, 29, v11
	v_lshlrev_b64 v[21:22], v13, v[5:6]
	v_and_b32_e32 v5, 7, v21
; %bb.632:                              ;   in Loop: Header=BB179_543 Depth=1
	s_or_b32 exec_lo, exec_lo, s16
	v_lshlrev_b32_sdwa v13, v50, v0 dst_sel:DWORD dst_unused:UNUSED_PAD src0_sel:DWORD src1_sel:WORD_1
	v_lshlrev_b32_e32 v5, 20, v5
	v_lshl_add_u32 v11, v11, 23, 0x3c000000
	v_and_b32_e32 v13, 0x80000000, v13
	v_or3_b32 v5, v5, v13, v11
	v_mov_b32_e32 v22, v6
	v_mov_b32_e32 v21, v5
.LBB179_633:                            ;   in Loop: Header=BB179_543 Depth=1
	s_or_b32 exec_lo, exec_lo, s15
.LBB179_634:                            ;   in Loop: Header=BB179_543 Depth=1
	s_or_b32 exec_lo, exec_lo, s14
.LBB179_635:                            ;   in Loop: Header=BB179_543 Depth=1
	s_or_b32 exec_lo, exec_lo, s13
	s_mov_b32 s13, exec_lo
	v_cmpx_lt_u32_e32 0xffffff, v0
	s_cbranch_execz .LBB179_643
; %bb.636:                              ;   in Loop: Header=BB179_543 Depth=1
	v_mov_b32_e32 v11, v6
	v_mov_b32_e32 v24, v12
	v_cmp_ne_u32_sdwa s0, v0, v46 src0_sel:BYTE_3 src1_sel:DWORD
	v_mov_b32_e32 v23, v11
	s_and_saveexec_b32 s14, s0
	s_cbranch_execz .LBB179_642
; %bb.637:                              ;   in Loop: Header=BB179_543 Depth=1
	v_mov_b32_e32 v13, v6
	v_mov_b32_e32 v24, v14
	v_bfe_u32 v63, v0, 24, 7
	s_mov_b32 s15, exec_lo
	v_mov_b32_e32 v23, v13
	v_cmpx_ne_u32_e32 0x7f, v63
	s_cbranch_execz .LBB179_641
; %bb.638:                              ;   in Loop: Header=BB179_543 Depth=1
	v_and_b32_sdwa v5, v0, v49 dst_sel:DWORD dst_unused:UNUSED_PAD src0_sel:BYTE_3 src1_sel:DWORD
	v_lshrrev_b32_e32 v11, 3, v63
	s_mov_b32 s16, exec_lo
	v_cmpx_gt_u32_e32 8, v63
; %bb.639:                              ;   in Loop: Header=BB179_543 Depth=1
	v_ffbh_u32_e32 v11, v5
	v_min_u32_e32 v11, 32, v11
	v_subrev_nc_u32_e32 v13, 28, v11
	v_sub_nc_u32_e32 v11, 29, v11
	v_lshlrev_b64 v[23:24], v13, v[5:6]
	v_and_b32_e32 v5, 7, v23
; %bb.640:                              ;   in Loop: Header=BB179_543 Depth=1
	s_or_b32 exec_lo, exec_lo, s16
	v_lshlrev_b32_sdwa v0, v50, v0 dst_sel:DWORD dst_unused:UNUSED_PAD src0_sel:DWORD src1_sel:BYTE_3
	v_lshlrev_b32_e32 v5, 20, v5
	v_lshl_add_u32 v11, v11, 23, 0x3c000000
	v_mov_b32_e32 v23, v6
	v_and_b32_e32 v0, 0x80000000, v0
	v_or3_b32 v24, v5, v0, v11
.LBB179_641:                            ;   in Loop: Header=BB179_543 Depth=1
	s_or_b32 exec_lo, exec_lo, s15
.LBB179_642:                            ;   in Loop: Header=BB179_543 Depth=1
	s_or_b32 exec_lo, exec_lo, s14
.LBB179_643:                            ;   in Loop: Header=BB179_543 Depth=1
	s_or_b32 exec_lo, exec_lo, s13
	v_or_b32_e32 v0, v20, v18
	v_or_b32_e32 v5, v19, v17
	;; [unrolled: 1-line block ×4, first 2 shown]
	v_mul_f32_e32 v65, s12, v0
	v_mul_f32_e32 v66, s2, v5
	;; [unrolled: 1-line block ×4, first 2 shown]
	s_and_saveexec_b32 s13, vcc_lo
	s_cbranch_execz .LBB179_645
; %bb.644:                              ;   in Loop: Header=BB179_543 Depth=1
	v_cmp_gt_i32_e64 s0, s28, v56
	v_cndmask_b32_e64 v66, 0, v66, s0
	v_cmp_gt_i32_e64 s0, s28, v58
	v_cndmask_b32_e64 v65, 0, v65, s0
	v_cmp_gt_i32_e64 s0, s28, v57
	v_cndmask_b32_e64 v64, 0, v64, s0
	v_cmp_gt_i32_e64 s0, s28, v44
	v_cndmask_b32_e64 v63, 0, v63, s0
.LBB179_645:                            ;   in Loop: Header=BB179_543 Depth=1
	s_or_b32 exec_lo, exec_lo, s13
	global_load_dword v0, v[15:16], off offset:384
	v_mov_b32_e32 v19, 0
	v_mov_b32_e32 v17, 0
	;; [unrolled: 1-line block ×4, first 2 shown]
	s_waitcnt vmcnt(0)
	v_cmp_ne_u16_sdwa s0, v0, v6 src0_sel:BYTE_0 src1_sel:DWORD
	s_and_saveexec_b32 s13, s0
	s_cbranch_execz .LBB179_653
; %bb.646:                              ;   in Loop: Header=BB179_543 Depth=1
	v_bfrev_b32_e32 v17, 1
	v_mov_b32_e32 v18, 0
	v_cmp_ne_u16_sdwa s0, v0, v46 src0_sel:BYTE_0 src1_sel:DWORD
	s_and_saveexec_b32 s14, s0
	s_cbranch_execz .LBB179_652
; %bb.647:                              ;   in Loop: Header=BB179_543 Depth=1
	v_mov_b32_e32 v17, 0x7f800001
	v_and_b32_e32 v13, 0x7f, v0
	v_mov_b32_e32 v18, 0
	s_mov_b32 s15, exec_lo
	v_cmpx_ne_u32_e32 0x7f, v13
	s_cbranch_execz .LBB179_651
; %bb.648:                              ;   in Loop: Header=BB179_543 Depth=1
	v_and_b32_e32 v5, 7, v0
	v_lshrrev_b32_e32 v11, 3, v13
	s_mov_b32 s16, exec_lo
	v_cmpx_gt_u32_e32 8, v13
; %bb.649:                              ;   in Loop: Header=BB179_543 Depth=1
	v_ffbh_u32_e32 v11, v5
	v_min_u32_e32 v11, 32, v11
	v_subrev_nc_u32_e32 v13, 28, v11
	v_sub_nc_u32_e32 v11, 29, v11
	v_lshlrev_b64 v[17:18], v13, v[5:6]
	v_and_b32_e32 v5, 7, v17
; %bb.650:                              ;   in Loop: Header=BB179_543 Depth=1
	s_or_b32 exec_lo, exec_lo, s16
	v_lshlrev_b32_e32 v13, 24, v0
	v_lshlrev_b32_e32 v5, 20, v5
	v_lshl_add_u32 v11, v11, 23, 0x3c000000
	v_and_b32_e32 v13, 0x80000000, v13
	v_or3_b32 v5, v5, v13, v11
	v_mov_b32_e32 v18, v6
	v_mov_b32_e32 v17, v5
.LBB179_651:                            ;   in Loop: Header=BB179_543 Depth=1
	s_or_b32 exec_lo, exec_lo, s15
.LBB179_652:                            ;   in Loop: Header=BB179_543 Depth=1
	s_or_b32 exec_lo, exec_lo, s14
.LBB179_653:                            ;   in Loop: Header=BB179_543 Depth=1
	s_or_b32 exec_lo, exec_lo, s13
	v_cmp_ne_u16_sdwa s0, v0, v6 src0_sel:BYTE_1 src1_sel:DWORD
	s_and_saveexec_b32 s13, s0
	s_cbranch_execz .LBB179_661
; %bb.654:                              ;   in Loop: Header=BB179_543 Depth=1
	v_mov_b32_e32 v11, v6
	v_mov_b32_e32 v20, v12
	v_cmp_ne_u16_sdwa s0, v0, v46 src0_sel:BYTE_1 src1_sel:DWORD
	v_mov_b32_e32 v19, v11
	s_and_saveexec_b32 s14, s0
	s_cbranch_execz .LBB179_660
; %bb.655:                              ;   in Loop: Header=BB179_543 Depth=1
	v_and_b32_sdwa v5, v47, v0 dst_sel:DWORD dst_unused:UNUSED_PAD src0_sel:DWORD src1_sel:BYTE_1
	v_mov_b32_e32 v13, v6
	v_mov_b32_e32 v20, v14
	s_mov_b32 s15, exec_lo
	v_and_b32_e32 v21, 0x7f, v5
	v_mov_b32_e32 v19, v13
	v_cmpx_ne_u32_e32 0x7f, v21
	s_cbranch_execz .LBB179_659
; %bb.656:                              ;   in Loop: Header=BB179_543 Depth=1
	v_and_b32_e32 v5, 7, v5
	v_lshrrev_b32_e32 v11, 3, v21
	s_mov_b32 s16, exec_lo
	v_cmpx_gt_u32_e32 8, v21
; %bb.657:                              ;   in Loop: Header=BB179_543 Depth=1
	v_ffbh_u32_e32 v11, v5
	v_min_u32_e32 v11, 32, v11
	v_subrev_nc_u32_e32 v13, 28, v11
	v_sub_nc_u32_e32 v11, 29, v11
	v_lshlrev_b64 v[19:20], v13, v[5:6]
	v_and_b32_e32 v5, 7, v19
; %bb.658:                              ;   in Loop: Header=BB179_543 Depth=1
	s_or_b32 exec_lo, exec_lo, s16
	v_lshlrev_b32_e32 v13, 16, v0
	v_lshlrev_b32_e32 v5, 20, v5
	v_lshl_add_u32 v11, v11, 23, 0x3c000000
	v_mov_b32_e32 v19, v6
	v_and_b32_e32 v13, 0x80000000, v13
	v_or3_b32 v20, v5, v13, v11
.LBB179_659:                            ;   in Loop: Header=BB179_543 Depth=1
	s_or_b32 exec_lo, exec_lo, s15
.LBB179_660:                            ;   in Loop: Header=BB179_543 Depth=1
	s_or_b32 exec_lo, exec_lo, s14
.LBB179_661:                            ;   in Loop: Header=BB179_543 Depth=1
	s_or_b32 exec_lo, exec_lo, s13
	v_mov_b32_e32 v23, 0
	v_mov_b32_e32 v21, 0
	v_and_b32_sdwa v5, v0, v48 dst_sel:DWORD dst_unused:UNUSED_PAD src0_sel:WORD_1 src1_sel:DWORD
	v_mov_b32_e32 v24, 0
	v_mov_b32_e32 v22, 0
	s_mov_b32 s13, exec_lo
	v_cmpx_ne_u16_e32 0, v5
	s_cbranch_execz .LBB179_669
; %bb.662:                              ;   in Loop: Header=BB179_543 Depth=1
	v_bfrev_b32_e32 v21, 1
	v_mov_b32_e32 v22, 0
	s_mov_b32 s14, exec_lo
	v_cmpx_ne_u16_e32 0x80, v5
	s_cbranch_execz .LBB179_668
; %bb.663:                              ;   in Loop: Header=BB179_543 Depth=1
	v_mov_b32_e32 v21, 0x7f800001
	v_bfe_u32 v13, v0, 16, 7
	v_mov_b32_e32 v22, 0
	s_mov_b32 s15, exec_lo
	v_cmpx_ne_u32_e32 0x7f, v13
	s_cbranch_execz .LBB179_667
; %bb.664:                              ;   in Loop: Header=BB179_543 Depth=1
	v_and_b32_sdwa v5, v0, v49 dst_sel:DWORD dst_unused:UNUSED_PAD src0_sel:WORD_1 src1_sel:DWORD
	v_lshrrev_b32_e32 v11, 3, v13
	s_mov_b32 s16, exec_lo
	v_cmpx_gt_u32_e32 8, v13
; %bb.665:                              ;   in Loop: Header=BB179_543 Depth=1
	v_ffbh_u32_e32 v11, v5
	v_min_u32_e32 v11, 32, v11
	v_subrev_nc_u32_e32 v13, 28, v11
	v_sub_nc_u32_e32 v11, 29, v11
	v_lshlrev_b64 v[21:22], v13, v[5:6]
	v_and_b32_e32 v5, 7, v21
; %bb.666:                              ;   in Loop: Header=BB179_543 Depth=1
	s_or_b32 exec_lo, exec_lo, s16
	v_lshlrev_b32_sdwa v13, v50, v0 dst_sel:DWORD dst_unused:UNUSED_PAD src0_sel:DWORD src1_sel:WORD_1
	v_lshlrev_b32_e32 v5, 20, v5
	v_lshl_add_u32 v11, v11, 23, 0x3c000000
	v_and_b32_e32 v13, 0x80000000, v13
	v_or3_b32 v5, v5, v13, v11
	v_mov_b32_e32 v22, v6
	v_mov_b32_e32 v21, v5
.LBB179_667:                            ;   in Loop: Header=BB179_543 Depth=1
	s_or_b32 exec_lo, exec_lo, s15
.LBB179_668:                            ;   in Loop: Header=BB179_543 Depth=1
	s_or_b32 exec_lo, exec_lo, s14
.LBB179_669:                            ;   in Loop: Header=BB179_543 Depth=1
	s_or_b32 exec_lo, exec_lo, s13
	s_mov_b32 s13, exec_lo
	v_cmpx_lt_u32_e32 0xffffff, v0
	s_cbranch_execz .LBB179_677
; %bb.670:                              ;   in Loop: Header=BB179_543 Depth=1
	v_mov_b32_e32 v11, v6
	v_mov_b32_e32 v24, v12
	v_cmp_ne_u32_sdwa s0, v0, v46 src0_sel:BYTE_3 src1_sel:DWORD
	v_mov_b32_e32 v23, v11
	s_and_saveexec_b32 s14, s0
	s_cbranch_execz .LBB179_676
; %bb.671:                              ;   in Loop: Header=BB179_543 Depth=1
	v_mov_b32_e32 v13, v6
	v_mov_b32_e32 v24, v14
	v_bfe_u32 v67, v0, 24, 7
	s_mov_b32 s15, exec_lo
	v_mov_b32_e32 v23, v13
	v_cmpx_ne_u32_e32 0x7f, v67
	s_cbranch_execz .LBB179_675
; %bb.672:                              ;   in Loop: Header=BB179_543 Depth=1
	v_and_b32_sdwa v5, v0, v49 dst_sel:DWORD dst_unused:UNUSED_PAD src0_sel:BYTE_3 src1_sel:DWORD
	v_lshrrev_b32_e32 v11, 3, v67
	s_mov_b32 s16, exec_lo
	v_cmpx_gt_u32_e32 8, v67
; %bb.673:                              ;   in Loop: Header=BB179_543 Depth=1
	v_ffbh_u32_e32 v11, v5
	v_min_u32_e32 v11, 32, v11
	v_subrev_nc_u32_e32 v13, 28, v11
	v_sub_nc_u32_e32 v11, 29, v11
	v_lshlrev_b64 v[23:24], v13, v[5:6]
	v_and_b32_e32 v5, 7, v23
; %bb.674:                              ;   in Loop: Header=BB179_543 Depth=1
	s_or_b32 exec_lo, exec_lo, s16
	v_lshlrev_b32_sdwa v0, v50, v0 dst_sel:DWORD dst_unused:UNUSED_PAD src0_sel:DWORD src1_sel:BYTE_3
	v_lshlrev_b32_e32 v5, 20, v5
	v_lshl_add_u32 v11, v11, 23, 0x3c000000
	v_mov_b32_e32 v23, v6
	v_and_b32_e32 v0, 0x80000000, v0
	v_or3_b32 v24, v5, v0, v11
.LBB179_675:                            ;   in Loop: Header=BB179_543 Depth=1
	s_or_b32 exec_lo, exec_lo, s15
.LBB179_676:                            ;   in Loop: Header=BB179_543 Depth=1
	s_or_b32 exec_lo, exec_lo, s14
.LBB179_677:                            ;   in Loop: Header=BB179_543 Depth=1
	s_or_b32 exec_lo, exec_lo, s13
	v_or_b32_e32 v0, v20, v18
	v_or_b32_e32 v5, v19, v17
	;; [unrolled: 1-line block ×4, first 2 shown]
	v_mul_f32_e32 v69, s12, v0
	v_mul_f32_e32 v70, s2, v5
	;; [unrolled: 1-line block ×4, first 2 shown]
	s_and_saveexec_b32 s13, vcc_lo
	s_cbranch_execz .LBB179_679
; %bb.678:                              ;   in Loop: Header=BB179_543 Depth=1
	v_cmp_gt_i32_e64 s0, s28, v56
	v_cndmask_b32_e64 v70, 0, v70, s0
	v_cmp_gt_i32_e64 s0, s28, v58
	v_cndmask_b32_e64 v69, 0, v69, s0
	;; [unrolled: 2-line block ×4, first 2 shown]
.LBB179_679:                            ;   in Loop: Header=BB179_543 Depth=1
	s_or_b32 exec_lo, exec_lo, s13
	global_load_dword v0, v[15:16], off offset:512
	v_mov_b32_e32 v19, 0
	v_mov_b32_e32 v17, 0
	v_mov_b32_e32 v20, 0
	v_mov_b32_e32 v18, 0
	s_waitcnt vmcnt(0)
	v_cmp_ne_u16_sdwa s0, v0, v6 src0_sel:BYTE_0 src1_sel:DWORD
	s_and_saveexec_b32 s13, s0
	s_cbranch_execz .LBB179_687
; %bb.680:                              ;   in Loop: Header=BB179_543 Depth=1
	v_bfrev_b32_e32 v17, 1
	v_mov_b32_e32 v18, 0
	v_cmp_ne_u16_sdwa s0, v0, v46 src0_sel:BYTE_0 src1_sel:DWORD
	s_and_saveexec_b32 s14, s0
	s_cbranch_execz .LBB179_686
; %bb.681:                              ;   in Loop: Header=BB179_543 Depth=1
	v_mov_b32_e32 v17, 0x7f800001
	v_and_b32_e32 v13, 0x7f, v0
	v_mov_b32_e32 v18, 0
	s_mov_b32 s15, exec_lo
	v_cmpx_ne_u32_e32 0x7f, v13
	s_cbranch_execz .LBB179_685
; %bb.682:                              ;   in Loop: Header=BB179_543 Depth=1
	v_and_b32_e32 v5, 7, v0
	v_lshrrev_b32_e32 v11, 3, v13
	s_mov_b32 s16, exec_lo
	v_cmpx_gt_u32_e32 8, v13
; %bb.683:                              ;   in Loop: Header=BB179_543 Depth=1
	v_ffbh_u32_e32 v11, v5
	v_min_u32_e32 v11, 32, v11
	v_subrev_nc_u32_e32 v13, 28, v11
	v_sub_nc_u32_e32 v11, 29, v11
	v_lshlrev_b64 v[17:18], v13, v[5:6]
	v_and_b32_e32 v5, 7, v17
; %bb.684:                              ;   in Loop: Header=BB179_543 Depth=1
	s_or_b32 exec_lo, exec_lo, s16
	v_lshlrev_b32_e32 v13, 24, v0
	v_lshlrev_b32_e32 v5, 20, v5
	v_lshl_add_u32 v11, v11, 23, 0x3c000000
	v_and_b32_e32 v13, 0x80000000, v13
	v_or3_b32 v5, v5, v13, v11
	v_mov_b32_e32 v18, v6
	v_mov_b32_e32 v17, v5
.LBB179_685:                            ;   in Loop: Header=BB179_543 Depth=1
	s_or_b32 exec_lo, exec_lo, s15
.LBB179_686:                            ;   in Loop: Header=BB179_543 Depth=1
	s_or_b32 exec_lo, exec_lo, s14
.LBB179_687:                            ;   in Loop: Header=BB179_543 Depth=1
	s_or_b32 exec_lo, exec_lo, s13
	v_cmp_ne_u16_sdwa s0, v0, v6 src0_sel:BYTE_1 src1_sel:DWORD
	s_and_saveexec_b32 s13, s0
	s_cbranch_execz .LBB179_695
; %bb.688:                              ;   in Loop: Header=BB179_543 Depth=1
	v_mov_b32_e32 v11, v6
	v_mov_b32_e32 v20, v12
	v_cmp_ne_u16_sdwa s0, v0, v46 src0_sel:BYTE_1 src1_sel:DWORD
	v_mov_b32_e32 v19, v11
	s_and_saveexec_b32 s14, s0
	s_cbranch_execz .LBB179_694
; %bb.689:                              ;   in Loop: Header=BB179_543 Depth=1
	v_and_b32_sdwa v5, v47, v0 dst_sel:DWORD dst_unused:UNUSED_PAD src0_sel:DWORD src1_sel:BYTE_1
	v_mov_b32_e32 v13, v6
	v_mov_b32_e32 v20, v14
	s_mov_b32 s15, exec_lo
	v_and_b32_e32 v21, 0x7f, v5
	v_mov_b32_e32 v19, v13
	v_cmpx_ne_u32_e32 0x7f, v21
	s_cbranch_execz .LBB179_693
; %bb.690:                              ;   in Loop: Header=BB179_543 Depth=1
	v_and_b32_e32 v5, 7, v5
	v_lshrrev_b32_e32 v11, 3, v21
	s_mov_b32 s16, exec_lo
	v_cmpx_gt_u32_e32 8, v21
; %bb.691:                              ;   in Loop: Header=BB179_543 Depth=1
	v_ffbh_u32_e32 v11, v5
	v_min_u32_e32 v11, 32, v11
	v_subrev_nc_u32_e32 v13, 28, v11
	v_sub_nc_u32_e32 v11, 29, v11
	v_lshlrev_b64 v[19:20], v13, v[5:6]
	v_and_b32_e32 v5, 7, v19
; %bb.692:                              ;   in Loop: Header=BB179_543 Depth=1
	s_or_b32 exec_lo, exec_lo, s16
	v_lshlrev_b32_e32 v13, 16, v0
	v_lshlrev_b32_e32 v5, 20, v5
	v_lshl_add_u32 v11, v11, 23, 0x3c000000
	v_mov_b32_e32 v19, v6
	v_and_b32_e32 v13, 0x80000000, v13
	v_or3_b32 v20, v5, v13, v11
.LBB179_693:                            ;   in Loop: Header=BB179_543 Depth=1
	s_or_b32 exec_lo, exec_lo, s15
.LBB179_694:                            ;   in Loop: Header=BB179_543 Depth=1
	s_or_b32 exec_lo, exec_lo, s14
.LBB179_695:                            ;   in Loop: Header=BB179_543 Depth=1
	s_or_b32 exec_lo, exec_lo, s13
	v_mov_b32_e32 v23, 0
	v_mov_b32_e32 v21, 0
	v_and_b32_sdwa v5, v0, v48 dst_sel:DWORD dst_unused:UNUSED_PAD src0_sel:WORD_1 src1_sel:DWORD
	v_mov_b32_e32 v24, 0
	v_mov_b32_e32 v22, 0
	s_mov_b32 s13, exec_lo
	v_cmpx_ne_u16_e32 0, v5
	s_cbranch_execz .LBB179_703
; %bb.696:                              ;   in Loop: Header=BB179_543 Depth=1
	v_bfrev_b32_e32 v21, 1
	v_mov_b32_e32 v22, 0
	s_mov_b32 s14, exec_lo
	v_cmpx_ne_u16_e32 0x80, v5
	s_cbranch_execz .LBB179_702
; %bb.697:                              ;   in Loop: Header=BB179_543 Depth=1
	v_mov_b32_e32 v21, 0x7f800001
	v_bfe_u32 v13, v0, 16, 7
	v_mov_b32_e32 v22, 0
	s_mov_b32 s15, exec_lo
	v_cmpx_ne_u32_e32 0x7f, v13
	s_cbranch_execz .LBB179_701
; %bb.698:                              ;   in Loop: Header=BB179_543 Depth=1
	v_and_b32_sdwa v5, v0, v49 dst_sel:DWORD dst_unused:UNUSED_PAD src0_sel:WORD_1 src1_sel:DWORD
	v_lshrrev_b32_e32 v11, 3, v13
	s_mov_b32 s16, exec_lo
	v_cmpx_gt_u32_e32 8, v13
; %bb.699:                              ;   in Loop: Header=BB179_543 Depth=1
	v_ffbh_u32_e32 v11, v5
	v_min_u32_e32 v11, 32, v11
	v_subrev_nc_u32_e32 v13, 28, v11
	v_sub_nc_u32_e32 v11, 29, v11
	v_lshlrev_b64 v[21:22], v13, v[5:6]
	v_and_b32_e32 v5, 7, v21
; %bb.700:                              ;   in Loop: Header=BB179_543 Depth=1
	s_or_b32 exec_lo, exec_lo, s16
	v_lshlrev_b32_sdwa v13, v50, v0 dst_sel:DWORD dst_unused:UNUSED_PAD src0_sel:DWORD src1_sel:WORD_1
	v_lshlrev_b32_e32 v5, 20, v5
	v_lshl_add_u32 v11, v11, 23, 0x3c000000
	v_and_b32_e32 v13, 0x80000000, v13
	v_or3_b32 v5, v5, v13, v11
	v_mov_b32_e32 v22, v6
	v_mov_b32_e32 v21, v5
.LBB179_701:                            ;   in Loop: Header=BB179_543 Depth=1
	s_or_b32 exec_lo, exec_lo, s15
.LBB179_702:                            ;   in Loop: Header=BB179_543 Depth=1
	s_or_b32 exec_lo, exec_lo, s14
.LBB179_703:                            ;   in Loop: Header=BB179_543 Depth=1
	s_or_b32 exec_lo, exec_lo, s13
	s_mov_b32 s13, exec_lo
	v_cmpx_lt_u32_e32 0xffffff, v0
	s_cbranch_execz .LBB179_711
; %bb.704:                              ;   in Loop: Header=BB179_543 Depth=1
	v_mov_b32_e32 v11, v6
	v_mov_b32_e32 v24, v12
	v_cmp_ne_u32_sdwa s0, v0, v46 src0_sel:BYTE_3 src1_sel:DWORD
	v_mov_b32_e32 v23, v11
	s_and_saveexec_b32 s14, s0
	s_cbranch_execz .LBB179_710
; %bb.705:                              ;   in Loop: Header=BB179_543 Depth=1
	v_mov_b32_e32 v13, v6
	v_mov_b32_e32 v24, v14
	v_bfe_u32 v71, v0, 24, 7
	s_mov_b32 s15, exec_lo
	v_mov_b32_e32 v23, v13
	v_cmpx_ne_u32_e32 0x7f, v71
	s_cbranch_execz .LBB179_709
; %bb.706:                              ;   in Loop: Header=BB179_543 Depth=1
	v_and_b32_sdwa v5, v0, v49 dst_sel:DWORD dst_unused:UNUSED_PAD src0_sel:BYTE_3 src1_sel:DWORD
	v_lshrrev_b32_e32 v11, 3, v71
	s_mov_b32 s16, exec_lo
	v_cmpx_gt_u32_e32 8, v71
; %bb.707:                              ;   in Loop: Header=BB179_543 Depth=1
	v_ffbh_u32_e32 v11, v5
	v_min_u32_e32 v11, 32, v11
	v_subrev_nc_u32_e32 v13, 28, v11
	v_sub_nc_u32_e32 v11, 29, v11
	v_lshlrev_b64 v[23:24], v13, v[5:6]
	v_and_b32_e32 v5, 7, v23
; %bb.708:                              ;   in Loop: Header=BB179_543 Depth=1
	s_or_b32 exec_lo, exec_lo, s16
	v_lshlrev_b32_sdwa v0, v50, v0 dst_sel:DWORD dst_unused:UNUSED_PAD src0_sel:DWORD src1_sel:BYTE_3
	v_lshlrev_b32_e32 v5, 20, v5
	v_lshl_add_u32 v11, v11, 23, 0x3c000000
	v_mov_b32_e32 v23, v6
	v_and_b32_e32 v0, 0x80000000, v0
	v_or3_b32 v24, v5, v0, v11
.LBB179_709:                            ;   in Loop: Header=BB179_543 Depth=1
	s_or_b32 exec_lo, exec_lo, s15
.LBB179_710:                            ;   in Loop: Header=BB179_543 Depth=1
	s_or_b32 exec_lo, exec_lo, s14
.LBB179_711:                            ;   in Loop: Header=BB179_543 Depth=1
	s_or_b32 exec_lo, exec_lo, s13
	v_or_b32_e32 v0, v20, v18
	v_or_b32_e32 v5, v19, v17
	;; [unrolled: 1-line block ×4, first 2 shown]
	v_mul_f32_e32 v73, s12, v0
	v_mul_f32_e32 v74, s2, v5
	;; [unrolled: 1-line block ×4, first 2 shown]
	s_and_saveexec_b32 s13, vcc_lo
	s_cbranch_execz .LBB179_713
; %bb.712:                              ;   in Loop: Header=BB179_543 Depth=1
	v_cmp_gt_i32_e64 s0, s28, v56
	v_cndmask_b32_e64 v74, 0, v74, s0
	v_cmp_gt_i32_e64 s0, s28, v58
	v_cndmask_b32_e64 v73, 0, v73, s0
	;; [unrolled: 2-line block ×4, first 2 shown]
.LBB179_713:                            ;   in Loop: Header=BB179_543 Depth=1
	s_or_b32 exec_lo, exec_lo, s13
	global_load_dword v0, v[15:16], off offset:640
	v_mov_b32_e32 v19, 0
	v_mov_b32_e32 v17, 0
	;; [unrolled: 1-line block ×4, first 2 shown]
	s_waitcnt vmcnt(0)
	v_cmp_ne_u16_sdwa s0, v0, v6 src0_sel:BYTE_0 src1_sel:DWORD
	s_and_saveexec_b32 s13, s0
	s_cbranch_execz .LBB179_721
; %bb.714:                              ;   in Loop: Header=BB179_543 Depth=1
	v_bfrev_b32_e32 v17, 1
	v_mov_b32_e32 v18, 0
	v_cmp_ne_u16_sdwa s0, v0, v46 src0_sel:BYTE_0 src1_sel:DWORD
	s_and_saveexec_b32 s14, s0
	s_cbranch_execz .LBB179_720
; %bb.715:                              ;   in Loop: Header=BB179_543 Depth=1
	v_mov_b32_e32 v17, 0x7f800001
	v_and_b32_e32 v13, 0x7f, v0
	v_mov_b32_e32 v18, 0
	s_mov_b32 s15, exec_lo
	v_cmpx_ne_u32_e32 0x7f, v13
	s_cbranch_execz .LBB179_719
; %bb.716:                              ;   in Loop: Header=BB179_543 Depth=1
	v_and_b32_e32 v5, 7, v0
	v_lshrrev_b32_e32 v11, 3, v13
	s_mov_b32 s16, exec_lo
	v_cmpx_gt_u32_e32 8, v13
; %bb.717:                              ;   in Loop: Header=BB179_543 Depth=1
	v_ffbh_u32_e32 v11, v5
	v_min_u32_e32 v11, 32, v11
	v_subrev_nc_u32_e32 v13, 28, v11
	v_sub_nc_u32_e32 v11, 29, v11
	v_lshlrev_b64 v[17:18], v13, v[5:6]
	v_and_b32_e32 v5, 7, v17
; %bb.718:                              ;   in Loop: Header=BB179_543 Depth=1
	s_or_b32 exec_lo, exec_lo, s16
	v_lshlrev_b32_e32 v13, 24, v0
	v_lshlrev_b32_e32 v5, 20, v5
	v_lshl_add_u32 v11, v11, 23, 0x3c000000
	v_and_b32_e32 v13, 0x80000000, v13
	v_or3_b32 v5, v5, v13, v11
	v_mov_b32_e32 v18, v6
	v_mov_b32_e32 v17, v5
.LBB179_719:                            ;   in Loop: Header=BB179_543 Depth=1
	s_or_b32 exec_lo, exec_lo, s15
.LBB179_720:                            ;   in Loop: Header=BB179_543 Depth=1
	s_or_b32 exec_lo, exec_lo, s14
.LBB179_721:                            ;   in Loop: Header=BB179_543 Depth=1
	s_or_b32 exec_lo, exec_lo, s13
	v_cmp_ne_u16_sdwa s0, v0, v6 src0_sel:BYTE_1 src1_sel:DWORD
	s_and_saveexec_b32 s13, s0
	s_cbranch_execz .LBB179_729
; %bb.722:                              ;   in Loop: Header=BB179_543 Depth=1
	v_mov_b32_e32 v11, v6
	v_mov_b32_e32 v20, v12
	v_cmp_ne_u16_sdwa s0, v0, v46 src0_sel:BYTE_1 src1_sel:DWORD
	v_mov_b32_e32 v19, v11
	s_and_saveexec_b32 s14, s0
	s_cbranch_execz .LBB179_728
; %bb.723:                              ;   in Loop: Header=BB179_543 Depth=1
	v_and_b32_sdwa v5, v47, v0 dst_sel:DWORD dst_unused:UNUSED_PAD src0_sel:DWORD src1_sel:BYTE_1
	v_mov_b32_e32 v13, v6
	v_mov_b32_e32 v20, v14
	s_mov_b32 s15, exec_lo
	v_and_b32_e32 v21, 0x7f, v5
	v_mov_b32_e32 v19, v13
	v_cmpx_ne_u32_e32 0x7f, v21
	s_cbranch_execz .LBB179_727
; %bb.724:                              ;   in Loop: Header=BB179_543 Depth=1
	v_and_b32_e32 v5, 7, v5
	v_lshrrev_b32_e32 v11, 3, v21
	s_mov_b32 s16, exec_lo
	v_cmpx_gt_u32_e32 8, v21
; %bb.725:                              ;   in Loop: Header=BB179_543 Depth=1
	v_ffbh_u32_e32 v11, v5
	v_min_u32_e32 v11, 32, v11
	v_subrev_nc_u32_e32 v13, 28, v11
	v_sub_nc_u32_e32 v11, 29, v11
	v_lshlrev_b64 v[19:20], v13, v[5:6]
	v_and_b32_e32 v5, 7, v19
; %bb.726:                              ;   in Loop: Header=BB179_543 Depth=1
	s_or_b32 exec_lo, exec_lo, s16
	v_lshlrev_b32_e32 v13, 16, v0
	v_lshlrev_b32_e32 v5, 20, v5
	v_lshl_add_u32 v11, v11, 23, 0x3c000000
	v_mov_b32_e32 v19, v6
	v_and_b32_e32 v13, 0x80000000, v13
	v_or3_b32 v20, v5, v13, v11
.LBB179_727:                            ;   in Loop: Header=BB179_543 Depth=1
	s_or_b32 exec_lo, exec_lo, s15
.LBB179_728:                            ;   in Loop: Header=BB179_543 Depth=1
	s_or_b32 exec_lo, exec_lo, s14
.LBB179_729:                            ;   in Loop: Header=BB179_543 Depth=1
	s_or_b32 exec_lo, exec_lo, s13
	v_mov_b32_e32 v23, 0
	v_mov_b32_e32 v21, 0
	v_and_b32_sdwa v5, v0, v48 dst_sel:DWORD dst_unused:UNUSED_PAD src0_sel:WORD_1 src1_sel:DWORD
	v_mov_b32_e32 v24, 0
	v_mov_b32_e32 v22, 0
	s_mov_b32 s13, exec_lo
	v_cmpx_ne_u16_e32 0, v5
	s_cbranch_execz .LBB179_737
; %bb.730:                              ;   in Loop: Header=BB179_543 Depth=1
	v_bfrev_b32_e32 v21, 1
	v_mov_b32_e32 v22, 0
	s_mov_b32 s14, exec_lo
	v_cmpx_ne_u16_e32 0x80, v5
	s_cbranch_execz .LBB179_736
; %bb.731:                              ;   in Loop: Header=BB179_543 Depth=1
	v_mov_b32_e32 v21, 0x7f800001
	v_bfe_u32 v13, v0, 16, 7
	v_mov_b32_e32 v22, 0
	s_mov_b32 s15, exec_lo
	v_cmpx_ne_u32_e32 0x7f, v13
	s_cbranch_execz .LBB179_735
; %bb.732:                              ;   in Loop: Header=BB179_543 Depth=1
	v_and_b32_sdwa v5, v0, v49 dst_sel:DWORD dst_unused:UNUSED_PAD src0_sel:WORD_1 src1_sel:DWORD
	v_lshrrev_b32_e32 v11, 3, v13
	s_mov_b32 s16, exec_lo
	v_cmpx_gt_u32_e32 8, v13
; %bb.733:                              ;   in Loop: Header=BB179_543 Depth=1
	v_ffbh_u32_e32 v11, v5
	v_min_u32_e32 v11, 32, v11
	v_subrev_nc_u32_e32 v13, 28, v11
	v_sub_nc_u32_e32 v11, 29, v11
	v_lshlrev_b64 v[21:22], v13, v[5:6]
	v_and_b32_e32 v5, 7, v21
; %bb.734:                              ;   in Loop: Header=BB179_543 Depth=1
	s_or_b32 exec_lo, exec_lo, s16
	v_lshlrev_b32_sdwa v13, v50, v0 dst_sel:DWORD dst_unused:UNUSED_PAD src0_sel:DWORD src1_sel:WORD_1
	v_lshlrev_b32_e32 v5, 20, v5
	v_lshl_add_u32 v11, v11, 23, 0x3c000000
	v_and_b32_e32 v13, 0x80000000, v13
	v_or3_b32 v5, v5, v13, v11
	v_mov_b32_e32 v22, v6
	v_mov_b32_e32 v21, v5
.LBB179_735:                            ;   in Loop: Header=BB179_543 Depth=1
	s_or_b32 exec_lo, exec_lo, s15
.LBB179_736:                            ;   in Loop: Header=BB179_543 Depth=1
	s_or_b32 exec_lo, exec_lo, s14
.LBB179_737:                            ;   in Loop: Header=BB179_543 Depth=1
	s_or_b32 exec_lo, exec_lo, s13
	s_mov_b32 s13, exec_lo
	v_cmpx_lt_u32_e32 0xffffff, v0
	s_cbranch_execz .LBB179_745
; %bb.738:                              ;   in Loop: Header=BB179_543 Depth=1
	v_mov_b32_e32 v11, v6
	v_mov_b32_e32 v24, v12
	v_cmp_ne_u32_sdwa s0, v0, v46 src0_sel:BYTE_3 src1_sel:DWORD
	v_mov_b32_e32 v23, v11
	s_and_saveexec_b32 s14, s0
	s_cbranch_execz .LBB179_744
; %bb.739:                              ;   in Loop: Header=BB179_543 Depth=1
	v_mov_b32_e32 v13, v6
	v_mov_b32_e32 v24, v14
	v_bfe_u32 v75, v0, 24, 7
	s_mov_b32 s15, exec_lo
	v_mov_b32_e32 v23, v13
	v_cmpx_ne_u32_e32 0x7f, v75
	s_cbranch_execz .LBB179_743
; %bb.740:                              ;   in Loop: Header=BB179_543 Depth=1
	v_and_b32_sdwa v5, v0, v49 dst_sel:DWORD dst_unused:UNUSED_PAD src0_sel:BYTE_3 src1_sel:DWORD
	v_lshrrev_b32_e32 v11, 3, v75
	s_mov_b32 s16, exec_lo
	v_cmpx_gt_u32_e32 8, v75
; %bb.741:                              ;   in Loop: Header=BB179_543 Depth=1
	v_ffbh_u32_e32 v11, v5
	v_min_u32_e32 v11, 32, v11
	v_subrev_nc_u32_e32 v13, 28, v11
	v_sub_nc_u32_e32 v11, 29, v11
	v_lshlrev_b64 v[23:24], v13, v[5:6]
	v_and_b32_e32 v5, 7, v23
; %bb.742:                              ;   in Loop: Header=BB179_543 Depth=1
	s_or_b32 exec_lo, exec_lo, s16
	v_lshlrev_b32_sdwa v0, v50, v0 dst_sel:DWORD dst_unused:UNUSED_PAD src0_sel:DWORD src1_sel:BYTE_3
	v_lshlrev_b32_e32 v5, 20, v5
	v_lshl_add_u32 v11, v11, 23, 0x3c000000
	v_mov_b32_e32 v23, v6
	v_and_b32_e32 v0, 0x80000000, v0
	v_or3_b32 v24, v5, v0, v11
.LBB179_743:                            ;   in Loop: Header=BB179_543 Depth=1
	s_or_b32 exec_lo, exec_lo, s15
.LBB179_744:                            ;   in Loop: Header=BB179_543 Depth=1
	s_or_b32 exec_lo, exec_lo, s14
.LBB179_745:                            ;   in Loop: Header=BB179_543 Depth=1
	s_or_b32 exec_lo, exec_lo, s13
	v_or_b32_e32 v0, v20, v18
	v_or_b32_e32 v5, v19, v17
	;; [unrolled: 1-line block ×4, first 2 shown]
	v_mul_f32_e32 v78, s12, v0
	v_mul_f32_e32 v79, s2, v5
	;; [unrolled: 1-line block ×4, first 2 shown]
	s_and_saveexec_b32 s13, vcc_lo
	s_cbranch_execz .LBB179_747
; %bb.746:                              ;   in Loop: Header=BB179_543 Depth=1
	v_cmp_gt_i32_e64 s0, s28, v56
	v_cndmask_b32_e64 v79, 0, v79, s0
	v_cmp_gt_i32_e64 s0, s28, v58
	v_cndmask_b32_e64 v78, 0, v78, s0
	;; [unrolled: 2-line block ×4, first 2 shown]
.LBB179_747:                            ;   in Loop: Header=BB179_543 Depth=1
	s_or_b32 exec_lo, exec_lo, s13
	global_load_dword v0, v[15:16], off offset:768
	v_mov_b32_e32 v19, 0
	v_mov_b32_e32 v17, 0
	;; [unrolled: 1-line block ×4, first 2 shown]
	s_waitcnt vmcnt(0)
	v_cmp_ne_u16_sdwa s0, v0, v6 src0_sel:BYTE_0 src1_sel:DWORD
	s_and_saveexec_b32 s13, s0
	s_cbranch_execz .LBB179_755
; %bb.748:                              ;   in Loop: Header=BB179_543 Depth=1
	v_bfrev_b32_e32 v17, 1
	v_mov_b32_e32 v18, 0
	v_cmp_ne_u16_sdwa s0, v0, v46 src0_sel:BYTE_0 src1_sel:DWORD
	s_and_saveexec_b32 s14, s0
	s_cbranch_execz .LBB179_754
; %bb.749:                              ;   in Loop: Header=BB179_543 Depth=1
	v_mov_b32_e32 v17, 0x7f800001
	v_and_b32_e32 v13, 0x7f, v0
	v_mov_b32_e32 v18, 0
	s_mov_b32 s15, exec_lo
	v_cmpx_ne_u32_e32 0x7f, v13
	s_cbranch_execz .LBB179_753
; %bb.750:                              ;   in Loop: Header=BB179_543 Depth=1
	v_and_b32_e32 v5, 7, v0
	v_lshrrev_b32_e32 v11, 3, v13
	s_mov_b32 s16, exec_lo
	v_cmpx_gt_u32_e32 8, v13
; %bb.751:                              ;   in Loop: Header=BB179_543 Depth=1
	v_ffbh_u32_e32 v11, v5
	v_min_u32_e32 v11, 32, v11
	v_subrev_nc_u32_e32 v13, 28, v11
	v_sub_nc_u32_e32 v11, 29, v11
	v_lshlrev_b64 v[17:18], v13, v[5:6]
	v_and_b32_e32 v5, 7, v17
; %bb.752:                              ;   in Loop: Header=BB179_543 Depth=1
	s_or_b32 exec_lo, exec_lo, s16
	v_lshlrev_b32_e32 v13, 24, v0
	v_lshlrev_b32_e32 v5, 20, v5
	v_lshl_add_u32 v11, v11, 23, 0x3c000000
	v_and_b32_e32 v13, 0x80000000, v13
	v_or3_b32 v5, v5, v13, v11
	v_mov_b32_e32 v18, v6
	v_mov_b32_e32 v17, v5
.LBB179_753:                            ;   in Loop: Header=BB179_543 Depth=1
	s_or_b32 exec_lo, exec_lo, s15
.LBB179_754:                            ;   in Loop: Header=BB179_543 Depth=1
	s_or_b32 exec_lo, exec_lo, s14
.LBB179_755:                            ;   in Loop: Header=BB179_543 Depth=1
	s_or_b32 exec_lo, exec_lo, s13
	v_cmp_ne_u16_sdwa s0, v0, v6 src0_sel:BYTE_1 src1_sel:DWORD
	s_and_saveexec_b32 s13, s0
	s_cbranch_execz .LBB179_763
; %bb.756:                              ;   in Loop: Header=BB179_543 Depth=1
	v_mov_b32_e32 v11, v6
	v_mov_b32_e32 v20, v12
	v_cmp_ne_u16_sdwa s0, v0, v46 src0_sel:BYTE_1 src1_sel:DWORD
	v_mov_b32_e32 v19, v11
	s_and_saveexec_b32 s14, s0
	s_cbranch_execz .LBB179_762
; %bb.757:                              ;   in Loop: Header=BB179_543 Depth=1
	v_and_b32_sdwa v5, v47, v0 dst_sel:DWORD dst_unused:UNUSED_PAD src0_sel:DWORD src1_sel:BYTE_1
	v_mov_b32_e32 v13, v6
	v_mov_b32_e32 v20, v14
	s_mov_b32 s15, exec_lo
	v_and_b32_e32 v21, 0x7f, v5
	v_mov_b32_e32 v19, v13
	v_cmpx_ne_u32_e32 0x7f, v21
	s_cbranch_execz .LBB179_761
; %bb.758:                              ;   in Loop: Header=BB179_543 Depth=1
	v_and_b32_e32 v5, 7, v5
	v_lshrrev_b32_e32 v11, 3, v21
	s_mov_b32 s16, exec_lo
	v_cmpx_gt_u32_e32 8, v21
; %bb.759:                              ;   in Loop: Header=BB179_543 Depth=1
	v_ffbh_u32_e32 v11, v5
	v_min_u32_e32 v11, 32, v11
	v_subrev_nc_u32_e32 v13, 28, v11
	v_sub_nc_u32_e32 v11, 29, v11
	v_lshlrev_b64 v[19:20], v13, v[5:6]
	v_and_b32_e32 v5, 7, v19
; %bb.760:                              ;   in Loop: Header=BB179_543 Depth=1
	s_or_b32 exec_lo, exec_lo, s16
	v_lshlrev_b32_e32 v13, 16, v0
	v_lshlrev_b32_e32 v5, 20, v5
	v_lshl_add_u32 v11, v11, 23, 0x3c000000
	v_mov_b32_e32 v19, v6
	v_and_b32_e32 v13, 0x80000000, v13
	v_or3_b32 v20, v5, v13, v11
.LBB179_761:                            ;   in Loop: Header=BB179_543 Depth=1
	s_or_b32 exec_lo, exec_lo, s15
.LBB179_762:                            ;   in Loop: Header=BB179_543 Depth=1
	s_or_b32 exec_lo, exec_lo, s14
.LBB179_763:                            ;   in Loop: Header=BB179_543 Depth=1
	s_or_b32 exec_lo, exec_lo, s13
	v_mov_b32_e32 v23, 0
	v_mov_b32_e32 v21, 0
	v_and_b32_sdwa v5, v0, v48 dst_sel:DWORD dst_unused:UNUSED_PAD src0_sel:WORD_1 src1_sel:DWORD
	v_mov_b32_e32 v24, 0
	v_mov_b32_e32 v22, 0
	s_mov_b32 s13, exec_lo
	v_cmpx_ne_u16_e32 0, v5
	s_cbranch_execz .LBB179_771
; %bb.764:                              ;   in Loop: Header=BB179_543 Depth=1
	v_bfrev_b32_e32 v21, 1
	v_mov_b32_e32 v22, 0
	s_mov_b32 s14, exec_lo
	v_cmpx_ne_u16_e32 0x80, v5
	s_cbranch_execz .LBB179_770
; %bb.765:                              ;   in Loop: Header=BB179_543 Depth=1
	v_mov_b32_e32 v21, 0x7f800001
	v_bfe_u32 v13, v0, 16, 7
	v_mov_b32_e32 v22, 0
	s_mov_b32 s15, exec_lo
	v_cmpx_ne_u32_e32 0x7f, v13
	s_cbranch_execz .LBB179_769
; %bb.766:                              ;   in Loop: Header=BB179_543 Depth=1
	v_and_b32_sdwa v5, v0, v49 dst_sel:DWORD dst_unused:UNUSED_PAD src0_sel:WORD_1 src1_sel:DWORD
	v_lshrrev_b32_e32 v11, 3, v13
	s_mov_b32 s16, exec_lo
	v_cmpx_gt_u32_e32 8, v13
; %bb.767:                              ;   in Loop: Header=BB179_543 Depth=1
	v_ffbh_u32_e32 v11, v5
	v_min_u32_e32 v11, 32, v11
	v_subrev_nc_u32_e32 v13, 28, v11
	v_sub_nc_u32_e32 v11, 29, v11
	v_lshlrev_b64 v[21:22], v13, v[5:6]
	v_and_b32_e32 v5, 7, v21
; %bb.768:                              ;   in Loop: Header=BB179_543 Depth=1
	s_or_b32 exec_lo, exec_lo, s16
	v_lshlrev_b32_sdwa v13, v50, v0 dst_sel:DWORD dst_unused:UNUSED_PAD src0_sel:DWORD src1_sel:WORD_1
	v_lshlrev_b32_e32 v5, 20, v5
	v_lshl_add_u32 v11, v11, 23, 0x3c000000
	v_and_b32_e32 v13, 0x80000000, v13
	v_or3_b32 v5, v5, v13, v11
	v_mov_b32_e32 v22, v6
	v_mov_b32_e32 v21, v5
.LBB179_769:                            ;   in Loop: Header=BB179_543 Depth=1
	s_or_b32 exec_lo, exec_lo, s15
.LBB179_770:                            ;   in Loop: Header=BB179_543 Depth=1
	s_or_b32 exec_lo, exec_lo, s14
.LBB179_771:                            ;   in Loop: Header=BB179_543 Depth=1
	s_or_b32 exec_lo, exec_lo, s13
	s_mov_b32 s13, exec_lo
	v_cmpx_lt_u32_e32 0xffffff, v0
	s_cbranch_execz .LBB179_779
; %bb.772:                              ;   in Loop: Header=BB179_543 Depth=1
	v_mov_b32_e32 v11, v6
	v_mov_b32_e32 v24, v12
	v_cmp_ne_u32_sdwa s0, v0, v46 src0_sel:BYTE_3 src1_sel:DWORD
	v_mov_b32_e32 v23, v11
	s_and_saveexec_b32 s14, s0
	s_cbranch_execz .LBB179_778
; %bb.773:                              ;   in Loop: Header=BB179_543 Depth=1
	v_mov_b32_e32 v13, v6
	v_mov_b32_e32 v24, v14
	v_bfe_u32 v75, v0, 24, 7
	s_mov_b32 s15, exec_lo
	v_mov_b32_e32 v23, v13
	v_cmpx_ne_u32_e32 0x7f, v75
	s_cbranch_execz .LBB179_777
; %bb.774:                              ;   in Loop: Header=BB179_543 Depth=1
	v_and_b32_sdwa v5, v0, v49 dst_sel:DWORD dst_unused:UNUSED_PAD src0_sel:BYTE_3 src1_sel:DWORD
	v_lshrrev_b32_e32 v11, 3, v75
	s_mov_b32 s16, exec_lo
	v_cmpx_gt_u32_e32 8, v75
; %bb.775:                              ;   in Loop: Header=BB179_543 Depth=1
	v_ffbh_u32_e32 v11, v5
	v_min_u32_e32 v11, 32, v11
	v_subrev_nc_u32_e32 v13, 28, v11
	v_sub_nc_u32_e32 v11, 29, v11
	v_lshlrev_b64 v[23:24], v13, v[5:6]
	v_and_b32_e32 v5, 7, v23
; %bb.776:                              ;   in Loop: Header=BB179_543 Depth=1
	s_or_b32 exec_lo, exec_lo, s16
	v_lshlrev_b32_sdwa v0, v50, v0 dst_sel:DWORD dst_unused:UNUSED_PAD src0_sel:DWORD src1_sel:BYTE_3
	v_lshlrev_b32_e32 v5, 20, v5
	v_lshl_add_u32 v11, v11, 23, 0x3c000000
	v_mov_b32_e32 v23, v6
	v_and_b32_e32 v0, 0x80000000, v0
	v_or3_b32 v24, v5, v0, v11
.LBB179_777:                            ;   in Loop: Header=BB179_543 Depth=1
	s_or_b32 exec_lo, exec_lo, s15
.LBB179_778:                            ;   in Loop: Header=BB179_543 Depth=1
	s_or_b32 exec_lo, exec_lo, s14
.LBB179_779:                            ;   in Loop: Header=BB179_543 Depth=1
	s_or_b32 exec_lo, exec_lo, s13
	v_or_b32_e32 v0, v20, v18
	v_or_b32_e32 v5, v19, v17
	;; [unrolled: 1-line block ×4, first 2 shown]
	v_mul_f32_e32 v82, s12, v0
	v_mul_f32_e32 v83, s2, v5
	;; [unrolled: 1-line block ×4, first 2 shown]
	s_and_saveexec_b32 s13, vcc_lo
	s_cbranch_execz .LBB179_781
; %bb.780:                              ;   in Loop: Header=BB179_543 Depth=1
	v_cmp_gt_i32_e64 s0, s28, v56
	v_cndmask_b32_e64 v83, 0, v83, s0
	v_cmp_gt_i32_e64 s0, s28, v58
	v_cndmask_b32_e64 v82, 0, v82, s0
	;; [unrolled: 2-line block ×4, first 2 shown]
.LBB179_781:                            ;   in Loop: Header=BB179_543 Depth=1
	s_or_b32 exec_lo, exec_lo, s13
	global_load_dword v0, v[15:16], off offset:896
	v_mov_b32_e32 v19, 0
	v_mov_b32_e32 v17, 0
	;; [unrolled: 1-line block ×4, first 2 shown]
	s_waitcnt vmcnt(0)
	v_cmp_ne_u16_sdwa s0, v0, v6 src0_sel:BYTE_0 src1_sel:DWORD
	s_and_saveexec_b32 s13, s0
	s_cbranch_execz .LBB179_789
; %bb.782:                              ;   in Loop: Header=BB179_543 Depth=1
	v_bfrev_b32_e32 v17, 1
	v_mov_b32_e32 v18, 0
	v_cmp_ne_u16_sdwa s0, v0, v46 src0_sel:BYTE_0 src1_sel:DWORD
	s_and_saveexec_b32 s14, s0
	s_cbranch_execz .LBB179_788
; %bb.783:                              ;   in Loop: Header=BB179_543 Depth=1
	v_mov_b32_e32 v17, 0x7f800001
	v_and_b32_e32 v13, 0x7f, v0
	v_mov_b32_e32 v18, 0
	s_mov_b32 s15, exec_lo
	v_cmpx_ne_u32_e32 0x7f, v13
	s_cbranch_execz .LBB179_787
; %bb.784:                              ;   in Loop: Header=BB179_543 Depth=1
	v_and_b32_e32 v5, 7, v0
	v_lshrrev_b32_e32 v11, 3, v13
	s_mov_b32 s16, exec_lo
	v_cmpx_gt_u32_e32 8, v13
; %bb.785:                              ;   in Loop: Header=BB179_543 Depth=1
	v_ffbh_u32_e32 v11, v5
	v_min_u32_e32 v11, 32, v11
	v_subrev_nc_u32_e32 v13, 28, v11
	v_sub_nc_u32_e32 v11, 29, v11
	v_lshlrev_b64 v[17:18], v13, v[5:6]
	v_and_b32_e32 v5, 7, v17
; %bb.786:                              ;   in Loop: Header=BB179_543 Depth=1
	s_or_b32 exec_lo, exec_lo, s16
	v_lshlrev_b32_e32 v13, 24, v0
	v_lshlrev_b32_e32 v5, 20, v5
	v_lshl_add_u32 v11, v11, 23, 0x3c000000
	v_and_b32_e32 v13, 0x80000000, v13
	v_or3_b32 v5, v5, v13, v11
	v_mov_b32_e32 v18, v6
	v_mov_b32_e32 v17, v5
.LBB179_787:                            ;   in Loop: Header=BB179_543 Depth=1
	s_or_b32 exec_lo, exec_lo, s15
.LBB179_788:                            ;   in Loop: Header=BB179_543 Depth=1
	s_or_b32 exec_lo, exec_lo, s14
.LBB179_789:                            ;   in Loop: Header=BB179_543 Depth=1
	s_or_b32 exec_lo, exec_lo, s13
	v_cmp_ne_u16_sdwa s0, v0, v6 src0_sel:BYTE_1 src1_sel:DWORD
	s_and_saveexec_b32 s13, s0
	s_cbranch_execz .LBB179_797
; %bb.790:                              ;   in Loop: Header=BB179_543 Depth=1
	v_mov_b32_e32 v11, v6
	v_mov_b32_e32 v20, v12
	v_cmp_ne_u16_sdwa s0, v0, v46 src0_sel:BYTE_1 src1_sel:DWORD
	v_mov_b32_e32 v19, v11
	s_and_saveexec_b32 s14, s0
	s_cbranch_execz .LBB179_796
; %bb.791:                              ;   in Loop: Header=BB179_543 Depth=1
	v_and_b32_sdwa v5, v47, v0 dst_sel:DWORD dst_unused:UNUSED_PAD src0_sel:DWORD src1_sel:BYTE_1
	v_mov_b32_e32 v13, v6
	v_mov_b32_e32 v20, v14
	s_mov_b32 s15, exec_lo
	v_and_b32_e32 v21, 0x7f, v5
	v_mov_b32_e32 v19, v13
	v_cmpx_ne_u32_e32 0x7f, v21
	s_cbranch_execz .LBB179_795
; %bb.792:                              ;   in Loop: Header=BB179_543 Depth=1
	v_and_b32_e32 v5, 7, v5
	v_lshrrev_b32_e32 v11, 3, v21
	s_mov_b32 s16, exec_lo
	v_cmpx_gt_u32_e32 8, v21
; %bb.793:                              ;   in Loop: Header=BB179_543 Depth=1
	v_ffbh_u32_e32 v11, v5
	v_min_u32_e32 v11, 32, v11
	v_subrev_nc_u32_e32 v13, 28, v11
	v_sub_nc_u32_e32 v11, 29, v11
	v_lshlrev_b64 v[19:20], v13, v[5:6]
	v_and_b32_e32 v5, 7, v19
; %bb.794:                              ;   in Loop: Header=BB179_543 Depth=1
	s_or_b32 exec_lo, exec_lo, s16
	v_lshlrev_b32_e32 v13, 16, v0
	v_lshlrev_b32_e32 v5, 20, v5
	v_lshl_add_u32 v11, v11, 23, 0x3c000000
	v_mov_b32_e32 v19, v6
	v_and_b32_e32 v13, 0x80000000, v13
	v_or3_b32 v20, v5, v13, v11
.LBB179_795:                            ;   in Loop: Header=BB179_543 Depth=1
	s_or_b32 exec_lo, exec_lo, s15
.LBB179_796:                            ;   in Loop: Header=BB179_543 Depth=1
	s_or_b32 exec_lo, exec_lo, s14
.LBB179_797:                            ;   in Loop: Header=BB179_543 Depth=1
	s_or_b32 exec_lo, exec_lo, s13
	v_mov_b32_e32 v23, 0
	v_mov_b32_e32 v21, 0
	v_and_b32_sdwa v5, v0, v48 dst_sel:DWORD dst_unused:UNUSED_PAD src0_sel:WORD_1 src1_sel:DWORD
	v_mov_b32_e32 v24, 0
	v_mov_b32_e32 v22, 0
	s_mov_b32 s13, exec_lo
	v_cmpx_ne_u16_e32 0, v5
	s_cbranch_execz .LBB179_805
; %bb.798:                              ;   in Loop: Header=BB179_543 Depth=1
	v_bfrev_b32_e32 v21, 1
	v_mov_b32_e32 v22, 0
	s_mov_b32 s14, exec_lo
	v_cmpx_ne_u16_e32 0x80, v5
	s_cbranch_execz .LBB179_804
; %bb.799:                              ;   in Loop: Header=BB179_543 Depth=1
	v_mov_b32_e32 v21, 0x7f800001
	v_bfe_u32 v13, v0, 16, 7
	v_mov_b32_e32 v22, 0
	s_mov_b32 s15, exec_lo
	v_cmpx_ne_u32_e32 0x7f, v13
	s_cbranch_execz .LBB179_803
; %bb.800:                              ;   in Loop: Header=BB179_543 Depth=1
	v_and_b32_sdwa v5, v0, v49 dst_sel:DWORD dst_unused:UNUSED_PAD src0_sel:WORD_1 src1_sel:DWORD
	v_lshrrev_b32_e32 v11, 3, v13
	s_mov_b32 s16, exec_lo
	v_cmpx_gt_u32_e32 8, v13
; %bb.801:                              ;   in Loop: Header=BB179_543 Depth=1
	v_ffbh_u32_e32 v11, v5
	v_min_u32_e32 v11, 32, v11
	v_subrev_nc_u32_e32 v13, 28, v11
	v_sub_nc_u32_e32 v11, 29, v11
	v_lshlrev_b64 v[21:22], v13, v[5:6]
	v_and_b32_e32 v5, 7, v21
; %bb.802:                              ;   in Loop: Header=BB179_543 Depth=1
	s_or_b32 exec_lo, exec_lo, s16
	v_lshlrev_b32_sdwa v13, v50, v0 dst_sel:DWORD dst_unused:UNUSED_PAD src0_sel:DWORD src1_sel:WORD_1
	v_lshlrev_b32_e32 v5, 20, v5
	v_lshl_add_u32 v11, v11, 23, 0x3c000000
	v_and_b32_e32 v13, 0x80000000, v13
	v_or3_b32 v5, v5, v13, v11
	v_mov_b32_e32 v22, v6
	v_mov_b32_e32 v21, v5
.LBB179_803:                            ;   in Loop: Header=BB179_543 Depth=1
	s_or_b32 exec_lo, exec_lo, s15
.LBB179_804:                            ;   in Loop: Header=BB179_543 Depth=1
	s_or_b32 exec_lo, exec_lo, s14
.LBB179_805:                            ;   in Loop: Header=BB179_543 Depth=1
	s_or_b32 exec_lo, exec_lo, s13
	s_mov_b32 s13, exec_lo
	v_cmpx_lt_u32_e32 0xffffff, v0
	s_cbranch_execz .LBB179_813
; %bb.806:                              ;   in Loop: Header=BB179_543 Depth=1
	v_mov_b32_e32 v11, v6
	v_mov_b32_e32 v24, v12
	v_cmp_ne_u32_sdwa s0, v0, v46 src0_sel:BYTE_3 src1_sel:DWORD
	v_mov_b32_e32 v23, v11
	s_and_saveexec_b32 s14, s0
	s_cbranch_execz .LBB179_812
; %bb.807:                              ;   in Loop: Header=BB179_543 Depth=1
	v_mov_b32_e32 v13, v6
	v_mov_b32_e32 v24, v14
	v_bfe_u32 v75, v0, 24, 7
	s_mov_b32 s15, exec_lo
	v_mov_b32_e32 v23, v13
	v_cmpx_ne_u32_e32 0x7f, v75
	s_cbranch_execz .LBB179_811
; %bb.808:                              ;   in Loop: Header=BB179_543 Depth=1
	v_and_b32_sdwa v5, v0, v49 dst_sel:DWORD dst_unused:UNUSED_PAD src0_sel:BYTE_3 src1_sel:DWORD
	v_lshrrev_b32_e32 v11, 3, v75
	s_mov_b32 s16, exec_lo
	v_cmpx_gt_u32_e32 8, v75
; %bb.809:                              ;   in Loop: Header=BB179_543 Depth=1
	v_ffbh_u32_e32 v11, v5
	v_min_u32_e32 v11, 32, v11
	v_subrev_nc_u32_e32 v13, 28, v11
	v_sub_nc_u32_e32 v11, 29, v11
	v_lshlrev_b64 v[23:24], v13, v[5:6]
	v_and_b32_e32 v5, 7, v23
; %bb.810:                              ;   in Loop: Header=BB179_543 Depth=1
	s_or_b32 exec_lo, exec_lo, s16
	v_lshlrev_b32_sdwa v0, v50, v0 dst_sel:DWORD dst_unused:UNUSED_PAD src0_sel:DWORD src1_sel:BYTE_3
	v_lshlrev_b32_e32 v5, 20, v5
	v_lshl_add_u32 v11, v11, 23, 0x3c000000
	v_mov_b32_e32 v23, v6
	v_and_b32_e32 v0, 0x80000000, v0
	v_or3_b32 v24, v5, v0, v11
.LBB179_811:                            ;   in Loop: Header=BB179_543 Depth=1
	s_or_b32 exec_lo, exec_lo, s15
.LBB179_812:                            ;   in Loop: Header=BB179_543 Depth=1
	s_or_b32 exec_lo, exec_lo, s14
.LBB179_813:                            ;   in Loop: Header=BB179_543 Depth=1
	s_or_b32 exec_lo, exec_lo, s13
	v_or_b32_e32 v0, v20, v18
	v_or_b32_e32 v5, v19, v17
	;; [unrolled: 1-line block ×4, first 2 shown]
	v_mul_f32_e32 v86, s12, v0
	v_mul_f32_e32 v87, s2, v5
	;; [unrolled: 1-line block ×4, first 2 shown]
	s_and_saveexec_b32 s13, vcc_lo
	s_cbranch_execz .LBB179_815
; %bb.814:                              ;   in Loop: Header=BB179_543 Depth=1
	v_cmp_gt_i32_e64 s0, s28, v56
	v_cndmask_b32_e64 v87, 0, v87, s0
	v_cmp_gt_i32_e64 s0, s28, v58
	v_cndmask_b32_e64 v86, 0, v86, s0
	;; [unrolled: 2-line block ×4, first 2 shown]
.LBB179_815:                            ;   in Loop: Header=BB179_543 Depth=1
	s_or_b32 exec_lo, exec_lo, s13
	global_load_dword v0, v[15:16], off offset:1024
	v_mov_b32_e32 v19, 0
	v_mov_b32_e32 v17, 0
	;; [unrolled: 1-line block ×4, first 2 shown]
	s_waitcnt vmcnt(0)
	v_cmp_ne_u16_sdwa s0, v0, v6 src0_sel:BYTE_0 src1_sel:DWORD
	s_and_saveexec_b32 s13, s0
	s_cbranch_execz .LBB179_823
; %bb.816:                              ;   in Loop: Header=BB179_543 Depth=1
	v_bfrev_b32_e32 v17, 1
	v_mov_b32_e32 v18, 0
	v_cmp_ne_u16_sdwa s0, v0, v46 src0_sel:BYTE_0 src1_sel:DWORD
	s_and_saveexec_b32 s14, s0
	s_cbranch_execz .LBB179_822
; %bb.817:                              ;   in Loop: Header=BB179_543 Depth=1
	v_mov_b32_e32 v17, 0x7f800001
	v_and_b32_e32 v13, 0x7f, v0
	v_mov_b32_e32 v18, 0
	s_mov_b32 s15, exec_lo
	v_cmpx_ne_u32_e32 0x7f, v13
	s_cbranch_execz .LBB179_821
; %bb.818:                              ;   in Loop: Header=BB179_543 Depth=1
	v_and_b32_e32 v5, 7, v0
	v_lshrrev_b32_e32 v11, 3, v13
	s_mov_b32 s16, exec_lo
	v_cmpx_gt_u32_e32 8, v13
; %bb.819:                              ;   in Loop: Header=BB179_543 Depth=1
	v_ffbh_u32_e32 v11, v5
	v_min_u32_e32 v11, 32, v11
	v_subrev_nc_u32_e32 v13, 28, v11
	v_sub_nc_u32_e32 v11, 29, v11
	v_lshlrev_b64 v[17:18], v13, v[5:6]
	v_and_b32_e32 v5, 7, v17
; %bb.820:                              ;   in Loop: Header=BB179_543 Depth=1
	s_or_b32 exec_lo, exec_lo, s16
	v_lshlrev_b32_e32 v13, 24, v0
	v_lshlrev_b32_e32 v5, 20, v5
	v_lshl_add_u32 v11, v11, 23, 0x3c000000
	v_and_b32_e32 v13, 0x80000000, v13
	v_or3_b32 v5, v5, v13, v11
	v_mov_b32_e32 v18, v6
	v_mov_b32_e32 v17, v5
.LBB179_821:                            ;   in Loop: Header=BB179_543 Depth=1
	s_or_b32 exec_lo, exec_lo, s15
.LBB179_822:                            ;   in Loop: Header=BB179_543 Depth=1
	s_or_b32 exec_lo, exec_lo, s14
.LBB179_823:                            ;   in Loop: Header=BB179_543 Depth=1
	s_or_b32 exec_lo, exec_lo, s13
	v_cmp_ne_u16_sdwa s0, v0, v6 src0_sel:BYTE_1 src1_sel:DWORD
	s_and_saveexec_b32 s13, s0
	s_cbranch_execz .LBB179_831
; %bb.824:                              ;   in Loop: Header=BB179_543 Depth=1
	v_mov_b32_e32 v11, v6
	v_mov_b32_e32 v20, v12
	v_cmp_ne_u16_sdwa s0, v0, v46 src0_sel:BYTE_1 src1_sel:DWORD
	v_mov_b32_e32 v19, v11
	s_and_saveexec_b32 s14, s0
	s_cbranch_execz .LBB179_830
; %bb.825:                              ;   in Loop: Header=BB179_543 Depth=1
	v_and_b32_sdwa v5, v47, v0 dst_sel:DWORD dst_unused:UNUSED_PAD src0_sel:DWORD src1_sel:BYTE_1
	v_mov_b32_e32 v13, v6
	v_mov_b32_e32 v20, v14
	s_mov_b32 s15, exec_lo
	v_and_b32_e32 v21, 0x7f, v5
	v_mov_b32_e32 v19, v13
	v_cmpx_ne_u32_e32 0x7f, v21
	s_cbranch_execz .LBB179_829
; %bb.826:                              ;   in Loop: Header=BB179_543 Depth=1
	v_and_b32_e32 v5, 7, v5
	v_lshrrev_b32_e32 v11, 3, v21
	s_mov_b32 s16, exec_lo
	v_cmpx_gt_u32_e32 8, v21
; %bb.827:                              ;   in Loop: Header=BB179_543 Depth=1
	v_ffbh_u32_e32 v11, v5
	v_min_u32_e32 v11, 32, v11
	v_subrev_nc_u32_e32 v13, 28, v11
	v_sub_nc_u32_e32 v11, 29, v11
	v_lshlrev_b64 v[19:20], v13, v[5:6]
	v_and_b32_e32 v5, 7, v19
; %bb.828:                              ;   in Loop: Header=BB179_543 Depth=1
	s_or_b32 exec_lo, exec_lo, s16
	v_lshlrev_b32_e32 v13, 16, v0
	v_lshlrev_b32_e32 v5, 20, v5
	v_lshl_add_u32 v11, v11, 23, 0x3c000000
	v_mov_b32_e32 v19, v6
	v_and_b32_e32 v13, 0x80000000, v13
	v_or3_b32 v20, v5, v13, v11
.LBB179_829:                            ;   in Loop: Header=BB179_543 Depth=1
	s_or_b32 exec_lo, exec_lo, s15
.LBB179_830:                            ;   in Loop: Header=BB179_543 Depth=1
	s_or_b32 exec_lo, exec_lo, s14
.LBB179_831:                            ;   in Loop: Header=BB179_543 Depth=1
	s_or_b32 exec_lo, exec_lo, s13
	v_mov_b32_e32 v23, 0
	v_mov_b32_e32 v21, 0
	v_and_b32_sdwa v5, v0, v48 dst_sel:DWORD dst_unused:UNUSED_PAD src0_sel:WORD_1 src1_sel:DWORD
	v_mov_b32_e32 v24, 0
	v_mov_b32_e32 v22, 0
	s_mov_b32 s13, exec_lo
	v_cmpx_ne_u16_e32 0, v5
	s_cbranch_execz .LBB179_839
; %bb.832:                              ;   in Loop: Header=BB179_543 Depth=1
	v_bfrev_b32_e32 v21, 1
	v_mov_b32_e32 v22, 0
	s_mov_b32 s14, exec_lo
	v_cmpx_ne_u16_e32 0x80, v5
	s_cbranch_execz .LBB179_838
; %bb.833:                              ;   in Loop: Header=BB179_543 Depth=1
	v_mov_b32_e32 v21, 0x7f800001
	v_bfe_u32 v13, v0, 16, 7
	v_mov_b32_e32 v22, 0
	s_mov_b32 s15, exec_lo
	v_cmpx_ne_u32_e32 0x7f, v13
	s_cbranch_execz .LBB179_837
; %bb.834:                              ;   in Loop: Header=BB179_543 Depth=1
	v_and_b32_sdwa v5, v0, v49 dst_sel:DWORD dst_unused:UNUSED_PAD src0_sel:WORD_1 src1_sel:DWORD
	v_lshrrev_b32_e32 v11, 3, v13
	s_mov_b32 s16, exec_lo
	v_cmpx_gt_u32_e32 8, v13
; %bb.835:                              ;   in Loop: Header=BB179_543 Depth=1
	v_ffbh_u32_e32 v11, v5
	v_min_u32_e32 v11, 32, v11
	v_subrev_nc_u32_e32 v13, 28, v11
	v_sub_nc_u32_e32 v11, 29, v11
	v_lshlrev_b64 v[21:22], v13, v[5:6]
	v_and_b32_e32 v5, 7, v21
; %bb.836:                              ;   in Loop: Header=BB179_543 Depth=1
	s_or_b32 exec_lo, exec_lo, s16
	v_lshlrev_b32_sdwa v13, v50, v0 dst_sel:DWORD dst_unused:UNUSED_PAD src0_sel:DWORD src1_sel:WORD_1
	v_lshlrev_b32_e32 v5, 20, v5
	v_lshl_add_u32 v11, v11, 23, 0x3c000000
	v_and_b32_e32 v13, 0x80000000, v13
	v_or3_b32 v5, v5, v13, v11
	v_mov_b32_e32 v22, v6
	v_mov_b32_e32 v21, v5
.LBB179_837:                            ;   in Loop: Header=BB179_543 Depth=1
	s_or_b32 exec_lo, exec_lo, s15
.LBB179_838:                            ;   in Loop: Header=BB179_543 Depth=1
	s_or_b32 exec_lo, exec_lo, s14
.LBB179_839:                            ;   in Loop: Header=BB179_543 Depth=1
	s_or_b32 exec_lo, exec_lo, s13
	s_mov_b32 s13, exec_lo
	v_cmpx_lt_u32_e32 0xffffff, v0
	s_cbranch_execz .LBB179_847
; %bb.840:                              ;   in Loop: Header=BB179_543 Depth=1
	v_mov_b32_e32 v11, v6
	v_mov_b32_e32 v24, v12
	v_cmp_ne_u32_sdwa s0, v0, v46 src0_sel:BYTE_3 src1_sel:DWORD
	v_mov_b32_e32 v23, v11
	s_and_saveexec_b32 s14, s0
	s_cbranch_execz .LBB179_846
; %bb.841:                              ;   in Loop: Header=BB179_543 Depth=1
	v_mov_b32_e32 v13, v6
	v_mov_b32_e32 v24, v14
	v_bfe_u32 v75, v0, 24, 7
	s_mov_b32 s15, exec_lo
	v_mov_b32_e32 v23, v13
	v_cmpx_ne_u32_e32 0x7f, v75
	s_cbranch_execz .LBB179_845
; %bb.842:                              ;   in Loop: Header=BB179_543 Depth=1
	v_and_b32_sdwa v5, v0, v49 dst_sel:DWORD dst_unused:UNUSED_PAD src0_sel:BYTE_3 src1_sel:DWORD
	v_lshrrev_b32_e32 v11, 3, v75
	s_mov_b32 s16, exec_lo
	v_cmpx_gt_u32_e32 8, v75
; %bb.843:                              ;   in Loop: Header=BB179_543 Depth=1
	v_ffbh_u32_e32 v11, v5
	v_min_u32_e32 v11, 32, v11
	v_subrev_nc_u32_e32 v13, 28, v11
	v_sub_nc_u32_e32 v11, 29, v11
	v_lshlrev_b64 v[23:24], v13, v[5:6]
	v_and_b32_e32 v5, 7, v23
; %bb.844:                              ;   in Loop: Header=BB179_543 Depth=1
	s_or_b32 exec_lo, exec_lo, s16
	v_lshlrev_b32_sdwa v0, v50, v0 dst_sel:DWORD dst_unused:UNUSED_PAD src0_sel:DWORD src1_sel:BYTE_3
	v_lshlrev_b32_e32 v5, 20, v5
	v_lshl_add_u32 v11, v11, 23, 0x3c000000
	v_mov_b32_e32 v23, v6
	v_and_b32_e32 v0, 0x80000000, v0
	v_or3_b32 v24, v5, v0, v11
.LBB179_845:                            ;   in Loop: Header=BB179_543 Depth=1
	s_or_b32 exec_lo, exec_lo, s15
.LBB179_846:                            ;   in Loop: Header=BB179_543 Depth=1
	s_or_b32 exec_lo, exec_lo, s14
.LBB179_847:                            ;   in Loop: Header=BB179_543 Depth=1
	s_or_b32 exec_lo, exec_lo, s13
	v_or_b32_e32 v0, v20, v18
	v_or_b32_e32 v5, v19, v17
	;; [unrolled: 1-line block ×4, first 2 shown]
	v_mul_f32_e32 v90, s12, v0
	v_mul_f32_e32 v91, s2, v5
	;; [unrolled: 1-line block ×4, first 2 shown]
	s_and_saveexec_b32 s13, vcc_lo
	s_cbranch_execz .LBB179_849
; %bb.848:                              ;   in Loop: Header=BB179_543 Depth=1
	v_cmp_gt_i32_e64 s0, s28, v56
	v_cndmask_b32_e64 v91, 0, v91, s0
	v_cmp_gt_i32_e64 s0, s28, v58
	v_cndmask_b32_e64 v90, 0, v90, s0
	;; [unrolled: 2-line block ×4, first 2 shown]
.LBB179_849:                            ;   in Loop: Header=BB179_543 Depth=1
	s_or_b32 exec_lo, exec_lo, s13
	global_load_dword v0, v[15:16], off offset:1152
	v_mov_b32_e32 v19, 0
	v_mov_b32_e32 v17, 0
	;; [unrolled: 1-line block ×4, first 2 shown]
	s_waitcnt vmcnt(0)
	v_cmp_ne_u16_sdwa s0, v0, v6 src0_sel:BYTE_0 src1_sel:DWORD
	s_and_saveexec_b32 s13, s0
	s_cbranch_execz .LBB179_857
; %bb.850:                              ;   in Loop: Header=BB179_543 Depth=1
	v_bfrev_b32_e32 v17, 1
	v_mov_b32_e32 v18, 0
	v_cmp_ne_u16_sdwa s0, v0, v46 src0_sel:BYTE_0 src1_sel:DWORD
	s_and_saveexec_b32 s14, s0
	s_cbranch_execz .LBB179_856
; %bb.851:                              ;   in Loop: Header=BB179_543 Depth=1
	v_mov_b32_e32 v17, 0x7f800001
	v_and_b32_e32 v13, 0x7f, v0
	v_mov_b32_e32 v18, 0
	s_mov_b32 s15, exec_lo
	v_cmpx_ne_u32_e32 0x7f, v13
	s_cbranch_execz .LBB179_855
; %bb.852:                              ;   in Loop: Header=BB179_543 Depth=1
	v_and_b32_e32 v5, 7, v0
	v_lshrrev_b32_e32 v11, 3, v13
	s_mov_b32 s16, exec_lo
	v_cmpx_gt_u32_e32 8, v13
; %bb.853:                              ;   in Loop: Header=BB179_543 Depth=1
	v_ffbh_u32_e32 v11, v5
	v_min_u32_e32 v11, 32, v11
	v_subrev_nc_u32_e32 v13, 28, v11
	v_sub_nc_u32_e32 v11, 29, v11
	v_lshlrev_b64 v[17:18], v13, v[5:6]
	v_and_b32_e32 v5, 7, v17
; %bb.854:                              ;   in Loop: Header=BB179_543 Depth=1
	s_or_b32 exec_lo, exec_lo, s16
	v_lshlrev_b32_e32 v13, 24, v0
	v_lshlrev_b32_e32 v5, 20, v5
	v_lshl_add_u32 v11, v11, 23, 0x3c000000
	v_and_b32_e32 v13, 0x80000000, v13
	v_or3_b32 v5, v5, v13, v11
	v_mov_b32_e32 v18, v6
	v_mov_b32_e32 v17, v5
.LBB179_855:                            ;   in Loop: Header=BB179_543 Depth=1
	s_or_b32 exec_lo, exec_lo, s15
.LBB179_856:                            ;   in Loop: Header=BB179_543 Depth=1
	s_or_b32 exec_lo, exec_lo, s14
.LBB179_857:                            ;   in Loop: Header=BB179_543 Depth=1
	s_or_b32 exec_lo, exec_lo, s13
	v_cmp_ne_u16_sdwa s0, v0, v6 src0_sel:BYTE_1 src1_sel:DWORD
	s_and_saveexec_b32 s13, s0
	s_cbranch_execz .LBB179_865
; %bb.858:                              ;   in Loop: Header=BB179_543 Depth=1
	v_mov_b32_e32 v11, v6
	v_mov_b32_e32 v20, v12
	v_cmp_ne_u16_sdwa s0, v0, v46 src0_sel:BYTE_1 src1_sel:DWORD
	v_mov_b32_e32 v19, v11
	s_and_saveexec_b32 s14, s0
	s_cbranch_execz .LBB179_864
; %bb.859:                              ;   in Loop: Header=BB179_543 Depth=1
	v_and_b32_sdwa v5, v47, v0 dst_sel:DWORD dst_unused:UNUSED_PAD src0_sel:DWORD src1_sel:BYTE_1
	v_mov_b32_e32 v13, v6
	v_mov_b32_e32 v20, v14
	s_mov_b32 s15, exec_lo
	v_and_b32_e32 v21, 0x7f, v5
	v_mov_b32_e32 v19, v13
	v_cmpx_ne_u32_e32 0x7f, v21
	s_cbranch_execz .LBB179_863
; %bb.860:                              ;   in Loop: Header=BB179_543 Depth=1
	v_and_b32_e32 v5, 7, v5
	v_lshrrev_b32_e32 v11, 3, v21
	s_mov_b32 s16, exec_lo
	v_cmpx_gt_u32_e32 8, v21
; %bb.861:                              ;   in Loop: Header=BB179_543 Depth=1
	v_ffbh_u32_e32 v11, v5
	v_min_u32_e32 v11, 32, v11
	v_subrev_nc_u32_e32 v13, 28, v11
	v_sub_nc_u32_e32 v11, 29, v11
	v_lshlrev_b64 v[19:20], v13, v[5:6]
	v_and_b32_e32 v5, 7, v19
; %bb.862:                              ;   in Loop: Header=BB179_543 Depth=1
	s_or_b32 exec_lo, exec_lo, s16
	v_lshlrev_b32_e32 v13, 16, v0
	v_lshlrev_b32_e32 v5, 20, v5
	v_lshl_add_u32 v11, v11, 23, 0x3c000000
	v_mov_b32_e32 v19, v6
	v_and_b32_e32 v13, 0x80000000, v13
	v_or3_b32 v20, v5, v13, v11
.LBB179_863:                            ;   in Loop: Header=BB179_543 Depth=1
	s_or_b32 exec_lo, exec_lo, s15
.LBB179_864:                            ;   in Loop: Header=BB179_543 Depth=1
	s_or_b32 exec_lo, exec_lo, s14
.LBB179_865:                            ;   in Loop: Header=BB179_543 Depth=1
	s_or_b32 exec_lo, exec_lo, s13
	v_mov_b32_e32 v23, 0
	v_mov_b32_e32 v21, 0
	v_and_b32_sdwa v5, v0, v48 dst_sel:DWORD dst_unused:UNUSED_PAD src0_sel:WORD_1 src1_sel:DWORD
	v_mov_b32_e32 v24, 0
	v_mov_b32_e32 v22, 0
	s_mov_b32 s13, exec_lo
	v_cmpx_ne_u16_e32 0, v5
	s_cbranch_execz .LBB179_873
; %bb.866:                              ;   in Loop: Header=BB179_543 Depth=1
	v_bfrev_b32_e32 v21, 1
	v_mov_b32_e32 v22, 0
	s_mov_b32 s14, exec_lo
	v_cmpx_ne_u16_e32 0x80, v5
	s_cbranch_execz .LBB179_872
; %bb.867:                              ;   in Loop: Header=BB179_543 Depth=1
	v_mov_b32_e32 v21, 0x7f800001
	v_bfe_u32 v13, v0, 16, 7
	v_mov_b32_e32 v22, 0
	s_mov_b32 s15, exec_lo
	v_cmpx_ne_u32_e32 0x7f, v13
	s_cbranch_execz .LBB179_871
; %bb.868:                              ;   in Loop: Header=BB179_543 Depth=1
	v_and_b32_sdwa v5, v0, v49 dst_sel:DWORD dst_unused:UNUSED_PAD src0_sel:WORD_1 src1_sel:DWORD
	v_lshrrev_b32_e32 v11, 3, v13
	s_mov_b32 s16, exec_lo
	v_cmpx_gt_u32_e32 8, v13
; %bb.869:                              ;   in Loop: Header=BB179_543 Depth=1
	v_ffbh_u32_e32 v11, v5
	v_min_u32_e32 v11, 32, v11
	v_subrev_nc_u32_e32 v13, 28, v11
	v_sub_nc_u32_e32 v11, 29, v11
	v_lshlrev_b64 v[21:22], v13, v[5:6]
	v_and_b32_e32 v5, 7, v21
; %bb.870:                              ;   in Loop: Header=BB179_543 Depth=1
	s_or_b32 exec_lo, exec_lo, s16
	v_lshlrev_b32_sdwa v13, v50, v0 dst_sel:DWORD dst_unused:UNUSED_PAD src0_sel:DWORD src1_sel:WORD_1
	v_lshlrev_b32_e32 v5, 20, v5
	v_lshl_add_u32 v11, v11, 23, 0x3c000000
	v_and_b32_e32 v13, 0x80000000, v13
	v_or3_b32 v5, v5, v13, v11
	v_mov_b32_e32 v22, v6
	v_mov_b32_e32 v21, v5
.LBB179_871:                            ;   in Loop: Header=BB179_543 Depth=1
	s_or_b32 exec_lo, exec_lo, s15
.LBB179_872:                            ;   in Loop: Header=BB179_543 Depth=1
	s_or_b32 exec_lo, exec_lo, s14
.LBB179_873:                            ;   in Loop: Header=BB179_543 Depth=1
	s_or_b32 exec_lo, exec_lo, s13
	s_mov_b32 s13, exec_lo
	v_cmpx_lt_u32_e32 0xffffff, v0
	s_cbranch_execz .LBB179_881
; %bb.874:                              ;   in Loop: Header=BB179_543 Depth=1
	v_mov_b32_e32 v11, v6
	v_mov_b32_e32 v24, v12
	v_cmp_ne_u32_sdwa s0, v0, v46 src0_sel:BYTE_3 src1_sel:DWORD
	v_mov_b32_e32 v23, v11
	s_and_saveexec_b32 s14, s0
	s_cbranch_execz .LBB179_880
; %bb.875:                              ;   in Loop: Header=BB179_543 Depth=1
	v_mov_b32_e32 v13, v6
	v_mov_b32_e32 v24, v14
	v_bfe_u32 v75, v0, 24, 7
	s_mov_b32 s15, exec_lo
	v_mov_b32_e32 v23, v13
	v_cmpx_ne_u32_e32 0x7f, v75
	s_cbranch_execz .LBB179_879
; %bb.876:                              ;   in Loop: Header=BB179_543 Depth=1
	v_and_b32_sdwa v5, v0, v49 dst_sel:DWORD dst_unused:UNUSED_PAD src0_sel:BYTE_3 src1_sel:DWORD
	v_lshrrev_b32_e32 v11, 3, v75
	s_mov_b32 s16, exec_lo
	v_cmpx_gt_u32_e32 8, v75
; %bb.877:                              ;   in Loop: Header=BB179_543 Depth=1
	v_ffbh_u32_e32 v11, v5
	v_min_u32_e32 v11, 32, v11
	v_subrev_nc_u32_e32 v13, 28, v11
	v_sub_nc_u32_e32 v11, 29, v11
	v_lshlrev_b64 v[23:24], v13, v[5:6]
	v_and_b32_e32 v5, 7, v23
; %bb.878:                              ;   in Loop: Header=BB179_543 Depth=1
	s_or_b32 exec_lo, exec_lo, s16
	v_lshlrev_b32_sdwa v0, v50, v0 dst_sel:DWORD dst_unused:UNUSED_PAD src0_sel:DWORD src1_sel:BYTE_3
	v_lshlrev_b32_e32 v5, 20, v5
	v_lshl_add_u32 v11, v11, 23, 0x3c000000
	v_mov_b32_e32 v23, v6
	v_and_b32_e32 v0, 0x80000000, v0
	v_or3_b32 v24, v5, v0, v11
.LBB179_879:                            ;   in Loop: Header=BB179_543 Depth=1
	s_or_b32 exec_lo, exec_lo, s15
.LBB179_880:                            ;   in Loop: Header=BB179_543 Depth=1
	s_or_b32 exec_lo, exec_lo, s14
.LBB179_881:                            ;   in Loop: Header=BB179_543 Depth=1
	s_or_b32 exec_lo, exec_lo, s13
	v_or_b32_e32 v0, v20, v18
	v_or_b32_e32 v5, v19, v17
	;; [unrolled: 1-line block ×4, first 2 shown]
	v_mul_f32_e32 v94, s12, v0
	v_mul_f32_e32 v95, s2, v5
	;; [unrolled: 1-line block ×4, first 2 shown]
	s_and_saveexec_b32 s13, vcc_lo
	s_cbranch_execz .LBB179_883
; %bb.882:                              ;   in Loop: Header=BB179_543 Depth=1
	v_cmp_gt_i32_e64 s0, s28, v56
	v_cndmask_b32_e64 v95, 0, v95, s0
	v_cmp_gt_i32_e64 s0, s28, v58
	v_cndmask_b32_e64 v94, 0, v94, s0
	;; [unrolled: 2-line block ×4, first 2 shown]
.LBB179_883:                            ;   in Loop: Header=BB179_543 Depth=1
	s_or_b32 exec_lo, exec_lo, s13
	global_load_dword v0, v[15:16], off offset:1280
	v_mov_b32_e32 v19, 0
	v_mov_b32_e32 v17, 0
	v_mov_b32_e32 v20, 0
	v_mov_b32_e32 v18, 0
	s_waitcnt vmcnt(0)
	v_cmp_ne_u16_sdwa s0, v0, v6 src0_sel:BYTE_0 src1_sel:DWORD
	s_and_saveexec_b32 s13, s0
	s_cbranch_execz .LBB179_891
; %bb.884:                              ;   in Loop: Header=BB179_543 Depth=1
	v_bfrev_b32_e32 v17, 1
	v_mov_b32_e32 v18, 0
	v_cmp_ne_u16_sdwa s0, v0, v46 src0_sel:BYTE_0 src1_sel:DWORD
	s_and_saveexec_b32 s14, s0
	s_cbranch_execz .LBB179_890
; %bb.885:                              ;   in Loop: Header=BB179_543 Depth=1
	v_mov_b32_e32 v17, 0x7f800001
	v_and_b32_e32 v13, 0x7f, v0
	v_mov_b32_e32 v18, 0
	s_mov_b32 s15, exec_lo
	v_cmpx_ne_u32_e32 0x7f, v13
	s_cbranch_execz .LBB179_889
; %bb.886:                              ;   in Loop: Header=BB179_543 Depth=1
	v_and_b32_e32 v5, 7, v0
	v_lshrrev_b32_e32 v11, 3, v13
	s_mov_b32 s16, exec_lo
	v_cmpx_gt_u32_e32 8, v13
; %bb.887:                              ;   in Loop: Header=BB179_543 Depth=1
	v_ffbh_u32_e32 v11, v5
	v_min_u32_e32 v11, 32, v11
	v_subrev_nc_u32_e32 v13, 28, v11
	v_sub_nc_u32_e32 v11, 29, v11
	v_lshlrev_b64 v[17:18], v13, v[5:6]
	v_and_b32_e32 v5, 7, v17
; %bb.888:                              ;   in Loop: Header=BB179_543 Depth=1
	s_or_b32 exec_lo, exec_lo, s16
	v_lshlrev_b32_e32 v13, 24, v0
	v_lshlrev_b32_e32 v5, 20, v5
	v_lshl_add_u32 v11, v11, 23, 0x3c000000
	v_and_b32_e32 v13, 0x80000000, v13
	v_or3_b32 v5, v5, v13, v11
	v_mov_b32_e32 v18, v6
	v_mov_b32_e32 v17, v5
.LBB179_889:                            ;   in Loop: Header=BB179_543 Depth=1
	s_or_b32 exec_lo, exec_lo, s15
.LBB179_890:                            ;   in Loop: Header=BB179_543 Depth=1
	s_or_b32 exec_lo, exec_lo, s14
.LBB179_891:                            ;   in Loop: Header=BB179_543 Depth=1
	s_or_b32 exec_lo, exec_lo, s13
	v_cmp_ne_u16_sdwa s0, v0, v6 src0_sel:BYTE_1 src1_sel:DWORD
	s_and_saveexec_b32 s13, s0
	s_cbranch_execz .LBB179_899
; %bb.892:                              ;   in Loop: Header=BB179_543 Depth=1
	v_mov_b32_e32 v11, v6
	v_mov_b32_e32 v20, v12
	v_cmp_ne_u16_sdwa s0, v0, v46 src0_sel:BYTE_1 src1_sel:DWORD
	v_mov_b32_e32 v19, v11
	s_and_saveexec_b32 s14, s0
	s_cbranch_execz .LBB179_898
; %bb.893:                              ;   in Loop: Header=BB179_543 Depth=1
	v_and_b32_sdwa v5, v47, v0 dst_sel:DWORD dst_unused:UNUSED_PAD src0_sel:DWORD src1_sel:BYTE_1
	v_mov_b32_e32 v13, v6
	v_mov_b32_e32 v20, v14
	s_mov_b32 s15, exec_lo
	v_and_b32_e32 v21, 0x7f, v5
	v_mov_b32_e32 v19, v13
	v_cmpx_ne_u32_e32 0x7f, v21
	s_cbranch_execz .LBB179_897
; %bb.894:                              ;   in Loop: Header=BB179_543 Depth=1
	v_and_b32_e32 v5, 7, v5
	v_lshrrev_b32_e32 v11, 3, v21
	s_mov_b32 s16, exec_lo
	v_cmpx_gt_u32_e32 8, v21
; %bb.895:                              ;   in Loop: Header=BB179_543 Depth=1
	v_ffbh_u32_e32 v11, v5
	v_min_u32_e32 v11, 32, v11
	v_subrev_nc_u32_e32 v13, 28, v11
	v_sub_nc_u32_e32 v11, 29, v11
	v_lshlrev_b64 v[19:20], v13, v[5:6]
	v_and_b32_e32 v5, 7, v19
; %bb.896:                              ;   in Loop: Header=BB179_543 Depth=1
	s_or_b32 exec_lo, exec_lo, s16
	v_lshlrev_b32_e32 v13, 16, v0
	v_lshlrev_b32_e32 v5, 20, v5
	v_lshl_add_u32 v11, v11, 23, 0x3c000000
	v_mov_b32_e32 v19, v6
	v_and_b32_e32 v13, 0x80000000, v13
	v_or3_b32 v20, v5, v13, v11
.LBB179_897:                            ;   in Loop: Header=BB179_543 Depth=1
	s_or_b32 exec_lo, exec_lo, s15
.LBB179_898:                            ;   in Loop: Header=BB179_543 Depth=1
	s_or_b32 exec_lo, exec_lo, s14
.LBB179_899:                            ;   in Loop: Header=BB179_543 Depth=1
	s_or_b32 exec_lo, exec_lo, s13
	v_mov_b32_e32 v23, 0
	v_mov_b32_e32 v21, 0
	v_and_b32_sdwa v5, v0, v48 dst_sel:DWORD dst_unused:UNUSED_PAD src0_sel:WORD_1 src1_sel:DWORD
	v_mov_b32_e32 v24, 0
	v_mov_b32_e32 v22, 0
	s_mov_b32 s13, exec_lo
	v_cmpx_ne_u16_e32 0, v5
	s_cbranch_execz .LBB179_907
; %bb.900:                              ;   in Loop: Header=BB179_543 Depth=1
	v_bfrev_b32_e32 v21, 1
	v_mov_b32_e32 v22, 0
	s_mov_b32 s14, exec_lo
	v_cmpx_ne_u16_e32 0x80, v5
	s_cbranch_execz .LBB179_906
; %bb.901:                              ;   in Loop: Header=BB179_543 Depth=1
	v_mov_b32_e32 v21, 0x7f800001
	v_bfe_u32 v13, v0, 16, 7
	v_mov_b32_e32 v22, 0
	s_mov_b32 s15, exec_lo
	v_cmpx_ne_u32_e32 0x7f, v13
	s_cbranch_execz .LBB179_905
; %bb.902:                              ;   in Loop: Header=BB179_543 Depth=1
	v_and_b32_sdwa v5, v0, v49 dst_sel:DWORD dst_unused:UNUSED_PAD src0_sel:WORD_1 src1_sel:DWORD
	v_lshrrev_b32_e32 v11, 3, v13
	s_mov_b32 s16, exec_lo
	v_cmpx_gt_u32_e32 8, v13
; %bb.903:                              ;   in Loop: Header=BB179_543 Depth=1
	v_ffbh_u32_e32 v11, v5
	v_min_u32_e32 v11, 32, v11
	v_subrev_nc_u32_e32 v13, 28, v11
	v_sub_nc_u32_e32 v11, 29, v11
	v_lshlrev_b64 v[21:22], v13, v[5:6]
	v_and_b32_e32 v5, 7, v21
; %bb.904:                              ;   in Loop: Header=BB179_543 Depth=1
	s_or_b32 exec_lo, exec_lo, s16
	v_lshlrev_b32_sdwa v13, v50, v0 dst_sel:DWORD dst_unused:UNUSED_PAD src0_sel:DWORD src1_sel:WORD_1
	v_lshlrev_b32_e32 v5, 20, v5
	v_lshl_add_u32 v11, v11, 23, 0x3c000000
	v_and_b32_e32 v13, 0x80000000, v13
	v_or3_b32 v5, v5, v13, v11
	v_mov_b32_e32 v22, v6
	v_mov_b32_e32 v21, v5
.LBB179_905:                            ;   in Loop: Header=BB179_543 Depth=1
	s_or_b32 exec_lo, exec_lo, s15
.LBB179_906:                            ;   in Loop: Header=BB179_543 Depth=1
	s_or_b32 exec_lo, exec_lo, s14
.LBB179_907:                            ;   in Loop: Header=BB179_543 Depth=1
	s_or_b32 exec_lo, exec_lo, s13
	s_mov_b32 s13, exec_lo
	v_cmpx_lt_u32_e32 0xffffff, v0
	s_cbranch_execz .LBB179_915
; %bb.908:                              ;   in Loop: Header=BB179_543 Depth=1
	v_mov_b32_e32 v11, v6
	v_mov_b32_e32 v24, v12
	v_cmp_ne_u32_sdwa s0, v0, v46 src0_sel:BYTE_3 src1_sel:DWORD
	v_mov_b32_e32 v23, v11
	s_and_saveexec_b32 s14, s0
	s_cbranch_execz .LBB179_914
; %bb.909:                              ;   in Loop: Header=BB179_543 Depth=1
	v_mov_b32_e32 v13, v6
	v_mov_b32_e32 v24, v14
	v_bfe_u32 v75, v0, 24, 7
	s_mov_b32 s15, exec_lo
	v_mov_b32_e32 v23, v13
	v_cmpx_ne_u32_e32 0x7f, v75
	s_cbranch_execz .LBB179_913
; %bb.910:                              ;   in Loop: Header=BB179_543 Depth=1
	v_and_b32_sdwa v5, v0, v49 dst_sel:DWORD dst_unused:UNUSED_PAD src0_sel:BYTE_3 src1_sel:DWORD
	v_lshrrev_b32_e32 v11, 3, v75
	s_mov_b32 s16, exec_lo
	v_cmpx_gt_u32_e32 8, v75
; %bb.911:                              ;   in Loop: Header=BB179_543 Depth=1
	v_ffbh_u32_e32 v11, v5
	v_min_u32_e32 v11, 32, v11
	v_subrev_nc_u32_e32 v13, 28, v11
	v_sub_nc_u32_e32 v11, 29, v11
	v_lshlrev_b64 v[23:24], v13, v[5:6]
	v_and_b32_e32 v5, 7, v23
; %bb.912:                              ;   in Loop: Header=BB179_543 Depth=1
	s_or_b32 exec_lo, exec_lo, s16
	v_lshlrev_b32_sdwa v0, v50, v0 dst_sel:DWORD dst_unused:UNUSED_PAD src0_sel:DWORD src1_sel:BYTE_3
	v_lshlrev_b32_e32 v5, 20, v5
	v_lshl_add_u32 v11, v11, 23, 0x3c000000
	v_mov_b32_e32 v23, v6
	v_and_b32_e32 v0, 0x80000000, v0
	v_or3_b32 v24, v5, v0, v11
.LBB179_913:                            ;   in Loop: Header=BB179_543 Depth=1
	s_or_b32 exec_lo, exec_lo, s15
.LBB179_914:                            ;   in Loop: Header=BB179_543 Depth=1
	s_or_b32 exec_lo, exec_lo, s14
.LBB179_915:                            ;   in Loop: Header=BB179_543 Depth=1
	s_or_b32 exec_lo, exec_lo, s13
	v_or_b32_e32 v0, v20, v18
	v_or_b32_e32 v5, v19, v17
	;; [unrolled: 1-line block ×4, first 2 shown]
	v_mul_f32_e32 v97, s12, v0
	v_mul_f32_e32 v98, s2, v5
	;; [unrolled: 1-line block ×4, first 2 shown]
	s_and_saveexec_b32 s13, vcc_lo
	s_cbranch_execz .LBB179_917
; %bb.916:                              ;   in Loop: Header=BB179_543 Depth=1
	v_cmp_gt_i32_e64 s0, s28, v56
	v_cndmask_b32_e64 v98, 0, v98, s0
	v_cmp_gt_i32_e64 s0, s28, v58
	v_cndmask_b32_e64 v97, 0, v97, s0
	v_cmp_gt_i32_e64 s0, s28, v57
	v_cndmask_b32_e64 v96, 0, v96, s0
	v_cmp_gt_i32_e64 s0, s28, v44
	v_cndmask_b32_e64 v75, 0, v75, s0
.LBB179_917:                            ;   in Loop: Header=BB179_543 Depth=1
	s_or_b32 exec_lo, exec_lo, s13
	global_load_dword v0, v[15:16], off offset:1408
	v_mov_b32_e32 v19, 0
	v_mov_b32_e32 v17, 0
	;; [unrolled: 1-line block ×4, first 2 shown]
	s_waitcnt vmcnt(0)
	v_cmp_ne_u16_sdwa s0, v0, v6 src0_sel:BYTE_0 src1_sel:DWORD
	s_and_saveexec_b32 s13, s0
	s_cbranch_execz .LBB179_925
; %bb.918:                              ;   in Loop: Header=BB179_543 Depth=1
	v_bfrev_b32_e32 v17, 1
	v_mov_b32_e32 v18, 0
	v_cmp_ne_u16_sdwa s0, v0, v46 src0_sel:BYTE_0 src1_sel:DWORD
	s_and_saveexec_b32 s14, s0
	s_cbranch_execz .LBB179_924
; %bb.919:                              ;   in Loop: Header=BB179_543 Depth=1
	v_mov_b32_e32 v17, 0x7f800001
	v_and_b32_e32 v13, 0x7f, v0
	v_mov_b32_e32 v18, 0
	s_mov_b32 s15, exec_lo
	v_cmpx_ne_u32_e32 0x7f, v13
	s_cbranch_execz .LBB179_923
; %bb.920:                              ;   in Loop: Header=BB179_543 Depth=1
	v_and_b32_e32 v5, 7, v0
	v_lshrrev_b32_e32 v11, 3, v13
	s_mov_b32 s16, exec_lo
	v_cmpx_gt_u32_e32 8, v13
; %bb.921:                              ;   in Loop: Header=BB179_543 Depth=1
	v_ffbh_u32_e32 v11, v5
	v_min_u32_e32 v11, 32, v11
	v_subrev_nc_u32_e32 v13, 28, v11
	v_sub_nc_u32_e32 v11, 29, v11
	v_lshlrev_b64 v[17:18], v13, v[5:6]
	v_and_b32_e32 v5, 7, v17
; %bb.922:                              ;   in Loop: Header=BB179_543 Depth=1
	s_or_b32 exec_lo, exec_lo, s16
	v_lshlrev_b32_e32 v13, 24, v0
	v_lshlrev_b32_e32 v5, 20, v5
	v_lshl_add_u32 v11, v11, 23, 0x3c000000
	v_and_b32_e32 v13, 0x80000000, v13
	v_or3_b32 v5, v5, v13, v11
	v_mov_b32_e32 v18, v6
	v_mov_b32_e32 v17, v5
.LBB179_923:                            ;   in Loop: Header=BB179_543 Depth=1
	s_or_b32 exec_lo, exec_lo, s15
.LBB179_924:                            ;   in Loop: Header=BB179_543 Depth=1
	s_or_b32 exec_lo, exec_lo, s14
.LBB179_925:                            ;   in Loop: Header=BB179_543 Depth=1
	s_or_b32 exec_lo, exec_lo, s13
	v_cmp_ne_u16_sdwa s0, v0, v6 src0_sel:BYTE_1 src1_sel:DWORD
	s_and_saveexec_b32 s13, s0
	s_cbranch_execz .LBB179_933
; %bb.926:                              ;   in Loop: Header=BB179_543 Depth=1
	v_mov_b32_e32 v11, v6
	v_mov_b32_e32 v20, v12
	v_cmp_ne_u16_sdwa s0, v0, v46 src0_sel:BYTE_1 src1_sel:DWORD
	v_mov_b32_e32 v19, v11
	s_and_saveexec_b32 s14, s0
	s_cbranch_execz .LBB179_932
; %bb.927:                              ;   in Loop: Header=BB179_543 Depth=1
	v_and_b32_sdwa v5, v47, v0 dst_sel:DWORD dst_unused:UNUSED_PAD src0_sel:DWORD src1_sel:BYTE_1
	v_mov_b32_e32 v13, v6
	v_mov_b32_e32 v20, v14
	s_mov_b32 s15, exec_lo
	v_and_b32_e32 v21, 0x7f, v5
	v_mov_b32_e32 v19, v13
	v_cmpx_ne_u32_e32 0x7f, v21
	s_cbranch_execz .LBB179_931
; %bb.928:                              ;   in Loop: Header=BB179_543 Depth=1
	v_and_b32_e32 v5, 7, v5
	v_lshrrev_b32_e32 v11, 3, v21
	s_mov_b32 s16, exec_lo
	v_cmpx_gt_u32_e32 8, v21
; %bb.929:                              ;   in Loop: Header=BB179_543 Depth=1
	v_ffbh_u32_e32 v11, v5
	v_min_u32_e32 v11, 32, v11
	v_subrev_nc_u32_e32 v13, 28, v11
	v_sub_nc_u32_e32 v11, 29, v11
	v_lshlrev_b64 v[19:20], v13, v[5:6]
	v_and_b32_e32 v5, 7, v19
; %bb.930:                              ;   in Loop: Header=BB179_543 Depth=1
	s_or_b32 exec_lo, exec_lo, s16
	v_lshlrev_b32_e32 v13, 16, v0
	v_lshlrev_b32_e32 v5, 20, v5
	v_lshl_add_u32 v11, v11, 23, 0x3c000000
	v_mov_b32_e32 v19, v6
	v_and_b32_e32 v13, 0x80000000, v13
	v_or3_b32 v20, v5, v13, v11
.LBB179_931:                            ;   in Loop: Header=BB179_543 Depth=1
	s_or_b32 exec_lo, exec_lo, s15
.LBB179_932:                            ;   in Loop: Header=BB179_543 Depth=1
	s_or_b32 exec_lo, exec_lo, s14
.LBB179_933:                            ;   in Loop: Header=BB179_543 Depth=1
	s_or_b32 exec_lo, exec_lo, s13
	v_mov_b32_e32 v23, 0
	v_mov_b32_e32 v21, 0
	v_and_b32_sdwa v5, v0, v48 dst_sel:DWORD dst_unused:UNUSED_PAD src0_sel:WORD_1 src1_sel:DWORD
	v_mov_b32_e32 v24, 0
	v_mov_b32_e32 v22, 0
	s_mov_b32 s13, exec_lo
	v_cmpx_ne_u16_e32 0, v5
	s_cbranch_execz .LBB179_941
; %bb.934:                              ;   in Loop: Header=BB179_543 Depth=1
	v_bfrev_b32_e32 v21, 1
	v_mov_b32_e32 v22, 0
	s_mov_b32 s14, exec_lo
	v_cmpx_ne_u16_e32 0x80, v5
	s_cbranch_execz .LBB179_940
; %bb.935:                              ;   in Loop: Header=BB179_543 Depth=1
	v_mov_b32_e32 v21, 0x7f800001
	v_bfe_u32 v13, v0, 16, 7
	v_mov_b32_e32 v22, 0
	s_mov_b32 s15, exec_lo
	v_cmpx_ne_u32_e32 0x7f, v13
	s_cbranch_execz .LBB179_939
; %bb.936:                              ;   in Loop: Header=BB179_543 Depth=1
	v_and_b32_sdwa v5, v0, v49 dst_sel:DWORD dst_unused:UNUSED_PAD src0_sel:WORD_1 src1_sel:DWORD
	v_lshrrev_b32_e32 v11, 3, v13
	s_mov_b32 s16, exec_lo
	v_cmpx_gt_u32_e32 8, v13
; %bb.937:                              ;   in Loop: Header=BB179_543 Depth=1
	v_ffbh_u32_e32 v11, v5
	v_min_u32_e32 v11, 32, v11
	v_subrev_nc_u32_e32 v13, 28, v11
	v_sub_nc_u32_e32 v11, 29, v11
	v_lshlrev_b64 v[21:22], v13, v[5:6]
	v_and_b32_e32 v5, 7, v21
; %bb.938:                              ;   in Loop: Header=BB179_543 Depth=1
	s_or_b32 exec_lo, exec_lo, s16
	v_lshlrev_b32_sdwa v13, v50, v0 dst_sel:DWORD dst_unused:UNUSED_PAD src0_sel:DWORD src1_sel:WORD_1
	v_lshlrev_b32_e32 v5, 20, v5
	v_lshl_add_u32 v11, v11, 23, 0x3c000000
	v_and_b32_e32 v13, 0x80000000, v13
	v_or3_b32 v5, v5, v13, v11
	v_mov_b32_e32 v22, v6
	v_mov_b32_e32 v21, v5
.LBB179_939:                            ;   in Loop: Header=BB179_543 Depth=1
	s_or_b32 exec_lo, exec_lo, s15
.LBB179_940:                            ;   in Loop: Header=BB179_543 Depth=1
	s_or_b32 exec_lo, exec_lo, s14
.LBB179_941:                            ;   in Loop: Header=BB179_543 Depth=1
	s_or_b32 exec_lo, exec_lo, s13
	s_mov_b32 s13, exec_lo
	v_cmpx_lt_u32_e32 0xffffff, v0
	s_cbranch_execz .LBB179_949
; %bb.942:                              ;   in Loop: Header=BB179_543 Depth=1
	v_mov_b32_e32 v11, v6
	v_mov_b32_e32 v24, v12
	v_cmp_ne_u32_sdwa s0, v0, v46 src0_sel:BYTE_3 src1_sel:DWORD
	v_mov_b32_e32 v23, v11
	s_and_saveexec_b32 s14, s0
	s_cbranch_execz .LBB179_948
; %bb.943:                              ;   in Loop: Header=BB179_543 Depth=1
	v_mov_b32_e32 v13, v6
	v_mov_b32_e32 v24, v14
	v_bfe_u32 v99, v0, 24, 7
	s_mov_b32 s15, exec_lo
	v_mov_b32_e32 v23, v13
	v_cmpx_ne_u32_e32 0x7f, v99
	s_cbranch_execz .LBB179_947
; %bb.944:                              ;   in Loop: Header=BB179_543 Depth=1
	v_and_b32_sdwa v5, v0, v49 dst_sel:DWORD dst_unused:UNUSED_PAD src0_sel:BYTE_3 src1_sel:DWORD
	v_lshrrev_b32_e32 v11, 3, v99
	s_mov_b32 s16, exec_lo
	v_cmpx_gt_u32_e32 8, v99
; %bb.945:                              ;   in Loop: Header=BB179_543 Depth=1
	v_ffbh_u32_e32 v11, v5
	v_min_u32_e32 v11, 32, v11
	v_subrev_nc_u32_e32 v13, 28, v11
	v_sub_nc_u32_e32 v11, 29, v11
	v_lshlrev_b64 v[23:24], v13, v[5:6]
	v_and_b32_e32 v5, 7, v23
; %bb.946:                              ;   in Loop: Header=BB179_543 Depth=1
	s_or_b32 exec_lo, exec_lo, s16
	v_lshlrev_b32_sdwa v0, v50, v0 dst_sel:DWORD dst_unused:UNUSED_PAD src0_sel:DWORD src1_sel:BYTE_3
	v_lshlrev_b32_e32 v5, 20, v5
	v_lshl_add_u32 v11, v11, 23, 0x3c000000
	v_mov_b32_e32 v23, v6
	v_and_b32_e32 v0, 0x80000000, v0
	v_or3_b32 v24, v5, v0, v11
.LBB179_947:                            ;   in Loop: Header=BB179_543 Depth=1
	s_or_b32 exec_lo, exec_lo, s15
.LBB179_948:                            ;   in Loop: Header=BB179_543 Depth=1
	s_or_b32 exec_lo, exec_lo, s14
.LBB179_949:                            ;   in Loop: Header=BB179_543 Depth=1
	s_or_b32 exec_lo, exec_lo, s13
	v_or_b32_e32 v0, v20, v18
	v_or_b32_e32 v5, v19, v17
	;; [unrolled: 1-line block ×4, first 2 shown]
	v_mul_f32_e32 v100, s12, v0
	v_mul_f32_e32 v101, s2, v5
	v_mul_f32_e32 v99, s2, v11
	v_mul_f32_e32 v0, s12, v13
	s_and_saveexec_b32 s13, vcc_lo
	s_cbranch_execz .LBB179_951
; %bb.950:                              ;   in Loop: Header=BB179_543 Depth=1
	v_cmp_gt_i32_e64 s0, s28, v56
	v_cndmask_b32_e64 v101, 0, v101, s0
	v_cmp_gt_i32_e64 s0, s28, v58
	v_cndmask_b32_e64 v100, 0, v100, s0
	;; [unrolled: 2-line block ×4, first 2 shown]
.LBB179_951:                            ;   in Loop: Header=BB179_543 Depth=1
	s_or_b32 exec_lo, exec_lo, s13
	global_load_dword v102, v[15:16], off offset:1536
	v_mov_b32_e32 v19, 0
	v_mov_b32_e32 v17, 0
	;; [unrolled: 1-line block ×4, first 2 shown]
	s_waitcnt vmcnt(0)
	v_cmp_ne_u16_sdwa s0, v102, v6 src0_sel:BYTE_0 src1_sel:DWORD
	s_and_saveexec_b32 s13, s0
	s_cbranch_execz .LBB179_959
; %bb.952:                              ;   in Loop: Header=BB179_543 Depth=1
	v_bfrev_b32_e32 v17, 1
	v_mov_b32_e32 v18, 0
	v_cmp_ne_u16_sdwa s0, v102, v46 src0_sel:BYTE_0 src1_sel:DWORD
	s_and_saveexec_b32 s14, s0
	s_cbranch_execz .LBB179_958
; %bb.953:                              ;   in Loop: Header=BB179_543 Depth=1
	v_mov_b32_e32 v17, 0x7f800001
	v_and_b32_e32 v13, 0x7f, v102
	v_mov_b32_e32 v18, 0
	s_mov_b32 s15, exec_lo
	v_cmpx_ne_u32_e32 0x7f, v13
	s_cbranch_execz .LBB179_957
; %bb.954:                              ;   in Loop: Header=BB179_543 Depth=1
	v_and_b32_e32 v5, 7, v102
	v_lshrrev_b32_e32 v11, 3, v13
	s_mov_b32 s16, exec_lo
	v_cmpx_gt_u32_e32 8, v13
; %bb.955:                              ;   in Loop: Header=BB179_543 Depth=1
	v_ffbh_u32_e32 v11, v5
	v_min_u32_e32 v11, 32, v11
	v_subrev_nc_u32_e32 v13, 28, v11
	v_sub_nc_u32_e32 v11, 29, v11
	v_lshlrev_b64 v[17:18], v13, v[5:6]
	v_and_b32_e32 v5, 7, v17
; %bb.956:                              ;   in Loop: Header=BB179_543 Depth=1
	s_or_b32 exec_lo, exec_lo, s16
	v_lshlrev_b32_e32 v13, 24, v102
	v_lshlrev_b32_e32 v5, 20, v5
	v_lshl_add_u32 v11, v11, 23, 0x3c000000
	v_and_b32_e32 v13, 0x80000000, v13
	v_or3_b32 v5, v5, v13, v11
	v_mov_b32_e32 v18, v6
	v_mov_b32_e32 v17, v5
.LBB179_957:                            ;   in Loop: Header=BB179_543 Depth=1
	s_or_b32 exec_lo, exec_lo, s15
.LBB179_958:                            ;   in Loop: Header=BB179_543 Depth=1
	s_or_b32 exec_lo, exec_lo, s14
.LBB179_959:                            ;   in Loop: Header=BB179_543 Depth=1
	s_or_b32 exec_lo, exec_lo, s13
	v_cmp_ne_u16_sdwa s0, v102, v6 src0_sel:BYTE_1 src1_sel:DWORD
	s_and_saveexec_b32 s13, s0
	s_cbranch_execz .LBB179_967
; %bb.960:                              ;   in Loop: Header=BB179_543 Depth=1
	v_mov_b32_e32 v11, v6
	v_mov_b32_e32 v20, v12
	v_cmp_ne_u16_sdwa s0, v102, v46 src0_sel:BYTE_1 src1_sel:DWORD
	v_mov_b32_e32 v19, v11
	s_and_saveexec_b32 s14, s0
	s_cbranch_execz .LBB179_966
; %bb.961:                              ;   in Loop: Header=BB179_543 Depth=1
	v_and_b32_sdwa v5, v47, v102 dst_sel:DWORD dst_unused:UNUSED_PAD src0_sel:DWORD src1_sel:BYTE_1
	v_mov_b32_e32 v13, v6
	v_mov_b32_e32 v20, v14
	s_mov_b32 s15, exec_lo
	v_and_b32_e32 v21, 0x7f, v5
	v_mov_b32_e32 v19, v13
	v_cmpx_ne_u32_e32 0x7f, v21
	s_cbranch_execz .LBB179_965
; %bb.962:                              ;   in Loop: Header=BB179_543 Depth=1
	v_and_b32_e32 v5, 7, v5
	v_lshrrev_b32_e32 v11, 3, v21
	s_mov_b32 s16, exec_lo
	v_cmpx_gt_u32_e32 8, v21
; %bb.963:                              ;   in Loop: Header=BB179_543 Depth=1
	v_ffbh_u32_e32 v11, v5
	v_min_u32_e32 v11, 32, v11
	v_subrev_nc_u32_e32 v13, 28, v11
	v_sub_nc_u32_e32 v11, 29, v11
	v_lshlrev_b64 v[19:20], v13, v[5:6]
	v_and_b32_e32 v5, 7, v19
; %bb.964:                              ;   in Loop: Header=BB179_543 Depth=1
	s_or_b32 exec_lo, exec_lo, s16
	v_lshlrev_b32_e32 v13, 16, v102
	v_lshlrev_b32_e32 v5, 20, v5
	v_lshl_add_u32 v11, v11, 23, 0x3c000000
	v_mov_b32_e32 v19, v6
	v_and_b32_e32 v13, 0x80000000, v13
	v_or3_b32 v20, v5, v13, v11
.LBB179_965:                            ;   in Loop: Header=BB179_543 Depth=1
	s_or_b32 exec_lo, exec_lo, s15
.LBB179_966:                            ;   in Loop: Header=BB179_543 Depth=1
	s_or_b32 exec_lo, exec_lo, s14
.LBB179_967:                            ;   in Loop: Header=BB179_543 Depth=1
	s_or_b32 exec_lo, exec_lo, s13
	v_mov_b32_e32 v23, 0
	v_mov_b32_e32 v21, 0
	v_and_b32_sdwa v5, v102, v48 dst_sel:DWORD dst_unused:UNUSED_PAD src0_sel:WORD_1 src1_sel:DWORD
	v_mov_b32_e32 v24, 0
	v_mov_b32_e32 v22, 0
	s_mov_b32 s13, exec_lo
	v_cmpx_ne_u16_e32 0, v5
	s_cbranch_execz .LBB179_975
; %bb.968:                              ;   in Loop: Header=BB179_543 Depth=1
	v_bfrev_b32_e32 v21, 1
	v_mov_b32_e32 v22, 0
	s_mov_b32 s14, exec_lo
	v_cmpx_ne_u16_e32 0x80, v5
	s_cbranch_execz .LBB179_974
; %bb.969:                              ;   in Loop: Header=BB179_543 Depth=1
	v_mov_b32_e32 v21, 0x7f800001
	v_bfe_u32 v13, v102, 16, 7
	v_mov_b32_e32 v22, 0
	s_mov_b32 s15, exec_lo
	v_cmpx_ne_u32_e32 0x7f, v13
	s_cbranch_execz .LBB179_973
; %bb.970:                              ;   in Loop: Header=BB179_543 Depth=1
	v_and_b32_sdwa v5, v102, v49 dst_sel:DWORD dst_unused:UNUSED_PAD src0_sel:WORD_1 src1_sel:DWORD
	v_lshrrev_b32_e32 v11, 3, v13
	s_mov_b32 s16, exec_lo
	v_cmpx_gt_u32_e32 8, v13
; %bb.971:                              ;   in Loop: Header=BB179_543 Depth=1
	v_ffbh_u32_e32 v11, v5
	v_min_u32_e32 v11, 32, v11
	v_subrev_nc_u32_e32 v13, 28, v11
	v_sub_nc_u32_e32 v11, 29, v11
	v_lshlrev_b64 v[21:22], v13, v[5:6]
	v_and_b32_e32 v5, 7, v21
; %bb.972:                              ;   in Loop: Header=BB179_543 Depth=1
	s_or_b32 exec_lo, exec_lo, s16
	v_lshlrev_b32_sdwa v13, v50, v102 dst_sel:DWORD dst_unused:UNUSED_PAD src0_sel:DWORD src1_sel:WORD_1
	v_lshlrev_b32_e32 v5, 20, v5
	v_lshl_add_u32 v11, v11, 23, 0x3c000000
	v_and_b32_e32 v13, 0x80000000, v13
	v_or3_b32 v5, v5, v13, v11
	v_mov_b32_e32 v22, v6
	v_mov_b32_e32 v21, v5
.LBB179_973:                            ;   in Loop: Header=BB179_543 Depth=1
	s_or_b32 exec_lo, exec_lo, s15
.LBB179_974:                            ;   in Loop: Header=BB179_543 Depth=1
	s_or_b32 exec_lo, exec_lo, s14
.LBB179_975:                            ;   in Loop: Header=BB179_543 Depth=1
	s_or_b32 exec_lo, exec_lo, s13
	s_mov_b32 s13, exec_lo
	v_cmpx_lt_u32_e32 0xffffff, v102
	s_cbranch_execz .LBB179_983
; %bb.976:                              ;   in Loop: Header=BB179_543 Depth=1
	v_mov_b32_e32 v11, v6
	v_mov_b32_e32 v24, v12
	v_cmp_ne_u32_sdwa s0, v102, v46 src0_sel:BYTE_3 src1_sel:DWORD
	v_mov_b32_e32 v23, v11
	s_and_saveexec_b32 s14, s0
	s_cbranch_execz .LBB179_982
; %bb.977:                              ;   in Loop: Header=BB179_543 Depth=1
	v_mov_b32_e32 v13, v6
	v_mov_b32_e32 v24, v14
	v_bfe_u32 v103, v102, 24, 7
	s_mov_b32 s15, exec_lo
	v_mov_b32_e32 v23, v13
	v_cmpx_ne_u32_e32 0x7f, v103
	s_cbranch_execz .LBB179_981
; %bb.978:                              ;   in Loop: Header=BB179_543 Depth=1
	v_and_b32_sdwa v5, v102, v49 dst_sel:DWORD dst_unused:UNUSED_PAD src0_sel:BYTE_3 src1_sel:DWORD
	v_lshrrev_b32_e32 v11, 3, v103
	s_mov_b32 s16, exec_lo
	v_cmpx_gt_u32_e32 8, v103
; %bb.979:                              ;   in Loop: Header=BB179_543 Depth=1
	v_ffbh_u32_e32 v11, v5
	v_min_u32_e32 v11, 32, v11
	v_subrev_nc_u32_e32 v13, 28, v11
	v_sub_nc_u32_e32 v11, 29, v11
	v_lshlrev_b64 v[23:24], v13, v[5:6]
	v_and_b32_e32 v5, 7, v23
; %bb.980:                              ;   in Loop: Header=BB179_543 Depth=1
	s_or_b32 exec_lo, exec_lo, s16
	v_lshlrev_b32_sdwa v13, v50, v102 dst_sel:DWORD dst_unused:UNUSED_PAD src0_sel:DWORD src1_sel:BYTE_3
	v_lshlrev_b32_e32 v5, 20, v5
	v_lshl_add_u32 v11, v11, 23, 0x3c000000
	v_mov_b32_e32 v23, v6
	v_and_b32_e32 v13, 0x80000000, v13
	v_or3_b32 v24, v5, v13, v11
.LBB179_981:                            ;   in Loop: Header=BB179_543 Depth=1
	s_or_b32 exec_lo, exec_lo, s15
.LBB179_982:                            ;   in Loop: Header=BB179_543 Depth=1
	s_or_b32 exec_lo, exec_lo, s14
.LBB179_983:                            ;   in Loop: Header=BB179_543 Depth=1
	s_or_b32 exec_lo, exec_lo, s13
	v_or_b32_e32 v5, v20, v18
	v_or_b32_e32 v11, v19, v17
	v_or_b32_e32 v13, v23, v21
	v_or_b32_e32 v17, v24, v22
	v_mul_f32_e32 v104, s12, v5
	v_mul_f32_e32 v105, s2, v11
	;; [unrolled: 1-line block ×4, first 2 shown]
	s_and_saveexec_b32 s13, vcc_lo
	s_cbranch_execz .LBB179_985
; %bb.984:                              ;   in Loop: Header=BB179_543 Depth=1
	v_cmp_gt_i32_e64 s0, s28, v56
	v_cndmask_b32_e64 v105, 0, v105, s0
	v_cmp_gt_i32_e64 s0, s28, v58
	v_cndmask_b32_e64 v104, 0, v104, s0
	;; [unrolled: 2-line block ×4, first 2 shown]
.LBB179_985:                            ;   in Loop: Header=BB179_543 Depth=1
	s_or_b32 exec_lo, exec_lo, s13
	global_load_dword v106, v[15:16], off offset:1664
	v_mov_b32_e32 v19, 0
	v_mov_b32_e32 v17, 0
	;; [unrolled: 1-line block ×4, first 2 shown]
	s_waitcnt vmcnt(0)
	v_cmp_ne_u16_sdwa s0, v106, v6 src0_sel:BYTE_0 src1_sel:DWORD
	s_and_saveexec_b32 s13, s0
	s_cbranch_execz .LBB179_993
; %bb.986:                              ;   in Loop: Header=BB179_543 Depth=1
	v_bfrev_b32_e32 v17, 1
	v_mov_b32_e32 v18, 0
	v_cmp_ne_u16_sdwa s0, v106, v46 src0_sel:BYTE_0 src1_sel:DWORD
	s_and_saveexec_b32 s14, s0
	s_cbranch_execz .LBB179_992
; %bb.987:                              ;   in Loop: Header=BB179_543 Depth=1
	v_mov_b32_e32 v17, 0x7f800001
	v_and_b32_e32 v13, 0x7f, v106
	v_mov_b32_e32 v18, 0
	s_mov_b32 s15, exec_lo
	v_cmpx_ne_u32_e32 0x7f, v13
	s_cbranch_execz .LBB179_991
; %bb.988:                              ;   in Loop: Header=BB179_543 Depth=1
	v_and_b32_e32 v5, 7, v106
	v_lshrrev_b32_e32 v11, 3, v13
	s_mov_b32 s16, exec_lo
	v_cmpx_gt_u32_e32 8, v13
; %bb.989:                              ;   in Loop: Header=BB179_543 Depth=1
	v_ffbh_u32_e32 v11, v5
	v_min_u32_e32 v11, 32, v11
	v_subrev_nc_u32_e32 v13, 28, v11
	v_sub_nc_u32_e32 v11, 29, v11
	v_lshlrev_b64 v[17:18], v13, v[5:6]
	v_and_b32_e32 v5, 7, v17
; %bb.990:                              ;   in Loop: Header=BB179_543 Depth=1
	s_or_b32 exec_lo, exec_lo, s16
	v_lshlrev_b32_e32 v13, 24, v106
	v_lshlrev_b32_e32 v5, 20, v5
	v_lshl_add_u32 v11, v11, 23, 0x3c000000
	v_and_b32_e32 v13, 0x80000000, v13
	v_or3_b32 v5, v5, v13, v11
	v_mov_b32_e32 v18, v6
	v_mov_b32_e32 v17, v5
.LBB179_991:                            ;   in Loop: Header=BB179_543 Depth=1
	s_or_b32 exec_lo, exec_lo, s15
.LBB179_992:                            ;   in Loop: Header=BB179_543 Depth=1
	s_or_b32 exec_lo, exec_lo, s14
.LBB179_993:                            ;   in Loop: Header=BB179_543 Depth=1
	s_or_b32 exec_lo, exec_lo, s13
	v_cmp_ne_u16_sdwa s0, v106, v6 src0_sel:BYTE_1 src1_sel:DWORD
	s_and_saveexec_b32 s13, s0
	s_cbranch_execz .LBB179_1001
; %bb.994:                              ;   in Loop: Header=BB179_543 Depth=1
	v_mov_b32_e32 v11, v6
	v_mov_b32_e32 v20, v12
	v_cmp_ne_u16_sdwa s0, v106, v46 src0_sel:BYTE_1 src1_sel:DWORD
	v_mov_b32_e32 v19, v11
	s_and_saveexec_b32 s14, s0
	s_cbranch_execz .LBB179_1000
; %bb.995:                              ;   in Loop: Header=BB179_543 Depth=1
	v_and_b32_sdwa v5, v47, v106 dst_sel:DWORD dst_unused:UNUSED_PAD src0_sel:DWORD src1_sel:BYTE_1
	v_mov_b32_e32 v13, v6
	v_mov_b32_e32 v20, v14
	s_mov_b32 s15, exec_lo
	v_and_b32_e32 v21, 0x7f, v5
	v_mov_b32_e32 v19, v13
	v_cmpx_ne_u32_e32 0x7f, v21
	s_cbranch_execz .LBB179_999
; %bb.996:                              ;   in Loop: Header=BB179_543 Depth=1
	v_and_b32_e32 v5, 7, v5
	v_lshrrev_b32_e32 v11, 3, v21
	s_mov_b32 s16, exec_lo
	v_cmpx_gt_u32_e32 8, v21
; %bb.997:                              ;   in Loop: Header=BB179_543 Depth=1
	v_ffbh_u32_e32 v11, v5
	v_min_u32_e32 v11, 32, v11
	v_subrev_nc_u32_e32 v13, 28, v11
	v_sub_nc_u32_e32 v11, 29, v11
	v_lshlrev_b64 v[19:20], v13, v[5:6]
	v_and_b32_e32 v5, 7, v19
; %bb.998:                              ;   in Loop: Header=BB179_543 Depth=1
	s_or_b32 exec_lo, exec_lo, s16
	v_lshlrev_b32_e32 v13, 16, v106
	v_lshlrev_b32_e32 v5, 20, v5
	v_lshl_add_u32 v11, v11, 23, 0x3c000000
	v_mov_b32_e32 v19, v6
	v_and_b32_e32 v13, 0x80000000, v13
	v_or3_b32 v20, v5, v13, v11
.LBB179_999:                            ;   in Loop: Header=BB179_543 Depth=1
	s_or_b32 exec_lo, exec_lo, s15
.LBB179_1000:                           ;   in Loop: Header=BB179_543 Depth=1
	s_or_b32 exec_lo, exec_lo, s14
.LBB179_1001:                           ;   in Loop: Header=BB179_543 Depth=1
	s_or_b32 exec_lo, exec_lo, s13
	v_mov_b32_e32 v23, 0
	v_mov_b32_e32 v21, 0
	v_and_b32_sdwa v5, v106, v48 dst_sel:DWORD dst_unused:UNUSED_PAD src0_sel:WORD_1 src1_sel:DWORD
	v_mov_b32_e32 v24, 0
	v_mov_b32_e32 v22, 0
	s_mov_b32 s13, exec_lo
	v_cmpx_ne_u16_e32 0, v5
	s_cbranch_execz .LBB179_1009
; %bb.1002:                             ;   in Loop: Header=BB179_543 Depth=1
	v_bfrev_b32_e32 v21, 1
	v_mov_b32_e32 v22, 0
	s_mov_b32 s14, exec_lo
	v_cmpx_ne_u16_e32 0x80, v5
	s_cbranch_execz .LBB179_1008
; %bb.1003:                             ;   in Loop: Header=BB179_543 Depth=1
	v_mov_b32_e32 v21, 0x7f800001
	v_bfe_u32 v13, v106, 16, 7
	v_mov_b32_e32 v22, 0
	s_mov_b32 s15, exec_lo
	v_cmpx_ne_u32_e32 0x7f, v13
	s_cbranch_execz .LBB179_1007
; %bb.1004:                             ;   in Loop: Header=BB179_543 Depth=1
	v_and_b32_sdwa v5, v106, v49 dst_sel:DWORD dst_unused:UNUSED_PAD src0_sel:WORD_1 src1_sel:DWORD
	v_lshrrev_b32_e32 v11, 3, v13
	s_mov_b32 s16, exec_lo
	v_cmpx_gt_u32_e32 8, v13
; %bb.1005:                             ;   in Loop: Header=BB179_543 Depth=1
	v_ffbh_u32_e32 v11, v5
	v_min_u32_e32 v11, 32, v11
	v_subrev_nc_u32_e32 v13, 28, v11
	v_sub_nc_u32_e32 v11, 29, v11
	v_lshlrev_b64 v[21:22], v13, v[5:6]
	v_and_b32_e32 v5, 7, v21
; %bb.1006:                             ;   in Loop: Header=BB179_543 Depth=1
	s_or_b32 exec_lo, exec_lo, s16
	v_lshlrev_b32_sdwa v13, v50, v106 dst_sel:DWORD dst_unused:UNUSED_PAD src0_sel:DWORD src1_sel:WORD_1
	v_lshlrev_b32_e32 v5, 20, v5
	v_lshl_add_u32 v11, v11, 23, 0x3c000000
	v_and_b32_e32 v13, 0x80000000, v13
	v_or3_b32 v5, v5, v13, v11
	v_mov_b32_e32 v22, v6
	v_mov_b32_e32 v21, v5
.LBB179_1007:                           ;   in Loop: Header=BB179_543 Depth=1
	s_or_b32 exec_lo, exec_lo, s15
.LBB179_1008:                           ;   in Loop: Header=BB179_543 Depth=1
	s_or_b32 exec_lo, exec_lo, s14
.LBB179_1009:                           ;   in Loop: Header=BB179_543 Depth=1
	s_or_b32 exec_lo, exec_lo, s13
	s_mov_b32 s13, exec_lo
	v_cmpx_lt_u32_e32 0xffffff, v106
	s_cbranch_execz .LBB179_1017
; %bb.1010:                             ;   in Loop: Header=BB179_543 Depth=1
	v_mov_b32_e32 v11, v6
	v_mov_b32_e32 v24, v12
	v_cmp_ne_u32_sdwa s0, v106, v46 src0_sel:BYTE_3 src1_sel:DWORD
	v_mov_b32_e32 v23, v11
	s_and_saveexec_b32 s14, s0
	s_cbranch_execz .LBB179_1016
; %bb.1011:                             ;   in Loop: Header=BB179_543 Depth=1
	v_mov_b32_e32 v13, v6
	v_mov_b32_e32 v24, v14
	v_bfe_u32 v107, v106, 24, 7
	s_mov_b32 s15, exec_lo
	v_mov_b32_e32 v23, v13
	v_cmpx_ne_u32_e32 0x7f, v107
	s_cbranch_execz .LBB179_1015
; %bb.1012:                             ;   in Loop: Header=BB179_543 Depth=1
	v_and_b32_sdwa v5, v106, v49 dst_sel:DWORD dst_unused:UNUSED_PAD src0_sel:BYTE_3 src1_sel:DWORD
	v_lshrrev_b32_e32 v11, 3, v107
	s_mov_b32 s16, exec_lo
	v_cmpx_gt_u32_e32 8, v107
; %bb.1013:                             ;   in Loop: Header=BB179_543 Depth=1
	v_ffbh_u32_e32 v11, v5
	v_min_u32_e32 v11, 32, v11
	v_subrev_nc_u32_e32 v13, 28, v11
	v_sub_nc_u32_e32 v11, 29, v11
	v_lshlrev_b64 v[23:24], v13, v[5:6]
	v_and_b32_e32 v5, 7, v23
; %bb.1014:                             ;   in Loop: Header=BB179_543 Depth=1
	s_or_b32 exec_lo, exec_lo, s16
	v_lshlrev_b32_sdwa v13, v50, v106 dst_sel:DWORD dst_unused:UNUSED_PAD src0_sel:DWORD src1_sel:BYTE_3
	v_lshlrev_b32_e32 v5, 20, v5
	v_lshl_add_u32 v11, v11, 23, 0x3c000000
	v_mov_b32_e32 v23, v6
	v_and_b32_e32 v13, 0x80000000, v13
	v_or3_b32 v24, v5, v13, v11
.LBB179_1015:                           ;   in Loop: Header=BB179_543 Depth=1
	s_or_b32 exec_lo, exec_lo, s15
.LBB179_1016:                           ;   in Loop: Header=BB179_543 Depth=1
	s_or_b32 exec_lo, exec_lo, s14
.LBB179_1017:                           ;   in Loop: Header=BB179_543 Depth=1
	s_or_b32 exec_lo, exec_lo, s13
	v_or_b32_e32 v5, v20, v18
	v_or_b32_e32 v11, v19, v17
	;; [unrolled: 1-line block ×4, first 2 shown]
	v_mul_f32_e32 v108, s12, v5
	v_mul_f32_e32 v109, s2, v11
	;; [unrolled: 1-line block ×4, first 2 shown]
	s_and_saveexec_b32 s13, vcc_lo
	s_cbranch_execz .LBB179_1019
; %bb.1018:                             ;   in Loop: Header=BB179_543 Depth=1
	v_cmp_gt_i32_e64 s0, s28, v56
	v_cndmask_b32_e64 v109, 0, v109, s0
	v_cmp_gt_i32_e64 s0, s28, v58
	v_cndmask_b32_e64 v108, 0, v108, s0
	;; [unrolled: 2-line block ×4, first 2 shown]
.LBB179_1019:                           ;   in Loop: Header=BB179_543 Depth=1
	s_or_b32 exec_lo, exec_lo, s13
	global_load_dword v110, v[15:16], off offset:1792
	v_mov_b32_e32 v19, 0
	v_mov_b32_e32 v17, 0
	;; [unrolled: 1-line block ×4, first 2 shown]
	s_waitcnt vmcnt(0)
	v_cmp_ne_u16_sdwa s0, v110, v6 src0_sel:BYTE_0 src1_sel:DWORD
	s_and_saveexec_b32 s13, s0
	s_cbranch_execz .LBB179_1027
; %bb.1020:                             ;   in Loop: Header=BB179_543 Depth=1
	v_bfrev_b32_e32 v17, 1
	v_mov_b32_e32 v18, 0
	v_cmp_ne_u16_sdwa s0, v110, v46 src0_sel:BYTE_0 src1_sel:DWORD
	s_and_saveexec_b32 s14, s0
	s_cbranch_execz .LBB179_1026
; %bb.1021:                             ;   in Loop: Header=BB179_543 Depth=1
	v_mov_b32_e32 v17, 0x7f800001
	v_and_b32_e32 v13, 0x7f, v110
	v_mov_b32_e32 v18, 0
	s_mov_b32 s15, exec_lo
	v_cmpx_ne_u32_e32 0x7f, v13
	s_cbranch_execz .LBB179_1025
; %bb.1022:                             ;   in Loop: Header=BB179_543 Depth=1
	v_and_b32_e32 v5, 7, v110
	v_lshrrev_b32_e32 v11, 3, v13
	s_mov_b32 s16, exec_lo
	v_cmpx_gt_u32_e32 8, v13
; %bb.1023:                             ;   in Loop: Header=BB179_543 Depth=1
	v_ffbh_u32_e32 v11, v5
	v_min_u32_e32 v11, 32, v11
	v_subrev_nc_u32_e32 v13, 28, v11
	v_sub_nc_u32_e32 v11, 29, v11
	v_lshlrev_b64 v[17:18], v13, v[5:6]
	v_and_b32_e32 v5, 7, v17
; %bb.1024:                             ;   in Loop: Header=BB179_543 Depth=1
	s_or_b32 exec_lo, exec_lo, s16
	v_lshlrev_b32_e32 v13, 24, v110
	v_lshlrev_b32_e32 v5, 20, v5
	v_lshl_add_u32 v11, v11, 23, 0x3c000000
	v_and_b32_e32 v13, 0x80000000, v13
	v_or3_b32 v5, v5, v13, v11
	v_mov_b32_e32 v18, v6
	v_mov_b32_e32 v17, v5
.LBB179_1025:                           ;   in Loop: Header=BB179_543 Depth=1
	s_or_b32 exec_lo, exec_lo, s15
.LBB179_1026:                           ;   in Loop: Header=BB179_543 Depth=1
	s_or_b32 exec_lo, exec_lo, s14
.LBB179_1027:                           ;   in Loop: Header=BB179_543 Depth=1
	s_or_b32 exec_lo, exec_lo, s13
	v_cmp_ne_u16_sdwa s0, v110, v6 src0_sel:BYTE_1 src1_sel:DWORD
	s_and_saveexec_b32 s13, s0
	s_cbranch_execz .LBB179_1035
; %bb.1028:                             ;   in Loop: Header=BB179_543 Depth=1
	v_mov_b32_e32 v11, v6
	v_mov_b32_e32 v20, v12
	v_cmp_ne_u16_sdwa s0, v110, v46 src0_sel:BYTE_1 src1_sel:DWORD
	v_mov_b32_e32 v19, v11
	s_and_saveexec_b32 s14, s0
	s_cbranch_execz .LBB179_1034
; %bb.1029:                             ;   in Loop: Header=BB179_543 Depth=1
	v_and_b32_sdwa v5, v47, v110 dst_sel:DWORD dst_unused:UNUSED_PAD src0_sel:DWORD src1_sel:BYTE_1
	v_mov_b32_e32 v13, v6
	v_mov_b32_e32 v20, v14
	s_mov_b32 s15, exec_lo
	v_and_b32_e32 v21, 0x7f, v5
	v_mov_b32_e32 v19, v13
	v_cmpx_ne_u32_e32 0x7f, v21
	s_cbranch_execz .LBB179_1033
; %bb.1030:                             ;   in Loop: Header=BB179_543 Depth=1
	v_and_b32_e32 v5, 7, v5
	v_lshrrev_b32_e32 v11, 3, v21
	s_mov_b32 s16, exec_lo
	v_cmpx_gt_u32_e32 8, v21
; %bb.1031:                             ;   in Loop: Header=BB179_543 Depth=1
	v_ffbh_u32_e32 v11, v5
	v_min_u32_e32 v11, 32, v11
	v_subrev_nc_u32_e32 v13, 28, v11
	v_sub_nc_u32_e32 v11, 29, v11
	v_lshlrev_b64 v[19:20], v13, v[5:6]
	v_and_b32_e32 v5, 7, v19
; %bb.1032:                             ;   in Loop: Header=BB179_543 Depth=1
	s_or_b32 exec_lo, exec_lo, s16
	v_lshlrev_b32_e32 v13, 16, v110
	v_lshlrev_b32_e32 v5, 20, v5
	v_lshl_add_u32 v11, v11, 23, 0x3c000000
	v_mov_b32_e32 v19, v6
	v_and_b32_e32 v13, 0x80000000, v13
	v_or3_b32 v20, v5, v13, v11
.LBB179_1033:                           ;   in Loop: Header=BB179_543 Depth=1
	s_or_b32 exec_lo, exec_lo, s15
.LBB179_1034:                           ;   in Loop: Header=BB179_543 Depth=1
	s_or_b32 exec_lo, exec_lo, s14
.LBB179_1035:                           ;   in Loop: Header=BB179_543 Depth=1
	s_or_b32 exec_lo, exec_lo, s13
	v_mov_b32_e32 v23, 0
	v_mov_b32_e32 v21, 0
	v_and_b32_sdwa v5, v110, v48 dst_sel:DWORD dst_unused:UNUSED_PAD src0_sel:WORD_1 src1_sel:DWORD
	v_mov_b32_e32 v24, 0
	v_mov_b32_e32 v22, 0
	s_mov_b32 s13, exec_lo
	v_cmpx_ne_u16_e32 0, v5
	s_cbranch_execz .LBB179_1043
; %bb.1036:                             ;   in Loop: Header=BB179_543 Depth=1
	v_bfrev_b32_e32 v21, 1
	v_mov_b32_e32 v22, 0
	s_mov_b32 s14, exec_lo
	v_cmpx_ne_u16_e32 0x80, v5
	s_cbranch_execz .LBB179_1042
; %bb.1037:                             ;   in Loop: Header=BB179_543 Depth=1
	v_mov_b32_e32 v21, 0x7f800001
	v_bfe_u32 v13, v110, 16, 7
	v_mov_b32_e32 v22, 0
	s_mov_b32 s15, exec_lo
	v_cmpx_ne_u32_e32 0x7f, v13
	s_cbranch_execz .LBB179_1041
; %bb.1038:                             ;   in Loop: Header=BB179_543 Depth=1
	v_and_b32_sdwa v5, v110, v49 dst_sel:DWORD dst_unused:UNUSED_PAD src0_sel:WORD_1 src1_sel:DWORD
	v_lshrrev_b32_e32 v11, 3, v13
	s_mov_b32 s16, exec_lo
	v_cmpx_gt_u32_e32 8, v13
; %bb.1039:                             ;   in Loop: Header=BB179_543 Depth=1
	v_ffbh_u32_e32 v11, v5
	v_min_u32_e32 v11, 32, v11
	v_subrev_nc_u32_e32 v13, 28, v11
	v_sub_nc_u32_e32 v11, 29, v11
	v_lshlrev_b64 v[21:22], v13, v[5:6]
	v_and_b32_e32 v5, 7, v21
; %bb.1040:                             ;   in Loop: Header=BB179_543 Depth=1
	s_or_b32 exec_lo, exec_lo, s16
	v_lshlrev_b32_sdwa v13, v50, v110 dst_sel:DWORD dst_unused:UNUSED_PAD src0_sel:DWORD src1_sel:WORD_1
	v_lshlrev_b32_e32 v5, 20, v5
	v_lshl_add_u32 v11, v11, 23, 0x3c000000
	v_and_b32_e32 v13, 0x80000000, v13
	v_or3_b32 v5, v5, v13, v11
	v_mov_b32_e32 v22, v6
	v_mov_b32_e32 v21, v5
.LBB179_1041:                           ;   in Loop: Header=BB179_543 Depth=1
	s_or_b32 exec_lo, exec_lo, s15
.LBB179_1042:                           ;   in Loop: Header=BB179_543 Depth=1
	s_or_b32 exec_lo, exec_lo, s14
.LBB179_1043:                           ;   in Loop: Header=BB179_543 Depth=1
	s_or_b32 exec_lo, exec_lo, s13
	s_mov_b32 s13, exec_lo
	v_cmpx_lt_u32_e32 0xffffff, v110
	s_cbranch_execz .LBB179_1051
; %bb.1044:                             ;   in Loop: Header=BB179_543 Depth=1
	v_mov_b32_e32 v11, v6
	v_mov_b32_e32 v24, v12
	v_cmp_ne_u32_sdwa s0, v110, v46 src0_sel:BYTE_3 src1_sel:DWORD
	v_mov_b32_e32 v23, v11
	s_and_saveexec_b32 s14, s0
	s_cbranch_execz .LBB179_1050
; %bb.1045:                             ;   in Loop: Header=BB179_543 Depth=1
	v_mov_b32_e32 v13, v6
	v_mov_b32_e32 v24, v14
	v_bfe_u32 v111, v110, 24, 7
	s_mov_b32 s15, exec_lo
	v_mov_b32_e32 v23, v13
	v_cmpx_ne_u32_e32 0x7f, v111
	s_cbranch_execz .LBB179_1049
; %bb.1046:                             ;   in Loop: Header=BB179_543 Depth=1
	v_and_b32_sdwa v5, v110, v49 dst_sel:DWORD dst_unused:UNUSED_PAD src0_sel:BYTE_3 src1_sel:DWORD
	v_lshrrev_b32_e32 v11, 3, v111
	s_mov_b32 s16, exec_lo
	v_cmpx_gt_u32_e32 8, v111
; %bb.1047:                             ;   in Loop: Header=BB179_543 Depth=1
	v_ffbh_u32_e32 v11, v5
	v_min_u32_e32 v11, 32, v11
	v_subrev_nc_u32_e32 v13, 28, v11
	v_sub_nc_u32_e32 v11, 29, v11
	v_lshlrev_b64 v[23:24], v13, v[5:6]
	v_and_b32_e32 v5, 7, v23
; %bb.1048:                             ;   in Loop: Header=BB179_543 Depth=1
	s_or_b32 exec_lo, exec_lo, s16
	v_lshlrev_b32_sdwa v13, v50, v110 dst_sel:DWORD dst_unused:UNUSED_PAD src0_sel:DWORD src1_sel:BYTE_3
	v_lshlrev_b32_e32 v5, 20, v5
	v_lshl_add_u32 v11, v11, 23, 0x3c000000
	v_mov_b32_e32 v23, v6
	v_and_b32_e32 v13, 0x80000000, v13
	v_or3_b32 v24, v5, v13, v11
.LBB179_1049:                           ;   in Loop: Header=BB179_543 Depth=1
	s_or_b32 exec_lo, exec_lo, s15
.LBB179_1050:                           ;   in Loop: Header=BB179_543 Depth=1
	s_or_b32 exec_lo, exec_lo, s14
.LBB179_1051:                           ;   in Loop: Header=BB179_543 Depth=1
	s_or_b32 exec_lo, exec_lo, s13
	v_or_b32_e32 v5, v20, v18
	v_or_b32_e32 v11, v19, v17
	;; [unrolled: 1-line block ×4, first 2 shown]
	v_mul_f32_e32 v110, s12, v5
	v_mul_f32_e32 v111, s2, v11
	;; [unrolled: 1-line block ×4, first 2 shown]
	s_and_saveexec_b32 s13, vcc_lo
	s_cbranch_execz .LBB179_1053
; %bb.1052:                             ;   in Loop: Header=BB179_543 Depth=1
	v_cmp_gt_i32_e64 s0, s28, v56
	v_cndmask_b32_e64 v111, 0, v111, s0
	v_cmp_gt_i32_e64 s0, s28, v58
	v_cndmask_b32_e64 v110, 0, v110, s0
	;; [unrolled: 2-line block ×4, first 2 shown]
.LBB179_1053:                           ;   in Loop: Header=BB179_543 Depth=1
	s_or_b32 exec_lo, exec_lo, s13
	global_load_dword v112, v[15:16], off offset:1920
	v_mov_b32_e32 v17, 0
	v_mov_b32_e32 v15, 0
	;; [unrolled: 1-line block ×4, first 2 shown]
	s_waitcnt vmcnt(0)
	v_cmp_ne_u16_sdwa s0, v112, v6 src0_sel:BYTE_0 src1_sel:DWORD
	s_and_saveexec_b32 s13, s0
	s_cbranch_execz .LBB179_1061
; %bb.1054:                             ;   in Loop: Header=BB179_543 Depth=1
	v_bfrev_b32_e32 v15, 1
	v_mov_b32_e32 v16, 0
	v_cmp_ne_u16_sdwa s0, v112, v46 src0_sel:BYTE_0 src1_sel:DWORD
	s_and_saveexec_b32 s14, s0
	s_cbranch_execz .LBB179_1060
; %bb.1055:                             ;   in Loop: Header=BB179_543 Depth=1
	v_mov_b32_e32 v15, 0x7f800001
	v_and_b32_e32 v13, 0x7f, v112
	v_mov_b32_e32 v16, 0
	s_mov_b32 s15, exec_lo
	v_cmpx_ne_u32_e32 0x7f, v13
	s_cbranch_execz .LBB179_1059
; %bb.1056:                             ;   in Loop: Header=BB179_543 Depth=1
	v_and_b32_e32 v5, 7, v112
	v_lshrrev_b32_e32 v11, 3, v13
	s_mov_b32 s16, exec_lo
	v_cmpx_gt_u32_e32 8, v13
; %bb.1057:                             ;   in Loop: Header=BB179_543 Depth=1
	v_ffbh_u32_e32 v11, v5
	v_min_u32_e32 v11, 32, v11
	v_subrev_nc_u32_e32 v13, 28, v11
	v_sub_nc_u32_e32 v11, 29, v11
	v_lshlrev_b64 v[15:16], v13, v[5:6]
	v_and_b32_e32 v5, 7, v15
; %bb.1058:                             ;   in Loop: Header=BB179_543 Depth=1
	s_or_b32 exec_lo, exec_lo, s16
	v_lshlrev_b32_e32 v13, 24, v112
	v_lshlrev_b32_e32 v5, 20, v5
	v_lshl_add_u32 v11, v11, 23, 0x3c000000
	v_and_b32_e32 v13, 0x80000000, v13
	v_or3_b32 v5, v5, v13, v11
	v_mov_b32_e32 v16, v6
	v_mov_b32_e32 v15, v5
.LBB179_1059:                           ;   in Loop: Header=BB179_543 Depth=1
	s_or_b32 exec_lo, exec_lo, s15
.LBB179_1060:                           ;   in Loop: Header=BB179_543 Depth=1
	s_or_b32 exec_lo, exec_lo, s14
.LBB179_1061:                           ;   in Loop: Header=BB179_543 Depth=1
	s_or_b32 exec_lo, exec_lo, s13
	v_cmp_ne_u16_sdwa s0, v112, v6 src0_sel:BYTE_1 src1_sel:DWORD
	s_and_saveexec_b32 s13, s0
	s_cbranch_execz .LBB179_1069
; %bb.1062:                             ;   in Loop: Header=BB179_543 Depth=1
	v_mov_b32_e32 v11, v6
	v_mov_b32_e32 v18, v12
	v_cmp_ne_u16_sdwa s0, v112, v46 src0_sel:BYTE_1 src1_sel:DWORD
	v_mov_b32_e32 v17, v11
	s_and_saveexec_b32 s14, s0
	s_cbranch_execz .LBB179_1068
; %bb.1063:                             ;   in Loop: Header=BB179_543 Depth=1
	v_and_b32_sdwa v5, v47, v112 dst_sel:DWORD dst_unused:UNUSED_PAD src0_sel:DWORD src1_sel:BYTE_1
	v_mov_b32_e32 v13, v6
	v_mov_b32_e32 v18, v14
	s_mov_b32 s15, exec_lo
	v_and_b32_e32 v19, 0x7f, v5
	v_mov_b32_e32 v17, v13
	v_cmpx_ne_u32_e32 0x7f, v19
	s_cbranch_execz .LBB179_1067
; %bb.1064:                             ;   in Loop: Header=BB179_543 Depth=1
	v_and_b32_e32 v5, 7, v5
	v_lshrrev_b32_e32 v11, 3, v19
	s_mov_b32 s16, exec_lo
	v_cmpx_gt_u32_e32 8, v19
; %bb.1065:                             ;   in Loop: Header=BB179_543 Depth=1
	v_ffbh_u32_e32 v11, v5
	v_min_u32_e32 v11, 32, v11
	v_subrev_nc_u32_e32 v13, 28, v11
	v_sub_nc_u32_e32 v11, 29, v11
	v_lshlrev_b64 v[17:18], v13, v[5:6]
	v_and_b32_e32 v5, 7, v17
; %bb.1066:                             ;   in Loop: Header=BB179_543 Depth=1
	s_or_b32 exec_lo, exec_lo, s16
	v_lshlrev_b32_e32 v13, 16, v112
	v_lshlrev_b32_e32 v5, 20, v5
	v_lshl_add_u32 v11, v11, 23, 0x3c000000
	v_mov_b32_e32 v17, v6
	v_and_b32_e32 v13, 0x80000000, v13
	v_or3_b32 v18, v5, v13, v11
.LBB179_1067:                           ;   in Loop: Header=BB179_543 Depth=1
	s_or_b32 exec_lo, exec_lo, s15
.LBB179_1068:                           ;   in Loop: Header=BB179_543 Depth=1
	s_or_b32 exec_lo, exec_lo, s14
.LBB179_1069:                           ;   in Loop: Header=BB179_543 Depth=1
	s_or_b32 exec_lo, exec_lo, s13
	v_mov_b32_e32 v21, 0
	v_mov_b32_e32 v19, 0
	v_and_b32_sdwa v5, v112, v48 dst_sel:DWORD dst_unused:UNUSED_PAD src0_sel:WORD_1 src1_sel:DWORD
	v_mov_b32_e32 v22, 0
	v_mov_b32_e32 v20, 0
	s_mov_b32 s13, exec_lo
	v_cmpx_ne_u16_e32 0, v5
	s_cbranch_execz .LBB179_1077
; %bb.1070:                             ;   in Loop: Header=BB179_543 Depth=1
	v_bfrev_b32_e32 v19, 1
	v_mov_b32_e32 v20, 0
	s_mov_b32 s14, exec_lo
	v_cmpx_ne_u16_e32 0x80, v5
	s_cbranch_execz .LBB179_1076
; %bb.1071:                             ;   in Loop: Header=BB179_543 Depth=1
	v_mov_b32_e32 v19, 0x7f800001
	v_bfe_u32 v13, v112, 16, 7
	v_mov_b32_e32 v20, 0
	s_mov_b32 s15, exec_lo
	v_cmpx_ne_u32_e32 0x7f, v13
	s_cbranch_execz .LBB179_1075
; %bb.1072:                             ;   in Loop: Header=BB179_543 Depth=1
	v_and_b32_sdwa v5, v112, v49 dst_sel:DWORD dst_unused:UNUSED_PAD src0_sel:WORD_1 src1_sel:DWORD
	v_lshrrev_b32_e32 v11, 3, v13
	s_mov_b32 s16, exec_lo
	v_cmpx_gt_u32_e32 8, v13
; %bb.1073:                             ;   in Loop: Header=BB179_543 Depth=1
	v_ffbh_u32_e32 v11, v5
	v_min_u32_e32 v11, 32, v11
	v_subrev_nc_u32_e32 v13, 28, v11
	v_sub_nc_u32_e32 v11, 29, v11
	v_lshlrev_b64 v[19:20], v13, v[5:6]
	v_and_b32_e32 v5, 7, v19
; %bb.1074:                             ;   in Loop: Header=BB179_543 Depth=1
	s_or_b32 exec_lo, exec_lo, s16
	v_lshlrev_b32_sdwa v13, v50, v112 dst_sel:DWORD dst_unused:UNUSED_PAD src0_sel:DWORD src1_sel:WORD_1
	v_lshlrev_b32_e32 v5, 20, v5
	v_lshl_add_u32 v11, v11, 23, 0x3c000000
	v_and_b32_e32 v13, 0x80000000, v13
	v_or3_b32 v5, v5, v13, v11
	v_mov_b32_e32 v20, v6
	v_mov_b32_e32 v19, v5
.LBB179_1075:                           ;   in Loop: Header=BB179_543 Depth=1
	s_or_b32 exec_lo, exec_lo, s15
.LBB179_1076:                           ;   in Loop: Header=BB179_543 Depth=1
	s_or_b32 exec_lo, exec_lo, s14
.LBB179_1077:                           ;   in Loop: Header=BB179_543 Depth=1
	s_or_b32 exec_lo, exec_lo, s13
	s_mov_b32 s13, exec_lo
	v_cmpx_lt_u32_e32 0xffffff, v112
	s_cbranch_execz .LBB179_1085
; %bb.1078:                             ;   in Loop: Header=BB179_543 Depth=1
	v_mov_b32_e32 v11, v6
	v_mov_b32_e32 v22, v12
	v_cmp_ne_u32_sdwa s0, v112, v46 src0_sel:BYTE_3 src1_sel:DWORD
	v_mov_b32_e32 v21, v11
	s_and_saveexec_b32 s14, s0
	s_cbranch_execz .LBB179_1084
; %bb.1079:                             ;   in Loop: Header=BB179_543 Depth=1
	v_mov_b32_e32 v13, v6
	v_mov_b32_e32 v22, v14
	v_bfe_u32 v113, v112, 24, 7
	s_mov_b32 s15, exec_lo
	v_mov_b32_e32 v21, v13
	v_cmpx_ne_u32_e32 0x7f, v113
	s_cbranch_execz .LBB179_1083
; %bb.1080:                             ;   in Loop: Header=BB179_543 Depth=1
	v_and_b32_sdwa v5, v112, v49 dst_sel:DWORD dst_unused:UNUSED_PAD src0_sel:BYTE_3 src1_sel:DWORD
	v_lshrrev_b32_e32 v11, 3, v113
	s_mov_b32 s16, exec_lo
	v_cmpx_gt_u32_e32 8, v113
; %bb.1081:                             ;   in Loop: Header=BB179_543 Depth=1
	v_ffbh_u32_e32 v11, v5
	v_min_u32_e32 v11, 32, v11
	v_subrev_nc_u32_e32 v13, 28, v11
	v_sub_nc_u32_e32 v11, 29, v11
	v_lshlrev_b64 v[21:22], v13, v[5:6]
	v_and_b32_e32 v5, 7, v21
; %bb.1082:                             ;   in Loop: Header=BB179_543 Depth=1
	s_or_b32 exec_lo, exec_lo, s16
	v_lshlrev_b32_sdwa v13, v50, v112 dst_sel:DWORD dst_unused:UNUSED_PAD src0_sel:DWORD src1_sel:BYTE_3
	v_lshlrev_b32_e32 v5, 20, v5
	v_lshl_add_u32 v11, v11, 23, 0x3c000000
	v_mov_b32_e32 v21, v6
	v_and_b32_e32 v13, 0x80000000, v13
	v_or3_b32 v22, v5, v13, v11
.LBB179_1083:                           ;   in Loop: Header=BB179_543 Depth=1
	s_or_b32 exec_lo, exec_lo, s15
.LBB179_1084:                           ;   in Loop: Header=BB179_543 Depth=1
	s_or_b32 exec_lo, exec_lo, s14
.LBB179_1085:                           ;   in Loop: Header=BB179_543 Depth=1
	s_or_b32 exec_lo, exec_lo, s13
	v_or_b32_e32 v5, v18, v16
	v_or_b32_e32 v11, v17, v15
	;; [unrolled: 1-line block ×4, first 2 shown]
	v_mul_f32_e32 v13, s12, v5
	v_mul_f32_e32 v15, s2, v11
	;; [unrolled: 1-line block ×4, first 2 shown]
	s_and_saveexec_b32 s0, vcc_lo
	s_cbranch_execz .LBB179_542
; %bb.1086:                             ;   in Loop: Header=BB179_543 Depth=1
	v_cmp_gt_i32_e32 vcc_lo, s28, v56
	v_cndmask_b32_e32 v15, 0, v15, vcc_lo
	v_cmp_gt_i32_e32 vcc_lo, s28, v58
	v_cndmask_b32_e32 v13, 0, v13, vcc_lo
	;; [unrolled: 2-line block ×4, first 2 shown]
	s_branch .LBB179_542
.LBB179_1087:
	s_or_b32 exec_lo, exec_lo, s5
	v_mov_b32_e32 v44, v114
	v_mov_b32_e32 v87, v115
.LBB179_1088:
	s_or_b32 exec_lo, exec_lo, s1
	ds_bpermute_b32 v0, v26, v41
	ds_bpermute_b32 v1, v26, v43
	ds_bpermute_b32 v2, v26, v42
	ds_bpermute_b32 v3, v26, v40
	ds_bpermute_b32 v4, v26, v39
	ds_bpermute_b32 v5, v26, v38
	ds_bpermute_b32 v6, v26, v37
	ds_bpermute_b32 v7, v26, v36
	ds_bpermute_b32 v8, v26, v35
	ds_bpermute_b32 v9, v26, v34
	ds_bpermute_b32 v10, v26, v33
	ds_bpermute_b32 v11, v26, v32
	ds_bpermute_b32 v12, v26, v31
	ds_bpermute_b32 v13, v26, v30
	ds_bpermute_b32 v14, v26, v29
	ds_bpermute_b32 v15, v26, v28
	v_lshrrev_b32_e32 v16, 1, v25
	v_and_b32_e32 v19, 0x3c1, v44
	v_lshlrev_b32_e32 v18, 10, v87
	s_mov_b32 s0, exec_lo
	s_waitcnt lgkmcnt(15)
	v_add_f32_e32 v0, v41, v0
	s_waitcnt lgkmcnt(14)
	v_add_f32_e32 v1, v43, v1
	;; [unrolled: 2-line block ×16, first 2 shown]
	v_lshl_add_u32 v17, v16, 2, 0x420
	s_barrier
	buffer_gl0_inv
	v_cmpx_eq_u32_e32 64, v19
	s_cbranch_execz .LBB179_1090
; %bb.1089:
	v_add_nc_u32_e32 v19, v17, v18
	v_add_nc_u32_e32 v20, 0xfffff800, v19
	;; [unrolled: 1-line block ×7, first 2 shown]
	ds_write_b32 v20, v0
	ds_write_b32 v21, v1
	ds_write_b32 v22, v2
	ds_write_b32 v23, v3
	ds_write_b32 v24, v4
	ds_write_b32 v25, v5
	v_add_nc_u32_e32 v20, 0xfffff980, v19
	v_add_nc_u32_e32 v21, 0xfffff9c0, v19
	;; [unrolled: 1-line block ×5, first 2 shown]
	ds_write_b32 v20, v6
	ds_write_b32 v21, v7
	;; [unrolled: 1-line block ×5, first 2 shown]
	v_add_nc_u32_e32 v20, 0xfffffac0, v19
	v_add_nc_u32_e32 v21, 0xfffffb00, v19
	;; [unrolled: 1-line block ×5, first 2 shown]
	ds_write_b32 v20, v11
	ds_write_b32 v21, v12
	ds_write_b32 v22, v13
	ds_write_b32 v23, v14
	ds_write_b32 v19, v15
.LBB179_1090:
	s_or_b32 exec_lo, exec_lo, s0
	v_lshlrev_b32_e32 v16, 2, v16
	s_mov_b32 s1, exec_lo
	v_cmp_eq_u32_e32 vcc_lo, 0, v27
	s_waitcnt lgkmcnt(0)
	s_barrier
	v_add3_u32 v16, 0x420, v18, v16
	buffer_gl0_inv
	v_cmpx_gt_u32_e32 64, v44
	s_cbranch_execz .LBB179_1109
; %bb.1091:
	s_and_saveexec_b32 s0, vcc_lo
	s_cbranch_execnz .LBB179_1133
; %bb.1092:
	s_or_b32 exec_lo, exec_lo, s0
	s_and_saveexec_b32 s0, vcc_lo
	s_cbranch_execnz .LBB179_1134
.LBB179_1093:
	s_or_b32 exec_lo, exec_lo, s0
	s_and_saveexec_b32 s0, vcc_lo
	s_cbranch_execnz .LBB179_1135
.LBB179_1094:
	s_or_b32 exec_lo, exec_lo, s0
	s_and_saveexec_b32 s0, vcc_lo
	s_cbranch_execnz .LBB179_1136
.LBB179_1095:
	s_or_b32 exec_lo, exec_lo, s0
	s_and_saveexec_b32 s0, vcc_lo
	s_cbranch_execnz .LBB179_1137
.LBB179_1096:
	s_or_b32 exec_lo, exec_lo, s0
	s_and_saveexec_b32 s0, vcc_lo
	s_cbranch_execnz .LBB179_1138
.LBB179_1097:
	s_or_b32 exec_lo, exec_lo, s0
	s_and_saveexec_b32 s0, vcc_lo
	s_cbranch_execnz .LBB179_1139
.LBB179_1098:
	s_or_b32 exec_lo, exec_lo, s0
	s_and_saveexec_b32 s0, vcc_lo
	s_cbranch_execnz .LBB179_1140
.LBB179_1099:
	s_or_b32 exec_lo, exec_lo, s0
	s_and_saveexec_b32 s0, vcc_lo
	s_cbranch_execnz .LBB179_1141
.LBB179_1100:
	s_or_b32 exec_lo, exec_lo, s0
	s_and_saveexec_b32 s0, vcc_lo
	s_cbranch_execnz .LBB179_1142
.LBB179_1101:
	s_or_b32 exec_lo, exec_lo, s0
	s_and_saveexec_b32 s0, vcc_lo
	s_cbranch_execnz .LBB179_1143
.LBB179_1102:
	s_or_b32 exec_lo, exec_lo, s0
	s_and_saveexec_b32 s0, vcc_lo
	s_cbranch_execnz .LBB179_1144
.LBB179_1103:
	s_or_b32 exec_lo, exec_lo, s0
	s_and_saveexec_b32 s0, vcc_lo
	s_cbranch_execnz .LBB179_1145
.LBB179_1104:
	s_or_b32 exec_lo, exec_lo, s0
	s_and_saveexec_b32 s0, vcc_lo
	s_cbranch_execnz .LBB179_1146
.LBB179_1105:
	s_or_b32 exec_lo, exec_lo, s0
	s_and_saveexec_b32 s0, vcc_lo
	s_cbranch_execnz .LBB179_1147
.LBB179_1106:
	s_or_b32 exec_lo, exec_lo, s0
	s_and_saveexec_b32 s0, vcc_lo
	s_cbranch_execz .LBB179_1108
.LBB179_1107:
	ds_read_b32 v18, v16 offset:960
	s_waitcnt lgkmcnt(0)
	v_add_f32_e32 v15, v15, v18
.LBB179_1108:
	s_or_b32 exec_lo, exec_lo, s0
.LBB179_1109:
	s_or_b32 exec_lo, exec_lo, s1
	v_and_b32_e32 v18, 0x3e1, v44
	s_mov_b32 s1, exec_lo
	s_barrier
	buffer_gl0_inv
	v_cmpx_eq_u32_e32 32, v18
	s_cbranch_execz .LBB179_1111
; %bb.1110:
	ds_write2_b32 v17, v0, v1 offset1:16
	ds_write2_b32 v17, v2, v3 offset0:32 offset1:48
	ds_write2_b32 v17, v4, v5 offset0:64 offset1:80
	;; [unrolled: 1-line block ×7, first 2 shown]
.LBB179_1111:
	s_or_b32 exec_lo, exec_lo, s1
	s_mov_b32 s1, exec_lo
	s_waitcnt lgkmcnt(0)
	s_barrier
	buffer_gl0_inv
	v_cmpx_gt_u32_e32 32, v44
	s_cbranch_execz .LBB179_1130
; %bb.1112:
	s_and_saveexec_b32 s0, vcc_lo
	s_cbranch_execnz .LBB179_1148
; %bb.1113:
	s_or_b32 exec_lo, exec_lo, s0
	s_and_saveexec_b32 s0, vcc_lo
	s_cbranch_execnz .LBB179_1149
.LBB179_1114:
	s_or_b32 exec_lo, exec_lo, s0
	s_and_saveexec_b32 s0, vcc_lo
	s_cbranch_execnz .LBB179_1150
.LBB179_1115:
	s_or_b32 exec_lo, exec_lo, s0
	s_and_saveexec_b32 s0, vcc_lo
	s_cbranch_execnz .LBB179_1151
.LBB179_1116:
	s_or_b32 exec_lo, exec_lo, s0
	s_and_saveexec_b32 s0, vcc_lo
	s_cbranch_execnz .LBB179_1152
.LBB179_1117:
	s_or_b32 exec_lo, exec_lo, s0
	s_and_saveexec_b32 s0, vcc_lo
	s_cbranch_execnz .LBB179_1153
.LBB179_1118:
	s_or_b32 exec_lo, exec_lo, s0
	s_and_saveexec_b32 s0, vcc_lo
	s_cbranch_execnz .LBB179_1154
.LBB179_1119:
	s_or_b32 exec_lo, exec_lo, s0
	s_and_saveexec_b32 s0, vcc_lo
	s_cbranch_execnz .LBB179_1155
.LBB179_1120:
	s_or_b32 exec_lo, exec_lo, s0
	s_and_saveexec_b32 s0, vcc_lo
	s_cbranch_execnz .LBB179_1156
.LBB179_1121:
	s_or_b32 exec_lo, exec_lo, s0
	s_and_saveexec_b32 s0, vcc_lo
	s_cbranch_execnz .LBB179_1157
.LBB179_1122:
	s_or_b32 exec_lo, exec_lo, s0
	s_and_saveexec_b32 s0, vcc_lo
	s_cbranch_execnz .LBB179_1158
.LBB179_1123:
	s_or_b32 exec_lo, exec_lo, s0
	s_and_saveexec_b32 s0, vcc_lo
	s_cbranch_execnz .LBB179_1159
.LBB179_1124:
	s_or_b32 exec_lo, exec_lo, s0
	s_and_saveexec_b32 s0, vcc_lo
	s_cbranch_execnz .LBB179_1160
.LBB179_1125:
	s_or_b32 exec_lo, exec_lo, s0
	s_and_saveexec_b32 s0, vcc_lo
	s_cbranch_execnz .LBB179_1161
.LBB179_1126:
	s_or_b32 exec_lo, exec_lo, s0
	s_and_saveexec_b32 s0, vcc_lo
	s_cbranch_execnz .LBB179_1162
.LBB179_1127:
	s_or_b32 exec_lo, exec_lo, s0
	s_and_saveexec_b32 s0, vcc_lo
	s_cbranch_execz .LBB179_1129
.LBB179_1128:
	ds_read_b32 v16, v16 offset:960
	s_waitcnt lgkmcnt(0)
	v_add_f32_e32 v15, v15, v16
.LBB179_1129:
	s_or_b32 exec_lo, exec_lo, s0
.LBB179_1130:
	s_or_b32 exec_lo, exec_lo, s1
	s_barrier
	buffer_gl0_inv
	s_mov_b32 s0, exec_lo
	v_cmpx_eq_u32_e32 0, v18
	s_cbranch_execz .LBB179_1132
; %bb.1131:
	s_mul_i32 s0, s10, s11
	s_mul_i32 s2, s11, s6
	;; [unrolled: 1-line block ×3, first 2 shown]
	v_lshlrev_b32_e32 v16, 1, v44
	s_lshl_b32 s0, s0, 8
	s_ashr_i32 s1, s0, 31
	s_lshl_b64 s[0:1], s[0:1], 2
	s_add_u32 s4, s20, s0
	s_addc_u32 s5, s21, s1
	s_ashr_i32 s3, s2, 31
	s_lshl_b64 s[0:1], s[2:3], 2
	s_add_u32 s2, s4, s0
	s_addc_u32 s3, s5, s1
	s_lshl_b32 s0, s8, 8
	s_ashr_i32 s1, s0, 31
	s_lshl_b64 s[0:1], s[0:1], 2
	s_add_u32 s0, s2, s0
	s_addc_u32 s1, s3, s1
	global_store_dword v16, v0, s[0:1]
	global_store_dword v16, v1, s[0:1] offset:64
	global_store_dword v16, v2, s[0:1] offset:128
	;; [unrolled: 1-line block ×15, first 2 shown]
.LBB179_1132:
	s_endpgm
.LBB179_1133:
	ds_read_b32 v18, v16
	s_waitcnt lgkmcnt(0)
	v_add_f32_e32 v0, v0, v18
	s_or_b32 exec_lo, exec_lo, s0
	s_and_saveexec_b32 s0, vcc_lo
	s_cbranch_execz .LBB179_1093
.LBB179_1134:
	ds_read_b32 v18, v16 offset:64
	s_waitcnt lgkmcnt(0)
	v_add_f32_e32 v1, v1, v18
	s_or_b32 exec_lo, exec_lo, s0
	s_and_saveexec_b32 s0, vcc_lo
	s_cbranch_execz .LBB179_1094
.LBB179_1135:
	ds_read_b32 v18, v16 offset:128
	s_waitcnt lgkmcnt(0)
	v_add_f32_e32 v2, v2, v18
	s_or_b32 exec_lo, exec_lo, s0
	s_and_saveexec_b32 s0, vcc_lo
	s_cbranch_execz .LBB179_1095
.LBB179_1136:
	ds_read_b32 v18, v16 offset:192
	s_waitcnt lgkmcnt(0)
	v_add_f32_e32 v3, v3, v18
	s_or_b32 exec_lo, exec_lo, s0
	s_and_saveexec_b32 s0, vcc_lo
	s_cbranch_execz .LBB179_1096
.LBB179_1137:
	ds_read_b32 v18, v16 offset:256
	s_waitcnt lgkmcnt(0)
	v_add_f32_e32 v4, v4, v18
	s_or_b32 exec_lo, exec_lo, s0
	s_and_saveexec_b32 s0, vcc_lo
	s_cbranch_execz .LBB179_1097
.LBB179_1138:
	ds_read_b32 v18, v16 offset:320
	s_waitcnt lgkmcnt(0)
	v_add_f32_e32 v5, v5, v18
	s_or_b32 exec_lo, exec_lo, s0
	s_and_saveexec_b32 s0, vcc_lo
	s_cbranch_execz .LBB179_1098
.LBB179_1139:
	ds_read_b32 v18, v16 offset:384
	s_waitcnt lgkmcnt(0)
	v_add_f32_e32 v6, v6, v18
	s_or_b32 exec_lo, exec_lo, s0
	s_and_saveexec_b32 s0, vcc_lo
	s_cbranch_execz .LBB179_1099
.LBB179_1140:
	ds_read_b32 v18, v16 offset:448
	s_waitcnt lgkmcnt(0)
	v_add_f32_e32 v7, v7, v18
	s_or_b32 exec_lo, exec_lo, s0
	s_and_saveexec_b32 s0, vcc_lo
	s_cbranch_execz .LBB179_1100
.LBB179_1141:
	ds_read_b32 v18, v16 offset:512
	s_waitcnt lgkmcnt(0)
	v_add_f32_e32 v8, v8, v18
	s_or_b32 exec_lo, exec_lo, s0
	s_and_saveexec_b32 s0, vcc_lo
	s_cbranch_execz .LBB179_1101
.LBB179_1142:
	ds_read_b32 v18, v16 offset:576
	s_waitcnt lgkmcnt(0)
	v_add_f32_e32 v9, v9, v18
	s_or_b32 exec_lo, exec_lo, s0
	s_and_saveexec_b32 s0, vcc_lo
	s_cbranch_execz .LBB179_1102
.LBB179_1143:
	ds_read_b32 v18, v16 offset:640
	s_waitcnt lgkmcnt(0)
	v_add_f32_e32 v10, v10, v18
	s_or_b32 exec_lo, exec_lo, s0
	s_and_saveexec_b32 s0, vcc_lo
	s_cbranch_execz .LBB179_1103
.LBB179_1144:
	ds_read_b32 v18, v16 offset:704
	s_waitcnt lgkmcnt(0)
	v_add_f32_e32 v11, v11, v18
	s_or_b32 exec_lo, exec_lo, s0
	s_and_saveexec_b32 s0, vcc_lo
	s_cbranch_execz .LBB179_1104
.LBB179_1145:
	ds_read_b32 v18, v16 offset:768
	s_waitcnt lgkmcnt(0)
	v_add_f32_e32 v12, v12, v18
	s_or_b32 exec_lo, exec_lo, s0
	s_and_saveexec_b32 s0, vcc_lo
	s_cbranch_execz .LBB179_1105
.LBB179_1146:
	ds_read_b32 v18, v16 offset:832
	s_waitcnt lgkmcnt(0)
	v_add_f32_e32 v13, v13, v18
	s_or_b32 exec_lo, exec_lo, s0
	s_and_saveexec_b32 s0, vcc_lo
	s_cbranch_execz .LBB179_1106
.LBB179_1147:
	ds_read_b32 v18, v16 offset:896
	s_waitcnt lgkmcnt(0)
	v_add_f32_e32 v14, v14, v18
	s_or_b32 exec_lo, exec_lo, s0
	s_and_saveexec_b32 s0, vcc_lo
	s_cbranch_execnz .LBB179_1107
	s_branch .LBB179_1108
.LBB179_1148:
	ds_read_b32 v17, v16
	s_waitcnt lgkmcnt(0)
	v_add_f32_e32 v0, v0, v17
	s_or_b32 exec_lo, exec_lo, s0
	s_and_saveexec_b32 s0, vcc_lo
	s_cbranch_execz .LBB179_1114
.LBB179_1149:
	ds_read_b32 v17, v16 offset:64
	s_waitcnt lgkmcnt(0)
	v_add_f32_e32 v1, v1, v17
	s_or_b32 exec_lo, exec_lo, s0
	s_and_saveexec_b32 s0, vcc_lo
	s_cbranch_execz .LBB179_1115
.LBB179_1150:
	ds_read_b32 v17, v16 offset:128
	s_waitcnt lgkmcnt(0)
	v_add_f32_e32 v2, v2, v17
	s_or_b32 exec_lo, exec_lo, s0
	s_and_saveexec_b32 s0, vcc_lo
	s_cbranch_execz .LBB179_1116
.LBB179_1151:
	ds_read_b32 v17, v16 offset:192
	s_waitcnt lgkmcnt(0)
	v_add_f32_e32 v3, v3, v17
	s_or_b32 exec_lo, exec_lo, s0
	s_and_saveexec_b32 s0, vcc_lo
	s_cbranch_execz .LBB179_1117
.LBB179_1152:
	ds_read_b32 v17, v16 offset:256
	s_waitcnt lgkmcnt(0)
	v_add_f32_e32 v4, v4, v17
	s_or_b32 exec_lo, exec_lo, s0
	s_and_saveexec_b32 s0, vcc_lo
	s_cbranch_execz .LBB179_1118
.LBB179_1153:
	ds_read_b32 v17, v16 offset:320
	s_waitcnt lgkmcnt(0)
	v_add_f32_e32 v5, v5, v17
	s_or_b32 exec_lo, exec_lo, s0
	s_and_saveexec_b32 s0, vcc_lo
	s_cbranch_execz .LBB179_1119
.LBB179_1154:
	ds_read_b32 v17, v16 offset:384
	s_waitcnt lgkmcnt(0)
	v_add_f32_e32 v6, v6, v17
	s_or_b32 exec_lo, exec_lo, s0
	s_and_saveexec_b32 s0, vcc_lo
	s_cbranch_execz .LBB179_1120
.LBB179_1155:
	ds_read_b32 v17, v16 offset:448
	s_waitcnt lgkmcnt(0)
	v_add_f32_e32 v7, v7, v17
	s_or_b32 exec_lo, exec_lo, s0
	s_and_saveexec_b32 s0, vcc_lo
	s_cbranch_execz .LBB179_1121
.LBB179_1156:
	ds_read_b32 v17, v16 offset:512
	s_waitcnt lgkmcnt(0)
	v_add_f32_e32 v8, v8, v17
	s_or_b32 exec_lo, exec_lo, s0
	s_and_saveexec_b32 s0, vcc_lo
	s_cbranch_execz .LBB179_1122
.LBB179_1157:
	ds_read_b32 v17, v16 offset:576
	s_waitcnt lgkmcnt(0)
	v_add_f32_e32 v9, v9, v17
	s_or_b32 exec_lo, exec_lo, s0
	s_and_saveexec_b32 s0, vcc_lo
	s_cbranch_execz .LBB179_1123
.LBB179_1158:
	ds_read_b32 v17, v16 offset:640
	s_waitcnt lgkmcnt(0)
	v_add_f32_e32 v10, v10, v17
	s_or_b32 exec_lo, exec_lo, s0
	s_and_saveexec_b32 s0, vcc_lo
	s_cbranch_execz .LBB179_1124
.LBB179_1159:
	ds_read_b32 v17, v16 offset:704
	s_waitcnt lgkmcnt(0)
	v_add_f32_e32 v11, v11, v17
	s_or_b32 exec_lo, exec_lo, s0
	s_and_saveexec_b32 s0, vcc_lo
	s_cbranch_execz .LBB179_1125
.LBB179_1160:
	ds_read_b32 v17, v16 offset:768
	s_waitcnt lgkmcnt(0)
	v_add_f32_e32 v12, v12, v17
	s_or_b32 exec_lo, exec_lo, s0
	s_and_saveexec_b32 s0, vcc_lo
	s_cbranch_execz .LBB179_1126
.LBB179_1161:
	ds_read_b32 v17, v16 offset:832
	s_waitcnt lgkmcnt(0)
	v_add_f32_e32 v13, v13, v17
	s_or_b32 exec_lo, exec_lo, s0
	s_and_saveexec_b32 s0, vcc_lo
	s_cbranch_execz .LBB179_1127
.LBB179_1162:
	ds_read_b32 v17, v16 offset:896
	s_waitcnt lgkmcnt(0)
	v_add_f32_e32 v14, v14, v17
	s_or_b32 exec_lo, exec_lo, s0
	s_and_saveexec_b32 s0, vcc_lo
	s_cbranch_execnz .LBB179_1128
	s_branch .LBB179_1129
	.section	.rodata,"a",@progbits
	.p2align	6, 0x0
	.amdhsa_kernel _ZN4vllm25paged_attention_v1_kernelIfhLi256ELi8ELi128ELNS_18Fp8KVCacheDataTypeE1ELb0EEEvPT_PKS2_PKT0_S8_ifPKiSA_iPKfiiiSC_SC_iiiii
		.amdhsa_group_segment_fixed_size 1056
		.amdhsa_private_segment_fixed_size 100
		.amdhsa_kernarg_size 384
		.amdhsa_user_sgpr_count 6
		.amdhsa_user_sgpr_private_segment_buffer 1
		.amdhsa_user_sgpr_dispatch_ptr 0
		.amdhsa_user_sgpr_queue_ptr 0
		.amdhsa_user_sgpr_kernarg_segment_ptr 1
		.amdhsa_user_sgpr_dispatch_id 0
		.amdhsa_user_sgpr_flat_scratch_init 0
		.amdhsa_user_sgpr_private_segment_size 0
		.amdhsa_wavefront_size32 1
		.amdhsa_uses_dynamic_stack 0
		.amdhsa_system_sgpr_private_segment_wavefront_offset 1
		.amdhsa_system_sgpr_workgroup_id_x 1
		.amdhsa_system_sgpr_workgroup_id_y 1
		.amdhsa_system_sgpr_workgroup_id_z 1
		.amdhsa_system_sgpr_workgroup_info 0
		.amdhsa_system_vgpr_workitem_id 0
		.amdhsa_next_free_vgpr 128
		.amdhsa_next_free_sgpr 40
		.amdhsa_reserve_vcc 1
		.amdhsa_reserve_flat_scratch 0
		.amdhsa_float_round_mode_32 0
		.amdhsa_float_round_mode_16_64 0
		.amdhsa_float_denorm_mode_32 3
		.amdhsa_float_denorm_mode_16_64 3
		.amdhsa_dx10_clamp 1
		.amdhsa_ieee_mode 1
		.amdhsa_fp16_overflow 0
		.amdhsa_workgroup_processor_mode 1
		.amdhsa_memory_ordered 1
		.amdhsa_forward_progress 1
		.amdhsa_shared_vgpr_count 0
		.amdhsa_exception_fp_ieee_invalid_op 0
		.amdhsa_exception_fp_denorm_src 0
		.amdhsa_exception_fp_ieee_div_zero 0
		.amdhsa_exception_fp_ieee_overflow 0
		.amdhsa_exception_fp_ieee_underflow 0
		.amdhsa_exception_fp_ieee_inexact 0
		.amdhsa_exception_int_div_zero 0
	.end_amdhsa_kernel
	.section	.text._ZN4vllm25paged_attention_v1_kernelIfhLi256ELi8ELi128ELNS_18Fp8KVCacheDataTypeE1ELb0EEEvPT_PKS2_PKT0_S8_ifPKiSA_iPKfiiiSC_SC_iiiii,"axG",@progbits,_ZN4vllm25paged_attention_v1_kernelIfhLi256ELi8ELi128ELNS_18Fp8KVCacheDataTypeE1ELb0EEEvPT_PKS2_PKT0_S8_ifPKiSA_iPKfiiiSC_SC_iiiii,comdat
.Lfunc_end179:
	.size	_ZN4vllm25paged_attention_v1_kernelIfhLi256ELi8ELi128ELNS_18Fp8KVCacheDataTypeE1ELb0EEEvPT_PKS2_PKT0_S8_ifPKiSA_iPKfiiiSC_SC_iiiii, .Lfunc_end179-_ZN4vllm25paged_attention_v1_kernelIfhLi256ELi8ELi128ELNS_18Fp8KVCacheDataTypeE1ELb0EEEvPT_PKS2_PKT0_S8_ifPKiSA_iPKfiiiSC_SC_iiiii
                                        ; -- End function
	.set _ZN4vllm25paged_attention_v1_kernelIfhLi256ELi8ELi128ELNS_18Fp8KVCacheDataTypeE1ELb0EEEvPT_PKS2_PKT0_S8_ifPKiSA_iPKfiiiSC_SC_iiiii.num_vgpr, 128
	.set _ZN4vllm25paged_attention_v1_kernelIfhLi256ELi8ELi128ELNS_18Fp8KVCacheDataTypeE1ELb0EEEvPT_PKS2_PKT0_S8_ifPKiSA_iPKfiiiSC_SC_iiiii.num_agpr, 0
	.set _ZN4vllm25paged_attention_v1_kernelIfhLi256ELi8ELi128ELNS_18Fp8KVCacheDataTypeE1ELb0EEEvPT_PKS2_PKT0_S8_ifPKiSA_iPKfiiiSC_SC_iiiii.numbered_sgpr, 40
	.set _ZN4vllm25paged_attention_v1_kernelIfhLi256ELi8ELi128ELNS_18Fp8KVCacheDataTypeE1ELb0EEEvPT_PKS2_PKT0_S8_ifPKiSA_iPKfiiiSC_SC_iiiii.num_named_barrier, 0
	.set _ZN4vllm25paged_attention_v1_kernelIfhLi256ELi8ELi128ELNS_18Fp8KVCacheDataTypeE1ELb0EEEvPT_PKS2_PKT0_S8_ifPKiSA_iPKfiiiSC_SC_iiiii.private_seg_size, 100
	.set _ZN4vllm25paged_attention_v1_kernelIfhLi256ELi8ELi128ELNS_18Fp8KVCacheDataTypeE1ELb0EEEvPT_PKS2_PKT0_S8_ifPKiSA_iPKfiiiSC_SC_iiiii.uses_vcc, 1
	.set _ZN4vllm25paged_attention_v1_kernelIfhLi256ELi8ELi128ELNS_18Fp8KVCacheDataTypeE1ELb0EEEvPT_PKS2_PKT0_S8_ifPKiSA_iPKfiiiSC_SC_iiiii.uses_flat_scratch, 0
	.set _ZN4vllm25paged_attention_v1_kernelIfhLi256ELi8ELi128ELNS_18Fp8KVCacheDataTypeE1ELb0EEEvPT_PKS2_PKT0_S8_ifPKiSA_iPKfiiiSC_SC_iiiii.has_dyn_sized_stack, 0
	.set _ZN4vllm25paged_attention_v1_kernelIfhLi256ELi8ELi128ELNS_18Fp8KVCacheDataTypeE1ELb0EEEvPT_PKS2_PKT0_S8_ifPKiSA_iPKfiiiSC_SC_iiiii.has_recursion, 0
	.set _ZN4vllm25paged_attention_v1_kernelIfhLi256ELi8ELi128ELNS_18Fp8KVCacheDataTypeE1ELb0EEEvPT_PKS2_PKT0_S8_ifPKiSA_iPKfiiiSC_SC_iiiii.has_indirect_call, 0
	.section	.AMDGPU.csdata,"",@progbits
; Kernel info:
; codeLenInByte = 32428
; TotalNumSgprs: 42
; NumVgprs: 128
; ScratchSize: 100
; MemoryBound: 0
; FloatMode: 240
; IeeeMode: 1
; LDSByteSize: 1056 bytes/workgroup (compile time only)
; SGPRBlocks: 0
; VGPRBlocks: 15
; NumSGPRsForWavesPerEU: 42
; NumVGPRsForWavesPerEU: 128
; Occupancy: 8
; WaveLimiterHint : 1
; COMPUTE_PGM_RSRC2:SCRATCH_EN: 1
; COMPUTE_PGM_RSRC2:USER_SGPR: 6
; COMPUTE_PGM_RSRC2:TRAP_HANDLER: 0
; COMPUTE_PGM_RSRC2:TGID_X_EN: 1
; COMPUTE_PGM_RSRC2:TGID_Y_EN: 1
; COMPUTE_PGM_RSRC2:TGID_Z_EN: 1
; COMPUTE_PGM_RSRC2:TIDIG_COMP_CNT: 0
	.section	.text._ZN4vllm25paged_attention_v1_kernelIfhLi32ELi16ELi128ELNS_18Fp8KVCacheDataTypeE1ELb1EEEvPT_PKS2_PKT0_S8_ifPKiSA_iPKfiiiSC_SC_iiiii,"axG",@progbits,_ZN4vllm25paged_attention_v1_kernelIfhLi32ELi16ELi128ELNS_18Fp8KVCacheDataTypeE1ELb1EEEvPT_PKS2_PKT0_S8_ifPKiSA_iPKfiiiSC_SC_iiiii,comdat
	.protected	_ZN4vllm25paged_attention_v1_kernelIfhLi32ELi16ELi128ELNS_18Fp8KVCacheDataTypeE1ELb1EEEvPT_PKS2_PKT0_S8_ifPKiSA_iPKfiiiSC_SC_iiiii ; -- Begin function _ZN4vllm25paged_attention_v1_kernelIfhLi32ELi16ELi128ELNS_18Fp8KVCacheDataTypeE1ELb1EEEvPT_PKS2_PKT0_S8_ifPKiSA_iPKfiiiSC_SC_iiiii
	.globl	_ZN4vllm25paged_attention_v1_kernelIfhLi32ELi16ELi128ELNS_18Fp8KVCacheDataTypeE1ELb1EEEvPT_PKS2_PKT0_S8_ifPKiSA_iPKfiiiSC_SC_iiiii
	.p2align	8
	.type	_ZN4vllm25paged_attention_v1_kernelIfhLi32ELi16ELi128ELNS_18Fp8KVCacheDataTypeE1ELb1EEEvPT_PKS2_PKT0_S8_ifPKiSA_iPKfiiiSC_SC_iiiii,@function
_ZN4vllm25paged_attention_v1_kernelIfhLi32ELi16ELi128ELNS_18Fp8KVCacheDataTypeE1ELb1EEEvPT_PKS2_PKT0_S8_ifPKiSA_iPKfiiiSC_SC_iiiii: ; @_ZN4vllm25paged_attention_v1_kernelIfhLi32ELi16ELi128ELNS_18Fp8KVCacheDataTypeE1ELb1EEEvPT_PKS2_PKT0_S8_ifPKiSA_iPKfiiiSC_SC_iiiii
; %bb.0:
	s_clause 0x2
	s_load_dword s9, s[4:5], 0x80
	s_load_dwordx2 s[0:1], s[4:5], 0x30
	s_load_dwordx2 s[34:35], s[4:5], 0x20
	s_mov_b32 s10, s7
	s_ashr_i32 s11, s7, 31
	s_mov_b32 s36, 0
	s_lshl_b64 s[2:3], s[10:11], 2
	s_waitcnt lgkmcnt(0)
	s_add_u32 s0, s0, s2
	s_addc_u32 s1, s1, s3
	s_abs_i32 s2, s34
	s_abs_i32 s11, s9
	v_cvt_f32_u32_e32 v1, s2
	s_sub_i32 s7, 0, s2
	v_rcp_iflag_f32_e32 v1, v1
	v_mul_f32_e32 v1, 0x4f7ffffe, v1
	v_cvt_u32_f32_e32 v1, v1
	v_readfirstlane_b32 s3, v1
	s_mul_i32 s7, s7, s3
	s_mul_hi_u32 s7, s3, s7
	s_add_i32 s3, s3, s7
	s_xor_b32 s7, s9, s34
	s_mul_hi_u32 s3, s11, s3
	s_ashr_i32 s7, s7, 31
	s_mul_i32 s12, s3, s2
	s_sub_i32 s11, s11, s12
	s_add_i32 s12, s3, 1
	s_sub_i32 s13, s11, s2
	s_cmp_ge_u32 s11, s2
	s_cselect_b32 s3, s12, s3
	s_cselect_b32 s11, s13, s11
	s_add_i32 s12, s3, 1
	s_cmp_ge_u32 s11, s2
	s_cselect_b32 s2, s12, s3
	s_xor_b32 s2, s2, s7
	s_sub_i32 s14, s2, s7
	s_load_dwordx2 s[2:3], s[4:5], 0x40
	s_abs_i32 s11, s14
	v_cvt_f32_u32_e32 v1, s11
	s_sub_i32 s12, 0, s11
	v_rcp_iflag_f32_e32 v1, v1
	v_mul_f32_e32 v1, 0x4f7ffffe, v1
	v_cvt_u32_f32_e32 v1, v1
	v_readfirstlane_b32 s7, v1
	s_mul_i32 s12, s12, s7
	s_mul_hi_u32 s13, s7, s12
	s_abs_i32 s12, s6
	s_add_i32 s7, s7, s13
	s_waitcnt lgkmcnt(0)
	s_cmp_eq_u64 s[2:3], 0
	s_mul_hi_u32 s13, s12, s7
	s_cbranch_scc1 .LBB180_2
; %bb.1:
	s_ashr_i32 s7, s6, 31
	s_lshl_b64 s[16:17], s[6:7], 2
	s_add_u32 s2, s2, s16
	s_addc_u32 s3, s3, s17
	s_load_dword s36, s[2:3], 0x0
.LBB180_2:
	s_load_dword s33, s[0:1], 0x0
	s_load_dwordx4 s[16:19], s[4:5], 0x48
	v_and_b32_e32 v1, 1, v0
	v_lshlrev_b32_e32 v61, 2, v0
	s_ashr_i32 s0, s6, 31
	s_ashr_i32 s1, s14, 31
	s_lshl_b32 s24, s6, 5
	s_mov_b32 s2, exec_lo
	v_cmpx_gt_u32_e32 16, v0
	s_cbranch_execz .LBB180_4
; %bb.3:
	s_load_dwordx2 s[14:15], s[4:5], 0x8
	s_waitcnt lgkmcnt(0)
	s_mul_i32 s20, s16, s10
	v_lshlrev_b32_e32 v2, 3, v0
	s_ashr_i32 s21, s20, 31
	v_and_b32_e32 v4, 0xff8, v61
	s_lshl_b64 s[20:21], s[20:21], 2
	v_lshl_add_u32 v4, v1, 6, v4
	s_add_u32 s3, s14, s20
	s_addc_u32 s7, s15, s21
	s_ashr_i32 s25, s24, 31
	s_lshl_b64 s[14:15], s[24:25], 2
	s_add_u32 s14, s3, s14
	s_addc_u32 s15, s7, s15
	global_load_dwordx2 v[2:3], v2, s[14:15]
	s_waitcnt vmcnt(0)
	ds_write_b64 v4, v[2:3]
.LBB180_4:
	s_or_b32 exec_lo, exec_lo, s2
	s_load_dwordx4 s[20:23], s[4:5], 0x68
	s_mul_i32 s2, s13, s11
	s_xor_b32 s1, s0, s1
	s_sub_i32 s0, s12, s2
	s_add_i32 s2, s13, 1
	s_sub_i32 s3, s0, s11
	s_cmp_ge_u32 s0, s11
	s_mov_b32 s12, -1
	s_cselect_b32 s2, s2, s13
	s_cselect_b32 s0, s3, s0
	s_add_i32 s3, s2, 1
	s_cmp_ge_u32 s0, s11
	s_load_dword s0, s[4:5], 0x78
	s_cselect_b32 s2, s3, s2
	s_waitcnt lgkmcnt(0)
	s_add_i32 s7, s33, -1
	s_xor_b32 s2, s2, s1
	s_abs_i32 s3, s7
	s_sub_i32 s1, s2, s1
	s_barrier
	s_abs_i32 s16, s23
	buffer_gl0_inv
	v_cvt_f32_u32_e32 v2, s16
	s_sub_i32 s2, 0, s16
                                        ; implicit-def: $sgpr25
	v_rcp_iflag_f32_e32 v2, v2
	v_mul_f32_e32 v2, 0x4f7ffffe, v2
	v_cvt_u32_f32_e32 v2, v2
	v_readfirstlane_b32 s19, v2
	s_mul_i32 s2, s2, s19
	s_mul_hi_u32 s2, s19, s2
	s_add_i32 s19, s19, s2
	s_cmp_lt_i32 s0, 0
	s_mul_hi_u32 s2, s3, s19
	s_cbranch_scc0 .LBB180_6
; %bb.5:
	s_mul_i32 s11, s20, s34
	s_mov_b32 s12, 0
	s_add_i32 s11, s1, s11
	s_mul_i32 s11, s11, s0
	s_sub_i32 s25, 1, s11
.LBB180_6:
	s_load_dwordx2 s[26:27], s[4:5], 0x28
	s_ashr_i32 s11, s7, 31
	s_andn2_b32 vcc_lo, exec_lo, s12
	s_ashr_i32 s23, s23, 31
	s_cbranch_vccnz .LBB180_8
; %bb.7:
	s_mul_i32 s7, s9, s20
	s_add_i32 s6, s7, s6
	s_mul_i32 s0, s6, s0
	s_add_i32 s25, s0, 1
.LBB180_8:
	s_clause 0x2
	s_load_dword s0, s[4:5], 0x38
	s_load_dwordx2 s[6:7], s[4:5], 0x0
	s_load_dwordx2 s[30:31], s[4:5], 0x18
	s_xor_b32 s34, s11, s23
	s_mul_i32 s11, s2, s16
	s_add_i32 s20, s2, 1
	s_sub_i32 s3, s3, s11
	s_clause 0x1
	s_load_dword s11, s[4:5], 0x88
	s_load_dwordx4 s[12:15], s[4:5], 0x58
	v_lshrrev_b32_e32 v59, 5, v0
	v_mov_b32_e32 v66, 0xff7fffff
	v_lshrrev_b32_e32 v62, 3, v0
	v_mbcnt_lo_u32_b32 v63, -1, 0
	s_mul_i32 s18, s1, s18
	v_lshlrev_b32_e32 v60, 4, v59
	s_waitcnt lgkmcnt(0)
	s_mul_i32 s28, s0, s10
	s_sub_i32 s0, s3, s16
	s_ashr_i32 s29, s28, 31
	s_cmp_ge_u32 s3, s16
	s_cselect_b32 s2, s20, s2
	s_cselect_b32 s0, s0, s3
	s_add_i32 s3, s2, 1
	s_cmp_ge_u32 s0, s16
	s_cselect_b32 s0, s3, s2
	s_add_i32 s2, s33, 15
	s_ashr_i32 s3, s2, 31
	s_lshr_b32 s3, s3, 28
	s_add_i32 s2, s2, s3
	s_ashr_i32 s20, s2, 4
	s_xor_b32 s2, s0, s34
	v_cmp_gt_i32_e64 s0, s20, v59
	s_sub_i32 s34, s2, s34
	s_and_saveexec_b32 s37, s0
	s_cbranch_execz .LBB180_148
; %bb.9:
	s_load_dwordx2 s[2:3], s[4:5], 0x10
	s_sub_i32 s4, s34, s21
	s_ashr_i32 s1, s18, 31
	v_bfe_u32 v64, v0, 1, 4
	v_cmp_eq_u32_e32 vcc_lo, 0, v1
	v_lshlrev_b32_e32 v3, 1, v1
	v_lshlrev_b32_e32 v65, 6, v1
	v_and_b32_e32 v1, 0x7c, v62
	v_lshlrev_b32_e32 v4, 2, v64
	v_subrev_nc_u32_e32 v5, s33, v64
	v_lshlrev_b32_e32 v6, 4, v64
	v_mov_b32_e32 v18, 0
	v_lshlrev_b32_e32 v67, 4, v59
	v_lshl_or_b32 v4, v59, 6, v4
	v_add_nc_u32_e32 v71, 1, v5
	v_mov_b32_e32 v68, 0xff7fffff
	v_mov_b32_e32 v69, 0x80
	v_bfrev_b32_e32 v20, 1
	v_add_nc_u32_e32 v72, 0xa0, v4
	v_mov_b32_e32 v70, 0xffff
	s_waitcnt lgkmcnt(0)
	s_add_u32 s38, s2, s18
	s_addc_u32 s39, s3, s1
	s_abs_i32 s5, s22
	v_add_co_u32 v5, s38, s38, v6
	v_cvt_f32_u32_e32 v2, s5
	s_sub_i32 s2, 0, s5
	v_add_co_ci_u32_e64 v6, null, s39, 0, s38
	v_cmp_neq_f32_e64 s1, s36, 0
	v_rcp_iflag_f32_e32 v2, v2
	v_mov_b32_e32 v22, 0x7f800001
	v_mov_b32_e32 v66, 0xff7fffff
	;; [unrolled: 1-line block ×3, first 2 shown]
	s_mov_b32 s38, 0
	s_mov_b32 s39, s17
	v_mul_f32_e32 v2, 0x4f7ffffe, v2
	v_cvt_u32_f32_e32 v2, v2
	v_mul_lo_u32 v4, s2, v2
	s_lshl_b64 s[2:3], s[28:29], 2
	s_add_u32 s2, s26, s2
	s_addc_u32 s3, s27, s3
	v_add_co_u32 v23, s2, s2, v1
	v_add_co_ci_u32_e64 v24, null, s3, 0, s2
	v_mul_hi_u32 v4, v2, v4
	v_add_co_u32 v25, s2, v5, v3
	v_add_co_ci_u32_e64 v26, null, 0, v6, s2
	v_add_nc_u32_e32 v73, v2, v4
	s_branch .LBB180_12
.LBB180_10:                             ;   in Loop: Header=BB180_12 Depth=1
	s_or_b32 exec_lo, exec_lo, s40
.LBB180_11:                             ;   in Loop: Header=BB180_12 Depth=1
	s_or_b32 exec_lo, exec_lo, s3
	v_add_nc_u32_e32 v74, 4, v74
	v_add_co_u32 v23, s3, v23, 16
	v_add_co_ci_u32_e64 v24, null, 0, v24, s3
	v_cmp_le_i32_e64 s2, s20, v74
	v_add_nc_u32_e32 v67, 64, v67
	v_add_nc_u32_e32 v72, 0x100, v72
	s_or_b32 s38, s2, s38
	s_andn2_b32 exec_lo, exec_lo, s38
	s_cbranch_execz .LBB180_147
.LBB180_12:                             ; =>This Inner Loop Header: Depth=1
	v_mul_hi_u32 v1, v67, s19
	s_waitcnt lgkmcnt(0)
	v_mul_lo_u32 v2, v1, s16
	v_add_nc_u32_e32 v3, 1, v1
	v_sub_nc_u32_e32 v2, v67, v2
	v_subrev_nc_u32_e32 v4, s16, v2
	v_cmp_le_u32_e64 s2, s16, v2
	v_cndmask_b32_e64 v1, v1, v3, s2
	v_cndmask_b32_e64 v2, v2, v4, s2
	v_add_nc_u32_e32 v3, 1, v1
	v_cmp_le_u32_e64 s2, s16, v2
	v_cndmask_b32_e64 v1, v1, v3, s2
	v_xor_b32_e32 v1, s23, v1
	v_subrev_nc_u32_e32 v1, s23, v1
	v_add_nc_u32_e32 v2, s25, v1
	v_cmp_ge_i32_e64 s3, s4, v1
	v_sub_nc_u32_e32 v3, 0, v2
	v_max_i32_e32 v3, v2, v3
	v_ashrrev_i32_e32 v2, 31, v2
	v_mul_hi_u32 v4, v3, v73
	v_mul_lo_u32 v4, v4, s5
	v_sub_nc_u32_e32 v3, v3, v4
	v_subrev_nc_u32_e32 v4, s5, v3
	v_cmp_le_u32_e64 s2, s5, v3
	v_cndmask_b32_e64 v3, v3, v4, s2
	v_subrev_nc_u32_e32 v4, s5, v3
	v_cmp_le_u32_e64 s2, s5, v3
	v_cndmask_b32_e64 v3, v3, v4, s2
	v_xor_b32_e32 v3, v3, v2
	v_sub_nc_u32_e32 v2, v3, v2
	v_cmp_ne_u32_e64 s2, 0, v2
	s_and_b32 s2, s2, s3
	s_and_saveexec_b32 s3, s2
	s_xor_b32 s2, exec_lo, s3
	s_cbranch_execz .LBB180_16
; %bb.13:                               ;   in Loop: Header=BB180_12 Depth=1
	s_and_saveexec_b32 s3, vcc_lo
; %bb.14:                               ;   in Loop: Header=BB180_12 Depth=1
	ds_write_b32 v72, v68
; %bb.15:                               ;   in Loop: Header=BB180_12 Depth=1
	s_or_b32 exec_lo, exec_lo, s3
.LBB180_16:                             ;   in Loop: Header=BB180_12 Depth=1
	s_andn2_saveexec_b32 s3, s2
	s_cbranch_execz .LBB180_11
; %bb.17:                               ;   in Loop: Header=BB180_12 Depth=1
	global_load_dword v1, v[23:24], off
	v_mov_b32_e32 v29, 0
	v_mov_b32_e32 v27, 0
	;; [unrolled: 1-line block ×4, first 2 shown]
	s_waitcnt vmcnt(0)
	v_mad_i64_i32 v[31:32], null, v1, s39, v[25:26]
	global_load_ushort v17, v[31:32], off
	ds_read_b128 v[13:16], v65
	ds_read_b128 v[9:12], v65 offset:16
	ds_read_b128 v[5:8], v65 offset:32
	;; [unrolled: 1-line block ×3, first 2 shown]
	s_load_dword s40, s[12:13], 0x0
	s_waitcnt vmcnt(0)
	v_and_b32_e32 v33, 0xffff, v17
	v_cmp_ne_u16_sdwa s2, v17, v18 src0_sel:BYTE_0 src1_sel:DWORD
	s_and_saveexec_b32 s41, s2
	s_cbranch_execz .LBB180_25
; %bb.18:                               ;   in Loop: Header=BB180_12 Depth=1
	v_bfrev_b32_e32 v27, 1
	v_mov_b32_e32 v28, 0
	v_cmp_ne_u16_sdwa s2, v33, v69 src0_sel:BYTE_0 src1_sel:DWORD
	s_and_saveexec_b32 s42, s2
	s_cbranch_execz .LBB180_24
; %bb.19:                               ;   in Loop: Header=BB180_12 Depth=1
	v_mov_b32_e32 v27, 0x7f800001
	v_and_b32_e32 v21, 0x7f, v33
	v_mov_b32_e32 v28, 0
	s_mov_b32 s43, exec_lo
	v_cmpx_ne_u32_e32 0x7f, v21
	s_cbranch_execz .LBB180_23
; %bb.20:                               ;   in Loop: Header=BB180_12 Depth=1
	v_and_b32_e32 v17, 7, v33
	v_lshrrev_b32_e32 v19, 3, v21
	s_mov_b32 s44, exec_lo
	v_cmpx_gt_u32_e32 8, v21
; %bb.21:                               ;   in Loop: Header=BB180_12 Depth=1
	v_ffbh_u32_e32 v19, v17
	v_min_u32_e32 v19, 32, v19
	v_subrev_nc_u32_e32 v21, 28, v19
	v_sub_nc_u32_e32 v19, 29, v19
	v_lshlrev_b64 v[27:28], v21, v[17:18]
	v_and_b32_e32 v17, 7, v27
; %bb.22:                               ;   in Loop: Header=BB180_12 Depth=1
	s_or_b32 exec_lo, exec_lo, s44
	v_lshlrev_b32_e32 v21, 24, v33
	v_lshlrev_b32_e32 v17, 20, v17
	v_lshl_add_u32 v19, v19, 23, 0x3c000000
	v_and_b32_e32 v21, 0x80000000, v21
	v_or3_b32 v17, v17, v21, v19
	v_mov_b32_e32 v28, v18
	v_mov_b32_e32 v27, v17
.LBB180_23:                             ;   in Loop: Header=BB180_12 Depth=1
	s_or_b32 exec_lo, exec_lo, s43
.LBB180_24:                             ;   in Loop: Header=BB180_12 Depth=1
	s_or_b32 exec_lo, exec_lo, s42
.LBB180_25:                             ;   in Loop: Header=BB180_12 Depth=1
	s_or_b32 exec_lo, exec_lo, s41
	v_cmp_ne_u16_sdwa s2, v33, v18 src0_sel:BYTE_1 src1_sel:DWORD
	s_and_saveexec_b32 s41, s2
	s_cbranch_execz .LBB180_33
; %bb.26:                               ;   in Loop: Header=BB180_12 Depth=1
	v_mov_b32_e32 v19, v18
	v_mov_b32_e32 v30, v20
	v_cmp_ne_u16_sdwa s2, v33, v69 src0_sel:BYTE_1 src1_sel:DWORD
	v_mov_b32_e32 v29, v19
	s_and_saveexec_b32 s42, s2
	s_cbranch_execz .LBB180_32
; %bb.27:                               ;   in Loop: Header=BB180_12 Depth=1
	v_and_b32_sdwa v17, v70, v33 dst_sel:DWORD dst_unused:UNUSED_PAD src0_sel:DWORD src1_sel:BYTE_1
	v_mov_b32_e32 v21, v18
	v_mov_b32_e32 v30, v22
	s_mov_b32 s43, exec_lo
	v_and_b32_e32 v34, 0x7f, v17
	v_mov_b32_e32 v29, v21
	v_cmpx_ne_u32_e32 0x7f, v34
	s_cbranch_execz .LBB180_31
; %bb.28:                               ;   in Loop: Header=BB180_12 Depth=1
	v_and_b32_e32 v17, 7, v17
	v_lshrrev_b32_e32 v19, 3, v34
	s_mov_b32 s44, exec_lo
	v_cmpx_gt_u32_e32 8, v34
; %bb.29:                               ;   in Loop: Header=BB180_12 Depth=1
	v_ffbh_u32_e32 v19, v17
	v_min_u32_e32 v19, 32, v19
	v_subrev_nc_u32_e32 v21, 28, v19
	v_sub_nc_u32_e32 v19, 29, v19
	v_lshlrev_b64 v[29:30], v21, v[17:18]
	v_and_b32_e32 v17, 7, v29
; %bb.30:                               ;   in Loop: Header=BB180_12 Depth=1
	s_or_b32 exec_lo, exec_lo, s44
	v_lshlrev_b32_e32 v21, 16, v33
	v_lshlrev_b32_e32 v17, 20, v17
	v_lshl_add_u32 v19, v19, 23, 0x3c000000
	v_mov_b32_e32 v29, v18
	v_and_b32_e32 v21, 0x80000000, v21
	v_or3_b32 v30, v17, v21, v19
.LBB180_31:                             ;   in Loop: Header=BB180_12 Depth=1
	s_or_b32 exec_lo, exec_lo, s43
.LBB180_32:                             ;   in Loop: Header=BB180_12 Depth=1
	s_or_b32 exec_lo, exec_lo, s42
.LBB180_33:                             ;   in Loop: Header=BB180_12 Depth=1
	s_or_b32 exec_lo, exec_lo, s41
	global_load_ushort v17, v[31:32], off offset:4
	v_mov_b32_e32 v35, 0
	v_mov_b32_e32 v33, 0
	;; [unrolled: 1-line block ×4, first 2 shown]
	s_waitcnt vmcnt(0)
	v_and_b32_e32 v37, 0xffff, v17
	v_cmp_ne_u16_sdwa s2, v17, v18 src0_sel:BYTE_0 src1_sel:DWORD
	s_and_saveexec_b32 s41, s2
	s_cbranch_execz .LBB180_41
; %bb.34:                               ;   in Loop: Header=BB180_12 Depth=1
	v_bfrev_b32_e32 v33, 1
	v_mov_b32_e32 v34, 0
	v_cmp_ne_u16_sdwa s2, v37, v69 src0_sel:BYTE_0 src1_sel:DWORD
	s_and_saveexec_b32 s42, s2
	s_cbranch_execz .LBB180_40
; %bb.35:                               ;   in Loop: Header=BB180_12 Depth=1
	v_mov_b32_e32 v33, 0x7f800001
	v_and_b32_e32 v21, 0x7f, v37
	v_mov_b32_e32 v34, 0
	s_mov_b32 s43, exec_lo
	v_cmpx_ne_u32_e32 0x7f, v21
	s_cbranch_execz .LBB180_39
; %bb.36:                               ;   in Loop: Header=BB180_12 Depth=1
	v_and_b32_e32 v17, 7, v37
	v_lshrrev_b32_e32 v19, 3, v21
	s_mov_b32 s44, exec_lo
	v_cmpx_gt_u32_e32 8, v21
; %bb.37:                               ;   in Loop: Header=BB180_12 Depth=1
	v_ffbh_u32_e32 v19, v17
	v_min_u32_e32 v19, 32, v19
	v_subrev_nc_u32_e32 v21, 28, v19
	v_sub_nc_u32_e32 v19, 29, v19
	v_lshlrev_b64 v[33:34], v21, v[17:18]
	v_and_b32_e32 v17, 7, v33
; %bb.38:                               ;   in Loop: Header=BB180_12 Depth=1
	s_or_b32 exec_lo, exec_lo, s44
	v_lshlrev_b32_e32 v21, 24, v37
	v_lshlrev_b32_e32 v17, 20, v17
	v_lshl_add_u32 v19, v19, 23, 0x3c000000
	v_and_b32_e32 v21, 0x80000000, v21
	v_or3_b32 v17, v17, v21, v19
	v_mov_b32_e32 v34, v18
	v_mov_b32_e32 v33, v17
.LBB180_39:                             ;   in Loop: Header=BB180_12 Depth=1
	s_or_b32 exec_lo, exec_lo, s43
.LBB180_40:                             ;   in Loop: Header=BB180_12 Depth=1
	s_or_b32 exec_lo, exec_lo, s42
.LBB180_41:                             ;   in Loop: Header=BB180_12 Depth=1
	s_or_b32 exec_lo, exec_lo, s41
	v_cmp_ne_u16_sdwa s2, v37, v18 src0_sel:BYTE_1 src1_sel:DWORD
	s_and_saveexec_b32 s41, s2
	s_cbranch_execz .LBB180_49
; %bb.42:                               ;   in Loop: Header=BB180_12 Depth=1
	v_mov_b32_e32 v19, v18
	v_mov_b32_e32 v36, v20
	v_cmp_ne_u16_sdwa s2, v37, v69 src0_sel:BYTE_1 src1_sel:DWORD
	v_mov_b32_e32 v35, v19
	s_and_saveexec_b32 s42, s2
	s_cbranch_execz .LBB180_48
; %bb.43:                               ;   in Loop: Header=BB180_12 Depth=1
	v_and_b32_sdwa v17, v70, v37 dst_sel:DWORD dst_unused:UNUSED_PAD src0_sel:DWORD src1_sel:BYTE_1
	v_mov_b32_e32 v21, v18
	v_mov_b32_e32 v36, v22
	s_mov_b32 s43, exec_lo
	v_and_b32_e32 v38, 0x7f, v17
	v_mov_b32_e32 v35, v21
	v_cmpx_ne_u32_e32 0x7f, v38
	s_cbranch_execz .LBB180_47
; %bb.44:                               ;   in Loop: Header=BB180_12 Depth=1
	v_and_b32_e32 v17, 7, v17
	v_lshrrev_b32_e32 v19, 3, v38
	s_mov_b32 s44, exec_lo
	v_cmpx_gt_u32_e32 8, v38
; %bb.45:                               ;   in Loop: Header=BB180_12 Depth=1
	v_ffbh_u32_e32 v19, v17
	v_min_u32_e32 v19, 32, v19
	v_subrev_nc_u32_e32 v21, 28, v19
	v_sub_nc_u32_e32 v19, 29, v19
	v_lshlrev_b64 v[35:36], v21, v[17:18]
	v_and_b32_e32 v17, 7, v35
; %bb.46:                               ;   in Loop: Header=BB180_12 Depth=1
	s_or_b32 exec_lo, exec_lo, s44
	v_lshlrev_b32_e32 v21, 16, v37
	v_lshlrev_b32_e32 v17, 20, v17
	v_lshl_add_u32 v19, v19, 23, 0x3c000000
	v_mov_b32_e32 v35, v18
	v_and_b32_e32 v21, 0x80000000, v21
	v_or3_b32 v36, v17, v21, v19
.LBB180_47:                             ;   in Loop: Header=BB180_12 Depth=1
	s_or_b32 exec_lo, exec_lo, s43
.LBB180_48:                             ;   in Loop: Header=BB180_12 Depth=1
	s_or_b32 exec_lo, exec_lo, s42
.LBB180_49:                             ;   in Loop: Header=BB180_12 Depth=1
	s_or_b32 exec_lo, exec_lo, s41
	global_load_ushort v17, v[31:32], off offset:8
	v_mov_b32_e32 v39, 0
	v_mov_b32_e32 v37, 0
	;; [unrolled: 1-line block ×4, first 2 shown]
	s_waitcnt vmcnt(0)
	v_and_b32_e32 v41, 0xffff, v17
	v_cmp_ne_u16_sdwa s2, v17, v18 src0_sel:BYTE_0 src1_sel:DWORD
	s_and_saveexec_b32 s41, s2
	s_cbranch_execz .LBB180_57
; %bb.50:                               ;   in Loop: Header=BB180_12 Depth=1
	v_bfrev_b32_e32 v37, 1
	v_mov_b32_e32 v38, 0
	v_cmp_ne_u16_sdwa s2, v41, v69 src0_sel:BYTE_0 src1_sel:DWORD
	s_and_saveexec_b32 s42, s2
	s_cbranch_execz .LBB180_56
; %bb.51:                               ;   in Loop: Header=BB180_12 Depth=1
	v_mov_b32_e32 v37, 0x7f800001
	v_and_b32_e32 v21, 0x7f, v41
	v_mov_b32_e32 v38, 0
	s_mov_b32 s43, exec_lo
	v_cmpx_ne_u32_e32 0x7f, v21
	s_cbranch_execz .LBB180_55
; %bb.52:                               ;   in Loop: Header=BB180_12 Depth=1
	v_and_b32_e32 v17, 7, v41
	v_lshrrev_b32_e32 v19, 3, v21
	s_mov_b32 s44, exec_lo
	v_cmpx_gt_u32_e32 8, v21
; %bb.53:                               ;   in Loop: Header=BB180_12 Depth=1
	v_ffbh_u32_e32 v19, v17
	v_min_u32_e32 v19, 32, v19
	v_subrev_nc_u32_e32 v21, 28, v19
	v_sub_nc_u32_e32 v19, 29, v19
	v_lshlrev_b64 v[37:38], v21, v[17:18]
	v_and_b32_e32 v17, 7, v37
; %bb.54:                               ;   in Loop: Header=BB180_12 Depth=1
	s_or_b32 exec_lo, exec_lo, s44
	v_lshlrev_b32_e32 v21, 24, v41
	v_lshlrev_b32_e32 v17, 20, v17
	v_lshl_add_u32 v19, v19, 23, 0x3c000000
	v_and_b32_e32 v21, 0x80000000, v21
	v_or3_b32 v17, v17, v21, v19
	v_mov_b32_e32 v38, v18
	v_mov_b32_e32 v37, v17
.LBB180_55:                             ;   in Loop: Header=BB180_12 Depth=1
	s_or_b32 exec_lo, exec_lo, s43
.LBB180_56:                             ;   in Loop: Header=BB180_12 Depth=1
	s_or_b32 exec_lo, exec_lo, s42
.LBB180_57:                             ;   in Loop: Header=BB180_12 Depth=1
	s_or_b32 exec_lo, exec_lo, s41
	v_cmp_ne_u16_sdwa s2, v41, v18 src0_sel:BYTE_1 src1_sel:DWORD
	s_and_saveexec_b32 s41, s2
	s_cbranch_execz .LBB180_65
; %bb.58:                               ;   in Loop: Header=BB180_12 Depth=1
	v_mov_b32_e32 v19, v18
	v_mov_b32_e32 v40, v20
	v_cmp_ne_u16_sdwa s2, v41, v69 src0_sel:BYTE_1 src1_sel:DWORD
	v_mov_b32_e32 v39, v19
	s_and_saveexec_b32 s42, s2
	s_cbranch_execz .LBB180_64
; %bb.59:                               ;   in Loop: Header=BB180_12 Depth=1
	v_and_b32_sdwa v17, v70, v41 dst_sel:DWORD dst_unused:UNUSED_PAD src0_sel:DWORD src1_sel:BYTE_1
	v_mov_b32_e32 v21, v18
	v_mov_b32_e32 v40, v22
	s_mov_b32 s43, exec_lo
	v_and_b32_e32 v42, 0x7f, v17
	v_mov_b32_e32 v39, v21
	v_cmpx_ne_u32_e32 0x7f, v42
	s_cbranch_execz .LBB180_63
; %bb.60:                               ;   in Loop: Header=BB180_12 Depth=1
	v_and_b32_e32 v17, 7, v17
	v_lshrrev_b32_e32 v19, 3, v42
	s_mov_b32 s44, exec_lo
	v_cmpx_gt_u32_e32 8, v42
; %bb.61:                               ;   in Loop: Header=BB180_12 Depth=1
	v_ffbh_u32_e32 v19, v17
	v_min_u32_e32 v19, 32, v19
	v_subrev_nc_u32_e32 v21, 28, v19
	v_sub_nc_u32_e32 v19, 29, v19
	v_lshlrev_b64 v[39:40], v21, v[17:18]
	v_and_b32_e32 v17, 7, v39
; %bb.62:                               ;   in Loop: Header=BB180_12 Depth=1
	s_or_b32 exec_lo, exec_lo, s44
	v_lshlrev_b32_e32 v21, 16, v41
	v_lshlrev_b32_e32 v17, 20, v17
	v_lshl_add_u32 v19, v19, 23, 0x3c000000
	v_mov_b32_e32 v39, v18
	v_and_b32_e32 v21, 0x80000000, v21
	v_or3_b32 v40, v17, v21, v19
.LBB180_63:                             ;   in Loop: Header=BB180_12 Depth=1
	s_or_b32 exec_lo, exec_lo, s43
.LBB180_64:                             ;   in Loop: Header=BB180_12 Depth=1
	s_or_b32 exec_lo, exec_lo, s42
.LBB180_65:                             ;   in Loop: Header=BB180_12 Depth=1
	s_or_b32 exec_lo, exec_lo, s41
	global_load_ushort v17, v[31:32], off offset:12
	v_mov_b32_e32 v43, 0
	v_mov_b32_e32 v41, 0
	;; [unrolled: 1-line block ×4, first 2 shown]
	s_waitcnt vmcnt(0)
	v_and_b32_e32 v45, 0xffff, v17
	v_cmp_ne_u16_sdwa s2, v17, v18 src0_sel:BYTE_0 src1_sel:DWORD
	s_and_saveexec_b32 s41, s2
	s_cbranch_execz .LBB180_73
; %bb.66:                               ;   in Loop: Header=BB180_12 Depth=1
	v_bfrev_b32_e32 v41, 1
	v_mov_b32_e32 v42, 0
	v_cmp_ne_u16_sdwa s2, v45, v69 src0_sel:BYTE_0 src1_sel:DWORD
	s_and_saveexec_b32 s42, s2
	s_cbranch_execz .LBB180_72
; %bb.67:                               ;   in Loop: Header=BB180_12 Depth=1
	v_mov_b32_e32 v41, 0x7f800001
	v_and_b32_e32 v21, 0x7f, v45
	v_mov_b32_e32 v42, 0
	s_mov_b32 s43, exec_lo
	v_cmpx_ne_u32_e32 0x7f, v21
	s_cbranch_execz .LBB180_71
; %bb.68:                               ;   in Loop: Header=BB180_12 Depth=1
	v_and_b32_e32 v17, 7, v45
	v_lshrrev_b32_e32 v19, 3, v21
	s_mov_b32 s44, exec_lo
	v_cmpx_gt_u32_e32 8, v21
; %bb.69:                               ;   in Loop: Header=BB180_12 Depth=1
	v_ffbh_u32_e32 v19, v17
	v_min_u32_e32 v19, 32, v19
	v_subrev_nc_u32_e32 v21, 28, v19
	v_sub_nc_u32_e32 v19, 29, v19
	v_lshlrev_b64 v[41:42], v21, v[17:18]
	v_and_b32_e32 v17, 7, v41
; %bb.70:                               ;   in Loop: Header=BB180_12 Depth=1
	s_or_b32 exec_lo, exec_lo, s44
	v_lshlrev_b32_e32 v21, 24, v45
	v_lshlrev_b32_e32 v17, 20, v17
	v_lshl_add_u32 v19, v19, 23, 0x3c000000
	v_and_b32_e32 v21, 0x80000000, v21
	v_or3_b32 v17, v17, v21, v19
	v_mov_b32_e32 v42, v18
	v_mov_b32_e32 v41, v17
.LBB180_71:                             ;   in Loop: Header=BB180_12 Depth=1
	s_or_b32 exec_lo, exec_lo, s43
.LBB180_72:                             ;   in Loop: Header=BB180_12 Depth=1
	s_or_b32 exec_lo, exec_lo, s42
.LBB180_73:                             ;   in Loop: Header=BB180_12 Depth=1
	s_or_b32 exec_lo, exec_lo, s41
	v_cmp_ne_u16_sdwa s2, v45, v18 src0_sel:BYTE_1 src1_sel:DWORD
	s_and_saveexec_b32 s41, s2
	s_cbranch_execz .LBB180_81
; %bb.74:                               ;   in Loop: Header=BB180_12 Depth=1
	v_mov_b32_e32 v19, v18
	v_mov_b32_e32 v44, v20
	v_cmp_ne_u16_sdwa s2, v45, v69 src0_sel:BYTE_1 src1_sel:DWORD
	v_mov_b32_e32 v43, v19
	s_and_saveexec_b32 s42, s2
	s_cbranch_execz .LBB180_80
; %bb.75:                               ;   in Loop: Header=BB180_12 Depth=1
	v_and_b32_sdwa v17, v70, v45 dst_sel:DWORD dst_unused:UNUSED_PAD src0_sel:DWORD src1_sel:BYTE_1
	v_mov_b32_e32 v21, v18
	v_mov_b32_e32 v44, v22
	s_mov_b32 s43, exec_lo
	v_and_b32_e32 v46, 0x7f, v17
	v_mov_b32_e32 v43, v21
	v_cmpx_ne_u32_e32 0x7f, v46
	s_cbranch_execz .LBB180_79
; %bb.76:                               ;   in Loop: Header=BB180_12 Depth=1
	v_and_b32_e32 v17, 7, v17
	v_lshrrev_b32_e32 v19, 3, v46
	s_mov_b32 s44, exec_lo
	v_cmpx_gt_u32_e32 8, v46
; %bb.77:                               ;   in Loop: Header=BB180_12 Depth=1
	v_ffbh_u32_e32 v19, v17
	v_min_u32_e32 v19, 32, v19
	v_subrev_nc_u32_e32 v21, 28, v19
	v_sub_nc_u32_e32 v19, 29, v19
	v_lshlrev_b64 v[43:44], v21, v[17:18]
	v_and_b32_e32 v17, 7, v43
; %bb.78:                               ;   in Loop: Header=BB180_12 Depth=1
	s_or_b32 exec_lo, exec_lo, s44
	v_lshlrev_b32_e32 v21, 16, v45
	v_lshlrev_b32_e32 v17, 20, v17
	v_lshl_add_u32 v19, v19, 23, 0x3c000000
	v_mov_b32_e32 v43, v18
	v_and_b32_e32 v21, 0x80000000, v21
	v_or3_b32 v44, v17, v21, v19
.LBB180_79:                             ;   in Loop: Header=BB180_12 Depth=1
	s_or_b32 exec_lo, exec_lo, s43
.LBB180_80:                             ;   in Loop: Header=BB180_12 Depth=1
	s_or_b32 exec_lo, exec_lo, s42
.LBB180_81:                             ;   in Loop: Header=BB180_12 Depth=1
	s_or_b32 exec_lo, exec_lo, s41
	global_load_ushort v17, v[31:32], off offset:256
	v_mov_b32_e32 v47, 0
	v_mov_b32_e32 v45, 0
	;; [unrolled: 1-line block ×4, first 2 shown]
	s_waitcnt vmcnt(0)
	v_and_b32_e32 v49, 0xffff, v17
	v_cmp_ne_u16_sdwa s2, v17, v18 src0_sel:BYTE_0 src1_sel:DWORD
	s_and_saveexec_b32 s41, s2
	s_cbranch_execz .LBB180_89
; %bb.82:                               ;   in Loop: Header=BB180_12 Depth=1
	v_bfrev_b32_e32 v45, 1
	v_mov_b32_e32 v46, 0
	v_cmp_ne_u16_sdwa s2, v49, v69 src0_sel:BYTE_0 src1_sel:DWORD
	s_and_saveexec_b32 s42, s2
	s_cbranch_execz .LBB180_88
; %bb.83:                               ;   in Loop: Header=BB180_12 Depth=1
	v_mov_b32_e32 v45, 0x7f800001
	v_and_b32_e32 v21, 0x7f, v49
	v_mov_b32_e32 v46, 0
	s_mov_b32 s43, exec_lo
	v_cmpx_ne_u32_e32 0x7f, v21
	s_cbranch_execz .LBB180_87
; %bb.84:                               ;   in Loop: Header=BB180_12 Depth=1
	v_and_b32_e32 v17, 7, v49
	v_lshrrev_b32_e32 v19, 3, v21
	s_mov_b32 s44, exec_lo
	v_cmpx_gt_u32_e32 8, v21
; %bb.85:                               ;   in Loop: Header=BB180_12 Depth=1
	v_ffbh_u32_e32 v19, v17
	v_min_u32_e32 v19, 32, v19
	v_subrev_nc_u32_e32 v21, 28, v19
	v_sub_nc_u32_e32 v19, 29, v19
	v_lshlrev_b64 v[45:46], v21, v[17:18]
	v_and_b32_e32 v17, 7, v45
; %bb.86:                               ;   in Loop: Header=BB180_12 Depth=1
	s_or_b32 exec_lo, exec_lo, s44
	v_lshlrev_b32_e32 v21, 24, v49
	v_lshlrev_b32_e32 v17, 20, v17
	v_lshl_add_u32 v19, v19, 23, 0x3c000000
	v_and_b32_e32 v21, 0x80000000, v21
	v_or3_b32 v17, v17, v21, v19
	v_mov_b32_e32 v46, v18
	v_mov_b32_e32 v45, v17
.LBB180_87:                             ;   in Loop: Header=BB180_12 Depth=1
	s_or_b32 exec_lo, exec_lo, s43
.LBB180_88:                             ;   in Loop: Header=BB180_12 Depth=1
	s_or_b32 exec_lo, exec_lo, s42
.LBB180_89:                             ;   in Loop: Header=BB180_12 Depth=1
	s_or_b32 exec_lo, exec_lo, s41
	v_cmp_ne_u16_sdwa s2, v49, v18 src0_sel:BYTE_1 src1_sel:DWORD
	s_and_saveexec_b32 s41, s2
	s_cbranch_execz .LBB180_97
; %bb.90:                               ;   in Loop: Header=BB180_12 Depth=1
	v_mov_b32_e32 v19, v18
	v_mov_b32_e32 v48, v20
	v_cmp_ne_u16_sdwa s2, v49, v69 src0_sel:BYTE_1 src1_sel:DWORD
	v_mov_b32_e32 v47, v19
	s_and_saveexec_b32 s42, s2
	s_cbranch_execz .LBB180_96
; %bb.91:                               ;   in Loop: Header=BB180_12 Depth=1
	v_and_b32_sdwa v17, v70, v49 dst_sel:DWORD dst_unused:UNUSED_PAD src0_sel:DWORD src1_sel:BYTE_1
	v_mov_b32_e32 v21, v18
	v_mov_b32_e32 v48, v22
	s_mov_b32 s43, exec_lo
	v_and_b32_e32 v50, 0x7f, v17
	v_mov_b32_e32 v47, v21
	v_cmpx_ne_u32_e32 0x7f, v50
	s_cbranch_execz .LBB180_95
; %bb.92:                               ;   in Loop: Header=BB180_12 Depth=1
	v_and_b32_e32 v17, 7, v17
	v_lshrrev_b32_e32 v19, 3, v50
	s_mov_b32 s44, exec_lo
	v_cmpx_gt_u32_e32 8, v50
; %bb.93:                               ;   in Loop: Header=BB180_12 Depth=1
	v_ffbh_u32_e32 v19, v17
	v_min_u32_e32 v19, 32, v19
	v_subrev_nc_u32_e32 v21, 28, v19
	v_sub_nc_u32_e32 v19, 29, v19
	v_lshlrev_b64 v[47:48], v21, v[17:18]
	v_and_b32_e32 v17, 7, v47
; %bb.94:                               ;   in Loop: Header=BB180_12 Depth=1
	s_or_b32 exec_lo, exec_lo, s44
	v_lshlrev_b32_e32 v21, 16, v49
	v_lshlrev_b32_e32 v17, 20, v17
	v_lshl_add_u32 v19, v19, 23, 0x3c000000
	v_mov_b32_e32 v47, v18
	v_and_b32_e32 v21, 0x80000000, v21
	v_or3_b32 v48, v17, v21, v19
.LBB180_95:                             ;   in Loop: Header=BB180_12 Depth=1
	s_or_b32 exec_lo, exec_lo, s43
.LBB180_96:                             ;   in Loop: Header=BB180_12 Depth=1
	s_or_b32 exec_lo, exec_lo, s42
.LBB180_97:                             ;   in Loop: Header=BB180_12 Depth=1
	s_or_b32 exec_lo, exec_lo, s41
	global_load_ushort v17, v[31:32], off offset:260
	v_mov_b32_e32 v51, 0
	v_mov_b32_e32 v49, 0
	;; [unrolled: 1-line block ×4, first 2 shown]
	s_waitcnt vmcnt(0)
	v_and_b32_e32 v53, 0xffff, v17
	v_cmp_ne_u16_sdwa s2, v17, v18 src0_sel:BYTE_0 src1_sel:DWORD
	s_and_saveexec_b32 s41, s2
	s_cbranch_execz .LBB180_105
; %bb.98:                               ;   in Loop: Header=BB180_12 Depth=1
	v_bfrev_b32_e32 v49, 1
	v_mov_b32_e32 v50, 0
	v_cmp_ne_u16_sdwa s2, v53, v69 src0_sel:BYTE_0 src1_sel:DWORD
	s_and_saveexec_b32 s42, s2
	s_cbranch_execz .LBB180_104
; %bb.99:                               ;   in Loop: Header=BB180_12 Depth=1
	v_mov_b32_e32 v49, 0x7f800001
	v_and_b32_e32 v21, 0x7f, v53
	v_mov_b32_e32 v50, 0
	s_mov_b32 s43, exec_lo
	v_cmpx_ne_u32_e32 0x7f, v21
	s_cbranch_execz .LBB180_103
; %bb.100:                              ;   in Loop: Header=BB180_12 Depth=1
	v_and_b32_e32 v17, 7, v53
	v_lshrrev_b32_e32 v19, 3, v21
	s_mov_b32 s44, exec_lo
	v_cmpx_gt_u32_e32 8, v21
; %bb.101:                              ;   in Loop: Header=BB180_12 Depth=1
	v_ffbh_u32_e32 v19, v17
	v_min_u32_e32 v19, 32, v19
	v_subrev_nc_u32_e32 v21, 28, v19
	v_sub_nc_u32_e32 v19, 29, v19
	v_lshlrev_b64 v[49:50], v21, v[17:18]
	v_and_b32_e32 v17, 7, v49
; %bb.102:                              ;   in Loop: Header=BB180_12 Depth=1
	s_or_b32 exec_lo, exec_lo, s44
	v_lshlrev_b32_e32 v21, 24, v53
	v_lshlrev_b32_e32 v17, 20, v17
	v_lshl_add_u32 v19, v19, 23, 0x3c000000
	v_and_b32_e32 v21, 0x80000000, v21
	v_or3_b32 v17, v17, v21, v19
	v_mov_b32_e32 v50, v18
	v_mov_b32_e32 v49, v17
.LBB180_103:                            ;   in Loop: Header=BB180_12 Depth=1
	s_or_b32 exec_lo, exec_lo, s43
.LBB180_104:                            ;   in Loop: Header=BB180_12 Depth=1
	s_or_b32 exec_lo, exec_lo, s42
.LBB180_105:                            ;   in Loop: Header=BB180_12 Depth=1
	s_or_b32 exec_lo, exec_lo, s41
	v_cmp_ne_u16_sdwa s2, v53, v18 src0_sel:BYTE_1 src1_sel:DWORD
	s_and_saveexec_b32 s41, s2
	s_cbranch_execz .LBB180_113
; %bb.106:                              ;   in Loop: Header=BB180_12 Depth=1
	v_mov_b32_e32 v19, v18
	v_mov_b32_e32 v52, v20
	v_cmp_ne_u16_sdwa s2, v53, v69 src0_sel:BYTE_1 src1_sel:DWORD
	v_mov_b32_e32 v51, v19
	s_and_saveexec_b32 s42, s2
	s_cbranch_execz .LBB180_112
; %bb.107:                              ;   in Loop: Header=BB180_12 Depth=1
	v_and_b32_sdwa v17, v70, v53 dst_sel:DWORD dst_unused:UNUSED_PAD src0_sel:DWORD src1_sel:BYTE_1
	v_mov_b32_e32 v21, v18
	v_mov_b32_e32 v52, v22
	s_mov_b32 s43, exec_lo
	v_and_b32_e32 v54, 0x7f, v17
	v_mov_b32_e32 v51, v21
	v_cmpx_ne_u32_e32 0x7f, v54
	s_cbranch_execz .LBB180_111
; %bb.108:                              ;   in Loop: Header=BB180_12 Depth=1
	v_and_b32_e32 v17, 7, v17
	v_lshrrev_b32_e32 v19, 3, v54
	s_mov_b32 s44, exec_lo
	v_cmpx_gt_u32_e32 8, v54
; %bb.109:                              ;   in Loop: Header=BB180_12 Depth=1
	v_ffbh_u32_e32 v19, v17
	v_min_u32_e32 v19, 32, v19
	v_subrev_nc_u32_e32 v21, 28, v19
	v_sub_nc_u32_e32 v19, 29, v19
	v_lshlrev_b64 v[51:52], v21, v[17:18]
	v_and_b32_e32 v17, 7, v51
; %bb.110:                              ;   in Loop: Header=BB180_12 Depth=1
	s_or_b32 exec_lo, exec_lo, s44
	v_lshlrev_b32_e32 v21, 16, v53
	v_lshlrev_b32_e32 v17, 20, v17
	v_lshl_add_u32 v19, v19, 23, 0x3c000000
	v_mov_b32_e32 v51, v18
	v_and_b32_e32 v21, 0x80000000, v21
	v_or3_b32 v52, v17, v21, v19
.LBB180_111:                            ;   in Loop: Header=BB180_12 Depth=1
	s_or_b32 exec_lo, exec_lo, s43
.LBB180_112:                            ;   in Loop: Header=BB180_12 Depth=1
	s_or_b32 exec_lo, exec_lo, s42
.LBB180_113:                            ;   in Loop: Header=BB180_12 Depth=1
	s_or_b32 exec_lo, exec_lo, s41
	global_load_ushort v17, v[31:32], off offset:264
	v_mov_b32_e32 v55, 0
	v_mov_b32_e32 v53, 0
	v_mov_b32_e32 v56, 0
	v_mov_b32_e32 v54, 0
	s_waitcnt vmcnt(0)
	v_and_b32_e32 v57, 0xffff, v17
	v_cmp_ne_u16_sdwa s2, v17, v18 src0_sel:BYTE_0 src1_sel:DWORD
	s_and_saveexec_b32 s41, s2
	s_cbranch_execz .LBB180_121
; %bb.114:                              ;   in Loop: Header=BB180_12 Depth=1
	v_bfrev_b32_e32 v53, 1
	v_mov_b32_e32 v54, 0
	v_cmp_ne_u16_sdwa s2, v57, v69 src0_sel:BYTE_0 src1_sel:DWORD
	s_and_saveexec_b32 s42, s2
	s_cbranch_execz .LBB180_120
; %bb.115:                              ;   in Loop: Header=BB180_12 Depth=1
	v_mov_b32_e32 v53, 0x7f800001
	v_and_b32_e32 v21, 0x7f, v57
	v_mov_b32_e32 v54, 0
	s_mov_b32 s43, exec_lo
	v_cmpx_ne_u32_e32 0x7f, v21
	s_cbranch_execz .LBB180_119
; %bb.116:                              ;   in Loop: Header=BB180_12 Depth=1
	v_and_b32_e32 v17, 7, v57
	v_lshrrev_b32_e32 v19, 3, v21
	s_mov_b32 s44, exec_lo
	v_cmpx_gt_u32_e32 8, v21
; %bb.117:                              ;   in Loop: Header=BB180_12 Depth=1
	v_ffbh_u32_e32 v19, v17
	v_min_u32_e32 v19, 32, v19
	v_subrev_nc_u32_e32 v21, 28, v19
	v_sub_nc_u32_e32 v19, 29, v19
	v_lshlrev_b64 v[53:54], v21, v[17:18]
	v_and_b32_e32 v17, 7, v53
; %bb.118:                              ;   in Loop: Header=BB180_12 Depth=1
	s_or_b32 exec_lo, exec_lo, s44
	v_lshlrev_b32_e32 v21, 24, v57
	v_lshlrev_b32_e32 v17, 20, v17
	v_lshl_add_u32 v19, v19, 23, 0x3c000000
	v_and_b32_e32 v21, 0x80000000, v21
	v_or3_b32 v17, v17, v21, v19
	v_mov_b32_e32 v54, v18
	v_mov_b32_e32 v53, v17
.LBB180_119:                            ;   in Loop: Header=BB180_12 Depth=1
	s_or_b32 exec_lo, exec_lo, s43
.LBB180_120:                            ;   in Loop: Header=BB180_12 Depth=1
	s_or_b32 exec_lo, exec_lo, s42
.LBB180_121:                            ;   in Loop: Header=BB180_12 Depth=1
	s_or_b32 exec_lo, exec_lo, s41
	v_cmp_ne_u16_sdwa s2, v57, v18 src0_sel:BYTE_1 src1_sel:DWORD
	s_and_saveexec_b32 s41, s2
	s_cbranch_execz .LBB180_129
; %bb.122:                              ;   in Loop: Header=BB180_12 Depth=1
	v_mov_b32_e32 v19, v18
	v_mov_b32_e32 v56, v20
	v_cmp_ne_u16_sdwa s2, v57, v69 src0_sel:BYTE_1 src1_sel:DWORD
	v_mov_b32_e32 v55, v19
	s_and_saveexec_b32 s42, s2
	s_cbranch_execz .LBB180_128
; %bb.123:                              ;   in Loop: Header=BB180_12 Depth=1
	v_and_b32_sdwa v17, v70, v57 dst_sel:DWORD dst_unused:UNUSED_PAD src0_sel:DWORD src1_sel:BYTE_1
	v_mov_b32_e32 v21, v18
	v_mov_b32_e32 v56, v22
	s_mov_b32 s43, exec_lo
	v_and_b32_e32 v58, 0x7f, v17
	v_mov_b32_e32 v55, v21
	v_cmpx_ne_u32_e32 0x7f, v58
	s_cbranch_execz .LBB180_127
; %bb.124:                              ;   in Loop: Header=BB180_12 Depth=1
	v_and_b32_e32 v17, 7, v17
	v_lshrrev_b32_e32 v19, 3, v58
	s_mov_b32 s44, exec_lo
	v_cmpx_gt_u32_e32 8, v58
; %bb.125:                              ;   in Loop: Header=BB180_12 Depth=1
	v_ffbh_u32_e32 v19, v17
	v_min_u32_e32 v19, 32, v19
	v_subrev_nc_u32_e32 v21, 28, v19
	v_sub_nc_u32_e32 v19, 29, v19
	v_lshlrev_b64 v[55:56], v21, v[17:18]
	v_and_b32_e32 v17, 7, v55
; %bb.126:                              ;   in Loop: Header=BB180_12 Depth=1
	s_or_b32 exec_lo, exec_lo, s44
	v_lshlrev_b32_e32 v21, 16, v57
	v_lshlrev_b32_e32 v17, 20, v17
	v_lshl_add_u32 v19, v19, 23, 0x3c000000
	v_mov_b32_e32 v55, v18
	v_and_b32_e32 v21, 0x80000000, v21
	v_or3_b32 v56, v17, v21, v19
.LBB180_127:                            ;   in Loop: Header=BB180_12 Depth=1
	s_or_b32 exec_lo, exec_lo, s43
.LBB180_128:                            ;   in Loop: Header=BB180_12 Depth=1
	s_or_b32 exec_lo, exec_lo, s42
.LBB180_129:                            ;   in Loop: Header=BB180_12 Depth=1
	s_or_b32 exec_lo, exec_lo, s41
	global_load_ushort v17, v[31:32], off offset:268
	v_mov_b32_e32 v57, 0
	v_mov_b32_e32 v31, 0
	;; [unrolled: 1-line block ×4, first 2 shown]
	s_waitcnt vmcnt(0)
	v_and_b32_e32 v75, 0xffff, v17
	v_cmp_ne_u16_sdwa s2, v17, v18 src0_sel:BYTE_0 src1_sel:DWORD
	s_and_saveexec_b32 s41, s2
	s_cbranch_execz .LBB180_137
; %bb.130:                              ;   in Loop: Header=BB180_12 Depth=1
	v_bfrev_b32_e32 v31, 1
	v_mov_b32_e32 v32, 0
	v_cmp_ne_u16_sdwa s2, v75, v69 src0_sel:BYTE_0 src1_sel:DWORD
	s_and_saveexec_b32 s42, s2
	s_cbranch_execz .LBB180_136
; %bb.131:                              ;   in Loop: Header=BB180_12 Depth=1
	v_mov_b32_e32 v31, 0x7f800001
	v_and_b32_e32 v21, 0x7f, v75
	v_mov_b32_e32 v32, 0
	s_mov_b32 s43, exec_lo
	v_cmpx_ne_u32_e32 0x7f, v21
	s_cbranch_execz .LBB180_135
; %bb.132:                              ;   in Loop: Header=BB180_12 Depth=1
	v_and_b32_e32 v17, 7, v75
	v_lshrrev_b32_e32 v19, 3, v21
	s_mov_b32 s44, exec_lo
	v_cmpx_gt_u32_e32 8, v21
; %bb.133:                              ;   in Loop: Header=BB180_12 Depth=1
	v_ffbh_u32_e32 v19, v17
	v_min_u32_e32 v19, 32, v19
	v_subrev_nc_u32_e32 v21, 28, v19
	v_sub_nc_u32_e32 v19, 29, v19
	v_lshlrev_b64 v[31:32], v21, v[17:18]
	v_and_b32_e32 v17, 7, v31
; %bb.134:                              ;   in Loop: Header=BB180_12 Depth=1
	s_or_b32 exec_lo, exec_lo, s44
	v_lshlrev_b32_e32 v21, 24, v75
	v_lshlrev_b32_e32 v17, 20, v17
	v_lshl_add_u32 v19, v19, 23, 0x3c000000
	v_and_b32_e32 v21, 0x80000000, v21
	v_or3_b32 v17, v17, v21, v19
	v_mov_b32_e32 v32, v18
	v_mov_b32_e32 v31, v17
.LBB180_135:                            ;   in Loop: Header=BB180_12 Depth=1
	s_or_b32 exec_lo, exec_lo, s43
.LBB180_136:                            ;   in Loop: Header=BB180_12 Depth=1
	s_or_b32 exec_lo, exec_lo, s42
.LBB180_137:                            ;   in Loop: Header=BB180_12 Depth=1
	s_or_b32 exec_lo, exec_lo, s41
	v_cmp_ne_u16_sdwa s2, v75, v18 src0_sel:BYTE_1 src1_sel:DWORD
	s_and_saveexec_b32 s41, s2
	s_cbranch_execz .LBB180_145
; %bb.138:                              ;   in Loop: Header=BB180_12 Depth=1
	v_mov_b32_e32 v19, v18
	v_mov_b32_e32 v58, v20
	v_cmp_ne_u16_sdwa s2, v75, v69 src0_sel:BYTE_1 src1_sel:DWORD
	v_mov_b32_e32 v57, v19
	s_and_saveexec_b32 s42, s2
	s_cbranch_execz .LBB180_144
; %bb.139:                              ;   in Loop: Header=BB180_12 Depth=1
	v_and_b32_sdwa v17, v70, v75 dst_sel:DWORD dst_unused:UNUSED_PAD src0_sel:DWORD src1_sel:BYTE_1
	v_mov_b32_e32 v21, v18
	v_mov_b32_e32 v58, v22
	s_mov_b32 s43, exec_lo
	v_and_b32_e32 v76, 0x7f, v17
	v_mov_b32_e32 v57, v21
	v_cmpx_ne_u32_e32 0x7f, v76
	s_cbranch_execz .LBB180_143
; %bb.140:                              ;   in Loop: Header=BB180_12 Depth=1
	v_and_b32_e32 v17, 7, v17
	v_lshrrev_b32_e32 v19, 3, v76
	s_mov_b32 s44, exec_lo
	v_cmpx_gt_u32_e32 8, v76
; %bb.141:                              ;   in Loop: Header=BB180_12 Depth=1
	v_ffbh_u32_e32 v19, v17
	v_min_u32_e32 v19, 32, v19
	v_subrev_nc_u32_e32 v21, 28, v19
	v_sub_nc_u32_e32 v19, 29, v19
	v_lshlrev_b64 v[57:58], v21, v[17:18]
	v_and_b32_e32 v17, 7, v57
; %bb.142:                              ;   in Loop: Header=BB180_12 Depth=1
	s_or_b32 exec_lo, exec_lo, s44
	v_lshlrev_b32_e32 v21, 16, v75
	v_lshlrev_b32_e32 v17, 20, v17
	v_lshl_add_u32 v19, v19, 23, 0x3c000000
	v_mov_b32_e32 v57, v18
	v_and_b32_e32 v21, 0x80000000, v21
	v_or3_b32 v58, v17, v21, v19
.LBB180_143:                            ;   in Loop: Header=BB180_12 Depth=1
	s_or_b32 exec_lo, exec_lo, s43
.LBB180_144:                            ;   in Loop: Header=BB180_12 Depth=1
	s_or_b32 exec_lo, exec_lo, s42
.LBB180_145:                            ;   in Loop: Header=BB180_12 Depth=1
	s_or_b32 exec_lo, exec_lo, s41
	v_or_b32_e32 v33, v35, v33
	v_or_b32_e32 v34, v36, v34
	;; [unrolled: 1-line block ×5, first 2 shown]
	s_waitcnt lgkmcnt(0)
	v_mul_f32_e32 v29, s40, v33
	v_mul_f32_e32 v30, s40, v34
	v_or_b32_e32 v33, v39, v37
	v_mul_f32_e32 v28, s40, v28
	v_mul_f32_e32 v27, s40, v27
	;; [unrolled: 1-line block ×4, first 2 shown]
	v_or_b32_e32 v42, v44, v42
	v_or_b32_e32 v29, v43, v41
	v_mul_f32_e32 v30, s40, v35
	v_mul_f32_e32 v33, s40, v33
	v_fmac_f32_e32 v15, v13, v27
	v_fmac_f32_e32 v16, v14, v28
	v_or_b32_e32 v46, v48, v46
	v_or_b32_e32 v13, v47, v45
	v_mul_f32_e32 v14, s40, v42
	v_mul_f32_e32 v27, s40, v29
	v_fmac_f32_e32 v15, v9, v33
	v_fmac_f32_e32 v16, v10, v30
	;; [unrolled: 6-line block ×4, first 2 shown]
	v_mul_f32_e32 v11, s40, v17
	v_mul_f32_e32 v5, s40, v19
	v_or_b32_e32 v6, v58, v32
	v_or_b32_e32 v10, v57, v31
	v_fmac_f32_e32 v15, v7, v9
	v_fmac_f32_e32 v16, v8, v12
	v_xor_b32_e32 v7, 1, v63
	v_mul_f32_e32 v6, s40, v6
	v_mul_f32_e32 v8, s40, v10
	v_fmac_f32_e32 v15, v1, v5
	v_fmac_f32_e32 v16, v2, v11
	v_cmp_gt_i32_e64 s2, 32, v7
	v_fmac_f32_e32 v15, v3, v8
	v_fmac_f32_e32 v16, v4, v6
	v_cndmask_b32_e64 v1, v63, v7, s2
	v_lshlrev_b32_e32 v2, 2, v1
	v_add_f32_e32 v1, v15, v16
	ds_bpermute_b32 v2, v2, v1
	s_and_saveexec_b32 s40, vcc_lo
	s_cbranch_execz .LBB180_10
; %bb.146:                              ;   in Loop: Header=BB180_12 Depth=1
	v_add_nc_u32_e32 v3, v71, v67
	s_waitcnt lgkmcnt(0)
	v_add_f32_e32 v1, v1, v2
	v_cvt_f32_i32_e32 v3, v3
	v_mul_f32_e32 v3, s36, v3
	v_cndmask_b32_e64 v2, 0, v3, s1
	v_max_f32_e32 v3, v66, v66
	v_fmac_f32_e32 v2, s35, v1
	v_add_nc_u32_e32 v1, v64, v67
	v_max_f32_e32 v3, v3, v2
	v_cmp_gt_i32_e64 s2, s33, v1
	v_cndmask_b32_e64 v1, 0, v2, s2
	v_cndmask_b32_e64 v66, v66, v3, s2
	ds_write_b32 v72, v1
	s_branch .LBB180_10
.LBB180_147:
	s_or_b32 exec_lo, exec_lo, s38
.LBB180_148:
	s_or_b32 exec_lo, exec_lo, s37
	v_xor_b32_e32 v1, 16, v63
	v_xor_b32_e32 v3, 8, v63
	v_max_f32_e32 v4, v66, v66
	v_xor_b32_e32 v5, 4, v63
	v_and_b32_e32 v25, 31, v0
	v_cmp_gt_i32_e32 vcc_lo, 32, v1
	v_cndmask_b32_e32 v1, v63, v1, vcc_lo
	v_cmp_gt_i32_e32 vcc_lo, 32, v3
	v_lshlrev_b32_e32 v1, 2, v1
	v_cndmask_b32_e32 v3, v63, v3, vcc_lo
	v_cmp_gt_i32_e32 vcc_lo, 32, v5
	s_waitcnt lgkmcnt(0)
	ds_bpermute_b32 v2, v1, v66
	v_lshlrev_b32_e32 v3, 2, v3
	v_cndmask_b32_e32 v5, v63, v5, vcc_lo
	s_waitcnt lgkmcnt(0)
	v_max_f32_e32 v2, v2, v2
	v_max_f32_e32 v2, v4, v2
	ds_bpermute_b32 v4, v3, v2
	s_waitcnt lgkmcnt(0)
	v_max_f32_e32 v6, v4, v4
	v_lshlrev_b32_e32 v4, 2, v5
	v_max_f32_e32 v2, v2, v6
	v_xor_b32_e32 v6, 2, v63
	ds_bpermute_b32 v5, v4, v2
	v_cmp_gt_i32_e32 vcc_lo, 32, v6
	v_cndmask_b32_e32 v6, v63, v6, vcc_lo
	v_cmp_eq_u32_e32 vcc_lo, 0, v25
	v_lshlrev_b32_e32 v26, 2, v6
	s_waitcnt lgkmcnt(0)
	v_max_f32_e32 v5, v5, v5
	v_max_f32_e32 v2, v2, v5
	v_lshlrev_b32_e32 v5, 2, v59
	ds_bpermute_b32 v6, v26, v2
	s_and_saveexec_b32 s1, vcc_lo
	s_cbranch_execz .LBB180_150
; %bb.149:
	s_waitcnt lgkmcnt(0)
	v_max_f32_e32 v6, v6, v6
	v_max_f32_e32 v2, v2, v2
	;; [unrolled: 1-line block ×3, first 2 shown]
	ds_write_b32 v5, v2 offset:128
.LBB180_150:
	s_or_b32 exec_lo, exec_lo, s1
	v_cmp_gt_u32_e64 s1, 4, v25
	v_mov_b32_e32 v2, 0xff7fffff
	s_waitcnt lgkmcnt(0)
	v_lshlrev_b32_e32 v6, 2, v25
	s_barrier
	buffer_gl0_inv
	s_and_saveexec_b32 s2, s1
; %bb.151:
	ds_read_b32 v2, v6 offset:128
; %bb.152:
	s_or_b32 exec_lo, exec_lo, s2
	s_waitcnt lgkmcnt(0)
	ds_bpermute_b32 v7, v26, v2
	v_xor_b32_e32 v8, 1, v63
	v_max_f32_e32 v2, v2, v2
	v_cmp_gt_i32_e64 s2, 32, v8
	v_cndmask_b32_e64 v8, v63, v8, s2
	s_lshl_b32 s2, s20, 4
	s_min_i32 s4, s2, s33
	v_lshlrev_b32_e32 v27, 2, v8
	v_cmp_gt_i32_e64 s2, s4, v0
	s_waitcnt lgkmcnt(0)
	v_max_f32_e32 v7, v7, v7
	v_max_f32_e32 v2, v2, v7
	ds_bpermute_b32 v7, v27, v2
	s_waitcnt lgkmcnt(0)
	v_max_f32_e32 v7, v7, v7
	v_max_f32_e32 v2, v2, v7
	v_mov_b32_e32 v7, 0
	ds_bpermute_b32 v8, v7, v2
	v_lshl_add_u32 v2, v0, 2, 0xa0
	s_and_saveexec_b32 s5, s2
	s_cbranch_execz .LBB180_156
; %bb.153:
	v_lshl_add_u32 v9, v0, 2, 0xa0
	v_mov_b32_e32 v7, 0
	v_mov_b32_e32 v10, v0
	s_mov_b32 s12, 0
	.p2align	6
.LBB180_154:                            ; =>This Inner Loop Header: Depth=1
	ds_read_b32 v11, v9
	v_add_nc_u32_e32 v10, 0x80, v10
	v_cmp_le_i32_e64 s3, s4, v10
	s_or_b32 s12, s3, s12
	s_waitcnt lgkmcnt(0)
	v_sub_f32_e32 v11, v11, v8
	v_mul_f32_e32 v11, 0x3fb8aa3b, v11
	v_exp_f32_e32 v11, v11
	ds_write_b32 v9, v11
	v_add_f32_e32 v7, v7, v11
	v_add_nc_u32_e32 v9, 0x200, v9
	s_andn2_b32 exec_lo, exec_lo, s12
	s_cbranch_execnz .LBB180_154
; %bb.155:
	s_or_b32 exec_lo, exec_lo, s12
.LBB180_156:
	s_or_b32 exec_lo, exec_lo, s5
	ds_bpermute_b32 v1, v1, v7
	s_waitcnt lgkmcnt(0)
	v_add_f32_e32 v1, v7, v1
	ds_bpermute_b32 v3, v3, v1
	s_waitcnt lgkmcnt(0)
	v_add_f32_e32 v1, v1, v3
	;; [unrolled: 3-line block ×5, first 2 shown]
	s_and_saveexec_b32 s3, vcc_lo
; %bb.157:
	ds_write_b32 v5, v1 offset:144
; %bb.158:
	s_or_b32 exec_lo, exec_lo, s3
	s_waitcnt lgkmcnt(0)
	s_barrier
	buffer_gl0_inv
	s_and_saveexec_b32 s3, s1
; %bb.159:
	ds_read_b32 v1, v6 offset:144
; %bb.160:
	s_or_b32 exec_lo, exec_lo, s3
	s_waitcnt lgkmcnt(0)
	ds_bpermute_b32 v3, v26, v1
	s_waitcnt lgkmcnt(0)
	v_add_f32_e32 v1, v1, v3
	ds_bpermute_b32 v3, v27, v1
	s_waitcnt lgkmcnt(0)
	v_add_f32_e32 v1, v1, v3
	v_mov_b32_e32 v3, 0
	ds_bpermute_b32 v1, v3, v1
	s_and_saveexec_b32 s1, s2
	s_cbranch_execz .LBB180_163
; %bb.161:
	s_waitcnt lgkmcnt(0)
	v_add_f32_e32 v1, 0x358637bd, v1
	s_mov_b32 s2, 0
	v_div_scale_f32 v3, null, v1, v1, 1.0
	v_div_scale_f32 v6, vcc_lo, 1.0, v1, 1.0
	v_rcp_f32_e32 v4, v3
	v_fma_f32 v5, -v3, v4, 1.0
	v_fmac_f32_e32 v4, v5, v4
	v_mul_f32_e32 v5, v6, v4
	v_fma_f32 v7, -v3, v5, v6
	v_fmac_f32_e32 v5, v7, v4
	v_fma_f32 v3, -v3, v5, v6
	v_div_fmas_f32 v3, v3, v4, v5
	v_div_fixup_f32 v1, v3, v1, 1.0
	v_mov_b32_e32 v3, v0
.LBB180_162:                            ; =>This Inner Loop Header: Depth=1
	ds_read_b32 v4, v2
	v_add_nc_u32_e32 v3, 0x80, v3
	v_cmp_le_i32_e32 vcc_lo, s4, v3
	s_or_b32 s2, vcc_lo, s2
	s_waitcnt lgkmcnt(0)
	v_mul_f32_e32 v4, v1, v4
	ds_write_b32 v2, v4
	v_add_nc_u32_e32 v2, 0x200, v2
	s_andn2_b32 exec_lo, exec_lo, s2
	s_cbranch_execnz .LBB180_162
.LBB180_163:
	s_or_b32 exec_lo, exec_lo, s1
	v_mov_b32_e32 v32, 0
	v_and_b32_e32 v28, 3, v0
	v_mov_b32_e32 v31, 0
	v_mov_b32_e32 v30, 0
	;; [unrolled: 1-line block ×3, first 2 shown]
	s_waitcnt lgkmcnt(0)
	s_barrier
	buffer_gl0_inv
	s_and_saveexec_b32 s1, s0
	s_cbranch_execz .LBB180_305
; %bb.164:
	s_sub_i32 s2, s34, s21
	s_ashr_i32 s0, s18, 31
	s_add_u32 s5, s30, s18
	s_addc_u32 s0, s31, s0
	s_abs_i32 s3, s22
	v_and_b32_e32 v2, 0x7c, v61
	v_cvt_f32_u32_e32 v1, s3
	s_sub_i32 s4, 0, s3
	v_lshlrev_b32_e32 v4, 4, v28
	v_and_b32_e32 v3, 0x7c, v62
	v_add_co_u32 v11, s5, s5, v2
	v_rcp_iflag_f32_e32 v1, v1
	s_lshl_b64 s[12:13], s[28:29], 2
	v_lshl_or_b32 v4, v59, 6, v4
	v_add_co_ci_u32_e64 v12, null, s0, 0, s5
	v_and_b32_e32 v33, 12, v61
	v_mov_b32_e32 v6, 0
	v_mov_b32_e32 v34, 0x80
	v_bfrev_b32_e32 v8, 1
	v_mov_b32_e32 v35, 0xffff
	v_mul_f32_e32 v1, 0x4f7ffffe, v1
	v_mov_b32_e32 v10, 0x7f800001
	v_mov_b32_e32 v36, 0xff
	;; [unrolled: 1-line block ×4, first 2 shown]
	v_cvt_u32_f32_e32 v1, v1
	v_mov_b32_e32 v29, 0
	v_mov_b32_e32 v30, 0
	;; [unrolled: 1-line block ×4, first 2 shown]
	v_mul_lo_u32 v5, s4, v1
	s_add_i32 s4, s20, -1
	s_add_u32 s0, s26, s12
	s_addc_u32 s5, s27, s13
	v_add_co_u32 v13, s0, s0, v3
	v_add_co_ci_u32_e64 v14, null, s5, 0, s0
	v_mul_hi_u32 v2, v1, v5
	v_add_nc_u32_e32 v39, 0xa0, v4
	v_mov_b32_e32 v41, v59
	s_mov_b32 s12, s17
	s_mov_b32 s5, 0
	v_add_nc_u32_e32 v40, v1, v2
	s_branch .LBB180_167
.LBB180_165:                            ;   in Loop: Header=BB180_167 Depth=1
	s_or_b32 exec_lo, exec_lo, s0
	v_mul_f32_e32 v16, v1, v55
	v_mul_f32_e32 v17, v1, v53
	;; [unrolled: 1-line block ×4, first 2 shown]
	v_fmac_f32_e32 v16, v2, v54
	v_fmac_f32_e32 v17, v2, v52
	;; [unrolled: 1-line block ×12, first 2 shown]
	v_add_f32_e32 v30, v30, v16
	v_add_f32_e32 v31, v31, v17
	;; [unrolled: 1-line block ×4, first 2 shown]
.LBB180_166:                            ;   in Loop: Header=BB180_167 Depth=1
	s_or_b32 exec_lo, exec_lo, s13
	v_add_nc_u32_e32 v41, 4, v41
	v_add_co_u32 v13, s0, v13, 16
	v_add_co_ci_u32_e64 v14, null, 0, v14, s0
	v_cmp_le_i32_e32 vcc_lo, s20, v41
	v_add_nc_u32_e32 v60, 64, v60
	v_add_nc_u32_e32 v39, 0x100, v39
	s_or_b32 s5, vcc_lo, s5
	s_andn2_b32 exec_lo, exec_lo, s5
	s_cbranch_execz .LBB180_304
.LBB180_167:                            ; =>This Inner Loop Header: Depth=1
	v_mul_hi_u32 v1, v60, s19
	v_mul_lo_u32 v2, v1, s16
	v_add_nc_u32_e32 v3, 1, v1
	v_sub_nc_u32_e32 v2, v60, v2
	v_subrev_nc_u32_e32 v4, s16, v2
	v_cmp_le_u32_e32 vcc_lo, s16, v2
	v_cndmask_b32_e32 v1, v1, v3, vcc_lo
	v_cndmask_b32_e32 v2, v2, v4, vcc_lo
	v_add_nc_u32_e32 v3, 1, v1
	v_cmp_le_u32_e32 vcc_lo, s16, v2
	v_cndmask_b32_e32 v1, v1, v3, vcc_lo
	v_xor_b32_e32 v1, s23, v1
	v_subrev_nc_u32_e32 v1, s23, v1
	v_add_nc_u32_e32 v2, s25, v1
	v_cmp_lt_i32_e64 s0, s2, v1
	v_sub_nc_u32_e32 v3, 0, v2
	v_max_i32_e32 v3, v2, v3
	v_ashrrev_i32_e32 v2, 31, v2
	v_mul_hi_u32 v4, v3, v40
	v_mul_lo_u32 v4, v4, s3
	v_sub_nc_u32_e32 v3, v3, v4
	v_subrev_nc_u32_e32 v4, s3, v3
	v_cmp_le_u32_e32 vcc_lo, s3, v3
	v_cndmask_b32_e32 v3, v3, v4, vcc_lo
	v_subrev_nc_u32_e32 v4, s3, v3
	v_cmp_le_u32_e32 vcc_lo, s3, v3
	v_cndmask_b32_e32 v3, v3, v4, vcc_lo
	v_xor_b32_e32 v3, v3, v2
	v_sub_nc_u32_e32 v2, v3, v2
	v_cmp_eq_u32_e32 vcc_lo, 0, v2
	s_or_b32 s0, vcc_lo, s0
	s_and_saveexec_b32 s13, s0
	s_cbranch_execz .LBB180_166
; %bb.168:                              ;   in Loop: Header=BB180_167 Depth=1
	global_load_dword v1, v[13:14], off
	s_load_dword s17, s[14:15], 0x0
	v_mov_b32_e32 v19, 0
	v_mov_b32_e32 v17, 0
	;; [unrolled: 1-line block ×4, first 2 shown]
	s_waitcnt vmcnt(0)
	v_mad_i64_i32 v[15:16], null, v1, s12, v[11:12]
	ds_read_b128 v[1:4], v39
	global_load_dword v42, v[15:16], off
	s_waitcnt vmcnt(0)
	v_cmp_ne_u16_sdwa s18, v42, v6 src0_sel:BYTE_0 src1_sel:DWORD
	s_and_saveexec_b32 s0, s18
	s_cbranch_execz .LBB180_176
; %bb.169:                              ;   in Loop: Header=BB180_167 Depth=1
	v_bfrev_b32_e32 v17, 1
	v_mov_b32_e32 v18, 0
	v_cmp_ne_u16_sdwa s21, v42, v34 src0_sel:BYTE_0 src1_sel:DWORD
	s_and_saveexec_b32 s18, s21
	s_cbranch_execz .LBB180_175
; %bb.170:                              ;   in Loop: Header=BB180_167 Depth=1
	v_mov_b32_e32 v17, 0x7f800001
	v_and_b32_e32 v9, 0x7f, v42
	v_mov_b32_e32 v18, 0
	s_mov_b32 s21, exec_lo
	v_cmpx_ne_u32_e32 0x7f, v9
	s_cbranch_execz .LBB180_174
; %bb.171:                              ;   in Loop: Header=BB180_167 Depth=1
	v_and_b32_e32 v5, 7, v42
	v_lshrrev_b32_e32 v7, 3, v9
	s_mov_b32 s22, exec_lo
	v_cmpx_gt_u32_e32 8, v9
; %bb.172:                              ;   in Loop: Header=BB180_167 Depth=1
	v_ffbh_u32_e32 v7, v5
	v_min_u32_e32 v7, 32, v7
	v_subrev_nc_u32_e32 v9, 28, v7
	v_sub_nc_u32_e32 v7, 29, v7
	v_lshlrev_b64 v[17:18], v9, v[5:6]
	v_and_b32_e32 v5, 7, v17
; %bb.173:                              ;   in Loop: Header=BB180_167 Depth=1
	s_or_b32 exec_lo, exec_lo, s22
	v_lshlrev_b32_e32 v9, 24, v42
	v_lshlrev_b32_e32 v5, 20, v5
	v_lshl_add_u32 v7, v7, 23, 0x3c000000
	v_and_b32_e32 v9, 0x80000000, v9
	v_or3_b32 v5, v5, v9, v7
	v_mov_b32_e32 v18, v6
	v_mov_b32_e32 v17, v5
.LBB180_174:                            ;   in Loop: Header=BB180_167 Depth=1
	s_or_b32 exec_lo, exec_lo, s21
.LBB180_175:                            ;   in Loop: Header=BB180_167 Depth=1
	s_or_b32 exec_lo, exec_lo, s18
.LBB180_176:                            ;   in Loop: Header=BB180_167 Depth=1
	s_or_b32 exec_lo, exec_lo, s0
	v_cmp_ne_u16_sdwa s18, v42, v6 src0_sel:BYTE_1 src1_sel:DWORD
	s_and_saveexec_b32 s0, s18
	s_cbranch_execz .LBB180_184
; %bb.177:                              ;   in Loop: Header=BB180_167 Depth=1
	v_mov_b32_e32 v7, v6
	v_mov_b32_e32 v20, v8
	v_cmp_ne_u16_sdwa s21, v42, v34 src0_sel:BYTE_1 src1_sel:DWORD
	v_mov_b32_e32 v19, v7
	s_and_saveexec_b32 s18, s21
	s_cbranch_execz .LBB180_183
; %bb.178:                              ;   in Loop: Header=BB180_167 Depth=1
	v_and_b32_sdwa v5, v35, v42 dst_sel:DWORD dst_unused:UNUSED_PAD src0_sel:DWORD src1_sel:BYTE_1
	v_mov_b32_e32 v9, v6
	v_mov_b32_e32 v20, v10
	s_mov_b32 s21, exec_lo
	v_and_b32_e32 v21, 0x7f, v5
	v_mov_b32_e32 v19, v9
	v_cmpx_ne_u32_e32 0x7f, v21
	s_cbranch_execz .LBB180_182
; %bb.179:                              ;   in Loop: Header=BB180_167 Depth=1
	v_and_b32_e32 v5, 7, v5
	v_lshrrev_b32_e32 v7, 3, v21
	s_mov_b32 s22, exec_lo
	v_cmpx_gt_u32_e32 8, v21
; %bb.180:                              ;   in Loop: Header=BB180_167 Depth=1
	v_ffbh_u32_e32 v7, v5
	v_min_u32_e32 v7, 32, v7
	v_subrev_nc_u32_e32 v9, 28, v7
	v_sub_nc_u32_e32 v7, 29, v7
	v_lshlrev_b64 v[19:20], v9, v[5:6]
	v_and_b32_e32 v5, 7, v19
; %bb.181:                              ;   in Loop: Header=BB180_167 Depth=1
	s_or_b32 exec_lo, exec_lo, s22
	v_lshlrev_b32_e32 v9, 16, v42
	v_lshlrev_b32_e32 v5, 20, v5
	v_lshl_add_u32 v7, v7, 23, 0x3c000000
	v_mov_b32_e32 v19, v6
	v_and_b32_e32 v9, 0x80000000, v9
	v_or3_b32 v20, v5, v9, v7
.LBB180_182:                            ;   in Loop: Header=BB180_167 Depth=1
	s_or_b32 exec_lo, exec_lo, s21
.LBB180_183:                            ;   in Loop: Header=BB180_167 Depth=1
	s_or_b32 exec_lo, exec_lo, s18
.LBB180_184:                            ;   in Loop: Header=BB180_167 Depth=1
	s_or_b32 exec_lo, exec_lo, s0
	v_mov_b32_e32 v23, 0
	v_mov_b32_e32 v21, 0
	v_and_b32_sdwa v5, v42, v36 dst_sel:DWORD dst_unused:UNUSED_PAD src0_sel:WORD_1 src1_sel:DWORD
	v_mov_b32_e32 v24, 0
	v_mov_b32_e32 v22, 0
	s_mov_b32 s0, exec_lo
	v_cmpx_ne_u16_e32 0, v5
	s_cbranch_execz .LBB180_192
; %bb.185:                              ;   in Loop: Header=BB180_167 Depth=1
	v_bfrev_b32_e32 v21, 1
	v_mov_b32_e32 v22, 0
	s_mov_b32 s18, exec_lo
	v_cmpx_ne_u16_e32 0x80, v5
	s_cbranch_execz .LBB180_191
; %bb.186:                              ;   in Loop: Header=BB180_167 Depth=1
	v_mov_b32_e32 v21, 0x7f800001
	v_bfe_u32 v9, v42, 16, 7
	v_mov_b32_e32 v22, 0
	s_mov_b32 s21, exec_lo
	v_cmpx_ne_u32_e32 0x7f, v9
	s_cbranch_execz .LBB180_190
; %bb.187:                              ;   in Loop: Header=BB180_167 Depth=1
	v_and_b32_sdwa v5, v42, v37 dst_sel:DWORD dst_unused:UNUSED_PAD src0_sel:WORD_1 src1_sel:DWORD
	v_lshrrev_b32_e32 v7, 3, v9
	s_mov_b32 s22, exec_lo
	v_cmpx_gt_u32_e32 8, v9
; %bb.188:                              ;   in Loop: Header=BB180_167 Depth=1
	v_ffbh_u32_e32 v7, v5
	v_min_u32_e32 v7, 32, v7
	v_subrev_nc_u32_e32 v9, 28, v7
	v_sub_nc_u32_e32 v7, 29, v7
	v_lshlrev_b64 v[21:22], v9, v[5:6]
	v_and_b32_e32 v5, 7, v21
; %bb.189:                              ;   in Loop: Header=BB180_167 Depth=1
	s_or_b32 exec_lo, exec_lo, s22
	v_lshlrev_b32_sdwa v9, v38, v42 dst_sel:DWORD dst_unused:UNUSED_PAD src0_sel:DWORD src1_sel:WORD_1
	v_lshlrev_b32_e32 v5, 20, v5
	v_lshl_add_u32 v7, v7, 23, 0x3c000000
	v_and_b32_e32 v9, 0x80000000, v9
	v_or3_b32 v5, v5, v9, v7
	v_mov_b32_e32 v22, v6
	v_mov_b32_e32 v21, v5
.LBB180_190:                            ;   in Loop: Header=BB180_167 Depth=1
	s_or_b32 exec_lo, exec_lo, s21
.LBB180_191:                            ;   in Loop: Header=BB180_167 Depth=1
	s_or_b32 exec_lo, exec_lo, s18
.LBB180_192:                            ;   in Loop: Header=BB180_167 Depth=1
	s_or_b32 exec_lo, exec_lo, s0
	s_mov_b32 s0, exec_lo
	v_cmpx_lt_u32_e32 0xffffff, v42
	s_cbranch_execz .LBB180_200
; %bb.193:                              ;   in Loop: Header=BB180_167 Depth=1
	v_mov_b32_e32 v7, v6
	v_mov_b32_e32 v24, v8
	v_cmp_ne_u32_sdwa s21, v42, v34 src0_sel:BYTE_3 src1_sel:DWORD
	v_mov_b32_e32 v23, v7
	s_and_saveexec_b32 s18, s21
	s_cbranch_execz .LBB180_199
; %bb.194:                              ;   in Loop: Header=BB180_167 Depth=1
	v_mov_b32_e32 v9, v6
	v_mov_b32_e32 v24, v10
	v_bfe_u32 v43, v42, 24, 7
	s_mov_b32 s21, exec_lo
	v_mov_b32_e32 v23, v9
	v_cmpx_ne_u32_e32 0x7f, v43
	s_cbranch_execz .LBB180_198
; %bb.195:                              ;   in Loop: Header=BB180_167 Depth=1
	v_and_b32_sdwa v5, v42, v37 dst_sel:DWORD dst_unused:UNUSED_PAD src0_sel:BYTE_3 src1_sel:DWORD
	v_lshrrev_b32_e32 v7, 3, v43
	s_mov_b32 s22, exec_lo
	v_cmpx_gt_u32_e32 8, v43
; %bb.196:                              ;   in Loop: Header=BB180_167 Depth=1
	v_ffbh_u32_e32 v7, v5
	v_min_u32_e32 v7, 32, v7
	v_subrev_nc_u32_e32 v9, 28, v7
	v_sub_nc_u32_e32 v7, 29, v7
	v_lshlrev_b64 v[23:24], v9, v[5:6]
	v_and_b32_e32 v5, 7, v23
; %bb.197:                              ;   in Loop: Header=BB180_167 Depth=1
	s_or_b32 exec_lo, exec_lo, s22
	v_lshlrev_b32_sdwa v9, v38, v42 dst_sel:DWORD dst_unused:UNUSED_PAD src0_sel:DWORD src1_sel:BYTE_3
	v_lshlrev_b32_e32 v5, 20, v5
	v_lshl_add_u32 v7, v7, 23, 0x3c000000
	v_mov_b32_e32 v23, v6
	v_and_b32_e32 v9, 0x80000000, v9
	v_or3_b32 v24, v5, v9, v7
.LBB180_198:                            ;   in Loop: Header=BB180_167 Depth=1
	s_or_b32 exec_lo, exec_lo, s21
.LBB180_199:                            ;   in Loop: Header=BB180_167 Depth=1
	s_or_b32 exec_lo, exec_lo, s18
.LBB180_200:                            ;   in Loop: Header=BB180_167 Depth=1
	s_or_b32 exec_lo, exec_lo, s0
	v_add_nc_u32_e32 v46, v33, v60
	v_or_b32_e32 v5, v20, v18
	v_or_b32_e32 v7, v19, v17
	;; [unrolled: 1-line block ×4, first 2 shown]
	v_cmp_eq_u32_e32 vcc_lo, s4, v41
	s_waitcnt lgkmcnt(0)
	v_mul_f32_e32 v44, s17, v5
	v_mul_f32_e32 v45, s17, v7
	;; [unrolled: 1-line block ×4, first 2 shown]
	v_add_nc_u32_e32 v49, 1, v46
	v_add_nc_u32_e32 v48, 2, v46
	;; [unrolled: 1-line block ×3, first 2 shown]
	s_and_saveexec_b32 s18, vcc_lo
	s_cbranch_execz .LBB180_202
; %bb.201:                              ;   in Loop: Header=BB180_167 Depth=1
	v_cmp_gt_i32_e64 s0, s33, v46
	v_cndmask_b32_e64 v45, 0, v45, s0
	v_cmp_gt_i32_e64 s0, s33, v49
	v_cndmask_b32_e64 v44, 0, v44, s0
	;; [unrolled: 2-line block ×4, first 2 shown]
.LBB180_202:                            ;   in Loop: Header=BB180_167 Depth=1
	s_or_b32 exec_lo, exec_lo, s18
	global_load_dword v50, v[15:16], off offset:128
	v_mov_b32_e32 v19, 0
	v_mov_b32_e32 v17, 0
	;; [unrolled: 1-line block ×4, first 2 shown]
	s_waitcnt vmcnt(0)
	v_cmp_ne_u16_sdwa s0, v50, v6 src0_sel:BYTE_0 src1_sel:DWORD
	s_and_saveexec_b32 s18, s0
	s_cbranch_execz .LBB180_210
; %bb.203:                              ;   in Loop: Header=BB180_167 Depth=1
	v_bfrev_b32_e32 v17, 1
	v_mov_b32_e32 v18, 0
	v_cmp_ne_u16_sdwa s0, v50, v34 src0_sel:BYTE_0 src1_sel:DWORD
	s_and_saveexec_b32 s21, s0
	s_cbranch_execz .LBB180_209
; %bb.204:                              ;   in Loop: Header=BB180_167 Depth=1
	v_mov_b32_e32 v17, 0x7f800001
	v_and_b32_e32 v9, 0x7f, v50
	v_mov_b32_e32 v18, 0
	s_mov_b32 s22, exec_lo
	v_cmpx_ne_u32_e32 0x7f, v9
	s_cbranch_execz .LBB180_208
; %bb.205:                              ;   in Loop: Header=BB180_167 Depth=1
	v_and_b32_e32 v5, 7, v50
	v_lshrrev_b32_e32 v7, 3, v9
	s_mov_b32 s26, exec_lo
	v_cmpx_gt_u32_e32 8, v9
; %bb.206:                              ;   in Loop: Header=BB180_167 Depth=1
	v_ffbh_u32_e32 v7, v5
	v_min_u32_e32 v7, 32, v7
	v_subrev_nc_u32_e32 v9, 28, v7
	v_sub_nc_u32_e32 v7, 29, v7
	v_lshlrev_b64 v[17:18], v9, v[5:6]
	v_and_b32_e32 v5, 7, v17
; %bb.207:                              ;   in Loop: Header=BB180_167 Depth=1
	s_or_b32 exec_lo, exec_lo, s26
	v_lshlrev_b32_e32 v9, 24, v50
	v_lshlrev_b32_e32 v5, 20, v5
	v_lshl_add_u32 v7, v7, 23, 0x3c000000
	v_and_b32_e32 v9, 0x80000000, v9
	v_or3_b32 v5, v5, v9, v7
	v_mov_b32_e32 v18, v6
	v_mov_b32_e32 v17, v5
.LBB180_208:                            ;   in Loop: Header=BB180_167 Depth=1
	s_or_b32 exec_lo, exec_lo, s22
.LBB180_209:                            ;   in Loop: Header=BB180_167 Depth=1
	s_or_b32 exec_lo, exec_lo, s21
.LBB180_210:                            ;   in Loop: Header=BB180_167 Depth=1
	s_or_b32 exec_lo, exec_lo, s18
	v_cmp_ne_u16_sdwa s0, v50, v6 src0_sel:BYTE_1 src1_sel:DWORD
	s_and_saveexec_b32 s18, s0
	s_cbranch_execz .LBB180_218
; %bb.211:                              ;   in Loop: Header=BB180_167 Depth=1
	v_mov_b32_e32 v7, v6
	v_mov_b32_e32 v20, v8
	v_cmp_ne_u16_sdwa s0, v50, v34 src0_sel:BYTE_1 src1_sel:DWORD
	v_mov_b32_e32 v19, v7
	s_and_saveexec_b32 s21, s0
	s_cbranch_execz .LBB180_217
; %bb.212:                              ;   in Loop: Header=BB180_167 Depth=1
	v_and_b32_sdwa v5, v35, v50 dst_sel:DWORD dst_unused:UNUSED_PAD src0_sel:DWORD src1_sel:BYTE_1
	v_mov_b32_e32 v9, v6
	v_mov_b32_e32 v20, v10
	s_mov_b32 s22, exec_lo
	v_and_b32_e32 v21, 0x7f, v5
	v_mov_b32_e32 v19, v9
	v_cmpx_ne_u32_e32 0x7f, v21
	s_cbranch_execz .LBB180_216
; %bb.213:                              ;   in Loop: Header=BB180_167 Depth=1
	v_and_b32_e32 v5, 7, v5
	v_lshrrev_b32_e32 v7, 3, v21
	s_mov_b32 s26, exec_lo
	v_cmpx_gt_u32_e32 8, v21
; %bb.214:                              ;   in Loop: Header=BB180_167 Depth=1
	v_ffbh_u32_e32 v7, v5
	v_min_u32_e32 v7, 32, v7
	v_subrev_nc_u32_e32 v9, 28, v7
	v_sub_nc_u32_e32 v7, 29, v7
	v_lshlrev_b64 v[19:20], v9, v[5:6]
	v_and_b32_e32 v5, 7, v19
; %bb.215:                              ;   in Loop: Header=BB180_167 Depth=1
	s_or_b32 exec_lo, exec_lo, s26
	v_lshlrev_b32_e32 v9, 16, v50
	v_lshlrev_b32_e32 v5, 20, v5
	v_lshl_add_u32 v7, v7, 23, 0x3c000000
	v_mov_b32_e32 v19, v6
	v_and_b32_e32 v9, 0x80000000, v9
	v_or3_b32 v20, v5, v9, v7
.LBB180_216:                            ;   in Loop: Header=BB180_167 Depth=1
	s_or_b32 exec_lo, exec_lo, s22
.LBB180_217:                            ;   in Loop: Header=BB180_167 Depth=1
	s_or_b32 exec_lo, exec_lo, s21
.LBB180_218:                            ;   in Loop: Header=BB180_167 Depth=1
	s_or_b32 exec_lo, exec_lo, s18
	v_mov_b32_e32 v23, 0
	v_mov_b32_e32 v21, 0
	v_and_b32_sdwa v5, v50, v36 dst_sel:DWORD dst_unused:UNUSED_PAD src0_sel:WORD_1 src1_sel:DWORD
	v_mov_b32_e32 v24, 0
	v_mov_b32_e32 v22, 0
	s_mov_b32 s18, exec_lo
	v_cmpx_ne_u16_e32 0, v5
	s_cbranch_execz .LBB180_226
; %bb.219:                              ;   in Loop: Header=BB180_167 Depth=1
	v_bfrev_b32_e32 v21, 1
	v_mov_b32_e32 v22, 0
	s_mov_b32 s21, exec_lo
	v_cmpx_ne_u16_e32 0x80, v5
	s_cbranch_execz .LBB180_225
; %bb.220:                              ;   in Loop: Header=BB180_167 Depth=1
	v_mov_b32_e32 v21, 0x7f800001
	v_bfe_u32 v9, v50, 16, 7
	v_mov_b32_e32 v22, 0
	s_mov_b32 s22, exec_lo
	v_cmpx_ne_u32_e32 0x7f, v9
	s_cbranch_execz .LBB180_224
; %bb.221:                              ;   in Loop: Header=BB180_167 Depth=1
	v_and_b32_sdwa v5, v50, v37 dst_sel:DWORD dst_unused:UNUSED_PAD src0_sel:WORD_1 src1_sel:DWORD
	v_lshrrev_b32_e32 v7, 3, v9
	s_mov_b32 s26, exec_lo
	v_cmpx_gt_u32_e32 8, v9
; %bb.222:                              ;   in Loop: Header=BB180_167 Depth=1
	v_ffbh_u32_e32 v7, v5
	v_min_u32_e32 v7, 32, v7
	v_subrev_nc_u32_e32 v9, 28, v7
	v_sub_nc_u32_e32 v7, 29, v7
	v_lshlrev_b64 v[21:22], v9, v[5:6]
	v_and_b32_e32 v5, 7, v21
; %bb.223:                              ;   in Loop: Header=BB180_167 Depth=1
	s_or_b32 exec_lo, exec_lo, s26
	v_lshlrev_b32_sdwa v9, v38, v50 dst_sel:DWORD dst_unused:UNUSED_PAD src0_sel:DWORD src1_sel:WORD_1
	v_lshlrev_b32_e32 v5, 20, v5
	v_lshl_add_u32 v7, v7, 23, 0x3c000000
	v_and_b32_e32 v9, 0x80000000, v9
	v_or3_b32 v5, v5, v9, v7
	v_mov_b32_e32 v22, v6
	v_mov_b32_e32 v21, v5
.LBB180_224:                            ;   in Loop: Header=BB180_167 Depth=1
	s_or_b32 exec_lo, exec_lo, s22
.LBB180_225:                            ;   in Loop: Header=BB180_167 Depth=1
	s_or_b32 exec_lo, exec_lo, s21
.LBB180_226:                            ;   in Loop: Header=BB180_167 Depth=1
	s_or_b32 exec_lo, exec_lo, s18
	s_mov_b32 s18, exec_lo
	v_cmpx_lt_u32_e32 0xffffff, v50
	s_cbranch_execz .LBB180_234
; %bb.227:                              ;   in Loop: Header=BB180_167 Depth=1
	v_mov_b32_e32 v7, v6
	v_mov_b32_e32 v24, v8
	v_cmp_ne_u32_sdwa s0, v50, v34 src0_sel:BYTE_3 src1_sel:DWORD
	v_mov_b32_e32 v23, v7
	s_and_saveexec_b32 s21, s0
	s_cbranch_execz .LBB180_233
; %bb.228:                              ;   in Loop: Header=BB180_167 Depth=1
	v_mov_b32_e32 v9, v6
	v_mov_b32_e32 v24, v10
	v_bfe_u32 v51, v50, 24, 7
	s_mov_b32 s22, exec_lo
	v_mov_b32_e32 v23, v9
	v_cmpx_ne_u32_e32 0x7f, v51
	s_cbranch_execz .LBB180_232
; %bb.229:                              ;   in Loop: Header=BB180_167 Depth=1
	v_and_b32_sdwa v5, v50, v37 dst_sel:DWORD dst_unused:UNUSED_PAD src0_sel:BYTE_3 src1_sel:DWORD
	v_lshrrev_b32_e32 v7, 3, v51
	s_mov_b32 s26, exec_lo
	v_cmpx_gt_u32_e32 8, v51
; %bb.230:                              ;   in Loop: Header=BB180_167 Depth=1
	v_ffbh_u32_e32 v7, v5
	v_min_u32_e32 v7, 32, v7
	v_subrev_nc_u32_e32 v9, 28, v7
	v_sub_nc_u32_e32 v7, 29, v7
	v_lshlrev_b64 v[23:24], v9, v[5:6]
	v_and_b32_e32 v5, 7, v23
; %bb.231:                              ;   in Loop: Header=BB180_167 Depth=1
	s_or_b32 exec_lo, exec_lo, s26
	v_lshlrev_b32_sdwa v9, v38, v50 dst_sel:DWORD dst_unused:UNUSED_PAD src0_sel:DWORD src1_sel:BYTE_3
	v_lshlrev_b32_e32 v5, 20, v5
	v_lshl_add_u32 v7, v7, 23, 0x3c000000
	v_mov_b32_e32 v23, v6
	v_and_b32_e32 v9, 0x80000000, v9
	v_or3_b32 v24, v5, v9, v7
.LBB180_232:                            ;   in Loop: Header=BB180_167 Depth=1
	s_or_b32 exec_lo, exec_lo, s22
.LBB180_233:                            ;   in Loop: Header=BB180_167 Depth=1
	s_or_b32 exec_lo, exec_lo, s21
.LBB180_234:                            ;   in Loop: Header=BB180_167 Depth=1
	s_or_b32 exec_lo, exec_lo, s18
	v_or_b32_e32 v5, v20, v18
	v_or_b32_e32 v7, v19, v17
	;; [unrolled: 1-line block ×4, first 2 shown]
	s_mov_b32 s18, s17
	v_mul_f32_e32 v52, s18, v5
	v_mul_f32_e32 v53, s17, v7
	;; [unrolled: 1-line block ×4, first 2 shown]
	s_and_saveexec_b32 s21, vcc_lo
	s_cbranch_execz .LBB180_236
; %bb.235:                              ;   in Loop: Header=BB180_167 Depth=1
	v_cmp_gt_i32_e64 s0, s33, v46
	v_cndmask_b32_e64 v53, 0, v53, s0
	v_cmp_gt_i32_e64 s0, s33, v49
	v_cndmask_b32_e64 v52, 0, v52, s0
	;; [unrolled: 2-line block ×4, first 2 shown]
.LBB180_236:                            ;   in Loop: Header=BB180_167 Depth=1
	s_or_b32 exec_lo, exec_lo, s21
	global_load_dword v54, v[15:16], off offset:256
	v_mov_b32_e32 v19, 0
	v_mov_b32_e32 v17, 0
	;; [unrolled: 1-line block ×4, first 2 shown]
	s_waitcnt vmcnt(0)
	v_cmp_ne_u16_sdwa s0, v54, v6 src0_sel:BYTE_0 src1_sel:DWORD
	s_and_saveexec_b32 s21, s0
	s_cbranch_execz .LBB180_244
; %bb.237:                              ;   in Loop: Header=BB180_167 Depth=1
	v_bfrev_b32_e32 v17, 1
	v_mov_b32_e32 v18, 0
	v_cmp_ne_u16_sdwa s0, v54, v34 src0_sel:BYTE_0 src1_sel:DWORD
	s_and_saveexec_b32 s22, s0
	s_cbranch_execz .LBB180_243
; %bb.238:                              ;   in Loop: Header=BB180_167 Depth=1
	v_mov_b32_e32 v17, 0x7f800001
	v_and_b32_e32 v9, 0x7f, v54
	v_mov_b32_e32 v18, 0
	s_mov_b32 s26, exec_lo
	v_cmpx_ne_u32_e32 0x7f, v9
	s_cbranch_execz .LBB180_242
; %bb.239:                              ;   in Loop: Header=BB180_167 Depth=1
	v_and_b32_e32 v5, 7, v54
	v_lshrrev_b32_e32 v7, 3, v9
	s_mov_b32 s27, exec_lo
	v_cmpx_gt_u32_e32 8, v9
; %bb.240:                              ;   in Loop: Header=BB180_167 Depth=1
	v_ffbh_u32_e32 v7, v5
	v_min_u32_e32 v7, 32, v7
	v_subrev_nc_u32_e32 v9, 28, v7
	v_sub_nc_u32_e32 v7, 29, v7
	v_lshlrev_b64 v[17:18], v9, v[5:6]
	v_and_b32_e32 v5, 7, v17
; %bb.241:                              ;   in Loop: Header=BB180_167 Depth=1
	s_or_b32 exec_lo, exec_lo, s27
	v_lshlrev_b32_e32 v9, 24, v54
	v_lshlrev_b32_e32 v5, 20, v5
	v_lshl_add_u32 v7, v7, 23, 0x3c000000
	v_and_b32_e32 v9, 0x80000000, v9
	v_or3_b32 v5, v5, v9, v7
	v_mov_b32_e32 v18, v6
	v_mov_b32_e32 v17, v5
.LBB180_242:                            ;   in Loop: Header=BB180_167 Depth=1
	s_or_b32 exec_lo, exec_lo, s26
.LBB180_243:                            ;   in Loop: Header=BB180_167 Depth=1
	s_or_b32 exec_lo, exec_lo, s22
.LBB180_244:                            ;   in Loop: Header=BB180_167 Depth=1
	s_or_b32 exec_lo, exec_lo, s21
	v_cmp_ne_u16_sdwa s0, v54, v6 src0_sel:BYTE_1 src1_sel:DWORD
	s_and_saveexec_b32 s21, s0
	s_cbranch_execz .LBB180_252
; %bb.245:                              ;   in Loop: Header=BB180_167 Depth=1
	v_mov_b32_e32 v7, v6
	v_mov_b32_e32 v20, v8
	v_cmp_ne_u16_sdwa s0, v54, v34 src0_sel:BYTE_1 src1_sel:DWORD
	v_mov_b32_e32 v19, v7
	s_and_saveexec_b32 s22, s0
	s_cbranch_execz .LBB180_251
; %bb.246:                              ;   in Loop: Header=BB180_167 Depth=1
	v_and_b32_sdwa v5, v35, v54 dst_sel:DWORD dst_unused:UNUSED_PAD src0_sel:DWORD src1_sel:BYTE_1
	v_mov_b32_e32 v9, v6
	v_mov_b32_e32 v20, v10
	s_mov_b32 s26, exec_lo
	v_and_b32_e32 v21, 0x7f, v5
	v_mov_b32_e32 v19, v9
	v_cmpx_ne_u32_e32 0x7f, v21
	s_cbranch_execz .LBB180_250
; %bb.247:                              ;   in Loop: Header=BB180_167 Depth=1
	v_and_b32_e32 v5, 7, v5
	v_lshrrev_b32_e32 v7, 3, v21
	s_mov_b32 s27, exec_lo
	v_cmpx_gt_u32_e32 8, v21
; %bb.248:                              ;   in Loop: Header=BB180_167 Depth=1
	v_ffbh_u32_e32 v7, v5
	v_min_u32_e32 v7, 32, v7
	v_subrev_nc_u32_e32 v9, 28, v7
	v_sub_nc_u32_e32 v7, 29, v7
	v_lshlrev_b64 v[19:20], v9, v[5:6]
	v_and_b32_e32 v5, 7, v19
; %bb.249:                              ;   in Loop: Header=BB180_167 Depth=1
	s_or_b32 exec_lo, exec_lo, s27
	v_lshlrev_b32_e32 v9, 16, v54
	v_lshlrev_b32_e32 v5, 20, v5
	v_lshl_add_u32 v7, v7, 23, 0x3c000000
	v_mov_b32_e32 v19, v6
	v_and_b32_e32 v9, 0x80000000, v9
	v_or3_b32 v20, v5, v9, v7
.LBB180_250:                            ;   in Loop: Header=BB180_167 Depth=1
	s_or_b32 exec_lo, exec_lo, s26
.LBB180_251:                            ;   in Loop: Header=BB180_167 Depth=1
	s_or_b32 exec_lo, exec_lo, s22
.LBB180_252:                            ;   in Loop: Header=BB180_167 Depth=1
	s_or_b32 exec_lo, exec_lo, s21
	v_mov_b32_e32 v23, 0
	v_mov_b32_e32 v21, 0
	v_and_b32_sdwa v5, v54, v36 dst_sel:DWORD dst_unused:UNUSED_PAD src0_sel:WORD_1 src1_sel:DWORD
	v_mov_b32_e32 v24, 0
	v_mov_b32_e32 v22, 0
	s_mov_b32 s21, exec_lo
	v_cmpx_ne_u16_e32 0, v5
	s_cbranch_execz .LBB180_260
; %bb.253:                              ;   in Loop: Header=BB180_167 Depth=1
	v_bfrev_b32_e32 v21, 1
	v_mov_b32_e32 v22, 0
	s_mov_b32 s22, exec_lo
	v_cmpx_ne_u16_e32 0x80, v5
	s_cbranch_execz .LBB180_259
; %bb.254:                              ;   in Loop: Header=BB180_167 Depth=1
	v_mov_b32_e32 v21, 0x7f800001
	v_bfe_u32 v9, v54, 16, 7
	v_mov_b32_e32 v22, 0
	s_mov_b32 s26, exec_lo
	v_cmpx_ne_u32_e32 0x7f, v9
	s_cbranch_execz .LBB180_258
; %bb.255:                              ;   in Loop: Header=BB180_167 Depth=1
	v_and_b32_sdwa v5, v54, v37 dst_sel:DWORD dst_unused:UNUSED_PAD src0_sel:WORD_1 src1_sel:DWORD
	v_lshrrev_b32_e32 v7, 3, v9
	s_mov_b32 s27, exec_lo
	v_cmpx_gt_u32_e32 8, v9
; %bb.256:                              ;   in Loop: Header=BB180_167 Depth=1
	v_ffbh_u32_e32 v7, v5
	v_min_u32_e32 v7, 32, v7
	v_subrev_nc_u32_e32 v9, 28, v7
	v_sub_nc_u32_e32 v7, 29, v7
	v_lshlrev_b64 v[21:22], v9, v[5:6]
	v_and_b32_e32 v5, 7, v21
; %bb.257:                              ;   in Loop: Header=BB180_167 Depth=1
	s_or_b32 exec_lo, exec_lo, s27
	v_lshlrev_b32_sdwa v9, v38, v54 dst_sel:DWORD dst_unused:UNUSED_PAD src0_sel:DWORD src1_sel:WORD_1
	v_lshlrev_b32_e32 v5, 20, v5
	v_lshl_add_u32 v7, v7, 23, 0x3c000000
	v_and_b32_e32 v9, 0x80000000, v9
	v_or3_b32 v5, v5, v9, v7
	v_mov_b32_e32 v22, v6
	v_mov_b32_e32 v21, v5
.LBB180_258:                            ;   in Loop: Header=BB180_167 Depth=1
	s_or_b32 exec_lo, exec_lo, s26
.LBB180_259:                            ;   in Loop: Header=BB180_167 Depth=1
	s_or_b32 exec_lo, exec_lo, s22
.LBB180_260:                            ;   in Loop: Header=BB180_167 Depth=1
	s_or_b32 exec_lo, exec_lo, s21
	s_mov_b32 s21, exec_lo
	v_cmpx_lt_u32_e32 0xffffff, v54
	s_cbranch_execz .LBB180_268
; %bb.261:                              ;   in Loop: Header=BB180_167 Depth=1
	v_mov_b32_e32 v7, v6
	v_mov_b32_e32 v24, v8
	v_cmp_ne_u32_sdwa s0, v54, v34 src0_sel:BYTE_3 src1_sel:DWORD
	v_mov_b32_e32 v23, v7
	s_and_saveexec_b32 s22, s0
	s_cbranch_execz .LBB180_267
; %bb.262:                              ;   in Loop: Header=BB180_167 Depth=1
	v_mov_b32_e32 v9, v6
	v_mov_b32_e32 v24, v10
	v_bfe_u32 v55, v54, 24, 7
	s_mov_b32 s26, exec_lo
	v_mov_b32_e32 v23, v9
	v_cmpx_ne_u32_e32 0x7f, v55
	s_cbranch_execz .LBB180_266
; %bb.263:                              ;   in Loop: Header=BB180_167 Depth=1
	v_and_b32_sdwa v5, v54, v37 dst_sel:DWORD dst_unused:UNUSED_PAD src0_sel:BYTE_3 src1_sel:DWORD
	v_lshrrev_b32_e32 v7, 3, v55
	s_mov_b32 s27, exec_lo
	v_cmpx_gt_u32_e32 8, v55
; %bb.264:                              ;   in Loop: Header=BB180_167 Depth=1
	v_ffbh_u32_e32 v7, v5
	v_min_u32_e32 v7, 32, v7
	v_subrev_nc_u32_e32 v9, 28, v7
	v_sub_nc_u32_e32 v7, 29, v7
	v_lshlrev_b64 v[23:24], v9, v[5:6]
	v_and_b32_e32 v5, 7, v23
; %bb.265:                              ;   in Loop: Header=BB180_167 Depth=1
	s_or_b32 exec_lo, exec_lo, s27
	v_lshlrev_b32_sdwa v9, v38, v54 dst_sel:DWORD dst_unused:UNUSED_PAD src0_sel:DWORD src1_sel:BYTE_3
	v_lshlrev_b32_e32 v5, 20, v5
	v_lshl_add_u32 v7, v7, 23, 0x3c000000
	v_mov_b32_e32 v23, v6
	v_and_b32_e32 v9, 0x80000000, v9
	v_or3_b32 v24, v5, v9, v7
.LBB180_266:                            ;   in Loop: Header=BB180_167 Depth=1
	s_or_b32 exec_lo, exec_lo, s26
.LBB180_267:                            ;   in Loop: Header=BB180_167 Depth=1
	s_or_b32 exec_lo, exec_lo, s22
.LBB180_268:                            ;   in Loop: Header=BB180_167 Depth=1
	s_or_b32 exec_lo, exec_lo, s21
	v_or_b32_e32 v5, v20, v18
	v_or_b32_e32 v7, v19, v17
	;; [unrolled: 1-line block ×4, first 2 shown]
	v_mul_f32_e32 v54, s18, v5
	v_mul_f32_e32 v55, s17, v7
	;; [unrolled: 1-line block ×4, first 2 shown]
	s_and_saveexec_b32 s21, vcc_lo
	s_cbranch_execz .LBB180_270
; %bb.269:                              ;   in Loop: Header=BB180_167 Depth=1
	v_cmp_gt_i32_e64 s0, s33, v46
	v_cndmask_b32_e64 v55, 0, v55, s0
	v_cmp_gt_i32_e64 s0, s33, v49
	v_cndmask_b32_e64 v54, 0, v54, s0
	v_cmp_gt_i32_e64 s0, s33, v48
	v_cndmask_b32_e64 v24, 0, v24, s0
	v_cmp_gt_i32_e64 s0, s33, v47
	v_cndmask_b32_e64 v23, 0, v23, s0
.LBB180_270:                            ;   in Loop: Header=BB180_167 Depth=1
	s_or_b32 exec_lo, exec_lo, s21
	global_load_dword v56, v[15:16], off offset:384
	v_mov_b32_e32 v17, 0
	v_mov_b32_e32 v15, 0
	;; [unrolled: 1-line block ×4, first 2 shown]
	s_waitcnt vmcnt(0)
	v_cmp_ne_u16_sdwa s0, v56, v6 src0_sel:BYTE_0 src1_sel:DWORD
	s_and_saveexec_b32 s21, s0
	s_cbranch_execz .LBB180_278
; %bb.271:                              ;   in Loop: Header=BB180_167 Depth=1
	v_bfrev_b32_e32 v15, 1
	v_mov_b32_e32 v16, 0
	v_cmp_ne_u16_sdwa s0, v56, v34 src0_sel:BYTE_0 src1_sel:DWORD
	s_and_saveexec_b32 s22, s0
	s_cbranch_execz .LBB180_277
; %bb.272:                              ;   in Loop: Header=BB180_167 Depth=1
	v_mov_b32_e32 v15, 0x7f800001
	v_and_b32_e32 v9, 0x7f, v56
	v_mov_b32_e32 v16, 0
	s_mov_b32 s26, exec_lo
	v_cmpx_ne_u32_e32 0x7f, v9
	s_cbranch_execz .LBB180_276
; %bb.273:                              ;   in Loop: Header=BB180_167 Depth=1
	v_and_b32_e32 v5, 7, v56
	v_lshrrev_b32_e32 v7, 3, v9
	s_mov_b32 s27, exec_lo
	v_cmpx_gt_u32_e32 8, v9
; %bb.274:                              ;   in Loop: Header=BB180_167 Depth=1
	v_ffbh_u32_e32 v7, v5
	v_min_u32_e32 v7, 32, v7
	v_subrev_nc_u32_e32 v9, 28, v7
	v_sub_nc_u32_e32 v7, 29, v7
	v_lshlrev_b64 v[15:16], v9, v[5:6]
	v_and_b32_e32 v5, 7, v15
; %bb.275:                              ;   in Loop: Header=BB180_167 Depth=1
	s_or_b32 exec_lo, exec_lo, s27
	v_lshlrev_b32_e32 v9, 24, v56
	v_lshlrev_b32_e32 v5, 20, v5
	v_lshl_add_u32 v7, v7, 23, 0x3c000000
	v_and_b32_e32 v9, 0x80000000, v9
	v_or3_b32 v5, v5, v9, v7
	v_mov_b32_e32 v16, v6
	v_mov_b32_e32 v15, v5
.LBB180_276:                            ;   in Loop: Header=BB180_167 Depth=1
	s_or_b32 exec_lo, exec_lo, s26
.LBB180_277:                            ;   in Loop: Header=BB180_167 Depth=1
	s_or_b32 exec_lo, exec_lo, s22
.LBB180_278:                            ;   in Loop: Header=BB180_167 Depth=1
	s_or_b32 exec_lo, exec_lo, s21
	v_cmp_ne_u16_sdwa s0, v56, v6 src0_sel:BYTE_1 src1_sel:DWORD
	s_and_saveexec_b32 s21, s0
	s_cbranch_execz .LBB180_286
; %bb.279:                              ;   in Loop: Header=BB180_167 Depth=1
	v_mov_b32_e32 v7, v6
	v_mov_b32_e32 v18, v8
	v_cmp_ne_u16_sdwa s0, v56, v34 src0_sel:BYTE_1 src1_sel:DWORD
	v_mov_b32_e32 v17, v7
	s_and_saveexec_b32 s22, s0
	s_cbranch_execz .LBB180_285
; %bb.280:                              ;   in Loop: Header=BB180_167 Depth=1
	v_and_b32_sdwa v5, v35, v56 dst_sel:DWORD dst_unused:UNUSED_PAD src0_sel:DWORD src1_sel:BYTE_1
	v_mov_b32_e32 v9, v6
	v_mov_b32_e32 v18, v10
	s_mov_b32 s26, exec_lo
	v_and_b32_e32 v19, 0x7f, v5
	v_mov_b32_e32 v17, v9
	v_cmpx_ne_u32_e32 0x7f, v19
	s_cbranch_execz .LBB180_284
; %bb.281:                              ;   in Loop: Header=BB180_167 Depth=1
	v_and_b32_e32 v5, 7, v5
	v_lshrrev_b32_e32 v7, 3, v19
	s_mov_b32 s27, exec_lo
	v_cmpx_gt_u32_e32 8, v19
; %bb.282:                              ;   in Loop: Header=BB180_167 Depth=1
	v_ffbh_u32_e32 v7, v5
	v_min_u32_e32 v7, 32, v7
	v_subrev_nc_u32_e32 v9, 28, v7
	v_sub_nc_u32_e32 v7, 29, v7
	v_lshlrev_b64 v[17:18], v9, v[5:6]
	v_and_b32_e32 v5, 7, v17
; %bb.283:                              ;   in Loop: Header=BB180_167 Depth=1
	s_or_b32 exec_lo, exec_lo, s27
	v_lshlrev_b32_e32 v9, 16, v56
	v_lshlrev_b32_e32 v5, 20, v5
	v_lshl_add_u32 v7, v7, 23, 0x3c000000
	v_mov_b32_e32 v17, v6
	v_and_b32_e32 v9, 0x80000000, v9
	v_or3_b32 v18, v5, v9, v7
.LBB180_284:                            ;   in Loop: Header=BB180_167 Depth=1
	s_or_b32 exec_lo, exec_lo, s26
.LBB180_285:                            ;   in Loop: Header=BB180_167 Depth=1
	s_or_b32 exec_lo, exec_lo, s22
.LBB180_286:                            ;   in Loop: Header=BB180_167 Depth=1
	s_or_b32 exec_lo, exec_lo, s21
	v_mov_b32_e32 v21, 0
	v_mov_b32_e32 v19, 0
	v_and_b32_sdwa v5, v56, v36 dst_sel:DWORD dst_unused:UNUSED_PAD src0_sel:WORD_1 src1_sel:DWORD
	v_mov_b32_e32 v22, 0
	v_mov_b32_e32 v20, 0
	s_mov_b32 s21, exec_lo
	v_cmpx_ne_u16_e32 0, v5
	s_cbranch_execz .LBB180_294
; %bb.287:                              ;   in Loop: Header=BB180_167 Depth=1
	v_bfrev_b32_e32 v19, 1
	v_mov_b32_e32 v20, 0
	s_mov_b32 s22, exec_lo
	v_cmpx_ne_u16_e32 0x80, v5
	s_cbranch_execz .LBB180_293
; %bb.288:                              ;   in Loop: Header=BB180_167 Depth=1
	v_mov_b32_e32 v19, 0x7f800001
	v_bfe_u32 v9, v56, 16, 7
	v_mov_b32_e32 v20, 0
	s_mov_b32 s26, exec_lo
	v_cmpx_ne_u32_e32 0x7f, v9
	s_cbranch_execz .LBB180_292
; %bb.289:                              ;   in Loop: Header=BB180_167 Depth=1
	v_and_b32_sdwa v5, v56, v37 dst_sel:DWORD dst_unused:UNUSED_PAD src0_sel:WORD_1 src1_sel:DWORD
	v_lshrrev_b32_e32 v7, 3, v9
	s_mov_b32 s27, exec_lo
	v_cmpx_gt_u32_e32 8, v9
; %bb.290:                              ;   in Loop: Header=BB180_167 Depth=1
	v_ffbh_u32_e32 v7, v5
	v_min_u32_e32 v7, 32, v7
	v_subrev_nc_u32_e32 v9, 28, v7
	v_sub_nc_u32_e32 v7, 29, v7
	v_lshlrev_b64 v[19:20], v9, v[5:6]
	v_and_b32_e32 v5, 7, v19
; %bb.291:                              ;   in Loop: Header=BB180_167 Depth=1
	s_or_b32 exec_lo, exec_lo, s27
	v_lshlrev_b32_sdwa v9, v38, v56 dst_sel:DWORD dst_unused:UNUSED_PAD src0_sel:DWORD src1_sel:WORD_1
	v_lshlrev_b32_e32 v5, 20, v5
	v_lshl_add_u32 v7, v7, 23, 0x3c000000
	v_and_b32_e32 v9, 0x80000000, v9
	v_or3_b32 v5, v5, v9, v7
	v_mov_b32_e32 v20, v6
	v_mov_b32_e32 v19, v5
.LBB180_292:                            ;   in Loop: Header=BB180_167 Depth=1
	s_or_b32 exec_lo, exec_lo, s26
.LBB180_293:                            ;   in Loop: Header=BB180_167 Depth=1
	s_or_b32 exec_lo, exec_lo, s22
.LBB180_294:                            ;   in Loop: Header=BB180_167 Depth=1
	s_or_b32 exec_lo, exec_lo, s21
	s_mov_b32 s21, exec_lo
	v_cmpx_lt_u32_e32 0xffffff, v56
	s_cbranch_execz .LBB180_302
; %bb.295:                              ;   in Loop: Header=BB180_167 Depth=1
	v_mov_b32_e32 v7, v6
	v_mov_b32_e32 v22, v8
	v_cmp_ne_u32_sdwa s0, v56, v34 src0_sel:BYTE_3 src1_sel:DWORD
	v_mov_b32_e32 v21, v7
	s_and_saveexec_b32 s22, s0
	s_cbranch_execz .LBB180_301
; %bb.296:                              ;   in Loop: Header=BB180_167 Depth=1
	v_mov_b32_e32 v9, v6
	v_mov_b32_e32 v22, v10
	v_bfe_u32 v57, v56, 24, 7
	s_mov_b32 s26, exec_lo
	v_mov_b32_e32 v21, v9
	v_cmpx_ne_u32_e32 0x7f, v57
	s_cbranch_execz .LBB180_300
; %bb.297:                              ;   in Loop: Header=BB180_167 Depth=1
	v_and_b32_sdwa v5, v56, v37 dst_sel:DWORD dst_unused:UNUSED_PAD src0_sel:BYTE_3 src1_sel:DWORD
	v_lshrrev_b32_e32 v7, 3, v57
	s_mov_b32 s27, exec_lo
	v_cmpx_gt_u32_e32 8, v57
; %bb.298:                              ;   in Loop: Header=BB180_167 Depth=1
	v_ffbh_u32_e32 v7, v5
	v_min_u32_e32 v7, 32, v7
	v_subrev_nc_u32_e32 v9, 28, v7
	v_sub_nc_u32_e32 v7, 29, v7
	v_lshlrev_b64 v[21:22], v9, v[5:6]
	v_and_b32_e32 v5, 7, v21
; %bb.299:                              ;   in Loop: Header=BB180_167 Depth=1
	s_or_b32 exec_lo, exec_lo, s27
	v_lshlrev_b32_sdwa v9, v38, v56 dst_sel:DWORD dst_unused:UNUSED_PAD src0_sel:DWORD src1_sel:BYTE_3
	v_lshlrev_b32_e32 v5, 20, v5
	v_lshl_add_u32 v7, v7, 23, 0x3c000000
	v_mov_b32_e32 v21, v6
	v_and_b32_e32 v9, 0x80000000, v9
	v_or3_b32 v22, v5, v9, v7
.LBB180_300:                            ;   in Loop: Header=BB180_167 Depth=1
	s_or_b32 exec_lo, exec_lo, s26
.LBB180_301:                            ;   in Loop: Header=BB180_167 Depth=1
	s_or_b32 exec_lo, exec_lo, s22
.LBB180_302:                            ;   in Loop: Header=BB180_167 Depth=1
	s_or_b32 exec_lo, exec_lo, s21
	v_or_b32_e32 v5, v18, v16
	v_or_b32_e32 v7, v17, v15
	;; [unrolled: 1-line block ×4, first 2 shown]
	v_mul_f32_e32 v9, s18, v5
	v_mul_f32_e32 v15, s17, v7
	;; [unrolled: 1-line block ×4, first 2 shown]
	s_and_saveexec_b32 s0, vcc_lo
	s_cbranch_execz .LBB180_165
; %bb.303:                              ;   in Loop: Header=BB180_167 Depth=1
	v_cmp_gt_i32_e32 vcc_lo, s33, v46
	v_cndmask_b32_e32 v15, 0, v15, vcc_lo
	v_cmp_gt_i32_e32 vcc_lo, s33, v49
	v_cndmask_b32_e32 v9, 0, v9, vcc_lo
	;; [unrolled: 2-line block ×4, first 2 shown]
	s_branch .LBB180_165
.LBB180_304:
	s_or_b32 exec_lo, exec_lo, s5
.LBB180_305:
	s_or_b32 exec_lo, exec_lo, s1
	ds_bpermute_b32 v1, v26, v32
	ds_bpermute_b32 v2, v26, v31
	;; [unrolled: 1-line block ×4, first 2 shown]
	v_and_b32_e32 v6, 28, v25
	v_lshrrev_b32_e32 v5, 2, v25
	v_and_b32_e32 v11, 0x3c3, v0
	s_mov_b32 s0, exec_lo
	s_waitcnt lgkmcnt(0)
	v_add_nc_u32_e32 v6, 0xa0, v6
	s_barrier
	buffer_gl0_inv
	v_add_f32_e32 v1, v32, v1
	v_add_f32_e32 v2, v31, v2
	;; [unrolled: 1-line block ×4, first 2 shown]
	ds_bpermute_b32 v7, v27, v1
	ds_bpermute_b32 v8, v27, v2
	;; [unrolled: 1-line block ×4, first 2 shown]
	s_waitcnt lgkmcnt(3)
	v_add_f32_e32 v1, v1, v7
	s_waitcnt lgkmcnt(2)
	v_add_f32_e32 v2, v2, v8
	;; [unrolled: 2-line block ×4, first 2 shown]
	v_cmpx_eq_u32_e32 64, v11
	s_cbranch_execz .LBB180_307
; %bb.306:
	v_lshl_add_u32 v7, v59, 7, v6
	v_add_nc_u32_e32 v8, 0xffffff00, v7
	v_add_nc_u32_e32 v9, 0xffffff20, v7
	;; [unrolled: 1-line block ×4, first 2 shown]
	ds_write_b32 v8, v1
	ds_write_b32 v9, v2
	;; [unrolled: 1-line block ×4, first 2 shown]
.LBB180_307:
	s_or_b32 exec_lo, exec_lo, s0
	v_and_b32_e32 v7, 0x3e0, v0
	v_lshlrev_b32_e32 v5, 2, v5
	s_mov_b32 s1, exec_lo
	v_cmp_eq_u32_e32 vcc_lo, 0, v28
	s_waitcnt lgkmcnt(0)
	v_lshlrev_b32_e32 v7, 2, v7
	s_barrier
	buffer_gl0_inv
	v_add3_u32 v5, 0xa0, v7, v5
	v_cmpx_gt_u32_e32 64, v0
	s_cbranch_execz .LBB180_314
; %bb.308:
	s_and_saveexec_b32 s0, vcc_lo
	s_cbranch_execnz .LBB180_326
; %bb.309:
	s_or_b32 exec_lo, exec_lo, s0
	s_and_saveexec_b32 s0, vcc_lo
	s_cbranch_execnz .LBB180_327
.LBB180_310:
	s_or_b32 exec_lo, exec_lo, s0
	s_and_saveexec_b32 s0, vcc_lo
	s_cbranch_execnz .LBB180_328
.LBB180_311:
	s_or_b32 exec_lo, exec_lo, s0
	s_and_saveexec_b32 s0, vcc_lo
	s_cbranch_execz .LBB180_313
.LBB180_312:
	ds_read_b32 v7, v5 offset:96
	s_waitcnt lgkmcnt(0)
	v_add_f32_e32 v4, v4, v7
.LBB180_313:
	s_or_b32 exec_lo, exec_lo, s0
.LBB180_314:
	s_or_b32 exec_lo, exec_lo, s1
	v_and_b32_e32 v7, 0x3e3, v0
	s_mov_b32 s1, exec_lo
	s_barrier
	buffer_gl0_inv
	v_cmpx_eq_u32_e32 32, v7
	s_cbranch_execz .LBB180_316
; %bb.315:
	ds_write2_b32 v6, v1, v2 offset1:8
	ds_write2_b32 v6, v3, v4 offset0:16 offset1:24
.LBB180_316:
	s_or_b32 exec_lo, exec_lo, s1
	s_mov_b32 s1, exec_lo
	s_waitcnt lgkmcnt(0)
	s_barrier
	buffer_gl0_inv
	v_cmpx_gt_u32_e32 32, v0
	s_cbranch_execz .LBB180_323
; %bb.317:
	s_and_saveexec_b32 s0, vcc_lo
	s_cbranch_execnz .LBB180_329
; %bb.318:
	s_or_b32 exec_lo, exec_lo, s0
	s_and_saveexec_b32 s0, vcc_lo
	s_cbranch_execnz .LBB180_330
.LBB180_319:
	s_or_b32 exec_lo, exec_lo, s0
	s_and_saveexec_b32 s0, vcc_lo
	s_cbranch_execnz .LBB180_331
.LBB180_320:
	s_or_b32 exec_lo, exec_lo, s0
	s_and_saveexec_b32 s0, vcc_lo
	s_cbranch_execz .LBB180_322
.LBB180_321:
	ds_read_b32 v5, v5 offset:96
	s_waitcnt lgkmcnt(0)
	v_add_f32_e32 v4, v4, v5
.LBB180_322:
	s_or_b32 exec_lo, exec_lo, s0
.LBB180_323:
	s_or_b32 exec_lo, exec_lo, s1
	s_barrier
	buffer_gl0_inv
	s_mov_b32 s0, exec_lo
	v_cmpx_eq_u32_e32 0, v7
	s_cbranch_execz .LBB180_325
; %bb.324:
	s_mul_i32 s0, s10, s11
	s_mul_i32 s2, s11, s24
	;; [unrolled: 1-line block ×3, first 2 shown]
	s_lshl_b32 s0, s0, 5
	s_ashr_i32 s1, s0, 31
	s_lshl_b64 s[0:1], s[0:1], 2
	s_add_u32 s4, s6, s0
	s_addc_u32 s5, s7, s1
	s_ashr_i32 s3, s2, 31
	s_lshl_b64 s[0:1], s[2:3], 2
	s_add_u32 s2, s4, s0
	s_addc_u32 s3, s5, s1
	s_lshl_b32 s0, s8, 5
	s_ashr_i32 s1, s0, 31
	s_lshl_b64 s[0:1], s[0:1], 2
	s_add_u32 s0, s2, s0
	s_addc_u32 s1, s3, s1
	global_store_dword v0, v1, s[0:1]
	global_store_dword v0, v2, s[0:1] offset:32
	global_store_dword v0, v3, s[0:1] offset:64
	;; [unrolled: 1-line block ×3, first 2 shown]
.LBB180_325:
	s_endpgm
.LBB180_326:
	ds_read_b32 v7, v5
	s_waitcnt lgkmcnt(0)
	v_add_f32_e32 v1, v1, v7
	s_or_b32 exec_lo, exec_lo, s0
	s_and_saveexec_b32 s0, vcc_lo
	s_cbranch_execz .LBB180_310
.LBB180_327:
	ds_read_b32 v7, v5 offset:32
	s_waitcnt lgkmcnt(0)
	v_add_f32_e32 v2, v2, v7
	s_or_b32 exec_lo, exec_lo, s0
	s_and_saveexec_b32 s0, vcc_lo
	s_cbranch_execz .LBB180_311
.LBB180_328:
	ds_read_b32 v7, v5 offset:64
	s_waitcnt lgkmcnt(0)
	v_add_f32_e32 v3, v3, v7
	s_or_b32 exec_lo, exec_lo, s0
	s_and_saveexec_b32 s0, vcc_lo
	s_cbranch_execnz .LBB180_312
	s_branch .LBB180_313
.LBB180_329:
	ds_read_b32 v6, v5
	s_waitcnt lgkmcnt(0)
	v_add_f32_e32 v1, v1, v6
	s_or_b32 exec_lo, exec_lo, s0
	s_and_saveexec_b32 s0, vcc_lo
	s_cbranch_execz .LBB180_319
.LBB180_330:
	ds_read_b32 v6, v5 offset:32
	s_waitcnt lgkmcnt(0)
	v_add_f32_e32 v2, v2, v6
	s_or_b32 exec_lo, exec_lo, s0
	s_and_saveexec_b32 s0, vcc_lo
	s_cbranch_execz .LBB180_320
.LBB180_331:
	ds_read_b32 v6, v5 offset:64
	s_waitcnt lgkmcnt(0)
	v_add_f32_e32 v3, v3, v6
	s_or_b32 exec_lo, exec_lo, s0
	s_and_saveexec_b32 s0, vcc_lo
	s_cbranch_execnz .LBB180_321
	s_branch .LBB180_322
	.section	.rodata,"a",@progbits
	.p2align	6, 0x0
	.amdhsa_kernel _ZN4vllm25paged_attention_v1_kernelIfhLi32ELi16ELi128ELNS_18Fp8KVCacheDataTypeE1ELb1EEEvPT_PKS2_PKT0_S8_ifPKiSA_iPKfiiiSC_SC_iiiii
		.amdhsa_group_segment_fixed_size 160
		.amdhsa_private_segment_fixed_size 0
		.amdhsa_kernarg_size 384
		.amdhsa_user_sgpr_count 6
		.amdhsa_user_sgpr_private_segment_buffer 1
		.amdhsa_user_sgpr_dispatch_ptr 0
		.amdhsa_user_sgpr_queue_ptr 0
		.amdhsa_user_sgpr_kernarg_segment_ptr 1
		.amdhsa_user_sgpr_dispatch_id 0
		.amdhsa_user_sgpr_flat_scratch_init 0
		.amdhsa_user_sgpr_private_segment_size 0
		.amdhsa_wavefront_size32 1
		.amdhsa_uses_dynamic_stack 0
		.amdhsa_system_sgpr_private_segment_wavefront_offset 0
		.amdhsa_system_sgpr_workgroup_id_x 1
		.amdhsa_system_sgpr_workgroup_id_y 1
		.amdhsa_system_sgpr_workgroup_id_z 1
		.amdhsa_system_sgpr_workgroup_info 0
		.amdhsa_system_vgpr_workitem_id 0
		.amdhsa_next_free_vgpr 77
		.amdhsa_next_free_sgpr 45
		.amdhsa_reserve_vcc 1
		.amdhsa_reserve_flat_scratch 0
		.amdhsa_float_round_mode_32 0
		.amdhsa_float_round_mode_16_64 0
		.amdhsa_float_denorm_mode_32 3
		.amdhsa_float_denorm_mode_16_64 3
		.amdhsa_dx10_clamp 1
		.amdhsa_ieee_mode 1
		.amdhsa_fp16_overflow 0
		.amdhsa_workgroup_processor_mode 1
		.amdhsa_memory_ordered 1
		.amdhsa_forward_progress 1
		.amdhsa_shared_vgpr_count 0
		.amdhsa_exception_fp_ieee_invalid_op 0
		.amdhsa_exception_fp_denorm_src 0
		.amdhsa_exception_fp_ieee_div_zero 0
		.amdhsa_exception_fp_ieee_overflow 0
		.amdhsa_exception_fp_ieee_underflow 0
		.amdhsa_exception_fp_ieee_inexact 0
		.amdhsa_exception_int_div_zero 0
	.end_amdhsa_kernel
	.section	.text._ZN4vllm25paged_attention_v1_kernelIfhLi32ELi16ELi128ELNS_18Fp8KVCacheDataTypeE1ELb1EEEvPT_PKS2_PKT0_S8_ifPKiSA_iPKfiiiSC_SC_iiiii,"axG",@progbits,_ZN4vllm25paged_attention_v1_kernelIfhLi32ELi16ELi128ELNS_18Fp8KVCacheDataTypeE1ELb1EEEvPT_PKS2_PKT0_S8_ifPKiSA_iPKfiiiSC_SC_iiiii,comdat
.Lfunc_end180:
	.size	_ZN4vllm25paged_attention_v1_kernelIfhLi32ELi16ELi128ELNS_18Fp8KVCacheDataTypeE1ELb1EEEvPT_PKS2_PKT0_S8_ifPKiSA_iPKfiiiSC_SC_iiiii, .Lfunc_end180-_ZN4vllm25paged_attention_v1_kernelIfhLi32ELi16ELi128ELNS_18Fp8KVCacheDataTypeE1ELb1EEEvPT_PKS2_PKT0_S8_ifPKiSA_iPKfiiiSC_SC_iiiii
                                        ; -- End function
	.set _ZN4vllm25paged_attention_v1_kernelIfhLi32ELi16ELi128ELNS_18Fp8KVCacheDataTypeE1ELb1EEEvPT_PKS2_PKT0_S8_ifPKiSA_iPKfiiiSC_SC_iiiii.num_vgpr, 77
	.set _ZN4vllm25paged_attention_v1_kernelIfhLi32ELi16ELi128ELNS_18Fp8KVCacheDataTypeE1ELb1EEEvPT_PKS2_PKT0_S8_ifPKiSA_iPKfiiiSC_SC_iiiii.num_agpr, 0
	.set _ZN4vllm25paged_attention_v1_kernelIfhLi32ELi16ELi128ELNS_18Fp8KVCacheDataTypeE1ELb1EEEvPT_PKS2_PKT0_S8_ifPKiSA_iPKfiiiSC_SC_iiiii.numbered_sgpr, 45
	.set _ZN4vllm25paged_attention_v1_kernelIfhLi32ELi16ELi128ELNS_18Fp8KVCacheDataTypeE1ELb1EEEvPT_PKS2_PKT0_S8_ifPKiSA_iPKfiiiSC_SC_iiiii.num_named_barrier, 0
	.set _ZN4vllm25paged_attention_v1_kernelIfhLi32ELi16ELi128ELNS_18Fp8KVCacheDataTypeE1ELb1EEEvPT_PKS2_PKT0_S8_ifPKiSA_iPKfiiiSC_SC_iiiii.private_seg_size, 0
	.set _ZN4vllm25paged_attention_v1_kernelIfhLi32ELi16ELi128ELNS_18Fp8KVCacheDataTypeE1ELb1EEEvPT_PKS2_PKT0_S8_ifPKiSA_iPKfiiiSC_SC_iiiii.uses_vcc, 1
	.set _ZN4vllm25paged_attention_v1_kernelIfhLi32ELi16ELi128ELNS_18Fp8KVCacheDataTypeE1ELb1EEEvPT_PKS2_PKT0_S8_ifPKiSA_iPKfiiiSC_SC_iiiii.uses_flat_scratch, 0
	.set _ZN4vllm25paged_attention_v1_kernelIfhLi32ELi16ELi128ELNS_18Fp8KVCacheDataTypeE1ELb1EEEvPT_PKS2_PKT0_S8_ifPKiSA_iPKfiiiSC_SC_iiiii.has_dyn_sized_stack, 0
	.set _ZN4vllm25paged_attention_v1_kernelIfhLi32ELi16ELi128ELNS_18Fp8KVCacheDataTypeE1ELb1EEEvPT_PKS2_PKT0_S8_ifPKiSA_iPKfiiiSC_SC_iiiii.has_recursion, 0
	.set _ZN4vllm25paged_attention_v1_kernelIfhLi32ELi16ELi128ELNS_18Fp8KVCacheDataTypeE1ELb1EEEvPT_PKS2_PKT0_S8_ifPKiSA_iPKfiiiSC_SC_iiiii.has_indirect_call, 0
	.section	.AMDGPU.csdata,"",@progbits
; Kernel info:
; codeLenInByte = 10820
; TotalNumSgprs: 47
; NumVgprs: 77
; ScratchSize: 0
; MemoryBound: 0
; FloatMode: 240
; IeeeMode: 1
; LDSByteSize: 160 bytes/workgroup (compile time only)
; SGPRBlocks: 0
; VGPRBlocks: 9
; NumSGPRsForWavesPerEU: 47
; NumVGPRsForWavesPerEU: 77
; Occupancy: 12
; WaveLimiterHint : 1
; COMPUTE_PGM_RSRC2:SCRATCH_EN: 0
; COMPUTE_PGM_RSRC2:USER_SGPR: 6
; COMPUTE_PGM_RSRC2:TRAP_HANDLER: 0
; COMPUTE_PGM_RSRC2:TGID_X_EN: 1
; COMPUTE_PGM_RSRC2:TGID_Y_EN: 1
; COMPUTE_PGM_RSRC2:TGID_Z_EN: 1
; COMPUTE_PGM_RSRC2:TIDIG_COMP_CNT: 0
	.section	.text._ZN4vllm25paged_attention_v1_kernelIfhLi64ELi16ELi128ELNS_18Fp8KVCacheDataTypeE1ELb1EEEvPT_PKS2_PKT0_S8_ifPKiSA_iPKfiiiSC_SC_iiiii,"axG",@progbits,_ZN4vllm25paged_attention_v1_kernelIfhLi64ELi16ELi128ELNS_18Fp8KVCacheDataTypeE1ELb1EEEvPT_PKS2_PKT0_S8_ifPKiSA_iPKfiiiSC_SC_iiiii,comdat
	.protected	_ZN4vllm25paged_attention_v1_kernelIfhLi64ELi16ELi128ELNS_18Fp8KVCacheDataTypeE1ELb1EEEvPT_PKS2_PKT0_S8_ifPKiSA_iPKfiiiSC_SC_iiiii ; -- Begin function _ZN4vllm25paged_attention_v1_kernelIfhLi64ELi16ELi128ELNS_18Fp8KVCacheDataTypeE1ELb1EEEvPT_PKS2_PKT0_S8_ifPKiSA_iPKfiiiSC_SC_iiiii
	.globl	_ZN4vllm25paged_attention_v1_kernelIfhLi64ELi16ELi128ELNS_18Fp8KVCacheDataTypeE1ELb1EEEvPT_PKS2_PKT0_S8_ifPKiSA_iPKfiiiSC_SC_iiiii
	.p2align	8
	.type	_ZN4vllm25paged_attention_v1_kernelIfhLi64ELi16ELi128ELNS_18Fp8KVCacheDataTypeE1ELb1EEEvPT_PKS2_PKT0_S8_ifPKiSA_iPKfiiiSC_SC_iiiii,@function
_ZN4vllm25paged_attention_v1_kernelIfhLi64ELi16ELi128ELNS_18Fp8KVCacheDataTypeE1ELb1EEEvPT_PKS2_PKT0_S8_ifPKiSA_iPKfiiiSC_SC_iiiii: ; @_ZN4vllm25paged_attention_v1_kernelIfhLi64ELi16ELi128ELNS_18Fp8KVCacheDataTypeE1ELb1EEEvPT_PKS2_PKT0_S8_ifPKiSA_iPKfiiiSC_SC_iiiii
; %bb.0:
	s_clause 0x2
	s_load_dword s9, s[4:5], 0x80
	s_load_dwordx2 s[0:1], s[4:5], 0x30
	s_load_dwordx2 s[34:35], s[4:5], 0x20
	s_mov_b32 s10, s7
	s_ashr_i32 s11, s7, 31
	s_mov_b32 s36, 0
	s_lshl_b64 s[2:3], s[10:11], 2
	s_waitcnt lgkmcnt(0)
	s_add_u32 s0, s0, s2
	s_addc_u32 s1, s1, s3
	s_abs_i32 s2, s34
	s_abs_i32 s11, s9
	v_cvt_f32_u32_e32 v1, s2
	s_sub_i32 s7, 0, s2
	v_rcp_iflag_f32_e32 v1, v1
	v_mul_f32_e32 v1, 0x4f7ffffe, v1
	v_cvt_u32_f32_e32 v1, v1
	v_readfirstlane_b32 s3, v1
	s_mul_i32 s7, s7, s3
	s_mul_hi_u32 s7, s3, s7
	s_add_i32 s3, s3, s7
	s_xor_b32 s7, s9, s34
	s_mul_hi_u32 s3, s11, s3
	s_ashr_i32 s7, s7, 31
	s_mul_i32 s12, s3, s2
	s_sub_i32 s11, s11, s12
	s_add_i32 s12, s3, 1
	s_sub_i32 s13, s11, s2
	s_cmp_ge_u32 s11, s2
	s_cselect_b32 s3, s12, s3
	s_cselect_b32 s11, s13, s11
	s_add_i32 s12, s3, 1
	s_cmp_ge_u32 s11, s2
	s_cselect_b32 s2, s12, s3
	s_xor_b32 s2, s2, s7
	s_sub_i32 s14, s2, s7
	s_load_dwordx2 s[2:3], s[4:5], 0x40
	s_abs_i32 s11, s14
	v_cvt_f32_u32_e32 v1, s11
	s_sub_i32 s12, 0, s11
	v_rcp_iflag_f32_e32 v1, v1
	v_mul_f32_e32 v1, 0x4f7ffffe, v1
	v_cvt_u32_f32_e32 v1, v1
	v_readfirstlane_b32 s7, v1
	s_mul_i32 s12, s12, s7
	s_mul_hi_u32 s13, s7, s12
	s_abs_i32 s12, s6
	s_add_i32 s7, s7, s13
	s_waitcnt lgkmcnt(0)
	s_cmp_eq_u64 s[2:3], 0
	s_mul_hi_u32 s13, s12, s7
	s_cbranch_scc1 .LBB181_2
; %bb.1:
	s_ashr_i32 s7, s6, 31
	s_lshl_b64 s[16:17], s[6:7], 2
	s_add_u32 s2, s2, s16
	s_addc_u32 s3, s3, s17
	s_load_dword s36, s[2:3], 0x0
.LBB181_2:
	s_load_dword s33, s[0:1], 0x0
	s_load_dwordx4 s[16:19], s[4:5], 0x48
	v_and_b32_e32 v1, 1, v0
	v_cmp_gt_u32_e64 s0, 32, v0
	v_lshlrev_b32_e32 v109, 2, v0
	s_ashr_i32 s1, s6, 31
	s_ashr_i32 s2, s14, 31
	s_lshl_b32 s24, s6, 6
	s_and_saveexec_b32 s3, s0
	s_cbranch_execz .LBB181_4
; %bb.3:
	s_load_dwordx2 s[14:15], s[4:5], 0x8
	s_waitcnt lgkmcnt(0)
	s_mul_i32 s20, s16, s10
	v_lshlrev_b32_e32 v2, 3, v0
	s_ashr_i32 s21, s20, 31
	v_and_b32_e32 v4, 0xff8, v109
	s_lshl_b64 s[20:21], s[20:21], 2
	v_lshl_add_u32 v4, v1, 7, v4
	s_add_u32 s7, s14, s20
	s_addc_u32 s16, s15, s21
	s_ashr_i32 s25, s24, 31
	s_lshl_b64 s[14:15], s[24:25], 2
	s_add_u32 s14, s7, s14
	s_addc_u32 s15, s16, s15
	global_load_dwordx2 v[2:3], v2, s[14:15]
	s_waitcnt vmcnt(0)
	ds_write_b64 v4, v[2:3]
.LBB181_4:
	s_or_b32 exec_lo, exec_lo, s3
	s_load_dwordx4 s[20:23], s[4:5], 0x68
	s_mul_i32 s3, s13, s11
	s_xor_b32 s2, s1, s2
	s_sub_i32 s1, s12, s3
	s_add_i32 s3, s13, 1
	s_sub_i32 s7, s1, s11
	s_cmp_ge_u32 s1, s11
	s_waitcnt lgkmcnt(0)
	s_cselect_b32 s3, s3, s13
	s_cselect_b32 s1, s7, s1
	s_add_i32 s7, s3, 1
	s_cmp_ge_u32 s1, s11
	s_load_dword s1, s[4:5], 0x78
	s_cselect_b32 s3, s7, s3
	s_add_i32 s7, s33, -1
	s_xor_b32 s3, s3, s2
	s_abs_i32 s11, s7
	s_sub_i32 s2, s3, s2
	s_mov_b32 s13, -1
	s_barrier
	s_abs_i32 s16, s23
	s_waitcnt lgkmcnt(0)
	buffer_gl0_inv
	v_cvt_f32_u32_e32 v2, s16
	s_sub_i32 s3, 0, s16
                                        ; implicit-def: $sgpr25
	v_rcp_iflag_f32_e32 v2, v2
	v_mul_f32_e32 v2, 0x4f7ffffe, v2
	v_cvt_u32_f32_e32 v2, v2
	v_readfirstlane_b32 s19, v2
	s_mul_i32 s3, s3, s19
	s_mul_hi_u32 s3, s19, s3
	s_add_i32 s19, s19, s3
	s_cmp_lt_i32 s1, 0
	s_mul_hi_u32 s3, s11, s19
	s_cbranch_scc0 .LBB181_6
; %bb.5:
	s_mul_i32 s12, s20, s34
	s_mov_b32 s13, 0
	s_add_i32 s12, s2, s12
	s_mul_i32 s12, s12, s1
	s_sub_i32 s25, 1, s12
.LBB181_6:
	s_load_dwordx2 s[26:27], s[4:5], 0x28
	s_ashr_i32 s12, s7, 31
	s_andn2_b32 vcc_lo, exec_lo, s13
	s_ashr_i32 s23, s23, 31
	s_cbranch_vccnz .LBB181_8
; %bb.7:
	s_mul_i32 s7, s9, s20
	s_add_i32 s6, s7, s6
	s_mul_i32 s1, s6, s1
	s_add_i32 s25, s1, 1
.LBB181_8:
	s_clause 0x2
	s_load_dword s1, s[4:5], 0x38
	s_load_dwordx2 s[6:7], s[4:5], 0x0
	s_load_dwordx2 s[30:31], s[4:5], 0x18
	s_xor_b32 s34, s12, s23
	s_mul_i32 s12, s3, s16
	s_add_i32 s20, s3, 1
	s_sub_i32 s37, s11, s12
	s_clause 0x1
	s_load_dword s11, s[4:5], 0x88
	s_load_dwordx4 s[12:15], s[4:5], 0x58
	v_lshrrev_b32_e32 v107, 5, v0
	v_mov_b32_e32 v114, 0xff7fffff
	v_lshrrev_b32_e32 v110, 3, v0
	v_mbcnt_lo_u32_b32 v111, -1, 0
	s_mul_i32 s18, s2, s18
	v_lshlrev_b32_e32 v108, 4, v107
	s_waitcnt lgkmcnt(0)
	s_mul_i32 s28, s1, s10
	s_sub_i32 s1, s37, s16
	s_ashr_i32 s29, s28, 31
	s_cmp_ge_u32 s37, s16
	s_cselect_b32 s3, s20, s3
	s_cselect_b32 s1, s1, s37
	s_add_i32 s20, s3, 1
	s_cmp_ge_u32 s1, s16
	s_cselect_b32 s1, s20, s3
	s_add_i32 s3, s33, 15
	s_ashr_i32 s20, s3, 31
	s_lshr_b32 s20, s20, 28
	s_add_i32 s3, s3, s20
	s_ashr_i32 s20, s3, 4
	s_xor_b32 s3, s1, s34
	v_cmp_gt_i32_e64 s1, s20, v107
	s_sub_i32 s34, s3, s34
	s_and_saveexec_b32 s37, s1
	s_cbranch_execz .LBB181_276
; %bb.9:
	s_load_dwordx2 s[2:3], s[4:5], 0x10
	s_sub_i32 s5, s34, s21
	s_ashr_i32 s4, s18, 31
	v_bfe_u32 v112, v0, 1, 4
	v_cmp_eq_u32_e32 vcc_lo, 0, v1
	v_lshlrev_b32_e32 v3, 1, v1
	v_lshlrev_b32_e32 v113, 7, v1
	v_and_b32_e32 v1, 0x7c, v110
	v_lshlrev_b32_e32 v4, 2, v112
	v_subrev_nc_u32_e32 v5, s33, v112
	v_lshlrev_b32_e32 v6, 4, v112
	v_mov_b32_e32 v34, 0
	v_lshlrev_b32_e32 v115, 4, v107
	v_lshl_or_b32 v4, v107, 6, v4
	v_add_nc_u32_e32 v119, 1, v5
	v_mov_b32_e32 v116, 0xff7fffff
	v_mov_b32_e32 v117, 0x80
	v_bfrev_b32_e32 v36, 1
	v_add_nc_u32_e32 v120, 0x120, v4
	v_mov_b32_e32 v118, 0xffff
	s_waitcnt lgkmcnt(0)
	s_add_u32 s39, s2, s18
	s_addc_u32 s3, s3, s4
	s_abs_i32 s38, s22
	s_lshl_b64 s[40:41], s[28:29], 2
	v_cvt_f32_u32_e32 v2, s38
	s_sub_i32 s4, 0, s38
	v_cmp_neq_f32_e64 s2, s36, 0
	v_mov_b32_e32 v38, 0x7f800001
	v_mov_b32_e32 v114, 0xff7fffff
	v_rcp_iflag_f32_e32 v2, v2
	v_mov_b32_e32 v122, v107
	v_mul_f32_e32 v2, 0x4f7ffffe, v2
	v_cvt_u32_f32_e32 v2, v2
	v_mul_lo_u32 v4, s4, v2
	v_add_co_u32 v5, s4, s39, v6
	v_add_co_ci_u32_e64 v6, null, s3, 0, s4
	s_add_u32 s3, s26, s40
	s_addc_u32 s4, s27, s41
	v_add_co_u32 v39, s3, s3, v1
	v_mul_hi_u32 v4, v2, v4
	v_add_co_ci_u32_e64 v40, null, s4, 0, s3
	v_add_co_u32 v41, s3, v5, v3
	v_add_co_ci_u32_e64 v42, null, 0, v6, s3
	s_mov_b32 s39, 0
	v_add_nc_u32_e32 v121, v2, v4
	s_mov_b32 s40, s17
	s_branch .LBB181_12
.LBB181_10:                             ;   in Loop: Header=BB181_12 Depth=1
	s_or_b32 exec_lo, exec_lo, s41
.LBB181_11:                             ;   in Loop: Header=BB181_12 Depth=1
	s_or_b32 exec_lo, exec_lo, s4
	v_add_nc_u32_e32 v122, 4, v122
	v_add_co_u32 v39, s4, v39, 16
	v_add_co_ci_u32_e64 v40, null, 0, v40, s4
	v_cmp_le_i32_e64 s3, s20, v122
	v_add_nc_u32_e32 v115, 64, v115
	v_add_nc_u32_e32 v120, 0x100, v120
	s_or_b32 s39, s3, s39
	s_andn2_b32 exec_lo, exec_lo, s39
	s_cbranch_execz .LBB181_275
.LBB181_12:                             ; =>This Inner Loop Header: Depth=1
	v_mul_hi_u32 v1, v115, s19
	s_waitcnt lgkmcnt(0)
	v_mul_lo_u32 v2, v1, s16
	v_add_nc_u32_e32 v3, 1, v1
	v_sub_nc_u32_e32 v2, v115, v2
	v_subrev_nc_u32_e32 v4, s16, v2
	v_cmp_le_u32_e64 s3, s16, v2
	v_cndmask_b32_e64 v1, v1, v3, s3
	v_cndmask_b32_e64 v2, v2, v4, s3
	v_add_nc_u32_e32 v3, 1, v1
	v_cmp_le_u32_e64 s3, s16, v2
	v_cndmask_b32_e64 v1, v1, v3, s3
	v_xor_b32_e32 v1, s23, v1
	v_subrev_nc_u32_e32 v1, s23, v1
	v_add_nc_u32_e32 v2, s25, v1
	v_cmp_ge_i32_e64 s4, s5, v1
	v_sub_nc_u32_e32 v3, 0, v2
	v_max_i32_e32 v3, v2, v3
	v_ashrrev_i32_e32 v2, 31, v2
	v_mul_hi_u32 v4, v3, v121
	v_mul_lo_u32 v4, v4, s38
	v_sub_nc_u32_e32 v3, v3, v4
	v_subrev_nc_u32_e32 v4, s38, v3
	v_cmp_le_u32_e64 s3, s38, v3
	v_cndmask_b32_e64 v3, v3, v4, s3
	v_subrev_nc_u32_e32 v4, s38, v3
	v_cmp_le_u32_e64 s3, s38, v3
	v_cndmask_b32_e64 v3, v3, v4, s3
	v_xor_b32_e32 v3, v3, v2
	v_sub_nc_u32_e32 v2, v3, v2
	v_cmp_ne_u32_e64 s3, 0, v2
	s_and_b32 s3, s3, s4
	s_and_saveexec_b32 s4, s3
	s_xor_b32 s3, exec_lo, s4
	s_cbranch_execz .LBB181_16
; %bb.13:                               ;   in Loop: Header=BB181_12 Depth=1
	s_and_saveexec_b32 s4, vcc_lo
; %bb.14:                               ;   in Loop: Header=BB181_12 Depth=1
	ds_write_b32 v120, v116
; %bb.15:                               ;   in Loop: Header=BB181_12 Depth=1
	s_or_b32 exec_lo, exec_lo, s4
.LBB181_16:                             ;   in Loop: Header=BB181_12 Depth=1
	s_andn2_saveexec_b32 s4, s3
	s_cbranch_execz .LBB181_11
; %bb.17:                               ;   in Loop: Header=BB181_12 Depth=1
	global_load_dword v1, v[39:40], off
	v_mov_b32_e32 v45, 0
	v_mov_b32_e32 v43, 0
	;; [unrolled: 1-line block ×4, first 2 shown]
	s_waitcnt vmcnt(0)
	v_mad_i64_i32 v[47:48], null, v1, s40, v[41:42]
	global_load_ushort v33, v[47:48], off
	ds_read_b128 v[29:32], v113
	ds_read_b128 v[25:28], v113 offset:16
	ds_read_b128 v[21:24], v113 offset:32
	;; [unrolled: 1-line block ×7, first 2 shown]
	s_load_dword s41, s[12:13], 0x0
	s_waitcnt vmcnt(0)
	v_and_b32_e32 v49, 0xffff, v33
	v_cmp_ne_u16_sdwa s3, v33, v34 src0_sel:BYTE_0 src1_sel:DWORD
	s_and_saveexec_b32 s42, s3
	s_cbranch_execz .LBB181_25
; %bb.18:                               ;   in Loop: Header=BB181_12 Depth=1
	v_bfrev_b32_e32 v43, 1
	v_mov_b32_e32 v44, 0
	v_cmp_ne_u16_sdwa s3, v49, v117 src0_sel:BYTE_0 src1_sel:DWORD
	s_and_saveexec_b32 s43, s3
	s_cbranch_execz .LBB181_24
; %bb.19:                               ;   in Loop: Header=BB181_12 Depth=1
	v_mov_b32_e32 v43, 0x7f800001
	v_and_b32_e32 v37, 0x7f, v49
	v_mov_b32_e32 v44, 0
	s_mov_b32 s44, exec_lo
	v_cmpx_ne_u32_e32 0x7f, v37
	s_cbranch_execz .LBB181_23
; %bb.20:                               ;   in Loop: Header=BB181_12 Depth=1
	v_and_b32_e32 v33, 7, v49
	v_lshrrev_b32_e32 v35, 3, v37
	s_mov_b32 s45, exec_lo
	v_cmpx_gt_u32_e32 8, v37
; %bb.21:                               ;   in Loop: Header=BB181_12 Depth=1
	v_ffbh_u32_e32 v35, v33
	v_min_u32_e32 v35, 32, v35
	v_subrev_nc_u32_e32 v37, 28, v35
	v_sub_nc_u32_e32 v35, 29, v35
	v_lshlrev_b64 v[43:44], v37, v[33:34]
	v_and_b32_e32 v33, 7, v43
; %bb.22:                               ;   in Loop: Header=BB181_12 Depth=1
	s_or_b32 exec_lo, exec_lo, s45
	v_lshlrev_b32_e32 v37, 24, v49
	v_lshlrev_b32_e32 v33, 20, v33
	v_lshl_add_u32 v35, v35, 23, 0x3c000000
	v_and_b32_e32 v37, 0x80000000, v37
	v_or3_b32 v33, v33, v37, v35
	v_mov_b32_e32 v44, v34
	v_mov_b32_e32 v43, v33
.LBB181_23:                             ;   in Loop: Header=BB181_12 Depth=1
	s_or_b32 exec_lo, exec_lo, s44
.LBB181_24:                             ;   in Loop: Header=BB181_12 Depth=1
	s_or_b32 exec_lo, exec_lo, s43
.LBB181_25:                             ;   in Loop: Header=BB181_12 Depth=1
	s_or_b32 exec_lo, exec_lo, s42
	v_cmp_ne_u16_sdwa s3, v49, v34 src0_sel:BYTE_1 src1_sel:DWORD
	s_and_saveexec_b32 s42, s3
	s_cbranch_execz .LBB181_33
; %bb.26:                               ;   in Loop: Header=BB181_12 Depth=1
	v_mov_b32_e32 v35, v34
	v_mov_b32_e32 v46, v36
	v_cmp_ne_u16_sdwa s3, v49, v117 src0_sel:BYTE_1 src1_sel:DWORD
	v_mov_b32_e32 v45, v35
	s_and_saveexec_b32 s43, s3
	s_cbranch_execz .LBB181_32
; %bb.27:                               ;   in Loop: Header=BB181_12 Depth=1
	v_and_b32_sdwa v33, v118, v49 dst_sel:DWORD dst_unused:UNUSED_PAD src0_sel:DWORD src1_sel:BYTE_1
	v_mov_b32_e32 v37, v34
	v_mov_b32_e32 v46, v38
	s_mov_b32 s44, exec_lo
	v_and_b32_e32 v50, 0x7f, v33
	v_mov_b32_e32 v45, v37
	v_cmpx_ne_u32_e32 0x7f, v50
	s_cbranch_execz .LBB181_31
; %bb.28:                               ;   in Loop: Header=BB181_12 Depth=1
	v_and_b32_e32 v33, 7, v33
	v_lshrrev_b32_e32 v35, 3, v50
	s_mov_b32 s45, exec_lo
	v_cmpx_gt_u32_e32 8, v50
; %bb.29:                               ;   in Loop: Header=BB181_12 Depth=1
	v_ffbh_u32_e32 v35, v33
	v_min_u32_e32 v35, 32, v35
	v_subrev_nc_u32_e32 v37, 28, v35
	v_sub_nc_u32_e32 v35, 29, v35
	v_lshlrev_b64 v[45:46], v37, v[33:34]
	v_and_b32_e32 v33, 7, v45
; %bb.30:                               ;   in Loop: Header=BB181_12 Depth=1
	s_or_b32 exec_lo, exec_lo, s45
	v_lshlrev_b32_e32 v37, 16, v49
	v_lshlrev_b32_e32 v33, 20, v33
	v_lshl_add_u32 v35, v35, 23, 0x3c000000
	v_mov_b32_e32 v45, v34
	v_and_b32_e32 v37, 0x80000000, v37
	v_or3_b32 v46, v33, v37, v35
.LBB181_31:                             ;   in Loop: Header=BB181_12 Depth=1
	s_or_b32 exec_lo, exec_lo, s44
.LBB181_32:                             ;   in Loop: Header=BB181_12 Depth=1
	s_or_b32 exec_lo, exec_lo, s43
.LBB181_33:                             ;   in Loop: Header=BB181_12 Depth=1
	s_or_b32 exec_lo, exec_lo, s42
	global_load_ushort v33, v[47:48], off offset:4
	v_mov_b32_e32 v51, 0
	v_mov_b32_e32 v49, 0
	;; [unrolled: 1-line block ×4, first 2 shown]
	s_waitcnt vmcnt(0)
	v_and_b32_e32 v53, 0xffff, v33
	v_cmp_ne_u16_sdwa s3, v33, v34 src0_sel:BYTE_0 src1_sel:DWORD
	s_and_saveexec_b32 s42, s3
	s_cbranch_execz .LBB181_41
; %bb.34:                               ;   in Loop: Header=BB181_12 Depth=1
	v_bfrev_b32_e32 v49, 1
	v_mov_b32_e32 v50, 0
	v_cmp_ne_u16_sdwa s3, v53, v117 src0_sel:BYTE_0 src1_sel:DWORD
	s_and_saveexec_b32 s43, s3
	s_cbranch_execz .LBB181_40
; %bb.35:                               ;   in Loop: Header=BB181_12 Depth=1
	v_mov_b32_e32 v49, 0x7f800001
	v_and_b32_e32 v37, 0x7f, v53
	v_mov_b32_e32 v50, 0
	s_mov_b32 s44, exec_lo
	v_cmpx_ne_u32_e32 0x7f, v37
	s_cbranch_execz .LBB181_39
; %bb.36:                               ;   in Loop: Header=BB181_12 Depth=1
	v_and_b32_e32 v33, 7, v53
	v_lshrrev_b32_e32 v35, 3, v37
	s_mov_b32 s45, exec_lo
	v_cmpx_gt_u32_e32 8, v37
; %bb.37:                               ;   in Loop: Header=BB181_12 Depth=1
	v_ffbh_u32_e32 v35, v33
	v_min_u32_e32 v35, 32, v35
	v_subrev_nc_u32_e32 v37, 28, v35
	v_sub_nc_u32_e32 v35, 29, v35
	v_lshlrev_b64 v[49:50], v37, v[33:34]
	v_and_b32_e32 v33, 7, v49
; %bb.38:                               ;   in Loop: Header=BB181_12 Depth=1
	s_or_b32 exec_lo, exec_lo, s45
	v_lshlrev_b32_e32 v37, 24, v53
	v_lshlrev_b32_e32 v33, 20, v33
	v_lshl_add_u32 v35, v35, 23, 0x3c000000
	v_and_b32_e32 v37, 0x80000000, v37
	v_or3_b32 v33, v33, v37, v35
	v_mov_b32_e32 v50, v34
	v_mov_b32_e32 v49, v33
.LBB181_39:                             ;   in Loop: Header=BB181_12 Depth=1
	s_or_b32 exec_lo, exec_lo, s44
.LBB181_40:                             ;   in Loop: Header=BB181_12 Depth=1
	s_or_b32 exec_lo, exec_lo, s43
.LBB181_41:                             ;   in Loop: Header=BB181_12 Depth=1
	s_or_b32 exec_lo, exec_lo, s42
	v_cmp_ne_u16_sdwa s3, v53, v34 src0_sel:BYTE_1 src1_sel:DWORD
	s_and_saveexec_b32 s42, s3
	s_cbranch_execz .LBB181_49
; %bb.42:                               ;   in Loop: Header=BB181_12 Depth=1
	v_mov_b32_e32 v35, v34
	v_mov_b32_e32 v52, v36
	v_cmp_ne_u16_sdwa s3, v53, v117 src0_sel:BYTE_1 src1_sel:DWORD
	v_mov_b32_e32 v51, v35
	s_and_saveexec_b32 s43, s3
	s_cbranch_execz .LBB181_48
; %bb.43:                               ;   in Loop: Header=BB181_12 Depth=1
	v_and_b32_sdwa v33, v118, v53 dst_sel:DWORD dst_unused:UNUSED_PAD src0_sel:DWORD src1_sel:BYTE_1
	v_mov_b32_e32 v37, v34
	v_mov_b32_e32 v52, v38
	s_mov_b32 s44, exec_lo
	v_and_b32_e32 v54, 0x7f, v33
	v_mov_b32_e32 v51, v37
	v_cmpx_ne_u32_e32 0x7f, v54
	s_cbranch_execz .LBB181_47
; %bb.44:                               ;   in Loop: Header=BB181_12 Depth=1
	v_and_b32_e32 v33, 7, v33
	v_lshrrev_b32_e32 v35, 3, v54
	s_mov_b32 s45, exec_lo
	v_cmpx_gt_u32_e32 8, v54
; %bb.45:                               ;   in Loop: Header=BB181_12 Depth=1
	v_ffbh_u32_e32 v35, v33
	v_min_u32_e32 v35, 32, v35
	v_subrev_nc_u32_e32 v37, 28, v35
	v_sub_nc_u32_e32 v35, 29, v35
	v_lshlrev_b64 v[51:52], v37, v[33:34]
	v_and_b32_e32 v33, 7, v51
; %bb.46:                               ;   in Loop: Header=BB181_12 Depth=1
	s_or_b32 exec_lo, exec_lo, s45
	v_lshlrev_b32_e32 v37, 16, v53
	v_lshlrev_b32_e32 v33, 20, v33
	v_lshl_add_u32 v35, v35, 23, 0x3c000000
	v_mov_b32_e32 v51, v34
	v_and_b32_e32 v37, 0x80000000, v37
	v_or3_b32 v52, v33, v37, v35
.LBB181_47:                             ;   in Loop: Header=BB181_12 Depth=1
	s_or_b32 exec_lo, exec_lo, s44
.LBB181_48:                             ;   in Loop: Header=BB181_12 Depth=1
	s_or_b32 exec_lo, exec_lo, s43
.LBB181_49:                             ;   in Loop: Header=BB181_12 Depth=1
	s_or_b32 exec_lo, exec_lo, s42
	global_load_ushort v33, v[47:48], off offset:8
	v_mov_b32_e32 v55, 0
	v_mov_b32_e32 v53, 0
	;; [unrolled: 1-line block ×4, first 2 shown]
	s_waitcnt vmcnt(0)
	v_and_b32_e32 v57, 0xffff, v33
	v_cmp_ne_u16_sdwa s3, v33, v34 src0_sel:BYTE_0 src1_sel:DWORD
	s_and_saveexec_b32 s42, s3
	s_cbranch_execz .LBB181_57
; %bb.50:                               ;   in Loop: Header=BB181_12 Depth=1
	v_bfrev_b32_e32 v53, 1
	v_mov_b32_e32 v54, 0
	v_cmp_ne_u16_sdwa s3, v57, v117 src0_sel:BYTE_0 src1_sel:DWORD
	s_and_saveexec_b32 s43, s3
	s_cbranch_execz .LBB181_56
; %bb.51:                               ;   in Loop: Header=BB181_12 Depth=1
	v_mov_b32_e32 v53, 0x7f800001
	v_and_b32_e32 v37, 0x7f, v57
	v_mov_b32_e32 v54, 0
	s_mov_b32 s44, exec_lo
	v_cmpx_ne_u32_e32 0x7f, v37
	s_cbranch_execz .LBB181_55
; %bb.52:                               ;   in Loop: Header=BB181_12 Depth=1
	v_and_b32_e32 v33, 7, v57
	v_lshrrev_b32_e32 v35, 3, v37
	s_mov_b32 s45, exec_lo
	v_cmpx_gt_u32_e32 8, v37
; %bb.53:                               ;   in Loop: Header=BB181_12 Depth=1
	v_ffbh_u32_e32 v35, v33
	v_min_u32_e32 v35, 32, v35
	v_subrev_nc_u32_e32 v37, 28, v35
	v_sub_nc_u32_e32 v35, 29, v35
	v_lshlrev_b64 v[53:54], v37, v[33:34]
	v_and_b32_e32 v33, 7, v53
; %bb.54:                               ;   in Loop: Header=BB181_12 Depth=1
	s_or_b32 exec_lo, exec_lo, s45
	v_lshlrev_b32_e32 v37, 24, v57
	v_lshlrev_b32_e32 v33, 20, v33
	v_lshl_add_u32 v35, v35, 23, 0x3c000000
	v_and_b32_e32 v37, 0x80000000, v37
	v_or3_b32 v33, v33, v37, v35
	v_mov_b32_e32 v54, v34
	v_mov_b32_e32 v53, v33
.LBB181_55:                             ;   in Loop: Header=BB181_12 Depth=1
	s_or_b32 exec_lo, exec_lo, s44
.LBB181_56:                             ;   in Loop: Header=BB181_12 Depth=1
	s_or_b32 exec_lo, exec_lo, s43
.LBB181_57:                             ;   in Loop: Header=BB181_12 Depth=1
	s_or_b32 exec_lo, exec_lo, s42
	v_cmp_ne_u16_sdwa s3, v57, v34 src0_sel:BYTE_1 src1_sel:DWORD
	s_and_saveexec_b32 s42, s3
	s_cbranch_execz .LBB181_65
; %bb.58:                               ;   in Loop: Header=BB181_12 Depth=1
	v_mov_b32_e32 v35, v34
	v_mov_b32_e32 v56, v36
	v_cmp_ne_u16_sdwa s3, v57, v117 src0_sel:BYTE_1 src1_sel:DWORD
	v_mov_b32_e32 v55, v35
	s_and_saveexec_b32 s43, s3
	s_cbranch_execz .LBB181_64
; %bb.59:                               ;   in Loop: Header=BB181_12 Depth=1
	v_and_b32_sdwa v33, v118, v57 dst_sel:DWORD dst_unused:UNUSED_PAD src0_sel:DWORD src1_sel:BYTE_1
	v_mov_b32_e32 v37, v34
	v_mov_b32_e32 v56, v38
	s_mov_b32 s44, exec_lo
	v_and_b32_e32 v58, 0x7f, v33
	v_mov_b32_e32 v55, v37
	v_cmpx_ne_u32_e32 0x7f, v58
	s_cbranch_execz .LBB181_63
; %bb.60:                               ;   in Loop: Header=BB181_12 Depth=1
	v_and_b32_e32 v33, 7, v33
	v_lshrrev_b32_e32 v35, 3, v58
	s_mov_b32 s45, exec_lo
	v_cmpx_gt_u32_e32 8, v58
; %bb.61:                               ;   in Loop: Header=BB181_12 Depth=1
	v_ffbh_u32_e32 v35, v33
	v_min_u32_e32 v35, 32, v35
	v_subrev_nc_u32_e32 v37, 28, v35
	v_sub_nc_u32_e32 v35, 29, v35
	v_lshlrev_b64 v[55:56], v37, v[33:34]
	v_and_b32_e32 v33, 7, v55
; %bb.62:                               ;   in Loop: Header=BB181_12 Depth=1
	s_or_b32 exec_lo, exec_lo, s45
	v_lshlrev_b32_e32 v37, 16, v57
	v_lshlrev_b32_e32 v33, 20, v33
	v_lshl_add_u32 v35, v35, 23, 0x3c000000
	v_mov_b32_e32 v55, v34
	v_and_b32_e32 v37, 0x80000000, v37
	v_or3_b32 v56, v33, v37, v35
.LBB181_63:                             ;   in Loop: Header=BB181_12 Depth=1
	s_or_b32 exec_lo, exec_lo, s44
.LBB181_64:                             ;   in Loop: Header=BB181_12 Depth=1
	s_or_b32 exec_lo, exec_lo, s43
.LBB181_65:                             ;   in Loop: Header=BB181_12 Depth=1
	s_or_b32 exec_lo, exec_lo, s42
	global_load_ushort v33, v[47:48], off offset:12
	v_mov_b32_e32 v59, 0
	v_mov_b32_e32 v57, 0
	;; [unrolled: 1-line block ×4, first 2 shown]
	s_waitcnt vmcnt(0)
	v_and_b32_e32 v61, 0xffff, v33
	v_cmp_ne_u16_sdwa s3, v33, v34 src0_sel:BYTE_0 src1_sel:DWORD
	s_and_saveexec_b32 s42, s3
	s_cbranch_execz .LBB181_73
; %bb.66:                               ;   in Loop: Header=BB181_12 Depth=1
	v_bfrev_b32_e32 v57, 1
	v_mov_b32_e32 v58, 0
	v_cmp_ne_u16_sdwa s3, v61, v117 src0_sel:BYTE_0 src1_sel:DWORD
	s_and_saveexec_b32 s43, s3
	s_cbranch_execz .LBB181_72
; %bb.67:                               ;   in Loop: Header=BB181_12 Depth=1
	v_mov_b32_e32 v57, 0x7f800001
	v_and_b32_e32 v37, 0x7f, v61
	v_mov_b32_e32 v58, 0
	s_mov_b32 s44, exec_lo
	v_cmpx_ne_u32_e32 0x7f, v37
	s_cbranch_execz .LBB181_71
; %bb.68:                               ;   in Loop: Header=BB181_12 Depth=1
	v_and_b32_e32 v33, 7, v61
	v_lshrrev_b32_e32 v35, 3, v37
	s_mov_b32 s45, exec_lo
	v_cmpx_gt_u32_e32 8, v37
; %bb.69:                               ;   in Loop: Header=BB181_12 Depth=1
	v_ffbh_u32_e32 v35, v33
	v_min_u32_e32 v35, 32, v35
	v_subrev_nc_u32_e32 v37, 28, v35
	v_sub_nc_u32_e32 v35, 29, v35
	v_lshlrev_b64 v[57:58], v37, v[33:34]
	v_and_b32_e32 v33, 7, v57
; %bb.70:                               ;   in Loop: Header=BB181_12 Depth=1
	s_or_b32 exec_lo, exec_lo, s45
	v_lshlrev_b32_e32 v37, 24, v61
	v_lshlrev_b32_e32 v33, 20, v33
	v_lshl_add_u32 v35, v35, 23, 0x3c000000
	v_and_b32_e32 v37, 0x80000000, v37
	v_or3_b32 v33, v33, v37, v35
	v_mov_b32_e32 v58, v34
	v_mov_b32_e32 v57, v33
.LBB181_71:                             ;   in Loop: Header=BB181_12 Depth=1
	s_or_b32 exec_lo, exec_lo, s44
.LBB181_72:                             ;   in Loop: Header=BB181_12 Depth=1
	s_or_b32 exec_lo, exec_lo, s43
.LBB181_73:                             ;   in Loop: Header=BB181_12 Depth=1
	s_or_b32 exec_lo, exec_lo, s42
	v_cmp_ne_u16_sdwa s3, v61, v34 src0_sel:BYTE_1 src1_sel:DWORD
	s_and_saveexec_b32 s42, s3
	s_cbranch_execz .LBB181_81
; %bb.74:                               ;   in Loop: Header=BB181_12 Depth=1
	v_mov_b32_e32 v35, v34
	v_mov_b32_e32 v60, v36
	v_cmp_ne_u16_sdwa s3, v61, v117 src0_sel:BYTE_1 src1_sel:DWORD
	v_mov_b32_e32 v59, v35
	s_and_saveexec_b32 s43, s3
	s_cbranch_execz .LBB181_80
; %bb.75:                               ;   in Loop: Header=BB181_12 Depth=1
	v_and_b32_sdwa v33, v118, v61 dst_sel:DWORD dst_unused:UNUSED_PAD src0_sel:DWORD src1_sel:BYTE_1
	v_mov_b32_e32 v37, v34
	v_mov_b32_e32 v60, v38
	s_mov_b32 s44, exec_lo
	v_and_b32_e32 v62, 0x7f, v33
	v_mov_b32_e32 v59, v37
	v_cmpx_ne_u32_e32 0x7f, v62
	s_cbranch_execz .LBB181_79
; %bb.76:                               ;   in Loop: Header=BB181_12 Depth=1
	v_and_b32_e32 v33, 7, v33
	v_lshrrev_b32_e32 v35, 3, v62
	s_mov_b32 s45, exec_lo
	v_cmpx_gt_u32_e32 8, v62
; %bb.77:                               ;   in Loop: Header=BB181_12 Depth=1
	v_ffbh_u32_e32 v35, v33
	v_min_u32_e32 v35, 32, v35
	v_subrev_nc_u32_e32 v37, 28, v35
	v_sub_nc_u32_e32 v35, 29, v35
	v_lshlrev_b64 v[59:60], v37, v[33:34]
	v_and_b32_e32 v33, 7, v59
; %bb.78:                               ;   in Loop: Header=BB181_12 Depth=1
	s_or_b32 exec_lo, exec_lo, s45
	v_lshlrev_b32_e32 v37, 16, v61
	v_lshlrev_b32_e32 v33, 20, v33
	v_lshl_add_u32 v35, v35, 23, 0x3c000000
	v_mov_b32_e32 v59, v34
	v_and_b32_e32 v37, 0x80000000, v37
	v_or3_b32 v60, v33, v37, v35
.LBB181_79:                             ;   in Loop: Header=BB181_12 Depth=1
	s_or_b32 exec_lo, exec_lo, s44
.LBB181_80:                             ;   in Loop: Header=BB181_12 Depth=1
	s_or_b32 exec_lo, exec_lo, s43
.LBB181_81:                             ;   in Loop: Header=BB181_12 Depth=1
	s_or_b32 exec_lo, exec_lo, s42
	global_load_ushort v33, v[47:48], off offset:256
	v_mov_b32_e32 v63, 0
	v_mov_b32_e32 v61, 0
	;; [unrolled: 1-line block ×4, first 2 shown]
	s_waitcnt vmcnt(0)
	v_and_b32_e32 v65, 0xffff, v33
	v_cmp_ne_u16_sdwa s3, v33, v34 src0_sel:BYTE_0 src1_sel:DWORD
	s_and_saveexec_b32 s42, s3
	s_cbranch_execz .LBB181_89
; %bb.82:                               ;   in Loop: Header=BB181_12 Depth=1
	v_bfrev_b32_e32 v61, 1
	v_mov_b32_e32 v62, 0
	v_cmp_ne_u16_sdwa s3, v65, v117 src0_sel:BYTE_0 src1_sel:DWORD
	s_and_saveexec_b32 s43, s3
	s_cbranch_execz .LBB181_88
; %bb.83:                               ;   in Loop: Header=BB181_12 Depth=1
	v_mov_b32_e32 v61, 0x7f800001
	v_and_b32_e32 v37, 0x7f, v65
	v_mov_b32_e32 v62, 0
	s_mov_b32 s44, exec_lo
	v_cmpx_ne_u32_e32 0x7f, v37
	s_cbranch_execz .LBB181_87
; %bb.84:                               ;   in Loop: Header=BB181_12 Depth=1
	v_and_b32_e32 v33, 7, v65
	v_lshrrev_b32_e32 v35, 3, v37
	s_mov_b32 s45, exec_lo
	v_cmpx_gt_u32_e32 8, v37
; %bb.85:                               ;   in Loop: Header=BB181_12 Depth=1
	v_ffbh_u32_e32 v35, v33
	v_min_u32_e32 v35, 32, v35
	v_subrev_nc_u32_e32 v37, 28, v35
	v_sub_nc_u32_e32 v35, 29, v35
	v_lshlrev_b64 v[61:62], v37, v[33:34]
	v_and_b32_e32 v33, 7, v61
; %bb.86:                               ;   in Loop: Header=BB181_12 Depth=1
	s_or_b32 exec_lo, exec_lo, s45
	v_lshlrev_b32_e32 v37, 24, v65
	v_lshlrev_b32_e32 v33, 20, v33
	v_lshl_add_u32 v35, v35, 23, 0x3c000000
	v_and_b32_e32 v37, 0x80000000, v37
	v_or3_b32 v33, v33, v37, v35
	v_mov_b32_e32 v62, v34
	v_mov_b32_e32 v61, v33
.LBB181_87:                             ;   in Loop: Header=BB181_12 Depth=1
	s_or_b32 exec_lo, exec_lo, s44
.LBB181_88:                             ;   in Loop: Header=BB181_12 Depth=1
	s_or_b32 exec_lo, exec_lo, s43
.LBB181_89:                             ;   in Loop: Header=BB181_12 Depth=1
	s_or_b32 exec_lo, exec_lo, s42
	v_cmp_ne_u16_sdwa s3, v65, v34 src0_sel:BYTE_1 src1_sel:DWORD
	s_and_saveexec_b32 s42, s3
	s_cbranch_execz .LBB181_97
; %bb.90:                               ;   in Loop: Header=BB181_12 Depth=1
	v_mov_b32_e32 v35, v34
	v_mov_b32_e32 v64, v36
	v_cmp_ne_u16_sdwa s3, v65, v117 src0_sel:BYTE_1 src1_sel:DWORD
	v_mov_b32_e32 v63, v35
	s_and_saveexec_b32 s43, s3
	s_cbranch_execz .LBB181_96
; %bb.91:                               ;   in Loop: Header=BB181_12 Depth=1
	v_and_b32_sdwa v33, v118, v65 dst_sel:DWORD dst_unused:UNUSED_PAD src0_sel:DWORD src1_sel:BYTE_1
	v_mov_b32_e32 v37, v34
	v_mov_b32_e32 v64, v38
	s_mov_b32 s44, exec_lo
	v_and_b32_e32 v66, 0x7f, v33
	v_mov_b32_e32 v63, v37
	v_cmpx_ne_u32_e32 0x7f, v66
	s_cbranch_execz .LBB181_95
; %bb.92:                               ;   in Loop: Header=BB181_12 Depth=1
	v_and_b32_e32 v33, 7, v33
	v_lshrrev_b32_e32 v35, 3, v66
	s_mov_b32 s45, exec_lo
	v_cmpx_gt_u32_e32 8, v66
; %bb.93:                               ;   in Loop: Header=BB181_12 Depth=1
	v_ffbh_u32_e32 v35, v33
	v_min_u32_e32 v35, 32, v35
	v_subrev_nc_u32_e32 v37, 28, v35
	v_sub_nc_u32_e32 v35, 29, v35
	v_lshlrev_b64 v[63:64], v37, v[33:34]
	v_and_b32_e32 v33, 7, v63
; %bb.94:                               ;   in Loop: Header=BB181_12 Depth=1
	s_or_b32 exec_lo, exec_lo, s45
	v_lshlrev_b32_e32 v37, 16, v65
	v_lshlrev_b32_e32 v33, 20, v33
	v_lshl_add_u32 v35, v35, 23, 0x3c000000
	v_mov_b32_e32 v63, v34
	v_and_b32_e32 v37, 0x80000000, v37
	v_or3_b32 v64, v33, v37, v35
.LBB181_95:                             ;   in Loop: Header=BB181_12 Depth=1
	s_or_b32 exec_lo, exec_lo, s44
.LBB181_96:                             ;   in Loop: Header=BB181_12 Depth=1
	s_or_b32 exec_lo, exec_lo, s43
.LBB181_97:                             ;   in Loop: Header=BB181_12 Depth=1
	s_or_b32 exec_lo, exec_lo, s42
	global_load_ushort v33, v[47:48], off offset:260
	v_mov_b32_e32 v67, 0
	v_mov_b32_e32 v65, 0
	;; [unrolled: 1-line block ×4, first 2 shown]
	s_waitcnt vmcnt(0)
	v_and_b32_e32 v69, 0xffff, v33
	v_cmp_ne_u16_sdwa s3, v33, v34 src0_sel:BYTE_0 src1_sel:DWORD
	s_and_saveexec_b32 s42, s3
	s_cbranch_execz .LBB181_105
; %bb.98:                               ;   in Loop: Header=BB181_12 Depth=1
	v_bfrev_b32_e32 v65, 1
	v_mov_b32_e32 v66, 0
	v_cmp_ne_u16_sdwa s3, v69, v117 src0_sel:BYTE_0 src1_sel:DWORD
	s_and_saveexec_b32 s43, s3
	s_cbranch_execz .LBB181_104
; %bb.99:                               ;   in Loop: Header=BB181_12 Depth=1
	v_mov_b32_e32 v65, 0x7f800001
	v_and_b32_e32 v37, 0x7f, v69
	v_mov_b32_e32 v66, 0
	s_mov_b32 s44, exec_lo
	v_cmpx_ne_u32_e32 0x7f, v37
	s_cbranch_execz .LBB181_103
; %bb.100:                              ;   in Loop: Header=BB181_12 Depth=1
	v_and_b32_e32 v33, 7, v69
	v_lshrrev_b32_e32 v35, 3, v37
	s_mov_b32 s45, exec_lo
	v_cmpx_gt_u32_e32 8, v37
; %bb.101:                              ;   in Loop: Header=BB181_12 Depth=1
	v_ffbh_u32_e32 v35, v33
	v_min_u32_e32 v35, 32, v35
	v_subrev_nc_u32_e32 v37, 28, v35
	v_sub_nc_u32_e32 v35, 29, v35
	v_lshlrev_b64 v[65:66], v37, v[33:34]
	v_and_b32_e32 v33, 7, v65
; %bb.102:                              ;   in Loop: Header=BB181_12 Depth=1
	s_or_b32 exec_lo, exec_lo, s45
	v_lshlrev_b32_e32 v37, 24, v69
	v_lshlrev_b32_e32 v33, 20, v33
	v_lshl_add_u32 v35, v35, 23, 0x3c000000
	v_and_b32_e32 v37, 0x80000000, v37
	v_or3_b32 v33, v33, v37, v35
	v_mov_b32_e32 v66, v34
	v_mov_b32_e32 v65, v33
.LBB181_103:                            ;   in Loop: Header=BB181_12 Depth=1
	s_or_b32 exec_lo, exec_lo, s44
.LBB181_104:                            ;   in Loop: Header=BB181_12 Depth=1
	s_or_b32 exec_lo, exec_lo, s43
.LBB181_105:                            ;   in Loop: Header=BB181_12 Depth=1
	s_or_b32 exec_lo, exec_lo, s42
	v_cmp_ne_u16_sdwa s3, v69, v34 src0_sel:BYTE_1 src1_sel:DWORD
	s_and_saveexec_b32 s42, s3
	s_cbranch_execz .LBB181_113
; %bb.106:                              ;   in Loop: Header=BB181_12 Depth=1
	v_mov_b32_e32 v35, v34
	v_mov_b32_e32 v68, v36
	v_cmp_ne_u16_sdwa s3, v69, v117 src0_sel:BYTE_1 src1_sel:DWORD
	v_mov_b32_e32 v67, v35
	s_and_saveexec_b32 s43, s3
	s_cbranch_execz .LBB181_112
; %bb.107:                              ;   in Loop: Header=BB181_12 Depth=1
	v_and_b32_sdwa v33, v118, v69 dst_sel:DWORD dst_unused:UNUSED_PAD src0_sel:DWORD src1_sel:BYTE_1
	v_mov_b32_e32 v37, v34
	v_mov_b32_e32 v68, v38
	s_mov_b32 s44, exec_lo
	v_and_b32_e32 v70, 0x7f, v33
	v_mov_b32_e32 v67, v37
	v_cmpx_ne_u32_e32 0x7f, v70
	s_cbranch_execz .LBB181_111
; %bb.108:                              ;   in Loop: Header=BB181_12 Depth=1
	v_and_b32_e32 v33, 7, v33
	v_lshrrev_b32_e32 v35, 3, v70
	s_mov_b32 s45, exec_lo
	v_cmpx_gt_u32_e32 8, v70
; %bb.109:                              ;   in Loop: Header=BB181_12 Depth=1
	v_ffbh_u32_e32 v35, v33
	v_min_u32_e32 v35, 32, v35
	v_subrev_nc_u32_e32 v37, 28, v35
	v_sub_nc_u32_e32 v35, 29, v35
	v_lshlrev_b64 v[67:68], v37, v[33:34]
	v_and_b32_e32 v33, 7, v67
; %bb.110:                              ;   in Loop: Header=BB181_12 Depth=1
	s_or_b32 exec_lo, exec_lo, s45
	v_lshlrev_b32_e32 v37, 16, v69
	v_lshlrev_b32_e32 v33, 20, v33
	v_lshl_add_u32 v35, v35, 23, 0x3c000000
	v_mov_b32_e32 v67, v34
	v_and_b32_e32 v37, 0x80000000, v37
	v_or3_b32 v68, v33, v37, v35
.LBB181_111:                            ;   in Loop: Header=BB181_12 Depth=1
	s_or_b32 exec_lo, exec_lo, s44
.LBB181_112:                            ;   in Loop: Header=BB181_12 Depth=1
	s_or_b32 exec_lo, exec_lo, s43
.LBB181_113:                            ;   in Loop: Header=BB181_12 Depth=1
	s_or_b32 exec_lo, exec_lo, s42
	global_load_ushort v33, v[47:48], off offset:264
	v_mov_b32_e32 v71, 0
	v_mov_b32_e32 v69, 0
	;; [unrolled: 1-line block ×4, first 2 shown]
	s_waitcnt vmcnt(0)
	v_and_b32_e32 v73, 0xffff, v33
	v_cmp_ne_u16_sdwa s3, v33, v34 src0_sel:BYTE_0 src1_sel:DWORD
	s_and_saveexec_b32 s42, s3
	s_cbranch_execz .LBB181_121
; %bb.114:                              ;   in Loop: Header=BB181_12 Depth=1
	v_bfrev_b32_e32 v69, 1
	v_mov_b32_e32 v70, 0
	v_cmp_ne_u16_sdwa s3, v73, v117 src0_sel:BYTE_0 src1_sel:DWORD
	s_and_saveexec_b32 s43, s3
	s_cbranch_execz .LBB181_120
; %bb.115:                              ;   in Loop: Header=BB181_12 Depth=1
	v_mov_b32_e32 v69, 0x7f800001
	v_and_b32_e32 v37, 0x7f, v73
	v_mov_b32_e32 v70, 0
	s_mov_b32 s44, exec_lo
	v_cmpx_ne_u32_e32 0x7f, v37
	s_cbranch_execz .LBB181_119
; %bb.116:                              ;   in Loop: Header=BB181_12 Depth=1
	v_and_b32_e32 v33, 7, v73
	v_lshrrev_b32_e32 v35, 3, v37
	s_mov_b32 s45, exec_lo
	v_cmpx_gt_u32_e32 8, v37
; %bb.117:                              ;   in Loop: Header=BB181_12 Depth=1
	v_ffbh_u32_e32 v35, v33
	v_min_u32_e32 v35, 32, v35
	v_subrev_nc_u32_e32 v37, 28, v35
	v_sub_nc_u32_e32 v35, 29, v35
	v_lshlrev_b64 v[69:70], v37, v[33:34]
	v_and_b32_e32 v33, 7, v69
; %bb.118:                              ;   in Loop: Header=BB181_12 Depth=1
	s_or_b32 exec_lo, exec_lo, s45
	v_lshlrev_b32_e32 v37, 24, v73
	v_lshlrev_b32_e32 v33, 20, v33
	v_lshl_add_u32 v35, v35, 23, 0x3c000000
	v_and_b32_e32 v37, 0x80000000, v37
	v_or3_b32 v33, v33, v37, v35
	v_mov_b32_e32 v70, v34
	v_mov_b32_e32 v69, v33
.LBB181_119:                            ;   in Loop: Header=BB181_12 Depth=1
	s_or_b32 exec_lo, exec_lo, s44
.LBB181_120:                            ;   in Loop: Header=BB181_12 Depth=1
	s_or_b32 exec_lo, exec_lo, s43
.LBB181_121:                            ;   in Loop: Header=BB181_12 Depth=1
	s_or_b32 exec_lo, exec_lo, s42
	v_cmp_ne_u16_sdwa s3, v73, v34 src0_sel:BYTE_1 src1_sel:DWORD
	s_and_saveexec_b32 s42, s3
	s_cbranch_execz .LBB181_129
; %bb.122:                              ;   in Loop: Header=BB181_12 Depth=1
	v_mov_b32_e32 v35, v34
	v_mov_b32_e32 v72, v36
	v_cmp_ne_u16_sdwa s3, v73, v117 src0_sel:BYTE_1 src1_sel:DWORD
	v_mov_b32_e32 v71, v35
	s_and_saveexec_b32 s43, s3
	s_cbranch_execz .LBB181_128
; %bb.123:                              ;   in Loop: Header=BB181_12 Depth=1
	v_and_b32_sdwa v33, v118, v73 dst_sel:DWORD dst_unused:UNUSED_PAD src0_sel:DWORD src1_sel:BYTE_1
	v_mov_b32_e32 v37, v34
	v_mov_b32_e32 v72, v38
	s_mov_b32 s44, exec_lo
	v_and_b32_e32 v74, 0x7f, v33
	v_mov_b32_e32 v71, v37
	v_cmpx_ne_u32_e32 0x7f, v74
	s_cbranch_execz .LBB181_127
; %bb.124:                              ;   in Loop: Header=BB181_12 Depth=1
	v_and_b32_e32 v33, 7, v33
	v_lshrrev_b32_e32 v35, 3, v74
	s_mov_b32 s45, exec_lo
	v_cmpx_gt_u32_e32 8, v74
; %bb.125:                              ;   in Loop: Header=BB181_12 Depth=1
	v_ffbh_u32_e32 v35, v33
	v_min_u32_e32 v35, 32, v35
	v_subrev_nc_u32_e32 v37, 28, v35
	v_sub_nc_u32_e32 v35, 29, v35
	v_lshlrev_b64 v[71:72], v37, v[33:34]
	v_and_b32_e32 v33, 7, v71
; %bb.126:                              ;   in Loop: Header=BB181_12 Depth=1
	s_or_b32 exec_lo, exec_lo, s45
	v_lshlrev_b32_e32 v37, 16, v73
	v_lshlrev_b32_e32 v33, 20, v33
	v_lshl_add_u32 v35, v35, 23, 0x3c000000
	v_mov_b32_e32 v71, v34
	v_and_b32_e32 v37, 0x80000000, v37
	v_or3_b32 v72, v33, v37, v35
.LBB181_127:                            ;   in Loop: Header=BB181_12 Depth=1
	s_or_b32 exec_lo, exec_lo, s44
.LBB181_128:                            ;   in Loop: Header=BB181_12 Depth=1
	s_or_b32 exec_lo, exec_lo, s43
.LBB181_129:                            ;   in Loop: Header=BB181_12 Depth=1
	s_or_b32 exec_lo, exec_lo, s42
	global_load_ushort v33, v[47:48], off offset:268
	v_mov_b32_e32 v75, 0
	v_mov_b32_e32 v73, 0
	v_mov_b32_e32 v76, 0
	v_mov_b32_e32 v74, 0
	s_waitcnt vmcnt(0)
	v_and_b32_e32 v77, 0xffff, v33
	v_cmp_ne_u16_sdwa s3, v33, v34 src0_sel:BYTE_0 src1_sel:DWORD
	s_and_saveexec_b32 s42, s3
	s_cbranch_execz .LBB181_137
; %bb.130:                              ;   in Loop: Header=BB181_12 Depth=1
	v_bfrev_b32_e32 v73, 1
	v_mov_b32_e32 v74, 0
	v_cmp_ne_u16_sdwa s3, v77, v117 src0_sel:BYTE_0 src1_sel:DWORD
	s_and_saveexec_b32 s43, s3
	s_cbranch_execz .LBB181_136
; %bb.131:                              ;   in Loop: Header=BB181_12 Depth=1
	v_mov_b32_e32 v73, 0x7f800001
	v_and_b32_e32 v37, 0x7f, v77
	v_mov_b32_e32 v74, 0
	s_mov_b32 s44, exec_lo
	v_cmpx_ne_u32_e32 0x7f, v37
	s_cbranch_execz .LBB181_135
; %bb.132:                              ;   in Loop: Header=BB181_12 Depth=1
	v_and_b32_e32 v33, 7, v77
	v_lshrrev_b32_e32 v35, 3, v37
	s_mov_b32 s45, exec_lo
	v_cmpx_gt_u32_e32 8, v37
; %bb.133:                              ;   in Loop: Header=BB181_12 Depth=1
	v_ffbh_u32_e32 v35, v33
	v_min_u32_e32 v35, 32, v35
	v_subrev_nc_u32_e32 v37, 28, v35
	v_sub_nc_u32_e32 v35, 29, v35
	v_lshlrev_b64 v[73:74], v37, v[33:34]
	v_and_b32_e32 v33, 7, v73
; %bb.134:                              ;   in Loop: Header=BB181_12 Depth=1
	s_or_b32 exec_lo, exec_lo, s45
	v_lshlrev_b32_e32 v37, 24, v77
	v_lshlrev_b32_e32 v33, 20, v33
	v_lshl_add_u32 v35, v35, 23, 0x3c000000
	v_and_b32_e32 v37, 0x80000000, v37
	v_or3_b32 v33, v33, v37, v35
	v_mov_b32_e32 v74, v34
	v_mov_b32_e32 v73, v33
.LBB181_135:                            ;   in Loop: Header=BB181_12 Depth=1
	s_or_b32 exec_lo, exec_lo, s44
.LBB181_136:                            ;   in Loop: Header=BB181_12 Depth=1
	s_or_b32 exec_lo, exec_lo, s43
.LBB181_137:                            ;   in Loop: Header=BB181_12 Depth=1
	s_or_b32 exec_lo, exec_lo, s42
	v_cmp_ne_u16_sdwa s3, v77, v34 src0_sel:BYTE_1 src1_sel:DWORD
	s_and_saveexec_b32 s42, s3
	s_cbranch_execz .LBB181_145
; %bb.138:                              ;   in Loop: Header=BB181_12 Depth=1
	v_mov_b32_e32 v35, v34
	v_mov_b32_e32 v76, v36
	v_cmp_ne_u16_sdwa s3, v77, v117 src0_sel:BYTE_1 src1_sel:DWORD
	v_mov_b32_e32 v75, v35
	s_and_saveexec_b32 s43, s3
	s_cbranch_execz .LBB181_144
; %bb.139:                              ;   in Loop: Header=BB181_12 Depth=1
	v_and_b32_sdwa v33, v118, v77 dst_sel:DWORD dst_unused:UNUSED_PAD src0_sel:DWORD src1_sel:BYTE_1
	v_mov_b32_e32 v37, v34
	v_mov_b32_e32 v76, v38
	s_mov_b32 s44, exec_lo
	v_and_b32_e32 v78, 0x7f, v33
	v_mov_b32_e32 v75, v37
	v_cmpx_ne_u32_e32 0x7f, v78
	s_cbranch_execz .LBB181_143
; %bb.140:                              ;   in Loop: Header=BB181_12 Depth=1
	v_and_b32_e32 v33, 7, v33
	v_lshrrev_b32_e32 v35, 3, v78
	s_mov_b32 s45, exec_lo
	v_cmpx_gt_u32_e32 8, v78
; %bb.141:                              ;   in Loop: Header=BB181_12 Depth=1
	v_ffbh_u32_e32 v35, v33
	v_min_u32_e32 v35, 32, v35
	v_subrev_nc_u32_e32 v37, 28, v35
	v_sub_nc_u32_e32 v35, 29, v35
	v_lshlrev_b64 v[75:76], v37, v[33:34]
	v_and_b32_e32 v33, 7, v75
; %bb.142:                              ;   in Loop: Header=BB181_12 Depth=1
	s_or_b32 exec_lo, exec_lo, s45
	v_lshlrev_b32_e32 v37, 16, v77
	v_lshlrev_b32_e32 v33, 20, v33
	v_lshl_add_u32 v35, v35, 23, 0x3c000000
	v_mov_b32_e32 v75, v34
	v_and_b32_e32 v37, 0x80000000, v37
	v_or3_b32 v76, v33, v37, v35
.LBB181_143:                            ;   in Loop: Header=BB181_12 Depth=1
	s_or_b32 exec_lo, exec_lo, s44
.LBB181_144:                            ;   in Loop: Header=BB181_12 Depth=1
	s_or_b32 exec_lo, exec_lo, s43
.LBB181_145:                            ;   in Loop: Header=BB181_12 Depth=1
	s_or_b32 exec_lo, exec_lo, s42
	global_load_ushort v33, v[47:48], off offset:512
	v_mov_b32_e32 v79, 0
	v_mov_b32_e32 v77, 0
	;; [unrolled: 1-line block ×4, first 2 shown]
	s_waitcnt vmcnt(0)
	v_and_b32_e32 v81, 0xffff, v33
	v_cmp_ne_u16_sdwa s3, v33, v34 src0_sel:BYTE_0 src1_sel:DWORD
	s_and_saveexec_b32 s42, s3
	s_cbranch_execz .LBB181_153
; %bb.146:                              ;   in Loop: Header=BB181_12 Depth=1
	v_bfrev_b32_e32 v77, 1
	v_mov_b32_e32 v78, 0
	v_cmp_ne_u16_sdwa s3, v81, v117 src0_sel:BYTE_0 src1_sel:DWORD
	s_and_saveexec_b32 s43, s3
	s_cbranch_execz .LBB181_152
; %bb.147:                              ;   in Loop: Header=BB181_12 Depth=1
	v_mov_b32_e32 v77, 0x7f800001
	v_and_b32_e32 v37, 0x7f, v81
	v_mov_b32_e32 v78, 0
	s_mov_b32 s44, exec_lo
	v_cmpx_ne_u32_e32 0x7f, v37
	s_cbranch_execz .LBB181_151
; %bb.148:                              ;   in Loop: Header=BB181_12 Depth=1
	v_and_b32_e32 v33, 7, v81
	v_lshrrev_b32_e32 v35, 3, v37
	s_mov_b32 s45, exec_lo
	v_cmpx_gt_u32_e32 8, v37
; %bb.149:                              ;   in Loop: Header=BB181_12 Depth=1
	v_ffbh_u32_e32 v35, v33
	v_min_u32_e32 v35, 32, v35
	v_subrev_nc_u32_e32 v37, 28, v35
	v_sub_nc_u32_e32 v35, 29, v35
	v_lshlrev_b64 v[77:78], v37, v[33:34]
	v_and_b32_e32 v33, 7, v77
; %bb.150:                              ;   in Loop: Header=BB181_12 Depth=1
	s_or_b32 exec_lo, exec_lo, s45
	v_lshlrev_b32_e32 v37, 24, v81
	v_lshlrev_b32_e32 v33, 20, v33
	v_lshl_add_u32 v35, v35, 23, 0x3c000000
	v_and_b32_e32 v37, 0x80000000, v37
	v_or3_b32 v33, v33, v37, v35
	v_mov_b32_e32 v78, v34
	v_mov_b32_e32 v77, v33
.LBB181_151:                            ;   in Loop: Header=BB181_12 Depth=1
	s_or_b32 exec_lo, exec_lo, s44
.LBB181_152:                            ;   in Loop: Header=BB181_12 Depth=1
	s_or_b32 exec_lo, exec_lo, s43
.LBB181_153:                            ;   in Loop: Header=BB181_12 Depth=1
	s_or_b32 exec_lo, exec_lo, s42
	v_cmp_ne_u16_sdwa s3, v81, v34 src0_sel:BYTE_1 src1_sel:DWORD
	s_and_saveexec_b32 s42, s3
	s_cbranch_execz .LBB181_161
; %bb.154:                              ;   in Loop: Header=BB181_12 Depth=1
	v_mov_b32_e32 v35, v34
	v_mov_b32_e32 v80, v36
	v_cmp_ne_u16_sdwa s3, v81, v117 src0_sel:BYTE_1 src1_sel:DWORD
	v_mov_b32_e32 v79, v35
	s_and_saveexec_b32 s43, s3
	s_cbranch_execz .LBB181_160
; %bb.155:                              ;   in Loop: Header=BB181_12 Depth=1
	v_and_b32_sdwa v33, v118, v81 dst_sel:DWORD dst_unused:UNUSED_PAD src0_sel:DWORD src1_sel:BYTE_1
	v_mov_b32_e32 v37, v34
	v_mov_b32_e32 v80, v38
	s_mov_b32 s44, exec_lo
	v_and_b32_e32 v82, 0x7f, v33
	v_mov_b32_e32 v79, v37
	v_cmpx_ne_u32_e32 0x7f, v82
	s_cbranch_execz .LBB181_159
; %bb.156:                              ;   in Loop: Header=BB181_12 Depth=1
	v_and_b32_e32 v33, 7, v33
	v_lshrrev_b32_e32 v35, 3, v82
	s_mov_b32 s45, exec_lo
	v_cmpx_gt_u32_e32 8, v82
; %bb.157:                              ;   in Loop: Header=BB181_12 Depth=1
	v_ffbh_u32_e32 v35, v33
	v_min_u32_e32 v35, 32, v35
	v_subrev_nc_u32_e32 v37, 28, v35
	v_sub_nc_u32_e32 v35, 29, v35
	v_lshlrev_b64 v[79:80], v37, v[33:34]
	v_and_b32_e32 v33, 7, v79
; %bb.158:                              ;   in Loop: Header=BB181_12 Depth=1
	s_or_b32 exec_lo, exec_lo, s45
	v_lshlrev_b32_e32 v37, 16, v81
	v_lshlrev_b32_e32 v33, 20, v33
	v_lshl_add_u32 v35, v35, 23, 0x3c000000
	v_mov_b32_e32 v79, v34
	v_and_b32_e32 v37, 0x80000000, v37
	v_or3_b32 v80, v33, v37, v35
.LBB181_159:                            ;   in Loop: Header=BB181_12 Depth=1
	s_or_b32 exec_lo, exec_lo, s44
.LBB181_160:                            ;   in Loop: Header=BB181_12 Depth=1
	s_or_b32 exec_lo, exec_lo, s43
.LBB181_161:                            ;   in Loop: Header=BB181_12 Depth=1
	s_or_b32 exec_lo, exec_lo, s42
	global_load_ushort v33, v[47:48], off offset:516
	v_mov_b32_e32 v83, 0
	v_mov_b32_e32 v81, 0
	;; [unrolled: 1-line block ×4, first 2 shown]
	s_waitcnt vmcnt(0)
	v_and_b32_e32 v85, 0xffff, v33
	v_cmp_ne_u16_sdwa s3, v33, v34 src0_sel:BYTE_0 src1_sel:DWORD
	s_and_saveexec_b32 s42, s3
	s_cbranch_execz .LBB181_169
; %bb.162:                              ;   in Loop: Header=BB181_12 Depth=1
	v_bfrev_b32_e32 v81, 1
	v_mov_b32_e32 v82, 0
	v_cmp_ne_u16_sdwa s3, v85, v117 src0_sel:BYTE_0 src1_sel:DWORD
	s_and_saveexec_b32 s43, s3
	s_cbranch_execz .LBB181_168
; %bb.163:                              ;   in Loop: Header=BB181_12 Depth=1
	v_mov_b32_e32 v81, 0x7f800001
	v_and_b32_e32 v37, 0x7f, v85
	v_mov_b32_e32 v82, 0
	s_mov_b32 s44, exec_lo
	v_cmpx_ne_u32_e32 0x7f, v37
	s_cbranch_execz .LBB181_167
; %bb.164:                              ;   in Loop: Header=BB181_12 Depth=1
	v_and_b32_e32 v33, 7, v85
	v_lshrrev_b32_e32 v35, 3, v37
	s_mov_b32 s45, exec_lo
	v_cmpx_gt_u32_e32 8, v37
; %bb.165:                              ;   in Loop: Header=BB181_12 Depth=1
	v_ffbh_u32_e32 v35, v33
	v_min_u32_e32 v35, 32, v35
	v_subrev_nc_u32_e32 v37, 28, v35
	v_sub_nc_u32_e32 v35, 29, v35
	v_lshlrev_b64 v[81:82], v37, v[33:34]
	v_and_b32_e32 v33, 7, v81
; %bb.166:                              ;   in Loop: Header=BB181_12 Depth=1
	s_or_b32 exec_lo, exec_lo, s45
	v_lshlrev_b32_e32 v37, 24, v85
	v_lshlrev_b32_e32 v33, 20, v33
	v_lshl_add_u32 v35, v35, 23, 0x3c000000
	v_and_b32_e32 v37, 0x80000000, v37
	v_or3_b32 v33, v33, v37, v35
	v_mov_b32_e32 v82, v34
	v_mov_b32_e32 v81, v33
.LBB181_167:                            ;   in Loop: Header=BB181_12 Depth=1
	s_or_b32 exec_lo, exec_lo, s44
.LBB181_168:                            ;   in Loop: Header=BB181_12 Depth=1
	s_or_b32 exec_lo, exec_lo, s43
.LBB181_169:                            ;   in Loop: Header=BB181_12 Depth=1
	s_or_b32 exec_lo, exec_lo, s42
	v_cmp_ne_u16_sdwa s3, v85, v34 src0_sel:BYTE_1 src1_sel:DWORD
	s_and_saveexec_b32 s42, s3
	s_cbranch_execz .LBB181_177
; %bb.170:                              ;   in Loop: Header=BB181_12 Depth=1
	v_mov_b32_e32 v35, v34
	v_mov_b32_e32 v84, v36
	v_cmp_ne_u16_sdwa s3, v85, v117 src0_sel:BYTE_1 src1_sel:DWORD
	v_mov_b32_e32 v83, v35
	s_and_saveexec_b32 s43, s3
	s_cbranch_execz .LBB181_176
; %bb.171:                              ;   in Loop: Header=BB181_12 Depth=1
	v_and_b32_sdwa v33, v118, v85 dst_sel:DWORD dst_unused:UNUSED_PAD src0_sel:DWORD src1_sel:BYTE_1
	v_mov_b32_e32 v37, v34
	v_mov_b32_e32 v84, v38
	s_mov_b32 s44, exec_lo
	v_and_b32_e32 v86, 0x7f, v33
	v_mov_b32_e32 v83, v37
	v_cmpx_ne_u32_e32 0x7f, v86
	s_cbranch_execz .LBB181_175
; %bb.172:                              ;   in Loop: Header=BB181_12 Depth=1
	v_and_b32_e32 v33, 7, v33
	v_lshrrev_b32_e32 v35, 3, v86
	s_mov_b32 s45, exec_lo
	v_cmpx_gt_u32_e32 8, v86
; %bb.173:                              ;   in Loop: Header=BB181_12 Depth=1
	v_ffbh_u32_e32 v35, v33
	v_min_u32_e32 v35, 32, v35
	v_subrev_nc_u32_e32 v37, 28, v35
	v_sub_nc_u32_e32 v35, 29, v35
	v_lshlrev_b64 v[83:84], v37, v[33:34]
	v_and_b32_e32 v33, 7, v83
; %bb.174:                              ;   in Loop: Header=BB181_12 Depth=1
	s_or_b32 exec_lo, exec_lo, s45
	v_lshlrev_b32_e32 v37, 16, v85
	v_lshlrev_b32_e32 v33, 20, v33
	v_lshl_add_u32 v35, v35, 23, 0x3c000000
	v_mov_b32_e32 v83, v34
	v_and_b32_e32 v37, 0x80000000, v37
	v_or3_b32 v84, v33, v37, v35
.LBB181_175:                            ;   in Loop: Header=BB181_12 Depth=1
	s_or_b32 exec_lo, exec_lo, s44
.LBB181_176:                            ;   in Loop: Header=BB181_12 Depth=1
	s_or_b32 exec_lo, exec_lo, s43
.LBB181_177:                            ;   in Loop: Header=BB181_12 Depth=1
	s_or_b32 exec_lo, exec_lo, s42
	global_load_ushort v33, v[47:48], off offset:520
	v_mov_b32_e32 v87, 0
	v_mov_b32_e32 v85, 0
	;; [unrolled: 1-line block ×4, first 2 shown]
	s_waitcnt vmcnt(0)
	v_and_b32_e32 v89, 0xffff, v33
	v_cmp_ne_u16_sdwa s3, v33, v34 src0_sel:BYTE_0 src1_sel:DWORD
	s_and_saveexec_b32 s42, s3
	s_cbranch_execz .LBB181_185
; %bb.178:                              ;   in Loop: Header=BB181_12 Depth=1
	v_bfrev_b32_e32 v85, 1
	v_mov_b32_e32 v86, 0
	v_cmp_ne_u16_sdwa s3, v89, v117 src0_sel:BYTE_0 src1_sel:DWORD
	s_and_saveexec_b32 s43, s3
	s_cbranch_execz .LBB181_184
; %bb.179:                              ;   in Loop: Header=BB181_12 Depth=1
	v_mov_b32_e32 v85, 0x7f800001
	v_and_b32_e32 v37, 0x7f, v89
	v_mov_b32_e32 v86, 0
	s_mov_b32 s44, exec_lo
	v_cmpx_ne_u32_e32 0x7f, v37
	s_cbranch_execz .LBB181_183
; %bb.180:                              ;   in Loop: Header=BB181_12 Depth=1
	v_and_b32_e32 v33, 7, v89
	v_lshrrev_b32_e32 v35, 3, v37
	s_mov_b32 s45, exec_lo
	v_cmpx_gt_u32_e32 8, v37
; %bb.181:                              ;   in Loop: Header=BB181_12 Depth=1
	v_ffbh_u32_e32 v35, v33
	v_min_u32_e32 v35, 32, v35
	v_subrev_nc_u32_e32 v37, 28, v35
	v_sub_nc_u32_e32 v35, 29, v35
	v_lshlrev_b64 v[85:86], v37, v[33:34]
	v_and_b32_e32 v33, 7, v85
; %bb.182:                              ;   in Loop: Header=BB181_12 Depth=1
	s_or_b32 exec_lo, exec_lo, s45
	v_lshlrev_b32_e32 v37, 24, v89
	v_lshlrev_b32_e32 v33, 20, v33
	v_lshl_add_u32 v35, v35, 23, 0x3c000000
	v_and_b32_e32 v37, 0x80000000, v37
	v_or3_b32 v33, v33, v37, v35
	v_mov_b32_e32 v86, v34
	v_mov_b32_e32 v85, v33
.LBB181_183:                            ;   in Loop: Header=BB181_12 Depth=1
	s_or_b32 exec_lo, exec_lo, s44
.LBB181_184:                            ;   in Loop: Header=BB181_12 Depth=1
	s_or_b32 exec_lo, exec_lo, s43
.LBB181_185:                            ;   in Loop: Header=BB181_12 Depth=1
	s_or_b32 exec_lo, exec_lo, s42
	v_cmp_ne_u16_sdwa s3, v89, v34 src0_sel:BYTE_1 src1_sel:DWORD
	s_and_saveexec_b32 s42, s3
	s_cbranch_execz .LBB181_193
; %bb.186:                              ;   in Loop: Header=BB181_12 Depth=1
	v_mov_b32_e32 v35, v34
	v_mov_b32_e32 v88, v36
	v_cmp_ne_u16_sdwa s3, v89, v117 src0_sel:BYTE_1 src1_sel:DWORD
	v_mov_b32_e32 v87, v35
	s_and_saveexec_b32 s43, s3
	s_cbranch_execz .LBB181_192
; %bb.187:                              ;   in Loop: Header=BB181_12 Depth=1
	v_and_b32_sdwa v33, v118, v89 dst_sel:DWORD dst_unused:UNUSED_PAD src0_sel:DWORD src1_sel:BYTE_1
	v_mov_b32_e32 v37, v34
	v_mov_b32_e32 v88, v38
	s_mov_b32 s44, exec_lo
	v_and_b32_e32 v90, 0x7f, v33
	v_mov_b32_e32 v87, v37
	v_cmpx_ne_u32_e32 0x7f, v90
	s_cbranch_execz .LBB181_191
; %bb.188:                              ;   in Loop: Header=BB181_12 Depth=1
	v_and_b32_e32 v33, 7, v33
	v_lshrrev_b32_e32 v35, 3, v90
	s_mov_b32 s45, exec_lo
	v_cmpx_gt_u32_e32 8, v90
; %bb.189:                              ;   in Loop: Header=BB181_12 Depth=1
	v_ffbh_u32_e32 v35, v33
	v_min_u32_e32 v35, 32, v35
	v_subrev_nc_u32_e32 v37, 28, v35
	v_sub_nc_u32_e32 v35, 29, v35
	v_lshlrev_b64 v[87:88], v37, v[33:34]
	v_and_b32_e32 v33, 7, v87
; %bb.190:                              ;   in Loop: Header=BB181_12 Depth=1
	s_or_b32 exec_lo, exec_lo, s45
	v_lshlrev_b32_e32 v37, 16, v89
	v_lshlrev_b32_e32 v33, 20, v33
	v_lshl_add_u32 v35, v35, 23, 0x3c000000
	v_mov_b32_e32 v87, v34
	v_and_b32_e32 v37, 0x80000000, v37
	v_or3_b32 v88, v33, v37, v35
.LBB181_191:                            ;   in Loop: Header=BB181_12 Depth=1
	s_or_b32 exec_lo, exec_lo, s44
.LBB181_192:                            ;   in Loop: Header=BB181_12 Depth=1
	s_or_b32 exec_lo, exec_lo, s43
.LBB181_193:                            ;   in Loop: Header=BB181_12 Depth=1
	s_or_b32 exec_lo, exec_lo, s42
	global_load_ushort v33, v[47:48], off offset:524
	v_mov_b32_e32 v91, 0
	v_mov_b32_e32 v89, 0
	;; [unrolled: 1-line block ×4, first 2 shown]
	s_waitcnt vmcnt(0)
	v_and_b32_e32 v93, 0xffff, v33
	v_cmp_ne_u16_sdwa s3, v33, v34 src0_sel:BYTE_0 src1_sel:DWORD
	s_and_saveexec_b32 s42, s3
	s_cbranch_execz .LBB181_201
; %bb.194:                              ;   in Loop: Header=BB181_12 Depth=1
	v_bfrev_b32_e32 v89, 1
	v_mov_b32_e32 v90, 0
	v_cmp_ne_u16_sdwa s3, v93, v117 src0_sel:BYTE_0 src1_sel:DWORD
	s_and_saveexec_b32 s43, s3
	s_cbranch_execz .LBB181_200
; %bb.195:                              ;   in Loop: Header=BB181_12 Depth=1
	v_mov_b32_e32 v89, 0x7f800001
	v_and_b32_e32 v37, 0x7f, v93
	v_mov_b32_e32 v90, 0
	s_mov_b32 s44, exec_lo
	v_cmpx_ne_u32_e32 0x7f, v37
	s_cbranch_execz .LBB181_199
; %bb.196:                              ;   in Loop: Header=BB181_12 Depth=1
	v_and_b32_e32 v33, 7, v93
	v_lshrrev_b32_e32 v35, 3, v37
	s_mov_b32 s45, exec_lo
	v_cmpx_gt_u32_e32 8, v37
; %bb.197:                              ;   in Loop: Header=BB181_12 Depth=1
	v_ffbh_u32_e32 v35, v33
	v_min_u32_e32 v35, 32, v35
	v_subrev_nc_u32_e32 v37, 28, v35
	v_sub_nc_u32_e32 v35, 29, v35
	v_lshlrev_b64 v[89:90], v37, v[33:34]
	v_and_b32_e32 v33, 7, v89
; %bb.198:                              ;   in Loop: Header=BB181_12 Depth=1
	s_or_b32 exec_lo, exec_lo, s45
	v_lshlrev_b32_e32 v37, 24, v93
	v_lshlrev_b32_e32 v33, 20, v33
	v_lshl_add_u32 v35, v35, 23, 0x3c000000
	v_and_b32_e32 v37, 0x80000000, v37
	v_or3_b32 v33, v33, v37, v35
	v_mov_b32_e32 v90, v34
	v_mov_b32_e32 v89, v33
.LBB181_199:                            ;   in Loop: Header=BB181_12 Depth=1
	s_or_b32 exec_lo, exec_lo, s44
.LBB181_200:                            ;   in Loop: Header=BB181_12 Depth=1
	s_or_b32 exec_lo, exec_lo, s43
.LBB181_201:                            ;   in Loop: Header=BB181_12 Depth=1
	s_or_b32 exec_lo, exec_lo, s42
	v_cmp_ne_u16_sdwa s3, v93, v34 src0_sel:BYTE_1 src1_sel:DWORD
	s_and_saveexec_b32 s42, s3
	s_cbranch_execz .LBB181_209
; %bb.202:                              ;   in Loop: Header=BB181_12 Depth=1
	v_mov_b32_e32 v35, v34
	v_mov_b32_e32 v92, v36
	v_cmp_ne_u16_sdwa s3, v93, v117 src0_sel:BYTE_1 src1_sel:DWORD
	v_mov_b32_e32 v91, v35
	s_and_saveexec_b32 s43, s3
	s_cbranch_execz .LBB181_208
; %bb.203:                              ;   in Loop: Header=BB181_12 Depth=1
	v_and_b32_sdwa v33, v118, v93 dst_sel:DWORD dst_unused:UNUSED_PAD src0_sel:DWORD src1_sel:BYTE_1
	v_mov_b32_e32 v37, v34
	v_mov_b32_e32 v92, v38
	s_mov_b32 s44, exec_lo
	v_and_b32_e32 v94, 0x7f, v33
	v_mov_b32_e32 v91, v37
	v_cmpx_ne_u32_e32 0x7f, v94
	s_cbranch_execz .LBB181_207
; %bb.204:                              ;   in Loop: Header=BB181_12 Depth=1
	v_and_b32_e32 v33, 7, v33
	v_lshrrev_b32_e32 v35, 3, v94
	s_mov_b32 s45, exec_lo
	v_cmpx_gt_u32_e32 8, v94
; %bb.205:                              ;   in Loop: Header=BB181_12 Depth=1
	v_ffbh_u32_e32 v35, v33
	v_min_u32_e32 v35, 32, v35
	v_subrev_nc_u32_e32 v37, 28, v35
	v_sub_nc_u32_e32 v35, 29, v35
	v_lshlrev_b64 v[91:92], v37, v[33:34]
	v_and_b32_e32 v33, 7, v91
; %bb.206:                              ;   in Loop: Header=BB181_12 Depth=1
	s_or_b32 exec_lo, exec_lo, s45
	v_lshlrev_b32_e32 v37, 16, v93
	v_lshlrev_b32_e32 v33, 20, v33
	v_lshl_add_u32 v35, v35, 23, 0x3c000000
	v_mov_b32_e32 v91, v34
	v_and_b32_e32 v37, 0x80000000, v37
	v_or3_b32 v92, v33, v37, v35
.LBB181_207:                            ;   in Loop: Header=BB181_12 Depth=1
	s_or_b32 exec_lo, exec_lo, s44
.LBB181_208:                            ;   in Loop: Header=BB181_12 Depth=1
	s_or_b32 exec_lo, exec_lo, s43
.LBB181_209:                            ;   in Loop: Header=BB181_12 Depth=1
	s_or_b32 exec_lo, exec_lo, s42
	global_load_ushort v33, v[47:48], off offset:768
	v_mov_b32_e32 v95, 0
	v_mov_b32_e32 v93, 0
	v_mov_b32_e32 v96, 0
	v_mov_b32_e32 v94, 0
	s_waitcnt vmcnt(0)
	v_and_b32_e32 v97, 0xffff, v33
	v_cmp_ne_u16_sdwa s3, v33, v34 src0_sel:BYTE_0 src1_sel:DWORD
	s_and_saveexec_b32 s42, s3
	s_cbranch_execz .LBB181_217
; %bb.210:                              ;   in Loop: Header=BB181_12 Depth=1
	v_bfrev_b32_e32 v93, 1
	v_mov_b32_e32 v94, 0
	v_cmp_ne_u16_sdwa s3, v97, v117 src0_sel:BYTE_0 src1_sel:DWORD
	s_and_saveexec_b32 s43, s3
	s_cbranch_execz .LBB181_216
; %bb.211:                              ;   in Loop: Header=BB181_12 Depth=1
	v_mov_b32_e32 v93, 0x7f800001
	v_and_b32_e32 v37, 0x7f, v97
	v_mov_b32_e32 v94, 0
	s_mov_b32 s44, exec_lo
	v_cmpx_ne_u32_e32 0x7f, v37
	s_cbranch_execz .LBB181_215
; %bb.212:                              ;   in Loop: Header=BB181_12 Depth=1
	v_and_b32_e32 v33, 7, v97
	v_lshrrev_b32_e32 v35, 3, v37
	s_mov_b32 s45, exec_lo
	v_cmpx_gt_u32_e32 8, v37
; %bb.213:                              ;   in Loop: Header=BB181_12 Depth=1
	v_ffbh_u32_e32 v35, v33
	v_min_u32_e32 v35, 32, v35
	v_subrev_nc_u32_e32 v37, 28, v35
	v_sub_nc_u32_e32 v35, 29, v35
	v_lshlrev_b64 v[93:94], v37, v[33:34]
	v_and_b32_e32 v33, 7, v93
; %bb.214:                              ;   in Loop: Header=BB181_12 Depth=1
	s_or_b32 exec_lo, exec_lo, s45
	v_lshlrev_b32_e32 v37, 24, v97
	v_lshlrev_b32_e32 v33, 20, v33
	v_lshl_add_u32 v35, v35, 23, 0x3c000000
	v_and_b32_e32 v37, 0x80000000, v37
	v_or3_b32 v33, v33, v37, v35
	v_mov_b32_e32 v94, v34
	v_mov_b32_e32 v93, v33
.LBB181_215:                            ;   in Loop: Header=BB181_12 Depth=1
	s_or_b32 exec_lo, exec_lo, s44
.LBB181_216:                            ;   in Loop: Header=BB181_12 Depth=1
	s_or_b32 exec_lo, exec_lo, s43
.LBB181_217:                            ;   in Loop: Header=BB181_12 Depth=1
	s_or_b32 exec_lo, exec_lo, s42
	v_cmp_ne_u16_sdwa s3, v97, v34 src0_sel:BYTE_1 src1_sel:DWORD
	s_and_saveexec_b32 s42, s3
	s_cbranch_execz .LBB181_225
; %bb.218:                              ;   in Loop: Header=BB181_12 Depth=1
	v_mov_b32_e32 v35, v34
	v_mov_b32_e32 v96, v36
	v_cmp_ne_u16_sdwa s3, v97, v117 src0_sel:BYTE_1 src1_sel:DWORD
	v_mov_b32_e32 v95, v35
	s_and_saveexec_b32 s43, s3
	s_cbranch_execz .LBB181_224
; %bb.219:                              ;   in Loop: Header=BB181_12 Depth=1
	v_and_b32_sdwa v33, v118, v97 dst_sel:DWORD dst_unused:UNUSED_PAD src0_sel:DWORD src1_sel:BYTE_1
	v_mov_b32_e32 v37, v34
	v_mov_b32_e32 v96, v38
	s_mov_b32 s44, exec_lo
	v_and_b32_e32 v98, 0x7f, v33
	v_mov_b32_e32 v95, v37
	v_cmpx_ne_u32_e32 0x7f, v98
	s_cbranch_execz .LBB181_223
; %bb.220:                              ;   in Loop: Header=BB181_12 Depth=1
	v_and_b32_e32 v33, 7, v33
	v_lshrrev_b32_e32 v35, 3, v98
	s_mov_b32 s45, exec_lo
	v_cmpx_gt_u32_e32 8, v98
; %bb.221:                              ;   in Loop: Header=BB181_12 Depth=1
	v_ffbh_u32_e32 v35, v33
	v_min_u32_e32 v35, 32, v35
	v_subrev_nc_u32_e32 v37, 28, v35
	v_sub_nc_u32_e32 v35, 29, v35
	v_lshlrev_b64 v[95:96], v37, v[33:34]
	v_and_b32_e32 v33, 7, v95
; %bb.222:                              ;   in Loop: Header=BB181_12 Depth=1
	s_or_b32 exec_lo, exec_lo, s45
	v_lshlrev_b32_e32 v37, 16, v97
	v_lshlrev_b32_e32 v33, 20, v33
	v_lshl_add_u32 v35, v35, 23, 0x3c000000
	v_mov_b32_e32 v95, v34
	v_and_b32_e32 v37, 0x80000000, v37
	v_or3_b32 v96, v33, v37, v35
.LBB181_223:                            ;   in Loop: Header=BB181_12 Depth=1
	s_or_b32 exec_lo, exec_lo, s44
.LBB181_224:                            ;   in Loop: Header=BB181_12 Depth=1
	s_or_b32 exec_lo, exec_lo, s43
.LBB181_225:                            ;   in Loop: Header=BB181_12 Depth=1
	s_or_b32 exec_lo, exec_lo, s42
	global_load_ushort v33, v[47:48], off offset:772
	v_mov_b32_e32 v99, 0
	v_mov_b32_e32 v97, 0
	;; [unrolled: 1-line block ×4, first 2 shown]
	s_waitcnt vmcnt(0)
	v_and_b32_e32 v101, 0xffff, v33
	v_cmp_ne_u16_sdwa s3, v33, v34 src0_sel:BYTE_0 src1_sel:DWORD
	s_and_saveexec_b32 s42, s3
	s_cbranch_execz .LBB181_233
; %bb.226:                              ;   in Loop: Header=BB181_12 Depth=1
	v_bfrev_b32_e32 v97, 1
	v_mov_b32_e32 v98, 0
	v_cmp_ne_u16_sdwa s3, v101, v117 src0_sel:BYTE_0 src1_sel:DWORD
	s_and_saveexec_b32 s43, s3
	s_cbranch_execz .LBB181_232
; %bb.227:                              ;   in Loop: Header=BB181_12 Depth=1
	v_mov_b32_e32 v97, 0x7f800001
	v_and_b32_e32 v37, 0x7f, v101
	v_mov_b32_e32 v98, 0
	s_mov_b32 s44, exec_lo
	v_cmpx_ne_u32_e32 0x7f, v37
	s_cbranch_execz .LBB181_231
; %bb.228:                              ;   in Loop: Header=BB181_12 Depth=1
	v_and_b32_e32 v33, 7, v101
	v_lshrrev_b32_e32 v35, 3, v37
	s_mov_b32 s45, exec_lo
	v_cmpx_gt_u32_e32 8, v37
; %bb.229:                              ;   in Loop: Header=BB181_12 Depth=1
	v_ffbh_u32_e32 v35, v33
	v_min_u32_e32 v35, 32, v35
	v_subrev_nc_u32_e32 v37, 28, v35
	v_sub_nc_u32_e32 v35, 29, v35
	v_lshlrev_b64 v[97:98], v37, v[33:34]
	v_and_b32_e32 v33, 7, v97
; %bb.230:                              ;   in Loop: Header=BB181_12 Depth=1
	s_or_b32 exec_lo, exec_lo, s45
	v_lshlrev_b32_e32 v37, 24, v101
	v_lshlrev_b32_e32 v33, 20, v33
	v_lshl_add_u32 v35, v35, 23, 0x3c000000
	v_and_b32_e32 v37, 0x80000000, v37
	v_or3_b32 v33, v33, v37, v35
	v_mov_b32_e32 v98, v34
	v_mov_b32_e32 v97, v33
.LBB181_231:                            ;   in Loop: Header=BB181_12 Depth=1
	s_or_b32 exec_lo, exec_lo, s44
.LBB181_232:                            ;   in Loop: Header=BB181_12 Depth=1
	s_or_b32 exec_lo, exec_lo, s43
.LBB181_233:                            ;   in Loop: Header=BB181_12 Depth=1
	s_or_b32 exec_lo, exec_lo, s42
	v_cmp_ne_u16_sdwa s3, v101, v34 src0_sel:BYTE_1 src1_sel:DWORD
	s_and_saveexec_b32 s42, s3
	s_cbranch_execz .LBB181_241
; %bb.234:                              ;   in Loop: Header=BB181_12 Depth=1
	v_mov_b32_e32 v35, v34
	v_mov_b32_e32 v100, v36
	v_cmp_ne_u16_sdwa s3, v101, v117 src0_sel:BYTE_1 src1_sel:DWORD
	v_mov_b32_e32 v99, v35
	s_and_saveexec_b32 s43, s3
	s_cbranch_execz .LBB181_240
; %bb.235:                              ;   in Loop: Header=BB181_12 Depth=1
	v_and_b32_sdwa v33, v118, v101 dst_sel:DWORD dst_unused:UNUSED_PAD src0_sel:DWORD src1_sel:BYTE_1
	v_mov_b32_e32 v37, v34
	v_mov_b32_e32 v100, v38
	s_mov_b32 s44, exec_lo
	v_and_b32_e32 v102, 0x7f, v33
	v_mov_b32_e32 v99, v37
	v_cmpx_ne_u32_e32 0x7f, v102
	s_cbranch_execz .LBB181_239
; %bb.236:                              ;   in Loop: Header=BB181_12 Depth=1
	v_and_b32_e32 v33, 7, v33
	v_lshrrev_b32_e32 v35, 3, v102
	s_mov_b32 s45, exec_lo
	v_cmpx_gt_u32_e32 8, v102
; %bb.237:                              ;   in Loop: Header=BB181_12 Depth=1
	v_ffbh_u32_e32 v35, v33
	v_min_u32_e32 v35, 32, v35
	v_subrev_nc_u32_e32 v37, 28, v35
	v_sub_nc_u32_e32 v35, 29, v35
	v_lshlrev_b64 v[99:100], v37, v[33:34]
	v_and_b32_e32 v33, 7, v99
; %bb.238:                              ;   in Loop: Header=BB181_12 Depth=1
	s_or_b32 exec_lo, exec_lo, s45
	v_lshlrev_b32_e32 v37, 16, v101
	v_lshlrev_b32_e32 v33, 20, v33
	v_lshl_add_u32 v35, v35, 23, 0x3c000000
	v_mov_b32_e32 v99, v34
	v_and_b32_e32 v37, 0x80000000, v37
	v_or3_b32 v100, v33, v37, v35
.LBB181_239:                            ;   in Loop: Header=BB181_12 Depth=1
	s_or_b32 exec_lo, exec_lo, s44
.LBB181_240:                            ;   in Loop: Header=BB181_12 Depth=1
	s_or_b32 exec_lo, exec_lo, s43
.LBB181_241:                            ;   in Loop: Header=BB181_12 Depth=1
	s_or_b32 exec_lo, exec_lo, s42
	global_load_ushort v33, v[47:48], off offset:776
	v_mov_b32_e32 v103, 0
	v_mov_b32_e32 v101, 0
	;; [unrolled: 1-line block ×4, first 2 shown]
	s_waitcnt vmcnt(0)
	v_and_b32_e32 v105, 0xffff, v33
	v_cmp_ne_u16_sdwa s3, v33, v34 src0_sel:BYTE_0 src1_sel:DWORD
	s_and_saveexec_b32 s42, s3
	s_cbranch_execz .LBB181_249
; %bb.242:                              ;   in Loop: Header=BB181_12 Depth=1
	v_bfrev_b32_e32 v101, 1
	v_mov_b32_e32 v102, 0
	v_cmp_ne_u16_sdwa s3, v105, v117 src0_sel:BYTE_0 src1_sel:DWORD
	s_and_saveexec_b32 s43, s3
	s_cbranch_execz .LBB181_248
; %bb.243:                              ;   in Loop: Header=BB181_12 Depth=1
	v_mov_b32_e32 v101, 0x7f800001
	v_and_b32_e32 v37, 0x7f, v105
	v_mov_b32_e32 v102, 0
	s_mov_b32 s44, exec_lo
	v_cmpx_ne_u32_e32 0x7f, v37
	s_cbranch_execz .LBB181_247
; %bb.244:                              ;   in Loop: Header=BB181_12 Depth=1
	v_and_b32_e32 v33, 7, v105
	v_lshrrev_b32_e32 v35, 3, v37
	s_mov_b32 s45, exec_lo
	v_cmpx_gt_u32_e32 8, v37
; %bb.245:                              ;   in Loop: Header=BB181_12 Depth=1
	v_ffbh_u32_e32 v35, v33
	v_min_u32_e32 v35, 32, v35
	v_subrev_nc_u32_e32 v37, 28, v35
	v_sub_nc_u32_e32 v35, 29, v35
	v_lshlrev_b64 v[101:102], v37, v[33:34]
	v_and_b32_e32 v33, 7, v101
; %bb.246:                              ;   in Loop: Header=BB181_12 Depth=1
	s_or_b32 exec_lo, exec_lo, s45
	v_lshlrev_b32_e32 v37, 24, v105
	v_lshlrev_b32_e32 v33, 20, v33
	v_lshl_add_u32 v35, v35, 23, 0x3c000000
	v_and_b32_e32 v37, 0x80000000, v37
	v_or3_b32 v33, v33, v37, v35
	v_mov_b32_e32 v102, v34
	v_mov_b32_e32 v101, v33
.LBB181_247:                            ;   in Loop: Header=BB181_12 Depth=1
	s_or_b32 exec_lo, exec_lo, s44
.LBB181_248:                            ;   in Loop: Header=BB181_12 Depth=1
	s_or_b32 exec_lo, exec_lo, s43
.LBB181_249:                            ;   in Loop: Header=BB181_12 Depth=1
	s_or_b32 exec_lo, exec_lo, s42
	v_cmp_ne_u16_sdwa s3, v105, v34 src0_sel:BYTE_1 src1_sel:DWORD
	s_and_saveexec_b32 s42, s3
	s_cbranch_execz .LBB181_257
; %bb.250:                              ;   in Loop: Header=BB181_12 Depth=1
	v_mov_b32_e32 v35, v34
	v_mov_b32_e32 v104, v36
	v_cmp_ne_u16_sdwa s3, v105, v117 src0_sel:BYTE_1 src1_sel:DWORD
	v_mov_b32_e32 v103, v35
	s_and_saveexec_b32 s43, s3
	s_cbranch_execz .LBB181_256
; %bb.251:                              ;   in Loop: Header=BB181_12 Depth=1
	v_and_b32_sdwa v33, v118, v105 dst_sel:DWORD dst_unused:UNUSED_PAD src0_sel:DWORD src1_sel:BYTE_1
	v_mov_b32_e32 v37, v34
	v_mov_b32_e32 v104, v38
	s_mov_b32 s44, exec_lo
	v_and_b32_e32 v106, 0x7f, v33
	v_mov_b32_e32 v103, v37
	v_cmpx_ne_u32_e32 0x7f, v106
	s_cbranch_execz .LBB181_255
; %bb.252:                              ;   in Loop: Header=BB181_12 Depth=1
	v_and_b32_e32 v33, 7, v33
	v_lshrrev_b32_e32 v35, 3, v106
	s_mov_b32 s45, exec_lo
	v_cmpx_gt_u32_e32 8, v106
; %bb.253:                              ;   in Loop: Header=BB181_12 Depth=1
	v_ffbh_u32_e32 v35, v33
	v_min_u32_e32 v35, 32, v35
	v_subrev_nc_u32_e32 v37, 28, v35
	v_sub_nc_u32_e32 v35, 29, v35
	v_lshlrev_b64 v[103:104], v37, v[33:34]
	v_and_b32_e32 v33, 7, v103
; %bb.254:                              ;   in Loop: Header=BB181_12 Depth=1
	s_or_b32 exec_lo, exec_lo, s45
	v_lshlrev_b32_e32 v37, 16, v105
	v_lshlrev_b32_e32 v33, 20, v33
	v_lshl_add_u32 v35, v35, 23, 0x3c000000
	v_mov_b32_e32 v103, v34
	v_and_b32_e32 v37, 0x80000000, v37
	v_or3_b32 v104, v33, v37, v35
.LBB181_255:                            ;   in Loop: Header=BB181_12 Depth=1
	s_or_b32 exec_lo, exec_lo, s44
.LBB181_256:                            ;   in Loop: Header=BB181_12 Depth=1
	s_or_b32 exec_lo, exec_lo, s43
.LBB181_257:                            ;   in Loop: Header=BB181_12 Depth=1
	s_or_b32 exec_lo, exec_lo, s42
	global_load_ushort v33, v[47:48], off offset:780
	v_mov_b32_e32 v105, 0
	v_mov_b32_e32 v47, 0
	;; [unrolled: 1-line block ×4, first 2 shown]
	s_waitcnt vmcnt(0)
	v_and_b32_e32 v123, 0xffff, v33
	v_cmp_ne_u16_sdwa s3, v33, v34 src0_sel:BYTE_0 src1_sel:DWORD
	s_and_saveexec_b32 s42, s3
	s_cbranch_execz .LBB181_265
; %bb.258:                              ;   in Loop: Header=BB181_12 Depth=1
	v_bfrev_b32_e32 v47, 1
	v_mov_b32_e32 v48, 0
	v_cmp_ne_u16_sdwa s3, v123, v117 src0_sel:BYTE_0 src1_sel:DWORD
	s_and_saveexec_b32 s43, s3
	s_cbranch_execz .LBB181_264
; %bb.259:                              ;   in Loop: Header=BB181_12 Depth=1
	v_mov_b32_e32 v47, 0x7f800001
	v_and_b32_e32 v37, 0x7f, v123
	v_mov_b32_e32 v48, 0
	s_mov_b32 s44, exec_lo
	v_cmpx_ne_u32_e32 0x7f, v37
	s_cbranch_execz .LBB181_263
; %bb.260:                              ;   in Loop: Header=BB181_12 Depth=1
	v_and_b32_e32 v33, 7, v123
	v_lshrrev_b32_e32 v35, 3, v37
	s_mov_b32 s45, exec_lo
	v_cmpx_gt_u32_e32 8, v37
; %bb.261:                              ;   in Loop: Header=BB181_12 Depth=1
	v_ffbh_u32_e32 v35, v33
	v_min_u32_e32 v35, 32, v35
	v_subrev_nc_u32_e32 v37, 28, v35
	v_sub_nc_u32_e32 v35, 29, v35
	v_lshlrev_b64 v[47:48], v37, v[33:34]
	v_and_b32_e32 v33, 7, v47
; %bb.262:                              ;   in Loop: Header=BB181_12 Depth=1
	s_or_b32 exec_lo, exec_lo, s45
	v_lshlrev_b32_e32 v37, 24, v123
	v_lshlrev_b32_e32 v33, 20, v33
	v_lshl_add_u32 v35, v35, 23, 0x3c000000
	v_and_b32_e32 v37, 0x80000000, v37
	v_or3_b32 v33, v33, v37, v35
	v_mov_b32_e32 v48, v34
	v_mov_b32_e32 v47, v33
.LBB181_263:                            ;   in Loop: Header=BB181_12 Depth=1
	s_or_b32 exec_lo, exec_lo, s44
.LBB181_264:                            ;   in Loop: Header=BB181_12 Depth=1
	s_or_b32 exec_lo, exec_lo, s43
.LBB181_265:                            ;   in Loop: Header=BB181_12 Depth=1
	s_or_b32 exec_lo, exec_lo, s42
	v_cmp_ne_u16_sdwa s3, v123, v34 src0_sel:BYTE_1 src1_sel:DWORD
	s_and_saveexec_b32 s42, s3
	s_cbranch_execz .LBB181_273
; %bb.266:                              ;   in Loop: Header=BB181_12 Depth=1
	v_mov_b32_e32 v35, v34
	v_mov_b32_e32 v106, v36
	v_cmp_ne_u16_sdwa s3, v123, v117 src0_sel:BYTE_1 src1_sel:DWORD
	v_mov_b32_e32 v105, v35
	s_and_saveexec_b32 s43, s3
	s_cbranch_execz .LBB181_272
; %bb.267:                              ;   in Loop: Header=BB181_12 Depth=1
	v_and_b32_sdwa v33, v118, v123 dst_sel:DWORD dst_unused:UNUSED_PAD src0_sel:DWORD src1_sel:BYTE_1
	v_mov_b32_e32 v37, v34
	v_mov_b32_e32 v106, v38
	s_mov_b32 s44, exec_lo
	v_and_b32_e32 v124, 0x7f, v33
	v_mov_b32_e32 v105, v37
	v_cmpx_ne_u32_e32 0x7f, v124
	s_cbranch_execz .LBB181_271
; %bb.268:                              ;   in Loop: Header=BB181_12 Depth=1
	v_and_b32_e32 v33, 7, v33
	v_lshrrev_b32_e32 v35, 3, v124
	s_mov_b32 s45, exec_lo
	v_cmpx_gt_u32_e32 8, v124
; %bb.269:                              ;   in Loop: Header=BB181_12 Depth=1
	v_ffbh_u32_e32 v35, v33
	v_min_u32_e32 v35, 32, v35
	v_subrev_nc_u32_e32 v37, 28, v35
	v_sub_nc_u32_e32 v35, 29, v35
	v_lshlrev_b64 v[105:106], v37, v[33:34]
	v_and_b32_e32 v33, 7, v105
; %bb.270:                              ;   in Loop: Header=BB181_12 Depth=1
	s_or_b32 exec_lo, exec_lo, s45
	v_lshlrev_b32_e32 v37, 16, v123
	v_lshlrev_b32_e32 v33, 20, v33
	v_lshl_add_u32 v35, v35, 23, 0x3c000000
	v_mov_b32_e32 v105, v34
	v_and_b32_e32 v37, 0x80000000, v37
	v_or3_b32 v106, v33, v37, v35
.LBB181_271:                            ;   in Loop: Header=BB181_12 Depth=1
	s_or_b32 exec_lo, exec_lo, s44
.LBB181_272:                            ;   in Loop: Header=BB181_12 Depth=1
	s_or_b32 exec_lo, exec_lo, s43
.LBB181_273:                            ;   in Loop: Header=BB181_12 Depth=1
	s_or_b32 exec_lo, exec_lo, s42
	v_or_b32_e32 v49, v51, v49
	v_or_b32_e32 v50, v52, v50
	;; [unrolled: 1-line block ×5, first 2 shown]
	s_waitcnt lgkmcnt(0)
	v_mul_f32_e32 v45, s41, v49
	v_mul_f32_e32 v46, s41, v50
	v_or_b32_e32 v49, v55, v53
	v_mul_f32_e32 v44, s41, v44
	v_mul_f32_e32 v43, s41, v43
	;; [unrolled: 1-line block ×4, first 2 shown]
	v_or_b32_e32 v58, v60, v58
	v_or_b32_e32 v45, v59, v57
	v_mul_f32_e32 v46, s41, v51
	v_mul_f32_e32 v49, s41, v49
	v_fmac_f32_e32 v31, v29, v43
	v_fmac_f32_e32 v32, v30, v44
	v_or_b32_e32 v62, v64, v62
	v_or_b32_e32 v29, v63, v61
	v_mul_f32_e32 v30, s41, v58
	v_mul_f32_e32 v43, s41, v45
	v_fmac_f32_e32 v31, v25, v49
	v_fmac_f32_e32 v32, v26, v46
	;; [unrolled: 6-line block ×12, first 2 shown]
	v_mul_f32_e32 v11, s41, v33
	v_mul_f32_e32 v5, s41, v35
	v_or_b32_e32 v6, v106, v48
	v_or_b32_e32 v10, v105, v47
	v_fmac_f32_e32 v31, v7, v9
	v_fmac_f32_e32 v32, v8, v12
	v_xor_b32_e32 v7, 1, v111
	v_mul_f32_e32 v6, s41, v6
	v_mul_f32_e32 v8, s41, v10
	v_fmac_f32_e32 v31, v1, v5
	v_fmac_f32_e32 v32, v2, v11
	v_cmp_gt_i32_e64 s3, 32, v7
	v_fmac_f32_e32 v31, v3, v8
	v_fmac_f32_e32 v32, v4, v6
	v_cndmask_b32_e64 v1, v111, v7, s3
	v_lshlrev_b32_e32 v2, 2, v1
	v_add_f32_e32 v1, v31, v32
	ds_bpermute_b32 v2, v2, v1
	s_and_saveexec_b32 s41, vcc_lo
	s_cbranch_execz .LBB181_10
; %bb.274:                              ;   in Loop: Header=BB181_12 Depth=1
	v_add_nc_u32_e32 v3, v119, v115
	s_waitcnt lgkmcnt(0)
	v_add_f32_e32 v1, v1, v2
	v_cvt_f32_i32_e32 v3, v3
	v_mul_f32_e32 v3, s36, v3
	v_cndmask_b32_e64 v2, 0, v3, s2
	v_max_f32_e32 v3, v114, v114
	v_fmac_f32_e32 v2, s35, v1
	v_add_nc_u32_e32 v1, v112, v115
	v_max_f32_e32 v3, v3, v2
	v_cmp_gt_i32_e64 s3, s33, v1
	v_cndmask_b32_e64 v1, 0, v2, s3
	v_cndmask_b32_e64 v114, v114, v3, s3
	ds_write_b32 v120, v1
	s_branch .LBB181_10
.LBB181_275:
	s_or_b32 exec_lo, exec_lo, s39
.LBB181_276:
	s_or_b32 exec_lo, exec_lo, s37
	v_xor_b32_e32 v1, 16, v111
	v_xor_b32_e32 v3, 8, v111
	v_max_f32_e32 v4, v114, v114
	v_xor_b32_e32 v5, 4, v111
	v_and_b32_e32 v25, 31, v0
	v_cmp_gt_i32_e32 vcc_lo, 32, v1
	v_cndmask_b32_e32 v1, v111, v1, vcc_lo
	v_cmp_gt_i32_e32 vcc_lo, 32, v3
	v_lshlrev_b32_e32 v1, 2, v1
	v_cndmask_b32_e32 v3, v111, v3, vcc_lo
	v_cmp_gt_i32_e32 vcc_lo, 32, v5
	s_waitcnt lgkmcnt(0)
	ds_bpermute_b32 v2, v1, v114
	v_lshlrev_b32_e32 v3, 2, v3
	v_cndmask_b32_e32 v5, v111, v5, vcc_lo
	s_waitcnt lgkmcnt(0)
	v_max_f32_e32 v2, v2, v2
	v_max_f32_e32 v2, v4, v2
	ds_bpermute_b32 v4, v3, v2
	s_waitcnt lgkmcnt(0)
	v_max_f32_e32 v6, v4, v4
	v_lshlrev_b32_e32 v4, 2, v5
	v_max_f32_e32 v2, v2, v6
	v_xor_b32_e32 v6, 2, v111
	ds_bpermute_b32 v5, v4, v2
	v_cmp_gt_i32_e32 vcc_lo, 32, v6
	v_cndmask_b32_e32 v6, v111, v6, vcc_lo
	v_cmp_eq_u32_e32 vcc_lo, 0, v25
	v_lshlrev_b32_e32 v26, 2, v6
	s_waitcnt lgkmcnt(0)
	v_max_f32_e32 v5, v5, v5
	v_max_f32_e32 v2, v2, v5
	v_lshlrev_b32_e32 v5, 2, v107
	ds_bpermute_b32 v6, v26, v2
	s_and_saveexec_b32 s2, vcc_lo
	s_cbranch_execz .LBB181_278
; %bb.277:
	s_waitcnt lgkmcnt(0)
	v_max_f32_e32 v6, v6, v6
	v_max_f32_e32 v2, v2, v2
	v_max_f32_e32 v2, v2, v6
	ds_write_b32 v5, v2 offset:256
.LBB181_278:
	s_or_b32 exec_lo, exec_lo, s2
	v_cmp_gt_u32_e64 s2, 4, v25
	v_mov_b32_e32 v2, 0xff7fffff
	s_waitcnt lgkmcnt(0)
	v_lshlrev_b32_e32 v6, 2, v25
	s_barrier
	buffer_gl0_inv
	s_and_saveexec_b32 s3, s2
; %bb.279:
	ds_read_b32 v2, v6 offset:256
; %bb.280:
	s_or_b32 exec_lo, exec_lo, s3
	s_waitcnt lgkmcnt(0)
	ds_bpermute_b32 v7, v26, v2
	v_xor_b32_e32 v8, 1, v111
	v_max_f32_e32 v2, v2, v2
	v_cmp_gt_i32_e64 s3, 32, v8
	v_cndmask_b32_e64 v8, v111, v8, s3
	s_lshl_b32 s3, s20, 4
	s_min_i32 s5, s3, s33
	v_lshlrev_b32_e32 v27, 2, v8
	v_cmp_gt_i32_e64 s3, s5, v0
	s_waitcnt lgkmcnt(0)
	v_max_f32_e32 v7, v7, v7
	v_max_f32_e32 v2, v2, v7
	ds_bpermute_b32 v7, v27, v2
	s_waitcnt lgkmcnt(0)
	v_max_f32_e32 v7, v7, v7
	v_max_f32_e32 v2, v2, v7
	v_mov_b32_e32 v7, 0
	ds_bpermute_b32 v8, v7, v2
	v_lshl_add_u32 v2, v0, 2, 0x120
	s_and_saveexec_b32 s12, s3
	s_cbranch_execz .LBB181_284
; %bb.281:
	v_lshl_add_u32 v9, v0, 2, 0x120
	v_mov_b32_e32 v7, 0
	v_mov_b32_e32 v10, v0
	s_mov_b32 s13, 0
	.p2align	6
.LBB181_282:                            ; =>This Inner Loop Header: Depth=1
	ds_read_b32 v11, v9
	v_add_nc_u32_e32 v10, 0x80, v10
	v_cmp_le_i32_e64 s4, s5, v10
	s_or_b32 s13, s4, s13
	s_waitcnt lgkmcnt(0)
	v_sub_f32_e32 v11, v11, v8
	v_mul_f32_e32 v11, 0x3fb8aa3b, v11
	v_exp_f32_e32 v11, v11
	ds_write_b32 v9, v11
	v_add_f32_e32 v7, v7, v11
	v_add_nc_u32_e32 v9, 0x200, v9
	s_andn2_b32 exec_lo, exec_lo, s13
	s_cbranch_execnz .LBB181_282
; %bb.283:
	s_or_b32 exec_lo, exec_lo, s13
.LBB181_284:
	s_or_b32 exec_lo, exec_lo, s12
	ds_bpermute_b32 v1, v1, v7
	s_waitcnt lgkmcnt(0)
	v_add_f32_e32 v1, v7, v1
	ds_bpermute_b32 v3, v3, v1
	s_waitcnt lgkmcnt(0)
	v_add_f32_e32 v1, v1, v3
	;; [unrolled: 3-line block ×5, first 2 shown]
	s_and_saveexec_b32 s4, vcc_lo
; %bb.285:
	ds_write_b32 v5, v1 offset:272
; %bb.286:
	s_or_b32 exec_lo, exec_lo, s4
	s_waitcnt lgkmcnt(0)
	s_barrier
	buffer_gl0_inv
	s_and_saveexec_b32 s4, s2
; %bb.287:
	ds_read_b32 v1, v6 offset:272
; %bb.288:
	s_or_b32 exec_lo, exec_lo, s4
	s_waitcnt lgkmcnt(0)
	ds_bpermute_b32 v3, v26, v1
	s_waitcnt lgkmcnt(0)
	v_add_f32_e32 v1, v1, v3
	ds_bpermute_b32 v3, v27, v1
	s_waitcnt lgkmcnt(0)
	v_add_f32_e32 v1, v1, v3
	v_mov_b32_e32 v3, 0
	ds_bpermute_b32 v1, v3, v1
	s_and_saveexec_b32 s2, s3
	s_cbranch_execz .LBB181_291
; %bb.289:
	s_waitcnt lgkmcnt(0)
	v_add_f32_e32 v1, 0x358637bd, v1
	s_mov_b32 s3, 0
	v_div_scale_f32 v3, null, v1, v1, 1.0
	v_div_scale_f32 v6, vcc_lo, 1.0, v1, 1.0
	v_rcp_f32_e32 v4, v3
	v_fma_f32 v5, -v3, v4, 1.0
	v_fmac_f32_e32 v4, v5, v4
	v_mul_f32_e32 v5, v6, v4
	v_fma_f32 v7, -v3, v5, v6
	v_fmac_f32_e32 v5, v7, v4
	v_fma_f32 v3, -v3, v5, v6
	v_div_fmas_f32 v3, v3, v4, v5
	v_div_fixup_f32 v1, v3, v1, 1.0
	v_mov_b32_e32 v3, v0
.LBB181_290:                            ; =>This Inner Loop Header: Depth=1
	ds_read_b32 v4, v2
	v_add_nc_u32_e32 v3, 0x80, v3
	v_cmp_le_i32_e32 vcc_lo, s5, v3
	s_or_b32 s3, vcc_lo, s3
	s_waitcnt lgkmcnt(0)
	v_mul_f32_e32 v4, v1, v4
	ds_write_b32 v2, v4
	v_add_nc_u32_e32 v2, 0x200, v2
	s_andn2_b32 exec_lo, exec_lo, s3
	s_cbranch_execnz .LBB181_290
.LBB181_291:
	s_or_b32 exec_lo, exec_lo, s2
	v_mov_b32_e32 v36, 0
	v_and_b32_e32 v28, 3, v0
	v_mov_b32_e32 v35, 0
	v_mov_b32_e32 v34, 0
	;; [unrolled: 1-line block ×7, first 2 shown]
	s_waitcnt lgkmcnt(0)
	s_barrier
	buffer_gl0_inv
	s_and_saveexec_b32 s2, s1
	s_cbranch_execz .LBB181_569
; %bb.292:
	s_sub_i32 s3, s34, s21
	s_ashr_i32 s1, s18, 31
	s_add_u32 s18, s30, s18
	s_addc_u32 s1, s31, s1
	s_abs_i32 s4, s22
	v_and_b32_e32 v2, 0x7c, v109
	v_cvt_f32_u32_e32 v1, s4
	s_sub_i32 s5, 0, s4
	v_lshlrev_b32_e32 v4, 4, v28
	v_and_b32_e32 v3, 0x7c, v110
	v_add_co_u32 v11, s18, s18, v2
	v_rcp_iflag_f32_e32 v1, v1
	s_lshl_b64 s[12:13], s[28:29], 2
	v_lshl_or_b32 v4, v107, 6, v4
	v_add_co_ci_u32_e64 v12, null, s1, 0, s18
	v_and_b32_e32 v37, 12, v109
	v_mov_b32_e32 v6, 0
	v_mov_b32_e32 v38, 0x80
	v_bfrev_b32_e32 v8, 1
	v_mov_b32_e32 v39, 0xffff
	v_mul_f32_e32 v1, 0x4f7ffffe, v1
	v_mov_b32_e32 v10, 0x7f800001
	v_mov_b32_e32 v40, 0xff
	;; [unrolled: 1-line block ×4, first 2 shown]
	v_cvt_u32_f32_e32 v1, v1
	v_mov_b32_e32 v29, 0
	v_mov_b32_e32 v30, 0
	;; [unrolled: 1-line block ×4, first 2 shown]
	v_mul_lo_u32 v5, s5, v1
	s_add_i32 s5, s20, -1
	s_add_u32 s1, s26, s12
	s_addc_u32 s12, s27, s13
	v_add_co_u32 v13, s1, s1, v3
	v_mov_b32_e32 v33, 0
	v_mov_b32_e32 v34, 0
	v_mul_hi_u32 v2, v1, v5
	v_mov_b32_e32 v35, 0
	v_add_co_ci_u32_e64 v14, null, s12, 0, s1
	v_add_nc_u32_e32 v43, 0x120, v4
	v_mov_b32_e32 v36, 0
	v_mov_b32_e32 v45, v107
	s_mov_b32 s13, s17
	v_add_nc_u32_e32 v44, v1, v2
	s_mov_b32 s12, 0
	s_branch .LBB181_295
.LBB181_293:                            ;   in Loop: Header=BB181_295 Depth=1
	s_or_b32 exec_lo, exec_lo, s1
	v_mul_f32_e32 v16, v1, v75
	v_mul_f32_e32 v17, v1, v73
	;; [unrolled: 1-line block ×8, first 2 shown]
	v_fmac_f32_e32 v16, v2, v74
	v_fmac_f32_e32 v17, v2, v72
	v_fmac_f32_e32 v18, v2, v68
	v_fmac_f32_e32 v19, v2, v64
	v_fmac_f32_e32 v20, v2, v60
	v_fmac_f32_e32 v21, v2, v56
	v_fmac_f32_e32 v22, v2, v48
	v_fmac_f32_e32 v1, v2, v9
	v_fmac_f32_e32 v16, v3, v24
	v_fmac_f32_e32 v17, v3, v71
	v_fmac_f32_e32 v18, v3, v67
	v_fmac_f32_e32 v19, v3, v63
	v_fmac_f32_e32 v20, v3, v59
	v_fmac_f32_e32 v21, v3, v55
	v_fmac_f32_e32 v22, v3, v47
	v_fmac_f32_e32 v1, v3, v7
	v_fmac_f32_e32 v16, v4, v23
	v_fmac_f32_e32 v17, v4, v70
	v_fmac_f32_e32 v18, v4, v66
	v_fmac_f32_e32 v19, v4, v62
	v_fmac_f32_e32 v20, v4, v58
	v_fmac_f32_e32 v21, v4, v54
	v_fmac_f32_e32 v22, v4, v46
	v_fmac_f32_e32 v1, v4, v5
	v_add_f32_e32 v30, v30, v16
	v_add_f32_e32 v31, v31, v17
	;; [unrolled: 1-line block ×8, first 2 shown]
.LBB181_294:                            ;   in Loop: Header=BB181_295 Depth=1
	s_or_b32 exec_lo, exec_lo, s17
	v_add_nc_u32_e32 v45, 4, v45
	v_add_co_u32 v13, s1, v13, 16
	v_add_co_ci_u32_e64 v14, null, 0, v14, s1
	v_cmp_le_i32_e32 vcc_lo, s20, v45
	v_add_nc_u32_e32 v108, 64, v108
	v_add_nc_u32_e32 v43, 0x100, v43
	s_or_b32 s12, vcc_lo, s12
	s_andn2_b32 exec_lo, exec_lo, s12
	s_cbranch_execz .LBB181_568
.LBB181_295:                            ; =>This Inner Loop Header: Depth=1
	v_mul_hi_u32 v1, v108, s19
	v_mul_lo_u32 v2, v1, s16
	v_add_nc_u32_e32 v3, 1, v1
	v_sub_nc_u32_e32 v2, v108, v2
	v_subrev_nc_u32_e32 v4, s16, v2
	v_cmp_le_u32_e32 vcc_lo, s16, v2
	v_cndmask_b32_e32 v1, v1, v3, vcc_lo
	v_cndmask_b32_e32 v2, v2, v4, vcc_lo
	v_add_nc_u32_e32 v3, 1, v1
	v_cmp_le_u32_e32 vcc_lo, s16, v2
	v_cndmask_b32_e32 v1, v1, v3, vcc_lo
	v_xor_b32_e32 v1, s23, v1
	v_subrev_nc_u32_e32 v1, s23, v1
	v_add_nc_u32_e32 v2, s25, v1
	v_cmp_lt_i32_e64 s1, s3, v1
	v_sub_nc_u32_e32 v3, 0, v2
	v_max_i32_e32 v3, v2, v3
	v_ashrrev_i32_e32 v2, 31, v2
	v_mul_hi_u32 v4, v3, v44
	v_mul_lo_u32 v4, v4, s4
	v_sub_nc_u32_e32 v3, v3, v4
	v_subrev_nc_u32_e32 v4, s4, v3
	v_cmp_le_u32_e32 vcc_lo, s4, v3
	v_cndmask_b32_e32 v3, v3, v4, vcc_lo
	v_subrev_nc_u32_e32 v4, s4, v3
	v_cmp_le_u32_e32 vcc_lo, s4, v3
	v_cndmask_b32_e32 v3, v3, v4, vcc_lo
	v_xor_b32_e32 v3, v3, v2
	v_sub_nc_u32_e32 v2, v3, v2
	v_cmp_eq_u32_e32 vcc_lo, 0, v2
	s_or_b32 s1, vcc_lo, s1
	s_and_saveexec_b32 s17, s1
	s_cbranch_execz .LBB181_294
; %bb.296:                              ;   in Loop: Header=BB181_295 Depth=1
	global_load_dword v1, v[13:14], off
	s_load_dword s18, s[14:15], 0x0
	v_mov_b32_e32 v19, 0
	v_mov_b32_e32 v17, 0
	;; [unrolled: 1-line block ×4, first 2 shown]
	s_waitcnt vmcnt(0)
	v_mad_i64_i32 v[15:16], null, v1, s13, v[11:12]
	ds_read_b128 v[1:4], v43
	global_load_dword v46, v[15:16], off
	s_waitcnt vmcnt(0)
	v_cmp_ne_u16_sdwa s21, v46, v6 src0_sel:BYTE_0 src1_sel:DWORD
	s_and_saveexec_b32 s1, s21
	s_cbranch_execz .LBB181_304
; %bb.297:                              ;   in Loop: Header=BB181_295 Depth=1
	v_bfrev_b32_e32 v17, 1
	v_mov_b32_e32 v18, 0
	v_cmp_ne_u16_sdwa s22, v46, v38 src0_sel:BYTE_0 src1_sel:DWORD
	s_and_saveexec_b32 s21, s22
	s_cbranch_execz .LBB181_303
; %bb.298:                              ;   in Loop: Header=BB181_295 Depth=1
	v_mov_b32_e32 v17, 0x7f800001
	v_and_b32_e32 v9, 0x7f, v46
	v_mov_b32_e32 v18, 0
	s_mov_b32 s22, exec_lo
	v_cmpx_ne_u32_e32 0x7f, v9
	s_cbranch_execz .LBB181_302
; %bb.299:                              ;   in Loop: Header=BB181_295 Depth=1
	v_and_b32_e32 v5, 7, v46
	v_lshrrev_b32_e32 v7, 3, v9
	s_mov_b32 s26, exec_lo
	v_cmpx_gt_u32_e32 8, v9
; %bb.300:                              ;   in Loop: Header=BB181_295 Depth=1
	v_ffbh_u32_e32 v7, v5
	v_min_u32_e32 v7, 32, v7
	v_subrev_nc_u32_e32 v9, 28, v7
	v_sub_nc_u32_e32 v7, 29, v7
	v_lshlrev_b64 v[17:18], v9, v[5:6]
	v_and_b32_e32 v5, 7, v17
; %bb.301:                              ;   in Loop: Header=BB181_295 Depth=1
	s_or_b32 exec_lo, exec_lo, s26
	v_lshlrev_b32_e32 v9, 24, v46
	v_lshlrev_b32_e32 v5, 20, v5
	v_lshl_add_u32 v7, v7, 23, 0x3c000000
	v_and_b32_e32 v9, 0x80000000, v9
	v_or3_b32 v5, v5, v9, v7
	v_mov_b32_e32 v18, v6
	v_mov_b32_e32 v17, v5
.LBB181_302:                            ;   in Loop: Header=BB181_295 Depth=1
	s_or_b32 exec_lo, exec_lo, s22
.LBB181_303:                            ;   in Loop: Header=BB181_295 Depth=1
	s_or_b32 exec_lo, exec_lo, s21
.LBB181_304:                            ;   in Loop: Header=BB181_295 Depth=1
	s_or_b32 exec_lo, exec_lo, s1
	v_cmp_ne_u16_sdwa s21, v46, v6 src0_sel:BYTE_1 src1_sel:DWORD
	s_and_saveexec_b32 s1, s21
	s_cbranch_execz .LBB181_312
; %bb.305:                              ;   in Loop: Header=BB181_295 Depth=1
	v_mov_b32_e32 v7, v6
	v_mov_b32_e32 v20, v8
	v_cmp_ne_u16_sdwa s22, v46, v38 src0_sel:BYTE_1 src1_sel:DWORD
	v_mov_b32_e32 v19, v7
	s_and_saveexec_b32 s21, s22
	s_cbranch_execz .LBB181_311
; %bb.306:                              ;   in Loop: Header=BB181_295 Depth=1
	v_and_b32_sdwa v5, v39, v46 dst_sel:DWORD dst_unused:UNUSED_PAD src0_sel:DWORD src1_sel:BYTE_1
	v_mov_b32_e32 v9, v6
	v_mov_b32_e32 v20, v10
	s_mov_b32 s22, exec_lo
	v_and_b32_e32 v21, 0x7f, v5
	v_mov_b32_e32 v19, v9
	v_cmpx_ne_u32_e32 0x7f, v21
	s_cbranch_execz .LBB181_310
; %bb.307:                              ;   in Loop: Header=BB181_295 Depth=1
	v_and_b32_e32 v5, 7, v5
	v_lshrrev_b32_e32 v7, 3, v21
	s_mov_b32 s26, exec_lo
	v_cmpx_gt_u32_e32 8, v21
; %bb.308:                              ;   in Loop: Header=BB181_295 Depth=1
	v_ffbh_u32_e32 v7, v5
	v_min_u32_e32 v7, 32, v7
	v_subrev_nc_u32_e32 v9, 28, v7
	v_sub_nc_u32_e32 v7, 29, v7
	v_lshlrev_b64 v[19:20], v9, v[5:6]
	v_and_b32_e32 v5, 7, v19
; %bb.309:                              ;   in Loop: Header=BB181_295 Depth=1
	s_or_b32 exec_lo, exec_lo, s26
	v_lshlrev_b32_e32 v9, 16, v46
	v_lshlrev_b32_e32 v5, 20, v5
	v_lshl_add_u32 v7, v7, 23, 0x3c000000
	v_mov_b32_e32 v19, v6
	v_and_b32_e32 v9, 0x80000000, v9
	v_or3_b32 v20, v5, v9, v7
.LBB181_310:                            ;   in Loop: Header=BB181_295 Depth=1
	s_or_b32 exec_lo, exec_lo, s22
.LBB181_311:                            ;   in Loop: Header=BB181_295 Depth=1
	s_or_b32 exec_lo, exec_lo, s21
.LBB181_312:                            ;   in Loop: Header=BB181_295 Depth=1
	s_or_b32 exec_lo, exec_lo, s1
	v_mov_b32_e32 v23, 0
	v_mov_b32_e32 v21, 0
	v_and_b32_sdwa v5, v46, v40 dst_sel:DWORD dst_unused:UNUSED_PAD src0_sel:WORD_1 src1_sel:DWORD
	v_mov_b32_e32 v24, 0
	v_mov_b32_e32 v22, 0
	s_mov_b32 s1, exec_lo
	v_cmpx_ne_u16_e32 0, v5
	s_cbranch_execz .LBB181_320
; %bb.313:                              ;   in Loop: Header=BB181_295 Depth=1
	v_bfrev_b32_e32 v21, 1
	v_mov_b32_e32 v22, 0
	s_mov_b32 s21, exec_lo
	v_cmpx_ne_u16_e32 0x80, v5
	s_cbranch_execz .LBB181_319
; %bb.314:                              ;   in Loop: Header=BB181_295 Depth=1
	v_mov_b32_e32 v21, 0x7f800001
	v_bfe_u32 v9, v46, 16, 7
	v_mov_b32_e32 v22, 0
	s_mov_b32 s22, exec_lo
	v_cmpx_ne_u32_e32 0x7f, v9
	s_cbranch_execz .LBB181_318
; %bb.315:                              ;   in Loop: Header=BB181_295 Depth=1
	v_and_b32_sdwa v5, v46, v41 dst_sel:DWORD dst_unused:UNUSED_PAD src0_sel:WORD_1 src1_sel:DWORD
	v_lshrrev_b32_e32 v7, 3, v9
	s_mov_b32 s26, exec_lo
	v_cmpx_gt_u32_e32 8, v9
; %bb.316:                              ;   in Loop: Header=BB181_295 Depth=1
	v_ffbh_u32_e32 v7, v5
	v_min_u32_e32 v7, 32, v7
	v_subrev_nc_u32_e32 v9, 28, v7
	v_sub_nc_u32_e32 v7, 29, v7
	v_lshlrev_b64 v[21:22], v9, v[5:6]
	v_and_b32_e32 v5, 7, v21
; %bb.317:                              ;   in Loop: Header=BB181_295 Depth=1
	s_or_b32 exec_lo, exec_lo, s26
	v_lshlrev_b32_sdwa v9, v42, v46 dst_sel:DWORD dst_unused:UNUSED_PAD src0_sel:DWORD src1_sel:WORD_1
	v_lshlrev_b32_e32 v5, 20, v5
	v_lshl_add_u32 v7, v7, 23, 0x3c000000
	v_and_b32_e32 v9, 0x80000000, v9
	v_or3_b32 v5, v5, v9, v7
	v_mov_b32_e32 v22, v6
	v_mov_b32_e32 v21, v5
.LBB181_318:                            ;   in Loop: Header=BB181_295 Depth=1
	s_or_b32 exec_lo, exec_lo, s22
.LBB181_319:                            ;   in Loop: Header=BB181_295 Depth=1
	s_or_b32 exec_lo, exec_lo, s21
.LBB181_320:                            ;   in Loop: Header=BB181_295 Depth=1
	s_or_b32 exec_lo, exec_lo, s1
	s_mov_b32 s1, exec_lo
	v_cmpx_lt_u32_e32 0xffffff, v46
	s_cbranch_execz .LBB181_328
; %bb.321:                              ;   in Loop: Header=BB181_295 Depth=1
	v_mov_b32_e32 v7, v6
	v_mov_b32_e32 v24, v8
	v_cmp_ne_u32_sdwa s22, v46, v38 src0_sel:BYTE_3 src1_sel:DWORD
	v_mov_b32_e32 v23, v7
	s_and_saveexec_b32 s21, s22
	s_cbranch_execz .LBB181_327
; %bb.322:                              ;   in Loop: Header=BB181_295 Depth=1
	v_mov_b32_e32 v9, v6
	v_mov_b32_e32 v24, v10
	v_bfe_u32 v47, v46, 24, 7
	s_mov_b32 s22, exec_lo
	v_mov_b32_e32 v23, v9
	v_cmpx_ne_u32_e32 0x7f, v47
	s_cbranch_execz .LBB181_326
; %bb.323:                              ;   in Loop: Header=BB181_295 Depth=1
	v_and_b32_sdwa v5, v46, v41 dst_sel:DWORD dst_unused:UNUSED_PAD src0_sel:BYTE_3 src1_sel:DWORD
	v_lshrrev_b32_e32 v7, 3, v47
	s_mov_b32 s26, exec_lo
	v_cmpx_gt_u32_e32 8, v47
; %bb.324:                              ;   in Loop: Header=BB181_295 Depth=1
	v_ffbh_u32_e32 v7, v5
	v_min_u32_e32 v7, 32, v7
	v_subrev_nc_u32_e32 v9, 28, v7
	v_sub_nc_u32_e32 v7, 29, v7
	v_lshlrev_b64 v[23:24], v9, v[5:6]
	v_and_b32_e32 v5, 7, v23
; %bb.325:                              ;   in Loop: Header=BB181_295 Depth=1
	s_or_b32 exec_lo, exec_lo, s26
	v_lshlrev_b32_sdwa v9, v42, v46 dst_sel:DWORD dst_unused:UNUSED_PAD src0_sel:DWORD src1_sel:BYTE_3
	v_lshlrev_b32_e32 v5, 20, v5
	v_lshl_add_u32 v7, v7, 23, 0x3c000000
	v_mov_b32_e32 v23, v6
	v_and_b32_e32 v9, 0x80000000, v9
	v_or3_b32 v24, v5, v9, v7
.LBB181_326:                            ;   in Loop: Header=BB181_295 Depth=1
	s_or_b32 exec_lo, exec_lo, s22
.LBB181_327:                            ;   in Loop: Header=BB181_295 Depth=1
	s_or_b32 exec_lo, exec_lo, s21
.LBB181_328:                            ;   in Loop: Header=BB181_295 Depth=1
	s_or_b32 exec_lo, exec_lo, s1
	v_add_nc_u32_e32 v50, v37, v108
	v_or_b32_e32 v5, v20, v18
	v_or_b32_e32 v7, v19, v17
	;; [unrolled: 1-line block ×4, first 2 shown]
	v_cmp_eq_u32_e32 vcc_lo, s5, v45
	s_waitcnt lgkmcnt(0)
	v_mul_f32_e32 v48, s18, v5
	v_mul_f32_e32 v49, s18, v7
	v_mul_f32_e32 v47, s18, v9
	v_mul_f32_e32 v46, s18, v17
	v_add_nc_u32_e32 v53, 1, v50
	v_add_nc_u32_e32 v52, 2, v50
	v_add_nc_u32_e32 v51, 3, v50
	s_and_saveexec_b32 s21, vcc_lo
	s_cbranch_execz .LBB181_330
; %bb.329:                              ;   in Loop: Header=BB181_295 Depth=1
	v_cmp_gt_i32_e64 s1, s33, v50
	v_cndmask_b32_e64 v49, 0, v49, s1
	v_cmp_gt_i32_e64 s1, s33, v53
	v_cndmask_b32_e64 v48, 0, v48, s1
	;; [unrolled: 2-line block ×4, first 2 shown]
.LBB181_330:                            ;   in Loop: Header=BB181_295 Depth=1
	s_or_b32 exec_lo, exec_lo, s21
	global_load_dword v54, v[15:16], off offset:128
	v_mov_b32_e32 v19, 0
	v_mov_b32_e32 v17, 0
	;; [unrolled: 1-line block ×4, first 2 shown]
	s_waitcnt vmcnt(0)
	v_cmp_ne_u16_sdwa s1, v54, v6 src0_sel:BYTE_0 src1_sel:DWORD
	s_and_saveexec_b32 s21, s1
	s_cbranch_execz .LBB181_338
; %bb.331:                              ;   in Loop: Header=BB181_295 Depth=1
	v_bfrev_b32_e32 v17, 1
	v_mov_b32_e32 v18, 0
	v_cmp_ne_u16_sdwa s1, v54, v38 src0_sel:BYTE_0 src1_sel:DWORD
	s_and_saveexec_b32 s22, s1
	s_cbranch_execz .LBB181_337
; %bb.332:                              ;   in Loop: Header=BB181_295 Depth=1
	v_mov_b32_e32 v17, 0x7f800001
	v_and_b32_e32 v9, 0x7f, v54
	v_mov_b32_e32 v18, 0
	s_mov_b32 s26, exec_lo
	v_cmpx_ne_u32_e32 0x7f, v9
	s_cbranch_execz .LBB181_336
; %bb.333:                              ;   in Loop: Header=BB181_295 Depth=1
	v_and_b32_e32 v5, 7, v54
	v_lshrrev_b32_e32 v7, 3, v9
	s_mov_b32 s27, exec_lo
	v_cmpx_gt_u32_e32 8, v9
; %bb.334:                              ;   in Loop: Header=BB181_295 Depth=1
	v_ffbh_u32_e32 v7, v5
	v_min_u32_e32 v7, 32, v7
	v_subrev_nc_u32_e32 v9, 28, v7
	v_sub_nc_u32_e32 v7, 29, v7
	v_lshlrev_b64 v[17:18], v9, v[5:6]
	v_and_b32_e32 v5, 7, v17
; %bb.335:                              ;   in Loop: Header=BB181_295 Depth=1
	s_or_b32 exec_lo, exec_lo, s27
	v_lshlrev_b32_e32 v9, 24, v54
	v_lshlrev_b32_e32 v5, 20, v5
	v_lshl_add_u32 v7, v7, 23, 0x3c000000
	v_and_b32_e32 v9, 0x80000000, v9
	v_or3_b32 v5, v5, v9, v7
	v_mov_b32_e32 v18, v6
	v_mov_b32_e32 v17, v5
.LBB181_336:                            ;   in Loop: Header=BB181_295 Depth=1
	s_or_b32 exec_lo, exec_lo, s26
.LBB181_337:                            ;   in Loop: Header=BB181_295 Depth=1
	s_or_b32 exec_lo, exec_lo, s22
.LBB181_338:                            ;   in Loop: Header=BB181_295 Depth=1
	s_or_b32 exec_lo, exec_lo, s21
	v_cmp_ne_u16_sdwa s1, v54, v6 src0_sel:BYTE_1 src1_sel:DWORD
	s_and_saveexec_b32 s21, s1
	s_cbranch_execz .LBB181_346
; %bb.339:                              ;   in Loop: Header=BB181_295 Depth=1
	v_mov_b32_e32 v7, v6
	v_mov_b32_e32 v20, v8
	v_cmp_ne_u16_sdwa s1, v54, v38 src0_sel:BYTE_1 src1_sel:DWORD
	v_mov_b32_e32 v19, v7
	s_and_saveexec_b32 s22, s1
	s_cbranch_execz .LBB181_345
; %bb.340:                              ;   in Loop: Header=BB181_295 Depth=1
	v_and_b32_sdwa v5, v39, v54 dst_sel:DWORD dst_unused:UNUSED_PAD src0_sel:DWORD src1_sel:BYTE_1
	v_mov_b32_e32 v9, v6
	v_mov_b32_e32 v20, v10
	s_mov_b32 s26, exec_lo
	v_and_b32_e32 v21, 0x7f, v5
	v_mov_b32_e32 v19, v9
	v_cmpx_ne_u32_e32 0x7f, v21
	s_cbranch_execz .LBB181_344
; %bb.341:                              ;   in Loop: Header=BB181_295 Depth=1
	v_and_b32_e32 v5, 7, v5
	v_lshrrev_b32_e32 v7, 3, v21
	s_mov_b32 s27, exec_lo
	v_cmpx_gt_u32_e32 8, v21
; %bb.342:                              ;   in Loop: Header=BB181_295 Depth=1
	v_ffbh_u32_e32 v7, v5
	v_min_u32_e32 v7, 32, v7
	v_subrev_nc_u32_e32 v9, 28, v7
	v_sub_nc_u32_e32 v7, 29, v7
	v_lshlrev_b64 v[19:20], v9, v[5:6]
	v_and_b32_e32 v5, 7, v19
; %bb.343:                              ;   in Loop: Header=BB181_295 Depth=1
	s_or_b32 exec_lo, exec_lo, s27
	v_lshlrev_b32_e32 v9, 16, v54
	v_lshlrev_b32_e32 v5, 20, v5
	v_lshl_add_u32 v7, v7, 23, 0x3c000000
	v_mov_b32_e32 v19, v6
	v_and_b32_e32 v9, 0x80000000, v9
	v_or3_b32 v20, v5, v9, v7
.LBB181_344:                            ;   in Loop: Header=BB181_295 Depth=1
	s_or_b32 exec_lo, exec_lo, s26
.LBB181_345:                            ;   in Loop: Header=BB181_295 Depth=1
	s_or_b32 exec_lo, exec_lo, s22
.LBB181_346:                            ;   in Loop: Header=BB181_295 Depth=1
	s_or_b32 exec_lo, exec_lo, s21
	v_mov_b32_e32 v23, 0
	v_mov_b32_e32 v21, 0
	v_and_b32_sdwa v5, v54, v40 dst_sel:DWORD dst_unused:UNUSED_PAD src0_sel:WORD_1 src1_sel:DWORD
	v_mov_b32_e32 v24, 0
	v_mov_b32_e32 v22, 0
	s_mov_b32 s21, exec_lo
	v_cmpx_ne_u16_e32 0, v5
	s_cbranch_execz .LBB181_354
; %bb.347:                              ;   in Loop: Header=BB181_295 Depth=1
	v_bfrev_b32_e32 v21, 1
	v_mov_b32_e32 v22, 0
	s_mov_b32 s22, exec_lo
	v_cmpx_ne_u16_e32 0x80, v5
	s_cbranch_execz .LBB181_353
; %bb.348:                              ;   in Loop: Header=BB181_295 Depth=1
	v_mov_b32_e32 v21, 0x7f800001
	v_bfe_u32 v9, v54, 16, 7
	v_mov_b32_e32 v22, 0
	s_mov_b32 s26, exec_lo
	v_cmpx_ne_u32_e32 0x7f, v9
	s_cbranch_execz .LBB181_352
; %bb.349:                              ;   in Loop: Header=BB181_295 Depth=1
	v_and_b32_sdwa v5, v54, v41 dst_sel:DWORD dst_unused:UNUSED_PAD src0_sel:WORD_1 src1_sel:DWORD
	v_lshrrev_b32_e32 v7, 3, v9
	s_mov_b32 s27, exec_lo
	v_cmpx_gt_u32_e32 8, v9
; %bb.350:                              ;   in Loop: Header=BB181_295 Depth=1
	v_ffbh_u32_e32 v7, v5
	v_min_u32_e32 v7, 32, v7
	v_subrev_nc_u32_e32 v9, 28, v7
	v_sub_nc_u32_e32 v7, 29, v7
	v_lshlrev_b64 v[21:22], v9, v[5:6]
	v_and_b32_e32 v5, 7, v21
; %bb.351:                              ;   in Loop: Header=BB181_295 Depth=1
	s_or_b32 exec_lo, exec_lo, s27
	v_lshlrev_b32_sdwa v9, v42, v54 dst_sel:DWORD dst_unused:UNUSED_PAD src0_sel:DWORD src1_sel:WORD_1
	v_lshlrev_b32_e32 v5, 20, v5
	v_lshl_add_u32 v7, v7, 23, 0x3c000000
	v_and_b32_e32 v9, 0x80000000, v9
	v_or3_b32 v5, v5, v9, v7
	v_mov_b32_e32 v22, v6
	v_mov_b32_e32 v21, v5
.LBB181_352:                            ;   in Loop: Header=BB181_295 Depth=1
	s_or_b32 exec_lo, exec_lo, s26
.LBB181_353:                            ;   in Loop: Header=BB181_295 Depth=1
	s_or_b32 exec_lo, exec_lo, s22
.LBB181_354:                            ;   in Loop: Header=BB181_295 Depth=1
	s_or_b32 exec_lo, exec_lo, s21
	s_mov_b32 s21, exec_lo
	v_cmpx_lt_u32_e32 0xffffff, v54
	s_cbranch_execz .LBB181_362
; %bb.355:                              ;   in Loop: Header=BB181_295 Depth=1
	v_mov_b32_e32 v7, v6
	v_mov_b32_e32 v24, v8
	v_cmp_ne_u32_sdwa s1, v54, v38 src0_sel:BYTE_3 src1_sel:DWORD
	v_mov_b32_e32 v23, v7
	s_and_saveexec_b32 s22, s1
	s_cbranch_execz .LBB181_361
; %bb.356:                              ;   in Loop: Header=BB181_295 Depth=1
	v_mov_b32_e32 v9, v6
	v_mov_b32_e32 v24, v10
	v_bfe_u32 v55, v54, 24, 7
	s_mov_b32 s26, exec_lo
	v_mov_b32_e32 v23, v9
	v_cmpx_ne_u32_e32 0x7f, v55
	s_cbranch_execz .LBB181_360
; %bb.357:                              ;   in Loop: Header=BB181_295 Depth=1
	v_and_b32_sdwa v5, v54, v41 dst_sel:DWORD dst_unused:UNUSED_PAD src0_sel:BYTE_3 src1_sel:DWORD
	v_lshrrev_b32_e32 v7, 3, v55
	s_mov_b32 s27, exec_lo
	v_cmpx_gt_u32_e32 8, v55
; %bb.358:                              ;   in Loop: Header=BB181_295 Depth=1
	v_ffbh_u32_e32 v7, v5
	v_min_u32_e32 v7, 32, v7
	v_subrev_nc_u32_e32 v9, 28, v7
	v_sub_nc_u32_e32 v7, 29, v7
	v_lshlrev_b64 v[23:24], v9, v[5:6]
	v_and_b32_e32 v5, 7, v23
; %bb.359:                              ;   in Loop: Header=BB181_295 Depth=1
	s_or_b32 exec_lo, exec_lo, s27
	v_lshlrev_b32_sdwa v9, v42, v54 dst_sel:DWORD dst_unused:UNUSED_PAD src0_sel:DWORD src1_sel:BYTE_3
	v_lshlrev_b32_e32 v5, 20, v5
	v_lshl_add_u32 v7, v7, 23, 0x3c000000
	v_mov_b32_e32 v23, v6
	v_and_b32_e32 v9, 0x80000000, v9
	v_or3_b32 v24, v5, v9, v7
.LBB181_360:                            ;   in Loop: Header=BB181_295 Depth=1
	s_or_b32 exec_lo, exec_lo, s26
.LBB181_361:                            ;   in Loop: Header=BB181_295 Depth=1
	s_or_b32 exec_lo, exec_lo, s22
.LBB181_362:                            ;   in Loop: Header=BB181_295 Depth=1
	s_or_b32 exec_lo, exec_lo, s21
	v_or_b32_e32 v5, v20, v18
	v_or_b32_e32 v7, v19, v17
	;; [unrolled: 1-line block ×4, first 2 shown]
	s_mov_b32 s21, s18
	v_mul_f32_e32 v56, s21, v5
	v_mul_f32_e32 v57, s18, v7
	;; [unrolled: 1-line block ×4, first 2 shown]
	s_and_saveexec_b32 s22, vcc_lo
	s_cbranch_execz .LBB181_364
; %bb.363:                              ;   in Loop: Header=BB181_295 Depth=1
	v_cmp_gt_i32_e64 s1, s33, v50
	v_cndmask_b32_e64 v57, 0, v57, s1
	v_cmp_gt_i32_e64 s1, s33, v53
	v_cndmask_b32_e64 v56, 0, v56, s1
	;; [unrolled: 2-line block ×4, first 2 shown]
.LBB181_364:                            ;   in Loop: Header=BB181_295 Depth=1
	s_or_b32 exec_lo, exec_lo, s22
	global_load_dword v58, v[15:16], off offset:256
	v_mov_b32_e32 v19, 0
	v_mov_b32_e32 v17, 0
	;; [unrolled: 1-line block ×4, first 2 shown]
	s_waitcnt vmcnt(0)
	v_cmp_ne_u16_sdwa s1, v58, v6 src0_sel:BYTE_0 src1_sel:DWORD
	s_and_saveexec_b32 s22, s1
	s_cbranch_execz .LBB181_372
; %bb.365:                              ;   in Loop: Header=BB181_295 Depth=1
	v_bfrev_b32_e32 v17, 1
	v_mov_b32_e32 v18, 0
	v_cmp_ne_u16_sdwa s1, v58, v38 src0_sel:BYTE_0 src1_sel:DWORD
	s_and_saveexec_b32 s26, s1
	s_cbranch_execz .LBB181_371
; %bb.366:                              ;   in Loop: Header=BB181_295 Depth=1
	v_mov_b32_e32 v17, 0x7f800001
	v_and_b32_e32 v9, 0x7f, v58
	v_mov_b32_e32 v18, 0
	s_mov_b32 s27, exec_lo
	v_cmpx_ne_u32_e32 0x7f, v9
	s_cbranch_execz .LBB181_370
; %bb.367:                              ;   in Loop: Header=BB181_295 Depth=1
	v_and_b32_e32 v5, 7, v58
	v_lshrrev_b32_e32 v7, 3, v9
	s_mov_b32 s28, exec_lo
	v_cmpx_gt_u32_e32 8, v9
; %bb.368:                              ;   in Loop: Header=BB181_295 Depth=1
	v_ffbh_u32_e32 v7, v5
	v_min_u32_e32 v7, 32, v7
	v_subrev_nc_u32_e32 v9, 28, v7
	v_sub_nc_u32_e32 v7, 29, v7
	v_lshlrev_b64 v[17:18], v9, v[5:6]
	v_and_b32_e32 v5, 7, v17
; %bb.369:                              ;   in Loop: Header=BB181_295 Depth=1
	s_or_b32 exec_lo, exec_lo, s28
	v_lshlrev_b32_e32 v9, 24, v58
	v_lshlrev_b32_e32 v5, 20, v5
	v_lshl_add_u32 v7, v7, 23, 0x3c000000
	v_and_b32_e32 v9, 0x80000000, v9
	v_or3_b32 v5, v5, v9, v7
	v_mov_b32_e32 v18, v6
	v_mov_b32_e32 v17, v5
.LBB181_370:                            ;   in Loop: Header=BB181_295 Depth=1
	s_or_b32 exec_lo, exec_lo, s27
.LBB181_371:                            ;   in Loop: Header=BB181_295 Depth=1
	s_or_b32 exec_lo, exec_lo, s26
.LBB181_372:                            ;   in Loop: Header=BB181_295 Depth=1
	s_or_b32 exec_lo, exec_lo, s22
	v_cmp_ne_u16_sdwa s1, v58, v6 src0_sel:BYTE_1 src1_sel:DWORD
	s_and_saveexec_b32 s22, s1
	s_cbranch_execz .LBB181_380
; %bb.373:                              ;   in Loop: Header=BB181_295 Depth=1
	v_mov_b32_e32 v7, v6
	v_mov_b32_e32 v20, v8
	v_cmp_ne_u16_sdwa s1, v58, v38 src0_sel:BYTE_1 src1_sel:DWORD
	v_mov_b32_e32 v19, v7
	s_and_saveexec_b32 s26, s1
	s_cbranch_execz .LBB181_379
; %bb.374:                              ;   in Loop: Header=BB181_295 Depth=1
	v_and_b32_sdwa v5, v39, v58 dst_sel:DWORD dst_unused:UNUSED_PAD src0_sel:DWORD src1_sel:BYTE_1
	v_mov_b32_e32 v9, v6
	v_mov_b32_e32 v20, v10
	s_mov_b32 s27, exec_lo
	v_and_b32_e32 v21, 0x7f, v5
	v_mov_b32_e32 v19, v9
	v_cmpx_ne_u32_e32 0x7f, v21
	s_cbranch_execz .LBB181_378
; %bb.375:                              ;   in Loop: Header=BB181_295 Depth=1
	v_and_b32_e32 v5, 7, v5
	v_lshrrev_b32_e32 v7, 3, v21
	s_mov_b32 s28, exec_lo
	v_cmpx_gt_u32_e32 8, v21
; %bb.376:                              ;   in Loop: Header=BB181_295 Depth=1
	v_ffbh_u32_e32 v7, v5
	v_min_u32_e32 v7, 32, v7
	v_subrev_nc_u32_e32 v9, 28, v7
	v_sub_nc_u32_e32 v7, 29, v7
	v_lshlrev_b64 v[19:20], v9, v[5:6]
	v_and_b32_e32 v5, 7, v19
; %bb.377:                              ;   in Loop: Header=BB181_295 Depth=1
	s_or_b32 exec_lo, exec_lo, s28
	v_lshlrev_b32_e32 v9, 16, v58
	v_lshlrev_b32_e32 v5, 20, v5
	v_lshl_add_u32 v7, v7, 23, 0x3c000000
	v_mov_b32_e32 v19, v6
	v_and_b32_e32 v9, 0x80000000, v9
	v_or3_b32 v20, v5, v9, v7
.LBB181_378:                            ;   in Loop: Header=BB181_295 Depth=1
	s_or_b32 exec_lo, exec_lo, s27
.LBB181_379:                            ;   in Loop: Header=BB181_295 Depth=1
	s_or_b32 exec_lo, exec_lo, s26
.LBB181_380:                            ;   in Loop: Header=BB181_295 Depth=1
	s_or_b32 exec_lo, exec_lo, s22
	v_mov_b32_e32 v23, 0
	v_mov_b32_e32 v21, 0
	v_and_b32_sdwa v5, v58, v40 dst_sel:DWORD dst_unused:UNUSED_PAD src0_sel:WORD_1 src1_sel:DWORD
	v_mov_b32_e32 v24, 0
	v_mov_b32_e32 v22, 0
	s_mov_b32 s22, exec_lo
	v_cmpx_ne_u16_e32 0, v5
	s_cbranch_execz .LBB181_388
; %bb.381:                              ;   in Loop: Header=BB181_295 Depth=1
	v_bfrev_b32_e32 v21, 1
	v_mov_b32_e32 v22, 0
	s_mov_b32 s26, exec_lo
	v_cmpx_ne_u16_e32 0x80, v5
	s_cbranch_execz .LBB181_387
; %bb.382:                              ;   in Loop: Header=BB181_295 Depth=1
	v_mov_b32_e32 v21, 0x7f800001
	v_bfe_u32 v9, v58, 16, 7
	v_mov_b32_e32 v22, 0
	s_mov_b32 s27, exec_lo
	v_cmpx_ne_u32_e32 0x7f, v9
	s_cbranch_execz .LBB181_386
; %bb.383:                              ;   in Loop: Header=BB181_295 Depth=1
	v_and_b32_sdwa v5, v58, v41 dst_sel:DWORD dst_unused:UNUSED_PAD src0_sel:WORD_1 src1_sel:DWORD
	v_lshrrev_b32_e32 v7, 3, v9
	s_mov_b32 s28, exec_lo
	v_cmpx_gt_u32_e32 8, v9
; %bb.384:                              ;   in Loop: Header=BB181_295 Depth=1
	v_ffbh_u32_e32 v7, v5
	v_min_u32_e32 v7, 32, v7
	v_subrev_nc_u32_e32 v9, 28, v7
	v_sub_nc_u32_e32 v7, 29, v7
	v_lshlrev_b64 v[21:22], v9, v[5:6]
	v_and_b32_e32 v5, 7, v21
; %bb.385:                              ;   in Loop: Header=BB181_295 Depth=1
	s_or_b32 exec_lo, exec_lo, s28
	v_lshlrev_b32_sdwa v9, v42, v58 dst_sel:DWORD dst_unused:UNUSED_PAD src0_sel:DWORD src1_sel:WORD_1
	v_lshlrev_b32_e32 v5, 20, v5
	v_lshl_add_u32 v7, v7, 23, 0x3c000000
	v_and_b32_e32 v9, 0x80000000, v9
	v_or3_b32 v5, v5, v9, v7
	v_mov_b32_e32 v22, v6
	v_mov_b32_e32 v21, v5
.LBB181_386:                            ;   in Loop: Header=BB181_295 Depth=1
	s_or_b32 exec_lo, exec_lo, s27
.LBB181_387:                            ;   in Loop: Header=BB181_295 Depth=1
	s_or_b32 exec_lo, exec_lo, s26
.LBB181_388:                            ;   in Loop: Header=BB181_295 Depth=1
	s_or_b32 exec_lo, exec_lo, s22
	s_mov_b32 s22, exec_lo
	v_cmpx_lt_u32_e32 0xffffff, v58
	s_cbranch_execz .LBB181_396
; %bb.389:                              ;   in Loop: Header=BB181_295 Depth=1
	v_mov_b32_e32 v7, v6
	v_mov_b32_e32 v24, v8
	v_cmp_ne_u32_sdwa s1, v58, v38 src0_sel:BYTE_3 src1_sel:DWORD
	v_mov_b32_e32 v23, v7
	s_and_saveexec_b32 s26, s1
	s_cbranch_execz .LBB181_395
; %bb.390:                              ;   in Loop: Header=BB181_295 Depth=1
	v_mov_b32_e32 v9, v6
	v_mov_b32_e32 v24, v10
	v_bfe_u32 v59, v58, 24, 7
	s_mov_b32 s27, exec_lo
	v_mov_b32_e32 v23, v9
	v_cmpx_ne_u32_e32 0x7f, v59
	s_cbranch_execz .LBB181_394
; %bb.391:                              ;   in Loop: Header=BB181_295 Depth=1
	v_and_b32_sdwa v5, v58, v41 dst_sel:DWORD dst_unused:UNUSED_PAD src0_sel:BYTE_3 src1_sel:DWORD
	v_lshrrev_b32_e32 v7, 3, v59
	s_mov_b32 s28, exec_lo
	v_cmpx_gt_u32_e32 8, v59
; %bb.392:                              ;   in Loop: Header=BB181_295 Depth=1
	v_ffbh_u32_e32 v7, v5
	v_min_u32_e32 v7, 32, v7
	v_subrev_nc_u32_e32 v9, 28, v7
	v_sub_nc_u32_e32 v7, 29, v7
	v_lshlrev_b64 v[23:24], v9, v[5:6]
	v_and_b32_e32 v5, 7, v23
; %bb.393:                              ;   in Loop: Header=BB181_295 Depth=1
	s_or_b32 exec_lo, exec_lo, s28
	v_lshlrev_b32_sdwa v9, v42, v58 dst_sel:DWORD dst_unused:UNUSED_PAD src0_sel:DWORD src1_sel:BYTE_3
	v_lshlrev_b32_e32 v5, 20, v5
	v_lshl_add_u32 v7, v7, 23, 0x3c000000
	v_mov_b32_e32 v23, v6
	v_and_b32_e32 v9, 0x80000000, v9
	v_or3_b32 v24, v5, v9, v7
.LBB181_394:                            ;   in Loop: Header=BB181_295 Depth=1
	s_or_b32 exec_lo, exec_lo, s27
.LBB181_395:                            ;   in Loop: Header=BB181_295 Depth=1
	s_or_b32 exec_lo, exec_lo, s26
.LBB181_396:                            ;   in Loop: Header=BB181_295 Depth=1
	s_or_b32 exec_lo, exec_lo, s22
	v_or_b32_e32 v5, v20, v18
	v_or_b32_e32 v7, v19, v17
	;; [unrolled: 1-line block ×4, first 2 shown]
	v_mul_f32_e32 v60, s21, v5
	v_mul_f32_e32 v61, s18, v7
	;; [unrolled: 1-line block ×4, first 2 shown]
	s_and_saveexec_b32 s22, vcc_lo
	s_cbranch_execz .LBB181_398
; %bb.397:                              ;   in Loop: Header=BB181_295 Depth=1
	v_cmp_gt_i32_e64 s1, s33, v50
	v_cndmask_b32_e64 v61, 0, v61, s1
	v_cmp_gt_i32_e64 s1, s33, v53
	v_cndmask_b32_e64 v60, 0, v60, s1
	;; [unrolled: 2-line block ×4, first 2 shown]
.LBB181_398:                            ;   in Loop: Header=BB181_295 Depth=1
	s_or_b32 exec_lo, exec_lo, s22
	global_load_dword v62, v[15:16], off offset:384
	v_mov_b32_e32 v19, 0
	v_mov_b32_e32 v17, 0
	;; [unrolled: 1-line block ×4, first 2 shown]
	s_waitcnt vmcnt(0)
	v_cmp_ne_u16_sdwa s1, v62, v6 src0_sel:BYTE_0 src1_sel:DWORD
	s_and_saveexec_b32 s22, s1
	s_cbranch_execz .LBB181_406
; %bb.399:                              ;   in Loop: Header=BB181_295 Depth=1
	v_bfrev_b32_e32 v17, 1
	v_mov_b32_e32 v18, 0
	v_cmp_ne_u16_sdwa s1, v62, v38 src0_sel:BYTE_0 src1_sel:DWORD
	s_and_saveexec_b32 s26, s1
	s_cbranch_execz .LBB181_405
; %bb.400:                              ;   in Loop: Header=BB181_295 Depth=1
	v_mov_b32_e32 v17, 0x7f800001
	v_and_b32_e32 v9, 0x7f, v62
	v_mov_b32_e32 v18, 0
	s_mov_b32 s27, exec_lo
	v_cmpx_ne_u32_e32 0x7f, v9
	s_cbranch_execz .LBB181_404
; %bb.401:                              ;   in Loop: Header=BB181_295 Depth=1
	v_and_b32_e32 v5, 7, v62
	v_lshrrev_b32_e32 v7, 3, v9
	s_mov_b32 s28, exec_lo
	v_cmpx_gt_u32_e32 8, v9
; %bb.402:                              ;   in Loop: Header=BB181_295 Depth=1
	v_ffbh_u32_e32 v7, v5
	v_min_u32_e32 v7, 32, v7
	v_subrev_nc_u32_e32 v9, 28, v7
	v_sub_nc_u32_e32 v7, 29, v7
	v_lshlrev_b64 v[17:18], v9, v[5:6]
	v_and_b32_e32 v5, 7, v17
; %bb.403:                              ;   in Loop: Header=BB181_295 Depth=1
	s_or_b32 exec_lo, exec_lo, s28
	v_lshlrev_b32_e32 v9, 24, v62
	v_lshlrev_b32_e32 v5, 20, v5
	v_lshl_add_u32 v7, v7, 23, 0x3c000000
	v_and_b32_e32 v9, 0x80000000, v9
	v_or3_b32 v5, v5, v9, v7
	v_mov_b32_e32 v18, v6
	v_mov_b32_e32 v17, v5
.LBB181_404:                            ;   in Loop: Header=BB181_295 Depth=1
	s_or_b32 exec_lo, exec_lo, s27
.LBB181_405:                            ;   in Loop: Header=BB181_295 Depth=1
	s_or_b32 exec_lo, exec_lo, s26
.LBB181_406:                            ;   in Loop: Header=BB181_295 Depth=1
	s_or_b32 exec_lo, exec_lo, s22
	v_cmp_ne_u16_sdwa s1, v62, v6 src0_sel:BYTE_1 src1_sel:DWORD
	s_and_saveexec_b32 s22, s1
	s_cbranch_execz .LBB181_414
; %bb.407:                              ;   in Loop: Header=BB181_295 Depth=1
	v_mov_b32_e32 v7, v6
	v_mov_b32_e32 v20, v8
	v_cmp_ne_u16_sdwa s1, v62, v38 src0_sel:BYTE_1 src1_sel:DWORD
	v_mov_b32_e32 v19, v7
	s_and_saveexec_b32 s26, s1
	s_cbranch_execz .LBB181_413
; %bb.408:                              ;   in Loop: Header=BB181_295 Depth=1
	v_and_b32_sdwa v5, v39, v62 dst_sel:DWORD dst_unused:UNUSED_PAD src0_sel:DWORD src1_sel:BYTE_1
	v_mov_b32_e32 v9, v6
	v_mov_b32_e32 v20, v10
	s_mov_b32 s27, exec_lo
	v_and_b32_e32 v21, 0x7f, v5
	v_mov_b32_e32 v19, v9
	v_cmpx_ne_u32_e32 0x7f, v21
	s_cbranch_execz .LBB181_412
; %bb.409:                              ;   in Loop: Header=BB181_295 Depth=1
	v_and_b32_e32 v5, 7, v5
	v_lshrrev_b32_e32 v7, 3, v21
	s_mov_b32 s28, exec_lo
	v_cmpx_gt_u32_e32 8, v21
; %bb.410:                              ;   in Loop: Header=BB181_295 Depth=1
	v_ffbh_u32_e32 v7, v5
	v_min_u32_e32 v7, 32, v7
	v_subrev_nc_u32_e32 v9, 28, v7
	v_sub_nc_u32_e32 v7, 29, v7
	v_lshlrev_b64 v[19:20], v9, v[5:6]
	v_and_b32_e32 v5, 7, v19
; %bb.411:                              ;   in Loop: Header=BB181_295 Depth=1
	s_or_b32 exec_lo, exec_lo, s28
	v_lshlrev_b32_e32 v9, 16, v62
	v_lshlrev_b32_e32 v5, 20, v5
	v_lshl_add_u32 v7, v7, 23, 0x3c000000
	v_mov_b32_e32 v19, v6
	v_and_b32_e32 v9, 0x80000000, v9
	v_or3_b32 v20, v5, v9, v7
.LBB181_412:                            ;   in Loop: Header=BB181_295 Depth=1
	s_or_b32 exec_lo, exec_lo, s27
.LBB181_413:                            ;   in Loop: Header=BB181_295 Depth=1
	s_or_b32 exec_lo, exec_lo, s26
.LBB181_414:                            ;   in Loop: Header=BB181_295 Depth=1
	s_or_b32 exec_lo, exec_lo, s22
	v_mov_b32_e32 v23, 0
	v_mov_b32_e32 v21, 0
	v_and_b32_sdwa v5, v62, v40 dst_sel:DWORD dst_unused:UNUSED_PAD src0_sel:WORD_1 src1_sel:DWORD
	v_mov_b32_e32 v24, 0
	v_mov_b32_e32 v22, 0
	s_mov_b32 s22, exec_lo
	v_cmpx_ne_u16_e32 0, v5
	s_cbranch_execz .LBB181_422
; %bb.415:                              ;   in Loop: Header=BB181_295 Depth=1
	v_bfrev_b32_e32 v21, 1
	v_mov_b32_e32 v22, 0
	s_mov_b32 s26, exec_lo
	v_cmpx_ne_u16_e32 0x80, v5
	s_cbranch_execz .LBB181_421
; %bb.416:                              ;   in Loop: Header=BB181_295 Depth=1
	v_mov_b32_e32 v21, 0x7f800001
	v_bfe_u32 v9, v62, 16, 7
	v_mov_b32_e32 v22, 0
	s_mov_b32 s27, exec_lo
	v_cmpx_ne_u32_e32 0x7f, v9
	s_cbranch_execz .LBB181_420
; %bb.417:                              ;   in Loop: Header=BB181_295 Depth=1
	v_and_b32_sdwa v5, v62, v41 dst_sel:DWORD dst_unused:UNUSED_PAD src0_sel:WORD_1 src1_sel:DWORD
	v_lshrrev_b32_e32 v7, 3, v9
	s_mov_b32 s28, exec_lo
	v_cmpx_gt_u32_e32 8, v9
; %bb.418:                              ;   in Loop: Header=BB181_295 Depth=1
	v_ffbh_u32_e32 v7, v5
	v_min_u32_e32 v7, 32, v7
	v_subrev_nc_u32_e32 v9, 28, v7
	v_sub_nc_u32_e32 v7, 29, v7
	v_lshlrev_b64 v[21:22], v9, v[5:6]
	v_and_b32_e32 v5, 7, v21
; %bb.419:                              ;   in Loop: Header=BB181_295 Depth=1
	s_or_b32 exec_lo, exec_lo, s28
	v_lshlrev_b32_sdwa v9, v42, v62 dst_sel:DWORD dst_unused:UNUSED_PAD src0_sel:DWORD src1_sel:WORD_1
	v_lshlrev_b32_e32 v5, 20, v5
	v_lshl_add_u32 v7, v7, 23, 0x3c000000
	v_and_b32_e32 v9, 0x80000000, v9
	v_or3_b32 v5, v5, v9, v7
	v_mov_b32_e32 v22, v6
	v_mov_b32_e32 v21, v5
.LBB181_420:                            ;   in Loop: Header=BB181_295 Depth=1
	s_or_b32 exec_lo, exec_lo, s27
.LBB181_421:                            ;   in Loop: Header=BB181_295 Depth=1
	s_or_b32 exec_lo, exec_lo, s26
.LBB181_422:                            ;   in Loop: Header=BB181_295 Depth=1
	s_or_b32 exec_lo, exec_lo, s22
	s_mov_b32 s22, exec_lo
	v_cmpx_lt_u32_e32 0xffffff, v62
	s_cbranch_execz .LBB181_430
; %bb.423:                              ;   in Loop: Header=BB181_295 Depth=1
	v_mov_b32_e32 v7, v6
	v_mov_b32_e32 v24, v8
	v_cmp_ne_u32_sdwa s1, v62, v38 src0_sel:BYTE_3 src1_sel:DWORD
	v_mov_b32_e32 v23, v7
	s_and_saveexec_b32 s26, s1
	s_cbranch_execz .LBB181_429
; %bb.424:                              ;   in Loop: Header=BB181_295 Depth=1
	v_mov_b32_e32 v9, v6
	v_mov_b32_e32 v24, v10
	v_bfe_u32 v63, v62, 24, 7
	s_mov_b32 s27, exec_lo
	v_mov_b32_e32 v23, v9
	v_cmpx_ne_u32_e32 0x7f, v63
	s_cbranch_execz .LBB181_428
; %bb.425:                              ;   in Loop: Header=BB181_295 Depth=1
	v_and_b32_sdwa v5, v62, v41 dst_sel:DWORD dst_unused:UNUSED_PAD src0_sel:BYTE_3 src1_sel:DWORD
	v_lshrrev_b32_e32 v7, 3, v63
	s_mov_b32 s28, exec_lo
	v_cmpx_gt_u32_e32 8, v63
; %bb.426:                              ;   in Loop: Header=BB181_295 Depth=1
	v_ffbh_u32_e32 v7, v5
	v_min_u32_e32 v7, 32, v7
	v_subrev_nc_u32_e32 v9, 28, v7
	v_sub_nc_u32_e32 v7, 29, v7
	v_lshlrev_b64 v[23:24], v9, v[5:6]
	v_and_b32_e32 v5, 7, v23
; %bb.427:                              ;   in Loop: Header=BB181_295 Depth=1
	s_or_b32 exec_lo, exec_lo, s28
	v_lshlrev_b32_sdwa v9, v42, v62 dst_sel:DWORD dst_unused:UNUSED_PAD src0_sel:DWORD src1_sel:BYTE_3
	v_lshlrev_b32_e32 v5, 20, v5
	v_lshl_add_u32 v7, v7, 23, 0x3c000000
	v_mov_b32_e32 v23, v6
	v_and_b32_e32 v9, 0x80000000, v9
	v_or3_b32 v24, v5, v9, v7
.LBB181_428:                            ;   in Loop: Header=BB181_295 Depth=1
	s_or_b32 exec_lo, exec_lo, s27
.LBB181_429:                            ;   in Loop: Header=BB181_295 Depth=1
	s_or_b32 exec_lo, exec_lo, s26
.LBB181_430:                            ;   in Loop: Header=BB181_295 Depth=1
	s_or_b32 exec_lo, exec_lo, s22
	v_or_b32_e32 v5, v20, v18
	v_or_b32_e32 v7, v19, v17
	;; [unrolled: 1-line block ×4, first 2 shown]
	v_mul_f32_e32 v64, s21, v5
	v_mul_f32_e32 v65, s18, v7
	;; [unrolled: 1-line block ×4, first 2 shown]
	s_and_saveexec_b32 s22, vcc_lo
	s_cbranch_execz .LBB181_432
; %bb.431:                              ;   in Loop: Header=BB181_295 Depth=1
	v_cmp_gt_i32_e64 s1, s33, v50
	v_cndmask_b32_e64 v65, 0, v65, s1
	v_cmp_gt_i32_e64 s1, s33, v53
	v_cndmask_b32_e64 v64, 0, v64, s1
	;; [unrolled: 2-line block ×4, first 2 shown]
.LBB181_432:                            ;   in Loop: Header=BB181_295 Depth=1
	s_or_b32 exec_lo, exec_lo, s22
	global_load_dword v66, v[15:16], off offset:512
	v_mov_b32_e32 v19, 0
	v_mov_b32_e32 v17, 0
	;; [unrolled: 1-line block ×4, first 2 shown]
	s_waitcnt vmcnt(0)
	v_cmp_ne_u16_sdwa s1, v66, v6 src0_sel:BYTE_0 src1_sel:DWORD
	s_and_saveexec_b32 s22, s1
	s_cbranch_execz .LBB181_440
; %bb.433:                              ;   in Loop: Header=BB181_295 Depth=1
	v_bfrev_b32_e32 v17, 1
	v_mov_b32_e32 v18, 0
	v_cmp_ne_u16_sdwa s1, v66, v38 src0_sel:BYTE_0 src1_sel:DWORD
	s_and_saveexec_b32 s26, s1
	s_cbranch_execz .LBB181_439
; %bb.434:                              ;   in Loop: Header=BB181_295 Depth=1
	v_mov_b32_e32 v17, 0x7f800001
	v_and_b32_e32 v9, 0x7f, v66
	v_mov_b32_e32 v18, 0
	s_mov_b32 s27, exec_lo
	v_cmpx_ne_u32_e32 0x7f, v9
	s_cbranch_execz .LBB181_438
; %bb.435:                              ;   in Loop: Header=BB181_295 Depth=1
	v_and_b32_e32 v5, 7, v66
	v_lshrrev_b32_e32 v7, 3, v9
	s_mov_b32 s28, exec_lo
	v_cmpx_gt_u32_e32 8, v9
; %bb.436:                              ;   in Loop: Header=BB181_295 Depth=1
	v_ffbh_u32_e32 v7, v5
	v_min_u32_e32 v7, 32, v7
	v_subrev_nc_u32_e32 v9, 28, v7
	v_sub_nc_u32_e32 v7, 29, v7
	v_lshlrev_b64 v[17:18], v9, v[5:6]
	v_and_b32_e32 v5, 7, v17
; %bb.437:                              ;   in Loop: Header=BB181_295 Depth=1
	s_or_b32 exec_lo, exec_lo, s28
	v_lshlrev_b32_e32 v9, 24, v66
	v_lshlrev_b32_e32 v5, 20, v5
	v_lshl_add_u32 v7, v7, 23, 0x3c000000
	v_and_b32_e32 v9, 0x80000000, v9
	v_or3_b32 v5, v5, v9, v7
	v_mov_b32_e32 v18, v6
	v_mov_b32_e32 v17, v5
.LBB181_438:                            ;   in Loop: Header=BB181_295 Depth=1
	s_or_b32 exec_lo, exec_lo, s27
.LBB181_439:                            ;   in Loop: Header=BB181_295 Depth=1
	s_or_b32 exec_lo, exec_lo, s26
.LBB181_440:                            ;   in Loop: Header=BB181_295 Depth=1
	s_or_b32 exec_lo, exec_lo, s22
	v_cmp_ne_u16_sdwa s1, v66, v6 src0_sel:BYTE_1 src1_sel:DWORD
	s_and_saveexec_b32 s22, s1
	s_cbranch_execz .LBB181_448
; %bb.441:                              ;   in Loop: Header=BB181_295 Depth=1
	v_mov_b32_e32 v7, v6
	v_mov_b32_e32 v20, v8
	v_cmp_ne_u16_sdwa s1, v66, v38 src0_sel:BYTE_1 src1_sel:DWORD
	v_mov_b32_e32 v19, v7
	s_and_saveexec_b32 s26, s1
	s_cbranch_execz .LBB181_447
; %bb.442:                              ;   in Loop: Header=BB181_295 Depth=1
	v_and_b32_sdwa v5, v39, v66 dst_sel:DWORD dst_unused:UNUSED_PAD src0_sel:DWORD src1_sel:BYTE_1
	v_mov_b32_e32 v9, v6
	v_mov_b32_e32 v20, v10
	s_mov_b32 s27, exec_lo
	v_and_b32_e32 v21, 0x7f, v5
	v_mov_b32_e32 v19, v9
	v_cmpx_ne_u32_e32 0x7f, v21
	s_cbranch_execz .LBB181_446
; %bb.443:                              ;   in Loop: Header=BB181_295 Depth=1
	v_and_b32_e32 v5, 7, v5
	v_lshrrev_b32_e32 v7, 3, v21
	s_mov_b32 s28, exec_lo
	v_cmpx_gt_u32_e32 8, v21
; %bb.444:                              ;   in Loop: Header=BB181_295 Depth=1
	v_ffbh_u32_e32 v7, v5
	v_min_u32_e32 v7, 32, v7
	v_subrev_nc_u32_e32 v9, 28, v7
	v_sub_nc_u32_e32 v7, 29, v7
	v_lshlrev_b64 v[19:20], v9, v[5:6]
	v_and_b32_e32 v5, 7, v19
; %bb.445:                              ;   in Loop: Header=BB181_295 Depth=1
	s_or_b32 exec_lo, exec_lo, s28
	v_lshlrev_b32_e32 v9, 16, v66
	v_lshlrev_b32_e32 v5, 20, v5
	v_lshl_add_u32 v7, v7, 23, 0x3c000000
	v_mov_b32_e32 v19, v6
	v_and_b32_e32 v9, 0x80000000, v9
	v_or3_b32 v20, v5, v9, v7
.LBB181_446:                            ;   in Loop: Header=BB181_295 Depth=1
	s_or_b32 exec_lo, exec_lo, s27
.LBB181_447:                            ;   in Loop: Header=BB181_295 Depth=1
	s_or_b32 exec_lo, exec_lo, s26
.LBB181_448:                            ;   in Loop: Header=BB181_295 Depth=1
	s_or_b32 exec_lo, exec_lo, s22
	v_mov_b32_e32 v23, 0
	v_mov_b32_e32 v21, 0
	v_and_b32_sdwa v5, v66, v40 dst_sel:DWORD dst_unused:UNUSED_PAD src0_sel:WORD_1 src1_sel:DWORD
	v_mov_b32_e32 v24, 0
	v_mov_b32_e32 v22, 0
	s_mov_b32 s22, exec_lo
	v_cmpx_ne_u16_e32 0, v5
	s_cbranch_execz .LBB181_456
; %bb.449:                              ;   in Loop: Header=BB181_295 Depth=1
	v_bfrev_b32_e32 v21, 1
	v_mov_b32_e32 v22, 0
	s_mov_b32 s26, exec_lo
	v_cmpx_ne_u16_e32 0x80, v5
	s_cbranch_execz .LBB181_455
; %bb.450:                              ;   in Loop: Header=BB181_295 Depth=1
	v_mov_b32_e32 v21, 0x7f800001
	v_bfe_u32 v9, v66, 16, 7
	v_mov_b32_e32 v22, 0
	s_mov_b32 s27, exec_lo
	v_cmpx_ne_u32_e32 0x7f, v9
	s_cbranch_execz .LBB181_454
; %bb.451:                              ;   in Loop: Header=BB181_295 Depth=1
	v_and_b32_sdwa v5, v66, v41 dst_sel:DWORD dst_unused:UNUSED_PAD src0_sel:WORD_1 src1_sel:DWORD
	v_lshrrev_b32_e32 v7, 3, v9
	s_mov_b32 s28, exec_lo
	v_cmpx_gt_u32_e32 8, v9
; %bb.452:                              ;   in Loop: Header=BB181_295 Depth=1
	v_ffbh_u32_e32 v7, v5
	v_min_u32_e32 v7, 32, v7
	v_subrev_nc_u32_e32 v9, 28, v7
	v_sub_nc_u32_e32 v7, 29, v7
	v_lshlrev_b64 v[21:22], v9, v[5:6]
	v_and_b32_e32 v5, 7, v21
; %bb.453:                              ;   in Loop: Header=BB181_295 Depth=1
	s_or_b32 exec_lo, exec_lo, s28
	v_lshlrev_b32_sdwa v9, v42, v66 dst_sel:DWORD dst_unused:UNUSED_PAD src0_sel:DWORD src1_sel:WORD_1
	v_lshlrev_b32_e32 v5, 20, v5
	v_lshl_add_u32 v7, v7, 23, 0x3c000000
	v_and_b32_e32 v9, 0x80000000, v9
	v_or3_b32 v5, v5, v9, v7
	v_mov_b32_e32 v22, v6
	v_mov_b32_e32 v21, v5
.LBB181_454:                            ;   in Loop: Header=BB181_295 Depth=1
	s_or_b32 exec_lo, exec_lo, s27
.LBB181_455:                            ;   in Loop: Header=BB181_295 Depth=1
	s_or_b32 exec_lo, exec_lo, s26
.LBB181_456:                            ;   in Loop: Header=BB181_295 Depth=1
	s_or_b32 exec_lo, exec_lo, s22
	s_mov_b32 s22, exec_lo
	v_cmpx_lt_u32_e32 0xffffff, v66
	s_cbranch_execz .LBB181_464
; %bb.457:                              ;   in Loop: Header=BB181_295 Depth=1
	v_mov_b32_e32 v7, v6
	v_mov_b32_e32 v24, v8
	v_cmp_ne_u32_sdwa s1, v66, v38 src0_sel:BYTE_3 src1_sel:DWORD
	v_mov_b32_e32 v23, v7
	s_and_saveexec_b32 s26, s1
	s_cbranch_execz .LBB181_463
; %bb.458:                              ;   in Loop: Header=BB181_295 Depth=1
	v_mov_b32_e32 v9, v6
	v_mov_b32_e32 v24, v10
	v_bfe_u32 v67, v66, 24, 7
	s_mov_b32 s27, exec_lo
	v_mov_b32_e32 v23, v9
	v_cmpx_ne_u32_e32 0x7f, v67
	s_cbranch_execz .LBB181_462
; %bb.459:                              ;   in Loop: Header=BB181_295 Depth=1
	v_and_b32_sdwa v5, v66, v41 dst_sel:DWORD dst_unused:UNUSED_PAD src0_sel:BYTE_3 src1_sel:DWORD
	v_lshrrev_b32_e32 v7, 3, v67
	s_mov_b32 s28, exec_lo
	v_cmpx_gt_u32_e32 8, v67
; %bb.460:                              ;   in Loop: Header=BB181_295 Depth=1
	v_ffbh_u32_e32 v7, v5
	v_min_u32_e32 v7, 32, v7
	v_subrev_nc_u32_e32 v9, 28, v7
	v_sub_nc_u32_e32 v7, 29, v7
	v_lshlrev_b64 v[23:24], v9, v[5:6]
	v_and_b32_e32 v5, 7, v23
; %bb.461:                              ;   in Loop: Header=BB181_295 Depth=1
	s_or_b32 exec_lo, exec_lo, s28
	v_lshlrev_b32_sdwa v9, v42, v66 dst_sel:DWORD dst_unused:UNUSED_PAD src0_sel:DWORD src1_sel:BYTE_3
	v_lshlrev_b32_e32 v5, 20, v5
	v_lshl_add_u32 v7, v7, 23, 0x3c000000
	v_mov_b32_e32 v23, v6
	v_and_b32_e32 v9, 0x80000000, v9
	v_or3_b32 v24, v5, v9, v7
.LBB181_462:                            ;   in Loop: Header=BB181_295 Depth=1
	s_or_b32 exec_lo, exec_lo, s27
.LBB181_463:                            ;   in Loop: Header=BB181_295 Depth=1
	s_or_b32 exec_lo, exec_lo, s26
.LBB181_464:                            ;   in Loop: Header=BB181_295 Depth=1
	s_or_b32 exec_lo, exec_lo, s22
	v_or_b32_e32 v5, v20, v18
	v_or_b32_e32 v7, v19, v17
	;; [unrolled: 1-line block ×4, first 2 shown]
	v_mul_f32_e32 v68, s21, v5
	v_mul_f32_e32 v69, s18, v7
	;; [unrolled: 1-line block ×4, first 2 shown]
	s_and_saveexec_b32 s22, vcc_lo
	s_cbranch_execz .LBB181_466
; %bb.465:                              ;   in Loop: Header=BB181_295 Depth=1
	v_cmp_gt_i32_e64 s1, s33, v50
	v_cndmask_b32_e64 v69, 0, v69, s1
	v_cmp_gt_i32_e64 s1, s33, v53
	v_cndmask_b32_e64 v68, 0, v68, s1
	;; [unrolled: 2-line block ×4, first 2 shown]
.LBB181_466:                            ;   in Loop: Header=BB181_295 Depth=1
	s_or_b32 exec_lo, exec_lo, s22
	global_load_dword v70, v[15:16], off offset:640
	v_mov_b32_e32 v19, 0
	v_mov_b32_e32 v17, 0
	;; [unrolled: 1-line block ×4, first 2 shown]
	s_waitcnt vmcnt(0)
	v_cmp_ne_u16_sdwa s1, v70, v6 src0_sel:BYTE_0 src1_sel:DWORD
	s_and_saveexec_b32 s22, s1
	s_cbranch_execz .LBB181_474
; %bb.467:                              ;   in Loop: Header=BB181_295 Depth=1
	v_bfrev_b32_e32 v17, 1
	v_mov_b32_e32 v18, 0
	v_cmp_ne_u16_sdwa s1, v70, v38 src0_sel:BYTE_0 src1_sel:DWORD
	s_and_saveexec_b32 s26, s1
	s_cbranch_execz .LBB181_473
; %bb.468:                              ;   in Loop: Header=BB181_295 Depth=1
	v_mov_b32_e32 v17, 0x7f800001
	v_and_b32_e32 v9, 0x7f, v70
	v_mov_b32_e32 v18, 0
	s_mov_b32 s27, exec_lo
	v_cmpx_ne_u32_e32 0x7f, v9
	s_cbranch_execz .LBB181_472
; %bb.469:                              ;   in Loop: Header=BB181_295 Depth=1
	v_and_b32_e32 v5, 7, v70
	v_lshrrev_b32_e32 v7, 3, v9
	s_mov_b32 s28, exec_lo
	v_cmpx_gt_u32_e32 8, v9
; %bb.470:                              ;   in Loop: Header=BB181_295 Depth=1
	v_ffbh_u32_e32 v7, v5
	v_min_u32_e32 v7, 32, v7
	v_subrev_nc_u32_e32 v9, 28, v7
	v_sub_nc_u32_e32 v7, 29, v7
	v_lshlrev_b64 v[17:18], v9, v[5:6]
	v_and_b32_e32 v5, 7, v17
; %bb.471:                              ;   in Loop: Header=BB181_295 Depth=1
	s_or_b32 exec_lo, exec_lo, s28
	v_lshlrev_b32_e32 v9, 24, v70
	v_lshlrev_b32_e32 v5, 20, v5
	v_lshl_add_u32 v7, v7, 23, 0x3c000000
	v_and_b32_e32 v9, 0x80000000, v9
	v_or3_b32 v5, v5, v9, v7
	v_mov_b32_e32 v18, v6
	v_mov_b32_e32 v17, v5
.LBB181_472:                            ;   in Loop: Header=BB181_295 Depth=1
	s_or_b32 exec_lo, exec_lo, s27
.LBB181_473:                            ;   in Loop: Header=BB181_295 Depth=1
	s_or_b32 exec_lo, exec_lo, s26
.LBB181_474:                            ;   in Loop: Header=BB181_295 Depth=1
	s_or_b32 exec_lo, exec_lo, s22
	v_cmp_ne_u16_sdwa s1, v70, v6 src0_sel:BYTE_1 src1_sel:DWORD
	s_and_saveexec_b32 s22, s1
	s_cbranch_execz .LBB181_482
; %bb.475:                              ;   in Loop: Header=BB181_295 Depth=1
	v_mov_b32_e32 v7, v6
	v_mov_b32_e32 v20, v8
	v_cmp_ne_u16_sdwa s1, v70, v38 src0_sel:BYTE_1 src1_sel:DWORD
	v_mov_b32_e32 v19, v7
	s_and_saveexec_b32 s26, s1
	s_cbranch_execz .LBB181_481
; %bb.476:                              ;   in Loop: Header=BB181_295 Depth=1
	v_and_b32_sdwa v5, v39, v70 dst_sel:DWORD dst_unused:UNUSED_PAD src0_sel:DWORD src1_sel:BYTE_1
	v_mov_b32_e32 v9, v6
	v_mov_b32_e32 v20, v10
	s_mov_b32 s27, exec_lo
	v_and_b32_e32 v21, 0x7f, v5
	v_mov_b32_e32 v19, v9
	v_cmpx_ne_u32_e32 0x7f, v21
	s_cbranch_execz .LBB181_480
; %bb.477:                              ;   in Loop: Header=BB181_295 Depth=1
	v_and_b32_e32 v5, 7, v5
	v_lshrrev_b32_e32 v7, 3, v21
	s_mov_b32 s28, exec_lo
	v_cmpx_gt_u32_e32 8, v21
; %bb.478:                              ;   in Loop: Header=BB181_295 Depth=1
	v_ffbh_u32_e32 v7, v5
	v_min_u32_e32 v7, 32, v7
	v_subrev_nc_u32_e32 v9, 28, v7
	v_sub_nc_u32_e32 v7, 29, v7
	v_lshlrev_b64 v[19:20], v9, v[5:6]
	v_and_b32_e32 v5, 7, v19
; %bb.479:                              ;   in Loop: Header=BB181_295 Depth=1
	s_or_b32 exec_lo, exec_lo, s28
	v_lshlrev_b32_e32 v9, 16, v70
	v_lshlrev_b32_e32 v5, 20, v5
	v_lshl_add_u32 v7, v7, 23, 0x3c000000
	v_mov_b32_e32 v19, v6
	v_and_b32_e32 v9, 0x80000000, v9
	v_or3_b32 v20, v5, v9, v7
.LBB181_480:                            ;   in Loop: Header=BB181_295 Depth=1
	s_or_b32 exec_lo, exec_lo, s27
.LBB181_481:                            ;   in Loop: Header=BB181_295 Depth=1
	s_or_b32 exec_lo, exec_lo, s26
.LBB181_482:                            ;   in Loop: Header=BB181_295 Depth=1
	s_or_b32 exec_lo, exec_lo, s22
	v_mov_b32_e32 v23, 0
	v_mov_b32_e32 v21, 0
	v_and_b32_sdwa v5, v70, v40 dst_sel:DWORD dst_unused:UNUSED_PAD src0_sel:WORD_1 src1_sel:DWORD
	v_mov_b32_e32 v24, 0
	v_mov_b32_e32 v22, 0
	s_mov_b32 s22, exec_lo
	v_cmpx_ne_u16_e32 0, v5
	s_cbranch_execz .LBB181_490
; %bb.483:                              ;   in Loop: Header=BB181_295 Depth=1
	v_bfrev_b32_e32 v21, 1
	v_mov_b32_e32 v22, 0
	s_mov_b32 s26, exec_lo
	v_cmpx_ne_u16_e32 0x80, v5
	s_cbranch_execz .LBB181_489
; %bb.484:                              ;   in Loop: Header=BB181_295 Depth=1
	v_mov_b32_e32 v21, 0x7f800001
	v_bfe_u32 v9, v70, 16, 7
	v_mov_b32_e32 v22, 0
	s_mov_b32 s27, exec_lo
	v_cmpx_ne_u32_e32 0x7f, v9
	s_cbranch_execz .LBB181_488
; %bb.485:                              ;   in Loop: Header=BB181_295 Depth=1
	v_and_b32_sdwa v5, v70, v41 dst_sel:DWORD dst_unused:UNUSED_PAD src0_sel:WORD_1 src1_sel:DWORD
	v_lshrrev_b32_e32 v7, 3, v9
	s_mov_b32 s28, exec_lo
	v_cmpx_gt_u32_e32 8, v9
; %bb.486:                              ;   in Loop: Header=BB181_295 Depth=1
	v_ffbh_u32_e32 v7, v5
	v_min_u32_e32 v7, 32, v7
	v_subrev_nc_u32_e32 v9, 28, v7
	v_sub_nc_u32_e32 v7, 29, v7
	v_lshlrev_b64 v[21:22], v9, v[5:6]
	v_and_b32_e32 v5, 7, v21
; %bb.487:                              ;   in Loop: Header=BB181_295 Depth=1
	s_or_b32 exec_lo, exec_lo, s28
	v_lshlrev_b32_sdwa v9, v42, v70 dst_sel:DWORD dst_unused:UNUSED_PAD src0_sel:DWORD src1_sel:WORD_1
	v_lshlrev_b32_e32 v5, 20, v5
	v_lshl_add_u32 v7, v7, 23, 0x3c000000
	v_and_b32_e32 v9, 0x80000000, v9
	v_or3_b32 v5, v5, v9, v7
	v_mov_b32_e32 v22, v6
	v_mov_b32_e32 v21, v5
.LBB181_488:                            ;   in Loop: Header=BB181_295 Depth=1
	s_or_b32 exec_lo, exec_lo, s27
.LBB181_489:                            ;   in Loop: Header=BB181_295 Depth=1
	s_or_b32 exec_lo, exec_lo, s26
.LBB181_490:                            ;   in Loop: Header=BB181_295 Depth=1
	s_or_b32 exec_lo, exec_lo, s22
	s_mov_b32 s22, exec_lo
	v_cmpx_lt_u32_e32 0xffffff, v70
	s_cbranch_execz .LBB181_498
; %bb.491:                              ;   in Loop: Header=BB181_295 Depth=1
	v_mov_b32_e32 v7, v6
	v_mov_b32_e32 v24, v8
	v_cmp_ne_u32_sdwa s1, v70, v38 src0_sel:BYTE_3 src1_sel:DWORD
	v_mov_b32_e32 v23, v7
	s_and_saveexec_b32 s26, s1
	s_cbranch_execz .LBB181_497
; %bb.492:                              ;   in Loop: Header=BB181_295 Depth=1
	v_mov_b32_e32 v9, v6
	v_mov_b32_e32 v24, v10
	v_bfe_u32 v71, v70, 24, 7
	s_mov_b32 s27, exec_lo
	v_mov_b32_e32 v23, v9
	v_cmpx_ne_u32_e32 0x7f, v71
	s_cbranch_execz .LBB181_496
; %bb.493:                              ;   in Loop: Header=BB181_295 Depth=1
	v_and_b32_sdwa v5, v70, v41 dst_sel:DWORD dst_unused:UNUSED_PAD src0_sel:BYTE_3 src1_sel:DWORD
	v_lshrrev_b32_e32 v7, 3, v71
	s_mov_b32 s28, exec_lo
	v_cmpx_gt_u32_e32 8, v71
; %bb.494:                              ;   in Loop: Header=BB181_295 Depth=1
	v_ffbh_u32_e32 v7, v5
	v_min_u32_e32 v7, 32, v7
	v_subrev_nc_u32_e32 v9, 28, v7
	v_sub_nc_u32_e32 v7, 29, v7
	v_lshlrev_b64 v[23:24], v9, v[5:6]
	v_and_b32_e32 v5, 7, v23
; %bb.495:                              ;   in Loop: Header=BB181_295 Depth=1
	s_or_b32 exec_lo, exec_lo, s28
	v_lshlrev_b32_sdwa v9, v42, v70 dst_sel:DWORD dst_unused:UNUSED_PAD src0_sel:DWORD src1_sel:BYTE_3
	v_lshlrev_b32_e32 v5, 20, v5
	v_lshl_add_u32 v7, v7, 23, 0x3c000000
	v_mov_b32_e32 v23, v6
	v_and_b32_e32 v9, 0x80000000, v9
	v_or3_b32 v24, v5, v9, v7
.LBB181_496:                            ;   in Loop: Header=BB181_295 Depth=1
	s_or_b32 exec_lo, exec_lo, s27
.LBB181_497:                            ;   in Loop: Header=BB181_295 Depth=1
	s_or_b32 exec_lo, exec_lo, s26
.LBB181_498:                            ;   in Loop: Header=BB181_295 Depth=1
	s_or_b32 exec_lo, exec_lo, s22
	v_or_b32_e32 v5, v20, v18
	v_or_b32_e32 v7, v19, v17
	;; [unrolled: 1-line block ×4, first 2 shown]
	v_mul_f32_e32 v72, s21, v5
	v_mul_f32_e32 v73, s18, v7
	;; [unrolled: 1-line block ×4, first 2 shown]
	s_and_saveexec_b32 s22, vcc_lo
	s_cbranch_execz .LBB181_500
; %bb.499:                              ;   in Loop: Header=BB181_295 Depth=1
	v_cmp_gt_i32_e64 s1, s33, v50
	v_cndmask_b32_e64 v73, 0, v73, s1
	v_cmp_gt_i32_e64 s1, s33, v53
	v_cndmask_b32_e64 v72, 0, v72, s1
	;; [unrolled: 2-line block ×4, first 2 shown]
.LBB181_500:                            ;   in Loop: Header=BB181_295 Depth=1
	s_or_b32 exec_lo, exec_lo, s22
	global_load_dword v74, v[15:16], off offset:768
	v_mov_b32_e32 v19, 0
	v_mov_b32_e32 v17, 0
	;; [unrolled: 1-line block ×4, first 2 shown]
	s_waitcnt vmcnt(0)
	v_cmp_ne_u16_sdwa s1, v74, v6 src0_sel:BYTE_0 src1_sel:DWORD
	s_and_saveexec_b32 s22, s1
	s_cbranch_execz .LBB181_508
; %bb.501:                              ;   in Loop: Header=BB181_295 Depth=1
	v_bfrev_b32_e32 v17, 1
	v_mov_b32_e32 v18, 0
	v_cmp_ne_u16_sdwa s1, v74, v38 src0_sel:BYTE_0 src1_sel:DWORD
	s_and_saveexec_b32 s26, s1
	s_cbranch_execz .LBB181_507
; %bb.502:                              ;   in Loop: Header=BB181_295 Depth=1
	v_mov_b32_e32 v17, 0x7f800001
	v_and_b32_e32 v9, 0x7f, v74
	v_mov_b32_e32 v18, 0
	s_mov_b32 s27, exec_lo
	v_cmpx_ne_u32_e32 0x7f, v9
	s_cbranch_execz .LBB181_506
; %bb.503:                              ;   in Loop: Header=BB181_295 Depth=1
	v_and_b32_e32 v5, 7, v74
	v_lshrrev_b32_e32 v7, 3, v9
	s_mov_b32 s28, exec_lo
	v_cmpx_gt_u32_e32 8, v9
; %bb.504:                              ;   in Loop: Header=BB181_295 Depth=1
	v_ffbh_u32_e32 v7, v5
	v_min_u32_e32 v7, 32, v7
	v_subrev_nc_u32_e32 v9, 28, v7
	v_sub_nc_u32_e32 v7, 29, v7
	v_lshlrev_b64 v[17:18], v9, v[5:6]
	v_and_b32_e32 v5, 7, v17
; %bb.505:                              ;   in Loop: Header=BB181_295 Depth=1
	s_or_b32 exec_lo, exec_lo, s28
	v_lshlrev_b32_e32 v9, 24, v74
	v_lshlrev_b32_e32 v5, 20, v5
	v_lshl_add_u32 v7, v7, 23, 0x3c000000
	v_and_b32_e32 v9, 0x80000000, v9
	v_or3_b32 v5, v5, v9, v7
	v_mov_b32_e32 v18, v6
	v_mov_b32_e32 v17, v5
.LBB181_506:                            ;   in Loop: Header=BB181_295 Depth=1
	s_or_b32 exec_lo, exec_lo, s27
.LBB181_507:                            ;   in Loop: Header=BB181_295 Depth=1
	s_or_b32 exec_lo, exec_lo, s26
.LBB181_508:                            ;   in Loop: Header=BB181_295 Depth=1
	s_or_b32 exec_lo, exec_lo, s22
	v_cmp_ne_u16_sdwa s1, v74, v6 src0_sel:BYTE_1 src1_sel:DWORD
	s_and_saveexec_b32 s22, s1
	s_cbranch_execz .LBB181_516
; %bb.509:                              ;   in Loop: Header=BB181_295 Depth=1
	v_mov_b32_e32 v7, v6
	v_mov_b32_e32 v20, v8
	v_cmp_ne_u16_sdwa s1, v74, v38 src0_sel:BYTE_1 src1_sel:DWORD
	v_mov_b32_e32 v19, v7
	s_and_saveexec_b32 s26, s1
	s_cbranch_execz .LBB181_515
; %bb.510:                              ;   in Loop: Header=BB181_295 Depth=1
	v_and_b32_sdwa v5, v39, v74 dst_sel:DWORD dst_unused:UNUSED_PAD src0_sel:DWORD src1_sel:BYTE_1
	v_mov_b32_e32 v9, v6
	v_mov_b32_e32 v20, v10
	s_mov_b32 s27, exec_lo
	v_and_b32_e32 v21, 0x7f, v5
	v_mov_b32_e32 v19, v9
	v_cmpx_ne_u32_e32 0x7f, v21
	s_cbranch_execz .LBB181_514
; %bb.511:                              ;   in Loop: Header=BB181_295 Depth=1
	v_and_b32_e32 v5, 7, v5
	v_lshrrev_b32_e32 v7, 3, v21
	s_mov_b32 s28, exec_lo
	v_cmpx_gt_u32_e32 8, v21
; %bb.512:                              ;   in Loop: Header=BB181_295 Depth=1
	v_ffbh_u32_e32 v7, v5
	v_min_u32_e32 v7, 32, v7
	v_subrev_nc_u32_e32 v9, 28, v7
	v_sub_nc_u32_e32 v7, 29, v7
	v_lshlrev_b64 v[19:20], v9, v[5:6]
	v_and_b32_e32 v5, 7, v19
; %bb.513:                              ;   in Loop: Header=BB181_295 Depth=1
	s_or_b32 exec_lo, exec_lo, s28
	v_lshlrev_b32_e32 v9, 16, v74
	v_lshlrev_b32_e32 v5, 20, v5
	v_lshl_add_u32 v7, v7, 23, 0x3c000000
	v_mov_b32_e32 v19, v6
	v_and_b32_e32 v9, 0x80000000, v9
	v_or3_b32 v20, v5, v9, v7
.LBB181_514:                            ;   in Loop: Header=BB181_295 Depth=1
	s_or_b32 exec_lo, exec_lo, s27
.LBB181_515:                            ;   in Loop: Header=BB181_295 Depth=1
	s_or_b32 exec_lo, exec_lo, s26
.LBB181_516:                            ;   in Loop: Header=BB181_295 Depth=1
	s_or_b32 exec_lo, exec_lo, s22
	v_mov_b32_e32 v23, 0
	v_mov_b32_e32 v21, 0
	v_and_b32_sdwa v5, v74, v40 dst_sel:DWORD dst_unused:UNUSED_PAD src0_sel:WORD_1 src1_sel:DWORD
	v_mov_b32_e32 v24, 0
	v_mov_b32_e32 v22, 0
	s_mov_b32 s22, exec_lo
	v_cmpx_ne_u16_e32 0, v5
	s_cbranch_execz .LBB181_524
; %bb.517:                              ;   in Loop: Header=BB181_295 Depth=1
	v_bfrev_b32_e32 v21, 1
	v_mov_b32_e32 v22, 0
	s_mov_b32 s26, exec_lo
	v_cmpx_ne_u16_e32 0x80, v5
	s_cbranch_execz .LBB181_523
; %bb.518:                              ;   in Loop: Header=BB181_295 Depth=1
	v_mov_b32_e32 v21, 0x7f800001
	v_bfe_u32 v9, v74, 16, 7
	v_mov_b32_e32 v22, 0
	s_mov_b32 s27, exec_lo
	v_cmpx_ne_u32_e32 0x7f, v9
	s_cbranch_execz .LBB181_522
; %bb.519:                              ;   in Loop: Header=BB181_295 Depth=1
	v_and_b32_sdwa v5, v74, v41 dst_sel:DWORD dst_unused:UNUSED_PAD src0_sel:WORD_1 src1_sel:DWORD
	v_lshrrev_b32_e32 v7, 3, v9
	s_mov_b32 s28, exec_lo
	v_cmpx_gt_u32_e32 8, v9
; %bb.520:                              ;   in Loop: Header=BB181_295 Depth=1
	v_ffbh_u32_e32 v7, v5
	v_min_u32_e32 v7, 32, v7
	v_subrev_nc_u32_e32 v9, 28, v7
	v_sub_nc_u32_e32 v7, 29, v7
	v_lshlrev_b64 v[21:22], v9, v[5:6]
	v_and_b32_e32 v5, 7, v21
; %bb.521:                              ;   in Loop: Header=BB181_295 Depth=1
	s_or_b32 exec_lo, exec_lo, s28
	v_lshlrev_b32_sdwa v9, v42, v74 dst_sel:DWORD dst_unused:UNUSED_PAD src0_sel:DWORD src1_sel:WORD_1
	v_lshlrev_b32_e32 v5, 20, v5
	v_lshl_add_u32 v7, v7, 23, 0x3c000000
	v_and_b32_e32 v9, 0x80000000, v9
	v_or3_b32 v5, v5, v9, v7
	v_mov_b32_e32 v22, v6
	v_mov_b32_e32 v21, v5
.LBB181_522:                            ;   in Loop: Header=BB181_295 Depth=1
	s_or_b32 exec_lo, exec_lo, s27
.LBB181_523:                            ;   in Loop: Header=BB181_295 Depth=1
	s_or_b32 exec_lo, exec_lo, s26
.LBB181_524:                            ;   in Loop: Header=BB181_295 Depth=1
	s_or_b32 exec_lo, exec_lo, s22
	s_mov_b32 s22, exec_lo
	v_cmpx_lt_u32_e32 0xffffff, v74
	s_cbranch_execz .LBB181_532
; %bb.525:                              ;   in Loop: Header=BB181_295 Depth=1
	v_mov_b32_e32 v7, v6
	v_mov_b32_e32 v24, v8
	v_cmp_ne_u32_sdwa s1, v74, v38 src0_sel:BYTE_3 src1_sel:DWORD
	v_mov_b32_e32 v23, v7
	s_and_saveexec_b32 s26, s1
	s_cbranch_execz .LBB181_531
; %bb.526:                              ;   in Loop: Header=BB181_295 Depth=1
	v_mov_b32_e32 v9, v6
	v_mov_b32_e32 v24, v10
	v_bfe_u32 v75, v74, 24, 7
	s_mov_b32 s27, exec_lo
	v_mov_b32_e32 v23, v9
	v_cmpx_ne_u32_e32 0x7f, v75
	s_cbranch_execz .LBB181_530
; %bb.527:                              ;   in Loop: Header=BB181_295 Depth=1
	v_and_b32_sdwa v5, v74, v41 dst_sel:DWORD dst_unused:UNUSED_PAD src0_sel:BYTE_3 src1_sel:DWORD
	v_lshrrev_b32_e32 v7, 3, v75
	s_mov_b32 s28, exec_lo
	v_cmpx_gt_u32_e32 8, v75
; %bb.528:                              ;   in Loop: Header=BB181_295 Depth=1
	v_ffbh_u32_e32 v7, v5
	v_min_u32_e32 v7, 32, v7
	v_subrev_nc_u32_e32 v9, 28, v7
	v_sub_nc_u32_e32 v7, 29, v7
	v_lshlrev_b64 v[23:24], v9, v[5:6]
	v_and_b32_e32 v5, 7, v23
; %bb.529:                              ;   in Loop: Header=BB181_295 Depth=1
	s_or_b32 exec_lo, exec_lo, s28
	v_lshlrev_b32_sdwa v9, v42, v74 dst_sel:DWORD dst_unused:UNUSED_PAD src0_sel:DWORD src1_sel:BYTE_3
	v_lshlrev_b32_e32 v5, 20, v5
	v_lshl_add_u32 v7, v7, 23, 0x3c000000
	v_mov_b32_e32 v23, v6
	v_and_b32_e32 v9, 0x80000000, v9
	v_or3_b32 v24, v5, v9, v7
.LBB181_530:                            ;   in Loop: Header=BB181_295 Depth=1
	s_or_b32 exec_lo, exec_lo, s27
.LBB181_531:                            ;   in Loop: Header=BB181_295 Depth=1
	s_or_b32 exec_lo, exec_lo, s26
.LBB181_532:                            ;   in Loop: Header=BB181_295 Depth=1
	s_or_b32 exec_lo, exec_lo, s22
	v_or_b32_e32 v5, v20, v18
	v_or_b32_e32 v7, v19, v17
	;; [unrolled: 1-line block ×4, first 2 shown]
	v_mul_f32_e32 v74, s21, v5
	v_mul_f32_e32 v75, s18, v7
	;; [unrolled: 1-line block ×4, first 2 shown]
	s_and_saveexec_b32 s22, vcc_lo
	s_cbranch_execz .LBB181_534
; %bb.533:                              ;   in Loop: Header=BB181_295 Depth=1
	v_cmp_gt_i32_e64 s1, s33, v50
	v_cndmask_b32_e64 v75, 0, v75, s1
	v_cmp_gt_i32_e64 s1, s33, v53
	v_cndmask_b32_e64 v74, 0, v74, s1
	v_cmp_gt_i32_e64 s1, s33, v52
	v_cndmask_b32_e64 v24, 0, v24, s1
	v_cmp_gt_i32_e64 s1, s33, v51
	v_cndmask_b32_e64 v23, 0, v23, s1
.LBB181_534:                            ;   in Loop: Header=BB181_295 Depth=1
	s_or_b32 exec_lo, exec_lo, s22
	global_load_dword v76, v[15:16], off offset:896
	v_mov_b32_e32 v17, 0
	v_mov_b32_e32 v15, 0
	;; [unrolled: 1-line block ×4, first 2 shown]
	s_waitcnt vmcnt(0)
	v_cmp_ne_u16_sdwa s1, v76, v6 src0_sel:BYTE_0 src1_sel:DWORD
	s_and_saveexec_b32 s22, s1
	s_cbranch_execz .LBB181_542
; %bb.535:                              ;   in Loop: Header=BB181_295 Depth=1
	v_bfrev_b32_e32 v15, 1
	v_mov_b32_e32 v16, 0
	v_cmp_ne_u16_sdwa s1, v76, v38 src0_sel:BYTE_0 src1_sel:DWORD
	s_and_saveexec_b32 s26, s1
	s_cbranch_execz .LBB181_541
; %bb.536:                              ;   in Loop: Header=BB181_295 Depth=1
	v_mov_b32_e32 v15, 0x7f800001
	v_and_b32_e32 v9, 0x7f, v76
	v_mov_b32_e32 v16, 0
	s_mov_b32 s27, exec_lo
	v_cmpx_ne_u32_e32 0x7f, v9
	s_cbranch_execz .LBB181_540
; %bb.537:                              ;   in Loop: Header=BB181_295 Depth=1
	v_and_b32_e32 v5, 7, v76
	v_lshrrev_b32_e32 v7, 3, v9
	s_mov_b32 s28, exec_lo
	v_cmpx_gt_u32_e32 8, v9
; %bb.538:                              ;   in Loop: Header=BB181_295 Depth=1
	v_ffbh_u32_e32 v7, v5
	v_min_u32_e32 v7, 32, v7
	v_subrev_nc_u32_e32 v9, 28, v7
	v_sub_nc_u32_e32 v7, 29, v7
	v_lshlrev_b64 v[15:16], v9, v[5:6]
	v_and_b32_e32 v5, 7, v15
; %bb.539:                              ;   in Loop: Header=BB181_295 Depth=1
	s_or_b32 exec_lo, exec_lo, s28
	v_lshlrev_b32_e32 v9, 24, v76
	v_lshlrev_b32_e32 v5, 20, v5
	v_lshl_add_u32 v7, v7, 23, 0x3c000000
	v_and_b32_e32 v9, 0x80000000, v9
	v_or3_b32 v5, v5, v9, v7
	v_mov_b32_e32 v16, v6
	v_mov_b32_e32 v15, v5
.LBB181_540:                            ;   in Loop: Header=BB181_295 Depth=1
	s_or_b32 exec_lo, exec_lo, s27
.LBB181_541:                            ;   in Loop: Header=BB181_295 Depth=1
	s_or_b32 exec_lo, exec_lo, s26
.LBB181_542:                            ;   in Loop: Header=BB181_295 Depth=1
	s_or_b32 exec_lo, exec_lo, s22
	v_cmp_ne_u16_sdwa s1, v76, v6 src0_sel:BYTE_1 src1_sel:DWORD
	s_and_saveexec_b32 s22, s1
	s_cbranch_execz .LBB181_550
; %bb.543:                              ;   in Loop: Header=BB181_295 Depth=1
	v_mov_b32_e32 v7, v6
	v_mov_b32_e32 v18, v8
	v_cmp_ne_u16_sdwa s1, v76, v38 src0_sel:BYTE_1 src1_sel:DWORD
	v_mov_b32_e32 v17, v7
	s_and_saveexec_b32 s26, s1
	s_cbranch_execz .LBB181_549
; %bb.544:                              ;   in Loop: Header=BB181_295 Depth=1
	v_and_b32_sdwa v5, v39, v76 dst_sel:DWORD dst_unused:UNUSED_PAD src0_sel:DWORD src1_sel:BYTE_1
	v_mov_b32_e32 v9, v6
	v_mov_b32_e32 v18, v10
	s_mov_b32 s27, exec_lo
	v_and_b32_e32 v19, 0x7f, v5
	v_mov_b32_e32 v17, v9
	v_cmpx_ne_u32_e32 0x7f, v19
	s_cbranch_execz .LBB181_548
; %bb.545:                              ;   in Loop: Header=BB181_295 Depth=1
	v_and_b32_e32 v5, 7, v5
	v_lshrrev_b32_e32 v7, 3, v19
	s_mov_b32 s28, exec_lo
	v_cmpx_gt_u32_e32 8, v19
; %bb.546:                              ;   in Loop: Header=BB181_295 Depth=1
	v_ffbh_u32_e32 v7, v5
	v_min_u32_e32 v7, 32, v7
	v_subrev_nc_u32_e32 v9, 28, v7
	v_sub_nc_u32_e32 v7, 29, v7
	v_lshlrev_b64 v[17:18], v9, v[5:6]
	v_and_b32_e32 v5, 7, v17
; %bb.547:                              ;   in Loop: Header=BB181_295 Depth=1
	s_or_b32 exec_lo, exec_lo, s28
	v_lshlrev_b32_e32 v9, 16, v76
	v_lshlrev_b32_e32 v5, 20, v5
	v_lshl_add_u32 v7, v7, 23, 0x3c000000
	v_mov_b32_e32 v17, v6
	v_and_b32_e32 v9, 0x80000000, v9
	v_or3_b32 v18, v5, v9, v7
.LBB181_548:                            ;   in Loop: Header=BB181_295 Depth=1
	s_or_b32 exec_lo, exec_lo, s27
.LBB181_549:                            ;   in Loop: Header=BB181_295 Depth=1
	s_or_b32 exec_lo, exec_lo, s26
.LBB181_550:                            ;   in Loop: Header=BB181_295 Depth=1
	s_or_b32 exec_lo, exec_lo, s22
	v_mov_b32_e32 v21, 0
	v_mov_b32_e32 v19, 0
	v_and_b32_sdwa v5, v76, v40 dst_sel:DWORD dst_unused:UNUSED_PAD src0_sel:WORD_1 src1_sel:DWORD
	v_mov_b32_e32 v22, 0
	v_mov_b32_e32 v20, 0
	s_mov_b32 s22, exec_lo
	v_cmpx_ne_u16_e32 0, v5
	s_cbranch_execz .LBB181_558
; %bb.551:                              ;   in Loop: Header=BB181_295 Depth=1
	v_bfrev_b32_e32 v19, 1
	v_mov_b32_e32 v20, 0
	s_mov_b32 s26, exec_lo
	v_cmpx_ne_u16_e32 0x80, v5
	s_cbranch_execz .LBB181_557
; %bb.552:                              ;   in Loop: Header=BB181_295 Depth=1
	v_mov_b32_e32 v19, 0x7f800001
	v_bfe_u32 v9, v76, 16, 7
	v_mov_b32_e32 v20, 0
	s_mov_b32 s27, exec_lo
	v_cmpx_ne_u32_e32 0x7f, v9
	s_cbranch_execz .LBB181_556
; %bb.553:                              ;   in Loop: Header=BB181_295 Depth=1
	v_and_b32_sdwa v5, v76, v41 dst_sel:DWORD dst_unused:UNUSED_PAD src0_sel:WORD_1 src1_sel:DWORD
	v_lshrrev_b32_e32 v7, 3, v9
	s_mov_b32 s28, exec_lo
	v_cmpx_gt_u32_e32 8, v9
; %bb.554:                              ;   in Loop: Header=BB181_295 Depth=1
	v_ffbh_u32_e32 v7, v5
	v_min_u32_e32 v7, 32, v7
	v_subrev_nc_u32_e32 v9, 28, v7
	v_sub_nc_u32_e32 v7, 29, v7
	v_lshlrev_b64 v[19:20], v9, v[5:6]
	v_and_b32_e32 v5, 7, v19
; %bb.555:                              ;   in Loop: Header=BB181_295 Depth=1
	s_or_b32 exec_lo, exec_lo, s28
	v_lshlrev_b32_sdwa v9, v42, v76 dst_sel:DWORD dst_unused:UNUSED_PAD src0_sel:DWORD src1_sel:WORD_1
	v_lshlrev_b32_e32 v5, 20, v5
	v_lshl_add_u32 v7, v7, 23, 0x3c000000
	v_and_b32_e32 v9, 0x80000000, v9
	v_or3_b32 v5, v5, v9, v7
	v_mov_b32_e32 v20, v6
	v_mov_b32_e32 v19, v5
.LBB181_556:                            ;   in Loop: Header=BB181_295 Depth=1
	s_or_b32 exec_lo, exec_lo, s27
.LBB181_557:                            ;   in Loop: Header=BB181_295 Depth=1
	s_or_b32 exec_lo, exec_lo, s26
.LBB181_558:                            ;   in Loop: Header=BB181_295 Depth=1
	s_or_b32 exec_lo, exec_lo, s22
	s_mov_b32 s22, exec_lo
	v_cmpx_lt_u32_e32 0xffffff, v76
	s_cbranch_execz .LBB181_566
; %bb.559:                              ;   in Loop: Header=BB181_295 Depth=1
	v_mov_b32_e32 v7, v6
	v_mov_b32_e32 v22, v8
	v_cmp_ne_u32_sdwa s1, v76, v38 src0_sel:BYTE_3 src1_sel:DWORD
	v_mov_b32_e32 v21, v7
	s_and_saveexec_b32 s26, s1
	s_cbranch_execz .LBB181_565
; %bb.560:                              ;   in Loop: Header=BB181_295 Depth=1
	v_mov_b32_e32 v9, v6
	v_mov_b32_e32 v22, v10
	v_bfe_u32 v77, v76, 24, 7
	s_mov_b32 s27, exec_lo
	v_mov_b32_e32 v21, v9
	v_cmpx_ne_u32_e32 0x7f, v77
	s_cbranch_execz .LBB181_564
; %bb.561:                              ;   in Loop: Header=BB181_295 Depth=1
	v_and_b32_sdwa v5, v76, v41 dst_sel:DWORD dst_unused:UNUSED_PAD src0_sel:BYTE_3 src1_sel:DWORD
	v_lshrrev_b32_e32 v7, 3, v77
	s_mov_b32 s28, exec_lo
	v_cmpx_gt_u32_e32 8, v77
; %bb.562:                              ;   in Loop: Header=BB181_295 Depth=1
	v_ffbh_u32_e32 v7, v5
	v_min_u32_e32 v7, 32, v7
	v_subrev_nc_u32_e32 v9, 28, v7
	v_sub_nc_u32_e32 v7, 29, v7
	v_lshlrev_b64 v[21:22], v9, v[5:6]
	v_and_b32_e32 v5, 7, v21
; %bb.563:                              ;   in Loop: Header=BB181_295 Depth=1
	s_or_b32 exec_lo, exec_lo, s28
	v_lshlrev_b32_sdwa v9, v42, v76 dst_sel:DWORD dst_unused:UNUSED_PAD src0_sel:DWORD src1_sel:BYTE_3
	v_lshlrev_b32_e32 v5, 20, v5
	v_lshl_add_u32 v7, v7, 23, 0x3c000000
	v_mov_b32_e32 v21, v6
	v_and_b32_e32 v9, 0x80000000, v9
	v_or3_b32 v22, v5, v9, v7
.LBB181_564:                            ;   in Loop: Header=BB181_295 Depth=1
	s_or_b32 exec_lo, exec_lo, s27
.LBB181_565:                            ;   in Loop: Header=BB181_295 Depth=1
	s_or_b32 exec_lo, exec_lo, s26
.LBB181_566:                            ;   in Loop: Header=BB181_295 Depth=1
	s_or_b32 exec_lo, exec_lo, s22
	v_or_b32_e32 v5, v18, v16
	v_or_b32_e32 v7, v17, v15
	;; [unrolled: 1-line block ×4, first 2 shown]
	v_mul_f32_e32 v9, s21, v5
	v_mul_f32_e32 v15, s18, v7
	;; [unrolled: 1-line block ×4, first 2 shown]
	s_and_saveexec_b32 s1, vcc_lo
	s_cbranch_execz .LBB181_293
; %bb.567:                              ;   in Loop: Header=BB181_295 Depth=1
	v_cmp_gt_i32_e32 vcc_lo, s33, v50
	v_cndmask_b32_e32 v15, 0, v15, vcc_lo
	v_cmp_gt_i32_e32 vcc_lo, s33, v53
	v_cndmask_b32_e32 v9, 0, v9, vcc_lo
	;; [unrolled: 2-line block ×4, first 2 shown]
	s_branch .LBB181_293
.LBB181_568:
	s_or_b32 exec_lo, exec_lo, s12
.LBB181_569:
	s_or_b32 exec_lo, exec_lo, s2
	ds_bpermute_b32 v1, v26, v36
	ds_bpermute_b32 v2, v26, v35
	;; [unrolled: 1-line block ×8, first 2 shown]
	v_and_b32_e32 v10, 28, v25
	v_lshrrev_b32_e32 v9, 2, v25
	v_lshlrev_b32_e32 v11, 8, v107
	v_and_b32_e32 v20, 0x3c3, v0
	s_mov_b32 s1, exec_lo
	v_add_nc_u32_e32 v10, 0x120, v10
	s_waitcnt lgkmcnt(0)
	s_barrier
	buffer_gl0_inv
	v_add_f32_e32 v1, v36, v1
	v_add_f32_e32 v2, v35, v2
	;; [unrolled: 1-line block ×8, first 2 shown]
	ds_bpermute_b32 v12, v27, v1
	ds_bpermute_b32 v13, v27, v2
	;; [unrolled: 1-line block ×8, first 2 shown]
	s_waitcnt lgkmcnt(7)
	v_add_f32_e32 v1, v1, v12
	s_waitcnt lgkmcnt(6)
	v_add_f32_e32 v2, v2, v13
	;; [unrolled: 2-line block ×8, first 2 shown]
	v_cmpx_eq_u32_e32 64, v20
	s_cbranch_execz .LBB181_571
; %bb.570:
	v_add_nc_u32_e32 v12, v10, v11
	v_add_nc_u32_e32 v13, 0xfffffe00, v12
	;; [unrolled: 1-line block ×9, first 2 shown]
	ds_write_b32 v13, v1
	ds_write_b32 v14, v2
	;; [unrolled: 1-line block ×8, first 2 shown]
.LBB181_571:
	s_or_b32 exec_lo, exec_lo, s1
	v_lshlrev_b32_e32 v9, 2, v9
	s_mov_b32 s2, exec_lo
	v_cmp_eq_u32_e32 vcc_lo, 0, v28
	s_waitcnt lgkmcnt(0)
	s_barrier
	v_add3_u32 v9, 0x120, v11, v9
	buffer_gl0_inv
	v_cmpx_gt_u32_e32 64, v0
	s_cbranch_execz .LBB181_582
; %bb.572:
	s_and_saveexec_b32 s1, vcc_lo
	s_cbranch_execnz .LBB181_598
; %bb.573:
	s_or_b32 exec_lo, exec_lo, s1
	s_and_saveexec_b32 s1, vcc_lo
	s_cbranch_execnz .LBB181_599
.LBB181_574:
	s_or_b32 exec_lo, exec_lo, s1
	s_and_saveexec_b32 s1, vcc_lo
	s_cbranch_execnz .LBB181_600
.LBB181_575:
	s_or_b32 exec_lo, exec_lo, s1
	s_and_saveexec_b32 s1, vcc_lo
	s_cbranch_execnz .LBB181_601
.LBB181_576:
	s_or_b32 exec_lo, exec_lo, s1
	s_and_saveexec_b32 s1, vcc_lo
	s_cbranch_execnz .LBB181_602
.LBB181_577:
	s_or_b32 exec_lo, exec_lo, s1
	s_and_saveexec_b32 s1, vcc_lo
	s_cbranch_execnz .LBB181_603
.LBB181_578:
	s_or_b32 exec_lo, exec_lo, s1
	s_and_saveexec_b32 s1, vcc_lo
	s_cbranch_execnz .LBB181_604
.LBB181_579:
	s_or_b32 exec_lo, exec_lo, s1
	s_and_saveexec_b32 s1, vcc_lo
	s_cbranch_execz .LBB181_581
.LBB181_580:
	ds_read_b32 v11, v9 offset:224
	s_waitcnt lgkmcnt(0)
	v_add_f32_e32 v8, v8, v11
.LBB181_581:
	s_or_b32 exec_lo, exec_lo, s1
.LBB181_582:
	s_or_b32 exec_lo, exec_lo, s2
	v_and_b32_e32 v11, 0x3e3, v0
	s_mov_b32 s2, exec_lo
	s_barrier
	buffer_gl0_inv
	v_cmpx_eq_u32_e32 32, v11
	s_cbranch_execz .LBB181_584
; %bb.583:
	ds_write2_b32 v10, v1, v2 offset1:8
	ds_write2_b32 v10, v3, v4 offset0:16 offset1:24
	ds_write2_b32 v10, v5, v6 offset0:32 offset1:40
	;; [unrolled: 1-line block ×3, first 2 shown]
.LBB181_584:
	s_or_b32 exec_lo, exec_lo, s2
	s_waitcnt lgkmcnt(0)
	s_barrier
	buffer_gl0_inv
	s_and_saveexec_b32 s1, s0
	s_cbranch_execz .LBB181_595
; %bb.585:
	s_and_saveexec_b32 s0, vcc_lo
	s_cbranch_execnz .LBB181_605
; %bb.586:
	s_or_b32 exec_lo, exec_lo, s0
	s_and_saveexec_b32 s0, vcc_lo
	s_cbranch_execnz .LBB181_606
.LBB181_587:
	s_or_b32 exec_lo, exec_lo, s0
	s_and_saveexec_b32 s0, vcc_lo
	s_cbranch_execnz .LBB181_607
.LBB181_588:
	s_or_b32 exec_lo, exec_lo, s0
	s_and_saveexec_b32 s0, vcc_lo
	s_cbranch_execnz .LBB181_608
.LBB181_589:
	s_or_b32 exec_lo, exec_lo, s0
	s_and_saveexec_b32 s0, vcc_lo
	s_cbranch_execnz .LBB181_609
.LBB181_590:
	s_or_b32 exec_lo, exec_lo, s0
	s_and_saveexec_b32 s0, vcc_lo
	s_cbranch_execnz .LBB181_610
.LBB181_591:
	s_or_b32 exec_lo, exec_lo, s0
	s_and_saveexec_b32 s0, vcc_lo
	s_cbranch_execnz .LBB181_611
.LBB181_592:
	s_or_b32 exec_lo, exec_lo, s0
	s_and_saveexec_b32 s0, vcc_lo
	s_cbranch_execz .LBB181_594
.LBB181_593:
	ds_read_b32 v9, v9 offset:224
	s_waitcnt lgkmcnt(0)
	v_add_f32_e32 v8, v8, v9
.LBB181_594:
	s_or_b32 exec_lo, exec_lo, s0
.LBB181_595:
	s_or_b32 exec_lo, exec_lo, s1
	s_barrier
	buffer_gl0_inv
	s_mov_b32 s0, exec_lo
	v_cmpx_eq_u32_e32 0, v11
	s_cbranch_execz .LBB181_597
; %bb.596:
	s_mul_i32 s0, s10, s11
	s_mul_i32 s2, s11, s24
	;; [unrolled: 1-line block ×3, first 2 shown]
	s_lshl_b32 s0, s0, 6
	s_ashr_i32 s1, s0, 31
	s_lshl_b64 s[0:1], s[0:1], 2
	s_add_u32 s4, s6, s0
	s_addc_u32 s5, s7, s1
	s_ashr_i32 s3, s2, 31
	s_lshl_b64 s[0:1], s[2:3], 2
	s_add_u32 s2, s4, s0
	s_addc_u32 s3, s5, s1
	s_lshl_b32 s0, s8, 6
	s_ashr_i32 s1, s0, 31
	s_lshl_b64 s[0:1], s[0:1], 2
	s_add_u32 s0, s2, s0
	s_addc_u32 s1, s3, s1
	global_store_dword v0, v1, s[0:1]
	global_store_dword v0, v2, s[0:1] offset:32
	global_store_dword v0, v3, s[0:1] offset:64
	;; [unrolled: 1-line block ×7, first 2 shown]
.LBB181_597:
	s_endpgm
.LBB181_598:
	ds_read_b32 v11, v9
	s_waitcnt lgkmcnt(0)
	v_add_f32_e32 v1, v1, v11
	s_or_b32 exec_lo, exec_lo, s1
	s_and_saveexec_b32 s1, vcc_lo
	s_cbranch_execz .LBB181_574
.LBB181_599:
	ds_read_b32 v11, v9 offset:32
	s_waitcnt lgkmcnt(0)
	v_add_f32_e32 v2, v2, v11
	s_or_b32 exec_lo, exec_lo, s1
	s_and_saveexec_b32 s1, vcc_lo
	s_cbranch_execz .LBB181_575
.LBB181_600:
	ds_read_b32 v11, v9 offset:64
	s_waitcnt lgkmcnt(0)
	v_add_f32_e32 v3, v3, v11
	s_or_b32 exec_lo, exec_lo, s1
	s_and_saveexec_b32 s1, vcc_lo
	s_cbranch_execz .LBB181_576
.LBB181_601:
	ds_read_b32 v11, v9 offset:96
	s_waitcnt lgkmcnt(0)
	v_add_f32_e32 v4, v4, v11
	s_or_b32 exec_lo, exec_lo, s1
	s_and_saveexec_b32 s1, vcc_lo
	s_cbranch_execz .LBB181_577
.LBB181_602:
	ds_read_b32 v11, v9 offset:128
	s_waitcnt lgkmcnt(0)
	v_add_f32_e32 v5, v5, v11
	s_or_b32 exec_lo, exec_lo, s1
	s_and_saveexec_b32 s1, vcc_lo
	s_cbranch_execz .LBB181_578
.LBB181_603:
	ds_read_b32 v11, v9 offset:160
	s_waitcnt lgkmcnt(0)
	v_add_f32_e32 v6, v6, v11
	s_or_b32 exec_lo, exec_lo, s1
	s_and_saveexec_b32 s1, vcc_lo
	s_cbranch_execz .LBB181_579
.LBB181_604:
	ds_read_b32 v11, v9 offset:192
	s_waitcnt lgkmcnt(0)
	v_add_f32_e32 v7, v7, v11
	s_or_b32 exec_lo, exec_lo, s1
	s_and_saveexec_b32 s1, vcc_lo
	s_cbranch_execnz .LBB181_580
	s_branch .LBB181_581
.LBB181_605:
	ds_read_b32 v10, v9
	s_waitcnt lgkmcnt(0)
	v_add_f32_e32 v1, v1, v10
	s_or_b32 exec_lo, exec_lo, s0
	s_and_saveexec_b32 s0, vcc_lo
	s_cbranch_execz .LBB181_587
.LBB181_606:
	ds_read_b32 v10, v9 offset:32
	s_waitcnt lgkmcnt(0)
	v_add_f32_e32 v2, v2, v10
	s_or_b32 exec_lo, exec_lo, s0
	s_and_saveexec_b32 s0, vcc_lo
	s_cbranch_execz .LBB181_588
.LBB181_607:
	ds_read_b32 v10, v9 offset:64
	s_waitcnt lgkmcnt(0)
	v_add_f32_e32 v3, v3, v10
	s_or_b32 exec_lo, exec_lo, s0
	s_and_saveexec_b32 s0, vcc_lo
	s_cbranch_execz .LBB181_589
.LBB181_608:
	ds_read_b32 v10, v9 offset:96
	s_waitcnt lgkmcnt(0)
	v_add_f32_e32 v4, v4, v10
	s_or_b32 exec_lo, exec_lo, s0
	s_and_saveexec_b32 s0, vcc_lo
	s_cbranch_execz .LBB181_590
.LBB181_609:
	ds_read_b32 v10, v9 offset:128
	s_waitcnt lgkmcnt(0)
	v_add_f32_e32 v5, v5, v10
	s_or_b32 exec_lo, exec_lo, s0
	s_and_saveexec_b32 s0, vcc_lo
	s_cbranch_execz .LBB181_591
.LBB181_610:
	ds_read_b32 v10, v9 offset:160
	s_waitcnt lgkmcnt(0)
	v_add_f32_e32 v6, v6, v10
	s_or_b32 exec_lo, exec_lo, s0
	s_and_saveexec_b32 s0, vcc_lo
	s_cbranch_execz .LBB181_592
.LBB181_611:
	ds_read_b32 v10, v9 offset:192
	s_waitcnt lgkmcnt(0)
	v_add_f32_e32 v7, v7, v10
	s_or_b32 exec_lo, exec_lo, s0
	s_and_saveexec_b32 s0, vcc_lo
	s_cbranch_execnz .LBB181_593
	s_branch .LBB181_594
	.section	.rodata,"a",@progbits
	.p2align	6, 0x0
	.amdhsa_kernel _ZN4vllm25paged_attention_v1_kernelIfhLi64ELi16ELi128ELNS_18Fp8KVCacheDataTypeE1ELb1EEEvPT_PKS2_PKT0_S8_ifPKiSA_iPKfiiiSC_SC_iiiii
		.amdhsa_group_segment_fixed_size 288
		.amdhsa_private_segment_fixed_size 0
		.amdhsa_kernarg_size 384
		.amdhsa_user_sgpr_count 6
		.amdhsa_user_sgpr_private_segment_buffer 1
		.amdhsa_user_sgpr_dispatch_ptr 0
		.amdhsa_user_sgpr_queue_ptr 0
		.amdhsa_user_sgpr_kernarg_segment_ptr 1
		.amdhsa_user_sgpr_dispatch_id 0
		.amdhsa_user_sgpr_flat_scratch_init 0
		.amdhsa_user_sgpr_private_segment_size 0
		.amdhsa_wavefront_size32 1
		.amdhsa_uses_dynamic_stack 0
		.amdhsa_system_sgpr_private_segment_wavefront_offset 0
		.amdhsa_system_sgpr_workgroup_id_x 1
		.amdhsa_system_sgpr_workgroup_id_y 1
		.amdhsa_system_sgpr_workgroup_id_z 1
		.amdhsa_system_sgpr_workgroup_info 0
		.amdhsa_system_vgpr_workitem_id 0
		.amdhsa_next_free_vgpr 125
		.amdhsa_next_free_sgpr 46
		.amdhsa_reserve_vcc 1
		.amdhsa_reserve_flat_scratch 0
		.amdhsa_float_round_mode_32 0
		.amdhsa_float_round_mode_16_64 0
		.amdhsa_float_denorm_mode_32 3
		.amdhsa_float_denorm_mode_16_64 3
		.amdhsa_dx10_clamp 1
		.amdhsa_ieee_mode 1
		.amdhsa_fp16_overflow 0
		.amdhsa_workgroup_processor_mode 1
		.amdhsa_memory_ordered 1
		.amdhsa_forward_progress 1
		.amdhsa_shared_vgpr_count 0
		.amdhsa_exception_fp_ieee_invalid_op 0
		.amdhsa_exception_fp_denorm_src 0
		.amdhsa_exception_fp_ieee_div_zero 0
		.amdhsa_exception_fp_ieee_overflow 0
		.amdhsa_exception_fp_ieee_underflow 0
		.amdhsa_exception_fp_ieee_inexact 0
		.amdhsa_exception_int_div_zero 0
	.end_amdhsa_kernel
	.section	.text._ZN4vllm25paged_attention_v1_kernelIfhLi64ELi16ELi128ELNS_18Fp8KVCacheDataTypeE1ELb1EEEvPT_PKS2_PKT0_S8_ifPKiSA_iPKfiiiSC_SC_iiiii,"axG",@progbits,_ZN4vllm25paged_attention_v1_kernelIfhLi64ELi16ELi128ELNS_18Fp8KVCacheDataTypeE1ELb1EEEvPT_PKS2_PKT0_S8_ifPKiSA_iPKfiiiSC_SC_iiiii,comdat
.Lfunc_end181:
	.size	_ZN4vllm25paged_attention_v1_kernelIfhLi64ELi16ELi128ELNS_18Fp8KVCacheDataTypeE1ELb1EEEvPT_PKS2_PKT0_S8_ifPKiSA_iPKfiiiSC_SC_iiiii, .Lfunc_end181-_ZN4vllm25paged_attention_v1_kernelIfhLi64ELi16ELi128ELNS_18Fp8KVCacheDataTypeE1ELb1EEEvPT_PKS2_PKT0_S8_ifPKiSA_iPKfiiiSC_SC_iiiii
                                        ; -- End function
	.set _ZN4vllm25paged_attention_v1_kernelIfhLi64ELi16ELi128ELNS_18Fp8KVCacheDataTypeE1ELb1EEEvPT_PKS2_PKT0_S8_ifPKiSA_iPKfiiiSC_SC_iiiii.num_vgpr, 125
	.set _ZN4vllm25paged_attention_v1_kernelIfhLi64ELi16ELi128ELNS_18Fp8KVCacheDataTypeE1ELb1EEEvPT_PKS2_PKT0_S8_ifPKiSA_iPKfiiiSC_SC_iiiii.num_agpr, 0
	.set _ZN4vllm25paged_attention_v1_kernelIfhLi64ELi16ELi128ELNS_18Fp8KVCacheDataTypeE1ELb1EEEvPT_PKS2_PKT0_S8_ifPKiSA_iPKfiiiSC_SC_iiiii.numbered_sgpr, 46
	.set _ZN4vllm25paged_attention_v1_kernelIfhLi64ELi16ELi128ELNS_18Fp8KVCacheDataTypeE1ELb1EEEvPT_PKS2_PKT0_S8_ifPKiSA_iPKfiiiSC_SC_iiiii.num_named_barrier, 0
	.set _ZN4vllm25paged_attention_v1_kernelIfhLi64ELi16ELi128ELNS_18Fp8KVCacheDataTypeE1ELb1EEEvPT_PKS2_PKT0_S8_ifPKiSA_iPKfiiiSC_SC_iiiii.private_seg_size, 0
	.set _ZN4vllm25paged_attention_v1_kernelIfhLi64ELi16ELi128ELNS_18Fp8KVCacheDataTypeE1ELb1EEEvPT_PKS2_PKT0_S8_ifPKiSA_iPKfiiiSC_SC_iiiii.uses_vcc, 1
	.set _ZN4vllm25paged_attention_v1_kernelIfhLi64ELi16ELi128ELNS_18Fp8KVCacheDataTypeE1ELb1EEEvPT_PKS2_PKT0_S8_ifPKiSA_iPKfiiiSC_SC_iiiii.uses_flat_scratch, 0
	.set _ZN4vllm25paged_attention_v1_kernelIfhLi64ELi16ELi128ELNS_18Fp8KVCacheDataTypeE1ELb1EEEvPT_PKS2_PKT0_S8_ifPKiSA_iPKfiiiSC_SC_iiiii.has_dyn_sized_stack, 0
	.set _ZN4vllm25paged_attention_v1_kernelIfhLi64ELi16ELi128ELNS_18Fp8KVCacheDataTypeE1ELb1EEEvPT_PKS2_PKT0_S8_ifPKiSA_iPKfiiiSC_SC_iiiii.has_recursion, 0
	.set _ZN4vllm25paged_attention_v1_kernelIfhLi64ELi16ELi128ELNS_18Fp8KVCacheDataTypeE1ELb1EEEvPT_PKS2_PKT0_S8_ifPKiSA_iPKfiiiSC_SC_iiiii.has_indirect_call, 0
	.section	.AMDGPU.csdata,"",@progbits
; Kernel info:
; codeLenInByte = 18516
; TotalNumSgprs: 48
; NumVgprs: 125
; ScratchSize: 0
; MemoryBound: 0
; FloatMode: 240
; IeeeMode: 1
; LDSByteSize: 288 bytes/workgroup (compile time only)
; SGPRBlocks: 0
; VGPRBlocks: 15
; NumSGPRsForWavesPerEU: 48
; NumVGPRsForWavesPerEU: 125
; Occupancy: 8
; WaveLimiterHint : 1
; COMPUTE_PGM_RSRC2:SCRATCH_EN: 0
; COMPUTE_PGM_RSRC2:USER_SGPR: 6
; COMPUTE_PGM_RSRC2:TRAP_HANDLER: 0
; COMPUTE_PGM_RSRC2:TGID_X_EN: 1
; COMPUTE_PGM_RSRC2:TGID_Y_EN: 1
; COMPUTE_PGM_RSRC2:TGID_Z_EN: 1
; COMPUTE_PGM_RSRC2:TIDIG_COMP_CNT: 0
	.section	.text._ZN4vllm25paged_attention_v1_kernelIfhLi80ELi16ELi128ELNS_18Fp8KVCacheDataTypeE1ELb1EEEvPT_PKS2_PKT0_S8_ifPKiSA_iPKfiiiSC_SC_iiiii,"axG",@progbits,_ZN4vllm25paged_attention_v1_kernelIfhLi80ELi16ELi128ELNS_18Fp8KVCacheDataTypeE1ELb1EEEvPT_PKS2_PKT0_S8_ifPKiSA_iPKfiiiSC_SC_iiiii,comdat
	.protected	_ZN4vllm25paged_attention_v1_kernelIfhLi80ELi16ELi128ELNS_18Fp8KVCacheDataTypeE1ELb1EEEvPT_PKS2_PKT0_S8_ifPKiSA_iPKfiiiSC_SC_iiiii ; -- Begin function _ZN4vllm25paged_attention_v1_kernelIfhLi80ELi16ELi128ELNS_18Fp8KVCacheDataTypeE1ELb1EEEvPT_PKS2_PKT0_S8_ifPKiSA_iPKfiiiSC_SC_iiiii
	.globl	_ZN4vllm25paged_attention_v1_kernelIfhLi80ELi16ELi128ELNS_18Fp8KVCacheDataTypeE1ELb1EEEvPT_PKS2_PKT0_S8_ifPKiSA_iPKfiiiSC_SC_iiiii
	.p2align	8
	.type	_ZN4vllm25paged_attention_v1_kernelIfhLi80ELi16ELi128ELNS_18Fp8KVCacheDataTypeE1ELb1EEEvPT_PKS2_PKT0_S8_ifPKiSA_iPKfiiiSC_SC_iiiii,@function
_ZN4vllm25paged_attention_v1_kernelIfhLi80ELi16ELi128ELNS_18Fp8KVCacheDataTypeE1ELb1EEEvPT_PKS2_PKT0_S8_ifPKiSA_iPKfiiiSC_SC_iiiii: ; @_ZN4vllm25paged_attention_v1_kernelIfhLi80ELi16ELi128ELNS_18Fp8KVCacheDataTypeE1ELb1EEEvPT_PKS2_PKT0_S8_ifPKiSA_iPKfiiiSC_SC_iiiii
; %bb.0:
	s_mov_b64 s[50:51], s[2:3]
	s_mov_b64 s[48:49], s[0:1]
	s_mov_b32 s10, s7
	s_add_u32 s48, s48, s9
	s_clause 0x2
	s_load_dword s9, s[4:5], 0x80
	s_load_dwordx2 s[0:1], s[4:5], 0x30
	s_load_dwordx2 s[34:35], s[4:5], 0x20
	s_addc_u32 s49, s49, 0
	s_ashr_i32 s11, s7, 31
	v_mov_b32_e32 v38, v0
	s_lshl_b64 s[2:3], s[10:11], 2
	s_mov_b32 s36, 0
	s_waitcnt lgkmcnt(0)
	s_add_u32 s0, s0, s2
	s_addc_u32 s1, s1, s3
	s_abs_i32 s2, s34
	s_abs_i32 s11, s9
	v_cvt_f32_u32_e32 v0, s2
	s_sub_i32 s7, 0, s2
	v_rcp_iflag_f32_e32 v0, v0
	v_mul_f32_e32 v0, 0x4f7ffffe, v0
	v_cvt_u32_f32_e32 v0, v0
	v_readfirstlane_b32 s3, v0
	s_mul_i32 s7, s7, s3
	s_mul_hi_u32 s7, s3, s7
	s_add_i32 s3, s3, s7
	s_xor_b32 s7, s9, s34
	s_mul_hi_u32 s3, s11, s3
	s_ashr_i32 s7, s7, 31
	s_mul_i32 s12, s3, s2
	s_sub_i32 s11, s11, s12
	s_add_i32 s12, s3, 1
	s_sub_i32 s13, s11, s2
	s_cmp_ge_u32 s11, s2
	s_cselect_b32 s3, s12, s3
	s_cselect_b32 s11, s13, s11
	s_add_i32 s12, s3, 1
	s_cmp_ge_u32 s11, s2
	s_cselect_b32 s2, s12, s3
	s_xor_b32 s2, s2, s7
	s_sub_i32 s14, s2, s7
	s_load_dwordx2 s[2:3], s[4:5], 0x40
	s_abs_i32 s11, s14
	v_cvt_f32_u32_e32 v0, s11
	s_sub_i32 s12, 0, s11
	v_rcp_iflag_f32_e32 v0, v0
	v_mul_f32_e32 v0, 0x4f7ffffe, v0
	v_cvt_u32_f32_e32 v0, v0
	v_readfirstlane_b32 s7, v0
	s_mul_i32 s12, s12, s7
	s_mul_hi_u32 s13, s7, s12
	s_abs_i32 s12, s6
	s_add_i32 s7, s7, s13
	s_waitcnt lgkmcnt(0)
	s_cmp_eq_u64 s[2:3], 0
	s_mul_hi_u32 s13, s12, s7
	s_cbranch_scc1 .LBB182_2
; %bb.1:
	s_ashr_i32 s7, s6, 31
	s_lshl_b64 s[16:17], s[6:7], 2
	s_add_u32 s2, s2, s16
	s_addc_u32 s3, s3, s17
	s_load_dword s36, s[2:3], 0x0
.LBB182_2:
	s_load_dword s33, s[0:1], 0x0
	s_load_dwordx4 s[16:19], s[4:5], 0x48
	v_and_b32_e32 v0, 1, v38
	v_lshlrev_b32_e32 v12, 2, v38
	s_ashr_i32 s0, s6, 31
	s_ashr_i32 s1, s14, 31
	s_mul_i32 s24, s6, 0x50
	s_mov_b32 s2, exec_lo
	v_cmpx_gt_u32_e32 40, v38
	s_cbranch_execz .LBB182_4
; %bb.3:
	s_load_dwordx2 s[14:15], s[4:5], 0x8
	s_waitcnt lgkmcnt(0)
	s_mul_i32 s20, s16, s10
	v_lshlrev_b32_e32 v1, 3, v38
	s_ashr_i32 s21, s20, 31
	v_and_b32_e32 v3, 0xff8, v12
	s_lshl_b64 s[20:21], s[20:21], 2
	v_mad_u32_u24 v3, 0xa0, v0, v3
	s_add_u32 s3, s14, s20
	s_addc_u32 s7, s15, s21
	s_ashr_i32 s25, s24, 31
	s_lshl_b64 s[14:15], s[24:25], 2
	s_add_u32 s14, s3, s14
	s_addc_u32 s15, s7, s15
	global_load_dwordx2 v[1:2], v1, s[14:15]
	s_waitcnt vmcnt(0)
	ds_write_b64 v3, v[1:2]
.LBB182_4:
	s_or_b32 exec_lo, exec_lo, s2
	s_load_dwordx4 s[20:23], s[4:5], 0x68
	s_mul_i32 s2, s13, s11
	s_xor_b32 s1, s0, s1
	s_sub_i32 s0, s12, s2
	s_add_i32 s2, s13, 1
	s_sub_i32 s3, s0, s11
	s_cmp_ge_u32 s0, s11
	s_mov_b32 s12, -1
	s_cselect_b32 s2, s2, s13
	s_cselect_b32 s0, s3, s0
	s_add_i32 s3, s2, 1
	s_cmp_ge_u32 s0, s11
	s_load_dword s0, s[4:5], 0x78
	s_cselect_b32 s2, s3, s2
	s_waitcnt lgkmcnt(0)
	s_add_i32 s7, s33, -1
	s_xor_b32 s2, s2, s1
	s_abs_i32 s3, s7
	s_sub_i32 s1, s2, s1
	s_barrier
	s_abs_i32 s16, s23
	buffer_gl0_inv
	v_cvt_f32_u32_e32 v1, s16
	s_sub_i32 s2, 0, s16
                                        ; implicit-def: $sgpr25
	v_rcp_iflag_f32_e32 v1, v1
	v_mul_f32_e32 v1, 0x4f7ffffe, v1
	v_cvt_u32_f32_e32 v1, v1
	v_readfirstlane_b32 s19, v1
	s_mul_i32 s2, s2, s19
	s_mul_hi_u32 s2, s19, s2
	s_add_i32 s19, s19, s2
	s_cmp_lt_i32 s0, 0
	s_mul_hi_u32 s2, s3, s19
	s_cbranch_scc0 .LBB182_6
; %bb.5:
	s_mul_i32 s11, s20, s34
	s_mov_b32 s12, 0
	s_add_i32 s11, s1, s11
	s_mul_i32 s11, s11, s0
	s_sub_i32 s25, 1, s11
.LBB182_6:
	s_load_dwordx2 s[26:27], s[4:5], 0x28
	s_ashr_i32 s11, s7, 31
	s_andn2_b32 vcc_lo, exec_lo, s12
	s_ashr_i32 s23, s23, 31
	s_cbranch_vccnz .LBB182_8
; %bb.7:
	s_mul_i32 s7, s9, s20
	s_add_i32 s6, s7, s6
	s_mul_i32 s0, s6, s0
	s_add_i32 s25, s0, 1
.LBB182_8:
	s_clause 0x2
	s_load_dword s0, s[4:5], 0x38
	s_load_dwordx2 s[6:7], s[4:5], 0x0
	s_load_dwordx2 s[30:31], s[4:5], 0x18
	s_xor_b32 s34, s11, s23
	s_mul_i32 s11, s2, s16
	s_add_i32 s20, s2, 1
	s_sub_i32 s3, s3, s11
	s_clause 0x1
	s_load_dword s11, s[4:5], 0x88
	s_load_dwordx4 s[12:15], s[4:5], 0x58
	v_lshrrev_b32_e32 v52, 5, v38
	v_mov_b32_e32 v3, 0xff7fffff
	v_lshrrev_b32_e32 v13, 3, v38
	s_mul_i32 s18, s1, s18
	v_lshlrev_b32_e32 v127, 4, v52
	s_waitcnt lgkmcnt(0)
	s_mul_i32 s28, s0, s10
	s_sub_i32 s0, s3, s16
	s_ashr_i32 s29, s28, 31
	s_cmp_ge_u32 s3, s16
	s_cselect_b32 s2, s20, s2
	s_cselect_b32 s0, s0, s3
	s_add_i32 s3, s2, 1
	s_cmp_ge_u32 s0, s16
	s_cselect_b32 s0, s3, s2
	s_add_i32 s2, s33, 15
	s_ashr_i32 s3, s2, 31
	s_lshr_b32 s3, s3, 28
	s_add_i32 s2, s2, s3
	s_ashr_i32 s20, s2, 4
	s_xor_b32 s2, s0, s34
	v_cmp_gt_i32_e64 s0, s20, v52
	s_sub_i32 s34, s2, s34
	s_and_saveexec_b32 s37, s0
	s_cbranch_execz .LBB182_340
; %bb.9:
	s_load_dwordx2 s[2:3], s[4:5], 0x10
	s_sub_i32 s4, s34, s21
	s_ashr_i32 s1, s18, 31
	v_bfe_u32 v6, v38, 1, 4
	v_and_b32_e32 v3, 0x7c, v13
	v_lshlrev_b32_e32 v2, 1, v0
	v_cmp_eq_u32_e32 vcc_lo, 0, v0
	v_mov_b32_e32 v42, 0
	v_lshlrev_b32_e32 v4, 2, v6
	v_subrev_nc_u32_e32 v5, s33, v6
	buffer_store_dword v6, off, s[48:51], 0 offset:48 ; 4-byte Folded Spill
	v_lshlrev_b32_e32 v6, 4, v6
	v_mul_u32_u24_e32 v0, 0xa0, v0
	v_lshl_or_b32 v4, v52, 6, v4
	v_add_nc_u32_e32 v5, 1, v5
	v_lshlrev_b32_e32 v55, 4, v52
	v_mov_b32_e32 v56, 0x80
	v_bfrev_b32_e32 v54, 1
	v_add_nc_u32_e32 v51, 0x160, v4
	buffer_store_dword v5, off, s[48:51], 0 offset:52 ; 4-byte Folded Spill
	s_waitcnt lgkmcnt(0)
	s_add_u32 s38, s2, s18
	s_addc_u32 s39, s3, s1
	s_abs_i32 s5, s22
	v_add_co_u32 v5, s38, s38, v6
	v_cvt_f32_u32_e32 v1, s5
	s_sub_i32 s2, 0, s5
	v_add_co_ci_u32_e64 v6, null, s39, 0, s38
	v_cmp_neq_f32_e64 s1, s36, 0
	v_rcp_iflag_f32_e32 v1, v1
	v_mov_b32_e32 v46, 0x7f800001
	v_mov_b32_e32 v7, 0xff7fffff
	s_mov_b32 s38, 0
	s_mov_b32 s39, s17
	buffer_store_dword v12, off, s[48:51], 0 offset:64 ; 4-byte Folded Spill
	buffer_store_dword v38, off, s[48:51], 0 offset:56 ; 4-byte Folded Spill
	;; [unrolled: 1-line block ×4, first 2 shown]
	v_mul_f32_e32 v1, 0x4f7ffffe, v1
	v_cvt_u32_f32_e32 v1, v1
	v_mul_lo_u32 v4, s2, v1
	s_lshl_b64 s[2:3], s[28:29], 2
	s_add_u32 s2, s26, s2
	s_addc_u32 s3, s27, s3
	v_add_co_u32 v47, s2, s2, v3
	v_add_co_ci_u32_e64 v48, null, s3, 0, s2
	v_mul_hi_u32 v4, v1, v4
	v_add_co_u32 v2, s2, v5, v2
	v_add_co_ci_u32_e64 v3, null, 0, v6, s2
	buffer_store_dword v2, off, s[48:51], 0 offset:40 ; 4-byte Folded Spill
	buffer_store_dword v3, off, s[48:51], 0 offset:44 ; 4-byte Folded Spill
	v_add_nc_u32_e32 v1, v1, v4
	buffer_store_dword v1, off, s[48:51], 0 offset:32 ; 4-byte Folded Spill
	buffer_store_dword v52, off, s[48:51], 0 offset:60 ; 4-byte Folded Spill
	s_branch .LBB182_12
.LBB182_10:                             ;   in Loop: Header=BB182_12 Depth=1
	s_or_b32 exec_lo, exec_lo, s40
.LBB182_11:                             ;   in Loop: Header=BB182_12 Depth=1
	s_or_b32 exec_lo, exec_lo, s3
	v_add_nc_u32_e32 v52, 4, v52
	v_add_co_u32 v47, s3, v47, 16
	v_add_co_ci_u32_e64 v48, null, 0, v48, s3
	v_cmp_le_i32_e64 s2, s20, v52
	v_add_nc_u32_e32 v55, 64, v55
	v_add_nc_u32_e32 v51, 0x100, v51
	s_or_b32 s38, s2, s38
	s_andn2_b32 exec_lo, exec_lo, s38
	s_cbranch_execz .LBB182_339
.LBB182_12:                             ; =>This Inner Loop Header: Depth=1
	v_mul_hi_u32 v1, v55, s19
	s_waitcnt lgkmcnt(0)
	v_mul_lo_u32 v2, v1, s16
	v_add_nc_u32_e32 v3, 1, v1
	v_sub_nc_u32_e32 v2, v55, v2
	v_subrev_nc_u32_e32 v4, s16, v2
	v_cmp_le_u32_e64 s2, s16, v2
	v_cndmask_b32_e64 v2, v2, v4, s2
	buffer_load_dword v4, off, s[48:51], 0 offset:32 ; 4-byte Folded Reload
	v_cndmask_b32_e64 v1, v1, v3, s2
	v_cmp_le_u32_e64 s2, s16, v2
	v_add_nc_u32_e32 v3, 1, v1
	v_cndmask_b32_e64 v1, v1, v3, s2
	v_xor_b32_e32 v1, s23, v1
	v_subrev_nc_u32_e32 v1, s23, v1
	v_add_nc_u32_e32 v2, s25, v1
	v_cmp_ge_i32_e64 s3, s4, v1
	v_sub_nc_u32_e32 v3, 0, v2
	v_max_i32_e32 v3, v2, v3
	v_ashrrev_i32_e32 v2, 31, v2
	s_waitcnt vmcnt(0)
	v_mul_hi_u32 v4, v3, v4
	v_mul_lo_u32 v4, v4, s5
	v_sub_nc_u32_e32 v3, v3, v4
	v_subrev_nc_u32_e32 v4, s5, v3
	v_cmp_le_u32_e64 s2, s5, v3
	v_cndmask_b32_e64 v3, v3, v4, s2
	v_subrev_nc_u32_e32 v4, s5, v3
	v_cmp_le_u32_e64 s2, s5, v3
	v_cndmask_b32_e64 v3, v3, v4, s2
	v_xor_b32_e32 v3, v3, v2
	v_sub_nc_u32_e32 v2, v3, v2
	v_cmp_ne_u32_e64 s2, 0, v2
	s_and_b32 s2, s2, s3
	s_and_saveexec_b32 s3, s2
	s_xor_b32 s2, exec_lo, s3
	s_cbranch_execz .LBB182_16
; %bb.13:                               ;   in Loop: Header=BB182_12 Depth=1
	s_and_saveexec_b32 s3, vcc_lo
; %bb.14:                               ;   in Loop: Header=BB182_12 Depth=1
	v_mov_b32_e32 v1, 0xff7fffff
	ds_write_b32 v51, v1
; %bb.15:                               ;   in Loop: Header=BB182_12 Depth=1
	s_or_b32 exec_lo, exec_lo, s3
.LBB182_16:                             ;   in Loop: Header=BB182_12 Depth=1
	s_andn2_saveexec_b32 s3, s2
	s_cbranch_execz .LBB182_11
; %bb.17:                               ;   in Loop: Header=BB182_12 Depth=1
	global_load_dword v1, v[47:48], off
	s_clause 0x1
	buffer_load_dword v2, off, s[48:51], 0 offset:40
	buffer_load_dword v3, off, s[48:51], 0 offset:44
	v_mov_b32_e32 v43, 0
	v_mov_b32_e32 v44, 0
	s_waitcnt vmcnt(0)
	v_mad_i64_i32 v[59:60], null, v1, s39, v[2:3]
	global_load_ushort v41, v[59:60], off
	ds_read_b128 v[37:40], v0
	ds_read_b128 v[33:36], v0 offset:16
	ds_read_b128 v[29:32], v0 offset:32
	;; [unrolled: 1-line block ×9, first 2 shown]
	s_load_dword s40, s[12:13], 0x0
	buffer_store_dword v43, off, s[48:51], 0 offset:8 ; 4-byte Folded Spill
	buffer_store_dword v44, off, s[48:51], 0 offset:12 ; 4-byte Folded Spill
	v_mov_b32_e32 v43, 0
	v_mov_b32_e32 v44, 0
	buffer_store_dword v43, off, s[48:51], 0 ; 4-byte Folded Spill
	buffer_store_dword v44, off, s[48:51], 0 offset:4 ; 4-byte Folded Spill
	s_waitcnt vmcnt(0)
	v_and_b32_e32 v43, 0xffff, v41
	v_cmp_ne_u16_sdwa s2, v41, v42 src0_sel:BYTE_0 src1_sel:DWORD
	s_and_saveexec_b32 s41, s2
	s_cbranch_execz .LBB182_25
; %bb.18:                               ;   in Loop: Header=BB182_12 Depth=1
	v_bfrev_b32_e32 v44, 1
	v_mov_b32_e32 v45, 0
	v_cmp_ne_u16_sdwa s2, v43, v56 src0_sel:BYTE_0 src1_sel:DWORD
	buffer_store_dword v44, off, s[48:51], 0 ; 4-byte Folded Spill
	buffer_store_dword v45, off, s[48:51], 0 offset:4 ; 4-byte Folded Spill
	s_and_saveexec_b32 s42, s2
	s_cbranch_execz .LBB182_24
; %bb.19:                               ;   in Loop: Header=BB182_12 Depth=1
	v_mov_b32_e32 v49, 0x7f800001
	v_and_b32_e32 v45, 0x7f, v43
	v_mov_b32_e32 v50, 0
	s_mov_b32 s43, exec_lo
	buffer_store_dword v49, off, s[48:51], 0 ; 4-byte Folded Spill
	buffer_store_dword v50, off, s[48:51], 0 offset:4 ; 4-byte Folded Spill
	v_cmpx_ne_u32_e32 0x7f, v45
	s_cbranch_execz .LBB182_23
; %bb.20:                               ;   in Loop: Header=BB182_12 Depth=1
	v_and_b32_e32 v41, 7, v43
	v_lshrrev_b32_e32 v44, 3, v45
	s_mov_b32 s44, exec_lo
	v_cmpx_gt_u32_e32 8, v45
; %bb.21:                               ;   in Loop: Header=BB182_12 Depth=1
	v_ffbh_u32_e32 v44, v41
	v_min_u32_e32 v44, 32, v44
	v_subrev_nc_u32_e32 v45, 28, v44
	v_sub_nc_u32_e32 v44, 29, v44
	v_lshlrev_b64 v[49:50], v45, v[41:42]
	v_and_b32_e32 v41, 7, v49
; %bb.22:                               ;   in Loop: Header=BB182_12 Depth=1
	s_or_b32 exec_lo, exec_lo, s44
	v_lshlrev_b32_e32 v45, 24, v43
	v_lshlrev_b32_e32 v41, 20, v41
	v_lshl_add_u32 v44, v44, 23, 0x3c000000
	v_and_b32_e32 v45, 0x80000000, v45
	v_or3_b32 v41, v41, v45, v44
	buffer_store_dword v41, off, s[48:51], 0 ; 4-byte Folded Spill
	buffer_store_dword v42, off, s[48:51], 0 offset:4 ; 4-byte Folded Spill
.LBB182_23:                             ;   in Loop: Header=BB182_12 Depth=1
	s_or_b32 exec_lo, exec_lo, s43
.LBB182_24:                             ;   in Loop: Header=BB182_12 Depth=1
	s_or_b32 exec_lo, exec_lo, s42
.LBB182_25:                             ;   in Loop: Header=BB182_12 Depth=1
	s_or_b32 exec_lo, exec_lo, s41
	v_cmp_ne_u16_sdwa s2, v43, v42 src0_sel:BYTE_1 src1_sel:DWORD
	s_and_saveexec_b32 s41, s2
	s_cbranch_execz .LBB182_33
; %bb.26:                               ;   in Loop: Header=BB182_12 Depth=1
	v_mov_b32_e32 v53, v42
	v_cmp_ne_u16_sdwa s2, v43, v56 src0_sel:BYTE_1 src1_sel:DWORD
	buffer_store_dword v53, off, s[48:51], 0 offset:8 ; 4-byte Folded Spill
	buffer_store_dword v54, off, s[48:51], 0 offset:12 ; 4-byte Folded Spill
	s_and_saveexec_b32 s42, s2
	s_cbranch_execz .LBB182_32
; %bb.27:                               ;   in Loop: Header=BB182_12 Depth=1
	v_mov_b32_e32 v41, 0xffff
	v_mov_b32_e32 v45, v42
	s_mov_b32 s43, exec_lo
	buffer_store_dword v45, off, s[48:51], 0 offset:8 ; 4-byte Folded Spill
	buffer_store_dword v46, off, s[48:51], 0 offset:12 ; 4-byte Folded Spill
	v_and_b32_sdwa v41, v41, v43 dst_sel:DWORD dst_unused:UNUSED_PAD src0_sel:DWORD src1_sel:BYTE_1
	v_and_b32_e32 v49, 0x7f, v41
	v_cmpx_ne_u32_e32 0x7f, v49
	s_cbranch_execz .LBB182_31
; %bb.28:                               ;   in Loop: Header=BB182_12 Depth=1
	v_and_b32_e32 v41, 7, v41
	v_lshrrev_b32_e32 v44, 3, v49
	s_mov_b32 s44, exec_lo
	v_cmpx_gt_u32_e32 8, v49
; %bb.29:                               ;   in Loop: Header=BB182_12 Depth=1
	v_ffbh_u32_e32 v44, v41
	v_min_u32_e32 v44, 32, v44
	v_subrev_nc_u32_e32 v45, 28, v44
	v_sub_nc_u32_e32 v44, 29, v44
	v_lshlrev_b64 v[49:50], v45, v[41:42]
	v_and_b32_e32 v41, 7, v49
; %bb.30:                               ;   in Loop: Header=BB182_12 Depth=1
	s_or_b32 exec_lo, exec_lo, s44
	v_lshlrev_b32_e32 v43, 16, v43
	v_lshlrev_b32_e32 v41, 20, v41
	v_lshl_add_u32 v44, v44, 23, 0x3c000000
	v_and_b32_e32 v43, 0x80000000, v43
	v_or3_b32 v44, v41, v43, v44
	v_mov_b32_e32 v43, v42
	buffer_store_dword v43, off, s[48:51], 0 offset:8 ; 4-byte Folded Spill
	buffer_store_dword v44, off, s[48:51], 0 offset:12 ; 4-byte Folded Spill
.LBB182_31:                             ;   in Loop: Header=BB182_12 Depth=1
	s_or_b32 exec_lo, exec_lo, s43
.LBB182_32:                             ;   in Loop: Header=BB182_12 Depth=1
	s_or_b32 exec_lo, exec_lo, s42
.LBB182_33:                             ;   in Loop: Header=BB182_12 Depth=1
	s_or_b32 exec_lo, exec_lo, s41
	global_load_ushort v41, v[59:60], off offset:4
	v_mov_b32_e32 v43, 0
	v_mov_b32_e32 v44, 0
	buffer_store_dword v43, off, s[48:51], 0 offset:24 ; 4-byte Folded Spill
	buffer_store_dword v44, off, s[48:51], 0 offset:28 ; 4-byte Folded Spill
	v_mov_b32_e32 v43, 0
	v_mov_b32_e32 v44, 0
	buffer_store_dword v43, off, s[48:51], 0 offset:16 ; 4-byte Folded Spill
	buffer_store_dword v44, off, s[48:51], 0 offset:20 ; 4-byte Folded Spill
	s_waitcnt vmcnt(0)
	v_and_b32_e32 v43, 0xffff, v41
	v_cmp_ne_u16_sdwa s2, v41, v42 src0_sel:BYTE_0 src1_sel:DWORD
	s_and_saveexec_b32 s41, s2
	s_cbranch_execz .LBB182_41
; %bb.34:                               ;   in Loop: Header=BB182_12 Depth=1
	v_bfrev_b32_e32 v44, 1
	v_mov_b32_e32 v45, 0
	v_cmp_ne_u16_sdwa s2, v43, v56 src0_sel:BYTE_0 src1_sel:DWORD
	buffer_store_dword v44, off, s[48:51], 0 offset:16 ; 4-byte Folded Spill
	buffer_store_dword v45, off, s[48:51], 0 offset:20 ; 4-byte Folded Spill
	s_and_saveexec_b32 s42, s2
	s_cbranch_execz .LBB182_40
; %bb.35:                               ;   in Loop: Header=BB182_12 Depth=1
	v_mov_b32_e32 v49, 0x7f800001
	v_and_b32_e32 v45, 0x7f, v43
	v_mov_b32_e32 v50, 0
	s_mov_b32 s43, exec_lo
	buffer_store_dword v49, off, s[48:51], 0 offset:16 ; 4-byte Folded Spill
	buffer_store_dword v50, off, s[48:51], 0 offset:20 ; 4-byte Folded Spill
	v_cmpx_ne_u32_e32 0x7f, v45
	s_cbranch_execz .LBB182_39
; %bb.36:                               ;   in Loop: Header=BB182_12 Depth=1
	v_and_b32_e32 v41, 7, v43
	v_lshrrev_b32_e32 v44, 3, v45
	s_mov_b32 s44, exec_lo
	v_cmpx_gt_u32_e32 8, v45
; %bb.37:                               ;   in Loop: Header=BB182_12 Depth=1
	v_ffbh_u32_e32 v44, v41
	v_min_u32_e32 v44, 32, v44
	v_subrev_nc_u32_e32 v45, 28, v44
	v_sub_nc_u32_e32 v44, 29, v44
	v_lshlrev_b64 v[49:50], v45, v[41:42]
	v_and_b32_e32 v41, 7, v49
; %bb.38:                               ;   in Loop: Header=BB182_12 Depth=1
	s_or_b32 exec_lo, exec_lo, s44
	v_lshlrev_b32_e32 v45, 24, v43
	v_lshlrev_b32_e32 v41, 20, v41
	v_lshl_add_u32 v44, v44, 23, 0x3c000000
	v_and_b32_e32 v45, 0x80000000, v45
	v_or3_b32 v41, v41, v45, v44
	buffer_store_dword v41, off, s[48:51], 0 offset:16 ; 4-byte Folded Spill
	buffer_store_dword v42, off, s[48:51], 0 offset:20 ; 4-byte Folded Spill
.LBB182_39:                             ;   in Loop: Header=BB182_12 Depth=1
	s_or_b32 exec_lo, exec_lo, s43
.LBB182_40:                             ;   in Loop: Header=BB182_12 Depth=1
	s_or_b32 exec_lo, exec_lo, s42
.LBB182_41:                             ;   in Loop: Header=BB182_12 Depth=1
	s_or_b32 exec_lo, exec_lo, s41
	v_cmp_ne_u16_sdwa s2, v43, v42 src0_sel:BYTE_1 src1_sel:DWORD
	s_and_saveexec_b32 s41, s2
	s_cbranch_execz .LBB182_49
; %bb.42:                               ;   in Loop: Header=BB182_12 Depth=1
	v_mov_b32_e32 v53, v42
	v_cmp_ne_u16_sdwa s2, v43, v56 src0_sel:BYTE_1 src1_sel:DWORD
	buffer_store_dword v53, off, s[48:51], 0 offset:24 ; 4-byte Folded Spill
	buffer_store_dword v54, off, s[48:51], 0 offset:28 ; 4-byte Folded Spill
	s_and_saveexec_b32 s42, s2
	s_cbranch_execz .LBB182_48
; %bb.43:                               ;   in Loop: Header=BB182_12 Depth=1
	v_mov_b32_e32 v41, 0xffff
	v_mov_b32_e32 v45, v42
	s_mov_b32 s43, exec_lo
	buffer_store_dword v45, off, s[48:51], 0 offset:24 ; 4-byte Folded Spill
	buffer_store_dword v46, off, s[48:51], 0 offset:28 ; 4-byte Folded Spill
	v_and_b32_sdwa v41, v41, v43 dst_sel:DWORD dst_unused:UNUSED_PAD src0_sel:DWORD src1_sel:BYTE_1
	v_and_b32_e32 v49, 0x7f, v41
	v_cmpx_ne_u32_e32 0x7f, v49
	s_cbranch_execz .LBB182_47
; %bb.44:                               ;   in Loop: Header=BB182_12 Depth=1
	v_and_b32_e32 v41, 7, v41
	v_lshrrev_b32_e32 v44, 3, v49
	s_mov_b32 s44, exec_lo
	v_cmpx_gt_u32_e32 8, v49
; %bb.45:                               ;   in Loop: Header=BB182_12 Depth=1
	v_ffbh_u32_e32 v44, v41
	v_min_u32_e32 v44, 32, v44
	v_subrev_nc_u32_e32 v45, 28, v44
	v_sub_nc_u32_e32 v44, 29, v44
	v_lshlrev_b64 v[49:50], v45, v[41:42]
	v_and_b32_e32 v41, 7, v49
; %bb.46:                               ;   in Loop: Header=BB182_12 Depth=1
	s_or_b32 exec_lo, exec_lo, s44
	v_lshlrev_b32_e32 v43, 16, v43
	v_lshlrev_b32_e32 v41, 20, v41
	v_lshl_add_u32 v44, v44, 23, 0x3c000000
	v_and_b32_e32 v43, 0x80000000, v43
	v_or3_b32 v44, v41, v43, v44
	v_mov_b32_e32 v43, v42
	buffer_store_dword v43, off, s[48:51], 0 offset:24 ; 4-byte Folded Spill
	buffer_store_dword v44, off, s[48:51], 0 offset:28 ; 4-byte Folded Spill
.LBB182_47:                             ;   in Loop: Header=BB182_12 Depth=1
	s_or_b32 exec_lo, exec_lo, s43
.LBB182_48:                             ;   in Loop: Header=BB182_12 Depth=1
	s_or_b32 exec_lo, exec_lo, s42
.LBB182_49:                             ;   in Loop: Header=BB182_12 Depth=1
	s_or_b32 exec_lo, exec_lo, s41
	global_load_ushort v41, v[59:60], off offset:8
	v_mov_b32_e32 v63, 0
	v_mov_b32_e32 v61, 0
	v_mov_b32_e32 v64, 0
	v_mov_b32_e32 v62, 0
	s_waitcnt vmcnt(0)
	v_and_b32_e32 v43, 0xffff, v41
	v_cmp_ne_u16_sdwa s2, v41, v42 src0_sel:BYTE_0 src1_sel:DWORD
	s_and_saveexec_b32 s41, s2
	s_cbranch_execz .LBB182_57
; %bb.50:                               ;   in Loop: Header=BB182_12 Depth=1
	v_bfrev_b32_e32 v61, 1
	v_mov_b32_e32 v62, 0
	v_cmp_ne_u16_sdwa s2, v43, v56 src0_sel:BYTE_0 src1_sel:DWORD
	s_and_saveexec_b32 s42, s2
	s_cbranch_execz .LBB182_56
; %bb.51:                               ;   in Loop: Header=BB182_12 Depth=1
	v_mov_b32_e32 v61, 0x7f800001
	v_and_b32_e32 v45, 0x7f, v43
	v_mov_b32_e32 v62, 0
	s_mov_b32 s43, exec_lo
	v_cmpx_ne_u32_e32 0x7f, v45
	s_cbranch_execz .LBB182_55
; %bb.52:                               ;   in Loop: Header=BB182_12 Depth=1
	v_and_b32_e32 v41, 7, v43
	v_lshrrev_b32_e32 v44, 3, v45
	s_mov_b32 s44, exec_lo
	v_cmpx_gt_u32_e32 8, v45
; %bb.53:                               ;   in Loop: Header=BB182_12 Depth=1
	v_ffbh_u32_e32 v44, v41
	v_min_u32_e32 v44, 32, v44
	v_subrev_nc_u32_e32 v45, 28, v44
	v_sub_nc_u32_e32 v44, 29, v44
	v_lshlrev_b64 v[49:50], v45, v[41:42]
	v_and_b32_e32 v41, 7, v49
; %bb.54:                               ;   in Loop: Header=BB182_12 Depth=1
	s_or_b32 exec_lo, exec_lo, s44
	v_lshlrev_b32_e32 v45, 24, v43
	v_lshlrev_b32_e32 v41, 20, v41
	v_lshl_add_u32 v44, v44, 23, 0x3c000000
	v_and_b32_e32 v45, 0x80000000, v45
	v_or3_b32 v41, v41, v45, v44
	v_mov_b32_e32 v62, v42
	v_mov_b32_e32 v61, v41
.LBB182_55:                             ;   in Loop: Header=BB182_12 Depth=1
	s_or_b32 exec_lo, exec_lo, s43
.LBB182_56:                             ;   in Loop: Header=BB182_12 Depth=1
	s_or_b32 exec_lo, exec_lo, s42
.LBB182_57:                             ;   in Loop: Header=BB182_12 Depth=1
	s_or_b32 exec_lo, exec_lo, s41
	v_cmp_ne_u16_sdwa s2, v43, v42 src0_sel:BYTE_1 src1_sel:DWORD
	s_and_saveexec_b32 s41, s2
	s_cbranch_execz .LBB182_65
; %bb.58:                               ;   in Loop: Header=BB182_12 Depth=1
	v_mov_b32_e32 v53, v42
	v_mov_b32_e32 v64, v54
	v_cmp_ne_u16_sdwa s2, v43, v56 src0_sel:BYTE_1 src1_sel:DWORD
	v_mov_b32_e32 v63, v53
	s_and_saveexec_b32 s42, s2
	s_cbranch_execz .LBB182_64
; %bb.59:                               ;   in Loop: Header=BB182_12 Depth=1
	v_mov_b32_e32 v41, 0xffff
	v_mov_b32_e32 v45, v42
	;; [unrolled: 1-line block ×3, first 2 shown]
	s_mov_b32 s43, exec_lo
	v_and_b32_sdwa v41, v41, v43 dst_sel:DWORD dst_unused:UNUSED_PAD src0_sel:DWORD src1_sel:BYTE_1
	v_mov_b32_e32 v63, v45
	v_and_b32_e32 v49, 0x7f, v41
	v_cmpx_ne_u32_e32 0x7f, v49
	s_cbranch_execz .LBB182_63
; %bb.60:                               ;   in Loop: Header=BB182_12 Depth=1
	v_and_b32_e32 v41, 7, v41
	v_lshrrev_b32_e32 v44, 3, v49
	s_mov_b32 s44, exec_lo
	v_cmpx_gt_u32_e32 8, v49
; %bb.61:                               ;   in Loop: Header=BB182_12 Depth=1
	v_ffbh_u32_e32 v44, v41
	v_min_u32_e32 v44, 32, v44
	v_subrev_nc_u32_e32 v45, 28, v44
	v_sub_nc_u32_e32 v44, 29, v44
	v_lshlrev_b64 v[49:50], v45, v[41:42]
	v_and_b32_e32 v41, 7, v49
; %bb.62:                               ;   in Loop: Header=BB182_12 Depth=1
	s_or_b32 exec_lo, exec_lo, s44
	v_lshlrev_b32_e32 v43, 16, v43
	v_lshlrev_b32_e32 v41, 20, v41
	v_lshl_add_u32 v44, v44, 23, 0x3c000000
	v_mov_b32_e32 v63, v42
	v_and_b32_e32 v43, 0x80000000, v43
	v_or3_b32 v64, v41, v43, v44
.LBB182_63:                             ;   in Loop: Header=BB182_12 Depth=1
	s_or_b32 exec_lo, exec_lo, s43
.LBB182_64:                             ;   in Loop: Header=BB182_12 Depth=1
	s_or_b32 exec_lo, exec_lo, s42
.LBB182_65:                             ;   in Loop: Header=BB182_12 Depth=1
	s_or_b32 exec_lo, exec_lo, s41
	global_load_ushort v41, v[59:60], off offset:12
	v_mov_b32_e32 v67, 0
	v_mov_b32_e32 v65, 0
	;; [unrolled: 1-line block ×4, first 2 shown]
	s_waitcnt vmcnt(0)
	v_and_b32_e32 v43, 0xffff, v41
	v_cmp_ne_u16_sdwa s2, v41, v42 src0_sel:BYTE_0 src1_sel:DWORD
	s_and_saveexec_b32 s41, s2
	s_cbranch_execz .LBB182_73
; %bb.66:                               ;   in Loop: Header=BB182_12 Depth=1
	v_bfrev_b32_e32 v65, 1
	v_mov_b32_e32 v66, 0
	v_cmp_ne_u16_sdwa s2, v43, v56 src0_sel:BYTE_0 src1_sel:DWORD
	s_and_saveexec_b32 s42, s2
	s_cbranch_execz .LBB182_72
; %bb.67:                               ;   in Loop: Header=BB182_12 Depth=1
	v_mov_b32_e32 v65, 0x7f800001
	v_and_b32_e32 v45, 0x7f, v43
	v_mov_b32_e32 v66, 0
	s_mov_b32 s43, exec_lo
	v_cmpx_ne_u32_e32 0x7f, v45
	s_cbranch_execz .LBB182_71
; %bb.68:                               ;   in Loop: Header=BB182_12 Depth=1
	v_and_b32_e32 v41, 7, v43
	v_lshrrev_b32_e32 v44, 3, v45
	s_mov_b32 s44, exec_lo
	v_cmpx_gt_u32_e32 8, v45
; %bb.69:                               ;   in Loop: Header=BB182_12 Depth=1
	v_ffbh_u32_e32 v44, v41
	v_min_u32_e32 v44, 32, v44
	v_subrev_nc_u32_e32 v45, 28, v44
	v_sub_nc_u32_e32 v44, 29, v44
	v_lshlrev_b64 v[49:50], v45, v[41:42]
	v_and_b32_e32 v41, 7, v49
; %bb.70:                               ;   in Loop: Header=BB182_12 Depth=1
	s_or_b32 exec_lo, exec_lo, s44
	v_lshlrev_b32_e32 v45, 24, v43
	v_lshlrev_b32_e32 v41, 20, v41
	v_lshl_add_u32 v44, v44, 23, 0x3c000000
	v_and_b32_e32 v45, 0x80000000, v45
	v_or3_b32 v41, v41, v45, v44
	v_mov_b32_e32 v66, v42
	v_mov_b32_e32 v65, v41
.LBB182_71:                             ;   in Loop: Header=BB182_12 Depth=1
	s_or_b32 exec_lo, exec_lo, s43
.LBB182_72:                             ;   in Loop: Header=BB182_12 Depth=1
	s_or_b32 exec_lo, exec_lo, s42
.LBB182_73:                             ;   in Loop: Header=BB182_12 Depth=1
	s_or_b32 exec_lo, exec_lo, s41
	v_cmp_ne_u16_sdwa s2, v43, v42 src0_sel:BYTE_1 src1_sel:DWORD
	s_and_saveexec_b32 s41, s2
	s_cbranch_execz .LBB182_81
; %bb.74:                               ;   in Loop: Header=BB182_12 Depth=1
	v_mov_b32_e32 v53, v42
	v_mov_b32_e32 v68, v54
	v_cmp_ne_u16_sdwa s2, v43, v56 src0_sel:BYTE_1 src1_sel:DWORD
	v_mov_b32_e32 v67, v53
	s_and_saveexec_b32 s42, s2
	s_cbranch_execz .LBB182_80
; %bb.75:                               ;   in Loop: Header=BB182_12 Depth=1
	v_mov_b32_e32 v41, 0xffff
	v_mov_b32_e32 v45, v42
	;; [unrolled: 1-line block ×3, first 2 shown]
	s_mov_b32 s43, exec_lo
	v_and_b32_sdwa v41, v41, v43 dst_sel:DWORD dst_unused:UNUSED_PAD src0_sel:DWORD src1_sel:BYTE_1
	v_mov_b32_e32 v67, v45
	v_and_b32_e32 v49, 0x7f, v41
	v_cmpx_ne_u32_e32 0x7f, v49
	s_cbranch_execz .LBB182_79
; %bb.76:                               ;   in Loop: Header=BB182_12 Depth=1
	v_and_b32_e32 v41, 7, v41
	v_lshrrev_b32_e32 v44, 3, v49
	s_mov_b32 s44, exec_lo
	v_cmpx_gt_u32_e32 8, v49
; %bb.77:                               ;   in Loop: Header=BB182_12 Depth=1
	v_ffbh_u32_e32 v44, v41
	v_min_u32_e32 v44, 32, v44
	v_subrev_nc_u32_e32 v45, 28, v44
	v_sub_nc_u32_e32 v44, 29, v44
	v_lshlrev_b64 v[49:50], v45, v[41:42]
	v_and_b32_e32 v41, 7, v49
; %bb.78:                               ;   in Loop: Header=BB182_12 Depth=1
	s_or_b32 exec_lo, exec_lo, s44
	v_lshlrev_b32_e32 v43, 16, v43
	v_lshlrev_b32_e32 v41, 20, v41
	v_lshl_add_u32 v44, v44, 23, 0x3c000000
	v_mov_b32_e32 v67, v42
	v_and_b32_e32 v43, 0x80000000, v43
	v_or3_b32 v68, v41, v43, v44
.LBB182_79:                             ;   in Loop: Header=BB182_12 Depth=1
	s_or_b32 exec_lo, exec_lo, s43
.LBB182_80:                             ;   in Loop: Header=BB182_12 Depth=1
	s_or_b32 exec_lo, exec_lo, s42
.LBB182_81:                             ;   in Loop: Header=BB182_12 Depth=1
	s_or_b32 exec_lo, exec_lo, s41
	global_load_ushort v41, v[59:60], off offset:256
	v_mov_b32_e32 v71, 0
	v_mov_b32_e32 v69, 0
	;; [unrolled: 1-line block ×4, first 2 shown]
	s_waitcnt vmcnt(0)
	v_and_b32_e32 v43, 0xffff, v41
	v_cmp_ne_u16_sdwa s2, v41, v42 src0_sel:BYTE_0 src1_sel:DWORD
	s_and_saveexec_b32 s41, s2
	s_cbranch_execz .LBB182_89
; %bb.82:                               ;   in Loop: Header=BB182_12 Depth=1
	v_bfrev_b32_e32 v69, 1
	v_mov_b32_e32 v70, 0
	v_cmp_ne_u16_sdwa s2, v43, v56 src0_sel:BYTE_0 src1_sel:DWORD
	s_and_saveexec_b32 s42, s2
	s_cbranch_execz .LBB182_88
; %bb.83:                               ;   in Loop: Header=BB182_12 Depth=1
	v_mov_b32_e32 v69, 0x7f800001
	v_and_b32_e32 v45, 0x7f, v43
	v_mov_b32_e32 v70, 0
	s_mov_b32 s43, exec_lo
	v_cmpx_ne_u32_e32 0x7f, v45
	s_cbranch_execz .LBB182_87
; %bb.84:                               ;   in Loop: Header=BB182_12 Depth=1
	v_and_b32_e32 v41, 7, v43
	v_lshrrev_b32_e32 v44, 3, v45
	s_mov_b32 s44, exec_lo
	v_cmpx_gt_u32_e32 8, v45
; %bb.85:                               ;   in Loop: Header=BB182_12 Depth=1
	v_ffbh_u32_e32 v44, v41
	v_min_u32_e32 v44, 32, v44
	v_subrev_nc_u32_e32 v45, 28, v44
	v_sub_nc_u32_e32 v44, 29, v44
	v_lshlrev_b64 v[49:50], v45, v[41:42]
	v_and_b32_e32 v41, 7, v49
; %bb.86:                               ;   in Loop: Header=BB182_12 Depth=1
	s_or_b32 exec_lo, exec_lo, s44
	v_lshlrev_b32_e32 v45, 24, v43
	v_lshlrev_b32_e32 v41, 20, v41
	v_lshl_add_u32 v44, v44, 23, 0x3c000000
	v_and_b32_e32 v45, 0x80000000, v45
	v_or3_b32 v41, v41, v45, v44
	v_mov_b32_e32 v70, v42
	v_mov_b32_e32 v69, v41
.LBB182_87:                             ;   in Loop: Header=BB182_12 Depth=1
	s_or_b32 exec_lo, exec_lo, s43
.LBB182_88:                             ;   in Loop: Header=BB182_12 Depth=1
	s_or_b32 exec_lo, exec_lo, s42
.LBB182_89:                             ;   in Loop: Header=BB182_12 Depth=1
	s_or_b32 exec_lo, exec_lo, s41
	v_cmp_ne_u16_sdwa s2, v43, v42 src0_sel:BYTE_1 src1_sel:DWORD
	s_and_saveexec_b32 s41, s2
	s_cbranch_execz .LBB182_97
; %bb.90:                               ;   in Loop: Header=BB182_12 Depth=1
	v_mov_b32_e32 v53, v42
	v_mov_b32_e32 v72, v54
	v_cmp_ne_u16_sdwa s2, v43, v56 src0_sel:BYTE_1 src1_sel:DWORD
	v_mov_b32_e32 v71, v53
	s_and_saveexec_b32 s42, s2
	s_cbranch_execz .LBB182_96
; %bb.91:                               ;   in Loop: Header=BB182_12 Depth=1
	v_mov_b32_e32 v41, 0xffff
	v_mov_b32_e32 v45, v42
	;; [unrolled: 1-line block ×3, first 2 shown]
	s_mov_b32 s43, exec_lo
	v_and_b32_sdwa v41, v41, v43 dst_sel:DWORD dst_unused:UNUSED_PAD src0_sel:DWORD src1_sel:BYTE_1
	v_mov_b32_e32 v71, v45
	v_and_b32_e32 v49, 0x7f, v41
	v_cmpx_ne_u32_e32 0x7f, v49
	s_cbranch_execz .LBB182_95
; %bb.92:                               ;   in Loop: Header=BB182_12 Depth=1
	v_and_b32_e32 v41, 7, v41
	v_lshrrev_b32_e32 v44, 3, v49
	s_mov_b32 s44, exec_lo
	v_cmpx_gt_u32_e32 8, v49
; %bb.93:                               ;   in Loop: Header=BB182_12 Depth=1
	v_ffbh_u32_e32 v44, v41
	v_min_u32_e32 v44, 32, v44
	v_subrev_nc_u32_e32 v45, 28, v44
	v_sub_nc_u32_e32 v44, 29, v44
	v_lshlrev_b64 v[49:50], v45, v[41:42]
	v_and_b32_e32 v41, 7, v49
; %bb.94:                               ;   in Loop: Header=BB182_12 Depth=1
	s_or_b32 exec_lo, exec_lo, s44
	v_lshlrev_b32_e32 v43, 16, v43
	v_lshlrev_b32_e32 v41, 20, v41
	v_lshl_add_u32 v44, v44, 23, 0x3c000000
	v_mov_b32_e32 v71, v42
	v_and_b32_e32 v43, 0x80000000, v43
	v_or3_b32 v72, v41, v43, v44
.LBB182_95:                             ;   in Loop: Header=BB182_12 Depth=1
	s_or_b32 exec_lo, exec_lo, s43
.LBB182_96:                             ;   in Loop: Header=BB182_12 Depth=1
	s_or_b32 exec_lo, exec_lo, s42
.LBB182_97:                             ;   in Loop: Header=BB182_12 Depth=1
	s_or_b32 exec_lo, exec_lo, s41
	global_load_ushort v41, v[59:60], off offset:260
	v_mov_b32_e32 v75, 0
	v_mov_b32_e32 v73, 0
	;; [unrolled: 1-line block ×4, first 2 shown]
	s_waitcnt vmcnt(0)
	v_and_b32_e32 v43, 0xffff, v41
	v_cmp_ne_u16_sdwa s2, v41, v42 src0_sel:BYTE_0 src1_sel:DWORD
	s_and_saveexec_b32 s41, s2
	s_cbranch_execz .LBB182_105
; %bb.98:                               ;   in Loop: Header=BB182_12 Depth=1
	v_bfrev_b32_e32 v73, 1
	v_mov_b32_e32 v74, 0
	v_cmp_ne_u16_sdwa s2, v43, v56 src0_sel:BYTE_0 src1_sel:DWORD
	s_and_saveexec_b32 s42, s2
	s_cbranch_execz .LBB182_104
; %bb.99:                               ;   in Loop: Header=BB182_12 Depth=1
	v_mov_b32_e32 v73, 0x7f800001
	v_and_b32_e32 v45, 0x7f, v43
	v_mov_b32_e32 v74, 0
	s_mov_b32 s43, exec_lo
	v_cmpx_ne_u32_e32 0x7f, v45
	s_cbranch_execz .LBB182_103
; %bb.100:                              ;   in Loop: Header=BB182_12 Depth=1
	v_and_b32_e32 v41, 7, v43
	v_lshrrev_b32_e32 v44, 3, v45
	s_mov_b32 s44, exec_lo
	v_cmpx_gt_u32_e32 8, v45
; %bb.101:                              ;   in Loop: Header=BB182_12 Depth=1
	v_ffbh_u32_e32 v44, v41
	v_min_u32_e32 v44, 32, v44
	v_subrev_nc_u32_e32 v45, 28, v44
	v_sub_nc_u32_e32 v44, 29, v44
	v_lshlrev_b64 v[49:50], v45, v[41:42]
	v_and_b32_e32 v41, 7, v49
; %bb.102:                              ;   in Loop: Header=BB182_12 Depth=1
	s_or_b32 exec_lo, exec_lo, s44
	v_lshlrev_b32_e32 v45, 24, v43
	v_lshlrev_b32_e32 v41, 20, v41
	v_lshl_add_u32 v44, v44, 23, 0x3c000000
	v_and_b32_e32 v45, 0x80000000, v45
	v_or3_b32 v41, v41, v45, v44
	v_mov_b32_e32 v74, v42
	v_mov_b32_e32 v73, v41
.LBB182_103:                            ;   in Loop: Header=BB182_12 Depth=1
	s_or_b32 exec_lo, exec_lo, s43
.LBB182_104:                            ;   in Loop: Header=BB182_12 Depth=1
	s_or_b32 exec_lo, exec_lo, s42
.LBB182_105:                            ;   in Loop: Header=BB182_12 Depth=1
	s_or_b32 exec_lo, exec_lo, s41
	v_cmp_ne_u16_sdwa s2, v43, v42 src0_sel:BYTE_1 src1_sel:DWORD
	s_and_saveexec_b32 s41, s2
	s_cbranch_execz .LBB182_113
; %bb.106:                              ;   in Loop: Header=BB182_12 Depth=1
	v_mov_b32_e32 v53, v42
	v_mov_b32_e32 v76, v54
	v_cmp_ne_u16_sdwa s2, v43, v56 src0_sel:BYTE_1 src1_sel:DWORD
	v_mov_b32_e32 v75, v53
	s_and_saveexec_b32 s42, s2
	s_cbranch_execz .LBB182_112
; %bb.107:                              ;   in Loop: Header=BB182_12 Depth=1
	v_mov_b32_e32 v41, 0xffff
	v_mov_b32_e32 v45, v42
	v_mov_b32_e32 v76, v46
	s_mov_b32 s43, exec_lo
	v_and_b32_sdwa v41, v41, v43 dst_sel:DWORD dst_unused:UNUSED_PAD src0_sel:DWORD src1_sel:BYTE_1
	v_mov_b32_e32 v75, v45
	v_and_b32_e32 v49, 0x7f, v41
	v_cmpx_ne_u32_e32 0x7f, v49
	s_cbranch_execz .LBB182_111
; %bb.108:                              ;   in Loop: Header=BB182_12 Depth=1
	v_and_b32_e32 v41, 7, v41
	v_lshrrev_b32_e32 v44, 3, v49
	s_mov_b32 s44, exec_lo
	v_cmpx_gt_u32_e32 8, v49
; %bb.109:                              ;   in Loop: Header=BB182_12 Depth=1
	v_ffbh_u32_e32 v44, v41
	v_min_u32_e32 v44, 32, v44
	v_subrev_nc_u32_e32 v45, 28, v44
	v_sub_nc_u32_e32 v44, 29, v44
	v_lshlrev_b64 v[49:50], v45, v[41:42]
	v_and_b32_e32 v41, 7, v49
; %bb.110:                              ;   in Loop: Header=BB182_12 Depth=1
	s_or_b32 exec_lo, exec_lo, s44
	v_lshlrev_b32_e32 v43, 16, v43
	v_lshlrev_b32_e32 v41, 20, v41
	v_lshl_add_u32 v44, v44, 23, 0x3c000000
	v_mov_b32_e32 v75, v42
	v_and_b32_e32 v43, 0x80000000, v43
	v_or3_b32 v76, v41, v43, v44
.LBB182_111:                            ;   in Loop: Header=BB182_12 Depth=1
	s_or_b32 exec_lo, exec_lo, s43
.LBB182_112:                            ;   in Loop: Header=BB182_12 Depth=1
	s_or_b32 exec_lo, exec_lo, s42
.LBB182_113:                            ;   in Loop: Header=BB182_12 Depth=1
	s_or_b32 exec_lo, exec_lo, s41
	global_load_ushort v41, v[59:60], off offset:264
	v_mov_b32_e32 v79, 0
	v_mov_b32_e32 v77, 0
	;; [unrolled: 1-line block ×4, first 2 shown]
	s_waitcnt vmcnt(0)
	v_and_b32_e32 v43, 0xffff, v41
	v_cmp_ne_u16_sdwa s2, v41, v42 src0_sel:BYTE_0 src1_sel:DWORD
	s_and_saveexec_b32 s41, s2
	s_cbranch_execz .LBB182_121
; %bb.114:                              ;   in Loop: Header=BB182_12 Depth=1
	v_bfrev_b32_e32 v77, 1
	v_mov_b32_e32 v78, 0
	v_cmp_ne_u16_sdwa s2, v43, v56 src0_sel:BYTE_0 src1_sel:DWORD
	s_and_saveexec_b32 s42, s2
	s_cbranch_execz .LBB182_120
; %bb.115:                              ;   in Loop: Header=BB182_12 Depth=1
	v_mov_b32_e32 v77, 0x7f800001
	v_and_b32_e32 v45, 0x7f, v43
	v_mov_b32_e32 v78, 0
	s_mov_b32 s43, exec_lo
	v_cmpx_ne_u32_e32 0x7f, v45
	s_cbranch_execz .LBB182_119
; %bb.116:                              ;   in Loop: Header=BB182_12 Depth=1
	v_and_b32_e32 v41, 7, v43
	v_lshrrev_b32_e32 v44, 3, v45
	s_mov_b32 s44, exec_lo
	v_cmpx_gt_u32_e32 8, v45
; %bb.117:                              ;   in Loop: Header=BB182_12 Depth=1
	v_ffbh_u32_e32 v44, v41
	v_min_u32_e32 v44, 32, v44
	v_subrev_nc_u32_e32 v45, 28, v44
	v_sub_nc_u32_e32 v44, 29, v44
	v_lshlrev_b64 v[49:50], v45, v[41:42]
	v_and_b32_e32 v41, 7, v49
; %bb.118:                              ;   in Loop: Header=BB182_12 Depth=1
	s_or_b32 exec_lo, exec_lo, s44
	v_lshlrev_b32_e32 v45, 24, v43
	v_lshlrev_b32_e32 v41, 20, v41
	v_lshl_add_u32 v44, v44, 23, 0x3c000000
	v_and_b32_e32 v45, 0x80000000, v45
	v_or3_b32 v41, v41, v45, v44
	v_mov_b32_e32 v78, v42
	v_mov_b32_e32 v77, v41
.LBB182_119:                            ;   in Loop: Header=BB182_12 Depth=1
	s_or_b32 exec_lo, exec_lo, s43
.LBB182_120:                            ;   in Loop: Header=BB182_12 Depth=1
	s_or_b32 exec_lo, exec_lo, s42
.LBB182_121:                            ;   in Loop: Header=BB182_12 Depth=1
	s_or_b32 exec_lo, exec_lo, s41
	v_cmp_ne_u16_sdwa s2, v43, v42 src0_sel:BYTE_1 src1_sel:DWORD
	s_and_saveexec_b32 s41, s2
	s_cbranch_execz .LBB182_129
; %bb.122:                              ;   in Loop: Header=BB182_12 Depth=1
	v_mov_b32_e32 v53, v42
	v_mov_b32_e32 v80, v54
	v_cmp_ne_u16_sdwa s2, v43, v56 src0_sel:BYTE_1 src1_sel:DWORD
	v_mov_b32_e32 v79, v53
	s_and_saveexec_b32 s42, s2
	s_cbranch_execz .LBB182_128
; %bb.123:                              ;   in Loop: Header=BB182_12 Depth=1
	v_mov_b32_e32 v41, 0xffff
	v_mov_b32_e32 v45, v42
	;; [unrolled: 1-line block ×3, first 2 shown]
	s_mov_b32 s43, exec_lo
	v_and_b32_sdwa v41, v41, v43 dst_sel:DWORD dst_unused:UNUSED_PAD src0_sel:DWORD src1_sel:BYTE_1
	v_mov_b32_e32 v79, v45
	v_and_b32_e32 v49, 0x7f, v41
	v_cmpx_ne_u32_e32 0x7f, v49
	s_cbranch_execz .LBB182_127
; %bb.124:                              ;   in Loop: Header=BB182_12 Depth=1
	v_and_b32_e32 v41, 7, v41
	v_lshrrev_b32_e32 v44, 3, v49
	s_mov_b32 s44, exec_lo
	v_cmpx_gt_u32_e32 8, v49
; %bb.125:                              ;   in Loop: Header=BB182_12 Depth=1
	v_ffbh_u32_e32 v44, v41
	v_min_u32_e32 v44, 32, v44
	v_subrev_nc_u32_e32 v45, 28, v44
	v_sub_nc_u32_e32 v44, 29, v44
	v_lshlrev_b64 v[49:50], v45, v[41:42]
	v_and_b32_e32 v41, 7, v49
; %bb.126:                              ;   in Loop: Header=BB182_12 Depth=1
	s_or_b32 exec_lo, exec_lo, s44
	v_lshlrev_b32_e32 v43, 16, v43
	v_lshlrev_b32_e32 v41, 20, v41
	v_lshl_add_u32 v44, v44, 23, 0x3c000000
	v_mov_b32_e32 v79, v42
	v_and_b32_e32 v43, 0x80000000, v43
	v_or3_b32 v80, v41, v43, v44
.LBB182_127:                            ;   in Loop: Header=BB182_12 Depth=1
	s_or_b32 exec_lo, exec_lo, s43
.LBB182_128:                            ;   in Loop: Header=BB182_12 Depth=1
	s_or_b32 exec_lo, exec_lo, s42
.LBB182_129:                            ;   in Loop: Header=BB182_12 Depth=1
	s_or_b32 exec_lo, exec_lo, s41
	global_load_ushort v41, v[59:60], off offset:268
	v_mov_b32_e32 v83, 0
	v_mov_b32_e32 v81, 0
	v_mov_b32_e32 v84, 0
	v_mov_b32_e32 v82, 0
	s_waitcnt vmcnt(0)
	v_and_b32_e32 v43, 0xffff, v41
	v_cmp_ne_u16_sdwa s2, v41, v42 src0_sel:BYTE_0 src1_sel:DWORD
	s_and_saveexec_b32 s41, s2
	s_cbranch_execz .LBB182_137
; %bb.130:                              ;   in Loop: Header=BB182_12 Depth=1
	v_bfrev_b32_e32 v81, 1
	v_mov_b32_e32 v82, 0
	v_cmp_ne_u16_sdwa s2, v43, v56 src0_sel:BYTE_0 src1_sel:DWORD
	s_and_saveexec_b32 s42, s2
	s_cbranch_execz .LBB182_136
; %bb.131:                              ;   in Loop: Header=BB182_12 Depth=1
	v_mov_b32_e32 v81, 0x7f800001
	v_and_b32_e32 v45, 0x7f, v43
	v_mov_b32_e32 v82, 0
	s_mov_b32 s43, exec_lo
	v_cmpx_ne_u32_e32 0x7f, v45
	s_cbranch_execz .LBB182_135
; %bb.132:                              ;   in Loop: Header=BB182_12 Depth=1
	v_and_b32_e32 v41, 7, v43
	v_lshrrev_b32_e32 v44, 3, v45
	s_mov_b32 s44, exec_lo
	v_cmpx_gt_u32_e32 8, v45
; %bb.133:                              ;   in Loop: Header=BB182_12 Depth=1
	v_ffbh_u32_e32 v44, v41
	v_min_u32_e32 v44, 32, v44
	v_subrev_nc_u32_e32 v45, 28, v44
	v_sub_nc_u32_e32 v44, 29, v44
	v_lshlrev_b64 v[49:50], v45, v[41:42]
	v_and_b32_e32 v41, 7, v49
; %bb.134:                              ;   in Loop: Header=BB182_12 Depth=1
	s_or_b32 exec_lo, exec_lo, s44
	v_lshlrev_b32_e32 v45, 24, v43
	v_lshlrev_b32_e32 v41, 20, v41
	v_lshl_add_u32 v44, v44, 23, 0x3c000000
	v_and_b32_e32 v45, 0x80000000, v45
	v_or3_b32 v41, v41, v45, v44
	v_mov_b32_e32 v82, v42
	v_mov_b32_e32 v81, v41
.LBB182_135:                            ;   in Loop: Header=BB182_12 Depth=1
	s_or_b32 exec_lo, exec_lo, s43
.LBB182_136:                            ;   in Loop: Header=BB182_12 Depth=1
	s_or_b32 exec_lo, exec_lo, s42
.LBB182_137:                            ;   in Loop: Header=BB182_12 Depth=1
	s_or_b32 exec_lo, exec_lo, s41
	v_cmp_ne_u16_sdwa s2, v43, v42 src0_sel:BYTE_1 src1_sel:DWORD
	s_and_saveexec_b32 s41, s2
	s_cbranch_execz .LBB182_145
; %bb.138:                              ;   in Loop: Header=BB182_12 Depth=1
	v_mov_b32_e32 v53, v42
	v_mov_b32_e32 v84, v54
	v_cmp_ne_u16_sdwa s2, v43, v56 src0_sel:BYTE_1 src1_sel:DWORD
	v_mov_b32_e32 v83, v53
	s_and_saveexec_b32 s42, s2
	s_cbranch_execz .LBB182_144
; %bb.139:                              ;   in Loop: Header=BB182_12 Depth=1
	v_mov_b32_e32 v41, 0xffff
	v_mov_b32_e32 v45, v42
	;; [unrolled: 1-line block ×3, first 2 shown]
	s_mov_b32 s43, exec_lo
	v_and_b32_sdwa v41, v41, v43 dst_sel:DWORD dst_unused:UNUSED_PAD src0_sel:DWORD src1_sel:BYTE_1
	v_mov_b32_e32 v83, v45
	v_and_b32_e32 v49, 0x7f, v41
	v_cmpx_ne_u32_e32 0x7f, v49
	s_cbranch_execz .LBB182_143
; %bb.140:                              ;   in Loop: Header=BB182_12 Depth=1
	v_and_b32_e32 v41, 7, v41
	v_lshrrev_b32_e32 v44, 3, v49
	s_mov_b32 s44, exec_lo
	v_cmpx_gt_u32_e32 8, v49
; %bb.141:                              ;   in Loop: Header=BB182_12 Depth=1
	v_ffbh_u32_e32 v44, v41
	v_min_u32_e32 v44, 32, v44
	v_subrev_nc_u32_e32 v45, 28, v44
	v_sub_nc_u32_e32 v44, 29, v44
	v_lshlrev_b64 v[49:50], v45, v[41:42]
	v_and_b32_e32 v41, 7, v49
; %bb.142:                              ;   in Loop: Header=BB182_12 Depth=1
	s_or_b32 exec_lo, exec_lo, s44
	v_lshlrev_b32_e32 v43, 16, v43
	v_lshlrev_b32_e32 v41, 20, v41
	v_lshl_add_u32 v44, v44, 23, 0x3c000000
	v_mov_b32_e32 v83, v42
	v_and_b32_e32 v43, 0x80000000, v43
	v_or3_b32 v84, v41, v43, v44
.LBB182_143:                            ;   in Loop: Header=BB182_12 Depth=1
	s_or_b32 exec_lo, exec_lo, s43
.LBB182_144:                            ;   in Loop: Header=BB182_12 Depth=1
	s_or_b32 exec_lo, exec_lo, s42
.LBB182_145:                            ;   in Loop: Header=BB182_12 Depth=1
	s_or_b32 exec_lo, exec_lo, s41
	global_load_ushort v41, v[59:60], off offset:512
	v_mov_b32_e32 v87, 0
	v_mov_b32_e32 v85, 0
	v_mov_b32_e32 v88, 0
	v_mov_b32_e32 v86, 0
	s_waitcnt vmcnt(0)
	v_and_b32_e32 v43, 0xffff, v41
	v_cmp_ne_u16_sdwa s2, v41, v42 src0_sel:BYTE_0 src1_sel:DWORD
	s_and_saveexec_b32 s41, s2
	s_cbranch_execz .LBB182_153
; %bb.146:                              ;   in Loop: Header=BB182_12 Depth=1
	v_bfrev_b32_e32 v85, 1
	v_mov_b32_e32 v86, 0
	v_cmp_ne_u16_sdwa s2, v43, v56 src0_sel:BYTE_0 src1_sel:DWORD
	s_and_saveexec_b32 s42, s2
	s_cbranch_execz .LBB182_152
; %bb.147:                              ;   in Loop: Header=BB182_12 Depth=1
	v_mov_b32_e32 v85, 0x7f800001
	v_and_b32_e32 v45, 0x7f, v43
	v_mov_b32_e32 v86, 0
	s_mov_b32 s43, exec_lo
	v_cmpx_ne_u32_e32 0x7f, v45
	s_cbranch_execz .LBB182_151
; %bb.148:                              ;   in Loop: Header=BB182_12 Depth=1
	v_and_b32_e32 v41, 7, v43
	v_lshrrev_b32_e32 v44, 3, v45
	s_mov_b32 s44, exec_lo
	v_cmpx_gt_u32_e32 8, v45
; %bb.149:                              ;   in Loop: Header=BB182_12 Depth=1
	v_ffbh_u32_e32 v44, v41
	v_min_u32_e32 v44, 32, v44
	v_subrev_nc_u32_e32 v45, 28, v44
	v_sub_nc_u32_e32 v44, 29, v44
	v_lshlrev_b64 v[49:50], v45, v[41:42]
	v_and_b32_e32 v41, 7, v49
; %bb.150:                              ;   in Loop: Header=BB182_12 Depth=1
	s_or_b32 exec_lo, exec_lo, s44
	v_lshlrev_b32_e32 v45, 24, v43
	v_lshlrev_b32_e32 v41, 20, v41
	v_lshl_add_u32 v44, v44, 23, 0x3c000000
	v_and_b32_e32 v45, 0x80000000, v45
	v_or3_b32 v41, v41, v45, v44
	v_mov_b32_e32 v86, v42
	v_mov_b32_e32 v85, v41
.LBB182_151:                            ;   in Loop: Header=BB182_12 Depth=1
	s_or_b32 exec_lo, exec_lo, s43
.LBB182_152:                            ;   in Loop: Header=BB182_12 Depth=1
	s_or_b32 exec_lo, exec_lo, s42
.LBB182_153:                            ;   in Loop: Header=BB182_12 Depth=1
	s_or_b32 exec_lo, exec_lo, s41
	v_cmp_ne_u16_sdwa s2, v43, v42 src0_sel:BYTE_1 src1_sel:DWORD
	s_and_saveexec_b32 s41, s2
	s_cbranch_execz .LBB182_161
; %bb.154:                              ;   in Loop: Header=BB182_12 Depth=1
	v_mov_b32_e32 v53, v42
	v_mov_b32_e32 v88, v54
	v_cmp_ne_u16_sdwa s2, v43, v56 src0_sel:BYTE_1 src1_sel:DWORD
	v_mov_b32_e32 v87, v53
	s_and_saveexec_b32 s42, s2
	s_cbranch_execz .LBB182_160
; %bb.155:                              ;   in Loop: Header=BB182_12 Depth=1
	v_mov_b32_e32 v41, 0xffff
	v_mov_b32_e32 v45, v42
	;; [unrolled: 1-line block ×3, first 2 shown]
	s_mov_b32 s43, exec_lo
	v_and_b32_sdwa v41, v41, v43 dst_sel:DWORD dst_unused:UNUSED_PAD src0_sel:DWORD src1_sel:BYTE_1
	v_mov_b32_e32 v87, v45
	v_and_b32_e32 v49, 0x7f, v41
	v_cmpx_ne_u32_e32 0x7f, v49
	s_cbranch_execz .LBB182_159
; %bb.156:                              ;   in Loop: Header=BB182_12 Depth=1
	v_and_b32_e32 v41, 7, v41
	v_lshrrev_b32_e32 v44, 3, v49
	s_mov_b32 s44, exec_lo
	v_cmpx_gt_u32_e32 8, v49
; %bb.157:                              ;   in Loop: Header=BB182_12 Depth=1
	v_ffbh_u32_e32 v44, v41
	v_min_u32_e32 v44, 32, v44
	v_subrev_nc_u32_e32 v45, 28, v44
	v_sub_nc_u32_e32 v44, 29, v44
	v_lshlrev_b64 v[49:50], v45, v[41:42]
	v_and_b32_e32 v41, 7, v49
; %bb.158:                              ;   in Loop: Header=BB182_12 Depth=1
	s_or_b32 exec_lo, exec_lo, s44
	v_lshlrev_b32_e32 v43, 16, v43
	v_lshlrev_b32_e32 v41, 20, v41
	v_lshl_add_u32 v44, v44, 23, 0x3c000000
	v_mov_b32_e32 v87, v42
	v_and_b32_e32 v43, 0x80000000, v43
	v_or3_b32 v88, v41, v43, v44
.LBB182_159:                            ;   in Loop: Header=BB182_12 Depth=1
	s_or_b32 exec_lo, exec_lo, s43
.LBB182_160:                            ;   in Loop: Header=BB182_12 Depth=1
	s_or_b32 exec_lo, exec_lo, s42
.LBB182_161:                            ;   in Loop: Header=BB182_12 Depth=1
	s_or_b32 exec_lo, exec_lo, s41
	global_load_ushort v41, v[59:60], off offset:516
	v_mov_b32_e32 v91, 0
	v_mov_b32_e32 v89, 0
	;; [unrolled: 1-line block ×4, first 2 shown]
	s_waitcnt vmcnt(0)
	v_and_b32_e32 v43, 0xffff, v41
	v_cmp_ne_u16_sdwa s2, v41, v42 src0_sel:BYTE_0 src1_sel:DWORD
	s_and_saveexec_b32 s41, s2
	s_cbranch_execz .LBB182_169
; %bb.162:                              ;   in Loop: Header=BB182_12 Depth=1
	v_bfrev_b32_e32 v89, 1
	v_mov_b32_e32 v90, 0
	v_cmp_ne_u16_sdwa s2, v43, v56 src0_sel:BYTE_0 src1_sel:DWORD
	s_and_saveexec_b32 s42, s2
	s_cbranch_execz .LBB182_168
; %bb.163:                              ;   in Loop: Header=BB182_12 Depth=1
	v_mov_b32_e32 v89, 0x7f800001
	v_and_b32_e32 v45, 0x7f, v43
	v_mov_b32_e32 v90, 0
	s_mov_b32 s43, exec_lo
	v_cmpx_ne_u32_e32 0x7f, v45
	s_cbranch_execz .LBB182_167
; %bb.164:                              ;   in Loop: Header=BB182_12 Depth=1
	v_and_b32_e32 v41, 7, v43
	v_lshrrev_b32_e32 v44, 3, v45
	s_mov_b32 s44, exec_lo
	v_cmpx_gt_u32_e32 8, v45
; %bb.165:                              ;   in Loop: Header=BB182_12 Depth=1
	v_ffbh_u32_e32 v44, v41
	v_min_u32_e32 v44, 32, v44
	v_subrev_nc_u32_e32 v45, 28, v44
	v_sub_nc_u32_e32 v44, 29, v44
	v_lshlrev_b64 v[49:50], v45, v[41:42]
	v_and_b32_e32 v41, 7, v49
; %bb.166:                              ;   in Loop: Header=BB182_12 Depth=1
	s_or_b32 exec_lo, exec_lo, s44
	v_lshlrev_b32_e32 v45, 24, v43
	v_lshlrev_b32_e32 v41, 20, v41
	v_lshl_add_u32 v44, v44, 23, 0x3c000000
	v_and_b32_e32 v45, 0x80000000, v45
	v_or3_b32 v41, v41, v45, v44
	v_mov_b32_e32 v90, v42
	v_mov_b32_e32 v89, v41
.LBB182_167:                            ;   in Loop: Header=BB182_12 Depth=1
	s_or_b32 exec_lo, exec_lo, s43
.LBB182_168:                            ;   in Loop: Header=BB182_12 Depth=1
	s_or_b32 exec_lo, exec_lo, s42
.LBB182_169:                            ;   in Loop: Header=BB182_12 Depth=1
	s_or_b32 exec_lo, exec_lo, s41
	v_cmp_ne_u16_sdwa s2, v43, v42 src0_sel:BYTE_1 src1_sel:DWORD
	s_and_saveexec_b32 s41, s2
	s_cbranch_execz .LBB182_177
; %bb.170:                              ;   in Loop: Header=BB182_12 Depth=1
	v_mov_b32_e32 v53, v42
	v_mov_b32_e32 v92, v54
	v_cmp_ne_u16_sdwa s2, v43, v56 src0_sel:BYTE_1 src1_sel:DWORD
	v_mov_b32_e32 v91, v53
	s_and_saveexec_b32 s42, s2
	s_cbranch_execz .LBB182_176
; %bb.171:                              ;   in Loop: Header=BB182_12 Depth=1
	v_mov_b32_e32 v41, 0xffff
	v_mov_b32_e32 v45, v42
	;; [unrolled: 1-line block ×3, first 2 shown]
	s_mov_b32 s43, exec_lo
	v_and_b32_sdwa v41, v41, v43 dst_sel:DWORD dst_unused:UNUSED_PAD src0_sel:DWORD src1_sel:BYTE_1
	v_mov_b32_e32 v91, v45
	v_and_b32_e32 v49, 0x7f, v41
	v_cmpx_ne_u32_e32 0x7f, v49
	s_cbranch_execz .LBB182_175
; %bb.172:                              ;   in Loop: Header=BB182_12 Depth=1
	v_and_b32_e32 v41, 7, v41
	v_lshrrev_b32_e32 v44, 3, v49
	s_mov_b32 s44, exec_lo
	v_cmpx_gt_u32_e32 8, v49
; %bb.173:                              ;   in Loop: Header=BB182_12 Depth=1
	v_ffbh_u32_e32 v44, v41
	v_min_u32_e32 v44, 32, v44
	v_subrev_nc_u32_e32 v45, 28, v44
	v_sub_nc_u32_e32 v44, 29, v44
	v_lshlrev_b64 v[49:50], v45, v[41:42]
	v_and_b32_e32 v41, 7, v49
; %bb.174:                              ;   in Loop: Header=BB182_12 Depth=1
	s_or_b32 exec_lo, exec_lo, s44
	v_lshlrev_b32_e32 v43, 16, v43
	v_lshlrev_b32_e32 v41, 20, v41
	v_lshl_add_u32 v44, v44, 23, 0x3c000000
	v_mov_b32_e32 v91, v42
	v_and_b32_e32 v43, 0x80000000, v43
	v_or3_b32 v92, v41, v43, v44
.LBB182_175:                            ;   in Loop: Header=BB182_12 Depth=1
	s_or_b32 exec_lo, exec_lo, s43
.LBB182_176:                            ;   in Loop: Header=BB182_12 Depth=1
	s_or_b32 exec_lo, exec_lo, s42
.LBB182_177:                            ;   in Loop: Header=BB182_12 Depth=1
	s_or_b32 exec_lo, exec_lo, s41
	global_load_ushort v41, v[59:60], off offset:520
	v_mov_b32_e32 v95, 0
	v_mov_b32_e32 v93, 0
	;; [unrolled: 1-line block ×4, first 2 shown]
	s_waitcnt vmcnt(0)
	v_and_b32_e32 v43, 0xffff, v41
	v_cmp_ne_u16_sdwa s2, v41, v42 src0_sel:BYTE_0 src1_sel:DWORD
	s_and_saveexec_b32 s41, s2
	s_cbranch_execz .LBB182_185
; %bb.178:                              ;   in Loop: Header=BB182_12 Depth=1
	v_bfrev_b32_e32 v93, 1
	v_mov_b32_e32 v94, 0
	v_cmp_ne_u16_sdwa s2, v43, v56 src0_sel:BYTE_0 src1_sel:DWORD
	s_and_saveexec_b32 s42, s2
	s_cbranch_execz .LBB182_184
; %bb.179:                              ;   in Loop: Header=BB182_12 Depth=1
	v_mov_b32_e32 v93, 0x7f800001
	v_and_b32_e32 v45, 0x7f, v43
	v_mov_b32_e32 v94, 0
	s_mov_b32 s43, exec_lo
	v_cmpx_ne_u32_e32 0x7f, v45
	s_cbranch_execz .LBB182_183
; %bb.180:                              ;   in Loop: Header=BB182_12 Depth=1
	v_and_b32_e32 v41, 7, v43
	v_lshrrev_b32_e32 v44, 3, v45
	s_mov_b32 s44, exec_lo
	v_cmpx_gt_u32_e32 8, v45
; %bb.181:                              ;   in Loop: Header=BB182_12 Depth=1
	v_ffbh_u32_e32 v44, v41
	v_min_u32_e32 v44, 32, v44
	v_subrev_nc_u32_e32 v45, 28, v44
	v_sub_nc_u32_e32 v44, 29, v44
	v_lshlrev_b64 v[49:50], v45, v[41:42]
	v_and_b32_e32 v41, 7, v49
; %bb.182:                              ;   in Loop: Header=BB182_12 Depth=1
	s_or_b32 exec_lo, exec_lo, s44
	v_lshlrev_b32_e32 v45, 24, v43
	v_lshlrev_b32_e32 v41, 20, v41
	v_lshl_add_u32 v44, v44, 23, 0x3c000000
	v_and_b32_e32 v45, 0x80000000, v45
	v_or3_b32 v41, v41, v45, v44
	v_mov_b32_e32 v94, v42
	v_mov_b32_e32 v93, v41
.LBB182_183:                            ;   in Loop: Header=BB182_12 Depth=1
	s_or_b32 exec_lo, exec_lo, s43
.LBB182_184:                            ;   in Loop: Header=BB182_12 Depth=1
	s_or_b32 exec_lo, exec_lo, s42
.LBB182_185:                            ;   in Loop: Header=BB182_12 Depth=1
	s_or_b32 exec_lo, exec_lo, s41
	v_cmp_ne_u16_sdwa s2, v43, v42 src0_sel:BYTE_1 src1_sel:DWORD
	s_and_saveexec_b32 s41, s2
	s_cbranch_execz .LBB182_193
; %bb.186:                              ;   in Loop: Header=BB182_12 Depth=1
	v_mov_b32_e32 v53, v42
	v_mov_b32_e32 v96, v54
	v_cmp_ne_u16_sdwa s2, v43, v56 src0_sel:BYTE_1 src1_sel:DWORD
	v_mov_b32_e32 v95, v53
	s_and_saveexec_b32 s42, s2
	s_cbranch_execz .LBB182_192
; %bb.187:                              ;   in Loop: Header=BB182_12 Depth=1
	v_mov_b32_e32 v41, 0xffff
	v_mov_b32_e32 v45, v42
	v_mov_b32_e32 v96, v46
	s_mov_b32 s43, exec_lo
	v_and_b32_sdwa v41, v41, v43 dst_sel:DWORD dst_unused:UNUSED_PAD src0_sel:DWORD src1_sel:BYTE_1
	v_mov_b32_e32 v95, v45
	v_and_b32_e32 v49, 0x7f, v41
	v_cmpx_ne_u32_e32 0x7f, v49
	s_cbranch_execz .LBB182_191
; %bb.188:                              ;   in Loop: Header=BB182_12 Depth=1
	v_and_b32_e32 v41, 7, v41
	v_lshrrev_b32_e32 v44, 3, v49
	s_mov_b32 s44, exec_lo
	v_cmpx_gt_u32_e32 8, v49
; %bb.189:                              ;   in Loop: Header=BB182_12 Depth=1
	v_ffbh_u32_e32 v44, v41
	v_min_u32_e32 v44, 32, v44
	v_subrev_nc_u32_e32 v45, 28, v44
	v_sub_nc_u32_e32 v44, 29, v44
	v_lshlrev_b64 v[49:50], v45, v[41:42]
	v_and_b32_e32 v41, 7, v49
; %bb.190:                              ;   in Loop: Header=BB182_12 Depth=1
	s_or_b32 exec_lo, exec_lo, s44
	v_lshlrev_b32_e32 v43, 16, v43
	v_lshlrev_b32_e32 v41, 20, v41
	v_lshl_add_u32 v44, v44, 23, 0x3c000000
	v_mov_b32_e32 v95, v42
	v_and_b32_e32 v43, 0x80000000, v43
	v_or3_b32 v96, v41, v43, v44
.LBB182_191:                            ;   in Loop: Header=BB182_12 Depth=1
	s_or_b32 exec_lo, exec_lo, s43
.LBB182_192:                            ;   in Loop: Header=BB182_12 Depth=1
	s_or_b32 exec_lo, exec_lo, s42
.LBB182_193:                            ;   in Loop: Header=BB182_12 Depth=1
	s_or_b32 exec_lo, exec_lo, s41
	global_load_ushort v41, v[59:60], off offset:524
	v_mov_b32_e32 v99, 0
	v_mov_b32_e32 v97, 0
	;; [unrolled: 1-line block ×4, first 2 shown]
	s_waitcnt vmcnt(0)
	v_and_b32_e32 v43, 0xffff, v41
	v_cmp_ne_u16_sdwa s2, v41, v42 src0_sel:BYTE_0 src1_sel:DWORD
	s_and_saveexec_b32 s41, s2
	s_cbranch_execz .LBB182_201
; %bb.194:                              ;   in Loop: Header=BB182_12 Depth=1
	v_bfrev_b32_e32 v97, 1
	v_mov_b32_e32 v98, 0
	v_cmp_ne_u16_sdwa s2, v43, v56 src0_sel:BYTE_0 src1_sel:DWORD
	s_and_saveexec_b32 s42, s2
	s_cbranch_execz .LBB182_200
; %bb.195:                              ;   in Loop: Header=BB182_12 Depth=1
	v_mov_b32_e32 v97, 0x7f800001
	v_and_b32_e32 v45, 0x7f, v43
	v_mov_b32_e32 v98, 0
	s_mov_b32 s43, exec_lo
	v_cmpx_ne_u32_e32 0x7f, v45
	s_cbranch_execz .LBB182_199
; %bb.196:                              ;   in Loop: Header=BB182_12 Depth=1
	v_and_b32_e32 v41, 7, v43
	v_lshrrev_b32_e32 v44, 3, v45
	s_mov_b32 s44, exec_lo
	v_cmpx_gt_u32_e32 8, v45
; %bb.197:                              ;   in Loop: Header=BB182_12 Depth=1
	v_ffbh_u32_e32 v44, v41
	v_min_u32_e32 v44, 32, v44
	v_subrev_nc_u32_e32 v45, 28, v44
	v_sub_nc_u32_e32 v44, 29, v44
	v_lshlrev_b64 v[49:50], v45, v[41:42]
	v_and_b32_e32 v41, 7, v49
; %bb.198:                              ;   in Loop: Header=BB182_12 Depth=1
	s_or_b32 exec_lo, exec_lo, s44
	v_lshlrev_b32_e32 v45, 24, v43
	v_lshlrev_b32_e32 v41, 20, v41
	v_lshl_add_u32 v44, v44, 23, 0x3c000000
	v_and_b32_e32 v45, 0x80000000, v45
	v_or3_b32 v41, v41, v45, v44
	v_mov_b32_e32 v98, v42
	v_mov_b32_e32 v97, v41
.LBB182_199:                            ;   in Loop: Header=BB182_12 Depth=1
	s_or_b32 exec_lo, exec_lo, s43
.LBB182_200:                            ;   in Loop: Header=BB182_12 Depth=1
	s_or_b32 exec_lo, exec_lo, s42
.LBB182_201:                            ;   in Loop: Header=BB182_12 Depth=1
	s_or_b32 exec_lo, exec_lo, s41
	v_cmp_ne_u16_sdwa s2, v43, v42 src0_sel:BYTE_1 src1_sel:DWORD
	s_and_saveexec_b32 s41, s2
	s_cbranch_execz .LBB182_209
; %bb.202:                              ;   in Loop: Header=BB182_12 Depth=1
	v_mov_b32_e32 v53, v42
	v_mov_b32_e32 v100, v54
	v_cmp_ne_u16_sdwa s2, v43, v56 src0_sel:BYTE_1 src1_sel:DWORD
	v_mov_b32_e32 v99, v53
	s_and_saveexec_b32 s42, s2
	s_cbranch_execz .LBB182_208
; %bb.203:                              ;   in Loop: Header=BB182_12 Depth=1
	v_mov_b32_e32 v41, 0xffff
	v_mov_b32_e32 v45, v42
	;; [unrolled: 1-line block ×3, first 2 shown]
	s_mov_b32 s43, exec_lo
	v_and_b32_sdwa v41, v41, v43 dst_sel:DWORD dst_unused:UNUSED_PAD src0_sel:DWORD src1_sel:BYTE_1
	v_mov_b32_e32 v99, v45
	v_and_b32_e32 v49, 0x7f, v41
	v_cmpx_ne_u32_e32 0x7f, v49
	s_cbranch_execz .LBB182_207
; %bb.204:                              ;   in Loop: Header=BB182_12 Depth=1
	v_and_b32_e32 v41, 7, v41
	v_lshrrev_b32_e32 v44, 3, v49
	s_mov_b32 s44, exec_lo
	v_cmpx_gt_u32_e32 8, v49
; %bb.205:                              ;   in Loop: Header=BB182_12 Depth=1
	v_ffbh_u32_e32 v44, v41
	v_min_u32_e32 v44, 32, v44
	v_subrev_nc_u32_e32 v45, 28, v44
	v_sub_nc_u32_e32 v44, 29, v44
	v_lshlrev_b64 v[49:50], v45, v[41:42]
	v_and_b32_e32 v41, 7, v49
; %bb.206:                              ;   in Loop: Header=BB182_12 Depth=1
	s_or_b32 exec_lo, exec_lo, s44
	v_lshlrev_b32_e32 v43, 16, v43
	v_lshlrev_b32_e32 v41, 20, v41
	v_lshl_add_u32 v44, v44, 23, 0x3c000000
	v_mov_b32_e32 v99, v42
	v_and_b32_e32 v43, 0x80000000, v43
	v_or3_b32 v100, v41, v43, v44
.LBB182_207:                            ;   in Loop: Header=BB182_12 Depth=1
	s_or_b32 exec_lo, exec_lo, s43
.LBB182_208:                            ;   in Loop: Header=BB182_12 Depth=1
	s_or_b32 exec_lo, exec_lo, s42
.LBB182_209:                            ;   in Loop: Header=BB182_12 Depth=1
	s_or_b32 exec_lo, exec_lo, s41
	global_load_ushort v41, v[59:60], off offset:768
	v_mov_b32_e32 v103, 0
	v_mov_b32_e32 v101, 0
	;; [unrolled: 1-line block ×4, first 2 shown]
	s_waitcnt vmcnt(0)
	v_and_b32_e32 v43, 0xffff, v41
	v_cmp_ne_u16_sdwa s2, v41, v42 src0_sel:BYTE_0 src1_sel:DWORD
	s_and_saveexec_b32 s41, s2
	s_cbranch_execz .LBB182_217
; %bb.210:                              ;   in Loop: Header=BB182_12 Depth=1
	v_bfrev_b32_e32 v101, 1
	v_mov_b32_e32 v102, 0
	v_cmp_ne_u16_sdwa s2, v43, v56 src0_sel:BYTE_0 src1_sel:DWORD
	s_and_saveexec_b32 s42, s2
	s_cbranch_execz .LBB182_216
; %bb.211:                              ;   in Loop: Header=BB182_12 Depth=1
	v_mov_b32_e32 v101, 0x7f800001
	v_and_b32_e32 v45, 0x7f, v43
	v_mov_b32_e32 v102, 0
	s_mov_b32 s43, exec_lo
	v_cmpx_ne_u32_e32 0x7f, v45
	s_cbranch_execz .LBB182_215
; %bb.212:                              ;   in Loop: Header=BB182_12 Depth=1
	v_and_b32_e32 v41, 7, v43
	v_lshrrev_b32_e32 v44, 3, v45
	s_mov_b32 s44, exec_lo
	v_cmpx_gt_u32_e32 8, v45
; %bb.213:                              ;   in Loop: Header=BB182_12 Depth=1
	v_ffbh_u32_e32 v44, v41
	v_min_u32_e32 v44, 32, v44
	v_subrev_nc_u32_e32 v45, 28, v44
	v_sub_nc_u32_e32 v44, 29, v44
	v_lshlrev_b64 v[49:50], v45, v[41:42]
	v_and_b32_e32 v41, 7, v49
; %bb.214:                              ;   in Loop: Header=BB182_12 Depth=1
	s_or_b32 exec_lo, exec_lo, s44
	v_lshlrev_b32_e32 v45, 24, v43
	v_lshlrev_b32_e32 v41, 20, v41
	v_lshl_add_u32 v44, v44, 23, 0x3c000000
	v_and_b32_e32 v45, 0x80000000, v45
	v_or3_b32 v41, v41, v45, v44
	v_mov_b32_e32 v102, v42
	v_mov_b32_e32 v101, v41
.LBB182_215:                            ;   in Loop: Header=BB182_12 Depth=1
	s_or_b32 exec_lo, exec_lo, s43
.LBB182_216:                            ;   in Loop: Header=BB182_12 Depth=1
	s_or_b32 exec_lo, exec_lo, s42
.LBB182_217:                            ;   in Loop: Header=BB182_12 Depth=1
	s_or_b32 exec_lo, exec_lo, s41
	v_cmp_ne_u16_sdwa s2, v43, v42 src0_sel:BYTE_1 src1_sel:DWORD
	s_and_saveexec_b32 s41, s2
	s_cbranch_execz .LBB182_225
; %bb.218:                              ;   in Loop: Header=BB182_12 Depth=1
	v_mov_b32_e32 v53, v42
	v_mov_b32_e32 v104, v54
	v_cmp_ne_u16_sdwa s2, v43, v56 src0_sel:BYTE_1 src1_sel:DWORD
	v_mov_b32_e32 v103, v53
	s_and_saveexec_b32 s42, s2
	s_cbranch_execz .LBB182_224
; %bb.219:                              ;   in Loop: Header=BB182_12 Depth=1
	v_mov_b32_e32 v41, 0xffff
	v_mov_b32_e32 v45, v42
	;; [unrolled: 1-line block ×3, first 2 shown]
	s_mov_b32 s43, exec_lo
	v_and_b32_sdwa v41, v41, v43 dst_sel:DWORD dst_unused:UNUSED_PAD src0_sel:DWORD src1_sel:BYTE_1
	v_mov_b32_e32 v103, v45
	v_and_b32_e32 v49, 0x7f, v41
	v_cmpx_ne_u32_e32 0x7f, v49
	s_cbranch_execz .LBB182_223
; %bb.220:                              ;   in Loop: Header=BB182_12 Depth=1
	v_and_b32_e32 v41, 7, v41
	v_lshrrev_b32_e32 v44, 3, v49
	s_mov_b32 s44, exec_lo
	v_cmpx_gt_u32_e32 8, v49
; %bb.221:                              ;   in Loop: Header=BB182_12 Depth=1
	v_ffbh_u32_e32 v44, v41
	v_min_u32_e32 v44, 32, v44
	v_subrev_nc_u32_e32 v45, 28, v44
	v_sub_nc_u32_e32 v44, 29, v44
	v_lshlrev_b64 v[49:50], v45, v[41:42]
	v_and_b32_e32 v41, 7, v49
; %bb.222:                              ;   in Loop: Header=BB182_12 Depth=1
	s_or_b32 exec_lo, exec_lo, s44
	v_lshlrev_b32_e32 v43, 16, v43
	v_lshlrev_b32_e32 v41, 20, v41
	v_lshl_add_u32 v44, v44, 23, 0x3c000000
	v_mov_b32_e32 v103, v42
	v_and_b32_e32 v43, 0x80000000, v43
	v_or3_b32 v104, v41, v43, v44
.LBB182_223:                            ;   in Loop: Header=BB182_12 Depth=1
	s_or_b32 exec_lo, exec_lo, s43
.LBB182_224:                            ;   in Loop: Header=BB182_12 Depth=1
	s_or_b32 exec_lo, exec_lo, s42
.LBB182_225:                            ;   in Loop: Header=BB182_12 Depth=1
	s_or_b32 exec_lo, exec_lo, s41
	global_load_ushort v41, v[59:60], off offset:772
	v_mov_b32_e32 v107, 0
	v_mov_b32_e32 v105, 0
	;; [unrolled: 1-line block ×4, first 2 shown]
	s_waitcnt vmcnt(0)
	v_and_b32_e32 v43, 0xffff, v41
	v_cmp_ne_u16_sdwa s2, v41, v42 src0_sel:BYTE_0 src1_sel:DWORD
	s_and_saveexec_b32 s41, s2
	s_cbranch_execz .LBB182_233
; %bb.226:                              ;   in Loop: Header=BB182_12 Depth=1
	v_bfrev_b32_e32 v105, 1
	v_mov_b32_e32 v106, 0
	v_cmp_ne_u16_sdwa s2, v43, v56 src0_sel:BYTE_0 src1_sel:DWORD
	s_and_saveexec_b32 s42, s2
	s_cbranch_execz .LBB182_232
; %bb.227:                              ;   in Loop: Header=BB182_12 Depth=1
	v_mov_b32_e32 v105, 0x7f800001
	v_and_b32_e32 v45, 0x7f, v43
	v_mov_b32_e32 v106, 0
	s_mov_b32 s43, exec_lo
	v_cmpx_ne_u32_e32 0x7f, v45
	s_cbranch_execz .LBB182_231
; %bb.228:                              ;   in Loop: Header=BB182_12 Depth=1
	v_and_b32_e32 v41, 7, v43
	v_lshrrev_b32_e32 v44, 3, v45
	s_mov_b32 s44, exec_lo
	v_cmpx_gt_u32_e32 8, v45
; %bb.229:                              ;   in Loop: Header=BB182_12 Depth=1
	v_ffbh_u32_e32 v44, v41
	v_min_u32_e32 v44, 32, v44
	v_subrev_nc_u32_e32 v45, 28, v44
	v_sub_nc_u32_e32 v44, 29, v44
	v_lshlrev_b64 v[49:50], v45, v[41:42]
	v_and_b32_e32 v41, 7, v49
; %bb.230:                              ;   in Loop: Header=BB182_12 Depth=1
	s_or_b32 exec_lo, exec_lo, s44
	v_lshlrev_b32_e32 v45, 24, v43
	v_lshlrev_b32_e32 v41, 20, v41
	v_lshl_add_u32 v44, v44, 23, 0x3c000000
	v_and_b32_e32 v45, 0x80000000, v45
	v_or3_b32 v41, v41, v45, v44
	v_mov_b32_e32 v106, v42
	v_mov_b32_e32 v105, v41
.LBB182_231:                            ;   in Loop: Header=BB182_12 Depth=1
	s_or_b32 exec_lo, exec_lo, s43
.LBB182_232:                            ;   in Loop: Header=BB182_12 Depth=1
	s_or_b32 exec_lo, exec_lo, s42
.LBB182_233:                            ;   in Loop: Header=BB182_12 Depth=1
	s_or_b32 exec_lo, exec_lo, s41
	v_cmp_ne_u16_sdwa s2, v43, v42 src0_sel:BYTE_1 src1_sel:DWORD
	s_and_saveexec_b32 s41, s2
	s_cbranch_execz .LBB182_241
; %bb.234:                              ;   in Loop: Header=BB182_12 Depth=1
	v_mov_b32_e32 v53, v42
	v_mov_b32_e32 v108, v54
	v_cmp_ne_u16_sdwa s2, v43, v56 src0_sel:BYTE_1 src1_sel:DWORD
	v_mov_b32_e32 v107, v53
	s_and_saveexec_b32 s42, s2
	s_cbranch_execz .LBB182_240
; %bb.235:                              ;   in Loop: Header=BB182_12 Depth=1
	v_mov_b32_e32 v41, 0xffff
	v_mov_b32_e32 v45, v42
	;; [unrolled: 1-line block ×3, first 2 shown]
	s_mov_b32 s43, exec_lo
	v_and_b32_sdwa v41, v41, v43 dst_sel:DWORD dst_unused:UNUSED_PAD src0_sel:DWORD src1_sel:BYTE_1
	v_mov_b32_e32 v107, v45
	v_and_b32_e32 v49, 0x7f, v41
	v_cmpx_ne_u32_e32 0x7f, v49
	s_cbranch_execz .LBB182_239
; %bb.236:                              ;   in Loop: Header=BB182_12 Depth=1
	v_and_b32_e32 v41, 7, v41
	v_lshrrev_b32_e32 v44, 3, v49
	s_mov_b32 s44, exec_lo
	v_cmpx_gt_u32_e32 8, v49
; %bb.237:                              ;   in Loop: Header=BB182_12 Depth=1
	v_ffbh_u32_e32 v44, v41
	v_min_u32_e32 v44, 32, v44
	v_subrev_nc_u32_e32 v45, 28, v44
	v_sub_nc_u32_e32 v44, 29, v44
	v_lshlrev_b64 v[49:50], v45, v[41:42]
	v_and_b32_e32 v41, 7, v49
; %bb.238:                              ;   in Loop: Header=BB182_12 Depth=1
	s_or_b32 exec_lo, exec_lo, s44
	v_lshlrev_b32_e32 v43, 16, v43
	v_lshlrev_b32_e32 v41, 20, v41
	v_lshl_add_u32 v44, v44, 23, 0x3c000000
	v_mov_b32_e32 v107, v42
	v_and_b32_e32 v43, 0x80000000, v43
	v_or3_b32 v108, v41, v43, v44
.LBB182_239:                            ;   in Loop: Header=BB182_12 Depth=1
	s_or_b32 exec_lo, exec_lo, s43
.LBB182_240:                            ;   in Loop: Header=BB182_12 Depth=1
	s_or_b32 exec_lo, exec_lo, s42
.LBB182_241:                            ;   in Loop: Header=BB182_12 Depth=1
	s_or_b32 exec_lo, exec_lo, s41
	global_load_ushort v41, v[59:60], off offset:776
	v_mov_b32_e32 v111, 0
	v_mov_b32_e32 v109, 0
	v_mov_b32_e32 v112, 0
	v_mov_b32_e32 v110, 0
	s_waitcnt vmcnt(0)
	v_and_b32_e32 v43, 0xffff, v41
	v_cmp_ne_u16_sdwa s2, v41, v42 src0_sel:BYTE_0 src1_sel:DWORD
	s_and_saveexec_b32 s41, s2
	s_cbranch_execz .LBB182_249
; %bb.242:                              ;   in Loop: Header=BB182_12 Depth=1
	v_bfrev_b32_e32 v109, 1
	v_mov_b32_e32 v110, 0
	v_cmp_ne_u16_sdwa s2, v43, v56 src0_sel:BYTE_0 src1_sel:DWORD
	s_and_saveexec_b32 s42, s2
	s_cbranch_execz .LBB182_248
; %bb.243:                              ;   in Loop: Header=BB182_12 Depth=1
	v_mov_b32_e32 v109, 0x7f800001
	v_and_b32_e32 v45, 0x7f, v43
	v_mov_b32_e32 v110, 0
	s_mov_b32 s43, exec_lo
	v_cmpx_ne_u32_e32 0x7f, v45
	s_cbranch_execz .LBB182_247
; %bb.244:                              ;   in Loop: Header=BB182_12 Depth=1
	v_and_b32_e32 v41, 7, v43
	v_lshrrev_b32_e32 v44, 3, v45
	s_mov_b32 s44, exec_lo
	v_cmpx_gt_u32_e32 8, v45
; %bb.245:                              ;   in Loop: Header=BB182_12 Depth=1
	v_ffbh_u32_e32 v44, v41
	v_min_u32_e32 v44, 32, v44
	v_subrev_nc_u32_e32 v45, 28, v44
	v_sub_nc_u32_e32 v44, 29, v44
	v_lshlrev_b64 v[49:50], v45, v[41:42]
	v_and_b32_e32 v41, 7, v49
; %bb.246:                              ;   in Loop: Header=BB182_12 Depth=1
	s_or_b32 exec_lo, exec_lo, s44
	v_lshlrev_b32_e32 v45, 24, v43
	v_lshlrev_b32_e32 v41, 20, v41
	v_lshl_add_u32 v44, v44, 23, 0x3c000000
	v_and_b32_e32 v45, 0x80000000, v45
	v_or3_b32 v41, v41, v45, v44
	v_mov_b32_e32 v110, v42
	v_mov_b32_e32 v109, v41
.LBB182_247:                            ;   in Loop: Header=BB182_12 Depth=1
	s_or_b32 exec_lo, exec_lo, s43
.LBB182_248:                            ;   in Loop: Header=BB182_12 Depth=1
	s_or_b32 exec_lo, exec_lo, s42
.LBB182_249:                            ;   in Loop: Header=BB182_12 Depth=1
	s_or_b32 exec_lo, exec_lo, s41
	v_cmp_ne_u16_sdwa s2, v43, v42 src0_sel:BYTE_1 src1_sel:DWORD
	s_and_saveexec_b32 s41, s2
	s_cbranch_execz .LBB182_257
; %bb.250:                              ;   in Loop: Header=BB182_12 Depth=1
	v_mov_b32_e32 v53, v42
	v_mov_b32_e32 v112, v54
	v_cmp_ne_u16_sdwa s2, v43, v56 src0_sel:BYTE_1 src1_sel:DWORD
	v_mov_b32_e32 v111, v53
	s_and_saveexec_b32 s42, s2
	s_cbranch_execz .LBB182_256
; %bb.251:                              ;   in Loop: Header=BB182_12 Depth=1
	v_mov_b32_e32 v41, 0xffff
	v_mov_b32_e32 v45, v42
	;; [unrolled: 1-line block ×3, first 2 shown]
	s_mov_b32 s43, exec_lo
	v_and_b32_sdwa v41, v41, v43 dst_sel:DWORD dst_unused:UNUSED_PAD src0_sel:DWORD src1_sel:BYTE_1
	v_mov_b32_e32 v111, v45
	v_and_b32_e32 v49, 0x7f, v41
	v_cmpx_ne_u32_e32 0x7f, v49
	s_cbranch_execz .LBB182_255
; %bb.252:                              ;   in Loop: Header=BB182_12 Depth=1
	v_and_b32_e32 v41, 7, v41
	v_lshrrev_b32_e32 v44, 3, v49
	s_mov_b32 s44, exec_lo
	v_cmpx_gt_u32_e32 8, v49
; %bb.253:                              ;   in Loop: Header=BB182_12 Depth=1
	v_ffbh_u32_e32 v44, v41
	v_min_u32_e32 v44, 32, v44
	v_subrev_nc_u32_e32 v45, 28, v44
	v_sub_nc_u32_e32 v44, 29, v44
	v_lshlrev_b64 v[49:50], v45, v[41:42]
	v_and_b32_e32 v41, 7, v49
; %bb.254:                              ;   in Loop: Header=BB182_12 Depth=1
	s_or_b32 exec_lo, exec_lo, s44
	v_lshlrev_b32_e32 v43, 16, v43
	v_lshlrev_b32_e32 v41, 20, v41
	v_lshl_add_u32 v44, v44, 23, 0x3c000000
	v_mov_b32_e32 v111, v42
	v_and_b32_e32 v43, 0x80000000, v43
	v_or3_b32 v112, v41, v43, v44
.LBB182_255:                            ;   in Loop: Header=BB182_12 Depth=1
	s_or_b32 exec_lo, exec_lo, s43
.LBB182_256:                            ;   in Loop: Header=BB182_12 Depth=1
	s_or_b32 exec_lo, exec_lo, s42
.LBB182_257:                            ;   in Loop: Header=BB182_12 Depth=1
	s_or_b32 exec_lo, exec_lo, s41
	global_load_ushort v41, v[59:60], off offset:780
	v_mov_b32_e32 v115, 0
	v_mov_b32_e32 v113, 0
	v_mov_b32_e32 v116, 0
	v_mov_b32_e32 v114, 0
	s_waitcnt vmcnt(0)
	v_and_b32_e32 v43, 0xffff, v41
	v_cmp_ne_u16_sdwa s2, v41, v42 src0_sel:BYTE_0 src1_sel:DWORD
	s_and_saveexec_b32 s41, s2
	s_cbranch_execz .LBB182_265
; %bb.258:                              ;   in Loop: Header=BB182_12 Depth=1
	v_bfrev_b32_e32 v113, 1
	v_mov_b32_e32 v114, 0
	v_cmp_ne_u16_sdwa s2, v43, v56 src0_sel:BYTE_0 src1_sel:DWORD
	s_and_saveexec_b32 s42, s2
	s_cbranch_execz .LBB182_264
; %bb.259:                              ;   in Loop: Header=BB182_12 Depth=1
	v_mov_b32_e32 v113, 0x7f800001
	v_and_b32_e32 v45, 0x7f, v43
	v_mov_b32_e32 v114, 0
	s_mov_b32 s43, exec_lo
	v_cmpx_ne_u32_e32 0x7f, v45
	s_cbranch_execz .LBB182_263
; %bb.260:                              ;   in Loop: Header=BB182_12 Depth=1
	v_and_b32_e32 v41, 7, v43
	v_lshrrev_b32_e32 v44, 3, v45
	s_mov_b32 s44, exec_lo
	v_cmpx_gt_u32_e32 8, v45
; %bb.261:                              ;   in Loop: Header=BB182_12 Depth=1
	v_ffbh_u32_e32 v44, v41
	v_min_u32_e32 v44, 32, v44
	v_subrev_nc_u32_e32 v45, 28, v44
	v_sub_nc_u32_e32 v44, 29, v44
	v_lshlrev_b64 v[49:50], v45, v[41:42]
	v_and_b32_e32 v41, 7, v49
; %bb.262:                              ;   in Loop: Header=BB182_12 Depth=1
	s_or_b32 exec_lo, exec_lo, s44
	v_lshlrev_b32_e32 v45, 24, v43
	v_lshlrev_b32_e32 v41, 20, v41
	v_lshl_add_u32 v44, v44, 23, 0x3c000000
	v_and_b32_e32 v45, 0x80000000, v45
	v_or3_b32 v41, v41, v45, v44
	v_mov_b32_e32 v114, v42
	v_mov_b32_e32 v113, v41
.LBB182_263:                            ;   in Loop: Header=BB182_12 Depth=1
	s_or_b32 exec_lo, exec_lo, s43
.LBB182_264:                            ;   in Loop: Header=BB182_12 Depth=1
	s_or_b32 exec_lo, exec_lo, s42
.LBB182_265:                            ;   in Loop: Header=BB182_12 Depth=1
	s_or_b32 exec_lo, exec_lo, s41
	v_cmp_ne_u16_sdwa s2, v43, v42 src0_sel:BYTE_1 src1_sel:DWORD
	s_and_saveexec_b32 s41, s2
	s_cbranch_execz .LBB182_273
; %bb.266:                              ;   in Loop: Header=BB182_12 Depth=1
	v_mov_b32_e32 v53, v42
	v_mov_b32_e32 v116, v54
	v_cmp_ne_u16_sdwa s2, v43, v56 src0_sel:BYTE_1 src1_sel:DWORD
	v_mov_b32_e32 v115, v53
	s_and_saveexec_b32 s42, s2
	s_cbranch_execz .LBB182_272
; %bb.267:                              ;   in Loop: Header=BB182_12 Depth=1
	v_mov_b32_e32 v41, 0xffff
	v_mov_b32_e32 v45, v42
	v_mov_b32_e32 v116, v46
	s_mov_b32 s43, exec_lo
	v_and_b32_sdwa v41, v41, v43 dst_sel:DWORD dst_unused:UNUSED_PAD src0_sel:DWORD src1_sel:BYTE_1
	v_mov_b32_e32 v115, v45
	v_and_b32_e32 v49, 0x7f, v41
	v_cmpx_ne_u32_e32 0x7f, v49
	s_cbranch_execz .LBB182_271
; %bb.268:                              ;   in Loop: Header=BB182_12 Depth=1
	v_and_b32_e32 v41, 7, v41
	v_lshrrev_b32_e32 v44, 3, v49
	s_mov_b32 s44, exec_lo
	v_cmpx_gt_u32_e32 8, v49
; %bb.269:                              ;   in Loop: Header=BB182_12 Depth=1
	v_ffbh_u32_e32 v44, v41
	v_min_u32_e32 v44, 32, v44
	v_subrev_nc_u32_e32 v45, 28, v44
	v_sub_nc_u32_e32 v44, 29, v44
	v_lshlrev_b64 v[49:50], v45, v[41:42]
	v_and_b32_e32 v41, 7, v49
; %bb.270:                              ;   in Loop: Header=BB182_12 Depth=1
	s_or_b32 exec_lo, exec_lo, s44
	v_lshlrev_b32_e32 v43, 16, v43
	v_lshlrev_b32_e32 v41, 20, v41
	v_lshl_add_u32 v44, v44, 23, 0x3c000000
	v_mov_b32_e32 v115, v42
	v_and_b32_e32 v43, 0x80000000, v43
	v_or3_b32 v116, v41, v43, v44
.LBB182_271:                            ;   in Loop: Header=BB182_12 Depth=1
	s_or_b32 exec_lo, exec_lo, s43
.LBB182_272:                            ;   in Loop: Header=BB182_12 Depth=1
	s_or_b32 exec_lo, exec_lo, s42
.LBB182_273:                            ;   in Loop: Header=BB182_12 Depth=1
	s_or_b32 exec_lo, exec_lo, s41
	global_load_ushort v41, v[59:60], off offset:1024
	v_mov_b32_e32 v119, 0
	v_mov_b32_e32 v117, 0
	;; [unrolled: 1-line block ×4, first 2 shown]
	s_waitcnt vmcnt(0)
	v_and_b32_e32 v43, 0xffff, v41
	v_cmp_ne_u16_sdwa s2, v41, v42 src0_sel:BYTE_0 src1_sel:DWORD
	s_and_saveexec_b32 s41, s2
	s_cbranch_execz .LBB182_281
; %bb.274:                              ;   in Loop: Header=BB182_12 Depth=1
	v_bfrev_b32_e32 v117, 1
	v_mov_b32_e32 v118, 0
	v_cmp_ne_u16_sdwa s2, v43, v56 src0_sel:BYTE_0 src1_sel:DWORD
	s_and_saveexec_b32 s42, s2
	s_cbranch_execz .LBB182_280
; %bb.275:                              ;   in Loop: Header=BB182_12 Depth=1
	v_mov_b32_e32 v117, 0x7f800001
	v_and_b32_e32 v45, 0x7f, v43
	v_mov_b32_e32 v118, 0
	s_mov_b32 s43, exec_lo
	v_cmpx_ne_u32_e32 0x7f, v45
	s_cbranch_execz .LBB182_279
; %bb.276:                              ;   in Loop: Header=BB182_12 Depth=1
	v_and_b32_e32 v41, 7, v43
	v_lshrrev_b32_e32 v44, 3, v45
	s_mov_b32 s44, exec_lo
	v_cmpx_gt_u32_e32 8, v45
; %bb.277:                              ;   in Loop: Header=BB182_12 Depth=1
	v_ffbh_u32_e32 v44, v41
	v_min_u32_e32 v44, 32, v44
	v_subrev_nc_u32_e32 v45, 28, v44
	v_sub_nc_u32_e32 v44, 29, v44
	v_lshlrev_b64 v[49:50], v45, v[41:42]
	v_and_b32_e32 v41, 7, v49
; %bb.278:                              ;   in Loop: Header=BB182_12 Depth=1
	s_or_b32 exec_lo, exec_lo, s44
	v_lshlrev_b32_e32 v45, 24, v43
	v_lshlrev_b32_e32 v41, 20, v41
	v_lshl_add_u32 v44, v44, 23, 0x3c000000
	v_and_b32_e32 v45, 0x80000000, v45
	v_or3_b32 v41, v41, v45, v44
	v_mov_b32_e32 v118, v42
	v_mov_b32_e32 v117, v41
.LBB182_279:                            ;   in Loop: Header=BB182_12 Depth=1
	s_or_b32 exec_lo, exec_lo, s43
.LBB182_280:                            ;   in Loop: Header=BB182_12 Depth=1
	s_or_b32 exec_lo, exec_lo, s42
.LBB182_281:                            ;   in Loop: Header=BB182_12 Depth=1
	s_or_b32 exec_lo, exec_lo, s41
	v_cmp_ne_u16_sdwa s2, v43, v42 src0_sel:BYTE_1 src1_sel:DWORD
	s_and_saveexec_b32 s41, s2
	s_cbranch_execz .LBB182_289
; %bb.282:                              ;   in Loop: Header=BB182_12 Depth=1
	v_mov_b32_e32 v53, v42
	v_mov_b32_e32 v120, v54
	v_cmp_ne_u16_sdwa s2, v43, v56 src0_sel:BYTE_1 src1_sel:DWORD
	v_mov_b32_e32 v119, v53
	s_and_saveexec_b32 s42, s2
	s_cbranch_execz .LBB182_288
; %bb.283:                              ;   in Loop: Header=BB182_12 Depth=1
	v_mov_b32_e32 v41, 0xffff
	v_mov_b32_e32 v45, v42
	;; [unrolled: 1-line block ×3, first 2 shown]
	s_mov_b32 s43, exec_lo
	v_and_b32_sdwa v41, v41, v43 dst_sel:DWORD dst_unused:UNUSED_PAD src0_sel:DWORD src1_sel:BYTE_1
	v_mov_b32_e32 v119, v45
	v_and_b32_e32 v49, 0x7f, v41
	v_cmpx_ne_u32_e32 0x7f, v49
	s_cbranch_execz .LBB182_287
; %bb.284:                              ;   in Loop: Header=BB182_12 Depth=1
	v_and_b32_e32 v41, 7, v41
	v_lshrrev_b32_e32 v44, 3, v49
	s_mov_b32 s44, exec_lo
	v_cmpx_gt_u32_e32 8, v49
; %bb.285:                              ;   in Loop: Header=BB182_12 Depth=1
	v_ffbh_u32_e32 v44, v41
	v_min_u32_e32 v44, 32, v44
	v_subrev_nc_u32_e32 v45, 28, v44
	v_sub_nc_u32_e32 v44, 29, v44
	v_lshlrev_b64 v[49:50], v45, v[41:42]
	v_and_b32_e32 v41, 7, v49
; %bb.286:                              ;   in Loop: Header=BB182_12 Depth=1
	s_or_b32 exec_lo, exec_lo, s44
	v_lshlrev_b32_e32 v43, 16, v43
	v_lshlrev_b32_e32 v41, 20, v41
	v_lshl_add_u32 v44, v44, 23, 0x3c000000
	v_mov_b32_e32 v119, v42
	v_and_b32_e32 v43, 0x80000000, v43
	v_or3_b32 v120, v41, v43, v44
.LBB182_287:                            ;   in Loop: Header=BB182_12 Depth=1
	s_or_b32 exec_lo, exec_lo, s43
.LBB182_288:                            ;   in Loop: Header=BB182_12 Depth=1
	s_or_b32 exec_lo, exec_lo, s42
.LBB182_289:                            ;   in Loop: Header=BB182_12 Depth=1
	s_or_b32 exec_lo, exec_lo, s41
	global_load_ushort v41, v[59:60], off offset:1028
	v_mov_b32_e32 v125, 0
	v_mov_b32_e32 v121, 0
	;; [unrolled: 1-line block ×4, first 2 shown]
	s_waitcnt vmcnt(0)
	v_and_b32_e32 v43, 0xffff, v41
	v_cmp_ne_u16_sdwa s2, v41, v42 src0_sel:BYTE_0 src1_sel:DWORD
	s_and_saveexec_b32 s41, s2
	s_cbranch_execz .LBB182_297
; %bb.290:                              ;   in Loop: Header=BB182_12 Depth=1
	v_bfrev_b32_e32 v121, 1
	v_mov_b32_e32 v122, 0
	v_cmp_ne_u16_sdwa s2, v43, v56 src0_sel:BYTE_0 src1_sel:DWORD
	s_and_saveexec_b32 s42, s2
	s_cbranch_execz .LBB182_296
; %bb.291:                              ;   in Loop: Header=BB182_12 Depth=1
	v_mov_b32_e32 v121, 0x7f800001
	v_and_b32_e32 v45, 0x7f, v43
	v_mov_b32_e32 v122, 0
	s_mov_b32 s43, exec_lo
	v_cmpx_ne_u32_e32 0x7f, v45
	s_cbranch_execz .LBB182_295
; %bb.292:                              ;   in Loop: Header=BB182_12 Depth=1
	v_and_b32_e32 v41, 7, v43
	v_lshrrev_b32_e32 v44, 3, v45
	s_mov_b32 s44, exec_lo
	v_cmpx_gt_u32_e32 8, v45
; %bb.293:                              ;   in Loop: Header=BB182_12 Depth=1
	v_ffbh_u32_e32 v44, v41
	v_min_u32_e32 v44, 32, v44
	v_subrev_nc_u32_e32 v45, 28, v44
	v_sub_nc_u32_e32 v44, 29, v44
	v_lshlrev_b64 v[49:50], v45, v[41:42]
	v_and_b32_e32 v41, 7, v49
; %bb.294:                              ;   in Loop: Header=BB182_12 Depth=1
	s_or_b32 exec_lo, exec_lo, s44
	v_lshlrev_b32_e32 v45, 24, v43
	v_lshlrev_b32_e32 v41, 20, v41
	v_lshl_add_u32 v44, v44, 23, 0x3c000000
	v_and_b32_e32 v45, 0x80000000, v45
	v_or3_b32 v41, v41, v45, v44
	v_mov_b32_e32 v122, v42
	v_mov_b32_e32 v121, v41
.LBB182_295:                            ;   in Loop: Header=BB182_12 Depth=1
	s_or_b32 exec_lo, exec_lo, s43
.LBB182_296:                            ;   in Loop: Header=BB182_12 Depth=1
	s_or_b32 exec_lo, exec_lo, s42
.LBB182_297:                            ;   in Loop: Header=BB182_12 Depth=1
	s_or_b32 exec_lo, exec_lo, s41
	v_cmp_ne_u16_sdwa s2, v43, v42 src0_sel:BYTE_1 src1_sel:DWORD
	s_and_saveexec_b32 s41, s2
	s_cbranch_execz .LBB182_305
; %bb.298:                              ;   in Loop: Header=BB182_12 Depth=1
	v_mov_b32_e32 v53, v42
	v_mov_b32_e32 v126, v54
	v_cmp_ne_u16_sdwa s2, v43, v56 src0_sel:BYTE_1 src1_sel:DWORD
	v_mov_b32_e32 v125, v53
	s_and_saveexec_b32 s42, s2
	s_cbranch_execz .LBB182_304
; %bb.299:                              ;   in Loop: Header=BB182_12 Depth=1
	v_mov_b32_e32 v41, 0xffff
	v_mov_b32_e32 v45, v42
	;; [unrolled: 1-line block ×3, first 2 shown]
	s_mov_b32 s43, exec_lo
	v_and_b32_sdwa v41, v41, v43 dst_sel:DWORD dst_unused:UNUSED_PAD src0_sel:DWORD src1_sel:BYTE_1
	v_mov_b32_e32 v125, v45
	v_and_b32_e32 v49, 0x7f, v41
	v_cmpx_ne_u32_e32 0x7f, v49
	s_cbranch_execz .LBB182_303
; %bb.300:                              ;   in Loop: Header=BB182_12 Depth=1
	v_and_b32_e32 v41, 7, v41
	v_lshrrev_b32_e32 v44, 3, v49
	s_mov_b32 s44, exec_lo
	v_cmpx_gt_u32_e32 8, v49
; %bb.301:                              ;   in Loop: Header=BB182_12 Depth=1
	v_ffbh_u32_e32 v44, v41
	v_min_u32_e32 v44, 32, v44
	v_subrev_nc_u32_e32 v45, 28, v44
	v_sub_nc_u32_e32 v44, 29, v44
	v_lshlrev_b64 v[49:50], v45, v[41:42]
	v_and_b32_e32 v41, 7, v49
; %bb.302:                              ;   in Loop: Header=BB182_12 Depth=1
	s_or_b32 exec_lo, exec_lo, s44
	v_lshlrev_b32_e32 v43, 16, v43
	v_lshlrev_b32_e32 v41, 20, v41
	v_lshl_add_u32 v44, v44, 23, 0x3c000000
	v_mov_b32_e32 v125, v42
	v_and_b32_e32 v43, 0x80000000, v43
	v_or3_b32 v126, v41, v43, v44
.LBB182_303:                            ;   in Loop: Header=BB182_12 Depth=1
	s_or_b32 exec_lo, exec_lo, s43
.LBB182_304:                            ;   in Loop: Header=BB182_12 Depth=1
	s_or_b32 exec_lo, exec_lo, s42
.LBB182_305:                            ;   in Loop: Header=BB182_12 Depth=1
	s_or_b32 exec_lo, exec_lo, s41
	global_load_ushort v41, v[59:60], off offset:1032
	v_mov_b32_e32 v43, 0
	v_mov_b32_e32 v49, 0
	;; [unrolled: 1-line block ×4, first 2 shown]
	s_waitcnt vmcnt(0)
	v_and_b32_e32 v123, 0xffff, v41
	v_cmp_ne_u16_sdwa s2, v41, v42 src0_sel:BYTE_0 src1_sel:DWORD
	s_and_saveexec_b32 s41, s2
	s_cbranch_execz .LBB182_313
; %bb.306:                              ;   in Loop: Header=BB182_12 Depth=1
	v_bfrev_b32_e32 v49, 1
	v_mov_b32_e32 v50, 0
	v_cmp_ne_u16_sdwa s2, v123, v56 src0_sel:BYTE_0 src1_sel:DWORD
	s_and_saveexec_b32 s42, s2
	s_cbranch_execz .LBB182_312
; %bb.307:                              ;   in Loop: Header=BB182_12 Depth=1
	v_mov_b32_e32 v49, 0x7f800001
	v_and_b32_e32 v53, 0x7f, v123
	v_mov_b32_e32 v50, 0
	s_mov_b32 s43, exec_lo
	v_cmpx_ne_u32_e32 0x7f, v53
	s_cbranch_execz .LBB182_311
; %bb.308:                              ;   in Loop: Header=BB182_12 Depth=1
	v_and_b32_e32 v41, 7, v123
	v_lshrrev_b32_e32 v45, 3, v53
	s_mov_b32 s44, exec_lo
	v_cmpx_gt_u32_e32 8, v53
; %bb.309:                              ;   in Loop: Header=BB182_12 Depth=1
	v_ffbh_u32_e32 v45, v41
	v_min_u32_e32 v45, 32, v45
	v_subrev_nc_u32_e32 v49, 28, v45
	v_sub_nc_u32_e32 v45, 29, v45
	v_lshlrev_b64 v[49:50], v49, v[41:42]
	v_and_b32_e32 v41, 7, v49
; %bb.310:                              ;   in Loop: Header=BB182_12 Depth=1
	s_or_b32 exec_lo, exec_lo, s44
	v_lshlrev_b32_e32 v49, 24, v123
	v_lshlrev_b32_e32 v41, 20, v41
	v_lshl_add_u32 v45, v45, 23, 0x3c000000
	v_and_b32_e32 v49, 0x80000000, v49
	v_or3_b32 v41, v41, v49, v45
	v_mov_b32_e32 v50, v42
	v_mov_b32_e32 v49, v41
.LBB182_311:                            ;   in Loop: Header=BB182_12 Depth=1
	s_or_b32 exec_lo, exec_lo, s43
.LBB182_312:                            ;   in Loop: Header=BB182_12 Depth=1
	s_or_b32 exec_lo, exec_lo, s42
.LBB182_313:                            ;   in Loop: Header=BB182_12 Depth=1
	s_or_b32 exec_lo, exec_lo, s41
	v_cmp_ne_u16_sdwa s2, v123, v42 src0_sel:BYTE_1 src1_sel:DWORD
	s_and_saveexec_b32 s41, s2
	s_cbranch_execz .LBB182_321
; %bb.314:                              ;   in Loop: Header=BB182_12 Depth=1
	v_mov_b32_e32 v53, v42
	v_cmp_ne_u16_sdwa s2, v123, v56 src0_sel:BYTE_1 src1_sel:DWORD
	v_mov_b32_e32 v43, v53
	v_mov_b32_e32 v44, v54
	s_and_saveexec_b32 s42, s2
	s_cbranch_execz .LBB182_320
; %bb.315:                              ;   in Loop: Header=BB182_12 Depth=1
	v_mov_b32_e32 v41, 0xffff
	v_mov_b32_e32 v45, v42
	s_mov_b32 s43, exec_lo
	v_and_b32_sdwa v41, v41, v123 dst_sel:DWORD dst_unused:UNUSED_PAD src0_sel:DWORD src1_sel:BYTE_1
	v_mov_b32_e32 v43, v45
	v_mov_b32_e32 v44, v46
	v_and_b32_e32 v53, 0x7f, v41
	v_cmpx_ne_u32_e32 0x7f, v53
	s_cbranch_execz .LBB182_319
; %bb.316:                              ;   in Loop: Header=BB182_12 Depth=1
	v_and_b32_e32 v41, 7, v41
	v_lshrrev_b32_e32 v43, 3, v53
	s_mov_b32 s44, exec_lo
	v_cmpx_gt_u32_e32 8, v53
; %bb.317:                              ;   in Loop: Header=BB182_12 Depth=1
	v_ffbh_u32_e32 v43, v41
	v_min_u32_e32 v43, 32, v43
	v_subrev_nc_u32_e32 v44, 28, v43
	v_sub_nc_u32_e32 v43, 29, v43
	v_lshlrev_b64 v[44:45], v44, v[41:42]
	v_and_b32_e32 v41, 7, v44
; %bb.318:                              ;   in Loop: Header=BB182_12 Depth=1
	s_or_b32 exec_lo, exec_lo, s44
	v_lshlrev_b32_e32 v44, 16, v123
	v_lshlrev_b32_e32 v41, 20, v41
	v_lshl_add_u32 v43, v43, 23, 0x3c000000
	v_and_b32_e32 v44, 0x80000000, v44
	v_or3_b32 v44, v41, v44, v43
	v_mov_b32_e32 v43, v42
.LBB182_319:                            ;   in Loop: Header=BB182_12 Depth=1
	s_or_b32 exec_lo, exec_lo, s43
.LBB182_320:                            ;   in Loop: Header=BB182_12 Depth=1
	s_or_b32 exec_lo, exec_lo, s42
.LBB182_321:                            ;   in Loop: Header=BB182_12 Depth=1
	s_or_b32 exec_lo, exec_lo, s41
	global_load_ushort v41, v[59:60], off offset:1036
	v_mov_b32_e32 v123, 0
	v_mov_b32_e32 v59, 0
	;; [unrolled: 1-line block ×4, first 2 shown]
	s_waitcnt vmcnt(0)
	v_and_b32_e32 v57, 0xffff, v41
	v_cmp_ne_u16_sdwa s2, v41, v42 src0_sel:BYTE_0 src1_sel:DWORD
	s_and_saveexec_b32 s41, s2
	s_cbranch_execz .LBB182_329
; %bb.322:                              ;   in Loop: Header=BB182_12 Depth=1
	v_bfrev_b32_e32 v59, 1
	v_mov_b32_e32 v60, 0
	v_cmp_ne_u16_sdwa s2, v57, v56 src0_sel:BYTE_0 src1_sel:DWORD
	s_and_saveexec_b32 s42, s2
	s_cbranch_execz .LBB182_328
; %bb.323:                              ;   in Loop: Header=BB182_12 Depth=1
	v_mov_b32_e32 v59, 0x7f800001
	v_and_b32_e32 v53, 0x7f, v57
	v_mov_b32_e32 v60, 0
	s_mov_b32 s43, exec_lo
	v_cmpx_ne_u32_e32 0x7f, v53
	s_cbranch_execz .LBB182_327
; %bb.324:                              ;   in Loop: Header=BB182_12 Depth=1
	v_and_b32_e32 v41, 7, v57
	v_lshrrev_b32_e32 v45, 3, v53
	s_mov_b32 s44, exec_lo
	v_cmpx_gt_u32_e32 8, v53
; %bb.325:                              ;   in Loop: Header=BB182_12 Depth=1
	v_ffbh_u32_e32 v45, v41
	v_min_u32_e32 v45, 32, v45
	v_subrev_nc_u32_e32 v53, 28, v45
	v_sub_nc_u32_e32 v45, 29, v45
	v_lshlrev_b64 v[58:59], v53, v[41:42]
	v_and_b32_e32 v41, 7, v58
; %bb.326:                              ;   in Loop: Header=BB182_12 Depth=1
	s_or_b32 exec_lo, exec_lo, s44
	v_lshlrev_b32_e32 v53, 24, v57
	v_lshlrev_b32_e32 v41, 20, v41
	v_lshl_add_u32 v45, v45, 23, 0x3c000000
	v_and_b32_e32 v53, 0x80000000, v53
	v_or3_b32 v41, v41, v53, v45
	v_mov_b32_e32 v60, v42
	v_mov_b32_e32 v59, v41
.LBB182_327:                            ;   in Loop: Header=BB182_12 Depth=1
	s_or_b32 exec_lo, exec_lo, s43
.LBB182_328:                            ;   in Loop: Header=BB182_12 Depth=1
	s_or_b32 exec_lo, exec_lo, s42
.LBB182_329:                            ;   in Loop: Header=BB182_12 Depth=1
	s_or_b32 exec_lo, exec_lo, s41
	v_cmp_ne_u16_sdwa s2, v57, v42 src0_sel:BYTE_1 src1_sel:DWORD
	s_and_saveexec_b32 s41, s2
	s_cbranch_execz .LBB182_337
; %bb.330:                              ;   in Loop: Header=BB182_12 Depth=1
	v_mov_b32_e32 v53, v42
	v_mov_b32_e32 v124, v54
	v_cmp_ne_u16_sdwa s2, v57, v56 src0_sel:BYTE_1 src1_sel:DWORD
	v_mov_b32_e32 v123, v53
	s_and_saveexec_b32 s42, s2
	s_cbranch_execz .LBB182_336
; %bb.331:                              ;   in Loop: Header=BB182_12 Depth=1
	v_mov_b32_e32 v41, 0xffff
	v_mov_b32_e32 v45, v42
	;; [unrolled: 1-line block ×3, first 2 shown]
	s_mov_b32 s43, exec_lo
	v_and_b32_sdwa v41, v41, v57 dst_sel:DWORD dst_unused:UNUSED_PAD src0_sel:DWORD src1_sel:BYTE_1
	v_mov_b32_e32 v123, v45
	v_and_b32_e32 v53, 0x7f, v41
	v_cmpx_ne_u32_e32 0x7f, v53
	s_cbranch_execz .LBB182_335
; %bb.332:                              ;   in Loop: Header=BB182_12 Depth=1
	v_and_b32_e32 v41, 7, v41
	v_lshrrev_b32_e32 v45, 3, v53
	s_mov_b32 s44, exec_lo
	v_cmpx_gt_u32_e32 8, v53
; %bb.333:                              ;   in Loop: Header=BB182_12 Depth=1
	v_ffbh_u32_e32 v45, v41
	v_min_u32_e32 v45, 32, v45
	v_subrev_nc_u32_e32 v53, 28, v45
	v_sub_nc_u32_e32 v45, 29, v45
	v_lshlrev_b64 v[123:124], v53, v[41:42]
	v_and_b32_e32 v41, 7, v123
; %bb.334:                              ;   in Loop: Header=BB182_12 Depth=1
	s_or_b32 exec_lo, exec_lo, s44
	v_lshlrev_b32_e32 v53, 16, v57
	v_lshlrev_b32_e32 v41, 20, v41
	v_lshl_add_u32 v45, v45, 23, 0x3c000000
	v_mov_b32_e32 v123, v42
	v_and_b32_e32 v53, 0x80000000, v53
	v_or3_b32 v124, v41, v53, v45
.LBB182_335:                            ;   in Loop: Header=BB182_12 Depth=1
	s_or_b32 exec_lo, exec_lo, s43
.LBB182_336:                            ;   in Loop: Header=BB182_12 Depth=1
	s_or_b32 exec_lo, exec_lo, s42
.LBB182_337:                            ;   in Loop: Header=BB182_12 Depth=1
	s_or_b32 exec_lo, exec_lo, s41
	v_or_b32_e32 v57, v115, v113
	v_or_b32_e32 v58, v111, v109
	;; [unrolled: 1-line block ×5, first 2 shown]
	s_waitcnt lgkmcnt(0)
	v_mul_f32_e32 v113, s40, v57
	v_or_b32_e32 v57, v112, v110
	v_mul_f32_e32 v110, s40, v58
	v_or_b32_e32 v58, v107, v105
	v_or_b32_e32 v49, v120, v118
	;; [unrolled: 1-line block ×3, first 2 shown]
	v_mul_f32_e32 v109, s40, v57
	v_or_b32_e32 v57, v108, v106
	v_mul_f32_e32 v106, s40, v58
	v_or_b32_e32 v58, v103, v101
	;; [unrolled: 2-line block ×5, first 2 shown]
	v_or_b32_e32 v45, v125, v121
	v_mul_f32_e32 v49, s40, v49
	v_mul_f32_e32 v101, s40, v57
	v_or_b32_e32 v57, v100, v98
	v_mul_f32_e32 v98, s40, v58
	v_or_b32_e32 v58, v95, v93
	v_mul_f32_e32 v50, s40, v50
	v_mul_f32_e32 v44, s40, v44
	v_mul_f32_e32 v97, s40, v57
	v_or_b32_e32 v57, v96, v94
	v_mul_f32_e32 v94, s40, v58
	v_or_b32_e32 v58, v91, v89
	v_mul_f32_e32 v45, s40, v45
	;; [unrolled: 6-line block ×3, first 2 shown]
	v_or_b32_e32 v59, v123, v59
	v_mul_f32_e32 v89, s40, v57
	v_or_b32_e32 v57, v88, v86
	v_mul_f32_e32 v86, s40, v58
	;; [unrolled: 2-line block ×3, first 2 shown]
	v_mul_f32_e32 v85, s40, v57
	v_or_b32_e32 v57, v84, v82
	v_mul_f32_e32 v82, s40, v58
	v_or_b32_e32 v58, v79, v77
	v_mul_f32_e32 v81, s40, v57
	v_or_b32_e32 v57, v80, v78
	v_mul_f32_e32 v78, s40, v58
	v_or_b32_e32 v58, v75, v73
	v_mul_f32_e32 v77, s40, v57
	v_or_b32_e32 v57, v76, v74
	v_mul_f32_e32 v74, s40, v58
	v_or_b32_e32 v58, v71, v69
	v_mul_f32_e32 v73, s40, v57
	v_or_b32_e32 v57, v72, v70
	v_mul_f32_e32 v70, s40, v58
	v_or_b32_e32 v58, v67, v65
	v_mul_f32_e32 v69, s40, v57
	v_or_b32_e32 v57, v68, v66
	v_mul_f32_e32 v66, s40, v58
	v_or_b32_e32 v58, v63, v61
	v_mul_f32_e32 v65, s40, v57
	v_or_b32_e32 v57, v64, v62
	v_mul_f32_e32 v62, s40, v58
	v_mul_f32_e32 v61, s40, v57
	s_clause 0x7
	buffer_load_dword v57, off, s[48:51], 0 offset:16
	buffer_load_dword v58, off, s[48:51], 0 offset:20
	;; [unrolled: 1-line block ×4, first 2 shown]
	buffer_load_dword v67, off, s[48:51], 0
	buffer_load_dword v68, off, s[48:51], 0 offset:4
	buffer_load_dword v71, off, s[48:51], 0 offset:8
	;; [unrolled: 1-line block ×3, first 2 shown]
	s_waitcnt vmcnt(5)
	v_or_b32_e32 v57, v63, v57
	s_waitcnt vmcnt(4)
	v_or_b32_e32 v58, v64, v58
	v_mul_f32_e32 v64, s40, v57
	v_mul_f32_e32 v63, s40, v58
	s_waitcnt vmcnt(1)
	v_or_b32_e32 v58, v71, v67
	s_waitcnt vmcnt(0)
	v_or_b32_e32 v57, v72, v68
	v_mul_f32_e32 v39, v39, v64
	v_mul_f32_e32 v68, s40, v58
	;; [unrolled: 1-line block ×3, first 2 shown]
	v_mbcnt_lo_u32_b32 v58, -1, 0
	v_fmac_f32_e32 v39, v37, v68
	v_mul_f32_e32 v37, v40, v63
	v_xor_b32_e32 v57, 1, v58
	v_fmac_f32_e32 v39, v33, v62
	v_fmac_f32_e32 v37, v38, v67
	v_cmp_gt_i32_e64 s2, 32, v57
	v_fmac_f32_e32 v39, v35, v66
	v_fmac_f32_e32 v37, v34, v61
	v_cndmask_b32_e64 v57, v58, v57, s2
	v_or_b32_e32 v58, v124, v60
	v_fmac_f32_e32 v39, v29, v70
	v_fmac_f32_e32 v37, v36, v65
	v_lshlrev_b32_e32 v57, 2, v57
	v_mul_f32_e32 v58, s40, v58
	v_fmac_f32_e32 v39, v31, v74
	v_fmac_f32_e32 v37, v30, v69
	;; [unrolled: 1-line block ×31, first 2 shown]
	v_add_f32_e32 v1, v39, v37
	ds_bpermute_b32 v2, v57, v1
	s_and_saveexec_b32 s40, vcc_lo
	s_cbranch_execz .LBB182_10
; %bb.338:                              ;   in Loop: Header=BB182_12 Depth=1
	buffer_load_dword v3, off, s[48:51], 0 offset:52 ; 4-byte Folded Reload
	s_waitcnt lgkmcnt(0)
	v_add_f32_e32 v1, v1, v2
	buffer_load_dword v4, off, s[48:51], 0 offset:36 ; 4-byte Folded Reload
	s_waitcnt vmcnt(1)
	v_add_nc_u32_e32 v3, v3, v55
	v_cvt_f32_i32_e32 v3, v3
	v_mul_f32_e32 v3, s36, v3
	v_cndmask_b32_e64 v2, 0, v3, s1
	v_fmac_f32_e32 v2, s35, v1
	buffer_load_dword v1, off, s[48:51], 0 offset:48 ; 4-byte Folded Reload
	s_waitcnt vmcnt(1)
	v_max_f32_e32 v3, v4, v4
	v_max_f32_e32 v3, v3, v2
	s_waitcnt vmcnt(0)
	v_add_nc_u32_e32 v1, v1, v55
	v_cmp_gt_i32_e64 s2, s33, v1
	v_cndmask_b32_e64 v1, 0, v2, s2
	v_cndmask_b32_e64 v4, v4, v3, s2
	ds_write_b32 v51, v1
	buffer_store_dword v4, off, s[48:51], 0 offset:36 ; 4-byte Folded Spill
	s_branch .LBB182_10
.LBB182_339:
	s_or_b32 exec_lo, exec_lo, s38
	s_clause 0x4
	buffer_load_dword v38, off, s[48:51], 0 offset:56
	buffer_load_dword v52, off, s[48:51], 0 offset:60
	buffer_load_dword v12, off, s[48:51], 0 offset:64
	buffer_load_dword v13, off, s[48:51], 0 offset:68
	buffer_load_dword v3, off, s[48:51], 0 offset:36
.LBB182_340:
	s_or_b32 exec_lo, exec_lo, s37
	v_mbcnt_lo_u32_b32 v6, -1, 0
	s_waitcnt vmcnt(0)
	v_max_f32_e32 v4, v3, v3
	v_xor_b32_e32 v0, 16, v6
	s_waitcnt lgkmcnt(0)
	v_xor_b32_e32 v2, 8, v6
	v_xor_b32_e32 v5, 2, v6
	v_cmp_gt_i32_e32 vcc_lo, 32, v0
	v_cndmask_b32_e32 v0, v6, v0, vcc_lo
	v_cmp_gt_i32_e32 vcc_lo, 32, v2
	v_lshlrev_b32_e32 v1, 2, v0
	v_cndmask_b32_e32 v2, v6, v2, vcc_lo
	ds_bpermute_b32 v0, v1, v3
	v_lshlrev_b32_e32 v3, 2, v2
	s_waitcnt lgkmcnt(0)
	v_max_f32_e32 v0, v0, v0
	v_max_f32_e32 v0, v4, v0
	v_xor_b32_e32 v4, 4, v6
	ds_bpermute_b32 v2, v3, v0
	v_cmp_gt_i32_e32 vcc_lo, 32, v4
	v_cndmask_b32_e32 v4, v6, v4, vcc_lo
	v_cmp_gt_i32_e32 vcc_lo, 32, v5
	v_lshlrev_b32_e32 v4, 2, v4
	v_cndmask_b32_e32 v5, v6, v5, vcc_lo
	v_lshlrev_b32_e32 v25, 2, v5
	v_lshlrev_b32_e32 v5, 2, v52
	s_waitcnt lgkmcnt(0)
	v_max_f32_e32 v2, v2, v2
	v_max_f32_e32 v0, v0, v2
	ds_bpermute_b32 v2, v4, v0
	s_waitcnt lgkmcnt(0)
	v_max_f32_e32 v2, v2, v2
	v_max_f32_e32 v2, v0, v2
	v_and_b32_e32 v0, 31, v38
	ds_bpermute_b32 v6, v25, v2
	v_cmp_eq_u32_e32 vcc_lo, 0, v0
	s_and_saveexec_b32 s1, vcc_lo
	s_cbranch_execz .LBB182_342
; %bb.341:
	s_waitcnt lgkmcnt(0)
	v_max_f32_e32 v6, v6, v6
	v_max_f32_e32 v2, v2, v2
	;; [unrolled: 1-line block ×3, first 2 shown]
	ds_write_b32 v5, v2 offset:320
.LBB182_342:
	s_or_b32 exec_lo, exec_lo, s1
	v_cmp_gt_u32_e64 s1, 4, v0
	v_mov_b32_e32 v2, 0xff7fffff
	s_waitcnt lgkmcnt(0)
	v_lshlrev_b32_e32 v6, 2, v0
	s_waitcnt_vscnt null, 0x0
	s_barrier
	buffer_gl0_inv
	s_and_saveexec_b32 s2, s1
; %bb.343:
	ds_read_b32 v2, v6 offset:320
; %bb.344:
	s_or_b32 exec_lo, exec_lo, s2
	s_waitcnt lgkmcnt(0)
	ds_bpermute_b32 v7, v25, v2
	v_mbcnt_lo_u32_b32 v9, -1, 0
	v_max_f32_e32 v2, v2, v2
	v_xor_b32_e32 v8, 1, v9
	v_cmp_gt_i32_e64 s2, 32, v8
	v_cndmask_b32_e64 v8, v9, v8, s2
	s_lshl_b32 s2, s20, 4
	s_min_i32 s4, s2, s33
	s_waitcnt lgkmcnt(0)
	v_max_f32_e32 v7, v7, v7
	v_lshlrev_b32_e32 v26, 2, v8
	v_cmp_gt_i32_e64 s2, s4, v38
	v_max_f32_e32 v2, v2, v7
	ds_bpermute_b32 v7, v26, v2
	s_waitcnt lgkmcnt(0)
	v_max_f32_e32 v7, v7, v7
	v_max_f32_e32 v2, v2, v7
	v_mov_b32_e32 v7, 0
	ds_bpermute_b32 v8, v7, v2
	v_lshl_add_u32 v2, v38, 2, 0x160
	s_and_saveexec_b32 s5, s2
	s_cbranch_execz .LBB182_348
; %bb.345:
	v_lshl_add_u32 v9, v38, 2, 0x160
	v_mov_b32_e32 v7, 0
	v_mov_b32_e32 v10, v38
	s_mov_b32 s12, 0
	.p2align	6
.LBB182_346:                            ; =>This Inner Loop Header: Depth=1
	ds_read_b32 v11, v9
	v_add_nc_u32_e32 v10, 0x80, v10
	v_cmp_le_i32_e64 s3, s4, v10
	s_or_b32 s12, s3, s12
	s_waitcnt lgkmcnt(0)
	v_sub_f32_e32 v11, v11, v8
	v_mul_f32_e32 v11, 0x3fb8aa3b, v11
	v_exp_f32_e32 v11, v11
	ds_write_b32 v9, v11
	v_add_f32_e32 v7, v7, v11
	v_add_nc_u32_e32 v9, 0x200, v9
	s_andn2_b32 exec_lo, exec_lo, s12
	s_cbranch_execnz .LBB182_346
; %bb.347:
	s_or_b32 exec_lo, exec_lo, s12
.LBB182_348:
	s_or_b32 exec_lo, exec_lo, s5
	ds_bpermute_b32 v1, v1, v7
	s_waitcnt lgkmcnt(0)
	v_add_f32_e32 v1, v7, v1
	ds_bpermute_b32 v3, v3, v1
	s_waitcnt lgkmcnt(0)
	v_add_f32_e32 v1, v1, v3
	;; [unrolled: 3-line block ×5, first 2 shown]
	s_and_saveexec_b32 s3, vcc_lo
; %bb.349:
	ds_write_b32 v5, v1 offset:336
; %bb.350:
	s_or_b32 exec_lo, exec_lo, s3
	s_waitcnt lgkmcnt(0)
	s_barrier
	buffer_gl0_inv
	s_and_saveexec_b32 s3, s1
; %bb.351:
	ds_read_b32 v1, v6 offset:336
; %bb.352:
	s_or_b32 exec_lo, exec_lo, s3
	s_waitcnt lgkmcnt(0)
	ds_bpermute_b32 v3, v25, v1
	s_waitcnt lgkmcnt(0)
	v_add_f32_e32 v1, v1, v3
	ds_bpermute_b32 v3, v26, v1
	s_waitcnt lgkmcnt(0)
	v_add_f32_e32 v1, v1, v3
	v_mov_b32_e32 v3, 0
	ds_bpermute_b32 v1, v3, v1
	s_and_saveexec_b32 s1, s2
	s_cbranch_execz .LBB182_355
; %bb.353:
	s_waitcnt lgkmcnt(0)
	v_add_f32_e32 v1, 0x358637bd, v1
	s_mov_b32 s2, 0
	v_div_scale_f32 v3, null, v1, v1, 1.0
	v_div_scale_f32 v6, vcc_lo, 1.0, v1, 1.0
	v_rcp_f32_e32 v4, v3
	v_fma_f32 v5, -v3, v4, 1.0
	v_fmac_f32_e32 v4, v5, v4
	v_mul_f32_e32 v5, v6, v4
	v_fma_f32 v7, -v3, v5, v6
	v_fmac_f32_e32 v5, v7, v4
	v_fma_f32 v3, -v3, v5, v6
	v_div_fmas_f32 v3, v3, v4, v5
	v_div_fixup_f32 v1, v3, v1, 1.0
	v_mov_b32_e32 v3, v38
.LBB182_354:                            ; =>This Inner Loop Header: Depth=1
	ds_read_b32 v4, v2
	v_add_nc_u32_e32 v3, 0x80, v3
	v_cmp_le_i32_e32 vcc_lo, s4, v3
	s_or_b32 s2, vcc_lo, s2
	s_waitcnt lgkmcnt(0)
	v_mul_f32_e32 v4, v1, v4
	ds_write_b32 v2, v4
	v_add_nc_u32_e32 v2, 0x200, v2
	s_andn2_b32 exec_lo, exec_lo, s2
	s_cbranch_execnz .LBB182_354
.LBB182_355:
	s_or_b32 exec_lo, exec_lo, s1
	v_mov_b32_e32 v36, 0
	v_and_b32_e32 v27, 3, v38
	v_mov_b32_e32 v37, 0
	v_mov_b32_e32 v35, 0
	;; [unrolled: 1-line block ×9, first 2 shown]
	s_waitcnt lgkmcnt(0)
	s_barrier
	buffer_gl0_inv
	s_and_saveexec_b32 s1, s0
	s_cbranch_execz .LBB182_701
; %bb.356:
	s_sub_i32 s2, s34, s21
	s_ashr_i32 s0, s18, 31
	s_add_u32 s5, s30, s18
	s_addc_u32 s0, s31, s0
	s_abs_i32 s3, s22
	v_and_b32_e32 v2, 0x7c, v12
	v_cvt_f32_u32_e32 v1, s3
	s_sub_i32 s4, 0, s3
	v_lshlrev_b32_e32 v4, 4, v27
	v_and_b32_e32 v3, 0x7c, v13
	v_add_co_u32 v11, s5, s5, v2
	v_rcp_iflag_f32_e32 v1, v1
	s_lshl_b64 s[12:13], s[28:29], 2
	v_lshl_or_b32 v4, v52, 6, v4
	v_mov_b32_e32 v87, v38
	v_and_b32_e32 v38, 12, v12
	v_add_co_ci_u32_e64 v12, null, s0, 0, s5
	v_mov_b32_e32 v6, 0
	v_mov_b32_e32 v39, 0x80
	v_bfrev_b32_e32 v8, 1
	v_mul_f32_e32 v1, 0x4f7ffffe, v1
	v_mov_b32_e32 v40, 0xffff
	v_mov_b32_e32 v10, 0x7f800001
	;; [unrolled: 1-line block ×4, first 2 shown]
	v_cvt_u32_f32_e32 v1, v1
	v_mov_b32_e32 v43, 24
	v_mov_b32_e32 v28, 0
	;; [unrolled: 1-line block ×4, first 2 shown]
	v_mul_lo_u32 v5, s4, v1
	s_add_i32 s4, s20, -1
	s_add_u32 s0, s26, s12
	s_addc_u32 s5, s27, s13
	v_add_co_u32 v13, s0, s0, v3
	v_mov_b32_e32 v31, 0
	v_mov_b32_e32 v32, 0
	v_mul_hi_u32 v2, v1, v5
	v_mov_b32_e32 v33, 0
	v_mov_b32_e32 v34, 0
	v_add_co_ci_u32_e64 v14, null, s5, 0, s0
	v_add_nc_u32_e32 v44, 0x160, v4
	v_mov_b32_e32 v35, 0
	v_mov_b32_e32 v37, 0
	v_add_nc_u32_e32 v45, v1, v2
	v_mov_b32_e32 v36, 0
	v_mov_b32_e32 v88, v52
	;; [unrolled: 1-line block ×3, first 2 shown]
	s_mov_b32 s12, s17
	s_mov_b32 s5, 0
	s_branch .LBB182_359
.LBB182_357:                            ;   in Loop: Header=BB182_359 Depth=1
	s_or_b32 exec_lo, exec_lo, s0
	v_mul_f32_e32 v16, v1, v84
	v_mul_f32_e32 v17, v1, v82
	;; [unrolled: 1-line block ×5, first 2 shown]
	v_fmac_f32_e32 v16, v2, v83
	v_fmac_f32_e32 v17, v2, v81
	;; [unrolled: 1-line block ×15, first 2 shown]
	v_add_f32_e32 v29, v29, v16
	v_add_f32_e32 v30, v30, v17
	v_add_f32_e32 v31, v31, v18
	v_add_f32_e32 v32, v32, v19
	v_mul_f32_e32 v16, v1, v66
	v_mul_f32_e32 v17, v1, v62
	;; [unrolled: 1-line block ×5, first 2 shown]
	v_fmac_f32_e32 v16, v2, v65
	v_fmac_f32_e32 v17, v2, v61
	;; [unrolled: 1-line block ×15, first 2 shown]
	v_add_f32_e32 v33, v33, v20
	v_add_f32_e32 v34, v34, v16
	;; [unrolled: 1-line block ×6, first 2 shown]
.LBB182_358:                            ;   in Loop: Header=BB182_359 Depth=1
	s_or_b32 exec_lo, exec_lo, s13
	v_add_nc_u32_e32 v46, 4, v46
	v_add_co_u32 v13, s0, v13, 16
	v_add_co_ci_u32_e64 v14, null, 0, v14, s0
	v_cmp_le_i32_e32 vcc_lo, s20, v46
	v_add_nc_u32_e32 v127, 64, v127
	v_add_nc_u32_e32 v44, 0x100, v44
	s_or_b32 s5, vcc_lo, s5
	s_andn2_b32 exec_lo, exec_lo, s5
	s_cbranch_execz .LBB182_700
.LBB182_359:                            ; =>This Inner Loop Header: Depth=1
	v_mul_hi_u32 v1, v127, s19
	v_mul_lo_u32 v2, v1, s16
	v_add_nc_u32_e32 v3, 1, v1
	v_sub_nc_u32_e32 v2, v127, v2
	v_subrev_nc_u32_e32 v4, s16, v2
	v_cmp_le_u32_e32 vcc_lo, s16, v2
	v_cndmask_b32_e32 v1, v1, v3, vcc_lo
	v_cndmask_b32_e32 v2, v2, v4, vcc_lo
	v_add_nc_u32_e32 v3, 1, v1
	v_cmp_le_u32_e32 vcc_lo, s16, v2
	v_cndmask_b32_e32 v1, v1, v3, vcc_lo
	v_xor_b32_e32 v1, s23, v1
	v_subrev_nc_u32_e32 v1, s23, v1
	v_add_nc_u32_e32 v2, s25, v1
	v_cmp_lt_i32_e64 s0, s2, v1
	v_sub_nc_u32_e32 v3, 0, v2
	v_max_i32_e32 v3, v2, v3
	v_ashrrev_i32_e32 v2, 31, v2
	v_mul_hi_u32 v4, v3, v45
	v_mul_lo_u32 v4, v4, s3
	v_sub_nc_u32_e32 v3, v3, v4
	v_subrev_nc_u32_e32 v4, s3, v3
	v_cmp_le_u32_e32 vcc_lo, s3, v3
	v_cndmask_b32_e32 v3, v3, v4, vcc_lo
	v_subrev_nc_u32_e32 v4, s3, v3
	v_cmp_le_u32_e32 vcc_lo, s3, v3
	v_cndmask_b32_e32 v3, v3, v4, vcc_lo
	v_xor_b32_e32 v3, v3, v2
	v_sub_nc_u32_e32 v2, v3, v2
	v_cmp_eq_u32_e32 vcc_lo, 0, v2
	s_or_b32 s0, vcc_lo, s0
	s_and_saveexec_b32 s13, s0
	s_cbranch_execz .LBB182_358
; %bb.360:                              ;   in Loop: Header=BB182_359 Depth=1
	global_load_dword v1, v[13:14], off
	s_load_dword s17, s[14:15], 0x0
	v_mov_b32_e32 v19, 0
	v_mov_b32_e32 v17, 0
	;; [unrolled: 1-line block ×4, first 2 shown]
	s_waitcnt vmcnt(0)
	v_mad_i64_i32 v[15:16], null, v1, s12, v[11:12]
	ds_read_b128 v[1:4], v44
	global_load_dword v47, v[15:16], off
	s_waitcnt vmcnt(0)
	v_cmp_ne_u16_sdwa s18, v47, v6 src0_sel:BYTE_0 src1_sel:DWORD
	s_and_saveexec_b32 s0, s18
	s_cbranch_execz .LBB182_368
; %bb.361:                              ;   in Loop: Header=BB182_359 Depth=1
	v_bfrev_b32_e32 v17, 1
	v_mov_b32_e32 v18, 0
	v_cmp_ne_u16_sdwa s21, v47, v39 src0_sel:BYTE_0 src1_sel:DWORD
	s_and_saveexec_b32 s18, s21
	s_cbranch_execz .LBB182_367
; %bb.362:                              ;   in Loop: Header=BB182_359 Depth=1
	v_mov_b32_e32 v17, 0x7f800001
	v_and_b32_e32 v9, 0x7f, v47
	v_mov_b32_e32 v18, 0
	s_mov_b32 s21, exec_lo
	v_cmpx_ne_u32_e32 0x7f, v9
	s_cbranch_execz .LBB182_366
; %bb.363:                              ;   in Loop: Header=BB182_359 Depth=1
	v_and_b32_e32 v5, 7, v47
	v_lshrrev_b32_e32 v7, 3, v9
	s_mov_b32 s22, exec_lo
	v_cmpx_gt_u32_e32 8, v9
; %bb.364:                              ;   in Loop: Header=BB182_359 Depth=1
	v_ffbh_u32_e32 v7, v5
	v_min_u32_e32 v7, 32, v7
	v_subrev_nc_u32_e32 v9, 28, v7
	v_sub_nc_u32_e32 v7, 29, v7
	v_lshlrev_b64 v[17:18], v9, v[5:6]
	v_and_b32_e32 v5, 7, v17
; %bb.365:                              ;   in Loop: Header=BB182_359 Depth=1
	s_or_b32 exec_lo, exec_lo, s22
	v_lshlrev_b32_e32 v9, 24, v47
	v_lshlrev_b32_e32 v5, 20, v5
	v_lshl_add_u32 v7, v7, 23, 0x3c000000
	v_and_b32_e32 v9, 0x80000000, v9
	v_or3_b32 v5, v5, v9, v7
	v_mov_b32_e32 v18, v6
	v_mov_b32_e32 v17, v5
.LBB182_366:                            ;   in Loop: Header=BB182_359 Depth=1
	s_or_b32 exec_lo, exec_lo, s21
.LBB182_367:                            ;   in Loop: Header=BB182_359 Depth=1
	s_or_b32 exec_lo, exec_lo, s18
.LBB182_368:                            ;   in Loop: Header=BB182_359 Depth=1
	s_or_b32 exec_lo, exec_lo, s0
	v_cmp_ne_u16_sdwa s18, v47, v6 src0_sel:BYTE_1 src1_sel:DWORD
	s_and_saveexec_b32 s0, s18
	s_cbranch_execz .LBB182_376
; %bb.369:                              ;   in Loop: Header=BB182_359 Depth=1
	v_mov_b32_e32 v7, v6
	v_mov_b32_e32 v20, v8
	v_cmp_ne_u16_sdwa s21, v47, v39 src0_sel:BYTE_1 src1_sel:DWORD
	v_mov_b32_e32 v19, v7
	s_and_saveexec_b32 s18, s21
	s_cbranch_execz .LBB182_375
; %bb.370:                              ;   in Loop: Header=BB182_359 Depth=1
	v_and_b32_sdwa v5, v40, v47 dst_sel:DWORD dst_unused:UNUSED_PAD src0_sel:DWORD src1_sel:BYTE_1
	v_mov_b32_e32 v9, v6
	v_mov_b32_e32 v20, v10
	s_mov_b32 s21, exec_lo
	v_and_b32_e32 v21, 0x7f, v5
	v_mov_b32_e32 v19, v9
	v_cmpx_ne_u32_e32 0x7f, v21
	s_cbranch_execz .LBB182_374
; %bb.371:                              ;   in Loop: Header=BB182_359 Depth=1
	v_and_b32_e32 v5, 7, v5
	v_lshrrev_b32_e32 v7, 3, v21
	s_mov_b32 s22, exec_lo
	v_cmpx_gt_u32_e32 8, v21
; %bb.372:                              ;   in Loop: Header=BB182_359 Depth=1
	v_ffbh_u32_e32 v7, v5
	v_min_u32_e32 v7, 32, v7
	v_subrev_nc_u32_e32 v9, 28, v7
	v_sub_nc_u32_e32 v7, 29, v7
	v_lshlrev_b64 v[19:20], v9, v[5:6]
	v_and_b32_e32 v5, 7, v19
; %bb.373:                              ;   in Loop: Header=BB182_359 Depth=1
	s_or_b32 exec_lo, exec_lo, s22
	v_lshlrev_b32_e32 v9, 16, v47
	v_lshlrev_b32_e32 v5, 20, v5
	v_lshl_add_u32 v7, v7, 23, 0x3c000000
	v_mov_b32_e32 v19, v6
	v_and_b32_e32 v9, 0x80000000, v9
	v_or3_b32 v20, v5, v9, v7
.LBB182_374:                            ;   in Loop: Header=BB182_359 Depth=1
	s_or_b32 exec_lo, exec_lo, s21
.LBB182_375:                            ;   in Loop: Header=BB182_359 Depth=1
	s_or_b32 exec_lo, exec_lo, s18
.LBB182_376:                            ;   in Loop: Header=BB182_359 Depth=1
	s_or_b32 exec_lo, exec_lo, s0
	v_mov_b32_e32 v23, 0
	v_mov_b32_e32 v21, 0
	v_and_b32_sdwa v5, v47, v41 dst_sel:DWORD dst_unused:UNUSED_PAD src0_sel:WORD_1 src1_sel:DWORD
	v_mov_b32_e32 v24, 0
	v_mov_b32_e32 v22, 0
	s_mov_b32 s0, exec_lo
	v_cmpx_ne_u16_e32 0, v5
	s_cbranch_execz .LBB182_384
; %bb.377:                              ;   in Loop: Header=BB182_359 Depth=1
	v_bfrev_b32_e32 v21, 1
	v_mov_b32_e32 v22, 0
	s_mov_b32 s18, exec_lo
	v_cmpx_ne_u16_e32 0x80, v5
	s_cbranch_execz .LBB182_383
; %bb.378:                              ;   in Loop: Header=BB182_359 Depth=1
	v_mov_b32_e32 v21, 0x7f800001
	v_bfe_u32 v9, v47, 16, 7
	v_mov_b32_e32 v22, 0
	s_mov_b32 s21, exec_lo
	v_cmpx_ne_u32_e32 0x7f, v9
	s_cbranch_execz .LBB182_382
; %bb.379:                              ;   in Loop: Header=BB182_359 Depth=1
	v_and_b32_sdwa v5, v47, v42 dst_sel:DWORD dst_unused:UNUSED_PAD src0_sel:WORD_1 src1_sel:DWORD
	v_lshrrev_b32_e32 v7, 3, v9
	s_mov_b32 s22, exec_lo
	v_cmpx_gt_u32_e32 8, v9
; %bb.380:                              ;   in Loop: Header=BB182_359 Depth=1
	v_ffbh_u32_e32 v7, v5
	v_min_u32_e32 v7, 32, v7
	v_subrev_nc_u32_e32 v9, 28, v7
	v_sub_nc_u32_e32 v7, 29, v7
	v_lshlrev_b64 v[21:22], v9, v[5:6]
	v_and_b32_e32 v5, 7, v21
; %bb.381:                              ;   in Loop: Header=BB182_359 Depth=1
	s_or_b32 exec_lo, exec_lo, s22
	v_lshlrev_b32_sdwa v9, v43, v47 dst_sel:DWORD dst_unused:UNUSED_PAD src0_sel:DWORD src1_sel:WORD_1
	v_lshlrev_b32_e32 v5, 20, v5
	v_lshl_add_u32 v7, v7, 23, 0x3c000000
	v_and_b32_e32 v9, 0x80000000, v9
	v_or3_b32 v5, v5, v9, v7
	v_mov_b32_e32 v22, v6
	v_mov_b32_e32 v21, v5
.LBB182_382:                            ;   in Loop: Header=BB182_359 Depth=1
	s_or_b32 exec_lo, exec_lo, s21
.LBB182_383:                            ;   in Loop: Header=BB182_359 Depth=1
	s_or_b32 exec_lo, exec_lo, s18
.LBB182_384:                            ;   in Loop: Header=BB182_359 Depth=1
	s_or_b32 exec_lo, exec_lo, s0
	s_mov_b32 s0, exec_lo
	v_cmpx_lt_u32_e32 0xffffff, v47
	s_cbranch_execz .LBB182_392
; %bb.385:                              ;   in Loop: Header=BB182_359 Depth=1
	v_mov_b32_e32 v7, v6
	v_mov_b32_e32 v24, v8
	v_cmp_ne_u32_sdwa s21, v47, v39 src0_sel:BYTE_3 src1_sel:DWORD
	v_mov_b32_e32 v23, v7
	s_and_saveexec_b32 s18, s21
	s_cbranch_execz .LBB182_391
; %bb.386:                              ;   in Loop: Header=BB182_359 Depth=1
	v_mov_b32_e32 v9, v6
	v_mov_b32_e32 v24, v10
	v_bfe_u32 v48, v47, 24, 7
	s_mov_b32 s21, exec_lo
	v_mov_b32_e32 v23, v9
	v_cmpx_ne_u32_e32 0x7f, v48
	s_cbranch_execz .LBB182_390
; %bb.387:                              ;   in Loop: Header=BB182_359 Depth=1
	v_and_b32_sdwa v5, v47, v42 dst_sel:DWORD dst_unused:UNUSED_PAD src0_sel:BYTE_3 src1_sel:DWORD
	v_lshrrev_b32_e32 v7, 3, v48
	s_mov_b32 s22, exec_lo
	v_cmpx_gt_u32_e32 8, v48
; %bb.388:                              ;   in Loop: Header=BB182_359 Depth=1
	v_ffbh_u32_e32 v7, v5
	v_min_u32_e32 v7, 32, v7
	v_subrev_nc_u32_e32 v9, 28, v7
	v_sub_nc_u32_e32 v7, 29, v7
	v_lshlrev_b64 v[23:24], v9, v[5:6]
	v_and_b32_e32 v5, 7, v23
; %bb.389:                              ;   in Loop: Header=BB182_359 Depth=1
	s_or_b32 exec_lo, exec_lo, s22
	v_lshlrev_b32_sdwa v9, v43, v47 dst_sel:DWORD dst_unused:UNUSED_PAD src0_sel:DWORD src1_sel:BYTE_3
	v_lshlrev_b32_e32 v5, 20, v5
	v_lshl_add_u32 v7, v7, 23, 0x3c000000
	v_mov_b32_e32 v23, v6
	v_and_b32_e32 v9, 0x80000000, v9
	v_or3_b32 v24, v5, v9, v7
.LBB182_390:                            ;   in Loop: Header=BB182_359 Depth=1
	s_or_b32 exec_lo, exec_lo, s21
.LBB182_391:                            ;   in Loop: Header=BB182_359 Depth=1
	s_or_b32 exec_lo, exec_lo, s18
.LBB182_392:                            ;   in Loop: Header=BB182_359 Depth=1
	s_or_b32 exec_lo, exec_lo, s0
	v_add_nc_u32_e32 v51, v38, v127
	v_or_b32_e32 v5, v20, v18
	v_or_b32_e32 v7, v19, v17
	;; [unrolled: 1-line block ×4, first 2 shown]
	v_cmp_eq_u32_e32 vcc_lo, s4, v46
	s_waitcnt lgkmcnt(0)
	v_mul_f32_e32 v49, s17, v5
	v_mul_f32_e32 v50, s17, v7
	;; [unrolled: 1-line block ×4, first 2 shown]
	v_add_nc_u32_e32 v54, 1, v51
	v_add_nc_u32_e32 v53, 2, v51
	;; [unrolled: 1-line block ×3, first 2 shown]
	s_and_saveexec_b32 s18, vcc_lo
	s_cbranch_execz .LBB182_394
; %bb.393:                              ;   in Loop: Header=BB182_359 Depth=1
	v_cmp_gt_i32_e64 s0, s33, v51
	v_cndmask_b32_e64 v50, 0, v50, s0
	v_cmp_gt_i32_e64 s0, s33, v54
	v_cndmask_b32_e64 v49, 0, v49, s0
	;; [unrolled: 2-line block ×4, first 2 shown]
.LBB182_394:                            ;   in Loop: Header=BB182_359 Depth=1
	s_or_b32 exec_lo, exec_lo, s18
	global_load_dword v55, v[15:16], off offset:128
	v_mov_b32_e32 v19, 0
	v_mov_b32_e32 v17, 0
	;; [unrolled: 1-line block ×4, first 2 shown]
	s_waitcnt vmcnt(0)
	v_cmp_ne_u16_sdwa s0, v55, v6 src0_sel:BYTE_0 src1_sel:DWORD
	s_and_saveexec_b32 s18, s0
	s_cbranch_execz .LBB182_402
; %bb.395:                              ;   in Loop: Header=BB182_359 Depth=1
	v_bfrev_b32_e32 v17, 1
	v_mov_b32_e32 v18, 0
	v_cmp_ne_u16_sdwa s0, v55, v39 src0_sel:BYTE_0 src1_sel:DWORD
	s_and_saveexec_b32 s21, s0
	s_cbranch_execz .LBB182_401
; %bb.396:                              ;   in Loop: Header=BB182_359 Depth=1
	v_mov_b32_e32 v17, 0x7f800001
	v_and_b32_e32 v9, 0x7f, v55
	v_mov_b32_e32 v18, 0
	s_mov_b32 s22, exec_lo
	v_cmpx_ne_u32_e32 0x7f, v9
	s_cbranch_execz .LBB182_400
; %bb.397:                              ;   in Loop: Header=BB182_359 Depth=1
	v_and_b32_e32 v5, 7, v55
	v_lshrrev_b32_e32 v7, 3, v9
	s_mov_b32 s26, exec_lo
	v_cmpx_gt_u32_e32 8, v9
; %bb.398:                              ;   in Loop: Header=BB182_359 Depth=1
	v_ffbh_u32_e32 v7, v5
	v_min_u32_e32 v7, 32, v7
	v_subrev_nc_u32_e32 v9, 28, v7
	v_sub_nc_u32_e32 v7, 29, v7
	v_lshlrev_b64 v[17:18], v9, v[5:6]
	v_and_b32_e32 v5, 7, v17
; %bb.399:                              ;   in Loop: Header=BB182_359 Depth=1
	s_or_b32 exec_lo, exec_lo, s26
	v_lshlrev_b32_e32 v9, 24, v55
	v_lshlrev_b32_e32 v5, 20, v5
	v_lshl_add_u32 v7, v7, 23, 0x3c000000
	v_and_b32_e32 v9, 0x80000000, v9
	v_or3_b32 v5, v5, v9, v7
	v_mov_b32_e32 v18, v6
	v_mov_b32_e32 v17, v5
.LBB182_400:                            ;   in Loop: Header=BB182_359 Depth=1
	s_or_b32 exec_lo, exec_lo, s22
.LBB182_401:                            ;   in Loop: Header=BB182_359 Depth=1
	s_or_b32 exec_lo, exec_lo, s21
.LBB182_402:                            ;   in Loop: Header=BB182_359 Depth=1
	s_or_b32 exec_lo, exec_lo, s18
	v_cmp_ne_u16_sdwa s0, v55, v6 src0_sel:BYTE_1 src1_sel:DWORD
	s_and_saveexec_b32 s18, s0
	s_cbranch_execz .LBB182_410
; %bb.403:                              ;   in Loop: Header=BB182_359 Depth=1
	v_mov_b32_e32 v7, v6
	v_mov_b32_e32 v20, v8
	v_cmp_ne_u16_sdwa s0, v55, v39 src0_sel:BYTE_1 src1_sel:DWORD
	v_mov_b32_e32 v19, v7
	s_and_saveexec_b32 s21, s0
	s_cbranch_execz .LBB182_409
; %bb.404:                              ;   in Loop: Header=BB182_359 Depth=1
	v_and_b32_sdwa v5, v40, v55 dst_sel:DWORD dst_unused:UNUSED_PAD src0_sel:DWORD src1_sel:BYTE_1
	v_mov_b32_e32 v9, v6
	v_mov_b32_e32 v20, v10
	s_mov_b32 s22, exec_lo
	v_and_b32_e32 v21, 0x7f, v5
	v_mov_b32_e32 v19, v9
	v_cmpx_ne_u32_e32 0x7f, v21
	s_cbranch_execz .LBB182_408
; %bb.405:                              ;   in Loop: Header=BB182_359 Depth=1
	v_and_b32_e32 v5, 7, v5
	v_lshrrev_b32_e32 v7, 3, v21
	s_mov_b32 s26, exec_lo
	v_cmpx_gt_u32_e32 8, v21
; %bb.406:                              ;   in Loop: Header=BB182_359 Depth=1
	v_ffbh_u32_e32 v7, v5
	v_min_u32_e32 v7, 32, v7
	v_subrev_nc_u32_e32 v9, 28, v7
	v_sub_nc_u32_e32 v7, 29, v7
	v_lshlrev_b64 v[19:20], v9, v[5:6]
	v_and_b32_e32 v5, 7, v19
; %bb.407:                              ;   in Loop: Header=BB182_359 Depth=1
	s_or_b32 exec_lo, exec_lo, s26
	v_lshlrev_b32_e32 v9, 16, v55
	v_lshlrev_b32_e32 v5, 20, v5
	v_lshl_add_u32 v7, v7, 23, 0x3c000000
	v_mov_b32_e32 v19, v6
	v_and_b32_e32 v9, 0x80000000, v9
	v_or3_b32 v20, v5, v9, v7
.LBB182_408:                            ;   in Loop: Header=BB182_359 Depth=1
	s_or_b32 exec_lo, exec_lo, s22
.LBB182_409:                            ;   in Loop: Header=BB182_359 Depth=1
	s_or_b32 exec_lo, exec_lo, s21
.LBB182_410:                            ;   in Loop: Header=BB182_359 Depth=1
	s_or_b32 exec_lo, exec_lo, s18
	v_mov_b32_e32 v23, 0
	v_mov_b32_e32 v21, 0
	v_and_b32_sdwa v5, v55, v41 dst_sel:DWORD dst_unused:UNUSED_PAD src0_sel:WORD_1 src1_sel:DWORD
	v_mov_b32_e32 v24, 0
	v_mov_b32_e32 v22, 0
	s_mov_b32 s18, exec_lo
	v_cmpx_ne_u16_e32 0, v5
	s_cbranch_execz .LBB182_418
; %bb.411:                              ;   in Loop: Header=BB182_359 Depth=1
	v_bfrev_b32_e32 v21, 1
	v_mov_b32_e32 v22, 0
	s_mov_b32 s21, exec_lo
	v_cmpx_ne_u16_e32 0x80, v5
	s_cbranch_execz .LBB182_417
; %bb.412:                              ;   in Loop: Header=BB182_359 Depth=1
	v_mov_b32_e32 v21, 0x7f800001
	v_bfe_u32 v9, v55, 16, 7
	v_mov_b32_e32 v22, 0
	s_mov_b32 s22, exec_lo
	v_cmpx_ne_u32_e32 0x7f, v9
	s_cbranch_execz .LBB182_416
; %bb.413:                              ;   in Loop: Header=BB182_359 Depth=1
	v_and_b32_sdwa v5, v55, v42 dst_sel:DWORD dst_unused:UNUSED_PAD src0_sel:WORD_1 src1_sel:DWORD
	v_lshrrev_b32_e32 v7, 3, v9
	s_mov_b32 s26, exec_lo
	v_cmpx_gt_u32_e32 8, v9
; %bb.414:                              ;   in Loop: Header=BB182_359 Depth=1
	v_ffbh_u32_e32 v7, v5
	v_min_u32_e32 v7, 32, v7
	v_subrev_nc_u32_e32 v9, 28, v7
	v_sub_nc_u32_e32 v7, 29, v7
	v_lshlrev_b64 v[21:22], v9, v[5:6]
	v_and_b32_e32 v5, 7, v21
; %bb.415:                              ;   in Loop: Header=BB182_359 Depth=1
	s_or_b32 exec_lo, exec_lo, s26
	v_lshlrev_b32_sdwa v9, v43, v55 dst_sel:DWORD dst_unused:UNUSED_PAD src0_sel:DWORD src1_sel:WORD_1
	v_lshlrev_b32_e32 v5, 20, v5
	v_lshl_add_u32 v7, v7, 23, 0x3c000000
	v_and_b32_e32 v9, 0x80000000, v9
	v_or3_b32 v5, v5, v9, v7
	v_mov_b32_e32 v22, v6
	v_mov_b32_e32 v21, v5
.LBB182_416:                            ;   in Loop: Header=BB182_359 Depth=1
	s_or_b32 exec_lo, exec_lo, s22
.LBB182_417:                            ;   in Loop: Header=BB182_359 Depth=1
	s_or_b32 exec_lo, exec_lo, s21
.LBB182_418:                            ;   in Loop: Header=BB182_359 Depth=1
	s_or_b32 exec_lo, exec_lo, s18
	s_mov_b32 s18, exec_lo
	v_cmpx_lt_u32_e32 0xffffff, v55
	s_cbranch_execz .LBB182_426
; %bb.419:                              ;   in Loop: Header=BB182_359 Depth=1
	v_mov_b32_e32 v7, v6
	v_mov_b32_e32 v24, v8
	v_cmp_ne_u32_sdwa s0, v55, v39 src0_sel:BYTE_3 src1_sel:DWORD
	v_mov_b32_e32 v23, v7
	s_and_saveexec_b32 s21, s0
	s_cbranch_execz .LBB182_425
; %bb.420:                              ;   in Loop: Header=BB182_359 Depth=1
	v_mov_b32_e32 v9, v6
	v_mov_b32_e32 v24, v10
	v_bfe_u32 v56, v55, 24, 7
	s_mov_b32 s22, exec_lo
	v_mov_b32_e32 v23, v9
	v_cmpx_ne_u32_e32 0x7f, v56
	s_cbranch_execz .LBB182_424
; %bb.421:                              ;   in Loop: Header=BB182_359 Depth=1
	v_and_b32_sdwa v5, v55, v42 dst_sel:DWORD dst_unused:UNUSED_PAD src0_sel:BYTE_3 src1_sel:DWORD
	v_lshrrev_b32_e32 v7, 3, v56
	s_mov_b32 s26, exec_lo
	v_cmpx_gt_u32_e32 8, v56
; %bb.422:                              ;   in Loop: Header=BB182_359 Depth=1
	v_ffbh_u32_e32 v7, v5
	v_min_u32_e32 v7, 32, v7
	v_subrev_nc_u32_e32 v9, 28, v7
	v_sub_nc_u32_e32 v7, 29, v7
	v_lshlrev_b64 v[23:24], v9, v[5:6]
	v_and_b32_e32 v5, 7, v23
; %bb.423:                              ;   in Loop: Header=BB182_359 Depth=1
	s_or_b32 exec_lo, exec_lo, s26
	v_lshlrev_b32_sdwa v9, v43, v55 dst_sel:DWORD dst_unused:UNUSED_PAD src0_sel:DWORD src1_sel:BYTE_3
	v_lshlrev_b32_e32 v5, 20, v5
	v_lshl_add_u32 v7, v7, 23, 0x3c000000
	v_mov_b32_e32 v23, v6
	v_and_b32_e32 v9, 0x80000000, v9
	v_or3_b32 v24, v5, v9, v7
.LBB182_424:                            ;   in Loop: Header=BB182_359 Depth=1
	s_or_b32 exec_lo, exec_lo, s22
.LBB182_425:                            ;   in Loop: Header=BB182_359 Depth=1
	s_or_b32 exec_lo, exec_lo, s21
.LBB182_426:                            ;   in Loop: Header=BB182_359 Depth=1
	s_or_b32 exec_lo, exec_lo, s18
	v_or_b32_e32 v5, v20, v18
	v_or_b32_e32 v7, v19, v17
	;; [unrolled: 1-line block ×4, first 2 shown]
	s_mov_b32 s18, s17
	v_mul_f32_e32 v57, s18, v5
	v_mul_f32_e32 v58, s17, v7
	;; [unrolled: 1-line block ×4, first 2 shown]
	s_and_saveexec_b32 s21, vcc_lo
	s_cbranch_execz .LBB182_428
; %bb.427:                              ;   in Loop: Header=BB182_359 Depth=1
	v_cmp_gt_i32_e64 s0, s33, v51
	v_cndmask_b32_e64 v58, 0, v58, s0
	v_cmp_gt_i32_e64 s0, s33, v54
	v_cndmask_b32_e64 v57, 0, v57, s0
	;; [unrolled: 2-line block ×4, first 2 shown]
.LBB182_428:                            ;   in Loop: Header=BB182_359 Depth=1
	s_or_b32 exec_lo, exec_lo, s21
	global_load_dword v59, v[15:16], off offset:256
	v_mov_b32_e32 v19, 0
	v_mov_b32_e32 v17, 0
	;; [unrolled: 1-line block ×4, first 2 shown]
	s_waitcnt vmcnt(0)
	v_cmp_ne_u16_sdwa s0, v59, v6 src0_sel:BYTE_0 src1_sel:DWORD
	s_and_saveexec_b32 s21, s0
	s_cbranch_execz .LBB182_436
; %bb.429:                              ;   in Loop: Header=BB182_359 Depth=1
	v_bfrev_b32_e32 v17, 1
	v_mov_b32_e32 v18, 0
	v_cmp_ne_u16_sdwa s0, v59, v39 src0_sel:BYTE_0 src1_sel:DWORD
	s_and_saveexec_b32 s22, s0
	s_cbranch_execz .LBB182_435
; %bb.430:                              ;   in Loop: Header=BB182_359 Depth=1
	v_mov_b32_e32 v17, 0x7f800001
	v_and_b32_e32 v9, 0x7f, v59
	v_mov_b32_e32 v18, 0
	s_mov_b32 s26, exec_lo
	v_cmpx_ne_u32_e32 0x7f, v9
	s_cbranch_execz .LBB182_434
; %bb.431:                              ;   in Loop: Header=BB182_359 Depth=1
	v_and_b32_e32 v5, 7, v59
	v_lshrrev_b32_e32 v7, 3, v9
	s_mov_b32 s27, exec_lo
	v_cmpx_gt_u32_e32 8, v9
; %bb.432:                              ;   in Loop: Header=BB182_359 Depth=1
	v_ffbh_u32_e32 v7, v5
	v_min_u32_e32 v7, 32, v7
	v_subrev_nc_u32_e32 v9, 28, v7
	v_sub_nc_u32_e32 v7, 29, v7
	v_lshlrev_b64 v[17:18], v9, v[5:6]
	v_and_b32_e32 v5, 7, v17
; %bb.433:                              ;   in Loop: Header=BB182_359 Depth=1
	s_or_b32 exec_lo, exec_lo, s27
	v_lshlrev_b32_e32 v9, 24, v59
	v_lshlrev_b32_e32 v5, 20, v5
	v_lshl_add_u32 v7, v7, 23, 0x3c000000
	v_and_b32_e32 v9, 0x80000000, v9
	v_or3_b32 v5, v5, v9, v7
	v_mov_b32_e32 v18, v6
	v_mov_b32_e32 v17, v5
.LBB182_434:                            ;   in Loop: Header=BB182_359 Depth=1
	s_or_b32 exec_lo, exec_lo, s26
.LBB182_435:                            ;   in Loop: Header=BB182_359 Depth=1
	s_or_b32 exec_lo, exec_lo, s22
.LBB182_436:                            ;   in Loop: Header=BB182_359 Depth=1
	s_or_b32 exec_lo, exec_lo, s21
	v_cmp_ne_u16_sdwa s0, v59, v6 src0_sel:BYTE_1 src1_sel:DWORD
	s_and_saveexec_b32 s21, s0
	s_cbranch_execz .LBB182_444
; %bb.437:                              ;   in Loop: Header=BB182_359 Depth=1
	v_mov_b32_e32 v7, v6
	v_mov_b32_e32 v20, v8
	v_cmp_ne_u16_sdwa s0, v59, v39 src0_sel:BYTE_1 src1_sel:DWORD
	v_mov_b32_e32 v19, v7
	s_and_saveexec_b32 s22, s0
	s_cbranch_execz .LBB182_443
; %bb.438:                              ;   in Loop: Header=BB182_359 Depth=1
	v_and_b32_sdwa v5, v40, v59 dst_sel:DWORD dst_unused:UNUSED_PAD src0_sel:DWORD src1_sel:BYTE_1
	v_mov_b32_e32 v9, v6
	v_mov_b32_e32 v20, v10
	s_mov_b32 s26, exec_lo
	v_and_b32_e32 v21, 0x7f, v5
	v_mov_b32_e32 v19, v9
	v_cmpx_ne_u32_e32 0x7f, v21
	s_cbranch_execz .LBB182_442
; %bb.439:                              ;   in Loop: Header=BB182_359 Depth=1
	v_and_b32_e32 v5, 7, v5
	v_lshrrev_b32_e32 v7, 3, v21
	s_mov_b32 s27, exec_lo
	v_cmpx_gt_u32_e32 8, v21
; %bb.440:                              ;   in Loop: Header=BB182_359 Depth=1
	v_ffbh_u32_e32 v7, v5
	v_min_u32_e32 v7, 32, v7
	v_subrev_nc_u32_e32 v9, 28, v7
	v_sub_nc_u32_e32 v7, 29, v7
	v_lshlrev_b64 v[19:20], v9, v[5:6]
	v_and_b32_e32 v5, 7, v19
; %bb.441:                              ;   in Loop: Header=BB182_359 Depth=1
	s_or_b32 exec_lo, exec_lo, s27
	v_lshlrev_b32_e32 v9, 16, v59
	v_lshlrev_b32_e32 v5, 20, v5
	v_lshl_add_u32 v7, v7, 23, 0x3c000000
	v_mov_b32_e32 v19, v6
	v_and_b32_e32 v9, 0x80000000, v9
	v_or3_b32 v20, v5, v9, v7
.LBB182_442:                            ;   in Loop: Header=BB182_359 Depth=1
	s_or_b32 exec_lo, exec_lo, s26
.LBB182_443:                            ;   in Loop: Header=BB182_359 Depth=1
	s_or_b32 exec_lo, exec_lo, s22
.LBB182_444:                            ;   in Loop: Header=BB182_359 Depth=1
	s_or_b32 exec_lo, exec_lo, s21
	v_mov_b32_e32 v23, 0
	v_mov_b32_e32 v21, 0
	v_and_b32_sdwa v5, v59, v41 dst_sel:DWORD dst_unused:UNUSED_PAD src0_sel:WORD_1 src1_sel:DWORD
	v_mov_b32_e32 v24, 0
	v_mov_b32_e32 v22, 0
	s_mov_b32 s21, exec_lo
	v_cmpx_ne_u16_e32 0, v5
	s_cbranch_execz .LBB182_452
; %bb.445:                              ;   in Loop: Header=BB182_359 Depth=1
	v_bfrev_b32_e32 v21, 1
	v_mov_b32_e32 v22, 0
	s_mov_b32 s22, exec_lo
	v_cmpx_ne_u16_e32 0x80, v5
	s_cbranch_execz .LBB182_451
; %bb.446:                              ;   in Loop: Header=BB182_359 Depth=1
	v_mov_b32_e32 v21, 0x7f800001
	v_bfe_u32 v9, v59, 16, 7
	v_mov_b32_e32 v22, 0
	s_mov_b32 s26, exec_lo
	v_cmpx_ne_u32_e32 0x7f, v9
	s_cbranch_execz .LBB182_450
; %bb.447:                              ;   in Loop: Header=BB182_359 Depth=1
	v_and_b32_sdwa v5, v59, v42 dst_sel:DWORD dst_unused:UNUSED_PAD src0_sel:WORD_1 src1_sel:DWORD
	v_lshrrev_b32_e32 v7, 3, v9
	s_mov_b32 s27, exec_lo
	v_cmpx_gt_u32_e32 8, v9
; %bb.448:                              ;   in Loop: Header=BB182_359 Depth=1
	v_ffbh_u32_e32 v7, v5
	v_min_u32_e32 v7, 32, v7
	v_subrev_nc_u32_e32 v9, 28, v7
	v_sub_nc_u32_e32 v7, 29, v7
	v_lshlrev_b64 v[21:22], v9, v[5:6]
	v_and_b32_e32 v5, 7, v21
; %bb.449:                              ;   in Loop: Header=BB182_359 Depth=1
	s_or_b32 exec_lo, exec_lo, s27
	v_lshlrev_b32_sdwa v9, v43, v59 dst_sel:DWORD dst_unused:UNUSED_PAD src0_sel:DWORD src1_sel:WORD_1
	v_lshlrev_b32_e32 v5, 20, v5
	v_lshl_add_u32 v7, v7, 23, 0x3c000000
	v_and_b32_e32 v9, 0x80000000, v9
	v_or3_b32 v5, v5, v9, v7
	v_mov_b32_e32 v22, v6
	v_mov_b32_e32 v21, v5
.LBB182_450:                            ;   in Loop: Header=BB182_359 Depth=1
	s_or_b32 exec_lo, exec_lo, s26
.LBB182_451:                            ;   in Loop: Header=BB182_359 Depth=1
	s_or_b32 exec_lo, exec_lo, s22
.LBB182_452:                            ;   in Loop: Header=BB182_359 Depth=1
	s_or_b32 exec_lo, exec_lo, s21
	s_mov_b32 s21, exec_lo
	v_cmpx_lt_u32_e32 0xffffff, v59
	s_cbranch_execz .LBB182_460
; %bb.453:                              ;   in Loop: Header=BB182_359 Depth=1
	v_mov_b32_e32 v7, v6
	v_mov_b32_e32 v24, v8
	v_cmp_ne_u32_sdwa s0, v59, v39 src0_sel:BYTE_3 src1_sel:DWORD
	v_mov_b32_e32 v23, v7
	s_and_saveexec_b32 s22, s0
	s_cbranch_execz .LBB182_459
; %bb.454:                              ;   in Loop: Header=BB182_359 Depth=1
	v_mov_b32_e32 v9, v6
	v_mov_b32_e32 v24, v10
	v_bfe_u32 v60, v59, 24, 7
	s_mov_b32 s26, exec_lo
	v_mov_b32_e32 v23, v9
	v_cmpx_ne_u32_e32 0x7f, v60
	s_cbranch_execz .LBB182_458
; %bb.455:                              ;   in Loop: Header=BB182_359 Depth=1
	v_and_b32_sdwa v5, v59, v42 dst_sel:DWORD dst_unused:UNUSED_PAD src0_sel:BYTE_3 src1_sel:DWORD
	v_lshrrev_b32_e32 v7, 3, v60
	s_mov_b32 s27, exec_lo
	v_cmpx_gt_u32_e32 8, v60
; %bb.456:                              ;   in Loop: Header=BB182_359 Depth=1
	v_ffbh_u32_e32 v7, v5
	v_min_u32_e32 v7, 32, v7
	v_subrev_nc_u32_e32 v9, 28, v7
	v_sub_nc_u32_e32 v7, 29, v7
	v_lshlrev_b64 v[23:24], v9, v[5:6]
	v_and_b32_e32 v5, 7, v23
; %bb.457:                              ;   in Loop: Header=BB182_359 Depth=1
	s_or_b32 exec_lo, exec_lo, s27
	v_lshlrev_b32_sdwa v9, v43, v59 dst_sel:DWORD dst_unused:UNUSED_PAD src0_sel:DWORD src1_sel:BYTE_3
	v_lshlrev_b32_e32 v5, 20, v5
	v_lshl_add_u32 v7, v7, 23, 0x3c000000
	v_mov_b32_e32 v23, v6
	v_and_b32_e32 v9, 0x80000000, v9
	v_or3_b32 v24, v5, v9, v7
.LBB182_458:                            ;   in Loop: Header=BB182_359 Depth=1
	s_or_b32 exec_lo, exec_lo, s26
.LBB182_459:                            ;   in Loop: Header=BB182_359 Depth=1
	s_or_b32 exec_lo, exec_lo, s22
.LBB182_460:                            ;   in Loop: Header=BB182_359 Depth=1
	s_or_b32 exec_lo, exec_lo, s21
	v_or_b32_e32 v5, v20, v18
	v_or_b32_e32 v7, v19, v17
	;; [unrolled: 1-line block ×4, first 2 shown]
	v_mul_f32_e32 v61, s18, v5
	v_mul_f32_e32 v62, s17, v7
	;; [unrolled: 1-line block ×4, first 2 shown]
	s_and_saveexec_b32 s21, vcc_lo
	s_cbranch_execz .LBB182_462
; %bb.461:                              ;   in Loop: Header=BB182_359 Depth=1
	v_cmp_gt_i32_e64 s0, s33, v51
	v_cndmask_b32_e64 v62, 0, v62, s0
	v_cmp_gt_i32_e64 s0, s33, v54
	v_cndmask_b32_e64 v61, 0, v61, s0
	;; [unrolled: 2-line block ×4, first 2 shown]
.LBB182_462:                            ;   in Loop: Header=BB182_359 Depth=1
	s_or_b32 exec_lo, exec_lo, s21
	global_load_dword v63, v[15:16], off offset:384
	v_mov_b32_e32 v19, 0
	v_mov_b32_e32 v17, 0
	;; [unrolled: 1-line block ×4, first 2 shown]
	s_waitcnt vmcnt(0)
	v_cmp_ne_u16_sdwa s0, v63, v6 src0_sel:BYTE_0 src1_sel:DWORD
	s_and_saveexec_b32 s21, s0
	s_cbranch_execz .LBB182_470
; %bb.463:                              ;   in Loop: Header=BB182_359 Depth=1
	v_bfrev_b32_e32 v17, 1
	v_mov_b32_e32 v18, 0
	v_cmp_ne_u16_sdwa s0, v63, v39 src0_sel:BYTE_0 src1_sel:DWORD
	s_and_saveexec_b32 s22, s0
	s_cbranch_execz .LBB182_469
; %bb.464:                              ;   in Loop: Header=BB182_359 Depth=1
	v_mov_b32_e32 v17, 0x7f800001
	v_and_b32_e32 v9, 0x7f, v63
	v_mov_b32_e32 v18, 0
	s_mov_b32 s26, exec_lo
	v_cmpx_ne_u32_e32 0x7f, v9
	s_cbranch_execz .LBB182_468
; %bb.465:                              ;   in Loop: Header=BB182_359 Depth=1
	v_and_b32_e32 v5, 7, v63
	v_lshrrev_b32_e32 v7, 3, v9
	s_mov_b32 s27, exec_lo
	v_cmpx_gt_u32_e32 8, v9
; %bb.466:                              ;   in Loop: Header=BB182_359 Depth=1
	v_ffbh_u32_e32 v7, v5
	v_min_u32_e32 v7, 32, v7
	v_subrev_nc_u32_e32 v9, 28, v7
	v_sub_nc_u32_e32 v7, 29, v7
	v_lshlrev_b64 v[17:18], v9, v[5:6]
	v_and_b32_e32 v5, 7, v17
; %bb.467:                              ;   in Loop: Header=BB182_359 Depth=1
	s_or_b32 exec_lo, exec_lo, s27
	v_lshlrev_b32_e32 v9, 24, v63
	v_lshlrev_b32_e32 v5, 20, v5
	v_lshl_add_u32 v7, v7, 23, 0x3c000000
	v_and_b32_e32 v9, 0x80000000, v9
	v_or3_b32 v5, v5, v9, v7
	v_mov_b32_e32 v18, v6
	v_mov_b32_e32 v17, v5
.LBB182_468:                            ;   in Loop: Header=BB182_359 Depth=1
	s_or_b32 exec_lo, exec_lo, s26
.LBB182_469:                            ;   in Loop: Header=BB182_359 Depth=1
	s_or_b32 exec_lo, exec_lo, s22
.LBB182_470:                            ;   in Loop: Header=BB182_359 Depth=1
	s_or_b32 exec_lo, exec_lo, s21
	v_cmp_ne_u16_sdwa s0, v63, v6 src0_sel:BYTE_1 src1_sel:DWORD
	s_and_saveexec_b32 s21, s0
	s_cbranch_execz .LBB182_478
; %bb.471:                              ;   in Loop: Header=BB182_359 Depth=1
	v_mov_b32_e32 v7, v6
	v_mov_b32_e32 v20, v8
	v_cmp_ne_u16_sdwa s0, v63, v39 src0_sel:BYTE_1 src1_sel:DWORD
	v_mov_b32_e32 v19, v7
	s_and_saveexec_b32 s22, s0
	s_cbranch_execz .LBB182_477
; %bb.472:                              ;   in Loop: Header=BB182_359 Depth=1
	v_and_b32_sdwa v5, v40, v63 dst_sel:DWORD dst_unused:UNUSED_PAD src0_sel:DWORD src1_sel:BYTE_1
	v_mov_b32_e32 v9, v6
	v_mov_b32_e32 v20, v10
	s_mov_b32 s26, exec_lo
	v_and_b32_e32 v21, 0x7f, v5
	v_mov_b32_e32 v19, v9
	v_cmpx_ne_u32_e32 0x7f, v21
	s_cbranch_execz .LBB182_476
; %bb.473:                              ;   in Loop: Header=BB182_359 Depth=1
	v_and_b32_e32 v5, 7, v5
	v_lshrrev_b32_e32 v7, 3, v21
	s_mov_b32 s27, exec_lo
	v_cmpx_gt_u32_e32 8, v21
; %bb.474:                              ;   in Loop: Header=BB182_359 Depth=1
	v_ffbh_u32_e32 v7, v5
	v_min_u32_e32 v7, 32, v7
	v_subrev_nc_u32_e32 v9, 28, v7
	v_sub_nc_u32_e32 v7, 29, v7
	v_lshlrev_b64 v[19:20], v9, v[5:6]
	v_and_b32_e32 v5, 7, v19
; %bb.475:                              ;   in Loop: Header=BB182_359 Depth=1
	s_or_b32 exec_lo, exec_lo, s27
	v_lshlrev_b32_e32 v9, 16, v63
	v_lshlrev_b32_e32 v5, 20, v5
	v_lshl_add_u32 v7, v7, 23, 0x3c000000
	v_mov_b32_e32 v19, v6
	v_and_b32_e32 v9, 0x80000000, v9
	v_or3_b32 v20, v5, v9, v7
.LBB182_476:                            ;   in Loop: Header=BB182_359 Depth=1
	s_or_b32 exec_lo, exec_lo, s26
.LBB182_477:                            ;   in Loop: Header=BB182_359 Depth=1
	s_or_b32 exec_lo, exec_lo, s22
.LBB182_478:                            ;   in Loop: Header=BB182_359 Depth=1
	s_or_b32 exec_lo, exec_lo, s21
	v_mov_b32_e32 v23, 0
	v_mov_b32_e32 v21, 0
	v_and_b32_sdwa v5, v63, v41 dst_sel:DWORD dst_unused:UNUSED_PAD src0_sel:WORD_1 src1_sel:DWORD
	v_mov_b32_e32 v24, 0
	v_mov_b32_e32 v22, 0
	s_mov_b32 s21, exec_lo
	v_cmpx_ne_u16_e32 0, v5
	s_cbranch_execz .LBB182_486
; %bb.479:                              ;   in Loop: Header=BB182_359 Depth=1
	v_bfrev_b32_e32 v21, 1
	v_mov_b32_e32 v22, 0
	s_mov_b32 s22, exec_lo
	v_cmpx_ne_u16_e32 0x80, v5
	s_cbranch_execz .LBB182_485
; %bb.480:                              ;   in Loop: Header=BB182_359 Depth=1
	v_mov_b32_e32 v21, 0x7f800001
	v_bfe_u32 v9, v63, 16, 7
	v_mov_b32_e32 v22, 0
	s_mov_b32 s26, exec_lo
	v_cmpx_ne_u32_e32 0x7f, v9
	s_cbranch_execz .LBB182_484
; %bb.481:                              ;   in Loop: Header=BB182_359 Depth=1
	v_and_b32_sdwa v5, v63, v42 dst_sel:DWORD dst_unused:UNUSED_PAD src0_sel:WORD_1 src1_sel:DWORD
	v_lshrrev_b32_e32 v7, 3, v9
	s_mov_b32 s27, exec_lo
	v_cmpx_gt_u32_e32 8, v9
; %bb.482:                              ;   in Loop: Header=BB182_359 Depth=1
	v_ffbh_u32_e32 v7, v5
	v_min_u32_e32 v7, 32, v7
	v_subrev_nc_u32_e32 v9, 28, v7
	v_sub_nc_u32_e32 v7, 29, v7
	v_lshlrev_b64 v[21:22], v9, v[5:6]
	v_and_b32_e32 v5, 7, v21
; %bb.483:                              ;   in Loop: Header=BB182_359 Depth=1
	s_or_b32 exec_lo, exec_lo, s27
	v_lshlrev_b32_sdwa v9, v43, v63 dst_sel:DWORD dst_unused:UNUSED_PAD src0_sel:DWORD src1_sel:WORD_1
	v_lshlrev_b32_e32 v5, 20, v5
	v_lshl_add_u32 v7, v7, 23, 0x3c000000
	v_and_b32_e32 v9, 0x80000000, v9
	v_or3_b32 v5, v5, v9, v7
	v_mov_b32_e32 v22, v6
	v_mov_b32_e32 v21, v5
.LBB182_484:                            ;   in Loop: Header=BB182_359 Depth=1
	s_or_b32 exec_lo, exec_lo, s26
.LBB182_485:                            ;   in Loop: Header=BB182_359 Depth=1
	s_or_b32 exec_lo, exec_lo, s22
.LBB182_486:                            ;   in Loop: Header=BB182_359 Depth=1
	s_or_b32 exec_lo, exec_lo, s21
	s_mov_b32 s21, exec_lo
	v_cmpx_lt_u32_e32 0xffffff, v63
	s_cbranch_execz .LBB182_494
; %bb.487:                              ;   in Loop: Header=BB182_359 Depth=1
	v_mov_b32_e32 v7, v6
	v_mov_b32_e32 v24, v8
	v_cmp_ne_u32_sdwa s0, v63, v39 src0_sel:BYTE_3 src1_sel:DWORD
	v_mov_b32_e32 v23, v7
	s_and_saveexec_b32 s22, s0
	s_cbranch_execz .LBB182_493
; %bb.488:                              ;   in Loop: Header=BB182_359 Depth=1
	v_mov_b32_e32 v9, v6
	v_mov_b32_e32 v24, v10
	v_bfe_u32 v64, v63, 24, 7
	s_mov_b32 s26, exec_lo
	v_mov_b32_e32 v23, v9
	v_cmpx_ne_u32_e32 0x7f, v64
	s_cbranch_execz .LBB182_492
; %bb.489:                              ;   in Loop: Header=BB182_359 Depth=1
	v_and_b32_sdwa v5, v63, v42 dst_sel:DWORD dst_unused:UNUSED_PAD src0_sel:BYTE_3 src1_sel:DWORD
	v_lshrrev_b32_e32 v7, 3, v64
	s_mov_b32 s27, exec_lo
	v_cmpx_gt_u32_e32 8, v64
; %bb.490:                              ;   in Loop: Header=BB182_359 Depth=1
	v_ffbh_u32_e32 v7, v5
	v_min_u32_e32 v7, 32, v7
	v_subrev_nc_u32_e32 v9, 28, v7
	v_sub_nc_u32_e32 v7, 29, v7
	v_lshlrev_b64 v[23:24], v9, v[5:6]
	v_and_b32_e32 v5, 7, v23
; %bb.491:                              ;   in Loop: Header=BB182_359 Depth=1
	s_or_b32 exec_lo, exec_lo, s27
	v_lshlrev_b32_sdwa v9, v43, v63 dst_sel:DWORD dst_unused:UNUSED_PAD src0_sel:DWORD src1_sel:BYTE_3
	v_lshlrev_b32_e32 v5, 20, v5
	v_lshl_add_u32 v7, v7, 23, 0x3c000000
	v_mov_b32_e32 v23, v6
	v_and_b32_e32 v9, 0x80000000, v9
	v_or3_b32 v24, v5, v9, v7
.LBB182_492:                            ;   in Loop: Header=BB182_359 Depth=1
	s_or_b32 exec_lo, exec_lo, s26
.LBB182_493:                            ;   in Loop: Header=BB182_359 Depth=1
	s_or_b32 exec_lo, exec_lo, s22
.LBB182_494:                            ;   in Loop: Header=BB182_359 Depth=1
	s_or_b32 exec_lo, exec_lo, s21
	v_or_b32_e32 v5, v20, v18
	v_or_b32_e32 v7, v19, v17
	;; [unrolled: 1-line block ×4, first 2 shown]
	v_mul_f32_e32 v65, s18, v5
	v_mul_f32_e32 v66, s17, v7
	v_mul_f32_e32 v64, s17, v9
	v_mul_f32_e32 v63, s18, v17
	s_and_saveexec_b32 s21, vcc_lo
	s_cbranch_execz .LBB182_496
; %bb.495:                              ;   in Loop: Header=BB182_359 Depth=1
	v_cmp_gt_i32_e64 s0, s33, v51
	v_cndmask_b32_e64 v66, 0, v66, s0
	v_cmp_gt_i32_e64 s0, s33, v54
	v_cndmask_b32_e64 v65, 0, v65, s0
	;; [unrolled: 2-line block ×4, first 2 shown]
.LBB182_496:                            ;   in Loop: Header=BB182_359 Depth=1
	s_or_b32 exec_lo, exec_lo, s21
	global_load_dword v67, v[15:16], off offset:512
	v_mov_b32_e32 v19, 0
	v_mov_b32_e32 v17, 0
	;; [unrolled: 1-line block ×4, first 2 shown]
	s_waitcnt vmcnt(0)
	v_cmp_ne_u16_sdwa s0, v67, v6 src0_sel:BYTE_0 src1_sel:DWORD
	s_and_saveexec_b32 s21, s0
	s_cbranch_execz .LBB182_504
; %bb.497:                              ;   in Loop: Header=BB182_359 Depth=1
	v_bfrev_b32_e32 v17, 1
	v_mov_b32_e32 v18, 0
	v_cmp_ne_u16_sdwa s0, v67, v39 src0_sel:BYTE_0 src1_sel:DWORD
	s_and_saveexec_b32 s22, s0
	s_cbranch_execz .LBB182_503
; %bb.498:                              ;   in Loop: Header=BB182_359 Depth=1
	v_mov_b32_e32 v17, 0x7f800001
	v_and_b32_e32 v9, 0x7f, v67
	v_mov_b32_e32 v18, 0
	s_mov_b32 s26, exec_lo
	v_cmpx_ne_u32_e32 0x7f, v9
	s_cbranch_execz .LBB182_502
; %bb.499:                              ;   in Loop: Header=BB182_359 Depth=1
	v_and_b32_e32 v5, 7, v67
	v_lshrrev_b32_e32 v7, 3, v9
	s_mov_b32 s27, exec_lo
	v_cmpx_gt_u32_e32 8, v9
; %bb.500:                              ;   in Loop: Header=BB182_359 Depth=1
	v_ffbh_u32_e32 v7, v5
	v_min_u32_e32 v7, 32, v7
	v_subrev_nc_u32_e32 v9, 28, v7
	v_sub_nc_u32_e32 v7, 29, v7
	v_lshlrev_b64 v[17:18], v9, v[5:6]
	v_and_b32_e32 v5, 7, v17
; %bb.501:                              ;   in Loop: Header=BB182_359 Depth=1
	s_or_b32 exec_lo, exec_lo, s27
	v_lshlrev_b32_e32 v9, 24, v67
	v_lshlrev_b32_e32 v5, 20, v5
	v_lshl_add_u32 v7, v7, 23, 0x3c000000
	v_and_b32_e32 v9, 0x80000000, v9
	v_or3_b32 v5, v5, v9, v7
	v_mov_b32_e32 v18, v6
	v_mov_b32_e32 v17, v5
.LBB182_502:                            ;   in Loop: Header=BB182_359 Depth=1
	s_or_b32 exec_lo, exec_lo, s26
.LBB182_503:                            ;   in Loop: Header=BB182_359 Depth=1
	s_or_b32 exec_lo, exec_lo, s22
.LBB182_504:                            ;   in Loop: Header=BB182_359 Depth=1
	s_or_b32 exec_lo, exec_lo, s21
	v_cmp_ne_u16_sdwa s0, v67, v6 src0_sel:BYTE_1 src1_sel:DWORD
	s_and_saveexec_b32 s21, s0
	s_cbranch_execz .LBB182_512
; %bb.505:                              ;   in Loop: Header=BB182_359 Depth=1
	v_mov_b32_e32 v7, v6
	v_mov_b32_e32 v20, v8
	v_cmp_ne_u16_sdwa s0, v67, v39 src0_sel:BYTE_1 src1_sel:DWORD
	v_mov_b32_e32 v19, v7
	s_and_saveexec_b32 s22, s0
	s_cbranch_execz .LBB182_511
; %bb.506:                              ;   in Loop: Header=BB182_359 Depth=1
	v_and_b32_sdwa v5, v40, v67 dst_sel:DWORD dst_unused:UNUSED_PAD src0_sel:DWORD src1_sel:BYTE_1
	v_mov_b32_e32 v9, v6
	v_mov_b32_e32 v20, v10
	s_mov_b32 s26, exec_lo
	v_and_b32_e32 v21, 0x7f, v5
	v_mov_b32_e32 v19, v9
	v_cmpx_ne_u32_e32 0x7f, v21
	s_cbranch_execz .LBB182_510
; %bb.507:                              ;   in Loop: Header=BB182_359 Depth=1
	v_and_b32_e32 v5, 7, v5
	v_lshrrev_b32_e32 v7, 3, v21
	s_mov_b32 s27, exec_lo
	v_cmpx_gt_u32_e32 8, v21
; %bb.508:                              ;   in Loop: Header=BB182_359 Depth=1
	v_ffbh_u32_e32 v7, v5
	v_min_u32_e32 v7, 32, v7
	v_subrev_nc_u32_e32 v9, 28, v7
	v_sub_nc_u32_e32 v7, 29, v7
	v_lshlrev_b64 v[19:20], v9, v[5:6]
	v_and_b32_e32 v5, 7, v19
; %bb.509:                              ;   in Loop: Header=BB182_359 Depth=1
	s_or_b32 exec_lo, exec_lo, s27
	v_lshlrev_b32_e32 v9, 16, v67
	v_lshlrev_b32_e32 v5, 20, v5
	v_lshl_add_u32 v7, v7, 23, 0x3c000000
	v_mov_b32_e32 v19, v6
	v_and_b32_e32 v9, 0x80000000, v9
	v_or3_b32 v20, v5, v9, v7
.LBB182_510:                            ;   in Loop: Header=BB182_359 Depth=1
	s_or_b32 exec_lo, exec_lo, s26
.LBB182_511:                            ;   in Loop: Header=BB182_359 Depth=1
	s_or_b32 exec_lo, exec_lo, s22
.LBB182_512:                            ;   in Loop: Header=BB182_359 Depth=1
	s_or_b32 exec_lo, exec_lo, s21
	v_mov_b32_e32 v23, 0
	v_mov_b32_e32 v21, 0
	v_and_b32_sdwa v5, v67, v41 dst_sel:DWORD dst_unused:UNUSED_PAD src0_sel:WORD_1 src1_sel:DWORD
	v_mov_b32_e32 v24, 0
	v_mov_b32_e32 v22, 0
	s_mov_b32 s21, exec_lo
	v_cmpx_ne_u16_e32 0, v5
	s_cbranch_execz .LBB182_520
; %bb.513:                              ;   in Loop: Header=BB182_359 Depth=1
	v_bfrev_b32_e32 v21, 1
	v_mov_b32_e32 v22, 0
	s_mov_b32 s22, exec_lo
	v_cmpx_ne_u16_e32 0x80, v5
	s_cbranch_execz .LBB182_519
; %bb.514:                              ;   in Loop: Header=BB182_359 Depth=1
	v_mov_b32_e32 v21, 0x7f800001
	v_bfe_u32 v9, v67, 16, 7
	v_mov_b32_e32 v22, 0
	s_mov_b32 s26, exec_lo
	v_cmpx_ne_u32_e32 0x7f, v9
	s_cbranch_execz .LBB182_518
; %bb.515:                              ;   in Loop: Header=BB182_359 Depth=1
	v_and_b32_sdwa v5, v67, v42 dst_sel:DWORD dst_unused:UNUSED_PAD src0_sel:WORD_1 src1_sel:DWORD
	v_lshrrev_b32_e32 v7, 3, v9
	s_mov_b32 s27, exec_lo
	v_cmpx_gt_u32_e32 8, v9
; %bb.516:                              ;   in Loop: Header=BB182_359 Depth=1
	v_ffbh_u32_e32 v7, v5
	v_min_u32_e32 v7, 32, v7
	v_subrev_nc_u32_e32 v9, 28, v7
	v_sub_nc_u32_e32 v7, 29, v7
	v_lshlrev_b64 v[21:22], v9, v[5:6]
	v_and_b32_e32 v5, 7, v21
; %bb.517:                              ;   in Loop: Header=BB182_359 Depth=1
	s_or_b32 exec_lo, exec_lo, s27
	v_lshlrev_b32_sdwa v9, v43, v67 dst_sel:DWORD dst_unused:UNUSED_PAD src0_sel:DWORD src1_sel:WORD_1
	v_lshlrev_b32_e32 v5, 20, v5
	v_lshl_add_u32 v7, v7, 23, 0x3c000000
	v_and_b32_e32 v9, 0x80000000, v9
	v_or3_b32 v5, v5, v9, v7
	v_mov_b32_e32 v22, v6
	v_mov_b32_e32 v21, v5
.LBB182_518:                            ;   in Loop: Header=BB182_359 Depth=1
	s_or_b32 exec_lo, exec_lo, s26
.LBB182_519:                            ;   in Loop: Header=BB182_359 Depth=1
	s_or_b32 exec_lo, exec_lo, s22
.LBB182_520:                            ;   in Loop: Header=BB182_359 Depth=1
	s_or_b32 exec_lo, exec_lo, s21
	s_mov_b32 s21, exec_lo
	v_cmpx_lt_u32_e32 0xffffff, v67
	s_cbranch_execz .LBB182_528
; %bb.521:                              ;   in Loop: Header=BB182_359 Depth=1
	v_mov_b32_e32 v7, v6
	v_mov_b32_e32 v24, v8
	v_cmp_ne_u32_sdwa s0, v67, v39 src0_sel:BYTE_3 src1_sel:DWORD
	v_mov_b32_e32 v23, v7
	s_and_saveexec_b32 s22, s0
	s_cbranch_execz .LBB182_527
; %bb.522:                              ;   in Loop: Header=BB182_359 Depth=1
	v_mov_b32_e32 v9, v6
	v_mov_b32_e32 v24, v10
	v_bfe_u32 v68, v67, 24, 7
	s_mov_b32 s26, exec_lo
	v_mov_b32_e32 v23, v9
	v_cmpx_ne_u32_e32 0x7f, v68
	s_cbranch_execz .LBB182_526
; %bb.523:                              ;   in Loop: Header=BB182_359 Depth=1
	v_and_b32_sdwa v5, v67, v42 dst_sel:DWORD dst_unused:UNUSED_PAD src0_sel:BYTE_3 src1_sel:DWORD
	v_lshrrev_b32_e32 v7, 3, v68
	s_mov_b32 s27, exec_lo
	v_cmpx_gt_u32_e32 8, v68
; %bb.524:                              ;   in Loop: Header=BB182_359 Depth=1
	v_ffbh_u32_e32 v7, v5
	v_min_u32_e32 v7, 32, v7
	v_subrev_nc_u32_e32 v9, 28, v7
	v_sub_nc_u32_e32 v7, 29, v7
	v_lshlrev_b64 v[23:24], v9, v[5:6]
	v_and_b32_e32 v5, 7, v23
; %bb.525:                              ;   in Loop: Header=BB182_359 Depth=1
	s_or_b32 exec_lo, exec_lo, s27
	v_lshlrev_b32_sdwa v9, v43, v67 dst_sel:DWORD dst_unused:UNUSED_PAD src0_sel:DWORD src1_sel:BYTE_3
	v_lshlrev_b32_e32 v5, 20, v5
	v_lshl_add_u32 v7, v7, 23, 0x3c000000
	v_mov_b32_e32 v23, v6
	v_and_b32_e32 v9, 0x80000000, v9
	v_or3_b32 v24, v5, v9, v7
.LBB182_526:                            ;   in Loop: Header=BB182_359 Depth=1
	s_or_b32 exec_lo, exec_lo, s26
.LBB182_527:                            ;   in Loop: Header=BB182_359 Depth=1
	s_or_b32 exec_lo, exec_lo, s22
.LBB182_528:                            ;   in Loop: Header=BB182_359 Depth=1
	s_or_b32 exec_lo, exec_lo, s21
	v_or_b32_e32 v5, v20, v18
	v_or_b32_e32 v7, v19, v17
	;; [unrolled: 1-line block ×4, first 2 shown]
	v_mul_f32_e32 v69, s18, v5
	v_mul_f32_e32 v70, s17, v7
	;; [unrolled: 1-line block ×4, first 2 shown]
	s_and_saveexec_b32 s21, vcc_lo
	s_cbranch_execz .LBB182_530
; %bb.529:                              ;   in Loop: Header=BB182_359 Depth=1
	v_cmp_gt_i32_e64 s0, s33, v51
	v_cndmask_b32_e64 v70, 0, v70, s0
	v_cmp_gt_i32_e64 s0, s33, v54
	v_cndmask_b32_e64 v69, 0, v69, s0
	;; [unrolled: 2-line block ×4, first 2 shown]
.LBB182_530:                            ;   in Loop: Header=BB182_359 Depth=1
	s_or_b32 exec_lo, exec_lo, s21
	global_load_dword v71, v[15:16], off offset:640
	v_mov_b32_e32 v19, 0
	v_mov_b32_e32 v17, 0
	;; [unrolled: 1-line block ×4, first 2 shown]
	s_waitcnt vmcnt(0)
	v_cmp_ne_u16_sdwa s0, v71, v6 src0_sel:BYTE_0 src1_sel:DWORD
	s_and_saveexec_b32 s21, s0
	s_cbranch_execz .LBB182_538
; %bb.531:                              ;   in Loop: Header=BB182_359 Depth=1
	v_bfrev_b32_e32 v17, 1
	v_mov_b32_e32 v18, 0
	v_cmp_ne_u16_sdwa s0, v71, v39 src0_sel:BYTE_0 src1_sel:DWORD
	s_and_saveexec_b32 s22, s0
	s_cbranch_execz .LBB182_537
; %bb.532:                              ;   in Loop: Header=BB182_359 Depth=1
	v_mov_b32_e32 v17, 0x7f800001
	v_and_b32_e32 v9, 0x7f, v71
	v_mov_b32_e32 v18, 0
	s_mov_b32 s26, exec_lo
	v_cmpx_ne_u32_e32 0x7f, v9
	s_cbranch_execz .LBB182_536
; %bb.533:                              ;   in Loop: Header=BB182_359 Depth=1
	v_and_b32_e32 v5, 7, v71
	v_lshrrev_b32_e32 v7, 3, v9
	s_mov_b32 s27, exec_lo
	v_cmpx_gt_u32_e32 8, v9
; %bb.534:                              ;   in Loop: Header=BB182_359 Depth=1
	v_ffbh_u32_e32 v7, v5
	v_min_u32_e32 v7, 32, v7
	v_subrev_nc_u32_e32 v9, 28, v7
	v_sub_nc_u32_e32 v7, 29, v7
	v_lshlrev_b64 v[17:18], v9, v[5:6]
	v_and_b32_e32 v5, 7, v17
; %bb.535:                              ;   in Loop: Header=BB182_359 Depth=1
	s_or_b32 exec_lo, exec_lo, s27
	v_lshlrev_b32_e32 v9, 24, v71
	v_lshlrev_b32_e32 v5, 20, v5
	v_lshl_add_u32 v7, v7, 23, 0x3c000000
	v_and_b32_e32 v9, 0x80000000, v9
	v_or3_b32 v5, v5, v9, v7
	v_mov_b32_e32 v18, v6
	v_mov_b32_e32 v17, v5
.LBB182_536:                            ;   in Loop: Header=BB182_359 Depth=1
	s_or_b32 exec_lo, exec_lo, s26
.LBB182_537:                            ;   in Loop: Header=BB182_359 Depth=1
	s_or_b32 exec_lo, exec_lo, s22
.LBB182_538:                            ;   in Loop: Header=BB182_359 Depth=1
	s_or_b32 exec_lo, exec_lo, s21
	v_cmp_ne_u16_sdwa s0, v71, v6 src0_sel:BYTE_1 src1_sel:DWORD
	s_and_saveexec_b32 s21, s0
	s_cbranch_execz .LBB182_546
; %bb.539:                              ;   in Loop: Header=BB182_359 Depth=1
	v_mov_b32_e32 v7, v6
	v_mov_b32_e32 v20, v8
	v_cmp_ne_u16_sdwa s0, v71, v39 src0_sel:BYTE_1 src1_sel:DWORD
	v_mov_b32_e32 v19, v7
	s_and_saveexec_b32 s22, s0
	s_cbranch_execz .LBB182_545
; %bb.540:                              ;   in Loop: Header=BB182_359 Depth=1
	v_and_b32_sdwa v5, v40, v71 dst_sel:DWORD dst_unused:UNUSED_PAD src0_sel:DWORD src1_sel:BYTE_1
	v_mov_b32_e32 v9, v6
	v_mov_b32_e32 v20, v10
	s_mov_b32 s26, exec_lo
	v_and_b32_e32 v21, 0x7f, v5
	v_mov_b32_e32 v19, v9
	v_cmpx_ne_u32_e32 0x7f, v21
	s_cbranch_execz .LBB182_544
; %bb.541:                              ;   in Loop: Header=BB182_359 Depth=1
	v_and_b32_e32 v5, 7, v5
	v_lshrrev_b32_e32 v7, 3, v21
	s_mov_b32 s27, exec_lo
	v_cmpx_gt_u32_e32 8, v21
; %bb.542:                              ;   in Loop: Header=BB182_359 Depth=1
	v_ffbh_u32_e32 v7, v5
	v_min_u32_e32 v7, 32, v7
	v_subrev_nc_u32_e32 v9, 28, v7
	v_sub_nc_u32_e32 v7, 29, v7
	v_lshlrev_b64 v[19:20], v9, v[5:6]
	v_and_b32_e32 v5, 7, v19
; %bb.543:                              ;   in Loop: Header=BB182_359 Depth=1
	s_or_b32 exec_lo, exec_lo, s27
	v_lshlrev_b32_e32 v9, 16, v71
	v_lshlrev_b32_e32 v5, 20, v5
	v_lshl_add_u32 v7, v7, 23, 0x3c000000
	v_mov_b32_e32 v19, v6
	v_and_b32_e32 v9, 0x80000000, v9
	v_or3_b32 v20, v5, v9, v7
.LBB182_544:                            ;   in Loop: Header=BB182_359 Depth=1
	s_or_b32 exec_lo, exec_lo, s26
.LBB182_545:                            ;   in Loop: Header=BB182_359 Depth=1
	s_or_b32 exec_lo, exec_lo, s22
.LBB182_546:                            ;   in Loop: Header=BB182_359 Depth=1
	s_or_b32 exec_lo, exec_lo, s21
	v_mov_b32_e32 v23, 0
	v_mov_b32_e32 v21, 0
	v_and_b32_sdwa v5, v71, v41 dst_sel:DWORD dst_unused:UNUSED_PAD src0_sel:WORD_1 src1_sel:DWORD
	v_mov_b32_e32 v24, 0
	v_mov_b32_e32 v22, 0
	s_mov_b32 s21, exec_lo
	v_cmpx_ne_u16_e32 0, v5
	s_cbranch_execz .LBB182_554
; %bb.547:                              ;   in Loop: Header=BB182_359 Depth=1
	v_bfrev_b32_e32 v21, 1
	v_mov_b32_e32 v22, 0
	s_mov_b32 s22, exec_lo
	v_cmpx_ne_u16_e32 0x80, v5
	s_cbranch_execz .LBB182_553
; %bb.548:                              ;   in Loop: Header=BB182_359 Depth=1
	v_mov_b32_e32 v21, 0x7f800001
	v_bfe_u32 v9, v71, 16, 7
	v_mov_b32_e32 v22, 0
	s_mov_b32 s26, exec_lo
	v_cmpx_ne_u32_e32 0x7f, v9
	s_cbranch_execz .LBB182_552
; %bb.549:                              ;   in Loop: Header=BB182_359 Depth=1
	v_and_b32_sdwa v5, v71, v42 dst_sel:DWORD dst_unused:UNUSED_PAD src0_sel:WORD_1 src1_sel:DWORD
	v_lshrrev_b32_e32 v7, 3, v9
	s_mov_b32 s27, exec_lo
	v_cmpx_gt_u32_e32 8, v9
; %bb.550:                              ;   in Loop: Header=BB182_359 Depth=1
	v_ffbh_u32_e32 v7, v5
	v_min_u32_e32 v7, 32, v7
	v_subrev_nc_u32_e32 v9, 28, v7
	v_sub_nc_u32_e32 v7, 29, v7
	v_lshlrev_b64 v[21:22], v9, v[5:6]
	v_and_b32_e32 v5, 7, v21
; %bb.551:                              ;   in Loop: Header=BB182_359 Depth=1
	s_or_b32 exec_lo, exec_lo, s27
	v_lshlrev_b32_sdwa v9, v43, v71 dst_sel:DWORD dst_unused:UNUSED_PAD src0_sel:DWORD src1_sel:WORD_1
	v_lshlrev_b32_e32 v5, 20, v5
	v_lshl_add_u32 v7, v7, 23, 0x3c000000
	v_and_b32_e32 v9, 0x80000000, v9
	v_or3_b32 v5, v5, v9, v7
	v_mov_b32_e32 v22, v6
	v_mov_b32_e32 v21, v5
.LBB182_552:                            ;   in Loop: Header=BB182_359 Depth=1
	s_or_b32 exec_lo, exec_lo, s26
.LBB182_553:                            ;   in Loop: Header=BB182_359 Depth=1
	s_or_b32 exec_lo, exec_lo, s22
.LBB182_554:                            ;   in Loop: Header=BB182_359 Depth=1
	s_or_b32 exec_lo, exec_lo, s21
	s_mov_b32 s21, exec_lo
	v_cmpx_lt_u32_e32 0xffffff, v71
	s_cbranch_execz .LBB182_562
; %bb.555:                              ;   in Loop: Header=BB182_359 Depth=1
	v_mov_b32_e32 v7, v6
	v_mov_b32_e32 v24, v8
	v_cmp_ne_u32_sdwa s0, v71, v39 src0_sel:BYTE_3 src1_sel:DWORD
	v_mov_b32_e32 v23, v7
	s_and_saveexec_b32 s22, s0
	s_cbranch_execz .LBB182_561
; %bb.556:                              ;   in Loop: Header=BB182_359 Depth=1
	v_mov_b32_e32 v9, v6
	v_mov_b32_e32 v24, v10
	v_bfe_u32 v72, v71, 24, 7
	s_mov_b32 s26, exec_lo
	v_mov_b32_e32 v23, v9
	v_cmpx_ne_u32_e32 0x7f, v72
	s_cbranch_execz .LBB182_560
; %bb.557:                              ;   in Loop: Header=BB182_359 Depth=1
	v_and_b32_sdwa v5, v71, v42 dst_sel:DWORD dst_unused:UNUSED_PAD src0_sel:BYTE_3 src1_sel:DWORD
	v_lshrrev_b32_e32 v7, 3, v72
	s_mov_b32 s27, exec_lo
	v_cmpx_gt_u32_e32 8, v72
; %bb.558:                              ;   in Loop: Header=BB182_359 Depth=1
	v_ffbh_u32_e32 v7, v5
	v_min_u32_e32 v7, 32, v7
	v_subrev_nc_u32_e32 v9, 28, v7
	v_sub_nc_u32_e32 v7, 29, v7
	v_lshlrev_b64 v[23:24], v9, v[5:6]
	v_and_b32_e32 v5, 7, v23
; %bb.559:                              ;   in Loop: Header=BB182_359 Depth=1
	s_or_b32 exec_lo, exec_lo, s27
	v_lshlrev_b32_sdwa v9, v43, v71 dst_sel:DWORD dst_unused:UNUSED_PAD src0_sel:DWORD src1_sel:BYTE_3
	v_lshlrev_b32_e32 v5, 20, v5
	v_lshl_add_u32 v7, v7, 23, 0x3c000000
	v_mov_b32_e32 v23, v6
	v_and_b32_e32 v9, 0x80000000, v9
	v_or3_b32 v24, v5, v9, v7
.LBB182_560:                            ;   in Loop: Header=BB182_359 Depth=1
	s_or_b32 exec_lo, exec_lo, s26
.LBB182_561:                            ;   in Loop: Header=BB182_359 Depth=1
	s_or_b32 exec_lo, exec_lo, s22
.LBB182_562:                            ;   in Loop: Header=BB182_359 Depth=1
	s_or_b32 exec_lo, exec_lo, s21
	v_or_b32_e32 v5, v20, v18
	v_or_b32_e32 v7, v19, v17
	;; [unrolled: 1-line block ×4, first 2 shown]
	v_mul_f32_e32 v73, s18, v5
	v_mul_f32_e32 v74, s17, v7
	;; [unrolled: 1-line block ×4, first 2 shown]
	s_and_saveexec_b32 s21, vcc_lo
	s_cbranch_execz .LBB182_564
; %bb.563:                              ;   in Loop: Header=BB182_359 Depth=1
	v_cmp_gt_i32_e64 s0, s33, v51
	v_cndmask_b32_e64 v74, 0, v74, s0
	v_cmp_gt_i32_e64 s0, s33, v54
	v_cndmask_b32_e64 v73, 0, v73, s0
	;; [unrolled: 2-line block ×4, first 2 shown]
.LBB182_564:                            ;   in Loop: Header=BB182_359 Depth=1
	s_or_b32 exec_lo, exec_lo, s21
	global_load_dword v75, v[15:16], off offset:768
	v_mov_b32_e32 v19, 0
	v_mov_b32_e32 v17, 0
	;; [unrolled: 1-line block ×4, first 2 shown]
	s_waitcnt vmcnt(0)
	v_cmp_ne_u16_sdwa s0, v75, v6 src0_sel:BYTE_0 src1_sel:DWORD
	s_and_saveexec_b32 s21, s0
	s_cbranch_execz .LBB182_572
; %bb.565:                              ;   in Loop: Header=BB182_359 Depth=1
	v_bfrev_b32_e32 v17, 1
	v_mov_b32_e32 v18, 0
	v_cmp_ne_u16_sdwa s0, v75, v39 src0_sel:BYTE_0 src1_sel:DWORD
	s_and_saveexec_b32 s22, s0
	s_cbranch_execz .LBB182_571
; %bb.566:                              ;   in Loop: Header=BB182_359 Depth=1
	v_mov_b32_e32 v17, 0x7f800001
	v_and_b32_e32 v9, 0x7f, v75
	v_mov_b32_e32 v18, 0
	s_mov_b32 s26, exec_lo
	v_cmpx_ne_u32_e32 0x7f, v9
	s_cbranch_execz .LBB182_570
; %bb.567:                              ;   in Loop: Header=BB182_359 Depth=1
	v_and_b32_e32 v5, 7, v75
	v_lshrrev_b32_e32 v7, 3, v9
	s_mov_b32 s27, exec_lo
	v_cmpx_gt_u32_e32 8, v9
; %bb.568:                              ;   in Loop: Header=BB182_359 Depth=1
	v_ffbh_u32_e32 v7, v5
	v_min_u32_e32 v7, 32, v7
	v_subrev_nc_u32_e32 v9, 28, v7
	v_sub_nc_u32_e32 v7, 29, v7
	v_lshlrev_b64 v[17:18], v9, v[5:6]
	v_and_b32_e32 v5, 7, v17
; %bb.569:                              ;   in Loop: Header=BB182_359 Depth=1
	s_or_b32 exec_lo, exec_lo, s27
	v_lshlrev_b32_e32 v9, 24, v75
	v_lshlrev_b32_e32 v5, 20, v5
	v_lshl_add_u32 v7, v7, 23, 0x3c000000
	v_and_b32_e32 v9, 0x80000000, v9
	v_or3_b32 v5, v5, v9, v7
	v_mov_b32_e32 v18, v6
	v_mov_b32_e32 v17, v5
.LBB182_570:                            ;   in Loop: Header=BB182_359 Depth=1
	s_or_b32 exec_lo, exec_lo, s26
.LBB182_571:                            ;   in Loop: Header=BB182_359 Depth=1
	s_or_b32 exec_lo, exec_lo, s22
.LBB182_572:                            ;   in Loop: Header=BB182_359 Depth=1
	s_or_b32 exec_lo, exec_lo, s21
	v_cmp_ne_u16_sdwa s0, v75, v6 src0_sel:BYTE_1 src1_sel:DWORD
	s_and_saveexec_b32 s21, s0
	s_cbranch_execz .LBB182_580
; %bb.573:                              ;   in Loop: Header=BB182_359 Depth=1
	v_mov_b32_e32 v7, v6
	v_mov_b32_e32 v20, v8
	v_cmp_ne_u16_sdwa s0, v75, v39 src0_sel:BYTE_1 src1_sel:DWORD
	v_mov_b32_e32 v19, v7
	s_and_saveexec_b32 s22, s0
	s_cbranch_execz .LBB182_579
; %bb.574:                              ;   in Loop: Header=BB182_359 Depth=1
	v_and_b32_sdwa v5, v40, v75 dst_sel:DWORD dst_unused:UNUSED_PAD src0_sel:DWORD src1_sel:BYTE_1
	v_mov_b32_e32 v9, v6
	v_mov_b32_e32 v20, v10
	s_mov_b32 s26, exec_lo
	v_and_b32_e32 v21, 0x7f, v5
	v_mov_b32_e32 v19, v9
	v_cmpx_ne_u32_e32 0x7f, v21
	s_cbranch_execz .LBB182_578
; %bb.575:                              ;   in Loop: Header=BB182_359 Depth=1
	v_and_b32_e32 v5, 7, v5
	v_lshrrev_b32_e32 v7, 3, v21
	s_mov_b32 s27, exec_lo
	v_cmpx_gt_u32_e32 8, v21
; %bb.576:                              ;   in Loop: Header=BB182_359 Depth=1
	v_ffbh_u32_e32 v7, v5
	v_min_u32_e32 v7, 32, v7
	v_subrev_nc_u32_e32 v9, 28, v7
	v_sub_nc_u32_e32 v7, 29, v7
	v_lshlrev_b64 v[19:20], v9, v[5:6]
	v_and_b32_e32 v5, 7, v19
; %bb.577:                              ;   in Loop: Header=BB182_359 Depth=1
	s_or_b32 exec_lo, exec_lo, s27
	v_lshlrev_b32_e32 v9, 16, v75
	v_lshlrev_b32_e32 v5, 20, v5
	v_lshl_add_u32 v7, v7, 23, 0x3c000000
	v_mov_b32_e32 v19, v6
	v_and_b32_e32 v9, 0x80000000, v9
	v_or3_b32 v20, v5, v9, v7
.LBB182_578:                            ;   in Loop: Header=BB182_359 Depth=1
	s_or_b32 exec_lo, exec_lo, s26
.LBB182_579:                            ;   in Loop: Header=BB182_359 Depth=1
	s_or_b32 exec_lo, exec_lo, s22
.LBB182_580:                            ;   in Loop: Header=BB182_359 Depth=1
	s_or_b32 exec_lo, exec_lo, s21
	v_mov_b32_e32 v23, 0
	v_mov_b32_e32 v21, 0
	v_and_b32_sdwa v5, v75, v41 dst_sel:DWORD dst_unused:UNUSED_PAD src0_sel:WORD_1 src1_sel:DWORD
	v_mov_b32_e32 v24, 0
	v_mov_b32_e32 v22, 0
	s_mov_b32 s21, exec_lo
	v_cmpx_ne_u16_e32 0, v5
	s_cbranch_execz .LBB182_588
; %bb.581:                              ;   in Loop: Header=BB182_359 Depth=1
	v_bfrev_b32_e32 v21, 1
	v_mov_b32_e32 v22, 0
	s_mov_b32 s22, exec_lo
	v_cmpx_ne_u16_e32 0x80, v5
	s_cbranch_execz .LBB182_587
; %bb.582:                              ;   in Loop: Header=BB182_359 Depth=1
	v_mov_b32_e32 v21, 0x7f800001
	v_bfe_u32 v9, v75, 16, 7
	v_mov_b32_e32 v22, 0
	s_mov_b32 s26, exec_lo
	v_cmpx_ne_u32_e32 0x7f, v9
	s_cbranch_execz .LBB182_586
; %bb.583:                              ;   in Loop: Header=BB182_359 Depth=1
	v_and_b32_sdwa v5, v75, v42 dst_sel:DWORD dst_unused:UNUSED_PAD src0_sel:WORD_1 src1_sel:DWORD
	v_lshrrev_b32_e32 v7, 3, v9
	s_mov_b32 s27, exec_lo
	v_cmpx_gt_u32_e32 8, v9
; %bb.584:                              ;   in Loop: Header=BB182_359 Depth=1
	v_ffbh_u32_e32 v7, v5
	v_min_u32_e32 v7, 32, v7
	v_subrev_nc_u32_e32 v9, 28, v7
	v_sub_nc_u32_e32 v7, 29, v7
	v_lshlrev_b64 v[21:22], v9, v[5:6]
	v_and_b32_e32 v5, 7, v21
; %bb.585:                              ;   in Loop: Header=BB182_359 Depth=1
	s_or_b32 exec_lo, exec_lo, s27
	v_lshlrev_b32_sdwa v9, v43, v75 dst_sel:DWORD dst_unused:UNUSED_PAD src0_sel:DWORD src1_sel:WORD_1
	v_lshlrev_b32_e32 v5, 20, v5
	v_lshl_add_u32 v7, v7, 23, 0x3c000000
	v_and_b32_e32 v9, 0x80000000, v9
	v_or3_b32 v5, v5, v9, v7
	v_mov_b32_e32 v22, v6
	v_mov_b32_e32 v21, v5
.LBB182_586:                            ;   in Loop: Header=BB182_359 Depth=1
	s_or_b32 exec_lo, exec_lo, s26
.LBB182_587:                            ;   in Loop: Header=BB182_359 Depth=1
	s_or_b32 exec_lo, exec_lo, s22
.LBB182_588:                            ;   in Loop: Header=BB182_359 Depth=1
	s_or_b32 exec_lo, exec_lo, s21
	s_mov_b32 s21, exec_lo
	v_cmpx_lt_u32_e32 0xffffff, v75
	s_cbranch_execz .LBB182_596
; %bb.589:                              ;   in Loop: Header=BB182_359 Depth=1
	v_mov_b32_e32 v7, v6
	v_mov_b32_e32 v24, v8
	v_cmp_ne_u32_sdwa s0, v75, v39 src0_sel:BYTE_3 src1_sel:DWORD
	v_mov_b32_e32 v23, v7
	s_and_saveexec_b32 s22, s0
	s_cbranch_execz .LBB182_595
; %bb.590:                              ;   in Loop: Header=BB182_359 Depth=1
	v_mov_b32_e32 v9, v6
	v_mov_b32_e32 v24, v10
	v_bfe_u32 v76, v75, 24, 7
	s_mov_b32 s26, exec_lo
	v_mov_b32_e32 v23, v9
	v_cmpx_ne_u32_e32 0x7f, v76
	s_cbranch_execz .LBB182_594
; %bb.591:                              ;   in Loop: Header=BB182_359 Depth=1
	v_and_b32_sdwa v5, v75, v42 dst_sel:DWORD dst_unused:UNUSED_PAD src0_sel:BYTE_3 src1_sel:DWORD
	v_lshrrev_b32_e32 v7, 3, v76
	s_mov_b32 s27, exec_lo
	v_cmpx_gt_u32_e32 8, v76
; %bb.592:                              ;   in Loop: Header=BB182_359 Depth=1
	v_ffbh_u32_e32 v7, v5
	v_min_u32_e32 v7, 32, v7
	v_subrev_nc_u32_e32 v9, 28, v7
	v_sub_nc_u32_e32 v7, 29, v7
	v_lshlrev_b64 v[23:24], v9, v[5:6]
	v_and_b32_e32 v5, 7, v23
; %bb.593:                              ;   in Loop: Header=BB182_359 Depth=1
	s_or_b32 exec_lo, exec_lo, s27
	v_lshlrev_b32_sdwa v9, v43, v75 dst_sel:DWORD dst_unused:UNUSED_PAD src0_sel:DWORD src1_sel:BYTE_3
	v_lshlrev_b32_e32 v5, 20, v5
	v_lshl_add_u32 v7, v7, 23, 0x3c000000
	v_mov_b32_e32 v23, v6
	v_and_b32_e32 v9, 0x80000000, v9
	v_or3_b32 v24, v5, v9, v7
.LBB182_594:                            ;   in Loop: Header=BB182_359 Depth=1
	s_or_b32 exec_lo, exec_lo, s26
.LBB182_595:                            ;   in Loop: Header=BB182_359 Depth=1
	s_or_b32 exec_lo, exec_lo, s22
.LBB182_596:                            ;   in Loop: Header=BB182_359 Depth=1
	s_or_b32 exec_lo, exec_lo, s21
	v_or_b32_e32 v5, v20, v18
	v_or_b32_e32 v7, v19, v17
	;; [unrolled: 1-line block ×4, first 2 shown]
	v_mul_f32_e32 v77, s18, v5
	v_mul_f32_e32 v78, s17, v7
	;; [unrolled: 1-line block ×4, first 2 shown]
	s_and_saveexec_b32 s21, vcc_lo
	s_cbranch_execz .LBB182_598
; %bb.597:                              ;   in Loop: Header=BB182_359 Depth=1
	v_cmp_gt_i32_e64 s0, s33, v51
	v_cndmask_b32_e64 v78, 0, v78, s0
	v_cmp_gt_i32_e64 s0, s33, v54
	v_cndmask_b32_e64 v77, 0, v77, s0
	;; [unrolled: 2-line block ×4, first 2 shown]
.LBB182_598:                            ;   in Loop: Header=BB182_359 Depth=1
	s_or_b32 exec_lo, exec_lo, s21
	global_load_dword v79, v[15:16], off offset:896
	v_mov_b32_e32 v19, 0
	v_mov_b32_e32 v17, 0
	;; [unrolled: 1-line block ×4, first 2 shown]
	s_waitcnt vmcnt(0)
	v_cmp_ne_u16_sdwa s0, v79, v6 src0_sel:BYTE_0 src1_sel:DWORD
	s_and_saveexec_b32 s21, s0
	s_cbranch_execz .LBB182_606
; %bb.599:                              ;   in Loop: Header=BB182_359 Depth=1
	v_bfrev_b32_e32 v17, 1
	v_mov_b32_e32 v18, 0
	v_cmp_ne_u16_sdwa s0, v79, v39 src0_sel:BYTE_0 src1_sel:DWORD
	s_and_saveexec_b32 s22, s0
	s_cbranch_execz .LBB182_605
; %bb.600:                              ;   in Loop: Header=BB182_359 Depth=1
	v_mov_b32_e32 v17, 0x7f800001
	v_and_b32_e32 v9, 0x7f, v79
	v_mov_b32_e32 v18, 0
	s_mov_b32 s26, exec_lo
	v_cmpx_ne_u32_e32 0x7f, v9
	s_cbranch_execz .LBB182_604
; %bb.601:                              ;   in Loop: Header=BB182_359 Depth=1
	v_and_b32_e32 v5, 7, v79
	v_lshrrev_b32_e32 v7, 3, v9
	s_mov_b32 s27, exec_lo
	v_cmpx_gt_u32_e32 8, v9
; %bb.602:                              ;   in Loop: Header=BB182_359 Depth=1
	v_ffbh_u32_e32 v7, v5
	v_min_u32_e32 v7, 32, v7
	v_subrev_nc_u32_e32 v9, 28, v7
	v_sub_nc_u32_e32 v7, 29, v7
	v_lshlrev_b64 v[17:18], v9, v[5:6]
	v_and_b32_e32 v5, 7, v17
; %bb.603:                              ;   in Loop: Header=BB182_359 Depth=1
	s_or_b32 exec_lo, exec_lo, s27
	v_lshlrev_b32_e32 v9, 24, v79
	v_lshlrev_b32_e32 v5, 20, v5
	v_lshl_add_u32 v7, v7, 23, 0x3c000000
	v_and_b32_e32 v9, 0x80000000, v9
	v_or3_b32 v5, v5, v9, v7
	v_mov_b32_e32 v18, v6
	v_mov_b32_e32 v17, v5
.LBB182_604:                            ;   in Loop: Header=BB182_359 Depth=1
	s_or_b32 exec_lo, exec_lo, s26
.LBB182_605:                            ;   in Loop: Header=BB182_359 Depth=1
	s_or_b32 exec_lo, exec_lo, s22
.LBB182_606:                            ;   in Loop: Header=BB182_359 Depth=1
	s_or_b32 exec_lo, exec_lo, s21
	v_cmp_ne_u16_sdwa s0, v79, v6 src0_sel:BYTE_1 src1_sel:DWORD
	s_and_saveexec_b32 s21, s0
	s_cbranch_execz .LBB182_614
; %bb.607:                              ;   in Loop: Header=BB182_359 Depth=1
	v_mov_b32_e32 v7, v6
	v_mov_b32_e32 v20, v8
	v_cmp_ne_u16_sdwa s0, v79, v39 src0_sel:BYTE_1 src1_sel:DWORD
	v_mov_b32_e32 v19, v7
	s_and_saveexec_b32 s22, s0
	s_cbranch_execz .LBB182_613
; %bb.608:                              ;   in Loop: Header=BB182_359 Depth=1
	v_and_b32_sdwa v5, v40, v79 dst_sel:DWORD dst_unused:UNUSED_PAD src0_sel:DWORD src1_sel:BYTE_1
	v_mov_b32_e32 v9, v6
	v_mov_b32_e32 v20, v10
	s_mov_b32 s26, exec_lo
	v_and_b32_e32 v21, 0x7f, v5
	v_mov_b32_e32 v19, v9
	v_cmpx_ne_u32_e32 0x7f, v21
	s_cbranch_execz .LBB182_612
; %bb.609:                              ;   in Loop: Header=BB182_359 Depth=1
	v_and_b32_e32 v5, 7, v5
	v_lshrrev_b32_e32 v7, 3, v21
	s_mov_b32 s27, exec_lo
	v_cmpx_gt_u32_e32 8, v21
; %bb.610:                              ;   in Loop: Header=BB182_359 Depth=1
	v_ffbh_u32_e32 v7, v5
	v_min_u32_e32 v7, 32, v7
	v_subrev_nc_u32_e32 v9, 28, v7
	v_sub_nc_u32_e32 v7, 29, v7
	v_lshlrev_b64 v[19:20], v9, v[5:6]
	v_and_b32_e32 v5, 7, v19
; %bb.611:                              ;   in Loop: Header=BB182_359 Depth=1
	s_or_b32 exec_lo, exec_lo, s27
	v_lshlrev_b32_e32 v9, 16, v79
	v_lshlrev_b32_e32 v5, 20, v5
	v_lshl_add_u32 v7, v7, 23, 0x3c000000
	v_mov_b32_e32 v19, v6
	v_and_b32_e32 v9, 0x80000000, v9
	v_or3_b32 v20, v5, v9, v7
.LBB182_612:                            ;   in Loop: Header=BB182_359 Depth=1
	s_or_b32 exec_lo, exec_lo, s26
.LBB182_613:                            ;   in Loop: Header=BB182_359 Depth=1
	s_or_b32 exec_lo, exec_lo, s22
.LBB182_614:                            ;   in Loop: Header=BB182_359 Depth=1
	s_or_b32 exec_lo, exec_lo, s21
	v_mov_b32_e32 v23, 0
	v_mov_b32_e32 v21, 0
	v_and_b32_sdwa v5, v79, v41 dst_sel:DWORD dst_unused:UNUSED_PAD src0_sel:WORD_1 src1_sel:DWORD
	v_mov_b32_e32 v24, 0
	v_mov_b32_e32 v22, 0
	s_mov_b32 s21, exec_lo
	v_cmpx_ne_u16_e32 0, v5
	s_cbranch_execz .LBB182_622
; %bb.615:                              ;   in Loop: Header=BB182_359 Depth=1
	v_bfrev_b32_e32 v21, 1
	v_mov_b32_e32 v22, 0
	s_mov_b32 s22, exec_lo
	v_cmpx_ne_u16_e32 0x80, v5
	s_cbranch_execz .LBB182_621
; %bb.616:                              ;   in Loop: Header=BB182_359 Depth=1
	v_mov_b32_e32 v21, 0x7f800001
	v_bfe_u32 v9, v79, 16, 7
	v_mov_b32_e32 v22, 0
	s_mov_b32 s26, exec_lo
	v_cmpx_ne_u32_e32 0x7f, v9
	s_cbranch_execz .LBB182_620
; %bb.617:                              ;   in Loop: Header=BB182_359 Depth=1
	v_and_b32_sdwa v5, v79, v42 dst_sel:DWORD dst_unused:UNUSED_PAD src0_sel:WORD_1 src1_sel:DWORD
	v_lshrrev_b32_e32 v7, 3, v9
	s_mov_b32 s27, exec_lo
	v_cmpx_gt_u32_e32 8, v9
; %bb.618:                              ;   in Loop: Header=BB182_359 Depth=1
	v_ffbh_u32_e32 v7, v5
	v_min_u32_e32 v7, 32, v7
	v_subrev_nc_u32_e32 v9, 28, v7
	v_sub_nc_u32_e32 v7, 29, v7
	v_lshlrev_b64 v[21:22], v9, v[5:6]
	v_and_b32_e32 v5, 7, v21
; %bb.619:                              ;   in Loop: Header=BB182_359 Depth=1
	s_or_b32 exec_lo, exec_lo, s27
	v_lshlrev_b32_sdwa v9, v43, v79 dst_sel:DWORD dst_unused:UNUSED_PAD src0_sel:DWORD src1_sel:WORD_1
	v_lshlrev_b32_e32 v5, 20, v5
	v_lshl_add_u32 v7, v7, 23, 0x3c000000
	v_and_b32_e32 v9, 0x80000000, v9
	v_or3_b32 v5, v5, v9, v7
	v_mov_b32_e32 v22, v6
	v_mov_b32_e32 v21, v5
.LBB182_620:                            ;   in Loop: Header=BB182_359 Depth=1
	s_or_b32 exec_lo, exec_lo, s26
.LBB182_621:                            ;   in Loop: Header=BB182_359 Depth=1
	s_or_b32 exec_lo, exec_lo, s22
.LBB182_622:                            ;   in Loop: Header=BB182_359 Depth=1
	s_or_b32 exec_lo, exec_lo, s21
	s_mov_b32 s21, exec_lo
	v_cmpx_lt_u32_e32 0xffffff, v79
	s_cbranch_execz .LBB182_630
; %bb.623:                              ;   in Loop: Header=BB182_359 Depth=1
	v_mov_b32_e32 v7, v6
	v_mov_b32_e32 v24, v8
	v_cmp_ne_u32_sdwa s0, v79, v39 src0_sel:BYTE_3 src1_sel:DWORD
	v_mov_b32_e32 v23, v7
	s_and_saveexec_b32 s22, s0
	s_cbranch_execz .LBB182_629
; %bb.624:                              ;   in Loop: Header=BB182_359 Depth=1
	v_mov_b32_e32 v9, v6
	v_mov_b32_e32 v24, v10
	v_bfe_u32 v80, v79, 24, 7
	s_mov_b32 s26, exec_lo
	v_mov_b32_e32 v23, v9
	v_cmpx_ne_u32_e32 0x7f, v80
	s_cbranch_execz .LBB182_628
; %bb.625:                              ;   in Loop: Header=BB182_359 Depth=1
	v_and_b32_sdwa v5, v79, v42 dst_sel:DWORD dst_unused:UNUSED_PAD src0_sel:BYTE_3 src1_sel:DWORD
	v_lshrrev_b32_e32 v7, 3, v80
	s_mov_b32 s27, exec_lo
	v_cmpx_gt_u32_e32 8, v80
; %bb.626:                              ;   in Loop: Header=BB182_359 Depth=1
	v_ffbh_u32_e32 v7, v5
	v_min_u32_e32 v7, 32, v7
	v_subrev_nc_u32_e32 v9, 28, v7
	v_sub_nc_u32_e32 v7, 29, v7
	v_lshlrev_b64 v[23:24], v9, v[5:6]
	v_and_b32_e32 v5, 7, v23
; %bb.627:                              ;   in Loop: Header=BB182_359 Depth=1
	s_or_b32 exec_lo, exec_lo, s27
	v_lshlrev_b32_sdwa v9, v43, v79 dst_sel:DWORD dst_unused:UNUSED_PAD src0_sel:DWORD src1_sel:BYTE_3
	v_lshlrev_b32_e32 v5, 20, v5
	v_lshl_add_u32 v7, v7, 23, 0x3c000000
	v_mov_b32_e32 v23, v6
	v_and_b32_e32 v9, 0x80000000, v9
	v_or3_b32 v24, v5, v9, v7
.LBB182_628:                            ;   in Loop: Header=BB182_359 Depth=1
	s_or_b32 exec_lo, exec_lo, s26
.LBB182_629:                            ;   in Loop: Header=BB182_359 Depth=1
	s_or_b32 exec_lo, exec_lo, s22
.LBB182_630:                            ;   in Loop: Header=BB182_359 Depth=1
	s_or_b32 exec_lo, exec_lo, s21
	v_or_b32_e32 v5, v20, v18
	v_or_b32_e32 v7, v19, v17
	v_or_b32_e32 v9, v23, v21
	v_or_b32_e32 v17, v24, v22
	v_mul_f32_e32 v81, s18, v5
	v_mul_f32_e32 v82, s17, v7
	;; [unrolled: 1-line block ×4, first 2 shown]
	s_and_saveexec_b32 s21, vcc_lo
	s_cbranch_execz .LBB182_632
; %bb.631:                              ;   in Loop: Header=BB182_359 Depth=1
	v_cmp_gt_i32_e64 s0, s33, v51
	v_cndmask_b32_e64 v82, 0, v82, s0
	v_cmp_gt_i32_e64 s0, s33, v54
	v_cndmask_b32_e64 v81, 0, v81, s0
	;; [unrolled: 2-line block ×4, first 2 shown]
.LBB182_632:                            ;   in Loop: Header=BB182_359 Depth=1
	s_or_b32 exec_lo, exec_lo, s21
	global_load_dword v83, v[15:16], off offset:1024
	v_mov_b32_e32 v19, 0
	v_mov_b32_e32 v17, 0
	;; [unrolled: 1-line block ×4, first 2 shown]
	s_waitcnt vmcnt(0)
	v_cmp_ne_u16_sdwa s0, v83, v6 src0_sel:BYTE_0 src1_sel:DWORD
	s_and_saveexec_b32 s21, s0
	s_cbranch_execz .LBB182_640
; %bb.633:                              ;   in Loop: Header=BB182_359 Depth=1
	v_bfrev_b32_e32 v17, 1
	v_mov_b32_e32 v18, 0
	v_cmp_ne_u16_sdwa s0, v83, v39 src0_sel:BYTE_0 src1_sel:DWORD
	s_and_saveexec_b32 s22, s0
	s_cbranch_execz .LBB182_639
; %bb.634:                              ;   in Loop: Header=BB182_359 Depth=1
	v_mov_b32_e32 v17, 0x7f800001
	v_and_b32_e32 v9, 0x7f, v83
	v_mov_b32_e32 v18, 0
	s_mov_b32 s26, exec_lo
	v_cmpx_ne_u32_e32 0x7f, v9
	s_cbranch_execz .LBB182_638
; %bb.635:                              ;   in Loop: Header=BB182_359 Depth=1
	v_and_b32_e32 v5, 7, v83
	v_lshrrev_b32_e32 v7, 3, v9
	s_mov_b32 s27, exec_lo
	v_cmpx_gt_u32_e32 8, v9
; %bb.636:                              ;   in Loop: Header=BB182_359 Depth=1
	v_ffbh_u32_e32 v7, v5
	v_min_u32_e32 v7, 32, v7
	v_subrev_nc_u32_e32 v9, 28, v7
	v_sub_nc_u32_e32 v7, 29, v7
	v_lshlrev_b64 v[17:18], v9, v[5:6]
	v_and_b32_e32 v5, 7, v17
; %bb.637:                              ;   in Loop: Header=BB182_359 Depth=1
	s_or_b32 exec_lo, exec_lo, s27
	v_lshlrev_b32_e32 v9, 24, v83
	v_lshlrev_b32_e32 v5, 20, v5
	v_lshl_add_u32 v7, v7, 23, 0x3c000000
	v_and_b32_e32 v9, 0x80000000, v9
	v_or3_b32 v5, v5, v9, v7
	v_mov_b32_e32 v18, v6
	v_mov_b32_e32 v17, v5
.LBB182_638:                            ;   in Loop: Header=BB182_359 Depth=1
	s_or_b32 exec_lo, exec_lo, s26
.LBB182_639:                            ;   in Loop: Header=BB182_359 Depth=1
	s_or_b32 exec_lo, exec_lo, s22
.LBB182_640:                            ;   in Loop: Header=BB182_359 Depth=1
	s_or_b32 exec_lo, exec_lo, s21
	v_cmp_ne_u16_sdwa s0, v83, v6 src0_sel:BYTE_1 src1_sel:DWORD
	s_and_saveexec_b32 s21, s0
	s_cbranch_execz .LBB182_648
; %bb.641:                              ;   in Loop: Header=BB182_359 Depth=1
	v_mov_b32_e32 v7, v6
	v_mov_b32_e32 v20, v8
	v_cmp_ne_u16_sdwa s0, v83, v39 src0_sel:BYTE_1 src1_sel:DWORD
	v_mov_b32_e32 v19, v7
	s_and_saveexec_b32 s22, s0
	s_cbranch_execz .LBB182_647
; %bb.642:                              ;   in Loop: Header=BB182_359 Depth=1
	v_and_b32_sdwa v5, v40, v83 dst_sel:DWORD dst_unused:UNUSED_PAD src0_sel:DWORD src1_sel:BYTE_1
	v_mov_b32_e32 v9, v6
	v_mov_b32_e32 v20, v10
	s_mov_b32 s26, exec_lo
	v_and_b32_e32 v21, 0x7f, v5
	v_mov_b32_e32 v19, v9
	v_cmpx_ne_u32_e32 0x7f, v21
	s_cbranch_execz .LBB182_646
; %bb.643:                              ;   in Loop: Header=BB182_359 Depth=1
	v_and_b32_e32 v5, 7, v5
	v_lshrrev_b32_e32 v7, 3, v21
	s_mov_b32 s27, exec_lo
	v_cmpx_gt_u32_e32 8, v21
; %bb.644:                              ;   in Loop: Header=BB182_359 Depth=1
	v_ffbh_u32_e32 v7, v5
	v_min_u32_e32 v7, 32, v7
	v_subrev_nc_u32_e32 v9, 28, v7
	v_sub_nc_u32_e32 v7, 29, v7
	v_lshlrev_b64 v[19:20], v9, v[5:6]
	v_and_b32_e32 v5, 7, v19
; %bb.645:                              ;   in Loop: Header=BB182_359 Depth=1
	s_or_b32 exec_lo, exec_lo, s27
	v_lshlrev_b32_e32 v9, 16, v83
	v_lshlrev_b32_e32 v5, 20, v5
	v_lshl_add_u32 v7, v7, 23, 0x3c000000
	v_mov_b32_e32 v19, v6
	v_and_b32_e32 v9, 0x80000000, v9
	v_or3_b32 v20, v5, v9, v7
.LBB182_646:                            ;   in Loop: Header=BB182_359 Depth=1
	s_or_b32 exec_lo, exec_lo, s26
.LBB182_647:                            ;   in Loop: Header=BB182_359 Depth=1
	s_or_b32 exec_lo, exec_lo, s22
.LBB182_648:                            ;   in Loop: Header=BB182_359 Depth=1
	s_or_b32 exec_lo, exec_lo, s21
	v_mov_b32_e32 v23, 0
	v_mov_b32_e32 v21, 0
	v_and_b32_sdwa v5, v83, v41 dst_sel:DWORD dst_unused:UNUSED_PAD src0_sel:WORD_1 src1_sel:DWORD
	v_mov_b32_e32 v24, 0
	v_mov_b32_e32 v22, 0
	s_mov_b32 s21, exec_lo
	v_cmpx_ne_u16_e32 0, v5
	s_cbranch_execz .LBB182_656
; %bb.649:                              ;   in Loop: Header=BB182_359 Depth=1
	v_bfrev_b32_e32 v21, 1
	v_mov_b32_e32 v22, 0
	s_mov_b32 s22, exec_lo
	v_cmpx_ne_u16_e32 0x80, v5
	s_cbranch_execz .LBB182_655
; %bb.650:                              ;   in Loop: Header=BB182_359 Depth=1
	v_mov_b32_e32 v21, 0x7f800001
	v_bfe_u32 v9, v83, 16, 7
	v_mov_b32_e32 v22, 0
	s_mov_b32 s26, exec_lo
	v_cmpx_ne_u32_e32 0x7f, v9
	s_cbranch_execz .LBB182_654
; %bb.651:                              ;   in Loop: Header=BB182_359 Depth=1
	v_and_b32_sdwa v5, v83, v42 dst_sel:DWORD dst_unused:UNUSED_PAD src0_sel:WORD_1 src1_sel:DWORD
	v_lshrrev_b32_e32 v7, 3, v9
	s_mov_b32 s27, exec_lo
	v_cmpx_gt_u32_e32 8, v9
; %bb.652:                              ;   in Loop: Header=BB182_359 Depth=1
	v_ffbh_u32_e32 v7, v5
	v_min_u32_e32 v7, 32, v7
	v_subrev_nc_u32_e32 v9, 28, v7
	v_sub_nc_u32_e32 v7, 29, v7
	v_lshlrev_b64 v[21:22], v9, v[5:6]
	v_and_b32_e32 v5, 7, v21
; %bb.653:                              ;   in Loop: Header=BB182_359 Depth=1
	s_or_b32 exec_lo, exec_lo, s27
	v_lshlrev_b32_sdwa v9, v43, v83 dst_sel:DWORD dst_unused:UNUSED_PAD src0_sel:DWORD src1_sel:WORD_1
	v_lshlrev_b32_e32 v5, 20, v5
	v_lshl_add_u32 v7, v7, 23, 0x3c000000
	v_and_b32_e32 v9, 0x80000000, v9
	v_or3_b32 v5, v5, v9, v7
	v_mov_b32_e32 v22, v6
	v_mov_b32_e32 v21, v5
.LBB182_654:                            ;   in Loop: Header=BB182_359 Depth=1
	s_or_b32 exec_lo, exec_lo, s26
.LBB182_655:                            ;   in Loop: Header=BB182_359 Depth=1
	s_or_b32 exec_lo, exec_lo, s22
.LBB182_656:                            ;   in Loop: Header=BB182_359 Depth=1
	s_or_b32 exec_lo, exec_lo, s21
	s_mov_b32 s21, exec_lo
	v_cmpx_lt_u32_e32 0xffffff, v83
	s_cbranch_execz .LBB182_664
; %bb.657:                              ;   in Loop: Header=BB182_359 Depth=1
	v_mov_b32_e32 v7, v6
	v_mov_b32_e32 v24, v8
	v_cmp_ne_u32_sdwa s0, v83, v39 src0_sel:BYTE_3 src1_sel:DWORD
	v_mov_b32_e32 v23, v7
	s_and_saveexec_b32 s22, s0
	s_cbranch_execz .LBB182_663
; %bb.658:                              ;   in Loop: Header=BB182_359 Depth=1
	v_mov_b32_e32 v9, v6
	v_mov_b32_e32 v24, v10
	v_bfe_u32 v84, v83, 24, 7
	s_mov_b32 s26, exec_lo
	v_mov_b32_e32 v23, v9
	v_cmpx_ne_u32_e32 0x7f, v84
	s_cbranch_execz .LBB182_662
; %bb.659:                              ;   in Loop: Header=BB182_359 Depth=1
	v_and_b32_sdwa v5, v83, v42 dst_sel:DWORD dst_unused:UNUSED_PAD src0_sel:BYTE_3 src1_sel:DWORD
	v_lshrrev_b32_e32 v7, 3, v84
	s_mov_b32 s27, exec_lo
	v_cmpx_gt_u32_e32 8, v84
; %bb.660:                              ;   in Loop: Header=BB182_359 Depth=1
	v_ffbh_u32_e32 v7, v5
	v_min_u32_e32 v7, 32, v7
	v_subrev_nc_u32_e32 v9, 28, v7
	v_sub_nc_u32_e32 v7, 29, v7
	v_lshlrev_b64 v[23:24], v9, v[5:6]
	v_and_b32_e32 v5, 7, v23
; %bb.661:                              ;   in Loop: Header=BB182_359 Depth=1
	s_or_b32 exec_lo, exec_lo, s27
	v_lshlrev_b32_sdwa v9, v43, v83 dst_sel:DWORD dst_unused:UNUSED_PAD src0_sel:DWORD src1_sel:BYTE_3
	v_lshlrev_b32_e32 v5, 20, v5
	v_lshl_add_u32 v7, v7, 23, 0x3c000000
	v_mov_b32_e32 v23, v6
	v_and_b32_e32 v9, 0x80000000, v9
	v_or3_b32 v24, v5, v9, v7
.LBB182_662:                            ;   in Loop: Header=BB182_359 Depth=1
	s_or_b32 exec_lo, exec_lo, s26
.LBB182_663:                            ;   in Loop: Header=BB182_359 Depth=1
	s_or_b32 exec_lo, exec_lo, s22
.LBB182_664:                            ;   in Loop: Header=BB182_359 Depth=1
	s_or_b32 exec_lo, exec_lo, s21
	v_or_b32_e32 v5, v20, v18
	v_or_b32_e32 v7, v19, v17
	;; [unrolled: 1-line block ×4, first 2 shown]
	v_mul_f32_e32 v83, s18, v5
	v_mul_f32_e32 v84, s17, v7
	;; [unrolled: 1-line block ×4, first 2 shown]
	s_and_saveexec_b32 s21, vcc_lo
	s_cbranch_execz .LBB182_666
; %bb.665:                              ;   in Loop: Header=BB182_359 Depth=1
	v_cmp_gt_i32_e64 s0, s33, v51
	v_cndmask_b32_e64 v84, 0, v84, s0
	v_cmp_gt_i32_e64 s0, s33, v54
	v_cndmask_b32_e64 v83, 0, v83, s0
	v_cmp_gt_i32_e64 s0, s33, v53
	v_cndmask_b32_e64 v24, 0, v24, s0
	v_cmp_gt_i32_e64 s0, s33, v52
	v_cndmask_b32_e64 v23, 0, v23, s0
.LBB182_666:                            ;   in Loop: Header=BB182_359 Depth=1
	s_or_b32 exec_lo, exec_lo, s21
	global_load_dword v85, v[15:16], off offset:1152
	v_mov_b32_e32 v17, 0
	v_mov_b32_e32 v15, 0
	;; [unrolled: 1-line block ×4, first 2 shown]
	s_waitcnt vmcnt(0)
	v_cmp_ne_u16_sdwa s0, v85, v6 src0_sel:BYTE_0 src1_sel:DWORD
	s_and_saveexec_b32 s21, s0
	s_cbranch_execz .LBB182_674
; %bb.667:                              ;   in Loop: Header=BB182_359 Depth=1
	v_bfrev_b32_e32 v15, 1
	v_mov_b32_e32 v16, 0
	v_cmp_ne_u16_sdwa s0, v85, v39 src0_sel:BYTE_0 src1_sel:DWORD
	s_and_saveexec_b32 s22, s0
	s_cbranch_execz .LBB182_673
; %bb.668:                              ;   in Loop: Header=BB182_359 Depth=1
	v_mov_b32_e32 v15, 0x7f800001
	v_and_b32_e32 v9, 0x7f, v85
	v_mov_b32_e32 v16, 0
	s_mov_b32 s26, exec_lo
	v_cmpx_ne_u32_e32 0x7f, v9
	s_cbranch_execz .LBB182_672
; %bb.669:                              ;   in Loop: Header=BB182_359 Depth=1
	v_and_b32_e32 v5, 7, v85
	v_lshrrev_b32_e32 v7, 3, v9
	s_mov_b32 s27, exec_lo
	v_cmpx_gt_u32_e32 8, v9
; %bb.670:                              ;   in Loop: Header=BB182_359 Depth=1
	v_ffbh_u32_e32 v7, v5
	v_min_u32_e32 v7, 32, v7
	v_subrev_nc_u32_e32 v9, 28, v7
	v_sub_nc_u32_e32 v7, 29, v7
	v_lshlrev_b64 v[15:16], v9, v[5:6]
	v_and_b32_e32 v5, 7, v15
; %bb.671:                              ;   in Loop: Header=BB182_359 Depth=1
	s_or_b32 exec_lo, exec_lo, s27
	v_lshlrev_b32_e32 v9, 24, v85
	v_lshlrev_b32_e32 v5, 20, v5
	v_lshl_add_u32 v7, v7, 23, 0x3c000000
	v_and_b32_e32 v9, 0x80000000, v9
	v_or3_b32 v5, v5, v9, v7
	v_mov_b32_e32 v16, v6
	v_mov_b32_e32 v15, v5
.LBB182_672:                            ;   in Loop: Header=BB182_359 Depth=1
	s_or_b32 exec_lo, exec_lo, s26
.LBB182_673:                            ;   in Loop: Header=BB182_359 Depth=1
	s_or_b32 exec_lo, exec_lo, s22
.LBB182_674:                            ;   in Loop: Header=BB182_359 Depth=1
	s_or_b32 exec_lo, exec_lo, s21
	v_cmp_ne_u16_sdwa s0, v85, v6 src0_sel:BYTE_1 src1_sel:DWORD
	s_and_saveexec_b32 s21, s0
	s_cbranch_execz .LBB182_682
; %bb.675:                              ;   in Loop: Header=BB182_359 Depth=1
	v_mov_b32_e32 v7, v6
	v_mov_b32_e32 v18, v8
	v_cmp_ne_u16_sdwa s0, v85, v39 src0_sel:BYTE_1 src1_sel:DWORD
	v_mov_b32_e32 v17, v7
	s_and_saveexec_b32 s22, s0
	s_cbranch_execz .LBB182_681
; %bb.676:                              ;   in Loop: Header=BB182_359 Depth=1
	v_and_b32_sdwa v5, v40, v85 dst_sel:DWORD dst_unused:UNUSED_PAD src0_sel:DWORD src1_sel:BYTE_1
	v_mov_b32_e32 v9, v6
	v_mov_b32_e32 v18, v10
	s_mov_b32 s26, exec_lo
	v_and_b32_e32 v19, 0x7f, v5
	v_mov_b32_e32 v17, v9
	v_cmpx_ne_u32_e32 0x7f, v19
	s_cbranch_execz .LBB182_680
; %bb.677:                              ;   in Loop: Header=BB182_359 Depth=1
	v_and_b32_e32 v5, 7, v5
	v_lshrrev_b32_e32 v7, 3, v19
	s_mov_b32 s27, exec_lo
	v_cmpx_gt_u32_e32 8, v19
; %bb.678:                              ;   in Loop: Header=BB182_359 Depth=1
	v_ffbh_u32_e32 v7, v5
	v_min_u32_e32 v7, 32, v7
	v_subrev_nc_u32_e32 v9, 28, v7
	v_sub_nc_u32_e32 v7, 29, v7
	v_lshlrev_b64 v[17:18], v9, v[5:6]
	v_and_b32_e32 v5, 7, v17
; %bb.679:                              ;   in Loop: Header=BB182_359 Depth=1
	s_or_b32 exec_lo, exec_lo, s27
	v_lshlrev_b32_e32 v9, 16, v85
	v_lshlrev_b32_e32 v5, 20, v5
	v_lshl_add_u32 v7, v7, 23, 0x3c000000
	v_mov_b32_e32 v17, v6
	v_and_b32_e32 v9, 0x80000000, v9
	v_or3_b32 v18, v5, v9, v7
.LBB182_680:                            ;   in Loop: Header=BB182_359 Depth=1
	s_or_b32 exec_lo, exec_lo, s26
.LBB182_681:                            ;   in Loop: Header=BB182_359 Depth=1
	s_or_b32 exec_lo, exec_lo, s22
.LBB182_682:                            ;   in Loop: Header=BB182_359 Depth=1
	s_or_b32 exec_lo, exec_lo, s21
	v_mov_b32_e32 v21, 0
	v_mov_b32_e32 v19, 0
	v_and_b32_sdwa v5, v85, v41 dst_sel:DWORD dst_unused:UNUSED_PAD src0_sel:WORD_1 src1_sel:DWORD
	v_mov_b32_e32 v22, 0
	v_mov_b32_e32 v20, 0
	s_mov_b32 s21, exec_lo
	v_cmpx_ne_u16_e32 0, v5
	s_cbranch_execz .LBB182_690
; %bb.683:                              ;   in Loop: Header=BB182_359 Depth=1
	v_bfrev_b32_e32 v19, 1
	v_mov_b32_e32 v20, 0
	s_mov_b32 s22, exec_lo
	v_cmpx_ne_u16_e32 0x80, v5
	s_cbranch_execz .LBB182_689
; %bb.684:                              ;   in Loop: Header=BB182_359 Depth=1
	v_mov_b32_e32 v19, 0x7f800001
	v_bfe_u32 v9, v85, 16, 7
	v_mov_b32_e32 v20, 0
	s_mov_b32 s26, exec_lo
	v_cmpx_ne_u32_e32 0x7f, v9
	s_cbranch_execz .LBB182_688
; %bb.685:                              ;   in Loop: Header=BB182_359 Depth=1
	v_and_b32_sdwa v5, v85, v42 dst_sel:DWORD dst_unused:UNUSED_PAD src0_sel:WORD_1 src1_sel:DWORD
	v_lshrrev_b32_e32 v7, 3, v9
	s_mov_b32 s27, exec_lo
	v_cmpx_gt_u32_e32 8, v9
; %bb.686:                              ;   in Loop: Header=BB182_359 Depth=1
	v_ffbh_u32_e32 v7, v5
	v_min_u32_e32 v7, 32, v7
	v_subrev_nc_u32_e32 v9, 28, v7
	v_sub_nc_u32_e32 v7, 29, v7
	v_lshlrev_b64 v[19:20], v9, v[5:6]
	v_and_b32_e32 v5, 7, v19
; %bb.687:                              ;   in Loop: Header=BB182_359 Depth=1
	s_or_b32 exec_lo, exec_lo, s27
	v_lshlrev_b32_sdwa v9, v43, v85 dst_sel:DWORD dst_unused:UNUSED_PAD src0_sel:DWORD src1_sel:WORD_1
	v_lshlrev_b32_e32 v5, 20, v5
	v_lshl_add_u32 v7, v7, 23, 0x3c000000
	v_and_b32_e32 v9, 0x80000000, v9
	v_or3_b32 v5, v5, v9, v7
	v_mov_b32_e32 v20, v6
	v_mov_b32_e32 v19, v5
.LBB182_688:                            ;   in Loop: Header=BB182_359 Depth=1
	s_or_b32 exec_lo, exec_lo, s26
.LBB182_689:                            ;   in Loop: Header=BB182_359 Depth=1
	s_or_b32 exec_lo, exec_lo, s22
.LBB182_690:                            ;   in Loop: Header=BB182_359 Depth=1
	s_or_b32 exec_lo, exec_lo, s21
	s_mov_b32 s21, exec_lo
	v_cmpx_lt_u32_e32 0xffffff, v85
	s_cbranch_execz .LBB182_698
; %bb.691:                              ;   in Loop: Header=BB182_359 Depth=1
	v_mov_b32_e32 v7, v6
	v_mov_b32_e32 v22, v8
	v_cmp_ne_u32_sdwa s0, v85, v39 src0_sel:BYTE_3 src1_sel:DWORD
	v_mov_b32_e32 v21, v7
	s_and_saveexec_b32 s22, s0
	s_cbranch_execz .LBB182_697
; %bb.692:                              ;   in Loop: Header=BB182_359 Depth=1
	v_mov_b32_e32 v9, v6
	v_mov_b32_e32 v22, v10
	v_bfe_u32 v86, v85, 24, 7
	s_mov_b32 s26, exec_lo
	v_mov_b32_e32 v21, v9
	v_cmpx_ne_u32_e32 0x7f, v86
	s_cbranch_execz .LBB182_696
; %bb.693:                              ;   in Loop: Header=BB182_359 Depth=1
	v_and_b32_sdwa v5, v85, v42 dst_sel:DWORD dst_unused:UNUSED_PAD src0_sel:BYTE_3 src1_sel:DWORD
	v_lshrrev_b32_e32 v7, 3, v86
	s_mov_b32 s27, exec_lo
	v_cmpx_gt_u32_e32 8, v86
; %bb.694:                              ;   in Loop: Header=BB182_359 Depth=1
	v_ffbh_u32_e32 v7, v5
	v_min_u32_e32 v7, 32, v7
	v_subrev_nc_u32_e32 v9, 28, v7
	v_sub_nc_u32_e32 v7, 29, v7
	v_lshlrev_b64 v[21:22], v9, v[5:6]
	v_and_b32_e32 v5, 7, v21
; %bb.695:                              ;   in Loop: Header=BB182_359 Depth=1
	s_or_b32 exec_lo, exec_lo, s27
	v_lshlrev_b32_sdwa v9, v43, v85 dst_sel:DWORD dst_unused:UNUSED_PAD src0_sel:DWORD src1_sel:BYTE_3
	v_lshlrev_b32_e32 v5, 20, v5
	v_lshl_add_u32 v7, v7, 23, 0x3c000000
	v_mov_b32_e32 v21, v6
	v_and_b32_e32 v9, 0x80000000, v9
	v_or3_b32 v22, v5, v9, v7
.LBB182_696:                            ;   in Loop: Header=BB182_359 Depth=1
	s_or_b32 exec_lo, exec_lo, s26
.LBB182_697:                            ;   in Loop: Header=BB182_359 Depth=1
	s_or_b32 exec_lo, exec_lo, s22
.LBB182_698:                            ;   in Loop: Header=BB182_359 Depth=1
	s_or_b32 exec_lo, exec_lo, s21
	v_or_b32_e32 v5, v18, v16
	v_or_b32_e32 v7, v17, v15
	;; [unrolled: 1-line block ×4, first 2 shown]
	v_mul_f32_e32 v9, s18, v5
	v_mul_f32_e32 v15, s17, v7
	;; [unrolled: 1-line block ×4, first 2 shown]
	s_and_saveexec_b32 s0, vcc_lo
	s_cbranch_execz .LBB182_357
; %bb.699:                              ;   in Loop: Header=BB182_359 Depth=1
	v_cmp_gt_i32_e32 vcc_lo, s33, v51
	v_cndmask_b32_e32 v15, 0, v15, vcc_lo
	v_cmp_gt_i32_e32 vcc_lo, s33, v54
	v_cndmask_b32_e32 v9, 0, v9, vcc_lo
	;; [unrolled: 2-line block ×4, first 2 shown]
	s_branch .LBB182_357
.LBB182_700:
	s_or_b32 exec_lo, exec_lo, s5
	v_mov_b32_e32 v38, v87
	v_mov_b32_e32 v52, v88
.LBB182_701:
	s_or_b32 exec_lo, exec_lo, s1
	ds_bpermute_b32 v1, v25, v36
	ds_bpermute_b32 v2, v25, v37
	;; [unrolled: 1-line block ×10, first 2 shown]
	v_and_b32_e32 v11, 28, v0
	v_mul_u32_u24_e32 v12, 0x140, v52
	v_and_b32_e32 v24, 0x3c3, v38
	s_mov_b32 s0, exec_lo
	s_waitcnt lgkmcnt(0)
	v_add_nc_u32_e32 v11, 0x160, v11
	s_barrier
	buffer_gl0_inv
	v_add_f32_e32 v1, v36, v1
	v_add_f32_e32 v2, v37, v2
	;; [unrolled: 1-line block ×10, first 2 shown]
	ds_bpermute_b32 v14, v26, v1
	ds_bpermute_b32 v15, v26, v2
	;; [unrolled: 1-line block ×10, first 2 shown]
	v_lshrrev_b32_e32 v10, 2, v0
	s_waitcnt lgkmcnt(9)
	v_add_f32_e32 v0, v1, v14
	s_waitcnt lgkmcnt(8)
	v_add_f32_e32 v1, v2, v15
	;; [unrolled: 2-line block ×10, first 2 shown]
	v_cmpx_eq_u32_e32 64, v24
	s_cbranch_execz .LBB182_703
; %bb.702:
	v_add_nc_u32_e32 v13, v11, v12
	v_add_nc_u32_e32 v14, 0xfffffd80, v13
	v_add_nc_u32_e32 v15, 0xfffffda0, v13
	v_add_nc_u32_e32 v16, 0xfffffdc0, v13
	v_add_nc_u32_e32 v17, 0xfffffde0, v13
	v_add_nc_u32_e32 v18, 0xfffffe00, v13
	ds_write_b32 v14, v0
	ds_write_b32 v15, v1
	;; [unrolled: 1-line block ×5, first 2 shown]
	v_add_nc_u32_e32 v14, 0xfffffe20, v13
	v_add_nc_u32_e32 v15, 0xfffffe40, v13
	v_add_nc_u32_e32 v16, 0xfffffe60, v13
	v_add_nc_u32_e32 v17, 0xfffffe80, v13
	v_add_nc_u32_e32 v13, 0xfffffea0, v13
	ds_write_b32 v14, v5
	ds_write_b32 v15, v6
	;; [unrolled: 1-line block ×5, first 2 shown]
.LBB182_703:
	s_or_b32 exec_lo, exec_lo, s0
	v_lshlrev_b32_e32 v10, 2, v10
	s_mov_b32 s1, exec_lo
	v_cmp_eq_u32_e32 vcc_lo, 0, v27
	s_waitcnt lgkmcnt(0)
	s_barrier
	v_add3_u32 v10, 0x160, v12, v10
	buffer_gl0_inv
	v_cmpx_gt_u32_e32 64, v38
	s_cbranch_execz .LBB182_716
; %bb.704:
	s_and_saveexec_b32 s0, vcc_lo
	s_cbranch_execnz .LBB182_734
; %bb.705:
	s_or_b32 exec_lo, exec_lo, s0
	s_and_saveexec_b32 s0, vcc_lo
	s_cbranch_execnz .LBB182_735
.LBB182_706:
	s_or_b32 exec_lo, exec_lo, s0
	s_and_saveexec_b32 s0, vcc_lo
	s_cbranch_execnz .LBB182_736
.LBB182_707:
	s_or_b32 exec_lo, exec_lo, s0
	s_and_saveexec_b32 s0, vcc_lo
	s_cbranch_execnz .LBB182_737
.LBB182_708:
	s_or_b32 exec_lo, exec_lo, s0
	s_and_saveexec_b32 s0, vcc_lo
	s_cbranch_execnz .LBB182_738
.LBB182_709:
	s_or_b32 exec_lo, exec_lo, s0
	s_and_saveexec_b32 s0, vcc_lo
	s_cbranch_execnz .LBB182_739
.LBB182_710:
	s_or_b32 exec_lo, exec_lo, s0
	s_and_saveexec_b32 s0, vcc_lo
	s_cbranch_execnz .LBB182_740
.LBB182_711:
	s_or_b32 exec_lo, exec_lo, s0
	s_and_saveexec_b32 s0, vcc_lo
	s_cbranch_execnz .LBB182_741
.LBB182_712:
	s_or_b32 exec_lo, exec_lo, s0
	s_and_saveexec_b32 s0, vcc_lo
	s_cbranch_execnz .LBB182_742
.LBB182_713:
	s_or_b32 exec_lo, exec_lo, s0
	s_and_saveexec_b32 s0, vcc_lo
	s_cbranch_execz .LBB182_715
.LBB182_714:
	ds_read_b32 v12, v10 offset:288
	s_waitcnt lgkmcnt(0)
	v_add_f32_e32 v9, v9, v12
.LBB182_715:
	s_or_b32 exec_lo, exec_lo, s0
.LBB182_716:
	s_or_b32 exec_lo, exec_lo, s1
	v_and_b32_e32 v12, 0x3e3, v38
	s_mov_b32 s1, exec_lo
	s_barrier
	buffer_gl0_inv
	v_cmpx_eq_u32_e32 32, v12
	s_cbranch_execz .LBB182_718
; %bb.717:
	ds_write2_b32 v11, v0, v1 offset1:8
	ds_write2_b32 v11, v2, v3 offset0:16 offset1:24
	ds_write2_b32 v11, v4, v5 offset0:32 offset1:40
	;; [unrolled: 1-line block ×4, first 2 shown]
.LBB182_718:
	s_or_b32 exec_lo, exec_lo, s1
	s_mov_b32 s1, exec_lo
	s_waitcnt lgkmcnt(0)
	s_barrier
	buffer_gl0_inv
	v_cmpx_gt_u32_e32 32, v38
	s_cbranch_execz .LBB182_731
; %bb.719:
	s_and_saveexec_b32 s0, vcc_lo
	s_cbranch_execnz .LBB182_743
; %bb.720:
	s_or_b32 exec_lo, exec_lo, s0
	s_and_saveexec_b32 s0, vcc_lo
	s_cbranch_execnz .LBB182_744
.LBB182_721:
	s_or_b32 exec_lo, exec_lo, s0
	s_and_saveexec_b32 s0, vcc_lo
	s_cbranch_execnz .LBB182_745
.LBB182_722:
	s_or_b32 exec_lo, exec_lo, s0
	s_and_saveexec_b32 s0, vcc_lo
	s_cbranch_execnz .LBB182_746
.LBB182_723:
	s_or_b32 exec_lo, exec_lo, s0
	s_and_saveexec_b32 s0, vcc_lo
	s_cbranch_execnz .LBB182_747
.LBB182_724:
	s_or_b32 exec_lo, exec_lo, s0
	s_and_saveexec_b32 s0, vcc_lo
	s_cbranch_execnz .LBB182_748
.LBB182_725:
	s_or_b32 exec_lo, exec_lo, s0
	s_and_saveexec_b32 s0, vcc_lo
	s_cbranch_execnz .LBB182_749
.LBB182_726:
	s_or_b32 exec_lo, exec_lo, s0
	s_and_saveexec_b32 s0, vcc_lo
	s_cbranch_execnz .LBB182_750
.LBB182_727:
	s_or_b32 exec_lo, exec_lo, s0
	s_and_saveexec_b32 s0, vcc_lo
	s_cbranch_execnz .LBB182_751
.LBB182_728:
	s_or_b32 exec_lo, exec_lo, s0
	s_and_saveexec_b32 s0, vcc_lo
	s_cbranch_execz .LBB182_730
.LBB182_729:
	ds_read_b32 v10, v10 offset:288
	s_waitcnt lgkmcnt(0)
	v_add_f32_e32 v9, v9, v10
.LBB182_730:
	s_or_b32 exec_lo, exec_lo, s0
.LBB182_731:
	s_or_b32 exec_lo, exec_lo, s1
	s_barrier
	buffer_gl0_inv
	s_mov_b32 s0, exec_lo
	v_cmpx_eq_u32_e32 0, v12
	s_cbranch_execz .LBB182_733
; %bb.732:
	s_mul_i32 s0, s10, s11
	s_mul_i32 s2, s11, s24
	;; [unrolled: 1-line block ×3, first 2 shown]
	s_mulk_i32 s0, 0x50
	s_ashr_i32 s1, s0, 31
	s_lshl_b64 s[0:1], s[0:1], 2
	s_add_u32 s4, s6, s0
	s_addc_u32 s5, s7, s1
	s_ashr_i32 s3, s2, 31
	s_lshl_b64 s[0:1], s[2:3], 2
	s_mul_i32 s2, s8, 0x50
	s_add_u32 s4, s4, s0
	s_addc_u32 s5, s5, s1
	s_ashr_i32 s3, s2, 31
	s_lshl_b64 s[0:1], s[2:3], 2
	s_add_u32 s0, s4, s0
	s_addc_u32 s1, s5, s1
	global_store_dword v38, v0, s[0:1]
	global_store_dword v38, v1, s[0:1] offset:32
	global_store_dword v38, v2, s[0:1] offset:64
	;; [unrolled: 1-line block ×9, first 2 shown]
.LBB182_733:
	s_endpgm
.LBB182_734:
	ds_read_b32 v12, v10
	s_waitcnt lgkmcnt(0)
	v_add_f32_e32 v0, v0, v12
	s_or_b32 exec_lo, exec_lo, s0
	s_and_saveexec_b32 s0, vcc_lo
	s_cbranch_execz .LBB182_706
.LBB182_735:
	ds_read_b32 v12, v10 offset:32
	s_waitcnt lgkmcnt(0)
	v_add_f32_e32 v1, v1, v12
	s_or_b32 exec_lo, exec_lo, s0
	s_and_saveexec_b32 s0, vcc_lo
	s_cbranch_execz .LBB182_707
.LBB182_736:
	ds_read_b32 v12, v10 offset:64
	s_waitcnt lgkmcnt(0)
	v_add_f32_e32 v2, v2, v12
	s_or_b32 exec_lo, exec_lo, s0
	s_and_saveexec_b32 s0, vcc_lo
	s_cbranch_execz .LBB182_708
.LBB182_737:
	ds_read_b32 v12, v10 offset:96
	s_waitcnt lgkmcnt(0)
	v_add_f32_e32 v3, v3, v12
	s_or_b32 exec_lo, exec_lo, s0
	s_and_saveexec_b32 s0, vcc_lo
	s_cbranch_execz .LBB182_709
.LBB182_738:
	ds_read_b32 v12, v10 offset:128
	s_waitcnt lgkmcnt(0)
	v_add_f32_e32 v4, v4, v12
	s_or_b32 exec_lo, exec_lo, s0
	s_and_saveexec_b32 s0, vcc_lo
	s_cbranch_execz .LBB182_710
.LBB182_739:
	ds_read_b32 v12, v10 offset:160
	s_waitcnt lgkmcnt(0)
	v_add_f32_e32 v5, v5, v12
	s_or_b32 exec_lo, exec_lo, s0
	s_and_saveexec_b32 s0, vcc_lo
	s_cbranch_execz .LBB182_711
.LBB182_740:
	ds_read_b32 v12, v10 offset:192
	s_waitcnt lgkmcnt(0)
	v_add_f32_e32 v6, v6, v12
	s_or_b32 exec_lo, exec_lo, s0
	s_and_saveexec_b32 s0, vcc_lo
	s_cbranch_execz .LBB182_712
.LBB182_741:
	ds_read_b32 v12, v10 offset:224
	s_waitcnt lgkmcnt(0)
	v_add_f32_e32 v7, v7, v12
	s_or_b32 exec_lo, exec_lo, s0
	s_and_saveexec_b32 s0, vcc_lo
	s_cbranch_execz .LBB182_713
.LBB182_742:
	ds_read_b32 v12, v10 offset:256
	s_waitcnt lgkmcnt(0)
	v_add_f32_e32 v8, v8, v12
	s_or_b32 exec_lo, exec_lo, s0
	s_and_saveexec_b32 s0, vcc_lo
	s_cbranch_execnz .LBB182_714
	s_branch .LBB182_715
.LBB182_743:
	ds_read_b32 v11, v10
	s_waitcnt lgkmcnt(0)
	v_add_f32_e32 v0, v0, v11
	s_or_b32 exec_lo, exec_lo, s0
	s_and_saveexec_b32 s0, vcc_lo
	s_cbranch_execz .LBB182_721
.LBB182_744:
	ds_read_b32 v11, v10 offset:32
	s_waitcnt lgkmcnt(0)
	v_add_f32_e32 v1, v1, v11
	s_or_b32 exec_lo, exec_lo, s0
	s_and_saveexec_b32 s0, vcc_lo
	s_cbranch_execz .LBB182_722
.LBB182_745:
	ds_read_b32 v11, v10 offset:64
	s_waitcnt lgkmcnt(0)
	v_add_f32_e32 v2, v2, v11
	s_or_b32 exec_lo, exec_lo, s0
	s_and_saveexec_b32 s0, vcc_lo
	s_cbranch_execz .LBB182_723
.LBB182_746:
	ds_read_b32 v11, v10 offset:96
	s_waitcnt lgkmcnt(0)
	v_add_f32_e32 v3, v3, v11
	s_or_b32 exec_lo, exec_lo, s0
	s_and_saveexec_b32 s0, vcc_lo
	s_cbranch_execz .LBB182_724
.LBB182_747:
	ds_read_b32 v11, v10 offset:128
	s_waitcnt lgkmcnt(0)
	v_add_f32_e32 v4, v4, v11
	s_or_b32 exec_lo, exec_lo, s0
	s_and_saveexec_b32 s0, vcc_lo
	s_cbranch_execz .LBB182_725
.LBB182_748:
	ds_read_b32 v11, v10 offset:160
	s_waitcnt lgkmcnt(0)
	v_add_f32_e32 v5, v5, v11
	s_or_b32 exec_lo, exec_lo, s0
	s_and_saveexec_b32 s0, vcc_lo
	s_cbranch_execz .LBB182_726
.LBB182_749:
	ds_read_b32 v11, v10 offset:192
	s_waitcnt lgkmcnt(0)
	v_add_f32_e32 v6, v6, v11
	s_or_b32 exec_lo, exec_lo, s0
	s_and_saveexec_b32 s0, vcc_lo
	s_cbranch_execz .LBB182_727
.LBB182_750:
	ds_read_b32 v11, v10 offset:224
	s_waitcnt lgkmcnt(0)
	v_add_f32_e32 v7, v7, v11
	s_or_b32 exec_lo, exec_lo, s0
	s_and_saveexec_b32 s0, vcc_lo
	s_cbranch_execz .LBB182_728
.LBB182_751:
	ds_read_b32 v11, v10 offset:256
	s_waitcnt lgkmcnt(0)
	v_add_f32_e32 v8, v8, v11
	s_or_b32 exec_lo, exec_lo, s0
	s_and_saveexec_b32 s0, vcc_lo
	s_cbranch_execnz .LBB182_729
	s_branch .LBB182_730
	.section	.rodata,"a",@progbits
	.p2align	6, 0x0
	.amdhsa_kernel _ZN4vllm25paged_attention_v1_kernelIfhLi80ELi16ELi128ELNS_18Fp8KVCacheDataTypeE1ELb1EEEvPT_PKS2_PKT0_S8_ifPKiSA_iPKfiiiSC_SC_iiiii
		.amdhsa_group_segment_fixed_size 352
		.amdhsa_private_segment_fixed_size 76
		.amdhsa_kernarg_size 384
		.amdhsa_user_sgpr_count 6
		.amdhsa_user_sgpr_private_segment_buffer 1
		.amdhsa_user_sgpr_dispatch_ptr 0
		.amdhsa_user_sgpr_queue_ptr 0
		.amdhsa_user_sgpr_kernarg_segment_ptr 1
		.amdhsa_user_sgpr_dispatch_id 0
		.amdhsa_user_sgpr_flat_scratch_init 0
		.amdhsa_user_sgpr_private_segment_size 0
		.amdhsa_wavefront_size32 1
		.amdhsa_uses_dynamic_stack 0
		.amdhsa_system_sgpr_private_segment_wavefront_offset 1
		.amdhsa_system_sgpr_workgroup_id_x 1
		.amdhsa_system_sgpr_workgroup_id_y 1
		.amdhsa_system_sgpr_workgroup_id_z 1
		.amdhsa_system_sgpr_workgroup_info 0
		.amdhsa_system_vgpr_workitem_id 0
		.amdhsa_next_free_vgpr 128
		.amdhsa_next_free_sgpr 52
		.amdhsa_reserve_vcc 1
		.amdhsa_reserve_flat_scratch 0
		.amdhsa_float_round_mode_32 0
		.amdhsa_float_round_mode_16_64 0
		.amdhsa_float_denorm_mode_32 3
		.amdhsa_float_denorm_mode_16_64 3
		.amdhsa_dx10_clamp 1
		.amdhsa_ieee_mode 1
		.amdhsa_fp16_overflow 0
		.amdhsa_workgroup_processor_mode 1
		.amdhsa_memory_ordered 1
		.amdhsa_forward_progress 1
		.amdhsa_shared_vgpr_count 0
		.amdhsa_exception_fp_ieee_invalid_op 0
		.amdhsa_exception_fp_denorm_src 0
		.amdhsa_exception_fp_ieee_div_zero 0
		.amdhsa_exception_fp_ieee_overflow 0
		.amdhsa_exception_fp_ieee_underflow 0
		.amdhsa_exception_fp_ieee_inexact 0
		.amdhsa_exception_int_div_zero 0
	.end_amdhsa_kernel
	.section	.text._ZN4vllm25paged_attention_v1_kernelIfhLi80ELi16ELi128ELNS_18Fp8KVCacheDataTypeE1ELb1EEEvPT_PKS2_PKT0_S8_ifPKiSA_iPKfiiiSC_SC_iiiii,"axG",@progbits,_ZN4vllm25paged_attention_v1_kernelIfhLi80ELi16ELi128ELNS_18Fp8KVCacheDataTypeE1ELb1EEEvPT_PKS2_PKT0_S8_ifPKiSA_iPKfiiiSC_SC_iiiii,comdat
.Lfunc_end182:
	.size	_ZN4vllm25paged_attention_v1_kernelIfhLi80ELi16ELi128ELNS_18Fp8KVCacheDataTypeE1ELb1EEEvPT_PKS2_PKT0_S8_ifPKiSA_iPKfiiiSC_SC_iiiii, .Lfunc_end182-_ZN4vllm25paged_attention_v1_kernelIfhLi80ELi16ELi128ELNS_18Fp8KVCacheDataTypeE1ELb1EEEvPT_PKS2_PKT0_S8_ifPKiSA_iPKfiiiSC_SC_iiiii
                                        ; -- End function
	.set _ZN4vllm25paged_attention_v1_kernelIfhLi80ELi16ELi128ELNS_18Fp8KVCacheDataTypeE1ELb1EEEvPT_PKS2_PKT0_S8_ifPKiSA_iPKfiiiSC_SC_iiiii.num_vgpr, 128
	.set _ZN4vllm25paged_attention_v1_kernelIfhLi80ELi16ELi128ELNS_18Fp8KVCacheDataTypeE1ELb1EEEvPT_PKS2_PKT0_S8_ifPKiSA_iPKfiiiSC_SC_iiiii.num_agpr, 0
	.set _ZN4vllm25paged_attention_v1_kernelIfhLi80ELi16ELi128ELNS_18Fp8KVCacheDataTypeE1ELb1EEEvPT_PKS2_PKT0_S8_ifPKiSA_iPKfiiiSC_SC_iiiii.numbered_sgpr, 52
	.set _ZN4vllm25paged_attention_v1_kernelIfhLi80ELi16ELi128ELNS_18Fp8KVCacheDataTypeE1ELb1EEEvPT_PKS2_PKT0_S8_ifPKiSA_iPKfiiiSC_SC_iiiii.num_named_barrier, 0
	.set _ZN4vllm25paged_attention_v1_kernelIfhLi80ELi16ELi128ELNS_18Fp8KVCacheDataTypeE1ELb1EEEvPT_PKS2_PKT0_S8_ifPKiSA_iPKfiiiSC_SC_iiiii.private_seg_size, 76
	.set _ZN4vllm25paged_attention_v1_kernelIfhLi80ELi16ELi128ELNS_18Fp8KVCacheDataTypeE1ELb1EEEvPT_PKS2_PKT0_S8_ifPKiSA_iPKfiiiSC_SC_iiiii.uses_vcc, 1
	.set _ZN4vllm25paged_attention_v1_kernelIfhLi80ELi16ELi128ELNS_18Fp8KVCacheDataTypeE1ELb1EEEvPT_PKS2_PKT0_S8_ifPKiSA_iPKfiiiSC_SC_iiiii.uses_flat_scratch, 0
	.set _ZN4vllm25paged_attention_v1_kernelIfhLi80ELi16ELi128ELNS_18Fp8KVCacheDataTypeE1ELb1EEEvPT_PKS2_PKT0_S8_ifPKiSA_iPKfiiiSC_SC_iiiii.has_dyn_sized_stack, 0
	.set _ZN4vllm25paged_attention_v1_kernelIfhLi80ELi16ELi128ELNS_18Fp8KVCacheDataTypeE1ELb1EEEvPT_PKS2_PKT0_S8_ifPKiSA_iPKfiiiSC_SC_iiiii.has_recursion, 0
	.set _ZN4vllm25paged_attention_v1_kernelIfhLi80ELi16ELi128ELNS_18Fp8KVCacheDataTypeE1ELb1EEEvPT_PKS2_PKT0_S8_ifPKiSA_iPKfiiiSC_SC_iiiii.has_indirect_call, 0
	.section	.AMDGPU.csdata,"",@progbits
; Kernel info:
; codeLenInByte = 23104
; TotalNumSgprs: 54
; NumVgprs: 128
; ScratchSize: 76
; MemoryBound: 0
; FloatMode: 240
; IeeeMode: 1
; LDSByteSize: 352 bytes/workgroup (compile time only)
; SGPRBlocks: 0
; VGPRBlocks: 15
; NumSGPRsForWavesPerEU: 54
; NumVGPRsForWavesPerEU: 128
; Occupancy: 8
; WaveLimiterHint : 1
; COMPUTE_PGM_RSRC2:SCRATCH_EN: 1
; COMPUTE_PGM_RSRC2:USER_SGPR: 6
; COMPUTE_PGM_RSRC2:TRAP_HANDLER: 0
; COMPUTE_PGM_RSRC2:TGID_X_EN: 1
; COMPUTE_PGM_RSRC2:TGID_Y_EN: 1
; COMPUTE_PGM_RSRC2:TGID_Z_EN: 1
; COMPUTE_PGM_RSRC2:TIDIG_COMP_CNT: 0
	.section	.text._ZN4vllm25paged_attention_v1_kernelIfhLi96ELi16ELi128ELNS_18Fp8KVCacheDataTypeE1ELb1EEEvPT_PKS2_PKT0_S8_ifPKiSA_iPKfiiiSC_SC_iiiii,"axG",@progbits,_ZN4vllm25paged_attention_v1_kernelIfhLi96ELi16ELi128ELNS_18Fp8KVCacheDataTypeE1ELb1EEEvPT_PKS2_PKT0_S8_ifPKiSA_iPKfiiiSC_SC_iiiii,comdat
	.protected	_ZN4vllm25paged_attention_v1_kernelIfhLi96ELi16ELi128ELNS_18Fp8KVCacheDataTypeE1ELb1EEEvPT_PKS2_PKT0_S8_ifPKiSA_iPKfiiiSC_SC_iiiii ; -- Begin function _ZN4vllm25paged_attention_v1_kernelIfhLi96ELi16ELi128ELNS_18Fp8KVCacheDataTypeE1ELb1EEEvPT_PKS2_PKT0_S8_ifPKiSA_iPKfiiiSC_SC_iiiii
	.globl	_ZN4vllm25paged_attention_v1_kernelIfhLi96ELi16ELi128ELNS_18Fp8KVCacheDataTypeE1ELb1EEEvPT_PKS2_PKT0_S8_ifPKiSA_iPKfiiiSC_SC_iiiii
	.p2align	8
	.type	_ZN4vllm25paged_attention_v1_kernelIfhLi96ELi16ELi128ELNS_18Fp8KVCacheDataTypeE1ELb1EEEvPT_PKS2_PKT0_S8_ifPKiSA_iPKfiiiSC_SC_iiiii,@function
_ZN4vllm25paged_attention_v1_kernelIfhLi96ELi16ELi128ELNS_18Fp8KVCacheDataTypeE1ELb1EEEvPT_PKS2_PKT0_S8_ifPKiSA_iPKfiiiSC_SC_iiiii: ; @_ZN4vllm25paged_attention_v1_kernelIfhLi96ELi16ELi128ELNS_18Fp8KVCacheDataTypeE1ELb1EEEvPT_PKS2_PKT0_S8_ifPKiSA_iPKfiiiSC_SC_iiiii
; %bb.0:
	s_mov_b64 s[50:51], s[2:3]
	s_mov_b64 s[48:49], s[0:1]
	s_mov_b32 s10, s7
	s_add_u32 s48, s48, s9
	s_clause 0x2
	s_load_dword s9, s[4:5], 0x80
	s_load_dwordx2 s[0:1], s[4:5], 0x30
	s_load_dwordx2 s[34:35], s[4:5], 0x20
	s_addc_u32 s49, s49, 0
	s_ashr_i32 s11, s7, 31
	s_mov_b32 s36, 0
	s_lshl_b64 s[2:3], s[10:11], 2
	s_waitcnt lgkmcnt(0)
	s_add_u32 s0, s0, s2
	s_addc_u32 s1, s1, s3
	s_abs_i32 s2, s34
	s_abs_i32 s11, s9
	v_cvt_f32_u32_e32 v1, s2
	s_sub_i32 s7, 0, s2
	v_rcp_iflag_f32_e32 v1, v1
	v_mul_f32_e32 v1, 0x4f7ffffe, v1
	v_cvt_u32_f32_e32 v1, v1
	v_readfirstlane_b32 s3, v1
	s_mul_i32 s7, s7, s3
	s_mul_hi_u32 s7, s3, s7
	s_add_i32 s3, s3, s7
	s_xor_b32 s7, s9, s34
	s_mul_hi_u32 s3, s11, s3
	s_ashr_i32 s7, s7, 31
	s_mul_i32 s12, s3, s2
	s_sub_i32 s11, s11, s12
	s_add_i32 s12, s3, 1
	s_sub_i32 s13, s11, s2
	s_cmp_ge_u32 s11, s2
	s_cselect_b32 s3, s12, s3
	s_cselect_b32 s11, s13, s11
	s_add_i32 s12, s3, 1
	s_cmp_ge_u32 s11, s2
	s_cselect_b32 s2, s12, s3
	s_xor_b32 s2, s2, s7
	s_sub_i32 s14, s2, s7
	s_load_dwordx2 s[2:3], s[4:5], 0x40
	s_abs_i32 s11, s14
	v_cvt_f32_u32_e32 v1, s11
	s_sub_i32 s12, 0, s11
	v_rcp_iflag_f32_e32 v1, v1
	v_mul_f32_e32 v1, 0x4f7ffffe, v1
	v_cvt_u32_f32_e32 v1, v1
	v_readfirstlane_b32 s7, v1
	s_mul_i32 s12, s12, s7
	s_mul_hi_u32 s13, s7, s12
	s_abs_i32 s12, s6
	s_add_i32 s7, s7, s13
	s_waitcnt lgkmcnt(0)
	s_cmp_eq_u64 s[2:3], 0
	s_mul_hi_u32 s13, s12, s7
	s_cbranch_scc1 .LBB183_2
; %bb.1:
	s_ashr_i32 s7, s6, 31
	s_lshl_b64 s[16:17], s[6:7], 2
	s_add_u32 s2, s2, s16
	s_addc_u32 s3, s3, s17
	s_load_dword s36, s[2:3], 0x0
.LBB183_2:
	s_load_dword s33, s[0:1], 0x0
	s_load_dwordx4 s[16:19], s[4:5], 0x48
	v_and_b32_e32 v4, 1, v0
	v_lshlrev_b32_e32 v12, 2, v0
	s_ashr_i32 s0, s6, 31
	s_ashr_i32 s1, s14, 31
	s_mul_i32 s24, s6, 0x60
	s_mov_b32 s2, exec_lo
	v_cmpx_gt_u32_e32 48, v0
	s_cbranch_execz .LBB183_4
; %bb.3:
	s_load_dwordx2 s[14:15], s[4:5], 0x8
	s_waitcnt lgkmcnt(0)
	s_mul_i32 s20, s16, s10
	v_lshlrev_b32_e32 v1, 3, v0
	s_ashr_i32 s21, s20, 31
	v_and_b32_e32 v3, 0xff8, v12
	s_lshl_b64 s[20:21], s[20:21], 2
	v_mad_u32_u24 v3, 0xc0, v4, v3
	s_add_u32 s3, s14, s20
	s_addc_u32 s7, s15, s21
	s_ashr_i32 s25, s24, 31
	s_lshl_b64 s[14:15], s[24:25], 2
	s_add_u32 s14, s3, s14
	s_addc_u32 s15, s7, s15
	global_load_dwordx2 v[1:2], v1, s[14:15]
	s_waitcnt vmcnt(0)
	ds_write_b64 v3, v[1:2]
.LBB183_4:
	s_or_b32 exec_lo, exec_lo, s2
	s_load_dwordx4 s[20:23], s[4:5], 0x68
	s_mul_i32 s2, s13, s11
	s_xor_b32 s1, s0, s1
	s_sub_i32 s0, s12, s2
	s_add_i32 s2, s13, 1
	s_sub_i32 s3, s0, s11
	s_cmp_ge_u32 s0, s11
	s_mov_b32 s12, -1
	s_cselect_b32 s2, s2, s13
	s_cselect_b32 s0, s3, s0
	s_add_i32 s3, s2, 1
	s_cmp_ge_u32 s0, s11
	s_load_dword s0, s[4:5], 0x78
	s_cselect_b32 s2, s3, s2
	s_waitcnt lgkmcnt(0)
	s_add_i32 s7, s33, -1
	s_xor_b32 s2, s2, s1
	s_abs_i32 s3, s7
	s_sub_i32 s1, s2, s1
	s_barrier
	s_abs_i32 s16, s23
	buffer_gl0_inv
	v_cvt_f32_u32_e32 v1, s16
	s_sub_i32 s2, 0, s16
                                        ; implicit-def: $sgpr25
	v_rcp_iflag_f32_e32 v1, v1
	v_mul_f32_e32 v1, 0x4f7ffffe, v1
	v_cvt_u32_f32_e32 v1, v1
	v_readfirstlane_b32 s19, v1
	s_mul_i32 s2, s2, s19
	s_mul_hi_u32 s2, s19, s2
	s_add_i32 s19, s19, s2
	s_cmp_lt_i32 s0, 0
	s_mul_hi_u32 s2, s3, s19
	s_cbranch_scc0 .LBB183_6
; %bb.5:
	s_mul_i32 s11, s20, s34
	s_mov_b32 s12, 0
	s_add_i32 s11, s1, s11
	s_mul_i32 s11, s11, s0
	s_sub_i32 s25, 1, s11
.LBB183_6:
	s_load_dwordx2 s[26:27], s[4:5], 0x28
	s_ashr_i32 s11, s7, 31
	s_andn2_b32 vcc_lo, exec_lo, s12
	s_ashr_i32 s23, s23, 31
	s_cbranch_vccnz .LBB183_8
; %bb.7:
	s_mul_i32 s7, s9, s20
	s_add_i32 s6, s7, s6
	s_mul_i32 s0, s6, s0
	s_add_i32 s25, s0, 1
.LBB183_8:
	s_clause 0x2
	s_load_dword s0, s[4:5], 0x38
	s_load_dwordx2 s[6:7], s[4:5], 0x0
	s_load_dwordx2 s[30:31], s[4:5], 0x18
	s_xor_b32 s34, s11, s23
	s_mul_i32 s11, s2, s16
	s_add_i32 s20, s2, 1
	s_sub_i32 s3, s3, s11
	s_clause 0x1
	s_load_dword s11, s[4:5], 0x88
	s_load_dwordx4 s[12:15], s[4:5], 0x58
	v_lshrrev_b32_e32 v1, 5, v0
	v_mov_b32_e32 v3, 0xff7fffff
	v_lshrrev_b32_e32 v13, 3, v0
	s_mul_i32 s18, s1, s18
	buffer_store_dword v0, off, s[48:51], 0 offset:152 ; 4-byte Folded Spill
	v_lshlrev_b32_e32 v127, 4, v1
	buffer_store_dword v1, off, s[48:51], 0 offset:164 ; 4-byte Folded Spill
	s_waitcnt lgkmcnt(0)
	s_mul_i32 s28, s0, s10
	s_sub_i32 s0, s3, s16
	s_ashr_i32 s29, s28, 31
	s_cmp_ge_u32 s3, s16
	s_cselect_b32 s2, s20, s2
	s_cselect_b32 s0, s0, s3
	s_add_i32 s3, s2, 1
	s_cmp_ge_u32 s0, s16
	s_cselect_b32 s0, s3, s2
	s_add_i32 s2, s33, 15
	s_ashr_i32 s3, s2, 31
	s_lshr_b32 s3, s3, 28
	s_add_i32 s2, s2, s3
	s_ashr_i32 s20, s2, 4
	s_xor_b32 s2, s0, s34
	v_cmp_gt_i32_e64 s0, s20, v1
	s_sub_i32 s34, s2, s34
	s_and_saveexec_b32 s37, s0
	s_cbranch_execz .LBB183_404
; %bb.9:
	s_clause 0x1
	buffer_load_dword v0, off, s[48:51], 0 offset:152
	buffer_load_dword v70, off, s[48:51], 0 offset:164
	s_load_dwordx2 s[2:3], s[4:5], 0x10
	s_sub_i32 s4, s34, s21
	s_ashr_i32 s1, s18, 31
	v_cmp_eq_u32_e32 vcc_lo, 0, v4
	v_lshlrev_b32_e32 v2, 1, v4
	v_mul_u32_u24_e32 v19, 0xc0, v4
	v_and_b32_e32 v3, 0x7c, v13
	v_mov_b32_e32 v50, 0
	v_mov_b32_e32 v20, 0x80
	v_bfrev_b32_e32 v14, 1
	v_mov_b32_e32 v66, 0x7f800001
	v_mov_b32_e32 v7, 0xff7fffff
	buffer_store_dword v12, off, s[48:51], 0 offset:168 ; 4-byte Folded Spill
	buffer_store_dword v13, off, s[48:51], 0 offset:172 ; 4-byte Folded Spill
	;; [unrolled: 1-line block ×3, first 2 shown]
	s_waitcnt lgkmcnt(0)
	s_add_u32 s38, s2, s18
	s_addc_u32 s39, s3, s1
	s_abs_i32 s5, s22
	v_cmp_neq_f32_e64 s1, s36, 0
	v_cvt_f32_u32_e32 v1, s5
	s_sub_i32 s2, 0, s5
	v_rcp_iflag_f32_e32 v1, v1
	v_mul_f32_e32 v1, 0x4f7ffffe, v1
	v_cvt_u32_f32_e32 v1, v1
	s_waitcnt vmcnt(1)
	v_bfe_u32 v6, v0, 1, 4
	s_waitcnt vmcnt(0)
	v_lshlrev_b32_e32 v0, 4, v70
	v_lshlrev_b32_e32 v4, 2, v6
	v_subrev_nc_u32_e32 v5, s33, v6
	buffer_store_dword v6, off, s[48:51], 0 offset:156 ; 4-byte Folded Spill
	v_lshlrev_b32_e32 v6, 4, v6
	v_lshl_or_b32 v4, v70, 6, v4
	v_add_nc_u32_e32 v5, 1, v5
	v_add_nc_u32_e32 v69, 0x1a0, v4
	v_mul_lo_u32 v4, s2, v1
	s_lshl_b64 s[2:3], s[28:29], 2
	buffer_store_dword v5, off, s[48:51], 0 offset:160 ; 4-byte Folded Spill
	v_add_co_u32 v5, s38, s38, v6
	s_add_u32 s2, s26, s2
	v_add_co_ci_u32_e64 v6, null, s39, 0, s38
	v_mul_hi_u32 v4, v1, v4
	s_addc_u32 s3, s27, s3
	v_add_co_u32 v55, s2, s2, v3
	v_add_co_ci_u32_e64 v56, null, s3, 0, s2
	v_add_co_u32 v2, s2, v5, v2
	v_add_co_ci_u32_e64 v3, null, 0, v6, s2
	v_add_nc_u32_e32 v1, v1, v4
	s_mov_b32 s38, 0
	s_mov_b32 s39, s17
	buffer_store_dword v2, off, s[48:51], 0 offset:144 ; 4-byte Folded Spill
	buffer_store_dword v3, off, s[48:51], 0 offset:148 ; 4-byte Folded Spill
	;; [unrolled: 1-line block ×3, first 2 shown]
	s_branch .LBB183_12
.LBB183_10:                             ;   in Loop: Header=BB183_12 Depth=1
	s_or_b32 exec_lo, exec_lo, s40
.LBB183_11:                             ;   in Loop: Header=BB183_12 Depth=1
	s_or_b32 exec_lo, exec_lo, s3
	v_add_nc_u32_e32 v70, 4, v70
	v_add_co_u32 v55, s3, v55, 16
	v_add_co_ci_u32_e64 v56, null, 0, v56, s3
	v_cmp_le_i32_e64 s2, s20, v70
	v_add_nc_u32_e32 v0, 64, v0
	v_add_nc_u32_e32 v69, 0x100, v69
	s_or_b32 s38, s2, s38
	s_andn2_b32 exec_lo, exec_lo, s38
	s_cbranch_execz .LBB183_403
.LBB183_12:                             ; =>This Inner Loop Header: Depth=1
	v_mul_hi_u32 v1, v0, s19
	s_waitcnt lgkmcnt(0)
	v_mul_lo_u32 v2, v1, s16
	v_add_nc_u32_e32 v3, 1, v1
	v_sub_nc_u32_e32 v2, v0, v2
	v_subrev_nc_u32_e32 v4, s16, v2
	v_cmp_le_u32_e64 s2, s16, v2
	v_cndmask_b32_e64 v2, v2, v4, s2
	buffer_load_dword v4, off, s[48:51], 0 offset:24 ; 4-byte Folded Reload
	v_cndmask_b32_e64 v1, v1, v3, s2
	v_cmp_le_u32_e64 s2, s16, v2
	v_add_nc_u32_e32 v3, 1, v1
	v_cndmask_b32_e64 v1, v1, v3, s2
	v_xor_b32_e32 v1, s23, v1
	v_subrev_nc_u32_e32 v1, s23, v1
	v_add_nc_u32_e32 v2, s25, v1
	v_cmp_ge_i32_e64 s3, s4, v1
	v_sub_nc_u32_e32 v3, 0, v2
	v_max_i32_e32 v3, v2, v3
	v_ashrrev_i32_e32 v2, 31, v2
	s_waitcnt vmcnt(0)
	v_mul_hi_u32 v4, v3, v4
	v_mul_lo_u32 v4, v4, s5
	v_sub_nc_u32_e32 v3, v3, v4
	v_subrev_nc_u32_e32 v4, s5, v3
	v_cmp_le_u32_e64 s2, s5, v3
	v_cndmask_b32_e64 v3, v3, v4, s2
	v_subrev_nc_u32_e32 v4, s5, v3
	v_cmp_le_u32_e64 s2, s5, v3
	v_cndmask_b32_e64 v3, v3, v4, s2
	v_xor_b32_e32 v3, v3, v2
	v_sub_nc_u32_e32 v2, v3, v2
	v_cmp_ne_u32_e64 s2, 0, v2
	s_and_b32 s2, s2, s3
	s_and_saveexec_b32 s3, s2
	s_xor_b32 s2, exec_lo, s3
	s_cbranch_execz .LBB183_16
; %bb.13:                               ;   in Loop: Header=BB183_12 Depth=1
	s_and_saveexec_b32 s3, vcc_lo
; %bb.14:                               ;   in Loop: Header=BB183_12 Depth=1
	v_mov_b32_e32 v1, 0xff7fffff
	ds_write_b32 v69, v1
; %bb.15:                               ;   in Loop: Header=BB183_12 Depth=1
	s_or_b32 exec_lo, exec_lo, s3
.LBB183_16:                             ;   in Loop: Header=BB183_12 Depth=1
	s_andn2_saveexec_b32 s3, s2
	s_cbranch_execz .LBB183_11
; %bb.17:                               ;   in Loop: Header=BB183_12 Depth=1
	global_load_dword v1, v[55:56], off
	s_clause 0x1
	buffer_load_dword v2, off, s[48:51], 0 offset:144
	buffer_load_dword v3, off, s[48:51], 0 offset:148
	v_mov_b32_e32 v24, 0
	v_mov_b32_e32 v26, 0
	;; [unrolled: 1-line block ×4, first 2 shown]
	s_waitcnt vmcnt(0)
	v_mad_i64_i32 v[67:68], null, v1, s39, v[2:3]
	global_load_ushort v1, v[67:68], off
	ds_read_b128 v[45:48], v19
	ds_read_b128 v[41:44], v19 offset:16
	ds_read_b128 v[37:40], v19 offset:32
	;; [unrolled: 1-line block ×5, first 2 shown]
	s_waitcnt lgkmcnt(0)
	buffer_store_dword v2, off, s[48:51], 0 offset:124 ; 4-byte Folded Spill
	buffer_store_dword v3, off, s[48:51], 0 offset:128 ; 4-byte Folded Spill
	buffer_store_dword v4, off, s[48:51], 0 offset:132 ; 4-byte Folded Spill
	buffer_store_dword v5, off, s[48:51], 0 offset:136 ; 4-byte Folded Spill
	ds_read_b128 v[2:5], v19 offset:96
	s_waitcnt lgkmcnt(0)
	buffer_store_dword v2, off, s[48:51], 0 offset:108 ; 4-byte Folded Spill
	buffer_store_dword v3, off, s[48:51], 0 offset:112 ; 4-byte Folded Spill
	buffer_store_dword v4, off, s[48:51], 0 offset:116 ; 4-byte Folded Spill
	buffer_store_dword v5, off, s[48:51], 0 offset:120 ; 4-byte Folded Spill
	ds_read_b128 v[2:5], v19 offset:112
	;; [unrolled: 6-line block ×6, first 2 shown]
	s_waitcnt lgkmcnt(0)
	buffer_store_dword v2, off, s[48:51], 0 offset:28 ; 4-byte Folded Spill
	buffer_store_dword v3, off, s[48:51], 0 offset:32 ; 4-byte Folded Spill
	;; [unrolled: 1-line block ×4, first 2 shown]
	s_load_dword s40, s[12:13], 0x0
	s_waitcnt vmcnt(0)
	v_cmp_ne_u16_sdwa s2, v1, v50 src0_sel:BYTE_0 src1_sel:DWORD
	v_and_b32_e32 v1, 0xffff, v1
	s_and_saveexec_b32 s41, s2
	s_cbranch_execz .LBB183_25
; %bb.18:                               ;   in Loop: Header=BB183_12 Depth=1
	v_bfrev_b32_e32 v26, 1
	v_mov_b32_e32 v27, 0
	v_cmp_ne_u16_sdwa s2, v1, v20 src0_sel:BYTE_0 src1_sel:DWORD
	s_and_saveexec_b32 s42, s2
	s_cbranch_execz .LBB183_24
; %bb.19:                               ;   in Loop: Header=BB183_12 Depth=1
	v_mov_b32_e32 v26, 0x7f800001
	v_and_b32_e32 v3, 0x7f, v1
	v_mov_b32_e32 v27, 0
	s_mov_b32 s43, exec_lo
	v_cmpx_ne_u32_e32 0x7f, v3
	s_cbranch_execz .LBB183_23
; %bb.20:                               ;   in Loop: Header=BB183_12 Depth=1
	v_and_b32_e32 v49, 7, v1
	v_lshrrev_b32_e32 v2, 3, v3
	s_mov_b32 s44, exec_lo
	v_cmpx_gt_u32_e32 8, v3
; %bb.21:                               ;   in Loop: Header=BB183_12 Depth=1
	v_ffbh_u32_e32 v2, v49
	v_min_u32_e32 v2, 32, v2
	v_subrev_nc_u32_e32 v3, 28, v2
	v_sub_nc_u32_e32 v2, 29, v2
	v_lshlrev_b64 v[3:4], v3, v[49:50]
	v_and_b32_e32 v49, 7, v3
; %bb.22:                               ;   in Loop: Header=BB183_12 Depth=1
	s_or_b32 exec_lo, exec_lo, s44
	v_lshlrev_b32_e32 v3, 24, v1
	v_lshlrev_b32_e32 v4, 20, v49
	v_lshl_add_u32 v2, v2, 23, 0x3c000000
	v_and_b32_e32 v3, 0x80000000, v3
	v_or3_b32 v49, v4, v3, v2
	v_mov_b32_e32 v26, v49
	v_mov_b32_e32 v27, v50
.LBB183_23:                             ;   in Loop: Header=BB183_12 Depth=1
	s_or_b32 exec_lo, exec_lo, s43
.LBB183_24:                             ;   in Loop: Header=BB183_12 Depth=1
	s_or_b32 exec_lo, exec_lo, s42
.LBB183_25:                             ;   in Loop: Header=BB183_12 Depth=1
	s_or_b32 exec_lo, exec_lo, s41
	v_cmp_ne_u16_sdwa s2, v1, v50 src0_sel:BYTE_1 src1_sel:DWORD
	s_and_saveexec_b32 s41, s2
	s_cbranch_execz .LBB183_33
; %bb.26:                               ;   in Loop: Header=BB183_12 Depth=1
	v_mov_b32_e32 v13, v50
	v_mov_b32_e32 v25, v14
	v_cmp_ne_u16_sdwa s2, v1, v20 src0_sel:BYTE_1 src1_sel:DWORD
	v_mov_b32_e32 v24, v13
	s_and_saveexec_b32 s42, s2
	s_cbranch_execz .LBB183_32
; %bb.27:                               ;   in Loop: Header=BB183_12 Depth=1
	v_mov_b32_e32 v2, 0xffff
	v_mov_b32_e32 v65, v50
	s_mov_b32 s43, exec_lo
	v_and_b32_sdwa v2, v2, v1 dst_sel:DWORD dst_unused:UNUSED_PAD src0_sel:DWORD src1_sel:BYTE_1
	v_mov_b32_e32 v24, v65
	v_mov_b32_e32 v25, v66
	v_and_b32_e32 v3, 0x7f, v2
	v_cmpx_ne_u32_e32 0x7f, v3
	s_cbranch_execz .LBB183_31
; %bb.28:                               ;   in Loop: Header=BB183_12 Depth=1
	v_and_b32_e32 v49, 7, v2
	v_lshrrev_b32_e32 v2, 3, v3
	s_mov_b32 s44, exec_lo
	v_cmpx_gt_u32_e32 8, v3
; %bb.29:                               ;   in Loop: Header=BB183_12 Depth=1
	v_ffbh_u32_e32 v2, v49
	v_min_u32_e32 v2, 32, v2
	v_subrev_nc_u32_e32 v3, 28, v2
	v_sub_nc_u32_e32 v2, 29, v2
	v_lshlrev_b64 v[3:4], v3, v[49:50]
	v_and_b32_e32 v49, 7, v3
; %bb.30:                               ;   in Loop: Header=BB183_12 Depth=1
	s_or_b32 exec_lo, exec_lo, s44
	v_lshlrev_b32_e32 v1, 16, v1
	v_lshlrev_b32_e32 v3, 20, v49
	v_lshl_add_u32 v2, v2, 23, 0x3c000000
	v_mov_b32_e32 v24, v50
	v_and_b32_e32 v1, 0x80000000, v1
	v_or3_b32 v25, v3, v1, v2
.LBB183_31:                             ;   in Loop: Header=BB183_12 Depth=1
	s_or_b32 exec_lo, exec_lo, s43
.LBB183_32:                             ;   in Loop: Header=BB183_12 Depth=1
	s_or_b32 exec_lo, exec_lo, s42
.LBB183_33:                             ;   in Loop: Header=BB183_12 Depth=1
	s_or_b32 exec_lo, exec_lo, s41
	global_load_ushort v2, v[67:68], off offset:4
	v_mov_b32_e32 v3, 0
	v_mov_b32_e32 v4, 0
	buffer_store_dword v3, off, s[48:51], 0 offset:8 ; 4-byte Folded Spill
	buffer_store_dword v4, off, s[48:51], 0 offset:12 ; 4-byte Folded Spill
	v_mov_b32_e32 v3, 0
	v_mov_b32_e32 v4, 0
	buffer_store_dword v3, off, s[48:51], 0 ; 4-byte Folded Spill
	buffer_store_dword v4, off, s[48:51], 0 offset:4 ; 4-byte Folded Spill
	s_waitcnt vmcnt(0)
	v_and_b32_e32 v1, 0xffff, v2
	v_cmp_ne_u16_sdwa s2, v2, v50 src0_sel:BYTE_0 src1_sel:DWORD
	s_and_saveexec_b32 s41, s2
	s_cbranch_execz .LBB183_41
; %bb.34:                               ;   in Loop: Header=BB183_12 Depth=1
	v_bfrev_b32_e32 v2, 1
	v_mov_b32_e32 v3, 0
	v_cmp_ne_u16_sdwa s2, v1, v20 src0_sel:BYTE_0 src1_sel:DWORD
	buffer_store_dword v2, off, s[48:51], 0 ; 4-byte Folded Spill
	buffer_store_dword v3, off, s[48:51], 0 offset:4 ; 4-byte Folded Spill
	s_and_saveexec_b32 s42, s2
	s_cbranch_execz .LBB183_40
; %bb.35:                               ;   in Loop: Header=BB183_12 Depth=1
	v_mov_b32_e32 v4, 0x7f800001
	v_and_b32_e32 v3, 0x7f, v1
	v_mov_b32_e32 v5, 0
	s_mov_b32 s43, exec_lo
	buffer_store_dword v4, off, s[48:51], 0 ; 4-byte Folded Spill
	buffer_store_dword v5, off, s[48:51], 0 offset:4 ; 4-byte Folded Spill
	v_cmpx_ne_u32_e32 0x7f, v3
	s_cbranch_execz .LBB183_39
; %bb.36:                               ;   in Loop: Header=BB183_12 Depth=1
	v_and_b32_e32 v49, 7, v1
	v_lshrrev_b32_e32 v2, 3, v3
	s_mov_b32 s44, exec_lo
	v_cmpx_gt_u32_e32 8, v3
; %bb.37:                               ;   in Loop: Header=BB183_12 Depth=1
	v_ffbh_u32_e32 v2, v49
	v_min_u32_e32 v2, 32, v2
	v_subrev_nc_u32_e32 v3, 28, v2
	v_sub_nc_u32_e32 v2, 29, v2
	v_lshlrev_b64 v[3:4], v3, v[49:50]
	v_and_b32_e32 v49, 7, v3
; %bb.38:                               ;   in Loop: Header=BB183_12 Depth=1
	s_or_b32 exec_lo, exec_lo, s44
	v_lshlrev_b32_e32 v3, 24, v1
	v_lshlrev_b32_e32 v4, 20, v49
	v_lshl_add_u32 v2, v2, 23, 0x3c000000
	v_and_b32_e32 v3, 0x80000000, v3
	v_or3_b32 v49, v4, v3, v2
	buffer_store_dword v49, off, s[48:51], 0 ; 4-byte Folded Spill
	buffer_store_dword v50, off, s[48:51], 0 offset:4 ; 4-byte Folded Spill
.LBB183_39:                             ;   in Loop: Header=BB183_12 Depth=1
	s_or_b32 exec_lo, exec_lo, s43
.LBB183_40:                             ;   in Loop: Header=BB183_12 Depth=1
	s_or_b32 exec_lo, exec_lo, s42
.LBB183_41:                             ;   in Loop: Header=BB183_12 Depth=1
	s_or_b32 exec_lo, exec_lo, s41
	v_cmp_ne_u16_sdwa s2, v1, v50 src0_sel:BYTE_1 src1_sel:DWORD
	s_and_saveexec_b32 s41, s2
	s_cbranch_execz .LBB183_49
; %bb.42:                               ;   in Loop: Header=BB183_12 Depth=1
	v_mov_b32_e32 v13, v50
	v_cmp_ne_u16_sdwa s2, v1, v20 src0_sel:BYTE_1 src1_sel:DWORD
	buffer_store_dword v13, off, s[48:51], 0 offset:8 ; 4-byte Folded Spill
	buffer_store_dword v14, off, s[48:51], 0 offset:12 ; 4-byte Folded Spill
	s_and_saveexec_b32 s42, s2
	s_cbranch_execz .LBB183_48
; %bb.43:                               ;   in Loop: Header=BB183_12 Depth=1
	v_mov_b32_e32 v2, 0xffff
	v_mov_b32_e32 v65, v50
	s_mov_b32 s43, exec_lo
	buffer_store_dword v65, off, s[48:51], 0 offset:8 ; 4-byte Folded Spill
	buffer_store_dword v66, off, s[48:51], 0 offset:12 ; 4-byte Folded Spill
	v_and_b32_sdwa v2, v2, v1 dst_sel:DWORD dst_unused:UNUSED_PAD src0_sel:DWORD src1_sel:BYTE_1
	v_and_b32_e32 v3, 0x7f, v2
	v_cmpx_ne_u32_e32 0x7f, v3
	s_cbranch_execz .LBB183_47
; %bb.44:                               ;   in Loop: Header=BB183_12 Depth=1
	v_and_b32_e32 v49, 7, v2
	v_lshrrev_b32_e32 v2, 3, v3
	s_mov_b32 s44, exec_lo
	v_cmpx_gt_u32_e32 8, v3
; %bb.45:                               ;   in Loop: Header=BB183_12 Depth=1
	v_ffbh_u32_e32 v2, v49
	v_min_u32_e32 v2, 32, v2
	v_subrev_nc_u32_e32 v3, 28, v2
	v_sub_nc_u32_e32 v2, 29, v2
	v_lshlrev_b64 v[3:4], v3, v[49:50]
	v_and_b32_e32 v49, 7, v3
; %bb.46:                               ;   in Loop: Header=BB183_12 Depth=1
	s_or_b32 exec_lo, exec_lo, s44
	v_lshlrev_b32_e32 v1, 16, v1
	v_lshlrev_b32_e32 v3, 20, v49
	v_lshl_add_u32 v2, v2, 23, 0x3c000000
	v_and_b32_e32 v1, 0x80000000, v1
	v_or3_b32 v2, v3, v1, v2
	v_mov_b32_e32 v1, v50
	buffer_store_dword v1, off, s[48:51], 0 offset:8 ; 4-byte Folded Spill
	buffer_store_dword v2, off, s[48:51], 0 offset:12 ; 4-byte Folded Spill
.LBB183_47:                             ;   in Loop: Header=BB183_12 Depth=1
	s_or_b32 exec_lo, exec_lo, s43
.LBB183_48:                             ;   in Loop: Header=BB183_12 Depth=1
	s_or_b32 exec_lo, exec_lo, s42
.LBB183_49:                             ;   in Loop: Header=BB183_12 Depth=1
	s_or_b32 exec_lo, exec_lo, s41
	global_load_ushort v2, v[67:68], off offset:8
	v_mov_b32_e32 v17, 0
	v_mov_b32_e32 v3, 0
	;; [unrolled: 1-line block ×4, first 2 shown]
	buffer_store_dword v3, off, s[48:51], 0 offset:16 ; 4-byte Folded Spill
	buffer_store_dword v4, off, s[48:51], 0 offset:20 ; 4-byte Folded Spill
	s_waitcnt vmcnt(0)
	v_and_b32_e32 v1, 0xffff, v2
	v_cmp_ne_u16_sdwa s2, v2, v50 src0_sel:BYTE_0 src1_sel:DWORD
	s_and_saveexec_b32 s41, s2
	s_cbranch_execz .LBB183_57
; %bb.50:                               ;   in Loop: Header=BB183_12 Depth=1
	v_bfrev_b32_e32 v2, 1
	v_mov_b32_e32 v3, 0
	v_cmp_ne_u16_sdwa s2, v1, v20 src0_sel:BYTE_0 src1_sel:DWORD
	buffer_store_dword v2, off, s[48:51], 0 offset:16 ; 4-byte Folded Spill
	buffer_store_dword v3, off, s[48:51], 0 offset:20 ; 4-byte Folded Spill
	s_and_saveexec_b32 s42, s2
	s_cbranch_execz .LBB183_56
; %bb.51:                               ;   in Loop: Header=BB183_12 Depth=1
	v_mov_b32_e32 v4, 0x7f800001
	v_and_b32_e32 v3, 0x7f, v1
	v_mov_b32_e32 v5, 0
	s_mov_b32 s43, exec_lo
	buffer_store_dword v4, off, s[48:51], 0 offset:16 ; 4-byte Folded Spill
	buffer_store_dword v5, off, s[48:51], 0 offset:20 ; 4-byte Folded Spill
	v_cmpx_ne_u32_e32 0x7f, v3
	s_cbranch_execz .LBB183_55
; %bb.52:                               ;   in Loop: Header=BB183_12 Depth=1
	v_and_b32_e32 v49, 7, v1
	v_lshrrev_b32_e32 v2, 3, v3
	s_mov_b32 s44, exec_lo
	v_cmpx_gt_u32_e32 8, v3
; %bb.53:                               ;   in Loop: Header=BB183_12 Depth=1
	v_ffbh_u32_e32 v2, v49
	v_min_u32_e32 v2, 32, v2
	v_subrev_nc_u32_e32 v3, 28, v2
	v_sub_nc_u32_e32 v2, 29, v2
	v_lshlrev_b64 v[3:4], v3, v[49:50]
	v_and_b32_e32 v49, 7, v3
; %bb.54:                               ;   in Loop: Header=BB183_12 Depth=1
	s_or_b32 exec_lo, exec_lo, s44
	v_lshlrev_b32_e32 v3, 24, v1
	v_lshlrev_b32_e32 v4, 20, v49
	v_lshl_add_u32 v2, v2, 23, 0x3c000000
	v_and_b32_e32 v3, 0x80000000, v3
	v_or3_b32 v49, v4, v3, v2
	buffer_store_dword v49, off, s[48:51], 0 offset:16 ; 4-byte Folded Spill
	buffer_store_dword v50, off, s[48:51], 0 offset:20 ; 4-byte Folded Spill
.LBB183_55:                             ;   in Loop: Header=BB183_12 Depth=1
	s_or_b32 exec_lo, exec_lo, s43
.LBB183_56:                             ;   in Loop: Header=BB183_12 Depth=1
	s_or_b32 exec_lo, exec_lo, s42
.LBB183_57:                             ;   in Loop: Header=BB183_12 Depth=1
	s_or_b32 exec_lo, exec_lo, s41
	v_cmp_ne_u16_sdwa s2, v1, v50 src0_sel:BYTE_1 src1_sel:DWORD
	s_and_saveexec_b32 s41, s2
	s_cbranch_execz .LBB183_65
; %bb.58:                               ;   in Loop: Header=BB183_12 Depth=1
	v_mov_b32_e32 v13, v50
	v_mov_b32_e32 v18, v14
	v_cmp_ne_u16_sdwa s2, v1, v20 src0_sel:BYTE_1 src1_sel:DWORD
	v_mov_b32_e32 v17, v13
	s_and_saveexec_b32 s42, s2
	s_cbranch_execz .LBB183_64
; %bb.59:                               ;   in Loop: Header=BB183_12 Depth=1
	v_mov_b32_e32 v2, 0xffff
	v_mov_b32_e32 v65, v50
	s_mov_b32 s43, exec_lo
	v_and_b32_sdwa v2, v2, v1 dst_sel:DWORD dst_unused:UNUSED_PAD src0_sel:DWORD src1_sel:BYTE_1
	v_mov_b32_e32 v17, v65
	v_mov_b32_e32 v18, v66
	v_and_b32_e32 v3, 0x7f, v2
	v_cmpx_ne_u32_e32 0x7f, v3
	s_cbranch_execz .LBB183_63
; %bb.60:                               ;   in Loop: Header=BB183_12 Depth=1
	v_and_b32_e32 v49, 7, v2
	v_lshrrev_b32_e32 v2, 3, v3
	s_mov_b32 s44, exec_lo
	v_cmpx_gt_u32_e32 8, v3
; %bb.61:                               ;   in Loop: Header=BB183_12 Depth=1
	v_ffbh_u32_e32 v2, v49
	v_min_u32_e32 v2, 32, v2
	v_subrev_nc_u32_e32 v3, 28, v2
	v_sub_nc_u32_e32 v2, 29, v2
	v_lshlrev_b64 v[3:4], v3, v[49:50]
	v_and_b32_e32 v49, 7, v3
; %bb.62:                               ;   in Loop: Header=BB183_12 Depth=1
	s_or_b32 exec_lo, exec_lo, s44
	v_lshlrev_b32_e32 v1, 16, v1
	v_lshlrev_b32_e32 v3, 20, v49
	v_lshl_add_u32 v2, v2, 23, 0x3c000000
	v_mov_b32_e32 v17, v50
	v_and_b32_e32 v1, 0x80000000, v1
	v_or3_b32 v18, v3, v1, v2
.LBB183_63:                             ;   in Loop: Header=BB183_12 Depth=1
	s_or_b32 exec_lo, exec_lo, s43
.LBB183_64:                             ;   in Loop: Header=BB183_12 Depth=1
	s_or_b32 exec_lo, exec_lo, s42
.LBB183_65:                             ;   in Loop: Header=BB183_12 Depth=1
	s_or_b32 exec_lo, exec_lo, s41
	global_load_ushort v2, v[67:68], off offset:12
	v_mov_b32_e32 v75, 0
	v_mov_b32_e32 v73, 0
	;; [unrolled: 1-line block ×4, first 2 shown]
	s_waitcnt vmcnt(0)
	v_and_b32_e32 v1, 0xffff, v2
	v_cmp_ne_u16_sdwa s2, v2, v50 src0_sel:BYTE_0 src1_sel:DWORD
	s_and_saveexec_b32 s41, s2
	s_cbranch_execz .LBB183_73
; %bb.66:                               ;   in Loop: Header=BB183_12 Depth=1
	v_bfrev_b32_e32 v73, 1
	v_mov_b32_e32 v74, 0
	v_cmp_ne_u16_sdwa s2, v1, v20 src0_sel:BYTE_0 src1_sel:DWORD
	s_and_saveexec_b32 s42, s2
	s_cbranch_execz .LBB183_72
; %bb.67:                               ;   in Loop: Header=BB183_12 Depth=1
	v_mov_b32_e32 v73, 0x7f800001
	v_and_b32_e32 v3, 0x7f, v1
	v_mov_b32_e32 v74, 0
	s_mov_b32 s43, exec_lo
	v_cmpx_ne_u32_e32 0x7f, v3
	s_cbranch_execz .LBB183_71
; %bb.68:                               ;   in Loop: Header=BB183_12 Depth=1
	v_and_b32_e32 v49, 7, v1
	v_lshrrev_b32_e32 v2, 3, v3
	s_mov_b32 s44, exec_lo
	v_cmpx_gt_u32_e32 8, v3
; %bb.69:                               ;   in Loop: Header=BB183_12 Depth=1
	v_ffbh_u32_e32 v2, v49
	v_min_u32_e32 v2, 32, v2
	v_subrev_nc_u32_e32 v3, 28, v2
	v_sub_nc_u32_e32 v2, 29, v2
	v_lshlrev_b64 v[3:4], v3, v[49:50]
	v_and_b32_e32 v49, 7, v3
; %bb.70:                               ;   in Loop: Header=BB183_12 Depth=1
	s_or_b32 exec_lo, exec_lo, s44
	v_lshlrev_b32_e32 v3, 24, v1
	v_lshlrev_b32_e32 v4, 20, v49
	v_lshl_add_u32 v2, v2, 23, 0x3c000000
	v_and_b32_e32 v3, 0x80000000, v3
	v_or3_b32 v49, v4, v3, v2
	v_mov_b32_e32 v74, v50
	v_mov_b32_e32 v73, v49
.LBB183_71:                             ;   in Loop: Header=BB183_12 Depth=1
	s_or_b32 exec_lo, exec_lo, s43
.LBB183_72:                             ;   in Loop: Header=BB183_12 Depth=1
	s_or_b32 exec_lo, exec_lo, s42
.LBB183_73:                             ;   in Loop: Header=BB183_12 Depth=1
	s_or_b32 exec_lo, exec_lo, s41
	v_cmp_ne_u16_sdwa s2, v1, v50 src0_sel:BYTE_1 src1_sel:DWORD
	s_and_saveexec_b32 s41, s2
	s_cbranch_execz .LBB183_81
; %bb.74:                               ;   in Loop: Header=BB183_12 Depth=1
	v_mov_b32_e32 v13, v50
	v_mov_b32_e32 v76, v14
	v_cmp_ne_u16_sdwa s2, v1, v20 src0_sel:BYTE_1 src1_sel:DWORD
	v_mov_b32_e32 v75, v13
	s_and_saveexec_b32 s42, s2
	s_cbranch_execz .LBB183_80
; %bb.75:                               ;   in Loop: Header=BB183_12 Depth=1
	v_mov_b32_e32 v2, 0xffff
	v_mov_b32_e32 v65, v50
	;; [unrolled: 1-line block ×3, first 2 shown]
	s_mov_b32 s43, exec_lo
	v_and_b32_sdwa v2, v2, v1 dst_sel:DWORD dst_unused:UNUSED_PAD src0_sel:DWORD src1_sel:BYTE_1
	v_mov_b32_e32 v75, v65
	v_and_b32_e32 v3, 0x7f, v2
	v_cmpx_ne_u32_e32 0x7f, v3
	s_cbranch_execz .LBB183_79
; %bb.76:                               ;   in Loop: Header=BB183_12 Depth=1
	v_and_b32_e32 v49, 7, v2
	v_lshrrev_b32_e32 v2, 3, v3
	s_mov_b32 s44, exec_lo
	v_cmpx_gt_u32_e32 8, v3
; %bb.77:                               ;   in Loop: Header=BB183_12 Depth=1
	v_ffbh_u32_e32 v2, v49
	v_min_u32_e32 v2, 32, v2
	v_subrev_nc_u32_e32 v3, 28, v2
	v_sub_nc_u32_e32 v2, 29, v2
	v_lshlrev_b64 v[3:4], v3, v[49:50]
	v_and_b32_e32 v49, 7, v3
; %bb.78:                               ;   in Loop: Header=BB183_12 Depth=1
	s_or_b32 exec_lo, exec_lo, s44
	v_lshlrev_b32_e32 v1, 16, v1
	v_lshlrev_b32_e32 v3, 20, v49
	v_lshl_add_u32 v2, v2, 23, 0x3c000000
	v_mov_b32_e32 v75, v50
	v_and_b32_e32 v1, 0x80000000, v1
	v_or3_b32 v76, v3, v1, v2
.LBB183_79:                             ;   in Loop: Header=BB183_12 Depth=1
	s_or_b32 exec_lo, exec_lo, s43
.LBB183_80:                             ;   in Loop: Header=BB183_12 Depth=1
	s_or_b32 exec_lo, exec_lo, s42
.LBB183_81:                             ;   in Loop: Header=BB183_12 Depth=1
	s_or_b32 exec_lo, exec_lo, s41
	global_load_ushort v2, v[67:68], off offset:256
	v_mov_b32_e32 v79, 0
	v_mov_b32_e32 v77, 0
	;; [unrolled: 1-line block ×4, first 2 shown]
	s_waitcnt vmcnt(0)
	v_and_b32_e32 v1, 0xffff, v2
	v_cmp_ne_u16_sdwa s2, v2, v50 src0_sel:BYTE_0 src1_sel:DWORD
	s_and_saveexec_b32 s41, s2
	s_cbranch_execz .LBB183_89
; %bb.82:                               ;   in Loop: Header=BB183_12 Depth=1
	v_bfrev_b32_e32 v77, 1
	v_mov_b32_e32 v78, 0
	v_cmp_ne_u16_sdwa s2, v1, v20 src0_sel:BYTE_0 src1_sel:DWORD
	s_and_saveexec_b32 s42, s2
	s_cbranch_execz .LBB183_88
; %bb.83:                               ;   in Loop: Header=BB183_12 Depth=1
	v_mov_b32_e32 v77, 0x7f800001
	v_and_b32_e32 v3, 0x7f, v1
	v_mov_b32_e32 v78, 0
	s_mov_b32 s43, exec_lo
	v_cmpx_ne_u32_e32 0x7f, v3
	s_cbranch_execz .LBB183_87
; %bb.84:                               ;   in Loop: Header=BB183_12 Depth=1
	v_and_b32_e32 v49, 7, v1
	v_lshrrev_b32_e32 v2, 3, v3
	s_mov_b32 s44, exec_lo
	v_cmpx_gt_u32_e32 8, v3
; %bb.85:                               ;   in Loop: Header=BB183_12 Depth=1
	v_ffbh_u32_e32 v2, v49
	v_min_u32_e32 v2, 32, v2
	v_subrev_nc_u32_e32 v3, 28, v2
	v_sub_nc_u32_e32 v2, 29, v2
	v_lshlrev_b64 v[3:4], v3, v[49:50]
	v_and_b32_e32 v49, 7, v3
; %bb.86:                               ;   in Loop: Header=BB183_12 Depth=1
	s_or_b32 exec_lo, exec_lo, s44
	v_lshlrev_b32_e32 v3, 24, v1
	v_lshlrev_b32_e32 v4, 20, v49
	v_lshl_add_u32 v2, v2, 23, 0x3c000000
	v_and_b32_e32 v3, 0x80000000, v3
	v_or3_b32 v49, v4, v3, v2
	v_mov_b32_e32 v78, v50
	v_mov_b32_e32 v77, v49
.LBB183_87:                             ;   in Loop: Header=BB183_12 Depth=1
	s_or_b32 exec_lo, exec_lo, s43
.LBB183_88:                             ;   in Loop: Header=BB183_12 Depth=1
	s_or_b32 exec_lo, exec_lo, s42
.LBB183_89:                             ;   in Loop: Header=BB183_12 Depth=1
	s_or_b32 exec_lo, exec_lo, s41
	v_cmp_ne_u16_sdwa s2, v1, v50 src0_sel:BYTE_1 src1_sel:DWORD
	s_and_saveexec_b32 s41, s2
	s_cbranch_execz .LBB183_97
; %bb.90:                               ;   in Loop: Header=BB183_12 Depth=1
	v_mov_b32_e32 v13, v50
	v_mov_b32_e32 v80, v14
	v_cmp_ne_u16_sdwa s2, v1, v20 src0_sel:BYTE_1 src1_sel:DWORD
	v_mov_b32_e32 v79, v13
	s_and_saveexec_b32 s42, s2
	s_cbranch_execz .LBB183_96
; %bb.91:                               ;   in Loop: Header=BB183_12 Depth=1
	v_mov_b32_e32 v2, 0xffff
	v_mov_b32_e32 v65, v50
	;; [unrolled: 1-line block ×3, first 2 shown]
	s_mov_b32 s43, exec_lo
	v_and_b32_sdwa v2, v2, v1 dst_sel:DWORD dst_unused:UNUSED_PAD src0_sel:DWORD src1_sel:BYTE_1
	v_mov_b32_e32 v79, v65
	v_and_b32_e32 v3, 0x7f, v2
	v_cmpx_ne_u32_e32 0x7f, v3
	s_cbranch_execz .LBB183_95
; %bb.92:                               ;   in Loop: Header=BB183_12 Depth=1
	v_and_b32_e32 v49, 7, v2
	v_lshrrev_b32_e32 v2, 3, v3
	s_mov_b32 s44, exec_lo
	v_cmpx_gt_u32_e32 8, v3
; %bb.93:                               ;   in Loop: Header=BB183_12 Depth=1
	v_ffbh_u32_e32 v2, v49
	v_min_u32_e32 v2, 32, v2
	v_subrev_nc_u32_e32 v3, 28, v2
	v_sub_nc_u32_e32 v2, 29, v2
	v_lshlrev_b64 v[3:4], v3, v[49:50]
	v_and_b32_e32 v49, 7, v3
; %bb.94:                               ;   in Loop: Header=BB183_12 Depth=1
	s_or_b32 exec_lo, exec_lo, s44
	v_lshlrev_b32_e32 v1, 16, v1
	v_lshlrev_b32_e32 v3, 20, v49
	v_lshl_add_u32 v2, v2, 23, 0x3c000000
	v_mov_b32_e32 v79, v50
	v_and_b32_e32 v1, 0x80000000, v1
	v_or3_b32 v80, v3, v1, v2
.LBB183_95:                             ;   in Loop: Header=BB183_12 Depth=1
	s_or_b32 exec_lo, exec_lo, s43
.LBB183_96:                             ;   in Loop: Header=BB183_12 Depth=1
	s_or_b32 exec_lo, exec_lo, s42
.LBB183_97:                             ;   in Loop: Header=BB183_12 Depth=1
	s_or_b32 exec_lo, exec_lo, s41
	global_load_ushort v2, v[67:68], off offset:260
	v_mov_b32_e32 v83, 0
	v_mov_b32_e32 v81, 0
	;; [unrolled: 1-line block ×4, first 2 shown]
	s_waitcnt vmcnt(0)
	v_and_b32_e32 v1, 0xffff, v2
	v_cmp_ne_u16_sdwa s2, v2, v50 src0_sel:BYTE_0 src1_sel:DWORD
	s_and_saveexec_b32 s41, s2
	s_cbranch_execz .LBB183_105
; %bb.98:                               ;   in Loop: Header=BB183_12 Depth=1
	v_bfrev_b32_e32 v81, 1
	v_mov_b32_e32 v82, 0
	v_cmp_ne_u16_sdwa s2, v1, v20 src0_sel:BYTE_0 src1_sel:DWORD
	s_and_saveexec_b32 s42, s2
	s_cbranch_execz .LBB183_104
; %bb.99:                               ;   in Loop: Header=BB183_12 Depth=1
	v_mov_b32_e32 v81, 0x7f800001
	v_and_b32_e32 v3, 0x7f, v1
	v_mov_b32_e32 v82, 0
	s_mov_b32 s43, exec_lo
	v_cmpx_ne_u32_e32 0x7f, v3
	s_cbranch_execz .LBB183_103
; %bb.100:                              ;   in Loop: Header=BB183_12 Depth=1
	v_and_b32_e32 v49, 7, v1
	v_lshrrev_b32_e32 v2, 3, v3
	s_mov_b32 s44, exec_lo
	v_cmpx_gt_u32_e32 8, v3
; %bb.101:                              ;   in Loop: Header=BB183_12 Depth=1
	v_ffbh_u32_e32 v2, v49
	v_min_u32_e32 v2, 32, v2
	v_subrev_nc_u32_e32 v3, 28, v2
	v_sub_nc_u32_e32 v2, 29, v2
	v_lshlrev_b64 v[3:4], v3, v[49:50]
	v_and_b32_e32 v49, 7, v3
; %bb.102:                              ;   in Loop: Header=BB183_12 Depth=1
	s_or_b32 exec_lo, exec_lo, s44
	v_lshlrev_b32_e32 v3, 24, v1
	v_lshlrev_b32_e32 v4, 20, v49
	v_lshl_add_u32 v2, v2, 23, 0x3c000000
	v_and_b32_e32 v3, 0x80000000, v3
	v_or3_b32 v49, v4, v3, v2
	v_mov_b32_e32 v82, v50
	v_mov_b32_e32 v81, v49
.LBB183_103:                            ;   in Loop: Header=BB183_12 Depth=1
	s_or_b32 exec_lo, exec_lo, s43
.LBB183_104:                            ;   in Loop: Header=BB183_12 Depth=1
	s_or_b32 exec_lo, exec_lo, s42
.LBB183_105:                            ;   in Loop: Header=BB183_12 Depth=1
	s_or_b32 exec_lo, exec_lo, s41
	v_cmp_ne_u16_sdwa s2, v1, v50 src0_sel:BYTE_1 src1_sel:DWORD
	s_and_saveexec_b32 s41, s2
	s_cbranch_execz .LBB183_113
; %bb.106:                              ;   in Loop: Header=BB183_12 Depth=1
	v_mov_b32_e32 v13, v50
	v_mov_b32_e32 v84, v14
	v_cmp_ne_u16_sdwa s2, v1, v20 src0_sel:BYTE_1 src1_sel:DWORD
	v_mov_b32_e32 v83, v13
	s_and_saveexec_b32 s42, s2
	s_cbranch_execz .LBB183_112
; %bb.107:                              ;   in Loop: Header=BB183_12 Depth=1
	v_mov_b32_e32 v2, 0xffff
	v_mov_b32_e32 v65, v50
	v_mov_b32_e32 v84, v66
	s_mov_b32 s43, exec_lo
	v_and_b32_sdwa v2, v2, v1 dst_sel:DWORD dst_unused:UNUSED_PAD src0_sel:DWORD src1_sel:BYTE_1
	v_mov_b32_e32 v83, v65
	v_and_b32_e32 v3, 0x7f, v2
	v_cmpx_ne_u32_e32 0x7f, v3
	s_cbranch_execz .LBB183_111
; %bb.108:                              ;   in Loop: Header=BB183_12 Depth=1
	v_and_b32_e32 v49, 7, v2
	v_lshrrev_b32_e32 v2, 3, v3
	s_mov_b32 s44, exec_lo
	v_cmpx_gt_u32_e32 8, v3
; %bb.109:                              ;   in Loop: Header=BB183_12 Depth=1
	v_ffbh_u32_e32 v2, v49
	v_min_u32_e32 v2, 32, v2
	v_subrev_nc_u32_e32 v3, 28, v2
	v_sub_nc_u32_e32 v2, 29, v2
	v_lshlrev_b64 v[3:4], v3, v[49:50]
	v_and_b32_e32 v49, 7, v3
; %bb.110:                              ;   in Loop: Header=BB183_12 Depth=1
	s_or_b32 exec_lo, exec_lo, s44
	v_lshlrev_b32_e32 v1, 16, v1
	v_lshlrev_b32_e32 v3, 20, v49
	v_lshl_add_u32 v2, v2, 23, 0x3c000000
	v_mov_b32_e32 v83, v50
	v_and_b32_e32 v1, 0x80000000, v1
	v_or3_b32 v84, v3, v1, v2
.LBB183_111:                            ;   in Loop: Header=BB183_12 Depth=1
	s_or_b32 exec_lo, exec_lo, s43
.LBB183_112:                            ;   in Loop: Header=BB183_12 Depth=1
	s_or_b32 exec_lo, exec_lo, s42
.LBB183_113:                            ;   in Loop: Header=BB183_12 Depth=1
	s_or_b32 exec_lo, exec_lo, s41
	global_load_ushort v2, v[67:68], off offset:264
	v_mov_b32_e32 v87, 0
	v_mov_b32_e32 v85, 0
	;; [unrolled: 1-line block ×4, first 2 shown]
	s_waitcnt vmcnt(0)
	v_and_b32_e32 v1, 0xffff, v2
	v_cmp_ne_u16_sdwa s2, v2, v50 src0_sel:BYTE_0 src1_sel:DWORD
	s_and_saveexec_b32 s41, s2
	s_cbranch_execz .LBB183_121
; %bb.114:                              ;   in Loop: Header=BB183_12 Depth=1
	v_bfrev_b32_e32 v85, 1
	v_mov_b32_e32 v86, 0
	v_cmp_ne_u16_sdwa s2, v1, v20 src0_sel:BYTE_0 src1_sel:DWORD
	s_and_saveexec_b32 s42, s2
	s_cbranch_execz .LBB183_120
; %bb.115:                              ;   in Loop: Header=BB183_12 Depth=1
	v_mov_b32_e32 v85, 0x7f800001
	v_and_b32_e32 v3, 0x7f, v1
	v_mov_b32_e32 v86, 0
	s_mov_b32 s43, exec_lo
	v_cmpx_ne_u32_e32 0x7f, v3
	s_cbranch_execz .LBB183_119
; %bb.116:                              ;   in Loop: Header=BB183_12 Depth=1
	v_and_b32_e32 v49, 7, v1
	v_lshrrev_b32_e32 v2, 3, v3
	s_mov_b32 s44, exec_lo
	v_cmpx_gt_u32_e32 8, v3
; %bb.117:                              ;   in Loop: Header=BB183_12 Depth=1
	v_ffbh_u32_e32 v2, v49
	v_min_u32_e32 v2, 32, v2
	v_subrev_nc_u32_e32 v3, 28, v2
	v_sub_nc_u32_e32 v2, 29, v2
	v_lshlrev_b64 v[3:4], v3, v[49:50]
	v_and_b32_e32 v49, 7, v3
; %bb.118:                              ;   in Loop: Header=BB183_12 Depth=1
	s_or_b32 exec_lo, exec_lo, s44
	v_lshlrev_b32_e32 v3, 24, v1
	v_lshlrev_b32_e32 v4, 20, v49
	v_lshl_add_u32 v2, v2, 23, 0x3c000000
	v_and_b32_e32 v3, 0x80000000, v3
	v_or3_b32 v49, v4, v3, v2
	v_mov_b32_e32 v86, v50
	v_mov_b32_e32 v85, v49
.LBB183_119:                            ;   in Loop: Header=BB183_12 Depth=1
	s_or_b32 exec_lo, exec_lo, s43
.LBB183_120:                            ;   in Loop: Header=BB183_12 Depth=1
	s_or_b32 exec_lo, exec_lo, s42
.LBB183_121:                            ;   in Loop: Header=BB183_12 Depth=1
	s_or_b32 exec_lo, exec_lo, s41
	v_cmp_ne_u16_sdwa s2, v1, v50 src0_sel:BYTE_1 src1_sel:DWORD
	s_and_saveexec_b32 s41, s2
	s_cbranch_execz .LBB183_129
; %bb.122:                              ;   in Loop: Header=BB183_12 Depth=1
	v_mov_b32_e32 v13, v50
	v_mov_b32_e32 v88, v14
	v_cmp_ne_u16_sdwa s2, v1, v20 src0_sel:BYTE_1 src1_sel:DWORD
	v_mov_b32_e32 v87, v13
	s_and_saveexec_b32 s42, s2
	s_cbranch_execz .LBB183_128
; %bb.123:                              ;   in Loop: Header=BB183_12 Depth=1
	v_mov_b32_e32 v2, 0xffff
	v_mov_b32_e32 v65, v50
	;; [unrolled: 1-line block ×3, first 2 shown]
	s_mov_b32 s43, exec_lo
	v_and_b32_sdwa v2, v2, v1 dst_sel:DWORD dst_unused:UNUSED_PAD src0_sel:DWORD src1_sel:BYTE_1
	v_mov_b32_e32 v87, v65
	v_and_b32_e32 v3, 0x7f, v2
	v_cmpx_ne_u32_e32 0x7f, v3
	s_cbranch_execz .LBB183_127
; %bb.124:                              ;   in Loop: Header=BB183_12 Depth=1
	v_and_b32_e32 v49, 7, v2
	v_lshrrev_b32_e32 v2, 3, v3
	s_mov_b32 s44, exec_lo
	v_cmpx_gt_u32_e32 8, v3
; %bb.125:                              ;   in Loop: Header=BB183_12 Depth=1
	v_ffbh_u32_e32 v2, v49
	v_min_u32_e32 v2, 32, v2
	v_subrev_nc_u32_e32 v3, 28, v2
	v_sub_nc_u32_e32 v2, 29, v2
	v_lshlrev_b64 v[3:4], v3, v[49:50]
	v_and_b32_e32 v49, 7, v3
; %bb.126:                              ;   in Loop: Header=BB183_12 Depth=1
	s_or_b32 exec_lo, exec_lo, s44
	v_lshlrev_b32_e32 v1, 16, v1
	v_lshlrev_b32_e32 v3, 20, v49
	v_lshl_add_u32 v2, v2, 23, 0x3c000000
	v_mov_b32_e32 v87, v50
	v_and_b32_e32 v1, 0x80000000, v1
	v_or3_b32 v88, v3, v1, v2
.LBB183_127:                            ;   in Loop: Header=BB183_12 Depth=1
	s_or_b32 exec_lo, exec_lo, s43
.LBB183_128:                            ;   in Loop: Header=BB183_12 Depth=1
	s_or_b32 exec_lo, exec_lo, s42
.LBB183_129:                            ;   in Loop: Header=BB183_12 Depth=1
	s_or_b32 exec_lo, exec_lo, s41
	global_load_ushort v2, v[67:68], off offset:268
	v_mov_b32_e32 v91, 0
	v_mov_b32_e32 v89, 0
	;; [unrolled: 1-line block ×4, first 2 shown]
	s_waitcnt vmcnt(0)
	v_and_b32_e32 v1, 0xffff, v2
	v_cmp_ne_u16_sdwa s2, v2, v50 src0_sel:BYTE_0 src1_sel:DWORD
	s_and_saveexec_b32 s41, s2
	s_cbranch_execz .LBB183_137
; %bb.130:                              ;   in Loop: Header=BB183_12 Depth=1
	v_bfrev_b32_e32 v89, 1
	v_mov_b32_e32 v90, 0
	v_cmp_ne_u16_sdwa s2, v1, v20 src0_sel:BYTE_0 src1_sel:DWORD
	s_and_saveexec_b32 s42, s2
	s_cbranch_execz .LBB183_136
; %bb.131:                              ;   in Loop: Header=BB183_12 Depth=1
	v_mov_b32_e32 v89, 0x7f800001
	v_and_b32_e32 v3, 0x7f, v1
	v_mov_b32_e32 v90, 0
	s_mov_b32 s43, exec_lo
	v_cmpx_ne_u32_e32 0x7f, v3
	s_cbranch_execz .LBB183_135
; %bb.132:                              ;   in Loop: Header=BB183_12 Depth=1
	v_and_b32_e32 v49, 7, v1
	v_lshrrev_b32_e32 v2, 3, v3
	s_mov_b32 s44, exec_lo
	v_cmpx_gt_u32_e32 8, v3
; %bb.133:                              ;   in Loop: Header=BB183_12 Depth=1
	v_ffbh_u32_e32 v2, v49
	v_min_u32_e32 v2, 32, v2
	v_subrev_nc_u32_e32 v3, 28, v2
	v_sub_nc_u32_e32 v2, 29, v2
	v_lshlrev_b64 v[3:4], v3, v[49:50]
	v_and_b32_e32 v49, 7, v3
; %bb.134:                              ;   in Loop: Header=BB183_12 Depth=1
	s_or_b32 exec_lo, exec_lo, s44
	v_lshlrev_b32_e32 v3, 24, v1
	v_lshlrev_b32_e32 v4, 20, v49
	v_lshl_add_u32 v2, v2, 23, 0x3c000000
	v_and_b32_e32 v3, 0x80000000, v3
	v_or3_b32 v49, v4, v3, v2
	v_mov_b32_e32 v90, v50
	v_mov_b32_e32 v89, v49
.LBB183_135:                            ;   in Loop: Header=BB183_12 Depth=1
	s_or_b32 exec_lo, exec_lo, s43
.LBB183_136:                            ;   in Loop: Header=BB183_12 Depth=1
	s_or_b32 exec_lo, exec_lo, s42
.LBB183_137:                            ;   in Loop: Header=BB183_12 Depth=1
	s_or_b32 exec_lo, exec_lo, s41
	v_cmp_ne_u16_sdwa s2, v1, v50 src0_sel:BYTE_1 src1_sel:DWORD
	s_and_saveexec_b32 s41, s2
	s_cbranch_execz .LBB183_145
; %bb.138:                              ;   in Loop: Header=BB183_12 Depth=1
	v_mov_b32_e32 v13, v50
	v_mov_b32_e32 v92, v14
	v_cmp_ne_u16_sdwa s2, v1, v20 src0_sel:BYTE_1 src1_sel:DWORD
	v_mov_b32_e32 v91, v13
	s_and_saveexec_b32 s42, s2
	s_cbranch_execz .LBB183_144
; %bb.139:                              ;   in Loop: Header=BB183_12 Depth=1
	v_mov_b32_e32 v2, 0xffff
	v_mov_b32_e32 v65, v50
	;; [unrolled: 1-line block ×3, first 2 shown]
	s_mov_b32 s43, exec_lo
	v_and_b32_sdwa v2, v2, v1 dst_sel:DWORD dst_unused:UNUSED_PAD src0_sel:DWORD src1_sel:BYTE_1
	v_mov_b32_e32 v91, v65
	v_and_b32_e32 v3, 0x7f, v2
	v_cmpx_ne_u32_e32 0x7f, v3
	s_cbranch_execz .LBB183_143
; %bb.140:                              ;   in Loop: Header=BB183_12 Depth=1
	v_and_b32_e32 v49, 7, v2
	v_lshrrev_b32_e32 v2, 3, v3
	s_mov_b32 s44, exec_lo
	v_cmpx_gt_u32_e32 8, v3
; %bb.141:                              ;   in Loop: Header=BB183_12 Depth=1
	v_ffbh_u32_e32 v2, v49
	v_min_u32_e32 v2, 32, v2
	v_subrev_nc_u32_e32 v3, 28, v2
	v_sub_nc_u32_e32 v2, 29, v2
	v_lshlrev_b64 v[3:4], v3, v[49:50]
	v_and_b32_e32 v49, 7, v3
; %bb.142:                              ;   in Loop: Header=BB183_12 Depth=1
	s_or_b32 exec_lo, exec_lo, s44
	v_lshlrev_b32_e32 v1, 16, v1
	v_lshlrev_b32_e32 v3, 20, v49
	v_lshl_add_u32 v2, v2, 23, 0x3c000000
	v_mov_b32_e32 v91, v50
	v_and_b32_e32 v1, 0x80000000, v1
	v_or3_b32 v92, v3, v1, v2
.LBB183_143:                            ;   in Loop: Header=BB183_12 Depth=1
	s_or_b32 exec_lo, exec_lo, s43
.LBB183_144:                            ;   in Loop: Header=BB183_12 Depth=1
	s_or_b32 exec_lo, exec_lo, s42
.LBB183_145:                            ;   in Loop: Header=BB183_12 Depth=1
	s_or_b32 exec_lo, exec_lo, s41
	global_load_ushort v2, v[67:68], off offset:512
	v_mov_b32_e32 v95, 0
	v_mov_b32_e32 v93, 0
	;; [unrolled: 1-line block ×4, first 2 shown]
	s_waitcnt vmcnt(0)
	v_and_b32_e32 v1, 0xffff, v2
	v_cmp_ne_u16_sdwa s2, v2, v50 src0_sel:BYTE_0 src1_sel:DWORD
	s_and_saveexec_b32 s41, s2
	s_cbranch_execz .LBB183_153
; %bb.146:                              ;   in Loop: Header=BB183_12 Depth=1
	v_bfrev_b32_e32 v93, 1
	v_mov_b32_e32 v94, 0
	v_cmp_ne_u16_sdwa s2, v1, v20 src0_sel:BYTE_0 src1_sel:DWORD
	s_and_saveexec_b32 s42, s2
	s_cbranch_execz .LBB183_152
; %bb.147:                              ;   in Loop: Header=BB183_12 Depth=1
	v_mov_b32_e32 v93, 0x7f800001
	v_and_b32_e32 v3, 0x7f, v1
	v_mov_b32_e32 v94, 0
	s_mov_b32 s43, exec_lo
	v_cmpx_ne_u32_e32 0x7f, v3
	s_cbranch_execz .LBB183_151
; %bb.148:                              ;   in Loop: Header=BB183_12 Depth=1
	v_and_b32_e32 v49, 7, v1
	v_lshrrev_b32_e32 v2, 3, v3
	s_mov_b32 s44, exec_lo
	v_cmpx_gt_u32_e32 8, v3
; %bb.149:                              ;   in Loop: Header=BB183_12 Depth=1
	v_ffbh_u32_e32 v2, v49
	v_min_u32_e32 v2, 32, v2
	v_subrev_nc_u32_e32 v3, 28, v2
	v_sub_nc_u32_e32 v2, 29, v2
	v_lshlrev_b64 v[3:4], v3, v[49:50]
	v_and_b32_e32 v49, 7, v3
; %bb.150:                              ;   in Loop: Header=BB183_12 Depth=1
	s_or_b32 exec_lo, exec_lo, s44
	v_lshlrev_b32_e32 v3, 24, v1
	v_lshlrev_b32_e32 v4, 20, v49
	v_lshl_add_u32 v2, v2, 23, 0x3c000000
	v_and_b32_e32 v3, 0x80000000, v3
	v_or3_b32 v49, v4, v3, v2
	v_mov_b32_e32 v94, v50
	v_mov_b32_e32 v93, v49
.LBB183_151:                            ;   in Loop: Header=BB183_12 Depth=1
	s_or_b32 exec_lo, exec_lo, s43
.LBB183_152:                            ;   in Loop: Header=BB183_12 Depth=1
	s_or_b32 exec_lo, exec_lo, s42
.LBB183_153:                            ;   in Loop: Header=BB183_12 Depth=1
	s_or_b32 exec_lo, exec_lo, s41
	v_cmp_ne_u16_sdwa s2, v1, v50 src0_sel:BYTE_1 src1_sel:DWORD
	s_and_saveexec_b32 s41, s2
	s_cbranch_execz .LBB183_161
; %bb.154:                              ;   in Loop: Header=BB183_12 Depth=1
	v_mov_b32_e32 v13, v50
	v_mov_b32_e32 v96, v14
	v_cmp_ne_u16_sdwa s2, v1, v20 src0_sel:BYTE_1 src1_sel:DWORD
	v_mov_b32_e32 v95, v13
	s_and_saveexec_b32 s42, s2
	s_cbranch_execz .LBB183_160
; %bb.155:                              ;   in Loop: Header=BB183_12 Depth=1
	v_mov_b32_e32 v2, 0xffff
	v_mov_b32_e32 v65, v50
	;; [unrolled: 1-line block ×3, first 2 shown]
	s_mov_b32 s43, exec_lo
	v_and_b32_sdwa v2, v2, v1 dst_sel:DWORD dst_unused:UNUSED_PAD src0_sel:DWORD src1_sel:BYTE_1
	v_mov_b32_e32 v95, v65
	v_and_b32_e32 v3, 0x7f, v2
	v_cmpx_ne_u32_e32 0x7f, v3
	s_cbranch_execz .LBB183_159
; %bb.156:                              ;   in Loop: Header=BB183_12 Depth=1
	v_and_b32_e32 v49, 7, v2
	v_lshrrev_b32_e32 v2, 3, v3
	s_mov_b32 s44, exec_lo
	v_cmpx_gt_u32_e32 8, v3
; %bb.157:                              ;   in Loop: Header=BB183_12 Depth=1
	v_ffbh_u32_e32 v2, v49
	v_min_u32_e32 v2, 32, v2
	v_subrev_nc_u32_e32 v3, 28, v2
	v_sub_nc_u32_e32 v2, 29, v2
	v_lshlrev_b64 v[3:4], v3, v[49:50]
	v_and_b32_e32 v49, 7, v3
; %bb.158:                              ;   in Loop: Header=BB183_12 Depth=1
	s_or_b32 exec_lo, exec_lo, s44
	v_lshlrev_b32_e32 v1, 16, v1
	v_lshlrev_b32_e32 v3, 20, v49
	v_lshl_add_u32 v2, v2, 23, 0x3c000000
	v_mov_b32_e32 v95, v50
	v_and_b32_e32 v1, 0x80000000, v1
	v_or3_b32 v96, v3, v1, v2
.LBB183_159:                            ;   in Loop: Header=BB183_12 Depth=1
	s_or_b32 exec_lo, exec_lo, s43
.LBB183_160:                            ;   in Loop: Header=BB183_12 Depth=1
	s_or_b32 exec_lo, exec_lo, s42
.LBB183_161:                            ;   in Loop: Header=BB183_12 Depth=1
	s_or_b32 exec_lo, exec_lo, s41
	global_load_ushort v2, v[67:68], off offset:516
	v_mov_b32_e32 v99, 0
	v_mov_b32_e32 v97, 0
	;; [unrolled: 1-line block ×4, first 2 shown]
	s_waitcnt vmcnt(0)
	v_and_b32_e32 v1, 0xffff, v2
	v_cmp_ne_u16_sdwa s2, v2, v50 src0_sel:BYTE_0 src1_sel:DWORD
	s_and_saveexec_b32 s41, s2
	s_cbranch_execz .LBB183_169
; %bb.162:                              ;   in Loop: Header=BB183_12 Depth=1
	v_bfrev_b32_e32 v97, 1
	v_mov_b32_e32 v98, 0
	v_cmp_ne_u16_sdwa s2, v1, v20 src0_sel:BYTE_0 src1_sel:DWORD
	s_and_saveexec_b32 s42, s2
	s_cbranch_execz .LBB183_168
; %bb.163:                              ;   in Loop: Header=BB183_12 Depth=1
	v_mov_b32_e32 v97, 0x7f800001
	v_and_b32_e32 v3, 0x7f, v1
	v_mov_b32_e32 v98, 0
	s_mov_b32 s43, exec_lo
	v_cmpx_ne_u32_e32 0x7f, v3
	s_cbranch_execz .LBB183_167
; %bb.164:                              ;   in Loop: Header=BB183_12 Depth=1
	v_and_b32_e32 v49, 7, v1
	v_lshrrev_b32_e32 v2, 3, v3
	s_mov_b32 s44, exec_lo
	v_cmpx_gt_u32_e32 8, v3
; %bb.165:                              ;   in Loop: Header=BB183_12 Depth=1
	v_ffbh_u32_e32 v2, v49
	v_min_u32_e32 v2, 32, v2
	v_subrev_nc_u32_e32 v3, 28, v2
	v_sub_nc_u32_e32 v2, 29, v2
	v_lshlrev_b64 v[3:4], v3, v[49:50]
	v_and_b32_e32 v49, 7, v3
; %bb.166:                              ;   in Loop: Header=BB183_12 Depth=1
	s_or_b32 exec_lo, exec_lo, s44
	v_lshlrev_b32_e32 v3, 24, v1
	v_lshlrev_b32_e32 v4, 20, v49
	v_lshl_add_u32 v2, v2, 23, 0x3c000000
	v_and_b32_e32 v3, 0x80000000, v3
	v_or3_b32 v49, v4, v3, v2
	v_mov_b32_e32 v98, v50
	v_mov_b32_e32 v97, v49
.LBB183_167:                            ;   in Loop: Header=BB183_12 Depth=1
	s_or_b32 exec_lo, exec_lo, s43
.LBB183_168:                            ;   in Loop: Header=BB183_12 Depth=1
	s_or_b32 exec_lo, exec_lo, s42
.LBB183_169:                            ;   in Loop: Header=BB183_12 Depth=1
	s_or_b32 exec_lo, exec_lo, s41
	v_cmp_ne_u16_sdwa s2, v1, v50 src0_sel:BYTE_1 src1_sel:DWORD
	s_and_saveexec_b32 s41, s2
	s_cbranch_execz .LBB183_177
; %bb.170:                              ;   in Loop: Header=BB183_12 Depth=1
	v_mov_b32_e32 v13, v50
	v_mov_b32_e32 v100, v14
	v_cmp_ne_u16_sdwa s2, v1, v20 src0_sel:BYTE_1 src1_sel:DWORD
	v_mov_b32_e32 v99, v13
	s_and_saveexec_b32 s42, s2
	s_cbranch_execz .LBB183_176
; %bb.171:                              ;   in Loop: Header=BB183_12 Depth=1
	v_mov_b32_e32 v2, 0xffff
	v_mov_b32_e32 v65, v50
	;; [unrolled: 1-line block ×3, first 2 shown]
	s_mov_b32 s43, exec_lo
	v_and_b32_sdwa v2, v2, v1 dst_sel:DWORD dst_unused:UNUSED_PAD src0_sel:DWORD src1_sel:BYTE_1
	v_mov_b32_e32 v99, v65
	v_and_b32_e32 v3, 0x7f, v2
	v_cmpx_ne_u32_e32 0x7f, v3
	s_cbranch_execz .LBB183_175
; %bb.172:                              ;   in Loop: Header=BB183_12 Depth=1
	v_and_b32_e32 v49, 7, v2
	v_lshrrev_b32_e32 v2, 3, v3
	s_mov_b32 s44, exec_lo
	v_cmpx_gt_u32_e32 8, v3
; %bb.173:                              ;   in Loop: Header=BB183_12 Depth=1
	v_ffbh_u32_e32 v2, v49
	v_min_u32_e32 v2, 32, v2
	v_subrev_nc_u32_e32 v3, 28, v2
	v_sub_nc_u32_e32 v2, 29, v2
	v_lshlrev_b64 v[3:4], v3, v[49:50]
	v_and_b32_e32 v49, 7, v3
; %bb.174:                              ;   in Loop: Header=BB183_12 Depth=1
	s_or_b32 exec_lo, exec_lo, s44
	v_lshlrev_b32_e32 v1, 16, v1
	v_lshlrev_b32_e32 v3, 20, v49
	v_lshl_add_u32 v2, v2, 23, 0x3c000000
	v_mov_b32_e32 v99, v50
	v_and_b32_e32 v1, 0x80000000, v1
	v_or3_b32 v100, v3, v1, v2
.LBB183_175:                            ;   in Loop: Header=BB183_12 Depth=1
	s_or_b32 exec_lo, exec_lo, s43
.LBB183_176:                            ;   in Loop: Header=BB183_12 Depth=1
	s_or_b32 exec_lo, exec_lo, s42
.LBB183_177:                            ;   in Loop: Header=BB183_12 Depth=1
	s_or_b32 exec_lo, exec_lo, s41
	global_load_ushort v2, v[67:68], off offset:520
	v_mov_b32_e32 v103, 0
	v_mov_b32_e32 v101, 0
	;; [unrolled: 1-line block ×4, first 2 shown]
	s_waitcnt vmcnt(0)
	v_and_b32_e32 v1, 0xffff, v2
	v_cmp_ne_u16_sdwa s2, v2, v50 src0_sel:BYTE_0 src1_sel:DWORD
	s_and_saveexec_b32 s41, s2
	s_cbranch_execz .LBB183_185
; %bb.178:                              ;   in Loop: Header=BB183_12 Depth=1
	v_bfrev_b32_e32 v101, 1
	v_mov_b32_e32 v102, 0
	v_cmp_ne_u16_sdwa s2, v1, v20 src0_sel:BYTE_0 src1_sel:DWORD
	s_and_saveexec_b32 s42, s2
	s_cbranch_execz .LBB183_184
; %bb.179:                              ;   in Loop: Header=BB183_12 Depth=1
	v_mov_b32_e32 v101, 0x7f800001
	v_and_b32_e32 v3, 0x7f, v1
	v_mov_b32_e32 v102, 0
	s_mov_b32 s43, exec_lo
	v_cmpx_ne_u32_e32 0x7f, v3
	s_cbranch_execz .LBB183_183
; %bb.180:                              ;   in Loop: Header=BB183_12 Depth=1
	v_and_b32_e32 v49, 7, v1
	v_lshrrev_b32_e32 v2, 3, v3
	s_mov_b32 s44, exec_lo
	v_cmpx_gt_u32_e32 8, v3
; %bb.181:                              ;   in Loop: Header=BB183_12 Depth=1
	v_ffbh_u32_e32 v2, v49
	v_min_u32_e32 v2, 32, v2
	v_subrev_nc_u32_e32 v3, 28, v2
	v_sub_nc_u32_e32 v2, 29, v2
	v_lshlrev_b64 v[3:4], v3, v[49:50]
	v_and_b32_e32 v49, 7, v3
; %bb.182:                              ;   in Loop: Header=BB183_12 Depth=1
	s_or_b32 exec_lo, exec_lo, s44
	v_lshlrev_b32_e32 v3, 24, v1
	v_lshlrev_b32_e32 v4, 20, v49
	v_lshl_add_u32 v2, v2, 23, 0x3c000000
	v_and_b32_e32 v3, 0x80000000, v3
	v_or3_b32 v49, v4, v3, v2
	v_mov_b32_e32 v102, v50
	v_mov_b32_e32 v101, v49
.LBB183_183:                            ;   in Loop: Header=BB183_12 Depth=1
	s_or_b32 exec_lo, exec_lo, s43
.LBB183_184:                            ;   in Loop: Header=BB183_12 Depth=1
	s_or_b32 exec_lo, exec_lo, s42
.LBB183_185:                            ;   in Loop: Header=BB183_12 Depth=1
	s_or_b32 exec_lo, exec_lo, s41
	v_cmp_ne_u16_sdwa s2, v1, v50 src0_sel:BYTE_1 src1_sel:DWORD
	s_and_saveexec_b32 s41, s2
	s_cbranch_execz .LBB183_193
; %bb.186:                              ;   in Loop: Header=BB183_12 Depth=1
	v_mov_b32_e32 v13, v50
	v_mov_b32_e32 v104, v14
	v_cmp_ne_u16_sdwa s2, v1, v20 src0_sel:BYTE_1 src1_sel:DWORD
	v_mov_b32_e32 v103, v13
	s_and_saveexec_b32 s42, s2
	s_cbranch_execz .LBB183_192
; %bb.187:                              ;   in Loop: Header=BB183_12 Depth=1
	v_mov_b32_e32 v2, 0xffff
	v_mov_b32_e32 v65, v50
	;; [unrolled: 1-line block ×3, first 2 shown]
	s_mov_b32 s43, exec_lo
	v_and_b32_sdwa v2, v2, v1 dst_sel:DWORD dst_unused:UNUSED_PAD src0_sel:DWORD src1_sel:BYTE_1
	v_mov_b32_e32 v103, v65
	v_and_b32_e32 v3, 0x7f, v2
	v_cmpx_ne_u32_e32 0x7f, v3
	s_cbranch_execz .LBB183_191
; %bb.188:                              ;   in Loop: Header=BB183_12 Depth=1
	v_and_b32_e32 v49, 7, v2
	v_lshrrev_b32_e32 v2, 3, v3
	s_mov_b32 s44, exec_lo
	v_cmpx_gt_u32_e32 8, v3
; %bb.189:                              ;   in Loop: Header=BB183_12 Depth=1
	v_ffbh_u32_e32 v2, v49
	v_min_u32_e32 v2, 32, v2
	v_subrev_nc_u32_e32 v3, 28, v2
	v_sub_nc_u32_e32 v2, 29, v2
	v_lshlrev_b64 v[3:4], v3, v[49:50]
	v_and_b32_e32 v49, 7, v3
; %bb.190:                              ;   in Loop: Header=BB183_12 Depth=1
	s_or_b32 exec_lo, exec_lo, s44
	v_lshlrev_b32_e32 v1, 16, v1
	v_lshlrev_b32_e32 v3, 20, v49
	v_lshl_add_u32 v2, v2, 23, 0x3c000000
	v_mov_b32_e32 v103, v50
	v_and_b32_e32 v1, 0x80000000, v1
	v_or3_b32 v104, v3, v1, v2
.LBB183_191:                            ;   in Loop: Header=BB183_12 Depth=1
	s_or_b32 exec_lo, exec_lo, s43
.LBB183_192:                            ;   in Loop: Header=BB183_12 Depth=1
	s_or_b32 exec_lo, exec_lo, s42
.LBB183_193:                            ;   in Loop: Header=BB183_12 Depth=1
	s_or_b32 exec_lo, exec_lo, s41
	global_load_ushort v2, v[67:68], off offset:524
	v_mov_b32_e32 v107, 0
	v_mov_b32_e32 v105, 0
	;; [unrolled: 1-line block ×4, first 2 shown]
	s_waitcnt vmcnt(0)
	v_and_b32_e32 v1, 0xffff, v2
	v_cmp_ne_u16_sdwa s2, v2, v50 src0_sel:BYTE_0 src1_sel:DWORD
	s_and_saveexec_b32 s41, s2
	s_cbranch_execz .LBB183_201
; %bb.194:                              ;   in Loop: Header=BB183_12 Depth=1
	v_bfrev_b32_e32 v105, 1
	v_mov_b32_e32 v106, 0
	v_cmp_ne_u16_sdwa s2, v1, v20 src0_sel:BYTE_0 src1_sel:DWORD
	s_and_saveexec_b32 s42, s2
	s_cbranch_execz .LBB183_200
; %bb.195:                              ;   in Loop: Header=BB183_12 Depth=1
	v_mov_b32_e32 v105, 0x7f800001
	v_and_b32_e32 v3, 0x7f, v1
	v_mov_b32_e32 v106, 0
	s_mov_b32 s43, exec_lo
	v_cmpx_ne_u32_e32 0x7f, v3
	s_cbranch_execz .LBB183_199
; %bb.196:                              ;   in Loop: Header=BB183_12 Depth=1
	v_and_b32_e32 v49, 7, v1
	v_lshrrev_b32_e32 v2, 3, v3
	s_mov_b32 s44, exec_lo
	v_cmpx_gt_u32_e32 8, v3
; %bb.197:                              ;   in Loop: Header=BB183_12 Depth=1
	v_ffbh_u32_e32 v2, v49
	v_min_u32_e32 v2, 32, v2
	v_subrev_nc_u32_e32 v3, 28, v2
	v_sub_nc_u32_e32 v2, 29, v2
	v_lshlrev_b64 v[3:4], v3, v[49:50]
	v_and_b32_e32 v49, 7, v3
; %bb.198:                              ;   in Loop: Header=BB183_12 Depth=1
	s_or_b32 exec_lo, exec_lo, s44
	v_lshlrev_b32_e32 v3, 24, v1
	v_lshlrev_b32_e32 v4, 20, v49
	v_lshl_add_u32 v2, v2, 23, 0x3c000000
	v_and_b32_e32 v3, 0x80000000, v3
	v_or3_b32 v49, v4, v3, v2
	v_mov_b32_e32 v106, v50
	v_mov_b32_e32 v105, v49
.LBB183_199:                            ;   in Loop: Header=BB183_12 Depth=1
	s_or_b32 exec_lo, exec_lo, s43
.LBB183_200:                            ;   in Loop: Header=BB183_12 Depth=1
	s_or_b32 exec_lo, exec_lo, s42
.LBB183_201:                            ;   in Loop: Header=BB183_12 Depth=1
	s_or_b32 exec_lo, exec_lo, s41
	v_cmp_ne_u16_sdwa s2, v1, v50 src0_sel:BYTE_1 src1_sel:DWORD
	s_and_saveexec_b32 s41, s2
	s_cbranch_execz .LBB183_209
; %bb.202:                              ;   in Loop: Header=BB183_12 Depth=1
	v_mov_b32_e32 v13, v50
	v_mov_b32_e32 v108, v14
	v_cmp_ne_u16_sdwa s2, v1, v20 src0_sel:BYTE_1 src1_sel:DWORD
	v_mov_b32_e32 v107, v13
	s_and_saveexec_b32 s42, s2
	s_cbranch_execz .LBB183_208
; %bb.203:                              ;   in Loop: Header=BB183_12 Depth=1
	v_mov_b32_e32 v2, 0xffff
	v_mov_b32_e32 v65, v50
	;; [unrolled: 1-line block ×3, first 2 shown]
	s_mov_b32 s43, exec_lo
	v_and_b32_sdwa v2, v2, v1 dst_sel:DWORD dst_unused:UNUSED_PAD src0_sel:DWORD src1_sel:BYTE_1
	v_mov_b32_e32 v107, v65
	v_and_b32_e32 v3, 0x7f, v2
	v_cmpx_ne_u32_e32 0x7f, v3
	s_cbranch_execz .LBB183_207
; %bb.204:                              ;   in Loop: Header=BB183_12 Depth=1
	v_and_b32_e32 v49, 7, v2
	v_lshrrev_b32_e32 v2, 3, v3
	s_mov_b32 s44, exec_lo
	v_cmpx_gt_u32_e32 8, v3
; %bb.205:                              ;   in Loop: Header=BB183_12 Depth=1
	v_ffbh_u32_e32 v2, v49
	v_min_u32_e32 v2, 32, v2
	v_subrev_nc_u32_e32 v3, 28, v2
	v_sub_nc_u32_e32 v2, 29, v2
	v_lshlrev_b64 v[3:4], v3, v[49:50]
	v_and_b32_e32 v49, 7, v3
; %bb.206:                              ;   in Loop: Header=BB183_12 Depth=1
	s_or_b32 exec_lo, exec_lo, s44
	v_lshlrev_b32_e32 v1, 16, v1
	v_lshlrev_b32_e32 v3, 20, v49
	v_lshl_add_u32 v2, v2, 23, 0x3c000000
	v_mov_b32_e32 v107, v50
	v_and_b32_e32 v1, 0x80000000, v1
	v_or3_b32 v108, v3, v1, v2
.LBB183_207:                            ;   in Loop: Header=BB183_12 Depth=1
	s_or_b32 exec_lo, exec_lo, s43
.LBB183_208:                            ;   in Loop: Header=BB183_12 Depth=1
	s_or_b32 exec_lo, exec_lo, s42
.LBB183_209:                            ;   in Loop: Header=BB183_12 Depth=1
	s_or_b32 exec_lo, exec_lo, s41
	global_load_ushort v2, v[67:68], off offset:768
	v_mov_b32_e32 v111, 0
	v_mov_b32_e32 v109, 0
	;; [unrolled: 1-line block ×4, first 2 shown]
	s_waitcnt vmcnt(0)
	v_and_b32_e32 v1, 0xffff, v2
	v_cmp_ne_u16_sdwa s2, v2, v50 src0_sel:BYTE_0 src1_sel:DWORD
	s_and_saveexec_b32 s41, s2
	s_cbranch_execz .LBB183_217
; %bb.210:                              ;   in Loop: Header=BB183_12 Depth=1
	v_bfrev_b32_e32 v109, 1
	v_mov_b32_e32 v110, 0
	v_cmp_ne_u16_sdwa s2, v1, v20 src0_sel:BYTE_0 src1_sel:DWORD
	s_and_saveexec_b32 s42, s2
	s_cbranch_execz .LBB183_216
; %bb.211:                              ;   in Loop: Header=BB183_12 Depth=1
	v_mov_b32_e32 v109, 0x7f800001
	v_and_b32_e32 v3, 0x7f, v1
	v_mov_b32_e32 v110, 0
	s_mov_b32 s43, exec_lo
	v_cmpx_ne_u32_e32 0x7f, v3
	s_cbranch_execz .LBB183_215
; %bb.212:                              ;   in Loop: Header=BB183_12 Depth=1
	v_and_b32_e32 v49, 7, v1
	v_lshrrev_b32_e32 v2, 3, v3
	s_mov_b32 s44, exec_lo
	v_cmpx_gt_u32_e32 8, v3
; %bb.213:                              ;   in Loop: Header=BB183_12 Depth=1
	v_ffbh_u32_e32 v2, v49
	v_min_u32_e32 v2, 32, v2
	v_subrev_nc_u32_e32 v3, 28, v2
	v_sub_nc_u32_e32 v2, 29, v2
	v_lshlrev_b64 v[3:4], v3, v[49:50]
	v_and_b32_e32 v49, 7, v3
; %bb.214:                              ;   in Loop: Header=BB183_12 Depth=1
	s_or_b32 exec_lo, exec_lo, s44
	v_lshlrev_b32_e32 v3, 24, v1
	v_lshlrev_b32_e32 v4, 20, v49
	v_lshl_add_u32 v2, v2, 23, 0x3c000000
	v_and_b32_e32 v3, 0x80000000, v3
	v_or3_b32 v49, v4, v3, v2
	v_mov_b32_e32 v110, v50
	v_mov_b32_e32 v109, v49
.LBB183_215:                            ;   in Loop: Header=BB183_12 Depth=1
	s_or_b32 exec_lo, exec_lo, s43
.LBB183_216:                            ;   in Loop: Header=BB183_12 Depth=1
	s_or_b32 exec_lo, exec_lo, s42
.LBB183_217:                            ;   in Loop: Header=BB183_12 Depth=1
	s_or_b32 exec_lo, exec_lo, s41
	v_cmp_ne_u16_sdwa s2, v1, v50 src0_sel:BYTE_1 src1_sel:DWORD
	s_and_saveexec_b32 s41, s2
	s_cbranch_execz .LBB183_225
; %bb.218:                              ;   in Loop: Header=BB183_12 Depth=1
	v_mov_b32_e32 v13, v50
	v_mov_b32_e32 v112, v14
	v_cmp_ne_u16_sdwa s2, v1, v20 src0_sel:BYTE_1 src1_sel:DWORD
	v_mov_b32_e32 v111, v13
	s_and_saveexec_b32 s42, s2
	s_cbranch_execz .LBB183_224
; %bb.219:                              ;   in Loop: Header=BB183_12 Depth=1
	v_mov_b32_e32 v2, 0xffff
	v_mov_b32_e32 v65, v50
	v_mov_b32_e32 v112, v66
	s_mov_b32 s43, exec_lo
	v_and_b32_sdwa v2, v2, v1 dst_sel:DWORD dst_unused:UNUSED_PAD src0_sel:DWORD src1_sel:BYTE_1
	v_mov_b32_e32 v111, v65
	v_and_b32_e32 v3, 0x7f, v2
	v_cmpx_ne_u32_e32 0x7f, v3
	s_cbranch_execz .LBB183_223
; %bb.220:                              ;   in Loop: Header=BB183_12 Depth=1
	v_and_b32_e32 v49, 7, v2
	v_lshrrev_b32_e32 v2, 3, v3
	s_mov_b32 s44, exec_lo
	v_cmpx_gt_u32_e32 8, v3
; %bb.221:                              ;   in Loop: Header=BB183_12 Depth=1
	v_ffbh_u32_e32 v2, v49
	v_min_u32_e32 v2, 32, v2
	v_subrev_nc_u32_e32 v3, 28, v2
	v_sub_nc_u32_e32 v2, 29, v2
	v_lshlrev_b64 v[3:4], v3, v[49:50]
	v_and_b32_e32 v49, 7, v3
; %bb.222:                              ;   in Loop: Header=BB183_12 Depth=1
	s_or_b32 exec_lo, exec_lo, s44
	v_lshlrev_b32_e32 v1, 16, v1
	v_lshlrev_b32_e32 v3, 20, v49
	v_lshl_add_u32 v2, v2, 23, 0x3c000000
	v_mov_b32_e32 v111, v50
	v_and_b32_e32 v1, 0x80000000, v1
	v_or3_b32 v112, v3, v1, v2
.LBB183_223:                            ;   in Loop: Header=BB183_12 Depth=1
	s_or_b32 exec_lo, exec_lo, s43
.LBB183_224:                            ;   in Loop: Header=BB183_12 Depth=1
	s_or_b32 exec_lo, exec_lo, s42
.LBB183_225:                            ;   in Loop: Header=BB183_12 Depth=1
	s_or_b32 exec_lo, exec_lo, s41
	global_load_ushort v2, v[67:68], off offset:772
	v_mov_b32_e32 v115, 0
	v_mov_b32_e32 v113, 0
	;; [unrolled: 1-line block ×4, first 2 shown]
	s_waitcnt vmcnt(0)
	v_and_b32_e32 v1, 0xffff, v2
	v_cmp_ne_u16_sdwa s2, v2, v50 src0_sel:BYTE_0 src1_sel:DWORD
	s_and_saveexec_b32 s41, s2
	s_cbranch_execz .LBB183_233
; %bb.226:                              ;   in Loop: Header=BB183_12 Depth=1
	v_bfrev_b32_e32 v113, 1
	v_mov_b32_e32 v114, 0
	v_cmp_ne_u16_sdwa s2, v1, v20 src0_sel:BYTE_0 src1_sel:DWORD
	s_and_saveexec_b32 s42, s2
	s_cbranch_execz .LBB183_232
; %bb.227:                              ;   in Loop: Header=BB183_12 Depth=1
	v_mov_b32_e32 v113, 0x7f800001
	v_and_b32_e32 v3, 0x7f, v1
	v_mov_b32_e32 v114, 0
	s_mov_b32 s43, exec_lo
	v_cmpx_ne_u32_e32 0x7f, v3
	s_cbranch_execz .LBB183_231
; %bb.228:                              ;   in Loop: Header=BB183_12 Depth=1
	v_and_b32_e32 v49, 7, v1
	v_lshrrev_b32_e32 v2, 3, v3
	s_mov_b32 s44, exec_lo
	v_cmpx_gt_u32_e32 8, v3
; %bb.229:                              ;   in Loop: Header=BB183_12 Depth=1
	v_ffbh_u32_e32 v2, v49
	v_min_u32_e32 v2, 32, v2
	v_subrev_nc_u32_e32 v3, 28, v2
	v_sub_nc_u32_e32 v2, 29, v2
	v_lshlrev_b64 v[3:4], v3, v[49:50]
	v_and_b32_e32 v49, 7, v3
; %bb.230:                              ;   in Loop: Header=BB183_12 Depth=1
	s_or_b32 exec_lo, exec_lo, s44
	v_lshlrev_b32_e32 v3, 24, v1
	v_lshlrev_b32_e32 v4, 20, v49
	v_lshl_add_u32 v2, v2, 23, 0x3c000000
	v_and_b32_e32 v3, 0x80000000, v3
	v_or3_b32 v49, v4, v3, v2
	v_mov_b32_e32 v114, v50
	v_mov_b32_e32 v113, v49
.LBB183_231:                            ;   in Loop: Header=BB183_12 Depth=1
	s_or_b32 exec_lo, exec_lo, s43
.LBB183_232:                            ;   in Loop: Header=BB183_12 Depth=1
	s_or_b32 exec_lo, exec_lo, s42
.LBB183_233:                            ;   in Loop: Header=BB183_12 Depth=1
	s_or_b32 exec_lo, exec_lo, s41
	v_cmp_ne_u16_sdwa s2, v1, v50 src0_sel:BYTE_1 src1_sel:DWORD
	s_and_saveexec_b32 s41, s2
	s_cbranch_execz .LBB183_241
; %bb.234:                              ;   in Loop: Header=BB183_12 Depth=1
	v_mov_b32_e32 v13, v50
	v_mov_b32_e32 v116, v14
	v_cmp_ne_u16_sdwa s2, v1, v20 src0_sel:BYTE_1 src1_sel:DWORD
	v_mov_b32_e32 v115, v13
	s_and_saveexec_b32 s42, s2
	s_cbranch_execz .LBB183_240
; %bb.235:                              ;   in Loop: Header=BB183_12 Depth=1
	v_mov_b32_e32 v2, 0xffff
	v_mov_b32_e32 v65, v50
	;; [unrolled: 1-line block ×3, first 2 shown]
	s_mov_b32 s43, exec_lo
	v_and_b32_sdwa v2, v2, v1 dst_sel:DWORD dst_unused:UNUSED_PAD src0_sel:DWORD src1_sel:BYTE_1
	v_mov_b32_e32 v115, v65
	v_and_b32_e32 v3, 0x7f, v2
	v_cmpx_ne_u32_e32 0x7f, v3
	s_cbranch_execz .LBB183_239
; %bb.236:                              ;   in Loop: Header=BB183_12 Depth=1
	v_and_b32_e32 v49, 7, v2
	v_lshrrev_b32_e32 v2, 3, v3
	s_mov_b32 s44, exec_lo
	v_cmpx_gt_u32_e32 8, v3
; %bb.237:                              ;   in Loop: Header=BB183_12 Depth=1
	v_ffbh_u32_e32 v2, v49
	v_min_u32_e32 v2, 32, v2
	v_subrev_nc_u32_e32 v3, 28, v2
	v_sub_nc_u32_e32 v2, 29, v2
	v_lshlrev_b64 v[3:4], v3, v[49:50]
	v_and_b32_e32 v49, 7, v3
; %bb.238:                              ;   in Loop: Header=BB183_12 Depth=1
	s_or_b32 exec_lo, exec_lo, s44
	v_lshlrev_b32_e32 v1, 16, v1
	v_lshlrev_b32_e32 v3, 20, v49
	v_lshl_add_u32 v2, v2, 23, 0x3c000000
	v_mov_b32_e32 v115, v50
	v_and_b32_e32 v1, 0x80000000, v1
	v_or3_b32 v116, v3, v1, v2
.LBB183_239:                            ;   in Loop: Header=BB183_12 Depth=1
	s_or_b32 exec_lo, exec_lo, s43
.LBB183_240:                            ;   in Loop: Header=BB183_12 Depth=1
	s_or_b32 exec_lo, exec_lo, s42
.LBB183_241:                            ;   in Loop: Header=BB183_12 Depth=1
	s_or_b32 exec_lo, exec_lo, s41
	global_load_ushort v2, v[67:68], off offset:776
	v_mov_b32_e32 v119, 0
	v_mov_b32_e32 v117, 0
	;; [unrolled: 1-line block ×4, first 2 shown]
	s_waitcnt vmcnt(0)
	v_and_b32_e32 v1, 0xffff, v2
	v_cmp_ne_u16_sdwa s2, v2, v50 src0_sel:BYTE_0 src1_sel:DWORD
	s_and_saveexec_b32 s41, s2
	s_cbranch_execz .LBB183_249
; %bb.242:                              ;   in Loop: Header=BB183_12 Depth=1
	v_bfrev_b32_e32 v117, 1
	v_mov_b32_e32 v118, 0
	v_cmp_ne_u16_sdwa s2, v1, v20 src0_sel:BYTE_0 src1_sel:DWORD
	s_and_saveexec_b32 s42, s2
	s_cbranch_execz .LBB183_248
; %bb.243:                              ;   in Loop: Header=BB183_12 Depth=1
	v_mov_b32_e32 v117, 0x7f800001
	v_and_b32_e32 v3, 0x7f, v1
	v_mov_b32_e32 v118, 0
	s_mov_b32 s43, exec_lo
	v_cmpx_ne_u32_e32 0x7f, v3
	s_cbranch_execz .LBB183_247
; %bb.244:                              ;   in Loop: Header=BB183_12 Depth=1
	v_and_b32_e32 v49, 7, v1
	v_lshrrev_b32_e32 v2, 3, v3
	s_mov_b32 s44, exec_lo
	v_cmpx_gt_u32_e32 8, v3
; %bb.245:                              ;   in Loop: Header=BB183_12 Depth=1
	v_ffbh_u32_e32 v2, v49
	v_min_u32_e32 v2, 32, v2
	v_subrev_nc_u32_e32 v3, 28, v2
	v_sub_nc_u32_e32 v2, 29, v2
	v_lshlrev_b64 v[3:4], v3, v[49:50]
	v_and_b32_e32 v49, 7, v3
; %bb.246:                              ;   in Loop: Header=BB183_12 Depth=1
	s_or_b32 exec_lo, exec_lo, s44
	v_lshlrev_b32_e32 v3, 24, v1
	v_lshlrev_b32_e32 v4, 20, v49
	v_lshl_add_u32 v2, v2, 23, 0x3c000000
	v_and_b32_e32 v3, 0x80000000, v3
	v_or3_b32 v49, v4, v3, v2
	v_mov_b32_e32 v118, v50
	v_mov_b32_e32 v117, v49
.LBB183_247:                            ;   in Loop: Header=BB183_12 Depth=1
	s_or_b32 exec_lo, exec_lo, s43
.LBB183_248:                            ;   in Loop: Header=BB183_12 Depth=1
	s_or_b32 exec_lo, exec_lo, s42
.LBB183_249:                            ;   in Loop: Header=BB183_12 Depth=1
	s_or_b32 exec_lo, exec_lo, s41
	v_cmp_ne_u16_sdwa s2, v1, v50 src0_sel:BYTE_1 src1_sel:DWORD
	s_and_saveexec_b32 s41, s2
	s_cbranch_execz .LBB183_257
; %bb.250:                              ;   in Loop: Header=BB183_12 Depth=1
	v_mov_b32_e32 v13, v50
	v_mov_b32_e32 v120, v14
	v_cmp_ne_u16_sdwa s2, v1, v20 src0_sel:BYTE_1 src1_sel:DWORD
	v_mov_b32_e32 v119, v13
	s_and_saveexec_b32 s42, s2
	s_cbranch_execz .LBB183_256
; %bb.251:                              ;   in Loop: Header=BB183_12 Depth=1
	v_mov_b32_e32 v2, 0xffff
	v_mov_b32_e32 v65, v50
	v_mov_b32_e32 v120, v66
	s_mov_b32 s43, exec_lo
	v_and_b32_sdwa v2, v2, v1 dst_sel:DWORD dst_unused:UNUSED_PAD src0_sel:DWORD src1_sel:BYTE_1
	v_mov_b32_e32 v119, v65
	v_and_b32_e32 v3, 0x7f, v2
	v_cmpx_ne_u32_e32 0x7f, v3
	s_cbranch_execz .LBB183_255
; %bb.252:                              ;   in Loop: Header=BB183_12 Depth=1
	v_and_b32_e32 v49, 7, v2
	v_lshrrev_b32_e32 v2, 3, v3
	s_mov_b32 s44, exec_lo
	v_cmpx_gt_u32_e32 8, v3
; %bb.253:                              ;   in Loop: Header=BB183_12 Depth=1
	v_ffbh_u32_e32 v2, v49
	v_min_u32_e32 v2, 32, v2
	v_subrev_nc_u32_e32 v3, 28, v2
	v_sub_nc_u32_e32 v2, 29, v2
	v_lshlrev_b64 v[3:4], v3, v[49:50]
	v_and_b32_e32 v49, 7, v3
; %bb.254:                              ;   in Loop: Header=BB183_12 Depth=1
	s_or_b32 exec_lo, exec_lo, s44
	v_lshlrev_b32_e32 v1, 16, v1
	v_lshlrev_b32_e32 v3, 20, v49
	v_lshl_add_u32 v2, v2, 23, 0x3c000000
	v_mov_b32_e32 v119, v50
	v_and_b32_e32 v1, 0x80000000, v1
	v_or3_b32 v120, v3, v1, v2
.LBB183_255:                            ;   in Loop: Header=BB183_12 Depth=1
	s_or_b32 exec_lo, exec_lo, s43
.LBB183_256:                            ;   in Loop: Header=BB183_12 Depth=1
	s_or_b32 exec_lo, exec_lo, s42
.LBB183_257:                            ;   in Loop: Header=BB183_12 Depth=1
	s_or_b32 exec_lo, exec_lo, s41
	global_load_ushort v2, v[67:68], off offset:780
	v_mov_b32_e32 v123, 0
	v_mov_b32_e32 v121, 0
	;; [unrolled: 1-line block ×4, first 2 shown]
	s_waitcnt vmcnt(0)
	v_and_b32_e32 v1, 0xffff, v2
	v_cmp_ne_u16_sdwa s2, v2, v50 src0_sel:BYTE_0 src1_sel:DWORD
	s_and_saveexec_b32 s41, s2
	s_cbranch_execz .LBB183_265
; %bb.258:                              ;   in Loop: Header=BB183_12 Depth=1
	v_bfrev_b32_e32 v121, 1
	v_mov_b32_e32 v122, 0
	v_cmp_ne_u16_sdwa s2, v1, v20 src0_sel:BYTE_0 src1_sel:DWORD
	s_and_saveexec_b32 s42, s2
	s_cbranch_execz .LBB183_264
; %bb.259:                              ;   in Loop: Header=BB183_12 Depth=1
	v_mov_b32_e32 v121, 0x7f800001
	v_and_b32_e32 v3, 0x7f, v1
	v_mov_b32_e32 v122, 0
	s_mov_b32 s43, exec_lo
	v_cmpx_ne_u32_e32 0x7f, v3
	s_cbranch_execz .LBB183_263
; %bb.260:                              ;   in Loop: Header=BB183_12 Depth=1
	v_and_b32_e32 v49, 7, v1
	v_lshrrev_b32_e32 v2, 3, v3
	s_mov_b32 s44, exec_lo
	v_cmpx_gt_u32_e32 8, v3
; %bb.261:                              ;   in Loop: Header=BB183_12 Depth=1
	v_ffbh_u32_e32 v2, v49
	v_min_u32_e32 v2, 32, v2
	v_subrev_nc_u32_e32 v3, 28, v2
	v_sub_nc_u32_e32 v2, 29, v2
	v_lshlrev_b64 v[3:4], v3, v[49:50]
	v_and_b32_e32 v49, 7, v3
; %bb.262:                              ;   in Loop: Header=BB183_12 Depth=1
	s_or_b32 exec_lo, exec_lo, s44
	v_lshlrev_b32_e32 v3, 24, v1
	v_lshlrev_b32_e32 v4, 20, v49
	v_lshl_add_u32 v2, v2, 23, 0x3c000000
	v_and_b32_e32 v3, 0x80000000, v3
	v_or3_b32 v49, v4, v3, v2
	v_mov_b32_e32 v122, v50
	v_mov_b32_e32 v121, v49
.LBB183_263:                            ;   in Loop: Header=BB183_12 Depth=1
	s_or_b32 exec_lo, exec_lo, s43
.LBB183_264:                            ;   in Loop: Header=BB183_12 Depth=1
	s_or_b32 exec_lo, exec_lo, s42
.LBB183_265:                            ;   in Loop: Header=BB183_12 Depth=1
	s_or_b32 exec_lo, exec_lo, s41
	v_cmp_ne_u16_sdwa s2, v1, v50 src0_sel:BYTE_1 src1_sel:DWORD
	s_and_saveexec_b32 s41, s2
	s_cbranch_execz .LBB183_273
; %bb.266:                              ;   in Loop: Header=BB183_12 Depth=1
	v_mov_b32_e32 v13, v50
	v_mov_b32_e32 v124, v14
	v_cmp_ne_u16_sdwa s2, v1, v20 src0_sel:BYTE_1 src1_sel:DWORD
	v_mov_b32_e32 v123, v13
	s_and_saveexec_b32 s42, s2
	s_cbranch_execz .LBB183_272
; %bb.267:                              ;   in Loop: Header=BB183_12 Depth=1
	v_mov_b32_e32 v2, 0xffff
	v_mov_b32_e32 v65, v50
	;; [unrolled: 1-line block ×3, first 2 shown]
	s_mov_b32 s43, exec_lo
	v_and_b32_sdwa v2, v2, v1 dst_sel:DWORD dst_unused:UNUSED_PAD src0_sel:DWORD src1_sel:BYTE_1
	v_mov_b32_e32 v123, v65
	v_and_b32_e32 v3, 0x7f, v2
	v_cmpx_ne_u32_e32 0x7f, v3
	s_cbranch_execz .LBB183_271
; %bb.268:                              ;   in Loop: Header=BB183_12 Depth=1
	v_and_b32_e32 v49, 7, v2
	v_lshrrev_b32_e32 v2, 3, v3
	s_mov_b32 s44, exec_lo
	v_cmpx_gt_u32_e32 8, v3
; %bb.269:                              ;   in Loop: Header=BB183_12 Depth=1
	v_ffbh_u32_e32 v2, v49
	v_min_u32_e32 v2, 32, v2
	v_subrev_nc_u32_e32 v3, 28, v2
	v_sub_nc_u32_e32 v2, 29, v2
	v_lshlrev_b64 v[3:4], v3, v[49:50]
	v_and_b32_e32 v49, 7, v3
; %bb.270:                              ;   in Loop: Header=BB183_12 Depth=1
	s_or_b32 exec_lo, exec_lo, s44
	v_lshlrev_b32_e32 v1, 16, v1
	v_lshlrev_b32_e32 v3, 20, v49
	v_lshl_add_u32 v2, v2, 23, 0x3c000000
	v_mov_b32_e32 v123, v50
	v_and_b32_e32 v1, 0x80000000, v1
	v_or3_b32 v124, v3, v1, v2
.LBB183_271:                            ;   in Loop: Header=BB183_12 Depth=1
	s_or_b32 exec_lo, exec_lo, s43
.LBB183_272:                            ;   in Loop: Header=BB183_12 Depth=1
	s_or_b32 exec_lo, exec_lo, s42
.LBB183_273:                            ;   in Loop: Header=BB183_12 Depth=1
	s_or_b32 exec_lo, exec_lo, s41
	global_load_ushort v2, v[67:68], off offset:1024
	v_mov_b32_e32 v57, 0
	v_mov_b32_e32 v125, 0
	;; [unrolled: 1-line block ×4, first 2 shown]
	s_waitcnt vmcnt(0)
	v_and_b32_e32 v1, 0xffff, v2
	v_cmp_ne_u16_sdwa s2, v2, v50 src0_sel:BYTE_0 src1_sel:DWORD
	s_and_saveexec_b32 s41, s2
	s_cbranch_execz .LBB183_281
; %bb.274:                              ;   in Loop: Header=BB183_12 Depth=1
	v_bfrev_b32_e32 v125, 1
	v_mov_b32_e32 v126, 0
	v_cmp_ne_u16_sdwa s2, v1, v20 src0_sel:BYTE_0 src1_sel:DWORD
	s_and_saveexec_b32 s42, s2
	s_cbranch_execz .LBB183_280
; %bb.275:                              ;   in Loop: Header=BB183_12 Depth=1
	v_mov_b32_e32 v125, 0x7f800001
	v_and_b32_e32 v3, 0x7f, v1
	v_mov_b32_e32 v126, 0
	s_mov_b32 s43, exec_lo
	v_cmpx_ne_u32_e32 0x7f, v3
	s_cbranch_execz .LBB183_279
; %bb.276:                              ;   in Loop: Header=BB183_12 Depth=1
	v_and_b32_e32 v49, 7, v1
	v_lshrrev_b32_e32 v2, 3, v3
	s_mov_b32 s44, exec_lo
	v_cmpx_gt_u32_e32 8, v3
; %bb.277:                              ;   in Loop: Header=BB183_12 Depth=1
	v_ffbh_u32_e32 v2, v49
	v_min_u32_e32 v2, 32, v2
	v_subrev_nc_u32_e32 v3, 28, v2
	v_sub_nc_u32_e32 v2, 29, v2
	v_lshlrev_b64 v[3:4], v3, v[49:50]
	v_and_b32_e32 v49, 7, v3
; %bb.278:                              ;   in Loop: Header=BB183_12 Depth=1
	s_or_b32 exec_lo, exec_lo, s44
	v_lshlrev_b32_e32 v3, 24, v1
	v_lshlrev_b32_e32 v4, 20, v49
	v_lshl_add_u32 v2, v2, 23, 0x3c000000
	v_and_b32_e32 v3, 0x80000000, v3
	v_or3_b32 v49, v4, v3, v2
	v_mov_b32_e32 v126, v50
	v_mov_b32_e32 v125, v49
.LBB183_279:                            ;   in Loop: Header=BB183_12 Depth=1
	s_or_b32 exec_lo, exec_lo, s43
.LBB183_280:                            ;   in Loop: Header=BB183_12 Depth=1
	s_or_b32 exec_lo, exec_lo, s42
.LBB183_281:                            ;   in Loop: Header=BB183_12 Depth=1
	s_or_b32 exec_lo, exec_lo, s41
	v_cmp_ne_u16_sdwa s2, v1, v50 src0_sel:BYTE_1 src1_sel:DWORD
	s_and_saveexec_b32 s41, s2
	s_cbranch_execz .LBB183_289
; %bb.282:                              ;   in Loop: Header=BB183_12 Depth=1
	v_mov_b32_e32 v13, v50
	v_mov_b32_e32 v58, v14
	v_cmp_ne_u16_sdwa s2, v1, v20 src0_sel:BYTE_1 src1_sel:DWORD
	v_mov_b32_e32 v57, v13
	s_and_saveexec_b32 s42, s2
	s_cbranch_execz .LBB183_288
; %bb.283:                              ;   in Loop: Header=BB183_12 Depth=1
	v_mov_b32_e32 v2, 0xffff
	v_mov_b32_e32 v65, v50
	s_mov_b32 s43, exec_lo
	v_and_b32_sdwa v2, v2, v1 dst_sel:DWORD dst_unused:UNUSED_PAD src0_sel:DWORD src1_sel:BYTE_1
	v_mov_b32_e32 v57, v65
	v_mov_b32_e32 v58, v66
	v_and_b32_e32 v3, 0x7f, v2
	v_cmpx_ne_u32_e32 0x7f, v3
	s_cbranch_execz .LBB183_287
; %bb.284:                              ;   in Loop: Header=BB183_12 Depth=1
	v_and_b32_e32 v49, 7, v2
	v_lshrrev_b32_e32 v2, 3, v3
	s_mov_b32 s44, exec_lo
	v_cmpx_gt_u32_e32 8, v3
; %bb.285:                              ;   in Loop: Header=BB183_12 Depth=1
	v_ffbh_u32_e32 v2, v49
	v_min_u32_e32 v2, 32, v2
	v_subrev_nc_u32_e32 v3, 28, v2
	v_sub_nc_u32_e32 v2, 29, v2
	v_lshlrev_b64 v[3:4], v3, v[49:50]
	v_and_b32_e32 v49, 7, v3
; %bb.286:                              ;   in Loop: Header=BB183_12 Depth=1
	s_or_b32 exec_lo, exec_lo, s44
	v_lshlrev_b32_e32 v1, 16, v1
	v_lshlrev_b32_e32 v3, 20, v49
	v_lshl_add_u32 v2, v2, 23, 0x3c000000
	v_mov_b32_e32 v57, v50
	v_and_b32_e32 v1, 0x80000000, v1
	v_or3_b32 v58, v3, v1, v2
.LBB183_287:                            ;   in Loop: Header=BB183_12 Depth=1
	s_or_b32 exec_lo, exec_lo, s43
.LBB183_288:                            ;   in Loop: Header=BB183_12 Depth=1
	s_or_b32 exec_lo, exec_lo, s42
.LBB183_289:                            ;   in Loop: Header=BB183_12 Depth=1
	s_or_b32 exec_lo, exec_lo, s41
	global_load_ushort v2, v[67:68], off offset:1028
	v_mov_b32_e32 v63, 0
	v_mov_b32_e32 v61, 0
	;; [unrolled: 1-line block ×4, first 2 shown]
	s_waitcnt vmcnt(0)
	v_and_b32_e32 v1, 0xffff, v2
	v_cmp_ne_u16_sdwa s2, v2, v50 src0_sel:BYTE_0 src1_sel:DWORD
	s_and_saveexec_b32 s41, s2
	s_cbranch_execz .LBB183_297
; %bb.290:                              ;   in Loop: Header=BB183_12 Depth=1
	v_bfrev_b32_e32 v61, 1
	v_mov_b32_e32 v62, 0
	v_cmp_ne_u16_sdwa s2, v1, v20 src0_sel:BYTE_0 src1_sel:DWORD
	s_and_saveexec_b32 s42, s2
	s_cbranch_execz .LBB183_296
; %bb.291:                              ;   in Loop: Header=BB183_12 Depth=1
	v_mov_b32_e32 v61, 0x7f800001
	v_and_b32_e32 v3, 0x7f, v1
	v_mov_b32_e32 v62, 0
	s_mov_b32 s43, exec_lo
	v_cmpx_ne_u32_e32 0x7f, v3
	s_cbranch_execz .LBB183_295
; %bb.292:                              ;   in Loop: Header=BB183_12 Depth=1
	v_and_b32_e32 v49, 7, v1
	v_lshrrev_b32_e32 v2, 3, v3
	s_mov_b32 s44, exec_lo
	v_cmpx_gt_u32_e32 8, v3
; %bb.293:                              ;   in Loop: Header=BB183_12 Depth=1
	v_ffbh_u32_e32 v2, v49
	v_min_u32_e32 v2, 32, v2
	v_subrev_nc_u32_e32 v3, 28, v2
	v_sub_nc_u32_e32 v2, 29, v2
	v_lshlrev_b64 v[3:4], v3, v[49:50]
	v_and_b32_e32 v49, 7, v3
; %bb.294:                              ;   in Loop: Header=BB183_12 Depth=1
	s_or_b32 exec_lo, exec_lo, s44
	v_lshlrev_b32_e32 v3, 24, v1
	v_lshlrev_b32_e32 v4, 20, v49
	v_lshl_add_u32 v2, v2, 23, 0x3c000000
	v_and_b32_e32 v3, 0x80000000, v3
	v_or3_b32 v49, v4, v3, v2
	v_mov_b32_e32 v62, v50
	v_mov_b32_e32 v61, v49
.LBB183_295:                            ;   in Loop: Header=BB183_12 Depth=1
	s_or_b32 exec_lo, exec_lo, s43
.LBB183_296:                            ;   in Loop: Header=BB183_12 Depth=1
	s_or_b32 exec_lo, exec_lo, s42
.LBB183_297:                            ;   in Loop: Header=BB183_12 Depth=1
	s_or_b32 exec_lo, exec_lo, s41
	v_cmp_ne_u16_sdwa s2, v1, v50 src0_sel:BYTE_1 src1_sel:DWORD
	s_and_saveexec_b32 s41, s2
	s_cbranch_execz .LBB183_305
; %bb.298:                              ;   in Loop: Header=BB183_12 Depth=1
	v_mov_b32_e32 v13, v50
	v_mov_b32_e32 v64, v14
	v_cmp_ne_u16_sdwa s2, v1, v20 src0_sel:BYTE_1 src1_sel:DWORD
	v_mov_b32_e32 v63, v13
	s_and_saveexec_b32 s42, s2
	s_cbranch_execz .LBB183_304
; %bb.299:                              ;   in Loop: Header=BB183_12 Depth=1
	v_mov_b32_e32 v2, 0xffff
	v_mov_b32_e32 v65, v50
	s_mov_b32 s43, exec_lo
	v_and_b32_sdwa v2, v2, v1 dst_sel:DWORD dst_unused:UNUSED_PAD src0_sel:DWORD src1_sel:BYTE_1
	v_mov_b32_e32 v63, v65
	v_mov_b32_e32 v64, v66
	v_and_b32_e32 v3, 0x7f, v2
	v_cmpx_ne_u32_e32 0x7f, v3
	s_cbranch_execz .LBB183_303
; %bb.300:                              ;   in Loop: Header=BB183_12 Depth=1
	v_and_b32_e32 v49, 7, v2
	v_lshrrev_b32_e32 v2, 3, v3
	s_mov_b32 s44, exec_lo
	v_cmpx_gt_u32_e32 8, v3
; %bb.301:                              ;   in Loop: Header=BB183_12 Depth=1
	v_ffbh_u32_e32 v2, v49
	v_min_u32_e32 v2, 32, v2
	v_subrev_nc_u32_e32 v3, 28, v2
	v_sub_nc_u32_e32 v2, 29, v2
	v_lshlrev_b64 v[3:4], v3, v[49:50]
	v_and_b32_e32 v49, 7, v3
; %bb.302:                              ;   in Loop: Header=BB183_12 Depth=1
	s_or_b32 exec_lo, exec_lo, s44
	v_lshlrev_b32_e32 v1, 16, v1
	v_lshlrev_b32_e32 v3, 20, v49
	v_lshl_add_u32 v2, v2, 23, 0x3c000000
	v_mov_b32_e32 v63, v50
	v_and_b32_e32 v1, 0x80000000, v1
	v_or3_b32 v64, v3, v1, v2
.LBB183_303:                            ;   in Loop: Header=BB183_12 Depth=1
	s_or_b32 exec_lo, exec_lo, s43
.LBB183_304:                            ;   in Loop: Header=BB183_12 Depth=1
	s_or_b32 exec_lo, exec_lo, s42
.LBB183_305:                            ;   in Loop: Header=BB183_12 Depth=1
	s_or_b32 exec_lo, exec_lo, s41
	global_load_ushort v2, v[67:68], off offset:1032
	v_mov_b32_e32 v53, 0
	v_mov_b32_e32 v59, 0
	;; [unrolled: 1-line block ×4, first 2 shown]
	s_waitcnt vmcnt(0)
	v_and_b32_e32 v1, 0xffff, v2
	v_cmp_ne_u16_sdwa s2, v2, v50 src0_sel:BYTE_0 src1_sel:DWORD
	s_and_saveexec_b32 s41, s2
	s_cbranch_execz .LBB183_313
; %bb.306:                              ;   in Loop: Header=BB183_12 Depth=1
	v_bfrev_b32_e32 v59, 1
	v_mov_b32_e32 v60, 0
	v_cmp_ne_u16_sdwa s2, v1, v20 src0_sel:BYTE_0 src1_sel:DWORD
	s_and_saveexec_b32 s42, s2
	s_cbranch_execz .LBB183_312
; %bb.307:                              ;   in Loop: Header=BB183_12 Depth=1
	v_mov_b32_e32 v59, 0x7f800001
	v_and_b32_e32 v3, 0x7f, v1
	v_mov_b32_e32 v60, 0
	s_mov_b32 s43, exec_lo
	v_cmpx_ne_u32_e32 0x7f, v3
	s_cbranch_execz .LBB183_311
; %bb.308:                              ;   in Loop: Header=BB183_12 Depth=1
	v_and_b32_e32 v49, 7, v1
	v_lshrrev_b32_e32 v2, 3, v3
	s_mov_b32 s44, exec_lo
	v_cmpx_gt_u32_e32 8, v3
; %bb.309:                              ;   in Loop: Header=BB183_12 Depth=1
	v_ffbh_u32_e32 v2, v49
	v_min_u32_e32 v2, 32, v2
	v_subrev_nc_u32_e32 v3, 28, v2
	v_sub_nc_u32_e32 v2, 29, v2
	v_lshlrev_b64 v[3:4], v3, v[49:50]
	v_and_b32_e32 v49, 7, v3
; %bb.310:                              ;   in Loop: Header=BB183_12 Depth=1
	s_or_b32 exec_lo, exec_lo, s44
	v_lshlrev_b32_e32 v3, 24, v1
	v_lshlrev_b32_e32 v4, 20, v49
	v_lshl_add_u32 v2, v2, 23, 0x3c000000
	v_and_b32_e32 v3, 0x80000000, v3
	v_or3_b32 v49, v4, v3, v2
	v_mov_b32_e32 v60, v50
	v_mov_b32_e32 v59, v49
.LBB183_311:                            ;   in Loop: Header=BB183_12 Depth=1
	s_or_b32 exec_lo, exec_lo, s43
.LBB183_312:                            ;   in Loop: Header=BB183_12 Depth=1
	s_or_b32 exec_lo, exec_lo, s42
.LBB183_313:                            ;   in Loop: Header=BB183_12 Depth=1
	s_or_b32 exec_lo, exec_lo, s41
	v_cmp_ne_u16_sdwa s2, v1, v50 src0_sel:BYTE_1 src1_sel:DWORD
	s_and_saveexec_b32 s41, s2
	s_cbranch_execz .LBB183_321
; %bb.314:                              ;   in Loop: Header=BB183_12 Depth=1
	v_mov_b32_e32 v13, v50
	v_mov_b32_e32 v54, v14
	v_cmp_ne_u16_sdwa s2, v1, v20 src0_sel:BYTE_1 src1_sel:DWORD
	v_mov_b32_e32 v53, v13
	s_and_saveexec_b32 s42, s2
	s_cbranch_execz .LBB183_320
; %bb.315:                              ;   in Loop: Header=BB183_12 Depth=1
	v_mov_b32_e32 v2, 0xffff
	v_mov_b32_e32 v65, v50
	s_mov_b32 s43, exec_lo
	v_and_b32_sdwa v2, v2, v1 dst_sel:DWORD dst_unused:UNUSED_PAD src0_sel:DWORD src1_sel:BYTE_1
	v_mov_b32_e32 v53, v65
	v_mov_b32_e32 v54, v66
	v_and_b32_e32 v3, 0x7f, v2
	v_cmpx_ne_u32_e32 0x7f, v3
	s_cbranch_execz .LBB183_319
; %bb.316:                              ;   in Loop: Header=BB183_12 Depth=1
	v_and_b32_e32 v49, 7, v2
	v_lshrrev_b32_e32 v2, 3, v3
	s_mov_b32 s44, exec_lo
	v_cmpx_gt_u32_e32 8, v3
; %bb.317:                              ;   in Loop: Header=BB183_12 Depth=1
	v_ffbh_u32_e32 v2, v49
	v_min_u32_e32 v2, 32, v2
	v_subrev_nc_u32_e32 v3, 28, v2
	v_sub_nc_u32_e32 v2, 29, v2
	v_lshlrev_b64 v[3:4], v3, v[49:50]
	v_and_b32_e32 v49, 7, v3
; %bb.318:                              ;   in Loop: Header=BB183_12 Depth=1
	s_or_b32 exec_lo, exec_lo, s44
	v_lshlrev_b32_e32 v1, 16, v1
	v_lshlrev_b32_e32 v3, 20, v49
	v_lshl_add_u32 v2, v2, 23, 0x3c000000
	v_mov_b32_e32 v53, v50
	v_and_b32_e32 v1, 0x80000000, v1
	v_or3_b32 v54, v3, v1, v2
.LBB183_319:                            ;   in Loop: Header=BB183_12 Depth=1
	s_or_b32 exec_lo, exec_lo, s43
.LBB183_320:                            ;   in Loop: Header=BB183_12 Depth=1
	s_or_b32 exec_lo, exec_lo, s42
.LBB183_321:                            ;   in Loop: Header=BB183_12 Depth=1
	s_or_b32 exec_lo, exec_lo, s41
	global_load_ushort v1, v[67:68], off offset:1036
	v_mov_b32_e32 v3, 0
	v_mov_b32_e32 v4, 0
	s_waitcnt vmcnt(0)
	v_and_b32_e32 v5, 0xffff, v1
	v_cmp_ne_u16_sdwa s2, v1, v50 src0_sel:BYTE_0 src1_sel:DWORD
	v_mov_b32_e32 v1, 0
	v_mov_b32_e32 v2, 0
	s_and_saveexec_b32 s41, s2
	s_cbranch_execz .LBB183_329
; %bb.322:                              ;   in Loop: Header=BB183_12 Depth=1
	v_bfrev_b32_e32 v1, 1
	v_mov_b32_e32 v2, 0
	v_cmp_ne_u16_sdwa s2, v5, v20 src0_sel:BYTE_0 src1_sel:DWORD
	s_and_saveexec_b32 s42, s2
	s_cbranch_execz .LBB183_328
; %bb.323:                              ;   in Loop: Header=BB183_12 Depth=1
	v_mov_b32_e32 v1, 0x7f800001
	v_and_b32_e32 v6, 0x7f, v5
	v_mov_b32_e32 v2, 0
	s_mov_b32 s43, exec_lo
	v_cmpx_ne_u32_e32 0x7f, v6
	s_cbranch_execz .LBB183_327
; %bb.324:                              ;   in Loop: Header=BB183_12 Depth=1
	v_and_b32_e32 v49, 7, v5
	v_lshrrev_b32_e32 v1, 3, v6
	s_mov_b32 s44, exec_lo
	v_cmpx_gt_u32_e32 8, v6
; %bb.325:                              ;   in Loop: Header=BB183_12 Depth=1
	v_ffbh_u32_e32 v1, v49
	v_min_u32_e32 v1, 32, v1
	v_subrev_nc_u32_e32 v2, 28, v1
	v_sub_nc_u32_e32 v1, 29, v1
	v_lshlrev_b64 v[6:7], v2, v[49:50]
	v_and_b32_e32 v49, 7, v6
; %bb.326:                              ;   in Loop: Header=BB183_12 Depth=1
	s_or_b32 exec_lo, exec_lo, s44
	v_lshlrev_b32_e32 v2, 24, v5
	v_lshlrev_b32_e32 v6, 20, v49
	v_lshl_add_u32 v1, v1, 23, 0x3c000000
	v_and_b32_e32 v2, 0x80000000, v2
	v_or3_b32 v49, v6, v2, v1
	v_mov_b32_e32 v1, v49
	v_mov_b32_e32 v2, v50
.LBB183_327:                            ;   in Loop: Header=BB183_12 Depth=1
	s_or_b32 exec_lo, exec_lo, s43
.LBB183_328:                            ;   in Loop: Header=BB183_12 Depth=1
	s_or_b32 exec_lo, exec_lo, s42
.LBB183_329:                            ;   in Loop: Header=BB183_12 Depth=1
	s_or_b32 exec_lo, exec_lo, s41
	v_cmp_ne_u16_sdwa s2, v5, v50 src0_sel:BYTE_1 src1_sel:DWORD
	s_and_saveexec_b32 s41, s2
	s_cbranch_execz .LBB183_337
; %bb.330:                              ;   in Loop: Header=BB183_12 Depth=1
	v_mov_b32_e32 v13, v50
	v_cmp_ne_u16_sdwa s2, v5, v20 src0_sel:BYTE_1 src1_sel:DWORD
	v_mov_b32_e32 v3, v13
	v_mov_b32_e32 v4, v14
	s_and_saveexec_b32 s42, s2
	s_cbranch_execz .LBB183_336
; %bb.331:                              ;   in Loop: Header=BB183_12 Depth=1
	v_mov_b32_e32 v3, 0xffff
	v_mov_b32_e32 v65, v50
	s_mov_b32 s43, exec_lo
	v_and_b32_sdwa v7, v3, v5 dst_sel:DWORD dst_unused:UNUSED_PAD src0_sel:DWORD src1_sel:BYTE_1
	v_mov_b32_e32 v3, v65
	v_mov_b32_e32 v4, v66
	v_and_b32_e32 v6, 0x7f, v7
	v_cmpx_ne_u32_e32 0x7f, v6
	s_cbranch_execz .LBB183_335
; %bb.332:                              ;   in Loop: Header=BB183_12 Depth=1
	v_and_b32_e32 v49, 7, v7
	v_lshrrev_b32_e32 v3, 3, v6
	s_mov_b32 s44, exec_lo
	v_cmpx_gt_u32_e32 8, v6
; %bb.333:                              ;   in Loop: Header=BB183_12 Depth=1
	v_ffbh_u32_e32 v3, v49
	v_min_u32_e32 v3, 32, v3
	v_subrev_nc_u32_e32 v4, 28, v3
	v_sub_nc_u32_e32 v3, 29, v3
	v_lshlrev_b64 v[6:7], v4, v[49:50]
	v_and_b32_e32 v49, 7, v6
; %bb.334:                              ;   in Loop: Header=BB183_12 Depth=1
	s_or_b32 exec_lo, exec_lo, s44
	v_lshlrev_b32_e32 v4, 16, v5
	v_lshlrev_b32_e32 v5, 20, v49
	v_lshl_add_u32 v3, v3, 23, 0x3c000000
	v_and_b32_e32 v4, 0x80000000, v4
	v_or3_b32 v4, v5, v4, v3
	v_mov_b32_e32 v3, v50
.LBB183_335:                            ;   in Loop: Header=BB183_12 Depth=1
	s_or_b32 exec_lo, exec_lo, s43
.LBB183_336:                            ;   in Loop: Header=BB183_12 Depth=1
	s_or_b32 exec_lo, exec_lo, s42
.LBB183_337:                            ;   in Loop: Header=BB183_12 Depth=1
	s_or_b32 exec_lo, exec_lo, s41
	global_load_ushort v5, v[67:68], off offset:1280
	v_mov_b32_e32 v7, 0
	v_mov_b32_e32 v8, 0
	s_waitcnt vmcnt(0)
	v_and_b32_e32 v9, 0xffff, v5
	v_cmp_ne_u16_sdwa s2, v5, v50 src0_sel:BYTE_0 src1_sel:DWORD
	v_mov_b32_e32 v5, 0
	v_mov_b32_e32 v6, 0
	s_and_saveexec_b32 s41, s2
	s_cbranch_execz .LBB183_345
; %bb.338:                              ;   in Loop: Header=BB183_12 Depth=1
	v_bfrev_b32_e32 v5, 1
	v_mov_b32_e32 v6, 0
	v_cmp_ne_u16_sdwa s2, v9, v20 src0_sel:BYTE_0 src1_sel:DWORD
	s_and_saveexec_b32 s42, s2
	s_cbranch_execz .LBB183_344
; %bb.339:                              ;   in Loop: Header=BB183_12 Depth=1
	v_mov_b32_e32 v5, 0x7f800001
	v_and_b32_e32 v10, 0x7f, v9
	v_mov_b32_e32 v6, 0
	s_mov_b32 s43, exec_lo
	v_cmpx_ne_u32_e32 0x7f, v10
	s_cbranch_execz .LBB183_343
; %bb.340:                              ;   in Loop: Header=BB183_12 Depth=1
	v_and_b32_e32 v49, 7, v9
	v_lshrrev_b32_e32 v5, 3, v10
	s_mov_b32 s44, exec_lo
	v_cmpx_gt_u32_e32 8, v10
; %bb.341:                              ;   in Loop: Header=BB183_12 Depth=1
	v_ffbh_u32_e32 v5, v49
	v_min_u32_e32 v5, 32, v5
	v_subrev_nc_u32_e32 v6, 28, v5
	v_sub_nc_u32_e32 v5, 29, v5
	v_lshlrev_b64 v[10:11], v6, v[49:50]
	v_and_b32_e32 v49, 7, v10
; %bb.342:                              ;   in Loop: Header=BB183_12 Depth=1
	s_or_b32 exec_lo, exec_lo, s44
	v_lshlrev_b32_e32 v6, 24, v9
	v_lshlrev_b32_e32 v10, 20, v49
	v_lshl_add_u32 v5, v5, 23, 0x3c000000
	v_and_b32_e32 v6, 0x80000000, v6
	v_or3_b32 v49, v10, v6, v5
	v_mov_b32_e32 v5, v49
	v_mov_b32_e32 v6, v50
.LBB183_343:                            ;   in Loop: Header=BB183_12 Depth=1
	s_or_b32 exec_lo, exec_lo, s43
.LBB183_344:                            ;   in Loop: Header=BB183_12 Depth=1
	s_or_b32 exec_lo, exec_lo, s42
.LBB183_345:                            ;   in Loop: Header=BB183_12 Depth=1
	s_or_b32 exec_lo, exec_lo, s41
	v_cmp_ne_u16_sdwa s2, v9, v50 src0_sel:BYTE_1 src1_sel:DWORD
	s_and_saveexec_b32 s41, s2
	s_cbranch_execz .LBB183_353
; %bb.346:                              ;   in Loop: Header=BB183_12 Depth=1
	v_mov_b32_e32 v13, v50
	v_cmp_ne_u16_sdwa s2, v9, v20 src0_sel:BYTE_1 src1_sel:DWORD
	v_mov_b32_e32 v7, v13
	v_mov_b32_e32 v8, v14
	s_and_saveexec_b32 s42, s2
	s_cbranch_execz .LBB183_352
; %bb.347:                              ;   in Loop: Header=BB183_12 Depth=1
	v_mov_b32_e32 v7, 0xffff
	v_mov_b32_e32 v65, v50
	s_mov_b32 s43, exec_lo
	v_and_b32_sdwa v11, v7, v9 dst_sel:DWORD dst_unused:UNUSED_PAD src0_sel:DWORD src1_sel:BYTE_1
	v_mov_b32_e32 v7, v65
	v_mov_b32_e32 v8, v66
	v_and_b32_e32 v10, 0x7f, v11
	v_cmpx_ne_u32_e32 0x7f, v10
	s_cbranch_execz .LBB183_351
; %bb.348:                              ;   in Loop: Header=BB183_12 Depth=1
	v_and_b32_e32 v49, 7, v11
	v_lshrrev_b32_e32 v7, 3, v10
	s_mov_b32 s44, exec_lo
	v_cmpx_gt_u32_e32 8, v10
; %bb.349:                              ;   in Loop: Header=BB183_12 Depth=1
	v_ffbh_u32_e32 v7, v49
	v_min_u32_e32 v7, 32, v7
	v_subrev_nc_u32_e32 v8, 28, v7
	v_sub_nc_u32_e32 v7, 29, v7
	v_lshlrev_b64 v[10:11], v8, v[49:50]
	v_and_b32_e32 v49, 7, v10
; %bb.350:                              ;   in Loop: Header=BB183_12 Depth=1
	s_or_b32 exec_lo, exec_lo, s44
	v_lshlrev_b32_e32 v8, 16, v9
	v_lshlrev_b32_e32 v9, 20, v49
	v_lshl_add_u32 v7, v7, 23, 0x3c000000
	v_and_b32_e32 v8, 0x80000000, v8
	v_or3_b32 v8, v9, v8, v7
	v_mov_b32_e32 v7, v50
.LBB183_351:                            ;   in Loop: Header=BB183_12 Depth=1
	s_or_b32 exec_lo, exec_lo, s43
.LBB183_352:                            ;   in Loop: Header=BB183_12 Depth=1
	s_or_b32 exec_lo, exec_lo, s42
.LBB183_353:                            ;   in Loop: Header=BB183_12 Depth=1
	s_or_b32 exec_lo, exec_lo, s41
	global_load_ushort v10, v[67:68], off offset:1284
	v_mov_b32_e32 v71, 0
	v_mov_b32_e32 v11, 0
	;; [unrolled: 1-line block ×4, first 2 shown]
	s_waitcnt vmcnt(0)
	v_and_b32_e32 v9, 0xffff, v10
	v_cmp_ne_u16_sdwa s2, v10, v50 src0_sel:BYTE_0 src1_sel:DWORD
	s_and_saveexec_b32 s41, s2
	s_cbranch_execz .LBB183_361
; %bb.354:                              ;   in Loop: Header=BB183_12 Depth=1
	v_bfrev_b32_e32 v11, 1
	v_mov_b32_e32 v12, 0
	v_cmp_ne_u16_sdwa s2, v9, v20 src0_sel:BYTE_0 src1_sel:DWORD
	s_and_saveexec_b32 s42, s2
	s_cbranch_execz .LBB183_360
; %bb.355:                              ;   in Loop: Header=BB183_12 Depth=1
	v_mov_b32_e32 v11, 0x7f800001
	v_and_b32_e32 v13, 0x7f, v9
	v_mov_b32_e32 v12, 0
	s_mov_b32 s43, exec_lo
	v_cmpx_ne_u32_e32 0x7f, v13
	s_cbranch_execz .LBB183_359
; %bb.356:                              ;   in Loop: Header=BB183_12 Depth=1
	v_and_b32_e32 v49, 7, v9
	v_lshrrev_b32_e32 v10, 3, v13
	s_mov_b32 s44, exec_lo
	v_cmpx_gt_u32_e32 8, v13
; %bb.357:                              ;   in Loop: Header=BB183_12 Depth=1
	v_ffbh_u32_e32 v10, v49
	v_min_u32_e32 v10, 32, v10
	v_subrev_nc_u32_e32 v11, 28, v10
	v_sub_nc_u32_e32 v10, 29, v10
	v_lshlrev_b64 v[11:12], v11, v[49:50]
	v_and_b32_e32 v49, 7, v11
; %bb.358:                              ;   in Loop: Header=BB183_12 Depth=1
	s_or_b32 exec_lo, exec_lo, s44
	v_lshlrev_b32_e32 v11, 24, v9
	v_lshlrev_b32_e32 v12, 20, v49
	v_lshl_add_u32 v10, v10, 23, 0x3c000000
	v_and_b32_e32 v11, 0x80000000, v11
	v_or3_b32 v49, v12, v11, v10
	v_mov_b32_e32 v11, v49
	v_mov_b32_e32 v12, v50
.LBB183_359:                            ;   in Loop: Header=BB183_12 Depth=1
	s_or_b32 exec_lo, exec_lo, s43
.LBB183_360:                            ;   in Loop: Header=BB183_12 Depth=1
	s_or_b32 exec_lo, exec_lo, s42
.LBB183_361:                            ;   in Loop: Header=BB183_12 Depth=1
	s_or_b32 exec_lo, exec_lo, s41
	v_cmp_ne_u16_sdwa s2, v9, v50 src0_sel:BYTE_1 src1_sel:DWORD
	s_and_saveexec_b32 s41, s2
	s_cbranch_execz .LBB183_369
; %bb.362:                              ;   in Loop: Header=BB183_12 Depth=1
	v_mov_b32_e32 v13, v50
	v_mov_b32_e32 v72, v14
	v_cmp_ne_u16_sdwa s2, v9, v20 src0_sel:BYTE_1 src1_sel:DWORD
	v_mov_b32_e32 v71, v13
	s_and_saveexec_b32 s42, s2
	s_cbranch_execz .LBB183_368
; %bb.363:                              ;   in Loop: Header=BB183_12 Depth=1
	v_mov_b32_e32 v10, 0xffff
	v_mov_b32_e32 v65, v50
	;; [unrolled: 1-line block ×3, first 2 shown]
	s_mov_b32 s43, exec_lo
	v_and_b32_sdwa v10, v10, v9 dst_sel:DWORD dst_unused:UNUSED_PAD src0_sel:DWORD src1_sel:BYTE_1
	v_mov_b32_e32 v71, v65
	v_and_b32_e32 v13, 0x7f, v10
	v_cmpx_ne_u32_e32 0x7f, v13
	s_cbranch_execz .LBB183_367
; %bb.364:                              ;   in Loop: Header=BB183_12 Depth=1
	v_and_b32_e32 v49, 7, v10
	v_lshrrev_b32_e32 v10, 3, v13
	s_mov_b32 s44, exec_lo
	v_cmpx_gt_u32_e32 8, v13
; %bb.365:                              ;   in Loop: Header=BB183_12 Depth=1
	v_ffbh_u32_e32 v10, v49
	v_min_u32_e32 v10, 32, v10
	v_subrev_nc_u32_e32 v13, 28, v10
	v_sub_nc_u32_e32 v10, 29, v10
	v_lshlrev_b64 v[15:16], v13, v[49:50]
	v_and_b32_e32 v49, 7, v15
; %bb.366:                              ;   in Loop: Header=BB183_12 Depth=1
	s_or_b32 exec_lo, exec_lo, s44
	v_lshlrev_b32_e32 v9, 16, v9
	v_lshlrev_b32_e32 v13, 20, v49
	v_lshl_add_u32 v10, v10, 23, 0x3c000000
	v_mov_b32_e32 v71, v50
	v_and_b32_e32 v9, 0x80000000, v9
	v_or3_b32 v72, v13, v9, v10
.LBB183_367:                            ;   in Loop: Header=BB183_12 Depth=1
	s_or_b32 exec_lo, exec_lo, s43
.LBB183_368:                            ;   in Loop: Header=BB183_12 Depth=1
	s_or_b32 exec_lo, exec_lo, s42
.LBB183_369:                            ;   in Loop: Header=BB183_12 Depth=1
	s_or_b32 exec_lo, exec_lo, s41
	global_load_ushort v9, v[67:68], off offset:1288
	v_mov_b32_e32 v15, 0
	v_mov_b32_e32 v16, 0
	s_waitcnt vmcnt(0)
	v_and_b32_e32 v51, 0xffff, v9
	v_cmp_ne_u16_sdwa s2, v9, v50 src0_sel:BYTE_0 src1_sel:DWORD
	v_mov_b32_e32 v9, 0
	v_mov_b32_e32 v10, 0
	s_and_saveexec_b32 s41, s2
	s_cbranch_execz .LBB183_377
; %bb.370:                              ;   in Loop: Header=BB183_12 Depth=1
	v_bfrev_b32_e32 v15, 1
	v_mov_b32_e32 v16, 0
	v_cmp_ne_u16_sdwa s2, v51, v20 src0_sel:BYTE_0 src1_sel:DWORD
	s_and_saveexec_b32 s42, s2
	s_cbranch_execz .LBB183_376
; %bb.371:                              ;   in Loop: Header=BB183_12 Depth=1
	v_mov_b32_e32 v15, 0x7f800001
	v_and_b32_e32 v21, 0x7f, v51
	v_mov_b32_e32 v16, 0
	s_mov_b32 s43, exec_lo
	v_cmpx_ne_u32_e32 0x7f, v21
	s_cbranch_execz .LBB183_375
; %bb.372:                              ;   in Loop: Header=BB183_12 Depth=1
	v_and_b32_e32 v49, 7, v51
	v_lshrrev_b32_e32 v13, 3, v21
	s_mov_b32 s44, exec_lo
	v_cmpx_gt_u32_e32 8, v21
; %bb.373:                              ;   in Loop: Header=BB183_12 Depth=1
	v_ffbh_u32_e32 v13, v49
	v_min_u32_e32 v13, 32, v13
	v_subrev_nc_u32_e32 v15, 28, v13
	v_sub_nc_u32_e32 v13, 29, v13
	v_lshlrev_b64 v[15:16], v15, v[49:50]
	v_and_b32_e32 v49, 7, v15
; %bb.374:                              ;   in Loop: Header=BB183_12 Depth=1
	s_or_b32 exec_lo, exec_lo, s44
	v_lshlrev_b32_e32 v15, 24, v51
	v_lshlrev_b32_e32 v16, 20, v49
	v_lshl_add_u32 v13, v13, 23, 0x3c000000
	v_and_b32_e32 v15, 0x80000000, v15
	v_or3_b32 v49, v16, v15, v13
	v_mov_b32_e32 v15, v49
	v_mov_b32_e32 v16, v50
.LBB183_375:                            ;   in Loop: Header=BB183_12 Depth=1
	s_or_b32 exec_lo, exec_lo, s43
.LBB183_376:                            ;   in Loop: Header=BB183_12 Depth=1
	s_or_b32 exec_lo, exec_lo, s42
.LBB183_377:                            ;   in Loop: Header=BB183_12 Depth=1
	s_or_b32 exec_lo, exec_lo, s41
	v_cmp_ne_u16_sdwa s2, v51, v50 src0_sel:BYTE_1 src1_sel:DWORD
	s_and_saveexec_b32 s41, s2
	s_cbranch_execz .LBB183_385
; %bb.378:                              ;   in Loop: Header=BB183_12 Depth=1
	v_mov_b32_e32 v13, v50
	v_cmp_ne_u16_sdwa s2, v51, v20 src0_sel:BYTE_1 src1_sel:DWORD
	v_mov_b32_e32 v9, v13
	v_mov_b32_e32 v10, v14
	s_and_saveexec_b32 s42, s2
	s_cbranch_execz .LBB183_384
; %bb.379:                              ;   in Loop: Header=BB183_12 Depth=1
	v_mov_b32_e32 v9, 0xffff
	v_mov_b32_e32 v65, v50
	s_mov_b32 s43, exec_lo
	v_and_b32_sdwa v21, v9, v51 dst_sel:DWORD dst_unused:UNUSED_PAD src0_sel:DWORD src1_sel:BYTE_1
	v_mov_b32_e32 v9, v65
	v_mov_b32_e32 v10, v66
	v_and_b32_e32 v13, 0x7f, v21
	v_cmpx_ne_u32_e32 0x7f, v13
	s_cbranch_execz .LBB183_383
; %bb.380:                              ;   in Loop: Header=BB183_12 Depth=1
	v_and_b32_e32 v49, 7, v21
	v_lshrrev_b32_e32 v9, 3, v13
	s_mov_b32 s44, exec_lo
	v_cmpx_gt_u32_e32 8, v13
	s_cbranch_execz .LBB183_382
; %bb.381:                              ;   in Loop: Header=BB183_12 Depth=1
	v_ffbh_u32_e32 v9, v49
	v_mov_b32_e32 v23, v24
	v_mov_b32_e32 v24, v25
	v_min_u32_e32 v9, 32, v9
	v_mov_b32_e32 v25, v24
	v_mov_b32_e32 v24, v23
	v_subrev_nc_u32_e32 v10, 28, v9
	v_sub_nc_u32_e32 v9, 29, v9
	v_lshlrev_b64 v[21:22], v10, v[49:50]
	v_and_b32_e32 v49, 7, v21
.LBB183_382:                            ;   in Loop: Header=BB183_12 Depth=1
	s_or_b32 exec_lo, exec_lo, s44
	v_lshlrev_b32_e32 v10, 16, v51
	v_lshlrev_b32_e32 v13, 20, v49
	v_lshl_add_u32 v9, v9, 23, 0x3c000000
	v_and_b32_e32 v10, 0x80000000, v10
	v_or3_b32 v10, v13, v10, v9
	v_mov_b32_e32 v9, v50
.LBB183_383:                            ;   in Loop: Header=BB183_12 Depth=1
	s_or_b32 exec_lo, exec_lo, s43
.LBB183_384:                            ;   in Loop: Header=BB183_12 Depth=1
	s_or_b32 exec_lo, exec_lo, s42
.LBB183_385:                            ;   in Loop: Header=BB183_12 Depth=1
	s_or_b32 exec_lo, exec_lo, s41
	global_load_ushort v13, v[67:68], off offset:1292
	v_mov_b32_e32 v51, 0
	v_mov_b32_e32 v67, 0
	;; [unrolled: 1-line block ×4, first 2 shown]
	s_waitcnt vmcnt(0)
	v_and_b32_e32 v21, 0xffff, v13
	v_cmp_ne_u16_sdwa s2, v13, v50 src0_sel:BYTE_0 src1_sel:DWORD
	s_and_saveexec_b32 s41, s2
	s_cbranch_execz .LBB183_393
; %bb.386:                              ;   in Loop: Header=BB183_12 Depth=1
	v_bfrev_b32_e32 v67, 1
	v_mov_b32_e32 v68, 0
	v_cmp_ne_u16_sdwa s2, v21, v20 src0_sel:BYTE_0 src1_sel:DWORD
	s_and_saveexec_b32 s42, s2
	s_cbranch_execz .LBB183_392
; %bb.387:                              ;   in Loop: Header=BB183_12 Depth=1
	v_mov_b32_e32 v67, 0x7f800001
	v_and_b32_e32 v22, 0x7f, v21
	v_mov_b32_e32 v68, 0
	s_mov_b32 s43, exec_lo
	v_cmpx_ne_u32_e32 0x7f, v22
	s_cbranch_execz .LBB183_391
; %bb.388:                              ;   in Loop: Header=BB183_12 Depth=1
	v_and_b32_e32 v49, 7, v21
	v_lshrrev_b32_e32 v13, 3, v22
	s_mov_b32 s44, exec_lo
	v_cmpx_gt_u32_e32 8, v22
; %bb.389:                              ;   in Loop: Header=BB183_12 Depth=1
	v_ffbh_u32_e32 v13, v49
	v_min_u32_e32 v13, 32, v13
	v_subrev_nc_u32_e32 v22, 28, v13
	v_sub_nc_u32_e32 v13, 29, v13
	v_lshlrev_b64 v[22:23], v22, v[49:50]
	v_and_b32_e32 v49, 7, v22
; %bb.390:                              ;   in Loop: Header=BB183_12 Depth=1
	s_or_b32 exec_lo, exec_lo, s44
	v_lshlrev_b32_e32 v22, 24, v21
	v_lshlrev_b32_e32 v23, 20, v49
	v_lshl_add_u32 v13, v13, 23, 0x3c000000
	v_and_b32_e32 v22, 0x80000000, v22
	v_or3_b32 v49, v23, v22, v13
	v_mov_b32_e32 v68, v50
	v_mov_b32_e32 v67, v49
.LBB183_391:                            ;   in Loop: Header=BB183_12 Depth=1
	s_or_b32 exec_lo, exec_lo, s43
.LBB183_392:                            ;   in Loop: Header=BB183_12 Depth=1
	s_or_b32 exec_lo, exec_lo, s42
.LBB183_393:                            ;   in Loop: Header=BB183_12 Depth=1
	s_or_b32 exec_lo, exec_lo, s41
	v_cmp_ne_u16_sdwa s2, v21, v50 src0_sel:BYTE_1 src1_sel:DWORD
	s_and_saveexec_b32 s41, s2
	s_cbranch_execz .LBB183_401
; %bb.394:                              ;   in Loop: Header=BB183_12 Depth=1
	v_mov_b32_e32 v13, v50
	v_mov_b32_e32 v52, v14
	v_cmp_ne_u16_sdwa s2, v21, v20 src0_sel:BYTE_1 src1_sel:DWORD
	v_mov_b32_e32 v51, v13
	s_and_saveexec_b32 s42, s2
	s_cbranch_execz .LBB183_400
; %bb.395:                              ;   in Loop: Header=BB183_12 Depth=1
	v_mov_b32_e32 v13, 0xffff
	v_mov_b32_e32 v65, v50
	s_mov_b32 s43, exec_lo
	v_and_b32_sdwa v13, v13, v21 dst_sel:DWORD dst_unused:UNUSED_PAD src0_sel:DWORD src1_sel:BYTE_1
	v_mov_b32_e32 v51, v65
	v_mov_b32_e32 v52, v66
	v_and_b32_e32 v22, 0x7f, v13
	v_cmpx_ne_u32_e32 0x7f, v22
	s_cbranch_execz .LBB183_399
; %bb.396:                              ;   in Loop: Header=BB183_12 Depth=1
	v_and_b32_e32 v49, 7, v13
	v_lshrrev_b32_e32 v13, 3, v22
	s_mov_b32 s44, exec_lo
	v_cmpx_gt_u32_e32 8, v22
; %bb.397:                              ;   in Loop: Header=BB183_12 Depth=1
	v_ffbh_u32_e32 v13, v49
	v_min_u32_e32 v13, 32, v13
	v_subrev_nc_u32_e32 v22, 28, v13
	v_sub_nc_u32_e32 v13, 29, v13
	v_lshlrev_b64 v[22:23], v22, v[49:50]
	v_and_b32_e32 v49, 7, v22
; %bb.398:                              ;   in Loop: Header=BB183_12 Depth=1
	s_or_b32 exec_lo, exec_lo, s44
	v_lshlrev_b32_e32 v21, 16, v21
	v_lshlrev_b32_e32 v22, 20, v49
	v_lshl_add_u32 v13, v13, 23, 0x3c000000
	v_mov_b32_e32 v51, v50
	v_and_b32_e32 v21, 0x80000000, v21
	v_or3_b32 v52, v22, v21, v13
.LBB183_399:                            ;   in Loop: Header=BB183_12 Depth=1
	s_or_b32 exec_lo, exec_lo, s43
.LBB183_400:                            ;   in Loop: Header=BB183_12 Depth=1
	s_or_b32 exec_lo, exec_lo, s42
.LBB183_401:                            ;   in Loop: Header=BB183_12 Depth=1
	s_or_b32 exec_lo, exec_lo, s41
	v_or_b32_e32 v21, v123, v121
	v_or_b32_e32 v10, v10, v16
	;; [unrolled: 1-line block ×5, first 2 shown]
	s_waitcnt lgkmcnt(0)
	v_mul_f32_e32 v49, s40, v21
	v_or_b32_e32 v21, v120, v118
	v_or_b32_e32 v22, v119, v117
	v_mul_f32_e32 v9, s40, v10
	v_mul_f32_e32 v10, s40, v13
	v_or_b32_e32 v12, v72, v12
	v_or_b32_e32 v13, v71, v11
	v_mul_f32_e32 v1, s40, v2
	;; [unrolled: 4-line block ×5, first 2 shown]
	v_mul_f32_e32 v58, s40, v22
	v_or_b32_e32 v21, v112, v110
	v_or_b32_e32 v22, v111, v109
	;; [unrolled: 1-line block ×5, first 2 shown]
	v_mul_f32_e32 v59, s40, v21
	v_mul_f32_e32 v60, s40, v22
	v_or_b32_e32 v21, v108, v106
	v_or_b32_e32 v22, v107, v105
	v_mul_f32_e32 v5, s40, v6
	v_mul_f32_e32 v6, s40, v7
	v_or_b32_e32 v7, v64, v62
	v_mul_f32_e32 v61, s40, v21
	v_mul_f32_e32 v62, s40, v22
	v_or_b32_e32 v21, v104, v102
	v_or_b32_e32 v22, v103, v101
	;; [unrolled: 1-line block ×3, first 2 shown]
	v_mul_f32_e32 v13, s40, v13
	v_mul_f32_e32 v15, s40, v15
	;; [unrolled: 1-line block ×4, first 2 shown]
	v_or_b32_e32 v21, v100, v98
	v_or_b32_e32 v22, v99, v97
	v_mul_f32_e32 v16, s40, v16
	v_mul_f32_e32 v7, s40, v7
	;; [unrolled: 1-line block ×5, first 2 shown]
	v_or_b32_e32 v21, v96, v94
	v_or_b32_e32 v22, v95, v93
	v_mul_f32_e32 v3, s40, v3
	v_mul_f32_e32 v4, s40, v4
	v_or_b32_e32 v51, v51, v67
	v_mul_f32_e32 v72, s40, v21
	v_mul_f32_e32 v93, s40, v22
	v_or_b32_e32 v21, v92, v90
	v_or_b32_e32 v22, v91, v89
	v_mul_f32_e32 v51, s40, v51
	v_mul_f32_e32 v89, s40, v21
	;; [unrolled: 1-line block ×3, first 2 shown]
	v_or_b32_e32 v21, v88, v86
	v_or_b32_e32 v22, v87, v85
	v_mul_f32_e32 v85, s40, v21
	v_mul_f32_e32 v86, s40, v22
	v_or_b32_e32 v21, v84, v82
	v_or_b32_e32 v22, v83, v81
	v_mul_f32_e32 v81, s40, v21
	v_mul_f32_e32 v82, s40, v22
	;; [unrolled: 4-line block ×4, first 2 shown]
	s_clause 0x1
	buffer_load_dword v21, off, s[48:51], 0 offset:16
	buffer_load_dword v22, off, s[48:51], 0 offset:20
	s_waitcnt vmcnt(1)
	v_or_b32_e32 v17, v17, v21
	s_waitcnt vmcnt(0)
	v_or_b32_e32 v18, v18, v22
	s_clause 0x3
	buffer_load_dword v21, off, s[48:51], 0
	buffer_load_dword v22, off, s[48:51], 0 offset:4
	buffer_load_dword v79, off, s[48:51], 0 offset:8
	;; [unrolled: 1-line block ×3, first 2 shown]
	v_mul_f32_e32 v76, s40, v17
	v_mul_f32_e32 v75, s40, v18
	s_waitcnt vmcnt(1)
	v_or_b32_e32 v18, v79, v21
	s_waitcnt vmcnt(0)
	v_or_b32_e32 v17, v80, v22
	v_mul_f32_e32 v22, s40, v18
	v_or_b32_e32 v18, v24, v26
	v_mul_f32_e32 v21, s40, v17
	;; [unrolled: 2-line block ×3, first 2 shown]
	v_mul_f32_e32 v24, s40, v18
	v_mbcnt_lo_u32_b32 v18, -1, 0
	v_mul_f32_e32 v23, s40, v17
	v_fmac_f32_e32 v47, v45, v24
	v_mul_f32_e32 v45, v48, v21
	v_xor_b32_e32 v17, 1, v18
	v_fmac_f32_e32 v47, v41, v76
	v_fmac_f32_e32 v45, v46, v23
	s_clause 0x3
	buffer_load_dword v21, off, s[48:51], 0 offset:124
	buffer_load_dword v22, off, s[48:51], 0 offset:128
	;; [unrolled: 1-line block ×4, first 2 shown]
	v_cmp_gt_i32_e64 s2, 32, v17
	v_fmac_f32_e32 v47, v43, v74
	v_fmac_f32_e32 v45, v42, v75
	v_cndmask_b32_e64 v17, v18, v17, s2
	v_or_b32_e32 v18, v52, v68
	v_fmac_f32_e32 v47, v37, v78
	v_fmac_f32_e32 v45, v44, v73
	v_lshlrev_b32_e32 v17, 2, v17
	v_mul_f32_e32 v18, s40, v18
	v_fmac_f32_e32 v47, v39, v82
	v_fmac_f32_e32 v45, v38, v77
	;; [unrolled: 1-line block ×11, first 2 shown]
	s_waitcnt vmcnt(3)
	v_fmac_f32_e32 v47, v21, v64
	s_waitcnt vmcnt(2)
	v_fmac_f32_e32 v45, v22, v63
	s_waitcnt vmcnt(1)
	v_fmac_f32_e32 v47, v23, v62
	s_waitcnt vmcnt(0)
	v_fmac_f32_e32 v45, v24, v61
	s_clause 0x3
	buffer_load_dword v21, off, s[48:51], 0 offset:108
	buffer_load_dword v22, off, s[48:51], 0 offset:112
	buffer_load_dword v23, off, s[48:51], 0 offset:116
	buffer_load_dword v24, off, s[48:51], 0 offset:120
	s_waitcnt vmcnt(3)
	v_fmac_f32_e32 v47, v21, v60
	s_waitcnt vmcnt(2)
	v_fmac_f32_e32 v45, v22, v59
	s_waitcnt vmcnt(1)
	v_fmac_f32_e32 v47, v23, v58
	s_waitcnt vmcnt(0)
	v_fmac_f32_e32 v45, v24, v57
	s_clause 0x3
	buffer_load_dword v21, off, s[48:51], 0 offset:92
	buffer_load_dword v22, off, s[48:51], 0 offset:96
	buffer_load_dword v23, off, s[48:51], 0 offset:100
	buffer_load_dword v24, off, s[48:51], 0 offset:104
	s_waitcnt vmcnt(3)
	v_fmac_f32_e32 v47, v21, v54
	s_waitcnt vmcnt(2)
	v_fmac_f32_e32 v45, v22, v53
	s_waitcnt vmcnt(1)
	v_fmac_f32_e32 v47, v23, v49
	s_waitcnt vmcnt(0)
	v_fmac_f32_e32 v45, v24, v16
	s_clause 0x3
	buffer_load_dword v21, off, s[48:51], 0 offset:76
	buffer_load_dword v22, off, s[48:51], 0 offset:80
	buffer_load_dword v23, off, s[48:51], 0 offset:84
	buffer_load_dword v24, off, s[48:51], 0 offset:88
	s_waitcnt vmcnt(3)
	v_fmac_f32_e32 v47, v21, v15
	s_waitcnt vmcnt(2)
	v_fmac_f32_e32 v45, v22, v13
	s_waitcnt vmcnt(1)
	v_fmac_f32_e32 v47, v23, v8
	s_waitcnt vmcnt(0)
	v_fmac_f32_e32 v45, v24, v7
	s_clause 0x3
	buffer_load_dword v21, off, s[48:51], 0 offset:60
	buffer_load_dword v22, off, s[48:51], 0 offset:64
	buffer_load_dword v23, off, s[48:51], 0 offset:68
	buffer_load_dword v24, off, s[48:51], 0 offset:72
	s_waitcnt vmcnt(3)
	v_fmac_f32_e32 v47, v21, v4
	s_waitcnt vmcnt(2)
	v_fmac_f32_e32 v45, v22, v3
	s_waitcnt vmcnt(1)
	v_fmac_f32_e32 v47, v23, v2
	s_waitcnt vmcnt(0)
	v_fmac_f32_e32 v45, v24, v1
	s_clause 0x3
	buffer_load_dword v1, off, s[48:51], 0 offset:44
	buffer_load_dword v2, off, s[48:51], 0 offset:48
	buffer_load_dword v3, off, s[48:51], 0 offset:52
	buffer_load_dword v4, off, s[48:51], 0 offset:56
	s_waitcnt vmcnt(3)
	v_fmac_f32_e32 v47, v1, v6
	s_waitcnt vmcnt(2)
	v_fmac_f32_e32 v45, v2, v5
	s_waitcnt vmcnt(1)
	v_fmac_f32_e32 v47, v3, v12
	s_waitcnt vmcnt(0)
	v_fmac_f32_e32 v45, v4, v11
	s_clause 0x3
	buffer_load_dword v1, off, s[48:51], 0 offset:28
	buffer_load_dword v2, off, s[48:51], 0 offset:32
	buffer_load_dword v3, off, s[48:51], 0 offset:36
	buffer_load_dword v4, off, s[48:51], 0 offset:40
	s_waitcnt vmcnt(3)
	v_fmac_f32_e32 v47, v1, v10
	s_waitcnt vmcnt(2)
	v_fmac_f32_e32 v45, v2, v9
	s_waitcnt vmcnt(1)
	v_fmac_f32_e32 v47, v3, v51
	s_waitcnt vmcnt(0)
	v_fmac_f32_e32 v45, v4, v18
	v_add_f32_e32 v1, v47, v45
	ds_bpermute_b32 v2, v17, v1
	s_and_saveexec_b32 s40, vcc_lo
	s_cbranch_execz .LBB183_10
; %bb.402:                              ;   in Loop: Header=BB183_12 Depth=1
	buffer_load_dword v3, off, s[48:51], 0 offset:160 ; 4-byte Folded Reload
	s_waitcnt lgkmcnt(0)
	v_add_f32_e32 v1, v1, v2
	buffer_load_dword v4, off, s[48:51], 0 offset:140 ; 4-byte Folded Reload
	s_waitcnt vmcnt(1)
	v_add_nc_u32_e32 v3, v3, v0
	v_cvt_f32_i32_e32 v3, v3
	v_mul_f32_e32 v3, s36, v3
	v_cndmask_b32_e64 v2, 0, v3, s1
	v_fmac_f32_e32 v2, s35, v1
	buffer_load_dword v1, off, s[48:51], 0 offset:156 ; 4-byte Folded Reload
	s_waitcnt vmcnt(1)
	v_max_f32_e32 v3, v4, v4
	v_max_f32_e32 v3, v3, v2
	s_waitcnt vmcnt(0)
	v_add_nc_u32_e32 v1, v1, v0
	v_cmp_gt_i32_e64 s2, s33, v1
	v_cndmask_b32_e64 v1, 0, v2, s2
	v_cndmask_b32_e64 v4, v4, v3, s2
	ds_write_b32 v69, v1
	buffer_store_dword v4, off, s[48:51], 0 offset:140 ; 4-byte Folded Spill
	s_branch .LBB183_10
.LBB183_403:
	s_or_b32 exec_lo, exec_lo, s38
	s_clause 0x2
	buffer_load_dword v12, off, s[48:51], 0 offset:168
	buffer_load_dword v13, off, s[48:51], 0 offset:172
	;; [unrolled: 1-line block ×3, first 2 shown]
.LBB183_404:
	s_or_b32 exec_lo, exec_lo, s37
	v_mbcnt_lo_u32_b32 v6, -1, 0
	s_waitcnt vmcnt(0)
	v_max_f32_e32 v4, v3, v3
	v_xor_b32_e32 v0, 16, v6
	s_waitcnt lgkmcnt(0)
	v_xor_b32_e32 v2, 8, v6
	v_xor_b32_e32 v5, 2, v6
	v_cmp_gt_i32_e32 vcc_lo, 32, v0
	v_cndmask_b32_e32 v0, v6, v0, vcc_lo
	v_cmp_gt_i32_e32 vcc_lo, 32, v2
	v_lshlrev_b32_e32 v1, 2, v0
	v_cndmask_b32_e32 v2, v6, v2, vcc_lo
	ds_bpermute_b32 v0, v1, v3
	v_lshlrev_b32_e32 v3, 2, v2
	s_waitcnt lgkmcnt(0)
	v_max_f32_e32 v0, v0, v0
	v_max_f32_e32 v0, v4, v0
	v_xor_b32_e32 v4, 4, v6
	ds_bpermute_b32 v2, v3, v0
	v_cmp_gt_i32_e32 vcc_lo, 32, v4
	v_cndmask_b32_e32 v4, v6, v4, vcc_lo
	v_cmp_gt_i32_e32 vcc_lo, 32, v5
	v_lshlrev_b32_e32 v4, 2, v4
	v_cndmask_b32_e32 v5, v6, v5, vcc_lo
	v_lshlrev_b32_e32 v25, 2, v5
	buffer_load_dword v5, off, s[48:51], 0 offset:164 ; 4-byte Folded Reload
	s_waitcnt lgkmcnt(0)
	v_max_f32_e32 v2, v2, v2
	v_max_f32_e32 v0, v0, v2
	ds_bpermute_b32 v2, v4, v0
	s_waitcnt lgkmcnt(0)
	v_max_f32_e32 v2, v2, v2
	v_max_f32_e32 v2, v0, v2
	buffer_load_dword v0, off, s[48:51], 0 offset:152 ; 4-byte Folded Reload
	ds_bpermute_b32 v6, v25, v2
	s_waitcnt vmcnt(1)
	v_lshlrev_b32_e32 v5, 2, v5
	s_waitcnt vmcnt(0)
	v_and_b32_e32 v0, 31, v0
	v_cmp_eq_u32_e32 vcc_lo, 0, v0
	s_and_saveexec_b32 s1, vcc_lo
	s_cbranch_execz .LBB183_406
; %bb.405:
	s_waitcnt lgkmcnt(0)
	v_max_f32_e32 v6, v6, v6
	v_max_f32_e32 v2, v2, v2
	;; [unrolled: 1-line block ×3, first 2 shown]
	ds_write_b32 v5, v2 offset:384
.LBB183_406:
	s_or_b32 exec_lo, exec_lo, s1
	v_cmp_gt_u32_e64 s1, 4, v0
	v_mov_b32_e32 v2, 0xff7fffff
	s_waitcnt lgkmcnt(0)
	v_lshlrev_b32_e32 v6, 2, v0
	s_waitcnt_vscnt null, 0x0
	s_barrier
	buffer_gl0_inv
	s_and_saveexec_b32 s2, s1
; %bb.407:
	ds_read_b32 v2, v6 offset:384
; %bb.408:
	s_or_b32 exec_lo, exec_lo, s2
	s_waitcnt lgkmcnt(0)
	ds_bpermute_b32 v7, v25, v2
	v_mbcnt_lo_u32_b32 v9, -1, 0
	v_max_f32_e32 v2, v2, v2
	v_xor_b32_e32 v8, 1, v9
	v_cmp_gt_i32_e64 s2, 32, v8
	v_cndmask_b32_e64 v8, v9, v8, s2
	s_lshl_b32 s2, s20, 4
	s_min_i32 s4, s2, s33
	s_waitcnt lgkmcnt(0)
	v_max_f32_e32 v7, v7, v7
	v_lshlrev_b32_e32 v26, 2, v8
	v_max_f32_e32 v2, v2, v7
	ds_bpermute_b32 v7, v26, v2
	s_waitcnt lgkmcnt(0)
	v_max_f32_e32 v7, v7, v7
	v_max_f32_e32 v2, v2, v7
	v_mov_b32_e32 v7, 0
	ds_bpermute_b32 v8, v7, v2
	buffer_load_dword v2, off, s[48:51], 0 offset:152 ; 4-byte Folded Reload
	s_waitcnt vmcnt(0)
	v_cmp_gt_i32_e64 s2, s4, v2
	v_lshl_add_u32 v2, v2, 2, 0x1a0
	s_and_saveexec_b32 s5, s2
	s_cbranch_execz .LBB183_412
; %bb.409:
	buffer_load_dword v10, off, s[48:51], 0 offset:152 ; 4-byte Folded Reload
	v_mov_b32_e32 v7, 0
	s_mov_b32 s12, 0
	s_waitcnt vmcnt(0)
	v_lshl_add_u32 v9, v10, 2, 0x1a0
	.p2align	6
.LBB183_410:                            ; =>This Inner Loop Header: Depth=1
	ds_read_b32 v11, v9
	v_add_nc_u32_e32 v10, 0x80, v10
	v_cmp_le_i32_e64 s3, s4, v10
	s_or_b32 s12, s3, s12
	s_waitcnt lgkmcnt(0)
	v_sub_f32_e32 v11, v11, v8
	v_mul_f32_e32 v11, 0x3fb8aa3b, v11
	v_exp_f32_e32 v11, v11
	ds_write_b32 v9, v11
	v_add_f32_e32 v7, v7, v11
	v_add_nc_u32_e32 v9, 0x200, v9
	s_andn2_b32 exec_lo, exec_lo, s12
	s_cbranch_execnz .LBB183_410
; %bb.411:
	s_or_b32 exec_lo, exec_lo, s12
.LBB183_412:
	s_or_b32 exec_lo, exec_lo, s5
	ds_bpermute_b32 v1, v1, v7
	s_waitcnt lgkmcnt(0)
	v_add_f32_e32 v1, v7, v1
	ds_bpermute_b32 v3, v3, v1
	s_waitcnt lgkmcnt(0)
	v_add_f32_e32 v1, v1, v3
	;; [unrolled: 3-line block ×5, first 2 shown]
	s_and_saveexec_b32 s3, vcc_lo
; %bb.413:
	ds_write_b32 v5, v1 offset:400
; %bb.414:
	s_or_b32 exec_lo, exec_lo, s3
	s_waitcnt lgkmcnt(0)
	s_barrier
	buffer_gl0_inv
	s_and_saveexec_b32 s3, s1
; %bb.415:
	ds_read_b32 v1, v6 offset:400
; %bb.416:
	s_or_b32 exec_lo, exec_lo, s3
	s_waitcnt lgkmcnt(0)
	ds_bpermute_b32 v3, v25, v1
	s_waitcnt lgkmcnt(0)
	v_add_f32_e32 v1, v1, v3
	ds_bpermute_b32 v3, v26, v1
	s_waitcnt lgkmcnt(0)
	v_add_f32_e32 v1, v1, v3
	v_mov_b32_e32 v3, 0
	ds_bpermute_b32 v1, v3, v1
	s_and_saveexec_b32 s1, s2
	s_cbranch_execz .LBB183_419
; %bb.417:
	s_waitcnt lgkmcnt(0)
	v_add_f32_e32 v1, 0x358637bd, v1
	s_mov_b32 s2, 0
	v_div_scale_f32 v3, null, v1, v1, 1.0
	v_div_scale_f32 v6, vcc_lo, 1.0, v1, 1.0
	v_rcp_f32_e32 v4, v3
	v_fma_f32 v5, -v3, v4, 1.0
	v_fmac_f32_e32 v4, v5, v4
	v_mul_f32_e32 v5, v6, v4
	v_fma_f32 v7, -v3, v5, v6
	v_fmac_f32_e32 v5, v7, v4
	v_fma_f32 v3, -v3, v5, v6
	v_div_fmas_f32 v3, v3, v4, v5
	v_div_fixup_f32 v1, v3, v1, 1.0
	buffer_load_dword v3, off, s[48:51], 0 offset:152 ; 4-byte Folded Reload
.LBB183_418:                            ; =>This Inner Loop Header: Depth=1
	ds_read_b32 v4, v2
	s_waitcnt vmcnt(0)
	v_add_nc_u32_e32 v3, 0x80, v3
	v_cmp_le_i32_e32 vcc_lo, s4, v3
	s_or_b32 s2, vcc_lo, s2
	s_waitcnt lgkmcnt(0)
	v_mul_f32_e32 v4, v1, v4
	ds_write_b32 v2, v4
	v_add_nc_u32_e32 v2, 0x200, v2
	s_andn2_b32 exec_lo, exec_lo, s2
	s_cbranch_execnz .LBB183_418
.LBB183_419:
	s_or_b32 exec_lo, exec_lo, s1
	s_waitcnt lgkmcnt(0)
	buffer_load_dword v1, off, s[48:51], 0 offset:152 ; 4-byte Folded Reload
	v_mov_b32_e32 v38, 0
	v_mov_b32_e32 v39, 0
	;; [unrolled: 1-line block ×12, first 2 shown]
	s_waitcnt vmcnt(0)
	s_barrier
	buffer_gl0_inv
	v_and_b32_e32 v27, 3, v1
	s_and_saveexec_b32 s1, s0
	s_cbranch_execz .LBB183_833
; %bb.420:
	buffer_load_dword v48, off, s[48:51], 0 offset:164 ; 4-byte Folded Reload
	s_sub_i32 s2, s34, s21
	s_ashr_i32 s0, s18, 31
	s_add_u32 s5, s30, s18
	s_addc_u32 s0, s31, s0
	s_abs_i32 s3, s22
	v_and_b32_e32 v2, 0x7c, v12
	v_cvt_f32_u32_e32 v1, s3
	s_sub_i32 s4, 0, s3
	v_lshlrev_b32_e32 v4, 4, v27
	v_and_b32_e32 v3, 0x7c, v13
	v_add_co_u32 v11, s5, s5, v2
	v_rcp_iflag_f32_e32 v1, v1
	s_lshl_b64 s[12:13], s[28:29], 2
	v_and_b32_e32 v40, 12, v12
	v_add_co_ci_u32_e64 v12, null, s0, 0, s5
	v_mov_b32_e32 v6, 0
	v_mov_b32_e32 v41, 0x80
	v_bfrev_b32_e32 v8, 1
	v_mov_b32_e32 v42, 0xffff
	v_mov_b32_e32 v10, 0x7f800001
	v_mul_f32_e32 v1, 0x4f7ffffe, v1
	v_mov_b32_e32 v43, 0xff
	v_mov_b32_e32 v44, 7
	;; [unrolled: 1-line block ×4, first 2 shown]
	v_cvt_u32_f32_e32 v1, v1
	v_mov_b32_e32 v29, 0
	v_mov_b32_e32 v30, 0
	;; [unrolled: 1-line block ×4, first 2 shown]
	v_mul_lo_u32 v5, s4, v1
	s_add_i32 s4, s20, -1
	s_add_u32 s0, s26, s12
	s_addc_u32 s5, s27, s13
	v_add_co_u32 v13, s0, s0, v3
	v_mov_b32_e32 v33, 0
	v_mov_b32_e32 v34, 0
	v_mul_hi_u32 v2, v1, v5
	v_add_co_ci_u32_e64 v14, null, s5, 0, s0
	v_mov_b32_e32 v35, 0
	v_mov_b32_e32 v36, 0
	;; [unrolled: 1-line block ×5, first 2 shown]
	v_add_nc_u32_e32 v47, v1, v2
	s_mov_b32 s12, s17
	s_mov_b32 s5, 0
	s_waitcnt vmcnt(0)
	v_lshl_or_b32 v4, v48, 6, v4
	v_add_nc_u32_e32 v46, 0x1a0, v4
	s_branch .LBB183_423
.LBB183_421:                            ;   in Loop: Header=BB183_423 Depth=1
	s_or_b32 exec_lo, exec_lo, s0
	v_mul_f32_e32 v16, v1, v94
	v_mul_f32_e32 v17, v1, v92
	;; [unrolled: 1-line block ×5, first 2 shown]
	v_fmac_f32_e32 v16, v2, v93
	v_fmac_f32_e32 v17, v2, v91
	;; [unrolled: 1-line block ×4, first 2 shown]
	v_mul_f32_e32 v21, v1, v76
	v_fmac_f32_e32 v16, v3, v24
	v_fmac_f32_e32 v17, v3, v90
	;; [unrolled: 1-line block ×4, first 2 shown]
	v_mul_f32_e32 v22, v1, v72
	v_fmac_f32_e32 v16, v4, v23
	v_fmac_f32_e32 v17, v4, v89
	;; [unrolled: 1-line block ×5, first 2 shown]
	v_add_f32_e32 v29, v29, v16
	v_add_f32_e32 v30, v30, v17
	;; [unrolled: 1-line block ×4, first 2 shown]
	v_mul_f32_e32 v16, v1, v68
	v_mul_f32_e32 v17, v1, v64
	v_mul_f32_e32 v18, v1, v60
	v_mul_f32_e32 v19, v1, v52
	v_mul_f32_e32 v1, v1, v15
	v_fmac_f32_e32 v21, v2, v75
	v_fmac_f32_e32 v22, v2, v71
	;; [unrolled: 1-line block ×23, first 2 shown]
	v_add_f32_e32 v33, v33, v20
	v_add_f32_e32 v34, v34, v21
	;; [unrolled: 1-line block ×8, first 2 shown]
.LBB183_422:                            ;   in Loop: Header=BB183_423 Depth=1
	s_or_b32 exec_lo, exec_lo, s13
	v_add_nc_u32_e32 v48, 4, v48
	v_add_co_u32 v13, s0, v13, 16
	v_add_co_ci_u32_e64 v14, null, 0, v14, s0
	v_cmp_le_i32_e32 vcc_lo, s20, v48
	v_add_nc_u32_e32 v127, 64, v127
	v_add_nc_u32_e32 v46, 0x100, v46
	s_or_b32 s5, vcc_lo, s5
	s_andn2_b32 exec_lo, exec_lo, s5
	s_cbranch_execz .LBB183_832
.LBB183_423:                            ; =>This Inner Loop Header: Depth=1
	v_mul_hi_u32 v1, v127, s19
	v_mul_lo_u32 v2, v1, s16
	v_add_nc_u32_e32 v3, 1, v1
	v_sub_nc_u32_e32 v2, v127, v2
	v_subrev_nc_u32_e32 v4, s16, v2
	v_cmp_le_u32_e32 vcc_lo, s16, v2
	v_cndmask_b32_e32 v1, v1, v3, vcc_lo
	v_cndmask_b32_e32 v2, v2, v4, vcc_lo
	v_add_nc_u32_e32 v3, 1, v1
	v_cmp_le_u32_e32 vcc_lo, s16, v2
	v_cndmask_b32_e32 v1, v1, v3, vcc_lo
	v_xor_b32_e32 v1, s23, v1
	v_subrev_nc_u32_e32 v1, s23, v1
	v_add_nc_u32_e32 v2, s25, v1
	v_cmp_lt_i32_e64 s0, s2, v1
	v_sub_nc_u32_e32 v3, 0, v2
	v_max_i32_e32 v3, v2, v3
	v_ashrrev_i32_e32 v2, 31, v2
	v_mul_hi_u32 v4, v3, v47
	v_mul_lo_u32 v4, v4, s3
	v_sub_nc_u32_e32 v3, v3, v4
	v_subrev_nc_u32_e32 v4, s3, v3
	v_cmp_le_u32_e32 vcc_lo, s3, v3
	v_cndmask_b32_e32 v3, v3, v4, vcc_lo
	v_subrev_nc_u32_e32 v4, s3, v3
	v_cmp_le_u32_e32 vcc_lo, s3, v3
	v_cndmask_b32_e32 v3, v3, v4, vcc_lo
	v_xor_b32_e32 v3, v3, v2
	v_sub_nc_u32_e32 v2, v3, v2
	v_cmp_eq_u32_e32 vcc_lo, 0, v2
	s_or_b32 s0, vcc_lo, s0
	s_and_saveexec_b32 s13, s0
	s_cbranch_execz .LBB183_422
; %bb.424:                              ;   in Loop: Header=BB183_423 Depth=1
	global_load_dword v1, v[13:14], off
	s_load_dword s17, s[14:15], 0x0
	v_mov_b32_e32 v19, 0
	v_mov_b32_e32 v17, 0
	;; [unrolled: 1-line block ×4, first 2 shown]
	s_waitcnt vmcnt(0)
	v_mad_i64_i32 v[15:16], null, v1, s12, v[11:12]
	ds_read_b128 v[1:4], v46
	global_load_dword v49, v[15:16], off
	s_waitcnt vmcnt(0)
	v_cmp_ne_u16_sdwa s18, v49, v6 src0_sel:BYTE_0 src1_sel:DWORD
	s_and_saveexec_b32 s0, s18
	s_cbranch_execz .LBB183_432
; %bb.425:                              ;   in Loop: Header=BB183_423 Depth=1
	v_bfrev_b32_e32 v17, 1
	v_mov_b32_e32 v18, 0
	v_cmp_ne_u16_sdwa s21, v49, v41 src0_sel:BYTE_0 src1_sel:DWORD
	s_and_saveexec_b32 s18, s21
	s_cbranch_execz .LBB183_431
; %bb.426:                              ;   in Loop: Header=BB183_423 Depth=1
	v_mov_b32_e32 v17, 0x7f800001
	v_and_b32_e32 v9, 0x7f, v49
	v_mov_b32_e32 v18, 0
	s_mov_b32 s21, exec_lo
	v_cmpx_ne_u32_e32 0x7f, v9
	s_cbranch_execz .LBB183_430
; %bb.427:                              ;   in Loop: Header=BB183_423 Depth=1
	v_and_b32_e32 v5, 7, v49
	v_lshrrev_b32_e32 v7, 3, v9
	s_mov_b32 s22, exec_lo
	v_cmpx_gt_u32_e32 8, v9
; %bb.428:                              ;   in Loop: Header=BB183_423 Depth=1
	v_ffbh_u32_e32 v7, v5
	v_min_u32_e32 v7, 32, v7
	v_subrev_nc_u32_e32 v9, 28, v7
	v_sub_nc_u32_e32 v7, 29, v7
	v_lshlrev_b64 v[17:18], v9, v[5:6]
	v_and_b32_e32 v5, 7, v17
; %bb.429:                              ;   in Loop: Header=BB183_423 Depth=1
	s_or_b32 exec_lo, exec_lo, s22
	v_lshlrev_b32_e32 v9, 24, v49
	v_lshlrev_b32_e32 v5, 20, v5
	v_lshl_add_u32 v7, v7, 23, 0x3c000000
	v_and_b32_e32 v9, 0x80000000, v9
	v_or3_b32 v5, v5, v9, v7
	v_mov_b32_e32 v18, v6
	v_mov_b32_e32 v17, v5
.LBB183_430:                            ;   in Loop: Header=BB183_423 Depth=1
	s_or_b32 exec_lo, exec_lo, s21
.LBB183_431:                            ;   in Loop: Header=BB183_423 Depth=1
	s_or_b32 exec_lo, exec_lo, s18
.LBB183_432:                            ;   in Loop: Header=BB183_423 Depth=1
	s_or_b32 exec_lo, exec_lo, s0
	v_cmp_ne_u16_sdwa s18, v49, v6 src0_sel:BYTE_1 src1_sel:DWORD
	s_and_saveexec_b32 s0, s18
	s_cbranch_execz .LBB183_440
; %bb.433:                              ;   in Loop: Header=BB183_423 Depth=1
	v_mov_b32_e32 v7, v6
	v_mov_b32_e32 v20, v8
	v_cmp_ne_u16_sdwa s21, v49, v41 src0_sel:BYTE_1 src1_sel:DWORD
	v_mov_b32_e32 v19, v7
	s_and_saveexec_b32 s18, s21
	s_cbranch_execz .LBB183_439
; %bb.434:                              ;   in Loop: Header=BB183_423 Depth=1
	v_and_b32_sdwa v5, v42, v49 dst_sel:DWORD dst_unused:UNUSED_PAD src0_sel:DWORD src1_sel:BYTE_1
	v_mov_b32_e32 v9, v6
	v_mov_b32_e32 v20, v10
	s_mov_b32 s21, exec_lo
	v_and_b32_e32 v21, 0x7f, v5
	v_mov_b32_e32 v19, v9
	v_cmpx_ne_u32_e32 0x7f, v21
	s_cbranch_execz .LBB183_438
; %bb.435:                              ;   in Loop: Header=BB183_423 Depth=1
	v_and_b32_e32 v5, 7, v5
	v_lshrrev_b32_e32 v7, 3, v21
	s_mov_b32 s22, exec_lo
	v_cmpx_gt_u32_e32 8, v21
; %bb.436:                              ;   in Loop: Header=BB183_423 Depth=1
	v_ffbh_u32_e32 v7, v5
	v_min_u32_e32 v7, 32, v7
	v_subrev_nc_u32_e32 v9, 28, v7
	v_sub_nc_u32_e32 v7, 29, v7
	v_lshlrev_b64 v[19:20], v9, v[5:6]
	v_and_b32_e32 v5, 7, v19
; %bb.437:                              ;   in Loop: Header=BB183_423 Depth=1
	s_or_b32 exec_lo, exec_lo, s22
	v_lshlrev_b32_e32 v9, 16, v49
	v_lshlrev_b32_e32 v5, 20, v5
	v_lshl_add_u32 v7, v7, 23, 0x3c000000
	v_mov_b32_e32 v19, v6
	v_and_b32_e32 v9, 0x80000000, v9
	v_or3_b32 v20, v5, v9, v7
.LBB183_438:                            ;   in Loop: Header=BB183_423 Depth=1
	s_or_b32 exec_lo, exec_lo, s21
.LBB183_439:                            ;   in Loop: Header=BB183_423 Depth=1
	s_or_b32 exec_lo, exec_lo, s18
.LBB183_440:                            ;   in Loop: Header=BB183_423 Depth=1
	s_or_b32 exec_lo, exec_lo, s0
	v_mov_b32_e32 v23, 0
	v_mov_b32_e32 v21, 0
	v_and_b32_sdwa v5, v49, v43 dst_sel:DWORD dst_unused:UNUSED_PAD src0_sel:WORD_1 src1_sel:DWORD
	v_mov_b32_e32 v24, 0
	v_mov_b32_e32 v22, 0
	s_mov_b32 s0, exec_lo
	v_cmpx_ne_u16_e32 0, v5
	s_cbranch_execz .LBB183_448
; %bb.441:                              ;   in Loop: Header=BB183_423 Depth=1
	v_bfrev_b32_e32 v21, 1
	v_mov_b32_e32 v22, 0
	s_mov_b32 s18, exec_lo
	v_cmpx_ne_u16_e32 0x80, v5
	s_cbranch_execz .LBB183_447
; %bb.442:                              ;   in Loop: Header=BB183_423 Depth=1
	v_mov_b32_e32 v21, 0x7f800001
	v_bfe_u32 v9, v49, 16, 7
	v_mov_b32_e32 v22, 0
	s_mov_b32 s21, exec_lo
	v_cmpx_ne_u32_e32 0x7f, v9
	s_cbranch_execz .LBB183_446
; %bb.443:                              ;   in Loop: Header=BB183_423 Depth=1
	v_and_b32_sdwa v5, v49, v44 dst_sel:DWORD dst_unused:UNUSED_PAD src0_sel:WORD_1 src1_sel:DWORD
	v_lshrrev_b32_e32 v7, 3, v9
	s_mov_b32 s22, exec_lo
	v_cmpx_gt_u32_e32 8, v9
; %bb.444:                              ;   in Loop: Header=BB183_423 Depth=1
	v_ffbh_u32_e32 v7, v5
	v_min_u32_e32 v7, 32, v7
	v_subrev_nc_u32_e32 v9, 28, v7
	v_sub_nc_u32_e32 v7, 29, v7
	v_lshlrev_b64 v[21:22], v9, v[5:6]
	v_and_b32_e32 v5, 7, v21
; %bb.445:                              ;   in Loop: Header=BB183_423 Depth=1
	s_or_b32 exec_lo, exec_lo, s22
	v_lshlrev_b32_sdwa v9, v45, v49 dst_sel:DWORD dst_unused:UNUSED_PAD src0_sel:DWORD src1_sel:WORD_1
	v_lshlrev_b32_e32 v5, 20, v5
	v_lshl_add_u32 v7, v7, 23, 0x3c000000
	v_and_b32_e32 v9, 0x80000000, v9
	v_or3_b32 v5, v5, v9, v7
	v_mov_b32_e32 v22, v6
	v_mov_b32_e32 v21, v5
.LBB183_446:                            ;   in Loop: Header=BB183_423 Depth=1
	s_or_b32 exec_lo, exec_lo, s21
.LBB183_447:                            ;   in Loop: Header=BB183_423 Depth=1
	s_or_b32 exec_lo, exec_lo, s18
.LBB183_448:                            ;   in Loop: Header=BB183_423 Depth=1
	s_or_b32 exec_lo, exec_lo, s0
	s_mov_b32 s0, exec_lo
	v_cmpx_lt_u32_e32 0xffffff, v49
	s_cbranch_execz .LBB183_456
; %bb.449:                              ;   in Loop: Header=BB183_423 Depth=1
	v_mov_b32_e32 v7, v6
	v_mov_b32_e32 v24, v8
	v_cmp_ne_u32_sdwa s21, v49, v41 src0_sel:BYTE_3 src1_sel:DWORD
	v_mov_b32_e32 v23, v7
	s_and_saveexec_b32 s18, s21
	s_cbranch_execz .LBB183_455
; %bb.450:                              ;   in Loop: Header=BB183_423 Depth=1
	v_mov_b32_e32 v9, v6
	v_mov_b32_e32 v24, v10
	v_bfe_u32 v50, v49, 24, 7
	s_mov_b32 s21, exec_lo
	v_mov_b32_e32 v23, v9
	v_cmpx_ne_u32_e32 0x7f, v50
	s_cbranch_execz .LBB183_454
; %bb.451:                              ;   in Loop: Header=BB183_423 Depth=1
	v_and_b32_sdwa v5, v49, v44 dst_sel:DWORD dst_unused:UNUSED_PAD src0_sel:BYTE_3 src1_sel:DWORD
	v_lshrrev_b32_e32 v7, 3, v50
	s_mov_b32 s22, exec_lo
	v_cmpx_gt_u32_e32 8, v50
; %bb.452:                              ;   in Loop: Header=BB183_423 Depth=1
	v_ffbh_u32_e32 v7, v5
	v_min_u32_e32 v7, 32, v7
	v_subrev_nc_u32_e32 v9, 28, v7
	v_sub_nc_u32_e32 v7, 29, v7
	v_lshlrev_b64 v[23:24], v9, v[5:6]
	v_and_b32_e32 v5, 7, v23
; %bb.453:                              ;   in Loop: Header=BB183_423 Depth=1
	s_or_b32 exec_lo, exec_lo, s22
	v_lshlrev_b32_sdwa v9, v45, v49 dst_sel:DWORD dst_unused:UNUSED_PAD src0_sel:DWORD src1_sel:BYTE_3
	v_lshlrev_b32_e32 v5, 20, v5
	v_lshl_add_u32 v7, v7, 23, 0x3c000000
	v_mov_b32_e32 v23, v6
	v_and_b32_e32 v9, 0x80000000, v9
	v_or3_b32 v24, v5, v9, v7
.LBB183_454:                            ;   in Loop: Header=BB183_423 Depth=1
	s_or_b32 exec_lo, exec_lo, s21
.LBB183_455:                            ;   in Loop: Header=BB183_423 Depth=1
	s_or_b32 exec_lo, exec_lo, s18
.LBB183_456:                            ;   in Loop: Header=BB183_423 Depth=1
	s_or_b32 exec_lo, exec_lo, s0
	v_add_nc_u32_e32 v53, v40, v127
	v_or_b32_e32 v5, v20, v18
	v_or_b32_e32 v7, v19, v17
	v_or_b32_e32 v9, v23, v21
	v_or_b32_e32 v17, v24, v22
	v_cmp_eq_u32_e32 vcc_lo, s4, v48
	s_waitcnt lgkmcnt(0)
	v_mul_f32_e32 v51, s17, v5
	v_mul_f32_e32 v52, s17, v7
	v_mul_f32_e32 v50, s17, v9
	v_mul_f32_e32 v49, s17, v17
	v_add_nc_u32_e32 v56, 1, v53
	v_add_nc_u32_e32 v55, 2, v53
	;; [unrolled: 1-line block ×3, first 2 shown]
	s_and_saveexec_b32 s18, vcc_lo
	s_cbranch_execz .LBB183_458
; %bb.457:                              ;   in Loop: Header=BB183_423 Depth=1
	v_cmp_gt_i32_e64 s0, s33, v53
	v_cndmask_b32_e64 v52, 0, v52, s0
	v_cmp_gt_i32_e64 s0, s33, v56
	v_cndmask_b32_e64 v51, 0, v51, s0
	v_cmp_gt_i32_e64 s0, s33, v55
	v_cndmask_b32_e64 v50, 0, v50, s0
	v_cmp_gt_i32_e64 s0, s33, v54
	v_cndmask_b32_e64 v49, 0, v49, s0
.LBB183_458:                            ;   in Loop: Header=BB183_423 Depth=1
	s_or_b32 exec_lo, exec_lo, s18
	global_load_dword v57, v[15:16], off offset:128
	v_mov_b32_e32 v19, 0
	v_mov_b32_e32 v17, 0
	;; [unrolled: 1-line block ×4, first 2 shown]
	s_waitcnt vmcnt(0)
	v_cmp_ne_u16_sdwa s0, v57, v6 src0_sel:BYTE_0 src1_sel:DWORD
	s_and_saveexec_b32 s18, s0
	s_cbranch_execz .LBB183_466
; %bb.459:                              ;   in Loop: Header=BB183_423 Depth=1
	v_bfrev_b32_e32 v17, 1
	v_mov_b32_e32 v18, 0
	v_cmp_ne_u16_sdwa s0, v57, v41 src0_sel:BYTE_0 src1_sel:DWORD
	s_and_saveexec_b32 s21, s0
	s_cbranch_execz .LBB183_465
; %bb.460:                              ;   in Loop: Header=BB183_423 Depth=1
	v_mov_b32_e32 v17, 0x7f800001
	v_and_b32_e32 v9, 0x7f, v57
	v_mov_b32_e32 v18, 0
	s_mov_b32 s22, exec_lo
	v_cmpx_ne_u32_e32 0x7f, v9
	s_cbranch_execz .LBB183_464
; %bb.461:                              ;   in Loop: Header=BB183_423 Depth=1
	v_and_b32_e32 v5, 7, v57
	v_lshrrev_b32_e32 v7, 3, v9
	s_mov_b32 s26, exec_lo
	v_cmpx_gt_u32_e32 8, v9
; %bb.462:                              ;   in Loop: Header=BB183_423 Depth=1
	v_ffbh_u32_e32 v7, v5
	v_min_u32_e32 v7, 32, v7
	v_subrev_nc_u32_e32 v9, 28, v7
	v_sub_nc_u32_e32 v7, 29, v7
	v_lshlrev_b64 v[17:18], v9, v[5:6]
	v_and_b32_e32 v5, 7, v17
; %bb.463:                              ;   in Loop: Header=BB183_423 Depth=1
	s_or_b32 exec_lo, exec_lo, s26
	v_lshlrev_b32_e32 v9, 24, v57
	v_lshlrev_b32_e32 v5, 20, v5
	v_lshl_add_u32 v7, v7, 23, 0x3c000000
	v_and_b32_e32 v9, 0x80000000, v9
	v_or3_b32 v5, v5, v9, v7
	v_mov_b32_e32 v18, v6
	v_mov_b32_e32 v17, v5
.LBB183_464:                            ;   in Loop: Header=BB183_423 Depth=1
	s_or_b32 exec_lo, exec_lo, s22
.LBB183_465:                            ;   in Loop: Header=BB183_423 Depth=1
	s_or_b32 exec_lo, exec_lo, s21
.LBB183_466:                            ;   in Loop: Header=BB183_423 Depth=1
	s_or_b32 exec_lo, exec_lo, s18
	v_cmp_ne_u16_sdwa s0, v57, v6 src0_sel:BYTE_1 src1_sel:DWORD
	s_and_saveexec_b32 s18, s0
	s_cbranch_execz .LBB183_474
; %bb.467:                              ;   in Loop: Header=BB183_423 Depth=1
	v_mov_b32_e32 v7, v6
	v_mov_b32_e32 v20, v8
	v_cmp_ne_u16_sdwa s0, v57, v41 src0_sel:BYTE_1 src1_sel:DWORD
	v_mov_b32_e32 v19, v7
	s_and_saveexec_b32 s21, s0
	s_cbranch_execz .LBB183_473
; %bb.468:                              ;   in Loop: Header=BB183_423 Depth=1
	v_and_b32_sdwa v5, v42, v57 dst_sel:DWORD dst_unused:UNUSED_PAD src0_sel:DWORD src1_sel:BYTE_1
	v_mov_b32_e32 v9, v6
	v_mov_b32_e32 v20, v10
	s_mov_b32 s22, exec_lo
	v_and_b32_e32 v21, 0x7f, v5
	v_mov_b32_e32 v19, v9
	v_cmpx_ne_u32_e32 0x7f, v21
	s_cbranch_execz .LBB183_472
; %bb.469:                              ;   in Loop: Header=BB183_423 Depth=1
	v_and_b32_e32 v5, 7, v5
	v_lshrrev_b32_e32 v7, 3, v21
	s_mov_b32 s26, exec_lo
	v_cmpx_gt_u32_e32 8, v21
; %bb.470:                              ;   in Loop: Header=BB183_423 Depth=1
	v_ffbh_u32_e32 v7, v5
	v_min_u32_e32 v7, 32, v7
	v_subrev_nc_u32_e32 v9, 28, v7
	v_sub_nc_u32_e32 v7, 29, v7
	v_lshlrev_b64 v[19:20], v9, v[5:6]
	v_and_b32_e32 v5, 7, v19
; %bb.471:                              ;   in Loop: Header=BB183_423 Depth=1
	s_or_b32 exec_lo, exec_lo, s26
	v_lshlrev_b32_e32 v9, 16, v57
	v_lshlrev_b32_e32 v5, 20, v5
	v_lshl_add_u32 v7, v7, 23, 0x3c000000
	v_mov_b32_e32 v19, v6
	v_and_b32_e32 v9, 0x80000000, v9
	v_or3_b32 v20, v5, v9, v7
.LBB183_472:                            ;   in Loop: Header=BB183_423 Depth=1
	s_or_b32 exec_lo, exec_lo, s22
.LBB183_473:                            ;   in Loop: Header=BB183_423 Depth=1
	s_or_b32 exec_lo, exec_lo, s21
.LBB183_474:                            ;   in Loop: Header=BB183_423 Depth=1
	s_or_b32 exec_lo, exec_lo, s18
	v_mov_b32_e32 v23, 0
	v_mov_b32_e32 v21, 0
	v_and_b32_sdwa v5, v57, v43 dst_sel:DWORD dst_unused:UNUSED_PAD src0_sel:WORD_1 src1_sel:DWORD
	v_mov_b32_e32 v24, 0
	v_mov_b32_e32 v22, 0
	s_mov_b32 s18, exec_lo
	v_cmpx_ne_u16_e32 0, v5
	s_cbranch_execz .LBB183_482
; %bb.475:                              ;   in Loop: Header=BB183_423 Depth=1
	v_bfrev_b32_e32 v21, 1
	v_mov_b32_e32 v22, 0
	s_mov_b32 s21, exec_lo
	v_cmpx_ne_u16_e32 0x80, v5
	s_cbranch_execz .LBB183_481
; %bb.476:                              ;   in Loop: Header=BB183_423 Depth=1
	v_mov_b32_e32 v21, 0x7f800001
	v_bfe_u32 v9, v57, 16, 7
	v_mov_b32_e32 v22, 0
	s_mov_b32 s22, exec_lo
	v_cmpx_ne_u32_e32 0x7f, v9
	s_cbranch_execz .LBB183_480
; %bb.477:                              ;   in Loop: Header=BB183_423 Depth=1
	v_and_b32_sdwa v5, v57, v44 dst_sel:DWORD dst_unused:UNUSED_PAD src0_sel:WORD_1 src1_sel:DWORD
	v_lshrrev_b32_e32 v7, 3, v9
	s_mov_b32 s26, exec_lo
	v_cmpx_gt_u32_e32 8, v9
; %bb.478:                              ;   in Loop: Header=BB183_423 Depth=1
	v_ffbh_u32_e32 v7, v5
	v_min_u32_e32 v7, 32, v7
	v_subrev_nc_u32_e32 v9, 28, v7
	v_sub_nc_u32_e32 v7, 29, v7
	v_lshlrev_b64 v[21:22], v9, v[5:6]
	v_and_b32_e32 v5, 7, v21
; %bb.479:                              ;   in Loop: Header=BB183_423 Depth=1
	s_or_b32 exec_lo, exec_lo, s26
	v_lshlrev_b32_sdwa v9, v45, v57 dst_sel:DWORD dst_unused:UNUSED_PAD src0_sel:DWORD src1_sel:WORD_1
	v_lshlrev_b32_e32 v5, 20, v5
	v_lshl_add_u32 v7, v7, 23, 0x3c000000
	v_and_b32_e32 v9, 0x80000000, v9
	v_or3_b32 v5, v5, v9, v7
	v_mov_b32_e32 v22, v6
	v_mov_b32_e32 v21, v5
.LBB183_480:                            ;   in Loop: Header=BB183_423 Depth=1
	s_or_b32 exec_lo, exec_lo, s22
.LBB183_481:                            ;   in Loop: Header=BB183_423 Depth=1
	s_or_b32 exec_lo, exec_lo, s21
.LBB183_482:                            ;   in Loop: Header=BB183_423 Depth=1
	s_or_b32 exec_lo, exec_lo, s18
	s_mov_b32 s18, exec_lo
	v_cmpx_lt_u32_e32 0xffffff, v57
	s_cbranch_execz .LBB183_490
; %bb.483:                              ;   in Loop: Header=BB183_423 Depth=1
	v_mov_b32_e32 v7, v6
	v_mov_b32_e32 v24, v8
	v_cmp_ne_u32_sdwa s0, v57, v41 src0_sel:BYTE_3 src1_sel:DWORD
	v_mov_b32_e32 v23, v7
	s_and_saveexec_b32 s21, s0
	s_cbranch_execz .LBB183_489
; %bb.484:                              ;   in Loop: Header=BB183_423 Depth=1
	v_mov_b32_e32 v9, v6
	v_mov_b32_e32 v24, v10
	v_bfe_u32 v58, v57, 24, 7
	s_mov_b32 s22, exec_lo
	v_mov_b32_e32 v23, v9
	v_cmpx_ne_u32_e32 0x7f, v58
	s_cbranch_execz .LBB183_488
; %bb.485:                              ;   in Loop: Header=BB183_423 Depth=1
	v_and_b32_sdwa v5, v57, v44 dst_sel:DWORD dst_unused:UNUSED_PAD src0_sel:BYTE_3 src1_sel:DWORD
	v_lshrrev_b32_e32 v7, 3, v58
	s_mov_b32 s26, exec_lo
	v_cmpx_gt_u32_e32 8, v58
; %bb.486:                              ;   in Loop: Header=BB183_423 Depth=1
	v_ffbh_u32_e32 v7, v5
	v_min_u32_e32 v7, 32, v7
	v_subrev_nc_u32_e32 v9, 28, v7
	v_sub_nc_u32_e32 v7, 29, v7
	v_lshlrev_b64 v[23:24], v9, v[5:6]
	v_and_b32_e32 v5, 7, v23
; %bb.487:                              ;   in Loop: Header=BB183_423 Depth=1
	s_or_b32 exec_lo, exec_lo, s26
	v_lshlrev_b32_sdwa v9, v45, v57 dst_sel:DWORD dst_unused:UNUSED_PAD src0_sel:DWORD src1_sel:BYTE_3
	v_lshlrev_b32_e32 v5, 20, v5
	v_lshl_add_u32 v7, v7, 23, 0x3c000000
	v_mov_b32_e32 v23, v6
	v_and_b32_e32 v9, 0x80000000, v9
	v_or3_b32 v24, v5, v9, v7
.LBB183_488:                            ;   in Loop: Header=BB183_423 Depth=1
	s_or_b32 exec_lo, exec_lo, s22
.LBB183_489:                            ;   in Loop: Header=BB183_423 Depth=1
	s_or_b32 exec_lo, exec_lo, s21
.LBB183_490:                            ;   in Loop: Header=BB183_423 Depth=1
	s_or_b32 exec_lo, exec_lo, s18
	v_or_b32_e32 v5, v20, v18
	v_or_b32_e32 v7, v19, v17
	;; [unrolled: 1-line block ×4, first 2 shown]
	s_mov_b32 s18, s17
	v_mul_f32_e32 v59, s18, v5
	v_mul_f32_e32 v60, s17, v7
	v_mul_f32_e32 v58, s17, v17
	v_mul_f32_e32 v57, s18, v9
	s_and_saveexec_b32 s21, vcc_lo
	s_cbranch_execz .LBB183_492
; %bb.491:                              ;   in Loop: Header=BB183_423 Depth=1
	v_cmp_gt_i32_e64 s0, s33, v53
	v_cndmask_b32_e64 v60, 0, v60, s0
	v_cmp_gt_i32_e64 s0, s33, v56
	v_cndmask_b32_e64 v59, 0, v59, s0
	;; [unrolled: 2-line block ×4, first 2 shown]
.LBB183_492:                            ;   in Loop: Header=BB183_423 Depth=1
	s_or_b32 exec_lo, exec_lo, s21
	global_load_dword v61, v[15:16], off offset:256
	v_mov_b32_e32 v19, 0
	v_mov_b32_e32 v17, 0
	;; [unrolled: 1-line block ×4, first 2 shown]
	s_waitcnt vmcnt(0)
	v_cmp_ne_u16_sdwa s0, v61, v6 src0_sel:BYTE_0 src1_sel:DWORD
	s_and_saveexec_b32 s21, s0
	s_cbranch_execz .LBB183_500
; %bb.493:                              ;   in Loop: Header=BB183_423 Depth=1
	v_bfrev_b32_e32 v17, 1
	v_mov_b32_e32 v18, 0
	v_cmp_ne_u16_sdwa s0, v61, v41 src0_sel:BYTE_0 src1_sel:DWORD
	s_and_saveexec_b32 s22, s0
	s_cbranch_execz .LBB183_499
; %bb.494:                              ;   in Loop: Header=BB183_423 Depth=1
	v_mov_b32_e32 v17, 0x7f800001
	v_and_b32_e32 v9, 0x7f, v61
	v_mov_b32_e32 v18, 0
	s_mov_b32 s26, exec_lo
	v_cmpx_ne_u32_e32 0x7f, v9
	s_cbranch_execz .LBB183_498
; %bb.495:                              ;   in Loop: Header=BB183_423 Depth=1
	v_and_b32_e32 v5, 7, v61
	v_lshrrev_b32_e32 v7, 3, v9
	s_mov_b32 s27, exec_lo
	v_cmpx_gt_u32_e32 8, v9
; %bb.496:                              ;   in Loop: Header=BB183_423 Depth=1
	v_ffbh_u32_e32 v7, v5
	v_min_u32_e32 v7, 32, v7
	v_subrev_nc_u32_e32 v9, 28, v7
	v_sub_nc_u32_e32 v7, 29, v7
	v_lshlrev_b64 v[17:18], v9, v[5:6]
	v_and_b32_e32 v5, 7, v17
; %bb.497:                              ;   in Loop: Header=BB183_423 Depth=1
	s_or_b32 exec_lo, exec_lo, s27
	v_lshlrev_b32_e32 v9, 24, v61
	v_lshlrev_b32_e32 v5, 20, v5
	v_lshl_add_u32 v7, v7, 23, 0x3c000000
	v_and_b32_e32 v9, 0x80000000, v9
	v_or3_b32 v5, v5, v9, v7
	v_mov_b32_e32 v18, v6
	v_mov_b32_e32 v17, v5
.LBB183_498:                            ;   in Loop: Header=BB183_423 Depth=1
	s_or_b32 exec_lo, exec_lo, s26
.LBB183_499:                            ;   in Loop: Header=BB183_423 Depth=1
	s_or_b32 exec_lo, exec_lo, s22
.LBB183_500:                            ;   in Loop: Header=BB183_423 Depth=1
	s_or_b32 exec_lo, exec_lo, s21
	v_cmp_ne_u16_sdwa s0, v61, v6 src0_sel:BYTE_1 src1_sel:DWORD
	s_and_saveexec_b32 s21, s0
	s_cbranch_execz .LBB183_508
; %bb.501:                              ;   in Loop: Header=BB183_423 Depth=1
	v_mov_b32_e32 v7, v6
	v_mov_b32_e32 v20, v8
	v_cmp_ne_u16_sdwa s0, v61, v41 src0_sel:BYTE_1 src1_sel:DWORD
	v_mov_b32_e32 v19, v7
	s_and_saveexec_b32 s22, s0
	s_cbranch_execz .LBB183_507
; %bb.502:                              ;   in Loop: Header=BB183_423 Depth=1
	v_and_b32_sdwa v5, v42, v61 dst_sel:DWORD dst_unused:UNUSED_PAD src0_sel:DWORD src1_sel:BYTE_1
	v_mov_b32_e32 v9, v6
	v_mov_b32_e32 v20, v10
	s_mov_b32 s26, exec_lo
	v_and_b32_e32 v21, 0x7f, v5
	v_mov_b32_e32 v19, v9
	v_cmpx_ne_u32_e32 0x7f, v21
	s_cbranch_execz .LBB183_506
; %bb.503:                              ;   in Loop: Header=BB183_423 Depth=1
	v_and_b32_e32 v5, 7, v5
	v_lshrrev_b32_e32 v7, 3, v21
	s_mov_b32 s27, exec_lo
	v_cmpx_gt_u32_e32 8, v21
; %bb.504:                              ;   in Loop: Header=BB183_423 Depth=1
	v_ffbh_u32_e32 v7, v5
	v_min_u32_e32 v7, 32, v7
	v_subrev_nc_u32_e32 v9, 28, v7
	v_sub_nc_u32_e32 v7, 29, v7
	v_lshlrev_b64 v[19:20], v9, v[5:6]
	v_and_b32_e32 v5, 7, v19
; %bb.505:                              ;   in Loop: Header=BB183_423 Depth=1
	s_or_b32 exec_lo, exec_lo, s27
	v_lshlrev_b32_e32 v9, 16, v61
	v_lshlrev_b32_e32 v5, 20, v5
	v_lshl_add_u32 v7, v7, 23, 0x3c000000
	v_mov_b32_e32 v19, v6
	v_and_b32_e32 v9, 0x80000000, v9
	v_or3_b32 v20, v5, v9, v7
.LBB183_506:                            ;   in Loop: Header=BB183_423 Depth=1
	s_or_b32 exec_lo, exec_lo, s26
.LBB183_507:                            ;   in Loop: Header=BB183_423 Depth=1
	s_or_b32 exec_lo, exec_lo, s22
.LBB183_508:                            ;   in Loop: Header=BB183_423 Depth=1
	s_or_b32 exec_lo, exec_lo, s21
	v_mov_b32_e32 v23, 0
	v_mov_b32_e32 v21, 0
	v_and_b32_sdwa v5, v61, v43 dst_sel:DWORD dst_unused:UNUSED_PAD src0_sel:WORD_1 src1_sel:DWORD
	v_mov_b32_e32 v24, 0
	v_mov_b32_e32 v22, 0
	s_mov_b32 s21, exec_lo
	v_cmpx_ne_u16_e32 0, v5
	s_cbranch_execz .LBB183_516
; %bb.509:                              ;   in Loop: Header=BB183_423 Depth=1
	v_bfrev_b32_e32 v21, 1
	v_mov_b32_e32 v22, 0
	s_mov_b32 s22, exec_lo
	v_cmpx_ne_u16_e32 0x80, v5
	s_cbranch_execz .LBB183_515
; %bb.510:                              ;   in Loop: Header=BB183_423 Depth=1
	v_mov_b32_e32 v21, 0x7f800001
	v_bfe_u32 v9, v61, 16, 7
	v_mov_b32_e32 v22, 0
	s_mov_b32 s26, exec_lo
	v_cmpx_ne_u32_e32 0x7f, v9
	s_cbranch_execz .LBB183_514
; %bb.511:                              ;   in Loop: Header=BB183_423 Depth=1
	v_and_b32_sdwa v5, v61, v44 dst_sel:DWORD dst_unused:UNUSED_PAD src0_sel:WORD_1 src1_sel:DWORD
	v_lshrrev_b32_e32 v7, 3, v9
	s_mov_b32 s27, exec_lo
	v_cmpx_gt_u32_e32 8, v9
; %bb.512:                              ;   in Loop: Header=BB183_423 Depth=1
	v_ffbh_u32_e32 v7, v5
	v_min_u32_e32 v7, 32, v7
	v_subrev_nc_u32_e32 v9, 28, v7
	v_sub_nc_u32_e32 v7, 29, v7
	v_lshlrev_b64 v[21:22], v9, v[5:6]
	v_and_b32_e32 v5, 7, v21
; %bb.513:                              ;   in Loop: Header=BB183_423 Depth=1
	s_or_b32 exec_lo, exec_lo, s27
	v_lshlrev_b32_sdwa v9, v45, v61 dst_sel:DWORD dst_unused:UNUSED_PAD src0_sel:DWORD src1_sel:WORD_1
	v_lshlrev_b32_e32 v5, 20, v5
	v_lshl_add_u32 v7, v7, 23, 0x3c000000
	v_and_b32_e32 v9, 0x80000000, v9
	v_or3_b32 v5, v5, v9, v7
	v_mov_b32_e32 v22, v6
	v_mov_b32_e32 v21, v5
.LBB183_514:                            ;   in Loop: Header=BB183_423 Depth=1
	s_or_b32 exec_lo, exec_lo, s26
.LBB183_515:                            ;   in Loop: Header=BB183_423 Depth=1
	s_or_b32 exec_lo, exec_lo, s22
.LBB183_516:                            ;   in Loop: Header=BB183_423 Depth=1
	s_or_b32 exec_lo, exec_lo, s21
	s_mov_b32 s21, exec_lo
	v_cmpx_lt_u32_e32 0xffffff, v61
	s_cbranch_execz .LBB183_524
; %bb.517:                              ;   in Loop: Header=BB183_423 Depth=1
	v_mov_b32_e32 v7, v6
	v_mov_b32_e32 v24, v8
	v_cmp_ne_u32_sdwa s0, v61, v41 src0_sel:BYTE_3 src1_sel:DWORD
	v_mov_b32_e32 v23, v7
	s_and_saveexec_b32 s22, s0
	s_cbranch_execz .LBB183_523
; %bb.518:                              ;   in Loop: Header=BB183_423 Depth=1
	v_mov_b32_e32 v9, v6
	v_mov_b32_e32 v24, v10
	v_bfe_u32 v62, v61, 24, 7
	s_mov_b32 s26, exec_lo
	v_mov_b32_e32 v23, v9
	v_cmpx_ne_u32_e32 0x7f, v62
	s_cbranch_execz .LBB183_522
; %bb.519:                              ;   in Loop: Header=BB183_423 Depth=1
	v_and_b32_sdwa v5, v61, v44 dst_sel:DWORD dst_unused:UNUSED_PAD src0_sel:BYTE_3 src1_sel:DWORD
	v_lshrrev_b32_e32 v7, 3, v62
	s_mov_b32 s27, exec_lo
	v_cmpx_gt_u32_e32 8, v62
; %bb.520:                              ;   in Loop: Header=BB183_423 Depth=1
	v_ffbh_u32_e32 v7, v5
	v_min_u32_e32 v7, 32, v7
	v_subrev_nc_u32_e32 v9, 28, v7
	v_sub_nc_u32_e32 v7, 29, v7
	v_lshlrev_b64 v[23:24], v9, v[5:6]
	v_and_b32_e32 v5, 7, v23
; %bb.521:                              ;   in Loop: Header=BB183_423 Depth=1
	s_or_b32 exec_lo, exec_lo, s27
	v_lshlrev_b32_sdwa v9, v45, v61 dst_sel:DWORD dst_unused:UNUSED_PAD src0_sel:DWORD src1_sel:BYTE_3
	v_lshlrev_b32_e32 v5, 20, v5
	v_lshl_add_u32 v7, v7, 23, 0x3c000000
	v_mov_b32_e32 v23, v6
	v_and_b32_e32 v9, 0x80000000, v9
	v_or3_b32 v24, v5, v9, v7
.LBB183_522:                            ;   in Loop: Header=BB183_423 Depth=1
	s_or_b32 exec_lo, exec_lo, s26
.LBB183_523:                            ;   in Loop: Header=BB183_423 Depth=1
	s_or_b32 exec_lo, exec_lo, s22
.LBB183_524:                            ;   in Loop: Header=BB183_423 Depth=1
	s_or_b32 exec_lo, exec_lo, s21
	v_or_b32_e32 v5, v20, v18
	v_or_b32_e32 v7, v19, v17
	;; [unrolled: 1-line block ×4, first 2 shown]
	v_mul_f32_e32 v63, s18, v5
	v_mul_f32_e32 v64, s17, v7
	;; [unrolled: 1-line block ×4, first 2 shown]
	s_and_saveexec_b32 s21, vcc_lo
	s_cbranch_execz .LBB183_526
; %bb.525:                              ;   in Loop: Header=BB183_423 Depth=1
	v_cmp_gt_i32_e64 s0, s33, v53
	v_cndmask_b32_e64 v64, 0, v64, s0
	v_cmp_gt_i32_e64 s0, s33, v56
	v_cndmask_b32_e64 v63, 0, v63, s0
	;; [unrolled: 2-line block ×4, first 2 shown]
.LBB183_526:                            ;   in Loop: Header=BB183_423 Depth=1
	s_or_b32 exec_lo, exec_lo, s21
	global_load_dword v65, v[15:16], off offset:384
	v_mov_b32_e32 v19, 0
	v_mov_b32_e32 v17, 0
	;; [unrolled: 1-line block ×4, first 2 shown]
	s_waitcnt vmcnt(0)
	v_cmp_ne_u16_sdwa s0, v65, v6 src0_sel:BYTE_0 src1_sel:DWORD
	s_and_saveexec_b32 s21, s0
	s_cbranch_execz .LBB183_534
; %bb.527:                              ;   in Loop: Header=BB183_423 Depth=1
	v_bfrev_b32_e32 v17, 1
	v_mov_b32_e32 v18, 0
	v_cmp_ne_u16_sdwa s0, v65, v41 src0_sel:BYTE_0 src1_sel:DWORD
	s_and_saveexec_b32 s22, s0
	s_cbranch_execz .LBB183_533
; %bb.528:                              ;   in Loop: Header=BB183_423 Depth=1
	v_mov_b32_e32 v17, 0x7f800001
	v_and_b32_e32 v9, 0x7f, v65
	v_mov_b32_e32 v18, 0
	s_mov_b32 s26, exec_lo
	v_cmpx_ne_u32_e32 0x7f, v9
	s_cbranch_execz .LBB183_532
; %bb.529:                              ;   in Loop: Header=BB183_423 Depth=1
	v_and_b32_e32 v5, 7, v65
	v_lshrrev_b32_e32 v7, 3, v9
	s_mov_b32 s27, exec_lo
	v_cmpx_gt_u32_e32 8, v9
; %bb.530:                              ;   in Loop: Header=BB183_423 Depth=1
	v_ffbh_u32_e32 v7, v5
	v_min_u32_e32 v7, 32, v7
	v_subrev_nc_u32_e32 v9, 28, v7
	v_sub_nc_u32_e32 v7, 29, v7
	v_lshlrev_b64 v[17:18], v9, v[5:6]
	v_and_b32_e32 v5, 7, v17
; %bb.531:                              ;   in Loop: Header=BB183_423 Depth=1
	s_or_b32 exec_lo, exec_lo, s27
	v_lshlrev_b32_e32 v9, 24, v65
	v_lshlrev_b32_e32 v5, 20, v5
	v_lshl_add_u32 v7, v7, 23, 0x3c000000
	v_and_b32_e32 v9, 0x80000000, v9
	v_or3_b32 v5, v5, v9, v7
	v_mov_b32_e32 v18, v6
	v_mov_b32_e32 v17, v5
.LBB183_532:                            ;   in Loop: Header=BB183_423 Depth=1
	s_or_b32 exec_lo, exec_lo, s26
.LBB183_533:                            ;   in Loop: Header=BB183_423 Depth=1
	s_or_b32 exec_lo, exec_lo, s22
.LBB183_534:                            ;   in Loop: Header=BB183_423 Depth=1
	s_or_b32 exec_lo, exec_lo, s21
	v_cmp_ne_u16_sdwa s0, v65, v6 src0_sel:BYTE_1 src1_sel:DWORD
	s_and_saveexec_b32 s21, s0
	s_cbranch_execz .LBB183_542
; %bb.535:                              ;   in Loop: Header=BB183_423 Depth=1
	v_mov_b32_e32 v7, v6
	v_mov_b32_e32 v20, v8
	v_cmp_ne_u16_sdwa s0, v65, v41 src0_sel:BYTE_1 src1_sel:DWORD
	v_mov_b32_e32 v19, v7
	s_and_saveexec_b32 s22, s0
	s_cbranch_execz .LBB183_541
; %bb.536:                              ;   in Loop: Header=BB183_423 Depth=1
	v_and_b32_sdwa v5, v42, v65 dst_sel:DWORD dst_unused:UNUSED_PAD src0_sel:DWORD src1_sel:BYTE_1
	v_mov_b32_e32 v9, v6
	v_mov_b32_e32 v20, v10
	s_mov_b32 s26, exec_lo
	v_and_b32_e32 v21, 0x7f, v5
	v_mov_b32_e32 v19, v9
	v_cmpx_ne_u32_e32 0x7f, v21
	s_cbranch_execz .LBB183_540
; %bb.537:                              ;   in Loop: Header=BB183_423 Depth=1
	v_and_b32_e32 v5, 7, v5
	v_lshrrev_b32_e32 v7, 3, v21
	s_mov_b32 s27, exec_lo
	v_cmpx_gt_u32_e32 8, v21
; %bb.538:                              ;   in Loop: Header=BB183_423 Depth=1
	v_ffbh_u32_e32 v7, v5
	v_min_u32_e32 v7, 32, v7
	v_subrev_nc_u32_e32 v9, 28, v7
	v_sub_nc_u32_e32 v7, 29, v7
	v_lshlrev_b64 v[19:20], v9, v[5:6]
	v_and_b32_e32 v5, 7, v19
; %bb.539:                              ;   in Loop: Header=BB183_423 Depth=1
	s_or_b32 exec_lo, exec_lo, s27
	v_lshlrev_b32_e32 v9, 16, v65
	v_lshlrev_b32_e32 v5, 20, v5
	v_lshl_add_u32 v7, v7, 23, 0x3c000000
	v_mov_b32_e32 v19, v6
	v_and_b32_e32 v9, 0x80000000, v9
	v_or3_b32 v20, v5, v9, v7
.LBB183_540:                            ;   in Loop: Header=BB183_423 Depth=1
	s_or_b32 exec_lo, exec_lo, s26
.LBB183_541:                            ;   in Loop: Header=BB183_423 Depth=1
	s_or_b32 exec_lo, exec_lo, s22
.LBB183_542:                            ;   in Loop: Header=BB183_423 Depth=1
	s_or_b32 exec_lo, exec_lo, s21
	v_mov_b32_e32 v23, 0
	v_mov_b32_e32 v21, 0
	v_and_b32_sdwa v5, v65, v43 dst_sel:DWORD dst_unused:UNUSED_PAD src0_sel:WORD_1 src1_sel:DWORD
	v_mov_b32_e32 v24, 0
	v_mov_b32_e32 v22, 0
	s_mov_b32 s21, exec_lo
	v_cmpx_ne_u16_e32 0, v5
	s_cbranch_execz .LBB183_550
; %bb.543:                              ;   in Loop: Header=BB183_423 Depth=1
	v_bfrev_b32_e32 v21, 1
	v_mov_b32_e32 v22, 0
	s_mov_b32 s22, exec_lo
	v_cmpx_ne_u16_e32 0x80, v5
	s_cbranch_execz .LBB183_549
; %bb.544:                              ;   in Loop: Header=BB183_423 Depth=1
	v_mov_b32_e32 v21, 0x7f800001
	v_bfe_u32 v9, v65, 16, 7
	v_mov_b32_e32 v22, 0
	s_mov_b32 s26, exec_lo
	v_cmpx_ne_u32_e32 0x7f, v9
	s_cbranch_execz .LBB183_548
; %bb.545:                              ;   in Loop: Header=BB183_423 Depth=1
	v_and_b32_sdwa v5, v65, v44 dst_sel:DWORD dst_unused:UNUSED_PAD src0_sel:WORD_1 src1_sel:DWORD
	v_lshrrev_b32_e32 v7, 3, v9
	s_mov_b32 s27, exec_lo
	v_cmpx_gt_u32_e32 8, v9
; %bb.546:                              ;   in Loop: Header=BB183_423 Depth=1
	v_ffbh_u32_e32 v7, v5
	v_min_u32_e32 v7, 32, v7
	v_subrev_nc_u32_e32 v9, 28, v7
	v_sub_nc_u32_e32 v7, 29, v7
	v_lshlrev_b64 v[21:22], v9, v[5:6]
	v_and_b32_e32 v5, 7, v21
; %bb.547:                              ;   in Loop: Header=BB183_423 Depth=1
	s_or_b32 exec_lo, exec_lo, s27
	v_lshlrev_b32_sdwa v9, v45, v65 dst_sel:DWORD dst_unused:UNUSED_PAD src0_sel:DWORD src1_sel:WORD_1
	v_lshlrev_b32_e32 v5, 20, v5
	v_lshl_add_u32 v7, v7, 23, 0x3c000000
	v_and_b32_e32 v9, 0x80000000, v9
	v_or3_b32 v5, v5, v9, v7
	v_mov_b32_e32 v22, v6
	v_mov_b32_e32 v21, v5
.LBB183_548:                            ;   in Loop: Header=BB183_423 Depth=1
	s_or_b32 exec_lo, exec_lo, s26
.LBB183_549:                            ;   in Loop: Header=BB183_423 Depth=1
	s_or_b32 exec_lo, exec_lo, s22
.LBB183_550:                            ;   in Loop: Header=BB183_423 Depth=1
	s_or_b32 exec_lo, exec_lo, s21
	s_mov_b32 s21, exec_lo
	v_cmpx_lt_u32_e32 0xffffff, v65
	s_cbranch_execz .LBB183_558
; %bb.551:                              ;   in Loop: Header=BB183_423 Depth=1
	v_mov_b32_e32 v7, v6
	v_mov_b32_e32 v24, v8
	v_cmp_ne_u32_sdwa s0, v65, v41 src0_sel:BYTE_3 src1_sel:DWORD
	v_mov_b32_e32 v23, v7
	s_and_saveexec_b32 s22, s0
	s_cbranch_execz .LBB183_557
; %bb.552:                              ;   in Loop: Header=BB183_423 Depth=1
	v_mov_b32_e32 v9, v6
	v_mov_b32_e32 v24, v10
	v_bfe_u32 v66, v65, 24, 7
	s_mov_b32 s26, exec_lo
	v_mov_b32_e32 v23, v9
	v_cmpx_ne_u32_e32 0x7f, v66
	s_cbranch_execz .LBB183_556
; %bb.553:                              ;   in Loop: Header=BB183_423 Depth=1
	v_and_b32_sdwa v5, v65, v44 dst_sel:DWORD dst_unused:UNUSED_PAD src0_sel:BYTE_3 src1_sel:DWORD
	v_lshrrev_b32_e32 v7, 3, v66
	s_mov_b32 s27, exec_lo
	v_cmpx_gt_u32_e32 8, v66
; %bb.554:                              ;   in Loop: Header=BB183_423 Depth=1
	v_ffbh_u32_e32 v7, v5
	v_min_u32_e32 v7, 32, v7
	v_subrev_nc_u32_e32 v9, 28, v7
	v_sub_nc_u32_e32 v7, 29, v7
	v_lshlrev_b64 v[23:24], v9, v[5:6]
	v_and_b32_e32 v5, 7, v23
; %bb.555:                              ;   in Loop: Header=BB183_423 Depth=1
	s_or_b32 exec_lo, exec_lo, s27
	v_lshlrev_b32_sdwa v9, v45, v65 dst_sel:DWORD dst_unused:UNUSED_PAD src0_sel:DWORD src1_sel:BYTE_3
	v_lshlrev_b32_e32 v5, 20, v5
	v_lshl_add_u32 v7, v7, 23, 0x3c000000
	v_mov_b32_e32 v23, v6
	v_and_b32_e32 v9, 0x80000000, v9
	v_or3_b32 v24, v5, v9, v7
.LBB183_556:                            ;   in Loop: Header=BB183_423 Depth=1
	s_or_b32 exec_lo, exec_lo, s26
.LBB183_557:                            ;   in Loop: Header=BB183_423 Depth=1
	s_or_b32 exec_lo, exec_lo, s22
.LBB183_558:                            ;   in Loop: Header=BB183_423 Depth=1
	s_or_b32 exec_lo, exec_lo, s21
	v_or_b32_e32 v5, v20, v18
	v_or_b32_e32 v7, v19, v17
	;; [unrolled: 1-line block ×4, first 2 shown]
	v_mul_f32_e32 v67, s18, v5
	v_mul_f32_e32 v68, s17, v7
	;; [unrolled: 1-line block ×4, first 2 shown]
	s_and_saveexec_b32 s21, vcc_lo
	s_cbranch_execz .LBB183_560
; %bb.559:                              ;   in Loop: Header=BB183_423 Depth=1
	v_cmp_gt_i32_e64 s0, s33, v53
	v_cndmask_b32_e64 v68, 0, v68, s0
	v_cmp_gt_i32_e64 s0, s33, v56
	v_cndmask_b32_e64 v67, 0, v67, s0
	;; [unrolled: 2-line block ×4, first 2 shown]
.LBB183_560:                            ;   in Loop: Header=BB183_423 Depth=1
	s_or_b32 exec_lo, exec_lo, s21
	global_load_dword v69, v[15:16], off offset:512
	v_mov_b32_e32 v19, 0
	v_mov_b32_e32 v17, 0
	;; [unrolled: 1-line block ×4, first 2 shown]
	s_waitcnt vmcnt(0)
	v_cmp_ne_u16_sdwa s0, v69, v6 src0_sel:BYTE_0 src1_sel:DWORD
	s_and_saveexec_b32 s21, s0
	s_cbranch_execz .LBB183_568
; %bb.561:                              ;   in Loop: Header=BB183_423 Depth=1
	v_bfrev_b32_e32 v17, 1
	v_mov_b32_e32 v18, 0
	v_cmp_ne_u16_sdwa s0, v69, v41 src0_sel:BYTE_0 src1_sel:DWORD
	s_and_saveexec_b32 s22, s0
	s_cbranch_execz .LBB183_567
; %bb.562:                              ;   in Loop: Header=BB183_423 Depth=1
	v_mov_b32_e32 v17, 0x7f800001
	v_and_b32_e32 v9, 0x7f, v69
	v_mov_b32_e32 v18, 0
	s_mov_b32 s26, exec_lo
	v_cmpx_ne_u32_e32 0x7f, v9
	s_cbranch_execz .LBB183_566
; %bb.563:                              ;   in Loop: Header=BB183_423 Depth=1
	v_and_b32_e32 v5, 7, v69
	v_lshrrev_b32_e32 v7, 3, v9
	s_mov_b32 s27, exec_lo
	v_cmpx_gt_u32_e32 8, v9
; %bb.564:                              ;   in Loop: Header=BB183_423 Depth=1
	v_ffbh_u32_e32 v7, v5
	v_min_u32_e32 v7, 32, v7
	v_subrev_nc_u32_e32 v9, 28, v7
	v_sub_nc_u32_e32 v7, 29, v7
	v_lshlrev_b64 v[17:18], v9, v[5:6]
	v_and_b32_e32 v5, 7, v17
; %bb.565:                              ;   in Loop: Header=BB183_423 Depth=1
	s_or_b32 exec_lo, exec_lo, s27
	v_lshlrev_b32_e32 v9, 24, v69
	v_lshlrev_b32_e32 v5, 20, v5
	v_lshl_add_u32 v7, v7, 23, 0x3c000000
	v_and_b32_e32 v9, 0x80000000, v9
	v_or3_b32 v5, v5, v9, v7
	v_mov_b32_e32 v18, v6
	v_mov_b32_e32 v17, v5
.LBB183_566:                            ;   in Loop: Header=BB183_423 Depth=1
	s_or_b32 exec_lo, exec_lo, s26
.LBB183_567:                            ;   in Loop: Header=BB183_423 Depth=1
	s_or_b32 exec_lo, exec_lo, s22
.LBB183_568:                            ;   in Loop: Header=BB183_423 Depth=1
	s_or_b32 exec_lo, exec_lo, s21
	v_cmp_ne_u16_sdwa s0, v69, v6 src0_sel:BYTE_1 src1_sel:DWORD
	s_and_saveexec_b32 s21, s0
	s_cbranch_execz .LBB183_576
; %bb.569:                              ;   in Loop: Header=BB183_423 Depth=1
	v_mov_b32_e32 v7, v6
	v_mov_b32_e32 v20, v8
	v_cmp_ne_u16_sdwa s0, v69, v41 src0_sel:BYTE_1 src1_sel:DWORD
	v_mov_b32_e32 v19, v7
	s_and_saveexec_b32 s22, s0
	s_cbranch_execz .LBB183_575
; %bb.570:                              ;   in Loop: Header=BB183_423 Depth=1
	v_and_b32_sdwa v5, v42, v69 dst_sel:DWORD dst_unused:UNUSED_PAD src0_sel:DWORD src1_sel:BYTE_1
	v_mov_b32_e32 v9, v6
	v_mov_b32_e32 v20, v10
	s_mov_b32 s26, exec_lo
	v_and_b32_e32 v21, 0x7f, v5
	v_mov_b32_e32 v19, v9
	v_cmpx_ne_u32_e32 0x7f, v21
	s_cbranch_execz .LBB183_574
; %bb.571:                              ;   in Loop: Header=BB183_423 Depth=1
	v_and_b32_e32 v5, 7, v5
	v_lshrrev_b32_e32 v7, 3, v21
	s_mov_b32 s27, exec_lo
	v_cmpx_gt_u32_e32 8, v21
; %bb.572:                              ;   in Loop: Header=BB183_423 Depth=1
	v_ffbh_u32_e32 v7, v5
	v_min_u32_e32 v7, 32, v7
	v_subrev_nc_u32_e32 v9, 28, v7
	v_sub_nc_u32_e32 v7, 29, v7
	v_lshlrev_b64 v[19:20], v9, v[5:6]
	v_and_b32_e32 v5, 7, v19
; %bb.573:                              ;   in Loop: Header=BB183_423 Depth=1
	s_or_b32 exec_lo, exec_lo, s27
	v_lshlrev_b32_e32 v9, 16, v69
	v_lshlrev_b32_e32 v5, 20, v5
	v_lshl_add_u32 v7, v7, 23, 0x3c000000
	v_mov_b32_e32 v19, v6
	v_and_b32_e32 v9, 0x80000000, v9
	v_or3_b32 v20, v5, v9, v7
.LBB183_574:                            ;   in Loop: Header=BB183_423 Depth=1
	s_or_b32 exec_lo, exec_lo, s26
.LBB183_575:                            ;   in Loop: Header=BB183_423 Depth=1
	s_or_b32 exec_lo, exec_lo, s22
.LBB183_576:                            ;   in Loop: Header=BB183_423 Depth=1
	s_or_b32 exec_lo, exec_lo, s21
	v_mov_b32_e32 v23, 0
	v_mov_b32_e32 v21, 0
	v_and_b32_sdwa v5, v69, v43 dst_sel:DWORD dst_unused:UNUSED_PAD src0_sel:WORD_1 src1_sel:DWORD
	v_mov_b32_e32 v24, 0
	v_mov_b32_e32 v22, 0
	s_mov_b32 s21, exec_lo
	v_cmpx_ne_u16_e32 0, v5
	s_cbranch_execz .LBB183_584
; %bb.577:                              ;   in Loop: Header=BB183_423 Depth=1
	v_bfrev_b32_e32 v21, 1
	v_mov_b32_e32 v22, 0
	s_mov_b32 s22, exec_lo
	v_cmpx_ne_u16_e32 0x80, v5
	s_cbranch_execz .LBB183_583
; %bb.578:                              ;   in Loop: Header=BB183_423 Depth=1
	v_mov_b32_e32 v21, 0x7f800001
	v_bfe_u32 v9, v69, 16, 7
	v_mov_b32_e32 v22, 0
	s_mov_b32 s26, exec_lo
	v_cmpx_ne_u32_e32 0x7f, v9
	s_cbranch_execz .LBB183_582
; %bb.579:                              ;   in Loop: Header=BB183_423 Depth=1
	v_and_b32_sdwa v5, v69, v44 dst_sel:DWORD dst_unused:UNUSED_PAD src0_sel:WORD_1 src1_sel:DWORD
	v_lshrrev_b32_e32 v7, 3, v9
	s_mov_b32 s27, exec_lo
	v_cmpx_gt_u32_e32 8, v9
; %bb.580:                              ;   in Loop: Header=BB183_423 Depth=1
	v_ffbh_u32_e32 v7, v5
	v_min_u32_e32 v7, 32, v7
	v_subrev_nc_u32_e32 v9, 28, v7
	v_sub_nc_u32_e32 v7, 29, v7
	v_lshlrev_b64 v[21:22], v9, v[5:6]
	v_and_b32_e32 v5, 7, v21
; %bb.581:                              ;   in Loop: Header=BB183_423 Depth=1
	s_or_b32 exec_lo, exec_lo, s27
	v_lshlrev_b32_sdwa v9, v45, v69 dst_sel:DWORD dst_unused:UNUSED_PAD src0_sel:DWORD src1_sel:WORD_1
	v_lshlrev_b32_e32 v5, 20, v5
	v_lshl_add_u32 v7, v7, 23, 0x3c000000
	v_and_b32_e32 v9, 0x80000000, v9
	v_or3_b32 v5, v5, v9, v7
	v_mov_b32_e32 v22, v6
	v_mov_b32_e32 v21, v5
.LBB183_582:                            ;   in Loop: Header=BB183_423 Depth=1
	s_or_b32 exec_lo, exec_lo, s26
.LBB183_583:                            ;   in Loop: Header=BB183_423 Depth=1
	s_or_b32 exec_lo, exec_lo, s22
.LBB183_584:                            ;   in Loop: Header=BB183_423 Depth=1
	s_or_b32 exec_lo, exec_lo, s21
	s_mov_b32 s21, exec_lo
	v_cmpx_lt_u32_e32 0xffffff, v69
	s_cbranch_execz .LBB183_592
; %bb.585:                              ;   in Loop: Header=BB183_423 Depth=1
	v_mov_b32_e32 v7, v6
	v_mov_b32_e32 v24, v8
	v_cmp_ne_u32_sdwa s0, v69, v41 src0_sel:BYTE_3 src1_sel:DWORD
	v_mov_b32_e32 v23, v7
	s_and_saveexec_b32 s22, s0
	s_cbranch_execz .LBB183_591
; %bb.586:                              ;   in Loop: Header=BB183_423 Depth=1
	v_mov_b32_e32 v9, v6
	v_mov_b32_e32 v24, v10
	v_bfe_u32 v70, v69, 24, 7
	s_mov_b32 s26, exec_lo
	v_mov_b32_e32 v23, v9
	v_cmpx_ne_u32_e32 0x7f, v70
	s_cbranch_execz .LBB183_590
; %bb.587:                              ;   in Loop: Header=BB183_423 Depth=1
	v_and_b32_sdwa v5, v69, v44 dst_sel:DWORD dst_unused:UNUSED_PAD src0_sel:BYTE_3 src1_sel:DWORD
	v_lshrrev_b32_e32 v7, 3, v70
	s_mov_b32 s27, exec_lo
	v_cmpx_gt_u32_e32 8, v70
; %bb.588:                              ;   in Loop: Header=BB183_423 Depth=1
	v_ffbh_u32_e32 v7, v5
	v_min_u32_e32 v7, 32, v7
	v_subrev_nc_u32_e32 v9, 28, v7
	v_sub_nc_u32_e32 v7, 29, v7
	v_lshlrev_b64 v[23:24], v9, v[5:6]
	v_and_b32_e32 v5, 7, v23
; %bb.589:                              ;   in Loop: Header=BB183_423 Depth=1
	s_or_b32 exec_lo, exec_lo, s27
	v_lshlrev_b32_sdwa v9, v45, v69 dst_sel:DWORD dst_unused:UNUSED_PAD src0_sel:DWORD src1_sel:BYTE_3
	v_lshlrev_b32_e32 v5, 20, v5
	v_lshl_add_u32 v7, v7, 23, 0x3c000000
	v_mov_b32_e32 v23, v6
	v_and_b32_e32 v9, 0x80000000, v9
	v_or3_b32 v24, v5, v9, v7
.LBB183_590:                            ;   in Loop: Header=BB183_423 Depth=1
	s_or_b32 exec_lo, exec_lo, s26
.LBB183_591:                            ;   in Loop: Header=BB183_423 Depth=1
	s_or_b32 exec_lo, exec_lo, s22
.LBB183_592:                            ;   in Loop: Header=BB183_423 Depth=1
	s_or_b32 exec_lo, exec_lo, s21
	v_or_b32_e32 v5, v20, v18
	v_or_b32_e32 v7, v19, v17
	;; [unrolled: 1-line block ×4, first 2 shown]
	v_mul_f32_e32 v71, s18, v5
	v_mul_f32_e32 v72, s17, v7
	v_mul_f32_e32 v70, s17, v9
	v_mul_f32_e32 v69, s18, v17
	s_and_saveexec_b32 s21, vcc_lo
	s_cbranch_execz .LBB183_594
; %bb.593:                              ;   in Loop: Header=BB183_423 Depth=1
	v_cmp_gt_i32_e64 s0, s33, v53
	v_cndmask_b32_e64 v72, 0, v72, s0
	v_cmp_gt_i32_e64 s0, s33, v56
	v_cndmask_b32_e64 v71, 0, v71, s0
	;; [unrolled: 2-line block ×4, first 2 shown]
.LBB183_594:                            ;   in Loop: Header=BB183_423 Depth=1
	s_or_b32 exec_lo, exec_lo, s21
	global_load_dword v73, v[15:16], off offset:640
	v_mov_b32_e32 v19, 0
	v_mov_b32_e32 v17, 0
	;; [unrolled: 1-line block ×4, first 2 shown]
	s_waitcnt vmcnt(0)
	v_cmp_ne_u16_sdwa s0, v73, v6 src0_sel:BYTE_0 src1_sel:DWORD
	s_and_saveexec_b32 s21, s0
	s_cbranch_execz .LBB183_602
; %bb.595:                              ;   in Loop: Header=BB183_423 Depth=1
	v_bfrev_b32_e32 v17, 1
	v_mov_b32_e32 v18, 0
	v_cmp_ne_u16_sdwa s0, v73, v41 src0_sel:BYTE_0 src1_sel:DWORD
	s_and_saveexec_b32 s22, s0
	s_cbranch_execz .LBB183_601
; %bb.596:                              ;   in Loop: Header=BB183_423 Depth=1
	v_mov_b32_e32 v17, 0x7f800001
	v_and_b32_e32 v9, 0x7f, v73
	v_mov_b32_e32 v18, 0
	s_mov_b32 s26, exec_lo
	v_cmpx_ne_u32_e32 0x7f, v9
	s_cbranch_execz .LBB183_600
; %bb.597:                              ;   in Loop: Header=BB183_423 Depth=1
	v_and_b32_e32 v5, 7, v73
	v_lshrrev_b32_e32 v7, 3, v9
	s_mov_b32 s27, exec_lo
	v_cmpx_gt_u32_e32 8, v9
; %bb.598:                              ;   in Loop: Header=BB183_423 Depth=1
	v_ffbh_u32_e32 v7, v5
	v_min_u32_e32 v7, 32, v7
	v_subrev_nc_u32_e32 v9, 28, v7
	v_sub_nc_u32_e32 v7, 29, v7
	v_lshlrev_b64 v[17:18], v9, v[5:6]
	v_and_b32_e32 v5, 7, v17
; %bb.599:                              ;   in Loop: Header=BB183_423 Depth=1
	s_or_b32 exec_lo, exec_lo, s27
	v_lshlrev_b32_e32 v9, 24, v73
	v_lshlrev_b32_e32 v5, 20, v5
	v_lshl_add_u32 v7, v7, 23, 0x3c000000
	v_and_b32_e32 v9, 0x80000000, v9
	v_or3_b32 v5, v5, v9, v7
	v_mov_b32_e32 v18, v6
	v_mov_b32_e32 v17, v5
.LBB183_600:                            ;   in Loop: Header=BB183_423 Depth=1
	s_or_b32 exec_lo, exec_lo, s26
.LBB183_601:                            ;   in Loop: Header=BB183_423 Depth=1
	s_or_b32 exec_lo, exec_lo, s22
.LBB183_602:                            ;   in Loop: Header=BB183_423 Depth=1
	s_or_b32 exec_lo, exec_lo, s21
	v_cmp_ne_u16_sdwa s0, v73, v6 src0_sel:BYTE_1 src1_sel:DWORD
	s_and_saveexec_b32 s21, s0
	s_cbranch_execz .LBB183_610
; %bb.603:                              ;   in Loop: Header=BB183_423 Depth=1
	v_mov_b32_e32 v7, v6
	v_mov_b32_e32 v20, v8
	v_cmp_ne_u16_sdwa s0, v73, v41 src0_sel:BYTE_1 src1_sel:DWORD
	v_mov_b32_e32 v19, v7
	s_and_saveexec_b32 s22, s0
	s_cbranch_execz .LBB183_609
; %bb.604:                              ;   in Loop: Header=BB183_423 Depth=1
	v_and_b32_sdwa v5, v42, v73 dst_sel:DWORD dst_unused:UNUSED_PAD src0_sel:DWORD src1_sel:BYTE_1
	v_mov_b32_e32 v9, v6
	v_mov_b32_e32 v20, v10
	s_mov_b32 s26, exec_lo
	v_and_b32_e32 v21, 0x7f, v5
	v_mov_b32_e32 v19, v9
	v_cmpx_ne_u32_e32 0x7f, v21
	s_cbranch_execz .LBB183_608
; %bb.605:                              ;   in Loop: Header=BB183_423 Depth=1
	v_and_b32_e32 v5, 7, v5
	v_lshrrev_b32_e32 v7, 3, v21
	s_mov_b32 s27, exec_lo
	v_cmpx_gt_u32_e32 8, v21
; %bb.606:                              ;   in Loop: Header=BB183_423 Depth=1
	v_ffbh_u32_e32 v7, v5
	v_min_u32_e32 v7, 32, v7
	v_subrev_nc_u32_e32 v9, 28, v7
	v_sub_nc_u32_e32 v7, 29, v7
	v_lshlrev_b64 v[19:20], v9, v[5:6]
	v_and_b32_e32 v5, 7, v19
; %bb.607:                              ;   in Loop: Header=BB183_423 Depth=1
	s_or_b32 exec_lo, exec_lo, s27
	v_lshlrev_b32_e32 v9, 16, v73
	v_lshlrev_b32_e32 v5, 20, v5
	v_lshl_add_u32 v7, v7, 23, 0x3c000000
	v_mov_b32_e32 v19, v6
	v_and_b32_e32 v9, 0x80000000, v9
	v_or3_b32 v20, v5, v9, v7
.LBB183_608:                            ;   in Loop: Header=BB183_423 Depth=1
	s_or_b32 exec_lo, exec_lo, s26
.LBB183_609:                            ;   in Loop: Header=BB183_423 Depth=1
	s_or_b32 exec_lo, exec_lo, s22
.LBB183_610:                            ;   in Loop: Header=BB183_423 Depth=1
	s_or_b32 exec_lo, exec_lo, s21
	v_mov_b32_e32 v23, 0
	v_mov_b32_e32 v21, 0
	v_and_b32_sdwa v5, v73, v43 dst_sel:DWORD dst_unused:UNUSED_PAD src0_sel:WORD_1 src1_sel:DWORD
	v_mov_b32_e32 v24, 0
	v_mov_b32_e32 v22, 0
	s_mov_b32 s21, exec_lo
	v_cmpx_ne_u16_e32 0, v5
	s_cbranch_execz .LBB183_618
; %bb.611:                              ;   in Loop: Header=BB183_423 Depth=1
	v_bfrev_b32_e32 v21, 1
	v_mov_b32_e32 v22, 0
	s_mov_b32 s22, exec_lo
	v_cmpx_ne_u16_e32 0x80, v5
	s_cbranch_execz .LBB183_617
; %bb.612:                              ;   in Loop: Header=BB183_423 Depth=1
	v_mov_b32_e32 v21, 0x7f800001
	v_bfe_u32 v9, v73, 16, 7
	v_mov_b32_e32 v22, 0
	s_mov_b32 s26, exec_lo
	v_cmpx_ne_u32_e32 0x7f, v9
	s_cbranch_execz .LBB183_616
; %bb.613:                              ;   in Loop: Header=BB183_423 Depth=1
	v_and_b32_sdwa v5, v73, v44 dst_sel:DWORD dst_unused:UNUSED_PAD src0_sel:WORD_1 src1_sel:DWORD
	v_lshrrev_b32_e32 v7, 3, v9
	s_mov_b32 s27, exec_lo
	v_cmpx_gt_u32_e32 8, v9
; %bb.614:                              ;   in Loop: Header=BB183_423 Depth=1
	v_ffbh_u32_e32 v7, v5
	v_min_u32_e32 v7, 32, v7
	v_subrev_nc_u32_e32 v9, 28, v7
	v_sub_nc_u32_e32 v7, 29, v7
	v_lshlrev_b64 v[21:22], v9, v[5:6]
	v_and_b32_e32 v5, 7, v21
; %bb.615:                              ;   in Loop: Header=BB183_423 Depth=1
	s_or_b32 exec_lo, exec_lo, s27
	v_lshlrev_b32_sdwa v9, v45, v73 dst_sel:DWORD dst_unused:UNUSED_PAD src0_sel:DWORD src1_sel:WORD_1
	v_lshlrev_b32_e32 v5, 20, v5
	v_lshl_add_u32 v7, v7, 23, 0x3c000000
	v_and_b32_e32 v9, 0x80000000, v9
	v_or3_b32 v5, v5, v9, v7
	v_mov_b32_e32 v22, v6
	v_mov_b32_e32 v21, v5
.LBB183_616:                            ;   in Loop: Header=BB183_423 Depth=1
	s_or_b32 exec_lo, exec_lo, s26
.LBB183_617:                            ;   in Loop: Header=BB183_423 Depth=1
	s_or_b32 exec_lo, exec_lo, s22
.LBB183_618:                            ;   in Loop: Header=BB183_423 Depth=1
	s_or_b32 exec_lo, exec_lo, s21
	s_mov_b32 s21, exec_lo
	v_cmpx_lt_u32_e32 0xffffff, v73
	s_cbranch_execz .LBB183_626
; %bb.619:                              ;   in Loop: Header=BB183_423 Depth=1
	v_mov_b32_e32 v7, v6
	v_mov_b32_e32 v24, v8
	v_cmp_ne_u32_sdwa s0, v73, v41 src0_sel:BYTE_3 src1_sel:DWORD
	v_mov_b32_e32 v23, v7
	s_and_saveexec_b32 s22, s0
	s_cbranch_execz .LBB183_625
; %bb.620:                              ;   in Loop: Header=BB183_423 Depth=1
	v_mov_b32_e32 v9, v6
	v_mov_b32_e32 v24, v10
	v_bfe_u32 v74, v73, 24, 7
	s_mov_b32 s26, exec_lo
	v_mov_b32_e32 v23, v9
	v_cmpx_ne_u32_e32 0x7f, v74
	s_cbranch_execz .LBB183_624
; %bb.621:                              ;   in Loop: Header=BB183_423 Depth=1
	v_and_b32_sdwa v5, v73, v44 dst_sel:DWORD dst_unused:UNUSED_PAD src0_sel:BYTE_3 src1_sel:DWORD
	v_lshrrev_b32_e32 v7, 3, v74
	s_mov_b32 s27, exec_lo
	v_cmpx_gt_u32_e32 8, v74
; %bb.622:                              ;   in Loop: Header=BB183_423 Depth=1
	v_ffbh_u32_e32 v7, v5
	v_min_u32_e32 v7, 32, v7
	v_subrev_nc_u32_e32 v9, 28, v7
	v_sub_nc_u32_e32 v7, 29, v7
	v_lshlrev_b64 v[23:24], v9, v[5:6]
	v_and_b32_e32 v5, 7, v23
; %bb.623:                              ;   in Loop: Header=BB183_423 Depth=1
	s_or_b32 exec_lo, exec_lo, s27
	v_lshlrev_b32_sdwa v9, v45, v73 dst_sel:DWORD dst_unused:UNUSED_PAD src0_sel:DWORD src1_sel:BYTE_3
	v_lshlrev_b32_e32 v5, 20, v5
	v_lshl_add_u32 v7, v7, 23, 0x3c000000
	v_mov_b32_e32 v23, v6
	v_and_b32_e32 v9, 0x80000000, v9
	v_or3_b32 v24, v5, v9, v7
.LBB183_624:                            ;   in Loop: Header=BB183_423 Depth=1
	s_or_b32 exec_lo, exec_lo, s26
.LBB183_625:                            ;   in Loop: Header=BB183_423 Depth=1
	s_or_b32 exec_lo, exec_lo, s22
.LBB183_626:                            ;   in Loop: Header=BB183_423 Depth=1
	s_or_b32 exec_lo, exec_lo, s21
	v_or_b32_e32 v5, v20, v18
	v_or_b32_e32 v7, v19, v17
	;; [unrolled: 1-line block ×4, first 2 shown]
	v_mul_f32_e32 v75, s18, v5
	v_mul_f32_e32 v76, s17, v7
	v_mul_f32_e32 v74, s17, v9
	v_mul_f32_e32 v73, s18, v17
	s_and_saveexec_b32 s21, vcc_lo
	s_cbranch_execz .LBB183_628
; %bb.627:                              ;   in Loop: Header=BB183_423 Depth=1
	v_cmp_gt_i32_e64 s0, s33, v53
	v_cndmask_b32_e64 v76, 0, v76, s0
	v_cmp_gt_i32_e64 s0, s33, v56
	v_cndmask_b32_e64 v75, 0, v75, s0
	;; [unrolled: 2-line block ×4, first 2 shown]
.LBB183_628:                            ;   in Loop: Header=BB183_423 Depth=1
	s_or_b32 exec_lo, exec_lo, s21
	global_load_dword v77, v[15:16], off offset:768
	v_mov_b32_e32 v19, 0
	v_mov_b32_e32 v17, 0
	v_mov_b32_e32 v20, 0
	v_mov_b32_e32 v18, 0
	s_waitcnt vmcnt(0)
	v_cmp_ne_u16_sdwa s0, v77, v6 src0_sel:BYTE_0 src1_sel:DWORD
	s_and_saveexec_b32 s21, s0
	s_cbranch_execz .LBB183_636
; %bb.629:                              ;   in Loop: Header=BB183_423 Depth=1
	v_bfrev_b32_e32 v17, 1
	v_mov_b32_e32 v18, 0
	v_cmp_ne_u16_sdwa s0, v77, v41 src0_sel:BYTE_0 src1_sel:DWORD
	s_and_saveexec_b32 s22, s0
	s_cbranch_execz .LBB183_635
; %bb.630:                              ;   in Loop: Header=BB183_423 Depth=1
	v_mov_b32_e32 v17, 0x7f800001
	v_and_b32_e32 v9, 0x7f, v77
	v_mov_b32_e32 v18, 0
	s_mov_b32 s26, exec_lo
	v_cmpx_ne_u32_e32 0x7f, v9
	s_cbranch_execz .LBB183_634
; %bb.631:                              ;   in Loop: Header=BB183_423 Depth=1
	v_and_b32_e32 v5, 7, v77
	v_lshrrev_b32_e32 v7, 3, v9
	s_mov_b32 s27, exec_lo
	v_cmpx_gt_u32_e32 8, v9
; %bb.632:                              ;   in Loop: Header=BB183_423 Depth=1
	v_ffbh_u32_e32 v7, v5
	v_min_u32_e32 v7, 32, v7
	v_subrev_nc_u32_e32 v9, 28, v7
	v_sub_nc_u32_e32 v7, 29, v7
	v_lshlrev_b64 v[17:18], v9, v[5:6]
	v_and_b32_e32 v5, 7, v17
; %bb.633:                              ;   in Loop: Header=BB183_423 Depth=1
	s_or_b32 exec_lo, exec_lo, s27
	v_lshlrev_b32_e32 v9, 24, v77
	v_lshlrev_b32_e32 v5, 20, v5
	v_lshl_add_u32 v7, v7, 23, 0x3c000000
	v_and_b32_e32 v9, 0x80000000, v9
	v_or3_b32 v5, v5, v9, v7
	v_mov_b32_e32 v18, v6
	v_mov_b32_e32 v17, v5
.LBB183_634:                            ;   in Loop: Header=BB183_423 Depth=1
	s_or_b32 exec_lo, exec_lo, s26
.LBB183_635:                            ;   in Loop: Header=BB183_423 Depth=1
	s_or_b32 exec_lo, exec_lo, s22
.LBB183_636:                            ;   in Loop: Header=BB183_423 Depth=1
	s_or_b32 exec_lo, exec_lo, s21
	v_cmp_ne_u16_sdwa s0, v77, v6 src0_sel:BYTE_1 src1_sel:DWORD
	s_and_saveexec_b32 s21, s0
	s_cbranch_execz .LBB183_644
; %bb.637:                              ;   in Loop: Header=BB183_423 Depth=1
	v_mov_b32_e32 v7, v6
	v_mov_b32_e32 v20, v8
	v_cmp_ne_u16_sdwa s0, v77, v41 src0_sel:BYTE_1 src1_sel:DWORD
	v_mov_b32_e32 v19, v7
	s_and_saveexec_b32 s22, s0
	s_cbranch_execz .LBB183_643
; %bb.638:                              ;   in Loop: Header=BB183_423 Depth=1
	v_and_b32_sdwa v5, v42, v77 dst_sel:DWORD dst_unused:UNUSED_PAD src0_sel:DWORD src1_sel:BYTE_1
	v_mov_b32_e32 v9, v6
	v_mov_b32_e32 v20, v10
	s_mov_b32 s26, exec_lo
	v_and_b32_e32 v21, 0x7f, v5
	v_mov_b32_e32 v19, v9
	v_cmpx_ne_u32_e32 0x7f, v21
	s_cbranch_execz .LBB183_642
; %bb.639:                              ;   in Loop: Header=BB183_423 Depth=1
	v_and_b32_e32 v5, 7, v5
	v_lshrrev_b32_e32 v7, 3, v21
	s_mov_b32 s27, exec_lo
	v_cmpx_gt_u32_e32 8, v21
; %bb.640:                              ;   in Loop: Header=BB183_423 Depth=1
	v_ffbh_u32_e32 v7, v5
	v_min_u32_e32 v7, 32, v7
	v_subrev_nc_u32_e32 v9, 28, v7
	v_sub_nc_u32_e32 v7, 29, v7
	v_lshlrev_b64 v[19:20], v9, v[5:6]
	v_and_b32_e32 v5, 7, v19
; %bb.641:                              ;   in Loop: Header=BB183_423 Depth=1
	s_or_b32 exec_lo, exec_lo, s27
	v_lshlrev_b32_e32 v9, 16, v77
	v_lshlrev_b32_e32 v5, 20, v5
	v_lshl_add_u32 v7, v7, 23, 0x3c000000
	v_mov_b32_e32 v19, v6
	v_and_b32_e32 v9, 0x80000000, v9
	v_or3_b32 v20, v5, v9, v7
.LBB183_642:                            ;   in Loop: Header=BB183_423 Depth=1
	s_or_b32 exec_lo, exec_lo, s26
.LBB183_643:                            ;   in Loop: Header=BB183_423 Depth=1
	s_or_b32 exec_lo, exec_lo, s22
.LBB183_644:                            ;   in Loop: Header=BB183_423 Depth=1
	s_or_b32 exec_lo, exec_lo, s21
	v_mov_b32_e32 v23, 0
	v_mov_b32_e32 v21, 0
	v_and_b32_sdwa v5, v77, v43 dst_sel:DWORD dst_unused:UNUSED_PAD src0_sel:WORD_1 src1_sel:DWORD
	v_mov_b32_e32 v24, 0
	v_mov_b32_e32 v22, 0
	s_mov_b32 s21, exec_lo
	v_cmpx_ne_u16_e32 0, v5
	s_cbranch_execz .LBB183_652
; %bb.645:                              ;   in Loop: Header=BB183_423 Depth=1
	v_bfrev_b32_e32 v21, 1
	v_mov_b32_e32 v22, 0
	s_mov_b32 s22, exec_lo
	v_cmpx_ne_u16_e32 0x80, v5
	s_cbranch_execz .LBB183_651
; %bb.646:                              ;   in Loop: Header=BB183_423 Depth=1
	v_mov_b32_e32 v21, 0x7f800001
	v_bfe_u32 v9, v77, 16, 7
	v_mov_b32_e32 v22, 0
	s_mov_b32 s26, exec_lo
	v_cmpx_ne_u32_e32 0x7f, v9
	s_cbranch_execz .LBB183_650
; %bb.647:                              ;   in Loop: Header=BB183_423 Depth=1
	v_and_b32_sdwa v5, v77, v44 dst_sel:DWORD dst_unused:UNUSED_PAD src0_sel:WORD_1 src1_sel:DWORD
	v_lshrrev_b32_e32 v7, 3, v9
	s_mov_b32 s27, exec_lo
	v_cmpx_gt_u32_e32 8, v9
; %bb.648:                              ;   in Loop: Header=BB183_423 Depth=1
	v_ffbh_u32_e32 v7, v5
	v_min_u32_e32 v7, 32, v7
	v_subrev_nc_u32_e32 v9, 28, v7
	v_sub_nc_u32_e32 v7, 29, v7
	v_lshlrev_b64 v[21:22], v9, v[5:6]
	v_and_b32_e32 v5, 7, v21
; %bb.649:                              ;   in Loop: Header=BB183_423 Depth=1
	s_or_b32 exec_lo, exec_lo, s27
	v_lshlrev_b32_sdwa v9, v45, v77 dst_sel:DWORD dst_unused:UNUSED_PAD src0_sel:DWORD src1_sel:WORD_1
	v_lshlrev_b32_e32 v5, 20, v5
	v_lshl_add_u32 v7, v7, 23, 0x3c000000
	v_and_b32_e32 v9, 0x80000000, v9
	v_or3_b32 v5, v5, v9, v7
	v_mov_b32_e32 v22, v6
	v_mov_b32_e32 v21, v5
.LBB183_650:                            ;   in Loop: Header=BB183_423 Depth=1
	s_or_b32 exec_lo, exec_lo, s26
.LBB183_651:                            ;   in Loop: Header=BB183_423 Depth=1
	s_or_b32 exec_lo, exec_lo, s22
.LBB183_652:                            ;   in Loop: Header=BB183_423 Depth=1
	s_or_b32 exec_lo, exec_lo, s21
	s_mov_b32 s21, exec_lo
	v_cmpx_lt_u32_e32 0xffffff, v77
	s_cbranch_execz .LBB183_660
; %bb.653:                              ;   in Loop: Header=BB183_423 Depth=1
	v_mov_b32_e32 v7, v6
	v_mov_b32_e32 v24, v8
	v_cmp_ne_u32_sdwa s0, v77, v41 src0_sel:BYTE_3 src1_sel:DWORD
	v_mov_b32_e32 v23, v7
	s_and_saveexec_b32 s22, s0
	s_cbranch_execz .LBB183_659
; %bb.654:                              ;   in Loop: Header=BB183_423 Depth=1
	v_mov_b32_e32 v9, v6
	v_mov_b32_e32 v24, v10
	v_bfe_u32 v78, v77, 24, 7
	s_mov_b32 s26, exec_lo
	v_mov_b32_e32 v23, v9
	v_cmpx_ne_u32_e32 0x7f, v78
	s_cbranch_execz .LBB183_658
; %bb.655:                              ;   in Loop: Header=BB183_423 Depth=1
	v_and_b32_sdwa v5, v77, v44 dst_sel:DWORD dst_unused:UNUSED_PAD src0_sel:BYTE_3 src1_sel:DWORD
	v_lshrrev_b32_e32 v7, 3, v78
	s_mov_b32 s27, exec_lo
	v_cmpx_gt_u32_e32 8, v78
; %bb.656:                              ;   in Loop: Header=BB183_423 Depth=1
	v_ffbh_u32_e32 v7, v5
	v_min_u32_e32 v7, 32, v7
	v_subrev_nc_u32_e32 v9, 28, v7
	v_sub_nc_u32_e32 v7, 29, v7
	v_lshlrev_b64 v[23:24], v9, v[5:6]
	v_and_b32_e32 v5, 7, v23
; %bb.657:                              ;   in Loop: Header=BB183_423 Depth=1
	s_or_b32 exec_lo, exec_lo, s27
	v_lshlrev_b32_sdwa v9, v45, v77 dst_sel:DWORD dst_unused:UNUSED_PAD src0_sel:DWORD src1_sel:BYTE_3
	v_lshlrev_b32_e32 v5, 20, v5
	v_lshl_add_u32 v7, v7, 23, 0x3c000000
	v_mov_b32_e32 v23, v6
	v_and_b32_e32 v9, 0x80000000, v9
	v_or3_b32 v24, v5, v9, v7
.LBB183_658:                            ;   in Loop: Header=BB183_423 Depth=1
	s_or_b32 exec_lo, exec_lo, s26
.LBB183_659:                            ;   in Loop: Header=BB183_423 Depth=1
	s_or_b32 exec_lo, exec_lo, s22
.LBB183_660:                            ;   in Loop: Header=BB183_423 Depth=1
	s_or_b32 exec_lo, exec_lo, s21
	v_or_b32_e32 v5, v20, v18
	v_or_b32_e32 v7, v19, v17
	;; [unrolled: 1-line block ×4, first 2 shown]
	v_mul_f32_e32 v79, s18, v5
	v_mul_f32_e32 v80, s17, v7
	;; [unrolled: 1-line block ×4, first 2 shown]
	s_and_saveexec_b32 s21, vcc_lo
	s_cbranch_execz .LBB183_662
; %bb.661:                              ;   in Loop: Header=BB183_423 Depth=1
	v_cmp_gt_i32_e64 s0, s33, v53
	v_cndmask_b32_e64 v80, 0, v80, s0
	v_cmp_gt_i32_e64 s0, s33, v56
	v_cndmask_b32_e64 v79, 0, v79, s0
	;; [unrolled: 2-line block ×4, first 2 shown]
.LBB183_662:                            ;   in Loop: Header=BB183_423 Depth=1
	s_or_b32 exec_lo, exec_lo, s21
	global_load_dword v81, v[15:16], off offset:896
	v_mov_b32_e32 v19, 0
	v_mov_b32_e32 v17, 0
	;; [unrolled: 1-line block ×4, first 2 shown]
	s_waitcnt vmcnt(0)
	v_cmp_ne_u16_sdwa s0, v81, v6 src0_sel:BYTE_0 src1_sel:DWORD
	s_and_saveexec_b32 s21, s0
	s_cbranch_execz .LBB183_670
; %bb.663:                              ;   in Loop: Header=BB183_423 Depth=1
	v_bfrev_b32_e32 v17, 1
	v_mov_b32_e32 v18, 0
	v_cmp_ne_u16_sdwa s0, v81, v41 src0_sel:BYTE_0 src1_sel:DWORD
	s_and_saveexec_b32 s22, s0
	s_cbranch_execz .LBB183_669
; %bb.664:                              ;   in Loop: Header=BB183_423 Depth=1
	v_mov_b32_e32 v17, 0x7f800001
	v_and_b32_e32 v9, 0x7f, v81
	v_mov_b32_e32 v18, 0
	s_mov_b32 s26, exec_lo
	v_cmpx_ne_u32_e32 0x7f, v9
	s_cbranch_execz .LBB183_668
; %bb.665:                              ;   in Loop: Header=BB183_423 Depth=1
	v_and_b32_e32 v5, 7, v81
	v_lshrrev_b32_e32 v7, 3, v9
	s_mov_b32 s27, exec_lo
	v_cmpx_gt_u32_e32 8, v9
; %bb.666:                              ;   in Loop: Header=BB183_423 Depth=1
	v_ffbh_u32_e32 v7, v5
	v_min_u32_e32 v7, 32, v7
	v_subrev_nc_u32_e32 v9, 28, v7
	v_sub_nc_u32_e32 v7, 29, v7
	v_lshlrev_b64 v[17:18], v9, v[5:6]
	v_and_b32_e32 v5, 7, v17
; %bb.667:                              ;   in Loop: Header=BB183_423 Depth=1
	s_or_b32 exec_lo, exec_lo, s27
	v_lshlrev_b32_e32 v9, 24, v81
	v_lshlrev_b32_e32 v5, 20, v5
	v_lshl_add_u32 v7, v7, 23, 0x3c000000
	v_and_b32_e32 v9, 0x80000000, v9
	v_or3_b32 v5, v5, v9, v7
	v_mov_b32_e32 v18, v6
	v_mov_b32_e32 v17, v5
.LBB183_668:                            ;   in Loop: Header=BB183_423 Depth=1
	s_or_b32 exec_lo, exec_lo, s26
.LBB183_669:                            ;   in Loop: Header=BB183_423 Depth=1
	s_or_b32 exec_lo, exec_lo, s22
.LBB183_670:                            ;   in Loop: Header=BB183_423 Depth=1
	s_or_b32 exec_lo, exec_lo, s21
	v_cmp_ne_u16_sdwa s0, v81, v6 src0_sel:BYTE_1 src1_sel:DWORD
	s_and_saveexec_b32 s21, s0
	s_cbranch_execz .LBB183_678
; %bb.671:                              ;   in Loop: Header=BB183_423 Depth=1
	v_mov_b32_e32 v7, v6
	v_mov_b32_e32 v20, v8
	v_cmp_ne_u16_sdwa s0, v81, v41 src0_sel:BYTE_1 src1_sel:DWORD
	v_mov_b32_e32 v19, v7
	s_and_saveexec_b32 s22, s0
	s_cbranch_execz .LBB183_677
; %bb.672:                              ;   in Loop: Header=BB183_423 Depth=1
	v_and_b32_sdwa v5, v42, v81 dst_sel:DWORD dst_unused:UNUSED_PAD src0_sel:DWORD src1_sel:BYTE_1
	v_mov_b32_e32 v9, v6
	v_mov_b32_e32 v20, v10
	s_mov_b32 s26, exec_lo
	v_and_b32_e32 v21, 0x7f, v5
	v_mov_b32_e32 v19, v9
	v_cmpx_ne_u32_e32 0x7f, v21
	s_cbranch_execz .LBB183_676
; %bb.673:                              ;   in Loop: Header=BB183_423 Depth=1
	v_and_b32_e32 v5, 7, v5
	v_lshrrev_b32_e32 v7, 3, v21
	s_mov_b32 s27, exec_lo
	v_cmpx_gt_u32_e32 8, v21
; %bb.674:                              ;   in Loop: Header=BB183_423 Depth=1
	v_ffbh_u32_e32 v7, v5
	v_min_u32_e32 v7, 32, v7
	v_subrev_nc_u32_e32 v9, 28, v7
	v_sub_nc_u32_e32 v7, 29, v7
	v_lshlrev_b64 v[19:20], v9, v[5:6]
	v_and_b32_e32 v5, 7, v19
; %bb.675:                              ;   in Loop: Header=BB183_423 Depth=1
	s_or_b32 exec_lo, exec_lo, s27
	v_lshlrev_b32_e32 v9, 16, v81
	v_lshlrev_b32_e32 v5, 20, v5
	v_lshl_add_u32 v7, v7, 23, 0x3c000000
	v_mov_b32_e32 v19, v6
	v_and_b32_e32 v9, 0x80000000, v9
	v_or3_b32 v20, v5, v9, v7
.LBB183_676:                            ;   in Loop: Header=BB183_423 Depth=1
	s_or_b32 exec_lo, exec_lo, s26
.LBB183_677:                            ;   in Loop: Header=BB183_423 Depth=1
	s_or_b32 exec_lo, exec_lo, s22
.LBB183_678:                            ;   in Loop: Header=BB183_423 Depth=1
	s_or_b32 exec_lo, exec_lo, s21
	v_mov_b32_e32 v23, 0
	v_mov_b32_e32 v21, 0
	v_and_b32_sdwa v5, v81, v43 dst_sel:DWORD dst_unused:UNUSED_PAD src0_sel:WORD_1 src1_sel:DWORD
	v_mov_b32_e32 v24, 0
	v_mov_b32_e32 v22, 0
	s_mov_b32 s21, exec_lo
	v_cmpx_ne_u16_e32 0, v5
	s_cbranch_execz .LBB183_686
; %bb.679:                              ;   in Loop: Header=BB183_423 Depth=1
	v_bfrev_b32_e32 v21, 1
	v_mov_b32_e32 v22, 0
	s_mov_b32 s22, exec_lo
	v_cmpx_ne_u16_e32 0x80, v5
	s_cbranch_execz .LBB183_685
; %bb.680:                              ;   in Loop: Header=BB183_423 Depth=1
	v_mov_b32_e32 v21, 0x7f800001
	v_bfe_u32 v9, v81, 16, 7
	v_mov_b32_e32 v22, 0
	s_mov_b32 s26, exec_lo
	v_cmpx_ne_u32_e32 0x7f, v9
	s_cbranch_execz .LBB183_684
; %bb.681:                              ;   in Loop: Header=BB183_423 Depth=1
	v_and_b32_sdwa v5, v81, v44 dst_sel:DWORD dst_unused:UNUSED_PAD src0_sel:WORD_1 src1_sel:DWORD
	v_lshrrev_b32_e32 v7, 3, v9
	s_mov_b32 s27, exec_lo
	v_cmpx_gt_u32_e32 8, v9
; %bb.682:                              ;   in Loop: Header=BB183_423 Depth=1
	v_ffbh_u32_e32 v7, v5
	v_min_u32_e32 v7, 32, v7
	v_subrev_nc_u32_e32 v9, 28, v7
	v_sub_nc_u32_e32 v7, 29, v7
	v_lshlrev_b64 v[21:22], v9, v[5:6]
	v_and_b32_e32 v5, 7, v21
; %bb.683:                              ;   in Loop: Header=BB183_423 Depth=1
	s_or_b32 exec_lo, exec_lo, s27
	v_lshlrev_b32_sdwa v9, v45, v81 dst_sel:DWORD dst_unused:UNUSED_PAD src0_sel:DWORD src1_sel:WORD_1
	v_lshlrev_b32_e32 v5, 20, v5
	v_lshl_add_u32 v7, v7, 23, 0x3c000000
	v_and_b32_e32 v9, 0x80000000, v9
	v_or3_b32 v5, v5, v9, v7
	v_mov_b32_e32 v22, v6
	v_mov_b32_e32 v21, v5
.LBB183_684:                            ;   in Loop: Header=BB183_423 Depth=1
	s_or_b32 exec_lo, exec_lo, s26
.LBB183_685:                            ;   in Loop: Header=BB183_423 Depth=1
	s_or_b32 exec_lo, exec_lo, s22
.LBB183_686:                            ;   in Loop: Header=BB183_423 Depth=1
	s_or_b32 exec_lo, exec_lo, s21
	s_mov_b32 s21, exec_lo
	v_cmpx_lt_u32_e32 0xffffff, v81
	s_cbranch_execz .LBB183_694
; %bb.687:                              ;   in Loop: Header=BB183_423 Depth=1
	v_mov_b32_e32 v7, v6
	v_mov_b32_e32 v24, v8
	v_cmp_ne_u32_sdwa s0, v81, v41 src0_sel:BYTE_3 src1_sel:DWORD
	v_mov_b32_e32 v23, v7
	s_and_saveexec_b32 s22, s0
	s_cbranch_execz .LBB183_693
; %bb.688:                              ;   in Loop: Header=BB183_423 Depth=1
	v_mov_b32_e32 v9, v6
	v_mov_b32_e32 v24, v10
	v_bfe_u32 v82, v81, 24, 7
	s_mov_b32 s26, exec_lo
	v_mov_b32_e32 v23, v9
	v_cmpx_ne_u32_e32 0x7f, v82
	s_cbranch_execz .LBB183_692
; %bb.689:                              ;   in Loop: Header=BB183_423 Depth=1
	v_and_b32_sdwa v5, v81, v44 dst_sel:DWORD dst_unused:UNUSED_PAD src0_sel:BYTE_3 src1_sel:DWORD
	v_lshrrev_b32_e32 v7, 3, v82
	s_mov_b32 s27, exec_lo
	v_cmpx_gt_u32_e32 8, v82
; %bb.690:                              ;   in Loop: Header=BB183_423 Depth=1
	v_ffbh_u32_e32 v7, v5
	v_min_u32_e32 v7, 32, v7
	v_subrev_nc_u32_e32 v9, 28, v7
	v_sub_nc_u32_e32 v7, 29, v7
	v_lshlrev_b64 v[23:24], v9, v[5:6]
	v_and_b32_e32 v5, 7, v23
; %bb.691:                              ;   in Loop: Header=BB183_423 Depth=1
	s_or_b32 exec_lo, exec_lo, s27
	v_lshlrev_b32_sdwa v9, v45, v81 dst_sel:DWORD dst_unused:UNUSED_PAD src0_sel:DWORD src1_sel:BYTE_3
	v_lshlrev_b32_e32 v5, 20, v5
	v_lshl_add_u32 v7, v7, 23, 0x3c000000
	v_mov_b32_e32 v23, v6
	v_and_b32_e32 v9, 0x80000000, v9
	v_or3_b32 v24, v5, v9, v7
.LBB183_692:                            ;   in Loop: Header=BB183_423 Depth=1
	s_or_b32 exec_lo, exec_lo, s26
.LBB183_693:                            ;   in Loop: Header=BB183_423 Depth=1
	s_or_b32 exec_lo, exec_lo, s22
.LBB183_694:                            ;   in Loop: Header=BB183_423 Depth=1
	s_or_b32 exec_lo, exec_lo, s21
	v_or_b32_e32 v5, v20, v18
	v_or_b32_e32 v7, v19, v17
	;; [unrolled: 1-line block ×4, first 2 shown]
	v_mul_f32_e32 v83, s18, v5
	v_mul_f32_e32 v84, s17, v7
	;; [unrolled: 1-line block ×4, first 2 shown]
	s_and_saveexec_b32 s21, vcc_lo
	s_cbranch_execz .LBB183_696
; %bb.695:                              ;   in Loop: Header=BB183_423 Depth=1
	v_cmp_gt_i32_e64 s0, s33, v53
	v_cndmask_b32_e64 v84, 0, v84, s0
	v_cmp_gt_i32_e64 s0, s33, v56
	v_cndmask_b32_e64 v83, 0, v83, s0
	;; [unrolled: 2-line block ×4, first 2 shown]
.LBB183_696:                            ;   in Loop: Header=BB183_423 Depth=1
	s_or_b32 exec_lo, exec_lo, s21
	global_load_dword v85, v[15:16], off offset:1024
	v_mov_b32_e32 v19, 0
	v_mov_b32_e32 v17, 0
	;; [unrolled: 1-line block ×4, first 2 shown]
	s_waitcnt vmcnt(0)
	v_cmp_ne_u16_sdwa s0, v85, v6 src0_sel:BYTE_0 src1_sel:DWORD
	s_and_saveexec_b32 s21, s0
	s_cbranch_execz .LBB183_704
; %bb.697:                              ;   in Loop: Header=BB183_423 Depth=1
	v_bfrev_b32_e32 v17, 1
	v_mov_b32_e32 v18, 0
	v_cmp_ne_u16_sdwa s0, v85, v41 src0_sel:BYTE_0 src1_sel:DWORD
	s_and_saveexec_b32 s22, s0
	s_cbranch_execz .LBB183_703
; %bb.698:                              ;   in Loop: Header=BB183_423 Depth=1
	v_mov_b32_e32 v17, 0x7f800001
	v_and_b32_e32 v9, 0x7f, v85
	v_mov_b32_e32 v18, 0
	s_mov_b32 s26, exec_lo
	v_cmpx_ne_u32_e32 0x7f, v9
	s_cbranch_execz .LBB183_702
; %bb.699:                              ;   in Loop: Header=BB183_423 Depth=1
	v_and_b32_e32 v5, 7, v85
	v_lshrrev_b32_e32 v7, 3, v9
	s_mov_b32 s27, exec_lo
	v_cmpx_gt_u32_e32 8, v9
; %bb.700:                              ;   in Loop: Header=BB183_423 Depth=1
	v_ffbh_u32_e32 v7, v5
	v_min_u32_e32 v7, 32, v7
	v_subrev_nc_u32_e32 v9, 28, v7
	v_sub_nc_u32_e32 v7, 29, v7
	v_lshlrev_b64 v[17:18], v9, v[5:6]
	v_and_b32_e32 v5, 7, v17
; %bb.701:                              ;   in Loop: Header=BB183_423 Depth=1
	s_or_b32 exec_lo, exec_lo, s27
	v_lshlrev_b32_e32 v9, 24, v85
	v_lshlrev_b32_e32 v5, 20, v5
	v_lshl_add_u32 v7, v7, 23, 0x3c000000
	v_and_b32_e32 v9, 0x80000000, v9
	v_or3_b32 v5, v5, v9, v7
	v_mov_b32_e32 v18, v6
	v_mov_b32_e32 v17, v5
.LBB183_702:                            ;   in Loop: Header=BB183_423 Depth=1
	s_or_b32 exec_lo, exec_lo, s26
.LBB183_703:                            ;   in Loop: Header=BB183_423 Depth=1
	s_or_b32 exec_lo, exec_lo, s22
.LBB183_704:                            ;   in Loop: Header=BB183_423 Depth=1
	s_or_b32 exec_lo, exec_lo, s21
	v_cmp_ne_u16_sdwa s0, v85, v6 src0_sel:BYTE_1 src1_sel:DWORD
	s_and_saveexec_b32 s21, s0
	s_cbranch_execz .LBB183_712
; %bb.705:                              ;   in Loop: Header=BB183_423 Depth=1
	v_mov_b32_e32 v7, v6
	v_mov_b32_e32 v20, v8
	v_cmp_ne_u16_sdwa s0, v85, v41 src0_sel:BYTE_1 src1_sel:DWORD
	v_mov_b32_e32 v19, v7
	s_and_saveexec_b32 s22, s0
	s_cbranch_execz .LBB183_711
; %bb.706:                              ;   in Loop: Header=BB183_423 Depth=1
	v_and_b32_sdwa v5, v42, v85 dst_sel:DWORD dst_unused:UNUSED_PAD src0_sel:DWORD src1_sel:BYTE_1
	v_mov_b32_e32 v9, v6
	v_mov_b32_e32 v20, v10
	s_mov_b32 s26, exec_lo
	v_and_b32_e32 v21, 0x7f, v5
	v_mov_b32_e32 v19, v9
	v_cmpx_ne_u32_e32 0x7f, v21
	s_cbranch_execz .LBB183_710
; %bb.707:                              ;   in Loop: Header=BB183_423 Depth=1
	v_and_b32_e32 v5, 7, v5
	v_lshrrev_b32_e32 v7, 3, v21
	s_mov_b32 s27, exec_lo
	v_cmpx_gt_u32_e32 8, v21
; %bb.708:                              ;   in Loop: Header=BB183_423 Depth=1
	v_ffbh_u32_e32 v7, v5
	v_min_u32_e32 v7, 32, v7
	v_subrev_nc_u32_e32 v9, 28, v7
	v_sub_nc_u32_e32 v7, 29, v7
	v_lshlrev_b64 v[19:20], v9, v[5:6]
	v_and_b32_e32 v5, 7, v19
; %bb.709:                              ;   in Loop: Header=BB183_423 Depth=1
	s_or_b32 exec_lo, exec_lo, s27
	v_lshlrev_b32_e32 v9, 16, v85
	v_lshlrev_b32_e32 v5, 20, v5
	v_lshl_add_u32 v7, v7, 23, 0x3c000000
	v_mov_b32_e32 v19, v6
	v_and_b32_e32 v9, 0x80000000, v9
	v_or3_b32 v20, v5, v9, v7
.LBB183_710:                            ;   in Loop: Header=BB183_423 Depth=1
	s_or_b32 exec_lo, exec_lo, s26
.LBB183_711:                            ;   in Loop: Header=BB183_423 Depth=1
	s_or_b32 exec_lo, exec_lo, s22
.LBB183_712:                            ;   in Loop: Header=BB183_423 Depth=1
	s_or_b32 exec_lo, exec_lo, s21
	v_mov_b32_e32 v23, 0
	v_mov_b32_e32 v21, 0
	v_and_b32_sdwa v5, v85, v43 dst_sel:DWORD dst_unused:UNUSED_PAD src0_sel:WORD_1 src1_sel:DWORD
	v_mov_b32_e32 v24, 0
	v_mov_b32_e32 v22, 0
	s_mov_b32 s21, exec_lo
	v_cmpx_ne_u16_e32 0, v5
	s_cbranch_execz .LBB183_720
; %bb.713:                              ;   in Loop: Header=BB183_423 Depth=1
	v_bfrev_b32_e32 v21, 1
	v_mov_b32_e32 v22, 0
	s_mov_b32 s22, exec_lo
	v_cmpx_ne_u16_e32 0x80, v5
	s_cbranch_execz .LBB183_719
; %bb.714:                              ;   in Loop: Header=BB183_423 Depth=1
	v_mov_b32_e32 v21, 0x7f800001
	v_bfe_u32 v9, v85, 16, 7
	v_mov_b32_e32 v22, 0
	s_mov_b32 s26, exec_lo
	v_cmpx_ne_u32_e32 0x7f, v9
	s_cbranch_execz .LBB183_718
; %bb.715:                              ;   in Loop: Header=BB183_423 Depth=1
	v_and_b32_sdwa v5, v85, v44 dst_sel:DWORD dst_unused:UNUSED_PAD src0_sel:WORD_1 src1_sel:DWORD
	v_lshrrev_b32_e32 v7, 3, v9
	s_mov_b32 s27, exec_lo
	v_cmpx_gt_u32_e32 8, v9
; %bb.716:                              ;   in Loop: Header=BB183_423 Depth=1
	v_ffbh_u32_e32 v7, v5
	v_min_u32_e32 v7, 32, v7
	v_subrev_nc_u32_e32 v9, 28, v7
	v_sub_nc_u32_e32 v7, 29, v7
	v_lshlrev_b64 v[21:22], v9, v[5:6]
	v_and_b32_e32 v5, 7, v21
; %bb.717:                              ;   in Loop: Header=BB183_423 Depth=1
	s_or_b32 exec_lo, exec_lo, s27
	v_lshlrev_b32_sdwa v9, v45, v85 dst_sel:DWORD dst_unused:UNUSED_PAD src0_sel:DWORD src1_sel:WORD_1
	v_lshlrev_b32_e32 v5, 20, v5
	v_lshl_add_u32 v7, v7, 23, 0x3c000000
	v_and_b32_e32 v9, 0x80000000, v9
	v_or3_b32 v5, v5, v9, v7
	v_mov_b32_e32 v22, v6
	v_mov_b32_e32 v21, v5
.LBB183_718:                            ;   in Loop: Header=BB183_423 Depth=1
	s_or_b32 exec_lo, exec_lo, s26
.LBB183_719:                            ;   in Loop: Header=BB183_423 Depth=1
	s_or_b32 exec_lo, exec_lo, s22
.LBB183_720:                            ;   in Loop: Header=BB183_423 Depth=1
	s_or_b32 exec_lo, exec_lo, s21
	s_mov_b32 s21, exec_lo
	v_cmpx_lt_u32_e32 0xffffff, v85
	s_cbranch_execz .LBB183_728
; %bb.721:                              ;   in Loop: Header=BB183_423 Depth=1
	v_mov_b32_e32 v7, v6
	v_mov_b32_e32 v24, v8
	v_cmp_ne_u32_sdwa s0, v85, v41 src0_sel:BYTE_3 src1_sel:DWORD
	v_mov_b32_e32 v23, v7
	s_and_saveexec_b32 s22, s0
	s_cbranch_execz .LBB183_727
; %bb.722:                              ;   in Loop: Header=BB183_423 Depth=1
	v_mov_b32_e32 v9, v6
	v_mov_b32_e32 v24, v10
	v_bfe_u32 v86, v85, 24, 7
	s_mov_b32 s26, exec_lo
	v_mov_b32_e32 v23, v9
	v_cmpx_ne_u32_e32 0x7f, v86
	s_cbranch_execz .LBB183_726
; %bb.723:                              ;   in Loop: Header=BB183_423 Depth=1
	v_and_b32_sdwa v5, v85, v44 dst_sel:DWORD dst_unused:UNUSED_PAD src0_sel:BYTE_3 src1_sel:DWORD
	v_lshrrev_b32_e32 v7, 3, v86
	s_mov_b32 s27, exec_lo
	v_cmpx_gt_u32_e32 8, v86
; %bb.724:                              ;   in Loop: Header=BB183_423 Depth=1
	v_ffbh_u32_e32 v7, v5
	v_min_u32_e32 v7, 32, v7
	v_subrev_nc_u32_e32 v9, 28, v7
	v_sub_nc_u32_e32 v7, 29, v7
	v_lshlrev_b64 v[23:24], v9, v[5:6]
	v_and_b32_e32 v5, 7, v23
; %bb.725:                              ;   in Loop: Header=BB183_423 Depth=1
	s_or_b32 exec_lo, exec_lo, s27
	v_lshlrev_b32_sdwa v9, v45, v85 dst_sel:DWORD dst_unused:UNUSED_PAD src0_sel:DWORD src1_sel:BYTE_3
	v_lshlrev_b32_e32 v5, 20, v5
	v_lshl_add_u32 v7, v7, 23, 0x3c000000
	v_mov_b32_e32 v23, v6
	v_and_b32_e32 v9, 0x80000000, v9
	v_or3_b32 v24, v5, v9, v7
.LBB183_726:                            ;   in Loop: Header=BB183_423 Depth=1
	s_or_b32 exec_lo, exec_lo, s26
.LBB183_727:                            ;   in Loop: Header=BB183_423 Depth=1
	s_or_b32 exec_lo, exec_lo, s22
.LBB183_728:                            ;   in Loop: Header=BB183_423 Depth=1
	s_or_b32 exec_lo, exec_lo, s21
	v_or_b32_e32 v5, v20, v18
	v_or_b32_e32 v7, v19, v17
	;; [unrolled: 1-line block ×4, first 2 shown]
	v_mul_f32_e32 v87, s18, v5
	v_mul_f32_e32 v88, s17, v7
	;; [unrolled: 1-line block ×4, first 2 shown]
	s_and_saveexec_b32 s21, vcc_lo
	s_cbranch_execz .LBB183_730
; %bb.729:                              ;   in Loop: Header=BB183_423 Depth=1
	v_cmp_gt_i32_e64 s0, s33, v53
	v_cndmask_b32_e64 v88, 0, v88, s0
	v_cmp_gt_i32_e64 s0, s33, v56
	v_cndmask_b32_e64 v87, 0, v87, s0
	;; [unrolled: 2-line block ×4, first 2 shown]
.LBB183_730:                            ;   in Loop: Header=BB183_423 Depth=1
	s_or_b32 exec_lo, exec_lo, s21
	global_load_dword v89, v[15:16], off offset:1152
	v_mov_b32_e32 v19, 0
	v_mov_b32_e32 v17, 0
	;; [unrolled: 1-line block ×4, first 2 shown]
	s_waitcnt vmcnt(0)
	v_cmp_ne_u16_sdwa s0, v89, v6 src0_sel:BYTE_0 src1_sel:DWORD
	s_and_saveexec_b32 s21, s0
	s_cbranch_execz .LBB183_738
; %bb.731:                              ;   in Loop: Header=BB183_423 Depth=1
	v_bfrev_b32_e32 v17, 1
	v_mov_b32_e32 v18, 0
	v_cmp_ne_u16_sdwa s0, v89, v41 src0_sel:BYTE_0 src1_sel:DWORD
	s_and_saveexec_b32 s22, s0
	s_cbranch_execz .LBB183_737
; %bb.732:                              ;   in Loop: Header=BB183_423 Depth=1
	v_mov_b32_e32 v17, 0x7f800001
	v_and_b32_e32 v9, 0x7f, v89
	v_mov_b32_e32 v18, 0
	s_mov_b32 s26, exec_lo
	v_cmpx_ne_u32_e32 0x7f, v9
	s_cbranch_execz .LBB183_736
; %bb.733:                              ;   in Loop: Header=BB183_423 Depth=1
	v_and_b32_e32 v5, 7, v89
	v_lshrrev_b32_e32 v7, 3, v9
	s_mov_b32 s27, exec_lo
	v_cmpx_gt_u32_e32 8, v9
; %bb.734:                              ;   in Loop: Header=BB183_423 Depth=1
	v_ffbh_u32_e32 v7, v5
	v_min_u32_e32 v7, 32, v7
	v_subrev_nc_u32_e32 v9, 28, v7
	v_sub_nc_u32_e32 v7, 29, v7
	v_lshlrev_b64 v[17:18], v9, v[5:6]
	v_and_b32_e32 v5, 7, v17
; %bb.735:                              ;   in Loop: Header=BB183_423 Depth=1
	s_or_b32 exec_lo, exec_lo, s27
	v_lshlrev_b32_e32 v9, 24, v89
	v_lshlrev_b32_e32 v5, 20, v5
	v_lshl_add_u32 v7, v7, 23, 0x3c000000
	v_and_b32_e32 v9, 0x80000000, v9
	v_or3_b32 v5, v5, v9, v7
	v_mov_b32_e32 v18, v6
	v_mov_b32_e32 v17, v5
.LBB183_736:                            ;   in Loop: Header=BB183_423 Depth=1
	s_or_b32 exec_lo, exec_lo, s26
.LBB183_737:                            ;   in Loop: Header=BB183_423 Depth=1
	s_or_b32 exec_lo, exec_lo, s22
.LBB183_738:                            ;   in Loop: Header=BB183_423 Depth=1
	s_or_b32 exec_lo, exec_lo, s21
	v_cmp_ne_u16_sdwa s0, v89, v6 src0_sel:BYTE_1 src1_sel:DWORD
	s_and_saveexec_b32 s21, s0
	s_cbranch_execz .LBB183_746
; %bb.739:                              ;   in Loop: Header=BB183_423 Depth=1
	v_mov_b32_e32 v7, v6
	v_mov_b32_e32 v20, v8
	v_cmp_ne_u16_sdwa s0, v89, v41 src0_sel:BYTE_1 src1_sel:DWORD
	v_mov_b32_e32 v19, v7
	s_and_saveexec_b32 s22, s0
	s_cbranch_execz .LBB183_745
; %bb.740:                              ;   in Loop: Header=BB183_423 Depth=1
	v_and_b32_sdwa v5, v42, v89 dst_sel:DWORD dst_unused:UNUSED_PAD src0_sel:DWORD src1_sel:BYTE_1
	v_mov_b32_e32 v9, v6
	v_mov_b32_e32 v20, v10
	s_mov_b32 s26, exec_lo
	v_and_b32_e32 v21, 0x7f, v5
	v_mov_b32_e32 v19, v9
	v_cmpx_ne_u32_e32 0x7f, v21
	s_cbranch_execz .LBB183_744
; %bb.741:                              ;   in Loop: Header=BB183_423 Depth=1
	v_and_b32_e32 v5, 7, v5
	v_lshrrev_b32_e32 v7, 3, v21
	s_mov_b32 s27, exec_lo
	v_cmpx_gt_u32_e32 8, v21
; %bb.742:                              ;   in Loop: Header=BB183_423 Depth=1
	v_ffbh_u32_e32 v7, v5
	v_min_u32_e32 v7, 32, v7
	v_subrev_nc_u32_e32 v9, 28, v7
	v_sub_nc_u32_e32 v7, 29, v7
	v_lshlrev_b64 v[19:20], v9, v[5:6]
	v_and_b32_e32 v5, 7, v19
; %bb.743:                              ;   in Loop: Header=BB183_423 Depth=1
	s_or_b32 exec_lo, exec_lo, s27
	v_lshlrev_b32_e32 v9, 16, v89
	v_lshlrev_b32_e32 v5, 20, v5
	v_lshl_add_u32 v7, v7, 23, 0x3c000000
	v_mov_b32_e32 v19, v6
	v_and_b32_e32 v9, 0x80000000, v9
	v_or3_b32 v20, v5, v9, v7
.LBB183_744:                            ;   in Loop: Header=BB183_423 Depth=1
	s_or_b32 exec_lo, exec_lo, s26
.LBB183_745:                            ;   in Loop: Header=BB183_423 Depth=1
	s_or_b32 exec_lo, exec_lo, s22
.LBB183_746:                            ;   in Loop: Header=BB183_423 Depth=1
	s_or_b32 exec_lo, exec_lo, s21
	v_mov_b32_e32 v23, 0
	v_mov_b32_e32 v21, 0
	v_and_b32_sdwa v5, v89, v43 dst_sel:DWORD dst_unused:UNUSED_PAD src0_sel:WORD_1 src1_sel:DWORD
	v_mov_b32_e32 v24, 0
	v_mov_b32_e32 v22, 0
	s_mov_b32 s21, exec_lo
	v_cmpx_ne_u16_e32 0, v5
	s_cbranch_execz .LBB183_754
; %bb.747:                              ;   in Loop: Header=BB183_423 Depth=1
	v_bfrev_b32_e32 v21, 1
	v_mov_b32_e32 v22, 0
	s_mov_b32 s22, exec_lo
	v_cmpx_ne_u16_e32 0x80, v5
	s_cbranch_execz .LBB183_753
; %bb.748:                              ;   in Loop: Header=BB183_423 Depth=1
	v_mov_b32_e32 v21, 0x7f800001
	v_bfe_u32 v9, v89, 16, 7
	v_mov_b32_e32 v22, 0
	s_mov_b32 s26, exec_lo
	v_cmpx_ne_u32_e32 0x7f, v9
	s_cbranch_execz .LBB183_752
; %bb.749:                              ;   in Loop: Header=BB183_423 Depth=1
	v_and_b32_sdwa v5, v89, v44 dst_sel:DWORD dst_unused:UNUSED_PAD src0_sel:WORD_1 src1_sel:DWORD
	v_lshrrev_b32_e32 v7, 3, v9
	s_mov_b32 s27, exec_lo
	v_cmpx_gt_u32_e32 8, v9
; %bb.750:                              ;   in Loop: Header=BB183_423 Depth=1
	v_ffbh_u32_e32 v7, v5
	v_min_u32_e32 v7, 32, v7
	v_subrev_nc_u32_e32 v9, 28, v7
	v_sub_nc_u32_e32 v7, 29, v7
	v_lshlrev_b64 v[21:22], v9, v[5:6]
	v_and_b32_e32 v5, 7, v21
; %bb.751:                              ;   in Loop: Header=BB183_423 Depth=1
	s_or_b32 exec_lo, exec_lo, s27
	v_lshlrev_b32_sdwa v9, v45, v89 dst_sel:DWORD dst_unused:UNUSED_PAD src0_sel:DWORD src1_sel:WORD_1
	v_lshlrev_b32_e32 v5, 20, v5
	v_lshl_add_u32 v7, v7, 23, 0x3c000000
	v_and_b32_e32 v9, 0x80000000, v9
	v_or3_b32 v5, v5, v9, v7
	v_mov_b32_e32 v22, v6
	v_mov_b32_e32 v21, v5
.LBB183_752:                            ;   in Loop: Header=BB183_423 Depth=1
	s_or_b32 exec_lo, exec_lo, s26
.LBB183_753:                            ;   in Loop: Header=BB183_423 Depth=1
	s_or_b32 exec_lo, exec_lo, s22
.LBB183_754:                            ;   in Loop: Header=BB183_423 Depth=1
	s_or_b32 exec_lo, exec_lo, s21
	s_mov_b32 s21, exec_lo
	v_cmpx_lt_u32_e32 0xffffff, v89
	s_cbranch_execz .LBB183_762
; %bb.755:                              ;   in Loop: Header=BB183_423 Depth=1
	v_mov_b32_e32 v7, v6
	v_mov_b32_e32 v24, v8
	v_cmp_ne_u32_sdwa s0, v89, v41 src0_sel:BYTE_3 src1_sel:DWORD
	v_mov_b32_e32 v23, v7
	s_and_saveexec_b32 s22, s0
	s_cbranch_execz .LBB183_761
; %bb.756:                              ;   in Loop: Header=BB183_423 Depth=1
	v_mov_b32_e32 v9, v6
	v_mov_b32_e32 v24, v10
	v_bfe_u32 v90, v89, 24, 7
	s_mov_b32 s26, exec_lo
	v_mov_b32_e32 v23, v9
	v_cmpx_ne_u32_e32 0x7f, v90
	s_cbranch_execz .LBB183_760
; %bb.757:                              ;   in Loop: Header=BB183_423 Depth=1
	v_and_b32_sdwa v5, v89, v44 dst_sel:DWORD dst_unused:UNUSED_PAD src0_sel:BYTE_3 src1_sel:DWORD
	v_lshrrev_b32_e32 v7, 3, v90
	s_mov_b32 s27, exec_lo
	v_cmpx_gt_u32_e32 8, v90
; %bb.758:                              ;   in Loop: Header=BB183_423 Depth=1
	v_ffbh_u32_e32 v7, v5
	v_min_u32_e32 v7, 32, v7
	v_subrev_nc_u32_e32 v9, 28, v7
	v_sub_nc_u32_e32 v7, 29, v7
	v_lshlrev_b64 v[23:24], v9, v[5:6]
	v_and_b32_e32 v5, 7, v23
; %bb.759:                              ;   in Loop: Header=BB183_423 Depth=1
	s_or_b32 exec_lo, exec_lo, s27
	v_lshlrev_b32_sdwa v9, v45, v89 dst_sel:DWORD dst_unused:UNUSED_PAD src0_sel:DWORD src1_sel:BYTE_3
	v_lshlrev_b32_e32 v5, 20, v5
	v_lshl_add_u32 v7, v7, 23, 0x3c000000
	v_mov_b32_e32 v23, v6
	v_and_b32_e32 v9, 0x80000000, v9
	v_or3_b32 v24, v5, v9, v7
.LBB183_760:                            ;   in Loop: Header=BB183_423 Depth=1
	s_or_b32 exec_lo, exec_lo, s26
.LBB183_761:                            ;   in Loop: Header=BB183_423 Depth=1
	s_or_b32 exec_lo, exec_lo, s22
.LBB183_762:                            ;   in Loop: Header=BB183_423 Depth=1
	s_or_b32 exec_lo, exec_lo, s21
	v_or_b32_e32 v5, v20, v18
	v_or_b32_e32 v7, v19, v17
	;; [unrolled: 1-line block ×4, first 2 shown]
	v_mul_f32_e32 v91, s18, v5
	v_mul_f32_e32 v92, s17, v7
	;; [unrolled: 1-line block ×4, first 2 shown]
	s_and_saveexec_b32 s21, vcc_lo
	s_cbranch_execz .LBB183_764
; %bb.763:                              ;   in Loop: Header=BB183_423 Depth=1
	v_cmp_gt_i32_e64 s0, s33, v53
	v_cndmask_b32_e64 v92, 0, v92, s0
	v_cmp_gt_i32_e64 s0, s33, v56
	v_cndmask_b32_e64 v91, 0, v91, s0
	;; [unrolled: 2-line block ×4, first 2 shown]
.LBB183_764:                            ;   in Loop: Header=BB183_423 Depth=1
	s_or_b32 exec_lo, exec_lo, s21
	global_load_dword v93, v[15:16], off offset:1280
	v_mov_b32_e32 v19, 0
	v_mov_b32_e32 v17, 0
	;; [unrolled: 1-line block ×4, first 2 shown]
	s_waitcnt vmcnt(0)
	v_cmp_ne_u16_sdwa s0, v93, v6 src0_sel:BYTE_0 src1_sel:DWORD
	s_and_saveexec_b32 s21, s0
	s_cbranch_execz .LBB183_772
; %bb.765:                              ;   in Loop: Header=BB183_423 Depth=1
	v_bfrev_b32_e32 v17, 1
	v_mov_b32_e32 v18, 0
	v_cmp_ne_u16_sdwa s0, v93, v41 src0_sel:BYTE_0 src1_sel:DWORD
	s_and_saveexec_b32 s22, s0
	s_cbranch_execz .LBB183_771
; %bb.766:                              ;   in Loop: Header=BB183_423 Depth=1
	v_mov_b32_e32 v17, 0x7f800001
	v_and_b32_e32 v9, 0x7f, v93
	v_mov_b32_e32 v18, 0
	s_mov_b32 s26, exec_lo
	v_cmpx_ne_u32_e32 0x7f, v9
	s_cbranch_execz .LBB183_770
; %bb.767:                              ;   in Loop: Header=BB183_423 Depth=1
	v_and_b32_e32 v5, 7, v93
	v_lshrrev_b32_e32 v7, 3, v9
	s_mov_b32 s27, exec_lo
	v_cmpx_gt_u32_e32 8, v9
; %bb.768:                              ;   in Loop: Header=BB183_423 Depth=1
	v_ffbh_u32_e32 v7, v5
	v_min_u32_e32 v7, 32, v7
	v_subrev_nc_u32_e32 v9, 28, v7
	v_sub_nc_u32_e32 v7, 29, v7
	v_lshlrev_b64 v[17:18], v9, v[5:6]
	v_and_b32_e32 v5, 7, v17
; %bb.769:                              ;   in Loop: Header=BB183_423 Depth=1
	s_or_b32 exec_lo, exec_lo, s27
	v_lshlrev_b32_e32 v9, 24, v93
	v_lshlrev_b32_e32 v5, 20, v5
	v_lshl_add_u32 v7, v7, 23, 0x3c000000
	v_and_b32_e32 v9, 0x80000000, v9
	v_or3_b32 v5, v5, v9, v7
	v_mov_b32_e32 v18, v6
	v_mov_b32_e32 v17, v5
.LBB183_770:                            ;   in Loop: Header=BB183_423 Depth=1
	s_or_b32 exec_lo, exec_lo, s26
.LBB183_771:                            ;   in Loop: Header=BB183_423 Depth=1
	s_or_b32 exec_lo, exec_lo, s22
.LBB183_772:                            ;   in Loop: Header=BB183_423 Depth=1
	s_or_b32 exec_lo, exec_lo, s21
	v_cmp_ne_u16_sdwa s0, v93, v6 src0_sel:BYTE_1 src1_sel:DWORD
	s_and_saveexec_b32 s21, s0
	s_cbranch_execz .LBB183_780
; %bb.773:                              ;   in Loop: Header=BB183_423 Depth=1
	v_mov_b32_e32 v7, v6
	v_mov_b32_e32 v20, v8
	v_cmp_ne_u16_sdwa s0, v93, v41 src0_sel:BYTE_1 src1_sel:DWORD
	v_mov_b32_e32 v19, v7
	s_and_saveexec_b32 s22, s0
	s_cbranch_execz .LBB183_779
; %bb.774:                              ;   in Loop: Header=BB183_423 Depth=1
	v_and_b32_sdwa v5, v42, v93 dst_sel:DWORD dst_unused:UNUSED_PAD src0_sel:DWORD src1_sel:BYTE_1
	v_mov_b32_e32 v9, v6
	v_mov_b32_e32 v20, v10
	s_mov_b32 s26, exec_lo
	v_and_b32_e32 v21, 0x7f, v5
	v_mov_b32_e32 v19, v9
	v_cmpx_ne_u32_e32 0x7f, v21
	s_cbranch_execz .LBB183_778
; %bb.775:                              ;   in Loop: Header=BB183_423 Depth=1
	v_and_b32_e32 v5, 7, v5
	v_lshrrev_b32_e32 v7, 3, v21
	s_mov_b32 s27, exec_lo
	v_cmpx_gt_u32_e32 8, v21
; %bb.776:                              ;   in Loop: Header=BB183_423 Depth=1
	v_ffbh_u32_e32 v7, v5
	v_min_u32_e32 v7, 32, v7
	v_subrev_nc_u32_e32 v9, 28, v7
	v_sub_nc_u32_e32 v7, 29, v7
	v_lshlrev_b64 v[19:20], v9, v[5:6]
	v_and_b32_e32 v5, 7, v19
; %bb.777:                              ;   in Loop: Header=BB183_423 Depth=1
	s_or_b32 exec_lo, exec_lo, s27
	v_lshlrev_b32_e32 v9, 16, v93
	v_lshlrev_b32_e32 v5, 20, v5
	v_lshl_add_u32 v7, v7, 23, 0x3c000000
	v_mov_b32_e32 v19, v6
	v_and_b32_e32 v9, 0x80000000, v9
	v_or3_b32 v20, v5, v9, v7
.LBB183_778:                            ;   in Loop: Header=BB183_423 Depth=1
	s_or_b32 exec_lo, exec_lo, s26
.LBB183_779:                            ;   in Loop: Header=BB183_423 Depth=1
	s_or_b32 exec_lo, exec_lo, s22
.LBB183_780:                            ;   in Loop: Header=BB183_423 Depth=1
	s_or_b32 exec_lo, exec_lo, s21
	v_mov_b32_e32 v23, 0
	v_mov_b32_e32 v21, 0
	v_and_b32_sdwa v5, v93, v43 dst_sel:DWORD dst_unused:UNUSED_PAD src0_sel:WORD_1 src1_sel:DWORD
	v_mov_b32_e32 v24, 0
	v_mov_b32_e32 v22, 0
	s_mov_b32 s21, exec_lo
	v_cmpx_ne_u16_e32 0, v5
	s_cbranch_execz .LBB183_788
; %bb.781:                              ;   in Loop: Header=BB183_423 Depth=1
	v_bfrev_b32_e32 v21, 1
	v_mov_b32_e32 v22, 0
	s_mov_b32 s22, exec_lo
	v_cmpx_ne_u16_e32 0x80, v5
	s_cbranch_execz .LBB183_787
; %bb.782:                              ;   in Loop: Header=BB183_423 Depth=1
	v_mov_b32_e32 v21, 0x7f800001
	v_bfe_u32 v9, v93, 16, 7
	v_mov_b32_e32 v22, 0
	s_mov_b32 s26, exec_lo
	v_cmpx_ne_u32_e32 0x7f, v9
	s_cbranch_execz .LBB183_786
; %bb.783:                              ;   in Loop: Header=BB183_423 Depth=1
	v_and_b32_sdwa v5, v93, v44 dst_sel:DWORD dst_unused:UNUSED_PAD src0_sel:WORD_1 src1_sel:DWORD
	v_lshrrev_b32_e32 v7, 3, v9
	s_mov_b32 s27, exec_lo
	v_cmpx_gt_u32_e32 8, v9
; %bb.784:                              ;   in Loop: Header=BB183_423 Depth=1
	v_ffbh_u32_e32 v7, v5
	v_min_u32_e32 v7, 32, v7
	v_subrev_nc_u32_e32 v9, 28, v7
	v_sub_nc_u32_e32 v7, 29, v7
	v_lshlrev_b64 v[21:22], v9, v[5:6]
	v_and_b32_e32 v5, 7, v21
; %bb.785:                              ;   in Loop: Header=BB183_423 Depth=1
	s_or_b32 exec_lo, exec_lo, s27
	v_lshlrev_b32_sdwa v9, v45, v93 dst_sel:DWORD dst_unused:UNUSED_PAD src0_sel:DWORD src1_sel:WORD_1
	v_lshlrev_b32_e32 v5, 20, v5
	v_lshl_add_u32 v7, v7, 23, 0x3c000000
	v_and_b32_e32 v9, 0x80000000, v9
	v_or3_b32 v5, v5, v9, v7
	v_mov_b32_e32 v22, v6
	v_mov_b32_e32 v21, v5
.LBB183_786:                            ;   in Loop: Header=BB183_423 Depth=1
	s_or_b32 exec_lo, exec_lo, s26
.LBB183_787:                            ;   in Loop: Header=BB183_423 Depth=1
	s_or_b32 exec_lo, exec_lo, s22
.LBB183_788:                            ;   in Loop: Header=BB183_423 Depth=1
	s_or_b32 exec_lo, exec_lo, s21
	s_mov_b32 s21, exec_lo
	v_cmpx_lt_u32_e32 0xffffff, v93
	s_cbranch_execz .LBB183_796
; %bb.789:                              ;   in Loop: Header=BB183_423 Depth=1
	v_mov_b32_e32 v7, v6
	v_mov_b32_e32 v24, v8
	v_cmp_ne_u32_sdwa s0, v93, v41 src0_sel:BYTE_3 src1_sel:DWORD
	v_mov_b32_e32 v23, v7
	s_and_saveexec_b32 s22, s0
	s_cbranch_execz .LBB183_795
; %bb.790:                              ;   in Loop: Header=BB183_423 Depth=1
	v_mov_b32_e32 v9, v6
	v_mov_b32_e32 v24, v10
	v_bfe_u32 v94, v93, 24, 7
	s_mov_b32 s26, exec_lo
	v_mov_b32_e32 v23, v9
	v_cmpx_ne_u32_e32 0x7f, v94
	s_cbranch_execz .LBB183_794
; %bb.791:                              ;   in Loop: Header=BB183_423 Depth=1
	v_and_b32_sdwa v5, v93, v44 dst_sel:DWORD dst_unused:UNUSED_PAD src0_sel:BYTE_3 src1_sel:DWORD
	v_lshrrev_b32_e32 v7, 3, v94
	s_mov_b32 s27, exec_lo
	v_cmpx_gt_u32_e32 8, v94
; %bb.792:                              ;   in Loop: Header=BB183_423 Depth=1
	v_ffbh_u32_e32 v7, v5
	v_min_u32_e32 v7, 32, v7
	v_subrev_nc_u32_e32 v9, 28, v7
	v_sub_nc_u32_e32 v7, 29, v7
	v_lshlrev_b64 v[23:24], v9, v[5:6]
	v_and_b32_e32 v5, 7, v23
; %bb.793:                              ;   in Loop: Header=BB183_423 Depth=1
	s_or_b32 exec_lo, exec_lo, s27
	v_lshlrev_b32_sdwa v9, v45, v93 dst_sel:DWORD dst_unused:UNUSED_PAD src0_sel:DWORD src1_sel:BYTE_3
	v_lshlrev_b32_e32 v5, 20, v5
	v_lshl_add_u32 v7, v7, 23, 0x3c000000
	v_mov_b32_e32 v23, v6
	v_and_b32_e32 v9, 0x80000000, v9
	v_or3_b32 v24, v5, v9, v7
.LBB183_794:                            ;   in Loop: Header=BB183_423 Depth=1
	s_or_b32 exec_lo, exec_lo, s26
.LBB183_795:                            ;   in Loop: Header=BB183_423 Depth=1
	s_or_b32 exec_lo, exec_lo, s22
.LBB183_796:                            ;   in Loop: Header=BB183_423 Depth=1
	s_or_b32 exec_lo, exec_lo, s21
	v_or_b32_e32 v5, v20, v18
	v_or_b32_e32 v7, v19, v17
	;; [unrolled: 1-line block ×4, first 2 shown]
	v_mul_f32_e32 v93, s18, v5
	v_mul_f32_e32 v94, s17, v7
	;; [unrolled: 1-line block ×4, first 2 shown]
	s_and_saveexec_b32 s21, vcc_lo
	s_cbranch_execz .LBB183_798
; %bb.797:                              ;   in Loop: Header=BB183_423 Depth=1
	v_cmp_gt_i32_e64 s0, s33, v53
	v_cndmask_b32_e64 v94, 0, v94, s0
	v_cmp_gt_i32_e64 s0, s33, v56
	v_cndmask_b32_e64 v93, 0, v93, s0
	;; [unrolled: 2-line block ×4, first 2 shown]
.LBB183_798:                            ;   in Loop: Header=BB183_423 Depth=1
	s_or_b32 exec_lo, exec_lo, s21
	global_load_dword v95, v[15:16], off offset:1408
	v_mov_b32_e32 v17, 0
	v_mov_b32_e32 v15, 0
	;; [unrolled: 1-line block ×4, first 2 shown]
	s_waitcnt vmcnt(0)
	v_cmp_ne_u16_sdwa s0, v95, v6 src0_sel:BYTE_0 src1_sel:DWORD
	s_and_saveexec_b32 s21, s0
	s_cbranch_execz .LBB183_806
; %bb.799:                              ;   in Loop: Header=BB183_423 Depth=1
	v_bfrev_b32_e32 v15, 1
	v_mov_b32_e32 v16, 0
	v_cmp_ne_u16_sdwa s0, v95, v41 src0_sel:BYTE_0 src1_sel:DWORD
	s_and_saveexec_b32 s22, s0
	s_cbranch_execz .LBB183_805
; %bb.800:                              ;   in Loop: Header=BB183_423 Depth=1
	v_mov_b32_e32 v15, 0x7f800001
	v_and_b32_e32 v9, 0x7f, v95
	v_mov_b32_e32 v16, 0
	s_mov_b32 s26, exec_lo
	v_cmpx_ne_u32_e32 0x7f, v9
	s_cbranch_execz .LBB183_804
; %bb.801:                              ;   in Loop: Header=BB183_423 Depth=1
	v_and_b32_e32 v5, 7, v95
	v_lshrrev_b32_e32 v7, 3, v9
	s_mov_b32 s27, exec_lo
	v_cmpx_gt_u32_e32 8, v9
; %bb.802:                              ;   in Loop: Header=BB183_423 Depth=1
	v_ffbh_u32_e32 v7, v5
	v_min_u32_e32 v7, 32, v7
	v_subrev_nc_u32_e32 v9, 28, v7
	v_sub_nc_u32_e32 v7, 29, v7
	v_lshlrev_b64 v[15:16], v9, v[5:6]
	v_and_b32_e32 v5, 7, v15
; %bb.803:                              ;   in Loop: Header=BB183_423 Depth=1
	s_or_b32 exec_lo, exec_lo, s27
	v_lshlrev_b32_e32 v9, 24, v95
	v_lshlrev_b32_e32 v5, 20, v5
	v_lshl_add_u32 v7, v7, 23, 0x3c000000
	v_and_b32_e32 v9, 0x80000000, v9
	v_or3_b32 v5, v5, v9, v7
	v_mov_b32_e32 v16, v6
	v_mov_b32_e32 v15, v5
.LBB183_804:                            ;   in Loop: Header=BB183_423 Depth=1
	s_or_b32 exec_lo, exec_lo, s26
.LBB183_805:                            ;   in Loop: Header=BB183_423 Depth=1
	s_or_b32 exec_lo, exec_lo, s22
.LBB183_806:                            ;   in Loop: Header=BB183_423 Depth=1
	s_or_b32 exec_lo, exec_lo, s21
	v_cmp_ne_u16_sdwa s0, v95, v6 src0_sel:BYTE_1 src1_sel:DWORD
	s_and_saveexec_b32 s21, s0
	s_cbranch_execz .LBB183_814
; %bb.807:                              ;   in Loop: Header=BB183_423 Depth=1
	v_mov_b32_e32 v7, v6
	v_mov_b32_e32 v18, v8
	v_cmp_ne_u16_sdwa s0, v95, v41 src0_sel:BYTE_1 src1_sel:DWORD
	v_mov_b32_e32 v17, v7
	s_and_saveexec_b32 s22, s0
	s_cbranch_execz .LBB183_813
; %bb.808:                              ;   in Loop: Header=BB183_423 Depth=1
	v_and_b32_sdwa v5, v42, v95 dst_sel:DWORD dst_unused:UNUSED_PAD src0_sel:DWORD src1_sel:BYTE_1
	v_mov_b32_e32 v9, v6
	v_mov_b32_e32 v18, v10
	s_mov_b32 s26, exec_lo
	v_and_b32_e32 v19, 0x7f, v5
	v_mov_b32_e32 v17, v9
	v_cmpx_ne_u32_e32 0x7f, v19
	s_cbranch_execz .LBB183_812
; %bb.809:                              ;   in Loop: Header=BB183_423 Depth=1
	v_and_b32_e32 v5, 7, v5
	v_lshrrev_b32_e32 v7, 3, v19
	s_mov_b32 s27, exec_lo
	v_cmpx_gt_u32_e32 8, v19
; %bb.810:                              ;   in Loop: Header=BB183_423 Depth=1
	v_ffbh_u32_e32 v7, v5
	v_min_u32_e32 v7, 32, v7
	v_subrev_nc_u32_e32 v9, 28, v7
	v_sub_nc_u32_e32 v7, 29, v7
	v_lshlrev_b64 v[17:18], v9, v[5:6]
	v_and_b32_e32 v5, 7, v17
; %bb.811:                              ;   in Loop: Header=BB183_423 Depth=1
	s_or_b32 exec_lo, exec_lo, s27
	v_lshlrev_b32_e32 v9, 16, v95
	v_lshlrev_b32_e32 v5, 20, v5
	v_lshl_add_u32 v7, v7, 23, 0x3c000000
	v_mov_b32_e32 v17, v6
	v_and_b32_e32 v9, 0x80000000, v9
	v_or3_b32 v18, v5, v9, v7
.LBB183_812:                            ;   in Loop: Header=BB183_423 Depth=1
	s_or_b32 exec_lo, exec_lo, s26
.LBB183_813:                            ;   in Loop: Header=BB183_423 Depth=1
	s_or_b32 exec_lo, exec_lo, s22
.LBB183_814:                            ;   in Loop: Header=BB183_423 Depth=1
	s_or_b32 exec_lo, exec_lo, s21
	v_mov_b32_e32 v21, 0
	v_mov_b32_e32 v19, 0
	v_and_b32_sdwa v5, v95, v43 dst_sel:DWORD dst_unused:UNUSED_PAD src0_sel:WORD_1 src1_sel:DWORD
	v_mov_b32_e32 v22, 0
	v_mov_b32_e32 v20, 0
	s_mov_b32 s21, exec_lo
	v_cmpx_ne_u16_e32 0, v5
	s_cbranch_execz .LBB183_822
; %bb.815:                              ;   in Loop: Header=BB183_423 Depth=1
	v_bfrev_b32_e32 v19, 1
	v_mov_b32_e32 v20, 0
	s_mov_b32 s22, exec_lo
	v_cmpx_ne_u16_e32 0x80, v5
	s_cbranch_execz .LBB183_821
; %bb.816:                              ;   in Loop: Header=BB183_423 Depth=1
	v_mov_b32_e32 v19, 0x7f800001
	v_bfe_u32 v9, v95, 16, 7
	v_mov_b32_e32 v20, 0
	s_mov_b32 s26, exec_lo
	v_cmpx_ne_u32_e32 0x7f, v9
	s_cbranch_execz .LBB183_820
; %bb.817:                              ;   in Loop: Header=BB183_423 Depth=1
	v_and_b32_sdwa v5, v95, v44 dst_sel:DWORD dst_unused:UNUSED_PAD src0_sel:WORD_1 src1_sel:DWORD
	v_lshrrev_b32_e32 v7, 3, v9
	s_mov_b32 s27, exec_lo
	v_cmpx_gt_u32_e32 8, v9
; %bb.818:                              ;   in Loop: Header=BB183_423 Depth=1
	v_ffbh_u32_e32 v7, v5
	v_min_u32_e32 v7, 32, v7
	v_subrev_nc_u32_e32 v9, 28, v7
	v_sub_nc_u32_e32 v7, 29, v7
	v_lshlrev_b64 v[19:20], v9, v[5:6]
	v_and_b32_e32 v5, 7, v19
; %bb.819:                              ;   in Loop: Header=BB183_423 Depth=1
	s_or_b32 exec_lo, exec_lo, s27
	v_lshlrev_b32_sdwa v9, v45, v95 dst_sel:DWORD dst_unused:UNUSED_PAD src0_sel:DWORD src1_sel:WORD_1
	v_lshlrev_b32_e32 v5, 20, v5
	v_lshl_add_u32 v7, v7, 23, 0x3c000000
	v_and_b32_e32 v9, 0x80000000, v9
	v_or3_b32 v5, v5, v9, v7
	v_mov_b32_e32 v20, v6
	v_mov_b32_e32 v19, v5
.LBB183_820:                            ;   in Loop: Header=BB183_423 Depth=1
	s_or_b32 exec_lo, exec_lo, s26
.LBB183_821:                            ;   in Loop: Header=BB183_423 Depth=1
	s_or_b32 exec_lo, exec_lo, s22
.LBB183_822:                            ;   in Loop: Header=BB183_423 Depth=1
	s_or_b32 exec_lo, exec_lo, s21
	s_mov_b32 s21, exec_lo
	v_cmpx_lt_u32_e32 0xffffff, v95
	s_cbranch_execz .LBB183_830
; %bb.823:                              ;   in Loop: Header=BB183_423 Depth=1
	v_mov_b32_e32 v7, v6
	v_mov_b32_e32 v22, v8
	v_cmp_ne_u32_sdwa s0, v95, v41 src0_sel:BYTE_3 src1_sel:DWORD
	v_mov_b32_e32 v21, v7
	s_and_saveexec_b32 s22, s0
	s_cbranch_execz .LBB183_829
; %bb.824:                              ;   in Loop: Header=BB183_423 Depth=1
	v_mov_b32_e32 v9, v6
	v_mov_b32_e32 v22, v10
	v_bfe_u32 v96, v95, 24, 7
	s_mov_b32 s26, exec_lo
	v_mov_b32_e32 v21, v9
	v_cmpx_ne_u32_e32 0x7f, v96
	s_cbranch_execz .LBB183_828
; %bb.825:                              ;   in Loop: Header=BB183_423 Depth=1
	v_and_b32_sdwa v5, v95, v44 dst_sel:DWORD dst_unused:UNUSED_PAD src0_sel:BYTE_3 src1_sel:DWORD
	v_lshrrev_b32_e32 v7, 3, v96
	s_mov_b32 s27, exec_lo
	v_cmpx_gt_u32_e32 8, v96
; %bb.826:                              ;   in Loop: Header=BB183_423 Depth=1
	v_ffbh_u32_e32 v7, v5
	v_min_u32_e32 v7, 32, v7
	v_subrev_nc_u32_e32 v9, 28, v7
	v_sub_nc_u32_e32 v7, 29, v7
	v_lshlrev_b64 v[21:22], v9, v[5:6]
	v_and_b32_e32 v5, 7, v21
; %bb.827:                              ;   in Loop: Header=BB183_423 Depth=1
	s_or_b32 exec_lo, exec_lo, s27
	v_lshlrev_b32_sdwa v9, v45, v95 dst_sel:DWORD dst_unused:UNUSED_PAD src0_sel:DWORD src1_sel:BYTE_3
	v_lshlrev_b32_e32 v5, 20, v5
	v_lshl_add_u32 v7, v7, 23, 0x3c000000
	v_mov_b32_e32 v21, v6
	v_and_b32_e32 v9, 0x80000000, v9
	v_or3_b32 v22, v5, v9, v7
.LBB183_828:                            ;   in Loop: Header=BB183_423 Depth=1
	s_or_b32 exec_lo, exec_lo, s26
.LBB183_829:                            ;   in Loop: Header=BB183_423 Depth=1
	s_or_b32 exec_lo, exec_lo, s22
.LBB183_830:                            ;   in Loop: Header=BB183_423 Depth=1
	s_or_b32 exec_lo, exec_lo, s21
	v_or_b32_e32 v5, v18, v16
	v_or_b32_e32 v7, v17, v15
	;; [unrolled: 1-line block ×4, first 2 shown]
	v_mul_f32_e32 v9, s18, v5
	v_mul_f32_e32 v15, s17, v7
	;; [unrolled: 1-line block ×4, first 2 shown]
	s_and_saveexec_b32 s0, vcc_lo
	s_cbranch_execz .LBB183_421
; %bb.831:                              ;   in Loop: Header=BB183_423 Depth=1
	v_cmp_gt_i32_e32 vcc_lo, s33, v53
	v_cndmask_b32_e32 v15, 0, v15, vcc_lo
	v_cmp_gt_i32_e32 vcc_lo, s33, v56
	v_cndmask_b32_e32 v9, 0, v9, vcc_lo
	;; [unrolled: 2-line block ×4, first 2 shown]
	s_branch .LBB183_421
.LBB183_832:
	s_or_b32 exec_lo, exec_lo, s5
.LBB183_833:
	s_or_b32 exec_lo, exec_lo, s1
	ds_bpermute_b32 v2, v25, v39
	ds_bpermute_b32 v11, v25, v29
	;; [unrolled: 1-line block ×12, first 2 shown]
	s_mov_b32 s0, exec_lo
	s_waitcnt lgkmcnt(11)
	v_add_f32_e32 v2, v39, v2
	s_waitcnt lgkmcnt(10)
	v_add_f32_e32 v11, v29, v11
	;; [unrolled: 2-line block ×5, first 2 shown]
	ds_bpermute_b32 v14, v26, v2
	ds_bpermute_b32 v23, v26, v11
	s_waitcnt lgkmcnt(8)
	v_add_f32_e32 v5, v35, v5
	s_waitcnt lgkmcnt(7)
	v_add_f32_e32 v6, v34, v6
	;; [unrolled: 2-line block ×7, first 2 shown]
	ds_bpermute_b32 v13, v26, v1
	ds_bpermute_b32 v15, v26, v3
	;; [unrolled: 1-line block ×10, first 2 shown]
	s_waitcnt lgkmcnt(11)
	v_add_f32_e32 v2, v2, v14
	s_waitcnt lgkmcnt(10)
	v_add_f32_e32 v11, v11, v23
	s_clause 0x1
	buffer_load_dword v23, off, s[48:51], 0 offset:152
	buffer_load_dword v14, off, s[48:51], 0 offset:164
	s_waitcnt vmcnt(0) lgkmcnt(0)
	s_barrier
	buffer_gl0_inv
	v_add_f32_e32 v1, v1, v13
	v_and_b32_e32 v13, 28, v0
	v_add_f32_e32 v3, v3, v15
	v_add_f32_e32 v4, v4, v16
	;; [unrolled: 1-line block ×9, first 2 shown]
	v_lshrrev_b32_e32 v0, 2, v0
	v_add_nc_u32_e32 v13, 0x1a0, v13
	v_and_b32_e32 v15, 0x3c3, v23
	v_mul_u32_u24_e32 v14, 0x180, v14
	v_cmpx_eq_u32_e32 64, v15
	s_cbranch_execz .LBB183_835
; %bb.834:
	v_add_nc_u32_e32 v15, v13, v14
	v_add_nc_u32_e32 v16, 0xfffffd00, v15
	;; [unrolled: 1-line block ×8, first 2 shown]
	ds_write_b32 v16, v1
	ds_write_b32 v17, v2
	;; [unrolled: 1-line block ×7, first 2 shown]
	v_add_nc_u32_e32 v16, 0xfffffde0, v15
	v_add_nc_u32_e32 v17, 0xfffffe00, v15
	;; [unrolled: 1-line block ×5, first 2 shown]
	ds_write_b32 v16, v8
	ds_write_b32 v17, v9
	;; [unrolled: 1-line block ×5, first 2 shown]
.LBB183_835:
	s_or_b32 exec_lo, exec_lo, s0
	v_lshlrev_b32_e32 v0, 2, v0
	s_mov_b32 s1, exec_lo
	v_cmp_eq_u32_e32 vcc_lo, 0, v27
	s_waitcnt lgkmcnt(0)
	s_barrier
	v_add3_u32 v0, 0x1a0, v14, v0
	buffer_gl0_inv
	v_cmpx_gt_u32_e32 64, v23
	s_cbranch_execz .LBB183_850
; %bb.836:
	s_and_saveexec_b32 s0, vcc_lo
	s_cbranch_execnz .LBB183_870
; %bb.837:
	s_or_b32 exec_lo, exec_lo, s0
	s_and_saveexec_b32 s0, vcc_lo
	s_cbranch_execnz .LBB183_871
.LBB183_838:
	s_or_b32 exec_lo, exec_lo, s0
	s_and_saveexec_b32 s0, vcc_lo
	s_cbranch_execnz .LBB183_872
.LBB183_839:
	s_or_b32 exec_lo, exec_lo, s0
	s_and_saveexec_b32 s0, vcc_lo
	s_cbranch_execnz .LBB183_873
.LBB183_840:
	s_or_b32 exec_lo, exec_lo, s0
	s_and_saveexec_b32 s0, vcc_lo
	s_cbranch_execnz .LBB183_874
.LBB183_841:
	s_or_b32 exec_lo, exec_lo, s0
	s_and_saveexec_b32 s0, vcc_lo
	s_cbranch_execnz .LBB183_875
.LBB183_842:
	s_or_b32 exec_lo, exec_lo, s0
	s_and_saveexec_b32 s0, vcc_lo
	s_cbranch_execnz .LBB183_876
.LBB183_843:
	s_or_b32 exec_lo, exec_lo, s0
	s_and_saveexec_b32 s0, vcc_lo
	s_cbranch_execnz .LBB183_877
.LBB183_844:
	s_or_b32 exec_lo, exec_lo, s0
	s_and_saveexec_b32 s0, vcc_lo
	s_cbranch_execnz .LBB183_878
.LBB183_845:
	s_or_b32 exec_lo, exec_lo, s0
	s_and_saveexec_b32 s0, vcc_lo
	s_cbranch_execnz .LBB183_879
.LBB183_846:
	s_or_b32 exec_lo, exec_lo, s0
	s_and_saveexec_b32 s0, vcc_lo
	s_cbranch_execnz .LBB183_880
.LBB183_847:
	s_or_b32 exec_lo, exec_lo, s0
	s_and_saveexec_b32 s0, vcc_lo
	s_cbranch_execz .LBB183_849
.LBB183_848:
	ds_read_b32 v14, v0 offset:352
	s_waitcnt lgkmcnt(0)
	v_add_f32_e32 v12, v12, v14
.LBB183_849:
	s_or_b32 exec_lo, exec_lo, s0
.LBB183_850:
	s_or_b32 exec_lo, exec_lo, s1
	v_and_b32_e32 v14, 0x3e3, v23
	s_mov_b32 s1, exec_lo
	s_barrier
	buffer_gl0_inv
	v_cmpx_eq_u32_e32 32, v14
	s_cbranch_execz .LBB183_852
; %bb.851:
	ds_write2_b32 v13, v1, v2 offset1:8
	ds_write2_b32 v13, v3, v4 offset0:16 offset1:24
	ds_write2_b32 v13, v5, v6 offset0:32 offset1:40
	;; [unrolled: 1-line block ×5, first 2 shown]
.LBB183_852:
	s_or_b32 exec_lo, exec_lo, s1
	s_mov_b32 s1, exec_lo
	s_waitcnt lgkmcnt(0)
	s_barrier
	buffer_gl0_inv
	v_cmpx_gt_u32_e32 32, v23
	s_cbranch_execz .LBB183_867
; %bb.853:
	s_and_saveexec_b32 s0, vcc_lo
	s_cbranch_execnz .LBB183_881
; %bb.854:
	s_or_b32 exec_lo, exec_lo, s0
	s_and_saveexec_b32 s0, vcc_lo
	s_cbranch_execnz .LBB183_882
.LBB183_855:
	s_or_b32 exec_lo, exec_lo, s0
	s_and_saveexec_b32 s0, vcc_lo
	s_cbranch_execnz .LBB183_883
.LBB183_856:
	s_or_b32 exec_lo, exec_lo, s0
	s_and_saveexec_b32 s0, vcc_lo
	s_cbranch_execnz .LBB183_884
.LBB183_857:
	s_or_b32 exec_lo, exec_lo, s0
	s_and_saveexec_b32 s0, vcc_lo
	s_cbranch_execnz .LBB183_885
.LBB183_858:
	s_or_b32 exec_lo, exec_lo, s0
	s_and_saveexec_b32 s0, vcc_lo
	s_cbranch_execnz .LBB183_886
.LBB183_859:
	s_or_b32 exec_lo, exec_lo, s0
	s_and_saveexec_b32 s0, vcc_lo
	s_cbranch_execnz .LBB183_887
.LBB183_860:
	s_or_b32 exec_lo, exec_lo, s0
	s_and_saveexec_b32 s0, vcc_lo
	s_cbranch_execnz .LBB183_888
.LBB183_861:
	s_or_b32 exec_lo, exec_lo, s0
	s_and_saveexec_b32 s0, vcc_lo
	s_cbranch_execnz .LBB183_889
.LBB183_862:
	s_or_b32 exec_lo, exec_lo, s0
	s_and_saveexec_b32 s0, vcc_lo
	s_cbranch_execnz .LBB183_890
.LBB183_863:
	s_or_b32 exec_lo, exec_lo, s0
	s_and_saveexec_b32 s0, vcc_lo
	s_cbranch_execnz .LBB183_891
.LBB183_864:
	s_or_b32 exec_lo, exec_lo, s0
	s_and_saveexec_b32 s0, vcc_lo
	s_cbranch_execz .LBB183_866
.LBB183_865:
	ds_read_b32 v0, v0 offset:352
	s_waitcnt lgkmcnt(0)
	v_add_f32_e32 v12, v12, v0
.LBB183_866:
	s_or_b32 exec_lo, exec_lo, s0
.LBB183_867:
	s_or_b32 exec_lo, exec_lo, s1
	s_barrier
	buffer_gl0_inv
	s_mov_b32 s0, exec_lo
	v_cmpx_eq_u32_e32 0, v14
	s_cbranch_execz .LBB183_869
; %bb.868:
	s_mul_i32 s0, s10, s11
	s_mul_i32 s2, s11, s24
	;; [unrolled: 1-line block ×3, first 2 shown]
	s_mulk_i32 s0, 0x60
	s_ashr_i32 s1, s0, 31
	s_lshl_b64 s[0:1], s[0:1], 2
	s_add_u32 s4, s6, s0
	s_addc_u32 s5, s7, s1
	s_ashr_i32 s3, s2, 31
	s_lshl_b64 s[0:1], s[2:3], 2
	s_mul_i32 s2, s8, 0x60
	s_add_u32 s4, s4, s0
	s_addc_u32 s5, s5, s1
	s_ashr_i32 s3, s2, 31
	s_lshl_b64 s[0:1], s[2:3], 2
	s_add_u32 s0, s4, s0
	s_addc_u32 s1, s5, s1
	global_store_dword v23, v1, s[0:1]
	global_store_dword v23, v2, s[0:1] offset:32
	global_store_dword v23, v3, s[0:1] offset:64
	;; [unrolled: 1-line block ×11, first 2 shown]
.LBB183_869:
	s_endpgm
.LBB183_870:
	ds_read_b32 v14, v0
	s_waitcnt lgkmcnt(0)
	v_add_f32_e32 v1, v1, v14
	s_or_b32 exec_lo, exec_lo, s0
	s_and_saveexec_b32 s0, vcc_lo
	s_cbranch_execz .LBB183_838
.LBB183_871:
	ds_read_b32 v14, v0 offset:32
	s_waitcnt lgkmcnt(0)
	v_add_f32_e32 v2, v2, v14
	s_or_b32 exec_lo, exec_lo, s0
	s_and_saveexec_b32 s0, vcc_lo
	s_cbranch_execz .LBB183_839
.LBB183_872:
	ds_read_b32 v14, v0 offset:64
	s_waitcnt lgkmcnt(0)
	v_add_f32_e32 v3, v3, v14
	s_or_b32 exec_lo, exec_lo, s0
	s_and_saveexec_b32 s0, vcc_lo
	s_cbranch_execz .LBB183_840
.LBB183_873:
	ds_read_b32 v14, v0 offset:96
	s_waitcnt lgkmcnt(0)
	v_add_f32_e32 v4, v4, v14
	s_or_b32 exec_lo, exec_lo, s0
	s_and_saveexec_b32 s0, vcc_lo
	s_cbranch_execz .LBB183_841
.LBB183_874:
	ds_read_b32 v14, v0 offset:128
	s_waitcnt lgkmcnt(0)
	v_add_f32_e32 v5, v5, v14
	s_or_b32 exec_lo, exec_lo, s0
	s_and_saveexec_b32 s0, vcc_lo
	s_cbranch_execz .LBB183_842
.LBB183_875:
	ds_read_b32 v14, v0 offset:160
	s_waitcnt lgkmcnt(0)
	v_add_f32_e32 v6, v6, v14
	s_or_b32 exec_lo, exec_lo, s0
	s_and_saveexec_b32 s0, vcc_lo
	s_cbranch_execz .LBB183_843
.LBB183_876:
	ds_read_b32 v14, v0 offset:192
	s_waitcnt lgkmcnt(0)
	v_add_f32_e32 v7, v7, v14
	s_or_b32 exec_lo, exec_lo, s0
	s_and_saveexec_b32 s0, vcc_lo
	s_cbranch_execz .LBB183_844
.LBB183_877:
	ds_read_b32 v14, v0 offset:224
	s_waitcnt lgkmcnt(0)
	v_add_f32_e32 v8, v8, v14
	s_or_b32 exec_lo, exec_lo, s0
	s_and_saveexec_b32 s0, vcc_lo
	s_cbranch_execz .LBB183_845
.LBB183_878:
	ds_read_b32 v14, v0 offset:256
	s_waitcnt lgkmcnt(0)
	v_add_f32_e32 v9, v9, v14
	s_or_b32 exec_lo, exec_lo, s0
	s_and_saveexec_b32 s0, vcc_lo
	s_cbranch_execz .LBB183_846
.LBB183_879:
	ds_read_b32 v14, v0 offset:288
	s_waitcnt lgkmcnt(0)
	v_add_f32_e32 v10, v10, v14
	s_or_b32 exec_lo, exec_lo, s0
	s_and_saveexec_b32 s0, vcc_lo
	s_cbranch_execz .LBB183_847
.LBB183_880:
	ds_read_b32 v14, v0 offset:320
	s_waitcnt lgkmcnt(0)
	v_add_f32_e32 v11, v11, v14
	s_or_b32 exec_lo, exec_lo, s0
	s_and_saveexec_b32 s0, vcc_lo
	s_cbranch_execnz .LBB183_848
	s_branch .LBB183_849
.LBB183_881:
	ds_read_b32 v13, v0
	s_waitcnt lgkmcnt(0)
	v_add_f32_e32 v1, v1, v13
	s_or_b32 exec_lo, exec_lo, s0
	s_and_saveexec_b32 s0, vcc_lo
	s_cbranch_execz .LBB183_855
.LBB183_882:
	ds_read_b32 v13, v0 offset:32
	s_waitcnt lgkmcnt(0)
	v_add_f32_e32 v2, v2, v13
	s_or_b32 exec_lo, exec_lo, s0
	s_and_saveexec_b32 s0, vcc_lo
	s_cbranch_execz .LBB183_856
.LBB183_883:
	ds_read_b32 v13, v0 offset:64
	s_waitcnt lgkmcnt(0)
	v_add_f32_e32 v3, v3, v13
	s_or_b32 exec_lo, exec_lo, s0
	s_and_saveexec_b32 s0, vcc_lo
	s_cbranch_execz .LBB183_857
.LBB183_884:
	ds_read_b32 v13, v0 offset:96
	s_waitcnt lgkmcnt(0)
	v_add_f32_e32 v4, v4, v13
	s_or_b32 exec_lo, exec_lo, s0
	s_and_saveexec_b32 s0, vcc_lo
	s_cbranch_execz .LBB183_858
.LBB183_885:
	ds_read_b32 v13, v0 offset:128
	s_waitcnt lgkmcnt(0)
	v_add_f32_e32 v5, v5, v13
	s_or_b32 exec_lo, exec_lo, s0
	s_and_saveexec_b32 s0, vcc_lo
	s_cbranch_execz .LBB183_859
.LBB183_886:
	ds_read_b32 v13, v0 offset:160
	s_waitcnt lgkmcnt(0)
	v_add_f32_e32 v6, v6, v13
	s_or_b32 exec_lo, exec_lo, s0
	s_and_saveexec_b32 s0, vcc_lo
	s_cbranch_execz .LBB183_860
.LBB183_887:
	ds_read_b32 v13, v0 offset:192
	s_waitcnt lgkmcnt(0)
	v_add_f32_e32 v7, v7, v13
	s_or_b32 exec_lo, exec_lo, s0
	s_and_saveexec_b32 s0, vcc_lo
	s_cbranch_execz .LBB183_861
.LBB183_888:
	ds_read_b32 v13, v0 offset:224
	s_waitcnt lgkmcnt(0)
	v_add_f32_e32 v8, v8, v13
	s_or_b32 exec_lo, exec_lo, s0
	s_and_saveexec_b32 s0, vcc_lo
	s_cbranch_execz .LBB183_862
.LBB183_889:
	ds_read_b32 v13, v0 offset:256
	s_waitcnt lgkmcnt(0)
	v_add_f32_e32 v9, v9, v13
	s_or_b32 exec_lo, exec_lo, s0
	s_and_saveexec_b32 s0, vcc_lo
	s_cbranch_execz .LBB183_863
.LBB183_890:
	ds_read_b32 v13, v0 offset:288
	s_waitcnt lgkmcnt(0)
	v_add_f32_e32 v10, v10, v13
	s_or_b32 exec_lo, exec_lo, s0
	s_and_saveexec_b32 s0, vcc_lo
	s_cbranch_execz .LBB183_864
.LBB183_891:
	ds_read_b32 v13, v0 offset:320
	s_waitcnt lgkmcnt(0)
	v_add_f32_e32 v11, v11, v13
	s_or_b32 exec_lo, exec_lo, s0
	s_and_saveexec_b32 s0, vcc_lo
	s_cbranch_execnz .LBB183_865
	s_branch .LBB183_866
	.section	.rodata,"a",@progbits
	.p2align	6, 0x0
	.amdhsa_kernel _ZN4vllm25paged_attention_v1_kernelIfhLi96ELi16ELi128ELNS_18Fp8KVCacheDataTypeE1ELb1EEEvPT_PKS2_PKT0_S8_ifPKiSA_iPKfiiiSC_SC_iiiii
		.amdhsa_group_segment_fixed_size 416
		.amdhsa_private_segment_fixed_size 180
		.amdhsa_kernarg_size 384
		.amdhsa_user_sgpr_count 6
		.amdhsa_user_sgpr_private_segment_buffer 1
		.amdhsa_user_sgpr_dispatch_ptr 0
		.amdhsa_user_sgpr_queue_ptr 0
		.amdhsa_user_sgpr_kernarg_segment_ptr 1
		.amdhsa_user_sgpr_dispatch_id 0
		.amdhsa_user_sgpr_flat_scratch_init 0
		.amdhsa_user_sgpr_private_segment_size 0
		.amdhsa_wavefront_size32 1
		.amdhsa_uses_dynamic_stack 0
		.amdhsa_system_sgpr_private_segment_wavefront_offset 1
		.amdhsa_system_sgpr_workgroup_id_x 1
		.amdhsa_system_sgpr_workgroup_id_y 1
		.amdhsa_system_sgpr_workgroup_id_z 1
		.amdhsa_system_sgpr_workgroup_info 0
		.amdhsa_system_vgpr_workitem_id 0
		.amdhsa_next_free_vgpr 128
		.amdhsa_next_free_sgpr 52
		.amdhsa_reserve_vcc 1
		.amdhsa_reserve_flat_scratch 0
		.amdhsa_float_round_mode_32 0
		.amdhsa_float_round_mode_16_64 0
		.amdhsa_float_denorm_mode_32 3
		.amdhsa_float_denorm_mode_16_64 3
		.amdhsa_dx10_clamp 1
		.amdhsa_ieee_mode 1
		.amdhsa_fp16_overflow 0
		.amdhsa_workgroup_processor_mode 1
		.amdhsa_memory_ordered 1
		.amdhsa_forward_progress 1
		.amdhsa_shared_vgpr_count 0
		.amdhsa_exception_fp_ieee_invalid_op 0
		.amdhsa_exception_fp_denorm_src 0
		.amdhsa_exception_fp_ieee_div_zero 0
		.amdhsa_exception_fp_ieee_overflow 0
		.amdhsa_exception_fp_ieee_underflow 0
		.amdhsa_exception_fp_ieee_inexact 0
		.amdhsa_exception_int_div_zero 0
	.end_amdhsa_kernel
	.section	.text._ZN4vllm25paged_attention_v1_kernelIfhLi96ELi16ELi128ELNS_18Fp8KVCacheDataTypeE1ELb1EEEvPT_PKS2_PKT0_S8_ifPKiSA_iPKfiiiSC_SC_iiiii,"axG",@progbits,_ZN4vllm25paged_attention_v1_kernelIfhLi96ELi16ELi128ELNS_18Fp8KVCacheDataTypeE1ELb1EEEvPT_PKS2_PKT0_S8_ifPKiSA_iPKfiiiSC_SC_iiiii,comdat
.Lfunc_end183:
	.size	_ZN4vllm25paged_attention_v1_kernelIfhLi96ELi16ELi128ELNS_18Fp8KVCacheDataTypeE1ELb1EEEvPT_PKS2_PKT0_S8_ifPKiSA_iPKfiiiSC_SC_iiiii, .Lfunc_end183-_ZN4vllm25paged_attention_v1_kernelIfhLi96ELi16ELi128ELNS_18Fp8KVCacheDataTypeE1ELb1EEEvPT_PKS2_PKT0_S8_ifPKiSA_iPKfiiiSC_SC_iiiii
                                        ; -- End function
	.set _ZN4vllm25paged_attention_v1_kernelIfhLi96ELi16ELi128ELNS_18Fp8KVCacheDataTypeE1ELb1EEEvPT_PKS2_PKT0_S8_ifPKiSA_iPKfiiiSC_SC_iiiii.num_vgpr, 128
	.set _ZN4vllm25paged_attention_v1_kernelIfhLi96ELi16ELi128ELNS_18Fp8KVCacheDataTypeE1ELb1EEEvPT_PKS2_PKT0_S8_ifPKiSA_iPKfiiiSC_SC_iiiii.num_agpr, 0
	.set _ZN4vllm25paged_attention_v1_kernelIfhLi96ELi16ELi128ELNS_18Fp8KVCacheDataTypeE1ELb1EEEvPT_PKS2_PKT0_S8_ifPKiSA_iPKfiiiSC_SC_iiiii.numbered_sgpr, 52
	.set _ZN4vllm25paged_attention_v1_kernelIfhLi96ELi16ELi128ELNS_18Fp8KVCacheDataTypeE1ELb1EEEvPT_PKS2_PKT0_S8_ifPKiSA_iPKfiiiSC_SC_iiiii.num_named_barrier, 0
	.set _ZN4vllm25paged_attention_v1_kernelIfhLi96ELi16ELi128ELNS_18Fp8KVCacheDataTypeE1ELb1EEEvPT_PKS2_PKT0_S8_ifPKiSA_iPKfiiiSC_SC_iiiii.private_seg_size, 180
	.set _ZN4vllm25paged_attention_v1_kernelIfhLi96ELi16ELi128ELNS_18Fp8KVCacheDataTypeE1ELb1EEEvPT_PKS2_PKT0_S8_ifPKiSA_iPKfiiiSC_SC_iiiii.uses_vcc, 1
	.set _ZN4vllm25paged_attention_v1_kernelIfhLi96ELi16ELi128ELNS_18Fp8KVCacheDataTypeE1ELb1EEEvPT_PKS2_PKT0_S8_ifPKiSA_iPKfiiiSC_SC_iiiii.uses_flat_scratch, 0
	.set _ZN4vllm25paged_attention_v1_kernelIfhLi96ELi16ELi128ELNS_18Fp8KVCacheDataTypeE1ELb1EEEvPT_PKS2_PKT0_S8_ifPKiSA_iPKfiiiSC_SC_iiiii.has_dyn_sized_stack, 0
	.set _ZN4vllm25paged_attention_v1_kernelIfhLi96ELi16ELi128ELNS_18Fp8KVCacheDataTypeE1ELb1EEEvPT_PKS2_PKT0_S8_ifPKiSA_iPKfiiiSC_SC_iiiii.has_recursion, 0
	.set _ZN4vllm25paged_attention_v1_kernelIfhLi96ELi16ELi128ELNS_18Fp8KVCacheDataTypeE1ELb1EEEvPT_PKS2_PKT0_S8_ifPKiSA_iPKfiiiSC_SC_iiiii.has_indirect_call, 0
	.section	.AMDGPU.csdata,"",@progbits
; Kernel info:
; codeLenInByte = 27640
; TotalNumSgprs: 54
; NumVgprs: 128
; ScratchSize: 180
; MemoryBound: 0
; FloatMode: 240
; IeeeMode: 1
; LDSByteSize: 416 bytes/workgroup (compile time only)
; SGPRBlocks: 0
; VGPRBlocks: 15
; NumSGPRsForWavesPerEU: 54
; NumVGPRsForWavesPerEU: 128
; Occupancy: 8
; WaveLimiterHint : 1
; COMPUTE_PGM_RSRC2:SCRATCH_EN: 1
; COMPUTE_PGM_RSRC2:USER_SGPR: 6
; COMPUTE_PGM_RSRC2:TRAP_HANDLER: 0
; COMPUTE_PGM_RSRC2:TGID_X_EN: 1
; COMPUTE_PGM_RSRC2:TGID_Y_EN: 1
; COMPUTE_PGM_RSRC2:TGID_Z_EN: 1
; COMPUTE_PGM_RSRC2:TIDIG_COMP_CNT: 0
	.section	.text._ZN4vllm25paged_attention_v1_kernelIfhLi112ELi16ELi128ELNS_18Fp8KVCacheDataTypeE1ELb1EEEvPT_PKS2_PKT0_S8_ifPKiSA_iPKfiiiSC_SC_iiiii,"axG",@progbits,_ZN4vllm25paged_attention_v1_kernelIfhLi112ELi16ELi128ELNS_18Fp8KVCacheDataTypeE1ELb1EEEvPT_PKS2_PKT0_S8_ifPKiSA_iPKfiiiSC_SC_iiiii,comdat
	.protected	_ZN4vllm25paged_attention_v1_kernelIfhLi112ELi16ELi128ELNS_18Fp8KVCacheDataTypeE1ELb1EEEvPT_PKS2_PKT0_S8_ifPKiSA_iPKfiiiSC_SC_iiiii ; -- Begin function _ZN4vllm25paged_attention_v1_kernelIfhLi112ELi16ELi128ELNS_18Fp8KVCacheDataTypeE1ELb1EEEvPT_PKS2_PKT0_S8_ifPKiSA_iPKfiiiSC_SC_iiiii
	.globl	_ZN4vllm25paged_attention_v1_kernelIfhLi112ELi16ELi128ELNS_18Fp8KVCacheDataTypeE1ELb1EEEvPT_PKS2_PKT0_S8_ifPKiSA_iPKfiiiSC_SC_iiiii
	.p2align	8
	.type	_ZN4vllm25paged_attention_v1_kernelIfhLi112ELi16ELi128ELNS_18Fp8KVCacheDataTypeE1ELb1EEEvPT_PKS2_PKT0_S8_ifPKiSA_iPKfiiiSC_SC_iiiii,@function
_ZN4vllm25paged_attention_v1_kernelIfhLi112ELi16ELi128ELNS_18Fp8KVCacheDataTypeE1ELb1EEEvPT_PKS2_PKT0_S8_ifPKiSA_iPKfiiiSC_SC_iiiii: ; @_ZN4vllm25paged_attention_v1_kernelIfhLi112ELi16ELi128ELNS_18Fp8KVCacheDataTypeE1ELb1EEEvPT_PKS2_PKT0_S8_ifPKiSA_iPKfiiiSC_SC_iiiii
; %bb.0:
	s_mov_b64 s[50:51], s[2:3]
	s_mov_b64 s[48:49], s[0:1]
	s_mov_b32 s10, s7
	s_add_u32 s48, s48, s9
	s_clause 0x2
	s_load_dword s9, s[4:5], 0x80
	s_load_dwordx2 s[0:1], s[4:5], 0x30
	s_load_dwordx2 s[34:35], s[4:5], 0x20
	s_addc_u32 s49, s49, 0
	s_ashr_i32 s11, s7, 31
	v_mov_b32_e32 v108, v0
	s_lshl_b64 s[2:3], s[10:11], 2
	s_mov_b32 s36, 0
	s_waitcnt lgkmcnt(0)
	s_add_u32 s0, s0, s2
	s_addc_u32 s1, s1, s3
	s_abs_i32 s2, s34
	s_abs_i32 s11, s9
	v_cvt_f32_u32_e32 v0, s2
	s_sub_i32 s7, 0, s2
	v_rcp_iflag_f32_e32 v0, v0
	v_mul_f32_e32 v0, 0x4f7ffffe, v0
	v_cvt_u32_f32_e32 v0, v0
	v_readfirstlane_b32 s3, v0
	s_mul_i32 s7, s7, s3
	s_mul_hi_u32 s7, s3, s7
	s_add_i32 s3, s3, s7
	s_xor_b32 s7, s9, s34
	s_mul_hi_u32 s3, s11, s3
	s_ashr_i32 s7, s7, 31
	s_mul_i32 s12, s3, s2
	s_sub_i32 s11, s11, s12
	s_add_i32 s12, s3, 1
	s_sub_i32 s13, s11, s2
	s_cmp_ge_u32 s11, s2
	s_cselect_b32 s3, s12, s3
	s_cselect_b32 s11, s13, s11
	s_add_i32 s12, s3, 1
	s_cmp_ge_u32 s11, s2
	s_cselect_b32 s2, s12, s3
	s_xor_b32 s2, s2, s7
	s_sub_i32 s14, s2, s7
	s_load_dwordx2 s[2:3], s[4:5], 0x40
	s_abs_i32 s11, s14
	v_cvt_f32_u32_e32 v0, s11
	s_sub_i32 s12, 0, s11
	v_rcp_iflag_f32_e32 v0, v0
	v_mul_f32_e32 v0, 0x4f7ffffe, v0
	v_cvt_u32_f32_e32 v0, v0
	v_readfirstlane_b32 s7, v0
	s_mul_i32 s12, s12, s7
	s_mul_hi_u32 s13, s7, s12
	s_abs_i32 s12, s6
	s_add_i32 s7, s7, s13
	s_waitcnt lgkmcnt(0)
	s_cmp_eq_u64 s[2:3], 0
	s_mul_hi_u32 s13, s12, s7
	s_cbranch_scc1 .LBB184_2
; %bb.1:
	s_ashr_i32 s7, s6, 31
	s_lshl_b64 s[16:17], s[6:7], 2
	s_add_u32 s2, s2, s16
	s_addc_u32 s3, s3, s17
	s_load_dword s36, s[2:3], 0x0
.LBB184_2:
	s_load_dword s33, s[0:1], 0x0
	s_load_dwordx4 s[16:19], s[4:5], 0x48
	v_and_b32_e32 v0, 1, v108
	v_lshlrev_b32_e32 v12, 2, v108
	s_ashr_i32 s0, s6, 31
	s_ashr_i32 s1, s14, 31
	s_mul_i32 s24, s6, 0x70
	s_mov_b32 s2, exec_lo
	v_cmpx_gt_u32_e32 56, v108
	s_cbranch_execz .LBB184_4
; %bb.3:
	s_load_dwordx2 s[14:15], s[4:5], 0x8
	s_waitcnt lgkmcnt(0)
	s_mul_i32 s20, s16, s10
	v_lshlrev_b32_e32 v1, 3, v108
	s_ashr_i32 s21, s20, 31
	v_and_b32_e32 v3, 0xff8, v12
	s_lshl_b64 s[20:21], s[20:21], 2
	v_mad_u32_u24 v3, 0xe0, v0, v3
	s_add_u32 s3, s14, s20
	s_addc_u32 s7, s15, s21
	s_ashr_i32 s25, s24, 31
	s_lshl_b64 s[14:15], s[24:25], 2
	s_add_u32 s14, s3, s14
	s_addc_u32 s15, s7, s15
	global_load_dwordx2 v[1:2], v1, s[14:15]
	s_waitcnt vmcnt(0)
	ds_write_b64 v3, v[1:2]
.LBB184_4:
	s_or_b32 exec_lo, exec_lo, s2
	s_load_dwordx4 s[20:23], s[4:5], 0x68
	s_mul_i32 s2, s13, s11
	s_xor_b32 s1, s0, s1
	s_sub_i32 s0, s12, s2
	s_add_i32 s2, s13, 1
	s_sub_i32 s3, s0, s11
	s_cmp_ge_u32 s0, s11
	s_mov_b32 s12, -1
	s_cselect_b32 s2, s2, s13
	s_cselect_b32 s0, s3, s0
	s_add_i32 s3, s2, 1
	s_cmp_ge_u32 s0, s11
	s_load_dword s0, s[4:5], 0x78
	s_cselect_b32 s2, s3, s2
	s_waitcnt lgkmcnt(0)
	s_add_i32 s7, s33, -1
	s_xor_b32 s2, s2, s1
	s_abs_i32 s3, s7
	s_sub_i32 s1, s2, s1
	s_barrier
	s_abs_i32 s16, s23
	buffer_gl0_inv
	v_cvt_f32_u32_e32 v1, s16
	s_sub_i32 s2, 0, s16
                                        ; implicit-def: $sgpr25
	v_rcp_iflag_f32_e32 v1, v1
	v_mul_f32_e32 v1, 0x4f7ffffe, v1
	v_cvt_u32_f32_e32 v1, v1
	v_readfirstlane_b32 s19, v1
	s_mul_i32 s2, s2, s19
	s_mul_hi_u32 s2, s19, s2
	s_add_i32 s19, s19, s2
	s_cmp_lt_i32 s0, 0
	s_mul_hi_u32 s2, s3, s19
	s_cbranch_scc0 .LBB184_6
; %bb.5:
	s_mul_i32 s11, s20, s34
	s_mov_b32 s12, 0
	s_add_i32 s11, s1, s11
	s_mul_i32 s11, s11, s0
	s_sub_i32 s25, 1, s11
.LBB184_6:
	s_load_dwordx2 s[26:27], s[4:5], 0x28
	s_ashr_i32 s11, s7, 31
	s_andn2_b32 vcc_lo, exec_lo, s12
	s_ashr_i32 s23, s23, 31
	s_cbranch_vccnz .LBB184_8
; %bb.7:
	s_mul_i32 s7, s9, s20
	s_add_i32 s6, s7, s6
	s_mul_i32 s0, s6, s0
	s_add_i32 s25, s0, 1
.LBB184_8:
	s_clause 0x2
	s_load_dword s0, s[4:5], 0x38
	s_load_dwordx2 s[6:7], s[4:5], 0x0
	s_load_dwordx2 s[30:31], s[4:5], 0x18
	s_xor_b32 s34, s11, s23
	s_mul_i32 s11, s2, s16
	s_add_i32 s20, s2, 1
	s_sub_i32 s3, s3, s11
	s_clause 0x1
	s_load_dword s11, s[4:5], 0x88
	s_load_dwordx4 s[12:15], s[4:5], 0x58
	v_lshrrev_b32_e32 v109, 5, v108
	v_mov_b32_e32 v3, 0xff7fffff
	v_lshrrev_b32_e32 v13, 3, v108
	s_mul_i32 s18, s1, s18
	v_lshlrev_b32_e32 v32, 4, v109
	s_waitcnt lgkmcnt(0)
	s_mul_i32 s28, s0, s10
	s_sub_i32 s0, s3, s16
	s_ashr_i32 s29, s28, 31
	s_cmp_ge_u32 s3, s16
	s_cselect_b32 s2, s20, s2
	s_cselect_b32 s0, s0, s3
	s_add_i32 s3, s2, 1
	s_cmp_ge_u32 s0, s16
	s_cselect_b32 s0, s3, s2
	s_add_i32 s2, s33, 15
	s_ashr_i32 s3, s2, 31
	s_lshr_b32 s3, s3, 28
	s_add_i32 s2, s2, s3
	s_ashr_i32 s20, s2, 4
	s_xor_b32 s2, s0, s34
	v_cmp_gt_i32_e64 s0, s20, v109
	s_sub_i32 s34, s2, s34
	s_and_saveexec_b32 s37, s0
	s_cbranch_execz .LBB184_468
; %bb.9:
	s_load_dwordx2 s[2:3], s[4:5], 0x10
	s_sub_i32 s4, s34, s21
	s_ashr_i32 s1, s18, 31
	v_bfe_u32 v6, v108, 1, 4
	v_mov_b32_e32 v35, v109
	v_and_b32_e32 v3, 0x7c, v13
	v_lshlrev_b32_e32 v2, 1, v0
	v_cmp_eq_u32_e32 vcc_lo, 0, v0
	v_lshlrev_b32_e32 v4, 2, v6
	v_subrev_nc_u32_e32 v5, s33, v6
	buffer_store_dword v6, off, s[48:51], 0 offset:212 ; 4-byte Folded Spill
	v_lshlrev_b32_e32 v6, 4, v6
	v_mov_b32_e32 v50, 0
	v_lshl_or_b32 v4, v35, 6, v4
	v_add_nc_u32_e32 v5, 1, v5
	v_mul_u32_u24_e32 v31, 0xe0, v0
	v_lshlrev_b32_e32 v0, 4, v109
	v_mov_b32_e32 v127, 0x80
	v_add_nc_u32_e32 v33, 0x1e0, v4
	buffer_store_dword v5, off, s[48:51], 0 offset:216 ; 4-byte Folded Spill
	s_waitcnt lgkmcnt(0)
	s_add_u32 s38, s2, s18
	s_addc_u32 s39, s3, s1
	s_abs_i32 s5, s22
	v_add_co_u32 v5, s38, s38, v6
	v_cvt_f32_u32_e32 v1, s5
	s_sub_i32 s2, 0, s5
	v_add_co_ci_u32_e64 v6, null, s39, 0, s38
	v_cmp_neq_f32_e64 s1, s36, 0
	v_rcp_iflag_f32_e32 v1, v1
	v_bfrev_b32_e32 v22, 1
	v_mov_b32_e32 v18, 0x7f800001
	v_mov_b32_e32 v7, 0xff7fffff
	s_mov_b32 s38, 0
	s_mov_b32 s39, s17
	buffer_store_dword v12, off, s[48:51], 0 offset:228 ; 4-byte Folded Spill
	buffer_store_dword v108, off, s[48:51], 0 offset:220 ; 4-byte Folded Spill
	;; [unrolled: 1-line block ×4, first 2 shown]
	v_mul_f32_e32 v1, 0x4f7ffffe, v1
	v_cvt_u32_f32_e32 v1, v1
	v_mul_lo_u32 v4, s2, v1
	s_lshl_b64 s[2:3], s[28:29], 2
	s_add_u32 s2, s26, s2
	s_addc_u32 s3, s27, s3
	v_add_co_u32 v55, s2, s2, v3
	v_add_co_ci_u32_e64 v56, null, s3, 0, s2
	v_mul_hi_u32 v4, v1, v4
	v_add_co_u32 v2, s2, v5, v2
	v_add_co_ci_u32_e64 v3, null, 0, v6, s2
	buffer_store_dword v2, off, s[48:51], 0 offset:204 ; 4-byte Folded Spill
	buffer_store_dword v3, off, s[48:51], 0 offset:208 ; 4-byte Folded Spill
	v_add_nc_u32_e32 v34, v1, v4
	buffer_store_dword v35, off, s[48:51], 0 offset:224 ; 4-byte Folded Spill
	s_branch .LBB184_12
.LBB184_10:                             ;   in Loop: Header=BB184_12 Depth=1
	s_or_b32 exec_lo, exec_lo, s40
.LBB184_11:                             ;   in Loop: Header=BB184_12 Depth=1
	s_or_b32 exec_lo, exec_lo, s3
	v_add_nc_u32_e32 v35, 4, v35
	v_add_co_u32 v55, s3, v55, 16
	v_add_co_ci_u32_e64 v56, null, 0, v56, s3
	v_cmp_le_i32_e64 s2, s20, v35
	v_add_nc_u32_e32 v0, 64, v0
	v_add_nc_u32_e32 v33, 0x100, v33
	s_or_b32 s38, s2, s38
	s_andn2_b32 exec_lo, exec_lo, s38
	s_cbranch_execz .LBB184_467
.LBB184_12:                             ; =>This Inner Loop Header: Depth=1
	v_mul_hi_u32 v1, v0, s19
	s_waitcnt lgkmcnt(0)
	v_mul_lo_u32 v2, v1, s16
	v_add_nc_u32_e32 v3, 1, v1
	v_sub_nc_u32_e32 v2, v0, v2
	v_subrev_nc_u32_e32 v4, s16, v2
	v_cmp_le_u32_e64 s2, s16, v2
	v_cndmask_b32_e64 v1, v1, v3, s2
	v_cndmask_b32_e64 v2, v2, v4, s2
	v_add_nc_u32_e32 v3, 1, v1
	v_cmp_le_u32_e64 s2, s16, v2
	v_cndmask_b32_e64 v1, v1, v3, s2
	v_xor_b32_e32 v1, s23, v1
	v_subrev_nc_u32_e32 v1, s23, v1
	v_add_nc_u32_e32 v2, s25, v1
	v_cmp_ge_i32_e64 s3, s4, v1
	v_sub_nc_u32_e32 v3, 0, v2
	v_max_i32_e32 v3, v2, v3
	v_ashrrev_i32_e32 v2, 31, v2
	v_mul_hi_u32 v4, v3, v34
	v_mul_lo_u32 v4, v4, s5
	v_sub_nc_u32_e32 v3, v3, v4
	v_subrev_nc_u32_e32 v4, s5, v3
	v_cmp_le_u32_e64 s2, s5, v3
	v_cndmask_b32_e64 v3, v3, v4, s2
	v_subrev_nc_u32_e32 v4, s5, v3
	v_cmp_le_u32_e64 s2, s5, v3
	v_cndmask_b32_e64 v3, v3, v4, s2
	v_xor_b32_e32 v3, v3, v2
	v_sub_nc_u32_e32 v2, v3, v2
	v_cmp_ne_u32_e64 s2, 0, v2
	s_and_b32 s2, s2, s3
	s_and_saveexec_b32 s3, s2
	s_xor_b32 s2, exec_lo, s3
	s_cbranch_execz .LBB184_16
; %bb.13:                               ;   in Loop: Header=BB184_12 Depth=1
	s_and_saveexec_b32 s3, vcc_lo
; %bb.14:                               ;   in Loop: Header=BB184_12 Depth=1
	v_mov_b32_e32 v1, 0xff7fffff
	ds_write_b32 v33, v1
; %bb.15:                               ;   in Loop: Header=BB184_12 Depth=1
	s_or_b32 exec_lo, exec_lo, s3
.LBB184_16:                             ;   in Loop: Header=BB184_12 Depth=1
	s_andn2_saveexec_b32 s3, s2
	s_cbranch_execz .LBB184_11
; %bb.17:                               ;   in Loop: Header=BB184_12 Depth=1
	global_load_dword v1, v[55:56], off
	s_clause 0x1
	buffer_load_dword v2, off, s[48:51], 0 offset:204
	buffer_load_dword v3, off, s[48:51], 0 offset:208
	s_waitcnt vmcnt(0)
	v_mad_i64_i32 v[69:70], null, v1, s39, v[2:3]
	global_load_ushort v2, v[69:70], off
	ds_read_b128 v[45:48], v31
	ds_read_b128 v[41:44], v31 offset:16
	ds_read_b128 v[37:40], v31 offset:32
	;; [unrolled: 1-line block ×3, first 2 shown]
	s_waitcnt lgkmcnt(0)
	buffer_store_dword v3, off, s[48:51], 0 offset:184 ; 4-byte Folded Spill
	buffer_store_dword v4, off, s[48:51], 0 offset:188 ; 4-byte Folded Spill
	buffer_store_dword v5, off, s[48:51], 0 offset:192 ; 4-byte Folded Spill
	buffer_store_dword v6, off, s[48:51], 0 offset:196 ; 4-byte Folded Spill
	ds_read_b128 v[3:6], v31 offset:64
	s_waitcnt lgkmcnt(0)
	buffer_store_dword v3, off, s[48:51], 0 offset:168 ; 4-byte Folded Spill
	buffer_store_dword v4, off, s[48:51], 0 offset:172 ; 4-byte Folded Spill
	buffer_store_dword v5, off, s[48:51], 0 offset:176 ; 4-byte Folded Spill
	buffer_store_dword v6, off, s[48:51], 0 offset:180 ; 4-byte Folded Spill
	ds_read_b128 v[3:6], v31 offset:80
	;; [unrolled: 6-line block ×6, first 2 shown]
	s_waitcnt lgkmcnt(0)
	buffer_store_dword v3, off, s[48:51], 0 offset:88 ; 4-byte Folded Spill
	buffer_store_dword v4, off, s[48:51], 0 offset:92 ; 4-byte Folded Spill
	;; [unrolled: 1-line block ×4, first 2 shown]
	ds_read_b64 v[3:4], v31 offset:192
	s_waitcnt lgkmcnt(0)
	buffer_store_dword v3, off, s[48:51], 0 offset:48 ; 4-byte Folded Spill
	buffer_store_dword v4, off, s[48:51], 0 offset:52 ; 4-byte Folded Spill
	v_mov_b32_e32 v3, 0
	v_mov_b32_e32 v4, 0
	s_load_dword s40, s[12:13], 0x0
	buffer_store_dword v3, off, s[48:51], 0 ; 4-byte Folded Spill
	buffer_store_dword v4, off, s[48:51], 0 offset:4 ; 4-byte Folded Spill
	v_mov_b32_e32 v3, 0
	v_mov_b32_e32 v4, 0
	buffer_store_dword v3, off, s[48:51], 0 offset:40 ; 4-byte Folded Spill
	buffer_store_dword v4, off, s[48:51], 0 offset:44 ; 4-byte Folded Spill
	s_waitcnt vmcnt(0)
	v_and_b32_e32 v1, 0xffff, v2
	v_cmp_ne_u16_sdwa s2, v2, v50 src0_sel:BYTE_0 src1_sel:DWORD
	ds_read_b128 v[2:5], v31 offset:160
	s_waitcnt lgkmcnt(0)
	buffer_store_dword v2, off, s[48:51], 0 offset:72 ; 4-byte Folded Spill
	buffer_store_dword v3, off, s[48:51], 0 offset:76 ; 4-byte Folded Spill
	;; [unrolled: 1-line block ×4, first 2 shown]
	ds_read_b128 v[2:5], v31 offset:176
	s_waitcnt lgkmcnt(0)
	buffer_store_dword v2, off, s[48:51], 0 offset:56 ; 4-byte Folded Spill
	buffer_store_dword v3, off, s[48:51], 0 offset:60 ; 4-byte Folded Spill
	;; [unrolled: 1-line block ×4, first 2 shown]
	s_and_saveexec_b32 s41, s2
	s_cbranch_execz .LBB184_25
; %bb.18:                               ;   in Loop: Header=BB184_12 Depth=1
	v_bfrev_b32_e32 v4, 1
	v_mov_b32_e32 v5, 0
	v_cmp_ne_u16_sdwa s2, v1, v127 src0_sel:BYTE_0 src1_sel:DWORD
	s_and_saveexec_b32 s42, s2
	s_cbranch_execz .LBB184_24
; %bb.19:                               ;   in Loop: Header=BB184_12 Depth=1
	v_mov_b32_e32 v4, 0x7f800001
	v_and_b32_e32 v3, 0x7f, v1
	v_mov_b32_e32 v5, 0
	s_mov_b32 s43, exec_lo
	v_cmpx_ne_u32_e32 0x7f, v3
	s_cbranch_execz .LBB184_23
; %bb.20:                               ;   in Loop: Header=BB184_12 Depth=1
	v_and_b32_e32 v49, 7, v1
	v_lshrrev_b32_e32 v2, 3, v3
	s_mov_b32 s44, exec_lo
	v_cmpx_gt_u32_e32 8, v3
; %bb.21:                               ;   in Loop: Header=BB184_12 Depth=1
	v_ffbh_u32_e32 v2, v49
	v_min_u32_e32 v2, 32, v2
	v_subrev_nc_u32_e32 v3, 28, v2
	v_sub_nc_u32_e32 v2, 29, v2
	v_lshlrev_b64 v[3:4], v3, v[49:50]
	v_and_b32_e32 v49, 7, v3
; %bb.22:                               ;   in Loop: Header=BB184_12 Depth=1
	s_or_b32 exec_lo, exec_lo, s44
	v_lshlrev_b32_e32 v3, 24, v1
	v_lshlrev_b32_e32 v4, 20, v49
	v_lshl_add_u32 v2, v2, 23, 0x3c000000
	v_and_b32_e32 v3, 0x80000000, v3
	v_or3_b32 v49, v4, v3, v2
	v_mov_b32_e32 v4, v49
	v_mov_b32_e32 v5, v50
.LBB184_23:                             ;   in Loop: Header=BB184_12 Depth=1
	s_or_b32 exec_lo, exec_lo, s43
.LBB184_24:                             ;   in Loop: Header=BB184_12 Depth=1
	s_or_b32 exec_lo, exec_lo, s42
	buffer_store_dword v4, off, s[48:51], 0 offset:40 ; 4-byte Folded Spill
	buffer_store_dword v5, off, s[48:51], 0 offset:44 ; 4-byte Folded Spill
.LBB184_25:                             ;   in Loop: Header=BB184_12 Depth=1
	s_or_b32 exec_lo, exec_lo, s41
	v_cmp_ne_u16_sdwa s2, v1, v50 src0_sel:BYTE_1 src1_sel:DWORD
	s_and_saveexec_b32 s41, s2
	s_cbranch_execz .LBB184_33
; %bb.26:                               ;   in Loop: Header=BB184_12 Depth=1
	v_mov_b32_e32 v21, v50
	v_cmp_ne_u16_sdwa s2, v1, v127 src0_sel:BYTE_1 src1_sel:DWORD
	buffer_store_dword v21, off, s[48:51], 0 ; 4-byte Folded Spill
	buffer_store_dword v22, off, s[48:51], 0 offset:4 ; 4-byte Folded Spill
	s_and_saveexec_b32 s42, s2
	s_cbranch_execz .LBB184_32
; %bb.27:                               ;   in Loop: Header=BB184_12 Depth=1
	v_mov_b32_e32 v2, 0xffff
	v_mov_b32_e32 v17, v50
	s_mov_b32 s43, exec_lo
	buffer_store_dword v17, off, s[48:51], 0 ; 4-byte Folded Spill
	buffer_store_dword v18, off, s[48:51], 0 offset:4 ; 4-byte Folded Spill
	v_and_b32_sdwa v2, v2, v1 dst_sel:DWORD dst_unused:UNUSED_PAD src0_sel:DWORD src1_sel:BYTE_1
	v_and_b32_e32 v3, 0x7f, v2
	v_cmpx_ne_u32_e32 0x7f, v3
	s_cbranch_execz .LBB184_31
; %bb.28:                               ;   in Loop: Header=BB184_12 Depth=1
	v_and_b32_e32 v49, 7, v2
	v_lshrrev_b32_e32 v2, 3, v3
	s_mov_b32 s44, exec_lo
	v_cmpx_gt_u32_e32 8, v3
; %bb.29:                               ;   in Loop: Header=BB184_12 Depth=1
	v_ffbh_u32_e32 v2, v49
	v_min_u32_e32 v2, 32, v2
	v_subrev_nc_u32_e32 v3, 28, v2
	v_sub_nc_u32_e32 v2, 29, v2
	v_lshlrev_b64 v[3:4], v3, v[49:50]
	v_and_b32_e32 v49, 7, v3
; %bb.30:                               ;   in Loop: Header=BB184_12 Depth=1
	s_or_b32 exec_lo, exec_lo, s44
	v_lshlrev_b32_e32 v1, 16, v1
	v_lshlrev_b32_e32 v3, 20, v49
	v_lshl_add_u32 v2, v2, 23, 0x3c000000
	v_and_b32_e32 v1, 0x80000000, v1
	v_or3_b32 v2, v3, v1, v2
	v_mov_b32_e32 v1, v50
	buffer_store_dword v1, off, s[48:51], 0 ; 4-byte Folded Spill
	buffer_store_dword v2, off, s[48:51], 0 offset:4 ; 4-byte Folded Spill
.LBB184_31:                             ;   in Loop: Header=BB184_12 Depth=1
	s_or_b32 exec_lo, exec_lo, s43
.LBB184_32:                             ;   in Loop: Header=BB184_12 Depth=1
	s_or_b32 exec_lo, exec_lo, s42
.LBB184_33:                             ;   in Loop: Header=BB184_12 Depth=1
	s_or_b32 exec_lo, exec_lo, s41
	global_load_ushort v2, v[69:70], off offset:4
	v_mov_b32_e32 v3, 0
	v_mov_b32_e32 v4, 0
	buffer_store_dword v3, off, s[48:51], 0 offset:16 ; 4-byte Folded Spill
	buffer_store_dword v4, off, s[48:51], 0 offset:20 ; 4-byte Folded Spill
	v_mov_b32_e32 v3, 0
	v_mov_b32_e32 v4, 0
	buffer_store_dword v3, off, s[48:51], 0 offset:8 ; 4-byte Folded Spill
	buffer_store_dword v4, off, s[48:51], 0 offset:12 ; 4-byte Folded Spill
	s_waitcnt vmcnt(0)
	v_and_b32_e32 v1, 0xffff, v2
	v_cmp_ne_u16_sdwa s2, v2, v50 src0_sel:BYTE_0 src1_sel:DWORD
	s_and_saveexec_b32 s41, s2
	s_cbranch_execz .LBB184_41
; %bb.34:                               ;   in Loop: Header=BB184_12 Depth=1
	v_bfrev_b32_e32 v2, 1
	v_mov_b32_e32 v3, 0
	v_cmp_ne_u16_sdwa s2, v1, v127 src0_sel:BYTE_0 src1_sel:DWORD
	buffer_store_dword v2, off, s[48:51], 0 offset:8 ; 4-byte Folded Spill
	buffer_store_dword v3, off, s[48:51], 0 offset:12 ; 4-byte Folded Spill
	s_and_saveexec_b32 s42, s2
	s_cbranch_execz .LBB184_40
; %bb.35:                               ;   in Loop: Header=BB184_12 Depth=1
	v_mov_b32_e32 v4, 0x7f800001
	v_and_b32_e32 v3, 0x7f, v1
	v_mov_b32_e32 v5, 0
	s_mov_b32 s43, exec_lo
	buffer_store_dword v4, off, s[48:51], 0 offset:8 ; 4-byte Folded Spill
	buffer_store_dword v5, off, s[48:51], 0 offset:12 ; 4-byte Folded Spill
	v_cmpx_ne_u32_e32 0x7f, v3
	s_cbranch_execz .LBB184_39
; %bb.36:                               ;   in Loop: Header=BB184_12 Depth=1
	v_and_b32_e32 v49, 7, v1
	v_lshrrev_b32_e32 v2, 3, v3
	s_mov_b32 s44, exec_lo
	v_cmpx_gt_u32_e32 8, v3
; %bb.37:                               ;   in Loop: Header=BB184_12 Depth=1
	v_ffbh_u32_e32 v2, v49
	v_min_u32_e32 v2, 32, v2
	v_subrev_nc_u32_e32 v3, 28, v2
	v_sub_nc_u32_e32 v2, 29, v2
	v_lshlrev_b64 v[3:4], v3, v[49:50]
	v_and_b32_e32 v49, 7, v3
; %bb.38:                               ;   in Loop: Header=BB184_12 Depth=1
	s_or_b32 exec_lo, exec_lo, s44
	v_lshlrev_b32_e32 v3, 24, v1
	v_lshlrev_b32_e32 v4, 20, v49
	v_lshl_add_u32 v2, v2, 23, 0x3c000000
	v_and_b32_e32 v3, 0x80000000, v3
	v_or3_b32 v49, v4, v3, v2
	buffer_store_dword v49, off, s[48:51], 0 offset:8 ; 4-byte Folded Spill
	buffer_store_dword v50, off, s[48:51], 0 offset:12 ; 4-byte Folded Spill
.LBB184_39:                             ;   in Loop: Header=BB184_12 Depth=1
	s_or_b32 exec_lo, exec_lo, s43
.LBB184_40:                             ;   in Loop: Header=BB184_12 Depth=1
	s_or_b32 exec_lo, exec_lo, s42
.LBB184_41:                             ;   in Loop: Header=BB184_12 Depth=1
	s_or_b32 exec_lo, exec_lo, s41
	v_cmp_ne_u16_sdwa s2, v1, v50 src0_sel:BYTE_1 src1_sel:DWORD
	s_and_saveexec_b32 s41, s2
	s_cbranch_execz .LBB184_49
; %bb.42:                               ;   in Loop: Header=BB184_12 Depth=1
	v_mov_b32_e32 v21, v50
	v_cmp_ne_u16_sdwa s2, v1, v127 src0_sel:BYTE_1 src1_sel:DWORD
	buffer_store_dword v21, off, s[48:51], 0 offset:16 ; 4-byte Folded Spill
	buffer_store_dword v22, off, s[48:51], 0 offset:20 ; 4-byte Folded Spill
	s_and_saveexec_b32 s42, s2
	s_cbranch_execz .LBB184_48
; %bb.43:                               ;   in Loop: Header=BB184_12 Depth=1
	v_mov_b32_e32 v2, 0xffff
	v_mov_b32_e32 v17, v50
	s_mov_b32 s43, exec_lo
	buffer_store_dword v17, off, s[48:51], 0 offset:16 ; 4-byte Folded Spill
	buffer_store_dword v18, off, s[48:51], 0 offset:20 ; 4-byte Folded Spill
	v_and_b32_sdwa v2, v2, v1 dst_sel:DWORD dst_unused:UNUSED_PAD src0_sel:DWORD src1_sel:BYTE_1
	v_and_b32_e32 v3, 0x7f, v2
	v_cmpx_ne_u32_e32 0x7f, v3
	s_cbranch_execz .LBB184_47
; %bb.44:                               ;   in Loop: Header=BB184_12 Depth=1
	v_and_b32_e32 v49, 7, v2
	v_lshrrev_b32_e32 v2, 3, v3
	s_mov_b32 s44, exec_lo
	v_cmpx_gt_u32_e32 8, v3
; %bb.45:                               ;   in Loop: Header=BB184_12 Depth=1
	v_ffbh_u32_e32 v2, v49
	v_min_u32_e32 v2, 32, v2
	v_subrev_nc_u32_e32 v3, 28, v2
	v_sub_nc_u32_e32 v2, 29, v2
	v_lshlrev_b64 v[3:4], v3, v[49:50]
	v_and_b32_e32 v49, 7, v3
; %bb.46:                               ;   in Loop: Header=BB184_12 Depth=1
	s_or_b32 exec_lo, exec_lo, s44
	v_lshlrev_b32_e32 v1, 16, v1
	v_lshlrev_b32_e32 v3, 20, v49
	v_lshl_add_u32 v2, v2, 23, 0x3c000000
	v_and_b32_e32 v1, 0x80000000, v1
	v_or3_b32 v2, v3, v1, v2
	v_mov_b32_e32 v1, v50
	buffer_store_dword v1, off, s[48:51], 0 offset:16 ; 4-byte Folded Spill
	buffer_store_dword v2, off, s[48:51], 0 offset:20 ; 4-byte Folded Spill
.LBB184_47:                             ;   in Loop: Header=BB184_12 Depth=1
	s_or_b32 exec_lo, exec_lo, s43
.LBB184_48:                             ;   in Loop: Header=BB184_12 Depth=1
	s_or_b32 exec_lo, exec_lo, s42
.LBB184_49:                             ;   in Loop: Header=BB184_12 Depth=1
	s_or_b32 exec_lo, exec_lo, s41
	global_load_ushort v2, v[69:70], off offset:8
	v_mov_b32_e32 v29, 0
	v_mov_b32_e32 v3, 0
	;; [unrolled: 1-line block ×4, first 2 shown]
	buffer_store_dword v3, off, s[48:51], 0 offset:24 ; 4-byte Folded Spill
	buffer_store_dword v4, off, s[48:51], 0 offset:28 ; 4-byte Folded Spill
	s_waitcnt vmcnt(0)
	v_and_b32_e32 v1, 0xffff, v2
	v_cmp_ne_u16_sdwa s2, v2, v50 src0_sel:BYTE_0 src1_sel:DWORD
	s_and_saveexec_b32 s41, s2
	s_cbranch_execz .LBB184_57
; %bb.50:                               ;   in Loop: Header=BB184_12 Depth=1
	v_bfrev_b32_e32 v2, 1
	v_mov_b32_e32 v3, 0
	v_cmp_ne_u16_sdwa s2, v1, v127 src0_sel:BYTE_0 src1_sel:DWORD
	buffer_store_dword v2, off, s[48:51], 0 offset:24 ; 4-byte Folded Spill
	buffer_store_dword v3, off, s[48:51], 0 offset:28 ; 4-byte Folded Spill
	s_and_saveexec_b32 s42, s2
	s_cbranch_execz .LBB184_56
; %bb.51:                               ;   in Loop: Header=BB184_12 Depth=1
	v_mov_b32_e32 v4, 0x7f800001
	v_and_b32_e32 v3, 0x7f, v1
	v_mov_b32_e32 v5, 0
	s_mov_b32 s43, exec_lo
	buffer_store_dword v4, off, s[48:51], 0 offset:24 ; 4-byte Folded Spill
	buffer_store_dword v5, off, s[48:51], 0 offset:28 ; 4-byte Folded Spill
	v_cmpx_ne_u32_e32 0x7f, v3
	s_cbranch_execz .LBB184_55
; %bb.52:                               ;   in Loop: Header=BB184_12 Depth=1
	v_and_b32_e32 v49, 7, v1
	v_lshrrev_b32_e32 v2, 3, v3
	s_mov_b32 s44, exec_lo
	v_cmpx_gt_u32_e32 8, v3
; %bb.53:                               ;   in Loop: Header=BB184_12 Depth=1
	v_ffbh_u32_e32 v2, v49
	v_min_u32_e32 v2, 32, v2
	v_subrev_nc_u32_e32 v3, 28, v2
	v_sub_nc_u32_e32 v2, 29, v2
	v_lshlrev_b64 v[3:4], v3, v[49:50]
	v_and_b32_e32 v49, 7, v3
; %bb.54:                               ;   in Loop: Header=BB184_12 Depth=1
	s_or_b32 exec_lo, exec_lo, s44
	v_lshlrev_b32_e32 v3, 24, v1
	v_lshlrev_b32_e32 v4, 20, v49
	v_lshl_add_u32 v2, v2, 23, 0x3c000000
	v_and_b32_e32 v3, 0x80000000, v3
	v_or3_b32 v49, v4, v3, v2
	buffer_store_dword v49, off, s[48:51], 0 offset:24 ; 4-byte Folded Spill
	buffer_store_dword v50, off, s[48:51], 0 offset:28 ; 4-byte Folded Spill
.LBB184_55:                             ;   in Loop: Header=BB184_12 Depth=1
	s_or_b32 exec_lo, exec_lo, s43
.LBB184_56:                             ;   in Loop: Header=BB184_12 Depth=1
	s_or_b32 exec_lo, exec_lo, s42
.LBB184_57:                             ;   in Loop: Header=BB184_12 Depth=1
	s_or_b32 exec_lo, exec_lo, s41
	v_cmp_ne_u16_sdwa s2, v1, v50 src0_sel:BYTE_1 src1_sel:DWORD
	s_and_saveexec_b32 s41, s2
	s_cbranch_execz .LBB184_65
; %bb.58:                               ;   in Loop: Header=BB184_12 Depth=1
	v_mov_b32_e32 v21, v50
	v_mov_b32_e32 v30, v22
	v_cmp_ne_u16_sdwa s2, v1, v127 src0_sel:BYTE_1 src1_sel:DWORD
	v_mov_b32_e32 v29, v21
	s_and_saveexec_b32 s42, s2
	s_cbranch_execz .LBB184_64
; %bb.59:                               ;   in Loop: Header=BB184_12 Depth=1
	v_mov_b32_e32 v2, 0xffff
	v_mov_b32_e32 v17, v50
	;; [unrolled: 1-line block ×3, first 2 shown]
	s_mov_b32 s43, exec_lo
	v_and_b32_sdwa v2, v2, v1 dst_sel:DWORD dst_unused:UNUSED_PAD src0_sel:DWORD src1_sel:BYTE_1
	v_mov_b32_e32 v29, v17
	v_and_b32_e32 v3, 0x7f, v2
	v_cmpx_ne_u32_e32 0x7f, v3
	s_cbranch_execz .LBB184_63
; %bb.60:                               ;   in Loop: Header=BB184_12 Depth=1
	v_and_b32_e32 v49, 7, v2
	v_lshrrev_b32_e32 v2, 3, v3
	s_mov_b32 s44, exec_lo
	v_cmpx_gt_u32_e32 8, v3
; %bb.61:                               ;   in Loop: Header=BB184_12 Depth=1
	v_ffbh_u32_e32 v2, v49
	v_min_u32_e32 v2, 32, v2
	v_subrev_nc_u32_e32 v3, 28, v2
	v_sub_nc_u32_e32 v2, 29, v2
	v_lshlrev_b64 v[3:4], v3, v[49:50]
	v_and_b32_e32 v49, 7, v3
; %bb.62:                               ;   in Loop: Header=BB184_12 Depth=1
	s_or_b32 exec_lo, exec_lo, s44
	v_lshlrev_b32_e32 v1, 16, v1
	v_lshlrev_b32_e32 v3, 20, v49
	v_lshl_add_u32 v2, v2, 23, 0x3c000000
	v_mov_b32_e32 v29, v50
	v_and_b32_e32 v1, 0x80000000, v1
	v_or3_b32 v30, v3, v1, v2
.LBB184_63:                             ;   in Loop: Header=BB184_12 Depth=1
	s_or_b32 exec_lo, exec_lo, s43
.LBB184_64:                             ;   in Loop: Header=BB184_12 Depth=1
	s_or_b32 exec_lo, exec_lo, s42
.LBB184_65:                             ;   in Loop: Header=BB184_12 Depth=1
	s_or_b32 exec_lo, exec_lo, s41
	global_load_ushort v2, v[69:70], off offset:12
	v_mov_b32_e32 v77, 0
	v_mov_b32_e32 v3, 0
	;; [unrolled: 1-line block ×4, first 2 shown]
	buffer_store_dword v3, off, s[48:51], 0 offset:32 ; 4-byte Folded Spill
	buffer_store_dword v4, off, s[48:51], 0 offset:36 ; 4-byte Folded Spill
	s_waitcnt vmcnt(0)
	v_and_b32_e32 v1, 0xffff, v2
	v_cmp_ne_u16_sdwa s2, v2, v50 src0_sel:BYTE_0 src1_sel:DWORD
	s_and_saveexec_b32 s41, s2
	s_cbranch_execz .LBB184_73
; %bb.66:                               ;   in Loop: Header=BB184_12 Depth=1
	v_bfrev_b32_e32 v2, 1
	v_mov_b32_e32 v3, 0
	v_cmp_ne_u16_sdwa s2, v1, v127 src0_sel:BYTE_0 src1_sel:DWORD
	buffer_store_dword v2, off, s[48:51], 0 offset:32 ; 4-byte Folded Spill
	buffer_store_dword v3, off, s[48:51], 0 offset:36 ; 4-byte Folded Spill
	s_and_saveexec_b32 s42, s2
	s_cbranch_execz .LBB184_72
; %bb.67:                               ;   in Loop: Header=BB184_12 Depth=1
	v_mov_b32_e32 v4, 0x7f800001
	v_and_b32_e32 v3, 0x7f, v1
	v_mov_b32_e32 v5, 0
	s_mov_b32 s43, exec_lo
	buffer_store_dword v4, off, s[48:51], 0 offset:32 ; 4-byte Folded Spill
	buffer_store_dword v5, off, s[48:51], 0 offset:36 ; 4-byte Folded Spill
	v_cmpx_ne_u32_e32 0x7f, v3
	s_cbranch_execz .LBB184_71
; %bb.68:                               ;   in Loop: Header=BB184_12 Depth=1
	v_and_b32_e32 v49, 7, v1
	v_lshrrev_b32_e32 v2, 3, v3
	s_mov_b32 s44, exec_lo
	v_cmpx_gt_u32_e32 8, v3
; %bb.69:                               ;   in Loop: Header=BB184_12 Depth=1
	v_ffbh_u32_e32 v2, v49
	v_min_u32_e32 v2, 32, v2
	v_subrev_nc_u32_e32 v3, 28, v2
	v_sub_nc_u32_e32 v2, 29, v2
	v_lshlrev_b64 v[3:4], v3, v[49:50]
	v_and_b32_e32 v49, 7, v3
; %bb.70:                               ;   in Loop: Header=BB184_12 Depth=1
	s_or_b32 exec_lo, exec_lo, s44
	v_lshlrev_b32_e32 v3, 24, v1
	v_lshlrev_b32_e32 v4, 20, v49
	v_lshl_add_u32 v2, v2, 23, 0x3c000000
	v_and_b32_e32 v3, 0x80000000, v3
	v_or3_b32 v49, v4, v3, v2
	buffer_store_dword v49, off, s[48:51], 0 offset:32 ; 4-byte Folded Spill
	buffer_store_dword v50, off, s[48:51], 0 offset:36 ; 4-byte Folded Spill
.LBB184_71:                             ;   in Loop: Header=BB184_12 Depth=1
	s_or_b32 exec_lo, exec_lo, s43
.LBB184_72:                             ;   in Loop: Header=BB184_12 Depth=1
	s_or_b32 exec_lo, exec_lo, s42
.LBB184_73:                             ;   in Loop: Header=BB184_12 Depth=1
	s_or_b32 exec_lo, exec_lo, s41
	v_cmp_ne_u16_sdwa s2, v1, v50 src0_sel:BYTE_1 src1_sel:DWORD
	s_and_saveexec_b32 s41, s2
	s_cbranch_execz .LBB184_81
; %bb.74:                               ;   in Loop: Header=BB184_12 Depth=1
	v_mov_b32_e32 v21, v50
	v_mov_b32_e32 v78, v22
	v_cmp_ne_u16_sdwa s2, v1, v127 src0_sel:BYTE_1 src1_sel:DWORD
	v_mov_b32_e32 v77, v21
	s_and_saveexec_b32 s42, s2
	s_cbranch_execz .LBB184_80
; %bb.75:                               ;   in Loop: Header=BB184_12 Depth=1
	v_mov_b32_e32 v2, 0xffff
	v_mov_b32_e32 v17, v50
	;; [unrolled: 1-line block ×3, first 2 shown]
	s_mov_b32 s43, exec_lo
	v_and_b32_sdwa v2, v2, v1 dst_sel:DWORD dst_unused:UNUSED_PAD src0_sel:DWORD src1_sel:BYTE_1
	v_mov_b32_e32 v77, v17
	v_and_b32_e32 v3, 0x7f, v2
	v_cmpx_ne_u32_e32 0x7f, v3
	s_cbranch_execz .LBB184_79
; %bb.76:                               ;   in Loop: Header=BB184_12 Depth=1
	v_and_b32_e32 v49, 7, v2
	v_lshrrev_b32_e32 v2, 3, v3
	s_mov_b32 s44, exec_lo
	v_cmpx_gt_u32_e32 8, v3
; %bb.77:                               ;   in Loop: Header=BB184_12 Depth=1
	v_ffbh_u32_e32 v2, v49
	v_min_u32_e32 v2, 32, v2
	v_subrev_nc_u32_e32 v3, 28, v2
	v_sub_nc_u32_e32 v2, 29, v2
	v_lshlrev_b64 v[3:4], v3, v[49:50]
	v_and_b32_e32 v49, 7, v3
; %bb.78:                               ;   in Loop: Header=BB184_12 Depth=1
	s_or_b32 exec_lo, exec_lo, s44
	v_lshlrev_b32_e32 v1, 16, v1
	v_lshlrev_b32_e32 v3, 20, v49
	v_lshl_add_u32 v2, v2, 23, 0x3c000000
	v_mov_b32_e32 v77, v50
	v_and_b32_e32 v1, 0x80000000, v1
	v_or3_b32 v78, v3, v1, v2
.LBB184_79:                             ;   in Loop: Header=BB184_12 Depth=1
	s_or_b32 exec_lo, exec_lo, s43
.LBB184_80:                             ;   in Loop: Header=BB184_12 Depth=1
	s_or_b32 exec_lo, exec_lo, s42
.LBB184_81:                             ;   in Loop: Header=BB184_12 Depth=1
	s_or_b32 exec_lo, exec_lo, s41
	global_load_ushort v2, v[69:70], off offset:256
	v_mov_b32_e32 v81, 0
	v_mov_b32_e32 v79, 0
	;; [unrolled: 1-line block ×4, first 2 shown]
	s_waitcnt vmcnt(0)
	v_and_b32_e32 v1, 0xffff, v2
	v_cmp_ne_u16_sdwa s2, v2, v50 src0_sel:BYTE_0 src1_sel:DWORD
	s_and_saveexec_b32 s41, s2
	s_cbranch_execz .LBB184_89
; %bb.82:                               ;   in Loop: Header=BB184_12 Depth=1
	v_bfrev_b32_e32 v79, 1
	v_mov_b32_e32 v80, 0
	v_cmp_ne_u16_sdwa s2, v1, v127 src0_sel:BYTE_0 src1_sel:DWORD
	s_and_saveexec_b32 s42, s2
	s_cbranch_execz .LBB184_88
; %bb.83:                               ;   in Loop: Header=BB184_12 Depth=1
	v_mov_b32_e32 v79, 0x7f800001
	v_and_b32_e32 v3, 0x7f, v1
	v_mov_b32_e32 v80, 0
	s_mov_b32 s43, exec_lo
	v_cmpx_ne_u32_e32 0x7f, v3
	s_cbranch_execz .LBB184_87
; %bb.84:                               ;   in Loop: Header=BB184_12 Depth=1
	v_and_b32_e32 v49, 7, v1
	v_lshrrev_b32_e32 v2, 3, v3
	s_mov_b32 s44, exec_lo
	v_cmpx_gt_u32_e32 8, v3
; %bb.85:                               ;   in Loop: Header=BB184_12 Depth=1
	v_ffbh_u32_e32 v2, v49
	v_min_u32_e32 v2, 32, v2
	v_subrev_nc_u32_e32 v3, 28, v2
	v_sub_nc_u32_e32 v2, 29, v2
	v_lshlrev_b64 v[3:4], v3, v[49:50]
	v_and_b32_e32 v49, 7, v3
; %bb.86:                               ;   in Loop: Header=BB184_12 Depth=1
	s_or_b32 exec_lo, exec_lo, s44
	v_lshlrev_b32_e32 v3, 24, v1
	v_lshlrev_b32_e32 v4, 20, v49
	v_lshl_add_u32 v2, v2, 23, 0x3c000000
	v_and_b32_e32 v3, 0x80000000, v3
	v_or3_b32 v49, v4, v3, v2
	v_mov_b32_e32 v80, v50
	v_mov_b32_e32 v79, v49
.LBB184_87:                             ;   in Loop: Header=BB184_12 Depth=1
	s_or_b32 exec_lo, exec_lo, s43
.LBB184_88:                             ;   in Loop: Header=BB184_12 Depth=1
	s_or_b32 exec_lo, exec_lo, s42
.LBB184_89:                             ;   in Loop: Header=BB184_12 Depth=1
	s_or_b32 exec_lo, exec_lo, s41
	v_cmp_ne_u16_sdwa s2, v1, v50 src0_sel:BYTE_1 src1_sel:DWORD
	s_and_saveexec_b32 s41, s2
	s_cbranch_execz .LBB184_97
; %bb.90:                               ;   in Loop: Header=BB184_12 Depth=1
	v_mov_b32_e32 v21, v50
	v_mov_b32_e32 v82, v22
	v_cmp_ne_u16_sdwa s2, v1, v127 src0_sel:BYTE_1 src1_sel:DWORD
	v_mov_b32_e32 v81, v21
	s_and_saveexec_b32 s42, s2
	s_cbranch_execz .LBB184_96
; %bb.91:                               ;   in Loop: Header=BB184_12 Depth=1
	v_mov_b32_e32 v2, 0xffff
	v_mov_b32_e32 v17, v50
	;; [unrolled: 1-line block ×3, first 2 shown]
	s_mov_b32 s43, exec_lo
	v_and_b32_sdwa v2, v2, v1 dst_sel:DWORD dst_unused:UNUSED_PAD src0_sel:DWORD src1_sel:BYTE_1
	v_mov_b32_e32 v81, v17
	v_and_b32_e32 v3, 0x7f, v2
	v_cmpx_ne_u32_e32 0x7f, v3
	s_cbranch_execz .LBB184_95
; %bb.92:                               ;   in Loop: Header=BB184_12 Depth=1
	v_and_b32_e32 v49, 7, v2
	v_lshrrev_b32_e32 v2, 3, v3
	s_mov_b32 s44, exec_lo
	v_cmpx_gt_u32_e32 8, v3
; %bb.93:                               ;   in Loop: Header=BB184_12 Depth=1
	v_ffbh_u32_e32 v2, v49
	v_min_u32_e32 v2, 32, v2
	v_subrev_nc_u32_e32 v3, 28, v2
	v_sub_nc_u32_e32 v2, 29, v2
	v_lshlrev_b64 v[3:4], v3, v[49:50]
	v_and_b32_e32 v49, 7, v3
; %bb.94:                               ;   in Loop: Header=BB184_12 Depth=1
	s_or_b32 exec_lo, exec_lo, s44
	v_lshlrev_b32_e32 v1, 16, v1
	v_lshlrev_b32_e32 v3, 20, v49
	v_lshl_add_u32 v2, v2, 23, 0x3c000000
	v_mov_b32_e32 v81, v50
	v_and_b32_e32 v1, 0x80000000, v1
	v_or3_b32 v82, v3, v1, v2
.LBB184_95:                             ;   in Loop: Header=BB184_12 Depth=1
	s_or_b32 exec_lo, exec_lo, s43
.LBB184_96:                             ;   in Loop: Header=BB184_12 Depth=1
	s_or_b32 exec_lo, exec_lo, s42
.LBB184_97:                             ;   in Loop: Header=BB184_12 Depth=1
	s_or_b32 exec_lo, exec_lo, s41
	global_load_ushort v2, v[69:70], off offset:260
	v_mov_b32_e32 v85, 0
	v_mov_b32_e32 v83, 0
	;; [unrolled: 1-line block ×4, first 2 shown]
	s_waitcnt vmcnt(0)
	v_and_b32_e32 v1, 0xffff, v2
	v_cmp_ne_u16_sdwa s2, v2, v50 src0_sel:BYTE_0 src1_sel:DWORD
	s_and_saveexec_b32 s41, s2
	s_cbranch_execz .LBB184_105
; %bb.98:                               ;   in Loop: Header=BB184_12 Depth=1
	v_bfrev_b32_e32 v83, 1
	v_mov_b32_e32 v84, 0
	v_cmp_ne_u16_sdwa s2, v1, v127 src0_sel:BYTE_0 src1_sel:DWORD
	s_and_saveexec_b32 s42, s2
	s_cbranch_execz .LBB184_104
; %bb.99:                               ;   in Loop: Header=BB184_12 Depth=1
	v_mov_b32_e32 v83, 0x7f800001
	v_and_b32_e32 v3, 0x7f, v1
	v_mov_b32_e32 v84, 0
	s_mov_b32 s43, exec_lo
	v_cmpx_ne_u32_e32 0x7f, v3
	s_cbranch_execz .LBB184_103
; %bb.100:                              ;   in Loop: Header=BB184_12 Depth=1
	v_and_b32_e32 v49, 7, v1
	v_lshrrev_b32_e32 v2, 3, v3
	s_mov_b32 s44, exec_lo
	v_cmpx_gt_u32_e32 8, v3
; %bb.101:                              ;   in Loop: Header=BB184_12 Depth=1
	v_ffbh_u32_e32 v2, v49
	v_min_u32_e32 v2, 32, v2
	v_subrev_nc_u32_e32 v3, 28, v2
	v_sub_nc_u32_e32 v2, 29, v2
	v_lshlrev_b64 v[3:4], v3, v[49:50]
	v_and_b32_e32 v49, 7, v3
; %bb.102:                              ;   in Loop: Header=BB184_12 Depth=1
	s_or_b32 exec_lo, exec_lo, s44
	v_lshlrev_b32_e32 v3, 24, v1
	v_lshlrev_b32_e32 v4, 20, v49
	v_lshl_add_u32 v2, v2, 23, 0x3c000000
	v_and_b32_e32 v3, 0x80000000, v3
	v_or3_b32 v49, v4, v3, v2
	v_mov_b32_e32 v84, v50
	v_mov_b32_e32 v83, v49
.LBB184_103:                            ;   in Loop: Header=BB184_12 Depth=1
	s_or_b32 exec_lo, exec_lo, s43
.LBB184_104:                            ;   in Loop: Header=BB184_12 Depth=1
	s_or_b32 exec_lo, exec_lo, s42
.LBB184_105:                            ;   in Loop: Header=BB184_12 Depth=1
	s_or_b32 exec_lo, exec_lo, s41
	v_cmp_ne_u16_sdwa s2, v1, v50 src0_sel:BYTE_1 src1_sel:DWORD
	s_and_saveexec_b32 s41, s2
	s_cbranch_execz .LBB184_113
; %bb.106:                              ;   in Loop: Header=BB184_12 Depth=1
	v_mov_b32_e32 v21, v50
	v_mov_b32_e32 v86, v22
	v_cmp_ne_u16_sdwa s2, v1, v127 src0_sel:BYTE_1 src1_sel:DWORD
	v_mov_b32_e32 v85, v21
	s_and_saveexec_b32 s42, s2
	s_cbranch_execz .LBB184_112
; %bb.107:                              ;   in Loop: Header=BB184_12 Depth=1
	v_mov_b32_e32 v2, 0xffff
	v_mov_b32_e32 v17, v50
	;; [unrolled: 1-line block ×3, first 2 shown]
	s_mov_b32 s43, exec_lo
	v_and_b32_sdwa v2, v2, v1 dst_sel:DWORD dst_unused:UNUSED_PAD src0_sel:DWORD src1_sel:BYTE_1
	v_mov_b32_e32 v85, v17
	v_and_b32_e32 v3, 0x7f, v2
	v_cmpx_ne_u32_e32 0x7f, v3
	s_cbranch_execz .LBB184_111
; %bb.108:                              ;   in Loop: Header=BB184_12 Depth=1
	v_and_b32_e32 v49, 7, v2
	v_lshrrev_b32_e32 v2, 3, v3
	s_mov_b32 s44, exec_lo
	v_cmpx_gt_u32_e32 8, v3
; %bb.109:                              ;   in Loop: Header=BB184_12 Depth=1
	v_ffbh_u32_e32 v2, v49
	v_min_u32_e32 v2, 32, v2
	v_subrev_nc_u32_e32 v3, 28, v2
	v_sub_nc_u32_e32 v2, 29, v2
	v_lshlrev_b64 v[3:4], v3, v[49:50]
	v_and_b32_e32 v49, 7, v3
; %bb.110:                              ;   in Loop: Header=BB184_12 Depth=1
	s_or_b32 exec_lo, exec_lo, s44
	v_lshlrev_b32_e32 v1, 16, v1
	v_lshlrev_b32_e32 v3, 20, v49
	v_lshl_add_u32 v2, v2, 23, 0x3c000000
	v_mov_b32_e32 v85, v50
	v_and_b32_e32 v1, 0x80000000, v1
	v_or3_b32 v86, v3, v1, v2
.LBB184_111:                            ;   in Loop: Header=BB184_12 Depth=1
	s_or_b32 exec_lo, exec_lo, s43
.LBB184_112:                            ;   in Loop: Header=BB184_12 Depth=1
	s_or_b32 exec_lo, exec_lo, s42
.LBB184_113:                            ;   in Loop: Header=BB184_12 Depth=1
	s_or_b32 exec_lo, exec_lo, s41
	global_load_ushort v2, v[69:70], off offset:264
	v_mov_b32_e32 v89, 0
	v_mov_b32_e32 v87, 0
	;; [unrolled: 1-line block ×4, first 2 shown]
	s_waitcnt vmcnt(0)
	v_and_b32_e32 v1, 0xffff, v2
	v_cmp_ne_u16_sdwa s2, v2, v50 src0_sel:BYTE_0 src1_sel:DWORD
	s_and_saveexec_b32 s41, s2
	s_cbranch_execz .LBB184_121
; %bb.114:                              ;   in Loop: Header=BB184_12 Depth=1
	v_bfrev_b32_e32 v87, 1
	v_mov_b32_e32 v88, 0
	v_cmp_ne_u16_sdwa s2, v1, v127 src0_sel:BYTE_0 src1_sel:DWORD
	s_and_saveexec_b32 s42, s2
	s_cbranch_execz .LBB184_120
; %bb.115:                              ;   in Loop: Header=BB184_12 Depth=1
	v_mov_b32_e32 v87, 0x7f800001
	v_and_b32_e32 v3, 0x7f, v1
	v_mov_b32_e32 v88, 0
	s_mov_b32 s43, exec_lo
	v_cmpx_ne_u32_e32 0x7f, v3
	s_cbranch_execz .LBB184_119
; %bb.116:                              ;   in Loop: Header=BB184_12 Depth=1
	v_and_b32_e32 v49, 7, v1
	v_lshrrev_b32_e32 v2, 3, v3
	s_mov_b32 s44, exec_lo
	v_cmpx_gt_u32_e32 8, v3
; %bb.117:                              ;   in Loop: Header=BB184_12 Depth=1
	v_ffbh_u32_e32 v2, v49
	v_min_u32_e32 v2, 32, v2
	v_subrev_nc_u32_e32 v3, 28, v2
	v_sub_nc_u32_e32 v2, 29, v2
	v_lshlrev_b64 v[3:4], v3, v[49:50]
	v_and_b32_e32 v49, 7, v3
; %bb.118:                              ;   in Loop: Header=BB184_12 Depth=1
	s_or_b32 exec_lo, exec_lo, s44
	v_lshlrev_b32_e32 v3, 24, v1
	v_lshlrev_b32_e32 v4, 20, v49
	v_lshl_add_u32 v2, v2, 23, 0x3c000000
	v_and_b32_e32 v3, 0x80000000, v3
	v_or3_b32 v49, v4, v3, v2
	v_mov_b32_e32 v88, v50
	v_mov_b32_e32 v87, v49
.LBB184_119:                            ;   in Loop: Header=BB184_12 Depth=1
	s_or_b32 exec_lo, exec_lo, s43
.LBB184_120:                            ;   in Loop: Header=BB184_12 Depth=1
	s_or_b32 exec_lo, exec_lo, s42
.LBB184_121:                            ;   in Loop: Header=BB184_12 Depth=1
	s_or_b32 exec_lo, exec_lo, s41
	v_cmp_ne_u16_sdwa s2, v1, v50 src0_sel:BYTE_1 src1_sel:DWORD
	s_and_saveexec_b32 s41, s2
	s_cbranch_execz .LBB184_129
; %bb.122:                              ;   in Loop: Header=BB184_12 Depth=1
	v_mov_b32_e32 v21, v50
	v_mov_b32_e32 v90, v22
	v_cmp_ne_u16_sdwa s2, v1, v127 src0_sel:BYTE_1 src1_sel:DWORD
	v_mov_b32_e32 v89, v21
	s_and_saveexec_b32 s42, s2
	s_cbranch_execz .LBB184_128
; %bb.123:                              ;   in Loop: Header=BB184_12 Depth=1
	v_mov_b32_e32 v2, 0xffff
	v_mov_b32_e32 v17, v50
	;; [unrolled: 1-line block ×3, first 2 shown]
	s_mov_b32 s43, exec_lo
	v_and_b32_sdwa v2, v2, v1 dst_sel:DWORD dst_unused:UNUSED_PAD src0_sel:DWORD src1_sel:BYTE_1
	v_mov_b32_e32 v89, v17
	v_and_b32_e32 v3, 0x7f, v2
	v_cmpx_ne_u32_e32 0x7f, v3
	s_cbranch_execz .LBB184_127
; %bb.124:                              ;   in Loop: Header=BB184_12 Depth=1
	v_and_b32_e32 v49, 7, v2
	v_lshrrev_b32_e32 v2, 3, v3
	s_mov_b32 s44, exec_lo
	v_cmpx_gt_u32_e32 8, v3
; %bb.125:                              ;   in Loop: Header=BB184_12 Depth=1
	v_ffbh_u32_e32 v2, v49
	v_min_u32_e32 v2, 32, v2
	v_subrev_nc_u32_e32 v3, 28, v2
	v_sub_nc_u32_e32 v2, 29, v2
	v_lshlrev_b64 v[3:4], v3, v[49:50]
	v_and_b32_e32 v49, 7, v3
; %bb.126:                              ;   in Loop: Header=BB184_12 Depth=1
	s_or_b32 exec_lo, exec_lo, s44
	v_lshlrev_b32_e32 v1, 16, v1
	v_lshlrev_b32_e32 v3, 20, v49
	v_lshl_add_u32 v2, v2, 23, 0x3c000000
	v_mov_b32_e32 v89, v50
	v_and_b32_e32 v1, 0x80000000, v1
	v_or3_b32 v90, v3, v1, v2
.LBB184_127:                            ;   in Loop: Header=BB184_12 Depth=1
	s_or_b32 exec_lo, exec_lo, s43
.LBB184_128:                            ;   in Loop: Header=BB184_12 Depth=1
	s_or_b32 exec_lo, exec_lo, s42
.LBB184_129:                            ;   in Loop: Header=BB184_12 Depth=1
	s_or_b32 exec_lo, exec_lo, s41
	global_load_ushort v2, v[69:70], off offset:268
	v_mov_b32_e32 v93, 0
	v_mov_b32_e32 v91, 0
	;; [unrolled: 1-line block ×4, first 2 shown]
	s_waitcnt vmcnt(0)
	v_and_b32_e32 v1, 0xffff, v2
	v_cmp_ne_u16_sdwa s2, v2, v50 src0_sel:BYTE_0 src1_sel:DWORD
	s_and_saveexec_b32 s41, s2
	s_cbranch_execz .LBB184_137
; %bb.130:                              ;   in Loop: Header=BB184_12 Depth=1
	v_bfrev_b32_e32 v91, 1
	v_mov_b32_e32 v92, 0
	v_cmp_ne_u16_sdwa s2, v1, v127 src0_sel:BYTE_0 src1_sel:DWORD
	s_and_saveexec_b32 s42, s2
	s_cbranch_execz .LBB184_136
; %bb.131:                              ;   in Loop: Header=BB184_12 Depth=1
	v_mov_b32_e32 v91, 0x7f800001
	v_and_b32_e32 v3, 0x7f, v1
	v_mov_b32_e32 v92, 0
	s_mov_b32 s43, exec_lo
	v_cmpx_ne_u32_e32 0x7f, v3
	s_cbranch_execz .LBB184_135
; %bb.132:                              ;   in Loop: Header=BB184_12 Depth=1
	v_and_b32_e32 v49, 7, v1
	v_lshrrev_b32_e32 v2, 3, v3
	s_mov_b32 s44, exec_lo
	v_cmpx_gt_u32_e32 8, v3
; %bb.133:                              ;   in Loop: Header=BB184_12 Depth=1
	v_ffbh_u32_e32 v2, v49
	v_min_u32_e32 v2, 32, v2
	v_subrev_nc_u32_e32 v3, 28, v2
	v_sub_nc_u32_e32 v2, 29, v2
	v_lshlrev_b64 v[3:4], v3, v[49:50]
	v_and_b32_e32 v49, 7, v3
; %bb.134:                              ;   in Loop: Header=BB184_12 Depth=1
	s_or_b32 exec_lo, exec_lo, s44
	v_lshlrev_b32_e32 v3, 24, v1
	v_lshlrev_b32_e32 v4, 20, v49
	v_lshl_add_u32 v2, v2, 23, 0x3c000000
	v_and_b32_e32 v3, 0x80000000, v3
	v_or3_b32 v49, v4, v3, v2
	v_mov_b32_e32 v92, v50
	v_mov_b32_e32 v91, v49
.LBB184_135:                            ;   in Loop: Header=BB184_12 Depth=1
	s_or_b32 exec_lo, exec_lo, s43
.LBB184_136:                            ;   in Loop: Header=BB184_12 Depth=1
	s_or_b32 exec_lo, exec_lo, s42
.LBB184_137:                            ;   in Loop: Header=BB184_12 Depth=1
	s_or_b32 exec_lo, exec_lo, s41
	v_cmp_ne_u16_sdwa s2, v1, v50 src0_sel:BYTE_1 src1_sel:DWORD
	s_and_saveexec_b32 s41, s2
	s_cbranch_execz .LBB184_145
; %bb.138:                              ;   in Loop: Header=BB184_12 Depth=1
	v_mov_b32_e32 v21, v50
	v_mov_b32_e32 v94, v22
	v_cmp_ne_u16_sdwa s2, v1, v127 src0_sel:BYTE_1 src1_sel:DWORD
	v_mov_b32_e32 v93, v21
	s_and_saveexec_b32 s42, s2
	s_cbranch_execz .LBB184_144
; %bb.139:                              ;   in Loop: Header=BB184_12 Depth=1
	v_mov_b32_e32 v2, 0xffff
	v_mov_b32_e32 v17, v50
	;; [unrolled: 1-line block ×3, first 2 shown]
	s_mov_b32 s43, exec_lo
	v_and_b32_sdwa v2, v2, v1 dst_sel:DWORD dst_unused:UNUSED_PAD src0_sel:DWORD src1_sel:BYTE_1
	v_mov_b32_e32 v93, v17
	v_and_b32_e32 v3, 0x7f, v2
	v_cmpx_ne_u32_e32 0x7f, v3
	s_cbranch_execz .LBB184_143
; %bb.140:                              ;   in Loop: Header=BB184_12 Depth=1
	v_and_b32_e32 v49, 7, v2
	v_lshrrev_b32_e32 v2, 3, v3
	s_mov_b32 s44, exec_lo
	v_cmpx_gt_u32_e32 8, v3
; %bb.141:                              ;   in Loop: Header=BB184_12 Depth=1
	v_ffbh_u32_e32 v2, v49
	v_min_u32_e32 v2, 32, v2
	v_subrev_nc_u32_e32 v3, 28, v2
	v_sub_nc_u32_e32 v2, 29, v2
	v_lshlrev_b64 v[3:4], v3, v[49:50]
	v_and_b32_e32 v49, 7, v3
; %bb.142:                              ;   in Loop: Header=BB184_12 Depth=1
	s_or_b32 exec_lo, exec_lo, s44
	v_lshlrev_b32_e32 v1, 16, v1
	v_lshlrev_b32_e32 v3, 20, v49
	v_lshl_add_u32 v2, v2, 23, 0x3c000000
	v_mov_b32_e32 v93, v50
	v_and_b32_e32 v1, 0x80000000, v1
	v_or3_b32 v94, v3, v1, v2
.LBB184_143:                            ;   in Loop: Header=BB184_12 Depth=1
	s_or_b32 exec_lo, exec_lo, s43
.LBB184_144:                            ;   in Loop: Header=BB184_12 Depth=1
	s_or_b32 exec_lo, exec_lo, s42
.LBB184_145:                            ;   in Loop: Header=BB184_12 Depth=1
	s_or_b32 exec_lo, exec_lo, s41
	global_load_ushort v2, v[69:70], off offset:512
	v_mov_b32_e32 v97, 0
	v_mov_b32_e32 v95, 0
	;; [unrolled: 1-line block ×4, first 2 shown]
	s_waitcnt vmcnt(0)
	v_and_b32_e32 v1, 0xffff, v2
	v_cmp_ne_u16_sdwa s2, v2, v50 src0_sel:BYTE_0 src1_sel:DWORD
	s_and_saveexec_b32 s41, s2
	s_cbranch_execz .LBB184_153
; %bb.146:                              ;   in Loop: Header=BB184_12 Depth=1
	v_bfrev_b32_e32 v95, 1
	v_mov_b32_e32 v96, 0
	v_cmp_ne_u16_sdwa s2, v1, v127 src0_sel:BYTE_0 src1_sel:DWORD
	s_and_saveexec_b32 s42, s2
	s_cbranch_execz .LBB184_152
; %bb.147:                              ;   in Loop: Header=BB184_12 Depth=1
	v_mov_b32_e32 v95, 0x7f800001
	v_and_b32_e32 v3, 0x7f, v1
	v_mov_b32_e32 v96, 0
	s_mov_b32 s43, exec_lo
	v_cmpx_ne_u32_e32 0x7f, v3
	s_cbranch_execz .LBB184_151
; %bb.148:                              ;   in Loop: Header=BB184_12 Depth=1
	v_and_b32_e32 v49, 7, v1
	v_lshrrev_b32_e32 v2, 3, v3
	s_mov_b32 s44, exec_lo
	v_cmpx_gt_u32_e32 8, v3
; %bb.149:                              ;   in Loop: Header=BB184_12 Depth=1
	v_ffbh_u32_e32 v2, v49
	v_min_u32_e32 v2, 32, v2
	v_subrev_nc_u32_e32 v3, 28, v2
	v_sub_nc_u32_e32 v2, 29, v2
	v_lshlrev_b64 v[3:4], v3, v[49:50]
	v_and_b32_e32 v49, 7, v3
; %bb.150:                              ;   in Loop: Header=BB184_12 Depth=1
	s_or_b32 exec_lo, exec_lo, s44
	v_lshlrev_b32_e32 v3, 24, v1
	v_lshlrev_b32_e32 v4, 20, v49
	v_lshl_add_u32 v2, v2, 23, 0x3c000000
	v_and_b32_e32 v3, 0x80000000, v3
	v_or3_b32 v49, v4, v3, v2
	v_mov_b32_e32 v96, v50
	v_mov_b32_e32 v95, v49
.LBB184_151:                            ;   in Loop: Header=BB184_12 Depth=1
	s_or_b32 exec_lo, exec_lo, s43
.LBB184_152:                            ;   in Loop: Header=BB184_12 Depth=1
	s_or_b32 exec_lo, exec_lo, s42
.LBB184_153:                            ;   in Loop: Header=BB184_12 Depth=1
	s_or_b32 exec_lo, exec_lo, s41
	v_cmp_ne_u16_sdwa s2, v1, v50 src0_sel:BYTE_1 src1_sel:DWORD
	s_and_saveexec_b32 s41, s2
	s_cbranch_execz .LBB184_161
; %bb.154:                              ;   in Loop: Header=BB184_12 Depth=1
	v_mov_b32_e32 v21, v50
	v_mov_b32_e32 v98, v22
	v_cmp_ne_u16_sdwa s2, v1, v127 src0_sel:BYTE_1 src1_sel:DWORD
	v_mov_b32_e32 v97, v21
	s_and_saveexec_b32 s42, s2
	s_cbranch_execz .LBB184_160
; %bb.155:                              ;   in Loop: Header=BB184_12 Depth=1
	v_mov_b32_e32 v2, 0xffff
	v_mov_b32_e32 v17, v50
	v_mov_b32_e32 v98, v18
	s_mov_b32 s43, exec_lo
	v_and_b32_sdwa v2, v2, v1 dst_sel:DWORD dst_unused:UNUSED_PAD src0_sel:DWORD src1_sel:BYTE_1
	v_mov_b32_e32 v97, v17
	v_and_b32_e32 v3, 0x7f, v2
	v_cmpx_ne_u32_e32 0x7f, v3
	s_cbranch_execz .LBB184_159
; %bb.156:                              ;   in Loop: Header=BB184_12 Depth=1
	v_and_b32_e32 v49, 7, v2
	v_lshrrev_b32_e32 v2, 3, v3
	s_mov_b32 s44, exec_lo
	v_cmpx_gt_u32_e32 8, v3
; %bb.157:                              ;   in Loop: Header=BB184_12 Depth=1
	v_ffbh_u32_e32 v2, v49
	v_min_u32_e32 v2, 32, v2
	v_subrev_nc_u32_e32 v3, 28, v2
	v_sub_nc_u32_e32 v2, 29, v2
	v_lshlrev_b64 v[3:4], v3, v[49:50]
	v_and_b32_e32 v49, 7, v3
; %bb.158:                              ;   in Loop: Header=BB184_12 Depth=1
	s_or_b32 exec_lo, exec_lo, s44
	v_lshlrev_b32_e32 v1, 16, v1
	v_lshlrev_b32_e32 v3, 20, v49
	v_lshl_add_u32 v2, v2, 23, 0x3c000000
	v_mov_b32_e32 v97, v50
	v_and_b32_e32 v1, 0x80000000, v1
	v_or3_b32 v98, v3, v1, v2
.LBB184_159:                            ;   in Loop: Header=BB184_12 Depth=1
	s_or_b32 exec_lo, exec_lo, s43
.LBB184_160:                            ;   in Loop: Header=BB184_12 Depth=1
	s_or_b32 exec_lo, exec_lo, s42
.LBB184_161:                            ;   in Loop: Header=BB184_12 Depth=1
	s_or_b32 exec_lo, exec_lo, s41
	global_load_ushort v2, v[69:70], off offset:516
	v_mov_b32_e32 v101, 0
	v_mov_b32_e32 v99, 0
	v_mov_b32_e32 v102, 0
	v_mov_b32_e32 v100, 0
	s_waitcnt vmcnt(0)
	v_and_b32_e32 v1, 0xffff, v2
	v_cmp_ne_u16_sdwa s2, v2, v50 src0_sel:BYTE_0 src1_sel:DWORD
	s_and_saveexec_b32 s41, s2
	s_cbranch_execz .LBB184_169
; %bb.162:                              ;   in Loop: Header=BB184_12 Depth=1
	v_bfrev_b32_e32 v99, 1
	v_mov_b32_e32 v100, 0
	v_cmp_ne_u16_sdwa s2, v1, v127 src0_sel:BYTE_0 src1_sel:DWORD
	s_and_saveexec_b32 s42, s2
	s_cbranch_execz .LBB184_168
; %bb.163:                              ;   in Loop: Header=BB184_12 Depth=1
	v_mov_b32_e32 v99, 0x7f800001
	v_and_b32_e32 v3, 0x7f, v1
	v_mov_b32_e32 v100, 0
	s_mov_b32 s43, exec_lo
	v_cmpx_ne_u32_e32 0x7f, v3
	s_cbranch_execz .LBB184_167
; %bb.164:                              ;   in Loop: Header=BB184_12 Depth=1
	v_and_b32_e32 v49, 7, v1
	v_lshrrev_b32_e32 v2, 3, v3
	s_mov_b32 s44, exec_lo
	v_cmpx_gt_u32_e32 8, v3
; %bb.165:                              ;   in Loop: Header=BB184_12 Depth=1
	v_ffbh_u32_e32 v2, v49
	v_min_u32_e32 v2, 32, v2
	v_subrev_nc_u32_e32 v3, 28, v2
	v_sub_nc_u32_e32 v2, 29, v2
	v_lshlrev_b64 v[3:4], v3, v[49:50]
	v_and_b32_e32 v49, 7, v3
; %bb.166:                              ;   in Loop: Header=BB184_12 Depth=1
	s_or_b32 exec_lo, exec_lo, s44
	v_lshlrev_b32_e32 v3, 24, v1
	v_lshlrev_b32_e32 v4, 20, v49
	v_lshl_add_u32 v2, v2, 23, 0x3c000000
	v_and_b32_e32 v3, 0x80000000, v3
	v_or3_b32 v49, v4, v3, v2
	v_mov_b32_e32 v100, v50
	v_mov_b32_e32 v99, v49
.LBB184_167:                            ;   in Loop: Header=BB184_12 Depth=1
	s_or_b32 exec_lo, exec_lo, s43
.LBB184_168:                            ;   in Loop: Header=BB184_12 Depth=1
	s_or_b32 exec_lo, exec_lo, s42
.LBB184_169:                            ;   in Loop: Header=BB184_12 Depth=1
	s_or_b32 exec_lo, exec_lo, s41
	v_cmp_ne_u16_sdwa s2, v1, v50 src0_sel:BYTE_1 src1_sel:DWORD
	s_and_saveexec_b32 s41, s2
	s_cbranch_execz .LBB184_177
; %bb.170:                              ;   in Loop: Header=BB184_12 Depth=1
	v_mov_b32_e32 v21, v50
	v_mov_b32_e32 v102, v22
	v_cmp_ne_u16_sdwa s2, v1, v127 src0_sel:BYTE_1 src1_sel:DWORD
	v_mov_b32_e32 v101, v21
	s_and_saveexec_b32 s42, s2
	s_cbranch_execz .LBB184_176
; %bb.171:                              ;   in Loop: Header=BB184_12 Depth=1
	v_mov_b32_e32 v2, 0xffff
	v_mov_b32_e32 v17, v50
	;; [unrolled: 1-line block ×3, first 2 shown]
	s_mov_b32 s43, exec_lo
	v_and_b32_sdwa v2, v2, v1 dst_sel:DWORD dst_unused:UNUSED_PAD src0_sel:DWORD src1_sel:BYTE_1
	v_mov_b32_e32 v101, v17
	v_and_b32_e32 v3, 0x7f, v2
	v_cmpx_ne_u32_e32 0x7f, v3
	s_cbranch_execz .LBB184_175
; %bb.172:                              ;   in Loop: Header=BB184_12 Depth=1
	v_and_b32_e32 v49, 7, v2
	v_lshrrev_b32_e32 v2, 3, v3
	s_mov_b32 s44, exec_lo
	v_cmpx_gt_u32_e32 8, v3
; %bb.173:                              ;   in Loop: Header=BB184_12 Depth=1
	v_ffbh_u32_e32 v2, v49
	v_min_u32_e32 v2, 32, v2
	v_subrev_nc_u32_e32 v3, 28, v2
	v_sub_nc_u32_e32 v2, 29, v2
	v_lshlrev_b64 v[3:4], v3, v[49:50]
	v_and_b32_e32 v49, 7, v3
; %bb.174:                              ;   in Loop: Header=BB184_12 Depth=1
	s_or_b32 exec_lo, exec_lo, s44
	v_lshlrev_b32_e32 v1, 16, v1
	v_lshlrev_b32_e32 v3, 20, v49
	v_lshl_add_u32 v2, v2, 23, 0x3c000000
	v_mov_b32_e32 v101, v50
	v_and_b32_e32 v1, 0x80000000, v1
	v_or3_b32 v102, v3, v1, v2
.LBB184_175:                            ;   in Loop: Header=BB184_12 Depth=1
	s_or_b32 exec_lo, exec_lo, s43
.LBB184_176:                            ;   in Loop: Header=BB184_12 Depth=1
	s_or_b32 exec_lo, exec_lo, s42
.LBB184_177:                            ;   in Loop: Header=BB184_12 Depth=1
	s_or_b32 exec_lo, exec_lo, s41
	global_load_ushort v2, v[69:70], off offset:520
	v_mov_b32_e32 v105, 0
	v_mov_b32_e32 v103, 0
	;; [unrolled: 1-line block ×4, first 2 shown]
	s_waitcnt vmcnt(0)
	v_and_b32_e32 v1, 0xffff, v2
	v_cmp_ne_u16_sdwa s2, v2, v50 src0_sel:BYTE_0 src1_sel:DWORD
	s_and_saveexec_b32 s41, s2
	s_cbranch_execz .LBB184_185
; %bb.178:                              ;   in Loop: Header=BB184_12 Depth=1
	v_bfrev_b32_e32 v103, 1
	v_mov_b32_e32 v104, 0
	v_cmp_ne_u16_sdwa s2, v1, v127 src0_sel:BYTE_0 src1_sel:DWORD
	s_and_saveexec_b32 s42, s2
	s_cbranch_execz .LBB184_184
; %bb.179:                              ;   in Loop: Header=BB184_12 Depth=1
	v_mov_b32_e32 v103, 0x7f800001
	v_and_b32_e32 v3, 0x7f, v1
	v_mov_b32_e32 v104, 0
	s_mov_b32 s43, exec_lo
	v_cmpx_ne_u32_e32 0x7f, v3
	s_cbranch_execz .LBB184_183
; %bb.180:                              ;   in Loop: Header=BB184_12 Depth=1
	v_and_b32_e32 v49, 7, v1
	v_lshrrev_b32_e32 v2, 3, v3
	s_mov_b32 s44, exec_lo
	v_cmpx_gt_u32_e32 8, v3
; %bb.181:                              ;   in Loop: Header=BB184_12 Depth=1
	v_ffbh_u32_e32 v2, v49
	v_min_u32_e32 v2, 32, v2
	v_subrev_nc_u32_e32 v3, 28, v2
	v_sub_nc_u32_e32 v2, 29, v2
	v_lshlrev_b64 v[3:4], v3, v[49:50]
	v_and_b32_e32 v49, 7, v3
; %bb.182:                              ;   in Loop: Header=BB184_12 Depth=1
	s_or_b32 exec_lo, exec_lo, s44
	v_lshlrev_b32_e32 v3, 24, v1
	v_lshlrev_b32_e32 v4, 20, v49
	v_lshl_add_u32 v2, v2, 23, 0x3c000000
	v_and_b32_e32 v3, 0x80000000, v3
	v_or3_b32 v49, v4, v3, v2
	v_mov_b32_e32 v104, v50
	v_mov_b32_e32 v103, v49
.LBB184_183:                            ;   in Loop: Header=BB184_12 Depth=1
	s_or_b32 exec_lo, exec_lo, s43
.LBB184_184:                            ;   in Loop: Header=BB184_12 Depth=1
	s_or_b32 exec_lo, exec_lo, s42
.LBB184_185:                            ;   in Loop: Header=BB184_12 Depth=1
	s_or_b32 exec_lo, exec_lo, s41
	v_cmp_ne_u16_sdwa s2, v1, v50 src0_sel:BYTE_1 src1_sel:DWORD
	s_and_saveexec_b32 s41, s2
	s_cbranch_execz .LBB184_193
; %bb.186:                              ;   in Loop: Header=BB184_12 Depth=1
	v_mov_b32_e32 v21, v50
	v_mov_b32_e32 v106, v22
	v_cmp_ne_u16_sdwa s2, v1, v127 src0_sel:BYTE_1 src1_sel:DWORD
	v_mov_b32_e32 v105, v21
	s_and_saveexec_b32 s42, s2
	s_cbranch_execz .LBB184_192
; %bb.187:                              ;   in Loop: Header=BB184_12 Depth=1
	v_mov_b32_e32 v2, 0xffff
	v_mov_b32_e32 v17, v50
	v_mov_b32_e32 v106, v18
	s_mov_b32 s43, exec_lo
	v_and_b32_sdwa v2, v2, v1 dst_sel:DWORD dst_unused:UNUSED_PAD src0_sel:DWORD src1_sel:BYTE_1
	v_mov_b32_e32 v105, v17
	v_and_b32_e32 v3, 0x7f, v2
	v_cmpx_ne_u32_e32 0x7f, v3
	s_cbranch_execz .LBB184_191
; %bb.188:                              ;   in Loop: Header=BB184_12 Depth=1
	v_and_b32_e32 v49, 7, v2
	v_lshrrev_b32_e32 v2, 3, v3
	s_mov_b32 s44, exec_lo
	v_cmpx_gt_u32_e32 8, v3
; %bb.189:                              ;   in Loop: Header=BB184_12 Depth=1
	v_ffbh_u32_e32 v2, v49
	v_min_u32_e32 v2, 32, v2
	v_subrev_nc_u32_e32 v3, 28, v2
	v_sub_nc_u32_e32 v2, 29, v2
	v_lshlrev_b64 v[3:4], v3, v[49:50]
	v_and_b32_e32 v49, 7, v3
; %bb.190:                              ;   in Loop: Header=BB184_12 Depth=1
	s_or_b32 exec_lo, exec_lo, s44
	v_lshlrev_b32_e32 v1, 16, v1
	v_lshlrev_b32_e32 v3, 20, v49
	v_lshl_add_u32 v2, v2, 23, 0x3c000000
	v_mov_b32_e32 v105, v50
	v_and_b32_e32 v1, 0x80000000, v1
	v_or3_b32 v106, v3, v1, v2
.LBB184_191:                            ;   in Loop: Header=BB184_12 Depth=1
	s_or_b32 exec_lo, exec_lo, s43
.LBB184_192:                            ;   in Loop: Header=BB184_12 Depth=1
	s_or_b32 exec_lo, exec_lo, s42
.LBB184_193:                            ;   in Loop: Header=BB184_12 Depth=1
	s_or_b32 exec_lo, exec_lo, s41
	global_load_ushort v2, v[69:70], off offset:524
	v_mov_b32_e32 v109, 0
	v_mov_b32_e32 v107, 0
	v_mov_b32_e32 v110, 0
	v_mov_b32_e32 v108, 0
	s_waitcnt vmcnt(0)
	v_and_b32_e32 v1, 0xffff, v2
	v_cmp_ne_u16_sdwa s2, v2, v50 src0_sel:BYTE_0 src1_sel:DWORD
	s_and_saveexec_b32 s41, s2
	s_cbranch_execz .LBB184_201
; %bb.194:                              ;   in Loop: Header=BB184_12 Depth=1
	v_bfrev_b32_e32 v107, 1
	v_mov_b32_e32 v108, 0
	v_cmp_ne_u16_sdwa s2, v1, v127 src0_sel:BYTE_0 src1_sel:DWORD
	s_and_saveexec_b32 s42, s2
	s_cbranch_execz .LBB184_200
; %bb.195:                              ;   in Loop: Header=BB184_12 Depth=1
	v_mov_b32_e32 v107, 0x7f800001
	v_and_b32_e32 v3, 0x7f, v1
	v_mov_b32_e32 v108, 0
	s_mov_b32 s43, exec_lo
	v_cmpx_ne_u32_e32 0x7f, v3
	s_cbranch_execz .LBB184_199
; %bb.196:                              ;   in Loop: Header=BB184_12 Depth=1
	v_and_b32_e32 v49, 7, v1
	v_lshrrev_b32_e32 v2, 3, v3
	s_mov_b32 s44, exec_lo
	v_cmpx_gt_u32_e32 8, v3
; %bb.197:                              ;   in Loop: Header=BB184_12 Depth=1
	v_ffbh_u32_e32 v2, v49
	v_min_u32_e32 v2, 32, v2
	v_subrev_nc_u32_e32 v3, 28, v2
	v_sub_nc_u32_e32 v2, 29, v2
	v_lshlrev_b64 v[3:4], v3, v[49:50]
	v_and_b32_e32 v49, 7, v3
; %bb.198:                              ;   in Loop: Header=BB184_12 Depth=1
	s_or_b32 exec_lo, exec_lo, s44
	v_lshlrev_b32_e32 v3, 24, v1
	v_lshlrev_b32_e32 v4, 20, v49
	v_lshl_add_u32 v2, v2, 23, 0x3c000000
	v_and_b32_e32 v3, 0x80000000, v3
	v_or3_b32 v49, v4, v3, v2
	v_mov_b32_e32 v108, v50
	v_mov_b32_e32 v107, v49
.LBB184_199:                            ;   in Loop: Header=BB184_12 Depth=1
	s_or_b32 exec_lo, exec_lo, s43
.LBB184_200:                            ;   in Loop: Header=BB184_12 Depth=1
	s_or_b32 exec_lo, exec_lo, s42
.LBB184_201:                            ;   in Loop: Header=BB184_12 Depth=1
	s_or_b32 exec_lo, exec_lo, s41
	v_cmp_ne_u16_sdwa s2, v1, v50 src0_sel:BYTE_1 src1_sel:DWORD
	s_and_saveexec_b32 s41, s2
	s_cbranch_execz .LBB184_209
; %bb.202:                              ;   in Loop: Header=BB184_12 Depth=1
	v_mov_b32_e32 v21, v50
	v_mov_b32_e32 v110, v22
	v_cmp_ne_u16_sdwa s2, v1, v127 src0_sel:BYTE_1 src1_sel:DWORD
	v_mov_b32_e32 v109, v21
	s_and_saveexec_b32 s42, s2
	s_cbranch_execz .LBB184_208
; %bb.203:                              ;   in Loop: Header=BB184_12 Depth=1
	v_mov_b32_e32 v2, 0xffff
	v_mov_b32_e32 v17, v50
	;; [unrolled: 1-line block ×3, first 2 shown]
	s_mov_b32 s43, exec_lo
	v_and_b32_sdwa v2, v2, v1 dst_sel:DWORD dst_unused:UNUSED_PAD src0_sel:DWORD src1_sel:BYTE_1
	v_mov_b32_e32 v109, v17
	v_and_b32_e32 v3, 0x7f, v2
	v_cmpx_ne_u32_e32 0x7f, v3
	s_cbranch_execz .LBB184_207
; %bb.204:                              ;   in Loop: Header=BB184_12 Depth=1
	v_and_b32_e32 v49, 7, v2
	v_lshrrev_b32_e32 v2, 3, v3
	s_mov_b32 s44, exec_lo
	v_cmpx_gt_u32_e32 8, v3
; %bb.205:                              ;   in Loop: Header=BB184_12 Depth=1
	v_ffbh_u32_e32 v2, v49
	v_min_u32_e32 v2, 32, v2
	v_subrev_nc_u32_e32 v3, 28, v2
	v_sub_nc_u32_e32 v2, 29, v2
	v_lshlrev_b64 v[3:4], v3, v[49:50]
	v_and_b32_e32 v49, 7, v3
; %bb.206:                              ;   in Loop: Header=BB184_12 Depth=1
	s_or_b32 exec_lo, exec_lo, s44
	v_lshlrev_b32_e32 v1, 16, v1
	v_lshlrev_b32_e32 v3, 20, v49
	v_lshl_add_u32 v2, v2, 23, 0x3c000000
	v_mov_b32_e32 v109, v50
	v_and_b32_e32 v1, 0x80000000, v1
	v_or3_b32 v110, v3, v1, v2
.LBB184_207:                            ;   in Loop: Header=BB184_12 Depth=1
	s_or_b32 exec_lo, exec_lo, s43
.LBB184_208:                            ;   in Loop: Header=BB184_12 Depth=1
	s_or_b32 exec_lo, exec_lo, s42
.LBB184_209:                            ;   in Loop: Header=BB184_12 Depth=1
	s_or_b32 exec_lo, exec_lo, s41
	global_load_ushort v2, v[69:70], off offset:768
	v_mov_b32_e32 v113, 0
	v_mov_b32_e32 v111, 0
	;; [unrolled: 1-line block ×4, first 2 shown]
	s_waitcnt vmcnt(0)
	v_and_b32_e32 v1, 0xffff, v2
	v_cmp_ne_u16_sdwa s2, v2, v50 src0_sel:BYTE_0 src1_sel:DWORD
	s_and_saveexec_b32 s41, s2
	s_cbranch_execz .LBB184_217
; %bb.210:                              ;   in Loop: Header=BB184_12 Depth=1
	v_bfrev_b32_e32 v111, 1
	v_mov_b32_e32 v112, 0
	v_cmp_ne_u16_sdwa s2, v1, v127 src0_sel:BYTE_0 src1_sel:DWORD
	s_and_saveexec_b32 s42, s2
	s_cbranch_execz .LBB184_216
; %bb.211:                              ;   in Loop: Header=BB184_12 Depth=1
	v_mov_b32_e32 v111, 0x7f800001
	v_and_b32_e32 v3, 0x7f, v1
	v_mov_b32_e32 v112, 0
	s_mov_b32 s43, exec_lo
	v_cmpx_ne_u32_e32 0x7f, v3
	s_cbranch_execz .LBB184_215
; %bb.212:                              ;   in Loop: Header=BB184_12 Depth=1
	v_and_b32_e32 v49, 7, v1
	v_lshrrev_b32_e32 v2, 3, v3
	s_mov_b32 s44, exec_lo
	v_cmpx_gt_u32_e32 8, v3
; %bb.213:                              ;   in Loop: Header=BB184_12 Depth=1
	v_ffbh_u32_e32 v2, v49
	v_min_u32_e32 v2, 32, v2
	v_subrev_nc_u32_e32 v3, 28, v2
	v_sub_nc_u32_e32 v2, 29, v2
	v_lshlrev_b64 v[3:4], v3, v[49:50]
	v_and_b32_e32 v49, 7, v3
; %bb.214:                              ;   in Loop: Header=BB184_12 Depth=1
	s_or_b32 exec_lo, exec_lo, s44
	v_lshlrev_b32_e32 v3, 24, v1
	v_lshlrev_b32_e32 v4, 20, v49
	v_lshl_add_u32 v2, v2, 23, 0x3c000000
	v_and_b32_e32 v3, 0x80000000, v3
	v_or3_b32 v49, v4, v3, v2
	v_mov_b32_e32 v112, v50
	v_mov_b32_e32 v111, v49
.LBB184_215:                            ;   in Loop: Header=BB184_12 Depth=1
	s_or_b32 exec_lo, exec_lo, s43
.LBB184_216:                            ;   in Loop: Header=BB184_12 Depth=1
	s_or_b32 exec_lo, exec_lo, s42
.LBB184_217:                            ;   in Loop: Header=BB184_12 Depth=1
	s_or_b32 exec_lo, exec_lo, s41
	v_cmp_ne_u16_sdwa s2, v1, v50 src0_sel:BYTE_1 src1_sel:DWORD
	s_and_saveexec_b32 s41, s2
	s_cbranch_execz .LBB184_225
; %bb.218:                              ;   in Loop: Header=BB184_12 Depth=1
	v_mov_b32_e32 v21, v50
	v_mov_b32_e32 v114, v22
	v_cmp_ne_u16_sdwa s2, v1, v127 src0_sel:BYTE_1 src1_sel:DWORD
	v_mov_b32_e32 v113, v21
	s_and_saveexec_b32 s42, s2
	s_cbranch_execz .LBB184_224
; %bb.219:                              ;   in Loop: Header=BB184_12 Depth=1
	v_mov_b32_e32 v2, 0xffff
	v_mov_b32_e32 v17, v50
	;; [unrolled: 1-line block ×3, first 2 shown]
	s_mov_b32 s43, exec_lo
	v_and_b32_sdwa v2, v2, v1 dst_sel:DWORD dst_unused:UNUSED_PAD src0_sel:DWORD src1_sel:BYTE_1
	v_mov_b32_e32 v113, v17
	v_and_b32_e32 v3, 0x7f, v2
	v_cmpx_ne_u32_e32 0x7f, v3
	s_cbranch_execz .LBB184_223
; %bb.220:                              ;   in Loop: Header=BB184_12 Depth=1
	v_and_b32_e32 v49, 7, v2
	v_lshrrev_b32_e32 v2, 3, v3
	s_mov_b32 s44, exec_lo
	v_cmpx_gt_u32_e32 8, v3
; %bb.221:                              ;   in Loop: Header=BB184_12 Depth=1
	v_ffbh_u32_e32 v2, v49
	v_min_u32_e32 v2, 32, v2
	v_subrev_nc_u32_e32 v3, 28, v2
	v_sub_nc_u32_e32 v2, 29, v2
	v_lshlrev_b64 v[3:4], v3, v[49:50]
	v_and_b32_e32 v49, 7, v3
; %bb.222:                              ;   in Loop: Header=BB184_12 Depth=1
	s_or_b32 exec_lo, exec_lo, s44
	v_lshlrev_b32_e32 v1, 16, v1
	v_lshlrev_b32_e32 v3, 20, v49
	v_lshl_add_u32 v2, v2, 23, 0x3c000000
	v_mov_b32_e32 v113, v50
	v_and_b32_e32 v1, 0x80000000, v1
	v_or3_b32 v114, v3, v1, v2
.LBB184_223:                            ;   in Loop: Header=BB184_12 Depth=1
	s_or_b32 exec_lo, exec_lo, s43
.LBB184_224:                            ;   in Loop: Header=BB184_12 Depth=1
	s_or_b32 exec_lo, exec_lo, s42
.LBB184_225:                            ;   in Loop: Header=BB184_12 Depth=1
	s_or_b32 exec_lo, exec_lo, s41
	global_load_ushort v2, v[69:70], off offset:772
	v_mov_b32_e32 v117, 0
	v_mov_b32_e32 v115, 0
	;; [unrolled: 1-line block ×4, first 2 shown]
	s_waitcnt vmcnt(0)
	v_and_b32_e32 v1, 0xffff, v2
	v_cmp_ne_u16_sdwa s2, v2, v50 src0_sel:BYTE_0 src1_sel:DWORD
	s_and_saveexec_b32 s41, s2
	s_cbranch_execz .LBB184_233
; %bb.226:                              ;   in Loop: Header=BB184_12 Depth=1
	v_bfrev_b32_e32 v115, 1
	v_mov_b32_e32 v116, 0
	v_cmp_ne_u16_sdwa s2, v1, v127 src0_sel:BYTE_0 src1_sel:DWORD
	s_and_saveexec_b32 s42, s2
	s_cbranch_execz .LBB184_232
; %bb.227:                              ;   in Loop: Header=BB184_12 Depth=1
	v_mov_b32_e32 v115, 0x7f800001
	v_and_b32_e32 v3, 0x7f, v1
	v_mov_b32_e32 v116, 0
	s_mov_b32 s43, exec_lo
	v_cmpx_ne_u32_e32 0x7f, v3
	s_cbranch_execz .LBB184_231
; %bb.228:                              ;   in Loop: Header=BB184_12 Depth=1
	v_and_b32_e32 v49, 7, v1
	v_lshrrev_b32_e32 v2, 3, v3
	s_mov_b32 s44, exec_lo
	v_cmpx_gt_u32_e32 8, v3
; %bb.229:                              ;   in Loop: Header=BB184_12 Depth=1
	v_ffbh_u32_e32 v2, v49
	v_min_u32_e32 v2, 32, v2
	v_subrev_nc_u32_e32 v3, 28, v2
	v_sub_nc_u32_e32 v2, 29, v2
	v_lshlrev_b64 v[3:4], v3, v[49:50]
	v_and_b32_e32 v49, 7, v3
; %bb.230:                              ;   in Loop: Header=BB184_12 Depth=1
	s_or_b32 exec_lo, exec_lo, s44
	v_lshlrev_b32_e32 v3, 24, v1
	v_lshlrev_b32_e32 v4, 20, v49
	v_lshl_add_u32 v2, v2, 23, 0x3c000000
	v_and_b32_e32 v3, 0x80000000, v3
	v_or3_b32 v49, v4, v3, v2
	v_mov_b32_e32 v116, v50
	v_mov_b32_e32 v115, v49
.LBB184_231:                            ;   in Loop: Header=BB184_12 Depth=1
	s_or_b32 exec_lo, exec_lo, s43
.LBB184_232:                            ;   in Loop: Header=BB184_12 Depth=1
	s_or_b32 exec_lo, exec_lo, s42
.LBB184_233:                            ;   in Loop: Header=BB184_12 Depth=1
	s_or_b32 exec_lo, exec_lo, s41
	v_cmp_ne_u16_sdwa s2, v1, v50 src0_sel:BYTE_1 src1_sel:DWORD
	s_and_saveexec_b32 s41, s2
	s_cbranch_execz .LBB184_241
; %bb.234:                              ;   in Loop: Header=BB184_12 Depth=1
	v_mov_b32_e32 v21, v50
	v_mov_b32_e32 v118, v22
	v_cmp_ne_u16_sdwa s2, v1, v127 src0_sel:BYTE_1 src1_sel:DWORD
	v_mov_b32_e32 v117, v21
	s_and_saveexec_b32 s42, s2
	s_cbranch_execz .LBB184_240
; %bb.235:                              ;   in Loop: Header=BB184_12 Depth=1
	v_mov_b32_e32 v2, 0xffff
	v_mov_b32_e32 v17, v50
	;; [unrolled: 1-line block ×3, first 2 shown]
	s_mov_b32 s43, exec_lo
	v_and_b32_sdwa v2, v2, v1 dst_sel:DWORD dst_unused:UNUSED_PAD src0_sel:DWORD src1_sel:BYTE_1
	v_mov_b32_e32 v117, v17
	v_and_b32_e32 v3, 0x7f, v2
	v_cmpx_ne_u32_e32 0x7f, v3
	s_cbranch_execz .LBB184_239
; %bb.236:                              ;   in Loop: Header=BB184_12 Depth=1
	v_and_b32_e32 v49, 7, v2
	v_lshrrev_b32_e32 v2, 3, v3
	s_mov_b32 s44, exec_lo
	v_cmpx_gt_u32_e32 8, v3
; %bb.237:                              ;   in Loop: Header=BB184_12 Depth=1
	v_ffbh_u32_e32 v2, v49
	v_min_u32_e32 v2, 32, v2
	v_subrev_nc_u32_e32 v3, 28, v2
	v_sub_nc_u32_e32 v2, 29, v2
	v_lshlrev_b64 v[3:4], v3, v[49:50]
	v_and_b32_e32 v49, 7, v3
; %bb.238:                              ;   in Loop: Header=BB184_12 Depth=1
	s_or_b32 exec_lo, exec_lo, s44
	v_lshlrev_b32_e32 v1, 16, v1
	v_lshlrev_b32_e32 v3, 20, v49
	v_lshl_add_u32 v2, v2, 23, 0x3c000000
	v_mov_b32_e32 v117, v50
	v_and_b32_e32 v1, 0x80000000, v1
	v_or3_b32 v118, v3, v1, v2
.LBB184_239:                            ;   in Loop: Header=BB184_12 Depth=1
	s_or_b32 exec_lo, exec_lo, s43
.LBB184_240:                            ;   in Loop: Header=BB184_12 Depth=1
	s_or_b32 exec_lo, exec_lo, s42
.LBB184_241:                            ;   in Loop: Header=BB184_12 Depth=1
	s_or_b32 exec_lo, exec_lo, s41
	global_load_ushort v2, v[69:70], off offset:776
	v_mov_b32_e32 v121, 0
	v_mov_b32_e32 v119, 0
	;; [unrolled: 1-line block ×4, first 2 shown]
	s_waitcnt vmcnt(0)
	v_and_b32_e32 v1, 0xffff, v2
	v_cmp_ne_u16_sdwa s2, v2, v50 src0_sel:BYTE_0 src1_sel:DWORD
	s_and_saveexec_b32 s41, s2
	s_cbranch_execz .LBB184_249
; %bb.242:                              ;   in Loop: Header=BB184_12 Depth=1
	v_bfrev_b32_e32 v119, 1
	v_mov_b32_e32 v120, 0
	v_cmp_ne_u16_sdwa s2, v1, v127 src0_sel:BYTE_0 src1_sel:DWORD
	s_and_saveexec_b32 s42, s2
	s_cbranch_execz .LBB184_248
; %bb.243:                              ;   in Loop: Header=BB184_12 Depth=1
	v_mov_b32_e32 v119, 0x7f800001
	v_and_b32_e32 v3, 0x7f, v1
	v_mov_b32_e32 v120, 0
	s_mov_b32 s43, exec_lo
	v_cmpx_ne_u32_e32 0x7f, v3
	s_cbranch_execz .LBB184_247
; %bb.244:                              ;   in Loop: Header=BB184_12 Depth=1
	v_and_b32_e32 v49, 7, v1
	v_lshrrev_b32_e32 v2, 3, v3
	s_mov_b32 s44, exec_lo
	v_cmpx_gt_u32_e32 8, v3
; %bb.245:                              ;   in Loop: Header=BB184_12 Depth=1
	v_ffbh_u32_e32 v2, v49
	v_min_u32_e32 v2, 32, v2
	v_subrev_nc_u32_e32 v3, 28, v2
	v_sub_nc_u32_e32 v2, 29, v2
	v_lshlrev_b64 v[3:4], v3, v[49:50]
	v_and_b32_e32 v49, 7, v3
; %bb.246:                              ;   in Loop: Header=BB184_12 Depth=1
	s_or_b32 exec_lo, exec_lo, s44
	v_lshlrev_b32_e32 v3, 24, v1
	v_lshlrev_b32_e32 v4, 20, v49
	v_lshl_add_u32 v2, v2, 23, 0x3c000000
	v_and_b32_e32 v3, 0x80000000, v3
	v_or3_b32 v49, v4, v3, v2
	v_mov_b32_e32 v120, v50
	v_mov_b32_e32 v119, v49
.LBB184_247:                            ;   in Loop: Header=BB184_12 Depth=1
	s_or_b32 exec_lo, exec_lo, s43
.LBB184_248:                            ;   in Loop: Header=BB184_12 Depth=1
	s_or_b32 exec_lo, exec_lo, s42
.LBB184_249:                            ;   in Loop: Header=BB184_12 Depth=1
	s_or_b32 exec_lo, exec_lo, s41
	v_cmp_ne_u16_sdwa s2, v1, v50 src0_sel:BYTE_1 src1_sel:DWORD
	s_and_saveexec_b32 s41, s2
	s_cbranch_execz .LBB184_257
; %bb.250:                              ;   in Loop: Header=BB184_12 Depth=1
	v_mov_b32_e32 v21, v50
	v_mov_b32_e32 v122, v22
	v_cmp_ne_u16_sdwa s2, v1, v127 src0_sel:BYTE_1 src1_sel:DWORD
	v_mov_b32_e32 v121, v21
	s_and_saveexec_b32 s42, s2
	s_cbranch_execz .LBB184_256
; %bb.251:                              ;   in Loop: Header=BB184_12 Depth=1
	v_mov_b32_e32 v2, 0xffff
	v_mov_b32_e32 v17, v50
	;; [unrolled: 1-line block ×3, first 2 shown]
	s_mov_b32 s43, exec_lo
	v_and_b32_sdwa v2, v2, v1 dst_sel:DWORD dst_unused:UNUSED_PAD src0_sel:DWORD src1_sel:BYTE_1
	v_mov_b32_e32 v121, v17
	v_and_b32_e32 v3, 0x7f, v2
	v_cmpx_ne_u32_e32 0x7f, v3
	s_cbranch_execz .LBB184_255
; %bb.252:                              ;   in Loop: Header=BB184_12 Depth=1
	v_and_b32_e32 v49, 7, v2
	v_lshrrev_b32_e32 v2, 3, v3
	s_mov_b32 s44, exec_lo
	v_cmpx_gt_u32_e32 8, v3
; %bb.253:                              ;   in Loop: Header=BB184_12 Depth=1
	v_ffbh_u32_e32 v2, v49
	v_min_u32_e32 v2, 32, v2
	v_subrev_nc_u32_e32 v3, 28, v2
	v_sub_nc_u32_e32 v2, 29, v2
	v_lshlrev_b64 v[3:4], v3, v[49:50]
	v_and_b32_e32 v49, 7, v3
; %bb.254:                              ;   in Loop: Header=BB184_12 Depth=1
	s_or_b32 exec_lo, exec_lo, s44
	v_lshlrev_b32_e32 v1, 16, v1
	v_lshlrev_b32_e32 v3, 20, v49
	v_lshl_add_u32 v2, v2, 23, 0x3c000000
	v_mov_b32_e32 v121, v50
	v_and_b32_e32 v1, 0x80000000, v1
	v_or3_b32 v122, v3, v1, v2
.LBB184_255:                            ;   in Loop: Header=BB184_12 Depth=1
	s_or_b32 exec_lo, exec_lo, s43
.LBB184_256:                            ;   in Loop: Header=BB184_12 Depth=1
	s_or_b32 exec_lo, exec_lo, s42
.LBB184_257:                            ;   in Loop: Header=BB184_12 Depth=1
	s_or_b32 exec_lo, exec_lo, s41
	global_load_ushort v2, v[69:70], off offset:780
	v_mov_b32_e32 v125, 0
	v_mov_b32_e32 v123, 0
	;; [unrolled: 1-line block ×4, first 2 shown]
	s_waitcnt vmcnt(0)
	v_and_b32_e32 v1, 0xffff, v2
	v_cmp_ne_u16_sdwa s2, v2, v50 src0_sel:BYTE_0 src1_sel:DWORD
	s_and_saveexec_b32 s41, s2
	s_cbranch_execz .LBB184_265
; %bb.258:                              ;   in Loop: Header=BB184_12 Depth=1
	v_bfrev_b32_e32 v123, 1
	v_mov_b32_e32 v124, 0
	v_cmp_ne_u16_sdwa s2, v1, v127 src0_sel:BYTE_0 src1_sel:DWORD
	s_and_saveexec_b32 s42, s2
	s_cbranch_execz .LBB184_264
; %bb.259:                              ;   in Loop: Header=BB184_12 Depth=1
	v_mov_b32_e32 v123, 0x7f800001
	v_and_b32_e32 v3, 0x7f, v1
	v_mov_b32_e32 v124, 0
	s_mov_b32 s43, exec_lo
	v_cmpx_ne_u32_e32 0x7f, v3
	s_cbranch_execz .LBB184_263
; %bb.260:                              ;   in Loop: Header=BB184_12 Depth=1
	v_and_b32_e32 v49, 7, v1
	v_lshrrev_b32_e32 v2, 3, v3
	s_mov_b32 s44, exec_lo
	v_cmpx_gt_u32_e32 8, v3
; %bb.261:                              ;   in Loop: Header=BB184_12 Depth=1
	v_ffbh_u32_e32 v2, v49
	v_min_u32_e32 v2, 32, v2
	v_subrev_nc_u32_e32 v3, 28, v2
	v_sub_nc_u32_e32 v2, 29, v2
	v_lshlrev_b64 v[3:4], v3, v[49:50]
	v_and_b32_e32 v49, 7, v3
; %bb.262:                              ;   in Loop: Header=BB184_12 Depth=1
	s_or_b32 exec_lo, exec_lo, s44
	v_lshlrev_b32_e32 v3, 24, v1
	v_lshlrev_b32_e32 v4, 20, v49
	v_lshl_add_u32 v2, v2, 23, 0x3c000000
	v_and_b32_e32 v3, 0x80000000, v3
	v_or3_b32 v49, v4, v3, v2
	v_mov_b32_e32 v124, v50
	v_mov_b32_e32 v123, v49
.LBB184_263:                            ;   in Loop: Header=BB184_12 Depth=1
	s_or_b32 exec_lo, exec_lo, s43
.LBB184_264:                            ;   in Loop: Header=BB184_12 Depth=1
	s_or_b32 exec_lo, exec_lo, s42
.LBB184_265:                            ;   in Loop: Header=BB184_12 Depth=1
	s_or_b32 exec_lo, exec_lo, s41
	v_cmp_ne_u16_sdwa s2, v1, v50 src0_sel:BYTE_1 src1_sel:DWORD
	s_and_saveexec_b32 s41, s2
	s_cbranch_execz .LBB184_273
; %bb.266:                              ;   in Loop: Header=BB184_12 Depth=1
	v_mov_b32_e32 v21, v50
	v_mov_b32_e32 v126, v22
	v_cmp_ne_u16_sdwa s2, v1, v127 src0_sel:BYTE_1 src1_sel:DWORD
	v_mov_b32_e32 v125, v21
	s_and_saveexec_b32 s42, s2
	s_cbranch_execz .LBB184_272
; %bb.267:                              ;   in Loop: Header=BB184_12 Depth=1
	v_mov_b32_e32 v2, 0xffff
	v_mov_b32_e32 v17, v50
	;; [unrolled: 1-line block ×3, first 2 shown]
	s_mov_b32 s43, exec_lo
	v_and_b32_sdwa v2, v2, v1 dst_sel:DWORD dst_unused:UNUSED_PAD src0_sel:DWORD src1_sel:BYTE_1
	v_mov_b32_e32 v125, v17
	v_and_b32_e32 v3, 0x7f, v2
	v_cmpx_ne_u32_e32 0x7f, v3
	s_cbranch_execz .LBB184_271
; %bb.268:                              ;   in Loop: Header=BB184_12 Depth=1
	v_and_b32_e32 v49, 7, v2
	v_lshrrev_b32_e32 v2, 3, v3
	s_mov_b32 s44, exec_lo
	v_cmpx_gt_u32_e32 8, v3
; %bb.269:                              ;   in Loop: Header=BB184_12 Depth=1
	v_ffbh_u32_e32 v2, v49
	v_min_u32_e32 v2, 32, v2
	v_subrev_nc_u32_e32 v3, 28, v2
	v_sub_nc_u32_e32 v2, 29, v2
	v_lshlrev_b64 v[3:4], v3, v[49:50]
	v_and_b32_e32 v49, 7, v3
; %bb.270:                              ;   in Loop: Header=BB184_12 Depth=1
	s_or_b32 exec_lo, exec_lo, s44
	v_lshlrev_b32_e32 v1, 16, v1
	v_lshlrev_b32_e32 v3, 20, v49
	v_lshl_add_u32 v2, v2, 23, 0x3c000000
	v_mov_b32_e32 v125, v50
	v_and_b32_e32 v1, 0x80000000, v1
	v_or3_b32 v126, v3, v1, v2
.LBB184_271:                            ;   in Loop: Header=BB184_12 Depth=1
	s_or_b32 exec_lo, exec_lo, s43
.LBB184_272:                            ;   in Loop: Header=BB184_12 Depth=1
	s_or_b32 exec_lo, exec_lo, s42
.LBB184_273:                            ;   in Loop: Header=BB184_12 Depth=1
	s_or_b32 exec_lo, exec_lo, s41
	global_load_ushort v2, v[69:70], off offset:1024
	v_mov_b32_e32 v59, 0
	v_mov_b32_e32 v57, 0
	;; [unrolled: 1-line block ×4, first 2 shown]
	s_waitcnt vmcnt(0)
	v_and_b32_e32 v1, 0xffff, v2
	v_cmp_ne_u16_sdwa s2, v2, v50 src0_sel:BYTE_0 src1_sel:DWORD
	s_and_saveexec_b32 s41, s2
	s_cbranch_execz .LBB184_281
; %bb.274:                              ;   in Loop: Header=BB184_12 Depth=1
	v_bfrev_b32_e32 v57, 1
	v_mov_b32_e32 v58, 0
	v_cmp_ne_u16_sdwa s2, v1, v127 src0_sel:BYTE_0 src1_sel:DWORD
	s_and_saveexec_b32 s42, s2
	s_cbranch_execz .LBB184_280
; %bb.275:                              ;   in Loop: Header=BB184_12 Depth=1
	v_mov_b32_e32 v57, 0x7f800001
	v_and_b32_e32 v3, 0x7f, v1
	v_mov_b32_e32 v58, 0
	s_mov_b32 s43, exec_lo
	v_cmpx_ne_u32_e32 0x7f, v3
	s_cbranch_execz .LBB184_279
; %bb.276:                              ;   in Loop: Header=BB184_12 Depth=1
	v_and_b32_e32 v49, 7, v1
	v_lshrrev_b32_e32 v2, 3, v3
	s_mov_b32 s44, exec_lo
	v_cmpx_gt_u32_e32 8, v3
; %bb.277:                              ;   in Loop: Header=BB184_12 Depth=1
	v_ffbh_u32_e32 v2, v49
	v_min_u32_e32 v2, 32, v2
	v_subrev_nc_u32_e32 v3, 28, v2
	v_sub_nc_u32_e32 v2, 29, v2
	v_lshlrev_b64 v[3:4], v3, v[49:50]
	v_and_b32_e32 v49, 7, v3
; %bb.278:                              ;   in Loop: Header=BB184_12 Depth=1
	s_or_b32 exec_lo, exec_lo, s44
	v_lshlrev_b32_e32 v3, 24, v1
	v_lshlrev_b32_e32 v4, 20, v49
	v_lshl_add_u32 v2, v2, 23, 0x3c000000
	v_and_b32_e32 v3, 0x80000000, v3
	v_or3_b32 v49, v4, v3, v2
	v_mov_b32_e32 v58, v50
	v_mov_b32_e32 v57, v49
.LBB184_279:                            ;   in Loop: Header=BB184_12 Depth=1
	s_or_b32 exec_lo, exec_lo, s43
.LBB184_280:                            ;   in Loop: Header=BB184_12 Depth=1
	s_or_b32 exec_lo, exec_lo, s42
.LBB184_281:                            ;   in Loop: Header=BB184_12 Depth=1
	s_or_b32 exec_lo, exec_lo, s41
	v_cmp_ne_u16_sdwa s2, v1, v50 src0_sel:BYTE_1 src1_sel:DWORD
	s_and_saveexec_b32 s41, s2
	s_cbranch_execz .LBB184_289
; %bb.282:                              ;   in Loop: Header=BB184_12 Depth=1
	v_mov_b32_e32 v21, v50
	v_mov_b32_e32 v60, v22
	v_cmp_ne_u16_sdwa s2, v1, v127 src0_sel:BYTE_1 src1_sel:DWORD
	v_mov_b32_e32 v59, v21
	s_and_saveexec_b32 s42, s2
	s_cbranch_execz .LBB184_288
; %bb.283:                              ;   in Loop: Header=BB184_12 Depth=1
	v_mov_b32_e32 v2, 0xffff
	v_mov_b32_e32 v17, v50
	;; [unrolled: 1-line block ×3, first 2 shown]
	s_mov_b32 s43, exec_lo
	v_and_b32_sdwa v2, v2, v1 dst_sel:DWORD dst_unused:UNUSED_PAD src0_sel:DWORD src1_sel:BYTE_1
	v_mov_b32_e32 v59, v17
	v_and_b32_e32 v3, 0x7f, v2
	v_cmpx_ne_u32_e32 0x7f, v3
	s_cbranch_execz .LBB184_287
; %bb.284:                              ;   in Loop: Header=BB184_12 Depth=1
	v_and_b32_e32 v49, 7, v2
	v_lshrrev_b32_e32 v2, 3, v3
	s_mov_b32 s44, exec_lo
	v_cmpx_gt_u32_e32 8, v3
; %bb.285:                              ;   in Loop: Header=BB184_12 Depth=1
	v_ffbh_u32_e32 v2, v49
	v_min_u32_e32 v2, 32, v2
	v_subrev_nc_u32_e32 v3, 28, v2
	v_sub_nc_u32_e32 v2, 29, v2
	v_lshlrev_b64 v[3:4], v3, v[49:50]
	v_and_b32_e32 v49, 7, v3
; %bb.286:                              ;   in Loop: Header=BB184_12 Depth=1
	s_or_b32 exec_lo, exec_lo, s44
	v_lshlrev_b32_e32 v1, 16, v1
	v_lshlrev_b32_e32 v3, 20, v49
	v_lshl_add_u32 v2, v2, 23, 0x3c000000
	v_mov_b32_e32 v59, v50
	v_and_b32_e32 v1, 0x80000000, v1
	v_or3_b32 v60, v3, v1, v2
.LBB184_287:                            ;   in Loop: Header=BB184_12 Depth=1
	s_or_b32 exec_lo, exec_lo, s43
.LBB184_288:                            ;   in Loop: Header=BB184_12 Depth=1
	s_or_b32 exec_lo, exec_lo, s42
.LBB184_289:                            ;   in Loop: Header=BB184_12 Depth=1
	s_or_b32 exec_lo, exec_lo, s41
	global_load_ushort v2, v[69:70], off offset:1028
	v_mov_b32_e32 v65, 0
	v_mov_b32_e32 v61, 0
	;; [unrolled: 1-line block ×4, first 2 shown]
	s_waitcnt vmcnt(0)
	v_and_b32_e32 v1, 0xffff, v2
	v_cmp_ne_u16_sdwa s2, v2, v50 src0_sel:BYTE_0 src1_sel:DWORD
	s_and_saveexec_b32 s41, s2
	s_cbranch_execz .LBB184_297
; %bb.290:                              ;   in Loop: Header=BB184_12 Depth=1
	v_bfrev_b32_e32 v61, 1
	v_mov_b32_e32 v62, 0
	v_cmp_ne_u16_sdwa s2, v1, v127 src0_sel:BYTE_0 src1_sel:DWORD
	s_and_saveexec_b32 s42, s2
	s_cbranch_execz .LBB184_296
; %bb.291:                              ;   in Loop: Header=BB184_12 Depth=1
	v_mov_b32_e32 v61, 0x7f800001
	v_and_b32_e32 v3, 0x7f, v1
	v_mov_b32_e32 v62, 0
	s_mov_b32 s43, exec_lo
	v_cmpx_ne_u32_e32 0x7f, v3
	s_cbranch_execz .LBB184_295
; %bb.292:                              ;   in Loop: Header=BB184_12 Depth=1
	v_and_b32_e32 v49, 7, v1
	v_lshrrev_b32_e32 v2, 3, v3
	s_mov_b32 s44, exec_lo
	v_cmpx_gt_u32_e32 8, v3
; %bb.293:                              ;   in Loop: Header=BB184_12 Depth=1
	v_ffbh_u32_e32 v2, v49
	v_min_u32_e32 v2, 32, v2
	v_subrev_nc_u32_e32 v3, 28, v2
	v_sub_nc_u32_e32 v2, 29, v2
	v_lshlrev_b64 v[3:4], v3, v[49:50]
	v_and_b32_e32 v49, 7, v3
; %bb.294:                              ;   in Loop: Header=BB184_12 Depth=1
	s_or_b32 exec_lo, exec_lo, s44
	v_lshlrev_b32_e32 v3, 24, v1
	v_lshlrev_b32_e32 v4, 20, v49
	v_lshl_add_u32 v2, v2, 23, 0x3c000000
	v_and_b32_e32 v3, 0x80000000, v3
	v_or3_b32 v49, v4, v3, v2
	v_mov_b32_e32 v62, v50
	v_mov_b32_e32 v61, v49
.LBB184_295:                            ;   in Loop: Header=BB184_12 Depth=1
	s_or_b32 exec_lo, exec_lo, s43
.LBB184_296:                            ;   in Loop: Header=BB184_12 Depth=1
	s_or_b32 exec_lo, exec_lo, s42
.LBB184_297:                            ;   in Loop: Header=BB184_12 Depth=1
	s_or_b32 exec_lo, exec_lo, s41
	v_cmp_ne_u16_sdwa s2, v1, v50 src0_sel:BYTE_1 src1_sel:DWORD
	s_and_saveexec_b32 s41, s2
	s_cbranch_execz .LBB184_305
; %bb.298:                              ;   in Loop: Header=BB184_12 Depth=1
	v_mov_b32_e32 v21, v50
	v_mov_b32_e32 v66, v22
	v_cmp_ne_u16_sdwa s2, v1, v127 src0_sel:BYTE_1 src1_sel:DWORD
	v_mov_b32_e32 v65, v21
	s_and_saveexec_b32 s42, s2
	s_cbranch_execz .LBB184_304
; %bb.299:                              ;   in Loop: Header=BB184_12 Depth=1
	v_mov_b32_e32 v2, 0xffff
	v_mov_b32_e32 v17, v50
	;; [unrolled: 1-line block ×3, first 2 shown]
	s_mov_b32 s43, exec_lo
	v_and_b32_sdwa v2, v2, v1 dst_sel:DWORD dst_unused:UNUSED_PAD src0_sel:DWORD src1_sel:BYTE_1
	v_mov_b32_e32 v65, v17
	v_and_b32_e32 v3, 0x7f, v2
	v_cmpx_ne_u32_e32 0x7f, v3
	s_cbranch_execz .LBB184_303
; %bb.300:                              ;   in Loop: Header=BB184_12 Depth=1
	v_and_b32_e32 v49, 7, v2
	v_lshrrev_b32_e32 v2, 3, v3
	s_mov_b32 s44, exec_lo
	v_cmpx_gt_u32_e32 8, v3
; %bb.301:                              ;   in Loop: Header=BB184_12 Depth=1
	v_ffbh_u32_e32 v2, v49
	v_min_u32_e32 v2, 32, v2
	v_subrev_nc_u32_e32 v3, 28, v2
	v_sub_nc_u32_e32 v2, 29, v2
	v_lshlrev_b64 v[3:4], v3, v[49:50]
	v_and_b32_e32 v49, 7, v3
; %bb.302:                              ;   in Loop: Header=BB184_12 Depth=1
	s_or_b32 exec_lo, exec_lo, s44
	v_lshlrev_b32_e32 v1, 16, v1
	v_lshlrev_b32_e32 v3, 20, v49
	v_lshl_add_u32 v2, v2, 23, 0x3c000000
	v_mov_b32_e32 v65, v50
	v_and_b32_e32 v1, 0x80000000, v1
	v_or3_b32 v66, v3, v1, v2
.LBB184_303:                            ;   in Loop: Header=BB184_12 Depth=1
	s_or_b32 exec_lo, exec_lo, s43
.LBB184_304:                            ;   in Loop: Header=BB184_12 Depth=1
	s_or_b32 exec_lo, exec_lo, s42
.LBB184_305:                            ;   in Loop: Header=BB184_12 Depth=1
	s_or_b32 exec_lo, exec_lo, s41
	global_load_ushort v2, v[69:70], off offset:1032
	v_mov_b32_e32 v67, 0
	v_mov_b32_e32 v63, 0
	;; [unrolled: 1-line block ×4, first 2 shown]
	s_waitcnt vmcnt(0)
	v_and_b32_e32 v1, 0xffff, v2
	v_cmp_ne_u16_sdwa s2, v2, v50 src0_sel:BYTE_0 src1_sel:DWORD
	s_and_saveexec_b32 s41, s2
	s_cbranch_execz .LBB184_313
; %bb.306:                              ;   in Loop: Header=BB184_12 Depth=1
	v_bfrev_b32_e32 v63, 1
	v_mov_b32_e32 v64, 0
	v_cmp_ne_u16_sdwa s2, v1, v127 src0_sel:BYTE_0 src1_sel:DWORD
	s_and_saveexec_b32 s42, s2
	s_cbranch_execz .LBB184_312
; %bb.307:                              ;   in Loop: Header=BB184_12 Depth=1
	v_mov_b32_e32 v63, 0x7f800001
	v_and_b32_e32 v3, 0x7f, v1
	v_mov_b32_e32 v64, 0
	s_mov_b32 s43, exec_lo
	v_cmpx_ne_u32_e32 0x7f, v3
	s_cbranch_execz .LBB184_311
; %bb.308:                              ;   in Loop: Header=BB184_12 Depth=1
	v_and_b32_e32 v49, 7, v1
	v_lshrrev_b32_e32 v2, 3, v3
	s_mov_b32 s44, exec_lo
	v_cmpx_gt_u32_e32 8, v3
; %bb.309:                              ;   in Loop: Header=BB184_12 Depth=1
	v_ffbh_u32_e32 v2, v49
	v_min_u32_e32 v2, 32, v2
	v_subrev_nc_u32_e32 v3, 28, v2
	v_sub_nc_u32_e32 v2, 29, v2
	v_lshlrev_b64 v[3:4], v3, v[49:50]
	v_and_b32_e32 v49, 7, v3
; %bb.310:                              ;   in Loop: Header=BB184_12 Depth=1
	s_or_b32 exec_lo, exec_lo, s44
	v_lshlrev_b32_e32 v3, 24, v1
	v_lshlrev_b32_e32 v4, 20, v49
	v_lshl_add_u32 v2, v2, 23, 0x3c000000
	v_and_b32_e32 v3, 0x80000000, v3
	v_or3_b32 v49, v4, v3, v2
	v_mov_b32_e32 v64, v50
	v_mov_b32_e32 v63, v49
.LBB184_311:                            ;   in Loop: Header=BB184_12 Depth=1
	s_or_b32 exec_lo, exec_lo, s43
.LBB184_312:                            ;   in Loop: Header=BB184_12 Depth=1
	s_or_b32 exec_lo, exec_lo, s42
.LBB184_313:                            ;   in Loop: Header=BB184_12 Depth=1
	s_or_b32 exec_lo, exec_lo, s41
	v_cmp_ne_u16_sdwa s2, v1, v50 src0_sel:BYTE_1 src1_sel:DWORD
	s_and_saveexec_b32 s41, s2
	s_cbranch_execz .LBB184_321
; %bb.314:                              ;   in Loop: Header=BB184_12 Depth=1
	v_mov_b32_e32 v21, v50
	v_mov_b32_e32 v68, v22
	v_cmp_ne_u16_sdwa s2, v1, v127 src0_sel:BYTE_1 src1_sel:DWORD
	v_mov_b32_e32 v67, v21
	s_and_saveexec_b32 s42, s2
	s_cbranch_execz .LBB184_320
; %bb.315:                              ;   in Loop: Header=BB184_12 Depth=1
	v_mov_b32_e32 v2, 0xffff
	v_mov_b32_e32 v17, v50
	;; [unrolled: 1-line block ×3, first 2 shown]
	s_mov_b32 s43, exec_lo
	v_and_b32_sdwa v2, v2, v1 dst_sel:DWORD dst_unused:UNUSED_PAD src0_sel:DWORD src1_sel:BYTE_1
	v_mov_b32_e32 v67, v17
	v_and_b32_e32 v3, 0x7f, v2
	v_cmpx_ne_u32_e32 0x7f, v3
	s_cbranch_execz .LBB184_319
; %bb.316:                              ;   in Loop: Header=BB184_12 Depth=1
	v_and_b32_e32 v49, 7, v2
	v_lshrrev_b32_e32 v2, 3, v3
	s_mov_b32 s44, exec_lo
	v_cmpx_gt_u32_e32 8, v3
; %bb.317:                              ;   in Loop: Header=BB184_12 Depth=1
	v_ffbh_u32_e32 v2, v49
	v_min_u32_e32 v2, 32, v2
	v_subrev_nc_u32_e32 v3, 28, v2
	v_sub_nc_u32_e32 v2, 29, v2
	v_lshlrev_b64 v[3:4], v3, v[49:50]
	v_and_b32_e32 v49, 7, v3
; %bb.318:                              ;   in Loop: Header=BB184_12 Depth=1
	s_or_b32 exec_lo, exec_lo, s44
	v_lshlrev_b32_e32 v1, 16, v1
	v_lshlrev_b32_e32 v3, 20, v49
	v_lshl_add_u32 v2, v2, 23, 0x3c000000
	v_mov_b32_e32 v67, v50
	v_and_b32_e32 v1, 0x80000000, v1
	v_or3_b32 v68, v3, v1, v2
.LBB184_319:                            ;   in Loop: Header=BB184_12 Depth=1
	s_or_b32 exec_lo, exec_lo, s43
.LBB184_320:                            ;   in Loop: Header=BB184_12 Depth=1
	s_or_b32 exec_lo, exec_lo, s42
.LBB184_321:                            ;   in Loop: Header=BB184_12 Depth=1
	s_or_b32 exec_lo, exec_lo, s41
	global_load_ushort v1, v[69:70], off offset:1036
	v_mov_b32_e32 v3, 0
	v_mov_b32_e32 v4, 0
	s_waitcnt vmcnt(0)
	v_and_b32_e32 v5, 0xffff, v1
	v_cmp_ne_u16_sdwa s2, v1, v50 src0_sel:BYTE_0 src1_sel:DWORD
	v_mov_b32_e32 v1, 0
	v_mov_b32_e32 v2, 0
	s_and_saveexec_b32 s41, s2
	s_cbranch_execz .LBB184_329
; %bb.322:                              ;   in Loop: Header=BB184_12 Depth=1
	v_bfrev_b32_e32 v1, 1
	v_mov_b32_e32 v2, 0
	v_cmp_ne_u16_sdwa s2, v5, v127 src0_sel:BYTE_0 src1_sel:DWORD
	s_and_saveexec_b32 s42, s2
	s_cbranch_execz .LBB184_328
; %bb.323:                              ;   in Loop: Header=BB184_12 Depth=1
	v_mov_b32_e32 v1, 0x7f800001
	v_and_b32_e32 v6, 0x7f, v5
	v_mov_b32_e32 v2, 0
	s_mov_b32 s43, exec_lo
	v_cmpx_ne_u32_e32 0x7f, v6
	s_cbranch_execz .LBB184_327
; %bb.324:                              ;   in Loop: Header=BB184_12 Depth=1
	v_and_b32_e32 v49, 7, v5
	v_lshrrev_b32_e32 v1, 3, v6
	s_mov_b32 s44, exec_lo
	v_cmpx_gt_u32_e32 8, v6
; %bb.325:                              ;   in Loop: Header=BB184_12 Depth=1
	v_ffbh_u32_e32 v1, v49
	v_min_u32_e32 v1, 32, v1
	v_subrev_nc_u32_e32 v2, 28, v1
	v_sub_nc_u32_e32 v1, 29, v1
	v_lshlrev_b64 v[6:7], v2, v[49:50]
	v_and_b32_e32 v49, 7, v6
; %bb.326:                              ;   in Loop: Header=BB184_12 Depth=1
	s_or_b32 exec_lo, exec_lo, s44
	v_lshlrev_b32_e32 v2, 24, v5
	v_lshlrev_b32_e32 v6, 20, v49
	v_lshl_add_u32 v1, v1, 23, 0x3c000000
	v_and_b32_e32 v2, 0x80000000, v2
	v_or3_b32 v49, v6, v2, v1
	v_mov_b32_e32 v1, v49
	v_mov_b32_e32 v2, v50
.LBB184_327:                            ;   in Loop: Header=BB184_12 Depth=1
	s_or_b32 exec_lo, exec_lo, s43
.LBB184_328:                            ;   in Loop: Header=BB184_12 Depth=1
	s_or_b32 exec_lo, exec_lo, s42
.LBB184_329:                            ;   in Loop: Header=BB184_12 Depth=1
	s_or_b32 exec_lo, exec_lo, s41
	v_cmp_ne_u16_sdwa s2, v5, v50 src0_sel:BYTE_1 src1_sel:DWORD
	s_and_saveexec_b32 s41, s2
	s_cbranch_execz .LBB184_337
; %bb.330:                              ;   in Loop: Header=BB184_12 Depth=1
	v_mov_b32_e32 v21, v50
	v_cmp_ne_u16_sdwa s2, v5, v127 src0_sel:BYTE_1 src1_sel:DWORD
	v_mov_b32_e32 v3, v21
	v_mov_b32_e32 v4, v22
	s_and_saveexec_b32 s42, s2
	s_cbranch_execz .LBB184_336
; %bb.331:                              ;   in Loop: Header=BB184_12 Depth=1
	v_mov_b32_e32 v3, 0xffff
	v_mov_b32_e32 v17, v50
	s_mov_b32 s43, exec_lo
	v_and_b32_sdwa v7, v3, v5 dst_sel:DWORD dst_unused:UNUSED_PAD src0_sel:DWORD src1_sel:BYTE_1
	v_mov_b32_e32 v3, v17
	v_mov_b32_e32 v4, v18
	v_and_b32_e32 v6, 0x7f, v7
	v_cmpx_ne_u32_e32 0x7f, v6
	s_cbranch_execz .LBB184_335
; %bb.332:                              ;   in Loop: Header=BB184_12 Depth=1
	v_and_b32_e32 v49, 7, v7
	v_lshrrev_b32_e32 v3, 3, v6
	s_mov_b32 s44, exec_lo
	v_cmpx_gt_u32_e32 8, v6
; %bb.333:                              ;   in Loop: Header=BB184_12 Depth=1
	v_ffbh_u32_e32 v3, v49
	v_min_u32_e32 v3, 32, v3
	v_subrev_nc_u32_e32 v4, 28, v3
	v_sub_nc_u32_e32 v3, 29, v3
	v_lshlrev_b64 v[6:7], v4, v[49:50]
	v_and_b32_e32 v49, 7, v6
; %bb.334:                              ;   in Loop: Header=BB184_12 Depth=1
	s_or_b32 exec_lo, exec_lo, s44
	v_lshlrev_b32_e32 v4, 16, v5
	v_lshlrev_b32_e32 v5, 20, v49
	v_lshl_add_u32 v3, v3, 23, 0x3c000000
	v_and_b32_e32 v4, 0x80000000, v4
	v_or3_b32 v4, v5, v4, v3
	v_mov_b32_e32 v3, v50
.LBB184_335:                            ;   in Loop: Header=BB184_12 Depth=1
	s_or_b32 exec_lo, exec_lo, s43
.LBB184_336:                            ;   in Loop: Header=BB184_12 Depth=1
	s_or_b32 exec_lo, exec_lo, s42
.LBB184_337:                            ;   in Loop: Header=BB184_12 Depth=1
	s_or_b32 exec_lo, exec_lo, s41
	global_load_ushort v5, v[69:70], off offset:1280
	v_mov_b32_e32 v7, 0
	v_mov_b32_e32 v8, 0
	s_waitcnt vmcnt(0)
	v_and_b32_e32 v9, 0xffff, v5
	v_cmp_ne_u16_sdwa s2, v5, v50 src0_sel:BYTE_0 src1_sel:DWORD
	v_mov_b32_e32 v5, 0
	v_mov_b32_e32 v6, 0
	s_and_saveexec_b32 s41, s2
	s_cbranch_execz .LBB184_345
; %bb.338:                              ;   in Loop: Header=BB184_12 Depth=1
	v_bfrev_b32_e32 v5, 1
	v_mov_b32_e32 v6, 0
	v_cmp_ne_u16_sdwa s2, v9, v127 src0_sel:BYTE_0 src1_sel:DWORD
	s_and_saveexec_b32 s42, s2
	s_cbranch_execz .LBB184_344
; %bb.339:                              ;   in Loop: Header=BB184_12 Depth=1
	v_mov_b32_e32 v5, 0x7f800001
	v_and_b32_e32 v10, 0x7f, v9
	v_mov_b32_e32 v6, 0
	s_mov_b32 s43, exec_lo
	v_cmpx_ne_u32_e32 0x7f, v10
	s_cbranch_execz .LBB184_343
; %bb.340:                              ;   in Loop: Header=BB184_12 Depth=1
	v_and_b32_e32 v49, 7, v9
	v_lshrrev_b32_e32 v5, 3, v10
	s_mov_b32 s44, exec_lo
	v_cmpx_gt_u32_e32 8, v10
; %bb.341:                              ;   in Loop: Header=BB184_12 Depth=1
	v_ffbh_u32_e32 v5, v49
	v_min_u32_e32 v5, 32, v5
	v_subrev_nc_u32_e32 v6, 28, v5
	v_sub_nc_u32_e32 v5, 29, v5
	v_lshlrev_b64 v[10:11], v6, v[49:50]
	v_and_b32_e32 v49, 7, v10
; %bb.342:                              ;   in Loop: Header=BB184_12 Depth=1
	s_or_b32 exec_lo, exec_lo, s44
	v_lshlrev_b32_e32 v6, 24, v9
	v_lshlrev_b32_e32 v10, 20, v49
	v_lshl_add_u32 v5, v5, 23, 0x3c000000
	v_and_b32_e32 v6, 0x80000000, v6
	v_or3_b32 v49, v10, v6, v5
	v_mov_b32_e32 v5, v49
	v_mov_b32_e32 v6, v50
.LBB184_343:                            ;   in Loop: Header=BB184_12 Depth=1
	s_or_b32 exec_lo, exec_lo, s43
.LBB184_344:                            ;   in Loop: Header=BB184_12 Depth=1
	s_or_b32 exec_lo, exec_lo, s42
.LBB184_345:                            ;   in Loop: Header=BB184_12 Depth=1
	s_or_b32 exec_lo, exec_lo, s41
	v_cmp_ne_u16_sdwa s2, v9, v50 src0_sel:BYTE_1 src1_sel:DWORD
	s_and_saveexec_b32 s41, s2
	s_cbranch_execz .LBB184_353
; %bb.346:                              ;   in Loop: Header=BB184_12 Depth=1
	v_mov_b32_e32 v21, v50
	v_cmp_ne_u16_sdwa s2, v9, v127 src0_sel:BYTE_1 src1_sel:DWORD
	v_mov_b32_e32 v7, v21
	v_mov_b32_e32 v8, v22
	s_and_saveexec_b32 s42, s2
	s_cbranch_execz .LBB184_352
; %bb.347:                              ;   in Loop: Header=BB184_12 Depth=1
	v_mov_b32_e32 v7, 0xffff
	v_mov_b32_e32 v17, v50
	s_mov_b32 s43, exec_lo
	v_and_b32_sdwa v11, v7, v9 dst_sel:DWORD dst_unused:UNUSED_PAD src0_sel:DWORD src1_sel:BYTE_1
	v_mov_b32_e32 v7, v17
	v_mov_b32_e32 v8, v18
	v_and_b32_e32 v10, 0x7f, v11
	v_cmpx_ne_u32_e32 0x7f, v10
	s_cbranch_execz .LBB184_351
; %bb.348:                              ;   in Loop: Header=BB184_12 Depth=1
	v_and_b32_e32 v49, 7, v11
	v_lshrrev_b32_e32 v7, 3, v10
	s_mov_b32 s44, exec_lo
	v_cmpx_gt_u32_e32 8, v10
; %bb.349:                              ;   in Loop: Header=BB184_12 Depth=1
	v_ffbh_u32_e32 v7, v49
	v_min_u32_e32 v7, 32, v7
	v_subrev_nc_u32_e32 v8, 28, v7
	v_sub_nc_u32_e32 v7, 29, v7
	v_lshlrev_b64 v[10:11], v8, v[49:50]
	v_and_b32_e32 v49, 7, v10
; %bb.350:                              ;   in Loop: Header=BB184_12 Depth=1
	s_or_b32 exec_lo, exec_lo, s44
	v_lshlrev_b32_e32 v8, 16, v9
	v_lshlrev_b32_e32 v9, 20, v49
	v_lshl_add_u32 v7, v7, 23, 0x3c000000
	v_and_b32_e32 v8, 0x80000000, v8
	v_or3_b32 v8, v9, v8, v7
	v_mov_b32_e32 v7, v50
.LBB184_351:                            ;   in Loop: Header=BB184_12 Depth=1
	s_or_b32 exec_lo, exec_lo, s43
.LBB184_352:                            ;   in Loop: Header=BB184_12 Depth=1
	s_or_b32 exec_lo, exec_lo, s42
.LBB184_353:                            ;   in Loop: Header=BB184_12 Depth=1
	s_or_b32 exec_lo, exec_lo, s41
	global_load_ushort v9, v[69:70], off offset:1284
	v_mov_b32_e32 v71, 0
	v_mov_b32_e32 v72, 0
	s_waitcnt vmcnt(0)
	v_and_b32_e32 v11, 0xffff, v9
	v_cmp_ne_u16_sdwa s2, v9, v50 src0_sel:BYTE_0 src1_sel:DWORD
	v_mov_b32_e32 v9, 0
	v_mov_b32_e32 v10, 0
	s_and_saveexec_b32 s41, s2
	s_cbranch_execz .LBB184_361
; %bb.354:                              ;   in Loop: Header=BB184_12 Depth=1
	v_bfrev_b32_e32 v71, 1
	v_mov_b32_e32 v72, 0
	v_cmp_ne_u16_sdwa s2, v11, v127 src0_sel:BYTE_0 src1_sel:DWORD
	s_and_saveexec_b32 s42, s2
	s_cbranch_execz .LBB184_360
; %bb.355:                              ;   in Loop: Header=BB184_12 Depth=1
	v_mov_b32_e32 v71, 0x7f800001
	v_and_b32_e32 v13, 0x7f, v11
	v_mov_b32_e32 v72, 0
	s_mov_b32 s43, exec_lo
	v_cmpx_ne_u32_e32 0x7f, v13
	s_cbranch_execz .LBB184_359
; %bb.356:                              ;   in Loop: Header=BB184_12 Depth=1
	v_and_b32_e32 v49, 7, v11
	v_lshrrev_b32_e32 v12, 3, v13
	s_mov_b32 s44, exec_lo
	v_cmpx_gt_u32_e32 8, v13
; %bb.357:                              ;   in Loop: Header=BB184_12 Depth=1
	v_ffbh_u32_e32 v12, v49
	v_min_u32_e32 v12, 32, v12
	v_subrev_nc_u32_e32 v13, 28, v12
	v_sub_nc_u32_e32 v12, 29, v12
	v_lshlrev_b64 v[13:14], v13, v[49:50]
	v_and_b32_e32 v49, 7, v13
; %bb.358:                              ;   in Loop: Header=BB184_12 Depth=1
	s_or_b32 exec_lo, exec_lo, s44
	v_lshlrev_b32_e32 v13, 24, v11
	v_lshlrev_b32_e32 v14, 20, v49
	v_lshl_add_u32 v12, v12, 23, 0x3c000000
	v_and_b32_e32 v13, 0x80000000, v13
	v_or3_b32 v49, v14, v13, v12
	v_mov_b32_e32 v72, v50
	v_mov_b32_e32 v71, v49
.LBB184_359:                            ;   in Loop: Header=BB184_12 Depth=1
	s_or_b32 exec_lo, exec_lo, s43
.LBB184_360:                            ;   in Loop: Header=BB184_12 Depth=1
	s_or_b32 exec_lo, exec_lo, s42
.LBB184_361:                            ;   in Loop: Header=BB184_12 Depth=1
	s_or_b32 exec_lo, exec_lo, s41
	v_cmp_ne_u16_sdwa s2, v11, v50 src0_sel:BYTE_1 src1_sel:DWORD
	s_and_saveexec_b32 s41, s2
	s_cbranch_execz .LBB184_369
; %bb.362:                              ;   in Loop: Header=BB184_12 Depth=1
	v_mov_b32_e32 v21, v50
	v_cmp_ne_u16_sdwa s2, v11, v127 src0_sel:BYTE_1 src1_sel:DWORD
	v_mov_b32_e32 v9, v21
	v_mov_b32_e32 v10, v22
	s_and_saveexec_b32 s42, s2
	s_cbranch_execz .LBB184_368
; %bb.363:                              ;   in Loop: Header=BB184_12 Depth=1
	v_mov_b32_e32 v9, 0xffff
	v_mov_b32_e32 v17, v50
	s_mov_b32 s43, exec_lo
	v_and_b32_sdwa v13, v9, v11 dst_sel:DWORD dst_unused:UNUSED_PAD src0_sel:DWORD src1_sel:BYTE_1
	v_mov_b32_e32 v9, v17
	v_mov_b32_e32 v10, v18
	v_and_b32_e32 v12, 0x7f, v13
	v_cmpx_ne_u32_e32 0x7f, v12
	s_cbranch_execz .LBB184_367
; %bb.364:                              ;   in Loop: Header=BB184_12 Depth=1
	v_and_b32_e32 v49, 7, v13
	v_lshrrev_b32_e32 v9, 3, v12
	s_mov_b32 s44, exec_lo
	v_cmpx_gt_u32_e32 8, v12
; %bb.365:                              ;   in Loop: Header=BB184_12 Depth=1
	v_ffbh_u32_e32 v9, v49
	v_min_u32_e32 v9, 32, v9
	v_subrev_nc_u32_e32 v10, 28, v9
	v_sub_nc_u32_e32 v9, 29, v9
	v_lshlrev_b64 v[12:13], v10, v[49:50]
	v_and_b32_e32 v49, 7, v12
; %bb.366:                              ;   in Loop: Header=BB184_12 Depth=1
	s_or_b32 exec_lo, exec_lo, s44
	v_lshlrev_b32_e32 v10, 16, v11
	v_lshlrev_b32_e32 v11, 20, v49
	v_lshl_add_u32 v9, v9, 23, 0x3c000000
	v_and_b32_e32 v10, 0x80000000, v10
	v_or3_b32 v10, v11, v10, v9
	v_mov_b32_e32 v9, v50
.LBB184_367:                            ;   in Loop: Header=BB184_12 Depth=1
	s_or_b32 exec_lo, exec_lo, s43
.LBB184_368:                            ;   in Loop: Header=BB184_12 Depth=1
	s_or_b32 exec_lo, exec_lo, s42
.LBB184_369:                            ;   in Loop: Header=BB184_12 Depth=1
	s_or_b32 exec_lo, exec_lo, s41
	global_load_ushort v11, v[69:70], off offset:1288
	v_mov_b32_e32 v53, 0
	v_mov_b32_e32 v54, 0
	s_waitcnt vmcnt(0)
	v_and_b32_e32 v13, 0xffff, v11
	v_cmp_ne_u16_sdwa s2, v11, v50 src0_sel:BYTE_0 src1_sel:DWORD
	v_mov_b32_e32 v11, 0
	v_mov_b32_e32 v12, 0
	s_and_saveexec_b32 s41, s2
	s_cbranch_execz .LBB184_377
; %bb.370:                              ;   in Loop: Header=BB184_12 Depth=1
	v_bfrev_b32_e32 v11, 1
	v_mov_b32_e32 v12, 0
	v_cmp_ne_u16_sdwa s2, v13, v127 src0_sel:BYTE_0 src1_sel:DWORD
	s_and_saveexec_b32 s42, s2
	s_cbranch_execz .LBB184_376
; %bb.371:                              ;   in Loop: Header=BB184_12 Depth=1
	v_mov_b32_e32 v11, 0x7f800001
	v_and_b32_e32 v14, 0x7f, v13
	v_mov_b32_e32 v12, 0
	s_mov_b32 s43, exec_lo
	v_cmpx_ne_u32_e32 0x7f, v14
	s_cbranch_execz .LBB184_375
; %bb.372:                              ;   in Loop: Header=BB184_12 Depth=1
	v_and_b32_e32 v49, 7, v13
	v_lshrrev_b32_e32 v11, 3, v14
	s_mov_b32 s44, exec_lo
	v_cmpx_gt_u32_e32 8, v14
; %bb.373:                              ;   in Loop: Header=BB184_12 Depth=1
	v_ffbh_u32_e32 v11, v49
	v_min_u32_e32 v11, 32, v11
	v_subrev_nc_u32_e32 v12, 28, v11
	v_sub_nc_u32_e32 v11, 29, v11
	v_lshlrev_b64 v[14:15], v12, v[49:50]
	v_and_b32_e32 v49, 7, v14
; %bb.374:                              ;   in Loop: Header=BB184_12 Depth=1
	s_or_b32 exec_lo, exec_lo, s44
	v_lshlrev_b32_e32 v12, 24, v13
	v_lshlrev_b32_e32 v14, 20, v49
	v_lshl_add_u32 v11, v11, 23, 0x3c000000
	v_and_b32_e32 v12, 0x80000000, v12
	v_or3_b32 v49, v14, v12, v11
	v_mov_b32_e32 v11, v49
	v_mov_b32_e32 v12, v50
.LBB184_375:                            ;   in Loop: Header=BB184_12 Depth=1
	s_or_b32 exec_lo, exec_lo, s43
.LBB184_376:                            ;   in Loop: Header=BB184_12 Depth=1
	s_or_b32 exec_lo, exec_lo, s42
.LBB184_377:                            ;   in Loop: Header=BB184_12 Depth=1
	s_or_b32 exec_lo, exec_lo, s41
	v_cmp_ne_u16_sdwa s2, v13, v50 src0_sel:BYTE_1 src1_sel:DWORD
	s_and_saveexec_b32 s41, s2
	s_cbranch_execz .LBB184_385
; %bb.378:                              ;   in Loop: Header=BB184_12 Depth=1
	v_mov_b32_e32 v21, v50
	v_mov_b32_e32 v54, v22
	v_cmp_ne_u16_sdwa s2, v13, v127 src0_sel:BYTE_1 src1_sel:DWORD
	v_mov_b32_e32 v53, v21
	s_and_saveexec_b32 s42, s2
	s_cbranch_execz .LBB184_384
; %bb.379:                              ;   in Loop: Header=BB184_12 Depth=1
	v_mov_b32_e32 v14, 0xffff
	v_mov_b32_e32 v17, v50
	;; [unrolled: 1-line block ×3, first 2 shown]
	s_mov_b32 s43, exec_lo
	v_and_b32_sdwa v14, v14, v13 dst_sel:DWORD dst_unused:UNUSED_PAD src0_sel:DWORD src1_sel:BYTE_1
	v_mov_b32_e32 v53, v17
	v_and_b32_e32 v15, 0x7f, v14
	v_cmpx_ne_u32_e32 0x7f, v15
	s_cbranch_execz .LBB184_383
; %bb.380:                              ;   in Loop: Header=BB184_12 Depth=1
	v_and_b32_e32 v49, 7, v14
	v_lshrrev_b32_e32 v14, 3, v15
	s_mov_b32 s44, exec_lo
	v_cmpx_gt_u32_e32 8, v15
; %bb.381:                              ;   in Loop: Header=BB184_12 Depth=1
	v_ffbh_u32_e32 v14, v49
	v_min_u32_e32 v14, 32, v14
	v_subrev_nc_u32_e32 v15, 28, v14
	v_sub_nc_u32_e32 v14, 29, v14
	v_lshlrev_b64 v[15:16], v15, v[49:50]
	v_and_b32_e32 v49, 7, v15
; %bb.382:                              ;   in Loop: Header=BB184_12 Depth=1
	s_or_b32 exec_lo, exec_lo, s44
	v_lshlrev_b32_e32 v13, 16, v13
	v_lshlrev_b32_e32 v15, 20, v49
	v_lshl_add_u32 v14, v14, 23, 0x3c000000
	v_mov_b32_e32 v53, v50
	v_and_b32_e32 v13, 0x80000000, v13
	v_or3_b32 v54, v15, v13, v14
.LBB184_383:                            ;   in Loop: Header=BB184_12 Depth=1
	s_or_b32 exec_lo, exec_lo, s43
.LBB184_384:                            ;   in Loop: Header=BB184_12 Depth=1
	s_or_b32 exec_lo, exec_lo, s42
.LBB184_385:                            ;   in Loop: Header=BB184_12 Depth=1
	s_or_b32 exec_lo, exec_lo, s41
	global_load_ushort v14, v[69:70], off offset:1292
	v_mov_b32_e32 v73, 0
	v_mov_b32_e32 v15, 0
	;; [unrolled: 1-line block ×4, first 2 shown]
	s_waitcnt vmcnt(0)
	v_and_b32_e32 v13, 0xffff, v14
	v_cmp_ne_u16_sdwa s2, v14, v50 src0_sel:BYTE_0 src1_sel:DWORD
	s_and_saveexec_b32 s41, s2
	s_cbranch_execz .LBB184_393
; %bb.386:                              ;   in Loop: Header=BB184_12 Depth=1
	v_bfrev_b32_e32 v15, 1
	v_mov_b32_e32 v16, 0
	v_cmp_ne_u16_sdwa s2, v13, v127 src0_sel:BYTE_0 src1_sel:DWORD
	s_and_saveexec_b32 s42, s2
	s_cbranch_execz .LBB184_392
; %bb.387:                              ;   in Loop: Header=BB184_12 Depth=1
	v_mov_b32_e32 v15, 0x7f800001
	v_and_b32_e32 v17, 0x7f, v13
	v_mov_b32_e32 v16, 0
	s_mov_b32 s43, exec_lo
	v_cmpx_ne_u32_e32 0x7f, v17
	s_cbranch_execz .LBB184_391
; %bb.388:                              ;   in Loop: Header=BB184_12 Depth=1
	v_and_b32_e32 v49, 7, v13
	v_lshrrev_b32_e32 v14, 3, v17
	s_mov_b32 s44, exec_lo
	v_cmpx_gt_u32_e32 8, v17
; %bb.389:                              ;   in Loop: Header=BB184_12 Depth=1
	v_ffbh_u32_e32 v14, v49
	v_min_u32_e32 v14, 32, v14
	v_subrev_nc_u32_e32 v15, 28, v14
	v_sub_nc_u32_e32 v14, 29, v14
	v_lshlrev_b64 v[15:16], v15, v[49:50]
	v_and_b32_e32 v49, 7, v15
; %bb.390:                              ;   in Loop: Header=BB184_12 Depth=1
	s_or_b32 exec_lo, exec_lo, s44
	v_lshlrev_b32_e32 v15, 24, v13
	v_lshlrev_b32_e32 v16, 20, v49
	v_lshl_add_u32 v14, v14, 23, 0x3c000000
	v_and_b32_e32 v15, 0x80000000, v15
	v_or3_b32 v49, v16, v15, v14
	v_mov_b32_e32 v15, v49
	v_mov_b32_e32 v16, v50
.LBB184_391:                            ;   in Loop: Header=BB184_12 Depth=1
	s_or_b32 exec_lo, exec_lo, s43
.LBB184_392:                            ;   in Loop: Header=BB184_12 Depth=1
	s_or_b32 exec_lo, exec_lo, s42
.LBB184_393:                            ;   in Loop: Header=BB184_12 Depth=1
	s_or_b32 exec_lo, exec_lo, s41
	v_cmp_ne_u16_sdwa s2, v13, v50 src0_sel:BYTE_1 src1_sel:DWORD
	s_and_saveexec_b32 s41, s2
	s_cbranch_execz .LBB184_401
; %bb.394:                              ;   in Loop: Header=BB184_12 Depth=1
	v_mov_b32_e32 v21, v50
	v_mov_b32_e32 v74, v22
	v_cmp_ne_u16_sdwa s2, v13, v127 src0_sel:BYTE_1 src1_sel:DWORD
	v_mov_b32_e32 v73, v21
	s_and_saveexec_b32 s42, s2
	s_cbranch_execz .LBB184_400
; %bb.395:                              ;   in Loop: Header=BB184_12 Depth=1
	v_mov_b32_e32 v14, 0xffff
	v_mov_b32_e32 v17, v50
	v_mov_b32_e32 v74, v18
	s_mov_b32 s43, exec_lo
	v_and_b32_sdwa v14, v14, v13 dst_sel:DWORD dst_unused:UNUSED_PAD src0_sel:DWORD src1_sel:BYTE_1
	v_mov_b32_e32 v73, v17
	v_and_b32_e32 v19, 0x7f, v14
	v_cmpx_ne_u32_e32 0x7f, v19
	s_cbranch_execz .LBB184_399
; %bb.396:                              ;   in Loop: Header=BB184_12 Depth=1
	v_and_b32_e32 v49, 7, v14
	v_lshrrev_b32_e32 v14, 3, v19
	s_mov_b32 s44, exec_lo
	v_cmpx_gt_u32_e32 8, v19
; %bb.397:                              ;   in Loop: Header=BB184_12 Depth=1
	v_ffbh_u32_e32 v14, v49
	v_min_u32_e32 v14, 32, v14
	v_subrev_nc_u32_e32 v17, 28, v14
	v_sub_nc_u32_e32 v14, 29, v14
	v_lshlrev_b64 v[19:20], v17, v[49:50]
	v_and_b32_e32 v49, 7, v19
; %bb.398:                              ;   in Loop: Header=BB184_12 Depth=1
	s_or_b32 exec_lo, exec_lo, s44
	v_lshlrev_b32_e32 v13, 16, v13
	v_lshlrev_b32_e32 v17, 20, v49
	v_lshl_add_u32 v14, v14, 23, 0x3c000000
	v_mov_b32_e32 v73, v50
	v_and_b32_e32 v13, 0x80000000, v13
	v_or3_b32 v74, v17, v13, v14
.LBB184_399:                            ;   in Loop: Header=BB184_12 Depth=1
	s_or_b32 exec_lo, exec_lo, s43
.LBB184_400:                            ;   in Loop: Header=BB184_12 Depth=1
	s_or_b32 exec_lo, exec_lo, s42
.LBB184_401:                            ;   in Loop: Header=BB184_12 Depth=1
	s_or_b32 exec_lo, exec_lo, s41
	global_load_ushort v13, v[69:70], off offset:1536
	v_mov_b32_e32 v19, 0
	v_mov_b32_e32 v20, 0
	s_waitcnt vmcnt(0)
	v_and_b32_e32 v23, 0xffff, v13
	v_cmp_ne_u16_sdwa s2, v13, v50 src0_sel:BYTE_0 src1_sel:DWORD
	v_mov_b32_e32 v13, 0
	v_mov_b32_e32 v14, 0
	s_and_saveexec_b32 s41, s2
	s_cbranch_execz .LBB184_409
; %bb.402:                              ;   in Loop: Header=BB184_12 Depth=1
	v_bfrev_b32_e32 v19, 1
	v_mov_b32_e32 v20, 0
	v_cmp_ne_u16_sdwa s2, v23, v127 src0_sel:BYTE_0 src1_sel:DWORD
	s_and_saveexec_b32 s42, s2
	s_cbranch_execz .LBB184_408
; %bb.403:                              ;   in Loop: Header=BB184_12 Depth=1
	v_mov_b32_e32 v19, 0x7f800001
	v_and_b32_e32 v21, 0x7f, v23
	v_mov_b32_e32 v20, 0
	s_mov_b32 s43, exec_lo
	v_cmpx_ne_u32_e32 0x7f, v21
	s_cbranch_execz .LBB184_407
; %bb.404:                              ;   in Loop: Header=BB184_12 Depth=1
	v_and_b32_e32 v49, 7, v23
	v_lshrrev_b32_e32 v17, 3, v21
	s_mov_b32 s44, exec_lo
	v_cmpx_gt_u32_e32 8, v21
; %bb.405:                              ;   in Loop: Header=BB184_12 Depth=1
	v_ffbh_u32_e32 v17, v49
	v_min_u32_e32 v17, 32, v17
	v_subrev_nc_u32_e32 v19, 28, v17
	v_sub_nc_u32_e32 v17, 29, v17
	v_lshlrev_b64 v[19:20], v19, v[49:50]
	v_and_b32_e32 v49, 7, v19
; %bb.406:                              ;   in Loop: Header=BB184_12 Depth=1
	s_or_b32 exec_lo, exec_lo, s44
	v_lshlrev_b32_e32 v19, 24, v23
	v_lshlrev_b32_e32 v20, 20, v49
	v_lshl_add_u32 v17, v17, 23, 0x3c000000
	v_and_b32_e32 v19, 0x80000000, v19
	v_or3_b32 v49, v20, v19, v17
	v_mov_b32_e32 v19, v49
	v_mov_b32_e32 v20, v50
.LBB184_407:                            ;   in Loop: Header=BB184_12 Depth=1
	s_or_b32 exec_lo, exec_lo, s43
.LBB184_408:                            ;   in Loop: Header=BB184_12 Depth=1
	s_or_b32 exec_lo, exec_lo, s42
.LBB184_409:                            ;   in Loop: Header=BB184_12 Depth=1
	s_or_b32 exec_lo, exec_lo, s41
	v_cmp_ne_u16_sdwa s2, v23, v50 src0_sel:BYTE_1 src1_sel:DWORD
	s_and_saveexec_b32 s41, s2
	s_cbranch_execz .LBB184_417
; %bb.410:                              ;   in Loop: Header=BB184_12 Depth=1
	v_mov_b32_e32 v21, v50
	v_cmp_ne_u16_sdwa s2, v23, v127 src0_sel:BYTE_1 src1_sel:DWORD
	v_mov_b32_e32 v13, v21
	v_mov_b32_e32 v14, v22
	s_and_saveexec_b32 s42, s2
	s_cbranch_execz .LBB184_416
; %bb.411:                              ;   in Loop: Header=BB184_12 Depth=1
	v_mov_b32_e32 v13, 0xffff
	v_mov_b32_e32 v17, v50
	s_mov_b32 s43, exec_lo
	v_and_b32_sdwa v24, v13, v23 dst_sel:DWORD dst_unused:UNUSED_PAD src0_sel:DWORD src1_sel:BYTE_1
	v_mov_b32_e32 v13, v17
	v_mov_b32_e32 v14, v18
	v_and_b32_e32 v21, 0x7f, v24
	v_cmpx_ne_u32_e32 0x7f, v21
	s_cbranch_execz .LBB184_415
; %bb.412:                              ;   in Loop: Header=BB184_12 Depth=1
	v_and_b32_e32 v49, 7, v24
	v_lshrrev_b32_e32 v13, 3, v21
	s_mov_b32 s44, exec_lo
	v_cmpx_gt_u32_e32 8, v21
; %bb.413:                              ;   in Loop: Header=BB184_12 Depth=1
	v_ffbh_u32_e32 v13, v49
	v_min_u32_e32 v13, 32, v13
	v_subrev_nc_u32_e32 v14, 28, v13
	v_sub_nc_u32_e32 v13, 29, v13
	v_lshlrev_b64 v[24:25], v14, v[49:50]
	v_and_b32_e32 v49, 7, v24
; %bb.414:                              ;   in Loop: Header=BB184_12 Depth=1
	s_or_b32 exec_lo, exec_lo, s44
	v_lshlrev_b32_e32 v14, 16, v23
	v_lshlrev_b32_e32 v17, 20, v49
	v_lshl_add_u32 v13, v13, 23, 0x3c000000
	v_and_b32_e32 v14, 0x80000000, v14
	v_or3_b32 v14, v17, v14, v13
	v_mov_b32_e32 v13, v50
.LBB184_415:                            ;   in Loop: Header=BB184_12 Depth=1
	s_or_b32 exec_lo, exec_lo, s43
.LBB184_416:                            ;   in Loop: Header=BB184_12 Depth=1
	s_or_b32 exec_lo, exec_lo, s42
.LBB184_417:                            ;   in Loop: Header=BB184_12 Depth=1
	s_or_b32 exec_lo, exec_lo, s41
	global_load_ushort v17, v[69:70], off offset:1540
	v_mov_b32_e32 v27, 0
	v_mov_b32_e32 v25, 0
	;; [unrolled: 1-line block ×4, first 2 shown]
	s_waitcnt vmcnt(0)
	v_and_b32_e32 v23, 0xffff, v17
	v_cmp_ne_u16_sdwa s2, v17, v50 src0_sel:BYTE_0 src1_sel:DWORD
	s_and_saveexec_b32 s41, s2
	s_cbranch_execz .LBB184_425
; %bb.418:                              ;   in Loop: Header=BB184_12 Depth=1
	v_bfrev_b32_e32 v25, 1
	v_mov_b32_e32 v26, 0
	v_cmp_ne_u16_sdwa s2, v23, v127 src0_sel:BYTE_0 src1_sel:DWORD
	s_and_saveexec_b32 s42, s2
	s_cbranch_execz .LBB184_424
; %bb.419:                              ;   in Loop: Header=BB184_12 Depth=1
	v_mov_b32_e32 v25, 0x7f800001
	v_and_b32_e32 v21, 0x7f, v23
	v_mov_b32_e32 v26, 0
	s_mov_b32 s43, exec_lo
	v_cmpx_ne_u32_e32 0x7f, v21
	s_cbranch_execz .LBB184_423
; %bb.420:                              ;   in Loop: Header=BB184_12 Depth=1
	v_and_b32_e32 v49, 7, v23
	v_lshrrev_b32_e32 v17, 3, v21
	s_mov_b32 s44, exec_lo
	v_cmpx_gt_u32_e32 8, v21
; %bb.421:                              ;   in Loop: Header=BB184_12 Depth=1
	v_ffbh_u32_e32 v17, v49
	v_min_u32_e32 v17, 32, v17
	v_subrev_nc_u32_e32 v21, 28, v17
	v_sub_nc_u32_e32 v17, 29, v17
	v_lshlrev_b64 v[24:25], v21, v[49:50]
	v_and_b32_e32 v49, 7, v24
; %bb.422:                              ;   in Loop: Header=BB184_12 Depth=1
	s_or_b32 exec_lo, exec_lo, s44
	v_lshlrev_b32_e32 v21, 24, v23
	v_lshlrev_b32_e32 v24, 20, v49
	v_lshl_add_u32 v17, v17, 23, 0x3c000000
	v_and_b32_e32 v21, 0x80000000, v21
	v_or3_b32 v49, v24, v21, v17
	v_mov_b32_e32 v25, v49
	v_mov_b32_e32 v26, v50
.LBB184_423:                            ;   in Loop: Header=BB184_12 Depth=1
	s_or_b32 exec_lo, exec_lo, s43
.LBB184_424:                            ;   in Loop: Header=BB184_12 Depth=1
	s_or_b32 exec_lo, exec_lo, s42
.LBB184_425:                            ;   in Loop: Header=BB184_12 Depth=1
	s_or_b32 exec_lo, exec_lo, s41
	v_cmp_ne_u16_sdwa s2, v23, v50 src0_sel:BYTE_1 src1_sel:DWORD
	s_and_saveexec_b32 s41, s2
	s_cbranch_execz .LBB184_433
; %bb.426:                              ;   in Loop: Header=BB184_12 Depth=1
	v_mov_b32_e32 v21, v50
	v_mov_b32_e32 v28, v22
	v_cmp_ne_u16_sdwa s2, v23, v127 src0_sel:BYTE_1 src1_sel:DWORD
	v_mov_b32_e32 v27, v21
	s_and_saveexec_b32 s42, s2
	s_cbranch_execz .LBB184_432
; %bb.427:                              ;   in Loop: Header=BB184_12 Depth=1
	v_mov_b32_e32 v17, 0xffff
	s_mov_b32 s43, exec_lo
	v_and_b32_sdwa v24, v17, v23 dst_sel:DWORD dst_unused:UNUSED_PAD src0_sel:DWORD src1_sel:BYTE_1
	v_mov_b32_e32 v17, v50
	v_mov_b32_e32 v28, v18
	v_and_b32_e32 v21, 0x7f, v24
	v_mov_b32_e32 v27, v17
	v_cmpx_ne_u32_e32 0x7f, v21
	s_cbranch_execz .LBB184_431
; %bb.428:                              ;   in Loop: Header=BB184_12 Depth=1
	v_and_b32_e32 v49, 7, v24
	v_lshrrev_b32_e32 v17, 3, v21
	s_mov_b32 s44, exec_lo
	v_cmpx_gt_u32_e32 8, v21
; %bb.429:                              ;   in Loop: Header=BB184_12 Depth=1
	v_ffbh_u32_e32 v17, v49
	v_min_u32_e32 v17, 32, v17
	v_subrev_nc_u32_e32 v21, 28, v17
	v_sub_nc_u32_e32 v17, 29, v17
	v_lshlrev_b64 v[27:28], v21, v[49:50]
	v_and_b32_e32 v49, 7, v27
; %bb.430:                              ;   in Loop: Header=BB184_12 Depth=1
	s_or_b32 exec_lo, exec_lo, s44
	v_lshlrev_b32_e32 v21, 16, v23
	v_lshlrev_b32_e32 v23, 20, v49
	v_lshl_add_u32 v17, v17, 23, 0x3c000000
	v_mov_b32_e32 v27, v50
	v_and_b32_e32 v21, 0x80000000, v21
	v_or3_b32 v28, v23, v21, v17
.LBB184_431:                            ;   in Loop: Header=BB184_12 Depth=1
	s_or_b32 exec_lo, exec_lo, s43
.LBB184_432:                            ;   in Loop: Header=BB184_12 Depth=1
	s_or_b32 exec_lo, exec_lo, s42
.LBB184_433:                            ;   in Loop: Header=BB184_12 Depth=1
	s_or_b32 exec_lo, exec_lo, s41
	global_load_ushort v17, v[69:70], off offset:1544
	v_mov_b32_e32 v51, 0
	v_mov_b32_e32 v75, 0
	;; [unrolled: 1-line block ×4, first 2 shown]
	s_waitcnt vmcnt(0)
	v_and_b32_e32 v23, 0xffff, v17
	v_cmp_ne_u16_sdwa s2, v17, v50 src0_sel:BYTE_0 src1_sel:DWORD
	s_and_saveexec_b32 s41, s2
	s_cbranch_execz .LBB184_441
; %bb.434:                              ;   in Loop: Header=BB184_12 Depth=1
	v_bfrev_b32_e32 v75, 1
	v_mov_b32_e32 v76, 0
	v_cmp_ne_u16_sdwa s2, v23, v127 src0_sel:BYTE_0 src1_sel:DWORD
	s_and_saveexec_b32 s42, s2
	s_cbranch_execz .LBB184_440
; %bb.435:                              ;   in Loop: Header=BB184_12 Depth=1
	v_mov_b32_e32 v75, 0x7f800001
	v_and_b32_e32 v21, 0x7f, v23
	v_mov_b32_e32 v76, 0
	s_mov_b32 s43, exec_lo
	v_cmpx_ne_u32_e32 0x7f, v21
	s_cbranch_execz .LBB184_439
; %bb.436:                              ;   in Loop: Header=BB184_12 Depth=1
	v_and_b32_e32 v49, 7, v23
	v_lshrrev_b32_e32 v17, 3, v21
	s_mov_b32 s44, exec_lo
	v_cmpx_gt_u32_e32 8, v21
; %bb.437:                              ;   in Loop: Header=BB184_12 Depth=1
	v_ffbh_u32_e32 v17, v49
	v_min_u32_e32 v17, 32, v17
	v_subrev_nc_u32_e32 v21, 28, v17
	v_sub_nc_u32_e32 v17, 29, v17
	v_lshlrev_b64 v[75:76], v21, v[49:50]
	v_and_b32_e32 v49, 7, v75
; %bb.438:                              ;   in Loop: Header=BB184_12 Depth=1
	s_or_b32 exec_lo, exec_lo, s44
	v_lshlrev_b32_e32 v21, 24, v23
	v_lshlrev_b32_e32 v24, 20, v49
	v_lshl_add_u32 v17, v17, 23, 0x3c000000
	v_and_b32_e32 v21, 0x80000000, v21
	v_or3_b32 v49, v24, v21, v17
	v_mov_b32_e32 v76, v50
	v_mov_b32_e32 v75, v49
.LBB184_439:                            ;   in Loop: Header=BB184_12 Depth=1
	s_or_b32 exec_lo, exec_lo, s43
.LBB184_440:                            ;   in Loop: Header=BB184_12 Depth=1
	s_or_b32 exec_lo, exec_lo, s42
.LBB184_441:                            ;   in Loop: Header=BB184_12 Depth=1
	s_or_b32 exec_lo, exec_lo, s41
	v_cmp_ne_u16_sdwa s2, v23, v50 src0_sel:BYTE_1 src1_sel:DWORD
	s_and_saveexec_b32 s41, s2
	s_cbranch_execz .LBB184_449
; %bb.442:                              ;   in Loop: Header=BB184_12 Depth=1
	v_mov_b32_e32 v21, v50
	v_mov_b32_e32 v52, v22
	v_cmp_ne_u16_sdwa s2, v23, v127 src0_sel:BYTE_1 src1_sel:DWORD
	v_mov_b32_e32 v51, v21
	s_and_saveexec_b32 s42, s2
	s_cbranch_execz .LBB184_448
; %bb.443:                              ;   in Loop: Header=BB184_12 Depth=1
	v_mov_b32_e32 v17, 0xffff
	s_mov_b32 s43, exec_lo
	v_and_b32_sdwa v24, v17, v23 dst_sel:DWORD dst_unused:UNUSED_PAD src0_sel:DWORD src1_sel:BYTE_1
	v_mov_b32_e32 v17, v50
	v_mov_b32_e32 v52, v18
	v_and_b32_e32 v21, 0x7f, v24
	v_mov_b32_e32 v51, v17
	v_cmpx_ne_u32_e32 0x7f, v21
	s_cbranch_execz .LBB184_447
; %bb.444:                              ;   in Loop: Header=BB184_12 Depth=1
	v_and_b32_e32 v49, 7, v24
	v_lshrrev_b32_e32 v17, 3, v21
	s_mov_b32 s44, exec_lo
	v_cmpx_gt_u32_e32 8, v21
; %bb.445:                              ;   in Loop: Header=BB184_12 Depth=1
	v_ffbh_u32_e32 v17, v49
	v_min_u32_e32 v17, 32, v17
	v_subrev_nc_u32_e32 v21, 28, v17
	v_sub_nc_u32_e32 v17, 29, v17
	v_lshlrev_b64 v[51:52], v21, v[49:50]
	v_and_b32_e32 v49, 7, v51
; %bb.446:                              ;   in Loop: Header=BB184_12 Depth=1
	s_or_b32 exec_lo, exec_lo, s44
	v_lshlrev_b32_e32 v21, 16, v23
	v_lshlrev_b32_e32 v23, 20, v49
	v_lshl_add_u32 v17, v17, 23, 0x3c000000
	v_mov_b32_e32 v51, v50
	v_and_b32_e32 v21, 0x80000000, v21
	v_or3_b32 v52, v23, v21, v17
.LBB184_447:                            ;   in Loop: Header=BB184_12 Depth=1
	s_or_b32 exec_lo, exec_lo, s43
.LBB184_448:                            ;   in Loop: Header=BB184_12 Depth=1
	s_or_b32 exec_lo, exec_lo, s42
.LBB184_449:                            ;   in Loop: Header=BB184_12 Depth=1
	s_or_b32 exec_lo, exec_lo, s41
	global_load_ushort v17, v[69:70], off offset:1548
	v_mov_b32_e32 v69, 0
	v_mov_b32_e32 v23, 0
	;; [unrolled: 1-line block ×4, first 2 shown]
	s_waitcnt vmcnt(0)
	v_and_b32_e32 v36, 0xffff, v17
	v_cmp_ne_u16_sdwa s2, v17, v50 src0_sel:BYTE_0 src1_sel:DWORD
	s_and_saveexec_b32 s41, s2
	s_cbranch_execz .LBB184_457
; %bb.450:                              ;   in Loop: Header=BB184_12 Depth=1
	v_bfrev_b32_e32 v23, 1
	v_mov_b32_e32 v24, 0
	v_cmp_ne_u16_sdwa s2, v36, v127 src0_sel:BYTE_0 src1_sel:DWORD
	s_and_saveexec_b32 s42, s2
	s_cbranch_execz .LBB184_456
; %bb.451:                              ;   in Loop: Header=BB184_12 Depth=1
	v_mov_b32_e32 v23, 0x7f800001
	v_and_b32_e32 v21, 0x7f, v36
	v_mov_b32_e32 v24, 0
	s_mov_b32 s43, exec_lo
	v_cmpx_ne_u32_e32 0x7f, v21
	s_cbranch_execz .LBB184_455
; %bb.452:                              ;   in Loop: Header=BB184_12 Depth=1
	v_and_b32_e32 v49, 7, v36
	v_lshrrev_b32_e32 v17, 3, v21
	s_mov_b32 s44, exec_lo
	v_cmpx_gt_u32_e32 8, v21
; %bb.453:                              ;   in Loop: Header=BB184_12 Depth=1
	v_ffbh_u32_e32 v17, v49
	v_min_u32_e32 v17, 32, v17
	v_subrev_nc_u32_e32 v21, 28, v17
	v_sub_nc_u32_e32 v17, 29, v17
	v_lshlrev_b64 v[23:24], v21, v[49:50]
	v_and_b32_e32 v49, 7, v23
; %bb.454:                              ;   in Loop: Header=BB184_12 Depth=1
	s_or_b32 exec_lo, exec_lo, s44
	v_lshlrev_b32_e32 v21, 24, v36
	v_lshlrev_b32_e32 v23, 20, v49
	v_lshl_add_u32 v17, v17, 23, 0x3c000000
	v_and_b32_e32 v21, 0x80000000, v21
	v_or3_b32 v49, v23, v21, v17
	v_mov_b32_e32 v23, v49
	v_mov_b32_e32 v24, v50
.LBB184_455:                            ;   in Loop: Header=BB184_12 Depth=1
	s_or_b32 exec_lo, exec_lo, s43
.LBB184_456:                            ;   in Loop: Header=BB184_12 Depth=1
	s_or_b32 exec_lo, exec_lo, s42
.LBB184_457:                            ;   in Loop: Header=BB184_12 Depth=1
	s_or_b32 exec_lo, exec_lo, s41
	v_cmp_ne_u16_sdwa s2, v36, v50 src0_sel:BYTE_1 src1_sel:DWORD
	s_and_saveexec_b32 s41, s2
	s_cbranch_execz .LBB184_465
; %bb.458:                              ;   in Loop: Header=BB184_12 Depth=1
	v_mov_b32_e32 v21, v50
	v_mov_b32_e32 v70, v22
	v_cmp_ne_u16_sdwa s2, v36, v127 src0_sel:BYTE_1 src1_sel:DWORD
	v_mov_b32_e32 v69, v21
	s_and_saveexec_b32 s42, s2
	s_cbranch_execz .LBB184_464
; %bb.459:                              ;   in Loop: Header=BB184_12 Depth=1
	v_mov_b32_e32 v17, 0xffff
	s_mov_b32 s43, exec_lo
	v_and_b32_sdwa v49, v17, v36 dst_sel:DWORD dst_unused:UNUSED_PAD src0_sel:DWORD src1_sel:BYTE_1
	v_mov_b32_e32 v17, v50
	v_mov_b32_e32 v70, v18
	v_and_b32_e32 v21, 0x7f, v49
	v_mov_b32_e32 v69, v17
	v_cmpx_ne_u32_e32 0x7f, v21
	s_cbranch_execz .LBB184_463
; %bb.460:                              ;   in Loop: Header=BB184_12 Depth=1
	v_and_b32_e32 v49, 7, v49
	v_lshrrev_b32_e32 v17, 3, v21
	s_mov_b32 s44, exec_lo
	v_cmpx_gt_u32_e32 8, v21
; %bb.461:                              ;   in Loop: Header=BB184_12 Depth=1
	v_ffbh_u32_e32 v17, v49
	v_min_u32_e32 v17, 32, v17
	v_subrev_nc_u32_e32 v21, 28, v17
	v_sub_nc_u32_e32 v17, 29, v17
	v_lshlrev_b64 v[69:70], v21, v[49:50]
	v_and_b32_e32 v49, 7, v69
; %bb.462:                              ;   in Loop: Header=BB184_12 Depth=1
	s_or_b32 exec_lo, exec_lo, s44
	v_lshlrev_b32_e32 v21, 16, v36
	v_lshlrev_b32_e32 v36, 20, v49
	v_lshl_add_u32 v17, v17, 23, 0x3c000000
	v_mov_b32_e32 v69, v50
	v_and_b32_e32 v21, 0x80000000, v21
	v_or3_b32 v70, v36, v21, v17
.LBB184_463:                            ;   in Loop: Header=BB184_12 Depth=1
	s_or_b32 exec_lo, exec_lo, s43
.LBB184_464:                            ;   in Loop: Header=BB184_12 Depth=1
	s_or_b32 exec_lo, exec_lo, s42
.LBB184_465:                            ;   in Loop: Header=BB184_12 Depth=1
	s_or_b32 exec_lo, exec_lo, s41
	v_or_b32_e32 v14, v14, v20
	v_or_b32_e32 v19, v13, v19
	;; [unrolled: 1-line block ×5, first 2 shown]
	v_mul_f32_e32 v13, s40, v14
	v_mul_f32_e32 v14, s40, v19
	v_or_b32_e32 v19, v73, v15
	v_or_b32_e32 v73, v82, v80
	s_clause 0x1
	buffer_load_dword v79, off, s[48:51], 0 offset:32
	buffer_load_dword v80, off, s[48:51], 0 offset:36
	v_or_b32_e32 v21, v51, v75
	v_or_b32_e32 v10, v10, v72
	;; [unrolled: 1-line block ×3, first 2 shown]
	v_mul_f32_e32 v15, s40, v16
	v_mul_f32_e32 v16, s40, v19
	v_or_b32_e32 v12, v54, v12
	v_or_b32_e32 v19, v53, v11
	v_mul_f32_e32 v73, s40, v73
	v_mul_f32_e32 v74, s40, v74
	v_mul_f32_e32 v72, s40, v72
	v_mul_f32_e32 v11, s40, v12
	v_mul_f32_e32 v12, s40, v19
	v_or_b32_e32 v19, v9, v71
	v_or_b32_e32 v71, v86, v84
	;; [unrolled: 1-line block ×6, first 2 shown]
	v_mul_f32_e32 v71, s40, v71
	v_mul_f32_e32 v1, s40, v2
	;; [unrolled: 1-line block ×3, first 2 shown]
	v_or_b32_e32 v3, v68, v64
	v_or_b32_e32 v4, v67, v63
	v_or_b32_e32 v67, v90, v88
	v_or_b32_e32 v68, v89, v87
	v_mul_f32_e32 v5, s40, v6
	v_mul_f32_e32 v6, s40, v7
	v_or_b32_e32 v7, v66, v62
	v_or_b32_e32 v8, v65, v61
	;; [unrolled: 1-line block ×4, first 2 shown]
	v_mul_f32_e32 v67, s40, v67
	v_mul_f32_e32 v68, s40, v68
	v_or_b32_e32 v63, v98, v96
	v_mul_f32_e32 v65, s40, v65
	v_mul_f32_e32 v66, s40, v66
	v_or_b32_e32 v64, v97, v95
	v_or_b32_e32 v61, v102, v100
	;; [unrolled: 1-line block ×3, first 2 shown]
	v_mul_f32_e32 v63, s40, v63
	v_mul_f32_e32 v9, s40, v10
	;; [unrolled: 1-line block ×6, first 2 shown]
	v_or_b32_e32 v19, v60, v58
	v_or_b32_e32 v20, v59, v57
	;; [unrolled: 1-line block ×7, first 2 shown]
	v_mul_f32_e32 v59, s40, v59
	v_mul_f32_e32 v60, s40, v60
	;; [unrolled: 1-line block ×4, first 2 shown]
	v_or_b32_e32 v54, v113, v111
	v_or_b32_e32 v51, v118, v116
	;; [unrolled: 1-line block ×3, first 2 shown]
	v_mul_f32_e32 v53, s40, v53
	v_or_b32_e32 v49, v121, v119
	v_mul_f32_e32 v54, s40, v54
	v_mul_f32_e32 v51, s40, v51
	;; [unrolled: 1-line block ×3, first 2 shown]
	v_or_b32_e32 v26, v28, v26
	v_or_b32_e32 v28, v125, v123
	;; [unrolled: 1-line block ×3, first 2 shown]
	v_mul_f32_e32 v49, s40, v49
	v_or_b32_e32 v27, v27, v25
	v_mul_f32_e32 v25, s40, v26
	v_mul_f32_e32 v28, s40, v28
	;; [unrolled: 1-line block ×5, first 2 shown]
	v_or_b32_e32 v27, v126, v124
	v_mul_f32_e32 v20, s40, v20
	v_mul_f32_e32 v7, s40, v7
	;; [unrolled: 1-line block ×8, first 2 shown]
	v_or_b32_e32 v24, v70, v24
	v_or_b32_e32 v23, v69, v23
	v_mul_f32_e32 v24, s40, v24
	s_waitcnt vmcnt(1)
	v_or_b32_e32 v76, v77, v79
	s_waitcnt vmcnt(0)
	v_or_b32_e32 v75, v78, v80
	s_clause 0x5
	buffer_load_dword v77, off, s[48:51], 0 offset:24
	buffer_load_dword v78, off, s[48:51], 0 offset:28
	;; [unrolled: 1-line block ×6, first 2 shown]
	v_mul_f32_e32 v76, s40, v76
	v_mul_f32_e32 v75, s40, v75
	s_waitcnt vmcnt(5)
	v_or_b32_e32 v29, v29, v77
	s_waitcnt vmcnt(4)
	v_or_b32_e32 v30, v30, v78
	v_mul_f32_e32 v78, s40, v29
	v_mul_f32_e32 v77, s40, v30
	s_waitcnt vmcnt(0)
	v_or_b32_e32 v29, v82, v80
	v_or_b32_e32 v30, v81, v79
	s_clause 0x3
	buffer_load_dword v80, off, s[48:51], 0 offset:40
	buffer_load_dword v81, off, s[48:51], 0 offset:44
	buffer_load_dword v82, off, s[48:51], 0
	buffer_load_dword v83, off, s[48:51], 0 offset:4
	v_mul_f32_e32 v79, s40, v29
	v_mul_f32_e32 v30, s40, v30
	v_mul_f32_e32 v30, v47, v30
	s_waitcnt vmcnt(1)
	v_or_b32_e32 v80, v82, v80
	s_waitcnt vmcnt(0)
	v_or_b32_e32 v29, v83, v81
	v_mbcnt_lo_u32_b32 v82, -1, 0
	v_mul_f32_e32 v80, s40, v80
	v_mul_f32_e32 v81, s40, v29
	v_xor_b32_e32 v29, 1, v82
	v_fmac_f32_e32 v30, v45, v80
	v_mul_f32_e32 v45, v48, v79
	v_cmp_gt_i32_e64 s2, 32, v29
	v_fmac_f32_e32 v30, v41, v78
	v_fmac_f32_e32 v45, v46, v81
	v_cndmask_b32_e64 v82, v82, v29, s2
	v_mul_f32_e32 v29, s40, v23
	v_fmac_f32_e32 v30, v43, v76
	v_fmac_f32_e32 v45, v42, v77
	v_lshlrev_b32_e32 v23, 2, v82
	v_fmac_f32_e32 v30, v37, v74
	v_fmac_f32_e32 v45, v44, v75
	;; [unrolled: 1-line block ×5, first 2 shown]
	s_clause 0x3
	buffer_load_dword v37, off, s[48:51], 0 offset:184
	buffer_load_dword v38, off, s[48:51], 0 offset:188
	buffer_load_dword v39, off, s[48:51], 0 offset:192
	buffer_load_dword v40, off, s[48:51], 0 offset:196
	s_waitcnt vmcnt(3)
	v_fmac_f32_e32 v30, v37, v68
	s_waitcnt vmcnt(2)
	v_fmac_f32_e32 v45, v38, v67
	s_waitcnt vmcnt(1)
	v_fmac_f32_e32 v30, v39, v66
	s_waitcnt vmcnt(0)
	v_fmac_f32_e32 v45, v40, v65
	s_clause 0x3
	buffer_load_dword v37, off, s[48:51], 0 offset:168
	buffer_load_dword v38, off, s[48:51], 0 offset:172
	buffer_load_dword v39, off, s[48:51], 0 offset:176
	buffer_load_dword v40, off, s[48:51], 0 offset:180
	s_waitcnt vmcnt(3)
	v_fmac_f32_e32 v30, v37, v64
	s_waitcnt vmcnt(2)
	v_fmac_f32_e32 v45, v38, v63
	s_waitcnt vmcnt(1)
	v_fmac_f32_e32 v30, v39, v62
	s_waitcnt vmcnt(0)
	v_fmac_f32_e32 v45, v40, v61
	;; [unrolled: 13-line block ×4, first 2 shown]
	s_clause 0x3
	buffer_load_dword v37, off, s[48:51], 0 offset:120
	buffer_load_dword v38, off, s[48:51], 0 offset:124
	;; [unrolled: 1-line block ×4, first 2 shown]
	s_waitcnt vmcnt(3)
	v_fmac_f32_e32 v30, v37, v49
	s_waitcnt vmcnt(2)
	v_fmac_f32_e32 v45, v38, v36
	;; [unrolled: 2-line block ×3, first 2 shown]
	s_clause 0x3
	buffer_load_dword v36, off, s[48:51], 0 offset:104
	buffer_load_dword v37, off, s[48:51], 0 offset:108
	;; [unrolled: 1-line block ×4, first 2 shown]
	s_waitcnt vmcnt(4)
	v_fmac_f32_e32 v45, v40, v27
	s_waitcnt vmcnt(3)
	v_fmac_f32_e32 v30, v36, v20
	;; [unrolled: 2-line block ×5, first 2 shown]
	s_clause 0x3
	buffer_load_dword v36, off, s[48:51], 0 offset:88
	buffer_load_dword v37, off, s[48:51], 0 offset:92
	;; [unrolled: 1-line block ×4, first 2 shown]
	s_waitcnt vmcnt(3)
	v_fmac_f32_e32 v30, v36, v4
	s_waitcnt vmcnt(2)
	v_fmac_f32_e32 v45, v37, v3
	;; [unrolled: 2-line block ×4, first 2 shown]
	s_clause 0x3
	buffer_load_dword v1, off, s[48:51], 0 offset:72
	buffer_load_dword v2, off, s[48:51], 0 offset:76
	;; [unrolled: 1-line block ×4, first 2 shown]
	s_waitcnt vmcnt(3)
	v_fmac_f32_e32 v30, v1, v6
	s_waitcnt vmcnt(2)
	v_fmac_f32_e32 v45, v2, v5
	;; [unrolled: 2-line block ×4, first 2 shown]
	s_clause 0x3
	buffer_load_dword v1, off, s[48:51], 0 offset:56
	buffer_load_dword v2, off, s[48:51], 0 offset:60
	;; [unrolled: 1-line block ×4, first 2 shown]
	s_waitcnt vmcnt(3)
	v_fmac_f32_e32 v30, v1, v12
	s_waitcnt vmcnt(2)
	v_fmac_f32_e32 v45, v2, v11
	s_clause 0x1
	buffer_load_dword v1, off, s[48:51], 0 offset:48
	buffer_load_dword v2, off, s[48:51], 0 offset:52
	s_waitcnt vmcnt(3)
	v_fmac_f32_e32 v30, v3, v16
	s_waitcnt vmcnt(2)
	v_fmac_f32_e32 v45, v4, v15
	;; [unrolled: 2-line block ×4, first 2 shown]
	ds_read2_b64 v[1:4], v31 offset0:25 offset1:26
	s_waitcnt lgkmcnt(0)
	v_fmac_f32_e32 v30, v26, v1
	v_fmac_f32_e32 v45, v25, v2
	ds_read_b64 v[1:2], v31 offset:216
	v_fmac_f32_e32 v30, v21, v3
	v_fmac_f32_e32 v45, v17, v4
	s_waitcnt lgkmcnt(0)
	v_fmac_f32_e32 v30, v29, v1
	v_fmac_f32_e32 v45, v24, v2
	v_add_f32_e32 v1, v30, v45
	ds_bpermute_b32 v2, v23, v1
	s_and_saveexec_b32 s40, vcc_lo
	s_cbranch_execz .LBB184_10
; %bb.466:                              ;   in Loop: Header=BB184_12 Depth=1
	buffer_load_dword v3, off, s[48:51], 0 offset:216 ; 4-byte Folded Reload
	s_waitcnt lgkmcnt(0)
	v_add_f32_e32 v1, v1, v2
	buffer_load_dword v4, off, s[48:51], 0 offset:200 ; 4-byte Folded Reload
	s_waitcnt vmcnt(1)
	v_add_nc_u32_e32 v3, v3, v0
	v_cvt_f32_i32_e32 v3, v3
	v_mul_f32_e32 v3, s36, v3
	v_cndmask_b32_e64 v2, 0, v3, s1
	v_fmac_f32_e32 v2, s35, v1
	buffer_load_dword v1, off, s[48:51], 0 offset:212 ; 4-byte Folded Reload
	s_waitcnt vmcnt(1)
	v_max_f32_e32 v3, v4, v4
	v_max_f32_e32 v3, v3, v2
	s_waitcnt vmcnt(0)
	v_add_nc_u32_e32 v1, v1, v0
	v_cmp_gt_i32_e64 s2, s33, v1
	v_cndmask_b32_e64 v1, 0, v2, s2
	v_cndmask_b32_e64 v4, v4, v3, s2
	ds_write_b32 v33, v1
	buffer_store_dword v4, off, s[48:51], 0 offset:200 ; 4-byte Folded Spill
	s_branch .LBB184_10
.LBB184_467:
	s_or_b32 exec_lo, exec_lo, s38
	s_clause 0x4
	buffer_load_dword v108, off, s[48:51], 0 offset:220
	buffer_load_dword v109, off, s[48:51], 0 offset:224
	buffer_load_dword v12, off, s[48:51], 0 offset:228
	buffer_load_dword v13, off, s[48:51], 0 offset:232
	buffer_load_dword v3, off, s[48:51], 0 offset:200
.LBB184_468:
	s_or_b32 exec_lo, exec_lo, s37
	v_mbcnt_lo_u32_b32 v6, -1, 0
	s_waitcnt vmcnt(0)
	v_max_f32_e32 v4, v3, v3
	v_xor_b32_e32 v0, 16, v6
	s_waitcnt lgkmcnt(0)
	v_xor_b32_e32 v2, 8, v6
	v_xor_b32_e32 v5, 2, v6
	v_cmp_gt_i32_e32 vcc_lo, 32, v0
	v_cndmask_b32_e32 v0, v6, v0, vcc_lo
	v_cmp_gt_i32_e32 vcc_lo, 32, v2
	v_lshlrev_b32_e32 v1, 2, v0
	v_cndmask_b32_e32 v2, v6, v2, vcc_lo
	ds_bpermute_b32 v0, v1, v3
	v_lshlrev_b32_e32 v3, 2, v2
	s_waitcnt lgkmcnt(0)
	v_max_f32_e32 v0, v0, v0
	v_max_f32_e32 v0, v4, v0
	v_xor_b32_e32 v4, 4, v6
	ds_bpermute_b32 v2, v3, v0
	v_cmp_gt_i32_e32 vcc_lo, 32, v4
	v_cndmask_b32_e32 v4, v6, v4, vcc_lo
	v_cmp_gt_i32_e32 vcc_lo, 32, v5
	v_lshlrev_b32_e32 v4, 2, v4
	v_cndmask_b32_e32 v5, v6, v5, vcc_lo
	v_lshlrev_b32_e32 v25, 2, v5
	v_lshlrev_b32_e32 v5, 2, v109
	s_waitcnt lgkmcnt(0)
	v_max_f32_e32 v2, v2, v2
	v_max_f32_e32 v0, v0, v2
	ds_bpermute_b32 v2, v4, v0
	s_waitcnt lgkmcnt(0)
	v_max_f32_e32 v2, v2, v2
	v_max_f32_e32 v2, v0, v2
	v_and_b32_e32 v0, 31, v108
	ds_bpermute_b32 v6, v25, v2
	v_cmp_eq_u32_e32 vcc_lo, 0, v0
	s_and_saveexec_b32 s1, vcc_lo
	s_cbranch_execz .LBB184_470
; %bb.469:
	s_waitcnt lgkmcnt(0)
	v_max_f32_e32 v6, v6, v6
	v_max_f32_e32 v2, v2, v2
	;; [unrolled: 1-line block ×3, first 2 shown]
	ds_write_b32 v5, v2 offset:448
.LBB184_470:
	s_or_b32 exec_lo, exec_lo, s1
	v_cmp_gt_u32_e64 s1, 4, v0
	v_mov_b32_e32 v2, 0xff7fffff
	s_waitcnt lgkmcnt(0)
	v_lshlrev_b32_e32 v6, 2, v0
	s_waitcnt_vscnt null, 0x0
	s_barrier
	buffer_gl0_inv
	s_and_saveexec_b32 s2, s1
; %bb.471:
	ds_read_b32 v2, v6 offset:448
; %bb.472:
	s_or_b32 exec_lo, exec_lo, s2
	s_waitcnt lgkmcnt(0)
	ds_bpermute_b32 v7, v25, v2
	v_mbcnt_lo_u32_b32 v9, -1, 0
	v_max_f32_e32 v2, v2, v2
	v_xor_b32_e32 v8, 1, v9
	v_cmp_gt_i32_e64 s2, 32, v8
	v_cndmask_b32_e64 v8, v9, v8, s2
	s_lshl_b32 s2, s20, 4
	s_min_i32 s4, s2, s33
	s_waitcnt lgkmcnt(0)
	v_max_f32_e32 v7, v7, v7
	v_lshlrev_b32_e32 v26, 2, v8
	v_cmp_gt_i32_e64 s2, s4, v108
	v_max_f32_e32 v2, v2, v7
	ds_bpermute_b32 v7, v26, v2
	s_waitcnt lgkmcnt(0)
	v_max_f32_e32 v7, v7, v7
	v_max_f32_e32 v2, v2, v7
	v_mov_b32_e32 v7, 0
	ds_bpermute_b32 v8, v7, v2
	v_lshl_add_u32 v2, v108, 2, 0x1e0
	s_and_saveexec_b32 s5, s2
	s_cbranch_execz .LBB184_476
; %bb.473:
	v_lshl_add_u32 v9, v108, 2, 0x1e0
	v_mov_b32_e32 v7, 0
	v_mov_b32_e32 v10, v108
	s_mov_b32 s12, 0
	.p2align	6
.LBB184_474:                            ; =>This Inner Loop Header: Depth=1
	ds_read_b32 v11, v9
	v_add_nc_u32_e32 v10, 0x80, v10
	v_cmp_le_i32_e64 s3, s4, v10
	s_or_b32 s12, s3, s12
	s_waitcnt lgkmcnt(0)
	v_sub_f32_e32 v11, v11, v8
	v_mul_f32_e32 v11, 0x3fb8aa3b, v11
	v_exp_f32_e32 v11, v11
	ds_write_b32 v9, v11
	v_add_f32_e32 v7, v7, v11
	v_add_nc_u32_e32 v9, 0x200, v9
	s_andn2_b32 exec_lo, exec_lo, s12
	s_cbranch_execnz .LBB184_474
; %bb.475:
	s_or_b32 exec_lo, exec_lo, s12
.LBB184_476:
	s_or_b32 exec_lo, exec_lo, s5
	ds_bpermute_b32 v1, v1, v7
	s_waitcnt lgkmcnt(0)
	v_add_f32_e32 v1, v7, v1
	ds_bpermute_b32 v3, v3, v1
	s_waitcnt lgkmcnt(0)
	v_add_f32_e32 v1, v1, v3
	;; [unrolled: 3-line block ×5, first 2 shown]
	s_and_saveexec_b32 s3, vcc_lo
; %bb.477:
	ds_write_b32 v5, v1 offset:464
; %bb.478:
	s_or_b32 exec_lo, exec_lo, s3
	s_waitcnt lgkmcnt(0)
	s_barrier
	buffer_gl0_inv
	s_and_saveexec_b32 s3, s1
; %bb.479:
	ds_read_b32 v1, v6 offset:464
; %bb.480:
	s_or_b32 exec_lo, exec_lo, s3
	s_waitcnt lgkmcnt(0)
	ds_bpermute_b32 v3, v25, v1
	s_waitcnt lgkmcnt(0)
	v_add_f32_e32 v1, v1, v3
	ds_bpermute_b32 v3, v26, v1
	s_waitcnt lgkmcnt(0)
	v_add_f32_e32 v1, v1, v3
	v_mov_b32_e32 v3, 0
	ds_bpermute_b32 v1, v3, v1
	s_and_saveexec_b32 s1, s2
	s_cbranch_execz .LBB184_483
; %bb.481:
	s_waitcnt lgkmcnt(0)
	v_add_f32_e32 v1, 0x358637bd, v1
	s_mov_b32 s2, 0
	v_div_scale_f32 v3, null, v1, v1, 1.0
	v_div_scale_f32 v6, vcc_lo, 1.0, v1, 1.0
	v_rcp_f32_e32 v4, v3
	v_fma_f32 v5, -v3, v4, 1.0
	v_fmac_f32_e32 v4, v5, v4
	v_mul_f32_e32 v5, v6, v4
	v_fma_f32 v7, -v3, v5, v6
	v_fmac_f32_e32 v5, v7, v4
	v_fma_f32 v3, -v3, v5, v6
	v_div_fmas_f32 v3, v3, v4, v5
	v_div_fixup_f32 v1, v3, v1, 1.0
	v_mov_b32_e32 v3, v108
.LBB184_482:                            ; =>This Inner Loop Header: Depth=1
	ds_read_b32 v4, v2
	v_add_nc_u32_e32 v3, 0x80, v3
	v_cmp_le_i32_e32 vcc_lo, s4, v3
	s_or_b32 s2, vcc_lo, s2
	s_waitcnt lgkmcnt(0)
	v_mul_f32_e32 v4, v1, v4
	ds_write_b32 v2, v4
	v_add_nc_u32_e32 v2, 0x200, v2
	s_andn2_b32 exec_lo, exec_lo, s2
	s_cbranch_execnz .LBB184_482
.LBB184_483:
	s_or_b32 exec_lo, exec_lo, s1
	v_mov_b32_e32 v41, 0
	v_and_b32_e32 v27, 3, v108
	v_mov_b32_e32 v42, 0
	v_mov_b32_e32 v40, 0
	;; [unrolled: 1-line block ×13, first 2 shown]
	s_waitcnt lgkmcnt(0)
	s_barrier
	buffer_gl0_inv
	s_and_saveexec_b32 s1, s0
	s_cbranch_execz .LBB184_965
; %bb.484:
	s_sub_i32 s2, s34, s21
	s_ashr_i32 s0, s18, 31
	s_add_u32 s5, s30, s18
	s_addc_u32 s0, s31, s0
	s_abs_i32 s3, s22
	v_and_b32_e32 v2, 0x7c, v12
	v_cvt_f32_u32_e32 v1, s3
	s_sub_i32 s4, 0, s3
	v_lshlrev_b32_e32 v4, 4, v27
	v_and_b32_e32 v3, 0x7c, v13
	v_add_co_u32 v11, s5, s5, v2
	v_rcp_iflag_f32_e32 v1, v1
	s_lshl_b64 s[12:13], s[28:29], 2
	v_lshl_or_b32 v4, v109, 6, v4
	v_and_b32_e32 v43, 12, v12
	v_add_co_ci_u32_e64 v12, null, s0, 0, s5
	v_mov_b32_e32 v6, 0
	v_mov_b32_e32 v44, 0x80
	v_bfrev_b32_e32 v8, 1
	v_mov_b32_e32 v45, 0xffff
	v_mul_f32_e32 v1, 0x4f7ffffe, v1
	v_mov_b32_e32 v10, 0x7f800001
	v_mov_b32_e32 v46, 0xff
	;; [unrolled: 1-line block ×4, first 2 shown]
	v_cvt_u32_f32_e32 v1, v1
	v_mov_b32_e32 v28, 0
	v_mov_b32_e32 v29, 0
	;; [unrolled: 1-line block ×4, first 2 shown]
	v_mul_lo_u32 v5, s4, v1
	s_add_i32 s4, s20, -1
	s_add_u32 s0, s26, s12
	s_addc_u32 s5, s27, s13
	v_add_co_u32 v13, s0, s0, v3
	v_mov_b32_e32 v33, 0
	v_mov_b32_e32 v34, 0
	v_mul_hi_u32 v2, v1, v5
	v_mov_b32_e32 v35, 0
	v_add_co_ci_u32_e64 v14, null, s5, 0, s0
	v_add_nc_u32_e32 v49, 0x1e0, v4
	v_mov_b32_e32 v36, 0
	v_mov_b32_e32 v37, 0
	;; [unrolled: 1-line block ×3, first 2 shown]
	v_add_nc_u32_e32 v50, v1, v2
	v_mov_b32_e32 v39, 0
	v_mov_b32_e32 v40, 0
	;; [unrolled: 1-line block ×5, first 2 shown]
	s_mov_b32 s12, s17
	s_mov_b32 s5, 0
	s_branch .LBB184_487
.LBB184_485:                            ;   in Loop: Header=BB184_487 Depth=1
	s_or_b32 exec_lo, exec_lo, s0
	v_mul_f32_e32 v16, v1, v105
	v_mul_f32_e32 v17, v1, v103
	;; [unrolled: 1-line block ×5, first 2 shown]
	v_fmac_f32_e32 v16, v2, v104
	v_fmac_f32_e32 v17, v2, v102
	;; [unrolled: 1-line block ×15, first 2 shown]
	v_add_f32_e32 v29, v29, v16
	v_add_f32_e32 v30, v30, v17
	;; [unrolled: 1-line block ×4, first 2 shown]
	v_mul_f32_e32 v16, v1, v87
	v_mul_f32_e32 v17, v1, v83
	v_mul_f32_e32 v18, v1, v79
	v_mul_f32_e32 v19, v1, v75
	v_add_f32_e32 v34, v34, v20
	v_fmac_f32_e32 v16, v2, v86
	v_fmac_f32_e32 v17, v2, v82
	;; [unrolled: 1-line block ×12, first 2 shown]
	v_add_f32_e32 v35, v35, v16
	v_add_f32_e32 v36, v36, v17
	;; [unrolled: 1-line block ×4, first 2 shown]
	v_mul_f32_e32 v16, v1, v71
	v_mul_f32_e32 v17, v1, v67
	;; [unrolled: 1-line block ×5, first 2 shown]
	v_fmac_f32_e32 v16, v2, v70
	v_fmac_f32_e32 v17, v2, v66
	;; [unrolled: 1-line block ×15, first 2 shown]
	v_add_f32_e32 v39, v39, v16
	v_add_f32_e32 v40, v40, v17
	;; [unrolled: 1-line block ×5, first 2 shown]
.LBB184_486:                            ;   in Loop: Header=BB184_487 Depth=1
	s_or_b32 exec_lo, exec_lo, s13
	v_add_nc_u32_e32 v51, 4, v51
	v_add_co_u32 v13, s0, v13, 16
	v_add_co_ci_u32_e64 v14, null, 0, v14, s0
	v_cmp_le_i32_e32 vcc_lo, s20, v51
	v_add_nc_u32_e32 v32, 64, v32
	v_add_nc_u32_e32 v49, 0x100, v49
	s_or_b32 s5, vcc_lo, s5
	s_andn2_b32 exec_lo, exec_lo, s5
	s_cbranch_execz .LBB184_964
.LBB184_487:                            ; =>This Inner Loop Header: Depth=1
	v_mul_hi_u32 v1, v32, s19
	v_mul_lo_u32 v2, v1, s16
	v_add_nc_u32_e32 v3, 1, v1
	v_sub_nc_u32_e32 v2, v32, v2
	v_subrev_nc_u32_e32 v4, s16, v2
	v_cmp_le_u32_e32 vcc_lo, s16, v2
	v_cndmask_b32_e32 v1, v1, v3, vcc_lo
	v_cndmask_b32_e32 v2, v2, v4, vcc_lo
	v_add_nc_u32_e32 v3, 1, v1
	v_cmp_le_u32_e32 vcc_lo, s16, v2
	v_cndmask_b32_e32 v1, v1, v3, vcc_lo
	v_xor_b32_e32 v1, s23, v1
	v_subrev_nc_u32_e32 v1, s23, v1
	v_add_nc_u32_e32 v2, s25, v1
	v_cmp_lt_i32_e64 s0, s2, v1
	v_sub_nc_u32_e32 v3, 0, v2
	v_max_i32_e32 v3, v2, v3
	v_ashrrev_i32_e32 v2, 31, v2
	v_mul_hi_u32 v4, v3, v50
	v_mul_lo_u32 v4, v4, s3
	v_sub_nc_u32_e32 v3, v3, v4
	v_subrev_nc_u32_e32 v4, s3, v3
	v_cmp_le_u32_e32 vcc_lo, s3, v3
	v_cndmask_b32_e32 v3, v3, v4, vcc_lo
	v_subrev_nc_u32_e32 v4, s3, v3
	v_cmp_le_u32_e32 vcc_lo, s3, v3
	v_cndmask_b32_e32 v3, v3, v4, vcc_lo
	v_xor_b32_e32 v3, v3, v2
	v_sub_nc_u32_e32 v2, v3, v2
	v_cmp_eq_u32_e32 vcc_lo, 0, v2
	s_or_b32 s0, vcc_lo, s0
	s_and_saveexec_b32 s13, s0
	s_cbranch_execz .LBB184_486
; %bb.488:                              ;   in Loop: Header=BB184_487 Depth=1
	global_load_dword v1, v[13:14], off
	s_load_dword s17, s[14:15], 0x0
	v_mov_b32_e32 v19, 0
	v_mov_b32_e32 v17, 0
	v_mov_b32_e32 v20, 0
	v_mov_b32_e32 v18, 0
	s_waitcnt vmcnt(0)
	v_mad_i64_i32 v[15:16], null, v1, s12, v[11:12]
	ds_read_b128 v[1:4], v49
	global_load_dword v52, v[15:16], off
	s_waitcnt vmcnt(0)
	v_cmp_ne_u16_sdwa s18, v52, v6 src0_sel:BYTE_0 src1_sel:DWORD
	s_and_saveexec_b32 s0, s18
	s_cbranch_execz .LBB184_496
; %bb.489:                              ;   in Loop: Header=BB184_487 Depth=1
	v_bfrev_b32_e32 v17, 1
	v_mov_b32_e32 v18, 0
	v_cmp_ne_u16_sdwa s21, v52, v44 src0_sel:BYTE_0 src1_sel:DWORD
	s_and_saveexec_b32 s18, s21
	s_cbranch_execz .LBB184_495
; %bb.490:                              ;   in Loop: Header=BB184_487 Depth=1
	v_mov_b32_e32 v17, 0x7f800001
	v_and_b32_e32 v9, 0x7f, v52
	v_mov_b32_e32 v18, 0
	s_mov_b32 s21, exec_lo
	v_cmpx_ne_u32_e32 0x7f, v9
	s_cbranch_execz .LBB184_494
; %bb.491:                              ;   in Loop: Header=BB184_487 Depth=1
	v_and_b32_e32 v5, 7, v52
	v_lshrrev_b32_e32 v7, 3, v9
	s_mov_b32 s22, exec_lo
	v_cmpx_gt_u32_e32 8, v9
; %bb.492:                              ;   in Loop: Header=BB184_487 Depth=1
	v_ffbh_u32_e32 v7, v5
	v_min_u32_e32 v7, 32, v7
	v_subrev_nc_u32_e32 v9, 28, v7
	v_sub_nc_u32_e32 v7, 29, v7
	v_lshlrev_b64 v[17:18], v9, v[5:6]
	v_and_b32_e32 v5, 7, v17
; %bb.493:                              ;   in Loop: Header=BB184_487 Depth=1
	s_or_b32 exec_lo, exec_lo, s22
	v_lshlrev_b32_e32 v9, 24, v52
	v_lshlrev_b32_e32 v5, 20, v5
	v_lshl_add_u32 v7, v7, 23, 0x3c000000
	v_and_b32_e32 v9, 0x80000000, v9
	v_or3_b32 v5, v5, v9, v7
	v_mov_b32_e32 v18, v6
	v_mov_b32_e32 v17, v5
.LBB184_494:                            ;   in Loop: Header=BB184_487 Depth=1
	s_or_b32 exec_lo, exec_lo, s21
.LBB184_495:                            ;   in Loop: Header=BB184_487 Depth=1
	s_or_b32 exec_lo, exec_lo, s18
.LBB184_496:                            ;   in Loop: Header=BB184_487 Depth=1
	s_or_b32 exec_lo, exec_lo, s0
	v_cmp_ne_u16_sdwa s18, v52, v6 src0_sel:BYTE_1 src1_sel:DWORD
	s_and_saveexec_b32 s0, s18
	s_cbranch_execz .LBB184_504
; %bb.497:                              ;   in Loop: Header=BB184_487 Depth=1
	v_mov_b32_e32 v7, v6
	v_mov_b32_e32 v20, v8
	v_cmp_ne_u16_sdwa s21, v52, v44 src0_sel:BYTE_1 src1_sel:DWORD
	v_mov_b32_e32 v19, v7
	s_and_saveexec_b32 s18, s21
	s_cbranch_execz .LBB184_503
; %bb.498:                              ;   in Loop: Header=BB184_487 Depth=1
	v_and_b32_sdwa v5, v45, v52 dst_sel:DWORD dst_unused:UNUSED_PAD src0_sel:DWORD src1_sel:BYTE_1
	v_mov_b32_e32 v9, v6
	v_mov_b32_e32 v20, v10
	s_mov_b32 s21, exec_lo
	v_and_b32_e32 v21, 0x7f, v5
	v_mov_b32_e32 v19, v9
	v_cmpx_ne_u32_e32 0x7f, v21
	s_cbranch_execz .LBB184_502
; %bb.499:                              ;   in Loop: Header=BB184_487 Depth=1
	v_and_b32_e32 v5, 7, v5
	v_lshrrev_b32_e32 v7, 3, v21
	s_mov_b32 s22, exec_lo
	v_cmpx_gt_u32_e32 8, v21
; %bb.500:                              ;   in Loop: Header=BB184_487 Depth=1
	v_ffbh_u32_e32 v7, v5
	v_min_u32_e32 v7, 32, v7
	v_subrev_nc_u32_e32 v9, 28, v7
	v_sub_nc_u32_e32 v7, 29, v7
	v_lshlrev_b64 v[19:20], v9, v[5:6]
	v_and_b32_e32 v5, 7, v19
; %bb.501:                              ;   in Loop: Header=BB184_487 Depth=1
	s_or_b32 exec_lo, exec_lo, s22
	v_lshlrev_b32_e32 v9, 16, v52
	v_lshlrev_b32_e32 v5, 20, v5
	v_lshl_add_u32 v7, v7, 23, 0x3c000000
	v_mov_b32_e32 v19, v6
	v_and_b32_e32 v9, 0x80000000, v9
	v_or3_b32 v20, v5, v9, v7
.LBB184_502:                            ;   in Loop: Header=BB184_487 Depth=1
	s_or_b32 exec_lo, exec_lo, s21
.LBB184_503:                            ;   in Loop: Header=BB184_487 Depth=1
	s_or_b32 exec_lo, exec_lo, s18
.LBB184_504:                            ;   in Loop: Header=BB184_487 Depth=1
	s_or_b32 exec_lo, exec_lo, s0
	v_mov_b32_e32 v23, 0
	v_mov_b32_e32 v21, 0
	v_and_b32_sdwa v5, v52, v46 dst_sel:DWORD dst_unused:UNUSED_PAD src0_sel:WORD_1 src1_sel:DWORD
	v_mov_b32_e32 v24, 0
	v_mov_b32_e32 v22, 0
	s_mov_b32 s0, exec_lo
	v_cmpx_ne_u16_e32 0, v5
	s_cbranch_execz .LBB184_512
; %bb.505:                              ;   in Loop: Header=BB184_487 Depth=1
	v_bfrev_b32_e32 v21, 1
	v_mov_b32_e32 v22, 0
	s_mov_b32 s18, exec_lo
	v_cmpx_ne_u16_e32 0x80, v5
	s_cbranch_execz .LBB184_511
; %bb.506:                              ;   in Loop: Header=BB184_487 Depth=1
	v_mov_b32_e32 v21, 0x7f800001
	v_bfe_u32 v9, v52, 16, 7
	v_mov_b32_e32 v22, 0
	s_mov_b32 s21, exec_lo
	v_cmpx_ne_u32_e32 0x7f, v9
	s_cbranch_execz .LBB184_510
; %bb.507:                              ;   in Loop: Header=BB184_487 Depth=1
	v_and_b32_sdwa v5, v52, v47 dst_sel:DWORD dst_unused:UNUSED_PAD src0_sel:WORD_1 src1_sel:DWORD
	v_lshrrev_b32_e32 v7, 3, v9
	s_mov_b32 s22, exec_lo
	v_cmpx_gt_u32_e32 8, v9
; %bb.508:                              ;   in Loop: Header=BB184_487 Depth=1
	v_ffbh_u32_e32 v7, v5
	v_min_u32_e32 v7, 32, v7
	v_subrev_nc_u32_e32 v9, 28, v7
	v_sub_nc_u32_e32 v7, 29, v7
	v_lshlrev_b64 v[21:22], v9, v[5:6]
	v_and_b32_e32 v5, 7, v21
; %bb.509:                              ;   in Loop: Header=BB184_487 Depth=1
	s_or_b32 exec_lo, exec_lo, s22
	v_lshlrev_b32_sdwa v9, v48, v52 dst_sel:DWORD dst_unused:UNUSED_PAD src0_sel:DWORD src1_sel:WORD_1
	v_lshlrev_b32_e32 v5, 20, v5
	v_lshl_add_u32 v7, v7, 23, 0x3c000000
	v_and_b32_e32 v9, 0x80000000, v9
	v_or3_b32 v5, v5, v9, v7
	v_mov_b32_e32 v22, v6
	v_mov_b32_e32 v21, v5
.LBB184_510:                            ;   in Loop: Header=BB184_487 Depth=1
	s_or_b32 exec_lo, exec_lo, s21
.LBB184_511:                            ;   in Loop: Header=BB184_487 Depth=1
	s_or_b32 exec_lo, exec_lo, s18
.LBB184_512:                            ;   in Loop: Header=BB184_487 Depth=1
	s_or_b32 exec_lo, exec_lo, s0
	s_mov_b32 s0, exec_lo
	v_cmpx_lt_u32_e32 0xffffff, v52
	s_cbranch_execz .LBB184_520
; %bb.513:                              ;   in Loop: Header=BB184_487 Depth=1
	v_mov_b32_e32 v7, v6
	v_mov_b32_e32 v24, v8
	v_cmp_ne_u32_sdwa s21, v52, v44 src0_sel:BYTE_3 src1_sel:DWORD
	v_mov_b32_e32 v23, v7
	s_and_saveexec_b32 s18, s21
	s_cbranch_execz .LBB184_519
; %bb.514:                              ;   in Loop: Header=BB184_487 Depth=1
	v_mov_b32_e32 v9, v6
	v_mov_b32_e32 v24, v10
	v_bfe_u32 v53, v52, 24, 7
	s_mov_b32 s21, exec_lo
	v_mov_b32_e32 v23, v9
	v_cmpx_ne_u32_e32 0x7f, v53
	s_cbranch_execz .LBB184_518
; %bb.515:                              ;   in Loop: Header=BB184_487 Depth=1
	v_and_b32_sdwa v5, v52, v47 dst_sel:DWORD dst_unused:UNUSED_PAD src0_sel:BYTE_3 src1_sel:DWORD
	v_lshrrev_b32_e32 v7, 3, v53
	s_mov_b32 s22, exec_lo
	v_cmpx_gt_u32_e32 8, v53
; %bb.516:                              ;   in Loop: Header=BB184_487 Depth=1
	v_ffbh_u32_e32 v7, v5
	v_min_u32_e32 v7, 32, v7
	v_subrev_nc_u32_e32 v9, 28, v7
	v_sub_nc_u32_e32 v7, 29, v7
	v_lshlrev_b64 v[23:24], v9, v[5:6]
	v_and_b32_e32 v5, 7, v23
; %bb.517:                              ;   in Loop: Header=BB184_487 Depth=1
	s_or_b32 exec_lo, exec_lo, s22
	v_lshlrev_b32_sdwa v9, v48, v52 dst_sel:DWORD dst_unused:UNUSED_PAD src0_sel:DWORD src1_sel:BYTE_3
	v_lshlrev_b32_e32 v5, 20, v5
	v_lshl_add_u32 v7, v7, 23, 0x3c000000
	v_mov_b32_e32 v23, v6
	v_and_b32_e32 v9, 0x80000000, v9
	v_or3_b32 v24, v5, v9, v7
.LBB184_518:                            ;   in Loop: Header=BB184_487 Depth=1
	s_or_b32 exec_lo, exec_lo, s21
.LBB184_519:                            ;   in Loop: Header=BB184_487 Depth=1
	s_or_b32 exec_lo, exec_lo, s18
.LBB184_520:                            ;   in Loop: Header=BB184_487 Depth=1
	s_or_b32 exec_lo, exec_lo, s0
	v_add_nc_u32_e32 v56, v43, v32
	v_or_b32_e32 v5, v20, v18
	v_or_b32_e32 v7, v19, v17
	;; [unrolled: 1-line block ×4, first 2 shown]
	v_cmp_eq_u32_e32 vcc_lo, s4, v51
	s_waitcnt lgkmcnt(0)
	v_mul_f32_e32 v54, s17, v5
	v_mul_f32_e32 v55, s17, v7
	;; [unrolled: 1-line block ×4, first 2 shown]
	v_add_nc_u32_e32 v59, 1, v56
	v_add_nc_u32_e32 v58, 2, v56
	;; [unrolled: 1-line block ×3, first 2 shown]
	s_and_saveexec_b32 s18, vcc_lo
	s_cbranch_execz .LBB184_522
; %bb.521:                              ;   in Loop: Header=BB184_487 Depth=1
	v_cmp_gt_i32_e64 s0, s33, v56
	v_cndmask_b32_e64 v55, 0, v55, s0
	v_cmp_gt_i32_e64 s0, s33, v59
	v_cndmask_b32_e64 v54, 0, v54, s0
	;; [unrolled: 2-line block ×4, first 2 shown]
.LBB184_522:                            ;   in Loop: Header=BB184_487 Depth=1
	s_or_b32 exec_lo, exec_lo, s18
	global_load_dword v60, v[15:16], off offset:128
	v_mov_b32_e32 v19, 0
	v_mov_b32_e32 v17, 0
	;; [unrolled: 1-line block ×4, first 2 shown]
	s_waitcnt vmcnt(0)
	v_cmp_ne_u16_sdwa s0, v60, v6 src0_sel:BYTE_0 src1_sel:DWORD
	s_and_saveexec_b32 s18, s0
	s_cbranch_execz .LBB184_530
; %bb.523:                              ;   in Loop: Header=BB184_487 Depth=1
	v_bfrev_b32_e32 v17, 1
	v_mov_b32_e32 v18, 0
	v_cmp_ne_u16_sdwa s0, v60, v44 src0_sel:BYTE_0 src1_sel:DWORD
	s_and_saveexec_b32 s21, s0
	s_cbranch_execz .LBB184_529
; %bb.524:                              ;   in Loop: Header=BB184_487 Depth=1
	v_mov_b32_e32 v17, 0x7f800001
	v_and_b32_e32 v9, 0x7f, v60
	v_mov_b32_e32 v18, 0
	s_mov_b32 s22, exec_lo
	v_cmpx_ne_u32_e32 0x7f, v9
	s_cbranch_execz .LBB184_528
; %bb.525:                              ;   in Loop: Header=BB184_487 Depth=1
	v_and_b32_e32 v5, 7, v60
	v_lshrrev_b32_e32 v7, 3, v9
	s_mov_b32 s26, exec_lo
	v_cmpx_gt_u32_e32 8, v9
; %bb.526:                              ;   in Loop: Header=BB184_487 Depth=1
	v_ffbh_u32_e32 v7, v5
	v_min_u32_e32 v7, 32, v7
	v_subrev_nc_u32_e32 v9, 28, v7
	v_sub_nc_u32_e32 v7, 29, v7
	v_lshlrev_b64 v[17:18], v9, v[5:6]
	v_and_b32_e32 v5, 7, v17
; %bb.527:                              ;   in Loop: Header=BB184_487 Depth=1
	s_or_b32 exec_lo, exec_lo, s26
	v_lshlrev_b32_e32 v9, 24, v60
	v_lshlrev_b32_e32 v5, 20, v5
	v_lshl_add_u32 v7, v7, 23, 0x3c000000
	v_and_b32_e32 v9, 0x80000000, v9
	v_or3_b32 v5, v5, v9, v7
	v_mov_b32_e32 v18, v6
	v_mov_b32_e32 v17, v5
.LBB184_528:                            ;   in Loop: Header=BB184_487 Depth=1
	s_or_b32 exec_lo, exec_lo, s22
.LBB184_529:                            ;   in Loop: Header=BB184_487 Depth=1
	s_or_b32 exec_lo, exec_lo, s21
.LBB184_530:                            ;   in Loop: Header=BB184_487 Depth=1
	s_or_b32 exec_lo, exec_lo, s18
	v_cmp_ne_u16_sdwa s0, v60, v6 src0_sel:BYTE_1 src1_sel:DWORD
	s_and_saveexec_b32 s18, s0
	s_cbranch_execz .LBB184_538
; %bb.531:                              ;   in Loop: Header=BB184_487 Depth=1
	v_mov_b32_e32 v7, v6
	v_mov_b32_e32 v20, v8
	v_cmp_ne_u16_sdwa s0, v60, v44 src0_sel:BYTE_1 src1_sel:DWORD
	v_mov_b32_e32 v19, v7
	s_and_saveexec_b32 s21, s0
	s_cbranch_execz .LBB184_537
; %bb.532:                              ;   in Loop: Header=BB184_487 Depth=1
	v_and_b32_sdwa v5, v45, v60 dst_sel:DWORD dst_unused:UNUSED_PAD src0_sel:DWORD src1_sel:BYTE_1
	v_mov_b32_e32 v9, v6
	v_mov_b32_e32 v20, v10
	s_mov_b32 s22, exec_lo
	v_and_b32_e32 v21, 0x7f, v5
	v_mov_b32_e32 v19, v9
	v_cmpx_ne_u32_e32 0x7f, v21
	s_cbranch_execz .LBB184_536
; %bb.533:                              ;   in Loop: Header=BB184_487 Depth=1
	v_and_b32_e32 v5, 7, v5
	v_lshrrev_b32_e32 v7, 3, v21
	s_mov_b32 s26, exec_lo
	v_cmpx_gt_u32_e32 8, v21
; %bb.534:                              ;   in Loop: Header=BB184_487 Depth=1
	v_ffbh_u32_e32 v7, v5
	v_min_u32_e32 v7, 32, v7
	v_subrev_nc_u32_e32 v9, 28, v7
	v_sub_nc_u32_e32 v7, 29, v7
	v_lshlrev_b64 v[19:20], v9, v[5:6]
	v_and_b32_e32 v5, 7, v19
; %bb.535:                              ;   in Loop: Header=BB184_487 Depth=1
	s_or_b32 exec_lo, exec_lo, s26
	v_lshlrev_b32_e32 v9, 16, v60
	v_lshlrev_b32_e32 v5, 20, v5
	v_lshl_add_u32 v7, v7, 23, 0x3c000000
	v_mov_b32_e32 v19, v6
	v_and_b32_e32 v9, 0x80000000, v9
	v_or3_b32 v20, v5, v9, v7
.LBB184_536:                            ;   in Loop: Header=BB184_487 Depth=1
	s_or_b32 exec_lo, exec_lo, s22
.LBB184_537:                            ;   in Loop: Header=BB184_487 Depth=1
	s_or_b32 exec_lo, exec_lo, s21
.LBB184_538:                            ;   in Loop: Header=BB184_487 Depth=1
	s_or_b32 exec_lo, exec_lo, s18
	v_mov_b32_e32 v23, 0
	v_mov_b32_e32 v21, 0
	v_and_b32_sdwa v5, v60, v46 dst_sel:DWORD dst_unused:UNUSED_PAD src0_sel:WORD_1 src1_sel:DWORD
	v_mov_b32_e32 v24, 0
	v_mov_b32_e32 v22, 0
	s_mov_b32 s18, exec_lo
	v_cmpx_ne_u16_e32 0, v5
	s_cbranch_execz .LBB184_546
; %bb.539:                              ;   in Loop: Header=BB184_487 Depth=1
	v_bfrev_b32_e32 v21, 1
	v_mov_b32_e32 v22, 0
	s_mov_b32 s21, exec_lo
	v_cmpx_ne_u16_e32 0x80, v5
	s_cbranch_execz .LBB184_545
; %bb.540:                              ;   in Loop: Header=BB184_487 Depth=1
	v_mov_b32_e32 v21, 0x7f800001
	v_bfe_u32 v9, v60, 16, 7
	v_mov_b32_e32 v22, 0
	s_mov_b32 s22, exec_lo
	v_cmpx_ne_u32_e32 0x7f, v9
	s_cbranch_execz .LBB184_544
; %bb.541:                              ;   in Loop: Header=BB184_487 Depth=1
	v_and_b32_sdwa v5, v60, v47 dst_sel:DWORD dst_unused:UNUSED_PAD src0_sel:WORD_1 src1_sel:DWORD
	v_lshrrev_b32_e32 v7, 3, v9
	s_mov_b32 s26, exec_lo
	v_cmpx_gt_u32_e32 8, v9
; %bb.542:                              ;   in Loop: Header=BB184_487 Depth=1
	v_ffbh_u32_e32 v7, v5
	v_min_u32_e32 v7, 32, v7
	v_subrev_nc_u32_e32 v9, 28, v7
	v_sub_nc_u32_e32 v7, 29, v7
	v_lshlrev_b64 v[21:22], v9, v[5:6]
	v_and_b32_e32 v5, 7, v21
; %bb.543:                              ;   in Loop: Header=BB184_487 Depth=1
	s_or_b32 exec_lo, exec_lo, s26
	v_lshlrev_b32_sdwa v9, v48, v60 dst_sel:DWORD dst_unused:UNUSED_PAD src0_sel:DWORD src1_sel:WORD_1
	v_lshlrev_b32_e32 v5, 20, v5
	v_lshl_add_u32 v7, v7, 23, 0x3c000000
	v_and_b32_e32 v9, 0x80000000, v9
	v_or3_b32 v5, v5, v9, v7
	v_mov_b32_e32 v22, v6
	v_mov_b32_e32 v21, v5
.LBB184_544:                            ;   in Loop: Header=BB184_487 Depth=1
	s_or_b32 exec_lo, exec_lo, s22
.LBB184_545:                            ;   in Loop: Header=BB184_487 Depth=1
	s_or_b32 exec_lo, exec_lo, s21
.LBB184_546:                            ;   in Loop: Header=BB184_487 Depth=1
	s_or_b32 exec_lo, exec_lo, s18
	s_mov_b32 s18, exec_lo
	v_cmpx_lt_u32_e32 0xffffff, v60
	s_cbranch_execz .LBB184_554
; %bb.547:                              ;   in Loop: Header=BB184_487 Depth=1
	v_mov_b32_e32 v7, v6
	v_mov_b32_e32 v24, v8
	v_cmp_ne_u32_sdwa s0, v60, v44 src0_sel:BYTE_3 src1_sel:DWORD
	v_mov_b32_e32 v23, v7
	s_and_saveexec_b32 s21, s0
	s_cbranch_execz .LBB184_553
; %bb.548:                              ;   in Loop: Header=BB184_487 Depth=1
	v_mov_b32_e32 v9, v6
	v_mov_b32_e32 v24, v10
	v_bfe_u32 v61, v60, 24, 7
	s_mov_b32 s22, exec_lo
	v_mov_b32_e32 v23, v9
	v_cmpx_ne_u32_e32 0x7f, v61
	s_cbranch_execz .LBB184_552
; %bb.549:                              ;   in Loop: Header=BB184_487 Depth=1
	v_and_b32_sdwa v5, v60, v47 dst_sel:DWORD dst_unused:UNUSED_PAD src0_sel:BYTE_3 src1_sel:DWORD
	v_lshrrev_b32_e32 v7, 3, v61
	s_mov_b32 s26, exec_lo
	v_cmpx_gt_u32_e32 8, v61
; %bb.550:                              ;   in Loop: Header=BB184_487 Depth=1
	v_ffbh_u32_e32 v7, v5
	v_min_u32_e32 v7, 32, v7
	v_subrev_nc_u32_e32 v9, 28, v7
	v_sub_nc_u32_e32 v7, 29, v7
	v_lshlrev_b64 v[23:24], v9, v[5:6]
	v_and_b32_e32 v5, 7, v23
; %bb.551:                              ;   in Loop: Header=BB184_487 Depth=1
	s_or_b32 exec_lo, exec_lo, s26
	v_lshlrev_b32_sdwa v9, v48, v60 dst_sel:DWORD dst_unused:UNUSED_PAD src0_sel:DWORD src1_sel:BYTE_3
	v_lshlrev_b32_e32 v5, 20, v5
	v_lshl_add_u32 v7, v7, 23, 0x3c000000
	v_mov_b32_e32 v23, v6
	v_and_b32_e32 v9, 0x80000000, v9
	v_or3_b32 v24, v5, v9, v7
.LBB184_552:                            ;   in Loop: Header=BB184_487 Depth=1
	s_or_b32 exec_lo, exec_lo, s22
.LBB184_553:                            ;   in Loop: Header=BB184_487 Depth=1
	s_or_b32 exec_lo, exec_lo, s21
.LBB184_554:                            ;   in Loop: Header=BB184_487 Depth=1
	s_or_b32 exec_lo, exec_lo, s18
	v_or_b32_e32 v5, v20, v18
	v_or_b32_e32 v7, v19, v17
	;; [unrolled: 1-line block ×4, first 2 shown]
	s_mov_b32 s18, s17
	v_mul_f32_e32 v62, s18, v5
	v_mul_f32_e32 v63, s17, v7
	;; [unrolled: 1-line block ×4, first 2 shown]
	s_and_saveexec_b32 s21, vcc_lo
	s_cbranch_execz .LBB184_556
; %bb.555:                              ;   in Loop: Header=BB184_487 Depth=1
	v_cmp_gt_i32_e64 s0, s33, v56
	v_cndmask_b32_e64 v63, 0, v63, s0
	v_cmp_gt_i32_e64 s0, s33, v59
	v_cndmask_b32_e64 v62, 0, v62, s0
	;; [unrolled: 2-line block ×4, first 2 shown]
.LBB184_556:                            ;   in Loop: Header=BB184_487 Depth=1
	s_or_b32 exec_lo, exec_lo, s21
	global_load_dword v64, v[15:16], off offset:256
	v_mov_b32_e32 v19, 0
	v_mov_b32_e32 v17, 0
	;; [unrolled: 1-line block ×4, first 2 shown]
	s_waitcnt vmcnt(0)
	v_cmp_ne_u16_sdwa s0, v64, v6 src0_sel:BYTE_0 src1_sel:DWORD
	s_and_saveexec_b32 s21, s0
	s_cbranch_execz .LBB184_564
; %bb.557:                              ;   in Loop: Header=BB184_487 Depth=1
	v_bfrev_b32_e32 v17, 1
	v_mov_b32_e32 v18, 0
	v_cmp_ne_u16_sdwa s0, v64, v44 src0_sel:BYTE_0 src1_sel:DWORD
	s_and_saveexec_b32 s22, s0
	s_cbranch_execz .LBB184_563
; %bb.558:                              ;   in Loop: Header=BB184_487 Depth=1
	v_mov_b32_e32 v17, 0x7f800001
	v_and_b32_e32 v9, 0x7f, v64
	v_mov_b32_e32 v18, 0
	s_mov_b32 s26, exec_lo
	v_cmpx_ne_u32_e32 0x7f, v9
	s_cbranch_execz .LBB184_562
; %bb.559:                              ;   in Loop: Header=BB184_487 Depth=1
	v_and_b32_e32 v5, 7, v64
	v_lshrrev_b32_e32 v7, 3, v9
	s_mov_b32 s27, exec_lo
	v_cmpx_gt_u32_e32 8, v9
; %bb.560:                              ;   in Loop: Header=BB184_487 Depth=1
	v_ffbh_u32_e32 v7, v5
	v_min_u32_e32 v7, 32, v7
	v_subrev_nc_u32_e32 v9, 28, v7
	v_sub_nc_u32_e32 v7, 29, v7
	v_lshlrev_b64 v[17:18], v9, v[5:6]
	v_and_b32_e32 v5, 7, v17
; %bb.561:                              ;   in Loop: Header=BB184_487 Depth=1
	s_or_b32 exec_lo, exec_lo, s27
	v_lshlrev_b32_e32 v9, 24, v64
	v_lshlrev_b32_e32 v5, 20, v5
	v_lshl_add_u32 v7, v7, 23, 0x3c000000
	v_and_b32_e32 v9, 0x80000000, v9
	v_or3_b32 v5, v5, v9, v7
	v_mov_b32_e32 v18, v6
	v_mov_b32_e32 v17, v5
.LBB184_562:                            ;   in Loop: Header=BB184_487 Depth=1
	s_or_b32 exec_lo, exec_lo, s26
.LBB184_563:                            ;   in Loop: Header=BB184_487 Depth=1
	s_or_b32 exec_lo, exec_lo, s22
.LBB184_564:                            ;   in Loop: Header=BB184_487 Depth=1
	s_or_b32 exec_lo, exec_lo, s21
	v_cmp_ne_u16_sdwa s0, v64, v6 src0_sel:BYTE_1 src1_sel:DWORD
	s_and_saveexec_b32 s21, s0
	s_cbranch_execz .LBB184_572
; %bb.565:                              ;   in Loop: Header=BB184_487 Depth=1
	v_mov_b32_e32 v7, v6
	v_mov_b32_e32 v20, v8
	v_cmp_ne_u16_sdwa s0, v64, v44 src0_sel:BYTE_1 src1_sel:DWORD
	v_mov_b32_e32 v19, v7
	s_and_saveexec_b32 s22, s0
	s_cbranch_execz .LBB184_571
; %bb.566:                              ;   in Loop: Header=BB184_487 Depth=1
	v_and_b32_sdwa v5, v45, v64 dst_sel:DWORD dst_unused:UNUSED_PAD src0_sel:DWORD src1_sel:BYTE_1
	v_mov_b32_e32 v9, v6
	v_mov_b32_e32 v20, v10
	s_mov_b32 s26, exec_lo
	v_and_b32_e32 v21, 0x7f, v5
	v_mov_b32_e32 v19, v9
	v_cmpx_ne_u32_e32 0x7f, v21
	s_cbranch_execz .LBB184_570
; %bb.567:                              ;   in Loop: Header=BB184_487 Depth=1
	v_and_b32_e32 v5, 7, v5
	v_lshrrev_b32_e32 v7, 3, v21
	s_mov_b32 s27, exec_lo
	v_cmpx_gt_u32_e32 8, v21
; %bb.568:                              ;   in Loop: Header=BB184_487 Depth=1
	v_ffbh_u32_e32 v7, v5
	v_min_u32_e32 v7, 32, v7
	v_subrev_nc_u32_e32 v9, 28, v7
	v_sub_nc_u32_e32 v7, 29, v7
	v_lshlrev_b64 v[19:20], v9, v[5:6]
	v_and_b32_e32 v5, 7, v19
; %bb.569:                              ;   in Loop: Header=BB184_487 Depth=1
	s_or_b32 exec_lo, exec_lo, s27
	v_lshlrev_b32_e32 v9, 16, v64
	v_lshlrev_b32_e32 v5, 20, v5
	v_lshl_add_u32 v7, v7, 23, 0x3c000000
	v_mov_b32_e32 v19, v6
	v_and_b32_e32 v9, 0x80000000, v9
	v_or3_b32 v20, v5, v9, v7
.LBB184_570:                            ;   in Loop: Header=BB184_487 Depth=1
	s_or_b32 exec_lo, exec_lo, s26
.LBB184_571:                            ;   in Loop: Header=BB184_487 Depth=1
	s_or_b32 exec_lo, exec_lo, s22
.LBB184_572:                            ;   in Loop: Header=BB184_487 Depth=1
	s_or_b32 exec_lo, exec_lo, s21
	v_mov_b32_e32 v23, 0
	v_mov_b32_e32 v21, 0
	v_and_b32_sdwa v5, v64, v46 dst_sel:DWORD dst_unused:UNUSED_PAD src0_sel:WORD_1 src1_sel:DWORD
	v_mov_b32_e32 v24, 0
	v_mov_b32_e32 v22, 0
	s_mov_b32 s21, exec_lo
	v_cmpx_ne_u16_e32 0, v5
	s_cbranch_execz .LBB184_580
; %bb.573:                              ;   in Loop: Header=BB184_487 Depth=1
	v_bfrev_b32_e32 v21, 1
	v_mov_b32_e32 v22, 0
	s_mov_b32 s22, exec_lo
	v_cmpx_ne_u16_e32 0x80, v5
	s_cbranch_execz .LBB184_579
; %bb.574:                              ;   in Loop: Header=BB184_487 Depth=1
	v_mov_b32_e32 v21, 0x7f800001
	v_bfe_u32 v9, v64, 16, 7
	v_mov_b32_e32 v22, 0
	s_mov_b32 s26, exec_lo
	v_cmpx_ne_u32_e32 0x7f, v9
	s_cbranch_execz .LBB184_578
; %bb.575:                              ;   in Loop: Header=BB184_487 Depth=1
	v_and_b32_sdwa v5, v64, v47 dst_sel:DWORD dst_unused:UNUSED_PAD src0_sel:WORD_1 src1_sel:DWORD
	v_lshrrev_b32_e32 v7, 3, v9
	s_mov_b32 s27, exec_lo
	v_cmpx_gt_u32_e32 8, v9
; %bb.576:                              ;   in Loop: Header=BB184_487 Depth=1
	v_ffbh_u32_e32 v7, v5
	v_min_u32_e32 v7, 32, v7
	v_subrev_nc_u32_e32 v9, 28, v7
	v_sub_nc_u32_e32 v7, 29, v7
	v_lshlrev_b64 v[21:22], v9, v[5:6]
	v_and_b32_e32 v5, 7, v21
; %bb.577:                              ;   in Loop: Header=BB184_487 Depth=1
	s_or_b32 exec_lo, exec_lo, s27
	v_lshlrev_b32_sdwa v9, v48, v64 dst_sel:DWORD dst_unused:UNUSED_PAD src0_sel:DWORD src1_sel:WORD_1
	v_lshlrev_b32_e32 v5, 20, v5
	v_lshl_add_u32 v7, v7, 23, 0x3c000000
	v_and_b32_e32 v9, 0x80000000, v9
	v_or3_b32 v5, v5, v9, v7
	v_mov_b32_e32 v22, v6
	v_mov_b32_e32 v21, v5
.LBB184_578:                            ;   in Loop: Header=BB184_487 Depth=1
	s_or_b32 exec_lo, exec_lo, s26
.LBB184_579:                            ;   in Loop: Header=BB184_487 Depth=1
	s_or_b32 exec_lo, exec_lo, s22
.LBB184_580:                            ;   in Loop: Header=BB184_487 Depth=1
	s_or_b32 exec_lo, exec_lo, s21
	s_mov_b32 s21, exec_lo
	v_cmpx_lt_u32_e32 0xffffff, v64
	s_cbranch_execz .LBB184_588
; %bb.581:                              ;   in Loop: Header=BB184_487 Depth=1
	v_mov_b32_e32 v7, v6
	v_mov_b32_e32 v24, v8
	v_cmp_ne_u32_sdwa s0, v64, v44 src0_sel:BYTE_3 src1_sel:DWORD
	v_mov_b32_e32 v23, v7
	s_and_saveexec_b32 s22, s0
	s_cbranch_execz .LBB184_587
; %bb.582:                              ;   in Loop: Header=BB184_487 Depth=1
	v_mov_b32_e32 v9, v6
	v_mov_b32_e32 v24, v10
	v_bfe_u32 v65, v64, 24, 7
	s_mov_b32 s26, exec_lo
	v_mov_b32_e32 v23, v9
	v_cmpx_ne_u32_e32 0x7f, v65
	s_cbranch_execz .LBB184_586
; %bb.583:                              ;   in Loop: Header=BB184_487 Depth=1
	v_and_b32_sdwa v5, v64, v47 dst_sel:DWORD dst_unused:UNUSED_PAD src0_sel:BYTE_3 src1_sel:DWORD
	v_lshrrev_b32_e32 v7, 3, v65
	s_mov_b32 s27, exec_lo
	v_cmpx_gt_u32_e32 8, v65
; %bb.584:                              ;   in Loop: Header=BB184_487 Depth=1
	v_ffbh_u32_e32 v7, v5
	v_min_u32_e32 v7, 32, v7
	v_subrev_nc_u32_e32 v9, 28, v7
	v_sub_nc_u32_e32 v7, 29, v7
	v_lshlrev_b64 v[23:24], v9, v[5:6]
	v_and_b32_e32 v5, 7, v23
; %bb.585:                              ;   in Loop: Header=BB184_487 Depth=1
	s_or_b32 exec_lo, exec_lo, s27
	v_lshlrev_b32_sdwa v9, v48, v64 dst_sel:DWORD dst_unused:UNUSED_PAD src0_sel:DWORD src1_sel:BYTE_3
	v_lshlrev_b32_e32 v5, 20, v5
	v_lshl_add_u32 v7, v7, 23, 0x3c000000
	v_mov_b32_e32 v23, v6
	v_and_b32_e32 v9, 0x80000000, v9
	v_or3_b32 v24, v5, v9, v7
.LBB184_586:                            ;   in Loop: Header=BB184_487 Depth=1
	s_or_b32 exec_lo, exec_lo, s26
.LBB184_587:                            ;   in Loop: Header=BB184_487 Depth=1
	s_or_b32 exec_lo, exec_lo, s22
.LBB184_588:                            ;   in Loop: Header=BB184_487 Depth=1
	s_or_b32 exec_lo, exec_lo, s21
	v_or_b32_e32 v5, v20, v18
	v_or_b32_e32 v7, v19, v17
	;; [unrolled: 1-line block ×4, first 2 shown]
	v_mul_f32_e32 v66, s18, v5
	v_mul_f32_e32 v67, s17, v7
	;; [unrolled: 1-line block ×4, first 2 shown]
	s_and_saveexec_b32 s21, vcc_lo
	s_cbranch_execz .LBB184_590
; %bb.589:                              ;   in Loop: Header=BB184_487 Depth=1
	v_cmp_gt_i32_e64 s0, s33, v56
	v_cndmask_b32_e64 v67, 0, v67, s0
	v_cmp_gt_i32_e64 s0, s33, v59
	v_cndmask_b32_e64 v66, 0, v66, s0
	;; [unrolled: 2-line block ×4, first 2 shown]
.LBB184_590:                            ;   in Loop: Header=BB184_487 Depth=1
	s_or_b32 exec_lo, exec_lo, s21
	global_load_dword v68, v[15:16], off offset:384
	v_mov_b32_e32 v19, 0
	v_mov_b32_e32 v17, 0
	;; [unrolled: 1-line block ×4, first 2 shown]
	s_waitcnt vmcnt(0)
	v_cmp_ne_u16_sdwa s0, v68, v6 src0_sel:BYTE_0 src1_sel:DWORD
	s_and_saveexec_b32 s21, s0
	s_cbranch_execz .LBB184_598
; %bb.591:                              ;   in Loop: Header=BB184_487 Depth=1
	v_bfrev_b32_e32 v17, 1
	v_mov_b32_e32 v18, 0
	v_cmp_ne_u16_sdwa s0, v68, v44 src0_sel:BYTE_0 src1_sel:DWORD
	s_and_saveexec_b32 s22, s0
	s_cbranch_execz .LBB184_597
; %bb.592:                              ;   in Loop: Header=BB184_487 Depth=1
	v_mov_b32_e32 v17, 0x7f800001
	v_and_b32_e32 v9, 0x7f, v68
	v_mov_b32_e32 v18, 0
	s_mov_b32 s26, exec_lo
	v_cmpx_ne_u32_e32 0x7f, v9
	s_cbranch_execz .LBB184_596
; %bb.593:                              ;   in Loop: Header=BB184_487 Depth=1
	v_and_b32_e32 v5, 7, v68
	v_lshrrev_b32_e32 v7, 3, v9
	s_mov_b32 s27, exec_lo
	v_cmpx_gt_u32_e32 8, v9
; %bb.594:                              ;   in Loop: Header=BB184_487 Depth=1
	v_ffbh_u32_e32 v7, v5
	v_min_u32_e32 v7, 32, v7
	v_subrev_nc_u32_e32 v9, 28, v7
	v_sub_nc_u32_e32 v7, 29, v7
	v_lshlrev_b64 v[17:18], v9, v[5:6]
	v_and_b32_e32 v5, 7, v17
; %bb.595:                              ;   in Loop: Header=BB184_487 Depth=1
	s_or_b32 exec_lo, exec_lo, s27
	v_lshlrev_b32_e32 v9, 24, v68
	v_lshlrev_b32_e32 v5, 20, v5
	v_lshl_add_u32 v7, v7, 23, 0x3c000000
	v_and_b32_e32 v9, 0x80000000, v9
	v_or3_b32 v5, v5, v9, v7
	v_mov_b32_e32 v18, v6
	v_mov_b32_e32 v17, v5
.LBB184_596:                            ;   in Loop: Header=BB184_487 Depth=1
	s_or_b32 exec_lo, exec_lo, s26
.LBB184_597:                            ;   in Loop: Header=BB184_487 Depth=1
	s_or_b32 exec_lo, exec_lo, s22
.LBB184_598:                            ;   in Loop: Header=BB184_487 Depth=1
	s_or_b32 exec_lo, exec_lo, s21
	v_cmp_ne_u16_sdwa s0, v68, v6 src0_sel:BYTE_1 src1_sel:DWORD
	s_and_saveexec_b32 s21, s0
	s_cbranch_execz .LBB184_606
; %bb.599:                              ;   in Loop: Header=BB184_487 Depth=1
	v_mov_b32_e32 v7, v6
	v_mov_b32_e32 v20, v8
	v_cmp_ne_u16_sdwa s0, v68, v44 src0_sel:BYTE_1 src1_sel:DWORD
	v_mov_b32_e32 v19, v7
	s_and_saveexec_b32 s22, s0
	s_cbranch_execz .LBB184_605
; %bb.600:                              ;   in Loop: Header=BB184_487 Depth=1
	v_and_b32_sdwa v5, v45, v68 dst_sel:DWORD dst_unused:UNUSED_PAD src0_sel:DWORD src1_sel:BYTE_1
	v_mov_b32_e32 v9, v6
	v_mov_b32_e32 v20, v10
	s_mov_b32 s26, exec_lo
	v_and_b32_e32 v21, 0x7f, v5
	v_mov_b32_e32 v19, v9
	v_cmpx_ne_u32_e32 0x7f, v21
	s_cbranch_execz .LBB184_604
; %bb.601:                              ;   in Loop: Header=BB184_487 Depth=1
	v_and_b32_e32 v5, 7, v5
	v_lshrrev_b32_e32 v7, 3, v21
	s_mov_b32 s27, exec_lo
	v_cmpx_gt_u32_e32 8, v21
; %bb.602:                              ;   in Loop: Header=BB184_487 Depth=1
	v_ffbh_u32_e32 v7, v5
	v_min_u32_e32 v7, 32, v7
	v_subrev_nc_u32_e32 v9, 28, v7
	v_sub_nc_u32_e32 v7, 29, v7
	v_lshlrev_b64 v[19:20], v9, v[5:6]
	v_and_b32_e32 v5, 7, v19
; %bb.603:                              ;   in Loop: Header=BB184_487 Depth=1
	s_or_b32 exec_lo, exec_lo, s27
	v_lshlrev_b32_e32 v9, 16, v68
	v_lshlrev_b32_e32 v5, 20, v5
	v_lshl_add_u32 v7, v7, 23, 0x3c000000
	v_mov_b32_e32 v19, v6
	v_and_b32_e32 v9, 0x80000000, v9
	v_or3_b32 v20, v5, v9, v7
.LBB184_604:                            ;   in Loop: Header=BB184_487 Depth=1
	s_or_b32 exec_lo, exec_lo, s26
.LBB184_605:                            ;   in Loop: Header=BB184_487 Depth=1
	s_or_b32 exec_lo, exec_lo, s22
.LBB184_606:                            ;   in Loop: Header=BB184_487 Depth=1
	s_or_b32 exec_lo, exec_lo, s21
	v_mov_b32_e32 v23, 0
	v_mov_b32_e32 v21, 0
	v_and_b32_sdwa v5, v68, v46 dst_sel:DWORD dst_unused:UNUSED_PAD src0_sel:WORD_1 src1_sel:DWORD
	v_mov_b32_e32 v24, 0
	v_mov_b32_e32 v22, 0
	s_mov_b32 s21, exec_lo
	v_cmpx_ne_u16_e32 0, v5
	s_cbranch_execz .LBB184_614
; %bb.607:                              ;   in Loop: Header=BB184_487 Depth=1
	v_bfrev_b32_e32 v21, 1
	v_mov_b32_e32 v22, 0
	s_mov_b32 s22, exec_lo
	v_cmpx_ne_u16_e32 0x80, v5
	s_cbranch_execz .LBB184_613
; %bb.608:                              ;   in Loop: Header=BB184_487 Depth=1
	v_mov_b32_e32 v21, 0x7f800001
	v_bfe_u32 v9, v68, 16, 7
	v_mov_b32_e32 v22, 0
	s_mov_b32 s26, exec_lo
	v_cmpx_ne_u32_e32 0x7f, v9
	s_cbranch_execz .LBB184_612
; %bb.609:                              ;   in Loop: Header=BB184_487 Depth=1
	v_and_b32_sdwa v5, v68, v47 dst_sel:DWORD dst_unused:UNUSED_PAD src0_sel:WORD_1 src1_sel:DWORD
	v_lshrrev_b32_e32 v7, 3, v9
	s_mov_b32 s27, exec_lo
	v_cmpx_gt_u32_e32 8, v9
; %bb.610:                              ;   in Loop: Header=BB184_487 Depth=1
	v_ffbh_u32_e32 v7, v5
	v_min_u32_e32 v7, 32, v7
	v_subrev_nc_u32_e32 v9, 28, v7
	v_sub_nc_u32_e32 v7, 29, v7
	v_lshlrev_b64 v[21:22], v9, v[5:6]
	v_and_b32_e32 v5, 7, v21
; %bb.611:                              ;   in Loop: Header=BB184_487 Depth=1
	s_or_b32 exec_lo, exec_lo, s27
	v_lshlrev_b32_sdwa v9, v48, v68 dst_sel:DWORD dst_unused:UNUSED_PAD src0_sel:DWORD src1_sel:WORD_1
	v_lshlrev_b32_e32 v5, 20, v5
	v_lshl_add_u32 v7, v7, 23, 0x3c000000
	v_and_b32_e32 v9, 0x80000000, v9
	v_or3_b32 v5, v5, v9, v7
	v_mov_b32_e32 v22, v6
	v_mov_b32_e32 v21, v5
.LBB184_612:                            ;   in Loop: Header=BB184_487 Depth=1
	s_or_b32 exec_lo, exec_lo, s26
.LBB184_613:                            ;   in Loop: Header=BB184_487 Depth=1
	s_or_b32 exec_lo, exec_lo, s22
.LBB184_614:                            ;   in Loop: Header=BB184_487 Depth=1
	s_or_b32 exec_lo, exec_lo, s21
	s_mov_b32 s21, exec_lo
	v_cmpx_lt_u32_e32 0xffffff, v68
	s_cbranch_execz .LBB184_622
; %bb.615:                              ;   in Loop: Header=BB184_487 Depth=1
	v_mov_b32_e32 v7, v6
	v_mov_b32_e32 v24, v8
	v_cmp_ne_u32_sdwa s0, v68, v44 src0_sel:BYTE_3 src1_sel:DWORD
	v_mov_b32_e32 v23, v7
	s_and_saveexec_b32 s22, s0
	s_cbranch_execz .LBB184_621
; %bb.616:                              ;   in Loop: Header=BB184_487 Depth=1
	v_mov_b32_e32 v9, v6
	v_mov_b32_e32 v24, v10
	v_bfe_u32 v69, v68, 24, 7
	s_mov_b32 s26, exec_lo
	v_mov_b32_e32 v23, v9
	v_cmpx_ne_u32_e32 0x7f, v69
	s_cbranch_execz .LBB184_620
; %bb.617:                              ;   in Loop: Header=BB184_487 Depth=1
	v_and_b32_sdwa v5, v68, v47 dst_sel:DWORD dst_unused:UNUSED_PAD src0_sel:BYTE_3 src1_sel:DWORD
	v_lshrrev_b32_e32 v7, 3, v69
	s_mov_b32 s27, exec_lo
	v_cmpx_gt_u32_e32 8, v69
; %bb.618:                              ;   in Loop: Header=BB184_487 Depth=1
	v_ffbh_u32_e32 v7, v5
	v_min_u32_e32 v7, 32, v7
	v_subrev_nc_u32_e32 v9, 28, v7
	v_sub_nc_u32_e32 v7, 29, v7
	v_lshlrev_b64 v[23:24], v9, v[5:6]
	v_and_b32_e32 v5, 7, v23
; %bb.619:                              ;   in Loop: Header=BB184_487 Depth=1
	s_or_b32 exec_lo, exec_lo, s27
	v_lshlrev_b32_sdwa v9, v48, v68 dst_sel:DWORD dst_unused:UNUSED_PAD src0_sel:DWORD src1_sel:BYTE_3
	v_lshlrev_b32_e32 v5, 20, v5
	v_lshl_add_u32 v7, v7, 23, 0x3c000000
	v_mov_b32_e32 v23, v6
	v_and_b32_e32 v9, 0x80000000, v9
	v_or3_b32 v24, v5, v9, v7
.LBB184_620:                            ;   in Loop: Header=BB184_487 Depth=1
	s_or_b32 exec_lo, exec_lo, s26
.LBB184_621:                            ;   in Loop: Header=BB184_487 Depth=1
	s_or_b32 exec_lo, exec_lo, s22
.LBB184_622:                            ;   in Loop: Header=BB184_487 Depth=1
	s_or_b32 exec_lo, exec_lo, s21
	v_or_b32_e32 v5, v20, v18
	v_or_b32_e32 v7, v19, v17
	;; [unrolled: 1-line block ×4, first 2 shown]
	v_mul_f32_e32 v70, s18, v5
	v_mul_f32_e32 v71, s17, v7
	;; [unrolled: 1-line block ×4, first 2 shown]
	s_and_saveexec_b32 s21, vcc_lo
	s_cbranch_execz .LBB184_624
; %bb.623:                              ;   in Loop: Header=BB184_487 Depth=1
	v_cmp_gt_i32_e64 s0, s33, v56
	v_cndmask_b32_e64 v71, 0, v71, s0
	v_cmp_gt_i32_e64 s0, s33, v59
	v_cndmask_b32_e64 v70, 0, v70, s0
	;; [unrolled: 2-line block ×4, first 2 shown]
.LBB184_624:                            ;   in Loop: Header=BB184_487 Depth=1
	s_or_b32 exec_lo, exec_lo, s21
	global_load_dword v72, v[15:16], off offset:512
	v_mov_b32_e32 v19, 0
	v_mov_b32_e32 v17, 0
	;; [unrolled: 1-line block ×4, first 2 shown]
	s_waitcnt vmcnt(0)
	v_cmp_ne_u16_sdwa s0, v72, v6 src0_sel:BYTE_0 src1_sel:DWORD
	s_and_saveexec_b32 s21, s0
	s_cbranch_execz .LBB184_632
; %bb.625:                              ;   in Loop: Header=BB184_487 Depth=1
	v_bfrev_b32_e32 v17, 1
	v_mov_b32_e32 v18, 0
	v_cmp_ne_u16_sdwa s0, v72, v44 src0_sel:BYTE_0 src1_sel:DWORD
	s_and_saveexec_b32 s22, s0
	s_cbranch_execz .LBB184_631
; %bb.626:                              ;   in Loop: Header=BB184_487 Depth=1
	v_mov_b32_e32 v17, 0x7f800001
	v_and_b32_e32 v9, 0x7f, v72
	v_mov_b32_e32 v18, 0
	s_mov_b32 s26, exec_lo
	v_cmpx_ne_u32_e32 0x7f, v9
	s_cbranch_execz .LBB184_630
; %bb.627:                              ;   in Loop: Header=BB184_487 Depth=1
	v_and_b32_e32 v5, 7, v72
	v_lshrrev_b32_e32 v7, 3, v9
	s_mov_b32 s27, exec_lo
	v_cmpx_gt_u32_e32 8, v9
; %bb.628:                              ;   in Loop: Header=BB184_487 Depth=1
	v_ffbh_u32_e32 v7, v5
	v_min_u32_e32 v7, 32, v7
	v_subrev_nc_u32_e32 v9, 28, v7
	v_sub_nc_u32_e32 v7, 29, v7
	v_lshlrev_b64 v[17:18], v9, v[5:6]
	v_and_b32_e32 v5, 7, v17
; %bb.629:                              ;   in Loop: Header=BB184_487 Depth=1
	s_or_b32 exec_lo, exec_lo, s27
	v_lshlrev_b32_e32 v9, 24, v72
	v_lshlrev_b32_e32 v5, 20, v5
	v_lshl_add_u32 v7, v7, 23, 0x3c000000
	v_and_b32_e32 v9, 0x80000000, v9
	v_or3_b32 v5, v5, v9, v7
	v_mov_b32_e32 v18, v6
	v_mov_b32_e32 v17, v5
.LBB184_630:                            ;   in Loop: Header=BB184_487 Depth=1
	s_or_b32 exec_lo, exec_lo, s26
.LBB184_631:                            ;   in Loop: Header=BB184_487 Depth=1
	s_or_b32 exec_lo, exec_lo, s22
.LBB184_632:                            ;   in Loop: Header=BB184_487 Depth=1
	s_or_b32 exec_lo, exec_lo, s21
	v_cmp_ne_u16_sdwa s0, v72, v6 src0_sel:BYTE_1 src1_sel:DWORD
	s_and_saveexec_b32 s21, s0
	s_cbranch_execz .LBB184_640
; %bb.633:                              ;   in Loop: Header=BB184_487 Depth=1
	v_mov_b32_e32 v7, v6
	v_mov_b32_e32 v20, v8
	v_cmp_ne_u16_sdwa s0, v72, v44 src0_sel:BYTE_1 src1_sel:DWORD
	v_mov_b32_e32 v19, v7
	s_and_saveexec_b32 s22, s0
	s_cbranch_execz .LBB184_639
; %bb.634:                              ;   in Loop: Header=BB184_487 Depth=1
	v_and_b32_sdwa v5, v45, v72 dst_sel:DWORD dst_unused:UNUSED_PAD src0_sel:DWORD src1_sel:BYTE_1
	v_mov_b32_e32 v9, v6
	v_mov_b32_e32 v20, v10
	s_mov_b32 s26, exec_lo
	v_and_b32_e32 v21, 0x7f, v5
	v_mov_b32_e32 v19, v9
	v_cmpx_ne_u32_e32 0x7f, v21
	s_cbranch_execz .LBB184_638
; %bb.635:                              ;   in Loop: Header=BB184_487 Depth=1
	v_and_b32_e32 v5, 7, v5
	v_lshrrev_b32_e32 v7, 3, v21
	s_mov_b32 s27, exec_lo
	v_cmpx_gt_u32_e32 8, v21
; %bb.636:                              ;   in Loop: Header=BB184_487 Depth=1
	v_ffbh_u32_e32 v7, v5
	v_min_u32_e32 v7, 32, v7
	v_subrev_nc_u32_e32 v9, 28, v7
	v_sub_nc_u32_e32 v7, 29, v7
	v_lshlrev_b64 v[19:20], v9, v[5:6]
	v_and_b32_e32 v5, 7, v19
; %bb.637:                              ;   in Loop: Header=BB184_487 Depth=1
	s_or_b32 exec_lo, exec_lo, s27
	v_lshlrev_b32_e32 v9, 16, v72
	v_lshlrev_b32_e32 v5, 20, v5
	v_lshl_add_u32 v7, v7, 23, 0x3c000000
	v_mov_b32_e32 v19, v6
	v_and_b32_e32 v9, 0x80000000, v9
	v_or3_b32 v20, v5, v9, v7
.LBB184_638:                            ;   in Loop: Header=BB184_487 Depth=1
	s_or_b32 exec_lo, exec_lo, s26
.LBB184_639:                            ;   in Loop: Header=BB184_487 Depth=1
	s_or_b32 exec_lo, exec_lo, s22
.LBB184_640:                            ;   in Loop: Header=BB184_487 Depth=1
	s_or_b32 exec_lo, exec_lo, s21
	v_mov_b32_e32 v23, 0
	v_mov_b32_e32 v21, 0
	v_and_b32_sdwa v5, v72, v46 dst_sel:DWORD dst_unused:UNUSED_PAD src0_sel:WORD_1 src1_sel:DWORD
	v_mov_b32_e32 v24, 0
	v_mov_b32_e32 v22, 0
	s_mov_b32 s21, exec_lo
	v_cmpx_ne_u16_e32 0, v5
	s_cbranch_execz .LBB184_648
; %bb.641:                              ;   in Loop: Header=BB184_487 Depth=1
	v_bfrev_b32_e32 v21, 1
	v_mov_b32_e32 v22, 0
	s_mov_b32 s22, exec_lo
	v_cmpx_ne_u16_e32 0x80, v5
	s_cbranch_execz .LBB184_647
; %bb.642:                              ;   in Loop: Header=BB184_487 Depth=1
	v_mov_b32_e32 v21, 0x7f800001
	v_bfe_u32 v9, v72, 16, 7
	v_mov_b32_e32 v22, 0
	s_mov_b32 s26, exec_lo
	v_cmpx_ne_u32_e32 0x7f, v9
	s_cbranch_execz .LBB184_646
; %bb.643:                              ;   in Loop: Header=BB184_487 Depth=1
	v_and_b32_sdwa v5, v72, v47 dst_sel:DWORD dst_unused:UNUSED_PAD src0_sel:WORD_1 src1_sel:DWORD
	v_lshrrev_b32_e32 v7, 3, v9
	s_mov_b32 s27, exec_lo
	v_cmpx_gt_u32_e32 8, v9
; %bb.644:                              ;   in Loop: Header=BB184_487 Depth=1
	v_ffbh_u32_e32 v7, v5
	v_min_u32_e32 v7, 32, v7
	v_subrev_nc_u32_e32 v9, 28, v7
	v_sub_nc_u32_e32 v7, 29, v7
	v_lshlrev_b64 v[21:22], v9, v[5:6]
	v_and_b32_e32 v5, 7, v21
; %bb.645:                              ;   in Loop: Header=BB184_487 Depth=1
	s_or_b32 exec_lo, exec_lo, s27
	v_lshlrev_b32_sdwa v9, v48, v72 dst_sel:DWORD dst_unused:UNUSED_PAD src0_sel:DWORD src1_sel:WORD_1
	v_lshlrev_b32_e32 v5, 20, v5
	v_lshl_add_u32 v7, v7, 23, 0x3c000000
	v_and_b32_e32 v9, 0x80000000, v9
	v_or3_b32 v5, v5, v9, v7
	v_mov_b32_e32 v22, v6
	v_mov_b32_e32 v21, v5
.LBB184_646:                            ;   in Loop: Header=BB184_487 Depth=1
	s_or_b32 exec_lo, exec_lo, s26
.LBB184_647:                            ;   in Loop: Header=BB184_487 Depth=1
	s_or_b32 exec_lo, exec_lo, s22
.LBB184_648:                            ;   in Loop: Header=BB184_487 Depth=1
	s_or_b32 exec_lo, exec_lo, s21
	s_mov_b32 s21, exec_lo
	v_cmpx_lt_u32_e32 0xffffff, v72
	s_cbranch_execz .LBB184_656
; %bb.649:                              ;   in Loop: Header=BB184_487 Depth=1
	v_mov_b32_e32 v7, v6
	v_mov_b32_e32 v24, v8
	v_cmp_ne_u32_sdwa s0, v72, v44 src0_sel:BYTE_3 src1_sel:DWORD
	v_mov_b32_e32 v23, v7
	s_and_saveexec_b32 s22, s0
	s_cbranch_execz .LBB184_655
; %bb.650:                              ;   in Loop: Header=BB184_487 Depth=1
	v_mov_b32_e32 v9, v6
	v_mov_b32_e32 v24, v10
	v_bfe_u32 v73, v72, 24, 7
	s_mov_b32 s26, exec_lo
	v_mov_b32_e32 v23, v9
	v_cmpx_ne_u32_e32 0x7f, v73
	s_cbranch_execz .LBB184_654
; %bb.651:                              ;   in Loop: Header=BB184_487 Depth=1
	v_and_b32_sdwa v5, v72, v47 dst_sel:DWORD dst_unused:UNUSED_PAD src0_sel:BYTE_3 src1_sel:DWORD
	v_lshrrev_b32_e32 v7, 3, v73
	s_mov_b32 s27, exec_lo
	v_cmpx_gt_u32_e32 8, v73
; %bb.652:                              ;   in Loop: Header=BB184_487 Depth=1
	v_ffbh_u32_e32 v7, v5
	v_min_u32_e32 v7, 32, v7
	v_subrev_nc_u32_e32 v9, 28, v7
	v_sub_nc_u32_e32 v7, 29, v7
	v_lshlrev_b64 v[23:24], v9, v[5:6]
	v_and_b32_e32 v5, 7, v23
; %bb.653:                              ;   in Loop: Header=BB184_487 Depth=1
	s_or_b32 exec_lo, exec_lo, s27
	v_lshlrev_b32_sdwa v9, v48, v72 dst_sel:DWORD dst_unused:UNUSED_PAD src0_sel:DWORD src1_sel:BYTE_3
	v_lshlrev_b32_e32 v5, 20, v5
	v_lshl_add_u32 v7, v7, 23, 0x3c000000
	v_mov_b32_e32 v23, v6
	v_and_b32_e32 v9, 0x80000000, v9
	v_or3_b32 v24, v5, v9, v7
.LBB184_654:                            ;   in Loop: Header=BB184_487 Depth=1
	s_or_b32 exec_lo, exec_lo, s26
.LBB184_655:                            ;   in Loop: Header=BB184_487 Depth=1
	s_or_b32 exec_lo, exec_lo, s22
.LBB184_656:                            ;   in Loop: Header=BB184_487 Depth=1
	s_or_b32 exec_lo, exec_lo, s21
	v_or_b32_e32 v5, v20, v18
	v_or_b32_e32 v7, v19, v17
	;; [unrolled: 1-line block ×4, first 2 shown]
	v_mul_f32_e32 v74, s18, v5
	v_mul_f32_e32 v75, s17, v7
	;; [unrolled: 1-line block ×4, first 2 shown]
	s_and_saveexec_b32 s21, vcc_lo
	s_cbranch_execz .LBB184_658
; %bb.657:                              ;   in Loop: Header=BB184_487 Depth=1
	v_cmp_gt_i32_e64 s0, s33, v56
	v_cndmask_b32_e64 v75, 0, v75, s0
	v_cmp_gt_i32_e64 s0, s33, v59
	v_cndmask_b32_e64 v74, 0, v74, s0
	;; [unrolled: 2-line block ×4, first 2 shown]
.LBB184_658:                            ;   in Loop: Header=BB184_487 Depth=1
	s_or_b32 exec_lo, exec_lo, s21
	global_load_dword v76, v[15:16], off offset:640
	v_mov_b32_e32 v19, 0
	v_mov_b32_e32 v17, 0
	;; [unrolled: 1-line block ×4, first 2 shown]
	s_waitcnt vmcnt(0)
	v_cmp_ne_u16_sdwa s0, v76, v6 src0_sel:BYTE_0 src1_sel:DWORD
	s_and_saveexec_b32 s21, s0
	s_cbranch_execz .LBB184_666
; %bb.659:                              ;   in Loop: Header=BB184_487 Depth=1
	v_bfrev_b32_e32 v17, 1
	v_mov_b32_e32 v18, 0
	v_cmp_ne_u16_sdwa s0, v76, v44 src0_sel:BYTE_0 src1_sel:DWORD
	s_and_saveexec_b32 s22, s0
	s_cbranch_execz .LBB184_665
; %bb.660:                              ;   in Loop: Header=BB184_487 Depth=1
	v_mov_b32_e32 v17, 0x7f800001
	v_and_b32_e32 v9, 0x7f, v76
	v_mov_b32_e32 v18, 0
	s_mov_b32 s26, exec_lo
	v_cmpx_ne_u32_e32 0x7f, v9
	s_cbranch_execz .LBB184_664
; %bb.661:                              ;   in Loop: Header=BB184_487 Depth=1
	v_and_b32_e32 v5, 7, v76
	v_lshrrev_b32_e32 v7, 3, v9
	s_mov_b32 s27, exec_lo
	v_cmpx_gt_u32_e32 8, v9
; %bb.662:                              ;   in Loop: Header=BB184_487 Depth=1
	v_ffbh_u32_e32 v7, v5
	v_min_u32_e32 v7, 32, v7
	v_subrev_nc_u32_e32 v9, 28, v7
	v_sub_nc_u32_e32 v7, 29, v7
	v_lshlrev_b64 v[17:18], v9, v[5:6]
	v_and_b32_e32 v5, 7, v17
; %bb.663:                              ;   in Loop: Header=BB184_487 Depth=1
	s_or_b32 exec_lo, exec_lo, s27
	v_lshlrev_b32_e32 v9, 24, v76
	v_lshlrev_b32_e32 v5, 20, v5
	v_lshl_add_u32 v7, v7, 23, 0x3c000000
	v_and_b32_e32 v9, 0x80000000, v9
	v_or3_b32 v5, v5, v9, v7
	v_mov_b32_e32 v18, v6
	v_mov_b32_e32 v17, v5
.LBB184_664:                            ;   in Loop: Header=BB184_487 Depth=1
	s_or_b32 exec_lo, exec_lo, s26
.LBB184_665:                            ;   in Loop: Header=BB184_487 Depth=1
	s_or_b32 exec_lo, exec_lo, s22
.LBB184_666:                            ;   in Loop: Header=BB184_487 Depth=1
	s_or_b32 exec_lo, exec_lo, s21
	v_cmp_ne_u16_sdwa s0, v76, v6 src0_sel:BYTE_1 src1_sel:DWORD
	s_and_saveexec_b32 s21, s0
	s_cbranch_execz .LBB184_674
; %bb.667:                              ;   in Loop: Header=BB184_487 Depth=1
	v_mov_b32_e32 v7, v6
	v_mov_b32_e32 v20, v8
	v_cmp_ne_u16_sdwa s0, v76, v44 src0_sel:BYTE_1 src1_sel:DWORD
	v_mov_b32_e32 v19, v7
	s_and_saveexec_b32 s22, s0
	s_cbranch_execz .LBB184_673
; %bb.668:                              ;   in Loop: Header=BB184_487 Depth=1
	v_and_b32_sdwa v5, v45, v76 dst_sel:DWORD dst_unused:UNUSED_PAD src0_sel:DWORD src1_sel:BYTE_1
	v_mov_b32_e32 v9, v6
	v_mov_b32_e32 v20, v10
	s_mov_b32 s26, exec_lo
	v_and_b32_e32 v21, 0x7f, v5
	v_mov_b32_e32 v19, v9
	v_cmpx_ne_u32_e32 0x7f, v21
	s_cbranch_execz .LBB184_672
; %bb.669:                              ;   in Loop: Header=BB184_487 Depth=1
	v_and_b32_e32 v5, 7, v5
	v_lshrrev_b32_e32 v7, 3, v21
	s_mov_b32 s27, exec_lo
	v_cmpx_gt_u32_e32 8, v21
; %bb.670:                              ;   in Loop: Header=BB184_487 Depth=1
	v_ffbh_u32_e32 v7, v5
	v_min_u32_e32 v7, 32, v7
	v_subrev_nc_u32_e32 v9, 28, v7
	v_sub_nc_u32_e32 v7, 29, v7
	v_lshlrev_b64 v[19:20], v9, v[5:6]
	v_and_b32_e32 v5, 7, v19
; %bb.671:                              ;   in Loop: Header=BB184_487 Depth=1
	s_or_b32 exec_lo, exec_lo, s27
	v_lshlrev_b32_e32 v9, 16, v76
	v_lshlrev_b32_e32 v5, 20, v5
	v_lshl_add_u32 v7, v7, 23, 0x3c000000
	v_mov_b32_e32 v19, v6
	v_and_b32_e32 v9, 0x80000000, v9
	v_or3_b32 v20, v5, v9, v7
.LBB184_672:                            ;   in Loop: Header=BB184_487 Depth=1
	s_or_b32 exec_lo, exec_lo, s26
.LBB184_673:                            ;   in Loop: Header=BB184_487 Depth=1
	s_or_b32 exec_lo, exec_lo, s22
.LBB184_674:                            ;   in Loop: Header=BB184_487 Depth=1
	s_or_b32 exec_lo, exec_lo, s21
	v_mov_b32_e32 v23, 0
	v_mov_b32_e32 v21, 0
	v_and_b32_sdwa v5, v76, v46 dst_sel:DWORD dst_unused:UNUSED_PAD src0_sel:WORD_1 src1_sel:DWORD
	v_mov_b32_e32 v24, 0
	v_mov_b32_e32 v22, 0
	s_mov_b32 s21, exec_lo
	v_cmpx_ne_u16_e32 0, v5
	s_cbranch_execz .LBB184_682
; %bb.675:                              ;   in Loop: Header=BB184_487 Depth=1
	v_bfrev_b32_e32 v21, 1
	v_mov_b32_e32 v22, 0
	s_mov_b32 s22, exec_lo
	v_cmpx_ne_u16_e32 0x80, v5
	s_cbranch_execz .LBB184_681
; %bb.676:                              ;   in Loop: Header=BB184_487 Depth=1
	v_mov_b32_e32 v21, 0x7f800001
	v_bfe_u32 v9, v76, 16, 7
	v_mov_b32_e32 v22, 0
	s_mov_b32 s26, exec_lo
	v_cmpx_ne_u32_e32 0x7f, v9
	s_cbranch_execz .LBB184_680
; %bb.677:                              ;   in Loop: Header=BB184_487 Depth=1
	v_and_b32_sdwa v5, v76, v47 dst_sel:DWORD dst_unused:UNUSED_PAD src0_sel:WORD_1 src1_sel:DWORD
	v_lshrrev_b32_e32 v7, 3, v9
	s_mov_b32 s27, exec_lo
	v_cmpx_gt_u32_e32 8, v9
; %bb.678:                              ;   in Loop: Header=BB184_487 Depth=1
	v_ffbh_u32_e32 v7, v5
	v_min_u32_e32 v7, 32, v7
	v_subrev_nc_u32_e32 v9, 28, v7
	v_sub_nc_u32_e32 v7, 29, v7
	v_lshlrev_b64 v[21:22], v9, v[5:6]
	v_and_b32_e32 v5, 7, v21
; %bb.679:                              ;   in Loop: Header=BB184_487 Depth=1
	s_or_b32 exec_lo, exec_lo, s27
	v_lshlrev_b32_sdwa v9, v48, v76 dst_sel:DWORD dst_unused:UNUSED_PAD src0_sel:DWORD src1_sel:WORD_1
	v_lshlrev_b32_e32 v5, 20, v5
	v_lshl_add_u32 v7, v7, 23, 0x3c000000
	v_and_b32_e32 v9, 0x80000000, v9
	v_or3_b32 v5, v5, v9, v7
	v_mov_b32_e32 v22, v6
	v_mov_b32_e32 v21, v5
.LBB184_680:                            ;   in Loop: Header=BB184_487 Depth=1
	s_or_b32 exec_lo, exec_lo, s26
.LBB184_681:                            ;   in Loop: Header=BB184_487 Depth=1
	s_or_b32 exec_lo, exec_lo, s22
.LBB184_682:                            ;   in Loop: Header=BB184_487 Depth=1
	s_or_b32 exec_lo, exec_lo, s21
	s_mov_b32 s21, exec_lo
	v_cmpx_lt_u32_e32 0xffffff, v76
	s_cbranch_execz .LBB184_690
; %bb.683:                              ;   in Loop: Header=BB184_487 Depth=1
	v_mov_b32_e32 v7, v6
	v_mov_b32_e32 v24, v8
	v_cmp_ne_u32_sdwa s0, v76, v44 src0_sel:BYTE_3 src1_sel:DWORD
	v_mov_b32_e32 v23, v7
	s_and_saveexec_b32 s22, s0
	s_cbranch_execz .LBB184_689
; %bb.684:                              ;   in Loop: Header=BB184_487 Depth=1
	v_mov_b32_e32 v9, v6
	v_mov_b32_e32 v24, v10
	v_bfe_u32 v77, v76, 24, 7
	s_mov_b32 s26, exec_lo
	v_mov_b32_e32 v23, v9
	v_cmpx_ne_u32_e32 0x7f, v77
	s_cbranch_execz .LBB184_688
; %bb.685:                              ;   in Loop: Header=BB184_487 Depth=1
	v_and_b32_sdwa v5, v76, v47 dst_sel:DWORD dst_unused:UNUSED_PAD src0_sel:BYTE_3 src1_sel:DWORD
	v_lshrrev_b32_e32 v7, 3, v77
	s_mov_b32 s27, exec_lo
	v_cmpx_gt_u32_e32 8, v77
; %bb.686:                              ;   in Loop: Header=BB184_487 Depth=1
	v_ffbh_u32_e32 v7, v5
	v_min_u32_e32 v7, 32, v7
	v_subrev_nc_u32_e32 v9, 28, v7
	v_sub_nc_u32_e32 v7, 29, v7
	v_lshlrev_b64 v[23:24], v9, v[5:6]
	v_and_b32_e32 v5, 7, v23
; %bb.687:                              ;   in Loop: Header=BB184_487 Depth=1
	s_or_b32 exec_lo, exec_lo, s27
	v_lshlrev_b32_sdwa v9, v48, v76 dst_sel:DWORD dst_unused:UNUSED_PAD src0_sel:DWORD src1_sel:BYTE_3
	v_lshlrev_b32_e32 v5, 20, v5
	v_lshl_add_u32 v7, v7, 23, 0x3c000000
	v_mov_b32_e32 v23, v6
	v_and_b32_e32 v9, 0x80000000, v9
	v_or3_b32 v24, v5, v9, v7
.LBB184_688:                            ;   in Loop: Header=BB184_487 Depth=1
	s_or_b32 exec_lo, exec_lo, s26
.LBB184_689:                            ;   in Loop: Header=BB184_487 Depth=1
	s_or_b32 exec_lo, exec_lo, s22
.LBB184_690:                            ;   in Loop: Header=BB184_487 Depth=1
	s_or_b32 exec_lo, exec_lo, s21
	v_or_b32_e32 v5, v20, v18
	v_or_b32_e32 v7, v19, v17
	;; [unrolled: 1-line block ×4, first 2 shown]
	v_mul_f32_e32 v78, s18, v5
	v_mul_f32_e32 v79, s17, v7
	;; [unrolled: 1-line block ×4, first 2 shown]
	s_and_saveexec_b32 s21, vcc_lo
	s_cbranch_execz .LBB184_692
; %bb.691:                              ;   in Loop: Header=BB184_487 Depth=1
	v_cmp_gt_i32_e64 s0, s33, v56
	v_cndmask_b32_e64 v79, 0, v79, s0
	v_cmp_gt_i32_e64 s0, s33, v59
	v_cndmask_b32_e64 v78, 0, v78, s0
	;; [unrolled: 2-line block ×4, first 2 shown]
.LBB184_692:                            ;   in Loop: Header=BB184_487 Depth=1
	s_or_b32 exec_lo, exec_lo, s21
	global_load_dword v80, v[15:16], off offset:768
	v_mov_b32_e32 v19, 0
	v_mov_b32_e32 v17, 0
	;; [unrolled: 1-line block ×4, first 2 shown]
	s_waitcnt vmcnt(0)
	v_cmp_ne_u16_sdwa s0, v80, v6 src0_sel:BYTE_0 src1_sel:DWORD
	s_and_saveexec_b32 s21, s0
	s_cbranch_execz .LBB184_700
; %bb.693:                              ;   in Loop: Header=BB184_487 Depth=1
	v_bfrev_b32_e32 v17, 1
	v_mov_b32_e32 v18, 0
	v_cmp_ne_u16_sdwa s0, v80, v44 src0_sel:BYTE_0 src1_sel:DWORD
	s_and_saveexec_b32 s22, s0
	s_cbranch_execz .LBB184_699
; %bb.694:                              ;   in Loop: Header=BB184_487 Depth=1
	v_mov_b32_e32 v17, 0x7f800001
	v_and_b32_e32 v9, 0x7f, v80
	v_mov_b32_e32 v18, 0
	s_mov_b32 s26, exec_lo
	v_cmpx_ne_u32_e32 0x7f, v9
	s_cbranch_execz .LBB184_698
; %bb.695:                              ;   in Loop: Header=BB184_487 Depth=1
	v_and_b32_e32 v5, 7, v80
	v_lshrrev_b32_e32 v7, 3, v9
	s_mov_b32 s27, exec_lo
	v_cmpx_gt_u32_e32 8, v9
; %bb.696:                              ;   in Loop: Header=BB184_487 Depth=1
	v_ffbh_u32_e32 v7, v5
	v_min_u32_e32 v7, 32, v7
	v_subrev_nc_u32_e32 v9, 28, v7
	v_sub_nc_u32_e32 v7, 29, v7
	v_lshlrev_b64 v[17:18], v9, v[5:6]
	v_and_b32_e32 v5, 7, v17
; %bb.697:                              ;   in Loop: Header=BB184_487 Depth=1
	s_or_b32 exec_lo, exec_lo, s27
	v_lshlrev_b32_e32 v9, 24, v80
	v_lshlrev_b32_e32 v5, 20, v5
	v_lshl_add_u32 v7, v7, 23, 0x3c000000
	v_and_b32_e32 v9, 0x80000000, v9
	v_or3_b32 v5, v5, v9, v7
	v_mov_b32_e32 v18, v6
	v_mov_b32_e32 v17, v5
.LBB184_698:                            ;   in Loop: Header=BB184_487 Depth=1
	s_or_b32 exec_lo, exec_lo, s26
.LBB184_699:                            ;   in Loop: Header=BB184_487 Depth=1
	s_or_b32 exec_lo, exec_lo, s22
.LBB184_700:                            ;   in Loop: Header=BB184_487 Depth=1
	s_or_b32 exec_lo, exec_lo, s21
	v_cmp_ne_u16_sdwa s0, v80, v6 src0_sel:BYTE_1 src1_sel:DWORD
	s_and_saveexec_b32 s21, s0
	s_cbranch_execz .LBB184_708
; %bb.701:                              ;   in Loop: Header=BB184_487 Depth=1
	v_mov_b32_e32 v7, v6
	v_mov_b32_e32 v20, v8
	v_cmp_ne_u16_sdwa s0, v80, v44 src0_sel:BYTE_1 src1_sel:DWORD
	v_mov_b32_e32 v19, v7
	s_and_saveexec_b32 s22, s0
	s_cbranch_execz .LBB184_707
; %bb.702:                              ;   in Loop: Header=BB184_487 Depth=1
	v_and_b32_sdwa v5, v45, v80 dst_sel:DWORD dst_unused:UNUSED_PAD src0_sel:DWORD src1_sel:BYTE_1
	v_mov_b32_e32 v9, v6
	v_mov_b32_e32 v20, v10
	s_mov_b32 s26, exec_lo
	v_and_b32_e32 v21, 0x7f, v5
	v_mov_b32_e32 v19, v9
	v_cmpx_ne_u32_e32 0x7f, v21
	s_cbranch_execz .LBB184_706
; %bb.703:                              ;   in Loop: Header=BB184_487 Depth=1
	v_and_b32_e32 v5, 7, v5
	v_lshrrev_b32_e32 v7, 3, v21
	s_mov_b32 s27, exec_lo
	v_cmpx_gt_u32_e32 8, v21
; %bb.704:                              ;   in Loop: Header=BB184_487 Depth=1
	v_ffbh_u32_e32 v7, v5
	v_min_u32_e32 v7, 32, v7
	v_subrev_nc_u32_e32 v9, 28, v7
	v_sub_nc_u32_e32 v7, 29, v7
	v_lshlrev_b64 v[19:20], v9, v[5:6]
	v_and_b32_e32 v5, 7, v19
; %bb.705:                              ;   in Loop: Header=BB184_487 Depth=1
	s_or_b32 exec_lo, exec_lo, s27
	v_lshlrev_b32_e32 v9, 16, v80
	v_lshlrev_b32_e32 v5, 20, v5
	v_lshl_add_u32 v7, v7, 23, 0x3c000000
	v_mov_b32_e32 v19, v6
	v_and_b32_e32 v9, 0x80000000, v9
	v_or3_b32 v20, v5, v9, v7
.LBB184_706:                            ;   in Loop: Header=BB184_487 Depth=1
	s_or_b32 exec_lo, exec_lo, s26
.LBB184_707:                            ;   in Loop: Header=BB184_487 Depth=1
	s_or_b32 exec_lo, exec_lo, s22
.LBB184_708:                            ;   in Loop: Header=BB184_487 Depth=1
	s_or_b32 exec_lo, exec_lo, s21
	v_mov_b32_e32 v23, 0
	v_mov_b32_e32 v21, 0
	v_and_b32_sdwa v5, v80, v46 dst_sel:DWORD dst_unused:UNUSED_PAD src0_sel:WORD_1 src1_sel:DWORD
	v_mov_b32_e32 v24, 0
	v_mov_b32_e32 v22, 0
	s_mov_b32 s21, exec_lo
	v_cmpx_ne_u16_e32 0, v5
	s_cbranch_execz .LBB184_716
; %bb.709:                              ;   in Loop: Header=BB184_487 Depth=1
	v_bfrev_b32_e32 v21, 1
	v_mov_b32_e32 v22, 0
	s_mov_b32 s22, exec_lo
	v_cmpx_ne_u16_e32 0x80, v5
	s_cbranch_execz .LBB184_715
; %bb.710:                              ;   in Loop: Header=BB184_487 Depth=1
	v_mov_b32_e32 v21, 0x7f800001
	v_bfe_u32 v9, v80, 16, 7
	v_mov_b32_e32 v22, 0
	s_mov_b32 s26, exec_lo
	v_cmpx_ne_u32_e32 0x7f, v9
	s_cbranch_execz .LBB184_714
; %bb.711:                              ;   in Loop: Header=BB184_487 Depth=1
	v_and_b32_sdwa v5, v80, v47 dst_sel:DWORD dst_unused:UNUSED_PAD src0_sel:WORD_1 src1_sel:DWORD
	v_lshrrev_b32_e32 v7, 3, v9
	s_mov_b32 s27, exec_lo
	v_cmpx_gt_u32_e32 8, v9
; %bb.712:                              ;   in Loop: Header=BB184_487 Depth=1
	v_ffbh_u32_e32 v7, v5
	v_min_u32_e32 v7, 32, v7
	v_subrev_nc_u32_e32 v9, 28, v7
	v_sub_nc_u32_e32 v7, 29, v7
	v_lshlrev_b64 v[21:22], v9, v[5:6]
	v_and_b32_e32 v5, 7, v21
; %bb.713:                              ;   in Loop: Header=BB184_487 Depth=1
	s_or_b32 exec_lo, exec_lo, s27
	v_lshlrev_b32_sdwa v9, v48, v80 dst_sel:DWORD dst_unused:UNUSED_PAD src0_sel:DWORD src1_sel:WORD_1
	v_lshlrev_b32_e32 v5, 20, v5
	v_lshl_add_u32 v7, v7, 23, 0x3c000000
	v_and_b32_e32 v9, 0x80000000, v9
	v_or3_b32 v5, v5, v9, v7
	v_mov_b32_e32 v22, v6
	v_mov_b32_e32 v21, v5
.LBB184_714:                            ;   in Loop: Header=BB184_487 Depth=1
	s_or_b32 exec_lo, exec_lo, s26
.LBB184_715:                            ;   in Loop: Header=BB184_487 Depth=1
	s_or_b32 exec_lo, exec_lo, s22
.LBB184_716:                            ;   in Loop: Header=BB184_487 Depth=1
	s_or_b32 exec_lo, exec_lo, s21
	s_mov_b32 s21, exec_lo
	v_cmpx_lt_u32_e32 0xffffff, v80
	s_cbranch_execz .LBB184_724
; %bb.717:                              ;   in Loop: Header=BB184_487 Depth=1
	v_mov_b32_e32 v7, v6
	v_mov_b32_e32 v24, v8
	v_cmp_ne_u32_sdwa s0, v80, v44 src0_sel:BYTE_3 src1_sel:DWORD
	v_mov_b32_e32 v23, v7
	s_and_saveexec_b32 s22, s0
	s_cbranch_execz .LBB184_723
; %bb.718:                              ;   in Loop: Header=BB184_487 Depth=1
	v_mov_b32_e32 v9, v6
	v_mov_b32_e32 v24, v10
	v_bfe_u32 v81, v80, 24, 7
	s_mov_b32 s26, exec_lo
	v_mov_b32_e32 v23, v9
	v_cmpx_ne_u32_e32 0x7f, v81
	s_cbranch_execz .LBB184_722
; %bb.719:                              ;   in Loop: Header=BB184_487 Depth=1
	v_and_b32_sdwa v5, v80, v47 dst_sel:DWORD dst_unused:UNUSED_PAD src0_sel:BYTE_3 src1_sel:DWORD
	v_lshrrev_b32_e32 v7, 3, v81
	s_mov_b32 s27, exec_lo
	v_cmpx_gt_u32_e32 8, v81
; %bb.720:                              ;   in Loop: Header=BB184_487 Depth=1
	v_ffbh_u32_e32 v7, v5
	v_min_u32_e32 v7, 32, v7
	v_subrev_nc_u32_e32 v9, 28, v7
	v_sub_nc_u32_e32 v7, 29, v7
	v_lshlrev_b64 v[23:24], v9, v[5:6]
	v_and_b32_e32 v5, 7, v23
; %bb.721:                              ;   in Loop: Header=BB184_487 Depth=1
	s_or_b32 exec_lo, exec_lo, s27
	v_lshlrev_b32_sdwa v9, v48, v80 dst_sel:DWORD dst_unused:UNUSED_PAD src0_sel:DWORD src1_sel:BYTE_3
	v_lshlrev_b32_e32 v5, 20, v5
	v_lshl_add_u32 v7, v7, 23, 0x3c000000
	v_mov_b32_e32 v23, v6
	v_and_b32_e32 v9, 0x80000000, v9
	v_or3_b32 v24, v5, v9, v7
.LBB184_722:                            ;   in Loop: Header=BB184_487 Depth=1
	s_or_b32 exec_lo, exec_lo, s26
.LBB184_723:                            ;   in Loop: Header=BB184_487 Depth=1
	s_or_b32 exec_lo, exec_lo, s22
.LBB184_724:                            ;   in Loop: Header=BB184_487 Depth=1
	s_or_b32 exec_lo, exec_lo, s21
	v_or_b32_e32 v5, v20, v18
	v_or_b32_e32 v7, v19, v17
	;; [unrolled: 1-line block ×4, first 2 shown]
	v_mul_f32_e32 v82, s18, v5
	v_mul_f32_e32 v83, s17, v7
	;; [unrolled: 1-line block ×4, first 2 shown]
	s_and_saveexec_b32 s21, vcc_lo
	s_cbranch_execz .LBB184_726
; %bb.725:                              ;   in Loop: Header=BB184_487 Depth=1
	v_cmp_gt_i32_e64 s0, s33, v56
	v_cndmask_b32_e64 v83, 0, v83, s0
	v_cmp_gt_i32_e64 s0, s33, v59
	v_cndmask_b32_e64 v82, 0, v82, s0
	;; [unrolled: 2-line block ×4, first 2 shown]
.LBB184_726:                            ;   in Loop: Header=BB184_487 Depth=1
	s_or_b32 exec_lo, exec_lo, s21
	global_load_dword v84, v[15:16], off offset:896
	v_mov_b32_e32 v19, 0
	v_mov_b32_e32 v17, 0
	;; [unrolled: 1-line block ×4, first 2 shown]
	s_waitcnt vmcnt(0)
	v_cmp_ne_u16_sdwa s0, v84, v6 src0_sel:BYTE_0 src1_sel:DWORD
	s_and_saveexec_b32 s21, s0
	s_cbranch_execz .LBB184_734
; %bb.727:                              ;   in Loop: Header=BB184_487 Depth=1
	v_bfrev_b32_e32 v17, 1
	v_mov_b32_e32 v18, 0
	v_cmp_ne_u16_sdwa s0, v84, v44 src0_sel:BYTE_0 src1_sel:DWORD
	s_and_saveexec_b32 s22, s0
	s_cbranch_execz .LBB184_733
; %bb.728:                              ;   in Loop: Header=BB184_487 Depth=1
	v_mov_b32_e32 v17, 0x7f800001
	v_and_b32_e32 v9, 0x7f, v84
	v_mov_b32_e32 v18, 0
	s_mov_b32 s26, exec_lo
	v_cmpx_ne_u32_e32 0x7f, v9
	s_cbranch_execz .LBB184_732
; %bb.729:                              ;   in Loop: Header=BB184_487 Depth=1
	v_and_b32_e32 v5, 7, v84
	v_lshrrev_b32_e32 v7, 3, v9
	s_mov_b32 s27, exec_lo
	v_cmpx_gt_u32_e32 8, v9
; %bb.730:                              ;   in Loop: Header=BB184_487 Depth=1
	v_ffbh_u32_e32 v7, v5
	v_min_u32_e32 v7, 32, v7
	v_subrev_nc_u32_e32 v9, 28, v7
	v_sub_nc_u32_e32 v7, 29, v7
	v_lshlrev_b64 v[17:18], v9, v[5:6]
	v_and_b32_e32 v5, 7, v17
; %bb.731:                              ;   in Loop: Header=BB184_487 Depth=1
	s_or_b32 exec_lo, exec_lo, s27
	v_lshlrev_b32_e32 v9, 24, v84
	v_lshlrev_b32_e32 v5, 20, v5
	v_lshl_add_u32 v7, v7, 23, 0x3c000000
	v_and_b32_e32 v9, 0x80000000, v9
	v_or3_b32 v5, v5, v9, v7
	v_mov_b32_e32 v18, v6
	v_mov_b32_e32 v17, v5
.LBB184_732:                            ;   in Loop: Header=BB184_487 Depth=1
	s_or_b32 exec_lo, exec_lo, s26
.LBB184_733:                            ;   in Loop: Header=BB184_487 Depth=1
	s_or_b32 exec_lo, exec_lo, s22
.LBB184_734:                            ;   in Loop: Header=BB184_487 Depth=1
	s_or_b32 exec_lo, exec_lo, s21
	v_cmp_ne_u16_sdwa s0, v84, v6 src0_sel:BYTE_1 src1_sel:DWORD
	s_and_saveexec_b32 s21, s0
	s_cbranch_execz .LBB184_742
; %bb.735:                              ;   in Loop: Header=BB184_487 Depth=1
	v_mov_b32_e32 v7, v6
	v_mov_b32_e32 v20, v8
	v_cmp_ne_u16_sdwa s0, v84, v44 src0_sel:BYTE_1 src1_sel:DWORD
	v_mov_b32_e32 v19, v7
	s_and_saveexec_b32 s22, s0
	s_cbranch_execz .LBB184_741
; %bb.736:                              ;   in Loop: Header=BB184_487 Depth=1
	v_and_b32_sdwa v5, v45, v84 dst_sel:DWORD dst_unused:UNUSED_PAD src0_sel:DWORD src1_sel:BYTE_1
	v_mov_b32_e32 v9, v6
	v_mov_b32_e32 v20, v10
	s_mov_b32 s26, exec_lo
	v_and_b32_e32 v21, 0x7f, v5
	v_mov_b32_e32 v19, v9
	v_cmpx_ne_u32_e32 0x7f, v21
	s_cbranch_execz .LBB184_740
; %bb.737:                              ;   in Loop: Header=BB184_487 Depth=1
	v_and_b32_e32 v5, 7, v5
	v_lshrrev_b32_e32 v7, 3, v21
	s_mov_b32 s27, exec_lo
	v_cmpx_gt_u32_e32 8, v21
; %bb.738:                              ;   in Loop: Header=BB184_487 Depth=1
	v_ffbh_u32_e32 v7, v5
	v_min_u32_e32 v7, 32, v7
	v_subrev_nc_u32_e32 v9, 28, v7
	v_sub_nc_u32_e32 v7, 29, v7
	v_lshlrev_b64 v[19:20], v9, v[5:6]
	v_and_b32_e32 v5, 7, v19
; %bb.739:                              ;   in Loop: Header=BB184_487 Depth=1
	s_or_b32 exec_lo, exec_lo, s27
	v_lshlrev_b32_e32 v9, 16, v84
	v_lshlrev_b32_e32 v5, 20, v5
	v_lshl_add_u32 v7, v7, 23, 0x3c000000
	v_mov_b32_e32 v19, v6
	v_and_b32_e32 v9, 0x80000000, v9
	v_or3_b32 v20, v5, v9, v7
.LBB184_740:                            ;   in Loop: Header=BB184_487 Depth=1
	s_or_b32 exec_lo, exec_lo, s26
.LBB184_741:                            ;   in Loop: Header=BB184_487 Depth=1
	s_or_b32 exec_lo, exec_lo, s22
.LBB184_742:                            ;   in Loop: Header=BB184_487 Depth=1
	s_or_b32 exec_lo, exec_lo, s21
	v_mov_b32_e32 v23, 0
	v_mov_b32_e32 v21, 0
	v_and_b32_sdwa v5, v84, v46 dst_sel:DWORD dst_unused:UNUSED_PAD src0_sel:WORD_1 src1_sel:DWORD
	v_mov_b32_e32 v24, 0
	v_mov_b32_e32 v22, 0
	s_mov_b32 s21, exec_lo
	v_cmpx_ne_u16_e32 0, v5
	s_cbranch_execz .LBB184_750
; %bb.743:                              ;   in Loop: Header=BB184_487 Depth=1
	v_bfrev_b32_e32 v21, 1
	v_mov_b32_e32 v22, 0
	s_mov_b32 s22, exec_lo
	v_cmpx_ne_u16_e32 0x80, v5
	s_cbranch_execz .LBB184_749
; %bb.744:                              ;   in Loop: Header=BB184_487 Depth=1
	v_mov_b32_e32 v21, 0x7f800001
	v_bfe_u32 v9, v84, 16, 7
	v_mov_b32_e32 v22, 0
	s_mov_b32 s26, exec_lo
	v_cmpx_ne_u32_e32 0x7f, v9
	s_cbranch_execz .LBB184_748
; %bb.745:                              ;   in Loop: Header=BB184_487 Depth=1
	v_and_b32_sdwa v5, v84, v47 dst_sel:DWORD dst_unused:UNUSED_PAD src0_sel:WORD_1 src1_sel:DWORD
	v_lshrrev_b32_e32 v7, 3, v9
	s_mov_b32 s27, exec_lo
	v_cmpx_gt_u32_e32 8, v9
; %bb.746:                              ;   in Loop: Header=BB184_487 Depth=1
	v_ffbh_u32_e32 v7, v5
	v_min_u32_e32 v7, 32, v7
	v_subrev_nc_u32_e32 v9, 28, v7
	v_sub_nc_u32_e32 v7, 29, v7
	v_lshlrev_b64 v[21:22], v9, v[5:6]
	v_and_b32_e32 v5, 7, v21
; %bb.747:                              ;   in Loop: Header=BB184_487 Depth=1
	s_or_b32 exec_lo, exec_lo, s27
	v_lshlrev_b32_sdwa v9, v48, v84 dst_sel:DWORD dst_unused:UNUSED_PAD src0_sel:DWORD src1_sel:WORD_1
	v_lshlrev_b32_e32 v5, 20, v5
	v_lshl_add_u32 v7, v7, 23, 0x3c000000
	v_and_b32_e32 v9, 0x80000000, v9
	v_or3_b32 v5, v5, v9, v7
	v_mov_b32_e32 v22, v6
	v_mov_b32_e32 v21, v5
.LBB184_748:                            ;   in Loop: Header=BB184_487 Depth=1
	s_or_b32 exec_lo, exec_lo, s26
.LBB184_749:                            ;   in Loop: Header=BB184_487 Depth=1
	s_or_b32 exec_lo, exec_lo, s22
.LBB184_750:                            ;   in Loop: Header=BB184_487 Depth=1
	s_or_b32 exec_lo, exec_lo, s21
	s_mov_b32 s21, exec_lo
	v_cmpx_lt_u32_e32 0xffffff, v84
	s_cbranch_execz .LBB184_758
; %bb.751:                              ;   in Loop: Header=BB184_487 Depth=1
	v_mov_b32_e32 v7, v6
	v_mov_b32_e32 v24, v8
	v_cmp_ne_u32_sdwa s0, v84, v44 src0_sel:BYTE_3 src1_sel:DWORD
	v_mov_b32_e32 v23, v7
	s_and_saveexec_b32 s22, s0
	s_cbranch_execz .LBB184_757
; %bb.752:                              ;   in Loop: Header=BB184_487 Depth=1
	v_mov_b32_e32 v9, v6
	v_mov_b32_e32 v24, v10
	v_bfe_u32 v85, v84, 24, 7
	s_mov_b32 s26, exec_lo
	v_mov_b32_e32 v23, v9
	v_cmpx_ne_u32_e32 0x7f, v85
	s_cbranch_execz .LBB184_756
; %bb.753:                              ;   in Loop: Header=BB184_487 Depth=1
	v_and_b32_sdwa v5, v84, v47 dst_sel:DWORD dst_unused:UNUSED_PAD src0_sel:BYTE_3 src1_sel:DWORD
	v_lshrrev_b32_e32 v7, 3, v85
	s_mov_b32 s27, exec_lo
	v_cmpx_gt_u32_e32 8, v85
; %bb.754:                              ;   in Loop: Header=BB184_487 Depth=1
	v_ffbh_u32_e32 v7, v5
	v_min_u32_e32 v7, 32, v7
	v_subrev_nc_u32_e32 v9, 28, v7
	v_sub_nc_u32_e32 v7, 29, v7
	v_lshlrev_b64 v[23:24], v9, v[5:6]
	v_and_b32_e32 v5, 7, v23
; %bb.755:                              ;   in Loop: Header=BB184_487 Depth=1
	s_or_b32 exec_lo, exec_lo, s27
	v_lshlrev_b32_sdwa v9, v48, v84 dst_sel:DWORD dst_unused:UNUSED_PAD src0_sel:DWORD src1_sel:BYTE_3
	v_lshlrev_b32_e32 v5, 20, v5
	v_lshl_add_u32 v7, v7, 23, 0x3c000000
	v_mov_b32_e32 v23, v6
	v_and_b32_e32 v9, 0x80000000, v9
	v_or3_b32 v24, v5, v9, v7
.LBB184_756:                            ;   in Loop: Header=BB184_487 Depth=1
	s_or_b32 exec_lo, exec_lo, s26
.LBB184_757:                            ;   in Loop: Header=BB184_487 Depth=1
	s_or_b32 exec_lo, exec_lo, s22
.LBB184_758:                            ;   in Loop: Header=BB184_487 Depth=1
	s_or_b32 exec_lo, exec_lo, s21
	v_or_b32_e32 v5, v20, v18
	v_or_b32_e32 v7, v19, v17
	;; [unrolled: 1-line block ×4, first 2 shown]
	v_mul_f32_e32 v86, s18, v5
	v_mul_f32_e32 v87, s17, v7
	;; [unrolled: 1-line block ×4, first 2 shown]
	s_and_saveexec_b32 s21, vcc_lo
	s_cbranch_execz .LBB184_760
; %bb.759:                              ;   in Loop: Header=BB184_487 Depth=1
	v_cmp_gt_i32_e64 s0, s33, v56
	v_cndmask_b32_e64 v87, 0, v87, s0
	v_cmp_gt_i32_e64 s0, s33, v59
	v_cndmask_b32_e64 v86, 0, v86, s0
	v_cmp_gt_i32_e64 s0, s33, v58
	v_cndmask_b32_e64 v85, 0, v85, s0
	v_cmp_gt_i32_e64 s0, s33, v57
	v_cndmask_b32_e64 v84, 0, v84, s0
.LBB184_760:                            ;   in Loop: Header=BB184_487 Depth=1
	s_or_b32 exec_lo, exec_lo, s21
	global_load_dword v88, v[15:16], off offset:1024
	v_mov_b32_e32 v19, 0
	v_mov_b32_e32 v17, 0
	v_mov_b32_e32 v20, 0
	v_mov_b32_e32 v18, 0
	s_waitcnt vmcnt(0)
	v_cmp_ne_u16_sdwa s0, v88, v6 src0_sel:BYTE_0 src1_sel:DWORD
	s_and_saveexec_b32 s21, s0
	s_cbranch_execz .LBB184_768
; %bb.761:                              ;   in Loop: Header=BB184_487 Depth=1
	v_bfrev_b32_e32 v17, 1
	v_mov_b32_e32 v18, 0
	v_cmp_ne_u16_sdwa s0, v88, v44 src0_sel:BYTE_0 src1_sel:DWORD
	s_and_saveexec_b32 s22, s0
	s_cbranch_execz .LBB184_767
; %bb.762:                              ;   in Loop: Header=BB184_487 Depth=1
	v_mov_b32_e32 v17, 0x7f800001
	v_and_b32_e32 v9, 0x7f, v88
	v_mov_b32_e32 v18, 0
	s_mov_b32 s26, exec_lo
	v_cmpx_ne_u32_e32 0x7f, v9
	s_cbranch_execz .LBB184_766
; %bb.763:                              ;   in Loop: Header=BB184_487 Depth=1
	v_and_b32_e32 v5, 7, v88
	v_lshrrev_b32_e32 v7, 3, v9
	s_mov_b32 s27, exec_lo
	v_cmpx_gt_u32_e32 8, v9
; %bb.764:                              ;   in Loop: Header=BB184_487 Depth=1
	v_ffbh_u32_e32 v7, v5
	v_min_u32_e32 v7, 32, v7
	v_subrev_nc_u32_e32 v9, 28, v7
	v_sub_nc_u32_e32 v7, 29, v7
	v_lshlrev_b64 v[17:18], v9, v[5:6]
	v_and_b32_e32 v5, 7, v17
; %bb.765:                              ;   in Loop: Header=BB184_487 Depth=1
	s_or_b32 exec_lo, exec_lo, s27
	v_lshlrev_b32_e32 v9, 24, v88
	v_lshlrev_b32_e32 v5, 20, v5
	v_lshl_add_u32 v7, v7, 23, 0x3c000000
	v_and_b32_e32 v9, 0x80000000, v9
	v_or3_b32 v5, v5, v9, v7
	v_mov_b32_e32 v18, v6
	v_mov_b32_e32 v17, v5
.LBB184_766:                            ;   in Loop: Header=BB184_487 Depth=1
	s_or_b32 exec_lo, exec_lo, s26
.LBB184_767:                            ;   in Loop: Header=BB184_487 Depth=1
	s_or_b32 exec_lo, exec_lo, s22
.LBB184_768:                            ;   in Loop: Header=BB184_487 Depth=1
	s_or_b32 exec_lo, exec_lo, s21
	v_cmp_ne_u16_sdwa s0, v88, v6 src0_sel:BYTE_1 src1_sel:DWORD
	s_and_saveexec_b32 s21, s0
	s_cbranch_execz .LBB184_776
; %bb.769:                              ;   in Loop: Header=BB184_487 Depth=1
	v_mov_b32_e32 v7, v6
	v_mov_b32_e32 v20, v8
	v_cmp_ne_u16_sdwa s0, v88, v44 src0_sel:BYTE_1 src1_sel:DWORD
	v_mov_b32_e32 v19, v7
	s_and_saveexec_b32 s22, s0
	s_cbranch_execz .LBB184_775
; %bb.770:                              ;   in Loop: Header=BB184_487 Depth=1
	v_and_b32_sdwa v5, v45, v88 dst_sel:DWORD dst_unused:UNUSED_PAD src0_sel:DWORD src1_sel:BYTE_1
	v_mov_b32_e32 v9, v6
	v_mov_b32_e32 v20, v10
	s_mov_b32 s26, exec_lo
	v_and_b32_e32 v21, 0x7f, v5
	v_mov_b32_e32 v19, v9
	v_cmpx_ne_u32_e32 0x7f, v21
	s_cbranch_execz .LBB184_774
; %bb.771:                              ;   in Loop: Header=BB184_487 Depth=1
	v_and_b32_e32 v5, 7, v5
	v_lshrrev_b32_e32 v7, 3, v21
	s_mov_b32 s27, exec_lo
	v_cmpx_gt_u32_e32 8, v21
; %bb.772:                              ;   in Loop: Header=BB184_487 Depth=1
	v_ffbh_u32_e32 v7, v5
	v_min_u32_e32 v7, 32, v7
	v_subrev_nc_u32_e32 v9, 28, v7
	v_sub_nc_u32_e32 v7, 29, v7
	v_lshlrev_b64 v[19:20], v9, v[5:6]
	v_and_b32_e32 v5, 7, v19
; %bb.773:                              ;   in Loop: Header=BB184_487 Depth=1
	s_or_b32 exec_lo, exec_lo, s27
	v_lshlrev_b32_e32 v9, 16, v88
	v_lshlrev_b32_e32 v5, 20, v5
	v_lshl_add_u32 v7, v7, 23, 0x3c000000
	v_mov_b32_e32 v19, v6
	v_and_b32_e32 v9, 0x80000000, v9
	v_or3_b32 v20, v5, v9, v7
.LBB184_774:                            ;   in Loop: Header=BB184_487 Depth=1
	s_or_b32 exec_lo, exec_lo, s26
.LBB184_775:                            ;   in Loop: Header=BB184_487 Depth=1
	s_or_b32 exec_lo, exec_lo, s22
.LBB184_776:                            ;   in Loop: Header=BB184_487 Depth=1
	s_or_b32 exec_lo, exec_lo, s21
	v_mov_b32_e32 v23, 0
	v_mov_b32_e32 v21, 0
	v_and_b32_sdwa v5, v88, v46 dst_sel:DWORD dst_unused:UNUSED_PAD src0_sel:WORD_1 src1_sel:DWORD
	v_mov_b32_e32 v24, 0
	v_mov_b32_e32 v22, 0
	s_mov_b32 s21, exec_lo
	v_cmpx_ne_u16_e32 0, v5
	s_cbranch_execz .LBB184_784
; %bb.777:                              ;   in Loop: Header=BB184_487 Depth=1
	v_bfrev_b32_e32 v21, 1
	v_mov_b32_e32 v22, 0
	s_mov_b32 s22, exec_lo
	v_cmpx_ne_u16_e32 0x80, v5
	s_cbranch_execz .LBB184_783
; %bb.778:                              ;   in Loop: Header=BB184_487 Depth=1
	v_mov_b32_e32 v21, 0x7f800001
	v_bfe_u32 v9, v88, 16, 7
	v_mov_b32_e32 v22, 0
	s_mov_b32 s26, exec_lo
	v_cmpx_ne_u32_e32 0x7f, v9
	s_cbranch_execz .LBB184_782
; %bb.779:                              ;   in Loop: Header=BB184_487 Depth=1
	v_and_b32_sdwa v5, v88, v47 dst_sel:DWORD dst_unused:UNUSED_PAD src0_sel:WORD_1 src1_sel:DWORD
	v_lshrrev_b32_e32 v7, 3, v9
	s_mov_b32 s27, exec_lo
	v_cmpx_gt_u32_e32 8, v9
; %bb.780:                              ;   in Loop: Header=BB184_487 Depth=1
	v_ffbh_u32_e32 v7, v5
	v_min_u32_e32 v7, 32, v7
	v_subrev_nc_u32_e32 v9, 28, v7
	v_sub_nc_u32_e32 v7, 29, v7
	v_lshlrev_b64 v[21:22], v9, v[5:6]
	v_and_b32_e32 v5, 7, v21
; %bb.781:                              ;   in Loop: Header=BB184_487 Depth=1
	s_or_b32 exec_lo, exec_lo, s27
	v_lshlrev_b32_sdwa v9, v48, v88 dst_sel:DWORD dst_unused:UNUSED_PAD src0_sel:DWORD src1_sel:WORD_1
	v_lshlrev_b32_e32 v5, 20, v5
	v_lshl_add_u32 v7, v7, 23, 0x3c000000
	v_and_b32_e32 v9, 0x80000000, v9
	v_or3_b32 v5, v5, v9, v7
	v_mov_b32_e32 v22, v6
	v_mov_b32_e32 v21, v5
.LBB184_782:                            ;   in Loop: Header=BB184_487 Depth=1
	s_or_b32 exec_lo, exec_lo, s26
.LBB184_783:                            ;   in Loop: Header=BB184_487 Depth=1
	s_or_b32 exec_lo, exec_lo, s22
.LBB184_784:                            ;   in Loop: Header=BB184_487 Depth=1
	s_or_b32 exec_lo, exec_lo, s21
	s_mov_b32 s21, exec_lo
	v_cmpx_lt_u32_e32 0xffffff, v88
	s_cbranch_execz .LBB184_792
; %bb.785:                              ;   in Loop: Header=BB184_487 Depth=1
	v_mov_b32_e32 v7, v6
	v_mov_b32_e32 v24, v8
	v_cmp_ne_u32_sdwa s0, v88, v44 src0_sel:BYTE_3 src1_sel:DWORD
	v_mov_b32_e32 v23, v7
	s_and_saveexec_b32 s22, s0
	s_cbranch_execz .LBB184_791
; %bb.786:                              ;   in Loop: Header=BB184_487 Depth=1
	v_mov_b32_e32 v9, v6
	v_mov_b32_e32 v24, v10
	v_bfe_u32 v89, v88, 24, 7
	s_mov_b32 s26, exec_lo
	v_mov_b32_e32 v23, v9
	v_cmpx_ne_u32_e32 0x7f, v89
	s_cbranch_execz .LBB184_790
; %bb.787:                              ;   in Loop: Header=BB184_487 Depth=1
	v_and_b32_sdwa v5, v88, v47 dst_sel:DWORD dst_unused:UNUSED_PAD src0_sel:BYTE_3 src1_sel:DWORD
	v_lshrrev_b32_e32 v7, 3, v89
	s_mov_b32 s27, exec_lo
	v_cmpx_gt_u32_e32 8, v89
; %bb.788:                              ;   in Loop: Header=BB184_487 Depth=1
	v_ffbh_u32_e32 v7, v5
	v_min_u32_e32 v7, 32, v7
	v_subrev_nc_u32_e32 v9, 28, v7
	v_sub_nc_u32_e32 v7, 29, v7
	v_lshlrev_b64 v[23:24], v9, v[5:6]
	v_and_b32_e32 v5, 7, v23
; %bb.789:                              ;   in Loop: Header=BB184_487 Depth=1
	s_or_b32 exec_lo, exec_lo, s27
	v_lshlrev_b32_sdwa v9, v48, v88 dst_sel:DWORD dst_unused:UNUSED_PAD src0_sel:DWORD src1_sel:BYTE_3
	v_lshlrev_b32_e32 v5, 20, v5
	v_lshl_add_u32 v7, v7, 23, 0x3c000000
	v_mov_b32_e32 v23, v6
	v_and_b32_e32 v9, 0x80000000, v9
	v_or3_b32 v24, v5, v9, v7
.LBB184_790:                            ;   in Loop: Header=BB184_487 Depth=1
	s_or_b32 exec_lo, exec_lo, s26
.LBB184_791:                            ;   in Loop: Header=BB184_487 Depth=1
	s_or_b32 exec_lo, exec_lo, s22
.LBB184_792:                            ;   in Loop: Header=BB184_487 Depth=1
	s_or_b32 exec_lo, exec_lo, s21
	v_or_b32_e32 v5, v20, v18
	v_or_b32_e32 v7, v19, v17
	;; [unrolled: 1-line block ×4, first 2 shown]
	v_mul_f32_e32 v90, s18, v5
	v_mul_f32_e32 v91, s17, v7
	;; [unrolled: 1-line block ×4, first 2 shown]
	s_and_saveexec_b32 s21, vcc_lo
	s_cbranch_execz .LBB184_794
; %bb.793:                              ;   in Loop: Header=BB184_487 Depth=1
	v_cmp_gt_i32_e64 s0, s33, v56
	v_cndmask_b32_e64 v91, 0, v91, s0
	v_cmp_gt_i32_e64 s0, s33, v59
	v_cndmask_b32_e64 v90, 0, v90, s0
	;; [unrolled: 2-line block ×4, first 2 shown]
.LBB184_794:                            ;   in Loop: Header=BB184_487 Depth=1
	s_or_b32 exec_lo, exec_lo, s21
	global_load_dword v92, v[15:16], off offset:1152
	v_mov_b32_e32 v19, 0
	v_mov_b32_e32 v17, 0
	;; [unrolled: 1-line block ×4, first 2 shown]
	s_waitcnt vmcnt(0)
	v_cmp_ne_u16_sdwa s0, v92, v6 src0_sel:BYTE_0 src1_sel:DWORD
	s_and_saveexec_b32 s21, s0
	s_cbranch_execz .LBB184_802
; %bb.795:                              ;   in Loop: Header=BB184_487 Depth=1
	v_bfrev_b32_e32 v17, 1
	v_mov_b32_e32 v18, 0
	v_cmp_ne_u16_sdwa s0, v92, v44 src0_sel:BYTE_0 src1_sel:DWORD
	s_and_saveexec_b32 s22, s0
	s_cbranch_execz .LBB184_801
; %bb.796:                              ;   in Loop: Header=BB184_487 Depth=1
	v_mov_b32_e32 v17, 0x7f800001
	v_and_b32_e32 v9, 0x7f, v92
	v_mov_b32_e32 v18, 0
	s_mov_b32 s26, exec_lo
	v_cmpx_ne_u32_e32 0x7f, v9
	s_cbranch_execz .LBB184_800
; %bb.797:                              ;   in Loop: Header=BB184_487 Depth=1
	v_and_b32_e32 v5, 7, v92
	v_lshrrev_b32_e32 v7, 3, v9
	s_mov_b32 s27, exec_lo
	v_cmpx_gt_u32_e32 8, v9
; %bb.798:                              ;   in Loop: Header=BB184_487 Depth=1
	v_ffbh_u32_e32 v7, v5
	v_min_u32_e32 v7, 32, v7
	v_subrev_nc_u32_e32 v9, 28, v7
	v_sub_nc_u32_e32 v7, 29, v7
	v_lshlrev_b64 v[17:18], v9, v[5:6]
	v_and_b32_e32 v5, 7, v17
; %bb.799:                              ;   in Loop: Header=BB184_487 Depth=1
	s_or_b32 exec_lo, exec_lo, s27
	v_lshlrev_b32_e32 v9, 24, v92
	v_lshlrev_b32_e32 v5, 20, v5
	v_lshl_add_u32 v7, v7, 23, 0x3c000000
	v_and_b32_e32 v9, 0x80000000, v9
	v_or3_b32 v5, v5, v9, v7
	v_mov_b32_e32 v18, v6
	v_mov_b32_e32 v17, v5
.LBB184_800:                            ;   in Loop: Header=BB184_487 Depth=1
	s_or_b32 exec_lo, exec_lo, s26
.LBB184_801:                            ;   in Loop: Header=BB184_487 Depth=1
	s_or_b32 exec_lo, exec_lo, s22
.LBB184_802:                            ;   in Loop: Header=BB184_487 Depth=1
	s_or_b32 exec_lo, exec_lo, s21
	v_cmp_ne_u16_sdwa s0, v92, v6 src0_sel:BYTE_1 src1_sel:DWORD
	s_and_saveexec_b32 s21, s0
	s_cbranch_execz .LBB184_810
; %bb.803:                              ;   in Loop: Header=BB184_487 Depth=1
	v_mov_b32_e32 v7, v6
	v_mov_b32_e32 v20, v8
	v_cmp_ne_u16_sdwa s0, v92, v44 src0_sel:BYTE_1 src1_sel:DWORD
	v_mov_b32_e32 v19, v7
	s_and_saveexec_b32 s22, s0
	s_cbranch_execz .LBB184_809
; %bb.804:                              ;   in Loop: Header=BB184_487 Depth=1
	v_and_b32_sdwa v5, v45, v92 dst_sel:DWORD dst_unused:UNUSED_PAD src0_sel:DWORD src1_sel:BYTE_1
	v_mov_b32_e32 v9, v6
	v_mov_b32_e32 v20, v10
	s_mov_b32 s26, exec_lo
	v_and_b32_e32 v21, 0x7f, v5
	v_mov_b32_e32 v19, v9
	v_cmpx_ne_u32_e32 0x7f, v21
	s_cbranch_execz .LBB184_808
; %bb.805:                              ;   in Loop: Header=BB184_487 Depth=1
	v_and_b32_e32 v5, 7, v5
	v_lshrrev_b32_e32 v7, 3, v21
	s_mov_b32 s27, exec_lo
	v_cmpx_gt_u32_e32 8, v21
; %bb.806:                              ;   in Loop: Header=BB184_487 Depth=1
	v_ffbh_u32_e32 v7, v5
	v_min_u32_e32 v7, 32, v7
	v_subrev_nc_u32_e32 v9, 28, v7
	v_sub_nc_u32_e32 v7, 29, v7
	v_lshlrev_b64 v[19:20], v9, v[5:6]
	v_and_b32_e32 v5, 7, v19
; %bb.807:                              ;   in Loop: Header=BB184_487 Depth=1
	s_or_b32 exec_lo, exec_lo, s27
	v_lshlrev_b32_e32 v9, 16, v92
	v_lshlrev_b32_e32 v5, 20, v5
	v_lshl_add_u32 v7, v7, 23, 0x3c000000
	v_mov_b32_e32 v19, v6
	v_and_b32_e32 v9, 0x80000000, v9
	v_or3_b32 v20, v5, v9, v7
.LBB184_808:                            ;   in Loop: Header=BB184_487 Depth=1
	s_or_b32 exec_lo, exec_lo, s26
.LBB184_809:                            ;   in Loop: Header=BB184_487 Depth=1
	s_or_b32 exec_lo, exec_lo, s22
.LBB184_810:                            ;   in Loop: Header=BB184_487 Depth=1
	s_or_b32 exec_lo, exec_lo, s21
	v_mov_b32_e32 v23, 0
	v_mov_b32_e32 v21, 0
	v_and_b32_sdwa v5, v92, v46 dst_sel:DWORD dst_unused:UNUSED_PAD src0_sel:WORD_1 src1_sel:DWORD
	v_mov_b32_e32 v24, 0
	v_mov_b32_e32 v22, 0
	s_mov_b32 s21, exec_lo
	v_cmpx_ne_u16_e32 0, v5
	s_cbranch_execz .LBB184_818
; %bb.811:                              ;   in Loop: Header=BB184_487 Depth=1
	v_bfrev_b32_e32 v21, 1
	v_mov_b32_e32 v22, 0
	s_mov_b32 s22, exec_lo
	v_cmpx_ne_u16_e32 0x80, v5
	s_cbranch_execz .LBB184_817
; %bb.812:                              ;   in Loop: Header=BB184_487 Depth=1
	v_mov_b32_e32 v21, 0x7f800001
	v_bfe_u32 v9, v92, 16, 7
	v_mov_b32_e32 v22, 0
	s_mov_b32 s26, exec_lo
	v_cmpx_ne_u32_e32 0x7f, v9
	s_cbranch_execz .LBB184_816
; %bb.813:                              ;   in Loop: Header=BB184_487 Depth=1
	v_and_b32_sdwa v5, v92, v47 dst_sel:DWORD dst_unused:UNUSED_PAD src0_sel:WORD_1 src1_sel:DWORD
	v_lshrrev_b32_e32 v7, 3, v9
	s_mov_b32 s27, exec_lo
	v_cmpx_gt_u32_e32 8, v9
; %bb.814:                              ;   in Loop: Header=BB184_487 Depth=1
	v_ffbh_u32_e32 v7, v5
	v_min_u32_e32 v7, 32, v7
	v_subrev_nc_u32_e32 v9, 28, v7
	v_sub_nc_u32_e32 v7, 29, v7
	v_lshlrev_b64 v[21:22], v9, v[5:6]
	v_and_b32_e32 v5, 7, v21
; %bb.815:                              ;   in Loop: Header=BB184_487 Depth=1
	s_or_b32 exec_lo, exec_lo, s27
	v_lshlrev_b32_sdwa v9, v48, v92 dst_sel:DWORD dst_unused:UNUSED_PAD src0_sel:DWORD src1_sel:WORD_1
	v_lshlrev_b32_e32 v5, 20, v5
	v_lshl_add_u32 v7, v7, 23, 0x3c000000
	v_and_b32_e32 v9, 0x80000000, v9
	v_or3_b32 v5, v5, v9, v7
	v_mov_b32_e32 v22, v6
	v_mov_b32_e32 v21, v5
.LBB184_816:                            ;   in Loop: Header=BB184_487 Depth=1
	s_or_b32 exec_lo, exec_lo, s26
.LBB184_817:                            ;   in Loop: Header=BB184_487 Depth=1
	s_or_b32 exec_lo, exec_lo, s22
.LBB184_818:                            ;   in Loop: Header=BB184_487 Depth=1
	s_or_b32 exec_lo, exec_lo, s21
	s_mov_b32 s21, exec_lo
	v_cmpx_lt_u32_e32 0xffffff, v92
	s_cbranch_execz .LBB184_826
; %bb.819:                              ;   in Loop: Header=BB184_487 Depth=1
	v_mov_b32_e32 v7, v6
	v_mov_b32_e32 v24, v8
	v_cmp_ne_u32_sdwa s0, v92, v44 src0_sel:BYTE_3 src1_sel:DWORD
	v_mov_b32_e32 v23, v7
	s_and_saveexec_b32 s22, s0
	s_cbranch_execz .LBB184_825
; %bb.820:                              ;   in Loop: Header=BB184_487 Depth=1
	v_mov_b32_e32 v9, v6
	v_mov_b32_e32 v24, v10
	v_bfe_u32 v93, v92, 24, 7
	s_mov_b32 s26, exec_lo
	v_mov_b32_e32 v23, v9
	v_cmpx_ne_u32_e32 0x7f, v93
	s_cbranch_execz .LBB184_824
; %bb.821:                              ;   in Loop: Header=BB184_487 Depth=1
	v_and_b32_sdwa v5, v92, v47 dst_sel:DWORD dst_unused:UNUSED_PAD src0_sel:BYTE_3 src1_sel:DWORD
	v_lshrrev_b32_e32 v7, 3, v93
	s_mov_b32 s27, exec_lo
	v_cmpx_gt_u32_e32 8, v93
; %bb.822:                              ;   in Loop: Header=BB184_487 Depth=1
	v_ffbh_u32_e32 v7, v5
	v_min_u32_e32 v7, 32, v7
	v_subrev_nc_u32_e32 v9, 28, v7
	v_sub_nc_u32_e32 v7, 29, v7
	v_lshlrev_b64 v[23:24], v9, v[5:6]
	v_and_b32_e32 v5, 7, v23
; %bb.823:                              ;   in Loop: Header=BB184_487 Depth=1
	s_or_b32 exec_lo, exec_lo, s27
	v_lshlrev_b32_sdwa v9, v48, v92 dst_sel:DWORD dst_unused:UNUSED_PAD src0_sel:DWORD src1_sel:BYTE_3
	v_lshlrev_b32_e32 v5, 20, v5
	v_lshl_add_u32 v7, v7, 23, 0x3c000000
	v_mov_b32_e32 v23, v6
	v_and_b32_e32 v9, 0x80000000, v9
	v_or3_b32 v24, v5, v9, v7
.LBB184_824:                            ;   in Loop: Header=BB184_487 Depth=1
	s_or_b32 exec_lo, exec_lo, s26
.LBB184_825:                            ;   in Loop: Header=BB184_487 Depth=1
	s_or_b32 exec_lo, exec_lo, s22
.LBB184_826:                            ;   in Loop: Header=BB184_487 Depth=1
	s_or_b32 exec_lo, exec_lo, s21
	v_or_b32_e32 v5, v20, v18
	v_or_b32_e32 v7, v19, v17
	;; [unrolled: 1-line block ×4, first 2 shown]
	v_mul_f32_e32 v94, s18, v5
	v_mul_f32_e32 v95, s17, v7
	;; [unrolled: 1-line block ×4, first 2 shown]
	s_and_saveexec_b32 s21, vcc_lo
	s_cbranch_execz .LBB184_828
; %bb.827:                              ;   in Loop: Header=BB184_487 Depth=1
	v_cmp_gt_i32_e64 s0, s33, v56
	v_cndmask_b32_e64 v95, 0, v95, s0
	v_cmp_gt_i32_e64 s0, s33, v59
	v_cndmask_b32_e64 v94, 0, v94, s0
	;; [unrolled: 2-line block ×4, first 2 shown]
.LBB184_828:                            ;   in Loop: Header=BB184_487 Depth=1
	s_or_b32 exec_lo, exec_lo, s21
	global_load_dword v96, v[15:16], off offset:1280
	v_mov_b32_e32 v19, 0
	v_mov_b32_e32 v17, 0
	;; [unrolled: 1-line block ×4, first 2 shown]
	s_waitcnt vmcnt(0)
	v_cmp_ne_u16_sdwa s0, v96, v6 src0_sel:BYTE_0 src1_sel:DWORD
	s_and_saveexec_b32 s21, s0
	s_cbranch_execz .LBB184_836
; %bb.829:                              ;   in Loop: Header=BB184_487 Depth=1
	v_bfrev_b32_e32 v17, 1
	v_mov_b32_e32 v18, 0
	v_cmp_ne_u16_sdwa s0, v96, v44 src0_sel:BYTE_0 src1_sel:DWORD
	s_and_saveexec_b32 s22, s0
	s_cbranch_execz .LBB184_835
; %bb.830:                              ;   in Loop: Header=BB184_487 Depth=1
	v_mov_b32_e32 v17, 0x7f800001
	v_and_b32_e32 v9, 0x7f, v96
	v_mov_b32_e32 v18, 0
	s_mov_b32 s26, exec_lo
	v_cmpx_ne_u32_e32 0x7f, v9
	s_cbranch_execz .LBB184_834
; %bb.831:                              ;   in Loop: Header=BB184_487 Depth=1
	v_and_b32_e32 v5, 7, v96
	v_lshrrev_b32_e32 v7, 3, v9
	s_mov_b32 s27, exec_lo
	v_cmpx_gt_u32_e32 8, v9
; %bb.832:                              ;   in Loop: Header=BB184_487 Depth=1
	v_ffbh_u32_e32 v7, v5
	v_min_u32_e32 v7, 32, v7
	v_subrev_nc_u32_e32 v9, 28, v7
	v_sub_nc_u32_e32 v7, 29, v7
	v_lshlrev_b64 v[17:18], v9, v[5:6]
	v_and_b32_e32 v5, 7, v17
; %bb.833:                              ;   in Loop: Header=BB184_487 Depth=1
	s_or_b32 exec_lo, exec_lo, s27
	v_lshlrev_b32_e32 v9, 24, v96
	v_lshlrev_b32_e32 v5, 20, v5
	v_lshl_add_u32 v7, v7, 23, 0x3c000000
	v_and_b32_e32 v9, 0x80000000, v9
	v_or3_b32 v5, v5, v9, v7
	v_mov_b32_e32 v18, v6
	v_mov_b32_e32 v17, v5
.LBB184_834:                            ;   in Loop: Header=BB184_487 Depth=1
	s_or_b32 exec_lo, exec_lo, s26
.LBB184_835:                            ;   in Loop: Header=BB184_487 Depth=1
	s_or_b32 exec_lo, exec_lo, s22
.LBB184_836:                            ;   in Loop: Header=BB184_487 Depth=1
	s_or_b32 exec_lo, exec_lo, s21
	v_cmp_ne_u16_sdwa s0, v96, v6 src0_sel:BYTE_1 src1_sel:DWORD
	s_and_saveexec_b32 s21, s0
	s_cbranch_execz .LBB184_844
; %bb.837:                              ;   in Loop: Header=BB184_487 Depth=1
	v_mov_b32_e32 v7, v6
	v_mov_b32_e32 v20, v8
	v_cmp_ne_u16_sdwa s0, v96, v44 src0_sel:BYTE_1 src1_sel:DWORD
	v_mov_b32_e32 v19, v7
	s_and_saveexec_b32 s22, s0
	s_cbranch_execz .LBB184_843
; %bb.838:                              ;   in Loop: Header=BB184_487 Depth=1
	v_and_b32_sdwa v5, v45, v96 dst_sel:DWORD dst_unused:UNUSED_PAD src0_sel:DWORD src1_sel:BYTE_1
	v_mov_b32_e32 v9, v6
	v_mov_b32_e32 v20, v10
	s_mov_b32 s26, exec_lo
	v_and_b32_e32 v21, 0x7f, v5
	v_mov_b32_e32 v19, v9
	v_cmpx_ne_u32_e32 0x7f, v21
	s_cbranch_execz .LBB184_842
; %bb.839:                              ;   in Loop: Header=BB184_487 Depth=1
	v_and_b32_e32 v5, 7, v5
	v_lshrrev_b32_e32 v7, 3, v21
	s_mov_b32 s27, exec_lo
	v_cmpx_gt_u32_e32 8, v21
; %bb.840:                              ;   in Loop: Header=BB184_487 Depth=1
	v_ffbh_u32_e32 v7, v5
	v_min_u32_e32 v7, 32, v7
	v_subrev_nc_u32_e32 v9, 28, v7
	v_sub_nc_u32_e32 v7, 29, v7
	v_lshlrev_b64 v[19:20], v9, v[5:6]
	v_and_b32_e32 v5, 7, v19
; %bb.841:                              ;   in Loop: Header=BB184_487 Depth=1
	s_or_b32 exec_lo, exec_lo, s27
	v_lshlrev_b32_e32 v9, 16, v96
	v_lshlrev_b32_e32 v5, 20, v5
	v_lshl_add_u32 v7, v7, 23, 0x3c000000
	v_mov_b32_e32 v19, v6
	v_and_b32_e32 v9, 0x80000000, v9
	v_or3_b32 v20, v5, v9, v7
.LBB184_842:                            ;   in Loop: Header=BB184_487 Depth=1
	s_or_b32 exec_lo, exec_lo, s26
.LBB184_843:                            ;   in Loop: Header=BB184_487 Depth=1
	s_or_b32 exec_lo, exec_lo, s22
.LBB184_844:                            ;   in Loop: Header=BB184_487 Depth=1
	s_or_b32 exec_lo, exec_lo, s21
	v_mov_b32_e32 v23, 0
	v_mov_b32_e32 v21, 0
	v_and_b32_sdwa v5, v96, v46 dst_sel:DWORD dst_unused:UNUSED_PAD src0_sel:WORD_1 src1_sel:DWORD
	v_mov_b32_e32 v24, 0
	v_mov_b32_e32 v22, 0
	s_mov_b32 s21, exec_lo
	v_cmpx_ne_u16_e32 0, v5
	s_cbranch_execz .LBB184_852
; %bb.845:                              ;   in Loop: Header=BB184_487 Depth=1
	v_bfrev_b32_e32 v21, 1
	v_mov_b32_e32 v22, 0
	s_mov_b32 s22, exec_lo
	v_cmpx_ne_u16_e32 0x80, v5
	s_cbranch_execz .LBB184_851
; %bb.846:                              ;   in Loop: Header=BB184_487 Depth=1
	v_mov_b32_e32 v21, 0x7f800001
	v_bfe_u32 v9, v96, 16, 7
	v_mov_b32_e32 v22, 0
	s_mov_b32 s26, exec_lo
	v_cmpx_ne_u32_e32 0x7f, v9
	s_cbranch_execz .LBB184_850
; %bb.847:                              ;   in Loop: Header=BB184_487 Depth=1
	v_and_b32_sdwa v5, v96, v47 dst_sel:DWORD dst_unused:UNUSED_PAD src0_sel:WORD_1 src1_sel:DWORD
	v_lshrrev_b32_e32 v7, 3, v9
	s_mov_b32 s27, exec_lo
	v_cmpx_gt_u32_e32 8, v9
; %bb.848:                              ;   in Loop: Header=BB184_487 Depth=1
	v_ffbh_u32_e32 v7, v5
	v_min_u32_e32 v7, 32, v7
	v_subrev_nc_u32_e32 v9, 28, v7
	v_sub_nc_u32_e32 v7, 29, v7
	v_lshlrev_b64 v[21:22], v9, v[5:6]
	v_and_b32_e32 v5, 7, v21
; %bb.849:                              ;   in Loop: Header=BB184_487 Depth=1
	s_or_b32 exec_lo, exec_lo, s27
	v_lshlrev_b32_sdwa v9, v48, v96 dst_sel:DWORD dst_unused:UNUSED_PAD src0_sel:DWORD src1_sel:WORD_1
	v_lshlrev_b32_e32 v5, 20, v5
	v_lshl_add_u32 v7, v7, 23, 0x3c000000
	v_and_b32_e32 v9, 0x80000000, v9
	v_or3_b32 v5, v5, v9, v7
	v_mov_b32_e32 v22, v6
	v_mov_b32_e32 v21, v5
.LBB184_850:                            ;   in Loop: Header=BB184_487 Depth=1
	s_or_b32 exec_lo, exec_lo, s26
.LBB184_851:                            ;   in Loop: Header=BB184_487 Depth=1
	s_or_b32 exec_lo, exec_lo, s22
.LBB184_852:                            ;   in Loop: Header=BB184_487 Depth=1
	s_or_b32 exec_lo, exec_lo, s21
	s_mov_b32 s21, exec_lo
	v_cmpx_lt_u32_e32 0xffffff, v96
	s_cbranch_execz .LBB184_860
; %bb.853:                              ;   in Loop: Header=BB184_487 Depth=1
	v_mov_b32_e32 v7, v6
	v_mov_b32_e32 v24, v8
	v_cmp_ne_u32_sdwa s0, v96, v44 src0_sel:BYTE_3 src1_sel:DWORD
	v_mov_b32_e32 v23, v7
	s_and_saveexec_b32 s22, s0
	s_cbranch_execz .LBB184_859
; %bb.854:                              ;   in Loop: Header=BB184_487 Depth=1
	v_mov_b32_e32 v9, v6
	v_mov_b32_e32 v24, v10
	v_bfe_u32 v97, v96, 24, 7
	s_mov_b32 s26, exec_lo
	v_mov_b32_e32 v23, v9
	v_cmpx_ne_u32_e32 0x7f, v97
	s_cbranch_execz .LBB184_858
; %bb.855:                              ;   in Loop: Header=BB184_487 Depth=1
	v_and_b32_sdwa v5, v96, v47 dst_sel:DWORD dst_unused:UNUSED_PAD src0_sel:BYTE_3 src1_sel:DWORD
	v_lshrrev_b32_e32 v7, 3, v97
	s_mov_b32 s27, exec_lo
	v_cmpx_gt_u32_e32 8, v97
; %bb.856:                              ;   in Loop: Header=BB184_487 Depth=1
	v_ffbh_u32_e32 v7, v5
	v_min_u32_e32 v7, 32, v7
	v_subrev_nc_u32_e32 v9, 28, v7
	v_sub_nc_u32_e32 v7, 29, v7
	v_lshlrev_b64 v[23:24], v9, v[5:6]
	v_and_b32_e32 v5, 7, v23
; %bb.857:                              ;   in Loop: Header=BB184_487 Depth=1
	s_or_b32 exec_lo, exec_lo, s27
	v_lshlrev_b32_sdwa v9, v48, v96 dst_sel:DWORD dst_unused:UNUSED_PAD src0_sel:DWORD src1_sel:BYTE_3
	v_lshlrev_b32_e32 v5, 20, v5
	v_lshl_add_u32 v7, v7, 23, 0x3c000000
	v_mov_b32_e32 v23, v6
	v_and_b32_e32 v9, 0x80000000, v9
	v_or3_b32 v24, v5, v9, v7
.LBB184_858:                            ;   in Loop: Header=BB184_487 Depth=1
	s_or_b32 exec_lo, exec_lo, s26
.LBB184_859:                            ;   in Loop: Header=BB184_487 Depth=1
	s_or_b32 exec_lo, exec_lo, s22
.LBB184_860:                            ;   in Loop: Header=BB184_487 Depth=1
	s_or_b32 exec_lo, exec_lo, s21
	v_or_b32_e32 v5, v20, v18
	v_or_b32_e32 v7, v19, v17
	;; [unrolled: 1-line block ×4, first 2 shown]
	v_mul_f32_e32 v98, s18, v5
	v_mul_f32_e32 v99, s17, v7
	;; [unrolled: 1-line block ×4, first 2 shown]
	s_and_saveexec_b32 s21, vcc_lo
	s_cbranch_execz .LBB184_862
; %bb.861:                              ;   in Loop: Header=BB184_487 Depth=1
	v_cmp_gt_i32_e64 s0, s33, v56
	v_cndmask_b32_e64 v99, 0, v99, s0
	v_cmp_gt_i32_e64 s0, s33, v59
	v_cndmask_b32_e64 v98, 0, v98, s0
	;; [unrolled: 2-line block ×4, first 2 shown]
.LBB184_862:                            ;   in Loop: Header=BB184_487 Depth=1
	s_or_b32 exec_lo, exec_lo, s21
	global_load_dword v100, v[15:16], off offset:1408
	v_mov_b32_e32 v19, 0
	v_mov_b32_e32 v17, 0
	;; [unrolled: 1-line block ×4, first 2 shown]
	s_waitcnt vmcnt(0)
	v_cmp_ne_u16_sdwa s0, v100, v6 src0_sel:BYTE_0 src1_sel:DWORD
	s_and_saveexec_b32 s21, s0
	s_cbranch_execz .LBB184_870
; %bb.863:                              ;   in Loop: Header=BB184_487 Depth=1
	v_bfrev_b32_e32 v17, 1
	v_mov_b32_e32 v18, 0
	v_cmp_ne_u16_sdwa s0, v100, v44 src0_sel:BYTE_0 src1_sel:DWORD
	s_and_saveexec_b32 s22, s0
	s_cbranch_execz .LBB184_869
; %bb.864:                              ;   in Loop: Header=BB184_487 Depth=1
	v_mov_b32_e32 v17, 0x7f800001
	v_and_b32_e32 v9, 0x7f, v100
	v_mov_b32_e32 v18, 0
	s_mov_b32 s26, exec_lo
	v_cmpx_ne_u32_e32 0x7f, v9
	s_cbranch_execz .LBB184_868
; %bb.865:                              ;   in Loop: Header=BB184_487 Depth=1
	v_and_b32_e32 v5, 7, v100
	v_lshrrev_b32_e32 v7, 3, v9
	s_mov_b32 s27, exec_lo
	v_cmpx_gt_u32_e32 8, v9
; %bb.866:                              ;   in Loop: Header=BB184_487 Depth=1
	v_ffbh_u32_e32 v7, v5
	v_min_u32_e32 v7, 32, v7
	v_subrev_nc_u32_e32 v9, 28, v7
	v_sub_nc_u32_e32 v7, 29, v7
	v_lshlrev_b64 v[17:18], v9, v[5:6]
	v_and_b32_e32 v5, 7, v17
; %bb.867:                              ;   in Loop: Header=BB184_487 Depth=1
	s_or_b32 exec_lo, exec_lo, s27
	v_lshlrev_b32_e32 v9, 24, v100
	v_lshlrev_b32_e32 v5, 20, v5
	v_lshl_add_u32 v7, v7, 23, 0x3c000000
	v_and_b32_e32 v9, 0x80000000, v9
	v_or3_b32 v5, v5, v9, v7
	v_mov_b32_e32 v18, v6
	v_mov_b32_e32 v17, v5
.LBB184_868:                            ;   in Loop: Header=BB184_487 Depth=1
	s_or_b32 exec_lo, exec_lo, s26
.LBB184_869:                            ;   in Loop: Header=BB184_487 Depth=1
	s_or_b32 exec_lo, exec_lo, s22
.LBB184_870:                            ;   in Loop: Header=BB184_487 Depth=1
	s_or_b32 exec_lo, exec_lo, s21
	v_cmp_ne_u16_sdwa s0, v100, v6 src0_sel:BYTE_1 src1_sel:DWORD
	s_and_saveexec_b32 s21, s0
	s_cbranch_execz .LBB184_878
; %bb.871:                              ;   in Loop: Header=BB184_487 Depth=1
	v_mov_b32_e32 v7, v6
	v_mov_b32_e32 v20, v8
	v_cmp_ne_u16_sdwa s0, v100, v44 src0_sel:BYTE_1 src1_sel:DWORD
	v_mov_b32_e32 v19, v7
	s_and_saveexec_b32 s22, s0
	s_cbranch_execz .LBB184_877
; %bb.872:                              ;   in Loop: Header=BB184_487 Depth=1
	v_and_b32_sdwa v5, v45, v100 dst_sel:DWORD dst_unused:UNUSED_PAD src0_sel:DWORD src1_sel:BYTE_1
	v_mov_b32_e32 v9, v6
	v_mov_b32_e32 v20, v10
	s_mov_b32 s26, exec_lo
	v_and_b32_e32 v21, 0x7f, v5
	v_mov_b32_e32 v19, v9
	v_cmpx_ne_u32_e32 0x7f, v21
	s_cbranch_execz .LBB184_876
; %bb.873:                              ;   in Loop: Header=BB184_487 Depth=1
	v_and_b32_e32 v5, 7, v5
	v_lshrrev_b32_e32 v7, 3, v21
	s_mov_b32 s27, exec_lo
	v_cmpx_gt_u32_e32 8, v21
; %bb.874:                              ;   in Loop: Header=BB184_487 Depth=1
	v_ffbh_u32_e32 v7, v5
	v_min_u32_e32 v7, 32, v7
	v_subrev_nc_u32_e32 v9, 28, v7
	v_sub_nc_u32_e32 v7, 29, v7
	v_lshlrev_b64 v[19:20], v9, v[5:6]
	v_and_b32_e32 v5, 7, v19
; %bb.875:                              ;   in Loop: Header=BB184_487 Depth=1
	s_or_b32 exec_lo, exec_lo, s27
	v_lshlrev_b32_e32 v9, 16, v100
	v_lshlrev_b32_e32 v5, 20, v5
	v_lshl_add_u32 v7, v7, 23, 0x3c000000
	v_mov_b32_e32 v19, v6
	v_and_b32_e32 v9, 0x80000000, v9
	v_or3_b32 v20, v5, v9, v7
.LBB184_876:                            ;   in Loop: Header=BB184_487 Depth=1
	s_or_b32 exec_lo, exec_lo, s26
.LBB184_877:                            ;   in Loop: Header=BB184_487 Depth=1
	s_or_b32 exec_lo, exec_lo, s22
.LBB184_878:                            ;   in Loop: Header=BB184_487 Depth=1
	s_or_b32 exec_lo, exec_lo, s21
	v_mov_b32_e32 v23, 0
	v_mov_b32_e32 v21, 0
	v_and_b32_sdwa v5, v100, v46 dst_sel:DWORD dst_unused:UNUSED_PAD src0_sel:WORD_1 src1_sel:DWORD
	v_mov_b32_e32 v24, 0
	v_mov_b32_e32 v22, 0
	s_mov_b32 s21, exec_lo
	v_cmpx_ne_u16_e32 0, v5
	s_cbranch_execz .LBB184_886
; %bb.879:                              ;   in Loop: Header=BB184_487 Depth=1
	v_bfrev_b32_e32 v21, 1
	v_mov_b32_e32 v22, 0
	s_mov_b32 s22, exec_lo
	v_cmpx_ne_u16_e32 0x80, v5
	s_cbranch_execz .LBB184_885
; %bb.880:                              ;   in Loop: Header=BB184_487 Depth=1
	v_mov_b32_e32 v21, 0x7f800001
	v_bfe_u32 v9, v100, 16, 7
	v_mov_b32_e32 v22, 0
	s_mov_b32 s26, exec_lo
	v_cmpx_ne_u32_e32 0x7f, v9
	s_cbranch_execz .LBB184_884
; %bb.881:                              ;   in Loop: Header=BB184_487 Depth=1
	v_and_b32_sdwa v5, v100, v47 dst_sel:DWORD dst_unused:UNUSED_PAD src0_sel:WORD_1 src1_sel:DWORD
	v_lshrrev_b32_e32 v7, 3, v9
	s_mov_b32 s27, exec_lo
	v_cmpx_gt_u32_e32 8, v9
; %bb.882:                              ;   in Loop: Header=BB184_487 Depth=1
	v_ffbh_u32_e32 v7, v5
	v_min_u32_e32 v7, 32, v7
	v_subrev_nc_u32_e32 v9, 28, v7
	v_sub_nc_u32_e32 v7, 29, v7
	v_lshlrev_b64 v[21:22], v9, v[5:6]
	v_and_b32_e32 v5, 7, v21
; %bb.883:                              ;   in Loop: Header=BB184_487 Depth=1
	s_or_b32 exec_lo, exec_lo, s27
	v_lshlrev_b32_sdwa v9, v48, v100 dst_sel:DWORD dst_unused:UNUSED_PAD src0_sel:DWORD src1_sel:WORD_1
	v_lshlrev_b32_e32 v5, 20, v5
	v_lshl_add_u32 v7, v7, 23, 0x3c000000
	v_and_b32_e32 v9, 0x80000000, v9
	v_or3_b32 v5, v5, v9, v7
	v_mov_b32_e32 v22, v6
	v_mov_b32_e32 v21, v5
.LBB184_884:                            ;   in Loop: Header=BB184_487 Depth=1
	s_or_b32 exec_lo, exec_lo, s26
.LBB184_885:                            ;   in Loop: Header=BB184_487 Depth=1
	s_or_b32 exec_lo, exec_lo, s22
.LBB184_886:                            ;   in Loop: Header=BB184_487 Depth=1
	s_or_b32 exec_lo, exec_lo, s21
	s_mov_b32 s21, exec_lo
	v_cmpx_lt_u32_e32 0xffffff, v100
	s_cbranch_execz .LBB184_894
; %bb.887:                              ;   in Loop: Header=BB184_487 Depth=1
	v_mov_b32_e32 v7, v6
	v_mov_b32_e32 v24, v8
	v_cmp_ne_u32_sdwa s0, v100, v44 src0_sel:BYTE_3 src1_sel:DWORD
	v_mov_b32_e32 v23, v7
	s_and_saveexec_b32 s22, s0
	s_cbranch_execz .LBB184_893
; %bb.888:                              ;   in Loop: Header=BB184_487 Depth=1
	v_mov_b32_e32 v9, v6
	v_mov_b32_e32 v24, v10
	v_bfe_u32 v101, v100, 24, 7
	s_mov_b32 s26, exec_lo
	v_mov_b32_e32 v23, v9
	v_cmpx_ne_u32_e32 0x7f, v101
	s_cbranch_execz .LBB184_892
; %bb.889:                              ;   in Loop: Header=BB184_487 Depth=1
	v_and_b32_sdwa v5, v100, v47 dst_sel:DWORD dst_unused:UNUSED_PAD src0_sel:BYTE_3 src1_sel:DWORD
	v_lshrrev_b32_e32 v7, 3, v101
	s_mov_b32 s27, exec_lo
	v_cmpx_gt_u32_e32 8, v101
; %bb.890:                              ;   in Loop: Header=BB184_487 Depth=1
	v_ffbh_u32_e32 v7, v5
	v_min_u32_e32 v7, 32, v7
	v_subrev_nc_u32_e32 v9, 28, v7
	v_sub_nc_u32_e32 v7, 29, v7
	v_lshlrev_b64 v[23:24], v9, v[5:6]
	v_and_b32_e32 v5, 7, v23
; %bb.891:                              ;   in Loop: Header=BB184_487 Depth=1
	s_or_b32 exec_lo, exec_lo, s27
	v_lshlrev_b32_sdwa v9, v48, v100 dst_sel:DWORD dst_unused:UNUSED_PAD src0_sel:DWORD src1_sel:BYTE_3
	v_lshlrev_b32_e32 v5, 20, v5
	v_lshl_add_u32 v7, v7, 23, 0x3c000000
	v_mov_b32_e32 v23, v6
	v_and_b32_e32 v9, 0x80000000, v9
	v_or3_b32 v24, v5, v9, v7
.LBB184_892:                            ;   in Loop: Header=BB184_487 Depth=1
	s_or_b32 exec_lo, exec_lo, s26
.LBB184_893:                            ;   in Loop: Header=BB184_487 Depth=1
	s_or_b32 exec_lo, exec_lo, s22
.LBB184_894:                            ;   in Loop: Header=BB184_487 Depth=1
	s_or_b32 exec_lo, exec_lo, s21
	v_or_b32_e32 v5, v20, v18
	v_or_b32_e32 v7, v19, v17
	;; [unrolled: 1-line block ×4, first 2 shown]
	v_mul_f32_e32 v102, s18, v5
	v_mul_f32_e32 v103, s17, v7
	;; [unrolled: 1-line block ×4, first 2 shown]
	s_and_saveexec_b32 s21, vcc_lo
	s_cbranch_execz .LBB184_896
; %bb.895:                              ;   in Loop: Header=BB184_487 Depth=1
	v_cmp_gt_i32_e64 s0, s33, v56
	v_cndmask_b32_e64 v103, 0, v103, s0
	v_cmp_gt_i32_e64 s0, s33, v59
	v_cndmask_b32_e64 v102, 0, v102, s0
	;; [unrolled: 2-line block ×4, first 2 shown]
.LBB184_896:                            ;   in Loop: Header=BB184_487 Depth=1
	s_or_b32 exec_lo, exec_lo, s21
	global_load_dword v104, v[15:16], off offset:1536
	v_mov_b32_e32 v19, 0
	v_mov_b32_e32 v17, 0
	;; [unrolled: 1-line block ×4, first 2 shown]
	s_waitcnt vmcnt(0)
	v_cmp_ne_u16_sdwa s0, v104, v6 src0_sel:BYTE_0 src1_sel:DWORD
	s_and_saveexec_b32 s21, s0
	s_cbranch_execz .LBB184_904
; %bb.897:                              ;   in Loop: Header=BB184_487 Depth=1
	v_bfrev_b32_e32 v17, 1
	v_mov_b32_e32 v18, 0
	v_cmp_ne_u16_sdwa s0, v104, v44 src0_sel:BYTE_0 src1_sel:DWORD
	s_and_saveexec_b32 s22, s0
	s_cbranch_execz .LBB184_903
; %bb.898:                              ;   in Loop: Header=BB184_487 Depth=1
	v_mov_b32_e32 v17, 0x7f800001
	v_and_b32_e32 v9, 0x7f, v104
	v_mov_b32_e32 v18, 0
	s_mov_b32 s26, exec_lo
	v_cmpx_ne_u32_e32 0x7f, v9
	s_cbranch_execz .LBB184_902
; %bb.899:                              ;   in Loop: Header=BB184_487 Depth=1
	v_and_b32_e32 v5, 7, v104
	v_lshrrev_b32_e32 v7, 3, v9
	s_mov_b32 s27, exec_lo
	v_cmpx_gt_u32_e32 8, v9
; %bb.900:                              ;   in Loop: Header=BB184_487 Depth=1
	v_ffbh_u32_e32 v7, v5
	v_min_u32_e32 v7, 32, v7
	v_subrev_nc_u32_e32 v9, 28, v7
	v_sub_nc_u32_e32 v7, 29, v7
	v_lshlrev_b64 v[17:18], v9, v[5:6]
	v_and_b32_e32 v5, 7, v17
; %bb.901:                              ;   in Loop: Header=BB184_487 Depth=1
	s_or_b32 exec_lo, exec_lo, s27
	v_lshlrev_b32_e32 v9, 24, v104
	v_lshlrev_b32_e32 v5, 20, v5
	v_lshl_add_u32 v7, v7, 23, 0x3c000000
	v_and_b32_e32 v9, 0x80000000, v9
	v_or3_b32 v5, v5, v9, v7
	v_mov_b32_e32 v18, v6
	v_mov_b32_e32 v17, v5
.LBB184_902:                            ;   in Loop: Header=BB184_487 Depth=1
	s_or_b32 exec_lo, exec_lo, s26
.LBB184_903:                            ;   in Loop: Header=BB184_487 Depth=1
	s_or_b32 exec_lo, exec_lo, s22
.LBB184_904:                            ;   in Loop: Header=BB184_487 Depth=1
	s_or_b32 exec_lo, exec_lo, s21
	v_cmp_ne_u16_sdwa s0, v104, v6 src0_sel:BYTE_1 src1_sel:DWORD
	s_and_saveexec_b32 s21, s0
	s_cbranch_execz .LBB184_912
; %bb.905:                              ;   in Loop: Header=BB184_487 Depth=1
	v_mov_b32_e32 v7, v6
	v_mov_b32_e32 v20, v8
	v_cmp_ne_u16_sdwa s0, v104, v44 src0_sel:BYTE_1 src1_sel:DWORD
	v_mov_b32_e32 v19, v7
	s_and_saveexec_b32 s22, s0
	s_cbranch_execz .LBB184_911
; %bb.906:                              ;   in Loop: Header=BB184_487 Depth=1
	v_and_b32_sdwa v5, v45, v104 dst_sel:DWORD dst_unused:UNUSED_PAD src0_sel:DWORD src1_sel:BYTE_1
	v_mov_b32_e32 v9, v6
	v_mov_b32_e32 v20, v10
	s_mov_b32 s26, exec_lo
	v_and_b32_e32 v21, 0x7f, v5
	v_mov_b32_e32 v19, v9
	v_cmpx_ne_u32_e32 0x7f, v21
	s_cbranch_execz .LBB184_910
; %bb.907:                              ;   in Loop: Header=BB184_487 Depth=1
	v_and_b32_e32 v5, 7, v5
	v_lshrrev_b32_e32 v7, 3, v21
	s_mov_b32 s27, exec_lo
	v_cmpx_gt_u32_e32 8, v21
; %bb.908:                              ;   in Loop: Header=BB184_487 Depth=1
	v_ffbh_u32_e32 v7, v5
	v_min_u32_e32 v7, 32, v7
	v_subrev_nc_u32_e32 v9, 28, v7
	v_sub_nc_u32_e32 v7, 29, v7
	v_lshlrev_b64 v[19:20], v9, v[5:6]
	v_and_b32_e32 v5, 7, v19
; %bb.909:                              ;   in Loop: Header=BB184_487 Depth=1
	s_or_b32 exec_lo, exec_lo, s27
	v_lshlrev_b32_e32 v9, 16, v104
	v_lshlrev_b32_e32 v5, 20, v5
	v_lshl_add_u32 v7, v7, 23, 0x3c000000
	v_mov_b32_e32 v19, v6
	v_and_b32_e32 v9, 0x80000000, v9
	v_or3_b32 v20, v5, v9, v7
.LBB184_910:                            ;   in Loop: Header=BB184_487 Depth=1
	s_or_b32 exec_lo, exec_lo, s26
.LBB184_911:                            ;   in Loop: Header=BB184_487 Depth=1
	s_or_b32 exec_lo, exec_lo, s22
.LBB184_912:                            ;   in Loop: Header=BB184_487 Depth=1
	s_or_b32 exec_lo, exec_lo, s21
	v_mov_b32_e32 v23, 0
	v_mov_b32_e32 v21, 0
	v_and_b32_sdwa v5, v104, v46 dst_sel:DWORD dst_unused:UNUSED_PAD src0_sel:WORD_1 src1_sel:DWORD
	v_mov_b32_e32 v24, 0
	v_mov_b32_e32 v22, 0
	s_mov_b32 s21, exec_lo
	v_cmpx_ne_u16_e32 0, v5
	s_cbranch_execz .LBB184_920
; %bb.913:                              ;   in Loop: Header=BB184_487 Depth=1
	v_bfrev_b32_e32 v21, 1
	v_mov_b32_e32 v22, 0
	s_mov_b32 s22, exec_lo
	v_cmpx_ne_u16_e32 0x80, v5
	s_cbranch_execz .LBB184_919
; %bb.914:                              ;   in Loop: Header=BB184_487 Depth=1
	v_mov_b32_e32 v21, 0x7f800001
	v_bfe_u32 v9, v104, 16, 7
	v_mov_b32_e32 v22, 0
	s_mov_b32 s26, exec_lo
	v_cmpx_ne_u32_e32 0x7f, v9
	s_cbranch_execz .LBB184_918
; %bb.915:                              ;   in Loop: Header=BB184_487 Depth=1
	v_and_b32_sdwa v5, v104, v47 dst_sel:DWORD dst_unused:UNUSED_PAD src0_sel:WORD_1 src1_sel:DWORD
	v_lshrrev_b32_e32 v7, 3, v9
	s_mov_b32 s27, exec_lo
	v_cmpx_gt_u32_e32 8, v9
; %bb.916:                              ;   in Loop: Header=BB184_487 Depth=1
	v_ffbh_u32_e32 v7, v5
	v_min_u32_e32 v7, 32, v7
	v_subrev_nc_u32_e32 v9, 28, v7
	v_sub_nc_u32_e32 v7, 29, v7
	v_lshlrev_b64 v[21:22], v9, v[5:6]
	v_and_b32_e32 v5, 7, v21
; %bb.917:                              ;   in Loop: Header=BB184_487 Depth=1
	s_or_b32 exec_lo, exec_lo, s27
	v_lshlrev_b32_sdwa v9, v48, v104 dst_sel:DWORD dst_unused:UNUSED_PAD src0_sel:DWORD src1_sel:WORD_1
	v_lshlrev_b32_e32 v5, 20, v5
	v_lshl_add_u32 v7, v7, 23, 0x3c000000
	v_and_b32_e32 v9, 0x80000000, v9
	v_or3_b32 v5, v5, v9, v7
	v_mov_b32_e32 v22, v6
	v_mov_b32_e32 v21, v5
.LBB184_918:                            ;   in Loop: Header=BB184_487 Depth=1
	s_or_b32 exec_lo, exec_lo, s26
.LBB184_919:                            ;   in Loop: Header=BB184_487 Depth=1
	s_or_b32 exec_lo, exec_lo, s22
.LBB184_920:                            ;   in Loop: Header=BB184_487 Depth=1
	s_or_b32 exec_lo, exec_lo, s21
	s_mov_b32 s21, exec_lo
	v_cmpx_lt_u32_e32 0xffffff, v104
	s_cbranch_execz .LBB184_928
; %bb.921:                              ;   in Loop: Header=BB184_487 Depth=1
	v_mov_b32_e32 v7, v6
	v_mov_b32_e32 v24, v8
	v_cmp_ne_u32_sdwa s0, v104, v44 src0_sel:BYTE_3 src1_sel:DWORD
	v_mov_b32_e32 v23, v7
	s_and_saveexec_b32 s22, s0
	s_cbranch_execz .LBB184_927
; %bb.922:                              ;   in Loop: Header=BB184_487 Depth=1
	v_mov_b32_e32 v9, v6
	v_mov_b32_e32 v24, v10
	v_bfe_u32 v105, v104, 24, 7
	s_mov_b32 s26, exec_lo
	v_mov_b32_e32 v23, v9
	v_cmpx_ne_u32_e32 0x7f, v105
	s_cbranch_execz .LBB184_926
; %bb.923:                              ;   in Loop: Header=BB184_487 Depth=1
	v_and_b32_sdwa v5, v104, v47 dst_sel:DWORD dst_unused:UNUSED_PAD src0_sel:BYTE_3 src1_sel:DWORD
	v_lshrrev_b32_e32 v7, 3, v105
	s_mov_b32 s27, exec_lo
	v_cmpx_gt_u32_e32 8, v105
; %bb.924:                              ;   in Loop: Header=BB184_487 Depth=1
	v_ffbh_u32_e32 v7, v5
	v_min_u32_e32 v7, 32, v7
	v_subrev_nc_u32_e32 v9, 28, v7
	v_sub_nc_u32_e32 v7, 29, v7
	v_lshlrev_b64 v[23:24], v9, v[5:6]
	v_and_b32_e32 v5, 7, v23
; %bb.925:                              ;   in Loop: Header=BB184_487 Depth=1
	s_or_b32 exec_lo, exec_lo, s27
	v_lshlrev_b32_sdwa v9, v48, v104 dst_sel:DWORD dst_unused:UNUSED_PAD src0_sel:DWORD src1_sel:BYTE_3
	v_lshlrev_b32_e32 v5, 20, v5
	v_lshl_add_u32 v7, v7, 23, 0x3c000000
	v_mov_b32_e32 v23, v6
	v_and_b32_e32 v9, 0x80000000, v9
	v_or3_b32 v24, v5, v9, v7
.LBB184_926:                            ;   in Loop: Header=BB184_487 Depth=1
	s_or_b32 exec_lo, exec_lo, s26
.LBB184_927:                            ;   in Loop: Header=BB184_487 Depth=1
	s_or_b32 exec_lo, exec_lo, s22
.LBB184_928:                            ;   in Loop: Header=BB184_487 Depth=1
	s_or_b32 exec_lo, exec_lo, s21
	v_or_b32_e32 v5, v20, v18
	v_or_b32_e32 v7, v19, v17
	;; [unrolled: 1-line block ×4, first 2 shown]
	v_mul_f32_e32 v104, s18, v5
	v_mul_f32_e32 v105, s17, v7
	;; [unrolled: 1-line block ×4, first 2 shown]
	s_and_saveexec_b32 s21, vcc_lo
	s_cbranch_execz .LBB184_930
; %bb.929:                              ;   in Loop: Header=BB184_487 Depth=1
	v_cmp_gt_i32_e64 s0, s33, v56
	v_cndmask_b32_e64 v105, 0, v105, s0
	v_cmp_gt_i32_e64 s0, s33, v59
	v_cndmask_b32_e64 v104, 0, v104, s0
	;; [unrolled: 2-line block ×4, first 2 shown]
.LBB184_930:                            ;   in Loop: Header=BB184_487 Depth=1
	s_or_b32 exec_lo, exec_lo, s21
	global_load_dword v106, v[15:16], off offset:1664
	v_mov_b32_e32 v17, 0
	v_mov_b32_e32 v15, 0
	;; [unrolled: 1-line block ×4, first 2 shown]
	s_waitcnt vmcnt(0)
	v_cmp_ne_u16_sdwa s0, v106, v6 src0_sel:BYTE_0 src1_sel:DWORD
	s_and_saveexec_b32 s21, s0
	s_cbranch_execz .LBB184_938
; %bb.931:                              ;   in Loop: Header=BB184_487 Depth=1
	v_bfrev_b32_e32 v15, 1
	v_mov_b32_e32 v16, 0
	v_cmp_ne_u16_sdwa s0, v106, v44 src0_sel:BYTE_0 src1_sel:DWORD
	s_and_saveexec_b32 s22, s0
	s_cbranch_execz .LBB184_937
; %bb.932:                              ;   in Loop: Header=BB184_487 Depth=1
	v_mov_b32_e32 v15, 0x7f800001
	v_and_b32_e32 v9, 0x7f, v106
	v_mov_b32_e32 v16, 0
	s_mov_b32 s26, exec_lo
	v_cmpx_ne_u32_e32 0x7f, v9
	s_cbranch_execz .LBB184_936
; %bb.933:                              ;   in Loop: Header=BB184_487 Depth=1
	v_and_b32_e32 v5, 7, v106
	v_lshrrev_b32_e32 v7, 3, v9
	s_mov_b32 s27, exec_lo
	v_cmpx_gt_u32_e32 8, v9
; %bb.934:                              ;   in Loop: Header=BB184_487 Depth=1
	v_ffbh_u32_e32 v7, v5
	v_min_u32_e32 v7, 32, v7
	v_subrev_nc_u32_e32 v9, 28, v7
	v_sub_nc_u32_e32 v7, 29, v7
	v_lshlrev_b64 v[15:16], v9, v[5:6]
	v_and_b32_e32 v5, 7, v15
; %bb.935:                              ;   in Loop: Header=BB184_487 Depth=1
	s_or_b32 exec_lo, exec_lo, s27
	v_lshlrev_b32_e32 v9, 24, v106
	v_lshlrev_b32_e32 v5, 20, v5
	v_lshl_add_u32 v7, v7, 23, 0x3c000000
	v_and_b32_e32 v9, 0x80000000, v9
	v_or3_b32 v5, v5, v9, v7
	v_mov_b32_e32 v16, v6
	v_mov_b32_e32 v15, v5
.LBB184_936:                            ;   in Loop: Header=BB184_487 Depth=1
	s_or_b32 exec_lo, exec_lo, s26
.LBB184_937:                            ;   in Loop: Header=BB184_487 Depth=1
	s_or_b32 exec_lo, exec_lo, s22
.LBB184_938:                            ;   in Loop: Header=BB184_487 Depth=1
	s_or_b32 exec_lo, exec_lo, s21
	v_cmp_ne_u16_sdwa s0, v106, v6 src0_sel:BYTE_1 src1_sel:DWORD
	s_and_saveexec_b32 s21, s0
	s_cbranch_execz .LBB184_946
; %bb.939:                              ;   in Loop: Header=BB184_487 Depth=1
	v_mov_b32_e32 v7, v6
	v_mov_b32_e32 v18, v8
	v_cmp_ne_u16_sdwa s0, v106, v44 src0_sel:BYTE_1 src1_sel:DWORD
	v_mov_b32_e32 v17, v7
	s_and_saveexec_b32 s22, s0
	s_cbranch_execz .LBB184_945
; %bb.940:                              ;   in Loop: Header=BB184_487 Depth=1
	v_and_b32_sdwa v5, v45, v106 dst_sel:DWORD dst_unused:UNUSED_PAD src0_sel:DWORD src1_sel:BYTE_1
	v_mov_b32_e32 v9, v6
	v_mov_b32_e32 v18, v10
	s_mov_b32 s26, exec_lo
	v_and_b32_e32 v19, 0x7f, v5
	v_mov_b32_e32 v17, v9
	v_cmpx_ne_u32_e32 0x7f, v19
	s_cbranch_execz .LBB184_944
; %bb.941:                              ;   in Loop: Header=BB184_487 Depth=1
	v_and_b32_e32 v5, 7, v5
	v_lshrrev_b32_e32 v7, 3, v19
	s_mov_b32 s27, exec_lo
	v_cmpx_gt_u32_e32 8, v19
; %bb.942:                              ;   in Loop: Header=BB184_487 Depth=1
	v_ffbh_u32_e32 v7, v5
	v_min_u32_e32 v7, 32, v7
	v_subrev_nc_u32_e32 v9, 28, v7
	v_sub_nc_u32_e32 v7, 29, v7
	v_lshlrev_b64 v[17:18], v9, v[5:6]
	v_and_b32_e32 v5, 7, v17
; %bb.943:                              ;   in Loop: Header=BB184_487 Depth=1
	s_or_b32 exec_lo, exec_lo, s27
	v_lshlrev_b32_e32 v9, 16, v106
	v_lshlrev_b32_e32 v5, 20, v5
	v_lshl_add_u32 v7, v7, 23, 0x3c000000
	v_mov_b32_e32 v17, v6
	v_and_b32_e32 v9, 0x80000000, v9
	v_or3_b32 v18, v5, v9, v7
.LBB184_944:                            ;   in Loop: Header=BB184_487 Depth=1
	s_or_b32 exec_lo, exec_lo, s26
.LBB184_945:                            ;   in Loop: Header=BB184_487 Depth=1
	s_or_b32 exec_lo, exec_lo, s22
.LBB184_946:                            ;   in Loop: Header=BB184_487 Depth=1
	s_or_b32 exec_lo, exec_lo, s21
	v_mov_b32_e32 v21, 0
	v_mov_b32_e32 v19, 0
	v_and_b32_sdwa v5, v106, v46 dst_sel:DWORD dst_unused:UNUSED_PAD src0_sel:WORD_1 src1_sel:DWORD
	v_mov_b32_e32 v22, 0
	v_mov_b32_e32 v20, 0
	s_mov_b32 s21, exec_lo
	v_cmpx_ne_u16_e32 0, v5
	s_cbranch_execz .LBB184_954
; %bb.947:                              ;   in Loop: Header=BB184_487 Depth=1
	v_bfrev_b32_e32 v19, 1
	v_mov_b32_e32 v20, 0
	s_mov_b32 s22, exec_lo
	v_cmpx_ne_u16_e32 0x80, v5
	s_cbranch_execz .LBB184_953
; %bb.948:                              ;   in Loop: Header=BB184_487 Depth=1
	v_mov_b32_e32 v19, 0x7f800001
	v_bfe_u32 v9, v106, 16, 7
	v_mov_b32_e32 v20, 0
	s_mov_b32 s26, exec_lo
	v_cmpx_ne_u32_e32 0x7f, v9
	s_cbranch_execz .LBB184_952
; %bb.949:                              ;   in Loop: Header=BB184_487 Depth=1
	v_and_b32_sdwa v5, v106, v47 dst_sel:DWORD dst_unused:UNUSED_PAD src0_sel:WORD_1 src1_sel:DWORD
	v_lshrrev_b32_e32 v7, 3, v9
	s_mov_b32 s27, exec_lo
	v_cmpx_gt_u32_e32 8, v9
; %bb.950:                              ;   in Loop: Header=BB184_487 Depth=1
	v_ffbh_u32_e32 v7, v5
	v_min_u32_e32 v7, 32, v7
	v_subrev_nc_u32_e32 v9, 28, v7
	v_sub_nc_u32_e32 v7, 29, v7
	v_lshlrev_b64 v[19:20], v9, v[5:6]
	v_and_b32_e32 v5, 7, v19
; %bb.951:                              ;   in Loop: Header=BB184_487 Depth=1
	s_or_b32 exec_lo, exec_lo, s27
	v_lshlrev_b32_sdwa v9, v48, v106 dst_sel:DWORD dst_unused:UNUSED_PAD src0_sel:DWORD src1_sel:WORD_1
	v_lshlrev_b32_e32 v5, 20, v5
	v_lshl_add_u32 v7, v7, 23, 0x3c000000
	v_and_b32_e32 v9, 0x80000000, v9
	v_or3_b32 v5, v5, v9, v7
	v_mov_b32_e32 v20, v6
	v_mov_b32_e32 v19, v5
.LBB184_952:                            ;   in Loop: Header=BB184_487 Depth=1
	s_or_b32 exec_lo, exec_lo, s26
.LBB184_953:                            ;   in Loop: Header=BB184_487 Depth=1
	s_or_b32 exec_lo, exec_lo, s22
.LBB184_954:                            ;   in Loop: Header=BB184_487 Depth=1
	s_or_b32 exec_lo, exec_lo, s21
	s_mov_b32 s21, exec_lo
	v_cmpx_lt_u32_e32 0xffffff, v106
	s_cbranch_execz .LBB184_962
; %bb.955:                              ;   in Loop: Header=BB184_487 Depth=1
	v_mov_b32_e32 v7, v6
	v_mov_b32_e32 v22, v8
	v_cmp_ne_u32_sdwa s0, v106, v44 src0_sel:BYTE_3 src1_sel:DWORD
	v_mov_b32_e32 v21, v7
	s_and_saveexec_b32 s22, s0
	s_cbranch_execz .LBB184_961
; %bb.956:                              ;   in Loop: Header=BB184_487 Depth=1
	v_mov_b32_e32 v9, v6
	v_mov_b32_e32 v22, v10
	v_bfe_u32 v107, v106, 24, 7
	s_mov_b32 s26, exec_lo
	v_mov_b32_e32 v21, v9
	v_cmpx_ne_u32_e32 0x7f, v107
	s_cbranch_execz .LBB184_960
; %bb.957:                              ;   in Loop: Header=BB184_487 Depth=1
	v_and_b32_sdwa v5, v106, v47 dst_sel:DWORD dst_unused:UNUSED_PAD src0_sel:BYTE_3 src1_sel:DWORD
	v_lshrrev_b32_e32 v7, 3, v107
	s_mov_b32 s27, exec_lo
	v_cmpx_gt_u32_e32 8, v107
; %bb.958:                              ;   in Loop: Header=BB184_487 Depth=1
	v_ffbh_u32_e32 v7, v5
	v_min_u32_e32 v7, 32, v7
	v_subrev_nc_u32_e32 v9, 28, v7
	v_sub_nc_u32_e32 v7, 29, v7
	v_lshlrev_b64 v[21:22], v9, v[5:6]
	v_and_b32_e32 v5, 7, v21
; %bb.959:                              ;   in Loop: Header=BB184_487 Depth=1
	s_or_b32 exec_lo, exec_lo, s27
	v_lshlrev_b32_sdwa v9, v48, v106 dst_sel:DWORD dst_unused:UNUSED_PAD src0_sel:DWORD src1_sel:BYTE_3
	v_lshlrev_b32_e32 v5, 20, v5
	v_lshl_add_u32 v7, v7, 23, 0x3c000000
	v_mov_b32_e32 v21, v6
	v_and_b32_e32 v9, 0x80000000, v9
	v_or3_b32 v22, v5, v9, v7
.LBB184_960:                            ;   in Loop: Header=BB184_487 Depth=1
	s_or_b32 exec_lo, exec_lo, s26
.LBB184_961:                            ;   in Loop: Header=BB184_487 Depth=1
	s_or_b32 exec_lo, exec_lo, s22
.LBB184_962:                            ;   in Loop: Header=BB184_487 Depth=1
	s_or_b32 exec_lo, exec_lo, s21
	v_or_b32_e32 v5, v18, v16
	v_or_b32_e32 v7, v17, v15
	;; [unrolled: 1-line block ×4, first 2 shown]
	v_mul_f32_e32 v9, s18, v5
	v_mul_f32_e32 v15, s17, v7
	;; [unrolled: 1-line block ×4, first 2 shown]
	s_and_saveexec_b32 s0, vcc_lo
	s_cbranch_execz .LBB184_485
; %bb.963:                              ;   in Loop: Header=BB184_487 Depth=1
	v_cmp_gt_i32_e32 vcc_lo, s33, v56
	v_cndmask_b32_e32 v15, 0, v15, vcc_lo
	v_cmp_gt_i32_e32 vcc_lo, s33, v59
	v_cndmask_b32_e32 v9, 0, v9, vcc_lo
	;; [unrolled: 2-line block ×4, first 2 shown]
	s_branch .LBB184_485
.LBB184_964:
	s_or_b32 exec_lo, exec_lo, s5
.LBB184_965:
	s_or_b32 exec_lo, exec_lo, s1
	ds_bpermute_b32 v1, v25, v41
	ds_bpermute_b32 v2, v25, v42
	;; [unrolled: 1-line block ×14, first 2 shown]
	s_mov_b32 s0, exec_lo
	s_waitcnt lgkmcnt(0)
	s_barrier
	buffer_gl0_inv
	v_add_f32_e32 v1, v41, v1
	v_add_f32_e32 v2, v42, v2
	;; [unrolled: 1-line block ×7, first 2 shown]
	ds_bpermute_b32 v15, v26, v1
	v_add_f32_e32 v8, v35, v8
	v_add_f32_e32 v9, v34, v9
	;; [unrolled: 1-line block ×7, first 2 shown]
	ds_bpermute_b32 v16, v26, v2
	ds_bpermute_b32 v17, v26, v3
	;; [unrolled: 1-line block ×13, first 2 shown]
	s_waitcnt lgkmcnt(13)
	v_add_f32_e32 v1, v1, v15
	v_and_b32_e32 v15, 28, v0
	v_lshrrev_b32_e32 v0, 2, v0
	v_add_nc_u32_e32 v15, 0x1e0, v15
	s_waitcnt lgkmcnt(12)
	v_add_f32_e32 v2, v2, v16
	s_waitcnt lgkmcnt(11)
	v_add_f32_e32 v3, v3, v17
	;; [unrolled: 2-line block ×12, first 2 shown]
	v_and_b32_e32 v17, 0x3c3, v108
	s_waitcnt lgkmcnt(0)
	v_add_f32_e32 v14, v14, v26
	v_mul_u32_u24_e32 v16, 0x1c0, v109
	v_cmpx_eq_u32_e32 64, v17
	s_cbranch_execz .LBB184_967
; %bb.966:
	v_add_nc_u32_e32 v17, v15, v16
	v_add_nc_u32_e32 v18, 0xfffffc80, v17
	;; [unrolled: 1-line block ×7, first 2 shown]
	ds_write_b32 v18, v1
	ds_write_b32 v19, v2
	;; [unrolled: 1-line block ×4, first 2 shown]
	v_add_nc_u32_e32 v18, 0xfffffd40, v17
	v_add_nc_u32_e32 v19, 0xfffffd60, v17
	;; [unrolled: 1-line block ×3, first 2 shown]
	ds_write_b32 v22, v5
	ds_write_b32 v23, v6
	;; [unrolled: 1-line block ×5, first 2 shown]
	v_add_nc_u32_e32 v18, 0xfffffda0, v17
	v_add_nc_u32_e32 v19, 0xfffffdc0, v17
	;; [unrolled: 1-line block ×5, first 2 shown]
	ds_write_b32 v18, v10
	ds_write_b32 v19, v11
	ds_write_b32 v20, v12
	ds_write_b32 v21, v13
	ds_write_b32 v17, v14
.LBB184_967:
	s_or_b32 exec_lo, exec_lo, s0
	v_lshlrev_b32_e32 v0, 2, v0
	s_mov_b32 s1, exec_lo
	v_cmp_eq_u32_e32 vcc_lo, 0, v27
	s_waitcnt lgkmcnt(0)
	s_barrier
	v_add3_u32 v0, 0x1e0, v16, v0
	buffer_gl0_inv
	v_cmpx_gt_u32_e32 64, v108
	s_cbranch_execz .LBB184_984
; %bb.968:
	s_and_saveexec_b32 s0, vcc_lo
	s_cbranch_execnz .LBB184_1006
; %bb.969:
	s_or_b32 exec_lo, exec_lo, s0
	s_and_saveexec_b32 s0, vcc_lo
	s_cbranch_execnz .LBB184_1007
.LBB184_970:
	s_or_b32 exec_lo, exec_lo, s0
	s_and_saveexec_b32 s0, vcc_lo
	s_cbranch_execnz .LBB184_1008
.LBB184_971:
	s_or_b32 exec_lo, exec_lo, s0
	s_and_saveexec_b32 s0, vcc_lo
	s_cbranch_execnz .LBB184_1009
.LBB184_972:
	s_or_b32 exec_lo, exec_lo, s0
	s_and_saveexec_b32 s0, vcc_lo
	s_cbranch_execnz .LBB184_1010
.LBB184_973:
	s_or_b32 exec_lo, exec_lo, s0
	s_and_saveexec_b32 s0, vcc_lo
	s_cbranch_execnz .LBB184_1011
.LBB184_974:
	s_or_b32 exec_lo, exec_lo, s0
	s_and_saveexec_b32 s0, vcc_lo
	s_cbranch_execnz .LBB184_1012
.LBB184_975:
	s_or_b32 exec_lo, exec_lo, s0
	s_and_saveexec_b32 s0, vcc_lo
	s_cbranch_execnz .LBB184_1013
.LBB184_976:
	s_or_b32 exec_lo, exec_lo, s0
	s_and_saveexec_b32 s0, vcc_lo
	s_cbranch_execnz .LBB184_1014
.LBB184_977:
	s_or_b32 exec_lo, exec_lo, s0
	s_and_saveexec_b32 s0, vcc_lo
	s_cbranch_execnz .LBB184_1015
.LBB184_978:
	s_or_b32 exec_lo, exec_lo, s0
	s_and_saveexec_b32 s0, vcc_lo
	s_cbranch_execnz .LBB184_1016
.LBB184_979:
	s_or_b32 exec_lo, exec_lo, s0
	s_and_saveexec_b32 s0, vcc_lo
	s_cbranch_execnz .LBB184_1017
.LBB184_980:
	s_or_b32 exec_lo, exec_lo, s0
	s_and_saveexec_b32 s0, vcc_lo
	s_cbranch_execnz .LBB184_1018
.LBB184_981:
	s_or_b32 exec_lo, exec_lo, s0
	s_and_saveexec_b32 s0, vcc_lo
	s_cbranch_execz .LBB184_983
.LBB184_982:
	ds_read_b32 v16, v0 offset:416
	s_waitcnt lgkmcnt(0)
	v_add_f32_e32 v14, v14, v16
.LBB184_983:
	s_or_b32 exec_lo, exec_lo, s0
.LBB184_984:
	s_or_b32 exec_lo, exec_lo, s1
	v_and_b32_e32 v16, 0x3e3, v108
	s_mov_b32 s1, exec_lo
	s_barrier
	buffer_gl0_inv
	v_cmpx_eq_u32_e32 32, v16
	s_cbranch_execz .LBB184_986
; %bb.985:
	ds_write2_b32 v15, v1, v2 offset1:8
	ds_write2_b32 v15, v3, v4 offset0:16 offset1:24
	ds_write2_b32 v15, v5, v6 offset0:32 offset1:40
	;; [unrolled: 1-line block ×6, first 2 shown]
.LBB184_986:
	s_or_b32 exec_lo, exec_lo, s1
	s_mov_b32 s1, exec_lo
	s_waitcnt lgkmcnt(0)
	s_barrier
	buffer_gl0_inv
	v_cmpx_gt_u32_e32 32, v108
	s_cbranch_execz .LBB184_1003
; %bb.987:
	s_and_saveexec_b32 s0, vcc_lo
	s_cbranch_execnz .LBB184_1019
; %bb.988:
	s_or_b32 exec_lo, exec_lo, s0
	s_and_saveexec_b32 s0, vcc_lo
	s_cbranch_execnz .LBB184_1020
.LBB184_989:
	s_or_b32 exec_lo, exec_lo, s0
	s_and_saveexec_b32 s0, vcc_lo
	s_cbranch_execnz .LBB184_1021
.LBB184_990:
	s_or_b32 exec_lo, exec_lo, s0
	s_and_saveexec_b32 s0, vcc_lo
	s_cbranch_execnz .LBB184_1022
.LBB184_991:
	s_or_b32 exec_lo, exec_lo, s0
	s_and_saveexec_b32 s0, vcc_lo
	s_cbranch_execnz .LBB184_1023
.LBB184_992:
	s_or_b32 exec_lo, exec_lo, s0
	s_and_saveexec_b32 s0, vcc_lo
	s_cbranch_execnz .LBB184_1024
.LBB184_993:
	s_or_b32 exec_lo, exec_lo, s0
	s_and_saveexec_b32 s0, vcc_lo
	s_cbranch_execnz .LBB184_1025
.LBB184_994:
	s_or_b32 exec_lo, exec_lo, s0
	s_and_saveexec_b32 s0, vcc_lo
	s_cbranch_execnz .LBB184_1026
.LBB184_995:
	s_or_b32 exec_lo, exec_lo, s0
	s_and_saveexec_b32 s0, vcc_lo
	s_cbranch_execnz .LBB184_1027
.LBB184_996:
	s_or_b32 exec_lo, exec_lo, s0
	s_and_saveexec_b32 s0, vcc_lo
	s_cbranch_execnz .LBB184_1028
.LBB184_997:
	s_or_b32 exec_lo, exec_lo, s0
	s_and_saveexec_b32 s0, vcc_lo
	s_cbranch_execnz .LBB184_1029
.LBB184_998:
	s_or_b32 exec_lo, exec_lo, s0
	s_and_saveexec_b32 s0, vcc_lo
	s_cbranch_execnz .LBB184_1030
.LBB184_999:
	s_or_b32 exec_lo, exec_lo, s0
	s_and_saveexec_b32 s0, vcc_lo
	s_cbranch_execnz .LBB184_1031
.LBB184_1000:
	s_or_b32 exec_lo, exec_lo, s0
	s_and_saveexec_b32 s0, vcc_lo
	s_cbranch_execz .LBB184_1002
.LBB184_1001:
	ds_read_b32 v0, v0 offset:416
	s_waitcnt lgkmcnt(0)
	v_add_f32_e32 v14, v14, v0
.LBB184_1002:
	s_or_b32 exec_lo, exec_lo, s0
.LBB184_1003:
	s_or_b32 exec_lo, exec_lo, s1
	s_barrier
	buffer_gl0_inv
	s_mov_b32 s0, exec_lo
	v_cmpx_eq_u32_e32 0, v16
	s_cbranch_execz .LBB184_1005
; %bb.1004:
	s_mul_i32 s0, s10, s11
	s_mul_i32 s2, s11, s24
	;; [unrolled: 1-line block ×3, first 2 shown]
	s_mulk_i32 s0, 0x70
	s_ashr_i32 s1, s0, 31
	s_lshl_b64 s[0:1], s[0:1], 2
	s_add_u32 s4, s6, s0
	s_addc_u32 s5, s7, s1
	s_ashr_i32 s3, s2, 31
	s_lshl_b64 s[0:1], s[2:3], 2
	s_mul_i32 s2, s8, 0x70
	s_add_u32 s4, s4, s0
	s_addc_u32 s5, s5, s1
	s_ashr_i32 s3, s2, 31
	s_lshl_b64 s[0:1], s[2:3], 2
	s_add_u32 s0, s4, s0
	s_addc_u32 s1, s5, s1
	global_store_dword v108, v1, s[0:1]
	global_store_dword v108, v2, s[0:1] offset:32
	global_store_dword v108, v3, s[0:1] offset:64
	;; [unrolled: 1-line block ×13, first 2 shown]
.LBB184_1005:
	s_endpgm
.LBB184_1006:
	ds_read_b32 v16, v0
	s_waitcnt lgkmcnt(0)
	v_add_f32_e32 v1, v1, v16
	s_or_b32 exec_lo, exec_lo, s0
	s_and_saveexec_b32 s0, vcc_lo
	s_cbranch_execz .LBB184_970
.LBB184_1007:
	ds_read_b32 v16, v0 offset:32
	s_waitcnt lgkmcnt(0)
	v_add_f32_e32 v2, v2, v16
	s_or_b32 exec_lo, exec_lo, s0
	s_and_saveexec_b32 s0, vcc_lo
	s_cbranch_execz .LBB184_971
.LBB184_1008:
	ds_read_b32 v16, v0 offset:64
	s_waitcnt lgkmcnt(0)
	v_add_f32_e32 v3, v3, v16
	s_or_b32 exec_lo, exec_lo, s0
	s_and_saveexec_b32 s0, vcc_lo
	s_cbranch_execz .LBB184_972
.LBB184_1009:
	ds_read_b32 v16, v0 offset:96
	s_waitcnt lgkmcnt(0)
	v_add_f32_e32 v4, v4, v16
	s_or_b32 exec_lo, exec_lo, s0
	s_and_saveexec_b32 s0, vcc_lo
	s_cbranch_execz .LBB184_973
.LBB184_1010:
	ds_read_b32 v16, v0 offset:128
	s_waitcnt lgkmcnt(0)
	v_add_f32_e32 v5, v5, v16
	s_or_b32 exec_lo, exec_lo, s0
	s_and_saveexec_b32 s0, vcc_lo
	s_cbranch_execz .LBB184_974
.LBB184_1011:
	ds_read_b32 v16, v0 offset:160
	s_waitcnt lgkmcnt(0)
	v_add_f32_e32 v6, v6, v16
	s_or_b32 exec_lo, exec_lo, s0
	s_and_saveexec_b32 s0, vcc_lo
	s_cbranch_execz .LBB184_975
.LBB184_1012:
	ds_read_b32 v16, v0 offset:192
	s_waitcnt lgkmcnt(0)
	v_add_f32_e32 v7, v7, v16
	s_or_b32 exec_lo, exec_lo, s0
	s_and_saveexec_b32 s0, vcc_lo
	s_cbranch_execz .LBB184_976
.LBB184_1013:
	ds_read_b32 v16, v0 offset:224
	s_waitcnt lgkmcnt(0)
	v_add_f32_e32 v8, v8, v16
	s_or_b32 exec_lo, exec_lo, s0
	s_and_saveexec_b32 s0, vcc_lo
	s_cbranch_execz .LBB184_977
.LBB184_1014:
	ds_read_b32 v16, v0 offset:256
	s_waitcnt lgkmcnt(0)
	v_add_f32_e32 v9, v9, v16
	s_or_b32 exec_lo, exec_lo, s0
	s_and_saveexec_b32 s0, vcc_lo
	s_cbranch_execz .LBB184_978
.LBB184_1015:
	ds_read_b32 v16, v0 offset:288
	s_waitcnt lgkmcnt(0)
	v_add_f32_e32 v10, v10, v16
	s_or_b32 exec_lo, exec_lo, s0
	s_and_saveexec_b32 s0, vcc_lo
	s_cbranch_execz .LBB184_979
.LBB184_1016:
	ds_read_b32 v16, v0 offset:320
	s_waitcnt lgkmcnt(0)
	v_add_f32_e32 v11, v11, v16
	s_or_b32 exec_lo, exec_lo, s0
	s_and_saveexec_b32 s0, vcc_lo
	s_cbranch_execz .LBB184_980
.LBB184_1017:
	ds_read_b32 v16, v0 offset:352
	s_waitcnt lgkmcnt(0)
	v_add_f32_e32 v12, v12, v16
	s_or_b32 exec_lo, exec_lo, s0
	s_and_saveexec_b32 s0, vcc_lo
	s_cbranch_execz .LBB184_981
.LBB184_1018:
	ds_read_b32 v16, v0 offset:384
	s_waitcnt lgkmcnt(0)
	v_add_f32_e32 v13, v13, v16
	s_or_b32 exec_lo, exec_lo, s0
	s_and_saveexec_b32 s0, vcc_lo
	s_cbranch_execnz .LBB184_982
	s_branch .LBB184_983
.LBB184_1019:
	ds_read_b32 v15, v0
	s_waitcnt lgkmcnt(0)
	v_add_f32_e32 v1, v1, v15
	s_or_b32 exec_lo, exec_lo, s0
	s_and_saveexec_b32 s0, vcc_lo
	s_cbranch_execz .LBB184_989
.LBB184_1020:
	ds_read_b32 v15, v0 offset:32
	s_waitcnt lgkmcnt(0)
	v_add_f32_e32 v2, v2, v15
	s_or_b32 exec_lo, exec_lo, s0
	s_and_saveexec_b32 s0, vcc_lo
	s_cbranch_execz .LBB184_990
.LBB184_1021:
	ds_read_b32 v15, v0 offset:64
	s_waitcnt lgkmcnt(0)
	v_add_f32_e32 v3, v3, v15
	s_or_b32 exec_lo, exec_lo, s0
	s_and_saveexec_b32 s0, vcc_lo
	s_cbranch_execz .LBB184_991
.LBB184_1022:
	ds_read_b32 v15, v0 offset:96
	s_waitcnt lgkmcnt(0)
	v_add_f32_e32 v4, v4, v15
	s_or_b32 exec_lo, exec_lo, s0
	s_and_saveexec_b32 s0, vcc_lo
	s_cbranch_execz .LBB184_992
.LBB184_1023:
	ds_read_b32 v15, v0 offset:128
	s_waitcnt lgkmcnt(0)
	v_add_f32_e32 v5, v5, v15
	s_or_b32 exec_lo, exec_lo, s0
	s_and_saveexec_b32 s0, vcc_lo
	s_cbranch_execz .LBB184_993
.LBB184_1024:
	ds_read_b32 v15, v0 offset:160
	s_waitcnt lgkmcnt(0)
	v_add_f32_e32 v6, v6, v15
	s_or_b32 exec_lo, exec_lo, s0
	s_and_saveexec_b32 s0, vcc_lo
	s_cbranch_execz .LBB184_994
.LBB184_1025:
	ds_read_b32 v15, v0 offset:192
	s_waitcnt lgkmcnt(0)
	v_add_f32_e32 v7, v7, v15
	s_or_b32 exec_lo, exec_lo, s0
	s_and_saveexec_b32 s0, vcc_lo
	s_cbranch_execz .LBB184_995
.LBB184_1026:
	ds_read_b32 v15, v0 offset:224
	s_waitcnt lgkmcnt(0)
	v_add_f32_e32 v8, v8, v15
	s_or_b32 exec_lo, exec_lo, s0
	s_and_saveexec_b32 s0, vcc_lo
	s_cbranch_execz .LBB184_996
.LBB184_1027:
	ds_read_b32 v15, v0 offset:256
	s_waitcnt lgkmcnt(0)
	v_add_f32_e32 v9, v9, v15
	s_or_b32 exec_lo, exec_lo, s0
	s_and_saveexec_b32 s0, vcc_lo
	s_cbranch_execz .LBB184_997
.LBB184_1028:
	ds_read_b32 v15, v0 offset:288
	s_waitcnt lgkmcnt(0)
	v_add_f32_e32 v10, v10, v15
	s_or_b32 exec_lo, exec_lo, s0
	s_and_saveexec_b32 s0, vcc_lo
	s_cbranch_execz .LBB184_998
.LBB184_1029:
	ds_read_b32 v15, v0 offset:320
	s_waitcnt lgkmcnt(0)
	v_add_f32_e32 v11, v11, v15
	s_or_b32 exec_lo, exec_lo, s0
	s_and_saveexec_b32 s0, vcc_lo
	s_cbranch_execz .LBB184_999
.LBB184_1030:
	ds_read_b32 v15, v0 offset:352
	s_waitcnt lgkmcnt(0)
	v_add_f32_e32 v12, v12, v15
	s_or_b32 exec_lo, exec_lo, s0
	s_and_saveexec_b32 s0, vcc_lo
	s_cbranch_execz .LBB184_1000
.LBB184_1031:
	ds_read_b32 v15, v0 offset:384
	s_waitcnt lgkmcnt(0)
	v_add_f32_e32 v13, v13, v15
	s_or_b32 exec_lo, exec_lo, s0
	s_and_saveexec_b32 s0, vcc_lo
	s_cbranch_execnz .LBB184_1001
	s_branch .LBB184_1002
	.section	.rodata,"a",@progbits
	.p2align	6, 0x0
	.amdhsa_kernel _ZN4vllm25paged_attention_v1_kernelIfhLi112ELi16ELi128ELNS_18Fp8KVCacheDataTypeE1ELb1EEEvPT_PKS2_PKT0_S8_ifPKiSA_iPKfiiiSC_SC_iiiii
		.amdhsa_group_segment_fixed_size 480
		.amdhsa_private_segment_fixed_size 240
		.amdhsa_kernarg_size 384
		.amdhsa_user_sgpr_count 6
		.amdhsa_user_sgpr_private_segment_buffer 1
		.amdhsa_user_sgpr_dispatch_ptr 0
		.amdhsa_user_sgpr_queue_ptr 0
		.amdhsa_user_sgpr_kernarg_segment_ptr 1
		.amdhsa_user_sgpr_dispatch_id 0
		.amdhsa_user_sgpr_flat_scratch_init 0
		.amdhsa_user_sgpr_private_segment_size 0
		.amdhsa_wavefront_size32 1
		.amdhsa_uses_dynamic_stack 0
		.amdhsa_system_sgpr_private_segment_wavefront_offset 1
		.amdhsa_system_sgpr_workgroup_id_x 1
		.amdhsa_system_sgpr_workgroup_id_y 1
		.amdhsa_system_sgpr_workgroup_id_z 1
		.amdhsa_system_sgpr_workgroup_info 0
		.amdhsa_system_vgpr_workitem_id 0
		.amdhsa_next_free_vgpr 128
		.amdhsa_next_free_sgpr 52
		.amdhsa_reserve_vcc 1
		.amdhsa_reserve_flat_scratch 0
		.amdhsa_float_round_mode_32 0
		.amdhsa_float_round_mode_16_64 0
		.amdhsa_float_denorm_mode_32 3
		.amdhsa_float_denorm_mode_16_64 3
		.amdhsa_dx10_clamp 1
		.amdhsa_ieee_mode 1
		.amdhsa_fp16_overflow 0
		.amdhsa_workgroup_processor_mode 1
		.amdhsa_memory_ordered 1
		.amdhsa_forward_progress 1
		.amdhsa_shared_vgpr_count 0
		.amdhsa_exception_fp_ieee_invalid_op 0
		.amdhsa_exception_fp_denorm_src 0
		.amdhsa_exception_fp_ieee_div_zero 0
		.amdhsa_exception_fp_ieee_overflow 0
		.amdhsa_exception_fp_ieee_underflow 0
		.amdhsa_exception_fp_ieee_inexact 0
		.amdhsa_exception_int_div_zero 0
	.end_amdhsa_kernel
	.section	.text._ZN4vllm25paged_attention_v1_kernelIfhLi112ELi16ELi128ELNS_18Fp8KVCacheDataTypeE1ELb1EEEvPT_PKS2_PKT0_S8_ifPKiSA_iPKfiiiSC_SC_iiiii,"axG",@progbits,_ZN4vllm25paged_attention_v1_kernelIfhLi112ELi16ELi128ELNS_18Fp8KVCacheDataTypeE1ELb1EEEvPT_PKS2_PKT0_S8_ifPKiSA_iPKfiiiSC_SC_iiiii,comdat
.Lfunc_end184:
	.size	_ZN4vllm25paged_attention_v1_kernelIfhLi112ELi16ELi128ELNS_18Fp8KVCacheDataTypeE1ELb1EEEvPT_PKS2_PKT0_S8_ifPKiSA_iPKfiiiSC_SC_iiiii, .Lfunc_end184-_ZN4vllm25paged_attention_v1_kernelIfhLi112ELi16ELi128ELNS_18Fp8KVCacheDataTypeE1ELb1EEEvPT_PKS2_PKT0_S8_ifPKiSA_iPKfiiiSC_SC_iiiii
                                        ; -- End function
	.set _ZN4vllm25paged_attention_v1_kernelIfhLi112ELi16ELi128ELNS_18Fp8KVCacheDataTypeE1ELb1EEEvPT_PKS2_PKT0_S8_ifPKiSA_iPKfiiiSC_SC_iiiii.num_vgpr, 128
	.set _ZN4vllm25paged_attention_v1_kernelIfhLi112ELi16ELi128ELNS_18Fp8KVCacheDataTypeE1ELb1EEEvPT_PKS2_PKT0_S8_ifPKiSA_iPKfiiiSC_SC_iiiii.num_agpr, 0
	.set _ZN4vllm25paged_attention_v1_kernelIfhLi112ELi16ELi128ELNS_18Fp8KVCacheDataTypeE1ELb1EEEvPT_PKS2_PKT0_S8_ifPKiSA_iPKfiiiSC_SC_iiiii.numbered_sgpr, 52
	.set _ZN4vllm25paged_attention_v1_kernelIfhLi112ELi16ELi128ELNS_18Fp8KVCacheDataTypeE1ELb1EEEvPT_PKS2_PKT0_S8_ifPKiSA_iPKfiiiSC_SC_iiiii.num_named_barrier, 0
	.set _ZN4vllm25paged_attention_v1_kernelIfhLi112ELi16ELi128ELNS_18Fp8KVCacheDataTypeE1ELb1EEEvPT_PKS2_PKT0_S8_ifPKiSA_iPKfiiiSC_SC_iiiii.private_seg_size, 240
	.set _ZN4vllm25paged_attention_v1_kernelIfhLi112ELi16ELi128ELNS_18Fp8KVCacheDataTypeE1ELb1EEEvPT_PKS2_PKT0_S8_ifPKiSA_iPKfiiiSC_SC_iiiii.uses_vcc, 1
	.set _ZN4vllm25paged_attention_v1_kernelIfhLi112ELi16ELi128ELNS_18Fp8KVCacheDataTypeE1ELb1EEEvPT_PKS2_PKT0_S8_ifPKiSA_iPKfiiiSC_SC_iiiii.uses_flat_scratch, 0
	.set _ZN4vllm25paged_attention_v1_kernelIfhLi112ELi16ELi128ELNS_18Fp8KVCacheDataTypeE1ELb1EEEvPT_PKS2_PKT0_S8_ifPKiSA_iPKfiiiSC_SC_iiiii.has_dyn_sized_stack, 0
	.set _ZN4vllm25paged_attention_v1_kernelIfhLi112ELi16ELi128ELNS_18Fp8KVCacheDataTypeE1ELb1EEEvPT_PKS2_PKT0_S8_ifPKiSA_iPKfiiiSC_SC_iiiii.has_recursion, 0
	.set _ZN4vllm25paged_attention_v1_kernelIfhLi112ELi16ELi128ELNS_18Fp8KVCacheDataTypeE1ELb1EEEvPT_PKS2_PKT0_S8_ifPKiSA_iPKfiiiSC_SC_iiiii.has_indirect_call, 0
	.section	.AMDGPU.csdata,"",@progbits
; Kernel info:
; codeLenInByte = 31824
; TotalNumSgprs: 54
; NumVgprs: 128
; ScratchSize: 240
; MemoryBound: 0
; FloatMode: 240
; IeeeMode: 1
; LDSByteSize: 480 bytes/workgroup (compile time only)
; SGPRBlocks: 0
; VGPRBlocks: 15
; NumSGPRsForWavesPerEU: 54
; NumVGPRsForWavesPerEU: 128
; Occupancy: 8
; WaveLimiterHint : 1
; COMPUTE_PGM_RSRC2:SCRATCH_EN: 1
; COMPUTE_PGM_RSRC2:USER_SGPR: 6
; COMPUTE_PGM_RSRC2:TRAP_HANDLER: 0
; COMPUTE_PGM_RSRC2:TGID_X_EN: 1
; COMPUTE_PGM_RSRC2:TGID_Y_EN: 1
; COMPUTE_PGM_RSRC2:TGID_Z_EN: 1
; COMPUTE_PGM_RSRC2:TIDIG_COMP_CNT: 0
	.section	.text._ZN4vllm25paged_attention_v1_kernelIfhLi120ELi16ELi128ELNS_18Fp8KVCacheDataTypeE1ELb1EEEvPT_PKS2_PKT0_S8_ifPKiSA_iPKfiiiSC_SC_iiiii,"axG",@progbits,_ZN4vllm25paged_attention_v1_kernelIfhLi120ELi16ELi128ELNS_18Fp8KVCacheDataTypeE1ELb1EEEvPT_PKS2_PKT0_S8_ifPKiSA_iPKfiiiSC_SC_iiiii,comdat
	.protected	_ZN4vllm25paged_attention_v1_kernelIfhLi120ELi16ELi128ELNS_18Fp8KVCacheDataTypeE1ELb1EEEvPT_PKS2_PKT0_S8_ifPKiSA_iPKfiiiSC_SC_iiiii ; -- Begin function _ZN4vllm25paged_attention_v1_kernelIfhLi120ELi16ELi128ELNS_18Fp8KVCacheDataTypeE1ELb1EEEvPT_PKS2_PKT0_S8_ifPKiSA_iPKfiiiSC_SC_iiiii
	.globl	_ZN4vllm25paged_attention_v1_kernelIfhLi120ELi16ELi128ELNS_18Fp8KVCacheDataTypeE1ELb1EEEvPT_PKS2_PKT0_S8_ifPKiSA_iPKfiiiSC_SC_iiiii
	.p2align	8
	.type	_ZN4vllm25paged_attention_v1_kernelIfhLi120ELi16ELi128ELNS_18Fp8KVCacheDataTypeE1ELb1EEEvPT_PKS2_PKT0_S8_ifPKiSA_iPKfiiiSC_SC_iiiii,@function
_ZN4vllm25paged_attention_v1_kernelIfhLi120ELi16ELi128ELNS_18Fp8KVCacheDataTypeE1ELb1EEEvPT_PKS2_PKT0_S8_ifPKiSA_iPKfiiiSC_SC_iiiii: ; @_ZN4vllm25paged_attention_v1_kernelIfhLi120ELi16ELi128ELNS_18Fp8KVCacheDataTypeE1ELb1EEEvPT_PKS2_PKT0_S8_ifPKiSA_iPKfiiiSC_SC_iiiii
; %bb.0:
	s_mov_b64 s[50:51], s[2:3]
	s_mov_b64 s[48:49], s[0:1]
	s_mov_b32 s10, s7
	s_add_u32 s48, s48, s9
	s_clause 0x2
	s_load_dword s9, s[4:5], 0x80
	s_load_dwordx2 s[0:1], s[4:5], 0x30
	s_load_dwordx2 s[34:35], s[4:5], 0x20
	s_addc_u32 s49, s49, 0
	s_ashr_i32 s11, s7, 31
	v_mov_b32_e32 v43, v0
	s_lshl_b64 s[2:3], s[10:11], 2
	s_mov_b32 s36, 0
	s_waitcnt lgkmcnt(0)
	s_add_u32 s0, s0, s2
	s_addc_u32 s1, s1, s3
	s_abs_i32 s2, s34
	s_abs_i32 s11, s9
	v_cvt_f32_u32_e32 v0, s2
	s_sub_i32 s7, 0, s2
	v_rcp_iflag_f32_e32 v0, v0
	v_mul_f32_e32 v0, 0x4f7ffffe, v0
	v_cvt_u32_f32_e32 v0, v0
	v_readfirstlane_b32 s3, v0
	s_mul_i32 s7, s7, s3
	s_mul_hi_u32 s7, s3, s7
	s_add_i32 s3, s3, s7
	s_xor_b32 s7, s9, s34
	s_mul_hi_u32 s3, s11, s3
	s_ashr_i32 s7, s7, 31
	s_mul_i32 s12, s3, s2
	s_sub_i32 s11, s11, s12
	s_add_i32 s12, s3, 1
	s_sub_i32 s13, s11, s2
	s_cmp_ge_u32 s11, s2
	s_cselect_b32 s3, s12, s3
	s_cselect_b32 s11, s13, s11
	s_add_i32 s12, s3, 1
	s_cmp_ge_u32 s11, s2
	s_cselect_b32 s2, s12, s3
	s_xor_b32 s2, s2, s7
	s_sub_i32 s14, s2, s7
	s_load_dwordx2 s[2:3], s[4:5], 0x40
	s_abs_i32 s11, s14
	v_cvt_f32_u32_e32 v0, s11
	s_sub_i32 s12, 0, s11
	v_rcp_iflag_f32_e32 v0, v0
	v_mul_f32_e32 v0, 0x4f7ffffe, v0
	v_cvt_u32_f32_e32 v0, v0
	v_readfirstlane_b32 s7, v0
	s_mul_i32 s12, s12, s7
	s_mul_hi_u32 s13, s7, s12
	s_abs_i32 s12, s6
	s_add_i32 s7, s7, s13
	s_waitcnt lgkmcnt(0)
	s_cmp_eq_u64 s[2:3], 0
	s_mul_hi_u32 s13, s12, s7
	s_cbranch_scc1 .LBB185_2
; %bb.1:
	s_ashr_i32 s7, s6, 31
	s_lshl_b64 s[16:17], s[6:7], 2
	s_add_u32 s2, s2, s16
	s_addc_u32 s3, s3, s17
	s_load_dword s36, s[2:3], 0x0
.LBB185_2:
	s_load_dword s33, s[0:1], 0x0
	s_load_dwordx4 s[16:19], s[4:5], 0x48
	v_and_b32_e32 v0, 1, v43
	v_lshlrev_b32_e32 v12, 2, v43
	s_ashr_i32 s0, s6, 31
	s_ashr_i32 s1, s14, 31
	s_mul_i32 s24, s6, 0x78
	s_mov_b32 s2, exec_lo
	v_cmpx_gt_u32_e32 60, v43
	s_cbranch_execz .LBB185_4
; %bb.3:
	s_load_dwordx2 s[14:15], s[4:5], 0x8
	s_waitcnt lgkmcnt(0)
	s_mul_i32 s20, s16, s10
	v_lshlrev_b32_e32 v1, 3, v43
	s_ashr_i32 s21, s20, 31
	v_and_b32_e32 v3, 0xff8, v12
	s_lshl_b64 s[20:21], s[20:21], 2
	v_mad_u32_u24 v3, 0xf0, v0, v3
	s_add_u32 s3, s14, s20
	s_addc_u32 s7, s15, s21
	s_ashr_i32 s25, s24, 31
	s_lshl_b64 s[14:15], s[24:25], 2
	s_add_u32 s14, s3, s14
	s_addc_u32 s15, s7, s15
	global_load_dwordx2 v[1:2], v1, s[14:15]
	s_waitcnt vmcnt(0)
	ds_write_b64 v3, v[1:2]
.LBB185_4:
	s_or_b32 exec_lo, exec_lo, s2
	s_load_dwordx4 s[20:23], s[4:5], 0x68
	s_mul_i32 s2, s13, s11
	s_xor_b32 s1, s0, s1
	s_sub_i32 s0, s12, s2
	s_add_i32 s2, s13, 1
	s_sub_i32 s3, s0, s11
	s_cmp_ge_u32 s0, s11
	s_mov_b32 s12, -1
	s_cselect_b32 s2, s2, s13
	s_cselect_b32 s0, s3, s0
	s_add_i32 s3, s2, 1
	s_cmp_ge_u32 s0, s11
	s_load_dword s0, s[4:5], 0x78
	s_cselect_b32 s2, s3, s2
	s_waitcnt lgkmcnt(0)
	s_add_i32 s7, s33, -1
	s_xor_b32 s2, s2, s1
	s_abs_i32 s3, s7
	s_sub_i32 s1, s2, s1
	s_barrier
	s_abs_i32 s16, s23
	buffer_gl0_inv
	v_cvt_f32_u32_e32 v1, s16
	s_sub_i32 s2, 0, s16
                                        ; implicit-def: $sgpr25
	v_rcp_iflag_f32_e32 v1, v1
	v_mul_f32_e32 v1, 0x4f7ffffe, v1
	v_cvt_u32_f32_e32 v1, v1
	v_readfirstlane_b32 s19, v1
	s_mul_i32 s2, s2, s19
	s_mul_hi_u32 s2, s19, s2
	s_add_i32 s19, s19, s2
	s_cmp_lt_i32 s0, 0
	s_mul_hi_u32 s2, s3, s19
	s_cbranch_scc0 .LBB185_6
; %bb.5:
	s_mul_i32 s11, s20, s34
	s_mov_b32 s12, 0
	s_add_i32 s11, s1, s11
	s_mul_i32 s11, s11, s0
	s_sub_i32 s25, 1, s11
.LBB185_6:
	s_load_dwordx2 s[26:27], s[4:5], 0x28
	s_ashr_i32 s11, s7, 31
	s_andn2_b32 vcc_lo, exec_lo, s12
	s_ashr_i32 s23, s23, 31
	s_cbranch_vccnz .LBB185_8
; %bb.7:
	s_mul_i32 s7, s9, s20
	s_add_i32 s6, s7, s6
	s_mul_i32 s0, s6, s0
	s_add_i32 s25, s0, 1
.LBB185_8:
	s_clause 0x2
	s_load_dword s0, s[4:5], 0x38
	s_load_dwordx2 s[6:7], s[4:5], 0x0
	s_load_dwordx2 s[30:31], s[4:5], 0x18
	s_xor_b32 s34, s11, s23
	s_mul_i32 s11, s2, s16
	s_add_i32 s20, s2, 1
	s_sub_i32 s3, s3, s11
	s_clause 0x1
	s_load_dword s11, s[4:5], 0x88
	s_load_dwordx4 s[12:15], s[4:5], 0x58
	v_lshrrev_b32_e32 v51, 5, v43
	v_mov_b32_e32 v3, 0xff7fffff
	v_lshrrev_b32_e32 v13, 3, v43
	s_mul_i32 s18, s1, s18
	v_lshlrev_b32_e32 v127, 4, v51
	s_waitcnt lgkmcnt(0)
	s_mul_i32 s28, s0, s10
	s_sub_i32 s0, s3, s16
	s_ashr_i32 s29, s28, 31
	s_cmp_ge_u32 s3, s16
	s_cselect_b32 s2, s20, s2
	s_cselect_b32 s0, s0, s3
	s_add_i32 s3, s2, 1
	s_cmp_ge_u32 s0, s16
	s_cselect_b32 s0, s3, s2
	s_add_i32 s2, s33, 15
	s_ashr_i32 s3, s2, 31
	s_lshr_b32 s3, s3, 28
	s_add_i32 s2, s2, s3
	s_ashr_i32 s20, s2, 4
	s_xor_b32 s2, s0, s34
	v_cmp_gt_i32_e64 s0, s20, v51
	s_sub_i32 s34, s2, s34
	s_and_saveexec_b32 s37, s0
	s_cbranch_execz .LBB185_500
; %bb.9:
	s_load_dwordx2 s[2:3], s[4:5], 0x10
	s_sub_i32 s4, s34, s21
	s_ashr_i32 s1, s18, 31
	v_bfe_u32 v6, v43, 1, 4
	v_mov_b32_e32 v39, v51
	v_and_b32_e32 v3, 0x7c, v13
	v_lshlrev_b32_e32 v2, 1, v0
	v_cmp_eq_u32_e32 vcc_lo, 0, v0
	v_lshlrev_b32_e32 v4, 2, v6
	v_subrev_nc_u32_e32 v5, s33, v6
	buffer_store_dword v6, off, s[48:51], 0 offset:248 ; 4-byte Folded Spill
	v_lshlrev_b32_e32 v6, 4, v6
	v_mov_b32_e32 v50, 0
	v_lshl_or_b32 v4, v39, 6, v4
	v_add_nc_u32_e32 v5, 1, v5
	v_mul_u32_u24_e32 v0, 0xf0, v0
	v_lshlrev_b32_e32 v37, 4, v39
	v_mov_b32_e32 v38, 0x80
	v_add_nc_u32_e32 v40, 0x200, v4
	buffer_store_dword v5, off, s[48:51], 0 offset:252 ; 4-byte Folded Spill
	s_waitcnt lgkmcnt(0)
	s_add_u32 s38, s2, s18
	s_addc_u32 s39, s3, s1
	s_abs_i32 s5, s22
	v_add_co_u32 v5, s38, s38, v6
	v_cvt_f32_u32_e32 v1, s5
	s_sub_i32 s2, 0, s5
	v_add_co_ci_u32_e64 v6, null, s39, 0, s38
	v_cmp_neq_f32_e64 s1, s36, 0
	v_rcp_iflag_f32_e32 v1, v1
	v_bfrev_b32_e32 v34, 1
	v_mov_b32_e32 v26, 0x7f800001
	v_mov_b32_e32 v7, 0xff7fffff
	s_mov_b32 s38, 0
	s_mov_b32 s39, s17
	buffer_store_dword v12, off, s[48:51], 0 offset:264 ; 4-byte Folded Spill
	buffer_store_dword v43, off, s[48:51], 0 offset:256 ; 4-byte Folded Spill
	buffer_store_dword v13, off, s[48:51], 0 offset:268 ; 4-byte Folded Spill
	buffer_store_dword v7, off, s[48:51], 0 offset:236 ; 4-byte Folded Spill
	v_mul_f32_e32 v1, 0x4f7ffffe, v1
	v_cvt_u32_f32_e32 v1, v1
	v_mul_lo_u32 v4, s2, v1
	s_lshl_b64 s[2:3], s[28:29], 2
	s_add_u32 s2, s26, s2
	s_addc_u32 s3, s27, s3
	v_add_co_u32 v55, s2, s2, v3
	v_add_co_ci_u32_e64 v56, null, s3, 0, s2
	v_mul_hi_u32 v4, v1, v4
	v_add_co_u32 v2, s2, v5, v2
	v_add_co_ci_u32_e64 v3, null, 0, v6, s2
	buffer_store_dword v2, off, s[48:51], 0 offset:240 ; 4-byte Folded Spill
	buffer_store_dword v3, off, s[48:51], 0 offset:244 ; 4-byte Folded Spill
	v_add_nc_u32_e32 v1, v1, v4
	buffer_store_dword v1, off, s[48:51], 0 offset:64 ; 4-byte Folded Spill
	buffer_store_dword v39, off, s[48:51], 0 offset:260 ; 4-byte Folded Spill
	s_branch .LBB185_12
.LBB185_10:                             ;   in Loop: Header=BB185_12 Depth=1
	s_or_b32 exec_lo, exec_lo, s40
.LBB185_11:                             ;   in Loop: Header=BB185_12 Depth=1
	s_or_b32 exec_lo, exec_lo, s3
	v_add_nc_u32_e32 v39, 4, v39
	v_add_co_u32 v55, s3, v55, 16
	v_add_co_ci_u32_e64 v56, null, 0, v56, s3
	v_cmp_le_i32_e64 s2, s20, v39
	v_add_nc_u32_e32 v37, 64, v37
	v_add_nc_u32_e32 v40, 0x100, v40
	s_or_b32 s38, s2, s38
	s_andn2_b32 exec_lo, exec_lo, s38
	s_cbranch_execz .LBB185_499
.LBB185_12:                             ; =>This Inner Loop Header: Depth=1
	v_mul_hi_u32 v1, v37, s19
	s_waitcnt lgkmcnt(0)
	v_mul_lo_u32 v2, v1, s16
	v_add_nc_u32_e32 v3, 1, v1
	v_sub_nc_u32_e32 v2, v37, v2
	v_subrev_nc_u32_e32 v4, s16, v2
	v_cmp_le_u32_e64 s2, s16, v2
	v_cndmask_b32_e64 v2, v2, v4, s2
	buffer_load_dword v4, off, s[48:51], 0 offset:64 ; 4-byte Folded Reload
	v_cndmask_b32_e64 v1, v1, v3, s2
	v_cmp_le_u32_e64 s2, s16, v2
	v_add_nc_u32_e32 v3, 1, v1
	v_cndmask_b32_e64 v1, v1, v3, s2
	v_xor_b32_e32 v1, s23, v1
	v_subrev_nc_u32_e32 v1, s23, v1
	v_add_nc_u32_e32 v2, s25, v1
	v_cmp_ge_i32_e64 s3, s4, v1
	v_sub_nc_u32_e32 v3, 0, v2
	v_max_i32_e32 v3, v2, v3
	v_ashrrev_i32_e32 v2, 31, v2
	s_waitcnt vmcnt(0)
	v_mul_hi_u32 v4, v3, v4
	v_mul_lo_u32 v4, v4, s5
	v_sub_nc_u32_e32 v3, v3, v4
	v_subrev_nc_u32_e32 v4, s5, v3
	v_cmp_le_u32_e64 s2, s5, v3
	v_cndmask_b32_e64 v3, v3, v4, s2
	v_subrev_nc_u32_e32 v4, s5, v3
	v_cmp_le_u32_e64 s2, s5, v3
	v_cndmask_b32_e64 v3, v3, v4, s2
	v_xor_b32_e32 v3, v3, v2
	v_sub_nc_u32_e32 v2, v3, v2
	v_cmp_ne_u32_e64 s2, 0, v2
	s_and_b32 s2, s2, s3
	s_and_saveexec_b32 s3, s2
	s_xor_b32 s2, exec_lo, s3
	s_cbranch_execz .LBB185_16
; %bb.13:                               ;   in Loop: Header=BB185_12 Depth=1
	s_and_saveexec_b32 s3, vcc_lo
; %bb.14:                               ;   in Loop: Header=BB185_12 Depth=1
	v_mov_b32_e32 v1, 0xff7fffff
	ds_write_b32 v40, v1
; %bb.15:                               ;   in Loop: Header=BB185_12 Depth=1
	s_or_b32 exec_lo, exec_lo, s3
.LBB185_16:                             ;   in Loop: Header=BB185_12 Depth=1
	s_andn2_saveexec_b32 s3, s2
	s_cbranch_execz .LBB185_11
; %bb.17:                               ;   in Loop: Header=BB185_12 Depth=1
	global_load_dword v1, v[55:56], off
	s_clause 0x1
	buffer_load_dword v2, off, s[48:51], 0 offset:240
	buffer_load_dword v3, off, s[48:51], 0 offset:244
	s_waitcnt vmcnt(0)
	v_mad_i64_i32 v[69:70], null, v1, s39, v[2:3]
	global_load_ushort v2, v[69:70], off
	ds_read_b128 v[45:48], v0
	ds_read_b128 v[41:44], v0 offset:16
	ds_read_b128 v[3:6], v0 offset:32
	s_waitcnt lgkmcnt(0)
	buffer_store_dword v3, off, s[48:51], 0 offset:220 ; 4-byte Folded Spill
	buffer_store_dword v4, off, s[48:51], 0 offset:224 ; 4-byte Folded Spill
	buffer_store_dword v5, off, s[48:51], 0 offset:228 ; 4-byte Folded Spill
	buffer_store_dword v6, off, s[48:51], 0 offset:232 ; 4-byte Folded Spill
	ds_read_b128 v[3:6], v0 offset:48
	s_waitcnt lgkmcnt(0)
	buffer_store_dword v3, off, s[48:51], 0 offset:204 ; 4-byte Folded Spill
	buffer_store_dword v4, off, s[48:51], 0 offset:208 ; 4-byte Folded Spill
	buffer_store_dword v5, off, s[48:51], 0 offset:212 ; 4-byte Folded Spill
	buffer_store_dword v6, off, s[48:51], 0 offset:216 ; 4-byte Folded Spill
	;; [unrolled: 6-line block ×8, first 2 shown]
	ds_read_b64 v[3:4], v0 offset:192
	s_waitcnt lgkmcnt(0)
	buffer_store_dword v3, off, s[48:51], 0 offset:68 ; 4-byte Folded Spill
	buffer_store_dword v4, off, s[48:51], 0 offset:72 ; 4-byte Folded Spill
	v_mov_b32_e32 v3, 0
	v_mov_b32_e32 v4, 0
	s_load_dword s40, s[12:13], 0x0
	buffer_store_dword v3, off, s[48:51], 0 ; 4-byte Folded Spill
	buffer_store_dword v4, off, s[48:51], 0 offset:4 ; 4-byte Folded Spill
	v_mov_b32_e32 v3, 0
	v_mov_b32_e32 v4, 0
	buffer_store_dword v3, off, s[48:51], 0 offset:56 ; 4-byte Folded Spill
	buffer_store_dword v4, off, s[48:51], 0 offset:60 ; 4-byte Folded Spill
	s_waitcnt vmcnt(0)
	v_and_b32_e32 v1, 0xffff, v2
	v_cmp_ne_u16_sdwa s2, v2, v50 src0_sel:BYTE_0 src1_sel:DWORD
	ds_read_b128 v[2:5], v0 offset:160
	s_waitcnt lgkmcnt(0)
	buffer_store_dword v2, off, s[48:51], 0 offset:92 ; 4-byte Folded Spill
	buffer_store_dword v3, off, s[48:51], 0 offset:96 ; 4-byte Folded Spill
	;; [unrolled: 1-line block ×4, first 2 shown]
	ds_read_b128 v[2:5], v0 offset:176
	s_waitcnt lgkmcnt(0)
	buffer_store_dword v2, off, s[48:51], 0 offset:76 ; 4-byte Folded Spill
	buffer_store_dword v3, off, s[48:51], 0 offset:80 ; 4-byte Folded Spill
	;; [unrolled: 1-line block ×4, first 2 shown]
	s_and_saveexec_b32 s41, s2
	s_cbranch_execz .LBB185_25
; %bb.18:                               ;   in Loop: Header=BB185_12 Depth=1
	v_bfrev_b32_e32 v4, 1
	v_mov_b32_e32 v5, 0
	v_cmp_ne_u16_sdwa s2, v1, v38 src0_sel:BYTE_0 src1_sel:DWORD
	s_and_saveexec_b32 s42, s2
	s_cbranch_execz .LBB185_24
; %bb.19:                               ;   in Loop: Header=BB185_12 Depth=1
	v_mov_b32_e32 v4, 0x7f800001
	v_and_b32_e32 v3, 0x7f, v1
	v_mov_b32_e32 v5, 0
	s_mov_b32 s43, exec_lo
	v_cmpx_ne_u32_e32 0x7f, v3
	s_cbranch_execz .LBB185_23
; %bb.20:                               ;   in Loop: Header=BB185_12 Depth=1
	v_and_b32_e32 v49, 7, v1
	v_lshrrev_b32_e32 v2, 3, v3
	s_mov_b32 s44, exec_lo
	v_cmpx_gt_u32_e32 8, v3
; %bb.21:                               ;   in Loop: Header=BB185_12 Depth=1
	v_ffbh_u32_e32 v2, v49
	v_min_u32_e32 v2, 32, v2
	v_subrev_nc_u32_e32 v3, 28, v2
	v_sub_nc_u32_e32 v2, 29, v2
	v_lshlrev_b64 v[3:4], v3, v[49:50]
	v_and_b32_e32 v49, 7, v3
; %bb.22:                               ;   in Loop: Header=BB185_12 Depth=1
	s_or_b32 exec_lo, exec_lo, s44
	v_lshlrev_b32_e32 v3, 24, v1
	v_lshlrev_b32_e32 v4, 20, v49
	v_lshl_add_u32 v2, v2, 23, 0x3c000000
	v_and_b32_e32 v3, 0x80000000, v3
	v_or3_b32 v49, v4, v3, v2
	v_mov_b32_e32 v4, v49
	v_mov_b32_e32 v5, v50
.LBB185_23:                             ;   in Loop: Header=BB185_12 Depth=1
	s_or_b32 exec_lo, exec_lo, s43
.LBB185_24:                             ;   in Loop: Header=BB185_12 Depth=1
	s_or_b32 exec_lo, exec_lo, s42
	buffer_store_dword v4, off, s[48:51], 0 offset:56 ; 4-byte Folded Spill
	buffer_store_dword v5, off, s[48:51], 0 offset:60 ; 4-byte Folded Spill
.LBB185_25:                             ;   in Loop: Header=BB185_12 Depth=1
	s_or_b32 exec_lo, exec_lo, s41
	v_cmp_ne_u16_sdwa s2, v1, v50 src0_sel:BYTE_1 src1_sel:DWORD
	s_and_saveexec_b32 s41, s2
	s_cbranch_execz .LBB185_33
; %bb.26:                               ;   in Loop: Header=BB185_12 Depth=1
	v_mov_b32_e32 v33, v50
	v_cmp_ne_u16_sdwa s2, v1, v38 src0_sel:BYTE_1 src1_sel:DWORD
	buffer_store_dword v33, off, s[48:51], 0 ; 4-byte Folded Spill
	buffer_store_dword v34, off, s[48:51], 0 offset:4 ; 4-byte Folded Spill
	s_and_saveexec_b32 s42, s2
	s_cbranch_execz .LBB185_32
; %bb.27:                               ;   in Loop: Header=BB185_12 Depth=1
	v_mov_b32_e32 v2, 0xffff
	v_mov_b32_e32 v25, v50
	s_mov_b32 s43, exec_lo
	buffer_store_dword v25, off, s[48:51], 0 ; 4-byte Folded Spill
	buffer_store_dword v26, off, s[48:51], 0 offset:4 ; 4-byte Folded Spill
	v_and_b32_sdwa v2, v2, v1 dst_sel:DWORD dst_unused:UNUSED_PAD src0_sel:DWORD src1_sel:BYTE_1
	v_and_b32_e32 v3, 0x7f, v2
	v_cmpx_ne_u32_e32 0x7f, v3
	s_cbranch_execz .LBB185_31
; %bb.28:                               ;   in Loop: Header=BB185_12 Depth=1
	v_and_b32_e32 v49, 7, v2
	v_lshrrev_b32_e32 v2, 3, v3
	s_mov_b32 s44, exec_lo
	v_cmpx_gt_u32_e32 8, v3
; %bb.29:                               ;   in Loop: Header=BB185_12 Depth=1
	v_ffbh_u32_e32 v2, v49
	v_min_u32_e32 v2, 32, v2
	v_subrev_nc_u32_e32 v3, 28, v2
	v_sub_nc_u32_e32 v2, 29, v2
	v_lshlrev_b64 v[3:4], v3, v[49:50]
	v_and_b32_e32 v49, 7, v3
; %bb.30:                               ;   in Loop: Header=BB185_12 Depth=1
	s_or_b32 exec_lo, exec_lo, s44
	v_lshlrev_b32_e32 v1, 16, v1
	v_lshlrev_b32_e32 v3, 20, v49
	v_lshl_add_u32 v2, v2, 23, 0x3c000000
	v_and_b32_e32 v1, 0x80000000, v1
	v_or3_b32 v2, v3, v1, v2
	v_mov_b32_e32 v1, v50
	buffer_store_dword v1, off, s[48:51], 0 ; 4-byte Folded Spill
	buffer_store_dword v2, off, s[48:51], 0 offset:4 ; 4-byte Folded Spill
.LBB185_31:                             ;   in Loop: Header=BB185_12 Depth=1
	s_or_b32 exec_lo, exec_lo, s43
.LBB185_32:                             ;   in Loop: Header=BB185_12 Depth=1
	s_or_b32 exec_lo, exec_lo, s42
.LBB185_33:                             ;   in Loop: Header=BB185_12 Depth=1
	s_or_b32 exec_lo, exec_lo, s41
	global_load_ushort v2, v[69:70], off offset:4
	v_mov_b32_e32 v3, 0
	v_mov_b32_e32 v4, 0
	buffer_store_dword v3, off, s[48:51], 0 offset:16 ; 4-byte Folded Spill
	buffer_store_dword v4, off, s[48:51], 0 offset:20 ; 4-byte Folded Spill
	v_mov_b32_e32 v3, 0
	v_mov_b32_e32 v4, 0
	buffer_store_dword v3, off, s[48:51], 0 offset:8 ; 4-byte Folded Spill
	buffer_store_dword v4, off, s[48:51], 0 offset:12 ; 4-byte Folded Spill
	s_waitcnt vmcnt(0)
	v_and_b32_e32 v1, 0xffff, v2
	v_cmp_ne_u16_sdwa s2, v2, v50 src0_sel:BYTE_0 src1_sel:DWORD
	s_and_saveexec_b32 s41, s2
	s_cbranch_execz .LBB185_41
; %bb.34:                               ;   in Loop: Header=BB185_12 Depth=1
	v_bfrev_b32_e32 v2, 1
	v_mov_b32_e32 v3, 0
	v_cmp_ne_u16_sdwa s2, v1, v38 src0_sel:BYTE_0 src1_sel:DWORD
	buffer_store_dword v2, off, s[48:51], 0 offset:8 ; 4-byte Folded Spill
	buffer_store_dword v3, off, s[48:51], 0 offset:12 ; 4-byte Folded Spill
	s_and_saveexec_b32 s42, s2
	s_cbranch_execz .LBB185_40
; %bb.35:                               ;   in Loop: Header=BB185_12 Depth=1
	v_mov_b32_e32 v4, 0x7f800001
	v_and_b32_e32 v3, 0x7f, v1
	v_mov_b32_e32 v5, 0
	s_mov_b32 s43, exec_lo
	buffer_store_dword v4, off, s[48:51], 0 offset:8 ; 4-byte Folded Spill
	buffer_store_dword v5, off, s[48:51], 0 offset:12 ; 4-byte Folded Spill
	v_cmpx_ne_u32_e32 0x7f, v3
	s_cbranch_execz .LBB185_39
; %bb.36:                               ;   in Loop: Header=BB185_12 Depth=1
	v_and_b32_e32 v49, 7, v1
	v_lshrrev_b32_e32 v2, 3, v3
	s_mov_b32 s44, exec_lo
	v_cmpx_gt_u32_e32 8, v3
; %bb.37:                               ;   in Loop: Header=BB185_12 Depth=1
	v_ffbh_u32_e32 v2, v49
	v_min_u32_e32 v2, 32, v2
	v_subrev_nc_u32_e32 v3, 28, v2
	v_sub_nc_u32_e32 v2, 29, v2
	v_lshlrev_b64 v[3:4], v3, v[49:50]
	v_and_b32_e32 v49, 7, v3
; %bb.38:                               ;   in Loop: Header=BB185_12 Depth=1
	s_or_b32 exec_lo, exec_lo, s44
	v_lshlrev_b32_e32 v3, 24, v1
	v_lshlrev_b32_e32 v4, 20, v49
	v_lshl_add_u32 v2, v2, 23, 0x3c000000
	v_and_b32_e32 v3, 0x80000000, v3
	v_or3_b32 v49, v4, v3, v2
	buffer_store_dword v49, off, s[48:51], 0 offset:8 ; 4-byte Folded Spill
	buffer_store_dword v50, off, s[48:51], 0 offset:12 ; 4-byte Folded Spill
.LBB185_39:                             ;   in Loop: Header=BB185_12 Depth=1
	s_or_b32 exec_lo, exec_lo, s43
.LBB185_40:                             ;   in Loop: Header=BB185_12 Depth=1
	s_or_b32 exec_lo, exec_lo, s42
.LBB185_41:                             ;   in Loop: Header=BB185_12 Depth=1
	s_or_b32 exec_lo, exec_lo, s41
	v_cmp_ne_u16_sdwa s2, v1, v50 src0_sel:BYTE_1 src1_sel:DWORD
	s_and_saveexec_b32 s41, s2
	s_cbranch_execz .LBB185_49
; %bb.42:                               ;   in Loop: Header=BB185_12 Depth=1
	v_mov_b32_e32 v33, v50
	v_cmp_ne_u16_sdwa s2, v1, v38 src0_sel:BYTE_1 src1_sel:DWORD
	buffer_store_dword v33, off, s[48:51], 0 offset:16 ; 4-byte Folded Spill
	buffer_store_dword v34, off, s[48:51], 0 offset:20 ; 4-byte Folded Spill
	s_and_saveexec_b32 s42, s2
	s_cbranch_execz .LBB185_48
; %bb.43:                               ;   in Loop: Header=BB185_12 Depth=1
	v_mov_b32_e32 v2, 0xffff
	v_mov_b32_e32 v25, v50
	s_mov_b32 s43, exec_lo
	buffer_store_dword v25, off, s[48:51], 0 offset:16 ; 4-byte Folded Spill
	buffer_store_dword v26, off, s[48:51], 0 offset:20 ; 4-byte Folded Spill
	v_and_b32_sdwa v2, v2, v1 dst_sel:DWORD dst_unused:UNUSED_PAD src0_sel:DWORD src1_sel:BYTE_1
	v_and_b32_e32 v3, 0x7f, v2
	v_cmpx_ne_u32_e32 0x7f, v3
	s_cbranch_execz .LBB185_47
; %bb.44:                               ;   in Loop: Header=BB185_12 Depth=1
	v_and_b32_e32 v49, 7, v2
	v_lshrrev_b32_e32 v2, 3, v3
	s_mov_b32 s44, exec_lo
	v_cmpx_gt_u32_e32 8, v3
; %bb.45:                               ;   in Loop: Header=BB185_12 Depth=1
	v_ffbh_u32_e32 v2, v49
	v_min_u32_e32 v2, 32, v2
	v_subrev_nc_u32_e32 v3, 28, v2
	v_sub_nc_u32_e32 v2, 29, v2
	v_lshlrev_b64 v[3:4], v3, v[49:50]
	v_and_b32_e32 v49, 7, v3
; %bb.46:                               ;   in Loop: Header=BB185_12 Depth=1
	s_or_b32 exec_lo, exec_lo, s44
	v_lshlrev_b32_e32 v1, 16, v1
	v_lshlrev_b32_e32 v3, 20, v49
	v_lshl_add_u32 v2, v2, 23, 0x3c000000
	v_and_b32_e32 v1, 0x80000000, v1
	v_or3_b32 v2, v3, v1, v2
	v_mov_b32_e32 v1, v50
	buffer_store_dword v1, off, s[48:51], 0 offset:16 ; 4-byte Folded Spill
	buffer_store_dword v2, off, s[48:51], 0 offset:20 ; 4-byte Folded Spill
.LBB185_47:                             ;   in Loop: Header=BB185_12 Depth=1
	s_or_b32 exec_lo, exec_lo, s43
.LBB185_48:                             ;   in Loop: Header=BB185_12 Depth=1
	s_or_b32 exec_lo, exec_lo, s42
.LBB185_49:                             ;   in Loop: Header=BB185_12 Depth=1
	s_or_b32 exec_lo, exec_lo, s41
	global_load_ushort v2, v[69:70], off offset:8
	v_mov_b32_e32 v3, 0
	v_mov_b32_e32 v4, 0
	buffer_store_dword v3, off, s[48:51], 0 offset:32 ; 4-byte Folded Spill
	buffer_store_dword v4, off, s[48:51], 0 offset:36 ; 4-byte Folded Spill
	v_mov_b32_e32 v3, 0
	v_mov_b32_e32 v4, 0
	buffer_store_dword v3, off, s[48:51], 0 offset:24 ; 4-byte Folded Spill
	buffer_store_dword v4, off, s[48:51], 0 offset:28 ; 4-byte Folded Spill
	s_waitcnt vmcnt(0)
	v_and_b32_e32 v1, 0xffff, v2
	v_cmp_ne_u16_sdwa s2, v2, v50 src0_sel:BYTE_0 src1_sel:DWORD
	s_and_saveexec_b32 s41, s2
	s_cbranch_execz .LBB185_57
; %bb.50:                               ;   in Loop: Header=BB185_12 Depth=1
	v_bfrev_b32_e32 v2, 1
	v_mov_b32_e32 v3, 0
	v_cmp_ne_u16_sdwa s2, v1, v38 src0_sel:BYTE_0 src1_sel:DWORD
	buffer_store_dword v2, off, s[48:51], 0 offset:24 ; 4-byte Folded Spill
	buffer_store_dword v3, off, s[48:51], 0 offset:28 ; 4-byte Folded Spill
	s_and_saveexec_b32 s42, s2
	s_cbranch_execz .LBB185_56
; %bb.51:                               ;   in Loop: Header=BB185_12 Depth=1
	v_mov_b32_e32 v4, 0x7f800001
	v_and_b32_e32 v3, 0x7f, v1
	v_mov_b32_e32 v5, 0
	s_mov_b32 s43, exec_lo
	buffer_store_dword v4, off, s[48:51], 0 offset:24 ; 4-byte Folded Spill
	buffer_store_dword v5, off, s[48:51], 0 offset:28 ; 4-byte Folded Spill
	v_cmpx_ne_u32_e32 0x7f, v3
	s_cbranch_execz .LBB185_55
; %bb.52:                               ;   in Loop: Header=BB185_12 Depth=1
	v_and_b32_e32 v49, 7, v1
	v_lshrrev_b32_e32 v2, 3, v3
	s_mov_b32 s44, exec_lo
	v_cmpx_gt_u32_e32 8, v3
; %bb.53:                               ;   in Loop: Header=BB185_12 Depth=1
	v_ffbh_u32_e32 v2, v49
	v_min_u32_e32 v2, 32, v2
	v_subrev_nc_u32_e32 v3, 28, v2
	v_sub_nc_u32_e32 v2, 29, v2
	v_lshlrev_b64 v[3:4], v3, v[49:50]
	v_and_b32_e32 v49, 7, v3
; %bb.54:                               ;   in Loop: Header=BB185_12 Depth=1
	s_or_b32 exec_lo, exec_lo, s44
	v_lshlrev_b32_e32 v3, 24, v1
	v_lshlrev_b32_e32 v4, 20, v49
	v_lshl_add_u32 v2, v2, 23, 0x3c000000
	v_and_b32_e32 v3, 0x80000000, v3
	v_or3_b32 v49, v4, v3, v2
	buffer_store_dword v49, off, s[48:51], 0 offset:24 ; 4-byte Folded Spill
	buffer_store_dword v50, off, s[48:51], 0 offset:28 ; 4-byte Folded Spill
.LBB185_55:                             ;   in Loop: Header=BB185_12 Depth=1
	s_or_b32 exec_lo, exec_lo, s43
.LBB185_56:                             ;   in Loop: Header=BB185_12 Depth=1
	s_or_b32 exec_lo, exec_lo, s42
.LBB185_57:                             ;   in Loop: Header=BB185_12 Depth=1
	s_or_b32 exec_lo, exec_lo, s41
	v_cmp_ne_u16_sdwa s2, v1, v50 src0_sel:BYTE_1 src1_sel:DWORD
	s_and_saveexec_b32 s41, s2
	s_cbranch_execz .LBB185_65
; %bb.58:                               ;   in Loop: Header=BB185_12 Depth=1
	v_mov_b32_e32 v33, v50
	v_cmp_ne_u16_sdwa s2, v1, v38 src0_sel:BYTE_1 src1_sel:DWORD
	buffer_store_dword v33, off, s[48:51], 0 offset:32 ; 4-byte Folded Spill
	buffer_store_dword v34, off, s[48:51], 0 offset:36 ; 4-byte Folded Spill
	s_and_saveexec_b32 s42, s2
	s_cbranch_execz .LBB185_64
; %bb.59:                               ;   in Loop: Header=BB185_12 Depth=1
	v_mov_b32_e32 v2, 0xffff
	v_mov_b32_e32 v25, v50
	s_mov_b32 s43, exec_lo
	buffer_store_dword v25, off, s[48:51], 0 offset:32 ; 4-byte Folded Spill
	buffer_store_dword v26, off, s[48:51], 0 offset:36 ; 4-byte Folded Spill
	v_and_b32_sdwa v2, v2, v1 dst_sel:DWORD dst_unused:UNUSED_PAD src0_sel:DWORD src1_sel:BYTE_1
	v_and_b32_e32 v3, 0x7f, v2
	v_cmpx_ne_u32_e32 0x7f, v3
	s_cbranch_execz .LBB185_63
; %bb.60:                               ;   in Loop: Header=BB185_12 Depth=1
	v_and_b32_e32 v49, 7, v2
	v_lshrrev_b32_e32 v2, 3, v3
	s_mov_b32 s44, exec_lo
	v_cmpx_gt_u32_e32 8, v3
; %bb.61:                               ;   in Loop: Header=BB185_12 Depth=1
	v_ffbh_u32_e32 v2, v49
	v_min_u32_e32 v2, 32, v2
	v_subrev_nc_u32_e32 v3, 28, v2
	v_sub_nc_u32_e32 v2, 29, v2
	v_lshlrev_b64 v[3:4], v3, v[49:50]
	v_and_b32_e32 v49, 7, v3
; %bb.62:                               ;   in Loop: Header=BB185_12 Depth=1
	s_or_b32 exec_lo, exec_lo, s44
	v_lshlrev_b32_e32 v1, 16, v1
	v_lshlrev_b32_e32 v3, 20, v49
	v_lshl_add_u32 v2, v2, 23, 0x3c000000
	v_and_b32_e32 v1, 0x80000000, v1
	v_or3_b32 v2, v3, v1, v2
	v_mov_b32_e32 v1, v50
	buffer_store_dword v1, off, s[48:51], 0 offset:32 ; 4-byte Folded Spill
	buffer_store_dword v2, off, s[48:51], 0 offset:36 ; 4-byte Folded Spill
.LBB185_63:                             ;   in Loop: Header=BB185_12 Depth=1
	s_or_b32 exec_lo, exec_lo, s43
.LBB185_64:                             ;   in Loop: Header=BB185_12 Depth=1
	s_or_b32 exec_lo, exec_lo, s42
.LBB185_65:                             ;   in Loop: Header=BB185_12 Depth=1
	s_or_b32 exec_lo, exec_lo, s41
	global_load_ushort v2, v[69:70], off offset:12
	v_mov_b32_e32 v77, 0
	v_mov_b32_e32 v3, 0
	;; [unrolled: 1-line block ×4, first 2 shown]
	buffer_store_dword v3, off, s[48:51], 0 offset:40 ; 4-byte Folded Spill
	buffer_store_dword v4, off, s[48:51], 0 offset:44 ; 4-byte Folded Spill
	s_waitcnt vmcnt(0)
	v_and_b32_e32 v1, 0xffff, v2
	v_cmp_ne_u16_sdwa s2, v2, v50 src0_sel:BYTE_0 src1_sel:DWORD
	s_and_saveexec_b32 s41, s2
	s_cbranch_execz .LBB185_73
; %bb.66:                               ;   in Loop: Header=BB185_12 Depth=1
	v_bfrev_b32_e32 v2, 1
	v_mov_b32_e32 v3, 0
	v_cmp_ne_u16_sdwa s2, v1, v38 src0_sel:BYTE_0 src1_sel:DWORD
	buffer_store_dword v2, off, s[48:51], 0 offset:40 ; 4-byte Folded Spill
	buffer_store_dword v3, off, s[48:51], 0 offset:44 ; 4-byte Folded Spill
	s_and_saveexec_b32 s42, s2
	s_cbranch_execz .LBB185_72
; %bb.67:                               ;   in Loop: Header=BB185_12 Depth=1
	v_mov_b32_e32 v4, 0x7f800001
	v_and_b32_e32 v3, 0x7f, v1
	v_mov_b32_e32 v5, 0
	s_mov_b32 s43, exec_lo
	buffer_store_dword v4, off, s[48:51], 0 offset:40 ; 4-byte Folded Spill
	buffer_store_dword v5, off, s[48:51], 0 offset:44 ; 4-byte Folded Spill
	v_cmpx_ne_u32_e32 0x7f, v3
	s_cbranch_execz .LBB185_71
; %bb.68:                               ;   in Loop: Header=BB185_12 Depth=1
	v_and_b32_e32 v49, 7, v1
	v_lshrrev_b32_e32 v2, 3, v3
	s_mov_b32 s44, exec_lo
	v_cmpx_gt_u32_e32 8, v3
; %bb.69:                               ;   in Loop: Header=BB185_12 Depth=1
	v_ffbh_u32_e32 v2, v49
	v_min_u32_e32 v2, 32, v2
	v_subrev_nc_u32_e32 v3, 28, v2
	v_sub_nc_u32_e32 v2, 29, v2
	v_lshlrev_b64 v[3:4], v3, v[49:50]
	v_and_b32_e32 v49, 7, v3
; %bb.70:                               ;   in Loop: Header=BB185_12 Depth=1
	s_or_b32 exec_lo, exec_lo, s44
	v_lshlrev_b32_e32 v3, 24, v1
	v_lshlrev_b32_e32 v4, 20, v49
	v_lshl_add_u32 v2, v2, 23, 0x3c000000
	v_and_b32_e32 v3, 0x80000000, v3
	v_or3_b32 v49, v4, v3, v2
	buffer_store_dword v49, off, s[48:51], 0 offset:40 ; 4-byte Folded Spill
	buffer_store_dword v50, off, s[48:51], 0 offset:44 ; 4-byte Folded Spill
.LBB185_71:                             ;   in Loop: Header=BB185_12 Depth=1
	s_or_b32 exec_lo, exec_lo, s43
.LBB185_72:                             ;   in Loop: Header=BB185_12 Depth=1
	s_or_b32 exec_lo, exec_lo, s42
.LBB185_73:                             ;   in Loop: Header=BB185_12 Depth=1
	s_or_b32 exec_lo, exec_lo, s41
	v_cmp_ne_u16_sdwa s2, v1, v50 src0_sel:BYTE_1 src1_sel:DWORD
	s_and_saveexec_b32 s41, s2
	s_cbranch_execz .LBB185_81
; %bb.74:                               ;   in Loop: Header=BB185_12 Depth=1
	v_mov_b32_e32 v33, v50
	v_mov_b32_e32 v78, v34
	v_cmp_ne_u16_sdwa s2, v1, v38 src0_sel:BYTE_1 src1_sel:DWORD
	v_mov_b32_e32 v77, v33
	s_and_saveexec_b32 s42, s2
	s_cbranch_execz .LBB185_80
; %bb.75:                               ;   in Loop: Header=BB185_12 Depth=1
	v_mov_b32_e32 v2, 0xffff
	v_mov_b32_e32 v25, v50
	v_mov_b32_e32 v78, v26
	s_mov_b32 s43, exec_lo
	v_and_b32_sdwa v2, v2, v1 dst_sel:DWORD dst_unused:UNUSED_PAD src0_sel:DWORD src1_sel:BYTE_1
	v_mov_b32_e32 v77, v25
	v_and_b32_e32 v3, 0x7f, v2
	v_cmpx_ne_u32_e32 0x7f, v3
	s_cbranch_execz .LBB185_79
; %bb.76:                               ;   in Loop: Header=BB185_12 Depth=1
	v_and_b32_e32 v49, 7, v2
	v_lshrrev_b32_e32 v2, 3, v3
	s_mov_b32 s44, exec_lo
	v_cmpx_gt_u32_e32 8, v3
; %bb.77:                               ;   in Loop: Header=BB185_12 Depth=1
	v_ffbh_u32_e32 v2, v49
	v_min_u32_e32 v2, 32, v2
	v_subrev_nc_u32_e32 v3, 28, v2
	v_sub_nc_u32_e32 v2, 29, v2
	v_lshlrev_b64 v[3:4], v3, v[49:50]
	v_and_b32_e32 v49, 7, v3
; %bb.78:                               ;   in Loop: Header=BB185_12 Depth=1
	s_or_b32 exec_lo, exec_lo, s44
	v_lshlrev_b32_e32 v1, 16, v1
	v_lshlrev_b32_e32 v3, 20, v49
	v_lshl_add_u32 v2, v2, 23, 0x3c000000
	v_mov_b32_e32 v77, v50
	v_and_b32_e32 v1, 0x80000000, v1
	v_or3_b32 v78, v3, v1, v2
.LBB185_79:                             ;   in Loop: Header=BB185_12 Depth=1
	s_or_b32 exec_lo, exec_lo, s43
.LBB185_80:                             ;   in Loop: Header=BB185_12 Depth=1
	s_or_b32 exec_lo, exec_lo, s42
.LBB185_81:                             ;   in Loop: Header=BB185_12 Depth=1
	s_or_b32 exec_lo, exec_lo, s41
	global_load_ushort v2, v[69:70], off offset:256
	v_mov_b32_e32 v81, 0
	v_mov_b32_e32 v3, 0
	;; [unrolled: 1-line block ×4, first 2 shown]
	buffer_store_dword v3, off, s[48:51], 0 offset:48 ; 4-byte Folded Spill
	buffer_store_dword v4, off, s[48:51], 0 offset:52 ; 4-byte Folded Spill
	s_waitcnt vmcnt(0)
	v_and_b32_e32 v1, 0xffff, v2
	v_cmp_ne_u16_sdwa s2, v2, v50 src0_sel:BYTE_0 src1_sel:DWORD
	s_and_saveexec_b32 s41, s2
	s_cbranch_execz .LBB185_89
; %bb.82:                               ;   in Loop: Header=BB185_12 Depth=1
	v_bfrev_b32_e32 v2, 1
	v_mov_b32_e32 v3, 0
	v_cmp_ne_u16_sdwa s2, v1, v38 src0_sel:BYTE_0 src1_sel:DWORD
	buffer_store_dword v2, off, s[48:51], 0 offset:48 ; 4-byte Folded Spill
	buffer_store_dword v3, off, s[48:51], 0 offset:52 ; 4-byte Folded Spill
	s_and_saveexec_b32 s42, s2
	s_cbranch_execz .LBB185_88
; %bb.83:                               ;   in Loop: Header=BB185_12 Depth=1
	v_mov_b32_e32 v4, 0x7f800001
	v_and_b32_e32 v3, 0x7f, v1
	v_mov_b32_e32 v5, 0
	s_mov_b32 s43, exec_lo
	buffer_store_dword v4, off, s[48:51], 0 offset:48 ; 4-byte Folded Spill
	buffer_store_dword v5, off, s[48:51], 0 offset:52 ; 4-byte Folded Spill
	v_cmpx_ne_u32_e32 0x7f, v3
	s_cbranch_execz .LBB185_87
; %bb.84:                               ;   in Loop: Header=BB185_12 Depth=1
	v_and_b32_e32 v49, 7, v1
	v_lshrrev_b32_e32 v2, 3, v3
	s_mov_b32 s44, exec_lo
	v_cmpx_gt_u32_e32 8, v3
; %bb.85:                               ;   in Loop: Header=BB185_12 Depth=1
	v_ffbh_u32_e32 v2, v49
	v_min_u32_e32 v2, 32, v2
	v_subrev_nc_u32_e32 v3, 28, v2
	v_sub_nc_u32_e32 v2, 29, v2
	v_lshlrev_b64 v[3:4], v3, v[49:50]
	v_and_b32_e32 v49, 7, v3
; %bb.86:                               ;   in Loop: Header=BB185_12 Depth=1
	s_or_b32 exec_lo, exec_lo, s44
	v_lshlrev_b32_e32 v3, 24, v1
	v_lshlrev_b32_e32 v4, 20, v49
	v_lshl_add_u32 v2, v2, 23, 0x3c000000
	v_and_b32_e32 v3, 0x80000000, v3
	v_or3_b32 v49, v4, v3, v2
	buffer_store_dword v49, off, s[48:51], 0 offset:48 ; 4-byte Folded Spill
	buffer_store_dword v50, off, s[48:51], 0 offset:52 ; 4-byte Folded Spill
.LBB185_87:                             ;   in Loop: Header=BB185_12 Depth=1
	s_or_b32 exec_lo, exec_lo, s43
.LBB185_88:                             ;   in Loop: Header=BB185_12 Depth=1
	s_or_b32 exec_lo, exec_lo, s42
.LBB185_89:                             ;   in Loop: Header=BB185_12 Depth=1
	s_or_b32 exec_lo, exec_lo, s41
	v_cmp_ne_u16_sdwa s2, v1, v50 src0_sel:BYTE_1 src1_sel:DWORD
	s_and_saveexec_b32 s41, s2
	s_cbranch_execz .LBB185_97
; %bb.90:                               ;   in Loop: Header=BB185_12 Depth=1
	v_mov_b32_e32 v33, v50
	v_mov_b32_e32 v82, v34
	v_cmp_ne_u16_sdwa s2, v1, v38 src0_sel:BYTE_1 src1_sel:DWORD
	v_mov_b32_e32 v81, v33
	s_and_saveexec_b32 s42, s2
	s_cbranch_execz .LBB185_96
; %bb.91:                               ;   in Loop: Header=BB185_12 Depth=1
	v_mov_b32_e32 v2, 0xffff
	v_mov_b32_e32 v25, v50
	;; [unrolled: 1-line block ×3, first 2 shown]
	s_mov_b32 s43, exec_lo
	v_and_b32_sdwa v2, v2, v1 dst_sel:DWORD dst_unused:UNUSED_PAD src0_sel:DWORD src1_sel:BYTE_1
	v_mov_b32_e32 v81, v25
	v_and_b32_e32 v3, 0x7f, v2
	v_cmpx_ne_u32_e32 0x7f, v3
	s_cbranch_execz .LBB185_95
; %bb.92:                               ;   in Loop: Header=BB185_12 Depth=1
	v_and_b32_e32 v49, 7, v2
	v_lshrrev_b32_e32 v2, 3, v3
	s_mov_b32 s44, exec_lo
	v_cmpx_gt_u32_e32 8, v3
; %bb.93:                               ;   in Loop: Header=BB185_12 Depth=1
	v_ffbh_u32_e32 v2, v49
	v_min_u32_e32 v2, 32, v2
	v_subrev_nc_u32_e32 v3, 28, v2
	v_sub_nc_u32_e32 v2, 29, v2
	v_lshlrev_b64 v[3:4], v3, v[49:50]
	v_and_b32_e32 v49, 7, v3
; %bb.94:                               ;   in Loop: Header=BB185_12 Depth=1
	s_or_b32 exec_lo, exec_lo, s44
	v_lshlrev_b32_e32 v1, 16, v1
	v_lshlrev_b32_e32 v3, 20, v49
	v_lshl_add_u32 v2, v2, 23, 0x3c000000
	v_mov_b32_e32 v81, v50
	v_and_b32_e32 v1, 0x80000000, v1
	v_or3_b32 v82, v3, v1, v2
.LBB185_95:                             ;   in Loop: Header=BB185_12 Depth=1
	s_or_b32 exec_lo, exec_lo, s43
.LBB185_96:                             ;   in Loop: Header=BB185_12 Depth=1
	s_or_b32 exec_lo, exec_lo, s42
.LBB185_97:                             ;   in Loop: Header=BB185_12 Depth=1
	s_or_b32 exec_lo, exec_lo, s41
	global_load_ushort v2, v[69:70], off offset:260
	v_mov_b32_e32 v85, 0
	v_mov_b32_e32 v83, 0
	;; [unrolled: 1-line block ×4, first 2 shown]
	s_waitcnt vmcnt(0)
	v_and_b32_e32 v1, 0xffff, v2
	v_cmp_ne_u16_sdwa s2, v2, v50 src0_sel:BYTE_0 src1_sel:DWORD
	s_and_saveexec_b32 s41, s2
	s_cbranch_execz .LBB185_105
; %bb.98:                               ;   in Loop: Header=BB185_12 Depth=1
	v_bfrev_b32_e32 v83, 1
	v_mov_b32_e32 v84, 0
	v_cmp_ne_u16_sdwa s2, v1, v38 src0_sel:BYTE_0 src1_sel:DWORD
	s_and_saveexec_b32 s42, s2
	s_cbranch_execz .LBB185_104
; %bb.99:                               ;   in Loop: Header=BB185_12 Depth=1
	v_mov_b32_e32 v83, 0x7f800001
	v_and_b32_e32 v3, 0x7f, v1
	v_mov_b32_e32 v84, 0
	s_mov_b32 s43, exec_lo
	v_cmpx_ne_u32_e32 0x7f, v3
	s_cbranch_execz .LBB185_103
; %bb.100:                              ;   in Loop: Header=BB185_12 Depth=1
	v_and_b32_e32 v49, 7, v1
	v_lshrrev_b32_e32 v2, 3, v3
	s_mov_b32 s44, exec_lo
	v_cmpx_gt_u32_e32 8, v3
; %bb.101:                              ;   in Loop: Header=BB185_12 Depth=1
	v_ffbh_u32_e32 v2, v49
	v_min_u32_e32 v2, 32, v2
	v_subrev_nc_u32_e32 v3, 28, v2
	v_sub_nc_u32_e32 v2, 29, v2
	v_lshlrev_b64 v[3:4], v3, v[49:50]
	v_and_b32_e32 v49, 7, v3
; %bb.102:                              ;   in Loop: Header=BB185_12 Depth=1
	s_or_b32 exec_lo, exec_lo, s44
	v_lshlrev_b32_e32 v3, 24, v1
	v_lshlrev_b32_e32 v4, 20, v49
	v_lshl_add_u32 v2, v2, 23, 0x3c000000
	v_and_b32_e32 v3, 0x80000000, v3
	v_or3_b32 v49, v4, v3, v2
	v_mov_b32_e32 v84, v50
	v_mov_b32_e32 v83, v49
.LBB185_103:                            ;   in Loop: Header=BB185_12 Depth=1
	s_or_b32 exec_lo, exec_lo, s43
.LBB185_104:                            ;   in Loop: Header=BB185_12 Depth=1
	s_or_b32 exec_lo, exec_lo, s42
.LBB185_105:                            ;   in Loop: Header=BB185_12 Depth=1
	s_or_b32 exec_lo, exec_lo, s41
	v_cmp_ne_u16_sdwa s2, v1, v50 src0_sel:BYTE_1 src1_sel:DWORD
	s_and_saveexec_b32 s41, s2
	s_cbranch_execz .LBB185_113
; %bb.106:                              ;   in Loop: Header=BB185_12 Depth=1
	v_mov_b32_e32 v33, v50
	v_mov_b32_e32 v86, v34
	v_cmp_ne_u16_sdwa s2, v1, v38 src0_sel:BYTE_1 src1_sel:DWORD
	v_mov_b32_e32 v85, v33
	s_and_saveexec_b32 s42, s2
	s_cbranch_execz .LBB185_112
; %bb.107:                              ;   in Loop: Header=BB185_12 Depth=1
	v_mov_b32_e32 v2, 0xffff
	v_mov_b32_e32 v25, v50
	v_mov_b32_e32 v86, v26
	s_mov_b32 s43, exec_lo
	v_and_b32_sdwa v2, v2, v1 dst_sel:DWORD dst_unused:UNUSED_PAD src0_sel:DWORD src1_sel:BYTE_1
	v_mov_b32_e32 v85, v25
	v_and_b32_e32 v3, 0x7f, v2
	v_cmpx_ne_u32_e32 0x7f, v3
	s_cbranch_execz .LBB185_111
; %bb.108:                              ;   in Loop: Header=BB185_12 Depth=1
	v_and_b32_e32 v49, 7, v2
	v_lshrrev_b32_e32 v2, 3, v3
	s_mov_b32 s44, exec_lo
	v_cmpx_gt_u32_e32 8, v3
; %bb.109:                              ;   in Loop: Header=BB185_12 Depth=1
	v_ffbh_u32_e32 v2, v49
	v_min_u32_e32 v2, 32, v2
	v_subrev_nc_u32_e32 v3, 28, v2
	v_sub_nc_u32_e32 v2, 29, v2
	v_lshlrev_b64 v[3:4], v3, v[49:50]
	v_and_b32_e32 v49, 7, v3
; %bb.110:                              ;   in Loop: Header=BB185_12 Depth=1
	s_or_b32 exec_lo, exec_lo, s44
	v_lshlrev_b32_e32 v1, 16, v1
	v_lshlrev_b32_e32 v3, 20, v49
	v_lshl_add_u32 v2, v2, 23, 0x3c000000
	v_mov_b32_e32 v85, v50
	v_and_b32_e32 v1, 0x80000000, v1
	v_or3_b32 v86, v3, v1, v2
.LBB185_111:                            ;   in Loop: Header=BB185_12 Depth=1
	s_or_b32 exec_lo, exec_lo, s43
.LBB185_112:                            ;   in Loop: Header=BB185_12 Depth=1
	s_or_b32 exec_lo, exec_lo, s42
.LBB185_113:                            ;   in Loop: Header=BB185_12 Depth=1
	s_or_b32 exec_lo, exec_lo, s41
	global_load_ushort v2, v[69:70], off offset:264
	v_mov_b32_e32 v89, 0
	v_mov_b32_e32 v87, 0
	;; [unrolled: 1-line block ×4, first 2 shown]
	s_waitcnt vmcnt(0)
	v_and_b32_e32 v1, 0xffff, v2
	v_cmp_ne_u16_sdwa s2, v2, v50 src0_sel:BYTE_0 src1_sel:DWORD
	s_and_saveexec_b32 s41, s2
	s_cbranch_execz .LBB185_121
; %bb.114:                              ;   in Loop: Header=BB185_12 Depth=1
	v_bfrev_b32_e32 v87, 1
	v_mov_b32_e32 v88, 0
	v_cmp_ne_u16_sdwa s2, v1, v38 src0_sel:BYTE_0 src1_sel:DWORD
	s_and_saveexec_b32 s42, s2
	s_cbranch_execz .LBB185_120
; %bb.115:                              ;   in Loop: Header=BB185_12 Depth=1
	v_mov_b32_e32 v87, 0x7f800001
	v_and_b32_e32 v3, 0x7f, v1
	v_mov_b32_e32 v88, 0
	s_mov_b32 s43, exec_lo
	v_cmpx_ne_u32_e32 0x7f, v3
	s_cbranch_execz .LBB185_119
; %bb.116:                              ;   in Loop: Header=BB185_12 Depth=1
	v_and_b32_e32 v49, 7, v1
	v_lshrrev_b32_e32 v2, 3, v3
	s_mov_b32 s44, exec_lo
	v_cmpx_gt_u32_e32 8, v3
; %bb.117:                              ;   in Loop: Header=BB185_12 Depth=1
	v_ffbh_u32_e32 v2, v49
	v_min_u32_e32 v2, 32, v2
	v_subrev_nc_u32_e32 v3, 28, v2
	v_sub_nc_u32_e32 v2, 29, v2
	v_lshlrev_b64 v[3:4], v3, v[49:50]
	v_and_b32_e32 v49, 7, v3
; %bb.118:                              ;   in Loop: Header=BB185_12 Depth=1
	s_or_b32 exec_lo, exec_lo, s44
	v_lshlrev_b32_e32 v3, 24, v1
	v_lshlrev_b32_e32 v4, 20, v49
	v_lshl_add_u32 v2, v2, 23, 0x3c000000
	v_and_b32_e32 v3, 0x80000000, v3
	v_or3_b32 v49, v4, v3, v2
	v_mov_b32_e32 v88, v50
	v_mov_b32_e32 v87, v49
.LBB185_119:                            ;   in Loop: Header=BB185_12 Depth=1
	s_or_b32 exec_lo, exec_lo, s43
.LBB185_120:                            ;   in Loop: Header=BB185_12 Depth=1
	s_or_b32 exec_lo, exec_lo, s42
.LBB185_121:                            ;   in Loop: Header=BB185_12 Depth=1
	s_or_b32 exec_lo, exec_lo, s41
	v_cmp_ne_u16_sdwa s2, v1, v50 src0_sel:BYTE_1 src1_sel:DWORD
	s_and_saveexec_b32 s41, s2
	s_cbranch_execz .LBB185_129
; %bb.122:                              ;   in Loop: Header=BB185_12 Depth=1
	v_mov_b32_e32 v33, v50
	v_mov_b32_e32 v90, v34
	v_cmp_ne_u16_sdwa s2, v1, v38 src0_sel:BYTE_1 src1_sel:DWORD
	v_mov_b32_e32 v89, v33
	s_and_saveexec_b32 s42, s2
	s_cbranch_execz .LBB185_128
; %bb.123:                              ;   in Loop: Header=BB185_12 Depth=1
	v_mov_b32_e32 v2, 0xffff
	v_mov_b32_e32 v25, v50
	;; [unrolled: 1-line block ×3, first 2 shown]
	s_mov_b32 s43, exec_lo
	v_and_b32_sdwa v2, v2, v1 dst_sel:DWORD dst_unused:UNUSED_PAD src0_sel:DWORD src1_sel:BYTE_1
	v_mov_b32_e32 v89, v25
	v_and_b32_e32 v3, 0x7f, v2
	v_cmpx_ne_u32_e32 0x7f, v3
	s_cbranch_execz .LBB185_127
; %bb.124:                              ;   in Loop: Header=BB185_12 Depth=1
	v_and_b32_e32 v49, 7, v2
	v_lshrrev_b32_e32 v2, 3, v3
	s_mov_b32 s44, exec_lo
	v_cmpx_gt_u32_e32 8, v3
; %bb.125:                              ;   in Loop: Header=BB185_12 Depth=1
	v_ffbh_u32_e32 v2, v49
	v_min_u32_e32 v2, 32, v2
	v_subrev_nc_u32_e32 v3, 28, v2
	v_sub_nc_u32_e32 v2, 29, v2
	v_lshlrev_b64 v[3:4], v3, v[49:50]
	v_and_b32_e32 v49, 7, v3
; %bb.126:                              ;   in Loop: Header=BB185_12 Depth=1
	s_or_b32 exec_lo, exec_lo, s44
	v_lshlrev_b32_e32 v1, 16, v1
	v_lshlrev_b32_e32 v3, 20, v49
	v_lshl_add_u32 v2, v2, 23, 0x3c000000
	v_mov_b32_e32 v89, v50
	v_and_b32_e32 v1, 0x80000000, v1
	v_or3_b32 v90, v3, v1, v2
.LBB185_127:                            ;   in Loop: Header=BB185_12 Depth=1
	s_or_b32 exec_lo, exec_lo, s43
.LBB185_128:                            ;   in Loop: Header=BB185_12 Depth=1
	s_or_b32 exec_lo, exec_lo, s42
.LBB185_129:                            ;   in Loop: Header=BB185_12 Depth=1
	s_or_b32 exec_lo, exec_lo, s41
	global_load_ushort v2, v[69:70], off offset:268
	v_mov_b32_e32 v93, 0
	v_mov_b32_e32 v91, 0
	;; [unrolled: 1-line block ×4, first 2 shown]
	s_waitcnt vmcnt(0)
	v_and_b32_e32 v1, 0xffff, v2
	v_cmp_ne_u16_sdwa s2, v2, v50 src0_sel:BYTE_0 src1_sel:DWORD
	s_and_saveexec_b32 s41, s2
	s_cbranch_execz .LBB185_137
; %bb.130:                              ;   in Loop: Header=BB185_12 Depth=1
	v_bfrev_b32_e32 v91, 1
	v_mov_b32_e32 v92, 0
	v_cmp_ne_u16_sdwa s2, v1, v38 src0_sel:BYTE_0 src1_sel:DWORD
	s_and_saveexec_b32 s42, s2
	s_cbranch_execz .LBB185_136
; %bb.131:                              ;   in Loop: Header=BB185_12 Depth=1
	v_mov_b32_e32 v91, 0x7f800001
	v_and_b32_e32 v3, 0x7f, v1
	v_mov_b32_e32 v92, 0
	s_mov_b32 s43, exec_lo
	v_cmpx_ne_u32_e32 0x7f, v3
	s_cbranch_execz .LBB185_135
; %bb.132:                              ;   in Loop: Header=BB185_12 Depth=1
	v_and_b32_e32 v49, 7, v1
	v_lshrrev_b32_e32 v2, 3, v3
	s_mov_b32 s44, exec_lo
	v_cmpx_gt_u32_e32 8, v3
; %bb.133:                              ;   in Loop: Header=BB185_12 Depth=1
	v_ffbh_u32_e32 v2, v49
	v_min_u32_e32 v2, 32, v2
	v_subrev_nc_u32_e32 v3, 28, v2
	v_sub_nc_u32_e32 v2, 29, v2
	v_lshlrev_b64 v[3:4], v3, v[49:50]
	v_and_b32_e32 v49, 7, v3
; %bb.134:                              ;   in Loop: Header=BB185_12 Depth=1
	s_or_b32 exec_lo, exec_lo, s44
	v_lshlrev_b32_e32 v3, 24, v1
	v_lshlrev_b32_e32 v4, 20, v49
	v_lshl_add_u32 v2, v2, 23, 0x3c000000
	v_and_b32_e32 v3, 0x80000000, v3
	v_or3_b32 v49, v4, v3, v2
	v_mov_b32_e32 v92, v50
	v_mov_b32_e32 v91, v49
.LBB185_135:                            ;   in Loop: Header=BB185_12 Depth=1
	s_or_b32 exec_lo, exec_lo, s43
.LBB185_136:                            ;   in Loop: Header=BB185_12 Depth=1
	s_or_b32 exec_lo, exec_lo, s42
.LBB185_137:                            ;   in Loop: Header=BB185_12 Depth=1
	s_or_b32 exec_lo, exec_lo, s41
	v_cmp_ne_u16_sdwa s2, v1, v50 src0_sel:BYTE_1 src1_sel:DWORD
	s_and_saveexec_b32 s41, s2
	s_cbranch_execz .LBB185_145
; %bb.138:                              ;   in Loop: Header=BB185_12 Depth=1
	v_mov_b32_e32 v33, v50
	v_mov_b32_e32 v94, v34
	v_cmp_ne_u16_sdwa s2, v1, v38 src0_sel:BYTE_1 src1_sel:DWORD
	v_mov_b32_e32 v93, v33
	s_and_saveexec_b32 s42, s2
	s_cbranch_execz .LBB185_144
; %bb.139:                              ;   in Loop: Header=BB185_12 Depth=1
	v_mov_b32_e32 v2, 0xffff
	v_mov_b32_e32 v25, v50
	;; [unrolled: 1-line block ×3, first 2 shown]
	s_mov_b32 s43, exec_lo
	v_and_b32_sdwa v2, v2, v1 dst_sel:DWORD dst_unused:UNUSED_PAD src0_sel:DWORD src1_sel:BYTE_1
	v_mov_b32_e32 v93, v25
	v_and_b32_e32 v3, 0x7f, v2
	v_cmpx_ne_u32_e32 0x7f, v3
	s_cbranch_execz .LBB185_143
; %bb.140:                              ;   in Loop: Header=BB185_12 Depth=1
	v_and_b32_e32 v49, 7, v2
	v_lshrrev_b32_e32 v2, 3, v3
	s_mov_b32 s44, exec_lo
	v_cmpx_gt_u32_e32 8, v3
; %bb.141:                              ;   in Loop: Header=BB185_12 Depth=1
	v_ffbh_u32_e32 v2, v49
	v_min_u32_e32 v2, 32, v2
	v_subrev_nc_u32_e32 v3, 28, v2
	v_sub_nc_u32_e32 v2, 29, v2
	v_lshlrev_b64 v[3:4], v3, v[49:50]
	v_and_b32_e32 v49, 7, v3
; %bb.142:                              ;   in Loop: Header=BB185_12 Depth=1
	s_or_b32 exec_lo, exec_lo, s44
	v_lshlrev_b32_e32 v1, 16, v1
	v_lshlrev_b32_e32 v3, 20, v49
	v_lshl_add_u32 v2, v2, 23, 0x3c000000
	v_mov_b32_e32 v93, v50
	v_and_b32_e32 v1, 0x80000000, v1
	v_or3_b32 v94, v3, v1, v2
.LBB185_143:                            ;   in Loop: Header=BB185_12 Depth=1
	s_or_b32 exec_lo, exec_lo, s43
.LBB185_144:                            ;   in Loop: Header=BB185_12 Depth=1
	s_or_b32 exec_lo, exec_lo, s42
.LBB185_145:                            ;   in Loop: Header=BB185_12 Depth=1
	s_or_b32 exec_lo, exec_lo, s41
	global_load_ushort v2, v[69:70], off offset:512
	v_mov_b32_e32 v97, 0
	v_mov_b32_e32 v95, 0
	;; [unrolled: 1-line block ×4, first 2 shown]
	s_waitcnt vmcnt(0)
	v_and_b32_e32 v1, 0xffff, v2
	v_cmp_ne_u16_sdwa s2, v2, v50 src0_sel:BYTE_0 src1_sel:DWORD
	s_and_saveexec_b32 s41, s2
	s_cbranch_execz .LBB185_153
; %bb.146:                              ;   in Loop: Header=BB185_12 Depth=1
	v_bfrev_b32_e32 v95, 1
	v_mov_b32_e32 v96, 0
	v_cmp_ne_u16_sdwa s2, v1, v38 src0_sel:BYTE_0 src1_sel:DWORD
	s_and_saveexec_b32 s42, s2
	s_cbranch_execz .LBB185_152
; %bb.147:                              ;   in Loop: Header=BB185_12 Depth=1
	v_mov_b32_e32 v95, 0x7f800001
	v_and_b32_e32 v3, 0x7f, v1
	v_mov_b32_e32 v96, 0
	s_mov_b32 s43, exec_lo
	v_cmpx_ne_u32_e32 0x7f, v3
	s_cbranch_execz .LBB185_151
; %bb.148:                              ;   in Loop: Header=BB185_12 Depth=1
	v_and_b32_e32 v49, 7, v1
	v_lshrrev_b32_e32 v2, 3, v3
	s_mov_b32 s44, exec_lo
	v_cmpx_gt_u32_e32 8, v3
; %bb.149:                              ;   in Loop: Header=BB185_12 Depth=1
	v_ffbh_u32_e32 v2, v49
	v_min_u32_e32 v2, 32, v2
	v_subrev_nc_u32_e32 v3, 28, v2
	v_sub_nc_u32_e32 v2, 29, v2
	v_lshlrev_b64 v[3:4], v3, v[49:50]
	v_and_b32_e32 v49, 7, v3
; %bb.150:                              ;   in Loop: Header=BB185_12 Depth=1
	s_or_b32 exec_lo, exec_lo, s44
	v_lshlrev_b32_e32 v3, 24, v1
	v_lshlrev_b32_e32 v4, 20, v49
	v_lshl_add_u32 v2, v2, 23, 0x3c000000
	v_and_b32_e32 v3, 0x80000000, v3
	v_or3_b32 v49, v4, v3, v2
	v_mov_b32_e32 v96, v50
	v_mov_b32_e32 v95, v49
.LBB185_151:                            ;   in Loop: Header=BB185_12 Depth=1
	s_or_b32 exec_lo, exec_lo, s43
.LBB185_152:                            ;   in Loop: Header=BB185_12 Depth=1
	s_or_b32 exec_lo, exec_lo, s42
.LBB185_153:                            ;   in Loop: Header=BB185_12 Depth=1
	s_or_b32 exec_lo, exec_lo, s41
	v_cmp_ne_u16_sdwa s2, v1, v50 src0_sel:BYTE_1 src1_sel:DWORD
	s_and_saveexec_b32 s41, s2
	s_cbranch_execz .LBB185_161
; %bb.154:                              ;   in Loop: Header=BB185_12 Depth=1
	v_mov_b32_e32 v33, v50
	v_mov_b32_e32 v98, v34
	v_cmp_ne_u16_sdwa s2, v1, v38 src0_sel:BYTE_1 src1_sel:DWORD
	v_mov_b32_e32 v97, v33
	s_and_saveexec_b32 s42, s2
	s_cbranch_execz .LBB185_160
; %bb.155:                              ;   in Loop: Header=BB185_12 Depth=1
	v_mov_b32_e32 v2, 0xffff
	v_mov_b32_e32 v25, v50
	v_mov_b32_e32 v98, v26
	s_mov_b32 s43, exec_lo
	v_and_b32_sdwa v2, v2, v1 dst_sel:DWORD dst_unused:UNUSED_PAD src0_sel:DWORD src1_sel:BYTE_1
	v_mov_b32_e32 v97, v25
	v_and_b32_e32 v3, 0x7f, v2
	v_cmpx_ne_u32_e32 0x7f, v3
	s_cbranch_execz .LBB185_159
; %bb.156:                              ;   in Loop: Header=BB185_12 Depth=1
	v_and_b32_e32 v49, 7, v2
	v_lshrrev_b32_e32 v2, 3, v3
	s_mov_b32 s44, exec_lo
	v_cmpx_gt_u32_e32 8, v3
; %bb.157:                              ;   in Loop: Header=BB185_12 Depth=1
	v_ffbh_u32_e32 v2, v49
	v_min_u32_e32 v2, 32, v2
	v_subrev_nc_u32_e32 v3, 28, v2
	v_sub_nc_u32_e32 v2, 29, v2
	v_lshlrev_b64 v[3:4], v3, v[49:50]
	v_and_b32_e32 v49, 7, v3
; %bb.158:                              ;   in Loop: Header=BB185_12 Depth=1
	s_or_b32 exec_lo, exec_lo, s44
	v_lshlrev_b32_e32 v1, 16, v1
	v_lshlrev_b32_e32 v3, 20, v49
	v_lshl_add_u32 v2, v2, 23, 0x3c000000
	v_mov_b32_e32 v97, v50
	v_and_b32_e32 v1, 0x80000000, v1
	v_or3_b32 v98, v3, v1, v2
.LBB185_159:                            ;   in Loop: Header=BB185_12 Depth=1
	s_or_b32 exec_lo, exec_lo, s43
.LBB185_160:                            ;   in Loop: Header=BB185_12 Depth=1
	s_or_b32 exec_lo, exec_lo, s42
.LBB185_161:                            ;   in Loop: Header=BB185_12 Depth=1
	s_or_b32 exec_lo, exec_lo, s41
	global_load_ushort v2, v[69:70], off offset:516
	v_mov_b32_e32 v101, 0
	v_mov_b32_e32 v99, 0
	;; [unrolled: 1-line block ×4, first 2 shown]
	s_waitcnt vmcnt(0)
	v_and_b32_e32 v1, 0xffff, v2
	v_cmp_ne_u16_sdwa s2, v2, v50 src0_sel:BYTE_0 src1_sel:DWORD
	s_and_saveexec_b32 s41, s2
	s_cbranch_execz .LBB185_169
; %bb.162:                              ;   in Loop: Header=BB185_12 Depth=1
	v_bfrev_b32_e32 v99, 1
	v_mov_b32_e32 v100, 0
	v_cmp_ne_u16_sdwa s2, v1, v38 src0_sel:BYTE_0 src1_sel:DWORD
	s_and_saveexec_b32 s42, s2
	s_cbranch_execz .LBB185_168
; %bb.163:                              ;   in Loop: Header=BB185_12 Depth=1
	v_mov_b32_e32 v99, 0x7f800001
	v_and_b32_e32 v3, 0x7f, v1
	v_mov_b32_e32 v100, 0
	s_mov_b32 s43, exec_lo
	v_cmpx_ne_u32_e32 0x7f, v3
	s_cbranch_execz .LBB185_167
; %bb.164:                              ;   in Loop: Header=BB185_12 Depth=1
	v_and_b32_e32 v49, 7, v1
	v_lshrrev_b32_e32 v2, 3, v3
	s_mov_b32 s44, exec_lo
	v_cmpx_gt_u32_e32 8, v3
; %bb.165:                              ;   in Loop: Header=BB185_12 Depth=1
	v_ffbh_u32_e32 v2, v49
	v_min_u32_e32 v2, 32, v2
	v_subrev_nc_u32_e32 v3, 28, v2
	v_sub_nc_u32_e32 v2, 29, v2
	v_lshlrev_b64 v[3:4], v3, v[49:50]
	v_and_b32_e32 v49, 7, v3
; %bb.166:                              ;   in Loop: Header=BB185_12 Depth=1
	s_or_b32 exec_lo, exec_lo, s44
	v_lshlrev_b32_e32 v3, 24, v1
	v_lshlrev_b32_e32 v4, 20, v49
	v_lshl_add_u32 v2, v2, 23, 0x3c000000
	v_and_b32_e32 v3, 0x80000000, v3
	v_or3_b32 v49, v4, v3, v2
	v_mov_b32_e32 v100, v50
	v_mov_b32_e32 v99, v49
.LBB185_167:                            ;   in Loop: Header=BB185_12 Depth=1
	s_or_b32 exec_lo, exec_lo, s43
.LBB185_168:                            ;   in Loop: Header=BB185_12 Depth=1
	s_or_b32 exec_lo, exec_lo, s42
.LBB185_169:                            ;   in Loop: Header=BB185_12 Depth=1
	s_or_b32 exec_lo, exec_lo, s41
	v_cmp_ne_u16_sdwa s2, v1, v50 src0_sel:BYTE_1 src1_sel:DWORD
	s_and_saveexec_b32 s41, s2
	s_cbranch_execz .LBB185_177
; %bb.170:                              ;   in Loop: Header=BB185_12 Depth=1
	v_mov_b32_e32 v33, v50
	v_mov_b32_e32 v102, v34
	v_cmp_ne_u16_sdwa s2, v1, v38 src0_sel:BYTE_1 src1_sel:DWORD
	v_mov_b32_e32 v101, v33
	s_and_saveexec_b32 s42, s2
	s_cbranch_execz .LBB185_176
; %bb.171:                              ;   in Loop: Header=BB185_12 Depth=1
	v_mov_b32_e32 v2, 0xffff
	v_mov_b32_e32 v25, v50
	;; [unrolled: 1-line block ×3, first 2 shown]
	s_mov_b32 s43, exec_lo
	v_and_b32_sdwa v2, v2, v1 dst_sel:DWORD dst_unused:UNUSED_PAD src0_sel:DWORD src1_sel:BYTE_1
	v_mov_b32_e32 v101, v25
	v_and_b32_e32 v3, 0x7f, v2
	v_cmpx_ne_u32_e32 0x7f, v3
	s_cbranch_execz .LBB185_175
; %bb.172:                              ;   in Loop: Header=BB185_12 Depth=1
	v_and_b32_e32 v49, 7, v2
	v_lshrrev_b32_e32 v2, 3, v3
	s_mov_b32 s44, exec_lo
	v_cmpx_gt_u32_e32 8, v3
; %bb.173:                              ;   in Loop: Header=BB185_12 Depth=1
	v_ffbh_u32_e32 v2, v49
	v_min_u32_e32 v2, 32, v2
	v_subrev_nc_u32_e32 v3, 28, v2
	v_sub_nc_u32_e32 v2, 29, v2
	v_lshlrev_b64 v[3:4], v3, v[49:50]
	v_and_b32_e32 v49, 7, v3
; %bb.174:                              ;   in Loop: Header=BB185_12 Depth=1
	s_or_b32 exec_lo, exec_lo, s44
	v_lshlrev_b32_e32 v1, 16, v1
	v_lshlrev_b32_e32 v3, 20, v49
	v_lshl_add_u32 v2, v2, 23, 0x3c000000
	v_mov_b32_e32 v101, v50
	v_and_b32_e32 v1, 0x80000000, v1
	v_or3_b32 v102, v3, v1, v2
.LBB185_175:                            ;   in Loop: Header=BB185_12 Depth=1
	s_or_b32 exec_lo, exec_lo, s43
.LBB185_176:                            ;   in Loop: Header=BB185_12 Depth=1
	s_or_b32 exec_lo, exec_lo, s42
.LBB185_177:                            ;   in Loop: Header=BB185_12 Depth=1
	s_or_b32 exec_lo, exec_lo, s41
	global_load_ushort v2, v[69:70], off offset:520
	v_mov_b32_e32 v105, 0
	v_mov_b32_e32 v103, 0
	;; [unrolled: 1-line block ×4, first 2 shown]
	s_waitcnt vmcnt(0)
	v_and_b32_e32 v1, 0xffff, v2
	v_cmp_ne_u16_sdwa s2, v2, v50 src0_sel:BYTE_0 src1_sel:DWORD
	s_and_saveexec_b32 s41, s2
	s_cbranch_execz .LBB185_185
; %bb.178:                              ;   in Loop: Header=BB185_12 Depth=1
	v_bfrev_b32_e32 v103, 1
	v_mov_b32_e32 v104, 0
	v_cmp_ne_u16_sdwa s2, v1, v38 src0_sel:BYTE_0 src1_sel:DWORD
	s_and_saveexec_b32 s42, s2
	s_cbranch_execz .LBB185_184
; %bb.179:                              ;   in Loop: Header=BB185_12 Depth=1
	v_mov_b32_e32 v103, 0x7f800001
	v_and_b32_e32 v3, 0x7f, v1
	v_mov_b32_e32 v104, 0
	s_mov_b32 s43, exec_lo
	v_cmpx_ne_u32_e32 0x7f, v3
	s_cbranch_execz .LBB185_183
; %bb.180:                              ;   in Loop: Header=BB185_12 Depth=1
	v_and_b32_e32 v49, 7, v1
	v_lshrrev_b32_e32 v2, 3, v3
	s_mov_b32 s44, exec_lo
	v_cmpx_gt_u32_e32 8, v3
; %bb.181:                              ;   in Loop: Header=BB185_12 Depth=1
	v_ffbh_u32_e32 v2, v49
	v_min_u32_e32 v2, 32, v2
	v_subrev_nc_u32_e32 v3, 28, v2
	v_sub_nc_u32_e32 v2, 29, v2
	v_lshlrev_b64 v[3:4], v3, v[49:50]
	v_and_b32_e32 v49, 7, v3
; %bb.182:                              ;   in Loop: Header=BB185_12 Depth=1
	s_or_b32 exec_lo, exec_lo, s44
	v_lshlrev_b32_e32 v3, 24, v1
	v_lshlrev_b32_e32 v4, 20, v49
	v_lshl_add_u32 v2, v2, 23, 0x3c000000
	v_and_b32_e32 v3, 0x80000000, v3
	v_or3_b32 v49, v4, v3, v2
	v_mov_b32_e32 v104, v50
	v_mov_b32_e32 v103, v49
.LBB185_183:                            ;   in Loop: Header=BB185_12 Depth=1
	s_or_b32 exec_lo, exec_lo, s43
.LBB185_184:                            ;   in Loop: Header=BB185_12 Depth=1
	s_or_b32 exec_lo, exec_lo, s42
.LBB185_185:                            ;   in Loop: Header=BB185_12 Depth=1
	s_or_b32 exec_lo, exec_lo, s41
	v_cmp_ne_u16_sdwa s2, v1, v50 src0_sel:BYTE_1 src1_sel:DWORD
	s_and_saveexec_b32 s41, s2
	s_cbranch_execz .LBB185_193
; %bb.186:                              ;   in Loop: Header=BB185_12 Depth=1
	v_mov_b32_e32 v33, v50
	v_mov_b32_e32 v106, v34
	v_cmp_ne_u16_sdwa s2, v1, v38 src0_sel:BYTE_1 src1_sel:DWORD
	v_mov_b32_e32 v105, v33
	s_and_saveexec_b32 s42, s2
	s_cbranch_execz .LBB185_192
; %bb.187:                              ;   in Loop: Header=BB185_12 Depth=1
	v_mov_b32_e32 v2, 0xffff
	v_mov_b32_e32 v25, v50
	;; [unrolled: 1-line block ×3, first 2 shown]
	s_mov_b32 s43, exec_lo
	v_and_b32_sdwa v2, v2, v1 dst_sel:DWORD dst_unused:UNUSED_PAD src0_sel:DWORD src1_sel:BYTE_1
	v_mov_b32_e32 v105, v25
	v_and_b32_e32 v3, 0x7f, v2
	v_cmpx_ne_u32_e32 0x7f, v3
	s_cbranch_execz .LBB185_191
; %bb.188:                              ;   in Loop: Header=BB185_12 Depth=1
	v_and_b32_e32 v49, 7, v2
	v_lshrrev_b32_e32 v2, 3, v3
	s_mov_b32 s44, exec_lo
	v_cmpx_gt_u32_e32 8, v3
; %bb.189:                              ;   in Loop: Header=BB185_12 Depth=1
	v_ffbh_u32_e32 v2, v49
	v_min_u32_e32 v2, 32, v2
	v_subrev_nc_u32_e32 v3, 28, v2
	v_sub_nc_u32_e32 v2, 29, v2
	v_lshlrev_b64 v[3:4], v3, v[49:50]
	v_and_b32_e32 v49, 7, v3
; %bb.190:                              ;   in Loop: Header=BB185_12 Depth=1
	s_or_b32 exec_lo, exec_lo, s44
	v_lshlrev_b32_e32 v1, 16, v1
	v_lshlrev_b32_e32 v3, 20, v49
	v_lshl_add_u32 v2, v2, 23, 0x3c000000
	v_mov_b32_e32 v105, v50
	v_and_b32_e32 v1, 0x80000000, v1
	v_or3_b32 v106, v3, v1, v2
.LBB185_191:                            ;   in Loop: Header=BB185_12 Depth=1
	s_or_b32 exec_lo, exec_lo, s43
.LBB185_192:                            ;   in Loop: Header=BB185_12 Depth=1
	s_or_b32 exec_lo, exec_lo, s42
.LBB185_193:                            ;   in Loop: Header=BB185_12 Depth=1
	s_or_b32 exec_lo, exec_lo, s41
	global_load_ushort v2, v[69:70], off offset:524
	v_mov_b32_e32 v109, 0
	v_mov_b32_e32 v107, 0
	;; [unrolled: 1-line block ×4, first 2 shown]
	s_waitcnt vmcnt(0)
	v_and_b32_e32 v1, 0xffff, v2
	v_cmp_ne_u16_sdwa s2, v2, v50 src0_sel:BYTE_0 src1_sel:DWORD
	s_and_saveexec_b32 s41, s2
	s_cbranch_execz .LBB185_201
; %bb.194:                              ;   in Loop: Header=BB185_12 Depth=1
	v_bfrev_b32_e32 v107, 1
	v_mov_b32_e32 v108, 0
	v_cmp_ne_u16_sdwa s2, v1, v38 src0_sel:BYTE_0 src1_sel:DWORD
	s_and_saveexec_b32 s42, s2
	s_cbranch_execz .LBB185_200
; %bb.195:                              ;   in Loop: Header=BB185_12 Depth=1
	v_mov_b32_e32 v107, 0x7f800001
	v_and_b32_e32 v3, 0x7f, v1
	v_mov_b32_e32 v108, 0
	s_mov_b32 s43, exec_lo
	v_cmpx_ne_u32_e32 0x7f, v3
	s_cbranch_execz .LBB185_199
; %bb.196:                              ;   in Loop: Header=BB185_12 Depth=1
	v_and_b32_e32 v49, 7, v1
	v_lshrrev_b32_e32 v2, 3, v3
	s_mov_b32 s44, exec_lo
	v_cmpx_gt_u32_e32 8, v3
; %bb.197:                              ;   in Loop: Header=BB185_12 Depth=1
	v_ffbh_u32_e32 v2, v49
	v_min_u32_e32 v2, 32, v2
	v_subrev_nc_u32_e32 v3, 28, v2
	v_sub_nc_u32_e32 v2, 29, v2
	v_lshlrev_b64 v[3:4], v3, v[49:50]
	v_and_b32_e32 v49, 7, v3
; %bb.198:                              ;   in Loop: Header=BB185_12 Depth=1
	s_or_b32 exec_lo, exec_lo, s44
	v_lshlrev_b32_e32 v3, 24, v1
	v_lshlrev_b32_e32 v4, 20, v49
	v_lshl_add_u32 v2, v2, 23, 0x3c000000
	v_and_b32_e32 v3, 0x80000000, v3
	v_or3_b32 v49, v4, v3, v2
	v_mov_b32_e32 v108, v50
	v_mov_b32_e32 v107, v49
.LBB185_199:                            ;   in Loop: Header=BB185_12 Depth=1
	s_or_b32 exec_lo, exec_lo, s43
.LBB185_200:                            ;   in Loop: Header=BB185_12 Depth=1
	s_or_b32 exec_lo, exec_lo, s42
.LBB185_201:                            ;   in Loop: Header=BB185_12 Depth=1
	s_or_b32 exec_lo, exec_lo, s41
	v_cmp_ne_u16_sdwa s2, v1, v50 src0_sel:BYTE_1 src1_sel:DWORD
	s_and_saveexec_b32 s41, s2
	s_cbranch_execz .LBB185_209
; %bb.202:                              ;   in Loop: Header=BB185_12 Depth=1
	v_mov_b32_e32 v33, v50
	v_mov_b32_e32 v110, v34
	v_cmp_ne_u16_sdwa s2, v1, v38 src0_sel:BYTE_1 src1_sel:DWORD
	v_mov_b32_e32 v109, v33
	s_and_saveexec_b32 s42, s2
	s_cbranch_execz .LBB185_208
; %bb.203:                              ;   in Loop: Header=BB185_12 Depth=1
	v_mov_b32_e32 v2, 0xffff
	v_mov_b32_e32 v25, v50
	;; [unrolled: 1-line block ×3, first 2 shown]
	s_mov_b32 s43, exec_lo
	v_and_b32_sdwa v2, v2, v1 dst_sel:DWORD dst_unused:UNUSED_PAD src0_sel:DWORD src1_sel:BYTE_1
	v_mov_b32_e32 v109, v25
	v_and_b32_e32 v3, 0x7f, v2
	v_cmpx_ne_u32_e32 0x7f, v3
	s_cbranch_execz .LBB185_207
; %bb.204:                              ;   in Loop: Header=BB185_12 Depth=1
	v_and_b32_e32 v49, 7, v2
	v_lshrrev_b32_e32 v2, 3, v3
	s_mov_b32 s44, exec_lo
	v_cmpx_gt_u32_e32 8, v3
; %bb.205:                              ;   in Loop: Header=BB185_12 Depth=1
	v_ffbh_u32_e32 v2, v49
	v_min_u32_e32 v2, 32, v2
	v_subrev_nc_u32_e32 v3, 28, v2
	v_sub_nc_u32_e32 v2, 29, v2
	v_lshlrev_b64 v[3:4], v3, v[49:50]
	v_and_b32_e32 v49, 7, v3
; %bb.206:                              ;   in Loop: Header=BB185_12 Depth=1
	s_or_b32 exec_lo, exec_lo, s44
	v_lshlrev_b32_e32 v1, 16, v1
	v_lshlrev_b32_e32 v3, 20, v49
	v_lshl_add_u32 v2, v2, 23, 0x3c000000
	v_mov_b32_e32 v109, v50
	v_and_b32_e32 v1, 0x80000000, v1
	v_or3_b32 v110, v3, v1, v2
.LBB185_207:                            ;   in Loop: Header=BB185_12 Depth=1
	s_or_b32 exec_lo, exec_lo, s43
.LBB185_208:                            ;   in Loop: Header=BB185_12 Depth=1
	s_or_b32 exec_lo, exec_lo, s42
.LBB185_209:                            ;   in Loop: Header=BB185_12 Depth=1
	s_or_b32 exec_lo, exec_lo, s41
	global_load_ushort v2, v[69:70], off offset:768
	v_mov_b32_e32 v113, 0
	v_mov_b32_e32 v111, 0
	;; [unrolled: 1-line block ×4, first 2 shown]
	s_waitcnt vmcnt(0)
	v_and_b32_e32 v1, 0xffff, v2
	v_cmp_ne_u16_sdwa s2, v2, v50 src0_sel:BYTE_0 src1_sel:DWORD
	s_and_saveexec_b32 s41, s2
	s_cbranch_execz .LBB185_217
; %bb.210:                              ;   in Loop: Header=BB185_12 Depth=1
	v_bfrev_b32_e32 v111, 1
	v_mov_b32_e32 v112, 0
	v_cmp_ne_u16_sdwa s2, v1, v38 src0_sel:BYTE_0 src1_sel:DWORD
	s_and_saveexec_b32 s42, s2
	s_cbranch_execz .LBB185_216
; %bb.211:                              ;   in Loop: Header=BB185_12 Depth=1
	v_mov_b32_e32 v111, 0x7f800001
	v_and_b32_e32 v3, 0x7f, v1
	v_mov_b32_e32 v112, 0
	s_mov_b32 s43, exec_lo
	v_cmpx_ne_u32_e32 0x7f, v3
	s_cbranch_execz .LBB185_215
; %bb.212:                              ;   in Loop: Header=BB185_12 Depth=1
	v_and_b32_e32 v49, 7, v1
	v_lshrrev_b32_e32 v2, 3, v3
	s_mov_b32 s44, exec_lo
	v_cmpx_gt_u32_e32 8, v3
; %bb.213:                              ;   in Loop: Header=BB185_12 Depth=1
	v_ffbh_u32_e32 v2, v49
	v_min_u32_e32 v2, 32, v2
	v_subrev_nc_u32_e32 v3, 28, v2
	v_sub_nc_u32_e32 v2, 29, v2
	v_lshlrev_b64 v[3:4], v3, v[49:50]
	v_and_b32_e32 v49, 7, v3
; %bb.214:                              ;   in Loop: Header=BB185_12 Depth=1
	s_or_b32 exec_lo, exec_lo, s44
	v_lshlrev_b32_e32 v3, 24, v1
	v_lshlrev_b32_e32 v4, 20, v49
	v_lshl_add_u32 v2, v2, 23, 0x3c000000
	v_and_b32_e32 v3, 0x80000000, v3
	v_or3_b32 v49, v4, v3, v2
	v_mov_b32_e32 v112, v50
	v_mov_b32_e32 v111, v49
.LBB185_215:                            ;   in Loop: Header=BB185_12 Depth=1
	s_or_b32 exec_lo, exec_lo, s43
.LBB185_216:                            ;   in Loop: Header=BB185_12 Depth=1
	s_or_b32 exec_lo, exec_lo, s42
.LBB185_217:                            ;   in Loop: Header=BB185_12 Depth=1
	s_or_b32 exec_lo, exec_lo, s41
	v_cmp_ne_u16_sdwa s2, v1, v50 src0_sel:BYTE_1 src1_sel:DWORD
	s_and_saveexec_b32 s41, s2
	s_cbranch_execz .LBB185_225
; %bb.218:                              ;   in Loop: Header=BB185_12 Depth=1
	v_mov_b32_e32 v33, v50
	v_mov_b32_e32 v114, v34
	v_cmp_ne_u16_sdwa s2, v1, v38 src0_sel:BYTE_1 src1_sel:DWORD
	v_mov_b32_e32 v113, v33
	s_and_saveexec_b32 s42, s2
	s_cbranch_execz .LBB185_224
; %bb.219:                              ;   in Loop: Header=BB185_12 Depth=1
	v_mov_b32_e32 v2, 0xffff
	v_mov_b32_e32 v25, v50
	v_mov_b32_e32 v114, v26
	s_mov_b32 s43, exec_lo
	v_and_b32_sdwa v2, v2, v1 dst_sel:DWORD dst_unused:UNUSED_PAD src0_sel:DWORD src1_sel:BYTE_1
	v_mov_b32_e32 v113, v25
	v_and_b32_e32 v3, 0x7f, v2
	v_cmpx_ne_u32_e32 0x7f, v3
	s_cbranch_execz .LBB185_223
; %bb.220:                              ;   in Loop: Header=BB185_12 Depth=1
	v_and_b32_e32 v49, 7, v2
	v_lshrrev_b32_e32 v2, 3, v3
	s_mov_b32 s44, exec_lo
	v_cmpx_gt_u32_e32 8, v3
; %bb.221:                              ;   in Loop: Header=BB185_12 Depth=1
	v_ffbh_u32_e32 v2, v49
	v_min_u32_e32 v2, 32, v2
	v_subrev_nc_u32_e32 v3, 28, v2
	v_sub_nc_u32_e32 v2, 29, v2
	v_lshlrev_b64 v[3:4], v3, v[49:50]
	v_and_b32_e32 v49, 7, v3
; %bb.222:                              ;   in Loop: Header=BB185_12 Depth=1
	s_or_b32 exec_lo, exec_lo, s44
	v_lshlrev_b32_e32 v1, 16, v1
	v_lshlrev_b32_e32 v3, 20, v49
	v_lshl_add_u32 v2, v2, 23, 0x3c000000
	v_mov_b32_e32 v113, v50
	v_and_b32_e32 v1, 0x80000000, v1
	v_or3_b32 v114, v3, v1, v2
.LBB185_223:                            ;   in Loop: Header=BB185_12 Depth=1
	s_or_b32 exec_lo, exec_lo, s43
.LBB185_224:                            ;   in Loop: Header=BB185_12 Depth=1
	s_or_b32 exec_lo, exec_lo, s42
.LBB185_225:                            ;   in Loop: Header=BB185_12 Depth=1
	s_or_b32 exec_lo, exec_lo, s41
	global_load_ushort v2, v[69:70], off offset:772
	v_mov_b32_e32 v117, 0
	v_mov_b32_e32 v115, 0
	;; [unrolled: 1-line block ×4, first 2 shown]
	s_waitcnt vmcnt(0)
	v_and_b32_e32 v1, 0xffff, v2
	v_cmp_ne_u16_sdwa s2, v2, v50 src0_sel:BYTE_0 src1_sel:DWORD
	s_and_saveexec_b32 s41, s2
	s_cbranch_execz .LBB185_233
; %bb.226:                              ;   in Loop: Header=BB185_12 Depth=1
	v_bfrev_b32_e32 v115, 1
	v_mov_b32_e32 v116, 0
	v_cmp_ne_u16_sdwa s2, v1, v38 src0_sel:BYTE_0 src1_sel:DWORD
	s_and_saveexec_b32 s42, s2
	s_cbranch_execz .LBB185_232
; %bb.227:                              ;   in Loop: Header=BB185_12 Depth=1
	v_mov_b32_e32 v115, 0x7f800001
	v_and_b32_e32 v3, 0x7f, v1
	v_mov_b32_e32 v116, 0
	s_mov_b32 s43, exec_lo
	v_cmpx_ne_u32_e32 0x7f, v3
	s_cbranch_execz .LBB185_231
; %bb.228:                              ;   in Loop: Header=BB185_12 Depth=1
	v_and_b32_e32 v49, 7, v1
	v_lshrrev_b32_e32 v2, 3, v3
	s_mov_b32 s44, exec_lo
	v_cmpx_gt_u32_e32 8, v3
; %bb.229:                              ;   in Loop: Header=BB185_12 Depth=1
	v_ffbh_u32_e32 v2, v49
	v_min_u32_e32 v2, 32, v2
	v_subrev_nc_u32_e32 v3, 28, v2
	v_sub_nc_u32_e32 v2, 29, v2
	v_lshlrev_b64 v[3:4], v3, v[49:50]
	v_and_b32_e32 v49, 7, v3
; %bb.230:                              ;   in Loop: Header=BB185_12 Depth=1
	s_or_b32 exec_lo, exec_lo, s44
	v_lshlrev_b32_e32 v3, 24, v1
	v_lshlrev_b32_e32 v4, 20, v49
	v_lshl_add_u32 v2, v2, 23, 0x3c000000
	v_and_b32_e32 v3, 0x80000000, v3
	v_or3_b32 v49, v4, v3, v2
	v_mov_b32_e32 v116, v50
	v_mov_b32_e32 v115, v49
.LBB185_231:                            ;   in Loop: Header=BB185_12 Depth=1
	s_or_b32 exec_lo, exec_lo, s43
.LBB185_232:                            ;   in Loop: Header=BB185_12 Depth=1
	s_or_b32 exec_lo, exec_lo, s42
.LBB185_233:                            ;   in Loop: Header=BB185_12 Depth=1
	s_or_b32 exec_lo, exec_lo, s41
	v_cmp_ne_u16_sdwa s2, v1, v50 src0_sel:BYTE_1 src1_sel:DWORD
	s_and_saveexec_b32 s41, s2
	s_cbranch_execz .LBB185_241
; %bb.234:                              ;   in Loop: Header=BB185_12 Depth=1
	v_mov_b32_e32 v33, v50
	v_mov_b32_e32 v118, v34
	v_cmp_ne_u16_sdwa s2, v1, v38 src0_sel:BYTE_1 src1_sel:DWORD
	v_mov_b32_e32 v117, v33
	s_and_saveexec_b32 s42, s2
	s_cbranch_execz .LBB185_240
; %bb.235:                              ;   in Loop: Header=BB185_12 Depth=1
	v_mov_b32_e32 v2, 0xffff
	v_mov_b32_e32 v25, v50
	;; [unrolled: 1-line block ×3, first 2 shown]
	s_mov_b32 s43, exec_lo
	v_and_b32_sdwa v2, v2, v1 dst_sel:DWORD dst_unused:UNUSED_PAD src0_sel:DWORD src1_sel:BYTE_1
	v_mov_b32_e32 v117, v25
	v_and_b32_e32 v3, 0x7f, v2
	v_cmpx_ne_u32_e32 0x7f, v3
	s_cbranch_execz .LBB185_239
; %bb.236:                              ;   in Loop: Header=BB185_12 Depth=1
	v_and_b32_e32 v49, 7, v2
	v_lshrrev_b32_e32 v2, 3, v3
	s_mov_b32 s44, exec_lo
	v_cmpx_gt_u32_e32 8, v3
; %bb.237:                              ;   in Loop: Header=BB185_12 Depth=1
	v_ffbh_u32_e32 v2, v49
	v_min_u32_e32 v2, 32, v2
	v_subrev_nc_u32_e32 v3, 28, v2
	v_sub_nc_u32_e32 v2, 29, v2
	v_lshlrev_b64 v[3:4], v3, v[49:50]
	v_and_b32_e32 v49, 7, v3
; %bb.238:                              ;   in Loop: Header=BB185_12 Depth=1
	s_or_b32 exec_lo, exec_lo, s44
	v_lshlrev_b32_e32 v1, 16, v1
	v_lshlrev_b32_e32 v3, 20, v49
	v_lshl_add_u32 v2, v2, 23, 0x3c000000
	v_mov_b32_e32 v117, v50
	v_and_b32_e32 v1, 0x80000000, v1
	v_or3_b32 v118, v3, v1, v2
.LBB185_239:                            ;   in Loop: Header=BB185_12 Depth=1
	s_or_b32 exec_lo, exec_lo, s43
.LBB185_240:                            ;   in Loop: Header=BB185_12 Depth=1
	s_or_b32 exec_lo, exec_lo, s42
.LBB185_241:                            ;   in Loop: Header=BB185_12 Depth=1
	s_or_b32 exec_lo, exec_lo, s41
	global_load_ushort v2, v[69:70], off offset:776
	v_mov_b32_e32 v121, 0
	v_mov_b32_e32 v119, 0
	;; [unrolled: 1-line block ×4, first 2 shown]
	s_waitcnt vmcnt(0)
	v_and_b32_e32 v1, 0xffff, v2
	v_cmp_ne_u16_sdwa s2, v2, v50 src0_sel:BYTE_0 src1_sel:DWORD
	s_and_saveexec_b32 s41, s2
	s_cbranch_execz .LBB185_249
; %bb.242:                              ;   in Loop: Header=BB185_12 Depth=1
	v_bfrev_b32_e32 v119, 1
	v_mov_b32_e32 v120, 0
	v_cmp_ne_u16_sdwa s2, v1, v38 src0_sel:BYTE_0 src1_sel:DWORD
	s_and_saveexec_b32 s42, s2
	s_cbranch_execz .LBB185_248
; %bb.243:                              ;   in Loop: Header=BB185_12 Depth=1
	v_mov_b32_e32 v119, 0x7f800001
	v_and_b32_e32 v3, 0x7f, v1
	v_mov_b32_e32 v120, 0
	s_mov_b32 s43, exec_lo
	v_cmpx_ne_u32_e32 0x7f, v3
	s_cbranch_execz .LBB185_247
; %bb.244:                              ;   in Loop: Header=BB185_12 Depth=1
	v_and_b32_e32 v49, 7, v1
	v_lshrrev_b32_e32 v2, 3, v3
	s_mov_b32 s44, exec_lo
	v_cmpx_gt_u32_e32 8, v3
; %bb.245:                              ;   in Loop: Header=BB185_12 Depth=1
	v_ffbh_u32_e32 v2, v49
	v_min_u32_e32 v2, 32, v2
	v_subrev_nc_u32_e32 v3, 28, v2
	v_sub_nc_u32_e32 v2, 29, v2
	v_lshlrev_b64 v[3:4], v3, v[49:50]
	v_and_b32_e32 v49, 7, v3
; %bb.246:                              ;   in Loop: Header=BB185_12 Depth=1
	s_or_b32 exec_lo, exec_lo, s44
	v_lshlrev_b32_e32 v3, 24, v1
	v_lshlrev_b32_e32 v4, 20, v49
	v_lshl_add_u32 v2, v2, 23, 0x3c000000
	v_and_b32_e32 v3, 0x80000000, v3
	v_or3_b32 v49, v4, v3, v2
	v_mov_b32_e32 v120, v50
	v_mov_b32_e32 v119, v49
.LBB185_247:                            ;   in Loop: Header=BB185_12 Depth=1
	s_or_b32 exec_lo, exec_lo, s43
.LBB185_248:                            ;   in Loop: Header=BB185_12 Depth=1
	s_or_b32 exec_lo, exec_lo, s42
.LBB185_249:                            ;   in Loop: Header=BB185_12 Depth=1
	s_or_b32 exec_lo, exec_lo, s41
	v_cmp_ne_u16_sdwa s2, v1, v50 src0_sel:BYTE_1 src1_sel:DWORD
	s_and_saveexec_b32 s41, s2
	s_cbranch_execz .LBB185_257
; %bb.250:                              ;   in Loop: Header=BB185_12 Depth=1
	v_mov_b32_e32 v33, v50
	v_mov_b32_e32 v122, v34
	v_cmp_ne_u16_sdwa s2, v1, v38 src0_sel:BYTE_1 src1_sel:DWORD
	v_mov_b32_e32 v121, v33
	s_and_saveexec_b32 s42, s2
	s_cbranch_execz .LBB185_256
; %bb.251:                              ;   in Loop: Header=BB185_12 Depth=1
	v_mov_b32_e32 v2, 0xffff
	v_mov_b32_e32 v25, v50
	;; [unrolled: 1-line block ×3, first 2 shown]
	s_mov_b32 s43, exec_lo
	v_and_b32_sdwa v2, v2, v1 dst_sel:DWORD dst_unused:UNUSED_PAD src0_sel:DWORD src1_sel:BYTE_1
	v_mov_b32_e32 v121, v25
	v_and_b32_e32 v3, 0x7f, v2
	v_cmpx_ne_u32_e32 0x7f, v3
	s_cbranch_execz .LBB185_255
; %bb.252:                              ;   in Loop: Header=BB185_12 Depth=1
	v_and_b32_e32 v49, 7, v2
	v_lshrrev_b32_e32 v2, 3, v3
	s_mov_b32 s44, exec_lo
	v_cmpx_gt_u32_e32 8, v3
; %bb.253:                              ;   in Loop: Header=BB185_12 Depth=1
	v_ffbh_u32_e32 v2, v49
	v_min_u32_e32 v2, 32, v2
	v_subrev_nc_u32_e32 v3, 28, v2
	v_sub_nc_u32_e32 v2, 29, v2
	v_lshlrev_b64 v[3:4], v3, v[49:50]
	v_and_b32_e32 v49, 7, v3
; %bb.254:                              ;   in Loop: Header=BB185_12 Depth=1
	s_or_b32 exec_lo, exec_lo, s44
	v_lshlrev_b32_e32 v1, 16, v1
	v_lshlrev_b32_e32 v3, 20, v49
	v_lshl_add_u32 v2, v2, 23, 0x3c000000
	v_mov_b32_e32 v121, v50
	v_and_b32_e32 v1, 0x80000000, v1
	v_or3_b32 v122, v3, v1, v2
.LBB185_255:                            ;   in Loop: Header=BB185_12 Depth=1
	s_or_b32 exec_lo, exec_lo, s43
.LBB185_256:                            ;   in Loop: Header=BB185_12 Depth=1
	s_or_b32 exec_lo, exec_lo, s42
.LBB185_257:                            ;   in Loop: Header=BB185_12 Depth=1
	s_or_b32 exec_lo, exec_lo, s41
	global_load_ushort v2, v[69:70], off offset:780
	v_mov_b32_e32 v125, 0
	v_mov_b32_e32 v123, 0
	;; [unrolled: 1-line block ×4, first 2 shown]
	s_waitcnt vmcnt(0)
	v_and_b32_e32 v1, 0xffff, v2
	v_cmp_ne_u16_sdwa s2, v2, v50 src0_sel:BYTE_0 src1_sel:DWORD
	s_and_saveexec_b32 s41, s2
	s_cbranch_execz .LBB185_265
; %bb.258:                              ;   in Loop: Header=BB185_12 Depth=1
	v_bfrev_b32_e32 v123, 1
	v_mov_b32_e32 v124, 0
	v_cmp_ne_u16_sdwa s2, v1, v38 src0_sel:BYTE_0 src1_sel:DWORD
	s_and_saveexec_b32 s42, s2
	s_cbranch_execz .LBB185_264
; %bb.259:                              ;   in Loop: Header=BB185_12 Depth=1
	v_mov_b32_e32 v123, 0x7f800001
	v_and_b32_e32 v3, 0x7f, v1
	v_mov_b32_e32 v124, 0
	s_mov_b32 s43, exec_lo
	v_cmpx_ne_u32_e32 0x7f, v3
	s_cbranch_execz .LBB185_263
; %bb.260:                              ;   in Loop: Header=BB185_12 Depth=1
	v_and_b32_e32 v49, 7, v1
	v_lshrrev_b32_e32 v2, 3, v3
	s_mov_b32 s44, exec_lo
	v_cmpx_gt_u32_e32 8, v3
; %bb.261:                              ;   in Loop: Header=BB185_12 Depth=1
	v_ffbh_u32_e32 v2, v49
	v_min_u32_e32 v2, 32, v2
	v_subrev_nc_u32_e32 v3, 28, v2
	v_sub_nc_u32_e32 v2, 29, v2
	v_lshlrev_b64 v[3:4], v3, v[49:50]
	v_and_b32_e32 v49, 7, v3
; %bb.262:                              ;   in Loop: Header=BB185_12 Depth=1
	s_or_b32 exec_lo, exec_lo, s44
	v_lshlrev_b32_e32 v3, 24, v1
	v_lshlrev_b32_e32 v4, 20, v49
	v_lshl_add_u32 v2, v2, 23, 0x3c000000
	v_and_b32_e32 v3, 0x80000000, v3
	v_or3_b32 v49, v4, v3, v2
	v_mov_b32_e32 v124, v50
	v_mov_b32_e32 v123, v49
.LBB185_263:                            ;   in Loop: Header=BB185_12 Depth=1
	s_or_b32 exec_lo, exec_lo, s43
.LBB185_264:                            ;   in Loop: Header=BB185_12 Depth=1
	s_or_b32 exec_lo, exec_lo, s42
.LBB185_265:                            ;   in Loop: Header=BB185_12 Depth=1
	s_or_b32 exec_lo, exec_lo, s41
	v_cmp_ne_u16_sdwa s2, v1, v50 src0_sel:BYTE_1 src1_sel:DWORD
	s_and_saveexec_b32 s41, s2
	s_cbranch_execz .LBB185_273
; %bb.266:                              ;   in Loop: Header=BB185_12 Depth=1
	v_mov_b32_e32 v33, v50
	v_mov_b32_e32 v126, v34
	v_cmp_ne_u16_sdwa s2, v1, v38 src0_sel:BYTE_1 src1_sel:DWORD
	v_mov_b32_e32 v125, v33
	s_and_saveexec_b32 s42, s2
	s_cbranch_execz .LBB185_272
; %bb.267:                              ;   in Loop: Header=BB185_12 Depth=1
	v_mov_b32_e32 v2, 0xffff
	v_mov_b32_e32 v25, v50
	;; [unrolled: 1-line block ×3, first 2 shown]
	s_mov_b32 s43, exec_lo
	v_and_b32_sdwa v2, v2, v1 dst_sel:DWORD dst_unused:UNUSED_PAD src0_sel:DWORD src1_sel:BYTE_1
	v_mov_b32_e32 v125, v25
	v_and_b32_e32 v3, 0x7f, v2
	v_cmpx_ne_u32_e32 0x7f, v3
	s_cbranch_execz .LBB185_271
; %bb.268:                              ;   in Loop: Header=BB185_12 Depth=1
	v_and_b32_e32 v49, 7, v2
	v_lshrrev_b32_e32 v2, 3, v3
	s_mov_b32 s44, exec_lo
	v_cmpx_gt_u32_e32 8, v3
; %bb.269:                              ;   in Loop: Header=BB185_12 Depth=1
	v_ffbh_u32_e32 v2, v49
	v_min_u32_e32 v2, 32, v2
	v_subrev_nc_u32_e32 v3, 28, v2
	v_sub_nc_u32_e32 v2, 29, v2
	v_lshlrev_b64 v[3:4], v3, v[49:50]
	v_and_b32_e32 v49, 7, v3
; %bb.270:                              ;   in Loop: Header=BB185_12 Depth=1
	s_or_b32 exec_lo, exec_lo, s44
	v_lshlrev_b32_e32 v1, 16, v1
	v_lshlrev_b32_e32 v3, 20, v49
	v_lshl_add_u32 v2, v2, 23, 0x3c000000
	v_mov_b32_e32 v125, v50
	v_and_b32_e32 v1, 0x80000000, v1
	v_or3_b32 v126, v3, v1, v2
.LBB185_271:                            ;   in Loop: Header=BB185_12 Depth=1
	s_or_b32 exec_lo, exec_lo, s43
.LBB185_272:                            ;   in Loop: Header=BB185_12 Depth=1
	s_or_b32 exec_lo, exec_lo, s42
.LBB185_273:                            ;   in Loop: Header=BB185_12 Depth=1
	s_or_b32 exec_lo, exec_lo, s41
	global_load_ushort v2, v[69:70], off offset:1024
	v_mov_b32_e32 v59, 0
	v_mov_b32_e32 v57, 0
	;; [unrolled: 1-line block ×4, first 2 shown]
	s_waitcnt vmcnt(0)
	v_and_b32_e32 v1, 0xffff, v2
	v_cmp_ne_u16_sdwa s2, v2, v50 src0_sel:BYTE_0 src1_sel:DWORD
	s_and_saveexec_b32 s41, s2
	s_cbranch_execz .LBB185_281
; %bb.274:                              ;   in Loop: Header=BB185_12 Depth=1
	v_bfrev_b32_e32 v57, 1
	v_mov_b32_e32 v58, 0
	v_cmp_ne_u16_sdwa s2, v1, v38 src0_sel:BYTE_0 src1_sel:DWORD
	s_and_saveexec_b32 s42, s2
	s_cbranch_execz .LBB185_280
; %bb.275:                              ;   in Loop: Header=BB185_12 Depth=1
	v_mov_b32_e32 v57, 0x7f800001
	v_and_b32_e32 v3, 0x7f, v1
	v_mov_b32_e32 v58, 0
	s_mov_b32 s43, exec_lo
	v_cmpx_ne_u32_e32 0x7f, v3
	s_cbranch_execz .LBB185_279
; %bb.276:                              ;   in Loop: Header=BB185_12 Depth=1
	v_and_b32_e32 v49, 7, v1
	v_lshrrev_b32_e32 v2, 3, v3
	s_mov_b32 s44, exec_lo
	v_cmpx_gt_u32_e32 8, v3
; %bb.277:                              ;   in Loop: Header=BB185_12 Depth=1
	v_ffbh_u32_e32 v2, v49
	v_min_u32_e32 v2, 32, v2
	v_subrev_nc_u32_e32 v3, 28, v2
	v_sub_nc_u32_e32 v2, 29, v2
	v_lshlrev_b64 v[3:4], v3, v[49:50]
	v_and_b32_e32 v49, 7, v3
; %bb.278:                              ;   in Loop: Header=BB185_12 Depth=1
	s_or_b32 exec_lo, exec_lo, s44
	v_lshlrev_b32_e32 v3, 24, v1
	v_lshlrev_b32_e32 v4, 20, v49
	v_lshl_add_u32 v2, v2, 23, 0x3c000000
	v_and_b32_e32 v3, 0x80000000, v3
	v_or3_b32 v49, v4, v3, v2
	v_mov_b32_e32 v58, v50
	v_mov_b32_e32 v57, v49
.LBB185_279:                            ;   in Loop: Header=BB185_12 Depth=1
	s_or_b32 exec_lo, exec_lo, s43
.LBB185_280:                            ;   in Loop: Header=BB185_12 Depth=1
	s_or_b32 exec_lo, exec_lo, s42
.LBB185_281:                            ;   in Loop: Header=BB185_12 Depth=1
	s_or_b32 exec_lo, exec_lo, s41
	v_cmp_ne_u16_sdwa s2, v1, v50 src0_sel:BYTE_1 src1_sel:DWORD
	s_and_saveexec_b32 s41, s2
	s_cbranch_execz .LBB185_289
; %bb.282:                              ;   in Loop: Header=BB185_12 Depth=1
	v_mov_b32_e32 v33, v50
	v_mov_b32_e32 v60, v34
	v_cmp_ne_u16_sdwa s2, v1, v38 src0_sel:BYTE_1 src1_sel:DWORD
	v_mov_b32_e32 v59, v33
	s_and_saveexec_b32 s42, s2
	s_cbranch_execz .LBB185_288
; %bb.283:                              ;   in Loop: Header=BB185_12 Depth=1
	v_mov_b32_e32 v2, 0xffff
	v_mov_b32_e32 v25, v50
	;; [unrolled: 1-line block ×3, first 2 shown]
	s_mov_b32 s43, exec_lo
	v_and_b32_sdwa v2, v2, v1 dst_sel:DWORD dst_unused:UNUSED_PAD src0_sel:DWORD src1_sel:BYTE_1
	v_mov_b32_e32 v59, v25
	v_and_b32_e32 v3, 0x7f, v2
	v_cmpx_ne_u32_e32 0x7f, v3
	s_cbranch_execz .LBB185_287
; %bb.284:                              ;   in Loop: Header=BB185_12 Depth=1
	v_and_b32_e32 v49, 7, v2
	v_lshrrev_b32_e32 v2, 3, v3
	s_mov_b32 s44, exec_lo
	v_cmpx_gt_u32_e32 8, v3
; %bb.285:                              ;   in Loop: Header=BB185_12 Depth=1
	v_ffbh_u32_e32 v2, v49
	v_min_u32_e32 v2, 32, v2
	v_subrev_nc_u32_e32 v3, 28, v2
	v_sub_nc_u32_e32 v2, 29, v2
	v_lshlrev_b64 v[3:4], v3, v[49:50]
	v_and_b32_e32 v49, 7, v3
; %bb.286:                              ;   in Loop: Header=BB185_12 Depth=1
	s_or_b32 exec_lo, exec_lo, s44
	v_lshlrev_b32_e32 v1, 16, v1
	v_lshlrev_b32_e32 v3, 20, v49
	v_lshl_add_u32 v2, v2, 23, 0x3c000000
	v_mov_b32_e32 v59, v50
	v_and_b32_e32 v1, 0x80000000, v1
	v_or3_b32 v60, v3, v1, v2
.LBB185_287:                            ;   in Loop: Header=BB185_12 Depth=1
	s_or_b32 exec_lo, exec_lo, s43
.LBB185_288:                            ;   in Loop: Header=BB185_12 Depth=1
	s_or_b32 exec_lo, exec_lo, s42
.LBB185_289:                            ;   in Loop: Header=BB185_12 Depth=1
	s_or_b32 exec_lo, exec_lo, s41
	global_load_ushort v2, v[69:70], off offset:1028
	v_mov_b32_e32 v65, 0
	v_mov_b32_e32 v61, 0
	v_mov_b32_e32 v66, 0
	v_mov_b32_e32 v62, 0
	s_waitcnt vmcnt(0)
	v_and_b32_e32 v1, 0xffff, v2
	v_cmp_ne_u16_sdwa s2, v2, v50 src0_sel:BYTE_0 src1_sel:DWORD
	s_and_saveexec_b32 s41, s2
	s_cbranch_execz .LBB185_297
; %bb.290:                              ;   in Loop: Header=BB185_12 Depth=1
	v_bfrev_b32_e32 v61, 1
	v_mov_b32_e32 v62, 0
	v_cmp_ne_u16_sdwa s2, v1, v38 src0_sel:BYTE_0 src1_sel:DWORD
	s_and_saveexec_b32 s42, s2
	s_cbranch_execz .LBB185_296
; %bb.291:                              ;   in Loop: Header=BB185_12 Depth=1
	v_mov_b32_e32 v61, 0x7f800001
	v_and_b32_e32 v3, 0x7f, v1
	v_mov_b32_e32 v62, 0
	s_mov_b32 s43, exec_lo
	v_cmpx_ne_u32_e32 0x7f, v3
	s_cbranch_execz .LBB185_295
; %bb.292:                              ;   in Loop: Header=BB185_12 Depth=1
	v_and_b32_e32 v49, 7, v1
	v_lshrrev_b32_e32 v2, 3, v3
	s_mov_b32 s44, exec_lo
	v_cmpx_gt_u32_e32 8, v3
; %bb.293:                              ;   in Loop: Header=BB185_12 Depth=1
	v_ffbh_u32_e32 v2, v49
	v_min_u32_e32 v2, 32, v2
	v_subrev_nc_u32_e32 v3, 28, v2
	v_sub_nc_u32_e32 v2, 29, v2
	v_lshlrev_b64 v[3:4], v3, v[49:50]
	v_and_b32_e32 v49, 7, v3
; %bb.294:                              ;   in Loop: Header=BB185_12 Depth=1
	s_or_b32 exec_lo, exec_lo, s44
	v_lshlrev_b32_e32 v3, 24, v1
	v_lshlrev_b32_e32 v4, 20, v49
	v_lshl_add_u32 v2, v2, 23, 0x3c000000
	v_and_b32_e32 v3, 0x80000000, v3
	v_or3_b32 v49, v4, v3, v2
	v_mov_b32_e32 v62, v50
	v_mov_b32_e32 v61, v49
.LBB185_295:                            ;   in Loop: Header=BB185_12 Depth=1
	s_or_b32 exec_lo, exec_lo, s43
.LBB185_296:                            ;   in Loop: Header=BB185_12 Depth=1
	s_or_b32 exec_lo, exec_lo, s42
.LBB185_297:                            ;   in Loop: Header=BB185_12 Depth=1
	s_or_b32 exec_lo, exec_lo, s41
	v_cmp_ne_u16_sdwa s2, v1, v50 src0_sel:BYTE_1 src1_sel:DWORD
	s_and_saveexec_b32 s41, s2
	s_cbranch_execz .LBB185_305
; %bb.298:                              ;   in Loop: Header=BB185_12 Depth=1
	v_mov_b32_e32 v33, v50
	v_mov_b32_e32 v66, v34
	v_cmp_ne_u16_sdwa s2, v1, v38 src0_sel:BYTE_1 src1_sel:DWORD
	v_mov_b32_e32 v65, v33
	s_and_saveexec_b32 s42, s2
	s_cbranch_execz .LBB185_304
; %bb.299:                              ;   in Loop: Header=BB185_12 Depth=1
	v_mov_b32_e32 v2, 0xffff
	v_mov_b32_e32 v25, v50
	;; [unrolled: 1-line block ×3, first 2 shown]
	s_mov_b32 s43, exec_lo
	v_and_b32_sdwa v2, v2, v1 dst_sel:DWORD dst_unused:UNUSED_PAD src0_sel:DWORD src1_sel:BYTE_1
	v_mov_b32_e32 v65, v25
	v_and_b32_e32 v3, 0x7f, v2
	v_cmpx_ne_u32_e32 0x7f, v3
	s_cbranch_execz .LBB185_303
; %bb.300:                              ;   in Loop: Header=BB185_12 Depth=1
	v_and_b32_e32 v49, 7, v2
	v_lshrrev_b32_e32 v2, 3, v3
	s_mov_b32 s44, exec_lo
	v_cmpx_gt_u32_e32 8, v3
; %bb.301:                              ;   in Loop: Header=BB185_12 Depth=1
	v_ffbh_u32_e32 v2, v49
	v_min_u32_e32 v2, 32, v2
	v_subrev_nc_u32_e32 v3, 28, v2
	v_sub_nc_u32_e32 v2, 29, v2
	v_lshlrev_b64 v[3:4], v3, v[49:50]
	v_and_b32_e32 v49, 7, v3
; %bb.302:                              ;   in Loop: Header=BB185_12 Depth=1
	s_or_b32 exec_lo, exec_lo, s44
	v_lshlrev_b32_e32 v1, 16, v1
	v_lshlrev_b32_e32 v3, 20, v49
	v_lshl_add_u32 v2, v2, 23, 0x3c000000
	v_mov_b32_e32 v65, v50
	v_and_b32_e32 v1, 0x80000000, v1
	v_or3_b32 v66, v3, v1, v2
.LBB185_303:                            ;   in Loop: Header=BB185_12 Depth=1
	s_or_b32 exec_lo, exec_lo, s43
.LBB185_304:                            ;   in Loop: Header=BB185_12 Depth=1
	s_or_b32 exec_lo, exec_lo, s42
.LBB185_305:                            ;   in Loop: Header=BB185_12 Depth=1
	s_or_b32 exec_lo, exec_lo, s41
	global_load_ushort v2, v[69:70], off offset:1032
	v_mov_b32_e32 v67, 0
	v_mov_b32_e32 v63, 0
	v_mov_b32_e32 v68, 0
	v_mov_b32_e32 v64, 0
	s_waitcnt vmcnt(0)
	v_and_b32_e32 v1, 0xffff, v2
	v_cmp_ne_u16_sdwa s2, v2, v50 src0_sel:BYTE_0 src1_sel:DWORD
	s_and_saveexec_b32 s41, s2
	s_cbranch_execz .LBB185_313
; %bb.306:                              ;   in Loop: Header=BB185_12 Depth=1
	v_bfrev_b32_e32 v63, 1
	v_mov_b32_e32 v64, 0
	v_cmp_ne_u16_sdwa s2, v1, v38 src0_sel:BYTE_0 src1_sel:DWORD
	s_and_saveexec_b32 s42, s2
	s_cbranch_execz .LBB185_312
; %bb.307:                              ;   in Loop: Header=BB185_12 Depth=1
	v_mov_b32_e32 v63, 0x7f800001
	v_and_b32_e32 v3, 0x7f, v1
	v_mov_b32_e32 v64, 0
	s_mov_b32 s43, exec_lo
	v_cmpx_ne_u32_e32 0x7f, v3
	s_cbranch_execz .LBB185_311
; %bb.308:                              ;   in Loop: Header=BB185_12 Depth=1
	v_and_b32_e32 v49, 7, v1
	v_lshrrev_b32_e32 v2, 3, v3
	s_mov_b32 s44, exec_lo
	v_cmpx_gt_u32_e32 8, v3
; %bb.309:                              ;   in Loop: Header=BB185_12 Depth=1
	v_ffbh_u32_e32 v2, v49
	v_min_u32_e32 v2, 32, v2
	v_subrev_nc_u32_e32 v3, 28, v2
	v_sub_nc_u32_e32 v2, 29, v2
	v_lshlrev_b64 v[3:4], v3, v[49:50]
	v_and_b32_e32 v49, 7, v3
; %bb.310:                              ;   in Loop: Header=BB185_12 Depth=1
	s_or_b32 exec_lo, exec_lo, s44
	v_lshlrev_b32_e32 v3, 24, v1
	v_lshlrev_b32_e32 v4, 20, v49
	v_lshl_add_u32 v2, v2, 23, 0x3c000000
	v_and_b32_e32 v3, 0x80000000, v3
	v_or3_b32 v49, v4, v3, v2
	v_mov_b32_e32 v64, v50
	v_mov_b32_e32 v63, v49
.LBB185_311:                            ;   in Loop: Header=BB185_12 Depth=1
	s_or_b32 exec_lo, exec_lo, s43
.LBB185_312:                            ;   in Loop: Header=BB185_12 Depth=1
	s_or_b32 exec_lo, exec_lo, s42
.LBB185_313:                            ;   in Loop: Header=BB185_12 Depth=1
	s_or_b32 exec_lo, exec_lo, s41
	v_cmp_ne_u16_sdwa s2, v1, v50 src0_sel:BYTE_1 src1_sel:DWORD
	s_and_saveexec_b32 s41, s2
	s_cbranch_execz .LBB185_321
; %bb.314:                              ;   in Loop: Header=BB185_12 Depth=1
	v_mov_b32_e32 v33, v50
	v_mov_b32_e32 v68, v34
	v_cmp_ne_u16_sdwa s2, v1, v38 src0_sel:BYTE_1 src1_sel:DWORD
	v_mov_b32_e32 v67, v33
	s_and_saveexec_b32 s42, s2
	s_cbranch_execz .LBB185_320
; %bb.315:                              ;   in Loop: Header=BB185_12 Depth=1
	v_mov_b32_e32 v2, 0xffff
	v_mov_b32_e32 v25, v50
	v_mov_b32_e32 v68, v26
	s_mov_b32 s43, exec_lo
	v_and_b32_sdwa v2, v2, v1 dst_sel:DWORD dst_unused:UNUSED_PAD src0_sel:DWORD src1_sel:BYTE_1
	v_mov_b32_e32 v67, v25
	v_and_b32_e32 v3, 0x7f, v2
	v_cmpx_ne_u32_e32 0x7f, v3
	s_cbranch_execz .LBB185_319
; %bb.316:                              ;   in Loop: Header=BB185_12 Depth=1
	v_and_b32_e32 v49, 7, v2
	v_lshrrev_b32_e32 v2, 3, v3
	s_mov_b32 s44, exec_lo
	v_cmpx_gt_u32_e32 8, v3
; %bb.317:                              ;   in Loop: Header=BB185_12 Depth=1
	v_ffbh_u32_e32 v2, v49
	v_min_u32_e32 v2, 32, v2
	v_subrev_nc_u32_e32 v3, 28, v2
	v_sub_nc_u32_e32 v2, 29, v2
	v_lshlrev_b64 v[3:4], v3, v[49:50]
	v_and_b32_e32 v49, 7, v3
; %bb.318:                              ;   in Loop: Header=BB185_12 Depth=1
	s_or_b32 exec_lo, exec_lo, s44
	v_lshlrev_b32_e32 v1, 16, v1
	v_lshlrev_b32_e32 v3, 20, v49
	v_lshl_add_u32 v2, v2, 23, 0x3c000000
	v_mov_b32_e32 v67, v50
	v_and_b32_e32 v1, 0x80000000, v1
	v_or3_b32 v68, v3, v1, v2
.LBB185_319:                            ;   in Loop: Header=BB185_12 Depth=1
	s_or_b32 exec_lo, exec_lo, s43
.LBB185_320:                            ;   in Loop: Header=BB185_12 Depth=1
	s_or_b32 exec_lo, exec_lo, s42
.LBB185_321:                            ;   in Loop: Header=BB185_12 Depth=1
	s_or_b32 exec_lo, exec_lo, s41
	global_load_ushort v1, v[69:70], off offset:1036
	v_mov_b32_e32 v71, 0
	v_mov_b32_e32 v72, 0
	s_waitcnt vmcnt(0)
	v_and_b32_e32 v3, 0xffff, v1
	v_cmp_ne_u16_sdwa s2, v1, v50 src0_sel:BYTE_0 src1_sel:DWORD
	v_mov_b32_e32 v1, 0
	v_mov_b32_e32 v2, 0
	s_and_saveexec_b32 s41, s2
	s_cbranch_execz .LBB185_329
; %bb.322:                              ;   in Loop: Header=BB185_12 Depth=1
	v_bfrev_b32_e32 v71, 1
	v_mov_b32_e32 v72, 0
	v_cmp_ne_u16_sdwa s2, v3, v38 src0_sel:BYTE_0 src1_sel:DWORD
	s_and_saveexec_b32 s42, s2
	s_cbranch_execz .LBB185_328
; %bb.323:                              ;   in Loop: Header=BB185_12 Depth=1
	v_mov_b32_e32 v71, 0x7f800001
	v_and_b32_e32 v5, 0x7f, v3
	v_mov_b32_e32 v72, 0
	s_mov_b32 s43, exec_lo
	v_cmpx_ne_u32_e32 0x7f, v5
	s_cbranch_execz .LBB185_327
; %bb.324:                              ;   in Loop: Header=BB185_12 Depth=1
	v_and_b32_e32 v49, 7, v3
	v_lshrrev_b32_e32 v4, 3, v5
	s_mov_b32 s44, exec_lo
	v_cmpx_gt_u32_e32 8, v5
; %bb.325:                              ;   in Loop: Header=BB185_12 Depth=1
	v_ffbh_u32_e32 v4, v49
	v_min_u32_e32 v4, 32, v4
	v_subrev_nc_u32_e32 v5, 28, v4
	v_sub_nc_u32_e32 v4, 29, v4
	v_lshlrev_b64 v[5:6], v5, v[49:50]
	v_and_b32_e32 v49, 7, v5
; %bb.326:                              ;   in Loop: Header=BB185_12 Depth=1
	s_or_b32 exec_lo, exec_lo, s44
	v_lshlrev_b32_e32 v5, 24, v3
	v_lshlrev_b32_e32 v6, 20, v49
	v_lshl_add_u32 v4, v4, 23, 0x3c000000
	v_and_b32_e32 v5, 0x80000000, v5
	v_or3_b32 v49, v6, v5, v4
	v_mov_b32_e32 v72, v50
	v_mov_b32_e32 v71, v49
.LBB185_327:                            ;   in Loop: Header=BB185_12 Depth=1
	s_or_b32 exec_lo, exec_lo, s43
.LBB185_328:                            ;   in Loop: Header=BB185_12 Depth=1
	s_or_b32 exec_lo, exec_lo, s42
.LBB185_329:                            ;   in Loop: Header=BB185_12 Depth=1
	s_or_b32 exec_lo, exec_lo, s41
	v_cmp_ne_u16_sdwa s2, v3, v50 src0_sel:BYTE_1 src1_sel:DWORD
	s_and_saveexec_b32 s41, s2
	s_cbranch_execz .LBB185_337
; %bb.330:                              ;   in Loop: Header=BB185_12 Depth=1
	v_mov_b32_e32 v33, v50
	v_cmp_ne_u16_sdwa s2, v3, v38 src0_sel:BYTE_1 src1_sel:DWORD
	v_mov_b32_e32 v1, v33
	v_mov_b32_e32 v2, v34
	s_and_saveexec_b32 s42, s2
	s_cbranch_execz .LBB185_336
; %bb.331:                              ;   in Loop: Header=BB185_12 Depth=1
	v_mov_b32_e32 v1, 0xffff
	v_mov_b32_e32 v25, v50
	s_mov_b32 s43, exec_lo
	v_and_b32_sdwa v5, v1, v3 dst_sel:DWORD dst_unused:UNUSED_PAD src0_sel:DWORD src1_sel:BYTE_1
	v_mov_b32_e32 v1, v25
	v_mov_b32_e32 v2, v26
	v_and_b32_e32 v4, 0x7f, v5
	v_cmpx_ne_u32_e32 0x7f, v4
	s_cbranch_execz .LBB185_335
; %bb.332:                              ;   in Loop: Header=BB185_12 Depth=1
	v_and_b32_e32 v49, 7, v5
	v_lshrrev_b32_e32 v1, 3, v4
	s_mov_b32 s44, exec_lo
	v_cmpx_gt_u32_e32 8, v4
; %bb.333:                              ;   in Loop: Header=BB185_12 Depth=1
	v_ffbh_u32_e32 v1, v49
	v_min_u32_e32 v1, 32, v1
	v_subrev_nc_u32_e32 v2, 28, v1
	v_sub_nc_u32_e32 v1, 29, v1
	v_lshlrev_b64 v[4:5], v2, v[49:50]
	v_and_b32_e32 v49, 7, v4
; %bb.334:                              ;   in Loop: Header=BB185_12 Depth=1
	s_or_b32 exec_lo, exec_lo, s44
	v_lshlrev_b32_e32 v2, 16, v3
	v_lshlrev_b32_e32 v3, 20, v49
	v_lshl_add_u32 v1, v1, 23, 0x3c000000
	v_and_b32_e32 v2, 0x80000000, v2
	v_or3_b32 v2, v3, v2, v1
	v_mov_b32_e32 v1, v50
.LBB185_335:                            ;   in Loop: Header=BB185_12 Depth=1
	s_or_b32 exec_lo, exec_lo, s43
.LBB185_336:                            ;   in Loop: Header=BB185_12 Depth=1
	s_or_b32 exec_lo, exec_lo, s42
.LBB185_337:                            ;   in Loop: Header=BB185_12 Depth=1
	s_or_b32 exec_lo, exec_lo, s41
	global_load_ushort v3, v[69:70], off offset:1280
	v_mov_b32_e32 v5, 0
	v_mov_b32_e32 v6, 0
	s_waitcnt vmcnt(0)
	v_and_b32_e32 v7, 0xffff, v3
	v_cmp_ne_u16_sdwa s2, v3, v50 src0_sel:BYTE_0 src1_sel:DWORD
	v_mov_b32_e32 v3, 0
	v_mov_b32_e32 v4, 0
	s_and_saveexec_b32 s41, s2
	s_cbranch_execz .LBB185_345
; %bb.338:                              ;   in Loop: Header=BB185_12 Depth=1
	v_bfrev_b32_e32 v3, 1
	v_mov_b32_e32 v4, 0
	v_cmp_ne_u16_sdwa s2, v7, v38 src0_sel:BYTE_0 src1_sel:DWORD
	s_and_saveexec_b32 s42, s2
	s_cbranch_execz .LBB185_344
; %bb.339:                              ;   in Loop: Header=BB185_12 Depth=1
	v_mov_b32_e32 v3, 0x7f800001
	v_and_b32_e32 v8, 0x7f, v7
	v_mov_b32_e32 v4, 0
	s_mov_b32 s43, exec_lo
	v_cmpx_ne_u32_e32 0x7f, v8
	s_cbranch_execz .LBB185_343
; %bb.340:                              ;   in Loop: Header=BB185_12 Depth=1
	v_and_b32_e32 v49, 7, v7
	v_lshrrev_b32_e32 v3, 3, v8
	s_mov_b32 s44, exec_lo
	v_cmpx_gt_u32_e32 8, v8
; %bb.341:                              ;   in Loop: Header=BB185_12 Depth=1
	v_ffbh_u32_e32 v3, v49
	v_min_u32_e32 v3, 32, v3
	v_subrev_nc_u32_e32 v4, 28, v3
	v_sub_nc_u32_e32 v3, 29, v3
	v_lshlrev_b64 v[8:9], v4, v[49:50]
	v_and_b32_e32 v49, 7, v8
; %bb.342:                              ;   in Loop: Header=BB185_12 Depth=1
	s_or_b32 exec_lo, exec_lo, s44
	v_lshlrev_b32_e32 v4, 24, v7
	v_lshlrev_b32_e32 v8, 20, v49
	v_lshl_add_u32 v3, v3, 23, 0x3c000000
	v_and_b32_e32 v4, 0x80000000, v4
	v_or3_b32 v49, v8, v4, v3
	v_mov_b32_e32 v3, v49
	v_mov_b32_e32 v4, v50
.LBB185_343:                            ;   in Loop: Header=BB185_12 Depth=1
	s_or_b32 exec_lo, exec_lo, s43
.LBB185_344:                            ;   in Loop: Header=BB185_12 Depth=1
	s_or_b32 exec_lo, exec_lo, s42
.LBB185_345:                            ;   in Loop: Header=BB185_12 Depth=1
	s_or_b32 exec_lo, exec_lo, s41
	v_cmp_ne_u16_sdwa s2, v7, v50 src0_sel:BYTE_1 src1_sel:DWORD
	s_and_saveexec_b32 s41, s2
	s_cbranch_execz .LBB185_353
; %bb.346:                              ;   in Loop: Header=BB185_12 Depth=1
	v_mov_b32_e32 v33, v50
	v_cmp_ne_u16_sdwa s2, v7, v38 src0_sel:BYTE_1 src1_sel:DWORD
	v_mov_b32_e32 v5, v33
	v_mov_b32_e32 v6, v34
	s_and_saveexec_b32 s42, s2
	s_cbranch_execz .LBB185_352
; %bb.347:                              ;   in Loop: Header=BB185_12 Depth=1
	v_mov_b32_e32 v5, 0xffff
	v_mov_b32_e32 v25, v50
	s_mov_b32 s43, exec_lo
	v_and_b32_sdwa v9, v5, v7 dst_sel:DWORD dst_unused:UNUSED_PAD src0_sel:DWORD src1_sel:BYTE_1
	v_mov_b32_e32 v5, v25
	v_mov_b32_e32 v6, v26
	v_and_b32_e32 v8, 0x7f, v9
	v_cmpx_ne_u32_e32 0x7f, v8
	s_cbranch_execz .LBB185_351
; %bb.348:                              ;   in Loop: Header=BB185_12 Depth=1
	v_and_b32_e32 v49, 7, v9
	v_lshrrev_b32_e32 v5, 3, v8
	s_mov_b32 s44, exec_lo
	v_cmpx_gt_u32_e32 8, v8
; %bb.349:                              ;   in Loop: Header=BB185_12 Depth=1
	v_ffbh_u32_e32 v5, v49
	v_min_u32_e32 v5, 32, v5
	v_subrev_nc_u32_e32 v6, 28, v5
	v_sub_nc_u32_e32 v5, 29, v5
	v_lshlrev_b64 v[8:9], v6, v[49:50]
	v_and_b32_e32 v49, 7, v8
; %bb.350:                              ;   in Loop: Header=BB185_12 Depth=1
	s_or_b32 exec_lo, exec_lo, s44
	v_lshlrev_b32_e32 v6, 16, v7
	v_lshlrev_b32_e32 v7, 20, v49
	v_lshl_add_u32 v5, v5, 23, 0x3c000000
	v_and_b32_e32 v6, 0x80000000, v6
	v_or3_b32 v6, v7, v6, v5
	v_mov_b32_e32 v5, v50
.LBB185_351:                            ;   in Loop: Header=BB185_12 Depth=1
	s_or_b32 exec_lo, exec_lo, s43
.LBB185_352:                            ;   in Loop: Header=BB185_12 Depth=1
	s_or_b32 exec_lo, exec_lo, s42
.LBB185_353:                            ;   in Loop: Header=BB185_12 Depth=1
	s_or_b32 exec_lo, exec_lo, s41
	global_load_ushort v7, v[69:70], off offset:1284
	v_mov_b32_e32 v9, 0
	v_mov_b32_e32 v10, 0
	s_waitcnt vmcnt(0)
	v_and_b32_e32 v11, 0xffff, v7
	v_cmp_ne_u16_sdwa s2, v7, v50 src0_sel:BYTE_0 src1_sel:DWORD
	v_mov_b32_e32 v7, 0
	v_mov_b32_e32 v8, 0
	s_and_saveexec_b32 s41, s2
	s_cbranch_execz .LBB185_361
; %bb.354:                              ;   in Loop: Header=BB185_12 Depth=1
	v_bfrev_b32_e32 v7, 1
	v_mov_b32_e32 v8, 0
	v_cmp_ne_u16_sdwa s2, v11, v38 src0_sel:BYTE_0 src1_sel:DWORD
	s_and_saveexec_b32 s42, s2
	s_cbranch_execz .LBB185_360
; %bb.355:                              ;   in Loop: Header=BB185_12 Depth=1
	v_mov_b32_e32 v7, 0x7f800001
	v_and_b32_e32 v12, 0x7f, v11
	v_mov_b32_e32 v8, 0
	s_mov_b32 s43, exec_lo
	v_cmpx_ne_u32_e32 0x7f, v12
	s_cbranch_execz .LBB185_359
; %bb.356:                              ;   in Loop: Header=BB185_12 Depth=1
	v_and_b32_e32 v49, 7, v11
	v_lshrrev_b32_e32 v7, 3, v12
	s_mov_b32 s44, exec_lo
	v_cmpx_gt_u32_e32 8, v12
; %bb.357:                              ;   in Loop: Header=BB185_12 Depth=1
	v_ffbh_u32_e32 v7, v49
	v_min_u32_e32 v7, 32, v7
	v_subrev_nc_u32_e32 v8, 28, v7
	v_sub_nc_u32_e32 v7, 29, v7
	v_lshlrev_b64 v[12:13], v8, v[49:50]
	v_and_b32_e32 v49, 7, v12
; %bb.358:                              ;   in Loop: Header=BB185_12 Depth=1
	s_or_b32 exec_lo, exec_lo, s44
	v_lshlrev_b32_e32 v8, 24, v11
	v_lshlrev_b32_e32 v12, 20, v49
	v_lshl_add_u32 v7, v7, 23, 0x3c000000
	v_and_b32_e32 v8, 0x80000000, v8
	v_or3_b32 v49, v12, v8, v7
	v_mov_b32_e32 v7, v49
	v_mov_b32_e32 v8, v50
.LBB185_359:                            ;   in Loop: Header=BB185_12 Depth=1
	s_or_b32 exec_lo, exec_lo, s43
.LBB185_360:                            ;   in Loop: Header=BB185_12 Depth=1
	s_or_b32 exec_lo, exec_lo, s42
.LBB185_361:                            ;   in Loop: Header=BB185_12 Depth=1
	s_or_b32 exec_lo, exec_lo, s41
	v_cmp_ne_u16_sdwa s2, v11, v50 src0_sel:BYTE_1 src1_sel:DWORD
	s_and_saveexec_b32 s41, s2
	s_cbranch_execz .LBB185_369
; %bb.362:                              ;   in Loop: Header=BB185_12 Depth=1
	v_mov_b32_e32 v33, v50
	v_cmp_ne_u16_sdwa s2, v11, v38 src0_sel:BYTE_1 src1_sel:DWORD
	v_mov_b32_e32 v9, v33
	v_mov_b32_e32 v10, v34
	s_and_saveexec_b32 s42, s2
	s_cbranch_execz .LBB185_368
; %bb.363:                              ;   in Loop: Header=BB185_12 Depth=1
	v_mov_b32_e32 v9, 0xffff
	v_mov_b32_e32 v25, v50
	s_mov_b32 s43, exec_lo
	v_and_b32_sdwa v13, v9, v11 dst_sel:DWORD dst_unused:UNUSED_PAD src0_sel:DWORD src1_sel:BYTE_1
	v_mov_b32_e32 v9, v25
	v_mov_b32_e32 v10, v26
	v_and_b32_e32 v12, 0x7f, v13
	v_cmpx_ne_u32_e32 0x7f, v12
	s_cbranch_execz .LBB185_367
; %bb.364:                              ;   in Loop: Header=BB185_12 Depth=1
	v_and_b32_e32 v49, 7, v13
	v_lshrrev_b32_e32 v9, 3, v12
	s_mov_b32 s44, exec_lo
	v_cmpx_gt_u32_e32 8, v12
; %bb.365:                              ;   in Loop: Header=BB185_12 Depth=1
	v_ffbh_u32_e32 v9, v49
	v_min_u32_e32 v9, 32, v9
	v_subrev_nc_u32_e32 v10, 28, v9
	v_sub_nc_u32_e32 v9, 29, v9
	v_lshlrev_b64 v[12:13], v10, v[49:50]
	v_and_b32_e32 v49, 7, v12
; %bb.366:                              ;   in Loop: Header=BB185_12 Depth=1
	s_or_b32 exec_lo, exec_lo, s44
	v_lshlrev_b32_e32 v10, 16, v11
	v_lshlrev_b32_e32 v11, 20, v49
	v_lshl_add_u32 v9, v9, 23, 0x3c000000
	v_and_b32_e32 v10, 0x80000000, v10
	v_or3_b32 v10, v11, v10, v9
	v_mov_b32_e32 v9, v50
.LBB185_367:                            ;   in Loop: Header=BB185_12 Depth=1
	s_or_b32 exec_lo, exec_lo, s43
.LBB185_368:                            ;   in Loop: Header=BB185_12 Depth=1
	s_or_b32 exec_lo, exec_lo, s42
.LBB185_369:                            ;   in Loop: Header=BB185_12 Depth=1
	s_or_b32 exec_lo, exec_lo, s41
	global_load_ushort v11, v[69:70], off offset:1288
	v_mov_b32_e32 v13, 0
	v_mov_b32_e32 v14, 0
	s_waitcnt vmcnt(0)
	v_and_b32_e32 v15, 0xffff, v11
	v_cmp_ne_u16_sdwa s2, v11, v50 src0_sel:BYTE_0 src1_sel:DWORD
	v_mov_b32_e32 v11, 0
	v_mov_b32_e32 v12, 0
	s_and_saveexec_b32 s41, s2
	s_cbranch_execz .LBB185_377
; %bb.370:                              ;   in Loop: Header=BB185_12 Depth=1
	v_bfrev_b32_e32 v11, 1
	v_mov_b32_e32 v12, 0
	v_cmp_ne_u16_sdwa s2, v15, v38 src0_sel:BYTE_0 src1_sel:DWORD
	s_and_saveexec_b32 s42, s2
	s_cbranch_execz .LBB185_376
; %bb.371:                              ;   in Loop: Header=BB185_12 Depth=1
	v_mov_b32_e32 v11, 0x7f800001
	v_and_b32_e32 v16, 0x7f, v15
	v_mov_b32_e32 v12, 0
	s_mov_b32 s43, exec_lo
	v_cmpx_ne_u32_e32 0x7f, v16
	s_cbranch_execz .LBB185_375
; %bb.372:                              ;   in Loop: Header=BB185_12 Depth=1
	v_and_b32_e32 v49, 7, v15
	v_lshrrev_b32_e32 v11, 3, v16
	s_mov_b32 s44, exec_lo
	v_cmpx_gt_u32_e32 8, v16
; %bb.373:                              ;   in Loop: Header=BB185_12 Depth=1
	v_ffbh_u32_e32 v11, v49
	v_min_u32_e32 v11, 32, v11
	v_subrev_nc_u32_e32 v12, 28, v11
	v_sub_nc_u32_e32 v11, 29, v11
	v_lshlrev_b64 v[16:17], v12, v[49:50]
	v_and_b32_e32 v49, 7, v16
; %bb.374:                              ;   in Loop: Header=BB185_12 Depth=1
	s_or_b32 exec_lo, exec_lo, s44
	v_lshlrev_b32_e32 v12, 24, v15
	v_lshlrev_b32_e32 v16, 20, v49
	v_lshl_add_u32 v11, v11, 23, 0x3c000000
	v_and_b32_e32 v12, 0x80000000, v12
	v_or3_b32 v49, v16, v12, v11
	v_mov_b32_e32 v11, v49
	v_mov_b32_e32 v12, v50
.LBB185_375:                            ;   in Loop: Header=BB185_12 Depth=1
	s_or_b32 exec_lo, exec_lo, s43
.LBB185_376:                            ;   in Loop: Header=BB185_12 Depth=1
	s_or_b32 exec_lo, exec_lo, s42
.LBB185_377:                            ;   in Loop: Header=BB185_12 Depth=1
	s_or_b32 exec_lo, exec_lo, s41
	v_cmp_ne_u16_sdwa s2, v15, v50 src0_sel:BYTE_1 src1_sel:DWORD
	s_and_saveexec_b32 s41, s2
	s_cbranch_execz .LBB185_385
; %bb.378:                              ;   in Loop: Header=BB185_12 Depth=1
	v_mov_b32_e32 v33, v50
	v_cmp_ne_u16_sdwa s2, v15, v38 src0_sel:BYTE_1 src1_sel:DWORD
	v_mov_b32_e32 v13, v33
	v_mov_b32_e32 v14, v34
	s_and_saveexec_b32 s42, s2
	s_cbranch_execz .LBB185_384
; %bb.379:                              ;   in Loop: Header=BB185_12 Depth=1
	v_mov_b32_e32 v13, 0xffff
	v_mov_b32_e32 v25, v50
	s_mov_b32 s43, exec_lo
	v_and_b32_sdwa v17, v13, v15 dst_sel:DWORD dst_unused:UNUSED_PAD src0_sel:DWORD src1_sel:BYTE_1
	v_mov_b32_e32 v13, v25
	v_mov_b32_e32 v14, v26
	v_and_b32_e32 v16, 0x7f, v17
	v_cmpx_ne_u32_e32 0x7f, v16
	s_cbranch_execz .LBB185_383
; %bb.380:                              ;   in Loop: Header=BB185_12 Depth=1
	v_and_b32_e32 v49, 7, v17
	v_lshrrev_b32_e32 v13, 3, v16
	s_mov_b32 s44, exec_lo
	v_cmpx_gt_u32_e32 8, v16
; %bb.381:                              ;   in Loop: Header=BB185_12 Depth=1
	v_ffbh_u32_e32 v13, v49
	v_min_u32_e32 v13, 32, v13
	v_subrev_nc_u32_e32 v14, 28, v13
	v_sub_nc_u32_e32 v13, 29, v13
	v_lshlrev_b64 v[16:17], v14, v[49:50]
	v_and_b32_e32 v49, 7, v16
; %bb.382:                              ;   in Loop: Header=BB185_12 Depth=1
	s_or_b32 exec_lo, exec_lo, s44
	v_lshlrev_b32_e32 v14, 16, v15
	v_lshlrev_b32_e32 v15, 20, v49
	v_lshl_add_u32 v13, v13, 23, 0x3c000000
	v_and_b32_e32 v14, 0x80000000, v14
	v_or3_b32 v14, v15, v14, v13
	v_mov_b32_e32 v13, v50
.LBB185_383:                            ;   in Loop: Header=BB185_12 Depth=1
	s_or_b32 exec_lo, exec_lo, s43
.LBB185_384:                            ;   in Loop: Header=BB185_12 Depth=1
	s_or_b32 exec_lo, exec_lo, s42
.LBB185_385:                            ;   in Loop: Header=BB185_12 Depth=1
	s_or_b32 exec_lo, exec_lo, s41
	global_load_ushort v15, v[69:70], off offset:1292
	v_mov_b32_e32 v17, 0
	v_mov_b32_e32 v18, 0
	s_waitcnt vmcnt(0)
	v_and_b32_e32 v19, 0xffff, v15
	v_cmp_ne_u16_sdwa s2, v15, v50 src0_sel:BYTE_0 src1_sel:DWORD
	v_mov_b32_e32 v15, 0
	v_mov_b32_e32 v16, 0
	s_and_saveexec_b32 s41, s2
	s_cbranch_execz .LBB185_393
; %bb.386:                              ;   in Loop: Header=BB185_12 Depth=1
	v_bfrev_b32_e32 v15, 1
	v_mov_b32_e32 v16, 0
	v_cmp_ne_u16_sdwa s2, v19, v38 src0_sel:BYTE_0 src1_sel:DWORD
	s_and_saveexec_b32 s42, s2
	s_cbranch_execz .LBB185_392
; %bb.387:                              ;   in Loop: Header=BB185_12 Depth=1
	v_mov_b32_e32 v15, 0x7f800001
	v_and_b32_e32 v20, 0x7f, v19
	v_mov_b32_e32 v16, 0
	s_mov_b32 s43, exec_lo
	v_cmpx_ne_u32_e32 0x7f, v20
	s_cbranch_execz .LBB185_391
; %bb.388:                              ;   in Loop: Header=BB185_12 Depth=1
	v_and_b32_e32 v49, 7, v19
	v_lshrrev_b32_e32 v15, 3, v20
	s_mov_b32 s44, exec_lo
	v_cmpx_gt_u32_e32 8, v20
; %bb.389:                              ;   in Loop: Header=BB185_12 Depth=1
	v_ffbh_u32_e32 v15, v49
	v_min_u32_e32 v15, 32, v15
	v_subrev_nc_u32_e32 v16, 28, v15
	v_sub_nc_u32_e32 v15, 29, v15
	v_lshlrev_b64 v[20:21], v16, v[49:50]
	v_and_b32_e32 v49, 7, v20
; %bb.390:                              ;   in Loop: Header=BB185_12 Depth=1
	s_or_b32 exec_lo, exec_lo, s44
	v_lshlrev_b32_e32 v16, 24, v19
	v_lshlrev_b32_e32 v20, 20, v49
	v_lshl_add_u32 v15, v15, 23, 0x3c000000
	v_and_b32_e32 v16, 0x80000000, v16
	v_or3_b32 v49, v20, v16, v15
	v_mov_b32_e32 v15, v49
	v_mov_b32_e32 v16, v50
.LBB185_391:                            ;   in Loop: Header=BB185_12 Depth=1
	s_or_b32 exec_lo, exec_lo, s43
.LBB185_392:                            ;   in Loop: Header=BB185_12 Depth=1
	s_or_b32 exec_lo, exec_lo, s42
.LBB185_393:                            ;   in Loop: Header=BB185_12 Depth=1
	s_or_b32 exec_lo, exec_lo, s41
	v_cmp_ne_u16_sdwa s2, v19, v50 src0_sel:BYTE_1 src1_sel:DWORD
	s_and_saveexec_b32 s41, s2
	s_cbranch_execz .LBB185_401
; %bb.394:                              ;   in Loop: Header=BB185_12 Depth=1
	v_mov_b32_e32 v33, v50
	v_cmp_ne_u16_sdwa s2, v19, v38 src0_sel:BYTE_1 src1_sel:DWORD
	v_mov_b32_e32 v17, v33
	v_mov_b32_e32 v18, v34
	s_and_saveexec_b32 s42, s2
	s_cbranch_execz .LBB185_400
; %bb.395:                              ;   in Loop: Header=BB185_12 Depth=1
	v_mov_b32_e32 v17, 0xffff
	v_mov_b32_e32 v25, v50
	s_mov_b32 s43, exec_lo
	v_and_b32_sdwa v21, v17, v19 dst_sel:DWORD dst_unused:UNUSED_PAD src0_sel:DWORD src1_sel:BYTE_1
	v_mov_b32_e32 v17, v25
	v_mov_b32_e32 v18, v26
	v_and_b32_e32 v20, 0x7f, v21
	v_cmpx_ne_u32_e32 0x7f, v20
	s_cbranch_execz .LBB185_399
; %bb.396:                              ;   in Loop: Header=BB185_12 Depth=1
	v_and_b32_e32 v49, 7, v21
	v_lshrrev_b32_e32 v17, 3, v20
	s_mov_b32 s44, exec_lo
	v_cmpx_gt_u32_e32 8, v20
; %bb.397:                              ;   in Loop: Header=BB185_12 Depth=1
	v_ffbh_u32_e32 v17, v49
	v_min_u32_e32 v17, 32, v17
	v_subrev_nc_u32_e32 v18, 28, v17
	v_sub_nc_u32_e32 v17, 29, v17
	v_lshlrev_b64 v[20:21], v18, v[49:50]
	v_and_b32_e32 v49, 7, v20
; %bb.398:                              ;   in Loop: Header=BB185_12 Depth=1
	s_or_b32 exec_lo, exec_lo, s44
	v_lshlrev_b32_e32 v18, 16, v19
	v_lshlrev_b32_e32 v19, 20, v49
	v_lshl_add_u32 v17, v17, 23, 0x3c000000
	v_and_b32_e32 v18, 0x80000000, v18
	v_or3_b32 v18, v19, v18, v17
	v_mov_b32_e32 v17, v50
.LBB185_399:                            ;   in Loop: Header=BB185_12 Depth=1
	s_or_b32 exec_lo, exec_lo, s43
.LBB185_400:                            ;   in Loop: Header=BB185_12 Depth=1
	s_or_b32 exec_lo, exec_lo, s42
.LBB185_401:                            ;   in Loop: Header=BB185_12 Depth=1
	s_or_b32 exec_lo, exec_lo, s41
	global_load_ushort v19, v[69:70], off offset:1536
	v_mov_b32_e32 v53, 0
	v_mov_b32_e32 v54, 0
	s_waitcnt vmcnt(0)
	v_and_b32_e32 v21, 0xffff, v19
	v_cmp_ne_u16_sdwa s2, v19, v50 src0_sel:BYTE_0 src1_sel:DWORD
	v_mov_b32_e32 v19, 0
	v_mov_b32_e32 v20, 0
	s_and_saveexec_b32 s41, s2
	s_cbranch_execz .LBB185_409
; %bb.402:                              ;   in Loop: Header=BB185_12 Depth=1
	v_bfrev_b32_e32 v19, 1
	v_mov_b32_e32 v20, 0
	v_cmp_ne_u16_sdwa s2, v21, v38 src0_sel:BYTE_0 src1_sel:DWORD
	s_and_saveexec_b32 s42, s2
	s_cbranch_execz .LBB185_408
; %bb.403:                              ;   in Loop: Header=BB185_12 Depth=1
	v_mov_b32_e32 v19, 0x7f800001
	v_and_b32_e32 v22, 0x7f, v21
	v_mov_b32_e32 v20, 0
	s_mov_b32 s43, exec_lo
	v_cmpx_ne_u32_e32 0x7f, v22
	s_cbranch_execz .LBB185_407
; %bb.404:                              ;   in Loop: Header=BB185_12 Depth=1
	v_and_b32_e32 v49, 7, v21
	v_lshrrev_b32_e32 v19, 3, v22
	s_mov_b32 s44, exec_lo
	v_cmpx_gt_u32_e32 8, v22
; %bb.405:                              ;   in Loop: Header=BB185_12 Depth=1
	v_ffbh_u32_e32 v19, v49
	v_min_u32_e32 v19, 32, v19
	v_subrev_nc_u32_e32 v20, 28, v19
	v_sub_nc_u32_e32 v19, 29, v19
	v_lshlrev_b64 v[22:23], v20, v[49:50]
	v_and_b32_e32 v49, 7, v22
; %bb.406:                              ;   in Loop: Header=BB185_12 Depth=1
	s_or_b32 exec_lo, exec_lo, s44
	v_lshlrev_b32_e32 v20, 24, v21
	v_lshlrev_b32_e32 v22, 20, v49
	v_lshl_add_u32 v19, v19, 23, 0x3c000000
	v_and_b32_e32 v20, 0x80000000, v20
	v_or3_b32 v49, v22, v20, v19
	v_mov_b32_e32 v19, v49
	v_mov_b32_e32 v20, v50
.LBB185_407:                            ;   in Loop: Header=BB185_12 Depth=1
	s_or_b32 exec_lo, exec_lo, s43
.LBB185_408:                            ;   in Loop: Header=BB185_12 Depth=1
	s_or_b32 exec_lo, exec_lo, s42
.LBB185_409:                            ;   in Loop: Header=BB185_12 Depth=1
	s_or_b32 exec_lo, exec_lo, s41
	v_cmp_ne_u16_sdwa s2, v21, v50 src0_sel:BYTE_1 src1_sel:DWORD
	s_and_saveexec_b32 s41, s2
	s_cbranch_execz .LBB185_417
; %bb.410:                              ;   in Loop: Header=BB185_12 Depth=1
	v_mov_b32_e32 v33, v50
	v_mov_b32_e32 v54, v34
	v_cmp_ne_u16_sdwa s2, v21, v38 src0_sel:BYTE_1 src1_sel:DWORD
	v_mov_b32_e32 v53, v33
	s_and_saveexec_b32 s42, s2
	s_cbranch_execz .LBB185_416
; %bb.411:                              ;   in Loop: Header=BB185_12 Depth=1
	v_mov_b32_e32 v22, 0xffff
	v_mov_b32_e32 v25, v50
	v_mov_b32_e32 v54, v26
	s_mov_b32 s43, exec_lo
	v_and_b32_sdwa v22, v22, v21 dst_sel:DWORD dst_unused:UNUSED_PAD src0_sel:DWORD src1_sel:BYTE_1
	v_mov_b32_e32 v53, v25
	v_and_b32_e32 v23, 0x7f, v22
	v_cmpx_ne_u32_e32 0x7f, v23
	s_cbranch_execz .LBB185_415
; %bb.412:                              ;   in Loop: Header=BB185_12 Depth=1
	v_and_b32_e32 v49, 7, v22
	v_lshrrev_b32_e32 v22, 3, v23
	s_mov_b32 s44, exec_lo
	v_cmpx_gt_u32_e32 8, v23
; %bb.413:                              ;   in Loop: Header=BB185_12 Depth=1
	v_ffbh_u32_e32 v22, v49
	v_min_u32_e32 v22, 32, v22
	v_subrev_nc_u32_e32 v23, 28, v22
	v_sub_nc_u32_e32 v22, 29, v22
	v_lshlrev_b64 v[23:24], v23, v[49:50]
	v_and_b32_e32 v49, 7, v23
; %bb.414:                              ;   in Loop: Header=BB185_12 Depth=1
	s_or_b32 exec_lo, exec_lo, s44
	v_lshlrev_b32_e32 v21, 16, v21
	v_lshlrev_b32_e32 v23, 20, v49
	v_lshl_add_u32 v22, v22, 23, 0x3c000000
	v_mov_b32_e32 v53, v50
	v_and_b32_e32 v21, 0x80000000, v21
	v_or3_b32 v54, v23, v21, v22
.LBB185_415:                            ;   in Loop: Header=BB185_12 Depth=1
	s_or_b32 exec_lo, exec_lo, s43
.LBB185_416:                            ;   in Loop: Header=BB185_12 Depth=1
	s_or_b32 exec_lo, exec_lo, s42
.LBB185_417:                            ;   in Loop: Header=BB185_12 Depth=1
	s_or_b32 exec_lo, exec_lo, s41
	global_load_ushort v21, v[69:70], off offset:1540
	v_mov_b32_e32 v23, 0
	v_mov_b32_e32 v24, 0
	s_waitcnt vmcnt(0)
	v_and_b32_e32 v27, 0xffff, v21
	v_cmp_ne_u16_sdwa s2, v21, v50 src0_sel:BYTE_0 src1_sel:DWORD
	v_mov_b32_e32 v21, 0
	v_mov_b32_e32 v22, 0
	s_and_saveexec_b32 s41, s2
	s_cbranch_execz .LBB185_425
; %bb.418:                              ;   in Loop: Header=BB185_12 Depth=1
	v_bfrev_b32_e32 v21, 1
	v_mov_b32_e32 v22, 0
	v_cmp_ne_u16_sdwa s2, v27, v38 src0_sel:BYTE_0 src1_sel:DWORD
	s_and_saveexec_b32 s42, s2
	s_cbranch_execz .LBB185_424
; %bb.419:                              ;   in Loop: Header=BB185_12 Depth=1
	v_mov_b32_e32 v21, 0x7f800001
	v_and_b32_e32 v25, 0x7f, v27
	v_mov_b32_e32 v22, 0
	s_mov_b32 s43, exec_lo
	v_cmpx_ne_u32_e32 0x7f, v25
	s_cbranch_execz .LBB185_423
; %bb.420:                              ;   in Loop: Header=BB185_12 Depth=1
	v_and_b32_e32 v49, 7, v27
	v_lshrrev_b32_e32 v21, 3, v25
	s_mov_b32 s44, exec_lo
	v_cmpx_gt_u32_e32 8, v25
; %bb.421:                              ;   in Loop: Header=BB185_12 Depth=1
	v_ffbh_u32_e32 v21, v49
	v_min_u32_e32 v21, 32, v21
	v_subrev_nc_u32_e32 v22, 28, v21
	v_sub_nc_u32_e32 v21, 29, v21
	v_lshlrev_b64 v[28:29], v22, v[49:50]
	v_and_b32_e32 v49, 7, v28
; %bb.422:                              ;   in Loop: Header=BB185_12 Depth=1
	s_or_b32 exec_lo, exec_lo, s44
	v_lshlrev_b32_e32 v22, 24, v27
	v_lshlrev_b32_e32 v25, 20, v49
	v_lshl_add_u32 v21, v21, 23, 0x3c000000
	v_and_b32_e32 v22, 0x80000000, v22
	v_or3_b32 v49, v25, v22, v21
	v_mov_b32_e32 v21, v49
	v_mov_b32_e32 v22, v50
.LBB185_423:                            ;   in Loop: Header=BB185_12 Depth=1
	s_or_b32 exec_lo, exec_lo, s43
.LBB185_424:                            ;   in Loop: Header=BB185_12 Depth=1
	s_or_b32 exec_lo, exec_lo, s42
.LBB185_425:                            ;   in Loop: Header=BB185_12 Depth=1
	s_or_b32 exec_lo, exec_lo, s41
	v_cmp_ne_u16_sdwa s2, v27, v50 src0_sel:BYTE_1 src1_sel:DWORD
	s_and_saveexec_b32 s41, s2
	s_cbranch_execz .LBB185_433
; %bb.426:                              ;   in Loop: Header=BB185_12 Depth=1
	v_mov_b32_e32 v33, v50
	v_cmp_ne_u16_sdwa s2, v27, v38 src0_sel:BYTE_1 src1_sel:DWORD
	v_mov_b32_e32 v23, v33
	v_mov_b32_e32 v24, v34
	s_and_saveexec_b32 s42, s2
	s_cbranch_execz .LBB185_432
; %bb.427:                              ;   in Loop: Header=BB185_12 Depth=1
	v_mov_b32_e32 v23, 0xffff
	v_mov_b32_e32 v25, v50
	s_mov_b32 s43, exec_lo
	v_and_b32_sdwa v29, v23, v27 dst_sel:DWORD dst_unused:UNUSED_PAD src0_sel:DWORD src1_sel:BYTE_1
	v_mov_b32_e32 v23, v25
	v_mov_b32_e32 v24, v26
	v_and_b32_e32 v28, 0x7f, v29
	v_cmpx_ne_u32_e32 0x7f, v28
	s_cbranch_execz .LBB185_431
; %bb.428:                              ;   in Loop: Header=BB185_12 Depth=1
	v_and_b32_e32 v49, 7, v29
	v_lshrrev_b32_e32 v23, 3, v28
	s_mov_b32 s44, exec_lo
	v_cmpx_gt_u32_e32 8, v28
; %bb.429:                              ;   in Loop: Header=BB185_12 Depth=1
	v_ffbh_u32_e32 v23, v49
	v_min_u32_e32 v23, 32, v23
	v_subrev_nc_u32_e32 v24, 28, v23
	v_sub_nc_u32_e32 v23, 29, v23
	v_lshlrev_b64 v[24:25], v24, v[49:50]
	v_and_b32_e32 v49, 7, v24
; %bb.430:                              ;   in Loop: Header=BB185_12 Depth=1
	s_or_b32 exec_lo, exec_lo, s44
	v_lshlrev_b32_e32 v24, 16, v27
	v_lshlrev_b32_e32 v25, 20, v49
	v_lshl_add_u32 v23, v23, 23, 0x3c000000
	v_and_b32_e32 v24, 0x80000000, v24
	v_or3_b32 v24, v25, v24, v23
	v_mov_b32_e32 v23, v50
.LBB185_431:                            ;   in Loop: Header=BB185_12 Depth=1
	s_or_b32 exec_lo, exec_lo, s43
.LBB185_432:                            ;   in Loop: Header=BB185_12 Depth=1
	s_or_b32 exec_lo, exec_lo, s42
.LBB185_433:                            ;   in Loop: Header=BB185_12 Depth=1
	s_or_b32 exec_lo, exec_lo, s41
	global_load_ushort v25, v[69:70], off offset:1544
	v_mov_b32_e32 v75, 0
	v_mov_b32_e32 v27, 0
	;; [unrolled: 1-line block ×4, first 2 shown]
	s_waitcnt vmcnt(0)
	v_and_b32_e32 v29, 0xffff, v25
	v_cmp_ne_u16_sdwa s2, v25, v50 src0_sel:BYTE_0 src1_sel:DWORD
	s_and_saveexec_b32 s41, s2
	s_cbranch_execz .LBB185_441
; %bb.434:                              ;   in Loop: Header=BB185_12 Depth=1
	v_bfrev_b32_e32 v27, 1
	v_mov_b32_e32 v28, 0
	v_cmp_ne_u16_sdwa s2, v29, v38 src0_sel:BYTE_0 src1_sel:DWORD
	s_and_saveexec_b32 s42, s2
	s_cbranch_execz .LBB185_440
; %bb.435:                              ;   in Loop: Header=BB185_12 Depth=1
	v_mov_b32_e32 v27, 0x7f800001
	v_and_b32_e32 v30, 0x7f, v29
	v_mov_b32_e32 v28, 0
	s_mov_b32 s43, exec_lo
	v_cmpx_ne_u32_e32 0x7f, v30
	s_cbranch_execz .LBB185_439
; %bb.436:                              ;   in Loop: Header=BB185_12 Depth=1
	v_and_b32_e32 v49, 7, v29
	v_lshrrev_b32_e32 v25, 3, v30
	s_mov_b32 s44, exec_lo
	v_cmpx_gt_u32_e32 8, v30
; %bb.437:                              ;   in Loop: Header=BB185_12 Depth=1
	v_ffbh_u32_e32 v25, v49
	v_min_u32_e32 v25, 32, v25
	v_subrev_nc_u32_e32 v27, 28, v25
	v_sub_nc_u32_e32 v25, 29, v25
	v_lshlrev_b64 v[27:28], v27, v[49:50]
	v_and_b32_e32 v49, 7, v27
; %bb.438:                              ;   in Loop: Header=BB185_12 Depth=1
	s_or_b32 exec_lo, exec_lo, s44
	v_lshlrev_b32_e32 v27, 24, v29
	v_lshlrev_b32_e32 v28, 20, v49
	v_lshl_add_u32 v25, v25, 23, 0x3c000000
	v_and_b32_e32 v27, 0x80000000, v27
	v_or3_b32 v49, v28, v27, v25
	v_mov_b32_e32 v27, v49
	v_mov_b32_e32 v28, v50
.LBB185_439:                            ;   in Loop: Header=BB185_12 Depth=1
	s_or_b32 exec_lo, exec_lo, s43
.LBB185_440:                            ;   in Loop: Header=BB185_12 Depth=1
	s_or_b32 exec_lo, exec_lo, s42
.LBB185_441:                            ;   in Loop: Header=BB185_12 Depth=1
	s_or_b32 exec_lo, exec_lo, s41
	v_cmp_ne_u16_sdwa s2, v29, v50 src0_sel:BYTE_1 src1_sel:DWORD
	s_and_saveexec_b32 s41, s2
	s_cbranch_execz .LBB185_449
; %bb.442:                              ;   in Loop: Header=BB185_12 Depth=1
	v_mov_b32_e32 v33, v50
	v_mov_b32_e32 v76, v34
	v_cmp_ne_u16_sdwa s2, v29, v38 src0_sel:BYTE_1 src1_sel:DWORD
	v_mov_b32_e32 v75, v33
	s_and_saveexec_b32 s42, s2
	s_cbranch_execz .LBB185_448
; %bb.443:                              ;   in Loop: Header=BB185_12 Depth=1
	v_mov_b32_e32 v25, 0xffff
	s_mov_b32 s43, exec_lo
	v_and_b32_sdwa v31, v25, v29 dst_sel:DWORD dst_unused:UNUSED_PAD src0_sel:DWORD src1_sel:BYTE_1
	v_mov_b32_e32 v25, v50
	v_mov_b32_e32 v76, v26
	v_and_b32_e32 v30, 0x7f, v31
	v_mov_b32_e32 v75, v25
	v_cmpx_ne_u32_e32 0x7f, v30
	s_cbranch_execz .LBB185_447
; %bb.444:                              ;   in Loop: Header=BB185_12 Depth=1
	v_and_b32_e32 v49, 7, v31
	v_lshrrev_b32_e32 v25, 3, v30
	s_mov_b32 s44, exec_lo
	v_cmpx_gt_u32_e32 8, v30
; %bb.445:                              ;   in Loop: Header=BB185_12 Depth=1
	v_ffbh_u32_e32 v25, v49
	v_min_u32_e32 v25, 32, v25
	v_subrev_nc_u32_e32 v30, 28, v25
	v_sub_nc_u32_e32 v25, 29, v25
	v_lshlrev_b64 v[30:31], v30, v[49:50]
	v_and_b32_e32 v49, 7, v30
; %bb.446:                              ;   in Loop: Header=BB185_12 Depth=1
	s_or_b32 exec_lo, exec_lo, s44
	v_lshlrev_b32_e32 v29, 16, v29
	v_lshlrev_b32_e32 v30, 20, v49
	v_lshl_add_u32 v25, v25, 23, 0x3c000000
	v_mov_b32_e32 v75, v50
	v_and_b32_e32 v29, 0x80000000, v29
	v_or3_b32 v76, v30, v29, v25
.LBB185_447:                            ;   in Loop: Header=BB185_12 Depth=1
	s_or_b32 exec_lo, exec_lo, s43
.LBB185_448:                            ;   in Loop: Header=BB185_12 Depth=1
	s_or_b32 exec_lo, exec_lo, s42
.LBB185_449:                            ;   in Loop: Header=BB185_12 Depth=1
	s_or_b32 exec_lo, exec_lo, s41
	global_load_ushort v25, v[69:70], off offset:1548
	v_mov_b32_e32 v51, 0
	v_mov_b32_e32 v31, 0
	;; [unrolled: 1-line block ×4, first 2 shown]
	s_waitcnt vmcnt(0)
	v_and_b32_e32 v29, 0xffff, v25
	v_cmp_ne_u16_sdwa s2, v25, v50 src0_sel:BYTE_0 src1_sel:DWORD
	s_and_saveexec_b32 s41, s2
	s_cbranch_execz .LBB185_457
; %bb.450:                              ;   in Loop: Header=BB185_12 Depth=1
	v_bfrev_b32_e32 v31, 1
	v_mov_b32_e32 v32, 0
	v_cmp_ne_u16_sdwa s2, v29, v38 src0_sel:BYTE_0 src1_sel:DWORD
	s_and_saveexec_b32 s42, s2
	s_cbranch_execz .LBB185_456
; %bb.451:                              ;   in Loop: Header=BB185_12 Depth=1
	v_mov_b32_e32 v31, 0x7f800001
	v_and_b32_e32 v30, 0x7f, v29
	v_mov_b32_e32 v32, 0
	s_mov_b32 s43, exec_lo
	v_cmpx_ne_u32_e32 0x7f, v30
	s_cbranch_execz .LBB185_455
; %bb.452:                              ;   in Loop: Header=BB185_12 Depth=1
	v_and_b32_e32 v49, 7, v29
	v_lshrrev_b32_e32 v25, 3, v30
	s_mov_b32 s44, exec_lo
	v_cmpx_gt_u32_e32 8, v30
; %bb.453:                              ;   in Loop: Header=BB185_12 Depth=1
	v_ffbh_u32_e32 v25, v49
	v_min_u32_e32 v25, 32, v25
	v_subrev_nc_u32_e32 v30, 28, v25
	v_sub_nc_u32_e32 v25, 29, v25
	v_lshlrev_b64 v[30:31], v30, v[49:50]
	v_and_b32_e32 v49, 7, v30
; %bb.454:                              ;   in Loop: Header=BB185_12 Depth=1
	s_or_b32 exec_lo, exec_lo, s44
	v_lshlrev_b32_e32 v30, 24, v29
	v_lshlrev_b32_e32 v31, 20, v49
	v_lshl_add_u32 v25, v25, 23, 0x3c000000
	v_and_b32_e32 v30, 0x80000000, v30
	v_or3_b32 v49, v31, v30, v25
	v_mov_b32_e32 v31, v49
	v_mov_b32_e32 v32, v50
.LBB185_455:                            ;   in Loop: Header=BB185_12 Depth=1
	s_or_b32 exec_lo, exec_lo, s43
.LBB185_456:                            ;   in Loop: Header=BB185_12 Depth=1
	s_or_b32 exec_lo, exec_lo, s42
.LBB185_457:                            ;   in Loop: Header=BB185_12 Depth=1
	s_or_b32 exec_lo, exec_lo, s41
	v_cmp_ne_u16_sdwa s2, v29, v50 src0_sel:BYTE_1 src1_sel:DWORD
	s_and_saveexec_b32 s41, s2
	s_cbranch_execz .LBB185_465
; %bb.458:                              ;   in Loop: Header=BB185_12 Depth=1
	v_mov_b32_e32 v33, v50
	v_mov_b32_e32 v52, v34
	v_cmp_ne_u16_sdwa s2, v29, v38 src0_sel:BYTE_1 src1_sel:DWORD
	v_mov_b32_e32 v51, v33
	s_and_saveexec_b32 s42, s2
	s_cbranch_execz .LBB185_464
; %bb.459:                              ;   in Loop: Header=BB185_12 Depth=1
	v_mov_b32_e32 v25, 0xffff
	s_mov_b32 s43, exec_lo
	v_and_b32_sdwa v33, v25, v29 dst_sel:DWORD dst_unused:UNUSED_PAD src0_sel:DWORD src1_sel:BYTE_1
	v_mov_b32_e32 v25, v50
	v_mov_b32_e32 v52, v26
	v_and_b32_e32 v30, 0x7f, v33
	v_mov_b32_e32 v51, v25
	v_cmpx_ne_u32_e32 0x7f, v30
	s_cbranch_execz .LBB185_463
; %bb.460:                              ;   in Loop: Header=BB185_12 Depth=1
	v_and_b32_e32 v49, 7, v33
	v_lshrrev_b32_e32 v25, 3, v30
	s_mov_b32 s44, exec_lo
	v_cmpx_gt_u32_e32 8, v30
; %bb.461:                              ;   in Loop: Header=BB185_12 Depth=1
	v_ffbh_u32_e32 v25, v49
	v_min_u32_e32 v25, 32, v25
	v_subrev_nc_u32_e32 v30, 28, v25
	v_sub_nc_u32_e32 v25, 29, v25
	v_lshlrev_b64 v[35:36], v30, v[49:50]
	v_and_b32_e32 v49, 7, v35
; %bb.462:                              ;   in Loop: Header=BB185_12 Depth=1
	s_or_b32 exec_lo, exec_lo, s44
	v_lshlrev_b32_e32 v29, 16, v29
	v_lshlrev_b32_e32 v30, 20, v49
	v_lshl_add_u32 v25, v25, 23, 0x3c000000
	v_mov_b32_e32 v51, v50
	v_and_b32_e32 v29, 0x80000000, v29
	v_or3_b32 v52, v30, v29, v25
.LBB185_463:                            ;   in Loop: Header=BB185_12 Depth=1
	s_or_b32 exec_lo, exec_lo, s43
.LBB185_464:                            ;   in Loop: Header=BB185_12 Depth=1
	s_or_b32 exec_lo, exec_lo, s42
.LBB185_465:                            ;   in Loop: Header=BB185_12 Depth=1
	s_or_b32 exec_lo, exec_lo, s41
	global_load_ushort v25, v[69:70], off offset:1792
	v_mov_b32_e32 v29, 0
	v_mov_b32_e32 v35, 0
	;; [unrolled: 1-line block ×4, first 2 shown]
	s_waitcnt vmcnt(0)
	v_and_b32_e32 v73, 0xffff, v25
	v_cmp_ne_u16_sdwa s2, v25, v50 src0_sel:BYTE_0 src1_sel:DWORD
	s_and_saveexec_b32 s41, s2
	s_cbranch_execz .LBB185_473
; %bb.466:                              ;   in Loop: Header=BB185_12 Depth=1
	v_bfrev_b32_e32 v35, 1
	v_mov_b32_e32 v36, 0
	v_cmp_ne_u16_sdwa s2, v73, v38 src0_sel:BYTE_0 src1_sel:DWORD
	s_and_saveexec_b32 s42, s2
	s_cbranch_execz .LBB185_472
; %bb.467:                              ;   in Loop: Header=BB185_12 Depth=1
	v_mov_b32_e32 v35, 0x7f800001
	v_and_b32_e32 v33, 0x7f, v73
	v_mov_b32_e32 v36, 0
	s_mov_b32 s43, exec_lo
	v_cmpx_ne_u32_e32 0x7f, v33
	s_cbranch_execz .LBB185_471
; %bb.468:                              ;   in Loop: Header=BB185_12 Depth=1
	v_and_b32_e32 v49, 7, v73
	v_lshrrev_b32_e32 v25, 3, v33
	s_mov_b32 s44, exec_lo
	v_cmpx_gt_u32_e32 8, v33
; %bb.469:                              ;   in Loop: Header=BB185_12 Depth=1
	v_ffbh_u32_e32 v25, v49
	v_min_u32_e32 v25, 32, v25
	v_subrev_nc_u32_e32 v33, 28, v25
	v_sub_nc_u32_e32 v25, 29, v25
	v_lshlrev_b64 v[35:36], v33, v[49:50]
	v_and_b32_e32 v49, 7, v35
; %bb.470:                              ;   in Loop: Header=BB185_12 Depth=1
	s_or_b32 exec_lo, exec_lo, s44
	v_lshlrev_b32_e32 v33, 24, v73
	v_lshlrev_b32_e32 v35, 20, v49
	v_lshl_add_u32 v25, v25, 23, 0x3c000000
	v_and_b32_e32 v33, 0x80000000, v33
	v_or3_b32 v49, v35, v33, v25
	v_mov_b32_e32 v35, v49
	v_mov_b32_e32 v36, v50
.LBB185_471:                            ;   in Loop: Header=BB185_12 Depth=1
	s_or_b32 exec_lo, exec_lo, s43
.LBB185_472:                            ;   in Loop: Header=BB185_12 Depth=1
	s_or_b32 exec_lo, exec_lo, s42
.LBB185_473:                            ;   in Loop: Header=BB185_12 Depth=1
	s_or_b32 exec_lo, exec_lo, s41
	v_cmp_ne_u16_sdwa s2, v73, v50 src0_sel:BYTE_1 src1_sel:DWORD
	s_and_saveexec_b32 s41, s2
	s_cbranch_execz .LBB185_481
; %bb.474:                              ;   in Loop: Header=BB185_12 Depth=1
	v_mov_b32_e32 v33, v50
	v_cmp_ne_u16_sdwa s2, v73, v38 src0_sel:BYTE_1 src1_sel:DWORD
	v_mov_b32_e32 v29, v33
	v_mov_b32_e32 v30, v34
	s_and_saveexec_b32 s42, s2
	s_cbranch_execz .LBB185_480
; %bb.475:                              ;   in Loop: Header=BB185_12 Depth=1
	v_mov_b32_e32 v25, 0xffff
	s_mov_b32 s43, exec_lo
	v_and_b32_sdwa v49, v25, v73 dst_sel:DWORD dst_unused:UNUSED_PAD src0_sel:DWORD src1_sel:BYTE_1
	v_mov_b32_e32 v25, v50
	v_mov_b32_e32 v30, v26
	v_and_b32_e32 v33, 0x7f, v49
	v_mov_b32_e32 v29, v25
	v_cmpx_ne_u32_e32 0x7f, v33
	s_cbranch_execz .LBB185_479
; %bb.476:                              ;   in Loop: Header=BB185_12 Depth=1
	v_and_b32_e32 v49, 7, v49
	v_lshrrev_b32_e32 v25, 3, v33
	s_mov_b32 s44, exec_lo
	v_cmpx_gt_u32_e32 8, v33
; %bb.477:                              ;   in Loop: Header=BB185_12 Depth=1
	v_ffbh_u32_e32 v25, v49
	v_min_u32_e32 v25, 32, v25
	v_subrev_nc_u32_e32 v29, 28, v25
	v_sub_nc_u32_e32 v25, 29, v25
	v_lshlrev_b64 v[29:30], v29, v[49:50]
	v_and_b32_e32 v49, 7, v29
; %bb.478:                              ;   in Loop: Header=BB185_12 Depth=1
	s_or_b32 exec_lo, exec_lo, s44
	v_lshlrev_b32_e32 v29, 16, v73
	v_lshlrev_b32_e32 v30, 20, v49
	v_lshl_add_u32 v25, v25, 23, 0x3c000000
	v_and_b32_e32 v29, 0x80000000, v29
	v_or3_b32 v30, v30, v29, v25
	v_mov_b32_e32 v29, v50
.LBB185_479:                            ;   in Loop: Header=BB185_12 Depth=1
	s_or_b32 exec_lo, exec_lo, s43
.LBB185_480:                            ;   in Loop: Header=BB185_12 Depth=1
	s_or_b32 exec_lo, exec_lo, s42
.LBB185_481:                            ;   in Loop: Header=BB185_12 Depth=1
	s_or_b32 exec_lo, exec_lo, s41
	global_load_ushort v25, v[69:70], off offset:1796
	v_mov_b32_e32 v73, 0
	v_mov_b32_e32 v69, 0
	;; [unrolled: 1-line block ×4, first 2 shown]
	s_waitcnt vmcnt(0)
	v_and_b32_e32 v79, 0xffff, v25
	v_cmp_ne_u16_sdwa s2, v25, v50 src0_sel:BYTE_0 src1_sel:DWORD
	s_and_saveexec_b32 s41, s2
	s_cbranch_execz .LBB185_489
; %bb.482:                              ;   in Loop: Header=BB185_12 Depth=1
	v_bfrev_b32_e32 v69, 1
	v_mov_b32_e32 v70, 0
	v_cmp_ne_u16_sdwa s2, v79, v38 src0_sel:BYTE_0 src1_sel:DWORD
	s_and_saveexec_b32 s42, s2
	s_cbranch_execz .LBB185_488
; %bb.483:                              ;   in Loop: Header=BB185_12 Depth=1
	v_mov_b32_e32 v69, 0x7f800001
	v_and_b32_e32 v33, 0x7f, v79
	v_mov_b32_e32 v70, 0
	s_mov_b32 s43, exec_lo
	v_cmpx_ne_u32_e32 0x7f, v33
	s_cbranch_execz .LBB185_487
; %bb.484:                              ;   in Loop: Header=BB185_12 Depth=1
	v_and_b32_e32 v49, 7, v79
	v_lshrrev_b32_e32 v25, 3, v33
	s_mov_b32 s44, exec_lo
	v_cmpx_gt_u32_e32 8, v33
; %bb.485:                              ;   in Loop: Header=BB185_12 Depth=1
	v_ffbh_u32_e32 v25, v49
	v_min_u32_e32 v25, 32, v25
	v_subrev_nc_u32_e32 v33, 28, v25
	v_sub_nc_u32_e32 v25, 29, v25
	v_lshlrev_b64 v[69:70], v33, v[49:50]
	v_and_b32_e32 v49, 7, v69
; %bb.486:                              ;   in Loop: Header=BB185_12 Depth=1
	s_or_b32 exec_lo, exec_lo, s44
	v_lshlrev_b32_e32 v33, 24, v79
	v_lshlrev_b32_e32 v49, 20, v49
	v_lshl_add_u32 v25, v25, 23, 0x3c000000
	v_and_b32_e32 v33, 0x80000000, v33
	v_or3_b32 v49, v49, v33, v25
	v_mov_b32_e32 v70, v50
	v_mov_b32_e32 v69, v49
.LBB185_487:                            ;   in Loop: Header=BB185_12 Depth=1
	s_or_b32 exec_lo, exec_lo, s43
.LBB185_488:                            ;   in Loop: Header=BB185_12 Depth=1
	s_or_b32 exec_lo, exec_lo, s42
.LBB185_489:                            ;   in Loop: Header=BB185_12 Depth=1
	s_or_b32 exec_lo, exec_lo, s41
	v_cmp_ne_u16_sdwa s2, v79, v50 src0_sel:BYTE_1 src1_sel:DWORD
	s_and_saveexec_b32 s41, s2
	s_cbranch_execz .LBB185_497
; %bb.490:                              ;   in Loop: Header=BB185_12 Depth=1
	v_mov_b32_e32 v33, v50
	v_mov_b32_e32 v74, v34
	v_cmp_ne_u16_sdwa s2, v79, v38 src0_sel:BYTE_1 src1_sel:DWORD
	v_mov_b32_e32 v73, v33
	s_and_saveexec_b32 s42, s2
	s_cbranch_execz .LBB185_496
; %bb.491:                              ;   in Loop: Header=BB185_12 Depth=1
	v_mov_b32_e32 v25, 0xffff
	s_mov_b32 s43, exec_lo
	v_and_b32_sdwa v49, v25, v79 dst_sel:DWORD dst_unused:UNUSED_PAD src0_sel:DWORD src1_sel:BYTE_1
	v_mov_b32_e32 v25, v50
	v_mov_b32_e32 v74, v26
	v_and_b32_e32 v33, 0x7f, v49
	v_mov_b32_e32 v73, v25
	v_cmpx_ne_u32_e32 0x7f, v33
	s_cbranch_execz .LBB185_495
; %bb.492:                              ;   in Loop: Header=BB185_12 Depth=1
	v_and_b32_e32 v49, 7, v49
	v_lshrrev_b32_e32 v25, 3, v33
	s_mov_b32 s44, exec_lo
	v_cmpx_gt_u32_e32 8, v33
; %bb.493:                              ;   in Loop: Header=BB185_12 Depth=1
	v_ffbh_u32_e32 v25, v49
	v_min_u32_e32 v25, 32, v25
	v_subrev_nc_u32_e32 v33, 28, v25
	v_sub_nc_u32_e32 v25, 29, v25
	v_lshlrev_b64 v[73:74], v33, v[49:50]
	v_and_b32_e32 v49, 7, v73
; %bb.494:                              ;   in Loop: Header=BB185_12 Depth=1
	s_or_b32 exec_lo, exec_lo, s44
	v_lshlrev_b32_e32 v33, 16, v79
	v_lshlrev_b32_e32 v49, 20, v49
	v_lshl_add_u32 v25, v25, 23, 0x3c000000
	v_mov_b32_e32 v73, v50
	v_and_b32_e32 v33, 0x80000000, v33
	v_or3_b32 v74, v49, v33, v25
.LBB185_495:                            ;   in Loop: Header=BB185_12 Depth=1
	s_or_b32 exec_lo, exec_lo, s43
.LBB185_496:                            ;   in Loop: Header=BB185_12 Depth=1
	s_or_b32 exec_lo, exec_lo, s42
.LBB185_497:                            ;   in Loop: Header=BB185_12 Depth=1
	s_or_b32 exec_lo, exec_lo, s41
	v_or_b32_e32 v12, v14, v12
	v_or_b32_e32 v13, v13, v11
	;; [unrolled: 1-line block ×5, first 2 shown]
	v_mul_f32_e32 v11, s40, v12
	v_mul_f32_e32 v12, s40, v13
	v_or_b32_e32 v9, v9, v7
	v_or_b32_e32 v4, v6, v4
	;; [unrolled: 1-line block ×4, first 2 shown]
	v_mul_f32_e32 v60, s40, v57
	v_or_b32_e32 v57, v97, v95
	v_mul_f32_e32 v7, s40, v8
	v_mul_f32_e32 v8, s40, v9
	;; [unrolled: 1-line block ×4, first 2 shown]
	v_or_b32_e32 v2, v2, v72
	v_or_b32_e32 v5, v1, v71
	;; [unrolled: 1-line block ×3, first 2 shown]
	v_mul_f32_e32 v62, s40, v57
	v_or_b32_e32 v57, v93, v91
	v_mul_f32_e32 v1, s40, v2
	v_mul_f32_e32 v2, s40, v5
	v_or_b32_e32 v5, v68, v64
	v_or_b32_e32 v20, v54, v20
	v_mul_f32_e32 v64, s40, v57
	v_or_b32_e32 v57, v89, v87
	v_or_b32_e32 v54, v102, v100
	;; [unrolled: 1-line block ×5, first 2 shown]
	v_mul_f32_e32 v66, s40, v57
	v_or_b32_e32 v57, v85, v83
	v_mul_f32_e32 v59, s40, v54
	v_or_b32_e32 v54, v98, v96
	v_or_b32_e32 v25, v30, v36
	;; [unrolled: 1-line block ×3, first 2 shown]
	v_mul_f32_e32 v68, s40, v57
	s_clause 0x1
	buffer_load_dword v57, off, s[48:51], 0 offset:48
	buffer_load_dword v58, off, s[48:51], 0 offset:52
	v_mul_f32_e32 v61, s40, v54
	v_or_b32_e32 v54, v94, v92
	v_or_b32_e32 v32, v75, v27
	;; [unrolled: 1-line block ×5, first 2 shown]
	v_mul_f32_e32 v63, s40, v54
	v_or_b32_e32 v54, v90, v88
	v_mul_f32_e32 v21, s40, v22
	v_mul_f32_e32 v22, s40, v23
	v_or_b32_e32 v23, v53, v19
	v_or_b32_e32 v53, v105, v103
	v_mul_f32_e32 v65, s40, v54
	v_or_b32_e32 v54, v86, v84
	v_or_b32_e32 v31, v51, v31
	;; [unrolled: 1-line block ×4, first 2 shown]
	v_mul_f32_e32 v52, s40, v52
	v_mul_f32_e32 v67, s40, v54
	;; [unrolled: 1-line block ×5, first 2 shown]
	v_or_b32_e32 v29, v29, v35
	v_or_b32_e32 v35, v114, v112
	;; [unrolled: 1-line block ×3, first 2 shown]
	v_mul_f32_e32 v27, s40, v28
	v_mul_f32_e32 v28, s40, v32
	v_or_b32_e32 v32, v118, v116
	v_or_b32_e32 v33, v117, v115
	v_mul_f32_e32 v35, s40, v35
	v_mul_f32_e32 v36, s40, v36
	;; [unrolled: 1-line block ×6, first 2 shown]
	v_or_b32_e32 v16, v18, v16
	v_or_b32_e32 v17, v17, v15
	;; [unrolled: 1-line block ×5, first 2 shown]
	v_mul_f32_e32 v15, s40, v16
	v_mul_f32_e32 v16, s40, v17
	v_or_b32_e32 v17, v126, v124
	v_mul_f32_e32 v23, s40, v23
	v_mul_f32_e32 v24, s40, v24
	;; [unrolled: 1-line block ×14, first 2 shown]
	s_waitcnt vmcnt(1)
	v_or_b32_e32 v57, v81, v57
	s_waitcnt vmcnt(0)
	v_or_b32_e32 v54, v82, v58
	v_mul_f32_e32 v72, s40, v57
	s_clause 0x1
	buffer_load_dword v57, off, s[48:51], 0 offset:40
	buffer_load_dword v58, off, s[48:51], 0 offset:44
	v_mul_f32_e32 v71, s40, v54
	s_waitcnt vmcnt(1)
	v_or_b32_e32 v57, v77, v57
	s_waitcnt vmcnt(0)
	v_or_b32_e32 v54, v78, v58
	v_mul_f32_e32 v76, s40, v57
	s_clause 0x3
	buffer_load_dword v57, off, s[48:51], 0 offset:24
	buffer_load_dword v58, off, s[48:51], 0 offset:28
	buffer_load_dword v77, off, s[48:51], 0 offset:32
	buffer_load_dword v78, off, s[48:51], 0 offset:36
	v_mul_f32_e32 v75, s40, v54
	s_waitcnt vmcnt(1)
	v_or_b32_e32 v57, v77, v57
	s_waitcnt vmcnt(0)
	v_or_b32_e32 v54, v78, v58
	v_mul_f32_e32 v78, s40, v57
	s_clause 0x3
	buffer_load_dword v57, off, s[48:51], 0 offset:8
	buffer_load_dword v58, off, s[48:51], 0 offset:12
	buffer_load_dword v79, off, s[48:51], 0 offset:16
	buffer_load_dword v80, off, s[48:51], 0 offset:20
	v_mul_f32_e32 v77, s40, v54
	s_waitcnt vmcnt(1)
	v_or_b32_e32 v57, v79, v57
	s_waitcnt vmcnt(0)
	v_or_b32_e32 v54, v80, v58
	v_mul_f32_e32 v80, s40, v57
	s_clause 0x3
	buffer_load_dword v57, off, s[48:51], 0 offset:56
	buffer_load_dword v58, off, s[48:51], 0 offset:60
	buffer_load_dword v81, off, s[48:51], 0
	buffer_load_dword v82, off, s[48:51], 0 offset:4
	v_mul_f32_e32 v79, s40, v54
	v_mul_f32_e32 v47, v47, v80
	s_waitcnt vmcnt(1)
	v_or_b32_e32 v57, v81, v57
	s_waitcnt vmcnt(0)
	v_or_b32_e32 v54, v82, v58
	v_or_b32_e32 v58, v73, v69
	v_mul_f32_e32 v82, s40, v57
	v_mul_f32_e32 v81, s40, v54
	v_mbcnt_lo_u32_b32 v57, -1, 0
	v_mul_f32_e32 v58, s40, v58
	v_fmac_f32_e32 v47, v45, v82
	v_mul_f32_e32 v45, v48, v79
	v_xor_b32_e32 v54, 1, v57
	v_fmac_f32_e32 v47, v41, v78
	v_fmac_f32_e32 v45, v46, v81
	v_cmp_gt_i32_e64 s2, 32, v54
	v_fmac_f32_e32 v47, v43, v76
	v_fmac_f32_e32 v45, v42, v77
	v_cndmask_b32_e64 v54, v57, v54, s2
	v_or_b32_e32 v57, v74, v70
	v_fmac_f32_e32 v45, v44, v75
	s_clause 0x3
	buffer_load_dword v41, off, s[48:51], 0 offset:220
	buffer_load_dword v42, off, s[48:51], 0 offset:224
	;; [unrolled: 1-line block ×4, first 2 shown]
	v_mul_f32_e32 v57, s40, v57
	v_lshlrev_b32_e32 v54, 2, v54
	s_waitcnt vmcnt(3)
	v_fmac_f32_e32 v47, v41, v72
	s_waitcnt vmcnt(2)
	v_fmac_f32_e32 v45, v42, v71
	s_waitcnt vmcnt(1)
	v_fmac_f32_e32 v47, v43, v68
	s_waitcnt vmcnt(0)
	v_fmac_f32_e32 v45, v44, v67
	s_clause 0x3
	buffer_load_dword v41, off, s[48:51], 0 offset:204
	buffer_load_dword v42, off, s[48:51], 0 offset:208
	buffer_load_dword v43, off, s[48:51], 0 offset:212
	buffer_load_dword v44, off, s[48:51], 0 offset:216
	s_waitcnt vmcnt(3)
	v_fmac_f32_e32 v47, v41, v66
	s_waitcnt vmcnt(2)
	v_fmac_f32_e32 v45, v42, v65
	s_waitcnt vmcnt(1)
	v_fmac_f32_e32 v47, v43, v64
	s_waitcnt vmcnt(0)
	v_fmac_f32_e32 v45, v44, v63
	s_clause 0x3
	buffer_load_dword v41, off, s[48:51], 0 offset:188
	buffer_load_dword v42, off, s[48:51], 0 offset:192
	buffer_load_dword v43, off, s[48:51], 0 offset:196
	buffer_load_dword v44, off, s[48:51], 0 offset:200
	;; [unrolled: 13-line block ×8, first 2 shown]
	s_waitcnt vmcnt(3)
	v_fmac_f32_e32 v47, v41, v4
	s_waitcnt vmcnt(2)
	v_fmac_f32_e32 v45, v42, v3
	s_clause 0x3
	buffer_load_dword v1, off, s[48:51], 0 offset:76
	buffer_load_dword v2, off, s[48:51], 0 offset:80
	;; [unrolled: 1-line block ×4, first 2 shown]
	s_waitcnt vmcnt(5)
	v_fmac_f32_e32 v47, v43, v8
	s_waitcnt vmcnt(4)
	v_fmac_f32_e32 v45, v44, v7
	;; [unrolled: 2-line block ×4, first 2 shown]
	s_clause 0x1
	buffer_load_dword v1, off, s[48:51], 0 offset:68
	buffer_load_dword v2, off, s[48:51], 0 offset:72
	s_waitcnt vmcnt(3)
	v_fmac_f32_e32 v47, v3, v16
	s_waitcnt vmcnt(2)
	v_fmac_f32_e32 v45, v4, v15
	;; [unrolled: 2-line block ×4, first 2 shown]
	ds_read2_b64 v[1:4], v0 offset0:25 offset1:26
	s_waitcnt lgkmcnt(0)
	v_fmac_f32_e32 v47, v22, v1
	v_fmac_f32_e32 v45, v21, v2
	;; [unrolled: 1-line block ×4, first 2 shown]
	ds_read2_b64 v[1:4], v0 offset0:27 offset1:28
	s_waitcnt lgkmcnt(0)
	v_fmac_f32_e32 v47, v31, v1
	v_fmac_f32_e32 v45, v30, v2
	ds_read_b64 v[1:2], v0 offset:232
	v_fmac_f32_e32 v47, v29, v3
	v_fmac_f32_e32 v45, v25, v4
	s_waitcnt lgkmcnt(0)
	v_fmac_f32_e32 v47, v58, v1
	v_fmac_f32_e32 v45, v57, v2
	v_add_f32_e32 v1, v47, v45
	ds_bpermute_b32 v2, v54, v1
	s_and_saveexec_b32 s40, vcc_lo
	s_cbranch_execz .LBB185_10
; %bb.498:                              ;   in Loop: Header=BB185_12 Depth=1
	buffer_load_dword v3, off, s[48:51], 0 offset:252 ; 4-byte Folded Reload
	s_waitcnt lgkmcnt(0)
	v_add_f32_e32 v1, v1, v2
	buffer_load_dword v4, off, s[48:51], 0 offset:236 ; 4-byte Folded Reload
	s_waitcnt vmcnt(1)
	v_add_nc_u32_e32 v3, v3, v37
	v_cvt_f32_i32_e32 v3, v3
	v_mul_f32_e32 v3, s36, v3
	v_cndmask_b32_e64 v2, 0, v3, s1
	v_fmac_f32_e32 v2, s35, v1
	buffer_load_dword v1, off, s[48:51], 0 offset:248 ; 4-byte Folded Reload
	s_waitcnt vmcnt(1)
	v_max_f32_e32 v3, v4, v4
	v_max_f32_e32 v3, v3, v2
	s_waitcnt vmcnt(0)
	v_add_nc_u32_e32 v1, v1, v37
	v_cmp_gt_i32_e64 s2, s33, v1
	v_cndmask_b32_e64 v1, 0, v2, s2
	v_cndmask_b32_e64 v4, v4, v3, s2
	ds_write_b32 v40, v1
	buffer_store_dword v4, off, s[48:51], 0 offset:236 ; 4-byte Folded Spill
	s_branch .LBB185_10
.LBB185_499:
	s_or_b32 exec_lo, exec_lo, s38
	s_clause 0x4
	buffer_load_dword v43, off, s[48:51], 0 offset:256
	buffer_load_dword v51, off, s[48:51], 0 offset:260
	;; [unrolled: 1-line block ×5, first 2 shown]
.LBB185_500:
	s_or_b32 exec_lo, exec_lo, s37
	v_mbcnt_lo_u32_b32 v6, -1, 0
	s_waitcnt vmcnt(0)
	v_max_f32_e32 v4, v3, v3
	v_xor_b32_e32 v0, 16, v6
	s_waitcnt lgkmcnt(0)
	v_xor_b32_e32 v2, 8, v6
	v_xor_b32_e32 v5, 2, v6
	v_cmp_gt_i32_e32 vcc_lo, 32, v0
	v_cndmask_b32_e32 v0, v6, v0, vcc_lo
	v_cmp_gt_i32_e32 vcc_lo, 32, v2
	v_lshlrev_b32_e32 v1, 2, v0
	v_cndmask_b32_e32 v2, v6, v2, vcc_lo
	ds_bpermute_b32 v0, v1, v3
	v_lshlrev_b32_e32 v3, 2, v2
	s_waitcnt lgkmcnt(0)
	v_max_f32_e32 v0, v0, v0
	v_max_f32_e32 v0, v4, v0
	v_xor_b32_e32 v4, 4, v6
	ds_bpermute_b32 v2, v3, v0
	v_cmp_gt_i32_e32 vcc_lo, 32, v4
	v_cndmask_b32_e32 v4, v6, v4, vcc_lo
	v_cmp_gt_i32_e32 vcc_lo, 32, v5
	v_lshlrev_b32_e32 v4, 2, v4
	v_cndmask_b32_e32 v5, v6, v5, vcc_lo
	v_lshlrev_b32_e32 v25, 2, v5
	v_lshlrev_b32_e32 v5, 2, v51
	s_waitcnt lgkmcnt(0)
	v_max_f32_e32 v2, v2, v2
	v_max_f32_e32 v0, v0, v2
	ds_bpermute_b32 v2, v4, v0
	s_waitcnt lgkmcnt(0)
	v_max_f32_e32 v2, v2, v2
	v_max_f32_e32 v2, v0, v2
	v_and_b32_e32 v0, 31, v43
	ds_bpermute_b32 v6, v25, v2
	v_cmp_eq_u32_e32 vcc_lo, 0, v0
	s_and_saveexec_b32 s1, vcc_lo
	s_cbranch_execz .LBB185_502
; %bb.501:
	s_waitcnt lgkmcnt(0)
	v_max_f32_e32 v6, v6, v6
	v_max_f32_e32 v2, v2, v2
	;; [unrolled: 1-line block ×3, first 2 shown]
	ds_write_b32 v5, v2 offset:480
.LBB185_502:
	s_or_b32 exec_lo, exec_lo, s1
	v_cmp_gt_u32_e64 s1, 4, v0
	v_mov_b32_e32 v2, 0xff7fffff
	s_waitcnt lgkmcnt(0)
	v_lshlrev_b32_e32 v6, 2, v0
	s_waitcnt_vscnt null, 0x0
	s_barrier
	buffer_gl0_inv
	s_and_saveexec_b32 s2, s1
; %bb.503:
	ds_read_b32 v2, v6 offset:480
; %bb.504:
	s_or_b32 exec_lo, exec_lo, s2
	s_waitcnt lgkmcnt(0)
	ds_bpermute_b32 v7, v25, v2
	v_mbcnt_lo_u32_b32 v9, -1, 0
	v_max_f32_e32 v2, v2, v2
	v_xor_b32_e32 v8, 1, v9
	v_cmp_gt_i32_e64 s2, 32, v8
	v_cndmask_b32_e64 v8, v9, v8, s2
	s_lshl_b32 s2, s20, 4
	s_min_i32 s4, s2, s33
	s_waitcnt lgkmcnt(0)
	v_max_f32_e32 v7, v7, v7
	v_lshlrev_b32_e32 v26, 2, v8
	v_cmp_gt_i32_e64 s2, s4, v43
	v_max_f32_e32 v2, v2, v7
	ds_bpermute_b32 v7, v26, v2
	s_waitcnt lgkmcnt(0)
	v_max_f32_e32 v7, v7, v7
	v_max_f32_e32 v2, v2, v7
	v_mov_b32_e32 v7, 0
	ds_bpermute_b32 v8, v7, v2
	v_lshl_add_u32 v2, v43, 2, 0x200
	s_and_saveexec_b32 s5, s2
	s_cbranch_execz .LBB185_508
; %bb.505:
	v_lshl_add_u32 v9, v43, 2, 0x200
	v_mov_b32_e32 v7, 0
	v_mov_b32_e32 v10, v43
	s_mov_b32 s12, 0
	.p2align	6
.LBB185_506:                            ; =>This Inner Loop Header: Depth=1
	ds_read_b32 v11, v9
	v_add_nc_u32_e32 v10, 0x80, v10
	v_cmp_le_i32_e64 s3, s4, v10
	s_or_b32 s12, s3, s12
	s_waitcnt lgkmcnt(0)
	v_sub_f32_e32 v11, v11, v8
	v_mul_f32_e32 v11, 0x3fb8aa3b, v11
	v_exp_f32_e32 v11, v11
	ds_write_b32 v9, v11
	v_add_f32_e32 v7, v7, v11
	v_add_nc_u32_e32 v9, 0x200, v9
	s_andn2_b32 exec_lo, exec_lo, s12
	s_cbranch_execnz .LBB185_506
; %bb.507:
	s_or_b32 exec_lo, exec_lo, s12
.LBB185_508:
	s_or_b32 exec_lo, exec_lo, s5
	ds_bpermute_b32 v1, v1, v7
	s_waitcnt lgkmcnt(0)
	v_add_f32_e32 v1, v7, v1
	ds_bpermute_b32 v3, v3, v1
	s_waitcnt lgkmcnt(0)
	v_add_f32_e32 v1, v1, v3
	;; [unrolled: 3-line block ×5, first 2 shown]
	s_and_saveexec_b32 s3, vcc_lo
; %bb.509:
	ds_write_b32 v5, v1 offset:496
; %bb.510:
	s_or_b32 exec_lo, exec_lo, s3
	s_waitcnt lgkmcnt(0)
	s_barrier
	buffer_gl0_inv
	s_and_saveexec_b32 s3, s1
; %bb.511:
	ds_read_b32 v1, v6 offset:496
; %bb.512:
	s_or_b32 exec_lo, exec_lo, s3
	s_waitcnt lgkmcnt(0)
	ds_bpermute_b32 v3, v25, v1
	s_waitcnt lgkmcnt(0)
	v_add_f32_e32 v1, v1, v3
	ds_bpermute_b32 v3, v26, v1
	s_waitcnt lgkmcnt(0)
	v_add_f32_e32 v1, v1, v3
	v_mov_b32_e32 v3, 0
	ds_bpermute_b32 v1, v3, v1
	s_and_saveexec_b32 s1, s2
	s_cbranch_execz .LBB185_515
; %bb.513:
	s_waitcnt lgkmcnt(0)
	v_add_f32_e32 v1, 0x358637bd, v1
	s_mov_b32 s2, 0
	v_div_scale_f32 v3, null, v1, v1, 1.0
	v_div_scale_f32 v6, vcc_lo, 1.0, v1, 1.0
	v_rcp_f32_e32 v4, v3
	v_fma_f32 v5, -v3, v4, 1.0
	v_fmac_f32_e32 v4, v5, v4
	v_mul_f32_e32 v5, v6, v4
	v_fma_f32 v7, -v3, v5, v6
	v_fmac_f32_e32 v5, v7, v4
	v_fma_f32 v3, -v3, v5, v6
	v_div_fmas_f32 v3, v3, v4, v5
	v_div_fixup_f32 v1, v3, v1, 1.0
	v_mov_b32_e32 v3, v43
.LBB185_514:                            ; =>This Inner Loop Header: Depth=1
	ds_read_b32 v4, v2
	v_add_nc_u32_e32 v3, 0x80, v3
	v_cmp_le_i32_e32 vcc_lo, s4, v3
	s_or_b32 s2, vcc_lo, s2
	s_waitcnt lgkmcnt(0)
	v_mul_f32_e32 v4, v1, v4
	ds_write_b32 v2, v4
	v_add_nc_u32_e32 v2, 0x200, v2
	s_andn2_b32 exec_lo, exec_lo, s2
	s_cbranch_execnz .LBB185_514
.LBB185_515:
	s_or_b32 exec_lo, exec_lo, s1
	v_mov_b32_e32 v41, 0
	v_and_b32_e32 v27, 3, v43
	v_mov_b32_e32 v42, 0
	v_mov_b32_e32 v40, 0
	;; [unrolled: 1-line block ×14, first 2 shown]
	s_waitcnt lgkmcnt(0)
	s_barrier
	buffer_gl0_inv
	s_and_saveexec_b32 s1, s0
	s_cbranch_execz .LBB185_1031
; %bb.516:
	s_sub_i32 s2, s34, s21
	s_ashr_i32 s0, s18, 31
	s_add_u32 s5, s30, s18
	s_addc_u32 s0, s31, s0
	s_abs_i32 s3, s22
	v_and_b32_e32 v2, 0x7c, v12
	v_cvt_f32_u32_e32 v1, s3
	s_sub_i32 s4, 0, s3
	v_lshlrev_b32_e32 v4, 4, v27
	v_and_b32_e32 v3, 0x7c, v13
	v_add_co_u32 v11, s5, s5, v2
	v_rcp_iflag_f32_e32 v1, v1
	s_lshl_b64 s[12:13], s[28:29], 2
	v_lshl_or_b32 v4, v51, 6, v4
	v_mov_b32_e32 v112, v43
	v_and_b32_e32 v43, 12, v12
	v_add_co_ci_u32_e64 v12, null, s0, 0, s5
	v_mov_b32_e32 v6, 0
	v_mov_b32_e32 v44, 0x80
	v_bfrev_b32_e32 v8, 1
	v_mul_f32_e32 v1, 0x4f7ffffe, v1
	v_mov_b32_e32 v45, 0xffff
	v_mov_b32_e32 v10, 0x7f800001
	;; [unrolled: 1-line block ×4, first 2 shown]
	v_cvt_u32_f32_e32 v1, v1
	v_mov_b32_e32 v48, 24
	v_mov_b32_e32 v28, 0
	;; [unrolled: 1-line block ×4, first 2 shown]
	v_mul_lo_u32 v5, s4, v1
	s_add_i32 s4, s20, -1
	s_add_u32 s0, s26, s12
	s_addc_u32 s5, s27, s13
	v_add_co_u32 v13, s0, s0, v3
	v_mov_b32_e32 v31, 0
	v_mov_b32_e32 v32, 0
	v_mul_hi_u32 v2, v1, v5
	v_mov_b32_e32 v33, 0
	v_mov_b32_e32 v34, 0
	v_add_co_ci_u32_e64 v14, null, s5, 0, s0
	v_add_nc_u32_e32 v49, 0x200, v4
	v_mov_b32_e32 v35, 0
	v_mov_b32_e32 v36, 0
	v_add_nc_u32_e32 v50, v1, v2
	v_mov_b32_e32 v37, 0
	v_mov_b32_e32 v38, 0
	;; [unrolled: 1-line block ×7, first 2 shown]
	s_mov_b32 s12, s17
	s_mov_b32 s5, 0
	s_branch .LBB185_519
.LBB185_517:                            ;   in Loop: Header=BB185_519 Depth=1
	s_or_b32 exec_lo, exec_lo, s0
	v_mul_f32_e32 v16, v1, v109
	v_mul_f32_e32 v17, v1, v107
	;; [unrolled: 1-line block ×5, first 2 shown]
	v_fmac_f32_e32 v16, v2, v108
	v_fmac_f32_e32 v17, v2, v106
	v_fmac_f32_e32 v18, v2, v102
	v_fmac_f32_e32 v19, v2, v98
	v_fmac_f32_e32 v20, v2, v94
	v_fmac_f32_e32 v16, v3, v24
	v_fmac_f32_e32 v17, v3, v105
	v_fmac_f32_e32 v18, v3, v101
	v_fmac_f32_e32 v19, v3, v97
	v_fmac_f32_e32 v20, v3, v93
	v_fmac_f32_e32 v16, v4, v23
	v_fmac_f32_e32 v17, v4, v104
	v_fmac_f32_e32 v18, v4, v100
	v_fmac_f32_e32 v19, v4, v96
	v_fmac_f32_e32 v20, v4, v92
	v_add_f32_e32 v29, v29, v16
	v_add_f32_e32 v30, v30, v17
	;; [unrolled: 1-line block ×4, first 2 shown]
	v_mul_f32_e32 v16, v1, v91
	v_mul_f32_e32 v17, v1, v87
	v_mul_f32_e32 v18, v1, v83
	v_mul_f32_e32 v19, v1, v79
	v_add_f32_e32 v33, v33, v20
	v_fmac_f32_e32 v16, v2, v90
	v_fmac_f32_e32 v17, v2, v86
	;; [unrolled: 1-line block ×4, first 2 shown]
	v_mul_f32_e32 v20, v1, v75
	v_fmac_f32_e32 v16, v3, v89
	v_fmac_f32_e32 v17, v3, v85
	;; [unrolled: 1-line block ×10, first 2 shown]
	v_add_f32_e32 v34, v34, v16
	v_add_f32_e32 v35, v35, v17
	;; [unrolled: 1-line block ×4, first 2 shown]
	v_mul_f32_e32 v16, v1, v71
	v_mul_f32_e32 v17, v1, v67
	;; [unrolled: 1-line block ×5, first 2 shown]
	v_fmac_f32_e32 v16, v2, v70
	v_fmac_f32_e32 v17, v2, v66
	;; [unrolled: 1-line block ×16, first 2 shown]
	v_add_f32_e32 v38, v38, v20
	v_add_f32_e32 v39, v39, v16
	v_add_f32_e32 v40, v40, v17
	v_add_f32_e32 v42, v42, v18
	v_add_f32_e32 v41, v41, v19
	v_add_f32_e32 v28, v28, v1
.LBB185_518:                            ;   in Loop: Header=BB185_519 Depth=1
	s_or_b32 exec_lo, exec_lo, s13
	v_add_nc_u32_e32 v51, 4, v51
	v_add_co_u32 v13, s0, v13, 16
	v_add_co_ci_u32_e64 v14, null, 0, v14, s0
	v_cmp_le_i32_e32 vcc_lo, s20, v51
	v_add_nc_u32_e32 v127, 64, v127
	v_add_nc_u32_e32 v49, 0x100, v49
	s_or_b32 s5, vcc_lo, s5
	s_andn2_b32 exec_lo, exec_lo, s5
	s_cbranch_execz .LBB185_1030
.LBB185_519:                            ; =>This Inner Loop Header: Depth=1
	v_mul_hi_u32 v1, v127, s19
	v_mul_lo_u32 v2, v1, s16
	v_add_nc_u32_e32 v3, 1, v1
	v_sub_nc_u32_e32 v2, v127, v2
	v_subrev_nc_u32_e32 v4, s16, v2
	v_cmp_le_u32_e32 vcc_lo, s16, v2
	v_cndmask_b32_e32 v1, v1, v3, vcc_lo
	v_cndmask_b32_e32 v2, v2, v4, vcc_lo
	v_add_nc_u32_e32 v3, 1, v1
	v_cmp_le_u32_e32 vcc_lo, s16, v2
	v_cndmask_b32_e32 v1, v1, v3, vcc_lo
	v_xor_b32_e32 v1, s23, v1
	v_subrev_nc_u32_e32 v1, s23, v1
	v_add_nc_u32_e32 v2, s25, v1
	v_cmp_lt_i32_e64 s0, s2, v1
	v_sub_nc_u32_e32 v3, 0, v2
	v_max_i32_e32 v3, v2, v3
	v_ashrrev_i32_e32 v2, 31, v2
	v_mul_hi_u32 v4, v3, v50
	v_mul_lo_u32 v4, v4, s3
	v_sub_nc_u32_e32 v3, v3, v4
	v_subrev_nc_u32_e32 v4, s3, v3
	v_cmp_le_u32_e32 vcc_lo, s3, v3
	v_cndmask_b32_e32 v3, v3, v4, vcc_lo
	v_subrev_nc_u32_e32 v4, s3, v3
	v_cmp_le_u32_e32 vcc_lo, s3, v3
	v_cndmask_b32_e32 v3, v3, v4, vcc_lo
	v_xor_b32_e32 v3, v3, v2
	v_sub_nc_u32_e32 v2, v3, v2
	v_cmp_eq_u32_e32 vcc_lo, 0, v2
	s_or_b32 s0, vcc_lo, s0
	s_and_saveexec_b32 s13, s0
	s_cbranch_execz .LBB185_518
; %bb.520:                              ;   in Loop: Header=BB185_519 Depth=1
	global_load_dword v1, v[13:14], off
	s_load_dword s17, s[14:15], 0x0
	v_mov_b32_e32 v19, 0
	v_mov_b32_e32 v17, 0
	;; [unrolled: 1-line block ×4, first 2 shown]
	s_waitcnt vmcnt(0)
	v_mad_i64_i32 v[15:16], null, v1, s12, v[11:12]
	ds_read_b128 v[1:4], v49
	global_load_dword v52, v[15:16], off
	s_waitcnt vmcnt(0)
	v_cmp_ne_u16_sdwa s18, v52, v6 src0_sel:BYTE_0 src1_sel:DWORD
	s_and_saveexec_b32 s0, s18
	s_cbranch_execz .LBB185_528
; %bb.521:                              ;   in Loop: Header=BB185_519 Depth=1
	v_bfrev_b32_e32 v17, 1
	v_mov_b32_e32 v18, 0
	v_cmp_ne_u16_sdwa s21, v52, v44 src0_sel:BYTE_0 src1_sel:DWORD
	s_and_saveexec_b32 s18, s21
	s_cbranch_execz .LBB185_527
; %bb.522:                              ;   in Loop: Header=BB185_519 Depth=1
	v_mov_b32_e32 v17, 0x7f800001
	v_and_b32_e32 v9, 0x7f, v52
	v_mov_b32_e32 v18, 0
	s_mov_b32 s21, exec_lo
	v_cmpx_ne_u32_e32 0x7f, v9
	s_cbranch_execz .LBB185_526
; %bb.523:                              ;   in Loop: Header=BB185_519 Depth=1
	v_and_b32_e32 v5, 7, v52
	v_lshrrev_b32_e32 v7, 3, v9
	s_mov_b32 s22, exec_lo
	v_cmpx_gt_u32_e32 8, v9
; %bb.524:                              ;   in Loop: Header=BB185_519 Depth=1
	v_ffbh_u32_e32 v7, v5
	v_min_u32_e32 v7, 32, v7
	v_subrev_nc_u32_e32 v9, 28, v7
	v_sub_nc_u32_e32 v7, 29, v7
	v_lshlrev_b64 v[17:18], v9, v[5:6]
	v_and_b32_e32 v5, 7, v17
; %bb.525:                              ;   in Loop: Header=BB185_519 Depth=1
	s_or_b32 exec_lo, exec_lo, s22
	v_lshlrev_b32_e32 v9, 24, v52
	v_lshlrev_b32_e32 v5, 20, v5
	v_lshl_add_u32 v7, v7, 23, 0x3c000000
	v_and_b32_e32 v9, 0x80000000, v9
	v_or3_b32 v5, v5, v9, v7
	v_mov_b32_e32 v18, v6
	v_mov_b32_e32 v17, v5
.LBB185_526:                            ;   in Loop: Header=BB185_519 Depth=1
	s_or_b32 exec_lo, exec_lo, s21
.LBB185_527:                            ;   in Loop: Header=BB185_519 Depth=1
	s_or_b32 exec_lo, exec_lo, s18
.LBB185_528:                            ;   in Loop: Header=BB185_519 Depth=1
	s_or_b32 exec_lo, exec_lo, s0
	v_cmp_ne_u16_sdwa s18, v52, v6 src0_sel:BYTE_1 src1_sel:DWORD
	s_and_saveexec_b32 s0, s18
	s_cbranch_execz .LBB185_536
; %bb.529:                              ;   in Loop: Header=BB185_519 Depth=1
	v_mov_b32_e32 v7, v6
	v_mov_b32_e32 v20, v8
	v_cmp_ne_u16_sdwa s21, v52, v44 src0_sel:BYTE_1 src1_sel:DWORD
	v_mov_b32_e32 v19, v7
	s_and_saveexec_b32 s18, s21
	s_cbranch_execz .LBB185_535
; %bb.530:                              ;   in Loop: Header=BB185_519 Depth=1
	v_and_b32_sdwa v5, v45, v52 dst_sel:DWORD dst_unused:UNUSED_PAD src0_sel:DWORD src1_sel:BYTE_1
	v_mov_b32_e32 v9, v6
	v_mov_b32_e32 v20, v10
	s_mov_b32 s21, exec_lo
	v_and_b32_e32 v21, 0x7f, v5
	v_mov_b32_e32 v19, v9
	v_cmpx_ne_u32_e32 0x7f, v21
	s_cbranch_execz .LBB185_534
; %bb.531:                              ;   in Loop: Header=BB185_519 Depth=1
	v_and_b32_e32 v5, 7, v5
	v_lshrrev_b32_e32 v7, 3, v21
	s_mov_b32 s22, exec_lo
	v_cmpx_gt_u32_e32 8, v21
; %bb.532:                              ;   in Loop: Header=BB185_519 Depth=1
	v_ffbh_u32_e32 v7, v5
	v_min_u32_e32 v7, 32, v7
	v_subrev_nc_u32_e32 v9, 28, v7
	v_sub_nc_u32_e32 v7, 29, v7
	v_lshlrev_b64 v[19:20], v9, v[5:6]
	v_and_b32_e32 v5, 7, v19
; %bb.533:                              ;   in Loop: Header=BB185_519 Depth=1
	s_or_b32 exec_lo, exec_lo, s22
	v_lshlrev_b32_e32 v9, 16, v52
	v_lshlrev_b32_e32 v5, 20, v5
	v_lshl_add_u32 v7, v7, 23, 0x3c000000
	v_mov_b32_e32 v19, v6
	v_and_b32_e32 v9, 0x80000000, v9
	v_or3_b32 v20, v5, v9, v7
.LBB185_534:                            ;   in Loop: Header=BB185_519 Depth=1
	s_or_b32 exec_lo, exec_lo, s21
.LBB185_535:                            ;   in Loop: Header=BB185_519 Depth=1
	s_or_b32 exec_lo, exec_lo, s18
.LBB185_536:                            ;   in Loop: Header=BB185_519 Depth=1
	s_or_b32 exec_lo, exec_lo, s0
	v_mov_b32_e32 v23, 0
	v_mov_b32_e32 v21, 0
	v_and_b32_sdwa v5, v52, v46 dst_sel:DWORD dst_unused:UNUSED_PAD src0_sel:WORD_1 src1_sel:DWORD
	v_mov_b32_e32 v24, 0
	v_mov_b32_e32 v22, 0
	s_mov_b32 s0, exec_lo
	v_cmpx_ne_u16_e32 0, v5
	s_cbranch_execz .LBB185_544
; %bb.537:                              ;   in Loop: Header=BB185_519 Depth=1
	v_bfrev_b32_e32 v21, 1
	v_mov_b32_e32 v22, 0
	s_mov_b32 s18, exec_lo
	v_cmpx_ne_u16_e32 0x80, v5
	s_cbranch_execz .LBB185_543
; %bb.538:                              ;   in Loop: Header=BB185_519 Depth=1
	v_mov_b32_e32 v21, 0x7f800001
	v_bfe_u32 v9, v52, 16, 7
	v_mov_b32_e32 v22, 0
	s_mov_b32 s21, exec_lo
	v_cmpx_ne_u32_e32 0x7f, v9
	s_cbranch_execz .LBB185_542
; %bb.539:                              ;   in Loop: Header=BB185_519 Depth=1
	v_and_b32_sdwa v5, v52, v47 dst_sel:DWORD dst_unused:UNUSED_PAD src0_sel:WORD_1 src1_sel:DWORD
	v_lshrrev_b32_e32 v7, 3, v9
	s_mov_b32 s22, exec_lo
	v_cmpx_gt_u32_e32 8, v9
; %bb.540:                              ;   in Loop: Header=BB185_519 Depth=1
	v_ffbh_u32_e32 v7, v5
	v_min_u32_e32 v7, 32, v7
	v_subrev_nc_u32_e32 v9, 28, v7
	v_sub_nc_u32_e32 v7, 29, v7
	v_lshlrev_b64 v[21:22], v9, v[5:6]
	v_and_b32_e32 v5, 7, v21
; %bb.541:                              ;   in Loop: Header=BB185_519 Depth=1
	s_or_b32 exec_lo, exec_lo, s22
	v_lshlrev_b32_sdwa v9, v48, v52 dst_sel:DWORD dst_unused:UNUSED_PAD src0_sel:DWORD src1_sel:WORD_1
	v_lshlrev_b32_e32 v5, 20, v5
	v_lshl_add_u32 v7, v7, 23, 0x3c000000
	v_and_b32_e32 v9, 0x80000000, v9
	v_or3_b32 v5, v5, v9, v7
	v_mov_b32_e32 v22, v6
	v_mov_b32_e32 v21, v5
.LBB185_542:                            ;   in Loop: Header=BB185_519 Depth=1
	s_or_b32 exec_lo, exec_lo, s21
.LBB185_543:                            ;   in Loop: Header=BB185_519 Depth=1
	s_or_b32 exec_lo, exec_lo, s18
.LBB185_544:                            ;   in Loop: Header=BB185_519 Depth=1
	s_or_b32 exec_lo, exec_lo, s0
	s_mov_b32 s0, exec_lo
	v_cmpx_lt_u32_e32 0xffffff, v52
	s_cbranch_execz .LBB185_552
; %bb.545:                              ;   in Loop: Header=BB185_519 Depth=1
	v_mov_b32_e32 v7, v6
	v_mov_b32_e32 v24, v8
	v_cmp_ne_u32_sdwa s21, v52, v44 src0_sel:BYTE_3 src1_sel:DWORD
	v_mov_b32_e32 v23, v7
	s_and_saveexec_b32 s18, s21
	s_cbranch_execz .LBB185_551
; %bb.546:                              ;   in Loop: Header=BB185_519 Depth=1
	v_mov_b32_e32 v9, v6
	v_mov_b32_e32 v24, v10
	v_bfe_u32 v53, v52, 24, 7
	s_mov_b32 s21, exec_lo
	v_mov_b32_e32 v23, v9
	v_cmpx_ne_u32_e32 0x7f, v53
	s_cbranch_execz .LBB185_550
; %bb.547:                              ;   in Loop: Header=BB185_519 Depth=1
	v_and_b32_sdwa v5, v52, v47 dst_sel:DWORD dst_unused:UNUSED_PAD src0_sel:BYTE_3 src1_sel:DWORD
	v_lshrrev_b32_e32 v7, 3, v53
	s_mov_b32 s22, exec_lo
	v_cmpx_gt_u32_e32 8, v53
; %bb.548:                              ;   in Loop: Header=BB185_519 Depth=1
	v_ffbh_u32_e32 v7, v5
	v_min_u32_e32 v7, 32, v7
	v_subrev_nc_u32_e32 v9, 28, v7
	v_sub_nc_u32_e32 v7, 29, v7
	v_lshlrev_b64 v[23:24], v9, v[5:6]
	v_and_b32_e32 v5, 7, v23
; %bb.549:                              ;   in Loop: Header=BB185_519 Depth=1
	s_or_b32 exec_lo, exec_lo, s22
	v_lshlrev_b32_sdwa v9, v48, v52 dst_sel:DWORD dst_unused:UNUSED_PAD src0_sel:DWORD src1_sel:BYTE_3
	v_lshlrev_b32_e32 v5, 20, v5
	v_lshl_add_u32 v7, v7, 23, 0x3c000000
	v_mov_b32_e32 v23, v6
	v_and_b32_e32 v9, 0x80000000, v9
	v_or3_b32 v24, v5, v9, v7
.LBB185_550:                            ;   in Loop: Header=BB185_519 Depth=1
	s_or_b32 exec_lo, exec_lo, s21
.LBB185_551:                            ;   in Loop: Header=BB185_519 Depth=1
	s_or_b32 exec_lo, exec_lo, s18
.LBB185_552:                            ;   in Loop: Header=BB185_519 Depth=1
	s_or_b32 exec_lo, exec_lo, s0
	v_add_nc_u32_e32 v56, v43, v127
	v_or_b32_e32 v5, v20, v18
	v_or_b32_e32 v7, v19, v17
	;; [unrolled: 1-line block ×4, first 2 shown]
	v_cmp_eq_u32_e32 vcc_lo, s4, v51
	s_waitcnt lgkmcnt(0)
	v_mul_f32_e32 v54, s17, v5
	v_mul_f32_e32 v55, s17, v7
	;; [unrolled: 1-line block ×4, first 2 shown]
	v_add_nc_u32_e32 v59, 1, v56
	v_add_nc_u32_e32 v58, 2, v56
	;; [unrolled: 1-line block ×3, first 2 shown]
	s_and_saveexec_b32 s18, vcc_lo
	s_cbranch_execz .LBB185_554
; %bb.553:                              ;   in Loop: Header=BB185_519 Depth=1
	v_cmp_gt_i32_e64 s0, s33, v56
	v_cndmask_b32_e64 v55, 0, v55, s0
	v_cmp_gt_i32_e64 s0, s33, v59
	v_cndmask_b32_e64 v54, 0, v54, s0
	;; [unrolled: 2-line block ×4, first 2 shown]
.LBB185_554:                            ;   in Loop: Header=BB185_519 Depth=1
	s_or_b32 exec_lo, exec_lo, s18
	global_load_dword v60, v[15:16], off offset:128
	v_mov_b32_e32 v19, 0
	v_mov_b32_e32 v17, 0
	;; [unrolled: 1-line block ×4, first 2 shown]
	s_waitcnt vmcnt(0)
	v_cmp_ne_u16_sdwa s0, v60, v6 src0_sel:BYTE_0 src1_sel:DWORD
	s_and_saveexec_b32 s18, s0
	s_cbranch_execz .LBB185_562
; %bb.555:                              ;   in Loop: Header=BB185_519 Depth=1
	v_bfrev_b32_e32 v17, 1
	v_mov_b32_e32 v18, 0
	v_cmp_ne_u16_sdwa s0, v60, v44 src0_sel:BYTE_0 src1_sel:DWORD
	s_and_saveexec_b32 s21, s0
	s_cbranch_execz .LBB185_561
; %bb.556:                              ;   in Loop: Header=BB185_519 Depth=1
	v_mov_b32_e32 v17, 0x7f800001
	v_and_b32_e32 v9, 0x7f, v60
	v_mov_b32_e32 v18, 0
	s_mov_b32 s22, exec_lo
	v_cmpx_ne_u32_e32 0x7f, v9
	s_cbranch_execz .LBB185_560
; %bb.557:                              ;   in Loop: Header=BB185_519 Depth=1
	v_and_b32_e32 v5, 7, v60
	v_lshrrev_b32_e32 v7, 3, v9
	s_mov_b32 s26, exec_lo
	v_cmpx_gt_u32_e32 8, v9
; %bb.558:                              ;   in Loop: Header=BB185_519 Depth=1
	v_ffbh_u32_e32 v7, v5
	v_min_u32_e32 v7, 32, v7
	v_subrev_nc_u32_e32 v9, 28, v7
	v_sub_nc_u32_e32 v7, 29, v7
	v_lshlrev_b64 v[17:18], v9, v[5:6]
	v_and_b32_e32 v5, 7, v17
; %bb.559:                              ;   in Loop: Header=BB185_519 Depth=1
	s_or_b32 exec_lo, exec_lo, s26
	v_lshlrev_b32_e32 v9, 24, v60
	v_lshlrev_b32_e32 v5, 20, v5
	v_lshl_add_u32 v7, v7, 23, 0x3c000000
	v_and_b32_e32 v9, 0x80000000, v9
	v_or3_b32 v5, v5, v9, v7
	v_mov_b32_e32 v18, v6
	v_mov_b32_e32 v17, v5
.LBB185_560:                            ;   in Loop: Header=BB185_519 Depth=1
	s_or_b32 exec_lo, exec_lo, s22
.LBB185_561:                            ;   in Loop: Header=BB185_519 Depth=1
	s_or_b32 exec_lo, exec_lo, s21
.LBB185_562:                            ;   in Loop: Header=BB185_519 Depth=1
	s_or_b32 exec_lo, exec_lo, s18
	v_cmp_ne_u16_sdwa s0, v60, v6 src0_sel:BYTE_1 src1_sel:DWORD
	s_and_saveexec_b32 s18, s0
	s_cbranch_execz .LBB185_570
; %bb.563:                              ;   in Loop: Header=BB185_519 Depth=1
	v_mov_b32_e32 v7, v6
	v_mov_b32_e32 v20, v8
	v_cmp_ne_u16_sdwa s0, v60, v44 src0_sel:BYTE_1 src1_sel:DWORD
	v_mov_b32_e32 v19, v7
	s_and_saveexec_b32 s21, s0
	s_cbranch_execz .LBB185_569
; %bb.564:                              ;   in Loop: Header=BB185_519 Depth=1
	v_and_b32_sdwa v5, v45, v60 dst_sel:DWORD dst_unused:UNUSED_PAD src0_sel:DWORD src1_sel:BYTE_1
	v_mov_b32_e32 v9, v6
	v_mov_b32_e32 v20, v10
	s_mov_b32 s22, exec_lo
	v_and_b32_e32 v21, 0x7f, v5
	v_mov_b32_e32 v19, v9
	v_cmpx_ne_u32_e32 0x7f, v21
	s_cbranch_execz .LBB185_568
; %bb.565:                              ;   in Loop: Header=BB185_519 Depth=1
	v_and_b32_e32 v5, 7, v5
	v_lshrrev_b32_e32 v7, 3, v21
	s_mov_b32 s26, exec_lo
	v_cmpx_gt_u32_e32 8, v21
; %bb.566:                              ;   in Loop: Header=BB185_519 Depth=1
	v_ffbh_u32_e32 v7, v5
	v_min_u32_e32 v7, 32, v7
	v_subrev_nc_u32_e32 v9, 28, v7
	v_sub_nc_u32_e32 v7, 29, v7
	v_lshlrev_b64 v[19:20], v9, v[5:6]
	v_and_b32_e32 v5, 7, v19
; %bb.567:                              ;   in Loop: Header=BB185_519 Depth=1
	s_or_b32 exec_lo, exec_lo, s26
	v_lshlrev_b32_e32 v9, 16, v60
	v_lshlrev_b32_e32 v5, 20, v5
	v_lshl_add_u32 v7, v7, 23, 0x3c000000
	v_mov_b32_e32 v19, v6
	v_and_b32_e32 v9, 0x80000000, v9
	v_or3_b32 v20, v5, v9, v7
.LBB185_568:                            ;   in Loop: Header=BB185_519 Depth=1
	s_or_b32 exec_lo, exec_lo, s22
.LBB185_569:                            ;   in Loop: Header=BB185_519 Depth=1
	s_or_b32 exec_lo, exec_lo, s21
.LBB185_570:                            ;   in Loop: Header=BB185_519 Depth=1
	s_or_b32 exec_lo, exec_lo, s18
	v_mov_b32_e32 v23, 0
	v_mov_b32_e32 v21, 0
	v_and_b32_sdwa v5, v60, v46 dst_sel:DWORD dst_unused:UNUSED_PAD src0_sel:WORD_1 src1_sel:DWORD
	v_mov_b32_e32 v24, 0
	v_mov_b32_e32 v22, 0
	s_mov_b32 s18, exec_lo
	v_cmpx_ne_u16_e32 0, v5
	s_cbranch_execz .LBB185_578
; %bb.571:                              ;   in Loop: Header=BB185_519 Depth=1
	v_bfrev_b32_e32 v21, 1
	v_mov_b32_e32 v22, 0
	s_mov_b32 s21, exec_lo
	v_cmpx_ne_u16_e32 0x80, v5
	s_cbranch_execz .LBB185_577
; %bb.572:                              ;   in Loop: Header=BB185_519 Depth=1
	v_mov_b32_e32 v21, 0x7f800001
	v_bfe_u32 v9, v60, 16, 7
	v_mov_b32_e32 v22, 0
	s_mov_b32 s22, exec_lo
	v_cmpx_ne_u32_e32 0x7f, v9
	s_cbranch_execz .LBB185_576
; %bb.573:                              ;   in Loop: Header=BB185_519 Depth=1
	v_and_b32_sdwa v5, v60, v47 dst_sel:DWORD dst_unused:UNUSED_PAD src0_sel:WORD_1 src1_sel:DWORD
	v_lshrrev_b32_e32 v7, 3, v9
	s_mov_b32 s26, exec_lo
	v_cmpx_gt_u32_e32 8, v9
; %bb.574:                              ;   in Loop: Header=BB185_519 Depth=1
	v_ffbh_u32_e32 v7, v5
	v_min_u32_e32 v7, 32, v7
	v_subrev_nc_u32_e32 v9, 28, v7
	v_sub_nc_u32_e32 v7, 29, v7
	v_lshlrev_b64 v[21:22], v9, v[5:6]
	v_and_b32_e32 v5, 7, v21
; %bb.575:                              ;   in Loop: Header=BB185_519 Depth=1
	s_or_b32 exec_lo, exec_lo, s26
	v_lshlrev_b32_sdwa v9, v48, v60 dst_sel:DWORD dst_unused:UNUSED_PAD src0_sel:DWORD src1_sel:WORD_1
	v_lshlrev_b32_e32 v5, 20, v5
	v_lshl_add_u32 v7, v7, 23, 0x3c000000
	v_and_b32_e32 v9, 0x80000000, v9
	v_or3_b32 v5, v5, v9, v7
	v_mov_b32_e32 v22, v6
	v_mov_b32_e32 v21, v5
.LBB185_576:                            ;   in Loop: Header=BB185_519 Depth=1
	s_or_b32 exec_lo, exec_lo, s22
.LBB185_577:                            ;   in Loop: Header=BB185_519 Depth=1
	s_or_b32 exec_lo, exec_lo, s21
.LBB185_578:                            ;   in Loop: Header=BB185_519 Depth=1
	s_or_b32 exec_lo, exec_lo, s18
	s_mov_b32 s18, exec_lo
	v_cmpx_lt_u32_e32 0xffffff, v60
	s_cbranch_execz .LBB185_586
; %bb.579:                              ;   in Loop: Header=BB185_519 Depth=1
	v_mov_b32_e32 v7, v6
	v_mov_b32_e32 v24, v8
	v_cmp_ne_u32_sdwa s0, v60, v44 src0_sel:BYTE_3 src1_sel:DWORD
	v_mov_b32_e32 v23, v7
	s_and_saveexec_b32 s21, s0
	s_cbranch_execz .LBB185_585
; %bb.580:                              ;   in Loop: Header=BB185_519 Depth=1
	v_mov_b32_e32 v9, v6
	v_mov_b32_e32 v24, v10
	v_bfe_u32 v61, v60, 24, 7
	s_mov_b32 s22, exec_lo
	v_mov_b32_e32 v23, v9
	v_cmpx_ne_u32_e32 0x7f, v61
	s_cbranch_execz .LBB185_584
; %bb.581:                              ;   in Loop: Header=BB185_519 Depth=1
	v_and_b32_sdwa v5, v60, v47 dst_sel:DWORD dst_unused:UNUSED_PAD src0_sel:BYTE_3 src1_sel:DWORD
	v_lshrrev_b32_e32 v7, 3, v61
	s_mov_b32 s26, exec_lo
	v_cmpx_gt_u32_e32 8, v61
; %bb.582:                              ;   in Loop: Header=BB185_519 Depth=1
	v_ffbh_u32_e32 v7, v5
	v_min_u32_e32 v7, 32, v7
	v_subrev_nc_u32_e32 v9, 28, v7
	v_sub_nc_u32_e32 v7, 29, v7
	v_lshlrev_b64 v[23:24], v9, v[5:6]
	v_and_b32_e32 v5, 7, v23
; %bb.583:                              ;   in Loop: Header=BB185_519 Depth=1
	s_or_b32 exec_lo, exec_lo, s26
	v_lshlrev_b32_sdwa v9, v48, v60 dst_sel:DWORD dst_unused:UNUSED_PAD src0_sel:DWORD src1_sel:BYTE_3
	v_lshlrev_b32_e32 v5, 20, v5
	v_lshl_add_u32 v7, v7, 23, 0x3c000000
	v_mov_b32_e32 v23, v6
	v_and_b32_e32 v9, 0x80000000, v9
	v_or3_b32 v24, v5, v9, v7
.LBB185_584:                            ;   in Loop: Header=BB185_519 Depth=1
	s_or_b32 exec_lo, exec_lo, s22
.LBB185_585:                            ;   in Loop: Header=BB185_519 Depth=1
	s_or_b32 exec_lo, exec_lo, s21
.LBB185_586:                            ;   in Loop: Header=BB185_519 Depth=1
	s_or_b32 exec_lo, exec_lo, s18
	v_or_b32_e32 v5, v20, v18
	v_or_b32_e32 v7, v19, v17
	;; [unrolled: 1-line block ×4, first 2 shown]
	s_mov_b32 s18, s17
	v_mul_f32_e32 v62, s18, v5
	v_mul_f32_e32 v63, s17, v7
	;; [unrolled: 1-line block ×4, first 2 shown]
	s_and_saveexec_b32 s21, vcc_lo
	s_cbranch_execz .LBB185_588
; %bb.587:                              ;   in Loop: Header=BB185_519 Depth=1
	v_cmp_gt_i32_e64 s0, s33, v56
	v_cndmask_b32_e64 v63, 0, v63, s0
	v_cmp_gt_i32_e64 s0, s33, v59
	v_cndmask_b32_e64 v62, 0, v62, s0
	;; [unrolled: 2-line block ×4, first 2 shown]
.LBB185_588:                            ;   in Loop: Header=BB185_519 Depth=1
	s_or_b32 exec_lo, exec_lo, s21
	global_load_dword v64, v[15:16], off offset:256
	v_mov_b32_e32 v19, 0
	v_mov_b32_e32 v17, 0
	;; [unrolled: 1-line block ×4, first 2 shown]
	s_waitcnt vmcnt(0)
	v_cmp_ne_u16_sdwa s0, v64, v6 src0_sel:BYTE_0 src1_sel:DWORD
	s_and_saveexec_b32 s21, s0
	s_cbranch_execz .LBB185_596
; %bb.589:                              ;   in Loop: Header=BB185_519 Depth=1
	v_bfrev_b32_e32 v17, 1
	v_mov_b32_e32 v18, 0
	v_cmp_ne_u16_sdwa s0, v64, v44 src0_sel:BYTE_0 src1_sel:DWORD
	s_and_saveexec_b32 s22, s0
	s_cbranch_execz .LBB185_595
; %bb.590:                              ;   in Loop: Header=BB185_519 Depth=1
	v_mov_b32_e32 v17, 0x7f800001
	v_and_b32_e32 v9, 0x7f, v64
	v_mov_b32_e32 v18, 0
	s_mov_b32 s26, exec_lo
	v_cmpx_ne_u32_e32 0x7f, v9
	s_cbranch_execz .LBB185_594
; %bb.591:                              ;   in Loop: Header=BB185_519 Depth=1
	v_and_b32_e32 v5, 7, v64
	v_lshrrev_b32_e32 v7, 3, v9
	s_mov_b32 s27, exec_lo
	v_cmpx_gt_u32_e32 8, v9
; %bb.592:                              ;   in Loop: Header=BB185_519 Depth=1
	v_ffbh_u32_e32 v7, v5
	v_min_u32_e32 v7, 32, v7
	v_subrev_nc_u32_e32 v9, 28, v7
	v_sub_nc_u32_e32 v7, 29, v7
	v_lshlrev_b64 v[17:18], v9, v[5:6]
	v_and_b32_e32 v5, 7, v17
; %bb.593:                              ;   in Loop: Header=BB185_519 Depth=1
	s_or_b32 exec_lo, exec_lo, s27
	v_lshlrev_b32_e32 v9, 24, v64
	v_lshlrev_b32_e32 v5, 20, v5
	v_lshl_add_u32 v7, v7, 23, 0x3c000000
	v_and_b32_e32 v9, 0x80000000, v9
	v_or3_b32 v5, v5, v9, v7
	v_mov_b32_e32 v18, v6
	v_mov_b32_e32 v17, v5
.LBB185_594:                            ;   in Loop: Header=BB185_519 Depth=1
	s_or_b32 exec_lo, exec_lo, s26
.LBB185_595:                            ;   in Loop: Header=BB185_519 Depth=1
	s_or_b32 exec_lo, exec_lo, s22
.LBB185_596:                            ;   in Loop: Header=BB185_519 Depth=1
	s_or_b32 exec_lo, exec_lo, s21
	v_cmp_ne_u16_sdwa s0, v64, v6 src0_sel:BYTE_1 src1_sel:DWORD
	s_and_saveexec_b32 s21, s0
	s_cbranch_execz .LBB185_604
; %bb.597:                              ;   in Loop: Header=BB185_519 Depth=1
	v_mov_b32_e32 v7, v6
	v_mov_b32_e32 v20, v8
	v_cmp_ne_u16_sdwa s0, v64, v44 src0_sel:BYTE_1 src1_sel:DWORD
	v_mov_b32_e32 v19, v7
	s_and_saveexec_b32 s22, s0
	s_cbranch_execz .LBB185_603
; %bb.598:                              ;   in Loop: Header=BB185_519 Depth=1
	v_and_b32_sdwa v5, v45, v64 dst_sel:DWORD dst_unused:UNUSED_PAD src0_sel:DWORD src1_sel:BYTE_1
	v_mov_b32_e32 v9, v6
	v_mov_b32_e32 v20, v10
	s_mov_b32 s26, exec_lo
	v_and_b32_e32 v21, 0x7f, v5
	v_mov_b32_e32 v19, v9
	v_cmpx_ne_u32_e32 0x7f, v21
	s_cbranch_execz .LBB185_602
; %bb.599:                              ;   in Loop: Header=BB185_519 Depth=1
	v_and_b32_e32 v5, 7, v5
	v_lshrrev_b32_e32 v7, 3, v21
	s_mov_b32 s27, exec_lo
	v_cmpx_gt_u32_e32 8, v21
; %bb.600:                              ;   in Loop: Header=BB185_519 Depth=1
	v_ffbh_u32_e32 v7, v5
	v_min_u32_e32 v7, 32, v7
	v_subrev_nc_u32_e32 v9, 28, v7
	v_sub_nc_u32_e32 v7, 29, v7
	v_lshlrev_b64 v[19:20], v9, v[5:6]
	v_and_b32_e32 v5, 7, v19
; %bb.601:                              ;   in Loop: Header=BB185_519 Depth=1
	s_or_b32 exec_lo, exec_lo, s27
	v_lshlrev_b32_e32 v9, 16, v64
	v_lshlrev_b32_e32 v5, 20, v5
	v_lshl_add_u32 v7, v7, 23, 0x3c000000
	v_mov_b32_e32 v19, v6
	v_and_b32_e32 v9, 0x80000000, v9
	v_or3_b32 v20, v5, v9, v7
.LBB185_602:                            ;   in Loop: Header=BB185_519 Depth=1
	s_or_b32 exec_lo, exec_lo, s26
.LBB185_603:                            ;   in Loop: Header=BB185_519 Depth=1
	s_or_b32 exec_lo, exec_lo, s22
.LBB185_604:                            ;   in Loop: Header=BB185_519 Depth=1
	s_or_b32 exec_lo, exec_lo, s21
	v_mov_b32_e32 v23, 0
	v_mov_b32_e32 v21, 0
	v_and_b32_sdwa v5, v64, v46 dst_sel:DWORD dst_unused:UNUSED_PAD src0_sel:WORD_1 src1_sel:DWORD
	v_mov_b32_e32 v24, 0
	v_mov_b32_e32 v22, 0
	s_mov_b32 s21, exec_lo
	v_cmpx_ne_u16_e32 0, v5
	s_cbranch_execz .LBB185_612
; %bb.605:                              ;   in Loop: Header=BB185_519 Depth=1
	v_bfrev_b32_e32 v21, 1
	v_mov_b32_e32 v22, 0
	s_mov_b32 s22, exec_lo
	v_cmpx_ne_u16_e32 0x80, v5
	s_cbranch_execz .LBB185_611
; %bb.606:                              ;   in Loop: Header=BB185_519 Depth=1
	v_mov_b32_e32 v21, 0x7f800001
	v_bfe_u32 v9, v64, 16, 7
	v_mov_b32_e32 v22, 0
	s_mov_b32 s26, exec_lo
	v_cmpx_ne_u32_e32 0x7f, v9
	s_cbranch_execz .LBB185_610
; %bb.607:                              ;   in Loop: Header=BB185_519 Depth=1
	v_and_b32_sdwa v5, v64, v47 dst_sel:DWORD dst_unused:UNUSED_PAD src0_sel:WORD_1 src1_sel:DWORD
	v_lshrrev_b32_e32 v7, 3, v9
	s_mov_b32 s27, exec_lo
	v_cmpx_gt_u32_e32 8, v9
; %bb.608:                              ;   in Loop: Header=BB185_519 Depth=1
	v_ffbh_u32_e32 v7, v5
	v_min_u32_e32 v7, 32, v7
	v_subrev_nc_u32_e32 v9, 28, v7
	v_sub_nc_u32_e32 v7, 29, v7
	v_lshlrev_b64 v[21:22], v9, v[5:6]
	v_and_b32_e32 v5, 7, v21
; %bb.609:                              ;   in Loop: Header=BB185_519 Depth=1
	s_or_b32 exec_lo, exec_lo, s27
	v_lshlrev_b32_sdwa v9, v48, v64 dst_sel:DWORD dst_unused:UNUSED_PAD src0_sel:DWORD src1_sel:WORD_1
	v_lshlrev_b32_e32 v5, 20, v5
	v_lshl_add_u32 v7, v7, 23, 0x3c000000
	v_and_b32_e32 v9, 0x80000000, v9
	v_or3_b32 v5, v5, v9, v7
	v_mov_b32_e32 v22, v6
	v_mov_b32_e32 v21, v5
.LBB185_610:                            ;   in Loop: Header=BB185_519 Depth=1
	s_or_b32 exec_lo, exec_lo, s26
.LBB185_611:                            ;   in Loop: Header=BB185_519 Depth=1
	s_or_b32 exec_lo, exec_lo, s22
.LBB185_612:                            ;   in Loop: Header=BB185_519 Depth=1
	s_or_b32 exec_lo, exec_lo, s21
	s_mov_b32 s21, exec_lo
	v_cmpx_lt_u32_e32 0xffffff, v64
	s_cbranch_execz .LBB185_620
; %bb.613:                              ;   in Loop: Header=BB185_519 Depth=1
	v_mov_b32_e32 v7, v6
	v_mov_b32_e32 v24, v8
	v_cmp_ne_u32_sdwa s0, v64, v44 src0_sel:BYTE_3 src1_sel:DWORD
	v_mov_b32_e32 v23, v7
	s_and_saveexec_b32 s22, s0
	s_cbranch_execz .LBB185_619
; %bb.614:                              ;   in Loop: Header=BB185_519 Depth=1
	v_mov_b32_e32 v9, v6
	v_mov_b32_e32 v24, v10
	v_bfe_u32 v65, v64, 24, 7
	s_mov_b32 s26, exec_lo
	v_mov_b32_e32 v23, v9
	v_cmpx_ne_u32_e32 0x7f, v65
	s_cbranch_execz .LBB185_618
; %bb.615:                              ;   in Loop: Header=BB185_519 Depth=1
	v_and_b32_sdwa v5, v64, v47 dst_sel:DWORD dst_unused:UNUSED_PAD src0_sel:BYTE_3 src1_sel:DWORD
	v_lshrrev_b32_e32 v7, 3, v65
	s_mov_b32 s27, exec_lo
	v_cmpx_gt_u32_e32 8, v65
; %bb.616:                              ;   in Loop: Header=BB185_519 Depth=1
	v_ffbh_u32_e32 v7, v5
	v_min_u32_e32 v7, 32, v7
	v_subrev_nc_u32_e32 v9, 28, v7
	v_sub_nc_u32_e32 v7, 29, v7
	v_lshlrev_b64 v[23:24], v9, v[5:6]
	v_and_b32_e32 v5, 7, v23
; %bb.617:                              ;   in Loop: Header=BB185_519 Depth=1
	s_or_b32 exec_lo, exec_lo, s27
	v_lshlrev_b32_sdwa v9, v48, v64 dst_sel:DWORD dst_unused:UNUSED_PAD src0_sel:DWORD src1_sel:BYTE_3
	v_lshlrev_b32_e32 v5, 20, v5
	v_lshl_add_u32 v7, v7, 23, 0x3c000000
	v_mov_b32_e32 v23, v6
	v_and_b32_e32 v9, 0x80000000, v9
	v_or3_b32 v24, v5, v9, v7
.LBB185_618:                            ;   in Loop: Header=BB185_519 Depth=1
	s_or_b32 exec_lo, exec_lo, s26
.LBB185_619:                            ;   in Loop: Header=BB185_519 Depth=1
	s_or_b32 exec_lo, exec_lo, s22
.LBB185_620:                            ;   in Loop: Header=BB185_519 Depth=1
	s_or_b32 exec_lo, exec_lo, s21
	v_or_b32_e32 v5, v20, v18
	v_or_b32_e32 v7, v19, v17
	v_or_b32_e32 v9, v23, v21
	v_or_b32_e32 v17, v24, v22
	v_mul_f32_e32 v66, s18, v5
	v_mul_f32_e32 v67, s17, v7
	;; [unrolled: 1-line block ×4, first 2 shown]
	s_and_saveexec_b32 s21, vcc_lo
	s_cbranch_execz .LBB185_622
; %bb.621:                              ;   in Loop: Header=BB185_519 Depth=1
	v_cmp_gt_i32_e64 s0, s33, v56
	v_cndmask_b32_e64 v67, 0, v67, s0
	v_cmp_gt_i32_e64 s0, s33, v59
	v_cndmask_b32_e64 v66, 0, v66, s0
	;; [unrolled: 2-line block ×4, first 2 shown]
.LBB185_622:                            ;   in Loop: Header=BB185_519 Depth=1
	s_or_b32 exec_lo, exec_lo, s21
	global_load_dword v68, v[15:16], off offset:384
	v_mov_b32_e32 v19, 0
	v_mov_b32_e32 v17, 0
	;; [unrolled: 1-line block ×4, first 2 shown]
	s_waitcnt vmcnt(0)
	v_cmp_ne_u16_sdwa s0, v68, v6 src0_sel:BYTE_0 src1_sel:DWORD
	s_and_saveexec_b32 s21, s0
	s_cbranch_execz .LBB185_630
; %bb.623:                              ;   in Loop: Header=BB185_519 Depth=1
	v_bfrev_b32_e32 v17, 1
	v_mov_b32_e32 v18, 0
	v_cmp_ne_u16_sdwa s0, v68, v44 src0_sel:BYTE_0 src1_sel:DWORD
	s_and_saveexec_b32 s22, s0
	s_cbranch_execz .LBB185_629
; %bb.624:                              ;   in Loop: Header=BB185_519 Depth=1
	v_mov_b32_e32 v17, 0x7f800001
	v_and_b32_e32 v9, 0x7f, v68
	v_mov_b32_e32 v18, 0
	s_mov_b32 s26, exec_lo
	v_cmpx_ne_u32_e32 0x7f, v9
	s_cbranch_execz .LBB185_628
; %bb.625:                              ;   in Loop: Header=BB185_519 Depth=1
	v_and_b32_e32 v5, 7, v68
	v_lshrrev_b32_e32 v7, 3, v9
	s_mov_b32 s27, exec_lo
	v_cmpx_gt_u32_e32 8, v9
; %bb.626:                              ;   in Loop: Header=BB185_519 Depth=1
	v_ffbh_u32_e32 v7, v5
	v_min_u32_e32 v7, 32, v7
	v_subrev_nc_u32_e32 v9, 28, v7
	v_sub_nc_u32_e32 v7, 29, v7
	v_lshlrev_b64 v[17:18], v9, v[5:6]
	v_and_b32_e32 v5, 7, v17
; %bb.627:                              ;   in Loop: Header=BB185_519 Depth=1
	s_or_b32 exec_lo, exec_lo, s27
	v_lshlrev_b32_e32 v9, 24, v68
	v_lshlrev_b32_e32 v5, 20, v5
	v_lshl_add_u32 v7, v7, 23, 0x3c000000
	v_and_b32_e32 v9, 0x80000000, v9
	v_or3_b32 v5, v5, v9, v7
	v_mov_b32_e32 v18, v6
	v_mov_b32_e32 v17, v5
.LBB185_628:                            ;   in Loop: Header=BB185_519 Depth=1
	s_or_b32 exec_lo, exec_lo, s26
.LBB185_629:                            ;   in Loop: Header=BB185_519 Depth=1
	s_or_b32 exec_lo, exec_lo, s22
.LBB185_630:                            ;   in Loop: Header=BB185_519 Depth=1
	s_or_b32 exec_lo, exec_lo, s21
	v_cmp_ne_u16_sdwa s0, v68, v6 src0_sel:BYTE_1 src1_sel:DWORD
	s_and_saveexec_b32 s21, s0
	s_cbranch_execz .LBB185_638
; %bb.631:                              ;   in Loop: Header=BB185_519 Depth=1
	v_mov_b32_e32 v7, v6
	v_mov_b32_e32 v20, v8
	v_cmp_ne_u16_sdwa s0, v68, v44 src0_sel:BYTE_1 src1_sel:DWORD
	v_mov_b32_e32 v19, v7
	s_and_saveexec_b32 s22, s0
	s_cbranch_execz .LBB185_637
; %bb.632:                              ;   in Loop: Header=BB185_519 Depth=1
	v_and_b32_sdwa v5, v45, v68 dst_sel:DWORD dst_unused:UNUSED_PAD src0_sel:DWORD src1_sel:BYTE_1
	v_mov_b32_e32 v9, v6
	v_mov_b32_e32 v20, v10
	s_mov_b32 s26, exec_lo
	v_and_b32_e32 v21, 0x7f, v5
	v_mov_b32_e32 v19, v9
	v_cmpx_ne_u32_e32 0x7f, v21
	s_cbranch_execz .LBB185_636
; %bb.633:                              ;   in Loop: Header=BB185_519 Depth=1
	v_and_b32_e32 v5, 7, v5
	v_lshrrev_b32_e32 v7, 3, v21
	s_mov_b32 s27, exec_lo
	v_cmpx_gt_u32_e32 8, v21
; %bb.634:                              ;   in Loop: Header=BB185_519 Depth=1
	v_ffbh_u32_e32 v7, v5
	v_min_u32_e32 v7, 32, v7
	v_subrev_nc_u32_e32 v9, 28, v7
	v_sub_nc_u32_e32 v7, 29, v7
	v_lshlrev_b64 v[19:20], v9, v[5:6]
	v_and_b32_e32 v5, 7, v19
; %bb.635:                              ;   in Loop: Header=BB185_519 Depth=1
	s_or_b32 exec_lo, exec_lo, s27
	v_lshlrev_b32_e32 v9, 16, v68
	v_lshlrev_b32_e32 v5, 20, v5
	v_lshl_add_u32 v7, v7, 23, 0x3c000000
	v_mov_b32_e32 v19, v6
	v_and_b32_e32 v9, 0x80000000, v9
	v_or3_b32 v20, v5, v9, v7
.LBB185_636:                            ;   in Loop: Header=BB185_519 Depth=1
	s_or_b32 exec_lo, exec_lo, s26
.LBB185_637:                            ;   in Loop: Header=BB185_519 Depth=1
	s_or_b32 exec_lo, exec_lo, s22
.LBB185_638:                            ;   in Loop: Header=BB185_519 Depth=1
	s_or_b32 exec_lo, exec_lo, s21
	v_mov_b32_e32 v23, 0
	v_mov_b32_e32 v21, 0
	v_and_b32_sdwa v5, v68, v46 dst_sel:DWORD dst_unused:UNUSED_PAD src0_sel:WORD_1 src1_sel:DWORD
	v_mov_b32_e32 v24, 0
	v_mov_b32_e32 v22, 0
	s_mov_b32 s21, exec_lo
	v_cmpx_ne_u16_e32 0, v5
	s_cbranch_execz .LBB185_646
; %bb.639:                              ;   in Loop: Header=BB185_519 Depth=1
	v_bfrev_b32_e32 v21, 1
	v_mov_b32_e32 v22, 0
	s_mov_b32 s22, exec_lo
	v_cmpx_ne_u16_e32 0x80, v5
	s_cbranch_execz .LBB185_645
; %bb.640:                              ;   in Loop: Header=BB185_519 Depth=1
	v_mov_b32_e32 v21, 0x7f800001
	v_bfe_u32 v9, v68, 16, 7
	v_mov_b32_e32 v22, 0
	s_mov_b32 s26, exec_lo
	v_cmpx_ne_u32_e32 0x7f, v9
	s_cbranch_execz .LBB185_644
; %bb.641:                              ;   in Loop: Header=BB185_519 Depth=1
	v_and_b32_sdwa v5, v68, v47 dst_sel:DWORD dst_unused:UNUSED_PAD src0_sel:WORD_1 src1_sel:DWORD
	v_lshrrev_b32_e32 v7, 3, v9
	s_mov_b32 s27, exec_lo
	v_cmpx_gt_u32_e32 8, v9
; %bb.642:                              ;   in Loop: Header=BB185_519 Depth=1
	v_ffbh_u32_e32 v7, v5
	v_min_u32_e32 v7, 32, v7
	v_subrev_nc_u32_e32 v9, 28, v7
	v_sub_nc_u32_e32 v7, 29, v7
	v_lshlrev_b64 v[21:22], v9, v[5:6]
	v_and_b32_e32 v5, 7, v21
; %bb.643:                              ;   in Loop: Header=BB185_519 Depth=1
	s_or_b32 exec_lo, exec_lo, s27
	v_lshlrev_b32_sdwa v9, v48, v68 dst_sel:DWORD dst_unused:UNUSED_PAD src0_sel:DWORD src1_sel:WORD_1
	v_lshlrev_b32_e32 v5, 20, v5
	v_lshl_add_u32 v7, v7, 23, 0x3c000000
	v_and_b32_e32 v9, 0x80000000, v9
	v_or3_b32 v5, v5, v9, v7
	v_mov_b32_e32 v22, v6
	v_mov_b32_e32 v21, v5
.LBB185_644:                            ;   in Loop: Header=BB185_519 Depth=1
	s_or_b32 exec_lo, exec_lo, s26
.LBB185_645:                            ;   in Loop: Header=BB185_519 Depth=1
	s_or_b32 exec_lo, exec_lo, s22
.LBB185_646:                            ;   in Loop: Header=BB185_519 Depth=1
	s_or_b32 exec_lo, exec_lo, s21
	s_mov_b32 s21, exec_lo
	v_cmpx_lt_u32_e32 0xffffff, v68
	s_cbranch_execz .LBB185_654
; %bb.647:                              ;   in Loop: Header=BB185_519 Depth=1
	v_mov_b32_e32 v7, v6
	v_mov_b32_e32 v24, v8
	v_cmp_ne_u32_sdwa s0, v68, v44 src0_sel:BYTE_3 src1_sel:DWORD
	v_mov_b32_e32 v23, v7
	s_and_saveexec_b32 s22, s0
	s_cbranch_execz .LBB185_653
; %bb.648:                              ;   in Loop: Header=BB185_519 Depth=1
	v_mov_b32_e32 v9, v6
	v_mov_b32_e32 v24, v10
	v_bfe_u32 v69, v68, 24, 7
	s_mov_b32 s26, exec_lo
	v_mov_b32_e32 v23, v9
	v_cmpx_ne_u32_e32 0x7f, v69
	s_cbranch_execz .LBB185_652
; %bb.649:                              ;   in Loop: Header=BB185_519 Depth=1
	v_and_b32_sdwa v5, v68, v47 dst_sel:DWORD dst_unused:UNUSED_PAD src0_sel:BYTE_3 src1_sel:DWORD
	v_lshrrev_b32_e32 v7, 3, v69
	s_mov_b32 s27, exec_lo
	v_cmpx_gt_u32_e32 8, v69
; %bb.650:                              ;   in Loop: Header=BB185_519 Depth=1
	v_ffbh_u32_e32 v7, v5
	v_min_u32_e32 v7, 32, v7
	v_subrev_nc_u32_e32 v9, 28, v7
	v_sub_nc_u32_e32 v7, 29, v7
	v_lshlrev_b64 v[23:24], v9, v[5:6]
	v_and_b32_e32 v5, 7, v23
; %bb.651:                              ;   in Loop: Header=BB185_519 Depth=1
	s_or_b32 exec_lo, exec_lo, s27
	v_lshlrev_b32_sdwa v9, v48, v68 dst_sel:DWORD dst_unused:UNUSED_PAD src0_sel:DWORD src1_sel:BYTE_3
	v_lshlrev_b32_e32 v5, 20, v5
	v_lshl_add_u32 v7, v7, 23, 0x3c000000
	v_mov_b32_e32 v23, v6
	v_and_b32_e32 v9, 0x80000000, v9
	v_or3_b32 v24, v5, v9, v7
.LBB185_652:                            ;   in Loop: Header=BB185_519 Depth=1
	s_or_b32 exec_lo, exec_lo, s26
.LBB185_653:                            ;   in Loop: Header=BB185_519 Depth=1
	s_or_b32 exec_lo, exec_lo, s22
.LBB185_654:                            ;   in Loop: Header=BB185_519 Depth=1
	s_or_b32 exec_lo, exec_lo, s21
	v_or_b32_e32 v5, v20, v18
	v_or_b32_e32 v7, v19, v17
	;; [unrolled: 1-line block ×4, first 2 shown]
	v_mul_f32_e32 v70, s18, v5
	v_mul_f32_e32 v71, s17, v7
	;; [unrolled: 1-line block ×4, first 2 shown]
	s_and_saveexec_b32 s21, vcc_lo
	s_cbranch_execz .LBB185_656
; %bb.655:                              ;   in Loop: Header=BB185_519 Depth=1
	v_cmp_gt_i32_e64 s0, s33, v56
	v_cndmask_b32_e64 v71, 0, v71, s0
	v_cmp_gt_i32_e64 s0, s33, v59
	v_cndmask_b32_e64 v70, 0, v70, s0
	;; [unrolled: 2-line block ×4, first 2 shown]
.LBB185_656:                            ;   in Loop: Header=BB185_519 Depth=1
	s_or_b32 exec_lo, exec_lo, s21
	global_load_dword v72, v[15:16], off offset:512
	v_mov_b32_e32 v19, 0
	v_mov_b32_e32 v17, 0
	;; [unrolled: 1-line block ×4, first 2 shown]
	s_waitcnt vmcnt(0)
	v_cmp_ne_u16_sdwa s0, v72, v6 src0_sel:BYTE_0 src1_sel:DWORD
	s_and_saveexec_b32 s21, s0
	s_cbranch_execz .LBB185_664
; %bb.657:                              ;   in Loop: Header=BB185_519 Depth=1
	v_bfrev_b32_e32 v17, 1
	v_mov_b32_e32 v18, 0
	v_cmp_ne_u16_sdwa s0, v72, v44 src0_sel:BYTE_0 src1_sel:DWORD
	s_and_saveexec_b32 s22, s0
	s_cbranch_execz .LBB185_663
; %bb.658:                              ;   in Loop: Header=BB185_519 Depth=1
	v_mov_b32_e32 v17, 0x7f800001
	v_and_b32_e32 v9, 0x7f, v72
	v_mov_b32_e32 v18, 0
	s_mov_b32 s26, exec_lo
	v_cmpx_ne_u32_e32 0x7f, v9
	s_cbranch_execz .LBB185_662
; %bb.659:                              ;   in Loop: Header=BB185_519 Depth=1
	v_and_b32_e32 v5, 7, v72
	v_lshrrev_b32_e32 v7, 3, v9
	s_mov_b32 s27, exec_lo
	v_cmpx_gt_u32_e32 8, v9
; %bb.660:                              ;   in Loop: Header=BB185_519 Depth=1
	v_ffbh_u32_e32 v7, v5
	v_min_u32_e32 v7, 32, v7
	v_subrev_nc_u32_e32 v9, 28, v7
	v_sub_nc_u32_e32 v7, 29, v7
	v_lshlrev_b64 v[17:18], v9, v[5:6]
	v_and_b32_e32 v5, 7, v17
; %bb.661:                              ;   in Loop: Header=BB185_519 Depth=1
	s_or_b32 exec_lo, exec_lo, s27
	v_lshlrev_b32_e32 v9, 24, v72
	v_lshlrev_b32_e32 v5, 20, v5
	v_lshl_add_u32 v7, v7, 23, 0x3c000000
	v_and_b32_e32 v9, 0x80000000, v9
	v_or3_b32 v5, v5, v9, v7
	v_mov_b32_e32 v18, v6
	v_mov_b32_e32 v17, v5
.LBB185_662:                            ;   in Loop: Header=BB185_519 Depth=1
	s_or_b32 exec_lo, exec_lo, s26
.LBB185_663:                            ;   in Loop: Header=BB185_519 Depth=1
	s_or_b32 exec_lo, exec_lo, s22
.LBB185_664:                            ;   in Loop: Header=BB185_519 Depth=1
	s_or_b32 exec_lo, exec_lo, s21
	v_cmp_ne_u16_sdwa s0, v72, v6 src0_sel:BYTE_1 src1_sel:DWORD
	s_and_saveexec_b32 s21, s0
	s_cbranch_execz .LBB185_672
; %bb.665:                              ;   in Loop: Header=BB185_519 Depth=1
	v_mov_b32_e32 v7, v6
	v_mov_b32_e32 v20, v8
	v_cmp_ne_u16_sdwa s0, v72, v44 src0_sel:BYTE_1 src1_sel:DWORD
	v_mov_b32_e32 v19, v7
	s_and_saveexec_b32 s22, s0
	s_cbranch_execz .LBB185_671
; %bb.666:                              ;   in Loop: Header=BB185_519 Depth=1
	v_and_b32_sdwa v5, v45, v72 dst_sel:DWORD dst_unused:UNUSED_PAD src0_sel:DWORD src1_sel:BYTE_1
	v_mov_b32_e32 v9, v6
	v_mov_b32_e32 v20, v10
	s_mov_b32 s26, exec_lo
	v_and_b32_e32 v21, 0x7f, v5
	v_mov_b32_e32 v19, v9
	v_cmpx_ne_u32_e32 0x7f, v21
	s_cbranch_execz .LBB185_670
; %bb.667:                              ;   in Loop: Header=BB185_519 Depth=1
	v_and_b32_e32 v5, 7, v5
	v_lshrrev_b32_e32 v7, 3, v21
	s_mov_b32 s27, exec_lo
	v_cmpx_gt_u32_e32 8, v21
; %bb.668:                              ;   in Loop: Header=BB185_519 Depth=1
	v_ffbh_u32_e32 v7, v5
	v_min_u32_e32 v7, 32, v7
	v_subrev_nc_u32_e32 v9, 28, v7
	v_sub_nc_u32_e32 v7, 29, v7
	v_lshlrev_b64 v[19:20], v9, v[5:6]
	v_and_b32_e32 v5, 7, v19
; %bb.669:                              ;   in Loop: Header=BB185_519 Depth=1
	s_or_b32 exec_lo, exec_lo, s27
	v_lshlrev_b32_e32 v9, 16, v72
	v_lshlrev_b32_e32 v5, 20, v5
	v_lshl_add_u32 v7, v7, 23, 0x3c000000
	v_mov_b32_e32 v19, v6
	v_and_b32_e32 v9, 0x80000000, v9
	v_or3_b32 v20, v5, v9, v7
.LBB185_670:                            ;   in Loop: Header=BB185_519 Depth=1
	s_or_b32 exec_lo, exec_lo, s26
.LBB185_671:                            ;   in Loop: Header=BB185_519 Depth=1
	s_or_b32 exec_lo, exec_lo, s22
.LBB185_672:                            ;   in Loop: Header=BB185_519 Depth=1
	s_or_b32 exec_lo, exec_lo, s21
	v_mov_b32_e32 v23, 0
	v_mov_b32_e32 v21, 0
	v_and_b32_sdwa v5, v72, v46 dst_sel:DWORD dst_unused:UNUSED_PAD src0_sel:WORD_1 src1_sel:DWORD
	v_mov_b32_e32 v24, 0
	v_mov_b32_e32 v22, 0
	s_mov_b32 s21, exec_lo
	v_cmpx_ne_u16_e32 0, v5
	s_cbranch_execz .LBB185_680
; %bb.673:                              ;   in Loop: Header=BB185_519 Depth=1
	v_bfrev_b32_e32 v21, 1
	v_mov_b32_e32 v22, 0
	s_mov_b32 s22, exec_lo
	v_cmpx_ne_u16_e32 0x80, v5
	s_cbranch_execz .LBB185_679
; %bb.674:                              ;   in Loop: Header=BB185_519 Depth=1
	v_mov_b32_e32 v21, 0x7f800001
	v_bfe_u32 v9, v72, 16, 7
	v_mov_b32_e32 v22, 0
	s_mov_b32 s26, exec_lo
	v_cmpx_ne_u32_e32 0x7f, v9
	s_cbranch_execz .LBB185_678
; %bb.675:                              ;   in Loop: Header=BB185_519 Depth=1
	v_and_b32_sdwa v5, v72, v47 dst_sel:DWORD dst_unused:UNUSED_PAD src0_sel:WORD_1 src1_sel:DWORD
	v_lshrrev_b32_e32 v7, 3, v9
	s_mov_b32 s27, exec_lo
	v_cmpx_gt_u32_e32 8, v9
; %bb.676:                              ;   in Loop: Header=BB185_519 Depth=1
	v_ffbh_u32_e32 v7, v5
	v_min_u32_e32 v7, 32, v7
	v_subrev_nc_u32_e32 v9, 28, v7
	v_sub_nc_u32_e32 v7, 29, v7
	v_lshlrev_b64 v[21:22], v9, v[5:6]
	v_and_b32_e32 v5, 7, v21
; %bb.677:                              ;   in Loop: Header=BB185_519 Depth=1
	s_or_b32 exec_lo, exec_lo, s27
	v_lshlrev_b32_sdwa v9, v48, v72 dst_sel:DWORD dst_unused:UNUSED_PAD src0_sel:DWORD src1_sel:WORD_1
	v_lshlrev_b32_e32 v5, 20, v5
	v_lshl_add_u32 v7, v7, 23, 0x3c000000
	v_and_b32_e32 v9, 0x80000000, v9
	v_or3_b32 v5, v5, v9, v7
	v_mov_b32_e32 v22, v6
	v_mov_b32_e32 v21, v5
.LBB185_678:                            ;   in Loop: Header=BB185_519 Depth=1
	s_or_b32 exec_lo, exec_lo, s26
.LBB185_679:                            ;   in Loop: Header=BB185_519 Depth=1
	s_or_b32 exec_lo, exec_lo, s22
.LBB185_680:                            ;   in Loop: Header=BB185_519 Depth=1
	s_or_b32 exec_lo, exec_lo, s21
	s_mov_b32 s21, exec_lo
	v_cmpx_lt_u32_e32 0xffffff, v72
	s_cbranch_execz .LBB185_688
; %bb.681:                              ;   in Loop: Header=BB185_519 Depth=1
	v_mov_b32_e32 v7, v6
	v_mov_b32_e32 v24, v8
	v_cmp_ne_u32_sdwa s0, v72, v44 src0_sel:BYTE_3 src1_sel:DWORD
	v_mov_b32_e32 v23, v7
	s_and_saveexec_b32 s22, s0
	s_cbranch_execz .LBB185_687
; %bb.682:                              ;   in Loop: Header=BB185_519 Depth=1
	v_mov_b32_e32 v9, v6
	v_mov_b32_e32 v24, v10
	v_bfe_u32 v73, v72, 24, 7
	s_mov_b32 s26, exec_lo
	v_mov_b32_e32 v23, v9
	v_cmpx_ne_u32_e32 0x7f, v73
	s_cbranch_execz .LBB185_686
; %bb.683:                              ;   in Loop: Header=BB185_519 Depth=1
	v_and_b32_sdwa v5, v72, v47 dst_sel:DWORD dst_unused:UNUSED_PAD src0_sel:BYTE_3 src1_sel:DWORD
	v_lshrrev_b32_e32 v7, 3, v73
	s_mov_b32 s27, exec_lo
	v_cmpx_gt_u32_e32 8, v73
; %bb.684:                              ;   in Loop: Header=BB185_519 Depth=1
	v_ffbh_u32_e32 v7, v5
	v_min_u32_e32 v7, 32, v7
	v_subrev_nc_u32_e32 v9, 28, v7
	v_sub_nc_u32_e32 v7, 29, v7
	v_lshlrev_b64 v[23:24], v9, v[5:6]
	v_and_b32_e32 v5, 7, v23
; %bb.685:                              ;   in Loop: Header=BB185_519 Depth=1
	s_or_b32 exec_lo, exec_lo, s27
	v_lshlrev_b32_sdwa v9, v48, v72 dst_sel:DWORD dst_unused:UNUSED_PAD src0_sel:DWORD src1_sel:BYTE_3
	v_lshlrev_b32_e32 v5, 20, v5
	v_lshl_add_u32 v7, v7, 23, 0x3c000000
	v_mov_b32_e32 v23, v6
	v_and_b32_e32 v9, 0x80000000, v9
	v_or3_b32 v24, v5, v9, v7
.LBB185_686:                            ;   in Loop: Header=BB185_519 Depth=1
	s_or_b32 exec_lo, exec_lo, s26
.LBB185_687:                            ;   in Loop: Header=BB185_519 Depth=1
	s_or_b32 exec_lo, exec_lo, s22
.LBB185_688:                            ;   in Loop: Header=BB185_519 Depth=1
	s_or_b32 exec_lo, exec_lo, s21
	v_or_b32_e32 v5, v20, v18
	v_or_b32_e32 v7, v19, v17
	;; [unrolled: 1-line block ×4, first 2 shown]
	v_mul_f32_e32 v74, s18, v5
	v_mul_f32_e32 v75, s17, v7
	;; [unrolled: 1-line block ×4, first 2 shown]
	s_and_saveexec_b32 s21, vcc_lo
	s_cbranch_execz .LBB185_690
; %bb.689:                              ;   in Loop: Header=BB185_519 Depth=1
	v_cmp_gt_i32_e64 s0, s33, v56
	v_cndmask_b32_e64 v75, 0, v75, s0
	v_cmp_gt_i32_e64 s0, s33, v59
	v_cndmask_b32_e64 v74, 0, v74, s0
	;; [unrolled: 2-line block ×4, first 2 shown]
.LBB185_690:                            ;   in Loop: Header=BB185_519 Depth=1
	s_or_b32 exec_lo, exec_lo, s21
	global_load_dword v76, v[15:16], off offset:640
	v_mov_b32_e32 v19, 0
	v_mov_b32_e32 v17, 0
	;; [unrolled: 1-line block ×4, first 2 shown]
	s_waitcnt vmcnt(0)
	v_cmp_ne_u16_sdwa s0, v76, v6 src0_sel:BYTE_0 src1_sel:DWORD
	s_and_saveexec_b32 s21, s0
	s_cbranch_execz .LBB185_698
; %bb.691:                              ;   in Loop: Header=BB185_519 Depth=1
	v_bfrev_b32_e32 v17, 1
	v_mov_b32_e32 v18, 0
	v_cmp_ne_u16_sdwa s0, v76, v44 src0_sel:BYTE_0 src1_sel:DWORD
	s_and_saveexec_b32 s22, s0
	s_cbranch_execz .LBB185_697
; %bb.692:                              ;   in Loop: Header=BB185_519 Depth=1
	v_mov_b32_e32 v17, 0x7f800001
	v_and_b32_e32 v9, 0x7f, v76
	v_mov_b32_e32 v18, 0
	s_mov_b32 s26, exec_lo
	v_cmpx_ne_u32_e32 0x7f, v9
	s_cbranch_execz .LBB185_696
; %bb.693:                              ;   in Loop: Header=BB185_519 Depth=1
	v_and_b32_e32 v5, 7, v76
	v_lshrrev_b32_e32 v7, 3, v9
	s_mov_b32 s27, exec_lo
	v_cmpx_gt_u32_e32 8, v9
; %bb.694:                              ;   in Loop: Header=BB185_519 Depth=1
	v_ffbh_u32_e32 v7, v5
	v_min_u32_e32 v7, 32, v7
	v_subrev_nc_u32_e32 v9, 28, v7
	v_sub_nc_u32_e32 v7, 29, v7
	v_lshlrev_b64 v[17:18], v9, v[5:6]
	v_and_b32_e32 v5, 7, v17
; %bb.695:                              ;   in Loop: Header=BB185_519 Depth=1
	s_or_b32 exec_lo, exec_lo, s27
	v_lshlrev_b32_e32 v9, 24, v76
	v_lshlrev_b32_e32 v5, 20, v5
	v_lshl_add_u32 v7, v7, 23, 0x3c000000
	v_and_b32_e32 v9, 0x80000000, v9
	v_or3_b32 v5, v5, v9, v7
	v_mov_b32_e32 v18, v6
	v_mov_b32_e32 v17, v5
.LBB185_696:                            ;   in Loop: Header=BB185_519 Depth=1
	s_or_b32 exec_lo, exec_lo, s26
.LBB185_697:                            ;   in Loop: Header=BB185_519 Depth=1
	s_or_b32 exec_lo, exec_lo, s22
.LBB185_698:                            ;   in Loop: Header=BB185_519 Depth=1
	s_or_b32 exec_lo, exec_lo, s21
	v_cmp_ne_u16_sdwa s0, v76, v6 src0_sel:BYTE_1 src1_sel:DWORD
	s_and_saveexec_b32 s21, s0
	s_cbranch_execz .LBB185_706
; %bb.699:                              ;   in Loop: Header=BB185_519 Depth=1
	v_mov_b32_e32 v7, v6
	v_mov_b32_e32 v20, v8
	v_cmp_ne_u16_sdwa s0, v76, v44 src0_sel:BYTE_1 src1_sel:DWORD
	v_mov_b32_e32 v19, v7
	s_and_saveexec_b32 s22, s0
	s_cbranch_execz .LBB185_705
; %bb.700:                              ;   in Loop: Header=BB185_519 Depth=1
	v_and_b32_sdwa v5, v45, v76 dst_sel:DWORD dst_unused:UNUSED_PAD src0_sel:DWORD src1_sel:BYTE_1
	v_mov_b32_e32 v9, v6
	v_mov_b32_e32 v20, v10
	s_mov_b32 s26, exec_lo
	v_and_b32_e32 v21, 0x7f, v5
	v_mov_b32_e32 v19, v9
	v_cmpx_ne_u32_e32 0x7f, v21
	s_cbranch_execz .LBB185_704
; %bb.701:                              ;   in Loop: Header=BB185_519 Depth=1
	v_and_b32_e32 v5, 7, v5
	v_lshrrev_b32_e32 v7, 3, v21
	s_mov_b32 s27, exec_lo
	v_cmpx_gt_u32_e32 8, v21
; %bb.702:                              ;   in Loop: Header=BB185_519 Depth=1
	v_ffbh_u32_e32 v7, v5
	v_min_u32_e32 v7, 32, v7
	v_subrev_nc_u32_e32 v9, 28, v7
	v_sub_nc_u32_e32 v7, 29, v7
	v_lshlrev_b64 v[19:20], v9, v[5:6]
	v_and_b32_e32 v5, 7, v19
; %bb.703:                              ;   in Loop: Header=BB185_519 Depth=1
	s_or_b32 exec_lo, exec_lo, s27
	v_lshlrev_b32_e32 v9, 16, v76
	v_lshlrev_b32_e32 v5, 20, v5
	v_lshl_add_u32 v7, v7, 23, 0x3c000000
	v_mov_b32_e32 v19, v6
	v_and_b32_e32 v9, 0x80000000, v9
	v_or3_b32 v20, v5, v9, v7
.LBB185_704:                            ;   in Loop: Header=BB185_519 Depth=1
	s_or_b32 exec_lo, exec_lo, s26
.LBB185_705:                            ;   in Loop: Header=BB185_519 Depth=1
	s_or_b32 exec_lo, exec_lo, s22
.LBB185_706:                            ;   in Loop: Header=BB185_519 Depth=1
	s_or_b32 exec_lo, exec_lo, s21
	v_mov_b32_e32 v23, 0
	v_mov_b32_e32 v21, 0
	v_and_b32_sdwa v5, v76, v46 dst_sel:DWORD dst_unused:UNUSED_PAD src0_sel:WORD_1 src1_sel:DWORD
	v_mov_b32_e32 v24, 0
	v_mov_b32_e32 v22, 0
	s_mov_b32 s21, exec_lo
	v_cmpx_ne_u16_e32 0, v5
	s_cbranch_execz .LBB185_714
; %bb.707:                              ;   in Loop: Header=BB185_519 Depth=1
	v_bfrev_b32_e32 v21, 1
	v_mov_b32_e32 v22, 0
	s_mov_b32 s22, exec_lo
	v_cmpx_ne_u16_e32 0x80, v5
	s_cbranch_execz .LBB185_713
; %bb.708:                              ;   in Loop: Header=BB185_519 Depth=1
	v_mov_b32_e32 v21, 0x7f800001
	v_bfe_u32 v9, v76, 16, 7
	v_mov_b32_e32 v22, 0
	s_mov_b32 s26, exec_lo
	v_cmpx_ne_u32_e32 0x7f, v9
	s_cbranch_execz .LBB185_712
; %bb.709:                              ;   in Loop: Header=BB185_519 Depth=1
	v_and_b32_sdwa v5, v76, v47 dst_sel:DWORD dst_unused:UNUSED_PAD src0_sel:WORD_1 src1_sel:DWORD
	v_lshrrev_b32_e32 v7, 3, v9
	s_mov_b32 s27, exec_lo
	v_cmpx_gt_u32_e32 8, v9
; %bb.710:                              ;   in Loop: Header=BB185_519 Depth=1
	v_ffbh_u32_e32 v7, v5
	v_min_u32_e32 v7, 32, v7
	v_subrev_nc_u32_e32 v9, 28, v7
	v_sub_nc_u32_e32 v7, 29, v7
	v_lshlrev_b64 v[21:22], v9, v[5:6]
	v_and_b32_e32 v5, 7, v21
; %bb.711:                              ;   in Loop: Header=BB185_519 Depth=1
	s_or_b32 exec_lo, exec_lo, s27
	v_lshlrev_b32_sdwa v9, v48, v76 dst_sel:DWORD dst_unused:UNUSED_PAD src0_sel:DWORD src1_sel:WORD_1
	v_lshlrev_b32_e32 v5, 20, v5
	v_lshl_add_u32 v7, v7, 23, 0x3c000000
	v_and_b32_e32 v9, 0x80000000, v9
	v_or3_b32 v5, v5, v9, v7
	v_mov_b32_e32 v22, v6
	v_mov_b32_e32 v21, v5
.LBB185_712:                            ;   in Loop: Header=BB185_519 Depth=1
	s_or_b32 exec_lo, exec_lo, s26
.LBB185_713:                            ;   in Loop: Header=BB185_519 Depth=1
	s_or_b32 exec_lo, exec_lo, s22
.LBB185_714:                            ;   in Loop: Header=BB185_519 Depth=1
	s_or_b32 exec_lo, exec_lo, s21
	s_mov_b32 s21, exec_lo
	v_cmpx_lt_u32_e32 0xffffff, v76
	s_cbranch_execz .LBB185_722
; %bb.715:                              ;   in Loop: Header=BB185_519 Depth=1
	v_mov_b32_e32 v7, v6
	v_mov_b32_e32 v24, v8
	v_cmp_ne_u32_sdwa s0, v76, v44 src0_sel:BYTE_3 src1_sel:DWORD
	v_mov_b32_e32 v23, v7
	s_and_saveexec_b32 s22, s0
	s_cbranch_execz .LBB185_721
; %bb.716:                              ;   in Loop: Header=BB185_519 Depth=1
	v_mov_b32_e32 v9, v6
	v_mov_b32_e32 v24, v10
	v_bfe_u32 v77, v76, 24, 7
	s_mov_b32 s26, exec_lo
	v_mov_b32_e32 v23, v9
	v_cmpx_ne_u32_e32 0x7f, v77
	s_cbranch_execz .LBB185_720
; %bb.717:                              ;   in Loop: Header=BB185_519 Depth=1
	v_and_b32_sdwa v5, v76, v47 dst_sel:DWORD dst_unused:UNUSED_PAD src0_sel:BYTE_3 src1_sel:DWORD
	v_lshrrev_b32_e32 v7, 3, v77
	s_mov_b32 s27, exec_lo
	v_cmpx_gt_u32_e32 8, v77
; %bb.718:                              ;   in Loop: Header=BB185_519 Depth=1
	v_ffbh_u32_e32 v7, v5
	v_min_u32_e32 v7, 32, v7
	v_subrev_nc_u32_e32 v9, 28, v7
	v_sub_nc_u32_e32 v7, 29, v7
	v_lshlrev_b64 v[23:24], v9, v[5:6]
	v_and_b32_e32 v5, 7, v23
; %bb.719:                              ;   in Loop: Header=BB185_519 Depth=1
	s_or_b32 exec_lo, exec_lo, s27
	v_lshlrev_b32_sdwa v9, v48, v76 dst_sel:DWORD dst_unused:UNUSED_PAD src0_sel:DWORD src1_sel:BYTE_3
	v_lshlrev_b32_e32 v5, 20, v5
	v_lshl_add_u32 v7, v7, 23, 0x3c000000
	v_mov_b32_e32 v23, v6
	v_and_b32_e32 v9, 0x80000000, v9
	v_or3_b32 v24, v5, v9, v7
.LBB185_720:                            ;   in Loop: Header=BB185_519 Depth=1
	s_or_b32 exec_lo, exec_lo, s26
.LBB185_721:                            ;   in Loop: Header=BB185_519 Depth=1
	s_or_b32 exec_lo, exec_lo, s22
.LBB185_722:                            ;   in Loop: Header=BB185_519 Depth=1
	s_or_b32 exec_lo, exec_lo, s21
	v_or_b32_e32 v5, v20, v18
	v_or_b32_e32 v7, v19, v17
	;; [unrolled: 1-line block ×4, first 2 shown]
	v_mul_f32_e32 v78, s18, v5
	v_mul_f32_e32 v79, s17, v7
	;; [unrolled: 1-line block ×4, first 2 shown]
	s_and_saveexec_b32 s21, vcc_lo
	s_cbranch_execz .LBB185_724
; %bb.723:                              ;   in Loop: Header=BB185_519 Depth=1
	v_cmp_gt_i32_e64 s0, s33, v56
	v_cndmask_b32_e64 v79, 0, v79, s0
	v_cmp_gt_i32_e64 s0, s33, v59
	v_cndmask_b32_e64 v78, 0, v78, s0
	;; [unrolled: 2-line block ×4, first 2 shown]
.LBB185_724:                            ;   in Loop: Header=BB185_519 Depth=1
	s_or_b32 exec_lo, exec_lo, s21
	global_load_dword v80, v[15:16], off offset:768
	v_mov_b32_e32 v19, 0
	v_mov_b32_e32 v17, 0
	;; [unrolled: 1-line block ×4, first 2 shown]
	s_waitcnt vmcnt(0)
	v_cmp_ne_u16_sdwa s0, v80, v6 src0_sel:BYTE_0 src1_sel:DWORD
	s_and_saveexec_b32 s21, s0
	s_cbranch_execz .LBB185_732
; %bb.725:                              ;   in Loop: Header=BB185_519 Depth=1
	v_bfrev_b32_e32 v17, 1
	v_mov_b32_e32 v18, 0
	v_cmp_ne_u16_sdwa s0, v80, v44 src0_sel:BYTE_0 src1_sel:DWORD
	s_and_saveexec_b32 s22, s0
	s_cbranch_execz .LBB185_731
; %bb.726:                              ;   in Loop: Header=BB185_519 Depth=1
	v_mov_b32_e32 v17, 0x7f800001
	v_and_b32_e32 v9, 0x7f, v80
	v_mov_b32_e32 v18, 0
	s_mov_b32 s26, exec_lo
	v_cmpx_ne_u32_e32 0x7f, v9
	s_cbranch_execz .LBB185_730
; %bb.727:                              ;   in Loop: Header=BB185_519 Depth=1
	v_and_b32_e32 v5, 7, v80
	v_lshrrev_b32_e32 v7, 3, v9
	s_mov_b32 s27, exec_lo
	v_cmpx_gt_u32_e32 8, v9
; %bb.728:                              ;   in Loop: Header=BB185_519 Depth=1
	v_ffbh_u32_e32 v7, v5
	v_min_u32_e32 v7, 32, v7
	v_subrev_nc_u32_e32 v9, 28, v7
	v_sub_nc_u32_e32 v7, 29, v7
	v_lshlrev_b64 v[17:18], v9, v[5:6]
	v_and_b32_e32 v5, 7, v17
; %bb.729:                              ;   in Loop: Header=BB185_519 Depth=1
	s_or_b32 exec_lo, exec_lo, s27
	v_lshlrev_b32_e32 v9, 24, v80
	v_lshlrev_b32_e32 v5, 20, v5
	v_lshl_add_u32 v7, v7, 23, 0x3c000000
	v_and_b32_e32 v9, 0x80000000, v9
	v_or3_b32 v5, v5, v9, v7
	v_mov_b32_e32 v18, v6
	v_mov_b32_e32 v17, v5
.LBB185_730:                            ;   in Loop: Header=BB185_519 Depth=1
	s_or_b32 exec_lo, exec_lo, s26
.LBB185_731:                            ;   in Loop: Header=BB185_519 Depth=1
	s_or_b32 exec_lo, exec_lo, s22
.LBB185_732:                            ;   in Loop: Header=BB185_519 Depth=1
	s_or_b32 exec_lo, exec_lo, s21
	v_cmp_ne_u16_sdwa s0, v80, v6 src0_sel:BYTE_1 src1_sel:DWORD
	s_and_saveexec_b32 s21, s0
	s_cbranch_execz .LBB185_740
; %bb.733:                              ;   in Loop: Header=BB185_519 Depth=1
	v_mov_b32_e32 v7, v6
	v_mov_b32_e32 v20, v8
	v_cmp_ne_u16_sdwa s0, v80, v44 src0_sel:BYTE_1 src1_sel:DWORD
	v_mov_b32_e32 v19, v7
	s_and_saveexec_b32 s22, s0
	s_cbranch_execz .LBB185_739
; %bb.734:                              ;   in Loop: Header=BB185_519 Depth=1
	v_and_b32_sdwa v5, v45, v80 dst_sel:DWORD dst_unused:UNUSED_PAD src0_sel:DWORD src1_sel:BYTE_1
	v_mov_b32_e32 v9, v6
	v_mov_b32_e32 v20, v10
	s_mov_b32 s26, exec_lo
	v_and_b32_e32 v21, 0x7f, v5
	v_mov_b32_e32 v19, v9
	v_cmpx_ne_u32_e32 0x7f, v21
	s_cbranch_execz .LBB185_738
; %bb.735:                              ;   in Loop: Header=BB185_519 Depth=1
	v_and_b32_e32 v5, 7, v5
	v_lshrrev_b32_e32 v7, 3, v21
	s_mov_b32 s27, exec_lo
	v_cmpx_gt_u32_e32 8, v21
; %bb.736:                              ;   in Loop: Header=BB185_519 Depth=1
	v_ffbh_u32_e32 v7, v5
	v_min_u32_e32 v7, 32, v7
	v_subrev_nc_u32_e32 v9, 28, v7
	v_sub_nc_u32_e32 v7, 29, v7
	v_lshlrev_b64 v[19:20], v9, v[5:6]
	v_and_b32_e32 v5, 7, v19
; %bb.737:                              ;   in Loop: Header=BB185_519 Depth=1
	s_or_b32 exec_lo, exec_lo, s27
	v_lshlrev_b32_e32 v9, 16, v80
	v_lshlrev_b32_e32 v5, 20, v5
	v_lshl_add_u32 v7, v7, 23, 0x3c000000
	v_mov_b32_e32 v19, v6
	v_and_b32_e32 v9, 0x80000000, v9
	v_or3_b32 v20, v5, v9, v7
.LBB185_738:                            ;   in Loop: Header=BB185_519 Depth=1
	s_or_b32 exec_lo, exec_lo, s26
.LBB185_739:                            ;   in Loop: Header=BB185_519 Depth=1
	s_or_b32 exec_lo, exec_lo, s22
.LBB185_740:                            ;   in Loop: Header=BB185_519 Depth=1
	s_or_b32 exec_lo, exec_lo, s21
	v_mov_b32_e32 v23, 0
	v_mov_b32_e32 v21, 0
	v_and_b32_sdwa v5, v80, v46 dst_sel:DWORD dst_unused:UNUSED_PAD src0_sel:WORD_1 src1_sel:DWORD
	v_mov_b32_e32 v24, 0
	v_mov_b32_e32 v22, 0
	s_mov_b32 s21, exec_lo
	v_cmpx_ne_u16_e32 0, v5
	s_cbranch_execz .LBB185_748
; %bb.741:                              ;   in Loop: Header=BB185_519 Depth=1
	v_bfrev_b32_e32 v21, 1
	v_mov_b32_e32 v22, 0
	s_mov_b32 s22, exec_lo
	v_cmpx_ne_u16_e32 0x80, v5
	s_cbranch_execz .LBB185_747
; %bb.742:                              ;   in Loop: Header=BB185_519 Depth=1
	v_mov_b32_e32 v21, 0x7f800001
	v_bfe_u32 v9, v80, 16, 7
	v_mov_b32_e32 v22, 0
	s_mov_b32 s26, exec_lo
	v_cmpx_ne_u32_e32 0x7f, v9
	s_cbranch_execz .LBB185_746
; %bb.743:                              ;   in Loop: Header=BB185_519 Depth=1
	v_and_b32_sdwa v5, v80, v47 dst_sel:DWORD dst_unused:UNUSED_PAD src0_sel:WORD_1 src1_sel:DWORD
	v_lshrrev_b32_e32 v7, 3, v9
	s_mov_b32 s27, exec_lo
	v_cmpx_gt_u32_e32 8, v9
; %bb.744:                              ;   in Loop: Header=BB185_519 Depth=1
	v_ffbh_u32_e32 v7, v5
	v_min_u32_e32 v7, 32, v7
	v_subrev_nc_u32_e32 v9, 28, v7
	v_sub_nc_u32_e32 v7, 29, v7
	v_lshlrev_b64 v[21:22], v9, v[5:6]
	v_and_b32_e32 v5, 7, v21
; %bb.745:                              ;   in Loop: Header=BB185_519 Depth=1
	s_or_b32 exec_lo, exec_lo, s27
	v_lshlrev_b32_sdwa v9, v48, v80 dst_sel:DWORD dst_unused:UNUSED_PAD src0_sel:DWORD src1_sel:WORD_1
	v_lshlrev_b32_e32 v5, 20, v5
	v_lshl_add_u32 v7, v7, 23, 0x3c000000
	v_and_b32_e32 v9, 0x80000000, v9
	v_or3_b32 v5, v5, v9, v7
	v_mov_b32_e32 v22, v6
	v_mov_b32_e32 v21, v5
.LBB185_746:                            ;   in Loop: Header=BB185_519 Depth=1
	s_or_b32 exec_lo, exec_lo, s26
.LBB185_747:                            ;   in Loop: Header=BB185_519 Depth=1
	s_or_b32 exec_lo, exec_lo, s22
.LBB185_748:                            ;   in Loop: Header=BB185_519 Depth=1
	s_or_b32 exec_lo, exec_lo, s21
	s_mov_b32 s21, exec_lo
	v_cmpx_lt_u32_e32 0xffffff, v80
	s_cbranch_execz .LBB185_756
; %bb.749:                              ;   in Loop: Header=BB185_519 Depth=1
	v_mov_b32_e32 v7, v6
	v_mov_b32_e32 v24, v8
	v_cmp_ne_u32_sdwa s0, v80, v44 src0_sel:BYTE_3 src1_sel:DWORD
	v_mov_b32_e32 v23, v7
	s_and_saveexec_b32 s22, s0
	s_cbranch_execz .LBB185_755
; %bb.750:                              ;   in Loop: Header=BB185_519 Depth=1
	v_mov_b32_e32 v9, v6
	v_mov_b32_e32 v24, v10
	v_bfe_u32 v81, v80, 24, 7
	s_mov_b32 s26, exec_lo
	v_mov_b32_e32 v23, v9
	v_cmpx_ne_u32_e32 0x7f, v81
	s_cbranch_execz .LBB185_754
; %bb.751:                              ;   in Loop: Header=BB185_519 Depth=1
	v_and_b32_sdwa v5, v80, v47 dst_sel:DWORD dst_unused:UNUSED_PAD src0_sel:BYTE_3 src1_sel:DWORD
	v_lshrrev_b32_e32 v7, 3, v81
	s_mov_b32 s27, exec_lo
	v_cmpx_gt_u32_e32 8, v81
; %bb.752:                              ;   in Loop: Header=BB185_519 Depth=1
	v_ffbh_u32_e32 v7, v5
	v_min_u32_e32 v7, 32, v7
	v_subrev_nc_u32_e32 v9, 28, v7
	v_sub_nc_u32_e32 v7, 29, v7
	v_lshlrev_b64 v[23:24], v9, v[5:6]
	v_and_b32_e32 v5, 7, v23
; %bb.753:                              ;   in Loop: Header=BB185_519 Depth=1
	s_or_b32 exec_lo, exec_lo, s27
	v_lshlrev_b32_sdwa v9, v48, v80 dst_sel:DWORD dst_unused:UNUSED_PAD src0_sel:DWORD src1_sel:BYTE_3
	v_lshlrev_b32_e32 v5, 20, v5
	v_lshl_add_u32 v7, v7, 23, 0x3c000000
	v_mov_b32_e32 v23, v6
	v_and_b32_e32 v9, 0x80000000, v9
	v_or3_b32 v24, v5, v9, v7
.LBB185_754:                            ;   in Loop: Header=BB185_519 Depth=1
	s_or_b32 exec_lo, exec_lo, s26
.LBB185_755:                            ;   in Loop: Header=BB185_519 Depth=1
	s_or_b32 exec_lo, exec_lo, s22
.LBB185_756:                            ;   in Loop: Header=BB185_519 Depth=1
	s_or_b32 exec_lo, exec_lo, s21
	v_or_b32_e32 v5, v20, v18
	v_or_b32_e32 v7, v19, v17
	v_or_b32_e32 v9, v23, v21
	v_or_b32_e32 v17, v24, v22
	v_mul_f32_e32 v82, s18, v5
	v_mul_f32_e32 v83, s17, v7
	;; [unrolled: 1-line block ×4, first 2 shown]
	s_and_saveexec_b32 s21, vcc_lo
	s_cbranch_execz .LBB185_758
; %bb.757:                              ;   in Loop: Header=BB185_519 Depth=1
	v_cmp_gt_i32_e64 s0, s33, v56
	v_cndmask_b32_e64 v83, 0, v83, s0
	v_cmp_gt_i32_e64 s0, s33, v59
	v_cndmask_b32_e64 v82, 0, v82, s0
	;; [unrolled: 2-line block ×4, first 2 shown]
.LBB185_758:                            ;   in Loop: Header=BB185_519 Depth=1
	s_or_b32 exec_lo, exec_lo, s21
	global_load_dword v84, v[15:16], off offset:896
	v_mov_b32_e32 v19, 0
	v_mov_b32_e32 v17, 0
	;; [unrolled: 1-line block ×4, first 2 shown]
	s_waitcnt vmcnt(0)
	v_cmp_ne_u16_sdwa s0, v84, v6 src0_sel:BYTE_0 src1_sel:DWORD
	s_and_saveexec_b32 s21, s0
	s_cbranch_execz .LBB185_766
; %bb.759:                              ;   in Loop: Header=BB185_519 Depth=1
	v_bfrev_b32_e32 v17, 1
	v_mov_b32_e32 v18, 0
	v_cmp_ne_u16_sdwa s0, v84, v44 src0_sel:BYTE_0 src1_sel:DWORD
	s_and_saveexec_b32 s22, s0
	s_cbranch_execz .LBB185_765
; %bb.760:                              ;   in Loop: Header=BB185_519 Depth=1
	v_mov_b32_e32 v17, 0x7f800001
	v_and_b32_e32 v9, 0x7f, v84
	v_mov_b32_e32 v18, 0
	s_mov_b32 s26, exec_lo
	v_cmpx_ne_u32_e32 0x7f, v9
	s_cbranch_execz .LBB185_764
; %bb.761:                              ;   in Loop: Header=BB185_519 Depth=1
	v_and_b32_e32 v5, 7, v84
	v_lshrrev_b32_e32 v7, 3, v9
	s_mov_b32 s27, exec_lo
	v_cmpx_gt_u32_e32 8, v9
; %bb.762:                              ;   in Loop: Header=BB185_519 Depth=1
	v_ffbh_u32_e32 v7, v5
	v_min_u32_e32 v7, 32, v7
	v_subrev_nc_u32_e32 v9, 28, v7
	v_sub_nc_u32_e32 v7, 29, v7
	v_lshlrev_b64 v[17:18], v9, v[5:6]
	v_and_b32_e32 v5, 7, v17
; %bb.763:                              ;   in Loop: Header=BB185_519 Depth=1
	s_or_b32 exec_lo, exec_lo, s27
	v_lshlrev_b32_e32 v9, 24, v84
	v_lshlrev_b32_e32 v5, 20, v5
	v_lshl_add_u32 v7, v7, 23, 0x3c000000
	v_and_b32_e32 v9, 0x80000000, v9
	v_or3_b32 v5, v5, v9, v7
	v_mov_b32_e32 v18, v6
	v_mov_b32_e32 v17, v5
.LBB185_764:                            ;   in Loop: Header=BB185_519 Depth=1
	s_or_b32 exec_lo, exec_lo, s26
.LBB185_765:                            ;   in Loop: Header=BB185_519 Depth=1
	s_or_b32 exec_lo, exec_lo, s22
.LBB185_766:                            ;   in Loop: Header=BB185_519 Depth=1
	s_or_b32 exec_lo, exec_lo, s21
	v_cmp_ne_u16_sdwa s0, v84, v6 src0_sel:BYTE_1 src1_sel:DWORD
	s_and_saveexec_b32 s21, s0
	s_cbranch_execz .LBB185_774
; %bb.767:                              ;   in Loop: Header=BB185_519 Depth=1
	v_mov_b32_e32 v7, v6
	v_mov_b32_e32 v20, v8
	v_cmp_ne_u16_sdwa s0, v84, v44 src0_sel:BYTE_1 src1_sel:DWORD
	v_mov_b32_e32 v19, v7
	s_and_saveexec_b32 s22, s0
	s_cbranch_execz .LBB185_773
; %bb.768:                              ;   in Loop: Header=BB185_519 Depth=1
	v_and_b32_sdwa v5, v45, v84 dst_sel:DWORD dst_unused:UNUSED_PAD src0_sel:DWORD src1_sel:BYTE_1
	v_mov_b32_e32 v9, v6
	v_mov_b32_e32 v20, v10
	s_mov_b32 s26, exec_lo
	v_and_b32_e32 v21, 0x7f, v5
	v_mov_b32_e32 v19, v9
	v_cmpx_ne_u32_e32 0x7f, v21
	s_cbranch_execz .LBB185_772
; %bb.769:                              ;   in Loop: Header=BB185_519 Depth=1
	v_and_b32_e32 v5, 7, v5
	v_lshrrev_b32_e32 v7, 3, v21
	s_mov_b32 s27, exec_lo
	v_cmpx_gt_u32_e32 8, v21
; %bb.770:                              ;   in Loop: Header=BB185_519 Depth=1
	v_ffbh_u32_e32 v7, v5
	v_min_u32_e32 v7, 32, v7
	v_subrev_nc_u32_e32 v9, 28, v7
	v_sub_nc_u32_e32 v7, 29, v7
	v_lshlrev_b64 v[19:20], v9, v[5:6]
	v_and_b32_e32 v5, 7, v19
; %bb.771:                              ;   in Loop: Header=BB185_519 Depth=1
	s_or_b32 exec_lo, exec_lo, s27
	v_lshlrev_b32_e32 v9, 16, v84
	v_lshlrev_b32_e32 v5, 20, v5
	v_lshl_add_u32 v7, v7, 23, 0x3c000000
	v_mov_b32_e32 v19, v6
	v_and_b32_e32 v9, 0x80000000, v9
	v_or3_b32 v20, v5, v9, v7
.LBB185_772:                            ;   in Loop: Header=BB185_519 Depth=1
	s_or_b32 exec_lo, exec_lo, s26
.LBB185_773:                            ;   in Loop: Header=BB185_519 Depth=1
	s_or_b32 exec_lo, exec_lo, s22
.LBB185_774:                            ;   in Loop: Header=BB185_519 Depth=1
	s_or_b32 exec_lo, exec_lo, s21
	v_mov_b32_e32 v23, 0
	v_mov_b32_e32 v21, 0
	v_and_b32_sdwa v5, v84, v46 dst_sel:DWORD dst_unused:UNUSED_PAD src0_sel:WORD_1 src1_sel:DWORD
	v_mov_b32_e32 v24, 0
	v_mov_b32_e32 v22, 0
	s_mov_b32 s21, exec_lo
	v_cmpx_ne_u16_e32 0, v5
	s_cbranch_execz .LBB185_782
; %bb.775:                              ;   in Loop: Header=BB185_519 Depth=1
	v_bfrev_b32_e32 v21, 1
	v_mov_b32_e32 v22, 0
	s_mov_b32 s22, exec_lo
	v_cmpx_ne_u16_e32 0x80, v5
	s_cbranch_execz .LBB185_781
; %bb.776:                              ;   in Loop: Header=BB185_519 Depth=1
	v_mov_b32_e32 v21, 0x7f800001
	v_bfe_u32 v9, v84, 16, 7
	v_mov_b32_e32 v22, 0
	s_mov_b32 s26, exec_lo
	v_cmpx_ne_u32_e32 0x7f, v9
	s_cbranch_execz .LBB185_780
; %bb.777:                              ;   in Loop: Header=BB185_519 Depth=1
	v_and_b32_sdwa v5, v84, v47 dst_sel:DWORD dst_unused:UNUSED_PAD src0_sel:WORD_1 src1_sel:DWORD
	v_lshrrev_b32_e32 v7, 3, v9
	s_mov_b32 s27, exec_lo
	v_cmpx_gt_u32_e32 8, v9
; %bb.778:                              ;   in Loop: Header=BB185_519 Depth=1
	v_ffbh_u32_e32 v7, v5
	v_min_u32_e32 v7, 32, v7
	v_subrev_nc_u32_e32 v9, 28, v7
	v_sub_nc_u32_e32 v7, 29, v7
	v_lshlrev_b64 v[21:22], v9, v[5:6]
	v_and_b32_e32 v5, 7, v21
; %bb.779:                              ;   in Loop: Header=BB185_519 Depth=1
	s_or_b32 exec_lo, exec_lo, s27
	v_lshlrev_b32_sdwa v9, v48, v84 dst_sel:DWORD dst_unused:UNUSED_PAD src0_sel:DWORD src1_sel:WORD_1
	v_lshlrev_b32_e32 v5, 20, v5
	v_lshl_add_u32 v7, v7, 23, 0x3c000000
	v_and_b32_e32 v9, 0x80000000, v9
	v_or3_b32 v5, v5, v9, v7
	v_mov_b32_e32 v22, v6
	v_mov_b32_e32 v21, v5
.LBB185_780:                            ;   in Loop: Header=BB185_519 Depth=1
	s_or_b32 exec_lo, exec_lo, s26
.LBB185_781:                            ;   in Loop: Header=BB185_519 Depth=1
	s_or_b32 exec_lo, exec_lo, s22
.LBB185_782:                            ;   in Loop: Header=BB185_519 Depth=1
	s_or_b32 exec_lo, exec_lo, s21
	s_mov_b32 s21, exec_lo
	v_cmpx_lt_u32_e32 0xffffff, v84
	s_cbranch_execz .LBB185_790
; %bb.783:                              ;   in Loop: Header=BB185_519 Depth=1
	v_mov_b32_e32 v7, v6
	v_mov_b32_e32 v24, v8
	v_cmp_ne_u32_sdwa s0, v84, v44 src0_sel:BYTE_3 src1_sel:DWORD
	v_mov_b32_e32 v23, v7
	s_and_saveexec_b32 s22, s0
	s_cbranch_execz .LBB185_789
; %bb.784:                              ;   in Loop: Header=BB185_519 Depth=1
	v_mov_b32_e32 v9, v6
	v_mov_b32_e32 v24, v10
	v_bfe_u32 v85, v84, 24, 7
	s_mov_b32 s26, exec_lo
	v_mov_b32_e32 v23, v9
	v_cmpx_ne_u32_e32 0x7f, v85
	s_cbranch_execz .LBB185_788
; %bb.785:                              ;   in Loop: Header=BB185_519 Depth=1
	v_and_b32_sdwa v5, v84, v47 dst_sel:DWORD dst_unused:UNUSED_PAD src0_sel:BYTE_3 src1_sel:DWORD
	v_lshrrev_b32_e32 v7, 3, v85
	s_mov_b32 s27, exec_lo
	v_cmpx_gt_u32_e32 8, v85
; %bb.786:                              ;   in Loop: Header=BB185_519 Depth=1
	v_ffbh_u32_e32 v7, v5
	v_min_u32_e32 v7, 32, v7
	v_subrev_nc_u32_e32 v9, 28, v7
	v_sub_nc_u32_e32 v7, 29, v7
	v_lshlrev_b64 v[23:24], v9, v[5:6]
	v_and_b32_e32 v5, 7, v23
; %bb.787:                              ;   in Loop: Header=BB185_519 Depth=1
	s_or_b32 exec_lo, exec_lo, s27
	v_lshlrev_b32_sdwa v9, v48, v84 dst_sel:DWORD dst_unused:UNUSED_PAD src0_sel:DWORD src1_sel:BYTE_3
	v_lshlrev_b32_e32 v5, 20, v5
	v_lshl_add_u32 v7, v7, 23, 0x3c000000
	v_mov_b32_e32 v23, v6
	v_and_b32_e32 v9, 0x80000000, v9
	v_or3_b32 v24, v5, v9, v7
.LBB185_788:                            ;   in Loop: Header=BB185_519 Depth=1
	s_or_b32 exec_lo, exec_lo, s26
.LBB185_789:                            ;   in Loop: Header=BB185_519 Depth=1
	s_or_b32 exec_lo, exec_lo, s22
.LBB185_790:                            ;   in Loop: Header=BB185_519 Depth=1
	s_or_b32 exec_lo, exec_lo, s21
	v_or_b32_e32 v5, v20, v18
	v_or_b32_e32 v7, v19, v17
	;; [unrolled: 1-line block ×4, first 2 shown]
	v_mul_f32_e32 v86, s18, v5
	v_mul_f32_e32 v87, s17, v7
	;; [unrolled: 1-line block ×4, first 2 shown]
	s_and_saveexec_b32 s21, vcc_lo
	s_cbranch_execz .LBB185_792
; %bb.791:                              ;   in Loop: Header=BB185_519 Depth=1
	v_cmp_gt_i32_e64 s0, s33, v56
	v_cndmask_b32_e64 v87, 0, v87, s0
	v_cmp_gt_i32_e64 s0, s33, v59
	v_cndmask_b32_e64 v86, 0, v86, s0
	;; [unrolled: 2-line block ×4, first 2 shown]
.LBB185_792:                            ;   in Loop: Header=BB185_519 Depth=1
	s_or_b32 exec_lo, exec_lo, s21
	global_load_dword v88, v[15:16], off offset:1024
	v_mov_b32_e32 v19, 0
	v_mov_b32_e32 v17, 0
	;; [unrolled: 1-line block ×4, first 2 shown]
	s_waitcnt vmcnt(0)
	v_cmp_ne_u16_sdwa s0, v88, v6 src0_sel:BYTE_0 src1_sel:DWORD
	s_and_saveexec_b32 s21, s0
	s_cbranch_execz .LBB185_800
; %bb.793:                              ;   in Loop: Header=BB185_519 Depth=1
	v_bfrev_b32_e32 v17, 1
	v_mov_b32_e32 v18, 0
	v_cmp_ne_u16_sdwa s0, v88, v44 src0_sel:BYTE_0 src1_sel:DWORD
	s_and_saveexec_b32 s22, s0
	s_cbranch_execz .LBB185_799
; %bb.794:                              ;   in Loop: Header=BB185_519 Depth=1
	v_mov_b32_e32 v17, 0x7f800001
	v_and_b32_e32 v9, 0x7f, v88
	v_mov_b32_e32 v18, 0
	s_mov_b32 s26, exec_lo
	v_cmpx_ne_u32_e32 0x7f, v9
	s_cbranch_execz .LBB185_798
; %bb.795:                              ;   in Loop: Header=BB185_519 Depth=1
	v_and_b32_e32 v5, 7, v88
	v_lshrrev_b32_e32 v7, 3, v9
	s_mov_b32 s27, exec_lo
	v_cmpx_gt_u32_e32 8, v9
; %bb.796:                              ;   in Loop: Header=BB185_519 Depth=1
	v_ffbh_u32_e32 v7, v5
	v_min_u32_e32 v7, 32, v7
	v_subrev_nc_u32_e32 v9, 28, v7
	v_sub_nc_u32_e32 v7, 29, v7
	v_lshlrev_b64 v[17:18], v9, v[5:6]
	v_and_b32_e32 v5, 7, v17
; %bb.797:                              ;   in Loop: Header=BB185_519 Depth=1
	s_or_b32 exec_lo, exec_lo, s27
	v_lshlrev_b32_e32 v9, 24, v88
	v_lshlrev_b32_e32 v5, 20, v5
	v_lshl_add_u32 v7, v7, 23, 0x3c000000
	v_and_b32_e32 v9, 0x80000000, v9
	v_or3_b32 v5, v5, v9, v7
	v_mov_b32_e32 v18, v6
	v_mov_b32_e32 v17, v5
.LBB185_798:                            ;   in Loop: Header=BB185_519 Depth=1
	s_or_b32 exec_lo, exec_lo, s26
.LBB185_799:                            ;   in Loop: Header=BB185_519 Depth=1
	s_or_b32 exec_lo, exec_lo, s22
.LBB185_800:                            ;   in Loop: Header=BB185_519 Depth=1
	s_or_b32 exec_lo, exec_lo, s21
	v_cmp_ne_u16_sdwa s0, v88, v6 src0_sel:BYTE_1 src1_sel:DWORD
	s_and_saveexec_b32 s21, s0
	s_cbranch_execz .LBB185_808
; %bb.801:                              ;   in Loop: Header=BB185_519 Depth=1
	v_mov_b32_e32 v7, v6
	v_mov_b32_e32 v20, v8
	v_cmp_ne_u16_sdwa s0, v88, v44 src0_sel:BYTE_1 src1_sel:DWORD
	v_mov_b32_e32 v19, v7
	s_and_saveexec_b32 s22, s0
	s_cbranch_execz .LBB185_807
; %bb.802:                              ;   in Loop: Header=BB185_519 Depth=1
	v_and_b32_sdwa v5, v45, v88 dst_sel:DWORD dst_unused:UNUSED_PAD src0_sel:DWORD src1_sel:BYTE_1
	v_mov_b32_e32 v9, v6
	v_mov_b32_e32 v20, v10
	s_mov_b32 s26, exec_lo
	v_and_b32_e32 v21, 0x7f, v5
	v_mov_b32_e32 v19, v9
	v_cmpx_ne_u32_e32 0x7f, v21
	s_cbranch_execz .LBB185_806
; %bb.803:                              ;   in Loop: Header=BB185_519 Depth=1
	v_and_b32_e32 v5, 7, v5
	v_lshrrev_b32_e32 v7, 3, v21
	s_mov_b32 s27, exec_lo
	v_cmpx_gt_u32_e32 8, v21
; %bb.804:                              ;   in Loop: Header=BB185_519 Depth=1
	v_ffbh_u32_e32 v7, v5
	v_min_u32_e32 v7, 32, v7
	v_subrev_nc_u32_e32 v9, 28, v7
	v_sub_nc_u32_e32 v7, 29, v7
	v_lshlrev_b64 v[19:20], v9, v[5:6]
	v_and_b32_e32 v5, 7, v19
; %bb.805:                              ;   in Loop: Header=BB185_519 Depth=1
	s_or_b32 exec_lo, exec_lo, s27
	v_lshlrev_b32_e32 v9, 16, v88
	v_lshlrev_b32_e32 v5, 20, v5
	v_lshl_add_u32 v7, v7, 23, 0x3c000000
	v_mov_b32_e32 v19, v6
	v_and_b32_e32 v9, 0x80000000, v9
	v_or3_b32 v20, v5, v9, v7
.LBB185_806:                            ;   in Loop: Header=BB185_519 Depth=1
	s_or_b32 exec_lo, exec_lo, s26
.LBB185_807:                            ;   in Loop: Header=BB185_519 Depth=1
	s_or_b32 exec_lo, exec_lo, s22
.LBB185_808:                            ;   in Loop: Header=BB185_519 Depth=1
	s_or_b32 exec_lo, exec_lo, s21
	v_mov_b32_e32 v23, 0
	v_mov_b32_e32 v21, 0
	v_and_b32_sdwa v5, v88, v46 dst_sel:DWORD dst_unused:UNUSED_PAD src0_sel:WORD_1 src1_sel:DWORD
	v_mov_b32_e32 v24, 0
	v_mov_b32_e32 v22, 0
	s_mov_b32 s21, exec_lo
	v_cmpx_ne_u16_e32 0, v5
	s_cbranch_execz .LBB185_816
; %bb.809:                              ;   in Loop: Header=BB185_519 Depth=1
	v_bfrev_b32_e32 v21, 1
	v_mov_b32_e32 v22, 0
	s_mov_b32 s22, exec_lo
	v_cmpx_ne_u16_e32 0x80, v5
	s_cbranch_execz .LBB185_815
; %bb.810:                              ;   in Loop: Header=BB185_519 Depth=1
	v_mov_b32_e32 v21, 0x7f800001
	v_bfe_u32 v9, v88, 16, 7
	v_mov_b32_e32 v22, 0
	s_mov_b32 s26, exec_lo
	v_cmpx_ne_u32_e32 0x7f, v9
	s_cbranch_execz .LBB185_814
; %bb.811:                              ;   in Loop: Header=BB185_519 Depth=1
	v_and_b32_sdwa v5, v88, v47 dst_sel:DWORD dst_unused:UNUSED_PAD src0_sel:WORD_1 src1_sel:DWORD
	v_lshrrev_b32_e32 v7, 3, v9
	s_mov_b32 s27, exec_lo
	v_cmpx_gt_u32_e32 8, v9
; %bb.812:                              ;   in Loop: Header=BB185_519 Depth=1
	v_ffbh_u32_e32 v7, v5
	v_min_u32_e32 v7, 32, v7
	v_subrev_nc_u32_e32 v9, 28, v7
	v_sub_nc_u32_e32 v7, 29, v7
	v_lshlrev_b64 v[21:22], v9, v[5:6]
	v_and_b32_e32 v5, 7, v21
; %bb.813:                              ;   in Loop: Header=BB185_519 Depth=1
	s_or_b32 exec_lo, exec_lo, s27
	v_lshlrev_b32_sdwa v9, v48, v88 dst_sel:DWORD dst_unused:UNUSED_PAD src0_sel:DWORD src1_sel:WORD_1
	v_lshlrev_b32_e32 v5, 20, v5
	v_lshl_add_u32 v7, v7, 23, 0x3c000000
	v_and_b32_e32 v9, 0x80000000, v9
	v_or3_b32 v5, v5, v9, v7
	v_mov_b32_e32 v22, v6
	v_mov_b32_e32 v21, v5
.LBB185_814:                            ;   in Loop: Header=BB185_519 Depth=1
	s_or_b32 exec_lo, exec_lo, s26
.LBB185_815:                            ;   in Loop: Header=BB185_519 Depth=1
	s_or_b32 exec_lo, exec_lo, s22
.LBB185_816:                            ;   in Loop: Header=BB185_519 Depth=1
	s_or_b32 exec_lo, exec_lo, s21
	s_mov_b32 s21, exec_lo
	v_cmpx_lt_u32_e32 0xffffff, v88
	s_cbranch_execz .LBB185_824
; %bb.817:                              ;   in Loop: Header=BB185_519 Depth=1
	v_mov_b32_e32 v7, v6
	v_mov_b32_e32 v24, v8
	v_cmp_ne_u32_sdwa s0, v88, v44 src0_sel:BYTE_3 src1_sel:DWORD
	v_mov_b32_e32 v23, v7
	s_and_saveexec_b32 s22, s0
	s_cbranch_execz .LBB185_823
; %bb.818:                              ;   in Loop: Header=BB185_519 Depth=1
	v_mov_b32_e32 v9, v6
	v_mov_b32_e32 v24, v10
	v_bfe_u32 v89, v88, 24, 7
	s_mov_b32 s26, exec_lo
	v_mov_b32_e32 v23, v9
	v_cmpx_ne_u32_e32 0x7f, v89
	s_cbranch_execz .LBB185_822
; %bb.819:                              ;   in Loop: Header=BB185_519 Depth=1
	v_and_b32_sdwa v5, v88, v47 dst_sel:DWORD dst_unused:UNUSED_PAD src0_sel:BYTE_3 src1_sel:DWORD
	v_lshrrev_b32_e32 v7, 3, v89
	s_mov_b32 s27, exec_lo
	v_cmpx_gt_u32_e32 8, v89
; %bb.820:                              ;   in Loop: Header=BB185_519 Depth=1
	v_ffbh_u32_e32 v7, v5
	v_min_u32_e32 v7, 32, v7
	v_subrev_nc_u32_e32 v9, 28, v7
	v_sub_nc_u32_e32 v7, 29, v7
	v_lshlrev_b64 v[23:24], v9, v[5:6]
	v_and_b32_e32 v5, 7, v23
; %bb.821:                              ;   in Loop: Header=BB185_519 Depth=1
	s_or_b32 exec_lo, exec_lo, s27
	v_lshlrev_b32_sdwa v9, v48, v88 dst_sel:DWORD dst_unused:UNUSED_PAD src0_sel:DWORD src1_sel:BYTE_3
	v_lshlrev_b32_e32 v5, 20, v5
	v_lshl_add_u32 v7, v7, 23, 0x3c000000
	v_mov_b32_e32 v23, v6
	v_and_b32_e32 v9, 0x80000000, v9
	v_or3_b32 v24, v5, v9, v7
.LBB185_822:                            ;   in Loop: Header=BB185_519 Depth=1
	s_or_b32 exec_lo, exec_lo, s26
.LBB185_823:                            ;   in Loop: Header=BB185_519 Depth=1
	s_or_b32 exec_lo, exec_lo, s22
.LBB185_824:                            ;   in Loop: Header=BB185_519 Depth=1
	s_or_b32 exec_lo, exec_lo, s21
	v_or_b32_e32 v5, v20, v18
	v_or_b32_e32 v7, v19, v17
	;; [unrolled: 1-line block ×4, first 2 shown]
	v_mul_f32_e32 v90, s18, v5
	v_mul_f32_e32 v91, s17, v7
	;; [unrolled: 1-line block ×4, first 2 shown]
	s_and_saveexec_b32 s21, vcc_lo
	s_cbranch_execz .LBB185_826
; %bb.825:                              ;   in Loop: Header=BB185_519 Depth=1
	v_cmp_gt_i32_e64 s0, s33, v56
	v_cndmask_b32_e64 v91, 0, v91, s0
	v_cmp_gt_i32_e64 s0, s33, v59
	v_cndmask_b32_e64 v90, 0, v90, s0
	;; [unrolled: 2-line block ×4, first 2 shown]
.LBB185_826:                            ;   in Loop: Header=BB185_519 Depth=1
	s_or_b32 exec_lo, exec_lo, s21
	global_load_dword v92, v[15:16], off offset:1152
	v_mov_b32_e32 v19, 0
	v_mov_b32_e32 v17, 0
	v_mov_b32_e32 v20, 0
	v_mov_b32_e32 v18, 0
	s_waitcnt vmcnt(0)
	v_cmp_ne_u16_sdwa s0, v92, v6 src0_sel:BYTE_0 src1_sel:DWORD
	s_and_saveexec_b32 s21, s0
	s_cbranch_execz .LBB185_834
; %bb.827:                              ;   in Loop: Header=BB185_519 Depth=1
	v_bfrev_b32_e32 v17, 1
	v_mov_b32_e32 v18, 0
	v_cmp_ne_u16_sdwa s0, v92, v44 src0_sel:BYTE_0 src1_sel:DWORD
	s_and_saveexec_b32 s22, s0
	s_cbranch_execz .LBB185_833
; %bb.828:                              ;   in Loop: Header=BB185_519 Depth=1
	v_mov_b32_e32 v17, 0x7f800001
	v_and_b32_e32 v9, 0x7f, v92
	v_mov_b32_e32 v18, 0
	s_mov_b32 s26, exec_lo
	v_cmpx_ne_u32_e32 0x7f, v9
	s_cbranch_execz .LBB185_832
; %bb.829:                              ;   in Loop: Header=BB185_519 Depth=1
	v_and_b32_e32 v5, 7, v92
	v_lshrrev_b32_e32 v7, 3, v9
	s_mov_b32 s27, exec_lo
	v_cmpx_gt_u32_e32 8, v9
; %bb.830:                              ;   in Loop: Header=BB185_519 Depth=1
	v_ffbh_u32_e32 v7, v5
	v_min_u32_e32 v7, 32, v7
	v_subrev_nc_u32_e32 v9, 28, v7
	v_sub_nc_u32_e32 v7, 29, v7
	v_lshlrev_b64 v[17:18], v9, v[5:6]
	v_and_b32_e32 v5, 7, v17
; %bb.831:                              ;   in Loop: Header=BB185_519 Depth=1
	s_or_b32 exec_lo, exec_lo, s27
	v_lshlrev_b32_e32 v9, 24, v92
	v_lshlrev_b32_e32 v5, 20, v5
	v_lshl_add_u32 v7, v7, 23, 0x3c000000
	v_and_b32_e32 v9, 0x80000000, v9
	v_or3_b32 v5, v5, v9, v7
	v_mov_b32_e32 v18, v6
	v_mov_b32_e32 v17, v5
.LBB185_832:                            ;   in Loop: Header=BB185_519 Depth=1
	s_or_b32 exec_lo, exec_lo, s26
.LBB185_833:                            ;   in Loop: Header=BB185_519 Depth=1
	s_or_b32 exec_lo, exec_lo, s22
.LBB185_834:                            ;   in Loop: Header=BB185_519 Depth=1
	s_or_b32 exec_lo, exec_lo, s21
	v_cmp_ne_u16_sdwa s0, v92, v6 src0_sel:BYTE_1 src1_sel:DWORD
	s_and_saveexec_b32 s21, s0
	s_cbranch_execz .LBB185_842
; %bb.835:                              ;   in Loop: Header=BB185_519 Depth=1
	v_mov_b32_e32 v7, v6
	v_mov_b32_e32 v20, v8
	v_cmp_ne_u16_sdwa s0, v92, v44 src0_sel:BYTE_1 src1_sel:DWORD
	v_mov_b32_e32 v19, v7
	s_and_saveexec_b32 s22, s0
	s_cbranch_execz .LBB185_841
; %bb.836:                              ;   in Loop: Header=BB185_519 Depth=1
	v_and_b32_sdwa v5, v45, v92 dst_sel:DWORD dst_unused:UNUSED_PAD src0_sel:DWORD src1_sel:BYTE_1
	v_mov_b32_e32 v9, v6
	v_mov_b32_e32 v20, v10
	s_mov_b32 s26, exec_lo
	v_and_b32_e32 v21, 0x7f, v5
	v_mov_b32_e32 v19, v9
	v_cmpx_ne_u32_e32 0x7f, v21
	s_cbranch_execz .LBB185_840
; %bb.837:                              ;   in Loop: Header=BB185_519 Depth=1
	v_and_b32_e32 v5, 7, v5
	v_lshrrev_b32_e32 v7, 3, v21
	s_mov_b32 s27, exec_lo
	v_cmpx_gt_u32_e32 8, v21
; %bb.838:                              ;   in Loop: Header=BB185_519 Depth=1
	v_ffbh_u32_e32 v7, v5
	v_min_u32_e32 v7, 32, v7
	v_subrev_nc_u32_e32 v9, 28, v7
	v_sub_nc_u32_e32 v7, 29, v7
	v_lshlrev_b64 v[19:20], v9, v[5:6]
	v_and_b32_e32 v5, 7, v19
; %bb.839:                              ;   in Loop: Header=BB185_519 Depth=1
	s_or_b32 exec_lo, exec_lo, s27
	v_lshlrev_b32_e32 v9, 16, v92
	v_lshlrev_b32_e32 v5, 20, v5
	v_lshl_add_u32 v7, v7, 23, 0x3c000000
	v_mov_b32_e32 v19, v6
	v_and_b32_e32 v9, 0x80000000, v9
	v_or3_b32 v20, v5, v9, v7
.LBB185_840:                            ;   in Loop: Header=BB185_519 Depth=1
	s_or_b32 exec_lo, exec_lo, s26
.LBB185_841:                            ;   in Loop: Header=BB185_519 Depth=1
	s_or_b32 exec_lo, exec_lo, s22
.LBB185_842:                            ;   in Loop: Header=BB185_519 Depth=1
	s_or_b32 exec_lo, exec_lo, s21
	v_mov_b32_e32 v23, 0
	v_mov_b32_e32 v21, 0
	v_and_b32_sdwa v5, v92, v46 dst_sel:DWORD dst_unused:UNUSED_PAD src0_sel:WORD_1 src1_sel:DWORD
	v_mov_b32_e32 v24, 0
	v_mov_b32_e32 v22, 0
	s_mov_b32 s21, exec_lo
	v_cmpx_ne_u16_e32 0, v5
	s_cbranch_execz .LBB185_850
; %bb.843:                              ;   in Loop: Header=BB185_519 Depth=1
	v_bfrev_b32_e32 v21, 1
	v_mov_b32_e32 v22, 0
	s_mov_b32 s22, exec_lo
	v_cmpx_ne_u16_e32 0x80, v5
	s_cbranch_execz .LBB185_849
; %bb.844:                              ;   in Loop: Header=BB185_519 Depth=1
	v_mov_b32_e32 v21, 0x7f800001
	v_bfe_u32 v9, v92, 16, 7
	v_mov_b32_e32 v22, 0
	s_mov_b32 s26, exec_lo
	v_cmpx_ne_u32_e32 0x7f, v9
	s_cbranch_execz .LBB185_848
; %bb.845:                              ;   in Loop: Header=BB185_519 Depth=1
	v_and_b32_sdwa v5, v92, v47 dst_sel:DWORD dst_unused:UNUSED_PAD src0_sel:WORD_1 src1_sel:DWORD
	v_lshrrev_b32_e32 v7, 3, v9
	s_mov_b32 s27, exec_lo
	v_cmpx_gt_u32_e32 8, v9
; %bb.846:                              ;   in Loop: Header=BB185_519 Depth=1
	v_ffbh_u32_e32 v7, v5
	v_min_u32_e32 v7, 32, v7
	v_subrev_nc_u32_e32 v9, 28, v7
	v_sub_nc_u32_e32 v7, 29, v7
	v_lshlrev_b64 v[21:22], v9, v[5:6]
	v_and_b32_e32 v5, 7, v21
; %bb.847:                              ;   in Loop: Header=BB185_519 Depth=1
	s_or_b32 exec_lo, exec_lo, s27
	v_lshlrev_b32_sdwa v9, v48, v92 dst_sel:DWORD dst_unused:UNUSED_PAD src0_sel:DWORD src1_sel:WORD_1
	v_lshlrev_b32_e32 v5, 20, v5
	v_lshl_add_u32 v7, v7, 23, 0x3c000000
	v_and_b32_e32 v9, 0x80000000, v9
	v_or3_b32 v5, v5, v9, v7
	v_mov_b32_e32 v22, v6
	v_mov_b32_e32 v21, v5
.LBB185_848:                            ;   in Loop: Header=BB185_519 Depth=1
	s_or_b32 exec_lo, exec_lo, s26
.LBB185_849:                            ;   in Loop: Header=BB185_519 Depth=1
	s_or_b32 exec_lo, exec_lo, s22
.LBB185_850:                            ;   in Loop: Header=BB185_519 Depth=1
	s_or_b32 exec_lo, exec_lo, s21
	s_mov_b32 s21, exec_lo
	v_cmpx_lt_u32_e32 0xffffff, v92
	s_cbranch_execz .LBB185_858
; %bb.851:                              ;   in Loop: Header=BB185_519 Depth=1
	v_mov_b32_e32 v7, v6
	v_mov_b32_e32 v24, v8
	v_cmp_ne_u32_sdwa s0, v92, v44 src0_sel:BYTE_3 src1_sel:DWORD
	v_mov_b32_e32 v23, v7
	s_and_saveexec_b32 s22, s0
	s_cbranch_execz .LBB185_857
; %bb.852:                              ;   in Loop: Header=BB185_519 Depth=1
	v_mov_b32_e32 v9, v6
	v_mov_b32_e32 v24, v10
	v_bfe_u32 v93, v92, 24, 7
	s_mov_b32 s26, exec_lo
	v_mov_b32_e32 v23, v9
	v_cmpx_ne_u32_e32 0x7f, v93
	s_cbranch_execz .LBB185_856
; %bb.853:                              ;   in Loop: Header=BB185_519 Depth=1
	v_and_b32_sdwa v5, v92, v47 dst_sel:DWORD dst_unused:UNUSED_PAD src0_sel:BYTE_3 src1_sel:DWORD
	v_lshrrev_b32_e32 v7, 3, v93
	s_mov_b32 s27, exec_lo
	v_cmpx_gt_u32_e32 8, v93
; %bb.854:                              ;   in Loop: Header=BB185_519 Depth=1
	v_ffbh_u32_e32 v7, v5
	v_min_u32_e32 v7, 32, v7
	v_subrev_nc_u32_e32 v9, 28, v7
	v_sub_nc_u32_e32 v7, 29, v7
	v_lshlrev_b64 v[23:24], v9, v[5:6]
	v_and_b32_e32 v5, 7, v23
; %bb.855:                              ;   in Loop: Header=BB185_519 Depth=1
	s_or_b32 exec_lo, exec_lo, s27
	v_lshlrev_b32_sdwa v9, v48, v92 dst_sel:DWORD dst_unused:UNUSED_PAD src0_sel:DWORD src1_sel:BYTE_3
	v_lshlrev_b32_e32 v5, 20, v5
	v_lshl_add_u32 v7, v7, 23, 0x3c000000
	v_mov_b32_e32 v23, v6
	v_and_b32_e32 v9, 0x80000000, v9
	v_or3_b32 v24, v5, v9, v7
.LBB185_856:                            ;   in Loop: Header=BB185_519 Depth=1
	s_or_b32 exec_lo, exec_lo, s26
.LBB185_857:                            ;   in Loop: Header=BB185_519 Depth=1
	s_or_b32 exec_lo, exec_lo, s22
.LBB185_858:                            ;   in Loop: Header=BB185_519 Depth=1
	s_or_b32 exec_lo, exec_lo, s21
	v_or_b32_e32 v5, v20, v18
	v_or_b32_e32 v7, v19, v17
	;; [unrolled: 1-line block ×4, first 2 shown]
	v_mul_f32_e32 v94, s18, v5
	v_mul_f32_e32 v95, s17, v7
	v_mul_f32_e32 v93, s17, v9
	v_mul_f32_e32 v92, s18, v17
	s_and_saveexec_b32 s21, vcc_lo
	s_cbranch_execz .LBB185_860
; %bb.859:                              ;   in Loop: Header=BB185_519 Depth=1
	v_cmp_gt_i32_e64 s0, s33, v56
	v_cndmask_b32_e64 v95, 0, v95, s0
	v_cmp_gt_i32_e64 s0, s33, v59
	v_cndmask_b32_e64 v94, 0, v94, s0
	;; [unrolled: 2-line block ×4, first 2 shown]
.LBB185_860:                            ;   in Loop: Header=BB185_519 Depth=1
	s_or_b32 exec_lo, exec_lo, s21
	global_load_dword v96, v[15:16], off offset:1280
	v_mov_b32_e32 v19, 0
	v_mov_b32_e32 v17, 0
	v_mov_b32_e32 v20, 0
	v_mov_b32_e32 v18, 0
	s_waitcnt vmcnt(0)
	v_cmp_ne_u16_sdwa s0, v96, v6 src0_sel:BYTE_0 src1_sel:DWORD
	s_and_saveexec_b32 s21, s0
	s_cbranch_execz .LBB185_868
; %bb.861:                              ;   in Loop: Header=BB185_519 Depth=1
	v_bfrev_b32_e32 v17, 1
	v_mov_b32_e32 v18, 0
	v_cmp_ne_u16_sdwa s0, v96, v44 src0_sel:BYTE_0 src1_sel:DWORD
	s_and_saveexec_b32 s22, s0
	s_cbranch_execz .LBB185_867
; %bb.862:                              ;   in Loop: Header=BB185_519 Depth=1
	v_mov_b32_e32 v17, 0x7f800001
	v_and_b32_e32 v9, 0x7f, v96
	v_mov_b32_e32 v18, 0
	s_mov_b32 s26, exec_lo
	v_cmpx_ne_u32_e32 0x7f, v9
	s_cbranch_execz .LBB185_866
; %bb.863:                              ;   in Loop: Header=BB185_519 Depth=1
	v_and_b32_e32 v5, 7, v96
	v_lshrrev_b32_e32 v7, 3, v9
	s_mov_b32 s27, exec_lo
	v_cmpx_gt_u32_e32 8, v9
; %bb.864:                              ;   in Loop: Header=BB185_519 Depth=1
	v_ffbh_u32_e32 v7, v5
	v_min_u32_e32 v7, 32, v7
	v_subrev_nc_u32_e32 v9, 28, v7
	v_sub_nc_u32_e32 v7, 29, v7
	v_lshlrev_b64 v[17:18], v9, v[5:6]
	v_and_b32_e32 v5, 7, v17
; %bb.865:                              ;   in Loop: Header=BB185_519 Depth=1
	s_or_b32 exec_lo, exec_lo, s27
	v_lshlrev_b32_e32 v9, 24, v96
	v_lshlrev_b32_e32 v5, 20, v5
	v_lshl_add_u32 v7, v7, 23, 0x3c000000
	v_and_b32_e32 v9, 0x80000000, v9
	v_or3_b32 v5, v5, v9, v7
	v_mov_b32_e32 v18, v6
	v_mov_b32_e32 v17, v5
.LBB185_866:                            ;   in Loop: Header=BB185_519 Depth=1
	s_or_b32 exec_lo, exec_lo, s26
.LBB185_867:                            ;   in Loop: Header=BB185_519 Depth=1
	s_or_b32 exec_lo, exec_lo, s22
.LBB185_868:                            ;   in Loop: Header=BB185_519 Depth=1
	s_or_b32 exec_lo, exec_lo, s21
	v_cmp_ne_u16_sdwa s0, v96, v6 src0_sel:BYTE_1 src1_sel:DWORD
	s_and_saveexec_b32 s21, s0
	s_cbranch_execz .LBB185_876
; %bb.869:                              ;   in Loop: Header=BB185_519 Depth=1
	v_mov_b32_e32 v7, v6
	v_mov_b32_e32 v20, v8
	v_cmp_ne_u16_sdwa s0, v96, v44 src0_sel:BYTE_1 src1_sel:DWORD
	v_mov_b32_e32 v19, v7
	s_and_saveexec_b32 s22, s0
	s_cbranch_execz .LBB185_875
; %bb.870:                              ;   in Loop: Header=BB185_519 Depth=1
	v_and_b32_sdwa v5, v45, v96 dst_sel:DWORD dst_unused:UNUSED_PAD src0_sel:DWORD src1_sel:BYTE_1
	v_mov_b32_e32 v9, v6
	v_mov_b32_e32 v20, v10
	s_mov_b32 s26, exec_lo
	v_and_b32_e32 v21, 0x7f, v5
	v_mov_b32_e32 v19, v9
	v_cmpx_ne_u32_e32 0x7f, v21
	s_cbranch_execz .LBB185_874
; %bb.871:                              ;   in Loop: Header=BB185_519 Depth=1
	v_and_b32_e32 v5, 7, v5
	v_lshrrev_b32_e32 v7, 3, v21
	s_mov_b32 s27, exec_lo
	v_cmpx_gt_u32_e32 8, v21
; %bb.872:                              ;   in Loop: Header=BB185_519 Depth=1
	v_ffbh_u32_e32 v7, v5
	v_min_u32_e32 v7, 32, v7
	v_subrev_nc_u32_e32 v9, 28, v7
	v_sub_nc_u32_e32 v7, 29, v7
	v_lshlrev_b64 v[19:20], v9, v[5:6]
	v_and_b32_e32 v5, 7, v19
; %bb.873:                              ;   in Loop: Header=BB185_519 Depth=1
	s_or_b32 exec_lo, exec_lo, s27
	v_lshlrev_b32_e32 v9, 16, v96
	v_lshlrev_b32_e32 v5, 20, v5
	v_lshl_add_u32 v7, v7, 23, 0x3c000000
	v_mov_b32_e32 v19, v6
	v_and_b32_e32 v9, 0x80000000, v9
	v_or3_b32 v20, v5, v9, v7
.LBB185_874:                            ;   in Loop: Header=BB185_519 Depth=1
	s_or_b32 exec_lo, exec_lo, s26
.LBB185_875:                            ;   in Loop: Header=BB185_519 Depth=1
	s_or_b32 exec_lo, exec_lo, s22
.LBB185_876:                            ;   in Loop: Header=BB185_519 Depth=1
	s_or_b32 exec_lo, exec_lo, s21
	v_mov_b32_e32 v23, 0
	v_mov_b32_e32 v21, 0
	v_and_b32_sdwa v5, v96, v46 dst_sel:DWORD dst_unused:UNUSED_PAD src0_sel:WORD_1 src1_sel:DWORD
	v_mov_b32_e32 v24, 0
	v_mov_b32_e32 v22, 0
	s_mov_b32 s21, exec_lo
	v_cmpx_ne_u16_e32 0, v5
	s_cbranch_execz .LBB185_884
; %bb.877:                              ;   in Loop: Header=BB185_519 Depth=1
	v_bfrev_b32_e32 v21, 1
	v_mov_b32_e32 v22, 0
	s_mov_b32 s22, exec_lo
	v_cmpx_ne_u16_e32 0x80, v5
	s_cbranch_execz .LBB185_883
; %bb.878:                              ;   in Loop: Header=BB185_519 Depth=1
	v_mov_b32_e32 v21, 0x7f800001
	v_bfe_u32 v9, v96, 16, 7
	v_mov_b32_e32 v22, 0
	s_mov_b32 s26, exec_lo
	v_cmpx_ne_u32_e32 0x7f, v9
	s_cbranch_execz .LBB185_882
; %bb.879:                              ;   in Loop: Header=BB185_519 Depth=1
	v_and_b32_sdwa v5, v96, v47 dst_sel:DWORD dst_unused:UNUSED_PAD src0_sel:WORD_1 src1_sel:DWORD
	v_lshrrev_b32_e32 v7, 3, v9
	s_mov_b32 s27, exec_lo
	v_cmpx_gt_u32_e32 8, v9
; %bb.880:                              ;   in Loop: Header=BB185_519 Depth=1
	v_ffbh_u32_e32 v7, v5
	v_min_u32_e32 v7, 32, v7
	v_subrev_nc_u32_e32 v9, 28, v7
	v_sub_nc_u32_e32 v7, 29, v7
	v_lshlrev_b64 v[21:22], v9, v[5:6]
	v_and_b32_e32 v5, 7, v21
; %bb.881:                              ;   in Loop: Header=BB185_519 Depth=1
	s_or_b32 exec_lo, exec_lo, s27
	v_lshlrev_b32_sdwa v9, v48, v96 dst_sel:DWORD dst_unused:UNUSED_PAD src0_sel:DWORD src1_sel:WORD_1
	v_lshlrev_b32_e32 v5, 20, v5
	v_lshl_add_u32 v7, v7, 23, 0x3c000000
	v_and_b32_e32 v9, 0x80000000, v9
	v_or3_b32 v5, v5, v9, v7
	v_mov_b32_e32 v22, v6
	v_mov_b32_e32 v21, v5
.LBB185_882:                            ;   in Loop: Header=BB185_519 Depth=1
	s_or_b32 exec_lo, exec_lo, s26
.LBB185_883:                            ;   in Loop: Header=BB185_519 Depth=1
	s_or_b32 exec_lo, exec_lo, s22
.LBB185_884:                            ;   in Loop: Header=BB185_519 Depth=1
	s_or_b32 exec_lo, exec_lo, s21
	s_mov_b32 s21, exec_lo
	v_cmpx_lt_u32_e32 0xffffff, v96
	s_cbranch_execz .LBB185_892
; %bb.885:                              ;   in Loop: Header=BB185_519 Depth=1
	v_mov_b32_e32 v7, v6
	v_mov_b32_e32 v24, v8
	v_cmp_ne_u32_sdwa s0, v96, v44 src0_sel:BYTE_3 src1_sel:DWORD
	v_mov_b32_e32 v23, v7
	s_and_saveexec_b32 s22, s0
	s_cbranch_execz .LBB185_891
; %bb.886:                              ;   in Loop: Header=BB185_519 Depth=1
	v_mov_b32_e32 v9, v6
	v_mov_b32_e32 v24, v10
	v_bfe_u32 v97, v96, 24, 7
	s_mov_b32 s26, exec_lo
	v_mov_b32_e32 v23, v9
	v_cmpx_ne_u32_e32 0x7f, v97
	s_cbranch_execz .LBB185_890
; %bb.887:                              ;   in Loop: Header=BB185_519 Depth=1
	v_and_b32_sdwa v5, v96, v47 dst_sel:DWORD dst_unused:UNUSED_PAD src0_sel:BYTE_3 src1_sel:DWORD
	v_lshrrev_b32_e32 v7, 3, v97
	s_mov_b32 s27, exec_lo
	v_cmpx_gt_u32_e32 8, v97
; %bb.888:                              ;   in Loop: Header=BB185_519 Depth=1
	v_ffbh_u32_e32 v7, v5
	v_min_u32_e32 v7, 32, v7
	v_subrev_nc_u32_e32 v9, 28, v7
	v_sub_nc_u32_e32 v7, 29, v7
	v_lshlrev_b64 v[23:24], v9, v[5:6]
	v_and_b32_e32 v5, 7, v23
; %bb.889:                              ;   in Loop: Header=BB185_519 Depth=1
	s_or_b32 exec_lo, exec_lo, s27
	v_lshlrev_b32_sdwa v9, v48, v96 dst_sel:DWORD dst_unused:UNUSED_PAD src0_sel:DWORD src1_sel:BYTE_3
	v_lshlrev_b32_e32 v5, 20, v5
	v_lshl_add_u32 v7, v7, 23, 0x3c000000
	v_mov_b32_e32 v23, v6
	v_and_b32_e32 v9, 0x80000000, v9
	v_or3_b32 v24, v5, v9, v7
.LBB185_890:                            ;   in Loop: Header=BB185_519 Depth=1
	s_or_b32 exec_lo, exec_lo, s26
.LBB185_891:                            ;   in Loop: Header=BB185_519 Depth=1
	s_or_b32 exec_lo, exec_lo, s22
.LBB185_892:                            ;   in Loop: Header=BB185_519 Depth=1
	s_or_b32 exec_lo, exec_lo, s21
	v_or_b32_e32 v5, v20, v18
	v_or_b32_e32 v7, v19, v17
	;; [unrolled: 1-line block ×4, first 2 shown]
	v_mul_f32_e32 v98, s18, v5
	v_mul_f32_e32 v99, s17, v7
	;; [unrolled: 1-line block ×4, first 2 shown]
	s_and_saveexec_b32 s21, vcc_lo
	s_cbranch_execz .LBB185_894
; %bb.893:                              ;   in Loop: Header=BB185_519 Depth=1
	v_cmp_gt_i32_e64 s0, s33, v56
	v_cndmask_b32_e64 v99, 0, v99, s0
	v_cmp_gt_i32_e64 s0, s33, v59
	v_cndmask_b32_e64 v98, 0, v98, s0
	;; [unrolled: 2-line block ×4, first 2 shown]
.LBB185_894:                            ;   in Loop: Header=BB185_519 Depth=1
	s_or_b32 exec_lo, exec_lo, s21
	global_load_dword v100, v[15:16], off offset:1408
	v_mov_b32_e32 v19, 0
	v_mov_b32_e32 v17, 0
	v_mov_b32_e32 v20, 0
	v_mov_b32_e32 v18, 0
	s_waitcnt vmcnt(0)
	v_cmp_ne_u16_sdwa s0, v100, v6 src0_sel:BYTE_0 src1_sel:DWORD
	s_and_saveexec_b32 s21, s0
	s_cbranch_execz .LBB185_902
; %bb.895:                              ;   in Loop: Header=BB185_519 Depth=1
	v_bfrev_b32_e32 v17, 1
	v_mov_b32_e32 v18, 0
	v_cmp_ne_u16_sdwa s0, v100, v44 src0_sel:BYTE_0 src1_sel:DWORD
	s_and_saveexec_b32 s22, s0
	s_cbranch_execz .LBB185_901
; %bb.896:                              ;   in Loop: Header=BB185_519 Depth=1
	v_mov_b32_e32 v17, 0x7f800001
	v_and_b32_e32 v9, 0x7f, v100
	v_mov_b32_e32 v18, 0
	s_mov_b32 s26, exec_lo
	v_cmpx_ne_u32_e32 0x7f, v9
	s_cbranch_execz .LBB185_900
; %bb.897:                              ;   in Loop: Header=BB185_519 Depth=1
	v_and_b32_e32 v5, 7, v100
	v_lshrrev_b32_e32 v7, 3, v9
	s_mov_b32 s27, exec_lo
	v_cmpx_gt_u32_e32 8, v9
; %bb.898:                              ;   in Loop: Header=BB185_519 Depth=1
	v_ffbh_u32_e32 v7, v5
	v_min_u32_e32 v7, 32, v7
	v_subrev_nc_u32_e32 v9, 28, v7
	v_sub_nc_u32_e32 v7, 29, v7
	v_lshlrev_b64 v[17:18], v9, v[5:6]
	v_and_b32_e32 v5, 7, v17
; %bb.899:                              ;   in Loop: Header=BB185_519 Depth=1
	s_or_b32 exec_lo, exec_lo, s27
	v_lshlrev_b32_e32 v9, 24, v100
	v_lshlrev_b32_e32 v5, 20, v5
	v_lshl_add_u32 v7, v7, 23, 0x3c000000
	v_and_b32_e32 v9, 0x80000000, v9
	v_or3_b32 v5, v5, v9, v7
	v_mov_b32_e32 v18, v6
	v_mov_b32_e32 v17, v5
.LBB185_900:                            ;   in Loop: Header=BB185_519 Depth=1
	s_or_b32 exec_lo, exec_lo, s26
.LBB185_901:                            ;   in Loop: Header=BB185_519 Depth=1
	s_or_b32 exec_lo, exec_lo, s22
.LBB185_902:                            ;   in Loop: Header=BB185_519 Depth=1
	s_or_b32 exec_lo, exec_lo, s21
	v_cmp_ne_u16_sdwa s0, v100, v6 src0_sel:BYTE_1 src1_sel:DWORD
	s_and_saveexec_b32 s21, s0
	s_cbranch_execz .LBB185_910
; %bb.903:                              ;   in Loop: Header=BB185_519 Depth=1
	v_mov_b32_e32 v7, v6
	v_mov_b32_e32 v20, v8
	v_cmp_ne_u16_sdwa s0, v100, v44 src0_sel:BYTE_1 src1_sel:DWORD
	v_mov_b32_e32 v19, v7
	s_and_saveexec_b32 s22, s0
	s_cbranch_execz .LBB185_909
; %bb.904:                              ;   in Loop: Header=BB185_519 Depth=1
	v_and_b32_sdwa v5, v45, v100 dst_sel:DWORD dst_unused:UNUSED_PAD src0_sel:DWORD src1_sel:BYTE_1
	v_mov_b32_e32 v9, v6
	v_mov_b32_e32 v20, v10
	s_mov_b32 s26, exec_lo
	v_and_b32_e32 v21, 0x7f, v5
	v_mov_b32_e32 v19, v9
	v_cmpx_ne_u32_e32 0x7f, v21
	s_cbranch_execz .LBB185_908
; %bb.905:                              ;   in Loop: Header=BB185_519 Depth=1
	v_and_b32_e32 v5, 7, v5
	v_lshrrev_b32_e32 v7, 3, v21
	s_mov_b32 s27, exec_lo
	v_cmpx_gt_u32_e32 8, v21
; %bb.906:                              ;   in Loop: Header=BB185_519 Depth=1
	v_ffbh_u32_e32 v7, v5
	v_min_u32_e32 v7, 32, v7
	v_subrev_nc_u32_e32 v9, 28, v7
	v_sub_nc_u32_e32 v7, 29, v7
	v_lshlrev_b64 v[19:20], v9, v[5:6]
	v_and_b32_e32 v5, 7, v19
; %bb.907:                              ;   in Loop: Header=BB185_519 Depth=1
	s_or_b32 exec_lo, exec_lo, s27
	v_lshlrev_b32_e32 v9, 16, v100
	v_lshlrev_b32_e32 v5, 20, v5
	v_lshl_add_u32 v7, v7, 23, 0x3c000000
	v_mov_b32_e32 v19, v6
	v_and_b32_e32 v9, 0x80000000, v9
	v_or3_b32 v20, v5, v9, v7
.LBB185_908:                            ;   in Loop: Header=BB185_519 Depth=1
	s_or_b32 exec_lo, exec_lo, s26
.LBB185_909:                            ;   in Loop: Header=BB185_519 Depth=1
	s_or_b32 exec_lo, exec_lo, s22
.LBB185_910:                            ;   in Loop: Header=BB185_519 Depth=1
	s_or_b32 exec_lo, exec_lo, s21
	v_mov_b32_e32 v23, 0
	v_mov_b32_e32 v21, 0
	v_and_b32_sdwa v5, v100, v46 dst_sel:DWORD dst_unused:UNUSED_PAD src0_sel:WORD_1 src1_sel:DWORD
	v_mov_b32_e32 v24, 0
	v_mov_b32_e32 v22, 0
	s_mov_b32 s21, exec_lo
	v_cmpx_ne_u16_e32 0, v5
	s_cbranch_execz .LBB185_918
; %bb.911:                              ;   in Loop: Header=BB185_519 Depth=1
	v_bfrev_b32_e32 v21, 1
	v_mov_b32_e32 v22, 0
	s_mov_b32 s22, exec_lo
	v_cmpx_ne_u16_e32 0x80, v5
	s_cbranch_execz .LBB185_917
; %bb.912:                              ;   in Loop: Header=BB185_519 Depth=1
	v_mov_b32_e32 v21, 0x7f800001
	v_bfe_u32 v9, v100, 16, 7
	v_mov_b32_e32 v22, 0
	s_mov_b32 s26, exec_lo
	v_cmpx_ne_u32_e32 0x7f, v9
	s_cbranch_execz .LBB185_916
; %bb.913:                              ;   in Loop: Header=BB185_519 Depth=1
	v_and_b32_sdwa v5, v100, v47 dst_sel:DWORD dst_unused:UNUSED_PAD src0_sel:WORD_1 src1_sel:DWORD
	v_lshrrev_b32_e32 v7, 3, v9
	s_mov_b32 s27, exec_lo
	v_cmpx_gt_u32_e32 8, v9
; %bb.914:                              ;   in Loop: Header=BB185_519 Depth=1
	v_ffbh_u32_e32 v7, v5
	v_min_u32_e32 v7, 32, v7
	v_subrev_nc_u32_e32 v9, 28, v7
	v_sub_nc_u32_e32 v7, 29, v7
	v_lshlrev_b64 v[21:22], v9, v[5:6]
	v_and_b32_e32 v5, 7, v21
; %bb.915:                              ;   in Loop: Header=BB185_519 Depth=1
	s_or_b32 exec_lo, exec_lo, s27
	v_lshlrev_b32_sdwa v9, v48, v100 dst_sel:DWORD dst_unused:UNUSED_PAD src0_sel:DWORD src1_sel:WORD_1
	v_lshlrev_b32_e32 v5, 20, v5
	v_lshl_add_u32 v7, v7, 23, 0x3c000000
	v_and_b32_e32 v9, 0x80000000, v9
	v_or3_b32 v5, v5, v9, v7
	v_mov_b32_e32 v22, v6
	v_mov_b32_e32 v21, v5
.LBB185_916:                            ;   in Loop: Header=BB185_519 Depth=1
	s_or_b32 exec_lo, exec_lo, s26
.LBB185_917:                            ;   in Loop: Header=BB185_519 Depth=1
	s_or_b32 exec_lo, exec_lo, s22
.LBB185_918:                            ;   in Loop: Header=BB185_519 Depth=1
	s_or_b32 exec_lo, exec_lo, s21
	s_mov_b32 s21, exec_lo
	v_cmpx_lt_u32_e32 0xffffff, v100
	s_cbranch_execz .LBB185_926
; %bb.919:                              ;   in Loop: Header=BB185_519 Depth=1
	v_mov_b32_e32 v7, v6
	v_mov_b32_e32 v24, v8
	v_cmp_ne_u32_sdwa s0, v100, v44 src0_sel:BYTE_3 src1_sel:DWORD
	v_mov_b32_e32 v23, v7
	s_and_saveexec_b32 s22, s0
	s_cbranch_execz .LBB185_925
; %bb.920:                              ;   in Loop: Header=BB185_519 Depth=1
	v_mov_b32_e32 v9, v6
	v_mov_b32_e32 v24, v10
	v_bfe_u32 v101, v100, 24, 7
	s_mov_b32 s26, exec_lo
	v_mov_b32_e32 v23, v9
	v_cmpx_ne_u32_e32 0x7f, v101
	s_cbranch_execz .LBB185_924
; %bb.921:                              ;   in Loop: Header=BB185_519 Depth=1
	v_and_b32_sdwa v5, v100, v47 dst_sel:DWORD dst_unused:UNUSED_PAD src0_sel:BYTE_3 src1_sel:DWORD
	v_lshrrev_b32_e32 v7, 3, v101
	s_mov_b32 s27, exec_lo
	v_cmpx_gt_u32_e32 8, v101
; %bb.922:                              ;   in Loop: Header=BB185_519 Depth=1
	v_ffbh_u32_e32 v7, v5
	v_min_u32_e32 v7, 32, v7
	v_subrev_nc_u32_e32 v9, 28, v7
	v_sub_nc_u32_e32 v7, 29, v7
	v_lshlrev_b64 v[23:24], v9, v[5:6]
	v_and_b32_e32 v5, 7, v23
; %bb.923:                              ;   in Loop: Header=BB185_519 Depth=1
	s_or_b32 exec_lo, exec_lo, s27
	v_lshlrev_b32_sdwa v9, v48, v100 dst_sel:DWORD dst_unused:UNUSED_PAD src0_sel:DWORD src1_sel:BYTE_3
	v_lshlrev_b32_e32 v5, 20, v5
	v_lshl_add_u32 v7, v7, 23, 0x3c000000
	v_mov_b32_e32 v23, v6
	v_and_b32_e32 v9, 0x80000000, v9
	v_or3_b32 v24, v5, v9, v7
.LBB185_924:                            ;   in Loop: Header=BB185_519 Depth=1
	s_or_b32 exec_lo, exec_lo, s26
.LBB185_925:                            ;   in Loop: Header=BB185_519 Depth=1
	s_or_b32 exec_lo, exec_lo, s22
.LBB185_926:                            ;   in Loop: Header=BB185_519 Depth=1
	s_or_b32 exec_lo, exec_lo, s21
	v_or_b32_e32 v5, v20, v18
	v_or_b32_e32 v7, v19, v17
	;; [unrolled: 1-line block ×4, first 2 shown]
	v_mul_f32_e32 v102, s18, v5
	v_mul_f32_e32 v103, s17, v7
	v_mul_f32_e32 v101, s17, v9
	v_mul_f32_e32 v100, s18, v17
	s_and_saveexec_b32 s21, vcc_lo
	s_cbranch_execz .LBB185_928
; %bb.927:                              ;   in Loop: Header=BB185_519 Depth=1
	v_cmp_gt_i32_e64 s0, s33, v56
	v_cndmask_b32_e64 v103, 0, v103, s0
	v_cmp_gt_i32_e64 s0, s33, v59
	v_cndmask_b32_e64 v102, 0, v102, s0
	;; [unrolled: 2-line block ×4, first 2 shown]
.LBB185_928:                            ;   in Loop: Header=BB185_519 Depth=1
	s_or_b32 exec_lo, exec_lo, s21
	global_load_dword v104, v[15:16], off offset:1536
	v_mov_b32_e32 v19, 0
	v_mov_b32_e32 v17, 0
	;; [unrolled: 1-line block ×4, first 2 shown]
	s_waitcnt vmcnt(0)
	v_cmp_ne_u16_sdwa s0, v104, v6 src0_sel:BYTE_0 src1_sel:DWORD
	s_and_saveexec_b32 s21, s0
	s_cbranch_execz .LBB185_936
; %bb.929:                              ;   in Loop: Header=BB185_519 Depth=1
	v_bfrev_b32_e32 v17, 1
	v_mov_b32_e32 v18, 0
	v_cmp_ne_u16_sdwa s0, v104, v44 src0_sel:BYTE_0 src1_sel:DWORD
	s_and_saveexec_b32 s22, s0
	s_cbranch_execz .LBB185_935
; %bb.930:                              ;   in Loop: Header=BB185_519 Depth=1
	v_mov_b32_e32 v17, 0x7f800001
	v_and_b32_e32 v9, 0x7f, v104
	v_mov_b32_e32 v18, 0
	s_mov_b32 s26, exec_lo
	v_cmpx_ne_u32_e32 0x7f, v9
	s_cbranch_execz .LBB185_934
; %bb.931:                              ;   in Loop: Header=BB185_519 Depth=1
	v_and_b32_e32 v5, 7, v104
	v_lshrrev_b32_e32 v7, 3, v9
	s_mov_b32 s27, exec_lo
	v_cmpx_gt_u32_e32 8, v9
; %bb.932:                              ;   in Loop: Header=BB185_519 Depth=1
	v_ffbh_u32_e32 v7, v5
	v_min_u32_e32 v7, 32, v7
	v_subrev_nc_u32_e32 v9, 28, v7
	v_sub_nc_u32_e32 v7, 29, v7
	v_lshlrev_b64 v[17:18], v9, v[5:6]
	v_and_b32_e32 v5, 7, v17
; %bb.933:                              ;   in Loop: Header=BB185_519 Depth=1
	s_or_b32 exec_lo, exec_lo, s27
	v_lshlrev_b32_e32 v9, 24, v104
	v_lshlrev_b32_e32 v5, 20, v5
	v_lshl_add_u32 v7, v7, 23, 0x3c000000
	v_and_b32_e32 v9, 0x80000000, v9
	v_or3_b32 v5, v5, v9, v7
	v_mov_b32_e32 v18, v6
	v_mov_b32_e32 v17, v5
.LBB185_934:                            ;   in Loop: Header=BB185_519 Depth=1
	s_or_b32 exec_lo, exec_lo, s26
.LBB185_935:                            ;   in Loop: Header=BB185_519 Depth=1
	s_or_b32 exec_lo, exec_lo, s22
.LBB185_936:                            ;   in Loop: Header=BB185_519 Depth=1
	s_or_b32 exec_lo, exec_lo, s21
	v_cmp_ne_u16_sdwa s0, v104, v6 src0_sel:BYTE_1 src1_sel:DWORD
	s_and_saveexec_b32 s21, s0
	s_cbranch_execz .LBB185_944
; %bb.937:                              ;   in Loop: Header=BB185_519 Depth=1
	v_mov_b32_e32 v7, v6
	v_mov_b32_e32 v20, v8
	v_cmp_ne_u16_sdwa s0, v104, v44 src0_sel:BYTE_1 src1_sel:DWORD
	v_mov_b32_e32 v19, v7
	s_and_saveexec_b32 s22, s0
	s_cbranch_execz .LBB185_943
; %bb.938:                              ;   in Loop: Header=BB185_519 Depth=1
	v_and_b32_sdwa v5, v45, v104 dst_sel:DWORD dst_unused:UNUSED_PAD src0_sel:DWORD src1_sel:BYTE_1
	v_mov_b32_e32 v9, v6
	v_mov_b32_e32 v20, v10
	s_mov_b32 s26, exec_lo
	v_and_b32_e32 v21, 0x7f, v5
	v_mov_b32_e32 v19, v9
	v_cmpx_ne_u32_e32 0x7f, v21
	s_cbranch_execz .LBB185_942
; %bb.939:                              ;   in Loop: Header=BB185_519 Depth=1
	v_and_b32_e32 v5, 7, v5
	v_lshrrev_b32_e32 v7, 3, v21
	s_mov_b32 s27, exec_lo
	v_cmpx_gt_u32_e32 8, v21
; %bb.940:                              ;   in Loop: Header=BB185_519 Depth=1
	v_ffbh_u32_e32 v7, v5
	v_min_u32_e32 v7, 32, v7
	v_subrev_nc_u32_e32 v9, 28, v7
	v_sub_nc_u32_e32 v7, 29, v7
	v_lshlrev_b64 v[19:20], v9, v[5:6]
	v_and_b32_e32 v5, 7, v19
; %bb.941:                              ;   in Loop: Header=BB185_519 Depth=1
	s_or_b32 exec_lo, exec_lo, s27
	v_lshlrev_b32_e32 v9, 16, v104
	v_lshlrev_b32_e32 v5, 20, v5
	v_lshl_add_u32 v7, v7, 23, 0x3c000000
	v_mov_b32_e32 v19, v6
	v_and_b32_e32 v9, 0x80000000, v9
	v_or3_b32 v20, v5, v9, v7
.LBB185_942:                            ;   in Loop: Header=BB185_519 Depth=1
	s_or_b32 exec_lo, exec_lo, s26
.LBB185_943:                            ;   in Loop: Header=BB185_519 Depth=1
	s_or_b32 exec_lo, exec_lo, s22
.LBB185_944:                            ;   in Loop: Header=BB185_519 Depth=1
	s_or_b32 exec_lo, exec_lo, s21
	v_mov_b32_e32 v23, 0
	v_mov_b32_e32 v21, 0
	v_and_b32_sdwa v5, v104, v46 dst_sel:DWORD dst_unused:UNUSED_PAD src0_sel:WORD_1 src1_sel:DWORD
	v_mov_b32_e32 v24, 0
	v_mov_b32_e32 v22, 0
	s_mov_b32 s21, exec_lo
	v_cmpx_ne_u16_e32 0, v5
	s_cbranch_execz .LBB185_952
; %bb.945:                              ;   in Loop: Header=BB185_519 Depth=1
	v_bfrev_b32_e32 v21, 1
	v_mov_b32_e32 v22, 0
	s_mov_b32 s22, exec_lo
	v_cmpx_ne_u16_e32 0x80, v5
	s_cbranch_execz .LBB185_951
; %bb.946:                              ;   in Loop: Header=BB185_519 Depth=1
	v_mov_b32_e32 v21, 0x7f800001
	v_bfe_u32 v9, v104, 16, 7
	v_mov_b32_e32 v22, 0
	s_mov_b32 s26, exec_lo
	v_cmpx_ne_u32_e32 0x7f, v9
	s_cbranch_execz .LBB185_950
; %bb.947:                              ;   in Loop: Header=BB185_519 Depth=1
	v_and_b32_sdwa v5, v104, v47 dst_sel:DWORD dst_unused:UNUSED_PAD src0_sel:WORD_1 src1_sel:DWORD
	v_lshrrev_b32_e32 v7, 3, v9
	s_mov_b32 s27, exec_lo
	v_cmpx_gt_u32_e32 8, v9
; %bb.948:                              ;   in Loop: Header=BB185_519 Depth=1
	v_ffbh_u32_e32 v7, v5
	v_min_u32_e32 v7, 32, v7
	v_subrev_nc_u32_e32 v9, 28, v7
	v_sub_nc_u32_e32 v7, 29, v7
	v_lshlrev_b64 v[21:22], v9, v[5:6]
	v_and_b32_e32 v5, 7, v21
; %bb.949:                              ;   in Loop: Header=BB185_519 Depth=1
	s_or_b32 exec_lo, exec_lo, s27
	v_lshlrev_b32_sdwa v9, v48, v104 dst_sel:DWORD dst_unused:UNUSED_PAD src0_sel:DWORD src1_sel:WORD_1
	v_lshlrev_b32_e32 v5, 20, v5
	v_lshl_add_u32 v7, v7, 23, 0x3c000000
	v_and_b32_e32 v9, 0x80000000, v9
	v_or3_b32 v5, v5, v9, v7
	v_mov_b32_e32 v22, v6
	v_mov_b32_e32 v21, v5
.LBB185_950:                            ;   in Loop: Header=BB185_519 Depth=1
	s_or_b32 exec_lo, exec_lo, s26
.LBB185_951:                            ;   in Loop: Header=BB185_519 Depth=1
	s_or_b32 exec_lo, exec_lo, s22
.LBB185_952:                            ;   in Loop: Header=BB185_519 Depth=1
	s_or_b32 exec_lo, exec_lo, s21
	s_mov_b32 s21, exec_lo
	v_cmpx_lt_u32_e32 0xffffff, v104
	s_cbranch_execz .LBB185_960
; %bb.953:                              ;   in Loop: Header=BB185_519 Depth=1
	v_mov_b32_e32 v7, v6
	v_mov_b32_e32 v24, v8
	v_cmp_ne_u32_sdwa s0, v104, v44 src0_sel:BYTE_3 src1_sel:DWORD
	v_mov_b32_e32 v23, v7
	s_and_saveexec_b32 s22, s0
	s_cbranch_execz .LBB185_959
; %bb.954:                              ;   in Loop: Header=BB185_519 Depth=1
	v_mov_b32_e32 v9, v6
	v_mov_b32_e32 v24, v10
	v_bfe_u32 v105, v104, 24, 7
	s_mov_b32 s26, exec_lo
	v_mov_b32_e32 v23, v9
	v_cmpx_ne_u32_e32 0x7f, v105
	s_cbranch_execz .LBB185_958
; %bb.955:                              ;   in Loop: Header=BB185_519 Depth=1
	v_and_b32_sdwa v5, v104, v47 dst_sel:DWORD dst_unused:UNUSED_PAD src0_sel:BYTE_3 src1_sel:DWORD
	v_lshrrev_b32_e32 v7, 3, v105
	s_mov_b32 s27, exec_lo
	v_cmpx_gt_u32_e32 8, v105
; %bb.956:                              ;   in Loop: Header=BB185_519 Depth=1
	v_ffbh_u32_e32 v7, v5
	v_min_u32_e32 v7, 32, v7
	v_subrev_nc_u32_e32 v9, 28, v7
	v_sub_nc_u32_e32 v7, 29, v7
	v_lshlrev_b64 v[23:24], v9, v[5:6]
	v_and_b32_e32 v5, 7, v23
; %bb.957:                              ;   in Loop: Header=BB185_519 Depth=1
	s_or_b32 exec_lo, exec_lo, s27
	v_lshlrev_b32_sdwa v9, v48, v104 dst_sel:DWORD dst_unused:UNUSED_PAD src0_sel:DWORD src1_sel:BYTE_3
	v_lshlrev_b32_e32 v5, 20, v5
	v_lshl_add_u32 v7, v7, 23, 0x3c000000
	v_mov_b32_e32 v23, v6
	v_and_b32_e32 v9, 0x80000000, v9
	v_or3_b32 v24, v5, v9, v7
.LBB185_958:                            ;   in Loop: Header=BB185_519 Depth=1
	s_or_b32 exec_lo, exec_lo, s26
.LBB185_959:                            ;   in Loop: Header=BB185_519 Depth=1
	s_or_b32 exec_lo, exec_lo, s22
.LBB185_960:                            ;   in Loop: Header=BB185_519 Depth=1
	s_or_b32 exec_lo, exec_lo, s21
	v_or_b32_e32 v5, v20, v18
	v_or_b32_e32 v7, v19, v17
	;; [unrolled: 1-line block ×4, first 2 shown]
	v_mul_f32_e32 v106, s18, v5
	v_mul_f32_e32 v107, s17, v7
	;; [unrolled: 1-line block ×4, first 2 shown]
	s_and_saveexec_b32 s21, vcc_lo
	s_cbranch_execz .LBB185_962
; %bb.961:                              ;   in Loop: Header=BB185_519 Depth=1
	v_cmp_gt_i32_e64 s0, s33, v56
	v_cndmask_b32_e64 v107, 0, v107, s0
	v_cmp_gt_i32_e64 s0, s33, v59
	v_cndmask_b32_e64 v106, 0, v106, s0
	v_cmp_gt_i32_e64 s0, s33, v58
	v_cndmask_b32_e64 v105, 0, v105, s0
	v_cmp_gt_i32_e64 s0, s33, v57
	v_cndmask_b32_e64 v104, 0, v104, s0
.LBB185_962:                            ;   in Loop: Header=BB185_519 Depth=1
	s_or_b32 exec_lo, exec_lo, s21
	global_load_dword v108, v[15:16], off offset:1664
	v_mov_b32_e32 v19, 0
	v_mov_b32_e32 v17, 0
	;; [unrolled: 1-line block ×4, first 2 shown]
	s_waitcnt vmcnt(0)
	v_cmp_ne_u16_sdwa s0, v108, v6 src0_sel:BYTE_0 src1_sel:DWORD
	s_and_saveexec_b32 s21, s0
	s_cbranch_execz .LBB185_970
; %bb.963:                              ;   in Loop: Header=BB185_519 Depth=1
	v_bfrev_b32_e32 v17, 1
	v_mov_b32_e32 v18, 0
	v_cmp_ne_u16_sdwa s0, v108, v44 src0_sel:BYTE_0 src1_sel:DWORD
	s_and_saveexec_b32 s22, s0
	s_cbranch_execz .LBB185_969
; %bb.964:                              ;   in Loop: Header=BB185_519 Depth=1
	v_mov_b32_e32 v17, 0x7f800001
	v_and_b32_e32 v9, 0x7f, v108
	v_mov_b32_e32 v18, 0
	s_mov_b32 s26, exec_lo
	v_cmpx_ne_u32_e32 0x7f, v9
	s_cbranch_execz .LBB185_968
; %bb.965:                              ;   in Loop: Header=BB185_519 Depth=1
	v_and_b32_e32 v5, 7, v108
	v_lshrrev_b32_e32 v7, 3, v9
	s_mov_b32 s27, exec_lo
	v_cmpx_gt_u32_e32 8, v9
; %bb.966:                              ;   in Loop: Header=BB185_519 Depth=1
	v_ffbh_u32_e32 v7, v5
	v_min_u32_e32 v7, 32, v7
	v_subrev_nc_u32_e32 v9, 28, v7
	v_sub_nc_u32_e32 v7, 29, v7
	v_lshlrev_b64 v[17:18], v9, v[5:6]
	v_and_b32_e32 v5, 7, v17
; %bb.967:                              ;   in Loop: Header=BB185_519 Depth=1
	s_or_b32 exec_lo, exec_lo, s27
	v_lshlrev_b32_e32 v9, 24, v108
	v_lshlrev_b32_e32 v5, 20, v5
	v_lshl_add_u32 v7, v7, 23, 0x3c000000
	v_and_b32_e32 v9, 0x80000000, v9
	v_or3_b32 v5, v5, v9, v7
	v_mov_b32_e32 v18, v6
	v_mov_b32_e32 v17, v5
.LBB185_968:                            ;   in Loop: Header=BB185_519 Depth=1
	s_or_b32 exec_lo, exec_lo, s26
.LBB185_969:                            ;   in Loop: Header=BB185_519 Depth=1
	s_or_b32 exec_lo, exec_lo, s22
.LBB185_970:                            ;   in Loop: Header=BB185_519 Depth=1
	s_or_b32 exec_lo, exec_lo, s21
	v_cmp_ne_u16_sdwa s0, v108, v6 src0_sel:BYTE_1 src1_sel:DWORD
	s_and_saveexec_b32 s21, s0
	s_cbranch_execz .LBB185_978
; %bb.971:                              ;   in Loop: Header=BB185_519 Depth=1
	v_mov_b32_e32 v7, v6
	v_mov_b32_e32 v20, v8
	v_cmp_ne_u16_sdwa s0, v108, v44 src0_sel:BYTE_1 src1_sel:DWORD
	v_mov_b32_e32 v19, v7
	s_and_saveexec_b32 s22, s0
	s_cbranch_execz .LBB185_977
; %bb.972:                              ;   in Loop: Header=BB185_519 Depth=1
	v_and_b32_sdwa v5, v45, v108 dst_sel:DWORD dst_unused:UNUSED_PAD src0_sel:DWORD src1_sel:BYTE_1
	v_mov_b32_e32 v9, v6
	v_mov_b32_e32 v20, v10
	s_mov_b32 s26, exec_lo
	v_and_b32_e32 v21, 0x7f, v5
	v_mov_b32_e32 v19, v9
	v_cmpx_ne_u32_e32 0x7f, v21
	s_cbranch_execz .LBB185_976
; %bb.973:                              ;   in Loop: Header=BB185_519 Depth=1
	v_and_b32_e32 v5, 7, v5
	v_lshrrev_b32_e32 v7, 3, v21
	s_mov_b32 s27, exec_lo
	v_cmpx_gt_u32_e32 8, v21
; %bb.974:                              ;   in Loop: Header=BB185_519 Depth=1
	v_ffbh_u32_e32 v7, v5
	v_min_u32_e32 v7, 32, v7
	v_subrev_nc_u32_e32 v9, 28, v7
	v_sub_nc_u32_e32 v7, 29, v7
	v_lshlrev_b64 v[19:20], v9, v[5:6]
	v_and_b32_e32 v5, 7, v19
; %bb.975:                              ;   in Loop: Header=BB185_519 Depth=1
	s_or_b32 exec_lo, exec_lo, s27
	v_lshlrev_b32_e32 v9, 16, v108
	v_lshlrev_b32_e32 v5, 20, v5
	v_lshl_add_u32 v7, v7, 23, 0x3c000000
	v_mov_b32_e32 v19, v6
	v_and_b32_e32 v9, 0x80000000, v9
	v_or3_b32 v20, v5, v9, v7
.LBB185_976:                            ;   in Loop: Header=BB185_519 Depth=1
	s_or_b32 exec_lo, exec_lo, s26
.LBB185_977:                            ;   in Loop: Header=BB185_519 Depth=1
	s_or_b32 exec_lo, exec_lo, s22
.LBB185_978:                            ;   in Loop: Header=BB185_519 Depth=1
	s_or_b32 exec_lo, exec_lo, s21
	v_mov_b32_e32 v23, 0
	v_mov_b32_e32 v21, 0
	v_and_b32_sdwa v5, v108, v46 dst_sel:DWORD dst_unused:UNUSED_PAD src0_sel:WORD_1 src1_sel:DWORD
	v_mov_b32_e32 v24, 0
	v_mov_b32_e32 v22, 0
	s_mov_b32 s21, exec_lo
	v_cmpx_ne_u16_e32 0, v5
	s_cbranch_execz .LBB185_986
; %bb.979:                              ;   in Loop: Header=BB185_519 Depth=1
	v_bfrev_b32_e32 v21, 1
	v_mov_b32_e32 v22, 0
	s_mov_b32 s22, exec_lo
	v_cmpx_ne_u16_e32 0x80, v5
	s_cbranch_execz .LBB185_985
; %bb.980:                              ;   in Loop: Header=BB185_519 Depth=1
	v_mov_b32_e32 v21, 0x7f800001
	v_bfe_u32 v9, v108, 16, 7
	v_mov_b32_e32 v22, 0
	s_mov_b32 s26, exec_lo
	v_cmpx_ne_u32_e32 0x7f, v9
	s_cbranch_execz .LBB185_984
; %bb.981:                              ;   in Loop: Header=BB185_519 Depth=1
	v_and_b32_sdwa v5, v108, v47 dst_sel:DWORD dst_unused:UNUSED_PAD src0_sel:WORD_1 src1_sel:DWORD
	v_lshrrev_b32_e32 v7, 3, v9
	s_mov_b32 s27, exec_lo
	v_cmpx_gt_u32_e32 8, v9
; %bb.982:                              ;   in Loop: Header=BB185_519 Depth=1
	v_ffbh_u32_e32 v7, v5
	v_min_u32_e32 v7, 32, v7
	v_subrev_nc_u32_e32 v9, 28, v7
	v_sub_nc_u32_e32 v7, 29, v7
	v_lshlrev_b64 v[21:22], v9, v[5:6]
	v_and_b32_e32 v5, 7, v21
; %bb.983:                              ;   in Loop: Header=BB185_519 Depth=1
	s_or_b32 exec_lo, exec_lo, s27
	v_lshlrev_b32_sdwa v9, v48, v108 dst_sel:DWORD dst_unused:UNUSED_PAD src0_sel:DWORD src1_sel:WORD_1
	v_lshlrev_b32_e32 v5, 20, v5
	v_lshl_add_u32 v7, v7, 23, 0x3c000000
	v_and_b32_e32 v9, 0x80000000, v9
	v_or3_b32 v5, v5, v9, v7
	v_mov_b32_e32 v22, v6
	v_mov_b32_e32 v21, v5
.LBB185_984:                            ;   in Loop: Header=BB185_519 Depth=1
	s_or_b32 exec_lo, exec_lo, s26
.LBB185_985:                            ;   in Loop: Header=BB185_519 Depth=1
	s_or_b32 exec_lo, exec_lo, s22
.LBB185_986:                            ;   in Loop: Header=BB185_519 Depth=1
	s_or_b32 exec_lo, exec_lo, s21
	s_mov_b32 s21, exec_lo
	v_cmpx_lt_u32_e32 0xffffff, v108
	s_cbranch_execz .LBB185_994
; %bb.987:                              ;   in Loop: Header=BB185_519 Depth=1
	v_mov_b32_e32 v7, v6
	v_mov_b32_e32 v24, v8
	v_cmp_ne_u32_sdwa s0, v108, v44 src0_sel:BYTE_3 src1_sel:DWORD
	v_mov_b32_e32 v23, v7
	s_and_saveexec_b32 s22, s0
	s_cbranch_execz .LBB185_993
; %bb.988:                              ;   in Loop: Header=BB185_519 Depth=1
	v_mov_b32_e32 v9, v6
	v_mov_b32_e32 v24, v10
	v_bfe_u32 v109, v108, 24, 7
	s_mov_b32 s26, exec_lo
	v_mov_b32_e32 v23, v9
	v_cmpx_ne_u32_e32 0x7f, v109
	s_cbranch_execz .LBB185_992
; %bb.989:                              ;   in Loop: Header=BB185_519 Depth=1
	v_and_b32_sdwa v5, v108, v47 dst_sel:DWORD dst_unused:UNUSED_PAD src0_sel:BYTE_3 src1_sel:DWORD
	v_lshrrev_b32_e32 v7, 3, v109
	s_mov_b32 s27, exec_lo
	v_cmpx_gt_u32_e32 8, v109
; %bb.990:                              ;   in Loop: Header=BB185_519 Depth=1
	v_ffbh_u32_e32 v7, v5
	v_min_u32_e32 v7, 32, v7
	v_subrev_nc_u32_e32 v9, 28, v7
	v_sub_nc_u32_e32 v7, 29, v7
	v_lshlrev_b64 v[23:24], v9, v[5:6]
	v_and_b32_e32 v5, 7, v23
; %bb.991:                              ;   in Loop: Header=BB185_519 Depth=1
	s_or_b32 exec_lo, exec_lo, s27
	v_lshlrev_b32_sdwa v9, v48, v108 dst_sel:DWORD dst_unused:UNUSED_PAD src0_sel:DWORD src1_sel:BYTE_3
	v_lshlrev_b32_e32 v5, 20, v5
	v_lshl_add_u32 v7, v7, 23, 0x3c000000
	v_mov_b32_e32 v23, v6
	v_and_b32_e32 v9, 0x80000000, v9
	v_or3_b32 v24, v5, v9, v7
.LBB185_992:                            ;   in Loop: Header=BB185_519 Depth=1
	s_or_b32 exec_lo, exec_lo, s26
.LBB185_993:                            ;   in Loop: Header=BB185_519 Depth=1
	s_or_b32 exec_lo, exec_lo, s22
.LBB185_994:                            ;   in Loop: Header=BB185_519 Depth=1
	s_or_b32 exec_lo, exec_lo, s21
	v_or_b32_e32 v5, v20, v18
	v_or_b32_e32 v7, v19, v17
	;; [unrolled: 1-line block ×4, first 2 shown]
	v_mul_f32_e32 v108, s18, v5
	v_mul_f32_e32 v109, s17, v7
	;; [unrolled: 1-line block ×4, first 2 shown]
	s_and_saveexec_b32 s21, vcc_lo
	s_cbranch_execz .LBB185_996
; %bb.995:                              ;   in Loop: Header=BB185_519 Depth=1
	v_cmp_gt_i32_e64 s0, s33, v56
	v_cndmask_b32_e64 v109, 0, v109, s0
	v_cmp_gt_i32_e64 s0, s33, v59
	v_cndmask_b32_e64 v108, 0, v108, s0
	;; [unrolled: 2-line block ×4, first 2 shown]
.LBB185_996:                            ;   in Loop: Header=BB185_519 Depth=1
	s_or_b32 exec_lo, exec_lo, s21
	global_load_dword v110, v[15:16], off offset:1792
	v_mov_b32_e32 v17, 0
	v_mov_b32_e32 v15, 0
	;; [unrolled: 1-line block ×4, first 2 shown]
	s_waitcnt vmcnt(0)
	v_cmp_ne_u16_sdwa s0, v110, v6 src0_sel:BYTE_0 src1_sel:DWORD
	s_and_saveexec_b32 s21, s0
	s_cbranch_execz .LBB185_1004
; %bb.997:                              ;   in Loop: Header=BB185_519 Depth=1
	v_bfrev_b32_e32 v15, 1
	v_mov_b32_e32 v16, 0
	v_cmp_ne_u16_sdwa s0, v110, v44 src0_sel:BYTE_0 src1_sel:DWORD
	s_and_saveexec_b32 s22, s0
	s_cbranch_execz .LBB185_1003
; %bb.998:                              ;   in Loop: Header=BB185_519 Depth=1
	v_mov_b32_e32 v15, 0x7f800001
	v_and_b32_e32 v9, 0x7f, v110
	v_mov_b32_e32 v16, 0
	s_mov_b32 s26, exec_lo
	v_cmpx_ne_u32_e32 0x7f, v9
	s_cbranch_execz .LBB185_1002
; %bb.999:                              ;   in Loop: Header=BB185_519 Depth=1
	v_and_b32_e32 v5, 7, v110
	v_lshrrev_b32_e32 v7, 3, v9
	s_mov_b32 s27, exec_lo
	v_cmpx_gt_u32_e32 8, v9
; %bb.1000:                             ;   in Loop: Header=BB185_519 Depth=1
	v_ffbh_u32_e32 v7, v5
	v_min_u32_e32 v7, 32, v7
	v_subrev_nc_u32_e32 v9, 28, v7
	v_sub_nc_u32_e32 v7, 29, v7
	v_lshlrev_b64 v[15:16], v9, v[5:6]
	v_and_b32_e32 v5, 7, v15
; %bb.1001:                             ;   in Loop: Header=BB185_519 Depth=1
	s_or_b32 exec_lo, exec_lo, s27
	v_lshlrev_b32_e32 v9, 24, v110
	v_lshlrev_b32_e32 v5, 20, v5
	v_lshl_add_u32 v7, v7, 23, 0x3c000000
	v_and_b32_e32 v9, 0x80000000, v9
	v_or3_b32 v5, v5, v9, v7
	v_mov_b32_e32 v16, v6
	v_mov_b32_e32 v15, v5
.LBB185_1002:                           ;   in Loop: Header=BB185_519 Depth=1
	s_or_b32 exec_lo, exec_lo, s26
.LBB185_1003:                           ;   in Loop: Header=BB185_519 Depth=1
	s_or_b32 exec_lo, exec_lo, s22
.LBB185_1004:                           ;   in Loop: Header=BB185_519 Depth=1
	s_or_b32 exec_lo, exec_lo, s21
	v_cmp_ne_u16_sdwa s0, v110, v6 src0_sel:BYTE_1 src1_sel:DWORD
	s_and_saveexec_b32 s21, s0
	s_cbranch_execz .LBB185_1012
; %bb.1005:                             ;   in Loop: Header=BB185_519 Depth=1
	v_mov_b32_e32 v7, v6
	v_mov_b32_e32 v18, v8
	v_cmp_ne_u16_sdwa s0, v110, v44 src0_sel:BYTE_1 src1_sel:DWORD
	v_mov_b32_e32 v17, v7
	s_and_saveexec_b32 s22, s0
	s_cbranch_execz .LBB185_1011
; %bb.1006:                             ;   in Loop: Header=BB185_519 Depth=1
	v_and_b32_sdwa v5, v45, v110 dst_sel:DWORD dst_unused:UNUSED_PAD src0_sel:DWORD src1_sel:BYTE_1
	v_mov_b32_e32 v9, v6
	v_mov_b32_e32 v18, v10
	s_mov_b32 s26, exec_lo
	v_and_b32_e32 v19, 0x7f, v5
	v_mov_b32_e32 v17, v9
	v_cmpx_ne_u32_e32 0x7f, v19
	s_cbranch_execz .LBB185_1010
; %bb.1007:                             ;   in Loop: Header=BB185_519 Depth=1
	v_and_b32_e32 v5, 7, v5
	v_lshrrev_b32_e32 v7, 3, v19
	s_mov_b32 s27, exec_lo
	v_cmpx_gt_u32_e32 8, v19
; %bb.1008:                             ;   in Loop: Header=BB185_519 Depth=1
	v_ffbh_u32_e32 v7, v5
	v_min_u32_e32 v7, 32, v7
	v_subrev_nc_u32_e32 v9, 28, v7
	v_sub_nc_u32_e32 v7, 29, v7
	v_lshlrev_b64 v[17:18], v9, v[5:6]
	v_and_b32_e32 v5, 7, v17
; %bb.1009:                             ;   in Loop: Header=BB185_519 Depth=1
	s_or_b32 exec_lo, exec_lo, s27
	v_lshlrev_b32_e32 v9, 16, v110
	v_lshlrev_b32_e32 v5, 20, v5
	v_lshl_add_u32 v7, v7, 23, 0x3c000000
	v_mov_b32_e32 v17, v6
	v_and_b32_e32 v9, 0x80000000, v9
	v_or3_b32 v18, v5, v9, v7
.LBB185_1010:                           ;   in Loop: Header=BB185_519 Depth=1
	s_or_b32 exec_lo, exec_lo, s26
.LBB185_1011:                           ;   in Loop: Header=BB185_519 Depth=1
	s_or_b32 exec_lo, exec_lo, s22
.LBB185_1012:                           ;   in Loop: Header=BB185_519 Depth=1
	s_or_b32 exec_lo, exec_lo, s21
	v_mov_b32_e32 v21, 0
	v_mov_b32_e32 v19, 0
	v_and_b32_sdwa v5, v110, v46 dst_sel:DWORD dst_unused:UNUSED_PAD src0_sel:WORD_1 src1_sel:DWORD
	v_mov_b32_e32 v22, 0
	v_mov_b32_e32 v20, 0
	s_mov_b32 s21, exec_lo
	v_cmpx_ne_u16_e32 0, v5
	s_cbranch_execz .LBB185_1020
; %bb.1013:                             ;   in Loop: Header=BB185_519 Depth=1
	v_bfrev_b32_e32 v19, 1
	v_mov_b32_e32 v20, 0
	s_mov_b32 s22, exec_lo
	v_cmpx_ne_u16_e32 0x80, v5
	s_cbranch_execz .LBB185_1019
; %bb.1014:                             ;   in Loop: Header=BB185_519 Depth=1
	v_mov_b32_e32 v19, 0x7f800001
	v_bfe_u32 v9, v110, 16, 7
	v_mov_b32_e32 v20, 0
	s_mov_b32 s26, exec_lo
	v_cmpx_ne_u32_e32 0x7f, v9
	s_cbranch_execz .LBB185_1018
; %bb.1015:                             ;   in Loop: Header=BB185_519 Depth=1
	v_and_b32_sdwa v5, v110, v47 dst_sel:DWORD dst_unused:UNUSED_PAD src0_sel:WORD_1 src1_sel:DWORD
	v_lshrrev_b32_e32 v7, 3, v9
	s_mov_b32 s27, exec_lo
	v_cmpx_gt_u32_e32 8, v9
; %bb.1016:                             ;   in Loop: Header=BB185_519 Depth=1
	v_ffbh_u32_e32 v7, v5
	v_min_u32_e32 v7, 32, v7
	v_subrev_nc_u32_e32 v9, 28, v7
	v_sub_nc_u32_e32 v7, 29, v7
	v_lshlrev_b64 v[19:20], v9, v[5:6]
	v_and_b32_e32 v5, 7, v19
; %bb.1017:                             ;   in Loop: Header=BB185_519 Depth=1
	s_or_b32 exec_lo, exec_lo, s27
	v_lshlrev_b32_sdwa v9, v48, v110 dst_sel:DWORD dst_unused:UNUSED_PAD src0_sel:DWORD src1_sel:WORD_1
	v_lshlrev_b32_e32 v5, 20, v5
	v_lshl_add_u32 v7, v7, 23, 0x3c000000
	v_and_b32_e32 v9, 0x80000000, v9
	v_or3_b32 v5, v5, v9, v7
	v_mov_b32_e32 v20, v6
	v_mov_b32_e32 v19, v5
.LBB185_1018:                           ;   in Loop: Header=BB185_519 Depth=1
	s_or_b32 exec_lo, exec_lo, s26
.LBB185_1019:                           ;   in Loop: Header=BB185_519 Depth=1
	s_or_b32 exec_lo, exec_lo, s22
.LBB185_1020:                           ;   in Loop: Header=BB185_519 Depth=1
	s_or_b32 exec_lo, exec_lo, s21
	s_mov_b32 s21, exec_lo
	v_cmpx_lt_u32_e32 0xffffff, v110
	s_cbranch_execz .LBB185_1028
; %bb.1021:                             ;   in Loop: Header=BB185_519 Depth=1
	v_mov_b32_e32 v7, v6
	v_mov_b32_e32 v22, v8
	v_cmp_ne_u32_sdwa s0, v110, v44 src0_sel:BYTE_3 src1_sel:DWORD
	v_mov_b32_e32 v21, v7
	s_and_saveexec_b32 s22, s0
	s_cbranch_execz .LBB185_1027
; %bb.1022:                             ;   in Loop: Header=BB185_519 Depth=1
	v_mov_b32_e32 v9, v6
	v_mov_b32_e32 v22, v10
	v_bfe_u32 v111, v110, 24, 7
	s_mov_b32 s26, exec_lo
	v_mov_b32_e32 v21, v9
	v_cmpx_ne_u32_e32 0x7f, v111
	s_cbranch_execz .LBB185_1026
; %bb.1023:                             ;   in Loop: Header=BB185_519 Depth=1
	v_and_b32_sdwa v5, v110, v47 dst_sel:DWORD dst_unused:UNUSED_PAD src0_sel:BYTE_3 src1_sel:DWORD
	v_lshrrev_b32_e32 v7, 3, v111
	s_mov_b32 s27, exec_lo
	v_cmpx_gt_u32_e32 8, v111
; %bb.1024:                             ;   in Loop: Header=BB185_519 Depth=1
	v_ffbh_u32_e32 v7, v5
	v_min_u32_e32 v7, 32, v7
	v_subrev_nc_u32_e32 v9, 28, v7
	v_sub_nc_u32_e32 v7, 29, v7
	v_lshlrev_b64 v[21:22], v9, v[5:6]
	v_and_b32_e32 v5, 7, v21
; %bb.1025:                             ;   in Loop: Header=BB185_519 Depth=1
	s_or_b32 exec_lo, exec_lo, s27
	v_lshlrev_b32_sdwa v9, v48, v110 dst_sel:DWORD dst_unused:UNUSED_PAD src0_sel:DWORD src1_sel:BYTE_3
	v_lshlrev_b32_e32 v5, 20, v5
	v_lshl_add_u32 v7, v7, 23, 0x3c000000
	v_mov_b32_e32 v21, v6
	v_and_b32_e32 v9, 0x80000000, v9
	v_or3_b32 v22, v5, v9, v7
.LBB185_1026:                           ;   in Loop: Header=BB185_519 Depth=1
	s_or_b32 exec_lo, exec_lo, s26
.LBB185_1027:                           ;   in Loop: Header=BB185_519 Depth=1
	s_or_b32 exec_lo, exec_lo, s22
.LBB185_1028:                           ;   in Loop: Header=BB185_519 Depth=1
	s_or_b32 exec_lo, exec_lo, s21
	v_or_b32_e32 v5, v18, v16
	v_or_b32_e32 v7, v17, v15
	;; [unrolled: 1-line block ×4, first 2 shown]
	v_mul_f32_e32 v9, s18, v5
	v_mul_f32_e32 v15, s17, v7
	;; [unrolled: 1-line block ×4, first 2 shown]
	s_and_saveexec_b32 s0, vcc_lo
	s_cbranch_execz .LBB185_517
; %bb.1029:                             ;   in Loop: Header=BB185_519 Depth=1
	v_cmp_gt_i32_e32 vcc_lo, s33, v56
	v_cndmask_b32_e32 v15, 0, v15, vcc_lo
	v_cmp_gt_i32_e32 vcc_lo, s33, v59
	v_cndmask_b32_e32 v9, 0, v9, vcc_lo
	;; [unrolled: 2-line block ×4, first 2 shown]
	s_branch .LBB185_517
.LBB185_1030:
	s_or_b32 exec_lo, exec_lo, s5
	v_mov_b32_e32 v43, v112
	v_mov_b32_e32 v51, v113
.LBB185_1031:
	s_or_b32 exec_lo, exec_lo, s1
	ds_bpermute_b32 v1, v25, v41
	ds_bpermute_b32 v2, v25, v42
	;; [unrolled: 1-line block ×15, first 2 shown]
	s_mov_b32 s0, exec_lo
	s_waitcnt lgkmcnt(0)
	s_barrier
	buffer_gl0_inv
	v_add_f32_e32 v1, v41, v1
	v_add_f32_e32 v2, v42, v2
	;; [unrolled: 1-line block ×7, first 2 shown]
	ds_bpermute_b32 v16, v26, v1
	v_add_f32_e32 v8, v35, v8
	v_add_f32_e32 v9, v34, v9
	;; [unrolled: 1-line block ×8, first 2 shown]
	ds_bpermute_b32 v17, v26, v2
	ds_bpermute_b32 v18, v26, v3
	;; [unrolled: 1-line block ×14, first 2 shown]
	s_waitcnt lgkmcnt(14)
	v_add_f32_e32 v1, v1, v16
	v_and_b32_e32 v16, 28, v0
	v_lshrrev_b32_e32 v0, 2, v0
	s_waitcnt lgkmcnt(13)
	v_add_f32_e32 v2, v2, v17
	s_waitcnt lgkmcnt(12)
	v_add_f32_e32 v3, v3, v18
	;; [unrolled: 2-line block ×13, first 2 shown]
	v_and_b32_e32 v18, 0x3c3, v43
	s_waitcnt lgkmcnt(0)
	v_add_f32_e32 v15, v15, v26
	v_add_nc_u32_e32 v16, 0x200, v16
	v_mul_u32_u24_e32 v17, 0x1e0, v51
	v_cmpx_eq_u32_e32 64, v18
	s_cbranch_execz .LBB185_1033
; %bb.1032:
	v_add_nc_u32_e32 v18, v16, v17
	v_add_nc_u32_e32 v19, 0xfffffc40, v18
	;; [unrolled: 1-line block ×6, first 2 shown]
	ds_write_b32 v19, v1
	ds_write_b32 v20, v2
	;; [unrolled: 1-line block ×5, first 2 shown]
	v_add_nc_u32_e32 v19, 0xfffffce0, v18
	v_add_nc_u32_e32 v20, 0xfffffd00, v18
	;; [unrolled: 1-line block ×5, first 2 shown]
	ds_write_b32 v19, v6
	ds_write_b32 v20, v7
	;; [unrolled: 1-line block ×5, first 2 shown]
	v_add_nc_u32_e32 v19, 0xfffffd80, v18
	v_add_nc_u32_e32 v20, 0xfffffda0, v18
	;; [unrolled: 1-line block ×5, first 2 shown]
	ds_write_b32 v19, v11
	ds_write_b32 v20, v12
	;; [unrolled: 1-line block ×5, first 2 shown]
.LBB185_1033:
	s_or_b32 exec_lo, exec_lo, s0
	v_lshlrev_b32_e32 v0, 2, v0
	s_mov_b32 s1, exec_lo
	v_cmp_eq_u32_e32 vcc_lo, 0, v27
	s_waitcnt lgkmcnt(0)
	s_barrier
	v_add3_u32 v0, 0x200, v17, v0
	buffer_gl0_inv
	v_cmpx_gt_u32_e32 64, v43
	s_cbranch_execz .LBB185_1051
; %bb.1034:
	s_and_saveexec_b32 s0, vcc_lo
	s_cbranch_execnz .LBB185_1074
; %bb.1035:
	s_or_b32 exec_lo, exec_lo, s0
	s_and_saveexec_b32 s0, vcc_lo
	s_cbranch_execnz .LBB185_1075
.LBB185_1036:
	s_or_b32 exec_lo, exec_lo, s0
	s_and_saveexec_b32 s0, vcc_lo
	s_cbranch_execnz .LBB185_1076
.LBB185_1037:
	s_or_b32 exec_lo, exec_lo, s0
	s_and_saveexec_b32 s0, vcc_lo
	s_cbranch_execnz .LBB185_1077
.LBB185_1038:
	s_or_b32 exec_lo, exec_lo, s0
	s_and_saveexec_b32 s0, vcc_lo
	s_cbranch_execnz .LBB185_1078
.LBB185_1039:
	s_or_b32 exec_lo, exec_lo, s0
	s_and_saveexec_b32 s0, vcc_lo
	s_cbranch_execnz .LBB185_1079
.LBB185_1040:
	s_or_b32 exec_lo, exec_lo, s0
	s_and_saveexec_b32 s0, vcc_lo
	s_cbranch_execnz .LBB185_1080
.LBB185_1041:
	s_or_b32 exec_lo, exec_lo, s0
	s_and_saveexec_b32 s0, vcc_lo
	s_cbranch_execnz .LBB185_1081
.LBB185_1042:
	s_or_b32 exec_lo, exec_lo, s0
	s_and_saveexec_b32 s0, vcc_lo
	s_cbranch_execnz .LBB185_1082
.LBB185_1043:
	s_or_b32 exec_lo, exec_lo, s0
	s_and_saveexec_b32 s0, vcc_lo
	s_cbranch_execnz .LBB185_1083
.LBB185_1044:
	s_or_b32 exec_lo, exec_lo, s0
	s_and_saveexec_b32 s0, vcc_lo
	s_cbranch_execnz .LBB185_1084
.LBB185_1045:
	s_or_b32 exec_lo, exec_lo, s0
	s_and_saveexec_b32 s0, vcc_lo
	s_cbranch_execnz .LBB185_1085
.LBB185_1046:
	s_or_b32 exec_lo, exec_lo, s0
	s_and_saveexec_b32 s0, vcc_lo
	s_cbranch_execnz .LBB185_1086
.LBB185_1047:
	s_or_b32 exec_lo, exec_lo, s0
	s_and_saveexec_b32 s0, vcc_lo
	s_cbranch_execnz .LBB185_1087
.LBB185_1048:
	s_or_b32 exec_lo, exec_lo, s0
	s_and_saveexec_b32 s0, vcc_lo
	s_cbranch_execz .LBB185_1050
.LBB185_1049:
	ds_read_b32 v17, v0 offset:448
	s_waitcnt lgkmcnt(0)
	v_add_f32_e32 v15, v15, v17
.LBB185_1050:
	s_or_b32 exec_lo, exec_lo, s0
.LBB185_1051:
	s_or_b32 exec_lo, exec_lo, s1
	v_and_b32_e32 v17, 0x3e3, v43
	s_mov_b32 s1, exec_lo
	s_barrier
	buffer_gl0_inv
	v_cmpx_eq_u32_e32 32, v17
	s_cbranch_execz .LBB185_1053
; %bb.1052:
	ds_write2_b32 v16, v1, v2 offset1:8
	ds_write2_b32 v16, v3, v4 offset0:16 offset1:24
	ds_write2_b32 v16, v5, v6 offset0:32 offset1:40
	;; [unrolled: 1-line block ×6, first 2 shown]
	ds_write_b32 v16, v15 offset:448
.LBB185_1053:
	s_or_b32 exec_lo, exec_lo, s1
	s_mov_b32 s1, exec_lo
	s_waitcnt lgkmcnt(0)
	s_barrier
	buffer_gl0_inv
	v_cmpx_gt_u32_e32 32, v43
	s_cbranch_execz .LBB185_1071
; %bb.1054:
	s_and_saveexec_b32 s0, vcc_lo
	s_cbranch_execnz .LBB185_1088
; %bb.1055:
	s_or_b32 exec_lo, exec_lo, s0
	s_and_saveexec_b32 s0, vcc_lo
	s_cbranch_execnz .LBB185_1089
.LBB185_1056:
	s_or_b32 exec_lo, exec_lo, s0
	s_and_saveexec_b32 s0, vcc_lo
	s_cbranch_execnz .LBB185_1090
.LBB185_1057:
	s_or_b32 exec_lo, exec_lo, s0
	s_and_saveexec_b32 s0, vcc_lo
	s_cbranch_execnz .LBB185_1091
.LBB185_1058:
	s_or_b32 exec_lo, exec_lo, s0
	s_and_saveexec_b32 s0, vcc_lo
	s_cbranch_execnz .LBB185_1092
.LBB185_1059:
	s_or_b32 exec_lo, exec_lo, s0
	s_and_saveexec_b32 s0, vcc_lo
	s_cbranch_execnz .LBB185_1093
.LBB185_1060:
	s_or_b32 exec_lo, exec_lo, s0
	s_and_saveexec_b32 s0, vcc_lo
	s_cbranch_execnz .LBB185_1094
.LBB185_1061:
	s_or_b32 exec_lo, exec_lo, s0
	s_and_saveexec_b32 s0, vcc_lo
	s_cbranch_execnz .LBB185_1095
.LBB185_1062:
	s_or_b32 exec_lo, exec_lo, s0
	s_and_saveexec_b32 s0, vcc_lo
	s_cbranch_execnz .LBB185_1096
.LBB185_1063:
	s_or_b32 exec_lo, exec_lo, s0
	s_and_saveexec_b32 s0, vcc_lo
	s_cbranch_execnz .LBB185_1097
.LBB185_1064:
	s_or_b32 exec_lo, exec_lo, s0
	s_and_saveexec_b32 s0, vcc_lo
	s_cbranch_execnz .LBB185_1098
.LBB185_1065:
	s_or_b32 exec_lo, exec_lo, s0
	s_and_saveexec_b32 s0, vcc_lo
	s_cbranch_execnz .LBB185_1099
.LBB185_1066:
	s_or_b32 exec_lo, exec_lo, s0
	s_and_saveexec_b32 s0, vcc_lo
	s_cbranch_execnz .LBB185_1100
.LBB185_1067:
	s_or_b32 exec_lo, exec_lo, s0
	s_and_saveexec_b32 s0, vcc_lo
	s_cbranch_execnz .LBB185_1101
.LBB185_1068:
	s_or_b32 exec_lo, exec_lo, s0
	s_and_saveexec_b32 s0, vcc_lo
	s_cbranch_execz .LBB185_1070
.LBB185_1069:
	ds_read_b32 v0, v0 offset:448
	s_waitcnt lgkmcnt(0)
	v_add_f32_e32 v15, v15, v0
.LBB185_1070:
	s_or_b32 exec_lo, exec_lo, s0
.LBB185_1071:
	s_or_b32 exec_lo, exec_lo, s1
	s_barrier
	buffer_gl0_inv
	s_mov_b32 s0, exec_lo
	v_cmpx_eq_u32_e32 0, v17
	s_cbranch_execz .LBB185_1073
; %bb.1072:
	s_mul_i32 s0, s10, s11
	s_mul_i32 s2, s11, s24
	;; [unrolled: 1-line block ×3, first 2 shown]
	s_mulk_i32 s0, 0x78
	s_ashr_i32 s1, s0, 31
	s_lshl_b64 s[0:1], s[0:1], 2
	s_add_u32 s4, s6, s0
	s_addc_u32 s5, s7, s1
	s_ashr_i32 s3, s2, 31
	s_lshl_b64 s[0:1], s[2:3], 2
	s_mul_i32 s2, s8, 0x78
	s_add_u32 s4, s4, s0
	s_addc_u32 s5, s5, s1
	s_ashr_i32 s3, s2, 31
	s_lshl_b64 s[0:1], s[2:3], 2
	s_add_u32 s0, s4, s0
	s_addc_u32 s1, s5, s1
	global_store_dword v43, v1, s[0:1]
	global_store_dword v43, v2, s[0:1] offset:32
	global_store_dword v43, v3, s[0:1] offset:64
	;; [unrolled: 1-line block ×14, first 2 shown]
.LBB185_1073:
	s_endpgm
.LBB185_1074:
	ds_read_b32 v17, v0
	s_waitcnt lgkmcnt(0)
	v_add_f32_e32 v1, v1, v17
	s_or_b32 exec_lo, exec_lo, s0
	s_and_saveexec_b32 s0, vcc_lo
	s_cbranch_execz .LBB185_1036
.LBB185_1075:
	ds_read_b32 v17, v0 offset:32
	s_waitcnt lgkmcnt(0)
	v_add_f32_e32 v2, v2, v17
	s_or_b32 exec_lo, exec_lo, s0
	s_and_saveexec_b32 s0, vcc_lo
	s_cbranch_execz .LBB185_1037
.LBB185_1076:
	ds_read_b32 v17, v0 offset:64
	s_waitcnt lgkmcnt(0)
	v_add_f32_e32 v3, v3, v17
	s_or_b32 exec_lo, exec_lo, s0
	s_and_saveexec_b32 s0, vcc_lo
	s_cbranch_execz .LBB185_1038
.LBB185_1077:
	ds_read_b32 v17, v0 offset:96
	s_waitcnt lgkmcnt(0)
	v_add_f32_e32 v4, v4, v17
	s_or_b32 exec_lo, exec_lo, s0
	s_and_saveexec_b32 s0, vcc_lo
	s_cbranch_execz .LBB185_1039
.LBB185_1078:
	ds_read_b32 v17, v0 offset:128
	s_waitcnt lgkmcnt(0)
	v_add_f32_e32 v5, v5, v17
	s_or_b32 exec_lo, exec_lo, s0
	s_and_saveexec_b32 s0, vcc_lo
	s_cbranch_execz .LBB185_1040
.LBB185_1079:
	ds_read_b32 v17, v0 offset:160
	s_waitcnt lgkmcnt(0)
	v_add_f32_e32 v6, v6, v17
	s_or_b32 exec_lo, exec_lo, s0
	s_and_saveexec_b32 s0, vcc_lo
	s_cbranch_execz .LBB185_1041
.LBB185_1080:
	ds_read_b32 v17, v0 offset:192
	s_waitcnt lgkmcnt(0)
	v_add_f32_e32 v7, v7, v17
	s_or_b32 exec_lo, exec_lo, s0
	s_and_saveexec_b32 s0, vcc_lo
	s_cbranch_execz .LBB185_1042
.LBB185_1081:
	ds_read_b32 v17, v0 offset:224
	s_waitcnt lgkmcnt(0)
	v_add_f32_e32 v8, v8, v17
	s_or_b32 exec_lo, exec_lo, s0
	s_and_saveexec_b32 s0, vcc_lo
	s_cbranch_execz .LBB185_1043
.LBB185_1082:
	ds_read_b32 v17, v0 offset:256
	s_waitcnt lgkmcnt(0)
	v_add_f32_e32 v9, v9, v17
	s_or_b32 exec_lo, exec_lo, s0
	s_and_saveexec_b32 s0, vcc_lo
	s_cbranch_execz .LBB185_1044
.LBB185_1083:
	ds_read_b32 v17, v0 offset:288
	s_waitcnt lgkmcnt(0)
	v_add_f32_e32 v10, v10, v17
	s_or_b32 exec_lo, exec_lo, s0
	s_and_saveexec_b32 s0, vcc_lo
	s_cbranch_execz .LBB185_1045
.LBB185_1084:
	ds_read_b32 v17, v0 offset:320
	s_waitcnt lgkmcnt(0)
	v_add_f32_e32 v11, v11, v17
	s_or_b32 exec_lo, exec_lo, s0
	s_and_saveexec_b32 s0, vcc_lo
	s_cbranch_execz .LBB185_1046
.LBB185_1085:
	ds_read_b32 v17, v0 offset:352
	s_waitcnt lgkmcnt(0)
	v_add_f32_e32 v12, v12, v17
	s_or_b32 exec_lo, exec_lo, s0
	s_and_saveexec_b32 s0, vcc_lo
	s_cbranch_execz .LBB185_1047
.LBB185_1086:
	ds_read_b32 v17, v0 offset:384
	s_waitcnt lgkmcnt(0)
	v_add_f32_e32 v13, v13, v17
	s_or_b32 exec_lo, exec_lo, s0
	s_and_saveexec_b32 s0, vcc_lo
	s_cbranch_execz .LBB185_1048
.LBB185_1087:
	ds_read_b32 v17, v0 offset:416
	s_waitcnt lgkmcnt(0)
	v_add_f32_e32 v14, v14, v17
	s_or_b32 exec_lo, exec_lo, s0
	s_and_saveexec_b32 s0, vcc_lo
	s_cbranch_execnz .LBB185_1049
	s_branch .LBB185_1050
.LBB185_1088:
	ds_read_b32 v16, v0
	s_waitcnt lgkmcnt(0)
	v_add_f32_e32 v1, v1, v16
	s_or_b32 exec_lo, exec_lo, s0
	s_and_saveexec_b32 s0, vcc_lo
	s_cbranch_execz .LBB185_1056
.LBB185_1089:
	ds_read_b32 v16, v0 offset:32
	s_waitcnt lgkmcnt(0)
	v_add_f32_e32 v2, v2, v16
	s_or_b32 exec_lo, exec_lo, s0
	s_and_saveexec_b32 s0, vcc_lo
	s_cbranch_execz .LBB185_1057
.LBB185_1090:
	ds_read_b32 v16, v0 offset:64
	s_waitcnt lgkmcnt(0)
	v_add_f32_e32 v3, v3, v16
	s_or_b32 exec_lo, exec_lo, s0
	s_and_saveexec_b32 s0, vcc_lo
	s_cbranch_execz .LBB185_1058
.LBB185_1091:
	ds_read_b32 v16, v0 offset:96
	s_waitcnt lgkmcnt(0)
	v_add_f32_e32 v4, v4, v16
	s_or_b32 exec_lo, exec_lo, s0
	s_and_saveexec_b32 s0, vcc_lo
	s_cbranch_execz .LBB185_1059
.LBB185_1092:
	ds_read_b32 v16, v0 offset:128
	s_waitcnt lgkmcnt(0)
	v_add_f32_e32 v5, v5, v16
	s_or_b32 exec_lo, exec_lo, s0
	s_and_saveexec_b32 s0, vcc_lo
	s_cbranch_execz .LBB185_1060
.LBB185_1093:
	ds_read_b32 v16, v0 offset:160
	s_waitcnt lgkmcnt(0)
	v_add_f32_e32 v6, v6, v16
	s_or_b32 exec_lo, exec_lo, s0
	s_and_saveexec_b32 s0, vcc_lo
	s_cbranch_execz .LBB185_1061
.LBB185_1094:
	ds_read_b32 v16, v0 offset:192
	s_waitcnt lgkmcnt(0)
	v_add_f32_e32 v7, v7, v16
	s_or_b32 exec_lo, exec_lo, s0
	s_and_saveexec_b32 s0, vcc_lo
	s_cbranch_execz .LBB185_1062
.LBB185_1095:
	ds_read_b32 v16, v0 offset:224
	s_waitcnt lgkmcnt(0)
	v_add_f32_e32 v8, v8, v16
	s_or_b32 exec_lo, exec_lo, s0
	s_and_saveexec_b32 s0, vcc_lo
	s_cbranch_execz .LBB185_1063
.LBB185_1096:
	ds_read_b32 v16, v0 offset:256
	s_waitcnt lgkmcnt(0)
	v_add_f32_e32 v9, v9, v16
	s_or_b32 exec_lo, exec_lo, s0
	s_and_saveexec_b32 s0, vcc_lo
	s_cbranch_execz .LBB185_1064
.LBB185_1097:
	ds_read_b32 v16, v0 offset:288
	s_waitcnt lgkmcnt(0)
	v_add_f32_e32 v10, v10, v16
	s_or_b32 exec_lo, exec_lo, s0
	s_and_saveexec_b32 s0, vcc_lo
	s_cbranch_execz .LBB185_1065
.LBB185_1098:
	ds_read_b32 v16, v0 offset:320
	s_waitcnt lgkmcnt(0)
	v_add_f32_e32 v11, v11, v16
	s_or_b32 exec_lo, exec_lo, s0
	s_and_saveexec_b32 s0, vcc_lo
	s_cbranch_execz .LBB185_1066
.LBB185_1099:
	ds_read_b32 v16, v0 offset:352
	s_waitcnt lgkmcnt(0)
	v_add_f32_e32 v12, v12, v16
	s_or_b32 exec_lo, exec_lo, s0
	s_and_saveexec_b32 s0, vcc_lo
	s_cbranch_execz .LBB185_1067
.LBB185_1100:
	ds_read_b32 v16, v0 offset:384
	s_waitcnt lgkmcnt(0)
	v_add_f32_e32 v13, v13, v16
	s_or_b32 exec_lo, exec_lo, s0
	s_and_saveexec_b32 s0, vcc_lo
	s_cbranch_execz .LBB185_1068
.LBB185_1101:
	ds_read_b32 v16, v0 offset:416
	s_waitcnt lgkmcnt(0)
	v_add_f32_e32 v14, v14, v16
	s_or_b32 exec_lo, exec_lo, s0
	s_and_saveexec_b32 s0, vcc_lo
	s_cbranch_execnz .LBB185_1069
	s_branch .LBB185_1070
	.section	.rodata,"a",@progbits
	.p2align	6, 0x0
	.amdhsa_kernel _ZN4vllm25paged_attention_v1_kernelIfhLi120ELi16ELi128ELNS_18Fp8KVCacheDataTypeE1ELb1EEEvPT_PKS2_PKT0_S8_ifPKiSA_iPKfiiiSC_SC_iiiii
		.amdhsa_group_segment_fixed_size 512
		.amdhsa_private_segment_fixed_size 276
		.amdhsa_kernarg_size 384
		.amdhsa_user_sgpr_count 6
		.amdhsa_user_sgpr_private_segment_buffer 1
		.amdhsa_user_sgpr_dispatch_ptr 0
		.amdhsa_user_sgpr_queue_ptr 0
		.amdhsa_user_sgpr_kernarg_segment_ptr 1
		.amdhsa_user_sgpr_dispatch_id 0
		.amdhsa_user_sgpr_flat_scratch_init 0
		.amdhsa_user_sgpr_private_segment_size 0
		.amdhsa_wavefront_size32 1
		.amdhsa_uses_dynamic_stack 0
		.amdhsa_system_sgpr_private_segment_wavefront_offset 1
		.amdhsa_system_sgpr_workgroup_id_x 1
		.amdhsa_system_sgpr_workgroup_id_y 1
		.amdhsa_system_sgpr_workgroup_id_z 1
		.amdhsa_system_sgpr_workgroup_info 0
		.amdhsa_system_vgpr_workitem_id 0
		.amdhsa_next_free_vgpr 128
		.amdhsa_next_free_sgpr 52
		.amdhsa_reserve_vcc 1
		.amdhsa_reserve_flat_scratch 0
		.amdhsa_float_round_mode_32 0
		.amdhsa_float_round_mode_16_64 0
		.amdhsa_float_denorm_mode_32 3
		.amdhsa_float_denorm_mode_16_64 3
		.amdhsa_dx10_clamp 1
		.amdhsa_ieee_mode 1
		.amdhsa_fp16_overflow 0
		.amdhsa_workgroup_processor_mode 1
		.amdhsa_memory_ordered 1
		.amdhsa_forward_progress 1
		.amdhsa_shared_vgpr_count 0
		.amdhsa_exception_fp_ieee_invalid_op 0
		.amdhsa_exception_fp_denorm_src 0
		.amdhsa_exception_fp_ieee_div_zero 0
		.amdhsa_exception_fp_ieee_overflow 0
		.amdhsa_exception_fp_ieee_underflow 0
		.amdhsa_exception_fp_ieee_inexact 0
		.amdhsa_exception_int_div_zero 0
	.end_amdhsa_kernel
	.section	.text._ZN4vllm25paged_attention_v1_kernelIfhLi120ELi16ELi128ELNS_18Fp8KVCacheDataTypeE1ELb1EEEvPT_PKS2_PKT0_S8_ifPKiSA_iPKfiiiSC_SC_iiiii,"axG",@progbits,_ZN4vllm25paged_attention_v1_kernelIfhLi120ELi16ELi128ELNS_18Fp8KVCacheDataTypeE1ELb1EEEvPT_PKS2_PKT0_S8_ifPKiSA_iPKfiiiSC_SC_iiiii,comdat
.Lfunc_end185:
	.size	_ZN4vllm25paged_attention_v1_kernelIfhLi120ELi16ELi128ELNS_18Fp8KVCacheDataTypeE1ELb1EEEvPT_PKS2_PKT0_S8_ifPKiSA_iPKfiiiSC_SC_iiiii, .Lfunc_end185-_ZN4vllm25paged_attention_v1_kernelIfhLi120ELi16ELi128ELNS_18Fp8KVCacheDataTypeE1ELb1EEEvPT_PKS2_PKT0_S8_ifPKiSA_iPKfiiiSC_SC_iiiii
                                        ; -- End function
	.set _ZN4vllm25paged_attention_v1_kernelIfhLi120ELi16ELi128ELNS_18Fp8KVCacheDataTypeE1ELb1EEEvPT_PKS2_PKT0_S8_ifPKiSA_iPKfiiiSC_SC_iiiii.num_vgpr, 128
	.set _ZN4vllm25paged_attention_v1_kernelIfhLi120ELi16ELi128ELNS_18Fp8KVCacheDataTypeE1ELb1EEEvPT_PKS2_PKT0_S8_ifPKiSA_iPKfiiiSC_SC_iiiii.num_agpr, 0
	.set _ZN4vllm25paged_attention_v1_kernelIfhLi120ELi16ELi128ELNS_18Fp8KVCacheDataTypeE1ELb1EEEvPT_PKS2_PKT0_S8_ifPKiSA_iPKfiiiSC_SC_iiiii.numbered_sgpr, 52
	.set _ZN4vllm25paged_attention_v1_kernelIfhLi120ELi16ELi128ELNS_18Fp8KVCacheDataTypeE1ELb1EEEvPT_PKS2_PKT0_S8_ifPKiSA_iPKfiiiSC_SC_iiiii.num_named_barrier, 0
	.set _ZN4vllm25paged_attention_v1_kernelIfhLi120ELi16ELi128ELNS_18Fp8KVCacheDataTypeE1ELb1EEEvPT_PKS2_PKT0_S8_ifPKiSA_iPKfiiiSC_SC_iiiii.private_seg_size, 276
	.set _ZN4vllm25paged_attention_v1_kernelIfhLi120ELi16ELi128ELNS_18Fp8KVCacheDataTypeE1ELb1EEEvPT_PKS2_PKT0_S8_ifPKiSA_iPKfiiiSC_SC_iiiii.uses_vcc, 1
	.set _ZN4vllm25paged_attention_v1_kernelIfhLi120ELi16ELi128ELNS_18Fp8KVCacheDataTypeE1ELb1EEEvPT_PKS2_PKT0_S8_ifPKiSA_iPKfiiiSC_SC_iiiii.uses_flat_scratch, 0
	.set _ZN4vllm25paged_attention_v1_kernelIfhLi120ELi16ELi128ELNS_18Fp8KVCacheDataTypeE1ELb1EEEvPT_PKS2_PKT0_S8_ifPKiSA_iPKfiiiSC_SC_iiiii.has_dyn_sized_stack, 0
	.set _ZN4vllm25paged_attention_v1_kernelIfhLi120ELi16ELi128ELNS_18Fp8KVCacheDataTypeE1ELb1EEEvPT_PKS2_PKT0_S8_ifPKiSA_iPKfiiiSC_SC_iiiii.has_recursion, 0
	.set _ZN4vllm25paged_attention_v1_kernelIfhLi120ELi16ELi128ELNS_18Fp8KVCacheDataTypeE1ELb1EEEvPT_PKS2_PKT0_S8_ifPKiSA_iPKfiiiSC_SC_iiiii.has_indirect_call, 0
	.section	.AMDGPU.csdata,"",@progbits
; Kernel info:
; codeLenInByte = 34056
; TotalNumSgprs: 54
; NumVgprs: 128
; ScratchSize: 276
; MemoryBound: 0
; FloatMode: 240
; IeeeMode: 1
; LDSByteSize: 512 bytes/workgroup (compile time only)
; SGPRBlocks: 0
; VGPRBlocks: 15
; NumSGPRsForWavesPerEU: 54
; NumVGPRsForWavesPerEU: 128
; Occupancy: 8
; WaveLimiterHint : 1
; COMPUTE_PGM_RSRC2:SCRATCH_EN: 1
; COMPUTE_PGM_RSRC2:USER_SGPR: 6
; COMPUTE_PGM_RSRC2:TRAP_HANDLER: 0
; COMPUTE_PGM_RSRC2:TGID_X_EN: 1
; COMPUTE_PGM_RSRC2:TGID_Y_EN: 1
; COMPUTE_PGM_RSRC2:TGID_Z_EN: 1
; COMPUTE_PGM_RSRC2:TIDIG_COMP_CNT: 0
	.section	.text._ZN4vllm25paged_attention_v1_kernelIfhLi128ELi16ELi128ELNS_18Fp8KVCacheDataTypeE1ELb1EEEvPT_PKS2_PKT0_S8_ifPKiSA_iPKfiiiSC_SC_iiiii,"axG",@progbits,_ZN4vllm25paged_attention_v1_kernelIfhLi128ELi16ELi128ELNS_18Fp8KVCacheDataTypeE1ELb1EEEvPT_PKS2_PKT0_S8_ifPKiSA_iPKfiiiSC_SC_iiiii,comdat
	.protected	_ZN4vllm25paged_attention_v1_kernelIfhLi128ELi16ELi128ELNS_18Fp8KVCacheDataTypeE1ELb1EEEvPT_PKS2_PKT0_S8_ifPKiSA_iPKfiiiSC_SC_iiiii ; -- Begin function _ZN4vllm25paged_attention_v1_kernelIfhLi128ELi16ELi128ELNS_18Fp8KVCacheDataTypeE1ELb1EEEvPT_PKS2_PKT0_S8_ifPKiSA_iPKfiiiSC_SC_iiiii
	.globl	_ZN4vllm25paged_attention_v1_kernelIfhLi128ELi16ELi128ELNS_18Fp8KVCacheDataTypeE1ELb1EEEvPT_PKS2_PKT0_S8_ifPKiSA_iPKfiiiSC_SC_iiiii
	.p2align	8
	.type	_ZN4vllm25paged_attention_v1_kernelIfhLi128ELi16ELi128ELNS_18Fp8KVCacheDataTypeE1ELb1EEEvPT_PKS2_PKT0_S8_ifPKiSA_iPKfiiiSC_SC_iiiii,@function
_ZN4vllm25paged_attention_v1_kernelIfhLi128ELi16ELi128ELNS_18Fp8KVCacheDataTypeE1ELb1EEEvPT_PKS2_PKT0_S8_ifPKiSA_iPKfiiiSC_SC_iiiii: ; @_ZN4vllm25paged_attention_v1_kernelIfhLi128ELi16ELi128ELNS_18Fp8KVCacheDataTypeE1ELb1EEEvPT_PKS2_PKT0_S8_ifPKiSA_iPKfiiiSC_SC_iiiii
; %bb.0:
	s_mov_b64 s[50:51], s[2:3]
	s_mov_b64 s[48:49], s[0:1]
	s_mov_b32 s10, s7
	s_add_u32 s48, s48, s9
	s_clause 0x2
	s_load_dword s9, s[4:5], 0x80
	s_load_dwordx2 s[0:1], s[4:5], 0x30
	s_load_dwordx2 s[34:35], s[4:5], 0x20
	s_addc_u32 s49, s49, 0
	s_ashr_i32 s11, s7, 31
	v_mov_b32_e32 v118, v0
	s_lshl_b64 s[2:3], s[10:11], 2
	s_mov_b32 s36, 0
	s_waitcnt lgkmcnt(0)
	s_add_u32 s0, s0, s2
	s_addc_u32 s1, s1, s3
	s_abs_i32 s2, s34
	s_abs_i32 s11, s9
	v_cvt_f32_u32_e32 v0, s2
	s_sub_i32 s7, 0, s2
	v_rcp_iflag_f32_e32 v0, v0
	v_mul_f32_e32 v0, 0x4f7ffffe, v0
	v_cvt_u32_f32_e32 v0, v0
	v_readfirstlane_b32 s3, v0
	s_mul_i32 s7, s7, s3
	s_mul_hi_u32 s7, s3, s7
	s_add_i32 s3, s3, s7
	s_xor_b32 s7, s9, s34
	s_mul_hi_u32 s3, s11, s3
	s_ashr_i32 s7, s7, 31
	s_mul_i32 s12, s3, s2
	s_sub_i32 s11, s11, s12
	s_add_i32 s12, s3, 1
	s_sub_i32 s13, s11, s2
	s_cmp_ge_u32 s11, s2
	s_cselect_b32 s3, s12, s3
	s_cselect_b32 s11, s13, s11
	s_add_i32 s12, s3, 1
	s_cmp_ge_u32 s11, s2
	s_cselect_b32 s2, s12, s3
	s_xor_b32 s2, s2, s7
	s_sub_i32 s14, s2, s7
	s_load_dwordx2 s[2:3], s[4:5], 0x40
	s_abs_i32 s11, s14
	v_cvt_f32_u32_e32 v0, s11
	s_sub_i32 s12, 0, s11
	v_rcp_iflag_f32_e32 v0, v0
	v_mul_f32_e32 v0, 0x4f7ffffe, v0
	v_cvt_u32_f32_e32 v0, v0
	v_readfirstlane_b32 s7, v0
	s_mul_i32 s12, s12, s7
	s_mul_hi_u32 s13, s7, s12
	s_abs_i32 s12, s6
	s_add_i32 s7, s7, s13
	s_waitcnt lgkmcnt(0)
	s_cmp_eq_u64 s[2:3], 0
	s_mul_hi_u32 s13, s12, s7
	s_cbranch_scc1 .LBB186_2
; %bb.1:
	s_ashr_i32 s7, s6, 31
	s_lshl_b64 s[16:17], s[6:7], 2
	s_add_u32 s2, s2, s16
	s_addc_u32 s3, s3, s17
	s_load_dword s36, s[2:3], 0x0
.LBB186_2:
	s_load_dword s33, s[0:1], 0x0
	s_load_dwordx4 s[16:19], s[4:5], 0x48
	v_and_b32_e32 v0, 1, v118
	v_cmp_gt_u32_e64 s0, 64, v118
	v_lshlrev_b32_e32 v12, 2, v118
	s_ashr_i32 s1, s6, 31
	s_ashr_i32 s2, s14, 31
	s_lshl_b32 s24, s6, 7
	s_and_saveexec_b32 s3, s0
	s_cbranch_execz .LBB186_4
; %bb.3:
	s_load_dwordx2 s[14:15], s[4:5], 0x8
	s_waitcnt lgkmcnt(0)
	s_mul_i32 s20, s16, s10
	v_lshlrev_b32_e32 v1, 3, v118
	s_ashr_i32 s21, s20, 31
	v_and_b32_e32 v3, 0xff8, v12
	s_lshl_b64 s[20:21], s[20:21], 2
	v_lshl_add_u32 v3, v0, 8, v3
	s_add_u32 s7, s14, s20
	s_addc_u32 s16, s15, s21
	s_ashr_i32 s25, s24, 31
	s_lshl_b64 s[14:15], s[24:25], 2
	s_add_u32 s14, s7, s14
	s_addc_u32 s15, s16, s15
	global_load_dwordx2 v[1:2], v1, s[14:15]
	s_waitcnt vmcnt(0)
	ds_write_b64 v3, v[1:2]
.LBB186_4:
	s_or_b32 exec_lo, exec_lo, s3
	s_load_dwordx4 s[20:23], s[4:5], 0x68
	s_mul_i32 s3, s13, s11
	s_xor_b32 s2, s1, s2
	s_sub_i32 s1, s12, s3
	s_add_i32 s3, s13, 1
	s_sub_i32 s7, s1, s11
	s_cmp_ge_u32 s1, s11
	s_waitcnt lgkmcnt(0)
	s_cselect_b32 s3, s3, s13
	s_cselect_b32 s1, s7, s1
	s_add_i32 s7, s3, 1
	s_cmp_ge_u32 s1, s11
	s_load_dword s1, s[4:5], 0x78
	s_cselect_b32 s3, s7, s3
	s_add_i32 s7, s33, -1
	s_xor_b32 s3, s3, s2
	s_abs_i32 s11, s7
	s_sub_i32 s2, s3, s2
	s_mov_b32 s13, -1
	s_barrier
	s_abs_i32 s16, s23
	s_waitcnt lgkmcnt(0)
	buffer_gl0_inv
	v_cvt_f32_u32_e32 v1, s16
	s_sub_i32 s3, 0, s16
                                        ; implicit-def: $sgpr25
	v_rcp_iflag_f32_e32 v1, v1
	v_mul_f32_e32 v1, 0x4f7ffffe, v1
	v_cvt_u32_f32_e32 v1, v1
	v_readfirstlane_b32 s19, v1
	s_mul_i32 s3, s3, s19
	s_mul_hi_u32 s3, s19, s3
	s_add_i32 s19, s19, s3
	s_cmp_lt_i32 s1, 0
	s_mul_hi_u32 s3, s11, s19
	s_cbranch_scc0 .LBB186_6
; %bb.5:
	s_mul_i32 s12, s20, s34
	s_mov_b32 s13, 0
	s_add_i32 s12, s2, s12
	s_mul_i32 s12, s12, s1
	s_sub_i32 s25, 1, s12
.LBB186_6:
	s_load_dwordx2 s[26:27], s[4:5], 0x28
	s_ashr_i32 s12, s7, 31
	s_andn2_b32 vcc_lo, exec_lo, s13
	s_ashr_i32 s23, s23, 31
	s_cbranch_vccnz .LBB186_8
; %bb.7:
	s_mul_i32 s7, s9, s20
	s_add_i32 s6, s7, s6
	s_mul_i32 s1, s6, s1
	s_add_i32 s25, s1, 1
.LBB186_8:
	s_clause 0x2
	s_load_dword s1, s[4:5], 0x38
	s_load_dwordx2 s[6:7], s[4:5], 0x0
	s_load_dwordx2 s[30:31], s[4:5], 0x18
	s_xor_b32 s34, s12, s23
	s_mul_i32 s12, s3, s16
	s_add_i32 s20, s3, 1
	s_sub_i32 s37, s11, s12
	s_clause 0x1
	s_load_dword s11, s[4:5], 0x88
	s_load_dwordx4 s[12:15], s[4:5], 0x58
	v_lshrrev_b32_e32 v119, 5, v118
	v_mov_b32_e32 v3, 0xff7fffff
	v_lshrrev_b32_e32 v13, 3, v118
	s_mul_i32 s18, s2, s18
	v_lshlrev_b32_e32 v44, 4, v119
	s_waitcnt lgkmcnt(0)
	s_mul_i32 s28, s1, s10
	s_sub_i32 s1, s37, s16
	s_ashr_i32 s29, s28, 31
	s_cmp_ge_u32 s37, s16
	s_cselect_b32 s3, s20, s3
	s_cselect_b32 s1, s1, s37
	s_add_i32 s20, s3, 1
	s_cmp_ge_u32 s1, s16
	s_cselect_b32 s1, s20, s3
	s_add_i32 s3, s33, 15
	s_ashr_i32 s20, s3, 31
	s_lshr_b32 s20, s20, 28
	s_add_i32 s3, s3, s20
	s_ashr_i32 s20, s3, 4
	s_xor_b32 s3, s1, s34
	v_cmp_gt_i32_e64 s1, s20, v119
	s_sub_i32 s34, s3, s34
	s_and_saveexec_b32 s37, s1
	s_cbranch_execz .LBB186_532
; %bb.9:
	s_load_dwordx2 s[2:3], s[4:5], 0x10
	s_sub_i32 s5, s34, s21
	s_ashr_i32 s4, s18, 31
	v_bfe_u32 v6, v118, 1, 4
	v_mov_b32_e32 v47, v119
	v_and_b32_e32 v3, 0x7c, v13
	v_lshlrev_b32_e32 v2, 1, v0
	v_cmp_eq_u32_e32 vcc_lo, 0, v0
	v_lshlrev_b32_e32 v4, 2, v6
	v_subrev_nc_u32_e32 v5, s33, v6
	buffer_store_dword v6, off, s[48:51], 0 offset:280 ; 4-byte Folded Spill
	v_lshlrev_b32_e32 v6, 4, v6
	v_mov_b32_e32 v50, 0
	v_lshl_or_b32 v4, v47, 6, v4
	v_add_nc_u32_e32 v5, 1, v5
	v_lshlrev_b32_e32 v43, 8, v0
	v_lshlrev_b32_e32 v0, 4, v119
	v_mov_b32_e32 v127, 0x80
	v_add_nc_u32_e32 v45, 0x220, v4
	buffer_store_dword v5, off, s[48:51], 0 offset:284 ; 4-byte Folded Spill
	s_waitcnt lgkmcnt(0)
	s_add_u32 s39, s2, s18
	s_addc_u32 s3, s3, s4
	s_abs_i32 s38, s22
	s_lshl_b64 s[40:41], s[28:29], 2
	v_cvt_f32_u32_e32 v1, s38
	s_sub_i32 s4, 0, s38
	v_cmp_neq_f32_e64 s2, s36, 0
	v_bfrev_b32_e32 v38, 1
	v_mov_b32_e32 v74, 0x7f800001
	v_rcp_iflag_f32_e32 v1, v1
	v_mov_b32_e32 v7, 0xff7fffff
	buffer_store_dword v12, off, s[48:51], 0 offset:296 ; 4-byte Folded Spill
	buffer_store_dword v118, off, s[48:51], 0 offset:288 ; 4-byte Folded Spill
	;; [unrolled: 1-line block ×4, first 2 shown]
	v_mul_f32_e32 v1, 0x4f7ffffe, v1
	v_cvt_u32_f32_e32 v1, v1
	v_mul_lo_u32 v4, s4, v1
	v_add_co_u32 v5, s4, s39, v6
	v_add_co_ci_u32_e64 v6, null, s3, 0, s4
	s_add_u32 s3, s26, s40
	s_addc_u32 s4, s27, s41
	v_add_co_u32 v55, s3, s3, v3
	v_mul_hi_u32 v4, v1, v4
	v_add_co_ci_u32_e64 v56, null, s4, 0, s3
	v_add_co_u32 v2, s3, v5, v2
	v_add_co_ci_u32_e64 v3, null, 0, v6, s3
	s_mov_b32 s39, 0
	v_add_nc_u32_e32 v1, v1, v4
	s_mov_b32 s40, s17
	buffer_store_dword v2, off, s[48:51], 0 offset:272 ; 4-byte Folded Spill
	buffer_store_dword v3, off, s[48:51], 0 offset:276 ; 4-byte Folded Spill
	;; [unrolled: 1-line block ×4, first 2 shown]
	s_branch .LBB186_12
.LBB186_10:                             ;   in Loop: Header=BB186_12 Depth=1
	s_or_b32 exec_lo, exec_lo, s41
.LBB186_11:                             ;   in Loop: Header=BB186_12 Depth=1
	s_or_b32 exec_lo, exec_lo, s4
	v_add_nc_u32_e32 v47, 4, v47
	v_add_co_u32 v55, s4, v55, 16
	v_add_co_ci_u32_e64 v56, null, 0, v56, s4
	v_cmp_le_i32_e64 s3, s20, v47
	v_add_nc_u32_e32 v0, 64, v0
	v_add_nc_u32_e32 v45, 0x100, v45
	s_or_b32 s39, s3, s39
	s_andn2_b32 exec_lo, exec_lo, s39
	s_cbranch_execz .LBB186_531
.LBB186_12:                             ; =>This Inner Loop Header: Depth=1
	v_mul_hi_u32 v1, v0, s19
	s_waitcnt lgkmcnt(0)
	v_mul_lo_u32 v2, v1, s16
	v_add_nc_u32_e32 v3, 1, v1
	v_sub_nc_u32_e32 v2, v0, v2
	v_subrev_nc_u32_e32 v4, s16, v2
	v_cmp_le_u32_e64 s3, s16, v2
	v_cndmask_b32_e64 v2, v2, v4, s3
	buffer_load_dword v4, off, s[48:51], 0 offset:64 ; 4-byte Folded Reload
	v_cndmask_b32_e64 v1, v1, v3, s3
	v_cmp_le_u32_e64 s3, s16, v2
	v_add_nc_u32_e32 v3, 1, v1
	v_cndmask_b32_e64 v1, v1, v3, s3
	v_xor_b32_e32 v1, s23, v1
	v_subrev_nc_u32_e32 v1, s23, v1
	v_add_nc_u32_e32 v2, s25, v1
	v_cmp_ge_i32_e64 s4, s5, v1
	v_sub_nc_u32_e32 v3, 0, v2
	v_max_i32_e32 v3, v2, v3
	v_ashrrev_i32_e32 v2, 31, v2
	s_waitcnt vmcnt(0)
	v_mul_hi_u32 v4, v3, v4
	v_mul_lo_u32 v4, v4, s38
	v_sub_nc_u32_e32 v3, v3, v4
	v_subrev_nc_u32_e32 v4, s38, v3
	v_cmp_le_u32_e64 s3, s38, v3
	v_cndmask_b32_e64 v3, v3, v4, s3
	v_subrev_nc_u32_e32 v4, s38, v3
	v_cmp_le_u32_e64 s3, s38, v3
	v_cndmask_b32_e64 v3, v3, v4, s3
	v_xor_b32_e32 v3, v3, v2
	v_sub_nc_u32_e32 v2, v3, v2
	v_cmp_ne_u32_e64 s3, 0, v2
	s_and_b32 s3, s3, s4
	s_and_saveexec_b32 s4, s3
	s_xor_b32 s3, exec_lo, s4
	s_cbranch_execz .LBB186_16
; %bb.13:                               ;   in Loop: Header=BB186_12 Depth=1
	s_and_saveexec_b32 s4, vcc_lo
; %bb.14:                               ;   in Loop: Header=BB186_12 Depth=1
	v_mov_b32_e32 v1, 0xff7fffff
	ds_write_b32 v45, v1
; %bb.15:                               ;   in Loop: Header=BB186_12 Depth=1
	s_or_b32 exec_lo, exec_lo, s4
.LBB186_16:                             ;   in Loop: Header=BB186_12 Depth=1
	s_andn2_saveexec_b32 s4, s3
	s_cbranch_execz .LBB186_11
; %bb.17:                               ;   in Loop: Header=BB186_12 Depth=1
	global_load_dword v1, v[55:56], off
	s_clause 0x1
	buffer_load_dword v2, off, s[48:51], 0 offset:272
	buffer_load_dword v3, off, s[48:51], 0 offset:276
	s_waitcnt vmcnt(0)
	v_mad_i64_i32 v[69:70], null, v1, s40, v[2:3]
	ds_read_b128 v[3:6], v43
	global_load_ushort v2, v[69:70], off
	s_waitcnt lgkmcnt(0)
	buffer_store_dword v3, off, s[48:51], 0 offset:252 ; 4-byte Folded Spill
	buffer_store_dword v4, off, s[48:51], 0 offset:256 ; 4-byte Folded Spill
	buffer_store_dword v5, off, s[48:51], 0 offset:260 ; 4-byte Folded Spill
	buffer_store_dword v6, off, s[48:51], 0 offset:264 ; 4-byte Folded Spill
	ds_read_b128 v[3:6], v43 offset:16
	s_waitcnt lgkmcnt(0)
	buffer_store_dword v3, off, s[48:51], 0 offset:236 ; 4-byte Folded Spill
	buffer_store_dword v4, off, s[48:51], 0 offset:240 ; 4-byte Folded Spill
	buffer_store_dword v5, off, s[48:51], 0 offset:244 ; 4-byte Folded Spill
	buffer_store_dword v6, off, s[48:51], 0 offset:248 ; 4-byte Folded Spill
	ds_read_b128 v[3:6], v43 offset:32
	s_waitcnt lgkmcnt(0)
	buffer_store_dword v3, off, s[48:51], 0 offset:220 ; 4-byte Folded Spill
	buffer_store_dword v4, off, s[48:51], 0 offset:224 ; 4-byte Folded Spill
	buffer_store_dword v5, off, s[48:51], 0 offset:228 ; 4-byte Folded Spill
	buffer_store_dword v6, off, s[48:51], 0 offset:232 ; 4-byte Folded Spill
	ds_read_b128 v[3:6], v43 offset:48
	s_waitcnt lgkmcnt(0)
	buffer_store_dword v3, off, s[48:51], 0 offset:204 ; 4-byte Folded Spill
	buffer_store_dword v4, off, s[48:51], 0 offset:208 ; 4-byte Folded Spill
	buffer_store_dword v5, off, s[48:51], 0 offset:212 ; 4-byte Folded Spill
	buffer_store_dword v6, off, s[48:51], 0 offset:216 ; 4-byte Folded Spill
	ds_read_b128 v[3:6], v43 offset:64
	s_waitcnt lgkmcnt(0)
	buffer_store_dword v3, off, s[48:51], 0 offset:188 ; 4-byte Folded Spill
	buffer_store_dword v4, off, s[48:51], 0 offset:192 ; 4-byte Folded Spill
	buffer_store_dword v5, off, s[48:51], 0 offset:196 ; 4-byte Folded Spill
	buffer_store_dword v6, off, s[48:51], 0 offset:200 ; 4-byte Folded Spill
	ds_read_b128 v[3:6], v43 offset:80
	s_waitcnt lgkmcnt(0)
	buffer_store_dword v3, off, s[48:51], 0 offset:172 ; 4-byte Folded Spill
	buffer_store_dword v4, off, s[48:51], 0 offset:176 ; 4-byte Folded Spill
	buffer_store_dword v5, off, s[48:51], 0 offset:180 ; 4-byte Folded Spill
	buffer_store_dword v6, off, s[48:51], 0 offset:184 ; 4-byte Folded Spill
	ds_read_b128 v[3:6], v43 offset:96
	s_waitcnt lgkmcnt(0)
	buffer_store_dword v3, off, s[48:51], 0 offset:156 ; 4-byte Folded Spill
	buffer_store_dword v4, off, s[48:51], 0 offset:160 ; 4-byte Folded Spill
	buffer_store_dword v5, off, s[48:51], 0 offset:164 ; 4-byte Folded Spill
	buffer_store_dword v6, off, s[48:51], 0 offset:168 ; 4-byte Folded Spill
	ds_read_b128 v[3:6], v43 offset:112
	s_waitcnt lgkmcnt(0)
	buffer_store_dword v3, off, s[48:51], 0 offset:140 ; 4-byte Folded Spill
	buffer_store_dword v4, off, s[48:51], 0 offset:144 ; 4-byte Folded Spill
	buffer_store_dword v5, off, s[48:51], 0 offset:148 ; 4-byte Folded Spill
	buffer_store_dword v6, off, s[48:51], 0 offset:152 ; 4-byte Folded Spill
	ds_read_b128 v[3:6], v43 offset:128
	s_waitcnt lgkmcnt(0)
	buffer_store_dword v3, off, s[48:51], 0 offset:124 ; 4-byte Folded Spill
	buffer_store_dword v4, off, s[48:51], 0 offset:128 ; 4-byte Folded Spill
	buffer_store_dword v5, off, s[48:51], 0 offset:132 ; 4-byte Folded Spill
	buffer_store_dword v6, off, s[48:51], 0 offset:136 ; 4-byte Folded Spill
	ds_read_b128 v[3:6], v43 offset:144
	s_waitcnt lgkmcnt(0)
	buffer_store_dword v3, off, s[48:51], 0 offset:108 ; 4-byte Folded Spill
	buffer_store_dword v4, off, s[48:51], 0 offset:112 ; 4-byte Folded Spill
	;; [unrolled: 1-line block ×4, first 2 shown]
	ds_read_b64 v[3:4], v43 offset:192
	s_waitcnt lgkmcnt(0)
	buffer_store_dword v3, off, s[48:51], 0 offset:68 ; 4-byte Folded Spill
	buffer_store_dword v4, off, s[48:51], 0 offset:72 ; 4-byte Folded Spill
	v_mov_b32_e32 v3, 0
	v_mov_b32_e32 v4, 0
	s_load_dword s41, s[12:13], 0x0
	buffer_store_dword v3, off, s[48:51], 0 ; 4-byte Folded Spill
	buffer_store_dword v4, off, s[48:51], 0 offset:4 ; 4-byte Folded Spill
	v_mov_b32_e32 v3, 0
	v_mov_b32_e32 v4, 0
	buffer_store_dword v3, off, s[48:51], 0 offset:56 ; 4-byte Folded Spill
	buffer_store_dword v4, off, s[48:51], 0 offset:60 ; 4-byte Folded Spill
	s_waitcnt vmcnt(0)
	v_and_b32_e32 v1, 0xffff, v2
	v_cmp_ne_u16_sdwa s3, v2, v50 src0_sel:BYTE_0 src1_sel:DWORD
	ds_read_b128 v[2:5], v43 offset:160
	s_waitcnt lgkmcnt(0)
	buffer_store_dword v2, off, s[48:51], 0 offset:92 ; 4-byte Folded Spill
	buffer_store_dword v3, off, s[48:51], 0 offset:96 ; 4-byte Folded Spill
	buffer_store_dword v4, off, s[48:51], 0 offset:100 ; 4-byte Folded Spill
	buffer_store_dword v5, off, s[48:51], 0 offset:104 ; 4-byte Folded Spill
	ds_read_b128 v[2:5], v43 offset:176
	s_waitcnt lgkmcnt(0)
	buffer_store_dword v2, off, s[48:51], 0 offset:76 ; 4-byte Folded Spill
	buffer_store_dword v3, off, s[48:51], 0 offset:80 ; 4-byte Folded Spill
	;; [unrolled: 1-line block ×4, first 2 shown]
	s_and_saveexec_b32 s42, s3
	s_cbranch_execz .LBB186_25
; %bb.18:                               ;   in Loop: Header=BB186_12 Depth=1
	v_bfrev_b32_e32 v4, 1
	v_mov_b32_e32 v5, 0
	v_cmp_ne_u16_sdwa s3, v1, v127 src0_sel:BYTE_0 src1_sel:DWORD
	s_and_saveexec_b32 s43, s3
	s_cbranch_execz .LBB186_24
; %bb.19:                               ;   in Loop: Header=BB186_12 Depth=1
	v_mov_b32_e32 v4, 0x7f800001
	v_and_b32_e32 v3, 0x7f, v1
	v_mov_b32_e32 v5, 0
	s_mov_b32 s44, exec_lo
	v_cmpx_ne_u32_e32 0x7f, v3
	s_cbranch_execz .LBB186_23
; %bb.20:                               ;   in Loop: Header=BB186_12 Depth=1
	v_and_b32_e32 v49, 7, v1
	v_lshrrev_b32_e32 v2, 3, v3
	s_mov_b32 s45, exec_lo
	v_cmpx_gt_u32_e32 8, v3
; %bb.21:                               ;   in Loop: Header=BB186_12 Depth=1
	v_ffbh_u32_e32 v2, v49
	v_min_u32_e32 v2, 32, v2
	v_subrev_nc_u32_e32 v3, 28, v2
	v_sub_nc_u32_e32 v2, 29, v2
	v_lshlrev_b64 v[3:4], v3, v[49:50]
	v_and_b32_e32 v49, 7, v3
; %bb.22:                               ;   in Loop: Header=BB186_12 Depth=1
	s_or_b32 exec_lo, exec_lo, s45
	v_lshlrev_b32_e32 v3, 24, v1
	v_lshlrev_b32_e32 v4, 20, v49
	v_lshl_add_u32 v2, v2, 23, 0x3c000000
	v_and_b32_e32 v3, 0x80000000, v3
	v_or3_b32 v49, v4, v3, v2
	v_mov_b32_e32 v4, v49
	v_mov_b32_e32 v5, v50
.LBB186_23:                             ;   in Loop: Header=BB186_12 Depth=1
	s_or_b32 exec_lo, exec_lo, s44
.LBB186_24:                             ;   in Loop: Header=BB186_12 Depth=1
	s_or_b32 exec_lo, exec_lo, s43
	buffer_store_dword v4, off, s[48:51], 0 offset:56 ; 4-byte Folded Spill
	buffer_store_dword v5, off, s[48:51], 0 offset:60 ; 4-byte Folded Spill
.LBB186_25:                             ;   in Loop: Header=BB186_12 Depth=1
	s_or_b32 exec_lo, exec_lo, s42
	v_cmp_ne_u16_sdwa s3, v1, v50 src0_sel:BYTE_1 src1_sel:DWORD
	s_and_saveexec_b32 s42, s3
	s_cbranch_execz .LBB186_33
; %bb.26:                               ;   in Loop: Header=BB186_12 Depth=1
	v_mov_b32_e32 v37, v50
	v_cmp_ne_u16_sdwa s3, v1, v127 src0_sel:BYTE_1 src1_sel:DWORD
	buffer_store_dword v37, off, s[48:51], 0 ; 4-byte Folded Spill
	buffer_store_dword v38, off, s[48:51], 0 offset:4 ; 4-byte Folded Spill
	s_and_saveexec_b32 s43, s3
	s_cbranch_execz .LBB186_32
; %bb.27:                               ;   in Loop: Header=BB186_12 Depth=1
	v_mov_b32_e32 v2, 0xffff
	v_mov_b32_e32 v73, v50
	s_mov_b32 s44, exec_lo
	buffer_store_dword v73, off, s[48:51], 0 ; 4-byte Folded Spill
	buffer_store_dword v74, off, s[48:51], 0 offset:4 ; 4-byte Folded Spill
	v_and_b32_sdwa v2, v2, v1 dst_sel:DWORD dst_unused:UNUSED_PAD src0_sel:DWORD src1_sel:BYTE_1
	v_and_b32_e32 v3, 0x7f, v2
	v_cmpx_ne_u32_e32 0x7f, v3
	s_cbranch_execz .LBB186_31
; %bb.28:                               ;   in Loop: Header=BB186_12 Depth=1
	v_and_b32_e32 v49, 7, v2
	v_lshrrev_b32_e32 v2, 3, v3
	s_mov_b32 s45, exec_lo
	v_cmpx_gt_u32_e32 8, v3
; %bb.29:                               ;   in Loop: Header=BB186_12 Depth=1
	v_ffbh_u32_e32 v2, v49
	v_min_u32_e32 v2, 32, v2
	v_subrev_nc_u32_e32 v3, 28, v2
	v_sub_nc_u32_e32 v2, 29, v2
	v_lshlrev_b64 v[3:4], v3, v[49:50]
	v_and_b32_e32 v49, 7, v3
; %bb.30:                               ;   in Loop: Header=BB186_12 Depth=1
	s_or_b32 exec_lo, exec_lo, s45
	v_lshlrev_b32_e32 v1, 16, v1
	v_lshlrev_b32_e32 v3, 20, v49
	v_lshl_add_u32 v2, v2, 23, 0x3c000000
	v_and_b32_e32 v1, 0x80000000, v1
	v_or3_b32 v2, v3, v1, v2
	v_mov_b32_e32 v1, v50
	buffer_store_dword v1, off, s[48:51], 0 ; 4-byte Folded Spill
	buffer_store_dword v2, off, s[48:51], 0 offset:4 ; 4-byte Folded Spill
.LBB186_31:                             ;   in Loop: Header=BB186_12 Depth=1
	s_or_b32 exec_lo, exec_lo, s44
.LBB186_32:                             ;   in Loop: Header=BB186_12 Depth=1
	s_or_b32 exec_lo, exec_lo, s43
.LBB186_33:                             ;   in Loop: Header=BB186_12 Depth=1
	s_or_b32 exec_lo, exec_lo, s42
	global_load_ushort v2, v[69:70], off offset:4
	v_mov_b32_e32 v3, 0
	v_mov_b32_e32 v4, 0
	buffer_store_dword v3, off, s[48:51], 0 offset:16 ; 4-byte Folded Spill
	buffer_store_dword v4, off, s[48:51], 0 offset:20 ; 4-byte Folded Spill
	v_mov_b32_e32 v3, 0
	v_mov_b32_e32 v4, 0
	buffer_store_dword v3, off, s[48:51], 0 offset:8 ; 4-byte Folded Spill
	buffer_store_dword v4, off, s[48:51], 0 offset:12 ; 4-byte Folded Spill
	s_waitcnt vmcnt(0)
	v_and_b32_e32 v1, 0xffff, v2
	v_cmp_ne_u16_sdwa s3, v2, v50 src0_sel:BYTE_0 src1_sel:DWORD
	s_and_saveexec_b32 s42, s3
	s_cbranch_execz .LBB186_41
; %bb.34:                               ;   in Loop: Header=BB186_12 Depth=1
	v_bfrev_b32_e32 v2, 1
	v_mov_b32_e32 v3, 0
	v_cmp_ne_u16_sdwa s3, v1, v127 src0_sel:BYTE_0 src1_sel:DWORD
	buffer_store_dword v2, off, s[48:51], 0 offset:8 ; 4-byte Folded Spill
	buffer_store_dword v3, off, s[48:51], 0 offset:12 ; 4-byte Folded Spill
	s_and_saveexec_b32 s43, s3
	s_cbranch_execz .LBB186_40
; %bb.35:                               ;   in Loop: Header=BB186_12 Depth=1
	v_mov_b32_e32 v4, 0x7f800001
	v_and_b32_e32 v3, 0x7f, v1
	v_mov_b32_e32 v5, 0
	s_mov_b32 s44, exec_lo
	buffer_store_dword v4, off, s[48:51], 0 offset:8 ; 4-byte Folded Spill
	buffer_store_dword v5, off, s[48:51], 0 offset:12 ; 4-byte Folded Spill
	v_cmpx_ne_u32_e32 0x7f, v3
	s_cbranch_execz .LBB186_39
; %bb.36:                               ;   in Loop: Header=BB186_12 Depth=1
	v_and_b32_e32 v49, 7, v1
	v_lshrrev_b32_e32 v2, 3, v3
	s_mov_b32 s45, exec_lo
	v_cmpx_gt_u32_e32 8, v3
; %bb.37:                               ;   in Loop: Header=BB186_12 Depth=1
	v_ffbh_u32_e32 v2, v49
	v_min_u32_e32 v2, 32, v2
	v_subrev_nc_u32_e32 v3, 28, v2
	v_sub_nc_u32_e32 v2, 29, v2
	v_lshlrev_b64 v[3:4], v3, v[49:50]
	v_and_b32_e32 v49, 7, v3
; %bb.38:                               ;   in Loop: Header=BB186_12 Depth=1
	s_or_b32 exec_lo, exec_lo, s45
	v_lshlrev_b32_e32 v3, 24, v1
	v_lshlrev_b32_e32 v4, 20, v49
	v_lshl_add_u32 v2, v2, 23, 0x3c000000
	v_and_b32_e32 v3, 0x80000000, v3
	v_or3_b32 v49, v4, v3, v2
	buffer_store_dword v49, off, s[48:51], 0 offset:8 ; 4-byte Folded Spill
	buffer_store_dword v50, off, s[48:51], 0 offset:12 ; 4-byte Folded Spill
.LBB186_39:                             ;   in Loop: Header=BB186_12 Depth=1
	s_or_b32 exec_lo, exec_lo, s44
.LBB186_40:                             ;   in Loop: Header=BB186_12 Depth=1
	s_or_b32 exec_lo, exec_lo, s43
.LBB186_41:                             ;   in Loop: Header=BB186_12 Depth=1
	s_or_b32 exec_lo, exec_lo, s42
	v_cmp_ne_u16_sdwa s3, v1, v50 src0_sel:BYTE_1 src1_sel:DWORD
	s_and_saveexec_b32 s42, s3
	s_cbranch_execz .LBB186_49
; %bb.42:                               ;   in Loop: Header=BB186_12 Depth=1
	v_mov_b32_e32 v37, v50
	v_cmp_ne_u16_sdwa s3, v1, v127 src0_sel:BYTE_1 src1_sel:DWORD
	buffer_store_dword v37, off, s[48:51], 0 offset:16 ; 4-byte Folded Spill
	buffer_store_dword v38, off, s[48:51], 0 offset:20 ; 4-byte Folded Spill
	s_and_saveexec_b32 s43, s3
	s_cbranch_execz .LBB186_48
; %bb.43:                               ;   in Loop: Header=BB186_12 Depth=1
	v_mov_b32_e32 v2, 0xffff
	v_mov_b32_e32 v73, v50
	s_mov_b32 s44, exec_lo
	buffer_store_dword v73, off, s[48:51], 0 offset:16 ; 4-byte Folded Spill
	buffer_store_dword v74, off, s[48:51], 0 offset:20 ; 4-byte Folded Spill
	v_and_b32_sdwa v2, v2, v1 dst_sel:DWORD dst_unused:UNUSED_PAD src0_sel:DWORD src1_sel:BYTE_1
	v_and_b32_e32 v3, 0x7f, v2
	v_cmpx_ne_u32_e32 0x7f, v3
	s_cbranch_execz .LBB186_47
; %bb.44:                               ;   in Loop: Header=BB186_12 Depth=1
	v_and_b32_e32 v49, 7, v2
	v_lshrrev_b32_e32 v2, 3, v3
	s_mov_b32 s45, exec_lo
	v_cmpx_gt_u32_e32 8, v3
; %bb.45:                               ;   in Loop: Header=BB186_12 Depth=1
	v_ffbh_u32_e32 v2, v49
	v_min_u32_e32 v2, 32, v2
	v_subrev_nc_u32_e32 v3, 28, v2
	v_sub_nc_u32_e32 v2, 29, v2
	v_lshlrev_b64 v[3:4], v3, v[49:50]
	v_and_b32_e32 v49, 7, v3
; %bb.46:                               ;   in Loop: Header=BB186_12 Depth=1
	s_or_b32 exec_lo, exec_lo, s45
	v_lshlrev_b32_e32 v1, 16, v1
	v_lshlrev_b32_e32 v3, 20, v49
	v_lshl_add_u32 v2, v2, 23, 0x3c000000
	v_and_b32_e32 v1, 0x80000000, v1
	v_or3_b32 v2, v3, v1, v2
	v_mov_b32_e32 v1, v50
	buffer_store_dword v1, off, s[48:51], 0 offset:16 ; 4-byte Folded Spill
	buffer_store_dword v2, off, s[48:51], 0 offset:20 ; 4-byte Folded Spill
.LBB186_47:                             ;   in Loop: Header=BB186_12 Depth=1
	s_or_b32 exec_lo, exec_lo, s44
.LBB186_48:                             ;   in Loop: Header=BB186_12 Depth=1
	s_or_b32 exec_lo, exec_lo, s43
.LBB186_49:                             ;   in Loop: Header=BB186_12 Depth=1
	s_or_b32 exec_lo, exec_lo, s42
	global_load_ushort v2, v[69:70], off offset:8
	v_mov_b32_e32 v3, 0
	v_mov_b32_e32 v4, 0
	buffer_store_dword v3, off, s[48:51], 0 offset:32 ; 4-byte Folded Spill
	buffer_store_dword v4, off, s[48:51], 0 offset:36 ; 4-byte Folded Spill
	v_mov_b32_e32 v3, 0
	v_mov_b32_e32 v4, 0
	buffer_store_dword v3, off, s[48:51], 0 offset:24 ; 4-byte Folded Spill
	buffer_store_dword v4, off, s[48:51], 0 offset:28 ; 4-byte Folded Spill
	s_waitcnt vmcnt(0)
	v_and_b32_e32 v1, 0xffff, v2
	v_cmp_ne_u16_sdwa s3, v2, v50 src0_sel:BYTE_0 src1_sel:DWORD
	s_and_saveexec_b32 s42, s3
	s_cbranch_execz .LBB186_57
; %bb.50:                               ;   in Loop: Header=BB186_12 Depth=1
	v_bfrev_b32_e32 v2, 1
	v_mov_b32_e32 v3, 0
	v_cmp_ne_u16_sdwa s3, v1, v127 src0_sel:BYTE_0 src1_sel:DWORD
	buffer_store_dword v2, off, s[48:51], 0 offset:24 ; 4-byte Folded Spill
	buffer_store_dword v3, off, s[48:51], 0 offset:28 ; 4-byte Folded Spill
	s_and_saveexec_b32 s43, s3
	s_cbranch_execz .LBB186_56
; %bb.51:                               ;   in Loop: Header=BB186_12 Depth=1
	v_mov_b32_e32 v4, 0x7f800001
	v_and_b32_e32 v3, 0x7f, v1
	v_mov_b32_e32 v5, 0
	s_mov_b32 s44, exec_lo
	buffer_store_dword v4, off, s[48:51], 0 offset:24 ; 4-byte Folded Spill
	buffer_store_dword v5, off, s[48:51], 0 offset:28 ; 4-byte Folded Spill
	v_cmpx_ne_u32_e32 0x7f, v3
	s_cbranch_execz .LBB186_55
; %bb.52:                               ;   in Loop: Header=BB186_12 Depth=1
	v_and_b32_e32 v49, 7, v1
	v_lshrrev_b32_e32 v2, 3, v3
	s_mov_b32 s45, exec_lo
	v_cmpx_gt_u32_e32 8, v3
; %bb.53:                               ;   in Loop: Header=BB186_12 Depth=1
	v_ffbh_u32_e32 v2, v49
	v_min_u32_e32 v2, 32, v2
	v_subrev_nc_u32_e32 v3, 28, v2
	v_sub_nc_u32_e32 v2, 29, v2
	v_lshlrev_b64 v[3:4], v3, v[49:50]
	v_and_b32_e32 v49, 7, v3
; %bb.54:                               ;   in Loop: Header=BB186_12 Depth=1
	s_or_b32 exec_lo, exec_lo, s45
	v_lshlrev_b32_e32 v3, 24, v1
	v_lshlrev_b32_e32 v4, 20, v49
	v_lshl_add_u32 v2, v2, 23, 0x3c000000
	v_and_b32_e32 v3, 0x80000000, v3
	v_or3_b32 v49, v4, v3, v2
	buffer_store_dword v49, off, s[48:51], 0 offset:24 ; 4-byte Folded Spill
	buffer_store_dword v50, off, s[48:51], 0 offset:28 ; 4-byte Folded Spill
.LBB186_55:                             ;   in Loop: Header=BB186_12 Depth=1
	s_or_b32 exec_lo, exec_lo, s44
.LBB186_56:                             ;   in Loop: Header=BB186_12 Depth=1
	s_or_b32 exec_lo, exec_lo, s43
.LBB186_57:                             ;   in Loop: Header=BB186_12 Depth=1
	s_or_b32 exec_lo, exec_lo, s42
	v_cmp_ne_u16_sdwa s3, v1, v50 src0_sel:BYTE_1 src1_sel:DWORD
	s_and_saveexec_b32 s42, s3
	s_cbranch_execz .LBB186_65
; %bb.58:                               ;   in Loop: Header=BB186_12 Depth=1
	v_mov_b32_e32 v37, v50
	v_cmp_ne_u16_sdwa s3, v1, v127 src0_sel:BYTE_1 src1_sel:DWORD
	buffer_store_dword v37, off, s[48:51], 0 offset:32 ; 4-byte Folded Spill
	buffer_store_dword v38, off, s[48:51], 0 offset:36 ; 4-byte Folded Spill
	s_and_saveexec_b32 s43, s3
	s_cbranch_execz .LBB186_64
; %bb.59:                               ;   in Loop: Header=BB186_12 Depth=1
	v_mov_b32_e32 v2, 0xffff
	v_mov_b32_e32 v73, v50
	s_mov_b32 s44, exec_lo
	buffer_store_dword v73, off, s[48:51], 0 offset:32 ; 4-byte Folded Spill
	buffer_store_dword v74, off, s[48:51], 0 offset:36 ; 4-byte Folded Spill
	v_and_b32_sdwa v2, v2, v1 dst_sel:DWORD dst_unused:UNUSED_PAD src0_sel:DWORD src1_sel:BYTE_1
	v_and_b32_e32 v3, 0x7f, v2
	v_cmpx_ne_u32_e32 0x7f, v3
	s_cbranch_execz .LBB186_63
; %bb.60:                               ;   in Loop: Header=BB186_12 Depth=1
	v_and_b32_e32 v49, 7, v2
	v_lshrrev_b32_e32 v2, 3, v3
	s_mov_b32 s45, exec_lo
	v_cmpx_gt_u32_e32 8, v3
; %bb.61:                               ;   in Loop: Header=BB186_12 Depth=1
	v_ffbh_u32_e32 v2, v49
	v_min_u32_e32 v2, 32, v2
	v_subrev_nc_u32_e32 v3, 28, v2
	v_sub_nc_u32_e32 v2, 29, v2
	v_lshlrev_b64 v[3:4], v3, v[49:50]
	v_and_b32_e32 v49, 7, v3
; %bb.62:                               ;   in Loop: Header=BB186_12 Depth=1
	s_or_b32 exec_lo, exec_lo, s45
	v_lshlrev_b32_e32 v1, 16, v1
	v_lshlrev_b32_e32 v3, 20, v49
	v_lshl_add_u32 v2, v2, 23, 0x3c000000
	v_and_b32_e32 v1, 0x80000000, v1
	v_or3_b32 v2, v3, v1, v2
	v_mov_b32_e32 v1, v50
	buffer_store_dword v1, off, s[48:51], 0 offset:32 ; 4-byte Folded Spill
	buffer_store_dword v2, off, s[48:51], 0 offset:36 ; 4-byte Folded Spill
.LBB186_63:                             ;   in Loop: Header=BB186_12 Depth=1
	s_or_b32 exec_lo, exec_lo, s44
.LBB186_64:                             ;   in Loop: Header=BB186_12 Depth=1
	s_or_b32 exec_lo, exec_lo, s43
.LBB186_65:                             ;   in Loop: Header=BB186_12 Depth=1
	s_or_b32 exec_lo, exec_lo, s42
	global_load_ushort v2, v[69:70], off offset:12
	v_mov_b32_e32 v41, 0
	v_mov_b32_e32 v3, 0
	;; [unrolled: 1-line block ×4, first 2 shown]
	buffer_store_dword v3, off, s[48:51], 0 offset:40 ; 4-byte Folded Spill
	buffer_store_dword v4, off, s[48:51], 0 offset:44 ; 4-byte Folded Spill
	s_waitcnt vmcnt(0)
	v_and_b32_e32 v1, 0xffff, v2
	v_cmp_ne_u16_sdwa s3, v2, v50 src0_sel:BYTE_0 src1_sel:DWORD
	s_and_saveexec_b32 s42, s3
	s_cbranch_execz .LBB186_73
; %bb.66:                               ;   in Loop: Header=BB186_12 Depth=1
	v_bfrev_b32_e32 v2, 1
	v_mov_b32_e32 v3, 0
	v_cmp_ne_u16_sdwa s3, v1, v127 src0_sel:BYTE_0 src1_sel:DWORD
	buffer_store_dword v2, off, s[48:51], 0 offset:40 ; 4-byte Folded Spill
	buffer_store_dword v3, off, s[48:51], 0 offset:44 ; 4-byte Folded Spill
	s_and_saveexec_b32 s43, s3
	s_cbranch_execz .LBB186_72
; %bb.67:                               ;   in Loop: Header=BB186_12 Depth=1
	v_mov_b32_e32 v4, 0x7f800001
	v_and_b32_e32 v3, 0x7f, v1
	v_mov_b32_e32 v5, 0
	s_mov_b32 s44, exec_lo
	buffer_store_dword v4, off, s[48:51], 0 offset:40 ; 4-byte Folded Spill
	buffer_store_dword v5, off, s[48:51], 0 offset:44 ; 4-byte Folded Spill
	v_cmpx_ne_u32_e32 0x7f, v3
	s_cbranch_execz .LBB186_71
; %bb.68:                               ;   in Loop: Header=BB186_12 Depth=1
	v_and_b32_e32 v49, 7, v1
	v_lshrrev_b32_e32 v2, 3, v3
	s_mov_b32 s45, exec_lo
	v_cmpx_gt_u32_e32 8, v3
; %bb.69:                               ;   in Loop: Header=BB186_12 Depth=1
	v_ffbh_u32_e32 v2, v49
	v_min_u32_e32 v2, 32, v2
	v_subrev_nc_u32_e32 v3, 28, v2
	v_sub_nc_u32_e32 v2, 29, v2
	v_lshlrev_b64 v[3:4], v3, v[49:50]
	v_and_b32_e32 v49, 7, v3
; %bb.70:                               ;   in Loop: Header=BB186_12 Depth=1
	s_or_b32 exec_lo, exec_lo, s45
	v_lshlrev_b32_e32 v3, 24, v1
	v_lshlrev_b32_e32 v4, 20, v49
	v_lshl_add_u32 v2, v2, 23, 0x3c000000
	v_and_b32_e32 v3, 0x80000000, v3
	v_or3_b32 v49, v4, v3, v2
	buffer_store_dword v49, off, s[48:51], 0 offset:40 ; 4-byte Folded Spill
	buffer_store_dword v50, off, s[48:51], 0 offset:44 ; 4-byte Folded Spill
.LBB186_71:                             ;   in Loop: Header=BB186_12 Depth=1
	s_or_b32 exec_lo, exec_lo, s44
.LBB186_72:                             ;   in Loop: Header=BB186_12 Depth=1
	s_or_b32 exec_lo, exec_lo, s43
.LBB186_73:                             ;   in Loop: Header=BB186_12 Depth=1
	s_or_b32 exec_lo, exec_lo, s42
	v_cmp_ne_u16_sdwa s3, v1, v50 src0_sel:BYTE_1 src1_sel:DWORD
	s_and_saveexec_b32 s42, s3
	s_cbranch_execz .LBB186_81
; %bb.74:                               ;   in Loop: Header=BB186_12 Depth=1
	v_mov_b32_e32 v37, v50
	v_mov_b32_e32 v42, v38
	v_cmp_ne_u16_sdwa s3, v1, v127 src0_sel:BYTE_1 src1_sel:DWORD
	v_mov_b32_e32 v41, v37
	s_and_saveexec_b32 s43, s3
	s_cbranch_execz .LBB186_80
; %bb.75:                               ;   in Loop: Header=BB186_12 Depth=1
	v_mov_b32_e32 v2, 0xffff
	v_mov_b32_e32 v73, v50
	s_mov_b32 s44, exec_lo
	v_and_b32_sdwa v2, v2, v1 dst_sel:DWORD dst_unused:UNUSED_PAD src0_sel:DWORD src1_sel:BYTE_1
	v_mov_b32_e32 v41, v73
	v_mov_b32_e32 v42, v74
	v_and_b32_e32 v3, 0x7f, v2
	v_cmpx_ne_u32_e32 0x7f, v3
	s_cbranch_execz .LBB186_79
; %bb.76:                               ;   in Loop: Header=BB186_12 Depth=1
	v_and_b32_e32 v49, 7, v2
	v_lshrrev_b32_e32 v2, 3, v3
	s_mov_b32 s45, exec_lo
	v_cmpx_gt_u32_e32 8, v3
; %bb.77:                               ;   in Loop: Header=BB186_12 Depth=1
	v_ffbh_u32_e32 v2, v49
	v_min_u32_e32 v2, 32, v2
	v_subrev_nc_u32_e32 v3, 28, v2
	v_sub_nc_u32_e32 v2, 29, v2
	v_lshlrev_b64 v[3:4], v3, v[49:50]
	v_and_b32_e32 v49, 7, v3
; %bb.78:                               ;   in Loop: Header=BB186_12 Depth=1
	s_or_b32 exec_lo, exec_lo, s45
	v_lshlrev_b32_e32 v1, 16, v1
	v_lshlrev_b32_e32 v3, 20, v49
	v_lshl_add_u32 v2, v2, 23, 0x3c000000
	v_mov_b32_e32 v41, v50
	v_and_b32_e32 v1, 0x80000000, v1
	v_or3_b32 v42, v3, v1, v2
.LBB186_79:                             ;   in Loop: Header=BB186_12 Depth=1
	s_or_b32 exec_lo, exec_lo, s44
.LBB186_80:                             ;   in Loop: Header=BB186_12 Depth=1
	s_or_b32 exec_lo, exec_lo, s43
.LBB186_81:                             ;   in Loop: Header=BB186_12 Depth=1
	s_or_b32 exec_lo, exec_lo, s42
	global_load_ushort v2, v[69:70], off offset:256
	v_mov_b32_e32 v81, 0
	v_mov_b32_e32 v3, 0
	;; [unrolled: 1-line block ×4, first 2 shown]
	buffer_store_dword v3, off, s[48:51], 0 offset:48 ; 4-byte Folded Spill
	buffer_store_dword v4, off, s[48:51], 0 offset:52 ; 4-byte Folded Spill
	s_waitcnt vmcnt(0)
	v_and_b32_e32 v1, 0xffff, v2
	v_cmp_ne_u16_sdwa s3, v2, v50 src0_sel:BYTE_0 src1_sel:DWORD
	s_and_saveexec_b32 s42, s3
	s_cbranch_execz .LBB186_89
; %bb.82:                               ;   in Loop: Header=BB186_12 Depth=1
	v_bfrev_b32_e32 v2, 1
	v_mov_b32_e32 v3, 0
	v_cmp_ne_u16_sdwa s3, v1, v127 src0_sel:BYTE_0 src1_sel:DWORD
	buffer_store_dword v2, off, s[48:51], 0 offset:48 ; 4-byte Folded Spill
	buffer_store_dword v3, off, s[48:51], 0 offset:52 ; 4-byte Folded Spill
	s_and_saveexec_b32 s43, s3
	s_cbranch_execz .LBB186_88
; %bb.83:                               ;   in Loop: Header=BB186_12 Depth=1
	v_mov_b32_e32 v4, 0x7f800001
	v_and_b32_e32 v3, 0x7f, v1
	v_mov_b32_e32 v5, 0
	s_mov_b32 s44, exec_lo
	buffer_store_dword v4, off, s[48:51], 0 offset:48 ; 4-byte Folded Spill
	buffer_store_dword v5, off, s[48:51], 0 offset:52 ; 4-byte Folded Spill
	v_cmpx_ne_u32_e32 0x7f, v3
	s_cbranch_execz .LBB186_87
; %bb.84:                               ;   in Loop: Header=BB186_12 Depth=1
	v_and_b32_e32 v49, 7, v1
	v_lshrrev_b32_e32 v2, 3, v3
	s_mov_b32 s45, exec_lo
	v_cmpx_gt_u32_e32 8, v3
; %bb.85:                               ;   in Loop: Header=BB186_12 Depth=1
	v_ffbh_u32_e32 v2, v49
	v_min_u32_e32 v2, 32, v2
	v_subrev_nc_u32_e32 v3, 28, v2
	v_sub_nc_u32_e32 v2, 29, v2
	v_lshlrev_b64 v[3:4], v3, v[49:50]
	v_and_b32_e32 v49, 7, v3
; %bb.86:                               ;   in Loop: Header=BB186_12 Depth=1
	s_or_b32 exec_lo, exec_lo, s45
	v_lshlrev_b32_e32 v3, 24, v1
	v_lshlrev_b32_e32 v4, 20, v49
	v_lshl_add_u32 v2, v2, 23, 0x3c000000
	v_and_b32_e32 v3, 0x80000000, v3
	v_or3_b32 v49, v4, v3, v2
	buffer_store_dword v49, off, s[48:51], 0 offset:48 ; 4-byte Folded Spill
	buffer_store_dword v50, off, s[48:51], 0 offset:52 ; 4-byte Folded Spill
.LBB186_87:                             ;   in Loop: Header=BB186_12 Depth=1
	s_or_b32 exec_lo, exec_lo, s44
.LBB186_88:                             ;   in Loop: Header=BB186_12 Depth=1
	s_or_b32 exec_lo, exec_lo, s43
.LBB186_89:                             ;   in Loop: Header=BB186_12 Depth=1
	s_or_b32 exec_lo, exec_lo, s42
	v_cmp_ne_u16_sdwa s3, v1, v50 src0_sel:BYTE_1 src1_sel:DWORD
	s_and_saveexec_b32 s42, s3
	s_cbranch_execz .LBB186_97
; %bb.90:                               ;   in Loop: Header=BB186_12 Depth=1
	v_mov_b32_e32 v37, v50
	v_mov_b32_e32 v82, v38
	v_cmp_ne_u16_sdwa s3, v1, v127 src0_sel:BYTE_1 src1_sel:DWORD
	v_mov_b32_e32 v81, v37
	s_and_saveexec_b32 s43, s3
	s_cbranch_execz .LBB186_96
; %bb.91:                               ;   in Loop: Header=BB186_12 Depth=1
	v_mov_b32_e32 v2, 0xffff
	v_mov_b32_e32 v73, v50
	;; [unrolled: 1-line block ×3, first 2 shown]
	s_mov_b32 s44, exec_lo
	v_and_b32_sdwa v2, v2, v1 dst_sel:DWORD dst_unused:UNUSED_PAD src0_sel:DWORD src1_sel:BYTE_1
	v_mov_b32_e32 v81, v73
	v_and_b32_e32 v3, 0x7f, v2
	v_cmpx_ne_u32_e32 0x7f, v3
	s_cbranch_execz .LBB186_95
; %bb.92:                               ;   in Loop: Header=BB186_12 Depth=1
	v_and_b32_e32 v49, 7, v2
	v_lshrrev_b32_e32 v2, 3, v3
	s_mov_b32 s45, exec_lo
	v_cmpx_gt_u32_e32 8, v3
; %bb.93:                               ;   in Loop: Header=BB186_12 Depth=1
	v_ffbh_u32_e32 v2, v49
	v_min_u32_e32 v2, 32, v2
	v_subrev_nc_u32_e32 v3, 28, v2
	v_sub_nc_u32_e32 v2, 29, v2
	v_lshlrev_b64 v[3:4], v3, v[49:50]
	v_and_b32_e32 v49, 7, v3
; %bb.94:                               ;   in Loop: Header=BB186_12 Depth=1
	s_or_b32 exec_lo, exec_lo, s45
	v_lshlrev_b32_e32 v1, 16, v1
	v_lshlrev_b32_e32 v3, 20, v49
	v_lshl_add_u32 v2, v2, 23, 0x3c000000
	v_mov_b32_e32 v81, v50
	v_and_b32_e32 v1, 0x80000000, v1
	v_or3_b32 v82, v3, v1, v2
.LBB186_95:                             ;   in Loop: Header=BB186_12 Depth=1
	s_or_b32 exec_lo, exec_lo, s44
.LBB186_96:                             ;   in Loop: Header=BB186_12 Depth=1
	s_or_b32 exec_lo, exec_lo, s43
.LBB186_97:                             ;   in Loop: Header=BB186_12 Depth=1
	s_or_b32 exec_lo, exec_lo, s42
	global_load_ushort v2, v[69:70], off offset:260
	v_mov_b32_e32 v85, 0
	v_mov_b32_e32 v83, 0
	;; [unrolled: 1-line block ×4, first 2 shown]
	s_waitcnt vmcnt(0)
	v_and_b32_e32 v1, 0xffff, v2
	v_cmp_ne_u16_sdwa s3, v2, v50 src0_sel:BYTE_0 src1_sel:DWORD
	s_and_saveexec_b32 s42, s3
	s_cbranch_execz .LBB186_105
; %bb.98:                               ;   in Loop: Header=BB186_12 Depth=1
	v_bfrev_b32_e32 v83, 1
	v_mov_b32_e32 v84, 0
	v_cmp_ne_u16_sdwa s3, v1, v127 src0_sel:BYTE_0 src1_sel:DWORD
	s_and_saveexec_b32 s43, s3
	s_cbranch_execz .LBB186_104
; %bb.99:                               ;   in Loop: Header=BB186_12 Depth=1
	v_mov_b32_e32 v83, 0x7f800001
	v_and_b32_e32 v3, 0x7f, v1
	v_mov_b32_e32 v84, 0
	s_mov_b32 s44, exec_lo
	v_cmpx_ne_u32_e32 0x7f, v3
	s_cbranch_execz .LBB186_103
; %bb.100:                              ;   in Loop: Header=BB186_12 Depth=1
	v_and_b32_e32 v49, 7, v1
	v_lshrrev_b32_e32 v2, 3, v3
	s_mov_b32 s45, exec_lo
	v_cmpx_gt_u32_e32 8, v3
; %bb.101:                              ;   in Loop: Header=BB186_12 Depth=1
	v_ffbh_u32_e32 v2, v49
	v_min_u32_e32 v2, 32, v2
	v_subrev_nc_u32_e32 v3, 28, v2
	v_sub_nc_u32_e32 v2, 29, v2
	v_lshlrev_b64 v[3:4], v3, v[49:50]
	v_and_b32_e32 v49, 7, v3
; %bb.102:                              ;   in Loop: Header=BB186_12 Depth=1
	s_or_b32 exec_lo, exec_lo, s45
	v_lshlrev_b32_e32 v3, 24, v1
	v_lshlrev_b32_e32 v4, 20, v49
	v_lshl_add_u32 v2, v2, 23, 0x3c000000
	v_and_b32_e32 v3, 0x80000000, v3
	v_or3_b32 v49, v4, v3, v2
	v_mov_b32_e32 v84, v50
	v_mov_b32_e32 v83, v49
.LBB186_103:                            ;   in Loop: Header=BB186_12 Depth=1
	s_or_b32 exec_lo, exec_lo, s44
.LBB186_104:                            ;   in Loop: Header=BB186_12 Depth=1
	s_or_b32 exec_lo, exec_lo, s43
.LBB186_105:                            ;   in Loop: Header=BB186_12 Depth=1
	s_or_b32 exec_lo, exec_lo, s42
	v_cmp_ne_u16_sdwa s3, v1, v50 src0_sel:BYTE_1 src1_sel:DWORD
	s_and_saveexec_b32 s42, s3
	s_cbranch_execz .LBB186_113
; %bb.106:                              ;   in Loop: Header=BB186_12 Depth=1
	v_mov_b32_e32 v37, v50
	v_mov_b32_e32 v86, v38
	v_cmp_ne_u16_sdwa s3, v1, v127 src0_sel:BYTE_1 src1_sel:DWORD
	v_mov_b32_e32 v85, v37
	s_and_saveexec_b32 s43, s3
	s_cbranch_execz .LBB186_112
; %bb.107:                              ;   in Loop: Header=BB186_12 Depth=1
	v_mov_b32_e32 v2, 0xffff
	v_mov_b32_e32 v73, v50
	;; [unrolled: 1-line block ×3, first 2 shown]
	s_mov_b32 s44, exec_lo
	v_and_b32_sdwa v2, v2, v1 dst_sel:DWORD dst_unused:UNUSED_PAD src0_sel:DWORD src1_sel:BYTE_1
	v_mov_b32_e32 v85, v73
	v_and_b32_e32 v3, 0x7f, v2
	v_cmpx_ne_u32_e32 0x7f, v3
	s_cbranch_execz .LBB186_111
; %bb.108:                              ;   in Loop: Header=BB186_12 Depth=1
	v_and_b32_e32 v49, 7, v2
	v_lshrrev_b32_e32 v2, 3, v3
	s_mov_b32 s45, exec_lo
	v_cmpx_gt_u32_e32 8, v3
; %bb.109:                              ;   in Loop: Header=BB186_12 Depth=1
	v_ffbh_u32_e32 v2, v49
	v_min_u32_e32 v2, 32, v2
	v_subrev_nc_u32_e32 v3, 28, v2
	v_sub_nc_u32_e32 v2, 29, v2
	v_lshlrev_b64 v[3:4], v3, v[49:50]
	v_and_b32_e32 v49, 7, v3
; %bb.110:                              ;   in Loop: Header=BB186_12 Depth=1
	s_or_b32 exec_lo, exec_lo, s45
	v_lshlrev_b32_e32 v1, 16, v1
	v_lshlrev_b32_e32 v3, 20, v49
	v_lshl_add_u32 v2, v2, 23, 0x3c000000
	v_mov_b32_e32 v85, v50
	v_and_b32_e32 v1, 0x80000000, v1
	v_or3_b32 v86, v3, v1, v2
.LBB186_111:                            ;   in Loop: Header=BB186_12 Depth=1
	s_or_b32 exec_lo, exec_lo, s44
.LBB186_112:                            ;   in Loop: Header=BB186_12 Depth=1
	s_or_b32 exec_lo, exec_lo, s43
.LBB186_113:                            ;   in Loop: Header=BB186_12 Depth=1
	s_or_b32 exec_lo, exec_lo, s42
	global_load_ushort v2, v[69:70], off offset:264
	v_mov_b32_e32 v89, 0
	v_mov_b32_e32 v87, 0
	;; [unrolled: 1-line block ×4, first 2 shown]
	s_waitcnt vmcnt(0)
	v_and_b32_e32 v1, 0xffff, v2
	v_cmp_ne_u16_sdwa s3, v2, v50 src0_sel:BYTE_0 src1_sel:DWORD
	s_and_saveexec_b32 s42, s3
	s_cbranch_execz .LBB186_121
; %bb.114:                              ;   in Loop: Header=BB186_12 Depth=1
	v_bfrev_b32_e32 v87, 1
	v_mov_b32_e32 v88, 0
	v_cmp_ne_u16_sdwa s3, v1, v127 src0_sel:BYTE_0 src1_sel:DWORD
	s_and_saveexec_b32 s43, s3
	s_cbranch_execz .LBB186_120
; %bb.115:                              ;   in Loop: Header=BB186_12 Depth=1
	v_mov_b32_e32 v87, 0x7f800001
	v_and_b32_e32 v3, 0x7f, v1
	v_mov_b32_e32 v88, 0
	s_mov_b32 s44, exec_lo
	v_cmpx_ne_u32_e32 0x7f, v3
	s_cbranch_execz .LBB186_119
; %bb.116:                              ;   in Loop: Header=BB186_12 Depth=1
	v_and_b32_e32 v49, 7, v1
	v_lshrrev_b32_e32 v2, 3, v3
	s_mov_b32 s45, exec_lo
	v_cmpx_gt_u32_e32 8, v3
; %bb.117:                              ;   in Loop: Header=BB186_12 Depth=1
	v_ffbh_u32_e32 v2, v49
	v_min_u32_e32 v2, 32, v2
	v_subrev_nc_u32_e32 v3, 28, v2
	v_sub_nc_u32_e32 v2, 29, v2
	v_lshlrev_b64 v[3:4], v3, v[49:50]
	v_and_b32_e32 v49, 7, v3
; %bb.118:                              ;   in Loop: Header=BB186_12 Depth=1
	s_or_b32 exec_lo, exec_lo, s45
	v_lshlrev_b32_e32 v3, 24, v1
	v_lshlrev_b32_e32 v4, 20, v49
	v_lshl_add_u32 v2, v2, 23, 0x3c000000
	v_and_b32_e32 v3, 0x80000000, v3
	v_or3_b32 v49, v4, v3, v2
	v_mov_b32_e32 v88, v50
	v_mov_b32_e32 v87, v49
.LBB186_119:                            ;   in Loop: Header=BB186_12 Depth=1
	s_or_b32 exec_lo, exec_lo, s44
.LBB186_120:                            ;   in Loop: Header=BB186_12 Depth=1
	s_or_b32 exec_lo, exec_lo, s43
.LBB186_121:                            ;   in Loop: Header=BB186_12 Depth=1
	s_or_b32 exec_lo, exec_lo, s42
	v_cmp_ne_u16_sdwa s3, v1, v50 src0_sel:BYTE_1 src1_sel:DWORD
	s_and_saveexec_b32 s42, s3
	s_cbranch_execz .LBB186_129
; %bb.122:                              ;   in Loop: Header=BB186_12 Depth=1
	v_mov_b32_e32 v37, v50
	v_mov_b32_e32 v90, v38
	v_cmp_ne_u16_sdwa s3, v1, v127 src0_sel:BYTE_1 src1_sel:DWORD
	v_mov_b32_e32 v89, v37
	s_and_saveexec_b32 s43, s3
	s_cbranch_execz .LBB186_128
; %bb.123:                              ;   in Loop: Header=BB186_12 Depth=1
	v_mov_b32_e32 v2, 0xffff
	v_mov_b32_e32 v73, v50
	;; [unrolled: 1-line block ×3, first 2 shown]
	s_mov_b32 s44, exec_lo
	v_and_b32_sdwa v2, v2, v1 dst_sel:DWORD dst_unused:UNUSED_PAD src0_sel:DWORD src1_sel:BYTE_1
	v_mov_b32_e32 v89, v73
	v_and_b32_e32 v3, 0x7f, v2
	v_cmpx_ne_u32_e32 0x7f, v3
	s_cbranch_execz .LBB186_127
; %bb.124:                              ;   in Loop: Header=BB186_12 Depth=1
	v_and_b32_e32 v49, 7, v2
	v_lshrrev_b32_e32 v2, 3, v3
	s_mov_b32 s45, exec_lo
	v_cmpx_gt_u32_e32 8, v3
; %bb.125:                              ;   in Loop: Header=BB186_12 Depth=1
	v_ffbh_u32_e32 v2, v49
	v_min_u32_e32 v2, 32, v2
	v_subrev_nc_u32_e32 v3, 28, v2
	v_sub_nc_u32_e32 v2, 29, v2
	v_lshlrev_b64 v[3:4], v3, v[49:50]
	v_and_b32_e32 v49, 7, v3
; %bb.126:                              ;   in Loop: Header=BB186_12 Depth=1
	s_or_b32 exec_lo, exec_lo, s45
	v_lshlrev_b32_e32 v1, 16, v1
	v_lshlrev_b32_e32 v3, 20, v49
	v_lshl_add_u32 v2, v2, 23, 0x3c000000
	v_mov_b32_e32 v89, v50
	v_and_b32_e32 v1, 0x80000000, v1
	v_or3_b32 v90, v3, v1, v2
.LBB186_127:                            ;   in Loop: Header=BB186_12 Depth=1
	s_or_b32 exec_lo, exec_lo, s44
.LBB186_128:                            ;   in Loop: Header=BB186_12 Depth=1
	s_or_b32 exec_lo, exec_lo, s43
.LBB186_129:                            ;   in Loop: Header=BB186_12 Depth=1
	s_or_b32 exec_lo, exec_lo, s42
	global_load_ushort v2, v[69:70], off offset:268
	v_mov_b32_e32 v93, 0
	v_mov_b32_e32 v91, 0
	;; [unrolled: 1-line block ×4, first 2 shown]
	s_waitcnt vmcnt(0)
	v_and_b32_e32 v1, 0xffff, v2
	v_cmp_ne_u16_sdwa s3, v2, v50 src0_sel:BYTE_0 src1_sel:DWORD
	s_and_saveexec_b32 s42, s3
	s_cbranch_execz .LBB186_137
; %bb.130:                              ;   in Loop: Header=BB186_12 Depth=1
	v_bfrev_b32_e32 v91, 1
	v_mov_b32_e32 v92, 0
	v_cmp_ne_u16_sdwa s3, v1, v127 src0_sel:BYTE_0 src1_sel:DWORD
	s_and_saveexec_b32 s43, s3
	s_cbranch_execz .LBB186_136
; %bb.131:                              ;   in Loop: Header=BB186_12 Depth=1
	v_mov_b32_e32 v91, 0x7f800001
	v_and_b32_e32 v3, 0x7f, v1
	v_mov_b32_e32 v92, 0
	s_mov_b32 s44, exec_lo
	v_cmpx_ne_u32_e32 0x7f, v3
	s_cbranch_execz .LBB186_135
; %bb.132:                              ;   in Loop: Header=BB186_12 Depth=1
	v_and_b32_e32 v49, 7, v1
	v_lshrrev_b32_e32 v2, 3, v3
	s_mov_b32 s45, exec_lo
	v_cmpx_gt_u32_e32 8, v3
; %bb.133:                              ;   in Loop: Header=BB186_12 Depth=1
	v_ffbh_u32_e32 v2, v49
	v_min_u32_e32 v2, 32, v2
	v_subrev_nc_u32_e32 v3, 28, v2
	v_sub_nc_u32_e32 v2, 29, v2
	v_lshlrev_b64 v[3:4], v3, v[49:50]
	v_and_b32_e32 v49, 7, v3
; %bb.134:                              ;   in Loop: Header=BB186_12 Depth=1
	s_or_b32 exec_lo, exec_lo, s45
	v_lshlrev_b32_e32 v3, 24, v1
	v_lshlrev_b32_e32 v4, 20, v49
	v_lshl_add_u32 v2, v2, 23, 0x3c000000
	v_and_b32_e32 v3, 0x80000000, v3
	v_or3_b32 v49, v4, v3, v2
	v_mov_b32_e32 v92, v50
	v_mov_b32_e32 v91, v49
.LBB186_135:                            ;   in Loop: Header=BB186_12 Depth=1
	s_or_b32 exec_lo, exec_lo, s44
.LBB186_136:                            ;   in Loop: Header=BB186_12 Depth=1
	s_or_b32 exec_lo, exec_lo, s43
.LBB186_137:                            ;   in Loop: Header=BB186_12 Depth=1
	s_or_b32 exec_lo, exec_lo, s42
	v_cmp_ne_u16_sdwa s3, v1, v50 src0_sel:BYTE_1 src1_sel:DWORD
	s_and_saveexec_b32 s42, s3
	s_cbranch_execz .LBB186_145
; %bb.138:                              ;   in Loop: Header=BB186_12 Depth=1
	v_mov_b32_e32 v37, v50
	v_mov_b32_e32 v94, v38
	v_cmp_ne_u16_sdwa s3, v1, v127 src0_sel:BYTE_1 src1_sel:DWORD
	v_mov_b32_e32 v93, v37
	s_and_saveexec_b32 s43, s3
	s_cbranch_execz .LBB186_144
; %bb.139:                              ;   in Loop: Header=BB186_12 Depth=1
	v_mov_b32_e32 v2, 0xffff
	v_mov_b32_e32 v73, v50
	;; [unrolled: 1-line block ×3, first 2 shown]
	s_mov_b32 s44, exec_lo
	v_and_b32_sdwa v2, v2, v1 dst_sel:DWORD dst_unused:UNUSED_PAD src0_sel:DWORD src1_sel:BYTE_1
	v_mov_b32_e32 v93, v73
	v_and_b32_e32 v3, 0x7f, v2
	v_cmpx_ne_u32_e32 0x7f, v3
	s_cbranch_execz .LBB186_143
; %bb.140:                              ;   in Loop: Header=BB186_12 Depth=1
	v_and_b32_e32 v49, 7, v2
	v_lshrrev_b32_e32 v2, 3, v3
	s_mov_b32 s45, exec_lo
	v_cmpx_gt_u32_e32 8, v3
; %bb.141:                              ;   in Loop: Header=BB186_12 Depth=1
	v_ffbh_u32_e32 v2, v49
	v_min_u32_e32 v2, 32, v2
	v_subrev_nc_u32_e32 v3, 28, v2
	v_sub_nc_u32_e32 v2, 29, v2
	v_lshlrev_b64 v[3:4], v3, v[49:50]
	v_and_b32_e32 v49, 7, v3
; %bb.142:                              ;   in Loop: Header=BB186_12 Depth=1
	s_or_b32 exec_lo, exec_lo, s45
	v_lshlrev_b32_e32 v1, 16, v1
	v_lshlrev_b32_e32 v3, 20, v49
	v_lshl_add_u32 v2, v2, 23, 0x3c000000
	v_mov_b32_e32 v93, v50
	v_and_b32_e32 v1, 0x80000000, v1
	v_or3_b32 v94, v3, v1, v2
.LBB186_143:                            ;   in Loop: Header=BB186_12 Depth=1
	s_or_b32 exec_lo, exec_lo, s44
.LBB186_144:                            ;   in Loop: Header=BB186_12 Depth=1
	s_or_b32 exec_lo, exec_lo, s43
.LBB186_145:                            ;   in Loop: Header=BB186_12 Depth=1
	s_or_b32 exec_lo, exec_lo, s42
	global_load_ushort v2, v[69:70], off offset:512
	v_mov_b32_e32 v97, 0
	v_mov_b32_e32 v95, 0
	;; [unrolled: 1-line block ×4, first 2 shown]
	s_waitcnt vmcnt(0)
	v_and_b32_e32 v1, 0xffff, v2
	v_cmp_ne_u16_sdwa s3, v2, v50 src0_sel:BYTE_0 src1_sel:DWORD
	s_and_saveexec_b32 s42, s3
	s_cbranch_execz .LBB186_153
; %bb.146:                              ;   in Loop: Header=BB186_12 Depth=1
	v_bfrev_b32_e32 v95, 1
	v_mov_b32_e32 v96, 0
	v_cmp_ne_u16_sdwa s3, v1, v127 src0_sel:BYTE_0 src1_sel:DWORD
	s_and_saveexec_b32 s43, s3
	s_cbranch_execz .LBB186_152
; %bb.147:                              ;   in Loop: Header=BB186_12 Depth=1
	v_mov_b32_e32 v95, 0x7f800001
	v_and_b32_e32 v3, 0x7f, v1
	v_mov_b32_e32 v96, 0
	s_mov_b32 s44, exec_lo
	v_cmpx_ne_u32_e32 0x7f, v3
	s_cbranch_execz .LBB186_151
; %bb.148:                              ;   in Loop: Header=BB186_12 Depth=1
	v_and_b32_e32 v49, 7, v1
	v_lshrrev_b32_e32 v2, 3, v3
	s_mov_b32 s45, exec_lo
	v_cmpx_gt_u32_e32 8, v3
; %bb.149:                              ;   in Loop: Header=BB186_12 Depth=1
	v_ffbh_u32_e32 v2, v49
	v_min_u32_e32 v2, 32, v2
	v_subrev_nc_u32_e32 v3, 28, v2
	v_sub_nc_u32_e32 v2, 29, v2
	v_lshlrev_b64 v[3:4], v3, v[49:50]
	v_and_b32_e32 v49, 7, v3
; %bb.150:                              ;   in Loop: Header=BB186_12 Depth=1
	s_or_b32 exec_lo, exec_lo, s45
	v_lshlrev_b32_e32 v3, 24, v1
	v_lshlrev_b32_e32 v4, 20, v49
	v_lshl_add_u32 v2, v2, 23, 0x3c000000
	v_and_b32_e32 v3, 0x80000000, v3
	v_or3_b32 v49, v4, v3, v2
	v_mov_b32_e32 v96, v50
	v_mov_b32_e32 v95, v49
.LBB186_151:                            ;   in Loop: Header=BB186_12 Depth=1
	s_or_b32 exec_lo, exec_lo, s44
.LBB186_152:                            ;   in Loop: Header=BB186_12 Depth=1
	s_or_b32 exec_lo, exec_lo, s43
.LBB186_153:                            ;   in Loop: Header=BB186_12 Depth=1
	s_or_b32 exec_lo, exec_lo, s42
	v_cmp_ne_u16_sdwa s3, v1, v50 src0_sel:BYTE_1 src1_sel:DWORD
	s_and_saveexec_b32 s42, s3
	s_cbranch_execz .LBB186_161
; %bb.154:                              ;   in Loop: Header=BB186_12 Depth=1
	v_mov_b32_e32 v37, v50
	v_mov_b32_e32 v98, v38
	v_cmp_ne_u16_sdwa s3, v1, v127 src0_sel:BYTE_1 src1_sel:DWORD
	v_mov_b32_e32 v97, v37
	s_and_saveexec_b32 s43, s3
	s_cbranch_execz .LBB186_160
; %bb.155:                              ;   in Loop: Header=BB186_12 Depth=1
	v_mov_b32_e32 v2, 0xffff
	v_mov_b32_e32 v73, v50
	;; [unrolled: 1-line block ×3, first 2 shown]
	s_mov_b32 s44, exec_lo
	v_and_b32_sdwa v2, v2, v1 dst_sel:DWORD dst_unused:UNUSED_PAD src0_sel:DWORD src1_sel:BYTE_1
	v_mov_b32_e32 v97, v73
	v_and_b32_e32 v3, 0x7f, v2
	v_cmpx_ne_u32_e32 0x7f, v3
	s_cbranch_execz .LBB186_159
; %bb.156:                              ;   in Loop: Header=BB186_12 Depth=1
	v_and_b32_e32 v49, 7, v2
	v_lshrrev_b32_e32 v2, 3, v3
	s_mov_b32 s45, exec_lo
	v_cmpx_gt_u32_e32 8, v3
; %bb.157:                              ;   in Loop: Header=BB186_12 Depth=1
	v_ffbh_u32_e32 v2, v49
	v_min_u32_e32 v2, 32, v2
	v_subrev_nc_u32_e32 v3, 28, v2
	v_sub_nc_u32_e32 v2, 29, v2
	v_lshlrev_b64 v[3:4], v3, v[49:50]
	v_and_b32_e32 v49, 7, v3
; %bb.158:                              ;   in Loop: Header=BB186_12 Depth=1
	s_or_b32 exec_lo, exec_lo, s45
	v_lshlrev_b32_e32 v1, 16, v1
	v_lshlrev_b32_e32 v3, 20, v49
	v_lshl_add_u32 v2, v2, 23, 0x3c000000
	v_mov_b32_e32 v97, v50
	v_and_b32_e32 v1, 0x80000000, v1
	v_or3_b32 v98, v3, v1, v2
.LBB186_159:                            ;   in Loop: Header=BB186_12 Depth=1
	s_or_b32 exec_lo, exec_lo, s44
.LBB186_160:                            ;   in Loop: Header=BB186_12 Depth=1
	s_or_b32 exec_lo, exec_lo, s43
.LBB186_161:                            ;   in Loop: Header=BB186_12 Depth=1
	s_or_b32 exec_lo, exec_lo, s42
	global_load_ushort v2, v[69:70], off offset:516
	v_mov_b32_e32 v101, 0
	v_mov_b32_e32 v99, 0
	;; [unrolled: 1-line block ×4, first 2 shown]
	s_waitcnt vmcnt(0)
	v_and_b32_e32 v1, 0xffff, v2
	v_cmp_ne_u16_sdwa s3, v2, v50 src0_sel:BYTE_0 src1_sel:DWORD
	s_and_saveexec_b32 s42, s3
	s_cbranch_execz .LBB186_169
; %bb.162:                              ;   in Loop: Header=BB186_12 Depth=1
	v_bfrev_b32_e32 v99, 1
	v_mov_b32_e32 v100, 0
	v_cmp_ne_u16_sdwa s3, v1, v127 src0_sel:BYTE_0 src1_sel:DWORD
	s_and_saveexec_b32 s43, s3
	s_cbranch_execz .LBB186_168
; %bb.163:                              ;   in Loop: Header=BB186_12 Depth=1
	v_mov_b32_e32 v99, 0x7f800001
	v_and_b32_e32 v3, 0x7f, v1
	v_mov_b32_e32 v100, 0
	s_mov_b32 s44, exec_lo
	v_cmpx_ne_u32_e32 0x7f, v3
	s_cbranch_execz .LBB186_167
; %bb.164:                              ;   in Loop: Header=BB186_12 Depth=1
	v_and_b32_e32 v49, 7, v1
	v_lshrrev_b32_e32 v2, 3, v3
	s_mov_b32 s45, exec_lo
	v_cmpx_gt_u32_e32 8, v3
; %bb.165:                              ;   in Loop: Header=BB186_12 Depth=1
	v_ffbh_u32_e32 v2, v49
	v_min_u32_e32 v2, 32, v2
	v_subrev_nc_u32_e32 v3, 28, v2
	v_sub_nc_u32_e32 v2, 29, v2
	v_lshlrev_b64 v[3:4], v3, v[49:50]
	v_and_b32_e32 v49, 7, v3
; %bb.166:                              ;   in Loop: Header=BB186_12 Depth=1
	s_or_b32 exec_lo, exec_lo, s45
	v_lshlrev_b32_e32 v3, 24, v1
	v_lshlrev_b32_e32 v4, 20, v49
	v_lshl_add_u32 v2, v2, 23, 0x3c000000
	v_and_b32_e32 v3, 0x80000000, v3
	v_or3_b32 v49, v4, v3, v2
	v_mov_b32_e32 v100, v50
	v_mov_b32_e32 v99, v49
.LBB186_167:                            ;   in Loop: Header=BB186_12 Depth=1
	s_or_b32 exec_lo, exec_lo, s44
.LBB186_168:                            ;   in Loop: Header=BB186_12 Depth=1
	s_or_b32 exec_lo, exec_lo, s43
.LBB186_169:                            ;   in Loop: Header=BB186_12 Depth=1
	s_or_b32 exec_lo, exec_lo, s42
	v_cmp_ne_u16_sdwa s3, v1, v50 src0_sel:BYTE_1 src1_sel:DWORD
	s_and_saveexec_b32 s42, s3
	s_cbranch_execz .LBB186_177
; %bb.170:                              ;   in Loop: Header=BB186_12 Depth=1
	v_mov_b32_e32 v37, v50
	v_mov_b32_e32 v102, v38
	v_cmp_ne_u16_sdwa s3, v1, v127 src0_sel:BYTE_1 src1_sel:DWORD
	v_mov_b32_e32 v101, v37
	s_and_saveexec_b32 s43, s3
	s_cbranch_execz .LBB186_176
; %bb.171:                              ;   in Loop: Header=BB186_12 Depth=1
	v_mov_b32_e32 v2, 0xffff
	v_mov_b32_e32 v73, v50
	;; [unrolled: 1-line block ×3, first 2 shown]
	s_mov_b32 s44, exec_lo
	v_and_b32_sdwa v2, v2, v1 dst_sel:DWORD dst_unused:UNUSED_PAD src0_sel:DWORD src1_sel:BYTE_1
	v_mov_b32_e32 v101, v73
	v_and_b32_e32 v3, 0x7f, v2
	v_cmpx_ne_u32_e32 0x7f, v3
	s_cbranch_execz .LBB186_175
; %bb.172:                              ;   in Loop: Header=BB186_12 Depth=1
	v_and_b32_e32 v49, 7, v2
	v_lshrrev_b32_e32 v2, 3, v3
	s_mov_b32 s45, exec_lo
	v_cmpx_gt_u32_e32 8, v3
; %bb.173:                              ;   in Loop: Header=BB186_12 Depth=1
	v_ffbh_u32_e32 v2, v49
	v_min_u32_e32 v2, 32, v2
	v_subrev_nc_u32_e32 v3, 28, v2
	v_sub_nc_u32_e32 v2, 29, v2
	v_lshlrev_b64 v[3:4], v3, v[49:50]
	v_and_b32_e32 v49, 7, v3
; %bb.174:                              ;   in Loop: Header=BB186_12 Depth=1
	s_or_b32 exec_lo, exec_lo, s45
	v_lshlrev_b32_e32 v1, 16, v1
	v_lshlrev_b32_e32 v3, 20, v49
	v_lshl_add_u32 v2, v2, 23, 0x3c000000
	v_mov_b32_e32 v101, v50
	v_and_b32_e32 v1, 0x80000000, v1
	v_or3_b32 v102, v3, v1, v2
.LBB186_175:                            ;   in Loop: Header=BB186_12 Depth=1
	s_or_b32 exec_lo, exec_lo, s44
.LBB186_176:                            ;   in Loop: Header=BB186_12 Depth=1
	s_or_b32 exec_lo, exec_lo, s43
.LBB186_177:                            ;   in Loop: Header=BB186_12 Depth=1
	s_or_b32 exec_lo, exec_lo, s42
	global_load_ushort v2, v[69:70], off offset:520
	v_mov_b32_e32 v105, 0
	v_mov_b32_e32 v103, 0
	;; [unrolled: 1-line block ×4, first 2 shown]
	s_waitcnt vmcnt(0)
	v_and_b32_e32 v1, 0xffff, v2
	v_cmp_ne_u16_sdwa s3, v2, v50 src0_sel:BYTE_0 src1_sel:DWORD
	s_and_saveexec_b32 s42, s3
	s_cbranch_execz .LBB186_185
; %bb.178:                              ;   in Loop: Header=BB186_12 Depth=1
	v_bfrev_b32_e32 v103, 1
	v_mov_b32_e32 v104, 0
	v_cmp_ne_u16_sdwa s3, v1, v127 src0_sel:BYTE_0 src1_sel:DWORD
	s_and_saveexec_b32 s43, s3
	s_cbranch_execz .LBB186_184
; %bb.179:                              ;   in Loop: Header=BB186_12 Depth=1
	v_mov_b32_e32 v103, 0x7f800001
	v_and_b32_e32 v3, 0x7f, v1
	v_mov_b32_e32 v104, 0
	s_mov_b32 s44, exec_lo
	v_cmpx_ne_u32_e32 0x7f, v3
	s_cbranch_execz .LBB186_183
; %bb.180:                              ;   in Loop: Header=BB186_12 Depth=1
	v_and_b32_e32 v49, 7, v1
	v_lshrrev_b32_e32 v2, 3, v3
	s_mov_b32 s45, exec_lo
	v_cmpx_gt_u32_e32 8, v3
; %bb.181:                              ;   in Loop: Header=BB186_12 Depth=1
	v_ffbh_u32_e32 v2, v49
	v_min_u32_e32 v2, 32, v2
	v_subrev_nc_u32_e32 v3, 28, v2
	v_sub_nc_u32_e32 v2, 29, v2
	v_lshlrev_b64 v[3:4], v3, v[49:50]
	v_and_b32_e32 v49, 7, v3
; %bb.182:                              ;   in Loop: Header=BB186_12 Depth=1
	s_or_b32 exec_lo, exec_lo, s45
	v_lshlrev_b32_e32 v3, 24, v1
	v_lshlrev_b32_e32 v4, 20, v49
	v_lshl_add_u32 v2, v2, 23, 0x3c000000
	v_and_b32_e32 v3, 0x80000000, v3
	v_or3_b32 v49, v4, v3, v2
	v_mov_b32_e32 v104, v50
	v_mov_b32_e32 v103, v49
.LBB186_183:                            ;   in Loop: Header=BB186_12 Depth=1
	s_or_b32 exec_lo, exec_lo, s44
.LBB186_184:                            ;   in Loop: Header=BB186_12 Depth=1
	s_or_b32 exec_lo, exec_lo, s43
.LBB186_185:                            ;   in Loop: Header=BB186_12 Depth=1
	s_or_b32 exec_lo, exec_lo, s42
	v_cmp_ne_u16_sdwa s3, v1, v50 src0_sel:BYTE_1 src1_sel:DWORD
	s_and_saveexec_b32 s42, s3
	s_cbranch_execz .LBB186_193
; %bb.186:                              ;   in Loop: Header=BB186_12 Depth=1
	v_mov_b32_e32 v37, v50
	v_mov_b32_e32 v106, v38
	v_cmp_ne_u16_sdwa s3, v1, v127 src0_sel:BYTE_1 src1_sel:DWORD
	v_mov_b32_e32 v105, v37
	s_and_saveexec_b32 s43, s3
	s_cbranch_execz .LBB186_192
; %bb.187:                              ;   in Loop: Header=BB186_12 Depth=1
	v_mov_b32_e32 v2, 0xffff
	v_mov_b32_e32 v73, v50
	;; [unrolled: 1-line block ×3, first 2 shown]
	s_mov_b32 s44, exec_lo
	v_and_b32_sdwa v2, v2, v1 dst_sel:DWORD dst_unused:UNUSED_PAD src0_sel:DWORD src1_sel:BYTE_1
	v_mov_b32_e32 v105, v73
	v_and_b32_e32 v3, 0x7f, v2
	v_cmpx_ne_u32_e32 0x7f, v3
	s_cbranch_execz .LBB186_191
; %bb.188:                              ;   in Loop: Header=BB186_12 Depth=1
	v_and_b32_e32 v49, 7, v2
	v_lshrrev_b32_e32 v2, 3, v3
	s_mov_b32 s45, exec_lo
	v_cmpx_gt_u32_e32 8, v3
; %bb.189:                              ;   in Loop: Header=BB186_12 Depth=1
	v_ffbh_u32_e32 v2, v49
	v_min_u32_e32 v2, 32, v2
	v_subrev_nc_u32_e32 v3, 28, v2
	v_sub_nc_u32_e32 v2, 29, v2
	v_lshlrev_b64 v[3:4], v3, v[49:50]
	v_and_b32_e32 v49, 7, v3
; %bb.190:                              ;   in Loop: Header=BB186_12 Depth=1
	s_or_b32 exec_lo, exec_lo, s45
	v_lshlrev_b32_e32 v1, 16, v1
	v_lshlrev_b32_e32 v3, 20, v49
	v_lshl_add_u32 v2, v2, 23, 0x3c000000
	v_mov_b32_e32 v105, v50
	v_and_b32_e32 v1, 0x80000000, v1
	v_or3_b32 v106, v3, v1, v2
.LBB186_191:                            ;   in Loop: Header=BB186_12 Depth=1
	s_or_b32 exec_lo, exec_lo, s44
.LBB186_192:                            ;   in Loop: Header=BB186_12 Depth=1
	s_or_b32 exec_lo, exec_lo, s43
.LBB186_193:                            ;   in Loop: Header=BB186_12 Depth=1
	s_or_b32 exec_lo, exec_lo, s42
	global_load_ushort v2, v[69:70], off offset:524
	v_mov_b32_e32 v109, 0
	v_mov_b32_e32 v107, 0
	;; [unrolled: 1-line block ×4, first 2 shown]
	s_waitcnt vmcnt(0)
	v_and_b32_e32 v1, 0xffff, v2
	v_cmp_ne_u16_sdwa s3, v2, v50 src0_sel:BYTE_0 src1_sel:DWORD
	s_and_saveexec_b32 s42, s3
	s_cbranch_execz .LBB186_201
; %bb.194:                              ;   in Loop: Header=BB186_12 Depth=1
	v_bfrev_b32_e32 v107, 1
	v_mov_b32_e32 v108, 0
	v_cmp_ne_u16_sdwa s3, v1, v127 src0_sel:BYTE_0 src1_sel:DWORD
	s_and_saveexec_b32 s43, s3
	s_cbranch_execz .LBB186_200
; %bb.195:                              ;   in Loop: Header=BB186_12 Depth=1
	v_mov_b32_e32 v107, 0x7f800001
	v_and_b32_e32 v3, 0x7f, v1
	v_mov_b32_e32 v108, 0
	s_mov_b32 s44, exec_lo
	v_cmpx_ne_u32_e32 0x7f, v3
	s_cbranch_execz .LBB186_199
; %bb.196:                              ;   in Loop: Header=BB186_12 Depth=1
	v_and_b32_e32 v49, 7, v1
	v_lshrrev_b32_e32 v2, 3, v3
	s_mov_b32 s45, exec_lo
	v_cmpx_gt_u32_e32 8, v3
; %bb.197:                              ;   in Loop: Header=BB186_12 Depth=1
	v_ffbh_u32_e32 v2, v49
	v_min_u32_e32 v2, 32, v2
	v_subrev_nc_u32_e32 v3, 28, v2
	v_sub_nc_u32_e32 v2, 29, v2
	v_lshlrev_b64 v[3:4], v3, v[49:50]
	v_and_b32_e32 v49, 7, v3
; %bb.198:                              ;   in Loop: Header=BB186_12 Depth=1
	s_or_b32 exec_lo, exec_lo, s45
	v_lshlrev_b32_e32 v3, 24, v1
	v_lshlrev_b32_e32 v4, 20, v49
	v_lshl_add_u32 v2, v2, 23, 0x3c000000
	v_and_b32_e32 v3, 0x80000000, v3
	v_or3_b32 v49, v4, v3, v2
	v_mov_b32_e32 v108, v50
	v_mov_b32_e32 v107, v49
.LBB186_199:                            ;   in Loop: Header=BB186_12 Depth=1
	s_or_b32 exec_lo, exec_lo, s44
.LBB186_200:                            ;   in Loop: Header=BB186_12 Depth=1
	s_or_b32 exec_lo, exec_lo, s43
.LBB186_201:                            ;   in Loop: Header=BB186_12 Depth=1
	s_or_b32 exec_lo, exec_lo, s42
	v_cmp_ne_u16_sdwa s3, v1, v50 src0_sel:BYTE_1 src1_sel:DWORD
	s_and_saveexec_b32 s42, s3
	s_cbranch_execz .LBB186_209
; %bb.202:                              ;   in Loop: Header=BB186_12 Depth=1
	v_mov_b32_e32 v37, v50
	v_mov_b32_e32 v110, v38
	v_cmp_ne_u16_sdwa s3, v1, v127 src0_sel:BYTE_1 src1_sel:DWORD
	v_mov_b32_e32 v109, v37
	s_and_saveexec_b32 s43, s3
	s_cbranch_execz .LBB186_208
; %bb.203:                              ;   in Loop: Header=BB186_12 Depth=1
	v_mov_b32_e32 v2, 0xffff
	v_mov_b32_e32 v73, v50
	;; [unrolled: 1-line block ×3, first 2 shown]
	s_mov_b32 s44, exec_lo
	v_and_b32_sdwa v2, v2, v1 dst_sel:DWORD dst_unused:UNUSED_PAD src0_sel:DWORD src1_sel:BYTE_1
	v_mov_b32_e32 v109, v73
	v_and_b32_e32 v3, 0x7f, v2
	v_cmpx_ne_u32_e32 0x7f, v3
	s_cbranch_execz .LBB186_207
; %bb.204:                              ;   in Loop: Header=BB186_12 Depth=1
	v_and_b32_e32 v49, 7, v2
	v_lshrrev_b32_e32 v2, 3, v3
	s_mov_b32 s45, exec_lo
	v_cmpx_gt_u32_e32 8, v3
; %bb.205:                              ;   in Loop: Header=BB186_12 Depth=1
	v_ffbh_u32_e32 v2, v49
	v_min_u32_e32 v2, 32, v2
	v_subrev_nc_u32_e32 v3, 28, v2
	v_sub_nc_u32_e32 v2, 29, v2
	v_lshlrev_b64 v[3:4], v3, v[49:50]
	v_and_b32_e32 v49, 7, v3
; %bb.206:                              ;   in Loop: Header=BB186_12 Depth=1
	s_or_b32 exec_lo, exec_lo, s45
	v_lshlrev_b32_e32 v1, 16, v1
	v_lshlrev_b32_e32 v3, 20, v49
	v_lshl_add_u32 v2, v2, 23, 0x3c000000
	v_mov_b32_e32 v109, v50
	v_and_b32_e32 v1, 0x80000000, v1
	v_or3_b32 v110, v3, v1, v2
.LBB186_207:                            ;   in Loop: Header=BB186_12 Depth=1
	s_or_b32 exec_lo, exec_lo, s44
.LBB186_208:                            ;   in Loop: Header=BB186_12 Depth=1
	s_or_b32 exec_lo, exec_lo, s43
.LBB186_209:                            ;   in Loop: Header=BB186_12 Depth=1
	s_or_b32 exec_lo, exec_lo, s42
	global_load_ushort v2, v[69:70], off offset:768
	v_mov_b32_e32 v113, 0
	v_mov_b32_e32 v111, 0
	;; [unrolled: 1-line block ×4, first 2 shown]
	s_waitcnt vmcnt(0)
	v_and_b32_e32 v1, 0xffff, v2
	v_cmp_ne_u16_sdwa s3, v2, v50 src0_sel:BYTE_0 src1_sel:DWORD
	s_and_saveexec_b32 s42, s3
	s_cbranch_execz .LBB186_217
; %bb.210:                              ;   in Loop: Header=BB186_12 Depth=1
	v_bfrev_b32_e32 v111, 1
	v_mov_b32_e32 v112, 0
	v_cmp_ne_u16_sdwa s3, v1, v127 src0_sel:BYTE_0 src1_sel:DWORD
	s_and_saveexec_b32 s43, s3
	s_cbranch_execz .LBB186_216
; %bb.211:                              ;   in Loop: Header=BB186_12 Depth=1
	v_mov_b32_e32 v111, 0x7f800001
	v_and_b32_e32 v3, 0x7f, v1
	v_mov_b32_e32 v112, 0
	s_mov_b32 s44, exec_lo
	v_cmpx_ne_u32_e32 0x7f, v3
	s_cbranch_execz .LBB186_215
; %bb.212:                              ;   in Loop: Header=BB186_12 Depth=1
	v_and_b32_e32 v49, 7, v1
	v_lshrrev_b32_e32 v2, 3, v3
	s_mov_b32 s45, exec_lo
	v_cmpx_gt_u32_e32 8, v3
; %bb.213:                              ;   in Loop: Header=BB186_12 Depth=1
	v_ffbh_u32_e32 v2, v49
	v_min_u32_e32 v2, 32, v2
	v_subrev_nc_u32_e32 v3, 28, v2
	v_sub_nc_u32_e32 v2, 29, v2
	v_lshlrev_b64 v[3:4], v3, v[49:50]
	v_and_b32_e32 v49, 7, v3
; %bb.214:                              ;   in Loop: Header=BB186_12 Depth=1
	s_or_b32 exec_lo, exec_lo, s45
	v_lshlrev_b32_e32 v3, 24, v1
	v_lshlrev_b32_e32 v4, 20, v49
	v_lshl_add_u32 v2, v2, 23, 0x3c000000
	v_and_b32_e32 v3, 0x80000000, v3
	v_or3_b32 v49, v4, v3, v2
	v_mov_b32_e32 v112, v50
	v_mov_b32_e32 v111, v49
.LBB186_215:                            ;   in Loop: Header=BB186_12 Depth=1
	s_or_b32 exec_lo, exec_lo, s44
.LBB186_216:                            ;   in Loop: Header=BB186_12 Depth=1
	s_or_b32 exec_lo, exec_lo, s43
.LBB186_217:                            ;   in Loop: Header=BB186_12 Depth=1
	s_or_b32 exec_lo, exec_lo, s42
	v_cmp_ne_u16_sdwa s3, v1, v50 src0_sel:BYTE_1 src1_sel:DWORD
	s_and_saveexec_b32 s42, s3
	s_cbranch_execz .LBB186_225
; %bb.218:                              ;   in Loop: Header=BB186_12 Depth=1
	v_mov_b32_e32 v37, v50
	v_mov_b32_e32 v114, v38
	v_cmp_ne_u16_sdwa s3, v1, v127 src0_sel:BYTE_1 src1_sel:DWORD
	v_mov_b32_e32 v113, v37
	s_and_saveexec_b32 s43, s3
	s_cbranch_execz .LBB186_224
; %bb.219:                              ;   in Loop: Header=BB186_12 Depth=1
	v_mov_b32_e32 v2, 0xffff
	v_mov_b32_e32 v73, v50
	;; [unrolled: 1-line block ×3, first 2 shown]
	s_mov_b32 s44, exec_lo
	v_and_b32_sdwa v2, v2, v1 dst_sel:DWORD dst_unused:UNUSED_PAD src0_sel:DWORD src1_sel:BYTE_1
	v_mov_b32_e32 v113, v73
	v_and_b32_e32 v3, 0x7f, v2
	v_cmpx_ne_u32_e32 0x7f, v3
	s_cbranch_execz .LBB186_223
; %bb.220:                              ;   in Loop: Header=BB186_12 Depth=1
	v_and_b32_e32 v49, 7, v2
	v_lshrrev_b32_e32 v2, 3, v3
	s_mov_b32 s45, exec_lo
	v_cmpx_gt_u32_e32 8, v3
; %bb.221:                              ;   in Loop: Header=BB186_12 Depth=1
	v_ffbh_u32_e32 v2, v49
	v_min_u32_e32 v2, 32, v2
	v_subrev_nc_u32_e32 v3, 28, v2
	v_sub_nc_u32_e32 v2, 29, v2
	v_lshlrev_b64 v[3:4], v3, v[49:50]
	v_and_b32_e32 v49, 7, v3
; %bb.222:                              ;   in Loop: Header=BB186_12 Depth=1
	s_or_b32 exec_lo, exec_lo, s45
	v_lshlrev_b32_e32 v1, 16, v1
	v_lshlrev_b32_e32 v3, 20, v49
	v_lshl_add_u32 v2, v2, 23, 0x3c000000
	v_mov_b32_e32 v113, v50
	v_and_b32_e32 v1, 0x80000000, v1
	v_or3_b32 v114, v3, v1, v2
.LBB186_223:                            ;   in Loop: Header=BB186_12 Depth=1
	s_or_b32 exec_lo, exec_lo, s44
.LBB186_224:                            ;   in Loop: Header=BB186_12 Depth=1
	s_or_b32 exec_lo, exec_lo, s43
.LBB186_225:                            ;   in Loop: Header=BB186_12 Depth=1
	s_or_b32 exec_lo, exec_lo, s42
	global_load_ushort v2, v[69:70], off offset:772
	v_mov_b32_e32 v117, 0
	v_mov_b32_e32 v115, 0
	;; [unrolled: 1-line block ×4, first 2 shown]
	s_waitcnt vmcnt(0)
	v_and_b32_e32 v1, 0xffff, v2
	v_cmp_ne_u16_sdwa s3, v2, v50 src0_sel:BYTE_0 src1_sel:DWORD
	s_and_saveexec_b32 s42, s3
	s_cbranch_execz .LBB186_233
; %bb.226:                              ;   in Loop: Header=BB186_12 Depth=1
	v_bfrev_b32_e32 v115, 1
	v_mov_b32_e32 v116, 0
	v_cmp_ne_u16_sdwa s3, v1, v127 src0_sel:BYTE_0 src1_sel:DWORD
	s_and_saveexec_b32 s43, s3
	s_cbranch_execz .LBB186_232
; %bb.227:                              ;   in Loop: Header=BB186_12 Depth=1
	v_mov_b32_e32 v115, 0x7f800001
	v_and_b32_e32 v3, 0x7f, v1
	v_mov_b32_e32 v116, 0
	s_mov_b32 s44, exec_lo
	v_cmpx_ne_u32_e32 0x7f, v3
	s_cbranch_execz .LBB186_231
; %bb.228:                              ;   in Loop: Header=BB186_12 Depth=1
	v_and_b32_e32 v49, 7, v1
	v_lshrrev_b32_e32 v2, 3, v3
	s_mov_b32 s45, exec_lo
	v_cmpx_gt_u32_e32 8, v3
; %bb.229:                              ;   in Loop: Header=BB186_12 Depth=1
	v_ffbh_u32_e32 v2, v49
	v_min_u32_e32 v2, 32, v2
	v_subrev_nc_u32_e32 v3, 28, v2
	v_sub_nc_u32_e32 v2, 29, v2
	v_lshlrev_b64 v[3:4], v3, v[49:50]
	v_and_b32_e32 v49, 7, v3
; %bb.230:                              ;   in Loop: Header=BB186_12 Depth=1
	s_or_b32 exec_lo, exec_lo, s45
	v_lshlrev_b32_e32 v3, 24, v1
	v_lshlrev_b32_e32 v4, 20, v49
	v_lshl_add_u32 v2, v2, 23, 0x3c000000
	v_and_b32_e32 v3, 0x80000000, v3
	v_or3_b32 v49, v4, v3, v2
	v_mov_b32_e32 v116, v50
	v_mov_b32_e32 v115, v49
.LBB186_231:                            ;   in Loop: Header=BB186_12 Depth=1
	s_or_b32 exec_lo, exec_lo, s44
.LBB186_232:                            ;   in Loop: Header=BB186_12 Depth=1
	s_or_b32 exec_lo, exec_lo, s43
.LBB186_233:                            ;   in Loop: Header=BB186_12 Depth=1
	s_or_b32 exec_lo, exec_lo, s42
	v_cmp_ne_u16_sdwa s3, v1, v50 src0_sel:BYTE_1 src1_sel:DWORD
	s_and_saveexec_b32 s42, s3
	s_cbranch_execz .LBB186_241
; %bb.234:                              ;   in Loop: Header=BB186_12 Depth=1
	v_mov_b32_e32 v37, v50
	v_mov_b32_e32 v118, v38
	v_cmp_ne_u16_sdwa s3, v1, v127 src0_sel:BYTE_1 src1_sel:DWORD
	v_mov_b32_e32 v117, v37
	s_and_saveexec_b32 s43, s3
	s_cbranch_execz .LBB186_240
; %bb.235:                              ;   in Loop: Header=BB186_12 Depth=1
	v_mov_b32_e32 v2, 0xffff
	v_mov_b32_e32 v73, v50
	;; [unrolled: 1-line block ×3, first 2 shown]
	s_mov_b32 s44, exec_lo
	v_and_b32_sdwa v2, v2, v1 dst_sel:DWORD dst_unused:UNUSED_PAD src0_sel:DWORD src1_sel:BYTE_1
	v_mov_b32_e32 v117, v73
	v_and_b32_e32 v3, 0x7f, v2
	v_cmpx_ne_u32_e32 0x7f, v3
	s_cbranch_execz .LBB186_239
; %bb.236:                              ;   in Loop: Header=BB186_12 Depth=1
	v_and_b32_e32 v49, 7, v2
	v_lshrrev_b32_e32 v2, 3, v3
	s_mov_b32 s45, exec_lo
	v_cmpx_gt_u32_e32 8, v3
; %bb.237:                              ;   in Loop: Header=BB186_12 Depth=1
	v_ffbh_u32_e32 v2, v49
	v_min_u32_e32 v2, 32, v2
	v_subrev_nc_u32_e32 v3, 28, v2
	v_sub_nc_u32_e32 v2, 29, v2
	v_lshlrev_b64 v[3:4], v3, v[49:50]
	v_and_b32_e32 v49, 7, v3
; %bb.238:                              ;   in Loop: Header=BB186_12 Depth=1
	s_or_b32 exec_lo, exec_lo, s45
	v_lshlrev_b32_e32 v1, 16, v1
	v_lshlrev_b32_e32 v3, 20, v49
	v_lshl_add_u32 v2, v2, 23, 0x3c000000
	v_mov_b32_e32 v117, v50
	v_and_b32_e32 v1, 0x80000000, v1
	v_or3_b32 v118, v3, v1, v2
.LBB186_239:                            ;   in Loop: Header=BB186_12 Depth=1
	s_or_b32 exec_lo, exec_lo, s44
.LBB186_240:                            ;   in Loop: Header=BB186_12 Depth=1
	s_or_b32 exec_lo, exec_lo, s43
.LBB186_241:                            ;   in Loop: Header=BB186_12 Depth=1
	s_or_b32 exec_lo, exec_lo, s42
	global_load_ushort v2, v[69:70], off offset:776
	v_mov_b32_e32 v121, 0
	v_mov_b32_e32 v119, 0
	v_mov_b32_e32 v122, 0
	v_mov_b32_e32 v120, 0
	s_waitcnt vmcnt(0)
	v_and_b32_e32 v1, 0xffff, v2
	v_cmp_ne_u16_sdwa s3, v2, v50 src0_sel:BYTE_0 src1_sel:DWORD
	s_and_saveexec_b32 s42, s3
	s_cbranch_execz .LBB186_249
; %bb.242:                              ;   in Loop: Header=BB186_12 Depth=1
	v_bfrev_b32_e32 v119, 1
	v_mov_b32_e32 v120, 0
	v_cmp_ne_u16_sdwa s3, v1, v127 src0_sel:BYTE_0 src1_sel:DWORD
	s_and_saveexec_b32 s43, s3
	s_cbranch_execz .LBB186_248
; %bb.243:                              ;   in Loop: Header=BB186_12 Depth=1
	v_mov_b32_e32 v119, 0x7f800001
	v_and_b32_e32 v3, 0x7f, v1
	v_mov_b32_e32 v120, 0
	s_mov_b32 s44, exec_lo
	v_cmpx_ne_u32_e32 0x7f, v3
	s_cbranch_execz .LBB186_247
; %bb.244:                              ;   in Loop: Header=BB186_12 Depth=1
	v_and_b32_e32 v49, 7, v1
	v_lshrrev_b32_e32 v2, 3, v3
	s_mov_b32 s45, exec_lo
	v_cmpx_gt_u32_e32 8, v3
; %bb.245:                              ;   in Loop: Header=BB186_12 Depth=1
	v_ffbh_u32_e32 v2, v49
	v_min_u32_e32 v2, 32, v2
	v_subrev_nc_u32_e32 v3, 28, v2
	v_sub_nc_u32_e32 v2, 29, v2
	v_lshlrev_b64 v[3:4], v3, v[49:50]
	v_and_b32_e32 v49, 7, v3
; %bb.246:                              ;   in Loop: Header=BB186_12 Depth=1
	s_or_b32 exec_lo, exec_lo, s45
	v_lshlrev_b32_e32 v3, 24, v1
	v_lshlrev_b32_e32 v4, 20, v49
	v_lshl_add_u32 v2, v2, 23, 0x3c000000
	v_and_b32_e32 v3, 0x80000000, v3
	v_or3_b32 v49, v4, v3, v2
	v_mov_b32_e32 v120, v50
	v_mov_b32_e32 v119, v49
.LBB186_247:                            ;   in Loop: Header=BB186_12 Depth=1
	s_or_b32 exec_lo, exec_lo, s44
.LBB186_248:                            ;   in Loop: Header=BB186_12 Depth=1
	s_or_b32 exec_lo, exec_lo, s43
.LBB186_249:                            ;   in Loop: Header=BB186_12 Depth=1
	s_or_b32 exec_lo, exec_lo, s42
	v_cmp_ne_u16_sdwa s3, v1, v50 src0_sel:BYTE_1 src1_sel:DWORD
	s_and_saveexec_b32 s42, s3
	s_cbranch_execz .LBB186_257
; %bb.250:                              ;   in Loop: Header=BB186_12 Depth=1
	v_mov_b32_e32 v37, v50
	v_mov_b32_e32 v122, v38
	v_cmp_ne_u16_sdwa s3, v1, v127 src0_sel:BYTE_1 src1_sel:DWORD
	v_mov_b32_e32 v121, v37
	s_and_saveexec_b32 s43, s3
	s_cbranch_execz .LBB186_256
; %bb.251:                              ;   in Loop: Header=BB186_12 Depth=1
	v_mov_b32_e32 v2, 0xffff
	v_mov_b32_e32 v73, v50
	;; [unrolled: 1-line block ×3, first 2 shown]
	s_mov_b32 s44, exec_lo
	v_and_b32_sdwa v2, v2, v1 dst_sel:DWORD dst_unused:UNUSED_PAD src0_sel:DWORD src1_sel:BYTE_1
	v_mov_b32_e32 v121, v73
	v_and_b32_e32 v3, 0x7f, v2
	v_cmpx_ne_u32_e32 0x7f, v3
	s_cbranch_execz .LBB186_255
; %bb.252:                              ;   in Loop: Header=BB186_12 Depth=1
	v_and_b32_e32 v49, 7, v2
	v_lshrrev_b32_e32 v2, 3, v3
	s_mov_b32 s45, exec_lo
	v_cmpx_gt_u32_e32 8, v3
; %bb.253:                              ;   in Loop: Header=BB186_12 Depth=1
	v_ffbh_u32_e32 v2, v49
	v_min_u32_e32 v2, 32, v2
	v_subrev_nc_u32_e32 v3, 28, v2
	v_sub_nc_u32_e32 v2, 29, v2
	v_lshlrev_b64 v[3:4], v3, v[49:50]
	v_and_b32_e32 v49, 7, v3
; %bb.254:                              ;   in Loop: Header=BB186_12 Depth=1
	s_or_b32 exec_lo, exec_lo, s45
	v_lshlrev_b32_e32 v1, 16, v1
	v_lshlrev_b32_e32 v3, 20, v49
	v_lshl_add_u32 v2, v2, 23, 0x3c000000
	v_mov_b32_e32 v121, v50
	v_and_b32_e32 v1, 0x80000000, v1
	v_or3_b32 v122, v3, v1, v2
.LBB186_255:                            ;   in Loop: Header=BB186_12 Depth=1
	s_or_b32 exec_lo, exec_lo, s44
.LBB186_256:                            ;   in Loop: Header=BB186_12 Depth=1
	s_or_b32 exec_lo, exec_lo, s43
.LBB186_257:                            ;   in Loop: Header=BB186_12 Depth=1
	s_or_b32 exec_lo, exec_lo, s42
	global_load_ushort v2, v[69:70], off offset:780
	v_mov_b32_e32 v125, 0
	v_mov_b32_e32 v123, 0
	;; [unrolled: 1-line block ×4, first 2 shown]
	s_waitcnt vmcnt(0)
	v_and_b32_e32 v1, 0xffff, v2
	v_cmp_ne_u16_sdwa s3, v2, v50 src0_sel:BYTE_0 src1_sel:DWORD
	s_and_saveexec_b32 s42, s3
	s_cbranch_execz .LBB186_265
; %bb.258:                              ;   in Loop: Header=BB186_12 Depth=1
	v_bfrev_b32_e32 v123, 1
	v_mov_b32_e32 v124, 0
	v_cmp_ne_u16_sdwa s3, v1, v127 src0_sel:BYTE_0 src1_sel:DWORD
	s_and_saveexec_b32 s43, s3
	s_cbranch_execz .LBB186_264
; %bb.259:                              ;   in Loop: Header=BB186_12 Depth=1
	v_mov_b32_e32 v123, 0x7f800001
	v_and_b32_e32 v3, 0x7f, v1
	v_mov_b32_e32 v124, 0
	s_mov_b32 s44, exec_lo
	v_cmpx_ne_u32_e32 0x7f, v3
	s_cbranch_execz .LBB186_263
; %bb.260:                              ;   in Loop: Header=BB186_12 Depth=1
	v_and_b32_e32 v49, 7, v1
	v_lshrrev_b32_e32 v2, 3, v3
	s_mov_b32 s45, exec_lo
	v_cmpx_gt_u32_e32 8, v3
; %bb.261:                              ;   in Loop: Header=BB186_12 Depth=1
	v_ffbh_u32_e32 v2, v49
	v_min_u32_e32 v2, 32, v2
	v_subrev_nc_u32_e32 v3, 28, v2
	v_sub_nc_u32_e32 v2, 29, v2
	v_lshlrev_b64 v[3:4], v3, v[49:50]
	v_and_b32_e32 v49, 7, v3
; %bb.262:                              ;   in Loop: Header=BB186_12 Depth=1
	s_or_b32 exec_lo, exec_lo, s45
	v_lshlrev_b32_e32 v3, 24, v1
	v_lshlrev_b32_e32 v4, 20, v49
	v_lshl_add_u32 v2, v2, 23, 0x3c000000
	v_and_b32_e32 v3, 0x80000000, v3
	v_or3_b32 v49, v4, v3, v2
	v_mov_b32_e32 v124, v50
	v_mov_b32_e32 v123, v49
.LBB186_263:                            ;   in Loop: Header=BB186_12 Depth=1
	s_or_b32 exec_lo, exec_lo, s44
.LBB186_264:                            ;   in Loop: Header=BB186_12 Depth=1
	s_or_b32 exec_lo, exec_lo, s43
.LBB186_265:                            ;   in Loop: Header=BB186_12 Depth=1
	s_or_b32 exec_lo, exec_lo, s42
	v_cmp_ne_u16_sdwa s3, v1, v50 src0_sel:BYTE_1 src1_sel:DWORD
	s_and_saveexec_b32 s42, s3
	s_cbranch_execz .LBB186_273
; %bb.266:                              ;   in Loop: Header=BB186_12 Depth=1
	v_mov_b32_e32 v37, v50
	v_mov_b32_e32 v126, v38
	v_cmp_ne_u16_sdwa s3, v1, v127 src0_sel:BYTE_1 src1_sel:DWORD
	v_mov_b32_e32 v125, v37
	s_and_saveexec_b32 s43, s3
	s_cbranch_execz .LBB186_272
; %bb.267:                              ;   in Loop: Header=BB186_12 Depth=1
	v_mov_b32_e32 v2, 0xffff
	v_mov_b32_e32 v73, v50
	;; [unrolled: 1-line block ×3, first 2 shown]
	s_mov_b32 s44, exec_lo
	v_and_b32_sdwa v2, v2, v1 dst_sel:DWORD dst_unused:UNUSED_PAD src0_sel:DWORD src1_sel:BYTE_1
	v_mov_b32_e32 v125, v73
	v_and_b32_e32 v3, 0x7f, v2
	v_cmpx_ne_u32_e32 0x7f, v3
	s_cbranch_execz .LBB186_271
; %bb.268:                              ;   in Loop: Header=BB186_12 Depth=1
	v_and_b32_e32 v49, 7, v2
	v_lshrrev_b32_e32 v2, 3, v3
	s_mov_b32 s45, exec_lo
	v_cmpx_gt_u32_e32 8, v3
; %bb.269:                              ;   in Loop: Header=BB186_12 Depth=1
	v_ffbh_u32_e32 v2, v49
	v_min_u32_e32 v2, 32, v2
	v_subrev_nc_u32_e32 v3, 28, v2
	v_sub_nc_u32_e32 v2, 29, v2
	v_lshlrev_b64 v[3:4], v3, v[49:50]
	v_and_b32_e32 v49, 7, v3
; %bb.270:                              ;   in Loop: Header=BB186_12 Depth=1
	s_or_b32 exec_lo, exec_lo, s45
	v_lshlrev_b32_e32 v1, 16, v1
	v_lshlrev_b32_e32 v3, 20, v49
	v_lshl_add_u32 v2, v2, 23, 0x3c000000
	v_mov_b32_e32 v125, v50
	v_and_b32_e32 v1, 0x80000000, v1
	v_or3_b32 v126, v3, v1, v2
.LBB186_271:                            ;   in Loop: Header=BB186_12 Depth=1
	s_or_b32 exec_lo, exec_lo, s44
.LBB186_272:                            ;   in Loop: Header=BB186_12 Depth=1
	s_or_b32 exec_lo, exec_lo, s43
.LBB186_273:                            ;   in Loop: Header=BB186_12 Depth=1
	s_or_b32 exec_lo, exec_lo, s42
	global_load_ushort v2, v[69:70], off offset:1024
	v_mov_b32_e32 v59, 0
	v_mov_b32_e32 v57, 0
	;; [unrolled: 1-line block ×4, first 2 shown]
	s_waitcnt vmcnt(0)
	v_and_b32_e32 v1, 0xffff, v2
	v_cmp_ne_u16_sdwa s3, v2, v50 src0_sel:BYTE_0 src1_sel:DWORD
	s_and_saveexec_b32 s42, s3
	s_cbranch_execz .LBB186_281
; %bb.274:                              ;   in Loop: Header=BB186_12 Depth=1
	v_bfrev_b32_e32 v57, 1
	v_mov_b32_e32 v58, 0
	v_cmp_ne_u16_sdwa s3, v1, v127 src0_sel:BYTE_0 src1_sel:DWORD
	s_and_saveexec_b32 s43, s3
	s_cbranch_execz .LBB186_280
; %bb.275:                              ;   in Loop: Header=BB186_12 Depth=1
	v_mov_b32_e32 v57, 0x7f800001
	v_and_b32_e32 v3, 0x7f, v1
	v_mov_b32_e32 v58, 0
	s_mov_b32 s44, exec_lo
	v_cmpx_ne_u32_e32 0x7f, v3
	s_cbranch_execz .LBB186_279
; %bb.276:                              ;   in Loop: Header=BB186_12 Depth=1
	v_and_b32_e32 v49, 7, v1
	v_lshrrev_b32_e32 v2, 3, v3
	s_mov_b32 s45, exec_lo
	v_cmpx_gt_u32_e32 8, v3
; %bb.277:                              ;   in Loop: Header=BB186_12 Depth=1
	v_ffbh_u32_e32 v2, v49
	v_min_u32_e32 v2, 32, v2
	v_subrev_nc_u32_e32 v3, 28, v2
	v_sub_nc_u32_e32 v2, 29, v2
	v_lshlrev_b64 v[3:4], v3, v[49:50]
	v_and_b32_e32 v49, 7, v3
; %bb.278:                              ;   in Loop: Header=BB186_12 Depth=1
	s_or_b32 exec_lo, exec_lo, s45
	v_lshlrev_b32_e32 v3, 24, v1
	v_lshlrev_b32_e32 v4, 20, v49
	v_lshl_add_u32 v2, v2, 23, 0x3c000000
	v_and_b32_e32 v3, 0x80000000, v3
	v_or3_b32 v49, v4, v3, v2
	v_mov_b32_e32 v58, v50
	v_mov_b32_e32 v57, v49
.LBB186_279:                            ;   in Loop: Header=BB186_12 Depth=1
	s_or_b32 exec_lo, exec_lo, s44
.LBB186_280:                            ;   in Loop: Header=BB186_12 Depth=1
	s_or_b32 exec_lo, exec_lo, s43
.LBB186_281:                            ;   in Loop: Header=BB186_12 Depth=1
	s_or_b32 exec_lo, exec_lo, s42
	v_cmp_ne_u16_sdwa s3, v1, v50 src0_sel:BYTE_1 src1_sel:DWORD
	s_and_saveexec_b32 s42, s3
	s_cbranch_execz .LBB186_289
; %bb.282:                              ;   in Loop: Header=BB186_12 Depth=1
	v_mov_b32_e32 v37, v50
	v_mov_b32_e32 v60, v38
	v_cmp_ne_u16_sdwa s3, v1, v127 src0_sel:BYTE_1 src1_sel:DWORD
	v_mov_b32_e32 v59, v37
	s_and_saveexec_b32 s43, s3
	s_cbranch_execz .LBB186_288
; %bb.283:                              ;   in Loop: Header=BB186_12 Depth=1
	v_mov_b32_e32 v2, 0xffff
	v_mov_b32_e32 v73, v50
	s_mov_b32 s44, exec_lo
	v_and_b32_sdwa v2, v2, v1 dst_sel:DWORD dst_unused:UNUSED_PAD src0_sel:DWORD src1_sel:BYTE_1
	v_mov_b32_e32 v59, v73
	v_mov_b32_e32 v60, v74
	v_and_b32_e32 v3, 0x7f, v2
	v_cmpx_ne_u32_e32 0x7f, v3
	s_cbranch_execz .LBB186_287
; %bb.284:                              ;   in Loop: Header=BB186_12 Depth=1
	v_and_b32_e32 v49, 7, v2
	v_lshrrev_b32_e32 v2, 3, v3
	s_mov_b32 s45, exec_lo
	v_cmpx_gt_u32_e32 8, v3
; %bb.285:                              ;   in Loop: Header=BB186_12 Depth=1
	v_ffbh_u32_e32 v2, v49
	v_min_u32_e32 v2, 32, v2
	v_subrev_nc_u32_e32 v3, 28, v2
	v_sub_nc_u32_e32 v2, 29, v2
	v_lshlrev_b64 v[3:4], v3, v[49:50]
	v_and_b32_e32 v49, 7, v3
; %bb.286:                              ;   in Loop: Header=BB186_12 Depth=1
	s_or_b32 exec_lo, exec_lo, s45
	v_lshlrev_b32_e32 v1, 16, v1
	v_lshlrev_b32_e32 v3, 20, v49
	v_lshl_add_u32 v2, v2, 23, 0x3c000000
	v_mov_b32_e32 v59, v50
	v_and_b32_e32 v1, 0x80000000, v1
	v_or3_b32 v60, v3, v1, v2
.LBB186_287:                            ;   in Loop: Header=BB186_12 Depth=1
	s_or_b32 exec_lo, exec_lo, s44
.LBB186_288:                            ;   in Loop: Header=BB186_12 Depth=1
	s_or_b32 exec_lo, exec_lo, s43
.LBB186_289:                            ;   in Loop: Header=BB186_12 Depth=1
	s_or_b32 exec_lo, exec_lo, s42
	global_load_ushort v2, v[69:70], off offset:1028
	v_mov_b32_e32 v65, 0
	v_mov_b32_e32 v61, 0
	;; [unrolled: 1-line block ×4, first 2 shown]
	s_waitcnt vmcnt(0)
	v_and_b32_e32 v1, 0xffff, v2
	v_cmp_ne_u16_sdwa s3, v2, v50 src0_sel:BYTE_0 src1_sel:DWORD
	s_and_saveexec_b32 s42, s3
	s_cbranch_execz .LBB186_297
; %bb.290:                              ;   in Loop: Header=BB186_12 Depth=1
	v_bfrev_b32_e32 v61, 1
	v_mov_b32_e32 v62, 0
	v_cmp_ne_u16_sdwa s3, v1, v127 src0_sel:BYTE_0 src1_sel:DWORD
	s_and_saveexec_b32 s43, s3
	s_cbranch_execz .LBB186_296
; %bb.291:                              ;   in Loop: Header=BB186_12 Depth=1
	v_mov_b32_e32 v61, 0x7f800001
	v_and_b32_e32 v3, 0x7f, v1
	v_mov_b32_e32 v62, 0
	s_mov_b32 s44, exec_lo
	v_cmpx_ne_u32_e32 0x7f, v3
	s_cbranch_execz .LBB186_295
; %bb.292:                              ;   in Loop: Header=BB186_12 Depth=1
	v_and_b32_e32 v49, 7, v1
	v_lshrrev_b32_e32 v2, 3, v3
	s_mov_b32 s45, exec_lo
	v_cmpx_gt_u32_e32 8, v3
; %bb.293:                              ;   in Loop: Header=BB186_12 Depth=1
	v_ffbh_u32_e32 v2, v49
	v_min_u32_e32 v2, 32, v2
	v_subrev_nc_u32_e32 v3, 28, v2
	v_sub_nc_u32_e32 v2, 29, v2
	v_lshlrev_b64 v[3:4], v3, v[49:50]
	v_and_b32_e32 v49, 7, v3
; %bb.294:                              ;   in Loop: Header=BB186_12 Depth=1
	s_or_b32 exec_lo, exec_lo, s45
	v_lshlrev_b32_e32 v3, 24, v1
	v_lshlrev_b32_e32 v4, 20, v49
	v_lshl_add_u32 v2, v2, 23, 0x3c000000
	v_and_b32_e32 v3, 0x80000000, v3
	v_or3_b32 v49, v4, v3, v2
	v_mov_b32_e32 v62, v50
	v_mov_b32_e32 v61, v49
.LBB186_295:                            ;   in Loop: Header=BB186_12 Depth=1
	s_or_b32 exec_lo, exec_lo, s44
.LBB186_296:                            ;   in Loop: Header=BB186_12 Depth=1
	s_or_b32 exec_lo, exec_lo, s43
.LBB186_297:                            ;   in Loop: Header=BB186_12 Depth=1
	s_or_b32 exec_lo, exec_lo, s42
	v_cmp_ne_u16_sdwa s3, v1, v50 src0_sel:BYTE_1 src1_sel:DWORD
	s_and_saveexec_b32 s42, s3
	s_cbranch_execz .LBB186_305
; %bb.298:                              ;   in Loop: Header=BB186_12 Depth=1
	v_mov_b32_e32 v37, v50
	v_mov_b32_e32 v66, v38
	v_cmp_ne_u16_sdwa s3, v1, v127 src0_sel:BYTE_1 src1_sel:DWORD
	v_mov_b32_e32 v65, v37
	s_and_saveexec_b32 s43, s3
	s_cbranch_execz .LBB186_304
; %bb.299:                              ;   in Loop: Header=BB186_12 Depth=1
	v_mov_b32_e32 v2, 0xffff
	v_mov_b32_e32 v73, v50
	s_mov_b32 s44, exec_lo
	v_and_b32_sdwa v2, v2, v1 dst_sel:DWORD dst_unused:UNUSED_PAD src0_sel:DWORD src1_sel:BYTE_1
	v_mov_b32_e32 v65, v73
	v_mov_b32_e32 v66, v74
	v_and_b32_e32 v3, 0x7f, v2
	v_cmpx_ne_u32_e32 0x7f, v3
	s_cbranch_execz .LBB186_303
; %bb.300:                              ;   in Loop: Header=BB186_12 Depth=1
	v_and_b32_e32 v49, 7, v2
	v_lshrrev_b32_e32 v2, 3, v3
	s_mov_b32 s45, exec_lo
	v_cmpx_gt_u32_e32 8, v3
; %bb.301:                              ;   in Loop: Header=BB186_12 Depth=1
	v_ffbh_u32_e32 v2, v49
	v_min_u32_e32 v2, 32, v2
	v_subrev_nc_u32_e32 v3, 28, v2
	v_sub_nc_u32_e32 v2, 29, v2
	v_lshlrev_b64 v[3:4], v3, v[49:50]
	v_and_b32_e32 v49, 7, v3
; %bb.302:                              ;   in Loop: Header=BB186_12 Depth=1
	s_or_b32 exec_lo, exec_lo, s45
	v_lshlrev_b32_e32 v1, 16, v1
	v_lshlrev_b32_e32 v3, 20, v49
	v_lshl_add_u32 v2, v2, 23, 0x3c000000
	v_mov_b32_e32 v65, v50
	v_and_b32_e32 v1, 0x80000000, v1
	v_or3_b32 v66, v3, v1, v2
.LBB186_303:                            ;   in Loop: Header=BB186_12 Depth=1
	s_or_b32 exec_lo, exec_lo, s44
.LBB186_304:                            ;   in Loop: Header=BB186_12 Depth=1
	s_or_b32 exec_lo, exec_lo, s43
.LBB186_305:                            ;   in Loop: Header=BB186_12 Depth=1
	s_or_b32 exec_lo, exec_lo, s42
	global_load_ushort v2, v[69:70], off offset:1032
	v_mov_b32_e32 v67, 0
	v_mov_b32_e32 v63, 0
	;; [unrolled: 1-line block ×4, first 2 shown]
	s_waitcnt vmcnt(0)
	v_and_b32_e32 v1, 0xffff, v2
	v_cmp_ne_u16_sdwa s3, v2, v50 src0_sel:BYTE_0 src1_sel:DWORD
	s_and_saveexec_b32 s42, s3
	s_cbranch_execz .LBB186_313
; %bb.306:                              ;   in Loop: Header=BB186_12 Depth=1
	v_bfrev_b32_e32 v63, 1
	v_mov_b32_e32 v64, 0
	v_cmp_ne_u16_sdwa s3, v1, v127 src0_sel:BYTE_0 src1_sel:DWORD
	s_and_saveexec_b32 s43, s3
	s_cbranch_execz .LBB186_312
; %bb.307:                              ;   in Loop: Header=BB186_12 Depth=1
	v_mov_b32_e32 v63, 0x7f800001
	v_and_b32_e32 v3, 0x7f, v1
	v_mov_b32_e32 v64, 0
	s_mov_b32 s44, exec_lo
	v_cmpx_ne_u32_e32 0x7f, v3
	s_cbranch_execz .LBB186_311
; %bb.308:                              ;   in Loop: Header=BB186_12 Depth=1
	v_and_b32_e32 v49, 7, v1
	v_lshrrev_b32_e32 v2, 3, v3
	s_mov_b32 s45, exec_lo
	v_cmpx_gt_u32_e32 8, v3
; %bb.309:                              ;   in Loop: Header=BB186_12 Depth=1
	v_ffbh_u32_e32 v2, v49
	v_min_u32_e32 v2, 32, v2
	v_subrev_nc_u32_e32 v3, 28, v2
	v_sub_nc_u32_e32 v2, 29, v2
	v_lshlrev_b64 v[3:4], v3, v[49:50]
	v_and_b32_e32 v49, 7, v3
; %bb.310:                              ;   in Loop: Header=BB186_12 Depth=1
	s_or_b32 exec_lo, exec_lo, s45
	v_lshlrev_b32_e32 v3, 24, v1
	v_lshlrev_b32_e32 v4, 20, v49
	v_lshl_add_u32 v2, v2, 23, 0x3c000000
	v_and_b32_e32 v3, 0x80000000, v3
	v_or3_b32 v49, v4, v3, v2
	v_mov_b32_e32 v64, v50
	v_mov_b32_e32 v63, v49
.LBB186_311:                            ;   in Loop: Header=BB186_12 Depth=1
	s_or_b32 exec_lo, exec_lo, s44
.LBB186_312:                            ;   in Loop: Header=BB186_12 Depth=1
	s_or_b32 exec_lo, exec_lo, s43
.LBB186_313:                            ;   in Loop: Header=BB186_12 Depth=1
	s_or_b32 exec_lo, exec_lo, s42
	v_cmp_ne_u16_sdwa s3, v1, v50 src0_sel:BYTE_1 src1_sel:DWORD
	s_and_saveexec_b32 s42, s3
	s_cbranch_execz .LBB186_321
; %bb.314:                              ;   in Loop: Header=BB186_12 Depth=1
	v_mov_b32_e32 v37, v50
	v_mov_b32_e32 v68, v38
	v_cmp_ne_u16_sdwa s3, v1, v127 src0_sel:BYTE_1 src1_sel:DWORD
	v_mov_b32_e32 v67, v37
	s_and_saveexec_b32 s43, s3
	s_cbranch_execz .LBB186_320
; %bb.315:                              ;   in Loop: Header=BB186_12 Depth=1
	v_mov_b32_e32 v2, 0xffff
	v_mov_b32_e32 v73, v50
	s_mov_b32 s44, exec_lo
	v_and_b32_sdwa v2, v2, v1 dst_sel:DWORD dst_unused:UNUSED_PAD src0_sel:DWORD src1_sel:BYTE_1
	v_mov_b32_e32 v67, v73
	v_mov_b32_e32 v68, v74
	v_and_b32_e32 v3, 0x7f, v2
	v_cmpx_ne_u32_e32 0x7f, v3
	s_cbranch_execz .LBB186_319
; %bb.316:                              ;   in Loop: Header=BB186_12 Depth=1
	v_and_b32_e32 v49, 7, v2
	v_lshrrev_b32_e32 v2, 3, v3
	s_mov_b32 s45, exec_lo
	v_cmpx_gt_u32_e32 8, v3
; %bb.317:                              ;   in Loop: Header=BB186_12 Depth=1
	v_ffbh_u32_e32 v2, v49
	v_min_u32_e32 v2, 32, v2
	v_subrev_nc_u32_e32 v3, 28, v2
	v_sub_nc_u32_e32 v2, 29, v2
	v_lshlrev_b64 v[3:4], v3, v[49:50]
	v_and_b32_e32 v49, 7, v3
; %bb.318:                              ;   in Loop: Header=BB186_12 Depth=1
	s_or_b32 exec_lo, exec_lo, s45
	v_lshlrev_b32_e32 v1, 16, v1
	v_lshlrev_b32_e32 v3, 20, v49
	v_lshl_add_u32 v2, v2, 23, 0x3c000000
	v_mov_b32_e32 v67, v50
	v_and_b32_e32 v1, 0x80000000, v1
	v_or3_b32 v68, v3, v1, v2
.LBB186_319:                            ;   in Loop: Header=BB186_12 Depth=1
	s_or_b32 exec_lo, exec_lo, s44
.LBB186_320:                            ;   in Loop: Header=BB186_12 Depth=1
	s_or_b32 exec_lo, exec_lo, s43
.LBB186_321:                            ;   in Loop: Header=BB186_12 Depth=1
	s_or_b32 exec_lo, exec_lo, s42
	global_load_ushort v1, v[69:70], off offset:1036
	v_mov_b32_e32 v71, 0
	v_mov_b32_e32 v72, 0
	s_waitcnt vmcnt(0)
	v_and_b32_e32 v3, 0xffff, v1
	v_cmp_ne_u16_sdwa s3, v1, v50 src0_sel:BYTE_0 src1_sel:DWORD
	v_mov_b32_e32 v1, 0
	v_mov_b32_e32 v2, 0
	s_and_saveexec_b32 s42, s3
	s_cbranch_execz .LBB186_329
; %bb.322:                              ;   in Loop: Header=BB186_12 Depth=1
	v_bfrev_b32_e32 v71, 1
	v_mov_b32_e32 v72, 0
	v_cmp_ne_u16_sdwa s3, v3, v127 src0_sel:BYTE_0 src1_sel:DWORD
	s_and_saveexec_b32 s43, s3
	s_cbranch_execz .LBB186_328
; %bb.323:                              ;   in Loop: Header=BB186_12 Depth=1
	v_mov_b32_e32 v71, 0x7f800001
	v_and_b32_e32 v5, 0x7f, v3
	v_mov_b32_e32 v72, 0
	s_mov_b32 s44, exec_lo
	v_cmpx_ne_u32_e32 0x7f, v5
	s_cbranch_execz .LBB186_327
; %bb.324:                              ;   in Loop: Header=BB186_12 Depth=1
	v_and_b32_e32 v49, 7, v3
	v_lshrrev_b32_e32 v4, 3, v5
	s_mov_b32 s45, exec_lo
	v_cmpx_gt_u32_e32 8, v5
; %bb.325:                              ;   in Loop: Header=BB186_12 Depth=1
	v_ffbh_u32_e32 v4, v49
	v_min_u32_e32 v4, 32, v4
	v_subrev_nc_u32_e32 v5, 28, v4
	v_sub_nc_u32_e32 v4, 29, v4
	v_lshlrev_b64 v[5:6], v5, v[49:50]
	v_and_b32_e32 v49, 7, v5
; %bb.326:                              ;   in Loop: Header=BB186_12 Depth=1
	s_or_b32 exec_lo, exec_lo, s45
	v_lshlrev_b32_e32 v5, 24, v3
	v_lshlrev_b32_e32 v6, 20, v49
	v_lshl_add_u32 v4, v4, 23, 0x3c000000
	v_and_b32_e32 v5, 0x80000000, v5
	v_or3_b32 v49, v6, v5, v4
	v_mov_b32_e32 v72, v50
	v_mov_b32_e32 v71, v49
.LBB186_327:                            ;   in Loop: Header=BB186_12 Depth=1
	s_or_b32 exec_lo, exec_lo, s44
.LBB186_328:                            ;   in Loop: Header=BB186_12 Depth=1
	s_or_b32 exec_lo, exec_lo, s43
.LBB186_329:                            ;   in Loop: Header=BB186_12 Depth=1
	s_or_b32 exec_lo, exec_lo, s42
	v_cmp_ne_u16_sdwa s3, v3, v50 src0_sel:BYTE_1 src1_sel:DWORD
	s_and_saveexec_b32 s42, s3
	s_cbranch_execz .LBB186_337
; %bb.330:                              ;   in Loop: Header=BB186_12 Depth=1
	v_mov_b32_e32 v37, v50
	v_cmp_ne_u16_sdwa s3, v3, v127 src0_sel:BYTE_1 src1_sel:DWORD
	v_mov_b32_e32 v1, v37
	v_mov_b32_e32 v2, v38
	s_and_saveexec_b32 s43, s3
	s_cbranch_execz .LBB186_336
; %bb.331:                              ;   in Loop: Header=BB186_12 Depth=1
	v_mov_b32_e32 v1, 0xffff
	v_mov_b32_e32 v73, v50
	s_mov_b32 s44, exec_lo
	v_and_b32_sdwa v5, v1, v3 dst_sel:DWORD dst_unused:UNUSED_PAD src0_sel:DWORD src1_sel:BYTE_1
	v_mov_b32_e32 v1, v73
	v_mov_b32_e32 v2, v74
	v_and_b32_e32 v4, 0x7f, v5
	v_cmpx_ne_u32_e32 0x7f, v4
	s_cbranch_execz .LBB186_335
; %bb.332:                              ;   in Loop: Header=BB186_12 Depth=1
	v_and_b32_e32 v49, 7, v5
	v_lshrrev_b32_e32 v1, 3, v4
	s_mov_b32 s45, exec_lo
	v_cmpx_gt_u32_e32 8, v4
; %bb.333:                              ;   in Loop: Header=BB186_12 Depth=1
	v_ffbh_u32_e32 v1, v49
	v_min_u32_e32 v1, 32, v1
	v_subrev_nc_u32_e32 v2, 28, v1
	v_sub_nc_u32_e32 v1, 29, v1
	v_lshlrev_b64 v[4:5], v2, v[49:50]
	v_and_b32_e32 v49, 7, v4
; %bb.334:                              ;   in Loop: Header=BB186_12 Depth=1
	s_or_b32 exec_lo, exec_lo, s45
	v_lshlrev_b32_e32 v2, 16, v3
	v_lshlrev_b32_e32 v3, 20, v49
	v_lshl_add_u32 v1, v1, 23, 0x3c000000
	v_and_b32_e32 v2, 0x80000000, v2
	v_or3_b32 v2, v3, v2, v1
	v_mov_b32_e32 v1, v50
.LBB186_335:                            ;   in Loop: Header=BB186_12 Depth=1
	s_or_b32 exec_lo, exec_lo, s44
.LBB186_336:                            ;   in Loop: Header=BB186_12 Depth=1
	s_or_b32 exec_lo, exec_lo, s43
.LBB186_337:                            ;   in Loop: Header=BB186_12 Depth=1
	s_or_b32 exec_lo, exec_lo, s42
	global_load_ushort v3, v[69:70], off offset:1280
	v_mov_b32_e32 v5, 0
	v_mov_b32_e32 v6, 0
	s_waitcnt vmcnt(0)
	v_and_b32_e32 v7, 0xffff, v3
	v_cmp_ne_u16_sdwa s3, v3, v50 src0_sel:BYTE_0 src1_sel:DWORD
	v_mov_b32_e32 v3, 0
	v_mov_b32_e32 v4, 0
	s_and_saveexec_b32 s42, s3
	s_cbranch_execz .LBB186_345
; %bb.338:                              ;   in Loop: Header=BB186_12 Depth=1
	v_bfrev_b32_e32 v3, 1
	v_mov_b32_e32 v4, 0
	v_cmp_ne_u16_sdwa s3, v7, v127 src0_sel:BYTE_0 src1_sel:DWORD
	s_and_saveexec_b32 s43, s3
	s_cbranch_execz .LBB186_344
; %bb.339:                              ;   in Loop: Header=BB186_12 Depth=1
	v_mov_b32_e32 v3, 0x7f800001
	v_and_b32_e32 v8, 0x7f, v7
	v_mov_b32_e32 v4, 0
	s_mov_b32 s44, exec_lo
	v_cmpx_ne_u32_e32 0x7f, v8
	s_cbranch_execz .LBB186_343
; %bb.340:                              ;   in Loop: Header=BB186_12 Depth=1
	v_and_b32_e32 v49, 7, v7
	v_lshrrev_b32_e32 v3, 3, v8
	s_mov_b32 s45, exec_lo
	v_cmpx_gt_u32_e32 8, v8
; %bb.341:                              ;   in Loop: Header=BB186_12 Depth=1
	v_ffbh_u32_e32 v3, v49
	v_min_u32_e32 v3, 32, v3
	v_subrev_nc_u32_e32 v4, 28, v3
	v_sub_nc_u32_e32 v3, 29, v3
	v_lshlrev_b64 v[8:9], v4, v[49:50]
	v_and_b32_e32 v49, 7, v8
; %bb.342:                              ;   in Loop: Header=BB186_12 Depth=1
	s_or_b32 exec_lo, exec_lo, s45
	v_lshlrev_b32_e32 v4, 24, v7
	v_lshlrev_b32_e32 v8, 20, v49
	v_lshl_add_u32 v3, v3, 23, 0x3c000000
	v_and_b32_e32 v4, 0x80000000, v4
	v_or3_b32 v49, v8, v4, v3
	v_mov_b32_e32 v3, v49
	v_mov_b32_e32 v4, v50
.LBB186_343:                            ;   in Loop: Header=BB186_12 Depth=1
	s_or_b32 exec_lo, exec_lo, s44
.LBB186_344:                            ;   in Loop: Header=BB186_12 Depth=1
	s_or_b32 exec_lo, exec_lo, s43
.LBB186_345:                            ;   in Loop: Header=BB186_12 Depth=1
	s_or_b32 exec_lo, exec_lo, s42
	v_cmp_ne_u16_sdwa s3, v7, v50 src0_sel:BYTE_1 src1_sel:DWORD
	s_and_saveexec_b32 s42, s3
	s_cbranch_execz .LBB186_353
; %bb.346:                              ;   in Loop: Header=BB186_12 Depth=1
	v_mov_b32_e32 v37, v50
	v_cmp_ne_u16_sdwa s3, v7, v127 src0_sel:BYTE_1 src1_sel:DWORD
	v_mov_b32_e32 v5, v37
	v_mov_b32_e32 v6, v38
	s_and_saveexec_b32 s43, s3
	s_cbranch_execz .LBB186_352
; %bb.347:                              ;   in Loop: Header=BB186_12 Depth=1
	v_mov_b32_e32 v5, 0xffff
	v_mov_b32_e32 v73, v50
	s_mov_b32 s44, exec_lo
	v_and_b32_sdwa v9, v5, v7 dst_sel:DWORD dst_unused:UNUSED_PAD src0_sel:DWORD src1_sel:BYTE_1
	v_mov_b32_e32 v5, v73
	v_mov_b32_e32 v6, v74
	v_and_b32_e32 v8, 0x7f, v9
	v_cmpx_ne_u32_e32 0x7f, v8
	s_cbranch_execz .LBB186_351
; %bb.348:                              ;   in Loop: Header=BB186_12 Depth=1
	v_and_b32_e32 v49, 7, v9
	v_lshrrev_b32_e32 v5, 3, v8
	s_mov_b32 s45, exec_lo
	v_cmpx_gt_u32_e32 8, v8
; %bb.349:                              ;   in Loop: Header=BB186_12 Depth=1
	v_ffbh_u32_e32 v5, v49
	v_min_u32_e32 v5, 32, v5
	v_subrev_nc_u32_e32 v6, 28, v5
	v_sub_nc_u32_e32 v5, 29, v5
	v_lshlrev_b64 v[8:9], v6, v[49:50]
	v_and_b32_e32 v49, 7, v8
; %bb.350:                              ;   in Loop: Header=BB186_12 Depth=1
	s_or_b32 exec_lo, exec_lo, s45
	v_lshlrev_b32_e32 v6, 16, v7
	v_lshlrev_b32_e32 v7, 20, v49
	v_lshl_add_u32 v5, v5, 23, 0x3c000000
	v_and_b32_e32 v6, 0x80000000, v6
	v_or3_b32 v6, v7, v6, v5
	v_mov_b32_e32 v5, v50
.LBB186_351:                            ;   in Loop: Header=BB186_12 Depth=1
	s_or_b32 exec_lo, exec_lo, s44
.LBB186_352:                            ;   in Loop: Header=BB186_12 Depth=1
	s_or_b32 exec_lo, exec_lo, s43
.LBB186_353:                            ;   in Loop: Header=BB186_12 Depth=1
	s_or_b32 exec_lo, exec_lo, s42
	global_load_ushort v7, v[69:70], off offset:1284
	v_mov_b32_e32 v9, 0
	v_mov_b32_e32 v10, 0
	s_waitcnt vmcnt(0)
	v_and_b32_e32 v11, 0xffff, v7
	v_cmp_ne_u16_sdwa s3, v7, v50 src0_sel:BYTE_0 src1_sel:DWORD
	v_mov_b32_e32 v7, 0
	v_mov_b32_e32 v8, 0
	s_and_saveexec_b32 s42, s3
	s_cbranch_execz .LBB186_361
; %bb.354:                              ;   in Loop: Header=BB186_12 Depth=1
	v_bfrev_b32_e32 v7, 1
	v_mov_b32_e32 v8, 0
	v_cmp_ne_u16_sdwa s3, v11, v127 src0_sel:BYTE_0 src1_sel:DWORD
	s_and_saveexec_b32 s43, s3
	s_cbranch_execz .LBB186_360
; %bb.355:                              ;   in Loop: Header=BB186_12 Depth=1
	v_mov_b32_e32 v7, 0x7f800001
	v_and_b32_e32 v12, 0x7f, v11
	v_mov_b32_e32 v8, 0
	s_mov_b32 s44, exec_lo
	v_cmpx_ne_u32_e32 0x7f, v12
	s_cbranch_execz .LBB186_359
; %bb.356:                              ;   in Loop: Header=BB186_12 Depth=1
	v_and_b32_e32 v49, 7, v11
	v_lshrrev_b32_e32 v7, 3, v12
	s_mov_b32 s45, exec_lo
	v_cmpx_gt_u32_e32 8, v12
; %bb.357:                              ;   in Loop: Header=BB186_12 Depth=1
	v_ffbh_u32_e32 v7, v49
	v_min_u32_e32 v7, 32, v7
	v_subrev_nc_u32_e32 v8, 28, v7
	v_sub_nc_u32_e32 v7, 29, v7
	v_lshlrev_b64 v[12:13], v8, v[49:50]
	v_and_b32_e32 v49, 7, v12
; %bb.358:                              ;   in Loop: Header=BB186_12 Depth=1
	s_or_b32 exec_lo, exec_lo, s45
	v_lshlrev_b32_e32 v8, 24, v11
	v_lshlrev_b32_e32 v12, 20, v49
	v_lshl_add_u32 v7, v7, 23, 0x3c000000
	v_and_b32_e32 v8, 0x80000000, v8
	v_or3_b32 v49, v12, v8, v7
	v_mov_b32_e32 v7, v49
	v_mov_b32_e32 v8, v50
.LBB186_359:                            ;   in Loop: Header=BB186_12 Depth=1
	s_or_b32 exec_lo, exec_lo, s44
.LBB186_360:                            ;   in Loop: Header=BB186_12 Depth=1
	s_or_b32 exec_lo, exec_lo, s43
.LBB186_361:                            ;   in Loop: Header=BB186_12 Depth=1
	s_or_b32 exec_lo, exec_lo, s42
	v_cmp_ne_u16_sdwa s3, v11, v50 src0_sel:BYTE_1 src1_sel:DWORD
	s_and_saveexec_b32 s42, s3
	s_cbranch_execz .LBB186_369
; %bb.362:                              ;   in Loop: Header=BB186_12 Depth=1
	v_mov_b32_e32 v37, v50
	v_cmp_ne_u16_sdwa s3, v11, v127 src0_sel:BYTE_1 src1_sel:DWORD
	v_mov_b32_e32 v9, v37
	v_mov_b32_e32 v10, v38
	s_and_saveexec_b32 s43, s3
	s_cbranch_execz .LBB186_368
; %bb.363:                              ;   in Loop: Header=BB186_12 Depth=1
	v_mov_b32_e32 v9, 0xffff
	v_mov_b32_e32 v73, v50
	s_mov_b32 s44, exec_lo
	v_and_b32_sdwa v13, v9, v11 dst_sel:DWORD dst_unused:UNUSED_PAD src0_sel:DWORD src1_sel:BYTE_1
	v_mov_b32_e32 v9, v73
	v_mov_b32_e32 v10, v74
	v_and_b32_e32 v12, 0x7f, v13
	v_cmpx_ne_u32_e32 0x7f, v12
	s_cbranch_execz .LBB186_367
; %bb.364:                              ;   in Loop: Header=BB186_12 Depth=1
	v_and_b32_e32 v49, 7, v13
	v_lshrrev_b32_e32 v9, 3, v12
	s_mov_b32 s45, exec_lo
	v_cmpx_gt_u32_e32 8, v12
; %bb.365:                              ;   in Loop: Header=BB186_12 Depth=1
	v_ffbh_u32_e32 v9, v49
	v_min_u32_e32 v9, 32, v9
	v_subrev_nc_u32_e32 v10, 28, v9
	v_sub_nc_u32_e32 v9, 29, v9
	v_lshlrev_b64 v[12:13], v10, v[49:50]
	v_and_b32_e32 v49, 7, v12
; %bb.366:                              ;   in Loop: Header=BB186_12 Depth=1
	s_or_b32 exec_lo, exec_lo, s45
	v_lshlrev_b32_e32 v10, 16, v11
	v_lshlrev_b32_e32 v11, 20, v49
	v_lshl_add_u32 v9, v9, 23, 0x3c000000
	v_and_b32_e32 v10, 0x80000000, v10
	v_or3_b32 v10, v11, v10, v9
	v_mov_b32_e32 v9, v50
.LBB186_367:                            ;   in Loop: Header=BB186_12 Depth=1
	s_or_b32 exec_lo, exec_lo, s44
.LBB186_368:                            ;   in Loop: Header=BB186_12 Depth=1
	s_or_b32 exec_lo, exec_lo, s43
.LBB186_369:                            ;   in Loop: Header=BB186_12 Depth=1
	s_or_b32 exec_lo, exec_lo, s42
	global_load_ushort v11, v[69:70], off offset:1288
	v_mov_b32_e32 v75, 0
	v_mov_b32_e32 v76, 0
	s_waitcnt vmcnt(0)
	v_and_b32_e32 v13, 0xffff, v11
	v_cmp_ne_u16_sdwa s3, v11, v50 src0_sel:BYTE_0 src1_sel:DWORD
	v_mov_b32_e32 v11, 0
	v_mov_b32_e32 v12, 0
	s_and_saveexec_b32 s42, s3
	s_cbranch_execz .LBB186_377
; %bb.370:                              ;   in Loop: Header=BB186_12 Depth=1
	v_bfrev_b32_e32 v11, 1
	v_mov_b32_e32 v12, 0
	v_cmp_ne_u16_sdwa s3, v13, v127 src0_sel:BYTE_0 src1_sel:DWORD
	s_and_saveexec_b32 s43, s3
	s_cbranch_execz .LBB186_376
; %bb.371:                              ;   in Loop: Header=BB186_12 Depth=1
	v_mov_b32_e32 v11, 0x7f800001
	v_and_b32_e32 v14, 0x7f, v13
	v_mov_b32_e32 v12, 0
	s_mov_b32 s44, exec_lo
	v_cmpx_ne_u32_e32 0x7f, v14
	s_cbranch_execz .LBB186_375
; %bb.372:                              ;   in Loop: Header=BB186_12 Depth=1
	v_and_b32_e32 v49, 7, v13
	v_lshrrev_b32_e32 v11, 3, v14
	s_mov_b32 s45, exec_lo
	v_cmpx_gt_u32_e32 8, v14
; %bb.373:                              ;   in Loop: Header=BB186_12 Depth=1
	v_ffbh_u32_e32 v11, v49
	v_min_u32_e32 v11, 32, v11
	v_subrev_nc_u32_e32 v12, 28, v11
	v_sub_nc_u32_e32 v11, 29, v11
	v_lshlrev_b64 v[14:15], v12, v[49:50]
	v_and_b32_e32 v49, 7, v14
; %bb.374:                              ;   in Loop: Header=BB186_12 Depth=1
	s_or_b32 exec_lo, exec_lo, s45
	v_lshlrev_b32_e32 v12, 24, v13
	v_lshlrev_b32_e32 v14, 20, v49
	v_lshl_add_u32 v11, v11, 23, 0x3c000000
	v_and_b32_e32 v12, 0x80000000, v12
	v_or3_b32 v49, v14, v12, v11
	v_mov_b32_e32 v11, v49
	v_mov_b32_e32 v12, v50
.LBB186_375:                            ;   in Loop: Header=BB186_12 Depth=1
	s_or_b32 exec_lo, exec_lo, s44
.LBB186_376:                            ;   in Loop: Header=BB186_12 Depth=1
	s_or_b32 exec_lo, exec_lo, s43
.LBB186_377:                            ;   in Loop: Header=BB186_12 Depth=1
	s_or_b32 exec_lo, exec_lo, s42
	v_cmp_ne_u16_sdwa s3, v13, v50 src0_sel:BYTE_1 src1_sel:DWORD
	s_and_saveexec_b32 s42, s3
	s_cbranch_execz .LBB186_385
; %bb.378:                              ;   in Loop: Header=BB186_12 Depth=1
	v_mov_b32_e32 v37, v50
	v_mov_b32_e32 v76, v38
	v_cmp_ne_u16_sdwa s3, v13, v127 src0_sel:BYTE_1 src1_sel:DWORD
	v_mov_b32_e32 v75, v37
	s_and_saveexec_b32 s43, s3
	s_cbranch_execz .LBB186_384
; %bb.379:                              ;   in Loop: Header=BB186_12 Depth=1
	v_mov_b32_e32 v14, 0xffff
	v_mov_b32_e32 v73, v50
	;; [unrolled: 1-line block ×3, first 2 shown]
	s_mov_b32 s44, exec_lo
	v_and_b32_sdwa v14, v14, v13 dst_sel:DWORD dst_unused:UNUSED_PAD src0_sel:DWORD src1_sel:BYTE_1
	v_mov_b32_e32 v75, v73
	v_and_b32_e32 v15, 0x7f, v14
	v_cmpx_ne_u32_e32 0x7f, v15
	s_cbranch_execz .LBB186_383
; %bb.380:                              ;   in Loop: Header=BB186_12 Depth=1
	v_and_b32_e32 v49, 7, v14
	v_lshrrev_b32_e32 v14, 3, v15
	s_mov_b32 s45, exec_lo
	v_cmpx_gt_u32_e32 8, v15
; %bb.381:                              ;   in Loop: Header=BB186_12 Depth=1
	v_ffbh_u32_e32 v14, v49
	v_min_u32_e32 v14, 32, v14
	v_subrev_nc_u32_e32 v15, 28, v14
	v_sub_nc_u32_e32 v14, 29, v14
	v_lshlrev_b64 v[15:16], v15, v[49:50]
	v_and_b32_e32 v49, 7, v15
; %bb.382:                              ;   in Loop: Header=BB186_12 Depth=1
	s_or_b32 exec_lo, exec_lo, s45
	v_lshlrev_b32_e32 v13, 16, v13
	v_lshlrev_b32_e32 v15, 20, v49
	v_lshl_add_u32 v14, v14, 23, 0x3c000000
	v_mov_b32_e32 v75, v50
	v_and_b32_e32 v13, 0x80000000, v13
	v_or3_b32 v76, v15, v13, v14
.LBB186_383:                            ;   in Loop: Header=BB186_12 Depth=1
	s_or_b32 exec_lo, exec_lo, s44
.LBB186_384:                            ;   in Loop: Header=BB186_12 Depth=1
	s_or_b32 exec_lo, exec_lo, s43
.LBB186_385:                            ;   in Loop: Header=BB186_12 Depth=1
	s_or_b32 exec_lo, exec_lo, s42
	global_load_ushort v13, v[69:70], off offset:1292
	v_mov_b32_e32 v15, 0
	v_mov_b32_e32 v16, 0
	s_waitcnt vmcnt(0)
	v_and_b32_e32 v17, 0xffff, v13
	v_cmp_ne_u16_sdwa s3, v13, v50 src0_sel:BYTE_0 src1_sel:DWORD
	v_mov_b32_e32 v13, 0
	v_mov_b32_e32 v14, 0
	s_and_saveexec_b32 s42, s3
	s_cbranch_execz .LBB186_393
; %bb.386:                              ;   in Loop: Header=BB186_12 Depth=1
	v_bfrev_b32_e32 v13, 1
	v_mov_b32_e32 v14, 0
	v_cmp_ne_u16_sdwa s3, v17, v127 src0_sel:BYTE_0 src1_sel:DWORD
	s_and_saveexec_b32 s43, s3
	s_cbranch_execz .LBB186_392
; %bb.387:                              ;   in Loop: Header=BB186_12 Depth=1
	v_mov_b32_e32 v13, 0x7f800001
	v_and_b32_e32 v18, 0x7f, v17
	v_mov_b32_e32 v14, 0
	s_mov_b32 s44, exec_lo
	v_cmpx_ne_u32_e32 0x7f, v18
	s_cbranch_execz .LBB186_391
; %bb.388:                              ;   in Loop: Header=BB186_12 Depth=1
	v_and_b32_e32 v49, 7, v17
	v_lshrrev_b32_e32 v13, 3, v18
	s_mov_b32 s45, exec_lo
	v_cmpx_gt_u32_e32 8, v18
; %bb.389:                              ;   in Loop: Header=BB186_12 Depth=1
	v_ffbh_u32_e32 v13, v49
	v_min_u32_e32 v13, 32, v13
	v_subrev_nc_u32_e32 v14, 28, v13
	v_sub_nc_u32_e32 v13, 29, v13
	v_lshlrev_b64 v[18:19], v14, v[49:50]
	v_and_b32_e32 v49, 7, v18
; %bb.390:                              ;   in Loop: Header=BB186_12 Depth=1
	s_or_b32 exec_lo, exec_lo, s45
	v_lshlrev_b32_e32 v14, 24, v17
	v_lshlrev_b32_e32 v18, 20, v49
	v_lshl_add_u32 v13, v13, 23, 0x3c000000
	v_and_b32_e32 v14, 0x80000000, v14
	v_or3_b32 v49, v18, v14, v13
	v_mov_b32_e32 v13, v49
	v_mov_b32_e32 v14, v50
.LBB186_391:                            ;   in Loop: Header=BB186_12 Depth=1
	s_or_b32 exec_lo, exec_lo, s44
.LBB186_392:                            ;   in Loop: Header=BB186_12 Depth=1
	s_or_b32 exec_lo, exec_lo, s43
.LBB186_393:                            ;   in Loop: Header=BB186_12 Depth=1
	s_or_b32 exec_lo, exec_lo, s42
	v_cmp_ne_u16_sdwa s3, v17, v50 src0_sel:BYTE_1 src1_sel:DWORD
	s_and_saveexec_b32 s42, s3
	s_cbranch_execz .LBB186_401
; %bb.394:                              ;   in Loop: Header=BB186_12 Depth=1
	v_mov_b32_e32 v37, v50
	v_cmp_ne_u16_sdwa s3, v17, v127 src0_sel:BYTE_1 src1_sel:DWORD
	v_mov_b32_e32 v15, v37
	v_mov_b32_e32 v16, v38
	s_and_saveexec_b32 s43, s3
	s_cbranch_execz .LBB186_400
; %bb.395:                              ;   in Loop: Header=BB186_12 Depth=1
	v_mov_b32_e32 v15, 0xffff
	v_mov_b32_e32 v73, v50
	s_mov_b32 s44, exec_lo
	v_and_b32_sdwa v19, v15, v17 dst_sel:DWORD dst_unused:UNUSED_PAD src0_sel:DWORD src1_sel:BYTE_1
	v_mov_b32_e32 v15, v73
	v_mov_b32_e32 v16, v74
	v_and_b32_e32 v18, 0x7f, v19
	v_cmpx_ne_u32_e32 0x7f, v18
	s_cbranch_execz .LBB186_399
; %bb.396:                              ;   in Loop: Header=BB186_12 Depth=1
	v_and_b32_e32 v49, 7, v19
	v_lshrrev_b32_e32 v15, 3, v18
	s_mov_b32 s45, exec_lo
	v_cmpx_gt_u32_e32 8, v18
; %bb.397:                              ;   in Loop: Header=BB186_12 Depth=1
	v_ffbh_u32_e32 v15, v49
	v_min_u32_e32 v15, 32, v15
	v_subrev_nc_u32_e32 v16, 28, v15
	v_sub_nc_u32_e32 v15, 29, v15
	v_lshlrev_b64 v[18:19], v16, v[49:50]
	v_and_b32_e32 v49, 7, v18
; %bb.398:                              ;   in Loop: Header=BB186_12 Depth=1
	s_or_b32 exec_lo, exec_lo, s45
	v_lshlrev_b32_e32 v16, 16, v17
	v_lshlrev_b32_e32 v17, 20, v49
	v_lshl_add_u32 v15, v15, 23, 0x3c000000
	v_and_b32_e32 v16, 0x80000000, v16
	v_or3_b32 v16, v17, v16, v15
	v_mov_b32_e32 v15, v50
.LBB186_399:                            ;   in Loop: Header=BB186_12 Depth=1
	s_or_b32 exec_lo, exec_lo, s44
.LBB186_400:                            ;   in Loop: Header=BB186_12 Depth=1
	s_or_b32 exec_lo, exec_lo, s43
.LBB186_401:                            ;   in Loop: Header=BB186_12 Depth=1
	s_or_b32 exec_lo, exec_lo, s42
	global_load_ushort v17, v[69:70], off offset:1536
	v_mov_b32_e32 v19, 0
	v_mov_b32_e32 v20, 0
	s_waitcnt vmcnt(0)
	v_and_b32_e32 v21, 0xffff, v17
	v_cmp_ne_u16_sdwa s3, v17, v50 src0_sel:BYTE_0 src1_sel:DWORD
	v_mov_b32_e32 v17, 0
	v_mov_b32_e32 v18, 0
	s_and_saveexec_b32 s42, s3
	s_cbranch_execz .LBB186_409
; %bb.402:                              ;   in Loop: Header=BB186_12 Depth=1
	v_bfrev_b32_e32 v17, 1
	v_mov_b32_e32 v18, 0
	v_cmp_ne_u16_sdwa s3, v21, v127 src0_sel:BYTE_0 src1_sel:DWORD
	s_and_saveexec_b32 s43, s3
	s_cbranch_execz .LBB186_408
; %bb.403:                              ;   in Loop: Header=BB186_12 Depth=1
	v_mov_b32_e32 v17, 0x7f800001
	v_and_b32_e32 v22, 0x7f, v21
	v_mov_b32_e32 v18, 0
	s_mov_b32 s44, exec_lo
	v_cmpx_ne_u32_e32 0x7f, v22
	s_cbranch_execz .LBB186_407
; %bb.404:                              ;   in Loop: Header=BB186_12 Depth=1
	v_and_b32_e32 v49, 7, v21
	v_lshrrev_b32_e32 v17, 3, v22
	s_mov_b32 s45, exec_lo
	v_cmpx_gt_u32_e32 8, v22
; %bb.405:                              ;   in Loop: Header=BB186_12 Depth=1
	v_ffbh_u32_e32 v17, v49
	v_min_u32_e32 v17, 32, v17
	v_subrev_nc_u32_e32 v18, 28, v17
	v_sub_nc_u32_e32 v17, 29, v17
	v_lshlrev_b64 v[22:23], v18, v[49:50]
	v_and_b32_e32 v49, 7, v22
; %bb.406:                              ;   in Loop: Header=BB186_12 Depth=1
	s_or_b32 exec_lo, exec_lo, s45
	v_lshlrev_b32_e32 v18, 24, v21
	v_lshlrev_b32_e32 v22, 20, v49
	v_lshl_add_u32 v17, v17, 23, 0x3c000000
	v_and_b32_e32 v18, 0x80000000, v18
	v_or3_b32 v49, v22, v18, v17
	v_mov_b32_e32 v17, v49
	v_mov_b32_e32 v18, v50
.LBB186_407:                            ;   in Loop: Header=BB186_12 Depth=1
	s_or_b32 exec_lo, exec_lo, s44
.LBB186_408:                            ;   in Loop: Header=BB186_12 Depth=1
	s_or_b32 exec_lo, exec_lo, s43
.LBB186_409:                            ;   in Loop: Header=BB186_12 Depth=1
	s_or_b32 exec_lo, exec_lo, s42
	v_cmp_ne_u16_sdwa s3, v21, v50 src0_sel:BYTE_1 src1_sel:DWORD
	s_and_saveexec_b32 s42, s3
	s_cbranch_execz .LBB186_417
; %bb.410:                              ;   in Loop: Header=BB186_12 Depth=1
	v_mov_b32_e32 v37, v50
	v_cmp_ne_u16_sdwa s3, v21, v127 src0_sel:BYTE_1 src1_sel:DWORD
	v_mov_b32_e32 v19, v37
	v_mov_b32_e32 v20, v38
	s_and_saveexec_b32 s43, s3
	s_cbranch_execz .LBB186_416
; %bb.411:                              ;   in Loop: Header=BB186_12 Depth=1
	v_mov_b32_e32 v19, 0xffff
	v_mov_b32_e32 v73, v50
	s_mov_b32 s44, exec_lo
	v_and_b32_sdwa v23, v19, v21 dst_sel:DWORD dst_unused:UNUSED_PAD src0_sel:DWORD src1_sel:BYTE_1
	v_mov_b32_e32 v19, v73
	v_mov_b32_e32 v20, v74
	v_and_b32_e32 v22, 0x7f, v23
	v_cmpx_ne_u32_e32 0x7f, v22
	s_cbranch_execz .LBB186_415
; %bb.412:                              ;   in Loop: Header=BB186_12 Depth=1
	v_and_b32_e32 v49, 7, v23
	v_lshrrev_b32_e32 v19, 3, v22
	s_mov_b32 s45, exec_lo
	v_cmpx_gt_u32_e32 8, v22
; %bb.413:                              ;   in Loop: Header=BB186_12 Depth=1
	v_ffbh_u32_e32 v19, v49
	v_min_u32_e32 v19, 32, v19
	v_subrev_nc_u32_e32 v20, 28, v19
	v_sub_nc_u32_e32 v19, 29, v19
	v_lshlrev_b64 v[22:23], v20, v[49:50]
	v_and_b32_e32 v49, 7, v22
; %bb.414:                              ;   in Loop: Header=BB186_12 Depth=1
	s_or_b32 exec_lo, exec_lo, s45
	v_lshlrev_b32_e32 v20, 16, v21
	v_lshlrev_b32_e32 v21, 20, v49
	v_lshl_add_u32 v19, v19, 23, 0x3c000000
	v_and_b32_e32 v20, 0x80000000, v20
	v_or3_b32 v20, v21, v20, v19
	v_mov_b32_e32 v19, v50
.LBB186_415:                            ;   in Loop: Header=BB186_12 Depth=1
	s_or_b32 exec_lo, exec_lo, s44
.LBB186_416:                            ;   in Loop: Header=BB186_12 Depth=1
	s_or_b32 exec_lo, exec_lo, s43
.LBB186_417:                            ;   in Loop: Header=BB186_12 Depth=1
	s_or_b32 exec_lo, exec_lo, s42
	global_load_ushort v21, v[69:70], off offset:1540
	v_mov_b32_e32 v23, 0
	v_mov_b32_e32 v24, 0
	s_waitcnt vmcnt(0)
	v_and_b32_e32 v25, 0xffff, v21
	v_cmp_ne_u16_sdwa s3, v21, v50 src0_sel:BYTE_0 src1_sel:DWORD
	v_mov_b32_e32 v21, 0
	v_mov_b32_e32 v22, 0
	s_and_saveexec_b32 s42, s3
	s_cbranch_execz .LBB186_425
; %bb.418:                              ;   in Loop: Header=BB186_12 Depth=1
	v_bfrev_b32_e32 v21, 1
	v_mov_b32_e32 v22, 0
	v_cmp_ne_u16_sdwa s3, v25, v127 src0_sel:BYTE_0 src1_sel:DWORD
	s_and_saveexec_b32 s43, s3
	s_cbranch_execz .LBB186_424
; %bb.419:                              ;   in Loop: Header=BB186_12 Depth=1
	v_mov_b32_e32 v21, 0x7f800001
	v_and_b32_e32 v26, 0x7f, v25
	v_mov_b32_e32 v22, 0
	s_mov_b32 s44, exec_lo
	v_cmpx_ne_u32_e32 0x7f, v26
	s_cbranch_execz .LBB186_423
; %bb.420:                              ;   in Loop: Header=BB186_12 Depth=1
	v_and_b32_e32 v49, 7, v25
	v_lshrrev_b32_e32 v21, 3, v26
	s_mov_b32 s45, exec_lo
	v_cmpx_gt_u32_e32 8, v26
; %bb.421:                              ;   in Loop: Header=BB186_12 Depth=1
	v_ffbh_u32_e32 v21, v49
	v_min_u32_e32 v21, 32, v21
	v_subrev_nc_u32_e32 v22, 28, v21
	v_sub_nc_u32_e32 v21, 29, v21
	v_lshlrev_b64 v[26:27], v22, v[49:50]
	v_and_b32_e32 v49, 7, v26
; %bb.422:                              ;   in Loop: Header=BB186_12 Depth=1
	s_or_b32 exec_lo, exec_lo, s45
	v_lshlrev_b32_e32 v22, 24, v25
	v_lshlrev_b32_e32 v26, 20, v49
	v_lshl_add_u32 v21, v21, 23, 0x3c000000
	v_and_b32_e32 v22, 0x80000000, v22
	v_or3_b32 v49, v26, v22, v21
	v_mov_b32_e32 v21, v49
	v_mov_b32_e32 v22, v50
.LBB186_423:                            ;   in Loop: Header=BB186_12 Depth=1
	s_or_b32 exec_lo, exec_lo, s44
.LBB186_424:                            ;   in Loop: Header=BB186_12 Depth=1
	s_or_b32 exec_lo, exec_lo, s43
.LBB186_425:                            ;   in Loop: Header=BB186_12 Depth=1
	s_or_b32 exec_lo, exec_lo, s42
	v_cmp_ne_u16_sdwa s3, v25, v50 src0_sel:BYTE_1 src1_sel:DWORD
	s_and_saveexec_b32 s42, s3
	s_cbranch_execz .LBB186_433
; %bb.426:                              ;   in Loop: Header=BB186_12 Depth=1
	v_mov_b32_e32 v37, v50
	v_cmp_ne_u16_sdwa s3, v25, v127 src0_sel:BYTE_1 src1_sel:DWORD
	v_mov_b32_e32 v23, v37
	v_mov_b32_e32 v24, v38
	s_and_saveexec_b32 s43, s3
	s_cbranch_execz .LBB186_432
; %bb.427:                              ;   in Loop: Header=BB186_12 Depth=1
	v_mov_b32_e32 v23, 0xffff
	v_mov_b32_e32 v73, v50
	s_mov_b32 s44, exec_lo
	v_and_b32_sdwa v27, v23, v25 dst_sel:DWORD dst_unused:UNUSED_PAD src0_sel:DWORD src1_sel:BYTE_1
	v_mov_b32_e32 v23, v73
	v_mov_b32_e32 v24, v74
	v_and_b32_e32 v26, 0x7f, v27
	v_cmpx_ne_u32_e32 0x7f, v26
	s_cbranch_execz .LBB186_431
; %bb.428:                              ;   in Loop: Header=BB186_12 Depth=1
	v_and_b32_e32 v49, 7, v27
	v_lshrrev_b32_e32 v23, 3, v26
	s_mov_b32 s45, exec_lo
	v_cmpx_gt_u32_e32 8, v26
; %bb.429:                              ;   in Loop: Header=BB186_12 Depth=1
	v_ffbh_u32_e32 v23, v49
	v_min_u32_e32 v23, 32, v23
	v_subrev_nc_u32_e32 v24, 28, v23
	v_sub_nc_u32_e32 v23, 29, v23
	v_lshlrev_b64 v[26:27], v24, v[49:50]
	v_and_b32_e32 v49, 7, v26
; %bb.430:                              ;   in Loop: Header=BB186_12 Depth=1
	s_or_b32 exec_lo, exec_lo, s45
	v_lshlrev_b32_e32 v24, 16, v25
	v_lshlrev_b32_e32 v25, 20, v49
	v_lshl_add_u32 v23, v23, 23, 0x3c000000
	v_and_b32_e32 v24, 0x80000000, v24
	v_or3_b32 v24, v25, v24, v23
	v_mov_b32_e32 v23, v50
.LBB186_431:                            ;   in Loop: Header=BB186_12 Depth=1
	s_or_b32 exec_lo, exec_lo, s44
.LBB186_432:                            ;   in Loop: Header=BB186_12 Depth=1
	s_or_b32 exec_lo, exec_lo, s43
.LBB186_433:                            ;   in Loop: Header=BB186_12 Depth=1
	s_or_b32 exec_lo, exec_lo, s42
	global_load_ushort v25, v[69:70], off offset:1544
	v_mov_b32_e32 v27, 0
	v_mov_b32_e32 v28, 0
	s_waitcnt vmcnt(0)
	v_and_b32_e32 v29, 0xffff, v25
	v_cmp_ne_u16_sdwa s3, v25, v50 src0_sel:BYTE_0 src1_sel:DWORD
	v_mov_b32_e32 v25, 0
	v_mov_b32_e32 v26, 0
	s_and_saveexec_b32 s42, s3
	s_cbranch_execz .LBB186_441
; %bb.434:                              ;   in Loop: Header=BB186_12 Depth=1
	v_bfrev_b32_e32 v25, 1
	v_mov_b32_e32 v26, 0
	v_cmp_ne_u16_sdwa s3, v29, v127 src0_sel:BYTE_0 src1_sel:DWORD
	s_and_saveexec_b32 s43, s3
	s_cbranch_execz .LBB186_440
; %bb.435:                              ;   in Loop: Header=BB186_12 Depth=1
	v_mov_b32_e32 v25, 0x7f800001
	v_and_b32_e32 v30, 0x7f, v29
	v_mov_b32_e32 v26, 0
	s_mov_b32 s44, exec_lo
	v_cmpx_ne_u32_e32 0x7f, v30
	s_cbranch_execz .LBB186_439
; %bb.436:                              ;   in Loop: Header=BB186_12 Depth=1
	v_and_b32_e32 v49, 7, v29
	v_lshrrev_b32_e32 v25, 3, v30
	s_mov_b32 s45, exec_lo
	v_cmpx_gt_u32_e32 8, v30
; %bb.437:                              ;   in Loop: Header=BB186_12 Depth=1
	v_ffbh_u32_e32 v25, v49
	v_min_u32_e32 v25, 32, v25
	v_subrev_nc_u32_e32 v26, 28, v25
	v_sub_nc_u32_e32 v25, 29, v25
	v_lshlrev_b64 v[30:31], v26, v[49:50]
	v_and_b32_e32 v49, 7, v30
; %bb.438:                              ;   in Loop: Header=BB186_12 Depth=1
	s_or_b32 exec_lo, exec_lo, s45
	v_lshlrev_b32_e32 v26, 24, v29
	v_lshlrev_b32_e32 v30, 20, v49
	v_lshl_add_u32 v25, v25, 23, 0x3c000000
	v_and_b32_e32 v26, 0x80000000, v26
	v_or3_b32 v49, v30, v26, v25
	v_mov_b32_e32 v25, v49
	v_mov_b32_e32 v26, v50
.LBB186_439:                            ;   in Loop: Header=BB186_12 Depth=1
	s_or_b32 exec_lo, exec_lo, s44
.LBB186_440:                            ;   in Loop: Header=BB186_12 Depth=1
	s_or_b32 exec_lo, exec_lo, s43
.LBB186_441:                            ;   in Loop: Header=BB186_12 Depth=1
	s_or_b32 exec_lo, exec_lo, s42
	v_cmp_ne_u16_sdwa s3, v29, v50 src0_sel:BYTE_1 src1_sel:DWORD
	s_and_saveexec_b32 s42, s3
	s_cbranch_execz .LBB186_449
; %bb.442:                              ;   in Loop: Header=BB186_12 Depth=1
	v_mov_b32_e32 v37, v50
	v_cmp_ne_u16_sdwa s3, v29, v127 src0_sel:BYTE_1 src1_sel:DWORD
	v_mov_b32_e32 v27, v37
	v_mov_b32_e32 v28, v38
	s_and_saveexec_b32 s43, s3
	s_cbranch_execz .LBB186_448
; %bb.443:                              ;   in Loop: Header=BB186_12 Depth=1
	v_mov_b32_e32 v27, 0xffff
	v_mov_b32_e32 v73, v50
	s_mov_b32 s44, exec_lo
	v_and_b32_sdwa v31, v27, v29 dst_sel:DWORD dst_unused:UNUSED_PAD src0_sel:DWORD src1_sel:BYTE_1
	v_mov_b32_e32 v27, v73
	v_mov_b32_e32 v28, v74
	v_and_b32_e32 v30, 0x7f, v31
	v_cmpx_ne_u32_e32 0x7f, v30
	s_cbranch_execz .LBB186_447
; %bb.444:                              ;   in Loop: Header=BB186_12 Depth=1
	v_and_b32_e32 v49, 7, v31
	v_lshrrev_b32_e32 v27, 3, v30
	s_mov_b32 s45, exec_lo
	v_cmpx_gt_u32_e32 8, v30
; %bb.445:                              ;   in Loop: Header=BB186_12 Depth=1
	v_ffbh_u32_e32 v27, v49
	v_min_u32_e32 v27, 32, v27
	v_subrev_nc_u32_e32 v28, 28, v27
	v_sub_nc_u32_e32 v27, 29, v27
	v_lshlrev_b64 v[30:31], v28, v[49:50]
	v_and_b32_e32 v49, 7, v30
; %bb.446:                              ;   in Loop: Header=BB186_12 Depth=1
	s_or_b32 exec_lo, exec_lo, s45
	v_lshlrev_b32_e32 v28, 16, v29
	v_lshlrev_b32_e32 v29, 20, v49
	v_lshl_add_u32 v27, v27, 23, 0x3c000000
	v_and_b32_e32 v28, 0x80000000, v28
	v_or3_b32 v28, v29, v28, v27
	v_mov_b32_e32 v27, v50
.LBB186_447:                            ;   in Loop: Header=BB186_12 Depth=1
	s_or_b32 exec_lo, exec_lo, s44
.LBB186_448:                            ;   in Loop: Header=BB186_12 Depth=1
	s_or_b32 exec_lo, exec_lo, s43
.LBB186_449:                            ;   in Loop: Header=BB186_12 Depth=1
	s_or_b32 exec_lo, exec_lo, s42
	global_load_ushort v29, v[69:70], off offset:1548
	v_mov_b32_e32 v31, 0
	v_mov_b32_e32 v32, 0
	s_waitcnt vmcnt(0)
	v_and_b32_e32 v33, 0xffff, v29
	v_cmp_ne_u16_sdwa s3, v29, v50 src0_sel:BYTE_0 src1_sel:DWORD
	v_mov_b32_e32 v29, 0
	v_mov_b32_e32 v30, 0
	s_and_saveexec_b32 s42, s3
	s_cbranch_execz .LBB186_457
; %bb.450:                              ;   in Loop: Header=BB186_12 Depth=1
	v_bfrev_b32_e32 v29, 1
	v_mov_b32_e32 v30, 0
	v_cmp_ne_u16_sdwa s3, v33, v127 src0_sel:BYTE_0 src1_sel:DWORD
	s_and_saveexec_b32 s43, s3
	s_cbranch_execz .LBB186_456
; %bb.451:                              ;   in Loop: Header=BB186_12 Depth=1
	v_mov_b32_e32 v29, 0x7f800001
	v_and_b32_e32 v34, 0x7f, v33
	v_mov_b32_e32 v30, 0
	s_mov_b32 s44, exec_lo
	v_cmpx_ne_u32_e32 0x7f, v34
	s_cbranch_execz .LBB186_455
; %bb.452:                              ;   in Loop: Header=BB186_12 Depth=1
	v_and_b32_e32 v49, 7, v33
	v_lshrrev_b32_e32 v29, 3, v34
	s_mov_b32 s45, exec_lo
	v_cmpx_gt_u32_e32 8, v34
; %bb.453:                              ;   in Loop: Header=BB186_12 Depth=1
	v_ffbh_u32_e32 v29, v49
	v_min_u32_e32 v29, 32, v29
	v_subrev_nc_u32_e32 v30, 28, v29
	v_sub_nc_u32_e32 v29, 29, v29
	v_lshlrev_b64 v[34:35], v30, v[49:50]
	v_and_b32_e32 v49, 7, v34
; %bb.454:                              ;   in Loop: Header=BB186_12 Depth=1
	s_or_b32 exec_lo, exec_lo, s45
	v_lshlrev_b32_e32 v30, 24, v33
	v_lshlrev_b32_e32 v34, 20, v49
	v_lshl_add_u32 v29, v29, 23, 0x3c000000
	v_and_b32_e32 v30, 0x80000000, v30
	v_or3_b32 v49, v34, v30, v29
	v_mov_b32_e32 v29, v49
	v_mov_b32_e32 v30, v50
.LBB186_455:                            ;   in Loop: Header=BB186_12 Depth=1
	s_or_b32 exec_lo, exec_lo, s44
.LBB186_456:                            ;   in Loop: Header=BB186_12 Depth=1
	s_or_b32 exec_lo, exec_lo, s43
.LBB186_457:                            ;   in Loop: Header=BB186_12 Depth=1
	s_or_b32 exec_lo, exec_lo, s42
	v_cmp_ne_u16_sdwa s3, v33, v50 src0_sel:BYTE_1 src1_sel:DWORD
	s_and_saveexec_b32 s42, s3
	s_cbranch_execz .LBB186_465
; %bb.458:                              ;   in Loop: Header=BB186_12 Depth=1
	v_mov_b32_e32 v37, v50
	v_cmp_ne_u16_sdwa s3, v33, v127 src0_sel:BYTE_1 src1_sel:DWORD
	v_mov_b32_e32 v31, v37
	v_mov_b32_e32 v32, v38
	s_and_saveexec_b32 s43, s3
	s_cbranch_execz .LBB186_464
; %bb.459:                              ;   in Loop: Header=BB186_12 Depth=1
	v_mov_b32_e32 v31, 0xffff
	v_mov_b32_e32 v73, v50
	s_mov_b32 s44, exec_lo
	v_and_b32_sdwa v35, v31, v33 dst_sel:DWORD dst_unused:UNUSED_PAD src0_sel:DWORD src1_sel:BYTE_1
	v_mov_b32_e32 v31, v73
	v_mov_b32_e32 v32, v74
	v_and_b32_e32 v34, 0x7f, v35
	v_cmpx_ne_u32_e32 0x7f, v34
	s_cbranch_execz .LBB186_463
; %bb.460:                              ;   in Loop: Header=BB186_12 Depth=1
	v_and_b32_e32 v49, 7, v35
	v_lshrrev_b32_e32 v31, 3, v34
	s_mov_b32 s45, exec_lo
	v_cmpx_gt_u32_e32 8, v34
; %bb.461:                              ;   in Loop: Header=BB186_12 Depth=1
	v_ffbh_u32_e32 v31, v49
	v_min_u32_e32 v31, 32, v31
	v_subrev_nc_u32_e32 v32, 28, v31
	v_sub_nc_u32_e32 v31, 29, v31
	v_lshlrev_b64 v[34:35], v32, v[49:50]
	v_and_b32_e32 v49, 7, v34
; %bb.462:                              ;   in Loop: Header=BB186_12 Depth=1
	s_or_b32 exec_lo, exec_lo, s45
	v_lshlrev_b32_e32 v32, 16, v33
	v_lshlrev_b32_e32 v33, 20, v49
	v_lshl_add_u32 v31, v31, 23, 0x3c000000
	v_and_b32_e32 v32, 0x80000000, v32
	v_or3_b32 v32, v33, v32, v31
	v_mov_b32_e32 v31, v50
.LBB186_463:                            ;   in Loop: Header=BB186_12 Depth=1
	s_or_b32 exec_lo, exec_lo, s44
.LBB186_464:                            ;   in Loop: Header=BB186_12 Depth=1
	s_or_b32 exec_lo, exec_lo, s43
.LBB186_465:                            ;   in Loop: Header=BB186_12 Depth=1
	s_or_b32 exec_lo, exec_lo, s42
	global_load_ushort v33, v[69:70], off offset:1792
	v_mov_b32_e32 v35, 0
	v_mov_b32_e32 v36, 0
	s_waitcnt vmcnt(0)
	v_and_b32_e32 v39, 0xffff, v33
	v_cmp_ne_u16_sdwa s3, v33, v50 src0_sel:BYTE_0 src1_sel:DWORD
	v_mov_b32_e32 v33, 0
	v_mov_b32_e32 v34, 0
	s_and_saveexec_b32 s42, s3
	s_cbranch_execz .LBB186_473
; %bb.466:                              ;   in Loop: Header=BB186_12 Depth=1
	v_bfrev_b32_e32 v33, 1
	v_mov_b32_e32 v34, 0
	v_cmp_ne_u16_sdwa s3, v39, v127 src0_sel:BYTE_0 src1_sel:DWORD
	s_and_saveexec_b32 s43, s3
	s_cbranch_execz .LBB186_472
; %bb.467:                              ;   in Loop: Header=BB186_12 Depth=1
	v_mov_b32_e32 v33, 0x7f800001
	v_and_b32_e32 v37, 0x7f, v39
	v_mov_b32_e32 v34, 0
	s_mov_b32 s44, exec_lo
	v_cmpx_ne_u32_e32 0x7f, v37
	s_cbranch_execz .LBB186_471
; %bb.468:                              ;   in Loop: Header=BB186_12 Depth=1
	v_and_b32_e32 v49, 7, v39
	v_lshrrev_b32_e32 v33, 3, v37
	s_mov_b32 s45, exec_lo
	v_cmpx_gt_u32_e32 8, v37
; %bb.469:                              ;   in Loop: Header=BB186_12 Depth=1
	v_ffbh_u32_e32 v33, v49
	v_min_u32_e32 v33, 32, v33
	v_subrev_nc_u32_e32 v34, 28, v33
	v_sub_nc_u32_e32 v33, 29, v33
	v_lshlrev_b64 v[48:49], v34, v[49:50]
	v_and_b32_e32 v49, 7, v48
; %bb.470:                              ;   in Loop: Header=BB186_12 Depth=1
	s_or_b32 exec_lo, exec_lo, s45
	v_lshlrev_b32_e32 v34, 24, v39
	v_lshlrev_b32_e32 v37, 20, v49
	v_lshl_add_u32 v33, v33, 23, 0x3c000000
	v_and_b32_e32 v34, 0x80000000, v34
	v_or3_b32 v49, v37, v34, v33
	v_mov_b32_e32 v33, v49
	v_mov_b32_e32 v34, v50
.LBB186_471:                            ;   in Loop: Header=BB186_12 Depth=1
	s_or_b32 exec_lo, exec_lo, s44
.LBB186_472:                            ;   in Loop: Header=BB186_12 Depth=1
	s_or_b32 exec_lo, exec_lo, s43
.LBB186_473:                            ;   in Loop: Header=BB186_12 Depth=1
	s_or_b32 exec_lo, exec_lo, s42
	v_cmp_ne_u16_sdwa s3, v39, v50 src0_sel:BYTE_1 src1_sel:DWORD
	s_and_saveexec_b32 s42, s3
	s_cbranch_execz .LBB186_481
; %bb.474:                              ;   in Loop: Header=BB186_12 Depth=1
	v_mov_b32_e32 v37, v50
	v_cmp_ne_u16_sdwa s3, v39, v127 src0_sel:BYTE_1 src1_sel:DWORD
	v_mov_b32_e32 v35, v37
	v_mov_b32_e32 v36, v38
	s_and_saveexec_b32 s43, s3
	s_cbranch_execz .LBB186_480
; %bb.475:                              ;   in Loop: Header=BB186_12 Depth=1
	v_mov_b32_e32 v35, 0xffff
	v_mov_b32_e32 v73, v50
	s_mov_b32 s44, exec_lo
	v_and_b32_sdwa v40, v35, v39 dst_sel:DWORD dst_unused:UNUSED_PAD src0_sel:DWORD src1_sel:BYTE_1
	v_mov_b32_e32 v35, v73
	v_mov_b32_e32 v36, v74
	v_and_b32_e32 v37, 0x7f, v40
	v_cmpx_ne_u32_e32 0x7f, v37
	s_cbranch_execz .LBB186_479
; %bb.476:                              ;   in Loop: Header=BB186_12 Depth=1
	v_and_b32_e32 v49, 7, v40
	v_lshrrev_b32_e32 v35, 3, v37
	s_mov_b32 s45, exec_lo
	v_cmpx_gt_u32_e32 8, v37
; %bb.477:                              ;   in Loop: Header=BB186_12 Depth=1
	v_ffbh_u32_e32 v35, v49
	v_min_u32_e32 v35, 32, v35
	v_subrev_nc_u32_e32 v36, 28, v35
	v_sub_nc_u32_e32 v35, 29, v35
	v_lshlrev_b64 v[36:37], v36, v[49:50]
	v_and_b32_e32 v49, 7, v36
; %bb.478:                              ;   in Loop: Header=BB186_12 Depth=1
	s_or_b32 exec_lo, exec_lo, s45
	v_lshlrev_b32_e32 v36, 16, v39
	v_lshlrev_b32_e32 v37, 20, v49
	v_lshl_add_u32 v35, v35, 23, 0x3c000000
	v_and_b32_e32 v36, 0x80000000, v36
	v_or3_b32 v36, v37, v36, v35
	v_mov_b32_e32 v35, v50
.LBB186_479:                            ;   in Loop: Header=BB186_12 Depth=1
	s_or_b32 exec_lo, exec_lo, s44
.LBB186_480:                            ;   in Loop: Header=BB186_12 Depth=1
	s_or_b32 exec_lo, exec_lo, s43
.LBB186_481:                            ;   in Loop: Header=BB186_12 Depth=1
	s_or_b32 exec_lo, exec_lo, s42
	global_load_ushort v37, v[69:70], off offset:1796
	v_mov_b32_e32 v51, 0
	v_mov_b32_e32 v79, 0
	;; [unrolled: 1-line block ×4, first 2 shown]
	s_waitcnt vmcnt(0)
	v_and_b32_e32 v39, 0xffff, v37
	v_cmp_ne_u16_sdwa s3, v37, v50 src0_sel:BYTE_0 src1_sel:DWORD
	s_and_saveexec_b32 s42, s3
	s_cbranch_execz .LBB186_489
; %bb.482:                              ;   in Loop: Header=BB186_12 Depth=1
	v_bfrev_b32_e32 v79, 1
	v_mov_b32_e32 v80, 0
	v_cmp_ne_u16_sdwa s3, v39, v127 src0_sel:BYTE_0 src1_sel:DWORD
	s_and_saveexec_b32 s43, s3
	s_cbranch_execz .LBB186_488
; %bb.483:                              ;   in Loop: Header=BB186_12 Depth=1
	v_mov_b32_e32 v79, 0x7f800001
	v_and_b32_e32 v40, 0x7f, v39
	v_mov_b32_e32 v80, 0
	s_mov_b32 s44, exec_lo
	v_cmpx_ne_u32_e32 0x7f, v40
	s_cbranch_execz .LBB186_487
; %bb.484:                              ;   in Loop: Header=BB186_12 Depth=1
	v_and_b32_e32 v49, 7, v39
	v_lshrrev_b32_e32 v37, 3, v40
	s_mov_b32 s45, exec_lo
	v_cmpx_gt_u32_e32 8, v40
; %bb.485:                              ;   in Loop: Header=BB186_12 Depth=1
	v_ffbh_u32_e32 v37, v49
	v_min_u32_e32 v37, 32, v37
	v_subrev_nc_u32_e32 v40, 28, v37
	v_sub_nc_u32_e32 v37, 29, v37
	v_lshlrev_b64 v[48:49], v40, v[49:50]
	v_and_b32_e32 v49, 7, v48
; %bb.486:                              ;   in Loop: Header=BB186_12 Depth=1
	s_or_b32 exec_lo, exec_lo, s45
	v_lshlrev_b32_e32 v40, 24, v39
	v_lshlrev_b32_e32 v46, 20, v49
	v_lshl_add_u32 v37, v37, 23, 0x3c000000
	v_and_b32_e32 v40, 0x80000000, v40
	v_or3_b32 v49, v46, v40, v37
	v_mov_b32_e32 v80, v50
	v_mov_b32_e32 v79, v49
.LBB186_487:                            ;   in Loop: Header=BB186_12 Depth=1
	s_or_b32 exec_lo, exec_lo, s44
.LBB186_488:                            ;   in Loop: Header=BB186_12 Depth=1
	s_or_b32 exec_lo, exec_lo, s43
.LBB186_489:                            ;   in Loop: Header=BB186_12 Depth=1
	s_or_b32 exec_lo, exec_lo, s42
	v_cmp_ne_u16_sdwa s3, v39, v50 src0_sel:BYTE_1 src1_sel:DWORD
	s_and_saveexec_b32 s42, s3
	s_cbranch_execz .LBB186_497
; %bb.490:                              ;   in Loop: Header=BB186_12 Depth=1
	v_mov_b32_e32 v37, v50
	v_mov_b32_e32 v52, v38
	v_cmp_ne_u16_sdwa s3, v39, v127 src0_sel:BYTE_1 src1_sel:DWORD
	v_mov_b32_e32 v51, v37
	s_and_saveexec_b32 s43, s3
	s_cbranch_execz .LBB186_496
; %bb.491:                              ;   in Loop: Header=BB186_12 Depth=1
	v_mov_b32_e32 v37, 0xffff
	v_mov_b32_e32 v73, v50
	s_mov_b32 s44, exec_lo
	v_and_b32_sdwa v37, v37, v39 dst_sel:DWORD dst_unused:UNUSED_PAD src0_sel:DWORD src1_sel:BYTE_1
	v_mov_b32_e32 v51, v73
	v_mov_b32_e32 v52, v74
	v_and_b32_e32 v40, 0x7f, v37
	v_cmpx_ne_u32_e32 0x7f, v40
	s_cbranch_execz .LBB186_495
; %bb.492:                              ;   in Loop: Header=BB186_12 Depth=1
	v_and_b32_e32 v49, 7, v37
	v_lshrrev_b32_e32 v37, 3, v40
	s_mov_b32 s45, exec_lo
	v_cmpx_gt_u32_e32 8, v40
; %bb.493:                              ;   in Loop: Header=BB186_12 Depth=1
	v_ffbh_u32_e32 v37, v49
	v_min_u32_e32 v37, 32, v37
	v_subrev_nc_u32_e32 v40, 28, v37
	v_sub_nc_u32_e32 v37, 29, v37
	v_lshlrev_b64 v[48:49], v40, v[49:50]
	v_and_b32_e32 v49, 7, v48
; %bb.494:                              ;   in Loop: Header=BB186_12 Depth=1
	s_or_b32 exec_lo, exec_lo, s45
	v_lshlrev_b32_e32 v39, 16, v39
	v_lshlrev_b32_e32 v40, 20, v49
	v_lshl_add_u32 v37, v37, 23, 0x3c000000
	v_mov_b32_e32 v51, v50
	v_and_b32_e32 v39, 0x80000000, v39
	v_or3_b32 v52, v40, v39, v37
.LBB186_495:                            ;   in Loop: Header=BB186_12 Depth=1
	s_or_b32 exec_lo, exec_lo, s44
.LBB186_496:                            ;   in Loop: Header=BB186_12 Depth=1
	s_or_b32 exec_lo, exec_lo, s43
.LBB186_497:                            ;   in Loop: Header=BB186_12 Depth=1
	s_or_b32 exec_lo, exec_lo, s42
	global_load_ushort v37, v[69:70], off offset:1800
	v_mov_b32_e32 v77, 0
	v_mov_b32_e32 v39, 0
	;; [unrolled: 1-line block ×4, first 2 shown]
	s_waitcnt vmcnt(0)
	v_and_b32_e32 v48, 0xffff, v37
	v_cmp_ne_u16_sdwa s3, v37, v50 src0_sel:BYTE_0 src1_sel:DWORD
	s_and_saveexec_b32 s42, s3
	s_cbranch_execz .LBB186_505
; %bb.498:                              ;   in Loop: Header=BB186_12 Depth=1
	v_bfrev_b32_e32 v39, 1
	v_mov_b32_e32 v40, 0
	v_cmp_ne_u16_sdwa s3, v48, v127 src0_sel:BYTE_0 src1_sel:DWORD
	s_and_saveexec_b32 s43, s3
	s_cbranch_execz .LBB186_504
; %bb.499:                              ;   in Loop: Header=BB186_12 Depth=1
	v_mov_b32_e32 v39, 0x7f800001
	v_and_b32_e32 v46, 0x7f, v48
	v_mov_b32_e32 v40, 0
	s_mov_b32 s44, exec_lo
	v_cmpx_ne_u32_e32 0x7f, v46
	s_cbranch_execz .LBB186_503
; %bb.500:                              ;   in Loop: Header=BB186_12 Depth=1
	v_and_b32_e32 v49, 7, v48
	v_lshrrev_b32_e32 v37, 3, v46
	s_mov_b32 s45, exec_lo
	v_cmpx_gt_u32_e32 8, v46
; %bb.501:                              ;   in Loop: Header=BB186_12 Depth=1
	v_ffbh_u32_e32 v37, v49
	v_min_u32_e32 v37, 32, v37
	v_subrev_nc_u32_e32 v39, 28, v37
	v_sub_nc_u32_e32 v37, 29, v37
	v_lshlrev_b64 v[39:40], v39, v[49:50]
	v_and_b32_e32 v49, 7, v39
; %bb.502:                              ;   in Loop: Header=BB186_12 Depth=1
	s_or_b32 exec_lo, exec_lo, s45
	v_lshlrev_b32_e32 v39, 24, v48
	v_lshlrev_b32_e32 v40, 20, v49
	v_lshl_add_u32 v37, v37, 23, 0x3c000000
	v_and_b32_e32 v39, 0x80000000, v39
	v_or3_b32 v49, v40, v39, v37
	v_mov_b32_e32 v39, v49
	v_mov_b32_e32 v40, v50
.LBB186_503:                            ;   in Loop: Header=BB186_12 Depth=1
	s_or_b32 exec_lo, exec_lo, s44
.LBB186_504:                            ;   in Loop: Header=BB186_12 Depth=1
	s_or_b32 exec_lo, exec_lo, s43
.LBB186_505:                            ;   in Loop: Header=BB186_12 Depth=1
	s_or_b32 exec_lo, exec_lo, s42
	v_cmp_ne_u16_sdwa s3, v48, v50 src0_sel:BYTE_1 src1_sel:DWORD
	s_and_saveexec_b32 s42, s3
	s_cbranch_execz .LBB186_513
; %bb.506:                              ;   in Loop: Header=BB186_12 Depth=1
	v_mov_b32_e32 v37, v50
	v_mov_b32_e32 v78, v38
	v_cmp_ne_u16_sdwa s3, v48, v127 src0_sel:BYTE_1 src1_sel:DWORD
	v_mov_b32_e32 v77, v37
	s_and_saveexec_b32 s43, s3
	s_cbranch_execz .LBB186_512
; %bb.507:                              ;   in Loop: Header=BB186_12 Depth=1
	v_mov_b32_e32 v37, 0xffff
	v_mov_b32_e32 v73, v50
	;; [unrolled: 1-line block ×3, first 2 shown]
	s_mov_b32 s44, exec_lo
	v_and_b32_sdwa v37, v37, v48 dst_sel:DWORD dst_unused:UNUSED_PAD src0_sel:DWORD src1_sel:BYTE_1
	v_mov_b32_e32 v77, v73
	v_and_b32_e32 v53, 0x7f, v37
	v_cmpx_ne_u32_e32 0x7f, v53
	s_cbranch_execz .LBB186_511
; %bb.508:                              ;   in Loop: Header=BB186_12 Depth=1
	v_and_b32_e32 v49, 7, v37
	v_lshrrev_b32_e32 v37, 3, v53
	s_mov_b32 s45, exec_lo
	v_cmpx_gt_u32_e32 8, v53
; %bb.509:                              ;   in Loop: Header=BB186_12 Depth=1
	v_ffbh_u32_e32 v37, v49
	v_min_u32_e32 v37, 32, v37
	v_subrev_nc_u32_e32 v46, 28, v37
	v_sub_nc_u32_e32 v37, 29, v37
	v_lshlrev_b64 v[53:54], v46, v[49:50]
	v_and_b32_e32 v49, 7, v53
; %bb.510:                              ;   in Loop: Header=BB186_12 Depth=1
	s_or_b32 exec_lo, exec_lo, s45
	v_lshlrev_b32_e32 v46, 16, v48
	v_lshlrev_b32_e32 v48, 20, v49
	v_lshl_add_u32 v37, v37, 23, 0x3c000000
	v_mov_b32_e32 v77, v50
	v_and_b32_e32 v46, 0x80000000, v46
	v_or3_b32 v78, v48, v46, v37
.LBB186_511:                            ;   in Loop: Header=BB186_12 Depth=1
	s_or_b32 exec_lo, exec_lo, s44
.LBB186_512:                            ;   in Loop: Header=BB186_12 Depth=1
	s_or_b32 exec_lo, exec_lo, s43
.LBB186_513:                            ;   in Loop: Header=BB186_12 Depth=1
	s_or_b32 exec_lo, exec_lo, s42
	global_load_ushort v37, v[69:70], off offset:1804
	v_mov_b32_e32 v53, 0
	v_mov_b32_e32 v69, 0
	;; [unrolled: 1-line block ×4, first 2 shown]
	s_waitcnt vmcnt(0)
	v_and_b32_e32 v48, 0xffff, v37
	v_cmp_ne_u16_sdwa s3, v37, v50 src0_sel:BYTE_0 src1_sel:DWORD
	s_and_saveexec_b32 s42, s3
	s_cbranch_execz .LBB186_521
; %bb.514:                              ;   in Loop: Header=BB186_12 Depth=1
	v_bfrev_b32_e32 v69, 1
	v_mov_b32_e32 v70, 0
	v_cmp_ne_u16_sdwa s3, v48, v127 src0_sel:BYTE_0 src1_sel:DWORD
	s_and_saveexec_b32 s43, s3
	s_cbranch_execz .LBB186_520
; %bb.515:                              ;   in Loop: Header=BB186_12 Depth=1
	v_mov_b32_e32 v69, 0x7f800001
	v_and_b32_e32 v46, 0x7f, v48
	v_mov_b32_e32 v70, 0
	s_mov_b32 s44, exec_lo
	v_cmpx_ne_u32_e32 0x7f, v46
	s_cbranch_execz .LBB186_519
; %bb.516:                              ;   in Loop: Header=BB186_12 Depth=1
	v_and_b32_e32 v49, 7, v48
	v_lshrrev_b32_e32 v37, 3, v46
	s_mov_b32 s45, exec_lo
	v_cmpx_gt_u32_e32 8, v46
; %bb.517:                              ;   in Loop: Header=BB186_12 Depth=1
	v_ffbh_u32_e32 v37, v49
	v_min_u32_e32 v37, 32, v37
	v_subrev_nc_u32_e32 v46, 28, v37
	v_sub_nc_u32_e32 v37, 29, v37
	v_lshlrev_b64 v[69:70], v46, v[49:50]
	v_and_b32_e32 v49, 7, v69
; %bb.518:                              ;   in Loop: Header=BB186_12 Depth=1
	s_or_b32 exec_lo, exec_lo, s45
	v_lshlrev_b32_e32 v46, 24, v48
	v_lshlrev_b32_e32 v49, 20, v49
	v_lshl_add_u32 v37, v37, 23, 0x3c000000
	v_and_b32_e32 v46, 0x80000000, v46
	v_or3_b32 v49, v49, v46, v37
	v_mov_b32_e32 v70, v50
	v_mov_b32_e32 v69, v49
.LBB186_519:                            ;   in Loop: Header=BB186_12 Depth=1
	s_or_b32 exec_lo, exec_lo, s44
.LBB186_520:                            ;   in Loop: Header=BB186_12 Depth=1
	s_or_b32 exec_lo, exec_lo, s43
.LBB186_521:                            ;   in Loop: Header=BB186_12 Depth=1
	s_or_b32 exec_lo, exec_lo, s42
	v_cmp_ne_u16_sdwa s3, v48, v50 src0_sel:BYTE_1 src1_sel:DWORD
	s_and_saveexec_b32 s42, s3
	s_cbranch_execz .LBB186_529
; %bb.522:                              ;   in Loop: Header=BB186_12 Depth=1
	v_mov_b32_e32 v37, v50
	v_mov_b32_e32 v54, v38
	v_cmp_ne_u16_sdwa s3, v48, v127 src0_sel:BYTE_1 src1_sel:DWORD
	v_mov_b32_e32 v53, v37
	s_and_saveexec_b32 s43, s3
	s_cbranch_execz .LBB186_528
; %bb.523:                              ;   in Loop: Header=BB186_12 Depth=1
	v_mov_b32_e32 v37, 0xffff
	v_mov_b32_e32 v73, v50
	s_mov_b32 s44, exec_lo
	v_and_b32_sdwa v37, v37, v48 dst_sel:DWORD dst_unused:UNUSED_PAD src0_sel:DWORD src1_sel:BYTE_1
	v_mov_b32_e32 v53, v73
	v_mov_b32_e32 v54, v74
	v_and_b32_e32 v46, 0x7f, v37
	v_cmpx_ne_u32_e32 0x7f, v46
	s_cbranch_execz .LBB186_527
; %bb.524:                              ;   in Loop: Header=BB186_12 Depth=1
	v_and_b32_e32 v49, 7, v37
	v_lshrrev_b32_e32 v37, 3, v46
	s_mov_b32 s45, exec_lo
	v_cmpx_gt_u32_e32 8, v46
; %bb.525:                              ;   in Loop: Header=BB186_12 Depth=1
	v_ffbh_u32_e32 v37, v49
	v_min_u32_e32 v37, 32, v37
	v_subrev_nc_u32_e32 v46, 28, v37
	v_sub_nc_u32_e32 v37, 29, v37
	v_lshlrev_b64 v[53:54], v46, v[49:50]
	v_and_b32_e32 v49, 7, v53
; %bb.526:                              ;   in Loop: Header=BB186_12 Depth=1
	s_or_b32 exec_lo, exec_lo, s45
	v_lshlrev_b32_e32 v46, 16, v48
	v_lshlrev_b32_e32 v48, 20, v49
	v_lshl_add_u32 v37, v37, 23, 0x3c000000
	v_mov_b32_e32 v53, v50
	v_and_b32_e32 v46, 0x80000000, v46
	v_or3_b32 v54, v48, v46, v37
.LBB186_527:                            ;   in Loop: Header=BB186_12 Depth=1
	s_or_b32 exec_lo, exec_lo, s44
.LBB186_528:                            ;   in Loop: Header=BB186_12 Depth=1
	s_or_b32 exec_lo, exec_lo, s43
.LBB186_529:                            ;   in Loop: Header=BB186_12 Depth=1
	s_or_b32 exec_lo, exec_lo, s42
	v_or_b32_e32 v4, v6, v4
	v_or_b32_e32 v5, v5, v3
	;; [unrolled: 1-line block ×5, first 2 shown]
	v_mul_f32_e32 v3, s41, v4
	v_mul_f32_e32 v4, s41, v5
	v_or_b32_e32 v5, v1, v71
	v_mul_f32_e32 v1, s41, v2
	v_or_b32_e32 v35, v35, v33
	v_or_b32_e32 v46, v51, v79
	v_mul_f32_e32 v33, s41, v34
	v_mul_f32_e32 v2, s41, v5
	v_or_b32_e32 v5, v68, v64
	s_clause 0x3
	buffer_load_dword v67, off, s[48:51], 0 offset:48
	buffer_load_dword v68, off, s[48:51], 0 offset:52
	;; [unrolled: 1-line block ×4, first 2 shown]
	v_mul_f32_e32 v34, s41, v35
	v_or_b32_e32 v35, v110, v108
	v_mul_f32_e32 v48, s41, v46
	v_or_b32_e32 v46, v109, v107
	v_or_b32_e32 v14, v16, v14
	;; [unrolled: 1-line block ×3, first 2 shown]
	v_mul_f32_e32 v36, s41, v35
	v_or_b32_e32 v35, v106, v104
	v_mul_f32_e32 v49, s41, v46
	v_or_b32_e32 v46, v105, v103
	v_or_b32_e32 v37, v78, v40
	;; [unrolled: 1-line block ×3, first 2 shown]
	v_mul_f32_e32 v51, s41, v35
	v_or_b32_e32 v35, v102, v100
	v_mul_f32_e32 v13, s41, v14
	v_mul_f32_e32 v14, s41, v15
	v_or_b32_e32 v12, v76, v12
	v_or_b32_e32 v15, v75, v11
	;; [unrolled: 1-line block ×3, first 2 shown]
	v_mul_f32_e32 v52, s41, v46
	v_or_b32_e32 v46, v101, v99
	v_mul_f32_e32 v57, s41, v35
	v_or_b32_e32 v35, v98, v96
	v_mul_f32_e32 v11, s41, v12
	v_mul_f32_e32 v12, s41, v15
	v_or_b32_e32 v15, v60, v58
	v_mul_f32_e32 v58, s41, v46
	v_or_b32_e32 v46, v97, v95
	;; [unrolled: 2-line block ×3, first 2 shown]
	v_or_b32_e32 v8, v10, v8
	v_or_b32_e32 v9, v9, v7
	;; [unrolled: 1-line block ×3, first 2 shown]
	v_mul_f32_e32 v60, s41, v46
	v_or_b32_e32 v46, v93, v91
	v_mul_f32_e32 v61, s41, v35
	v_or_b32_e32 v35, v90, v88
	v_mul_f32_e32 v7, s41, v8
	v_mul_f32_e32 v8, s41, v9
	v_or_b32_e32 v9, v66, v62
	v_mul_f32_e32 v62, s41, v46
	v_or_b32_e32 v46, v89, v87
	;; [unrolled: 2-line block ×3, first 2 shown]
	v_or_b32_e32 v39, v77, v39
	v_or_b32_e32 v30, v32, v30
	v_mul_f32_e32 v64, s41, v46
	v_or_b32_e32 v46, v85, v83
	v_mul_f32_e32 v65, s41, v35
	;; [unrolled: 2-line block ×5, first 2 shown]
	v_or_b32_e32 v31, v114, v112
	v_or_b32_e32 v32, v113, v111
	v_mul_f32_e32 v25, s41, v26
	v_mul_f32_e32 v26, s41, v27
	v_or_b32_e32 v27, v118, v116
	v_or_b32_e32 v28, v117, v115
	v_mul_f32_e32 v31, s41, v31
	v_mul_f32_e32 v32, s41, v32
	v_or_b32_e32 v22, v24, v22
	v_mul_f32_e32 v27, s41, v27
	v_mul_f32_e32 v28, s41, v28
	v_or_b32_e32 v23, v23, v21
	v_or_b32_e32 v18, v20, v18
	v_mul_f32_e32 v21, s41, v22
	v_or_b32_e32 v19, v19, v17
	v_or_b32_e32 v24, v121, v119
	v_mul_f32_e32 v22, s41, v23
	v_or_b32_e32 v23, v122, v120
	v_mul_f32_e32 v17, s41, v18
	v_mul_f32_e32 v18, s41, v19
	v_or_b32_e32 v19, v126, v124
	v_or_b32_e32 v20, v125, v123
	v_mul_f32_e32 v23, s41, v23
	v_mul_f32_e32 v24, s41, v24
	v_mul_f32_e32 v15, s41, v15
	v_mul_f32_e32 v19, s41, v19
	v_mul_f32_e32 v20, s41, v20
	v_mul_f32_e32 v16, s41, v16
	v_mul_f32_e32 v9, s41, v9
	v_mul_f32_e32 v10, s41, v10
	v_mul_f32_e32 v5, s41, v5
	v_mul_f32_e32 v6, s41, v6
	v_mul_f32_e32 v40, s41, v40
	v_mul_f32_e32 v37, s41, v37
	v_mul_f32_e32 v39, s41, v39
	s_waitcnt vmcnt(3)
	v_or_b32_e32 v46, v81, v67
	s_waitcnt vmcnt(2)
	v_or_b32_e32 v35, v82, v68
	;; [unrolled: 2-line block ×3, first 2 shown]
	v_mul_f32_e32 v68, s41, v46
	v_mul_f32_e32 v67, s41, v35
	s_waitcnt vmcnt(0)
	v_or_b32_e32 v35, v42, v72
	v_mul_f32_e32 v72, s41, v41
	s_clause 0x3
	buffer_load_dword v41, off, s[48:51], 0 offset:24
	buffer_load_dword v42, off, s[48:51], 0 offset:28
	;; [unrolled: 1-line block ×4, first 2 shown]
	v_mul_f32_e32 v71, s41, v35
	s_waitcnt vmcnt(1)
	v_or_b32_e32 v41, v75, v41
	s_waitcnt vmcnt(0)
	v_or_b32_e32 v35, v76, v42
	v_mul_f32_e32 v75, s41, v41
	s_clause 0x3
	buffer_load_dword v41, off, s[48:51], 0 offset:8
	buffer_load_dword v42, off, s[48:51], 0 offset:12
	;; [unrolled: 1-line block ×4, first 2 shown]
	v_mul_f32_e32 v73, s41, v35
	s_waitcnt vmcnt(1)
	v_or_b32_e32 v41, v76, v41
	s_waitcnt vmcnt(0)
	v_or_b32_e32 v35, v77, v42
	v_mul_f32_e32 v76, s41, v41
	s_clause 0x7
	buffer_load_dword v41, off, s[48:51], 0 offset:56
	buffer_load_dword v42, off, s[48:51], 0 offset:60
	buffer_load_dword v77, off, s[48:51], 0
	buffer_load_dword v78, off, s[48:51], 0 offset:4
	buffer_load_dword v79, off, s[48:51], 0 offset:252
	;; [unrolled: 1-line block ×5, first 2 shown]
	v_mul_f32_e32 v46, s41, v35
	s_waitcnt vmcnt(5)
	v_or_b32_e32 v41, v77, v41
	s_waitcnt vmcnt(4)
	v_or_b32_e32 v35, v78, v42
	v_or_b32_e32 v42, v53, v69
	s_waitcnt vmcnt(1)
	v_mul_f32_e32 v53, v81, v76
	v_mul_f32_e32 v78, s41, v41
	v_mbcnt_lo_u32_b32 v41, -1, 0
	v_mul_f32_e32 v77, s41, v35
	v_mul_f32_e32 v42, s41, v42
	v_fmac_f32_e32 v53, v79, v78
	v_xor_b32_e32 v35, 1, v41
	v_cmp_gt_i32_e64 s3, 32, v35
	v_cndmask_b32_e64 v35, v41, v35, s3
	v_or_b32_e32 v41, v54, v70
	s_waitcnt vmcnt(0)
	v_mul_f32_e32 v54, v82, v46
	v_lshlrev_b32_e32 v35, 2, v35
	v_mul_f32_e32 v41, s41, v41
	v_fmac_f32_e32 v54, v80, v77
	s_clause 0x3
	buffer_load_dword v76, off, s[48:51], 0 offset:236
	buffer_load_dword v77, off, s[48:51], 0 offset:240
	buffer_load_dword v78, off, s[48:51], 0 offset:244
	buffer_load_dword v79, off, s[48:51], 0 offset:248
	s_waitcnt vmcnt(3)
	v_fmac_f32_e32 v53, v76, v75
	s_waitcnt vmcnt(2)
	v_fmac_f32_e32 v54, v77, v73
	s_waitcnt vmcnt(1)
	v_fmac_f32_e32 v53, v78, v72
	s_waitcnt vmcnt(0)
	v_fmac_f32_e32 v54, v79, v71
	s_clause 0x3
	buffer_load_dword v69, off, s[48:51], 0 offset:220
	buffer_load_dword v70, off, s[48:51], 0 offset:224
	buffer_load_dword v71, off, s[48:51], 0 offset:228
	buffer_load_dword v72, off, s[48:51], 0 offset:232
	s_waitcnt vmcnt(3)
	v_fmac_f32_e32 v53, v69, v68
	s_waitcnt vmcnt(2)
	v_fmac_f32_e32 v54, v70, v67
	s_waitcnt vmcnt(1)
	v_fmac_f32_e32 v53, v71, v66
	s_waitcnt vmcnt(0)
	;; [unrolled: 13-line block ×9, first 2 shown]
	v_fmac_f32_e32 v54, v60, v1
	s_clause 0x3
	buffer_load_dword v57, off, s[48:51], 0 offset:92
	buffer_load_dword v58, off, s[48:51], 0 offset:96
	;; [unrolled: 1-line block ×4, first 2 shown]
	s_waitcnt vmcnt(3)
	v_fmac_f32_e32 v53, v57, v4
	s_waitcnt vmcnt(2)
	v_fmac_f32_e32 v54, v58, v3
	s_clause 0x3
	buffer_load_dword v1, off, s[48:51], 0 offset:76
	buffer_load_dword v2, off, s[48:51], 0 offset:80
	;; [unrolled: 1-line block ×4, first 2 shown]
	s_waitcnt vmcnt(5)
	v_fmac_f32_e32 v53, v59, v8
	s_waitcnt vmcnt(4)
	v_fmac_f32_e32 v54, v60, v7
	;; [unrolled: 2-line block ×4, first 2 shown]
	s_clause 0x1
	buffer_load_dword v1, off, s[48:51], 0 offset:68
	buffer_load_dword v2, off, s[48:51], 0 offset:72
	s_waitcnt vmcnt(3)
	v_fmac_f32_e32 v53, v3, v14
	s_waitcnt vmcnt(2)
	v_fmac_f32_e32 v54, v4, v13
	s_waitcnt vmcnt(1)
	v_fmac_f32_e32 v53, v1, v18
	s_waitcnt vmcnt(0)
	v_fmac_f32_e32 v54, v2, v17
	ds_read2_b64 v[1:4], v43 offset0:25 offset1:26
	s_waitcnt lgkmcnt(0)
	v_fmac_f32_e32 v53, v22, v1
	v_fmac_f32_e32 v54, v21, v2
	;; [unrolled: 1-line block ×4, first 2 shown]
	ds_read2_b64 v[1:4], v43 offset0:27 offset1:28
	s_waitcnt lgkmcnt(0)
	v_fmac_f32_e32 v53, v30, v1
	v_fmac_f32_e32 v54, v29, v2
	;; [unrolled: 1-line block ×4, first 2 shown]
	ds_read2_b64 v[1:4], v43 offset0:29 offset1:30
	s_waitcnt lgkmcnt(0)
	v_fmac_f32_e32 v53, v48, v1
	v_fmac_f32_e32 v54, v40, v2
	ds_read_b64 v[1:2], v43 offset:248
	v_fmac_f32_e32 v53, v39, v3
	v_fmac_f32_e32 v54, v37, v4
	s_waitcnt lgkmcnt(0)
	v_fmac_f32_e32 v53, v42, v1
	v_fmac_f32_e32 v54, v41, v2
	v_add_f32_e32 v1, v53, v54
	ds_bpermute_b32 v2, v35, v1
	s_and_saveexec_b32 s41, vcc_lo
	s_cbranch_execz .LBB186_10
; %bb.530:                              ;   in Loop: Header=BB186_12 Depth=1
	buffer_load_dword v3, off, s[48:51], 0 offset:284 ; 4-byte Folded Reload
	s_waitcnt lgkmcnt(0)
	v_add_f32_e32 v1, v1, v2
	buffer_load_dword v4, off, s[48:51], 0 offset:268 ; 4-byte Folded Reload
	s_waitcnt vmcnt(1)
	v_add_nc_u32_e32 v3, v3, v0
	v_cvt_f32_i32_e32 v3, v3
	v_mul_f32_e32 v3, s36, v3
	v_cndmask_b32_e64 v2, 0, v3, s2
	v_fmac_f32_e32 v2, s35, v1
	buffer_load_dword v1, off, s[48:51], 0 offset:280 ; 4-byte Folded Reload
	s_waitcnt vmcnt(1)
	v_max_f32_e32 v3, v4, v4
	v_max_f32_e32 v3, v3, v2
	s_waitcnt vmcnt(0)
	v_add_nc_u32_e32 v1, v1, v0
	v_cmp_gt_i32_e64 s3, s33, v1
	v_cndmask_b32_e64 v1, 0, v2, s3
	v_cndmask_b32_e64 v4, v4, v3, s3
	ds_write_b32 v45, v1
	buffer_store_dword v4, off, s[48:51], 0 offset:268 ; 4-byte Folded Spill
	s_branch .LBB186_10
.LBB186_531:
	s_or_b32 exec_lo, exec_lo, s39
	s_clause 0x4
	buffer_load_dword v118, off, s[48:51], 0 offset:288
	buffer_load_dword v119, off, s[48:51], 0 offset:292
	buffer_load_dword v12, off, s[48:51], 0 offset:296
	buffer_load_dword v13, off, s[48:51], 0 offset:300
	buffer_load_dword v3, off, s[48:51], 0 offset:268
.LBB186_532:
	s_or_b32 exec_lo, exec_lo, s37
	v_mbcnt_lo_u32_b32 v6, -1, 0
	s_waitcnt vmcnt(0)
	v_max_f32_e32 v4, v3, v3
	v_xor_b32_e32 v0, 16, v6
	s_waitcnt lgkmcnt(0)
	v_xor_b32_e32 v2, 8, v6
	v_xor_b32_e32 v5, 2, v6
	v_cmp_gt_i32_e32 vcc_lo, 32, v0
	v_cndmask_b32_e32 v0, v6, v0, vcc_lo
	v_cmp_gt_i32_e32 vcc_lo, 32, v2
	v_lshlrev_b32_e32 v1, 2, v0
	v_cndmask_b32_e32 v2, v6, v2, vcc_lo
	ds_bpermute_b32 v0, v1, v3
	v_lshlrev_b32_e32 v3, 2, v2
	s_waitcnt lgkmcnt(0)
	v_max_f32_e32 v0, v0, v0
	v_max_f32_e32 v0, v4, v0
	v_xor_b32_e32 v4, 4, v6
	ds_bpermute_b32 v2, v3, v0
	v_cmp_gt_i32_e32 vcc_lo, 32, v4
	v_cndmask_b32_e32 v4, v6, v4, vcc_lo
	v_cmp_gt_i32_e32 vcc_lo, 32, v5
	v_lshlrev_b32_e32 v4, 2, v4
	v_cndmask_b32_e32 v5, v6, v5, vcc_lo
	v_lshlrev_b32_e32 v25, 2, v5
	v_lshlrev_b32_e32 v5, 2, v119
	s_waitcnt lgkmcnt(0)
	v_max_f32_e32 v2, v2, v2
	v_max_f32_e32 v0, v0, v2
	ds_bpermute_b32 v2, v4, v0
	s_waitcnt lgkmcnt(0)
	v_max_f32_e32 v2, v2, v2
	v_max_f32_e32 v2, v0, v2
	v_and_b32_e32 v0, 31, v118
	ds_bpermute_b32 v6, v25, v2
	v_cmp_eq_u32_e32 vcc_lo, 0, v0
	s_and_saveexec_b32 s2, vcc_lo
	s_cbranch_execz .LBB186_534
; %bb.533:
	s_waitcnt lgkmcnt(0)
	v_max_f32_e32 v6, v6, v6
	v_max_f32_e32 v2, v2, v2
	;; [unrolled: 1-line block ×3, first 2 shown]
	ds_write_b32 v5, v2 offset:512
.LBB186_534:
	s_or_b32 exec_lo, exec_lo, s2
	v_cmp_gt_u32_e64 s2, 4, v0
	v_mov_b32_e32 v2, 0xff7fffff
	s_waitcnt lgkmcnt(0)
	v_lshlrev_b32_e32 v6, 2, v0
	s_waitcnt_vscnt null, 0x0
	s_barrier
	buffer_gl0_inv
	s_and_saveexec_b32 s3, s2
; %bb.535:
	ds_read_b32 v2, v6 offset:512
; %bb.536:
	s_or_b32 exec_lo, exec_lo, s3
	s_waitcnt lgkmcnt(0)
	ds_bpermute_b32 v7, v25, v2
	v_mbcnt_lo_u32_b32 v9, -1, 0
	v_max_f32_e32 v2, v2, v2
	v_xor_b32_e32 v8, 1, v9
	v_cmp_gt_i32_e64 s3, 32, v8
	v_cndmask_b32_e64 v8, v9, v8, s3
	s_lshl_b32 s3, s20, 4
	s_min_i32 s5, s3, s33
	s_waitcnt lgkmcnt(0)
	v_max_f32_e32 v7, v7, v7
	v_lshlrev_b32_e32 v26, 2, v8
	v_cmp_gt_i32_e64 s3, s5, v118
	v_max_f32_e32 v2, v2, v7
	ds_bpermute_b32 v7, v26, v2
	s_waitcnt lgkmcnt(0)
	v_max_f32_e32 v7, v7, v7
	v_max_f32_e32 v2, v2, v7
	v_mov_b32_e32 v7, 0
	ds_bpermute_b32 v8, v7, v2
	v_lshl_add_u32 v2, v118, 2, 0x220
	s_and_saveexec_b32 s12, s3
	s_cbranch_execz .LBB186_540
; %bb.537:
	v_lshl_add_u32 v9, v118, 2, 0x220
	v_mov_b32_e32 v7, 0
	v_mov_b32_e32 v10, v118
	s_mov_b32 s13, 0
	.p2align	6
.LBB186_538:                            ; =>This Inner Loop Header: Depth=1
	ds_read_b32 v11, v9
	v_add_nc_u32_e32 v10, 0x80, v10
	v_cmp_le_i32_e64 s4, s5, v10
	s_or_b32 s13, s4, s13
	s_waitcnt lgkmcnt(0)
	v_sub_f32_e32 v11, v11, v8
	v_mul_f32_e32 v11, 0x3fb8aa3b, v11
	v_exp_f32_e32 v11, v11
	ds_write_b32 v9, v11
	v_add_f32_e32 v7, v7, v11
	v_add_nc_u32_e32 v9, 0x200, v9
	s_andn2_b32 exec_lo, exec_lo, s13
	s_cbranch_execnz .LBB186_538
; %bb.539:
	s_or_b32 exec_lo, exec_lo, s13
.LBB186_540:
	s_or_b32 exec_lo, exec_lo, s12
	ds_bpermute_b32 v1, v1, v7
	s_waitcnt lgkmcnt(0)
	v_add_f32_e32 v1, v7, v1
	ds_bpermute_b32 v3, v3, v1
	s_waitcnt lgkmcnt(0)
	v_add_f32_e32 v1, v1, v3
	;; [unrolled: 3-line block ×5, first 2 shown]
	s_and_saveexec_b32 s4, vcc_lo
; %bb.541:
	ds_write_b32 v5, v1 offset:528
; %bb.542:
	s_or_b32 exec_lo, exec_lo, s4
	s_waitcnt lgkmcnt(0)
	s_barrier
	buffer_gl0_inv
	s_and_saveexec_b32 s4, s2
; %bb.543:
	ds_read_b32 v1, v6 offset:528
; %bb.544:
	s_or_b32 exec_lo, exec_lo, s4
	s_waitcnt lgkmcnt(0)
	ds_bpermute_b32 v3, v25, v1
	s_waitcnt lgkmcnt(0)
	v_add_f32_e32 v1, v1, v3
	ds_bpermute_b32 v3, v26, v1
	s_waitcnt lgkmcnt(0)
	v_add_f32_e32 v1, v1, v3
	v_mov_b32_e32 v3, 0
	ds_bpermute_b32 v1, v3, v1
	s_and_saveexec_b32 s2, s3
	s_cbranch_execz .LBB186_547
; %bb.545:
	s_waitcnt lgkmcnt(0)
	v_add_f32_e32 v1, 0x358637bd, v1
	s_mov_b32 s3, 0
	v_div_scale_f32 v3, null, v1, v1, 1.0
	v_div_scale_f32 v6, vcc_lo, 1.0, v1, 1.0
	v_rcp_f32_e32 v4, v3
	v_fma_f32 v5, -v3, v4, 1.0
	v_fmac_f32_e32 v4, v5, v4
	v_mul_f32_e32 v5, v6, v4
	v_fma_f32 v7, -v3, v5, v6
	v_fmac_f32_e32 v5, v7, v4
	v_fma_f32 v3, -v3, v5, v6
	v_div_fmas_f32 v3, v3, v4, v5
	v_div_fixup_f32 v1, v3, v1, 1.0
	v_mov_b32_e32 v3, v118
.LBB186_546:                            ; =>This Inner Loop Header: Depth=1
	ds_read_b32 v4, v2
	v_add_nc_u32_e32 v3, 0x80, v3
	v_cmp_le_i32_e32 vcc_lo, s5, v3
	s_or_b32 s3, vcc_lo, s3
	s_waitcnt lgkmcnt(0)
	v_mul_f32_e32 v4, v1, v4
	ds_write_b32 v2, v4
	v_add_nc_u32_e32 v2, 0x200, v2
	s_andn2_b32 exec_lo, exec_lo, s3
	s_cbranch_execnz .LBB186_546
.LBB186_547:
	s_or_b32 exec_lo, exec_lo, s2
	v_mov_b32_e32 v42, 0
	v_and_b32_e32 v27, 3, v118
	v_mov_b32_e32 v43, 0
	v_mov_b32_e32 v41, 0
	;; [unrolled: 1-line block ×15, first 2 shown]
	s_waitcnt lgkmcnt(0)
	s_barrier
	buffer_gl0_inv
	s_and_saveexec_b32 s2, s1
	s_cbranch_execz .LBB186_1097
; %bb.548:
	s_sub_i32 s3, s34, s21
	s_ashr_i32 s1, s18, 31
	s_add_u32 s18, s30, s18
	s_addc_u32 s1, s31, s1
	s_abs_i32 s4, s22
	v_and_b32_e32 v2, 0x7c, v12
	v_cvt_f32_u32_e32 v1, s4
	s_sub_i32 s5, 0, s4
	v_lshlrev_b32_e32 v4, 4, v27
	v_and_b32_e32 v3, 0x7c, v13
	v_add_co_u32 v11, s18, s18, v2
	v_rcp_iflag_f32_e32 v1, v1
	s_lshl_b64 s[12:13], s[28:29], 2
	v_lshl_or_b32 v4, v119, 6, v4
	v_and_b32_e32 v45, 12, v12
	v_add_co_ci_u32_e64 v12, null, s1, 0, s18
	v_mov_b32_e32 v6, 0
	v_mov_b32_e32 v46, 0x80
	v_bfrev_b32_e32 v8, 1
	v_mov_b32_e32 v47, 0xffff
	v_mul_f32_e32 v1, 0x4f7ffffe, v1
	v_mov_b32_e32 v10, 0x7f800001
	v_mov_b32_e32 v48, 0xff
	;; [unrolled: 1-line block ×4, first 2 shown]
	v_cvt_u32_f32_e32 v1, v1
	v_mov_b32_e32 v28, 0
	v_mov_b32_e32 v29, 0
	;; [unrolled: 1-line block ×4, first 2 shown]
	v_mul_lo_u32 v5, s5, v1
	s_add_i32 s5, s20, -1
	s_add_u32 s1, s26, s12
	s_addc_u32 s12, s27, s13
	v_add_co_u32 v13, s1, s1, v3
	v_mov_b32_e32 v32, 0
	v_mov_b32_e32 v33, 0
	v_mul_hi_u32 v2, v1, v5
	v_mov_b32_e32 v34, 0
	v_add_co_ci_u32_e64 v14, null, s12, 0, s1
	v_add_nc_u32_e32 v51, 0x220, v4
	v_mov_b32_e32 v35, 0
	v_mov_b32_e32 v36, 0
	;; [unrolled: 1-line block ×3, first 2 shown]
	v_add_nc_u32_e32 v52, v1, v2
	v_mov_b32_e32 v38, 0
	v_mov_b32_e32 v39, 0
	;; [unrolled: 1-line block ×7, first 2 shown]
	s_mov_b32 s13, s17
	s_mov_b32 s12, 0
	s_branch .LBB186_551
.LBB186_549:                            ;   in Loop: Header=BB186_551 Depth=1
	s_or_b32 exec_lo, exec_lo, s1
	v_mul_f32_e32 v16, v1, v115
	v_mul_f32_e32 v17, v1, v113
	;; [unrolled: 1-line block ×5, first 2 shown]
	v_fmac_f32_e32 v16, v2, v114
	v_fmac_f32_e32 v17, v2, v112
	;; [unrolled: 1-line block ×15, first 2 shown]
	v_add_f32_e32 v29, v29, v16
	v_add_f32_e32 v30, v30, v17
	;; [unrolled: 1-line block ×4, first 2 shown]
	v_mul_f32_e32 v16, v1, v93
	v_mul_f32_e32 v17, v1, v89
	;; [unrolled: 1-line block ×5, first 2 shown]
	v_fmac_f32_e32 v16, v2, v92
	v_fmac_f32_e32 v17, v2, v88
	;; [unrolled: 1-line block ×4, first 2 shown]
	v_add_f32_e32 v33, v33, v20
	v_fmac_f32_e32 v16, v3, v91
	v_fmac_f32_e32 v17, v3, v87
	;; [unrolled: 1-line block ×4, first 2 shown]
	v_mul_f32_e32 v20, v1, v77
	v_fmac_f32_e32 v16, v4, v90
	v_fmac_f32_e32 v17, v4, v86
	;; [unrolled: 1-line block ×5, first 2 shown]
	v_add_f32_e32 v35, v35, v16
	v_add_f32_e32 v36, v36, v17
	;; [unrolled: 1-line block ×4, first 2 shown]
	v_mul_f32_e32 v16, v1, v73
	v_mul_f32_e32 v17, v1, v69
	;; [unrolled: 1-line block ×5, first 2 shown]
	v_fmac_f32_e32 v20, v2, v76
	v_fmac_f32_e32 v16, v2, v72
	;; [unrolled: 1-line block ×20, first 2 shown]
	v_add_f32_e32 v34, v34, v21
	v_add_f32_e32 v39, v39, v20
	;; [unrolled: 1-line block ×7, first 2 shown]
.LBB186_550:                            ;   in Loop: Header=BB186_551 Depth=1
	s_or_b32 exec_lo, exec_lo, s17
	v_add_nc_u32_e32 v53, 4, v53
	v_add_co_u32 v13, s1, v13, 16
	v_add_co_ci_u32_e64 v14, null, 0, v14, s1
	v_cmp_le_i32_e32 vcc_lo, s20, v53
	v_add_nc_u32_e32 v44, 64, v44
	v_add_nc_u32_e32 v51, 0x100, v51
	s_or_b32 s12, vcc_lo, s12
	s_andn2_b32 exec_lo, exec_lo, s12
	s_cbranch_execz .LBB186_1096
.LBB186_551:                            ; =>This Inner Loop Header: Depth=1
	v_mul_hi_u32 v1, v44, s19
	v_mul_lo_u32 v2, v1, s16
	v_add_nc_u32_e32 v3, 1, v1
	v_sub_nc_u32_e32 v2, v44, v2
	v_subrev_nc_u32_e32 v4, s16, v2
	v_cmp_le_u32_e32 vcc_lo, s16, v2
	v_cndmask_b32_e32 v1, v1, v3, vcc_lo
	v_cndmask_b32_e32 v2, v2, v4, vcc_lo
	v_add_nc_u32_e32 v3, 1, v1
	v_cmp_le_u32_e32 vcc_lo, s16, v2
	v_cndmask_b32_e32 v1, v1, v3, vcc_lo
	v_xor_b32_e32 v1, s23, v1
	v_subrev_nc_u32_e32 v1, s23, v1
	v_add_nc_u32_e32 v2, s25, v1
	v_cmp_lt_i32_e64 s1, s3, v1
	v_sub_nc_u32_e32 v3, 0, v2
	v_max_i32_e32 v3, v2, v3
	v_ashrrev_i32_e32 v2, 31, v2
	v_mul_hi_u32 v4, v3, v52
	v_mul_lo_u32 v4, v4, s4
	v_sub_nc_u32_e32 v3, v3, v4
	v_subrev_nc_u32_e32 v4, s4, v3
	v_cmp_le_u32_e32 vcc_lo, s4, v3
	v_cndmask_b32_e32 v3, v3, v4, vcc_lo
	v_subrev_nc_u32_e32 v4, s4, v3
	v_cmp_le_u32_e32 vcc_lo, s4, v3
	v_cndmask_b32_e32 v3, v3, v4, vcc_lo
	v_xor_b32_e32 v3, v3, v2
	v_sub_nc_u32_e32 v2, v3, v2
	v_cmp_eq_u32_e32 vcc_lo, 0, v2
	s_or_b32 s1, vcc_lo, s1
	s_and_saveexec_b32 s17, s1
	s_cbranch_execz .LBB186_550
; %bb.552:                              ;   in Loop: Header=BB186_551 Depth=1
	global_load_dword v1, v[13:14], off
	s_load_dword s18, s[14:15], 0x0
	v_mov_b32_e32 v19, 0
	v_mov_b32_e32 v17, 0
	;; [unrolled: 1-line block ×4, first 2 shown]
	s_waitcnt vmcnt(0)
	v_mad_i64_i32 v[15:16], null, v1, s13, v[11:12]
	ds_read_b128 v[1:4], v51
	global_load_dword v54, v[15:16], off
	s_waitcnt vmcnt(0)
	v_cmp_ne_u16_sdwa s21, v54, v6 src0_sel:BYTE_0 src1_sel:DWORD
	s_and_saveexec_b32 s1, s21
	s_cbranch_execz .LBB186_560
; %bb.553:                              ;   in Loop: Header=BB186_551 Depth=1
	v_bfrev_b32_e32 v17, 1
	v_mov_b32_e32 v18, 0
	v_cmp_ne_u16_sdwa s22, v54, v46 src0_sel:BYTE_0 src1_sel:DWORD
	s_and_saveexec_b32 s21, s22
	s_cbranch_execz .LBB186_559
; %bb.554:                              ;   in Loop: Header=BB186_551 Depth=1
	v_mov_b32_e32 v17, 0x7f800001
	v_and_b32_e32 v9, 0x7f, v54
	v_mov_b32_e32 v18, 0
	s_mov_b32 s22, exec_lo
	v_cmpx_ne_u32_e32 0x7f, v9
	s_cbranch_execz .LBB186_558
; %bb.555:                              ;   in Loop: Header=BB186_551 Depth=1
	v_and_b32_e32 v5, 7, v54
	v_lshrrev_b32_e32 v7, 3, v9
	s_mov_b32 s26, exec_lo
	v_cmpx_gt_u32_e32 8, v9
; %bb.556:                              ;   in Loop: Header=BB186_551 Depth=1
	v_ffbh_u32_e32 v7, v5
	v_min_u32_e32 v7, 32, v7
	v_subrev_nc_u32_e32 v9, 28, v7
	v_sub_nc_u32_e32 v7, 29, v7
	v_lshlrev_b64 v[17:18], v9, v[5:6]
	v_and_b32_e32 v5, 7, v17
; %bb.557:                              ;   in Loop: Header=BB186_551 Depth=1
	s_or_b32 exec_lo, exec_lo, s26
	v_lshlrev_b32_e32 v9, 24, v54
	v_lshlrev_b32_e32 v5, 20, v5
	v_lshl_add_u32 v7, v7, 23, 0x3c000000
	v_and_b32_e32 v9, 0x80000000, v9
	v_or3_b32 v5, v5, v9, v7
	v_mov_b32_e32 v18, v6
	v_mov_b32_e32 v17, v5
.LBB186_558:                            ;   in Loop: Header=BB186_551 Depth=1
	s_or_b32 exec_lo, exec_lo, s22
.LBB186_559:                            ;   in Loop: Header=BB186_551 Depth=1
	s_or_b32 exec_lo, exec_lo, s21
.LBB186_560:                            ;   in Loop: Header=BB186_551 Depth=1
	s_or_b32 exec_lo, exec_lo, s1
	v_cmp_ne_u16_sdwa s21, v54, v6 src0_sel:BYTE_1 src1_sel:DWORD
	s_and_saveexec_b32 s1, s21
	s_cbranch_execz .LBB186_568
; %bb.561:                              ;   in Loop: Header=BB186_551 Depth=1
	v_mov_b32_e32 v7, v6
	v_mov_b32_e32 v20, v8
	v_cmp_ne_u16_sdwa s22, v54, v46 src0_sel:BYTE_1 src1_sel:DWORD
	v_mov_b32_e32 v19, v7
	s_and_saveexec_b32 s21, s22
	s_cbranch_execz .LBB186_567
; %bb.562:                              ;   in Loop: Header=BB186_551 Depth=1
	v_and_b32_sdwa v5, v47, v54 dst_sel:DWORD dst_unused:UNUSED_PAD src0_sel:DWORD src1_sel:BYTE_1
	v_mov_b32_e32 v9, v6
	v_mov_b32_e32 v20, v10
	s_mov_b32 s22, exec_lo
	v_and_b32_e32 v21, 0x7f, v5
	v_mov_b32_e32 v19, v9
	v_cmpx_ne_u32_e32 0x7f, v21
	s_cbranch_execz .LBB186_566
; %bb.563:                              ;   in Loop: Header=BB186_551 Depth=1
	v_and_b32_e32 v5, 7, v5
	v_lshrrev_b32_e32 v7, 3, v21
	s_mov_b32 s26, exec_lo
	v_cmpx_gt_u32_e32 8, v21
; %bb.564:                              ;   in Loop: Header=BB186_551 Depth=1
	v_ffbh_u32_e32 v7, v5
	v_min_u32_e32 v7, 32, v7
	v_subrev_nc_u32_e32 v9, 28, v7
	v_sub_nc_u32_e32 v7, 29, v7
	v_lshlrev_b64 v[19:20], v9, v[5:6]
	v_and_b32_e32 v5, 7, v19
; %bb.565:                              ;   in Loop: Header=BB186_551 Depth=1
	s_or_b32 exec_lo, exec_lo, s26
	v_lshlrev_b32_e32 v9, 16, v54
	v_lshlrev_b32_e32 v5, 20, v5
	v_lshl_add_u32 v7, v7, 23, 0x3c000000
	v_mov_b32_e32 v19, v6
	v_and_b32_e32 v9, 0x80000000, v9
	v_or3_b32 v20, v5, v9, v7
.LBB186_566:                            ;   in Loop: Header=BB186_551 Depth=1
	s_or_b32 exec_lo, exec_lo, s22
.LBB186_567:                            ;   in Loop: Header=BB186_551 Depth=1
	s_or_b32 exec_lo, exec_lo, s21
.LBB186_568:                            ;   in Loop: Header=BB186_551 Depth=1
	s_or_b32 exec_lo, exec_lo, s1
	v_mov_b32_e32 v23, 0
	v_mov_b32_e32 v21, 0
	v_and_b32_sdwa v5, v54, v48 dst_sel:DWORD dst_unused:UNUSED_PAD src0_sel:WORD_1 src1_sel:DWORD
	v_mov_b32_e32 v24, 0
	v_mov_b32_e32 v22, 0
	s_mov_b32 s1, exec_lo
	v_cmpx_ne_u16_e32 0, v5
	s_cbranch_execz .LBB186_576
; %bb.569:                              ;   in Loop: Header=BB186_551 Depth=1
	v_bfrev_b32_e32 v21, 1
	v_mov_b32_e32 v22, 0
	s_mov_b32 s21, exec_lo
	v_cmpx_ne_u16_e32 0x80, v5
	s_cbranch_execz .LBB186_575
; %bb.570:                              ;   in Loop: Header=BB186_551 Depth=1
	v_mov_b32_e32 v21, 0x7f800001
	v_bfe_u32 v9, v54, 16, 7
	v_mov_b32_e32 v22, 0
	s_mov_b32 s22, exec_lo
	v_cmpx_ne_u32_e32 0x7f, v9
	s_cbranch_execz .LBB186_574
; %bb.571:                              ;   in Loop: Header=BB186_551 Depth=1
	v_and_b32_sdwa v5, v54, v49 dst_sel:DWORD dst_unused:UNUSED_PAD src0_sel:WORD_1 src1_sel:DWORD
	v_lshrrev_b32_e32 v7, 3, v9
	s_mov_b32 s26, exec_lo
	v_cmpx_gt_u32_e32 8, v9
; %bb.572:                              ;   in Loop: Header=BB186_551 Depth=1
	v_ffbh_u32_e32 v7, v5
	v_min_u32_e32 v7, 32, v7
	v_subrev_nc_u32_e32 v9, 28, v7
	v_sub_nc_u32_e32 v7, 29, v7
	v_lshlrev_b64 v[21:22], v9, v[5:6]
	v_and_b32_e32 v5, 7, v21
; %bb.573:                              ;   in Loop: Header=BB186_551 Depth=1
	s_or_b32 exec_lo, exec_lo, s26
	v_lshlrev_b32_sdwa v9, v50, v54 dst_sel:DWORD dst_unused:UNUSED_PAD src0_sel:DWORD src1_sel:WORD_1
	v_lshlrev_b32_e32 v5, 20, v5
	v_lshl_add_u32 v7, v7, 23, 0x3c000000
	v_and_b32_e32 v9, 0x80000000, v9
	v_or3_b32 v5, v5, v9, v7
	v_mov_b32_e32 v22, v6
	v_mov_b32_e32 v21, v5
.LBB186_574:                            ;   in Loop: Header=BB186_551 Depth=1
	s_or_b32 exec_lo, exec_lo, s22
.LBB186_575:                            ;   in Loop: Header=BB186_551 Depth=1
	s_or_b32 exec_lo, exec_lo, s21
.LBB186_576:                            ;   in Loop: Header=BB186_551 Depth=1
	s_or_b32 exec_lo, exec_lo, s1
	s_mov_b32 s1, exec_lo
	v_cmpx_lt_u32_e32 0xffffff, v54
	s_cbranch_execz .LBB186_584
; %bb.577:                              ;   in Loop: Header=BB186_551 Depth=1
	v_mov_b32_e32 v7, v6
	v_mov_b32_e32 v24, v8
	v_cmp_ne_u32_sdwa s22, v54, v46 src0_sel:BYTE_3 src1_sel:DWORD
	v_mov_b32_e32 v23, v7
	s_and_saveexec_b32 s21, s22
	s_cbranch_execz .LBB186_583
; %bb.578:                              ;   in Loop: Header=BB186_551 Depth=1
	v_mov_b32_e32 v9, v6
	v_mov_b32_e32 v24, v10
	v_bfe_u32 v55, v54, 24, 7
	s_mov_b32 s22, exec_lo
	v_mov_b32_e32 v23, v9
	v_cmpx_ne_u32_e32 0x7f, v55
	s_cbranch_execz .LBB186_582
; %bb.579:                              ;   in Loop: Header=BB186_551 Depth=1
	v_and_b32_sdwa v5, v54, v49 dst_sel:DWORD dst_unused:UNUSED_PAD src0_sel:BYTE_3 src1_sel:DWORD
	v_lshrrev_b32_e32 v7, 3, v55
	s_mov_b32 s26, exec_lo
	v_cmpx_gt_u32_e32 8, v55
; %bb.580:                              ;   in Loop: Header=BB186_551 Depth=1
	v_ffbh_u32_e32 v7, v5
	v_min_u32_e32 v7, 32, v7
	v_subrev_nc_u32_e32 v9, 28, v7
	v_sub_nc_u32_e32 v7, 29, v7
	v_lshlrev_b64 v[23:24], v9, v[5:6]
	v_and_b32_e32 v5, 7, v23
; %bb.581:                              ;   in Loop: Header=BB186_551 Depth=1
	s_or_b32 exec_lo, exec_lo, s26
	v_lshlrev_b32_sdwa v9, v50, v54 dst_sel:DWORD dst_unused:UNUSED_PAD src0_sel:DWORD src1_sel:BYTE_3
	v_lshlrev_b32_e32 v5, 20, v5
	v_lshl_add_u32 v7, v7, 23, 0x3c000000
	v_mov_b32_e32 v23, v6
	v_and_b32_e32 v9, 0x80000000, v9
	v_or3_b32 v24, v5, v9, v7
.LBB186_582:                            ;   in Loop: Header=BB186_551 Depth=1
	s_or_b32 exec_lo, exec_lo, s22
.LBB186_583:                            ;   in Loop: Header=BB186_551 Depth=1
	s_or_b32 exec_lo, exec_lo, s21
.LBB186_584:                            ;   in Loop: Header=BB186_551 Depth=1
	s_or_b32 exec_lo, exec_lo, s1
	v_add_nc_u32_e32 v58, v45, v44
	v_or_b32_e32 v5, v20, v18
	v_or_b32_e32 v7, v19, v17
	;; [unrolled: 1-line block ×4, first 2 shown]
	v_cmp_eq_u32_e32 vcc_lo, s5, v53
	s_waitcnt lgkmcnt(0)
	v_mul_f32_e32 v56, s18, v5
	v_mul_f32_e32 v57, s18, v7
	;; [unrolled: 1-line block ×4, first 2 shown]
	v_add_nc_u32_e32 v61, 1, v58
	v_add_nc_u32_e32 v60, 2, v58
	v_add_nc_u32_e32 v59, 3, v58
	s_and_saveexec_b32 s21, vcc_lo
	s_cbranch_execz .LBB186_586
; %bb.585:                              ;   in Loop: Header=BB186_551 Depth=1
	v_cmp_gt_i32_e64 s1, s33, v58
	v_cndmask_b32_e64 v57, 0, v57, s1
	v_cmp_gt_i32_e64 s1, s33, v61
	v_cndmask_b32_e64 v56, 0, v56, s1
	;; [unrolled: 2-line block ×4, first 2 shown]
.LBB186_586:                            ;   in Loop: Header=BB186_551 Depth=1
	s_or_b32 exec_lo, exec_lo, s21
	global_load_dword v62, v[15:16], off offset:128
	v_mov_b32_e32 v19, 0
	v_mov_b32_e32 v17, 0
	;; [unrolled: 1-line block ×4, first 2 shown]
	s_waitcnt vmcnt(0)
	v_cmp_ne_u16_sdwa s1, v62, v6 src0_sel:BYTE_0 src1_sel:DWORD
	s_and_saveexec_b32 s21, s1
	s_cbranch_execz .LBB186_594
; %bb.587:                              ;   in Loop: Header=BB186_551 Depth=1
	v_bfrev_b32_e32 v17, 1
	v_mov_b32_e32 v18, 0
	v_cmp_ne_u16_sdwa s1, v62, v46 src0_sel:BYTE_0 src1_sel:DWORD
	s_and_saveexec_b32 s22, s1
	s_cbranch_execz .LBB186_593
; %bb.588:                              ;   in Loop: Header=BB186_551 Depth=1
	v_mov_b32_e32 v17, 0x7f800001
	v_and_b32_e32 v9, 0x7f, v62
	v_mov_b32_e32 v18, 0
	s_mov_b32 s26, exec_lo
	v_cmpx_ne_u32_e32 0x7f, v9
	s_cbranch_execz .LBB186_592
; %bb.589:                              ;   in Loop: Header=BB186_551 Depth=1
	v_and_b32_e32 v5, 7, v62
	v_lshrrev_b32_e32 v7, 3, v9
	s_mov_b32 s27, exec_lo
	v_cmpx_gt_u32_e32 8, v9
; %bb.590:                              ;   in Loop: Header=BB186_551 Depth=1
	v_ffbh_u32_e32 v7, v5
	v_min_u32_e32 v7, 32, v7
	v_subrev_nc_u32_e32 v9, 28, v7
	v_sub_nc_u32_e32 v7, 29, v7
	v_lshlrev_b64 v[17:18], v9, v[5:6]
	v_and_b32_e32 v5, 7, v17
; %bb.591:                              ;   in Loop: Header=BB186_551 Depth=1
	s_or_b32 exec_lo, exec_lo, s27
	v_lshlrev_b32_e32 v9, 24, v62
	v_lshlrev_b32_e32 v5, 20, v5
	v_lshl_add_u32 v7, v7, 23, 0x3c000000
	v_and_b32_e32 v9, 0x80000000, v9
	v_or3_b32 v5, v5, v9, v7
	v_mov_b32_e32 v18, v6
	v_mov_b32_e32 v17, v5
.LBB186_592:                            ;   in Loop: Header=BB186_551 Depth=1
	s_or_b32 exec_lo, exec_lo, s26
.LBB186_593:                            ;   in Loop: Header=BB186_551 Depth=1
	s_or_b32 exec_lo, exec_lo, s22
.LBB186_594:                            ;   in Loop: Header=BB186_551 Depth=1
	s_or_b32 exec_lo, exec_lo, s21
	v_cmp_ne_u16_sdwa s1, v62, v6 src0_sel:BYTE_1 src1_sel:DWORD
	s_and_saveexec_b32 s21, s1
	s_cbranch_execz .LBB186_602
; %bb.595:                              ;   in Loop: Header=BB186_551 Depth=1
	v_mov_b32_e32 v7, v6
	v_mov_b32_e32 v20, v8
	v_cmp_ne_u16_sdwa s1, v62, v46 src0_sel:BYTE_1 src1_sel:DWORD
	v_mov_b32_e32 v19, v7
	s_and_saveexec_b32 s22, s1
	s_cbranch_execz .LBB186_601
; %bb.596:                              ;   in Loop: Header=BB186_551 Depth=1
	v_and_b32_sdwa v5, v47, v62 dst_sel:DWORD dst_unused:UNUSED_PAD src0_sel:DWORD src1_sel:BYTE_1
	v_mov_b32_e32 v9, v6
	v_mov_b32_e32 v20, v10
	s_mov_b32 s26, exec_lo
	v_and_b32_e32 v21, 0x7f, v5
	v_mov_b32_e32 v19, v9
	v_cmpx_ne_u32_e32 0x7f, v21
	s_cbranch_execz .LBB186_600
; %bb.597:                              ;   in Loop: Header=BB186_551 Depth=1
	v_and_b32_e32 v5, 7, v5
	v_lshrrev_b32_e32 v7, 3, v21
	s_mov_b32 s27, exec_lo
	v_cmpx_gt_u32_e32 8, v21
; %bb.598:                              ;   in Loop: Header=BB186_551 Depth=1
	v_ffbh_u32_e32 v7, v5
	v_min_u32_e32 v7, 32, v7
	v_subrev_nc_u32_e32 v9, 28, v7
	v_sub_nc_u32_e32 v7, 29, v7
	v_lshlrev_b64 v[19:20], v9, v[5:6]
	v_and_b32_e32 v5, 7, v19
; %bb.599:                              ;   in Loop: Header=BB186_551 Depth=1
	s_or_b32 exec_lo, exec_lo, s27
	v_lshlrev_b32_e32 v9, 16, v62
	v_lshlrev_b32_e32 v5, 20, v5
	v_lshl_add_u32 v7, v7, 23, 0x3c000000
	v_mov_b32_e32 v19, v6
	v_and_b32_e32 v9, 0x80000000, v9
	v_or3_b32 v20, v5, v9, v7
.LBB186_600:                            ;   in Loop: Header=BB186_551 Depth=1
	s_or_b32 exec_lo, exec_lo, s26
.LBB186_601:                            ;   in Loop: Header=BB186_551 Depth=1
	s_or_b32 exec_lo, exec_lo, s22
.LBB186_602:                            ;   in Loop: Header=BB186_551 Depth=1
	s_or_b32 exec_lo, exec_lo, s21
	v_mov_b32_e32 v23, 0
	v_mov_b32_e32 v21, 0
	v_and_b32_sdwa v5, v62, v48 dst_sel:DWORD dst_unused:UNUSED_PAD src0_sel:WORD_1 src1_sel:DWORD
	v_mov_b32_e32 v24, 0
	v_mov_b32_e32 v22, 0
	s_mov_b32 s21, exec_lo
	v_cmpx_ne_u16_e32 0, v5
	s_cbranch_execz .LBB186_610
; %bb.603:                              ;   in Loop: Header=BB186_551 Depth=1
	v_bfrev_b32_e32 v21, 1
	v_mov_b32_e32 v22, 0
	s_mov_b32 s22, exec_lo
	v_cmpx_ne_u16_e32 0x80, v5
	s_cbranch_execz .LBB186_609
; %bb.604:                              ;   in Loop: Header=BB186_551 Depth=1
	v_mov_b32_e32 v21, 0x7f800001
	v_bfe_u32 v9, v62, 16, 7
	v_mov_b32_e32 v22, 0
	s_mov_b32 s26, exec_lo
	v_cmpx_ne_u32_e32 0x7f, v9
	s_cbranch_execz .LBB186_608
; %bb.605:                              ;   in Loop: Header=BB186_551 Depth=1
	v_and_b32_sdwa v5, v62, v49 dst_sel:DWORD dst_unused:UNUSED_PAD src0_sel:WORD_1 src1_sel:DWORD
	v_lshrrev_b32_e32 v7, 3, v9
	s_mov_b32 s27, exec_lo
	v_cmpx_gt_u32_e32 8, v9
; %bb.606:                              ;   in Loop: Header=BB186_551 Depth=1
	v_ffbh_u32_e32 v7, v5
	v_min_u32_e32 v7, 32, v7
	v_subrev_nc_u32_e32 v9, 28, v7
	v_sub_nc_u32_e32 v7, 29, v7
	v_lshlrev_b64 v[21:22], v9, v[5:6]
	v_and_b32_e32 v5, 7, v21
; %bb.607:                              ;   in Loop: Header=BB186_551 Depth=1
	s_or_b32 exec_lo, exec_lo, s27
	v_lshlrev_b32_sdwa v9, v50, v62 dst_sel:DWORD dst_unused:UNUSED_PAD src0_sel:DWORD src1_sel:WORD_1
	v_lshlrev_b32_e32 v5, 20, v5
	v_lshl_add_u32 v7, v7, 23, 0x3c000000
	v_and_b32_e32 v9, 0x80000000, v9
	v_or3_b32 v5, v5, v9, v7
	v_mov_b32_e32 v22, v6
	v_mov_b32_e32 v21, v5
.LBB186_608:                            ;   in Loop: Header=BB186_551 Depth=1
	s_or_b32 exec_lo, exec_lo, s26
.LBB186_609:                            ;   in Loop: Header=BB186_551 Depth=1
	s_or_b32 exec_lo, exec_lo, s22
.LBB186_610:                            ;   in Loop: Header=BB186_551 Depth=1
	s_or_b32 exec_lo, exec_lo, s21
	s_mov_b32 s21, exec_lo
	v_cmpx_lt_u32_e32 0xffffff, v62
	s_cbranch_execz .LBB186_618
; %bb.611:                              ;   in Loop: Header=BB186_551 Depth=1
	v_mov_b32_e32 v7, v6
	v_mov_b32_e32 v24, v8
	v_cmp_ne_u32_sdwa s1, v62, v46 src0_sel:BYTE_3 src1_sel:DWORD
	v_mov_b32_e32 v23, v7
	s_and_saveexec_b32 s22, s1
	s_cbranch_execz .LBB186_617
; %bb.612:                              ;   in Loop: Header=BB186_551 Depth=1
	v_mov_b32_e32 v9, v6
	v_mov_b32_e32 v24, v10
	v_bfe_u32 v63, v62, 24, 7
	s_mov_b32 s26, exec_lo
	v_mov_b32_e32 v23, v9
	v_cmpx_ne_u32_e32 0x7f, v63
	s_cbranch_execz .LBB186_616
; %bb.613:                              ;   in Loop: Header=BB186_551 Depth=1
	v_and_b32_sdwa v5, v62, v49 dst_sel:DWORD dst_unused:UNUSED_PAD src0_sel:BYTE_3 src1_sel:DWORD
	v_lshrrev_b32_e32 v7, 3, v63
	s_mov_b32 s27, exec_lo
	v_cmpx_gt_u32_e32 8, v63
; %bb.614:                              ;   in Loop: Header=BB186_551 Depth=1
	v_ffbh_u32_e32 v7, v5
	v_min_u32_e32 v7, 32, v7
	v_subrev_nc_u32_e32 v9, 28, v7
	v_sub_nc_u32_e32 v7, 29, v7
	v_lshlrev_b64 v[23:24], v9, v[5:6]
	v_and_b32_e32 v5, 7, v23
; %bb.615:                              ;   in Loop: Header=BB186_551 Depth=1
	s_or_b32 exec_lo, exec_lo, s27
	v_lshlrev_b32_sdwa v9, v50, v62 dst_sel:DWORD dst_unused:UNUSED_PAD src0_sel:DWORD src1_sel:BYTE_3
	v_lshlrev_b32_e32 v5, 20, v5
	v_lshl_add_u32 v7, v7, 23, 0x3c000000
	v_mov_b32_e32 v23, v6
	v_and_b32_e32 v9, 0x80000000, v9
	v_or3_b32 v24, v5, v9, v7
.LBB186_616:                            ;   in Loop: Header=BB186_551 Depth=1
	s_or_b32 exec_lo, exec_lo, s26
.LBB186_617:                            ;   in Loop: Header=BB186_551 Depth=1
	s_or_b32 exec_lo, exec_lo, s22
.LBB186_618:                            ;   in Loop: Header=BB186_551 Depth=1
	s_or_b32 exec_lo, exec_lo, s21
	v_or_b32_e32 v5, v20, v18
	v_or_b32_e32 v7, v19, v17
	;; [unrolled: 1-line block ×4, first 2 shown]
	s_mov_b32 s21, s18
	v_mul_f32_e32 v64, s21, v5
	v_mul_f32_e32 v65, s18, v7
	;; [unrolled: 1-line block ×4, first 2 shown]
	s_and_saveexec_b32 s22, vcc_lo
	s_cbranch_execz .LBB186_620
; %bb.619:                              ;   in Loop: Header=BB186_551 Depth=1
	v_cmp_gt_i32_e64 s1, s33, v58
	v_cndmask_b32_e64 v65, 0, v65, s1
	v_cmp_gt_i32_e64 s1, s33, v61
	v_cndmask_b32_e64 v64, 0, v64, s1
	v_cmp_gt_i32_e64 s1, s33, v60
	v_cndmask_b32_e64 v63, 0, v63, s1
	v_cmp_gt_i32_e64 s1, s33, v59
	v_cndmask_b32_e64 v62, 0, v62, s1
.LBB186_620:                            ;   in Loop: Header=BB186_551 Depth=1
	s_or_b32 exec_lo, exec_lo, s22
	global_load_dword v66, v[15:16], off offset:256
	v_mov_b32_e32 v19, 0
	v_mov_b32_e32 v17, 0
	;; [unrolled: 1-line block ×4, first 2 shown]
	s_waitcnt vmcnt(0)
	v_cmp_ne_u16_sdwa s1, v66, v6 src0_sel:BYTE_0 src1_sel:DWORD
	s_and_saveexec_b32 s22, s1
	s_cbranch_execz .LBB186_628
; %bb.621:                              ;   in Loop: Header=BB186_551 Depth=1
	v_bfrev_b32_e32 v17, 1
	v_mov_b32_e32 v18, 0
	v_cmp_ne_u16_sdwa s1, v66, v46 src0_sel:BYTE_0 src1_sel:DWORD
	s_and_saveexec_b32 s26, s1
	s_cbranch_execz .LBB186_627
; %bb.622:                              ;   in Loop: Header=BB186_551 Depth=1
	v_mov_b32_e32 v17, 0x7f800001
	v_and_b32_e32 v9, 0x7f, v66
	v_mov_b32_e32 v18, 0
	s_mov_b32 s27, exec_lo
	v_cmpx_ne_u32_e32 0x7f, v9
	s_cbranch_execz .LBB186_626
; %bb.623:                              ;   in Loop: Header=BB186_551 Depth=1
	v_and_b32_e32 v5, 7, v66
	v_lshrrev_b32_e32 v7, 3, v9
	s_mov_b32 s28, exec_lo
	v_cmpx_gt_u32_e32 8, v9
; %bb.624:                              ;   in Loop: Header=BB186_551 Depth=1
	v_ffbh_u32_e32 v7, v5
	v_min_u32_e32 v7, 32, v7
	v_subrev_nc_u32_e32 v9, 28, v7
	v_sub_nc_u32_e32 v7, 29, v7
	v_lshlrev_b64 v[17:18], v9, v[5:6]
	v_and_b32_e32 v5, 7, v17
; %bb.625:                              ;   in Loop: Header=BB186_551 Depth=1
	s_or_b32 exec_lo, exec_lo, s28
	v_lshlrev_b32_e32 v9, 24, v66
	v_lshlrev_b32_e32 v5, 20, v5
	v_lshl_add_u32 v7, v7, 23, 0x3c000000
	v_and_b32_e32 v9, 0x80000000, v9
	v_or3_b32 v5, v5, v9, v7
	v_mov_b32_e32 v18, v6
	v_mov_b32_e32 v17, v5
.LBB186_626:                            ;   in Loop: Header=BB186_551 Depth=1
	s_or_b32 exec_lo, exec_lo, s27
.LBB186_627:                            ;   in Loop: Header=BB186_551 Depth=1
	s_or_b32 exec_lo, exec_lo, s26
.LBB186_628:                            ;   in Loop: Header=BB186_551 Depth=1
	s_or_b32 exec_lo, exec_lo, s22
	v_cmp_ne_u16_sdwa s1, v66, v6 src0_sel:BYTE_1 src1_sel:DWORD
	s_and_saveexec_b32 s22, s1
	s_cbranch_execz .LBB186_636
; %bb.629:                              ;   in Loop: Header=BB186_551 Depth=1
	v_mov_b32_e32 v7, v6
	v_mov_b32_e32 v20, v8
	v_cmp_ne_u16_sdwa s1, v66, v46 src0_sel:BYTE_1 src1_sel:DWORD
	v_mov_b32_e32 v19, v7
	s_and_saveexec_b32 s26, s1
	s_cbranch_execz .LBB186_635
; %bb.630:                              ;   in Loop: Header=BB186_551 Depth=1
	v_and_b32_sdwa v5, v47, v66 dst_sel:DWORD dst_unused:UNUSED_PAD src0_sel:DWORD src1_sel:BYTE_1
	v_mov_b32_e32 v9, v6
	v_mov_b32_e32 v20, v10
	s_mov_b32 s27, exec_lo
	v_and_b32_e32 v21, 0x7f, v5
	v_mov_b32_e32 v19, v9
	v_cmpx_ne_u32_e32 0x7f, v21
	s_cbranch_execz .LBB186_634
; %bb.631:                              ;   in Loop: Header=BB186_551 Depth=1
	v_and_b32_e32 v5, 7, v5
	v_lshrrev_b32_e32 v7, 3, v21
	s_mov_b32 s28, exec_lo
	v_cmpx_gt_u32_e32 8, v21
; %bb.632:                              ;   in Loop: Header=BB186_551 Depth=1
	v_ffbh_u32_e32 v7, v5
	v_min_u32_e32 v7, 32, v7
	v_subrev_nc_u32_e32 v9, 28, v7
	v_sub_nc_u32_e32 v7, 29, v7
	v_lshlrev_b64 v[19:20], v9, v[5:6]
	v_and_b32_e32 v5, 7, v19
; %bb.633:                              ;   in Loop: Header=BB186_551 Depth=1
	s_or_b32 exec_lo, exec_lo, s28
	v_lshlrev_b32_e32 v9, 16, v66
	v_lshlrev_b32_e32 v5, 20, v5
	v_lshl_add_u32 v7, v7, 23, 0x3c000000
	v_mov_b32_e32 v19, v6
	v_and_b32_e32 v9, 0x80000000, v9
	v_or3_b32 v20, v5, v9, v7
.LBB186_634:                            ;   in Loop: Header=BB186_551 Depth=1
	s_or_b32 exec_lo, exec_lo, s27
.LBB186_635:                            ;   in Loop: Header=BB186_551 Depth=1
	s_or_b32 exec_lo, exec_lo, s26
.LBB186_636:                            ;   in Loop: Header=BB186_551 Depth=1
	s_or_b32 exec_lo, exec_lo, s22
	v_mov_b32_e32 v23, 0
	v_mov_b32_e32 v21, 0
	v_and_b32_sdwa v5, v66, v48 dst_sel:DWORD dst_unused:UNUSED_PAD src0_sel:WORD_1 src1_sel:DWORD
	v_mov_b32_e32 v24, 0
	v_mov_b32_e32 v22, 0
	s_mov_b32 s22, exec_lo
	v_cmpx_ne_u16_e32 0, v5
	s_cbranch_execz .LBB186_644
; %bb.637:                              ;   in Loop: Header=BB186_551 Depth=1
	v_bfrev_b32_e32 v21, 1
	v_mov_b32_e32 v22, 0
	s_mov_b32 s26, exec_lo
	v_cmpx_ne_u16_e32 0x80, v5
	s_cbranch_execz .LBB186_643
; %bb.638:                              ;   in Loop: Header=BB186_551 Depth=1
	v_mov_b32_e32 v21, 0x7f800001
	v_bfe_u32 v9, v66, 16, 7
	v_mov_b32_e32 v22, 0
	s_mov_b32 s27, exec_lo
	v_cmpx_ne_u32_e32 0x7f, v9
	s_cbranch_execz .LBB186_642
; %bb.639:                              ;   in Loop: Header=BB186_551 Depth=1
	v_and_b32_sdwa v5, v66, v49 dst_sel:DWORD dst_unused:UNUSED_PAD src0_sel:WORD_1 src1_sel:DWORD
	v_lshrrev_b32_e32 v7, 3, v9
	s_mov_b32 s28, exec_lo
	v_cmpx_gt_u32_e32 8, v9
; %bb.640:                              ;   in Loop: Header=BB186_551 Depth=1
	v_ffbh_u32_e32 v7, v5
	v_min_u32_e32 v7, 32, v7
	v_subrev_nc_u32_e32 v9, 28, v7
	v_sub_nc_u32_e32 v7, 29, v7
	v_lshlrev_b64 v[21:22], v9, v[5:6]
	v_and_b32_e32 v5, 7, v21
; %bb.641:                              ;   in Loop: Header=BB186_551 Depth=1
	s_or_b32 exec_lo, exec_lo, s28
	v_lshlrev_b32_sdwa v9, v50, v66 dst_sel:DWORD dst_unused:UNUSED_PAD src0_sel:DWORD src1_sel:WORD_1
	v_lshlrev_b32_e32 v5, 20, v5
	v_lshl_add_u32 v7, v7, 23, 0x3c000000
	v_and_b32_e32 v9, 0x80000000, v9
	v_or3_b32 v5, v5, v9, v7
	v_mov_b32_e32 v22, v6
	v_mov_b32_e32 v21, v5
.LBB186_642:                            ;   in Loop: Header=BB186_551 Depth=1
	s_or_b32 exec_lo, exec_lo, s27
.LBB186_643:                            ;   in Loop: Header=BB186_551 Depth=1
	s_or_b32 exec_lo, exec_lo, s26
.LBB186_644:                            ;   in Loop: Header=BB186_551 Depth=1
	s_or_b32 exec_lo, exec_lo, s22
	s_mov_b32 s22, exec_lo
	v_cmpx_lt_u32_e32 0xffffff, v66
	s_cbranch_execz .LBB186_652
; %bb.645:                              ;   in Loop: Header=BB186_551 Depth=1
	v_mov_b32_e32 v7, v6
	v_mov_b32_e32 v24, v8
	v_cmp_ne_u32_sdwa s1, v66, v46 src0_sel:BYTE_3 src1_sel:DWORD
	v_mov_b32_e32 v23, v7
	s_and_saveexec_b32 s26, s1
	s_cbranch_execz .LBB186_651
; %bb.646:                              ;   in Loop: Header=BB186_551 Depth=1
	v_mov_b32_e32 v9, v6
	v_mov_b32_e32 v24, v10
	v_bfe_u32 v67, v66, 24, 7
	s_mov_b32 s27, exec_lo
	v_mov_b32_e32 v23, v9
	v_cmpx_ne_u32_e32 0x7f, v67
	s_cbranch_execz .LBB186_650
; %bb.647:                              ;   in Loop: Header=BB186_551 Depth=1
	v_and_b32_sdwa v5, v66, v49 dst_sel:DWORD dst_unused:UNUSED_PAD src0_sel:BYTE_3 src1_sel:DWORD
	v_lshrrev_b32_e32 v7, 3, v67
	s_mov_b32 s28, exec_lo
	v_cmpx_gt_u32_e32 8, v67
; %bb.648:                              ;   in Loop: Header=BB186_551 Depth=1
	v_ffbh_u32_e32 v7, v5
	v_min_u32_e32 v7, 32, v7
	v_subrev_nc_u32_e32 v9, 28, v7
	v_sub_nc_u32_e32 v7, 29, v7
	v_lshlrev_b64 v[23:24], v9, v[5:6]
	v_and_b32_e32 v5, 7, v23
; %bb.649:                              ;   in Loop: Header=BB186_551 Depth=1
	s_or_b32 exec_lo, exec_lo, s28
	v_lshlrev_b32_sdwa v9, v50, v66 dst_sel:DWORD dst_unused:UNUSED_PAD src0_sel:DWORD src1_sel:BYTE_3
	v_lshlrev_b32_e32 v5, 20, v5
	v_lshl_add_u32 v7, v7, 23, 0x3c000000
	v_mov_b32_e32 v23, v6
	v_and_b32_e32 v9, 0x80000000, v9
	v_or3_b32 v24, v5, v9, v7
.LBB186_650:                            ;   in Loop: Header=BB186_551 Depth=1
	s_or_b32 exec_lo, exec_lo, s27
.LBB186_651:                            ;   in Loop: Header=BB186_551 Depth=1
	s_or_b32 exec_lo, exec_lo, s26
.LBB186_652:                            ;   in Loop: Header=BB186_551 Depth=1
	s_or_b32 exec_lo, exec_lo, s22
	v_or_b32_e32 v5, v20, v18
	v_or_b32_e32 v7, v19, v17
	;; [unrolled: 1-line block ×4, first 2 shown]
	v_mul_f32_e32 v68, s21, v5
	v_mul_f32_e32 v69, s18, v7
	;; [unrolled: 1-line block ×4, first 2 shown]
	s_and_saveexec_b32 s22, vcc_lo
	s_cbranch_execz .LBB186_654
; %bb.653:                              ;   in Loop: Header=BB186_551 Depth=1
	v_cmp_gt_i32_e64 s1, s33, v58
	v_cndmask_b32_e64 v69, 0, v69, s1
	v_cmp_gt_i32_e64 s1, s33, v61
	v_cndmask_b32_e64 v68, 0, v68, s1
	;; [unrolled: 2-line block ×4, first 2 shown]
.LBB186_654:                            ;   in Loop: Header=BB186_551 Depth=1
	s_or_b32 exec_lo, exec_lo, s22
	global_load_dword v70, v[15:16], off offset:384
	v_mov_b32_e32 v19, 0
	v_mov_b32_e32 v17, 0
	;; [unrolled: 1-line block ×4, first 2 shown]
	s_waitcnt vmcnt(0)
	v_cmp_ne_u16_sdwa s1, v70, v6 src0_sel:BYTE_0 src1_sel:DWORD
	s_and_saveexec_b32 s22, s1
	s_cbranch_execz .LBB186_662
; %bb.655:                              ;   in Loop: Header=BB186_551 Depth=1
	v_bfrev_b32_e32 v17, 1
	v_mov_b32_e32 v18, 0
	v_cmp_ne_u16_sdwa s1, v70, v46 src0_sel:BYTE_0 src1_sel:DWORD
	s_and_saveexec_b32 s26, s1
	s_cbranch_execz .LBB186_661
; %bb.656:                              ;   in Loop: Header=BB186_551 Depth=1
	v_mov_b32_e32 v17, 0x7f800001
	v_and_b32_e32 v9, 0x7f, v70
	v_mov_b32_e32 v18, 0
	s_mov_b32 s27, exec_lo
	v_cmpx_ne_u32_e32 0x7f, v9
	s_cbranch_execz .LBB186_660
; %bb.657:                              ;   in Loop: Header=BB186_551 Depth=1
	v_and_b32_e32 v5, 7, v70
	v_lshrrev_b32_e32 v7, 3, v9
	s_mov_b32 s28, exec_lo
	v_cmpx_gt_u32_e32 8, v9
; %bb.658:                              ;   in Loop: Header=BB186_551 Depth=1
	v_ffbh_u32_e32 v7, v5
	v_min_u32_e32 v7, 32, v7
	v_subrev_nc_u32_e32 v9, 28, v7
	v_sub_nc_u32_e32 v7, 29, v7
	v_lshlrev_b64 v[17:18], v9, v[5:6]
	v_and_b32_e32 v5, 7, v17
; %bb.659:                              ;   in Loop: Header=BB186_551 Depth=1
	s_or_b32 exec_lo, exec_lo, s28
	v_lshlrev_b32_e32 v9, 24, v70
	v_lshlrev_b32_e32 v5, 20, v5
	v_lshl_add_u32 v7, v7, 23, 0x3c000000
	v_and_b32_e32 v9, 0x80000000, v9
	v_or3_b32 v5, v5, v9, v7
	v_mov_b32_e32 v18, v6
	v_mov_b32_e32 v17, v5
.LBB186_660:                            ;   in Loop: Header=BB186_551 Depth=1
	s_or_b32 exec_lo, exec_lo, s27
.LBB186_661:                            ;   in Loop: Header=BB186_551 Depth=1
	s_or_b32 exec_lo, exec_lo, s26
.LBB186_662:                            ;   in Loop: Header=BB186_551 Depth=1
	s_or_b32 exec_lo, exec_lo, s22
	v_cmp_ne_u16_sdwa s1, v70, v6 src0_sel:BYTE_1 src1_sel:DWORD
	s_and_saveexec_b32 s22, s1
	s_cbranch_execz .LBB186_670
; %bb.663:                              ;   in Loop: Header=BB186_551 Depth=1
	v_mov_b32_e32 v7, v6
	v_mov_b32_e32 v20, v8
	v_cmp_ne_u16_sdwa s1, v70, v46 src0_sel:BYTE_1 src1_sel:DWORD
	v_mov_b32_e32 v19, v7
	s_and_saveexec_b32 s26, s1
	s_cbranch_execz .LBB186_669
; %bb.664:                              ;   in Loop: Header=BB186_551 Depth=1
	v_and_b32_sdwa v5, v47, v70 dst_sel:DWORD dst_unused:UNUSED_PAD src0_sel:DWORD src1_sel:BYTE_1
	v_mov_b32_e32 v9, v6
	v_mov_b32_e32 v20, v10
	s_mov_b32 s27, exec_lo
	v_and_b32_e32 v21, 0x7f, v5
	v_mov_b32_e32 v19, v9
	v_cmpx_ne_u32_e32 0x7f, v21
	s_cbranch_execz .LBB186_668
; %bb.665:                              ;   in Loop: Header=BB186_551 Depth=1
	v_and_b32_e32 v5, 7, v5
	v_lshrrev_b32_e32 v7, 3, v21
	s_mov_b32 s28, exec_lo
	v_cmpx_gt_u32_e32 8, v21
; %bb.666:                              ;   in Loop: Header=BB186_551 Depth=1
	v_ffbh_u32_e32 v7, v5
	v_min_u32_e32 v7, 32, v7
	v_subrev_nc_u32_e32 v9, 28, v7
	v_sub_nc_u32_e32 v7, 29, v7
	v_lshlrev_b64 v[19:20], v9, v[5:6]
	v_and_b32_e32 v5, 7, v19
; %bb.667:                              ;   in Loop: Header=BB186_551 Depth=1
	s_or_b32 exec_lo, exec_lo, s28
	v_lshlrev_b32_e32 v9, 16, v70
	v_lshlrev_b32_e32 v5, 20, v5
	v_lshl_add_u32 v7, v7, 23, 0x3c000000
	v_mov_b32_e32 v19, v6
	v_and_b32_e32 v9, 0x80000000, v9
	v_or3_b32 v20, v5, v9, v7
.LBB186_668:                            ;   in Loop: Header=BB186_551 Depth=1
	s_or_b32 exec_lo, exec_lo, s27
.LBB186_669:                            ;   in Loop: Header=BB186_551 Depth=1
	s_or_b32 exec_lo, exec_lo, s26
.LBB186_670:                            ;   in Loop: Header=BB186_551 Depth=1
	s_or_b32 exec_lo, exec_lo, s22
	v_mov_b32_e32 v23, 0
	v_mov_b32_e32 v21, 0
	v_and_b32_sdwa v5, v70, v48 dst_sel:DWORD dst_unused:UNUSED_PAD src0_sel:WORD_1 src1_sel:DWORD
	v_mov_b32_e32 v24, 0
	v_mov_b32_e32 v22, 0
	s_mov_b32 s22, exec_lo
	v_cmpx_ne_u16_e32 0, v5
	s_cbranch_execz .LBB186_678
; %bb.671:                              ;   in Loop: Header=BB186_551 Depth=1
	v_bfrev_b32_e32 v21, 1
	v_mov_b32_e32 v22, 0
	s_mov_b32 s26, exec_lo
	v_cmpx_ne_u16_e32 0x80, v5
	s_cbranch_execz .LBB186_677
; %bb.672:                              ;   in Loop: Header=BB186_551 Depth=1
	v_mov_b32_e32 v21, 0x7f800001
	v_bfe_u32 v9, v70, 16, 7
	v_mov_b32_e32 v22, 0
	s_mov_b32 s27, exec_lo
	v_cmpx_ne_u32_e32 0x7f, v9
	s_cbranch_execz .LBB186_676
; %bb.673:                              ;   in Loop: Header=BB186_551 Depth=1
	v_and_b32_sdwa v5, v70, v49 dst_sel:DWORD dst_unused:UNUSED_PAD src0_sel:WORD_1 src1_sel:DWORD
	v_lshrrev_b32_e32 v7, 3, v9
	s_mov_b32 s28, exec_lo
	v_cmpx_gt_u32_e32 8, v9
; %bb.674:                              ;   in Loop: Header=BB186_551 Depth=1
	v_ffbh_u32_e32 v7, v5
	v_min_u32_e32 v7, 32, v7
	v_subrev_nc_u32_e32 v9, 28, v7
	v_sub_nc_u32_e32 v7, 29, v7
	v_lshlrev_b64 v[21:22], v9, v[5:6]
	v_and_b32_e32 v5, 7, v21
; %bb.675:                              ;   in Loop: Header=BB186_551 Depth=1
	s_or_b32 exec_lo, exec_lo, s28
	v_lshlrev_b32_sdwa v9, v50, v70 dst_sel:DWORD dst_unused:UNUSED_PAD src0_sel:DWORD src1_sel:WORD_1
	v_lshlrev_b32_e32 v5, 20, v5
	v_lshl_add_u32 v7, v7, 23, 0x3c000000
	v_and_b32_e32 v9, 0x80000000, v9
	v_or3_b32 v5, v5, v9, v7
	v_mov_b32_e32 v22, v6
	v_mov_b32_e32 v21, v5
.LBB186_676:                            ;   in Loop: Header=BB186_551 Depth=1
	s_or_b32 exec_lo, exec_lo, s27
.LBB186_677:                            ;   in Loop: Header=BB186_551 Depth=1
	s_or_b32 exec_lo, exec_lo, s26
.LBB186_678:                            ;   in Loop: Header=BB186_551 Depth=1
	s_or_b32 exec_lo, exec_lo, s22
	s_mov_b32 s22, exec_lo
	v_cmpx_lt_u32_e32 0xffffff, v70
	s_cbranch_execz .LBB186_686
; %bb.679:                              ;   in Loop: Header=BB186_551 Depth=1
	v_mov_b32_e32 v7, v6
	v_mov_b32_e32 v24, v8
	v_cmp_ne_u32_sdwa s1, v70, v46 src0_sel:BYTE_3 src1_sel:DWORD
	v_mov_b32_e32 v23, v7
	s_and_saveexec_b32 s26, s1
	s_cbranch_execz .LBB186_685
; %bb.680:                              ;   in Loop: Header=BB186_551 Depth=1
	v_mov_b32_e32 v9, v6
	v_mov_b32_e32 v24, v10
	v_bfe_u32 v71, v70, 24, 7
	s_mov_b32 s27, exec_lo
	v_mov_b32_e32 v23, v9
	v_cmpx_ne_u32_e32 0x7f, v71
	s_cbranch_execz .LBB186_684
; %bb.681:                              ;   in Loop: Header=BB186_551 Depth=1
	v_and_b32_sdwa v5, v70, v49 dst_sel:DWORD dst_unused:UNUSED_PAD src0_sel:BYTE_3 src1_sel:DWORD
	v_lshrrev_b32_e32 v7, 3, v71
	s_mov_b32 s28, exec_lo
	v_cmpx_gt_u32_e32 8, v71
; %bb.682:                              ;   in Loop: Header=BB186_551 Depth=1
	v_ffbh_u32_e32 v7, v5
	v_min_u32_e32 v7, 32, v7
	v_subrev_nc_u32_e32 v9, 28, v7
	v_sub_nc_u32_e32 v7, 29, v7
	v_lshlrev_b64 v[23:24], v9, v[5:6]
	v_and_b32_e32 v5, 7, v23
; %bb.683:                              ;   in Loop: Header=BB186_551 Depth=1
	s_or_b32 exec_lo, exec_lo, s28
	v_lshlrev_b32_sdwa v9, v50, v70 dst_sel:DWORD dst_unused:UNUSED_PAD src0_sel:DWORD src1_sel:BYTE_3
	v_lshlrev_b32_e32 v5, 20, v5
	v_lshl_add_u32 v7, v7, 23, 0x3c000000
	v_mov_b32_e32 v23, v6
	v_and_b32_e32 v9, 0x80000000, v9
	v_or3_b32 v24, v5, v9, v7
.LBB186_684:                            ;   in Loop: Header=BB186_551 Depth=1
	s_or_b32 exec_lo, exec_lo, s27
.LBB186_685:                            ;   in Loop: Header=BB186_551 Depth=1
	s_or_b32 exec_lo, exec_lo, s26
.LBB186_686:                            ;   in Loop: Header=BB186_551 Depth=1
	s_or_b32 exec_lo, exec_lo, s22
	v_or_b32_e32 v5, v20, v18
	v_or_b32_e32 v7, v19, v17
	;; [unrolled: 1-line block ×4, first 2 shown]
	v_mul_f32_e32 v72, s21, v5
	v_mul_f32_e32 v73, s18, v7
	;; [unrolled: 1-line block ×4, first 2 shown]
	s_and_saveexec_b32 s22, vcc_lo
	s_cbranch_execz .LBB186_688
; %bb.687:                              ;   in Loop: Header=BB186_551 Depth=1
	v_cmp_gt_i32_e64 s1, s33, v58
	v_cndmask_b32_e64 v73, 0, v73, s1
	v_cmp_gt_i32_e64 s1, s33, v61
	v_cndmask_b32_e64 v72, 0, v72, s1
	;; [unrolled: 2-line block ×4, first 2 shown]
.LBB186_688:                            ;   in Loop: Header=BB186_551 Depth=1
	s_or_b32 exec_lo, exec_lo, s22
	global_load_dword v74, v[15:16], off offset:512
	v_mov_b32_e32 v19, 0
	v_mov_b32_e32 v17, 0
	;; [unrolled: 1-line block ×4, first 2 shown]
	s_waitcnt vmcnt(0)
	v_cmp_ne_u16_sdwa s1, v74, v6 src0_sel:BYTE_0 src1_sel:DWORD
	s_and_saveexec_b32 s22, s1
	s_cbranch_execz .LBB186_696
; %bb.689:                              ;   in Loop: Header=BB186_551 Depth=1
	v_bfrev_b32_e32 v17, 1
	v_mov_b32_e32 v18, 0
	v_cmp_ne_u16_sdwa s1, v74, v46 src0_sel:BYTE_0 src1_sel:DWORD
	s_and_saveexec_b32 s26, s1
	s_cbranch_execz .LBB186_695
; %bb.690:                              ;   in Loop: Header=BB186_551 Depth=1
	v_mov_b32_e32 v17, 0x7f800001
	v_and_b32_e32 v9, 0x7f, v74
	v_mov_b32_e32 v18, 0
	s_mov_b32 s27, exec_lo
	v_cmpx_ne_u32_e32 0x7f, v9
	s_cbranch_execz .LBB186_694
; %bb.691:                              ;   in Loop: Header=BB186_551 Depth=1
	v_and_b32_e32 v5, 7, v74
	v_lshrrev_b32_e32 v7, 3, v9
	s_mov_b32 s28, exec_lo
	v_cmpx_gt_u32_e32 8, v9
; %bb.692:                              ;   in Loop: Header=BB186_551 Depth=1
	v_ffbh_u32_e32 v7, v5
	v_min_u32_e32 v7, 32, v7
	v_subrev_nc_u32_e32 v9, 28, v7
	v_sub_nc_u32_e32 v7, 29, v7
	v_lshlrev_b64 v[17:18], v9, v[5:6]
	v_and_b32_e32 v5, 7, v17
; %bb.693:                              ;   in Loop: Header=BB186_551 Depth=1
	s_or_b32 exec_lo, exec_lo, s28
	v_lshlrev_b32_e32 v9, 24, v74
	v_lshlrev_b32_e32 v5, 20, v5
	v_lshl_add_u32 v7, v7, 23, 0x3c000000
	v_and_b32_e32 v9, 0x80000000, v9
	v_or3_b32 v5, v5, v9, v7
	v_mov_b32_e32 v18, v6
	v_mov_b32_e32 v17, v5
.LBB186_694:                            ;   in Loop: Header=BB186_551 Depth=1
	s_or_b32 exec_lo, exec_lo, s27
.LBB186_695:                            ;   in Loop: Header=BB186_551 Depth=1
	s_or_b32 exec_lo, exec_lo, s26
.LBB186_696:                            ;   in Loop: Header=BB186_551 Depth=1
	s_or_b32 exec_lo, exec_lo, s22
	v_cmp_ne_u16_sdwa s1, v74, v6 src0_sel:BYTE_1 src1_sel:DWORD
	s_and_saveexec_b32 s22, s1
	s_cbranch_execz .LBB186_704
; %bb.697:                              ;   in Loop: Header=BB186_551 Depth=1
	v_mov_b32_e32 v7, v6
	v_mov_b32_e32 v20, v8
	v_cmp_ne_u16_sdwa s1, v74, v46 src0_sel:BYTE_1 src1_sel:DWORD
	v_mov_b32_e32 v19, v7
	s_and_saveexec_b32 s26, s1
	s_cbranch_execz .LBB186_703
; %bb.698:                              ;   in Loop: Header=BB186_551 Depth=1
	v_and_b32_sdwa v5, v47, v74 dst_sel:DWORD dst_unused:UNUSED_PAD src0_sel:DWORD src1_sel:BYTE_1
	v_mov_b32_e32 v9, v6
	v_mov_b32_e32 v20, v10
	s_mov_b32 s27, exec_lo
	v_and_b32_e32 v21, 0x7f, v5
	v_mov_b32_e32 v19, v9
	v_cmpx_ne_u32_e32 0x7f, v21
	s_cbranch_execz .LBB186_702
; %bb.699:                              ;   in Loop: Header=BB186_551 Depth=1
	v_and_b32_e32 v5, 7, v5
	v_lshrrev_b32_e32 v7, 3, v21
	s_mov_b32 s28, exec_lo
	v_cmpx_gt_u32_e32 8, v21
; %bb.700:                              ;   in Loop: Header=BB186_551 Depth=1
	v_ffbh_u32_e32 v7, v5
	v_min_u32_e32 v7, 32, v7
	v_subrev_nc_u32_e32 v9, 28, v7
	v_sub_nc_u32_e32 v7, 29, v7
	v_lshlrev_b64 v[19:20], v9, v[5:6]
	v_and_b32_e32 v5, 7, v19
; %bb.701:                              ;   in Loop: Header=BB186_551 Depth=1
	s_or_b32 exec_lo, exec_lo, s28
	v_lshlrev_b32_e32 v9, 16, v74
	v_lshlrev_b32_e32 v5, 20, v5
	v_lshl_add_u32 v7, v7, 23, 0x3c000000
	v_mov_b32_e32 v19, v6
	v_and_b32_e32 v9, 0x80000000, v9
	v_or3_b32 v20, v5, v9, v7
.LBB186_702:                            ;   in Loop: Header=BB186_551 Depth=1
	s_or_b32 exec_lo, exec_lo, s27
.LBB186_703:                            ;   in Loop: Header=BB186_551 Depth=1
	s_or_b32 exec_lo, exec_lo, s26
.LBB186_704:                            ;   in Loop: Header=BB186_551 Depth=1
	s_or_b32 exec_lo, exec_lo, s22
	v_mov_b32_e32 v23, 0
	v_mov_b32_e32 v21, 0
	v_and_b32_sdwa v5, v74, v48 dst_sel:DWORD dst_unused:UNUSED_PAD src0_sel:WORD_1 src1_sel:DWORD
	v_mov_b32_e32 v24, 0
	v_mov_b32_e32 v22, 0
	s_mov_b32 s22, exec_lo
	v_cmpx_ne_u16_e32 0, v5
	s_cbranch_execz .LBB186_712
; %bb.705:                              ;   in Loop: Header=BB186_551 Depth=1
	v_bfrev_b32_e32 v21, 1
	v_mov_b32_e32 v22, 0
	s_mov_b32 s26, exec_lo
	v_cmpx_ne_u16_e32 0x80, v5
	s_cbranch_execz .LBB186_711
; %bb.706:                              ;   in Loop: Header=BB186_551 Depth=1
	v_mov_b32_e32 v21, 0x7f800001
	v_bfe_u32 v9, v74, 16, 7
	v_mov_b32_e32 v22, 0
	s_mov_b32 s27, exec_lo
	v_cmpx_ne_u32_e32 0x7f, v9
	s_cbranch_execz .LBB186_710
; %bb.707:                              ;   in Loop: Header=BB186_551 Depth=1
	v_and_b32_sdwa v5, v74, v49 dst_sel:DWORD dst_unused:UNUSED_PAD src0_sel:WORD_1 src1_sel:DWORD
	v_lshrrev_b32_e32 v7, 3, v9
	s_mov_b32 s28, exec_lo
	v_cmpx_gt_u32_e32 8, v9
; %bb.708:                              ;   in Loop: Header=BB186_551 Depth=1
	v_ffbh_u32_e32 v7, v5
	v_min_u32_e32 v7, 32, v7
	v_subrev_nc_u32_e32 v9, 28, v7
	v_sub_nc_u32_e32 v7, 29, v7
	v_lshlrev_b64 v[21:22], v9, v[5:6]
	v_and_b32_e32 v5, 7, v21
; %bb.709:                              ;   in Loop: Header=BB186_551 Depth=1
	s_or_b32 exec_lo, exec_lo, s28
	v_lshlrev_b32_sdwa v9, v50, v74 dst_sel:DWORD dst_unused:UNUSED_PAD src0_sel:DWORD src1_sel:WORD_1
	v_lshlrev_b32_e32 v5, 20, v5
	v_lshl_add_u32 v7, v7, 23, 0x3c000000
	v_and_b32_e32 v9, 0x80000000, v9
	v_or3_b32 v5, v5, v9, v7
	v_mov_b32_e32 v22, v6
	v_mov_b32_e32 v21, v5
.LBB186_710:                            ;   in Loop: Header=BB186_551 Depth=1
	s_or_b32 exec_lo, exec_lo, s27
.LBB186_711:                            ;   in Loop: Header=BB186_551 Depth=1
	s_or_b32 exec_lo, exec_lo, s26
.LBB186_712:                            ;   in Loop: Header=BB186_551 Depth=1
	s_or_b32 exec_lo, exec_lo, s22
	s_mov_b32 s22, exec_lo
	v_cmpx_lt_u32_e32 0xffffff, v74
	s_cbranch_execz .LBB186_720
; %bb.713:                              ;   in Loop: Header=BB186_551 Depth=1
	v_mov_b32_e32 v7, v6
	v_mov_b32_e32 v24, v8
	v_cmp_ne_u32_sdwa s1, v74, v46 src0_sel:BYTE_3 src1_sel:DWORD
	v_mov_b32_e32 v23, v7
	s_and_saveexec_b32 s26, s1
	s_cbranch_execz .LBB186_719
; %bb.714:                              ;   in Loop: Header=BB186_551 Depth=1
	v_mov_b32_e32 v9, v6
	v_mov_b32_e32 v24, v10
	v_bfe_u32 v75, v74, 24, 7
	s_mov_b32 s27, exec_lo
	v_mov_b32_e32 v23, v9
	v_cmpx_ne_u32_e32 0x7f, v75
	s_cbranch_execz .LBB186_718
; %bb.715:                              ;   in Loop: Header=BB186_551 Depth=1
	v_and_b32_sdwa v5, v74, v49 dst_sel:DWORD dst_unused:UNUSED_PAD src0_sel:BYTE_3 src1_sel:DWORD
	v_lshrrev_b32_e32 v7, 3, v75
	s_mov_b32 s28, exec_lo
	v_cmpx_gt_u32_e32 8, v75
; %bb.716:                              ;   in Loop: Header=BB186_551 Depth=1
	v_ffbh_u32_e32 v7, v5
	v_min_u32_e32 v7, 32, v7
	v_subrev_nc_u32_e32 v9, 28, v7
	v_sub_nc_u32_e32 v7, 29, v7
	v_lshlrev_b64 v[23:24], v9, v[5:6]
	v_and_b32_e32 v5, 7, v23
; %bb.717:                              ;   in Loop: Header=BB186_551 Depth=1
	s_or_b32 exec_lo, exec_lo, s28
	v_lshlrev_b32_sdwa v9, v50, v74 dst_sel:DWORD dst_unused:UNUSED_PAD src0_sel:DWORD src1_sel:BYTE_3
	v_lshlrev_b32_e32 v5, 20, v5
	v_lshl_add_u32 v7, v7, 23, 0x3c000000
	v_mov_b32_e32 v23, v6
	v_and_b32_e32 v9, 0x80000000, v9
	v_or3_b32 v24, v5, v9, v7
.LBB186_718:                            ;   in Loop: Header=BB186_551 Depth=1
	s_or_b32 exec_lo, exec_lo, s27
.LBB186_719:                            ;   in Loop: Header=BB186_551 Depth=1
	s_or_b32 exec_lo, exec_lo, s26
.LBB186_720:                            ;   in Loop: Header=BB186_551 Depth=1
	s_or_b32 exec_lo, exec_lo, s22
	v_or_b32_e32 v5, v20, v18
	v_or_b32_e32 v7, v19, v17
	;; [unrolled: 1-line block ×4, first 2 shown]
	v_mul_f32_e32 v76, s21, v5
	v_mul_f32_e32 v77, s18, v7
	;; [unrolled: 1-line block ×4, first 2 shown]
	s_and_saveexec_b32 s22, vcc_lo
	s_cbranch_execz .LBB186_722
; %bb.721:                              ;   in Loop: Header=BB186_551 Depth=1
	v_cmp_gt_i32_e64 s1, s33, v58
	v_cndmask_b32_e64 v77, 0, v77, s1
	v_cmp_gt_i32_e64 s1, s33, v61
	v_cndmask_b32_e64 v76, 0, v76, s1
	;; [unrolled: 2-line block ×4, first 2 shown]
.LBB186_722:                            ;   in Loop: Header=BB186_551 Depth=1
	s_or_b32 exec_lo, exec_lo, s22
	global_load_dword v78, v[15:16], off offset:640
	v_mov_b32_e32 v19, 0
	v_mov_b32_e32 v17, 0
	;; [unrolled: 1-line block ×4, first 2 shown]
	s_waitcnt vmcnt(0)
	v_cmp_ne_u16_sdwa s1, v78, v6 src0_sel:BYTE_0 src1_sel:DWORD
	s_and_saveexec_b32 s22, s1
	s_cbranch_execz .LBB186_730
; %bb.723:                              ;   in Loop: Header=BB186_551 Depth=1
	v_bfrev_b32_e32 v17, 1
	v_mov_b32_e32 v18, 0
	v_cmp_ne_u16_sdwa s1, v78, v46 src0_sel:BYTE_0 src1_sel:DWORD
	s_and_saveexec_b32 s26, s1
	s_cbranch_execz .LBB186_729
; %bb.724:                              ;   in Loop: Header=BB186_551 Depth=1
	v_mov_b32_e32 v17, 0x7f800001
	v_and_b32_e32 v9, 0x7f, v78
	v_mov_b32_e32 v18, 0
	s_mov_b32 s27, exec_lo
	v_cmpx_ne_u32_e32 0x7f, v9
	s_cbranch_execz .LBB186_728
; %bb.725:                              ;   in Loop: Header=BB186_551 Depth=1
	v_and_b32_e32 v5, 7, v78
	v_lshrrev_b32_e32 v7, 3, v9
	s_mov_b32 s28, exec_lo
	v_cmpx_gt_u32_e32 8, v9
; %bb.726:                              ;   in Loop: Header=BB186_551 Depth=1
	v_ffbh_u32_e32 v7, v5
	v_min_u32_e32 v7, 32, v7
	v_subrev_nc_u32_e32 v9, 28, v7
	v_sub_nc_u32_e32 v7, 29, v7
	v_lshlrev_b64 v[17:18], v9, v[5:6]
	v_and_b32_e32 v5, 7, v17
; %bb.727:                              ;   in Loop: Header=BB186_551 Depth=1
	s_or_b32 exec_lo, exec_lo, s28
	v_lshlrev_b32_e32 v9, 24, v78
	v_lshlrev_b32_e32 v5, 20, v5
	v_lshl_add_u32 v7, v7, 23, 0x3c000000
	v_and_b32_e32 v9, 0x80000000, v9
	v_or3_b32 v5, v5, v9, v7
	v_mov_b32_e32 v18, v6
	v_mov_b32_e32 v17, v5
.LBB186_728:                            ;   in Loop: Header=BB186_551 Depth=1
	s_or_b32 exec_lo, exec_lo, s27
.LBB186_729:                            ;   in Loop: Header=BB186_551 Depth=1
	s_or_b32 exec_lo, exec_lo, s26
.LBB186_730:                            ;   in Loop: Header=BB186_551 Depth=1
	s_or_b32 exec_lo, exec_lo, s22
	v_cmp_ne_u16_sdwa s1, v78, v6 src0_sel:BYTE_1 src1_sel:DWORD
	s_and_saveexec_b32 s22, s1
	s_cbranch_execz .LBB186_738
; %bb.731:                              ;   in Loop: Header=BB186_551 Depth=1
	v_mov_b32_e32 v7, v6
	v_mov_b32_e32 v20, v8
	v_cmp_ne_u16_sdwa s1, v78, v46 src0_sel:BYTE_1 src1_sel:DWORD
	v_mov_b32_e32 v19, v7
	s_and_saveexec_b32 s26, s1
	s_cbranch_execz .LBB186_737
; %bb.732:                              ;   in Loop: Header=BB186_551 Depth=1
	v_and_b32_sdwa v5, v47, v78 dst_sel:DWORD dst_unused:UNUSED_PAD src0_sel:DWORD src1_sel:BYTE_1
	v_mov_b32_e32 v9, v6
	v_mov_b32_e32 v20, v10
	s_mov_b32 s27, exec_lo
	v_and_b32_e32 v21, 0x7f, v5
	v_mov_b32_e32 v19, v9
	v_cmpx_ne_u32_e32 0x7f, v21
	s_cbranch_execz .LBB186_736
; %bb.733:                              ;   in Loop: Header=BB186_551 Depth=1
	v_and_b32_e32 v5, 7, v5
	v_lshrrev_b32_e32 v7, 3, v21
	s_mov_b32 s28, exec_lo
	v_cmpx_gt_u32_e32 8, v21
; %bb.734:                              ;   in Loop: Header=BB186_551 Depth=1
	v_ffbh_u32_e32 v7, v5
	v_min_u32_e32 v7, 32, v7
	v_subrev_nc_u32_e32 v9, 28, v7
	v_sub_nc_u32_e32 v7, 29, v7
	v_lshlrev_b64 v[19:20], v9, v[5:6]
	v_and_b32_e32 v5, 7, v19
; %bb.735:                              ;   in Loop: Header=BB186_551 Depth=1
	s_or_b32 exec_lo, exec_lo, s28
	v_lshlrev_b32_e32 v9, 16, v78
	v_lshlrev_b32_e32 v5, 20, v5
	v_lshl_add_u32 v7, v7, 23, 0x3c000000
	v_mov_b32_e32 v19, v6
	v_and_b32_e32 v9, 0x80000000, v9
	v_or3_b32 v20, v5, v9, v7
.LBB186_736:                            ;   in Loop: Header=BB186_551 Depth=1
	s_or_b32 exec_lo, exec_lo, s27
.LBB186_737:                            ;   in Loop: Header=BB186_551 Depth=1
	s_or_b32 exec_lo, exec_lo, s26
.LBB186_738:                            ;   in Loop: Header=BB186_551 Depth=1
	s_or_b32 exec_lo, exec_lo, s22
	v_mov_b32_e32 v23, 0
	v_mov_b32_e32 v21, 0
	v_and_b32_sdwa v5, v78, v48 dst_sel:DWORD dst_unused:UNUSED_PAD src0_sel:WORD_1 src1_sel:DWORD
	v_mov_b32_e32 v24, 0
	v_mov_b32_e32 v22, 0
	s_mov_b32 s22, exec_lo
	v_cmpx_ne_u16_e32 0, v5
	s_cbranch_execz .LBB186_746
; %bb.739:                              ;   in Loop: Header=BB186_551 Depth=1
	v_bfrev_b32_e32 v21, 1
	v_mov_b32_e32 v22, 0
	s_mov_b32 s26, exec_lo
	v_cmpx_ne_u16_e32 0x80, v5
	s_cbranch_execz .LBB186_745
; %bb.740:                              ;   in Loop: Header=BB186_551 Depth=1
	v_mov_b32_e32 v21, 0x7f800001
	v_bfe_u32 v9, v78, 16, 7
	v_mov_b32_e32 v22, 0
	s_mov_b32 s27, exec_lo
	v_cmpx_ne_u32_e32 0x7f, v9
	s_cbranch_execz .LBB186_744
; %bb.741:                              ;   in Loop: Header=BB186_551 Depth=1
	v_and_b32_sdwa v5, v78, v49 dst_sel:DWORD dst_unused:UNUSED_PAD src0_sel:WORD_1 src1_sel:DWORD
	v_lshrrev_b32_e32 v7, 3, v9
	s_mov_b32 s28, exec_lo
	v_cmpx_gt_u32_e32 8, v9
; %bb.742:                              ;   in Loop: Header=BB186_551 Depth=1
	v_ffbh_u32_e32 v7, v5
	v_min_u32_e32 v7, 32, v7
	v_subrev_nc_u32_e32 v9, 28, v7
	v_sub_nc_u32_e32 v7, 29, v7
	v_lshlrev_b64 v[21:22], v9, v[5:6]
	v_and_b32_e32 v5, 7, v21
; %bb.743:                              ;   in Loop: Header=BB186_551 Depth=1
	s_or_b32 exec_lo, exec_lo, s28
	v_lshlrev_b32_sdwa v9, v50, v78 dst_sel:DWORD dst_unused:UNUSED_PAD src0_sel:DWORD src1_sel:WORD_1
	v_lshlrev_b32_e32 v5, 20, v5
	v_lshl_add_u32 v7, v7, 23, 0x3c000000
	v_and_b32_e32 v9, 0x80000000, v9
	v_or3_b32 v5, v5, v9, v7
	v_mov_b32_e32 v22, v6
	v_mov_b32_e32 v21, v5
.LBB186_744:                            ;   in Loop: Header=BB186_551 Depth=1
	s_or_b32 exec_lo, exec_lo, s27
.LBB186_745:                            ;   in Loop: Header=BB186_551 Depth=1
	s_or_b32 exec_lo, exec_lo, s26
.LBB186_746:                            ;   in Loop: Header=BB186_551 Depth=1
	s_or_b32 exec_lo, exec_lo, s22
	s_mov_b32 s22, exec_lo
	v_cmpx_lt_u32_e32 0xffffff, v78
	s_cbranch_execz .LBB186_754
; %bb.747:                              ;   in Loop: Header=BB186_551 Depth=1
	v_mov_b32_e32 v7, v6
	v_mov_b32_e32 v24, v8
	v_cmp_ne_u32_sdwa s1, v78, v46 src0_sel:BYTE_3 src1_sel:DWORD
	v_mov_b32_e32 v23, v7
	s_and_saveexec_b32 s26, s1
	s_cbranch_execz .LBB186_753
; %bb.748:                              ;   in Loop: Header=BB186_551 Depth=1
	v_mov_b32_e32 v9, v6
	v_mov_b32_e32 v24, v10
	v_bfe_u32 v79, v78, 24, 7
	s_mov_b32 s27, exec_lo
	v_mov_b32_e32 v23, v9
	v_cmpx_ne_u32_e32 0x7f, v79
	s_cbranch_execz .LBB186_752
; %bb.749:                              ;   in Loop: Header=BB186_551 Depth=1
	v_and_b32_sdwa v5, v78, v49 dst_sel:DWORD dst_unused:UNUSED_PAD src0_sel:BYTE_3 src1_sel:DWORD
	v_lshrrev_b32_e32 v7, 3, v79
	s_mov_b32 s28, exec_lo
	v_cmpx_gt_u32_e32 8, v79
; %bb.750:                              ;   in Loop: Header=BB186_551 Depth=1
	v_ffbh_u32_e32 v7, v5
	v_min_u32_e32 v7, 32, v7
	v_subrev_nc_u32_e32 v9, 28, v7
	v_sub_nc_u32_e32 v7, 29, v7
	v_lshlrev_b64 v[23:24], v9, v[5:6]
	v_and_b32_e32 v5, 7, v23
; %bb.751:                              ;   in Loop: Header=BB186_551 Depth=1
	s_or_b32 exec_lo, exec_lo, s28
	v_lshlrev_b32_sdwa v9, v50, v78 dst_sel:DWORD dst_unused:UNUSED_PAD src0_sel:DWORD src1_sel:BYTE_3
	v_lshlrev_b32_e32 v5, 20, v5
	v_lshl_add_u32 v7, v7, 23, 0x3c000000
	v_mov_b32_e32 v23, v6
	v_and_b32_e32 v9, 0x80000000, v9
	v_or3_b32 v24, v5, v9, v7
.LBB186_752:                            ;   in Loop: Header=BB186_551 Depth=1
	s_or_b32 exec_lo, exec_lo, s27
.LBB186_753:                            ;   in Loop: Header=BB186_551 Depth=1
	s_or_b32 exec_lo, exec_lo, s26
.LBB186_754:                            ;   in Loop: Header=BB186_551 Depth=1
	s_or_b32 exec_lo, exec_lo, s22
	v_or_b32_e32 v5, v20, v18
	v_or_b32_e32 v7, v19, v17
	;; [unrolled: 1-line block ×4, first 2 shown]
	v_mul_f32_e32 v80, s21, v5
	v_mul_f32_e32 v81, s18, v7
	;; [unrolled: 1-line block ×4, first 2 shown]
	s_and_saveexec_b32 s22, vcc_lo
	s_cbranch_execz .LBB186_756
; %bb.755:                              ;   in Loop: Header=BB186_551 Depth=1
	v_cmp_gt_i32_e64 s1, s33, v58
	v_cndmask_b32_e64 v81, 0, v81, s1
	v_cmp_gt_i32_e64 s1, s33, v61
	v_cndmask_b32_e64 v80, 0, v80, s1
	;; [unrolled: 2-line block ×4, first 2 shown]
.LBB186_756:                            ;   in Loop: Header=BB186_551 Depth=1
	s_or_b32 exec_lo, exec_lo, s22
	global_load_dword v82, v[15:16], off offset:768
	v_mov_b32_e32 v19, 0
	v_mov_b32_e32 v17, 0
	;; [unrolled: 1-line block ×4, first 2 shown]
	s_waitcnt vmcnt(0)
	v_cmp_ne_u16_sdwa s1, v82, v6 src0_sel:BYTE_0 src1_sel:DWORD
	s_and_saveexec_b32 s22, s1
	s_cbranch_execz .LBB186_764
; %bb.757:                              ;   in Loop: Header=BB186_551 Depth=1
	v_bfrev_b32_e32 v17, 1
	v_mov_b32_e32 v18, 0
	v_cmp_ne_u16_sdwa s1, v82, v46 src0_sel:BYTE_0 src1_sel:DWORD
	s_and_saveexec_b32 s26, s1
	s_cbranch_execz .LBB186_763
; %bb.758:                              ;   in Loop: Header=BB186_551 Depth=1
	v_mov_b32_e32 v17, 0x7f800001
	v_and_b32_e32 v9, 0x7f, v82
	v_mov_b32_e32 v18, 0
	s_mov_b32 s27, exec_lo
	v_cmpx_ne_u32_e32 0x7f, v9
	s_cbranch_execz .LBB186_762
; %bb.759:                              ;   in Loop: Header=BB186_551 Depth=1
	v_and_b32_e32 v5, 7, v82
	v_lshrrev_b32_e32 v7, 3, v9
	s_mov_b32 s28, exec_lo
	v_cmpx_gt_u32_e32 8, v9
; %bb.760:                              ;   in Loop: Header=BB186_551 Depth=1
	v_ffbh_u32_e32 v7, v5
	v_min_u32_e32 v7, 32, v7
	v_subrev_nc_u32_e32 v9, 28, v7
	v_sub_nc_u32_e32 v7, 29, v7
	v_lshlrev_b64 v[17:18], v9, v[5:6]
	v_and_b32_e32 v5, 7, v17
; %bb.761:                              ;   in Loop: Header=BB186_551 Depth=1
	s_or_b32 exec_lo, exec_lo, s28
	v_lshlrev_b32_e32 v9, 24, v82
	v_lshlrev_b32_e32 v5, 20, v5
	v_lshl_add_u32 v7, v7, 23, 0x3c000000
	v_and_b32_e32 v9, 0x80000000, v9
	v_or3_b32 v5, v5, v9, v7
	v_mov_b32_e32 v18, v6
	v_mov_b32_e32 v17, v5
.LBB186_762:                            ;   in Loop: Header=BB186_551 Depth=1
	s_or_b32 exec_lo, exec_lo, s27
.LBB186_763:                            ;   in Loop: Header=BB186_551 Depth=1
	s_or_b32 exec_lo, exec_lo, s26
.LBB186_764:                            ;   in Loop: Header=BB186_551 Depth=1
	s_or_b32 exec_lo, exec_lo, s22
	v_cmp_ne_u16_sdwa s1, v82, v6 src0_sel:BYTE_1 src1_sel:DWORD
	s_and_saveexec_b32 s22, s1
	s_cbranch_execz .LBB186_772
; %bb.765:                              ;   in Loop: Header=BB186_551 Depth=1
	v_mov_b32_e32 v7, v6
	v_mov_b32_e32 v20, v8
	v_cmp_ne_u16_sdwa s1, v82, v46 src0_sel:BYTE_1 src1_sel:DWORD
	v_mov_b32_e32 v19, v7
	s_and_saveexec_b32 s26, s1
	s_cbranch_execz .LBB186_771
; %bb.766:                              ;   in Loop: Header=BB186_551 Depth=1
	v_and_b32_sdwa v5, v47, v82 dst_sel:DWORD dst_unused:UNUSED_PAD src0_sel:DWORD src1_sel:BYTE_1
	v_mov_b32_e32 v9, v6
	v_mov_b32_e32 v20, v10
	s_mov_b32 s27, exec_lo
	v_and_b32_e32 v21, 0x7f, v5
	v_mov_b32_e32 v19, v9
	v_cmpx_ne_u32_e32 0x7f, v21
	s_cbranch_execz .LBB186_770
; %bb.767:                              ;   in Loop: Header=BB186_551 Depth=1
	v_and_b32_e32 v5, 7, v5
	v_lshrrev_b32_e32 v7, 3, v21
	s_mov_b32 s28, exec_lo
	v_cmpx_gt_u32_e32 8, v21
; %bb.768:                              ;   in Loop: Header=BB186_551 Depth=1
	v_ffbh_u32_e32 v7, v5
	v_min_u32_e32 v7, 32, v7
	v_subrev_nc_u32_e32 v9, 28, v7
	v_sub_nc_u32_e32 v7, 29, v7
	v_lshlrev_b64 v[19:20], v9, v[5:6]
	v_and_b32_e32 v5, 7, v19
; %bb.769:                              ;   in Loop: Header=BB186_551 Depth=1
	s_or_b32 exec_lo, exec_lo, s28
	v_lshlrev_b32_e32 v9, 16, v82
	v_lshlrev_b32_e32 v5, 20, v5
	v_lshl_add_u32 v7, v7, 23, 0x3c000000
	v_mov_b32_e32 v19, v6
	v_and_b32_e32 v9, 0x80000000, v9
	v_or3_b32 v20, v5, v9, v7
.LBB186_770:                            ;   in Loop: Header=BB186_551 Depth=1
	s_or_b32 exec_lo, exec_lo, s27
.LBB186_771:                            ;   in Loop: Header=BB186_551 Depth=1
	s_or_b32 exec_lo, exec_lo, s26
.LBB186_772:                            ;   in Loop: Header=BB186_551 Depth=1
	s_or_b32 exec_lo, exec_lo, s22
	v_mov_b32_e32 v23, 0
	v_mov_b32_e32 v21, 0
	v_and_b32_sdwa v5, v82, v48 dst_sel:DWORD dst_unused:UNUSED_PAD src0_sel:WORD_1 src1_sel:DWORD
	v_mov_b32_e32 v24, 0
	v_mov_b32_e32 v22, 0
	s_mov_b32 s22, exec_lo
	v_cmpx_ne_u16_e32 0, v5
	s_cbranch_execz .LBB186_780
; %bb.773:                              ;   in Loop: Header=BB186_551 Depth=1
	v_bfrev_b32_e32 v21, 1
	v_mov_b32_e32 v22, 0
	s_mov_b32 s26, exec_lo
	v_cmpx_ne_u16_e32 0x80, v5
	s_cbranch_execz .LBB186_779
; %bb.774:                              ;   in Loop: Header=BB186_551 Depth=1
	v_mov_b32_e32 v21, 0x7f800001
	v_bfe_u32 v9, v82, 16, 7
	v_mov_b32_e32 v22, 0
	s_mov_b32 s27, exec_lo
	v_cmpx_ne_u32_e32 0x7f, v9
	s_cbranch_execz .LBB186_778
; %bb.775:                              ;   in Loop: Header=BB186_551 Depth=1
	v_and_b32_sdwa v5, v82, v49 dst_sel:DWORD dst_unused:UNUSED_PAD src0_sel:WORD_1 src1_sel:DWORD
	v_lshrrev_b32_e32 v7, 3, v9
	s_mov_b32 s28, exec_lo
	v_cmpx_gt_u32_e32 8, v9
; %bb.776:                              ;   in Loop: Header=BB186_551 Depth=1
	v_ffbh_u32_e32 v7, v5
	v_min_u32_e32 v7, 32, v7
	v_subrev_nc_u32_e32 v9, 28, v7
	v_sub_nc_u32_e32 v7, 29, v7
	v_lshlrev_b64 v[21:22], v9, v[5:6]
	v_and_b32_e32 v5, 7, v21
; %bb.777:                              ;   in Loop: Header=BB186_551 Depth=1
	s_or_b32 exec_lo, exec_lo, s28
	v_lshlrev_b32_sdwa v9, v50, v82 dst_sel:DWORD dst_unused:UNUSED_PAD src0_sel:DWORD src1_sel:WORD_1
	v_lshlrev_b32_e32 v5, 20, v5
	v_lshl_add_u32 v7, v7, 23, 0x3c000000
	v_and_b32_e32 v9, 0x80000000, v9
	v_or3_b32 v5, v5, v9, v7
	v_mov_b32_e32 v22, v6
	v_mov_b32_e32 v21, v5
.LBB186_778:                            ;   in Loop: Header=BB186_551 Depth=1
	s_or_b32 exec_lo, exec_lo, s27
.LBB186_779:                            ;   in Loop: Header=BB186_551 Depth=1
	s_or_b32 exec_lo, exec_lo, s26
.LBB186_780:                            ;   in Loop: Header=BB186_551 Depth=1
	s_or_b32 exec_lo, exec_lo, s22
	s_mov_b32 s22, exec_lo
	v_cmpx_lt_u32_e32 0xffffff, v82
	s_cbranch_execz .LBB186_788
; %bb.781:                              ;   in Loop: Header=BB186_551 Depth=1
	v_mov_b32_e32 v7, v6
	v_mov_b32_e32 v24, v8
	v_cmp_ne_u32_sdwa s1, v82, v46 src0_sel:BYTE_3 src1_sel:DWORD
	v_mov_b32_e32 v23, v7
	s_and_saveexec_b32 s26, s1
	s_cbranch_execz .LBB186_787
; %bb.782:                              ;   in Loop: Header=BB186_551 Depth=1
	v_mov_b32_e32 v9, v6
	v_mov_b32_e32 v24, v10
	v_bfe_u32 v83, v82, 24, 7
	s_mov_b32 s27, exec_lo
	v_mov_b32_e32 v23, v9
	v_cmpx_ne_u32_e32 0x7f, v83
	s_cbranch_execz .LBB186_786
; %bb.783:                              ;   in Loop: Header=BB186_551 Depth=1
	v_and_b32_sdwa v5, v82, v49 dst_sel:DWORD dst_unused:UNUSED_PAD src0_sel:BYTE_3 src1_sel:DWORD
	v_lshrrev_b32_e32 v7, 3, v83
	s_mov_b32 s28, exec_lo
	v_cmpx_gt_u32_e32 8, v83
; %bb.784:                              ;   in Loop: Header=BB186_551 Depth=1
	v_ffbh_u32_e32 v7, v5
	v_min_u32_e32 v7, 32, v7
	v_subrev_nc_u32_e32 v9, 28, v7
	v_sub_nc_u32_e32 v7, 29, v7
	v_lshlrev_b64 v[23:24], v9, v[5:6]
	v_and_b32_e32 v5, 7, v23
; %bb.785:                              ;   in Loop: Header=BB186_551 Depth=1
	s_or_b32 exec_lo, exec_lo, s28
	v_lshlrev_b32_sdwa v9, v50, v82 dst_sel:DWORD dst_unused:UNUSED_PAD src0_sel:DWORD src1_sel:BYTE_3
	v_lshlrev_b32_e32 v5, 20, v5
	v_lshl_add_u32 v7, v7, 23, 0x3c000000
	v_mov_b32_e32 v23, v6
	v_and_b32_e32 v9, 0x80000000, v9
	v_or3_b32 v24, v5, v9, v7
.LBB186_786:                            ;   in Loop: Header=BB186_551 Depth=1
	s_or_b32 exec_lo, exec_lo, s27
.LBB186_787:                            ;   in Loop: Header=BB186_551 Depth=1
	s_or_b32 exec_lo, exec_lo, s26
.LBB186_788:                            ;   in Loop: Header=BB186_551 Depth=1
	s_or_b32 exec_lo, exec_lo, s22
	v_or_b32_e32 v5, v20, v18
	v_or_b32_e32 v7, v19, v17
	;; [unrolled: 1-line block ×4, first 2 shown]
	v_mul_f32_e32 v84, s21, v5
	v_mul_f32_e32 v85, s18, v7
	;; [unrolled: 1-line block ×4, first 2 shown]
	s_and_saveexec_b32 s22, vcc_lo
	s_cbranch_execz .LBB186_790
; %bb.789:                              ;   in Loop: Header=BB186_551 Depth=1
	v_cmp_gt_i32_e64 s1, s33, v58
	v_cndmask_b32_e64 v85, 0, v85, s1
	v_cmp_gt_i32_e64 s1, s33, v61
	v_cndmask_b32_e64 v84, 0, v84, s1
	;; [unrolled: 2-line block ×4, first 2 shown]
.LBB186_790:                            ;   in Loop: Header=BB186_551 Depth=1
	s_or_b32 exec_lo, exec_lo, s22
	global_load_dword v86, v[15:16], off offset:896
	v_mov_b32_e32 v19, 0
	v_mov_b32_e32 v17, 0
	;; [unrolled: 1-line block ×4, first 2 shown]
	s_waitcnt vmcnt(0)
	v_cmp_ne_u16_sdwa s1, v86, v6 src0_sel:BYTE_0 src1_sel:DWORD
	s_and_saveexec_b32 s22, s1
	s_cbranch_execz .LBB186_798
; %bb.791:                              ;   in Loop: Header=BB186_551 Depth=1
	v_bfrev_b32_e32 v17, 1
	v_mov_b32_e32 v18, 0
	v_cmp_ne_u16_sdwa s1, v86, v46 src0_sel:BYTE_0 src1_sel:DWORD
	s_and_saveexec_b32 s26, s1
	s_cbranch_execz .LBB186_797
; %bb.792:                              ;   in Loop: Header=BB186_551 Depth=1
	v_mov_b32_e32 v17, 0x7f800001
	v_and_b32_e32 v9, 0x7f, v86
	v_mov_b32_e32 v18, 0
	s_mov_b32 s27, exec_lo
	v_cmpx_ne_u32_e32 0x7f, v9
	s_cbranch_execz .LBB186_796
; %bb.793:                              ;   in Loop: Header=BB186_551 Depth=1
	v_and_b32_e32 v5, 7, v86
	v_lshrrev_b32_e32 v7, 3, v9
	s_mov_b32 s28, exec_lo
	v_cmpx_gt_u32_e32 8, v9
; %bb.794:                              ;   in Loop: Header=BB186_551 Depth=1
	v_ffbh_u32_e32 v7, v5
	v_min_u32_e32 v7, 32, v7
	v_subrev_nc_u32_e32 v9, 28, v7
	v_sub_nc_u32_e32 v7, 29, v7
	v_lshlrev_b64 v[17:18], v9, v[5:6]
	v_and_b32_e32 v5, 7, v17
; %bb.795:                              ;   in Loop: Header=BB186_551 Depth=1
	s_or_b32 exec_lo, exec_lo, s28
	v_lshlrev_b32_e32 v9, 24, v86
	v_lshlrev_b32_e32 v5, 20, v5
	v_lshl_add_u32 v7, v7, 23, 0x3c000000
	v_and_b32_e32 v9, 0x80000000, v9
	v_or3_b32 v5, v5, v9, v7
	v_mov_b32_e32 v18, v6
	v_mov_b32_e32 v17, v5
.LBB186_796:                            ;   in Loop: Header=BB186_551 Depth=1
	s_or_b32 exec_lo, exec_lo, s27
.LBB186_797:                            ;   in Loop: Header=BB186_551 Depth=1
	s_or_b32 exec_lo, exec_lo, s26
.LBB186_798:                            ;   in Loop: Header=BB186_551 Depth=1
	s_or_b32 exec_lo, exec_lo, s22
	v_cmp_ne_u16_sdwa s1, v86, v6 src0_sel:BYTE_1 src1_sel:DWORD
	s_and_saveexec_b32 s22, s1
	s_cbranch_execz .LBB186_806
; %bb.799:                              ;   in Loop: Header=BB186_551 Depth=1
	v_mov_b32_e32 v7, v6
	v_mov_b32_e32 v20, v8
	v_cmp_ne_u16_sdwa s1, v86, v46 src0_sel:BYTE_1 src1_sel:DWORD
	v_mov_b32_e32 v19, v7
	s_and_saveexec_b32 s26, s1
	s_cbranch_execz .LBB186_805
; %bb.800:                              ;   in Loop: Header=BB186_551 Depth=1
	v_and_b32_sdwa v5, v47, v86 dst_sel:DWORD dst_unused:UNUSED_PAD src0_sel:DWORD src1_sel:BYTE_1
	v_mov_b32_e32 v9, v6
	v_mov_b32_e32 v20, v10
	s_mov_b32 s27, exec_lo
	v_and_b32_e32 v21, 0x7f, v5
	v_mov_b32_e32 v19, v9
	v_cmpx_ne_u32_e32 0x7f, v21
	s_cbranch_execz .LBB186_804
; %bb.801:                              ;   in Loop: Header=BB186_551 Depth=1
	v_and_b32_e32 v5, 7, v5
	v_lshrrev_b32_e32 v7, 3, v21
	s_mov_b32 s28, exec_lo
	v_cmpx_gt_u32_e32 8, v21
; %bb.802:                              ;   in Loop: Header=BB186_551 Depth=1
	v_ffbh_u32_e32 v7, v5
	v_min_u32_e32 v7, 32, v7
	v_subrev_nc_u32_e32 v9, 28, v7
	v_sub_nc_u32_e32 v7, 29, v7
	v_lshlrev_b64 v[19:20], v9, v[5:6]
	v_and_b32_e32 v5, 7, v19
; %bb.803:                              ;   in Loop: Header=BB186_551 Depth=1
	s_or_b32 exec_lo, exec_lo, s28
	v_lshlrev_b32_e32 v9, 16, v86
	v_lshlrev_b32_e32 v5, 20, v5
	v_lshl_add_u32 v7, v7, 23, 0x3c000000
	v_mov_b32_e32 v19, v6
	v_and_b32_e32 v9, 0x80000000, v9
	v_or3_b32 v20, v5, v9, v7
.LBB186_804:                            ;   in Loop: Header=BB186_551 Depth=1
	s_or_b32 exec_lo, exec_lo, s27
.LBB186_805:                            ;   in Loop: Header=BB186_551 Depth=1
	s_or_b32 exec_lo, exec_lo, s26
.LBB186_806:                            ;   in Loop: Header=BB186_551 Depth=1
	s_or_b32 exec_lo, exec_lo, s22
	v_mov_b32_e32 v23, 0
	v_mov_b32_e32 v21, 0
	v_and_b32_sdwa v5, v86, v48 dst_sel:DWORD dst_unused:UNUSED_PAD src0_sel:WORD_1 src1_sel:DWORD
	v_mov_b32_e32 v24, 0
	v_mov_b32_e32 v22, 0
	s_mov_b32 s22, exec_lo
	v_cmpx_ne_u16_e32 0, v5
	s_cbranch_execz .LBB186_814
; %bb.807:                              ;   in Loop: Header=BB186_551 Depth=1
	v_bfrev_b32_e32 v21, 1
	v_mov_b32_e32 v22, 0
	s_mov_b32 s26, exec_lo
	v_cmpx_ne_u16_e32 0x80, v5
	s_cbranch_execz .LBB186_813
; %bb.808:                              ;   in Loop: Header=BB186_551 Depth=1
	v_mov_b32_e32 v21, 0x7f800001
	v_bfe_u32 v9, v86, 16, 7
	v_mov_b32_e32 v22, 0
	s_mov_b32 s27, exec_lo
	v_cmpx_ne_u32_e32 0x7f, v9
	s_cbranch_execz .LBB186_812
; %bb.809:                              ;   in Loop: Header=BB186_551 Depth=1
	v_and_b32_sdwa v5, v86, v49 dst_sel:DWORD dst_unused:UNUSED_PAD src0_sel:WORD_1 src1_sel:DWORD
	v_lshrrev_b32_e32 v7, 3, v9
	s_mov_b32 s28, exec_lo
	v_cmpx_gt_u32_e32 8, v9
; %bb.810:                              ;   in Loop: Header=BB186_551 Depth=1
	v_ffbh_u32_e32 v7, v5
	v_min_u32_e32 v7, 32, v7
	v_subrev_nc_u32_e32 v9, 28, v7
	v_sub_nc_u32_e32 v7, 29, v7
	v_lshlrev_b64 v[21:22], v9, v[5:6]
	v_and_b32_e32 v5, 7, v21
; %bb.811:                              ;   in Loop: Header=BB186_551 Depth=1
	s_or_b32 exec_lo, exec_lo, s28
	v_lshlrev_b32_sdwa v9, v50, v86 dst_sel:DWORD dst_unused:UNUSED_PAD src0_sel:DWORD src1_sel:WORD_1
	v_lshlrev_b32_e32 v5, 20, v5
	v_lshl_add_u32 v7, v7, 23, 0x3c000000
	v_and_b32_e32 v9, 0x80000000, v9
	v_or3_b32 v5, v5, v9, v7
	v_mov_b32_e32 v22, v6
	v_mov_b32_e32 v21, v5
.LBB186_812:                            ;   in Loop: Header=BB186_551 Depth=1
	s_or_b32 exec_lo, exec_lo, s27
.LBB186_813:                            ;   in Loop: Header=BB186_551 Depth=1
	s_or_b32 exec_lo, exec_lo, s26
.LBB186_814:                            ;   in Loop: Header=BB186_551 Depth=1
	s_or_b32 exec_lo, exec_lo, s22
	s_mov_b32 s22, exec_lo
	v_cmpx_lt_u32_e32 0xffffff, v86
	s_cbranch_execz .LBB186_822
; %bb.815:                              ;   in Loop: Header=BB186_551 Depth=1
	v_mov_b32_e32 v7, v6
	v_mov_b32_e32 v24, v8
	v_cmp_ne_u32_sdwa s1, v86, v46 src0_sel:BYTE_3 src1_sel:DWORD
	v_mov_b32_e32 v23, v7
	s_and_saveexec_b32 s26, s1
	s_cbranch_execz .LBB186_821
; %bb.816:                              ;   in Loop: Header=BB186_551 Depth=1
	v_mov_b32_e32 v9, v6
	v_mov_b32_e32 v24, v10
	v_bfe_u32 v87, v86, 24, 7
	s_mov_b32 s27, exec_lo
	v_mov_b32_e32 v23, v9
	v_cmpx_ne_u32_e32 0x7f, v87
	s_cbranch_execz .LBB186_820
; %bb.817:                              ;   in Loop: Header=BB186_551 Depth=1
	v_and_b32_sdwa v5, v86, v49 dst_sel:DWORD dst_unused:UNUSED_PAD src0_sel:BYTE_3 src1_sel:DWORD
	v_lshrrev_b32_e32 v7, 3, v87
	s_mov_b32 s28, exec_lo
	v_cmpx_gt_u32_e32 8, v87
; %bb.818:                              ;   in Loop: Header=BB186_551 Depth=1
	v_ffbh_u32_e32 v7, v5
	v_min_u32_e32 v7, 32, v7
	v_subrev_nc_u32_e32 v9, 28, v7
	v_sub_nc_u32_e32 v7, 29, v7
	v_lshlrev_b64 v[23:24], v9, v[5:6]
	v_and_b32_e32 v5, 7, v23
; %bb.819:                              ;   in Loop: Header=BB186_551 Depth=1
	s_or_b32 exec_lo, exec_lo, s28
	v_lshlrev_b32_sdwa v9, v50, v86 dst_sel:DWORD dst_unused:UNUSED_PAD src0_sel:DWORD src1_sel:BYTE_3
	v_lshlrev_b32_e32 v5, 20, v5
	v_lshl_add_u32 v7, v7, 23, 0x3c000000
	v_mov_b32_e32 v23, v6
	v_and_b32_e32 v9, 0x80000000, v9
	v_or3_b32 v24, v5, v9, v7
.LBB186_820:                            ;   in Loop: Header=BB186_551 Depth=1
	s_or_b32 exec_lo, exec_lo, s27
.LBB186_821:                            ;   in Loop: Header=BB186_551 Depth=1
	s_or_b32 exec_lo, exec_lo, s26
.LBB186_822:                            ;   in Loop: Header=BB186_551 Depth=1
	s_or_b32 exec_lo, exec_lo, s22
	v_or_b32_e32 v5, v20, v18
	v_or_b32_e32 v7, v19, v17
	;; [unrolled: 1-line block ×4, first 2 shown]
	v_mul_f32_e32 v88, s21, v5
	v_mul_f32_e32 v89, s18, v7
	;; [unrolled: 1-line block ×4, first 2 shown]
	s_and_saveexec_b32 s22, vcc_lo
	s_cbranch_execz .LBB186_824
; %bb.823:                              ;   in Loop: Header=BB186_551 Depth=1
	v_cmp_gt_i32_e64 s1, s33, v58
	v_cndmask_b32_e64 v89, 0, v89, s1
	v_cmp_gt_i32_e64 s1, s33, v61
	v_cndmask_b32_e64 v88, 0, v88, s1
	;; [unrolled: 2-line block ×4, first 2 shown]
.LBB186_824:                            ;   in Loop: Header=BB186_551 Depth=1
	s_or_b32 exec_lo, exec_lo, s22
	global_load_dword v90, v[15:16], off offset:1024
	v_mov_b32_e32 v19, 0
	v_mov_b32_e32 v17, 0
	;; [unrolled: 1-line block ×4, first 2 shown]
	s_waitcnt vmcnt(0)
	v_cmp_ne_u16_sdwa s1, v90, v6 src0_sel:BYTE_0 src1_sel:DWORD
	s_and_saveexec_b32 s22, s1
	s_cbranch_execz .LBB186_832
; %bb.825:                              ;   in Loop: Header=BB186_551 Depth=1
	v_bfrev_b32_e32 v17, 1
	v_mov_b32_e32 v18, 0
	v_cmp_ne_u16_sdwa s1, v90, v46 src0_sel:BYTE_0 src1_sel:DWORD
	s_and_saveexec_b32 s26, s1
	s_cbranch_execz .LBB186_831
; %bb.826:                              ;   in Loop: Header=BB186_551 Depth=1
	v_mov_b32_e32 v17, 0x7f800001
	v_and_b32_e32 v9, 0x7f, v90
	v_mov_b32_e32 v18, 0
	s_mov_b32 s27, exec_lo
	v_cmpx_ne_u32_e32 0x7f, v9
	s_cbranch_execz .LBB186_830
; %bb.827:                              ;   in Loop: Header=BB186_551 Depth=1
	v_and_b32_e32 v5, 7, v90
	v_lshrrev_b32_e32 v7, 3, v9
	s_mov_b32 s28, exec_lo
	v_cmpx_gt_u32_e32 8, v9
; %bb.828:                              ;   in Loop: Header=BB186_551 Depth=1
	v_ffbh_u32_e32 v7, v5
	v_min_u32_e32 v7, 32, v7
	v_subrev_nc_u32_e32 v9, 28, v7
	v_sub_nc_u32_e32 v7, 29, v7
	v_lshlrev_b64 v[17:18], v9, v[5:6]
	v_and_b32_e32 v5, 7, v17
; %bb.829:                              ;   in Loop: Header=BB186_551 Depth=1
	s_or_b32 exec_lo, exec_lo, s28
	v_lshlrev_b32_e32 v9, 24, v90
	v_lshlrev_b32_e32 v5, 20, v5
	v_lshl_add_u32 v7, v7, 23, 0x3c000000
	v_and_b32_e32 v9, 0x80000000, v9
	v_or3_b32 v5, v5, v9, v7
	v_mov_b32_e32 v18, v6
	v_mov_b32_e32 v17, v5
.LBB186_830:                            ;   in Loop: Header=BB186_551 Depth=1
	s_or_b32 exec_lo, exec_lo, s27
.LBB186_831:                            ;   in Loop: Header=BB186_551 Depth=1
	s_or_b32 exec_lo, exec_lo, s26
.LBB186_832:                            ;   in Loop: Header=BB186_551 Depth=1
	s_or_b32 exec_lo, exec_lo, s22
	v_cmp_ne_u16_sdwa s1, v90, v6 src0_sel:BYTE_1 src1_sel:DWORD
	s_and_saveexec_b32 s22, s1
	s_cbranch_execz .LBB186_840
; %bb.833:                              ;   in Loop: Header=BB186_551 Depth=1
	v_mov_b32_e32 v7, v6
	v_mov_b32_e32 v20, v8
	v_cmp_ne_u16_sdwa s1, v90, v46 src0_sel:BYTE_1 src1_sel:DWORD
	v_mov_b32_e32 v19, v7
	s_and_saveexec_b32 s26, s1
	s_cbranch_execz .LBB186_839
; %bb.834:                              ;   in Loop: Header=BB186_551 Depth=1
	v_and_b32_sdwa v5, v47, v90 dst_sel:DWORD dst_unused:UNUSED_PAD src0_sel:DWORD src1_sel:BYTE_1
	v_mov_b32_e32 v9, v6
	v_mov_b32_e32 v20, v10
	s_mov_b32 s27, exec_lo
	v_and_b32_e32 v21, 0x7f, v5
	v_mov_b32_e32 v19, v9
	v_cmpx_ne_u32_e32 0x7f, v21
	s_cbranch_execz .LBB186_838
; %bb.835:                              ;   in Loop: Header=BB186_551 Depth=1
	v_and_b32_e32 v5, 7, v5
	v_lshrrev_b32_e32 v7, 3, v21
	s_mov_b32 s28, exec_lo
	v_cmpx_gt_u32_e32 8, v21
; %bb.836:                              ;   in Loop: Header=BB186_551 Depth=1
	v_ffbh_u32_e32 v7, v5
	v_min_u32_e32 v7, 32, v7
	v_subrev_nc_u32_e32 v9, 28, v7
	v_sub_nc_u32_e32 v7, 29, v7
	v_lshlrev_b64 v[19:20], v9, v[5:6]
	v_and_b32_e32 v5, 7, v19
; %bb.837:                              ;   in Loop: Header=BB186_551 Depth=1
	s_or_b32 exec_lo, exec_lo, s28
	v_lshlrev_b32_e32 v9, 16, v90
	v_lshlrev_b32_e32 v5, 20, v5
	v_lshl_add_u32 v7, v7, 23, 0x3c000000
	v_mov_b32_e32 v19, v6
	v_and_b32_e32 v9, 0x80000000, v9
	v_or3_b32 v20, v5, v9, v7
.LBB186_838:                            ;   in Loop: Header=BB186_551 Depth=1
	s_or_b32 exec_lo, exec_lo, s27
.LBB186_839:                            ;   in Loop: Header=BB186_551 Depth=1
	s_or_b32 exec_lo, exec_lo, s26
.LBB186_840:                            ;   in Loop: Header=BB186_551 Depth=1
	s_or_b32 exec_lo, exec_lo, s22
	v_mov_b32_e32 v23, 0
	v_mov_b32_e32 v21, 0
	v_and_b32_sdwa v5, v90, v48 dst_sel:DWORD dst_unused:UNUSED_PAD src0_sel:WORD_1 src1_sel:DWORD
	v_mov_b32_e32 v24, 0
	v_mov_b32_e32 v22, 0
	s_mov_b32 s22, exec_lo
	v_cmpx_ne_u16_e32 0, v5
	s_cbranch_execz .LBB186_848
; %bb.841:                              ;   in Loop: Header=BB186_551 Depth=1
	v_bfrev_b32_e32 v21, 1
	v_mov_b32_e32 v22, 0
	s_mov_b32 s26, exec_lo
	v_cmpx_ne_u16_e32 0x80, v5
	s_cbranch_execz .LBB186_847
; %bb.842:                              ;   in Loop: Header=BB186_551 Depth=1
	v_mov_b32_e32 v21, 0x7f800001
	v_bfe_u32 v9, v90, 16, 7
	v_mov_b32_e32 v22, 0
	s_mov_b32 s27, exec_lo
	v_cmpx_ne_u32_e32 0x7f, v9
	s_cbranch_execz .LBB186_846
; %bb.843:                              ;   in Loop: Header=BB186_551 Depth=1
	v_and_b32_sdwa v5, v90, v49 dst_sel:DWORD dst_unused:UNUSED_PAD src0_sel:WORD_1 src1_sel:DWORD
	v_lshrrev_b32_e32 v7, 3, v9
	s_mov_b32 s28, exec_lo
	v_cmpx_gt_u32_e32 8, v9
; %bb.844:                              ;   in Loop: Header=BB186_551 Depth=1
	v_ffbh_u32_e32 v7, v5
	v_min_u32_e32 v7, 32, v7
	v_subrev_nc_u32_e32 v9, 28, v7
	v_sub_nc_u32_e32 v7, 29, v7
	v_lshlrev_b64 v[21:22], v9, v[5:6]
	v_and_b32_e32 v5, 7, v21
; %bb.845:                              ;   in Loop: Header=BB186_551 Depth=1
	s_or_b32 exec_lo, exec_lo, s28
	v_lshlrev_b32_sdwa v9, v50, v90 dst_sel:DWORD dst_unused:UNUSED_PAD src0_sel:DWORD src1_sel:WORD_1
	v_lshlrev_b32_e32 v5, 20, v5
	v_lshl_add_u32 v7, v7, 23, 0x3c000000
	v_and_b32_e32 v9, 0x80000000, v9
	v_or3_b32 v5, v5, v9, v7
	v_mov_b32_e32 v22, v6
	v_mov_b32_e32 v21, v5
.LBB186_846:                            ;   in Loop: Header=BB186_551 Depth=1
	s_or_b32 exec_lo, exec_lo, s27
.LBB186_847:                            ;   in Loop: Header=BB186_551 Depth=1
	s_or_b32 exec_lo, exec_lo, s26
.LBB186_848:                            ;   in Loop: Header=BB186_551 Depth=1
	s_or_b32 exec_lo, exec_lo, s22
	s_mov_b32 s22, exec_lo
	v_cmpx_lt_u32_e32 0xffffff, v90
	s_cbranch_execz .LBB186_856
; %bb.849:                              ;   in Loop: Header=BB186_551 Depth=1
	v_mov_b32_e32 v7, v6
	v_mov_b32_e32 v24, v8
	v_cmp_ne_u32_sdwa s1, v90, v46 src0_sel:BYTE_3 src1_sel:DWORD
	v_mov_b32_e32 v23, v7
	s_and_saveexec_b32 s26, s1
	s_cbranch_execz .LBB186_855
; %bb.850:                              ;   in Loop: Header=BB186_551 Depth=1
	v_mov_b32_e32 v9, v6
	v_mov_b32_e32 v24, v10
	v_bfe_u32 v91, v90, 24, 7
	s_mov_b32 s27, exec_lo
	v_mov_b32_e32 v23, v9
	v_cmpx_ne_u32_e32 0x7f, v91
	s_cbranch_execz .LBB186_854
; %bb.851:                              ;   in Loop: Header=BB186_551 Depth=1
	v_and_b32_sdwa v5, v90, v49 dst_sel:DWORD dst_unused:UNUSED_PAD src0_sel:BYTE_3 src1_sel:DWORD
	v_lshrrev_b32_e32 v7, 3, v91
	s_mov_b32 s28, exec_lo
	v_cmpx_gt_u32_e32 8, v91
; %bb.852:                              ;   in Loop: Header=BB186_551 Depth=1
	v_ffbh_u32_e32 v7, v5
	v_min_u32_e32 v7, 32, v7
	v_subrev_nc_u32_e32 v9, 28, v7
	v_sub_nc_u32_e32 v7, 29, v7
	v_lshlrev_b64 v[23:24], v9, v[5:6]
	v_and_b32_e32 v5, 7, v23
; %bb.853:                              ;   in Loop: Header=BB186_551 Depth=1
	s_or_b32 exec_lo, exec_lo, s28
	v_lshlrev_b32_sdwa v9, v50, v90 dst_sel:DWORD dst_unused:UNUSED_PAD src0_sel:DWORD src1_sel:BYTE_3
	v_lshlrev_b32_e32 v5, 20, v5
	v_lshl_add_u32 v7, v7, 23, 0x3c000000
	v_mov_b32_e32 v23, v6
	v_and_b32_e32 v9, 0x80000000, v9
	v_or3_b32 v24, v5, v9, v7
.LBB186_854:                            ;   in Loop: Header=BB186_551 Depth=1
	s_or_b32 exec_lo, exec_lo, s27
.LBB186_855:                            ;   in Loop: Header=BB186_551 Depth=1
	s_or_b32 exec_lo, exec_lo, s26
.LBB186_856:                            ;   in Loop: Header=BB186_551 Depth=1
	s_or_b32 exec_lo, exec_lo, s22
	v_or_b32_e32 v5, v20, v18
	v_or_b32_e32 v7, v19, v17
	;; [unrolled: 1-line block ×4, first 2 shown]
	v_mul_f32_e32 v92, s21, v5
	v_mul_f32_e32 v93, s18, v7
	;; [unrolled: 1-line block ×4, first 2 shown]
	s_and_saveexec_b32 s22, vcc_lo
	s_cbranch_execz .LBB186_858
; %bb.857:                              ;   in Loop: Header=BB186_551 Depth=1
	v_cmp_gt_i32_e64 s1, s33, v58
	v_cndmask_b32_e64 v93, 0, v93, s1
	v_cmp_gt_i32_e64 s1, s33, v61
	v_cndmask_b32_e64 v92, 0, v92, s1
	;; [unrolled: 2-line block ×4, first 2 shown]
.LBB186_858:                            ;   in Loop: Header=BB186_551 Depth=1
	s_or_b32 exec_lo, exec_lo, s22
	global_load_dword v94, v[15:16], off offset:1152
	v_mov_b32_e32 v19, 0
	v_mov_b32_e32 v17, 0
	;; [unrolled: 1-line block ×4, first 2 shown]
	s_waitcnt vmcnt(0)
	v_cmp_ne_u16_sdwa s1, v94, v6 src0_sel:BYTE_0 src1_sel:DWORD
	s_and_saveexec_b32 s22, s1
	s_cbranch_execz .LBB186_866
; %bb.859:                              ;   in Loop: Header=BB186_551 Depth=1
	v_bfrev_b32_e32 v17, 1
	v_mov_b32_e32 v18, 0
	v_cmp_ne_u16_sdwa s1, v94, v46 src0_sel:BYTE_0 src1_sel:DWORD
	s_and_saveexec_b32 s26, s1
	s_cbranch_execz .LBB186_865
; %bb.860:                              ;   in Loop: Header=BB186_551 Depth=1
	v_mov_b32_e32 v17, 0x7f800001
	v_and_b32_e32 v9, 0x7f, v94
	v_mov_b32_e32 v18, 0
	s_mov_b32 s27, exec_lo
	v_cmpx_ne_u32_e32 0x7f, v9
	s_cbranch_execz .LBB186_864
; %bb.861:                              ;   in Loop: Header=BB186_551 Depth=1
	v_and_b32_e32 v5, 7, v94
	v_lshrrev_b32_e32 v7, 3, v9
	s_mov_b32 s28, exec_lo
	v_cmpx_gt_u32_e32 8, v9
; %bb.862:                              ;   in Loop: Header=BB186_551 Depth=1
	v_ffbh_u32_e32 v7, v5
	v_min_u32_e32 v7, 32, v7
	v_subrev_nc_u32_e32 v9, 28, v7
	v_sub_nc_u32_e32 v7, 29, v7
	v_lshlrev_b64 v[17:18], v9, v[5:6]
	v_and_b32_e32 v5, 7, v17
; %bb.863:                              ;   in Loop: Header=BB186_551 Depth=1
	s_or_b32 exec_lo, exec_lo, s28
	v_lshlrev_b32_e32 v9, 24, v94
	v_lshlrev_b32_e32 v5, 20, v5
	v_lshl_add_u32 v7, v7, 23, 0x3c000000
	v_and_b32_e32 v9, 0x80000000, v9
	v_or3_b32 v5, v5, v9, v7
	v_mov_b32_e32 v18, v6
	v_mov_b32_e32 v17, v5
.LBB186_864:                            ;   in Loop: Header=BB186_551 Depth=1
	s_or_b32 exec_lo, exec_lo, s27
.LBB186_865:                            ;   in Loop: Header=BB186_551 Depth=1
	s_or_b32 exec_lo, exec_lo, s26
.LBB186_866:                            ;   in Loop: Header=BB186_551 Depth=1
	s_or_b32 exec_lo, exec_lo, s22
	v_cmp_ne_u16_sdwa s1, v94, v6 src0_sel:BYTE_1 src1_sel:DWORD
	s_and_saveexec_b32 s22, s1
	s_cbranch_execz .LBB186_874
; %bb.867:                              ;   in Loop: Header=BB186_551 Depth=1
	v_mov_b32_e32 v7, v6
	v_mov_b32_e32 v20, v8
	v_cmp_ne_u16_sdwa s1, v94, v46 src0_sel:BYTE_1 src1_sel:DWORD
	v_mov_b32_e32 v19, v7
	s_and_saveexec_b32 s26, s1
	s_cbranch_execz .LBB186_873
; %bb.868:                              ;   in Loop: Header=BB186_551 Depth=1
	v_and_b32_sdwa v5, v47, v94 dst_sel:DWORD dst_unused:UNUSED_PAD src0_sel:DWORD src1_sel:BYTE_1
	v_mov_b32_e32 v9, v6
	v_mov_b32_e32 v20, v10
	s_mov_b32 s27, exec_lo
	v_and_b32_e32 v21, 0x7f, v5
	v_mov_b32_e32 v19, v9
	v_cmpx_ne_u32_e32 0x7f, v21
	s_cbranch_execz .LBB186_872
; %bb.869:                              ;   in Loop: Header=BB186_551 Depth=1
	v_and_b32_e32 v5, 7, v5
	v_lshrrev_b32_e32 v7, 3, v21
	s_mov_b32 s28, exec_lo
	v_cmpx_gt_u32_e32 8, v21
; %bb.870:                              ;   in Loop: Header=BB186_551 Depth=1
	v_ffbh_u32_e32 v7, v5
	v_min_u32_e32 v7, 32, v7
	v_subrev_nc_u32_e32 v9, 28, v7
	v_sub_nc_u32_e32 v7, 29, v7
	v_lshlrev_b64 v[19:20], v9, v[5:6]
	v_and_b32_e32 v5, 7, v19
; %bb.871:                              ;   in Loop: Header=BB186_551 Depth=1
	s_or_b32 exec_lo, exec_lo, s28
	v_lshlrev_b32_e32 v9, 16, v94
	v_lshlrev_b32_e32 v5, 20, v5
	v_lshl_add_u32 v7, v7, 23, 0x3c000000
	v_mov_b32_e32 v19, v6
	v_and_b32_e32 v9, 0x80000000, v9
	v_or3_b32 v20, v5, v9, v7
.LBB186_872:                            ;   in Loop: Header=BB186_551 Depth=1
	s_or_b32 exec_lo, exec_lo, s27
.LBB186_873:                            ;   in Loop: Header=BB186_551 Depth=1
	s_or_b32 exec_lo, exec_lo, s26
.LBB186_874:                            ;   in Loop: Header=BB186_551 Depth=1
	s_or_b32 exec_lo, exec_lo, s22
	v_mov_b32_e32 v23, 0
	v_mov_b32_e32 v21, 0
	v_and_b32_sdwa v5, v94, v48 dst_sel:DWORD dst_unused:UNUSED_PAD src0_sel:WORD_1 src1_sel:DWORD
	v_mov_b32_e32 v24, 0
	v_mov_b32_e32 v22, 0
	s_mov_b32 s22, exec_lo
	v_cmpx_ne_u16_e32 0, v5
	s_cbranch_execz .LBB186_882
; %bb.875:                              ;   in Loop: Header=BB186_551 Depth=1
	v_bfrev_b32_e32 v21, 1
	v_mov_b32_e32 v22, 0
	s_mov_b32 s26, exec_lo
	v_cmpx_ne_u16_e32 0x80, v5
	s_cbranch_execz .LBB186_881
; %bb.876:                              ;   in Loop: Header=BB186_551 Depth=1
	v_mov_b32_e32 v21, 0x7f800001
	v_bfe_u32 v9, v94, 16, 7
	v_mov_b32_e32 v22, 0
	s_mov_b32 s27, exec_lo
	v_cmpx_ne_u32_e32 0x7f, v9
	s_cbranch_execz .LBB186_880
; %bb.877:                              ;   in Loop: Header=BB186_551 Depth=1
	v_and_b32_sdwa v5, v94, v49 dst_sel:DWORD dst_unused:UNUSED_PAD src0_sel:WORD_1 src1_sel:DWORD
	v_lshrrev_b32_e32 v7, 3, v9
	s_mov_b32 s28, exec_lo
	v_cmpx_gt_u32_e32 8, v9
; %bb.878:                              ;   in Loop: Header=BB186_551 Depth=1
	v_ffbh_u32_e32 v7, v5
	v_min_u32_e32 v7, 32, v7
	v_subrev_nc_u32_e32 v9, 28, v7
	v_sub_nc_u32_e32 v7, 29, v7
	v_lshlrev_b64 v[21:22], v9, v[5:6]
	v_and_b32_e32 v5, 7, v21
; %bb.879:                              ;   in Loop: Header=BB186_551 Depth=1
	s_or_b32 exec_lo, exec_lo, s28
	v_lshlrev_b32_sdwa v9, v50, v94 dst_sel:DWORD dst_unused:UNUSED_PAD src0_sel:DWORD src1_sel:WORD_1
	v_lshlrev_b32_e32 v5, 20, v5
	v_lshl_add_u32 v7, v7, 23, 0x3c000000
	v_and_b32_e32 v9, 0x80000000, v9
	v_or3_b32 v5, v5, v9, v7
	v_mov_b32_e32 v22, v6
	v_mov_b32_e32 v21, v5
.LBB186_880:                            ;   in Loop: Header=BB186_551 Depth=1
	s_or_b32 exec_lo, exec_lo, s27
.LBB186_881:                            ;   in Loop: Header=BB186_551 Depth=1
	s_or_b32 exec_lo, exec_lo, s26
.LBB186_882:                            ;   in Loop: Header=BB186_551 Depth=1
	s_or_b32 exec_lo, exec_lo, s22
	s_mov_b32 s22, exec_lo
	v_cmpx_lt_u32_e32 0xffffff, v94
	s_cbranch_execz .LBB186_890
; %bb.883:                              ;   in Loop: Header=BB186_551 Depth=1
	v_mov_b32_e32 v7, v6
	v_mov_b32_e32 v24, v8
	v_cmp_ne_u32_sdwa s1, v94, v46 src0_sel:BYTE_3 src1_sel:DWORD
	v_mov_b32_e32 v23, v7
	s_and_saveexec_b32 s26, s1
	s_cbranch_execz .LBB186_889
; %bb.884:                              ;   in Loop: Header=BB186_551 Depth=1
	v_mov_b32_e32 v9, v6
	v_mov_b32_e32 v24, v10
	v_bfe_u32 v95, v94, 24, 7
	s_mov_b32 s27, exec_lo
	v_mov_b32_e32 v23, v9
	v_cmpx_ne_u32_e32 0x7f, v95
	s_cbranch_execz .LBB186_888
; %bb.885:                              ;   in Loop: Header=BB186_551 Depth=1
	v_and_b32_sdwa v5, v94, v49 dst_sel:DWORD dst_unused:UNUSED_PAD src0_sel:BYTE_3 src1_sel:DWORD
	v_lshrrev_b32_e32 v7, 3, v95
	s_mov_b32 s28, exec_lo
	v_cmpx_gt_u32_e32 8, v95
; %bb.886:                              ;   in Loop: Header=BB186_551 Depth=1
	v_ffbh_u32_e32 v7, v5
	v_min_u32_e32 v7, 32, v7
	v_subrev_nc_u32_e32 v9, 28, v7
	v_sub_nc_u32_e32 v7, 29, v7
	v_lshlrev_b64 v[23:24], v9, v[5:6]
	v_and_b32_e32 v5, 7, v23
; %bb.887:                              ;   in Loop: Header=BB186_551 Depth=1
	s_or_b32 exec_lo, exec_lo, s28
	v_lshlrev_b32_sdwa v9, v50, v94 dst_sel:DWORD dst_unused:UNUSED_PAD src0_sel:DWORD src1_sel:BYTE_3
	v_lshlrev_b32_e32 v5, 20, v5
	v_lshl_add_u32 v7, v7, 23, 0x3c000000
	v_mov_b32_e32 v23, v6
	v_and_b32_e32 v9, 0x80000000, v9
	v_or3_b32 v24, v5, v9, v7
.LBB186_888:                            ;   in Loop: Header=BB186_551 Depth=1
	s_or_b32 exec_lo, exec_lo, s27
.LBB186_889:                            ;   in Loop: Header=BB186_551 Depth=1
	s_or_b32 exec_lo, exec_lo, s26
.LBB186_890:                            ;   in Loop: Header=BB186_551 Depth=1
	s_or_b32 exec_lo, exec_lo, s22
	v_or_b32_e32 v5, v20, v18
	v_or_b32_e32 v7, v19, v17
	v_or_b32_e32 v9, v23, v21
	v_or_b32_e32 v17, v24, v22
	v_mul_f32_e32 v96, s21, v5
	v_mul_f32_e32 v97, s18, v7
	;; [unrolled: 1-line block ×4, first 2 shown]
	s_and_saveexec_b32 s22, vcc_lo
	s_cbranch_execz .LBB186_892
; %bb.891:                              ;   in Loop: Header=BB186_551 Depth=1
	v_cmp_gt_i32_e64 s1, s33, v58
	v_cndmask_b32_e64 v97, 0, v97, s1
	v_cmp_gt_i32_e64 s1, s33, v61
	v_cndmask_b32_e64 v96, 0, v96, s1
	;; [unrolled: 2-line block ×4, first 2 shown]
.LBB186_892:                            ;   in Loop: Header=BB186_551 Depth=1
	s_or_b32 exec_lo, exec_lo, s22
	global_load_dword v98, v[15:16], off offset:1280
	v_mov_b32_e32 v19, 0
	v_mov_b32_e32 v17, 0
	;; [unrolled: 1-line block ×4, first 2 shown]
	s_waitcnt vmcnt(0)
	v_cmp_ne_u16_sdwa s1, v98, v6 src0_sel:BYTE_0 src1_sel:DWORD
	s_and_saveexec_b32 s22, s1
	s_cbranch_execz .LBB186_900
; %bb.893:                              ;   in Loop: Header=BB186_551 Depth=1
	v_bfrev_b32_e32 v17, 1
	v_mov_b32_e32 v18, 0
	v_cmp_ne_u16_sdwa s1, v98, v46 src0_sel:BYTE_0 src1_sel:DWORD
	s_and_saveexec_b32 s26, s1
	s_cbranch_execz .LBB186_899
; %bb.894:                              ;   in Loop: Header=BB186_551 Depth=1
	v_mov_b32_e32 v17, 0x7f800001
	v_and_b32_e32 v9, 0x7f, v98
	v_mov_b32_e32 v18, 0
	s_mov_b32 s27, exec_lo
	v_cmpx_ne_u32_e32 0x7f, v9
	s_cbranch_execz .LBB186_898
; %bb.895:                              ;   in Loop: Header=BB186_551 Depth=1
	v_and_b32_e32 v5, 7, v98
	v_lshrrev_b32_e32 v7, 3, v9
	s_mov_b32 s28, exec_lo
	v_cmpx_gt_u32_e32 8, v9
; %bb.896:                              ;   in Loop: Header=BB186_551 Depth=1
	v_ffbh_u32_e32 v7, v5
	v_min_u32_e32 v7, 32, v7
	v_subrev_nc_u32_e32 v9, 28, v7
	v_sub_nc_u32_e32 v7, 29, v7
	v_lshlrev_b64 v[17:18], v9, v[5:6]
	v_and_b32_e32 v5, 7, v17
; %bb.897:                              ;   in Loop: Header=BB186_551 Depth=1
	s_or_b32 exec_lo, exec_lo, s28
	v_lshlrev_b32_e32 v9, 24, v98
	v_lshlrev_b32_e32 v5, 20, v5
	v_lshl_add_u32 v7, v7, 23, 0x3c000000
	v_and_b32_e32 v9, 0x80000000, v9
	v_or3_b32 v5, v5, v9, v7
	v_mov_b32_e32 v18, v6
	v_mov_b32_e32 v17, v5
.LBB186_898:                            ;   in Loop: Header=BB186_551 Depth=1
	s_or_b32 exec_lo, exec_lo, s27
.LBB186_899:                            ;   in Loop: Header=BB186_551 Depth=1
	s_or_b32 exec_lo, exec_lo, s26
.LBB186_900:                            ;   in Loop: Header=BB186_551 Depth=1
	s_or_b32 exec_lo, exec_lo, s22
	v_cmp_ne_u16_sdwa s1, v98, v6 src0_sel:BYTE_1 src1_sel:DWORD
	s_and_saveexec_b32 s22, s1
	s_cbranch_execz .LBB186_908
; %bb.901:                              ;   in Loop: Header=BB186_551 Depth=1
	v_mov_b32_e32 v7, v6
	v_mov_b32_e32 v20, v8
	v_cmp_ne_u16_sdwa s1, v98, v46 src0_sel:BYTE_1 src1_sel:DWORD
	v_mov_b32_e32 v19, v7
	s_and_saveexec_b32 s26, s1
	s_cbranch_execz .LBB186_907
; %bb.902:                              ;   in Loop: Header=BB186_551 Depth=1
	v_and_b32_sdwa v5, v47, v98 dst_sel:DWORD dst_unused:UNUSED_PAD src0_sel:DWORD src1_sel:BYTE_1
	v_mov_b32_e32 v9, v6
	v_mov_b32_e32 v20, v10
	s_mov_b32 s27, exec_lo
	v_and_b32_e32 v21, 0x7f, v5
	v_mov_b32_e32 v19, v9
	v_cmpx_ne_u32_e32 0x7f, v21
	s_cbranch_execz .LBB186_906
; %bb.903:                              ;   in Loop: Header=BB186_551 Depth=1
	v_and_b32_e32 v5, 7, v5
	v_lshrrev_b32_e32 v7, 3, v21
	s_mov_b32 s28, exec_lo
	v_cmpx_gt_u32_e32 8, v21
; %bb.904:                              ;   in Loop: Header=BB186_551 Depth=1
	v_ffbh_u32_e32 v7, v5
	v_min_u32_e32 v7, 32, v7
	v_subrev_nc_u32_e32 v9, 28, v7
	v_sub_nc_u32_e32 v7, 29, v7
	v_lshlrev_b64 v[19:20], v9, v[5:6]
	v_and_b32_e32 v5, 7, v19
; %bb.905:                              ;   in Loop: Header=BB186_551 Depth=1
	s_or_b32 exec_lo, exec_lo, s28
	v_lshlrev_b32_e32 v9, 16, v98
	v_lshlrev_b32_e32 v5, 20, v5
	v_lshl_add_u32 v7, v7, 23, 0x3c000000
	v_mov_b32_e32 v19, v6
	v_and_b32_e32 v9, 0x80000000, v9
	v_or3_b32 v20, v5, v9, v7
.LBB186_906:                            ;   in Loop: Header=BB186_551 Depth=1
	s_or_b32 exec_lo, exec_lo, s27
.LBB186_907:                            ;   in Loop: Header=BB186_551 Depth=1
	s_or_b32 exec_lo, exec_lo, s26
.LBB186_908:                            ;   in Loop: Header=BB186_551 Depth=1
	s_or_b32 exec_lo, exec_lo, s22
	v_mov_b32_e32 v23, 0
	v_mov_b32_e32 v21, 0
	v_and_b32_sdwa v5, v98, v48 dst_sel:DWORD dst_unused:UNUSED_PAD src0_sel:WORD_1 src1_sel:DWORD
	v_mov_b32_e32 v24, 0
	v_mov_b32_e32 v22, 0
	s_mov_b32 s22, exec_lo
	v_cmpx_ne_u16_e32 0, v5
	s_cbranch_execz .LBB186_916
; %bb.909:                              ;   in Loop: Header=BB186_551 Depth=1
	v_bfrev_b32_e32 v21, 1
	v_mov_b32_e32 v22, 0
	s_mov_b32 s26, exec_lo
	v_cmpx_ne_u16_e32 0x80, v5
	s_cbranch_execz .LBB186_915
; %bb.910:                              ;   in Loop: Header=BB186_551 Depth=1
	v_mov_b32_e32 v21, 0x7f800001
	v_bfe_u32 v9, v98, 16, 7
	v_mov_b32_e32 v22, 0
	s_mov_b32 s27, exec_lo
	v_cmpx_ne_u32_e32 0x7f, v9
	s_cbranch_execz .LBB186_914
; %bb.911:                              ;   in Loop: Header=BB186_551 Depth=1
	v_and_b32_sdwa v5, v98, v49 dst_sel:DWORD dst_unused:UNUSED_PAD src0_sel:WORD_1 src1_sel:DWORD
	v_lshrrev_b32_e32 v7, 3, v9
	s_mov_b32 s28, exec_lo
	v_cmpx_gt_u32_e32 8, v9
; %bb.912:                              ;   in Loop: Header=BB186_551 Depth=1
	v_ffbh_u32_e32 v7, v5
	v_min_u32_e32 v7, 32, v7
	v_subrev_nc_u32_e32 v9, 28, v7
	v_sub_nc_u32_e32 v7, 29, v7
	v_lshlrev_b64 v[21:22], v9, v[5:6]
	v_and_b32_e32 v5, 7, v21
; %bb.913:                              ;   in Loop: Header=BB186_551 Depth=1
	s_or_b32 exec_lo, exec_lo, s28
	v_lshlrev_b32_sdwa v9, v50, v98 dst_sel:DWORD dst_unused:UNUSED_PAD src0_sel:DWORD src1_sel:WORD_1
	v_lshlrev_b32_e32 v5, 20, v5
	v_lshl_add_u32 v7, v7, 23, 0x3c000000
	v_and_b32_e32 v9, 0x80000000, v9
	v_or3_b32 v5, v5, v9, v7
	v_mov_b32_e32 v22, v6
	v_mov_b32_e32 v21, v5
.LBB186_914:                            ;   in Loop: Header=BB186_551 Depth=1
	s_or_b32 exec_lo, exec_lo, s27
.LBB186_915:                            ;   in Loop: Header=BB186_551 Depth=1
	s_or_b32 exec_lo, exec_lo, s26
.LBB186_916:                            ;   in Loop: Header=BB186_551 Depth=1
	s_or_b32 exec_lo, exec_lo, s22
	s_mov_b32 s22, exec_lo
	v_cmpx_lt_u32_e32 0xffffff, v98
	s_cbranch_execz .LBB186_924
; %bb.917:                              ;   in Loop: Header=BB186_551 Depth=1
	v_mov_b32_e32 v7, v6
	v_mov_b32_e32 v24, v8
	v_cmp_ne_u32_sdwa s1, v98, v46 src0_sel:BYTE_3 src1_sel:DWORD
	v_mov_b32_e32 v23, v7
	s_and_saveexec_b32 s26, s1
	s_cbranch_execz .LBB186_923
; %bb.918:                              ;   in Loop: Header=BB186_551 Depth=1
	v_mov_b32_e32 v9, v6
	v_mov_b32_e32 v24, v10
	v_bfe_u32 v99, v98, 24, 7
	s_mov_b32 s27, exec_lo
	v_mov_b32_e32 v23, v9
	v_cmpx_ne_u32_e32 0x7f, v99
	s_cbranch_execz .LBB186_922
; %bb.919:                              ;   in Loop: Header=BB186_551 Depth=1
	v_and_b32_sdwa v5, v98, v49 dst_sel:DWORD dst_unused:UNUSED_PAD src0_sel:BYTE_3 src1_sel:DWORD
	v_lshrrev_b32_e32 v7, 3, v99
	s_mov_b32 s28, exec_lo
	v_cmpx_gt_u32_e32 8, v99
; %bb.920:                              ;   in Loop: Header=BB186_551 Depth=1
	v_ffbh_u32_e32 v7, v5
	v_min_u32_e32 v7, 32, v7
	v_subrev_nc_u32_e32 v9, 28, v7
	v_sub_nc_u32_e32 v7, 29, v7
	v_lshlrev_b64 v[23:24], v9, v[5:6]
	v_and_b32_e32 v5, 7, v23
; %bb.921:                              ;   in Loop: Header=BB186_551 Depth=1
	s_or_b32 exec_lo, exec_lo, s28
	v_lshlrev_b32_sdwa v9, v50, v98 dst_sel:DWORD dst_unused:UNUSED_PAD src0_sel:DWORD src1_sel:BYTE_3
	v_lshlrev_b32_e32 v5, 20, v5
	v_lshl_add_u32 v7, v7, 23, 0x3c000000
	v_mov_b32_e32 v23, v6
	v_and_b32_e32 v9, 0x80000000, v9
	v_or3_b32 v24, v5, v9, v7
.LBB186_922:                            ;   in Loop: Header=BB186_551 Depth=1
	s_or_b32 exec_lo, exec_lo, s27
.LBB186_923:                            ;   in Loop: Header=BB186_551 Depth=1
	s_or_b32 exec_lo, exec_lo, s26
.LBB186_924:                            ;   in Loop: Header=BB186_551 Depth=1
	s_or_b32 exec_lo, exec_lo, s22
	v_or_b32_e32 v5, v20, v18
	v_or_b32_e32 v7, v19, v17
	;; [unrolled: 1-line block ×4, first 2 shown]
	v_mul_f32_e32 v100, s21, v5
	v_mul_f32_e32 v101, s18, v7
	;; [unrolled: 1-line block ×4, first 2 shown]
	s_and_saveexec_b32 s22, vcc_lo
	s_cbranch_execz .LBB186_926
; %bb.925:                              ;   in Loop: Header=BB186_551 Depth=1
	v_cmp_gt_i32_e64 s1, s33, v58
	v_cndmask_b32_e64 v101, 0, v101, s1
	v_cmp_gt_i32_e64 s1, s33, v61
	v_cndmask_b32_e64 v100, 0, v100, s1
	;; [unrolled: 2-line block ×4, first 2 shown]
.LBB186_926:                            ;   in Loop: Header=BB186_551 Depth=1
	s_or_b32 exec_lo, exec_lo, s22
	global_load_dword v102, v[15:16], off offset:1408
	v_mov_b32_e32 v19, 0
	v_mov_b32_e32 v17, 0
	v_mov_b32_e32 v20, 0
	v_mov_b32_e32 v18, 0
	s_waitcnt vmcnt(0)
	v_cmp_ne_u16_sdwa s1, v102, v6 src0_sel:BYTE_0 src1_sel:DWORD
	s_and_saveexec_b32 s22, s1
	s_cbranch_execz .LBB186_934
; %bb.927:                              ;   in Loop: Header=BB186_551 Depth=1
	v_bfrev_b32_e32 v17, 1
	v_mov_b32_e32 v18, 0
	v_cmp_ne_u16_sdwa s1, v102, v46 src0_sel:BYTE_0 src1_sel:DWORD
	s_and_saveexec_b32 s26, s1
	s_cbranch_execz .LBB186_933
; %bb.928:                              ;   in Loop: Header=BB186_551 Depth=1
	v_mov_b32_e32 v17, 0x7f800001
	v_and_b32_e32 v9, 0x7f, v102
	v_mov_b32_e32 v18, 0
	s_mov_b32 s27, exec_lo
	v_cmpx_ne_u32_e32 0x7f, v9
	s_cbranch_execz .LBB186_932
; %bb.929:                              ;   in Loop: Header=BB186_551 Depth=1
	v_and_b32_e32 v5, 7, v102
	v_lshrrev_b32_e32 v7, 3, v9
	s_mov_b32 s28, exec_lo
	v_cmpx_gt_u32_e32 8, v9
; %bb.930:                              ;   in Loop: Header=BB186_551 Depth=1
	v_ffbh_u32_e32 v7, v5
	v_min_u32_e32 v7, 32, v7
	v_subrev_nc_u32_e32 v9, 28, v7
	v_sub_nc_u32_e32 v7, 29, v7
	v_lshlrev_b64 v[17:18], v9, v[5:6]
	v_and_b32_e32 v5, 7, v17
; %bb.931:                              ;   in Loop: Header=BB186_551 Depth=1
	s_or_b32 exec_lo, exec_lo, s28
	v_lshlrev_b32_e32 v9, 24, v102
	v_lshlrev_b32_e32 v5, 20, v5
	v_lshl_add_u32 v7, v7, 23, 0x3c000000
	v_and_b32_e32 v9, 0x80000000, v9
	v_or3_b32 v5, v5, v9, v7
	v_mov_b32_e32 v18, v6
	v_mov_b32_e32 v17, v5
.LBB186_932:                            ;   in Loop: Header=BB186_551 Depth=1
	s_or_b32 exec_lo, exec_lo, s27
.LBB186_933:                            ;   in Loop: Header=BB186_551 Depth=1
	s_or_b32 exec_lo, exec_lo, s26
.LBB186_934:                            ;   in Loop: Header=BB186_551 Depth=1
	s_or_b32 exec_lo, exec_lo, s22
	v_cmp_ne_u16_sdwa s1, v102, v6 src0_sel:BYTE_1 src1_sel:DWORD
	s_and_saveexec_b32 s22, s1
	s_cbranch_execz .LBB186_942
; %bb.935:                              ;   in Loop: Header=BB186_551 Depth=1
	v_mov_b32_e32 v7, v6
	v_mov_b32_e32 v20, v8
	v_cmp_ne_u16_sdwa s1, v102, v46 src0_sel:BYTE_1 src1_sel:DWORD
	v_mov_b32_e32 v19, v7
	s_and_saveexec_b32 s26, s1
	s_cbranch_execz .LBB186_941
; %bb.936:                              ;   in Loop: Header=BB186_551 Depth=1
	v_and_b32_sdwa v5, v47, v102 dst_sel:DWORD dst_unused:UNUSED_PAD src0_sel:DWORD src1_sel:BYTE_1
	v_mov_b32_e32 v9, v6
	v_mov_b32_e32 v20, v10
	s_mov_b32 s27, exec_lo
	v_and_b32_e32 v21, 0x7f, v5
	v_mov_b32_e32 v19, v9
	v_cmpx_ne_u32_e32 0x7f, v21
	s_cbranch_execz .LBB186_940
; %bb.937:                              ;   in Loop: Header=BB186_551 Depth=1
	v_and_b32_e32 v5, 7, v5
	v_lshrrev_b32_e32 v7, 3, v21
	s_mov_b32 s28, exec_lo
	v_cmpx_gt_u32_e32 8, v21
; %bb.938:                              ;   in Loop: Header=BB186_551 Depth=1
	v_ffbh_u32_e32 v7, v5
	v_min_u32_e32 v7, 32, v7
	v_subrev_nc_u32_e32 v9, 28, v7
	v_sub_nc_u32_e32 v7, 29, v7
	v_lshlrev_b64 v[19:20], v9, v[5:6]
	v_and_b32_e32 v5, 7, v19
; %bb.939:                              ;   in Loop: Header=BB186_551 Depth=1
	s_or_b32 exec_lo, exec_lo, s28
	v_lshlrev_b32_e32 v9, 16, v102
	v_lshlrev_b32_e32 v5, 20, v5
	v_lshl_add_u32 v7, v7, 23, 0x3c000000
	v_mov_b32_e32 v19, v6
	v_and_b32_e32 v9, 0x80000000, v9
	v_or3_b32 v20, v5, v9, v7
.LBB186_940:                            ;   in Loop: Header=BB186_551 Depth=1
	s_or_b32 exec_lo, exec_lo, s27
.LBB186_941:                            ;   in Loop: Header=BB186_551 Depth=1
	s_or_b32 exec_lo, exec_lo, s26
.LBB186_942:                            ;   in Loop: Header=BB186_551 Depth=1
	s_or_b32 exec_lo, exec_lo, s22
	v_mov_b32_e32 v23, 0
	v_mov_b32_e32 v21, 0
	v_and_b32_sdwa v5, v102, v48 dst_sel:DWORD dst_unused:UNUSED_PAD src0_sel:WORD_1 src1_sel:DWORD
	v_mov_b32_e32 v24, 0
	v_mov_b32_e32 v22, 0
	s_mov_b32 s22, exec_lo
	v_cmpx_ne_u16_e32 0, v5
	s_cbranch_execz .LBB186_950
; %bb.943:                              ;   in Loop: Header=BB186_551 Depth=1
	v_bfrev_b32_e32 v21, 1
	v_mov_b32_e32 v22, 0
	s_mov_b32 s26, exec_lo
	v_cmpx_ne_u16_e32 0x80, v5
	s_cbranch_execz .LBB186_949
; %bb.944:                              ;   in Loop: Header=BB186_551 Depth=1
	v_mov_b32_e32 v21, 0x7f800001
	v_bfe_u32 v9, v102, 16, 7
	v_mov_b32_e32 v22, 0
	s_mov_b32 s27, exec_lo
	v_cmpx_ne_u32_e32 0x7f, v9
	s_cbranch_execz .LBB186_948
; %bb.945:                              ;   in Loop: Header=BB186_551 Depth=1
	v_and_b32_sdwa v5, v102, v49 dst_sel:DWORD dst_unused:UNUSED_PAD src0_sel:WORD_1 src1_sel:DWORD
	v_lshrrev_b32_e32 v7, 3, v9
	s_mov_b32 s28, exec_lo
	v_cmpx_gt_u32_e32 8, v9
; %bb.946:                              ;   in Loop: Header=BB186_551 Depth=1
	v_ffbh_u32_e32 v7, v5
	v_min_u32_e32 v7, 32, v7
	v_subrev_nc_u32_e32 v9, 28, v7
	v_sub_nc_u32_e32 v7, 29, v7
	v_lshlrev_b64 v[21:22], v9, v[5:6]
	v_and_b32_e32 v5, 7, v21
; %bb.947:                              ;   in Loop: Header=BB186_551 Depth=1
	s_or_b32 exec_lo, exec_lo, s28
	v_lshlrev_b32_sdwa v9, v50, v102 dst_sel:DWORD dst_unused:UNUSED_PAD src0_sel:DWORD src1_sel:WORD_1
	v_lshlrev_b32_e32 v5, 20, v5
	v_lshl_add_u32 v7, v7, 23, 0x3c000000
	v_and_b32_e32 v9, 0x80000000, v9
	v_or3_b32 v5, v5, v9, v7
	v_mov_b32_e32 v22, v6
	v_mov_b32_e32 v21, v5
.LBB186_948:                            ;   in Loop: Header=BB186_551 Depth=1
	s_or_b32 exec_lo, exec_lo, s27
.LBB186_949:                            ;   in Loop: Header=BB186_551 Depth=1
	s_or_b32 exec_lo, exec_lo, s26
.LBB186_950:                            ;   in Loop: Header=BB186_551 Depth=1
	s_or_b32 exec_lo, exec_lo, s22
	s_mov_b32 s22, exec_lo
	v_cmpx_lt_u32_e32 0xffffff, v102
	s_cbranch_execz .LBB186_958
; %bb.951:                              ;   in Loop: Header=BB186_551 Depth=1
	v_mov_b32_e32 v7, v6
	v_mov_b32_e32 v24, v8
	v_cmp_ne_u32_sdwa s1, v102, v46 src0_sel:BYTE_3 src1_sel:DWORD
	v_mov_b32_e32 v23, v7
	s_and_saveexec_b32 s26, s1
	s_cbranch_execz .LBB186_957
; %bb.952:                              ;   in Loop: Header=BB186_551 Depth=1
	v_mov_b32_e32 v9, v6
	v_mov_b32_e32 v24, v10
	v_bfe_u32 v103, v102, 24, 7
	s_mov_b32 s27, exec_lo
	v_mov_b32_e32 v23, v9
	v_cmpx_ne_u32_e32 0x7f, v103
	s_cbranch_execz .LBB186_956
; %bb.953:                              ;   in Loop: Header=BB186_551 Depth=1
	v_and_b32_sdwa v5, v102, v49 dst_sel:DWORD dst_unused:UNUSED_PAD src0_sel:BYTE_3 src1_sel:DWORD
	v_lshrrev_b32_e32 v7, 3, v103
	s_mov_b32 s28, exec_lo
	v_cmpx_gt_u32_e32 8, v103
; %bb.954:                              ;   in Loop: Header=BB186_551 Depth=1
	v_ffbh_u32_e32 v7, v5
	v_min_u32_e32 v7, 32, v7
	v_subrev_nc_u32_e32 v9, 28, v7
	v_sub_nc_u32_e32 v7, 29, v7
	v_lshlrev_b64 v[23:24], v9, v[5:6]
	v_and_b32_e32 v5, 7, v23
; %bb.955:                              ;   in Loop: Header=BB186_551 Depth=1
	s_or_b32 exec_lo, exec_lo, s28
	v_lshlrev_b32_sdwa v9, v50, v102 dst_sel:DWORD dst_unused:UNUSED_PAD src0_sel:DWORD src1_sel:BYTE_3
	v_lshlrev_b32_e32 v5, 20, v5
	v_lshl_add_u32 v7, v7, 23, 0x3c000000
	v_mov_b32_e32 v23, v6
	v_and_b32_e32 v9, 0x80000000, v9
	v_or3_b32 v24, v5, v9, v7
.LBB186_956:                            ;   in Loop: Header=BB186_551 Depth=1
	s_or_b32 exec_lo, exec_lo, s27
.LBB186_957:                            ;   in Loop: Header=BB186_551 Depth=1
	s_or_b32 exec_lo, exec_lo, s26
.LBB186_958:                            ;   in Loop: Header=BB186_551 Depth=1
	s_or_b32 exec_lo, exec_lo, s22
	v_or_b32_e32 v5, v20, v18
	v_or_b32_e32 v7, v19, v17
	;; [unrolled: 1-line block ×4, first 2 shown]
	v_mul_f32_e32 v104, s21, v5
	v_mul_f32_e32 v105, s18, v7
	;; [unrolled: 1-line block ×4, first 2 shown]
	s_and_saveexec_b32 s22, vcc_lo
	s_cbranch_execz .LBB186_960
; %bb.959:                              ;   in Loop: Header=BB186_551 Depth=1
	v_cmp_gt_i32_e64 s1, s33, v58
	v_cndmask_b32_e64 v105, 0, v105, s1
	v_cmp_gt_i32_e64 s1, s33, v61
	v_cndmask_b32_e64 v104, 0, v104, s1
	;; [unrolled: 2-line block ×4, first 2 shown]
.LBB186_960:                            ;   in Loop: Header=BB186_551 Depth=1
	s_or_b32 exec_lo, exec_lo, s22
	global_load_dword v106, v[15:16], off offset:1536
	v_mov_b32_e32 v19, 0
	v_mov_b32_e32 v17, 0
	;; [unrolled: 1-line block ×4, first 2 shown]
	s_waitcnt vmcnt(0)
	v_cmp_ne_u16_sdwa s1, v106, v6 src0_sel:BYTE_0 src1_sel:DWORD
	s_and_saveexec_b32 s22, s1
	s_cbranch_execz .LBB186_968
; %bb.961:                              ;   in Loop: Header=BB186_551 Depth=1
	v_bfrev_b32_e32 v17, 1
	v_mov_b32_e32 v18, 0
	v_cmp_ne_u16_sdwa s1, v106, v46 src0_sel:BYTE_0 src1_sel:DWORD
	s_and_saveexec_b32 s26, s1
	s_cbranch_execz .LBB186_967
; %bb.962:                              ;   in Loop: Header=BB186_551 Depth=1
	v_mov_b32_e32 v17, 0x7f800001
	v_and_b32_e32 v9, 0x7f, v106
	v_mov_b32_e32 v18, 0
	s_mov_b32 s27, exec_lo
	v_cmpx_ne_u32_e32 0x7f, v9
	s_cbranch_execz .LBB186_966
; %bb.963:                              ;   in Loop: Header=BB186_551 Depth=1
	v_and_b32_e32 v5, 7, v106
	v_lshrrev_b32_e32 v7, 3, v9
	s_mov_b32 s28, exec_lo
	v_cmpx_gt_u32_e32 8, v9
; %bb.964:                              ;   in Loop: Header=BB186_551 Depth=1
	v_ffbh_u32_e32 v7, v5
	v_min_u32_e32 v7, 32, v7
	v_subrev_nc_u32_e32 v9, 28, v7
	v_sub_nc_u32_e32 v7, 29, v7
	v_lshlrev_b64 v[17:18], v9, v[5:6]
	v_and_b32_e32 v5, 7, v17
; %bb.965:                              ;   in Loop: Header=BB186_551 Depth=1
	s_or_b32 exec_lo, exec_lo, s28
	v_lshlrev_b32_e32 v9, 24, v106
	v_lshlrev_b32_e32 v5, 20, v5
	v_lshl_add_u32 v7, v7, 23, 0x3c000000
	v_and_b32_e32 v9, 0x80000000, v9
	v_or3_b32 v5, v5, v9, v7
	v_mov_b32_e32 v18, v6
	v_mov_b32_e32 v17, v5
.LBB186_966:                            ;   in Loop: Header=BB186_551 Depth=1
	s_or_b32 exec_lo, exec_lo, s27
.LBB186_967:                            ;   in Loop: Header=BB186_551 Depth=1
	s_or_b32 exec_lo, exec_lo, s26
.LBB186_968:                            ;   in Loop: Header=BB186_551 Depth=1
	s_or_b32 exec_lo, exec_lo, s22
	v_cmp_ne_u16_sdwa s1, v106, v6 src0_sel:BYTE_1 src1_sel:DWORD
	s_and_saveexec_b32 s22, s1
	s_cbranch_execz .LBB186_976
; %bb.969:                              ;   in Loop: Header=BB186_551 Depth=1
	v_mov_b32_e32 v7, v6
	v_mov_b32_e32 v20, v8
	v_cmp_ne_u16_sdwa s1, v106, v46 src0_sel:BYTE_1 src1_sel:DWORD
	v_mov_b32_e32 v19, v7
	s_and_saveexec_b32 s26, s1
	s_cbranch_execz .LBB186_975
; %bb.970:                              ;   in Loop: Header=BB186_551 Depth=1
	v_and_b32_sdwa v5, v47, v106 dst_sel:DWORD dst_unused:UNUSED_PAD src0_sel:DWORD src1_sel:BYTE_1
	v_mov_b32_e32 v9, v6
	v_mov_b32_e32 v20, v10
	s_mov_b32 s27, exec_lo
	v_and_b32_e32 v21, 0x7f, v5
	v_mov_b32_e32 v19, v9
	v_cmpx_ne_u32_e32 0x7f, v21
	s_cbranch_execz .LBB186_974
; %bb.971:                              ;   in Loop: Header=BB186_551 Depth=1
	v_and_b32_e32 v5, 7, v5
	v_lshrrev_b32_e32 v7, 3, v21
	s_mov_b32 s28, exec_lo
	v_cmpx_gt_u32_e32 8, v21
; %bb.972:                              ;   in Loop: Header=BB186_551 Depth=1
	v_ffbh_u32_e32 v7, v5
	v_min_u32_e32 v7, 32, v7
	v_subrev_nc_u32_e32 v9, 28, v7
	v_sub_nc_u32_e32 v7, 29, v7
	v_lshlrev_b64 v[19:20], v9, v[5:6]
	v_and_b32_e32 v5, 7, v19
; %bb.973:                              ;   in Loop: Header=BB186_551 Depth=1
	s_or_b32 exec_lo, exec_lo, s28
	v_lshlrev_b32_e32 v9, 16, v106
	v_lshlrev_b32_e32 v5, 20, v5
	v_lshl_add_u32 v7, v7, 23, 0x3c000000
	v_mov_b32_e32 v19, v6
	v_and_b32_e32 v9, 0x80000000, v9
	v_or3_b32 v20, v5, v9, v7
.LBB186_974:                            ;   in Loop: Header=BB186_551 Depth=1
	s_or_b32 exec_lo, exec_lo, s27
.LBB186_975:                            ;   in Loop: Header=BB186_551 Depth=1
	s_or_b32 exec_lo, exec_lo, s26
.LBB186_976:                            ;   in Loop: Header=BB186_551 Depth=1
	s_or_b32 exec_lo, exec_lo, s22
	v_mov_b32_e32 v23, 0
	v_mov_b32_e32 v21, 0
	v_and_b32_sdwa v5, v106, v48 dst_sel:DWORD dst_unused:UNUSED_PAD src0_sel:WORD_1 src1_sel:DWORD
	v_mov_b32_e32 v24, 0
	v_mov_b32_e32 v22, 0
	s_mov_b32 s22, exec_lo
	v_cmpx_ne_u16_e32 0, v5
	s_cbranch_execz .LBB186_984
; %bb.977:                              ;   in Loop: Header=BB186_551 Depth=1
	v_bfrev_b32_e32 v21, 1
	v_mov_b32_e32 v22, 0
	s_mov_b32 s26, exec_lo
	v_cmpx_ne_u16_e32 0x80, v5
	s_cbranch_execz .LBB186_983
; %bb.978:                              ;   in Loop: Header=BB186_551 Depth=1
	v_mov_b32_e32 v21, 0x7f800001
	v_bfe_u32 v9, v106, 16, 7
	v_mov_b32_e32 v22, 0
	s_mov_b32 s27, exec_lo
	v_cmpx_ne_u32_e32 0x7f, v9
	s_cbranch_execz .LBB186_982
; %bb.979:                              ;   in Loop: Header=BB186_551 Depth=1
	v_and_b32_sdwa v5, v106, v49 dst_sel:DWORD dst_unused:UNUSED_PAD src0_sel:WORD_1 src1_sel:DWORD
	v_lshrrev_b32_e32 v7, 3, v9
	s_mov_b32 s28, exec_lo
	v_cmpx_gt_u32_e32 8, v9
; %bb.980:                              ;   in Loop: Header=BB186_551 Depth=1
	v_ffbh_u32_e32 v7, v5
	v_min_u32_e32 v7, 32, v7
	v_subrev_nc_u32_e32 v9, 28, v7
	v_sub_nc_u32_e32 v7, 29, v7
	v_lshlrev_b64 v[21:22], v9, v[5:6]
	v_and_b32_e32 v5, 7, v21
; %bb.981:                              ;   in Loop: Header=BB186_551 Depth=1
	s_or_b32 exec_lo, exec_lo, s28
	v_lshlrev_b32_sdwa v9, v50, v106 dst_sel:DWORD dst_unused:UNUSED_PAD src0_sel:DWORD src1_sel:WORD_1
	v_lshlrev_b32_e32 v5, 20, v5
	v_lshl_add_u32 v7, v7, 23, 0x3c000000
	v_and_b32_e32 v9, 0x80000000, v9
	v_or3_b32 v5, v5, v9, v7
	v_mov_b32_e32 v22, v6
	v_mov_b32_e32 v21, v5
.LBB186_982:                            ;   in Loop: Header=BB186_551 Depth=1
	s_or_b32 exec_lo, exec_lo, s27
.LBB186_983:                            ;   in Loop: Header=BB186_551 Depth=1
	s_or_b32 exec_lo, exec_lo, s26
.LBB186_984:                            ;   in Loop: Header=BB186_551 Depth=1
	s_or_b32 exec_lo, exec_lo, s22
	s_mov_b32 s22, exec_lo
	v_cmpx_lt_u32_e32 0xffffff, v106
	s_cbranch_execz .LBB186_992
; %bb.985:                              ;   in Loop: Header=BB186_551 Depth=1
	v_mov_b32_e32 v7, v6
	v_mov_b32_e32 v24, v8
	v_cmp_ne_u32_sdwa s1, v106, v46 src0_sel:BYTE_3 src1_sel:DWORD
	v_mov_b32_e32 v23, v7
	s_and_saveexec_b32 s26, s1
	s_cbranch_execz .LBB186_991
; %bb.986:                              ;   in Loop: Header=BB186_551 Depth=1
	v_mov_b32_e32 v9, v6
	v_mov_b32_e32 v24, v10
	v_bfe_u32 v107, v106, 24, 7
	s_mov_b32 s27, exec_lo
	v_mov_b32_e32 v23, v9
	v_cmpx_ne_u32_e32 0x7f, v107
	s_cbranch_execz .LBB186_990
; %bb.987:                              ;   in Loop: Header=BB186_551 Depth=1
	v_and_b32_sdwa v5, v106, v49 dst_sel:DWORD dst_unused:UNUSED_PAD src0_sel:BYTE_3 src1_sel:DWORD
	v_lshrrev_b32_e32 v7, 3, v107
	s_mov_b32 s28, exec_lo
	v_cmpx_gt_u32_e32 8, v107
; %bb.988:                              ;   in Loop: Header=BB186_551 Depth=1
	v_ffbh_u32_e32 v7, v5
	v_min_u32_e32 v7, 32, v7
	v_subrev_nc_u32_e32 v9, 28, v7
	v_sub_nc_u32_e32 v7, 29, v7
	v_lshlrev_b64 v[23:24], v9, v[5:6]
	v_and_b32_e32 v5, 7, v23
; %bb.989:                              ;   in Loop: Header=BB186_551 Depth=1
	s_or_b32 exec_lo, exec_lo, s28
	v_lshlrev_b32_sdwa v9, v50, v106 dst_sel:DWORD dst_unused:UNUSED_PAD src0_sel:DWORD src1_sel:BYTE_3
	v_lshlrev_b32_e32 v5, 20, v5
	v_lshl_add_u32 v7, v7, 23, 0x3c000000
	v_mov_b32_e32 v23, v6
	v_and_b32_e32 v9, 0x80000000, v9
	v_or3_b32 v24, v5, v9, v7
.LBB186_990:                            ;   in Loop: Header=BB186_551 Depth=1
	s_or_b32 exec_lo, exec_lo, s27
.LBB186_991:                            ;   in Loop: Header=BB186_551 Depth=1
	s_or_b32 exec_lo, exec_lo, s26
.LBB186_992:                            ;   in Loop: Header=BB186_551 Depth=1
	s_or_b32 exec_lo, exec_lo, s22
	v_or_b32_e32 v5, v20, v18
	v_or_b32_e32 v7, v19, v17
	;; [unrolled: 1-line block ×4, first 2 shown]
	v_mul_f32_e32 v108, s21, v5
	v_mul_f32_e32 v109, s18, v7
	;; [unrolled: 1-line block ×4, first 2 shown]
	s_and_saveexec_b32 s22, vcc_lo
	s_cbranch_execz .LBB186_994
; %bb.993:                              ;   in Loop: Header=BB186_551 Depth=1
	v_cmp_gt_i32_e64 s1, s33, v58
	v_cndmask_b32_e64 v109, 0, v109, s1
	v_cmp_gt_i32_e64 s1, s33, v61
	v_cndmask_b32_e64 v108, 0, v108, s1
	v_cmp_gt_i32_e64 s1, s33, v60
	v_cndmask_b32_e64 v107, 0, v107, s1
	v_cmp_gt_i32_e64 s1, s33, v59
	v_cndmask_b32_e64 v106, 0, v106, s1
.LBB186_994:                            ;   in Loop: Header=BB186_551 Depth=1
	s_or_b32 exec_lo, exec_lo, s22
	global_load_dword v110, v[15:16], off offset:1664
	v_mov_b32_e32 v19, 0
	v_mov_b32_e32 v17, 0
	;; [unrolled: 1-line block ×4, first 2 shown]
	s_waitcnt vmcnt(0)
	v_cmp_ne_u16_sdwa s1, v110, v6 src0_sel:BYTE_0 src1_sel:DWORD
	s_and_saveexec_b32 s22, s1
	s_cbranch_execz .LBB186_1002
; %bb.995:                              ;   in Loop: Header=BB186_551 Depth=1
	v_bfrev_b32_e32 v17, 1
	v_mov_b32_e32 v18, 0
	v_cmp_ne_u16_sdwa s1, v110, v46 src0_sel:BYTE_0 src1_sel:DWORD
	s_and_saveexec_b32 s26, s1
	s_cbranch_execz .LBB186_1001
; %bb.996:                              ;   in Loop: Header=BB186_551 Depth=1
	v_mov_b32_e32 v17, 0x7f800001
	v_and_b32_e32 v9, 0x7f, v110
	v_mov_b32_e32 v18, 0
	s_mov_b32 s27, exec_lo
	v_cmpx_ne_u32_e32 0x7f, v9
	s_cbranch_execz .LBB186_1000
; %bb.997:                              ;   in Loop: Header=BB186_551 Depth=1
	v_and_b32_e32 v5, 7, v110
	v_lshrrev_b32_e32 v7, 3, v9
	s_mov_b32 s28, exec_lo
	v_cmpx_gt_u32_e32 8, v9
; %bb.998:                              ;   in Loop: Header=BB186_551 Depth=1
	v_ffbh_u32_e32 v7, v5
	v_min_u32_e32 v7, 32, v7
	v_subrev_nc_u32_e32 v9, 28, v7
	v_sub_nc_u32_e32 v7, 29, v7
	v_lshlrev_b64 v[17:18], v9, v[5:6]
	v_and_b32_e32 v5, 7, v17
; %bb.999:                              ;   in Loop: Header=BB186_551 Depth=1
	s_or_b32 exec_lo, exec_lo, s28
	v_lshlrev_b32_e32 v9, 24, v110
	v_lshlrev_b32_e32 v5, 20, v5
	v_lshl_add_u32 v7, v7, 23, 0x3c000000
	v_and_b32_e32 v9, 0x80000000, v9
	v_or3_b32 v5, v5, v9, v7
	v_mov_b32_e32 v18, v6
	v_mov_b32_e32 v17, v5
.LBB186_1000:                           ;   in Loop: Header=BB186_551 Depth=1
	s_or_b32 exec_lo, exec_lo, s27
.LBB186_1001:                           ;   in Loop: Header=BB186_551 Depth=1
	s_or_b32 exec_lo, exec_lo, s26
.LBB186_1002:                           ;   in Loop: Header=BB186_551 Depth=1
	s_or_b32 exec_lo, exec_lo, s22
	v_cmp_ne_u16_sdwa s1, v110, v6 src0_sel:BYTE_1 src1_sel:DWORD
	s_and_saveexec_b32 s22, s1
	s_cbranch_execz .LBB186_1010
; %bb.1003:                             ;   in Loop: Header=BB186_551 Depth=1
	v_mov_b32_e32 v7, v6
	v_mov_b32_e32 v20, v8
	v_cmp_ne_u16_sdwa s1, v110, v46 src0_sel:BYTE_1 src1_sel:DWORD
	v_mov_b32_e32 v19, v7
	s_and_saveexec_b32 s26, s1
	s_cbranch_execz .LBB186_1009
; %bb.1004:                             ;   in Loop: Header=BB186_551 Depth=1
	v_and_b32_sdwa v5, v47, v110 dst_sel:DWORD dst_unused:UNUSED_PAD src0_sel:DWORD src1_sel:BYTE_1
	v_mov_b32_e32 v9, v6
	v_mov_b32_e32 v20, v10
	s_mov_b32 s27, exec_lo
	v_and_b32_e32 v21, 0x7f, v5
	v_mov_b32_e32 v19, v9
	v_cmpx_ne_u32_e32 0x7f, v21
	s_cbranch_execz .LBB186_1008
; %bb.1005:                             ;   in Loop: Header=BB186_551 Depth=1
	v_and_b32_e32 v5, 7, v5
	v_lshrrev_b32_e32 v7, 3, v21
	s_mov_b32 s28, exec_lo
	v_cmpx_gt_u32_e32 8, v21
; %bb.1006:                             ;   in Loop: Header=BB186_551 Depth=1
	v_ffbh_u32_e32 v7, v5
	v_min_u32_e32 v7, 32, v7
	v_subrev_nc_u32_e32 v9, 28, v7
	v_sub_nc_u32_e32 v7, 29, v7
	v_lshlrev_b64 v[19:20], v9, v[5:6]
	v_and_b32_e32 v5, 7, v19
; %bb.1007:                             ;   in Loop: Header=BB186_551 Depth=1
	s_or_b32 exec_lo, exec_lo, s28
	v_lshlrev_b32_e32 v9, 16, v110
	v_lshlrev_b32_e32 v5, 20, v5
	v_lshl_add_u32 v7, v7, 23, 0x3c000000
	v_mov_b32_e32 v19, v6
	v_and_b32_e32 v9, 0x80000000, v9
	v_or3_b32 v20, v5, v9, v7
.LBB186_1008:                           ;   in Loop: Header=BB186_551 Depth=1
	s_or_b32 exec_lo, exec_lo, s27
.LBB186_1009:                           ;   in Loop: Header=BB186_551 Depth=1
	s_or_b32 exec_lo, exec_lo, s26
.LBB186_1010:                           ;   in Loop: Header=BB186_551 Depth=1
	s_or_b32 exec_lo, exec_lo, s22
	v_mov_b32_e32 v23, 0
	v_mov_b32_e32 v21, 0
	v_and_b32_sdwa v5, v110, v48 dst_sel:DWORD dst_unused:UNUSED_PAD src0_sel:WORD_1 src1_sel:DWORD
	v_mov_b32_e32 v24, 0
	v_mov_b32_e32 v22, 0
	s_mov_b32 s22, exec_lo
	v_cmpx_ne_u16_e32 0, v5
	s_cbranch_execz .LBB186_1018
; %bb.1011:                             ;   in Loop: Header=BB186_551 Depth=1
	v_bfrev_b32_e32 v21, 1
	v_mov_b32_e32 v22, 0
	s_mov_b32 s26, exec_lo
	v_cmpx_ne_u16_e32 0x80, v5
	s_cbranch_execz .LBB186_1017
; %bb.1012:                             ;   in Loop: Header=BB186_551 Depth=1
	v_mov_b32_e32 v21, 0x7f800001
	v_bfe_u32 v9, v110, 16, 7
	v_mov_b32_e32 v22, 0
	s_mov_b32 s27, exec_lo
	v_cmpx_ne_u32_e32 0x7f, v9
	s_cbranch_execz .LBB186_1016
; %bb.1013:                             ;   in Loop: Header=BB186_551 Depth=1
	v_and_b32_sdwa v5, v110, v49 dst_sel:DWORD dst_unused:UNUSED_PAD src0_sel:WORD_1 src1_sel:DWORD
	v_lshrrev_b32_e32 v7, 3, v9
	s_mov_b32 s28, exec_lo
	v_cmpx_gt_u32_e32 8, v9
; %bb.1014:                             ;   in Loop: Header=BB186_551 Depth=1
	v_ffbh_u32_e32 v7, v5
	v_min_u32_e32 v7, 32, v7
	v_subrev_nc_u32_e32 v9, 28, v7
	v_sub_nc_u32_e32 v7, 29, v7
	v_lshlrev_b64 v[21:22], v9, v[5:6]
	v_and_b32_e32 v5, 7, v21
; %bb.1015:                             ;   in Loop: Header=BB186_551 Depth=1
	s_or_b32 exec_lo, exec_lo, s28
	v_lshlrev_b32_sdwa v9, v50, v110 dst_sel:DWORD dst_unused:UNUSED_PAD src0_sel:DWORD src1_sel:WORD_1
	v_lshlrev_b32_e32 v5, 20, v5
	v_lshl_add_u32 v7, v7, 23, 0x3c000000
	v_and_b32_e32 v9, 0x80000000, v9
	v_or3_b32 v5, v5, v9, v7
	v_mov_b32_e32 v22, v6
	v_mov_b32_e32 v21, v5
.LBB186_1016:                           ;   in Loop: Header=BB186_551 Depth=1
	s_or_b32 exec_lo, exec_lo, s27
.LBB186_1017:                           ;   in Loop: Header=BB186_551 Depth=1
	s_or_b32 exec_lo, exec_lo, s26
.LBB186_1018:                           ;   in Loop: Header=BB186_551 Depth=1
	s_or_b32 exec_lo, exec_lo, s22
	s_mov_b32 s22, exec_lo
	v_cmpx_lt_u32_e32 0xffffff, v110
	s_cbranch_execz .LBB186_1026
; %bb.1019:                             ;   in Loop: Header=BB186_551 Depth=1
	v_mov_b32_e32 v7, v6
	v_mov_b32_e32 v24, v8
	v_cmp_ne_u32_sdwa s1, v110, v46 src0_sel:BYTE_3 src1_sel:DWORD
	v_mov_b32_e32 v23, v7
	s_and_saveexec_b32 s26, s1
	s_cbranch_execz .LBB186_1025
; %bb.1020:                             ;   in Loop: Header=BB186_551 Depth=1
	v_mov_b32_e32 v9, v6
	v_mov_b32_e32 v24, v10
	v_bfe_u32 v111, v110, 24, 7
	s_mov_b32 s27, exec_lo
	v_mov_b32_e32 v23, v9
	v_cmpx_ne_u32_e32 0x7f, v111
	s_cbranch_execz .LBB186_1024
; %bb.1021:                             ;   in Loop: Header=BB186_551 Depth=1
	v_and_b32_sdwa v5, v110, v49 dst_sel:DWORD dst_unused:UNUSED_PAD src0_sel:BYTE_3 src1_sel:DWORD
	v_lshrrev_b32_e32 v7, 3, v111
	s_mov_b32 s28, exec_lo
	v_cmpx_gt_u32_e32 8, v111
; %bb.1022:                             ;   in Loop: Header=BB186_551 Depth=1
	v_ffbh_u32_e32 v7, v5
	v_min_u32_e32 v7, 32, v7
	v_subrev_nc_u32_e32 v9, 28, v7
	v_sub_nc_u32_e32 v7, 29, v7
	v_lshlrev_b64 v[23:24], v9, v[5:6]
	v_and_b32_e32 v5, 7, v23
; %bb.1023:                             ;   in Loop: Header=BB186_551 Depth=1
	s_or_b32 exec_lo, exec_lo, s28
	v_lshlrev_b32_sdwa v9, v50, v110 dst_sel:DWORD dst_unused:UNUSED_PAD src0_sel:DWORD src1_sel:BYTE_3
	v_lshlrev_b32_e32 v5, 20, v5
	v_lshl_add_u32 v7, v7, 23, 0x3c000000
	v_mov_b32_e32 v23, v6
	v_and_b32_e32 v9, 0x80000000, v9
	v_or3_b32 v24, v5, v9, v7
.LBB186_1024:                           ;   in Loop: Header=BB186_551 Depth=1
	s_or_b32 exec_lo, exec_lo, s27
.LBB186_1025:                           ;   in Loop: Header=BB186_551 Depth=1
	s_or_b32 exec_lo, exec_lo, s26
.LBB186_1026:                           ;   in Loop: Header=BB186_551 Depth=1
	s_or_b32 exec_lo, exec_lo, s22
	v_or_b32_e32 v5, v20, v18
	v_or_b32_e32 v7, v19, v17
	;; [unrolled: 1-line block ×4, first 2 shown]
	v_mul_f32_e32 v112, s21, v5
	v_mul_f32_e32 v113, s18, v7
	;; [unrolled: 1-line block ×4, first 2 shown]
	s_and_saveexec_b32 s22, vcc_lo
	s_cbranch_execz .LBB186_1028
; %bb.1027:                             ;   in Loop: Header=BB186_551 Depth=1
	v_cmp_gt_i32_e64 s1, s33, v58
	v_cndmask_b32_e64 v113, 0, v113, s1
	v_cmp_gt_i32_e64 s1, s33, v61
	v_cndmask_b32_e64 v112, 0, v112, s1
	;; [unrolled: 2-line block ×4, first 2 shown]
.LBB186_1028:                           ;   in Loop: Header=BB186_551 Depth=1
	s_or_b32 exec_lo, exec_lo, s22
	global_load_dword v114, v[15:16], off offset:1792
	v_mov_b32_e32 v19, 0
	v_mov_b32_e32 v17, 0
	;; [unrolled: 1-line block ×4, first 2 shown]
	s_waitcnt vmcnt(0)
	v_cmp_ne_u16_sdwa s1, v114, v6 src0_sel:BYTE_0 src1_sel:DWORD
	s_and_saveexec_b32 s22, s1
	s_cbranch_execz .LBB186_1036
; %bb.1029:                             ;   in Loop: Header=BB186_551 Depth=1
	v_bfrev_b32_e32 v17, 1
	v_mov_b32_e32 v18, 0
	v_cmp_ne_u16_sdwa s1, v114, v46 src0_sel:BYTE_0 src1_sel:DWORD
	s_and_saveexec_b32 s26, s1
	s_cbranch_execz .LBB186_1035
; %bb.1030:                             ;   in Loop: Header=BB186_551 Depth=1
	v_mov_b32_e32 v17, 0x7f800001
	v_and_b32_e32 v9, 0x7f, v114
	v_mov_b32_e32 v18, 0
	s_mov_b32 s27, exec_lo
	v_cmpx_ne_u32_e32 0x7f, v9
	s_cbranch_execz .LBB186_1034
; %bb.1031:                             ;   in Loop: Header=BB186_551 Depth=1
	v_and_b32_e32 v5, 7, v114
	v_lshrrev_b32_e32 v7, 3, v9
	s_mov_b32 s28, exec_lo
	v_cmpx_gt_u32_e32 8, v9
; %bb.1032:                             ;   in Loop: Header=BB186_551 Depth=1
	v_ffbh_u32_e32 v7, v5
	v_min_u32_e32 v7, 32, v7
	v_subrev_nc_u32_e32 v9, 28, v7
	v_sub_nc_u32_e32 v7, 29, v7
	v_lshlrev_b64 v[17:18], v9, v[5:6]
	v_and_b32_e32 v5, 7, v17
; %bb.1033:                             ;   in Loop: Header=BB186_551 Depth=1
	s_or_b32 exec_lo, exec_lo, s28
	v_lshlrev_b32_e32 v9, 24, v114
	v_lshlrev_b32_e32 v5, 20, v5
	v_lshl_add_u32 v7, v7, 23, 0x3c000000
	v_and_b32_e32 v9, 0x80000000, v9
	v_or3_b32 v5, v5, v9, v7
	v_mov_b32_e32 v18, v6
	v_mov_b32_e32 v17, v5
.LBB186_1034:                           ;   in Loop: Header=BB186_551 Depth=1
	s_or_b32 exec_lo, exec_lo, s27
.LBB186_1035:                           ;   in Loop: Header=BB186_551 Depth=1
	s_or_b32 exec_lo, exec_lo, s26
.LBB186_1036:                           ;   in Loop: Header=BB186_551 Depth=1
	s_or_b32 exec_lo, exec_lo, s22
	v_cmp_ne_u16_sdwa s1, v114, v6 src0_sel:BYTE_1 src1_sel:DWORD
	s_and_saveexec_b32 s22, s1
	s_cbranch_execz .LBB186_1044
; %bb.1037:                             ;   in Loop: Header=BB186_551 Depth=1
	v_mov_b32_e32 v7, v6
	v_mov_b32_e32 v20, v8
	v_cmp_ne_u16_sdwa s1, v114, v46 src0_sel:BYTE_1 src1_sel:DWORD
	v_mov_b32_e32 v19, v7
	s_and_saveexec_b32 s26, s1
	s_cbranch_execz .LBB186_1043
; %bb.1038:                             ;   in Loop: Header=BB186_551 Depth=1
	v_and_b32_sdwa v5, v47, v114 dst_sel:DWORD dst_unused:UNUSED_PAD src0_sel:DWORD src1_sel:BYTE_1
	v_mov_b32_e32 v9, v6
	v_mov_b32_e32 v20, v10
	s_mov_b32 s27, exec_lo
	v_and_b32_e32 v21, 0x7f, v5
	v_mov_b32_e32 v19, v9
	v_cmpx_ne_u32_e32 0x7f, v21
	s_cbranch_execz .LBB186_1042
; %bb.1039:                             ;   in Loop: Header=BB186_551 Depth=1
	v_and_b32_e32 v5, 7, v5
	v_lshrrev_b32_e32 v7, 3, v21
	s_mov_b32 s28, exec_lo
	v_cmpx_gt_u32_e32 8, v21
; %bb.1040:                             ;   in Loop: Header=BB186_551 Depth=1
	v_ffbh_u32_e32 v7, v5
	v_min_u32_e32 v7, 32, v7
	v_subrev_nc_u32_e32 v9, 28, v7
	v_sub_nc_u32_e32 v7, 29, v7
	v_lshlrev_b64 v[19:20], v9, v[5:6]
	v_and_b32_e32 v5, 7, v19
; %bb.1041:                             ;   in Loop: Header=BB186_551 Depth=1
	s_or_b32 exec_lo, exec_lo, s28
	v_lshlrev_b32_e32 v9, 16, v114
	v_lshlrev_b32_e32 v5, 20, v5
	v_lshl_add_u32 v7, v7, 23, 0x3c000000
	v_mov_b32_e32 v19, v6
	v_and_b32_e32 v9, 0x80000000, v9
	v_or3_b32 v20, v5, v9, v7
.LBB186_1042:                           ;   in Loop: Header=BB186_551 Depth=1
	s_or_b32 exec_lo, exec_lo, s27
.LBB186_1043:                           ;   in Loop: Header=BB186_551 Depth=1
	s_or_b32 exec_lo, exec_lo, s26
.LBB186_1044:                           ;   in Loop: Header=BB186_551 Depth=1
	s_or_b32 exec_lo, exec_lo, s22
	v_mov_b32_e32 v23, 0
	v_mov_b32_e32 v21, 0
	v_and_b32_sdwa v5, v114, v48 dst_sel:DWORD dst_unused:UNUSED_PAD src0_sel:WORD_1 src1_sel:DWORD
	v_mov_b32_e32 v24, 0
	v_mov_b32_e32 v22, 0
	s_mov_b32 s22, exec_lo
	v_cmpx_ne_u16_e32 0, v5
	s_cbranch_execz .LBB186_1052
; %bb.1045:                             ;   in Loop: Header=BB186_551 Depth=1
	v_bfrev_b32_e32 v21, 1
	v_mov_b32_e32 v22, 0
	s_mov_b32 s26, exec_lo
	v_cmpx_ne_u16_e32 0x80, v5
	s_cbranch_execz .LBB186_1051
; %bb.1046:                             ;   in Loop: Header=BB186_551 Depth=1
	v_mov_b32_e32 v21, 0x7f800001
	v_bfe_u32 v9, v114, 16, 7
	v_mov_b32_e32 v22, 0
	s_mov_b32 s27, exec_lo
	v_cmpx_ne_u32_e32 0x7f, v9
	s_cbranch_execz .LBB186_1050
; %bb.1047:                             ;   in Loop: Header=BB186_551 Depth=1
	v_and_b32_sdwa v5, v114, v49 dst_sel:DWORD dst_unused:UNUSED_PAD src0_sel:WORD_1 src1_sel:DWORD
	v_lshrrev_b32_e32 v7, 3, v9
	s_mov_b32 s28, exec_lo
	v_cmpx_gt_u32_e32 8, v9
; %bb.1048:                             ;   in Loop: Header=BB186_551 Depth=1
	v_ffbh_u32_e32 v7, v5
	v_min_u32_e32 v7, 32, v7
	v_subrev_nc_u32_e32 v9, 28, v7
	v_sub_nc_u32_e32 v7, 29, v7
	v_lshlrev_b64 v[21:22], v9, v[5:6]
	v_and_b32_e32 v5, 7, v21
; %bb.1049:                             ;   in Loop: Header=BB186_551 Depth=1
	s_or_b32 exec_lo, exec_lo, s28
	v_lshlrev_b32_sdwa v9, v50, v114 dst_sel:DWORD dst_unused:UNUSED_PAD src0_sel:DWORD src1_sel:WORD_1
	v_lshlrev_b32_e32 v5, 20, v5
	v_lshl_add_u32 v7, v7, 23, 0x3c000000
	v_and_b32_e32 v9, 0x80000000, v9
	v_or3_b32 v5, v5, v9, v7
	v_mov_b32_e32 v22, v6
	v_mov_b32_e32 v21, v5
.LBB186_1050:                           ;   in Loop: Header=BB186_551 Depth=1
	s_or_b32 exec_lo, exec_lo, s27
.LBB186_1051:                           ;   in Loop: Header=BB186_551 Depth=1
	s_or_b32 exec_lo, exec_lo, s26
.LBB186_1052:                           ;   in Loop: Header=BB186_551 Depth=1
	s_or_b32 exec_lo, exec_lo, s22
	s_mov_b32 s22, exec_lo
	v_cmpx_lt_u32_e32 0xffffff, v114
	s_cbranch_execz .LBB186_1060
; %bb.1053:                             ;   in Loop: Header=BB186_551 Depth=1
	v_mov_b32_e32 v7, v6
	v_mov_b32_e32 v24, v8
	v_cmp_ne_u32_sdwa s1, v114, v46 src0_sel:BYTE_3 src1_sel:DWORD
	v_mov_b32_e32 v23, v7
	s_and_saveexec_b32 s26, s1
	s_cbranch_execz .LBB186_1059
; %bb.1054:                             ;   in Loop: Header=BB186_551 Depth=1
	v_mov_b32_e32 v9, v6
	v_mov_b32_e32 v24, v10
	v_bfe_u32 v115, v114, 24, 7
	s_mov_b32 s27, exec_lo
	v_mov_b32_e32 v23, v9
	v_cmpx_ne_u32_e32 0x7f, v115
	s_cbranch_execz .LBB186_1058
; %bb.1055:                             ;   in Loop: Header=BB186_551 Depth=1
	v_and_b32_sdwa v5, v114, v49 dst_sel:DWORD dst_unused:UNUSED_PAD src0_sel:BYTE_3 src1_sel:DWORD
	v_lshrrev_b32_e32 v7, 3, v115
	s_mov_b32 s28, exec_lo
	v_cmpx_gt_u32_e32 8, v115
; %bb.1056:                             ;   in Loop: Header=BB186_551 Depth=1
	v_ffbh_u32_e32 v7, v5
	v_min_u32_e32 v7, 32, v7
	v_subrev_nc_u32_e32 v9, 28, v7
	v_sub_nc_u32_e32 v7, 29, v7
	v_lshlrev_b64 v[23:24], v9, v[5:6]
	v_and_b32_e32 v5, 7, v23
; %bb.1057:                             ;   in Loop: Header=BB186_551 Depth=1
	s_or_b32 exec_lo, exec_lo, s28
	v_lshlrev_b32_sdwa v9, v50, v114 dst_sel:DWORD dst_unused:UNUSED_PAD src0_sel:DWORD src1_sel:BYTE_3
	v_lshlrev_b32_e32 v5, 20, v5
	v_lshl_add_u32 v7, v7, 23, 0x3c000000
	v_mov_b32_e32 v23, v6
	v_and_b32_e32 v9, 0x80000000, v9
	v_or3_b32 v24, v5, v9, v7
.LBB186_1058:                           ;   in Loop: Header=BB186_551 Depth=1
	s_or_b32 exec_lo, exec_lo, s27
.LBB186_1059:                           ;   in Loop: Header=BB186_551 Depth=1
	s_or_b32 exec_lo, exec_lo, s26
.LBB186_1060:                           ;   in Loop: Header=BB186_551 Depth=1
	s_or_b32 exec_lo, exec_lo, s22
	v_or_b32_e32 v5, v20, v18
	v_or_b32_e32 v7, v19, v17
	v_or_b32_e32 v9, v23, v21
	v_or_b32_e32 v17, v24, v22
	v_mul_f32_e32 v114, s21, v5
	v_mul_f32_e32 v115, s18, v7
	;; [unrolled: 1-line block ×4, first 2 shown]
	s_and_saveexec_b32 s22, vcc_lo
	s_cbranch_execz .LBB186_1062
; %bb.1061:                             ;   in Loop: Header=BB186_551 Depth=1
	v_cmp_gt_i32_e64 s1, s33, v58
	v_cndmask_b32_e64 v115, 0, v115, s1
	v_cmp_gt_i32_e64 s1, s33, v61
	v_cndmask_b32_e64 v114, 0, v114, s1
	;; [unrolled: 2-line block ×4, first 2 shown]
.LBB186_1062:                           ;   in Loop: Header=BB186_551 Depth=1
	s_or_b32 exec_lo, exec_lo, s22
	global_load_dword v116, v[15:16], off offset:1920
	v_mov_b32_e32 v17, 0
	v_mov_b32_e32 v15, 0
	;; [unrolled: 1-line block ×4, first 2 shown]
	s_waitcnt vmcnt(0)
	v_cmp_ne_u16_sdwa s1, v116, v6 src0_sel:BYTE_0 src1_sel:DWORD
	s_and_saveexec_b32 s22, s1
	s_cbranch_execz .LBB186_1070
; %bb.1063:                             ;   in Loop: Header=BB186_551 Depth=1
	v_bfrev_b32_e32 v15, 1
	v_mov_b32_e32 v16, 0
	v_cmp_ne_u16_sdwa s1, v116, v46 src0_sel:BYTE_0 src1_sel:DWORD
	s_and_saveexec_b32 s26, s1
	s_cbranch_execz .LBB186_1069
; %bb.1064:                             ;   in Loop: Header=BB186_551 Depth=1
	v_mov_b32_e32 v15, 0x7f800001
	v_and_b32_e32 v9, 0x7f, v116
	v_mov_b32_e32 v16, 0
	s_mov_b32 s27, exec_lo
	v_cmpx_ne_u32_e32 0x7f, v9
	s_cbranch_execz .LBB186_1068
; %bb.1065:                             ;   in Loop: Header=BB186_551 Depth=1
	v_and_b32_e32 v5, 7, v116
	v_lshrrev_b32_e32 v7, 3, v9
	s_mov_b32 s28, exec_lo
	v_cmpx_gt_u32_e32 8, v9
; %bb.1066:                             ;   in Loop: Header=BB186_551 Depth=1
	v_ffbh_u32_e32 v7, v5
	v_min_u32_e32 v7, 32, v7
	v_subrev_nc_u32_e32 v9, 28, v7
	v_sub_nc_u32_e32 v7, 29, v7
	v_lshlrev_b64 v[15:16], v9, v[5:6]
	v_and_b32_e32 v5, 7, v15
; %bb.1067:                             ;   in Loop: Header=BB186_551 Depth=1
	s_or_b32 exec_lo, exec_lo, s28
	v_lshlrev_b32_e32 v9, 24, v116
	v_lshlrev_b32_e32 v5, 20, v5
	v_lshl_add_u32 v7, v7, 23, 0x3c000000
	v_and_b32_e32 v9, 0x80000000, v9
	v_or3_b32 v5, v5, v9, v7
	v_mov_b32_e32 v16, v6
	v_mov_b32_e32 v15, v5
.LBB186_1068:                           ;   in Loop: Header=BB186_551 Depth=1
	s_or_b32 exec_lo, exec_lo, s27
.LBB186_1069:                           ;   in Loop: Header=BB186_551 Depth=1
	s_or_b32 exec_lo, exec_lo, s26
.LBB186_1070:                           ;   in Loop: Header=BB186_551 Depth=1
	s_or_b32 exec_lo, exec_lo, s22
	v_cmp_ne_u16_sdwa s1, v116, v6 src0_sel:BYTE_1 src1_sel:DWORD
	s_and_saveexec_b32 s22, s1
	s_cbranch_execz .LBB186_1078
; %bb.1071:                             ;   in Loop: Header=BB186_551 Depth=1
	v_mov_b32_e32 v7, v6
	v_mov_b32_e32 v18, v8
	v_cmp_ne_u16_sdwa s1, v116, v46 src0_sel:BYTE_1 src1_sel:DWORD
	v_mov_b32_e32 v17, v7
	s_and_saveexec_b32 s26, s1
	s_cbranch_execz .LBB186_1077
; %bb.1072:                             ;   in Loop: Header=BB186_551 Depth=1
	v_and_b32_sdwa v5, v47, v116 dst_sel:DWORD dst_unused:UNUSED_PAD src0_sel:DWORD src1_sel:BYTE_1
	v_mov_b32_e32 v9, v6
	v_mov_b32_e32 v18, v10
	s_mov_b32 s27, exec_lo
	v_and_b32_e32 v19, 0x7f, v5
	v_mov_b32_e32 v17, v9
	v_cmpx_ne_u32_e32 0x7f, v19
	s_cbranch_execz .LBB186_1076
; %bb.1073:                             ;   in Loop: Header=BB186_551 Depth=1
	v_and_b32_e32 v5, 7, v5
	v_lshrrev_b32_e32 v7, 3, v19
	s_mov_b32 s28, exec_lo
	v_cmpx_gt_u32_e32 8, v19
; %bb.1074:                             ;   in Loop: Header=BB186_551 Depth=1
	v_ffbh_u32_e32 v7, v5
	v_min_u32_e32 v7, 32, v7
	v_subrev_nc_u32_e32 v9, 28, v7
	v_sub_nc_u32_e32 v7, 29, v7
	v_lshlrev_b64 v[17:18], v9, v[5:6]
	v_and_b32_e32 v5, 7, v17
; %bb.1075:                             ;   in Loop: Header=BB186_551 Depth=1
	s_or_b32 exec_lo, exec_lo, s28
	v_lshlrev_b32_e32 v9, 16, v116
	v_lshlrev_b32_e32 v5, 20, v5
	v_lshl_add_u32 v7, v7, 23, 0x3c000000
	v_mov_b32_e32 v17, v6
	v_and_b32_e32 v9, 0x80000000, v9
	v_or3_b32 v18, v5, v9, v7
.LBB186_1076:                           ;   in Loop: Header=BB186_551 Depth=1
	s_or_b32 exec_lo, exec_lo, s27
.LBB186_1077:                           ;   in Loop: Header=BB186_551 Depth=1
	s_or_b32 exec_lo, exec_lo, s26
.LBB186_1078:                           ;   in Loop: Header=BB186_551 Depth=1
	s_or_b32 exec_lo, exec_lo, s22
	v_mov_b32_e32 v21, 0
	v_mov_b32_e32 v19, 0
	v_and_b32_sdwa v5, v116, v48 dst_sel:DWORD dst_unused:UNUSED_PAD src0_sel:WORD_1 src1_sel:DWORD
	v_mov_b32_e32 v22, 0
	v_mov_b32_e32 v20, 0
	s_mov_b32 s22, exec_lo
	v_cmpx_ne_u16_e32 0, v5
	s_cbranch_execz .LBB186_1086
; %bb.1079:                             ;   in Loop: Header=BB186_551 Depth=1
	v_bfrev_b32_e32 v19, 1
	v_mov_b32_e32 v20, 0
	s_mov_b32 s26, exec_lo
	v_cmpx_ne_u16_e32 0x80, v5
	s_cbranch_execz .LBB186_1085
; %bb.1080:                             ;   in Loop: Header=BB186_551 Depth=1
	v_mov_b32_e32 v19, 0x7f800001
	v_bfe_u32 v9, v116, 16, 7
	v_mov_b32_e32 v20, 0
	s_mov_b32 s27, exec_lo
	v_cmpx_ne_u32_e32 0x7f, v9
	s_cbranch_execz .LBB186_1084
; %bb.1081:                             ;   in Loop: Header=BB186_551 Depth=1
	v_and_b32_sdwa v5, v116, v49 dst_sel:DWORD dst_unused:UNUSED_PAD src0_sel:WORD_1 src1_sel:DWORD
	v_lshrrev_b32_e32 v7, 3, v9
	s_mov_b32 s28, exec_lo
	v_cmpx_gt_u32_e32 8, v9
; %bb.1082:                             ;   in Loop: Header=BB186_551 Depth=1
	v_ffbh_u32_e32 v7, v5
	v_min_u32_e32 v7, 32, v7
	v_subrev_nc_u32_e32 v9, 28, v7
	v_sub_nc_u32_e32 v7, 29, v7
	v_lshlrev_b64 v[19:20], v9, v[5:6]
	v_and_b32_e32 v5, 7, v19
; %bb.1083:                             ;   in Loop: Header=BB186_551 Depth=1
	s_or_b32 exec_lo, exec_lo, s28
	v_lshlrev_b32_sdwa v9, v50, v116 dst_sel:DWORD dst_unused:UNUSED_PAD src0_sel:DWORD src1_sel:WORD_1
	v_lshlrev_b32_e32 v5, 20, v5
	v_lshl_add_u32 v7, v7, 23, 0x3c000000
	v_and_b32_e32 v9, 0x80000000, v9
	v_or3_b32 v5, v5, v9, v7
	v_mov_b32_e32 v20, v6
	v_mov_b32_e32 v19, v5
.LBB186_1084:                           ;   in Loop: Header=BB186_551 Depth=1
	s_or_b32 exec_lo, exec_lo, s27
.LBB186_1085:                           ;   in Loop: Header=BB186_551 Depth=1
	s_or_b32 exec_lo, exec_lo, s26
.LBB186_1086:                           ;   in Loop: Header=BB186_551 Depth=1
	s_or_b32 exec_lo, exec_lo, s22
	s_mov_b32 s22, exec_lo
	v_cmpx_lt_u32_e32 0xffffff, v116
	s_cbranch_execz .LBB186_1094
; %bb.1087:                             ;   in Loop: Header=BB186_551 Depth=1
	v_mov_b32_e32 v7, v6
	v_mov_b32_e32 v22, v8
	v_cmp_ne_u32_sdwa s1, v116, v46 src0_sel:BYTE_3 src1_sel:DWORD
	v_mov_b32_e32 v21, v7
	s_and_saveexec_b32 s26, s1
	s_cbranch_execz .LBB186_1093
; %bb.1088:                             ;   in Loop: Header=BB186_551 Depth=1
	v_mov_b32_e32 v9, v6
	v_mov_b32_e32 v22, v10
	v_bfe_u32 v117, v116, 24, 7
	s_mov_b32 s27, exec_lo
	v_mov_b32_e32 v21, v9
	v_cmpx_ne_u32_e32 0x7f, v117
	s_cbranch_execz .LBB186_1092
; %bb.1089:                             ;   in Loop: Header=BB186_551 Depth=1
	v_and_b32_sdwa v5, v116, v49 dst_sel:DWORD dst_unused:UNUSED_PAD src0_sel:BYTE_3 src1_sel:DWORD
	v_lshrrev_b32_e32 v7, 3, v117
	s_mov_b32 s28, exec_lo
	v_cmpx_gt_u32_e32 8, v117
; %bb.1090:                             ;   in Loop: Header=BB186_551 Depth=1
	v_ffbh_u32_e32 v7, v5
	v_min_u32_e32 v7, 32, v7
	v_subrev_nc_u32_e32 v9, 28, v7
	v_sub_nc_u32_e32 v7, 29, v7
	v_lshlrev_b64 v[21:22], v9, v[5:6]
	v_and_b32_e32 v5, 7, v21
; %bb.1091:                             ;   in Loop: Header=BB186_551 Depth=1
	s_or_b32 exec_lo, exec_lo, s28
	v_lshlrev_b32_sdwa v9, v50, v116 dst_sel:DWORD dst_unused:UNUSED_PAD src0_sel:DWORD src1_sel:BYTE_3
	v_lshlrev_b32_e32 v5, 20, v5
	v_lshl_add_u32 v7, v7, 23, 0x3c000000
	v_mov_b32_e32 v21, v6
	v_and_b32_e32 v9, 0x80000000, v9
	v_or3_b32 v22, v5, v9, v7
.LBB186_1092:                           ;   in Loop: Header=BB186_551 Depth=1
	s_or_b32 exec_lo, exec_lo, s27
.LBB186_1093:                           ;   in Loop: Header=BB186_551 Depth=1
	s_or_b32 exec_lo, exec_lo, s26
.LBB186_1094:                           ;   in Loop: Header=BB186_551 Depth=1
	s_or_b32 exec_lo, exec_lo, s22
	v_or_b32_e32 v5, v18, v16
	v_or_b32_e32 v7, v17, v15
	;; [unrolled: 1-line block ×4, first 2 shown]
	v_mul_f32_e32 v9, s21, v5
	v_mul_f32_e32 v15, s18, v7
	;; [unrolled: 1-line block ×4, first 2 shown]
	s_and_saveexec_b32 s1, vcc_lo
	s_cbranch_execz .LBB186_549
; %bb.1095:                             ;   in Loop: Header=BB186_551 Depth=1
	v_cmp_gt_i32_e32 vcc_lo, s33, v58
	v_cndmask_b32_e32 v15, 0, v15, vcc_lo
	v_cmp_gt_i32_e32 vcc_lo, s33, v61
	v_cndmask_b32_e32 v9, 0, v9, vcc_lo
	;; [unrolled: 2-line block ×4, first 2 shown]
	s_branch .LBB186_549
.LBB186_1096:
	s_or_b32 exec_lo, exec_lo, s12
.LBB186_1097:
	s_or_b32 exec_lo, exec_lo, s2
	ds_bpermute_b32 v1, v25, v42
	ds_bpermute_b32 v2, v25, v43
	;; [unrolled: 1-line block ×16, first 2 shown]
	s_mov_b32 s1, exec_lo
	s_waitcnt lgkmcnt(0)
	s_barrier
	buffer_gl0_inv
	v_add_f32_e32 v1, v42, v1
	v_add_f32_e32 v2, v43, v2
	;; [unrolled: 1-line block ×6, first 2 shown]
	ds_bpermute_b32 v17, v26, v1
	v_add_f32_e32 v7, v37, v7
	v_add_f32_e32 v8, v36, v8
	;; [unrolled: 1-line block ×10, first 2 shown]
	ds_bpermute_b32 v18, v26, v2
	ds_bpermute_b32 v19, v26, v3
	;; [unrolled: 1-line block ×15, first 2 shown]
	s_waitcnt lgkmcnt(15)
	v_add_f32_e32 v1, v1, v17
	v_and_b32_e32 v17, 28, v0
	v_lshrrev_b32_e32 v0, 2, v0
	s_waitcnt lgkmcnt(14)
	v_add_f32_e32 v2, v2, v18
	s_waitcnt lgkmcnt(13)
	v_add_f32_e32 v3, v3, v19
	;; [unrolled: 2-line block ×14, first 2 shown]
	v_and_b32_e32 v19, 0x3c3, v118
	s_waitcnt lgkmcnt(0)
	v_add_f32_e32 v16, v16, v26
	v_add_nc_u32_e32 v17, 0x220, v17
	v_lshlrev_b32_e32 v18, 9, v119
	v_cmpx_eq_u32_e32 64, v19
	s_cbranch_execz .LBB186_1099
; %bb.1098:
	v_add_nc_u32_e32 v19, v17, v18
	v_add_nc_u32_e32 v20, 0xfffffc00, v19
	;; [unrolled: 1-line block ×7, first 2 shown]
	ds_write_b32 v20, v1
	ds_write_b32 v21, v2
	;; [unrolled: 1-line block ×6, first 2 shown]
	v_add_nc_u32_e32 v20, 0xfffffcc0, v19
	v_add_nc_u32_e32 v21, 0xfffffce0, v19
	v_add_nc_u32_e32 v22, 0xfffffd00, v19
	v_add_nc_u32_e32 v23, 0xfffffd20, v19
	v_add_nc_u32_e32 v24, 0xfffffd40, v19
	ds_write_b32 v20, v7
	ds_write_b32 v21, v8
	;; [unrolled: 1-line block ×5, first 2 shown]
	v_add_nc_u32_e32 v20, 0xfffffd60, v19
	v_add_nc_u32_e32 v21, 0xfffffd80, v19
	;; [unrolled: 1-line block ×5, first 2 shown]
	ds_write_b32 v20, v12
	ds_write_b32 v21, v13
	;; [unrolled: 1-line block ×5, first 2 shown]
.LBB186_1099:
	s_or_b32 exec_lo, exec_lo, s1
	v_lshlrev_b32_e32 v0, 2, v0
	v_cmp_eq_u32_e32 vcc_lo, 0, v27
	s_waitcnt lgkmcnt(0)
	s_barrier
	buffer_gl0_inv
	v_add3_u32 v0, 0x220, v18, v0
	s_and_saveexec_b32 s1, s0
	s_cbranch_execz .LBB186_1118
; %bb.1100:
	s_and_saveexec_b32 s0, vcc_lo
	s_cbranch_execnz .LBB186_1142
; %bb.1101:
	s_or_b32 exec_lo, exec_lo, s0
	s_and_saveexec_b32 s0, vcc_lo
	s_cbranch_execnz .LBB186_1143
.LBB186_1102:
	s_or_b32 exec_lo, exec_lo, s0
	s_and_saveexec_b32 s0, vcc_lo
	s_cbranch_execnz .LBB186_1144
.LBB186_1103:
	s_or_b32 exec_lo, exec_lo, s0
	s_and_saveexec_b32 s0, vcc_lo
	s_cbranch_execnz .LBB186_1145
.LBB186_1104:
	s_or_b32 exec_lo, exec_lo, s0
	s_and_saveexec_b32 s0, vcc_lo
	s_cbranch_execnz .LBB186_1146
.LBB186_1105:
	s_or_b32 exec_lo, exec_lo, s0
	s_and_saveexec_b32 s0, vcc_lo
	s_cbranch_execnz .LBB186_1147
.LBB186_1106:
	s_or_b32 exec_lo, exec_lo, s0
	s_and_saveexec_b32 s0, vcc_lo
	s_cbranch_execnz .LBB186_1148
.LBB186_1107:
	s_or_b32 exec_lo, exec_lo, s0
	s_and_saveexec_b32 s0, vcc_lo
	s_cbranch_execnz .LBB186_1149
.LBB186_1108:
	s_or_b32 exec_lo, exec_lo, s0
	s_and_saveexec_b32 s0, vcc_lo
	s_cbranch_execnz .LBB186_1150
.LBB186_1109:
	s_or_b32 exec_lo, exec_lo, s0
	s_and_saveexec_b32 s0, vcc_lo
	s_cbranch_execnz .LBB186_1151
.LBB186_1110:
	s_or_b32 exec_lo, exec_lo, s0
	s_and_saveexec_b32 s0, vcc_lo
	s_cbranch_execnz .LBB186_1152
.LBB186_1111:
	s_or_b32 exec_lo, exec_lo, s0
	s_and_saveexec_b32 s0, vcc_lo
	s_cbranch_execnz .LBB186_1153
.LBB186_1112:
	s_or_b32 exec_lo, exec_lo, s0
	s_and_saveexec_b32 s0, vcc_lo
	s_cbranch_execnz .LBB186_1154
.LBB186_1113:
	s_or_b32 exec_lo, exec_lo, s0
	s_and_saveexec_b32 s0, vcc_lo
	s_cbranch_execnz .LBB186_1155
.LBB186_1114:
	s_or_b32 exec_lo, exec_lo, s0
	s_and_saveexec_b32 s0, vcc_lo
	s_cbranch_execnz .LBB186_1156
.LBB186_1115:
	s_or_b32 exec_lo, exec_lo, s0
	s_and_saveexec_b32 s0, vcc_lo
	s_cbranch_execz .LBB186_1117
.LBB186_1116:
	ds_read_b32 v18, v0 offset:480
	s_waitcnt lgkmcnt(0)
	v_add_f32_e32 v16, v16, v18
.LBB186_1117:
	s_or_b32 exec_lo, exec_lo, s0
.LBB186_1118:
	s_or_b32 exec_lo, exec_lo, s1
	v_and_b32_e32 v18, 0x3e3, v118
	s_mov_b32 s1, exec_lo
	s_barrier
	buffer_gl0_inv
	v_cmpx_eq_u32_e32 32, v18
	s_cbranch_execz .LBB186_1120
; %bb.1119:
	ds_write2_b32 v17, v1, v2 offset1:8
	ds_write2_b32 v17, v3, v4 offset0:16 offset1:24
	ds_write2_b32 v17, v5, v6 offset0:32 offset1:40
	;; [unrolled: 1-line block ×7, first 2 shown]
.LBB186_1120:
	s_or_b32 exec_lo, exec_lo, s1
	s_mov_b32 s1, exec_lo
	s_waitcnt lgkmcnt(0)
	s_barrier
	buffer_gl0_inv
	v_cmpx_gt_u32_e32 32, v118
	s_cbranch_execz .LBB186_1139
; %bb.1121:
	s_and_saveexec_b32 s0, vcc_lo
	s_cbranch_execnz .LBB186_1157
; %bb.1122:
	s_or_b32 exec_lo, exec_lo, s0
	s_and_saveexec_b32 s0, vcc_lo
	s_cbranch_execnz .LBB186_1158
.LBB186_1123:
	s_or_b32 exec_lo, exec_lo, s0
	s_and_saveexec_b32 s0, vcc_lo
	s_cbranch_execnz .LBB186_1159
.LBB186_1124:
	s_or_b32 exec_lo, exec_lo, s0
	s_and_saveexec_b32 s0, vcc_lo
	s_cbranch_execnz .LBB186_1160
.LBB186_1125:
	s_or_b32 exec_lo, exec_lo, s0
	s_and_saveexec_b32 s0, vcc_lo
	s_cbranch_execnz .LBB186_1161
.LBB186_1126:
	s_or_b32 exec_lo, exec_lo, s0
	s_and_saveexec_b32 s0, vcc_lo
	s_cbranch_execnz .LBB186_1162
.LBB186_1127:
	s_or_b32 exec_lo, exec_lo, s0
	s_and_saveexec_b32 s0, vcc_lo
	s_cbranch_execnz .LBB186_1163
.LBB186_1128:
	s_or_b32 exec_lo, exec_lo, s0
	s_and_saveexec_b32 s0, vcc_lo
	s_cbranch_execnz .LBB186_1164
.LBB186_1129:
	s_or_b32 exec_lo, exec_lo, s0
	s_and_saveexec_b32 s0, vcc_lo
	s_cbranch_execnz .LBB186_1165
.LBB186_1130:
	s_or_b32 exec_lo, exec_lo, s0
	s_and_saveexec_b32 s0, vcc_lo
	s_cbranch_execnz .LBB186_1166
.LBB186_1131:
	s_or_b32 exec_lo, exec_lo, s0
	s_and_saveexec_b32 s0, vcc_lo
	s_cbranch_execnz .LBB186_1167
.LBB186_1132:
	s_or_b32 exec_lo, exec_lo, s0
	s_and_saveexec_b32 s0, vcc_lo
	s_cbranch_execnz .LBB186_1168
.LBB186_1133:
	s_or_b32 exec_lo, exec_lo, s0
	s_and_saveexec_b32 s0, vcc_lo
	s_cbranch_execnz .LBB186_1169
.LBB186_1134:
	s_or_b32 exec_lo, exec_lo, s0
	s_and_saveexec_b32 s0, vcc_lo
	s_cbranch_execnz .LBB186_1170
.LBB186_1135:
	s_or_b32 exec_lo, exec_lo, s0
	s_and_saveexec_b32 s0, vcc_lo
	s_cbranch_execnz .LBB186_1171
.LBB186_1136:
	s_or_b32 exec_lo, exec_lo, s0
	s_and_saveexec_b32 s0, vcc_lo
	s_cbranch_execz .LBB186_1138
.LBB186_1137:
	ds_read_b32 v0, v0 offset:480
	s_waitcnt lgkmcnt(0)
	v_add_f32_e32 v16, v16, v0
.LBB186_1138:
	s_or_b32 exec_lo, exec_lo, s0
.LBB186_1139:
	s_or_b32 exec_lo, exec_lo, s1
	s_barrier
	buffer_gl0_inv
	s_mov_b32 s0, exec_lo
	v_cmpx_eq_u32_e32 0, v18
	s_cbranch_execz .LBB186_1141
; %bb.1140:
	s_mul_i32 s0, s10, s11
	s_mul_i32 s2, s11, s24
	;; [unrolled: 1-line block ×3, first 2 shown]
	s_lshl_b32 s0, s0, 7
	s_ashr_i32 s1, s0, 31
	s_lshl_b64 s[0:1], s[0:1], 2
	s_add_u32 s4, s6, s0
	s_addc_u32 s5, s7, s1
	s_ashr_i32 s3, s2, 31
	s_lshl_b64 s[0:1], s[2:3], 2
	s_add_u32 s2, s4, s0
	s_addc_u32 s3, s5, s1
	s_lshl_b32 s0, s8, 7
	s_ashr_i32 s1, s0, 31
	s_lshl_b64 s[0:1], s[0:1], 2
	s_add_u32 s0, s2, s0
	s_addc_u32 s1, s3, s1
	global_store_dword v118, v1, s[0:1]
	global_store_dword v118, v2, s[0:1] offset:32
	global_store_dword v118, v3, s[0:1] offset:64
	;; [unrolled: 1-line block ×15, first 2 shown]
.LBB186_1141:
	s_endpgm
.LBB186_1142:
	ds_read_b32 v18, v0
	s_waitcnt lgkmcnt(0)
	v_add_f32_e32 v1, v1, v18
	s_or_b32 exec_lo, exec_lo, s0
	s_and_saveexec_b32 s0, vcc_lo
	s_cbranch_execz .LBB186_1102
.LBB186_1143:
	ds_read_b32 v18, v0 offset:32
	s_waitcnt lgkmcnt(0)
	v_add_f32_e32 v2, v2, v18
	s_or_b32 exec_lo, exec_lo, s0
	s_and_saveexec_b32 s0, vcc_lo
	s_cbranch_execz .LBB186_1103
.LBB186_1144:
	ds_read_b32 v18, v0 offset:64
	s_waitcnt lgkmcnt(0)
	v_add_f32_e32 v3, v3, v18
	s_or_b32 exec_lo, exec_lo, s0
	s_and_saveexec_b32 s0, vcc_lo
	s_cbranch_execz .LBB186_1104
.LBB186_1145:
	ds_read_b32 v18, v0 offset:96
	s_waitcnt lgkmcnt(0)
	v_add_f32_e32 v4, v4, v18
	s_or_b32 exec_lo, exec_lo, s0
	s_and_saveexec_b32 s0, vcc_lo
	s_cbranch_execz .LBB186_1105
.LBB186_1146:
	ds_read_b32 v18, v0 offset:128
	s_waitcnt lgkmcnt(0)
	v_add_f32_e32 v5, v5, v18
	s_or_b32 exec_lo, exec_lo, s0
	s_and_saveexec_b32 s0, vcc_lo
	s_cbranch_execz .LBB186_1106
.LBB186_1147:
	ds_read_b32 v18, v0 offset:160
	s_waitcnt lgkmcnt(0)
	v_add_f32_e32 v6, v6, v18
	s_or_b32 exec_lo, exec_lo, s0
	s_and_saveexec_b32 s0, vcc_lo
	s_cbranch_execz .LBB186_1107
.LBB186_1148:
	ds_read_b32 v18, v0 offset:192
	s_waitcnt lgkmcnt(0)
	v_add_f32_e32 v7, v7, v18
	s_or_b32 exec_lo, exec_lo, s0
	s_and_saveexec_b32 s0, vcc_lo
	s_cbranch_execz .LBB186_1108
.LBB186_1149:
	ds_read_b32 v18, v0 offset:224
	s_waitcnt lgkmcnt(0)
	v_add_f32_e32 v8, v8, v18
	s_or_b32 exec_lo, exec_lo, s0
	s_and_saveexec_b32 s0, vcc_lo
	s_cbranch_execz .LBB186_1109
.LBB186_1150:
	ds_read_b32 v18, v0 offset:256
	s_waitcnt lgkmcnt(0)
	v_add_f32_e32 v9, v9, v18
	s_or_b32 exec_lo, exec_lo, s0
	s_and_saveexec_b32 s0, vcc_lo
	s_cbranch_execz .LBB186_1110
.LBB186_1151:
	ds_read_b32 v18, v0 offset:288
	s_waitcnt lgkmcnt(0)
	v_add_f32_e32 v10, v10, v18
	s_or_b32 exec_lo, exec_lo, s0
	s_and_saveexec_b32 s0, vcc_lo
	s_cbranch_execz .LBB186_1111
.LBB186_1152:
	ds_read_b32 v18, v0 offset:320
	s_waitcnt lgkmcnt(0)
	v_add_f32_e32 v11, v11, v18
	s_or_b32 exec_lo, exec_lo, s0
	s_and_saveexec_b32 s0, vcc_lo
	s_cbranch_execz .LBB186_1112
.LBB186_1153:
	ds_read_b32 v18, v0 offset:352
	s_waitcnt lgkmcnt(0)
	v_add_f32_e32 v12, v12, v18
	s_or_b32 exec_lo, exec_lo, s0
	s_and_saveexec_b32 s0, vcc_lo
	s_cbranch_execz .LBB186_1113
.LBB186_1154:
	ds_read_b32 v18, v0 offset:384
	s_waitcnt lgkmcnt(0)
	v_add_f32_e32 v13, v13, v18
	s_or_b32 exec_lo, exec_lo, s0
	s_and_saveexec_b32 s0, vcc_lo
	s_cbranch_execz .LBB186_1114
.LBB186_1155:
	ds_read_b32 v18, v0 offset:416
	s_waitcnt lgkmcnt(0)
	v_add_f32_e32 v14, v14, v18
	s_or_b32 exec_lo, exec_lo, s0
	s_and_saveexec_b32 s0, vcc_lo
	s_cbranch_execz .LBB186_1115
.LBB186_1156:
	ds_read_b32 v18, v0 offset:448
	s_waitcnt lgkmcnt(0)
	v_add_f32_e32 v15, v15, v18
	s_or_b32 exec_lo, exec_lo, s0
	s_and_saveexec_b32 s0, vcc_lo
	s_cbranch_execnz .LBB186_1116
	s_branch .LBB186_1117
.LBB186_1157:
	ds_read_b32 v17, v0
	s_waitcnt lgkmcnt(0)
	v_add_f32_e32 v1, v1, v17
	s_or_b32 exec_lo, exec_lo, s0
	s_and_saveexec_b32 s0, vcc_lo
	s_cbranch_execz .LBB186_1123
.LBB186_1158:
	ds_read_b32 v17, v0 offset:32
	s_waitcnt lgkmcnt(0)
	v_add_f32_e32 v2, v2, v17
	s_or_b32 exec_lo, exec_lo, s0
	s_and_saveexec_b32 s0, vcc_lo
	s_cbranch_execz .LBB186_1124
.LBB186_1159:
	ds_read_b32 v17, v0 offset:64
	s_waitcnt lgkmcnt(0)
	v_add_f32_e32 v3, v3, v17
	s_or_b32 exec_lo, exec_lo, s0
	s_and_saveexec_b32 s0, vcc_lo
	s_cbranch_execz .LBB186_1125
.LBB186_1160:
	ds_read_b32 v17, v0 offset:96
	s_waitcnt lgkmcnt(0)
	v_add_f32_e32 v4, v4, v17
	s_or_b32 exec_lo, exec_lo, s0
	s_and_saveexec_b32 s0, vcc_lo
	s_cbranch_execz .LBB186_1126
.LBB186_1161:
	ds_read_b32 v17, v0 offset:128
	s_waitcnt lgkmcnt(0)
	v_add_f32_e32 v5, v5, v17
	s_or_b32 exec_lo, exec_lo, s0
	s_and_saveexec_b32 s0, vcc_lo
	s_cbranch_execz .LBB186_1127
.LBB186_1162:
	ds_read_b32 v17, v0 offset:160
	s_waitcnt lgkmcnt(0)
	v_add_f32_e32 v6, v6, v17
	s_or_b32 exec_lo, exec_lo, s0
	s_and_saveexec_b32 s0, vcc_lo
	s_cbranch_execz .LBB186_1128
.LBB186_1163:
	ds_read_b32 v17, v0 offset:192
	s_waitcnt lgkmcnt(0)
	v_add_f32_e32 v7, v7, v17
	s_or_b32 exec_lo, exec_lo, s0
	s_and_saveexec_b32 s0, vcc_lo
	s_cbranch_execz .LBB186_1129
.LBB186_1164:
	ds_read_b32 v17, v0 offset:224
	s_waitcnt lgkmcnt(0)
	v_add_f32_e32 v8, v8, v17
	s_or_b32 exec_lo, exec_lo, s0
	s_and_saveexec_b32 s0, vcc_lo
	s_cbranch_execz .LBB186_1130
.LBB186_1165:
	ds_read_b32 v17, v0 offset:256
	s_waitcnt lgkmcnt(0)
	v_add_f32_e32 v9, v9, v17
	s_or_b32 exec_lo, exec_lo, s0
	s_and_saveexec_b32 s0, vcc_lo
	s_cbranch_execz .LBB186_1131
.LBB186_1166:
	ds_read_b32 v17, v0 offset:288
	s_waitcnt lgkmcnt(0)
	v_add_f32_e32 v10, v10, v17
	s_or_b32 exec_lo, exec_lo, s0
	s_and_saveexec_b32 s0, vcc_lo
	s_cbranch_execz .LBB186_1132
.LBB186_1167:
	ds_read_b32 v17, v0 offset:320
	s_waitcnt lgkmcnt(0)
	v_add_f32_e32 v11, v11, v17
	s_or_b32 exec_lo, exec_lo, s0
	s_and_saveexec_b32 s0, vcc_lo
	s_cbranch_execz .LBB186_1133
.LBB186_1168:
	ds_read_b32 v17, v0 offset:352
	s_waitcnt lgkmcnt(0)
	v_add_f32_e32 v12, v12, v17
	s_or_b32 exec_lo, exec_lo, s0
	s_and_saveexec_b32 s0, vcc_lo
	s_cbranch_execz .LBB186_1134
.LBB186_1169:
	ds_read_b32 v17, v0 offset:384
	s_waitcnt lgkmcnt(0)
	v_add_f32_e32 v13, v13, v17
	s_or_b32 exec_lo, exec_lo, s0
	s_and_saveexec_b32 s0, vcc_lo
	s_cbranch_execz .LBB186_1135
.LBB186_1170:
	ds_read_b32 v17, v0 offset:416
	s_waitcnt lgkmcnt(0)
	v_add_f32_e32 v14, v14, v17
	s_or_b32 exec_lo, exec_lo, s0
	s_and_saveexec_b32 s0, vcc_lo
	s_cbranch_execz .LBB186_1136
.LBB186_1171:
	ds_read_b32 v17, v0 offset:448
	s_waitcnt lgkmcnt(0)
	v_add_f32_e32 v15, v15, v17
	s_or_b32 exec_lo, exec_lo, s0
	s_and_saveexec_b32 s0, vcc_lo
	s_cbranch_execnz .LBB186_1137
	s_branch .LBB186_1138
	.section	.rodata,"a",@progbits
	.p2align	6, 0x0
	.amdhsa_kernel _ZN4vllm25paged_attention_v1_kernelIfhLi128ELi16ELi128ELNS_18Fp8KVCacheDataTypeE1ELb1EEEvPT_PKS2_PKT0_S8_ifPKiSA_iPKfiiiSC_SC_iiiii
		.amdhsa_group_segment_fixed_size 544
		.amdhsa_private_segment_fixed_size 308
		.amdhsa_kernarg_size 384
		.amdhsa_user_sgpr_count 6
		.amdhsa_user_sgpr_private_segment_buffer 1
		.amdhsa_user_sgpr_dispatch_ptr 0
		.amdhsa_user_sgpr_queue_ptr 0
		.amdhsa_user_sgpr_kernarg_segment_ptr 1
		.amdhsa_user_sgpr_dispatch_id 0
		.amdhsa_user_sgpr_flat_scratch_init 0
		.amdhsa_user_sgpr_private_segment_size 0
		.amdhsa_wavefront_size32 1
		.amdhsa_uses_dynamic_stack 0
		.amdhsa_system_sgpr_private_segment_wavefront_offset 1
		.amdhsa_system_sgpr_workgroup_id_x 1
		.amdhsa_system_sgpr_workgroup_id_y 1
		.amdhsa_system_sgpr_workgroup_id_z 1
		.amdhsa_system_sgpr_workgroup_info 0
		.amdhsa_system_vgpr_workitem_id 0
		.amdhsa_next_free_vgpr 128
		.amdhsa_next_free_sgpr 52
		.amdhsa_reserve_vcc 1
		.amdhsa_reserve_flat_scratch 0
		.amdhsa_float_round_mode_32 0
		.amdhsa_float_round_mode_16_64 0
		.amdhsa_float_denorm_mode_32 3
		.amdhsa_float_denorm_mode_16_64 3
		.amdhsa_dx10_clamp 1
		.amdhsa_ieee_mode 1
		.amdhsa_fp16_overflow 0
		.amdhsa_workgroup_processor_mode 1
		.amdhsa_memory_ordered 1
		.amdhsa_forward_progress 1
		.amdhsa_shared_vgpr_count 0
		.amdhsa_exception_fp_ieee_invalid_op 0
		.amdhsa_exception_fp_denorm_src 0
		.amdhsa_exception_fp_ieee_div_zero 0
		.amdhsa_exception_fp_ieee_overflow 0
		.amdhsa_exception_fp_ieee_underflow 0
		.amdhsa_exception_fp_ieee_inexact 0
		.amdhsa_exception_int_div_zero 0
	.end_amdhsa_kernel
	.section	.text._ZN4vllm25paged_attention_v1_kernelIfhLi128ELi16ELi128ELNS_18Fp8KVCacheDataTypeE1ELb1EEEvPT_PKS2_PKT0_S8_ifPKiSA_iPKfiiiSC_SC_iiiii,"axG",@progbits,_ZN4vllm25paged_attention_v1_kernelIfhLi128ELi16ELi128ELNS_18Fp8KVCacheDataTypeE1ELb1EEEvPT_PKS2_PKT0_S8_ifPKiSA_iPKfiiiSC_SC_iiiii,comdat
.Lfunc_end186:
	.size	_ZN4vllm25paged_attention_v1_kernelIfhLi128ELi16ELi128ELNS_18Fp8KVCacheDataTypeE1ELb1EEEvPT_PKS2_PKT0_S8_ifPKiSA_iPKfiiiSC_SC_iiiii, .Lfunc_end186-_ZN4vllm25paged_attention_v1_kernelIfhLi128ELi16ELi128ELNS_18Fp8KVCacheDataTypeE1ELb1EEEvPT_PKS2_PKT0_S8_ifPKiSA_iPKfiiiSC_SC_iiiii
                                        ; -- End function
	.set _ZN4vllm25paged_attention_v1_kernelIfhLi128ELi16ELi128ELNS_18Fp8KVCacheDataTypeE1ELb1EEEvPT_PKS2_PKT0_S8_ifPKiSA_iPKfiiiSC_SC_iiiii.num_vgpr, 128
	.set _ZN4vllm25paged_attention_v1_kernelIfhLi128ELi16ELi128ELNS_18Fp8KVCacheDataTypeE1ELb1EEEvPT_PKS2_PKT0_S8_ifPKiSA_iPKfiiiSC_SC_iiiii.num_agpr, 0
	.set _ZN4vllm25paged_attention_v1_kernelIfhLi128ELi16ELi128ELNS_18Fp8KVCacheDataTypeE1ELb1EEEvPT_PKS2_PKT0_S8_ifPKiSA_iPKfiiiSC_SC_iiiii.numbered_sgpr, 52
	.set _ZN4vllm25paged_attention_v1_kernelIfhLi128ELi16ELi128ELNS_18Fp8KVCacheDataTypeE1ELb1EEEvPT_PKS2_PKT0_S8_ifPKiSA_iPKfiiiSC_SC_iiiii.num_named_barrier, 0
	.set _ZN4vllm25paged_attention_v1_kernelIfhLi128ELi16ELi128ELNS_18Fp8KVCacheDataTypeE1ELb1EEEvPT_PKS2_PKT0_S8_ifPKiSA_iPKfiiiSC_SC_iiiii.private_seg_size, 308
	.set _ZN4vllm25paged_attention_v1_kernelIfhLi128ELi16ELi128ELNS_18Fp8KVCacheDataTypeE1ELb1EEEvPT_PKS2_PKT0_S8_ifPKiSA_iPKfiiiSC_SC_iiiii.uses_vcc, 1
	.set _ZN4vllm25paged_attention_v1_kernelIfhLi128ELi16ELi128ELNS_18Fp8KVCacheDataTypeE1ELb1EEEvPT_PKS2_PKT0_S8_ifPKiSA_iPKfiiiSC_SC_iiiii.uses_flat_scratch, 0
	.set _ZN4vllm25paged_attention_v1_kernelIfhLi128ELi16ELi128ELNS_18Fp8KVCacheDataTypeE1ELb1EEEvPT_PKS2_PKT0_S8_ifPKiSA_iPKfiiiSC_SC_iiiii.has_dyn_sized_stack, 0
	.set _ZN4vllm25paged_attention_v1_kernelIfhLi128ELi16ELi128ELNS_18Fp8KVCacheDataTypeE1ELb1EEEvPT_PKS2_PKT0_S8_ifPKiSA_iPKfiiiSC_SC_iiiii.has_recursion, 0
	.set _ZN4vllm25paged_attention_v1_kernelIfhLi128ELi16ELi128ELNS_18Fp8KVCacheDataTypeE1ELb1EEEvPT_PKS2_PKT0_S8_ifPKiSA_iPKfiiiSC_SC_iiiii.has_indirect_call, 0
	.section	.AMDGPU.csdata,"",@progbits
; Kernel info:
; codeLenInByte = 36116
; TotalNumSgprs: 54
; NumVgprs: 128
; ScratchSize: 308
; MemoryBound: 0
; FloatMode: 240
; IeeeMode: 1
; LDSByteSize: 544 bytes/workgroup (compile time only)
; SGPRBlocks: 0
; VGPRBlocks: 15
; NumSGPRsForWavesPerEU: 54
; NumVGPRsForWavesPerEU: 128
; Occupancy: 8
; WaveLimiterHint : 1
; COMPUTE_PGM_RSRC2:SCRATCH_EN: 1
; COMPUTE_PGM_RSRC2:USER_SGPR: 6
; COMPUTE_PGM_RSRC2:TRAP_HANDLER: 0
; COMPUTE_PGM_RSRC2:TGID_X_EN: 1
; COMPUTE_PGM_RSRC2:TGID_Y_EN: 1
; COMPUTE_PGM_RSRC2:TGID_Z_EN: 1
; COMPUTE_PGM_RSRC2:TIDIG_COMP_CNT: 0
	.text
	.p2align	2                               ; -- Begin function _ZN4vllm22paged_attention_kernelIfhLi192ELi16ELi128ELNS_18Fp8KVCacheDataTypeE1ELb1ELi0EEEvPfS2_PT_PKS3_PKT0_S9_ifPKiSB_iPKfiiiSD_SD_iiiii
	.type	_ZN4vllm22paged_attention_kernelIfhLi192ELi16ELi128ELNS_18Fp8KVCacheDataTypeE1ELb1ELi0EEEvPfS2_PT_PKS3_PKT0_S9_ifPKiSB_iPKfiiiSD_SD_iiiii,@function
_ZN4vllm22paged_attention_kernelIfhLi192ELi16ELi128ELNS_18Fp8KVCacheDataTypeE1ELb1ELi0EEEvPfS2_PT_PKS3_PKT0_S9_ifPKiSB_iPKfiiiSD_SD_iiiii: ; @_ZN4vllm22paged_attention_kernelIfhLi192ELi16ELi128ELNS_18Fp8KVCacheDataTypeE1ELb1ELi0EEEvPfS2_PT_PKS3_PKT0_S9_ifPKiSB_iPKfiiiSD_SD_iiiii
; %bb.0:
	s_waitcnt vmcnt(0) expcnt(0) lgkmcnt(0)
	buffer_store_dword v40, off, s[0:3], s32 offset:188 ; 4-byte Folded Spill
	buffer_store_dword v41, off, s[0:3], s32 offset:184 ; 4-byte Folded Spill
	;; [unrolled: 1-line block ×47, first 2 shown]
	buffer_store_dword v127, off, s[0:3], s32 ; 4-byte Folded Spill
	s_mov_b32 s10, s13
	s_ashr_i32 s11, s13, 31
	buffer_store_dword v22, off, s[0:3], s32 offset:792 ; 4-byte Folded Spill
	buffer_store_dword v23, off, s[0:3], s32 offset:796 ; 4-byte Folded Spill
	;; [unrolled: 1-line block ×5, first 2 shown]
	s_lshl_b64 s[4:5], s[10:11], 2
	buffer_store_dword v1, off, s[0:3], s32 offset:844 ; 4-byte Folded Spill
	buffer_store_dword v0, off, s[0:3], s32 offset:848 ; 4-byte Folded Spill
	v_add_co_u32 v0, vcc_lo, v12, s4
	v_add_co_ci_u32_e64 v1, null, s5, v13, vcc_lo
	s_clause 0x1
	s_load_dword s4, s[8:9], 0x10
	s_load_dword s5, s[8:9], 0x0
	v_mov_b32_e32 v22, v6
	flat_load_dword v79, v[0:1]
	v_sub_nc_u32_e32 v0, 0, v8
	v_mov_b32_e32 v29, v9
	v_mov_b32_e32 v20, v7
	;; [unrolled: 1-line block ×4, first 2 shown]
	v_max_i32_e32 v0, v8, v0
	s_mov_b32 s18, s15
	v_cvt_f32_u32_e32 v1, v0
	v_sub_nc_u32_e32 v6, 0, v0
	v_rcp_iflag_f32_e32 v1, v1
	s_waitcnt lgkmcnt(0)
	s_lshr_b32 s4, s4, 16
	s_cmp_lg_u32 s4, 0
	s_cselect_b32 s4, -1, 0
	s_cmp_lg_u32 s4, 0
	s_addc_u32 s11, s5, 0
	v_mul_f32_e32 v1, 0x4f7ffffe, v1
	s_abs_i32 s4, s11
	s_mov_b32 s5, exec_lo
	v_cvt_u32_f32_e32 v1, v1
	v_mul_lo_u32 v6, v6, v1
	v_mul_hi_u32 v6, v1, v6
	v_add_nc_u32_e32 v1, v1, v6
	v_mul_hi_u32 v1, s4, v1
	v_mul_lo_u32 v6, v1, v0
	v_add_nc_u32_e32 v7, 1, v1
	v_sub_nc_u32_e32 v6, s4, v6
	s_abs_i32 s4, s12
	v_sub_nc_u32_e32 v9, v6, v0
	v_cmp_ge_u32_e32 vcc_lo, v6, v0
	v_cndmask_b32_e32 v1, v1, v7, vcc_lo
	v_cndmask_b32_e32 v6, v6, v9, vcc_lo
	v_xor_b32_e32 v7, s11, v8
	v_add_nc_u32_e32 v9, 1, v1
	v_cmp_ge_u32_e32 vcc_lo, v6, v0
	v_ashrrev_i32_e32 v7, 31, v7
	v_cndmask_b32_e32 v0, v1, v9, vcc_lo
	v_xor_b32_e32 v0, v0, v7
	v_sub_nc_u32_e32 v6, v0, v7
	v_sub_nc_u32_e32 v0, 0, v6
	v_max_i32_e32 v7, v6, v0
	v_cvt_f32_u32_e32 v0, v7
	v_sub_nc_u32_e32 v1, 0, v7
	v_rcp_iflag_f32_e32 v0, v0
	v_mul_f32_e32 v0, 0x4f7ffffe, v0
	v_cvt_u32_f32_e32 v0, v0
	v_mul_lo_u32 v1, v1, v0
	v_mul_hi_u32 v1, v0, v1
	v_add_nc_u32_e32 v0, v0, v1
	v_mad_u64_u32 v[0:1], null, s4, v0, 0
	v_mov_b32_e32 v0, 0
	buffer_store_dword v0, off, s[0:3], s32 offset:824 ; 4-byte Folded Spill
	v_cmpx_ne_u64_e32 0, v[15:16]
	s_cbranch_execz .LBB187_2
; %bb.1:
	s_ashr_i32 s13, s12, 31
	s_lshl_b64 s[6:7], s[12:13], 2
	v_add_co_u32 v9, vcc_lo, v15, s6
	v_add_co_ci_u32_e64 v10, null, s7, v16, vcc_lo
	flat_load_dword v0, v[9:10]
	s_waitcnt vmcnt(0) lgkmcnt(0)
	buffer_store_dword v0, off, s[0:3], s32 offset:824 ; 4-byte Folded Spill
.LBB187_2:
	s_or_b32 exec_lo, exec_lo, s5
	v_and_b32_e32 v15, 0x3ff, v31
	v_ashrrev_i32_e32 v0, 31, v6
	v_and_b32_e32 v6, 1, v31
	s_ashr_i32 s5, s12, 31
	s_mul_i32 s16, s12, 0xc0
	v_lshlrev_b32_e32 v16, 2, v15
	s_mov_b32 s6, exec_lo
	v_cmpx_gt_u32_e32 0x60, v15
	s_cbranch_execz .LBB187_4
; %bb.3:
	v_mul_lo_u32 v9, v17, s10
	s_ashr_i32 s17, s16, 31
	v_lshlrev_b32_e32 v11, 3, v15
	s_lshl_b64 s[20:21], s[16:17], 2
	v_ashrrev_i32_e32 v10, 31, v9
	v_lshlrev_b64 v[9:10], 2, v[9:10]
	v_add_co_u32 v2, vcc_lo, v2, v9
	v_add_co_ci_u32_e64 v3, null, v3, v10, vcc_lo
	v_and_b32_e32 v9, 0xff8, v16
	v_add_co_u32 v2, vcc_lo, v2, s20
	v_add_co_ci_u32_e64 v3, null, s21, v3, vcc_lo
	v_mad_u32_u24 v9, 0x180, v6, v9
	v_add_co_u32 v2, vcc_lo, v2, v11
	v_add_co_ci_u32_e64 v3, null, 0, v3, vcc_lo
	flat_load_dwordx2 v[2:3], v[2:3]
	s_waitcnt vmcnt(0) lgkmcnt(0)
	ds_write_b64 v9, v[2:3]
.LBB187_4:
	s_or_b32 exec_lo, exec_lo, s6
	v_sub_nc_u32_e32 v2, 0, v27
	v_mul_lo_u32 v3, v1, v7
	v_xor_b32_e32 v13, s5, v0
	v_max_i32_e32 v47, v27, v2
	v_sub_nc_u32_e32 v9, s4, v3
	v_cvt_f32_u32_e32 v2, v47
	v_add_nc_u32_e32 v3, 1, v1
	s_mov_b32 s4, exec_lo
	v_sub_nc_u32_e32 v11, v9, v7
	v_rcp_iflag_f32_e32 v2, v2
	v_cmp_ge_u32_e32 vcc_lo, v9, v7
	v_cndmask_b32_e32 v1, v1, v3, vcc_lo
	v_cndmask_b32_e32 v9, v9, v11, vcc_lo
	s_waitcnt vmcnt(0)
	v_add_nc_u32_e32 v3, -1, v79
	v_mul_f32_e32 v2, 0x4f7ffffe, v2
	v_add_nc_u32_e32 v11, 1, v1
	v_cmp_ge_u32_e32 vcc_lo, v9, v7
	v_cvt_u32_f32_e32 v10, v2
	v_sub_nc_u32_e32 v2, 0, v47
	v_cndmask_b32_e32 v0, v1, v11, vcc_lo
	v_mul_lo_u32 v2, v2, v10
	v_xor_b32_e32 v7, v0, v13
	v_mul_hi_u32 v12, v10, v2
	v_sub_nc_u32_e32 v2, 0, v3
	v_max_i32_e32 v2, v3, v2
	v_add_nc_u32_e32 v1, v10, v12
	buffer_store_dword v1, off, s[0:3], s32 offset:208 ; 4-byte Folded Spill
	v_mad_u64_u32 v[0:1], null, v2, v1, 0
	v_sub_nc_u32_e32 v0, v7, v13
                                        ; implicit-def: $vgpr7
	s_waitcnt lgkmcnt(0)
	s_waitcnt_vscnt null, 0x0
	s_barrier
	buffer_gl0_inv
	buffer_store_dword v7, off, s[0:3], s32 offset:196 ; 4-byte Folded Spill
	buffer_store_dword v8, off, s[0:3], s32 offset:200 ; 4-byte Folded Spill
	v_cmpx_gt_i32_e32 0, v28
	s_xor_b32 s4, exec_lo, s4
	s_cbranch_execz .LBB187_6
; %bb.5:
	v_mad_u64_u32 v[7:8], null, v24, v8, v[0:1]
                                        ; implicit-def: $vgpr24
	v_mul_lo_u32 v7, v7, v28
                                        ; implicit-def: $vgpr28
	v_sub_nc_u32_e32 v7, 1, v7
	buffer_store_dword v7, off, s[0:3], s32 offset:196 ; 4-byte Folded Spill
	buffer_store_dword v8, off, s[0:3], s32 offset:200 ; 4-byte Folded Spill
.LBB187_6:
	s_or_saveexec_b32 s4, s4
	v_ashrrev_i32_e32 v3, 31, v3
	v_ashrrev_i32_e32 v7, 31, v27
	buffer_store_dword v7, off, s[0:3], s32 offset:204 ; 4-byte Folded Spill
	s_xor_b32 exec_lo, exec_lo, s4
	s_cbranch_execz .LBB187_8
; %bb.7:
	v_mad_u64_u32 v[7:8], null, s11, v24, s[12:13]
	v_mad_u64_u32 v[7:8], null, v7, v28, 1
	buffer_store_dword v7, off, s[0:3], s32 offset:196 ; 4-byte Folded Spill
	buffer_store_dword v8, off, s[0:3], s32 offset:200 ; 4-byte Folded Spill
.LBB187_8:
	s_or_b32 exec_lo, exec_lo, s4
	s_clause 0x1
	s_load_dword s13, s[8:9], 0x14
	s_load_dword s12, s[8:9], 0x8
	buffer_load_dword v11, off, s[0:3], s32 offset:204 ; 4-byte Folded Reload
	v_mul_lo_u32 v7, v1, v47
	v_add_nc_u32_e32 v8, 15, v79
	v_mul_lo_u32 v17, v0, v19
	v_sub_nc_u32_e32 v19, 0, v26
	v_lshrrev_b32_e32 v12, 3, v15
	v_ashrrev_i32_e32 v10, 31, v8
	v_sub_nc_u32_e32 v2, v2, v7
	v_add_nc_u32_e32 v7, 1, v1
	v_ashrrev_i32_e32 v28, 31, v17
	v_lshrrev_b32_e32 v10, 28, v10
	v_cmp_ge_u32_e32 vcc_lo, v2, v47
	v_sub_nc_u32_e32 v9, v2, v47
	v_add_nc_u32_e32 v0, v8, v10
	v_cndmask_b32_e32 v7, v1, v7, vcc_lo
	v_cndmask_b32_e32 v2, v2, v9, vcc_lo
	v_mul_lo_u32 v1, v14, s10
	v_ashrrev_i32_e32 v8, 4, v0
	v_add_nc_u32_e32 v9, 1, v7
	v_cmp_ge_u32_e32 vcc_lo, v2, v47
	v_cndmask_b32_e32 v2, v7, v9, vcc_lo
	v_mov_b32_e32 v9, 0xff7fffff
	s_waitcnt vmcnt(0)
	v_xor_b32_e32 v3, v3, v11
	v_lshrrev_b32_e32 v11, 5, v15
	buffer_store_dword v11, off, s[0:3], s32 offset:840 ; 4-byte Folded Spill
	buffer_store_dword v8, off, s[0:3], s32 offset:192 ; 4-byte Folded Spill
	v_xor_b32_e32 v7, v2, v3
	v_ashrrev_i32_e32 v2, 31, v1
	v_lshlrev_b32_e32 v23, 4, v11
	v_cmp_ge_i32_e64 s4, v11, v8
	v_cmp_lt_i32_e32 vcc_lo, v11, v8
	v_sub_nc_u32_e32 v0, v7, v3
	v_lshlrev_b64 v[13:14], 2, v[1:2]
	v_sub_nc_u32_e32 v0, v0, v25
	buffer_store_dword v0, off, s[0:3], s32 offset:212 ; 4-byte Folded Spill
	s_mov_b32 s15, exec_lo
	s_and_b32 s5, s15, vcc_lo
	buffer_store_dword v15, off, s[0:3], s32 offset:820 ; 4-byte Folded Spill
	s_mov_b32 exec_lo, s5
	s_cbranch_execz .LBB187_788
; %bb.9:
	buffer_store_dword v16, off, s[0:3], s32 offset:872 ; 4-byte Folded Spill
	buffer_store_dword v22, off, s[0:3], s32 offset:868 ; 4-byte Folded Spill
	;; [unrolled: 1-line block ×5, first 2 shown]
	s_clause 0x1
	buffer_load_dword v3, off, s[0:3], s32 offset:824
	buffer_load_dword v91, off, s[0:3], s32 offset:840
	v_max_i32_e32 v7, v26, v19
	v_lshlrev_b32_e32 v9, 1, v6
	v_add_co_u32 v1, s5, v4, v17
	v_add_co_ci_u32_e64 v2, null, v5, v28, s5
	v_cvt_f32_u32_e32 v0, v7
	buffer_store_dword v7, off, s[0:3], s32 offset:584 ; 4-byte Folded Spill
	v_sub_nc_u32_e32 v5, 0, v7
	v_or_b32_e32 v7, 4, v9
	v_bfe_u32 v8, v15, 1, 4
	s_ashr_i32 s19, s18, 31
	s_getpc_b64 s[6:7]
	s_add_u32 s6, s6, llvm.amdgcn.dynlds.offset.table@rel32@lo+4
	s_addc_u32 s7, s7, llvm.amdgcn.dynlds.offset.table@rel32@hi+12
	s_lshl_b64 s[8:9], s[18:19], 2
	buffer_store_dword v7, off, s[0:3], s32 offset:216 ; 4-byte Folded Spill
	v_or_b32_e32 v7, 8, v9
	buffer_store_dword v17, off, s[0:3], s32 offset:888 ; 4-byte Folded Spill
	buffer_store_dword v28, off, s[0:3], s32 offset:896 ; 4-byte Folded Spill
	buffer_store_dword v12, off, s[0:3], s32 offset:884 ; 4-byte Folded Spill
	s_add_u32 s8, s6, s8
	buffer_store_dword v7, off, s[0:3], s32 offset:220 ; 4-byte Folded Spill
	v_or_b32_e32 v7, 12, v9
	buffer_store_dword v8, off, s[0:3], s32 offset:828 ; 4-byte Folded Spill
	v_rcp_iflag_f32_e32 v0, v0
	v_lshlrev_b32_e32 v4, 4, v8
	s_addc_u32 s9, s7, s9
	buffer_store_dword v7, off, s[0:3], s32 offset:224 ; 4-byte Folded Spill
	v_lshlrev_b32_e32 v7, 2, v8
	v_sub_nc_u32_e32 v8, v8, v79
	v_cmp_eq_u32_e32 vcc_lo, 0, v6
	v_mov_b32_e32 v25, 0
	v_mul_u32_u24_e32 v6, 0x180, v6
	v_mov_b32_e32 v26, v9
	v_mul_f32_e32 v0, 0x4f7ffffe, v0
	v_mov_b32_e32 v90, 0x80
	v_bfrev_b32_e32 v115, 1
	v_mov_b32_e32 v73, 0x7f800001
	s_mov_b32 s19, 0
	v_cvt_u32_f32_e32 v0, v0
	v_mul_lo_u32 v5, v5, v0
	v_mul_hi_u32 v5, v0, v5
	v_add_nc_u32_e32 v0, v0, v5
	s_waitcnt vmcnt(1)
	v_cmp_neq_f32_e64 s5, 0, v3
	v_and_b32_e32 v3, 0x7c, v12
	s_waitcnt vmcnt(0)
	v_lshlrev_b32_e32 v20, 4, v91
	v_lshl_or_b32 v9, v91, 6, v7
	v_add_co_u32 v3, s6, v3, v13
	buffer_store_dword v13, off, s[0:3], s32 offset:876 ; 4-byte Folded Spill
	buffer_store_dword v14, off, s[0:3], s32 offset:880 ; 4-byte Folded Spill
	s_load_dword s17, s[8:9], 0x0
	v_add_co_ci_u32_e64 v10, null, 0, v14, s6
	v_add_co_u32 v1, s6, v1, v4
	v_add_co_ci_u32_e64 v2, null, 0, v2, s6
	buffer_store_dword v1, off, s[0:3], s32 offset:812 ; 4-byte Folded Spill
	buffer_store_dword v2, off, s[0:3], s32 offset:816 ; 4-byte Folded Spill
	v_add_nc_u32_e32 v1, 1, v8
	v_add_co_u32 v112, s6, v21, v3
	buffer_store_dword v1, off, s[0:3], s32 offset:832 ; 4-byte Folded Spill
	buffer_store_dword v21, off, s[0:3], s32 offset:856 ; 4-byte Folded Spill
	v_add_co_ci_u32_e64 v113, null, v18, v10, s6
	buffer_store_dword v0, off, s[0:3], s32 offset:588 ; 4-byte Folded Spill
	v_mov_b32_e32 v0, 0xff7fffff
	buffer_store_dword v18, off, s[0:3], s32 offset:852 ; 4-byte Folded Spill
	buffer_store_dword v29, off, s[0:3], s32 offset:836 ; 4-byte Folded Spill
	buffer_store_dword v0, off, s[0:3], s32 offset:808 ; 4-byte Folded Spill
	s_branch .LBB187_12
.LBB187_10:                             ;   in Loop: Header=BB187_12 Depth=1
	s_or_b32 exec_lo, exec_lo, s20
.LBB187_11:                             ;   in Loop: Header=BB187_12 Depth=1
	s_or_b32 exec_lo, exec_lo, s7
	buffer_load_dword v0, off, s[0:3], s32 offset:192 ; 4-byte Folded Reload
	v_add_nc_u32_e32 v91, 4, v91
	v_add_co_u32 v112, s7, v112, 16
	v_add_nc_u32_e32 v20, 64, v20
	v_add_nc_u32_e32 v9, 0x100, v9
	v_add_co_ci_u32_e64 v113, null, 0, v113, s7
	s_waitcnt vmcnt(0)
	v_cmp_ge_i32_e64 s6, v91, v0
	s_or_b32 s19, s6, s19
	s_andn2_b32 exec_lo, exec_lo, s19
	s_cbranch_execz .LBB187_787
.LBB187_12:                             ; =>This Inner Loop Header: Depth=1
	buffer_load_dword v0, off, s[0:3], s32 offset:208 ; 4-byte Folded Reload
	s_waitcnt vmcnt(0)
	v_mul_hi_u32 v0, v20, v0
	s_waitcnt lgkmcnt(0)
	v_mul_lo_u32 v1, v0, v47
	v_add_nc_u32_e32 v2, 1, v0
	v_sub_nc_u32_e32 v1, v20, v1
	v_sub_nc_u32_e32 v3, v1, v47
	v_cmp_ge_u32_e64 s6, v1, v47
	v_cndmask_b32_e64 v1, v1, v3, s6
	v_cndmask_b32_e64 v0, v0, v2, s6
	v_cmp_ge_u32_e64 s6, v1, v47
	buffer_load_dword v1, off, s[0:3], s32 offset:204 ; 4-byte Folded Reload
	v_add_nc_u32_e32 v2, 1, v0
	v_cndmask_b32_e64 v0, v0, v2, s6
	s_waitcnt vmcnt(0)
	v_xor_b32_e32 v0, v0, v1
	v_sub_nc_u32_e32 v0, v0, v1
	s_clause 0x3
	buffer_load_dword v1, off, s[0:3], s32 offset:196
	buffer_load_dword v2, off, s[0:3], s32 offset:200
	;; [unrolled: 1-line block ×4, first 2 shown]
	s_waitcnt vmcnt(3)
	v_add_nc_u32_e32 v1, v0, v1
	s_waitcnt vmcnt(2)
	v_sub_nc_u32_e32 v2, 0, v1
	v_max_i32_e32 v2, v1, v2
	v_ashrrev_i32_e32 v1, 31, v1
	s_waitcnt vmcnt(1)
	v_mul_hi_u32 v3, v2, v3
	s_waitcnt vmcnt(0)
	v_mul_lo_u32 v3, v3, v4
	v_sub_nc_u32_e32 v2, v2, v3
	v_sub_nc_u32_e32 v3, v2, v4
	v_cmp_ge_u32_e64 s6, v2, v4
	v_cndmask_b32_e64 v2, v2, v3, s6
	v_sub_nc_u32_e32 v3, v2, v4
	v_cmp_ge_u32_e64 s6, v2, v4
	v_cndmask_b32_e64 v2, v2, v3, s6
	v_xor_b32_e32 v2, v2, v1
	v_sub_nc_u32_e32 v1, v2, v1
	v_cmp_ne_u32_e64 s6, 0, v1
	buffer_load_dword v1, off, s[0:3], s32 offset:212 ; 4-byte Folded Reload
	s_waitcnt vmcnt(0)
	v_cmp_le_i32_e64 s7, v0, v1
	s_and_b32 s6, s6, s7
	s_and_saveexec_b32 s7, s6
	s_xor_b32 s6, exec_lo, s7
	s_cbranch_execz .LBB187_16
; %bb.13:                               ;   in Loop: Header=BB187_12 Depth=1
	s_and_saveexec_b32 s7, vcc_lo
	s_cbranch_execz .LBB187_15
; %bb.14:                               ;   in Loop: Header=BB187_12 Depth=1
	s_waitcnt lgkmcnt(0)
	v_add_nc_u32_e32 v0, s17, v9
	v_mov_b32_e32 v1, 0xff7fffff
	ds_write_b32 v0, v1
.LBB187_15:                             ;   in Loop: Header=BB187_12 Depth=1
	s_or_b32 exec_lo, exec_lo, s7
.LBB187_16:                             ;   in Loop: Header=BB187_12 Depth=1
	s_andn2_saveexec_b32 s7, s6
	s_cbranch_execz .LBB187_11
; %bb.17:                               ;   in Loop: Header=BB187_12 Depth=1
	flat_load_dword v0, v[112:113]
	s_clause 0x2
	buffer_load_dword v1, off, s[0:3], s32 offset:580
	buffer_load_dword v2, off, s[0:3], s32 offset:812
	;; [unrolled: 1-line block ×3, first 2 shown]
	v_mov_b32_e32 v76, 0
	v_mov_b32_e32 v77, 0
	s_waitcnt vmcnt(0) lgkmcnt(0)
	v_mad_i64_i32 v[88:89], null, v0, v1, v[2:3]
	v_add_co_u32 v58, s6, v88, v26
	v_add_co_ci_u32_e64 v59, null, 0, v89, s6
	flat_load_ushort v1, v[58:59]
	s_clause 0x1
	buffer_load_dword v2, off, s[0:3], s32 offset:800
	buffer_load_dword v3, off, s[0:3], s32 offset:804
	s_waitcnt vmcnt(2) lgkmcnt(0)
	v_and_b32_e32 v0, 0xffff, v1
	s_waitcnt vmcnt(0)
	flat_load_dword v74, v[2:3]
	ds_read_b128 v[2:5], v6
	v_cmp_ne_u16_sdwa s6, v1, v25 src0_sel:BYTE_0 src1_sel:DWORD
	s_waitcnt lgkmcnt(0)
	buffer_store_dword v2, off, s[0:3], s32 offset:776 ; 4-byte Folded Spill
	buffer_store_dword v3, off, s[0:3], s32 offset:780 ; 4-byte Folded Spill
	buffer_store_dword v4, off, s[0:3], s32 offset:784 ; 4-byte Folded Spill
	buffer_store_dword v5, off, s[0:3], s32 offset:788 ; 4-byte Folded Spill
	ds_read_b128 v[2:5], v6 offset:16
	s_waitcnt lgkmcnt(0)
	buffer_store_dword v2, off, s[0:3], s32 offset:744 ; 4-byte Folded Spill
	buffer_store_dword v3, off, s[0:3], s32 offset:748 ; 4-byte Folded Spill
	buffer_store_dword v4, off, s[0:3], s32 offset:752 ; 4-byte Folded Spill
	buffer_store_dword v5, off, s[0:3], s32 offset:756 ; 4-byte Folded Spill
	ds_read_b128 v[2:5], v6 offset:32
	;; [unrolled: 6-line block ×7, first 2 shown]
	s_waitcnt lgkmcnt(0)
	buffer_store_dword v2, off, s[0:3], s32 offset:648 ; 4-byte Folded Spill
	buffer_store_dword v3, off, s[0:3], s32 offset:652 ; 4-byte Folded Spill
	;; [unrolled: 1-line block ×4, first 2 shown]
	ds_read_b64 v[2:3], v6 offset:192
	s_waitcnt lgkmcnt(0)
	buffer_store_dword v2, off, s[0:3], s32 offset:592 ; 4-byte Folded Spill
	buffer_store_dword v3, off, s[0:3], s32 offset:596 ; 4-byte Folded Spill
	ds_read_b128 v[2:5], v6 offset:128
	s_waitcnt lgkmcnt(0)
	buffer_store_dword v2, off, s[0:3], s32 offset:664 ; 4-byte Folded Spill
	buffer_store_dword v3, off, s[0:3], s32 offset:668 ; 4-byte Folded Spill
	buffer_store_dword v4, off, s[0:3], s32 offset:672 ; 4-byte Folded Spill
	buffer_store_dword v5, off, s[0:3], s32 offset:676 ; 4-byte Folded Spill
	ds_read_b128 v[2:5], v6 offset:144
	s_waitcnt lgkmcnt(0)
	buffer_store_dword v2, off, s[0:3], s32 offset:632 ; 4-byte Folded Spill
	buffer_store_dword v3, off, s[0:3], s32 offset:636 ; 4-byte Folded Spill
	;; [unrolled: 6-line block ×4, first 2 shown]
	buffer_store_dword v4, off, s[0:3], s32 offset:608 ; 4-byte Folded Spill
	buffer_store_dword v5, off, s[0:3], s32 offset:612 ; 4-byte Folded Spill
	v_mov_b32_e32 v2, 0
	v_mov_b32_e32 v3, 0
	buffer_store_dword v2, off, s[0:3], s32 offset:228 ; 4-byte Folded Spill
	buffer_store_dword v3, off, s[0:3], s32 offset:232 ; 4-byte Folded Spill
	s_and_saveexec_b32 s20, s6
	s_cbranch_execz .LBB187_25
; %bb.18:                               ;   in Loop: Header=BB187_12 Depth=1
	v_bfrev_b32_e32 v76, 1
	v_mov_b32_e32 v77, 0
	v_cmp_ne_u16_sdwa s6, v0, v90 src0_sel:BYTE_0 src1_sel:DWORD
	s_and_saveexec_b32 s21, s6
	s_cbranch_execz .LBB187_24
; %bb.19:                               ;   in Loop: Header=BB187_12 Depth=1
	v_mov_b32_e32 v76, 0x7f800001
	v_and_b32_e32 v2, 0x7f, v0
	v_mov_b32_e32 v77, 0
	s_mov_b32 s22, exec_lo
	v_cmpx_ne_u32_e32 0x7f, v2
	s_cbranch_execz .LBB187_23
; %bb.20:                               ;   in Loop: Header=BB187_12 Depth=1
	v_and_b32_e32 v24, 7, v0
	v_lshrrev_b32_e32 v1, 3, v2
	s_mov_b32 s23, exec_lo
	v_cmpx_gt_u32_e32 8, v2
; %bb.21:                               ;   in Loop: Header=BB187_12 Depth=1
	v_ffbh_u32_e32 v1, v24
	v_min_u32_e32 v1, 32, v1
	v_subrev_nc_u32_e32 v2, 28, v1
	v_sub_nc_u32_e32 v1, 29, v1
	v_lshlrev_b64 v[2:3], v2, v[24:25]
	v_and_b32_e32 v24, 7, v2
; %bb.22:                               ;   in Loop: Header=BB187_12 Depth=1
	s_or_b32 exec_lo, exec_lo, s23
	v_lshlrev_b32_e32 v2, 24, v0
	v_lshlrev_b32_e32 v3, 20, v24
	v_lshl_add_u32 v1, v1, 23, 0x3c000000
	v_and_b32_e32 v2, 0x80000000, v2
	v_or3_b32 v24, v3, v2, v1
	v_mov_b32_e32 v77, v25
	v_mov_b32_e32 v76, v24
.LBB187_23:                             ;   in Loop: Header=BB187_12 Depth=1
	s_or_b32 exec_lo, exec_lo, s22
.LBB187_24:                             ;   in Loop: Header=BB187_12 Depth=1
	s_or_b32 exec_lo, exec_lo, s21
.LBB187_25:                             ;   in Loop: Header=BB187_12 Depth=1
	s_or_b32 exec_lo, exec_lo, s20
	v_cmp_ne_u16_sdwa s6, v0, v25 src0_sel:BYTE_1 src1_sel:DWORD
	s_and_saveexec_b32 s20, s6
	s_cbranch_execz .LBB187_33
; %bb.26:                               ;   in Loop: Header=BB187_12 Depth=1
	v_mov_b32_e32 v114, v25
	v_cmp_ne_u16_sdwa s6, v0, v90 src0_sel:BYTE_1 src1_sel:DWORD
	buffer_store_dword v114, off, s[0:3], s32 offset:228 ; 4-byte Folded Spill
	buffer_store_dword v115, off, s[0:3], s32 offset:232 ; 4-byte Folded Spill
	s_and_saveexec_b32 s21, s6
	s_cbranch_execz .LBB187_32
; %bb.27:                               ;   in Loop: Header=BB187_12 Depth=1
	v_mov_b32_e32 v1, 0xffff
	v_mov_b32_e32 v72, v25
	s_mov_b32 s22, exec_lo
	buffer_store_dword v72, off, s[0:3], s32 offset:228 ; 4-byte Folded Spill
	buffer_store_dword v73, off, s[0:3], s32 offset:232 ; 4-byte Folded Spill
	v_and_b32_sdwa v1, v1, v0 dst_sel:DWORD dst_unused:UNUSED_PAD src0_sel:DWORD src1_sel:BYTE_1
	v_and_b32_e32 v2, 0x7f, v1
	v_cmpx_ne_u32_e32 0x7f, v2
	s_cbranch_execz .LBB187_31
; %bb.28:                               ;   in Loop: Header=BB187_12 Depth=1
	v_and_b32_e32 v24, 7, v1
	v_lshrrev_b32_e32 v1, 3, v2
	s_mov_b32 s23, exec_lo
	v_cmpx_gt_u32_e32 8, v2
; %bb.29:                               ;   in Loop: Header=BB187_12 Depth=1
	v_ffbh_u32_e32 v1, v24
	v_min_u32_e32 v1, 32, v1
	v_subrev_nc_u32_e32 v2, 28, v1
	v_sub_nc_u32_e32 v1, 29, v1
	v_lshlrev_b64 v[2:3], v2, v[24:25]
	v_and_b32_e32 v24, 7, v2
; %bb.30:                               ;   in Loop: Header=BB187_12 Depth=1
	s_or_b32 exec_lo, exec_lo, s23
	v_lshlrev_b32_e32 v0, 16, v0
	v_lshlrev_b32_e32 v2, 20, v24
	v_lshl_add_u32 v1, v1, 23, 0x3c000000
	v_and_b32_e32 v0, 0x80000000, v0
	v_or3_b32 v1, v2, v0, v1
	v_mov_b32_e32 v0, v25
	buffer_store_dword v0, off, s[0:3], s32 offset:228 ; 4-byte Folded Spill
	buffer_store_dword v1, off, s[0:3], s32 offset:232 ; 4-byte Folded Spill
.LBB187_31:                             ;   in Loop: Header=BB187_12 Depth=1
	s_or_b32 exec_lo, exec_lo, s22
.LBB187_32:                             ;   in Loop: Header=BB187_12 Depth=1
	s_or_b32 exec_lo, exec_lo, s21
.LBB187_33:                             ;   in Loop: Header=BB187_12 Depth=1
	s_or_b32 exec_lo, exec_lo, s20
	flat_load_ushort v1, v[58:59] offset:4
	v_mov_b32_e32 v2, 0
	v_mov_b32_e32 v3, 0
	buffer_store_dword v2, off, s[0:3], s32 offset:244 ; 4-byte Folded Spill
	buffer_store_dword v3, off, s[0:3], s32 offset:248 ; 4-byte Folded Spill
	v_mov_b32_e32 v2, 0
	v_mov_b32_e32 v3, 0
	buffer_store_dword v2, off, s[0:3], s32 offset:236 ; 4-byte Folded Spill
	buffer_store_dword v3, off, s[0:3], s32 offset:240 ; 4-byte Folded Spill
	s_waitcnt vmcnt(0) lgkmcnt(0)
	v_and_b32_e32 v0, 0xffff, v1
	v_cmp_ne_u16_sdwa s6, v1, v25 src0_sel:BYTE_0 src1_sel:DWORD
	s_and_saveexec_b32 s20, s6
	s_cbranch_execz .LBB187_41
; %bb.34:                               ;   in Loop: Header=BB187_12 Depth=1
	v_bfrev_b32_e32 v1, 1
	v_mov_b32_e32 v2, 0
	v_cmp_ne_u16_sdwa s6, v0, v90 src0_sel:BYTE_0 src1_sel:DWORD
	buffer_store_dword v1, off, s[0:3], s32 offset:236 ; 4-byte Folded Spill
	buffer_store_dword v2, off, s[0:3], s32 offset:240 ; 4-byte Folded Spill
	s_and_saveexec_b32 s21, s6
	s_cbranch_execz .LBB187_40
; %bb.35:                               ;   in Loop: Header=BB187_12 Depth=1
	v_mov_b32_e32 v3, 0x7f800001
	v_and_b32_e32 v2, 0x7f, v0
	v_mov_b32_e32 v4, 0
	s_mov_b32 s22, exec_lo
	buffer_store_dword v3, off, s[0:3], s32 offset:236 ; 4-byte Folded Spill
	buffer_store_dword v4, off, s[0:3], s32 offset:240 ; 4-byte Folded Spill
	v_cmpx_ne_u32_e32 0x7f, v2
	s_cbranch_execz .LBB187_39
; %bb.36:                               ;   in Loop: Header=BB187_12 Depth=1
	v_and_b32_e32 v24, 7, v0
	v_lshrrev_b32_e32 v1, 3, v2
	s_mov_b32 s23, exec_lo
	v_cmpx_gt_u32_e32 8, v2
; %bb.37:                               ;   in Loop: Header=BB187_12 Depth=1
	v_ffbh_u32_e32 v1, v24
	v_min_u32_e32 v1, 32, v1
	v_subrev_nc_u32_e32 v2, 28, v1
	v_sub_nc_u32_e32 v1, 29, v1
	v_lshlrev_b64 v[2:3], v2, v[24:25]
	v_and_b32_e32 v24, 7, v2
; %bb.38:                               ;   in Loop: Header=BB187_12 Depth=1
	s_or_b32 exec_lo, exec_lo, s23
	v_lshlrev_b32_e32 v2, 24, v0
	v_lshlrev_b32_e32 v3, 20, v24
	v_lshl_add_u32 v1, v1, 23, 0x3c000000
	v_and_b32_e32 v2, 0x80000000, v2
	v_or3_b32 v24, v3, v2, v1
	buffer_store_dword v24, off, s[0:3], s32 offset:236 ; 4-byte Folded Spill
	buffer_store_dword v25, off, s[0:3], s32 offset:240 ; 4-byte Folded Spill
.LBB187_39:                             ;   in Loop: Header=BB187_12 Depth=1
	s_or_b32 exec_lo, exec_lo, s22
.LBB187_40:                             ;   in Loop: Header=BB187_12 Depth=1
	s_or_b32 exec_lo, exec_lo, s21
.LBB187_41:                             ;   in Loop: Header=BB187_12 Depth=1
	s_or_b32 exec_lo, exec_lo, s20
	v_cmp_ne_u16_sdwa s6, v0, v25 src0_sel:BYTE_1 src1_sel:DWORD
	s_and_saveexec_b32 s20, s6
	s_cbranch_execz .LBB187_49
; %bb.42:                               ;   in Loop: Header=BB187_12 Depth=1
	v_mov_b32_e32 v114, v25
	v_cmp_ne_u16_sdwa s6, v0, v90 src0_sel:BYTE_1 src1_sel:DWORD
	buffer_store_dword v114, off, s[0:3], s32 offset:244 ; 4-byte Folded Spill
	buffer_store_dword v115, off, s[0:3], s32 offset:248 ; 4-byte Folded Spill
	s_and_saveexec_b32 s21, s6
	s_cbranch_execz .LBB187_48
; %bb.43:                               ;   in Loop: Header=BB187_12 Depth=1
	v_mov_b32_e32 v1, 0xffff
	v_mov_b32_e32 v72, v25
	s_mov_b32 s22, exec_lo
	buffer_store_dword v72, off, s[0:3], s32 offset:244 ; 4-byte Folded Spill
	buffer_store_dword v73, off, s[0:3], s32 offset:248 ; 4-byte Folded Spill
	v_and_b32_sdwa v1, v1, v0 dst_sel:DWORD dst_unused:UNUSED_PAD src0_sel:DWORD src1_sel:BYTE_1
	v_and_b32_e32 v2, 0x7f, v1
	v_cmpx_ne_u32_e32 0x7f, v2
	s_cbranch_execz .LBB187_47
; %bb.44:                               ;   in Loop: Header=BB187_12 Depth=1
	v_and_b32_e32 v24, 7, v1
	v_lshrrev_b32_e32 v1, 3, v2
	s_mov_b32 s23, exec_lo
	v_cmpx_gt_u32_e32 8, v2
; %bb.45:                               ;   in Loop: Header=BB187_12 Depth=1
	v_ffbh_u32_e32 v1, v24
	v_min_u32_e32 v1, 32, v1
	v_subrev_nc_u32_e32 v2, 28, v1
	v_sub_nc_u32_e32 v1, 29, v1
	v_lshlrev_b64 v[2:3], v2, v[24:25]
	v_and_b32_e32 v24, 7, v2
; %bb.46:                               ;   in Loop: Header=BB187_12 Depth=1
	s_or_b32 exec_lo, exec_lo, s23
	v_lshlrev_b32_e32 v0, 16, v0
	v_lshlrev_b32_e32 v2, 20, v24
	v_lshl_add_u32 v1, v1, 23, 0x3c000000
	v_and_b32_e32 v0, 0x80000000, v0
	v_or3_b32 v1, v2, v0, v1
	v_mov_b32_e32 v0, v25
	buffer_store_dword v0, off, s[0:3], s32 offset:244 ; 4-byte Folded Spill
	buffer_store_dword v1, off, s[0:3], s32 offset:248 ; 4-byte Folded Spill
.LBB187_47:                             ;   in Loop: Header=BB187_12 Depth=1
	s_or_b32 exec_lo, exec_lo, s22
.LBB187_48:                             ;   in Loop: Header=BB187_12 Depth=1
	s_or_b32 exec_lo, exec_lo, s21
.LBB187_49:                             ;   in Loop: Header=BB187_12 Depth=1
	s_or_b32 exec_lo, exec_lo, s20
	flat_load_ushort v1, v[58:59] offset:8
	v_mov_b32_e32 v106, 0
	v_mov_b32_e32 v92, 0
	;; [unrolled: 1-line block ×4, first 2 shown]
	s_waitcnt vmcnt(0) lgkmcnt(0)
	v_and_b32_e32 v0, 0xffff, v1
	v_cmp_ne_u16_sdwa s6, v1, v25 src0_sel:BYTE_0 src1_sel:DWORD
	s_and_saveexec_b32 s20, s6
	s_cbranch_execz .LBB187_57
; %bb.50:                               ;   in Loop: Header=BB187_12 Depth=1
	v_bfrev_b32_e32 v92, 1
	v_mov_b32_e32 v93, 0
	v_cmp_ne_u16_sdwa s6, v0, v90 src0_sel:BYTE_0 src1_sel:DWORD
	s_and_saveexec_b32 s21, s6
	s_cbranch_execz .LBB187_56
; %bb.51:                               ;   in Loop: Header=BB187_12 Depth=1
	v_mov_b32_e32 v92, 0x7f800001
	v_and_b32_e32 v2, 0x7f, v0
	v_mov_b32_e32 v93, 0
	s_mov_b32 s22, exec_lo
	v_cmpx_ne_u32_e32 0x7f, v2
	s_cbranch_execz .LBB187_55
; %bb.52:                               ;   in Loop: Header=BB187_12 Depth=1
	v_and_b32_e32 v24, 7, v0
	v_lshrrev_b32_e32 v1, 3, v2
	s_mov_b32 s23, exec_lo
	v_cmpx_gt_u32_e32 8, v2
; %bb.53:                               ;   in Loop: Header=BB187_12 Depth=1
	v_ffbh_u32_e32 v1, v24
	v_min_u32_e32 v1, 32, v1
	v_subrev_nc_u32_e32 v2, 28, v1
	v_sub_nc_u32_e32 v1, 29, v1
	v_lshlrev_b64 v[2:3], v2, v[24:25]
	v_and_b32_e32 v24, 7, v2
; %bb.54:                               ;   in Loop: Header=BB187_12 Depth=1
	s_or_b32 exec_lo, exec_lo, s23
	v_lshlrev_b32_e32 v2, 24, v0
	v_lshlrev_b32_e32 v3, 20, v24
	v_lshl_add_u32 v1, v1, 23, 0x3c000000
	v_and_b32_e32 v2, 0x80000000, v2
	v_or3_b32 v24, v3, v2, v1
	v_mov_b32_e32 v93, v25
	v_mov_b32_e32 v92, v24
.LBB187_55:                             ;   in Loop: Header=BB187_12 Depth=1
	s_or_b32 exec_lo, exec_lo, s22
.LBB187_56:                             ;   in Loop: Header=BB187_12 Depth=1
	s_or_b32 exec_lo, exec_lo, s21
.LBB187_57:                             ;   in Loop: Header=BB187_12 Depth=1
	s_or_b32 exec_lo, exec_lo, s20
	v_cmp_ne_u16_sdwa s6, v0, v25 src0_sel:BYTE_1 src1_sel:DWORD
	s_and_saveexec_b32 s20, s6
	s_cbranch_execz .LBB187_65
; %bb.58:                               ;   in Loop: Header=BB187_12 Depth=1
	v_mov_b32_e32 v114, v25
	v_cmp_ne_u16_sdwa s6, v0, v90 src0_sel:BYTE_1 src1_sel:DWORD
	v_mov_b32_e32 v106, v114
	v_mov_b32_e32 v107, v115
	s_and_saveexec_b32 s21, s6
	s_cbranch_execz .LBB187_64
; %bb.59:                               ;   in Loop: Header=BB187_12 Depth=1
	v_mov_b32_e32 v1, 0xffff
	v_mov_b32_e32 v72, v25
	;; [unrolled: 1-line block ×3, first 2 shown]
	s_mov_b32 s22, exec_lo
	v_and_b32_sdwa v1, v1, v0 dst_sel:DWORD dst_unused:UNUSED_PAD src0_sel:DWORD src1_sel:BYTE_1
	v_mov_b32_e32 v106, v72
	v_and_b32_e32 v2, 0x7f, v1
	v_cmpx_ne_u32_e32 0x7f, v2
	s_cbranch_execz .LBB187_63
; %bb.60:                               ;   in Loop: Header=BB187_12 Depth=1
	v_and_b32_e32 v24, 7, v1
	v_lshrrev_b32_e32 v1, 3, v2
	s_mov_b32 s23, exec_lo
	v_cmpx_gt_u32_e32 8, v2
; %bb.61:                               ;   in Loop: Header=BB187_12 Depth=1
	v_ffbh_u32_e32 v1, v24
	v_min_u32_e32 v1, 32, v1
	v_subrev_nc_u32_e32 v2, 28, v1
	v_sub_nc_u32_e32 v1, 29, v1
	v_lshlrev_b64 v[2:3], v2, v[24:25]
	v_and_b32_e32 v24, 7, v2
; %bb.62:                               ;   in Loop: Header=BB187_12 Depth=1
	s_or_b32 exec_lo, exec_lo, s23
	v_lshlrev_b32_e32 v0, 16, v0
	v_lshlrev_b32_e32 v2, 20, v24
	v_lshl_add_u32 v1, v1, 23, 0x3c000000
	v_mov_b32_e32 v106, v25
	v_and_b32_e32 v0, 0x80000000, v0
	v_or3_b32 v107, v2, v0, v1
.LBB187_63:                             ;   in Loop: Header=BB187_12 Depth=1
	s_or_b32 exec_lo, exec_lo, s22
.LBB187_64:                             ;   in Loop: Header=BB187_12 Depth=1
	s_or_b32 exec_lo, exec_lo, s21
.LBB187_65:                             ;   in Loop: Header=BB187_12 Depth=1
	s_or_b32 exec_lo, exec_lo, s20
	flat_load_ushort v1, v[58:59] offset:12
	v_mov_b32_e32 v2, 0
	v_mov_b32_e32 v104, 0
	;; [unrolled: 1-line block ×4, first 2 shown]
	buffer_store_dword v2, off, s[0:3], s32 offset:252 ; 4-byte Folded Spill
	buffer_store_dword v3, off, s[0:3], s32 offset:256 ; 4-byte Folded Spill
	s_waitcnt vmcnt(0) lgkmcnt(0)
	v_and_b32_e32 v0, 0xffff, v1
	v_cmp_ne_u16_sdwa s6, v1, v25 src0_sel:BYTE_0 src1_sel:DWORD
	s_and_saveexec_b32 s20, s6
	s_cbranch_execz .LBB187_73
; %bb.66:                               ;   in Loop: Header=BB187_12 Depth=1
	v_bfrev_b32_e32 v104, 1
	v_mov_b32_e32 v105, 0
	v_cmp_ne_u16_sdwa s6, v0, v90 src0_sel:BYTE_0 src1_sel:DWORD
	s_and_saveexec_b32 s21, s6
	s_cbranch_execz .LBB187_72
; %bb.67:                               ;   in Loop: Header=BB187_12 Depth=1
	v_mov_b32_e32 v104, 0x7f800001
	v_and_b32_e32 v2, 0x7f, v0
	v_mov_b32_e32 v105, 0
	s_mov_b32 s22, exec_lo
	v_cmpx_ne_u32_e32 0x7f, v2
	s_cbranch_execz .LBB187_71
; %bb.68:                               ;   in Loop: Header=BB187_12 Depth=1
	v_and_b32_e32 v24, 7, v0
	v_lshrrev_b32_e32 v1, 3, v2
	s_mov_b32 s23, exec_lo
	v_cmpx_gt_u32_e32 8, v2
; %bb.69:                               ;   in Loop: Header=BB187_12 Depth=1
	v_ffbh_u32_e32 v1, v24
	v_min_u32_e32 v1, 32, v1
	v_subrev_nc_u32_e32 v2, 28, v1
	v_sub_nc_u32_e32 v1, 29, v1
	v_lshlrev_b64 v[2:3], v2, v[24:25]
	v_and_b32_e32 v24, 7, v2
; %bb.70:                               ;   in Loop: Header=BB187_12 Depth=1
	s_or_b32 exec_lo, exec_lo, s23
	v_lshlrev_b32_e32 v2, 24, v0
	v_lshlrev_b32_e32 v3, 20, v24
	v_lshl_add_u32 v1, v1, 23, 0x3c000000
	v_and_b32_e32 v2, 0x80000000, v2
	v_or3_b32 v24, v3, v2, v1
	v_mov_b32_e32 v105, v25
	v_mov_b32_e32 v104, v24
.LBB187_71:                             ;   in Loop: Header=BB187_12 Depth=1
	s_or_b32 exec_lo, exec_lo, s22
.LBB187_72:                             ;   in Loop: Header=BB187_12 Depth=1
	s_or_b32 exec_lo, exec_lo, s21
.LBB187_73:                             ;   in Loop: Header=BB187_12 Depth=1
	s_or_b32 exec_lo, exec_lo, s20
	v_cmp_ne_u16_sdwa s6, v0, v25 src0_sel:BYTE_1 src1_sel:DWORD
	s_and_saveexec_b32 s20, s6
	s_cbranch_execz .LBB187_81
; %bb.74:                               ;   in Loop: Header=BB187_12 Depth=1
	v_mov_b32_e32 v114, v25
	v_cmp_ne_u16_sdwa s6, v0, v90 src0_sel:BYTE_1 src1_sel:DWORD
	buffer_store_dword v114, off, s[0:3], s32 offset:252 ; 4-byte Folded Spill
	buffer_store_dword v115, off, s[0:3], s32 offset:256 ; 4-byte Folded Spill
	s_and_saveexec_b32 s21, s6
	s_cbranch_execz .LBB187_80
; %bb.75:                               ;   in Loop: Header=BB187_12 Depth=1
	v_mov_b32_e32 v1, 0xffff
	v_mov_b32_e32 v72, v25
	s_mov_b32 s22, exec_lo
	buffer_store_dword v72, off, s[0:3], s32 offset:252 ; 4-byte Folded Spill
	buffer_store_dword v73, off, s[0:3], s32 offset:256 ; 4-byte Folded Spill
	v_and_b32_sdwa v1, v1, v0 dst_sel:DWORD dst_unused:UNUSED_PAD src0_sel:DWORD src1_sel:BYTE_1
	v_and_b32_e32 v2, 0x7f, v1
	v_cmpx_ne_u32_e32 0x7f, v2
	s_cbranch_execz .LBB187_79
; %bb.76:                               ;   in Loop: Header=BB187_12 Depth=1
	v_and_b32_e32 v24, 7, v1
	v_lshrrev_b32_e32 v1, 3, v2
	s_mov_b32 s23, exec_lo
	v_cmpx_gt_u32_e32 8, v2
; %bb.77:                               ;   in Loop: Header=BB187_12 Depth=1
	v_ffbh_u32_e32 v1, v24
	v_min_u32_e32 v1, 32, v1
	v_subrev_nc_u32_e32 v2, 28, v1
	v_sub_nc_u32_e32 v1, 29, v1
	v_lshlrev_b64 v[2:3], v2, v[24:25]
	v_and_b32_e32 v24, 7, v2
; %bb.78:                               ;   in Loop: Header=BB187_12 Depth=1
	s_or_b32 exec_lo, exec_lo, s23
	v_lshlrev_b32_e32 v0, 16, v0
	v_lshlrev_b32_e32 v2, 20, v24
	v_lshl_add_u32 v1, v1, 23, 0x3c000000
	v_and_b32_e32 v0, 0x80000000, v0
	v_or3_b32 v1, v2, v0, v1
	v_mov_b32_e32 v0, v25
	buffer_store_dword v0, off, s[0:3], s32 offset:252 ; 4-byte Folded Spill
	buffer_store_dword v1, off, s[0:3], s32 offset:256 ; 4-byte Folded Spill
.LBB187_79:                             ;   in Loop: Header=BB187_12 Depth=1
	s_or_b32 exec_lo, exec_lo, s22
.LBB187_80:                             ;   in Loop: Header=BB187_12 Depth=1
	s_or_b32 exec_lo, exec_lo, s21
.LBB187_81:                             ;   in Loop: Header=BB187_12 Depth=1
	s_or_b32 exec_lo, exec_lo, s20
	flat_load_ushort v1, v[58:59] offset:256
	s_waitcnt vmcnt(0) lgkmcnt(0)
	v_and_b32_e32 v0, 0xffff, v1
	v_cmp_ne_u16_sdwa s6, v1, v25 src0_sel:BYTE_0 src1_sel:DWORD
	v_mov_b32_e32 v1, 0
	v_mov_b32_e32 v2, 0
	buffer_store_dword v1, off, s[0:3], s32 offset:268 ; 4-byte Folded Spill
	buffer_store_dword v2, off, s[0:3], s32 offset:272 ; 4-byte Folded Spill
	v_mov_b32_e32 v1, 0
	v_mov_b32_e32 v2, 0
	buffer_store_dword v1, off, s[0:3], s32 offset:260 ; 4-byte Folded Spill
	buffer_store_dword v2, off, s[0:3], s32 offset:264 ; 4-byte Folded Spill
	s_and_saveexec_b32 s20, s6
	s_cbranch_execz .LBB187_89
; %bb.82:                               ;   in Loop: Header=BB187_12 Depth=1
	v_bfrev_b32_e32 v1, 1
	v_mov_b32_e32 v2, 0
	v_cmp_ne_u16_sdwa s6, v0, v90 src0_sel:BYTE_0 src1_sel:DWORD
	buffer_store_dword v1, off, s[0:3], s32 offset:260 ; 4-byte Folded Spill
	buffer_store_dword v2, off, s[0:3], s32 offset:264 ; 4-byte Folded Spill
	s_and_saveexec_b32 s21, s6
	s_cbranch_execz .LBB187_88
; %bb.83:                               ;   in Loop: Header=BB187_12 Depth=1
	v_mov_b32_e32 v3, 0x7f800001
	v_and_b32_e32 v2, 0x7f, v0
	v_mov_b32_e32 v4, 0
	s_mov_b32 s22, exec_lo
	buffer_store_dword v3, off, s[0:3], s32 offset:260 ; 4-byte Folded Spill
	buffer_store_dword v4, off, s[0:3], s32 offset:264 ; 4-byte Folded Spill
	v_cmpx_ne_u32_e32 0x7f, v2
	s_cbranch_execz .LBB187_87
; %bb.84:                               ;   in Loop: Header=BB187_12 Depth=1
	v_and_b32_e32 v24, 7, v0
	v_lshrrev_b32_e32 v1, 3, v2
	s_mov_b32 s23, exec_lo
	v_cmpx_gt_u32_e32 8, v2
; %bb.85:                               ;   in Loop: Header=BB187_12 Depth=1
	v_ffbh_u32_e32 v1, v24
	v_min_u32_e32 v1, 32, v1
	v_subrev_nc_u32_e32 v2, 28, v1
	v_sub_nc_u32_e32 v1, 29, v1
	v_lshlrev_b64 v[2:3], v2, v[24:25]
	v_and_b32_e32 v24, 7, v2
; %bb.86:                               ;   in Loop: Header=BB187_12 Depth=1
	s_or_b32 exec_lo, exec_lo, s23
	v_lshlrev_b32_e32 v2, 24, v0
	v_lshlrev_b32_e32 v3, 20, v24
	v_lshl_add_u32 v1, v1, 23, 0x3c000000
	v_and_b32_e32 v2, 0x80000000, v2
	v_or3_b32 v24, v3, v2, v1
	buffer_store_dword v24, off, s[0:3], s32 offset:260 ; 4-byte Folded Spill
	buffer_store_dword v25, off, s[0:3], s32 offset:264 ; 4-byte Folded Spill
.LBB187_87:                             ;   in Loop: Header=BB187_12 Depth=1
	s_or_b32 exec_lo, exec_lo, s22
.LBB187_88:                             ;   in Loop: Header=BB187_12 Depth=1
	s_or_b32 exec_lo, exec_lo, s21
.LBB187_89:                             ;   in Loop: Header=BB187_12 Depth=1
	s_or_b32 exec_lo, exec_lo, s20
	v_cmp_ne_u16_sdwa s6, v0, v25 src0_sel:BYTE_1 src1_sel:DWORD
	s_and_saveexec_b32 s20, s6
	s_cbranch_execz .LBB187_97
; %bb.90:                               ;   in Loop: Header=BB187_12 Depth=1
	v_mov_b32_e32 v114, v25
	v_cmp_ne_u16_sdwa s6, v0, v90 src0_sel:BYTE_1 src1_sel:DWORD
	buffer_store_dword v114, off, s[0:3], s32 offset:268 ; 4-byte Folded Spill
	buffer_store_dword v115, off, s[0:3], s32 offset:272 ; 4-byte Folded Spill
	s_and_saveexec_b32 s21, s6
	s_cbranch_execz .LBB187_96
; %bb.91:                               ;   in Loop: Header=BB187_12 Depth=1
	v_mov_b32_e32 v1, 0xffff
	v_mov_b32_e32 v72, v25
	s_mov_b32 s22, exec_lo
	buffer_store_dword v72, off, s[0:3], s32 offset:268 ; 4-byte Folded Spill
	buffer_store_dword v73, off, s[0:3], s32 offset:272 ; 4-byte Folded Spill
	v_and_b32_sdwa v1, v1, v0 dst_sel:DWORD dst_unused:UNUSED_PAD src0_sel:DWORD src1_sel:BYTE_1
	v_and_b32_e32 v2, 0x7f, v1
	v_cmpx_ne_u32_e32 0x7f, v2
	s_cbranch_execz .LBB187_95
; %bb.92:                               ;   in Loop: Header=BB187_12 Depth=1
	v_and_b32_e32 v24, 7, v1
	v_lshrrev_b32_e32 v1, 3, v2
	s_mov_b32 s23, exec_lo
	v_cmpx_gt_u32_e32 8, v2
; %bb.93:                               ;   in Loop: Header=BB187_12 Depth=1
	v_ffbh_u32_e32 v1, v24
	v_min_u32_e32 v1, 32, v1
	v_subrev_nc_u32_e32 v2, 28, v1
	v_sub_nc_u32_e32 v1, 29, v1
	v_lshlrev_b64 v[2:3], v2, v[24:25]
	v_and_b32_e32 v24, 7, v2
; %bb.94:                               ;   in Loop: Header=BB187_12 Depth=1
	s_or_b32 exec_lo, exec_lo, s23
	v_lshlrev_b32_e32 v0, 16, v0
	v_lshlrev_b32_e32 v2, 20, v24
	v_lshl_add_u32 v1, v1, 23, 0x3c000000
	v_and_b32_e32 v0, 0x80000000, v0
	v_or3_b32 v1, v2, v0, v1
	v_mov_b32_e32 v0, v25
	buffer_store_dword v0, off, s[0:3], s32 offset:268 ; 4-byte Folded Spill
	buffer_store_dword v1, off, s[0:3], s32 offset:272 ; 4-byte Folded Spill
.LBB187_95:                             ;   in Loop: Header=BB187_12 Depth=1
	s_or_b32 exec_lo, exec_lo, s22
.LBB187_96:                             ;   in Loop: Header=BB187_12 Depth=1
	s_or_b32 exec_lo, exec_lo, s21
.LBB187_97:                             ;   in Loop: Header=BB187_12 Depth=1
	s_or_b32 exec_lo, exec_lo, s20
	flat_load_ushort v1, v[58:59] offset:260
	s_waitcnt vmcnt(0) lgkmcnt(0)
	v_and_b32_e32 v0, 0xffff, v1
	v_cmp_ne_u16_sdwa s6, v1, v25 src0_sel:BYTE_0 src1_sel:DWORD
	v_mov_b32_e32 v1, 0
	v_mov_b32_e32 v2, 0
	buffer_store_dword v1, off, s[0:3], s32 offset:284 ; 4-byte Folded Spill
	buffer_store_dword v2, off, s[0:3], s32 offset:288 ; 4-byte Folded Spill
	v_mov_b32_e32 v1, 0
	v_mov_b32_e32 v2, 0
	buffer_store_dword v1, off, s[0:3], s32 offset:276 ; 4-byte Folded Spill
	buffer_store_dword v2, off, s[0:3], s32 offset:280 ; 4-byte Folded Spill
	s_and_saveexec_b32 s20, s6
	s_cbranch_execz .LBB187_105
; %bb.98:                               ;   in Loop: Header=BB187_12 Depth=1
	v_bfrev_b32_e32 v1, 1
	v_mov_b32_e32 v2, 0
	v_cmp_ne_u16_sdwa s6, v0, v90 src0_sel:BYTE_0 src1_sel:DWORD
	buffer_store_dword v1, off, s[0:3], s32 offset:276 ; 4-byte Folded Spill
	buffer_store_dword v2, off, s[0:3], s32 offset:280 ; 4-byte Folded Spill
	s_and_saveexec_b32 s21, s6
	s_cbranch_execz .LBB187_104
; %bb.99:                               ;   in Loop: Header=BB187_12 Depth=1
	v_mov_b32_e32 v3, 0x7f800001
	v_and_b32_e32 v2, 0x7f, v0
	v_mov_b32_e32 v4, 0
	s_mov_b32 s22, exec_lo
	buffer_store_dword v3, off, s[0:3], s32 offset:276 ; 4-byte Folded Spill
	buffer_store_dword v4, off, s[0:3], s32 offset:280 ; 4-byte Folded Spill
	v_cmpx_ne_u32_e32 0x7f, v2
	s_cbranch_execz .LBB187_103
; %bb.100:                              ;   in Loop: Header=BB187_12 Depth=1
	v_and_b32_e32 v24, 7, v0
	v_lshrrev_b32_e32 v1, 3, v2
	s_mov_b32 s23, exec_lo
	v_cmpx_gt_u32_e32 8, v2
; %bb.101:                              ;   in Loop: Header=BB187_12 Depth=1
	v_ffbh_u32_e32 v1, v24
	v_min_u32_e32 v1, 32, v1
	v_subrev_nc_u32_e32 v2, 28, v1
	v_sub_nc_u32_e32 v1, 29, v1
	v_lshlrev_b64 v[2:3], v2, v[24:25]
	v_and_b32_e32 v24, 7, v2
; %bb.102:                              ;   in Loop: Header=BB187_12 Depth=1
	s_or_b32 exec_lo, exec_lo, s23
	v_lshlrev_b32_e32 v2, 24, v0
	v_lshlrev_b32_e32 v3, 20, v24
	v_lshl_add_u32 v1, v1, 23, 0x3c000000
	v_and_b32_e32 v2, 0x80000000, v2
	v_or3_b32 v24, v3, v2, v1
	buffer_store_dword v24, off, s[0:3], s32 offset:276 ; 4-byte Folded Spill
	buffer_store_dword v25, off, s[0:3], s32 offset:280 ; 4-byte Folded Spill
.LBB187_103:                            ;   in Loop: Header=BB187_12 Depth=1
	s_or_b32 exec_lo, exec_lo, s22
.LBB187_104:                            ;   in Loop: Header=BB187_12 Depth=1
	s_or_b32 exec_lo, exec_lo, s21
.LBB187_105:                            ;   in Loop: Header=BB187_12 Depth=1
	s_or_b32 exec_lo, exec_lo, s20
	v_cmp_ne_u16_sdwa s6, v0, v25 src0_sel:BYTE_1 src1_sel:DWORD
	s_and_saveexec_b32 s20, s6
	s_cbranch_execz .LBB187_113
; %bb.106:                              ;   in Loop: Header=BB187_12 Depth=1
	v_mov_b32_e32 v114, v25
	v_cmp_ne_u16_sdwa s6, v0, v90 src0_sel:BYTE_1 src1_sel:DWORD
	buffer_store_dword v114, off, s[0:3], s32 offset:284 ; 4-byte Folded Spill
	buffer_store_dword v115, off, s[0:3], s32 offset:288 ; 4-byte Folded Spill
	s_and_saveexec_b32 s21, s6
	s_cbranch_execz .LBB187_112
; %bb.107:                              ;   in Loop: Header=BB187_12 Depth=1
	v_mov_b32_e32 v1, 0xffff
	v_mov_b32_e32 v72, v25
	s_mov_b32 s22, exec_lo
	buffer_store_dword v72, off, s[0:3], s32 offset:284 ; 4-byte Folded Spill
	buffer_store_dword v73, off, s[0:3], s32 offset:288 ; 4-byte Folded Spill
	v_and_b32_sdwa v1, v1, v0 dst_sel:DWORD dst_unused:UNUSED_PAD src0_sel:DWORD src1_sel:BYTE_1
	v_and_b32_e32 v2, 0x7f, v1
	v_cmpx_ne_u32_e32 0x7f, v2
	s_cbranch_execz .LBB187_111
; %bb.108:                              ;   in Loop: Header=BB187_12 Depth=1
	v_and_b32_e32 v24, 7, v1
	v_lshrrev_b32_e32 v1, 3, v2
	s_mov_b32 s23, exec_lo
	v_cmpx_gt_u32_e32 8, v2
; %bb.109:                              ;   in Loop: Header=BB187_12 Depth=1
	v_ffbh_u32_e32 v1, v24
	v_min_u32_e32 v1, 32, v1
	v_subrev_nc_u32_e32 v2, 28, v1
	v_sub_nc_u32_e32 v1, 29, v1
	v_lshlrev_b64 v[2:3], v2, v[24:25]
	v_and_b32_e32 v24, 7, v2
; %bb.110:                              ;   in Loop: Header=BB187_12 Depth=1
	s_or_b32 exec_lo, exec_lo, s23
	v_lshlrev_b32_e32 v0, 16, v0
	v_lshlrev_b32_e32 v2, 20, v24
	v_lshl_add_u32 v1, v1, 23, 0x3c000000
	v_and_b32_e32 v0, 0x80000000, v0
	v_or3_b32 v1, v2, v0, v1
	v_mov_b32_e32 v0, v25
	buffer_store_dword v0, off, s[0:3], s32 offset:284 ; 4-byte Folded Spill
	buffer_store_dword v1, off, s[0:3], s32 offset:288 ; 4-byte Folded Spill
.LBB187_111:                            ;   in Loop: Header=BB187_12 Depth=1
	s_or_b32 exec_lo, exec_lo, s22
.LBB187_112:                            ;   in Loop: Header=BB187_12 Depth=1
	s_or_b32 exec_lo, exec_lo, s21
.LBB187_113:                            ;   in Loop: Header=BB187_12 Depth=1
	s_or_b32 exec_lo, exec_lo, s20
	flat_load_ushort v1, v[58:59] offset:264
	s_waitcnt vmcnt(0) lgkmcnt(0)
	v_and_b32_e32 v0, 0xffff, v1
	v_cmp_ne_u16_sdwa s6, v1, v25 src0_sel:BYTE_0 src1_sel:DWORD
	v_mov_b32_e32 v1, 0
	v_mov_b32_e32 v2, 0
	buffer_store_dword v1, off, s[0:3], s32 offset:300 ; 4-byte Folded Spill
	buffer_store_dword v2, off, s[0:3], s32 offset:304 ; 4-byte Folded Spill
	v_mov_b32_e32 v1, 0
	v_mov_b32_e32 v2, 0
	buffer_store_dword v1, off, s[0:3], s32 offset:292 ; 4-byte Folded Spill
	buffer_store_dword v2, off, s[0:3], s32 offset:296 ; 4-byte Folded Spill
	s_and_saveexec_b32 s20, s6
	s_cbranch_execz .LBB187_121
; %bb.114:                              ;   in Loop: Header=BB187_12 Depth=1
	v_bfrev_b32_e32 v1, 1
	v_mov_b32_e32 v2, 0
	v_cmp_ne_u16_sdwa s6, v0, v90 src0_sel:BYTE_0 src1_sel:DWORD
	buffer_store_dword v1, off, s[0:3], s32 offset:292 ; 4-byte Folded Spill
	buffer_store_dword v2, off, s[0:3], s32 offset:296 ; 4-byte Folded Spill
	s_and_saveexec_b32 s21, s6
	s_cbranch_execz .LBB187_120
; %bb.115:                              ;   in Loop: Header=BB187_12 Depth=1
	v_mov_b32_e32 v3, 0x7f800001
	v_and_b32_e32 v2, 0x7f, v0
	v_mov_b32_e32 v4, 0
	s_mov_b32 s22, exec_lo
	buffer_store_dword v3, off, s[0:3], s32 offset:292 ; 4-byte Folded Spill
	buffer_store_dword v4, off, s[0:3], s32 offset:296 ; 4-byte Folded Spill
	v_cmpx_ne_u32_e32 0x7f, v2
	s_cbranch_execz .LBB187_119
; %bb.116:                              ;   in Loop: Header=BB187_12 Depth=1
	v_and_b32_e32 v24, 7, v0
	v_lshrrev_b32_e32 v1, 3, v2
	s_mov_b32 s23, exec_lo
	v_cmpx_gt_u32_e32 8, v2
; %bb.117:                              ;   in Loop: Header=BB187_12 Depth=1
	v_ffbh_u32_e32 v1, v24
	v_min_u32_e32 v1, 32, v1
	v_subrev_nc_u32_e32 v2, 28, v1
	v_sub_nc_u32_e32 v1, 29, v1
	v_lshlrev_b64 v[2:3], v2, v[24:25]
	v_and_b32_e32 v24, 7, v2
; %bb.118:                              ;   in Loop: Header=BB187_12 Depth=1
	s_or_b32 exec_lo, exec_lo, s23
	v_lshlrev_b32_e32 v2, 24, v0
	v_lshlrev_b32_e32 v3, 20, v24
	v_lshl_add_u32 v1, v1, 23, 0x3c000000
	v_and_b32_e32 v2, 0x80000000, v2
	v_or3_b32 v24, v3, v2, v1
	buffer_store_dword v24, off, s[0:3], s32 offset:292 ; 4-byte Folded Spill
	buffer_store_dword v25, off, s[0:3], s32 offset:296 ; 4-byte Folded Spill
.LBB187_119:                            ;   in Loop: Header=BB187_12 Depth=1
	s_or_b32 exec_lo, exec_lo, s22
.LBB187_120:                            ;   in Loop: Header=BB187_12 Depth=1
	s_or_b32 exec_lo, exec_lo, s21
.LBB187_121:                            ;   in Loop: Header=BB187_12 Depth=1
	s_or_b32 exec_lo, exec_lo, s20
	v_cmp_ne_u16_sdwa s6, v0, v25 src0_sel:BYTE_1 src1_sel:DWORD
	s_and_saveexec_b32 s20, s6
	s_cbranch_execz .LBB187_129
; %bb.122:                              ;   in Loop: Header=BB187_12 Depth=1
	v_mov_b32_e32 v114, v25
	v_cmp_ne_u16_sdwa s6, v0, v90 src0_sel:BYTE_1 src1_sel:DWORD
	buffer_store_dword v114, off, s[0:3], s32 offset:300 ; 4-byte Folded Spill
	buffer_store_dword v115, off, s[0:3], s32 offset:304 ; 4-byte Folded Spill
	s_and_saveexec_b32 s21, s6
	s_cbranch_execz .LBB187_128
; %bb.123:                              ;   in Loop: Header=BB187_12 Depth=1
	v_mov_b32_e32 v1, 0xffff
	v_mov_b32_e32 v72, v25
	s_mov_b32 s22, exec_lo
	buffer_store_dword v72, off, s[0:3], s32 offset:300 ; 4-byte Folded Spill
	buffer_store_dword v73, off, s[0:3], s32 offset:304 ; 4-byte Folded Spill
	v_and_b32_sdwa v1, v1, v0 dst_sel:DWORD dst_unused:UNUSED_PAD src0_sel:DWORD src1_sel:BYTE_1
	v_and_b32_e32 v2, 0x7f, v1
	v_cmpx_ne_u32_e32 0x7f, v2
	s_cbranch_execz .LBB187_127
; %bb.124:                              ;   in Loop: Header=BB187_12 Depth=1
	v_and_b32_e32 v24, 7, v1
	v_lshrrev_b32_e32 v1, 3, v2
	s_mov_b32 s23, exec_lo
	v_cmpx_gt_u32_e32 8, v2
; %bb.125:                              ;   in Loop: Header=BB187_12 Depth=1
	v_ffbh_u32_e32 v1, v24
	v_min_u32_e32 v1, 32, v1
	v_subrev_nc_u32_e32 v2, 28, v1
	v_sub_nc_u32_e32 v1, 29, v1
	v_lshlrev_b64 v[2:3], v2, v[24:25]
	v_and_b32_e32 v24, 7, v2
; %bb.126:                              ;   in Loop: Header=BB187_12 Depth=1
	s_or_b32 exec_lo, exec_lo, s23
	v_lshlrev_b32_e32 v0, 16, v0
	v_lshlrev_b32_e32 v2, 20, v24
	v_lshl_add_u32 v1, v1, 23, 0x3c000000
	v_and_b32_e32 v0, 0x80000000, v0
	v_or3_b32 v1, v2, v0, v1
	v_mov_b32_e32 v0, v25
	buffer_store_dword v0, off, s[0:3], s32 offset:300 ; 4-byte Folded Spill
	buffer_store_dword v1, off, s[0:3], s32 offset:304 ; 4-byte Folded Spill
.LBB187_127:                            ;   in Loop: Header=BB187_12 Depth=1
	s_or_b32 exec_lo, exec_lo, s22
.LBB187_128:                            ;   in Loop: Header=BB187_12 Depth=1
	s_or_b32 exec_lo, exec_lo, s21
.LBB187_129:                            ;   in Loop: Header=BB187_12 Depth=1
	s_or_b32 exec_lo, exec_lo, s20
	flat_load_ushort v1, v[58:59] offset:268
	s_waitcnt vmcnt(0) lgkmcnt(0)
	v_and_b32_e32 v0, 0xffff, v1
	v_cmp_ne_u16_sdwa s6, v1, v25 src0_sel:BYTE_0 src1_sel:DWORD
	v_mov_b32_e32 v1, 0
	v_mov_b32_e32 v2, 0
	buffer_store_dword v1, off, s[0:3], s32 offset:316 ; 4-byte Folded Spill
	buffer_store_dword v2, off, s[0:3], s32 offset:320 ; 4-byte Folded Spill
	v_mov_b32_e32 v1, 0
	v_mov_b32_e32 v2, 0
	buffer_store_dword v1, off, s[0:3], s32 offset:308 ; 4-byte Folded Spill
	buffer_store_dword v2, off, s[0:3], s32 offset:312 ; 4-byte Folded Spill
	s_and_saveexec_b32 s20, s6
	s_cbranch_execz .LBB187_137
; %bb.130:                              ;   in Loop: Header=BB187_12 Depth=1
	v_bfrev_b32_e32 v1, 1
	v_mov_b32_e32 v2, 0
	v_cmp_ne_u16_sdwa s6, v0, v90 src0_sel:BYTE_0 src1_sel:DWORD
	buffer_store_dword v1, off, s[0:3], s32 offset:308 ; 4-byte Folded Spill
	buffer_store_dword v2, off, s[0:3], s32 offset:312 ; 4-byte Folded Spill
	s_and_saveexec_b32 s21, s6
	s_cbranch_execz .LBB187_136
; %bb.131:                              ;   in Loop: Header=BB187_12 Depth=1
	v_mov_b32_e32 v3, 0x7f800001
	v_and_b32_e32 v2, 0x7f, v0
	v_mov_b32_e32 v4, 0
	s_mov_b32 s22, exec_lo
	buffer_store_dword v3, off, s[0:3], s32 offset:308 ; 4-byte Folded Spill
	buffer_store_dword v4, off, s[0:3], s32 offset:312 ; 4-byte Folded Spill
	v_cmpx_ne_u32_e32 0x7f, v2
	s_cbranch_execz .LBB187_135
; %bb.132:                              ;   in Loop: Header=BB187_12 Depth=1
	v_and_b32_e32 v24, 7, v0
	v_lshrrev_b32_e32 v1, 3, v2
	s_mov_b32 s23, exec_lo
	v_cmpx_gt_u32_e32 8, v2
; %bb.133:                              ;   in Loop: Header=BB187_12 Depth=1
	v_ffbh_u32_e32 v1, v24
	v_min_u32_e32 v1, 32, v1
	v_subrev_nc_u32_e32 v2, 28, v1
	v_sub_nc_u32_e32 v1, 29, v1
	v_lshlrev_b64 v[2:3], v2, v[24:25]
	v_and_b32_e32 v24, 7, v2
; %bb.134:                              ;   in Loop: Header=BB187_12 Depth=1
	s_or_b32 exec_lo, exec_lo, s23
	v_lshlrev_b32_e32 v2, 24, v0
	v_lshlrev_b32_e32 v3, 20, v24
	v_lshl_add_u32 v1, v1, 23, 0x3c000000
	v_and_b32_e32 v2, 0x80000000, v2
	v_or3_b32 v24, v3, v2, v1
	buffer_store_dword v24, off, s[0:3], s32 offset:308 ; 4-byte Folded Spill
	buffer_store_dword v25, off, s[0:3], s32 offset:312 ; 4-byte Folded Spill
.LBB187_135:                            ;   in Loop: Header=BB187_12 Depth=1
	s_or_b32 exec_lo, exec_lo, s22
.LBB187_136:                            ;   in Loop: Header=BB187_12 Depth=1
	s_or_b32 exec_lo, exec_lo, s21
.LBB187_137:                            ;   in Loop: Header=BB187_12 Depth=1
	s_or_b32 exec_lo, exec_lo, s20
	v_cmp_ne_u16_sdwa s6, v0, v25 src0_sel:BYTE_1 src1_sel:DWORD
	s_and_saveexec_b32 s20, s6
	s_cbranch_execz .LBB187_145
; %bb.138:                              ;   in Loop: Header=BB187_12 Depth=1
	v_mov_b32_e32 v114, v25
	v_cmp_ne_u16_sdwa s6, v0, v90 src0_sel:BYTE_1 src1_sel:DWORD
	buffer_store_dword v114, off, s[0:3], s32 offset:316 ; 4-byte Folded Spill
	buffer_store_dword v115, off, s[0:3], s32 offset:320 ; 4-byte Folded Spill
	s_and_saveexec_b32 s21, s6
	s_cbranch_execz .LBB187_144
; %bb.139:                              ;   in Loop: Header=BB187_12 Depth=1
	v_mov_b32_e32 v1, 0xffff
	v_mov_b32_e32 v72, v25
	s_mov_b32 s22, exec_lo
	buffer_store_dword v72, off, s[0:3], s32 offset:316 ; 4-byte Folded Spill
	buffer_store_dword v73, off, s[0:3], s32 offset:320 ; 4-byte Folded Spill
	v_and_b32_sdwa v1, v1, v0 dst_sel:DWORD dst_unused:UNUSED_PAD src0_sel:DWORD src1_sel:BYTE_1
	v_and_b32_e32 v2, 0x7f, v1
	v_cmpx_ne_u32_e32 0x7f, v2
	s_cbranch_execz .LBB187_143
; %bb.140:                              ;   in Loop: Header=BB187_12 Depth=1
	v_and_b32_e32 v24, 7, v1
	v_lshrrev_b32_e32 v1, 3, v2
	s_mov_b32 s23, exec_lo
	v_cmpx_gt_u32_e32 8, v2
; %bb.141:                              ;   in Loop: Header=BB187_12 Depth=1
	v_ffbh_u32_e32 v1, v24
	v_min_u32_e32 v1, 32, v1
	v_subrev_nc_u32_e32 v2, 28, v1
	v_sub_nc_u32_e32 v1, 29, v1
	v_lshlrev_b64 v[2:3], v2, v[24:25]
	v_and_b32_e32 v24, 7, v2
; %bb.142:                              ;   in Loop: Header=BB187_12 Depth=1
	s_or_b32 exec_lo, exec_lo, s23
	v_lshlrev_b32_e32 v0, 16, v0
	v_lshlrev_b32_e32 v2, 20, v24
	v_lshl_add_u32 v1, v1, 23, 0x3c000000
	v_and_b32_e32 v0, 0x80000000, v0
	v_or3_b32 v1, v2, v0, v1
	v_mov_b32_e32 v0, v25
	buffer_store_dword v0, off, s[0:3], s32 offset:316 ; 4-byte Folded Spill
	buffer_store_dword v1, off, s[0:3], s32 offset:320 ; 4-byte Folded Spill
.LBB187_143:                            ;   in Loop: Header=BB187_12 Depth=1
	s_or_b32 exec_lo, exec_lo, s22
.LBB187_144:                            ;   in Loop: Header=BB187_12 Depth=1
	s_or_b32 exec_lo, exec_lo, s21
.LBB187_145:                            ;   in Loop: Header=BB187_12 Depth=1
	s_or_b32 exec_lo, exec_lo, s20
	flat_load_ushort v1, v[58:59] offset:512
	s_waitcnt vmcnt(0) lgkmcnt(0)
	v_and_b32_e32 v0, 0xffff, v1
	v_cmp_ne_u16_sdwa s6, v1, v25 src0_sel:BYTE_0 src1_sel:DWORD
	v_mov_b32_e32 v1, 0
	v_mov_b32_e32 v2, 0
	buffer_store_dword v1, off, s[0:3], s32 offset:332 ; 4-byte Folded Spill
	buffer_store_dword v2, off, s[0:3], s32 offset:336 ; 4-byte Folded Spill
	v_mov_b32_e32 v1, 0
	v_mov_b32_e32 v2, 0
	buffer_store_dword v1, off, s[0:3], s32 offset:324 ; 4-byte Folded Spill
	buffer_store_dword v2, off, s[0:3], s32 offset:328 ; 4-byte Folded Spill
	s_and_saveexec_b32 s20, s6
	s_cbranch_execz .LBB187_153
; %bb.146:                              ;   in Loop: Header=BB187_12 Depth=1
	v_bfrev_b32_e32 v1, 1
	v_mov_b32_e32 v2, 0
	v_cmp_ne_u16_sdwa s6, v0, v90 src0_sel:BYTE_0 src1_sel:DWORD
	buffer_store_dword v1, off, s[0:3], s32 offset:324 ; 4-byte Folded Spill
	buffer_store_dword v2, off, s[0:3], s32 offset:328 ; 4-byte Folded Spill
	s_and_saveexec_b32 s21, s6
	s_cbranch_execz .LBB187_152
; %bb.147:                              ;   in Loop: Header=BB187_12 Depth=1
	v_mov_b32_e32 v3, 0x7f800001
	v_and_b32_e32 v2, 0x7f, v0
	v_mov_b32_e32 v4, 0
	s_mov_b32 s22, exec_lo
	buffer_store_dword v3, off, s[0:3], s32 offset:324 ; 4-byte Folded Spill
	buffer_store_dword v4, off, s[0:3], s32 offset:328 ; 4-byte Folded Spill
	v_cmpx_ne_u32_e32 0x7f, v2
	s_cbranch_execz .LBB187_151
; %bb.148:                              ;   in Loop: Header=BB187_12 Depth=1
	v_and_b32_e32 v24, 7, v0
	v_lshrrev_b32_e32 v1, 3, v2
	s_mov_b32 s23, exec_lo
	v_cmpx_gt_u32_e32 8, v2
; %bb.149:                              ;   in Loop: Header=BB187_12 Depth=1
	v_ffbh_u32_e32 v1, v24
	v_min_u32_e32 v1, 32, v1
	v_subrev_nc_u32_e32 v2, 28, v1
	v_sub_nc_u32_e32 v1, 29, v1
	v_lshlrev_b64 v[2:3], v2, v[24:25]
	v_and_b32_e32 v24, 7, v2
; %bb.150:                              ;   in Loop: Header=BB187_12 Depth=1
	s_or_b32 exec_lo, exec_lo, s23
	v_lshlrev_b32_e32 v2, 24, v0
	v_lshlrev_b32_e32 v3, 20, v24
	v_lshl_add_u32 v1, v1, 23, 0x3c000000
	v_and_b32_e32 v2, 0x80000000, v2
	v_or3_b32 v24, v3, v2, v1
	buffer_store_dword v24, off, s[0:3], s32 offset:324 ; 4-byte Folded Spill
	buffer_store_dword v25, off, s[0:3], s32 offset:328 ; 4-byte Folded Spill
.LBB187_151:                            ;   in Loop: Header=BB187_12 Depth=1
	s_or_b32 exec_lo, exec_lo, s22
.LBB187_152:                            ;   in Loop: Header=BB187_12 Depth=1
	s_or_b32 exec_lo, exec_lo, s21
.LBB187_153:                            ;   in Loop: Header=BB187_12 Depth=1
	s_or_b32 exec_lo, exec_lo, s20
	v_cmp_ne_u16_sdwa s6, v0, v25 src0_sel:BYTE_1 src1_sel:DWORD
	s_and_saveexec_b32 s20, s6
	s_cbranch_execz .LBB187_161
; %bb.154:                              ;   in Loop: Header=BB187_12 Depth=1
	v_mov_b32_e32 v114, v25
	v_cmp_ne_u16_sdwa s6, v0, v90 src0_sel:BYTE_1 src1_sel:DWORD
	buffer_store_dword v114, off, s[0:3], s32 offset:332 ; 4-byte Folded Spill
	buffer_store_dword v115, off, s[0:3], s32 offset:336 ; 4-byte Folded Spill
	s_and_saveexec_b32 s21, s6
	s_cbranch_execz .LBB187_160
; %bb.155:                              ;   in Loop: Header=BB187_12 Depth=1
	v_mov_b32_e32 v1, 0xffff
	v_mov_b32_e32 v72, v25
	s_mov_b32 s22, exec_lo
	buffer_store_dword v72, off, s[0:3], s32 offset:332 ; 4-byte Folded Spill
	buffer_store_dword v73, off, s[0:3], s32 offset:336 ; 4-byte Folded Spill
	v_and_b32_sdwa v1, v1, v0 dst_sel:DWORD dst_unused:UNUSED_PAD src0_sel:DWORD src1_sel:BYTE_1
	v_and_b32_e32 v2, 0x7f, v1
	v_cmpx_ne_u32_e32 0x7f, v2
	s_cbranch_execz .LBB187_159
; %bb.156:                              ;   in Loop: Header=BB187_12 Depth=1
	v_and_b32_e32 v24, 7, v1
	v_lshrrev_b32_e32 v1, 3, v2
	s_mov_b32 s23, exec_lo
	v_cmpx_gt_u32_e32 8, v2
; %bb.157:                              ;   in Loop: Header=BB187_12 Depth=1
	v_ffbh_u32_e32 v1, v24
	v_min_u32_e32 v1, 32, v1
	v_subrev_nc_u32_e32 v2, 28, v1
	v_sub_nc_u32_e32 v1, 29, v1
	v_lshlrev_b64 v[2:3], v2, v[24:25]
	v_and_b32_e32 v24, 7, v2
; %bb.158:                              ;   in Loop: Header=BB187_12 Depth=1
	s_or_b32 exec_lo, exec_lo, s23
	v_lshlrev_b32_e32 v0, 16, v0
	v_lshlrev_b32_e32 v2, 20, v24
	v_lshl_add_u32 v1, v1, 23, 0x3c000000
	v_and_b32_e32 v0, 0x80000000, v0
	v_or3_b32 v1, v2, v0, v1
	v_mov_b32_e32 v0, v25
	buffer_store_dword v0, off, s[0:3], s32 offset:332 ; 4-byte Folded Spill
	buffer_store_dword v1, off, s[0:3], s32 offset:336 ; 4-byte Folded Spill
.LBB187_159:                            ;   in Loop: Header=BB187_12 Depth=1
	s_or_b32 exec_lo, exec_lo, s22
.LBB187_160:                            ;   in Loop: Header=BB187_12 Depth=1
	s_or_b32 exec_lo, exec_lo, s21
.LBB187_161:                            ;   in Loop: Header=BB187_12 Depth=1
	s_or_b32 exec_lo, exec_lo, s20
	flat_load_ushort v1, v[58:59] offset:516
	s_waitcnt vmcnt(0) lgkmcnt(0)
	v_and_b32_e32 v0, 0xffff, v1
	v_cmp_ne_u16_sdwa s6, v1, v25 src0_sel:BYTE_0 src1_sel:DWORD
	v_mov_b32_e32 v1, 0
	v_mov_b32_e32 v2, 0
	buffer_store_dword v1, off, s[0:3], s32 offset:348 ; 4-byte Folded Spill
	buffer_store_dword v2, off, s[0:3], s32 offset:352 ; 4-byte Folded Spill
	v_mov_b32_e32 v1, 0
	v_mov_b32_e32 v2, 0
	buffer_store_dword v1, off, s[0:3], s32 offset:340 ; 4-byte Folded Spill
	buffer_store_dword v2, off, s[0:3], s32 offset:344 ; 4-byte Folded Spill
	s_and_saveexec_b32 s20, s6
	s_cbranch_execz .LBB187_169
; %bb.162:                              ;   in Loop: Header=BB187_12 Depth=1
	v_bfrev_b32_e32 v1, 1
	v_mov_b32_e32 v2, 0
	v_cmp_ne_u16_sdwa s6, v0, v90 src0_sel:BYTE_0 src1_sel:DWORD
	buffer_store_dword v1, off, s[0:3], s32 offset:340 ; 4-byte Folded Spill
	buffer_store_dword v2, off, s[0:3], s32 offset:344 ; 4-byte Folded Spill
	s_and_saveexec_b32 s21, s6
	s_cbranch_execz .LBB187_168
; %bb.163:                              ;   in Loop: Header=BB187_12 Depth=1
	v_mov_b32_e32 v3, 0x7f800001
	v_and_b32_e32 v2, 0x7f, v0
	v_mov_b32_e32 v4, 0
	s_mov_b32 s22, exec_lo
	buffer_store_dword v3, off, s[0:3], s32 offset:340 ; 4-byte Folded Spill
	buffer_store_dword v4, off, s[0:3], s32 offset:344 ; 4-byte Folded Spill
	v_cmpx_ne_u32_e32 0x7f, v2
	s_cbranch_execz .LBB187_167
; %bb.164:                              ;   in Loop: Header=BB187_12 Depth=1
	v_and_b32_e32 v24, 7, v0
	v_lshrrev_b32_e32 v1, 3, v2
	s_mov_b32 s23, exec_lo
	v_cmpx_gt_u32_e32 8, v2
; %bb.165:                              ;   in Loop: Header=BB187_12 Depth=1
	v_ffbh_u32_e32 v1, v24
	v_min_u32_e32 v1, 32, v1
	v_subrev_nc_u32_e32 v2, 28, v1
	v_sub_nc_u32_e32 v1, 29, v1
	v_lshlrev_b64 v[2:3], v2, v[24:25]
	v_and_b32_e32 v24, 7, v2
; %bb.166:                              ;   in Loop: Header=BB187_12 Depth=1
	s_or_b32 exec_lo, exec_lo, s23
	v_lshlrev_b32_e32 v2, 24, v0
	v_lshlrev_b32_e32 v3, 20, v24
	v_lshl_add_u32 v1, v1, 23, 0x3c000000
	v_and_b32_e32 v2, 0x80000000, v2
	v_or3_b32 v24, v3, v2, v1
	buffer_store_dword v24, off, s[0:3], s32 offset:340 ; 4-byte Folded Spill
	buffer_store_dword v25, off, s[0:3], s32 offset:344 ; 4-byte Folded Spill
.LBB187_167:                            ;   in Loop: Header=BB187_12 Depth=1
	s_or_b32 exec_lo, exec_lo, s22
.LBB187_168:                            ;   in Loop: Header=BB187_12 Depth=1
	s_or_b32 exec_lo, exec_lo, s21
.LBB187_169:                            ;   in Loop: Header=BB187_12 Depth=1
	s_or_b32 exec_lo, exec_lo, s20
	v_cmp_ne_u16_sdwa s6, v0, v25 src0_sel:BYTE_1 src1_sel:DWORD
	s_and_saveexec_b32 s20, s6
	s_cbranch_execz .LBB187_177
; %bb.170:                              ;   in Loop: Header=BB187_12 Depth=1
	v_mov_b32_e32 v114, v25
	v_cmp_ne_u16_sdwa s6, v0, v90 src0_sel:BYTE_1 src1_sel:DWORD
	buffer_store_dword v114, off, s[0:3], s32 offset:348 ; 4-byte Folded Spill
	buffer_store_dword v115, off, s[0:3], s32 offset:352 ; 4-byte Folded Spill
	s_and_saveexec_b32 s21, s6
	s_cbranch_execz .LBB187_176
; %bb.171:                              ;   in Loop: Header=BB187_12 Depth=1
	v_mov_b32_e32 v1, 0xffff
	v_mov_b32_e32 v72, v25
	s_mov_b32 s22, exec_lo
	buffer_store_dword v72, off, s[0:3], s32 offset:348 ; 4-byte Folded Spill
	buffer_store_dword v73, off, s[0:3], s32 offset:352 ; 4-byte Folded Spill
	v_and_b32_sdwa v1, v1, v0 dst_sel:DWORD dst_unused:UNUSED_PAD src0_sel:DWORD src1_sel:BYTE_1
	v_and_b32_e32 v2, 0x7f, v1
	v_cmpx_ne_u32_e32 0x7f, v2
	s_cbranch_execz .LBB187_175
; %bb.172:                              ;   in Loop: Header=BB187_12 Depth=1
	v_and_b32_e32 v24, 7, v1
	v_lshrrev_b32_e32 v1, 3, v2
	s_mov_b32 s23, exec_lo
	v_cmpx_gt_u32_e32 8, v2
; %bb.173:                              ;   in Loop: Header=BB187_12 Depth=1
	v_ffbh_u32_e32 v1, v24
	v_min_u32_e32 v1, 32, v1
	v_subrev_nc_u32_e32 v2, 28, v1
	v_sub_nc_u32_e32 v1, 29, v1
	v_lshlrev_b64 v[2:3], v2, v[24:25]
	v_and_b32_e32 v24, 7, v2
; %bb.174:                              ;   in Loop: Header=BB187_12 Depth=1
	s_or_b32 exec_lo, exec_lo, s23
	v_lshlrev_b32_e32 v0, 16, v0
	v_lshlrev_b32_e32 v2, 20, v24
	v_lshl_add_u32 v1, v1, 23, 0x3c000000
	v_and_b32_e32 v0, 0x80000000, v0
	v_or3_b32 v1, v2, v0, v1
	v_mov_b32_e32 v0, v25
	buffer_store_dword v0, off, s[0:3], s32 offset:348 ; 4-byte Folded Spill
	buffer_store_dword v1, off, s[0:3], s32 offset:352 ; 4-byte Folded Spill
.LBB187_175:                            ;   in Loop: Header=BB187_12 Depth=1
	s_or_b32 exec_lo, exec_lo, s22
.LBB187_176:                            ;   in Loop: Header=BB187_12 Depth=1
	s_or_b32 exec_lo, exec_lo, s21
.LBB187_177:                            ;   in Loop: Header=BB187_12 Depth=1
	s_or_b32 exec_lo, exec_lo, s20
	flat_load_ushort v1, v[58:59] offset:520
	s_waitcnt vmcnt(0) lgkmcnt(0)
	v_and_b32_e32 v0, 0xffff, v1
	v_cmp_ne_u16_sdwa s6, v1, v25 src0_sel:BYTE_0 src1_sel:DWORD
	v_mov_b32_e32 v1, 0
	v_mov_b32_e32 v2, 0
	buffer_store_dword v1, off, s[0:3], s32 offset:364 ; 4-byte Folded Spill
	buffer_store_dword v2, off, s[0:3], s32 offset:368 ; 4-byte Folded Spill
	v_mov_b32_e32 v1, 0
	v_mov_b32_e32 v2, 0
	buffer_store_dword v1, off, s[0:3], s32 offset:356 ; 4-byte Folded Spill
	buffer_store_dword v2, off, s[0:3], s32 offset:360 ; 4-byte Folded Spill
	s_and_saveexec_b32 s20, s6
	s_cbranch_execz .LBB187_185
; %bb.178:                              ;   in Loop: Header=BB187_12 Depth=1
	v_bfrev_b32_e32 v1, 1
	v_mov_b32_e32 v2, 0
	v_cmp_ne_u16_sdwa s6, v0, v90 src0_sel:BYTE_0 src1_sel:DWORD
	buffer_store_dword v1, off, s[0:3], s32 offset:356 ; 4-byte Folded Spill
	buffer_store_dword v2, off, s[0:3], s32 offset:360 ; 4-byte Folded Spill
	s_and_saveexec_b32 s21, s6
	s_cbranch_execz .LBB187_184
; %bb.179:                              ;   in Loop: Header=BB187_12 Depth=1
	v_mov_b32_e32 v3, 0x7f800001
	v_and_b32_e32 v2, 0x7f, v0
	v_mov_b32_e32 v4, 0
	s_mov_b32 s22, exec_lo
	buffer_store_dword v3, off, s[0:3], s32 offset:356 ; 4-byte Folded Spill
	buffer_store_dword v4, off, s[0:3], s32 offset:360 ; 4-byte Folded Spill
	v_cmpx_ne_u32_e32 0x7f, v2
	s_cbranch_execz .LBB187_183
; %bb.180:                              ;   in Loop: Header=BB187_12 Depth=1
	v_and_b32_e32 v24, 7, v0
	v_lshrrev_b32_e32 v1, 3, v2
	s_mov_b32 s23, exec_lo
	v_cmpx_gt_u32_e32 8, v2
; %bb.181:                              ;   in Loop: Header=BB187_12 Depth=1
	v_ffbh_u32_e32 v1, v24
	v_min_u32_e32 v1, 32, v1
	v_subrev_nc_u32_e32 v2, 28, v1
	v_sub_nc_u32_e32 v1, 29, v1
	v_lshlrev_b64 v[2:3], v2, v[24:25]
	v_and_b32_e32 v24, 7, v2
; %bb.182:                              ;   in Loop: Header=BB187_12 Depth=1
	s_or_b32 exec_lo, exec_lo, s23
	v_lshlrev_b32_e32 v2, 24, v0
	v_lshlrev_b32_e32 v3, 20, v24
	v_lshl_add_u32 v1, v1, 23, 0x3c000000
	v_and_b32_e32 v2, 0x80000000, v2
	v_or3_b32 v24, v3, v2, v1
	buffer_store_dword v24, off, s[0:3], s32 offset:356 ; 4-byte Folded Spill
	buffer_store_dword v25, off, s[0:3], s32 offset:360 ; 4-byte Folded Spill
.LBB187_183:                            ;   in Loop: Header=BB187_12 Depth=1
	s_or_b32 exec_lo, exec_lo, s22
.LBB187_184:                            ;   in Loop: Header=BB187_12 Depth=1
	s_or_b32 exec_lo, exec_lo, s21
.LBB187_185:                            ;   in Loop: Header=BB187_12 Depth=1
	s_or_b32 exec_lo, exec_lo, s20
	v_cmp_ne_u16_sdwa s6, v0, v25 src0_sel:BYTE_1 src1_sel:DWORD
	s_and_saveexec_b32 s20, s6
	s_cbranch_execz .LBB187_193
; %bb.186:                              ;   in Loop: Header=BB187_12 Depth=1
	v_mov_b32_e32 v114, v25
	v_cmp_ne_u16_sdwa s6, v0, v90 src0_sel:BYTE_1 src1_sel:DWORD
	buffer_store_dword v114, off, s[0:3], s32 offset:364 ; 4-byte Folded Spill
	buffer_store_dword v115, off, s[0:3], s32 offset:368 ; 4-byte Folded Spill
	s_and_saveexec_b32 s21, s6
	s_cbranch_execz .LBB187_192
; %bb.187:                              ;   in Loop: Header=BB187_12 Depth=1
	v_mov_b32_e32 v1, 0xffff
	v_mov_b32_e32 v72, v25
	s_mov_b32 s22, exec_lo
	buffer_store_dword v72, off, s[0:3], s32 offset:364 ; 4-byte Folded Spill
	buffer_store_dword v73, off, s[0:3], s32 offset:368 ; 4-byte Folded Spill
	v_and_b32_sdwa v1, v1, v0 dst_sel:DWORD dst_unused:UNUSED_PAD src0_sel:DWORD src1_sel:BYTE_1
	v_and_b32_e32 v2, 0x7f, v1
	v_cmpx_ne_u32_e32 0x7f, v2
	s_cbranch_execz .LBB187_191
; %bb.188:                              ;   in Loop: Header=BB187_12 Depth=1
	v_and_b32_e32 v24, 7, v1
	v_lshrrev_b32_e32 v1, 3, v2
	s_mov_b32 s23, exec_lo
	v_cmpx_gt_u32_e32 8, v2
; %bb.189:                              ;   in Loop: Header=BB187_12 Depth=1
	v_ffbh_u32_e32 v1, v24
	v_min_u32_e32 v1, 32, v1
	v_subrev_nc_u32_e32 v2, 28, v1
	v_sub_nc_u32_e32 v1, 29, v1
	v_lshlrev_b64 v[2:3], v2, v[24:25]
	v_and_b32_e32 v24, 7, v2
; %bb.190:                              ;   in Loop: Header=BB187_12 Depth=1
	s_or_b32 exec_lo, exec_lo, s23
	v_lshlrev_b32_e32 v0, 16, v0
	v_lshlrev_b32_e32 v2, 20, v24
	v_lshl_add_u32 v1, v1, 23, 0x3c000000
	v_and_b32_e32 v0, 0x80000000, v0
	v_or3_b32 v1, v2, v0, v1
	v_mov_b32_e32 v0, v25
	buffer_store_dword v0, off, s[0:3], s32 offset:364 ; 4-byte Folded Spill
	buffer_store_dword v1, off, s[0:3], s32 offset:368 ; 4-byte Folded Spill
.LBB187_191:                            ;   in Loop: Header=BB187_12 Depth=1
	s_or_b32 exec_lo, exec_lo, s22
.LBB187_192:                            ;   in Loop: Header=BB187_12 Depth=1
	s_or_b32 exec_lo, exec_lo, s21
.LBB187_193:                            ;   in Loop: Header=BB187_12 Depth=1
	s_or_b32 exec_lo, exec_lo, s20
	flat_load_ushort v1, v[58:59] offset:524
	s_waitcnt vmcnt(0) lgkmcnt(0)
	v_and_b32_e32 v0, 0xffff, v1
	v_cmp_ne_u16_sdwa s6, v1, v25 src0_sel:BYTE_0 src1_sel:DWORD
	v_mov_b32_e32 v1, 0
	v_mov_b32_e32 v2, 0
	buffer_store_dword v1, off, s[0:3], s32 offset:380 ; 4-byte Folded Spill
	buffer_store_dword v2, off, s[0:3], s32 offset:384 ; 4-byte Folded Spill
	v_mov_b32_e32 v1, 0
	v_mov_b32_e32 v2, 0
	buffer_store_dword v1, off, s[0:3], s32 offset:372 ; 4-byte Folded Spill
	buffer_store_dword v2, off, s[0:3], s32 offset:376 ; 4-byte Folded Spill
	s_and_saveexec_b32 s20, s6
	s_cbranch_execz .LBB187_201
; %bb.194:                              ;   in Loop: Header=BB187_12 Depth=1
	v_bfrev_b32_e32 v1, 1
	v_mov_b32_e32 v2, 0
	v_cmp_ne_u16_sdwa s6, v0, v90 src0_sel:BYTE_0 src1_sel:DWORD
	buffer_store_dword v1, off, s[0:3], s32 offset:372 ; 4-byte Folded Spill
	buffer_store_dword v2, off, s[0:3], s32 offset:376 ; 4-byte Folded Spill
	s_and_saveexec_b32 s21, s6
	s_cbranch_execz .LBB187_200
; %bb.195:                              ;   in Loop: Header=BB187_12 Depth=1
	v_mov_b32_e32 v3, 0x7f800001
	v_and_b32_e32 v2, 0x7f, v0
	v_mov_b32_e32 v4, 0
	s_mov_b32 s22, exec_lo
	buffer_store_dword v3, off, s[0:3], s32 offset:372 ; 4-byte Folded Spill
	buffer_store_dword v4, off, s[0:3], s32 offset:376 ; 4-byte Folded Spill
	v_cmpx_ne_u32_e32 0x7f, v2
	s_cbranch_execz .LBB187_199
; %bb.196:                              ;   in Loop: Header=BB187_12 Depth=1
	v_and_b32_e32 v24, 7, v0
	v_lshrrev_b32_e32 v1, 3, v2
	s_mov_b32 s23, exec_lo
	v_cmpx_gt_u32_e32 8, v2
; %bb.197:                              ;   in Loop: Header=BB187_12 Depth=1
	v_ffbh_u32_e32 v1, v24
	v_min_u32_e32 v1, 32, v1
	v_subrev_nc_u32_e32 v2, 28, v1
	v_sub_nc_u32_e32 v1, 29, v1
	v_lshlrev_b64 v[2:3], v2, v[24:25]
	v_and_b32_e32 v24, 7, v2
; %bb.198:                              ;   in Loop: Header=BB187_12 Depth=1
	s_or_b32 exec_lo, exec_lo, s23
	v_lshlrev_b32_e32 v2, 24, v0
	v_lshlrev_b32_e32 v3, 20, v24
	v_lshl_add_u32 v1, v1, 23, 0x3c000000
	v_and_b32_e32 v2, 0x80000000, v2
	v_or3_b32 v24, v3, v2, v1
	buffer_store_dword v24, off, s[0:3], s32 offset:372 ; 4-byte Folded Spill
	buffer_store_dword v25, off, s[0:3], s32 offset:376 ; 4-byte Folded Spill
.LBB187_199:                            ;   in Loop: Header=BB187_12 Depth=1
	s_or_b32 exec_lo, exec_lo, s22
.LBB187_200:                            ;   in Loop: Header=BB187_12 Depth=1
	s_or_b32 exec_lo, exec_lo, s21
.LBB187_201:                            ;   in Loop: Header=BB187_12 Depth=1
	s_or_b32 exec_lo, exec_lo, s20
	v_cmp_ne_u16_sdwa s6, v0, v25 src0_sel:BYTE_1 src1_sel:DWORD
	s_and_saveexec_b32 s20, s6
	s_cbranch_execz .LBB187_209
; %bb.202:                              ;   in Loop: Header=BB187_12 Depth=1
	v_mov_b32_e32 v114, v25
	v_cmp_ne_u16_sdwa s6, v0, v90 src0_sel:BYTE_1 src1_sel:DWORD
	buffer_store_dword v114, off, s[0:3], s32 offset:380 ; 4-byte Folded Spill
	buffer_store_dword v115, off, s[0:3], s32 offset:384 ; 4-byte Folded Spill
	s_and_saveexec_b32 s21, s6
	s_cbranch_execz .LBB187_208
; %bb.203:                              ;   in Loop: Header=BB187_12 Depth=1
	v_mov_b32_e32 v1, 0xffff
	v_mov_b32_e32 v72, v25
	s_mov_b32 s22, exec_lo
	buffer_store_dword v72, off, s[0:3], s32 offset:380 ; 4-byte Folded Spill
	buffer_store_dword v73, off, s[0:3], s32 offset:384 ; 4-byte Folded Spill
	v_and_b32_sdwa v1, v1, v0 dst_sel:DWORD dst_unused:UNUSED_PAD src0_sel:DWORD src1_sel:BYTE_1
	v_and_b32_e32 v2, 0x7f, v1
	v_cmpx_ne_u32_e32 0x7f, v2
	s_cbranch_execz .LBB187_207
; %bb.204:                              ;   in Loop: Header=BB187_12 Depth=1
	v_and_b32_e32 v24, 7, v1
	v_lshrrev_b32_e32 v1, 3, v2
	s_mov_b32 s23, exec_lo
	v_cmpx_gt_u32_e32 8, v2
; %bb.205:                              ;   in Loop: Header=BB187_12 Depth=1
	v_ffbh_u32_e32 v1, v24
	v_min_u32_e32 v1, 32, v1
	v_subrev_nc_u32_e32 v2, 28, v1
	v_sub_nc_u32_e32 v1, 29, v1
	v_lshlrev_b64 v[2:3], v2, v[24:25]
	v_and_b32_e32 v24, 7, v2
; %bb.206:                              ;   in Loop: Header=BB187_12 Depth=1
	s_or_b32 exec_lo, exec_lo, s23
	v_lshlrev_b32_e32 v0, 16, v0
	v_lshlrev_b32_e32 v2, 20, v24
	v_lshl_add_u32 v1, v1, 23, 0x3c000000
	v_and_b32_e32 v0, 0x80000000, v0
	v_or3_b32 v1, v2, v0, v1
	v_mov_b32_e32 v0, v25
	buffer_store_dword v0, off, s[0:3], s32 offset:380 ; 4-byte Folded Spill
	buffer_store_dword v1, off, s[0:3], s32 offset:384 ; 4-byte Folded Spill
.LBB187_207:                            ;   in Loop: Header=BB187_12 Depth=1
	s_or_b32 exec_lo, exec_lo, s22
.LBB187_208:                            ;   in Loop: Header=BB187_12 Depth=1
	s_or_b32 exec_lo, exec_lo, s21
.LBB187_209:                            ;   in Loop: Header=BB187_12 Depth=1
	s_or_b32 exec_lo, exec_lo, s20
	flat_load_ushort v1, v[58:59] offset:768
	s_waitcnt vmcnt(0) lgkmcnt(0)
	v_and_b32_e32 v0, 0xffff, v1
	v_cmp_ne_u16_sdwa s6, v1, v25 src0_sel:BYTE_0 src1_sel:DWORD
	v_mov_b32_e32 v1, 0
	v_mov_b32_e32 v2, 0
	buffer_store_dword v1, off, s[0:3], s32 offset:396 ; 4-byte Folded Spill
	buffer_store_dword v2, off, s[0:3], s32 offset:400 ; 4-byte Folded Spill
	v_mov_b32_e32 v1, 0
	v_mov_b32_e32 v2, 0
	buffer_store_dword v1, off, s[0:3], s32 offset:388 ; 4-byte Folded Spill
	buffer_store_dword v2, off, s[0:3], s32 offset:392 ; 4-byte Folded Spill
	s_and_saveexec_b32 s20, s6
	s_cbranch_execz .LBB187_217
; %bb.210:                              ;   in Loop: Header=BB187_12 Depth=1
	v_bfrev_b32_e32 v1, 1
	v_mov_b32_e32 v2, 0
	v_cmp_ne_u16_sdwa s6, v0, v90 src0_sel:BYTE_0 src1_sel:DWORD
	buffer_store_dword v1, off, s[0:3], s32 offset:388 ; 4-byte Folded Spill
	buffer_store_dword v2, off, s[0:3], s32 offset:392 ; 4-byte Folded Spill
	s_and_saveexec_b32 s21, s6
	s_cbranch_execz .LBB187_216
; %bb.211:                              ;   in Loop: Header=BB187_12 Depth=1
	v_mov_b32_e32 v3, 0x7f800001
	v_and_b32_e32 v2, 0x7f, v0
	v_mov_b32_e32 v4, 0
	s_mov_b32 s22, exec_lo
	buffer_store_dword v3, off, s[0:3], s32 offset:388 ; 4-byte Folded Spill
	buffer_store_dword v4, off, s[0:3], s32 offset:392 ; 4-byte Folded Spill
	v_cmpx_ne_u32_e32 0x7f, v2
	s_cbranch_execz .LBB187_215
; %bb.212:                              ;   in Loop: Header=BB187_12 Depth=1
	v_and_b32_e32 v24, 7, v0
	v_lshrrev_b32_e32 v1, 3, v2
	s_mov_b32 s23, exec_lo
	v_cmpx_gt_u32_e32 8, v2
; %bb.213:                              ;   in Loop: Header=BB187_12 Depth=1
	v_ffbh_u32_e32 v1, v24
	v_min_u32_e32 v1, 32, v1
	v_subrev_nc_u32_e32 v2, 28, v1
	v_sub_nc_u32_e32 v1, 29, v1
	v_lshlrev_b64 v[2:3], v2, v[24:25]
	v_and_b32_e32 v24, 7, v2
; %bb.214:                              ;   in Loop: Header=BB187_12 Depth=1
	s_or_b32 exec_lo, exec_lo, s23
	v_lshlrev_b32_e32 v2, 24, v0
	v_lshlrev_b32_e32 v3, 20, v24
	v_lshl_add_u32 v1, v1, 23, 0x3c000000
	v_and_b32_e32 v2, 0x80000000, v2
	v_or3_b32 v24, v3, v2, v1
	buffer_store_dword v24, off, s[0:3], s32 offset:388 ; 4-byte Folded Spill
	buffer_store_dword v25, off, s[0:3], s32 offset:392 ; 4-byte Folded Spill
.LBB187_215:                            ;   in Loop: Header=BB187_12 Depth=1
	s_or_b32 exec_lo, exec_lo, s22
.LBB187_216:                            ;   in Loop: Header=BB187_12 Depth=1
	s_or_b32 exec_lo, exec_lo, s21
.LBB187_217:                            ;   in Loop: Header=BB187_12 Depth=1
	s_or_b32 exec_lo, exec_lo, s20
	v_cmp_ne_u16_sdwa s6, v0, v25 src0_sel:BYTE_1 src1_sel:DWORD
	s_and_saveexec_b32 s20, s6
	s_cbranch_execz .LBB187_225
; %bb.218:                              ;   in Loop: Header=BB187_12 Depth=1
	v_mov_b32_e32 v114, v25
	v_cmp_ne_u16_sdwa s6, v0, v90 src0_sel:BYTE_1 src1_sel:DWORD
	buffer_store_dword v114, off, s[0:3], s32 offset:396 ; 4-byte Folded Spill
	buffer_store_dword v115, off, s[0:3], s32 offset:400 ; 4-byte Folded Spill
	s_and_saveexec_b32 s21, s6
	s_cbranch_execz .LBB187_224
; %bb.219:                              ;   in Loop: Header=BB187_12 Depth=1
	v_mov_b32_e32 v1, 0xffff
	v_mov_b32_e32 v72, v25
	s_mov_b32 s22, exec_lo
	buffer_store_dword v72, off, s[0:3], s32 offset:396 ; 4-byte Folded Spill
	buffer_store_dword v73, off, s[0:3], s32 offset:400 ; 4-byte Folded Spill
	v_and_b32_sdwa v1, v1, v0 dst_sel:DWORD dst_unused:UNUSED_PAD src0_sel:DWORD src1_sel:BYTE_1
	v_and_b32_e32 v2, 0x7f, v1
	v_cmpx_ne_u32_e32 0x7f, v2
	s_cbranch_execz .LBB187_223
; %bb.220:                              ;   in Loop: Header=BB187_12 Depth=1
	v_and_b32_e32 v24, 7, v1
	v_lshrrev_b32_e32 v1, 3, v2
	s_mov_b32 s23, exec_lo
	v_cmpx_gt_u32_e32 8, v2
; %bb.221:                              ;   in Loop: Header=BB187_12 Depth=1
	v_ffbh_u32_e32 v1, v24
	v_min_u32_e32 v1, 32, v1
	v_subrev_nc_u32_e32 v2, 28, v1
	v_sub_nc_u32_e32 v1, 29, v1
	v_lshlrev_b64 v[2:3], v2, v[24:25]
	v_and_b32_e32 v24, 7, v2
; %bb.222:                              ;   in Loop: Header=BB187_12 Depth=1
	s_or_b32 exec_lo, exec_lo, s23
	v_lshlrev_b32_e32 v0, 16, v0
	v_lshlrev_b32_e32 v2, 20, v24
	v_lshl_add_u32 v1, v1, 23, 0x3c000000
	v_and_b32_e32 v0, 0x80000000, v0
	v_or3_b32 v1, v2, v0, v1
	v_mov_b32_e32 v0, v25
	buffer_store_dword v0, off, s[0:3], s32 offset:396 ; 4-byte Folded Spill
	buffer_store_dword v1, off, s[0:3], s32 offset:400 ; 4-byte Folded Spill
.LBB187_223:                            ;   in Loop: Header=BB187_12 Depth=1
	s_or_b32 exec_lo, exec_lo, s22
.LBB187_224:                            ;   in Loop: Header=BB187_12 Depth=1
	s_or_b32 exec_lo, exec_lo, s21
.LBB187_225:                            ;   in Loop: Header=BB187_12 Depth=1
	s_or_b32 exec_lo, exec_lo, s20
	flat_load_ushort v1, v[58:59] offset:772
	s_waitcnt vmcnt(0) lgkmcnt(0)
	v_and_b32_e32 v0, 0xffff, v1
	v_cmp_ne_u16_sdwa s6, v1, v25 src0_sel:BYTE_0 src1_sel:DWORD
	v_mov_b32_e32 v1, 0
	v_mov_b32_e32 v2, 0
	buffer_store_dword v1, off, s[0:3], s32 offset:412 ; 4-byte Folded Spill
	buffer_store_dword v2, off, s[0:3], s32 offset:416 ; 4-byte Folded Spill
	v_mov_b32_e32 v1, 0
	v_mov_b32_e32 v2, 0
	buffer_store_dword v1, off, s[0:3], s32 offset:404 ; 4-byte Folded Spill
	buffer_store_dword v2, off, s[0:3], s32 offset:408 ; 4-byte Folded Spill
	s_and_saveexec_b32 s20, s6
	s_cbranch_execz .LBB187_233
; %bb.226:                              ;   in Loop: Header=BB187_12 Depth=1
	v_bfrev_b32_e32 v1, 1
	v_mov_b32_e32 v2, 0
	v_cmp_ne_u16_sdwa s6, v0, v90 src0_sel:BYTE_0 src1_sel:DWORD
	buffer_store_dword v1, off, s[0:3], s32 offset:404 ; 4-byte Folded Spill
	buffer_store_dword v2, off, s[0:3], s32 offset:408 ; 4-byte Folded Spill
	s_and_saveexec_b32 s21, s6
	s_cbranch_execz .LBB187_232
; %bb.227:                              ;   in Loop: Header=BB187_12 Depth=1
	v_mov_b32_e32 v3, 0x7f800001
	v_and_b32_e32 v2, 0x7f, v0
	v_mov_b32_e32 v4, 0
	s_mov_b32 s22, exec_lo
	buffer_store_dword v3, off, s[0:3], s32 offset:404 ; 4-byte Folded Spill
	buffer_store_dword v4, off, s[0:3], s32 offset:408 ; 4-byte Folded Spill
	v_cmpx_ne_u32_e32 0x7f, v2
	s_cbranch_execz .LBB187_231
; %bb.228:                              ;   in Loop: Header=BB187_12 Depth=1
	v_and_b32_e32 v24, 7, v0
	v_lshrrev_b32_e32 v1, 3, v2
	s_mov_b32 s23, exec_lo
	v_cmpx_gt_u32_e32 8, v2
; %bb.229:                              ;   in Loop: Header=BB187_12 Depth=1
	v_ffbh_u32_e32 v1, v24
	v_min_u32_e32 v1, 32, v1
	v_subrev_nc_u32_e32 v2, 28, v1
	v_sub_nc_u32_e32 v1, 29, v1
	v_lshlrev_b64 v[2:3], v2, v[24:25]
	v_and_b32_e32 v24, 7, v2
; %bb.230:                              ;   in Loop: Header=BB187_12 Depth=1
	s_or_b32 exec_lo, exec_lo, s23
	v_lshlrev_b32_e32 v2, 24, v0
	v_lshlrev_b32_e32 v3, 20, v24
	v_lshl_add_u32 v1, v1, 23, 0x3c000000
	v_and_b32_e32 v2, 0x80000000, v2
	v_or3_b32 v24, v3, v2, v1
	buffer_store_dword v24, off, s[0:3], s32 offset:404 ; 4-byte Folded Spill
	buffer_store_dword v25, off, s[0:3], s32 offset:408 ; 4-byte Folded Spill
.LBB187_231:                            ;   in Loop: Header=BB187_12 Depth=1
	s_or_b32 exec_lo, exec_lo, s22
.LBB187_232:                            ;   in Loop: Header=BB187_12 Depth=1
	s_or_b32 exec_lo, exec_lo, s21
.LBB187_233:                            ;   in Loop: Header=BB187_12 Depth=1
	s_or_b32 exec_lo, exec_lo, s20
	v_cmp_ne_u16_sdwa s6, v0, v25 src0_sel:BYTE_1 src1_sel:DWORD
	s_and_saveexec_b32 s20, s6
	s_cbranch_execz .LBB187_241
; %bb.234:                              ;   in Loop: Header=BB187_12 Depth=1
	v_mov_b32_e32 v114, v25
	v_cmp_ne_u16_sdwa s6, v0, v90 src0_sel:BYTE_1 src1_sel:DWORD
	buffer_store_dword v114, off, s[0:3], s32 offset:412 ; 4-byte Folded Spill
	buffer_store_dword v115, off, s[0:3], s32 offset:416 ; 4-byte Folded Spill
	s_and_saveexec_b32 s21, s6
	s_cbranch_execz .LBB187_240
; %bb.235:                              ;   in Loop: Header=BB187_12 Depth=1
	v_mov_b32_e32 v1, 0xffff
	v_mov_b32_e32 v72, v25
	s_mov_b32 s22, exec_lo
	buffer_store_dword v72, off, s[0:3], s32 offset:412 ; 4-byte Folded Spill
	buffer_store_dword v73, off, s[0:3], s32 offset:416 ; 4-byte Folded Spill
	v_and_b32_sdwa v1, v1, v0 dst_sel:DWORD dst_unused:UNUSED_PAD src0_sel:DWORD src1_sel:BYTE_1
	v_and_b32_e32 v2, 0x7f, v1
	v_cmpx_ne_u32_e32 0x7f, v2
	s_cbranch_execz .LBB187_239
; %bb.236:                              ;   in Loop: Header=BB187_12 Depth=1
	v_and_b32_e32 v24, 7, v1
	v_lshrrev_b32_e32 v1, 3, v2
	s_mov_b32 s23, exec_lo
	v_cmpx_gt_u32_e32 8, v2
; %bb.237:                              ;   in Loop: Header=BB187_12 Depth=1
	v_ffbh_u32_e32 v1, v24
	v_min_u32_e32 v1, 32, v1
	v_subrev_nc_u32_e32 v2, 28, v1
	v_sub_nc_u32_e32 v1, 29, v1
	v_lshlrev_b64 v[2:3], v2, v[24:25]
	v_and_b32_e32 v24, 7, v2
; %bb.238:                              ;   in Loop: Header=BB187_12 Depth=1
	s_or_b32 exec_lo, exec_lo, s23
	v_lshlrev_b32_e32 v0, 16, v0
	v_lshlrev_b32_e32 v2, 20, v24
	v_lshl_add_u32 v1, v1, 23, 0x3c000000
	v_and_b32_e32 v0, 0x80000000, v0
	v_or3_b32 v1, v2, v0, v1
	v_mov_b32_e32 v0, v25
	buffer_store_dword v0, off, s[0:3], s32 offset:412 ; 4-byte Folded Spill
	buffer_store_dword v1, off, s[0:3], s32 offset:416 ; 4-byte Folded Spill
.LBB187_239:                            ;   in Loop: Header=BB187_12 Depth=1
	s_or_b32 exec_lo, exec_lo, s22
.LBB187_240:                            ;   in Loop: Header=BB187_12 Depth=1
	s_or_b32 exec_lo, exec_lo, s21
.LBB187_241:                            ;   in Loop: Header=BB187_12 Depth=1
	s_or_b32 exec_lo, exec_lo, s20
	flat_load_ushort v1, v[58:59] offset:776
	s_waitcnt vmcnt(0) lgkmcnt(0)
	v_and_b32_e32 v0, 0xffff, v1
	v_cmp_ne_u16_sdwa s6, v1, v25 src0_sel:BYTE_0 src1_sel:DWORD
	v_mov_b32_e32 v1, 0
	v_mov_b32_e32 v2, 0
	buffer_store_dword v1, off, s[0:3], s32 offset:428 ; 4-byte Folded Spill
	buffer_store_dword v2, off, s[0:3], s32 offset:432 ; 4-byte Folded Spill
	v_mov_b32_e32 v1, 0
	v_mov_b32_e32 v2, 0
	buffer_store_dword v1, off, s[0:3], s32 offset:420 ; 4-byte Folded Spill
	buffer_store_dword v2, off, s[0:3], s32 offset:424 ; 4-byte Folded Spill
	s_and_saveexec_b32 s20, s6
	s_cbranch_execz .LBB187_249
; %bb.242:                              ;   in Loop: Header=BB187_12 Depth=1
	v_bfrev_b32_e32 v1, 1
	v_mov_b32_e32 v2, 0
	v_cmp_ne_u16_sdwa s6, v0, v90 src0_sel:BYTE_0 src1_sel:DWORD
	buffer_store_dword v1, off, s[0:3], s32 offset:420 ; 4-byte Folded Spill
	buffer_store_dword v2, off, s[0:3], s32 offset:424 ; 4-byte Folded Spill
	s_and_saveexec_b32 s21, s6
	s_cbranch_execz .LBB187_248
; %bb.243:                              ;   in Loop: Header=BB187_12 Depth=1
	v_mov_b32_e32 v3, 0x7f800001
	v_and_b32_e32 v2, 0x7f, v0
	v_mov_b32_e32 v4, 0
	s_mov_b32 s22, exec_lo
	buffer_store_dword v3, off, s[0:3], s32 offset:420 ; 4-byte Folded Spill
	buffer_store_dword v4, off, s[0:3], s32 offset:424 ; 4-byte Folded Spill
	v_cmpx_ne_u32_e32 0x7f, v2
	s_cbranch_execz .LBB187_247
; %bb.244:                              ;   in Loop: Header=BB187_12 Depth=1
	v_and_b32_e32 v24, 7, v0
	v_lshrrev_b32_e32 v1, 3, v2
	s_mov_b32 s23, exec_lo
	v_cmpx_gt_u32_e32 8, v2
; %bb.245:                              ;   in Loop: Header=BB187_12 Depth=1
	v_ffbh_u32_e32 v1, v24
	v_min_u32_e32 v1, 32, v1
	v_subrev_nc_u32_e32 v2, 28, v1
	v_sub_nc_u32_e32 v1, 29, v1
	v_lshlrev_b64 v[2:3], v2, v[24:25]
	v_and_b32_e32 v24, 7, v2
; %bb.246:                              ;   in Loop: Header=BB187_12 Depth=1
	s_or_b32 exec_lo, exec_lo, s23
	v_lshlrev_b32_e32 v2, 24, v0
	v_lshlrev_b32_e32 v3, 20, v24
	v_lshl_add_u32 v1, v1, 23, 0x3c000000
	v_and_b32_e32 v2, 0x80000000, v2
	v_or3_b32 v24, v3, v2, v1
	buffer_store_dword v24, off, s[0:3], s32 offset:420 ; 4-byte Folded Spill
	buffer_store_dword v25, off, s[0:3], s32 offset:424 ; 4-byte Folded Spill
.LBB187_247:                            ;   in Loop: Header=BB187_12 Depth=1
	s_or_b32 exec_lo, exec_lo, s22
.LBB187_248:                            ;   in Loop: Header=BB187_12 Depth=1
	s_or_b32 exec_lo, exec_lo, s21
.LBB187_249:                            ;   in Loop: Header=BB187_12 Depth=1
	s_or_b32 exec_lo, exec_lo, s20
	v_cmp_ne_u16_sdwa s6, v0, v25 src0_sel:BYTE_1 src1_sel:DWORD
	s_and_saveexec_b32 s20, s6
	s_cbranch_execz .LBB187_257
; %bb.250:                              ;   in Loop: Header=BB187_12 Depth=1
	v_mov_b32_e32 v114, v25
	v_cmp_ne_u16_sdwa s6, v0, v90 src0_sel:BYTE_1 src1_sel:DWORD
	buffer_store_dword v114, off, s[0:3], s32 offset:428 ; 4-byte Folded Spill
	buffer_store_dword v115, off, s[0:3], s32 offset:432 ; 4-byte Folded Spill
	s_and_saveexec_b32 s21, s6
	s_cbranch_execz .LBB187_256
; %bb.251:                              ;   in Loop: Header=BB187_12 Depth=1
	v_mov_b32_e32 v1, 0xffff
	v_mov_b32_e32 v72, v25
	s_mov_b32 s22, exec_lo
	buffer_store_dword v72, off, s[0:3], s32 offset:428 ; 4-byte Folded Spill
	buffer_store_dword v73, off, s[0:3], s32 offset:432 ; 4-byte Folded Spill
	v_and_b32_sdwa v1, v1, v0 dst_sel:DWORD dst_unused:UNUSED_PAD src0_sel:DWORD src1_sel:BYTE_1
	v_and_b32_e32 v2, 0x7f, v1
	v_cmpx_ne_u32_e32 0x7f, v2
	s_cbranch_execz .LBB187_255
; %bb.252:                              ;   in Loop: Header=BB187_12 Depth=1
	v_and_b32_e32 v24, 7, v1
	v_lshrrev_b32_e32 v1, 3, v2
	s_mov_b32 s23, exec_lo
	v_cmpx_gt_u32_e32 8, v2
; %bb.253:                              ;   in Loop: Header=BB187_12 Depth=1
	v_ffbh_u32_e32 v1, v24
	v_min_u32_e32 v1, 32, v1
	v_subrev_nc_u32_e32 v2, 28, v1
	v_sub_nc_u32_e32 v1, 29, v1
	v_lshlrev_b64 v[2:3], v2, v[24:25]
	v_and_b32_e32 v24, 7, v2
; %bb.254:                              ;   in Loop: Header=BB187_12 Depth=1
	s_or_b32 exec_lo, exec_lo, s23
	v_lshlrev_b32_e32 v0, 16, v0
	v_lshlrev_b32_e32 v2, 20, v24
	v_lshl_add_u32 v1, v1, 23, 0x3c000000
	v_and_b32_e32 v0, 0x80000000, v0
	v_or3_b32 v1, v2, v0, v1
	v_mov_b32_e32 v0, v25
	buffer_store_dword v0, off, s[0:3], s32 offset:428 ; 4-byte Folded Spill
	buffer_store_dword v1, off, s[0:3], s32 offset:432 ; 4-byte Folded Spill
.LBB187_255:                            ;   in Loop: Header=BB187_12 Depth=1
	s_or_b32 exec_lo, exec_lo, s22
.LBB187_256:                            ;   in Loop: Header=BB187_12 Depth=1
	s_or_b32 exec_lo, exec_lo, s21
.LBB187_257:                            ;   in Loop: Header=BB187_12 Depth=1
	s_or_b32 exec_lo, exec_lo, s20
	flat_load_ushort v1, v[58:59] offset:780
	s_waitcnt vmcnt(0) lgkmcnt(0)
	v_and_b32_e32 v0, 0xffff, v1
	v_cmp_ne_u16_sdwa s6, v1, v25 src0_sel:BYTE_0 src1_sel:DWORD
	v_mov_b32_e32 v1, 0
	v_mov_b32_e32 v2, 0
	buffer_store_dword v1, off, s[0:3], s32 offset:444 ; 4-byte Folded Spill
	buffer_store_dword v2, off, s[0:3], s32 offset:448 ; 4-byte Folded Spill
	v_mov_b32_e32 v1, 0
	v_mov_b32_e32 v2, 0
	buffer_store_dword v1, off, s[0:3], s32 offset:436 ; 4-byte Folded Spill
	buffer_store_dword v2, off, s[0:3], s32 offset:440 ; 4-byte Folded Spill
	s_and_saveexec_b32 s20, s6
	s_cbranch_execz .LBB187_265
; %bb.258:                              ;   in Loop: Header=BB187_12 Depth=1
	v_bfrev_b32_e32 v1, 1
	v_mov_b32_e32 v2, 0
	v_cmp_ne_u16_sdwa s6, v0, v90 src0_sel:BYTE_0 src1_sel:DWORD
	buffer_store_dword v1, off, s[0:3], s32 offset:436 ; 4-byte Folded Spill
	buffer_store_dword v2, off, s[0:3], s32 offset:440 ; 4-byte Folded Spill
	s_and_saveexec_b32 s21, s6
	s_cbranch_execz .LBB187_264
; %bb.259:                              ;   in Loop: Header=BB187_12 Depth=1
	v_mov_b32_e32 v3, 0x7f800001
	v_and_b32_e32 v2, 0x7f, v0
	v_mov_b32_e32 v4, 0
	s_mov_b32 s22, exec_lo
	buffer_store_dword v3, off, s[0:3], s32 offset:436 ; 4-byte Folded Spill
	buffer_store_dword v4, off, s[0:3], s32 offset:440 ; 4-byte Folded Spill
	v_cmpx_ne_u32_e32 0x7f, v2
	s_cbranch_execz .LBB187_263
; %bb.260:                              ;   in Loop: Header=BB187_12 Depth=1
	v_and_b32_e32 v24, 7, v0
	v_lshrrev_b32_e32 v1, 3, v2
	s_mov_b32 s23, exec_lo
	v_cmpx_gt_u32_e32 8, v2
; %bb.261:                              ;   in Loop: Header=BB187_12 Depth=1
	v_ffbh_u32_e32 v1, v24
	v_min_u32_e32 v1, 32, v1
	v_subrev_nc_u32_e32 v2, 28, v1
	v_sub_nc_u32_e32 v1, 29, v1
	v_lshlrev_b64 v[2:3], v2, v[24:25]
	v_and_b32_e32 v24, 7, v2
; %bb.262:                              ;   in Loop: Header=BB187_12 Depth=1
	s_or_b32 exec_lo, exec_lo, s23
	v_lshlrev_b32_e32 v2, 24, v0
	v_lshlrev_b32_e32 v3, 20, v24
	v_lshl_add_u32 v1, v1, 23, 0x3c000000
	v_and_b32_e32 v2, 0x80000000, v2
	v_or3_b32 v24, v3, v2, v1
	buffer_store_dword v24, off, s[0:3], s32 offset:436 ; 4-byte Folded Spill
	buffer_store_dword v25, off, s[0:3], s32 offset:440 ; 4-byte Folded Spill
.LBB187_263:                            ;   in Loop: Header=BB187_12 Depth=1
	s_or_b32 exec_lo, exec_lo, s22
.LBB187_264:                            ;   in Loop: Header=BB187_12 Depth=1
	s_or_b32 exec_lo, exec_lo, s21
.LBB187_265:                            ;   in Loop: Header=BB187_12 Depth=1
	s_or_b32 exec_lo, exec_lo, s20
	v_cmp_ne_u16_sdwa s6, v0, v25 src0_sel:BYTE_1 src1_sel:DWORD
	s_and_saveexec_b32 s20, s6
	s_cbranch_execz .LBB187_273
; %bb.266:                              ;   in Loop: Header=BB187_12 Depth=1
	v_mov_b32_e32 v114, v25
	v_cmp_ne_u16_sdwa s6, v0, v90 src0_sel:BYTE_1 src1_sel:DWORD
	buffer_store_dword v114, off, s[0:3], s32 offset:444 ; 4-byte Folded Spill
	buffer_store_dword v115, off, s[0:3], s32 offset:448 ; 4-byte Folded Spill
	s_and_saveexec_b32 s21, s6
	s_cbranch_execz .LBB187_272
; %bb.267:                              ;   in Loop: Header=BB187_12 Depth=1
	v_mov_b32_e32 v1, 0xffff
	v_mov_b32_e32 v72, v25
	s_mov_b32 s22, exec_lo
	buffer_store_dword v72, off, s[0:3], s32 offset:444 ; 4-byte Folded Spill
	buffer_store_dword v73, off, s[0:3], s32 offset:448 ; 4-byte Folded Spill
	v_and_b32_sdwa v1, v1, v0 dst_sel:DWORD dst_unused:UNUSED_PAD src0_sel:DWORD src1_sel:BYTE_1
	v_and_b32_e32 v2, 0x7f, v1
	v_cmpx_ne_u32_e32 0x7f, v2
	s_cbranch_execz .LBB187_271
; %bb.268:                              ;   in Loop: Header=BB187_12 Depth=1
	v_and_b32_e32 v24, 7, v1
	v_lshrrev_b32_e32 v1, 3, v2
	s_mov_b32 s23, exec_lo
	v_cmpx_gt_u32_e32 8, v2
; %bb.269:                              ;   in Loop: Header=BB187_12 Depth=1
	v_ffbh_u32_e32 v1, v24
	v_min_u32_e32 v1, 32, v1
	v_subrev_nc_u32_e32 v2, 28, v1
	v_sub_nc_u32_e32 v1, 29, v1
	v_lshlrev_b64 v[2:3], v2, v[24:25]
	v_and_b32_e32 v24, 7, v2
; %bb.270:                              ;   in Loop: Header=BB187_12 Depth=1
	s_or_b32 exec_lo, exec_lo, s23
	v_lshlrev_b32_e32 v0, 16, v0
	v_lshlrev_b32_e32 v2, 20, v24
	v_lshl_add_u32 v1, v1, 23, 0x3c000000
	v_and_b32_e32 v0, 0x80000000, v0
	v_or3_b32 v1, v2, v0, v1
	v_mov_b32_e32 v0, v25
	buffer_store_dword v0, off, s[0:3], s32 offset:444 ; 4-byte Folded Spill
	buffer_store_dword v1, off, s[0:3], s32 offset:448 ; 4-byte Folded Spill
.LBB187_271:                            ;   in Loop: Header=BB187_12 Depth=1
	s_or_b32 exec_lo, exec_lo, s22
.LBB187_272:                            ;   in Loop: Header=BB187_12 Depth=1
	s_or_b32 exec_lo, exec_lo, s21
.LBB187_273:                            ;   in Loop: Header=BB187_12 Depth=1
	s_or_b32 exec_lo, exec_lo, s20
	flat_load_ushort v1, v[58:59] offset:1024
	s_waitcnt vmcnt(0) lgkmcnt(0)
	v_and_b32_e32 v0, 0xffff, v1
	v_cmp_ne_u16_sdwa s6, v1, v25 src0_sel:BYTE_0 src1_sel:DWORD
	v_mov_b32_e32 v1, 0
	v_mov_b32_e32 v2, 0
	buffer_store_dword v1, off, s[0:3], s32 offset:460 ; 4-byte Folded Spill
	buffer_store_dword v2, off, s[0:3], s32 offset:464 ; 4-byte Folded Spill
	v_mov_b32_e32 v1, 0
	v_mov_b32_e32 v2, 0
	buffer_store_dword v1, off, s[0:3], s32 offset:452 ; 4-byte Folded Spill
	buffer_store_dword v2, off, s[0:3], s32 offset:456 ; 4-byte Folded Spill
	s_and_saveexec_b32 s20, s6
	s_cbranch_execz .LBB187_281
; %bb.274:                              ;   in Loop: Header=BB187_12 Depth=1
	v_bfrev_b32_e32 v1, 1
	v_mov_b32_e32 v2, 0
	v_cmp_ne_u16_sdwa s6, v0, v90 src0_sel:BYTE_0 src1_sel:DWORD
	buffer_store_dword v1, off, s[0:3], s32 offset:452 ; 4-byte Folded Spill
	buffer_store_dword v2, off, s[0:3], s32 offset:456 ; 4-byte Folded Spill
	s_and_saveexec_b32 s21, s6
	s_cbranch_execz .LBB187_280
; %bb.275:                              ;   in Loop: Header=BB187_12 Depth=1
	v_mov_b32_e32 v3, 0x7f800001
	v_and_b32_e32 v2, 0x7f, v0
	v_mov_b32_e32 v4, 0
	s_mov_b32 s22, exec_lo
	buffer_store_dword v3, off, s[0:3], s32 offset:452 ; 4-byte Folded Spill
	buffer_store_dword v4, off, s[0:3], s32 offset:456 ; 4-byte Folded Spill
	v_cmpx_ne_u32_e32 0x7f, v2
	s_cbranch_execz .LBB187_279
; %bb.276:                              ;   in Loop: Header=BB187_12 Depth=1
	v_and_b32_e32 v24, 7, v0
	v_lshrrev_b32_e32 v1, 3, v2
	s_mov_b32 s23, exec_lo
	v_cmpx_gt_u32_e32 8, v2
; %bb.277:                              ;   in Loop: Header=BB187_12 Depth=1
	v_ffbh_u32_e32 v1, v24
	v_min_u32_e32 v1, 32, v1
	v_subrev_nc_u32_e32 v2, 28, v1
	v_sub_nc_u32_e32 v1, 29, v1
	v_lshlrev_b64 v[2:3], v2, v[24:25]
	v_and_b32_e32 v24, 7, v2
; %bb.278:                              ;   in Loop: Header=BB187_12 Depth=1
	s_or_b32 exec_lo, exec_lo, s23
	v_lshlrev_b32_e32 v2, 24, v0
	v_lshlrev_b32_e32 v3, 20, v24
	v_lshl_add_u32 v1, v1, 23, 0x3c000000
	v_and_b32_e32 v2, 0x80000000, v2
	v_or3_b32 v24, v3, v2, v1
	buffer_store_dword v24, off, s[0:3], s32 offset:452 ; 4-byte Folded Spill
	buffer_store_dword v25, off, s[0:3], s32 offset:456 ; 4-byte Folded Spill
.LBB187_279:                            ;   in Loop: Header=BB187_12 Depth=1
	s_or_b32 exec_lo, exec_lo, s22
.LBB187_280:                            ;   in Loop: Header=BB187_12 Depth=1
	s_or_b32 exec_lo, exec_lo, s21
.LBB187_281:                            ;   in Loop: Header=BB187_12 Depth=1
	s_or_b32 exec_lo, exec_lo, s20
	v_cmp_ne_u16_sdwa s6, v0, v25 src0_sel:BYTE_1 src1_sel:DWORD
	s_and_saveexec_b32 s20, s6
	s_cbranch_execz .LBB187_289
; %bb.282:                              ;   in Loop: Header=BB187_12 Depth=1
	v_mov_b32_e32 v114, v25
	v_cmp_ne_u16_sdwa s6, v0, v90 src0_sel:BYTE_1 src1_sel:DWORD
	buffer_store_dword v114, off, s[0:3], s32 offset:460 ; 4-byte Folded Spill
	buffer_store_dword v115, off, s[0:3], s32 offset:464 ; 4-byte Folded Spill
	s_and_saveexec_b32 s21, s6
	s_cbranch_execz .LBB187_288
; %bb.283:                              ;   in Loop: Header=BB187_12 Depth=1
	v_mov_b32_e32 v1, 0xffff
	v_mov_b32_e32 v72, v25
	s_mov_b32 s22, exec_lo
	buffer_store_dword v72, off, s[0:3], s32 offset:460 ; 4-byte Folded Spill
	buffer_store_dword v73, off, s[0:3], s32 offset:464 ; 4-byte Folded Spill
	v_and_b32_sdwa v1, v1, v0 dst_sel:DWORD dst_unused:UNUSED_PAD src0_sel:DWORD src1_sel:BYTE_1
	v_and_b32_e32 v2, 0x7f, v1
	v_cmpx_ne_u32_e32 0x7f, v2
	s_cbranch_execz .LBB187_287
; %bb.284:                              ;   in Loop: Header=BB187_12 Depth=1
	v_and_b32_e32 v24, 7, v1
	v_lshrrev_b32_e32 v1, 3, v2
	s_mov_b32 s23, exec_lo
	v_cmpx_gt_u32_e32 8, v2
; %bb.285:                              ;   in Loop: Header=BB187_12 Depth=1
	v_ffbh_u32_e32 v1, v24
	v_min_u32_e32 v1, 32, v1
	v_subrev_nc_u32_e32 v2, 28, v1
	v_sub_nc_u32_e32 v1, 29, v1
	v_lshlrev_b64 v[2:3], v2, v[24:25]
	v_and_b32_e32 v24, 7, v2
; %bb.286:                              ;   in Loop: Header=BB187_12 Depth=1
	s_or_b32 exec_lo, exec_lo, s23
	v_lshlrev_b32_e32 v0, 16, v0
	v_lshlrev_b32_e32 v2, 20, v24
	v_lshl_add_u32 v1, v1, 23, 0x3c000000
	v_and_b32_e32 v0, 0x80000000, v0
	v_or3_b32 v1, v2, v0, v1
	v_mov_b32_e32 v0, v25
	buffer_store_dword v0, off, s[0:3], s32 offset:460 ; 4-byte Folded Spill
	buffer_store_dword v1, off, s[0:3], s32 offset:464 ; 4-byte Folded Spill
.LBB187_287:                            ;   in Loop: Header=BB187_12 Depth=1
	s_or_b32 exec_lo, exec_lo, s22
.LBB187_288:                            ;   in Loop: Header=BB187_12 Depth=1
	s_or_b32 exec_lo, exec_lo, s21
.LBB187_289:                            ;   in Loop: Header=BB187_12 Depth=1
	s_or_b32 exec_lo, exec_lo, s20
	flat_load_ushort v1, v[58:59] offset:1028
	s_waitcnt vmcnt(0) lgkmcnt(0)
	v_and_b32_e32 v0, 0xffff, v1
	v_cmp_ne_u16_sdwa s6, v1, v25 src0_sel:BYTE_0 src1_sel:DWORD
	v_mov_b32_e32 v1, 0
	v_mov_b32_e32 v2, 0
	buffer_store_dword v1, off, s[0:3], s32 offset:476 ; 4-byte Folded Spill
	buffer_store_dword v2, off, s[0:3], s32 offset:480 ; 4-byte Folded Spill
	v_mov_b32_e32 v1, 0
	v_mov_b32_e32 v2, 0
	buffer_store_dword v1, off, s[0:3], s32 offset:468 ; 4-byte Folded Spill
	buffer_store_dword v2, off, s[0:3], s32 offset:472 ; 4-byte Folded Spill
	s_and_saveexec_b32 s20, s6
	s_cbranch_execz .LBB187_297
; %bb.290:                              ;   in Loop: Header=BB187_12 Depth=1
	v_bfrev_b32_e32 v1, 1
	v_mov_b32_e32 v2, 0
	v_cmp_ne_u16_sdwa s6, v0, v90 src0_sel:BYTE_0 src1_sel:DWORD
	buffer_store_dword v1, off, s[0:3], s32 offset:468 ; 4-byte Folded Spill
	buffer_store_dword v2, off, s[0:3], s32 offset:472 ; 4-byte Folded Spill
	s_and_saveexec_b32 s21, s6
	s_cbranch_execz .LBB187_296
; %bb.291:                              ;   in Loop: Header=BB187_12 Depth=1
	v_mov_b32_e32 v3, 0x7f800001
	v_and_b32_e32 v2, 0x7f, v0
	v_mov_b32_e32 v4, 0
	s_mov_b32 s22, exec_lo
	buffer_store_dword v3, off, s[0:3], s32 offset:468 ; 4-byte Folded Spill
	buffer_store_dword v4, off, s[0:3], s32 offset:472 ; 4-byte Folded Spill
	v_cmpx_ne_u32_e32 0x7f, v2
	s_cbranch_execz .LBB187_295
; %bb.292:                              ;   in Loop: Header=BB187_12 Depth=1
	v_and_b32_e32 v24, 7, v0
	v_lshrrev_b32_e32 v1, 3, v2
	s_mov_b32 s23, exec_lo
	v_cmpx_gt_u32_e32 8, v2
; %bb.293:                              ;   in Loop: Header=BB187_12 Depth=1
	v_ffbh_u32_e32 v1, v24
	v_min_u32_e32 v1, 32, v1
	v_subrev_nc_u32_e32 v2, 28, v1
	v_sub_nc_u32_e32 v1, 29, v1
	v_lshlrev_b64 v[2:3], v2, v[24:25]
	v_and_b32_e32 v24, 7, v2
; %bb.294:                              ;   in Loop: Header=BB187_12 Depth=1
	s_or_b32 exec_lo, exec_lo, s23
	v_lshlrev_b32_e32 v2, 24, v0
	v_lshlrev_b32_e32 v3, 20, v24
	v_lshl_add_u32 v1, v1, 23, 0x3c000000
	v_and_b32_e32 v2, 0x80000000, v2
	v_or3_b32 v24, v3, v2, v1
	buffer_store_dword v24, off, s[0:3], s32 offset:468 ; 4-byte Folded Spill
	buffer_store_dword v25, off, s[0:3], s32 offset:472 ; 4-byte Folded Spill
.LBB187_295:                            ;   in Loop: Header=BB187_12 Depth=1
	s_or_b32 exec_lo, exec_lo, s22
.LBB187_296:                            ;   in Loop: Header=BB187_12 Depth=1
	s_or_b32 exec_lo, exec_lo, s21
.LBB187_297:                            ;   in Loop: Header=BB187_12 Depth=1
	s_or_b32 exec_lo, exec_lo, s20
	v_cmp_ne_u16_sdwa s6, v0, v25 src0_sel:BYTE_1 src1_sel:DWORD
	s_and_saveexec_b32 s20, s6
	s_cbranch_execz .LBB187_305
; %bb.298:                              ;   in Loop: Header=BB187_12 Depth=1
	v_mov_b32_e32 v114, v25
	v_cmp_ne_u16_sdwa s6, v0, v90 src0_sel:BYTE_1 src1_sel:DWORD
	buffer_store_dword v114, off, s[0:3], s32 offset:476 ; 4-byte Folded Spill
	buffer_store_dword v115, off, s[0:3], s32 offset:480 ; 4-byte Folded Spill
	s_and_saveexec_b32 s21, s6
	s_cbranch_execz .LBB187_304
; %bb.299:                              ;   in Loop: Header=BB187_12 Depth=1
	v_mov_b32_e32 v1, 0xffff
	v_mov_b32_e32 v72, v25
	s_mov_b32 s22, exec_lo
	buffer_store_dword v72, off, s[0:3], s32 offset:476 ; 4-byte Folded Spill
	buffer_store_dword v73, off, s[0:3], s32 offset:480 ; 4-byte Folded Spill
	v_and_b32_sdwa v1, v1, v0 dst_sel:DWORD dst_unused:UNUSED_PAD src0_sel:DWORD src1_sel:BYTE_1
	v_and_b32_e32 v2, 0x7f, v1
	v_cmpx_ne_u32_e32 0x7f, v2
	s_cbranch_execz .LBB187_303
; %bb.300:                              ;   in Loop: Header=BB187_12 Depth=1
	v_and_b32_e32 v24, 7, v1
	v_lshrrev_b32_e32 v1, 3, v2
	s_mov_b32 s23, exec_lo
	v_cmpx_gt_u32_e32 8, v2
; %bb.301:                              ;   in Loop: Header=BB187_12 Depth=1
	v_ffbh_u32_e32 v1, v24
	v_min_u32_e32 v1, 32, v1
	v_subrev_nc_u32_e32 v2, 28, v1
	v_sub_nc_u32_e32 v1, 29, v1
	v_lshlrev_b64 v[2:3], v2, v[24:25]
	v_and_b32_e32 v24, 7, v2
; %bb.302:                              ;   in Loop: Header=BB187_12 Depth=1
	s_or_b32 exec_lo, exec_lo, s23
	v_lshlrev_b32_e32 v0, 16, v0
	v_lshlrev_b32_e32 v2, 20, v24
	v_lshl_add_u32 v1, v1, 23, 0x3c000000
	v_and_b32_e32 v0, 0x80000000, v0
	v_or3_b32 v1, v2, v0, v1
	v_mov_b32_e32 v0, v25
	buffer_store_dword v0, off, s[0:3], s32 offset:476 ; 4-byte Folded Spill
	buffer_store_dword v1, off, s[0:3], s32 offset:480 ; 4-byte Folded Spill
.LBB187_303:                            ;   in Loop: Header=BB187_12 Depth=1
	s_or_b32 exec_lo, exec_lo, s22
.LBB187_304:                            ;   in Loop: Header=BB187_12 Depth=1
	s_or_b32 exec_lo, exec_lo, s21
.LBB187_305:                            ;   in Loop: Header=BB187_12 Depth=1
	s_or_b32 exec_lo, exec_lo, s20
	flat_load_ushort v1, v[58:59] offset:1032
	s_waitcnt vmcnt(0) lgkmcnt(0)
	v_and_b32_e32 v0, 0xffff, v1
	v_cmp_ne_u16_sdwa s6, v1, v25 src0_sel:BYTE_0 src1_sel:DWORD
	v_mov_b32_e32 v1, 0
	v_mov_b32_e32 v2, 0
	buffer_store_dword v1, off, s[0:3], s32 offset:492 ; 4-byte Folded Spill
	buffer_store_dword v2, off, s[0:3], s32 offset:496 ; 4-byte Folded Spill
	v_mov_b32_e32 v1, 0
	v_mov_b32_e32 v2, 0
	buffer_store_dword v1, off, s[0:3], s32 offset:484 ; 4-byte Folded Spill
	buffer_store_dword v2, off, s[0:3], s32 offset:488 ; 4-byte Folded Spill
	s_and_saveexec_b32 s20, s6
	s_cbranch_execz .LBB187_313
; %bb.306:                              ;   in Loop: Header=BB187_12 Depth=1
	v_bfrev_b32_e32 v1, 1
	v_mov_b32_e32 v2, 0
	v_cmp_ne_u16_sdwa s6, v0, v90 src0_sel:BYTE_0 src1_sel:DWORD
	buffer_store_dword v1, off, s[0:3], s32 offset:484 ; 4-byte Folded Spill
	buffer_store_dword v2, off, s[0:3], s32 offset:488 ; 4-byte Folded Spill
	s_and_saveexec_b32 s21, s6
	s_cbranch_execz .LBB187_312
; %bb.307:                              ;   in Loop: Header=BB187_12 Depth=1
	v_mov_b32_e32 v3, 0x7f800001
	v_and_b32_e32 v2, 0x7f, v0
	v_mov_b32_e32 v4, 0
	s_mov_b32 s22, exec_lo
	buffer_store_dword v3, off, s[0:3], s32 offset:484 ; 4-byte Folded Spill
	buffer_store_dword v4, off, s[0:3], s32 offset:488 ; 4-byte Folded Spill
	v_cmpx_ne_u32_e32 0x7f, v2
	s_cbranch_execz .LBB187_311
; %bb.308:                              ;   in Loop: Header=BB187_12 Depth=1
	v_and_b32_e32 v24, 7, v0
	v_lshrrev_b32_e32 v1, 3, v2
	s_mov_b32 s23, exec_lo
	v_cmpx_gt_u32_e32 8, v2
; %bb.309:                              ;   in Loop: Header=BB187_12 Depth=1
	v_ffbh_u32_e32 v1, v24
	v_min_u32_e32 v1, 32, v1
	v_subrev_nc_u32_e32 v2, 28, v1
	v_sub_nc_u32_e32 v1, 29, v1
	v_lshlrev_b64 v[2:3], v2, v[24:25]
	v_and_b32_e32 v24, 7, v2
; %bb.310:                              ;   in Loop: Header=BB187_12 Depth=1
	s_or_b32 exec_lo, exec_lo, s23
	v_lshlrev_b32_e32 v2, 24, v0
	v_lshlrev_b32_e32 v3, 20, v24
	v_lshl_add_u32 v1, v1, 23, 0x3c000000
	v_and_b32_e32 v2, 0x80000000, v2
	v_or3_b32 v24, v3, v2, v1
	buffer_store_dword v24, off, s[0:3], s32 offset:484 ; 4-byte Folded Spill
	buffer_store_dword v25, off, s[0:3], s32 offset:488 ; 4-byte Folded Spill
.LBB187_311:                            ;   in Loop: Header=BB187_12 Depth=1
	s_or_b32 exec_lo, exec_lo, s22
.LBB187_312:                            ;   in Loop: Header=BB187_12 Depth=1
	s_or_b32 exec_lo, exec_lo, s21
.LBB187_313:                            ;   in Loop: Header=BB187_12 Depth=1
	s_or_b32 exec_lo, exec_lo, s20
	v_cmp_ne_u16_sdwa s6, v0, v25 src0_sel:BYTE_1 src1_sel:DWORD
	s_and_saveexec_b32 s20, s6
	s_cbranch_execz .LBB187_321
; %bb.314:                              ;   in Loop: Header=BB187_12 Depth=1
	v_mov_b32_e32 v114, v25
	v_cmp_ne_u16_sdwa s6, v0, v90 src0_sel:BYTE_1 src1_sel:DWORD
	buffer_store_dword v114, off, s[0:3], s32 offset:492 ; 4-byte Folded Spill
	buffer_store_dword v115, off, s[0:3], s32 offset:496 ; 4-byte Folded Spill
	s_and_saveexec_b32 s21, s6
	s_cbranch_execz .LBB187_320
; %bb.315:                              ;   in Loop: Header=BB187_12 Depth=1
	v_mov_b32_e32 v1, 0xffff
	v_mov_b32_e32 v72, v25
	s_mov_b32 s22, exec_lo
	buffer_store_dword v72, off, s[0:3], s32 offset:492 ; 4-byte Folded Spill
	buffer_store_dword v73, off, s[0:3], s32 offset:496 ; 4-byte Folded Spill
	v_and_b32_sdwa v1, v1, v0 dst_sel:DWORD dst_unused:UNUSED_PAD src0_sel:DWORD src1_sel:BYTE_1
	v_and_b32_e32 v2, 0x7f, v1
	v_cmpx_ne_u32_e32 0x7f, v2
	s_cbranch_execz .LBB187_319
; %bb.316:                              ;   in Loop: Header=BB187_12 Depth=1
	v_and_b32_e32 v24, 7, v1
	v_lshrrev_b32_e32 v1, 3, v2
	s_mov_b32 s23, exec_lo
	v_cmpx_gt_u32_e32 8, v2
; %bb.317:                              ;   in Loop: Header=BB187_12 Depth=1
	v_ffbh_u32_e32 v1, v24
	v_min_u32_e32 v1, 32, v1
	v_subrev_nc_u32_e32 v2, 28, v1
	v_sub_nc_u32_e32 v1, 29, v1
	v_lshlrev_b64 v[2:3], v2, v[24:25]
	v_and_b32_e32 v24, 7, v2
; %bb.318:                              ;   in Loop: Header=BB187_12 Depth=1
	s_or_b32 exec_lo, exec_lo, s23
	v_lshlrev_b32_e32 v0, 16, v0
	v_lshlrev_b32_e32 v2, 20, v24
	v_lshl_add_u32 v1, v1, 23, 0x3c000000
	v_and_b32_e32 v0, 0x80000000, v0
	v_or3_b32 v1, v2, v0, v1
	v_mov_b32_e32 v0, v25
	buffer_store_dword v0, off, s[0:3], s32 offset:492 ; 4-byte Folded Spill
	buffer_store_dword v1, off, s[0:3], s32 offset:496 ; 4-byte Folded Spill
.LBB187_319:                            ;   in Loop: Header=BB187_12 Depth=1
	s_or_b32 exec_lo, exec_lo, s22
.LBB187_320:                            ;   in Loop: Header=BB187_12 Depth=1
	s_or_b32 exec_lo, exec_lo, s21
.LBB187_321:                            ;   in Loop: Header=BB187_12 Depth=1
	s_or_b32 exec_lo, exec_lo, s20
	flat_load_ushort v1, v[58:59] offset:1036
	s_waitcnt vmcnt(0) lgkmcnt(0)
	v_and_b32_e32 v0, 0xffff, v1
	v_cmp_ne_u16_sdwa s6, v1, v25 src0_sel:BYTE_0 src1_sel:DWORD
	v_mov_b32_e32 v1, 0
	v_mov_b32_e32 v2, 0
	buffer_store_dword v1, off, s[0:3], s32 offset:508 ; 4-byte Folded Spill
	buffer_store_dword v2, off, s[0:3], s32 offset:512 ; 4-byte Folded Spill
	v_mov_b32_e32 v1, 0
	v_mov_b32_e32 v2, 0
	buffer_store_dword v1, off, s[0:3], s32 offset:500 ; 4-byte Folded Spill
	buffer_store_dword v2, off, s[0:3], s32 offset:504 ; 4-byte Folded Spill
	s_and_saveexec_b32 s20, s6
	s_cbranch_execz .LBB187_329
; %bb.322:                              ;   in Loop: Header=BB187_12 Depth=1
	v_bfrev_b32_e32 v1, 1
	v_mov_b32_e32 v2, 0
	v_cmp_ne_u16_sdwa s6, v0, v90 src0_sel:BYTE_0 src1_sel:DWORD
	buffer_store_dword v1, off, s[0:3], s32 offset:500 ; 4-byte Folded Spill
	buffer_store_dword v2, off, s[0:3], s32 offset:504 ; 4-byte Folded Spill
	s_and_saveexec_b32 s21, s6
	s_cbranch_execz .LBB187_328
; %bb.323:                              ;   in Loop: Header=BB187_12 Depth=1
	v_mov_b32_e32 v3, 0x7f800001
	v_and_b32_e32 v2, 0x7f, v0
	v_mov_b32_e32 v4, 0
	s_mov_b32 s22, exec_lo
	buffer_store_dword v3, off, s[0:3], s32 offset:500 ; 4-byte Folded Spill
	buffer_store_dword v4, off, s[0:3], s32 offset:504 ; 4-byte Folded Spill
	v_cmpx_ne_u32_e32 0x7f, v2
	s_cbranch_execz .LBB187_327
; %bb.324:                              ;   in Loop: Header=BB187_12 Depth=1
	v_and_b32_e32 v24, 7, v0
	v_lshrrev_b32_e32 v1, 3, v2
	s_mov_b32 s23, exec_lo
	v_cmpx_gt_u32_e32 8, v2
; %bb.325:                              ;   in Loop: Header=BB187_12 Depth=1
	v_ffbh_u32_e32 v1, v24
	v_min_u32_e32 v1, 32, v1
	v_subrev_nc_u32_e32 v2, 28, v1
	v_sub_nc_u32_e32 v1, 29, v1
	v_lshlrev_b64 v[2:3], v2, v[24:25]
	v_and_b32_e32 v24, 7, v2
; %bb.326:                              ;   in Loop: Header=BB187_12 Depth=1
	s_or_b32 exec_lo, exec_lo, s23
	v_lshlrev_b32_e32 v2, 24, v0
	v_lshlrev_b32_e32 v3, 20, v24
	v_lshl_add_u32 v1, v1, 23, 0x3c000000
	v_and_b32_e32 v2, 0x80000000, v2
	v_or3_b32 v24, v3, v2, v1
	buffer_store_dword v24, off, s[0:3], s32 offset:500 ; 4-byte Folded Spill
	buffer_store_dword v25, off, s[0:3], s32 offset:504 ; 4-byte Folded Spill
.LBB187_327:                            ;   in Loop: Header=BB187_12 Depth=1
	s_or_b32 exec_lo, exec_lo, s22
.LBB187_328:                            ;   in Loop: Header=BB187_12 Depth=1
	s_or_b32 exec_lo, exec_lo, s21
.LBB187_329:                            ;   in Loop: Header=BB187_12 Depth=1
	s_or_b32 exec_lo, exec_lo, s20
	v_cmp_ne_u16_sdwa s6, v0, v25 src0_sel:BYTE_1 src1_sel:DWORD
	s_and_saveexec_b32 s20, s6
	s_cbranch_execz .LBB187_337
; %bb.330:                              ;   in Loop: Header=BB187_12 Depth=1
	v_mov_b32_e32 v114, v25
	v_cmp_ne_u16_sdwa s6, v0, v90 src0_sel:BYTE_1 src1_sel:DWORD
	buffer_store_dword v114, off, s[0:3], s32 offset:508 ; 4-byte Folded Spill
	buffer_store_dword v115, off, s[0:3], s32 offset:512 ; 4-byte Folded Spill
	s_and_saveexec_b32 s21, s6
	s_cbranch_execz .LBB187_336
; %bb.331:                              ;   in Loop: Header=BB187_12 Depth=1
	v_mov_b32_e32 v1, 0xffff
	v_mov_b32_e32 v72, v25
	s_mov_b32 s22, exec_lo
	buffer_store_dword v72, off, s[0:3], s32 offset:508 ; 4-byte Folded Spill
	buffer_store_dword v73, off, s[0:3], s32 offset:512 ; 4-byte Folded Spill
	v_and_b32_sdwa v1, v1, v0 dst_sel:DWORD dst_unused:UNUSED_PAD src0_sel:DWORD src1_sel:BYTE_1
	v_and_b32_e32 v2, 0x7f, v1
	v_cmpx_ne_u32_e32 0x7f, v2
	s_cbranch_execz .LBB187_335
; %bb.332:                              ;   in Loop: Header=BB187_12 Depth=1
	v_and_b32_e32 v24, 7, v1
	v_lshrrev_b32_e32 v1, 3, v2
	s_mov_b32 s23, exec_lo
	v_cmpx_gt_u32_e32 8, v2
; %bb.333:                              ;   in Loop: Header=BB187_12 Depth=1
	v_ffbh_u32_e32 v1, v24
	v_min_u32_e32 v1, 32, v1
	v_subrev_nc_u32_e32 v2, 28, v1
	v_sub_nc_u32_e32 v1, 29, v1
	v_lshlrev_b64 v[2:3], v2, v[24:25]
	v_and_b32_e32 v24, 7, v2
; %bb.334:                              ;   in Loop: Header=BB187_12 Depth=1
	s_or_b32 exec_lo, exec_lo, s23
	v_lshlrev_b32_e32 v0, 16, v0
	v_lshlrev_b32_e32 v2, 20, v24
	v_lshl_add_u32 v1, v1, 23, 0x3c000000
	v_and_b32_e32 v0, 0x80000000, v0
	v_or3_b32 v1, v2, v0, v1
	v_mov_b32_e32 v0, v25
	buffer_store_dword v0, off, s[0:3], s32 offset:508 ; 4-byte Folded Spill
	buffer_store_dword v1, off, s[0:3], s32 offset:512 ; 4-byte Folded Spill
.LBB187_335:                            ;   in Loop: Header=BB187_12 Depth=1
	s_or_b32 exec_lo, exec_lo, s22
.LBB187_336:                            ;   in Loop: Header=BB187_12 Depth=1
	s_or_b32 exec_lo, exec_lo, s21
.LBB187_337:                            ;   in Loop: Header=BB187_12 Depth=1
	s_or_b32 exec_lo, exec_lo, s20
	flat_load_ushort v1, v[58:59] offset:1280
	s_waitcnt vmcnt(0) lgkmcnt(0)
	v_and_b32_e32 v0, 0xffff, v1
	v_cmp_ne_u16_sdwa s6, v1, v25 src0_sel:BYTE_0 src1_sel:DWORD
	v_mov_b32_e32 v1, 0
	v_mov_b32_e32 v2, 0
	buffer_store_dword v1, off, s[0:3], s32 offset:524 ; 4-byte Folded Spill
	buffer_store_dword v2, off, s[0:3], s32 offset:528 ; 4-byte Folded Spill
	v_mov_b32_e32 v1, 0
	v_mov_b32_e32 v2, 0
	buffer_store_dword v1, off, s[0:3], s32 offset:516 ; 4-byte Folded Spill
	buffer_store_dword v2, off, s[0:3], s32 offset:520 ; 4-byte Folded Spill
	s_and_saveexec_b32 s20, s6
	s_cbranch_execz .LBB187_345
; %bb.338:                              ;   in Loop: Header=BB187_12 Depth=1
	v_bfrev_b32_e32 v1, 1
	v_mov_b32_e32 v2, 0
	v_cmp_ne_u16_sdwa s6, v0, v90 src0_sel:BYTE_0 src1_sel:DWORD
	buffer_store_dword v1, off, s[0:3], s32 offset:516 ; 4-byte Folded Spill
	buffer_store_dword v2, off, s[0:3], s32 offset:520 ; 4-byte Folded Spill
	s_and_saveexec_b32 s21, s6
	s_cbranch_execz .LBB187_344
; %bb.339:                              ;   in Loop: Header=BB187_12 Depth=1
	v_mov_b32_e32 v3, 0x7f800001
	v_and_b32_e32 v2, 0x7f, v0
	v_mov_b32_e32 v4, 0
	s_mov_b32 s22, exec_lo
	buffer_store_dword v3, off, s[0:3], s32 offset:516 ; 4-byte Folded Spill
	buffer_store_dword v4, off, s[0:3], s32 offset:520 ; 4-byte Folded Spill
	v_cmpx_ne_u32_e32 0x7f, v2
	s_cbranch_execz .LBB187_343
; %bb.340:                              ;   in Loop: Header=BB187_12 Depth=1
	v_and_b32_e32 v24, 7, v0
	v_lshrrev_b32_e32 v1, 3, v2
	s_mov_b32 s23, exec_lo
	v_cmpx_gt_u32_e32 8, v2
; %bb.341:                              ;   in Loop: Header=BB187_12 Depth=1
	v_ffbh_u32_e32 v1, v24
	v_min_u32_e32 v1, 32, v1
	v_subrev_nc_u32_e32 v2, 28, v1
	v_sub_nc_u32_e32 v1, 29, v1
	v_lshlrev_b64 v[2:3], v2, v[24:25]
	v_and_b32_e32 v24, 7, v2
; %bb.342:                              ;   in Loop: Header=BB187_12 Depth=1
	s_or_b32 exec_lo, exec_lo, s23
	v_lshlrev_b32_e32 v2, 24, v0
	v_lshlrev_b32_e32 v3, 20, v24
	v_lshl_add_u32 v1, v1, 23, 0x3c000000
	v_and_b32_e32 v2, 0x80000000, v2
	v_or3_b32 v24, v3, v2, v1
	buffer_store_dword v24, off, s[0:3], s32 offset:516 ; 4-byte Folded Spill
	buffer_store_dword v25, off, s[0:3], s32 offset:520 ; 4-byte Folded Spill
.LBB187_343:                            ;   in Loop: Header=BB187_12 Depth=1
	s_or_b32 exec_lo, exec_lo, s22
.LBB187_344:                            ;   in Loop: Header=BB187_12 Depth=1
	s_or_b32 exec_lo, exec_lo, s21
.LBB187_345:                            ;   in Loop: Header=BB187_12 Depth=1
	s_or_b32 exec_lo, exec_lo, s20
	v_cmp_ne_u16_sdwa s6, v0, v25 src0_sel:BYTE_1 src1_sel:DWORD
	s_and_saveexec_b32 s20, s6
	s_cbranch_execz .LBB187_353
; %bb.346:                              ;   in Loop: Header=BB187_12 Depth=1
	v_mov_b32_e32 v114, v25
	v_cmp_ne_u16_sdwa s6, v0, v90 src0_sel:BYTE_1 src1_sel:DWORD
	buffer_store_dword v114, off, s[0:3], s32 offset:524 ; 4-byte Folded Spill
	buffer_store_dword v115, off, s[0:3], s32 offset:528 ; 4-byte Folded Spill
	s_and_saveexec_b32 s21, s6
	s_cbranch_execz .LBB187_352
; %bb.347:                              ;   in Loop: Header=BB187_12 Depth=1
	v_mov_b32_e32 v1, 0xffff
	v_mov_b32_e32 v72, v25
	s_mov_b32 s22, exec_lo
	buffer_store_dword v72, off, s[0:3], s32 offset:524 ; 4-byte Folded Spill
	buffer_store_dword v73, off, s[0:3], s32 offset:528 ; 4-byte Folded Spill
	v_and_b32_sdwa v1, v1, v0 dst_sel:DWORD dst_unused:UNUSED_PAD src0_sel:DWORD src1_sel:BYTE_1
	v_and_b32_e32 v2, 0x7f, v1
	v_cmpx_ne_u32_e32 0x7f, v2
	s_cbranch_execz .LBB187_351
; %bb.348:                              ;   in Loop: Header=BB187_12 Depth=1
	v_and_b32_e32 v24, 7, v1
	v_lshrrev_b32_e32 v1, 3, v2
	s_mov_b32 s23, exec_lo
	v_cmpx_gt_u32_e32 8, v2
; %bb.349:                              ;   in Loop: Header=BB187_12 Depth=1
	v_ffbh_u32_e32 v1, v24
	v_min_u32_e32 v1, 32, v1
	v_subrev_nc_u32_e32 v2, 28, v1
	v_sub_nc_u32_e32 v1, 29, v1
	v_lshlrev_b64 v[2:3], v2, v[24:25]
	v_and_b32_e32 v24, 7, v2
; %bb.350:                              ;   in Loop: Header=BB187_12 Depth=1
	s_or_b32 exec_lo, exec_lo, s23
	v_lshlrev_b32_e32 v0, 16, v0
	v_lshlrev_b32_e32 v2, 20, v24
	v_lshl_add_u32 v1, v1, 23, 0x3c000000
	v_and_b32_e32 v0, 0x80000000, v0
	v_or3_b32 v1, v2, v0, v1
	v_mov_b32_e32 v0, v25
	buffer_store_dword v0, off, s[0:3], s32 offset:524 ; 4-byte Folded Spill
	buffer_store_dword v1, off, s[0:3], s32 offset:528 ; 4-byte Folded Spill
.LBB187_351:                            ;   in Loop: Header=BB187_12 Depth=1
	s_or_b32 exec_lo, exec_lo, s22
.LBB187_352:                            ;   in Loop: Header=BB187_12 Depth=1
	s_or_b32 exec_lo, exec_lo, s21
.LBB187_353:                            ;   in Loop: Header=BB187_12 Depth=1
	s_or_b32 exec_lo, exec_lo, s20
	flat_load_ushort v1, v[58:59] offset:1284
	s_waitcnt vmcnt(0) lgkmcnt(0)
	v_and_b32_e32 v0, 0xffff, v1
	v_cmp_ne_u16_sdwa s6, v1, v25 src0_sel:BYTE_0 src1_sel:DWORD
	v_mov_b32_e32 v1, 0
	v_mov_b32_e32 v2, 0
	buffer_store_dword v1, off, s[0:3], s32 offset:540 ; 4-byte Folded Spill
	buffer_store_dword v2, off, s[0:3], s32 offset:544 ; 4-byte Folded Spill
	v_mov_b32_e32 v1, 0
	v_mov_b32_e32 v2, 0
	buffer_store_dword v1, off, s[0:3], s32 offset:532 ; 4-byte Folded Spill
	buffer_store_dword v2, off, s[0:3], s32 offset:536 ; 4-byte Folded Spill
	s_and_saveexec_b32 s20, s6
	s_cbranch_execz .LBB187_361
; %bb.354:                              ;   in Loop: Header=BB187_12 Depth=1
	v_bfrev_b32_e32 v1, 1
	v_mov_b32_e32 v2, 0
	v_cmp_ne_u16_sdwa s6, v0, v90 src0_sel:BYTE_0 src1_sel:DWORD
	buffer_store_dword v1, off, s[0:3], s32 offset:532 ; 4-byte Folded Spill
	buffer_store_dword v2, off, s[0:3], s32 offset:536 ; 4-byte Folded Spill
	s_and_saveexec_b32 s21, s6
	s_cbranch_execz .LBB187_360
; %bb.355:                              ;   in Loop: Header=BB187_12 Depth=1
	v_mov_b32_e32 v3, 0x7f800001
	v_and_b32_e32 v2, 0x7f, v0
	v_mov_b32_e32 v4, 0
	s_mov_b32 s22, exec_lo
	buffer_store_dword v3, off, s[0:3], s32 offset:532 ; 4-byte Folded Spill
	buffer_store_dword v4, off, s[0:3], s32 offset:536 ; 4-byte Folded Spill
	v_cmpx_ne_u32_e32 0x7f, v2
	s_cbranch_execz .LBB187_359
; %bb.356:                              ;   in Loop: Header=BB187_12 Depth=1
	v_and_b32_e32 v24, 7, v0
	v_lshrrev_b32_e32 v1, 3, v2
	s_mov_b32 s23, exec_lo
	v_cmpx_gt_u32_e32 8, v2
; %bb.357:                              ;   in Loop: Header=BB187_12 Depth=1
	v_ffbh_u32_e32 v1, v24
	v_min_u32_e32 v1, 32, v1
	v_subrev_nc_u32_e32 v2, 28, v1
	v_sub_nc_u32_e32 v1, 29, v1
	v_lshlrev_b64 v[2:3], v2, v[24:25]
	v_and_b32_e32 v24, 7, v2
; %bb.358:                              ;   in Loop: Header=BB187_12 Depth=1
	s_or_b32 exec_lo, exec_lo, s23
	v_lshlrev_b32_e32 v2, 24, v0
	v_lshlrev_b32_e32 v3, 20, v24
	v_lshl_add_u32 v1, v1, 23, 0x3c000000
	v_and_b32_e32 v2, 0x80000000, v2
	v_or3_b32 v24, v3, v2, v1
	buffer_store_dword v24, off, s[0:3], s32 offset:532 ; 4-byte Folded Spill
	buffer_store_dword v25, off, s[0:3], s32 offset:536 ; 4-byte Folded Spill
.LBB187_359:                            ;   in Loop: Header=BB187_12 Depth=1
	s_or_b32 exec_lo, exec_lo, s22
.LBB187_360:                            ;   in Loop: Header=BB187_12 Depth=1
	s_or_b32 exec_lo, exec_lo, s21
.LBB187_361:                            ;   in Loop: Header=BB187_12 Depth=1
	s_or_b32 exec_lo, exec_lo, s20
	v_cmp_ne_u16_sdwa s6, v0, v25 src0_sel:BYTE_1 src1_sel:DWORD
	s_and_saveexec_b32 s20, s6
	s_cbranch_execz .LBB187_369
; %bb.362:                              ;   in Loop: Header=BB187_12 Depth=1
	v_mov_b32_e32 v114, v25
	v_cmp_ne_u16_sdwa s6, v0, v90 src0_sel:BYTE_1 src1_sel:DWORD
	buffer_store_dword v114, off, s[0:3], s32 offset:540 ; 4-byte Folded Spill
	buffer_store_dword v115, off, s[0:3], s32 offset:544 ; 4-byte Folded Spill
	s_and_saveexec_b32 s21, s6
	s_cbranch_execz .LBB187_368
; %bb.363:                              ;   in Loop: Header=BB187_12 Depth=1
	v_mov_b32_e32 v1, 0xffff
	v_mov_b32_e32 v72, v25
	s_mov_b32 s22, exec_lo
	buffer_store_dword v72, off, s[0:3], s32 offset:540 ; 4-byte Folded Spill
	buffer_store_dword v73, off, s[0:3], s32 offset:544 ; 4-byte Folded Spill
	v_and_b32_sdwa v1, v1, v0 dst_sel:DWORD dst_unused:UNUSED_PAD src0_sel:DWORD src1_sel:BYTE_1
	v_and_b32_e32 v2, 0x7f, v1
	v_cmpx_ne_u32_e32 0x7f, v2
	s_cbranch_execz .LBB187_367
; %bb.364:                              ;   in Loop: Header=BB187_12 Depth=1
	v_and_b32_e32 v24, 7, v1
	v_lshrrev_b32_e32 v1, 3, v2
	s_mov_b32 s23, exec_lo
	v_cmpx_gt_u32_e32 8, v2
; %bb.365:                              ;   in Loop: Header=BB187_12 Depth=1
	v_ffbh_u32_e32 v1, v24
	v_min_u32_e32 v1, 32, v1
	v_subrev_nc_u32_e32 v2, 28, v1
	v_sub_nc_u32_e32 v1, 29, v1
	v_lshlrev_b64 v[2:3], v2, v[24:25]
	v_and_b32_e32 v24, 7, v2
; %bb.366:                              ;   in Loop: Header=BB187_12 Depth=1
	s_or_b32 exec_lo, exec_lo, s23
	v_lshlrev_b32_e32 v0, 16, v0
	v_lshlrev_b32_e32 v2, 20, v24
	v_lshl_add_u32 v1, v1, 23, 0x3c000000
	v_and_b32_e32 v0, 0x80000000, v0
	v_or3_b32 v1, v2, v0, v1
	v_mov_b32_e32 v0, v25
	buffer_store_dword v0, off, s[0:3], s32 offset:540 ; 4-byte Folded Spill
	buffer_store_dword v1, off, s[0:3], s32 offset:544 ; 4-byte Folded Spill
.LBB187_367:                            ;   in Loop: Header=BB187_12 Depth=1
	s_or_b32 exec_lo, exec_lo, s22
.LBB187_368:                            ;   in Loop: Header=BB187_12 Depth=1
	s_or_b32 exec_lo, exec_lo, s21
.LBB187_369:                            ;   in Loop: Header=BB187_12 Depth=1
	s_or_b32 exec_lo, exec_lo, s20
	flat_load_ushort v1, v[58:59] offset:1288
	s_waitcnt vmcnt(0) lgkmcnt(0)
	v_and_b32_e32 v0, 0xffff, v1
	v_cmp_ne_u16_sdwa s6, v1, v25 src0_sel:BYTE_0 src1_sel:DWORD
	v_mov_b32_e32 v1, 0
	v_mov_b32_e32 v2, 0
	buffer_store_dword v1, off, s[0:3], s32 offset:556 ; 4-byte Folded Spill
	buffer_store_dword v2, off, s[0:3], s32 offset:560 ; 4-byte Folded Spill
	v_mov_b32_e32 v1, 0
	v_mov_b32_e32 v2, 0
	buffer_store_dword v1, off, s[0:3], s32 offset:548 ; 4-byte Folded Spill
	buffer_store_dword v2, off, s[0:3], s32 offset:552 ; 4-byte Folded Spill
	s_and_saveexec_b32 s20, s6
	s_cbranch_execz .LBB187_377
; %bb.370:                              ;   in Loop: Header=BB187_12 Depth=1
	v_bfrev_b32_e32 v1, 1
	v_mov_b32_e32 v2, 0
	v_cmp_ne_u16_sdwa s6, v0, v90 src0_sel:BYTE_0 src1_sel:DWORD
	buffer_store_dword v1, off, s[0:3], s32 offset:548 ; 4-byte Folded Spill
	buffer_store_dword v2, off, s[0:3], s32 offset:552 ; 4-byte Folded Spill
	s_and_saveexec_b32 s21, s6
	s_cbranch_execz .LBB187_376
; %bb.371:                              ;   in Loop: Header=BB187_12 Depth=1
	v_mov_b32_e32 v3, 0x7f800001
	v_and_b32_e32 v2, 0x7f, v0
	v_mov_b32_e32 v4, 0
	s_mov_b32 s22, exec_lo
	buffer_store_dword v3, off, s[0:3], s32 offset:548 ; 4-byte Folded Spill
	buffer_store_dword v4, off, s[0:3], s32 offset:552 ; 4-byte Folded Spill
	v_cmpx_ne_u32_e32 0x7f, v2
	s_cbranch_execz .LBB187_375
; %bb.372:                              ;   in Loop: Header=BB187_12 Depth=1
	v_and_b32_e32 v24, 7, v0
	v_lshrrev_b32_e32 v1, 3, v2
	s_mov_b32 s23, exec_lo
	v_cmpx_gt_u32_e32 8, v2
; %bb.373:                              ;   in Loop: Header=BB187_12 Depth=1
	v_ffbh_u32_e32 v1, v24
	v_min_u32_e32 v1, 32, v1
	v_subrev_nc_u32_e32 v2, 28, v1
	v_sub_nc_u32_e32 v1, 29, v1
	v_lshlrev_b64 v[2:3], v2, v[24:25]
	v_and_b32_e32 v24, 7, v2
; %bb.374:                              ;   in Loop: Header=BB187_12 Depth=1
	s_or_b32 exec_lo, exec_lo, s23
	v_lshlrev_b32_e32 v2, 24, v0
	v_lshlrev_b32_e32 v3, 20, v24
	v_lshl_add_u32 v1, v1, 23, 0x3c000000
	v_and_b32_e32 v2, 0x80000000, v2
	v_or3_b32 v24, v3, v2, v1
	buffer_store_dword v24, off, s[0:3], s32 offset:548 ; 4-byte Folded Spill
	buffer_store_dword v25, off, s[0:3], s32 offset:552 ; 4-byte Folded Spill
.LBB187_375:                            ;   in Loop: Header=BB187_12 Depth=1
	s_or_b32 exec_lo, exec_lo, s22
.LBB187_376:                            ;   in Loop: Header=BB187_12 Depth=1
	s_or_b32 exec_lo, exec_lo, s21
.LBB187_377:                            ;   in Loop: Header=BB187_12 Depth=1
	s_or_b32 exec_lo, exec_lo, s20
	v_cmp_ne_u16_sdwa s6, v0, v25 src0_sel:BYTE_1 src1_sel:DWORD
	s_and_saveexec_b32 s20, s6
	s_cbranch_execz .LBB187_385
; %bb.378:                              ;   in Loop: Header=BB187_12 Depth=1
	v_mov_b32_e32 v114, v25
	v_cmp_ne_u16_sdwa s6, v0, v90 src0_sel:BYTE_1 src1_sel:DWORD
	buffer_store_dword v114, off, s[0:3], s32 offset:556 ; 4-byte Folded Spill
	buffer_store_dword v115, off, s[0:3], s32 offset:560 ; 4-byte Folded Spill
	s_and_saveexec_b32 s21, s6
	s_cbranch_execz .LBB187_384
; %bb.379:                              ;   in Loop: Header=BB187_12 Depth=1
	v_mov_b32_e32 v1, 0xffff
	v_mov_b32_e32 v72, v25
	s_mov_b32 s22, exec_lo
	buffer_store_dword v72, off, s[0:3], s32 offset:556 ; 4-byte Folded Spill
	buffer_store_dword v73, off, s[0:3], s32 offset:560 ; 4-byte Folded Spill
	v_and_b32_sdwa v1, v1, v0 dst_sel:DWORD dst_unused:UNUSED_PAD src0_sel:DWORD src1_sel:BYTE_1
	v_and_b32_e32 v2, 0x7f, v1
	v_cmpx_ne_u32_e32 0x7f, v2
	s_cbranch_execz .LBB187_383
; %bb.380:                              ;   in Loop: Header=BB187_12 Depth=1
	v_and_b32_e32 v24, 7, v1
	v_lshrrev_b32_e32 v1, 3, v2
	s_mov_b32 s23, exec_lo
	v_cmpx_gt_u32_e32 8, v2
; %bb.381:                              ;   in Loop: Header=BB187_12 Depth=1
	v_ffbh_u32_e32 v1, v24
	v_min_u32_e32 v1, 32, v1
	v_subrev_nc_u32_e32 v2, 28, v1
	v_sub_nc_u32_e32 v1, 29, v1
	v_lshlrev_b64 v[2:3], v2, v[24:25]
	v_and_b32_e32 v24, 7, v2
; %bb.382:                              ;   in Loop: Header=BB187_12 Depth=1
	s_or_b32 exec_lo, exec_lo, s23
	v_lshlrev_b32_e32 v0, 16, v0
	v_lshlrev_b32_e32 v2, 20, v24
	v_lshl_add_u32 v1, v1, 23, 0x3c000000
	v_and_b32_e32 v0, 0x80000000, v0
	v_or3_b32 v1, v2, v0, v1
	v_mov_b32_e32 v0, v25
	buffer_store_dword v0, off, s[0:3], s32 offset:556 ; 4-byte Folded Spill
	buffer_store_dword v1, off, s[0:3], s32 offset:560 ; 4-byte Folded Spill
.LBB187_383:                            ;   in Loop: Header=BB187_12 Depth=1
	s_or_b32 exec_lo, exec_lo, s22
.LBB187_384:                            ;   in Loop: Header=BB187_12 Depth=1
	s_or_b32 exec_lo, exec_lo, s21
.LBB187_385:                            ;   in Loop: Header=BB187_12 Depth=1
	s_or_b32 exec_lo, exec_lo, s20
	flat_load_ushort v1, v[58:59] offset:1292
	v_mov_b32_e32 v110, 0
	v_mov_b32_e32 v111, 0
	s_waitcnt vmcnt(0) lgkmcnt(0)
	v_and_b32_e32 v0, 0xffff, v1
	v_cmp_ne_u16_sdwa s6, v1, v25 src0_sel:BYTE_0 src1_sel:DWORD
	v_mov_b32_e32 v1, 0
	v_mov_b32_e32 v2, 0
	buffer_store_dword v1, off, s[0:3], s32 offset:564 ; 4-byte Folded Spill
	buffer_store_dword v2, off, s[0:3], s32 offset:568 ; 4-byte Folded Spill
	s_and_saveexec_b32 s20, s6
	s_cbranch_execz .LBB187_393
; %bb.386:                              ;   in Loop: Header=BB187_12 Depth=1
	v_bfrev_b32_e32 v1, 1
	v_mov_b32_e32 v2, 0
	v_cmp_ne_u16_sdwa s6, v0, v90 src0_sel:BYTE_0 src1_sel:DWORD
	buffer_store_dword v1, off, s[0:3], s32 offset:564 ; 4-byte Folded Spill
	buffer_store_dword v2, off, s[0:3], s32 offset:568 ; 4-byte Folded Spill
	s_and_saveexec_b32 s21, s6
	s_cbranch_execz .LBB187_392
; %bb.387:                              ;   in Loop: Header=BB187_12 Depth=1
	v_mov_b32_e32 v3, 0x7f800001
	v_and_b32_e32 v2, 0x7f, v0
	v_mov_b32_e32 v4, 0
	s_mov_b32 s22, exec_lo
	buffer_store_dword v3, off, s[0:3], s32 offset:564 ; 4-byte Folded Spill
	buffer_store_dword v4, off, s[0:3], s32 offset:568 ; 4-byte Folded Spill
	v_cmpx_ne_u32_e32 0x7f, v2
	s_cbranch_execz .LBB187_391
; %bb.388:                              ;   in Loop: Header=BB187_12 Depth=1
	v_and_b32_e32 v24, 7, v0
	v_lshrrev_b32_e32 v1, 3, v2
	s_mov_b32 s23, exec_lo
	v_cmpx_gt_u32_e32 8, v2
; %bb.389:                              ;   in Loop: Header=BB187_12 Depth=1
	v_ffbh_u32_e32 v1, v24
	v_min_u32_e32 v1, 32, v1
	v_subrev_nc_u32_e32 v2, 28, v1
	v_sub_nc_u32_e32 v1, 29, v1
	v_lshlrev_b64 v[2:3], v2, v[24:25]
	v_and_b32_e32 v24, 7, v2
; %bb.390:                              ;   in Loop: Header=BB187_12 Depth=1
	s_or_b32 exec_lo, exec_lo, s23
	v_lshlrev_b32_e32 v2, 24, v0
	v_lshlrev_b32_e32 v3, 20, v24
	v_lshl_add_u32 v1, v1, 23, 0x3c000000
	v_and_b32_e32 v2, 0x80000000, v2
	v_or3_b32 v24, v3, v2, v1
	buffer_store_dword v24, off, s[0:3], s32 offset:564 ; 4-byte Folded Spill
	buffer_store_dword v25, off, s[0:3], s32 offset:568 ; 4-byte Folded Spill
.LBB187_391:                            ;   in Loop: Header=BB187_12 Depth=1
	s_or_b32 exec_lo, exec_lo, s22
.LBB187_392:                            ;   in Loop: Header=BB187_12 Depth=1
	s_or_b32 exec_lo, exec_lo, s21
.LBB187_393:                            ;   in Loop: Header=BB187_12 Depth=1
	s_or_b32 exec_lo, exec_lo, s20
	v_cmp_ne_u16_sdwa s6, v0, v25 src0_sel:BYTE_1 src1_sel:DWORD
	s_and_saveexec_b32 s20, s6
	s_cbranch_execz .LBB187_401
; %bb.394:                              ;   in Loop: Header=BB187_12 Depth=1
	v_mov_b32_e32 v114, v25
	v_cmp_ne_u16_sdwa s6, v0, v90 src0_sel:BYTE_1 src1_sel:DWORD
	v_mov_b32_e32 v110, v114
	v_mov_b32_e32 v111, v115
	s_and_saveexec_b32 s21, s6
	s_cbranch_execz .LBB187_400
; %bb.395:                              ;   in Loop: Header=BB187_12 Depth=1
	v_mov_b32_e32 v1, 0xffff
	v_mov_b32_e32 v72, v25
	v_mov_b32_e32 v111, v73
	s_mov_b32 s22, exec_lo
	v_and_b32_sdwa v1, v1, v0 dst_sel:DWORD dst_unused:UNUSED_PAD src0_sel:DWORD src1_sel:BYTE_1
	v_mov_b32_e32 v110, v72
	v_and_b32_e32 v2, 0x7f, v1
	v_cmpx_ne_u32_e32 0x7f, v2
	s_cbranch_execz .LBB187_399
; %bb.396:                              ;   in Loop: Header=BB187_12 Depth=1
	v_and_b32_e32 v24, 7, v1
	v_lshrrev_b32_e32 v1, 3, v2
	s_mov_b32 s23, exec_lo
	v_cmpx_gt_u32_e32 8, v2
; %bb.397:                              ;   in Loop: Header=BB187_12 Depth=1
	v_ffbh_u32_e32 v1, v24
	v_min_u32_e32 v1, 32, v1
	v_subrev_nc_u32_e32 v2, 28, v1
	v_sub_nc_u32_e32 v1, 29, v1
	v_lshlrev_b64 v[2:3], v2, v[24:25]
	v_and_b32_e32 v24, 7, v2
; %bb.398:                              ;   in Loop: Header=BB187_12 Depth=1
	s_or_b32 exec_lo, exec_lo, s23
	v_lshlrev_b32_e32 v0, 16, v0
	v_lshlrev_b32_e32 v2, 20, v24
	v_lshl_add_u32 v1, v1, 23, 0x3c000000
	v_mov_b32_e32 v110, v25
	v_and_b32_e32 v0, 0x80000000, v0
	v_or3_b32 v111, v2, v0, v1
.LBB187_399:                            ;   in Loop: Header=BB187_12 Depth=1
	s_or_b32 exec_lo, exec_lo, s22
.LBB187_400:                            ;   in Loop: Header=BB187_12 Depth=1
	s_or_b32 exec_lo, exec_lo, s21
.LBB187_401:                            ;   in Loop: Header=BB187_12 Depth=1
	s_or_b32 exec_lo, exec_lo, s20
	flat_load_ushort v1, v[58:59] offset:1536
	v_mov_b32_e32 v2, 0
	v_mov_b32_e32 v4, 0
	;; [unrolled: 1-line block ×4, first 2 shown]
	buffer_store_dword v4, off, s[0:3], s32 offset:572 ; 4-byte Folded Spill
	buffer_store_dword v5, off, s[0:3], s32 offset:576 ; 4-byte Folded Spill
	s_waitcnt vmcnt(0) lgkmcnt(0)
	v_and_b32_e32 v0, 0xffff, v1
	v_cmp_ne_u16_sdwa s6, v1, v25 src0_sel:BYTE_0 src1_sel:DWORD
	s_and_saveexec_b32 s20, s6
	s_cbranch_execz .LBB187_409
; %bb.402:                              ;   in Loop: Header=BB187_12 Depth=1
	v_bfrev_b32_e32 v4, 1
	v_mov_b32_e32 v5, 0
	v_cmp_ne_u16_sdwa s6, v0, v90 src0_sel:BYTE_0 src1_sel:DWORD
	buffer_store_dword v4, off, s[0:3], s32 offset:572 ; 4-byte Folded Spill
	buffer_store_dword v5, off, s[0:3], s32 offset:576 ; 4-byte Folded Spill
	s_and_saveexec_b32 s21, s6
	s_cbranch_execz .LBB187_408
; %bb.403:                              ;   in Loop: Header=BB187_12 Depth=1
	v_mov_b32_e32 v7, 0x7f800001
	v_and_b32_e32 v4, 0x7f, v0
	v_mov_b32_e32 v8, 0
	s_mov_b32 s22, exec_lo
	buffer_store_dword v7, off, s[0:3], s32 offset:572 ; 4-byte Folded Spill
	buffer_store_dword v8, off, s[0:3], s32 offset:576 ; 4-byte Folded Spill
	v_cmpx_ne_u32_e32 0x7f, v4
	s_cbranch_execz .LBB187_407
; %bb.404:                              ;   in Loop: Header=BB187_12 Depth=1
	v_and_b32_e32 v24, 7, v0
	v_lshrrev_b32_e32 v1, 3, v4
	s_mov_b32 s23, exec_lo
	v_cmpx_gt_u32_e32 8, v4
; %bb.405:                              ;   in Loop: Header=BB187_12 Depth=1
	v_ffbh_u32_e32 v1, v24
	v_min_u32_e32 v1, 32, v1
	v_subrev_nc_u32_e32 v4, 28, v1
	v_sub_nc_u32_e32 v1, 29, v1
	v_lshlrev_b64 v[4:5], v4, v[24:25]
	v_and_b32_e32 v24, 7, v4
; %bb.406:                              ;   in Loop: Header=BB187_12 Depth=1
	s_or_b32 exec_lo, exec_lo, s23
	v_lshlrev_b32_e32 v4, 24, v0
	v_lshlrev_b32_e32 v5, 20, v24
	v_lshl_add_u32 v1, v1, 23, 0x3c000000
	v_and_b32_e32 v4, 0x80000000, v4
	v_or3_b32 v24, v5, v4, v1
	buffer_store_dword v24, off, s[0:3], s32 offset:572 ; 4-byte Folded Spill
	buffer_store_dword v25, off, s[0:3], s32 offset:576 ; 4-byte Folded Spill
.LBB187_407:                            ;   in Loop: Header=BB187_12 Depth=1
	s_or_b32 exec_lo, exec_lo, s22
.LBB187_408:                            ;   in Loop: Header=BB187_12 Depth=1
	s_or_b32 exec_lo, exec_lo, s21
.LBB187_409:                            ;   in Loop: Header=BB187_12 Depth=1
	s_or_b32 exec_lo, exec_lo, s20
	v_cmp_ne_u16_sdwa s6, v0, v25 src0_sel:BYTE_1 src1_sel:DWORD
	s_and_saveexec_b32 s20, s6
	s_cbranch_execz .LBB187_417
; %bb.410:                              ;   in Loop: Header=BB187_12 Depth=1
	v_mov_b32_e32 v114, v25
	v_cmp_ne_u16_sdwa s6, v0, v90 src0_sel:BYTE_1 src1_sel:DWORD
	v_mov_b32_e32 v2, v114
	v_mov_b32_e32 v3, v115
	s_and_saveexec_b32 s21, s6
	s_cbranch_execz .LBB187_416
; %bb.411:                              ;   in Loop: Header=BB187_12 Depth=1
	v_mov_b32_e32 v1, 0xffff
	v_mov_b32_e32 v72, v25
	s_mov_b32 s22, exec_lo
	v_and_b32_sdwa v1, v1, v0 dst_sel:DWORD dst_unused:UNUSED_PAD src0_sel:DWORD src1_sel:BYTE_1
	v_mov_b32_e32 v2, v72
	v_mov_b32_e32 v3, v73
	v_and_b32_e32 v4, 0x7f, v1
	v_cmpx_ne_u32_e32 0x7f, v4
	s_cbranch_execz .LBB187_415
; %bb.412:                              ;   in Loop: Header=BB187_12 Depth=1
	v_and_b32_e32 v24, 7, v1
	v_lshrrev_b32_e32 v1, 3, v4
	s_mov_b32 s23, exec_lo
	v_cmpx_gt_u32_e32 8, v4
; %bb.413:                              ;   in Loop: Header=BB187_12 Depth=1
	v_ffbh_u32_e32 v1, v24
	v_min_u32_e32 v1, 32, v1
	v_subrev_nc_u32_e32 v2, 28, v1
	v_sub_nc_u32_e32 v1, 29, v1
	v_lshlrev_b64 v[2:3], v2, v[24:25]
	v_and_b32_e32 v24, 7, v2
; %bb.414:                              ;   in Loop: Header=BB187_12 Depth=1
	s_or_b32 exec_lo, exec_lo, s23
	v_lshlrev_b32_e32 v0, 16, v0
	v_lshlrev_b32_e32 v2, 20, v24
	v_lshl_add_u32 v1, v1, 23, 0x3c000000
	v_and_b32_e32 v0, 0x80000000, v0
	v_or3_b32 v3, v2, v0, v1
	v_mov_b32_e32 v2, v25
.LBB187_415:                            ;   in Loop: Header=BB187_12 Depth=1
	s_or_b32 exec_lo, exec_lo, s22
.LBB187_416:                            ;   in Loop: Header=BB187_12 Depth=1
	s_or_b32 exec_lo, exec_lo, s21
.LBB187_417:                            ;   in Loop: Header=BB187_12 Depth=1
	s_or_b32 exec_lo, exec_lo, s20
	flat_load_ushort v1, v[58:59] offset:1540
	v_mov_b32_e32 v12, 0
	v_mov_b32_e32 v4, 0
	;; [unrolled: 1-line block ×4, first 2 shown]
	s_waitcnt vmcnt(0) lgkmcnt(0)
	v_and_b32_e32 v0, 0xffff, v1
	v_cmp_ne_u16_sdwa s6, v1, v25 src0_sel:BYTE_0 src1_sel:DWORD
	s_and_saveexec_b32 s20, s6
	s_cbranch_execz .LBB187_425
; %bb.418:                              ;   in Loop: Header=BB187_12 Depth=1
	v_bfrev_b32_e32 v4, 1
	v_mov_b32_e32 v5, 0
	v_cmp_ne_u16_sdwa s6, v0, v90 src0_sel:BYTE_0 src1_sel:DWORD
	s_and_saveexec_b32 s21, s6
	s_cbranch_execz .LBB187_424
; %bb.419:                              ;   in Loop: Header=BB187_12 Depth=1
	v_mov_b32_e32 v4, 0x7f800001
	v_and_b32_e32 v7, 0x7f, v0
	v_mov_b32_e32 v5, 0
	s_mov_b32 s22, exec_lo
	v_cmpx_ne_u32_e32 0x7f, v7
	s_cbranch_execz .LBB187_423
; %bb.420:                              ;   in Loop: Header=BB187_12 Depth=1
	v_and_b32_e32 v24, 7, v0
	v_lshrrev_b32_e32 v1, 3, v7
	s_mov_b32 s23, exec_lo
	v_cmpx_gt_u32_e32 8, v7
; %bb.421:                              ;   in Loop: Header=BB187_12 Depth=1
	v_ffbh_u32_e32 v1, v24
	v_min_u32_e32 v1, 32, v1
	v_subrev_nc_u32_e32 v4, 28, v1
	v_sub_nc_u32_e32 v1, 29, v1
	v_lshlrev_b64 v[4:5], v4, v[24:25]
	v_and_b32_e32 v24, 7, v4
; %bb.422:                              ;   in Loop: Header=BB187_12 Depth=1
	s_or_b32 exec_lo, exec_lo, s23
	v_lshlrev_b32_e32 v4, 24, v0
	v_lshlrev_b32_e32 v5, 20, v24
	v_lshl_add_u32 v1, v1, 23, 0x3c000000
	v_and_b32_e32 v4, 0x80000000, v4
	v_or3_b32 v24, v5, v4, v1
	v_mov_b32_e32 v4, v24
	v_mov_b32_e32 v5, v25
.LBB187_423:                            ;   in Loop: Header=BB187_12 Depth=1
	s_or_b32 exec_lo, exec_lo, s22
.LBB187_424:                            ;   in Loop: Header=BB187_12 Depth=1
	s_or_b32 exec_lo, exec_lo, s21
.LBB187_425:                            ;   in Loop: Header=BB187_12 Depth=1
	s_or_b32 exec_lo, exec_lo, s20
	v_cmp_ne_u16_sdwa s6, v0, v25 src0_sel:BYTE_1 src1_sel:DWORD
	s_and_saveexec_b32 s20, s6
	s_cbranch_execz .LBB187_433
; %bb.426:                              ;   in Loop: Header=BB187_12 Depth=1
	v_mov_b32_e32 v114, v25
	v_cmp_ne_u16_sdwa s6, v0, v90 src0_sel:BYTE_1 src1_sel:DWORD
	v_mov_b32_e32 v12, v114
	v_mov_b32_e32 v13, v115
	s_and_saveexec_b32 s21, s6
	s_cbranch_execz .LBB187_432
; %bb.427:                              ;   in Loop: Header=BB187_12 Depth=1
	v_mov_b32_e32 v1, 0xffff
	v_mov_b32_e32 v72, v25
	s_mov_b32 s22, exec_lo
	v_and_b32_sdwa v1, v1, v0 dst_sel:DWORD dst_unused:UNUSED_PAD src0_sel:DWORD src1_sel:BYTE_1
	v_mov_b32_e32 v12, v72
	v_mov_b32_e32 v13, v73
	v_and_b32_e32 v7, 0x7f, v1
	v_cmpx_ne_u32_e32 0x7f, v7
	s_cbranch_execz .LBB187_431
; %bb.428:                              ;   in Loop: Header=BB187_12 Depth=1
	v_and_b32_e32 v24, 7, v1
	v_lshrrev_b32_e32 v1, 3, v7
	s_mov_b32 s23, exec_lo
	v_cmpx_gt_u32_e32 8, v7
; %bb.429:                              ;   in Loop: Header=BB187_12 Depth=1
	v_ffbh_u32_e32 v1, v24
	v_min_u32_e32 v1, 32, v1
	v_subrev_nc_u32_e32 v7, 28, v1
	v_sub_nc_u32_e32 v1, 29, v1
	v_lshlrev_b64 v[7:8], v7, v[24:25]
	v_and_b32_e32 v24, 7, v7
; %bb.430:                              ;   in Loop: Header=BB187_12 Depth=1
	s_or_b32 exec_lo, exec_lo, s23
	v_lshlrev_b32_e32 v0, 16, v0
	v_lshlrev_b32_e32 v7, 20, v24
	v_lshl_add_u32 v1, v1, 23, 0x3c000000
	v_mov_b32_e32 v12, v25
	v_and_b32_e32 v0, 0x80000000, v0
	v_or3_b32 v13, v7, v0, v1
.LBB187_431:                            ;   in Loop: Header=BB187_12 Depth=1
	s_or_b32 exec_lo, exec_lo, s22
.LBB187_432:                            ;   in Loop: Header=BB187_12 Depth=1
	s_or_b32 exec_lo, exec_lo, s21
.LBB187_433:                            ;   in Loop: Header=BB187_12 Depth=1
	s_or_b32 exec_lo, exec_lo, s20
	flat_load_ushort v1, v[58:59] offset:1544
	v_mov_b32_e32 v122, 0
	v_mov_b32_e32 v14, 0
	;; [unrolled: 1-line block ×4, first 2 shown]
	s_waitcnt vmcnt(0) lgkmcnt(0)
	v_and_b32_e32 v0, 0xffff, v1
	v_cmp_ne_u16_sdwa s6, v1, v25 src0_sel:BYTE_0 src1_sel:DWORD
	s_and_saveexec_b32 s20, s6
	s_cbranch_execz .LBB187_441
; %bb.434:                              ;   in Loop: Header=BB187_12 Depth=1
	v_bfrev_b32_e32 v14, 1
	v_mov_b32_e32 v15, 0
	v_cmp_ne_u16_sdwa s6, v0, v90 src0_sel:BYTE_0 src1_sel:DWORD
	s_and_saveexec_b32 s21, s6
	s_cbranch_execz .LBB187_440
; %bb.435:                              ;   in Loop: Header=BB187_12 Depth=1
	v_mov_b32_e32 v14, 0x7f800001
	v_and_b32_e32 v7, 0x7f, v0
	v_mov_b32_e32 v15, 0
	s_mov_b32 s22, exec_lo
	v_cmpx_ne_u32_e32 0x7f, v7
	s_cbranch_execz .LBB187_439
; %bb.436:                              ;   in Loop: Header=BB187_12 Depth=1
	v_and_b32_e32 v24, 7, v0
	v_lshrrev_b32_e32 v1, 3, v7
	s_mov_b32 s23, exec_lo
	v_cmpx_gt_u32_e32 8, v7
; %bb.437:                              ;   in Loop: Header=BB187_12 Depth=1
	v_ffbh_u32_e32 v1, v24
	v_min_u32_e32 v1, 32, v1
	v_subrev_nc_u32_e32 v7, 28, v1
	v_sub_nc_u32_e32 v1, 29, v1
	v_lshlrev_b64 v[7:8], v7, v[24:25]
	v_and_b32_e32 v24, 7, v7
; %bb.438:                              ;   in Loop: Header=BB187_12 Depth=1
	s_or_b32 exec_lo, exec_lo, s23
	v_lshlrev_b32_e32 v7, 24, v0
	v_lshlrev_b32_e32 v8, 20, v24
	v_lshl_add_u32 v1, v1, 23, 0x3c000000
	v_and_b32_e32 v7, 0x80000000, v7
	v_or3_b32 v24, v8, v7, v1
	v_mov_b32_e32 v14, v24
	v_mov_b32_e32 v15, v25
.LBB187_439:                            ;   in Loop: Header=BB187_12 Depth=1
	s_or_b32 exec_lo, exec_lo, s22
.LBB187_440:                            ;   in Loop: Header=BB187_12 Depth=1
	s_or_b32 exec_lo, exec_lo, s21
.LBB187_441:                            ;   in Loop: Header=BB187_12 Depth=1
	s_or_b32 exec_lo, exec_lo, s20
	v_cmp_ne_u16_sdwa s6, v0, v25 src0_sel:BYTE_1 src1_sel:DWORD
	s_and_saveexec_b32 s20, s6
	s_cbranch_execz .LBB187_449
; %bb.442:                              ;   in Loop: Header=BB187_12 Depth=1
	v_mov_b32_e32 v114, v25
	v_mov_b32_e32 v123, v115
	v_cmp_ne_u16_sdwa s6, v0, v90 src0_sel:BYTE_1 src1_sel:DWORD
	v_mov_b32_e32 v122, v114
	s_and_saveexec_b32 s21, s6
	s_cbranch_execz .LBB187_448
; %bb.443:                              ;   in Loop: Header=BB187_12 Depth=1
	v_mov_b32_e32 v1, 0xffff
	v_mov_b32_e32 v72, v25
	;; [unrolled: 1-line block ×3, first 2 shown]
	s_mov_b32 s22, exec_lo
	v_and_b32_sdwa v1, v1, v0 dst_sel:DWORD dst_unused:UNUSED_PAD src0_sel:DWORD src1_sel:BYTE_1
	v_mov_b32_e32 v122, v72
	v_and_b32_e32 v7, 0x7f, v1
	v_cmpx_ne_u32_e32 0x7f, v7
	s_cbranch_execz .LBB187_447
; %bb.444:                              ;   in Loop: Header=BB187_12 Depth=1
	v_and_b32_e32 v24, 7, v1
	v_lshrrev_b32_e32 v1, 3, v7
	s_mov_b32 s23, exec_lo
	v_cmpx_gt_u32_e32 8, v7
; %bb.445:                              ;   in Loop: Header=BB187_12 Depth=1
	v_ffbh_u32_e32 v1, v24
	v_min_u32_e32 v1, 32, v1
	v_subrev_nc_u32_e32 v7, 28, v1
	v_sub_nc_u32_e32 v1, 29, v1
	v_lshlrev_b64 v[7:8], v7, v[24:25]
	v_and_b32_e32 v24, 7, v7
; %bb.446:                              ;   in Loop: Header=BB187_12 Depth=1
	s_or_b32 exec_lo, exec_lo, s23
	v_lshlrev_b32_e32 v0, 16, v0
	v_lshlrev_b32_e32 v7, 20, v24
	v_lshl_add_u32 v1, v1, 23, 0x3c000000
	v_mov_b32_e32 v122, v25
	v_and_b32_e32 v0, 0x80000000, v0
	v_or3_b32 v123, v7, v0, v1
.LBB187_447:                            ;   in Loop: Header=BB187_12 Depth=1
	s_or_b32 exec_lo, exec_lo, s22
.LBB187_448:                            ;   in Loop: Header=BB187_12 Depth=1
	s_or_b32 exec_lo, exec_lo, s21
.LBB187_449:                            ;   in Loop: Header=BB187_12 Depth=1
	s_or_b32 exec_lo, exec_lo, s20
	flat_load_ushort v1, v[58:59] offset:1548
	v_mov_b32_e32 v29, 0
	v_mov_b32_e32 v27, 0
	;; [unrolled: 1-line block ×4, first 2 shown]
	s_waitcnt vmcnt(0) lgkmcnt(0)
	v_and_b32_e32 v0, 0xffff, v1
	v_cmp_ne_u16_sdwa s6, v1, v25 src0_sel:BYTE_0 src1_sel:DWORD
	s_and_saveexec_b32 s20, s6
	s_cbranch_execz .LBB187_457
; %bb.450:                              ;   in Loop: Header=BB187_12 Depth=1
	v_bfrev_b32_e32 v27, 1
	v_mov_b32_e32 v28, 0
	v_cmp_ne_u16_sdwa s6, v0, v90 src0_sel:BYTE_0 src1_sel:DWORD
	s_and_saveexec_b32 s21, s6
	s_cbranch_execz .LBB187_456
; %bb.451:                              ;   in Loop: Header=BB187_12 Depth=1
	v_mov_b32_e32 v27, 0x7f800001
	v_and_b32_e32 v7, 0x7f, v0
	v_mov_b32_e32 v28, 0
	s_mov_b32 s22, exec_lo
	v_cmpx_ne_u32_e32 0x7f, v7
	s_cbranch_execz .LBB187_455
; %bb.452:                              ;   in Loop: Header=BB187_12 Depth=1
	v_and_b32_e32 v24, 7, v0
	v_lshrrev_b32_e32 v1, 3, v7
	s_mov_b32 s23, exec_lo
	v_cmpx_gt_u32_e32 8, v7
; %bb.453:                              ;   in Loop: Header=BB187_12 Depth=1
	v_ffbh_u32_e32 v1, v24
	v_min_u32_e32 v1, 32, v1
	v_subrev_nc_u32_e32 v7, 28, v1
	v_sub_nc_u32_e32 v1, 29, v1
	v_lshlrev_b64 v[7:8], v7, v[24:25]
	v_and_b32_e32 v24, 7, v7
; %bb.454:                              ;   in Loop: Header=BB187_12 Depth=1
	s_or_b32 exec_lo, exec_lo, s23
	v_lshlrev_b32_e32 v7, 24, v0
	v_lshlrev_b32_e32 v8, 20, v24
	v_lshl_add_u32 v1, v1, 23, 0x3c000000
	v_and_b32_e32 v7, 0x80000000, v7
	v_or3_b32 v24, v8, v7, v1
	v_mov_b32_e32 v28, v25
	v_mov_b32_e32 v27, v24
.LBB187_455:                            ;   in Loop: Header=BB187_12 Depth=1
	s_or_b32 exec_lo, exec_lo, s22
.LBB187_456:                            ;   in Loop: Header=BB187_12 Depth=1
	s_or_b32 exec_lo, exec_lo, s21
.LBB187_457:                            ;   in Loop: Header=BB187_12 Depth=1
	s_or_b32 exec_lo, exec_lo, s20
	v_cmp_ne_u16_sdwa s6, v0, v25 src0_sel:BYTE_1 src1_sel:DWORD
	s_and_saveexec_b32 s20, s6
	s_cbranch_execz .LBB187_465
; %bb.458:                              ;   in Loop: Header=BB187_12 Depth=1
	v_mov_b32_e32 v114, v25
	v_cmp_ne_u16_sdwa s6, v0, v90 src0_sel:BYTE_1 src1_sel:DWORD
	v_mov_b32_e32 v29, v114
	v_mov_b32_e32 v30, v115
	s_and_saveexec_b32 s21, s6
	s_cbranch_execz .LBB187_464
; %bb.459:                              ;   in Loop: Header=BB187_12 Depth=1
	v_mov_b32_e32 v1, 0xffff
	v_mov_b32_e32 v72, v25
	s_mov_b32 s22, exec_lo
	v_and_b32_sdwa v1, v1, v0 dst_sel:DWORD dst_unused:UNUSED_PAD src0_sel:DWORD src1_sel:BYTE_1
	v_mov_b32_e32 v29, v72
	v_mov_b32_e32 v30, v73
	v_and_b32_e32 v7, 0x7f, v1
	v_cmpx_ne_u32_e32 0x7f, v7
	s_cbranch_execz .LBB187_463
; %bb.460:                              ;   in Loop: Header=BB187_12 Depth=1
	v_and_b32_e32 v24, 7, v1
	v_lshrrev_b32_e32 v1, 3, v7
	s_mov_b32 s23, exec_lo
	v_cmpx_gt_u32_e32 8, v7
; %bb.461:                              ;   in Loop: Header=BB187_12 Depth=1
	v_ffbh_u32_e32 v1, v24
	v_min_u32_e32 v1, 32, v1
	v_subrev_nc_u32_e32 v7, 28, v1
	v_sub_nc_u32_e32 v1, 29, v1
	v_lshlrev_b64 v[7:8], v7, v[24:25]
	v_and_b32_e32 v24, 7, v7
; %bb.462:                              ;   in Loop: Header=BB187_12 Depth=1
	s_or_b32 exec_lo, exec_lo, s23
	v_lshlrev_b32_e32 v0, 16, v0
	v_lshlrev_b32_e32 v7, 20, v24
	v_lshl_add_u32 v1, v1, 23, 0x3c000000
	v_mov_b32_e32 v29, v25
	v_and_b32_e32 v0, 0x80000000, v0
	v_or3_b32 v30, v7, v0, v1
.LBB187_463:                            ;   in Loop: Header=BB187_12 Depth=1
	s_or_b32 exec_lo, exec_lo, s22
.LBB187_464:                            ;   in Loop: Header=BB187_12 Depth=1
	s_or_b32 exec_lo, exec_lo, s21
.LBB187_465:                            ;   in Loop: Header=BB187_12 Depth=1
	s_or_b32 exec_lo, exec_lo, s20
	flat_load_ushort v1, v[58:59] offset:1792
	v_mov_b32_e32 v33, 0
	v_mov_b32_e32 v31, 0
	v_mov_b32_e32 v34, 0
	v_mov_b32_e32 v32, 0
	s_waitcnt vmcnt(0) lgkmcnt(0)
	v_and_b32_e32 v0, 0xffff, v1
	v_cmp_ne_u16_sdwa s6, v1, v25 src0_sel:BYTE_0 src1_sel:DWORD
	s_and_saveexec_b32 s20, s6
	s_cbranch_execz .LBB187_473
; %bb.466:                              ;   in Loop: Header=BB187_12 Depth=1
	v_bfrev_b32_e32 v31, 1
	v_mov_b32_e32 v32, 0
	v_cmp_ne_u16_sdwa s6, v0, v90 src0_sel:BYTE_0 src1_sel:DWORD
	s_and_saveexec_b32 s21, s6
	s_cbranch_execz .LBB187_472
; %bb.467:                              ;   in Loop: Header=BB187_12 Depth=1
	v_mov_b32_e32 v31, 0x7f800001
	v_and_b32_e32 v7, 0x7f, v0
	v_mov_b32_e32 v32, 0
	s_mov_b32 s22, exec_lo
	v_cmpx_ne_u32_e32 0x7f, v7
	s_cbranch_execz .LBB187_471
; %bb.468:                              ;   in Loop: Header=BB187_12 Depth=1
	v_and_b32_e32 v24, 7, v0
	v_lshrrev_b32_e32 v1, 3, v7
	s_mov_b32 s23, exec_lo
	v_cmpx_gt_u32_e32 8, v7
; %bb.469:                              ;   in Loop: Header=BB187_12 Depth=1
	v_ffbh_u32_e32 v1, v24
	v_min_u32_e32 v1, 32, v1
	v_subrev_nc_u32_e32 v7, 28, v1
	v_sub_nc_u32_e32 v1, 29, v1
	v_lshlrev_b64 v[7:8], v7, v[24:25]
	v_and_b32_e32 v24, 7, v7
; %bb.470:                              ;   in Loop: Header=BB187_12 Depth=1
	s_or_b32 exec_lo, exec_lo, s23
	v_lshlrev_b32_e32 v7, 24, v0
	v_lshlrev_b32_e32 v8, 20, v24
	v_lshl_add_u32 v1, v1, 23, 0x3c000000
	v_and_b32_e32 v7, 0x80000000, v7
	v_or3_b32 v24, v8, v7, v1
	v_mov_b32_e32 v32, v25
	v_mov_b32_e32 v31, v24
.LBB187_471:                            ;   in Loop: Header=BB187_12 Depth=1
	s_or_b32 exec_lo, exec_lo, s22
.LBB187_472:                            ;   in Loop: Header=BB187_12 Depth=1
	s_or_b32 exec_lo, exec_lo, s21
.LBB187_473:                            ;   in Loop: Header=BB187_12 Depth=1
	s_or_b32 exec_lo, exec_lo, s20
	v_cmp_ne_u16_sdwa s6, v0, v25 src0_sel:BYTE_1 src1_sel:DWORD
	s_and_saveexec_b32 s20, s6
	s_cbranch_execz .LBB187_481
; %bb.474:                              ;   in Loop: Header=BB187_12 Depth=1
	v_mov_b32_e32 v114, v25
	v_cmp_ne_u16_sdwa s6, v0, v90 src0_sel:BYTE_1 src1_sel:DWORD
	v_mov_b32_e32 v33, v114
	v_mov_b32_e32 v34, v115
	s_and_saveexec_b32 s21, s6
	s_cbranch_execz .LBB187_480
; %bb.475:                              ;   in Loop: Header=BB187_12 Depth=1
	v_mov_b32_e32 v1, 0xffff
	v_mov_b32_e32 v72, v25
	s_mov_b32 s22, exec_lo
	v_and_b32_sdwa v1, v1, v0 dst_sel:DWORD dst_unused:UNUSED_PAD src0_sel:DWORD src1_sel:BYTE_1
	v_mov_b32_e32 v33, v72
	v_mov_b32_e32 v34, v73
	v_and_b32_e32 v7, 0x7f, v1
	v_cmpx_ne_u32_e32 0x7f, v7
	s_cbranch_execz .LBB187_479
; %bb.476:                              ;   in Loop: Header=BB187_12 Depth=1
	v_and_b32_e32 v24, 7, v1
	v_lshrrev_b32_e32 v1, 3, v7
	s_mov_b32 s23, exec_lo
	v_cmpx_gt_u32_e32 8, v7
; %bb.477:                              ;   in Loop: Header=BB187_12 Depth=1
	v_ffbh_u32_e32 v1, v24
	v_min_u32_e32 v1, 32, v1
	v_subrev_nc_u32_e32 v7, 28, v1
	v_sub_nc_u32_e32 v1, 29, v1
	v_lshlrev_b64 v[7:8], v7, v[24:25]
	v_and_b32_e32 v24, 7, v7
; %bb.478:                              ;   in Loop: Header=BB187_12 Depth=1
	s_or_b32 exec_lo, exec_lo, s23
	v_lshlrev_b32_e32 v0, 16, v0
	v_lshlrev_b32_e32 v7, 20, v24
	v_lshl_add_u32 v1, v1, 23, 0x3c000000
	v_mov_b32_e32 v33, v25
	v_and_b32_e32 v0, 0x80000000, v0
	v_or3_b32 v34, v7, v0, v1
.LBB187_479:                            ;   in Loop: Header=BB187_12 Depth=1
	s_or_b32 exec_lo, exec_lo, s22
.LBB187_480:                            ;   in Loop: Header=BB187_12 Depth=1
	s_or_b32 exec_lo, exec_lo, s21
.LBB187_481:                            ;   in Loop: Header=BB187_12 Depth=1
	s_or_b32 exec_lo, exec_lo, s20
	flat_load_ushort v1, v[58:59] offset:1796
	v_mov_b32_e32 v37, 0
	v_mov_b32_e32 v35, 0
	;; [unrolled: 1-line block ×4, first 2 shown]
	s_waitcnt vmcnt(0) lgkmcnt(0)
	v_and_b32_e32 v0, 0xffff, v1
	v_cmp_ne_u16_sdwa s6, v1, v25 src0_sel:BYTE_0 src1_sel:DWORD
	s_and_saveexec_b32 s20, s6
	s_cbranch_execz .LBB187_489
; %bb.482:                              ;   in Loop: Header=BB187_12 Depth=1
	v_bfrev_b32_e32 v35, 1
	v_mov_b32_e32 v36, 0
	v_cmp_ne_u16_sdwa s6, v0, v90 src0_sel:BYTE_0 src1_sel:DWORD
	s_and_saveexec_b32 s21, s6
	s_cbranch_execz .LBB187_488
; %bb.483:                              ;   in Loop: Header=BB187_12 Depth=1
	v_mov_b32_e32 v35, 0x7f800001
	v_and_b32_e32 v7, 0x7f, v0
	v_mov_b32_e32 v36, 0
	s_mov_b32 s22, exec_lo
	v_cmpx_ne_u32_e32 0x7f, v7
	s_cbranch_execz .LBB187_487
; %bb.484:                              ;   in Loop: Header=BB187_12 Depth=1
	v_and_b32_e32 v24, 7, v0
	v_lshrrev_b32_e32 v1, 3, v7
	s_mov_b32 s23, exec_lo
	v_cmpx_gt_u32_e32 8, v7
; %bb.485:                              ;   in Loop: Header=BB187_12 Depth=1
	v_ffbh_u32_e32 v1, v24
	v_min_u32_e32 v1, 32, v1
	v_subrev_nc_u32_e32 v7, 28, v1
	v_sub_nc_u32_e32 v1, 29, v1
	v_lshlrev_b64 v[7:8], v7, v[24:25]
	v_and_b32_e32 v24, 7, v7
; %bb.486:                              ;   in Loop: Header=BB187_12 Depth=1
	s_or_b32 exec_lo, exec_lo, s23
	v_lshlrev_b32_e32 v7, 24, v0
	v_lshlrev_b32_e32 v8, 20, v24
	v_lshl_add_u32 v1, v1, 23, 0x3c000000
	v_and_b32_e32 v7, 0x80000000, v7
	v_or3_b32 v24, v8, v7, v1
	v_mov_b32_e32 v36, v25
	v_mov_b32_e32 v35, v24
.LBB187_487:                            ;   in Loop: Header=BB187_12 Depth=1
	s_or_b32 exec_lo, exec_lo, s22
.LBB187_488:                            ;   in Loop: Header=BB187_12 Depth=1
	s_or_b32 exec_lo, exec_lo, s21
.LBB187_489:                            ;   in Loop: Header=BB187_12 Depth=1
	s_or_b32 exec_lo, exec_lo, s20
	v_cmp_ne_u16_sdwa s6, v0, v25 src0_sel:BYTE_1 src1_sel:DWORD
	s_and_saveexec_b32 s20, s6
	s_cbranch_execz .LBB187_497
; %bb.490:                              ;   in Loop: Header=BB187_12 Depth=1
	v_mov_b32_e32 v114, v25
	v_cmp_ne_u16_sdwa s6, v0, v90 src0_sel:BYTE_1 src1_sel:DWORD
	v_mov_b32_e32 v37, v114
	v_mov_b32_e32 v38, v115
	s_and_saveexec_b32 s21, s6
	s_cbranch_execz .LBB187_496
; %bb.491:                              ;   in Loop: Header=BB187_12 Depth=1
	v_mov_b32_e32 v1, 0xffff
	v_mov_b32_e32 v72, v25
	s_mov_b32 s22, exec_lo
	v_and_b32_sdwa v1, v1, v0 dst_sel:DWORD dst_unused:UNUSED_PAD src0_sel:DWORD src1_sel:BYTE_1
	v_mov_b32_e32 v37, v72
	v_mov_b32_e32 v38, v73
	v_and_b32_e32 v7, 0x7f, v1
	v_cmpx_ne_u32_e32 0x7f, v7
	s_cbranch_execz .LBB187_495
; %bb.492:                              ;   in Loop: Header=BB187_12 Depth=1
	v_and_b32_e32 v24, 7, v1
	v_lshrrev_b32_e32 v1, 3, v7
	s_mov_b32 s23, exec_lo
	v_cmpx_gt_u32_e32 8, v7
; %bb.493:                              ;   in Loop: Header=BB187_12 Depth=1
	v_ffbh_u32_e32 v1, v24
	v_min_u32_e32 v1, 32, v1
	v_subrev_nc_u32_e32 v7, 28, v1
	v_sub_nc_u32_e32 v1, 29, v1
	v_lshlrev_b64 v[7:8], v7, v[24:25]
	v_and_b32_e32 v24, 7, v7
; %bb.494:                              ;   in Loop: Header=BB187_12 Depth=1
	s_or_b32 exec_lo, exec_lo, s23
	v_lshlrev_b32_e32 v0, 16, v0
	v_lshlrev_b32_e32 v7, 20, v24
	v_lshl_add_u32 v1, v1, 23, 0x3c000000
	v_mov_b32_e32 v37, v25
	v_and_b32_e32 v0, 0x80000000, v0
	v_or3_b32 v38, v7, v0, v1
.LBB187_495:                            ;   in Loop: Header=BB187_12 Depth=1
	s_or_b32 exec_lo, exec_lo, s22
.LBB187_496:                            ;   in Loop: Header=BB187_12 Depth=1
	s_or_b32 exec_lo, exec_lo, s21
.LBB187_497:                            ;   in Loop: Header=BB187_12 Depth=1
	s_or_b32 exec_lo, exec_lo, s20
	flat_load_ushort v1, v[58:59] offset:1800
	v_mov_b32_e32 v48, 0
	v_mov_b32_e32 v108, 0
	;; [unrolled: 1-line block ×4, first 2 shown]
	s_waitcnt vmcnt(0) lgkmcnt(0)
	v_and_b32_e32 v0, 0xffff, v1
	v_cmp_ne_u16_sdwa s6, v1, v25 src0_sel:BYTE_0 src1_sel:DWORD
	s_and_saveexec_b32 s20, s6
	s_cbranch_execz .LBB187_505
; %bb.498:                              ;   in Loop: Header=BB187_12 Depth=1
	v_bfrev_b32_e32 v108, 1
	v_mov_b32_e32 v109, 0
	v_cmp_ne_u16_sdwa s6, v0, v90 src0_sel:BYTE_0 src1_sel:DWORD
	s_and_saveexec_b32 s21, s6
	s_cbranch_execz .LBB187_504
; %bb.499:                              ;   in Loop: Header=BB187_12 Depth=1
	v_mov_b32_e32 v108, 0x7f800001
	v_and_b32_e32 v7, 0x7f, v0
	v_mov_b32_e32 v109, 0
	s_mov_b32 s22, exec_lo
	v_cmpx_ne_u32_e32 0x7f, v7
	s_cbranch_execz .LBB187_503
; %bb.500:                              ;   in Loop: Header=BB187_12 Depth=1
	v_and_b32_e32 v24, 7, v0
	v_lshrrev_b32_e32 v1, 3, v7
	s_mov_b32 s23, exec_lo
	v_cmpx_gt_u32_e32 8, v7
; %bb.501:                              ;   in Loop: Header=BB187_12 Depth=1
	v_ffbh_u32_e32 v1, v24
	v_min_u32_e32 v1, 32, v1
	v_subrev_nc_u32_e32 v7, 28, v1
	v_sub_nc_u32_e32 v1, 29, v1
	v_lshlrev_b64 v[7:8], v7, v[24:25]
	v_and_b32_e32 v24, 7, v7
; %bb.502:                              ;   in Loop: Header=BB187_12 Depth=1
	s_or_b32 exec_lo, exec_lo, s23
	v_lshlrev_b32_e32 v7, 24, v0
	v_lshlrev_b32_e32 v8, 20, v24
	v_lshl_add_u32 v1, v1, 23, 0x3c000000
	v_and_b32_e32 v7, 0x80000000, v7
	v_or3_b32 v24, v8, v7, v1
	v_mov_b32_e32 v109, v25
	v_mov_b32_e32 v108, v24
.LBB187_503:                            ;   in Loop: Header=BB187_12 Depth=1
	s_or_b32 exec_lo, exec_lo, s22
.LBB187_504:                            ;   in Loop: Header=BB187_12 Depth=1
	s_or_b32 exec_lo, exec_lo, s21
.LBB187_505:                            ;   in Loop: Header=BB187_12 Depth=1
	s_or_b32 exec_lo, exec_lo, s20
	v_cmp_ne_u16_sdwa s6, v0, v25 src0_sel:BYTE_1 src1_sel:DWORD
	s_and_saveexec_b32 s20, s6
	s_cbranch_execz .LBB187_513
; %bb.506:                              ;   in Loop: Header=BB187_12 Depth=1
	v_mov_b32_e32 v114, v25
	v_cmp_ne_u16_sdwa s6, v0, v90 src0_sel:BYTE_1 src1_sel:DWORD
	v_mov_b32_e32 v48, v114
	v_mov_b32_e32 v49, v115
	s_and_saveexec_b32 s21, s6
	s_cbranch_execz .LBB187_512
; %bb.507:                              ;   in Loop: Header=BB187_12 Depth=1
	v_mov_b32_e32 v1, 0xffff
	v_mov_b32_e32 v72, v25
	s_mov_b32 s22, exec_lo
	v_and_b32_sdwa v1, v1, v0 dst_sel:DWORD dst_unused:UNUSED_PAD src0_sel:DWORD src1_sel:BYTE_1
	v_mov_b32_e32 v48, v72
	v_mov_b32_e32 v49, v73
	v_and_b32_e32 v7, 0x7f, v1
	v_cmpx_ne_u32_e32 0x7f, v7
	s_cbranch_execz .LBB187_511
; %bb.508:                              ;   in Loop: Header=BB187_12 Depth=1
	v_and_b32_e32 v24, 7, v1
	v_lshrrev_b32_e32 v1, 3, v7
	s_mov_b32 s23, exec_lo
	v_cmpx_gt_u32_e32 8, v7
; %bb.509:                              ;   in Loop: Header=BB187_12 Depth=1
	v_ffbh_u32_e32 v1, v24
	v_min_u32_e32 v1, 32, v1
	v_subrev_nc_u32_e32 v7, 28, v1
	v_sub_nc_u32_e32 v1, 29, v1
	v_lshlrev_b64 v[7:8], v7, v[24:25]
	v_and_b32_e32 v24, 7, v7
; %bb.510:                              ;   in Loop: Header=BB187_12 Depth=1
	s_or_b32 exec_lo, exec_lo, s23
	v_lshlrev_b32_e32 v0, 16, v0
	v_lshlrev_b32_e32 v7, 20, v24
	v_lshl_add_u32 v1, v1, 23, 0x3c000000
	v_mov_b32_e32 v48, v25
	v_and_b32_e32 v0, 0x80000000, v0
	v_or3_b32 v49, v7, v0, v1
.LBB187_511:                            ;   in Loop: Header=BB187_12 Depth=1
	s_or_b32 exec_lo, exec_lo, s22
.LBB187_512:                            ;   in Loop: Header=BB187_12 Depth=1
	s_or_b32 exec_lo, exec_lo, s21
.LBB187_513:                            ;   in Loop: Header=BB187_12 Depth=1
	s_or_b32 exec_lo, exec_lo, s20
	flat_load_ushort v1, v[58:59] offset:1804
	v_mov_b32_e32 v58, 0
	v_mov_b32_e32 v50, 0
	;; [unrolled: 1-line block ×4, first 2 shown]
	s_waitcnt vmcnt(0) lgkmcnt(0)
	v_and_b32_e32 v0, 0xffff, v1
	v_cmp_ne_u16_sdwa s6, v1, v25 src0_sel:BYTE_0 src1_sel:DWORD
	s_and_saveexec_b32 s20, s6
	s_cbranch_execz .LBB187_521
; %bb.514:                              ;   in Loop: Header=BB187_12 Depth=1
	v_bfrev_b32_e32 v50, 1
	v_mov_b32_e32 v51, 0
	v_cmp_ne_u16_sdwa s6, v0, v90 src0_sel:BYTE_0 src1_sel:DWORD
	s_and_saveexec_b32 s21, s6
	s_cbranch_execz .LBB187_520
; %bb.515:                              ;   in Loop: Header=BB187_12 Depth=1
	v_mov_b32_e32 v50, 0x7f800001
	v_and_b32_e32 v7, 0x7f, v0
	v_mov_b32_e32 v51, 0
	s_mov_b32 s22, exec_lo
	v_cmpx_ne_u32_e32 0x7f, v7
	s_cbranch_execz .LBB187_519
; %bb.516:                              ;   in Loop: Header=BB187_12 Depth=1
	v_and_b32_e32 v24, 7, v0
	v_lshrrev_b32_e32 v1, 3, v7
	s_mov_b32 s23, exec_lo
	v_cmpx_gt_u32_e32 8, v7
; %bb.517:                              ;   in Loop: Header=BB187_12 Depth=1
	v_ffbh_u32_e32 v1, v24
	v_min_u32_e32 v1, 32, v1
	v_subrev_nc_u32_e32 v7, 28, v1
	v_sub_nc_u32_e32 v1, 29, v1
	v_lshlrev_b64 v[7:8], v7, v[24:25]
	v_and_b32_e32 v24, 7, v7
; %bb.518:                              ;   in Loop: Header=BB187_12 Depth=1
	s_or_b32 exec_lo, exec_lo, s23
	v_lshlrev_b32_e32 v7, 24, v0
	v_lshlrev_b32_e32 v8, 20, v24
	v_lshl_add_u32 v1, v1, 23, 0x3c000000
	v_and_b32_e32 v7, 0x80000000, v7
	v_or3_b32 v24, v8, v7, v1
	v_mov_b32_e32 v51, v25
	v_mov_b32_e32 v50, v24
.LBB187_519:                            ;   in Loop: Header=BB187_12 Depth=1
	s_or_b32 exec_lo, exec_lo, s22
.LBB187_520:                            ;   in Loop: Header=BB187_12 Depth=1
	s_or_b32 exec_lo, exec_lo, s21
.LBB187_521:                            ;   in Loop: Header=BB187_12 Depth=1
	s_or_b32 exec_lo, exec_lo, s20
	v_cmp_ne_u16_sdwa s6, v0, v25 src0_sel:BYTE_1 src1_sel:DWORD
	s_and_saveexec_b32 s20, s6
	s_cbranch_execz .LBB187_529
; %bb.522:                              ;   in Loop: Header=BB187_12 Depth=1
	v_mov_b32_e32 v114, v25
	v_cmp_ne_u16_sdwa s6, v0, v90 src0_sel:BYTE_1 src1_sel:DWORD
	v_mov_b32_e32 v58, v114
	v_mov_b32_e32 v59, v115
	s_and_saveexec_b32 s21, s6
	s_cbranch_execz .LBB187_528
; %bb.523:                              ;   in Loop: Header=BB187_12 Depth=1
	v_mov_b32_e32 v1, 0xffff
	v_mov_b32_e32 v72, v25
	s_mov_b32 s22, exec_lo
	v_and_b32_sdwa v1, v1, v0 dst_sel:DWORD dst_unused:UNUSED_PAD src0_sel:DWORD src1_sel:BYTE_1
	v_mov_b32_e32 v58, v72
	v_mov_b32_e32 v59, v73
	v_and_b32_e32 v7, 0x7f, v1
	v_cmpx_ne_u32_e32 0x7f, v7
	s_cbranch_execz .LBB187_527
; %bb.524:                              ;   in Loop: Header=BB187_12 Depth=1
	v_and_b32_e32 v24, 7, v1
	v_lshrrev_b32_e32 v1, 3, v7
	s_mov_b32 s23, exec_lo
	v_cmpx_gt_u32_e32 8, v7
; %bb.525:                              ;   in Loop: Header=BB187_12 Depth=1
	v_ffbh_u32_e32 v1, v24
	v_min_u32_e32 v1, 32, v1
	v_subrev_nc_u32_e32 v7, 28, v1
	v_sub_nc_u32_e32 v1, 29, v1
	v_lshlrev_b64 v[7:8], v7, v[24:25]
	v_and_b32_e32 v24, 7, v7
; %bb.526:                              ;   in Loop: Header=BB187_12 Depth=1
	s_or_b32 exec_lo, exec_lo, s23
	v_lshlrev_b32_e32 v0, 16, v0
	v_lshlrev_b32_e32 v7, 20, v24
	v_lshl_add_u32 v1, v1, 23, 0x3c000000
	v_mov_b32_e32 v58, v25
	v_and_b32_e32 v0, 0x80000000, v0
	v_or3_b32 v59, v7, v0, v1
.LBB187_527:                            ;   in Loop: Header=BB187_12 Depth=1
	s_or_b32 exec_lo, exec_lo, s22
.LBB187_528:                            ;   in Loop: Header=BB187_12 Depth=1
	s_or_b32 exec_lo, exec_lo, s21
.LBB187_529:                            ;   in Loop: Header=BB187_12 Depth=1
	s_or_b32 exec_lo, exec_lo, s20
	v_add_co_u32 v0, s6, 0x800, v88
	v_add_co_ci_u32_e64 v1, null, 0, v89, s6
	v_mov_b32_e32 v54, 0
	v_add_co_u32 v7, s6, v0, v26
	v_add_co_ci_u32_e64 v8, null, 0, v1, s6
	v_mov_b32_e32 v52, 0
	v_mov_b32_e32 v55, 0
	;; [unrolled: 1-line block ×3, first 2 shown]
	flat_load_ushort v8, v[7:8]
	s_waitcnt vmcnt(0) lgkmcnt(0)
	v_and_b32_e32 v7, 0xffff, v8
	v_cmp_ne_u16_sdwa s6, v8, v25 src0_sel:BYTE_0 src1_sel:DWORD
	s_and_saveexec_b32 s20, s6
	s_cbranch_execz .LBB187_537
; %bb.530:                              ;   in Loop: Header=BB187_12 Depth=1
	v_bfrev_b32_e32 v52, 1
	v_mov_b32_e32 v53, 0
	v_cmp_ne_u16_sdwa s6, v7, v90 src0_sel:BYTE_0 src1_sel:DWORD
	s_and_saveexec_b32 s21, s6
	s_cbranch_execz .LBB187_536
; %bb.531:                              ;   in Loop: Header=BB187_12 Depth=1
	v_mov_b32_e32 v52, 0x7f800001
	v_and_b32_e32 v10, 0x7f, v7
	v_mov_b32_e32 v53, 0
	s_mov_b32 s22, exec_lo
	v_cmpx_ne_u32_e32 0x7f, v10
	s_cbranch_execz .LBB187_535
; %bb.532:                              ;   in Loop: Header=BB187_12 Depth=1
	v_and_b32_e32 v24, 7, v7
	v_lshrrev_b32_e32 v8, 3, v10
	s_mov_b32 s23, exec_lo
	v_cmpx_gt_u32_e32 8, v10
; %bb.533:                              ;   in Loop: Header=BB187_12 Depth=1
	v_ffbh_u32_e32 v8, v24
	v_min_u32_e32 v8, 32, v8
	v_subrev_nc_u32_e32 v10, 28, v8
	v_sub_nc_u32_e32 v8, 29, v8
	v_lshlrev_b64 v[10:11], v10, v[24:25]
	v_and_b32_e32 v24, 7, v10
; %bb.534:                              ;   in Loop: Header=BB187_12 Depth=1
	s_or_b32 exec_lo, exec_lo, s23
	v_lshlrev_b32_e32 v10, 24, v7
	v_lshlrev_b32_e32 v11, 20, v24
	v_lshl_add_u32 v8, v8, 23, 0x3c000000
	v_and_b32_e32 v10, 0x80000000, v10
	v_or3_b32 v24, v11, v10, v8
	v_mov_b32_e32 v53, v25
	v_mov_b32_e32 v52, v24
.LBB187_535:                            ;   in Loop: Header=BB187_12 Depth=1
	s_or_b32 exec_lo, exec_lo, s22
.LBB187_536:                            ;   in Loop: Header=BB187_12 Depth=1
	s_or_b32 exec_lo, exec_lo, s21
.LBB187_537:                            ;   in Loop: Header=BB187_12 Depth=1
	s_or_b32 exec_lo, exec_lo, s20
	v_cmp_ne_u16_sdwa s6, v7, v25 src0_sel:BYTE_1 src1_sel:DWORD
	s_and_saveexec_b32 s20, s6
	s_cbranch_execz .LBB187_545
; %bb.538:                              ;   in Loop: Header=BB187_12 Depth=1
	v_mov_b32_e32 v114, v25
	v_cmp_ne_u16_sdwa s6, v7, v90 src0_sel:BYTE_1 src1_sel:DWORD
	v_mov_b32_e32 v54, v114
	v_mov_b32_e32 v55, v115
	s_and_saveexec_b32 s21, s6
	s_cbranch_execz .LBB187_544
; %bb.539:                              ;   in Loop: Header=BB187_12 Depth=1
	v_mov_b32_e32 v8, 0xffff
	v_mov_b32_e32 v72, v25
	s_mov_b32 s22, exec_lo
	v_and_b32_sdwa v8, v8, v7 dst_sel:DWORD dst_unused:UNUSED_PAD src0_sel:DWORD src1_sel:BYTE_1
	v_mov_b32_e32 v54, v72
	v_mov_b32_e32 v55, v73
	v_and_b32_e32 v10, 0x7f, v8
	v_cmpx_ne_u32_e32 0x7f, v10
	s_cbranch_execz .LBB187_543
; %bb.540:                              ;   in Loop: Header=BB187_12 Depth=1
	v_and_b32_e32 v24, 7, v8
	v_lshrrev_b32_e32 v8, 3, v10
	s_mov_b32 s23, exec_lo
	v_cmpx_gt_u32_e32 8, v10
; %bb.541:                              ;   in Loop: Header=BB187_12 Depth=1
	v_ffbh_u32_e32 v8, v24
	v_min_u32_e32 v8, 32, v8
	v_subrev_nc_u32_e32 v10, 28, v8
	v_sub_nc_u32_e32 v8, 29, v8
	v_lshlrev_b64 v[10:11], v10, v[24:25]
	v_and_b32_e32 v24, 7, v10
; %bb.542:                              ;   in Loop: Header=BB187_12 Depth=1
	s_or_b32 exec_lo, exec_lo, s23
	v_lshlrev_b32_e32 v7, 16, v7
	v_lshlrev_b32_e32 v10, 20, v24
	v_lshl_add_u32 v8, v8, 23, 0x3c000000
	v_mov_b32_e32 v54, v25
	v_and_b32_e32 v7, 0x80000000, v7
	v_or3_b32 v55, v10, v7, v8
.LBB187_543:                            ;   in Loop: Header=BB187_12 Depth=1
	s_or_b32 exec_lo, exec_lo, s22
.LBB187_544:                            ;   in Loop: Header=BB187_12 Depth=1
	s_or_b32 exec_lo, exec_lo, s21
.LBB187_545:                            ;   in Loop: Header=BB187_12 Depth=1
	s_or_b32 exec_lo, exec_lo, s20
	buffer_load_dword v7, off, s[0:3], s32 offset:216 ; 4-byte Folded Reload
	v_mov_b32_e32 v66, 0
	v_mov_b32_e32 v64, 0
	;; [unrolled: 1-line block ×4, first 2 shown]
	s_waitcnt vmcnt(0)
	v_add_co_u32 v7, s6, v0, v7
	v_add_co_ci_u32_e64 v8, null, 0, v1, s6
	flat_load_ushort v8, v[7:8]
	s_waitcnt vmcnt(0) lgkmcnt(0)
	v_and_b32_e32 v7, 0xffff, v8
	v_cmp_ne_u16_sdwa s6, v8, v25 src0_sel:BYTE_0 src1_sel:DWORD
	s_and_saveexec_b32 s20, s6
	s_cbranch_execz .LBB187_553
; %bb.546:                              ;   in Loop: Header=BB187_12 Depth=1
	v_bfrev_b32_e32 v64, 1
	v_mov_b32_e32 v65, 0
	v_cmp_ne_u16_sdwa s6, v7, v90 src0_sel:BYTE_0 src1_sel:DWORD
	s_and_saveexec_b32 s21, s6
	s_cbranch_execz .LBB187_552
; %bb.547:                              ;   in Loop: Header=BB187_12 Depth=1
	v_mov_b32_e32 v64, 0x7f800001
	v_and_b32_e32 v10, 0x7f, v7
	v_mov_b32_e32 v65, 0
	s_mov_b32 s22, exec_lo
	v_cmpx_ne_u32_e32 0x7f, v10
	s_cbranch_execz .LBB187_551
; %bb.548:                              ;   in Loop: Header=BB187_12 Depth=1
	v_and_b32_e32 v24, 7, v7
	v_lshrrev_b32_e32 v8, 3, v10
	s_mov_b32 s23, exec_lo
	v_cmpx_gt_u32_e32 8, v10
; %bb.549:                              ;   in Loop: Header=BB187_12 Depth=1
	v_ffbh_u32_e32 v8, v24
	v_min_u32_e32 v8, 32, v8
	v_subrev_nc_u32_e32 v10, 28, v8
	v_sub_nc_u32_e32 v8, 29, v8
	v_lshlrev_b64 v[10:11], v10, v[24:25]
	v_and_b32_e32 v24, 7, v10
; %bb.550:                              ;   in Loop: Header=BB187_12 Depth=1
	s_or_b32 exec_lo, exec_lo, s23
	v_lshlrev_b32_e32 v10, 24, v7
	v_lshlrev_b32_e32 v11, 20, v24
	v_lshl_add_u32 v8, v8, 23, 0x3c000000
	v_and_b32_e32 v10, 0x80000000, v10
	v_or3_b32 v24, v11, v10, v8
	v_mov_b32_e32 v65, v25
	v_mov_b32_e32 v64, v24
.LBB187_551:                            ;   in Loop: Header=BB187_12 Depth=1
	s_or_b32 exec_lo, exec_lo, s22
.LBB187_552:                            ;   in Loop: Header=BB187_12 Depth=1
	s_or_b32 exec_lo, exec_lo, s21
.LBB187_553:                            ;   in Loop: Header=BB187_12 Depth=1
	s_or_b32 exec_lo, exec_lo, s20
	v_cmp_ne_u16_sdwa s6, v7, v25 src0_sel:BYTE_1 src1_sel:DWORD
	s_and_saveexec_b32 s20, s6
	s_cbranch_execz .LBB187_561
; %bb.554:                              ;   in Loop: Header=BB187_12 Depth=1
	v_mov_b32_e32 v114, v25
	v_cmp_ne_u16_sdwa s6, v7, v90 src0_sel:BYTE_1 src1_sel:DWORD
	v_mov_b32_e32 v66, v114
	v_mov_b32_e32 v67, v115
	s_and_saveexec_b32 s21, s6
	s_cbranch_execz .LBB187_560
; %bb.555:                              ;   in Loop: Header=BB187_12 Depth=1
	v_mov_b32_e32 v8, 0xffff
	v_mov_b32_e32 v72, v25
	s_mov_b32 s22, exec_lo
	v_and_b32_sdwa v8, v8, v7 dst_sel:DWORD dst_unused:UNUSED_PAD src0_sel:DWORD src1_sel:BYTE_1
	v_mov_b32_e32 v66, v72
	v_mov_b32_e32 v67, v73
	v_and_b32_e32 v10, 0x7f, v8
	v_cmpx_ne_u32_e32 0x7f, v10
	s_cbranch_execz .LBB187_559
; %bb.556:                              ;   in Loop: Header=BB187_12 Depth=1
	v_and_b32_e32 v24, 7, v8
	v_lshrrev_b32_e32 v8, 3, v10
	s_mov_b32 s23, exec_lo
	v_cmpx_gt_u32_e32 8, v10
; %bb.557:                              ;   in Loop: Header=BB187_12 Depth=1
	v_ffbh_u32_e32 v8, v24
	v_min_u32_e32 v8, 32, v8
	v_subrev_nc_u32_e32 v10, 28, v8
	v_sub_nc_u32_e32 v8, 29, v8
	v_lshlrev_b64 v[10:11], v10, v[24:25]
	v_and_b32_e32 v24, 7, v10
; %bb.558:                              ;   in Loop: Header=BB187_12 Depth=1
	s_or_b32 exec_lo, exec_lo, s23
	v_lshlrev_b32_e32 v7, 16, v7
	v_lshlrev_b32_e32 v10, 20, v24
	v_lshl_add_u32 v8, v8, 23, 0x3c000000
	v_mov_b32_e32 v66, v25
	v_and_b32_e32 v7, 0x80000000, v7
	v_or3_b32 v67, v10, v7, v8
.LBB187_559:                            ;   in Loop: Header=BB187_12 Depth=1
	s_or_b32 exec_lo, exec_lo, s22
.LBB187_560:                            ;   in Loop: Header=BB187_12 Depth=1
	s_or_b32 exec_lo, exec_lo, s21
.LBB187_561:                            ;   in Loop: Header=BB187_12 Depth=1
	s_or_b32 exec_lo, exec_lo, s20
	buffer_load_dword v7, off, s[0:3], s32 offset:220 ; 4-byte Folded Reload
	v_mov_b32_e32 v70, 0
	v_mov_b32_e32 v68, 0
	;; [unrolled: 1-line block ×4, first 2 shown]
	s_waitcnt vmcnt(0)
	v_add_co_u32 v7, s6, v0, v7
	v_add_co_ci_u32_e64 v8, null, 0, v1, s6
	flat_load_ushort v8, v[7:8]
	s_waitcnt vmcnt(0) lgkmcnt(0)
	v_and_b32_e32 v7, 0xffff, v8
	v_cmp_ne_u16_sdwa s6, v8, v25 src0_sel:BYTE_0 src1_sel:DWORD
	s_and_saveexec_b32 s20, s6
	s_cbranch_execz .LBB187_569
; %bb.562:                              ;   in Loop: Header=BB187_12 Depth=1
	v_bfrev_b32_e32 v68, 1
	v_mov_b32_e32 v69, 0
	v_cmp_ne_u16_sdwa s6, v7, v90 src0_sel:BYTE_0 src1_sel:DWORD
	s_and_saveexec_b32 s21, s6
	s_cbranch_execz .LBB187_568
; %bb.563:                              ;   in Loop: Header=BB187_12 Depth=1
	v_mov_b32_e32 v68, 0x7f800001
	v_and_b32_e32 v10, 0x7f, v7
	v_mov_b32_e32 v69, 0
	s_mov_b32 s22, exec_lo
	v_cmpx_ne_u32_e32 0x7f, v10
	s_cbranch_execz .LBB187_567
; %bb.564:                              ;   in Loop: Header=BB187_12 Depth=1
	v_and_b32_e32 v24, 7, v7
	v_lshrrev_b32_e32 v8, 3, v10
	s_mov_b32 s23, exec_lo
	v_cmpx_gt_u32_e32 8, v10
; %bb.565:                              ;   in Loop: Header=BB187_12 Depth=1
	v_ffbh_u32_e32 v8, v24
	v_min_u32_e32 v8, 32, v8
	v_subrev_nc_u32_e32 v10, 28, v8
	v_sub_nc_u32_e32 v8, 29, v8
	v_lshlrev_b64 v[10:11], v10, v[24:25]
	v_and_b32_e32 v24, 7, v10
; %bb.566:                              ;   in Loop: Header=BB187_12 Depth=1
	s_or_b32 exec_lo, exec_lo, s23
	v_lshlrev_b32_e32 v10, 24, v7
	v_lshlrev_b32_e32 v11, 20, v24
	v_lshl_add_u32 v8, v8, 23, 0x3c000000
	v_and_b32_e32 v10, 0x80000000, v10
	v_or3_b32 v24, v11, v10, v8
	v_mov_b32_e32 v69, v25
	v_mov_b32_e32 v68, v24
.LBB187_567:                            ;   in Loop: Header=BB187_12 Depth=1
	s_or_b32 exec_lo, exec_lo, s22
.LBB187_568:                            ;   in Loop: Header=BB187_12 Depth=1
	s_or_b32 exec_lo, exec_lo, s21
.LBB187_569:                            ;   in Loop: Header=BB187_12 Depth=1
	s_or_b32 exec_lo, exec_lo, s20
	v_cmp_ne_u16_sdwa s6, v7, v25 src0_sel:BYTE_1 src1_sel:DWORD
	s_and_saveexec_b32 s20, s6
	s_cbranch_execz .LBB187_577
; %bb.570:                              ;   in Loop: Header=BB187_12 Depth=1
	v_mov_b32_e32 v114, v25
	v_cmp_ne_u16_sdwa s6, v7, v90 src0_sel:BYTE_1 src1_sel:DWORD
	v_mov_b32_e32 v70, v114
	v_mov_b32_e32 v71, v115
	s_and_saveexec_b32 s21, s6
	s_cbranch_execz .LBB187_576
; %bb.571:                              ;   in Loop: Header=BB187_12 Depth=1
	v_mov_b32_e32 v8, 0xffff
	v_mov_b32_e32 v72, v25
	s_mov_b32 s22, exec_lo
	v_and_b32_sdwa v8, v8, v7 dst_sel:DWORD dst_unused:UNUSED_PAD src0_sel:DWORD src1_sel:BYTE_1
	v_mov_b32_e32 v70, v72
	v_mov_b32_e32 v71, v73
	v_and_b32_e32 v10, 0x7f, v8
	v_cmpx_ne_u32_e32 0x7f, v10
	s_cbranch_execz .LBB187_575
; %bb.572:                              ;   in Loop: Header=BB187_12 Depth=1
	v_and_b32_e32 v24, 7, v8
	v_lshrrev_b32_e32 v8, 3, v10
	s_mov_b32 s23, exec_lo
	v_cmpx_gt_u32_e32 8, v10
; %bb.573:                              ;   in Loop: Header=BB187_12 Depth=1
	v_ffbh_u32_e32 v8, v24
	v_min_u32_e32 v8, 32, v8
	v_subrev_nc_u32_e32 v10, 28, v8
	v_sub_nc_u32_e32 v8, 29, v8
	v_lshlrev_b64 v[10:11], v10, v[24:25]
	v_and_b32_e32 v24, 7, v10
; %bb.574:                              ;   in Loop: Header=BB187_12 Depth=1
	s_or_b32 exec_lo, exec_lo, s23
	v_lshlrev_b32_e32 v7, 16, v7
	v_lshlrev_b32_e32 v10, 20, v24
	v_lshl_add_u32 v8, v8, 23, 0x3c000000
	v_mov_b32_e32 v70, v25
	v_and_b32_e32 v7, 0x80000000, v7
	v_or3_b32 v71, v10, v7, v8
.LBB187_575:                            ;   in Loop: Header=BB187_12 Depth=1
	s_or_b32 exec_lo, exec_lo, s22
.LBB187_576:                            ;   in Loop: Header=BB187_12 Depth=1
	s_or_b32 exec_lo, exec_lo, s21
.LBB187_577:                            ;   in Loop: Header=BB187_12 Depth=1
	s_or_b32 exec_lo, exec_lo, s20
	buffer_load_dword v7, off, s[0:3], s32 offset:224 ; 4-byte Folded Reload
	v_mov_b32_e32 v82, 0
	v_mov_b32_e32 v80, 0
	;; [unrolled: 1-line block ×4, first 2 shown]
	s_waitcnt vmcnt(0)
	v_add_co_u32 v0, s6, v0, v7
	v_add_co_ci_u32_e64 v1, null, 0, v1, s6
	flat_load_ushort v1, v[0:1]
	s_waitcnt vmcnt(0) lgkmcnt(0)
	v_and_b32_e32 v0, 0xffff, v1
	v_cmp_ne_u16_sdwa s6, v1, v25 src0_sel:BYTE_0 src1_sel:DWORD
	s_and_saveexec_b32 s20, s6
	s_cbranch_execz .LBB187_585
; %bb.578:                              ;   in Loop: Header=BB187_12 Depth=1
	v_bfrev_b32_e32 v80, 1
	v_mov_b32_e32 v81, 0
	v_cmp_ne_u16_sdwa s6, v0, v90 src0_sel:BYTE_0 src1_sel:DWORD
	s_and_saveexec_b32 s21, s6
	s_cbranch_execz .LBB187_584
; %bb.579:                              ;   in Loop: Header=BB187_12 Depth=1
	v_mov_b32_e32 v80, 0x7f800001
	v_and_b32_e32 v7, 0x7f, v0
	v_mov_b32_e32 v81, 0
	s_mov_b32 s22, exec_lo
	v_cmpx_ne_u32_e32 0x7f, v7
	s_cbranch_execz .LBB187_583
; %bb.580:                              ;   in Loop: Header=BB187_12 Depth=1
	v_and_b32_e32 v24, 7, v0
	v_lshrrev_b32_e32 v1, 3, v7
	s_mov_b32 s23, exec_lo
	v_cmpx_gt_u32_e32 8, v7
; %bb.581:                              ;   in Loop: Header=BB187_12 Depth=1
	v_ffbh_u32_e32 v1, v24
	v_min_u32_e32 v1, 32, v1
	v_subrev_nc_u32_e32 v7, 28, v1
	v_sub_nc_u32_e32 v1, 29, v1
	v_lshlrev_b64 v[7:8], v7, v[24:25]
	v_and_b32_e32 v24, 7, v7
; %bb.582:                              ;   in Loop: Header=BB187_12 Depth=1
	s_or_b32 exec_lo, exec_lo, s23
	v_lshlrev_b32_e32 v7, 24, v0
	v_lshlrev_b32_e32 v8, 20, v24
	v_lshl_add_u32 v1, v1, 23, 0x3c000000
	v_and_b32_e32 v7, 0x80000000, v7
	v_or3_b32 v24, v8, v7, v1
	v_mov_b32_e32 v81, v25
	v_mov_b32_e32 v80, v24
.LBB187_583:                            ;   in Loop: Header=BB187_12 Depth=1
	s_or_b32 exec_lo, exec_lo, s22
.LBB187_584:                            ;   in Loop: Header=BB187_12 Depth=1
	s_or_b32 exec_lo, exec_lo, s21
.LBB187_585:                            ;   in Loop: Header=BB187_12 Depth=1
	s_or_b32 exec_lo, exec_lo, s20
	v_cmp_ne_u16_sdwa s6, v0, v25 src0_sel:BYTE_1 src1_sel:DWORD
	s_and_saveexec_b32 s20, s6
	s_cbranch_execz .LBB187_593
; %bb.586:                              ;   in Loop: Header=BB187_12 Depth=1
	v_mov_b32_e32 v114, v25
	v_cmp_ne_u16_sdwa s6, v0, v90 src0_sel:BYTE_1 src1_sel:DWORD
	v_mov_b32_e32 v82, v114
	v_mov_b32_e32 v83, v115
	s_and_saveexec_b32 s21, s6
	s_cbranch_execz .LBB187_592
; %bb.587:                              ;   in Loop: Header=BB187_12 Depth=1
	v_mov_b32_e32 v1, 0xffff
	v_mov_b32_e32 v72, v25
	;; [unrolled: 1-line block ×3, first 2 shown]
	s_mov_b32 s22, exec_lo
	v_and_b32_sdwa v1, v1, v0 dst_sel:DWORD dst_unused:UNUSED_PAD src0_sel:DWORD src1_sel:BYTE_1
	v_mov_b32_e32 v82, v72
	v_and_b32_e32 v7, 0x7f, v1
	v_cmpx_ne_u32_e32 0x7f, v7
	s_cbranch_execz .LBB187_591
; %bb.588:                              ;   in Loop: Header=BB187_12 Depth=1
	v_and_b32_e32 v24, 7, v1
	v_lshrrev_b32_e32 v1, 3, v7
	s_mov_b32 s23, exec_lo
	v_cmpx_gt_u32_e32 8, v7
; %bb.589:                              ;   in Loop: Header=BB187_12 Depth=1
	v_ffbh_u32_e32 v1, v24
	v_min_u32_e32 v1, 32, v1
	v_subrev_nc_u32_e32 v7, 28, v1
	v_sub_nc_u32_e32 v1, 29, v1
	v_lshlrev_b64 v[7:8], v7, v[24:25]
	v_and_b32_e32 v24, 7, v7
; %bb.590:                              ;   in Loop: Header=BB187_12 Depth=1
	s_or_b32 exec_lo, exec_lo, s23
	v_lshlrev_b32_e32 v0, 16, v0
	v_lshlrev_b32_e32 v7, 20, v24
	v_lshl_add_u32 v1, v1, 23, 0x3c000000
	v_mov_b32_e32 v82, v25
	v_and_b32_e32 v0, 0x80000000, v0
	v_or3_b32 v83, v7, v0, v1
.LBB187_591:                            ;   in Loop: Header=BB187_12 Depth=1
	s_or_b32 exec_lo, exec_lo, s22
.LBB187_592:                            ;   in Loop: Header=BB187_12 Depth=1
	s_or_b32 exec_lo, exec_lo, s21
.LBB187_593:                            ;   in Loop: Header=BB187_12 Depth=1
	s_or_b32 exec_lo, exec_lo, s20
	v_add_co_u32 v0, s6, 0x900, v88
	v_add_co_ci_u32_e64 v1, null, 0, v89, s6
	v_mov_b32_e32 v86, 0
	v_add_co_u32 v7, s6, v0, v26
	v_add_co_ci_u32_e64 v8, null, 0, v1, s6
	v_mov_b32_e32 v84, 0
	v_mov_b32_e32 v87, 0
	;; [unrolled: 1-line block ×3, first 2 shown]
	flat_load_ushort v8, v[7:8]
	s_waitcnt vmcnt(0) lgkmcnt(0)
	v_and_b32_e32 v7, 0xffff, v8
	v_cmp_ne_u16_sdwa s6, v8, v25 src0_sel:BYTE_0 src1_sel:DWORD
	s_and_saveexec_b32 s20, s6
	s_cbranch_execz .LBB187_601
; %bb.594:                              ;   in Loop: Header=BB187_12 Depth=1
	v_bfrev_b32_e32 v84, 1
	v_mov_b32_e32 v85, 0
	v_cmp_ne_u16_sdwa s6, v7, v90 src0_sel:BYTE_0 src1_sel:DWORD
	s_and_saveexec_b32 s21, s6
	s_cbranch_execz .LBB187_600
; %bb.595:                              ;   in Loop: Header=BB187_12 Depth=1
	v_mov_b32_e32 v84, 0x7f800001
	v_and_b32_e32 v10, 0x7f, v7
	v_mov_b32_e32 v85, 0
	s_mov_b32 s22, exec_lo
	v_cmpx_ne_u32_e32 0x7f, v10
	s_cbranch_execz .LBB187_599
; %bb.596:                              ;   in Loop: Header=BB187_12 Depth=1
	v_and_b32_e32 v24, 7, v7
	v_lshrrev_b32_e32 v8, 3, v10
	s_mov_b32 s23, exec_lo
	v_cmpx_gt_u32_e32 8, v10
; %bb.597:                              ;   in Loop: Header=BB187_12 Depth=1
	v_ffbh_u32_e32 v8, v24
	v_min_u32_e32 v8, 32, v8
	v_subrev_nc_u32_e32 v10, 28, v8
	v_sub_nc_u32_e32 v8, 29, v8
	v_lshlrev_b64 v[10:11], v10, v[24:25]
	v_and_b32_e32 v24, 7, v10
; %bb.598:                              ;   in Loop: Header=BB187_12 Depth=1
	s_or_b32 exec_lo, exec_lo, s23
	v_lshlrev_b32_e32 v10, 24, v7
	v_lshlrev_b32_e32 v11, 20, v24
	v_lshl_add_u32 v8, v8, 23, 0x3c000000
	v_and_b32_e32 v10, 0x80000000, v10
	v_or3_b32 v24, v11, v10, v8
	v_mov_b32_e32 v85, v25
	v_mov_b32_e32 v84, v24
.LBB187_599:                            ;   in Loop: Header=BB187_12 Depth=1
	s_or_b32 exec_lo, exec_lo, s22
.LBB187_600:                            ;   in Loop: Header=BB187_12 Depth=1
	s_or_b32 exec_lo, exec_lo, s21
.LBB187_601:                            ;   in Loop: Header=BB187_12 Depth=1
	s_or_b32 exec_lo, exec_lo, s20
	v_cmp_ne_u16_sdwa s6, v7, v25 src0_sel:BYTE_1 src1_sel:DWORD
	s_and_saveexec_b32 s20, s6
	s_cbranch_execz .LBB187_609
; %bb.602:                              ;   in Loop: Header=BB187_12 Depth=1
	v_mov_b32_e32 v114, v25
	v_cmp_ne_u16_sdwa s6, v7, v90 src0_sel:BYTE_1 src1_sel:DWORD
	v_mov_b32_e32 v86, v114
	v_mov_b32_e32 v87, v115
	s_and_saveexec_b32 s21, s6
	s_cbranch_execz .LBB187_608
; %bb.603:                              ;   in Loop: Header=BB187_12 Depth=1
	v_mov_b32_e32 v8, 0xffff
	v_mov_b32_e32 v72, v25
	;; [unrolled: 1-line block ×3, first 2 shown]
	s_mov_b32 s22, exec_lo
	v_and_b32_sdwa v8, v8, v7 dst_sel:DWORD dst_unused:UNUSED_PAD src0_sel:DWORD src1_sel:BYTE_1
	v_mov_b32_e32 v86, v72
	v_and_b32_e32 v10, 0x7f, v8
	v_cmpx_ne_u32_e32 0x7f, v10
	s_cbranch_execz .LBB187_607
; %bb.604:                              ;   in Loop: Header=BB187_12 Depth=1
	v_and_b32_e32 v24, 7, v8
	v_lshrrev_b32_e32 v8, 3, v10
	s_mov_b32 s23, exec_lo
	v_cmpx_gt_u32_e32 8, v10
; %bb.605:                              ;   in Loop: Header=BB187_12 Depth=1
	v_ffbh_u32_e32 v8, v24
	v_min_u32_e32 v8, 32, v8
	v_subrev_nc_u32_e32 v10, 28, v8
	v_sub_nc_u32_e32 v8, 29, v8
	v_lshlrev_b64 v[10:11], v10, v[24:25]
	v_and_b32_e32 v24, 7, v10
; %bb.606:                              ;   in Loop: Header=BB187_12 Depth=1
	s_or_b32 exec_lo, exec_lo, s23
	v_lshlrev_b32_e32 v7, 16, v7
	v_lshlrev_b32_e32 v10, 20, v24
	v_lshl_add_u32 v8, v8, 23, 0x3c000000
	v_mov_b32_e32 v86, v25
	v_and_b32_e32 v7, 0x80000000, v7
	v_or3_b32 v87, v10, v7, v8
.LBB187_607:                            ;   in Loop: Header=BB187_12 Depth=1
	s_or_b32 exec_lo, exec_lo, s22
.LBB187_608:                            ;   in Loop: Header=BB187_12 Depth=1
	s_or_b32 exec_lo, exec_lo, s21
.LBB187_609:                            ;   in Loop: Header=BB187_12 Depth=1
	s_or_b32 exec_lo, exec_lo, s20
	buffer_load_dword v7, off, s[0:3], s32 offset:216 ; 4-byte Folded Reload
	v_mov_b32_e32 v98, 0
	v_mov_b32_e32 v96, 0
	;; [unrolled: 1-line block ×4, first 2 shown]
	s_waitcnt vmcnt(0)
	v_add_co_u32 v7, s6, v0, v7
	v_add_co_ci_u32_e64 v8, null, 0, v1, s6
	flat_load_ushort v8, v[7:8]
	s_waitcnt vmcnt(0) lgkmcnt(0)
	v_and_b32_e32 v7, 0xffff, v8
	v_cmp_ne_u16_sdwa s6, v8, v25 src0_sel:BYTE_0 src1_sel:DWORD
	s_and_saveexec_b32 s20, s6
	s_cbranch_execz .LBB187_617
; %bb.610:                              ;   in Loop: Header=BB187_12 Depth=1
	v_bfrev_b32_e32 v96, 1
	v_mov_b32_e32 v97, 0
	v_cmp_ne_u16_sdwa s6, v7, v90 src0_sel:BYTE_0 src1_sel:DWORD
	s_and_saveexec_b32 s21, s6
	s_cbranch_execz .LBB187_616
; %bb.611:                              ;   in Loop: Header=BB187_12 Depth=1
	v_mov_b32_e32 v96, 0x7f800001
	v_and_b32_e32 v10, 0x7f, v7
	v_mov_b32_e32 v97, 0
	s_mov_b32 s22, exec_lo
	v_cmpx_ne_u32_e32 0x7f, v10
	s_cbranch_execz .LBB187_615
; %bb.612:                              ;   in Loop: Header=BB187_12 Depth=1
	v_and_b32_e32 v24, 7, v7
	v_lshrrev_b32_e32 v8, 3, v10
	s_mov_b32 s23, exec_lo
	v_cmpx_gt_u32_e32 8, v10
; %bb.613:                              ;   in Loop: Header=BB187_12 Depth=1
	v_ffbh_u32_e32 v8, v24
	v_min_u32_e32 v8, 32, v8
	v_subrev_nc_u32_e32 v10, 28, v8
	v_sub_nc_u32_e32 v8, 29, v8
	v_lshlrev_b64 v[10:11], v10, v[24:25]
	v_and_b32_e32 v24, 7, v10
; %bb.614:                              ;   in Loop: Header=BB187_12 Depth=1
	s_or_b32 exec_lo, exec_lo, s23
	v_lshlrev_b32_e32 v10, 24, v7
	v_lshlrev_b32_e32 v11, 20, v24
	v_lshl_add_u32 v8, v8, 23, 0x3c000000
	v_and_b32_e32 v10, 0x80000000, v10
	v_or3_b32 v24, v11, v10, v8
	v_mov_b32_e32 v97, v25
	v_mov_b32_e32 v96, v24
.LBB187_615:                            ;   in Loop: Header=BB187_12 Depth=1
	s_or_b32 exec_lo, exec_lo, s22
.LBB187_616:                            ;   in Loop: Header=BB187_12 Depth=1
	s_or_b32 exec_lo, exec_lo, s21
.LBB187_617:                            ;   in Loop: Header=BB187_12 Depth=1
	s_or_b32 exec_lo, exec_lo, s20
	v_cmp_ne_u16_sdwa s6, v7, v25 src0_sel:BYTE_1 src1_sel:DWORD
	s_and_saveexec_b32 s20, s6
	s_cbranch_execz .LBB187_625
; %bb.618:                              ;   in Loop: Header=BB187_12 Depth=1
	v_mov_b32_e32 v114, v25
	v_cmp_ne_u16_sdwa s6, v7, v90 src0_sel:BYTE_1 src1_sel:DWORD
	v_mov_b32_e32 v98, v114
	v_mov_b32_e32 v99, v115
	s_and_saveexec_b32 s21, s6
	s_cbranch_execz .LBB187_624
; %bb.619:                              ;   in Loop: Header=BB187_12 Depth=1
	v_mov_b32_e32 v8, 0xffff
	v_mov_b32_e32 v72, v25
	;; [unrolled: 1-line block ×3, first 2 shown]
	s_mov_b32 s22, exec_lo
	v_and_b32_sdwa v8, v8, v7 dst_sel:DWORD dst_unused:UNUSED_PAD src0_sel:DWORD src1_sel:BYTE_1
	v_mov_b32_e32 v98, v72
	v_and_b32_e32 v10, 0x7f, v8
	v_cmpx_ne_u32_e32 0x7f, v10
	s_cbranch_execz .LBB187_623
; %bb.620:                              ;   in Loop: Header=BB187_12 Depth=1
	v_and_b32_e32 v24, 7, v8
	v_lshrrev_b32_e32 v8, 3, v10
	s_mov_b32 s23, exec_lo
	v_cmpx_gt_u32_e32 8, v10
; %bb.621:                              ;   in Loop: Header=BB187_12 Depth=1
	v_ffbh_u32_e32 v8, v24
	v_min_u32_e32 v8, 32, v8
	v_subrev_nc_u32_e32 v10, 28, v8
	v_sub_nc_u32_e32 v8, 29, v8
	v_lshlrev_b64 v[10:11], v10, v[24:25]
	v_and_b32_e32 v24, 7, v10
; %bb.622:                              ;   in Loop: Header=BB187_12 Depth=1
	s_or_b32 exec_lo, exec_lo, s23
	v_lshlrev_b32_e32 v7, 16, v7
	v_lshlrev_b32_e32 v10, 20, v24
	v_lshl_add_u32 v8, v8, 23, 0x3c000000
	v_mov_b32_e32 v98, v25
	v_and_b32_e32 v7, 0x80000000, v7
	v_or3_b32 v99, v10, v7, v8
.LBB187_623:                            ;   in Loop: Header=BB187_12 Depth=1
	s_or_b32 exec_lo, exec_lo, s22
.LBB187_624:                            ;   in Loop: Header=BB187_12 Depth=1
	s_or_b32 exec_lo, exec_lo, s21
.LBB187_625:                            ;   in Loop: Header=BB187_12 Depth=1
	s_or_b32 exec_lo, exec_lo, s20
	buffer_load_dword v7, off, s[0:3], s32 offset:220 ; 4-byte Folded Reload
	v_mov_b32_e32 v120, 0
	v_mov_b32_e32 v126, 0
	;; [unrolled: 1-line block ×4, first 2 shown]
	s_waitcnt vmcnt(0)
	v_add_co_u32 v7, s6, v0, v7
	v_add_co_ci_u32_e64 v8, null, 0, v1, s6
	flat_load_ushort v8, v[7:8]
	s_waitcnt vmcnt(0) lgkmcnt(0)
	v_and_b32_e32 v7, 0xffff, v8
	v_cmp_ne_u16_sdwa s6, v8, v25 src0_sel:BYTE_0 src1_sel:DWORD
	s_and_saveexec_b32 s20, s6
	s_cbranch_execz .LBB187_633
; %bb.626:                              ;   in Loop: Header=BB187_12 Depth=1
	v_bfrev_b32_e32 v126, 1
	v_mov_b32_e32 v127, 0
	v_cmp_ne_u16_sdwa s6, v7, v90 src0_sel:BYTE_0 src1_sel:DWORD
	s_and_saveexec_b32 s21, s6
	s_cbranch_execz .LBB187_632
; %bb.627:                              ;   in Loop: Header=BB187_12 Depth=1
	v_mov_b32_e32 v126, 0x7f800001
	v_and_b32_e32 v10, 0x7f, v7
	v_mov_b32_e32 v127, 0
	s_mov_b32 s22, exec_lo
	v_cmpx_ne_u32_e32 0x7f, v10
	s_cbranch_execz .LBB187_631
; %bb.628:                              ;   in Loop: Header=BB187_12 Depth=1
	v_and_b32_e32 v24, 7, v7
	v_lshrrev_b32_e32 v8, 3, v10
	s_mov_b32 s23, exec_lo
	v_cmpx_gt_u32_e32 8, v10
; %bb.629:                              ;   in Loop: Header=BB187_12 Depth=1
	v_ffbh_u32_e32 v8, v24
	v_min_u32_e32 v8, 32, v8
	v_subrev_nc_u32_e32 v10, 28, v8
	v_sub_nc_u32_e32 v8, 29, v8
	v_lshlrev_b64 v[10:11], v10, v[24:25]
	v_and_b32_e32 v24, 7, v10
; %bb.630:                              ;   in Loop: Header=BB187_12 Depth=1
	s_or_b32 exec_lo, exec_lo, s23
	v_lshlrev_b32_e32 v10, 24, v7
	v_lshlrev_b32_e32 v11, 20, v24
	v_lshl_add_u32 v8, v8, 23, 0x3c000000
	v_and_b32_e32 v10, 0x80000000, v10
	v_or3_b32 v24, v11, v10, v8
	v_mov_b32_e32 v127, v25
	v_mov_b32_e32 v126, v24
.LBB187_631:                            ;   in Loop: Header=BB187_12 Depth=1
	s_or_b32 exec_lo, exec_lo, s22
.LBB187_632:                            ;   in Loop: Header=BB187_12 Depth=1
	s_or_b32 exec_lo, exec_lo, s21
.LBB187_633:                            ;   in Loop: Header=BB187_12 Depth=1
	s_or_b32 exec_lo, exec_lo, s20
	v_cmp_ne_u16_sdwa s6, v7, v25 src0_sel:BYTE_1 src1_sel:DWORD
	s_and_saveexec_b32 s20, s6
	s_cbranch_execz .LBB187_641
; %bb.634:                              ;   in Loop: Header=BB187_12 Depth=1
	v_mov_b32_e32 v114, v25
	v_mov_b32_e32 v121, v115
	v_cmp_ne_u16_sdwa s6, v7, v90 src0_sel:BYTE_1 src1_sel:DWORD
	v_mov_b32_e32 v120, v114
	s_and_saveexec_b32 s21, s6
	s_cbranch_execz .LBB187_640
; %bb.635:                              ;   in Loop: Header=BB187_12 Depth=1
	v_mov_b32_e32 v8, 0xffff
	v_mov_b32_e32 v72, v25
	v_mov_b32_e32 v121, v73
	s_mov_b32 s22, exec_lo
	v_and_b32_sdwa v8, v8, v7 dst_sel:DWORD dst_unused:UNUSED_PAD src0_sel:DWORD src1_sel:BYTE_1
	v_mov_b32_e32 v120, v72
	v_and_b32_e32 v10, 0x7f, v8
	v_cmpx_ne_u32_e32 0x7f, v10
	s_cbranch_execz .LBB187_639
; %bb.636:                              ;   in Loop: Header=BB187_12 Depth=1
	v_and_b32_e32 v24, 7, v8
	v_lshrrev_b32_e32 v8, 3, v10
	s_mov_b32 s23, exec_lo
	v_cmpx_gt_u32_e32 8, v10
; %bb.637:                              ;   in Loop: Header=BB187_12 Depth=1
	v_ffbh_u32_e32 v8, v24
	v_min_u32_e32 v8, 32, v8
	v_subrev_nc_u32_e32 v10, 28, v8
	v_sub_nc_u32_e32 v8, 29, v8
	v_lshlrev_b64 v[10:11], v10, v[24:25]
	v_and_b32_e32 v24, 7, v10
; %bb.638:                              ;   in Loop: Header=BB187_12 Depth=1
	s_or_b32 exec_lo, exec_lo, s23
	v_lshlrev_b32_e32 v7, 16, v7
	v_lshlrev_b32_e32 v10, 20, v24
	v_lshl_add_u32 v8, v8, 23, 0x3c000000
	v_mov_b32_e32 v120, v25
	v_and_b32_e32 v7, 0x80000000, v7
	v_or3_b32 v121, v10, v7, v8
.LBB187_639:                            ;   in Loop: Header=BB187_12 Depth=1
	s_or_b32 exec_lo, exec_lo, s22
.LBB187_640:                            ;   in Loop: Header=BB187_12 Depth=1
	s_or_b32 exec_lo, exec_lo, s21
.LBB187_641:                            ;   in Loop: Header=BB187_12 Depth=1
	s_or_b32 exec_lo, exec_lo, s20
	buffer_load_dword v7, off, s[0:3], s32 offset:224 ; 4-byte Folded Reload
	v_mov_b32_e32 v100, 0
	v_mov_b32_e32 v102, 0
	;; [unrolled: 1-line block ×4, first 2 shown]
	s_waitcnt vmcnt(0)
	v_add_co_u32 v0, s6, v0, v7
	v_add_co_ci_u32_e64 v1, null, 0, v1, s6
	flat_load_ushort v1, v[0:1]
	s_waitcnt vmcnt(0) lgkmcnt(0)
	v_and_b32_e32 v0, 0xffff, v1
	v_cmp_ne_u16_sdwa s6, v1, v25 src0_sel:BYTE_0 src1_sel:DWORD
	s_and_saveexec_b32 s20, s6
	s_cbranch_execz .LBB187_649
; %bb.642:                              ;   in Loop: Header=BB187_12 Depth=1
	v_bfrev_b32_e32 v102, 1
	v_mov_b32_e32 v103, 0
	v_cmp_ne_u16_sdwa s6, v0, v90 src0_sel:BYTE_0 src1_sel:DWORD
	s_and_saveexec_b32 s21, s6
	s_cbranch_execz .LBB187_648
; %bb.643:                              ;   in Loop: Header=BB187_12 Depth=1
	v_mov_b32_e32 v102, 0x7f800001
	v_and_b32_e32 v7, 0x7f, v0
	v_mov_b32_e32 v103, 0
	s_mov_b32 s22, exec_lo
	v_cmpx_ne_u32_e32 0x7f, v7
	s_cbranch_execz .LBB187_647
; %bb.644:                              ;   in Loop: Header=BB187_12 Depth=1
	v_and_b32_e32 v24, 7, v0
	v_lshrrev_b32_e32 v1, 3, v7
	s_mov_b32 s23, exec_lo
	v_cmpx_gt_u32_e32 8, v7
; %bb.645:                              ;   in Loop: Header=BB187_12 Depth=1
	v_ffbh_u32_e32 v1, v24
	v_min_u32_e32 v1, 32, v1
	v_subrev_nc_u32_e32 v7, 28, v1
	v_sub_nc_u32_e32 v1, 29, v1
	v_lshlrev_b64 v[7:8], v7, v[24:25]
	v_and_b32_e32 v24, 7, v7
; %bb.646:                              ;   in Loop: Header=BB187_12 Depth=1
	s_or_b32 exec_lo, exec_lo, s23
	v_lshlrev_b32_e32 v7, 24, v0
	v_lshlrev_b32_e32 v8, 20, v24
	v_lshl_add_u32 v1, v1, 23, 0x3c000000
	v_and_b32_e32 v7, 0x80000000, v7
	v_or3_b32 v24, v8, v7, v1
	v_mov_b32_e32 v103, v25
	v_mov_b32_e32 v102, v24
.LBB187_647:                            ;   in Loop: Header=BB187_12 Depth=1
	s_or_b32 exec_lo, exec_lo, s22
.LBB187_648:                            ;   in Loop: Header=BB187_12 Depth=1
	s_or_b32 exec_lo, exec_lo, s21
.LBB187_649:                            ;   in Loop: Header=BB187_12 Depth=1
	s_or_b32 exec_lo, exec_lo, s20
	v_cmp_ne_u16_sdwa s6, v0, v25 src0_sel:BYTE_1 src1_sel:DWORD
	s_and_saveexec_b32 s20, s6
	s_cbranch_execz .LBB187_657
; %bb.650:                              ;   in Loop: Header=BB187_12 Depth=1
	v_mov_b32_e32 v114, v25
	v_cmp_ne_u16_sdwa s6, v0, v90 src0_sel:BYTE_1 src1_sel:DWORD
	v_mov_b32_e32 v100, v114
	v_mov_b32_e32 v101, v115
	s_and_saveexec_b32 s21, s6
	s_cbranch_execz .LBB187_656
; %bb.651:                              ;   in Loop: Header=BB187_12 Depth=1
	v_mov_b32_e32 v1, 0xffff
	v_mov_b32_e32 v72, v25
	;; [unrolled: 1-line block ×3, first 2 shown]
	s_mov_b32 s22, exec_lo
	v_and_b32_sdwa v1, v1, v0 dst_sel:DWORD dst_unused:UNUSED_PAD src0_sel:DWORD src1_sel:BYTE_1
	v_mov_b32_e32 v100, v72
	v_and_b32_e32 v7, 0x7f, v1
	v_cmpx_ne_u32_e32 0x7f, v7
	s_cbranch_execz .LBB187_655
; %bb.652:                              ;   in Loop: Header=BB187_12 Depth=1
	v_and_b32_e32 v24, 7, v1
	v_lshrrev_b32_e32 v1, 3, v7
	s_mov_b32 s23, exec_lo
	v_cmpx_gt_u32_e32 8, v7
; %bb.653:                              ;   in Loop: Header=BB187_12 Depth=1
	v_ffbh_u32_e32 v1, v24
	v_min_u32_e32 v1, 32, v1
	v_subrev_nc_u32_e32 v7, 28, v1
	v_sub_nc_u32_e32 v1, 29, v1
	v_lshlrev_b64 v[7:8], v7, v[24:25]
	v_and_b32_e32 v24, 7, v7
; %bb.654:                              ;   in Loop: Header=BB187_12 Depth=1
	s_or_b32 exec_lo, exec_lo, s23
	v_lshlrev_b32_e32 v0, 16, v0
	v_lshlrev_b32_e32 v7, 20, v24
	v_lshl_add_u32 v1, v1, 23, 0x3c000000
	v_mov_b32_e32 v100, v25
	v_and_b32_e32 v0, 0x80000000, v0
	v_or3_b32 v101, v7, v0, v1
.LBB187_655:                            ;   in Loop: Header=BB187_12 Depth=1
	s_or_b32 exec_lo, exec_lo, s22
.LBB187_656:                            ;   in Loop: Header=BB187_12 Depth=1
	s_or_b32 exec_lo, exec_lo, s21
.LBB187_657:                            ;   in Loop: Header=BB187_12 Depth=1
	s_or_b32 exec_lo, exec_lo, s20
	v_add_co_u32 v18, s6, 0xa00, v88
	v_add_co_ci_u32_e64 v19, null, 0, v89, s6
	v_mov_b32_e32 v124, 0
	v_add_co_u32 v0, s6, v18, v26
	v_add_co_ci_u32_e64 v1, null, 0, v19, s6
	v_mov_b32_e32 v125, 0
	flat_load_ushort v0, v[0:1]
	s_waitcnt vmcnt(0) lgkmcnt(0)
	v_and_b32_e32 v7, 0xffff, v0
	v_cmp_ne_u16_sdwa s6, v0, v25 src0_sel:BYTE_0 src1_sel:DWORD
	v_mov_b32_e32 v0, 0
	v_mov_b32_e32 v1, 0
	s_and_saveexec_b32 s20, s6
	s_cbranch_execz .LBB187_665
; %bb.658:                              ;   in Loop: Header=BB187_12 Depth=1
	v_bfrev_b32_e32 v0, 1
	v_mov_b32_e32 v1, 0
	v_cmp_ne_u16_sdwa s6, v7, v90 src0_sel:BYTE_0 src1_sel:DWORD
	s_and_saveexec_b32 s21, s6
	s_cbranch_execz .LBB187_664
; %bb.659:                              ;   in Loop: Header=BB187_12 Depth=1
	v_mov_b32_e32 v0, 0x7f800001
	v_and_b32_e32 v8, 0x7f, v7
	v_mov_b32_e32 v1, 0
	s_mov_b32 s22, exec_lo
	v_cmpx_ne_u32_e32 0x7f, v8
	s_cbranch_execz .LBB187_663
; %bb.660:                              ;   in Loop: Header=BB187_12 Depth=1
	v_and_b32_e32 v24, 7, v7
	v_lshrrev_b32_e32 v0, 3, v8
	s_mov_b32 s23, exec_lo
	v_cmpx_gt_u32_e32 8, v8
; %bb.661:                              ;   in Loop: Header=BB187_12 Depth=1
	v_ffbh_u32_e32 v0, v24
	v_min_u32_e32 v0, 32, v0
	v_subrev_nc_u32_e32 v1, 28, v0
	v_sub_nc_u32_e32 v0, 29, v0
	v_lshlrev_b64 v[10:11], v1, v[24:25]
	v_and_b32_e32 v24, 7, v10
; %bb.662:                              ;   in Loop: Header=BB187_12 Depth=1
	s_or_b32 exec_lo, exec_lo, s23
	v_lshlrev_b32_e32 v1, 24, v7
	v_lshlrev_b32_e32 v8, 20, v24
	v_lshl_add_u32 v0, v0, 23, 0x3c000000
	v_and_b32_e32 v1, 0x80000000, v1
	v_or3_b32 v24, v8, v1, v0
	v_mov_b32_e32 v0, v24
	v_mov_b32_e32 v1, v25
.LBB187_663:                            ;   in Loop: Header=BB187_12 Depth=1
	s_or_b32 exec_lo, exec_lo, s22
.LBB187_664:                            ;   in Loop: Header=BB187_12 Depth=1
	s_or_b32 exec_lo, exec_lo, s21
.LBB187_665:                            ;   in Loop: Header=BB187_12 Depth=1
	s_or_b32 exec_lo, exec_lo, s20
	v_cmp_ne_u16_sdwa s6, v7, v25 src0_sel:BYTE_1 src1_sel:DWORD
	s_and_saveexec_b32 s20, s6
	s_cbranch_execz .LBB187_673
; %bb.666:                              ;   in Loop: Header=BB187_12 Depth=1
	v_mov_b32_e32 v114, v25
	v_mov_b32_e32 v125, v115
	v_cmp_ne_u16_sdwa s6, v7, v90 src0_sel:BYTE_1 src1_sel:DWORD
	v_mov_b32_e32 v124, v114
	s_and_saveexec_b32 s21, s6
	s_cbranch_execz .LBB187_672
; %bb.667:                              ;   in Loop: Header=BB187_12 Depth=1
	v_mov_b32_e32 v8, 0xffff
	v_mov_b32_e32 v72, v25
	;; [unrolled: 1-line block ×3, first 2 shown]
	s_mov_b32 s22, exec_lo
	v_and_b32_sdwa v8, v8, v7 dst_sel:DWORD dst_unused:UNUSED_PAD src0_sel:DWORD src1_sel:BYTE_1
	v_mov_b32_e32 v124, v72
	v_and_b32_e32 v10, 0x7f, v8
	v_cmpx_ne_u32_e32 0x7f, v10
	s_cbranch_execz .LBB187_671
; %bb.668:                              ;   in Loop: Header=BB187_12 Depth=1
	v_and_b32_e32 v24, 7, v8
	v_lshrrev_b32_e32 v8, 3, v10
	s_mov_b32 s23, exec_lo
	v_cmpx_gt_u32_e32 8, v10
; %bb.669:                              ;   in Loop: Header=BB187_12 Depth=1
	v_ffbh_u32_e32 v8, v24
	v_min_u32_e32 v8, 32, v8
	v_subrev_nc_u32_e32 v10, 28, v8
	v_sub_nc_u32_e32 v8, 29, v8
	v_lshlrev_b64 v[10:11], v10, v[24:25]
	v_and_b32_e32 v24, 7, v10
; %bb.670:                              ;   in Loop: Header=BB187_12 Depth=1
	s_or_b32 exec_lo, exec_lo, s23
	v_lshlrev_b32_e32 v7, 16, v7
	v_lshlrev_b32_e32 v10, 20, v24
	v_lshl_add_u32 v8, v8, 23, 0x3c000000
	v_mov_b32_e32 v124, v25
	v_and_b32_e32 v7, 0x80000000, v7
	v_or3_b32 v125, v10, v7, v8
.LBB187_671:                            ;   in Loop: Header=BB187_12 Depth=1
	s_or_b32 exec_lo, exec_lo, s22
.LBB187_672:                            ;   in Loop: Header=BB187_12 Depth=1
	s_or_b32 exec_lo, exec_lo, s21
.LBB187_673:                            ;   in Loop: Header=BB187_12 Depth=1
	s_or_b32 exec_lo, exec_lo, s20
	buffer_load_dword v7, off, s[0:3], s32 offset:216 ; 4-byte Folded Reload
	v_mov_b32_e32 v118, 0
	v_mov_b32_e32 v119, 0
	s_waitcnt vmcnt(0)
	v_add_co_u32 v7, s6, v18, v7
	v_add_co_ci_u32_e64 v8, null, 0, v19, s6
	flat_load_ushort v7, v[7:8]
	s_waitcnt vmcnt(0) lgkmcnt(0)
	v_and_b32_e32 v10, 0xffff, v7
	v_cmp_ne_u16_sdwa s6, v7, v25 src0_sel:BYTE_0 src1_sel:DWORD
	v_mov_b32_e32 v7, 0
	v_mov_b32_e32 v8, 0
	s_and_saveexec_b32 s20, s6
	s_cbranch_execz .LBB187_681
; %bb.674:                              ;   in Loop: Header=BB187_12 Depth=1
	v_bfrev_b32_e32 v118, 1
	v_mov_b32_e32 v119, 0
	v_cmp_ne_u16_sdwa s6, v10, v90 src0_sel:BYTE_0 src1_sel:DWORD
	s_and_saveexec_b32 s21, s6
	s_cbranch_execz .LBB187_680
; %bb.675:                              ;   in Loop: Header=BB187_12 Depth=1
	v_mov_b32_e32 v118, 0x7f800001
	v_and_b32_e32 v16, 0x7f, v10
	v_mov_b32_e32 v119, 0
	s_mov_b32 s22, exec_lo
	v_cmpx_ne_u32_e32 0x7f, v16
	s_cbranch_execz .LBB187_679
; %bb.676:                              ;   in Loop: Header=BB187_12 Depth=1
	v_and_b32_e32 v24, 7, v10
	v_lshrrev_b32_e32 v11, 3, v16
	s_mov_b32 s23, exec_lo
	v_cmpx_gt_u32_e32 8, v16
; %bb.677:                              ;   in Loop: Header=BB187_12 Depth=1
	v_ffbh_u32_e32 v11, v24
	v_min_u32_e32 v11, 32, v11
	v_subrev_nc_u32_e32 v16, 28, v11
	v_sub_nc_u32_e32 v11, 29, v11
	v_lshlrev_b64 v[16:17], v16, v[24:25]
	v_and_b32_e32 v24, 7, v16
; %bb.678:                              ;   in Loop: Header=BB187_12 Depth=1
	s_or_b32 exec_lo, exec_lo, s23
	v_lshlrev_b32_e32 v16, 24, v10
	v_lshlrev_b32_e32 v17, 20, v24
	v_lshl_add_u32 v11, v11, 23, 0x3c000000
	v_and_b32_e32 v16, 0x80000000, v16
	v_or3_b32 v24, v17, v16, v11
	v_mov_b32_e32 v119, v25
	v_mov_b32_e32 v118, v24
.LBB187_679:                            ;   in Loop: Header=BB187_12 Depth=1
	s_or_b32 exec_lo, exec_lo, s22
.LBB187_680:                            ;   in Loop: Header=BB187_12 Depth=1
	s_or_b32 exec_lo, exec_lo, s21
.LBB187_681:                            ;   in Loop: Header=BB187_12 Depth=1
	s_or_b32 exec_lo, exec_lo, s20
	v_cmp_ne_u16_sdwa s6, v10, v25 src0_sel:BYTE_1 src1_sel:DWORD
	s_and_saveexec_b32 s20, s6
	s_cbranch_execz .LBB187_689
; %bb.682:                              ;   in Loop: Header=BB187_12 Depth=1
	v_mov_b32_e32 v114, v25
	v_cmp_ne_u16_sdwa s6, v10, v90 src0_sel:BYTE_1 src1_sel:DWORD
	v_mov_b32_e32 v7, v114
	v_mov_b32_e32 v8, v115
	s_and_saveexec_b32 s21, s6
	s_cbranch_execz .LBB187_688
; %bb.683:                              ;   in Loop: Header=BB187_12 Depth=1
	v_mov_b32_e32 v7, 0xffff
	v_mov_b32_e32 v72, v25
	s_mov_b32 s22, exec_lo
	v_and_b32_sdwa v16, v7, v10 dst_sel:DWORD dst_unused:UNUSED_PAD src0_sel:DWORD src1_sel:BYTE_1
	v_mov_b32_e32 v7, v72
	v_mov_b32_e32 v8, v73
	v_and_b32_e32 v11, 0x7f, v16
	v_cmpx_ne_u32_e32 0x7f, v11
	s_cbranch_execz .LBB187_687
; %bb.684:                              ;   in Loop: Header=BB187_12 Depth=1
	v_and_b32_e32 v24, 7, v16
	v_lshrrev_b32_e32 v7, 3, v11
	s_mov_b32 s23, exec_lo
	v_cmpx_gt_u32_e32 8, v11
; %bb.685:                              ;   in Loop: Header=BB187_12 Depth=1
	v_ffbh_u32_e32 v7, v24
	v_min_u32_e32 v7, 32, v7
	v_subrev_nc_u32_e32 v8, 28, v7
	v_sub_nc_u32_e32 v7, 29, v7
	v_lshlrev_b64 v[16:17], v8, v[24:25]
	v_and_b32_e32 v24, 7, v16
; %bb.686:                              ;   in Loop: Header=BB187_12 Depth=1
	s_or_b32 exec_lo, exec_lo, s23
	v_lshlrev_b32_e32 v8, 16, v10
	v_lshlrev_b32_e32 v10, 20, v24
	v_lshl_add_u32 v7, v7, 23, 0x3c000000
	v_and_b32_e32 v8, 0x80000000, v8
	v_or3_b32 v8, v10, v8, v7
	v_mov_b32_e32 v7, v25
.LBB187_687:                            ;   in Loop: Header=BB187_12 Depth=1
	s_or_b32 exec_lo, exec_lo, s22
.LBB187_688:                            ;   in Loop: Header=BB187_12 Depth=1
	s_or_b32 exec_lo, exec_lo, s21
.LBB187_689:                            ;   in Loop: Header=BB187_12 Depth=1
	s_or_b32 exec_lo, exec_lo, s20
	buffer_load_dword v10, off, s[0:3], s32 offset:220 ; 4-byte Folded Reload
	v_mov_b32_e32 v16, 0
	v_mov_b32_e32 v17, 0
	s_waitcnt vmcnt(0)
	v_add_co_u32 v10, s6, v18, v10
	v_add_co_ci_u32_e64 v11, null, 0, v19, s6
	flat_load_ushort v10, v[10:11]
	s_waitcnt vmcnt(0) lgkmcnt(0)
	v_and_b32_e32 v21, 0xffff, v10
	v_cmp_ne_u16_sdwa s6, v10, v25 src0_sel:BYTE_0 src1_sel:DWORD
	v_mov_b32_e32 v10, 0
	v_mov_b32_e32 v11, 0
	s_and_saveexec_b32 s20, s6
	s_cbranch_execz .LBB187_697
; %bb.690:                              ;   in Loop: Header=BB187_12 Depth=1
	v_bfrev_b32_e32 v16, 1
	v_mov_b32_e32 v17, 0
	v_cmp_ne_u16_sdwa s6, v21, v90 src0_sel:BYTE_0 src1_sel:DWORD
	s_and_saveexec_b32 s21, s6
	s_cbranch_execz .LBB187_696
; %bb.691:                              ;   in Loop: Header=BB187_12 Depth=1
	v_mov_b32_e32 v16, 0x7f800001
	v_and_b32_e32 v22, 0x7f, v21
	v_mov_b32_e32 v17, 0
	s_mov_b32 s22, exec_lo
	v_cmpx_ne_u32_e32 0x7f, v22
	s_cbranch_execz .LBB187_695
; %bb.692:                              ;   in Loop: Header=BB187_12 Depth=1
	v_and_b32_e32 v24, 7, v21
	v_lshrrev_b32_e32 v16, 3, v22
	s_mov_b32 s23, exec_lo
	v_cmpx_gt_u32_e32 8, v22
; %bb.693:                              ;   in Loop: Header=BB187_12 Depth=1
	v_ffbh_u32_e32 v16, v24
	v_min_u32_e32 v16, 32, v16
	v_subrev_nc_u32_e32 v17, 28, v16
	v_sub_nc_u32_e32 v16, 29, v16
	v_lshlrev_b64 v[116:117], v17, v[24:25]
	v_and_b32_e32 v24, 7, v116
; %bb.694:                              ;   in Loop: Header=BB187_12 Depth=1
	s_or_b32 exec_lo, exec_lo, s23
	v_lshlrev_b32_e32 v17, 24, v21
	v_lshlrev_b32_e32 v22, 20, v24
	v_lshl_add_u32 v16, v16, 23, 0x3c000000
	v_and_b32_e32 v17, 0x80000000, v17
	v_or3_b32 v24, v22, v17, v16
	v_mov_b32_e32 v16, v24
	v_mov_b32_e32 v17, v25
.LBB187_695:                            ;   in Loop: Header=BB187_12 Depth=1
	s_or_b32 exec_lo, exec_lo, s22
.LBB187_696:                            ;   in Loop: Header=BB187_12 Depth=1
	s_or_b32 exec_lo, exec_lo, s21
.LBB187_697:                            ;   in Loop: Header=BB187_12 Depth=1
	s_or_b32 exec_lo, exec_lo, s20
	v_cmp_ne_u16_sdwa s6, v21, v25 src0_sel:BYTE_1 src1_sel:DWORD
	s_and_saveexec_b32 s20, s6
	s_cbranch_execz .LBB187_705
; %bb.698:                              ;   in Loop: Header=BB187_12 Depth=1
	v_mov_b32_e32 v114, v25
	v_cmp_ne_u16_sdwa s6, v21, v90 src0_sel:BYTE_1 src1_sel:DWORD
	v_mov_b32_e32 v10, v114
	v_mov_b32_e32 v11, v115
	s_and_saveexec_b32 s21, s6
	s_cbranch_execz .LBB187_704
; %bb.699:                              ;   in Loop: Header=BB187_12 Depth=1
	v_mov_b32_e32 v10, 0xffff
	v_mov_b32_e32 v72, v25
	s_mov_b32 s22, exec_lo
	v_and_b32_sdwa v24, v10, v21 dst_sel:DWORD dst_unused:UNUSED_PAD src0_sel:DWORD src1_sel:BYTE_1
	v_mov_b32_e32 v10, v72
	v_mov_b32_e32 v11, v73
	v_and_b32_e32 v22, 0x7f, v24
	v_cmpx_ne_u32_e32 0x7f, v22
	s_cbranch_execz .LBB187_703
; %bb.700:                              ;   in Loop: Header=BB187_12 Depth=1
	v_and_b32_e32 v24, 7, v24
	v_lshrrev_b32_e32 v10, 3, v22
	s_mov_b32 s23, exec_lo
	v_cmpx_gt_u32_e32 8, v22
; %bb.701:                              ;   in Loop: Header=BB187_12 Depth=1
	v_ffbh_u32_e32 v10, v24
	v_min_u32_e32 v10, 32, v10
	v_subrev_nc_u32_e32 v11, 28, v10
	v_sub_nc_u32_e32 v10, 29, v10
	v_lshlrev_b64 v[116:117], v11, v[24:25]
	v_and_b32_e32 v24, 7, v116
; %bb.702:                              ;   in Loop: Header=BB187_12 Depth=1
	s_or_b32 exec_lo, exec_lo, s23
	v_lshlrev_b32_e32 v11, 16, v21
	v_lshlrev_b32_e32 v21, 20, v24
	v_lshl_add_u32 v10, v10, 23, 0x3c000000
	v_and_b32_e32 v11, 0x80000000, v11
	v_or3_b32 v11, v21, v11, v10
	v_mov_b32_e32 v10, v25
.LBB187_703:                            ;   in Loop: Header=BB187_12 Depth=1
	s_or_b32 exec_lo, exec_lo, s22
.LBB187_704:                            ;   in Loop: Header=BB187_12 Depth=1
	s_or_b32 exec_lo, exec_lo, s21
.LBB187_705:                            ;   in Loop: Header=BB187_12 Depth=1
	s_or_b32 exec_lo, exec_lo, s20
	buffer_load_dword v21, off, s[0:3], s32 offset:224 ; 4-byte Folded Reload
	v_mov_b32_e32 v56, 0
	v_mov_b32_e32 v57, 0
	s_waitcnt vmcnt(0)
	v_add_co_u32 v18, s6, v18, v21
	v_add_co_ci_u32_e64 v19, null, 0, v19, s6
	v_mov_b32_e32 v21, 0
	v_mov_b32_e32 v22, 0
	flat_load_ushort v19, v[18:19]
	s_waitcnt vmcnt(0) lgkmcnt(0)
	v_and_b32_e32 v18, 0xffff, v19
	v_cmp_ne_u16_sdwa s6, v19, v25 src0_sel:BYTE_0 src1_sel:DWORD
	s_and_saveexec_b32 s20, s6
	s_cbranch_execz .LBB187_713
; %bb.706:                              ;   in Loop: Header=BB187_12 Depth=1
	v_bfrev_b32_e32 v21, 1
	v_mov_b32_e32 v22, 0
	v_cmp_ne_u16_sdwa s6, v18, v90 src0_sel:BYTE_0 src1_sel:DWORD
	s_and_saveexec_b32 s21, s6
	s_cbranch_execz .LBB187_712
; %bb.707:                              ;   in Loop: Header=BB187_12 Depth=1
	v_mov_b32_e32 v21, 0x7f800001
	v_and_b32_e32 v39, 0x7f, v18
	v_mov_b32_e32 v22, 0
	s_mov_b32 s22, exec_lo
	v_cmpx_ne_u32_e32 0x7f, v39
	s_cbranch_execz .LBB187_711
; %bb.708:                              ;   in Loop: Header=BB187_12 Depth=1
	v_and_b32_e32 v24, 7, v18
	v_lshrrev_b32_e32 v19, 3, v39
	s_mov_b32 s23, exec_lo
	v_cmpx_gt_u32_e32 8, v39
; %bb.709:                              ;   in Loop: Header=BB187_12 Depth=1
	v_ffbh_u32_e32 v19, v24
	v_min_u32_e32 v19, 32, v19
	v_subrev_nc_u32_e32 v21, 28, v19
	v_sub_nc_u32_e32 v19, 29, v19
	v_lshlrev_b64 v[21:22], v21, v[24:25]
	v_and_b32_e32 v24, 7, v21
; %bb.710:                              ;   in Loop: Header=BB187_12 Depth=1
	s_or_b32 exec_lo, exec_lo, s23
	v_lshlrev_b32_e32 v21, 24, v18
	v_lshlrev_b32_e32 v22, 20, v24
	v_lshl_add_u32 v19, v19, 23, 0x3c000000
	v_and_b32_e32 v21, 0x80000000, v21
	v_or3_b32 v24, v22, v21, v19
	v_mov_b32_e32 v21, v24
	v_mov_b32_e32 v22, v25
.LBB187_711:                            ;   in Loop: Header=BB187_12 Depth=1
	s_or_b32 exec_lo, exec_lo, s22
.LBB187_712:                            ;   in Loop: Header=BB187_12 Depth=1
	s_or_b32 exec_lo, exec_lo, s21
.LBB187_713:                            ;   in Loop: Header=BB187_12 Depth=1
	s_or_b32 exec_lo, exec_lo, s20
	v_cmp_ne_u16_sdwa s6, v18, v25 src0_sel:BYTE_1 src1_sel:DWORD
	s_and_saveexec_b32 s20, s6
	s_cbranch_execz .LBB187_721
; %bb.714:                              ;   in Loop: Header=BB187_12 Depth=1
	v_mov_b32_e32 v114, v25
	v_cmp_ne_u16_sdwa s6, v18, v90 src0_sel:BYTE_1 src1_sel:DWORD
	v_mov_b32_e32 v56, v114
	v_mov_b32_e32 v57, v115
	s_and_saveexec_b32 s21, s6
	s_cbranch_execz .LBB187_720
; %bb.715:                              ;   in Loop: Header=BB187_12 Depth=1
	v_mov_b32_e32 v19, 0xffff
	v_mov_b32_e32 v72, v25
	s_mov_b32 s22, exec_lo
	v_and_b32_sdwa v19, v19, v18 dst_sel:DWORD dst_unused:UNUSED_PAD src0_sel:DWORD src1_sel:BYTE_1
	v_mov_b32_e32 v56, v72
	v_mov_b32_e32 v57, v73
	v_and_b32_e32 v39, 0x7f, v19
	v_cmpx_ne_u32_e32 0x7f, v39
	s_cbranch_execz .LBB187_719
; %bb.716:                              ;   in Loop: Header=BB187_12 Depth=1
	v_and_b32_e32 v24, 7, v19
	v_lshrrev_b32_e32 v19, 3, v39
	s_mov_b32 s23, exec_lo
	v_cmpx_gt_u32_e32 8, v39
; %bb.717:                              ;   in Loop: Header=BB187_12 Depth=1
	v_ffbh_u32_e32 v19, v24
	v_min_u32_e32 v19, 32, v19
	v_subrev_nc_u32_e32 v39, 28, v19
	v_sub_nc_u32_e32 v19, 29, v19
	v_lshlrev_b64 v[116:117], v39, v[24:25]
	v_and_b32_e32 v24, 7, v116
; %bb.718:                              ;   in Loop: Header=BB187_12 Depth=1
	s_or_b32 exec_lo, exec_lo, s23
	v_lshlrev_b32_e32 v18, 16, v18
	v_lshlrev_b32_e32 v24, 20, v24
	v_lshl_add_u32 v19, v19, 23, 0x3c000000
	v_mov_b32_e32 v56, v25
	v_and_b32_e32 v18, 0x80000000, v18
	v_or3_b32 v57, v24, v18, v19
.LBB187_719:                            ;   in Loop: Header=BB187_12 Depth=1
	s_or_b32 exec_lo, exec_lo, s22
.LBB187_720:                            ;   in Loop: Header=BB187_12 Depth=1
	s_or_b32 exec_lo, exec_lo, s21
.LBB187_721:                            ;   in Loop: Header=BB187_12 Depth=1
	s_or_b32 exec_lo, exec_lo, s20
	v_add_co_u32 v41, s6, 0xb00, v88
	v_add_co_ci_u32_e64 v42, null, 0, v89, s6
	v_mov_b32_e32 v39, 0
	v_add_co_u32 v18, s6, v41, v26
	v_add_co_ci_u32_e64 v19, null, 0, v42, s6
	v_mov_b32_e32 v88, 0
	v_mov_b32_e32 v40, 0
	;; [unrolled: 1-line block ×3, first 2 shown]
	flat_load_ushort v19, v[18:19]
	s_waitcnt vmcnt(0) lgkmcnt(0)
	v_and_b32_e32 v18, 0xffff, v19
	v_cmp_ne_u16_sdwa s6, v19, v25 src0_sel:BYTE_0 src1_sel:DWORD
	s_and_saveexec_b32 s20, s6
	s_cbranch_execz .LBB187_729
; %bb.722:                              ;   in Loop: Header=BB187_12 Depth=1
	v_bfrev_b32_e32 v88, 1
	v_mov_b32_e32 v89, 0
	v_cmp_ne_u16_sdwa s6, v18, v90 src0_sel:BYTE_0 src1_sel:DWORD
	s_and_saveexec_b32 s21, s6
	s_cbranch_execz .LBB187_728
; %bb.723:                              ;   in Loop: Header=BB187_12 Depth=1
	v_mov_b32_e32 v88, 0x7f800001
	v_and_b32_e32 v114, 0x7f, v18
	v_mov_b32_e32 v89, 0
	s_mov_b32 s22, exec_lo
	v_cmpx_ne_u32_e32 0x7f, v114
	s_cbranch_execz .LBB187_727
; %bb.724:                              ;   in Loop: Header=BB187_12 Depth=1
	v_and_b32_e32 v24, 7, v18
	v_lshrrev_b32_e32 v19, 3, v114
	s_mov_b32 s23, exec_lo
	v_cmpx_gt_u32_e32 8, v114
; %bb.725:                              ;   in Loop: Header=BB187_12 Depth=1
	v_ffbh_u32_e32 v19, v24
	v_min_u32_e32 v19, 32, v19
	v_subrev_nc_u32_e32 v114, 28, v19
	v_sub_nc_u32_e32 v19, 29, v19
	v_lshlrev_b64 v[116:117], v114, v[24:25]
	v_and_b32_e32 v24, 7, v116
; %bb.726:                              ;   in Loop: Header=BB187_12 Depth=1
	s_or_b32 exec_lo, exec_lo, s23
	v_lshlrev_b32_e32 v114, 24, v18
	v_lshlrev_b32_e32 v24, 20, v24
	v_lshl_add_u32 v19, v19, 23, 0x3c000000
	v_and_b32_e32 v114, 0x80000000, v114
	v_or3_b32 v24, v24, v114, v19
	v_mov_b32_e32 v89, v25
	v_mov_b32_e32 v88, v24
.LBB187_727:                            ;   in Loop: Header=BB187_12 Depth=1
	s_or_b32 exec_lo, exec_lo, s22
.LBB187_728:                            ;   in Loop: Header=BB187_12 Depth=1
	s_or_b32 exec_lo, exec_lo, s21
.LBB187_729:                            ;   in Loop: Header=BB187_12 Depth=1
	s_or_b32 exec_lo, exec_lo, s20
	v_cmp_ne_u16_sdwa s6, v18, v25 src0_sel:BYTE_1 src1_sel:DWORD
	s_and_saveexec_b32 s20, s6
	s_cbranch_execz .LBB187_737
; %bb.730:                              ;   in Loop: Header=BB187_12 Depth=1
	v_mov_b32_e32 v114, v25
	v_cmp_ne_u16_sdwa s6, v18, v90 src0_sel:BYTE_1 src1_sel:DWORD
	v_mov_b32_e32 v39, v114
	v_mov_b32_e32 v40, v115
	s_and_saveexec_b32 s21, s6
	s_cbranch_execz .LBB187_736
; %bb.731:                              ;   in Loop: Header=BB187_12 Depth=1
	v_mov_b32_e32 v19, 0xffff
	v_mov_b32_e32 v72, v25
	s_mov_b32 s22, exec_lo
	v_and_b32_sdwa v19, v19, v18 dst_sel:DWORD dst_unused:UNUSED_PAD src0_sel:DWORD src1_sel:BYTE_1
	v_mov_b32_e32 v39, v72
	v_mov_b32_e32 v40, v73
	v_and_b32_e32 v114, 0x7f, v19
	v_cmpx_ne_u32_e32 0x7f, v114
	s_cbranch_execz .LBB187_735
; %bb.732:                              ;   in Loop: Header=BB187_12 Depth=1
	v_and_b32_e32 v24, 7, v19
	v_lshrrev_b32_e32 v19, 3, v114
	s_mov_b32 s23, exec_lo
	v_cmpx_gt_u32_e32 8, v114
; %bb.733:                              ;   in Loop: Header=BB187_12 Depth=1
	v_ffbh_u32_e32 v19, v24
	v_min_u32_e32 v19, 32, v19
	v_subrev_nc_u32_e32 v39, 28, v19
	v_sub_nc_u32_e32 v19, 29, v19
	v_lshlrev_b64 v[116:117], v39, v[24:25]
	v_and_b32_e32 v24, 7, v116
; %bb.734:                              ;   in Loop: Header=BB187_12 Depth=1
	s_or_b32 exec_lo, exec_lo, s23
	v_lshlrev_b32_e32 v18, 16, v18
	v_lshlrev_b32_e32 v24, 20, v24
	v_lshl_add_u32 v19, v19, 23, 0x3c000000
	v_mov_b32_e32 v39, v25
	v_and_b32_e32 v18, 0x80000000, v18
	v_or3_b32 v40, v24, v18, v19
.LBB187_735:                            ;   in Loop: Header=BB187_12 Depth=1
	s_or_b32 exec_lo, exec_lo, s22
.LBB187_736:                            ;   in Loop: Header=BB187_12 Depth=1
	s_or_b32 exec_lo, exec_lo, s21
.LBB187_737:                            ;   in Loop: Header=BB187_12 Depth=1
	s_or_b32 exec_lo, exec_lo, s20
	buffer_load_dword v18, off, s[0:3], s32 offset:216 ; 4-byte Folded Reload
	v_mov_b32_e32 v116, 0
	v_mov_b32_e32 v117, 0
	s_waitcnt vmcnt(0)
	v_add_co_u32 v18, s6, v41, v18
	v_add_co_ci_u32_e64 v19, null, 0, v42, s6
	flat_load_ushort v18, v[18:19]
	s_waitcnt vmcnt(0) lgkmcnt(0)
	v_and_b32_e32 v43, 0xffff, v18
	v_cmp_ne_u16_sdwa s6, v18, v25 src0_sel:BYTE_0 src1_sel:DWORD
	v_mov_b32_e32 v18, 0
	v_mov_b32_e32 v19, 0
	s_and_saveexec_b32 s20, s6
	s_cbranch_execz .LBB187_745
; %bb.738:                              ;   in Loop: Header=BB187_12 Depth=1
	v_bfrev_b32_e32 v18, 1
	v_mov_b32_e32 v19, 0
	v_cmp_ne_u16_sdwa s6, v43, v90 src0_sel:BYTE_0 src1_sel:DWORD
	s_and_saveexec_b32 s21, s6
	s_cbranch_execz .LBB187_744
; %bb.739:                              ;   in Loop: Header=BB187_12 Depth=1
	v_mov_b32_e32 v18, 0x7f800001
	v_and_b32_e32 v114, 0x7f, v43
	v_mov_b32_e32 v19, 0
	s_mov_b32 s22, exec_lo
	v_cmpx_ne_u32_e32 0x7f, v114
	s_cbranch_execz .LBB187_743
; %bb.740:                              ;   in Loop: Header=BB187_12 Depth=1
	v_and_b32_e32 v24, 7, v43
	v_lshrrev_b32_e32 v18, 3, v114
	s_mov_b32 s23, exec_lo
	v_cmpx_gt_u32_e32 8, v114
; %bb.741:                              ;   in Loop: Header=BB187_12 Depth=1
	v_ffbh_u32_e32 v18, v24
	v_min_u32_e32 v18, 32, v18
	v_subrev_nc_u32_e32 v19, 28, v18
	v_sub_nc_u32_e32 v18, 29, v18
	v_lshlrev_b64 v[44:45], v19, v[24:25]
	v_and_b32_e32 v24, 7, v44
; %bb.742:                              ;   in Loop: Header=BB187_12 Depth=1
	s_or_b32 exec_lo, exec_lo, s23
	v_lshlrev_b32_e32 v19, 24, v43
	v_lshlrev_b32_e32 v24, 20, v24
	v_lshl_add_u32 v18, v18, 23, 0x3c000000
	v_and_b32_e32 v19, 0x80000000, v19
	v_or3_b32 v24, v24, v19, v18
	v_mov_b32_e32 v18, v24
	v_mov_b32_e32 v19, v25
.LBB187_743:                            ;   in Loop: Header=BB187_12 Depth=1
	s_or_b32 exec_lo, exec_lo, s22
.LBB187_744:                            ;   in Loop: Header=BB187_12 Depth=1
	s_or_b32 exec_lo, exec_lo, s21
.LBB187_745:                            ;   in Loop: Header=BB187_12 Depth=1
	s_or_b32 exec_lo, exec_lo, s20
	v_cmp_ne_u16_sdwa s6, v43, v25 src0_sel:BYTE_1 src1_sel:DWORD
	s_and_saveexec_b32 s20, s6
	s_cbranch_execz .LBB187_753
; %bb.746:                              ;   in Loop: Header=BB187_12 Depth=1
	v_mov_b32_e32 v114, v25
	v_mov_b32_e32 v117, v115
	v_cmp_ne_u16_sdwa s6, v43, v90 src0_sel:BYTE_1 src1_sel:DWORD
	v_mov_b32_e32 v116, v114
	s_and_saveexec_b32 s21, s6
	s_cbranch_execz .LBB187_752
; %bb.747:                              ;   in Loop: Header=BB187_12 Depth=1
	v_mov_b32_e32 v24, 0xffff
	v_mov_b32_e32 v72, v25
	;; [unrolled: 1-line block ×3, first 2 shown]
	s_mov_b32 s22, exec_lo
	v_and_b32_sdwa v24, v24, v43 dst_sel:DWORD dst_unused:UNUSED_PAD src0_sel:DWORD src1_sel:BYTE_1
	v_mov_b32_e32 v116, v72
	v_and_b32_e32 v44, 0x7f, v24
	v_cmpx_ne_u32_e32 0x7f, v44
	s_cbranch_execz .LBB187_751
; %bb.748:                              ;   in Loop: Header=BB187_12 Depth=1
	v_and_b32_e32 v24, 7, v24
	v_lshrrev_b32_e32 v114, 3, v44
	s_mov_b32 s23, exec_lo
	v_cmpx_gt_u32_e32 8, v44
; %bb.749:                              ;   in Loop: Header=BB187_12 Depth=1
	v_ffbh_u32_e32 v114, v24
	v_min_u32_e32 v114, 32, v114
	v_subrev_nc_u32_e32 v116, 28, v114
	v_sub_nc_u32_e32 v114, 29, v114
	v_lshlrev_b64 v[116:117], v116, v[24:25]
	v_and_b32_e32 v24, 7, v116
; %bb.750:                              ;   in Loop: Header=BB187_12 Depth=1
	s_or_b32 exec_lo, exec_lo, s23
	v_lshlrev_b32_e32 v116, 16, v43
	v_lshlrev_b32_e32 v24, 20, v24
	v_lshl_add_u32 v114, v114, 23, 0x3c000000
	v_and_b32_e32 v116, 0x80000000, v116
	v_or3_b32 v117, v24, v116, v114
	v_mov_b32_e32 v116, v25
.LBB187_751:                            ;   in Loop: Header=BB187_12 Depth=1
	s_or_b32 exec_lo, exec_lo, s22
.LBB187_752:                            ;   in Loop: Header=BB187_12 Depth=1
	s_or_b32 exec_lo, exec_lo, s21
.LBB187_753:                            ;   in Loop: Header=BB187_12 Depth=1
	s_or_b32 exec_lo, exec_lo, s20
	buffer_load_dword v24, off, s[0:3], s32 offset:220 ; 4-byte Folded Reload
	v_mov_b32_e32 v60, 0
	v_mov_b32_e32 v45, 0
	;; [unrolled: 1-line block ×4, first 2 shown]
	s_waitcnt vmcnt(0)
	v_add_co_u32 v43, s6, v41, v24
	v_add_co_ci_u32_e64 v44, null, 0, v42, s6
	flat_load_ushort v24, v[43:44]
	s_waitcnt vmcnt(0) lgkmcnt(0)
	v_and_b32_e32 v43, 0xffff, v24
	v_cmp_ne_u16_sdwa s6, v24, v25 src0_sel:BYTE_0 src1_sel:DWORD
	s_and_saveexec_b32 s20, s6
	s_cbranch_execz .LBB187_761
; %bb.754:                              ;   in Loop: Header=BB187_12 Depth=1
	v_bfrev_b32_e32 v45, 1
	v_mov_b32_e32 v46, 0
	v_cmp_ne_u16_sdwa s6, v43, v90 src0_sel:BYTE_0 src1_sel:DWORD
	s_and_saveexec_b32 s21, s6
	s_cbranch_execz .LBB187_760
; %bb.755:                              ;   in Loop: Header=BB187_12 Depth=1
	v_mov_b32_e32 v45, 0x7f800001
	v_and_b32_e32 v44, 0x7f, v43
	v_mov_b32_e32 v46, 0
	s_mov_b32 s22, exec_lo
	v_cmpx_ne_u32_e32 0x7f, v44
	s_cbranch_execz .LBB187_759
; %bb.756:                              ;   in Loop: Header=BB187_12 Depth=1
	v_and_b32_e32 v24, 7, v43
	v_lshrrev_b32_e32 v114, 3, v44
	s_mov_b32 s23, exec_lo
	v_cmpx_gt_u32_e32 8, v44
; %bb.757:                              ;   in Loop: Header=BB187_12 Depth=1
	v_ffbh_u32_e32 v114, v24
	v_min_u32_e32 v114, 32, v114
	v_subrev_nc_u32_e32 v44, 28, v114
	v_sub_nc_u32_e32 v114, 29, v114
	v_lshlrev_b64 v[44:45], v44, v[24:25]
	v_and_b32_e32 v24, 7, v44
; %bb.758:                              ;   in Loop: Header=BB187_12 Depth=1
	s_or_b32 exec_lo, exec_lo, s23
	v_lshlrev_b32_e32 v44, 24, v43
	v_lshlrev_b32_e32 v24, 20, v24
	v_lshl_add_u32 v114, v114, 23, 0x3c000000
	v_and_b32_e32 v44, 0x80000000, v44
	v_or3_b32 v24, v24, v44, v114
	v_mov_b32_e32 v46, v25
	v_mov_b32_e32 v45, v24
.LBB187_759:                            ;   in Loop: Header=BB187_12 Depth=1
	s_or_b32 exec_lo, exec_lo, s22
.LBB187_760:                            ;   in Loop: Header=BB187_12 Depth=1
	s_or_b32 exec_lo, exec_lo, s21
.LBB187_761:                            ;   in Loop: Header=BB187_12 Depth=1
	s_or_b32 exec_lo, exec_lo, s20
	v_cmp_ne_u16_sdwa s6, v43, v25 src0_sel:BYTE_1 src1_sel:DWORD
	s_and_saveexec_b32 s20, s6
	s_cbranch_execz .LBB187_769
; %bb.762:                              ;   in Loop: Header=BB187_12 Depth=1
	v_mov_b32_e32 v114, v25
	v_cmp_ne_u16_sdwa s6, v43, v90 src0_sel:BYTE_1 src1_sel:DWORD
	v_mov_b32_e32 v60, v114
	v_mov_b32_e32 v61, v115
	s_and_saveexec_b32 s21, s6
	s_cbranch_execz .LBB187_768
; %bb.763:                              ;   in Loop: Header=BB187_12 Depth=1
	v_mov_b32_e32 v24, 0xffff
	v_mov_b32_e32 v72, v25
	s_mov_b32 s22, exec_lo
	v_and_b32_sdwa v24, v24, v43 dst_sel:DWORD dst_unused:UNUSED_PAD src0_sel:DWORD src1_sel:BYTE_1
	v_mov_b32_e32 v60, v72
	v_mov_b32_e32 v61, v73
	v_and_b32_e32 v44, 0x7f, v24
	v_cmpx_ne_u32_e32 0x7f, v44
	s_cbranch_execz .LBB187_767
; %bb.764:                              ;   in Loop: Header=BB187_12 Depth=1
	v_and_b32_e32 v24, 7, v24
	v_lshrrev_b32_e32 v114, 3, v44
	s_mov_b32 s23, exec_lo
	v_cmpx_gt_u32_e32 8, v44
; %bb.765:                              ;   in Loop: Header=BB187_12 Depth=1
	v_ffbh_u32_e32 v114, v24
	v_min_u32_e32 v114, 32, v114
	v_subrev_nc_u32_e32 v44, 28, v114
	v_sub_nc_u32_e32 v114, 29, v114
	v_lshlrev_b64 v[60:61], v44, v[24:25]
	v_and_b32_e32 v24, 7, v60
; %bb.766:                              ;   in Loop: Header=BB187_12 Depth=1
	s_or_b32 exec_lo, exec_lo, s23
	v_lshlrev_b32_e32 v43, 16, v43
	v_lshlrev_b32_e32 v24, 20, v24
	v_lshl_add_u32 v114, v114, 23, 0x3c000000
	v_mov_b32_e32 v60, v25
	v_and_b32_e32 v43, 0x80000000, v43
	v_or3_b32 v61, v24, v43, v114
.LBB187_767:                            ;   in Loop: Header=BB187_12 Depth=1
	s_or_b32 exec_lo, exec_lo, s22
.LBB187_768:                            ;   in Loop: Header=BB187_12 Depth=1
	s_or_b32 exec_lo, exec_lo, s21
.LBB187_769:                            ;   in Loop: Header=BB187_12 Depth=1
	s_or_b32 exec_lo, exec_lo, s20
	buffer_load_dword v24, off, s[0:3], s32 offset:224 ; 4-byte Folded Reload
	v_mov_b32_e32 v43, 0
	v_mov_b32_e32 v44, 0
	s_waitcnt vmcnt(0)
	v_add_co_u32 v41, s6, v41, v24
	v_add_co_ci_u32_e64 v42, null, 0, v42, s6
	flat_load_ushort v24, v[41:42]
	v_mov_b32_e32 v41, 0
	v_mov_b32_e32 v42, 0
	s_waitcnt vmcnt(0) lgkmcnt(0)
	v_and_b32_e32 v75, 0xffff, v24
	v_cmp_ne_u16_sdwa s6, v24, v25 src0_sel:BYTE_0 src1_sel:DWORD
	s_and_saveexec_b32 s20, s6
	s_cbranch_execz .LBB187_777
; %bb.770:                              ;   in Loop: Header=BB187_12 Depth=1
	v_bfrev_b32_e32 v41, 1
	v_mov_b32_e32 v42, 0
	v_cmp_ne_u16_sdwa s6, v75, v90 src0_sel:BYTE_0 src1_sel:DWORD
	s_and_saveexec_b32 s21, s6
	s_cbranch_execz .LBB187_776
; %bb.771:                              ;   in Loop: Header=BB187_12 Depth=1
	v_mov_b32_e32 v41, 0x7f800001
	v_and_b32_e32 v72, 0x7f, v75
	v_mov_b32_e32 v42, 0
	s_mov_b32 s22, exec_lo
	v_cmpx_ne_u32_e32 0x7f, v72
	s_cbranch_execz .LBB187_775
; %bb.772:                              ;   in Loop: Header=BB187_12 Depth=1
	v_and_b32_e32 v24, 7, v75
	v_lshrrev_b32_e32 v114, 3, v72
	s_mov_b32 s23, exec_lo
	v_cmpx_gt_u32_e32 8, v72
; %bb.773:                              ;   in Loop: Header=BB187_12 Depth=1
	v_ffbh_u32_e32 v114, v24
	v_min_u32_e32 v114, 32, v114
	v_subrev_nc_u32_e32 v41, 28, v114
	v_sub_nc_u32_e32 v114, 29, v114
	v_lshlrev_b64 v[41:42], v41, v[24:25]
	v_and_b32_e32 v24, 7, v41
; %bb.774:                              ;   in Loop: Header=BB187_12 Depth=1
	s_or_b32 exec_lo, exec_lo, s23
	v_lshlrev_b32_e32 v41, 24, v75
	v_lshlrev_b32_e32 v24, 20, v24
	v_lshl_add_u32 v114, v114, 23, 0x3c000000
	v_and_b32_e32 v41, 0x80000000, v41
	v_or3_b32 v24, v24, v41, v114
	v_mov_b32_e32 v42, v25
	v_mov_b32_e32 v41, v24
.LBB187_775:                            ;   in Loop: Header=BB187_12 Depth=1
	s_or_b32 exec_lo, exec_lo, s22
.LBB187_776:                            ;   in Loop: Header=BB187_12 Depth=1
	s_or_b32 exec_lo, exec_lo, s21
.LBB187_777:                            ;   in Loop: Header=BB187_12 Depth=1
	s_or_b32 exec_lo, exec_lo, s20
	v_mov_b32_e32 v62, v92
	v_mov_b32_e32 v63, v93
	;; [unrolled: 1-line block ×4, first 2 shown]
	v_cmp_ne_u16_sdwa s6, v75, v25 src0_sel:BYTE_1 src1_sel:DWORD
	s_and_saveexec_b32 s20, s6
	s_cbranch_execz .LBB187_785
; %bb.778:                              ;   in Loop: Header=BB187_12 Depth=1
	v_mov_b32_e32 v114, v25
	v_cmp_ne_u16_sdwa s6, v75, v90 src0_sel:BYTE_1 src1_sel:DWORD
	v_mov_b32_e32 v43, v114
	v_mov_b32_e32 v44, v115
	s_and_saveexec_b32 s21, s6
	s_cbranch_execz .LBB187_784
; %bb.779:                              ;   in Loop: Header=BB187_12 Depth=1
	v_mov_b32_e32 v24, 0xffff
	v_mov_b32_e32 v72, v25
	s_mov_b32 s22, exec_lo
	v_and_b32_sdwa v24, v24, v75 dst_sel:DWORD dst_unused:UNUSED_PAD src0_sel:DWORD src1_sel:BYTE_1
	v_mov_b32_e32 v43, v72
	v_mov_b32_e32 v44, v73
	v_and_b32_e32 v76, 0x7f, v24
	v_cmpx_ne_u32_e32 0x7f, v76
	s_cbranch_execz .LBB187_783
; %bb.780:                              ;   in Loop: Header=BB187_12 Depth=1
	v_and_b32_e32 v24, 7, v24
	v_lshrrev_b32_e32 v114, 3, v76
	s_mov_b32 s23, exec_lo
	v_cmpx_gt_u32_e32 8, v76
; %bb.781:                              ;   in Loop: Header=BB187_12 Depth=1
	v_ffbh_u32_e32 v114, v24
	v_min_u32_e32 v114, 32, v114
	v_subrev_nc_u32_e32 v43, 28, v114
	v_sub_nc_u32_e32 v114, 29, v114
	v_lshlrev_b64 v[43:44], v43, v[24:25]
	v_and_b32_e32 v24, 7, v43
; %bb.782:                              ;   in Loop: Header=BB187_12 Depth=1
	s_or_b32 exec_lo, exec_lo, s23
	v_lshlrev_b32_e32 v43, 16, v75
	v_lshlrev_b32_e32 v24, 20, v24
	v_lshl_add_u32 v114, v114, 23, 0x3c000000
	v_and_b32_e32 v43, 0x80000000, v43
	v_or3_b32 v44, v24, v43, v114
	v_mov_b32_e32 v43, v25
.LBB187_783:                            ;   in Loop: Header=BB187_12 Depth=1
	s_or_b32 exec_lo, exec_lo, s22
.LBB187_784:                            ;   in Loop: Header=BB187_12 Depth=1
	s_or_b32 exec_lo, exec_lo, s21
.LBB187_785:                            ;   in Loop: Header=BB187_12 Depth=1
	s_or_b32 exec_lo, exec_lo, s20
	s_clause 0x3
	buffer_load_dword v75, off, s[0:3], s32 offset:236
	buffer_load_dword v76, off, s[0:3], s32 offset:240
	;; [unrolled: 1-line block ×4, first 2 shown]
	v_or_b32_e32 v4, v12, v4
	v_or_b32_e32 v12, v13, v5
	v_or_b32_e32 v13, v122, v14
	v_or_b32_e32 v14, v123, v15
	v_or_b32_e32 v11, v11, v17
	v_mul_f32_e32 v15, v74, v4
	v_or_b32_e32 v17, v38, v36
	v_or_b32_e32 v36, v49, v109
	;; [unrolled: 1-line block ×5, first 2 shown]
	v_mul_f32_e32 v17, v74, v17
	v_or_b32_e32 v8, v8, v119
	v_mul_f32_e32 v49, v74, v49
	v_or_b32_e32 v7, v7, v118
	v_mul_f32_e32 v0, v74, v0
	v_mul_f32_e32 v1, v74, v1
	v_or_b32_e32 v10, v10, v16
	v_mul_f32_e32 v7, v74, v7
	s_waitcnt vmcnt(1)
	v_or_b32_e32 v24, v77, v75
	s_waitcnt vmcnt(0)
	v_or_b32_e32 v114, v78, v76
	s_clause 0x1
	buffer_load_dword v75, off, s[0:3], s32 offset:228
	buffer_load_dword v76, off, s[0:3], s32 offset:232
	v_or_b32_e32 v77, v107, v63
	v_mul_f32_e32 v24, v74, v24
	v_mul_f32_e32 v114, v74, v114
	s_waitcnt vmcnt(1)
	v_or_b32_e32 v75, v75, v92
	s_waitcnt vmcnt(0)
	v_or_b32_e32 v72, v76, v93
	s_clause 0x3
	buffer_load_dword v92, off, s[0:3], s32 offset:776
	buffer_load_dword v93, off, s[0:3], s32 offset:780
	buffer_load_dword v94, off, s[0:3], s32 offset:784
	buffer_load_dword v95, off, s[0:3], s32 offset:788
	v_mul_f32_e32 v75, v74, v75
	v_mul_f32_e32 v72, v74, v72
	s_waitcnt vmcnt(1)
	v_mul_f32_e32 v24, v94, v24
	s_waitcnt vmcnt(0)
	v_mul_f32_e32 v114, v95, v114
	v_fmac_f32_e32 v24, v92, v75
	s_clause 0x1
	buffer_load_dword v75, off, s[0:3], s32 offset:252
	buffer_load_dword v76, off, s[0:3], s32 offset:256
	v_fmac_f32_e32 v114, v93, v72
	s_clause 0x3
	buffer_load_dword v92, off, s[0:3], s32 offset:744
	buffer_load_dword v93, off, s[0:3], s32 offset:748
	;; [unrolled: 1-line block ×4, first 2 shown]
	s_waitcnt vmcnt(5)
	v_or_b32_e32 v75, v75, v104
	s_waitcnt vmcnt(4)
	v_or_b32_e32 v72, v76, v105
	v_or_b32_e32 v76, v106, v62
	v_mul_f32_e32 v75, v74, v75
	v_mul_f32_e32 v72, v74, v72
	v_mul_f32_e32 v76, v74, v76
	s_waitcnt vmcnt(3)
	v_fmac_f32_e32 v24, v92, v76
	v_mul_f32_e32 v76, v74, v77
	s_waitcnt vmcnt(1)
	v_fmac_f32_e32 v24, v94, v75
	v_fmac_f32_e32 v114, v93, v76
	s_clause 0x3
	buffer_load_dword v62, off, s[0:3], s32 offset:276
	buffer_load_dword v63, off, s[0:3], s32 offset:280
	buffer_load_dword v75, off, s[0:3], s32 offset:284
	buffer_load_dword v76, off, s[0:3], s32 offset:288
	s_waitcnt vmcnt(4)
	v_fmac_f32_e32 v114, v95, v72
	s_waitcnt vmcnt(1)
	v_or_b32_e32 v75, v75, v62
	s_waitcnt vmcnt(0)
	v_or_b32_e32 v72, v76, v63
	s_clause 0x7
	buffer_load_dword v62, off, s[0:3], s32 offset:260
	buffer_load_dword v63, off, s[0:3], s32 offset:264
	buffer_load_dword v76, off, s[0:3], s32 offset:268
	buffer_load_dword v77, off, s[0:3], s32 offset:272
	buffer_load_dword v92, off, s[0:3], s32 offset:760
	buffer_load_dword v93, off, s[0:3], s32 offset:764
	buffer_load_dword v94, off, s[0:3], s32 offset:768
	buffer_load_dword v95, off, s[0:3], s32 offset:772
	v_mul_f32_e32 v75, v74, v75
	v_mul_f32_e32 v72, v74, v72
	s_waitcnt vmcnt(5)
	v_or_b32_e32 v76, v76, v62
	s_waitcnt vmcnt(4)
	v_or_b32_e32 v77, v77, v63
	v_mul_f32_e32 v76, v74, v76
	s_waitcnt vmcnt(3)
	v_fmac_f32_e32 v24, v92, v76
	v_mul_f32_e32 v76, v74, v77
	s_waitcnt vmcnt(1)
	v_fmac_f32_e32 v24, v94, v75
	v_fmac_f32_e32 v114, v93, v76
	s_clause 0x3
	buffer_load_dword v62, off, s[0:3], s32 offset:308
	buffer_load_dword v63, off, s[0:3], s32 offset:312
	buffer_load_dword v75, off, s[0:3], s32 offset:316
	buffer_load_dword v76, off, s[0:3], s32 offset:320
	s_waitcnt vmcnt(4)
	v_fmac_f32_e32 v114, v95, v72
	s_waitcnt vmcnt(1)
	v_or_b32_e32 v75, v75, v62
	s_waitcnt vmcnt(0)
	v_or_b32_e32 v72, v76, v63
	s_clause 0x7
	buffer_load_dword v62, off, s[0:3], s32 offset:292
	buffer_load_dword v63, off, s[0:3], s32 offset:296
	buffer_load_dword v76, off, s[0:3], s32 offset:300
	buffer_load_dword v77, off, s[0:3], s32 offset:304
	buffer_load_dword v92, off, s[0:3], s32 offset:712
	buffer_load_dword v93, off, s[0:3], s32 offset:716
	buffer_load_dword v94, off, s[0:3], s32 offset:720
	buffer_load_dword v95, off, s[0:3], s32 offset:724
	v_mul_f32_e32 v75, v74, v75
	v_mul_f32_e32 v72, v74, v72
	s_waitcnt vmcnt(5)
	v_or_b32_e32 v76, v76, v62
	s_waitcnt vmcnt(4)
	v_or_b32_e32 v77, v77, v63
	v_mul_f32_e32 v76, v74, v76
	;; [unrolled: 33-line block ×8, first 2 shown]
	s_waitcnt vmcnt(3)
	v_fmac_f32_e32 v24, v92, v76
	v_mul_f32_e32 v76, v74, v77
	s_waitcnt vmcnt(1)
	v_fmac_f32_e32 v24, v94, v75
	v_fmac_f32_e32 v114, v93, v76
	s_clause 0x3
	buffer_load_dword v62, off, s[0:3], s32 offset:516
	buffer_load_dword v63, off, s[0:3], s32 offset:520
	buffer_load_dword v75, off, s[0:3], s32 offset:524
	buffer_load_dword v76, off, s[0:3], s32 offset:528
	s_waitcnt vmcnt(4)
	v_fmac_f32_e32 v114, v95, v72
	s_waitcnt vmcnt(1)
	v_or_b32_e32 v62, v75, v62
	s_waitcnt vmcnt(0)
	v_or_b32_e32 v63, v76, v63
	s_clause 0x7
	buffer_load_dword v75, off, s[0:3], s32 offset:532
	buffer_load_dword v76, off, s[0:3], s32 offset:536
	;; [unrolled: 1-line block ×8, first 2 shown]
	v_mul_f32_e32 v62, v74, v62
	s_waitcnt vmcnt(3)
	v_fmac_f32_e32 v24, v92, v62
	v_or_b32_e32 v72, v77, v75
	v_mul_f32_e32 v62, v74, v63
	v_or_b32_e32 v75, v78, v76
	s_waitcnt vmcnt(2)
	v_fmac_f32_e32 v114, v93, v62
	v_mul_f32_e32 v62, v74, v72
	s_waitcnt vmcnt(1)
	v_fmac_f32_e32 v24, v94, v62
	v_mul_f32_e32 v62, v74, v75
	s_clause 0x1
	buffer_load_dword v75, off, s[0:3], s32 offset:564
	buffer_load_dword v76, off, s[0:3], s32 offset:568
	s_waitcnt vmcnt(2)
	v_fmac_f32_e32 v114, v95, v62
	s_waitcnt vmcnt(1)
	v_or_b32_e32 v63, v110, v75
	s_waitcnt vmcnt(0)
	v_or_b32_e32 v62, v111, v76
	s_clause 0x7
	buffer_load_dword v75, off, s[0:3], s32 offset:548
	buffer_load_dword v76, off, s[0:3], s32 offset:552
	;; [unrolled: 1-line block ×8, first 2 shown]
	v_mul_f32_e32 v63, v74, v63
	v_mul_f32_e32 v62, v74, v62
	s_waitcnt vmcnt(5)
	v_or_b32_e32 v72, v77, v75
	s_waitcnt vmcnt(4)
	v_or_b32_e32 v75, v78, v76
	v_mul_f32_e32 v72, v74, v72
	s_waitcnt vmcnt(3)
	v_fmac_f32_e32 v24, v92, v72
	v_mul_f32_e32 v72, v74, v75
	s_waitcnt vmcnt(1)
	v_fmac_f32_e32 v24, v94, v63
	v_fmac_f32_e32 v114, v93, v72
	s_waitcnt vmcnt(0)
	v_fmac_f32_e32 v114, v95, v62
	s_clause 0x1
	buffer_load_dword v62, off, s[0:3], s32 offset:572
	buffer_load_dword v63, off, s[0:3], s32 offset:576
	s_waitcnt vmcnt(1)
	v_or_b32_e32 v2, v2, v62
	s_waitcnt vmcnt(0)
	v_or_b32_e32 v3, v3, v63
	s_clause 0x1
	buffer_load_dword v62, off, s[0:3], s32 offset:592
	buffer_load_dword v63, off, s[0:3], s32 offset:596
	v_mul_f32_e32 v2, v74, v2
	s_waitcnt vmcnt(1)
	v_fmac_f32_e32 v24, v62, v2
	v_mul_f32_e32 v2, v74, v3
	s_waitcnt vmcnt(0)
	v_fmac_f32_e32 v114, v63, v2
	ds_read2_b64 v[2:5], v6 offset0:25 offset1:26
	ds_read2_b64 v[75:78], v6 offset0:27 offset1:28
	s_waitcnt lgkmcnt(1)
	v_fmac_f32_e32 v24, v2, v15
	v_mul_f32_e32 v2, v74, v12
	v_or_b32_e32 v12, v57, v22
	v_or_b32_e32 v22, v34, v32
	;; [unrolled: 1-line block ×3, first 2 shown]
	v_fmac_f32_e32 v114, v3, v2
	v_mul_f32_e32 v2, v74, v13
	v_or_b32_e32 v13, v56, v21
	v_or_b32_e32 v21, v33, v31
	ds_read2_b64 v[31:34], v6 offset0:31 offset1:32
	v_mul_f32_e32 v15, v74, v15
	v_fmac_f32_e32 v24, v4, v2
	v_mul_f32_e32 v2, v74, v14
	v_or_b32_e32 v4, v117, v19
	v_or_b32_e32 v19, v30, v28
	;; [unrolled: 1-line block ×4, first 2 shown]
	v_fmac_f32_e32 v114, v5, v2
	v_or_b32_e32 v5, v116, v18
	v_or_b32_e32 v18, v29, v27
	ds_read2_b64 v[27:30], v6 offset0:29 offset1:30
	v_mul_f32_e32 v14, v74, v14
	v_or_b32_e32 v2, v60, v45
	v_mul_f32_e32 v4, v74, v4
	v_mul_f32_e32 v18, v74, v18
	;; [unrolled: 1-line block ×5, first 2 shown]
	s_waitcnt lgkmcnt(2)
	v_fmac_f32_e32 v24, v75, v18
	v_mul_f32_e32 v18, v74, v19
	v_or_b32_e32 v19, v82, v80
	v_fmac_f32_e32 v114, v76, v18
	v_mul_f32_e32 v18, v74, v21
	v_mul_f32_e32 v19, v74, v19
	v_or_b32_e32 v21, v40, v89
	v_fmac_f32_e32 v24, v77, v18
	v_mul_f32_e32 v18, v74, v22
	v_or_b32_e32 v22, v37, v35
	v_or_b32_e32 v35, v48, v108
	;; [unrolled: 1-line block ×3, first 2 shown]
	v_fmac_f32_e32 v114, v78, v18
	v_mul_f32_e32 v22, v74, v22
	v_mul_f32_e32 v35, v74, v35
	v_or_b32_e32 v18, v83, v81
	s_waitcnt lgkmcnt(0)
	v_fmac_f32_e32 v114, v28, v17
	v_fmac_f32_e32 v24, v27, v22
	v_mul_f32_e32 v22, v74, v36
	v_or_b32_e32 v36, v54, v52
	v_or_b32_e32 v52, v55, v53
	v_mul_f32_e32 v18, v74, v18
	v_fmac_f32_e32 v24, v29, v35
	v_fmac_f32_e32 v114, v30, v22
	v_or_b32_e32 v22, v58, v50
	ds_read2_b64 v[27:30], v6 offset0:33 offset1:34
	v_or_b32_e32 v35, v59, v51
	v_or_b32_e32 v51, v66, v64
	v_mul_f32_e32 v53, v74, v36
	v_mul_f32_e32 v22, v74, v22
	v_or_b32_e32 v50, v70, v68
	v_mul_f32_e32 v54, v74, v35
	ds_read2_b64 v[35:38], v6 offset0:35 offset1:36
	v_or_b32_e32 v17, v120, v126
	v_fmac_f32_e32 v24, v31, v22
	v_or_b32_e32 v22, v67, v65
	v_mul_f32_e32 v31, v74, v51
	v_mul_f32_e32 v51, v74, v52
	v_fmac_f32_e32 v114, v32, v54
	v_fmac_f32_e32 v24, v33, v53
	v_or_b32_e32 v52, v71, v69
	v_mul_f32_e32 v22, v74, v22
	v_mul_f32_e32 v50, v74, v50
	v_fmac_f32_e32 v114, v34, v51
	v_mul_f32_e32 v17, v74, v17
	s_waitcnt lgkmcnt(1)
	v_fmac_f32_e32 v24, v27, v31
	ds_read2_b64 v[31:34], v6 offset0:37 offset1:38
	v_mul_f32_e32 v27, v74, v52
	v_fmac_f32_e32 v114, v28, v22
	v_or_b32_e32 v22, v87, v85
	v_fmac_f32_e32 v24, v29, v50
	v_fmac_f32_e32 v114, v30, v27
	ds_read2_b64 v[27:30], v6 offset0:39 offset1:40
	s_waitcnt lgkmcnt(2)
	v_fmac_f32_e32 v24, v35, v19
	v_or_b32_e32 v19, v99, v97
	v_mul_f32_e32 v22, v74, v22
	v_fmac_f32_e32 v114, v36, v18
	v_mul_f32_e32 v18, v74, v48
	v_fmac_f32_e32 v24, v37, v49
	v_or_b32_e32 v48, v121, v127
	v_mul_f32_e32 v19, v74, v19
	v_fmac_f32_e32 v114, v38, v22
	ds_read2_b64 v[35:38], v6 offset0:41 offset1:42
	s_waitcnt lgkmcnt(2)
	v_fmac_f32_e32 v24, v31, v18
	v_mul_f32_e32 v18, v74, v48
	v_fmac_f32_e32 v114, v32, v19
	v_fmac_f32_e32 v24, v33, v17
	;; [unrolled: 1-line block ×3, first 2 shown]
	ds_read2_b64 v[31:34], v6 offset0:43 offset1:44
	s_waitcnt lgkmcnt(2)
	v_fmac_f32_e32 v24, v27, v15
	v_fmac_f32_e32 v114, v28, v14
	ds_read2_b64 v[14:17], v6 offset0:45 offset1:46
	v_fmac_f32_e32 v24, v29, v0
	v_mul_f32_e32 v0, v74, v8
	v_fmac_f32_e32 v114, v30, v1
	v_mul_f32_e32 v1, v74, v11
	v_mul_f32_e32 v8, v74, v10
	s_waitcnt lgkmcnt(2)
	v_fmac_f32_e32 v24, v35, v7
	v_mul_f32_e32 v7, v74, v13
	v_fmac_f32_e32 v114, v36, v0
	v_or_b32_e32 v0, v39, v88
	v_mul_f32_e32 v10, v74, v21
	v_fmac_f32_e32 v24, v37, v8
	v_mul_f32_e32 v8, v74, v12
	v_fmac_f32_e32 v114, v38, v1
	v_mul_f32_e32 v11, v74, v0
	ds_read_b64 v[0:1], v6 offset:376
	s_waitcnt lgkmcnt(2)
	v_fmac_f32_e32 v24, v31, v7
	v_or_b32_e32 v7, v44, v42
	v_fmac_f32_e32 v114, v32, v8
	v_or_b32_e32 v8, v43, v41
	v_fmac_f32_e32 v24, v33, v11
	v_fmac_f32_e32 v114, v34, v10
	v_mbcnt_lo_u32_b32 v10, -1, 0
	s_waitcnt lgkmcnt(1)
	v_fmac_f32_e32 v24, v14, v5
	v_mul_f32_e32 v5, v74, v7
	v_fmac_f32_e32 v114, v15, v4
	v_xor_b32_e32 v4, 1, v10
	v_mul_f32_e32 v7, v74, v8
	v_fmac_f32_e32 v24, v16, v2
	v_fmac_f32_e32 v114, v17, v3
	v_cmp_gt_i32_e64 s6, 32, v4
	s_waitcnt lgkmcnt(0)
	v_fmac_f32_e32 v24, v0, v7
	v_fmac_f32_e32 v114, v1, v5
	v_cndmask_b32_e64 v2, v10, v4, s6
	v_add_f32_e32 v0, v24, v114
	v_lshlrev_b32_e32 v1, 2, v2
	ds_bpermute_b32 v1, v1, v0
	s_and_saveexec_b32 s20, vcc_lo
	s_cbranch_execz .LBB187_10
; %bb.786:                              ;   in Loop: Header=BB187_12 Depth=1
	s_clause 0x1
	buffer_load_dword v2, off, s[0:3], s32 offset:832
	buffer_load_dword v3, off, s[0:3], s32 offset:824
	s_waitcnt lgkmcnt(0)
	v_add_f32_e32 v0, v0, v1
	s_load_dword s21, s[8:9], 0x0
	s_waitcnt vmcnt(1)
	v_add_nc_u32_e32 v2, v2, v20
	v_cvt_f32_i32_e32 v2, v2
	s_waitcnt vmcnt(0)
	v_mul_f32_e32 v2, v3, v2
	buffer_load_dword v3, off, s[0:3], s32 offset:836 ; 4-byte Folded Reload
	v_cndmask_b32_e64 v1, 0, v2, s5
	buffer_load_dword v2, off, s[0:3], s32 offset:828 ; 4-byte Folded Reload
	s_waitcnt vmcnt(1)
	v_fmac_f32_e32 v1, v3, v0
	buffer_load_dword v3, off, s[0:3], s32 offset:808 ; 4-byte Folded Reload
	s_waitcnt vmcnt(1)
	v_add_nc_u32_e32 v2, v2, v20
	v_cmp_lt_i32_e64 s6, v2, v79
	s_waitcnt lgkmcnt(0)
	v_add_nc_u32_e32 v2, s21, v9
	s_waitcnt vmcnt(0)
	v_max_f32_e32 v0, v3, v3
	v_max_f32_e32 v0, v0, v1
	v_cndmask_b32_e64 v1, 0, v1, s6
	v_cndmask_b32_e64 v3, v3, v0, s6
	ds_write_b32 v2, v1
	buffer_store_dword v3, off, s[0:3], s32 offset:808 ; 4-byte Folded Spill
	s_branch .LBB187_10
.LBB187_787:
	s_or_b32 exec_lo, exec_lo, s19
	s_clause 0xd
	buffer_load_dword v15, off, s[0:3], s32 offset:820
	buffer_load_dword v18, off, s[0:3], s32 offset:852
	;; [unrolled: 1-line block ×14, first 2 shown]
.LBB187_788:
	s_or_b32 exec_lo, exec_lo, s15
	v_mbcnt_lo_u32_b32 v6, -1, 0
	s_waitcnt vmcnt(0)
	v_max_f32_e32 v3, v9, v9
	v_and_b32_e32 v25, 31, v15
	s_waitcnt lgkmcnt(0)
	s_lshr_b32 s8, s13, 16
	v_xor_b32_e32 v0, 16, v6
	v_xor_b32_e32 v2, 8, v6
	;; [unrolled: 1-line block ×3, first 2 shown]
	v_cmp_gt_i32_e32 vcc_lo, 32, v0
	v_cndmask_b32_e32 v0, v6, v0, vcc_lo
	v_cmp_gt_i32_e32 vcc_lo, 32, v2
	v_lshlrev_b32_e32 v1, 2, v0
	v_cndmask_b32_e32 v2, v6, v2, vcc_lo
	v_cmp_gt_i32_e32 vcc_lo, 32, v4
	ds_bpermute_b32 v0, v1, v9
	v_lshlrev_b32_e32 v2, 2, v2
	v_cndmask_b32_e32 v4, v6, v4, vcc_lo
	s_waitcnt lgkmcnt(0)
	v_max_f32_e32 v0, v0, v0
	v_max_f32_e32 v0, v3, v0
	ds_bpermute_b32 v3, v2, v0
	s_waitcnt lgkmcnt(0)
	v_max_f32_e32 v5, v3, v3
	v_lshlrev_b32_e32 v3, 2, v4
	v_max_f32_e32 v0, v0, v5
	v_xor_b32_e32 v5, 2, v6
	ds_bpermute_b32 v4, v3, v0
	v_cmp_gt_i32_e32 vcc_lo, 32, v5
	v_cndmask_b32_e32 v5, v6, v5, vcc_lo
	v_cmp_eq_u32_e32 vcc_lo, 0, v25
	v_lshlrev_b32_e32 v27, 2, v5
	s_waitcnt lgkmcnt(0)
	v_max_f32_e32 v4, v4, v4
	v_max_f32_e32 v0, v0, v4
	buffer_load_dword v4, off, s[0:3], s32 offset:840 ; 4-byte Folded Reload
	ds_bpermute_b32 v5, v27, v0
	s_waitcnt vmcnt(0)
	v_lshlrev_b32_e32 v4, 2, v4
	s_and_saveexec_b32 s5, vcc_lo
	s_cbranch_execz .LBB187_790
; %bb.789:
	s_waitcnt lgkmcnt(0)
	v_max_f32_e32 v5, v5, v5
	v_max_f32_e32 v0, v0, v0
	v_max_f32_e32 v0, v0, v5
	ds_write_b32 v4, v0 offset:768
.LBB187_790:
	s_or_b32 exec_lo, exec_lo, s5
	v_cmp_gt_u32_e64 s5, 4, v25
	v_mov_b32_e32 v0, 0xff7fffff
	s_waitcnt lgkmcnt(0)
	v_lshlrev_b32_e32 v5, 2, v25
	s_waitcnt_vscnt null, 0x0
	s_barrier
	buffer_gl0_inv
	s_and_saveexec_b32 s6, s5
; %bb.791:
	ds_read_b32 v0, v5 offset:768
; %bb.792:
	s_or_b32 exec_lo, exec_lo, s6
	s_waitcnt lgkmcnt(0)
	ds_bpermute_b32 v6, v27, v0
	v_mbcnt_lo_u32_b32 v8, -1, 0
	v_max_f32_e32 v0, v0, v0
	v_xor_b32_e32 v7, 1, v8
	v_cmp_gt_i32_e64 s6, 32, v7
	v_cndmask_b32_e64 v7, v8, v7, s6
	s_waitcnt lgkmcnt(0)
	v_max_f32_e32 v6, v6, v6
	v_lshlrev_b32_e32 v24, 2, v7
	v_mov_b32_e32 v7, 0
	v_max_f32_e32 v0, v0, v6
	ds_bpermute_b32 v6, v24, v0
	s_waitcnt lgkmcnt(0)
	v_max_f32_e32 v6, v6, v6
	v_max_f32_e32 v0, v0, v6
	ds_bpermute_b32 v6, v7, v0
	buffer_load_dword v0, off, s[0:3], s32 offset:192 ; 4-byte Folded Reload
	s_waitcnt vmcnt(0)
	v_lshlrev_b32_e32 v0, 4, v0
	v_min_i32_e32 v0, v0, v79
	v_cmp_lt_i32_e64 s6, v15, v0
	s_and_saveexec_b32 s9, s6
	s_cbranch_execz .LBB187_796
; %bb.793:
	s_getpc_b64 s[20:21]
	s_add_u32 s20, s20, llvm.amdgcn.dynlds.offset.table@rel32@lo+4
	s_addc_u32 s21, s21, llvm.amdgcn.dynlds.offset.table@rel32@hi+12
	s_ashr_i32 s19, s18, 31
	v_mov_b32_e32 v7, 0
	s_lshl_b64 s[22:23], s[18:19], 2
	v_mov_b32_e32 v9, v15
	s_add_u32 s20, s20, s22
	s_addc_u32 s21, s21, s23
	s_mov_b32 s13, 0
	s_load_dword s7, s[20:21], 0x0
	s_waitcnt lgkmcnt(0)
	v_lshl_add_u32 v8, v15, 2, s7
	.p2align	6
.LBB187_794:                            ; =>This Inner Loop Header: Depth=1
	ds_read_b32 v10, v8
	v_add_nc_u32_e32 v9, 0x80, v9
	v_cmp_ge_i32_e64 s7, v9, v0
	s_or_b32 s13, s7, s13
	s_waitcnt lgkmcnt(0)
	v_sub_f32_e32 v10, v10, v6
	v_mul_f32_e32 v10, 0x3fb8aa3b, v10
	v_exp_f32_e32 v10, v10
	ds_write_b32 v8, v10
	v_add_f32_e32 v7, v7, v10
	v_add_nc_u32_e32 v8, 0x200, v8
	s_andn2_b32 exec_lo, exec_lo, s13
	s_cbranch_execnz .LBB187_794
; %bb.795:
	s_or_b32 exec_lo, exec_lo, s13
.LBB187_796:
	s_or_b32 exec_lo, exec_lo, s9
	ds_bpermute_b32 v1, v1, v7
	s_waitcnt lgkmcnt(0)
	v_add_f32_e32 v1, v7, v1
	ds_bpermute_b32 v2, v2, v1
	s_waitcnt lgkmcnt(0)
	v_add_f32_e32 v1, v1, v2
	;; [unrolled: 3-line block ×5, first 2 shown]
	s_and_saveexec_b32 s7, vcc_lo
; %bb.797:
	ds_write_b32 v4, v1 offset:784
; %bb.798:
	s_or_b32 exec_lo, exec_lo, s7
	s_waitcnt lgkmcnt(0)
	s_barrier
	buffer_gl0_inv
	s_and_saveexec_b32 s7, s5
; %bb.799:
	ds_read_b32 v1, v5 offset:784
; %bb.800:
	s_or_b32 exec_lo, exec_lo, s7
	s_waitcnt lgkmcnt(0)
	ds_bpermute_b32 v2, v27, v1
	s_waitcnt lgkmcnt(0)
	v_add_f32_e32 v1, v1, v2
	ds_bpermute_b32 v2, v24, v1
	s_waitcnt lgkmcnt(0)
	v_add_f32_e32 v1, v1, v2
	v_mov_b32_e32 v2, 0
	ds_bpermute_b32 v1, v2, v1
	s_and_saveexec_b32 s5, s6
	s_cbranch_execz .LBB187_803
; %bb.801:
	s_waitcnt lgkmcnt(0)
	v_add_f32_e32 v2, 0x358637bd, v1
	s_getpc_b64 s[6:7]
	s_add_u32 s6, s6, llvm.amdgcn.dynlds.offset.table@rel32@lo+4
	s_addc_u32 s7, s7, llvm.amdgcn.dynlds.offset.table@rel32@hi+12
	s_ashr_i32 s19, s18, 31
	s_lshl_b64 s[20:21], s[18:19], 2
	v_div_scale_f32 v1, null, v2, v2, 1.0
	v_div_scale_f32 v5, vcc_lo, 1.0, v2, 1.0
	s_add_u32 s6, s6, s20
	v_rcp_f32_e32 v3, v1
	s_addc_u32 s7, s7, s21
	s_load_dword s6, s[6:7], 0x0
	v_fma_f32 v4, -v1, v3, 1.0
	v_fmac_f32_e32 v3, v4, v3
	v_mul_f32_e32 v4, v5, v3
	v_fma_f32 v6, -v1, v4, v5
	v_fmac_f32_e32 v4, v6, v3
	v_fma_f32 v1, -v1, v4, v5
	v_div_fmas_f32 v3, v1, v3, v4
	s_waitcnt lgkmcnt(0)
	v_lshl_add_u32 v1, v15, 2, s6
	s_mov_b32 s6, 0
	v_div_fixup_f32 v2, v3, v2, 1.0
	v_mov_b32_e32 v3, v15
.LBB187_802:                            ; =>This Inner Loop Header: Depth=1
	ds_read_b32 v4, v1
	v_add_nc_u32_e32 v3, 0x80, v3
	v_cmp_ge_i32_e32 vcc_lo, v3, v0
	s_or_b32 s6, vcc_lo, s6
	s_waitcnt lgkmcnt(0)
	v_mul_f32_e32 v4, v2, v4
	ds_write_b32 v1, v4
	v_add_nc_u32_e32 v1, 0x200, v1
	s_andn2_b32 exec_lo, exec_lo, s6
	s_cbranch_execnz .LBB187_802
.LBB187_803:
	s_or_b32 exec_lo, exec_lo, s5
	s_waitcnt lgkmcnt(0)
	s_barrier
	buffer_gl0_inv
	s_and_saveexec_b32 s5, s4
	s_xor_b32 s4, exec_lo, s5
	s_cbranch_execz .LBB187_805
; %bb.804:
                                        ; implicit-def: $vgpr0
                                        ; kill: killed $vgpr0
	s_ashr_i32 s19, s18, 31
                                        ; implicit-def: $vgpr0
                                        ; implicit-def: $vgpr79
                                        ; implicit-def: $vgpr47
                                        ; implicit-def: $vgpr22
                                        ; implicit-def: $vgpr20
                                        ; implicit-def: $vgpr21
                                        ; implicit-def: $vgpr18
                                        ; implicit-def: $vgpr26
                                        ; implicit-def: $vgpr17
                                        ; implicit-def: $vgpr28
                                        ; implicit-def: $vgpr19
                                        ; implicit-def: $vgpr23
                                        ; implicit-def: $vgpr12
                                        ; implicit-def: $vgpr13_vgpr14
                                        ; implicit-def: $vgpr16
	buffer_store_dword v0, off, s[0:3], s32 offset:196 ; 4-byte Folded Spill
	buffer_store_dword v1, off, s[0:3], s32 offset:200 ; 4-byte Folded Spill
                                        ; implicit-def: $vgpr0
                                        ; kill: killed $vgpr0
                                        ; implicit-def: $vgpr0
                                        ; kill: killed $vgpr0
	;; [unrolled: 2-line block ×3, first 2 shown]
                                        ; implicit-def: $vgpr0_vgpr1
                                        ; kill: killed $vgpr0_vgpr1
                                        ; implicit-def: $vgpr0
                                        ; kill: killed $vgpr0
.LBB187_805:
	s_or_saveexec_b32 s5, s4
	v_mov_b32_e32 v0, s18
	v_mov_b32_e32 v5, 0
	v_mov_b32_e32 v1, s19
	v_and_b32_e32 v70, 3, v15
	v_mov_b32_e32 v68, 0
	v_mov_b32_e32 v67, 0
	;; [unrolled: 1-line block ×23, first 2 shown]
	s_xor_b32 exec_lo, exec_lo, s5
	s_cbranch_execz .LBB187_1627
; %bb.806:
	v_mov_b32_e32 v8, 0
	v_add_co_u32 v1, vcc_lo, v22, v17
	v_and_b32_e32 v3, 0x7c, v16
	v_add_co_ci_u32_e64 v2, null, v20, v28, vcc_lo
	buffer_store_dword v8, off, s[0:3], s32 offset:220 ; 4-byte Folded Spill
	v_mov_b32_e32 v8, 0
	v_add_co_u32 v1, vcc_lo, v1, v3
	v_and_b32_e32 v0, 12, v16
	v_add_co_ci_u32_e64 v2, null, 0, v2, vcc_lo
	buffer_store_dword v8, off, s[0:3], s32 offset:224 ; 4-byte Folded Spill
	v_mov_b32_e32 v8, 0
	buffer_store_dword v25, off, s[0:3], s32 offset:420 ; 4-byte Folded Spill
	buffer_store_dword v0, off, s[0:3], s32 offset:404 ; 4-byte Folded Spill
	;; [unrolled: 1-line block ×3, first 2 shown]
	v_max_i32_e32 v69, v26, v19
	buffer_store_dword v8, off, s[0:3], s32 offset:228 ; 4-byte Folded Spill
	v_mov_b32_e32 v8, 0
	v_and_b32_e32 v5, 0x7c, v12
	v_lshlrev_b32_e32 v4, 4, v70
	v_cvt_f32_u32_e32 v0, v69
	v_sub_nc_u32_e32 v6, 0, v69
	buffer_store_dword v8, off, s[0:3], s32 offset:236 ; 4-byte Folded Spill
	v_mov_b32_e32 v8, 0
	s_ashr_i32 s19, s18, 31
	v_rcp_iflag_f32_e32 v0, v0
	s_getpc_b64 s[6:7]
	s_add_u32 s6, s6, llvm.amdgcn.dynlds.offset.table@rel32@lo+4
	s_addc_u32 s7, s7, llvm.amdgcn.dynlds.offset.table@rel32@hi+12
	v_mov_b32_e32 v7, 0
	buffer_store_dword v8, off, s[0:3], s32 offset:244 ; 4-byte Folded Spill
	buffer_store_dword v1, off, s[0:3], s32 offset:412 ; 4-byte Folded Spill
	buffer_store_dword v2, off, s[0:3], s32 offset:416 ; 4-byte Folded Spill
	buffer_load_dword v86, off, s[0:3], s32 offset:840 ; 4-byte Folded Reload
	v_add_co_u32 v2, vcc_lo, v5, v13
	v_add_co_ci_u32_e64 v3, null, 0, v14, vcc_lo
	v_mul_f32_e32 v0, 0x4f7ffffe, v0
	v_add_co_u32 v19, vcc_lo, v21, v2
	v_mov_b32_e32 v71, 0x80
	v_bfrev_b32_e32 v9, 1
	v_cvt_u32_f32_e32 v0, v0
	v_mov_b32_e32 v12, 0x7f800001
	v_mov_b32_e32 v81, 0xff
	;; [unrolled: 1-line block ×3, first 2 shown]
	s_lshl_b64 s[20:21], s[18:19], 2
	v_mul_lo_u32 v6, v6, v0
	v_add_co_ci_u32_e64 v20, null, v18, v3, vcc_lo
	v_mov_b32_e32 v15, 0
	v_mov_b32_e32 v5, 0
	s_add_u32 s6, s6, s20
	s_mov_b32 s9, 0
	s_addc_u32 s7, s7, s21
	v_mul_hi_u32 v1, v0, v6
	v_add_nc_u32_e32 v0, v0, v1
	buffer_store_dword v0, off, s[0:3], s32 offset:372 ; 4-byte Folded Spill
	v_mov_b32_e32 v0, 0
	buffer_store_dword v0, off, s[0:3], s32 offset:252 ; 4-byte Folded Spill
	v_mov_b32_e32 v0, 0
	;; [unrolled: 2-line block ×15, first 2 shown]
	buffer_store_dword v0, off, s[0:3], s32 offset:364 ; 4-byte Folded Spill
	s_waitcnt vmcnt(0)
	v_lshl_or_b32 v84, v86, 6, v4
	v_mov_b32_e32 v4, 0
	s_branch .LBB187_809
.LBB187_807:                            ;   in Loop: Header=BB187_809 Depth=1
	s_or_b32 exec_lo, exec_lo, s4
	buffer_load_dword v17, off, s[0:3], s32 offset:220 ; 4-byte Folded Reload
	v_mul_f32_e32 v10, v3, v80
	v_mul_f32_e32 v11, v3, v67
	;; [unrolled: 1-line block ×5, first 2 shown]
	v_fmac_f32_e32 v10, v2, v68
	v_fmac_f32_e32 v11, v2, v66
	v_fmac_f32_e32 v15, v2, v54
	v_fmac_f32_e32 v16, v2, v50
	v_fmac_f32_e32 v14, v2, v13
	v_fmac_f32_e32 v10, v4, v22
	v_fmac_f32_e32 v11, v4, v65
	v_fmac_f32_e32 v15, v4, v53
	v_fmac_f32_e32 v16, v4, v49
	v_fmac_f32_e32 v14, v4, v70
	v_fmac_f32_e32 v10, v5, v21
	v_fmac_f32_e32 v11, v5, v64
	v_fmac_f32_e32 v15, v5, v52
	v_fmac_f32_e32 v16, v5, v48
	v_fmac_f32_e32 v14, v5, v25
	v_mul_f32_e32 v13, v3, v28
	v_fmac_f32_e32 v13, v2, v127
	v_fmac_f32_e32 v13, v4, v126
	;; [unrolled: 1-line block ×3, first 2 shown]
	s_waitcnt vmcnt(0)
	v_add_f32_e32 v17, v17, v10
	buffer_load_dword v10, off, s[0:3], s32 offset:224 ; 4-byte Folded Reload
	buffer_store_dword v17, off, s[0:3], s32 offset:220 ; 4-byte Folded Spill
	s_waitcnt vmcnt(0)
	v_add_f32_e32 v10, v10, v11
	v_mul_f32_e32 v11, v3, v35
	buffer_store_dword v10, off, s[0:3], s32 offset:224 ; 4-byte Folded Spill
	buffer_load_dword v10, off, s[0:3], s32 offset:228 ; 4-byte Folded Reload
	v_fmac_f32_e32 v11, v2, v34
	v_fmac_f32_e32 v11, v4, v33
	;; [unrolled: 1-line block ×3, first 2 shown]
	s_waitcnt vmcnt(0)
	v_add_f32_e32 v10, v10, v15
	v_mul_f32_e32 v15, v3, v31
	buffer_store_dword v10, off, s[0:3], s32 offset:228 ; 4-byte Folded Spill
	buffer_load_dword v10, off, s[0:3], s32 offset:236 ; 4-byte Folded Reload
	v_fmac_f32_e32 v15, v2, v30
	v_fmac_f32_e32 v15, v4, v29
	;; [unrolled: 1-line block ×3, first 2 shown]
	s_waitcnt vmcnt(0)
	v_add_f32_e32 v10, v10, v16
	buffer_load_dword v16, off, s[0:3], s32 offset:244 ; 4-byte Folded Reload
	buffer_store_dword v10, off, s[0:3], s32 offset:236 ; 4-byte Folded Spill
	v_mul_f32_e32 v10, v3, v39
	v_fmac_f32_e32 v10, v2, v38
	v_fmac_f32_e32 v10, v4, v37
	;; [unrolled: 1-line block ×3, first 2 shown]
	s_waitcnt vmcnt(0)
	v_add_f32_e32 v16, v16, v10
	buffer_load_dword v10, off, s[0:3], s32 offset:252 ; 4-byte Folded Reload
	buffer_store_dword v16, off, s[0:3], s32 offset:244 ; 4-byte Folded Spill
	buffer_load_dword v16, off, s[0:3], s32 offset:284 ; 4-byte Folded Reload
	s_waitcnt vmcnt(1)
	v_add_f32_e32 v10, v10, v11
	v_mul_f32_e32 v11, v3, v120
	buffer_store_dword v10, off, s[0:3], s32 offset:252 ; 4-byte Folded Spill
	buffer_load_dword v10, off, s[0:3], s32 offset:260 ; 4-byte Folded Reload
	v_fmac_f32_e32 v11, v2, v111
	v_fmac_f32_e32 v11, v4, v110
	v_fmac_f32_e32 v11, v5, v109
	s_waitcnt vmcnt(0)
	v_add_f32_e32 v10, v10, v15
	v_mul_f32_e32 v15, v3, v92
	buffer_store_dword v10, off, s[0:3], s32 offset:260 ; 4-byte Folded Spill
	buffer_load_dword v10, off, s[0:3], s32 offset:268 ; 4-byte Folded Reload
	v_fmac_f32_e32 v15, v2, v91
	v_fmac_f32_e32 v15, v4, v90
	v_fmac_f32_e32 v15, v5, v89
	;; [unrolled: 8-line block ×3, first 2 shown]
	s_waitcnt vmcnt(0)
	v_add_f32_e32 v10, v10, v13
	v_mul_f32_e32 v13, v3, v108
	buffer_store_dword v10, off, s[0:3], s32 offset:276 ; 4-byte Folded Spill
	v_mul_f32_e32 v10, v3, v124
	v_fmac_f32_e32 v13, v2, v107
	v_fmac_f32_e32 v10, v2, v123
	;; [unrolled: 1-line block ×6, first 2 shown]
	v_add_f32_e32 v16, v16, v10
	buffer_load_dword v10, off, s[0:3], s32 offset:292 ; 4-byte Folded Reload
	buffer_store_dword v16, off, s[0:3], s32 offset:284 ; 4-byte Folded Spill
	buffer_load_dword v16, off, s[0:3], s32 offset:324 ; 4-byte Folded Reload
	s_waitcnt vmcnt(1)
	v_add_f32_e32 v10, v10, v11
	v_mul_f32_e32 v11, v3, v76
	buffer_store_dword v10, off, s[0:3], s32 offset:292 ; 4-byte Folded Spill
	buffer_load_dword v10, off, s[0:3], s32 offset:300 ; 4-byte Folded Reload
	v_fmac_f32_e32 v11, v2, v75
	v_fmac_f32_e32 v11, v4, v74
	v_fmac_f32_e32 v11, v5, v73
	s_waitcnt vmcnt(0)
	v_add_f32_e32 v10, v10, v13
	v_mul_f32_e32 v13, v3, v72
	buffer_store_dword v10, off, s[0:3], s32 offset:300 ; 4-byte Folded Spill
	buffer_load_dword v10, off, s[0:3], s32 offset:308 ; 4-byte Folded Reload
	v_fmac_f32_e32 v13, v2, v63
	v_fmac_f32_e32 v13, v4, v62
	v_fmac_f32_e32 v13, v5, v61
	;; [unrolled: 8-line block ×3, first 2 shown]
	s_waitcnt vmcnt(0)
	v_add_f32_e32 v10, v10, v15
	v_mul_f32_e32 v15, v3, v56
	buffer_store_dword v10, off, s[0:3], s32 offset:316 ; 4-byte Folded Spill
	v_mul_f32_e32 v10, v3, v88
	v_fmac_f32_e32 v15, v2, v46
	v_fmac_f32_e32 v10, v2, v26
	;; [unrolled: 1-line block ×6, first 2 shown]
	v_add_f32_e32 v16, v16, v10
	buffer_load_dword v10, off, s[0:3], s32 offset:332 ; 4-byte Folded Reload
	buffer_store_dword v16, off, s[0:3], s32 offset:324 ; 4-byte Folded Spill
	s_waitcnt vmcnt(0)
	v_add_f32_e32 v10, v10, v11
	v_mul_f32_e32 v11, v3, v119
	buffer_store_dword v10, off, s[0:3], s32 offset:332 ; 4-byte Folded Spill
	buffer_load_dword v10, off, s[0:3], s32 offset:340 ; 4-byte Folded Reload
	v_fmac_f32_e32 v11, v2, v118
	v_fmac_f32_e32 v11, v4, v117
	;; [unrolled: 1-line block ×3, first 2 shown]
	s_waitcnt vmcnt(0)
	v_add_f32_e32 v10, v10, v13
	v_mul_f32_e32 v13, v3, v115
	buffer_store_dword v10, off, s[0:3], s32 offset:340 ; 4-byte Folded Spill
	buffer_load_dword v10, off, s[0:3], s32 offset:348 ; 4-byte Folded Reload
	v_fmac_f32_e32 v13, v2, v114
	v_fmac_f32_e32 v13, v4, v113
	;; [unrolled: 1-line block ×3, first 2 shown]
	s_waitcnt vmcnt(0)
	v_add_f32_e32 v10, v10, v14
	v_mul_f32_e32 v14, v3, v99
	buffer_store_dword v10, off, s[0:3], s32 offset:348 ; 4-byte Folded Spill
	buffer_load_dword v10, off, s[0:3], s32 offset:380 ; 4-byte Folded Reload
	v_fmac_f32_e32 v14, v2, v98
	v_fmac_f32_e32 v14, v4, v97
	s_waitcnt vmcnt(0)
	v_add_f32_e32 v15, v10, v15
	v_mul_f32_e32 v10, v3, v43
	v_mul_f32_e32 v3, v3, v8
	v_fmac_f32_e32 v10, v2, v42
	v_fmac_f32_e32 v3, v2, v6
	;; [unrolled: 1-line block ×4, first 2 shown]
	s_clause 0x1
	buffer_load_dword v1, off, s[0:3], s32 offset:216
	buffer_load_dword v4, off, s[0:3], s32 offset:388
	v_fmac_f32_e32 v10, v5, v40
	v_fmac_f32_e32 v3, v5, v0
	buffer_load_dword v0, off, s[0:3], s32 offset:356 ; 4-byte Folded Reload
	v_add_f32_e32 v96, v96, v3
	s_waitcnt vmcnt(2)
	v_fmac_f32_e32 v14, v5, v1
	buffer_load_dword v5, off, s[0:3], s32 offset:396 ; 4-byte Folded Reload
	s_waitcnt vmcnt(2)
	v_add_f32_e32 v4, v4, v10
	s_waitcnt vmcnt(1)
	v_add_f32_e32 v0, v0, v11
	buffer_store_dword v0, off, s[0:3], s32 offset:356 ; 4-byte Folded Spill
	buffer_load_dword v0, off, s[0:3], s32 offset:364 ; 4-byte Folded Reload
	s_waitcnt vmcnt(1)
	v_add_f32_e32 v5, v5, v14
	s_waitcnt vmcnt(0)
	v_add_f32_e32 v0, v0, v13
	buffer_store_dword v0, off, s[0:3], s32 offset:364 ; 4-byte Folded Spill
.LBB187_808:                            ;   in Loop: Header=BB187_809 Depth=1
	s_or_b32 exec_lo, exec_lo, s13
	buffer_load_dword v0, off, s[0:3], s32 offset:192 ; 4-byte Folded Reload
	v_add_nc_u32_e32 v86, 4, v86
	v_add_co_u32 v19, s4, v19, 16
	v_add_nc_u32_e32 v23, 64, v23
	v_add_nc_u32_e32 v84, 0x100, v84
	v_add_co_ci_u32_e64 v20, null, 0, v20, s4
	s_waitcnt vmcnt(0)
	v_cmp_ge_i32_e32 vcc_lo, v86, v0
	s_or_b32 s9, vcc_lo, s9
	s_andn2_b32 exec_lo, exec_lo, s9
	s_cbranch_execz .LBB187_1626
.LBB187_809:                            ; =>This Inner Loop Header: Depth=1
	buffer_load_dword v0, off, s[0:3], s32 offset:208 ; 4-byte Folded Reload
	s_waitcnt vmcnt(0)
	v_mul_hi_u32 v0, v23, v0
	v_mul_lo_u32 v1, v0, v47
	v_add_nc_u32_e32 v2, 1, v0
	v_sub_nc_u32_e32 v1, v23, v1
	v_sub_nc_u32_e32 v3, v1, v47
	v_cmp_ge_u32_e32 vcc_lo, v1, v47
	v_cndmask_b32_e32 v1, v1, v3, vcc_lo
	v_cndmask_b32_e32 v0, v0, v2, vcc_lo
	v_cmp_ge_u32_e32 vcc_lo, v1, v47
	buffer_load_dword v1, off, s[0:3], s32 offset:204 ; 4-byte Folded Reload
	v_add_nc_u32_e32 v2, 1, v0
	v_cndmask_b32_e32 v0, v0, v2, vcc_lo
	s_waitcnt vmcnt(0)
	v_xor_b32_e32 v0, v0, v1
	v_sub_nc_u32_e32 v0, v0, v1
	s_clause 0x2
	buffer_load_dword v1, off, s[0:3], s32 offset:196
	buffer_load_dword v2, off, s[0:3], s32 offset:200
	buffer_load_dword v3, off, s[0:3], s32 offset:372
	s_waitcnt vmcnt(2)
	v_add_nc_u32_e32 v1, v0, v1
	s_waitcnt vmcnt(1)
	v_sub_nc_u32_e32 v2, 0, v1
	v_max_i32_e32 v2, v1, v2
	v_ashrrev_i32_e32 v1, 31, v1
	s_waitcnt vmcnt(0)
	v_mul_hi_u32 v3, v2, v3
	v_mul_lo_u32 v3, v3, v69
	v_sub_nc_u32_e32 v2, v2, v3
	v_sub_nc_u32_e32 v3, v2, v69
	v_cmp_ge_u32_e32 vcc_lo, v2, v69
	v_cndmask_b32_e32 v2, v2, v3, vcc_lo
	v_sub_nc_u32_e32 v3, v2, v69
	v_cmp_ge_u32_e32 vcc_lo, v2, v69
	v_cndmask_b32_e32 v2, v2, v3, vcc_lo
	v_xor_b32_e32 v2, v2, v1
	v_sub_nc_u32_e32 v1, v2, v1
	v_cmp_eq_u32_e32 vcc_lo, 0, v1
	buffer_load_dword v1, off, s[0:3], s32 offset:212 ; 4-byte Folded Reload
	s_waitcnt vmcnt(0)
	v_cmp_gt_i32_e64 s4, v0, v1
	s_or_b32 s4, vcc_lo, s4
	s_and_saveexec_b32 s13, s4
	s_cbranch_execz .LBB187_808
; %bb.810:                              ;   in Loop: Header=BB187_809 Depth=1
	buffer_store_dword v5, off, s[0:3], s32 offset:396 ; 4-byte Folded Spill
	buffer_store_dword v4, off, s[0:3], s32 offset:388 ; 4-byte Folded Spill
	;; [unrolled: 1-line block ×3, first 2 shown]
	flat_load_dword v0, v[19:20]
	s_clause 0x2
	buffer_load_dword v1, off, s[0:3], s32 offset:580
	buffer_load_dword v2, off, s[0:3], s32 offset:412
	;; [unrolled: 1-line block ×3, first 2 shown]
	v_mov_b32_e32 v17, 0
	v_mov_b32_e32 v15, 0
	v_mov_b32_e32 v18, 0
	v_mov_b32_e32 v16, 0
	s_waitcnt vmcnt(0) lgkmcnt(0)
	v_mad_i64_i32 v[0:1], null, v0, v1, v[2:3]
	flat_load_dword v13, v[0:1]
	s_clause 0x1
	buffer_load_dword v2, off, s[0:3], s32 offset:792
	buffer_load_dword v3, off, s[0:3], s32 offset:796
	s_load_dword s4, s[6:7], 0x0
	s_waitcnt vmcnt(2) lgkmcnt(0)
	v_cmp_ne_u16_sdwa s15, v13, v7 src0_sel:BYTE_0 src1_sel:DWORD
	s_waitcnt vmcnt(0)
	flat_load_dword v87, v[2:3]
	v_add_nc_u32_e32 v2, s4, v84
	ds_read_b128 v[2:5], v2
	s_and_saveexec_b32 s4, s15
	s_cbranch_execz .LBB187_818
; %bb.811:                              ;   in Loop: Header=BB187_809 Depth=1
	v_bfrev_b32_e32 v15, 1
	v_mov_b32_e32 v16, 0
	v_cmp_ne_u16_sdwa s17, v13, v71 src0_sel:BYTE_0 src1_sel:DWORD
	s_and_saveexec_b32 s15, s17
	s_cbranch_execz .LBB187_817
; %bb.812:                              ;   in Loop: Header=BB187_809 Depth=1
	v_mov_b32_e32 v15, 0x7f800001
	v_and_b32_e32 v10, 0x7f, v13
	v_mov_b32_e32 v16, 0
	s_mov_b32 s17, exec_lo
	v_cmpx_ne_u32_e32 0x7f, v10
	s_cbranch_execz .LBB187_816
; %bb.813:                              ;   in Loop: Header=BB187_809 Depth=1
	v_and_b32_e32 v6, 7, v13
	v_lshrrev_b32_e32 v8, 3, v10
	s_mov_b32 s20, exec_lo
	v_cmpx_gt_u32_e32 8, v10
; %bb.814:                              ;   in Loop: Header=BB187_809 Depth=1
	v_ffbh_u32_e32 v8, v6
	v_min_u32_e32 v8, 32, v8
	v_subrev_nc_u32_e32 v10, 28, v8
	v_sub_nc_u32_e32 v8, 29, v8
	v_lshlrev_b64 v[10:11], v10, v[6:7]
	v_and_b32_e32 v6, 7, v10
; %bb.815:                              ;   in Loop: Header=BB187_809 Depth=1
	s_or_b32 exec_lo, exec_lo, s20
	v_lshlrev_b32_e32 v10, 24, v13
	v_lshlrev_b32_e32 v6, 20, v6
	v_lshl_add_u32 v8, v8, 23, 0x3c000000
	v_and_b32_e32 v10, 0x80000000, v10
	v_or3_b32 v6, v6, v10, v8
	v_mov_b32_e32 v16, v7
	v_mov_b32_e32 v15, v6
.LBB187_816:                            ;   in Loop: Header=BB187_809 Depth=1
	s_or_b32 exec_lo, exec_lo, s17
.LBB187_817:                            ;   in Loop: Header=BB187_809 Depth=1
	s_or_b32 exec_lo, exec_lo, s15
.LBB187_818:                            ;   in Loop: Header=BB187_809 Depth=1
	s_or_b32 exec_lo, exec_lo, s4
	v_cmp_ne_u16_sdwa s15, v13, v7 src0_sel:BYTE_1 src1_sel:DWORD
	s_and_saveexec_b32 s4, s15
	s_cbranch_execz .LBB187_826
; %bb.819:                              ;   in Loop: Header=BB187_809 Depth=1
	v_mov_b32_e32 v8, v7
	v_mov_b32_e32 v18, v9
	v_cmp_ne_u16_sdwa s17, v13, v71 src0_sel:BYTE_1 src1_sel:DWORD
	v_mov_b32_e32 v17, v8
	s_and_saveexec_b32 s15, s17
	s_cbranch_execz .LBB187_825
; %bb.820:                              ;   in Loop: Header=BB187_809 Depth=1
	v_mov_b32_e32 v6, 0xffff
	v_mov_b32_e32 v11, v7
	;; [unrolled: 1-line block ×3, first 2 shown]
	s_mov_b32 s17, exec_lo
	v_and_b32_sdwa v6, v6, v13 dst_sel:DWORD dst_unused:UNUSED_PAD src0_sel:DWORD src1_sel:BYTE_1
	v_mov_b32_e32 v17, v11
	v_and_b32_e32 v10, 0x7f, v6
	v_cmpx_ne_u32_e32 0x7f, v10
	s_cbranch_execz .LBB187_824
; %bb.821:                              ;   in Loop: Header=BB187_809 Depth=1
	v_and_b32_e32 v6, 7, v6
	v_lshrrev_b32_e32 v8, 3, v10
	s_mov_b32 s20, exec_lo
	v_cmpx_gt_u32_e32 8, v10
; %bb.822:                              ;   in Loop: Header=BB187_809 Depth=1
	v_ffbh_u32_e32 v8, v6
	v_min_u32_e32 v8, 32, v8
	v_subrev_nc_u32_e32 v10, 28, v8
	v_sub_nc_u32_e32 v8, 29, v8
	v_lshlrev_b64 v[10:11], v10, v[6:7]
	v_and_b32_e32 v6, 7, v10
; %bb.823:                              ;   in Loop: Header=BB187_809 Depth=1
	s_or_b32 exec_lo, exec_lo, s20
	v_lshlrev_b32_e32 v10, 16, v13
	v_lshlrev_b32_e32 v6, 20, v6
	v_lshl_add_u32 v8, v8, 23, 0x3c000000
	v_mov_b32_e32 v17, v7
	v_and_b32_e32 v10, 0x80000000, v10
	v_or3_b32 v18, v6, v10, v8
.LBB187_824:                            ;   in Loop: Header=BB187_809 Depth=1
	s_or_b32 exec_lo, exec_lo, s17
.LBB187_825:                            ;   in Loop: Header=BB187_809 Depth=1
	s_or_b32 exec_lo, exec_lo, s15
.LBB187_826:                            ;   in Loop: Header=BB187_809 Depth=1
	s_or_b32 exec_lo, exec_lo, s4
	v_mov_b32_e32 v10, 0
	v_mov_b32_e32 v21, 0
	v_and_b32_sdwa v6, v13, v81 dst_sel:DWORD dst_unused:UNUSED_PAD src0_sel:WORD_1 src1_sel:DWORD
	v_mov_b32_e32 v11, 0
	v_mov_b32_e32 v22, 0
	s_mov_b32 s4, exec_lo
	v_cmpx_ne_u16_e32 0, v6
	s_cbranch_execz .LBB187_834
; %bb.827:                              ;   in Loop: Header=BB187_809 Depth=1
	v_bfrev_b32_e32 v21, 1
	v_mov_b32_e32 v22, 0
	s_mov_b32 s15, exec_lo
	v_cmpx_ne_u16_e32 0x80, v6
	s_cbranch_execz .LBB187_833
; %bb.828:                              ;   in Loop: Header=BB187_809 Depth=1
	v_mov_b32_e32 v21, 0x7f800001
	v_bfe_u32 v14, v13, 16, 7
	v_mov_b32_e32 v22, 0
	s_mov_b32 s17, exec_lo
	v_cmpx_ne_u32_e32 0x7f, v14
	s_cbranch_execz .LBB187_832
; %bb.829:                              ;   in Loop: Header=BB187_809 Depth=1
	v_mov_b32_e32 v6, 7
	v_lshrrev_b32_e32 v8, 3, v14
	s_mov_b32 s20, exec_lo
	v_and_b32_sdwa v6, v13, v6 dst_sel:DWORD dst_unused:UNUSED_PAD src0_sel:WORD_1 src1_sel:DWORD
	v_cmpx_gt_u32_e32 8, v14
; %bb.830:                              ;   in Loop: Header=BB187_809 Depth=1
	v_ffbh_u32_e32 v8, v6
	v_min_u32_e32 v8, 32, v8
	v_subrev_nc_u32_e32 v14, 28, v8
	v_sub_nc_u32_e32 v8, 29, v8
	v_lshlrev_b64 v[21:22], v14, v[6:7]
	v_and_b32_e32 v6, 7, v21
; %bb.831:                              ;   in Loop: Header=BB187_809 Depth=1
	s_or_b32 exec_lo, exec_lo, s20
	v_mov_b32_e32 v14, 24
	v_lshlrev_b32_e32 v6, 20, v6
	v_lshl_add_u32 v8, v8, 23, 0x3c000000
	v_lshlrev_b32_sdwa v14, v14, v13 dst_sel:DWORD dst_unused:UNUSED_PAD src0_sel:DWORD src1_sel:WORD_1
	v_and_b32_e32 v14, 0x80000000, v14
	v_or3_b32 v6, v6, v14, v8
	v_mov_b32_e32 v22, v7
	v_mov_b32_e32 v21, v6
.LBB187_832:                            ;   in Loop: Header=BB187_809 Depth=1
	s_or_b32 exec_lo, exec_lo, s17
.LBB187_833:                            ;   in Loop: Header=BB187_809 Depth=1
	s_or_b32 exec_lo, exec_lo, s15
.LBB187_834:                            ;   in Loop: Header=BB187_809 Depth=1
	s_or_b32 exec_lo, exec_lo, s4
	s_mov_b32 s4, exec_lo
	v_cmpx_lt_u32_e32 0xffffff, v13
	s_cbranch_execz .LBB187_842
; %bb.835:                              ;   in Loop: Header=BB187_809 Depth=1
	v_mov_b32_e32 v8, v7
	v_mov_b32_e32 v11, v9
	v_cmp_ne_u32_sdwa s17, v13, v71 src0_sel:BYTE_3 src1_sel:DWORD
	v_mov_b32_e32 v10, v8
	s_and_saveexec_b32 s15, s17
	s_cbranch_execz .LBB187_841
; %bb.836:                              ;   in Loop: Header=BB187_809 Depth=1
	v_mov_b32_e32 v11, v7
	v_bfe_u32 v14, v13, 24, 7
	s_mov_b32 s17, exec_lo
	v_mov_b32_e32 v10, v11
	v_mov_b32_e32 v11, v12
	v_cmpx_ne_u32_e32 0x7f, v14
	s_cbranch_execz .LBB187_840
; %bb.837:                              ;   in Loop: Header=BB187_809 Depth=1
	v_mov_b32_e32 v6, 7
	v_lshrrev_b32_e32 v8, 3, v14
	s_mov_b32 s20, exec_lo
	v_and_b32_sdwa v6, v13, v6 dst_sel:DWORD dst_unused:UNUSED_PAD src0_sel:BYTE_3 src1_sel:DWORD
	v_cmpx_gt_u32_e32 8, v14
; %bb.838:                              ;   in Loop: Header=BB187_809 Depth=1
	v_ffbh_u32_e32 v8, v6
	v_min_u32_e32 v8, 32, v8
	v_subrev_nc_u32_e32 v10, 28, v8
	v_sub_nc_u32_e32 v8, 29, v8
	v_lshlrev_b64 v[10:11], v10, v[6:7]
	v_and_b32_e32 v6, 7, v10
; %bb.839:                              ;   in Loop: Header=BB187_809 Depth=1
	s_or_b32 exec_lo, exec_lo, s20
	v_mov_b32_e32 v10, 24
	v_lshlrev_b32_e32 v6, 20, v6
	v_lshl_add_u32 v8, v8, 23, 0x3c000000
	v_lshlrev_b32_sdwa v10, v10, v13 dst_sel:DWORD dst_unused:UNUSED_PAD src0_sel:DWORD src1_sel:BYTE_3
	v_and_b32_e32 v10, 0x80000000, v10
	v_or3_b32 v11, v6, v10, v8
	v_mov_b32_e32 v10, v7
.LBB187_840:                            ;   in Loop: Header=BB187_809 Depth=1
	s_or_b32 exec_lo, exec_lo, s17
.LBB187_841:                            ;   in Loop: Header=BB187_809 Depth=1
	s_or_b32 exec_lo, exec_lo, s15
.LBB187_842:                            ;   in Loop: Header=BB187_809 Depth=1
	s_or_b32 exec_lo, exec_lo, s4
	buffer_load_dword v6, off, s[0:3], s32 offset:404 ; 4-byte Folded Reload
	v_or_b32_e32 v8, v18, v16
	v_or_b32_e32 v13, v17, v15
	;; [unrolled: 1-line block ×4, first 2 shown]
	s_waitcnt vmcnt(1) lgkmcnt(1)
	v_mul_f32_e32 v99, v87, v8
	v_mul_f32_e32 v98, v87, v13
	;; [unrolled: 1-line block ×3, first 2 shown]
	s_waitcnt vmcnt(0)
	v_add_nc_u32_e32 v100, v6, v23
	buffer_load_dword v6, off, s[0:3], s32 offset:192 ; 4-byte Folded Reload
	v_add_nc_u32_e32 v103, 1, v100
	v_add_nc_u32_e32 v102, 2, v100
	;; [unrolled: 1-line block ×3, first 2 shown]
	s_waitcnt vmcnt(0)
	v_add_nc_u32_e32 v6, -1, v6
	v_cmp_eq_u32_e32 vcc_lo, v6, v86
	v_mul_f32_e32 v6, v87, v11
	buffer_store_dword v6, off, s[0:3], s32 offset:216 ; 4-byte Folded Spill
	s_and_saveexec_b32 s15, vcc_lo
	s_cbranch_execz .LBB187_844
; %bb.843:                              ;   in Loop: Header=BB187_809 Depth=1
	buffer_load_dword v6, off, s[0:3], s32 offset:216 ; 4-byte Folded Reload
	v_cmp_lt_i32_e64 s4, v100, v79
	v_cndmask_b32_e64 v98, 0, v98, s4
	v_cmp_lt_i32_e64 s4, v103, v79
	v_cndmask_b32_e64 v99, 0, v99, s4
	;; [unrolled: 2-line block ×3, first 2 shown]
	v_cmp_lt_i32_e64 s4, v101, v79
	s_waitcnt vmcnt(0)
	v_cndmask_b32_e64 v6, 0, v6, s4
	buffer_store_dword v6, off, s[0:3], s32 offset:216 ; 4-byte Folded Spill
.LBB187_844:                            ;   in Loop: Header=BB187_809 Depth=1
	s_or_b32 exec_lo, exec_lo, s15
	flat_load_dword v13, v[0:1] offset:128
	v_mov_b32_e32 v17, 0
	v_mov_b32_e32 v15, 0
	;; [unrolled: 1-line block ×4, first 2 shown]
	s_waitcnt vmcnt(0) lgkmcnt(0)
	v_cmp_ne_u16_sdwa s4, v13, v7 src0_sel:BYTE_0 src1_sel:DWORD
	s_and_saveexec_b32 s15, s4
	s_cbranch_execz .LBB187_852
; %bb.845:                              ;   in Loop: Header=BB187_809 Depth=1
	v_bfrev_b32_e32 v15, 1
	v_mov_b32_e32 v16, 0
	v_cmp_ne_u16_sdwa s4, v13, v71 src0_sel:BYTE_0 src1_sel:DWORD
	s_and_saveexec_b32 s17, s4
	s_cbranch_execz .LBB187_851
; %bb.846:                              ;   in Loop: Header=BB187_809 Depth=1
	v_mov_b32_e32 v15, 0x7f800001
	v_and_b32_e32 v10, 0x7f, v13
	v_mov_b32_e32 v16, 0
	s_mov_b32 s20, exec_lo
	v_cmpx_ne_u32_e32 0x7f, v10
	s_cbranch_execz .LBB187_850
; %bb.847:                              ;   in Loop: Header=BB187_809 Depth=1
	v_and_b32_e32 v6, 7, v13
	v_lshrrev_b32_e32 v8, 3, v10
	s_mov_b32 s21, exec_lo
	v_cmpx_gt_u32_e32 8, v10
; %bb.848:                              ;   in Loop: Header=BB187_809 Depth=1
	v_ffbh_u32_e32 v8, v6
	v_min_u32_e32 v8, 32, v8
	v_subrev_nc_u32_e32 v10, 28, v8
	v_sub_nc_u32_e32 v8, 29, v8
	v_lshlrev_b64 v[10:11], v10, v[6:7]
	v_and_b32_e32 v6, 7, v10
; %bb.849:                              ;   in Loop: Header=BB187_809 Depth=1
	s_or_b32 exec_lo, exec_lo, s21
	v_lshlrev_b32_e32 v10, 24, v13
	v_lshlrev_b32_e32 v6, 20, v6
	v_lshl_add_u32 v8, v8, 23, 0x3c000000
	v_and_b32_e32 v10, 0x80000000, v10
	v_or3_b32 v6, v6, v10, v8
	v_mov_b32_e32 v16, v7
	v_mov_b32_e32 v15, v6
.LBB187_850:                            ;   in Loop: Header=BB187_809 Depth=1
	s_or_b32 exec_lo, exec_lo, s20
.LBB187_851:                            ;   in Loop: Header=BB187_809 Depth=1
	s_or_b32 exec_lo, exec_lo, s17
.LBB187_852:                            ;   in Loop: Header=BB187_809 Depth=1
	s_or_b32 exec_lo, exec_lo, s15
	v_cmp_ne_u16_sdwa s4, v13, v7 src0_sel:BYTE_1 src1_sel:DWORD
	s_and_saveexec_b32 s15, s4
	s_cbranch_execz .LBB187_860
; %bb.853:                              ;   in Loop: Header=BB187_809 Depth=1
	v_mov_b32_e32 v8, v7
	v_mov_b32_e32 v18, v9
	v_cmp_ne_u16_sdwa s4, v13, v71 src0_sel:BYTE_1 src1_sel:DWORD
	v_mov_b32_e32 v17, v8
	s_and_saveexec_b32 s17, s4
	s_cbranch_execz .LBB187_859
; %bb.854:                              ;   in Loop: Header=BB187_809 Depth=1
	v_mov_b32_e32 v6, 0xffff
	v_mov_b32_e32 v11, v7
	;; [unrolled: 1-line block ×3, first 2 shown]
	s_mov_b32 s20, exec_lo
	v_and_b32_sdwa v6, v6, v13 dst_sel:DWORD dst_unused:UNUSED_PAD src0_sel:DWORD src1_sel:BYTE_1
	v_mov_b32_e32 v17, v11
	v_and_b32_e32 v10, 0x7f, v6
	v_cmpx_ne_u32_e32 0x7f, v10
	s_cbranch_execz .LBB187_858
; %bb.855:                              ;   in Loop: Header=BB187_809 Depth=1
	v_and_b32_e32 v6, 7, v6
	v_lshrrev_b32_e32 v8, 3, v10
	s_mov_b32 s21, exec_lo
	v_cmpx_gt_u32_e32 8, v10
; %bb.856:                              ;   in Loop: Header=BB187_809 Depth=1
	v_ffbh_u32_e32 v8, v6
	v_min_u32_e32 v8, 32, v8
	v_subrev_nc_u32_e32 v10, 28, v8
	v_sub_nc_u32_e32 v8, 29, v8
	v_lshlrev_b64 v[10:11], v10, v[6:7]
	v_and_b32_e32 v6, 7, v10
; %bb.857:                              ;   in Loop: Header=BB187_809 Depth=1
	s_or_b32 exec_lo, exec_lo, s21
	v_lshlrev_b32_e32 v10, 16, v13
	v_lshlrev_b32_e32 v6, 20, v6
	v_lshl_add_u32 v8, v8, 23, 0x3c000000
	v_mov_b32_e32 v17, v7
	v_and_b32_e32 v10, 0x80000000, v10
	v_or3_b32 v18, v6, v10, v8
.LBB187_858:                            ;   in Loop: Header=BB187_809 Depth=1
	s_or_b32 exec_lo, exec_lo, s20
.LBB187_859:                            ;   in Loop: Header=BB187_809 Depth=1
	s_or_b32 exec_lo, exec_lo, s17
.LBB187_860:                            ;   in Loop: Header=BB187_809 Depth=1
	s_or_b32 exec_lo, exec_lo, s15
	v_mov_b32_e32 v10, 0
	v_mov_b32_e32 v21, 0
	v_and_b32_sdwa v6, v13, v81 dst_sel:DWORD dst_unused:UNUSED_PAD src0_sel:WORD_1 src1_sel:DWORD
	v_mov_b32_e32 v11, 0
	v_mov_b32_e32 v22, 0
	s_mov_b32 s15, exec_lo
	v_cmpx_ne_u16_e32 0, v6
	s_cbranch_execz .LBB187_868
; %bb.861:                              ;   in Loop: Header=BB187_809 Depth=1
	v_bfrev_b32_e32 v21, 1
	v_mov_b32_e32 v22, 0
	s_mov_b32 s17, exec_lo
	v_cmpx_ne_u16_e32 0x80, v6
	s_cbranch_execz .LBB187_867
; %bb.862:                              ;   in Loop: Header=BB187_809 Depth=1
	v_mov_b32_e32 v21, 0x7f800001
	v_bfe_u32 v14, v13, 16, 7
	v_mov_b32_e32 v22, 0
	s_mov_b32 s20, exec_lo
	v_cmpx_ne_u32_e32 0x7f, v14
	s_cbranch_execz .LBB187_866
; %bb.863:                              ;   in Loop: Header=BB187_809 Depth=1
	v_mov_b32_e32 v6, 7
	v_lshrrev_b32_e32 v8, 3, v14
	s_mov_b32 s21, exec_lo
	v_and_b32_sdwa v6, v13, v6 dst_sel:DWORD dst_unused:UNUSED_PAD src0_sel:WORD_1 src1_sel:DWORD
	v_cmpx_gt_u32_e32 8, v14
; %bb.864:                              ;   in Loop: Header=BB187_809 Depth=1
	v_ffbh_u32_e32 v8, v6
	v_min_u32_e32 v8, 32, v8
	v_subrev_nc_u32_e32 v14, 28, v8
	v_sub_nc_u32_e32 v8, 29, v8
	v_lshlrev_b64 v[21:22], v14, v[6:7]
	v_and_b32_e32 v6, 7, v21
; %bb.865:                              ;   in Loop: Header=BB187_809 Depth=1
	s_or_b32 exec_lo, exec_lo, s21
	v_mov_b32_e32 v14, 24
	v_lshlrev_b32_e32 v6, 20, v6
	v_lshl_add_u32 v8, v8, 23, 0x3c000000
	v_lshlrev_b32_sdwa v14, v14, v13 dst_sel:DWORD dst_unused:UNUSED_PAD src0_sel:DWORD src1_sel:WORD_1
	v_and_b32_e32 v14, 0x80000000, v14
	v_or3_b32 v6, v6, v14, v8
	v_mov_b32_e32 v22, v7
	v_mov_b32_e32 v21, v6
.LBB187_866:                            ;   in Loop: Header=BB187_809 Depth=1
	s_or_b32 exec_lo, exec_lo, s20
.LBB187_867:                            ;   in Loop: Header=BB187_809 Depth=1
	s_or_b32 exec_lo, exec_lo, s17
.LBB187_868:                            ;   in Loop: Header=BB187_809 Depth=1
	s_or_b32 exec_lo, exec_lo, s15
	s_mov_b32 s15, exec_lo
	v_cmpx_lt_u32_e32 0xffffff, v13
	s_cbranch_execz .LBB187_876
; %bb.869:                              ;   in Loop: Header=BB187_809 Depth=1
	v_mov_b32_e32 v8, v7
	v_mov_b32_e32 v11, v9
	v_cmp_ne_u32_sdwa s4, v13, v71 src0_sel:BYTE_3 src1_sel:DWORD
	v_mov_b32_e32 v10, v8
	s_and_saveexec_b32 s17, s4
	s_cbranch_execz .LBB187_875
; %bb.870:                              ;   in Loop: Header=BB187_809 Depth=1
	v_mov_b32_e32 v11, v7
	v_bfe_u32 v14, v13, 24, 7
	s_mov_b32 s20, exec_lo
	v_mov_b32_e32 v10, v11
	v_mov_b32_e32 v11, v12
	v_cmpx_ne_u32_e32 0x7f, v14
	s_cbranch_execz .LBB187_874
; %bb.871:                              ;   in Loop: Header=BB187_809 Depth=1
	v_mov_b32_e32 v6, 7
	v_lshrrev_b32_e32 v8, 3, v14
	s_mov_b32 s21, exec_lo
	v_and_b32_sdwa v6, v13, v6 dst_sel:DWORD dst_unused:UNUSED_PAD src0_sel:BYTE_3 src1_sel:DWORD
	v_cmpx_gt_u32_e32 8, v14
; %bb.872:                              ;   in Loop: Header=BB187_809 Depth=1
	v_ffbh_u32_e32 v8, v6
	v_min_u32_e32 v8, 32, v8
	v_subrev_nc_u32_e32 v10, 28, v8
	v_sub_nc_u32_e32 v8, 29, v8
	v_lshlrev_b64 v[10:11], v10, v[6:7]
	v_and_b32_e32 v6, 7, v10
; %bb.873:                              ;   in Loop: Header=BB187_809 Depth=1
	s_or_b32 exec_lo, exec_lo, s21
	v_mov_b32_e32 v10, 24
	v_lshlrev_b32_e32 v6, 20, v6
	v_lshl_add_u32 v8, v8, 23, 0x3c000000
	v_lshlrev_b32_sdwa v10, v10, v13 dst_sel:DWORD dst_unused:UNUSED_PAD src0_sel:DWORD src1_sel:BYTE_3
	v_and_b32_e32 v10, 0x80000000, v10
	v_or3_b32 v11, v6, v10, v8
	v_mov_b32_e32 v10, v7
.LBB187_874:                            ;   in Loop: Header=BB187_809 Depth=1
	s_or_b32 exec_lo, exec_lo, s20
.LBB187_875:                            ;   in Loop: Header=BB187_809 Depth=1
	s_or_b32 exec_lo, exec_lo, s17
.LBB187_876:                            ;   in Loop: Header=BB187_809 Depth=1
	s_or_b32 exec_lo, exec_lo, s15
	v_or_b32_e32 v6, v18, v16
	v_or_b32_e32 v8, v17, v15
	;; [unrolled: 1-line block ×4, first 2 shown]
	v_mul_f32_e32 v115, v87, v6
	v_mul_f32_e32 v114, v87, v8
	;; [unrolled: 1-line block ×4, first 2 shown]
	s_and_saveexec_b32 s15, vcc_lo
	s_cbranch_execz .LBB187_878
; %bb.877:                              ;   in Loop: Header=BB187_809 Depth=1
	v_cmp_lt_i32_e64 s4, v100, v79
	v_cndmask_b32_e64 v114, 0, v114, s4
	v_cmp_lt_i32_e64 s4, v103, v79
	v_cndmask_b32_e64 v115, 0, v115, s4
	;; [unrolled: 2-line block ×4, first 2 shown]
.LBB187_878:                            ;   in Loop: Header=BB187_809 Depth=1
	s_or_b32 exec_lo, exec_lo, s15
	flat_load_dword v13, v[0:1] offset:256
	v_mov_b32_e32 v17, 0
	v_mov_b32_e32 v15, 0
	;; [unrolled: 1-line block ×4, first 2 shown]
	s_waitcnt vmcnt(0) lgkmcnt(0)
	v_cmp_ne_u16_sdwa s4, v13, v7 src0_sel:BYTE_0 src1_sel:DWORD
	s_and_saveexec_b32 s15, s4
	s_cbranch_execz .LBB187_886
; %bb.879:                              ;   in Loop: Header=BB187_809 Depth=1
	v_bfrev_b32_e32 v15, 1
	v_mov_b32_e32 v16, 0
	v_cmp_ne_u16_sdwa s4, v13, v71 src0_sel:BYTE_0 src1_sel:DWORD
	s_and_saveexec_b32 s17, s4
	s_cbranch_execz .LBB187_885
; %bb.880:                              ;   in Loop: Header=BB187_809 Depth=1
	v_mov_b32_e32 v15, 0x7f800001
	v_and_b32_e32 v10, 0x7f, v13
	v_mov_b32_e32 v16, 0
	s_mov_b32 s20, exec_lo
	v_cmpx_ne_u32_e32 0x7f, v10
	s_cbranch_execz .LBB187_884
; %bb.881:                              ;   in Loop: Header=BB187_809 Depth=1
	v_and_b32_e32 v6, 7, v13
	v_lshrrev_b32_e32 v8, 3, v10
	s_mov_b32 s21, exec_lo
	v_cmpx_gt_u32_e32 8, v10
; %bb.882:                              ;   in Loop: Header=BB187_809 Depth=1
	v_ffbh_u32_e32 v8, v6
	v_min_u32_e32 v8, 32, v8
	v_subrev_nc_u32_e32 v10, 28, v8
	v_sub_nc_u32_e32 v8, 29, v8
	v_lshlrev_b64 v[10:11], v10, v[6:7]
	v_and_b32_e32 v6, 7, v10
; %bb.883:                              ;   in Loop: Header=BB187_809 Depth=1
	s_or_b32 exec_lo, exec_lo, s21
	v_lshlrev_b32_e32 v10, 24, v13
	v_lshlrev_b32_e32 v6, 20, v6
	v_lshl_add_u32 v8, v8, 23, 0x3c000000
	v_and_b32_e32 v10, 0x80000000, v10
	v_or3_b32 v6, v6, v10, v8
	v_mov_b32_e32 v16, v7
	v_mov_b32_e32 v15, v6
.LBB187_884:                            ;   in Loop: Header=BB187_809 Depth=1
	s_or_b32 exec_lo, exec_lo, s20
.LBB187_885:                            ;   in Loop: Header=BB187_809 Depth=1
	s_or_b32 exec_lo, exec_lo, s17
.LBB187_886:                            ;   in Loop: Header=BB187_809 Depth=1
	s_or_b32 exec_lo, exec_lo, s15
	v_cmp_ne_u16_sdwa s4, v13, v7 src0_sel:BYTE_1 src1_sel:DWORD
	s_and_saveexec_b32 s15, s4
	s_cbranch_execz .LBB187_894
; %bb.887:                              ;   in Loop: Header=BB187_809 Depth=1
	v_mov_b32_e32 v8, v7
	v_mov_b32_e32 v18, v9
	v_cmp_ne_u16_sdwa s4, v13, v71 src0_sel:BYTE_1 src1_sel:DWORD
	v_mov_b32_e32 v17, v8
	s_and_saveexec_b32 s17, s4
	s_cbranch_execz .LBB187_893
; %bb.888:                              ;   in Loop: Header=BB187_809 Depth=1
	v_mov_b32_e32 v6, 0xffff
	v_mov_b32_e32 v11, v7
	;; [unrolled: 1-line block ×3, first 2 shown]
	s_mov_b32 s20, exec_lo
	v_and_b32_sdwa v6, v6, v13 dst_sel:DWORD dst_unused:UNUSED_PAD src0_sel:DWORD src1_sel:BYTE_1
	v_mov_b32_e32 v17, v11
	v_and_b32_e32 v10, 0x7f, v6
	v_cmpx_ne_u32_e32 0x7f, v10
	s_cbranch_execz .LBB187_892
; %bb.889:                              ;   in Loop: Header=BB187_809 Depth=1
	v_and_b32_e32 v6, 7, v6
	v_lshrrev_b32_e32 v8, 3, v10
	s_mov_b32 s21, exec_lo
	v_cmpx_gt_u32_e32 8, v10
; %bb.890:                              ;   in Loop: Header=BB187_809 Depth=1
	v_ffbh_u32_e32 v8, v6
	v_min_u32_e32 v8, 32, v8
	v_subrev_nc_u32_e32 v10, 28, v8
	v_sub_nc_u32_e32 v8, 29, v8
	v_lshlrev_b64 v[10:11], v10, v[6:7]
	v_and_b32_e32 v6, 7, v10
; %bb.891:                              ;   in Loop: Header=BB187_809 Depth=1
	s_or_b32 exec_lo, exec_lo, s21
	v_lshlrev_b32_e32 v10, 16, v13
	v_lshlrev_b32_e32 v6, 20, v6
	v_lshl_add_u32 v8, v8, 23, 0x3c000000
	v_mov_b32_e32 v17, v7
	v_and_b32_e32 v10, 0x80000000, v10
	v_or3_b32 v18, v6, v10, v8
.LBB187_892:                            ;   in Loop: Header=BB187_809 Depth=1
	s_or_b32 exec_lo, exec_lo, s20
.LBB187_893:                            ;   in Loop: Header=BB187_809 Depth=1
	s_or_b32 exec_lo, exec_lo, s17
.LBB187_894:                            ;   in Loop: Header=BB187_809 Depth=1
	s_or_b32 exec_lo, exec_lo, s15
	v_mov_b32_e32 v10, 0
	v_mov_b32_e32 v21, 0
	v_and_b32_sdwa v6, v13, v81 dst_sel:DWORD dst_unused:UNUSED_PAD src0_sel:WORD_1 src1_sel:DWORD
	v_mov_b32_e32 v11, 0
	v_mov_b32_e32 v22, 0
	s_mov_b32 s15, exec_lo
	v_cmpx_ne_u16_e32 0, v6
	s_cbranch_execz .LBB187_902
; %bb.895:                              ;   in Loop: Header=BB187_809 Depth=1
	v_bfrev_b32_e32 v21, 1
	v_mov_b32_e32 v22, 0
	s_mov_b32 s17, exec_lo
	v_cmpx_ne_u16_e32 0x80, v6
	s_cbranch_execz .LBB187_901
; %bb.896:                              ;   in Loop: Header=BB187_809 Depth=1
	v_mov_b32_e32 v21, 0x7f800001
	v_bfe_u32 v14, v13, 16, 7
	v_mov_b32_e32 v22, 0
	s_mov_b32 s20, exec_lo
	v_cmpx_ne_u32_e32 0x7f, v14
	s_cbranch_execz .LBB187_900
; %bb.897:                              ;   in Loop: Header=BB187_809 Depth=1
	v_mov_b32_e32 v6, 7
	v_lshrrev_b32_e32 v8, 3, v14
	s_mov_b32 s21, exec_lo
	v_and_b32_sdwa v6, v13, v6 dst_sel:DWORD dst_unused:UNUSED_PAD src0_sel:WORD_1 src1_sel:DWORD
	v_cmpx_gt_u32_e32 8, v14
; %bb.898:                              ;   in Loop: Header=BB187_809 Depth=1
	v_ffbh_u32_e32 v8, v6
	v_min_u32_e32 v8, 32, v8
	v_subrev_nc_u32_e32 v14, 28, v8
	v_sub_nc_u32_e32 v8, 29, v8
	v_lshlrev_b64 v[21:22], v14, v[6:7]
	v_and_b32_e32 v6, 7, v21
; %bb.899:                              ;   in Loop: Header=BB187_809 Depth=1
	s_or_b32 exec_lo, exec_lo, s21
	v_mov_b32_e32 v14, 24
	v_lshlrev_b32_e32 v6, 20, v6
	v_lshl_add_u32 v8, v8, 23, 0x3c000000
	v_lshlrev_b32_sdwa v14, v14, v13 dst_sel:DWORD dst_unused:UNUSED_PAD src0_sel:DWORD src1_sel:WORD_1
	v_and_b32_e32 v14, 0x80000000, v14
	v_or3_b32 v6, v6, v14, v8
	v_mov_b32_e32 v22, v7
	v_mov_b32_e32 v21, v6
.LBB187_900:                            ;   in Loop: Header=BB187_809 Depth=1
	s_or_b32 exec_lo, exec_lo, s20
.LBB187_901:                            ;   in Loop: Header=BB187_809 Depth=1
	s_or_b32 exec_lo, exec_lo, s17
.LBB187_902:                            ;   in Loop: Header=BB187_809 Depth=1
	s_or_b32 exec_lo, exec_lo, s15
	s_mov_b32 s15, exec_lo
	v_cmpx_lt_u32_e32 0xffffff, v13
	s_cbranch_execz .LBB187_910
; %bb.903:                              ;   in Loop: Header=BB187_809 Depth=1
	v_mov_b32_e32 v8, v7
	v_mov_b32_e32 v11, v9
	v_cmp_ne_u32_sdwa s4, v13, v71 src0_sel:BYTE_3 src1_sel:DWORD
	v_mov_b32_e32 v10, v8
	s_and_saveexec_b32 s17, s4
	s_cbranch_execz .LBB187_909
; %bb.904:                              ;   in Loop: Header=BB187_809 Depth=1
	v_mov_b32_e32 v11, v7
	v_bfe_u32 v14, v13, 24, 7
	s_mov_b32 s20, exec_lo
	v_mov_b32_e32 v10, v11
	v_mov_b32_e32 v11, v12
	v_cmpx_ne_u32_e32 0x7f, v14
	s_cbranch_execz .LBB187_908
; %bb.905:                              ;   in Loop: Header=BB187_809 Depth=1
	v_mov_b32_e32 v6, 7
	v_lshrrev_b32_e32 v8, 3, v14
	s_mov_b32 s21, exec_lo
	v_and_b32_sdwa v6, v13, v6 dst_sel:DWORD dst_unused:UNUSED_PAD src0_sel:BYTE_3 src1_sel:DWORD
	v_cmpx_gt_u32_e32 8, v14
; %bb.906:                              ;   in Loop: Header=BB187_809 Depth=1
	v_ffbh_u32_e32 v8, v6
	v_min_u32_e32 v8, 32, v8
	v_subrev_nc_u32_e32 v10, 28, v8
	v_sub_nc_u32_e32 v8, 29, v8
	v_lshlrev_b64 v[10:11], v10, v[6:7]
	v_and_b32_e32 v6, 7, v10
; %bb.907:                              ;   in Loop: Header=BB187_809 Depth=1
	s_or_b32 exec_lo, exec_lo, s21
	v_mov_b32_e32 v10, 24
	v_lshlrev_b32_e32 v6, 20, v6
	v_lshl_add_u32 v8, v8, 23, 0x3c000000
	v_lshlrev_b32_sdwa v10, v10, v13 dst_sel:DWORD dst_unused:UNUSED_PAD src0_sel:DWORD src1_sel:BYTE_3
	v_and_b32_e32 v10, 0x80000000, v10
	v_or3_b32 v11, v6, v10, v8
	v_mov_b32_e32 v10, v7
.LBB187_908:                            ;   in Loop: Header=BB187_809 Depth=1
	s_or_b32 exec_lo, exec_lo, s20
.LBB187_909:                            ;   in Loop: Header=BB187_809 Depth=1
	s_or_b32 exec_lo, exec_lo, s17
.LBB187_910:                            ;   in Loop: Header=BB187_809 Depth=1
	s_or_b32 exec_lo, exec_lo, s15
	v_or_b32_e32 v6, v18, v16
	v_or_b32_e32 v8, v17, v15
	;; [unrolled: 1-line block ×4, first 2 shown]
	v_mul_f32_e32 v119, v87, v6
	v_mul_f32_e32 v118, v87, v8
	;; [unrolled: 1-line block ×4, first 2 shown]
	s_and_saveexec_b32 s15, vcc_lo
	s_cbranch_execz .LBB187_912
; %bb.911:                              ;   in Loop: Header=BB187_809 Depth=1
	v_cmp_lt_i32_e64 s4, v100, v79
	v_cndmask_b32_e64 v118, 0, v118, s4
	v_cmp_lt_i32_e64 s4, v103, v79
	v_cndmask_b32_e64 v119, 0, v119, s4
	;; [unrolled: 2-line block ×4, first 2 shown]
.LBB187_912:                            ;   in Loop: Header=BB187_809 Depth=1
	s_or_b32 exec_lo, exec_lo, s15
	flat_load_dword v13, v[0:1] offset:384
	v_mov_b32_e32 v17, 0
	v_mov_b32_e32 v15, 0
	;; [unrolled: 1-line block ×4, first 2 shown]
	s_waitcnt vmcnt(0) lgkmcnt(0)
	v_cmp_ne_u16_sdwa s4, v13, v7 src0_sel:BYTE_0 src1_sel:DWORD
	s_and_saveexec_b32 s15, s4
	s_cbranch_execz .LBB187_920
; %bb.913:                              ;   in Loop: Header=BB187_809 Depth=1
	v_bfrev_b32_e32 v15, 1
	v_mov_b32_e32 v16, 0
	v_cmp_ne_u16_sdwa s4, v13, v71 src0_sel:BYTE_0 src1_sel:DWORD
	s_and_saveexec_b32 s17, s4
	s_cbranch_execz .LBB187_919
; %bb.914:                              ;   in Loop: Header=BB187_809 Depth=1
	v_mov_b32_e32 v15, 0x7f800001
	v_and_b32_e32 v10, 0x7f, v13
	v_mov_b32_e32 v16, 0
	s_mov_b32 s20, exec_lo
	v_cmpx_ne_u32_e32 0x7f, v10
	s_cbranch_execz .LBB187_918
; %bb.915:                              ;   in Loop: Header=BB187_809 Depth=1
	v_and_b32_e32 v6, 7, v13
	v_lshrrev_b32_e32 v8, 3, v10
	s_mov_b32 s21, exec_lo
	v_cmpx_gt_u32_e32 8, v10
; %bb.916:                              ;   in Loop: Header=BB187_809 Depth=1
	v_ffbh_u32_e32 v8, v6
	v_min_u32_e32 v8, 32, v8
	v_subrev_nc_u32_e32 v10, 28, v8
	v_sub_nc_u32_e32 v8, 29, v8
	v_lshlrev_b64 v[10:11], v10, v[6:7]
	v_and_b32_e32 v6, 7, v10
; %bb.917:                              ;   in Loop: Header=BB187_809 Depth=1
	s_or_b32 exec_lo, exec_lo, s21
	v_lshlrev_b32_e32 v10, 24, v13
	v_lshlrev_b32_e32 v6, 20, v6
	v_lshl_add_u32 v8, v8, 23, 0x3c000000
	v_and_b32_e32 v10, 0x80000000, v10
	v_or3_b32 v6, v6, v10, v8
	v_mov_b32_e32 v16, v7
	v_mov_b32_e32 v15, v6
.LBB187_918:                            ;   in Loop: Header=BB187_809 Depth=1
	s_or_b32 exec_lo, exec_lo, s20
.LBB187_919:                            ;   in Loop: Header=BB187_809 Depth=1
	s_or_b32 exec_lo, exec_lo, s17
.LBB187_920:                            ;   in Loop: Header=BB187_809 Depth=1
	s_or_b32 exec_lo, exec_lo, s15
	v_cmp_ne_u16_sdwa s4, v13, v7 src0_sel:BYTE_1 src1_sel:DWORD
	s_and_saveexec_b32 s15, s4
	s_cbranch_execz .LBB187_928
; %bb.921:                              ;   in Loop: Header=BB187_809 Depth=1
	v_mov_b32_e32 v8, v7
	v_mov_b32_e32 v18, v9
	v_cmp_ne_u16_sdwa s4, v13, v71 src0_sel:BYTE_1 src1_sel:DWORD
	v_mov_b32_e32 v17, v8
	s_and_saveexec_b32 s17, s4
	s_cbranch_execz .LBB187_927
; %bb.922:                              ;   in Loop: Header=BB187_809 Depth=1
	v_mov_b32_e32 v6, 0xffff
	v_mov_b32_e32 v11, v7
	;; [unrolled: 1-line block ×3, first 2 shown]
	s_mov_b32 s20, exec_lo
	v_and_b32_sdwa v6, v6, v13 dst_sel:DWORD dst_unused:UNUSED_PAD src0_sel:DWORD src1_sel:BYTE_1
	v_mov_b32_e32 v17, v11
	v_and_b32_e32 v10, 0x7f, v6
	v_cmpx_ne_u32_e32 0x7f, v10
	s_cbranch_execz .LBB187_926
; %bb.923:                              ;   in Loop: Header=BB187_809 Depth=1
	v_and_b32_e32 v6, 7, v6
	v_lshrrev_b32_e32 v8, 3, v10
	s_mov_b32 s21, exec_lo
	v_cmpx_gt_u32_e32 8, v10
; %bb.924:                              ;   in Loop: Header=BB187_809 Depth=1
	v_ffbh_u32_e32 v8, v6
	v_min_u32_e32 v8, 32, v8
	v_subrev_nc_u32_e32 v10, 28, v8
	v_sub_nc_u32_e32 v8, 29, v8
	v_lshlrev_b64 v[10:11], v10, v[6:7]
	v_and_b32_e32 v6, 7, v10
; %bb.925:                              ;   in Loop: Header=BB187_809 Depth=1
	s_or_b32 exec_lo, exec_lo, s21
	v_lshlrev_b32_e32 v10, 16, v13
	v_lshlrev_b32_e32 v6, 20, v6
	v_lshl_add_u32 v8, v8, 23, 0x3c000000
	v_mov_b32_e32 v17, v7
	v_and_b32_e32 v10, 0x80000000, v10
	v_or3_b32 v18, v6, v10, v8
.LBB187_926:                            ;   in Loop: Header=BB187_809 Depth=1
	s_or_b32 exec_lo, exec_lo, s20
.LBB187_927:                            ;   in Loop: Header=BB187_809 Depth=1
	s_or_b32 exec_lo, exec_lo, s17
.LBB187_928:                            ;   in Loop: Header=BB187_809 Depth=1
	s_or_b32 exec_lo, exec_lo, s15
	v_mov_b32_e32 v10, 0
	v_mov_b32_e32 v21, 0
	v_and_b32_sdwa v6, v13, v81 dst_sel:DWORD dst_unused:UNUSED_PAD src0_sel:WORD_1 src1_sel:DWORD
	v_mov_b32_e32 v11, 0
	v_mov_b32_e32 v22, 0
	s_mov_b32 s15, exec_lo
	v_cmpx_ne_u16_e32 0, v6
	s_cbranch_execz .LBB187_936
; %bb.929:                              ;   in Loop: Header=BB187_809 Depth=1
	v_bfrev_b32_e32 v21, 1
	v_mov_b32_e32 v22, 0
	s_mov_b32 s17, exec_lo
	v_cmpx_ne_u16_e32 0x80, v6
	s_cbranch_execz .LBB187_935
; %bb.930:                              ;   in Loop: Header=BB187_809 Depth=1
	v_mov_b32_e32 v21, 0x7f800001
	v_bfe_u32 v14, v13, 16, 7
	v_mov_b32_e32 v22, 0
	s_mov_b32 s20, exec_lo
	v_cmpx_ne_u32_e32 0x7f, v14
	s_cbranch_execz .LBB187_934
; %bb.931:                              ;   in Loop: Header=BB187_809 Depth=1
	v_mov_b32_e32 v6, 7
	v_lshrrev_b32_e32 v8, 3, v14
	s_mov_b32 s21, exec_lo
	v_and_b32_sdwa v6, v13, v6 dst_sel:DWORD dst_unused:UNUSED_PAD src0_sel:WORD_1 src1_sel:DWORD
	v_cmpx_gt_u32_e32 8, v14
; %bb.932:                              ;   in Loop: Header=BB187_809 Depth=1
	v_ffbh_u32_e32 v8, v6
	v_min_u32_e32 v8, 32, v8
	v_subrev_nc_u32_e32 v14, 28, v8
	v_sub_nc_u32_e32 v8, 29, v8
	v_lshlrev_b64 v[21:22], v14, v[6:7]
	v_and_b32_e32 v6, 7, v21
; %bb.933:                              ;   in Loop: Header=BB187_809 Depth=1
	s_or_b32 exec_lo, exec_lo, s21
	v_mov_b32_e32 v14, 24
	v_lshlrev_b32_e32 v6, 20, v6
	v_lshl_add_u32 v8, v8, 23, 0x3c000000
	v_lshlrev_b32_sdwa v14, v14, v13 dst_sel:DWORD dst_unused:UNUSED_PAD src0_sel:DWORD src1_sel:WORD_1
	v_and_b32_e32 v14, 0x80000000, v14
	v_or3_b32 v6, v6, v14, v8
	v_mov_b32_e32 v22, v7
	v_mov_b32_e32 v21, v6
.LBB187_934:                            ;   in Loop: Header=BB187_809 Depth=1
	s_or_b32 exec_lo, exec_lo, s20
.LBB187_935:                            ;   in Loop: Header=BB187_809 Depth=1
	s_or_b32 exec_lo, exec_lo, s17
.LBB187_936:                            ;   in Loop: Header=BB187_809 Depth=1
	s_or_b32 exec_lo, exec_lo, s15
	s_mov_b32 s15, exec_lo
	v_cmpx_lt_u32_e32 0xffffff, v13
	s_cbranch_execz .LBB187_944
; %bb.937:                              ;   in Loop: Header=BB187_809 Depth=1
	v_mov_b32_e32 v8, v7
	v_mov_b32_e32 v11, v9
	v_cmp_ne_u32_sdwa s4, v13, v71 src0_sel:BYTE_3 src1_sel:DWORD
	v_mov_b32_e32 v10, v8
	s_and_saveexec_b32 s17, s4
	s_cbranch_execz .LBB187_943
; %bb.938:                              ;   in Loop: Header=BB187_809 Depth=1
	v_mov_b32_e32 v11, v7
	v_bfe_u32 v14, v13, 24, 7
	s_mov_b32 s20, exec_lo
	v_mov_b32_e32 v10, v11
	v_mov_b32_e32 v11, v12
	v_cmpx_ne_u32_e32 0x7f, v14
	s_cbranch_execz .LBB187_942
; %bb.939:                              ;   in Loop: Header=BB187_809 Depth=1
	v_mov_b32_e32 v6, 7
	v_lshrrev_b32_e32 v8, 3, v14
	s_mov_b32 s21, exec_lo
	v_and_b32_sdwa v6, v13, v6 dst_sel:DWORD dst_unused:UNUSED_PAD src0_sel:BYTE_3 src1_sel:DWORD
	v_cmpx_gt_u32_e32 8, v14
; %bb.940:                              ;   in Loop: Header=BB187_809 Depth=1
	v_ffbh_u32_e32 v8, v6
	v_min_u32_e32 v8, 32, v8
	v_subrev_nc_u32_e32 v10, 28, v8
	v_sub_nc_u32_e32 v8, 29, v8
	v_lshlrev_b64 v[10:11], v10, v[6:7]
	v_and_b32_e32 v6, 7, v10
; %bb.941:                              ;   in Loop: Header=BB187_809 Depth=1
	s_or_b32 exec_lo, exec_lo, s21
	v_mov_b32_e32 v10, 24
	v_lshlrev_b32_e32 v6, 20, v6
	v_lshl_add_u32 v8, v8, 23, 0x3c000000
	v_lshlrev_b32_sdwa v10, v10, v13 dst_sel:DWORD dst_unused:UNUSED_PAD src0_sel:DWORD src1_sel:BYTE_3
	v_and_b32_e32 v10, 0x80000000, v10
	v_or3_b32 v11, v6, v10, v8
	v_mov_b32_e32 v10, v7
.LBB187_942:                            ;   in Loop: Header=BB187_809 Depth=1
	s_or_b32 exec_lo, exec_lo, s20
.LBB187_943:                            ;   in Loop: Header=BB187_809 Depth=1
	s_or_b32 exec_lo, exec_lo, s17
.LBB187_944:                            ;   in Loop: Header=BB187_809 Depth=1
	s_or_b32 exec_lo, exec_lo, s15
	v_or_b32_e32 v6, v18, v16
	v_or_b32_e32 v8, v17, v15
	v_or_b32_e32 v10, v10, v21
	v_or_b32_e32 v11, v11, v22
	v_mul_f32_e32 v43, v87, v6
	v_mul_f32_e32 v42, v87, v8
	v_mul_f32_e32 v41, v87, v10
	v_mul_f32_e32 v40, v87, v11
	s_and_saveexec_b32 s15, vcc_lo
	s_cbranch_execz .LBB187_946
; %bb.945:                              ;   in Loop: Header=BB187_809 Depth=1
	v_cmp_lt_i32_e64 s4, v100, v79
	v_cndmask_b32_e64 v42, 0, v42, s4
	v_cmp_lt_i32_e64 s4, v103, v79
	v_cndmask_b32_e64 v43, 0, v43, s4
	;; [unrolled: 2-line block ×4, first 2 shown]
.LBB187_946:                            ;   in Loop: Header=BB187_809 Depth=1
	s_or_b32 exec_lo, exec_lo, s15
	flat_load_dword v13, v[0:1] offset:512
	v_mov_b32_e32 v17, 0
	v_mov_b32_e32 v15, 0
	;; [unrolled: 1-line block ×4, first 2 shown]
	s_waitcnt vmcnt(0) lgkmcnt(0)
	v_cmp_ne_u16_sdwa s4, v13, v7 src0_sel:BYTE_0 src1_sel:DWORD
	s_and_saveexec_b32 s15, s4
	s_cbranch_execz .LBB187_954
; %bb.947:                              ;   in Loop: Header=BB187_809 Depth=1
	v_bfrev_b32_e32 v15, 1
	v_mov_b32_e32 v16, 0
	v_cmp_ne_u16_sdwa s4, v13, v71 src0_sel:BYTE_0 src1_sel:DWORD
	s_and_saveexec_b32 s17, s4
	s_cbranch_execz .LBB187_953
; %bb.948:                              ;   in Loop: Header=BB187_809 Depth=1
	v_mov_b32_e32 v15, 0x7f800001
	v_and_b32_e32 v10, 0x7f, v13
	v_mov_b32_e32 v16, 0
	s_mov_b32 s20, exec_lo
	v_cmpx_ne_u32_e32 0x7f, v10
	s_cbranch_execz .LBB187_952
; %bb.949:                              ;   in Loop: Header=BB187_809 Depth=1
	v_and_b32_e32 v6, 7, v13
	v_lshrrev_b32_e32 v8, 3, v10
	s_mov_b32 s21, exec_lo
	v_cmpx_gt_u32_e32 8, v10
; %bb.950:                              ;   in Loop: Header=BB187_809 Depth=1
	v_ffbh_u32_e32 v8, v6
	v_min_u32_e32 v8, 32, v8
	v_subrev_nc_u32_e32 v10, 28, v8
	v_sub_nc_u32_e32 v8, 29, v8
	v_lshlrev_b64 v[10:11], v10, v[6:7]
	v_and_b32_e32 v6, 7, v10
; %bb.951:                              ;   in Loop: Header=BB187_809 Depth=1
	s_or_b32 exec_lo, exec_lo, s21
	v_lshlrev_b32_e32 v10, 24, v13
	v_lshlrev_b32_e32 v6, 20, v6
	v_lshl_add_u32 v8, v8, 23, 0x3c000000
	v_and_b32_e32 v10, 0x80000000, v10
	v_or3_b32 v6, v6, v10, v8
	v_mov_b32_e32 v16, v7
	v_mov_b32_e32 v15, v6
.LBB187_952:                            ;   in Loop: Header=BB187_809 Depth=1
	s_or_b32 exec_lo, exec_lo, s20
.LBB187_953:                            ;   in Loop: Header=BB187_809 Depth=1
	s_or_b32 exec_lo, exec_lo, s17
.LBB187_954:                            ;   in Loop: Header=BB187_809 Depth=1
	s_or_b32 exec_lo, exec_lo, s15
	v_cmp_ne_u16_sdwa s4, v13, v7 src0_sel:BYTE_1 src1_sel:DWORD
	s_and_saveexec_b32 s15, s4
	s_cbranch_execz .LBB187_962
; %bb.955:                              ;   in Loop: Header=BB187_809 Depth=1
	v_mov_b32_e32 v8, v7
	v_mov_b32_e32 v18, v9
	v_cmp_ne_u16_sdwa s4, v13, v71 src0_sel:BYTE_1 src1_sel:DWORD
	v_mov_b32_e32 v17, v8
	s_and_saveexec_b32 s17, s4
	s_cbranch_execz .LBB187_961
; %bb.956:                              ;   in Loop: Header=BB187_809 Depth=1
	v_mov_b32_e32 v6, 0xffff
	v_mov_b32_e32 v11, v7
	;; [unrolled: 1-line block ×3, first 2 shown]
	s_mov_b32 s20, exec_lo
	v_and_b32_sdwa v6, v6, v13 dst_sel:DWORD dst_unused:UNUSED_PAD src0_sel:DWORD src1_sel:BYTE_1
	v_mov_b32_e32 v17, v11
	v_and_b32_e32 v10, 0x7f, v6
	v_cmpx_ne_u32_e32 0x7f, v10
	s_cbranch_execz .LBB187_960
; %bb.957:                              ;   in Loop: Header=BB187_809 Depth=1
	v_and_b32_e32 v6, 7, v6
	v_lshrrev_b32_e32 v8, 3, v10
	s_mov_b32 s21, exec_lo
	v_cmpx_gt_u32_e32 8, v10
; %bb.958:                              ;   in Loop: Header=BB187_809 Depth=1
	v_ffbh_u32_e32 v8, v6
	v_min_u32_e32 v8, 32, v8
	v_subrev_nc_u32_e32 v10, 28, v8
	v_sub_nc_u32_e32 v8, 29, v8
	v_lshlrev_b64 v[10:11], v10, v[6:7]
	v_and_b32_e32 v6, 7, v10
; %bb.959:                              ;   in Loop: Header=BB187_809 Depth=1
	s_or_b32 exec_lo, exec_lo, s21
	v_lshlrev_b32_e32 v10, 16, v13
	v_lshlrev_b32_e32 v6, 20, v6
	v_lshl_add_u32 v8, v8, 23, 0x3c000000
	v_mov_b32_e32 v17, v7
	v_and_b32_e32 v10, 0x80000000, v10
	v_or3_b32 v18, v6, v10, v8
.LBB187_960:                            ;   in Loop: Header=BB187_809 Depth=1
	s_or_b32 exec_lo, exec_lo, s20
.LBB187_961:                            ;   in Loop: Header=BB187_809 Depth=1
	s_or_b32 exec_lo, exec_lo, s17
.LBB187_962:                            ;   in Loop: Header=BB187_809 Depth=1
	s_or_b32 exec_lo, exec_lo, s15
	v_mov_b32_e32 v10, 0
	v_mov_b32_e32 v21, 0
	v_and_b32_sdwa v6, v13, v81 dst_sel:DWORD dst_unused:UNUSED_PAD src0_sel:WORD_1 src1_sel:DWORD
	v_mov_b32_e32 v11, 0
	v_mov_b32_e32 v22, 0
	s_mov_b32 s15, exec_lo
	v_cmpx_ne_u16_e32 0, v6
	s_cbranch_execz .LBB187_970
; %bb.963:                              ;   in Loop: Header=BB187_809 Depth=1
	v_bfrev_b32_e32 v21, 1
	v_mov_b32_e32 v22, 0
	s_mov_b32 s17, exec_lo
	v_cmpx_ne_u16_e32 0x80, v6
	s_cbranch_execz .LBB187_969
; %bb.964:                              ;   in Loop: Header=BB187_809 Depth=1
	v_mov_b32_e32 v21, 0x7f800001
	v_bfe_u32 v14, v13, 16, 7
	v_mov_b32_e32 v22, 0
	s_mov_b32 s20, exec_lo
	v_cmpx_ne_u32_e32 0x7f, v14
	s_cbranch_execz .LBB187_968
; %bb.965:                              ;   in Loop: Header=BB187_809 Depth=1
	v_mov_b32_e32 v6, 7
	v_lshrrev_b32_e32 v8, 3, v14
	s_mov_b32 s21, exec_lo
	v_and_b32_sdwa v6, v13, v6 dst_sel:DWORD dst_unused:UNUSED_PAD src0_sel:WORD_1 src1_sel:DWORD
	v_cmpx_gt_u32_e32 8, v14
; %bb.966:                              ;   in Loop: Header=BB187_809 Depth=1
	v_ffbh_u32_e32 v8, v6
	v_min_u32_e32 v8, 32, v8
	v_subrev_nc_u32_e32 v14, 28, v8
	v_sub_nc_u32_e32 v8, 29, v8
	v_lshlrev_b64 v[21:22], v14, v[6:7]
	v_and_b32_e32 v6, 7, v21
; %bb.967:                              ;   in Loop: Header=BB187_809 Depth=1
	s_or_b32 exec_lo, exec_lo, s21
	v_mov_b32_e32 v14, 24
	v_lshlrev_b32_e32 v6, 20, v6
	v_lshl_add_u32 v8, v8, 23, 0x3c000000
	v_lshlrev_b32_sdwa v14, v14, v13 dst_sel:DWORD dst_unused:UNUSED_PAD src0_sel:DWORD src1_sel:WORD_1
	v_and_b32_e32 v14, 0x80000000, v14
	v_or3_b32 v6, v6, v14, v8
	v_mov_b32_e32 v22, v7
	v_mov_b32_e32 v21, v6
.LBB187_968:                            ;   in Loop: Header=BB187_809 Depth=1
	s_or_b32 exec_lo, exec_lo, s20
.LBB187_969:                            ;   in Loop: Header=BB187_809 Depth=1
	s_or_b32 exec_lo, exec_lo, s17
.LBB187_970:                            ;   in Loop: Header=BB187_809 Depth=1
	s_or_b32 exec_lo, exec_lo, s15
	s_mov_b32 s15, exec_lo
	v_cmpx_lt_u32_e32 0xffffff, v13
	s_cbranch_execz .LBB187_978
; %bb.971:                              ;   in Loop: Header=BB187_809 Depth=1
	v_mov_b32_e32 v8, v7
	v_mov_b32_e32 v11, v9
	v_cmp_ne_u32_sdwa s4, v13, v71 src0_sel:BYTE_3 src1_sel:DWORD
	v_mov_b32_e32 v10, v8
	s_and_saveexec_b32 s17, s4
	s_cbranch_execz .LBB187_977
; %bb.972:                              ;   in Loop: Header=BB187_809 Depth=1
	v_mov_b32_e32 v11, v7
	v_bfe_u32 v14, v13, 24, 7
	s_mov_b32 s20, exec_lo
	v_mov_b32_e32 v10, v11
	v_mov_b32_e32 v11, v12
	v_cmpx_ne_u32_e32 0x7f, v14
	s_cbranch_execz .LBB187_976
; %bb.973:                              ;   in Loop: Header=BB187_809 Depth=1
	v_mov_b32_e32 v6, 7
	v_lshrrev_b32_e32 v8, 3, v14
	s_mov_b32 s21, exec_lo
	v_and_b32_sdwa v6, v13, v6 dst_sel:DWORD dst_unused:UNUSED_PAD src0_sel:BYTE_3 src1_sel:DWORD
	v_cmpx_gt_u32_e32 8, v14
; %bb.974:                              ;   in Loop: Header=BB187_809 Depth=1
	v_ffbh_u32_e32 v8, v6
	v_min_u32_e32 v8, 32, v8
	v_subrev_nc_u32_e32 v10, 28, v8
	v_sub_nc_u32_e32 v8, 29, v8
	v_lshlrev_b64 v[10:11], v10, v[6:7]
	v_and_b32_e32 v6, 7, v10
; %bb.975:                              ;   in Loop: Header=BB187_809 Depth=1
	s_or_b32 exec_lo, exec_lo, s21
	v_mov_b32_e32 v10, 24
	v_lshlrev_b32_e32 v6, 20, v6
	v_lshl_add_u32 v8, v8, 23, 0x3c000000
	v_lshlrev_b32_sdwa v10, v10, v13 dst_sel:DWORD dst_unused:UNUSED_PAD src0_sel:DWORD src1_sel:BYTE_3
	v_and_b32_e32 v10, 0x80000000, v10
	v_or3_b32 v11, v6, v10, v8
	v_mov_b32_e32 v10, v7
.LBB187_976:                            ;   in Loop: Header=BB187_809 Depth=1
	s_or_b32 exec_lo, exec_lo, s20
.LBB187_977:                            ;   in Loop: Header=BB187_809 Depth=1
	s_or_b32 exec_lo, exec_lo, s17
.LBB187_978:                            ;   in Loop: Header=BB187_809 Depth=1
	s_or_b32 exec_lo, exec_lo, s15
	v_or_b32_e32 v6, v18, v16
	v_or_b32_e32 v8, v17, v15
	;; [unrolled: 1-line block ×4, first 2 shown]
	v_mul_f32_e32 v56, v87, v6
	v_mul_f32_e32 v46, v87, v8
	;; [unrolled: 1-line block ×4, first 2 shown]
	s_and_saveexec_b32 s15, vcc_lo
	s_cbranch_execz .LBB187_980
; %bb.979:                              ;   in Loop: Header=BB187_809 Depth=1
	v_cmp_lt_i32_e64 s4, v100, v79
	v_cndmask_b32_e64 v46, 0, v46, s4
	v_cmp_lt_i32_e64 s4, v103, v79
	v_cndmask_b32_e64 v56, 0, v56, s4
	;; [unrolled: 2-line block ×4, first 2 shown]
.LBB187_980:                            ;   in Loop: Header=BB187_809 Depth=1
	s_or_b32 exec_lo, exec_lo, s15
	flat_load_dword v13, v[0:1] offset:640
	v_mov_b32_e32 v17, 0
	v_mov_b32_e32 v15, 0
	;; [unrolled: 1-line block ×4, first 2 shown]
	s_waitcnt vmcnt(0) lgkmcnt(0)
	v_cmp_ne_u16_sdwa s4, v13, v7 src0_sel:BYTE_0 src1_sel:DWORD
	s_and_saveexec_b32 s15, s4
	s_cbranch_execz .LBB187_988
; %bb.981:                              ;   in Loop: Header=BB187_809 Depth=1
	v_bfrev_b32_e32 v15, 1
	v_mov_b32_e32 v16, 0
	v_cmp_ne_u16_sdwa s4, v13, v71 src0_sel:BYTE_0 src1_sel:DWORD
	s_and_saveexec_b32 s17, s4
	s_cbranch_execz .LBB187_987
; %bb.982:                              ;   in Loop: Header=BB187_809 Depth=1
	v_mov_b32_e32 v15, 0x7f800001
	v_and_b32_e32 v10, 0x7f, v13
	v_mov_b32_e32 v16, 0
	s_mov_b32 s20, exec_lo
	v_cmpx_ne_u32_e32 0x7f, v10
	s_cbranch_execz .LBB187_986
; %bb.983:                              ;   in Loop: Header=BB187_809 Depth=1
	v_and_b32_e32 v6, 7, v13
	v_lshrrev_b32_e32 v8, 3, v10
	s_mov_b32 s21, exec_lo
	v_cmpx_gt_u32_e32 8, v10
; %bb.984:                              ;   in Loop: Header=BB187_809 Depth=1
	v_ffbh_u32_e32 v8, v6
	v_min_u32_e32 v8, 32, v8
	v_subrev_nc_u32_e32 v10, 28, v8
	v_sub_nc_u32_e32 v8, 29, v8
	v_lshlrev_b64 v[10:11], v10, v[6:7]
	v_and_b32_e32 v6, 7, v10
; %bb.985:                              ;   in Loop: Header=BB187_809 Depth=1
	s_or_b32 exec_lo, exec_lo, s21
	v_lshlrev_b32_e32 v10, 24, v13
	v_lshlrev_b32_e32 v6, 20, v6
	v_lshl_add_u32 v8, v8, 23, 0x3c000000
	v_and_b32_e32 v10, 0x80000000, v10
	v_or3_b32 v6, v6, v10, v8
	v_mov_b32_e32 v16, v7
	v_mov_b32_e32 v15, v6
.LBB187_986:                            ;   in Loop: Header=BB187_809 Depth=1
	s_or_b32 exec_lo, exec_lo, s20
.LBB187_987:                            ;   in Loop: Header=BB187_809 Depth=1
	s_or_b32 exec_lo, exec_lo, s17
.LBB187_988:                            ;   in Loop: Header=BB187_809 Depth=1
	s_or_b32 exec_lo, exec_lo, s15
	v_cmp_ne_u16_sdwa s4, v13, v7 src0_sel:BYTE_1 src1_sel:DWORD
	s_and_saveexec_b32 s15, s4
	s_cbranch_execz .LBB187_996
; %bb.989:                              ;   in Loop: Header=BB187_809 Depth=1
	v_mov_b32_e32 v8, v7
	v_mov_b32_e32 v18, v9
	v_cmp_ne_u16_sdwa s4, v13, v71 src0_sel:BYTE_1 src1_sel:DWORD
	v_mov_b32_e32 v17, v8
	s_and_saveexec_b32 s17, s4
	s_cbranch_execz .LBB187_995
; %bb.990:                              ;   in Loop: Header=BB187_809 Depth=1
	v_mov_b32_e32 v6, 0xffff
	v_mov_b32_e32 v11, v7
	;; [unrolled: 1-line block ×3, first 2 shown]
	s_mov_b32 s20, exec_lo
	v_and_b32_sdwa v6, v6, v13 dst_sel:DWORD dst_unused:UNUSED_PAD src0_sel:DWORD src1_sel:BYTE_1
	v_mov_b32_e32 v17, v11
	v_and_b32_e32 v10, 0x7f, v6
	v_cmpx_ne_u32_e32 0x7f, v10
	s_cbranch_execz .LBB187_994
; %bb.991:                              ;   in Loop: Header=BB187_809 Depth=1
	v_and_b32_e32 v6, 7, v6
	v_lshrrev_b32_e32 v8, 3, v10
	s_mov_b32 s21, exec_lo
	v_cmpx_gt_u32_e32 8, v10
; %bb.992:                              ;   in Loop: Header=BB187_809 Depth=1
	v_ffbh_u32_e32 v8, v6
	v_min_u32_e32 v8, 32, v8
	v_subrev_nc_u32_e32 v10, 28, v8
	v_sub_nc_u32_e32 v8, 29, v8
	v_lshlrev_b64 v[10:11], v10, v[6:7]
	v_and_b32_e32 v6, 7, v10
; %bb.993:                              ;   in Loop: Header=BB187_809 Depth=1
	s_or_b32 exec_lo, exec_lo, s21
	v_lshlrev_b32_e32 v10, 16, v13
	v_lshlrev_b32_e32 v6, 20, v6
	v_lshl_add_u32 v8, v8, 23, 0x3c000000
	v_mov_b32_e32 v17, v7
	v_and_b32_e32 v10, 0x80000000, v10
	v_or3_b32 v18, v6, v10, v8
.LBB187_994:                            ;   in Loop: Header=BB187_809 Depth=1
	s_or_b32 exec_lo, exec_lo, s20
.LBB187_995:                            ;   in Loop: Header=BB187_809 Depth=1
	s_or_b32 exec_lo, exec_lo, s17
.LBB187_996:                            ;   in Loop: Header=BB187_809 Depth=1
	s_or_b32 exec_lo, exec_lo, s15
	v_mov_b32_e32 v10, 0
	v_mov_b32_e32 v21, 0
	v_and_b32_sdwa v6, v13, v81 dst_sel:DWORD dst_unused:UNUSED_PAD src0_sel:WORD_1 src1_sel:DWORD
	v_mov_b32_e32 v11, 0
	v_mov_b32_e32 v22, 0
	s_mov_b32 s15, exec_lo
	v_cmpx_ne_u16_e32 0, v6
	s_cbranch_execz .LBB187_1004
; %bb.997:                              ;   in Loop: Header=BB187_809 Depth=1
	v_bfrev_b32_e32 v21, 1
	v_mov_b32_e32 v22, 0
	s_mov_b32 s17, exec_lo
	v_cmpx_ne_u16_e32 0x80, v6
	s_cbranch_execz .LBB187_1003
; %bb.998:                              ;   in Loop: Header=BB187_809 Depth=1
	v_mov_b32_e32 v21, 0x7f800001
	v_bfe_u32 v14, v13, 16, 7
	v_mov_b32_e32 v22, 0
	s_mov_b32 s20, exec_lo
	v_cmpx_ne_u32_e32 0x7f, v14
	s_cbranch_execz .LBB187_1002
; %bb.999:                              ;   in Loop: Header=BB187_809 Depth=1
	v_mov_b32_e32 v6, 7
	v_lshrrev_b32_e32 v8, 3, v14
	s_mov_b32 s21, exec_lo
	v_and_b32_sdwa v6, v13, v6 dst_sel:DWORD dst_unused:UNUSED_PAD src0_sel:WORD_1 src1_sel:DWORD
	v_cmpx_gt_u32_e32 8, v14
; %bb.1000:                             ;   in Loop: Header=BB187_809 Depth=1
	v_ffbh_u32_e32 v8, v6
	v_min_u32_e32 v8, 32, v8
	v_subrev_nc_u32_e32 v14, 28, v8
	v_sub_nc_u32_e32 v8, 29, v8
	v_lshlrev_b64 v[21:22], v14, v[6:7]
	v_and_b32_e32 v6, 7, v21
; %bb.1001:                             ;   in Loop: Header=BB187_809 Depth=1
	s_or_b32 exec_lo, exec_lo, s21
	v_mov_b32_e32 v14, 24
	v_lshlrev_b32_e32 v6, 20, v6
	v_lshl_add_u32 v8, v8, 23, 0x3c000000
	v_lshlrev_b32_sdwa v14, v14, v13 dst_sel:DWORD dst_unused:UNUSED_PAD src0_sel:DWORD src1_sel:WORD_1
	v_and_b32_e32 v14, 0x80000000, v14
	v_or3_b32 v6, v6, v14, v8
	v_mov_b32_e32 v22, v7
	v_mov_b32_e32 v21, v6
.LBB187_1002:                           ;   in Loop: Header=BB187_809 Depth=1
	s_or_b32 exec_lo, exec_lo, s20
.LBB187_1003:                           ;   in Loop: Header=BB187_809 Depth=1
	s_or_b32 exec_lo, exec_lo, s17
.LBB187_1004:                           ;   in Loop: Header=BB187_809 Depth=1
	s_or_b32 exec_lo, exec_lo, s15
	s_mov_b32 s15, exec_lo
	v_cmpx_lt_u32_e32 0xffffff, v13
	s_cbranch_execz .LBB187_1012
; %bb.1005:                             ;   in Loop: Header=BB187_809 Depth=1
	v_mov_b32_e32 v8, v7
	v_mov_b32_e32 v11, v9
	v_cmp_ne_u32_sdwa s4, v13, v71 src0_sel:BYTE_3 src1_sel:DWORD
	v_mov_b32_e32 v10, v8
	s_and_saveexec_b32 s17, s4
	s_cbranch_execz .LBB187_1011
; %bb.1006:                             ;   in Loop: Header=BB187_809 Depth=1
	v_mov_b32_e32 v11, v7
	v_bfe_u32 v14, v13, 24, 7
	s_mov_b32 s20, exec_lo
	v_mov_b32_e32 v10, v11
	v_mov_b32_e32 v11, v12
	v_cmpx_ne_u32_e32 0x7f, v14
	s_cbranch_execz .LBB187_1010
; %bb.1007:                             ;   in Loop: Header=BB187_809 Depth=1
	v_mov_b32_e32 v6, 7
	v_lshrrev_b32_e32 v8, 3, v14
	s_mov_b32 s21, exec_lo
	v_and_b32_sdwa v6, v13, v6 dst_sel:DWORD dst_unused:UNUSED_PAD src0_sel:BYTE_3 src1_sel:DWORD
	v_cmpx_gt_u32_e32 8, v14
; %bb.1008:                             ;   in Loop: Header=BB187_809 Depth=1
	v_ffbh_u32_e32 v8, v6
	v_min_u32_e32 v8, 32, v8
	v_subrev_nc_u32_e32 v10, 28, v8
	v_sub_nc_u32_e32 v8, 29, v8
	v_lshlrev_b64 v[10:11], v10, v[6:7]
	v_and_b32_e32 v6, 7, v10
; %bb.1009:                             ;   in Loop: Header=BB187_809 Depth=1
	s_or_b32 exec_lo, exec_lo, s21
	v_mov_b32_e32 v10, 24
	v_lshlrev_b32_e32 v6, 20, v6
	v_lshl_add_u32 v8, v8, 23, 0x3c000000
	v_lshlrev_b32_sdwa v10, v10, v13 dst_sel:DWORD dst_unused:UNUSED_PAD src0_sel:DWORD src1_sel:BYTE_3
	v_and_b32_e32 v10, 0x80000000, v10
	v_or3_b32 v11, v6, v10, v8
	v_mov_b32_e32 v10, v7
.LBB187_1010:                           ;   in Loop: Header=BB187_809 Depth=1
	s_or_b32 exec_lo, exec_lo, s20
.LBB187_1011:                           ;   in Loop: Header=BB187_809 Depth=1
	s_or_b32 exec_lo, exec_lo, s17
.LBB187_1012:                           ;   in Loop: Header=BB187_809 Depth=1
	s_or_b32 exec_lo, exec_lo, s15
	v_or_b32_e32 v6, v18, v16
	v_or_b32_e32 v8, v17, v15
	;; [unrolled: 1-line block ×4, first 2 shown]
	v_mul_f32_e32 v60, v87, v6
	v_mul_f32_e32 v59, v87, v8
	;; [unrolled: 1-line block ×4, first 2 shown]
	s_and_saveexec_b32 s15, vcc_lo
	s_cbranch_execz .LBB187_1014
; %bb.1013:                             ;   in Loop: Header=BB187_809 Depth=1
	v_cmp_lt_i32_e64 s4, v100, v79
	v_cndmask_b32_e64 v59, 0, v59, s4
	v_cmp_lt_i32_e64 s4, v103, v79
	v_cndmask_b32_e64 v60, 0, v60, s4
	;; [unrolled: 2-line block ×4, first 2 shown]
.LBB187_1014:                           ;   in Loop: Header=BB187_809 Depth=1
	s_or_b32 exec_lo, exec_lo, s15
	flat_load_dword v13, v[0:1] offset:768
	v_mov_b32_e32 v17, 0
	v_mov_b32_e32 v15, 0
	;; [unrolled: 1-line block ×4, first 2 shown]
	s_waitcnt vmcnt(0) lgkmcnt(0)
	v_cmp_ne_u16_sdwa s4, v13, v7 src0_sel:BYTE_0 src1_sel:DWORD
	s_and_saveexec_b32 s15, s4
	s_cbranch_execz .LBB187_1022
; %bb.1015:                             ;   in Loop: Header=BB187_809 Depth=1
	v_bfrev_b32_e32 v15, 1
	v_mov_b32_e32 v16, 0
	v_cmp_ne_u16_sdwa s4, v13, v71 src0_sel:BYTE_0 src1_sel:DWORD
	s_and_saveexec_b32 s17, s4
	s_cbranch_execz .LBB187_1021
; %bb.1016:                             ;   in Loop: Header=BB187_809 Depth=1
	v_mov_b32_e32 v15, 0x7f800001
	v_and_b32_e32 v10, 0x7f, v13
	v_mov_b32_e32 v16, 0
	s_mov_b32 s20, exec_lo
	v_cmpx_ne_u32_e32 0x7f, v10
	s_cbranch_execz .LBB187_1020
; %bb.1017:                             ;   in Loop: Header=BB187_809 Depth=1
	v_and_b32_e32 v6, 7, v13
	v_lshrrev_b32_e32 v8, 3, v10
	s_mov_b32 s21, exec_lo
	v_cmpx_gt_u32_e32 8, v10
; %bb.1018:                             ;   in Loop: Header=BB187_809 Depth=1
	v_ffbh_u32_e32 v8, v6
	v_min_u32_e32 v8, 32, v8
	v_subrev_nc_u32_e32 v10, 28, v8
	v_sub_nc_u32_e32 v8, 29, v8
	v_lshlrev_b64 v[10:11], v10, v[6:7]
	v_and_b32_e32 v6, 7, v10
; %bb.1019:                             ;   in Loop: Header=BB187_809 Depth=1
	s_or_b32 exec_lo, exec_lo, s21
	v_lshlrev_b32_e32 v10, 24, v13
	v_lshlrev_b32_e32 v6, 20, v6
	v_lshl_add_u32 v8, v8, 23, 0x3c000000
	v_and_b32_e32 v10, 0x80000000, v10
	v_or3_b32 v6, v6, v10, v8
	v_mov_b32_e32 v16, v7
	v_mov_b32_e32 v15, v6
.LBB187_1020:                           ;   in Loop: Header=BB187_809 Depth=1
	s_or_b32 exec_lo, exec_lo, s20
.LBB187_1021:                           ;   in Loop: Header=BB187_809 Depth=1
	s_or_b32 exec_lo, exec_lo, s17
.LBB187_1022:                           ;   in Loop: Header=BB187_809 Depth=1
	s_or_b32 exec_lo, exec_lo, s15
	v_cmp_ne_u16_sdwa s4, v13, v7 src0_sel:BYTE_1 src1_sel:DWORD
	s_and_saveexec_b32 s15, s4
	s_cbranch_execz .LBB187_1030
; %bb.1023:                             ;   in Loop: Header=BB187_809 Depth=1
	v_mov_b32_e32 v8, v7
	v_mov_b32_e32 v18, v9
	v_cmp_ne_u16_sdwa s4, v13, v71 src0_sel:BYTE_1 src1_sel:DWORD
	v_mov_b32_e32 v17, v8
	s_and_saveexec_b32 s17, s4
	s_cbranch_execz .LBB187_1029
; %bb.1024:                             ;   in Loop: Header=BB187_809 Depth=1
	v_mov_b32_e32 v6, 0xffff
	v_mov_b32_e32 v11, v7
	;; [unrolled: 1-line block ×3, first 2 shown]
	s_mov_b32 s20, exec_lo
	v_and_b32_sdwa v6, v6, v13 dst_sel:DWORD dst_unused:UNUSED_PAD src0_sel:DWORD src1_sel:BYTE_1
	v_mov_b32_e32 v17, v11
	v_and_b32_e32 v10, 0x7f, v6
	v_cmpx_ne_u32_e32 0x7f, v10
	s_cbranch_execz .LBB187_1028
; %bb.1025:                             ;   in Loop: Header=BB187_809 Depth=1
	v_and_b32_e32 v6, 7, v6
	v_lshrrev_b32_e32 v8, 3, v10
	s_mov_b32 s21, exec_lo
	v_cmpx_gt_u32_e32 8, v10
; %bb.1026:                             ;   in Loop: Header=BB187_809 Depth=1
	v_ffbh_u32_e32 v8, v6
	v_min_u32_e32 v8, 32, v8
	v_subrev_nc_u32_e32 v10, 28, v8
	v_sub_nc_u32_e32 v8, 29, v8
	v_lshlrev_b64 v[10:11], v10, v[6:7]
	v_and_b32_e32 v6, 7, v10
; %bb.1027:                             ;   in Loop: Header=BB187_809 Depth=1
	s_or_b32 exec_lo, exec_lo, s21
	v_lshlrev_b32_e32 v10, 16, v13
	v_lshlrev_b32_e32 v6, 20, v6
	v_lshl_add_u32 v8, v8, 23, 0x3c000000
	v_mov_b32_e32 v17, v7
	v_and_b32_e32 v10, 0x80000000, v10
	v_or3_b32 v18, v6, v10, v8
.LBB187_1028:                           ;   in Loop: Header=BB187_809 Depth=1
	s_or_b32 exec_lo, exec_lo, s20
.LBB187_1029:                           ;   in Loop: Header=BB187_809 Depth=1
	s_or_b32 exec_lo, exec_lo, s17
.LBB187_1030:                           ;   in Loop: Header=BB187_809 Depth=1
	s_or_b32 exec_lo, exec_lo, s15
	v_mov_b32_e32 v10, 0
	v_mov_b32_e32 v21, 0
	v_and_b32_sdwa v6, v13, v81 dst_sel:DWORD dst_unused:UNUSED_PAD src0_sel:WORD_1 src1_sel:DWORD
	v_mov_b32_e32 v11, 0
	v_mov_b32_e32 v22, 0
	s_mov_b32 s15, exec_lo
	v_cmpx_ne_u16_e32 0, v6
	s_cbranch_execz .LBB187_1038
; %bb.1031:                             ;   in Loop: Header=BB187_809 Depth=1
	v_bfrev_b32_e32 v21, 1
	v_mov_b32_e32 v22, 0
	s_mov_b32 s17, exec_lo
	v_cmpx_ne_u16_e32 0x80, v6
	s_cbranch_execz .LBB187_1037
; %bb.1032:                             ;   in Loop: Header=BB187_809 Depth=1
	v_mov_b32_e32 v21, 0x7f800001
	v_bfe_u32 v14, v13, 16, 7
	v_mov_b32_e32 v22, 0
	s_mov_b32 s20, exec_lo
	v_cmpx_ne_u32_e32 0x7f, v14
	s_cbranch_execz .LBB187_1036
; %bb.1033:                             ;   in Loop: Header=BB187_809 Depth=1
	v_mov_b32_e32 v6, 7
	v_lshrrev_b32_e32 v8, 3, v14
	s_mov_b32 s21, exec_lo
	v_and_b32_sdwa v6, v13, v6 dst_sel:DWORD dst_unused:UNUSED_PAD src0_sel:WORD_1 src1_sel:DWORD
	v_cmpx_gt_u32_e32 8, v14
; %bb.1034:                             ;   in Loop: Header=BB187_809 Depth=1
	v_ffbh_u32_e32 v8, v6
	v_min_u32_e32 v8, 32, v8
	v_subrev_nc_u32_e32 v14, 28, v8
	v_sub_nc_u32_e32 v8, 29, v8
	v_lshlrev_b64 v[21:22], v14, v[6:7]
	v_and_b32_e32 v6, 7, v21
; %bb.1035:                             ;   in Loop: Header=BB187_809 Depth=1
	s_or_b32 exec_lo, exec_lo, s21
	v_mov_b32_e32 v14, 24
	v_lshlrev_b32_e32 v6, 20, v6
	v_lshl_add_u32 v8, v8, 23, 0x3c000000
	v_lshlrev_b32_sdwa v14, v14, v13 dst_sel:DWORD dst_unused:UNUSED_PAD src0_sel:DWORD src1_sel:WORD_1
	v_and_b32_e32 v14, 0x80000000, v14
	v_or3_b32 v6, v6, v14, v8
	v_mov_b32_e32 v22, v7
	v_mov_b32_e32 v21, v6
.LBB187_1036:                           ;   in Loop: Header=BB187_809 Depth=1
	s_or_b32 exec_lo, exec_lo, s20
.LBB187_1037:                           ;   in Loop: Header=BB187_809 Depth=1
	s_or_b32 exec_lo, exec_lo, s17
.LBB187_1038:                           ;   in Loop: Header=BB187_809 Depth=1
	s_or_b32 exec_lo, exec_lo, s15
	s_mov_b32 s15, exec_lo
	v_cmpx_lt_u32_e32 0xffffff, v13
	s_cbranch_execz .LBB187_1046
; %bb.1039:                             ;   in Loop: Header=BB187_809 Depth=1
	v_mov_b32_e32 v8, v7
	v_mov_b32_e32 v11, v9
	v_cmp_ne_u32_sdwa s4, v13, v71 src0_sel:BYTE_3 src1_sel:DWORD
	v_mov_b32_e32 v10, v8
	s_and_saveexec_b32 s17, s4
	s_cbranch_execz .LBB187_1045
; %bb.1040:                             ;   in Loop: Header=BB187_809 Depth=1
	v_mov_b32_e32 v11, v7
	v_bfe_u32 v14, v13, 24, 7
	s_mov_b32 s20, exec_lo
	v_mov_b32_e32 v10, v11
	v_mov_b32_e32 v11, v12
	v_cmpx_ne_u32_e32 0x7f, v14
	s_cbranch_execz .LBB187_1044
; %bb.1041:                             ;   in Loop: Header=BB187_809 Depth=1
	v_mov_b32_e32 v6, 7
	v_lshrrev_b32_e32 v8, 3, v14
	s_mov_b32 s21, exec_lo
	v_and_b32_sdwa v6, v13, v6 dst_sel:DWORD dst_unused:UNUSED_PAD src0_sel:BYTE_3 src1_sel:DWORD
	v_cmpx_gt_u32_e32 8, v14
; %bb.1042:                             ;   in Loop: Header=BB187_809 Depth=1
	v_ffbh_u32_e32 v8, v6
	v_min_u32_e32 v8, 32, v8
	v_subrev_nc_u32_e32 v10, 28, v8
	v_sub_nc_u32_e32 v8, 29, v8
	v_lshlrev_b64 v[10:11], v10, v[6:7]
	v_and_b32_e32 v6, 7, v10
; %bb.1043:                             ;   in Loop: Header=BB187_809 Depth=1
	s_or_b32 exec_lo, exec_lo, s21
	v_mov_b32_e32 v10, 24
	v_lshlrev_b32_e32 v6, 20, v6
	v_lshl_add_u32 v8, v8, 23, 0x3c000000
	v_lshlrev_b32_sdwa v10, v10, v13 dst_sel:DWORD dst_unused:UNUSED_PAD src0_sel:DWORD src1_sel:BYTE_3
	v_and_b32_e32 v10, 0x80000000, v10
	v_or3_b32 v11, v6, v10, v8
	v_mov_b32_e32 v10, v7
.LBB187_1044:                           ;   in Loop: Header=BB187_809 Depth=1
	s_or_b32 exec_lo, exec_lo, s20
.LBB187_1045:                           ;   in Loop: Header=BB187_809 Depth=1
	s_or_b32 exec_lo, exec_lo, s17
.LBB187_1046:                           ;   in Loop: Header=BB187_809 Depth=1
	s_or_b32 exec_lo, exec_lo, s15
	v_or_b32_e32 v6, v18, v16
	v_or_b32_e32 v8, v17, v15
	;; [unrolled: 1-line block ×4, first 2 shown]
	v_mul_f32_e32 v72, v87, v6
	v_mul_f32_e32 v63, v87, v8
	;; [unrolled: 1-line block ×4, first 2 shown]
	s_and_saveexec_b32 s15, vcc_lo
	s_cbranch_execz .LBB187_1048
; %bb.1047:                             ;   in Loop: Header=BB187_809 Depth=1
	v_cmp_lt_i32_e64 s4, v100, v79
	v_cndmask_b32_e64 v63, 0, v63, s4
	v_cmp_lt_i32_e64 s4, v103, v79
	v_cndmask_b32_e64 v72, 0, v72, s4
	;; [unrolled: 2-line block ×4, first 2 shown]
.LBB187_1048:                           ;   in Loop: Header=BB187_809 Depth=1
	s_or_b32 exec_lo, exec_lo, s15
	flat_load_dword v13, v[0:1] offset:896
	v_mov_b32_e32 v17, 0
	v_mov_b32_e32 v15, 0
	v_mov_b32_e32 v18, 0
	v_mov_b32_e32 v16, 0
	s_waitcnt vmcnt(0) lgkmcnt(0)
	v_cmp_ne_u16_sdwa s4, v13, v7 src0_sel:BYTE_0 src1_sel:DWORD
	s_and_saveexec_b32 s15, s4
	s_cbranch_execz .LBB187_1056
; %bb.1049:                             ;   in Loop: Header=BB187_809 Depth=1
	v_bfrev_b32_e32 v15, 1
	v_mov_b32_e32 v16, 0
	v_cmp_ne_u16_sdwa s4, v13, v71 src0_sel:BYTE_0 src1_sel:DWORD
	s_and_saveexec_b32 s17, s4
	s_cbranch_execz .LBB187_1055
; %bb.1050:                             ;   in Loop: Header=BB187_809 Depth=1
	v_mov_b32_e32 v15, 0x7f800001
	v_and_b32_e32 v10, 0x7f, v13
	v_mov_b32_e32 v16, 0
	s_mov_b32 s20, exec_lo
	v_cmpx_ne_u32_e32 0x7f, v10
	s_cbranch_execz .LBB187_1054
; %bb.1051:                             ;   in Loop: Header=BB187_809 Depth=1
	v_and_b32_e32 v6, 7, v13
	v_lshrrev_b32_e32 v8, 3, v10
	s_mov_b32 s21, exec_lo
	v_cmpx_gt_u32_e32 8, v10
; %bb.1052:                             ;   in Loop: Header=BB187_809 Depth=1
	v_ffbh_u32_e32 v8, v6
	v_min_u32_e32 v8, 32, v8
	v_subrev_nc_u32_e32 v10, 28, v8
	v_sub_nc_u32_e32 v8, 29, v8
	v_lshlrev_b64 v[10:11], v10, v[6:7]
	v_and_b32_e32 v6, 7, v10
; %bb.1053:                             ;   in Loop: Header=BB187_809 Depth=1
	s_or_b32 exec_lo, exec_lo, s21
	v_lshlrev_b32_e32 v10, 24, v13
	v_lshlrev_b32_e32 v6, 20, v6
	v_lshl_add_u32 v8, v8, 23, 0x3c000000
	v_and_b32_e32 v10, 0x80000000, v10
	v_or3_b32 v6, v6, v10, v8
	v_mov_b32_e32 v16, v7
	v_mov_b32_e32 v15, v6
.LBB187_1054:                           ;   in Loop: Header=BB187_809 Depth=1
	s_or_b32 exec_lo, exec_lo, s20
.LBB187_1055:                           ;   in Loop: Header=BB187_809 Depth=1
	s_or_b32 exec_lo, exec_lo, s17
.LBB187_1056:                           ;   in Loop: Header=BB187_809 Depth=1
	s_or_b32 exec_lo, exec_lo, s15
	v_cmp_ne_u16_sdwa s4, v13, v7 src0_sel:BYTE_1 src1_sel:DWORD
	s_and_saveexec_b32 s15, s4
	s_cbranch_execz .LBB187_1064
; %bb.1057:                             ;   in Loop: Header=BB187_809 Depth=1
	v_mov_b32_e32 v8, v7
	v_mov_b32_e32 v18, v9
	v_cmp_ne_u16_sdwa s4, v13, v71 src0_sel:BYTE_1 src1_sel:DWORD
	v_mov_b32_e32 v17, v8
	s_and_saveexec_b32 s17, s4
	s_cbranch_execz .LBB187_1063
; %bb.1058:                             ;   in Loop: Header=BB187_809 Depth=1
	v_mov_b32_e32 v6, 0xffff
	v_mov_b32_e32 v11, v7
	v_mov_b32_e32 v18, v12
	s_mov_b32 s20, exec_lo
	v_and_b32_sdwa v6, v6, v13 dst_sel:DWORD dst_unused:UNUSED_PAD src0_sel:DWORD src1_sel:BYTE_1
	v_mov_b32_e32 v17, v11
	v_and_b32_e32 v10, 0x7f, v6
	v_cmpx_ne_u32_e32 0x7f, v10
	s_cbranch_execz .LBB187_1062
; %bb.1059:                             ;   in Loop: Header=BB187_809 Depth=1
	v_and_b32_e32 v6, 7, v6
	v_lshrrev_b32_e32 v8, 3, v10
	s_mov_b32 s21, exec_lo
	v_cmpx_gt_u32_e32 8, v10
; %bb.1060:                             ;   in Loop: Header=BB187_809 Depth=1
	v_ffbh_u32_e32 v8, v6
	v_min_u32_e32 v8, 32, v8
	v_subrev_nc_u32_e32 v10, 28, v8
	v_sub_nc_u32_e32 v8, 29, v8
	v_lshlrev_b64 v[10:11], v10, v[6:7]
	v_and_b32_e32 v6, 7, v10
; %bb.1061:                             ;   in Loop: Header=BB187_809 Depth=1
	s_or_b32 exec_lo, exec_lo, s21
	v_lshlrev_b32_e32 v10, 16, v13
	v_lshlrev_b32_e32 v6, 20, v6
	v_lshl_add_u32 v8, v8, 23, 0x3c000000
	v_mov_b32_e32 v17, v7
	v_and_b32_e32 v10, 0x80000000, v10
	v_or3_b32 v18, v6, v10, v8
.LBB187_1062:                           ;   in Loop: Header=BB187_809 Depth=1
	s_or_b32 exec_lo, exec_lo, s20
.LBB187_1063:                           ;   in Loop: Header=BB187_809 Depth=1
	s_or_b32 exec_lo, exec_lo, s17
.LBB187_1064:                           ;   in Loop: Header=BB187_809 Depth=1
	s_or_b32 exec_lo, exec_lo, s15
	v_mov_b32_e32 v10, 0
	v_mov_b32_e32 v21, 0
	v_and_b32_sdwa v6, v13, v81 dst_sel:DWORD dst_unused:UNUSED_PAD src0_sel:WORD_1 src1_sel:DWORD
	v_mov_b32_e32 v11, 0
	v_mov_b32_e32 v22, 0
	s_mov_b32 s15, exec_lo
	v_cmpx_ne_u16_e32 0, v6
	s_cbranch_execz .LBB187_1072
; %bb.1065:                             ;   in Loop: Header=BB187_809 Depth=1
	v_bfrev_b32_e32 v21, 1
	v_mov_b32_e32 v22, 0
	s_mov_b32 s17, exec_lo
	v_cmpx_ne_u16_e32 0x80, v6
	s_cbranch_execz .LBB187_1071
; %bb.1066:                             ;   in Loop: Header=BB187_809 Depth=1
	v_mov_b32_e32 v21, 0x7f800001
	v_bfe_u32 v14, v13, 16, 7
	v_mov_b32_e32 v22, 0
	s_mov_b32 s20, exec_lo
	v_cmpx_ne_u32_e32 0x7f, v14
	s_cbranch_execz .LBB187_1070
; %bb.1067:                             ;   in Loop: Header=BB187_809 Depth=1
	v_mov_b32_e32 v6, 7
	v_lshrrev_b32_e32 v8, 3, v14
	s_mov_b32 s21, exec_lo
	v_and_b32_sdwa v6, v13, v6 dst_sel:DWORD dst_unused:UNUSED_PAD src0_sel:WORD_1 src1_sel:DWORD
	v_cmpx_gt_u32_e32 8, v14
; %bb.1068:                             ;   in Loop: Header=BB187_809 Depth=1
	v_ffbh_u32_e32 v8, v6
	v_min_u32_e32 v8, 32, v8
	v_subrev_nc_u32_e32 v14, 28, v8
	v_sub_nc_u32_e32 v8, 29, v8
	v_lshlrev_b64 v[21:22], v14, v[6:7]
	v_and_b32_e32 v6, 7, v21
; %bb.1069:                             ;   in Loop: Header=BB187_809 Depth=1
	s_or_b32 exec_lo, exec_lo, s21
	v_mov_b32_e32 v14, 24
	v_lshlrev_b32_e32 v6, 20, v6
	v_lshl_add_u32 v8, v8, 23, 0x3c000000
	v_lshlrev_b32_sdwa v14, v14, v13 dst_sel:DWORD dst_unused:UNUSED_PAD src0_sel:DWORD src1_sel:WORD_1
	v_and_b32_e32 v14, 0x80000000, v14
	v_or3_b32 v6, v6, v14, v8
	v_mov_b32_e32 v22, v7
	v_mov_b32_e32 v21, v6
.LBB187_1070:                           ;   in Loop: Header=BB187_809 Depth=1
	s_or_b32 exec_lo, exec_lo, s20
.LBB187_1071:                           ;   in Loop: Header=BB187_809 Depth=1
	s_or_b32 exec_lo, exec_lo, s17
.LBB187_1072:                           ;   in Loop: Header=BB187_809 Depth=1
	s_or_b32 exec_lo, exec_lo, s15
	s_mov_b32 s15, exec_lo
	v_cmpx_lt_u32_e32 0xffffff, v13
	s_cbranch_execz .LBB187_1080
; %bb.1073:                             ;   in Loop: Header=BB187_809 Depth=1
	v_mov_b32_e32 v8, v7
	v_mov_b32_e32 v11, v9
	v_cmp_ne_u32_sdwa s4, v13, v71 src0_sel:BYTE_3 src1_sel:DWORD
	v_mov_b32_e32 v10, v8
	s_and_saveexec_b32 s17, s4
	s_cbranch_execz .LBB187_1079
; %bb.1074:                             ;   in Loop: Header=BB187_809 Depth=1
	v_mov_b32_e32 v11, v7
	v_bfe_u32 v14, v13, 24, 7
	s_mov_b32 s20, exec_lo
	v_mov_b32_e32 v10, v11
	v_mov_b32_e32 v11, v12
	v_cmpx_ne_u32_e32 0x7f, v14
	s_cbranch_execz .LBB187_1078
; %bb.1075:                             ;   in Loop: Header=BB187_809 Depth=1
	v_mov_b32_e32 v6, 7
	v_lshrrev_b32_e32 v8, 3, v14
	s_mov_b32 s21, exec_lo
	v_and_b32_sdwa v6, v13, v6 dst_sel:DWORD dst_unused:UNUSED_PAD src0_sel:BYTE_3 src1_sel:DWORD
	v_cmpx_gt_u32_e32 8, v14
; %bb.1076:                             ;   in Loop: Header=BB187_809 Depth=1
	v_ffbh_u32_e32 v8, v6
	v_min_u32_e32 v8, 32, v8
	v_subrev_nc_u32_e32 v10, 28, v8
	v_sub_nc_u32_e32 v8, 29, v8
	v_lshlrev_b64 v[10:11], v10, v[6:7]
	v_and_b32_e32 v6, 7, v10
; %bb.1077:                             ;   in Loop: Header=BB187_809 Depth=1
	s_or_b32 exec_lo, exec_lo, s21
	v_mov_b32_e32 v10, 24
	v_lshlrev_b32_e32 v6, 20, v6
	v_lshl_add_u32 v8, v8, 23, 0x3c000000
	v_lshlrev_b32_sdwa v10, v10, v13 dst_sel:DWORD dst_unused:UNUSED_PAD src0_sel:DWORD src1_sel:BYTE_3
	v_and_b32_e32 v10, 0x80000000, v10
	v_or3_b32 v11, v6, v10, v8
	v_mov_b32_e32 v10, v7
.LBB187_1078:                           ;   in Loop: Header=BB187_809 Depth=1
	s_or_b32 exec_lo, exec_lo, s20
.LBB187_1079:                           ;   in Loop: Header=BB187_809 Depth=1
	s_or_b32 exec_lo, exec_lo, s17
.LBB187_1080:                           ;   in Loop: Header=BB187_809 Depth=1
	s_or_b32 exec_lo, exec_lo, s15
	v_or_b32_e32 v6, v18, v16
	v_or_b32_e32 v8, v17, v15
	;; [unrolled: 1-line block ×4, first 2 shown]
	v_mul_f32_e32 v76, v87, v6
	v_mul_f32_e32 v75, v87, v8
	;; [unrolled: 1-line block ×4, first 2 shown]
	s_and_saveexec_b32 s15, vcc_lo
	s_cbranch_execz .LBB187_1082
; %bb.1081:                             ;   in Loop: Header=BB187_809 Depth=1
	v_cmp_lt_i32_e64 s4, v100, v79
	v_cndmask_b32_e64 v75, 0, v75, s4
	v_cmp_lt_i32_e64 s4, v103, v79
	v_cndmask_b32_e64 v76, 0, v76, s4
	;; [unrolled: 2-line block ×4, first 2 shown]
.LBB187_1082:                           ;   in Loop: Header=BB187_809 Depth=1
	s_or_b32 exec_lo, exec_lo, s15
	flat_load_dword v13, v[0:1] offset:1024
	v_mov_b32_e32 v17, 0
	v_mov_b32_e32 v15, 0
	;; [unrolled: 1-line block ×4, first 2 shown]
	s_waitcnt vmcnt(0) lgkmcnt(0)
	v_cmp_ne_u16_sdwa s4, v13, v7 src0_sel:BYTE_0 src1_sel:DWORD
	s_and_saveexec_b32 s15, s4
	s_cbranch_execz .LBB187_1090
; %bb.1083:                             ;   in Loop: Header=BB187_809 Depth=1
	v_bfrev_b32_e32 v15, 1
	v_mov_b32_e32 v16, 0
	v_cmp_ne_u16_sdwa s4, v13, v71 src0_sel:BYTE_0 src1_sel:DWORD
	s_and_saveexec_b32 s17, s4
	s_cbranch_execz .LBB187_1089
; %bb.1084:                             ;   in Loop: Header=BB187_809 Depth=1
	v_mov_b32_e32 v15, 0x7f800001
	v_and_b32_e32 v10, 0x7f, v13
	v_mov_b32_e32 v16, 0
	s_mov_b32 s20, exec_lo
	v_cmpx_ne_u32_e32 0x7f, v10
	s_cbranch_execz .LBB187_1088
; %bb.1085:                             ;   in Loop: Header=BB187_809 Depth=1
	v_and_b32_e32 v6, 7, v13
	v_lshrrev_b32_e32 v8, 3, v10
	s_mov_b32 s21, exec_lo
	v_cmpx_gt_u32_e32 8, v10
; %bb.1086:                             ;   in Loop: Header=BB187_809 Depth=1
	v_ffbh_u32_e32 v8, v6
	v_min_u32_e32 v8, 32, v8
	v_subrev_nc_u32_e32 v10, 28, v8
	v_sub_nc_u32_e32 v8, 29, v8
	v_lshlrev_b64 v[10:11], v10, v[6:7]
	v_and_b32_e32 v6, 7, v10
; %bb.1087:                             ;   in Loop: Header=BB187_809 Depth=1
	s_or_b32 exec_lo, exec_lo, s21
	v_lshlrev_b32_e32 v10, 24, v13
	v_lshlrev_b32_e32 v6, 20, v6
	v_lshl_add_u32 v8, v8, 23, 0x3c000000
	v_and_b32_e32 v10, 0x80000000, v10
	v_or3_b32 v6, v6, v10, v8
	v_mov_b32_e32 v16, v7
	v_mov_b32_e32 v15, v6
.LBB187_1088:                           ;   in Loop: Header=BB187_809 Depth=1
	s_or_b32 exec_lo, exec_lo, s20
.LBB187_1089:                           ;   in Loop: Header=BB187_809 Depth=1
	s_or_b32 exec_lo, exec_lo, s17
.LBB187_1090:                           ;   in Loop: Header=BB187_809 Depth=1
	s_or_b32 exec_lo, exec_lo, s15
	v_cmp_ne_u16_sdwa s4, v13, v7 src0_sel:BYTE_1 src1_sel:DWORD
	s_and_saveexec_b32 s15, s4
	s_cbranch_execz .LBB187_1098
; %bb.1091:                             ;   in Loop: Header=BB187_809 Depth=1
	v_mov_b32_e32 v8, v7
	v_mov_b32_e32 v18, v9
	v_cmp_ne_u16_sdwa s4, v13, v71 src0_sel:BYTE_1 src1_sel:DWORD
	v_mov_b32_e32 v17, v8
	s_and_saveexec_b32 s17, s4
	s_cbranch_execz .LBB187_1097
; %bb.1092:                             ;   in Loop: Header=BB187_809 Depth=1
	v_mov_b32_e32 v6, 0xffff
	v_mov_b32_e32 v11, v7
	;; [unrolled: 1-line block ×3, first 2 shown]
	s_mov_b32 s20, exec_lo
	v_and_b32_sdwa v6, v6, v13 dst_sel:DWORD dst_unused:UNUSED_PAD src0_sel:DWORD src1_sel:BYTE_1
	v_mov_b32_e32 v17, v11
	v_and_b32_e32 v10, 0x7f, v6
	v_cmpx_ne_u32_e32 0x7f, v10
	s_cbranch_execz .LBB187_1096
; %bb.1093:                             ;   in Loop: Header=BB187_809 Depth=1
	v_and_b32_e32 v6, 7, v6
	v_lshrrev_b32_e32 v8, 3, v10
	s_mov_b32 s21, exec_lo
	v_cmpx_gt_u32_e32 8, v10
; %bb.1094:                             ;   in Loop: Header=BB187_809 Depth=1
	v_ffbh_u32_e32 v8, v6
	v_min_u32_e32 v8, 32, v8
	v_subrev_nc_u32_e32 v10, 28, v8
	v_sub_nc_u32_e32 v8, 29, v8
	v_lshlrev_b64 v[10:11], v10, v[6:7]
	v_and_b32_e32 v6, 7, v10
; %bb.1095:                             ;   in Loop: Header=BB187_809 Depth=1
	s_or_b32 exec_lo, exec_lo, s21
	v_lshlrev_b32_e32 v10, 16, v13
	v_lshlrev_b32_e32 v6, 20, v6
	v_lshl_add_u32 v8, v8, 23, 0x3c000000
	v_mov_b32_e32 v17, v7
	v_and_b32_e32 v10, 0x80000000, v10
	v_or3_b32 v18, v6, v10, v8
.LBB187_1096:                           ;   in Loop: Header=BB187_809 Depth=1
	s_or_b32 exec_lo, exec_lo, s20
.LBB187_1097:                           ;   in Loop: Header=BB187_809 Depth=1
	s_or_b32 exec_lo, exec_lo, s17
.LBB187_1098:                           ;   in Loop: Header=BB187_809 Depth=1
	s_or_b32 exec_lo, exec_lo, s15
	v_mov_b32_e32 v10, 0
	v_mov_b32_e32 v21, 0
	v_and_b32_sdwa v6, v13, v81 dst_sel:DWORD dst_unused:UNUSED_PAD src0_sel:WORD_1 src1_sel:DWORD
	v_mov_b32_e32 v11, 0
	v_mov_b32_e32 v22, 0
	s_mov_b32 s15, exec_lo
	v_cmpx_ne_u16_e32 0, v6
	s_cbranch_execz .LBB187_1106
; %bb.1099:                             ;   in Loop: Header=BB187_809 Depth=1
	v_bfrev_b32_e32 v21, 1
	v_mov_b32_e32 v22, 0
	s_mov_b32 s17, exec_lo
	v_cmpx_ne_u16_e32 0x80, v6
	s_cbranch_execz .LBB187_1105
; %bb.1100:                             ;   in Loop: Header=BB187_809 Depth=1
	v_mov_b32_e32 v21, 0x7f800001
	v_bfe_u32 v14, v13, 16, 7
	v_mov_b32_e32 v22, 0
	s_mov_b32 s20, exec_lo
	v_cmpx_ne_u32_e32 0x7f, v14
	s_cbranch_execz .LBB187_1104
; %bb.1101:                             ;   in Loop: Header=BB187_809 Depth=1
	v_mov_b32_e32 v6, 7
	v_lshrrev_b32_e32 v8, 3, v14
	s_mov_b32 s21, exec_lo
	v_and_b32_sdwa v6, v13, v6 dst_sel:DWORD dst_unused:UNUSED_PAD src0_sel:WORD_1 src1_sel:DWORD
	v_cmpx_gt_u32_e32 8, v14
; %bb.1102:                             ;   in Loop: Header=BB187_809 Depth=1
	v_ffbh_u32_e32 v8, v6
	v_min_u32_e32 v8, 32, v8
	v_subrev_nc_u32_e32 v14, 28, v8
	v_sub_nc_u32_e32 v8, 29, v8
	v_lshlrev_b64 v[21:22], v14, v[6:7]
	v_and_b32_e32 v6, 7, v21
; %bb.1103:                             ;   in Loop: Header=BB187_809 Depth=1
	s_or_b32 exec_lo, exec_lo, s21
	v_mov_b32_e32 v14, 24
	v_lshlrev_b32_e32 v6, 20, v6
	v_lshl_add_u32 v8, v8, 23, 0x3c000000
	v_lshlrev_b32_sdwa v14, v14, v13 dst_sel:DWORD dst_unused:UNUSED_PAD src0_sel:DWORD src1_sel:WORD_1
	v_and_b32_e32 v14, 0x80000000, v14
	v_or3_b32 v6, v6, v14, v8
	v_mov_b32_e32 v22, v7
	v_mov_b32_e32 v21, v6
.LBB187_1104:                           ;   in Loop: Header=BB187_809 Depth=1
	s_or_b32 exec_lo, exec_lo, s20
.LBB187_1105:                           ;   in Loop: Header=BB187_809 Depth=1
	s_or_b32 exec_lo, exec_lo, s17
.LBB187_1106:                           ;   in Loop: Header=BB187_809 Depth=1
	s_or_b32 exec_lo, exec_lo, s15
	s_mov_b32 s15, exec_lo
	v_cmpx_lt_u32_e32 0xffffff, v13
	s_cbranch_execz .LBB187_1114
; %bb.1107:                             ;   in Loop: Header=BB187_809 Depth=1
	v_mov_b32_e32 v8, v7
	v_mov_b32_e32 v11, v9
	v_cmp_ne_u32_sdwa s4, v13, v71 src0_sel:BYTE_3 src1_sel:DWORD
	v_mov_b32_e32 v10, v8
	s_and_saveexec_b32 s17, s4
	s_cbranch_execz .LBB187_1113
; %bb.1108:                             ;   in Loop: Header=BB187_809 Depth=1
	v_mov_b32_e32 v11, v7
	v_bfe_u32 v14, v13, 24, 7
	s_mov_b32 s20, exec_lo
	v_mov_b32_e32 v10, v11
	v_mov_b32_e32 v11, v12
	v_cmpx_ne_u32_e32 0x7f, v14
	s_cbranch_execz .LBB187_1112
; %bb.1109:                             ;   in Loop: Header=BB187_809 Depth=1
	v_mov_b32_e32 v6, 7
	v_lshrrev_b32_e32 v8, 3, v14
	s_mov_b32 s21, exec_lo
	v_and_b32_sdwa v6, v13, v6 dst_sel:DWORD dst_unused:UNUSED_PAD src0_sel:BYTE_3 src1_sel:DWORD
	v_cmpx_gt_u32_e32 8, v14
; %bb.1110:                             ;   in Loop: Header=BB187_809 Depth=1
	v_ffbh_u32_e32 v8, v6
	v_min_u32_e32 v8, 32, v8
	v_subrev_nc_u32_e32 v10, 28, v8
	v_sub_nc_u32_e32 v8, 29, v8
	v_lshlrev_b64 v[10:11], v10, v[6:7]
	v_and_b32_e32 v6, 7, v10
; %bb.1111:                             ;   in Loop: Header=BB187_809 Depth=1
	s_or_b32 exec_lo, exec_lo, s21
	v_mov_b32_e32 v10, 24
	v_lshlrev_b32_e32 v6, 20, v6
	v_lshl_add_u32 v8, v8, 23, 0x3c000000
	v_lshlrev_b32_sdwa v10, v10, v13 dst_sel:DWORD dst_unused:UNUSED_PAD src0_sel:DWORD src1_sel:BYTE_3
	v_and_b32_e32 v10, 0x80000000, v10
	v_or3_b32 v11, v6, v10, v8
	v_mov_b32_e32 v10, v7
.LBB187_1112:                           ;   in Loop: Header=BB187_809 Depth=1
	s_or_b32 exec_lo, exec_lo, s20
.LBB187_1113:                           ;   in Loop: Header=BB187_809 Depth=1
	s_or_b32 exec_lo, exec_lo, s17
.LBB187_1114:                           ;   in Loop: Header=BB187_809 Depth=1
	s_or_b32 exec_lo, exec_lo, s15
	v_or_b32_e32 v6, v18, v16
	v_or_b32_e32 v8, v17, v15
	;; [unrolled: 1-line block ×4, first 2 shown]
	v_mul_f32_e32 v88, v87, v6
	v_mul_f32_e32 v26, v87, v8
	;; [unrolled: 1-line block ×4, first 2 shown]
	s_and_saveexec_b32 s15, vcc_lo
	s_cbranch_execz .LBB187_1116
; %bb.1115:                             ;   in Loop: Header=BB187_809 Depth=1
	v_cmp_lt_i32_e64 s4, v100, v79
	v_cndmask_b32_e64 v26, 0, v26, s4
	v_cmp_lt_i32_e64 s4, v103, v79
	v_cndmask_b32_e64 v88, 0, v88, s4
	;; [unrolled: 2-line block ×4, first 2 shown]
.LBB187_1116:                           ;   in Loop: Header=BB187_809 Depth=1
	s_or_b32 exec_lo, exec_lo, s15
	flat_load_dword v13, v[0:1] offset:1152
	v_mov_b32_e32 v17, 0
	v_mov_b32_e32 v15, 0
	;; [unrolled: 1-line block ×4, first 2 shown]
	s_waitcnt vmcnt(0) lgkmcnt(0)
	v_cmp_ne_u16_sdwa s4, v13, v7 src0_sel:BYTE_0 src1_sel:DWORD
	s_and_saveexec_b32 s15, s4
	s_cbranch_execz .LBB187_1124
; %bb.1117:                             ;   in Loop: Header=BB187_809 Depth=1
	v_bfrev_b32_e32 v15, 1
	v_mov_b32_e32 v16, 0
	v_cmp_ne_u16_sdwa s4, v13, v71 src0_sel:BYTE_0 src1_sel:DWORD
	s_and_saveexec_b32 s17, s4
	s_cbranch_execz .LBB187_1123
; %bb.1118:                             ;   in Loop: Header=BB187_809 Depth=1
	v_mov_b32_e32 v15, 0x7f800001
	v_and_b32_e32 v10, 0x7f, v13
	v_mov_b32_e32 v16, 0
	s_mov_b32 s20, exec_lo
	v_cmpx_ne_u32_e32 0x7f, v10
	s_cbranch_execz .LBB187_1122
; %bb.1119:                             ;   in Loop: Header=BB187_809 Depth=1
	v_and_b32_e32 v6, 7, v13
	v_lshrrev_b32_e32 v8, 3, v10
	s_mov_b32 s21, exec_lo
	v_cmpx_gt_u32_e32 8, v10
; %bb.1120:                             ;   in Loop: Header=BB187_809 Depth=1
	v_ffbh_u32_e32 v8, v6
	v_min_u32_e32 v8, 32, v8
	v_subrev_nc_u32_e32 v10, 28, v8
	v_sub_nc_u32_e32 v8, 29, v8
	v_lshlrev_b64 v[10:11], v10, v[6:7]
	v_and_b32_e32 v6, 7, v10
; %bb.1121:                             ;   in Loop: Header=BB187_809 Depth=1
	s_or_b32 exec_lo, exec_lo, s21
	v_lshlrev_b32_e32 v10, 24, v13
	v_lshlrev_b32_e32 v6, 20, v6
	v_lshl_add_u32 v8, v8, 23, 0x3c000000
	v_and_b32_e32 v10, 0x80000000, v10
	v_or3_b32 v6, v6, v10, v8
	v_mov_b32_e32 v16, v7
	v_mov_b32_e32 v15, v6
.LBB187_1122:                           ;   in Loop: Header=BB187_809 Depth=1
	s_or_b32 exec_lo, exec_lo, s20
.LBB187_1123:                           ;   in Loop: Header=BB187_809 Depth=1
	s_or_b32 exec_lo, exec_lo, s17
.LBB187_1124:                           ;   in Loop: Header=BB187_809 Depth=1
	s_or_b32 exec_lo, exec_lo, s15
	v_cmp_ne_u16_sdwa s4, v13, v7 src0_sel:BYTE_1 src1_sel:DWORD
	s_and_saveexec_b32 s15, s4
	s_cbranch_execz .LBB187_1132
; %bb.1125:                             ;   in Loop: Header=BB187_809 Depth=1
	v_mov_b32_e32 v8, v7
	v_mov_b32_e32 v18, v9
	v_cmp_ne_u16_sdwa s4, v13, v71 src0_sel:BYTE_1 src1_sel:DWORD
	v_mov_b32_e32 v17, v8
	s_and_saveexec_b32 s17, s4
	s_cbranch_execz .LBB187_1131
; %bb.1126:                             ;   in Loop: Header=BB187_809 Depth=1
	v_mov_b32_e32 v6, 0xffff
	v_mov_b32_e32 v11, v7
	;; [unrolled: 1-line block ×3, first 2 shown]
	s_mov_b32 s20, exec_lo
	v_and_b32_sdwa v6, v6, v13 dst_sel:DWORD dst_unused:UNUSED_PAD src0_sel:DWORD src1_sel:BYTE_1
	v_mov_b32_e32 v17, v11
	v_and_b32_e32 v10, 0x7f, v6
	v_cmpx_ne_u32_e32 0x7f, v10
	s_cbranch_execz .LBB187_1130
; %bb.1127:                             ;   in Loop: Header=BB187_809 Depth=1
	v_and_b32_e32 v6, 7, v6
	v_lshrrev_b32_e32 v8, 3, v10
	s_mov_b32 s21, exec_lo
	v_cmpx_gt_u32_e32 8, v10
; %bb.1128:                             ;   in Loop: Header=BB187_809 Depth=1
	v_ffbh_u32_e32 v8, v6
	v_min_u32_e32 v8, 32, v8
	v_subrev_nc_u32_e32 v10, 28, v8
	v_sub_nc_u32_e32 v8, 29, v8
	v_lshlrev_b64 v[10:11], v10, v[6:7]
	v_and_b32_e32 v6, 7, v10
; %bb.1129:                             ;   in Loop: Header=BB187_809 Depth=1
	s_or_b32 exec_lo, exec_lo, s21
	v_lshlrev_b32_e32 v10, 16, v13
	v_lshlrev_b32_e32 v6, 20, v6
	v_lshl_add_u32 v8, v8, 23, 0x3c000000
	v_mov_b32_e32 v17, v7
	v_and_b32_e32 v10, 0x80000000, v10
	v_or3_b32 v18, v6, v10, v8
.LBB187_1130:                           ;   in Loop: Header=BB187_809 Depth=1
	s_or_b32 exec_lo, exec_lo, s20
.LBB187_1131:                           ;   in Loop: Header=BB187_809 Depth=1
	s_or_b32 exec_lo, exec_lo, s17
.LBB187_1132:                           ;   in Loop: Header=BB187_809 Depth=1
	s_or_b32 exec_lo, exec_lo, s15
	v_mov_b32_e32 v10, 0
	v_mov_b32_e32 v21, 0
	v_and_b32_sdwa v6, v13, v81 dst_sel:DWORD dst_unused:UNUSED_PAD src0_sel:WORD_1 src1_sel:DWORD
	v_mov_b32_e32 v11, 0
	v_mov_b32_e32 v22, 0
	s_mov_b32 s15, exec_lo
	v_cmpx_ne_u16_e32 0, v6
	s_cbranch_execz .LBB187_1140
; %bb.1133:                             ;   in Loop: Header=BB187_809 Depth=1
	v_bfrev_b32_e32 v21, 1
	v_mov_b32_e32 v22, 0
	s_mov_b32 s17, exec_lo
	v_cmpx_ne_u16_e32 0x80, v6
	s_cbranch_execz .LBB187_1139
; %bb.1134:                             ;   in Loop: Header=BB187_809 Depth=1
	v_mov_b32_e32 v21, 0x7f800001
	v_bfe_u32 v14, v13, 16, 7
	v_mov_b32_e32 v22, 0
	s_mov_b32 s20, exec_lo
	v_cmpx_ne_u32_e32 0x7f, v14
	s_cbranch_execz .LBB187_1138
; %bb.1135:                             ;   in Loop: Header=BB187_809 Depth=1
	v_mov_b32_e32 v6, 7
	v_lshrrev_b32_e32 v8, 3, v14
	s_mov_b32 s21, exec_lo
	v_and_b32_sdwa v6, v13, v6 dst_sel:DWORD dst_unused:UNUSED_PAD src0_sel:WORD_1 src1_sel:DWORD
	v_cmpx_gt_u32_e32 8, v14
; %bb.1136:                             ;   in Loop: Header=BB187_809 Depth=1
	v_ffbh_u32_e32 v8, v6
	v_min_u32_e32 v8, 32, v8
	v_subrev_nc_u32_e32 v14, 28, v8
	v_sub_nc_u32_e32 v8, 29, v8
	v_lshlrev_b64 v[21:22], v14, v[6:7]
	v_and_b32_e32 v6, 7, v21
; %bb.1137:                             ;   in Loop: Header=BB187_809 Depth=1
	s_or_b32 exec_lo, exec_lo, s21
	v_mov_b32_e32 v14, 24
	v_lshlrev_b32_e32 v6, 20, v6
	v_lshl_add_u32 v8, v8, 23, 0x3c000000
	v_lshlrev_b32_sdwa v14, v14, v13 dst_sel:DWORD dst_unused:UNUSED_PAD src0_sel:DWORD src1_sel:WORD_1
	v_and_b32_e32 v14, 0x80000000, v14
	v_or3_b32 v6, v6, v14, v8
	v_mov_b32_e32 v22, v7
	v_mov_b32_e32 v21, v6
.LBB187_1138:                           ;   in Loop: Header=BB187_809 Depth=1
	s_or_b32 exec_lo, exec_lo, s20
.LBB187_1139:                           ;   in Loop: Header=BB187_809 Depth=1
	s_or_b32 exec_lo, exec_lo, s17
.LBB187_1140:                           ;   in Loop: Header=BB187_809 Depth=1
	s_or_b32 exec_lo, exec_lo, s15
	s_mov_b32 s15, exec_lo
	v_cmpx_lt_u32_e32 0xffffff, v13
	s_cbranch_execz .LBB187_1148
; %bb.1141:                             ;   in Loop: Header=BB187_809 Depth=1
	v_mov_b32_e32 v8, v7
	v_mov_b32_e32 v11, v9
	v_cmp_ne_u32_sdwa s4, v13, v71 src0_sel:BYTE_3 src1_sel:DWORD
	v_mov_b32_e32 v10, v8
	s_and_saveexec_b32 s17, s4
	s_cbranch_execz .LBB187_1147
; %bb.1142:                             ;   in Loop: Header=BB187_809 Depth=1
	v_mov_b32_e32 v11, v7
	v_bfe_u32 v14, v13, 24, 7
	s_mov_b32 s20, exec_lo
	v_mov_b32_e32 v10, v11
	v_mov_b32_e32 v11, v12
	v_cmpx_ne_u32_e32 0x7f, v14
	s_cbranch_execz .LBB187_1146
; %bb.1143:                             ;   in Loop: Header=BB187_809 Depth=1
	v_mov_b32_e32 v6, 7
	v_lshrrev_b32_e32 v8, 3, v14
	s_mov_b32 s21, exec_lo
	v_and_b32_sdwa v6, v13, v6 dst_sel:DWORD dst_unused:UNUSED_PAD src0_sel:BYTE_3 src1_sel:DWORD
	v_cmpx_gt_u32_e32 8, v14
; %bb.1144:                             ;   in Loop: Header=BB187_809 Depth=1
	v_ffbh_u32_e32 v8, v6
	v_min_u32_e32 v8, 32, v8
	v_subrev_nc_u32_e32 v10, 28, v8
	v_sub_nc_u32_e32 v8, 29, v8
	v_lshlrev_b64 v[10:11], v10, v[6:7]
	v_and_b32_e32 v6, 7, v10
; %bb.1145:                             ;   in Loop: Header=BB187_809 Depth=1
	s_or_b32 exec_lo, exec_lo, s21
	v_mov_b32_e32 v10, 24
	v_lshlrev_b32_e32 v6, 20, v6
	v_lshl_add_u32 v8, v8, 23, 0x3c000000
	v_lshlrev_b32_sdwa v10, v10, v13 dst_sel:DWORD dst_unused:UNUSED_PAD src0_sel:DWORD src1_sel:BYTE_3
	v_and_b32_e32 v10, 0x80000000, v10
	v_or3_b32 v11, v6, v10, v8
	v_mov_b32_e32 v10, v7
.LBB187_1146:                           ;   in Loop: Header=BB187_809 Depth=1
	s_or_b32 exec_lo, exec_lo, s20
.LBB187_1147:                           ;   in Loop: Header=BB187_809 Depth=1
	s_or_b32 exec_lo, exec_lo, s17
.LBB187_1148:                           ;   in Loop: Header=BB187_809 Depth=1
	s_or_b32 exec_lo, exec_lo, s15
	v_or_b32_e32 v6, v18, v16
	v_or_b32_e32 v8, v17, v15
	;; [unrolled: 1-line block ×4, first 2 shown]
	v_mul_f32_e32 v92, v87, v6
	v_mul_f32_e32 v91, v87, v8
	;; [unrolled: 1-line block ×4, first 2 shown]
	s_and_saveexec_b32 s15, vcc_lo
	s_cbranch_execz .LBB187_1150
; %bb.1149:                             ;   in Loop: Header=BB187_809 Depth=1
	v_cmp_lt_i32_e64 s4, v100, v79
	v_cndmask_b32_e64 v91, 0, v91, s4
	v_cmp_lt_i32_e64 s4, v103, v79
	v_cndmask_b32_e64 v92, 0, v92, s4
	;; [unrolled: 2-line block ×4, first 2 shown]
.LBB187_1150:                           ;   in Loop: Header=BB187_809 Depth=1
	s_or_b32 exec_lo, exec_lo, s15
	flat_load_dword v13, v[0:1] offset:1280
	v_mov_b32_e32 v17, 0
	v_mov_b32_e32 v15, 0
	;; [unrolled: 1-line block ×4, first 2 shown]
	s_waitcnt vmcnt(0) lgkmcnt(0)
	v_cmp_ne_u16_sdwa s4, v13, v7 src0_sel:BYTE_0 src1_sel:DWORD
	s_and_saveexec_b32 s15, s4
	s_cbranch_execz .LBB187_1158
; %bb.1151:                             ;   in Loop: Header=BB187_809 Depth=1
	v_bfrev_b32_e32 v15, 1
	v_mov_b32_e32 v16, 0
	v_cmp_ne_u16_sdwa s4, v13, v71 src0_sel:BYTE_0 src1_sel:DWORD
	s_and_saveexec_b32 s17, s4
	s_cbranch_execz .LBB187_1157
; %bb.1152:                             ;   in Loop: Header=BB187_809 Depth=1
	v_mov_b32_e32 v15, 0x7f800001
	v_and_b32_e32 v10, 0x7f, v13
	v_mov_b32_e32 v16, 0
	s_mov_b32 s20, exec_lo
	v_cmpx_ne_u32_e32 0x7f, v10
	s_cbranch_execz .LBB187_1156
; %bb.1153:                             ;   in Loop: Header=BB187_809 Depth=1
	v_and_b32_e32 v6, 7, v13
	v_lshrrev_b32_e32 v8, 3, v10
	s_mov_b32 s21, exec_lo
	v_cmpx_gt_u32_e32 8, v10
; %bb.1154:                             ;   in Loop: Header=BB187_809 Depth=1
	v_ffbh_u32_e32 v8, v6
	v_min_u32_e32 v8, 32, v8
	v_subrev_nc_u32_e32 v10, 28, v8
	v_sub_nc_u32_e32 v8, 29, v8
	v_lshlrev_b64 v[10:11], v10, v[6:7]
	v_and_b32_e32 v6, 7, v10
; %bb.1155:                             ;   in Loop: Header=BB187_809 Depth=1
	s_or_b32 exec_lo, exec_lo, s21
	v_lshlrev_b32_e32 v10, 24, v13
	v_lshlrev_b32_e32 v6, 20, v6
	v_lshl_add_u32 v8, v8, 23, 0x3c000000
	v_and_b32_e32 v10, 0x80000000, v10
	v_or3_b32 v6, v6, v10, v8
	v_mov_b32_e32 v16, v7
	v_mov_b32_e32 v15, v6
.LBB187_1156:                           ;   in Loop: Header=BB187_809 Depth=1
	s_or_b32 exec_lo, exec_lo, s20
.LBB187_1157:                           ;   in Loop: Header=BB187_809 Depth=1
	s_or_b32 exec_lo, exec_lo, s17
.LBB187_1158:                           ;   in Loop: Header=BB187_809 Depth=1
	s_or_b32 exec_lo, exec_lo, s15
	v_cmp_ne_u16_sdwa s4, v13, v7 src0_sel:BYTE_1 src1_sel:DWORD
	s_and_saveexec_b32 s15, s4
	s_cbranch_execz .LBB187_1166
; %bb.1159:                             ;   in Loop: Header=BB187_809 Depth=1
	v_mov_b32_e32 v8, v7
	v_mov_b32_e32 v18, v9
	v_cmp_ne_u16_sdwa s4, v13, v71 src0_sel:BYTE_1 src1_sel:DWORD
	v_mov_b32_e32 v17, v8
	s_and_saveexec_b32 s17, s4
	s_cbranch_execz .LBB187_1165
; %bb.1160:                             ;   in Loop: Header=BB187_809 Depth=1
	v_mov_b32_e32 v6, 0xffff
	v_mov_b32_e32 v11, v7
	;; [unrolled: 1-line block ×3, first 2 shown]
	s_mov_b32 s20, exec_lo
	v_and_b32_sdwa v6, v6, v13 dst_sel:DWORD dst_unused:UNUSED_PAD src0_sel:DWORD src1_sel:BYTE_1
	v_mov_b32_e32 v17, v11
	v_and_b32_e32 v10, 0x7f, v6
	v_cmpx_ne_u32_e32 0x7f, v10
	s_cbranch_execz .LBB187_1164
; %bb.1161:                             ;   in Loop: Header=BB187_809 Depth=1
	v_and_b32_e32 v6, 7, v6
	v_lshrrev_b32_e32 v8, 3, v10
	s_mov_b32 s21, exec_lo
	v_cmpx_gt_u32_e32 8, v10
; %bb.1162:                             ;   in Loop: Header=BB187_809 Depth=1
	v_ffbh_u32_e32 v8, v6
	v_min_u32_e32 v8, 32, v8
	v_subrev_nc_u32_e32 v10, 28, v8
	v_sub_nc_u32_e32 v8, 29, v8
	v_lshlrev_b64 v[10:11], v10, v[6:7]
	v_and_b32_e32 v6, 7, v10
; %bb.1163:                             ;   in Loop: Header=BB187_809 Depth=1
	s_or_b32 exec_lo, exec_lo, s21
	v_lshlrev_b32_e32 v10, 16, v13
	v_lshlrev_b32_e32 v6, 20, v6
	v_lshl_add_u32 v8, v8, 23, 0x3c000000
	v_mov_b32_e32 v17, v7
	v_and_b32_e32 v10, 0x80000000, v10
	v_or3_b32 v18, v6, v10, v8
.LBB187_1164:                           ;   in Loop: Header=BB187_809 Depth=1
	s_or_b32 exec_lo, exec_lo, s20
.LBB187_1165:                           ;   in Loop: Header=BB187_809 Depth=1
	s_or_b32 exec_lo, exec_lo, s17
.LBB187_1166:                           ;   in Loop: Header=BB187_809 Depth=1
	s_or_b32 exec_lo, exec_lo, s15
	v_mov_b32_e32 v10, 0
	v_mov_b32_e32 v21, 0
	v_and_b32_sdwa v6, v13, v81 dst_sel:DWORD dst_unused:UNUSED_PAD src0_sel:WORD_1 src1_sel:DWORD
	v_mov_b32_e32 v11, 0
	v_mov_b32_e32 v22, 0
	s_mov_b32 s15, exec_lo
	v_cmpx_ne_u16_e32 0, v6
	s_cbranch_execz .LBB187_1174
; %bb.1167:                             ;   in Loop: Header=BB187_809 Depth=1
	v_bfrev_b32_e32 v21, 1
	v_mov_b32_e32 v22, 0
	s_mov_b32 s17, exec_lo
	v_cmpx_ne_u16_e32 0x80, v6
	s_cbranch_execz .LBB187_1173
; %bb.1168:                             ;   in Loop: Header=BB187_809 Depth=1
	v_mov_b32_e32 v21, 0x7f800001
	v_bfe_u32 v14, v13, 16, 7
	v_mov_b32_e32 v22, 0
	s_mov_b32 s20, exec_lo
	v_cmpx_ne_u32_e32 0x7f, v14
	s_cbranch_execz .LBB187_1172
; %bb.1169:                             ;   in Loop: Header=BB187_809 Depth=1
	v_mov_b32_e32 v6, 7
	v_lshrrev_b32_e32 v8, 3, v14
	s_mov_b32 s21, exec_lo
	v_and_b32_sdwa v6, v13, v6 dst_sel:DWORD dst_unused:UNUSED_PAD src0_sel:WORD_1 src1_sel:DWORD
	v_cmpx_gt_u32_e32 8, v14
; %bb.1170:                             ;   in Loop: Header=BB187_809 Depth=1
	v_ffbh_u32_e32 v8, v6
	v_min_u32_e32 v8, 32, v8
	v_subrev_nc_u32_e32 v14, 28, v8
	v_sub_nc_u32_e32 v8, 29, v8
	v_lshlrev_b64 v[21:22], v14, v[6:7]
	v_and_b32_e32 v6, 7, v21
; %bb.1171:                             ;   in Loop: Header=BB187_809 Depth=1
	s_or_b32 exec_lo, exec_lo, s21
	v_mov_b32_e32 v14, 24
	v_lshlrev_b32_e32 v6, 20, v6
	v_lshl_add_u32 v8, v8, 23, 0x3c000000
	v_lshlrev_b32_sdwa v14, v14, v13 dst_sel:DWORD dst_unused:UNUSED_PAD src0_sel:DWORD src1_sel:WORD_1
	v_and_b32_e32 v14, 0x80000000, v14
	v_or3_b32 v6, v6, v14, v8
	v_mov_b32_e32 v22, v7
	v_mov_b32_e32 v21, v6
.LBB187_1172:                           ;   in Loop: Header=BB187_809 Depth=1
	s_or_b32 exec_lo, exec_lo, s20
.LBB187_1173:                           ;   in Loop: Header=BB187_809 Depth=1
	s_or_b32 exec_lo, exec_lo, s17
.LBB187_1174:                           ;   in Loop: Header=BB187_809 Depth=1
	s_or_b32 exec_lo, exec_lo, s15
	s_mov_b32 s15, exec_lo
	v_cmpx_lt_u32_e32 0xffffff, v13
	s_cbranch_execz .LBB187_1182
; %bb.1175:                             ;   in Loop: Header=BB187_809 Depth=1
	v_mov_b32_e32 v8, v7
	v_mov_b32_e32 v11, v9
	v_cmp_ne_u32_sdwa s4, v13, v71 src0_sel:BYTE_3 src1_sel:DWORD
	v_mov_b32_e32 v10, v8
	s_and_saveexec_b32 s17, s4
	s_cbranch_execz .LBB187_1181
; %bb.1176:                             ;   in Loop: Header=BB187_809 Depth=1
	v_mov_b32_e32 v11, v7
	v_bfe_u32 v14, v13, 24, 7
	s_mov_b32 s20, exec_lo
	v_mov_b32_e32 v10, v11
	v_mov_b32_e32 v11, v12
	v_cmpx_ne_u32_e32 0x7f, v14
	s_cbranch_execz .LBB187_1180
; %bb.1177:                             ;   in Loop: Header=BB187_809 Depth=1
	v_mov_b32_e32 v6, 7
	v_lshrrev_b32_e32 v8, 3, v14
	s_mov_b32 s21, exec_lo
	v_and_b32_sdwa v6, v13, v6 dst_sel:DWORD dst_unused:UNUSED_PAD src0_sel:BYTE_3 src1_sel:DWORD
	v_cmpx_gt_u32_e32 8, v14
; %bb.1178:                             ;   in Loop: Header=BB187_809 Depth=1
	v_ffbh_u32_e32 v8, v6
	v_min_u32_e32 v8, 32, v8
	v_subrev_nc_u32_e32 v10, 28, v8
	v_sub_nc_u32_e32 v8, 29, v8
	v_lshlrev_b64 v[10:11], v10, v[6:7]
	v_and_b32_e32 v6, 7, v10
; %bb.1179:                             ;   in Loop: Header=BB187_809 Depth=1
	s_or_b32 exec_lo, exec_lo, s21
	v_mov_b32_e32 v10, 24
	v_lshlrev_b32_e32 v6, 20, v6
	v_lshl_add_u32 v8, v8, 23, 0x3c000000
	v_lshlrev_b32_sdwa v10, v10, v13 dst_sel:DWORD dst_unused:UNUSED_PAD src0_sel:DWORD src1_sel:BYTE_3
	v_and_b32_e32 v10, 0x80000000, v10
	v_or3_b32 v11, v6, v10, v8
	v_mov_b32_e32 v10, v7
.LBB187_1180:                           ;   in Loop: Header=BB187_809 Depth=1
	s_or_b32 exec_lo, exec_lo, s20
.LBB187_1181:                           ;   in Loop: Header=BB187_809 Depth=1
	s_or_b32 exec_lo, exec_lo, s17
.LBB187_1182:                           ;   in Loop: Header=BB187_809 Depth=1
	s_or_b32 exec_lo, exec_lo, s15
	v_or_b32_e32 v6, v18, v16
	v_or_b32_e32 v8, v17, v15
	;; [unrolled: 1-line block ×4, first 2 shown]
	v_mul_f32_e32 v104, v87, v6
	v_mul_f32_e32 v95, v87, v8
	;; [unrolled: 1-line block ×4, first 2 shown]
	s_and_saveexec_b32 s15, vcc_lo
	s_cbranch_execz .LBB187_1184
; %bb.1183:                             ;   in Loop: Header=BB187_809 Depth=1
	v_cmp_lt_i32_e64 s4, v100, v79
	v_cndmask_b32_e64 v95, 0, v95, s4
	v_cmp_lt_i32_e64 s4, v103, v79
	v_cndmask_b32_e64 v104, 0, v104, s4
	;; [unrolled: 2-line block ×4, first 2 shown]
.LBB187_1184:                           ;   in Loop: Header=BB187_809 Depth=1
	s_or_b32 exec_lo, exec_lo, s15
	flat_load_dword v13, v[0:1] offset:1408
	v_mov_b32_e32 v17, 0
	v_mov_b32_e32 v15, 0
	;; [unrolled: 1-line block ×4, first 2 shown]
	s_waitcnt vmcnt(0) lgkmcnt(0)
	v_cmp_ne_u16_sdwa s4, v13, v7 src0_sel:BYTE_0 src1_sel:DWORD
	s_and_saveexec_b32 s15, s4
	s_cbranch_execz .LBB187_1192
; %bb.1185:                             ;   in Loop: Header=BB187_809 Depth=1
	v_bfrev_b32_e32 v15, 1
	v_mov_b32_e32 v16, 0
	v_cmp_ne_u16_sdwa s4, v13, v71 src0_sel:BYTE_0 src1_sel:DWORD
	s_and_saveexec_b32 s17, s4
	s_cbranch_execz .LBB187_1191
; %bb.1186:                             ;   in Loop: Header=BB187_809 Depth=1
	v_mov_b32_e32 v15, 0x7f800001
	v_and_b32_e32 v10, 0x7f, v13
	v_mov_b32_e32 v16, 0
	s_mov_b32 s20, exec_lo
	v_cmpx_ne_u32_e32 0x7f, v10
	s_cbranch_execz .LBB187_1190
; %bb.1187:                             ;   in Loop: Header=BB187_809 Depth=1
	v_and_b32_e32 v6, 7, v13
	v_lshrrev_b32_e32 v8, 3, v10
	s_mov_b32 s21, exec_lo
	v_cmpx_gt_u32_e32 8, v10
; %bb.1188:                             ;   in Loop: Header=BB187_809 Depth=1
	v_ffbh_u32_e32 v8, v6
	v_min_u32_e32 v8, 32, v8
	v_subrev_nc_u32_e32 v10, 28, v8
	v_sub_nc_u32_e32 v8, 29, v8
	v_lshlrev_b64 v[10:11], v10, v[6:7]
	v_and_b32_e32 v6, 7, v10
; %bb.1189:                             ;   in Loop: Header=BB187_809 Depth=1
	s_or_b32 exec_lo, exec_lo, s21
	v_lshlrev_b32_e32 v10, 24, v13
	v_lshlrev_b32_e32 v6, 20, v6
	v_lshl_add_u32 v8, v8, 23, 0x3c000000
	v_and_b32_e32 v10, 0x80000000, v10
	v_or3_b32 v6, v6, v10, v8
	v_mov_b32_e32 v16, v7
	v_mov_b32_e32 v15, v6
.LBB187_1190:                           ;   in Loop: Header=BB187_809 Depth=1
	s_or_b32 exec_lo, exec_lo, s20
.LBB187_1191:                           ;   in Loop: Header=BB187_809 Depth=1
	s_or_b32 exec_lo, exec_lo, s17
.LBB187_1192:                           ;   in Loop: Header=BB187_809 Depth=1
	s_or_b32 exec_lo, exec_lo, s15
	v_cmp_ne_u16_sdwa s4, v13, v7 src0_sel:BYTE_1 src1_sel:DWORD
	s_and_saveexec_b32 s15, s4
	s_cbranch_execz .LBB187_1200
; %bb.1193:                             ;   in Loop: Header=BB187_809 Depth=1
	v_mov_b32_e32 v8, v7
	v_mov_b32_e32 v18, v9
	v_cmp_ne_u16_sdwa s4, v13, v71 src0_sel:BYTE_1 src1_sel:DWORD
	v_mov_b32_e32 v17, v8
	s_and_saveexec_b32 s17, s4
	s_cbranch_execz .LBB187_1199
; %bb.1194:                             ;   in Loop: Header=BB187_809 Depth=1
	v_mov_b32_e32 v6, 0xffff
	v_mov_b32_e32 v11, v7
	;; [unrolled: 1-line block ×3, first 2 shown]
	s_mov_b32 s20, exec_lo
	v_and_b32_sdwa v6, v6, v13 dst_sel:DWORD dst_unused:UNUSED_PAD src0_sel:DWORD src1_sel:BYTE_1
	v_mov_b32_e32 v17, v11
	v_and_b32_e32 v10, 0x7f, v6
	v_cmpx_ne_u32_e32 0x7f, v10
	s_cbranch_execz .LBB187_1198
; %bb.1195:                             ;   in Loop: Header=BB187_809 Depth=1
	v_and_b32_e32 v6, 7, v6
	v_lshrrev_b32_e32 v8, 3, v10
	s_mov_b32 s21, exec_lo
	v_cmpx_gt_u32_e32 8, v10
; %bb.1196:                             ;   in Loop: Header=BB187_809 Depth=1
	v_ffbh_u32_e32 v8, v6
	v_min_u32_e32 v8, 32, v8
	v_subrev_nc_u32_e32 v10, 28, v8
	v_sub_nc_u32_e32 v8, 29, v8
	v_lshlrev_b64 v[10:11], v10, v[6:7]
	v_and_b32_e32 v6, 7, v10
; %bb.1197:                             ;   in Loop: Header=BB187_809 Depth=1
	s_or_b32 exec_lo, exec_lo, s21
	v_lshlrev_b32_e32 v10, 16, v13
	v_lshlrev_b32_e32 v6, 20, v6
	v_lshl_add_u32 v8, v8, 23, 0x3c000000
	v_mov_b32_e32 v17, v7
	v_and_b32_e32 v10, 0x80000000, v10
	v_or3_b32 v18, v6, v10, v8
.LBB187_1198:                           ;   in Loop: Header=BB187_809 Depth=1
	s_or_b32 exec_lo, exec_lo, s20
.LBB187_1199:                           ;   in Loop: Header=BB187_809 Depth=1
	s_or_b32 exec_lo, exec_lo, s17
.LBB187_1200:                           ;   in Loop: Header=BB187_809 Depth=1
	s_or_b32 exec_lo, exec_lo, s15
	v_mov_b32_e32 v10, 0
	v_mov_b32_e32 v21, 0
	v_and_b32_sdwa v6, v13, v81 dst_sel:DWORD dst_unused:UNUSED_PAD src0_sel:WORD_1 src1_sel:DWORD
	v_mov_b32_e32 v11, 0
	v_mov_b32_e32 v22, 0
	s_mov_b32 s15, exec_lo
	v_cmpx_ne_u16_e32 0, v6
	s_cbranch_execz .LBB187_1208
; %bb.1201:                             ;   in Loop: Header=BB187_809 Depth=1
	v_bfrev_b32_e32 v21, 1
	v_mov_b32_e32 v22, 0
	s_mov_b32 s17, exec_lo
	v_cmpx_ne_u16_e32 0x80, v6
	s_cbranch_execz .LBB187_1207
; %bb.1202:                             ;   in Loop: Header=BB187_809 Depth=1
	v_mov_b32_e32 v21, 0x7f800001
	v_bfe_u32 v14, v13, 16, 7
	v_mov_b32_e32 v22, 0
	s_mov_b32 s20, exec_lo
	v_cmpx_ne_u32_e32 0x7f, v14
	s_cbranch_execz .LBB187_1206
; %bb.1203:                             ;   in Loop: Header=BB187_809 Depth=1
	v_mov_b32_e32 v6, 7
	v_lshrrev_b32_e32 v8, 3, v14
	s_mov_b32 s21, exec_lo
	v_and_b32_sdwa v6, v13, v6 dst_sel:DWORD dst_unused:UNUSED_PAD src0_sel:WORD_1 src1_sel:DWORD
	v_cmpx_gt_u32_e32 8, v14
; %bb.1204:                             ;   in Loop: Header=BB187_809 Depth=1
	v_ffbh_u32_e32 v8, v6
	v_min_u32_e32 v8, 32, v8
	v_subrev_nc_u32_e32 v14, 28, v8
	v_sub_nc_u32_e32 v8, 29, v8
	v_lshlrev_b64 v[21:22], v14, v[6:7]
	v_and_b32_e32 v6, 7, v21
; %bb.1205:                             ;   in Loop: Header=BB187_809 Depth=1
	s_or_b32 exec_lo, exec_lo, s21
	v_mov_b32_e32 v14, 24
	v_lshlrev_b32_e32 v6, 20, v6
	v_lshl_add_u32 v8, v8, 23, 0x3c000000
	v_lshlrev_b32_sdwa v14, v14, v13 dst_sel:DWORD dst_unused:UNUSED_PAD src0_sel:DWORD src1_sel:WORD_1
	v_and_b32_e32 v14, 0x80000000, v14
	v_or3_b32 v6, v6, v14, v8
	v_mov_b32_e32 v22, v7
	v_mov_b32_e32 v21, v6
.LBB187_1206:                           ;   in Loop: Header=BB187_809 Depth=1
	s_or_b32 exec_lo, exec_lo, s20
.LBB187_1207:                           ;   in Loop: Header=BB187_809 Depth=1
	s_or_b32 exec_lo, exec_lo, s17
.LBB187_1208:                           ;   in Loop: Header=BB187_809 Depth=1
	s_or_b32 exec_lo, exec_lo, s15
	s_mov_b32 s15, exec_lo
	v_cmpx_lt_u32_e32 0xffffff, v13
	s_cbranch_execz .LBB187_1216
; %bb.1209:                             ;   in Loop: Header=BB187_809 Depth=1
	v_mov_b32_e32 v8, v7
	v_mov_b32_e32 v11, v9
	v_cmp_ne_u32_sdwa s4, v13, v71 src0_sel:BYTE_3 src1_sel:DWORD
	v_mov_b32_e32 v10, v8
	s_and_saveexec_b32 s17, s4
	s_cbranch_execz .LBB187_1215
; %bb.1210:                             ;   in Loop: Header=BB187_809 Depth=1
	v_mov_b32_e32 v11, v7
	v_bfe_u32 v14, v13, 24, 7
	s_mov_b32 s20, exec_lo
	v_mov_b32_e32 v10, v11
	v_mov_b32_e32 v11, v12
	v_cmpx_ne_u32_e32 0x7f, v14
	s_cbranch_execz .LBB187_1214
; %bb.1211:                             ;   in Loop: Header=BB187_809 Depth=1
	v_mov_b32_e32 v6, 7
	v_lshrrev_b32_e32 v8, 3, v14
	s_mov_b32 s21, exec_lo
	v_and_b32_sdwa v6, v13, v6 dst_sel:DWORD dst_unused:UNUSED_PAD src0_sel:BYTE_3 src1_sel:DWORD
	v_cmpx_gt_u32_e32 8, v14
; %bb.1212:                             ;   in Loop: Header=BB187_809 Depth=1
	v_ffbh_u32_e32 v8, v6
	v_min_u32_e32 v8, 32, v8
	v_subrev_nc_u32_e32 v10, 28, v8
	v_sub_nc_u32_e32 v8, 29, v8
	v_lshlrev_b64 v[10:11], v10, v[6:7]
	v_and_b32_e32 v6, 7, v10
; %bb.1213:                             ;   in Loop: Header=BB187_809 Depth=1
	s_or_b32 exec_lo, exec_lo, s21
	v_mov_b32_e32 v10, 24
	v_lshlrev_b32_e32 v6, 20, v6
	v_lshl_add_u32 v8, v8, 23, 0x3c000000
	v_lshlrev_b32_sdwa v10, v10, v13 dst_sel:DWORD dst_unused:UNUSED_PAD src0_sel:DWORD src1_sel:BYTE_3
	v_and_b32_e32 v10, 0x80000000, v10
	v_or3_b32 v11, v6, v10, v8
	v_mov_b32_e32 v10, v7
.LBB187_1214:                           ;   in Loop: Header=BB187_809 Depth=1
	s_or_b32 exec_lo, exec_lo, s20
.LBB187_1215:                           ;   in Loop: Header=BB187_809 Depth=1
	s_or_b32 exec_lo, exec_lo, s17
.LBB187_1216:                           ;   in Loop: Header=BB187_809 Depth=1
	s_or_b32 exec_lo, exec_lo, s15
	v_or_b32_e32 v6, v18, v16
	v_or_b32_e32 v8, v17, v15
	;; [unrolled: 1-line block ×4, first 2 shown]
	v_mul_f32_e32 v108, v87, v6
	v_mul_f32_e32 v107, v87, v8
	;; [unrolled: 1-line block ×4, first 2 shown]
	s_and_saveexec_b32 s15, vcc_lo
	s_cbranch_execz .LBB187_1218
; %bb.1217:                             ;   in Loop: Header=BB187_809 Depth=1
	v_cmp_lt_i32_e64 s4, v100, v79
	v_cndmask_b32_e64 v107, 0, v107, s4
	v_cmp_lt_i32_e64 s4, v103, v79
	v_cndmask_b32_e64 v108, 0, v108, s4
	;; [unrolled: 2-line block ×4, first 2 shown]
.LBB187_1218:                           ;   in Loop: Header=BB187_809 Depth=1
	s_or_b32 exec_lo, exec_lo, s15
	flat_load_dword v13, v[0:1] offset:1536
	v_mov_b32_e32 v17, 0
	v_mov_b32_e32 v15, 0
	;; [unrolled: 1-line block ×4, first 2 shown]
	s_waitcnt vmcnt(0) lgkmcnt(0)
	v_cmp_ne_u16_sdwa s4, v13, v7 src0_sel:BYTE_0 src1_sel:DWORD
	s_and_saveexec_b32 s15, s4
	s_cbranch_execz .LBB187_1226
; %bb.1219:                             ;   in Loop: Header=BB187_809 Depth=1
	v_bfrev_b32_e32 v15, 1
	v_mov_b32_e32 v16, 0
	v_cmp_ne_u16_sdwa s4, v13, v71 src0_sel:BYTE_0 src1_sel:DWORD
	s_and_saveexec_b32 s17, s4
	s_cbranch_execz .LBB187_1225
; %bb.1220:                             ;   in Loop: Header=BB187_809 Depth=1
	v_mov_b32_e32 v15, 0x7f800001
	v_and_b32_e32 v10, 0x7f, v13
	v_mov_b32_e32 v16, 0
	s_mov_b32 s20, exec_lo
	v_cmpx_ne_u32_e32 0x7f, v10
	s_cbranch_execz .LBB187_1224
; %bb.1221:                             ;   in Loop: Header=BB187_809 Depth=1
	v_and_b32_e32 v6, 7, v13
	v_lshrrev_b32_e32 v8, 3, v10
	s_mov_b32 s21, exec_lo
	v_cmpx_gt_u32_e32 8, v10
; %bb.1222:                             ;   in Loop: Header=BB187_809 Depth=1
	v_ffbh_u32_e32 v8, v6
	v_min_u32_e32 v8, 32, v8
	v_subrev_nc_u32_e32 v10, 28, v8
	v_sub_nc_u32_e32 v8, 29, v8
	v_lshlrev_b64 v[10:11], v10, v[6:7]
	v_and_b32_e32 v6, 7, v10
; %bb.1223:                             ;   in Loop: Header=BB187_809 Depth=1
	s_or_b32 exec_lo, exec_lo, s21
	v_lshlrev_b32_e32 v10, 24, v13
	v_lshlrev_b32_e32 v6, 20, v6
	v_lshl_add_u32 v8, v8, 23, 0x3c000000
	v_and_b32_e32 v10, 0x80000000, v10
	v_or3_b32 v6, v6, v10, v8
	v_mov_b32_e32 v16, v7
	v_mov_b32_e32 v15, v6
.LBB187_1224:                           ;   in Loop: Header=BB187_809 Depth=1
	s_or_b32 exec_lo, exec_lo, s20
.LBB187_1225:                           ;   in Loop: Header=BB187_809 Depth=1
	s_or_b32 exec_lo, exec_lo, s17
.LBB187_1226:                           ;   in Loop: Header=BB187_809 Depth=1
	s_or_b32 exec_lo, exec_lo, s15
	v_cmp_ne_u16_sdwa s4, v13, v7 src0_sel:BYTE_1 src1_sel:DWORD
	s_and_saveexec_b32 s15, s4
	s_cbranch_execz .LBB187_1234
; %bb.1227:                             ;   in Loop: Header=BB187_809 Depth=1
	v_mov_b32_e32 v8, v7
	v_mov_b32_e32 v18, v9
	v_cmp_ne_u16_sdwa s4, v13, v71 src0_sel:BYTE_1 src1_sel:DWORD
	v_mov_b32_e32 v17, v8
	s_and_saveexec_b32 s17, s4
	s_cbranch_execz .LBB187_1233
; %bb.1228:                             ;   in Loop: Header=BB187_809 Depth=1
	v_mov_b32_e32 v6, 0xffff
	v_mov_b32_e32 v11, v7
	;; [unrolled: 1-line block ×3, first 2 shown]
	s_mov_b32 s20, exec_lo
	v_and_b32_sdwa v6, v6, v13 dst_sel:DWORD dst_unused:UNUSED_PAD src0_sel:DWORD src1_sel:BYTE_1
	v_mov_b32_e32 v17, v11
	v_and_b32_e32 v10, 0x7f, v6
	v_cmpx_ne_u32_e32 0x7f, v10
	s_cbranch_execz .LBB187_1232
; %bb.1229:                             ;   in Loop: Header=BB187_809 Depth=1
	v_and_b32_e32 v6, 7, v6
	v_lshrrev_b32_e32 v8, 3, v10
	s_mov_b32 s21, exec_lo
	v_cmpx_gt_u32_e32 8, v10
; %bb.1230:                             ;   in Loop: Header=BB187_809 Depth=1
	v_ffbh_u32_e32 v8, v6
	v_min_u32_e32 v8, 32, v8
	v_subrev_nc_u32_e32 v10, 28, v8
	v_sub_nc_u32_e32 v8, 29, v8
	v_lshlrev_b64 v[10:11], v10, v[6:7]
	v_and_b32_e32 v6, 7, v10
; %bb.1231:                             ;   in Loop: Header=BB187_809 Depth=1
	s_or_b32 exec_lo, exec_lo, s21
	v_lshlrev_b32_e32 v10, 16, v13
	v_lshlrev_b32_e32 v6, 20, v6
	v_lshl_add_u32 v8, v8, 23, 0x3c000000
	v_mov_b32_e32 v17, v7
	v_and_b32_e32 v10, 0x80000000, v10
	v_or3_b32 v18, v6, v10, v8
.LBB187_1232:                           ;   in Loop: Header=BB187_809 Depth=1
	s_or_b32 exec_lo, exec_lo, s20
.LBB187_1233:                           ;   in Loop: Header=BB187_809 Depth=1
	s_or_b32 exec_lo, exec_lo, s17
.LBB187_1234:                           ;   in Loop: Header=BB187_809 Depth=1
	s_or_b32 exec_lo, exec_lo, s15
	v_mov_b32_e32 v10, 0
	v_mov_b32_e32 v21, 0
	v_and_b32_sdwa v6, v13, v81 dst_sel:DWORD dst_unused:UNUSED_PAD src0_sel:WORD_1 src1_sel:DWORD
	v_mov_b32_e32 v11, 0
	v_mov_b32_e32 v22, 0
	s_mov_b32 s15, exec_lo
	v_cmpx_ne_u16_e32 0, v6
	s_cbranch_execz .LBB187_1242
; %bb.1235:                             ;   in Loop: Header=BB187_809 Depth=1
	v_bfrev_b32_e32 v21, 1
	v_mov_b32_e32 v22, 0
	s_mov_b32 s17, exec_lo
	v_cmpx_ne_u16_e32 0x80, v6
	s_cbranch_execz .LBB187_1241
; %bb.1236:                             ;   in Loop: Header=BB187_809 Depth=1
	v_mov_b32_e32 v21, 0x7f800001
	v_bfe_u32 v14, v13, 16, 7
	v_mov_b32_e32 v22, 0
	s_mov_b32 s20, exec_lo
	v_cmpx_ne_u32_e32 0x7f, v14
	s_cbranch_execz .LBB187_1240
; %bb.1237:                             ;   in Loop: Header=BB187_809 Depth=1
	v_mov_b32_e32 v6, 7
	v_lshrrev_b32_e32 v8, 3, v14
	s_mov_b32 s21, exec_lo
	v_and_b32_sdwa v6, v13, v6 dst_sel:DWORD dst_unused:UNUSED_PAD src0_sel:WORD_1 src1_sel:DWORD
	v_cmpx_gt_u32_e32 8, v14
; %bb.1238:                             ;   in Loop: Header=BB187_809 Depth=1
	v_ffbh_u32_e32 v8, v6
	v_min_u32_e32 v8, 32, v8
	v_subrev_nc_u32_e32 v14, 28, v8
	v_sub_nc_u32_e32 v8, 29, v8
	v_lshlrev_b64 v[21:22], v14, v[6:7]
	v_and_b32_e32 v6, 7, v21
; %bb.1239:                             ;   in Loop: Header=BB187_809 Depth=1
	s_or_b32 exec_lo, exec_lo, s21
	v_mov_b32_e32 v14, 24
	v_lshlrev_b32_e32 v6, 20, v6
	v_lshl_add_u32 v8, v8, 23, 0x3c000000
	v_lshlrev_b32_sdwa v14, v14, v13 dst_sel:DWORD dst_unused:UNUSED_PAD src0_sel:DWORD src1_sel:WORD_1
	v_and_b32_e32 v14, 0x80000000, v14
	v_or3_b32 v6, v6, v14, v8
	v_mov_b32_e32 v22, v7
	v_mov_b32_e32 v21, v6
.LBB187_1240:                           ;   in Loop: Header=BB187_809 Depth=1
	s_or_b32 exec_lo, exec_lo, s20
.LBB187_1241:                           ;   in Loop: Header=BB187_809 Depth=1
	s_or_b32 exec_lo, exec_lo, s17
.LBB187_1242:                           ;   in Loop: Header=BB187_809 Depth=1
	s_or_b32 exec_lo, exec_lo, s15
	s_mov_b32 s15, exec_lo
	v_cmpx_lt_u32_e32 0xffffff, v13
	s_cbranch_execz .LBB187_1250
; %bb.1243:                             ;   in Loop: Header=BB187_809 Depth=1
	v_mov_b32_e32 v8, v7
	v_mov_b32_e32 v11, v9
	v_cmp_ne_u32_sdwa s4, v13, v71 src0_sel:BYTE_3 src1_sel:DWORD
	v_mov_b32_e32 v10, v8
	s_and_saveexec_b32 s17, s4
	s_cbranch_execz .LBB187_1249
; %bb.1244:                             ;   in Loop: Header=BB187_809 Depth=1
	v_mov_b32_e32 v11, v7
	v_bfe_u32 v14, v13, 24, 7
	s_mov_b32 s20, exec_lo
	v_mov_b32_e32 v10, v11
	v_mov_b32_e32 v11, v12
	v_cmpx_ne_u32_e32 0x7f, v14
	s_cbranch_execz .LBB187_1248
; %bb.1245:                             ;   in Loop: Header=BB187_809 Depth=1
	v_mov_b32_e32 v6, 7
	v_lshrrev_b32_e32 v8, 3, v14
	s_mov_b32 s21, exec_lo
	v_and_b32_sdwa v6, v13, v6 dst_sel:DWORD dst_unused:UNUSED_PAD src0_sel:BYTE_3 src1_sel:DWORD
	v_cmpx_gt_u32_e32 8, v14
; %bb.1246:                             ;   in Loop: Header=BB187_809 Depth=1
	v_ffbh_u32_e32 v8, v6
	v_min_u32_e32 v8, 32, v8
	v_subrev_nc_u32_e32 v10, 28, v8
	v_sub_nc_u32_e32 v8, 29, v8
	v_lshlrev_b64 v[10:11], v10, v[6:7]
	v_and_b32_e32 v6, 7, v10
; %bb.1247:                             ;   in Loop: Header=BB187_809 Depth=1
	s_or_b32 exec_lo, exec_lo, s21
	v_mov_b32_e32 v10, 24
	v_lshlrev_b32_e32 v6, 20, v6
	v_lshl_add_u32 v8, v8, 23, 0x3c000000
	v_lshlrev_b32_sdwa v10, v10, v13 dst_sel:DWORD dst_unused:UNUSED_PAD src0_sel:DWORD src1_sel:BYTE_3
	v_and_b32_e32 v10, 0x80000000, v10
	v_or3_b32 v11, v6, v10, v8
	v_mov_b32_e32 v10, v7
.LBB187_1248:                           ;   in Loop: Header=BB187_809 Depth=1
	s_or_b32 exec_lo, exec_lo, s20
.LBB187_1249:                           ;   in Loop: Header=BB187_809 Depth=1
	s_or_b32 exec_lo, exec_lo, s17
.LBB187_1250:                           ;   in Loop: Header=BB187_809 Depth=1
	s_or_b32 exec_lo, exec_lo, s15
	v_or_b32_e32 v6, v18, v16
	v_or_b32_e32 v8, v17, v15
	;; [unrolled: 1-line block ×4, first 2 shown]
	v_mul_f32_e32 v120, v87, v6
	v_mul_f32_e32 v111, v87, v8
	;; [unrolled: 1-line block ×4, first 2 shown]
	s_and_saveexec_b32 s15, vcc_lo
	s_cbranch_execz .LBB187_1252
; %bb.1251:                             ;   in Loop: Header=BB187_809 Depth=1
	v_cmp_lt_i32_e64 s4, v100, v79
	v_cndmask_b32_e64 v111, 0, v111, s4
	v_cmp_lt_i32_e64 s4, v103, v79
	v_cndmask_b32_e64 v120, 0, v120, s4
	;; [unrolled: 2-line block ×4, first 2 shown]
.LBB187_1252:                           ;   in Loop: Header=BB187_809 Depth=1
	s_or_b32 exec_lo, exec_lo, s15
	flat_load_dword v13, v[0:1] offset:1664
	v_mov_b32_e32 v17, 0
	v_mov_b32_e32 v15, 0
	;; [unrolled: 1-line block ×4, first 2 shown]
	s_waitcnt vmcnt(0) lgkmcnt(0)
	v_cmp_ne_u16_sdwa s4, v13, v7 src0_sel:BYTE_0 src1_sel:DWORD
	s_and_saveexec_b32 s15, s4
	s_cbranch_execz .LBB187_1260
; %bb.1253:                             ;   in Loop: Header=BB187_809 Depth=1
	v_bfrev_b32_e32 v15, 1
	v_mov_b32_e32 v16, 0
	v_cmp_ne_u16_sdwa s4, v13, v71 src0_sel:BYTE_0 src1_sel:DWORD
	s_and_saveexec_b32 s17, s4
	s_cbranch_execz .LBB187_1259
; %bb.1254:                             ;   in Loop: Header=BB187_809 Depth=1
	v_mov_b32_e32 v15, 0x7f800001
	v_and_b32_e32 v10, 0x7f, v13
	v_mov_b32_e32 v16, 0
	s_mov_b32 s20, exec_lo
	v_cmpx_ne_u32_e32 0x7f, v10
	s_cbranch_execz .LBB187_1258
; %bb.1255:                             ;   in Loop: Header=BB187_809 Depth=1
	v_and_b32_e32 v6, 7, v13
	v_lshrrev_b32_e32 v8, 3, v10
	s_mov_b32 s21, exec_lo
	v_cmpx_gt_u32_e32 8, v10
; %bb.1256:                             ;   in Loop: Header=BB187_809 Depth=1
	v_ffbh_u32_e32 v8, v6
	v_min_u32_e32 v8, 32, v8
	v_subrev_nc_u32_e32 v10, 28, v8
	v_sub_nc_u32_e32 v8, 29, v8
	v_lshlrev_b64 v[10:11], v10, v[6:7]
	v_and_b32_e32 v6, 7, v10
; %bb.1257:                             ;   in Loop: Header=BB187_809 Depth=1
	s_or_b32 exec_lo, exec_lo, s21
	v_lshlrev_b32_e32 v10, 24, v13
	v_lshlrev_b32_e32 v6, 20, v6
	v_lshl_add_u32 v8, v8, 23, 0x3c000000
	v_and_b32_e32 v10, 0x80000000, v10
	v_or3_b32 v6, v6, v10, v8
	v_mov_b32_e32 v16, v7
	v_mov_b32_e32 v15, v6
.LBB187_1258:                           ;   in Loop: Header=BB187_809 Depth=1
	s_or_b32 exec_lo, exec_lo, s20
.LBB187_1259:                           ;   in Loop: Header=BB187_809 Depth=1
	s_or_b32 exec_lo, exec_lo, s17
.LBB187_1260:                           ;   in Loop: Header=BB187_809 Depth=1
	s_or_b32 exec_lo, exec_lo, s15
	v_cmp_ne_u16_sdwa s4, v13, v7 src0_sel:BYTE_1 src1_sel:DWORD
	s_and_saveexec_b32 s15, s4
	s_cbranch_execz .LBB187_1268
; %bb.1261:                             ;   in Loop: Header=BB187_809 Depth=1
	v_mov_b32_e32 v8, v7
	v_mov_b32_e32 v18, v9
	v_cmp_ne_u16_sdwa s4, v13, v71 src0_sel:BYTE_1 src1_sel:DWORD
	v_mov_b32_e32 v17, v8
	s_and_saveexec_b32 s17, s4
	s_cbranch_execz .LBB187_1267
; %bb.1262:                             ;   in Loop: Header=BB187_809 Depth=1
	v_mov_b32_e32 v6, 0xffff
	v_mov_b32_e32 v11, v7
	;; [unrolled: 1-line block ×3, first 2 shown]
	s_mov_b32 s20, exec_lo
	v_and_b32_sdwa v6, v6, v13 dst_sel:DWORD dst_unused:UNUSED_PAD src0_sel:DWORD src1_sel:BYTE_1
	v_mov_b32_e32 v17, v11
	v_and_b32_e32 v10, 0x7f, v6
	v_cmpx_ne_u32_e32 0x7f, v10
	s_cbranch_execz .LBB187_1266
; %bb.1263:                             ;   in Loop: Header=BB187_809 Depth=1
	v_and_b32_e32 v6, 7, v6
	v_lshrrev_b32_e32 v8, 3, v10
	s_mov_b32 s21, exec_lo
	v_cmpx_gt_u32_e32 8, v10
; %bb.1264:                             ;   in Loop: Header=BB187_809 Depth=1
	v_ffbh_u32_e32 v8, v6
	v_min_u32_e32 v8, 32, v8
	v_subrev_nc_u32_e32 v10, 28, v8
	v_sub_nc_u32_e32 v8, 29, v8
	v_lshlrev_b64 v[10:11], v10, v[6:7]
	v_and_b32_e32 v6, 7, v10
; %bb.1265:                             ;   in Loop: Header=BB187_809 Depth=1
	s_or_b32 exec_lo, exec_lo, s21
	v_lshlrev_b32_e32 v10, 16, v13
	v_lshlrev_b32_e32 v6, 20, v6
	v_lshl_add_u32 v8, v8, 23, 0x3c000000
	v_mov_b32_e32 v17, v7
	v_and_b32_e32 v10, 0x80000000, v10
	v_or3_b32 v18, v6, v10, v8
.LBB187_1266:                           ;   in Loop: Header=BB187_809 Depth=1
	s_or_b32 exec_lo, exec_lo, s20
.LBB187_1267:                           ;   in Loop: Header=BB187_809 Depth=1
	s_or_b32 exec_lo, exec_lo, s17
.LBB187_1268:                           ;   in Loop: Header=BB187_809 Depth=1
	s_or_b32 exec_lo, exec_lo, s15
	v_mov_b32_e32 v10, 0
	v_mov_b32_e32 v21, 0
	v_and_b32_sdwa v6, v13, v81 dst_sel:DWORD dst_unused:UNUSED_PAD src0_sel:WORD_1 src1_sel:DWORD
	v_mov_b32_e32 v11, 0
	v_mov_b32_e32 v22, 0
	s_mov_b32 s15, exec_lo
	v_cmpx_ne_u16_e32 0, v6
	s_cbranch_execz .LBB187_1276
; %bb.1269:                             ;   in Loop: Header=BB187_809 Depth=1
	v_bfrev_b32_e32 v21, 1
	v_mov_b32_e32 v22, 0
	s_mov_b32 s17, exec_lo
	v_cmpx_ne_u16_e32 0x80, v6
	s_cbranch_execz .LBB187_1275
; %bb.1270:                             ;   in Loop: Header=BB187_809 Depth=1
	v_mov_b32_e32 v21, 0x7f800001
	v_bfe_u32 v14, v13, 16, 7
	v_mov_b32_e32 v22, 0
	s_mov_b32 s20, exec_lo
	v_cmpx_ne_u32_e32 0x7f, v14
	s_cbranch_execz .LBB187_1274
; %bb.1271:                             ;   in Loop: Header=BB187_809 Depth=1
	v_mov_b32_e32 v6, 7
	v_lshrrev_b32_e32 v8, 3, v14
	s_mov_b32 s21, exec_lo
	v_and_b32_sdwa v6, v13, v6 dst_sel:DWORD dst_unused:UNUSED_PAD src0_sel:WORD_1 src1_sel:DWORD
	v_cmpx_gt_u32_e32 8, v14
; %bb.1272:                             ;   in Loop: Header=BB187_809 Depth=1
	v_ffbh_u32_e32 v8, v6
	v_min_u32_e32 v8, 32, v8
	v_subrev_nc_u32_e32 v14, 28, v8
	v_sub_nc_u32_e32 v8, 29, v8
	v_lshlrev_b64 v[21:22], v14, v[6:7]
	v_and_b32_e32 v6, 7, v21
; %bb.1273:                             ;   in Loop: Header=BB187_809 Depth=1
	s_or_b32 exec_lo, exec_lo, s21
	v_mov_b32_e32 v14, 24
	v_lshlrev_b32_e32 v6, 20, v6
	v_lshl_add_u32 v8, v8, 23, 0x3c000000
	v_lshlrev_b32_sdwa v14, v14, v13 dst_sel:DWORD dst_unused:UNUSED_PAD src0_sel:DWORD src1_sel:WORD_1
	v_and_b32_e32 v14, 0x80000000, v14
	v_or3_b32 v6, v6, v14, v8
	v_mov_b32_e32 v22, v7
	v_mov_b32_e32 v21, v6
.LBB187_1274:                           ;   in Loop: Header=BB187_809 Depth=1
	s_or_b32 exec_lo, exec_lo, s20
.LBB187_1275:                           ;   in Loop: Header=BB187_809 Depth=1
	s_or_b32 exec_lo, exec_lo, s17
.LBB187_1276:                           ;   in Loop: Header=BB187_809 Depth=1
	s_or_b32 exec_lo, exec_lo, s15
	s_mov_b32 s15, exec_lo
	v_cmpx_lt_u32_e32 0xffffff, v13
	s_cbranch_execz .LBB187_1284
; %bb.1277:                             ;   in Loop: Header=BB187_809 Depth=1
	v_mov_b32_e32 v8, v7
	v_mov_b32_e32 v11, v9
	v_cmp_ne_u32_sdwa s4, v13, v71 src0_sel:BYTE_3 src1_sel:DWORD
	v_mov_b32_e32 v10, v8
	s_and_saveexec_b32 s17, s4
	s_cbranch_execz .LBB187_1283
; %bb.1278:                             ;   in Loop: Header=BB187_809 Depth=1
	v_mov_b32_e32 v11, v7
	v_bfe_u32 v14, v13, 24, 7
	s_mov_b32 s20, exec_lo
	v_mov_b32_e32 v10, v11
	v_mov_b32_e32 v11, v12
	v_cmpx_ne_u32_e32 0x7f, v14
	s_cbranch_execz .LBB187_1282
; %bb.1279:                             ;   in Loop: Header=BB187_809 Depth=1
	v_mov_b32_e32 v6, 7
	v_lshrrev_b32_e32 v8, 3, v14
	s_mov_b32 s21, exec_lo
	v_and_b32_sdwa v6, v13, v6 dst_sel:DWORD dst_unused:UNUSED_PAD src0_sel:BYTE_3 src1_sel:DWORD
	v_cmpx_gt_u32_e32 8, v14
; %bb.1280:                             ;   in Loop: Header=BB187_809 Depth=1
	v_ffbh_u32_e32 v8, v6
	v_min_u32_e32 v8, 32, v8
	v_subrev_nc_u32_e32 v10, 28, v8
	v_sub_nc_u32_e32 v8, 29, v8
	v_lshlrev_b64 v[10:11], v10, v[6:7]
	v_and_b32_e32 v6, 7, v10
; %bb.1281:                             ;   in Loop: Header=BB187_809 Depth=1
	s_or_b32 exec_lo, exec_lo, s21
	v_mov_b32_e32 v10, 24
	v_lshlrev_b32_e32 v6, 20, v6
	v_lshl_add_u32 v8, v8, 23, 0x3c000000
	v_lshlrev_b32_sdwa v10, v10, v13 dst_sel:DWORD dst_unused:UNUSED_PAD src0_sel:DWORD src1_sel:BYTE_3
	v_and_b32_e32 v10, 0x80000000, v10
	v_or3_b32 v11, v6, v10, v8
	v_mov_b32_e32 v10, v7
.LBB187_1282:                           ;   in Loop: Header=BB187_809 Depth=1
	s_or_b32 exec_lo, exec_lo, s20
.LBB187_1283:                           ;   in Loop: Header=BB187_809 Depth=1
	s_or_b32 exec_lo, exec_lo, s17
.LBB187_1284:                           ;   in Loop: Header=BB187_809 Depth=1
	s_or_b32 exec_lo, exec_lo, s15
	v_or_b32_e32 v6, v18, v16
	v_or_b32_e32 v8, v17, v15
	v_or_b32_e32 v10, v10, v21
	v_or_b32_e32 v11, v11, v22
	v_mul_f32_e32 v124, v87, v6
	v_mul_f32_e32 v123, v87, v8
	;; [unrolled: 1-line block ×4, first 2 shown]
	s_and_saveexec_b32 s15, vcc_lo
	s_cbranch_execz .LBB187_1286
; %bb.1285:                             ;   in Loop: Header=BB187_809 Depth=1
	v_cmp_lt_i32_e64 s4, v100, v79
	v_cndmask_b32_e64 v123, 0, v123, s4
	v_cmp_lt_i32_e64 s4, v103, v79
	v_cndmask_b32_e64 v124, 0, v124, s4
	;; [unrolled: 2-line block ×4, first 2 shown]
.LBB187_1286:                           ;   in Loop: Header=BB187_809 Depth=1
	s_or_b32 exec_lo, exec_lo, s15
	flat_load_dword v13, v[0:1] offset:1792
	v_mov_b32_e32 v17, 0
	v_mov_b32_e32 v15, 0
	v_mov_b32_e32 v18, 0
	v_mov_b32_e32 v16, 0
	s_waitcnt vmcnt(0) lgkmcnt(0)
	v_cmp_ne_u16_sdwa s4, v13, v7 src0_sel:BYTE_0 src1_sel:DWORD
	s_and_saveexec_b32 s15, s4
	s_cbranch_execz .LBB187_1294
; %bb.1287:                             ;   in Loop: Header=BB187_809 Depth=1
	v_bfrev_b32_e32 v15, 1
	v_mov_b32_e32 v16, 0
	v_cmp_ne_u16_sdwa s4, v13, v71 src0_sel:BYTE_0 src1_sel:DWORD
	s_and_saveexec_b32 s17, s4
	s_cbranch_execz .LBB187_1293
; %bb.1288:                             ;   in Loop: Header=BB187_809 Depth=1
	v_mov_b32_e32 v15, 0x7f800001
	v_and_b32_e32 v10, 0x7f, v13
	v_mov_b32_e32 v16, 0
	s_mov_b32 s20, exec_lo
	v_cmpx_ne_u32_e32 0x7f, v10
	s_cbranch_execz .LBB187_1292
; %bb.1289:                             ;   in Loop: Header=BB187_809 Depth=1
	v_and_b32_e32 v6, 7, v13
	v_lshrrev_b32_e32 v8, 3, v10
	s_mov_b32 s21, exec_lo
	v_cmpx_gt_u32_e32 8, v10
; %bb.1290:                             ;   in Loop: Header=BB187_809 Depth=1
	v_ffbh_u32_e32 v8, v6
	v_min_u32_e32 v8, 32, v8
	v_subrev_nc_u32_e32 v10, 28, v8
	v_sub_nc_u32_e32 v8, 29, v8
	v_lshlrev_b64 v[10:11], v10, v[6:7]
	v_and_b32_e32 v6, 7, v10
; %bb.1291:                             ;   in Loop: Header=BB187_809 Depth=1
	s_or_b32 exec_lo, exec_lo, s21
	v_lshlrev_b32_e32 v10, 24, v13
	v_lshlrev_b32_e32 v6, 20, v6
	v_lshl_add_u32 v8, v8, 23, 0x3c000000
	v_and_b32_e32 v10, 0x80000000, v10
	v_or3_b32 v6, v6, v10, v8
	v_mov_b32_e32 v16, v7
	v_mov_b32_e32 v15, v6
.LBB187_1292:                           ;   in Loop: Header=BB187_809 Depth=1
	s_or_b32 exec_lo, exec_lo, s20
.LBB187_1293:                           ;   in Loop: Header=BB187_809 Depth=1
	s_or_b32 exec_lo, exec_lo, s17
.LBB187_1294:                           ;   in Loop: Header=BB187_809 Depth=1
	s_or_b32 exec_lo, exec_lo, s15
	v_cmp_ne_u16_sdwa s4, v13, v7 src0_sel:BYTE_1 src1_sel:DWORD
	s_and_saveexec_b32 s15, s4
	s_cbranch_execz .LBB187_1302
; %bb.1295:                             ;   in Loop: Header=BB187_809 Depth=1
	v_mov_b32_e32 v8, v7
	v_mov_b32_e32 v18, v9
	v_cmp_ne_u16_sdwa s4, v13, v71 src0_sel:BYTE_1 src1_sel:DWORD
	v_mov_b32_e32 v17, v8
	s_and_saveexec_b32 s17, s4
	s_cbranch_execz .LBB187_1301
; %bb.1296:                             ;   in Loop: Header=BB187_809 Depth=1
	v_mov_b32_e32 v6, 0xffff
	v_mov_b32_e32 v11, v7
	;; [unrolled: 1-line block ×3, first 2 shown]
	s_mov_b32 s20, exec_lo
	v_and_b32_sdwa v6, v6, v13 dst_sel:DWORD dst_unused:UNUSED_PAD src0_sel:DWORD src1_sel:BYTE_1
	v_mov_b32_e32 v17, v11
	v_and_b32_e32 v10, 0x7f, v6
	v_cmpx_ne_u32_e32 0x7f, v10
	s_cbranch_execz .LBB187_1300
; %bb.1297:                             ;   in Loop: Header=BB187_809 Depth=1
	v_and_b32_e32 v6, 7, v6
	v_lshrrev_b32_e32 v8, 3, v10
	s_mov_b32 s21, exec_lo
	v_cmpx_gt_u32_e32 8, v10
; %bb.1298:                             ;   in Loop: Header=BB187_809 Depth=1
	v_ffbh_u32_e32 v8, v6
	v_min_u32_e32 v8, 32, v8
	v_subrev_nc_u32_e32 v10, 28, v8
	v_sub_nc_u32_e32 v8, 29, v8
	v_lshlrev_b64 v[10:11], v10, v[6:7]
	v_and_b32_e32 v6, 7, v10
; %bb.1299:                             ;   in Loop: Header=BB187_809 Depth=1
	s_or_b32 exec_lo, exec_lo, s21
	v_lshlrev_b32_e32 v10, 16, v13
	v_lshlrev_b32_e32 v6, 20, v6
	v_lshl_add_u32 v8, v8, 23, 0x3c000000
	v_mov_b32_e32 v17, v7
	v_and_b32_e32 v10, 0x80000000, v10
	v_or3_b32 v18, v6, v10, v8
.LBB187_1300:                           ;   in Loop: Header=BB187_809 Depth=1
	s_or_b32 exec_lo, exec_lo, s20
.LBB187_1301:                           ;   in Loop: Header=BB187_809 Depth=1
	s_or_b32 exec_lo, exec_lo, s17
.LBB187_1302:                           ;   in Loop: Header=BB187_809 Depth=1
	s_or_b32 exec_lo, exec_lo, s15
	v_mov_b32_e32 v10, 0
	v_mov_b32_e32 v21, 0
	v_and_b32_sdwa v6, v13, v81 dst_sel:DWORD dst_unused:UNUSED_PAD src0_sel:WORD_1 src1_sel:DWORD
	v_mov_b32_e32 v11, 0
	v_mov_b32_e32 v22, 0
	s_mov_b32 s15, exec_lo
	v_cmpx_ne_u16_e32 0, v6
	s_cbranch_execz .LBB187_1310
; %bb.1303:                             ;   in Loop: Header=BB187_809 Depth=1
	v_bfrev_b32_e32 v21, 1
	v_mov_b32_e32 v22, 0
	s_mov_b32 s17, exec_lo
	v_cmpx_ne_u16_e32 0x80, v6
	s_cbranch_execz .LBB187_1309
; %bb.1304:                             ;   in Loop: Header=BB187_809 Depth=1
	v_mov_b32_e32 v21, 0x7f800001
	v_bfe_u32 v14, v13, 16, 7
	v_mov_b32_e32 v22, 0
	s_mov_b32 s20, exec_lo
	v_cmpx_ne_u32_e32 0x7f, v14
	s_cbranch_execz .LBB187_1308
; %bb.1305:                             ;   in Loop: Header=BB187_809 Depth=1
	v_mov_b32_e32 v6, 7
	v_lshrrev_b32_e32 v8, 3, v14
	s_mov_b32 s21, exec_lo
	v_and_b32_sdwa v6, v13, v6 dst_sel:DWORD dst_unused:UNUSED_PAD src0_sel:WORD_1 src1_sel:DWORD
	v_cmpx_gt_u32_e32 8, v14
; %bb.1306:                             ;   in Loop: Header=BB187_809 Depth=1
	v_ffbh_u32_e32 v8, v6
	v_min_u32_e32 v8, 32, v8
	v_subrev_nc_u32_e32 v14, 28, v8
	v_sub_nc_u32_e32 v8, 29, v8
	v_lshlrev_b64 v[21:22], v14, v[6:7]
	v_and_b32_e32 v6, 7, v21
; %bb.1307:                             ;   in Loop: Header=BB187_809 Depth=1
	s_or_b32 exec_lo, exec_lo, s21
	v_mov_b32_e32 v14, 24
	v_lshlrev_b32_e32 v6, 20, v6
	v_lshl_add_u32 v8, v8, 23, 0x3c000000
	v_lshlrev_b32_sdwa v14, v14, v13 dst_sel:DWORD dst_unused:UNUSED_PAD src0_sel:DWORD src1_sel:WORD_1
	v_and_b32_e32 v14, 0x80000000, v14
	v_or3_b32 v6, v6, v14, v8
	v_mov_b32_e32 v22, v7
	v_mov_b32_e32 v21, v6
.LBB187_1308:                           ;   in Loop: Header=BB187_809 Depth=1
	s_or_b32 exec_lo, exec_lo, s20
.LBB187_1309:                           ;   in Loop: Header=BB187_809 Depth=1
	s_or_b32 exec_lo, exec_lo, s17
.LBB187_1310:                           ;   in Loop: Header=BB187_809 Depth=1
	s_or_b32 exec_lo, exec_lo, s15
	s_mov_b32 s15, exec_lo
	v_cmpx_lt_u32_e32 0xffffff, v13
	s_cbranch_execz .LBB187_1318
; %bb.1311:                             ;   in Loop: Header=BB187_809 Depth=1
	v_mov_b32_e32 v8, v7
	v_mov_b32_e32 v11, v9
	v_cmp_ne_u32_sdwa s4, v13, v71 src0_sel:BYTE_3 src1_sel:DWORD
	v_mov_b32_e32 v10, v8
	s_and_saveexec_b32 s17, s4
	s_cbranch_execz .LBB187_1317
; %bb.1312:                             ;   in Loop: Header=BB187_809 Depth=1
	v_mov_b32_e32 v11, v7
	v_bfe_u32 v14, v13, 24, 7
	s_mov_b32 s20, exec_lo
	v_mov_b32_e32 v10, v11
	v_mov_b32_e32 v11, v12
	v_cmpx_ne_u32_e32 0x7f, v14
	s_cbranch_execz .LBB187_1316
; %bb.1313:                             ;   in Loop: Header=BB187_809 Depth=1
	v_mov_b32_e32 v6, 7
	v_lshrrev_b32_e32 v8, 3, v14
	s_mov_b32 s21, exec_lo
	v_and_b32_sdwa v6, v13, v6 dst_sel:DWORD dst_unused:UNUSED_PAD src0_sel:BYTE_3 src1_sel:DWORD
	v_cmpx_gt_u32_e32 8, v14
; %bb.1314:                             ;   in Loop: Header=BB187_809 Depth=1
	v_ffbh_u32_e32 v8, v6
	v_min_u32_e32 v8, 32, v8
	v_subrev_nc_u32_e32 v10, 28, v8
	v_sub_nc_u32_e32 v8, 29, v8
	v_lshlrev_b64 v[10:11], v10, v[6:7]
	v_and_b32_e32 v6, 7, v10
; %bb.1315:                             ;   in Loop: Header=BB187_809 Depth=1
	s_or_b32 exec_lo, exec_lo, s21
	v_mov_b32_e32 v10, 24
	v_lshlrev_b32_e32 v6, 20, v6
	v_lshl_add_u32 v8, v8, 23, 0x3c000000
	v_lshlrev_b32_sdwa v10, v10, v13 dst_sel:DWORD dst_unused:UNUSED_PAD src0_sel:DWORD src1_sel:BYTE_3
	v_and_b32_e32 v10, 0x80000000, v10
	v_or3_b32 v11, v6, v10, v8
	v_mov_b32_e32 v10, v7
.LBB187_1316:                           ;   in Loop: Header=BB187_809 Depth=1
	s_or_b32 exec_lo, exec_lo, s20
.LBB187_1317:                           ;   in Loop: Header=BB187_809 Depth=1
	s_or_b32 exec_lo, exec_lo, s17
.LBB187_1318:                           ;   in Loop: Header=BB187_809 Depth=1
	s_or_b32 exec_lo, exec_lo, s15
	v_or_b32_e32 v6, v18, v16
	v_or_b32_e32 v8, v17, v15
	;; [unrolled: 1-line block ×4, first 2 shown]
	v_mul_f32_e32 v28, v87, v6
	v_mul_f32_e32 v127, v87, v8
	;; [unrolled: 1-line block ×4, first 2 shown]
	s_and_saveexec_b32 s15, vcc_lo
	s_cbranch_execz .LBB187_1320
; %bb.1319:                             ;   in Loop: Header=BB187_809 Depth=1
	v_cmp_lt_i32_e64 s4, v100, v79
	v_cndmask_b32_e64 v127, 0, v127, s4
	v_cmp_lt_i32_e64 s4, v103, v79
	v_cndmask_b32_e64 v28, 0, v28, s4
	;; [unrolled: 2-line block ×4, first 2 shown]
.LBB187_1320:                           ;   in Loop: Header=BB187_809 Depth=1
	s_or_b32 exec_lo, exec_lo, s15
	flat_load_dword v13, v[0:1] offset:1920
	v_mov_b32_e32 v17, 0
	v_mov_b32_e32 v15, 0
	;; [unrolled: 1-line block ×4, first 2 shown]
	s_waitcnt vmcnt(0) lgkmcnt(0)
	v_cmp_ne_u16_sdwa s4, v13, v7 src0_sel:BYTE_0 src1_sel:DWORD
	s_and_saveexec_b32 s15, s4
	s_cbranch_execz .LBB187_1328
; %bb.1321:                             ;   in Loop: Header=BB187_809 Depth=1
	v_bfrev_b32_e32 v15, 1
	v_mov_b32_e32 v16, 0
	v_cmp_ne_u16_sdwa s4, v13, v71 src0_sel:BYTE_0 src1_sel:DWORD
	s_and_saveexec_b32 s17, s4
	s_cbranch_execz .LBB187_1327
; %bb.1322:                             ;   in Loop: Header=BB187_809 Depth=1
	v_mov_b32_e32 v15, 0x7f800001
	v_and_b32_e32 v10, 0x7f, v13
	v_mov_b32_e32 v16, 0
	s_mov_b32 s20, exec_lo
	v_cmpx_ne_u32_e32 0x7f, v10
	s_cbranch_execz .LBB187_1326
; %bb.1323:                             ;   in Loop: Header=BB187_809 Depth=1
	v_and_b32_e32 v6, 7, v13
	v_lshrrev_b32_e32 v8, 3, v10
	s_mov_b32 s21, exec_lo
	v_cmpx_gt_u32_e32 8, v10
; %bb.1324:                             ;   in Loop: Header=BB187_809 Depth=1
	v_ffbh_u32_e32 v8, v6
	v_min_u32_e32 v8, 32, v8
	v_subrev_nc_u32_e32 v10, 28, v8
	v_sub_nc_u32_e32 v8, 29, v8
	v_lshlrev_b64 v[10:11], v10, v[6:7]
	v_and_b32_e32 v6, 7, v10
; %bb.1325:                             ;   in Loop: Header=BB187_809 Depth=1
	s_or_b32 exec_lo, exec_lo, s21
	v_lshlrev_b32_e32 v10, 24, v13
	v_lshlrev_b32_e32 v6, 20, v6
	v_lshl_add_u32 v8, v8, 23, 0x3c000000
	v_and_b32_e32 v10, 0x80000000, v10
	v_or3_b32 v6, v6, v10, v8
	v_mov_b32_e32 v16, v7
	v_mov_b32_e32 v15, v6
.LBB187_1326:                           ;   in Loop: Header=BB187_809 Depth=1
	s_or_b32 exec_lo, exec_lo, s20
.LBB187_1327:                           ;   in Loop: Header=BB187_809 Depth=1
	s_or_b32 exec_lo, exec_lo, s17
.LBB187_1328:                           ;   in Loop: Header=BB187_809 Depth=1
	s_or_b32 exec_lo, exec_lo, s15
	v_cmp_ne_u16_sdwa s4, v13, v7 src0_sel:BYTE_1 src1_sel:DWORD
	s_and_saveexec_b32 s15, s4
	s_cbranch_execz .LBB187_1336
; %bb.1329:                             ;   in Loop: Header=BB187_809 Depth=1
	v_mov_b32_e32 v8, v7
	v_mov_b32_e32 v18, v9
	v_cmp_ne_u16_sdwa s4, v13, v71 src0_sel:BYTE_1 src1_sel:DWORD
	v_mov_b32_e32 v17, v8
	s_and_saveexec_b32 s17, s4
	s_cbranch_execz .LBB187_1335
; %bb.1330:                             ;   in Loop: Header=BB187_809 Depth=1
	v_mov_b32_e32 v6, 0xffff
	v_mov_b32_e32 v11, v7
	;; [unrolled: 1-line block ×3, first 2 shown]
	s_mov_b32 s20, exec_lo
	v_and_b32_sdwa v6, v6, v13 dst_sel:DWORD dst_unused:UNUSED_PAD src0_sel:DWORD src1_sel:BYTE_1
	v_mov_b32_e32 v17, v11
	v_and_b32_e32 v10, 0x7f, v6
	v_cmpx_ne_u32_e32 0x7f, v10
	s_cbranch_execz .LBB187_1334
; %bb.1331:                             ;   in Loop: Header=BB187_809 Depth=1
	v_and_b32_e32 v6, 7, v6
	v_lshrrev_b32_e32 v8, 3, v10
	s_mov_b32 s21, exec_lo
	v_cmpx_gt_u32_e32 8, v10
; %bb.1332:                             ;   in Loop: Header=BB187_809 Depth=1
	v_ffbh_u32_e32 v8, v6
	v_min_u32_e32 v8, 32, v8
	v_subrev_nc_u32_e32 v10, 28, v8
	v_sub_nc_u32_e32 v8, 29, v8
	v_lshlrev_b64 v[10:11], v10, v[6:7]
	v_and_b32_e32 v6, 7, v10
; %bb.1333:                             ;   in Loop: Header=BB187_809 Depth=1
	s_or_b32 exec_lo, exec_lo, s21
	v_lshlrev_b32_e32 v10, 16, v13
	v_lshlrev_b32_e32 v6, 20, v6
	v_lshl_add_u32 v8, v8, 23, 0x3c000000
	v_mov_b32_e32 v17, v7
	v_and_b32_e32 v10, 0x80000000, v10
	v_or3_b32 v18, v6, v10, v8
.LBB187_1334:                           ;   in Loop: Header=BB187_809 Depth=1
	s_or_b32 exec_lo, exec_lo, s20
.LBB187_1335:                           ;   in Loop: Header=BB187_809 Depth=1
	s_or_b32 exec_lo, exec_lo, s17
.LBB187_1336:                           ;   in Loop: Header=BB187_809 Depth=1
	s_or_b32 exec_lo, exec_lo, s15
	v_mov_b32_e32 v10, 0
	v_mov_b32_e32 v21, 0
	v_and_b32_sdwa v6, v13, v81 dst_sel:DWORD dst_unused:UNUSED_PAD src0_sel:WORD_1 src1_sel:DWORD
	v_mov_b32_e32 v11, 0
	v_mov_b32_e32 v22, 0
	s_mov_b32 s15, exec_lo
	v_cmpx_ne_u16_e32 0, v6
	s_cbranch_execz .LBB187_1344
; %bb.1337:                             ;   in Loop: Header=BB187_809 Depth=1
	v_bfrev_b32_e32 v21, 1
	v_mov_b32_e32 v22, 0
	s_mov_b32 s17, exec_lo
	v_cmpx_ne_u16_e32 0x80, v6
	s_cbranch_execz .LBB187_1343
; %bb.1338:                             ;   in Loop: Header=BB187_809 Depth=1
	v_mov_b32_e32 v21, 0x7f800001
	v_bfe_u32 v14, v13, 16, 7
	v_mov_b32_e32 v22, 0
	s_mov_b32 s20, exec_lo
	v_cmpx_ne_u32_e32 0x7f, v14
	s_cbranch_execz .LBB187_1342
; %bb.1339:                             ;   in Loop: Header=BB187_809 Depth=1
	v_mov_b32_e32 v6, 7
	v_lshrrev_b32_e32 v8, 3, v14
	s_mov_b32 s21, exec_lo
	v_and_b32_sdwa v6, v13, v6 dst_sel:DWORD dst_unused:UNUSED_PAD src0_sel:WORD_1 src1_sel:DWORD
	v_cmpx_gt_u32_e32 8, v14
; %bb.1340:                             ;   in Loop: Header=BB187_809 Depth=1
	v_ffbh_u32_e32 v8, v6
	v_min_u32_e32 v8, 32, v8
	v_subrev_nc_u32_e32 v14, 28, v8
	v_sub_nc_u32_e32 v8, 29, v8
	v_lshlrev_b64 v[21:22], v14, v[6:7]
	v_and_b32_e32 v6, 7, v21
; %bb.1341:                             ;   in Loop: Header=BB187_809 Depth=1
	s_or_b32 exec_lo, exec_lo, s21
	v_mov_b32_e32 v14, 24
	v_lshlrev_b32_e32 v6, 20, v6
	v_lshl_add_u32 v8, v8, 23, 0x3c000000
	v_lshlrev_b32_sdwa v14, v14, v13 dst_sel:DWORD dst_unused:UNUSED_PAD src0_sel:DWORD src1_sel:WORD_1
	v_and_b32_e32 v14, 0x80000000, v14
	v_or3_b32 v6, v6, v14, v8
	v_mov_b32_e32 v22, v7
	v_mov_b32_e32 v21, v6
.LBB187_1342:                           ;   in Loop: Header=BB187_809 Depth=1
	s_or_b32 exec_lo, exec_lo, s20
.LBB187_1343:                           ;   in Loop: Header=BB187_809 Depth=1
	s_or_b32 exec_lo, exec_lo, s17
.LBB187_1344:                           ;   in Loop: Header=BB187_809 Depth=1
	s_or_b32 exec_lo, exec_lo, s15
	s_mov_b32 s15, exec_lo
	v_cmpx_lt_u32_e32 0xffffff, v13
	s_cbranch_execz .LBB187_1352
; %bb.1345:                             ;   in Loop: Header=BB187_809 Depth=1
	v_mov_b32_e32 v8, v7
	v_mov_b32_e32 v11, v9
	v_cmp_ne_u32_sdwa s4, v13, v71 src0_sel:BYTE_3 src1_sel:DWORD
	v_mov_b32_e32 v10, v8
	s_and_saveexec_b32 s17, s4
	s_cbranch_execz .LBB187_1351
; %bb.1346:                             ;   in Loop: Header=BB187_809 Depth=1
	v_mov_b32_e32 v11, v7
	v_bfe_u32 v14, v13, 24, 7
	s_mov_b32 s20, exec_lo
	v_mov_b32_e32 v10, v11
	v_mov_b32_e32 v11, v12
	v_cmpx_ne_u32_e32 0x7f, v14
	s_cbranch_execz .LBB187_1350
; %bb.1347:                             ;   in Loop: Header=BB187_809 Depth=1
	v_mov_b32_e32 v6, 7
	v_lshrrev_b32_e32 v8, 3, v14
	s_mov_b32 s21, exec_lo
	v_and_b32_sdwa v6, v13, v6 dst_sel:DWORD dst_unused:UNUSED_PAD src0_sel:BYTE_3 src1_sel:DWORD
	v_cmpx_gt_u32_e32 8, v14
; %bb.1348:                             ;   in Loop: Header=BB187_809 Depth=1
	v_ffbh_u32_e32 v8, v6
	v_min_u32_e32 v8, 32, v8
	v_subrev_nc_u32_e32 v10, 28, v8
	v_sub_nc_u32_e32 v8, 29, v8
	v_lshlrev_b64 v[10:11], v10, v[6:7]
	v_and_b32_e32 v6, 7, v10
; %bb.1349:                             ;   in Loop: Header=BB187_809 Depth=1
	s_or_b32 exec_lo, exec_lo, s21
	v_mov_b32_e32 v10, 24
	v_lshlrev_b32_e32 v6, 20, v6
	v_lshl_add_u32 v8, v8, 23, 0x3c000000
	v_lshlrev_b32_sdwa v10, v10, v13 dst_sel:DWORD dst_unused:UNUSED_PAD src0_sel:DWORD src1_sel:BYTE_3
	v_and_b32_e32 v10, 0x80000000, v10
	v_or3_b32 v11, v6, v10, v8
	v_mov_b32_e32 v10, v7
.LBB187_1350:                           ;   in Loop: Header=BB187_809 Depth=1
	s_or_b32 exec_lo, exec_lo, s20
.LBB187_1351:                           ;   in Loop: Header=BB187_809 Depth=1
	s_or_b32 exec_lo, exec_lo, s17
.LBB187_1352:                           ;   in Loop: Header=BB187_809 Depth=1
	s_or_b32 exec_lo, exec_lo, s15
	v_or_b32_e32 v6, v18, v16
	v_or_b32_e32 v8, v17, v15
	;; [unrolled: 1-line block ×4, first 2 shown]
	v_mul_f32_e32 v14, v87, v6
	v_mul_f32_e32 v13, v87, v8
	;; [unrolled: 1-line block ×4, first 2 shown]
	s_and_saveexec_b32 s15, vcc_lo
	s_cbranch_execz .LBB187_1354
; %bb.1353:                             ;   in Loop: Header=BB187_809 Depth=1
	v_cmp_lt_i32_e64 s4, v100, v79
	v_cndmask_b32_e64 v13, 0, v13, s4
	v_cmp_lt_i32_e64 s4, v103, v79
	v_cndmask_b32_e64 v14, 0, v14, s4
	;; [unrolled: 2-line block ×4, first 2 shown]
.LBB187_1354:                           ;   in Loop: Header=BB187_809 Depth=1
	s_or_b32 exec_lo, exec_lo, s15
	v_add_co_u32 v0, s4, 0x800, v0
	v_add_co_ci_u32_e64 v1, null, 0, v1, s4
	v_mov_b32_e32 v17, 0
	v_mov_b32_e32 v15, 0
	;; [unrolled: 1-line block ×3, first 2 shown]
	flat_load_dword v29, v[0:1]
	v_mov_b32_e32 v16, 0
	s_waitcnt vmcnt(0) lgkmcnt(0)
	v_cmp_ne_u16_sdwa s4, v29, v7 src0_sel:BYTE_0 src1_sel:DWORD
	s_and_saveexec_b32 s15, s4
	s_cbranch_execz .LBB187_1362
; %bb.1355:                             ;   in Loop: Header=BB187_809 Depth=1
	v_bfrev_b32_e32 v15, 1
	v_mov_b32_e32 v16, 0
	v_cmp_ne_u16_sdwa s4, v29, v71 src0_sel:BYTE_0 src1_sel:DWORD
	s_and_saveexec_b32 s17, s4
	s_cbranch_execz .LBB187_1361
; %bb.1356:                             ;   in Loop: Header=BB187_809 Depth=1
	v_mov_b32_e32 v15, 0x7f800001
	v_and_b32_e32 v10, 0x7f, v29
	v_mov_b32_e32 v16, 0
	s_mov_b32 s20, exec_lo
	v_cmpx_ne_u32_e32 0x7f, v10
	s_cbranch_execz .LBB187_1360
; %bb.1357:                             ;   in Loop: Header=BB187_809 Depth=1
	v_and_b32_e32 v6, 7, v29
	v_lshrrev_b32_e32 v8, 3, v10
	s_mov_b32 s21, exec_lo
	v_cmpx_gt_u32_e32 8, v10
; %bb.1358:                             ;   in Loop: Header=BB187_809 Depth=1
	v_ffbh_u32_e32 v8, v6
	v_min_u32_e32 v8, 32, v8
	v_subrev_nc_u32_e32 v10, 28, v8
	v_sub_nc_u32_e32 v8, 29, v8
	v_lshlrev_b64 v[10:11], v10, v[6:7]
	v_and_b32_e32 v6, 7, v10
; %bb.1359:                             ;   in Loop: Header=BB187_809 Depth=1
	s_or_b32 exec_lo, exec_lo, s21
	v_lshlrev_b32_e32 v10, 24, v29
	v_lshlrev_b32_e32 v6, 20, v6
	v_lshl_add_u32 v8, v8, 23, 0x3c000000
	v_and_b32_e32 v10, 0x80000000, v10
	v_or3_b32 v6, v6, v10, v8
	v_mov_b32_e32 v16, v7
	v_mov_b32_e32 v15, v6
.LBB187_1360:                           ;   in Loop: Header=BB187_809 Depth=1
	s_or_b32 exec_lo, exec_lo, s20
.LBB187_1361:                           ;   in Loop: Header=BB187_809 Depth=1
	s_or_b32 exec_lo, exec_lo, s17
.LBB187_1362:                           ;   in Loop: Header=BB187_809 Depth=1
	s_or_b32 exec_lo, exec_lo, s15
	v_cmp_ne_u16_sdwa s4, v29, v7 src0_sel:BYTE_1 src1_sel:DWORD
	s_and_saveexec_b32 s15, s4
	s_cbranch_execz .LBB187_1370
; %bb.1363:                             ;   in Loop: Header=BB187_809 Depth=1
	v_mov_b32_e32 v8, v7
	v_mov_b32_e32 v18, v9
	v_cmp_ne_u16_sdwa s4, v29, v71 src0_sel:BYTE_1 src1_sel:DWORD
	v_mov_b32_e32 v17, v8
	s_and_saveexec_b32 s17, s4
	s_cbranch_execz .LBB187_1369
; %bb.1364:                             ;   in Loop: Header=BB187_809 Depth=1
	v_mov_b32_e32 v6, 0xffff
	v_mov_b32_e32 v11, v7
	;; [unrolled: 1-line block ×3, first 2 shown]
	s_mov_b32 s20, exec_lo
	v_and_b32_sdwa v6, v6, v29 dst_sel:DWORD dst_unused:UNUSED_PAD src0_sel:DWORD src1_sel:BYTE_1
	v_mov_b32_e32 v17, v11
	v_and_b32_e32 v10, 0x7f, v6
	v_cmpx_ne_u32_e32 0x7f, v10
	s_cbranch_execz .LBB187_1368
; %bb.1365:                             ;   in Loop: Header=BB187_809 Depth=1
	v_and_b32_e32 v6, 7, v6
	v_lshrrev_b32_e32 v8, 3, v10
	s_mov_b32 s21, exec_lo
	v_cmpx_gt_u32_e32 8, v10
; %bb.1366:                             ;   in Loop: Header=BB187_809 Depth=1
	v_ffbh_u32_e32 v8, v6
	v_min_u32_e32 v8, 32, v8
	v_subrev_nc_u32_e32 v10, 28, v8
	v_sub_nc_u32_e32 v8, 29, v8
	v_lshlrev_b64 v[10:11], v10, v[6:7]
	v_and_b32_e32 v6, 7, v10
; %bb.1367:                             ;   in Loop: Header=BB187_809 Depth=1
	s_or_b32 exec_lo, exec_lo, s21
	v_lshlrev_b32_e32 v10, 16, v29
	v_lshlrev_b32_e32 v6, 20, v6
	v_lshl_add_u32 v8, v8, 23, 0x3c000000
	v_mov_b32_e32 v17, v7
	v_and_b32_e32 v10, 0x80000000, v10
	v_or3_b32 v18, v6, v10, v8
.LBB187_1368:                           ;   in Loop: Header=BB187_809 Depth=1
	s_or_b32 exec_lo, exec_lo, s20
.LBB187_1369:                           ;   in Loop: Header=BB187_809 Depth=1
	s_or_b32 exec_lo, exec_lo, s17
.LBB187_1370:                           ;   in Loop: Header=BB187_809 Depth=1
	s_or_b32 exec_lo, exec_lo, s15
	v_mov_b32_e32 v10, 0
	v_mov_b32_e32 v21, 0
	v_and_b32_sdwa v6, v29, v81 dst_sel:DWORD dst_unused:UNUSED_PAD src0_sel:WORD_1 src1_sel:DWORD
	v_mov_b32_e32 v11, 0
	v_mov_b32_e32 v22, 0
	s_mov_b32 s15, exec_lo
	v_cmpx_ne_u16_e32 0, v6
	s_cbranch_execz .LBB187_1378
; %bb.1371:                             ;   in Loop: Header=BB187_809 Depth=1
	v_bfrev_b32_e32 v21, 1
	v_mov_b32_e32 v22, 0
	s_mov_b32 s17, exec_lo
	v_cmpx_ne_u16_e32 0x80, v6
	s_cbranch_execz .LBB187_1377
; %bb.1372:                             ;   in Loop: Header=BB187_809 Depth=1
	v_mov_b32_e32 v21, 0x7f800001
	v_bfe_u32 v30, v29, 16, 7
	v_mov_b32_e32 v22, 0
	s_mov_b32 s20, exec_lo
	v_cmpx_ne_u32_e32 0x7f, v30
	s_cbranch_execz .LBB187_1376
; %bb.1373:                             ;   in Loop: Header=BB187_809 Depth=1
	v_mov_b32_e32 v6, 7
	v_lshrrev_b32_e32 v8, 3, v30
	s_mov_b32 s21, exec_lo
	v_and_b32_sdwa v6, v29, v6 dst_sel:DWORD dst_unused:UNUSED_PAD src0_sel:WORD_1 src1_sel:DWORD
	v_cmpx_gt_u32_e32 8, v30
; %bb.1374:                             ;   in Loop: Header=BB187_809 Depth=1
	v_ffbh_u32_e32 v8, v6
	v_min_u32_e32 v8, 32, v8
	v_subrev_nc_u32_e32 v21, 28, v8
	v_sub_nc_u32_e32 v8, 29, v8
	v_lshlrev_b64 v[21:22], v21, v[6:7]
	v_and_b32_e32 v6, 7, v21
; %bb.1375:                             ;   in Loop: Header=BB187_809 Depth=1
	s_or_b32 exec_lo, exec_lo, s21
	v_mov_b32_e32 v21, 24
	v_lshlrev_b32_e32 v6, 20, v6
	v_lshl_add_u32 v8, v8, 23, 0x3c000000
	v_lshlrev_b32_sdwa v21, v21, v29 dst_sel:DWORD dst_unused:UNUSED_PAD src0_sel:DWORD src1_sel:WORD_1
	v_and_b32_e32 v21, 0x80000000, v21
	v_or3_b32 v6, v6, v21, v8
	v_mov_b32_e32 v22, v7
	v_mov_b32_e32 v21, v6
.LBB187_1376:                           ;   in Loop: Header=BB187_809 Depth=1
	s_or_b32 exec_lo, exec_lo, s20
.LBB187_1377:                           ;   in Loop: Header=BB187_809 Depth=1
	s_or_b32 exec_lo, exec_lo, s17
.LBB187_1378:                           ;   in Loop: Header=BB187_809 Depth=1
	s_or_b32 exec_lo, exec_lo, s15
	s_mov_b32 s15, exec_lo
	v_cmpx_lt_u32_e32 0xffffff, v29
	s_cbranch_execz .LBB187_1386
; %bb.1379:                             ;   in Loop: Header=BB187_809 Depth=1
	v_mov_b32_e32 v8, v7
	v_mov_b32_e32 v11, v9
	v_cmp_ne_u32_sdwa s4, v29, v71 src0_sel:BYTE_3 src1_sel:DWORD
	v_mov_b32_e32 v10, v8
	s_and_saveexec_b32 s17, s4
	s_cbranch_execz .LBB187_1385
; %bb.1380:                             ;   in Loop: Header=BB187_809 Depth=1
	v_mov_b32_e32 v11, v7
	v_bfe_u32 v30, v29, 24, 7
	s_mov_b32 s20, exec_lo
	v_mov_b32_e32 v10, v11
	v_mov_b32_e32 v11, v12
	v_cmpx_ne_u32_e32 0x7f, v30
	s_cbranch_execz .LBB187_1384
; %bb.1381:                             ;   in Loop: Header=BB187_809 Depth=1
	v_mov_b32_e32 v6, 7
	v_lshrrev_b32_e32 v8, 3, v30
	s_mov_b32 s21, exec_lo
	v_and_b32_sdwa v6, v29, v6 dst_sel:DWORD dst_unused:UNUSED_PAD src0_sel:BYTE_3 src1_sel:DWORD
	v_cmpx_gt_u32_e32 8, v30
; %bb.1382:                             ;   in Loop: Header=BB187_809 Depth=1
	v_ffbh_u32_e32 v8, v6
	v_min_u32_e32 v8, 32, v8
	v_subrev_nc_u32_e32 v10, 28, v8
	v_sub_nc_u32_e32 v8, 29, v8
	v_lshlrev_b64 v[10:11], v10, v[6:7]
	v_and_b32_e32 v6, 7, v10
; %bb.1383:                             ;   in Loop: Header=BB187_809 Depth=1
	s_or_b32 exec_lo, exec_lo, s21
	v_mov_b32_e32 v10, 24
	v_lshlrev_b32_e32 v6, 20, v6
	v_lshl_add_u32 v8, v8, 23, 0x3c000000
	v_lshlrev_b32_sdwa v10, v10, v29 dst_sel:DWORD dst_unused:UNUSED_PAD src0_sel:DWORD src1_sel:BYTE_3
	v_and_b32_e32 v10, 0x80000000, v10
	v_or3_b32 v11, v6, v10, v8
	v_mov_b32_e32 v10, v7
.LBB187_1384:                           ;   in Loop: Header=BB187_809 Depth=1
	s_or_b32 exec_lo, exec_lo, s20
.LBB187_1385:                           ;   in Loop: Header=BB187_809 Depth=1
	s_or_b32 exec_lo, exec_lo, s17
.LBB187_1386:                           ;   in Loop: Header=BB187_809 Depth=1
	s_or_b32 exec_lo, exec_lo, s15
	v_or_b32_e32 v6, v18, v16
	v_or_b32_e32 v8, v17, v15
	;; [unrolled: 1-line block ×4, first 2 shown]
	v_mul_f32_e32 v31, v87, v6
	v_mul_f32_e32 v30, v87, v8
	;; [unrolled: 1-line block ×4, first 2 shown]
	s_and_saveexec_b32 s15, vcc_lo
	s_cbranch_execz .LBB187_1388
; %bb.1387:                             ;   in Loop: Header=BB187_809 Depth=1
	v_cmp_lt_i32_e64 s4, v100, v79
	v_cndmask_b32_e64 v30, 0, v30, s4
	v_cmp_lt_i32_e64 s4, v103, v79
	v_cndmask_b32_e64 v31, 0, v31, s4
	v_cmp_lt_i32_e64 s4, v102, v79
	v_cndmask_b32_e64 v29, 0, v29, s4
	v_cmp_lt_i32_e64 s4, v101, v79
	v_cndmask_b32_e64 v85, 0, v85, s4
.LBB187_1388:                           ;   in Loop: Header=BB187_809 Depth=1
	s_or_b32 exec_lo, exec_lo, s15
	flat_load_dword v32, v[0:1] offset:128
	v_mov_b32_e32 v17, 0
	v_mov_b32_e32 v15, 0
	;; [unrolled: 1-line block ×4, first 2 shown]
	s_waitcnt vmcnt(0) lgkmcnt(0)
	v_cmp_ne_u16_sdwa s4, v32, v7 src0_sel:BYTE_0 src1_sel:DWORD
	s_and_saveexec_b32 s15, s4
	s_cbranch_execz .LBB187_1396
; %bb.1389:                             ;   in Loop: Header=BB187_809 Depth=1
	v_bfrev_b32_e32 v15, 1
	v_mov_b32_e32 v16, 0
	v_cmp_ne_u16_sdwa s4, v32, v71 src0_sel:BYTE_0 src1_sel:DWORD
	s_and_saveexec_b32 s17, s4
	s_cbranch_execz .LBB187_1395
; %bb.1390:                             ;   in Loop: Header=BB187_809 Depth=1
	v_mov_b32_e32 v15, 0x7f800001
	v_and_b32_e32 v10, 0x7f, v32
	v_mov_b32_e32 v16, 0
	s_mov_b32 s20, exec_lo
	v_cmpx_ne_u32_e32 0x7f, v10
	s_cbranch_execz .LBB187_1394
; %bb.1391:                             ;   in Loop: Header=BB187_809 Depth=1
	v_and_b32_e32 v6, 7, v32
	v_lshrrev_b32_e32 v8, 3, v10
	s_mov_b32 s21, exec_lo
	v_cmpx_gt_u32_e32 8, v10
; %bb.1392:                             ;   in Loop: Header=BB187_809 Depth=1
	v_ffbh_u32_e32 v8, v6
	v_min_u32_e32 v8, 32, v8
	v_subrev_nc_u32_e32 v10, 28, v8
	v_sub_nc_u32_e32 v8, 29, v8
	v_lshlrev_b64 v[10:11], v10, v[6:7]
	v_and_b32_e32 v6, 7, v10
; %bb.1393:                             ;   in Loop: Header=BB187_809 Depth=1
	s_or_b32 exec_lo, exec_lo, s21
	v_lshlrev_b32_e32 v10, 24, v32
	v_lshlrev_b32_e32 v6, 20, v6
	v_lshl_add_u32 v8, v8, 23, 0x3c000000
	v_and_b32_e32 v10, 0x80000000, v10
	v_or3_b32 v6, v6, v10, v8
	v_mov_b32_e32 v16, v7
	v_mov_b32_e32 v15, v6
.LBB187_1394:                           ;   in Loop: Header=BB187_809 Depth=1
	s_or_b32 exec_lo, exec_lo, s20
.LBB187_1395:                           ;   in Loop: Header=BB187_809 Depth=1
	s_or_b32 exec_lo, exec_lo, s17
.LBB187_1396:                           ;   in Loop: Header=BB187_809 Depth=1
	s_or_b32 exec_lo, exec_lo, s15
	v_cmp_ne_u16_sdwa s4, v32, v7 src0_sel:BYTE_1 src1_sel:DWORD
	s_and_saveexec_b32 s15, s4
	s_cbranch_execz .LBB187_1404
; %bb.1397:                             ;   in Loop: Header=BB187_809 Depth=1
	v_mov_b32_e32 v8, v7
	v_mov_b32_e32 v18, v9
	v_cmp_ne_u16_sdwa s4, v32, v71 src0_sel:BYTE_1 src1_sel:DWORD
	v_mov_b32_e32 v17, v8
	s_and_saveexec_b32 s17, s4
	s_cbranch_execz .LBB187_1403
; %bb.1398:                             ;   in Loop: Header=BB187_809 Depth=1
	v_mov_b32_e32 v6, 0xffff
	v_mov_b32_e32 v11, v7
	v_mov_b32_e32 v18, v12
	s_mov_b32 s20, exec_lo
	v_and_b32_sdwa v6, v6, v32 dst_sel:DWORD dst_unused:UNUSED_PAD src0_sel:DWORD src1_sel:BYTE_1
	v_mov_b32_e32 v17, v11
	v_and_b32_e32 v10, 0x7f, v6
	v_cmpx_ne_u32_e32 0x7f, v10
	s_cbranch_execz .LBB187_1402
; %bb.1399:                             ;   in Loop: Header=BB187_809 Depth=1
	v_and_b32_e32 v6, 7, v6
	v_lshrrev_b32_e32 v8, 3, v10
	s_mov_b32 s21, exec_lo
	v_cmpx_gt_u32_e32 8, v10
; %bb.1400:                             ;   in Loop: Header=BB187_809 Depth=1
	v_ffbh_u32_e32 v8, v6
	v_min_u32_e32 v8, 32, v8
	v_subrev_nc_u32_e32 v10, 28, v8
	v_sub_nc_u32_e32 v8, 29, v8
	v_lshlrev_b64 v[10:11], v10, v[6:7]
	v_and_b32_e32 v6, 7, v10
; %bb.1401:                             ;   in Loop: Header=BB187_809 Depth=1
	s_or_b32 exec_lo, exec_lo, s21
	v_lshlrev_b32_e32 v10, 16, v32
	v_lshlrev_b32_e32 v6, 20, v6
	v_lshl_add_u32 v8, v8, 23, 0x3c000000
	v_mov_b32_e32 v17, v7
	v_and_b32_e32 v10, 0x80000000, v10
	v_or3_b32 v18, v6, v10, v8
.LBB187_1402:                           ;   in Loop: Header=BB187_809 Depth=1
	s_or_b32 exec_lo, exec_lo, s20
.LBB187_1403:                           ;   in Loop: Header=BB187_809 Depth=1
	s_or_b32 exec_lo, exec_lo, s17
.LBB187_1404:                           ;   in Loop: Header=BB187_809 Depth=1
	s_or_b32 exec_lo, exec_lo, s15
	v_mov_b32_e32 v10, 0
	v_mov_b32_e32 v21, 0
	v_and_b32_sdwa v6, v32, v81 dst_sel:DWORD dst_unused:UNUSED_PAD src0_sel:WORD_1 src1_sel:DWORD
	v_mov_b32_e32 v11, 0
	v_mov_b32_e32 v22, 0
	s_mov_b32 s15, exec_lo
	v_cmpx_ne_u16_e32 0, v6
	s_cbranch_execz .LBB187_1412
; %bb.1405:                             ;   in Loop: Header=BB187_809 Depth=1
	v_bfrev_b32_e32 v21, 1
	v_mov_b32_e32 v22, 0
	s_mov_b32 s17, exec_lo
	v_cmpx_ne_u16_e32 0x80, v6
	s_cbranch_execz .LBB187_1411
; %bb.1406:                             ;   in Loop: Header=BB187_809 Depth=1
	v_mov_b32_e32 v21, 0x7f800001
	v_bfe_u32 v33, v32, 16, 7
	v_mov_b32_e32 v22, 0
	s_mov_b32 s20, exec_lo
	v_cmpx_ne_u32_e32 0x7f, v33
	s_cbranch_execz .LBB187_1410
; %bb.1407:                             ;   in Loop: Header=BB187_809 Depth=1
	v_mov_b32_e32 v6, 7
	v_lshrrev_b32_e32 v8, 3, v33
	s_mov_b32 s21, exec_lo
	v_and_b32_sdwa v6, v32, v6 dst_sel:DWORD dst_unused:UNUSED_PAD src0_sel:WORD_1 src1_sel:DWORD
	v_cmpx_gt_u32_e32 8, v33
; %bb.1408:                             ;   in Loop: Header=BB187_809 Depth=1
	v_ffbh_u32_e32 v8, v6
	v_min_u32_e32 v8, 32, v8
	v_subrev_nc_u32_e32 v21, 28, v8
	v_sub_nc_u32_e32 v8, 29, v8
	v_lshlrev_b64 v[21:22], v21, v[6:7]
	v_and_b32_e32 v6, 7, v21
; %bb.1409:                             ;   in Loop: Header=BB187_809 Depth=1
	s_or_b32 exec_lo, exec_lo, s21
	v_mov_b32_e32 v21, 24
	v_lshlrev_b32_e32 v6, 20, v6
	v_lshl_add_u32 v8, v8, 23, 0x3c000000
	v_lshlrev_b32_sdwa v21, v21, v32 dst_sel:DWORD dst_unused:UNUSED_PAD src0_sel:DWORD src1_sel:WORD_1
	v_and_b32_e32 v21, 0x80000000, v21
	v_or3_b32 v6, v6, v21, v8
	v_mov_b32_e32 v22, v7
	v_mov_b32_e32 v21, v6
.LBB187_1410:                           ;   in Loop: Header=BB187_809 Depth=1
	s_or_b32 exec_lo, exec_lo, s20
.LBB187_1411:                           ;   in Loop: Header=BB187_809 Depth=1
	s_or_b32 exec_lo, exec_lo, s17
.LBB187_1412:                           ;   in Loop: Header=BB187_809 Depth=1
	s_or_b32 exec_lo, exec_lo, s15
	s_mov_b32 s15, exec_lo
	v_cmpx_lt_u32_e32 0xffffff, v32
	s_cbranch_execz .LBB187_1420
; %bb.1413:                             ;   in Loop: Header=BB187_809 Depth=1
	v_mov_b32_e32 v8, v7
	v_mov_b32_e32 v11, v9
	v_cmp_ne_u32_sdwa s4, v32, v71 src0_sel:BYTE_3 src1_sel:DWORD
	v_mov_b32_e32 v10, v8
	s_and_saveexec_b32 s17, s4
	s_cbranch_execz .LBB187_1419
; %bb.1414:                             ;   in Loop: Header=BB187_809 Depth=1
	v_mov_b32_e32 v11, v7
	v_bfe_u32 v33, v32, 24, 7
	s_mov_b32 s20, exec_lo
	v_mov_b32_e32 v10, v11
	v_mov_b32_e32 v11, v12
	v_cmpx_ne_u32_e32 0x7f, v33
	s_cbranch_execz .LBB187_1418
; %bb.1415:                             ;   in Loop: Header=BB187_809 Depth=1
	v_mov_b32_e32 v6, 7
	v_lshrrev_b32_e32 v8, 3, v33
	s_mov_b32 s21, exec_lo
	v_and_b32_sdwa v6, v32, v6 dst_sel:DWORD dst_unused:UNUSED_PAD src0_sel:BYTE_3 src1_sel:DWORD
	v_cmpx_gt_u32_e32 8, v33
; %bb.1416:                             ;   in Loop: Header=BB187_809 Depth=1
	v_ffbh_u32_e32 v8, v6
	v_min_u32_e32 v8, 32, v8
	v_subrev_nc_u32_e32 v10, 28, v8
	v_sub_nc_u32_e32 v8, 29, v8
	v_lshlrev_b64 v[10:11], v10, v[6:7]
	v_and_b32_e32 v6, 7, v10
; %bb.1417:                             ;   in Loop: Header=BB187_809 Depth=1
	s_or_b32 exec_lo, exec_lo, s21
	v_mov_b32_e32 v10, 24
	v_lshlrev_b32_e32 v6, 20, v6
	v_lshl_add_u32 v8, v8, 23, 0x3c000000
	v_lshlrev_b32_sdwa v10, v10, v32 dst_sel:DWORD dst_unused:UNUSED_PAD src0_sel:DWORD src1_sel:BYTE_3
	v_and_b32_e32 v10, 0x80000000, v10
	v_or3_b32 v11, v6, v10, v8
	v_mov_b32_e32 v10, v7
.LBB187_1418:                           ;   in Loop: Header=BB187_809 Depth=1
	s_or_b32 exec_lo, exec_lo, s20
.LBB187_1419:                           ;   in Loop: Header=BB187_809 Depth=1
	s_or_b32 exec_lo, exec_lo, s17
.LBB187_1420:                           ;   in Loop: Header=BB187_809 Depth=1
	s_or_b32 exec_lo, exec_lo, s15
	v_or_b32_e32 v6, v18, v16
	v_or_b32_e32 v8, v17, v15
	;; [unrolled: 1-line block ×4, first 2 shown]
	v_mul_f32_e32 v35, v87, v6
	v_mul_f32_e32 v34, v87, v8
	;; [unrolled: 1-line block ×4, first 2 shown]
	s_and_saveexec_b32 s15, vcc_lo
	s_cbranch_execz .LBB187_1422
; %bb.1421:                             ;   in Loop: Header=BB187_809 Depth=1
	v_cmp_lt_i32_e64 s4, v100, v79
	v_cndmask_b32_e64 v34, 0, v34, s4
	v_cmp_lt_i32_e64 s4, v103, v79
	v_cndmask_b32_e64 v35, 0, v35, s4
	;; [unrolled: 2-line block ×4, first 2 shown]
.LBB187_1422:                           ;   in Loop: Header=BB187_809 Depth=1
	s_or_b32 exec_lo, exec_lo, s15
	flat_load_dword v36, v[0:1] offset:256
	v_mov_b32_e32 v17, 0
	v_mov_b32_e32 v15, 0
	;; [unrolled: 1-line block ×4, first 2 shown]
	s_waitcnt vmcnt(0) lgkmcnt(0)
	v_cmp_ne_u16_sdwa s4, v36, v7 src0_sel:BYTE_0 src1_sel:DWORD
	s_and_saveexec_b32 s15, s4
	s_cbranch_execz .LBB187_1430
; %bb.1423:                             ;   in Loop: Header=BB187_809 Depth=1
	v_bfrev_b32_e32 v15, 1
	v_mov_b32_e32 v16, 0
	v_cmp_ne_u16_sdwa s4, v36, v71 src0_sel:BYTE_0 src1_sel:DWORD
	s_and_saveexec_b32 s17, s4
	s_cbranch_execz .LBB187_1429
; %bb.1424:                             ;   in Loop: Header=BB187_809 Depth=1
	v_mov_b32_e32 v15, 0x7f800001
	v_and_b32_e32 v10, 0x7f, v36
	v_mov_b32_e32 v16, 0
	s_mov_b32 s20, exec_lo
	v_cmpx_ne_u32_e32 0x7f, v10
	s_cbranch_execz .LBB187_1428
; %bb.1425:                             ;   in Loop: Header=BB187_809 Depth=1
	v_and_b32_e32 v6, 7, v36
	v_lshrrev_b32_e32 v8, 3, v10
	s_mov_b32 s21, exec_lo
	v_cmpx_gt_u32_e32 8, v10
; %bb.1426:                             ;   in Loop: Header=BB187_809 Depth=1
	v_ffbh_u32_e32 v8, v6
	v_min_u32_e32 v8, 32, v8
	v_subrev_nc_u32_e32 v10, 28, v8
	v_sub_nc_u32_e32 v8, 29, v8
	v_lshlrev_b64 v[10:11], v10, v[6:7]
	v_and_b32_e32 v6, 7, v10
; %bb.1427:                             ;   in Loop: Header=BB187_809 Depth=1
	s_or_b32 exec_lo, exec_lo, s21
	v_lshlrev_b32_e32 v10, 24, v36
	v_lshlrev_b32_e32 v6, 20, v6
	v_lshl_add_u32 v8, v8, 23, 0x3c000000
	v_and_b32_e32 v10, 0x80000000, v10
	v_or3_b32 v6, v6, v10, v8
	v_mov_b32_e32 v16, v7
	v_mov_b32_e32 v15, v6
.LBB187_1428:                           ;   in Loop: Header=BB187_809 Depth=1
	s_or_b32 exec_lo, exec_lo, s20
.LBB187_1429:                           ;   in Loop: Header=BB187_809 Depth=1
	s_or_b32 exec_lo, exec_lo, s17
.LBB187_1430:                           ;   in Loop: Header=BB187_809 Depth=1
	s_or_b32 exec_lo, exec_lo, s15
	v_cmp_ne_u16_sdwa s4, v36, v7 src0_sel:BYTE_1 src1_sel:DWORD
	s_and_saveexec_b32 s15, s4
	s_cbranch_execz .LBB187_1438
; %bb.1431:                             ;   in Loop: Header=BB187_809 Depth=1
	v_mov_b32_e32 v8, v7
	v_mov_b32_e32 v18, v9
	v_cmp_ne_u16_sdwa s4, v36, v71 src0_sel:BYTE_1 src1_sel:DWORD
	v_mov_b32_e32 v17, v8
	s_and_saveexec_b32 s17, s4
	s_cbranch_execz .LBB187_1437
; %bb.1432:                             ;   in Loop: Header=BB187_809 Depth=1
	v_mov_b32_e32 v6, 0xffff
	v_mov_b32_e32 v11, v7
	;; [unrolled: 1-line block ×3, first 2 shown]
	s_mov_b32 s20, exec_lo
	v_and_b32_sdwa v6, v6, v36 dst_sel:DWORD dst_unused:UNUSED_PAD src0_sel:DWORD src1_sel:BYTE_1
	v_mov_b32_e32 v17, v11
	v_and_b32_e32 v10, 0x7f, v6
	v_cmpx_ne_u32_e32 0x7f, v10
	s_cbranch_execz .LBB187_1436
; %bb.1433:                             ;   in Loop: Header=BB187_809 Depth=1
	v_and_b32_e32 v6, 7, v6
	v_lshrrev_b32_e32 v8, 3, v10
	s_mov_b32 s21, exec_lo
	v_cmpx_gt_u32_e32 8, v10
; %bb.1434:                             ;   in Loop: Header=BB187_809 Depth=1
	v_ffbh_u32_e32 v8, v6
	v_min_u32_e32 v8, 32, v8
	v_subrev_nc_u32_e32 v10, 28, v8
	v_sub_nc_u32_e32 v8, 29, v8
	v_lshlrev_b64 v[10:11], v10, v[6:7]
	v_and_b32_e32 v6, 7, v10
; %bb.1435:                             ;   in Loop: Header=BB187_809 Depth=1
	s_or_b32 exec_lo, exec_lo, s21
	v_lshlrev_b32_e32 v10, 16, v36
	v_lshlrev_b32_e32 v6, 20, v6
	v_lshl_add_u32 v8, v8, 23, 0x3c000000
	v_mov_b32_e32 v17, v7
	v_and_b32_e32 v10, 0x80000000, v10
	v_or3_b32 v18, v6, v10, v8
.LBB187_1436:                           ;   in Loop: Header=BB187_809 Depth=1
	s_or_b32 exec_lo, exec_lo, s20
.LBB187_1437:                           ;   in Loop: Header=BB187_809 Depth=1
	s_or_b32 exec_lo, exec_lo, s17
.LBB187_1438:                           ;   in Loop: Header=BB187_809 Depth=1
	s_or_b32 exec_lo, exec_lo, s15
	v_mov_b32_e32 v10, 0
	v_mov_b32_e32 v21, 0
	v_and_b32_sdwa v6, v36, v81 dst_sel:DWORD dst_unused:UNUSED_PAD src0_sel:WORD_1 src1_sel:DWORD
	v_mov_b32_e32 v11, 0
	v_mov_b32_e32 v22, 0
	s_mov_b32 s15, exec_lo
	v_cmpx_ne_u16_e32 0, v6
	s_cbranch_execz .LBB187_1446
; %bb.1439:                             ;   in Loop: Header=BB187_809 Depth=1
	v_bfrev_b32_e32 v21, 1
	v_mov_b32_e32 v22, 0
	s_mov_b32 s17, exec_lo
	v_cmpx_ne_u16_e32 0x80, v6
	s_cbranch_execz .LBB187_1445
; %bb.1440:                             ;   in Loop: Header=BB187_809 Depth=1
	v_mov_b32_e32 v21, 0x7f800001
	v_bfe_u32 v37, v36, 16, 7
	v_mov_b32_e32 v22, 0
	s_mov_b32 s20, exec_lo
	v_cmpx_ne_u32_e32 0x7f, v37
	s_cbranch_execz .LBB187_1444
; %bb.1441:                             ;   in Loop: Header=BB187_809 Depth=1
	v_mov_b32_e32 v6, 7
	v_lshrrev_b32_e32 v8, 3, v37
	s_mov_b32 s21, exec_lo
	v_and_b32_sdwa v6, v36, v6 dst_sel:DWORD dst_unused:UNUSED_PAD src0_sel:WORD_1 src1_sel:DWORD
	v_cmpx_gt_u32_e32 8, v37
; %bb.1442:                             ;   in Loop: Header=BB187_809 Depth=1
	v_ffbh_u32_e32 v8, v6
	v_min_u32_e32 v8, 32, v8
	v_subrev_nc_u32_e32 v21, 28, v8
	v_sub_nc_u32_e32 v8, 29, v8
	v_lshlrev_b64 v[21:22], v21, v[6:7]
	v_and_b32_e32 v6, 7, v21
; %bb.1443:                             ;   in Loop: Header=BB187_809 Depth=1
	s_or_b32 exec_lo, exec_lo, s21
	v_mov_b32_e32 v21, 24
	v_lshlrev_b32_e32 v6, 20, v6
	v_lshl_add_u32 v8, v8, 23, 0x3c000000
	v_lshlrev_b32_sdwa v21, v21, v36 dst_sel:DWORD dst_unused:UNUSED_PAD src0_sel:DWORD src1_sel:WORD_1
	v_and_b32_e32 v21, 0x80000000, v21
	v_or3_b32 v6, v6, v21, v8
	v_mov_b32_e32 v22, v7
	v_mov_b32_e32 v21, v6
.LBB187_1444:                           ;   in Loop: Header=BB187_809 Depth=1
	s_or_b32 exec_lo, exec_lo, s20
.LBB187_1445:                           ;   in Loop: Header=BB187_809 Depth=1
	s_or_b32 exec_lo, exec_lo, s17
.LBB187_1446:                           ;   in Loop: Header=BB187_809 Depth=1
	s_or_b32 exec_lo, exec_lo, s15
	s_mov_b32 s15, exec_lo
	v_cmpx_lt_u32_e32 0xffffff, v36
	s_cbranch_execz .LBB187_1454
; %bb.1447:                             ;   in Loop: Header=BB187_809 Depth=1
	v_mov_b32_e32 v8, v7
	v_mov_b32_e32 v11, v9
	v_cmp_ne_u32_sdwa s4, v36, v71 src0_sel:BYTE_3 src1_sel:DWORD
	v_mov_b32_e32 v10, v8
	s_and_saveexec_b32 s17, s4
	s_cbranch_execz .LBB187_1453
; %bb.1448:                             ;   in Loop: Header=BB187_809 Depth=1
	v_mov_b32_e32 v11, v7
	v_bfe_u32 v37, v36, 24, 7
	s_mov_b32 s20, exec_lo
	v_mov_b32_e32 v10, v11
	v_mov_b32_e32 v11, v12
	v_cmpx_ne_u32_e32 0x7f, v37
	s_cbranch_execz .LBB187_1452
; %bb.1449:                             ;   in Loop: Header=BB187_809 Depth=1
	v_mov_b32_e32 v6, 7
	v_lshrrev_b32_e32 v8, 3, v37
	s_mov_b32 s21, exec_lo
	v_and_b32_sdwa v6, v36, v6 dst_sel:DWORD dst_unused:UNUSED_PAD src0_sel:BYTE_3 src1_sel:DWORD
	v_cmpx_gt_u32_e32 8, v37
; %bb.1450:                             ;   in Loop: Header=BB187_809 Depth=1
	v_ffbh_u32_e32 v8, v6
	v_min_u32_e32 v8, 32, v8
	v_subrev_nc_u32_e32 v10, 28, v8
	v_sub_nc_u32_e32 v8, 29, v8
	v_lshlrev_b64 v[10:11], v10, v[6:7]
	v_and_b32_e32 v6, 7, v10
; %bb.1451:                             ;   in Loop: Header=BB187_809 Depth=1
	s_or_b32 exec_lo, exec_lo, s21
	v_mov_b32_e32 v10, 24
	v_lshlrev_b32_e32 v6, 20, v6
	v_lshl_add_u32 v8, v8, 23, 0x3c000000
	v_lshlrev_b32_sdwa v10, v10, v36 dst_sel:DWORD dst_unused:UNUSED_PAD src0_sel:DWORD src1_sel:BYTE_3
	v_and_b32_e32 v10, 0x80000000, v10
	v_or3_b32 v11, v6, v10, v8
	v_mov_b32_e32 v10, v7
.LBB187_1452:                           ;   in Loop: Header=BB187_809 Depth=1
	s_or_b32 exec_lo, exec_lo, s20
.LBB187_1453:                           ;   in Loop: Header=BB187_809 Depth=1
	s_or_b32 exec_lo, exec_lo, s17
.LBB187_1454:                           ;   in Loop: Header=BB187_809 Depth=1
	s_or_b32 exec_lo, exec_lo, s15
	v_or_b32_e32 v6, v18, v16
	v_or_b32_e32 v8, v17, v15
	v_or_b32_e32 v10, v10, v21
	v_or_b32_e32 v11, v11, v22
	v_mul_f32_e32 v39, v87, v6
	v_mul_f32_e32 v38, v87, v8
	;; [unrolled: 1-line block ×4, first 2 shown]
	s_and_saveexec_b32 s15, vcc_lo
	s_cbranch_execz .LBB187_1456
; %bb.1455:                             ;   in Loop: Header=BB187_809 Depth=1
	v_cmp_lt_i32_e64 s4, v100, v79
	v_cndmask_b32_e64 v38, 0, v38, s4
	v_cmp_lt_i32_e64 s4, v103, v79
	v_cndmask_b32_e64 v39, 0, v39, s4
	;; [unrolled: 2-line block ×4, first 2 shown]
.LBB187_1456:                           ;   in Loop: Header=BB187_809 Depth=1
	s_or_b32 exec_lo, exec_lo, s15
	flat_load_dword v48, v[0:1] offset:384
	v_mov_b32_e32 v17, 0
	v_mov_b32_e32 v15, 0
	;; [unrolled: 1-line block ×4, first 2 shown]
	s_waitcnt vmcnt(0) lgkmcnt(0)
	v_cmp_ne_u16_sdwa s4, v48, v7 src0_sel:BYTE_0 src1_sel:DWORD
	s_and_saveexec_b32 s15, s4
	s_cbranch_execz .LBB187_1464
; %bb.1457:                             ;   in Loop: Header=BB187_809 Depth=1
	v_bfrev_b32_e32 v15, 1
	v_mov_b32_e32 v16, 0
	v_cmp_ne_u16_sdwa s4, v48, v71 src0_sel:BYTE_0 src1_sel:DWORD
	s_and_saveexec_b32 s17, s4
	s_cbranch_execz .LBB187_1463
; %bb.1458:                             ;   in Loop: Header=BB187_809 Depth=1
	v_mov_b32_e32 v15, 0x7f800001
	v_and_b32_e32 v10, 0x7f, v48
	v_mov_b32_e32 v16, 0
	s_mov_b32 s20, exec_lo
	v_cmpx_ne_u32_e32 0x7f, v10
	s_cbranch_execz .LBB187_1462
; %bb.1459:                             ;   in Loop: Header=BB187_809 Depth=1
	v_and_b32_e32 v6, 7, v48
	v_lshrrev_b32_e32 v8, 3, v10
	s_mov_b32 s21, exec_lo
	v_cmpx_gt_u32_e32 8, v10
; %bb.1460:                             ;   in Loop: Header=BB187_809 Depth=1
	v_ffbh_u32_e32 v8, v6
	v_min_u32_e32 v8, 32, v8
	v_subrev_nc_u32_e32 v10, 28, v8
	v_sub_nc_u32_e32 v8, 29, v8
	v_lshlrev_b64 v[10:11], v10, v[6:7]
	v_and_b32_e32 v6, 7, v10
; %bb.1461:                             ;   in Loop: Header=BB187_809 Depth=1
	s_or_b32 exec_lo, exec_lo, s21
	v_lshlrev_b32_e32 v10, 24, v48
	v_lshlrev_b32_e32 v6, 20, v6
	v_lshl_add_u32 v8, v8, 23, 0x3c000000
	v_and_b32_e32 v10, 0x80000000, v10
	v_or3_b32 v6, v6, v10, v8
	v_mov_b32_e32 v16, v7
	v_mov_b32_e32 v15, v6
.LBB187_1462:                           ;   in Loop: Header=BB187_809 Depth=1
	s_or_b32 exec_lo, exec_lo, s20
.LBB187_1463:                           ;   in Loop: Header=BB187_809 Depth=1
	s_or_b32 exec_lo, exec_lo, s17
.LBB187_1464:                           ;   in Loop: Header=BB187_809 Depth=1
	s_or_b32 exec_lo, exec_lo, s15
	v_cmp_ne_u16_sdwa s4, v48, v7 src0_sel:BYTE_1 src1_sel:DWORD
	s_and_saveexec_b32 s15, s4
	s_cbranch_execz .LBB187_1472
; %bb.1465:                             ;   in Loop: Header=BB187_809 Depth=1
	v_mov_b32_e32 v8, v7
	v_mov_b32_e32 v18, v9
	v_cmp_ne_u16_sdwa s4, v48, v71 src0_sel:BYTE_1 src1_sel:DWORD
	v_mov_b32_e32 v17, v8
	s_and_saveexec_b32 s17, s4
	s_cbranch_execz .LBB187_1471
; %bb.1466:                             ;   in Loop: Header=BB187_809 Depth=1
	v_mov_b32_e32 v6, 0xffff
	v_mov_b32_e32 v11, v7
	v_mov_b32_e32 v18, v12
	s_mov_b32 s20, exec_lo
	v_and_b32_sdwa v6, v6, v48 dst_sel:DWORD dst_unused:UNUSED_PAD src0_sel:DWORD src1_sel:BYTE_1
	v_mov_b32_e32 v17, v11
	v_and_b32_e32 v10, 0x7f, v6
	v_cmpx_ne_u32_e32 0x7f, v10
	s_cbranch_execz .LBB187_1470
; %bb.1467:                             ;   in Loop: Header=BB187_809 Depth=1
	v_and_b32_e32 v6, 7, v6
	v_lshrrev_b32_e32 v8, 3, v10
	s_mov_b32 s21, exec_lo
	v_cmpx_gt_u32_e32 8, v10
; %bb.1468:                             ;   in Loop: Header=BB187_809 Depth=1
	v_ffbh_u32_e32 v8, v6
	v_min_u32_e32 v8, 32, v8
	v_subrev_nc_u32_e32 v10, 28, v8
	v_sub_nc_u32_e32 v8, 29, v8
	v_lshlrev_b64 v[10:11], v10, v[6:7]
	v_and_b32_e32 v6, 7, v10
; %bb.1469:                             ;   in Loop: Header=BB187_809 Depth=1
	s_or_b32 exec_lo, exec_lo, s21
	v_lshlrev_b32_e32 v10, 16, v48
	v_lshlrev_b32_e32 v6, 20, v6
	v_lshl_add_u32 v8, v8, 23, 0x3c000000
	v_mov_b32_e32 v17, v7
	v_and_b32_e32 v10, 0x80000000, v10
	v_or3_b32 v18, v6, v10, v8
.LBB187_1470:                           ;   in Loop: Header=BB187_809 Depth=1
	s_or_b32 exec_lo, exec_lo, s20
.LBB187_1471:                           ;   in Loop: Header=BB187_809 Depth=1
	s_or_b32 exec_lo, exec_lo, s17
.LBB187_1472:                           ;   in Loop: Header=BB187_809 Depth=1
	s_or_b32 exec_lo, exec_lo, s15
	v_mov_b32_e32 v10, 0
	v_mov_b32_e32 v21, 0
	v_and_b32_sdwa v6, v48, v81 dst_sel:DWORD dst_unused:UNUSED_PAD src0_sel:WORD_1 src1_sel:DWORD
	v_mov_b32_e32 v11, 0
	v_mov_b32_e32 v22, 0
	s_mov_b32 s15, exec_lo
	v_cmpx_ne_u16_e32 0, v6
	s_cbranch_execz .LBB187_1480
; %bb.1473:                             ;   in Loop: Header=BB187_809 Depth=1
	v_bfrev_b32_e32 v21, 1
	v_mov_b32_e32 v22, 0
	s_mov_b32 s17, exec_lo
	v_cmpx_ne_u16_e32 0x80, v6
	s_cbranch_execz .LBB187_1479
; %bb.1474:                             ;   in Loop: Header=BB187_809 Depth=1
	v_mov_b32_e32 v21, 0x7f800001
	v_bfe_u32 v49, v48, 16, 7
	v_mov_b32_e32 v22, 0
	s_mov_b32 s20, exec_lo
	v_cmpx_ne_u32_e32 0x7f, v49
	s_cbranch_execz .LBB187_1478
; %bb.1475:                             ;   in Loop: Header=BB187_809 Depth=1
	v_mov_b32_e32 v6, 7
	v_lshrrev_b32_e32 v8, 3, v49
	s_mov_b32 s21, exec_lo
	v_and_b32_sdwa v6, v48, v6 dst_sel:DWORD dst_unused:UNUSED_PAD src0_sel:WORD_1 src1_sel:DWORD
	v_cmpx_gt_u32_e32 8, v49
; %bb.1476:                             ;   in Loop: Header=BB187_809 Depth=1
	v_ffbh_u32_e32 v8, v6
	v_min_u32_e32 v8, 32, v8
	v_subrev_nc_u32_e32 v21, 28, v8
	v_sub_nc_u32_e32 v8, 29, v8
	v_lshlrev_b64 v[21:22], v21, v[6:7]
	v_and_b32_e32 v6, 7, v21
; %bb.1477:                             ;   in Loop: Header=BB187_809 Depth=1
	s_or_b32 exec_lo, exec_lo, s21
	v_mov_b32_e32 v21, 24
	v_lshlrev_b32_e32 v6, 20, v6
	v_lshl_add_u32 v8, v8, 23, 0x3c000000
	v_lshlrev_b32_sdwa v21, v21, v48 dst_sel:DWORD dst_unused:UNUSED_PAD src0_sel:DWORD src1_sel:WORD_1
	v_and_b32_e32 v21, 0x80000000, v21
	v_or3_b32 v6, v6, v21, v8
	v_mov_b32_e32 v22, v7
	v_mov_b32_e32 v21, v6
.LBB187_1478:                           ;   in Loop: Header=BB187_809 Depth=1
	s_or_b32 exec_lo, exec_lo, s20
.LBB187_1479:                           ;   in Loop: Header=BB187_809 Depth=1
	s_or_b32 exec_lo, exec_lo, s17
.LBB187_1480:                           ;   in Loop: Header=BB187_809 Depth=1
	s_or_b32 exec_lo, exec_lo, s15
	s_mov_b32 s15, exec_lo
	v_cmpx_lt_u32_e32 0xffffff, v48
	s_cbranch_execz .LBB187_1488
; %bb.1481:                             ;   in Loop: Header=BB187_809 Depth=1
	v_mov_b32_e32 v8, v7
	v_mov_b32_e32 v11, v9
	v_cmp_ne_u32_sdwa s4, v48, v71 src0_sel:BYTE_3 src1_sel:DWORD
	v_mov_b32_e32 v10, v8
	s_and_saveexec_b32 s17, s4
	s_cbranch_execz .LBB187_1487
; %bb.1482:                             ;   in Loop: Header=BB187_809 Depth=1
	v_mov_b32_e32 v11, v7
	v_bfe_u32 v49, v48, 24, 7
	s_mov_b32 s20, exec_lo
	v_mov_b32_e32 v10, v11
	v_mov_b32_e32 v11, v12
	v_cmpx_ne_u32_e32 0x7f, v49
	s_cbranch_execz .LBB187_1486
; %bb.1483:                             ;   in Loop: Header=BB187_809 Depth=1
	v_mov_b32_e32 v6, 7
	v_lshrrev_b32_e32 v8, 3, v49
	s_mov_b32 s21, exec_lo
	v_and_b32_sdwa v6, v48, v6 dst_sel:DWORD dst_unused:UNUSED_PAD src0_sel:BYTE_3 src1_sel:DWORD
	v_cmpx_gt_u32_e32 8, v49
; %bb.1484:                             ;   in Loop: Header=BB187_809 Depth=1
	v_ffbh_u32_e32 v8, v6
	v_min_u32_e32 v8, 32, v8
	v_subrev_nc_u32_e32 v10, 28, v8
	v_sub_nc_u32_e32 v8, 29, v8
	v_lshlrev_b64 v[10:11], v10, v[6:7]
	v_and_b32_e32 v6, 7, v10
; %bb.1485:                             ;   in Loop: Header=BB187_809 Depth=1
	s_or_b32 exec_lo, exec_lo, s21
	v_mov_b32_e32 v10, 24
	v_lshlrev_b32_e32 v6, 20, v6
	v_lshl_add_u32 v8, v8, 23, 0x3c000000
	v_lshlrev_b32_sdwa v10, v10, v48 dst_sel:DWORD dst_unused:UNUSED_PAD src0_sel:DWORD src1_sel:BYTE_3
	v_and_b32_e32 v10, 0x80000000, v10
	v_or3_b32 v11, v6, v10, v8
	v_mov_b32_e32 v10, v7
.LBB187_1486:                           ;   in Loop: Header=BB187_809 Depth=1
	s_or_b32 exec_lo, exec_lo, s20
.LBB187_1487:                           ;   in Loop: Header=BB187_809 Depth=1
	s_or_b32 exec_lo, exec_lo, s17
.LBB187_1488:                           ;   in Loop: Header=BB187_809 Depth=1
	s_or_b32 exec_lo, exec_lo, s15
	v_or_b32_e32 v6, v18, v16
	v_or_b32_e32 v8, v17, v15
	;; [unrolled: 1-line block ×4, first 2 shown]
	v_mul_f32_e32 v51, v87, v6
	v_mul_f32_e32 v50, v87, v8
	;; [unrolled: 1-line block ×4, first 2 shown]
	s_and_saveexec_b32 s15, vcc_lo
	s_cbranch_execz .LBB187_1490
; %bb.1489:                             ;   in Loop: Header=BB187_809 Depth=1
	v_cmp_lt_i32_e64 s4, v100, v79
	v_cndmask_b32_e64 v50, 0, v50, s4
	v_cmp_lt_i32_e64 s4, v103, v79
	v_cndmask_b32_e64 v51, 0, v51, s4
	;; [unrolled: 2-line block ×4, first 2 shown]
.LBB187_1490:                           ;   in Loop: Header=BB187_809 Depth=1
	s_or_b32 exec_lo, exec_lo, s15
	flat_load_dword v52, v[0:1] offset:512
	v_mov_b32_e32 v17, 0
	v_mov_b32_e32 v15, 0
	v_mov_b32_e32 v18, 0
	v_mov_b32_e32 v16, 0
	s_waitcnt vmcnt(0) lgkmcnt(0)
	v_cmp_ne_u16_sdwa s4, v52, v7 src0_sel:BYTE_0 src1_sel:DWORD
	s_and_saveexec_b32 s15, s4
	s_cbranch_execz .LBB187_1498
; %bb.1491:                             ;   in Loop: Header=BB187_809 Depth=1
	v_bfrev_b32_e32 v15, 1
	v_mov_b32_e32 v16, 0
	v_cmp_ne_u16_sdwa s4, v52, v71 src0_sel:BYTE_0 src1_sel:DWORD
	s_and_saveexec_b32 s17, s4
	s_cbranch_execz .LBB187_1497
; %bb.1492:                             ;   in Loop: Header=BB187_809 Depth=1
	v_mov_b32_e32 v15, 0x7f800001
	v_and_b32_e32 v10, 0x7f, v52
	v_mov_b32_e32 v16, 0
	s_mov_b32 s20, exec_lo
	v_cmpx_ne_u32_e32 0x7f, v10
	s_cbranch_execz .LBB187_1496
; %bb.1493:                             ;   in Loop: Header=BB187_809 Depth=1
	v_and_b32_e32 v6, 7, v52
	v_lshrrev_b32_e32 v8, 3, v10
	s_mov_b32 s21, exec_lo
	v_cmpx_gt_u32_e32 8, v10
; %bb.1494:                             ;   in Loop: Header=BB187_809 Depth=1
	v_ffbh_u32_e32 v8, v6
	v_min_u32_e32 v8, 32, v8
	v_subrev_nc_u32_e32 v10, 28, v8
	v_sub_nc_u32_e32 v8, 29, v8
	v_lshlrev_b64 v[10:11], v10, v[6:7]
	v_and_b32_e32 v6, 7, v10
; %bb.1495:                             ;   in Loop: Header=BB187_809 Depth=1
	s_or_b32 exec_lo, exec_lo, s21
	v_lshlrev_b32_e32 v10, 24, v52
	v_lshlrev_b32_e32 v6, 20, v6
	v_lshl_add_u32 v8, v8, 23, 0x3c000000
	v_and_b32_e32 v10, 0x80000000, v10
	v_or3_b32 v6, v6, v10, v8
	v_mov_b32_e32 v16, v7
	v_mov_b32_e32 v15, v6
.LBB187_1496:                           ;   in Loop: Header=BB187_809 Depth=1
	s_or_b32 exec_lo, exec_lo, s20
.LBB187_1497:                           ;   in Loop: Header=BB187_809 Depth=1
	s_or_b32 exec_lo, exec_lo, s17
.LBB187_1498:                           ;   in Loop: Header=BB187_809 Depth=1
	s_or_b32 exec_lo, exec_lo, s15
	v_cmp_ne_u16_sdwa s4, v52, v7 src0_sel:BYTE_1 src1_sel:DWORD
	s_and_saveexec_b32 s15, s4
	s_cbranch_execz .LBB187_1506
; %bb.1499:                             ;   in Loop: Header=BB187_809 Depth=1
	v_mov_b32_e32 v8, v7
	v_mov_b32_e32 v18, v9
	v_cmp_ne_u16_sdwa s4, v52, v71 src0_sel:BYTE_1 src1_sel:DWORD
	v_mov_b32_e32 v17, v8
	s_and_saveexec_b32 s17, s4
	s_cbranch_execz .LBB187_1505
; %bb.1500:                             ;   in Loop: Header=BB187_809 Depth=1
	v_mov_b32_e32 v6, 0xffff
	v_mov_b32_e32 v11, v7
	;; [unrolled: 1-line block ×3, first 2 shown]
	s_mov_b32 s20, exec_lo
	v_and_b32_sdwa v6, v6, v52 dst_sel:DWORD dst_unused:UNUSED_PAD src0_sel:DWORD src1_sel:BYTE_1
	v_mov_b32_e32 v17, v11
	v_and_b32_e32 v10, 0x7f, v6
	v_cmpx_ne_u32_e32 0x7f, v10
	s_cbranch_execz .LBB187_1504
; %bb.1501:                             ;   in Loop: Header=BB187_809 Depth=1
	v_and_b32_e32 v6, 7, v6
	v_lshrrev_b32_e32 v8, 3, v10
	s_mov_b32 s21, exec_lo
	v_cmpx_gt_u32_e32 8, v10
; %bb.1502:                             ;   in Loop: Header=BB187_809 Depth=1
	v_ffbh_u32_e32 v8, v6
	v_min_u32_e32 v8, 32, v8
	v_subrev_nc_u32_e32 v10, 28, v8
	v_sub_nc_u32_e32 v8, 29, v8
	v_lshlrev_b64 v[10:11], v10, v[6:7]
	v_and_b32_e32 v6, 7, v10
; %bb.1503:                             ;   in Loop: Header=BB187_809 Depth=1
	s_or_b32 exec_lo, exec_lo, s21
	v_lshlrev_b32_e32 v10, 16, v52
	v_lshlrev_b32_e32 v6, 20, v6
	v_lshl_add_u32 v8, v8, 23, 0x3c000000
	v_mov_b32_e32 v17, v7
	v_and_b32_e32 v10, 0x80000000, v10
	v_or3_b32 v18, v6, v10, v8
.LBB187_1504:                           ;   in Loop: Header=BB187_809 Depth=1
	s_or_b32 exec_lo, exec_lo, s20
.LBB187_1505:                           ;   in Loop: Header=BB187_809 Depth=1
	s_or_b32 exec_lo, exec_lo, s17
.LBB187_1506:                           ;   in Loop: Header=BB187_809 Depth=1
	s_or_b32 exec_lo, exec_lo, s15
	v_mov_b32_e32 v10, 0
	v_mov_b32_e32 v21, 0
	v_and_b32_sdwa v6, v52, v81 dst_sel:DWORD dst_unused:UNUSED_PAD src0_sel:WORD_1 src1_sel:DWORD
	v_mov_b32_e32 v11, 0
	v_mov_b32_e32 v22, 0
	s_mov_b32 s15, exec_lo
	v_cmpx_ne_u16_e32 0, v6
	s_cbranch_execz .LBB187_1514
; %bb.1507:                             ;   in Loop: Header=BB187_809 Depth=1
	v_bfrev_b32_e32 v21, 1
	v_mov_b32_e32 v22, 0
	s_mov_b32 s17, exec_lo
	v_cmpx_ne_u16_e32 0x80, v6
	s_cbranch_execz .LBB187_1513
; %bb.1508:                             ;   in Loop: Header=BB187_809 Depth=1
	v_mov_b32_e32 v21, 0x7f800001
	v_bfe_u32 v53, v52, 16, 7
	v_mov_b32_e32 v22, 0
	s_mov_b32 s20, exec_lo
	v_cmpx_ne_u32_e32 0x7f, v53
	s_cbranch_execz .LBB187_1512
; %bb.1509:                             ;   in Loop: Header=BB187_809 Depth=1
	v_mov_b32_e32 v6, 7
	v_lshrrev_b32_e32 v8, 3, v53
	s_mov_b32 s21, exec_lo
	v_and_b32_sdwa v6, v52, v6 dst_sel:DWORD dst_unused:UNUSED_PAD src0_sel:WORD_1 src1_sel:DWORD
	v_cmpx_gt_u32_e32 8, v53
; %bb.1510:                             ;   in Loop: Header=BB187_809 Depth=1
	v_ffbh_u32_e32 v8, v6
	v_min_u32_e32 v8, 32, v8
	v_subrev_nc_u32_e32 v21, 28, v8
	v_sub_nc_u32_e32 v8, 29, v8
	v_lshlrev_b64 v[21:22], v21, v[6:7]
	v_and_b32_e32 v6, 7, v21
; %bb.1511:                             ;   in Loop: Header=BB187_809 Depth=1
	s_or_b32 exec_lo, exec_lo, s21
	v_mov_b32_e32 v21, 24
	v_lshlrev_b32_e32 v6, 20, v6
	v_lshl_add_u32 v8, v8, 23, 0x3c000000
	v_lshlrev_b32_sdwa v21, v21, v52 dst_sel:DWORD dst_unused:UNUSED_PAD src0_sel:DWORD src1_sel:WORD_1
	v_and_b32_e32 v21, 0x80000000, v21
	v_or3_b32 v6, v6, v21, v8
	v_mov_b32_e32 v22, v7
	v_mov_b32_e32 v21, v6
.LBB187_1512:                           ;   in Loop: Header=BB187_809 Depth=1
	s_or_b32 exec_lo, exec_lo, s20
.LBB187_1513:                           ;   in Loop: Header=BB187_809 Depth=1
	s_or_b32 exec_lo, exec_lo, s17
.LBB187_1514:                           ;   in Loop: Header=BB187_809 Depth=1
	s_or_b32 exec_lo, exec_lo, s15
	s_mov_b32 s15, exec_lo
	v_cmpx_lt_u32_e32 0xffffff, v52
	s_cbranch_execz .LBB187_1522
; %bb.1515:                             ;   in Loop: Header=BB187_809 Depth=1
	v_mov_b32_e32 v8, v7
	v_mov_b32_e32 v11, v9
	v_cmp_ne_u32_sdwa s4, v52, v71 src0_sel:BYTE_3 src1_sel:DWORD
	v_mov_b32_e32 v10, v8
	s_and_saveexec_b32 s17, s4
	s_cbranch_execz .LBB187_1521
; %bb.1516:                             ;   in Loop: Header=BB187_809 Depth=1
	v_mov_b32_e32 v11, v7
	v_bfe_u32 v53, v52, 24, 7
	s_mov_b32 s20, exec_lo
	v_mov_b32_e32 v10, v11
	v_mov_b32_e32 v11, v12
	v_cmpx_ne_u32_e32 0x7f, v53
	s_cbranch_execz .LBB187_1520
; %bb.1517:                             ;   in Loop: Header=BB187_809 Depth=1
	v_mov_b32_e32 v6, 7
	v_lshrrev_b32_e32 v8, 3, v53
	s_mov_b32 s21, exec_lo
	v_and_b32_sdwa v6, v52, v6 dst_sel:DWORD dst_unused:UNUSED_PAD src0_sel:BYTE_3 src1_sel:DWORD
	v_cmpx_gt_u32_e32 8, v53
; %bb.1518:                             ;   in Loop: Header=BB187_809 Depth=1
	v_ffbh_u32_e32 v8, v6
	v_min_u32_e32 v8, 32, v8
	v_subrev_nc_u32_e32 v10, 28, v8
	v_sub_nc_u32_e32 v8, 29, v8
	v_lshlrev_b64 v[10:11], v10, v[6:7]
	v_and_b32_e32 v6, 7, v10
; %bb.1519:                             ;   in Loop: Header=BB187_809 Depth=1
	s_or_b32 exec_lo, exec_lo, s21
	v_mov_b32_e32 v10, 24
	v_lshlrev_b32_e32 v6, 20, v6
	v_lshl_add_u32 v8, v8, 23, 0x3c000000
	v_lshlrev_b32_sdwa v10, v10, v52 dst_sel:DWORD dst_unused:UNUSED_PAD src0_sel:DWORD src1_sel:BYTE_3
	v_and_b32_e32 v10, 0x80000000, v10
	v_or3_b32 v11, v6, v10, v8
	v_mov_b32_e32 v10, v7
.LBB187_1520:                           ;   in Loop: Header=BB187_809 Depth=1
	s_or_b32 exec_lo, exec_lo, s20
.LBB187_1521:                           ;   in Loop: Header=BB187_809 Depth=1
	s_or_b32 exec_lo, exec_lo, s17
.LBB187_1522:                           ;   in Loop: Header=BB187_809 Depth=1
	s_or_b32 exec_lo, exec_lo, s15
	v_or_b32_e32 v6, v18, v16
	v_or_b32_e32 v8, v17, v15
	;; [unrolled: 1-line block ×4, first 2 shown]
	v_mul_f32_e32 v55, v87, v6
	v_mul_f32_e32 v54, v87, v8
	;; [unrolled: 1-line block ×4, first 2 shown]
	s_and_saveexec_b32 s15, vcc_lo
	s_cbranch_execz .LBB187_1524
; %bb.1523:                             ;   in Loop: Header=BB187_809 Depth=1
	v_cmp_lt_i32_e64 s4, v100, v79
	v_cndmask_b32_e64 v54, 0, v54, s4
	v_cmp_lt_i32_e64 s4, v103, v79
	v_cndmask_b32_e64 v55, 0, v55, s4
	;; [unrolled: 2-line block ×4, first 2 shown]
.LBB187_1524:                           ;   in Loop: Header=BB187_809 Depth=1
	s_or_b32 exec_lo, exec_lo, s15
	flat_load_dword v64, v[0:1] offset:640
	v_mov_b32_e32 v17, 0
	v_mov_b32_e32 v15, 0
	;; [unrolled: 1-line block ×4, first 2 shown]
	s_waitcnt vmcnt(0) lgkmcnt(0)
	v_cmp_ne_u16_sdwa s4, v64, v7 src0_sel:BYTE_0 src1_sel:DWORD
	s_and_saveexec_b32 s15, s4
	s_cbranch_execz .LBB187_1532
; %bb.1525:                             ;   in Loop: Header=BB187_809 Depth=1
	v_bfrev_b32_e32 v15, 1
	v_mov_b32_e32 v16, 0
	v_cmp_ne_u16_sdwa s4, v64, v71 src0_sel:BYTE_0 src1_sel:DWORD
	s_and_saveexec_b32 s17, s4
	s_cbranch_execz .LBB187_1531
; %bb.1526:                             ;   in Loop: Header=BB187_809 Depth=1
	v_mov_b32_e32 v15, 0x7f800001
	v_and_b32_e32 v10, 0x7f, v64
	v_mov_b32_e32 v16, 0
	s_mov_b32 s20, exec_lo
	v_cmpx_ne_u32_e32 0x7f, v10
	s_cbranch_execz .LBB187_1530
; %bb.1527:                             ;   in Loop: Header=BB187_809 Depth=1
	v_and_b32_e32 v6, 7, v64
	v_lshrrev_b32_e32 v8, 3, v10
	s_mov_b32 s21, exec_lo
	v_cmpx_gt_u32_e32 8, v10
; %bb.1528:                             ;   in Loop: Header=BB187_809 Depth=1
	v_ffbh_u32_e32 v8, v6
	v_min_u32_e32 v8, 32, v8
	v_subrev_nc_u32_e32 v10, 28, v8
	v_sub_nc_u32_e32 v8, 29, v8
	v_lshlrev_b64 v[10:11], v10, v[6:7]
	v_and_b32_e32 v6, 7, v10
; %bb.1529:                             ;   in Loop: Header=BB187_809 Depth=1
	s_or_b32 exec_lo, exec_lo, s21
	v_lshlrev_b32_e32 v10, 24, v64
	v_lshlrev_b32_e32 v6, 20, v6
	v_lshl_add_u32 v8, v8, 23, 0x3c000000
	v_and_b32_e32 v10, 0x80000000, v10
	v_or3_b32 v6, v6, v10, v8
	v_mov_b32_e32 v16, v7
	v_mov_b32_e32 v15, v6
.LBB187_1530:                           ;   in Loop: Header=BB187_809 Depth=1
	s_or_b32 exec_lo, exec_lo, s20
.LBB187_1531:                           ;   in Loop: Header=BB187_809 Depth=1
	s_or_b32 exec_lo, exec_lo, s17
.LBB187_1532:                           ;   in Loop: Header=BB187_809 Depth=1
	s_or_b32 exec_lo, exec_lo, s15
	v_cmp_ne_u16_sdwa s4, v64, v7 src0_sel:BYTE_1 src1_sel:DWORD
	s_and_saveexec_b32 s15, s4
	s_cbranch_execz .LBB187_1540
; %bb.1533:                             ;   in Loop: Header=BB187_809 Depth=1
	v_mov_b32_e32 v8, v7
	v_mov_b32_e32 v18, v9
	v_cmp_ne_u16_sdwa s4, v64, v71 src0_sel:BYTE_1 src1_sel:DWORD
	v_mov_b32_e32 v17, v8
	s_and_saveexec_b32 s17, s4
	s_cbranch_execz .LBB187_1539
; %bb.1534:                             ;   in Loop: Header=BB187_809 Depth=1
	v_mov_b32_e32 v6, 0xffff
	v_mov_b32_e32 v11, v7
	v_mov_b32_e32 v18, v12
	s_mov_b32 s20, exec_lo
	v_and_b32_sdwa v6, v6, v64 dst_sel:DWORD dst_unused:UNUSED_PAD src0_sel:DWORD src1_sel:BYTE_1
	v_mov_b32_e32 v17, v11
	v_and_b32_e32 v10, 0x7f, v6
	v_cmpx_ne_u32_e32 0x7f, v10
	s_cbranch_execz .LBB187_1538
; %bb.1535:                             ;   in Loop: Header=BB187_809 Depth=1
	v_and_b32_e32 v6, 7, v6
	v_lshrrev_b32_e32 v8, 3, v10
	s_mov_b32 s21, exec_lo
	v_cmpx_gt_u32_e32 8, v10
; %bb.1536:                             ;   in Loop: Header=BB187_809 Depth=1
	v_ffbh_u32_e32 v8, v6
	v_min_u32_e32 v8, 32, v8
	v_subrev_nc_u32_e32 v10, 28, v8
	v_sub_nc_u32_e32 v8, 29, v8
	v_lshlrev_b64 v[10:11], v10, v[6:7]
	v_and_b32_e32 v6, 7, v10
; %bb.1537:                             ;   in Loop: Header=BB187_809 Depth=1
	s_or_b32 exec_lo, exec_lo, s21
	v_lshlrev_b32_e32 v10, 16, v64
	v_lshlrev_b32_e32 v6, 20, v6
	v_lshl_add_u32 v8, v8, 23, 0x3c000000
	v_mov_b32_e32 v17, v7
	v_and_b32_e32 v10, 0x80000000, v10
	v_or3_b32 v18, v6, v10, v8
.LBB187_1538:                           ;   in Loop: Header=BB187_809 Depth=1
	s_or_b32 exec_lo, exec_lo, s20
.LBB187_1539:                           ;   in Loop: Header=BB187_809 Depth=1
	s_or_b32 exec_lo, exec_lo, s17
.LBB187_1540:                           ;   in Loop: Header=BB187_809 Depth=1
	s_or_b32 exec_lo, exec_lo, s15
	v_mov_b32_e32 v10, 0
	v_mov_b32_e32 v21, 0
	v_and_b32_sdwa v6, v64, v81 dst_sel:DWORD dst_unused:UNUSED_PAD src0_sel:WORD_1 src1_sel:DWORD
	v_mov_b32_e32 v11, 0
	v_mov_b32_e32 v22, 0
	s_mov_b32 s15, exec_lo
	v_cmpx_ne_u16_e32 0, v6
	s_cbranch_execz .LBB187_1548
; %bb.1541:                             ;   in Loop: Header=BB187_809 Depth=1
	v_bfrev_b32_e32 v21, 1
	v_mov_b32_e32 v22, 0
	s_mov_b32 s17, exec_lo
	v_cmpx_ne_u16_e32 0x80, v6
	s_cbranch_execz .LBB187_1547
; %bb.1542:                             ;   in Loop: Header=BB187_809 Depth=1
	v_mov_b32_e32 v21, 0x7f800001
	v_bfe_u32 v65, v64, 16, 7
	v_mov_b32_e32 v22, 0
	s_mov_b32 s20, exec_lo
	v_cmpx_ne_u32_e32 0x7f, v65
	s_cbranch_execz .LBB187_1546
; %bb.1543:                             ;   in Loop: Header=BB187_809 Depth=1
	v_mov_b32_e32 v6, 7
	v_lshrrev_b32_e32 v8, 3, v65
	s_mov_b32 s21, exec_lo
	v_and_b32_sdwa v6, v64, v6 dst_sel:DWORD dst_unused:UNUSED_PAD src0_sel:WORD_1 src1_sel:DWORD
	v_cmpx_gt_u32_e32 8, v65
; %bb.1544:                             ;   in Loop: Header=BB187_809 Depth=1
	v_ffbh_u32_e32 v8, v6
	v_min_u32_e32 v8, 32, v8
	v_subrev_nc_u32_e32 v21, 28, v8
	v_sub_nc_u32_e32 v8, 29, v8
	v_lshlrev_b64 v[21:22], v21, v[6:7]
	v_and_b32_e32 v6, 7, v21
; %bb.1545:                             ;   in Loop: Header=BB187_809 Depth=1
	s_or_b32 exec_lo, exec_lo, s21
	v_mov_b32_e32 v21, 24
	v_lshlrev_b32_e32 v6, 20, v6
	v_lshl_add_u32 v8, v8, 23, 0x3c000000
	v_lshlrev_b32_sdwa v21, v21, v64 dst_sel:DWORD dst_unused:UNUSED_PAD src0_sel:DWORD src1_sel:WORD_1
	v_and_b32_e32 v21, 0x80000000, v21
	v_or3_b32 v6, v6, v21, v8
	v_mov_b32_e32 v22, v7
	v_mov_b32_e32 v21, v6
.LBB187_1546:                           ;   in Loop: Header=BB187_809 Depth=1
	s_or_b32 exec_lo, exec_lo, s20
.LBB187_1547:                           ;   in Loop: Header=BB187_809 Depth=1
	s_or_b32 exec_lo, exec_lo, s17
.LBB187_1548:                           ;   in Loop: Header=BB187_809 Depth=1
	s_or_b32 exec_lo, exec_lo, s15
	s_mov_b32 s15, exec_lo
	v_cmpx_lt_u32_e32 0xffffff, v64
	s_cbranch_execz .LBB187_1556
; %bb.1549:                             ;   in Loop: Header=BB187_809 Depth=1
	v_mov_b32_e32 v8, v7
	v_mov_b32_e32 v11, v9
	v_cmp_ne_u32_sdwa s4, v64, v71 src0_sel:BYTE_3 src1_sel:DWORD
	v_mov_b32_e32 v10, v8
	s_and_saveexec_b32 s17, s4
	s_cbranch_execz .LBB187_1555
; %bb.1550:                             ;   in Loop: Header=BB187_809 Depth=1
	v_mov_b32_e32 v11, v7
	v_bfe_u32 v65, v64, 24, 7
	s_mov_b32 s20, exec_lo
	v_mov_b32_e32 v10, v11
	v_mov_b32_e32 v11, v12
	v_cmpx_ne_u32_e32 0x7f, v65
	s_cbranch_execz .LBB187_1554
; %bb.1551:                             ;   in Loop: Header=BB187_809 Depth=1
	v_mov_b32_e32 v6, 7
	v_lshrrev_b32_e32 v8, 3, v65
	s_mov_b32 s21, exec_lo
	v_and_b32_sdwa v6, v64, v6 dst_sel:DWORD dst_unused:UNUSED_PAD src0_sel:BYTE_3 src1_sel:DWORD
	v_cmpx_gt_u32_e32 8, v65
; %bb.1552:                             ;   in Loop: Header=BB187_809 Depth=1
	v_ffbh_u32_e32 v8, v6
	v_min_u32_e32 v8, 32, v8
	v_subrev_nc_u32_e32 v10, 28, v8
	v_sub_nc_u32_e32 v8, 29, v8
	v_lshlrev_b64 v[10:11], v10, v[6:7]
	v_and_b32_e32 v6, 7, v10
; %bb.1553:                             ;   in Loop: Header=BB187_809 Depth=1
	s_or_b32 exec_lo, exec_lo, s21
	v_mov_b32_e32 v10, 24
	v_lshlrev_b32_e32 v6, 20, v6
	v_lshl_add_u32 v8, v8, 23, 0x3c000000
	v_lshlrev_b32_sdwa v10, v10, v64 dst_sel:DWORD dst_unused:UNUSED_PAD src0_sel:DWORD src1_sel:BYTE_3
	v_and_b32_e32 v10, 0x80000000, v10
	v_or3_b32 v11, v6, v10, v8
	v_mov_b32_e32 v10, v7
.LBB187_1554:                           ;   in Loop: Header=BB187_809 Depth=1
	s_or_b32 exec_lo, exec_lo, s20
.LBB187_1555:                           ;   in Loop: Header=BB187_809 Depth=1
	s_or_b32 exec_lo, exec_lo, s17
.LBB187_1556:                           ;   in Loop: Header=BB187_809 Depth=1
	s_or_b32 exec_lo, exec_lo, s15
	v_or_b32_e32 v6, v18, v16
	v_or_b32_e32 v8, v17, v15
	;; [unrolled: 1-line block ×4, first 2 shown]
	v_mul_f32_e32 v67, v87, v6
	v_mul_f32_e32 v66, v87, v8
	;; [unrolled: 1-line block ×4, first 2 shown]
	s_and_saveexec_b32 s15, vcc_lo
	s_cbranch_execz .LBB187_1558
; %bb.1557:                             ;   in Loop: Header=BB187_809 Depth=1
	v_cmp_lt_i32_e64 s4, v100, v79
	v_cndmask_b32_e64 v66, 0, v66, s4
	v_cmp_lt_i32_e64 s4, v103, v79
	v_cndmask_b32_e64 v67, 0, v67, s4
	v_cmp_lt_i32_e64 s4, v102, v79
	v_cndmask_b32_e64 v65, 0, v65, s4
	v_cmp_lt_i32_e64 s4, v101, v79
	v_cndmask_b32_e64 v64, 0, v64, s4
.LBB187_1558:                           ;   in Loop: Header=BB187_809 Depth=1
	s_or_b32 exec_lo, exec_lo, s15
	flat_load_dword v68, v[0:1] offset:768
	v_mov_b32_e32 v17, 0
	v_mov_b32_e32 v15, 0
	;; [unrolled: 1-line block ×4, first 2 shown]
	s_waitcnt vmcnt(0) lgkmcnt(0)
	v_cmp_ne_u16_sdwa s4, v68, v7 src0_sel:BYTE_0 src1_sel:DWORD
	s_and_saveexec_b32 s15, s4
	s_cbranch_execz .LBB187_1566
; %bb.1559:                             ;   in Loop: Header=BB187_809 Depth=1
	v_bfrev_b32_e32 v15, 1
	v_mov_b32_e32 v16, 0
	v_cmp_ne_u16_sdwa s4, v68, v71 src0_sel:BYTE_0 src1_sel:DWORD
	s_and_saveexec_b32 s17, s4
	s_cbranch_execz .LBB187_1565
; %bb.1560:                             ;   in Loop: Header=BB187_809 Depth=1
	v_mov_b32_e32 v15, 0x7f800001
	v_and_b32_e32 v10, 0x7f, v68
	v_mov_b32_e32 v16, 0
	s_mov_b32 s20, exec_lo
	v_cmpx_ne_u32_e32 0x7f, v10
	s_cbranch_execz .LBB187_1564
; %bb.1561:                             ;   in Loop: Header=BB187_809 Depth=1
	v_and_b32_e32 v6, 7, v68
	v_lshrrev_b32_e32 v8, 3, v10
	s_mov_b32 s21, exec_lo
	v_cmpx_gt_u32_e32 8, v10
; %bb.1562:                             ;   in Loop: Header=BB187_809 Depth=1
	v_ffbh_u32_e32 v8, v6
	v_min_u32_e32 v8, 32, v8
	v_subrev_nc_u32_e32 v10, 28, v8
	v_sub_nc_u32_e32 v8, 29, v8
	v_lshlrev_b64 v[10:11], v10, v[6:7]
	v_and_b32_e32 v6, 7, v10
; %bb.1563:                             ;   in Loop: Header=BB187_809 Depth=1
	s_or_b32 exec_lo, exec_lo, s21
	v_lshlrev_b32_e32 v10, 24, v68
	v_lshlrev_b32_e32 v6, 20, v6
	v_lshl_add_u32 v8, v8, 23, 0x3c000000
	v_and_b32_e32 v10, 0x80000000, v10
	v_or3_b32 v6, v6, v10, v8
	v_mov_b32_e32 v16, v7
	v_mov_b32_e32 v15, v6
.LBB187_1564:                           ;   in Loop: Header=BB187_809 Depth=1
	s_or_b32 exec_lo, exec_lo, s20
.LBB187_1565:                           ;   in Loop: Header=BB187_809 Depth=1
	s_or_b32 exec_lo, exec_lo, s17
.LBB187_1566:                           ;   in Loop: Header=BB187_809 Depth=1
	s_or_b32 exec_lo, exec_lo, s15
	v_cmp_ne_u16_sdwa s4, v68, v7 src0_sel:BYTE_1 src1_sel:DWORD
	s_and_saveexec_b32 s15, s4
	s_cbranch_execz .LBB187_1574
; %bb.1567:                             ;   in Loop: Header=BB187_809 Depth=1
	v_mov_b32_e32 v8, v7
	v_mov_b32_e32 v18, v9
	v_cmp_ne_u16_sdwa s4, v68, v71 src0_sel:BYTE_1 src1_sel:DWORD
	v_mov_b32_e32 v17, v8
	s_and_saveexec_b32 s17, s4
	s_cbranch_execz .LBB187_1573
; %bb.1568:                             ;   in Loop: Header=BB187_809 Depth=1
	v_mov_b32_e32 v6, 0xffff
	v_mov_b32_e32 v11, v7
	;; [unrolled: 1-line block ×3, first 2 shown]
	s_mov_b32 s20, exec_lo
	v_and_b32_sdwa v6, v6, v68 dst_sel:DWORD dst_unused:UNUSED_PAD src0_sel:DWORD src1_sel:BYTE_1
	v_mov_b32_e32 v17, v11
	v_and_b32_e32 v10, 0x7f, v6
	v_cmpx_ne_u32_e32 0x7f, v10
	s_cbranch_execz .LBB187_1572
; %bb.1569:                             ;   in Loop: Header=BB187_809 Depth=1
	v_and_b32_e32 v6, 7, v6
	v_lshrrev_b32_e32 v8, 3, v10
	s_mov_b32 s21, exec_lo
	v_cmpx_gt_u32_e32 8, v10
; %bb.1570:                             ;   in Loop: Header=BB187_809 Depth=1
	v_ffbh_u32_e32 v8, v6
	v_min_u32_e32 v8, 32, v8
	v_subrev_nc_u32_e32 v10, 28, v8
	v_sub_nc_u32_e32 v8, 29, v8
	v_lshlrev_b64 v[10:11], v10, v[6:7]
	v_and_b32_e32 v6, 7, v10
; %bb.1571:                             ;   in Loop: Header=BB187_809 Depth=1
	s_or_b32 exec_lo, exec_lo, s21
	v_lshlrev_b32_e32 v10, 16, v68
	v_lshlrev_b32_e32 v6, 20, v6
	v_lshl_add_u32 v8, v8, 23, 0x3c000000
	v_mov_b32_e32 v17, v7
	v_and_b32_e32 v10, 0x80000000, v10
	v_or3_b32 v18, v6, v10, v8
.LBB187_1572:                           ;   in Loop: Header=BB187_809 Depth=1
	s_or_b32 exec_lo, exec_lo, s20
.LBB187_1573:                           ;   in Loop: Header=BB187_809 Depth=1
	s_or_b32 exec_lo, exec_lo, s17
.LBB187_1574:                           ;   in Loop: Header=BB187_809 Depth=1
	s_or_b32 exec_lo, exec_lo, s15
	v_mov_b32_e32 v10, 0
	v_mov_b32_e32 v21, 0
	v_and_b32_sdwa v6, v68, v81 dst_sel:DWORD dst_unused:UNUSED_PAD src0_sel:WORD_1 src1_sel:DWORD
	v_mov_b32_e32 v11, 0
	v_mov_b32_e32 v22, 0
	s_mov_b32 s15, exec_lo
	v_cmpx_ne_u16_e32 0, v6
	s_cbranch_execz .LBB187_1582
; %bb.1575:                             ;   in Loop: Header=BB187_809 Depth=1
	v_bfrev_b32_e32 v21, 1
	v_mov_b32_e32 v22, 0
	s_mov_b32 s17, exec_lo
	v_cmpx_ne_u16_e32 0x80, v6
	s_cbranch_execz .LBB187_1581
; %bb.1576:                             ;   in Loop: Header=BB187_809 Depth=1
	v_mov_b32_e32 v21, 0x7f800001
	v_bfe_u32 v80, v68, 16, 7
	v_mov_b32_e32 v22, 0
	s_mov_b32 s20, exec_lo
	v_cmpx_ne_u32_e32 0x7f, v80
	s_cbranch_execz .LBB187_1580
; %bb.1577:                             ;   in Loop: Header=BB187_809 Depth=1
	v_mov_b32_e32 v6, 7
	v_lshrrev_b32_e32 v8, 3, v80
	s_mov_b32 s21, exec_lo
	v_and_b32_sdwa v6, v68, v6 dst_sel:DWORD dst_unused:UNUSED_PAD src0_sel:WORD_1 src1_sel:DWORD
	v_cmpx_gt_u32_e32 8, v80
; %bb.1578:                             ;   in Loop: Header=BB187_809 Depth=1
	v_ffbh_u32_e32 v8, v6
	v_min_u32_e32 v8, 32, v8
	v_subrev_nc_u32_e32 v21, 28, v8
	v_sub_nc_u32_e32 v8, 29, v8
	v_lshlrev_b64 v[21:22], v21, v[6:7]
	v_and_b32_e32 v6, 7, v21
; %bb.1579:                             ;   in Loop: Header=BB187_809 Depth=1
	s_or_b32 exec_lo, exec_lo, s21
	v_mov_b32_e32 v21, 24
	v_lshlrev_b32_e32 v6, 20, v6
	v_lshl_add_u32 v8, v8, 23, 0x3c000000
	v_lshlrev_b32_sdwa v21, v21, v68 dst_sel:DWORD dst_unused:UNUSED_PAD src0_sel:DWORD src1_sel:WORD_1
	v_and_b32_e32 v21, 0x80000000, v21
	v_or3_b32 v6, v6, v21, v8
	v_mov_b32_e32 v22, v7
	v_mov_b32_e32 v21, v6
.LBB187_1580:                           ;   in Loop: Header=BB187_809 Depth=1
	s_or_b32 exec_lo, exec_lo, s20
.LBB187_1581:                           ;   in Loop: Header=BB187_809 Depth=1
	s_or_b32 exec_lo, exec_lo, s17
.LBB187_1582:                           ;   in Loop: Header=BB187_809 Depth=1
	s_or_b32 exec_lo, exec_lo, s15
	s_mov_b32 s15, exec_lo
	v_cmpx_lt_u32_e32 0xffffff, v68
	s_cbranch_execz .LBB187_1590
; %bb.1583:                             ;   in Loop: Header=BB187_809 Depth=1
	v_mov_b32_e32 v8, v7
	v_mov_b32_e32 v11, v9
	v_cmp_ne_u32_sdwa s4, v68, v71 src0_sel:BYTE_3 src1_sel:DWORD
	v_mov_b32_e32 v10, v8
	s_and_saveexec_b32 s17, s4
	s_cbranch_execz .LBB187_1589
; %bb.1584:                             ;   in Loop: Header=BB187_809 Depth=1
	v_mov_b32_e32 v11, v7
	v_bfe_u32 v80, v68, 24, 7
	s_mov_b32 s20, exec_lo
	v_mov_b32_e32 v10, v11
	v_mov_b32_e32 v11, v12
	v_cmpx_ne_u32_e32 0x7f, v80
	s_cbranch_execz .LBB187_1588
; %bb.1585:                             ;   in Loop: Header=BB187_809 Depth=1
	v_mov_b32_e32 v6, 7
	v_lshrrev_b32_e32 v8, 3, v80
	s_mov_b32 s21, exec_lo
	v_and_b32_sdwa v6, v68, v6 dst_sel:DWORD dst_unused:UNUSED_PAD src0_sel:BYTE_3 src1_sel:DWORD
	v_cmpx_gt_u32_e32 8, v80
; %bb.1586:                             ;   in Loop: Header=BB187_809 Depth=1
	v_ffbh_u32_e32 v8, v6
	v_min_u32_e32 v8, 32, v8
	v_subrev_nc_u32_e32 v10, 28, v8
	v_sub_nc_u32_e32 v8, 29, v8
	v_lshlrev_b64 v[10:11], v10, v[6:7]
	v_and_b32_e32 v6, 7, v10
; %bb.1587:                             ;   in Loop: Header=BB187_809 Depth=1
	s_or_b32 exec_lo, exec_lo, s21
	v_mov_b32_e32 v10, 24
	v_lshlrev_b32_e32 v6, 20, v6
	v_lshl_add_u32 v8, v8, 23, 0x3c000000
	v_lshlrev_b32_sdwa v10, v10, v68 dst_sel:DWORD dst_unused:UNUSED_PAD src0_sel:DWORD src1_sel:BYTE_3
	v_and_b32_e32 v10, 0x80000000, v10
	v_or3_b32 v11, v6, v10, v8
	v_mov_b32_e32 v10, v7
.LBB187_1588:                           ;   in Loop: Header=BB187_809 Depth=1
	s_or_b32 exec_lo, exec_lo, s20
.LBB187_1589:                           ;   in Loop: Header=BB187_809 Depth=1
	s_or_b32 exec_lo, exec_lo, s17
.LBB187_1590:                           ;   in Loop: Header=BB187_809 Depth=1
	s_or_b32 exec_lo, exec_lo, s15
	v_or_b32_e32 v6, v18, v16
	v_or_b32_e32 v8, v17, v15
	;; [unrolled: 1-line block ×4, first 2 shown]
	v_mul_f32_e32 v80, v87, v6
	v_mul_f32_e32 v68, v87, v8
	;; [unrolled: 1-line block ×4, first 2 shown]
	s_and_saveexec_b32 s15, vcc_lo
	s_cbranch_execz .LBB187_1592
; %bb.1591:                             ;   in Loop: Header=BB187_809 Depth=1
	v_cmp_lt_i32_e64 s4, v100, v79
	v_cndmask_b32_e64 v68, 0, v68, s4
	v_cmp_lt_i32_e64 s4, v103, v79
	v_cndmask_b32_e64 v80, 0, v80, s4
	;; [unrolled: 2-line block ×4, first 2 shown]
.LBB187_1592:                           ;   in Loop: Header=BB187_809 Depth=1
	s_or_b32 exec_lo, exec_lo, s15
	flat_load_dword v82, v[0:1] offset:896
	v_mov_b32_e32 v15, 0
	v_mov_b32_e32 v0, 0
	;; [unrolled: 1-line block ×4, first 2 shown]
	s_waitcnt vmcnt(0) lgkmcnt(0)
	v_cmp_ne_u16_sdwa s4, v82, v7 src0_sel:BYTE_0 src1_sel:DWORD
	s_and_saveexec_b32 s15, s4
	s_cbranch_execz .LBB187_1600
; %bb.1593:                             ;   in Loop: Header=BB187_809 Depth=1
	v_bfrev_b32_e32 v0, 1
	v_mov_b32_e32 v1, 0
	v_cmp_ne_u16_sdwa s4, v82, v71 src0_sel:BYTE_0 src1_sel:DWORD
	s_and_saveexec_b32 s17, s4
	s_cbranch_execz .LBB187_1599
; %bb.1594:                             ;   in Loop: Header=BB187_809 Depth=1
	v_mov_b32_e32 v0, 0x7f800001
	v_and_b32_e32 v8, 0x7f, v82
	v_mov_b32_e32 v1, 0
	s_mov_b32 s20, exec_lo
	v_cmpx_ne_u32_e32 0x7f, v8
	s_cbranch_execz .LBB187_1598
; %bb.1595:                             ;   in Loop: Header=BB187_809 Depth=1
	v_and_b32_e32 v6, 7, v82
	v_lshrrev_b32_e32 v0, 3, v8
	s_mov_b32 s21, exec_lo
	v_cmpx_gt_u32_e32 8, v8
; %bb.1596:                             ;   in Loop: Header=BB187_809 Depth=1
	v_ffbh_u32_e32 v0, v6
	v_min_u32_e32 v0, 32, v0
	v_subrev_nc_u32_e32 v1, 28, v0
	v_sub_nc_u32_e32 v0, 29, v0
	v_lshlrev_b64 v[10:11], v1, v[6:7]
	v_and_b32_e32 v6, 7, v10
; %bb.1597:                             ;   in Loop: Header=BB187_809 Depth=1
	s_or_b32 exec_lo, exec_lo, s21
	v_lshlrev_b32_e32 v1, 24, v82
	v_lshlrev_b32_e32 v6, 20, v6
	v_lshl_add_u32 v0, v0, 23, 0x3c000000
	v_and_b32_e32 v1, 0x80000000, v1
	v_or3_b32 v6, v6, v1, v0
	v_mov_b32_e32 v0, v6
	v_mov_b32_e32 v1, v7
.LBB187_1598:                           ;   in Loop: Header=BB187_809 Depth=1
	s_or_b32 exec_lo, exec_lo, s20
.LBB187_1599:                           ;   in Loop: Header=BB187_809 Depth=1
	s_or_b32 exec_lo, exec_lo, s17
.LBB187_1600:                           ;   in Loop: Header=BB187_809 Depth=1
	s_or_b32 exec_lo, exec_lo, s15
	v_cmp_ne_u16_sdwa s4, v82, v7 src0_sel:BYTE_1 src1_sel:DWORD
	s_and_saveexec_b32 s15, s4
	s_cbranch_execz .LBB187_1608
; %bb.1601:                             ;   in Loop: Header=BB187_809 Depth=1
	v_mov_b32_e32 v8, v7
	v_mov_b32_e32 v16, v9
	v_cmp_ne_u16_sdwa s4, v82, v71 src0_sel:BYTE_1 src1_sel:DWORD
	v_mov_b32_e32 v15, v8
	s_and_saveexec_b32 s17, s4
	s_cbranch_execz .LBB187_1607
; %bb.1602:                             ;   in Loop: Header=BB187_809 Depth=1
	v_mov_b32_e32 v6, 0xffff
	v_mov_b32_e32 v11, v7
	;; [unrolled: 1-line block ×3, first 2 shown]
	s_mov_b32 s20, exec_lo
	v_and_b32_sdwa v6, v6, v82 dst_sel:DWORD dst_unused:UNUSED_PAD src0_sel:DWORD src1_sel:BYTE_1
	v_mov_b32_e32 v15, v11
	v_and_b32_e32 v10, 0x7f, v6
	v_cmpx_ne_u32_e32 0x7f, v10
	s_cbranch_execz .LBB187_1606
; %bb.1603:                             ;   in Loop: Header=BB187_809 Depth=1
	v_and_b32_e32 v6, 7, v6
	v_lshrrev_b32_e32 v8, 3, v10
	s_mov_b32 s21, exec_lo
	v_cmpx_gt_u32_e32 8, v10
; %bb.1604:                             ;   in Loop: Header=BB187_809 Depth=1
	v_ffbh_u32_e32 v8, v6
	v_min_u32_e32 v8, 32, v8
	v_subrev_nc_u32_e32 v10, 28, v8
	v_sub_nc_u32_e32 v8, 29, v8
	v_lshlrev_b64 v[10:11], v10, v[6:7]
	v_and_b32_e32 v6, 7, v10
; %bb.1605:                             ;   in Loop: Header=BB187_809 Depth=1
	s_or_b32 exec_lo, exec_lo, s21
	v_lshlrev_b32_e32 v10, 16, v82
	v_lshlrev_b32_e32 v6, 20, v6
	v_lshl_add_u32 v8, v8, 23, 0x3c000000
	v_mov_b32_e32 v15, v7
	v_and_b32_e32 v10, 0x80000000, v10
	v_or3_b32 v16, v6, v10, v8
.LBB187_1606:                           ;   in Loop: Header=BB187_809 Depth=1
	s_or_b32 exec_lo, exec_lo, s20
.LBB187_1607:                           ;   in Loop: Header=BB187_809 Depth=1
	s_or_b32 exec_lo, exec_lo, s17
.LBB187_1608:                           ;   in Loop: Header=BB187_809 Depth=1
	s_or_b32 exec_lo, exec_lo, s15
	v_mov_b32_e32 v10, 0
	v_mov_b32_e32 v17, 0
	v_and_b32_sdwa v6, v82, v81 dst_sel:DWORD dst_unused:UNUSED_PAD src0_sel:WORD_1 src1_sel:DWORD
	v_mov_b32_e32 v11, 0
	v_mov_b32_e32 v18, 0
	s_mov_b32 s15, exec_lo
	v_cmpx_ne_u16_e32 0, v6
	s_cbranch_execz .LBB187_1616
; %bb.1609:                             ;   in Loop: Header=BB187_809 Depth=1
	v_bfrev_b32_e32 v17, 1
	v_mov_b32_e32 v18, 0
	s_mov_b32 s17, exec_lo
	v_cmpx_ne_u16_e32 0x80, v6
	s_cbranch_execz .LBB187_1615
; %bb.1610:                             ;   in Loop: Header=BB187_809 Depth=1
	v_mov_b32_e32 v17, 0x7f800001
	v_bfe_u32 v83, v82, 16, 7
	v_mov_b32_e32 v18, 0
	s_mov_b32 s20, exec_lo
	v_cmpx_ne_u32_e32 0x7f, v83
	s_cbranch_execz .LBB187_1614
; %bb.1611:                             ;   in Loop: Header=BB187_809 Depth=1
	v_mov_b32_e32 v6, 7
	v_lshrrev_b32_e32 v8, 3, v83
	s_mov_b32 s21, exec_lo
	v_and_b32_sdwa v6, v82, v6 dst_sel:DWORD dst_unused:UNUSED_PAD src0_sel:WORD_1 src1_sel:DWORD
	v_cmpx_gt_u32_e32 8, v83
; %bb.1612:                             ;   in Loop: Header=BB187_809 Depth=1
	v_ffbh_u32_e32 v8, v6
	v_min_u32_e32 v8, 32, v8
	v_subrev_nc_u32_e32 v17, 28, v8
	v_sub_nc_u32_e32 v8, 29, v8
	v_lshlrev_b64 v[17:18], v17, v[6:7]
	v_and_b32_e32 v6, 7, v17
; %bb.1613:                             ;   in Loop: Header=BB187_809 Depth=1
	s_or_b32 exec_lo, exec_lo, s21
	v_mov_b32_e32 v17, 24
	v_lshlrev_b32_e32 v6, 20, v6
	v_lshl_add_u32 v8, v8, 23, 0x3c000000
	v_lshlrev_b32_sdwa v17, v17, v82 dst_sel:DWORD dst_unused:UNUSED_PAD src0_sel:DWORD src1_sel:WORD_1
	v_and_b32_e32 v17, 0x80000000, v17
	v_or3_b32 v6, v6, v17, v8
	v_mov_b32_e32 v18, v7
	v_mov_b32_e32 v17, v6
.LBB187_1614:                           ;   in Loop: Header=BB187_809 Depth=1
	s_or_b32 exec_lo, exec_lo, s20
.LBB187_1615:                           ;   in Loop: Header=BB187_809 Depth=1
	s_or_b32 exec_lo, exec_lo, s17
.LBB187_1616:                           ;   in Loop: Header=BB187_809 Depth=1
	s_or_b32 exec_lo, exec_lo, s15
	s_mov_b32 s15, exec_lo
	v_cmpx_lt_u32_e32 0xffffff, v82
	s_cbranch_execz .LBB187_1624
; %bb.1617:                             ;   in Loop: Header=BB187_809 Depth=1
	v_mov_b32_e32 v8, v7
	v_mov_b32_e32 v11, v9
	v_cmp_ne_u32_sdwa s4, v82, v71 src0_sel:BYTE_3 src1_sel:DWORD
	v_mov_b32_e32 v10, v8
	s_and_saveexec_b32 s17, s4
	s_cbranch_execz .LBB187_1623
; %bb.1618:                             ;   in Loop: Header=BB187_809 Depth=1
	v_mov_b32_e32 v11, v7
	v_bfe_u32 v83, v82, 24, 7
	s_mov_b32 s20, exec_lo
	v_mov_b32_e32 v10, v11
	v_mov_b32_e32 v11, v12
	v_cmpx_ne_u32_e32 0x7f, v83
	s_cbranch_execz .LBB187_1622
; %bb.1619:                             ;   in Loop: Header=BB187_809 Depth=1
	v_mov_b32_e32 v6, 7
	v_lshrrev_b32_e32 v8, 3, v83
	s_mov_b32 s21, exec_lo
	v_and_b32_sdwa v6, v82, v6 dst_sel:DWORD dst_unused:UNUSED_PAD src0_sel:BYTE_3 src1_sel:DWORD
	v_cmpx_gt_u32_e32 8, v83
; %bb.1620:                             ;   in Loop: Header=BB187_809 Depth=1
	v_ffbh_u32_e32 v8, v6
	v_min_u32_e32 v8, 32, v8
	v_subrev_nc_u32_e32 v10, 28, v8
	v_sub_nc_u32_e32 v8, 29, v8
	v_lshlrev_b64 v[10:11], v10, v[6:7]
	v_and_b32_e32 v6, 7, v10
; %bb.1621:                             ;   in Loop: Header=BB187_809 Depth=1
	s_or_b32 exec_lo, exec_lo, s21
	v_mov_b32_e32 v10, 24
	v_lshlrev_b32_e32 v6, 20, v6
	v_lshl_add_u32 v8, v8, 23, 0x3c000000
	v_lshlrev_b32_sdwa v10, v10, v82 dst_sel:DWORD dst_unused:UNUSED_PAD src0_sel:DWORD src1_sel:BYTE_3
	v_and_b32_e32 v10, 0x80000000, v10
	v_or3_b32 v11, v6, v10, v8
	v_mov_b32_e32 v10, v7
.LBB187_1622:                           ;   in Loop: Header=BB187_809 Depth=1
	s_or_b32 exec_lo, exec_lo, s20
.LBB187_1623:                           ;   in Loop: Header=BB187_809 Depth=1
	s_or_b32 exec_lo, exec_lo, s17
.LBB187_1624:                           ;   in Loop: Header=BB187_809 Depth=1
	s_or_b32 exec_lo, exec_lo, s15
	v_or_b32_e32 v1, v16, v1
	v_or_b32_e32 v0, v15, v0
	;; [unrolled: 1-line block ×4, first 2 shown]
	v_mul_f32_e32 v8, v87, v1
	v_mul_f32_e32 v6, v87, v0
	;; [unrolled: 1-line block ×4, first 2 shown]
	s_and_saveexec_b32 s4, vcc_lo
	s_cbranch_execz .LBB187_807
; %bb.1625:                             ;   in Loop: Header=BB187_809 Depth=1
	v_cmp_lt_i32_e32 vcc_lo, v100, v79
	v_cndmask_b32_e32 v6, 0, v6, vcc_lo
	v_cmp_lt_i32_e32 vcc_lo, v103, v79
	v_cndmask_b32_e32 v8, 0, v8, vcc_lo
	;; [unrolled: 2-line block ×4, first 2 shown]
	s_branch .LBB187_807
.LBB187_1626:
	s_or_b32 exec_lo, exec_lo, s9
	s_clause 0x15
	buffer_load_dword v25, off, s[0:3], s32 offset:420
	buffer_load_dword v70, off, s[0:3], s32 offset:428
	;; [unrolled: 1-line block ×22, first 2 shown]
	v_mov_b32_e32 v0, s18
	v_mov_b32_e32 v1, s19
.LBB187_1627:
	s_or_b32 exec_lo, exec_lo, s5
	v_lshlrev_b64 v[0:1], 2, v[0:1]
	s_getpc_b64 s[4:5]
	s_add_u32 s4, s4, llvm.amdgcn.dynlds.offset.table@rel32@lo+4
	s_addc_u32 s5, s5, llvm.amdgcn.dynlds.offset.table@rel32@hi+12
	s_waitcnt vmcnt(0)
	s_waitcnt_vscnt null, 0x0
	s_barrier
	buffer_gl0_inv
	s_clause 0x1
	buffer_load_dword v28, off, s[0:3], s32 offset:840
	buffer_load_dword v29, off, s[0:3], s32 offset:820
	v_add_co_u32 v0, vcc_lo, s4, v0
	v_add_co_ci_u32_e64 v1, null, s5, v1, vcc_lo
	ds_bpermute_b32 v2, v27, v67
	ds_bpermute_b32 v3, v27, v4
	v_mov_b32_e32 v65, v4
	global_load_dword v26, v[0:1], off
	ds_bpermute_b32 v0, v27, v5
	ds_bpermute_b32 v1, v27, v68
	;; [unrolled: 1-line block ×3, first 2 shown]
	v_mov_b32_e32 v66, v5
	ds_bpermute_b32 v5, v27, v55
	ds_bpermute_b32 v6, v27, v54
	;; [unrolled: 1-line block ×10, first 2 shown]
	v_mov_b32_e32 v64, v15
	ds_bpermute_b32 v15, v27, v37
	ds_bpermute_b32 v16, v27, v36
	;; [unrolled: 1-line block ×9, first 2 shown]
	s_waitcnt lgkmcnt(21)
	v_add_f32_e32 v0, v66, v0
	s_waitcnt lgkmcnt(20)
	v_add_f32_e32 v1, v68, v1
	v_add_f32_e32 v2, v67, v2
	;; [unrolled: 1-line block ×3, first 2 shown]
	s_waitcnt lgkmcnt(19)
	v_add_f32_e32 v4, v64, v4
	s_waitcnt lgkmcnt(18)
	v_add_f32_e32 v5, v55, v5
	s_waitcnt lgkmcnt(17)
	v_add_f32_e32 v6, v54, v6
	s_waitcnt lgkmcnt(16)
	v_add_f32_e32 v7, v53, v7
	s_waitcnt lgkmcnt(15)
	v_add_f32_e32 v8, v52, v8
	s_waitcnt lgkmcnt(14)
	v_add_f32_e32 v9, v51, v9
	s_waitcnt lgkmcnt(13)
	v_add_f32_e32 v10, v50, v10
	s_waitcnt lgkmcnt(12)
	v_add_f32_e32 v11, v49, v11
	s_waitcnt lgkmcnt(11)
	v_add_f32_e32 v12, v48, v12
	s_waitcnt lgkmcnt(10)
	v_add_f32_e32 v13, v39, v13
	s_waitcnt lgkmcnt(9)
	v_add_f32_e32 v14, v38, v14
	s_waitcnt lgkmcnt(8)
	v_add_f32_e32 v15, v37, v15
	s_waitcnt lgkmcnt(7)
	v_add_f32_e32 v16, v36, v16
	s_waitcnt lgkmcnt(6)
	v_add_f32_e32 v17, v35, v17
	s_waitcnt lgkmcnt(5)
	v_add_f32_e32 v18, v34, v18
	s_waitcnt lgkmcnt(4)
	v_add_f32_e32 v19, v33, v19
	s_waitcnt lgkmcnt(3)
	v_add_f32_e32 v20, v32, v20
	s_waitcnt lgkmcnt(2)
	v_add_f32_e32 v21, v31, v21
	s_waitcnt lgkmcnt(1)
	v_add_f32_e32 v22, v30, v22
	s_waitcnt lgkmcnt(0)
	v_add_f32_e32 v23, v96, v23
	ds_bpermute_b32 v30, v24, v0
	ds_bpermute_b32 v31, v24, v1
	;; [unrolled: 1-line block ×24, first 2 shown]
	v_lshrrev_b32_e32 v27, 2, v25
	v_and_b32_e32 v25, 28, v25
	s_waitcnt lgkmcnt(23)
	v_add_f32_e32 v0, v0, v30
	s_waitcnt lgkmcnt(22)
	v_add_f32_e32 v1, v1, v31
	;; [unrolled: 2-line block ×24, first 2 shown]
	s_mov_b32 s4, exec_lo
	s_waitcnt vmcnt(2)
	v_mul_u32_u24_e32 v28, 0x300, v28
	s_waitcnt vmcnt(1)
	v_and_b32_e32 v29, 0x3c3, v29
	s_waitcnt vmcnt(0)
	v_add_nc_u32_e32 v25, v26, v25
	v_cmpx_eq_u32_e32 64, v29
	s_cbranch_execz .LBB187_1629
; %bb.1628:
	v_add_nc_u32_e32 v24, v25, v28
	v_add_nc_u32_e32 v29, 0xfffffa00, v24
	;; [unrolled: 1-line block ×7, first 2 shown]
	ds_write_b32 v29, v0
	ds_write_b32 v30, v1
	;; [unrolled: 1-line block ×4, first 2 shown]
	v_add_nc_u32_e32 v29, 0xfffffac0, v24
	v_add_nc_u32_e32 v30, 0xfffffae0, v24
	v_add_nc_u32_e32 v31, 0xfffffb00, v24
	ds_write_b32 v33, v4
	ds_write_b32 v34, v5
	ds_write_b32 v29, v6
	ds_write_b32 v30, v7
	ds_write_b32 v31, v8
	v_add_nc_u32_e32 v29, 0xfffffb20, v24
	v_add_nc_u32_e32 v30, 0xfffffb40, v24
	v_add_nc_u32_e32 v31, 0xfffffb60, v24
	v_add_nc_u32_e32 v32, 0xfffffb80, v24
	v_add_nc_u32_e32 v33, 0xfffffba0, v24
	ds_write_b32 v29, v9
	ds_write_b32 v30, v10
	ds_write_b32 v31, v11
	ds_write_b32 v32, v12
	ds_write_b32 v33, v13
	v_add_nc_u32_e32 v29, 0xfffffbc0, v24
	v_add_nc_u32_e32 v30, 0xfffffbe0, v24
	;; [unrolled: 10-line block ×3, first 2 shown]
	v_add_nc_u32_e32 v31, 0xfffffca0, v24
	v_add_nc_u32_e32 v32, 0xfffffcc0, v24
	;; [unrolled: 1-line block ×3, first 2 shown]
	ds_write_b32 v29, v19
	ds_write_b32 v30, v20
	;; [unrolled: 1-line block ×5, first 2 shown]
.LBB187_1629:
	s_or_b32 exec_lo, exec_lo, s4
	v_lshlrev_b32_e32 v24, 2, v27
	s_mov_b32 s5, exec_lo
	v_cmp_eq_u32_e32 vcc_lo, 0, v70
	v_add3_u32 v24, v26, v28, v24
	buffer_load_dword v26, off, s[0:3], s32 offset:820 ; 4-byte Folded Reload
	s_waitcnt vmcnt(0) lgkmcnt(0)
	s_barrier
	buffer_gl0_inv
	v_cmpx_gt_u32_e32 64, v26
	s_cbranch_execz .LBB187_1656
; %bb.1630:
	s_and_saveexec_b32 s4, vcc_lo
	s_cbranch_execnz .LBB187_1688
; %bb.1631:
	s_or_b32 exec_lo, exec_lo, s4
	s_and_saveexec_b32 s4, vcc_lo
	s_cbranch_execnz .LBB187_1689
.LBB187_1632:
	s_or_b32 exec_lo, exec_lo, s4
	s_and_saveexec_b32 s4, vcc_lo
	s_cbranch_execnz .LBB187_1690
.LBB187_1633:
	s_or_b32 exec_lo, exec_lo, s4
	s_and_saveexec_b32 s4, vcc_lo
	s_cbranch_execnz .LBB187_1691
.LBB187_1634:
	s_or_b32 exec_lo, exec_lo, s4
	s_and_saveexec_b32 s4, vcc_lo
	s_cbranch_execnz .LBB187_1692
.LBB187_1635:
	s_or_b32 exec_lo, exec_lo, s4
	s_and_saveexec_b32 s4, vcc_lo
	s_cbranch_execnz .LBB187_1693
.LBB187_1636:
	s_or_b32 exec_lo, exec_lo, s4
	s_and_saveexec_b32 s4, vcc_lo
	s_cbranch_execnz .LBB187_1694
.LBB187_1637:
	s_or_b32 exec_lo, exec_lo, s4
	s_and_saveexec_b32 s4, vcc_lo
	s_cbranch_execnz .LBB187_1695
.LBB187_1638:
	s_or_b32 exec_lo, exec_lo, s4
	s_and_saveexec_b32 s4, vcc_lo
	s_cbranch_execnz .LBB187_1696
.LBB187_1639:
	s_or_b32 exec_lo, exec_lo, s4
	s_and_saveexec_b32 s4, vcc_lo
	s_cbranch_execnz .LBB187_1697
.LBB187_1640:
	s_or_b32 exec_lo, exec_lo, s4
	s_and_saveexec_b32 s4, vcc_lo
	s_cbranch_execnz .LBB187_1698
.LBB187_1641:
	s_or_b32 exec_lo, exec_lo, s4
	s_and_saveexec_b32 s4, vcc_lo
	s_cbranch_execnz .LBB187_1699
.LBB187_1642:
	s_or_b32 exec_lo, exec_lo, s4
	s_and_saveexec_b32 s4, vcc_lo
	s_cbranch_execnz .LBB187_1700
.LBB187_1643:
	s_or_b32 exec_lo, exec_lo, s4
	s_and_saveexec_b32 s4, vcc_lo
	s_cbranch_execnz .LBB187_1701
.LBB187_1644:
	s_or_b32 exec_lo, exec_lo, s4
	s_and_saveexec_b32 s4, vcc_lo
	s_cbranch_execnz .LBB187_1702
.LBB187_1645:
	s_or_b32 exec_lo, exec_lo, s4
	s_and_saveexec_b32 s4, vcc_lo
	s_cbranch_execnz .LBB187_1703
.LBB187_1646:
	s_or_b32 exec_lo, exec_lo, s4
	s_and_saveexec_b32 s4, vcc_lo
	s_cbranch_execnz .LBB187_1704
.LBB187_1647:
	s_or_b32 exec_lo, exec_lo, s4
	s_and_saveexec_b32 s4, vcc_lo
	s_cbranch_execnz .LBB187_1705
.LBB187_1648:
	s_or_b32 exec_lo, exec_lo, s4
	s_and_saveexec_b32 s4, vcc_lo
	s_cbranch_execnz .LBB187_1706
.LBB187_1649:
	s_or_b32 exec_lo, exec_lo, s4
	s_and_saveexec_b32 s4, vcc_lo
	s_cbranch_execnz .LBB187_1707
.LBB187_1650:
	s_or_b32 exec_lo, exec_lo, s4
	s_and_saveexec_b32 s4, vcc_lo
	s_cbranch_execnz .LBB187_1708
.LBB187_1651:
	s_or_b32 exec_lo, exec_lo, s4
	s_and_saveexec_b32 s4, vcc_lo
	s_cbranch_execnz .LBB187_1709
.LBB187_1652:
	s_or_b32 exec_lo, exec_lo, s4
	s_and_saveexec_b32 s4, vcc_lo
	s_cbranch_execnz .LBB187_1710
.LBB187_1653:
	s_or_b32 exec_lo, exec_lo, s4
	s_and_saveexec_b32 s4, vcc_lo
	s_cbranch_execz .LBB187_1655
.LBB187_1654:
	ds_read_b32 v26, v24 offset:736
	s_waitcnt lgkmcnt(0)
	v_add_f32_e32 v23, v26, v23
.LBB187_1655:
	s_or_b32 exec_lo, exec_lo, s4
.LBB187_1656:
	s_or_b32 exec_lo, exec_lo, s5
	buffer_load_dword v26, off, s[0:3], s32 offset:820 ; 4-byte Folded Reload
	s_mov_b32 s5, exec_lo
	s_waitcnt vmcnt(0)
	s_barrier
	buffer_gl0_inv
	v_and_b32_e32 v26, 0x3e3, v26
	v_cmpx_eq_u32_e32 32, v26
	s_cbranch_execz .LBB187_1658
; %bb.1657:
	ds_write2_b32 v25, v0, v1 offset1:8
	ds_write2_b32 v25, v2, v3 offset0:16 offset1:24
	ds_write2_b32 v25, v4, v5 offset0:32 offset1:40
	;; [unrolled: 1-line block ×11, first 2 shown]
.LBB187_1658:
	s_or_b32 exec_lo, exec_lo, s5
	buffer_load_dword v25, off, s[0:3], s32 offset:820 ; 4-byte Folded Reload
	s_mov_b32 s5, exec_lo
	s_waitcnt vmcnt(0) lgkmcnt(0)
	s_barrier
	buffer_gl0_inv
	v_cmpx_gt_u32_e32 32, v25
	s_cbranch_execz .LBB187_1685
; %bb.1659:
	s_and_saveexec_b32 s4, vcc_lo
	s_cbranch_execnz .LBB187_1711
; %bb.1660:
	s_or_b32 exec_lo, exec_lo, s4
	s_and_saveexec_b32 s4, vcc_lo
	s_cbranch_execnz .LBB187_1712
.LBB187_1661:
	s_or_b32 exec_lo, exec_lo, s4
	s_and_saveexec_b32 s4, vcc_lo
	s_cbranch_execnz .LBB187_1713
.LBB187_1662:
	s_or_b32 exec_lo, exec_lo, s4
	s_and_saveexec_b32 s4, vcc_lo
	s_cbranch_execnz .LBB187_1714
.LBB187_1663:
	s_or_b32 exec_lo, exec_lo, s4
	s_and_saveexec_b32 s4, vcc_lo
	s_cbranch_execnz .LBB187_1715
.LBB187_1664:
	s_or_b32 exec_lo, exec_lo, s4
	s_and_saveexec_b32 s4, vcc_lo
	s_cbranch_execnz .LBB187_1716
.LBB187_1665:
	s_or_b32 exec_lo, exec_lo, s4
	s_and_saveexec_b32 s4, vcc_lo
	s_cbranch_execnz .LBB187_1717
.LBB187_1666:
	s_or_b32 exec_lo, exec_lo, s4
	s_and_saveexec_b32 s4, vcc_lo
	s_cbranch_execnz .LBB187_1718
.LBB187_1667:
	s_or_b32 exec_lo, exec_lo, s4
	s_and_saveexec_b32 s4, vcc_lo
	s_cbranch_execnz .LBB187_1719
.LBB187_1668:
	s_or_b32 exec_lo, exec_lo, s4
	s_and_saveexec_b32 s4, vcc_lo
	s_cbranch_execnz .LBB187_1720
.LBB187_1669:
	s_or_b32 exec_lo, exec_lo, s4
	s_and_saveexec_b32 s4, vcc_lo
	s_cbranch_execnz .LBB187_1721
.LBB187_1670:
	s_or_b32 exec_lo, exec_lo, s4
	s_and_saveexec_b32 s4, vcc_lo
	s_cbranch_execnz .LBB187_1722
.LBB187_1671:
	s_or_b32 exec_lo, exec_lo, s4
	s_and_saveexec_b32 s4, vcc_lo
	s_cbranch_execnz .LBB187_1723
.LBB187_1672:
	s_or_b32 exec_lo, exec_lo, s4
	s_and_saveexec_b32 s4, vcc_lo
	s_cbranch_execnz .LBB187_1724
.LBB187_1673:
	s_or_b32 exec_lo, exec_lo, s4
	s_and_saveexec_b32 s4, vcc_lo
	s_cbranch_execnz .LBB187_1725
.LBB187_1674:
	s_or_b32 exec_lo, exec_lo, s4
	s_and_saveexec_b32 s4, vcc_lo
	s_cbranch_execnz .LBB187_1726
.LBB187_1675:
	s_or_b32 exec_lo, exec_lo, s4
	s_and_saveexec_b32 s4, vcc_lo
	s_cbranch_execnz .LBB187_1727
.LBB187_1676:
	s_or_b32 exec_lo, exec_lo, s4
	s_and_saveexec_b32 s4, vcc_lo
	s_cbranch_execnz .LBB187_1728
.LBB187_1677:
	s_or_b32 exec_lo, exec_lo, s4
	s_and_saveexec_b32 s4, vcc_lo
	s_cbranch_execnz .LBB187_1729
.LBB187_1678:
	s_or_b32 exec_lo, exec_lo, s4
	s_and_saveexec_b32 s4, vcc_lo
	s_cbranch_execnz .LBB187_1730
.LBB187_1679:
	s_or_b32 exec_lo, exec_lo, s4
	s_and_saveexec_b32 s4, vcc_lo
	s_cbranch_execnz .LBB187_1731
.LBB187_1680:
	s_or_b32 exec_lo, exec_lo, s4
	s_and_saveexec_b32 s4, vcc_lo
	s_cbranch_execnz .LBB187_1732
.LBB187_1681:
	s_or_b32 exec_lo, exec_lo, s4
	s_and_saveexec_b32 s4, vcc_lo
	s_cbranch_execnz .LBB187_1733
.LBB187_1682:
	s_or_b32 exec_lo, exec_lo, s4
	s_and_saveexec_b32 s4, vcc_lo
	s_cbranch_execz .LBB187_1684
.LBB187_1683:
	ds_read_b32 v24, v24 offset:736
	s_waitcnt lgkmcnt(0)
	v_add_f32_e32 v23, v24, v23
.LBB187_1684:
	s_or_b32 exec_lo, exec_lo, s4
.LBB187_1685:
	s_or_b32 exec_lo, exec_lo, s5
	s_mov_b32 s4, exec_lo
	s_barrier
	buffer_gl0_inv
	v_cmpx_eq_u32_e32 0, v26
	s_cbranch_execz .LBB187_1687
; %bb.1686:
	s_clause 0x2
	buffer_load_dword v24, off, s[0:3], s32 offset:848
	buffer_load_dword v25, off, s[0:3], s32 offset:844
	;; [unrolled: 1-line block ×3, first 2 shown]
	s_and_b32 s5, 0xffff, s8
	s_mul_i32 s6, s14, 0xc0
	s_cmp_lg_u32 s5, 0
	s_cselect_b32 s5, -1, 0
	s_cmp_lg_u32 s5, 0
	s_addc_u32 s5, s12, 0
	s_mul_i32 s7, s5, s10
	s_mul_i32 s10, s16, s5
	;; [unrolled: 1-line block ×3, first 2 shown]
	s_ashr_i32 s11, s10, 31
	s_mulk_i32 s8, 0xc0
	s_ashr_i32 s7, s6, 31
	s_ashr_i32 s9, s8, 31
	s_lshl_b64 s[6:7], s[6:7], 2
	s_lshl_b64 s[8:9], s[8:9], 2
	s_waitcnt vmcnt(2)
	v_add_co_u32 v24, vcc_lo, v24, s8
	s_waitcnt vmcnt(1)
	v_add_co_ci_u32_e64 v25, null, s9, v25, vcc_lo
	s_lshl_b64 s[8:9], s[10:11], 2
	v_add_co_u32 v24, vcc_lo, v24, s8
	v_add_co_ci_u32_e64 v25, null, s9, v25, vcc_lo
	v_add_co_u32 v24, vcc_lo, v24, s6
	v_add_co_ci_u32_e64 v25, null, s7, v25, vcc_lo
	s_waitcnt vmcnt(0)
	v_add_co_u32 v24, vcc_lo, v24, v26
	v_add_co_ci_u32_e64 v25, null, 0, v25, vcc_lo
	flat_store_dword v[24:25], v0
	flat_store_dword v[24:25], v1 offset:32
	flat_store_dword v[24:25], v2 offset:64
	;; [unrolled: 1-line block ×23, first 2 shown]
.LBB187_1687:
	s_or_b32 exec_lo, exec_lo, s4
	s_clause 0x2f
	buffer_load_dword v127, off, s[0:3], s32
	buffer_load_dword v126, off, s[0:3], s32 offset:4
	buffer_load_dword v125, off, s[0:3], s32 offset:8
	;; [unrolled: 1-line block ×47, first 2 shown]
	s_waitcnt vmcnt(0) lgkmcnt(0)
	s_setpc_b64 s[30:31]
.LBB187_1688:
	ds_read_b32 v26, v24
	s_waitcnt lgkmcnt(0)
	v_add_f32_e32 v0, v26, v0
	s_or_b32 exec_lo, exec_lo, s4
	s_and_saveexec_b32 s4, vcc_lo
	s_cbranch_execz .LBB187_1632
.LBB187_1689:
	ds_read_b32 v26, v24 offset:32
	s_waitcnt lgkmcnt(0)
	v_add_f32_e32 v1, v26, v1
	s_or_b32 exec_lo, exec_lo, s4
	s_and_saveexec_b32 s4, vcc_lo
	s_cbranch_execz .LBB187_1633
.LBB187_1690:
	ds_read_b32 v26, v24 offset:64
	s_waitcnt lgkmcnt(0)
	v_add_f32_e32 v2, v26, v2
	s_or_b32 exec_lo, exec_lo, s4
	s_and_saveexec_b32 s4, vcc_lo
	s_cbranch_execz .LBB187_1634
.LBB187_1691:
	ds_read_b32 v26, v24 offset:96
	s_waitcnt lgkmcnt(0)
	v_add_f32_e32 v3, v26, v3
	s_or_b32 exec_lo, exec_lo, s4
	s_and_saveexec_b32 s4, vcc_lo
	s_cbranch_execz .LBB187_1635
.LBB187_1692:
	ds_read_b32 v26, v24 offset:128
	s_waitcnt lgkmcnt(0)
	v_add_f32_e32 v4, v26, v4
	s_or_b32 exec_lo, exec_lo, s4
	s_and_saveexec_b32 s4, vcc_lo
	s_cbranch_execz .LBB187_1636
.LBB187_1693:
	ds_read_b32 v26, v24 offset:160
	s_waitcnt lgkmcnt(0)
	v_add_f32_e32 v5, v26, v5
	s_or_b32 exec_lo, exec_lo, s4
	s_and_saveexec_b32 s4, vcc_lo
	s_cbranch_execz .LBB187_1637
.LBB187_1694:
	ds_read_b32 v26, v24 offset:192
	s_waitcnt lgkmcnt(0)
	v_add_f32_e32 v6, v26, v6
	s_or_b32 exec_lo, exec_lo, s4
	s_and_saveexec_b32 s4, vcc_lo
	s_cbranch_execz .LBB187_1638
.LBB187_1695:
	ds_read_b32 v26, v24 offset:224
	s_waitcnt lgkmcnt(0)
	v_add_f32_e32 v7, v26, v7
	s_or_b32 exec_lo, exec_lo, s4
	s_and_saveexec_b32 s4, vcc_lo
	s_cbranch_execz .LBB187_1639
.LBB187_1696:
	ds_read_b32 v26, v24 offset:256
	s_waitcnt lgkmcnt(0)
	v_add_f32_e32 v8, v26, v8
	s_or_b32 exec_lo, exec_lo, s4
	s_and_saveexec_b32 s4, vcc_lo
	s_cbranch_execz .LBB187_1640
.LBB187_1697:
	ds_read_b32 v26, v24 offset:288
	s_waitcnt lgkmcnt(0)
	v_add_f32_e32 v9, v26, v9
	s_or_b32 exec_lo, exec_lo, s4
	s_and_saveexec_b32 s4, vcc_lo
	s_cbranch_execz .LBB187_1641
.LBB187_1698:
	ds_read_b32 v26, v24 offset:320
	s_waitcnt lgkmcnt(0)
	v_add_f32_e32 v10, v26, v10
	s_or_b32 exec_lo, exec_lo, s4
	s_and_saveexec_b32 s4, vcc_lo
	s_cbranch_execz .LBB187_1642
.LBB187_1699:
	ds_read_b32 v26, v24 offset:352
	s_waitcnt lgkmcnt(0)
	v_add_f32_e32 v11, v26, v11
	s_or_b32 exec_lo, exec_lo, s4
	s_and_saveexec_b32 s4, vcc_lo
	s_cbranch_execz .LBB187_1643
.LBB187_1700:
	ds_read_b32 v26, v24 offset:384
	s_waitcnt lgkmcnt(0)
	v_add_f32_e32 v12, v26, v12
	s_or_b32 exec_lo, exec_lo, s4
	s_and_saveexec_b32 s4, vcc_lo
	s_cbranch_execz .LBB187_1644
.LBB187_1701:
	ds_read_b32 v26, v24 offset:416
	s_waitcnt lgkmcnt(0)
	v_add_f32_e32 v13, v26, v13
	s_or_b32 exec_lo, exec_lo, s4
	s_and_saveexec_b32 s4, vcc_lo
	s_cbranch_execz .LBB187_1645
.LBB187_1702:
	ds_read_b32 v26, v24 offset:448
	s_waitcnt lgkmcnt(0)
	v_add_f32_e32 v14, v26, v14
	s_or_b32 exec_lo, exec_lo, s4
	s_and_saveexec_b32 s4, vcc_lo
	s_cbranch_execz .LBB187_1646
.LBB187_1703:
	ds_read_b32 v26, v24 offset:480
	s_waitcnt lgkmcnt(0)
	v_add_f32_e32 v15, v26, v15
	s_or_b32 exec_lo, exec_lo, s4
	s_and_saveexec_b32 s4, vcc_lo
	s_cbranch_execz .LBB187_1647
.LBB187_1704:
	ds_read_b32 v26, v24 offset:512
	s_waitcnt lgkmcnt(0)
	v_add_f32_e32 v16, v26, v16
	s_or_b32 exec_lo, exec_lo, s4
	s_and_saveexec_b32 s4, vcc_lo
	s_cbranch_execz .LBB187_1648
.LBB187_1705:
	ds_read_b32 v26, v24 offset:544
	s_waitcnt lgkmcnt(0)
	v_add_f32_e32 v17, v26, v17
	s_or_b32 exec_lo, exec_lo, s4
	s_and_saveexec_b32 s4, vcc_lo
	s_cbranch_execz .LBB187_1649
.LBB187_1706:
	ds_read_b32 v26, v24 offset:576
	s_waitcnt lgkmcnt(0)
	v_add_f32_e32 v18, v26, v18
	s_or_b32 exec_lo, exec_lo, s4
	s_and_saveexec_b32 s4, vcc_lo
	s_cbranch_execz .LBB187_1650
.LBB187_1707:
	ds_read_b32 v26, v24 offset:608
	s_waitcnt lgkmcnt(0)
	v_add_f32_e32 v19, v26, v19
	s_or_b32 exec_lo, exec_lo, s4
	s_and_saveexec_b32 s4, vcc_lo
	s_cbranch_execz .LBB187_1651
.LBB187_1708:
	ds_read_b32 v26, v24 offset:640
	s_waitcnt lgkmcnt(0)
	v_add_f32_e32 v20, v26, v20
	s_or_b32 exec_lo, exec_lo, s4
	s_and_saveexec_b32 s4, vcc_lo
	s_cbranch_execz .LBB187_1652
.LBB187_1709:
	ds_read_b32 v26, v24 offset:672
	s_waitcnt lgkmcnt(0)
	v_add_f32_e32 v21, v26, v21
	s_or_b32 exec_lo, exec_lo, s4
	s_and_saveexec_b32 s4, vcc_lo
	s_cbranch_execz .LBB187_1653
.LBB187_1710:
	ds_read_b32 v26, v24 offset:704
	s_waitcnt lgkmcnt(0)
	v_add_f32_e32 v22, v26, v22
	s_or_b32 exec_lo, exec_lo, s4
	s_and_saveexec_b32 s4, vcc_lo
	s_cbranch_execnz .LBB187_1654
	s_branch .LBB187_1655
.LBB187_1711:
	ds_read_b32 v25, v24
	s_waitcnt lgkmcnt(0)
	v_add_f32_e32 v0, v25, v0
	s_or_b32 exec_lo, exec_lo, s4
	s_and_saveexec_b32 s4, vcc_lo
	s_cbranch_execz .LBB187_1661
.LBB187_1712:
	ds_read_b32 v25, v24 offset:32
	s_waitcnt lgkmcnt(0)
	v_add_f32_e32 v1, v25, v1
	s_or_b32 exec_lo, exec_lo, s4
	s_and_saveexec_b32 s4, vcc_lo
	s_cbranch_execz .LBB187_1662
.LBB187_1713:
	ds_read_b32 v25, v24 offset:64
	s_waitcnt lgkmcnt(0)
	v_add_f32_e32 v2, v25, v2
	s_or_b32 exec_lo, exec_lo, s4
	s_and_saveexec_b32 s4, vcc_lo
	s_cbranch_execz .LBB187_1663
.LBB187_1714:
	ds_read_b32 v25, v24 offset:96
	s_waitcnt lgkmcnt(0)
	v_add_f32_e32 v3, v25, v3
	s_or_b32 exec_lo, exec_lo, s4
	s_and_saveexec_b32 s4, vcc_lo
	s_cbranch_execz .LBB187_1664
.LBB187_1715:
	ds_read_b32 v25, v24 offset:128
	s_waitcnt lgkmcnt(0)
	v_add_f32_e32 v4, v25, v4
	s_or_b32 exec_lo, exec_lo, s4
	s_and_saveexec_b32 s4, vcc_lo
	s_cbranch_execz .LBB187_1665
.LBB187_1716:
	ds_read_b32 v25, v24 offset:160
	s_waitcnt lgkmcnt(0)
	v_add_f32_e32 v5, v25, v5
	s_or_b32 exec_lo, exec_lo, s4
	s_and_saveexec_b32 s4, vcc_lo
	s_cbranch_execz .LBB187_1666
.LBB187_1717:
	ds_read_b32 v25, v24 offset:192
	s_waitcnt lgkmcnt(0)
	v_add_f32_e32 v6, v25, v6
	s_or_b32 exec_lo, exec_lo, s4
	s_and_saveexec_b32 s4, vcc_lo
	s_cbranch_execz .LBB187_1667
.LBB187_1718:
	ds_read_b32 v25, v24 offset:224
	s_waitcnt lgkmcnt(0)
	v_add_f32_e32 v7, v25, v7
	s_or_b32 exec_lo, exec_lo, s4
	s_and_saveexec_b32 s4, vcc_lo
	s_cbranch_execz .LBB187_1668
.LBB187_1719:
	ds_read_b32 v25, v24 offset:256
	s_waitcnt lgkmcnt(0)
	v_add_f32_e32 v8, v25, v8
	s_or_b32 exec_lo, exec_lo, s4
	s_and_saveexec_b32 s4, vcc_lo
	s_cbranch_execz .LBB187_1669
.LBB187_1720:
	ds_read_b32 v25, v24 offset:288
	s_waitcnt lgkmcnt(0)
	v_add_f32_e32 v9, v25, v9
	s_or_b32 exec_lo, exec_lo, s4
	s_and_saveexec_b32 s4, vcc_lo
	s_cbranch_execz .LBB187_1670
.LBB187_1721:
	ds_read_b32 v25, v24 offset:320
	s_waitcnt lgkmcnt(0)
	v_add_f32_e32 v10, v25, v10
	s_or_b32 exec_lo, exec_lo, s4
	s_and_saveexec_b32 s4, vcc_lo
	s_cbranch_execz .LBB187_1671
.LBB187_1722:
	ds_read_b32 v25, v24 offset:352
	s_waitcnt lgkmcnt(0)
	v_add_f32_e32 v11, v25, v11
	s_or_b32 exec_lo, exec_lo, s4
	s_and_saveexec_b32 s4, vcc_lo
	s_cbranch_execz .LBB187_1672
.LBB187_1723:
	ds_read_b32 v25, v24 offset:384
	s_waitcnt lgkmcnt(0)
	v_add_f32_e32 v12, v25, v12
	s_or_b32 exec_lo, exec_lo, s4
	s_and_saveexec_b32 s4, vcc_lo
	s_cbranch_execz .LBB187_1673
.LBB187_1724:
	ds_read_b32 v25, v24 offset:416
	s_waitcnt lgkmcnt(0)
	v_add_f32_e32 v13, v25, v13
	s_or_b32 exec_lo, exec_lo, s4
	s_and_saveexec_b32 s4, vcc_lo
	s_cbranch_execz .LBB187_1674
.LBB187_1725:
	ds_read_b32 v25, v24 offset:448
	s_waitcnt lgkmcnt(0)
	v_add_f32_e32 v14, v25, v14
	s_or_b32 exec_lo, exec_lo, s4
	s_and_saveexec_b32 s4, vcc_lo
	s_cbranch_execz .LBB187_1675
.LBB187_1726:
	ds_read_b32 v25, v24 offset:480
	s_waitcnt lgkmcnt(0)
	v_add_f32_e32 v15, v25, v15
	s_or_b32 exec_lo, exec_lo, s4
	s_and_saveexec_b32 s4, vcc_lo
	s_cbranch_execz .LBB187_1676
.LBB187_1727:
	ds_read_b32 v25, v24 offset:512
	s_waitcnt lgkmcnt(0)
	v_add_f32_e32 v16, v25, v16
	s_or_b32 exec_lo, exec_lo, s4
	s_and_saveexec_b32 s4, vcc_lo
	s_cbranch_execz .LBB187_1677
.LBB187_1728:
	ds_read_b32 v25, v24 offset:544
	s_waitcnt lgkmcnt(0)
	v_add_f32_e32 v17, v25, v17
	s_or_b32 exec_lo, exec_lo, s4
	s_and_saveexec_b32 s4, vcc_lo
	s_cbranch_execz .LBB187_1678
.LBB187_1729:
	ds_read_b32 v25, v24 offset:576
	s_waitcnt lgkmcnt(0)
	v_add_f32_e32 v18, v25, v18
	s_or_b32 exec_lo, exec_lo, s4
	s_and_saveexec_b32 s4, vcc_lo
	s_cbranch_execz .LBB187_1679
.LBB187_1730:
	ds_read_b32 v25, v24 offset:608
	s_waitcnt lgkmcnt(0)
	v_add_f32_e32 v19, v25, v19
	s_or_b32 exec_lo, exec_lo, s4
	s_and_saveexec_b32 s4, vcc_lo
	s_cbranch_execz .LBB187_1680
.LBB187_1731:
	ds_read_b32 v25, v24 offset:640
	s_waitcnt lgkmcnt(0)
	v_add_f32_e32 v20, v25, v20
	s_or_b32 exec_lo, exec_lo, s4
	s_and_saveexec_b32 s4, vcc_lo
	s_cbranch_execz .LBB187_1681
.LBB187_1732:
	ds_read_b32 v25, v24 offset:672
	s_waitcnt lgkmcnt(0)
	v_add_f32_e32 v21, v25, v21
	s_or_b32 exec_lo, exec_lo, s4
	s_and_saveexec_b32 s4, vcc_lo
	s_cbranch_execz .LBB187_1682
.LBB187_1733:
	ds_read_b32 v25, v24 offset:704
	s_waitcnt lgkmcnt(0)
	v_add_f32_e32 v22, v25, v22
	s_or_b32 exec_lo, exec_lo, s4
	s_and_saveexec_b32 s4, vcc_lo
	s_cbranch_execnz .LBB187_1683
	s_branch .LBB187_1684
.Lfunc_end187:
	.size	_ZN4vllm22paged_attention_kernelIfhLi192ELi16ELi128ELNS_18Fp8KVCacheDataTypeE1ELb1ELi0EEEvPfS2_PT_PKS3_PKT0_S9_ifPKiSB_iPKfiiiSD_SD_iiiii, .Lfunc_end187-_ZN4vllm22paged_attention_kernelIfhLi192ELi16ELi128ELNS_18Fp8KVCacheDataTypeE1ELb1ELi0EEEvPfS2_PT_PKS3_PKT0_S9_ifPKiSB_iPKfiiiSD_SD_iiiii
                                        ; -- End function
	.set .L_ZN4vllm22paged_attention_kernelIfhLi192ELi16ELi128ELNS_18Fp8KVCacheDataTypeE1ELb1ELi0EEEvPfS2_PT_PKS3_PKT0_S9_ifPKiSB_iPKfiiiSD_SD_iiiii.num_vgpr, 128
	.set .L_ZN4vllm22paged_attention_kernelIfhLi192ELi16ELi128ELNS_18Fp8KVCacheDataTypeE1ELb1ELi0EEEvPfS2_PT_PKS3_PKT0_S9_ifPKiSB_iPKfiiiSD_SD_iiiii.num_agpr, 0
	.set .L_ZN4vllm22paged_attention_kernelIfhLi192ELi16ELi128ELNS_18Fp8KVCacheDataTypeE1ELb1ELi0EEEvPfS2_PT_PKS3_PKT0_S9_ifPKiSB_iPKfiiiSD_SD_iiiii.numbered_sgpr, 33
	.set .L_ZN4vllm22paged_attention_kernelIfhLi192ELi16ELi128ELNS_18Fp8KVCacheDataTypeE1ELb1ELi0EEEvPfS2_PT_PKS3_PKT0_S9_ifPKiSB_iPKfiiiSD_SD_iiiii.num_named_barrier, 0
	.set .L_ZN4vllm22paged_attention_kernelIfhLi192ELi16ELi128ELNS_18Fp8KVCacheDataTypeE1ELb1ELi0EEEvPfS2_PT_PKS3_PKT0_S9_ifPKiSB_iPKfiiiSD_SD_iiiii.private_seg_size, 904
	.set .L_ZN4vllm22paged_attention_kernelIfhLi192ELi16ELi128ELNS_18Fp8KVCacheDataTypeE1ELb1ELi0EEEvPfS2_PT_PKS3_PKT0_S9_ifPKiSB_iPKfiiiSD_SD_iiiii.uses_vcc, 1
	.set .L_ZN4vllm22paged_attention_kernelIfhLi192ELi16ELi128ELNS_18Fp8KVCacheDataTypeE1ELb1ELi0EEEvPfS2_PT_PKS3_PKT0_S9_ifPKiSB_iPKfiiiSD_SD_iiiii.uses_flat_scratch, 0
	.set .L_ZN4vllm22paged_attention_kernelIfhLi192ELi16ELi128ELNS_18Fp8KVCacheDataTypeE1ELb1ELi0EEEvPfS2_PT_PKS3_PKT0_S9_ifPKiSB_iPKfiiiSD_SD_iiiii.has_dyn_sized_stack, 0
	.set .L_ZN4vllm22paged_attention_kernelIfhLi192ELi16ELi128ELNS_18Fp8KVCacheDataTypeE1ELb1ELi0EEEvPfS2_PT_PKS3_PKT0_S9_ifPKiSB_iPKfiiiSD_SD_iiiii.has_recursion, 0
	.set .L_ZN4vllm22paged_attention_kernelIfhLi192ELi16ELi128ELNS_18Fp8KVCacheDataTypeE1ELb1ELi0EEEvPfS2_PT_PKS3_PKT0_S9_ifPKiSB_iPKfiiiSD_SD_iiiii.has_indirect_call, 0
	.section	.AMDGPU.csdata,"",@progbits
; Function info:
; codeLenInByte = 58520
; TotalNumSgprs: 35
; NumVgprs: 128
; ScratchSize: 904
; MemoryBound: 0
	.section	.text._ZN4vllm25paged_attention_v1_kernelIfhLi192ELi16ELi128ELNS_18Fp8KVCacheDataTypeE1ELb1EEEvPT_PKS2_PKT0_S8_ifPKiSA_iPKfiiiSC_SC_iiiii,"axG",@progbits,_ZN4vllm25paged_attention_v1_kernelIfhLi192ELi16ELi128ELNS_18Fp8KVCacheDataTypeE1ELb1EEEvPT_PKS2_PKT0_S8_ifPKiSA_iPKfiiiSC_SC_iiiii,comdat
	.protected	_ZN4vllm25paged_attention_v1_kernelIfhLi192ELi16ELi128ELNS_18Fp8KVCacheDataTypeE1ELb1EEEvPT_PKS2_PKT0_S8_ifPKiSA_iPKfiiiSC_SC_iiiii ; -- Begin function _ZN4vllm25paged_attention_v1_kernelIfhLi192ELi16ELi128ELNS_18Fp8KVCacheDataTypeE1ELb1EEEvPT_PKS2_PKT0_S8_ifPKiSA_iPKfiiiSC_SC_iiiii
	.globl	_ZN4vllm25paged_attention_v1_kernelIfhLi192ELi16ELi128ELNS_18Fp8KVCacheDataTypeE1ELb1EEEvPT_PKS2_PKT0_S8_ifPKiSA_iPKfiiiSC_SC_iiiii
	.p2align	8
	.type	_ZN4vllm25paged_attention_v1_kernelIfhLi192ELi16ELi128ELNS_18Fp8KVCacheDataTypeE1ELb1EEEvPT_PKS2_PKT0_S8_ifPKiSA_iPKfiiiSC_SC_iiiii,@function
_ZN4vllm25paged_attention_v1_kernelIfhLi192ELi16ELi128ELNS_18Fp8KVCacheDataTypeE1ELb1EEEvPT_PKS2_PKT0_S8_ifPKiSA_iPKfiiiSC_SC_iiiii: ; @_ZN4vllm25paged_attention_v1_kernelIfhLi192ELi16ELi128ELNS_18Fp8KVCacheDataTypeE1ELb1EEEvPT_PKS2_PKT0_S8_ifPKiSA_iPKfiiiSC_SC_iiiii
; %bb.0:
	s_clause 0x7
	s_load_dwordx8 s[16:23], s[4:5], 0x0
	s_load_dwordx4 s[36:39], s[4:5], 0x20
	s_load_dwordx2 s[10:11], s[4:5], 0x30
	s_load_dword s13, s[4:5], 0x38
	s_load_dwordx2 s[34:35], s[4:5], 0x40
	s_load_dwordx8 s[24:31], s[4:5], 0x48
	s_load_dword s15, s[4:5], 0x78
	s_load_dwordx4 s[40:43], s[4:5], 0x68
	s_add_u32 s0, s0, s9
	s_addc_u32 s1, s1, 0
	v_mov_b32_e32 v31, v0
	s_mov_b32 s14, s8
	s_add_u32 s8, s4, 0x80
	s_addc_u32 s9, s5, 0
	s_getpc_b64 s[4:5]
	s_add_u32 s4, s4, _ZN4vllm22paged_attention_kernelIfhLi192ELi16ELi128ELNS_18Fp8KVCacheDataTypeE1ELb1ELi0EEEvPfS2_PT_PKS3_PKT0_S9_ifPKiSB_iPKfiiiSD_SD_iiiii@rel32@lo+4
	s_addc_u32 s5, s5, _ZN4vllm22paged_attention_kernelIfhLi192ELi16ELi128ELNS_18Fp8KVCacheDataTypeE1ELb1ELi0EEEvPfS2_PT_PKS3_PKT0_S9_ifPKiSB_iPKfiiiSD_SD_iiiii@rel32@hi+12
	s_mov_b32 s12, s6
	s_mov_b32 s32, 0
	s_waitcnt lgkmcnt(0)
	v_mov_b32_e32 v0, s16
	v_mov_b32_e32 v1, s17
	;; [unrolled: 1-line block ×29, first 2 shown]
	s_mov_b32 s13, s7
	s_mov_b32 s15, 23
	s_swappc_b64 s[30:31], s[4:5]
	s_endpgm
	.section	.rodata,"a",@progbits
	.p2align	6, 0x0
	.amdhsa_kernel _ZN4vllm25paged_attention_v1_kernelIfhLi192ELi16ELi128ELNS_18Fp8KVCacheDataTypeE1ELb1EEEvPT_PKS2_PKT0_S8_ifPKiSA_iPKfiiiSC_SC_iiiii
		.amdhsa_group_segment_fixed_size 800
		.amdhsa_private_segment_fixed_size 904
		.amdhsa_kernarg_size 384
		.amdhsa_user_sgpr_count 6
		.amdhsa_user_sgpr_private_segment_buffer 1
		.amdhsa_user_sgpr_dispatch_ptr 0
		.amdhsa_user_sgpr_queue_ptr 0
		.amdhsa_user_sgpr_kernarg_segment_ptr 1
		.amdhsa_user_sgpr_dispatch_id 0
		.amdhsa_user_sgpr_flat_scratch_init 0
		.amdhsa_user_sgpr_private_segment_size 0
		.amdhsa_wavefront_size32 1
		.amdhsa_uses_dynamic_stack 0
		.amdhsa_system_sgpr_private_segment_wavefront_offset 1
		.amdhsa_system_sgpr_workgroup_id_x 1
		.amdhsa_system_sgpr_workgroup_id_y 1
		.amdhsa_system_sgpr_workgroup_id_z 1
		.amdhsa_system_sgpr_workgroup_info 0
		.amdhsa_system_vgpr_workitem_id 0
		.amdhsa_next_free_vgpr 128
		.amdhsa_next_free_sgpr 44
		.amdhsa_reserve_vcc 1
		.amdhsa_reserve_flat_scratch 0
		.amdhsa_float_round_mode_32 0
		.amdhsa_float_round_mode_16_64 0
		.amdhsa_float_denorm_mode_32 3
		.amdhsa_float_denorm_mode_16_64 3
		.amdhsa_dx10_clamp 1
		.amdhsa_ieee_mode 1
		.amdhsa_fp16_overflow 0
		.amdhsa_workgroup_processor_mode 1
		.amdhsa_memory_ordered 1
		.amdhsa_forward_progress 1
		.amdhsa_shared_vgpr_count 0
		.amdhsa_exception_fp_ieee_invalid_op 0
		.amdhsa_exception_fp_denorm_src 0
		.amdhsa_exception_fp_ieee_div_zero 0
		.amdhsa_exception_fp_ieee_overflow 0
		.amdhsa_exception_fp_ieee_underflow 0
		.amdhsa_exception_fp_ieee_inexact 0
		.amdhsa_exception_int_div_zero 0
	.end_amdhsa_kernel
	.section	.text._ZN4vllm25paged_attention_v1_kernelIfhLi192ELi16ELi128ELNS_18Fp8KVCacheDataTypeE1ELb1EEEvPT_PKS2_PKT0_S8_ifPKiSA_iPKfiiiSC_SC_iiiii,"axG",@progbits,_ZN4vllm25paged_attention_v1_kernelIfhLi192ELi16ELi128ELNS_18Fp8KVCacheDataTypeE1ELb1EEEvPT_PKS2_PKT0_S8_ifPKiSA_iPKfiiiSC_SC_iiiii,comdat
.Lfunc_end188:
	.size	_ZN4vllm25paged_attention_v1_kernelIfhLi192ELi16ELi128ELNS_18Fp8KVCacheDataTypeE1ELb1EEEvPT_PKS2_PKT0_S8_ifPKiSA_iPKfiiiSC_SC_iiiii, .Lfunc_end188-_ZN4vllm25paged_attention_v1_kernelIfhLi192ELi16ELi128ELNS_18Fp8KVCacheDataTypeE1ELb1EEEvPT_PKS2_PKT0_S8_ifPKiSA_iPKfiiiSC_SC_iiiii
                                        ; -- End function
	.set _ZN4vllm25paged_attention_v1_kernelIfhLi192ELi16ELi128ELNS_18Fp8KVCacheDataTypeE1ELb1EEEvPT_PKS2_PKT0_S8_ifPKiSA_iPKfiiiSC_SC_iiiii.num_vgpr, max(32, .L_ZN4vllm22paged_attention_kernelIfhLi192ELi16ELi128ELNS_18Fp8KVCacheDataTypeE1ELb1ELi0EEEvPfS2_PT_PKS3_PKT0_S9_ifPKiSB_iPKfiiiSD_SD_iiiii.num_vgpr)
	.set _ZN4vllm25paged_attention_v1_kernelIfhLi192ELi16ELi128ELNS_18Fp8KVCacheDataTypeE1ELb1EEEvPT_PKS2_PKT0_S8_ifPKiSA_iPKfiiiSC_SC_iiiii.num_agpr, max(0, .L_ZN4vllm22paged_attention_kernelIfhLi192ELi16ELi128ELNS_18Fp8KVCacheDataTypeE1ELb1ELi0EEEvPfS2_PT_PKS3_PKT0_S9_ifPKiSB_iPKfiiiSD_SD_iiiii.num_agpr)
	.set _ZN4vllm25paged_attention_v1_kernelIfhLi192ELi16ELi128ELNS_18Fp8KVCacheDataTypeE1ELb1EEEvPT_PKS2_PKT0_S8_ifPKiSA_iPKfiiiSC_SC_iiiii.numbered_sgpr, max(44, .L_ZN4vllm22paged_attention_kernelIfhLi192ELi16ELi128ELNS_18Fp8KVCacheDataTypeE1ELb1ELi0EEEvPfS2_PT_PKS3_PKT0_S9_ifPKiSB_iPKfiiiSD_SD_iiiii.numbered_sgpr)
	.set _ZN4vllm25paged_attention_v1_kernelIfhLi192ELi16ELi128ELNS_18Fp8KVCacheDataTypeE1ELb1EEEvPT_PKS2_PKT0_S8_ifPKiSA_iPKfiiiSC_SC_iiiii.num_named_barrier, max(0, .L_ZN4vllm22paged_attention_kernelIfhLi192ELi16ELi128ELNS_18Fp8KVCacheDataTypeE1ELb1ELi0EEEvPfS2_PT_PKS3_PKT0_S9_ifPKiSB_iPKfiiiSD_SD_iiiii.num_named_barrier)
	.set _ZN4vllm25paged_attention_v1_kernelIfhLi192ELi16ELi128ELNS_18Fp8KVCacheDataTypeE1ELb1EEEvPT_PKS2_PKT0_S8_ifPKiSA_iPKfiiiSC_SC_iiiii.private_seg_size, 0+max(.L_ZN4vllm22paged_attention_kernelIfhLi192ELi16ELi128ELNS_18Fp8KVCacheDataTypeE1ELb1ELi0EEEvPfS2_PT_PKS3_PKT0_S9_ifPKiSB_iPKfiiiSD_SD_iiiii.private_seg_size)
	.set _ZN4vllm25paged_attention_v1_kernelIfhLi192ELi16ELi128ELNS_18Fp8KVCacheDataTypeE1ELb1EEEvPT_PKS2_PKT0_S8_ifPKiSA_iPKfiiiSC_SC_iiiii.uses_vcc, or(1, .L_ZN4vllm22paged_attention_kernelIfhLi192ELi16ELi128ELNS_18Fp8KVCacheDataTypeE1ELb1ELi0EEEvPfS2_PT_PKS3_PKT0_S9_ifPKiSB_iPKfiiiSD_SD_iiiii.uses_vcc)
	.set _ZN4vllm25paged_attention_v1_kernelIfhLi192ELi16ELi128ELNS_18Fp8KVCacheDataTypeE1ELb1EEEvPT_PKS2_PKT0_S8_ifPKiSA_iPKfiiiSC_SC_iiiii.uses_flat_scratch, or(0, .L_ZN4vllm22paged_attention_kernelIfhLi192ELi16ELi128ELNS_18Fp8KVCacheDataTypeE1ELb1ELi0EEEvPfS2_PT_PKS3_PKT0_S9_ifPKiSB_iPKfiiiSD_SD_iiiii.uses_flat_scratch)
	.set _ZN4vllm25paged_attention_v1_kernelIfhLi192ELi16ELi128ELNS_18Fp8KVCacheDataTypeE1ELb1EEEvPT_PKS2_PKT0_S8_ifPKiSA_iPKfiiiSC_SC_iiiii.has_dyn_sized_stack, or(0, .L_ZN4vllm22paged_attention_kernelIfhLi192ELi16ELi128ELNS_18Fp8KVCacheDataTypeE1ELb1ELi0EEEvPfS2_PT_PKS3_PKT0_S9_ifPKiSB_iPKfiiiSD_SD_iiiii.has_dyn_sized_stack)
	.set _ZN4vllm25paged_attention_v1_kernelIfhLi192ELi16ELi128ELNS_18Fp8KVCacheDataTypeE1ELb1EEEvPT_PKS2_PKT0_S8_ifPKiSA_iPKfiiiSC_SC_iiiii.has_recursion, or(0, .L_ZN4vllm22paged_attention_kernelIfhLi192ELi16ELi128ELNS_18Fp8KVCacheDataTypeE1ELb1ELi0EEEvPfS2_PT_PKS3_PKT0_S9_ifPKiSB_iPKfiiiSD_SD_iiiii.has_recursion)
	.set _ZN4vllm25paged_attention_v1_kernelIfhLi192ELi16ELi128ELNS_18Fp8KVCacheDataTypeE1ELb1EEEvPT_PKS2_PKT0_S8_ifPKiSA_iPKfiiiSC_SC_iiiii.has_indirect_call, or(0, .L_ZN4vllm22paged_attention_kernelIfhLi192ELi16ELi128ELNS_18Fp8KVCacheDataTypeE1ELb1ELi0EEEvPfS2_PT_PKS3_PKT0_S9_ifPKiSB_iPKfiiiSD_SD_iiiii.has_indirect_call)
	.section	.AMDGPU.csdata,"",@progbits
; Kernel info:
; codeLenInByte = 260
; TotalNumSgprs: 46
; NumVgprs: 128
; ScratchSize: 904
; MemoryBound: 0
; FloatMode: 240
; IeeeMode: 1
; LDSByteSize: 800 bytes/workgroup (compile time only)
; SGPRBlocks: 0
; VGPRBlocks: 15
; NumSGPRsForWavesPerEU: 46
; NumVGPRsForWavesPerEU: 128
; Occupancy: 8
; WaveLimiterHint : 1
; COMPUTE_PGM_RSRC2:SCRATCH_EN: 1
; COMPUTE_PGM_RSRC2:USER_SGPR: 6
; COMPUTE_PGM_RSRC2:TRAP_HANDLER: 0
; COMPUTE_PGM_RSRC2:TGID_X_EN: 1
; COMPUTE_PGM_RSRC2:TGID_Y_EN: 1
; COMPUTE_PGM_RSRC2:TGID_Z_EN: 1
; COMPUTE_PGM_RSRC2:TIDIG_COMP_CNT: 0
	.text
	.p2align	2                               ; -- Begin function _ZN4vllm22paged_attention_kernelIfhLi256ELi16ELi128ELNS_18Fp8KVCacheDataTypeE1ELb1ELi0EEEvPfS2_PT_PKS3_PKT0_S9_ifPKiSB_iPKfiiiSD_SD_iiiii
	.type	_ZN4vllm22paged_attention_kernelIfhLi256ELi16ELi128ELNS_18Fp8KVCacheDataTypeE1ELb1ELi0EEEvPfS2_PT_PKS3_PKT0_S9_ifPKiSB_iPKfiiiSD_SD_iiiii,@function
_ZN4vllm22paged_attention_kernelIfhLi256ELi16ELi128ELNS_18Fp8KVCacheDataTypeE1ELb1ELi0EEEvPfS2_PT_PKS3_PKT0_S9_ifPKiSB_iPKfiiiSD_SD_iiiii: ; @_ZN4vllm22paged_attention_kernelIfhLi256ELi16ELi128ELNS_18Fp8KVCacheDataTypeE1ELb1ELi0EEEvPfS2_PT_PKS3_PKT0_S9_ifPKiSB_iPKfiiiSD_SD_iiiii
; %bb.0:
	s_waitcnt vmcnt(0) expcnt(0) lgkmcnt(0)
	buffer_store_dword v40, off, s[0:3], s32 offset:188 ; 4-byte Folded Spill
	buffer_store_dword v41, off, s[0:3], s32 offset:184 ; 4-byte Folded Spill
	buffer_store_dword v42, off, s[0:3], s32 offset:180 ; 4-byte Folded Spill
	buffer_store_dword v43, off, s[0:3], s32 offset:176 ; 4-byte Folded Spill
	buffer_store_dword v44, off, s[0:3], s32 offset:172 ; 4-byte Folded Spill
	buffer_store_dword v45, off, s[0:3], s32 offset:168 ; 4-byte Folded Spill
	buffer_store_dword v46, off, s[0:3], s32 offset:164 ; 4-byte Folded Spill
	buffer_store_dword v47, off, s[0:3], s32 offset:160 ; 4-byte Folded Spill
	buffer_store_dword v56, off, s[0:3], s32 offset:156 ; 4-byte Folded Spill
	buffer_store_dword v57, off, s[0:3], s32 offset:152 ; 4-byte Folded Spill
	buffer_store_dword v58, off, s[0:3], s32 offset:148 ; 4-byte Folded Spill
	buffer_store_dword v59, off, s[0:3], s32 offset:144 ; 4-byte Folded Spill
	buffer_store_dword v60, off, s[0:3], s32 offset:140 ; 4-byte Folded Spill
	buffer_store_dword v61, off, s[0:3], s32 offset:136 ; 4-byte Folded Spill
	buffer_store_dword v62, off, s[0:3], s32 offset:132 ; 4-byte Folded Spill
	buffer_store_dword v63, off, s[0:3], s32 offset:128 ; 4-byte Folded Spill
	buffer_store_dword v72, off, s[0:3], s32 offset:124 ; 4-byte Folded Spill
	buffer_store_dword v73, off, s[0:3], s32 offset:120 ; 4-byte Folded Spill
	buffer_store_dword v74, off, s[0:3], s32 offset:116 ; 4-byte Folded Spill
	buffer_store_dword v75, off, s[0:3], s32 offset:112 ; 4-byte Folded Spill
	buffer_store_dword v76, off, s[0:3], s32 offset:108 ; 4-byte Folded Spill
	buffer_store_dword v77, off, s[0:3], s32 offset:104 ; 4-byte Folded Spill
	buffer_store_dword v78, off, s[0:3], s32 offset:100 ; 4-byte Folded Spill
	buffer_store_dword v79, off, s[0:3], s32 offset:96 ; 4-byte Folded Spill
	buffer_store_dword v88, off, s[0:3], s32 offset:92 ; 4-byte Folded Spill
	buffer_store_dword v89, off, s[0:3], s32 offset:88 ; 4-byte Folded Spill
	buffer_store_dword v90, off, s[0:3], s32 offset:84 ; 4-byte Folded Spill
	buffer_store_dword v91, off, s[0:3], s32 offset:80 ; 4-byte Folded Spill
	buffer_store_dword v92, off, s[0:3], s32 offset:76 ; 4-byte Folded Spill
	buffer_store_dword v93, off, s[0:3], s32 offset:72 ; 4-byte Folded Spill
	buffer_store_dword v94, off, s[0:3], s32 offset:68 ; 4-byte Folded Spill
	buffer_store_dword v95, off, s[0:3], s32 offset:64 ; 4-byte Folded Spill
	buffer_store_dword v104, off, s[0:3], s32 offset:60 ; 4-byte Folded Spill
	buffer_store_dword v105, off, s[0:3], s32 offset:56 ; 4-byte Folded Spill
	buffer_store_dword v106, off, s[0:3], s32 offset:52 ; 4-byte Folded Spill
	buffer_store_dword v107, off, s[0:3], s32 offset:48 ; 4-byte Folded Spill
	buffer_store_dword v108, off, s[0:3], s32 offset:44 ; 4-byte Folded Spill
	buffer_store_dword v109, off, s[0:3], s32 offset:40 ; 4-byte Folded Spill
	buffer_store_dword v110, off, s[0:3], s32 offset:36 ; 4-byte Folded Spill
	buffer_store_dword v111, off, s[0:3], s32 offset:32 ; 4-byte Folded Spill
	buffer_store_dword v120, off, s[0:3], s32 offset:28 ; 4-byte Folded Spill
	buffer_store_dword v121, off, s[0:3], s32 offset:24 ; 4-byte Folded Spill
	buffer_store_dword v122, off, s[0:3], s32 offset:20 ; 4-byte Folded Spill
	buffer_store_dword v123, off, s[0:3], s32 offset:16 ; 4-byte Folded Spill
	buffer_store_dword v124, off, s[0:3], s32 offset:12 ; 4-byte Folded Spill
	buffer_store_dword v125, off, s[0:3], s32 offset:8 ; 4-byte Folded Spill
	buffer_store_dword v126, off, s[0:3], s32 offset:4 ; 4-byte Folded Spill
	buffer_store_dword v127, off, s[0:3], s32 ; 4-byte Folded Spill
	s_mov_b32 s10, s13
	s_ashr_i32 s11, s13, 31
	buffer_store_dword v22, off, s[0:3], s32 offset:1036 ; 4-byte Folded Spill
	buffer_store_dword v23, off, s[0:3], s32 offset:1040 ; 4-byte Folded Spill
	;; [unrolled: 1-line block ×5, first 2 shown]
	s_lshl_b64 s[4:5], s[10:11], 2
	buffer_store_dword v1, off, s[0:3], s32 offset:1084 ; 4-byte Folded Spill
	buffer_store_dword v0, off, s[0:3], s32 offset:1088 ; 4-byte Folded Spill
	v_add_co_u32 v0, vcc_lo, v12, s4
	v_add_co_ci_u32_e64 v1, null, s5, v13, vcc_lo
	s_clause 0x1
	s_load_dword s4, s[8:9], 0x10
	s_load_dword s5, s[8:9], 0x0
	v_mov_b32_e32 v20, v6
	flat_load_dword v119, v[0:1]
	v_sub_nc_u32_e32 v0, 0, v8
	v_mov_b32_e32 v18, v7
	s_mov_b32 s18, s15
	v_max_i32_e32 v0, v8, v0
	v_cvt_f32_u32_e32 v1, v0
	v_sub_nc_u32_e32 v6, 0, v0
	v_rcp_iflag_f32_e32 v1, v1
	s_waitcnt lgkmcnt(0)
	s_lshr_b32 s4, s4, 16
	s_cmp_lg_u32 s4, 0
	s_cselect_b32 s4, -1, 0
	s_cmp_lg_u32 s4, 0
	s_addc_u32 s11, s5, 0
	v_mul_f32_e32 v1, 0x4f7ffffe, v1
	s_abs_i32 s4, s11
	s_mov_b32 s5, exec_lo
	v_cvt_u32_f32_e32 v1, v1
	v_mul_lo_u32 v6, v6, v1
	v_mul_hi_u32 v6, v1, v6
	v_add_nc_u32_e32 v1, v1, v6
	v_mul_hi_u32 v1, s4, v1
	v_mul_lo_u32 v6, v1, v0
	v_add_nc_u32_e32 v7, 1, v1
	v_sub_nc_u32_e32 v6, s4, v6
	s_abs_i32 s4, s12
	v_sub_nc_u32_e32 v12, v6, v0
	v_cmp_ge_u32_e32 vcc_lo, v6, v0
	v_cndmask_b32_e32 v1, v1, v7, vcc_lo
	v_cndmask_b32_e32 v6, v6, v12, vcc_lo
	v_xor_b32_e32 v7, s11, v8
	v_add_nc_u32_e32 v12, 1, v1
	v_cmp_ge_u32_e32 vcc_lo, v6, v0
	v_ashrrev_i32_e32 v7, 31, v7
	v_cndmask_b32_e32 v0, v1, v12, vcc_lo
	v_xor_b32_e32 v0, v0, v7
	v_sub_nc_u32_e32 v6, v0, v7
	v_sub_nc_u32_e32 v0, 0, v6
	v_max_i32_e32 v7, v6, v0
	v_cvt_f32_u32_e32 v0, v7
	v_sub_nc_u32_e32 v1, 0, v7
	v_rcp_iflag_f32_e32 v0, v0
	v_mul_f32_e32 v0, 0x4f7ffffe, v0
	v_cvt_u32_f32_e32 v0, v0
	v_mul_lo_u32 v1, v1, v0
	v_mul_hi_u32 v1, v0, v1
	v_add_nc_u32_e32 v0, v0, v1
	v_mad_u64_u32 v[0:1], null, s4, v0, 0
	v_mov_b32_e32 v0, 0
	buffer_store_dword v0, off, s[0:3], s32 offset:1064 ; 4-byte Folded Spill
	v_cmpx_ne_u64_e32 0, v[15:16]
	s_cbranch_execz .LBB189_2
; %bb.1:
	s_ashr_i32 s13, s12, 31
	s_lshl_b64 s[6:7], s[12:13], 2
	v_add_co_u32 v12, vcc_lo, v15, s6
	v_add_co_ci_u32_e64 v13, null, s7, v16, vcc_lo
	flat_load_dword v0, v[12:13]
	s_waitcnt vmcnt(0) lgkmcnt(0)
	buffer_store_dword v0, off, s[0:3], s32 offset:1064 ; 4-byte Folded Spill
.LBB189_2:
	s_or_b32 exec_lo, exec_lo, s5
	v_and_b32_e32 v102, 0x3ff, v31
	v_ashrrev_i32_e32 v0, 31, v6
	v_and_b32_e32 v6, 1, v31
	s_ashr_i32 s5, s12, 31
	s_lshl_b32 s16, s12, 8
	v_lshlrev_b32_e32 v21, 2, v102
	s_mov_b32 s6, exec_lo
	v_cmpx_gt_u32_e32 0x80, v102
	s_cbranch_execz .LBB189_4
; %bb.3:
	v_mul_lo_u32 v12, v17, s10
	s_ashr_i32 s17, s16, 31
	s_lshl_b64 s[20:21], s[16:17], 2
	v_ashrrev_i32_e32 v13, 31, v12
	v_lshlrev_b64 v[15:16], 2, v[12:13]
	v_lshlrev_b32_e32 v12, 3, v102
	v_add_co_u32 v2, vcc_lo, v2, v15
	v_add_co_ci_u32_e64 v3, null, v3, v16, vcc_lo
	v_add_co_u32 v2, vcc_lo, v2, s20
	v_add_co_ci_u32_e64 v3, null, s21, v3, vcc_lo
	;; [unrolled: 2-line block ×3, first 2 shown]
	v_and_b32_e32 v12, 0xff8, v21
	flat_load_dwordx2 v[2:3], v[2:3]
	v_lshl_add_u32 v12, v6, 9, v12
	s_waitcnt vmcnt(0) lgkmcnt(0)
	ds_write_b64 v12, v[2:3]
.LBB189_4:
	s_or_b32 exec_lo, exec_lo, s6
	v_sub_nc_u32_e32 v2, 0, v27
	v_mul_lo_u32 v3, v1, v7
	v_max_i32_e32 v12, v27, v2
	v_sub_nc_u32_e32 v13, s4, v3
	v_cvt_f32_u32_e32 v2, v12
	buffer_store_dword v12, off, s[0:3], s32 offset:216 ; 4-byte Folded Spill
	v_add_nc_u32_e32 v3, 1, v1
	s_mov_b32 s4, exec_lo
	v_cmp_ge_u32_e32 vcc_lo, v13, v7
	v_rcp_iflag_f32_e32 v2, v2
	v_cndmask_b32_e32 v1, v1, v3, vcc_lo
	s_waitcnt vmcnt(0)
	v_add_nc_u32_e32 v3, -1, v119
	v_add_nc_u32_e32 v15, 1, v1
	v_mul_f32_e32 v2, 0x4f7ffffe, v2
	v_cvt_u32_f32_e32 v16, v2
	v_sub_nc_u32_e32 v2, 0, v12
	v_sub_nc_u32_e32 v12, v13, v7
	v_mul_lo_u32 v2, v2, v16
	v_cndmask_b32_e32 v17, v13, v12, vcc_lo
	v_xor_b32_e32 v13, s5, v0
	v_cmp_ge_u32_e32 vcc_lo, v17, v7
	v_mul_hi_u32 v12, v16, v2
	v_sub_nc_u32_e32 v2, 0, v3
	v_cndmask_b32_e32 v0, v1, v15, vcc_lo
	v_max_i32_e32 v2, v3, v2
	v_add_nc_u32_e32 v1, v16, v12
	v_xor_b32_e32 v7, v0, v13
	buffer_store_dword v1, off, s[0:3], s32 offset:224 ; 4-byte Folded Spill
	v_mad_u64_u32 v[0:1], null, v2, v1, 0
	v_sub_nc_u32_e32 v0, v7, v13
                                        ; implicit-def: $vgpr7
	s_waitcnt lgkmcnt(0)
	s_waitcnt_vscnt null, 0x0
	s_barrier
	buffer_gl0_inv
	buffer_store_dword v7, off, s[0:3], s32 offset:208 ; 4-byte Folded Spill
	buffer_store_dword v8, off, s[0:3], s32 offset:212 ; 4-byte Folded Spill
	v_cmpx_gt_i32_e32 0, v28
	s_xor_b32 s4, exec_lo, s4
	s_cbranch_execz .LBB189_6
; %bb.5:
	v_mad_u64_u32 v[7:8], null, v24, v8, v[0:1]
                                        ; implicit-def: $vgpr24
	v_mul_lo_u32 v7, v7, v28
                                        ; implicit-def: $vgpr28
	v_sub_nc_u32_e32 v7, 1, v7
	buffer_store_dword v7, off, s[0:3], s32 offset:208 ; 4-byte Folded Spill
	buffer_store_dword v8, off, s[0:3], s32 offset:212 ; 4-byte Folded Spill
.LBB189_6:
	s_or_saveexec_b32 s4, s4
	v_ashrrev_i32_e32 v3, 31, v3
	v_ashrrev_i32_e32 v7, 31, v27
	buffer_store_dword v7, off, s[0:3], s32 offset:220 ; 4-byte Folded Spill
	s_xor_b32 exec_lo, exec_lo, s4
	s_cbranch_execz .LBB189_8
; %bb.7:
	v_mad_u64_u32 v[7:8], null, s11, v24, s[12:13]
	v_mad_u64_u32 v[7:8], null, v7, v28, 1
	buffer_store_dword v7, off, s[0:3], s32 offset:208 ; 4-byte Folded Spill
	buffer_store_dword v8, off, s[0:3], s32 offset:212 ; 4-byte Folded Spill
.LBB189_8:
	s_or_b32 exec_lo, exec_lo, s4
	buffer_load_dword v13, off, s[0:3], s32 offset:216 ; 4-byte Folded Reload
	s_clause 0x1
	s_load_dword s13, s[8:9], 0x14
	s_load_dword s12, s[8:9], 0x8
	v_add_nc_u32_e32 v8, 15, v119
	v_lshrrev_b32_e32 v50, 5, v102
	v_mul_lo_u32 v17, v0, v19
	v_sub_nc_u32_e32 v19, 0, v26
	v_ashrrev_i32_e32 v22, 31, v17
	s_waitcnt vmcnt(0)
	v_mul_lo_u32 v7, v1, v13
	v_sub_nc_u32_e32 v2, v2, v7
	v_add_nc_u32_e32 v7, 1, v1
	v_cmp_ge_u32_e32 vcc_lo, v2, v13
	v_sub_nc_u32_e32 v12, v2, v13
	v_cndmask_b32_e32 v7, v1, v7, vcc_lo
	v_cndmask_b32_e32 v2, v2, v12, vcc_lo
	buffer_load_dword v12, off, s[0:3], s32 offset:220 ; 4-byte Folded Reload
	v_mul_lo_u32 v1, v14, s10
	v_ashrrev_i32_e32 v14, 31, v8
	v_add_nc_u32_e32 v15, 1, v7
	v_cmp_ge_u32_e32 vcc_lo, v2, v13
	v_mov_b32_e32 v13, 0xff7fffff
	v_cndmask_b32_e32 v2, v7, v15, vcc_lo
	s_waitcnt vmcnt(0)
	v_xor_b32_e32 v3, v3, v12
	v_lshrrev_b32_e32 v12, 28, v14
	v_lshrrev_b32_e32 v14, 3, v102
	v_xor_b32_e32 v7, v2, v3
	v_add_nc_u32_e32 v0, v8, v12
	v_ashrrev_i32_e32 v2, 31, v1
	v_ashrrev_i32_e32 v8, 4, v0
	v_lshlrev_b32_e32 v0, 4, v50
	v_lshlrev_b64 v[15:16], 2, v[1:2]
	v_cmp_ge_i32_e64 s4, v50, v8
	buffer_store_dword v0, off, s[0:3], s32 offset:1092 ; 4-byte Folded Spill
	v_sub_nc_u32_e32 v0, v7, v3
	buffer_store_dword v8, off, s[0:3], s32 offset:204 ; 4-byte Folded Spill
	v_cmp_lt_i32_e32 vcc_lo, v50, v8
	v_sub_nc_u32_e32 v0, v0, v25
	buffer_store_dword v0, off, s[0:3], s32 offset:228 ; 4-byte Folded Spill
	s_mov_b32 s15, exec_lo
	s_and_b32 s5, s15, vcc_lo
	buffer_store_dword v102, off, s[0:3], s32 offset:1076 ; 4-byte Folded Spill
	buffer_store_dword v50, off, s[0:3], s32 offset:1080 ; 4-byte Folded Spill
	s_mov_b32 exec_lo, s5
	s_cbranch_execz .LBB189_1044
; %bb.9:
	buffer_store_dword v21, off, s[0:3], s32 offset:1112 ; 4-byte Folded Spill
	buffer_store_dword v20, off, s[0:3], s32 offset:1108 ; 4-byte Folded Spill
	;; [unrolled: 1-line block ×5, first 2 shown]
	buffer_load_dword v3, off, s[0:3], s32 offset:1064 ; 4-byte Folded Reload
	v_lshlrev_b32_e32 v12, 1, v6
	v_cmp_eq_u32_e32 vcc_lo, 0, v6
	v_lshlrev_b32_e32 v23, 9, v6
	v_add_co_u32 v1, s5, v4, v17
	v_or_b32_e32 v6, 4, v12
	v_max_i32_e32 v7, v26, v19
	v_bfe_u32 v8, v102, 1, 4
	v_add_co_ci_u32_e64 v2, null, v5, v22, s5
	buffer_store_dword v6, off, s[0:3], s32 offset:192 ; 4-byte Folded Spill
	v_or_b32_e32 v6, 8, v12
	s_ashr_i32 s19, s18, 31
	s_getpc_b64 s[6:7]
	s_add_u32 s6, s6, llvm.amdgcn.dynlds.offset.table@rel32@lo+4
	s_addc_u32 s7, s7, llvm.amdgcn.dynlds.offset.table@rel32@hi+12
	s_lshl_b64 s[8:9], s[18:19], 2
	buffer_store_dword v17, off, s[0:3], s32 offset:1128 ; 4-byte Folded Spill
	buffer_store_dword v6, off, s[0:3], s32 offset:196 ; 4-byte Folded Spill
	v_or_b32_e32 v6, 12, v12
	buffer_store_dword v22, off, s[0:3], s32 offset:1136 ; 4-byte Folded Spill
	buffer_store_dword v14, off, s[0:3], s32 offset:1140 ; 4-byte Folded Spill
	s_add_u32 s8, s6, s8
	buffer_store_dword v7, off, s[0:3], s32 offset:844 ; 4-byte Folded Spill
	buffer_store_dword v6, off, s[0:3], s32 offset:200 ; 4-byte Folded Spill
	;; [unrolled: 1-line block ×3, first 2 shown]
	v_cvt_f32_u32_e32 v0, v7
	v_sub_nc_u32_e32 v5, 0, v7
	v_lshlrev_b32_e32 v4, 4, v8
	s_addc_u32 s9, s7, s9
	v_lshlrev_b32_e32 v6, 2, v8
	v_rcp_iflag_f32_e32 v0, v0
	v_sub_nc_u32_e32 v7, v8, v119
	v_mov_b32_e32 v25, 0
	v_lshlrev_b32_e32 v26, 4, v50
	v_mov_b32_e32 v118, v12
	v_lshl_or_b32 v47, v50, 6, v6
	v_mov_b32_e32 v6, 0x80
	v_bfrev_b32_e32 v115, 1
	v_mov_b32_e32 v38, 0x7f800001
	s_mov_b32 s19, 0
	v_mul_f32_e32 v0, 0x4f7ffffe, v0
	v_cvt_u32_f32_e32 v0, v0
	v_mul_lo_u32 v5, v5, v0
	v_mul_hi_u32 v5, v0, v5
	v_add_nc_u32_e32 v0, v0, v5
	s_waitcnt vmcnt(0)
	v_cmp_neq_f32_e64 s5, 0, v3
	v_and_b32_e32 v3, 0x7c, v14
	v_add_co_u32 v3, s6, v3, v15
	buffer_store_dword v15, off, s[0:3], s32 offset:1116 ; 4-byte Folded Spill
	buffer_store_dword v16, off, s[0:3], s32 offset:1120 ; 4-byte Folded Spill
	s_load_dword s17, s[8:9], 0x0
	v_add_co_ci_u32_e64 v8, null, 0, v16, s6
	v_add_co_u32 v1, s6, v1, v4
	v_add_co_ci_u32_e64 v2, null, 0, v2, s6
	buffer_store_dword v1, off, s[0:3], s32 offset:1056 ; 4-byte Folded Spill
	buffer_store_dword v2, off, s[0:3], s32 offset:1060 ; 4-byte Folded Spill
	v_add_nc_u32_e32 v1, 1, v7
	v_add_co_u32 v112, s6, v10, v3
	buffer_store_dword v1, off, s[0:3], s32 offset:1072 ; 4-byte Folded Spill
	buffer_store_dword v10, off, s[0:3], s32 offset:1100 ; 4-byte Folded Spill
	v_add_co_ci_u32_e64 v113, null, v11, v8, s6
	buffer_store_dword v0, off, s[0:3], s32 offset:848 ; 4-byte Folded Spill
	v_mov_b32_e32 v0, 0xff7fffff
	buffer_store_dword v11, off, s[0:3], s32 offset:1096 ; 4-byte Folded Spill
	buffer_store_dword v0, off, s[0:3], s32 offset:1052 ; 4-byte Folded Spill
	s_branch .LBB189_12
.LBB189_10:                             ;   in Loop: Header=BB189_12 Depth=1
	s_or_b32 exec_lo, exec_lo, s20
.LBB189_11:                             ;   in Loop: Header=BB189_12 Depth=1
	s_or_b32 exec_lo, exec_lo, s7
	buffer_load_dword v0, off, s[0:3], s32 offset:204 ; 4-byte Folded Reload
	v_add_nc_u32_e32 v50, 4, v50
	v_add_co_u32 v112, s7, v112, 16
	v_add_nc_u32_e32 v26, 64, v26
	v_add_nc_u32_e32 v47, 0x100, v47
	v_add_co_ci_u32_e64 v113, null, 0, v113, s7
	s_waitcnt vmcnt(0)
	v_cmp_ge_i32_e64 s6, v50, v0
	s_or_b32 s19, s6, s19
	s_andn2_b32 exec_lo, exec_lo, s19
	s_cbranch_execz .LBB189_1043
.LBB189_12:                             ; =>This Inner Loop Header: Depth=1
	s_clause 0x1
	buffer_load_dword v0, off, s[0:3], s32 offset:224
	buffer_load_dword v4, off, s[0:3], s32 offset:216
	s_waitcnt vmcnt(1)
	v_mul_hi_u32 v0, v26, v0
	s_waitcnt vmcnt(0) lgkmcnt(0)
	v_mul_lo_u32 v1, v0, v4
	v_add_nc_u32_e32 v2, 1, v0
	v_sub_nc_u32_e32 v1, v26, v1
	v_sub_nc_u32_e32 v3, v1, v4
	v_cmp_ge_u32_e64 s6, v1, v4
	v_cndmask_b32_e64 v1, v1, v3, s6
	v_cndmask_b32_e64 v0, v0, v2, s6
	v_cmp_ge_u32_e64 s6, v1, v4
	buffer_load_dword v1, off, s[0:3], s32 offset:220 ; 4-byte Folded Reload
	v_add_nc_u32_e32 v2, 1, v0
	v_cndmask_b32_e64 v0, v0, v2, s6
	s_waitcnt vmcnt(0)
	v_xor_b32_e32 v0, v0, v1
	v_sub_nc_u32_e32 v0, v0, v1
	s_clause 0x3
	buffer_load_dword v1, off, s[0:3], s32 offset:208
	buffer_load_dword v2, off, s[0:3], s32 offset:212
	;; [unrolled: 1-line block ×4, first 2 shown]
	s_waitcnt vmcnt(3)
	v_add_nc_u32_e32 v1, v0, v1
	s_waitcnt vmcnt(2)
	v_sub_nc_u32_e32 v2, 0, v1
	v_max_i32_e32 v2, v1, v2
	v_ashrrev_i32_e32 v1, 31, v1
	s_waitcnt vmcnt(1)
	v_mul_hi_u32 v3, v2, v3
	s_waitcnt vmcnt(0)
	v_mul_lo_u32 v3, v3, v4
	v_sub_nc_u32_e32 v2, v2, v3
	v_sub_nc_u32_e32 v3, v2, v4
	v_cmp_ge_u32_e64 s6, v2, v4
	v_cndmask_b32_e64 v2, v2, v3, s6
	v_sub_nc_u32_e32 v3, v2, v4
	v_cmp_ge_u32_e64 s6, v2, v4
	v_cndmask_b32_e64 v2, v2, v3, s6
	v_xor_b32_e32 v2, v2, v1
	v_sub_nc_u32_e32 v1, v2, v1
	v_cmp_ne_u32_e64 s6, 0, v1
	buffer_load_dword v1, off, s[0:3], s32 offset:228 ; 4-byte Folded Reload
	s_waitcnt vmcnt(0)
	v_cmp_le_i32_e64 s7, v0, v1
	s_and_b32 s6, s6, s7
	s_and_saveexec_b32 s7, s6
	s_xor_b32 s6, exec_lo, s7
	s_cbranch_execz .LBB189_16
; %bb.13:                               ;   in Loop: Header=BB189_12 Depth=1
	s_and_saveexec_b32 s7, vcc_lo
	s_cbranch_execz .LBB189_15
; %bb.14:                               ;   in Loop: Header=BB189_12 Depth=1
	s_waitcnt lgkmcnt(0)
	v_add_nc_u32_e32 v0, s17, v47
	v_mov_b32_e32 v1, 0xff7fffff
	ds_write_b32 v0, v1
.LBB189_15:                             ;   in Loop: Header=BB189_12 Depth=1
	s_or_b32 exec_lo, exec_lo, s7
.LBB189_16:                             ;   in Loop: Header=BB189_12 Depth=1
	s_andn2_saveexec_b32 s7, s6
	s_cbranch_execz .LBB189_11
; %bb.17:                               ;   in Loop: Header=BB189_12 Depth=1
	flat_load_dword v0, v[112:113]
	s_clause 0x2
	buffer_load_dword v1, off, s[0:3], s32 offset:840
	buffer_load_dword v2, off, s[0:3], s32 offset:1056
	;; [unrolled: 1-line block ×3, first 2 shown]
	v_mov_b32_e32 v68, 0
	v_mov_b32_e32 v69, 0
	s_waitcnt vmcnt(0) lgkmcnt(0)
	v_mad_i64_i32 v[88:89], null, v0, v1, v[2:3]
	v_add_co_u32 v27, s6, v88, v118
	v_add_co_ci_u32_e64 v28, null, 0, v89, s6
	flat_load_ushort v1, v[27:28]
	s_clause 0x1
	buffer_load_dword v2, off, s[0:3], s32 offset:1044
	buffer_load_dword v3, off, s[0:3], s32 offset:1048
	s_waitcnt vmcnt(2) lgkmcnt(0)
	v_and_b32_e32 v0, 0xffff, v1
	s_waitcnt vmcnt(0)
	flat_load_dword v51, v[2:3]
	ds_read_b128 v[64:67], v23
	ds_read_b128 v[2:5], v23 offset:16
	v_cmp_ne_u16_sdwa s6, v1, v25 src0_sel:BYTE_0 src1_sel:DWORD
	s_waitcnt lgkmcnt(0)
	buffer_store_dword v2, off, s[0:3], s32 offset:996 ; 4-byte Folded Spill
	buffer_store_dword v3, off, s[0:3], s32 offset:1000 ; 4-byte Folded Spill
	buffer_store_dword v4, off, s[0:3], s32 offset:1004 ; 4-byte Folded Spill
	buffer_store_dword v5, off, s[0:3], s32 offset:1008 ; 4-byte Folded Spill
	ds_read_b128 v[2:5], v23 offset:32
	s_waitcnt lgkmcnt(0)
	buffer_store_dword v2, off, s[0:3], s32 offset:1012 ; 4-byte Folded Spill
	buffer_store_dword v3, off, s[0:3], s32 offset:1016 ; 4-byte Folded Spill
	buffer_store_dword v4, off, s[0:3], s32 offset:1020 ; 4-byte Folded Spill
	buffer_store_dword v5, off, s[0:3], s32 offset:1024 ; 4-byte Folded Spill
	ds_read_b128 v[2:5], v23 offset:48
	;; [unrolled: 6-line block ×6, first 2 shown]
	s_waitcnt lgkmcnt(0)
	buffer_store_dword v2, off, s[0:3], s32 offset:900 ; 4-byte Folded Spill
	buffer_store_dword v3, off, s[0:3], s32 offset:904 ; 4-byte Folded Spill
	;; [unrolled: 1-line block ×4, first 2 shown]
	ds_read_b64 v[2:3], v23 offset:192
	s_waitcnt lgkmcnt(0)
	buffer_store_dword v2, off, s[0:3], s32 offset:1028 ; 4-byte Folded Spill
	buffer_store_dword v3, off, s[0:3], s32 offset:1032 ; 4-byte Folded Spill
	ds_read_b128 v[2:5], v23 offset:128
	s_waitcnt lgkmcnt(0)
	buffer_store_dword v2, off, s[0:3], s32 offset:916 ; 4-byte Folded Spill
	buffer_store_dword v3, off, s[0:3], s32 offset:920 ; 4-byte Folded Spill
	buffer_store_dword v4, off, s[0:3], s32 offset:924 ; 4-byte Folded Spill
	buffer_store_dword v5, off, s[0:3], s32 offset:928 ; 4-byte Folded Spill
	ds_read_b128 v[2:5], v23 offset:144
	s_waitcnt lgkmcnt(0)
	buffer_store_dword v2, off, s[0:3], s32 offset:868 ; 4-byte Folded Spill
	buffer_store_dword v3, off, s[0:3], s32 offset:872 ; 4-byte Folded Spill
	buffer_store_dword v4, off, s[0:3], s32 offset:876 ; 4-byte Folded Spill
	buffer_store_dword v5, off, s[0:3], s32 offset:880 ; 4-byte Folded Spill
	ds_read_b128 v[2:5], v23 offset:160
	s_waitcnt lgkmcnt(0)
	buffer_store_dword v2, off, s[0:3], s32 offset:884 ; 4-byte Folded Spill
	buffer_store_dword v3, off, s[0:3], s32 offset:888 ; 4-byte Folded Spill
	buffer_store_dword v4, off, s[0:3], s32 offset:892 ; 4-byte Folded Spill
	buffer_store_dword v5, off, s[0:3], s32 offset:896 ; 4-byte Folded Spill
	ds_read_b128 v[2:5], v23 offset:176
	s_waitcnt lgkmcnt(0)
	buffer_store_dword v2, off, s[0:3], s32 offset:852 ; 4-byte Folded Spill
	buffer_store_dword v3, off, s[0:3], s32 offset:856 ; 4-byte Folded Spill
	buffer_store_dword v4, off, s[0:3], s32 offset:860 ; 4-byte Folded Spill
	buffer_store_dword v5, off, s[0:3], s32 offset:864 ; 4-byte Folded Spill
	v_mov_b32_e32 v2, 0
	v_mov_b32_e32 v3, 0
	buffer_store_dword v2, off, s[0:3], s32 offset:232 ; 4-byte Folded Spill
	buffer_store_dword v3, off, s[0:3], s32 offset:236 ; 4-byte Folded Spill
	s_and_saveexec_b32 s20, s6
	s_cbranch_execz .LBB189_25
; %bb.18:                               ;   in Loop: Header=BB189_12 Depth=1
	v_bfrev_b32_e32 v68, 1
	v_mov_b32_e32 v69, 0
	v_cmp_ne_u16_sdwa s6, v0, v6 src0_sel:BYTE_0 src1_sel:DWORD
	s_and_saveexec_b32 s21, s6
	s_cbranch_execz .LBB189_24
; %bb.19:                               ;   in Loop: Header=BB189_12 Depth=1
	v_mov_b32_e32 v68, 0x7f800001
	v_and_b32_e32 v2, 0x7f, v0
	v_mov_b32_e32 v69, 0
	s_mov_b32 s22, exec_lo
	v_cmpx_ne_u32_e32 0x7f, v2
	s_cbranch_execz .LBB189_23
; %bb.20:                               ;   in Loop: Header=BB189_12 Depth=1
	v_and_b32_e32 v24, 7, v0
	v_lshrrev_b32_e32 v1, 3, v2
	s_mov_b32 s23, exec_lo
	v_cmpx_gt_u32_e32 8, v2
; %bb.21:                               ;   in Loop: Header=BB189_12 Depth=1
	v_ffbh_u32_e32 v1, v24
	v_min_u32_e32 v1, 32, v1
	v_subrev_nc_u32_e32 v2, 28, v1
	v_sub_nc_u32_e32 v1, 29, v1
	v_lshlrev_b64 v[2:3], v2, v[24:25]
	v_and_b32_e32 v24, 7, v2
; %bb.22:                               ;   in Loop: Header=BB189_12 Depth=1
	s_or_b32 exec_lo, exec_lo, s23
	v_lshlrev_b32_e32 v2, 24, v0
	v_lshlrev_b32_e32 v3, 20, v24
	v_lshl_add_u32 v1, v1, 23, 0x3c000000
	v_and_b32_e32 v2, 0x80000000, v2
	v_or3_b32 v24, v3, v2, v1
	v_mov_b32_e32 v69, v25
	v_mov_b32_e32 v68, v24
.LBB189_23:                             ;   in Loop: Header=BB189_12 Depth=1
	s_or_b32 exec_lo, exec_lo, s22
.LBB189_24:                             ;   in Loop: Header=BB189_12 Depth=1
	s_or_b32 exec_lo, exec_lo, s21
.LBB189_25:                             ;   in Loop: Header=BB189_12 Depth=1
	s_or_b32 exec_lo, exec_lo, s20
	v_cmp_ne_u16_sdwa s6, v0, v25 src0_sel:BYTE_1 src1_sel:DWORD
	s_and_saveexec_b32 s20, s6
	s_cbranch_execz .LBB189_33
; %bb.26:                               ;   in Loop: Header=BB189_12 Depth=1
	v_mov_b32_e32 v114, v25
	v_cmp_ne_u16_sdwa s6, v0, v6 src0_sel:BYTE_1 src1_sel:DWORD
	buffer_store_dword v114, off, s[0:3], s32 offset:232 ; 4-byte Folded Spill
	buffer_store_dword v115, off, s[0:3], s32 offset:236 ; 4-byte Folded Spill
	s_and_saveexec_b32 s21, s6
	s_cbranch_execz .LBB189_32
; %bb.27:                               ;   in Loop: Header=BB189_12 Depth=1
	v_mov_b32_e32 v1, 0xffff
	v_mov_b32_e32 v37, v25
	s_mov_b32 s22, exec_lo
	buffer_store_dword v37, off, s[0:3], s32 offset:232 ; 4-byte Folded Spill
	buffer_store_dword v38, off, s[0:3], s32 offset:236 ; 4-byte Folded Spill
	v_and_b32_sdwa v1, v1, v0 dst_sel:DWORD dst_unused:UNUSED_PAD src0_sel:DWORD src1_sel:BYTE_1
	v_and_b32_e32 v2, 0x7f, v1
	v_cmpx_ne_u32_e32 0x7f, v2
	s_cbranch_execz .LBB189_31
; %bb.28:                               ;   in Loop: Header=BB189_12 Depth=1
	v_and_b32_e32 v24, 7, v1
	v_lshrrev_b32_e32 v1, 3, v2
	s_mov_b32 s23, exec_lo
	v_cmpx_gt_u32_e32 8, v2
; %bb.29:                               ;   in Loop: Header=BB189_12 Depth=1
	v_ffbh_u32_e32 v1, v24
	v_min_u32_e32 v1, 32, v1
	v_subrev_nc_u32_e32 v2, 28, v1
	v_sub_nc_u32_e32 v1, 29, v1
	v_lshlrev_b64 v[2:3], v2, v[24:25]
	v_and_b32_e32 v24, 7, v2
; %bb.30:                               ;   in Loop: Header=BB189_12 Depth=1
	s_or_b32 exec_lo, exec_lo, s23
	v_lshlrev_b32_e32 v0, 16, v0
	v_lshlrev_b32_e32 v2, 20, v24
	v_lshl_add_u32 v1, v1, 23, 0x3c000000
	v_and_b32_e32 v0, 0x80000000, v0
	v_or3_b32 v1, v2, v0, v1
	v_mov_b32_e32 v0, v25
	buffer_store_dword v0, off, s[0:3], s32 offset:232 ; 4-byte Folded Spill
	buffer_store_dword v1, off, s[0:3], s32 offset:236 ; 4-byte Folded Spill
.LBB189_31:                             ;   in Loop: Header=BB189_12 Depth=1
	s_or_b32 exec_lo, exec_lo, s22
.LBB189_32:                             ;   in Loop: Header=BB189_12 Depth=1
	s_or_b32 exec_lo, exec_lo, s21
.LBB189_33:                             ;   in Loop: Header=BB189_12 Depth=1
	s_or_b32 exec_lo, exec_lo, s20
	flat_load_ushort v1, v[27:28] offset:4
	v_mov_b32_e32 v2, 0
	v_mov_b32_e32 v70, 0
	;; [unrolled: 1-line block ×4, first 2 shown]
	buffer_store_dword v2, off, s[0:3], s32 offset:240 ; 4-byte Folded Spill
	buffer_store_dword v3, off, s[0:3], s32 offset:244 ; 4-byte Folded Spill
	s_waitcnt vmcnt(0) lgkmcnt(0)
	v_and_b32_e32 v0, 0xffff, v1
	v_cmp_ne_u16_sdwa s6, v1, v25 src0_sel:BYTE_0 src1_sel:DWORD
	s_and_saveexec_b32 s20, s6
	s_cbranch_execz .LBB189_41
; %bb.34:                               ;   in Loop: Header=BB189_12 Depth=1
	v_bfrev_b32_e32 v70, 1
	v_mov_b32_e32 v71, 0
	v_cmp_ne_u16_sdwa s6, v0, v6 src0_sel:BYTE_0 src1_sel:DWORD
	s_and_saveexec_b32 s21, s6
	s_cbranch_execz .LBB189_40
; %bb.35:                               ;   in Loop: Header=BB189_12 Depth=1
	v_mov_b32_e32 v70, 0x7f800001
	v_and_b32_e32 v2, 0x7f, v0
	v_mov_b32_e32 v71, 0
	s_mov_b32 s22, exec_lo
	v_cmpx_ne_u32_e32 0x7f, v2
	s_cbranch_execz .LBB189_39
; %bb.36:                               ;   in Loop: Header=BB189_12 Depth=1
	v_and_b32_e32 v24, 7, v0
	v_lshrrev_b32_e32 v1, 3, v2
	s_mov_b32 s23, exec_lo
	v_cmpx_gt_u32_e32 8, v2
; %bb.37:                               ;   in Loop: Header=BB189_12 Depth=1
	v_ffbh_u32_e32 v1, v24
	v_min_u32_e32 v1, 32, v1
	v_subrev_nc_u32_e32 v2, 28, v1
	v_sub_nc_u32_e32 v1, 29, v1
	v_lshlrev_b64 v[2:3], v2, v[24:25]
	v_and_b32_e32 v24, 7, v2
; %bb.38:                               ;   in Loop: Header=BB189_12 Depth=1
	s_or_b32 exec_lo, exec_lo, s23
	v_lshlrev_b32_e32 v2, 24, v0
	v_lshlrev_b32_e32 v3, 20, v24
	v_lshl_add_u32 v1, v1, 23, 0x3c000000
	v_and_b32_e32 v2, 0x80000000, v2
	v_or3_b32 v24, v3, v2, v1
	v_mov_b32_e32 v71, v25
	v_mov_b32_e32 v70, v24
.LBB189_39:                             ;   in Loop: Header=BB189_12 Depth=1
	s_or_b32 exec_lo, exec_lo, s22
.LBB189_40:                             ;   in Loop: Header=BB189_12 Depth=1
	s_or_b32 exec_lo, exec_lo, s21
.LBB189_41:                             ;   in Loop: Header=BB189_12 Depth=1
	s_or_b32 exec_lo, exec_lo, s20
	v_cmp_ne_u16_sdwa s6, v0, v25 src0_sel:BYTE_1 src1_sel:DWORD
	s_and_saveexec_b32 s20, s6
	s_cbranch_execz .LBB189_49
; %bb.42:                               ;   in Loop: Header=BB189_12 Depth=1
	v_mov_b32_e32 v114, v25
	v_cmp_ne_u16_sdwa s6, v0, v6 src0_sel:BYTE_1 src1_sel:DWORD
	buffer_store_dword v114, off, s[0:3], s32 offset:240 ; 4-byte Folded Spill
	buffer_store_dword v115, off, s[0:3], s32 offset:244 ; 4-byte Folded Spill
	s_and_saveexec_b32 s21, s6
	s_cbranch_execz .LBB189_48
; %bb.43:                               ;   in Loop: Header=BB189_12 Depth=1
	v_mov_b32_e32 v1, 0xffff
	v_mov_b32_e32 v37, v25
	s_mov_b32 s22, exec_lo
	buffer_store_dword v37, off, s[0:3], s32 offset:240 ; 4-byte Folded Spill
	buffer_store_dword v38, off, s[0:3], s32 offset:244 ; 4-byte Folded Spill
	v_and_b32_sdwa v1, v1, v0 dst_sel:DWORD dst_unused:UNUSED_PAD src0_sel:DWORD src1_sel:BYTE_1
	v_and_b32_e32 v2, 0x7f, v1
	v_cmpx_ne_u32_e32 0x7f, v2
	s_cbranch_execz .LBB189_47
; %bb.44:                               ;   in Loop: Header=BB189_12 Depth=1
	v_and_b32_e32 v24, 7, v1
	v_lshrrev_b32_e32 v1, 3, v2
	s_mov_b32 s23, exec_lo
	v_cmpx_gt_u32_e32 8, v2
; %bb.45:                               ;   in Loop: Header=BB189_12 Depth=1
	v_ffbh_u32_e32 v1, v24
	v_min_u32_e32 v1, 32, v1
	v_subrev_nc_u32_e32 v2, 28, v1
	v_sub_nc_u32_e32 v1, 29, v1
	v_lshlrev_b64 v[2:3], v2, v[24:25]
	v_and_b32_e32 v24, 7, v2
; %bb.46:                               ;   in Loop: Header=BB189_12 Depth=1
	s_or_b32 exec_lo, exec_lo, s23
	v_lshlrev_b32_e32 v0, 16, v0
	v_lshlrev_b32_e32 v2, 20, v24
	v_lshl_add_u32 v1, v1, 23, 0x3c000000
	v_and_b32_e32 v0, 0x80000000, v0
	v_or3_b32 v1, v2, v0, v1
	v_mov_b32_e32 v0, v25
	buffer_store_dword v0, off, s[0:3], s32 offset:240 ; 4-byte Folded Spill
	buffer_store_dword v1, off, s[0:3], s32 offset:244 ; 4-byte Folded Spill
.LBB189_47:                             ;   in Loop: Header=BB189_12 Depth=1
	s_or_b32 exec_lo, exec_lo, s22
.LBB189_48:                             ;   in Loop: Header=BB189_12 Depth=1
	s_or_b32 exec_lo, exec_lo, s21
.LBB189_49:                             ;   in Loop: Header=BB189_12 Depth=1
	s_or_b32 exec_lo, exec_lo, s20
	flat_load_ushort v1, v[27:28] offset:8
	v_mov_b32_e32 v2, 0
	v_mov_b32_e32 v3, 0
	buffer_store_dword v2, off, s[0:3], s32 offset:256 ; 4-byte Folded Spill
	buffer_store_dword v3, off, s[0:3], s32 offset:260 ; 4-byte Folded Spill
	v_mov_b32_e32 v2, 0
	v_mov_b32_e32 v3, 0
	buffer_store_dword v2, off, s[0:3], s32 offset:248 ; 4-byte Folded Spill
	buffer_store_dword v3, off, s[0:3], s32 offset:252 ; 4-byte Folded Spill
	s_waitcnt vmcnt(0) lgkmcnt(0)
	v_and_b32_e32 v0, 0xffff, v1
	v_cmp_ne_u16_sdwa s6, v1, v25 src0_sel:BYTE_0 src1_sel:DWORD
	s_and_saveexec_b32 s20, s6
	s_cbranch_execz .LBB189_57
; %bb.50:                               ;   in Loop: Header=BB189_12 Depth=1
	v_bfrev_b32_e32 v1, 1
	v_mov_b32_e32 v2, 0
	v_cmp_ne_u16_sdwa s6, v0, v6 src0_sel:BYTE_0 src1_sel:DWORD
	buffer_store_dword v1, off, s[0:3], s32 offset:248 ; 4-byte Folded Spill
	buffer_store_dword v2, off, s[0:3], s32 offset:252 ; 4-byte Folded Spill
	s_and_saveexec_b32 s21, s6
	s_cbranch_execz .LBB189_56
; %bb.51:                               ;   in Loop: Header=BB189_12 Depth=1
	v_mov_b32_e32 v3, 0x7f800001
	v_and_b32_e32 v2, 0x7f, v0
	v_mov_b32_e32 v4, 0
	s_mov_b32 s22, exec_lo
	buffer_store_dword v3, off, s[0:3], s32 offset:248 ; 4-byte Folded Spill
	buffer_store_dword v4, off, s[0:3], s32 offset:252 ; 4-byte Folded Spill
	v_cmpx_ne_u32_e32 0x7f, v2
	s_cbranch_execz .LBB189_55
; %bb.52:                               ;   in Loop: Header=BB189_12 Depth=1
	v_and_b32_e32 v24, 7, v0
	v_lshrrev_b32_e32 v1, 3, v2
	s_mov_b32 s23, exec_lo
	v_cmpx_gt_u32_e32 8, v2
; %bb.53:                               ;   in Loop: Header=BB189_12 Depth=1
	v_ffbh_u32_e32 v1, v24
	v_min_u32_e32 v1, 32, v1
	v_subrev_nc_u32_e32 v2, 28, v1
	v_sub_nc_u32_e32 v1, 29, v1
	v_lshlrev_b64 v[2:3], v2, v[24:25]
	v_and_b32_e32 v24, 7, v2
; %bb.54:                               ;   in Loop: Header=BB189_12 Depth=1
	s_or_b32 exec_lo, exec_lo, s23
	v_lshlrev_b32_e32 v2, 24, v0
	v_lshlrev_b32_e32 v3, 20, v24
	v_lshl_add_u32 v1, v1, 23, 0x3c000000
	v_and_b32_e32 v2, 0x80000000, v2
	v_or3_b32 v24, v3, v2, v1
	buffer_store_dword v24, off, s[0:3], s32 offset:248 ; 4-byte Folded Spill
	buffer_store_dword v25, off, s[0:3], s32 offset:252 ; 4-byte Folded Spill
.LBB189_55:                             ;   in Loop: Header=BB189_12 Depth=1
	s_or_b32 exec_lo, exec_lo, s22
.LBB189_56:                             ;   in Loop: Header=BB189_12 Depth=1
	s_or_b32 exec_lo, exec_lo, s21
.LBB189_57:                             ;   in Loop: Header=BB189_12 Depth=1
	s_or_b32 exec_lo, exec_lo, s20
	v_cmp_ne_u16_sdwa s6, v0, v25 src0_sel:BYTE_1 src1_sel:DWORD
	s_and_saveexec_b32 s20, s6
	s_cbranch_execz .LBB189_65
; %bb.58:                               ;   in Loop: Header=BB189_12 Depth=1
	v_mov_b32_e32 v114, v25
	v_cmp_ne_u16_sdwa s6, v0, v6 src0_sel:BYTE_1 src1_sel:DWORD
	buffer_store_dword v114, off, s[0:3], s32 offset:256 ; 4-byte Folded Spill
	buffer_store_dword v115, off, s[0:3], s32 offset:260 ; 4-byte Folded Spill
	s_and_saveexec_b32 s21, s6
	s_cbranch_execz .LBB189_64
; %bb.59:                               ;   in Loop: Header=BB189_12 Depth=1
	v_mov_b32_e32 v1, 0xffff
	v_mov_b32_e32 v37, v25
	s_mov_b32 s22, exec_lo
	buffer_store_dword v37, off, s[0:3], s32 offset:256 ; 4-byte Folded Spill
	buffer_store_dword v38, off, s[0:3], s32 offset:260 ; 4-byte Folded Spill
	v_and_b32_sdwa v1, v1, v0 dst_sel:DWORD dst_unused:UNUSED_PAD src0_sel:DWORD src1_sel:BYTE_1
	v_and_b32_e32 v2, 0x7f, v1
	v_cmpx_ne_u32_e32 0x7f, v2
	s_cbranch_execz .LBB189_63
; %bb.60:                               ;   in Loop: Header=BB189_12 Depth=1
	v_and_b32_e32 v24, 7, v1
	v_lshrrev_b32_e32 v1, 3, v2
	s_mov_b32 s23, exec_lo
	v_cmpx_gt_u32_e32 8, v2
; %bb.61:                               ;   in Loop: Header=BB189_12 Depth=1
	v_ffbh_u32_e32 v1, v24
	v_min_u32_e32 v1, 32, v1
	v_subrev_nc_u32_e32 v2, 28, v1
	v_sub_nc_u32_e32 v1, 29, v1
	v_lshlrev_b64 v[2:3], v2, v[24:25]
	v_and_b32_e32 v24, 7, v2
; %bb.62:                               ;   in Loop: Header=BB189_12 Depth=1
	s_or_b32 exec_lo, exec_lo, s23
	v_lshlrev_b32_e32 v0, 16, v0
	v_lshlrev_b32_e32 v2, 20, v24
	v_lshl_add_u32 v1, v1, 23, 0x3c000000
	v_and_b32_e32 v0, 0x80000000, v0
	v_or3_b32 v1, v2, v0, v1
	v_mov_b32_e32 v0, v25
	buffer_store_dword v0, off, s[0:3], s32 offset:256 ; 4-byte Folded Spill
	buffer_store_dword v1, off, s[0:3], s32 offset:260 ; 4-byte Folded Spill
.LBB189_63:                             ;   in Loop: Header=BB189_12 Depth=1
	s_or_b32 exec_lo, exec_lo, s22
.LBB189_64:                             ;   in Loop: Header=BB189_12 Depth=1
	s_or_b32 exec_lo, exec_lo, s21
.LBB189_65:                             ;   in Loop: Header=BB189_12 Depth=1
	s_or_b32 exec_lo, exec_lo, s20
	flat_load_ushort v1, v[27:28] offset:12
	v_mov_b32_e32 v2, 0
	v_mov_b32_e32 v3, 0
	buffer_store_dword v2, off, s[0:3], s32 offset:272 ; 4-byte Folded Spill
	buffer_store_dword v3, off, s[0:3], s32 offset:276 ; 4-byte Folded Spill
	v_mov_b32_e32 v2, 0
	v_mov_b32_e32 v3, 0
	buffer_store_dword v2, off, s[0:3], s32 offset:264 ; 4-byte Folded Spill
	buffer_store_dword v3, off, s[0:3], s32 offset:268 ; 4-byte Folded Spill
	s_waitcnt vmcnt(0) lgkmcnt(0)
	v_and_b32_e32 v0, 0xffff, v1
	v_cmp_ne_u16_sdwa s6, v1, v25 src0_sel:BYTE_0 src1_sel:DWORD
	s_and_saveexec_b32 s20, s6
	s_cbranch_execz .LBB189_73
; %bb.66:                               ;   in Loop: Header=BB189_12 Depth=1
	v_bfrev_b32_e32 v1, 1
	v_mov_b32_e32 v2, 0
	v_cmp_ne_u16_sdwa s6, v0, v6 src0_sel:BYTE_0 src1_sel:DWORD
	buffer_store_dword v1, off, s[0:3], s32 offset:264 ; 4-byte Folded Spill
	buffer_store_dword v2, off, s[0:3], s32 offset:268 ; 4-byte Folded Spill
	s_and_saveexec_b32 s21, s6
	s_cbranch_execz .LBB189_72
; %bb.67:                               ;   in Loop: Header=BB189_12 Depth=1
	v_mov_b32_e32 v3, 0x7f800001
	v_and_b32_e32 v2, 0x7f, v0
	v_mov_b32_e32 v4, 0
	s_mov_b32 s22, exec_lo
	buffer_store_dword v3, off, s[0:3], s32 offset:264 ; 4-byte Folded Spill
	buffer_store_dword v4, off, s[0:3], s32 offset:268 ; 4-byte Folded Spill
	v_cmpx_ne_u32_e32 0x7f, v2
	s_cbranch_execz .LBB189_71
; %bb.68:                               ;   in Loop: Header=BB189_12 Depth=1
	v_and_b32_e32 v24, 7, v0
	v_lshrrev_b32_e32 v1, 3, v2
	s_mov_b32 s23, exec_lo
	v_cmpx_gt_u32_e32 8, v2
; %bb.69:                               ;   in Loop: Header=BB189_12 Depth=1
	v_ffbh_u32_e32 v1, v24
	v_min_u32_e32 v1, 32, v1
	v_subrev_nc_u32_e32 v2, 28, v1
	v_sub_nc_u32_e32 v1, 29, v1
	v_lshlrev_b64 v[2:3], v2, v[24:25]
	v_and_b32_e32 v24, 7, v2
; %bb.70:                               ;   in Loop: Header=BB189_12 Depth=1
	s_or_b32 exec_lo, exec_lo, s23
	v_lshlrev_b32_e32 v2, 24, v0
	v_lshlrev_b32_e32 v3, 20, v24
	v_lshl_add_u32 v1, v1, 23, 0x3c000000
	v_and_b32_e32 v2, 0x80000000, v2
	v_or3_b32 v24, v3, v2, v1
	buffer_store_dword v24, off, s[0:3], s32 offset:264 ; 4-byte Folded Spill
	buffer_store_dword v25, off, s[0:3], s32 offset:268 ; 4-byte Folded Spill
.LBB189_71:                             ;   in Loop: Header=BB189_12 Depth=1
	s_or_b32 exec_lo, exec_lo, s22
.LBB189_72:                             ;   in Loop: Header=BB189_12 Depth=1
	s_or_b32 exec_lo, exec_lo, s21
.LBB189_73:                             ;   in Loop: Header=BB189_12 Depth=1
	s_or_b32 exec_lo, exec_lo, s20
	v_cmp_ne_u16_sdwa s6, v0, v25 src0_sel:BYTE_1 src1_sel:DWORD
	s_and_saveexec_b32 s20, s6
	s_cbranch_execz .LBB189_81
; %bb.74:                               ;   in Loop: Header=BB189_12 Depth=1
	v_mov_b32_e32 v114, v25
	v_cmp_ne_u16_sdwa s6, v0, v6 src0_sel:BYTE_1 src1_sel:DWORD
	buffer_store_dword v114, off, s[0:3], s32 offset:272 ; 4-byte Folded Spill
	buffer_store_dword v115, off, s[0:3], s32 offset:276 ; 4-byte Folded Spill
	s_and_saveexec_b32 s21, s6
	s_cbranch_execz .LBB189_80
; %bb.75:                               ;   in Loop: Header=BB189_12 Depth=1
	v_mov_b32_e32 v1, 0xffff
	v_mov_b32_e32 v37, v25
	s_mov_b32 s22, exec_lo
	buffer_store_dword v37, off, s[0:3], s32 offset:272 ; 4-byte Folded Spill
	buffer_store_dword v38, off, s[0:3], s32 offset:276 ; 4-byte Folded Spill
	v_and_b32_sdwa v1, v1, v0 dst_sel:DWORD dst_unused:UNUSED_PAD src0_sel:DWORD src1_sel:BYTE_1
	v_and_b32_e32 v2, 0x7f, v1
	v_cmpx_ne_u32_e32 0x7f, v2
	s_cbranch_execz .LBB189_79
; %bb.76:                               ;   in Loop: Header=BB189_12 Depth=1
	v_and_b32_e32 v24, 7, v1
	v_lshrrev_b32_e32 v1, 3, v2
	s_mov_b32 s23, exec_lo
	v_cmpx_gt_u32_e32 8, v2
; %bb.77:                               ;   in Loop: Header=BB189_12 Depth=1
	v_ffbh_u32_e32 v1, v24
	v_min_u32_e32 v1, 32, v1
	v_subrev_nc_u32_e32 v2, 28, v1
	v_sub_nc_u32_e32 v1, 29, v1
	v_lshlrev_b64 v[2:3], v2, v[24:25]
	v_and_b32_e32 v24, 7, v2
; %bb.78:                               ;   in Loop: Header=BB189_12 Depth=1
	s_or_b32 exec_lo, exec_lo, s23
	v_lshlrev_b32_e32 v0, 16, v0
	v_lshlrev_b32_e32 v2, 20, v24
	v_lshl_add_u32 v1, v1, 23, 0x3c000000
	v_and_b32_e32 v0, 0x80000000, v0
	v_or3_b32 v1, v2, v0, v1
	v_mov_b32_e32 v0, v25
	buffer_store_dword v0, off, s[0:3], s32 offset:272 ; 4-byte Folded Spill
	buffer_store_dword v1, off, s[0:3], s32 offset:276 ; 4-byte Folded Spill
.LBB189_79:                             ;   in Loop: Header=BB189_12 Depth=1
	s_or_b32 exec_lo, exec_lo, s22
.LBB189_80:                             ;   in Loop: Header=BB189_12 Depth=1
	s_or_b32 exec_lo, exec_lo, s21
.LBB189_81:                             ;   in Loop: Header=BB189_12 Depth=1
	s_or_b32 exec_lo, exec_lo, s20
	flat_load_ushort v1, v[27:28] offset:256
	s_waitcnt vmcnt(0) lgkmcnt(0)
	v_and_b32_e32 v0, 0xffff, v1
	v_cmp_ne_u16_sdwa s6, v1, v25 src0_sel:BYTE_0 src1_sel:DWORD
	v_mov_b32_e32 v1, 0
	v_mov_b32_e32 v2, 0
	buffer_store_dword v1, off, s[0:3], s32 offset:288 ; 4-byte Folded Spill
	buffer_store_dword v2, off, s[0:3], s32 offset:292 ; 4-byte Folded Spill
	v_mov_b32_e32 v1, 0
	v_mov_b32_e32 v2, 0
	buffer_store_dword v1, off, s[0:3], s32 offset:280 ; 4-byte Folded Spill
	buffer_store_dword v2, off, s[0:3], s32 offset:284 ; 4-byte Folded Spill
	s_and_saveexec_b32 s20, s6
	s_cbranch_execz .LBB189_89
; %bb.82:                               ;   in Loop: Header=BB189_12 Depth=1
	v_bfrev_b32_e32 v1, 1
	v_mov_b32_e32 v2, 0
	v_cmp_ne_u16_sdwa s6, v0, v6 src0_sel:BYTE_0 src1_sel:DWORD
	buffer_store_dword v1, off, s[0:3], s32 offset:280 ; 4-byte Folded Spill
	buffer_store_dword v2, off, s[0:3], s32 offset:284 ; 4-byte Folded Spill
	s_and_saveexec_b32 s21, s6
	s_cbranch_execz .LBB189_88
; %bb.83:                               ;   in Loop: Header=BB189_12 Depth=1
	v_mov_b32_e32 v3, 0x7f800001
	v_and_b32_e32 v2, 0x7f, v0
	v_mov_b32_e32 v4, 0
	s_mov_b32 s22, exec_lo
	buffer_store_dword v3, off, s[0:3], s32 offset:280 ; 4-byte Folded Spill
	buffer_store_dword v4, off, s[0:3], s32 offset:284 ; 4-byte Folded Spill
	v_cmpx_ne_u32_e32 0x7f, v2
	s_cbranch_execz .LBB189_87
; %bb.84:                               ;   in Loop: Header=BB189_12 Depth=1
	v_and_b32_e32 v24, 7, v0
	v_lshrrev_b32_e32 v1, 3, v2
	s_mov_b32 s23, exec_lo
	v_cmpx_gt_u32_e32 8, v2
; %bb.85:                               ;   in Loop: Header=BB189_12 Depth=1
	v_ffbh_u32_e32 v1, v24
	v_min_u32_e32 v1, 32, v1
	v_subrev_nc_u32_e32 v2, 28, v1
	v_sub_nc_u32_e32 v1, 29, v1
	v_lshlrev_b64 v[2:3], v2, v[24:25]
	v_and_b32_e32 v24, 7, v2
; %bb.86:                               ;   in Loop: Header=BB189_12 Depth=1
	s_or_b32 exec_lo, exec_lo, s23
	v_lshlrev_b32_e32 v2, 24, v0
	v_lshlrev_b32_e32 v3, 20, v24
	v_lshl_add_u32 v1, v1, 23, 0x3c000000
	v_and_b32_e32 v2, 0x80000000, v2
	v_or3_b32 v24, v3, v2, v1
	buffer_store_dword v24, off, s[0:3], s32 offset:280 ; 4-byte Folded Spill
	buffer_store_dword v25, off, s[0:3], s32 offset:284 ; 4-byte Folded Spill
.LBB189_87:                             ;   in Loop: Header=BB189_12 Depth=1
	s_or_b32 exec_lo, exec_lo, s22
.LBB189_88:                             ;   in Loop: Header=BB189_12 Depth=1
	s_or_b32 exec_lo, exec_lo, s21
.LBB189_89:                             ;   in Loop: Header=BB189_12 Depth=1
	s_or_b32 exec_lo, exec_lo, s20
	v_cmp_ne_u16_sdwa s6, v0, v25 src0_sel:BYTE_1 src1_sel:DWORD
	s_and_saveexec_b32 s20, s6
	s_cbranch_execz .LBB189_97
; %bb.90:                               ;   in Loop: Header=BB189_12 Depth=1
	v_mov_b32_e32 v114, v25
	v_cmp_ne_u16_sdwa s6, v0, v6 src0_sel:BYTE_1 src1_sel:DWORD
	buffer_store_dword v114, off, s[0:3], s32 offset:288 ; 4-byte Folded Spill
	buffer_store_dword v115, off, s[0:3], s32 offset:292 ; 4-byte Folded Spill
	s_and_saveexec_b32 s21, s6
	s_cbranch_execz .LBB189_96
; %bb.91:                               ;   in Loop: Header=BB189_12 Depth=1
	v_mov_b32_e32 v1, 0xffff
	v_mov_b32_e32 v37, v25
	s_mov_b32 s22, exec_lo
	buffer_store_dword v37, off, s[0:3], s32 offset:288 ; 4-byte Folded Spill
	buffer_store_dword v38, off, s[0:3], s32 offset:292 ; 4-byte Folded Spill
	v_and_b32_sdwa v1, v1, v0 dst_sel:DWORD dst_unused:UNUSED_PAD src0_sel:DWORD src1_sel:BYTE_1
	v_and_b32_e32 v2, 0x7f, v1
	v_cmpx_ne_u32_e32 0x7f, v2
	s_cbranch_execz .LBB189_95
; %bb.92:                               ;   in Loop: Header=BB189_12 Depth=1
	v_and_b32_e32 v24, 7, v1
	v_lshrrev_b32_e32 v1, 3, v2
	s_mov_b32 s23, exec_lo
	v_cmpx_gt_u32_e32 8, v2
; %bb.93:                               ;   in Loop: Header=BB189_12 Depth=1
	v_ffbh_u32_e32 v1, v24
	v_min_u32_e32 v1, 32, v1
	v_subrev_nc_u32_e32 v2, 28, v1
	v_sub_nc_u32_e32 v1, 29, v1
	v_lshlrev_b64 v[2:3], v2, v[24:25]
	v_and_b32_e32 v24, 7, v2
; %bb.94:                               ;   in Loop: Header=BB189_12 Depth=1
	s_or_b32 exec_lo, exec_lo, s23
	v_lshlrev_b32_e32 v0, 16, v0
	v_lshlrev_b32_e32 v2, 20, v24
	v_lshl_add_u32 v1, v1, 23, 0x3c000000
	v_and_b32_e32 v0, 0x80000000, v0
	v_or3_b32 v1, v2, v0, v1
	v_mov_b32_e32 v0, v25
	buffer_store_dword v0, off, s[0:3], s32 offset:288 ; 4-byte Folded Spill
	buffer_store_dword v1, off, s[0:3], s32 offset:292 ; 4-byte Folded Spill
.LBB189_95:                             ;   in Loop: Header=BB189_12 Depth=1
	s_or_b32 exec_lo, exec_lo, s22
.LBB189_96:                             ;   in Loop: Header=BB189_12 Depth=1
	s_or_b32 exec_lo, exec_lo, s21
.LBB189_97:                             ;   in Loop: Header=BB189_12 Depth=1
	s_or_b32 exec_lo, exec_lo, s20
	flat_load_ushort v1, v[27:28] offset:260
	s_waitcnt vmcnt(0) lgkmcnt(0)
	v_and_b32_e32 v0, 0xffff, v1
	v_cmp_ne_u16_sdwa s6, v1, v25 src0_sel:BYTE_0 src1_sel:DWORD
	v_mov_b32_e32 v1, 0
	v_mov_b32_e32 v2, 0
	buffer_store_dword v1, off, s[0:3], s32 offset:304 ; 4-byte Folded Spill
	buffer_store_dword v2, off, s[0:3], s32 offset:308 ; 4-byte Folded Spill
	v_mov_b32_e32 v1, 0
	v_mov_b32_e32 v2, 0
	buffer_store_dword v1, off, s[0:3], s32 offset:296 ; 4-byte Folded Spill
	buffer_store_dword v2, off, s[0:3], s32 offset:300 ; 4-byte Folded Spill
	s_and_saveexec_b32 s20, s6
	s_cbranch_execz .LBB189_105
; %bb.98:                               ;   in Loop: Header=BB189_12 Depth=1
	v_bfrev_b32_e32 v1, 1
	v_mov_b32_e32 v2, 0
	v_cmp_ne_u16_sdwa s6, v0, v6 src0_sel:BYTE_0 src1_sel:DWORD
	buffer_store_dword v1, off, s[0:3], s32 offset:296 ; 4-byte Folded Spill
	buffer_store_dword v2, off, s[0:3], s32 offset:300 ; 4-byte Folded Spill
	s_and_saveexec_b32 s21, s6
	s_cbranch_execz .LBB189_104
; %bb.99:                               ;   in Loop: Header=BB189_12 Depth=1
	v_mov_b32_e32 v3, 0x7f800001
	v_and_b32_e32 v2, 0x7f, v0
	v_mov_b32_e32 v4, 0
	s_mov_b32 s22, exec_lo
	buffer_store_dword v3, off, s[0:3], s32 offset:296 ; 4-byte Folded Spill
	buffer_store_dword v4, off, s[0:3], s32 offset:300 ; 4-byte Folded Spill
	v_cmpx_ne_u32_e32 0x7f, v2
	s_cbranch_execz .LBB189_103
; %bb.100:                              ;   in Loop: Header=BB189_12 Depth=1
	v_and_b32_e32 v24, 7, v0
	v_lshrrev_b32_e32 v1, 3, v2
	s_mov_b32 s23, exec_lo
	v_cmpx_gt_u32_e32 8, v2
; %bb.101:                              ;   in Loop: Header=BB189_12 Depth=1
	v_ffbh_u32_e32 v1, v24
	v_min_u32_e32 v1, 32, v1
	v_subrev_nc_u32_e32 v2, 28, v1
	v_sub_nc_u32_e32 v1, 29, v1
	v_lshlrev_b64 v[2:3], v2, v[24:25]
	v_and_b32_e32 v24, 7, v2
; %bb.102:                              ;   in Loop: Header=BB189_12 Depth=1
	s_or_b32 exec_lo, exec_lo, s23
	v_lshlrev_b32_e32 v2, 24, v0
	v_lshlrev_b32_e32 v3, 20, v24
	v_lshl_add_u32 v1, v1, 23, 0x3c000000
	v_and_b32_e32 v2, 0x80000000, v2
	v_or3_b32 v24, v3, v2, v1
	buffer_store_dword v24, off, s[0:3], s32 offset:296 ; 4-byte Folded Spill
	buffer_store_dword v25, off, s[0:3], s32 offset:300 ; 4-byte Folded Spill
.LBB189_103:                            ;   in Loop: Header=BB189_12 Depth=1
	s_or_b32 exec_lo, exec_lo, s22
.LBB189_104:                            ;   in Loop: Header=BB189_12 Depth=1
	s_or_b32 exec_lo, exec_lo, s21
.LBB189_105:                            ;   in Loop: Header=BB189_12 Depth=1
	s_or_b32 exec_lo, exec_lo, s20
	v_cmp_ne_u16_sdwa s6, v0, v25 src0_sel:BYTE_1 src1_sel:DWORD
	s_and_saveexec_b32 s20, s6
	s_cbranch_execz .LBB189_113
; %bb.106:                              ;   in Loop: Header=BB189_12 Depth=1
	v_mov_b32_e32 v114, v25
	v_cmp_ne_u16_sdwa s6, v0, v6 src0_sel:BYTE_1 src1_sel:DWORD
	buffer_store_dword v114, off, s[0:3], s32 offset:304 ; 4-byte Folded Spill
	buffer_store_dword v115, off, s[0:3], s32 offset:308 ; 4-byte Folded Spill
	s_and_saveexec_b32 s21, s6
	s_cbranch_execz .LBB189_112
; %bb.107:                              ;   in Loop: Header=BB189_12 Depth=1
	v_mov_b32_e32 v1, 0xffff
	v_mov_b32_e32 v37, v25
	s_mov_b32 s22, exec_lo
	buffer_store_dword v37, off, s[0:3], s32 offset:304 ; 4-byte Folded Spill
	buffer_store_dword v38, off, s[0:3], s32 offset:308 ; 4-byte Folded Spill
	v_and_b32_sdwa v1, v1, v0 dst_sel:DWORD dst_unused:UNUSED_PAD src0_sel:DWORD src1_sel:BYTE_1
	v_and_b32_e32 v2, 0x7f, v1
	v_cmpx_ne_u32_e32 0x7f, v2
	s_cbranch_execz .LBB189_111
; %bb.108:                              ;   in Loop: Header=BB189_12 Depth=1
	v_and_b32_e32 v24, 7, v1
	v_lshrrev_b32_e32 v1, 3, v2
	s_mov_b32 s23, exec_lo
	v_cmpx_gt_u32_e32 8, v2
; %bb.109:                              ;   in Loop: Header=BB189_12 Depth=1
	v_ffbh_u32_e32 v1, v24
	v_min_u32_e32 v1, 32, v1
	v_subrev_nc_u32_e32 v2, 28, v1
	v_sub_nc_u32_e32 v1, 29, v1
	v_lshlrev_b64 v[2:3], v2, v[24:25]
	v_and_b32_e32 v24, 7, v2
; %bb.110:                              ;   in Loop: Header=BB189_12 Depth=1
	s_or_b32 exec_lo, exec_lo, s23
	v_lshlrev_b32_e32 v0, 16, v0
	v_lshlrev_b32_e32 v2, 20, v24
	v_lshl_add_u32 v1, v1, 23, 0x3c000000
	v_and_b32_e32 v0, 0x80000000, v0
	v_or3_b32 v1, v2, v0, v1
	v_mov_b32_e32 v0, v25
	buffer_store_dword v0, off, s[0:3], s32 offset:304 ; 4-byte Folded Spill
	buffer_store_dword v1, off, s[0:3], s32 offset:308 ; 4-byte Folded Spill
.LBB189_111:                            ;   in Loop: Header=BB189_12 Depth=1
	s_or_b32 exec_lo, exec_lo, s22
.LBB189_112:                            ;   in Loop: Header=BB189_12 Depth=1
	s_or_b32 exec_lo, exec_lo, s21
.LBB189_113:                            ;   in Loop: Header=BB189_12 Depth=1
	s_or_b32 exec_lo, exec_lo, s20
	flat_load_ushort v1, v[27:28] offset:264
	s_waitcnt vmcnt(0) lgkmcnt(0)
	v_and_b32_e32 v0, 0xffff, v1
	v_cmp_ne_u16_sdwa s6, v1, v25 src0_sel:BYTE_0 src1_sel:DWORD
	v_mov_b32_e32 v1, 0
	v_mov_b32_e32 v2, 0
	buffer_store_dword v1, off, s[0:3], s32 offset:320 ; 4-byte Folded Spill
	buffer_store_dword v2, off, s[0:3], s32 offset:324 ; 4-byte Folded Spill
	v_mov_b32_e32 v1, 0
	v_mov_b32_e32 v2, 0
	buffer_store_dword v1, off, s[0:3], s32 offset:312 ; 4-byte Folded Spill
	buffer_store_dword v2, off, s[0:3], s32 offset:316 ; 4-byte Folded Spill
	s_and_saveexec_b32 s20, s6
	s_cbranch_execz .LBB189_121
; %bb.114:                              ;   in Loop: Header=BB189_12 Depth=1
	v_bfrev_b32_e32 v1, 1
	v_mov_b32_e32 v2, 0
	v_cmp_ne_u16_sdwa s6, v0, v6 src0_sel:BYTE_0 src1_sel:DWORD
	buffer_store_dword v1, off, s[0:3], s32 offset:312 ; 4-byte Folded Spill
	buffer_store_dword v2, off, s[0:3], s32 offset:316 ; 4-byte Folded Spill
	s_and_saveexec_b32 s21, s6
	s_cbranch_execz .LBB189_120
; %bb.115:                              ;   in Loop: Header=BB189_12 Depth=1
	v_mov_b32_e32 v3, 0x7f800001
	v_and_b32_e32 v2, 0x7f, v0
	v_mov_b32_e32 v4, 0
	s_mov_b32 s22, exec_lo
	buffer_store_dword v3, off, s[0:3], s32 offset:312 ; 4-byte Folded Spill
	buffer_store_dword v4, off, s[0:3], s32 offset:316 ; 4-byte Folded Spill
	v_cmpx_ne_u32_e32 0x7f, v2
	s_cbranch_execz .LBB189_119
; %bb.116:                              ;   in Loop: Header=BB189_12 Depth=1
	v_and_b32_e32 v24, 7, v0
	v_lshrrev_b32_e32 v1, 3, v2
	s_mov_b32 s23, exec_lo
	v_cmpx_gt_u32_e32 8, v2
; %bb.117:                              ;   in Loop: Header=BB189_12 Depth=1
	v_ffbh_u32_e32 v1, v24
	v_min_u32_e32 v1, 32, v1
	v_subrev_nc_u32_e32 v2, 28, v1
	v_sub_nc_u32_e32 v1, 29, v1
	v_lshlrev_b64 v[2:3], v2, v[24:25]
	v_and_b32_e32 v24, 7, v2
; %bb.118:                              ;   in Loop: Header=BB189_12 Depth=1
	s_or_b32 exec_lo, exec_lo, s23
	v_lshlrev_b32_e32 v2, 24, v0
	v_lshlrev_b32_e32 v3, 20, v24
	v_lshl_add_u32 v1, v1, 23, 0x3c000000
	v_and_b32_e32 v2, 0x80000000, v2
	v_or3_b32 v24, v3, v2, v1
	buffer_store_dword v24, off, s[0:3], s32 offset:312 ; 4-byte Folded Spill
	buffer_store_dword v25, off, s[0:3], s32 offset:316 ; 4-byte Folded Spill
.LBB189_119:                            ;   in Loop: Header=BB189_12 Depth=1
	s_or_b32 exec_lo, exec_lo, s22
.LBB189_120:                            ;   in Loop: Header=BB189_12 Depth=1
	s_or_b32 exec_lo, exec_lo, s21
.LBB189_121:                            ;   in Loop: Header=BB189_12 Depth=1
	s_or_b32 exec_lo, exec_lo, s20
	v_cmp_ne_u16_sdwa s6, v0, v25 src0_sel:BYTE_1 src1_sel:DWORD
	s_and_saveexec_b32 s20, s6
	s_cbranch_execz .LBB189_129
; %bb.122:                              ;   in Loop: Header=BB189_12 Depth=1
	v_mov_b32_e32 v114, v25
	v_cmp_ne_u16_sdwa s6, v0, v6 src0_sel:BYTE_1 src1_sel:DWORD
	buffer_store_dword v114, off, s[0:3], s32 offset:320 ; 4-byte Folded Spill
	buffer_store_dword v115, off, s[0:3], s32 offset:324 ; 4-byte Folded Spill
	s_and_saveexec_b32 s21, s6
	s_cbranch_execz .LBB189_128
; %bb.123:                              ;   in Loop: Header=BB189_12 Depth=1
	v_mov_b32_e32 v1, 0xffff
	v_mov_b32_e32 v37, v25
	s_mov_b32 s22, exec_lo
	buffer_store_dword v37, off, s[0:3], s32 offset:320 ; 4-byte Folded Spill
	buffer_store_dword v38, off, s[0:3], s32 offset:324 ; 4-byte Folded Spill
	v_and_b32_sdwa v1, v1, v0 dst_sel:DWORD dst_unused:UNUSED_PAD src0_sel:DWORD src1_sel:BYTE_1
	v_and_b32_e32 v2, 0x7f, v1
	v_cmpx_ne_u32_e32 0x7f, v2
	s_cbranch_execz .LBB189_127
; %bb.124:                              ;   in Loop: Header=BB189_12 Depth=1
	v_and_b32_e32 v24, 7, v1
	v_lshrrev_b32_e32 v1, 3, v2
	s_mov_b32 s23, exec_lo
	v_cmpx_gt_u32_e32 8, v2
; %bb.125:                              ;   in Loop: Header=BB189_12 Depth=1
	v_ffbh_u32_e32 v1, v24
	v_min_u32_e32 v1, 32, v1
	v_subrev_nc_u32_e32 v2, 28, v1
	v_sub_nc_u32_e32 v1, 29, v1
	v_lshlrev_b64 v[2:3], v2, v[24:25]
	v_and_b32_e32 v24, 7, v2
; %bb.126:                              ;   in Loop: Header=BB189_12 Depth=1
	s_or_b32 exec_lo, exec_lo, s23
	v_lshlrev_b32_e32 v0, 16, v0
	v_lshlrev_b32_e32 v2, 20, v24
	v_lshl_add_u32 v1, v1, 23, 0x3c000000
	v_and_b32_e32 v0, 0x80000000, v0
	v_or3_b32 v1, v2, v0, v1
	v_mov_b32_e32 v0, v25
	buffer_store_dword v0, off, s[0:3], s32 offset:320 ; 4-byte Folded Spill
	buffer_store_dword v1, off, s[0:3], s32 offset:324 ; 4-byte Folded Spill
.LBB189_127:                            ;   in Loop: Header=BB189_12 Depth=1
	s_or_b32 exec_lo, exec_lo, s22
.LBB189_128:                            ;   in Loop: Header=BB189_12 Depth=1
	s_or_b32 exec_lo, exec_lo, s21
.LBB189_129:                            ;   in Loop: Header=BB189_12 Depth=1
	s_or_b32 exec_lo, exec_lo, s20
	flat_load_ushort v1, v[27:28] offset:268
	s_waitcnt vmcnt(0) lgkmcnt(0)
	v_and_b32_e32 v0, 0xffff, v1
	v_cmp_ne_u16_sdwa s6, v1, v25 src0_sel:BYTE_0 src1_sel:DWORD
	v_mov_b32_e32 v1, 0
	v_mov_b32_e32 v2, 0
	buffer_store_dword v1, off, s[0:3], s32 offset:336 ; 4-byte Folded Spill
	buffer_store_dword v2, off, s[0:3], s32 offset:340 ; 4-byte Folded Spill
	v_mov_b32_e32 v1, 0
	v_mov_b32_e32 v2, 0
	buffer_store_dword v1, off, s[0:3], s32 offset:328 ; 4-byte Folded Spill
	buffer_store_dword v2, off, s[0:3], s32 offset:332 ; 4-byte Folded Spill
	s_and_saveexec_b32 s20, s6
	s_cbranch_execz .LBB189_137
; %bb.130:                              ;   in Loop: Header=BB189_12 Depth=1
	v_bfrev_b32_e32 v1, 1
	v_mov_b32_e32 v2, 0
	v_cmp_ne_u16_sdwa s6, v0, v6 src0_sel:BYTE_0 src1_sel:DWORD
	buffer_store_dword v1, off, s[0:3], s32 offset:328 ; 4-byte Folded Spill
	buffer_store_dword v2, off, s[0:3], s32 offset:332 ; 4-byte Folded Spill
	s_and_saveexec_b32 s21, s6
	s_cbranch_execz .LBB189_136
; %bb.131:                              ;   in Loop: Header=BB189_12 Depth=1
	v_mov_b32_e32 v3, 0x7f800001
	v_and_b32_e32 v2, 0x7f, v0
	v_mov_b32_e32 v4, 0
	s_mov_b32 s22, exec_lo
	buffer_store_dword v3, off, s[0:3], s32 offset:328 ; 4-byte Folded Spill
	buffer_store_dword v4, off, s[0:3], s32 offset:332 ; 4-byte Folded Spill
	v_cmpx_ne_u32_e32 0x7f, v2
	s_cbranch_execz .LBB189_135
; %bb.132:                              ;   in Loop: Header=BB189_12 Depth=1
	v_and_b32_e32 v24, 7, v0
	v_lshrrev_b32_e32 v1, 3, v2
	s_mov_b32 s23, exec_lo
	v_cmpx_gt_u32_e32 8, v2
; %bb.133:                              ;   in Loop: Header=BB189_12 Depth=1
	v_ffbh_u32_e32 v1, v24
	v_min_u32_e32 v1, 32, v1
	v_subrev_nc_u32_e32 v2, 28, v1
	v_sub_nc_u32_e32 v1, 29, v1
	v_lshlrev_b64 v[2:3], v2, v[24:25]
	v_and_b32_e32 v24, 7, v2
; %bb.134:                              ;   in Loop: Header=BB189_12 Depth=1
	s_or_b32 exec_lo, exec_lo, s23
	v_lshlrev_b32_e32 v2, 24, v0
	v_lshlrev_b32_e32 v3, 20, v24
	v_lshl_add_u32 v1, v1, 23, 0x3c000000
	v_and_b32_e32 v2, 0x80000000, v2
	v_or3_b32 v24, v3, v2, v1
	buffer_store_dword v24, off, s[0:3], s32 offset:328 ; 4-byte Folded Spill
	buffer_store_dword v25, off, s[0:3], s32 offset:332 ; 4-byte Folded Spill
.LBB189_135:                            ;   in Loop: Header=BB189_12 Depth=1
	s_or_b32 exec_lo, exec_lo, s22
.LBB189_136:                            ;   in Loop: Header=BB189_12 Depth=1
	s_or_b32 exec_lo, exec_lo, s21
.LBB189_137:                            ;   in Loop: Header=BB189_12 Depth=1
	s_or_b32 exec_lo, exec_lo, s20
	v_cmp_ne_u16_sdwa s6, v0, v25 src0_sel:BYTE_1 src1_sel:DWORD
	s_and_saveexec_b32 s20, s6
	s_cbranch_execz .LBB189_145
; %bb.138:                              ;   in Loop: Header=BB189_12 Depth=1
	v_mov_b32_e32 v114, v25
	v_cmp_ne_u16_sdwa s6, v0, v6 src0_sel:BYTE_1 src1_sel:DWORD
	buffer_store_dword v114, off, s[0:3], s32 offset:336 ; 4-byte Folded Spill
	buffer_store_dword v115, off, s[0:3], s32 offset:340 ; 4-byte Folded Spill
	s_and_saveexec_b32 s21, s6
	s_cbranch_execz .LBB189_144
; %bb.139:                              ;   in Loop: Header=BB189_12 Depth=1
	v_mov_b32_e32 v1, 0xffff
	v_mov_b32_e32 v37, v25
	s_mov_b32 s22, exec_lo
	buffer_store_dword v37, off, s[0:3], s32 offset:336 ; 4-byte Folded Spill
	buffer_store_dword v38, off, s[0:3], s32 offset:340 ; 4-byte Folded Spill
	v_and_b32_sdwa v1, v1, v0 dst_sel:DWORD dst_unused:UNUSED_PAD src0_sel:DWORD src1_sel:BYTE_1
	v_and_b32_e32 v2, 0x7f, v1
	v_cmpx_ne_u32_e32 0x7f, v2
	s_cbranch_execz .LBB189_143
; %bb.140:                              ;   in Loop: Header=BB189_12 Depth=1
	v_and_b32_e32 v24, 7, v1
	v_lshrrev_b32_e32 v1, 3, v2
	s_mov_b32 s23, exec_lo
	v_cmpx_gt_u32_e32 8, v2
; %bb.141:                              ;   in Loop: Header=BB189_12 Depth=1
	v_ffbh_u32_e32 v1, v24
	v_min_u32_e32 v1, 32, v1
	v_subrev_nc_u32_e32 v2, 28, v1
	v_sub_nc_u32_e32 v1, 29, v1
	v_lshlrev_b64 v[2:3], v2, v[24:25]
	v_and_b32_e32 v24, 7, v2
; %bb.142:                              ;   in Loop: Header=BB189_12 Depth=1
	s_or_b32 exec_lo, exec_lo, s23
	v_lshlrev_b32_e32 v0, 16, v0
	v_lshlrev_b32_e32 v2, 20, v24
	v_lshl_add_u32 v1, v1, 23, 0x3c000000
	v_and_b32_e32 v0, 0x80000000, v0
	v_or3_b32 v1, v2, v0, v1
	v_mov_b32_e32 v0, v25
	buffer_store_dword v0, off, s[0:3], s32 offset:336 ; 4-byte Folded Spill
	buffer_store_dword v1, off, s[0:3], s32 offset:340 ; 4-byte Folded Spill
.LBB189_143:                            ;   in Loop: Header=BB189_12 Depth=1
	s_or_b32 exec_lo, exec_lo, s22
.LBB189_144:                            ;   in Loop: Header=BB189_12 Depth=1
	s_or_b32 exec_lo, exec_lo, s21
.LBB189_145:                            ;   in Loop: Header=BB189_12 Depth=1
	s_or_b32 exec_lo, exec_lo, s20
	flat_load_ushort v1, v[27:28] offset:512
	s_waitcnt vmcnt(0) lgkmcnt(0)
	v_and_b32_e32 v0, 0xffff, v1
	v_cmp_ne_u16_sdwa s6, v1, v25 src0_sel:BYTE_0 src1_sel:DWORD
	v_mov_b32_e32 v1, 0
	v_mov_b32_e32 v2, 0
	buffer_store_dword v1, off, s[0:3], s32 offset:352 ; 4-byte Folded Spill
	buffer_store_dword v2, off, s[0:3], s32 offset:356 ; 4-byte Folded Spill
	v_mov_b32_e32 v1, 0
	v_mov_b32_e32 v2, 0
	buffer_store_dword v1, off, s[0:3], s32 offset:344 ; 4-byte Folded Spill
	buffer_store_dword v2, off, s[0:3], s32 offset:348 ; 4-byte Folded Spill
	s_and_saveexec_b32 s20, s6
	s_cbranch_execz .LBB189_153
; %bb.146:                              ;   in Loop: Header=BB189_12 Depth=1
	v_bfrev_b32_e32 v1, 1
	v_mov_b32_e32 v2, 0
	v_cmp_ne_u16_sdwa s6, v0, v6 src0_sel:BYTE_0 src1_sel:DWORD
	buffer_store_dword v1, off, s[0:3], s32 offset:344 ; 4-byte Folded Spill
	buffer_store_dword v2, off, s[0:3], s32 offset:348 ; 4-byte Folded Spill
	s_and_saveexec_b32 s21, s6
	s_cbranch_execz .LBB189_152
; %bb.147:                              ;   in Loop: Header=BB189_12 Depth=1
	v_mov_b32_e32 v3, 0x7f800001
	v_and_b32_e32 v2, 0x7f, v0
	v_mov_b32_e32 v4, 0
	s_mov_b32 s22, exec_lo
	buffer_store_dword v3, off, s[0:3], s32 offset:344 ; 4-byte Folded Spill
	buffer_store_dword v4, off, s[0:3], s32 offset:348 ; 4-byte Folded Spill
	v_cmpx_ne_u32_e32 0x7f, v2
	s_cbranch_execz .LBB189_151
; %bb.148:                              ;   in Loop: Header=BB189_12 Depth=1
	v_and_b32_e32 v24, 7, v0
	v_lshrrev_b32_e32 v1, 3, v2
	s_mov_b32 s23, exec_lo
	v_cmpx_gt_u32_e32 8, v2
; %bb.149:                              ;   in Loop: Header=BB189_12 Depth=1
	v_ffbh_u32_e32 v1, v24
	v_min_u32_e32 v1, 32, v1
	v_subrev_nc_u32_e32 v2, 28, v1
	v_sub_nc_u32_e32 v1, 29, v1
	v_lshlrev_b64 v[2:3], v2, v[24:25]
	v_and_b32_e32 v24, 7, v2
; %bb.150:                              ;   in Loop: Header=BB189_12 Depth=1
	s_or_b32 exec_lo, exec_lo, s23
	v_lshlrev_b32_e32 v2, 24, v0
	v_lshlrev_b32_e32 v3, 20, v24
	v_lshl_add_u32 v1, v1, 23, 0x3c000000
	v_and_b32_e32 v2, 0x80000000, v2
	v_or3_b32 v24, v3, v2, v1
	buffer_store_dword v24, off, s[0:3], s32 offset:344 ; 4-byte Folded Spill
	buffer_store_dword v25, off, s[0:3], s32 offset:348 ; 4-byte Folded Spill
.LBB189_151:                            ;   in Loop: Header=BB189_12 Depth=1
	s_or_b32 exec_lo, exec_lo, s22
.LBB189_152:                            ;   in Loop: Header=BB189_12 Depth=1
	s_or_b32 exec_lo, exec_lo, s21
.LBB189_153:                            ;   in Loop: Header=BB189_12 Depth=1
	s_or_b32 exec_lo, exec_lo, s20
	v_cmp_ne_u16_sdwa s6, v0, v25 src0_sel:BYTE_1 src1_sel:DWORD
	s_and_saveexec_b32 s20, s6
	s_cbranch_execz .LBB189_161
; %bb.154:                              ;   in Loop: Header=BB189_12 Depth=1
	v_mov_b32_e32 v114, v25
	v_cmp_ne_u16_sdwa s6, v0, v6 src0_sel:BYTE_1 src1_sel:DWORD
	buffer_store_dword v114, off, s[0:3], s32 offset:352 ; 4-byte Folded Spill
	buffer_store_dword v115, off, s[0:3], s32 offset:356 ; 4-byte Folded Spill
	s_and_saveexec_b32 s21, s6
	s_cbranch_execz .LBB189_160
; %bb.155:                              ;   in Loop: Header=BB189_12 Depth=1
	v_mov_b32_e32 v1, 0xffff
	v_mov_b32_e32 v37, v25
	s_mov_b32 s22, exec_lo
	buffer_store_dword v37, off, s[0:3], s32 offset:352 ; 4-byte Folded Spill
	buffer_store_dword v38, off, s[0:3], s32 offset:356 ; 4-byte Folded Spill
	v_and_b32_sdwa v1, v1, v0 dst_sel:DWORD dst_unused:UNUSED_PAD src0_sel:DWORD src1_sel:BYTE_1
	v_and_b32_e32 v2, 0x7f, v1
	v_cmpx_ne_u32_e32 0x7f, v2
	s_cbranch_execz .LBB189_159
; %bb.156:                              ;   in Loop: Header=BB189_12 Depth=1
	v_and_b32_e32 v24, 7, v1
	v_lshrrev_b32_e32 v1, 3, v2
	s_mov_b32 s23, exec_lo
	v_cmpx_gt_u32_e32 8, v2
; %bb.157:                              ;   in Loop: Header=BB189_12 Depth=1
	v_ffbh_u32_e32 v1, v24
	v_min_u32_e32 v1, 32, v1
	v_subrev_nc_u32_e32 v2, 28, v1
	v_sub_nc_u32_e32 v1, 29, v1
	v_lshlrev_b64 v[2:3], v2, v[24:25]
	v_and_b32_e32 v24, 7, v2
; %bb.158:                              ;   in Loop: Header=BB189_12 Depth=1
	s_or_b32 exec_lo, exec_lo, s23
	v_lshlrev_b32_e32 v0, 16, v0
	v_lshlrev_b32_e32 v2, 20, v24
	v_lshl_add_u32 v1, v1, 23, 0x3c000000
	v_and_b32_e32 v0, 0x80000000, v0
	v_or3_b32 v1, v2, v0, v1
	v_mov_b32_e32 v0, v25
	buffer_store_dword v0, off, s[0:3], s32 offset:352 ; 4-byte Folded Spill
	buffer_store_dword v1, off, s[0:3], s32 offset:356 ; 4-byte Folded Spill
.LBB189_159:                            ;   in Loop: Header=BB189_12 Depth=1
	s_or_b32 exec_lo, exec_lo, s22
.LBB189_160:                            ;   in Loop: Header=BB189_12 Depth=1
	s_or_b32 exec_lo, exec_lo, s21
.LBB189_161:                            ;   in Loop: Header=BB189_12 Depth=1
	s_or_b32 exec_lo, exec_lo, s20
	flat_load_ushort v1, v[27:28] offset:516
	s_waitcnt vmcnt(0) lgkmcnt(0)
	v_and_b32_e32 v0, 0xffff, v1
	v_cmp_ne_u16_sdwa s6, v1, v25 src0_sel:BYTE_0 src1_sel:DWORD
	v_mov_b32_e32 v1, 0
	v_mov_b32_e32 v2, 0
	buffer_store_dword v1, off, s[0:3], s32 offset:368 ; 4-byte Folded Spill
	buffer_store_dword v2, off, s[0:3], s32 offset:372 ; 4-byte Folded Spill
	v_mov_b32_e32 v1, 0
	v_mov_b32_e32 v2, 0
	buffer_store_dword v1, off, s[0:3], s32 offset:360 ; 4-byte Folded Spill
	buffer_store_dword v2, off, s[0:3], s32 offset:364 ; 4-byte Folded Spill
	s_and_saveexec_b32 s20, s6
	s_cbranch_execz .LBB189_169
; %bb.162:                              ;   in Loop: Header=BB189_12 Depth=1
	v_bfrev_b32_e32 v1, 1
	v_mov_b32_e32 v2, 0
	v_cmp_ne_u16_sdwa s6, v0, v6 src0_sel:BYTE_0 src1_sel:DWORD
	buffer_store_dword v1, off, s[0:3], s32 offset:360 ; 4-byte Folded Spill
	buffer_store_dword v2, off, s[0:3], s32 offset:364 ; 4-byte Folded Spill
	s_and_saveexec_b32 s21, s6
	s_cbranch_execz .LBB189_168
; %bb.163:                              ;   in Loop: Header=BB189_12 Depth=1
	v_mov_b32_e32 v3, 0x7f800001
	v_and_b32_e32 v2, 0x7f, v0
	v_mov_b32_e32 v4, 0
	s_mov_b32 s22, exec_lo
	buffer_store_dword v3, off, s[0:3], s32 offset:360 ; 4-byte Folded Spill
	buffer_store_dword v4, off, s[0:3], s32 offset:364 ; 4-byte Folded Spill
	v_cmpx_ne_u32_e32 0x7f, v2
	s_cbranch_execz .LBB189_167
; %bb.164:                              ;   in Loop: Header=BB189_12 Depth=1
	v_and_b32_e32 v24, 7, v0
	v_lshrrev_b32_e32 v1, 3, v2
	s_mov_b32 s23, exec_lo
	v_cmpx_gt_u32_e32 8, v2
; %bb.165:                              ;   in Loop: Header=BB189_12 Depth=1
	v_ffbh_u32_e32 v1, v24
	v_min_u32_e32 v1, 32, v1
	v_subrev_nc_u32_e32 v2, 28, v1
	v_sub_nc_u32_e32 v1, 29, v1
	v_lshlrev_b64 v[2:3], v2, v[24:25]
	v_and_b32_e32 v24, 7, v2
; %bb.166:                              ;   in Loop: Header=BB189_12 Depth=1
	s_or_b32 exec_lo, exec_lo, s23
	v_lshlrev_b32_e32 v2, 24, v0
	v_lshlrev_b32_e32 v3, 20, v24
	v_lshl_add_u32 v1, v1, 23, 0x3c000000
	v_and_b32_e32 v2, 0x80000000, v2
	v_or3_b32 v24, v3, v2, v1
	buffer_store_dword v24, off, s[0:3], s32 offset:360 ; 4-byte Folded Spill
	buffer_store_dword v25, off, s[0:3], s32 offset:364 ; 4-byte Folded Spill
.LBB189_167:                            ;   in Loop: Header=BB189_12 Depth=1
	s_or_b32 exec_lo, exec_lo, s22
.LBB189_168:                            ;   in Loop: Header=BB189_12 Depth=1
	s_or_b32 exec_lo, exec_lo, s21
.LBB189_169:                            ;   in Loop: Header=BB189_12 Depth=1
	s_or_b32 exec_lo, exec_lo, s20
	v_cmp_ne_u16_sdwa s6, v0, v25 src0_sel:BYTE_1 src1_sel:DWORD
	s_and_saveexec_b32 s20, s6
	s_cbranch_execz .LBB189_177
; %bb.170:                              ;   in Loop: Header=BB189_12 Depth=1
	v_mov_b32_e32 v114, v25
	v_cmp_ne_u16_sdwa s6, v0, v6 src0_sel:BYTE_1 src1_sel:DWORD
	buffer_store_dword v114, off, s[0:3], s32 offset:368 ; 4-byte Folded Spill
	buffer_store_dword v115, off, s[0:3], s32 offset:372 ; 4-byte Folded Spill
	s_and_saveexec_b32 s21, s6
	s_cbranch_execz .LBB189_176
; %bb.171:                              ;   in Loop: Header=BB189_12 Depth=1
	v_mov_b32_e32 v1, 0xffff
	v_mov_b32_e32 v37, v25
	s_mov_b32 s22, exec_lo
	buffer_store_dword v37, off, s[0:3], s32 offset:368 ; 4-byte Folded Spill
	buffer_store_dword v38, off, s[0:3], s32 offset:372 ; 4-byte Folded Spill
	v_and_b32_sdwa v1, v1, v0 dst_sel:DWORD dst_unused:UNUSED_PAD src0_sel:DWORD src1_sel:BYTE_1
	v_and_b32_e32 v2, 0x7f, v1
	v_cmpx_ne_u32_e32 0x7f, v2
	s_cbranch_execz .LBB189_175
; %bb.172:                              ;   in Loop: Header=BB189_12 Depth=1
	v_and_b32_e32 v24, 7, v1
	v_lshrrev_b32_e32 v1, 3, v2
	s_mov_b32 s23, exec_lo
	v_cmpx_gt_u32_e32 8, v2
; %bb.173:                              ;   in Loop: Header=BB189_12 Depth=1
	v_ffbh_u32_e32 v1, v24
	v_min_u32_e32 v1, 32, v1
	v_subrev_nc_u32_e32 v2, 28, v1
	v_sub_nc_u32_e32 v1, 29, v1
	v_lshlrev_b64 v[2:3], v2, v[24:25]
	v_and_b32_e32 v24, 7, v2
; %bb.174:                              ;   in Loop: Header=BB189_12 Depth=1
	s_or_b32 exec_lo, exec_lo, s23
	v_lshlrev_b32_e32 v0, 16, v0
	v_lshlrev_b32_e32 v2, 20, v24
	v_lshl_add_u32 v1, v1, 23, 0x3c000000
	v_and_b32_e32 v0, 0x80000000, v0
	v_or3_b32 v1, v2, v0, v1
	v_mov_b32_e32 v0, v25
	buffer_store_dword v0, off, s[0:3], s32 offset:368 ; 4-byte Folded Spill
	buffer_store_dword v1, off, s[0:3], s32 offset:372 ; 4-byte Folded Spill
.LBB189_175:                            ;   in Loop: Header=BB189_12 Depth=1
	s_or_b32 exec_lo, exec_lo, s22
.LBB189_176:                            ;   in Loop: Header=BB189_12 Depth=1
	s_or_b32 exec_lo, exec_lo, s21
.LBB189_177:                            ;   in Loop: Header=BB189_12 Depth=1
	s_or_b32 exec_lo, exec_lo, s20
	flat_load_ushort v1, v[27:28] offset:520
	s_waitcnt vmcnt(0) lgkmcnt(0)
	v_and_b32_e32 v0, 0xffff, v1
	v_cmp_ne_u16_sdwa s6, v1, v25 src0_sel:BYTE_0 src1_sel:DWORD
	v_mov_b32_e32 v1, 0
	v_mov_b32_e32 v2, 0
	buffer_store_dword v1, off, s[0:3], s32 offset:384 ; 4-byte Folded Spill
	buffer_store_dword v2, off, s[0:3], s32 offset:388 ; 4-byte Folded Spill
	v_mov_b32_e32 v1, 0
	v_mov_b32_e32 v2, 0
	buffer_store_dword v1, off, s[0:3], s32 offset:376 ; 4-byte Folded Spill
	buffer_store_dword v2, off, s[0:3], s32 offset:380 ; 4-byte Folded Spill
	s_and_saveexec_b32 s20, s6
	s_cbranch_execz .LBB189_185
; %bb.178:                              ;   in Loop: Header=BB189_12 Depth=1
	v_bfrev_b32_e32 v1, 1
	v_mov_b32_e32 v2, 0
	v_cmp_ne_u16_sdwa s6, v0, v6 src0_sel:BYTE_0 src1_sel:DWORD
	buffer_store_dword v1, off, s[0:3], s32 offset:376 ; 4-byte Folded Spill
	buffer_store_dword v2, off, s[0:3], s32 offset:380 ; 4-byte Folded Spill
	s_and_saveexec_b32 s21, s6
	s_cbranch_execz .LBB189_184
; %bb.179:                              ;   in Loop: Header=BB189_12 Depth=1
	v_mov_b32_e32 v3, 0x7f800001
	v_and_b32_e32 v2, 0x7f, v0
	v_mov_b32_e32 v4, 0
	s_mov_b32 s22, exec_lo
	buffer_store_dword v3, off, s[0:3], s32 offset:376 ; 4-byte Folded Spill
	buffer_store_dword v4, off, s[0:3], s32 offset:380 ; 4-byte Folded Spill
	v_cmpx_ne_u32_e32 0x7f, v2
	s_cbranch_execz .LBB189_183
; %bb.180:                              ;   in Loop: Header=BB189_12 Depth=1
	v_and_b32_e32 v24, 7, v0
	v_lshrrev_b32_e32 v1, 3, v2
	s_mov_b32 s23, exec_lo
	v_cmpx_gt_u32_e32 8, v2
; %bb.181:                              ;   in Loop: Header=BB189_12 Depth=1
	v_ffbh_u32_e32 v1, v24
	v_min_u32_e32 v1, 32, v1
	v_subrev_nc_u32_e32 v2, 28, v1
	v_sub_nc_u32_e32 v1, 29, v1
	v_lshlrev_b64 v[2:3], v2, v[24:25]
	v_and_b32_e32 v24, 7, v2
; %bb.182:                              ;   in Loop: Header=BB189_12 Depth=1
	s_or_b32 exec_lo, exec_lo, s23
	v_lshlrev_b32_e32 v2, 24, v0
	v_lshlrev_b32_e32 v3, 20, v24
	v_lshl_add_u32 v1, v1, 23, 0x3c000000
	v_and_b32_e32 v2, 0x80000000, v2
	v_or3_b32 v24, v3, v2, v1
	buffer_store_dword v24, off, s[0:3], s32 offset:376 ; 4-byte Folded Spill
	buffer_store_dword v25, off, s[0:3], s32 offset:380 ; 4-byte Folded Spill
.LBB189_183:                            ;   in Loop: Header=BB189_12 Depth=1
	s_or_b32 exec_lo, exec_lo, s22
.LBB189_184:                            ;   in Loop: Header=BB189_12 Depth=1
	s_or_b32 exec_lo, exec_lo, s21
.LBB189_185:                            ;   in Loop: Header=BB189_12 Depth=1
	s_or_b32 exec_lo, exec_lo, s20
	v_cmp_ne_u16_sdwa s6, v0, v25 src0_sel:BYTE_1 src1_sel:DWORD
	s_and_saveexec_b32 s20, s6
	s_cbranch_execz .LBB189_193
; %bb.186:                              ;   in Loop: Header=BB189_12 Depth=1
	v_mov_b32_e32 v114, v25
	v_cmp_ne_u16_sdwa s6, v0, v6 src0_sel:BYTE_1 src1_sel:DWORD
	buffer_store_dword v114, off, s[0:3], s32 offset:384 ; 4-byte Folded Spill
	buffer_store_dword v115, off, s[0:3], s32 offset:388 ; 4-byte Folded Spill
	s_and_saveexec_b32 s21, s6
	s_cbranch_execz .LBB189_192
; %bb.187:                              ;   in Loop: Header=BB189_12 Depth=1
	v_mov_b32_e32 v1, 0xffff
	v_mov_b32_e32 v37, v25
	s_mov_b32 s22, exec_lo
	buffer_store_dword v37, off, s[0:3], s32 offset:384 ; 4-byte Folded Spill
	buffer_store_dword v38, off, s[0:3], s32 offset:388 ; 4-byte Folded Spill
	v_and_b32_sdwa v1, v1, v0 dst_sel:DWORD dst_unused:UNUSED_PAD src0_sel:DWORD src1_sel:BYTE_1
	v_and_b32_e32 v2, 0x7f, v1
	v_cmpx_ne_u32_e32 0x7f, v2
	s_cbranch_execz .LBB189_191
; %bb.188:                              ;   in Loop: Header=BB189_12 Depth=1
	v_and_b32_e32 v24, 7, v1
	v_lshrrev_b32_e32 v1, 3, v2
	s_mov_b32 s23, exec_lo
	v_cmpx_gt_u32_e32 8, v2
; %bb.189:                              ;   in Loop: Header=BB189_12 Depth=1
	v_ffbh_u32_e32 v1, v24
	v_min_u32_e32 v1, 32, v1
	v_subrev_nc_u32_e32 v2, 28, v1
	v_sub_nc_u32_e32 v1, 29, v1
	v_lshlrev_b64 v[2:3], v2, v[24:25]
	v_and_b32_e32 v24, 7, v2
; %bb.190:                              ;   in Loop: Header=BB189_12 Depth=1
	s_or_b32 exec_lo, exec_lo, s23
	v_lshlrev_b32_e32 v0, 16, v0
	v_lshlrev_b32_e32 v2, 20, v24
	v_lshl_add_u32 v1, v1, 23, 0x3c000000
	v_and_b32_e32 v0, 0x80000000, v0
	v_or3_b32 v1, v2, v0, v1
	v_mov_b32_e32 v0, v25
	buffer_store_dword v0, off, s[0:3], s32 offset:384 ; 4-byte Folded Spill
	buffer_store_dword v1, off, s[0:3], s32 offset:388 ; 4-byte Folded Spill
.LBB189_191:                            ;   in Loop: Header=BB189_12 Depth=1
	s_or_b32 exec_lo, exec_lo, s22
.LBB189_192:                            ;   in Loop: Header=BB189_12 Depth=1
	s_or_b32 exec_lo, exec_lo, s21
.LBB189_193:                            ;   in Loop: Header=BB189_12 Depth=1
	s_or_b32 exec_lo, exec_lo, s20
	flat_load_ushort v1, v[27:28] offset:524
	s_waitcnt vmcnt(0) lgkmcnt(0)
	v_and_b32_e32 v0, 0xffff, v1
	v_cmp_ne_u16_sdwa s6, v1, v25 src0_sel:BYTE_0 src1_sel:DWORD
	v_mov_b32_e32 v1, 0
	v_mov_b32_e32 v2, 0
	buffer_store_dword v1, off, s[0:3], s32 offset:400 ; 4-byte Folded Spill
	buffer_store_dword v2, off, s[0:3], s32 offset:404 ; 4-byte Folded Spill
	v_mov_b32_e32 v1, 0
	v_mov_b32_e32 v2, 0
	buffer_store_dword v1, off, s[0:3], s32 offset:392 ; 4-byte Folded Spill
	buffer_store_dword v2, off, s[0:3], s32 offset:396 ; 4-byte Folded Spill
	s_and_saveexec_b32 s20, s6
	s_cbranch_execz .LBB189_201
; %bb.194:                              ;   in Loop: Header=BB189_12 Depth=1
	v_bfrev_b32_e32 v1, 1
	v_mov_b32_e32 v2, 0
	v_cmp_ne_u16_sdwa s6, v0, v6 src0_sel:BYTE_0 src1_sel:DWORD
	buffer_store_dword v1, off, s[0:3], s32 offset:392 ; 4-byte Folded Spill
	buffer_store_dword v2, off, s[0:3], s32 offset:396 ; 4-byte Folded Spill
	s_and_saveexec_b32 s21, s6
	s_cbranch_execz .LBB189_200
; %bb.195:                              ;   in Loop: Header=BB189_12 Depth=1
	v_mov_b32_e32 v3, 0x7f800001
	v_and_b32_e32 v2, 0x7f, v0
	v_mov_b32_e32 v4, 0
	s_mov_b32 s22, exec_lo
	buffer_store_dword v3, off, s[0:3], s32 offset:392 ; 4-byte Folded Spill
	buffer_store_dword v4, off, s[0:3], s32 offset:396 ; 4-byte Folded Spill
	v_cmpx_ne_u32_e32 0x7f, v2
	s_cbranch_execz .LBB189_199
; %bb.196:                              ;   in Loop: Header=BB189_12 Depth=1
	v_and_b32_e32 v24, 7, v0
	v_lshrrev_b32_e32 v1, 3, v2
	s_mov_b32 s23, exec_lo
	v_cmpx_gt_u32_e32 8, v2
; %bb.197:                              ;   in Loop: Header=BB189_12 Depth=1
	v_ffbh_u32_e32 v1, v24
	v_min_u32_e32 v1, 32, v1
	v_subrev_nc_u32_e32 v2, 28, v1
	v_sub_nc_u32_e32 v1, 29, v1
	v_lshlrev_b64 v[2:3], v2, v[24:25]
	v_and_b32_e32 v24, 7, v2
; %bb.198:                              ;   in Loop: Header=BB189_12 Depth=1
	s_or_b32 exec_lo, exec_lo, s23
	v_lshlrev_b32_e32 v2, 24, v0
	v_lshlrev_b32_e32 v3, 20, v24
	v_lshl_add_u32 v1, v1, 23, 0x3c000000
	v_and_b32_e32 v2, 0x80000000, v2
	v_or3_b32 v24, v3, v2, v1
	buffer_store_dword v24, off, s[0:3], s32 offset:392 ; 4-byte Folded Spill
	buffer_store_dword v25, off, s[0:3], s32 offset:396 ; 4-byte Folded Spill
.LBB189_199:                            ;   in Loop: Header=BB189_12 Depth=1
	s_or_b32 exec_lo, exec_lo, s22
.LBB189_200:                            ;   in Loop: Header=BB189_12 Depth=1
	s_or_b32 exec_lo, exec_lo, s21
.LBB189_201:                            ;   in Loop: Header=BB189_12 Depth=1
	s_or_b32 exec_lo, exec_lo, s20
	v_cmp_ne_u16_sdwa s6, v0, v25 src0_sel:BYTE_1 src1_sel:DWORD
	s_and_saveexec_b32 s20, s6
	s_cbranch_execz .LBB189_209
; %bb.202:                              ;   in Loop: Header=BB189_12 Depth=1
	v_mov_b32_e32 v114, v25
	v_cmp_ne_u16_sdwa s6, v0, v6 src0_sel:BYTE_1 src1_sel:DWORD
	buffer_store_dword v114, off, s[0:3], s32 offset:400 ; 4-byte Folded Spill
	buffer_store_dword v115, off, s[0:3], s32 offset:404 ; 4-byte Folded Spill
	s_and_saveexec_b32 s21, s6
	s_cbranch_execz .LBB189_208
; %bb.203:                              ;   in Loop: Header=BB189_12 Depth=1
	v_mov_b32_e32 v1, 0xffff
	v_mov_b32_e32 v37, v25
	s_mov_b32 s22, exec_lo
	buffer_store_dword v37, off, s[0:3], s32 offset:400 ; 4-byte Folded Spill
	buffer_store_dword v38, off, s[0:3], s32 offset:404 ; 4-byte Folded Spill
	v_and_b32_sdwa v1, v1, v0 dst_sel:DWORD dst_unused:UNUSED_PAD src0_sel:DWORD src1_sel:BYTE_1
	v_and_b32_e32 v2, 0x7f, v1
	v_cmpx_ne_u32_e32 0x7f, v2
	s_cbranch_execz .LBB189_207
; %bb.204:                              ;   in Loop: Header=BB189_12 Depth=1
	v_and_b32_e32 v24, 7, v1
	v_lshrrev_b32_e32 v1, 3, v2
	s_mov_b32 s23, exec_lo
	v_cmpx_gt_u32_e32 8, v2
; %bb.205:                              ;   in Loop: Header=BB189_12 Depth=1
	v_ffbh_u32_e32 v1, v24
	v_min_u32_e32 v1, 32, v1
	v_subrev_nc_u32_e32 v2, 28, v1
	v_sub_nc_u32_e32 v1, 29, v1
	v_lshlrev_b64 v[2:3], v2, v[24:25]
	v_and_b32_e32 v24, 7, v2
; %bb.206:                              ;   in Loop: Header=BB189_12 Depth=1
	s_or_b32 exec_lo, exec_lo, s23
	v_lshlrev_b32_e32 v0, 16, v0
	v_lshlrev_b32_e32 v2, 20, v24
	v_lshl_add_u32 v1, v1, 23, 0x3c000000
	v_and_b32_e32 v0, 0x80000000, v0
	v_or3_b32 v1, v2, v0, v1
	v_mov_b32_e32 v0, v25
	buffer_store_dword v0, off, s[0:3], s32 offset:400 ; 4-byte Folded Spill
	buffer_store_dword v1, off, s[0:3], s32 offset:404 ; 4-byte Folded Spill
.LBB189_207:                            ;   in Loop: Header=BB189_12 Depth=1
	s_or_b32 exec_lo, exec_lo, s22
.LBB189_208:                            ;   in Loop: Header=BB189_12 Depth=1
	s_or_b32 exec_lo, exec_lo, s21
.LBB189_209:                            ;   in Loop: Header=BB189_12 Depth=1
	s_or_b32 exec_lo, exec_lo, s20
	flat_load_ushort v1, v[27:28] offset:768
	s_waitcnt vmcnt(0) lgkmcnt(0)
	v_and_b32_e32 v0, 0xffff, v1
	v_cmp_ne_u16_sdwa s6, v1, v25 src0_sel:BYTE_0 src1_sel:DWORD
	v_mov_b32_e32 v1, 0
	v_mov_b32_e32 v2, 0
	buffer_store_dword v1, off, s[0:3], s32 offset:416 ; 4-byte Folded Spill
	buffer_store_dword v2, off, s[0:3], s32 offset:420 ; 4-byte Folded Spill
	v_mov_b32_e32 v1, 0
	v_mov_b32_e32 v2, 0
	buffer_store_dword v1, off, s[0:3], s32 offset:408 ; 4-byte Folded Spill
	buffer_store_dword v2, off, s[0:3], s32 offset:412 ; 4-byte Folded Spill
	s_and_saveexec_b32 s20, s6
	s_cbranch_execz .LBB189_217
; %bb.210:                              ;   in Loop: Header=BB189_12 Depth=1
	v_bfrev_b32_e32 v1, 1
	v_mov_b32_e32 v2, 0
	v_cmp_ne_u16_sdwa s6, v0, v6 src0_sel:BYTE_0 src1_sel:DWORD
	buffer_store_dword v1, off, s[0:3], s32 offset:408 ; 4-byte Folded Spill
	buffer_store_dword v2, off, s[0:3], s32 offset:412 ; 4-byte Folded Spill
	s_and_saveexec_b32 s21, s6
	s_cbranch_execz .LBB189_216
; %bb.211:                              ;   in Loop: Header=BB189_12 Depth=1
	v_mov_b32_e32 v3, 0x7f800001
	v_and_b32_e32 v2, 0x7f, v0
	v_mov_b32_e32 v4, 0
	s_mov_b32 s22, exec_lo
	buffer_store_dword v3, off, s[0:3], s32 offset:408 ; 4-byte Folded Spill
	buffer_store_dword v4, off, s[0:3], s32 offset:412 ; 4-byte Folded Spill
	v_cmpx_ne_u32_e32 0x7f, v2
	s_cbranch_execz .LBB189_215
; %bb.212:                              ;   in Loop: Header=BB189_12 Depth=1
	v_and_b32_e32 v24, 7, v0
	v_lshrrev_b32_e32 v1, 3, v2
	s_mov_b32 s23, exec_lo
	v_cmpx_gt_u32_e32 8, v2
; %bb.213:                              ;   in Loop: Header=BB189_12 Depth=1
	v_ffbh_u32_e32 v1, v24
	v_min_u32_e32 v1, 32, v1
	v_subrev_nc_u32_e32 v2, 28, v1
	v_sub_nc_u32_e32 v1, 29, v1
	v_lshlrev_b64 v[2:3], v2, v[24:25]
	v_and_b32_e32 v24, 7, v2
; %bb.214:                              ;   in Loop: Header=BB189_12 Depth=1
	s_or_b32 exec_lo, exec_lo, s23
	v_lshlrev_b32_e32 v2, 24, v0
	v_lshlrev_b32_e32 v3, 20, v24
	v_lshl_add_u32 v1, v1, 23, 0x3c000000
	v_and_b32_e32 v2, 0x80000000, v2
	v_or3_b32 v24, v3, v2, v1
	buffer_store_dword v24, off, s[0:3], s32 offset:408 ; 4-byte Folded Spill
	buffer_store_dword v25, off, s[0:3], s32 offset:412 ; 4-byte Folded Spill
.LBB189_215:                            ;   in Loop: Header=BB189_12 Depth=1
	s_or_b32 exec_lo, exec_lo, s22
.LBB189_216:                            ;   in Loop: Header=BB189_12 Depth=1
	s_or_b32 exec_lo, exec_lo, s21
.LBB189_217:                            ;   in Loop: Header=BB189_12 Depth=1
	s_or_b32 exec_lo, exec_lo, s20
	v_cmp_ne_u16_sdwa s6, v0, v25 src0_sel:BYTE_1 src1_sel:DWORD
	s_and_saveexec_b32 s20, s6
	s_cbranch_execz .LBB189_225
; %bb.218:                              ;   in Loop: Header=BB189_12 Depth=1
	v_mov_b32_e32 v114, v25
	v_cmp_ne_u16_sdwa s6, v0, v6 src0_sel:BYTE_1 src1_sel:DWORD
	buffer_store_dword v114, off, s[0:3], s32 offset:416 ; 4-byte Folded Spill
	buffer_store_dword v115, off, s[0:3], s32 offset:420 ; 4-byte Folded Spill
	s_and_saveexec_b32 s21, s6
	s_cbranch_execz .LBB189_224
; %bb.219:                              ;   in Loop: Header=BB189_12 Depth=1
	v_mov_b32_e32 v1, 0xffff
	v_mov_b32_e32 v37, v25
	s_mov_b32 s22, exec_lo
	buffer_store_dword v37, off, s[0:3], s32 offset:416 ; 4-byte Folded Spill
	buffer_store_dword v38, off, s[0:3], s32 offset:420 ; 4-byte Folded Spill
	v_and_b32_sdwa v1, v1, v0 dst_sel:DWORD dst_unused:UNUSED_PAD src0_sel:DWORD src1_sel:BYTE_1
	v_and_b32_e32 v2, 0x7f, v1
	v_cmpx_ne_u32_e32 0x7f, v2
	s_cbranch_execz .LBB189_223
; %bb.220:                              ;   in Loop: Header=BB189_12 Depth=1
	v_and_b32_e32 v24, 7, v1
	v_lshrrev_b32_e32 v1, 3, v2
	s_mov_b32 s23, exec_lo
	v_cmpx_gt_u32_e32 8, v2
; %bb.221:                              ;   in Loop: Header=BB189_12 Depth=1
	v_ffbh_u32_e32 v1, v24
	v_min_u32_e32 v1, 32, v1
	v_subrev_nc_u32_e32 v2, 28, v1
	v_sub_nc_u32_e32 v1, 29, v1
	v_lshlrev_b64 v[2:3], v2, v[24:25]
	v_and_b32_e32 v24, 7, v2
; %bb.222:                              ;   in Loop: Header=BB189_12 Depth=1
	s_or_b32 exec_lo, exec_lo, s23
	v_lshlrev_b32_e32 v0, 16, v0
	v_lshlrev_b32_e32 v2, 20, v24
	v_lshl_add_u32 v1, v1, 23, 0x3c000000
	v_and_b32_e32 v0, 0x80000000, v0
	v_or3_b32 v1, v2, v0, v1
	v_mov_b32_e32 v0, v25
	buffer_store_dword v0, off, s[0:3], s32 offset:416 ; 4-byte Folded Spill
	buffer_store_dword v1, off, s[0:3], s32 offset:420 ; 4-byte Folded Spill
.LBB189_223:                            ;   in Loop: Header=BB189_12 Depth=1
	s_or_b32 exec_lo, exec_lo, s22
.LBB189_224:                            ;   in Loop: Header=BB189_12 Depth=1
	s_or_b32 exec_lo, exec_lo, s21
.LBB189_225:                            ;   in Loop: Header=BB189_12 Depth=1
	s_or_b32 exec_lo, exec_lo, s20
	flat_load_ushort v1, v[27:28] offset:772
	s_waitcnt vmcnt(0) lgkmcnt(0)
	v_and_b32_e32 v0, 0xffff, v1
	v_cmp_ne_u16_sdwa s6, v1, v25 src0_sel:BYTE_0 src1_sel:DWORD
	v_mov_b32_e32 v1, 0
	v_mov_b32_e32 v2, 0
	buffer_store_dword v1, off, s[0:3], s32 offset:432 ; 4-byte Folded Spill
	buffer_store_dword v2, off, s[0:3], s32 offset:436 ; 4-byte Folded Spill
	v_mov_b32_e32 v1, 0
	v_mov_b32_e32 v2, 0
	buffer_store_dword v1, off, s[0:3], s32 offset:424 ; 4-byte Folded Spill
	buffer_store_dword v2, off, s[0:3], s32 offset:428 ; 4-byte Folded Spill
	s_and_saveexec_b32 s20, s6
	s_cbranch_execz .LBB189_233
; %bb.226:                              ;   in Loop: Header=BB189_12 Depth=1
	v_bfrev_b32_e32 v1, 1
	v_mov_b32_e32 v2, 0
	v_cmp_ne_u16_sdwa s6, v0, v6 src0_sel:BYTE_0 src1_sel:DWORD
	buffer_store_dword v1, off, s[0:3], s32 offset:424 ; 4-byte Folded Spill
	buffer_store_dword v2, off, s[0:3], s32 offset:428 ; 4-byte Folded Spill
	s_and_saveexec_b32 s21, s6
	s_cbranch_execz .LBB189_232
; %bb.227:                              ;   in Loop: Header=BB189_12 Depth=1
	v_mov_b32_e32 v3, 0x7f800001
	v_and_b32_e32 v2, 0x7f, v0
	v_mov_b32_e32 v4, 0
	s_mov_b32 s22, exec_lo
	buffer_store_dword v3, off, s[0:3], s32 offset:424 ; 4-byte Folded Spill
	buffer_store_dword v4, off, s[0:3], s32 offset:428 ; 4-byte Folded Spill
	v_cmpx_ne_u32_e32 0x7f, v2
	s_cbranch_execz .LBB189_231
; %bb.228:                              ;   in Loop: Header=BB189_12 Depth=1
	v_and_b32_e32 v24, 7, v0
	v_lshrrev_b32_e32 v1, 3, v2
	s_mov_b32 s23, exec_lo
	v_cmpx_gt_u32_e32 8, v2
; %bb.229:                              ;   in Loop: Header=BB189_12 Depth=1
	v_ffbh_u32_e32 v1, v24
	v_min_u32_e32 v1, 32, v1
	v_subrev_nc_u32_e32 v2, 28, v1
	v_sub_nc_u32_e32 v1, 29, v1
	v_lshlrev_b64 v[2:3], v2, v[24:25]
	v_and_b32_e32 v24, 7, v2
; %bb.230:                              ;   in Loop: Header=BB189_12 Depth=1
	s_or_b32 exec_lo, exec_lo, s23
	v_lshlrev_b32_e32 v2, 24, v0
	v_lshlrev_b32_e32 v3, 20, v24
	v_lshl_add_u32 v1, v1, 23, 0x3c000000
	v_and_b32_e32 v2, 0x80000000, v2
	v_or3_b32 v24, v3, v2, v1
	buffer_store_dword v24, off, s[0:3], s32 offset:424 ; 4-byte Folded Spill
	buffer_store_dword v25, off, s[0:3], s32 offset:428 ; 4-byte Folded Spill
.LBB189_231:                            ;   in Loop: Header=BB189_12 Depth=1
	s_or_b32 exec_lo, exec_lo, s22
.LBB189_232:                            ;   in Loop: Header=BB189_12 Depth=1
	s_or_b32 exec_lo, exec_lo, s21
.LBB189_233:                            ;   in Loop: Header=BB189_12 Depth=1
	s_or_b32 exec_lo, exec_lo, s20
	v_cmp_ne_u16_sdwa s6, v0, v25 src0_sel:BYTE_1 src1_sel:DWORD
	s_and_saveexec_b32 s20, s6
	s_cbranch_execz .LBB189_241
; %bb.234:                              ;   in Loop: Header=BB189_12 Depth=1
	v_mov_b32_e32 v114, v25
	v_cmp_ne_u16_sdwa s6, v0, v6 src0_sel:BYTE_1 src1_sel:DWORD
	buffer_store_dword v114, off, s[0:3], s32 offset:432 ; 4-byte Folded Spill
	buffer_store_dword v115, off, s[0:3], s32 offset:436 ; 4-byte Folded Spill
	s_and_saveexec_b32 s21, s6
	s_cbranch_execz .LBB189_240
; %bb.235:                              ;   in Loop: Header=BB189_12 Depth=1
	v_mov_b32_e32 v1, 0xffff
	v_mov_b32_e32 v37, v25
	s_mov_b32 s22, exec_lo
	buffer_store_dword v37, off, s[0:3], s32 offset:432 ; 4-byte Folded Spill
	buffer_store_dword v38, off, s[0:3], s32 offset:436 ; 4-byte Folded Spill
	v_and_b32_sdwa v1, v1, v0 dst_sel:DWORD dst_unused:UNUSED_PAD src0_sel:DWORD src1_sel:BYTE_1
	v_and_b32_e32 v2, 0x7f, v1
	v_cmpx_ne_u32_e32 0x7f, v2
	s_cbranch_execz .LBB189_239
; %bb.236:                              ;   in Loop: Header=BB189_12 Depth=1
	v_and_b32_e32 v24, 7, v1
	v_lshrrev_b32_e32 v1, 3, v2
	s_mov_b32 s23, exec_lo
	v_cmpx_gt_u32_e32 8, v2
; %bb.237:                              ;   in Loop: Header=BB189_12 Depth=1
	v_ffbh_u32_e32 v1, v24
	v_min_u32_e32 v1, 32, v1
	v_subrev_nc_u32_e32 v2, 28, v1
	v_sub_nc_u32_e32 v1, 29, v1
	v_lshlrev_b64 v[2:3], v2, v[24:25]
	v_and_b32_e32 v24, 7, v2
; %bb.238:                              ;   in Loop: Header=BB189_12 Depth=1
	s_or_b32 exec_lo, exec_lo, s23
	v_lshlrev_b32_e32 v0, 16, v0
	v_lshlrev_b32_e32 v2, 20, v24
	v_lshl_add_u32 v1, v1, 23, 0x3c000000
	v_and_b32_e32 v0, 0x80000000, v0
	v_or3_b32 v1, v2, v0, v1
	v_mov_b32_e32 v0, v25
	buffer_store_dword v0, off, s[0:3], s32 offset:432 ; 4-byte Folded Spill
	buffer_store_dword v1, off, s[0:3], s32 offset:436 ; 4-byte Folded Spill
.LBB189_239:                            ;   in Loop: Header=BB189_12 Depth=1
	s_or_b32 exec_lo, exec_lo, s22
.LBB189_240:                            ;   in Loop: Header=BB189_12 Depth=1
	s_or_b32 exec_lo, exec_lo, s21
.LBB189_241:                            ;   in Loop: Header=BB189_12 Depth=1
	s_or_b32 exec_lo, exec_lo, s20
	flat_load_ushort v1, v[27:28] offset:776
	s_waitcnt vmcnt(0) lgkmcnt(0)
	v_and_b32_e32 v0, 0xffff, v1
	v_cmp_ne_u16_sdwa s6, v1, v25 src0_sel:BYTE_0 src1_sel:DWORD
	v_mov_b32_e32 v1, 0
	v_mov_b32_e32 v2, 0
	buffer_store_dword v1, off, s[0:3], s32 offset:448 ; 4-byte Folded Spill
	buffer_store_dword v2, off, s[0:3], s32 offset:452 ; 4-byte Folded Spill
	v_mov_b32_e32 v1, 0
	v_mov_b32_e32 v2, 0
	buffer_store_dword v1, off, s[0:3], s32 offset:440 ; 4-byte Folded Spill
	buffer_store_dword v2, off, s[0:3], s32 offset:444 ; 4-byte Folded Spill
	s_and_saveexec_b32 s20, s6
	s_cbranch_execz .LBB189_249
; %bb.242:                              ;   in Loop: Header=BB189_12 Depth=1
	v_bfrev_b32_e32 v1, 1
	v_mov_b32_e32 v2, 0
	v_cmp_ne_u16_sdwa s6, v0, v6 src0_sel:BYTE_0 src1_sel:DWORD
	buffer_store_dword v1, off, s[0:3], s32 offset:440 ; 4-byte Folded Spill
	buffer_store_dword v2, off, s[0:3], s32 offset:444 ; 4-byte Folded Spill
	s_and_saveexec_b32 s21, s6
	s_cbranch_execz .LBB189_248
; %bb.243:                              ;   in Loop: Header=BB189_12 Depth=1
	v_mov_b32_e32 v3, 0x7f800001
	v_and_b32_e32 v2, 0x7f, v0
	v_mov_b32_e32 v4, 0
	s_mov_b32 s22, exec_lo
	buffer_store_dword v3, off, s[0:3], s32 offset:440 ; 4-byte Folded Spill
	buffer_store_dword v4, off, s[0:3], s32 offset:444 ; 4-byte Folded Spill
	v_cmpx_ne_u32_e32 0x7f, v2
	s_cbranch_execz .LBB189_247
; %bb.244:                              ;   in Loop: Header=BB189_12 Depth=1
	v_and_b32_e32 v24, 7, v0
	v_lshrrev_b32_e32 v1, 3, v2
	s_mov_b32 s23, exec_lo
	v_cmpx_gt_u32_e32 8, v2
; %bb.245:                              ;   in Loop: Header=BB189_12 Depth=1
	v_ffbh_u32_e32 v1, v24
	v_min_u32_e32 v1, 32, v1
	v_subrev_nc_u32_e32 v2, 28, v1
	v_sub_nc_u32_e32 v1, 29, v1
	v_lshlrev_b64 v[2:3], v2, v[24:25]
	v_and_b32_e32 v24, 7, v2
; %bb.246:                              ;   in Loop: Header=BB189_12 Depth=1
	s_or_b32 exec_lo, exec_lo, s23
	v_lshlrev_b32_e32 v2, 24, v0
	v_lshlrev_b32_e32 v3, 20, v24
	v_lshl_add_u32 v1, v1, 23, 0x3c000000
	v_and_b32_e32 v2, 0x80000000, v2
	v_or3_b32 v24, v3, v2, v1
	buffer_store_dword v24, off, s[0:3], s32 offset:440 ; 4-byte Folded Spill
	buffer_store_dword v25, off, s[0:3], s32 offset:444 ; 4-byte Folded Spill
.LBB189_247:                            ;   in Loop: Header=BB189_12 Depth=1
	s_or_b32 exec_lo, exec_lo, s22
.LBB189_248:                            ;   in Loop: Header=BB189_12 Depth=1
	s_or_b32 exec_lo, exec_lo, s21
.LBB189_249:                            ;   in Loop: Header=BB189_12 Depth=1
	s_or_b32 exec_lo, exec_lo, s20
	v_cmp_ne_u16_sdwa s6, v0, v25 src0_sel:BYTE_1 src1_sel:DWORD
	s_and_saveexec_b32 s20, s6
	s_cbranch_execz .LBB189_257
; %bb.250:                              ;   in Loop: Header=BB189_12 Depth=1
	v_mov_b32_e32 v114, v25
	v_cmp_ne_u16_sdwa s6, v0, v6 src0_sel:BYTE_1 src1_sel:DWORD
	buffer_store_dword v114, off, s[0:3], s32 offset:448 ; 4-byte Folded Spill
	buffer_store_dword v115, off, s[0:3], s32 offset:452 ; 4-byte Folded Spill
	s_and_saveexec_b32 s21, s6
	s_cbranch_execz .LBB189_256
; %bb.251:                              ;   in Loop: Header=BB189_12 Depth=1
	v_mov_b32_e32 v1, 0xffff
	v_mov_b32_e32 v37, v25
	s_mov_b32 s22, exec_lo
	buffer_store_dword v37, off, s[0:3], s32 offset:448 ; 4-byte Folded Spill
	buffer_store_dword v38, off, s[0:3], s32 offset:452 ; 4-byte Folded Spill
	v_and_b32_sdwa v1, v1, v0 dst_sel:DWORD dst_unused:UNUSED_PAD src0_sel:DWORD src1_sel:BYTE_1
	v_and_b32_e32 v2, 0x7f, v1
	v_cmpx_ne_u32_e32 0x7f, v2
	s_cbranch_execz .LBB189_255
; %bb.252:                              ;   in Loop: Header=BB189_12 Depth=1
	v_and_b32_e32 v24, 7, v1
	v_lshrrev_b32_e32 v1, 3, v2
	s_mov_b32 s23, exec_lo
	v_cmpx_gt_u32_e32 8, v2
; %bb.253:                              ;   in Loop: Header=BB189_12 Depth=1
	v_ffbh_u32_e32 v1, v24
	v_min_u32_e32 v1, 32, v1
	v_subrev_nc_u32_e32 v2, 28, v1
	v_sub_nc_u32_e32 v1, 29, v1
	v_lshlrev_b64 v[2:3], v2, v[24:25]
	v_and_b32_e32 v24, 7, v2
; %bb.254:                              ;   in Loop: Header=BB189_12 Depth=1
	s_or_b32 exec_lo, exec_lo, s23
	v_lshlrev_b32_e32 v0, 16, v0
	v_lshlrev_b32_e32 v2, 20, v24
	v_lshl_add_u32 v1, v1, 23, 0x3c000000
	v_and_b32_e32 v0, 0x80000000, v0
	v_or3_b32 v1, v2, v0, v1
	v_mov_b32_e32 v0, v25
	buffer_store_dword v0, off, s[0:3], s32 offset:448 ; 4-byte Folded Spill
	buffer_store_dword v1, off, s[0:3], s32 offset:452 ; 4-byte Folded Spill
.LBB189_255:                            ;   in Loop: Header=BB189_12 Depth=1
	s_or_b32 exec_lo, exec_lo, s22
.LBB189_256:                            ;   in Loop: Header=BB189_12 Depth=1
	s_or_b32 exec_lo, exec_lo, s21
.LBB189_257:                            ;   in Loop: Header=BB189_12 Depth=1
	s_or_b32 exec_lo, exec_lo, s20
	flat_load_ushort v1, v[27:28] offset:780
	s_waitcnt vmcnt(0) lgkmcnt(0)
	v_and_b32_e32 v0, 0xffff, v1
	v_cmp_ne_u16_sdwa s6, v1, v25 src0_sel:BYTE_0 src1_sel:DWORD
	v_mov_b32_e32 v1, 0
	v_mov_b32_e32 v2, 0
	buffer_store_dword v1, off, s[0:3], s32 offset:464 ; 4-byte Folded Spill
	buffer_store_dword v2, off, s[0:3], s32 offset:468 ; 4-byte Folded Spill
	v_mov_b32_e32 v1, 0
	v_mov_b32_e32 v2, 0
	buffer_store_dword v1, off, s[0:3], s32 offset:456 ; 4-byte Folded Spill
	buffer_store_dword v2, off, s[0:3], s32 offset:460 ; 4-byte Folded Spill
	s_and_saveexec_b32 s20, s6
	s_cbranch_execz .LBB189_265
; %bb.258:                              ;   in Loop: Header=BB189_12 Depth=1
	v_bfrev_b32_e32 v1, 1
	v_mov_b32_e32 v2, 0
	v_cmp_ne_u16_sdwa s6, v0, v6 src0_sel:BYTE_0 src1_sel:DWORD
	buffer_store_dword v1, off, s[0:3], s32 offset:456 ; 4-byte Folded Spill
	buffer_store_dword v2, off, s[0:3], s32 offset:460 ; 4-byte Folded Spill
	s_and_saveexec_b32 s21, s6
	s_cbranch_execz .LBB189_264
; %bb.259:                              ;   in Loop: Header=BB189_12 Depth=1
	v_mov_b32_e32 v3, 0x7f800001
	v_and_b32_e32 v2, 0x7f, v0
	v_mov_b32_e32 v4, 0
	s_mov_b32 s22, exec_lo
	buffer_store_dword v3, off, s[0:3], s32 offset:456 ; 4-byte Folded Spill
	buffer_store_dword v4, off, s[0:3], s32 offset:460 ; 4-byte Folded Spill
	v_cmpx_ne_u32_e32 0x7f, v2
	s_cbranch_execz .LBB189_263
; %bb.260:                              ;   in Loop: Header=BB189_12 Depth=1
	v_and_b32_e32 v24, 7, v0
	v_lshrrev_b32_e32 v1, 3, v2
	s_mov_b32 s23, exec_lo
	v_cmpx_gt_u32_e32 8, v2
; %bb.261:                              ;   in Loop: Header=BB189_12 Depth=1
	v_ffbh_u32_e32 v1, v24
	v_min_u32_e32 v1, 32, v1
	v_subrev_nc_u32_e32 v2, 28, v1
	v_sub_nc_u32_e32 v1, 29, v1
	v_lshlrev_b64 v[2:3], v2, v[24:25]
	v_and_b32_e32 v24, 7, v2
; %bb.262:                              ;   in Loop: Header=BB189_12 Depth=1
	s_or_b32 exec_lo, exec_lo, s23
	v_lshlrev_b32_e32 v2, 24, v0
	v_lshlrev_b32_e32 v3, 20, v24
	v_lshl_add_u32 v1, v1, 23, 0x3c000000
	v_and_b32_e32 v2, 0x80000000, v2
	v_or3_b32 v24, v3, v2, v1
	buffer_store_dword v24, off, s[0:3], s32 offset:456 ; 4-byte Folded Spill
	buffer_store_dword v25, off, s[0:3], s32 offset:460 ; 4-byte Folded Spill
.LBB189_263:                            ;   in Loop: Header=BB189_12 Depth=1
	s_or_b32 exec_lo, exec_lo, s22
.LBB189_264:                            ;   in Loop: Header=BB189_12 Depth=1
	s_or_b32 exec_lo, exec_lo, s21
.LBB189_265:                            ;   in Loop: Header=BB189_12 Depth=1
	s_or_b32 exec_lo, exec_lo, s20
	v_cmp_ne_u16_sdwa s6, v0, v25 src0_sel:BYTE_1 src1_sel:DWORD
	s_and_saveexec_b32 s20, s6
	s_cbranch_execz .LBB189_273
; %bb.266:                              ;   in Loop: Header=BB189_12 Depth=1
	v_mov_b32_e32 v114, v25
	v_cmp_ne_u16_sdwa s6, v0, v6 src0_sel:BYTE_1 src1_sel:DWORD
	buffer_store_dword v114, off, s[0:3], s32 offset:464 ; 4-byte Folded Spill
	buffer_store_dword v115, off, s[0:3], s32 offset:468 ; 4-byte Folded Spill
	s_and_saveexec_b32 s21, s6
	s_cbranch_execz .LBB189_272
; %bb.267:                              ;   in Loop: Header=BB189_12 Depth=1
	v_mov_b32_e32 v1, 0xffff
	v_mov_b32_e32 v37, v25
	s_mov_b32 s22, exec_lo
	buffer_store_dword v37, off, s[0:3], s32 offset:464 ; 4-byte Folded Spill
	buffer_store_dword v38, off, s[0:3], s32 offset:468 ; 4-byte Folded Spill
	v_and_b32_sdwa v1, v1, v0 dst_sel:DWORD dst_unused:UNUSED_PAD src0_sel:DWORD src1_sel:BYTE_1
	v_and_b32_e32 v2, 0x7f, v1
	v_cmpx_ne_u32_e32 0x7f, v2
	s_cbranch_execz .LBB189_271
; %bb.268:                              ;   in Loop: Header=BB189_12 Depth=1
	v_and_b32_e32 v24, 7, v1
	v_lshrrev_b32_e32 v1, 3, v2
	s_mov_b32 s23, exec_lo
	v_cmpx_gt_u32_e32 8, v2
; %bb.269:                              ;   in Loop: Header=BB189_12 Depth=1
	v_ffbh_u32_e32 v1, v24
	v_min_u32_e32 v1, 32, v1
	v_subrev_nc_u32_e32 v2, 28, v1
	v_sub_nc_u32_e32 v1, 29, v1
	v_lshlrev_b64 v[2:3], v2, v[24:25]
	v_and_b32_e32 v24, 7, v2
; %bb.270:                              ;   in Loop: Header=BB189_12 Depth=1
	s_or_b32 exec_lo, exec_lo, s23
	v_lshlrev_b32_e32 v0, 16, v0
	v_lshlrev_b32_e32 v2, 20, v24
	v_lshl_add_u32 v1, v1, 23, 0x3c000000
	v_and_b32_e32 v0, 0x80000000, v0
	v_or3_b32 v1, v2, v0, v1
	v_mov_b32_e32 v0, v25
	buffer_store_dword v0, off, s[0:3], s32 offset:464 ; 4-byte Folded Spill
	buffer_store_dword v1, off, s[0:3], s32 offset:468 ; 4-byte Folded Spill
.LBB189_271:                            ;   in Loop: Header=BB189_12 Depth=1
	s_or_b32 exec_lo, exec_lo, s22
.LBB189_272:                            ;   in Loop: Header=BB189_12 Depth=1
	s_or_b32 exec_lo, exec_lo, s21
.LBB189_273:                            ;   in Loop: Header=BB189_12 Depth=1
	s_or_b32 exec_lo, exec_lo, s20
	flat_load_ushort v1, v[27:28] offset:1024
	s_waitcnt vmcnt(0) lgkmcnt(0)
	v_and_b32_e32 v0, 0xffff, v1
	v_cmp_ne_u16_sdwa s6, v1, v25 src0_sel:BYTE_0 src1_sel:DWORD
	v_mov_b32_e32 v1, 0
	v_mov_b32_e32 v2, 0
	buffer_store_dword v1, off, s[0:3], s32 offset:480 ; 4-byte Folded Spill
	buffer_store_dword v2, off, s[0:3], s32 offset:484 ; 4-byte Folded Spill
	v_mov_b32_e32 v1, 0
	v_mov_b32_e32 v2, 0
	buffer_store_dword v1, off, s[0:3], s32 offset:472 ; 4-byte Folded Spill
	buffer_store_dword v2, off, s[0:3], s32 offset:476 ; 4-byte Folded Spill
	s_and_saveexec_b32 s20, s6
	s_cbranch_execz .LBB189_281
; %bb.274:                              ;   in Loop: Header=BB189_12 Depth=1
	v_bfrev_b32_e32 v1, 1
	v_mov_b32_e32 v2, 0
	v_cmp_ne_u16_sdwa s6, v0, v6 src0_sel:BYTE_0 src1_sel:DWORD
	buffer_store_dword v1, off, s[0:3], s32 offset:472 ; 4-byte Folded Spill
	buffer_store_dword v2, off, s[0:3], s32 offset:476 ; 4-byte Folded Spill
	s_and_saveexec_b32 s21, s6
	s_cbranch_execz .LBB189_280
; %bb.275:                              ;   in Loop: Header=BB189_12 Depth=1
	v_mov_b32_e32 v3, 0x7f800001
	v_and_b32_e32 v2, 0x7f, v0
	v_mov_b32_e32 v4, 0
	s_mov_b32 s22, exec_lo
	buffer_store_dword v3, off, s[0:3], s32 offset:472 ; 4-byte Folded Spill
	buffer_store_dword v4, off, s[0:3], s32 offset:476 ; 4-byte Folded Spill
	v_cmpx_ne_u32_e32 0x7f, v2
	s_cbranch_execz .LBB189_279
; %bb.276:                              ;   in Loop: Header=BB189_12 Depth=1
	v_and_b32_e32 v24, 7, v0
	v_lshrrev_b32_e32 v1, 3, v2
	s_mov_b32 s23, exec_lo
	v_cmpx_gt_u32_e32 8, v2
; %bb.277:                              ;   in Loop: Header=BB189_12 Depth=1
	v_ffbh_u32_e32 v1, v24
	v_min_u32_e32 v1, 32, v1
	v_subrev_nc_u32_e32 v2, 28, v1
	v_sub_nc_u32_e32 v1, 29, v1
	v_lshlrev_b64 v[2:3], v2, v[24:25]
	v_and_b32_e32 v24, 7, v2
; %bb.278:                              ;   in Loop: Header=BB189_12 Depth=1
	s_or_b32 exec_lo, exec_lo, s23
	v_lshlrev_b32_e32 v2, 24, v0
	v_lshlrev_b32_e32 v3, 20, v24
	v_lshl_add_u32 v1, v1, 23, 0x3c000000
	v_and_b32_e32 v2, 0x80000000, v2
	v_or3_b32 v24, v3, v2, v1
	buffer_store_dword v24, off, s[0:3], s32 offset:472 ; 4-byte Folded Spill
	buffer_store_dword v25, off, s[0:3], s32 offset:476 ; 4-byte Folded Spill
.LBB189_279:                            ;   in Loop: Header=BB189_12 Depth=1
	s_or_b32 exec_lo, exec_lo, s22
.LBB189_280:                            ;   in Loop: Header=BB189_12 Depth=1
	s_or_b32 exec_lo, exec_lo, s21
.LBB189_281:                            ;   in Loop: Header=BB189_12 Depth=1
	s_or_b32 exec_lo, exec_lo, s20
	v_cmp_ne_u16_sdwa s6, v0, v25 src0_sel:BYTE_1 src1_sel:DWORD
	s_and_saveexec_b32 s20, s6
	s_cbranch_execz .LBB189_289
; %bb.282:                              ;   in Loop: Header=BB189_12 Depth=1
	v_mov_b32_e32 v114, v25
	v_cmp_ne_u16_sdwa s6, v0, v6 src0_sel:BYTE_1 src1_sel:DWORD
	buffer_store_dword v114, off, s[0:3], s32 offset:480 ; 4-byte Folded Spill
	buffer_store_dword v115, off, s[0:3], s32 offset:484 ; 4-byte Folded Spill
	s_and_saveexec_b32 s21, s6
	s_cbranch_execz .LBB189_288
; %bb.283:                              ;   in Loop: Header=BB189_12 Depth=1
	v_mov_b32_e32 v1, 0xffff
	v_mov_b32_e32 v37, v25
	s_mov_b32 s22, exec_lo
	buffer_store_dword v37, off, s[0:3], s32 offset:480 ; 4-byte Folded Spill
	buffer_store_dword v38, off, s[0:3], s32 offset:484 ; 4-byte Folded Spill
	v_and_b32_sdwa v1, v1, v0 dst_sel:DWORD dst_unused:UNUSED_PAD src0_sel:DWORD src1_sel:BYTE_1
	v_and_b32_e32 v2, 0x7f, v1
	v_cmpx_ne_u32_e32 0x7f, v2
	s_cbranch_execz .LBB189_287
; %bb.284:                              ;   in Loop: Header=BB189_12 Depth=1
	v_and_b32_e32 v24, 7, v1
	v_lshrrev_b32_e32 v1, 3, v2
	s_mov_b32 s23, exec_lo
	v_cmpx_gt_u32_e32 8, v2
; %bb.285:                              ;   in Loop: Header=BB189_12 Depth=1
	v_ffbh_u32_e32 v1, v24
	v_min_u32_e32 v1, 32, v1
	v_subrev_nc_u32_e32 v2, 28, v1
	v_sub_nc_u32_e32 v1, 29, v1
	v_lshlrev_b64 v[2:3], v2, v[24:25]
	v_and_b32_e32 v24, 7, v2
; %bb.286:                              ;   in Loop: Header=BB189_12 Depth=1
	s_or_b32 exec_lo, exec_lo, s23
	v_lshlrev_b32_e32 v0, 16, v0
	v_lshlrev_b32_e32 v2, 20, v24
	v_lshl_add_u32 v1, v1, 23, 0x3c000000
	v_and_b32_e32 v0, 0x80000000, v0
	v_or3_b32 v1, v2, v0, v1
	v_mov_b32_e32 v0, v25
	buffer_store_dword v0, off, s[0:3], s32 offset:480 ; 4-byte Folded Spill
	buffer_store_dword v1, off, s[0:3], s32 offset:484 ; 4-byte Folded Spill
.LBB189_287:                            ;   in Loop: Header=BB189_12 Depth=1
	s_or_b32 exec_lo, exec_lo, s22
.LBB189_288:                            ;   in Loop: Header=BB189_12 Depth=1
	s_or_b32 exec_lo, exec_lo, s21
.LBB189_289:                            ;   in Loop: Header=BB189_12 Depth=1
	s_or_b32 exec_lo, exec_lo, s20
	flat_load_ushort v1, v[27:28] offset:1028
	s_waitcnt vmcnt(0) lgkmcnt(0)
	v_and_b32_e32 v0, 0xffff, v1
	v_cmp_ne_u16_sdwa s6, v1, v25 src0_sel:BYTE_0 src1_sel:DWORD
	v_mov_b32_e32 v1, 0
	v_mov_b32_e32 v2, 0
	buffer_store_dword v1, off, s[0:3], s32 offset:496 ; 4-byte Folded Spill
	buffer_store_dword v2, off, s[0:3], s32 offset:500 ; 4-byte Folded Spill
	v_mov_b32_e32 v1, 0
	v_mov_b32_e32 v2, 0
	buffer_store_dword v1, off, s[0:3], s32 offset:488 ; 4-byte Folded Spill
	buffer_store_dword v2, off, s[0:3], s32 offset:492 ; 4-byte Folded Spill
	s_and_saveexec_b32 s20, s6
	s_cbranch_execz .LBB189_297
; %bb.290:                              ;   in Loop: Header=BB189_12 Depth=1
	v_bfrev_b32_e32 v1, 1
	v_mov_b32_e32 v2, 0
	v_cmp_ne_u16_sdwa s6, v0, v6 src0_sel:BYTE_0 src1_sel:DWORD
	buffer_store_dword v1, off, s[0:3], s32 offset:488 ; 4-byte Folded Spill
	buffer_store_dword v2, off, s[0:3], s32 offset:492 ; 4-byte Folded Spill
	s_and_saveexec_b32 s21, s6
	s_cbranch_execz .LBB189_296
; %bb.291:                              ;   in Loop: Header=BB189_12 Depth=1
	v_mov_b32_e32 v3, 0x7f800001
	v_and_b32_e32 v2, 0x7f, v0
	v_mov_b32_e32 v4, 0
	s_mov_b32 s22, exec_lo
	buffer_store_dword v3, off, s[0:3], s32 offset:488 ; 4-byte Folded Spill
	buffer_store_dword v4, off, s[0:3], s32 offset:492 ; 4-byte Folded Spill
	v_cmpx_ne_u32_e32 0x7f, v2
	s_cbranch_execz .LBB189_295
; %bb.292:                              ;   in Loop: Header=BB189_12 Depth=1
	v_and_b32_e32 v24, 7, v0
	v_lshrrev_b32_e32 v1, 3, v2
	s_mov_b32 s23, exec_lo
	v_cmpx_gt_u32_e32 8, v2
; %bb.293:                              ;   in Loop: Header=BB189_12 Depth=1
	v_ffbh_u32_e32 v1, v24
	v_min_u32_e32 v1, 32, v1
	v_subrev_nc_u32_e32 v2, 28, v1
	v_sub_nc_u32_e32 v1, 29, v1
	v_lshlrev_b64 v[2:3], v2, v[24:25]
	v_and_b32_e32 v24, 7, v2
; %bb.294:                              ;   in Loop: Header=BB189_12 Depth=1
	s_or_b32 exec_lo, exec_lo, s23
	v_lshlrev_b32_e32 v2, 24, v0
	v_lshlrev_b32_e32 v3, 20, v24
	v_lshl_add_u32 v1, v1, 23, 0x3c000000
	v_and_b32_e32 v2, 0x80000000, v2
	v_or3_b32 v24, v3, v2, v1
	buffer_store_dword v24, off, s[0:3], s32 offset:488 ; 4-byte Folded Spill
	buffer_store_dword v25, off, s[0:3], s32 offset:492 ; 4-byte Folded Spill
.LBB189_295:                            ;   in Loop: Header=BB189_12 Depth=1
	s_or_b32 exec_lo, exec_lo, s22
.LBB189_296:                            ;   in Loop: Header=BB189_12 Depth=1
	s_or_b32 exec_lo, exec_lo, s21
.LBB189_297:                            ;   in Loop: Header=BB189_12 Depth=1
	s_or_b32 exec_lo, exec_lo, s20
	v_cmp_ne_u16_sdwa s6, v0, v25 src0_sel:BYTE_1 src1_sel:DWORD
	s_and_saveexec_b32 s20, s6
	s_cbranch_execz .LBB189_305
; %bb.298:                              ;   in Loop: Header=BB189_12 Depth=1
	v_mov_b32_e32 v114, v25
	v_cmp_ne_u16_sdwa s6, v0, v6 src0_sel:BYTE_1 src1_sel:DWORD
	buffer_store_dword v114, off, s[0:3], s32 offset:496 ; 4-byte Folded Spill
	buffer_store_dword v115, off, s[0:3], s32 offset:500 ; 4-byte Folded Spill
	s_and_saveexec_b32 s21, s6
	s_cbranch_execz .LBB189_304
; %bb.299:                              ;   in Loop: Header=BB189_12 Depth=1
	v_mov_b32_e32 v1, 0xffff
	v_mov_b32_e32 v37, v25
	s_mov_b32 s22, exec_lo
	buffer_store_dword v37, off, s[0:3], s32 offset:496 ; 4-byte Folded Spill
	buffer_store_dword v38, off, s[0:3], s32 offset:500 ; 4-byte Folded Spill
	v_and_b32_sdwa v1, v1, v0 dst_sel:DWORD dst_unused:UNUSED_PAD src0_sel:DWORD src1_sel:BYTE_1
	v_and_b32_e32 v2, 0x7f, v1
	v_cmpx_ne_u32_e32 0x7f, v2
	s_cbranch_execz .LBB189_303
; %bb.300:                              ;   in Loop: Header=BB189_12 Depth=1
	v_and_b32_e32 v24, 7, v1
	v_lshrrev_b32_e32 v1, 3, v2
	s_mov_b32 s23, exec_lo
	v_cmpx_gt_u32_e32 8, v2
; %bb.301:                              ;   in Loop: Header=BB189_12 Depth=1
	v_ffbh_u32_e32 v1, v24
	v_min_u32_e32 v1, 32, v1
	v_subrev_nc_u32_e32 v2, 28, v1
	v_sub_nc_u32_e32 v1, 29, v1
	v_lshlrev_b64 v[2:3], v2, v[24:25]
	v_and_b32_e32 v24, 7, v2
; %bb.302:                              ;   in Loop: Header=BB189_12 Depth=1
	s_or_b32 exec_lo, exec_lo, s23
	v_lshlrev_b32_e32 v0, 16, v0
	v_lshlrev_b32_e32 v2, 20, v24
	v_lshl_add_u32 v1, v1, 23, 0x3c000000
	v_and_b32_e32 v0, 0x80000000, v0
	v_or3_b32 v1, v2, v0, v1
	v_mov_b32_e32 v0, v25
	buffer_store_dword v0, off, s[0:3], s32 offset:496 ; 4-byte Folded Spill
	buffer_store_dword v1, off, s[0:3], s32 offset:500 ; 4-byte Folded Spill
.LBB189_303:                            ;   in Loop: Header=BB189_12 Depth=1
	s_or_b32 exec_lo, exec_lo, s22
.LBB189_304:                            ;   in Loop: Header=BB189_12 Depth=1
	s_or_b32 exec_lo, exec_lo, s21
.LBB189_305:                            ;   in Loop: Header=BB189_12 Depth=1
	s_or_b32 exec_lo, exec_lo, s20
	flat_load_ushort v1, v[27:28] offset:1032
	s_waitcnt vmcnt(0) lgkmcnt(0)
	v_and_b32_e32 v0, 0xffff, v1
	v_cmp_ne_u16_sdwa s6, v1, v25 src0_sel:BYTE_0 src1_sel:DWORD
	v_mov_b32_e32 v1, 0
	v_mov_b32_e32 v2, 0
	buffer_store_dword v1, off, s[0:3], s32 offset:512 ; 4-byte Folded Spill
	buffer_store_dword v2, off, s[0:3], s32 offset:516 ; 4-byte Folded Spill
	v_mov_b32_e32 v1, 0
	v_mov_b32_e32 v2, 0
	buffer_store_dword v1, off, s[0:3], s32 offset:504 ; 4-byte Folded Spill
	buffer_store_dword v2, off, s[0:3], s32 offset:508 ; 4-byte Folded Spill
	s_and_saveexec_b32 s20, s6
	s_cbranch_execz .LBB189_313
; %bb.306:                              ;   in Loop: Header=BB189_12 Depth=1
	v_bfrev_b32_e32 v1, 1
	v_mov_b32_e32 v2, 0
	v_cmp_ne_u16_sdwa s6, v0, v6 src0_sel:BYTE_0 src1_sel:DWORD
	buffer_store_dword v1, off, s[0:3], s32 offset:504 ; 4-byte Folded Spill
	buffer_store_dword v2, off, s[0:3], s32 offset:508 ; 4-byte Folded Spill
	s_and_saveexec_b32 s21, s6
	s_cbranch_execz .LBB189_312
; %bb.307:                              ;   in Loop: Header=BB189_12 Depth=1
	v_mov_b32_e32 v3, 0x7f800001
	v_and_b32_e32 v2, 0x7f, v0
	v_mov_b32_e32 v4, 0
	s_mov_b32 s22, exec_lo
	buffer_store_dword v3, off, s[0:3], s32 offset:504 ; 4-byte Folded Spill
	buffer_store_dword v4, off, s[0:3], s32 offset:508 ; 4-byte Folded Spill
	v_cmpx_ne_u32_e32 0x7f, v2
	s_cbranch_execz .LBB189_311
; %bb.308:                              ;   in Loop: Header=BB189_12 Depth=1
	v_and_b32_e32 v24, 7, v0
	v_lshrrev_b32_e32 v1, 3, v2
	s_mov_b32 s23, exec_lo
	v_cmpx_gt_u32_e32 8, v2
; %bb.309:                              ;   in Loop: Header=BB189_12 Depth=1
	v_ffbh_u32_e32 v1, v24
	v_min_u32_e32 v1, 32, v1
	v_subrev_nc_u32_e32 v2, 28, v1
	v_sub_nc_u32_e32 v1, 29, v1
	v_lshlrev_b64 v[2:3], v2, v[24:25]
	v_and_b32_e32 v24, 7, v2
; %bb.310:                              ;   in Loop: Header=BB189_12 Depth=1
	s_or_b32 exec_lo, exec_lo, s23
	v_lshlrev_b32_e32 v2, 24, v0
	v_lshlrev_b32_e32 v3, 20, v24
	v_lshl_add_u32 v1, v1, 23, 0x3c000000
	v_and_b32_e32 v2, 0x80000000, v2
	v_or3_b32 v24, v3, v2, v1
	buffer_store_dword v24, off, s[0:3], s32 offset:504 ; 4-byte Folded Spill
	buffer_store_dword v25, off, s[0:3], s32 offset:508 ; 4-byte Folded Spill
.LBB189_311:                            ;   in Loop: Header=BB189_12 Depth=1
	s_or_b32 exec_lo, exec_lo, s22
.LBB189_312:                            ;   in Loop: Header=BB189_12 Depth=1
	s_or_b32 exec_lo, exec_lo, s21
.LBB189_313:                            ;   in Loop: Header=BB189_12 Depth=1
	s_or_b32 exec_lo, exec_lo, s20
	v_cmp_ne_u16_sdwa s6, v0, v25 src0_sel:BYTE_1 src1_sel:DWORD
	s_and_saveexec_b32 s20, s6
	s_cbranch_execz .LBB189_321
; %bb.314:                              ;   in Loop: Header=BB189_12 Depth=1
	v_mov_b32_e32 v114, v25
	v_cmp_ne_u16_sdwa s6, v0, v6 src0_sel:BYTE_1 src1_sel:DWORD
	buffer_store_dword v114, off, s[0:3], s32 offset:512 ; 4-byte Folded Spill
	buffer_store_dword v115, off, s[0:3], s32 offset:516 ; 4-byte Folded Spill
	s_and_saveexec_b32 s21, s6
	s_cbranch_execz .LBB189_320
; %bb.315:                              ;   in Loop: Header=BB189_12 Depth=1
	v_mov_b32_e32 v1, 0xffff
	v_mov_b32_e32 v37, v25
	s_mov_b32 s22, exec_lo
	buffer_store_dword v37, off, s[0:3], s32 offset:512 ; 4-byte Folded Spill
	buffer_store_dword v38, off, s[0:3], s32 offset:516 ; 4-byte Folded Spill
	v_and_b32_sdwa v1, v1, v0 dst_sel:DWORD dst_unused:UNUSED_PAD src0_sel:DWORD src1_sel:BYTE_1
	v_and_b32_e32 v2, 0x7f, v1
	v_cmpx_ne_u32_e32 0x7f, v2
	s_cbranch_execz .LBB189_319
; %bb.316:                              ;   in Loop: Header=BB189_12 Depth=1
	v_and_b32_e32 v24, 7, v1
	v_lshrrev_b32_e32 v1, 3, v2
	s_mov_b32 s23, exec_lo
	v_cmpx_gt_u32_e32 8, v2
; %bb.317:                              ;   in Loop: Header=BB189_12 Depth=1
	v_ffbh_u32_e32 v1, v24
	v_min_u32_e32 v1, 32, v1
	v_subrev_nc_u32_e32 v2, 28, v1
	v_sub_nc_u32_e32 v1, 29, v1
	v_lshlrev_b64 v[2:3], v2, v[24:25]
	v_and_b32_e32 v24, 7, v2
; %bb.318:                              ;   in Loop: Header=BB189_12 Depth=1
	s_or_b32 exec_lo, exec_lo, s23
	v_lshlrev_b32_e32 v0, 16, v0
	v_lshlrev_b32_e32 v2, 20, v24
	v_lshl_add_u32 v1, v1, 23, 0x3c000000
	v_and_b32_e32 v0, 0x80000000, v0
	v_or3_b32 v1, v2, v0, v1
	v_mov_b32_e32 v0, v25
	buffer_store_dword v0, off, s[0:3], s32 offset:512 ; 4-byte Folded Spill
	buffer_store_dword v1, off, s[0:3], s32 offset:516 ; 4-byte Folded Spill
.LBB189_319:                            ;   in Loop: Header=BB189_12 Depth=1
	s_or_b32 exec_lo, exec_lo, s22
.LBB189_320:                            ;   in Loop: Header=BB189_12 Depth=1
	s_or_b32 exec_lo, exec_lo, s21
.LBB189_321:                            ;   in Loop: Header=BB189_12 Depth=1
	s_or_b32 exec_lo, exec_lo, s20
	flat_load_ushort v1, v[27:28] offset:1036
	s_waitcnt vmcnt(0) lgkmcnt(0)
	v_and_b32_e32 v0, 0xffff, v1
	v_cmp_ne_u16_sdwa s6, v1, v25 src0_sel:BYTE_0 src1_sel:DWORD
	v_mov_b32_e32 v1, 0
	v_mov_b32_e32 v2, 0
	buffer_store_dword v1, off, s[0:3], s32 offset:528 ; 4-byte Folded Spill
	buffer_store_dword v2, off, s[0:3], s32 offset:532 ; 4-byte Folded Spill
	v_mov_b32_e32 v1, 0
	v_mov_b32_e32 v2, 0
	buffer_store_dword v1, off, s[0:3], s32 offset:520 ; 4-byte Folded Spill
	buffer_store_dword v2, off, s[0:3], s32 offset:524 ; 4-byte Folded Spill
	s_and_saveexec_b32 s20, s6
	s_cbranch_execz .LBB189_329
; %bb.322:                              ;   in Loop: Header=BB189_12 Depth=1
	v_bfrev_b32_e32 v1, 1
	v_mov_b32_e32 v2, 0
	v_cmp_ne_u16_sdwa s6, v0, v6 src0_sel:BYTE_0 src1_sel:DWORD
	buffer_store_dword v1, off, s[0:3], s32 offset:520 ; 4-byte Folded Spill
	buffer_store_dword v2, off, s[0:3], s32 offset:524 ; 4-byte Folded Spill
	s_and_saveexec_b32 s21, s6
	s_cbranch_execz .LBB189_328
; %bb.323:                              ;   in Loop: Header=BB189_12 Depth=1
	v_mov_b32_e32 v3, 0x7f800001
	v_and_b32_e32 v2, 0x7f, v0
	v_mov_b32_e32 v4, 0
	s_mov_b32 s22, exec_lo
	buffer_store_dword v3, off, s[0:3], s32 offset:520 ; 4-byte Folded Spill
	buffer_store_dword v4, off, s[0:3], s32 offset:524 ; 4-byte Folded Spill
	v_cmpx_ne_u32_e32 0x7f, v2
	s_cbranch_execz .LBB189_327
; %bb.324:                              ;   in Loop: Header=BB189_12 Depth=1
	v_and_b32_e32 v24, 7, v0
	v_lshrrev_b32_e32 v1, 3, v2
	s_mov_b32 s23, exec_lo
	v_cmpx_gt_u32_e32 8, v2
; %bb.325:                              ;   in Loop: Header=BB189_12 Depth=1
	v_ffbh_u32_e32 v1, v24
	v_min_u32_e32 v1, 32, v1
	v_subrev_nc_u32_e32 v2, 28, v1
	v_sub_nc_u32_e32 v1, 29, v1
	v_lshlrev_b64 v[2:3], v2, v[24:25]
	v_and_b32_e32 v24, 7, v2
; %bb.326:                              ;   in Loop: Header=BB189_12 Depth=1
	s_or_b32 exec_lo, exec_lo, s23
	v_lshlrev_b32_e32 v2, 24, v0
	v_lshlrev_b32_e32 v3, 20, v24
	v_lshl_add_u32 v1, v1, 23, 0x3c000000
	v_and_b32_e32 v2, 0x80000000, v2
	v_or3_b32 v24, v3, v2, v1
	buffer_store_dword v24, off, s[0:3], s32 offset:520 ; 4-byte Folded Spill
	buffer_store_dword v25, off, s[0:3], s32 offset:524 ; 4-byte Folded Spill
.LBB189_327:                            ;   in Loop: Header=BB189_12 Depth=1
	s_or_b32 exec_lo, exec_lo, s22
.LBB189_328:                            ;   in Loop: Header=BB189_12 Depth=1
	s_or_b32 exec_lo, exec_lo, s21
.LBB189_329:                            ;   in Loop: Header=BB189_12 Depth=1
	s_or_b32 exec_lo, exec_lo, s20
	v_cmp_ne_u16_sdwa s6, v0, v25 src0_sel:BYTE_1 src1_sel:DWORD
	s_and_saveexec_b32 s20, s6
	s_cbranch_execz .LBB189_337
; %bb.330:                              ;   in Loop: Header=BB189_12 Depth=1
	v_mov_b32_e32 v114, v25
	v_cmp_ne_u16_sdwa s6, v0, v6 src0_sel:BYTE_1 src1_sel:DWORD
	buffer_store_dword v114, off, s[0:3], s32 offset:528 ; 4-byte Folded Spill
	buffer_store_dword v115, off, s[0:3], s32 offset:532 ; 4-byte Folded Spill
	s_and_saveexec_b32 s21, s6
	s_cbranch_execz .LBB189_336
; %bb.331:                              ;   in Loop: Header=BB189_12 Depth=1
	v_mov_b32_e32 v1, 0xffff
	v_mov_b32_e32 v37, v25
	s_mov_b32 s22, exec_lo
	buffer_store_dword v37, off, s[0:3], s32 offset:528 ; 4-byte Folded Spill
	buffer_store_dword v38, off, s[0:3], s32 offset:532 ; 4-byte Folded Spill
	v_and_b32_sdwa v1, v1, v0 dst_sel:DWORD dst_unused:UNUSED_PAD src0_sel:DWORD src1_sel:BYTE_1
	v_and_b32_e32 v2, 0x7f, v1
	v_cmpx_ne_u32_e32 0x7f, v2
	s_cbranch_execz .LBB189_335
; %bb.332:                              ;   in Loop: Header=BB189_12 Depth=1
	v_and_b32_e32 v24, 7, v1
	v_lshrrev_b32_e32 v1, 3, v2
	s_mov_b32 s23, exec_lo
	v_cmpx_gt_u32_e32 8, v2
; %bb.333:                              ;   in Loop: Header=BB189_12 Depth=1
	v_ffbh_u32_e32 v1, v24
	v_min_u32_e32 v1, 32, v1
	v_subrev_nc_u32_e32 v2, 28, v1
	v_sub_nc_u32_e32 v1, 29, v1
	v_lshlrev_b64 v[2:3], v2, v[24:25]
	v_and_b32_e32 v24, 7, v2
; %bb.334:                              ;   in Loop: Header=BB189_12 Depth=1
	s_or_b32 exec_lo, exec_lo, s23
	v_lshlrev_b32_e32 v0, 16, v0
	v_lshlrev_b32_e32 v2, 20, v24
	v_lshl_add_u32 v1, v1, 23, 0x3c000000
	v_and_b32_e32 v0, 0x80000000, v0
	v_or3_b32 v1, v2, v0, v1
	v_mov_b32_e32 v0, v25
	buffer_store_dword v0, off, s[0:3], s32 offset:528 ; 4-byte Folded Spill
	buffer_store_dword v1, off, s[0:3], s32 offset:532 ; 4-byte Folded Spill
.LBB189_335:                            ;   in Loop: Header=BB189_12 Depth=1
	s_or_b32 exec_lo, exec_lo, s22
.LBB189_336:                            ;   in Loop: Header=BB189_12 Depth=1
	s_or_b32 exec_lo, exec_lo, s21
.LBB189_337:                            ;   in Loop: Header=BB189_12 Depth=1
	s_or_b32 exec_lo, exec_lo, s20
	flat_load_ushort v1, v[27:28] offset:1280
	s_waitcnt vmcnt(0) lgkmcnt(0)
	v_and_b32_e32 v0, 0xffff, v1
	v_cmp_ne_u16_sdwa s6, v1, v25 src0_sel:BYTE_0 src1_sel:DWORD
	v_mov_b32_e32 v1, 0
	v_mov_b32_e32 v2, 0
	buffer_store_dword v1, off, s[0:3], s32 offset:544 ; 4-byte Folded Spill
	buffer_store_dword v2, off, s[0:3], s32 offset:548 ; 4-byte Folded Spill
	v_mov_b32_e32 v1, 0
	v_mov_b32_e32 v2, 0
	buffer_store_dword v1, off, s[0:3], s32 offset:536 ; 4-byte Folded Spill
	buffer_store_dword v2, off, s[0:3], s32 offset:540 ; 4-byte Folded Spill
	s_and_saveexec_b32 s20, s6
	s_cbranch_execz .LBB189_345
; %bb.338:                              ;   in Loop: Header=BB189_12 Depth=1
	v_bfrev_b32_e32 v1, 1
	v_mov_b32_e32 v2, 0
	v_cmp_ne_u16_sdwa s6, v0, v6 src0_sel:BYTE_0 src1_sel:DWORD
	buffer_store_dword v1, off, s[0:3], s32 offset:536 ; 4-byte Folded Spill
	buffer_store_dword v2, off, s[0:3], s32 offset:540 ; 4-byte Folded Spill
	s_and_saveexec_b32 s21, s6
	s_cbranch_execz .LBB189_344
; %bb.339:                              ;   in Loop: Header=BB189_12 Depth=1
	v_mov_b32_e32 v3, 0x7f800001
	v_and_b32_e32 v2, 0x7f, v0
	v_mov_b32_e32 v4, 0
	s_mov_b32 s22, exec_lo
	buffer_store_dword v3, off, s[0:3], s32 offset:536 ; 4-byte Folded Spill
	buffer_store_dword v4, off, s[0:3], s32 offset:540 ; 4-byte Folded Spill
	v_cmpx_ne_u32_e32 0x7f, v2
	s_cbranch_execz .LBB189_343
; %bb.340:                              ;   in Loop: Header=BB189_12 Depth=1
	v_and_b32_e32 v24, 7, v0
	v_lshrrev_b32_e32 v1, 3, v2
	s_mov_b32 s23, exec_lo
	v_cmpx_gt_u32_e32 8, v2
; %bb.341:                              ;   in Loop: Header=BB189_12 Depth=1
	v_ffbh_u32_e32 v1, v24
	v_min_u32_e32 v1, 32, v1
	v_subrev_nc_u32_e32 v2, 28, v1
	v_sub_nc_u32_e32 v1, 29, v1
	v_lshlrev_b64 v[2:3], v2, v[24:25]
	v_and_b32_e32 v24, 7, v2
; %bb.342:                              ;   in Loop: Header=BB189_12 Depth=1
	s_or_b32 exec_lo, exec_lo, s23
	v_lshlrev_b32_e32 v2, 24, v0
	v_lshlrev_b32_e32 v3, 20, v24
	v_lshl_add_u32 v1, v1, 23, 0x3c000000
	v_and_b32_e32 v2, 0x80000000, v2
	v_or3_b32 v24, v3, v2, v1
	buffer_store_dword v24, off, s[0:3], s32 offset:536 ; 4-byte Folded Spill
	buffer_store_dword v25, off, s[0:3], s32 offset:540 ; 4-byte Folded Spill
.LBB189_343:                            ;   in Loop: Header=BB189_12 Depth=1
	s_or_b32 exec_lo, exec_lo, s22
.LBB189_344:                            ;   in Loop: Header=BB189_12 Depth=1
	s_or_b32 exec_lo, exec_lo, s21
.LBB189_345:                            ;   in Loop: Header=BB189_12 Depth=1
	s_or_b32 exec_lo, exec_lo, s20
	v_cmp_ne_u16_sdwa s6, v0, v25 src0_sel:BYTE_1 src1_sel:DWORD
	s_and_saveexec_b32 s20, s6
	s_cbranch_execz .LBB189_353
; %bb.346:                              ;   in Loop: Header=BB189_12 Depth=1
	v_mov_b32_e32 v114, v25
	v_cmp_ne_u16_sdwa s6, v0, v6 src0_sel:BYTE_1 src1_sel:DWORD
	buffer_store_dword v114, off, s[0:3], s32 offset:544 ; 4-byte Folded Spill
	buffer_store_dword v115, off, s[0:3], s32 offset:548 ; 4-byte Folded Spill
	s_and_saveexec_b32 s21, s6
	s_cbranch_execz .LBB189_352
; %bb.347:                              ;   in Loop: Header=BB189_12 Depth=1
	v_mov_b32_e32 v1, 0xffff
	v_mov_b32_e32 v37, v25
	s_mov_b32 s22, exec_lo
	buffer_store_dword v37, off, s[0:3], s32 offset:544 ; 4-byte Folded Spill
	buffer_store_dword v38, off, s[0:3], s32 offset:548 ; 4-byte Folded Spill
	v_and_b32_sdwa v1, v1, v0 dst_sel:DWORD dst_unused:UNUSED_PAD src0_sel:DWORD src1_sel:BYTE_1
	v_and_b32_e32 v2, 0x7f, v1
	v_cmpx_ne_u32_e32 0x7f, v2
	s_cbranch_execz .LBB189_351
; %bb.348:                              ;   in Loop: Header=BB189_12 Depth=1
	v_and_b32_e32 v24, 7, v1
	v_lshrrev_b32_e32 v1, 3, v2
	s_mov_b32 s23, exec_lo
	v_cmpx_gt_u32_e32 8, v2
; %bb.349:                              ;   in Loop: Header=BB189_12 Depth=1
	v_ffbh_u32_e32 v1, v24
	v_min_u32_e32 v1, 32, v1
	v_subrev_nc_u32_e32 v2, 28, v1
	v_sub_nc_u32_e32 v1, 29, v1
	v_lshlrev_b64 v[2:3], v2, v[24:25]
	v_and_b32_e32 v24, 7, v2
; %bb.350:                              ;   in Loop: Header=BB189_12 Depth=1
	s_or_b32 exec_lo, exec_lo, s23
	v_lshlrev_b32_e32 v0, 16, v0
	v_lshlrev_b32_e32 v2, 20, v24
	v_lshl_add_u32 v1, v1, 23, 0x3c000000
	v_and_b32_e32 v0, 0x80000000, v0
	v_or3_b32 v1, v2, v0, v1
	v_mov_b32_e32 v0, v25
	buffer_store_dword v0, off, s[0:3], s32 offset:544 ; 4-byte Folded Spill
	buffer_store_dword v1, off, s[0:3], s32 offset:548 ; 4-byte Folded Spill
.LBB189_351:                            ;   in Loop: Header=BB189_12 Depth=1
	s_or_b32 exec_lo, exec_lo, s22
.LBB189_352:                            ;   in Loop: Header=BB189_12 Depth=1
	s_or_b32 exec_lo, exec_lo, s21
.LBB189_353:                            ;   in Loop: Header=BB189_12 Depth=1
	s_or_b32 exec_lo, exec_lo, s20
	flat_load_ushort v1, v[27:28] offset:1284
	s_waitcnt vmcnt(0) lgkmcnt(0)
	v_and_b32_e32 v0, 0xffff, v1
	v_cmp_ne_u16_sdwa s6, v1, v25 src0_sel:BYTE_0 src1_sel:DWORD
	v_mov_b32_e32 v1, 0
	v_mov_b32_e32 v2, 0
	buffer_store_dword v1, off, s[0:3], s32 offset:560 ; 4-byte Folded Spill
	buffer_store_dword v2, off, s[0:3], s32 offset:564 ; 4-byte Folded Spill
	v_mov_b32_e32 v1, 0
	v_mov_b32_e32 v2, 0
	buffer_store_dword v1, off, s[0:3], s32 offset:552 ; 4-byte Folded Spill
	buffer_store_dword v2, off, s[0:3], s32 offset:556 ; 4-byte Folded Spill
	s_and_saveexec_b32 s20, s6
	s_cbranch_execz .LBB189_361
; %bb.354:                              ;   in Loop: Header=BB189_12 Depth=1
	v_bfrev_b32_e32 v1, 1
	v_mov_b32_e32 v2, 0
	v_cmp_ne_u16_sdwa s6, v0, v6 src0_sel:BYTE_0 src1_sel:DWORD
	buffer_store_dword v1, off, s[0:3], s32 offset:552 ; 4-byte Folded Spill
	buffer_store_dword v2, off, s[0:3], s32 offset:556 ; 4-byte Folded Spill
	s_and_saveexec_b32 s21, s6
	s_cbranch_execz .LBB189_360
; %bb.355:                              ;   in Loop: Header=BB189_12 Depth=1
	v_mov_b32_e32 v3, 0x7f800001
	v_and_b32_e32 v2, 0x7f, v0
	v_mov_b32_e32 v4, 0
	s_mov_b32 s22, exec_lo
	buffer_store_dword v3, off, s[0:3], s32 offset:552 ; 4-byte Folded Spill
	buffer_store_dword v4, off, s[0:3], s32 offset:556 ; 4-byte Folded Spill
	v_cmpx_ne_u32_e32 0x7f, v2
	s_cbranch_execz .LBB189_359
; %bb.356:                              ;   in Loop: Header=BB189_12 Depth=1
	v_and_b32_e32 v24, 7, v0
	v_lshrrev_b32_e32 v1, 3, v2
	s_mov_b32 s23, exec_lo
	v_cmpx_gt_u32_e32 8, v2
; %bb.357:                              ;   in Loop: Header=BB189_12 Depth=1
	v_ffbh_u32_e32 v1, v24
	v_min_u32_e32 v1, 32, v1
	v_subrev_nc_u32_e32 v2, 28, v1
	v_sub_nc_u32_e32 v1, 29, v1
	v_lshlrev_b64 v[2:3], v2, v[24:25]
	v_and_b32_e32 v24, 7, v2
; %bb.358:                              ;   in Loop: Header=BB189_12 Depth=1
	s_or_b32 exec_lo, exec_lo, s23
	v_lshlrev_b32_e32 v2, 24, v0
	v_lshlrev_b32_e32 v3, 20, v24
	v_lshl_add_u32 v1, v1, 23, 0x3c000000
	v_and_b32_e32 v2, 0x80000000, v2
	v_or3_b32 v24, v3, v2, v1
	buffer_store_dword v24, off, s[0:3], s32 offset:552 ; 4-byte Folded Spill
	buffer_store_dword v25, off, s[0:3], s32 offset:556 ; 4-byte Folded Spill
.LBB189_359:                            ;   in Loop: Header=BB189_12 Depth=1
	s_or_b32 exec_lo, exec_lo, s22
.LBB189_360:                            ;   in Loop: Header=BB189_12 Depth=1
	s_or_b32 exec_lo, exec_lo, s21
.LBB189_361:                            ;   in Loop: Header=BB189_12 Depth=1
	s_or_b32 exec_lo, exec_lo, s20
	v_cmp_ne_u16_sdwa s6, v0, v25 src0_sel:BYTE_1 src1_sel:DWORD
	s_and_saveexec_b32 s20, s6
	s_cbranch_execz .LBB189_369
; %bb.362:                              ;   in Loop: Header=BB189_12 Depth=1
	v_mov_b32_e32 v114, v25
	v_cmp_ne_u16_sdwa s6, v0, v6 src0_sel:BYTE_1 src1_sel:DWORD
	buffer_store_dword v114, off, s[0:3], s32 offset:560 ; 4-byte Folded Spill
	buffer_store_dword v115, off, s[0:3], s32 offset:564 ; 4-byte Folded Spill
	s_and_saveexec_b32 s21, s6
	s_cbranch_execz .LBB189_368
; %bb.363:                              ;   in Loop: Header=BB189_12 Depth=1
	v_mov_b32_e32 v1, 0xffff
	v_mov_b32_e32 v37, v25
	s_mov_b32 s22, exec_lo
	buffer_store_dword v37, off, s[0:3], s32 offset:560 ; 4-byte Folded Spill
	buffer_store_dword v38, off, s[0:3], s32 offset:564 ; 4-byte Folded Spill
	v_and_b32_sdwa v1, v1, v0 dst_sel:DWORD dst_unused:UNUSED_PAD src0_sel:DWORD src1_sel:BYTE_1
	v_and_b32_e32 v2, 0x7f, v1
	v_cmpx_ne_u32_e32 0x7f, v2
	s_cbranch_execz .LBB189_367
; %bb.364:                              ;   in Loop: Header=BB189_12 Depth=1
	v_and_b32_e32 v24, 7, v1
	v_lshrrev_b32_e32 v1, 3, v2
	s_mov_b32 s23, exec_lo
	v_cmpx_gt_u32_e32 8, v2
; %bb.365:                              ;   in Loop: Header=BB189_12 Depth=1
	v_ffbh_u32_e32 v1, v24
	v_min_u32_e32 v1, 32, v1
	v_subrev_nc_u32_e32 v2, 28, v1
	v_sub_nc_u32_e32 v1, 29, v1
	v_lshlrev_b64 v[2:3], v2, v[24:25]
	v_and_b32_e32 v24, 7, v2
; %bb.366:                              ;   in Loop: Header=BB189_12 Depth=1
	s_or_b32 exec_lo, exec_lo, s23
	v_lshlrev_b32_e32 v0, 16, v0
	v_lshlrev_b32_e32 v2, 20, v24
	v_lshl_add_u32 v1, v1, 23, 0x3c000000
	v_and_b32_e32 v0, 0x80000000, v0
	v_or3_b32 v1, v2, v0, v1
	v_mov_b32_e32 v0, v25
	buffer_store_dword v0, off, s[0:3], s32 offset:560 ; 4-byte Folded Spill
	buffer_store_dword v1, off, s[0:3], s32 offset:564 ; 4-byte Folded Spill
.LBB189_367:                            ;   in Loop: Header=BB189_12 Depth=1
	s_or_b32 exec_lo, exec_lo, s22
.LBB189_368:                            ;   in Loop: Header=BB189_12 Depth=1
	s_or_b32 exec_lo, exec_lo, s21
.LBB189_369:                            ;   in Loop: Header=BB189_12 Depth=1
	s_or_b32 exec_lo, exec_lo, s20
	flat_load_ushort v1, v[27:28] offset:1288
	s_waitcnt vmcnt(0) lgkmcnt(0)
	v_and_b32_e32 v0, 0xffff, v1
	v_cmp_ne_u16_sdwa s6, v1, v25 src0_sel:BYTE_0 src1_sel:DWORD
	v_mov_b32_e32 v1, 0
	v_mov_b32_e32 v2, 0
	buffer_store_dword v1, off, s[0:3], s32 offset:576 ; 4-byte Folded Spill
	buffer_store_dword v2, off, s[0:3], s32 offset:580 ; 4-byte Folded Spill
	v_mov_b32_e32 v1, 0
	v_mov_b32_e32 v2, 0
	buffer_store_dword v1, off, s[0:3], s32 offset:568 ; 4-byte Folded Spill
	buffer_store_dword v2, off, s[0:3], s32 offset:572 ; 4-byte Folded Spill
	s_and_saveexec_b32 s20, s6
	s_cbranch_execz .LBB189_377
; %bb.370:                              ;   in Loop: Header=BB189_12 Depth=1
	v_bfrev_b32_e32 v1, 1
	v_mov_b32_e32 v2, 0
	v_cmp_ne_u16_sdwa s6, v0, v6 src0_sel:BYTE_0 src1_sel:DWORD
	buffer_store_dword v1, off, s[0:3], s32 offset:568 ; 4-byte Folded Spill
	buffer_store_dword v2, off, s[0:3], s32 offset:572 ; 4-byte Folded Spill
	s_and_saveexec_b32 s21, s6
	s_cbranch_execz .LBB189_376
; %bb.371:                              ;   in Loop: Header=BB189_12 Depth=1
	v_mov_b32_e32 v3, 0x7f800001
	v_and_b32_e32 v2, 0x7f, v0
	v_mov_b32_e32 v4, 0
	s_mov_b32 s22, exec_lo
	buffer_store_dword v3, off, s[0:3], s32 offset:568 ; 4-byte Folded Spill
	buffer_store_dword v4, off, s[0:3], s32 offset:572 ; 4-byte Folded Spill
	v_cmpx_ne_u32_e32 0x7f, v2
	s_cbranch_execz .LBB189_375
; %bb.372:                              ;   in Loop: Header=BB189_12 Depth=1
	v_and_b32_e32 v24, 7, v0
	v_lshrrev_b32_e32 v1, 3, v2
	s_mov_b32 s23, exec_lo
	v_cmpx_gt_u32_e32 8, v2
; %bb.373:                              ;   in Loop: Header=BB189_12 Depth=1
	v_ffbh_u32_e32 v1, v24
	v_min_u32_e32 v1, 32, v1
	v_subrev_nc_u32_e32 v2, 28, v1
	v_sub_nc_u32_e32 v1, 29, v1
	v_lshlrev_b64 v[2:3], v2, v[24:25]
	v_and_b32_e32 v24, 7, v2
; %bb.374:                              ;   in Loop: Header=BB189_12 Depth=1
	s_or_b32 exec_lo, exec_lo, s23
	v_lshlrev_b32_e32 v2, 24, v0
	v_lshlrev_b32_e32 v3, 20, v24
	v_lshl_add_u32 v1, v1, 23, 0x3c000000
	v_and_b32_e32 v2, 0x80000000, v2
	v_or3_b32 v24, v3, v2, v1
	buffer_store_dword v24, off, s[0:3], s32 offset:568 ; 4-byte Folded Spill
	buffer_store_dword v25, off, s[0:3], s32 offset:572 ; 4-byte Folded Spill
.LBB189_375:                            ;   in Loop: Header=BB189_12 Depth=1
	s_or_b32 exec_lo, exec_lo, s22
.LBB189_376:                            ;   in Loop: Header=BB189_12 Depth=1
	s_or_b32 exec_lo, exec_lo, s21
.LBB189_377:                            ;   in Loop: Header=BB189_12 Depth=1
	s_or_b32 exec_lo, exec_lo, s20
	v_cmp_ne_u16_sdwa s6, v0, v25 src0_sel:BYTE_1 src1_sel:DWORD
	s_and_saveexec_b32 s20, s6
	s_cbranch_execz .LBB189_385
; %bb.378:                              ;   in Loop: Header=BB189_12 Depth=1
	v_mov_b32_e32 v114, v25
	v_cmp_ne_u16_sdwa s6, v0, v6 src0_sel:BYTE_1 src1_sel:DWORD
	buffer_store_dword v114, off, s[0:3], s32 offset:576 ; 4-byte Folded Spill
	buffer_store_dword v115, off, s[0:3], s32 offset:580 ; 4-byte Folded Spill
	s_and_saveexec_b32 s21, s6
	s_cbranch_execz .LBB189_384
; %bb.379:                              ;   in Loop: Header=BB189_12 Depth=1
	v_mov_b32_e32 v1, 0xffff
	v_mov_b32_e32 v37, v25
	s_mov_b32 s22, exec_lo
	buffer_store_dword v37, off, s[0:3], s32 offset:576 ; 4-byte Folded Spill
	buffer_store_dword v38, off, s[0:3], s32 offset:580 ; 4-byte Folded Spill
	v_and_b32_sdwa v1, v1, v0 dst_sel:DWORD dst_unused:UNUSED_PAD src0_sel:DWORD src1_sel:BYTE_1
	v_and_b32_e32 v2, 0x7f, v1
	v_cmpx_ne_u32_e32 0x7f, v2
	s_cbranch_execz .LBB189_383
; %bb.380:                              ;   in Loop: Header=BB189_12 Depth=1
	v_and_b32_e32 v24, 7, v1
	v_lshrrev_b32_e32 v1, 3, v2
	s_mov_b32 s23, exec_lo
	v_cmpx_gt_u32_e32 8, v2
; %bb.381:                              ;   in Loop: Header=BB189_12 Depth=1
	v_ffbh_u32_e32 v1, v24
	v_min_u32_e32 v1, 32, v1
	v_subrev_nc_u32_e32 v2, 28, v1
	v_sub_nc_u32_e32 v1, 29, v1
	v_lshlrev_b64 v[2:3], v2, v[24:25]
	v_and_b32_e32 v24, 7, v2
; %bb.382:                              ;   in Loop: Header=BB189_12 Depth=1
	s_or_b32 exec_lo, exec_lo, s23
	v_lshlrev_b32_e32 v0, 16, v0
	v_lshlrev_b32_e32 v2, 20, v24
	v_lshl_add_u32 v1, v1, 23, 0x3c000000
	v_and_b32_e32 v0, 0x80000000, v0
	v_or3_b32 v1, v2, v0, v1
	v_mov_b32_e32 v0, v25
	buffer_store_dword v0, off, s[0:3], s32 offset:576 ; 4-byte Folded Spill
	buffer_store_dword v1, off, s[0:3], s32 offset:580 ; 4-byte Folded Spill
.LBB189_383:                            ;   in Loop: Header=BB189_12 Depth=1
	s_or_b32 exec_lo, exec_lo, s22
.LBB189_384:                            ;   in Loop: Header=BB189_12 Depth=1
	s_or_b32 exec_lo, exec_lo, s21
.LBB189_385:                            ;   in Loop: Header=BB189_12 Depth=1
	s_or_b32 exec_lo, exec_lo, s20
	flat_load_ushort v1, v[27:28] offset:1292
	s_waitcnt vmcnt(0) lgkmcnt(0)
	v_and_b32_e32 v0, 0xffff, v1
	v_cmp_ne_u16_sdwa s6, v1, v25 src0_sel:BYTE_0 src1_sel:DWORD
	v_mov_b32_e32 v1, 0
	v_mov_b32_e32 v2, 0
	buffer_store_dword v1, off, s[0:3], s32 offset:592 ; 4-byte Folded Spill
	buffer_store_dword v2, off, s[0:3], s32 offset:596 ; 4-byte Folded Spill
	v_mov_b32_e32 v1, 0
	v_mov_b32_e32 v2, 0
	buffer_store_dword v1, off, s[0:3], s32 offset:584 ; 4-byte Folded Spill
	buffer_store_dword v2, off, s[0:3], s32 offset:588 ; 4-byte Folded Spill
	s_and_saveexec_b32 s20, s6
	s_cbranch_execz .LBB189_393
; %bb.386:                              ;   in Loop: Header=BB189_12 Depth=1
	v_bfrev_b32_e32 v1, 1
	v_mov_b32_e32 v2, 0
	v_cmp_ne_u16_sdwa s6, v0, v6 src0_sel:BYTE_0 src1_sel:DWORD
	buffer_store_dword v1, off, s[0:3], s32 offset:584 ; 4-byte Folded Spill
	buffer_store_dword v2, off, s[0:3], s32 offset:588 ; 4-byte Folded Spill
	s_and_saveexec_b32 s21, s6
	s_cbranch_execz .LBB189_392
; %bb.387:                              ;   in Loop: Header=BB189_12 Depth=1
	v_mov_b32_e32 v3, 0x7f800001
	v_and_b32_e32 v2, 0x7f, v0
	v_mov_b32_e32 v4, 0
	s_mov_b32 s22, exec_lo
	buffer_store_dword v3, off, s[0:3], s32 offset:584 ; 4-byte Folded Spill
	buffer_store_dword v4, off, s[0:3], s32 offset:588 ; 4-byte Folded Spill
	v_cmpx_ne_u32_e32 0x7f, v2
	s_cbranch_execz .LBB189_391
; %bb.388:                              ;   in Loop: Header=BB189_12 Depth=1
	v_and_b32_e32 v24, 7, v0
	v_lshrrev_b32_e32 v1, 3, v2
	s_mov_b32 s23, exec_lo
	v_cmpx_gt_u32_e32 8, v2
; %bb.389:                              ;   in Loop: Header=BB189_12 Depth=1
	v_ffbh_u32_e32 v1, v24
	v_min_u32_e32 v1, 32, v1
	v_subrev_nc_u32_e32 v2, 28, v1
	v_sub_nc_u32_e32 v1, 29, v1
	v_lshlrev_b64 v[2:3], v2, v[24:25]
	v_and_b32_e32 v24, 7, v2
; %bb.390:                              ;   in Loop: Header=BB189_12 Depth=1
	s_or_b32 exec_lo, exec_lo, s23
	v_lshlrev_b32_e32 v2, 24, v0
	v_lshlrev_b32_e32 v3, 20, v24
	v_lshl_add_u32 v1, v1, 23, 0x3c000000
	v_and_b32_e32 v2, 0x80000000, v2
	v_or3_b32 v24, v3, v2, v1
	buffer_store_dword v24, off, s[0:3], s32 offset:584 ; 4-byte Folded Spill
	buffer_store_dword v25, off, s[0:3], s32 offset:588 ; 4-byte Folded Spill
.LBB189_391:                            ;   in Loop: Header=BB189_12 Depth=1
	s_or_b32 exec_lo, exec_lo, s22
.LBB189_392:                            ;   in Loop: Header=BB189_12 Depth=1
	s_or_b32 exec_lo, exec_lo, s21
.LBB189_393:                            ;   in Loop: Header=BB189_12 Depth=1
	s_or_b32 exec_lo, exec_lo, s20
	v_cmp_ne_u16_sdwa s6, v0, v25 src0_sel:BYTE_1 src1_sel:DWORD
	s_and_saveexec_b32 s20, s6
	s_cbranch_execz .LBB189_401
; %bb.394:                              ;   in Loop: Header=BB189_12 Depth=1
	v_mov_b32_e32 v114, v25
	v_cmp_ne_u16_sdwa s6, v0, v6 src0_sel:BYTE_1 src1_sel:DWORD
	buffer_store_dword v114, off, s[0:3], s32 offset:592 ; 4-byte Folded Spill
	buffer_store_dword v115, off, s[0:3], s32 offset:596 ; 4-byte Folded Spill
	s_and_saveexec_b32 s21, s6
	s_cbranch_execz .LBB189_400
; %bb.395:                              ;   in Loop: Header=BB189_12 Depth=1
	v_mov_b32_e32 v1, 0xffff
	v_mov_b32_e32 v37, v25
	s_mov_b32 s22, exec_lo
	buffer_store_dword v37, off, s[0:3], s32 offset:592 ; 4-byte Folded Spill
	buffer_store_dword v38, off, s[0:3], s32 offset:596 ; 4-byte Folded Spill
	v_and_b32_sdwa v1, v1, v0 dst_sel:DWORD dst_unused:UNUSED_PAD src0_sel:DWORD src1_sel:BYTE_1
	v_and_b32_e32 v2, 0x7f, v1
	v_cmpx_ne_u32_e32 0x7f, v2
	s_cbranch_execz .LBB189_399
; %bb.396:                              ;   in Loop: Header=BB189_12 Depth=1
	v_and_b32_e32 v24, 7, v1
	v_lshrrev_b32_e32 v1, 3, v2
	s_mov_b32 s23, exec_lo
	v_cmpx_gt_u32_e32 8, v2
; %bb.397:                              ;   in Loop: Header=BB189_12 Depth=1
	v_ffbh_u32_e32 v1, v24
	v_min_u32_e32 v1, 32, v1
	v_subrev_nc_u32_e32 v2, 28, v1
	v_sub_nc_u32_e32 v1, 29, v1
	v_lshlrev_b64 v[2:3], v2, v[24:25]
	v_and_b32_e32 v24, 7, v2
; %bb.398:                              ;   in Loop: Header=BB189_12 Depth=1
	s_or_b32 exec_lo, exec_lo, s23
	v_lshlrev_b32_e32 v0, 16, v0
	v_lshlrev_b32_e32 v2, 20, v24
	v_lshl_add_u32 v1, v1, 23, 0x3c000000
	v_and_b32_e32 v0, 0x80000000, v0
	v_or3_b32 v1, v2, v0, v1
	v_mov_b32_e32 v0, v25
	buffer_store_dword v0, off, s[0:3], s32 offset:592 ; 4-byte Folded Spill
	buffer_store_dword v1, off, s[0:3], s32 offset:596 ; 4-byte Folded Spill
.LBB189_399:                            ;   in Loop: Header=BB189_12 Depth=1
	s_or_b32 exec_lo, exec_lo, s22
.LBB189_400:                            ;   in Loop: Header=BB189_12 Depth=1
	s_or_b32 exec_lo, exec_lo, s21
.LBB189_401:                            ;   in Loop: Header=BB189_12 Depth=1
	s_or_b32 exec_lo, exec_lo, s20
	flat_load_ushort v1, v[27:28] offset:1536
	s_waitcnt vmcnt(0) lgkmcnt(0)
	v_and_b32_e32 v0, 0xffff, v1
	v_cmp_ne_u16_sdwa s6, v1, v25 src0_sel:BYTE_0 src1_sel:DWORD
	v_mov_b32_e32 v1, 0
	v_mov_b32_e32 v2, 0
	buffer_store_dword v1, off, s[0:3], s32 offset:608 ; 4-byte Folded Spill
	buffer_store_dword v2, off, s[0:3], s32 offset:612 ; 4-byte Folded Spill
	v_mov_b32_e32 v1, 0
	v_mov_b32_e32 v2, 0
	buffer_store_dword v1, off, s[0:3], s32 offset:600 ; 4-byte Folded Spill
	buffer_store_dword v2, off, s[0:3], s32 offset:604 ; 4-byte Folded Spill
	s_and_saveexec_b32 s20, s6
	s_cbranch_execz .LBB189_409
; %bb.402:                              ;   in Loop: Header=BB189_12 Depth=1
	v_bfrev_b32_e32 v1, 1
	v_mov_b32_e32 v2, 0
	v_cmp_ne_u16_sdwa s6, v0, v6 src0_sel:BYTE_0 src1_sel:DWORD
	buffer_store_dword v1, off, s[0:3], s32 offset:600 ; 4-byte Folded Spill
	buffer_store_dword v2, off, s[0:3], s32 offset:604 ; 4-byte Folded Spill
	s_and_saveexec_b32 s21, s6
	s_cbranch_execz .LBB189_408
; %bb.403:                              ;   in Loop: Header=BB189_12 Depth=1
	v_mov_b32_e32 v3, 0x7f800001
	v_and_b32_e32 v2, 0x7f, v0
	v_mov_b32_e32 v4, 0
	s_mov_b32 s22, exec_lo
	buffer_store_dword v3, off, s[0:3], s32 offset:600 ; 4-byte Folded Spill
	buffer_store_dword v4, off, s[0:3], s32 offset:604 ; 4-byte Folded Spill
	v_cmpx_ne_u32_e32 0x7f, v2
	s_cbranch_execz .LBB189_407
; %bb.404:                              ;   in Loop: Header=BB189_12 Depth=1
	v_and_b32_e32 v24, 7, v0
	v_lshrrev_b32_e32 v1, 3, v2
	s_mov_b32 s23, exec_lo
	v_cmpx_gt_u32_e32 8, v2
; %bb.405:                              ;   in Loop: Header=BB189_12 Depth=1
	v_ffbh_u32_e32 v1, v24
	v_min_u32_e32 v1, 32, v1
	v_subrev_nc_u32_e32 v2, 28, v1
	v_sub_nc_u32_e32 v1, 29, v1
	v_lshlrev_b64 v[2:3], v2, v[24:25]
	v_and_b32_e32 v24, 7, v2
; %bb.406:                              ;   in Loop: Header=BB189_12 Depth=1
	s_or_b32 exec_lo, exec_lo, s23
	v_lshlrev_b32_e32 v2, 24, v0
	v_lshlrev_b32_e32 v3, 20, v24
	v_lshl_add_u32 v1, v1, 23, 0x3c000000
	v_and_b32_e32 v2, 0x80000000, v2
	v_or3_b32 v24, v3, v2, v1
	buffer_store_dword v24, off, s[0:3], s32 offset:600 ; 4-byte Folded Spill
	buffer_store_dword v25, off, s[0:3], s32 offset:604 ; 4-byte Folded Spill
.LBB189_407:                            ;   in Loop: Header=BB189_12 Depth=1
	s_or_b32 exec_lo, exec_lo, s22
.LBB189_408:                            ;   in Loop: Header=BB189_12 Depth=1
	s_or_b32 exec_lo, exec_lo, s21
.LBB189_409:                            ;   in Loop: Header=BB189_12 Depth=1
	s_or_b32 exec_lo, exec_lo, s20
	v_cmp_ne_u16_sdwa s6, v0, v25 src0_sel:BYTE_1 src1_sel:DWORD
	s_and_saveexec_b32 s20, s6
	s_cbranch_execz .LBB189_417
; %bb.410:                              ;   in Loop: Header=BB189_12 Depth=1
	v_mov_b32_e32 v114, v25
	v_cmp_ne_u16_sdwa s6, v0, v6 src0_sel:BYTE_1 src1_sel:DWORD
	buffer_store_dword v114, off, s[0:3], s32 offset:608 ; 4-byte Folded Spill
	buffer_store_dword v115, off, s[0:3], s32 offset:612 ; 4-byte Folded Spill
	s_and_saveexec_b32 s21, s6
	s_cbranch_execz .LBB189_416
; %bb.411:                              ;   in Loop: Header=BB189_12 Depth=1
	v_mov_b32_e32 v1, 0xffff
	v_mov_b32_e32 v37, v25
	s_mov_b32 s22, exec_lo
	buffer_store_dword v37, off, s[0:3], s32 offset:608 ; 4-byte Folded Spill
	buffer_store_dword v38, off, s[0:3], s32 offset:612 ; 4-byte Folded Spill
	v_and_b32_sdwa v1, v1, v0 dst_sel:DWORD dst_unused:UNUSED_PAD src0_sel:DWORD src1_sel:BYTE_1
	v_and_b32_e32 v2, 0x7f, v1
	v_cmpx_ne_u32_e32 0x7f, v2
	s_cbranch_execz .LBB189_415
; %bb.412:                              ;   in Loop: Header=BB189_12 Depth=1
	v_and_b32_e32 v24, 7, v1
	v_lshrrev_b32_e32 v1, 3, v2
	s_mov_b32 s23, exec_lo
	v_cmpx_gt_u32_e32 8, v2
; %bb.413:                              ;   in Loop: Header=BB189_12 Depth=1
	v_ffbh_u32_e32 v1, v24
	v_min_u32_e32 v1, 32, v1
	v_subrev_nc_u32_e32 v2, 28, v1
	v_sub_nc_u32_e32 v1, 29, v1
	v_lshlrev_b64 v[2:3], v2, v[24:25]
	v_and_b32_e32 v24, 7, v2
; %bb.414:                              ;   in Loop: Header=BB189_12 Depth=1
	s_or_b32 exec_lo, exec_lo, s23
	v_lshlrev_b32_e32 v0, 16, v0
	v_lshlrev_b32_e32 v2, 20, v24
	v_lshl_add_u32 v1, v1, 23, 0x3c000000
	v_and_b32_e32 v0, 0x80000000, v0
	v_or3_b32 v1, v2, v0, v1
	v_mov_b32_e32 v0, v25
	buffer_store_dword v0, off, s[0:3], s32 offset:608 ; 4-byte Folded Spill
	buffer_store_dword v1, off, s[0:3], s32 offset:612 ; 4-byte Folded Spill
.LBB189_415:                            ;   in Loop: Header=BB189_12 Depth=1
	s_or_b32 exec_lo, exec_lo, s22
.LBB189_416:                            ;   in Loop: Header=BB189_12 Depth=1
	s_or_b32 exec_lo, exec_lo, s21
.LBB189_417:                            ;   in Loop: Header=BB189_12 Depth=1
	s_or_b32 exec_lo, exec_lo, s20
	flat_load_ushort v1, v[27:28] offset:1540
	s_waitcnt vmcnt(0) lgkmcnt(0)
	v_and_b32_e32 v0, 0xffff, v1
	v_cmp_ne_u16_sdwa s6, v1, v25 src0_sel:BYTE_0 src1_sel:DWORD
	v_mov_b32_e32 v1, 0
	v_mov_b32_e32 v2, 0
	buffer_store_dword v1, off, s[0:3], s32 offset:624 ; 4-byte Folded Spill
	buffer_store_dword v2, off, s[0:3], s32 offset:628 ; 4-byte Folded Spill
	v_mov_b32_e32 v1, 0
	v_mov_b32_e32 v2, 0
	buffer_store_dword v1, off, s[0:3], s32 offset:616 ; 4-byte Folded Spill
	buffer_store_dword v2, off, s[0:3], s32 offset:620 ; 4-byte Folded Spill
	s_and_saveexec_b32 s20, s6
	s_cbranch_execz .LBB189_425
; %bb.418:                              ;   in Loop: Header=BB189_12 Depth=1
	v_bfrev_b32_e32 v1, 1
	v_mov_b32_e32 v2, 0
	v_cmp_ne_u16_sdwa s6, v0, v6 src0_sel:BYTE_0 src1_sel:DWORD
	buffer_store_dword v1, off, s[0:3], s32 offset:616 ; 4-byte Folded Spill
	buffer_store_dword v2, off, s[0:3], s32 offset:620 ; 4-byte Folded Spill
	s_and_saveexec_b32 s21, s6
	s_cbranch_execz .LBB189_424
; %bb.419:                              ;   in Loop: Header=BB189_12 Depth=1
	v_mov_b32_e32 v3, 0x7f800001
	v_and_b32_e32 v2, 0x7f, v0
	v_mov_b32_e32 v4, 0
	s_mov_b32 s22, exec_lo
	buffer_store_dword v3, off, s[0:3], s32 offset:616 ; 4-byte Folded Spill
	buffer_store_dword v4, off, s[0:3], s32 offset:620 ; 4-byte Folded Spill
	v_cmpx_ne_u32_e32 0x7f, v2
	s_cbranch_execz .LBB189_423
; %bb.420:                              ;   in Loop: Header=BB189_12 Depth=1
	v_and_b32_e32 v24, 7, v0
	v_lshrrev_b32_e32 v1, 3, v2
	s_mov_b32 s23, exec_lo
	v_cmpx_gt_u32_e32 8, v2
; %bb.421:                              ;   in Loop: Header=BB189_12 Depth=1
	v_ffbh_u32_e32 v1, v24
	v_min_u32_e32 v1, 32, v1
	v_subrev_nc_u32_e32 v2, 28, v1
	v_sub_nc_u32_e32 v1, 29, v1
	v_lshlrev_b64 v[2:3], v2, v[24:25]
	v_and_b32_e32 v24, 7, v2
; %bb.422:                              ;   in Loop: Header=BB189_12 Depth=1
	s_or_b32 exec_lo, exec_lo, s23
	v_lshlrev_b32_e32 v2, 24, v0
	v_lshlrev_b32_e32 v3, 20, v24
	v_lshl_add_u32 v1, v1, 23, 0x3c000000
	v_and_b32_e32 v2, 0x80000000, v2
	v_or3_b32 v24, v3, v2, v1
	buffer_store_dword v24, off, s[0:3], s32 offset:616 ; 4-byte Folded Spill
	buffer_store_dword v25, off, s[0:3], s32 offset:620 ; 4-byte Folded Spill
.LBB189_423:                            ;   in Loop: Header=BB189_12 Depth=1
	s_or_b32 exec_lo, exec_lo, s22
.LBB189_424:                            ;   in Loop: Header=BB189_12 Depth=1
	s_or_b32 exec_lo, exec_lo, s21
.LBB189_425:                            ;   in Loop: Header=BB189_12 Depth=1
	s_or_b32 exec_lo, exec_lo, s20
	v_cmp_ne_u16_sdwa s6, v0, v25 src0_sel:BYTE_1 src1_sel:DWORD
	s_and_saveexec_b32 s20, s6
	s_cbranch_execz .LBB189_433
; %bb.426:                              ;   in Loop: Header=BB189_12 Depth=1
	v_mov_b32_e32 v114, v25
	v_cmp_ne_u16_sdwa s6, v0, v6 src0_sel:BYTE_1 src1_sel:DWORD
	buffer_store_dword v114, off, s[0:3], s32 offset:624 ; 4-byte Folded Spill
	buffer_store_dword v115, off, s[0:3], s32 offset:628 ; 4-byte Folded Spill
	s_and_saveexec_b32 s21, s6
	s_cbranch_execz .LBB189_432
; %bb.427:                              ;   in Loop: Header=BB189_12 Depth=1
	v_mov_b32_e32 v1, 0xffff
	v_mov_b32_e32 v37, v25
	s_mov_b32 s22, exec_lo
	buffer_store_dword v37, off, s[0:3], s32 offset:624 ; 4-byte Folded Spill
	buffer_store_dword v38, off, s[0:3], s32 offset:628 ; 4-byte Folded Spill
	v_and_b32_sdwa v1, v1, v0 dst_sel:DWORD dst_unused:UNUSED_PAD src0_sel:DWORD src1_sel:BYTE_1
	v_and_b32_e32 v2, 0x7f, v1
	v_cmpx_ne_u32_e32 0x7f, v2
	s_cbranch_execz .LBB189_431
; %bb.428:                              ;   in Loop: Header=BB189_12 Depth=1
	v_and_b32_e32 v24, 7, v1
	v_lshrrev_b32_e32 v1, 3, v2
	s_mov_b32 s23, exec_lo
	v_cmpx_gt_u32_e32 8, v2
; %bb.429:                              ;   in Loop: Header=BB189_12 Depth=1
	v_ffbh_u32_e32 v1, v24
	v_min_u32_e32 v1, 32, v1
	v_subrev_nc_u32_e32 v2, 28, v1
	v_sub_nc_u32_e32 v1, 29, v1
	v_lshlrev_b64 v[2:3], v2, v[24:25]
	v_and_b32_e32 v24, 7, v2
; %bb.430:                              ;   in Loop: Header=BB189_12 Depth=1
	s_or_b32 exec_lo, exec_lo, s23
	v_lshlrev_b32_e32 v0, 16, v0
	v_lshlrev_b32_e32 v2, 20, v24
	v_lshl_add_u32 v1, v1, 23, 0x3c000000
	v_and_b32_e32 v0, 0x80000000, v0
	v_or3_b32 v1, v2, v0, v1
	v_mov_b32_e32 v0, v25
	buffer_store_dword v0, off, s[0:3], s32 offset:624 ; 4-byte Folded Spill
	buffer_store_dword v1, off, s[0:3], s32 offset:628 ; 4-byte Folded Spill
.LBB189_431:                            ;   in Loop: Header=BB189_12 Depth=1
	s_or_b32 exec_lo, exec_lo, s22
.LBB189_432:                            ;   in Loop: Header=BB189_12 Depth=1
	s_or_b32 exec_lo, exec_lo, s21
.LBB189_433:                            ;   in Loop: Header=BB189_12 Depth=1
	s_or_b32 exec_lo, exec_lo, s20
	flat_load_ushort v1, v[27:28] offset:1544
	s_waitcnt vmcnt(0) lgkmcnt(0)
	v_and_b32_e32 v0, 0xffff, v1
	v_cmp_ne_u16_sdwa s6, v1, v25 src0_sel:BYTE_0 src1_sel:DWORD
	v_mov_b32_e32 v1, 0
	v_mov_b32_e32 v2, 0
	buffer_store_dword v1, off, s[0:3], s32 offset:640 ; 4-byte Folded Spill
	buffer_store_dword v2, off, s[0:3], s32 offset:644 ; 4-byte Folded Spill
	v_mov_b32_e32 v1, 0
	v_mov_b32_e32 v2, 0
	buffer_store_dword v1, off, s[0:3], s32 offset:632 ; 4-byte Folded Spill
	buffer_store_dword v2, off, s[0:3], s32 offset:636 ; 4-byte Folded Spill
	s_and_saveexec_b32 s20, s6
	s_cbranch_execz .LBB189_441
; %bb.434:                              ;   in Loop: Header=BB189_12 Depth=1
	v_bfrev_b32_e32 v1, 1
	v_mov_b32_e32 v2, 0
	v_cmp_ne_u16_sdwa s6, v0, v6 src0_sel:BYTE_0 src1_sel:DWORD
	buffer_store_dword v1, off, s[0:3], s32 offset:632 ; 4-byte Folded Spill
	buffer_store_dword v2, off, s[0:3], s32 offset:636 ; 4-byte Folded Spill
	s_and_saveexec_b32 s21, s6
	s_cbranch_execz .LBB189_440
; %bb.435:                              ;   in Loop: Header=BB189_12 Depth=1
	v_mov_b32_e32 v3, 0x7f800001
	v_and_b32_e32 v2, 0x7f, v0
	v_mov_b32_e32 v4, 0
	s_mov_b32 s22, exec_lo
	buffer_store_dword v3, off, s[0:3], s32 offset:632 ; 4-byte Folded Spill
	buffer_store_dword v4, off, s[0:3], s32 offset:636 ; 4-byte Folded Spill
	v_cmpx_ne_u32_e32 0x7f, v2
	s_cbranch_execz .LBB189_439
; %bb.436:                              ;   in Loop: Header=BB189_12 Depth=1
	v_and_b32_e32 v24, 7, v0
	v_lshrrev_b32_e32 v1, 3, v2
	s_mov_b32 s23, exec_lo
	v_cmpx_gt_u32_e32 8, v2
; %bb.437:                              ;   in Loop: Header=BB189_12 Depth=1
	v_ffbh_u32_e32 v1, v24
	v_min_u32_e32 v1, 32, v1
	v_subrev_nc_u32_e32 v2, 28, v1
	v_sub_nc_u32_e32 v1, 29, v1
	v_lshlrev_b64 v[2:3], v2, v[24:25]
	v_and_b32_e32 v24, 7, v2
; %bb.438:                              ;   in Loop: Header=BB189_12 Depth=1
	s_or_b32 exec_lo, exec_lo, s23
	v_lshlrev_b32_e32 v2, 24, v0
	v_lshlrev_b32_e32 v3, 20, v24
	v_lshl_add_u32 v1, v1, 23, 0x3c000000
	v_and_b32_e32 v2, 0x80000000, v2
	v_or3_b32 v24, v3, v2, v1
	buffer_store_dword v24, off, s[0:3], s32 offset:632 ; 4-byte Folded Spill
	buffer_store_dword v25, off, s[0:3], s32 offset:636 ; 4-byte Folded Spill
.LBB189_439:                            ;   in Loop: Header=BB189_12 Depth=1
	s_or_b32 exec_lo, exec_lo, s22
.LBB189_440:                            ;   in Loop: Header=BB189_12 Depth=1
	s_or_b32 exec_lo, exec_lo, s21
.LBB189_441:                            ;   in Loop: Header=BB189_12 Depth=1
	s_or_b32 exec_lo, exec_lo, s20
	v_cmp_ne_u16_sdwa s6, v0, v25 src0_sel:BYTE_1 src1_sel:DWORD
	s_and_saveexec_b32 s20, s6
	s_cbranch_execz .LBB189_449
; %bb.442:                              ;   in Loop: Header=BB189_12 Depth=1
	v_mov_b32_e32 v114, v25
	v_cmp_ne_u16_sdwa s6, v0, v6 src0_sel:BYTE_1 src1_sel:DWORD
	buffer_store_dword v114, off, s[0:3], s32 offset:640 ; 4-byte Folded Spill
	buffer_store_dword v115, off, s[0:3], s32 offset:644 ; 4-byte Folded Spill
	s_and_saveexec_b32 s21, s6
	s_cbranch_execz .LBB189_448
; %bb.443:                              ;   in Loop: Header=BB189_12 Depth=1
	v_mov_b32_e32 v1, 0xffff
	v_mov_b32_e32 v37, v25
	s_mov_b32 s22, exec_lo
	buffer_store_dword v37, off, s[0:3], s32 offset:640 ; 4-byte Folded Spill
	buffer_store_dword v38, off, s[0:3], s32 offset:644 ; 4-byte Folded Spill
	v_and_b32_sdwa v1, v1, v0 dst_sel:DWORD dst_unused:UNUSED_PAD src0_sel:DWORD src1_sel:BYTE_1
	v_and_b32_e32 v2, 0x7f, v1
	v_cmpx_ne_u32_e32 0x7f, v2
	s_cbranch_execz .LBB189_447
; %bb.444:                              ;   in Loop: Header=BB189_12 Depth=1
	v_and_b32_e32 v24, 7, v1
	v_lshrrev_b32_e32 v1, 3, v2
	s_mov_b32 s23, exec_lo
	v_cmpx_gt_u32_e32 8, v2
; %bb.445:                              ;   in Loop: Header=BB189_12 Depth=1
	v_ffbh_u32_e32 v1, v24
	v_min_u32_e32 v1, 32, v1
	v_subrev_nc_u32_e32 v2, 28, v1
	v_sub_nc_u32_e32 v1, 29, v1
	v_lshlrev_b64 v[2:3], v2, v[24:25]
	v_and_b32_e32 v24, 7, v2
; %bb.446:                              ;   in Loop: Header=BB189_12 Depth=1
	s_or_b32 exec_lo, exec_lo, s23
	v_lshlrev_b32_e32 v0, 16, v0
	v_lshlrev_b32_e32 v2, 20, v24
	v_lshl_add_u32 v1, v1, 23, 0x3c000000
	v_and_b32_e32 v0, 0x80000000, v0
	v_or3_b32 v1, v2, v0, v1
	v_mov_b32_e32 v0, v25
	buffer_store_dword v0, off, s[0:3], s32 offset:640 ; 4-byte Folded Spill
	buffer_store_dword v1, off, s[0:3], s32 offset:644 ; 4-byte Folded Spill
.LBB189_447:                            ;   in Loop: Header=BB189_12 Depth=1
	s_or_b32 exec_lo, exec_lo, s22
.LBB189_448:                            ;   in Loop: Header=BB189_12 Depth=1
	s_or_b32 exec_lo, exec_lo, s21
.LBB189_449:                            ;   in Loop: Header=BB189_12 Depth=1
	s_or_b32 exec_lo, exec_lo, s20
	flat_load_ushort v1, v[27:28] offset:1548
	s_waitcnt vmcnt(0) lgkmcnt(0)
	v_and_b32_e32 v0, 0xffff, v1
	v_cmp_ne_u16_sdwa s6, v1, v25 src0_sel:BYTE_0 src1_sel:DWORD
	v_mov_b32_e32 v1, 0
	v_mov_b32_e32 v2, 0
	buffer_store_dword v1, off, s[0:3], s32 offset:656 ; 4-byte Folded Spill
	buffer_store_dword v2, off, s[0:3], s32 offset:660 ; 4-byte Folded Spill
	v_mov_b32_e32 v1, 0
	v_mov_b32_e32 v2, 0
	buffer_store_dword v1, off, s[0:3], s32 offset:648 ; 4-byte Folded Spill
	buffer_store_dword v2, off, s[0:3], s32 offset:652 ; 4-byte Folded Spill
	s_and_saveexec_b32 s20, s6
	s_cbranch_execz .LBB189_457
; %bb.450:                              ;   in Loop: Header=BB189_12 Depth=1
	v_bfrev_b32_e32 v1, 1
	v_mov_b32_e32 v2, 0
	v_cmp_ne_u16_sdwa s6, v0, v6 src0_sel:BYTE_0 src1_sel:DWORD
	buffer_store_dword v1, off, s[0:3], s32 offset:648 ; 4-byte Folded Spill
	buffer_store_dword v2, off, s[0:3], s32 offset:652 ; 4-byte Folded Spill
	s_and_saveexec_b32 s21, s6
	s_cbranch_execz .LBB189_456
; %bb.451:                              ;   in Loop: Header=BB189_12 Depth=1
	v_mov_b32_e32 v3, 0x7f800001
	v_and_b32_e32 v2, 0x7f, v0
	v_mov_b32_e32 v4, 0
	s_mov_b32 s22, exec_lo
	buffer_store_dword v3, off, s[0:3], s32 offset:648 ; 4-byte Folded Spill
	buffer_store_dword v4, off, s[0:3], s32 offset:652 ; 4-byte Folded Spill
	v_cmpx_ne_u32_e32 0x7f, v2
	s_cbranch_execz .LBB189_455
; %bb.452:                              ;   in Loop: Header=BB189_12 Depth=1
	v_and_b32_e32 v24, 7, v0
	v_lshrrev_b32_e32 v1, 3, v2
	s_mov_b32 s23, exec_lo
	v_cmpx_gt_u32_e32 8, v2
; %bb.453:                              ;   in Loop: Header=BB189_12 Depth=1
	v_ffbh_u32_e32 v1, v24
	v_min_u32_e32 v1, 32, v1
	v_subrev_nc_u32_e32 v2, 28, v1
	v_sub_nc_u32_e32 v1, 29, v1
	v_lshlrev_b64 v[2:3], v2, v[24:25]
	v_and_b32_e32 v24, 7, v2
; %bb.454:                              ;   in Loop: Header=BB189_12 Depth=1
	s_or_b32 exec_lo, exec_lo, s23
	v_lshlrev_b32_e32 v2, 24, v0
	v_lshlrev_b32_e32 v3, 20, v24
	v_lshl_add_u32 v1, v1, 23, 0x3c000000
	v_and_b32_e32 v2, 0x80000000, v2
	v_or3_b32 v24, v3, v2, v1
	buffer_store_dword v24, off, s[0:3], s32 offset:648 ; 4-byte Folded Spill
	buffer_store_dword v25, off, s[0:3], s32 offset:652 ; 4-byte Folded Spill
.LBB189_455:                            ;   in Loop: Header=BB189_12 Depth=1
	s_or_b32 exec_lo, exec_lo, s22
.LBB189_456:                            ;   in Loop: Header=BB189_12 Depth=1
	s_or_b32 exec_lo, exec_lo, s21
.LBB189_457:                            ;   in Loop: Header=BB189_12 Depth=1
	s_or_b32 exec_lo, exec_lo, s20
	v_cmp_ne_u16_sdwa s6, v0, v25 src0_sel:BYTE_1 src1_sel:DWORD
	s_and_saveexec_b32 s20, s6
	s_cbranch_execz .LBB189_465
; %bb.458:                              ;   in Loop: Header=BB189_12 Depth=1
	v_mov_b32_e32 v114, v25
	v_cmp_ne_u16_sdwa s6, v0, v6 src0_sel:BYTE_1 src1_sel:DWORD
	buffer_store_dword v114, off, s[0:3], s32 offset:656 ; 4-byte Folded Spill
	buffer_store_dword v115, off, s[0:3], s32 offset:660 ; 4-byte Folded Spill
	s_and_saveexec_b32 s21, s6
	s_cbranch_execz .LBB189_464
; %bb.459:                              ;   in Loop: Header=BB189_12 Depth=1
	v_mov_b32_e32 v1, 0xffff
	v_mov_b32_e32 v37, v25
	s_mov_b32 s22, exec_lo
	buffer_store_dword v37, off, s[0:3], s32 offset:656 ; 4-byte Folded Spill
	buffer_store_dword v38, off, s[0:3], s32 offset:660 ; 4-byte Folded Spill
	v_and_b32_sdwa v1, v1, v0 dst_sel:DWORD dst_unused:UNUSED_PAD src0_sel:DWORD src1_sel:BYTE_1
	v_and_b32_e32 v2, 0x7f, v1
	v_cmpx_ne_u32_e32 0x7f, v2
	s_cbranch_execz .LBB189_463
; %bb.460:                              ;   in Loop: Header=BB189_12 Depth=1
	v_and_b32_e32 v24, 7, v1
	v_lshrrev_b32_e32 v1, 3, v2
	s_mov_b32 s23, exec_lo
	v_cmpx_gt_u32_e32 8, v2
; %bb.461:                              ;   in Loop: Header=BB189_12 Depth=1
	v_ffbh_u32_e32 v1, v24
	v_min_u32_e32 v1, 32, v1
	v_subrev_nc_u32_e32 v2, 28, v1
	v_sub_nc_u32_e32 v1, 29, v1
	v_lshlrev_b64 v[2:3], v2, v[24:25]
	v_and_b32_e32 v24, 7, v2
; %bb.462:                              ;   in Loop: Header=BB189_12 Depth=1
	s_or_b32 exec_lo, exec_lo, s23
	v_lshlrev_b32_e32 v0, 16, v0
	v_lshlrev_b32_e32 v2, 20, v24
	v_lshl_add_u32 v1, v1, 23, 0x3c000000
	v_and_b32_e32 v0, 0x80000000, v0
	v_or3_b32 v1, v2, v0, v1
	v_mov_b32_e32 v0, v25
	buffer_store_dword v0, off, s[0:3], s32 offset:656 ; 4-byte Folded Spill
	buffer_store_dword v1, off, s[0:3], s32 offset:660 ; 4-byte Folded Spill
.LBB189_463:                            ;   in Loop: Header=BB189_12 Depth=1
	s_or_b32 exec_lo, exec_lo, s22
.LBB189_464:                            ;   in Loop: Header=BB189_12 Depth=1
	s_or_b32 exec_lo, exec_lo, s21
.LBB189_465:                            ;   in Loop: Header=BB189_12 Depth=1
	s_or_b32 exec_lo, exec_lo, s20
	flat_load_ushort v1, v[27:28] offset:1792
	s_waitcnt vmcnt(0) lgkmcnt(0)
	v_and_b32_e32 v0, 0xffff, v1
	v_cmp_ne_u16_sdwa s6, v1, v25 src0_sel:BYTE_0 src1_sel:DWORD
	v_mov_b32_e32 v1, 0
	v_mov_b32_e32 v2, 0
	buffer_store_dword v1, off, s[0:3], s32 offset:672 ; 4-byte Folded Spill
	buffer_store_dword v2, off, s[0:3], s32 offset:676 ; 4-byte Folded Spill
	v_mov_b32_e32 v1, 0
	v_mov_b32_e32 v2, 0
	buffer_store_dword v1, off, s[0:3], s32 offset:664 ; 4-byte Folded Spill
	buffer_store_dword v2, off, s[0:3], s32 offset:668 ; 4-byte Folded Spill
	s_and_saveexec_b32 s20, s6
	s_cbranch_execz .LBB189_473
; %bb.466:                              ;   in Loop: Header=BB189_12 Depth=1
	v_bfrev_b32_e32 v1, 1
	v_mov_b32_e32 v2, 0
	v_cmp_ne_u16_sdwa s6, v0, v6 src0_sel:BYTE_0 src1_sel:DWORD
	buffer_store_dword v1, off, s[0:3], s32 offset:664 ; 4-byte Folded Spill
	buffer_store_dword v2, off, s[0:3], s32 offset:668 ; 4-byte Folded Spill
	s_and_saveexec_b32 s21, s6
	s_cbranch_execz .LBB189_472
; %bb.467:                              ;   in Loop: Header=BB189_12 Depth=1
	v_mov_b32_e32 v3, 0x7f800001
	v_and_b32_e32 v2, 0x7f, v0
	v_mov_b32_e32 v4, 0
	s_mov_b32 s22, exec_lo
	buffer_store_dword v3, off, s[0:3], s32 offset:664 ; 4-byte Folded Spill
	buffer_store_dword v4, off, s[0:3], s32 offset:668 ; 4-byte Folded Spill
	v_cmpx_ne_u32_e32 0x7f, v2
	s_cbranch_execz .LBB189_471
; %bb.468:                              ;   in Loop: Header=BB189_12 Depth=1
	v_and_b32_e32 v24, 7, v0
	v_lshrrev_b32_e32 v1, 3, v2
	s_mov_b32 s23, exec_lo
	v_cmpx_gt_u32_e32 8, v2
; %bb.469:                              ;   in Loop: Header=BB189_12 Depth=1
	v_ffbh_u32_e32 v1, v24
	v_min_u32_e32 v1, 32, v1
	v_subrev_nc_u32_e32 v2, 28, v1
	v_sub_nc_u32_e32 v1, 29, v1
	v_lshlrev_b64 v[2:3], v2, v[24:25]
	v_and_b32_e32 v24, 7, v2
; %bb.470:                              ;   in Loop: Header=BB189_12 Depth=1
	s_or_b32 exec_lo, exec_lo, s23
	v_lshlrev_b32_e32 v2, 24, v0
	v_lshlrev_b32_e32 v3, 20, v24
	v_lshl_add_u32 v1, v1, 23, 0x3c000000
	v_and_b32_e32 v2, 0x80000000, v2
	v_or3_b32 v24, v3, v2, v1
	buffer_store_dword v24, off, s[0:3], s32 offset:664 ; 4-byte Folded Spill
	buffer_store_dword v25, off, s[0:3], s32 offset:668 ; 4-byte Folded Spill
.LBB189_471:                            ;   in Loop: Header=BB189_12 Depth=1
	s_or_b32 exec_lo, exec_lo, s22
.LBB189_472:                            ;   in Loop: Header=BB189_12 Depth=1
	s_or_b32 exec_lo, exec_lo, s21
.LBB189_473:                            ;   in Loop: Header=BB189_12 Depth=1
	s_or_b32 exec_lo, exec_lo, s20
	v_cmp_ne_u16_sdwa s6, v0, v25 src0_sel:BYTE_1 src1_sel:DWORD
	s_and_saveexec_b32 s20, s6
	s_cbranch_execz .LBB189_481
; %bb.474:                              ;   in Loop: Header=BB189_12 Depth=1
	v_mov_b32_e32 v114, v25
	v_cmp_ne_u16_sdwa s6, v0, v6 src0_sel:BYTE_1 src1_sel:DWORD
	buffer_store_dword v114, off, s[0:3], s32 offset:672 ; 4-byte Folded Spill
	buffer_store_dword v115, off, s[0:3], s32 offset:676 ; 4-byte Folded Spill
	s_and_saveexec_b32 s21, s6
	s_cbranch_execz .LBB189_480
; %bb.475:                              ;   in Loop: Header=BB189_12 Depth=1
	v_mov_b32_e32 v1, 0xffff
	v_mov_b32_e32 v37, v25
	s_mov_b32 s22, exec_lo
	buffer_store_dword v37, off, s[0:3], s32 offset:672 ; 4-byte Folded Spill
	buffer_store_dword v38, off, s[0:3], s32 offset:676 ; 4-byte Folded Spill
	v_and_b32_sdwa v1, v1, v0 dst_sel:DWORD dst_unused:UNUSED_PAD src0_sel:DWORD src1_sel:BYTE_1
	v_and_b32_e32 v2, 0x7f, v1
	v_cmpx_ne_u32_e32 0x7f, v2
	s_cbranch_execz .LBB189_479
; %bb.476:                              ;   in Loop: Header=BB189_12 Depth=1
	v_and_b32_e32 v24, 7, v1
	v_lshrrev_b32_e32 v1, 3, v2
	s_mov_b32 s23, exec_lo
	v_cmpx_gt_u32_e32 8, v2
; %bb.477:                              ;   in Loop: Header=BB189_12 Depth=1
	v_ffbh_u32_e32 v1, v24
	v_min_u32_e32 v1, 32, v1
	v_subrev_nc_u32_e32 v2, 28, v1
	v_sub_nc_u32_e32 v1, 29, v1
	v_lshlrev_b64 v[2:3], v2, v[24:25]
	v_and_b32_e32 v24, 7, v2
; %bb.478:                              ;   in Loop: Header=BB189_12 Depth=1
	s_or_b32 exec_lo, exec_lo, s23
	v_lshlrev_b32_e32 v0, 16, v0
	v_lshlrev_b32_e32 v2, 20, v24
	v_lshl_add_u32 v1, v1, 23, 0x3c000000
	v_and_b32_e32 v0, 0x80000000, v0
	v_or3_b32 v1, v2, v0, v1
	v_mov_b32_e32 v0, v25
	buffer_store_dword v0, off, s[0:3], s32 offset:672 ; 4-byte Folded Spill
	buffer_store_dword v1, off, s[0:3], s32 offset:676 ; 4-byte Folded Spill
.LBB189_479:                            ;   in Loop: Header=BB189_12 Depth=1
	s_or_b32 exec_lo, exec_lo, s22
.LBB189_480:                            ;   in Loop: Header=BB189_12 Depth=1
	s_or_b32 exec_lo, exec_lo, s21
.LBB189_481:                            ;   in Loop: Header=BB189_12 Depth=1
	s_or_b32 exec_lo, exec_lo, s20
	flat_load_ushort v1, v[27:28] offset:1796
	s_waitcnt vmcnt(0) lgkmcnt(0)
	v_and_b32_e32 v0, 0xffff, v1
	v_cmp_ne_u16_sdwa s6, v1, v25 src0_sel:BYTE_0 src1_sel:DWORD
	v_mov_b32_e32 v1, 0
	v_mov_b32_e32 v2, 0
	buffer_store_dword v1, off, s[0:3], s32 offset:688 ; 4-byte Folded Spill
	buffer_store_dword v2, off, s[0:3], s32 offset:692 ; 4-byte Folded Spill
	v_mov_b32_e32 v1, 0
	v_mov_b32_e32 v2, 0
	buffer_store_dword v1, off, s[0:3], s32 offset:680 ; 4-byte Folded Spill
	buffer_store_dword v2, off, s[0:3], s32 offset:684 ; 4-byte Folded Spill
	s_and_saveexec_b32 s20, s6
	s_cbranch_execz .LBB189_489
; %bb.482:                              ;   in Loop: Header=BB189_12 Depth=1
	v_bfrev_b32_e32 v1, 1
	v_mov_b32_e32 v2, 0
	v_cmp_ne_u16_sdwa s6, v0, v6 src0_sel:BYTE_0 src1_sel:DWORD
	buffer_store_dword v1, off, s[0:3], s32 offset:680 ; 4-byte Folded Spill
	buffer_store_dword v2, off, s[0:3], s32 offset:684 ; 4-byte Folded Spill
	s_and_saveexec_b32 s21, s6
	s_cbranch_execz .LBB189_488
; %bb.483:                              ;   in Loop: Header=BB189_12 Depth=1
	v_mov_b32_e32 v3, 0x7f800001
	v_and_b32_e32 v2, 0x7f, v0
	v_mov_b32_e32 v4, 0
	s_mov_b32 s22, exec_lo
	buffer_store_dword v3, off, s[0:3], s32 offset:680 ; 4-byte Folded Spill
	buffer_store_dword v4, off, s[0:3], s32 offset:684 ; 4-byte Folded Spill
	v_cmpx_ne_u32_e32 0x7f, v2
	s_cbranch_execz .LBB189_487
; %bb.484:                              ;   in Loop: Header=BB189_12 Depth=1
	v_and_b32_e32 v24, 7, v0
	v_lshrrev_b32_e32 v1, 3, v2
	s_mov_b32 s23, exec_lo
	v_cmpx_gt_u32_e32 8, v2
; %bb.485:                              ;   in Loop: Header=BB189_12 Depth=1
	v_ffbh_u32_e32 v1, v24
	v_min_u32_e32 v1, 32, v1
	v_subrev_nc_u32_e32 v2, 28, v1
	v_sub_nc_u32_e32 v1, 29, v1
	v_lshlrev_b64 v[2:3], v2, v[24:25]
	v_and_b32_e32 v24, 7, v2
; %bb.486:                              ;   in Loop: Header=BB189_12 Depth=1
	s_or_b32 exec_lo, exec_lo, s23
	v_lshlrev_b32_e32 v2, 24, v0
	v_lshlrev_b32_e32 v3, 20, v24
	v_lshl_add_u32 v1, v1, 23, 0x3c000000
	v_and_b32_e32 v2, 0x80000000, v2
	v_or3_b32 v24, v3, v2, v1
	buffer_store_dword v24, off, s[0:3], s32 offset:680 ; 4-byte Folded Spill
	buffer_store_dword v25, off, s[0:3], s32 offset:684 ; 4-byte Folded Spill
.LBB189_487:                            ;   in Loop: Header=BB189_12 Depth=1
	s_or_b32 exec_lo, exec_lo, s22
.LBB189_488:                            ;   in Loop: Header=BB189_12 Depth=1
	s_or_b32 exec_lo, exec_lo, s21
.LBB189_489:                            ;   in Loop: Header=BB189_12 Depth=1
	s_or_b32 exec_lo, exec_lo, s20
	v_cmp_ne_u16_sdwa s6, v0, v25 src0_sel:BYTE_1 src1_sel:DWORD
	s_and_saveexec_b32 s20, s6
	s_cbranch_execz .LBB189_497
; %bb.490:                              ;   in Loop: Header=BB189_12 Depth=1
	v_mov_b32_e32 v114, v25
	v_cmp_ne_u16_sdwa s6, v0, v6 src0_sel:BYTE_1 src1_sel:DWORD
	buffer_store_dword v114, off, s[0:3], s32 offset:688 ; 4-byte Folded Spill
	buffer_store_dword v115, off, s[0:3], s32 offset:692 ; 4-byte Folded Spill
	s_and_saveexec_b32 s21, s6
	s_cbranch_execz .LBB189_496
; %bb.491:                              ;   in Loop: Header=BB189_12 Depth=1
	v_mov_b32_e32 v1, 0xffff
	v_mov_b32_e32 v37, v25
	s_mov_b32 s22, exec_lo
	buffer_store_dword v37, off, s[0:3], s32 offset:688 ; 4-byte Folded Spill
	buffer_store_dword v38, off, s[0:3], s32 offset:692 ; 4-byte Folded Spill
	v_and_b32_sdwa v1, v1, v0 dst_sel:DWORD dst_unused:UNUSED_PAD src0_sel:DWORD src1_sel:BYTE_1
	v_and_b32_e32 v2, 0x7f, v1
	v_cmpx_ne_u32_e32 0x7f, v2
	s_cbranch_execz .LBB189_495
; %bb.492:                              ;   in Loop: Header=BB189_12 Depth=1
	v_and_b32_e32 v24, 7, v1
	v_lshrrev_b32_e32 v1, 3, v2
	s_mov_b32 s23, exec_lo
	v_cmpx_gt_u32_e32 8, v2
; %bb.493:                              ;   in Loop: Header=BB189_12 Depth=1
	v_ffbh_u32_e32 v1, v24
	v_min_u32_e32 v1, 32, v1
	v_subrev_nc_u32_e32 v2, 28, v1
	v_sub_nc_u32_e32 v1, 29, v1
	v_lshlrev_b64 v[2:3], v2, v[24:25]
	v_and_b32_e32 v24, 7, v2
; %bb.494:                              ;   in Loop: Header=BB189_12 Depth=1
	s_or_b32 exec_lo, exec_lo, s23
	v_lshlrev_b32_e32 v0, 16, v0
	v_lshlrev_b32_e32 v2, 20, v24
	v_lshl_add_u32 v1, v1, 23, 0x3c000000
	v_and_b32_e32 v0, 0x80000000, v0
	v_or3_b32 v1, v2, v0, v1
	v_mov_b32_e32 v0, v25
	buffer_store_dword v0, off, s[0:3], s32 offset:688 ; 4-byte Folded Spill
	buffer_store_dword v1, off, s[0:3], s32 offset:692 ; 4-byte Folded Spill
.LBB189_495:                            ;   in Loop: Header=BB189_12 Depth=1
	s_or_b32 exec_lo, exec_lo, s22
.LBB189_496:                            ;   in Loop: Header=BB189_12 Depth=1
	s_or_b32 exec_lo, exec_lo, s21
.LBB189_497:                            ;   in Loop: Header=BB189_12 Depth=1
	s_or_b32 exec_lo, exec_lo, s20
	flat_load_ushort v1, v[27:28] offset:1800
	s_waitcnt vmcnt(0) lgkmcnt(0)
	v_and_b32_e32 v0, 0xffff, v1
	v_cmp_ne_u16_sdwa s6, v1, v25 src0_sel:BYTE_0 src1_sel:DWORD
	v_mov_b32_e32 v1, 0
	v_mov_b32_e32 v2, 0
	buffer_store_dword v1, off, s[0:3], s32 offset:704 ; 4-byte Folded Spill
	buffer_store_dword v2, off, s[0:3], s32 offset:708 ; 4-byte Folded Spill
	v_mov_b32_e32 v1, 0
	v_mov_b32_e32 v2, 0
	buffer_store_dword v1, off, s[0:3], s32 offset:696 ; 4-byte Folded Spill
	buffer_store_dword v2, off, s[0:3], s32 offset:700 ; 4-byte Folded Spill
	s_and_saveexec_b32 s20, s6
	s_cbranch_execz .LBB189_505
; %bb.498:                              ;   in Loop: Header=BB189_12 Depth=1
	v_bfrev_b32_e32 v1, 1
	v_mov_b32_e32 v2, 0
	v_cmp_ne_u16_sdwa s6, v0, v6 src0_sel:BYTE_0 src1_sel:DWORD
	buffer_store_dword v1, off, s[0:3], s32 offset:696 ; 4-byte Folded Spill
	buffer_store_dword v2, off, s[0:3], s32 offset:700 ; 4-byte Folded Spill
	s_and_saveexec_b32 s21, s6
	s_cbranch_execz .LBB189_504
; %bb.499:                              ;   in Loop: Header=BB189_12 Depth=1
	v_mov_b32_e32 v3, 0x7f800001
	v_and_b32_e32 v2, 0x7f, v0
	v_mov_b32_e32 v4, 0
	s_mov_b32 s22, exec_lo
	buffer_store_dword v3, off, s[0:3], s32 offset:696 ; 4-byte Folded Spill
	buffer_store_dword v4, off, s[0:3], s32 offset:700 ; 4-byte Folded Spill
	v_cmpx_ne_u32_e32 0x7f, v2
	s_cbranch_execz .LBB189_503
; %bb.500:                              ;   in Loop: Header=BB189_12 Depth=1
	v_and_b32_e32 v24, 7, v0
	v_lshrrev_b32_e32 v1, 3, v2
	s_mov_b32 s23, exec_lo
	v_cmpx_gt_u32_e32 8, v2
; %bb.501:                              ;   in Loop: Header=BB189_12 Depth=1
	v_ffbh_u32_e32 v1, v24
	v_min_u32_e32 v1, 32, v1
	v_subrev_nc_u32_e32 v2, 28, v1
	v_sub_nc_u32_e32 v1, 29, v1
	v_lshlrev_b64 v[2:3], v2, v[24:25]
	v_and_b32_e32 v24, 7, v2
; %bb.502:                              ;   in Loop: Header=BB189_12 Depth=1
	s_or_b32 exec_lo, exec_lo, s23
	v_lshlrev_b32_e32 v2, 24, v0
	v_lshlrev_b32_e32 v3, 20, v24
	v_lshl_add_u32 v1, v1, 23, 0x3c000000
	v_and_b32_e32 v2, 0x80000000, v2
	v_or3_b32 v24, v3, v2, v1
	buffer_store_dword v24, off, s[0:3], s32 offset:696 ; 4-byte Folded Spill
	buffer_store_dword v25, off, s[0:3], s32 offset:700 ; 4-byte Folded Spill
.LBB189_503:                            ;   in Loop: Header=BB189_12 Depth=1
	s_or_b32 exec_lo, exec_lo, s22
.LBB189_504:                            ;   in Loop: Header=BB189_12 Depth=1
	s_or_b32 exec_lo, exec_lo, s21
.LBB189_505:                            ;   in Loop: Header=BB189_12 Depth=1
	s_or_b32 exec_lo, exec_lo, s20
	v_cmp_ne_u16_sdwa s6, v0, v25 src0_sel:BYTE_1 src1_sel:DWORD
	s_and_saveexec_b32 s20, s6
	s_cbranch_execz .LBB189_513
; %bb.506:                              ;   in Loop: Header=BB189_12 Depth=1
	v_mov_b32_e32 v114, v25
	v_cmp_ne_u16_sdwa s6, v0, v6 src0_sel:BYTE_1 src1_sel:DWORD
	buffer_store_dword v114, off, s[0:3], s32 offset:704 ; 4-byte Folded Spill
	buffer_store_dword v115, off, s[0:3], s32 offset:708 ; 4-byte Folded Spill
	s_and_saveexec_b32 s21, s6
	s_cbranch_execz .LBB189_512
; %bb.507:                              ;   in Loop: Header=BB189_12 Depth=1
	v_mov_b32_e32 v1, 0xffff
	v_mov_b32_e32 v37, v25
	s_mov_b32 s22, exec_lo
	buffer_store_dword v37, off, s[0:3], s32 offset:704 ; 4-byte Folded Spill
	buffer_store_dword v38, off, s[0:3], s32 offset:708 ; 4-byte Folded Spill
	v_and_b32_sdwa v1, v1, v0 dst_sel:DWORD dst_unused:UNUSED_PAD src0_sel:DWORD src1_sel:BYTE_1
	v_and_b32_e32 v2, 0x7f, v1
	v_cmpx_ne_u32_e32 0x7f, v2
	s_cbranch_execz .LBB189_511
; %bb.508:                              ;   in Loop: Header=BB189_12 Depth=1
	v_and_b32_e32 v24, 7, v1
	v_lshrrev_b32_e32 v1, 3, v2
	s_mov_b32 s23, exec_lo
	v_cmpx_gt_u32_e32 8, v2
; %bb.509:                              ;   in Loop: Header=BB189_12 Depth=1
	v_ffbh_u32_e32 v1, v24
	v_min_u32_e32 v1, 32, v1
	v_subrev_nc_u32_e32 v2, 28, v1
	v_sub_nc_u32_e32 v1, 29, v1
	v_lshlrev_b64 v[2:3], v2, v[24:25]
	v_and_b32_e32 v24, 7, v2
; %bb.510:                              ;   in Loop: Header=BB189_12 Depth=1
	s_or_b32 exec_lo, exec_lo, s23
	v_lshlrev_b32_e32 v0, 16, v0
	v_lshlrev_b32_e32 v2, 20, v24
	v_lshl_add_u32 v1, v1, 23, 0x3c000000
	v_and_b32_e32 v0, 0x80000000, v0
	v_or3_b32 v1, v2, v0, v1
	v_mov_b32_e32 v0, v25
	buffer_store_dword v0, off, s[0:3], s32 offset:704 ; 4-byte Folded Spill
	buffer_store_dword v1, off, s[0:3], s32 offset:708 ; 4-byte Folded Spill
.LBB189_511:                            ;   in Loop: Header=BB189_12 Depth=1
	s_or_b32 exec_lo, exec_lo, s22
.LBB189_512:                            ;   in Loop: Header=BB189_12 Depth=1
	s_or_b32 exec_lo, exec_lo, s21
.LBB189_513:                            ;   in Loop: Header=BB189_12 Depth=1
	s_or_b32 exec_lo, exec_lo, s20
	flat_load_ushort v1, v[27:28] offset:1804
	s_waitcnt vmcnt(0) lgkmcnt(0)
	v_and_b32_e32 v0, 0xffff, v1
	v_cmp_ne_u16_sdwa s6, v1, v25 src0_sel:BYTE_0 src1_sel:DWORD
	v_mov_b32_e32 v1, 0
	v_mov_b32_e32 v2, 0
	buffer_store_dword v1, off, s[0:3], s32 offset:720 ; 4-byte Folded Spill
	buffer_store_dword v2, off, s[0:3], s32 offset:724 ; 4-byte Folded Spill
	v_mov_b32_e32 v1, 0
	v_mov_b32_e32 v2, 0
	buffer_store_dword v1, off, s[0:3], s32 offset:712 ; 4-byte Folded Spill
	buffer_store_dword v2, off, s[0:3], s32 offset:716 ; 4-byte Folded Spill
	s_and_saveexec_b32 s20, s6
	s_cbranch_execz .LBB189_521
; %bb.514:                              ;   in Loop: Header=BB189_12 Depth=1
	v_bfrev_b32_e32 v1, 1
	v_mov_b32_e32 v2, 0
	v_cmp_ne_u16_sdwa s6, v0, v6 src0_sel:BYTE_0 src1_sel:DWORD
	buffer_store_dword v1, off, s[0:3], s32 offset:712 ; 4-byte Folded Spill
	buffer_store_dword v2, off, s[0:3], s32 offset:716 ; 4-byte Folded Spill
	s_and_saveexec_b32 s21, s6
	s_cbranch_execz .LBB189_520
; %bb.515:                              ;   in Loop: Header=BB189_12 Depth=1
	v_mov_b32_e32 v3, 0x7f800001
	v_and_b32_e32 v2, 0x7f, v0
	v_mov_b32_e32 v4, 0
	s_mov_b32 s22, exec_lo
	buffer_store_dword v3, off, s[0:3], s32 offset:712 ; 4-byte Folded Spill
	buffer_store_dword v4, off, s[0:3], s32 offset:716 ; 4-byte Folded Spill
	v_cmpx_ne_u32_e32 0x7f, v2
	s_cbranch_execz .LBB189_519
; %bb.516:                              ;   in Loop: Header=BB189_12 Depth=1
	v_and_b32_e32 v24, 7, v0
	v_lshrrev_b32_e32 v1, 3, v2
	s_mov_b32 s23, exec_lo
	v_cmpx_gt_u32_e32 8, v2
; %bb.517:                              ;   in Loop: Header=BB189_12 Depth=1
	v_ffbh_u32_e32 v1, v24
	v_min_u32_e32 v1, 32, v1
	v_subrev_nc_u32_e32 v2, 28, v1
	v_sub_nc_u32_e32 v1, 29, v1
	v_lshlrev_b64 v[2:3], v2, v[24:25]
	v_and_b32_e32 v24, 7, v2
; %bb.518:                              ;   in Loop: Header=BB189_12 Depth=1
	s_or_b32 exec_lo, exec_lo, s23
	v_lshlrev_b32_e32 v2, 24, v0
	v_lshlrev_b32_e32 v3, 20, v24
	v_lshl_add_u32 v1, v1, 23, 0x3c000000
	v_and_b32_e32 v2, 0x80000000, v2
	v_or3_b32 v24, v3, v2, v1
	buffer_store_dword v24, off, s[0:3], s32 offset:712 ; 4-byte Folded Spill
	buffer_store_dword v25, off, s[0:3], s32 offset:716 ; 4-byte Folded Spill
.LBB189_519:                            ;   in Loop: Header=BB189_12 Depth=1
	s_or_b32 exec_lo, exec_lo, s22
.LBB189_520:                            ;   in Loop: Header=BB189_12 Depth=1
	s_or_b32 exec_lo, exec_lo, s21
.LBB189_521:                            ;   in Loop: Header=BB189_12 Depth=1
	s_or_b32 exec_lo, exec_lo, s20
	v_cmp_ne_u16_sdwa s6, v0, v25 src0_sel:BYTE_1 src1_sel:DWORD
	s_and_saveexec_b32 s20, s6
	s_cbranch_execz .LBB189_529
; %bb.522:                              ;   in Loop: Header=BB189_12 Depth=1
	v_mov_b32_e32 v114, v25
	v_cmp_ne_u16_sdwa s6, v0, v6 src0_sel:BYTE_1 src1_sel:DWORD
	buffer_store_dword v114, off, s[0:3], s32 offset:720 ; 4-byte Folded Spill
	buffer_store_dword v115, off, s[0:3], s32 offset:724 ; 4-byte Folded Spill
	s_and_saveexec_b32 s21, s6
	s_cbranch_execz .LBB189_528
; %bb.523:                              ;   in Loop: Header=BB189_12 Depth=1
	v_mov_b32_e32 v1, 0xffff
	v_mov_b32_e32 v37, v25
	s_mov_b32 s22, exec_lo
	buffer_store_dword v37, off, s[0:3], s32 offset:720 ; 4-byte Folded Spill
	buffer_store_dword v38, off, s[0:3], s32 offset:724 ; 4-byte Folded Spill
	v_and_b32_sdwa v1, v1, v0 dst_sel:DWORD dst_unused:UNUSED_PAD src0_sel:DWORD src1_sel:BYTE_1
	v_and_b32_e32 v2, 0x7f, v1
	v_cmpx_ne_u32_e32 0x7f, v2
	s_cbranch_execz .LBB189_527
; %bb.524:                              ;   in Loop: Header=BB189_12 Depth=1
	v_and_b32_e32 v24, 7, v1
	v_lshrrev_b32_e32 v1, 3, v2
	s_mov_b32 s23, exec_lo
	v_cmpx_gt_u32_e32 8, v2
; %bb.525:                              ;   in Loop: Header=BB189_12 Depth=1
	v_ffbh_u32_e32 v1, v24
	v_min_u32_e32 v1, 32, v1
	v_subrev_nc_u32_e32 v2, 28, v1
	v_sub_nc_u32_e32 v1, 29, v1
	v_lshlrev_b64 v[2:3], v2, v[24:25]
	v_and_b32_e32 v24, 7, v2
; %bb.526:                              ;   in Loop: Header=BB189_12 Depth=1
	s_or_b32 exec_lo, exec_lo, s23
	v_lshlrev_b32_e32 v0, 16, v0
	v_lshlrev_b32_e32 v2, 20, v24
	v_lshl_add_u32 v1, v1, 23, 0x3c000000
	v_and_b32_e32 v0, 0x80000000, v0
	v_or3_b32 v1, v2, v0, v1
	v_mov_b32_e32 v0, v25
	buffer_store_dword v0, off, s[0:3], s32 offset:720 ; 4-byte Folded Spill
	buffer_store_dword v1, off, s[0:3], s32 offset:724 ; 4-byte Folded Spill
.LBB189_527:                            ;   in Loop: Header=BB189_12 Depth=1
	s_or_b32 exec_lo, exec_lo, s22
.LBB189_528:                            ;   in Loop: Header=BB189_12 Depth=1
	s_or_b32 exec_lo, exec_lo, s21
.LBB189_529:                            ;   in Loop: Header=BB189_12 Depth=1
	s_or_b32 exec_lo, exec_lo, s20
	v_add_co_u32 v0, s6, 0x800, v88
	v_add_co_ci_u32_e64 v1, null, 0, v89, s6
	v_add_co_u32 v2, s6, v0, v118
	v_add_co_ci_u32_e64 v3, null, 0, v1, s6
	flat_load_ushort v3, v[2:3]
	s_waitcnt vmcnt(0) lgkmcnt(0)
	v_and_b32_e32 v2, 0xffff, v3
	v_cmp_ne_u16_sdwa s6, v3, v25 src0_sel:BYTE_0 src1_sel:DWORD
	v_mov_b32_e32 v3, 0
	v_mov_b32_e32 v4, 0
	buffer_store_dword v3, off, s[0:3], s32 offset:736 ; 4-byte Folded Spill
	buffer_store_dword v4, off, s[0:3], s32 offset:740 ; 4-byte Folded Spill
	v_mov_b32_e32 v3, 0
	v_mov_b32_e32 v4, 0
	buffer_store_dword v3, off, s[0:3], s32 offset:728 ; 4-byte Folded Spill
	buffer_store_dword v4, off, s[0:3], s32 offset:732 ; 4-byte Folded Spill
	s_and_saveexec_b32 s20, s6
	s_cbranch_execz .LBB189_537
; %bb.530:                              ;   in Loop: Header=BB189_12 Depth=1
	v_bfrev_b32_e32 v3, 1
	v_mov_b32_e32 v4, 0
	v_cmp_ne_u16_sdwa s6, v2, v6 src0_sel:BYTE_0 src1_sel:DWORD
	buffer_store_dword v3, off, s[0:3], s32 offset:728 ; 4-byte Folded Spill
	buffer_store_dword v4, off, s[0:3], s32 offset:732 ; 4-byte Folded Spill
	s_and_saveexec_b32 s21, s6
	s_cbranch_execz .LBB189_536
; %bb.531:                              ;   in Loop: Header=BB189_12 Depth=1
	v_mov_b32_e32 v7, 0x7f800001
	v_and_b32_e32 v4, 0x7f, v2
	v_mov_b32_e32 v8, 0
	s_mov_b32 s22, exec_lo
	buffer_store_dword v7, off, s[0:3], s32 offset:728 ; 4-byte Folded Spill
	buffer_store_dword v8, off, s[0:3], s32 offset:732 ; 4-byte Folded Spill
	v_cmpx_ne_u32_e32 0x7f, v4
	s_cbranch_execz .LBB189_535
; %bb.532:                              ;   in Loop: Header=BB189_12 Depth=1
	v_and_b32_e32 v24, 7, v2
	v_lshrrev_b32_e32 v3, 3, v4
	s_mov_b32 s23, exec_lo
	v_cmpx_gt_u32_e32 8, v4
; %bb.533:                              ;   in Loop: Header=BB189_12 Depth=1
	v_ffbh_u32_e32 v3, v24
	v_min_u32_e32 v3, 32, v3
	v_subrev_nc_u32_e32 v4, 28, v3
	v_sub_nc_u32_e32 v3, 29, v3
	v_lshlrev_b64 v[4:5], v4, v[24:25]
	v_and_b32_e32 v24, 7, v4
; %bb.534:                              ;   in Loop: Header=BB189_12 Depth=1
	s_or_b32 exec_lo, exec_lo, s23
	v_lshlrev_b32_e32 v4, 24, v2
	v_lshlrev_b32_e32 v5, 20, v24
	v_lshl_add_u32 v3, v3, 23, 0x3c000000
	v_and_b32_e32 v4, 0x80000000, v4
	v_or3_b32 v24, v5, v4, v3
	buffer_store_dword v24, off, s[0:3], s32 offset:728 ; 4-byte Folded Spill
	buffer_store_dword v25, off, s[0:3], s32 offset:732 ; 4-byte Folded Spill
.LBB189_535:                            ;   in Loop: Header=BB189_12 Depth=1
	s_or_b32 exec_lo, exec_lo, s22
.LBB189_536:                            ;   in Loop: Header=BB189_12 Depth=1
	s_or_b32 exec_lo, exec_lo, s21
.LBB189_537:                            ;   in Loop: Header=BB189_12 Depth=1
	s_or_b32 exec_lo, exec_lo, s20
	v_cmp_ne_u16_sdwa s6, v2, v25 src0_sel:BYTE_1 src1_sel:DWORD
	s_and_saveexec_b32 s20, s6
	s_cbranch_execz .LBB189_545
; %bb.538:                              ;   in Loop: Header=BB189_12 Depth=1
	v_mov_b32_e32 v114, v25
	v_cmp_ne_u16_sdwa s6, v2, v6 src0_sel:BYTE_1 src1_sel:DWORD
	buffer_store_dword v114, off, s[0:3], s32 offset:736 ; 4-byte Folded Spill
	buffer_store_dword v115, off, s[0:3], s32 offset:740 ; 4-byte Folded Spill
	s_and_saveexec_b32 s21, s6
	s_cbranch_execz .LBB189_544
; %bb.539:                              ;   in Loop: Header=BB189_12 Depth=1
	v_mov_b32_e32 v3, 0xffff
	v_mov_b32_e32 v37, v25
	s_mov_b32 s22, exec_lo
	buffer_store_dword v37, off, s[0:3], s32 offset:736 ; 4-byte Folded Spill
	buffer_store_dword v38, off, s[0:3], s32 offset:740 ; 4-byte Folded Spill
	v_and_b32_sdwa v3, v3, v2 dst_sel:DWORD dst_unused:UNUSED_PAD src0_sel:DWORD src1_sel:BYTE_1
	v_and_b32_e32 v4, 0x7f, v3
	v_cmpx_ne_u32_e32 0x7f, v4
	s_cbranch_execz .LBB189_543
; %bb.540:                              ;   in Loop: Header=BB189_12 Depth=1
	v_and_b32_e32 v24, 7, v3
	v_lshrrev_b32_e32 v3, 3, v4
	s_mov_b32 s23, exec_lo
	v_cmpx_gt_u32_e32 8, v4
; %bb.541:                              ;   in Loop: Header=BB189_12 Depth=1
	v_ffbh_u32_e32 v3, v24
	v_min_u32_e32 v3, 32, v3
	v_subrev_nc_u32_e32 v4, 28, v3
	v_sub_nc_u32_e32 v3, 29, v3
	v_lshlrev_b64 v[4:5], v4, v[24:25]
	v_and_b32_e32 v24, 7, v4
; %bb.542:                              ;   in Loop: Header=BB189_12 Depth=1
	s_or_b32 exec_lo, exec_lo, s23
	v_lshlrev_b32_e32 v2, 16, v2
	v_lshlrev_b32_e32 v4, 20, v24
	v_lshl_add_u32 v3, v3, 23, 0x3c000000
	v_and_b32_e32 v2, 0x80000000, v2
	v_or3_b32 v3, v4, v2, v3
	v_mov_b32_e32 v2, v25
	buffer_store_dword v2, off, s[0:3], s32 offset:736 ; 4-byte Folded Spill
	buffer_store_dword v3, off, s[0:3], s32 offset:740 ; 4-byte Folded Spill
.LBB189_543:                            ;   in Loop: Header=BB189_12 Depth=1
	s_or_b32 exec_lo, exec_lo, s22
.LBB189_544:                            ;   in Loop: Header=BB189_12 Depth=1
	s_or_b32 exec_lo, exec_lo, s21
.LBB189_545:                            ;   in Loop: Header=BB189_12 Depth=1
	s_or_b32 exec_lo, exec_lo, s20
	buffer_load_dword v2, off, s[0:3], s32 offset:192 ; 4-byte Folded Reload
	s_waitcnt vmcnt(0)
	v_add_co_u32 v2, s6, v0, v2
	v_add_co_ci_u32_e64 v3, null, 0, v1, s6
	flat_load_ushort v3, v[2:3]
	s_waitcnt vmcnt(0) lgkmcnt(0)
	v_and_b32_e32 v2, 0xffff, v3
	v_cmp_ne_u16_sdwa s6, v3, v25 src0_sel:BYTE_0 src1_sel:DWORD
	v_mov_b32_e32 v3, 0
	v_mov_b32_e32 v4, 0
	buffer_store_dword v3, off, s[0:3], s32 offset:752 ; 4-byte Folded Spill
	buffer_store_dword v4, off, s[0:3], s32 offset:756 ; 4-byte Folded Spill
	v_mov_b32_e32 v3, 0
	v_mov_b32_e32 v4, 0
	buffer_store_dword v3, off, s[0:3], s32 offset:744 ; 4-byte Folded Spill
	buffer_store_dword v4, off, s[0:3], s32 offset:748 ; 4-byte Folded Spill
	s_and_saveexec_b32 s20, s6
	s_cbranch_execz .LBB189_553
; %bb.546:                              ;   in Loop: Header=BB189_12 Depth=1
	v_bfrev_b32_e32 v3, 1
	v_mov_b32_e32 v4, 0
	v_cmp_ne_u16_sdwa s6, v2, v6 src0_sel:BYTE_0 src1_sel:DWORD
	buffer_store_dword v3, off, s[0:3], s32 offset:744 ; 4-byte Folded Spill
	buffer_store_dword v4, off, s[0:3], s32 offset:748 ; 4-byte Folded Spill
	s_and_saveexec_b32 s21, s6
	s_cbranch_execz .LBB189_552
; %bb.547:                              ;   in Loop: Header=BB189_12 Depth=1
	v_mov_b32_e32 v7, 0x7f800001
	v_and_b32_e32 v4, 0x7f, v2
	v_mov_b32_e32 v8, 0
	s_mov_b32 s22, exec_lo
	buffer_store_dword v7, off, s[0:3], s32 offset:744 ; 4-byte Folded Spill
	buffer_store_dword v8, off, s[0:3], s32 offset:748 ; 4-byte Folded Spill
	v_cmpx_ne_u32_e32 0x7f, v4
	s_cbranch_execz .LBB189_551
; %bb.548:                              ;   in Loop: Header=BB189_12 Depth=1
	v_and_b32_e32 v24, 7, v2
	v_lshrrev_b32_e32 v3, 3, v4
	s_mov_b32 s23, exec_lo
	v_cmpx_gt_u32_e32 8, v4
; %bb.549:                              ;   in Loop: Header=BB189_12 Depth=1
	v_ffbh_u32_e32 v3, v24
	v_min_u32_e32 v3, 32, v3
	v_subrev_nc_u32_e32 v4, 28, v3
	v_sub_nc_u32_e32 v3, 29, v3
	v_lshlrev_b64 v[4:5], v4, v[24:25]
	v_and_b32_e32 v24, 7, v4
; %bb.550:                              ;   in Loop: Header=BB189_12 Depth=1
	s_or_b32 exec_lo, exec_lo, s23
	v_lshlrev_b32_e32 v4, 24, v2
	v_lshlrev_b32_e32 v5, 20, v24
	v_lshl_add_u32 v3, v3, 23, 0x3c000000
	v_and_b32_e32 v4, 0x80000000, v4
	v_or3_b32 v24, v5, v4, v3
	buffer_store_dword v24, off, s[0:3], s32 offset:744 ; 4-byte Folded Spill
	buffer_store_dword v25, off, s[0:3], s32 offset:748 ; 4-byte Folded Spill
.LBB189_551:                            ;   in Loop: Header=BB189_12 Depth=1
	s_or_b32 exec_lo, exec_lo, s22
.LBB189_552:                            ;   in Loop: Header=BB189_12 Depth=1
	s_or_b32 exec_lo, exec_lo, s21
.LBB189_553:                            ;   in Loop: Header=BB189_12 Depth=1
	s_or_b32 exec_lo, exec_lo, s20
	v_cmp_ne_u16_sdwa s6, v2, v25 src0_sel:BYTE_1 src1_sel:DWORD
	s_and_saveexec_b32 s20, s6
	s_cbranch_execz .LBB189_561
; %bb.554:                              ;   in Loop: Header=BB189_12 Depth=1
	v_mov_b32_e32 v114, v25
	v_cmp_ne_u16_sdwa s6, v2, v6 src0_sel:BYTE_1 src1_sel:DWORD
	buffer_store_dword v114, off, s[0:3], s32 offset:752 ; 4-byte Folded Spill
	buffer_store_dword v115, off, s[0:3], s32 offset:756 ; 4-byte Folded Spill
	s_and_saveexec_b32 s21, s6
	s_cbranch_execz .LBB189_560
; %bb.555:                              ;   in Loop: Header=BB189_12 Depth=1
	v_mov_b32_e32 v3, 0xffff
	v_mov_b32_e32 v37, v25
	s_mov_b32 s22, exec_lo
	buffer_store_dword v37, off, s[0:3], s32 offset:752 ; 4-byte Folded Spill
	buffer_store_dword v38, off, s[0:3], s32 offset:756 ; 4-byte Folded Spill
	v_and_b32_sdwa v3, v3, v2 dst_sel:DWORD dst_unused:UNUSED_PAD src0_sel:DWORD src1_sel:BYTE_1
	v_and_b32_e32 v4, 0x7f, v3
	v_cmpx_ne_u32_e32 0x7f, v4
	s_cbranch_execz .LBB189_559
; %bb.556:                              ;   in Loop: Header=BB189_12 Depth=1
	v_and_b32_e32 v24, 7, v3
	v_lshrrev_b32_e32 v3, 3, v4
	s_mov_b32 s23, exec_lo
	v_cmpx_gt_u32_e32 8, v4
; %bb.557:                              ;   in Loop: Header=BB189_12 Depth=1
	v_ffbh_u32_e32 v3, v24
	v_min_u32_e32 v3, 32, v3
	v_subrev_nc_u32_e32 v4, 28, v3
	v_sub_nc_u32_e32 v3, 29, v3
	v_lshlrev_b64 v[4:5], v4, v[24:25]
	v_and_b32_e32 v24, 7, v4
; %bb.558:                              ;   in Loop: Header=BB189_12 Depth=1
	s_or_b32 exec_lo, exec_lo, s23
	v_lshlrev_b32_e32 v2, 16, v2
	v_lshlrev_b32_e32 v4, 20, v24
	v_lshl_add_u32 v3, v3, 23, 0x3c000000
	v_and_b32_e32 v2, 0x80000000, v2
	v_or3_b32 v3, v4, v2, v3
	v_mov_b32_e32 v2, v25
	buffer_store_dword v2, off, s[0:3], s32 offset:752 ; 4-byte Folded Spill
	buffer_store_dword v3, off, s[0:3], s32 offset:756 ; 4-byte Folded Spill
.LBB189_559:                            ;   in Loop: Header=BB189_12 Depth=1
	s_or_b32 exec_lo, exec_lo, s22
.LBB189_560:                            ;   in Loop: Header=BB189_12 Depth=1
	s_or_b32 exec_lo, exec_lo, s21
.LBB189_561:                            ;   in Loop: Header=BB189_12 Depth=1
	s_or_b32 exec_lo, exec_lo, s20
	buffer_load_dword v2, off, s[0:3], s32 offset:196 ; 4-byte Folded Reload
	s_waitcnt vmcnt(0)
	v_add_co_u32 v2, s6, v0, v2
	v_add_co_ci_u32_e64 v3, null, 0, v1, s6
	flat_load_ushort v3, v[2:3]
	s_waitcnt vmcnt(0) lgkmcnt(0)
	v_and_b32_e32 v2, 0xffff, v3
	v_cmp_ne_u16_sdwa s6, v3, v25 src0_sel:BYTE_0 src1_sel:DWORD
	v_mov_b32_e32 v3, 0
	v_mov_b32_e32 v4, 0
	buffer_store_dword v3, off, s[0:3], s32 offset:784 ; 4-byte Folded Spill
	buffer_store_dword v4, off, s[0:3], s32 offset:788 ; 4-byte Folded Spill
	v_mov_b32_e32 v3, 0
	v_mov_b32_e32 v4, 0
	buffer_store_dword v3, off, s[0:3], s32 offset:776 ; 4-byte Folded Spill
	buffer_store_dword v4, off, s[0:3], s32 offset:780 ; 4-byte Folded Spill
	s_and_saveexec_b32 s20, s6
	s_cbranch_execz .LBB189_569
; %bb.562:                              ;   in Loop: Header=BB189_12 Depth=1
	v_bfrev_b32_e32 v3, 1
	v_mov_b32_e32 v4, 0
	v_cmp_ne_u16_sdwa s6, v2, v6 src0_sel:BYTE_0 src1_sel:DWORD
	buffer_store_dword v3, off, s[0:3], s32 offset:776 ; 4-byte Folded Spill
	buffer_store_dword v4, off, s[0:3], s32 offset:780 ; 4-byte Folded Spill
	s_and_saveexec_b32 s21, s6
	s_cbranch_execz .LBB189_568
; %bb.563:                              ;   in Loop: Header=BB189_12 Depth=1
	v_mov_b32_e32 v7, 0x7f800001
	v_and_b32_e32 v4, 0x7f, v2
	v_mov_b32_e32 v8, 0
	s_mov_b32 s22, exec_lo
	buffer_store_dword v7, off, s[0:3], s32 offset:776 ; 4-byte Folded Spill
	buffer_store_dword v8, off, s[0:3], s32 offset:780 ; 4-byte Folded Spill
	v_cmpx_ne_u32_e32 0x7f, v4
	s_cbranch_execz .LBB189_567
; %bb.564:                              ;   in Loop: Header=BB189_12 Depth=1
	v_and_b32_e32 v24, 7, v2
	v_lshrrev_b32_e32 v3, 3, v4
	s_mov_b32 s23, exec_lo
	v_cmpx_gt_u32_e32 8, v4
; %bb.565:                              ;   in Loop: Header=BB189_12 Depth=1
	v_ffbh_u32_e32 v3, v24
	v_min_u32_e32 v3, 32, v3
	v_subrev_nc_u32_e32 v4, 28, v3
	v_sub_nc_u32_e32 v3, 29, v3
	v_lshlrev_b64 v[4:5], v4, v[24:25]
	v_and_b32_e32 v24, 7, v4
; %bb.566:                              ;   in Loop: Header=BB189_12 Depth=1
	s_or_b32 exec_lo, exec_lo, s23
	v_lshlrev_b32_e32 v4, 24, v2
	v_lshlrev_b32_e32 v5, 20, v24
	v_lshl_add_u32 v3, v3, 23, 0x3c000000
	v_and_b32_e32 v4, 0x80000000, v4
	v_or3_b32 v24, v5, v4, v3
	buffer_store_dword v24, off, s[0:3], s32 offset:776 ; 4-byte Folded Spill
	buffer_store_dword v25, off, s[0:3], s32 offset:780 ; 4-byte Folded Spill
.LBB189_567:                            ;   in Loop: Header=BB189_12 Depth=1
	s_or_b32 exec_lo, exec_lo, s22
.LBB189_568:                            ;   in Loop: Header=BB189_12 Depth=1
	s_or_b32 exec_lo, exec_lo, s21
.LBB189_569:                            ;   in Loop: Header=BB189_12 Depth=1
	s_or_b32 exec_lo, exec_lo, s20
	v_cmp_ne_u16_sdwa s6, v2, v25 src0_sel:BYTE_1 src1_sel:DWORD
	s_and_saveexec_b32 s20, s6
	s_cbranch_execz .LBB189_577
; %bb.570:                              ;   in Loop: Header=BB189_12 Depth=1
	v_mov_b32_e32 v114, v25
	v_cmp_ne_u16_sdwa s6, v2, v6 src0_sel:BYTE_1 src1_sel:DWORD
	buffer_store_dword v114, off, s[0:3], s32 offset:784 ; 4-byte Folded Spill
	buffer_store_dword v115, off, s[0:3], s32 offset:788 ; 4-byte Folded Spill
	s_and_saveexec_b32 s21, s6
	s_cbranch_execz .LBB189_576
; %bb.571:                              ;   in Loop: Header=BB189_12 Depth=1
	v_mov_b32_e32 v3, 0xffff
	v_mov_b32_e32 v37, v25
	s_mov_b32 s22, exec_lo
	buffer_store_dword v37, off, s[0:3], s32 offset:784 ; 4-byte Folded Spill
	buffer_store_dword v38, off, s[0:3], s32 offset:788 ; 4-byte Folded Spill
	v_and_b32_sdwa v3, v3, v2 dst_sel:DWORD dst_unused:UNUSED_PAD src0_sel:DWORD src1_sel:BYTE_1
	v_and_b32_e32 v4, 0x7f, v3
	v_cmpx_ne_u32_e32 0x7f, v4
	s_cbranch_execz .LBB189_575
; %bb.572:                              ;   in Loop: Header=BB189_12 Depth=1
	v_and_b32_e32 v24, 7, v3
	v_lshrrev_b32_e32 v3, 3, v4
	s_mov_b32 s23, exec_lo
	v_cmpx_gt_u32_e32 8, v4
; %bb.573:                              ;   in Loop: Header=BB189_12 Depth=1
	v_ffbh_u32_e32 v3, v24
	v_min_u32_e32 v3, 32, v3
	v_subrev_nc_u32_e32 v4, 28, v3
	v_sub_nc_u32_e32 v3, 29, v3
	v_lshlrev_b64 v[4:5], v4, v[24:25]
	v_and_b32_e32 v24, 7, v4
; %bb.574:                              ;   in Loop: Header=BB189_12 Depth=1
	s_or_b32 exec_lo, exec_lo, s23
	v_lshlrev_b32_e32 v2, 16, v2
	v_lshlrev_b32_e32 v4, 20, v24
	v_lshl_add_u32 v3, v3, 23, 0x3c000000
	v_and_b32_e32 v2, 0x80000000, v2
	v_or3_b32 v3, v4, v2, v3
	v_mov_b32_e32 v2, v25
	buffer_store_dword v2, off, s[0:3], s32 offset:784 ; 4-byte Folded Spill
	buffer_store_dword v3, off, s[0:3], s32 offset:788 ; 4-byte Folded Spill
.LBB189_575:                            ;   in Loop: Header=BB189_12 Depth=1
	s_or_b32 exec_lo, exec_lo, s22
.LBB189_576:                            ;   in Loop: Header=BB189_12 Depth=1
	s_or_b32 exec_lo, exec_lo, s21
.LBB189_577:                            ;   in Loop: Header=BB189_12 Depth=1
	s_or_b32 exec_lo, exec_lo, s20
	buffer_load_dword v2, off, s[0:3], s32 offset:200 ; 4-byte Folded Reload
	s_waitcnt vmcnt(0)
	v_add_co_u32 v0, s6, v0, v2
	v_add_co_ci_u32_e64 v1, null, 0, v1, s6
	flat_load_ushort v1, v[0:1]
	s_waitcnt vmcnt(0) lgkmcnt(0)
	v_and_b32_e32 v0, 0xffff, v1
	v_cmp_ne_u16_sdwa s6, v1, v25 src0_sel:BYTE_0 src1_sel:DWORD
	v_mov_b32_e32 v1, 0
	v_mov_b32_e32 v2, 0
	buffer_store_dword v1, off, s[0:3], s32 offset:768 ; 4-byte Folded Spill
	buffer_store_dword v2, off, s[0:3], s32 offset:772 ; 4-byte Folded Spill
	v_mov_b32_e32 v1, 0
	v_mov_b32_e32 v2, 0
	buffer_store_dword v1, off, s[0:3], s32 offset:760 ; 4-byte Folded Spill
	buffer_store_dword v2, off, s[0:3], s32 offset:764 ; 4-byte Folded Spill
	s_and_saveexec_b32 s20, s6
	s_cbranch_execz .LBB189_585
; %bb.578:                              ;   in Loop: Header=BB189_12 Depth=1
	v_bfrev_b32_e32 v1, 1
	v_mov_b32_e32 v2, 0
	v_cmp_ne_u16_sdwa s6, v0, v6 src0_sel:BYTE_0 src1_sel:DWORD
	buffer_store_dword v1, off, s[0:3], s32 offset:760 ; 4-byte Folded Spill
	buffer_store_dword v2, off, s[0:3], s32 offset:764 ; 4-byte Folded Spill
	s_and_saveexec_b32 s21, s6
	s_cbranch_execz .LBB189_584
; %bb.579:                              ;   in Loop: Header=BB189_12 Depth=1
	v_mov_b32_e32 v3, 0x7f800001
	v_and_b32_e32 v2, 0x7f, v0
	v_mov_b32_e32 v4, 0
	s_mov_b32 s22, exec_lo
	buffer_store_dword v3, off, s[0:3], s32 offset:760 ; 4-byte Folded Spill
	buffer_store_dword v4, off, s[0:3], s32 offset:764 ; 4-byte Folded Spill
	v_cmpx_ne_u32_e32 0x7f, v2
	s_cbranch_execz .LBB189_583
; %bb.580:                              ;   in Loop: Header=BB189_12 Depth=1
	v_and_b32_e32 v24, 7, v0
	v_lshrrev_b32_e32 v1, 3, v2
	s_mov_b32 s23, exec_lo
	v_cmpx_gt_u32_e32 8, v2
; %bb.581:                              ;   in Loop: Header=BB189_12 Depth=1
	v_ffbh_u32_e32 v1, v24
	v_min_u32_e32 v1, 32, v1
	v_subrev_nc_u32_e32 v2, 28, v1
	v_sub_nc_u32_e32 v1, 29, v1
	v_lshlrev_b64 v[2:3], v2, v[24:25]
	v_and_b32_e32 v24, 7, v2
; %bb.582:                              ;   in Loop: Header=BB189_12 Depth=1
	s_or_b32 exec_lo, exec_lo, s23
	v_lshlrev_b32_e32 v2, 24, v0
	v_lshlrev_b32_e32 v3, 20, v24
	v_lshl_add_u32 v1, v1, 23, 0x3c000000
	v_and_b32_e32 v2, 0x80000000, v2
	v_or3_b32 v24, v3, v2, v1
	buffer_store_dword v24, off, s[0:3], s32 offset:760 ; 4-byte Folded Spill
	buffer_store_dword v25, off, s[0:3], s32 offset:764 ; 4-byte Folded Spill
.LBB189_583:                            ;   in Loop: Header=BB189_12 Depth=1
	s_or_b32 exec_lo, exec_lo, s22
.LBB189_584:                            ;   in Loop: Header=BB189_12 Depth=1
	s_or_b32 exec_lo, exec_lo, s21
.LBB189_585:                            ;   in Loop: Header=BB189_12 Depth=1
	s_or_b32 exec_lo, exec_lo, s20
	v_cmp_ne_u16_sdwa s6, v0, v25 src0_sel:BYTE_1 src1_sel:DWORD
	s_and_saveexec_b32 s20, s6
	s_cbranch_execz .LBB189_593
; %bb.586:                              ;   in Loop: Header=BB189_12 Depth=1
	v_mov_b32_e32 v114, v25
	v_cmp_ne_u16_sdwa s6, v0, v6 src0_sel:BYTE_1 src1_sel:DWORD
	buffer_store_dword v114, off, s[0:3], s32 offset:768 ; 4-byte Folded Spill
	buffer_store_dword v115, off, s[0:3], s32 offset:772 ; 4-byte Folded Spill
	s_and_saveexec_b32 s21, s6
	s_cbranch_execz .LBB189_592
; %bb.587:                              ;   in Loop: Header=BB189_12 Depth=1
	v_mov_b32_e32 v1, 0xffff
	v_mov_b32_e32 v37, v25
	s_mov_b32 s22, exec_lo
	buffer_store_dword v37, off, s[0:3], s32 offset:768 ; 4-byte Folded Spill
	buffer_store_dword v38, off, s[0:3], s32 offset:772 ; 4-byte Folded Spill
	v_and_b32_sdwa v1, v1, v0 dst_sel:DWORD dst_unused:UNUSED_PAD src0_sel:DWORD src1_sel:BYTE_1
	v_and_b32_e32 v2, 0x7f, v1
	v_cmpx_ne_u32_e32 0x7f, v2
	s_cbranch_execz .LBB189_591
; %bb.588:                              ;   in Loop: Header=BB189_12 Depth=1
	v_and_b32_e32 v24, 7, v1
	v_lshrrev_b32_e32 v1, 3, v2
	s_mov_b32 s23, exec_lo
	v_cmpx_gt_u32_e32 8, v2
; %bb.589:                              ;   in Loop: Header=BB189_12 Depth=1
	v_ffbh_u32_e32 v1, v24
	v_min_u32_e32 v1, 32, v1
	v_subrev_nc_u32_e32 v2, 28, v1
	v_sub_nc_u32_e32 v1, 29, v1
	v_lshlrev_b64 v[2:3], v2, v[24:25]
	v_and_b32_e32 v24, 7, v2
; %bb.590:                              ;   in Loop: Header=BB189_12 Depth=1
	s_or_b32 exec_lo, exec_lo, s23
	v_lshlrev_b32_e32 v0, 16, v0
	v_lshlrev_b32_e32 v2, 20, v24
	v_lshl_add_u32 v1, v1, 23, 0x3c000000
	v_and_b32_e32 v0, 0x80000000, v0
	v_or3_b32 v1, v2, v0, v1
	v_mov_b32_e32 v0, v25
	buffer_store_dword v0, off, s[0:3], s32 offset:768 ; 4-byte Folded Spill
	buffer_store_dword v1, off, s[0:3], s32 offset:772 ; 4-byte Folded Spill
.LBB189_591:                            ;   in Loop: Header=BB189_12 Depth=1
	s_or_b32 exec_lo, exec_lo, s22
.LBB189_592:                            ;   in Loop: Header=BB189_12 Depth=1
	s_or_b32 exec_lo, exec_lo, s21
.LBB189_593:                            ;   in Loop: Header=BB189_12 Depth=1
	s_or_b32 exec_lo, exec_lo, s20
	v_add_co_u32 v0, s6, 0x900, v88
	v_add_co_ci_u32_e64 v1, null, 0, v89, s6
	v_add_co_u32 v2, s6, v0, v118
	v_add_co_ci_u32_e64 v3, null, 0, v1, s6
	flat_load_ushort v3, v[2:3]
	s_waitcnt vmcnt(0) lgkmcnt(0)
	v_and_b32_e32 v2, 0xffff, v3
	v_cmp_ne_u16_sdwa s6, v3, v25 src0_sel:BYTE_0 src1_sel:DWORD
	v_mov_b32_e32 v3, 0
	v_mov_b32_e32 v4, 0
	buffer_store_dword v3, off, s[0:3], s32 offset:800 ; 4-byte Folded Spill
	buffer_store_dword v4, off, s[0:3], s32 offset:804 ; 4-byte Folded Spill
	v_mov_b32_e32 v3, 0
	v_mov_b32_e32 v4, 0
	buffer_store_dword v3, off, s[0:3], s32 offset:792 ; 4-byte Folded Spill
	buffer_store_dword v4, off, s[0:3], s32 offset:796 ; 4-byte Folded Spill
	s_and_saveexec_b32 s20, s6
	s_cbranch_execz .LBB189_601
; %bb.594:                              ;   in Loop: Header=BB189_12 Depth=1
	v_bfrev_b32_e32 v3, 1
	v_mov_b32_e32 v4, 0
	v_cmp_ne_u16_sdwa s6, v2, v6 src0_sel:BYTE_0 src1_sel:DWORD
	buffer_store_dword v3, off, s[0:3], s32 offset:792 ; 4-byte Folded Spill
	buffer_store_dword v4, off, s[0:3], s32 offset:796 ; 4-byte Folded Spill
	s_and_saveexec_b32 s21, s6
	s_cbranch_execz .LBB189_600
; %bb.595:                              ;   in Loop: Header=BB189_12 Depth=1
	v_mov_b32_e32 v7, 0x7f800001
	v_and_b32_e32 v4, 0x7f, v2
	v_mov_b32_e32 v8, 0
	s_mov_b32 s22, exec_lo
	buffer_store_dword v7, off, s[0:3], s32 offset:792 ; 4-byte Folded Spill
	buffer_store_dword v8, off, s[0:3], s32 offset:796 ; 4-byte Folded Spill
	v_cmpx_ne_u32_e32 0x7f, v4
	s_cbranch_execz .LBB189_599
; %bb.596:                              ;   in Loop: Header=BB189_12 Depth=1
	v_and_b32_e32 v24, 7, v2
	v_lshrrev_b32_e32 v3, 3, v4
	s_mov_b32 s23, exec_lo
	v_cmpx_gt_u32_e32 8, v4
; %bb.597:                              ;   in Loop: Header=BB189_12 Depth=1
	v_ffbh_u32_e32 v3, v24
	v_min_u32_e32 v3, 32, v3
	v_subrev_nc_u32_e32 v4, 28, v3
	v_sub_nc_u32_e32 v3, 29, v3
	v_lshlrev_b64 v[4:5], v4, v[24:25]
	v_and_b32_e32 v24, 7, v4
; %bb.598:                              ;   in Loop: Header=BB189_12 Depth=1
	s_or_b32 exec_lo, exec_lo, s23
	v_lshlrev_b32_e32 v4, 24, v2
	v_lshlrev_b32_e32 v5, 20, v24
	v_lshl_add_u32 v3, v3, 23, 0x3c000000
	v_and_b32_e32 v4, 0x80000000, v4
	v_or3_b32 v24, v5, v4, v3
	buffer_store_dword v24, off, s[0:3], s32 offset:792 ; 4-byte Folded Spill
	buffer_store_dword v25, off, s[0:3], s32 offset:796 ; 4-byte Folded Spill
.LBB189_599:                            ;   in Loop: Header=BB189_12 Depth=1
	s_or_b32 exec_lo, exec_lo, s22
.LBB189_600:                            ;   in Loop: Header=BB189_12 Depth=1
	s_or_b32 exec_lo, exec_lo, s21
.LBB189_601:                            ;   in Loop: Header=BB189_12 Depth=1
	s_or_b32 exec_lo, exec_lo, s20
	v_cmp_ne_u16_sdwa s6, v2, v25 src0_sel:BYTE_1 src1_sel:DWORD
	s_and_saveexec_b32 s20, s6
	s_cbranch_execz .LBB189_609
; %bb.602:                              ;   in Loop: Header=BB189_12 Depth=1
	v_mov_b32_e32 v114, v25
	v_cmp_ne_u16_sdwa s6, v2, v6 src0_sel:BYTE_1 src1_sel:DWORD
	buffer_store_dword v114, off, s[0:3], s32 offset:800 ; 4-byte Folded Spill
	buffer_store_dword v115, off, s[0:3], s32 offset:804 ; 4-byte Folded Spill
	s_and_saveexec_b32 s21, s6
	s_cbranch_execz .LBB189_608
; %bb.603:                              ;   in Loop: Header=BB189_12 Depth=1
	v_mov_b32_e32 v3, 0xffff
	v_mov_b32_e32 v37, v25
	s_mov_b32 s22, exec_lo
	buffer_store_dword v37, off, s[0:3], s32 offset:800 ; 4-byte Folded Spill
	buffer_store_dword v38, off, s[0:3], s32 offset:804 ; 4-byte Folded Spill
	v_and_b32_sdwa v3, v3, v2 dst_sel:DWORD dst_unused:UNUSED_PAD src0_sel:DWORD src1_sel:BYTE_1
	v_and_b32_e32 v4, 0x7f, v3
	v_cmpx_ne_u32_e32 0x7f, v4
	s_cbranch_execz .LBB189_607
; %bb.604:                              ;   in Loop: Header=BB189_12 Depth=1
	v_and_b32_e32 v24, 7, v3
	v_lshrrev_b32_e32 v3, 3, v4
	s_mov_b32 s23, exec_lo
	v_cmpx_gt_u32_e32 8, v4
; %bb.605:                              ;   in Loop: Header=BB189_12 Depth=1
	v_ffbh_u32_e32 v3, v24
	v_min_u32_e32 v3, 32, v3
	v_subrev_nc_u32_e32 v4, 28, v3
	v_sub_nc_u32_e32 v3, 29, v3
	v_lshlrev_b64 v[4:5], v4, v[24:25]
	v_and_b32_e32 v24, 7, v4
; %bb.606:                              ;   in Loop: Header=BB189_12 Depth=1
	s_or_b32 exec_lo, exec_lo, s23
	v_lshlrev_b32_e32 v2, 16, v2
	v_lshlrev_b32_e32 v4, 20, v24
	v_lshl_add_u32 v3, v3, 23, 0x3c000000
	v_and_b32_e32 v2, 0x80000000, v2
	v_or3_b32 v3, v4, v2, v3
	v_mov_b32_e32 v2, v25
	buffer_store_dword v2, off, s[0:3], s32 offset:800 ; 4-byte Folded Spill
	buffer_store_dword v3, off, s[0:3], s32 offset:804 ; 4-byte Folded Spill
.LBB189_607:                            ;   in Loop: Header=BB189_12 Depth=1
	s_or_b32 exec_lo, exec_lo, s22
.LBB189_608:                            ;   in Loop: Header=BB189_12 Depth=1
	s_or_b32 exec_lo, exec_lo, s21
.LBB189_609:                            ;   in Loop: Header=BB189_12 Depth=1
	s_or_b32 exec_lo, exec_lo, s20
	buffer_load_dword v2, off, s[0:3], s32 offset:192 ; 4-byte Folded Reload
	v_mov_b32_e32 v80, 0
	v_mov_b32_e32 v81, 0
	s_waitcnt vmcnt(0)
	v_add_co_u32 v2, s6, v0, v2
	v_add_co_ci_u32_e64 v3, null, 0, v1, s6
	flat_load_ushort v3, v[2:3]
	s_waitcnt vmcnt(0) lgkmcnt(0)
	v_and_b32_e32 v2, 0xffff, v3
	v_cmp_ne_u16_sdwa s6, v3, v25 src0_sel:BYTE_0 src1_sel:DWORD
	v_mov_b32_e32 v3, 0
	v_mov_b32_e32 v4, 0
	buffer_store_dword v3, off, s[0:3], s32 offset:824 ; 4-byte Folded Spill
	buffer_store_dword v4, off, s[0:3], s32 offset:828 ; 4-byte Folded Spill
	s_and_saveexec_b32 s20, s6
	s_cbranch_execz .LBB189_617
; %bb.610:                              ;   in Loop: Header=BB189_12 Depth=1
	v_bfrev_b32_e32 v3, 1
	v_mov_b32_e32 v4, 0
	v_cmp_ne_u16_sdwa s6, v2, v6 src0_sel:BYTE_0 src1_sel:DWORD
	buffer_store_dword v3, off, s[0:3], s32 offset:824 ; 4-byte Folded Spill
	buffer_store_dword v4, off, s[0:3], s32 offset:828 ; 4-byte Folded Spill
	s_and_saveexec_b32 s21, s6
	s_cbranch_execz .LBB189_616
; %bb.611:                              ;   in Loop: Header=BB189_12 Depth=1
	v_mov_b32_e32 v7, 0x7f800001
	v_and_b32_e32 v4, 0x7f, v2
	v_mov_b32_e32 v8, 0
	s_mov_b32 s22, exec_lo
	buffer_store_dword v7, off, s[0:3], s32 offset:824 ; 4-byte Folded Spill
	buffer_store_dword v8, off, s[0:3], s32 offset:828 ; 4-byte Folded Spill
	v_cmpx_ne_u32_e32 0x7f, v4
	s_cbranch_execz .LBB189_615
; %bb.612:                              ;   in Loop: Header=BB189_12 Depth=1
	v_and_b32_e32 v24, 7, v2
	v_lshrrev_b32_e32 v3, 3, v4
	s_mov_b32 s23, exec_lo
	v_cmpx_gt_u32_e32 8, v4
; %bb.613:                              ;   in Loop: Header=BB189_12 Depth=1
	v_ffbh_u32_e32 v3, v24
	v_min_u32_e32 v3, 32, v3
	v_subrev_nc_u32_e32 v4, 28, v3
	v_sub_nc_u32_e32 v3, 29, v3
	v_lshlrev_b64 v[4:5], v4, v[24:25]
	v_and_b32_e32 v24, 7, v4
; %bb.614:                              ;   in Loop: Header=BB189_12 Depth=1
	s_or_b32 exec_lo, exec_lo, s23
	v_lshlrev_b32_e32 v4, 24, v2
	v_lshlrev_b32_e32 v5, 20, v24
	v_lshl_add_u32 v3, v3, 23, 0x3c000000
	v_and_b32_e32 v4, 0x80000000, v4
	v_or3_b32 v24, v5, v4, v3
	buffer_store_dword v24, off, s[0:3], s32 offset:824 ; 4-byte Folded Spill
	buffer_store_dword v25, off, s[0:3], s32 offset:828 ; 4-byte Folded Spill
.LBB189_615:                            ;   in Loop: Header=BB189_12 Depth=1
	s_or_b32 exec_lo, exec_lo, s22
.LBB189_616:                            ;   in Loop: Header=BB189_12 Depth=1
	s_or_b32 exec_lo, exec_lo, s21
.LBB189_617:                            ;   in Loop: Header=BB189_12 Depth=1
	s_or_b32 exec_lo, exec_lo, s20
	v_cmp_ne_u16_sdwa s6, v2, v25 src0_sel:BYTE_1 src1_sel:DWORD
	s_and_saveexec_b32 s20, s6
	s_cbranch_execz .LBB189_625
; %bb.618:                              ;   in Loop: Header=BB189_12 Depth=1
	v_mov_b32_e32 v114, v25
	v_cmp_ne_u16_sdwa s6, v2, v6 src0_sel:BYTE_1 src1_sel:DWORD
	v_mov_b32_e32 v80, v114
	v_mov_b32_e32 v81, v115
	s_and_saveexec_b32 s21, s6
	s_cbranch_execz .LBB189_624
; %bb.619:                              ;   in Loop: Header=BB189_12 Depth=1
	v_mov_b32_e32 v3, 0xffff
	v_mov_b32_e32 v37, v25
	;; [unrolled: 1-line block ×3, first 2 shown]
	s_mov_b32 s22, exec_lo
	v_and_b32_sdwa v3, v3, v2 dst_sel:DWORD dst_unused:UNUSED_PAD src0_sel:DWORD src1_sel:BYTE_1
	v_mov_b32_e32 v80, v37
	v_and_b32_e32 v4, 0x7f, v3
	v_cmpx_ne_u32_e32 0x7f, v4
	s_cbranch_execz .LBB189_623
; %bb.620:                              ;   in Loop: Header=BB189_12 Depth=1
	v_and_b32_e32 v24, 7, v3
	v_lshrrev_b32_e32 v3, 3, v4
	s_mov_b32 s23, exec_lo
	v_cmpx_gt_u32_e32 8, v4
; %bb.621:                              ;   in Loop: Header=BB189_12 Depth=1
	v_ffbh_u32_e32 v3, v24
	v_min_u32_e32 v3, 32, v3
	v_subrev_nc_u32_e32 v4, 28, v3
	v_sub_nc_u32_e32 v3, 29, v3
	v_lshlrev_b64 v[4:5], v4, v[24:25]
	v_and_b32_e32 v24, 7, v4
; %bb.622:                              ;   in Loop: Header=BB189_12 Depth=1
	s_or_b32 exec_lo, exec_lo, s23
	v_lshlrev_b32_e32 v2, 16, v2
	v_lshlrev_b32_e32 v4, 20, v24
	v_lshl_add_u32 v3, v3, 23, 0x3c000000
	v_mov_b32_e32 v80, v25
	v_and_b32_e32 v2, 0x80000000, v2
	v_or3_b32 v81, v4, v2, v3
.LBB189_623:                            ;   in Loop: Header=BB189_12 Depth=1
	s_or_b32 exec_lo, exec_lo, s22
.LBB189_624:                            ;   in Loop: Header=BB189_12 Depth=1
	s_or_b32 exec_lo, exec_lo, s21
.LBB189_625:                            ;   in Loop: Header=BB189_12 Depth=1
	s_or_b32 exec_lo, exec_lo, s20
	buffer_load_dword v2, off, s[0:3], s32 offset:196 ; 4-byte Folded Reload
	s_waitcnt vmcnt(0)
	v_add_co_u32 v2, s6, v0, v2
	v_add_co_ci_u32_e64 v3, null, 0, v1, s6
	flat_load_ushort v3, v[2:3]
	s_waitcnt vmcnt(0) lgkmcnt(0)
	v_and_b32_e32 v2, 0xffff, v3
	v_cmp_ne_u16_sdwa s6, v3, v25 src0_sel:BYTE_0 src1_sel:DWORD
	v_mov_b32_e32 v3, 0
	v_mov_b32_e32 v4, 0
	buffer_store_dword v3, off, s[0:3], s32 offset:816 ; 4-byte Folded Spill
	buffer_store_dword v4, off, s[0:3], s32 offset:820 ; 4-byte Folded Spill
	v_mov_b32_e32 v3, 0
	v_mov_b32_e32 v4, 0
	buffer_store_dword v3, off, s[0:3], s32 offset:808 ; 4-byte Folded Spill
	buffer_store_dword v4, off, s[0:3], s32 offset:812 ; 4-byte Folded Spill
	s_and_saveexec_b32 s20, s6
	s_cbranch_execz .LBB189_633
; %bb.626:                              ;   in Loop: Header=BB189_12 Depth=1
	v_bfrev_b32_e32 v3, 1
	v_mov_b32_e32 v4, 0
	v_cmp_ne_u16_sdwa s6, v2, v6 src0_sel:BYTE_0 src1_sel:DWORD
	buffer_store_dword v3, off, s[0:3], s32 offset:808 ; 4-byte Folded Spill
	buffer_store_dword v4, off, s[0:3], s32 offset:812 ; 4-byte Folded Spill
	s_and_saveexec_b32 s21, s6
	s_cbranch_execz .LBB189_632
; %bb.627:                              ;   in Loop: Header=BB189_12 Depth=1
	v_mov_b32_e32 v7, 0x7f800001
	v_and_b32_e32 v4, 0x7f, v2
	v_mov_b32_e32 v8, 0
	s_mov_b32 s22, exec_lo
	buffer_store_dword v7, off, s[0:3], s32 offset:808 ; 4-byte Folded Spill
	buffer_store_dword v8, off, s[0:3], s32 offset:812 ; 4-byte Folded Spill
	v_cmpx_ne_u32_e32 0x7f, v4
	s_cbranch_execz .LBB189_631
; %bb.628:                              ;   in Loop: Header=BB189_12 Depth=1
	v_and_b32_e32 v24, 7, v2
	v_lshrrev_b32_e32 v3, 3, v4
	s_mov_b32 s23, exec_lo
	v_cmpx_gt_u32_e32 8, v4
; %bb.629:                              ;   in Loop: Header=BB189_12 Depth=1
	v_ffbh_u32_e32 v3, v24
	v_min_u32_e32 v3, 32, v3
	v_subrev_nc_u32_e32 v4, 28, v3
	v_sub_nc_u32_e32 v3, 29, v3
	v_lshlrev_b64 v[4:5], v4, v[24:25]
	v_and_b32_e32 v24, 7, v4
; %bb.630:                              ;   in Loop: Header=BB189_12 Depth=1
	s_or_b32 exec_lo, exec_lo, s23
	v_lshlrev_b32_e32 v4, 24, v2
	v_lshlrev_b32_e32 v5, 20, v24
	v_lshl_add_u32 v3, v3, 23, 0x3c000000
	v_and_b32_e32 v4, 0x80000000, v4
	v_or3_b32 v24, v5, v4, v3
	buffer_store_dword v24, off, s[0:3], s32 offset:808 ; 4-byte Folded Spill
	buffer_store_dword v25, off, s[0:3], s32 offset:812 ; 4-byte Folded Spill
.LBB189_631:                            ;   in Loop: Header=BB189_12 Depth=1
	s_or_b32 exec_lo, exec_lo, s22
.LBB189_632:                            ;   in Loop: Header=BB189_12 Depth=1
	s_or_b32 exec_lo, exec_lo, s21
.LBB189_633:                            ;   in Loop: Header=BB189_12 Depth=1
	s_or_b32 exec_lo, exec_lo, s20
	v_cmp_ne_u16_sdwa s6, v2, v25 src0_sel:BYTE_1 src1_sel:DWORD
	s_and_saveexec_b32 s20, s6
	s_cbranch_execz .LBB189_641
; %bb.634:                              ;   in Loop: Header=BB189_12 Depth=1
	v_mov_b32_e32 v114, v25
	v_cmp_ne_u16_sdwa s6, v2, v6 src0_sel:BYTE_1 src1_sel:DWORD
	buffer_store_dword v114, off, s[0:3], s32 offset:816 ; 4-byte Folded Spill
	buffer_store_dword v115, off, s[0:3], s32 offset:820 ; 4-byte Folded Spill
	s_and_saveexec_b32 s21, s6
	s_cbranch_execz .LBB189_640
; %bb.635:                              ;   in Loop: Header=BB189_12 Depth=1
	v_mov_b32_e32 v3, 0xffff
	v_mov_b32_e32 v37, v25
	s_mov_b32 s22, exec_lo
	buffer_store_dword v37, off, s[0:3], s32 offset:816 ; 4-byte Folded Spill
	buffer_store_dword v38, off, s[0:3], s32 offset:820 ; 4-byte Folded Spill
	v_and_b32_sdwa v3, v3, v2 dst_sel:DWORD dst_unused:UNUSED_PAD src0_sel:DWORD src1_sel:BYTE_1
	v_and_b32_e32 v4, 0x7f, v3
	v_cmpx_ne_u32_e32 0x7f, v4
	s_cbranch_execz .LBB189_639
; %bb.636:                              ;   in Loop: Header=BB189_12 Depth=1
	v_and_b32_e32 v24, 7, v3
	v_lshrrev_b32_e32 v3, 3, v4
	s_mov_b32 s23, exec_lo
	v_cmpx_gt_u32_e32 8, v4
; %bb.637:                              ;   in Loop: Header=BB189_12 Depth=1
	v_ffbh_u32_e32 v3, v24
	v_min_u32_e32 v3, 32, v3
	v_subrev_nc_u32_e32 v4, 28, v3
	v_sub_nc_u32_e32 v3, 29, v3
	v_lshlrev_b64 v[4:5], v4, v[24:25]
	v_and_b32_e32 v24, 7, v4
; %bb.638:                              ;   in Loop: Header=BB189_12 Depth=1
	s_or_b32 exec_lo, exec_lo, s23
	v_lshlrev_b32_e32 v2, 16, v2
	v_lshlrev_b32_e32 v4, 20, v24
	v_lshl_add_u32 v3, v3, 23, 0x3c000000
	v_and_b32_e32 v2, 0x80000000, v2
	v_or3_b32 v3, v4, v2, v3
	v_mov_b32_e32 v2, v25
	buffer_store_dword v2, off, s[0:3], s32 offset:816 ; 4-byte Folded Spill
	buffer_store_dword v3, off, s[0:3], s32 offset:820 ; 4-byte Folded Spill
.LBB189_639:                            ;   in Loop: Header=BB189_12 Depth=1
	s_or_b32 exec_lo, exec_lo, s22
.LBB189_640:                            ;   in Loop: Header=BB189_12 Depth=1
	s_or_b32 exec_lo, exec_lo, s21
.LBB189_641:                            ;   in Loop: Header=BB189_12 Depth=1
	s_or_b32 exec_lo, exec_lo, s20
	buffer_load_dword v2, off, s[0:3], s32 offset:200 ; 4-byte Folded Reload
	v_mov_b32_e32 v96, 0
	v_mov_b32_e32 v86, 0
	;; [unrolled: 1-line block ×4, first 2 shown]
	s_waitcnt vmcnt(0)
	v_add_co_u32 v0, s6, v0, v2
	v_add_co_ci_u32_e64 v1, null, 0, v1, s6
	flat_load_ushort v1, v[0:1]
	s_waitcnt vmcnt(0) lgkmcnt(0)
	v_and_b32_e32 v0, 0xffff, v1
	v_cmp_ne_u16_sdwa s6, v1, v25 src0_sel:BYTE_0 src1_sel:DWORD
	s_and_saveexec_b32 s20, s6
	s_cbranch_execz .LBB189_649
; %bb.642:                              ;   in Loop: Header=BB189_12 Depth=1
	v_bfrev_b32_e32 v86, 1
	v_mov_b32_e32 v87, 0
	v_cmp_ne_u16_sdwa s6, v0, v6 src0_sel:BYTE_0 src1_sel:DWORD
	s_and_saveexec_b32 s21, s6
	s_cbranch_execz .LBB189_648
; %bb.643:                              ;   in Loop: Header=BB189_12 Depth=1
	v_mov_b32_e32 v86, 0x7f800001
	v_and_b32_e32 v2, 0x7f, v0
	v_mov_b32_e32 v87, 0
	s_mov_b32 s22, exec_lo
	v_cmpx_ne_u32_e32 0x7f, v2
	s_cbranch_execz .LBB189_647
; %bb.644:                              ;   in Loop: Header=BB189_12 Depth=1
	v_and_b32_e32 v24, 7, v0
	v_lshrrev_b32_e32 v1, 3, v2
	s_mov_b32 s23, exec_lo
	v_cmpx_gt_u32_e32 8, v2
; %bb.645:                              ;   in Loop: Header=BB189_12 Depth=1
	v_ffbh_u32_e32 v1, v24
	v_min_u32_e32 v1, 32, v1
	v_subrev_nc_u32_e32 v2, 28, v1
	v_sub_nc_u32_e32 v1, 29, v1
	v_lshlrev_b64 v[2:3], v2, v[24:25]
	v_and_b32_e32 v24, 7, v2
; %bb.646:                              ;   in Loop: Header=BB189_12 Depth=1
	s_or_b32 exec_lo, exec_lo, s23
	v_lshlrev_b32_e32 v2, 24, v0
	v_lshlrev_b32_e32 v3, 20, v24
	v_lshl_add_u32 v1, v1, 23, 0x3c000000
	v_and_b32_e32 v2, 0x80000000, v2
	v_or3_b32 v24, v3, v2, v1
	v_mov_b32_e32 v87, v25
	v_mov_b32_e32 v86, v24
.LBB189_647:                            ;   in Loop: Header=BB189_12 Depth=1
	s_or_b32 exec_lo, exec_lo, s22
.LBB189_648:                            ;   in Loop: Header=BB189_12 Depth=1
	s_or_b32 exec_lo, exec_lo, s21
.LBB189_649:                            ;   in Loop: Header=BB189_12 Depth=1
	s_or_b32 exec_lo, exec_lo, s20
	v_cmp_ne_u16_sdwa s6, v0, v25 src0_sel:BYTE_1 src1_sel:DWORD
	s_and_saveexec_b32 s20, s6
	s_cbranch_execz .LBB189_657
; %bb.650:                              ;   in Loop: Header=BB189_12 Depth=1
	v_mov_b32_e32 v114, v25
	v_cmp_ne_u16_sdwa s6, v0, v6 src0_sel:BYTE_1 src1_sel:DWORD
	v_mov_b32_e32 v96, v114
	v_mov_b32_e32 v97, v115
	s_and_saveexec_b32 s21, s6
	s_cbranch_execz .LBB189_656
; %bb.651:                              ;   in Loop: Header=BB189_12 Depth=1
	v_mov_b32_e32 v1, 0xffff
	v_mov_b32_e32 v37, v25
	;; [unrolled: 1-line block ×3, first 2 shown]
	s_mov_b32 s22, exec_lo
	v_and_b32_sdwa v1, v1, v0 dst_sel:DWORD dst_unused:UNUSED_PAD src0_sel:DWORD src1_sel:BYTE_1
	v_mov_b32_e32 v96, v37
	v_and_b32_e32 v2, 0x7f, v1
	v_cmpx_ne_u32_e32 0x7f, v2
	s_cbranch_execz .LBB189_655
; %bb.652:                              ;   in Loop: Header=BB189_12 Depth=1
	v_and_b32_e32 v24, 7, v1
	v_lshrrev_b32_e32 v1, 3, v2
	s_mov_b32 s23, exec_lo
	v_cmpx_gt_u32_e32 8, v2
; %bb.653:                              ;   in Loop: Header=BB189_12 Depth=1
	v_ffbh_u32_e32 v1, v24
	v_min_u32_e32 v1, 32, v1
	v_subrev_nc_u32_e32 v2, 28, v1
	v_sub_nc_u32_e32 v1, 29, v1
	v_lshlrev_b64 v[2:3], v2, v[24:25]
	v_and_b32_e32 v24, 7, v2
; %bb.654:                              ;   in Loop: Header=BB189_12 Depth=1
	s_or_b32 exec_lo, exec_lo, s23
	v_lshlrev_b32_e32 v0, 16, v0
	v_lshlrev_b32_e32 v2, 20, v24
	v_lshl_add_u32 v1, v1, 23, 0x3c000000
	v_mov_b32_e32 v96, v25
	v_and_b32_e32 v0, 0x80000000, v0
	v_or3_b32 v97, v2, v0, v1
.LBB189_655:                            ;   in Loop: Header=BB189_12 Depth=1
	s_or_b32 exec_lo, exec_lo, s22
.LBB189_656:                            ;   in Loop: Header=BB189_12 Depth=1
	s_or_b32 exec_lo, exec_lo, s21
.LBB189_657:                            ;   in Loop: Header=BB189_12 Depth=1
	s_or_b32 exec_lo, exec_lo, s20
	v_add_co_u32 v0, s6, 0xa00, v88
	v_add_co_ci_u32_e64 v1, null, 0, v89, s6
	v_mov_b32_e32 v84, 0
	v_add_co_u32 v2, s6, v0, v118
	v_add_co_ci_u32_e64 v3, null, 0, v1, s6
	v_mov_b32_e32 v82, 0
	v_mov_b32_e32 v85, 0
	;; [unrolled: 1-line block ×3, first 2 shown]
	flat_load_ushort v3, v[2:3]
	s_waitcnt vmcnt(0) lgkmcnt(0)
	v_and_b32_e32 v2, 0xffff, v3
	v_cmp_ne_u16_sdwa s6, v3, v25 src0_sel:BYTE_0 src1_sel:DWORD
	s_and_saveexec_b32 s20, s6
	s_cbranch_execz .LBB189_665
; %bb.658:                              ;   in Loop: Header=BB189_12 Depth=1
	v_bfrev_b32_e32 v82, 1
	v_mov_b32_e32 v83, 0
	v_cmp_ne_u16_sdwa s6, v2, v6 src0_sel:BYTE_0 src1_sel:DWORD
	s_and_saveexec_b32 s21, s6
	s_cbranch_execz .LBB189_664
; %bb.659:                              ;   in Loop: Header=BB189_12 Depth=1
	v_mov_b32_e32 v82, 0x7f800001
	v_and_b32_e32 v4, 0x7f, v2
	v_mov_b32_e32 v83, 0
	s_mov_b32 s22, exec_lo
	v_cmpx_ne_u32_e32 0x7f, v4
	s_cbranch_execz .LBB189_663
; %bb.660:                              ;   in Loop: Header=BB189_12 Depth=1
	v_and_b32_e32 v24, 7, v2
	v_lshrrev_b32_e32 v3, 3, v4
	s_mov_b32 s23, exec_lo
	v_cmpx_gt_u32_e32 8, v4
; %bb.661:                              ;   in Loop: Header=BB189_12 Depth=1
	v_ffbh_u32_e32 v3, v24
	v_min_u32_e32 v3, 32, v3
	v_subrev_nc_u32_e32 v4, 28, v3
	v_sub_nc_u32_e32 v3, 29, v3
	v_lshlrev_b64 v[4:5], v4, v[24:25]
	v_and_b32_e32 v24, 7, v4
; %bb.662:                              ;   in Loop: Header=BB189_12 Depth=1
	s_or_b32 exec_lo, exec_lo, s23
	v_lshlrev_b32_e32 v4, 24, v2
	v_lshlrev_b32_e32 v5, 20, v24
	v_lshl_add_u32 v3, v3, 23, 0x3c000000
	v_and_b32_e32 v4, 0x80000000, v4
	v_or3_b32 v24, v5, v4, v3
	v_mov_b32_e32 v83, v25
	v_mov_b32_e32 v82, v24
.LBB189_663:                            ;   in Loop: Header=BB189_12 Depth=1
	s_or_b32 exec_lo, exec_lo, s22
.LBB189_664:                            ;   in Loop: Header=BB189_12 Depth=1
	s_or_b32 exec_lo, exec_lo, s21
.LBB189_665:                            ;   in Loop: Header=BB189_12 Depth=1
	s_or_b32 exec_lo, exec_lo, s20
	v_cmp_ne_u16_sdwa s6, v2, v25 src0_sel:BYTE_1 src1_sel:DWORD
	s_and_saveexec_b32 s20, s6
	s_cbranch_execz .LBB189_673
; %bb.666:                              ;   in Loop: Header=BB189_12 Depth=1
	v_mov_b32_e32 v114, v25
	v_cmp_ne_u16_sdwa s6, v2, v6 src0_sel:BYTE_1 src1_sel:DWORD
	v_mov_b32_e32 v84, v114
	v_mov_b32_e32 v85, v115
	s_and_saveexec_b32 s21, s6
	s_cbranch_execz .LBB189_672
; %bb.667:                              ;   in Loop: Header=BB189_12 Depth=1
	v_mov_b32_e32 v3, 0xffff
	v_mov_b32_e32 v37, v25
	;; [unrolled: 1-line block ×3, first 2 shown]
	s_mov_b32 s22, exec_lo
	v_and_b32_sdwa v3, v3, v2 dst_sel:DWORD dst_unused:UNUSED_PAD src0_sel:DWORD src1_sel:BYTE_1
	v_mov_b32_e32 v84, v37
	v_and_b32_e32 v4, 0x7f, v3
	v_cmpx_ne_u32_e32 0x7f, v4
	s_cbranch_execz .LBB189_671
; %bb.668:                              ;   in Loop: Header=BB189_12 Depth=1
	v_and_b32_e32 v24, 7, v3
	v_lshrrev_b32_e32 v3, 3, v4
	s_mov_b32 s23, exec_lo
	v_cmpx_gt_u32_e32 8, v4
; %bb.669:                              ;   in Loop: Header=BB189_12 Depth=1
	v_ffbh_u32_e32 v3, v24
	v_min_u32_e32 v3, 32, v3
	v_subrev_nc_u32_e32 v4, 28, v3
	v_sub_nc_u32_e32 v3, 29, v3
	v_lshlrev_b64 v[4:5], v4, v[24:25]
	v_and_b32_e32 v24, 7, v4
; %bb.670:                              ;   in Loop: Header=BB189_12 Depth=1
	s_or_b32 exec_lo, exec_lo, s23
	v_lshlrev_b32_e32 v2, 16, v2
	v_lshlrev_b32_e32 v4, 20, v24
	v_lshl_add_u32 v3, v3, 23, 0x3c000000
	v_mov_b32_e32 v84, v25
	v_and_b32_e32 v2, 0x80000000, v2
	v_or3_b32 v85, v4, v2, v3
.LBB189_671:                            ;   in Loop: Header=BB189_12 Depth=1
	s_or_b32 exec_lo, exec_lo, s22
.LBB189_672:                            ;   in Loop: Header=BB189_12 Depth=1
	s_or_b32 exec_lo, exec_lo, s21
.LBB189_673:                            ;   in Loop: Header=BB189_12 Depth=1
	s_or_b32 exec_lo, exec_lo, s20
	buffer_load_dword v2, off, s[0:3], s32 offset:192 ; 4-byte Folded Reload
	v_mov_b32_e32 v98, 0
	v_mov_b32_e32 v99, 0
	s_waitcnt vmcnt(0)
	v_add_co_u32 v2, s6, v0, v2
	v_add_co_ci_u32_e64 v3, null, 0, v1, s6
	flat_load_ushort v3, v[2:3]
	s_waitcnt vmcnt(0) lgkmcnt(0)
	v_and_b32_e32 v2, 0xffff, v3
	v_cmp_ne_u16_sdwa s6, v3, v25 src0_sel:BYTE_0 src1_sel:DWORD
	v_mov_b32_e32 v3, 0
	v_mov_b32_e32 v4, 0
	buffer_store_dword v3, off, s[0:3], s32 offset:832 ; 4-byte Folded Spill
	buffer_store_dword v4, off, s[0:3], s32 offset:836 ; 4-byte Folded Spill
	s_and_saveexec_b32 s20, s6
	s_cbranch_execz .LBB189_681
; %bb.674:                              ;   in Loop: Header=BB189_12 Depth=1
	v_bfrev_b32_e32 v3, 1
	v_mov_b32_e32 v4, 0
	v_cmp_ne_u16_sdwa s6, v2, v6 src0_sel:BYTE_0 src1_sel:DWORD
	buffer_store_dword v3, off, s[0:3], s32 offset:832 ; 4-byte Folded Spill
	buffer_store_dword v4, off, s[0:3], s32 offset:836 ; 4-byte Folded Spill
	s_and_saveexec_b32 s21, s6
	s_cbranch_execz .LBB189_680
; %bb.675:                              ;   in Loop: Header=BB189_12 Depth=1
	v_mov_b32_e32 v7, 0x7f800001
	v_and_b32_e32 v4, 0x7f, v2
	v_mov_b32_e32 v8, 0
	s_mov_b32 s22, exec_lo
	buffer_store_dword v7, off, s[0:3], s32 offset:832 ; 4-byte Folded Spill
	buffer_store_dword v8, off, s[0:3], s32 offset:836 ; 4-byte Folded Spill
	v_cmpx_ne_u32_e32 0x7f, v4
	s_cbranch_execz .LBB189_679
; %bb.676:                              ;   in Loop: Header=BB189_12 Depth=1
	v_and_b32_e32 v24, 7, v2
	v_lshrrev_b32_e32 v3, 3, v4
	s_mov_b32 s23, exec_lo
	v_cmpx_gt_u32_e32 8, v4
; %bb.677:                              ;   in Loop: Header=BB189_12 Depth=1
	v_ffbh_u32_e32 v3, v24
	v_min_u32_e32 v3, 32, v3
	v_subrev_nc_u32_e32 v4, 28, v3
	v_sub_nc_u32_e32 v3, 29, v3
	v_lshlrev_b64 v[4:5], v4, v[24:25]
	v_and_b32_e32 v24, 7, v4
; %bb.678:                              ;   in Loop: Header=BB189_12 Depth=1
	s_or_b32 exec_lo, exec_lo, s23
	v_lshlrev_b32_e32 v4, 24, v2
	v_lshlrev_b32_e32 v5, 20, v24
	v_lshl_add_u32 v3, v3, 23, 0x3c000000
	v_and_b32_e32 v4, 0x80000000, v4
	v_or3_b32 v24, v5, v4, v3
	buffer_store_dword v24, off, s[0:3], s32 offset:832 ; 4-byte Folded Spill
	buffer_store_dword v25, off, s[0:3], s32 offset:836 ; 4-byte Folded Spill
.LBB189_679:                            ;   in Loop: Header=BB189_12 Depth=1
	s_or_b32 exec_lo, exec_lo, s22
.LBB189_680:                            ;   in Loop: Header=BB189_12 Depth=1
	s_or_b32 exec_lo, exec_lo, s21
.LBB189_681:                            ;   in Loop: Header=BB189_12 Depth=1
	s_or_b32 exec_lo, exec_lo, s20
	v_cmp_ne_u16_sdwa s6, v2, v25 src0_sel:BYTE_1 src1_sel:DWORD
	s_and_saveexec_b32 s20, s6
	s_cbranch_execz .LBB189_689
; %bb.682:                              ;   in Loop: Header=BB189_12 Depth=1
	v_mov_b32_e32 v114, v25
	v_cmp_ne_u16_sdwa s6, v2, v6 src0_sel:BYTE_1 src1_sel:DWORD
	v_mov_b32_e32 v98, v114
	v_mov_b32_e32 v99, v115
	s_and_saveexec_b32 s21, s6
	s_cbranch_execz .LBB189_688
; %bb.683:                              ;   in Loop: Header=BB189_12 Depth=1
	v_mov_b32_e32 v3, 0xffff
	v_mov_b32_e32 v37, v25
	;; [unrolled: 1-line block ×3, first 2 shown]
	s_mov_b32 s22, exec_lo
	v_and_b32_sdwa v3, v3, v2 dst_sel:DWORD dst_unused:UNUSED_PAD src0_sel:DWORD src1_sel:BYTE_1
	v_mov_b32_e32 v98, v37
	v_and_b32_e32 v4, 0x7f, v3
	v_cmpx_ne_u32_e32 0x7f, v4
	s_cbranch_execz .LBB189_687
; %bb.684:                              ;   in Loop: Header=BB189_12 Depth=1
	v_and_b32_e32 v24, 7, v3
	v_lshrrev_b32_e32 v3, 3, v4
	s_mov_b32 s23, exec_lo
	v_cmpx_gt_u32_e32 8, v4
; %bb.685:                              ;   in Loop: Header=BB189_12 Depth=1
	v_ffbh_u32_e32 v3, v24
	v_min_u32_e32 v3, 32, v3
	v_subrev_nc_u32_e32 v4, 28, v3
	v_sub_nc_u32_e32 v3, 29, v3
	v_lshlrev_b64 v[4:5], v4, v[24:25]
	v_and_b32_e32 v24, 7, v4
; %bb.686:                              ;   in Loop: Header=BB189_12 Depth=1
	s_or_b32 exec_lo, exec_lo, s23
	v_lshlrev_b32_e32 v2, 16, v2
	v_lshlrev_b32_e32 v4, 20, v24
	v_lshl_add_u32 v3, v3, 23, 0x3c000000
	v_mov_b32_e32 v98, v25
	v_and_b32_e32 v2, 0x80000000, v2
	v_or3_b32 v99, v4, v2, v3
.LBB189_687:                            ;   in Loop: Header=BB189_12 Depth=1
	s_or_b32 exec_lo, exec_lo, s22
.LBB189_688:                            ;   in Loop: Header=BB189_12 Depth=1
	s_or_b32 exec_lo, exec_lo, s21
.LBB189_689:                            ;   in Loop: Header=BB189_12 Depth=1
	s_or_b32 exec_lo, exec_lo, s20
	buffer_load_dword v2, off, s[0:3], s32 offset:196 ; 4-byte Folded Reload
	v_mov_b32_e32 v39, 0
	v_mov_b32_e32 v10, 0
	;; [unrolled: 1-line block ×4, first 2 shown]
	s_waitcnt vmcnt(0)
	v_add_co_u32 v2, s6, v0, v2
	v_add_co_ci_u32_e64 v3, null, 0, v1, s6
	flat_load_ushort v3, v[2:3]
	s_waitcnt vmcnt(0) lgkmcnt(0)
	v_and_b32_e32 v2, 0xffff, v3
	v_cmp_ne_u16_sdwa s6, v3, v25 src0_sel:BYTE_0 src1_sel:DWORD
	s_and_saveexec_b32 s20, s6
	s_cbranch_execz .LBB189_697
; %bb.690:                              ;   in Loop: Header=BB189_12 Depth=1
	v_bfrev_b32_e32 v10, 1
	v_mov_b32_e32 v11, 0
	v_cmp_ne_u16_sdwa s6, v2, v6 src0_sel:BYTE_0 src1_sel:DWORD
	s_and_saveexec_b32 s21, s6
	s_cbranch_execz .LBB189_696
; %bb.691:                              ;   in Loop: Header=BB189_12 Depth=1
	v_mov_b32_e32 v10, 0x7f800001
	v_and_b32_e32 v4, 0x7f, v2
	v_mov_b32_e32 v11, 0
	s_mov_b32 s22, exec_lo
	v_cmpx_ne_u32_e32 0x7f, v4
	s_cbranch_execz .LBB189_695
; %bb.692:                              ;   in Loop: Header=BB189_12 Depth=1
	v_and_b32_e32 v24, 7, v2
	v_lshrrev_b32_e32 v3, 3, v4
	s_mov_b32 s23, exec_lo
	v_cmpx_gt_u32_e32 8, v4
; %bb.693:                              ;   in Loop: Header=BB189_12 Depth=1
	v_ffbh_u32_e32 v3, v24
	v_min_u32_e32 v3, 32, v3
	v_subrev_nc_u32_e32 v4, 28, v3
	v_sub_nc_u32_e32 v3, 29, v3
	v_lshlrev_b64 v[4:5], v4, v[24:25]
	v_and_b32_e32 v24, 7, v4
; %bb.694:                              ;   in Loop: Header=BB189_12 Depth=1
	s_or_b32 exec_lo, exec_lo, s23
	v_lshlrev_b32_e32 v4, 24, v2
	v_lshlrev_b32_e32 v5, 20, v24
	v_lshl_add_u32 v3, v3, 23, 0x3c000000
	v_and_b32_e32 v4, 0x80000000, v4
	v_or3_b32 v24, v5, v4, v3
	v_mov_b32_e32 v10, v24
	v_mov_b32_e32 v11, v25
.LBB189_695:                            ;   in Loop: Header=BB189_12 Depth=1
	s_or_b32 exec_lo, exec_lo, s22
.LBB189_696:                            ;   in Loop: Header=BB189_12 Depth=1
	s_or_b32 exec_lo, exec_lo, s21
.LBB189_697:                            ;   in Loop: Header=BB189_12 Depth=1
	s_or_b32 exec_lo, exec_lo, s20
	v_cmp_ne_u16_sdwa s6, v2, v25 src0_sel:BYTE_1 src1_sel:DWORD
	s_and_saveexec_b32 s20, s6
	s_cbranch_execz .LBB189_705
; %bb.698:                              ;   in Loop: Header=BB189_12 Depth=1
	v_mov_b32_e32 v114, v25
	v_cmp_ne_u16_sdwa s6, v2, v6 src0_sel:BYTE_1 src1_sel:DWORD
	v_mov_b32_e32 v39, v114
	v_mov_b32_e32 v40, v115
	s_and_saveexec_b32 s21, s6
	s_cbranch_execz .LBB189_704
; %bb.699:                              ;   in Loop: Header=BB189_12 Depth=1
	v_mov_b32_e32 v3, 0xffff
	v_mov_b32_e32 v37, v25
	;; [unrolled: 1-line block ×3, first 2 shown]
	s_mov_b32 s22, exec_lo
	v_and_b32_sdwa v3, v3, v2 dst_sel:DWORD dst_unused:UNUSED_PAD src0_sel:DWORD src1_sel:BYTE_1
	v_mov_b32_e32 v39, v37
	v_and_b32_e32 v4, 0x7f, v3
	v_cmpx_ne_u32_e32 0x7f, v4
	s_cbranch_execz .LBB189_703
; %bb.700:                              ;   in Loop: Header=BB189_12 Depth=1
	v_and_b32_e32 v24, 7, v3
	v_lshrrev_b32_e32 v3, 3, v4
	s_mov_b32 s23, exec_lo
	v_cmpx_gt_u32_e32 8, v4
; %bb.701:                              ;   in Loop: Header=BB189_12 Depth=1
	v_ffbh_u32_e32 v3, v24
	v_min_u32_e32 v3, 32, v3
	v_subrev_nc_u32_e32 v4, 28, v3
	v_sub_nc_u32_e32 v3, 29, v3
	v_lshlrev_b64 v[4:5], v4, v[24:25]
	v_and_b32_e32 v24, 7, v4
; %bb.702:                              ;   in Loop: Header=BB189_12 Depth=1
	s_or_b32 exec_lo, exec_lo, s23
	v_lshlrev_b32_e32 v2, 16, v2
	v_lshlrev_b32_e32 v4, 20, v24
	v_lshl_add_u32 v3, v3, 23, 0x3c000000
	v_mov_b32_e32 v39, v25
	v_and_b32_e32 v2, 0x80000000, v2
	v_or3_b32 v40, v4, v2, v3
.LBB189_703:                            ;   in Loop: Header=BB189_12 Depth=1
	s_or_b32 exec_lo, exec_lo, s22
.LBB189_704:                            ;   in Loop: Header=BB189_12 Depth=1
	s_or_b32 exec_lo, exec_lo, s21
.LBB189_705:                            ;   in Loop: Header=BB189_12 Depth=1
	s_or_b32 exec_lo, exec_lo, s20
	buffer_load_dword v2, off, s[0:3], s32 offset:200 ; 4-byte Folded Reload
	v_mov_b32_e32 v72, 0
	v_mov_b32_e32 v21, 0
	;; [unrolled: 1-line block ×4, first 2 shown]
	s_waitcnt vmcnt(0)
	v_add_co_u32 v0, s6, v0, v2
	v_add_co_ci_u32_e64 v1, null, 0, v1, s6
	flat_load_ushort v1, v[0:1]
	s_waitcnt vmcnt(0) lgkmcnt(0)
	v_and_b32_e32 v0, 0xffff, v1
	v_cmp_ne_u16_sdwa s6, v1, v25 src0_sel:BYTE_0 src1_sel:DWORD
	s_and_saveexec_b32 s20, s6
	s_cbranch_execz .LBB189_713
; %bb.706:                              ;   in Loop: Header=BB189_12 Depth=1
	v_bfrev_b32_e32 v21, 1
	v_mov_b32_e32 v22, 0
	v_cmp_ne_u16_sdwa s6, v0, v6 src0_sel:BYTE_0 src1_sel:DWORD
	s_and_saveexec_b32 s21, s6
	s_cbranch_execz .LBB189_712
; %bb.707:                              ;   in Loop: Header=BB189_12 Depth=1
	v_mov_b32_e32 v21, 0x7f800001
	v_and_b32_e32 v2, 0x7f, v0
	v_mov_b32_e32 v22, 0
	s_mov_b32 s22, exec_lo
	v_cmpx_ne_u32_e32 0x7f, v2
	s_cbranch_execz .LBB189_711
; %bb.708:                              ;   in Loop: Header=BB189_12 Depth=1
	v_and_b32_e32 v24, 7, v0
	v_lshrrev_b32_e32 v1, 3, v2
	s_mov_b32 s23, exec_lo
	v_cmpx_gt_u32_e32 8, v2
; %bb.709:                              ;   in Loop: Header=BB189_12 Depth=1
	v_ffbh_u32_e32 v1, v24
	v_min_u32_e32 v1, 32, v1
	v_subrev_nc_u32_e32 v2, 28, v1
	v_sub_nc_u32_e32 v1, 29, v1
	v_lshlrev_b64 v[2:3], v2, v[24:25]
	v_and_b32_e32 v24, 7, v2
; %bb.710:                              ;   in Loop: Header=BB189_12 Depth=1
	s_or_b32 exec_lo, exec_lo, s23
	v_lshlrev_b32_e32 v2, 24, v0
	v_lshlrev_b32_e32 v3, 20, v24
	v_lshl_add_u32 v1, v1, 23, 0x3c000000
	v_and_b32_e32 v2, 0x80000000, v2
	v_or3_b32 v24, v3, v2, v1
	v_mov_b32_e32 v21, v24
	v_mov_b32_e32 v22, v25
.LBB189_711:                            ;   in Loop: Header=BB189_12 Depth=1
	s_or_b32 exec_lo, exec_lo, s22
.LBB189_712:                            ;   in Loop: Header=BB189_12 Depth=1
	s_or_b32 exec_lo, exec_lo, s21
.LBB189_713:                            ;   in Loop: Header=BB189_12 Depth=1
	s_or_b32 exec_lo, exec_lo, s20
	v_cmp_ne_u16_sdwa s6, v0, v25 src0_sel:BYTE_1 src1_sel:DWORD
	s_and_saveexec_b32 s20, s6
	s_cbranch_execz .LBB189_721
; %bb.714:                              ;   in Loop: Header=BB189_12 Depth=1
	v_mov_b32_e32 v114, v25
	v_cmp_ne_u16_sdwa s6, v0, v6 src0_sel:BYTE_1 src1_sel:DWORD
	v_mov_b32_e32 v72, v114
	v_mov_b32_e32 v73, v115
	s_and_saveexec_b32 s21, s6
	s_cbranch_execz .LBB189_720
; %bb.715:                              ;   in Loop: Header=BB189_12 Depth=1
	v_mov_b32_e32 v1, 0xffff
	v_mov_b32_e32 v37, v25
	;; [unrolled: 1-line block ×3, first 2 shown]
	s_mov_b32 s22, exec_lo
	v_and_b32_sdwa v1, v1, v0 dst_sel:DWORD dst_unused:UNUSED_PAD src0_sel:DWORD src1_sel:BYTE_1
	v_mov_b32_e32 v72, v37
	v_and_b32_e32 v2, 0x7f, v1
	v_cmpx_ne_u32_e32 0x7f, v2
	s_cbranch_execz .LBB189_719
; %bb.716:                              ;   in Loop: Header=BB189_12 Depth=1
	v_and_b32_e32 v24, 7, v1
	v_lshrrev_b32_e32 v1, 3, v2
	s_mov_b32 s23, exec_lo
	v_cmpx_gt_u32_e32 8, v2
; %bb.717:                              ;   in Loop: Header=BB189_12 Depth=1
	v_ffbh_u32_e32 v1, v24
	v_min_u32_e32 v1, 32, v1
	v_subrev_nc_u32_e32 v2, 28, v1
	v_sub_nc_u32_e32 v1, 29, v1
	v_lshlrev_b64 v[2:3], v2, v[24:25]
	v_and_b32_e32 v24, 7, v2
; %bb.718:                              ;   in Loop: Header=BB189_12 Depth=1
	s_or_b32 exec_lo, exec_lo, s23
	v_lshlrev_b32_e32 v0, 16, v0
	v_lshlrev_b32_e32 v2, 20, v24
	v_lshl_add_u32 v1, v1, 23, 0x3c000000
	v_mov_b32_e32 v72, v25
	v_and_b32_e32 v0, 0x80000000, v0
	v_or3_b32 v73, v2, v0, v1
.LBB189_719:                            ;   in Loop: Header=BB189_12 Depth=1
	s_or_b32 exec_lo, exec_lo, s22
.LBB189_720:                            ;   in Loop: Header=BB189_12 Depth=1
	s_or_b32 exec_lo, exec_lo, s21
.LBB189_721:                            ;   in Loop: Header=BB189_12 Depth=1
	s_or_b32 exec_lo, exec_lo, s20
	v_add_co_u32 v0, s6, 0xb00, v88
	v_add_co_ci_u32_e64 v1, null, 0, v89, s6
	v_mov_b32_e32 v56, 0
	v_add_co_u32 v2, s6, v0, v118
	v_add_co_ci_u32_e64 v3, null, 0, v1, s6
	v_mov_b32_e32 v7, 0
	v_mov_b32_e32 v57, 0
	v_mov_b32_e32 v8, 0
	flat_load_ushort v3, v[2:3]
	s_waitcnt vmcnt(0) lgkmcnt(0)
	v_and_b32_e32 v2, 0xffff, v3
	v_cmp_ne_u16_sdwa s6, v3, v25 src0_sel:BYTE_0 src1_sel:DWORD
	s_and_saveexec_b32 s20, s6
	s_cbranch_execz .LBB189_729
; %bb.722:                              ;   in Loop: Header=BB189_12 Depth=1
	v_bfrev_b32_e32 v7, 1
	v_mov_b32_e32 v8, 0
	v_cmp_ne_u16_sdwa s6, v2, v6 src0_sel:BYTE_0 src1_sel:DWORD
	s_and_saveexec_b32 s21, s6
	s_cbranch_execz .LBB189_728
; %bb.723:                              ;   in Loop: Header=BB189_12 Depth=1
	v_mov_b32_e32 v7, 0x7f800001
	v_and_b32_e32 v4, 0x7f, v2
	v_mov_b32_e32 v8, 0
	s_mov_b32 s22, exec_lo
	v_cmpx_ne_u32_e32 0x7f, v4
	s_cbranch_execz .LBB189_727
; %bb.724:                              ;   in Loop: Header=BB189_12 Depth=1
	v_and_b32_e32 v24, 7, v2
	v_lshrrev_b32_e32 v3, 3, v4
	s_mov_b32 s23, exec_lo
	v_cmpx_gt_u32_e32 8, v4
; %bb.725:                              ;   in Loop: Header=BB189_12 Depth=1
	v_ffbh_u32_e32 v3, v24
	v_min_u32_e32 v3, 32, v3
	v_subrev_nc_u32_e32 v4, 28, v3
	v_sub_nc_u32_e32 v3, 29, v3
	v_lshlrev_b64 v[4:5], v4, v[24:25]
	v_and_b32_e32 v24, 7, v4
; %bb.726:                              ;   in Loop: Header=BB189_12 Depth=1
	s_or_b32 exec_lo, exec_lo, s23
	v_lshlrev_b32_e32 v4, 24, v2
	v_lshlrev_b32_e32 v5, 20, v24
	v_lshl_add_u32 v3, v3, 23, 0x3c000000
	v_and_b32_e32 v4, 0x80000000, v4
	v_or3_b32 v24, v5, v4, v3
	v_mov_b32_e32 v7, v24
	v_mov_b32_e32 v8, v25
.LBB189_727:                            ;   in Loop: Header=BB189_12 Depth=1
	s_or_b32 exec_lo, exec_lo, s22
.LBB189_728:                            ;   in Loop: Header=BB189_12 Depth=1
	s_or_b32 exec_lo, exec_lo, s21
.LBB189_729:                            ;   in Loop: Header=BB189_12 Depth=1
	s_or_b32 exec_lo, exec_lo, s20
	v_cmp_ne_u16_sdwa s6, v2, v25 src0_sel:BYTE_1 src1_sel:DWORD
	s_and_saveexec_b32 s20, s6
	s_cbranch_execz .LBB189_737
; %bb.730:                              ;   in Loop: Header=BB189_12 Depth=1
	v_mov_b32_e32 v114, v25
	v_cmp_ne_u16_sdwa s6, v2, v6 src0_sel:BYTE_1 src1_sel:DWORD
	v_mov_b32_e32 v56, v114
	v_mov_b32_e32 v57, v115
	s_and_saveexec_b32 s21, s6
	s_cbranch_execz .LBB189_736
; %bb.731:                              ;   in Loop: Header=BB189_12 Depth=1
	v_mov_b32_e32 v3, 0xffff
	v_mov_b32_e32 v37, v25
	;; [unrolled: 1-line block ×3, first 2 shown]
	s_mov_b32 s22, exec_lo
	v_and_b32_sdwa v3, v3, v2 dst_sel:DWORD dst_unused:UNUSED_PAD src0_sel:DWORD src1_sel:BYTE_1
	v_mov_b32_e32 v56, v37
	v_and_b32_e32 v4, 0x7f, v3
	v_cmpx_ne_u32_e32 0x7f, v4
	s_cbranch_execz .LBB189_735
; %bb.732:                              ;   in Loop: Header=BB189_12 Depth=1
	v_and_b32_e32 v24, 7, v3
	v_lshrrev_b32_e32 v3, 3, v4
	s_mov_b32 s23, exec_lo
	v_cmpx_gt_u32_e32 8, v4
; %bb.733:                              ;   in Loop: Header=BB189_12 Depth=1
	v_ffbh_u32_e32 v3, v24
	v_min_u32_e32 v3, 32, v3
	v_subrev_nc_u32_e32 v4, 28, v3
	v_sub_nc_u32_e32 v3, 29, v3
	v_lshlrev_b64 v[4:5], v4, v[24:25]
	v_and_b32_e32 v24, 7, v4
; %bb.734:                              ;   in Loop: Header=BB189_12 Depth=1
	s_or_b32 exec_lo, exec_lo, s23
	v_lshlrev_b32_e32 v2, 16, v2
	v_lshlrev_b32_e32 v4, 20, v24
	v_lshl_add_u32 v3, v3, 23, 0x3c000000
	v_mov_b32_e32 v56, v25
	v_and_b32_e32 v2, 0x80000000, v2
	v_or3_b32 v57, v4, v2, v3
.LBB189_735:                            ;   in Loop: Header=BB189_12 Depth=1
	s_or_b32 exec_lo, exec_lo, s22
.LBB189_736:                            ;   in Loop: Header=BB189_12 Depth=1
	s_or_b32 exec_lo, exec_lo, s21
.LBB189_737:                            ;   in Loop: Header=BB189_12 Depth=1
	s_or_b32 exec_lo, exec_lo, s20
	buffer_load_dword v2, off, s[0:3], s32 offset:192 ; 4-byte Folded Reload
	v_mov_b32_e32 v76, 0
	v_mov_b32_e32 v18, 0
	;; [unrolled: 1-line block ×4, first 2 shown]
	s_waitcnt vmcnt(0)
	v_add_co_u32 v2, s6, v0, v2
	v_add_co_ci_u32_e64 v3, null, 0, v1, s6
	flat_load_ushort v3, v[2:3]
	s_waitcnt vmcnt(0) lgkmcnt(0)
	v_and_b32_e32 v2, 0xffff, v3
	v_cmp_ne_u16_sdwa s6, v3, v25 src0_sel:BYTE_0 src1_sel:DWORD
	s_and_saveexec_b32 s20, s6
	s_cbranch_execz .LBB189_745
; %bb.738:                              ;   in Loop: Header=BB189_12 Depth=1
	v_bfrev_b32_e32 v18, 1
	v_mov_b32_e32 v19, 0
	v_cmp_ne_u16_sdwa s6, v2, v6 src0_sel:BYTE_0 src1_sel:DWORD
	s_and_saveexec_b32 s21, s6
	s_cbranch_execz .LBB189_744
; %bb.739:                              ;   in Loop: Header=BB189_12 Depth=1
	v_mov_b32_e32 v18, 0x7f800001
	v_and_b32_e32 v4, 0x7f, v2
	v_mov_b32_e32 v19, 0
	s_mov_b32 s22, exec_lo
	v_cmpx_ne_u32_e32 0x7f, v4
	s_cbranch_execz .LBB189_743
; %bb.740:                              ;   in Loop: Header=BB189_12 Depth=1
	v_and_b32_e32 v24, 7, v2
	v_lshrrev_b32_e32 v3, 3, v4
	s_mov_b32 s23, exec_lo
	v_cmpx_gt_u32_e32 8, v4
; %bb.741:                              ;   in Loop: Header=BB189_12 Depth=1
	v_ffbh_u32_e32 v3, v24
	v_min_u32_e32 v3, 32, v3
	v_subrev_nc_u32_e32 v4, 28, v3
	v_sub_nc_u32_e32 v3, 29, v3
	v_lshlrev_b64 v[4:5], v4, v[24:25]
	v_and_b32_e32 v24, 7, v4
; %bb.742:                              ;   in Loop: Header=BB189_12 Depth=1
	s_or_b32 exec_lo, exec_lo, s23
	v_lshlrev_b32_e32 v4, 24, v2
	v_lshlrev_b32_e32 v5, 20, v24
	v_lshl_add_u32 v3, v3, 23, 0x3c000000
	v_and_b32_e32 v4, 0x80000000, v4
	v_or3_b32 v24, v5, v4, v3
	v_mov_b32_e32 v18, v24
	v_mov_b32_e32 v19, v25
.LBB189_743:                            ;   in Loop: Header=BB189_12 Depth=1
	s_or_b32 exec_lo, exec_lo, s22
.LBB189_744:                            ;   in Loop: Header=BB189_12 Depth=1
	s_or_b32 exec_lo, exec_lo, s21
.LBB189_745:                            ;   in Loop: Header=BB189_12 Depth=1
	s_or_b32 exec_lo, exec_lo, s20
	v_cmp_ne_u16_sdwa s6, v2, v25 src0_sel:BYTE_1 src1_sel:DWORD
	s_and_saveexec_b32 s20, s6
	s_cbranch_execz .LBB189_753
; %bb.746:                              ;   in Loop: Header=BB189_12 Depth=1
	v_mov_b32_e32 v114, v25
	v_cmp_ne_u16_sdwa s6, v2, v6 src0_sel:BYTE_1 src1_sel:DWORD
	v_mov_b32_e32 v76, v114
	v_mov_b32_e32 v77, v115
	s_and_saveexec_b32 s21, s6
	s_cbranch_execz .LBB189_752
; %bb.747:                              ;   in Loop: Header=BB189_12 Depth=1
	v_mov_b32_e32 v3, 0xffff
	v_mov_b32_e32 v37, v25
	;; [unrolled: 1-line block ×3, first 2 shown]
	s_mov_b32 s22, exec_lo
	v_and_b32_sdwa v3, v3, v2 dst_sel:DWORD dst_unused:UNUSED_PAD src0_sel:DWORD src1_sel:BYTE_1
	v_mov_b32_e32 v76, v37
	v_and_b32_e32 v4, 0x7f, v3
	v_cmpx_ne_u32_e32 0x7f, v4
	s_cbranch_execz .LBB189_751
; %bb.748:                              ;   in Loop: Header=BB189_12 Depth=1
	v_and_b32_e32 v24, 7, v3
	v_lshrrev_b32_e32 v3, 3, v4
	s_mov_b32 s23, exec_lo
	v_cmpx_gt_u32_e32 8, v4
; %bb.749:                              ;   in Loop: Header=BB189_12 Depth=1
	v_ffbh_u32_e32 v3, v24
	v_min_u32_e32 v3, 32, v3
	v_subrev_nc_u32_e32 v4, 28, v3
	v_sub_nc_u32_e32 v3, 29, v3
	v_lshlrev_b64 v[4:5], v4, v[24:25]
	v_and_b32_e32 v24, 7, v4
; %bb.750:                              ;   in Loop: Header=BB189_12 Depth=1
	s_or_b32 exec_lo, exec_lo, s23
	v_lshlrev_b32_e32 v2, 16, v2
	v_lshlrev_b32_e32 v4, 20, v24
	v_lshl_add_u32 v3, v3, 23, 0x3c000000
	v_mov_b32_e32 v76, v25
	v_and_b32_e32 v2, 0x80000000, v2
	v_or3_b32 v77, v4, v2, v3
.LBB189_751:                            ;   in Loop: Header=BB189_12 Depth=1
	s_or_b32 exec_lo, exec_lo, s22
.LBB189_752:                            ;   in Loop: Header=BB189_12 Depth=1
	s_or_b32 exec_lo, exec_lo, s21
.LBB189_753:                            ;   in Loop: Header=BB189_12 Depth=1
	s_or_b32 exec_lo, exec_lo, s20
	buffer_load_dword v2, off, s[0:3], s32 offset:196 ; 4-byte Folded Reload
	v_mov_b32_e32 v90, 0
	v_mov_b32_e32 v43, 0
	;; [unrolled: 1-line block ×4, first 2 shown]
	s_waitcnt vmcnt(0)
	v_add_co_u32 v2, s6, v0, v2
	v_add_co_ci_u32_e64 v3, null, 0, v1, s6
	flat_load_ushort v3, v[2:3]
	s_waitcnt vmcnt(0) lgkmcnt(0)
	v_and_b32_e32 v2, 0xffff, v3
	v_cmp_ne_u16_sdwa s6, v3, v25 src0_sel:BYTE_0 src1_sel:DWORD
	s_and_saveexec_b32 s20, s6
	s_cbranch_execz .LBB189_761
; %bb.754:                              ;   in Loop: Header=BB189_12 Depth=1
	v_bfrev_b32_e32 v43, 1
	v_mov_b32_e32 v44, 0
	v_cmp_ne_u16_sdwa s6, v2, v6 src0_sel:BYTE_0 src1_sel:DWORD
	s_and_saveexec_b32 s21, s6
	s_cbranch_execz .LBB189_760
; %bb.755:                              ;   in Loop: Header=BB189_12 Depth=1
	v_mov_b32_e32 v43, 0x7f800001
	v_and_b32_e32 v4, 0x7f, v2
	v_mov_b32_e32 v44, 0
	s_mov_b32 s22, exec_lo
	v_cmpx_ne_u32_e32 0x7f, v4
	s_cbranch_execz .LBB189_759
; %bb.756:                              ;   in Loop: Header=BB189_12 Depth=1
	v_and_b32_e32 v24, 7, v2
	v_lshrrev_b32_e32 v3, 3, v4
	s_mov_b32 s23, exec_lo
	v_cmpx_gt_u32_e32 8, v4
; %bb.757:                              ;   in Loop: Header=BB189_12 Depth=1
	v_ffbh_u32_e32 v3, v24
	v_min_u32_e32 v3, 32, v3
	v_subrev_nc_u32_e32 v4, 28, v3
	v_sub_nc_u32_e32 v3, 29, v3
	v_lshlrev_b64 v[4:5], v4, v[24:25]
	v_and_b32_e32 v24, 7, v4
; %bb.758:                              ;   in Loop: Header=BB189_12 Depth=1
	s_or_b32 exec_lo, exec_lo, s23
	v_lshlrev_b32_e32 v4, 24, v2
	v_lshlrev_b32_e32 v5, 20, v24
	v_lshl_add_u32 v3, v3, 23, 0x3c000000
	v_and_b32_e32 v4, 0x80000000, v4
	v_or3_b32 v24, v5, v4, v3
	v_mov_b32_e32 v44, v25
	v_mov_b32_e32 v43, v24
.LBB189_759:                            ;   in Loop: Header=BB189_12 Depth=1
	s_or_b32 exec_lo, exec_lo, s22
.LBB189_760:                            ;   in Loop: Header=BB189_12 Depth=1
	s_or_b32 exec_lo, exec_lo, s21
.LBB189_761:                            ;   in Loop: Header=BB189_12 Depth=1
	s_or_b32 exec_lo, exec_lo, s20
	v_cmp_ne_u16_sdwa s6, v2, v25 src0_sel:BYTE_1 src1_sel:DWORD
	s_and_saveexec_b32 s20, s6
	s_cbranch_execz .LBB189_769
; %bb.762:                              ;   in Loop: Header=BB189_12 Depth=1
	v_mov_b32_e32 v114, v25
	v_cmp_ne_u16_sdwa s6, v2, v6 src0_sel:BYTE_1 src1_sel:DWORD
	v_mov_b32_e32 v90, v114
	v_mov_b32_e32 v91, v115
	s_and_saveexec_b32 s21, s6
	s_cbranch_execz .LBB189_768
; %bb.763:                              ;   in Loop: Header=BB189_12 Depth=1
	v_mov_b32_e32 v3, 0xffff
	v_mov_b32_e32 v37, v25
	;; [unrolled: 1-line block ×3, first 2 shown]
	s_mov_b32 s22, exec_lo
	v_and_b32_sdwa v3, v3, v2 dst_sel:DWORD dst_unused:UNUSED_PAD src0_sel:DWORD src1_sel:BYTE_1
	v_mov_b32_e32 v90, v37
	v_and_b32_e32 v4, 0x7f, v3
	v_cmpx_ne_u32_e32 0x7f, v4
	s_cbranch_execz .LBB189_767
; %bb.764:                              ;   in Loop: Header=BB189_12 Depth=1
	v_and_b32_e32 v24, 7, v3
	v_lshrrev_b32_e32 v3, 3, v4
	s_mov_b32 s23, exec_lo
	v_cmpx_gt_u32_e32 8, v4
; %bb.765:                              ;   in Loop: Header=BB189_12 Depth=1
	v_ffbh_u32_e32 v3, v24
	v_min_u32_e32 v3, 32, v3
	v_subrev_nc_u32_e32 v4, 28, v3
	v_sub_nc_u32_e32 v3, 29, v3
	v_lshlrev_b64 v[4:5], v4, v[24:25]
	v_and_b32_e32 v24, 7, v4
; %bb.766:                              ;   in Loop: Header=BB189_12 Depth=1
	s_or_b32 exec_lo, exec_lo, s23
	v_lshlrev_b32_e32 v2, 16, v2
	v_lshlrev_b32_e32 v4, 20, v24
	v_lshl_add_u32 v3, v3, 23, 0x3c000000
	v_mov_b32_e32 v90, v25
	v_and_b32_e32 v2, 0x80000000, v2
	v_or3_b32 v91, v4, v2, v3
.LBB189_767:                            ;   in Loop: Header=BB189_12 Depth=1
	s_or_b32 exec_lo, exec_lo, s22
.LBB189_768:                            ;   in Loop: Header=BB189_12 Depth=1
	s_or_b32 exec_lo, exec_lo, s21
.LBB189_769:                            ;   in Loop: Header=BB189_12 Depth=1
	s_or_b32 exec_lo, exec_lo, s20
	buffer_load_dword v2, off, s[0:3], s32 offset:200 ; 4-byte Folded Reload
	v_mov_b32_e32 v74, 0
	v_mov_b32_e32 v41, 0
	;; [unrolled: 1-line block ×4, first 2 shown]
	s_waitcnt vmcnt(0)
	v_add_co_u32 v0, s6, v0, v2
	v_add_co_ci_u32_e64 v1, null, 0, v1, s6
	flat_load_ushort v1, v[0:1]
	s_waitcnt vmcnt(0) lgkmcnt(0)
	v_and_b32_e32 v0, 0xffff, v1
	v_cmp_ne_u16_sdwa s6, v1, v25 src0_sel:BYTE_0 src1_sel:DWORD
	s_and_saveexec_b32 s20, s6
	s_cbranch_execz .LBB189_777
; %bb.770:                              ;   in Loop: Header=BB189_12 Depth=1
	v_bfrev_b32_e32 v41, 1
	v_mov_b32_e32 v42, 0
	v_cmp_ne_u16_sdwa s6, v0, v6 src0_sel:BYTE_0 src1_sel:DWORD
	s_and_saveexec_b32 s21, s6
	s_cbranch_execz .LBB189_776
; %bb.771:                              ;   in Loop: Header=BB189_12 Depth=1
	v_mov_b32_e32 v41, 0x7f800001
	v_and_b32_e32 v2, 0x7f, v0
	v_mov_b32_e32 v42, 0
	s_mov_b32 s22, exec_lo
	v_cmpx_ne_u32_e32 0x7f, v2
	s_cbranch_execz .LBB189_775
; %bb.772:                              ;   in Loop: Header=BB189_12 Depth=1
	v_and_b32_e32 v24, 7, v0
	v_lshrrev_b32_e32 v1, 3, v2
	s_mov_b32 s23, exec_lo
	v_cmpx_gt_u32_e32 8, v2
; %bb.773:                              ;   in Loop: Header=BB189_12 Depth=1
	v_ffbh_u32_e32 v1, v24
	v_min_u32_e32 v1, 32, v1
	v_subrev_nc_u32_e32 v2, 28, v1
	v_sub_nc_u32_e32 v1, 29, v1
	v_lshlrev_b64 v[2:3], v2, v[24:25]
	v_and_b32_e32 v24, 7, v2
; %bb.774:                              ;   in Loop: Header=BB189_12 Depth=1
	s_or_b32 exec_lo, exec_lo, s23
	v_lshlrev_b32_e32 v2, 24, v0
	v_lshlrev_b32_e32 v3, 20, v24
	v_lshl_add_u32 v1, v1, 23, 0x3c000000
	v_and_b32_e32 v2, 0x80000000, v2
	v_or3_b32 v24, v3, v2, v1
	v_mov_b32_e32 v42, v25
	v_mov_b32_e32 v41, v24
.LBB189_775:                            ;   in Loop: Header=BB189_12 Depth=1
	s_or_b32 exec_lo, exec_lo, s22
.LBB189_776:                            ;   in Loop: Header=BB189_12 Depth=1
	s_or_b32 exec_lo, exec_lo, s21
.LBB189_777:                            ;   in Loop: Header=BB189_12 Depth=1
	s_or_b32 exec_lo, exec_lo, s20
	v_cmp_ne_u16_sdwa s6, v0, v25 src0_sel:BYTE_1 src1_sel:DWORD
	s_and_saveexec_b32 s20, s6
	s_cbranch_execz .LBB189_785
; %bb.778:                              ;   in Loop: Header=BB189_12 Depth=1
	v_mov_b32_e32 v114, v25
	v_cmp_ne_u16_sdwa s6, v0, v6 src0_sel:BYTE_1 src1_sel:DWORD
	v_mov_b32_e32 v74, v114
	v_mov_b32_e32 v75, v115
	s_and_saveexec_b32 s21, s6
	s_cbranch_execz .LBB189_784
; %bb.779:                              ;   in Loop: Header=BB189_12 Depth=1
	v_mov_b32_e32 v1, 0xffff
	v_mov_b32_e32 v37, v25
	;; [unrolled: 1-line block ×3, first 2 shown]
	s_mov_b32 s22, exec_lo
	v_and_b32_sdwa v1, v1, v0 dst_sel:DWORD dst_unused:UNUSED_PAD src0_sel:DWORD src1_sel:BYTE_1
	v_mov_b32_e32 v74, v37
	v_and_b32_e32 v2, 0x7f, v1
	v_cmpx_ne_u32_e32 0x7f, v2
	s_cbranch_execz .LBB189_783
; %bb.780:                              ;   in Loop: Header=BB189_12 Depth=1
	v_and_b32_e32 v24, 7, v1
	v_lshrrev_b32_e32 v1, 3, v2
	s_mov_b32 s23, exec_lo
	v_cmpx_gt_u32_e32 8, v2
; %bb.781:                              ;   in Loop: Header=BB189_12 Depth=1
	v_ffbh_u32_e32 v1, v24
	v_min_u32_e32 v1, 32, v1
	v_subrev_nc_u32_e32 v2, 28, v1
	v_sub_nc_u32_e32 v1, 29, v1
	v_lshlrev_b64 v[2:3], v2, v[24:25]
	v_and_b32_e32 v24, 7, v2
; %bb.782:                              ;   in Loop: Header=BB189_12 Depth=1
	s_or_b32 exec_lo, exec_lo, s23
	v_lshlrev_b32_e32 v0, 16, v0
	v_lshlrev_b32_e32 v2, 20, v24
	v_lshl_add_u32 v1, v1, 23, 0x3c000000
	v_mov_b32_e32 v74, v25
	v_and_b32_e32 v0, 0x80000000, v0
	v_or3_b32 v75, v2, v0, v1
.LBB189_783:                            ;   in Loop: Header=BB189_12 Depth=1
	s_or_b32 exec_lo, exec_lo, s22
.LBB189_784:                            ;   in Loop: Header=BB189_12 Depth=1
	s_or_b32 exec_lo, exec_lo, s21
.LBB189_785:                            ;   in Loop: Header=BB189_12 Depth=1
	s_or_b32 exec_lo, exec_lo, s20
	v_add_co_u32 v0, s6, 0xc00, v88
	v_add_co_ci_u32_e64 v1, null, 0, v89, s6
	v_mov_b32_e32 v94, 0
	v_add_co_u32 v2, s6, v0, v118
	v_add_co_ci_u32_e64 v3, null, 0, v1, s6
	v_mov_b32_e32 v60, 0
	v_mov_b32_e32 v95, 0
	;; [unrolled: 1-line block ×3, first 2 shown]
	flat_load_ushort v3, v[2:3]
	s_waitcnt vmcnt(0) lgkmcnt(0)
	v_and_b32_e32 v2, 0xffff, v3
	v_cmp_ne_u16_sdwa s6, v3, v25 src0_sel:BYTE_0 src1_sel:DWORD
	s_and_saveexec_b32 s20, s6
	s_cbranch_execz .LBB189_793
; %bb.786:                              ;   in Loop: Header=BB189_12 Depth=1
	v_bfrev_b32_e32 v60, 1
	v_mov_b32_e32 v61, 0
	v_cmp_ne_u16_sdwa s6, v2, v6 src0_sel:BYTE_0 src1_sel:DWORD
	s_and_saveexec_b32 s21, s6
	s_cbranch_execz .LBB189_792
; %bb.787:                              ;   in Loop: Header=BB189_12 Depth=1
	v_mov_b32_e32 v60, 0x7f800001
	v_and_b32_e32 v4, 0x7f, v2
	v_mov_b32_e32 v61, 0
	s_mov_b32 s22, exec_lo
	v_cmpx_ne_u32_e32 0x7f, v4
	s_cbranch_execz .LBB189_791
; %bb.788:                              ;   in Loop: Header=BB189_12 Depth=1
	v_and_b32_e32 v24, 7, v2
	v_lshrrev_b32_e32 v3, 3, v4
	s_mov_b32 s23, exec_lo
	v_cmpx_gt_u32_e32 8, v4
; %bb.789:                              ;   in Loop: Header=BB189_12 Depth=1
	v_ffbh_u32_e32 v3, v24
	v_min_u32_e32 v3, 32, v3
	v_subrev_nc_u32_e32 v4, 28, v3
	v_sub_nc_u32_e32 v3, 29, v3
	v_lshlrev_b64 v[4:5], v4, v[24:25]
	v_and_b32_e32 v24, 7, v4
; %bb.790:                              ;   in Loop: Header=BB189_12 Depth=1
	s_or_b32 exec_lo, exec_lo, s23
	v_lshlrev_b32_e32 v4, 24, v2
	v_lshlrev_b32_e32 v5, 20, v24
	v_lshl_add_u32 v3, v3, 23, 0x3c000000
	v_and_b32_e32 v4, 0x80000000, v4
	v_or3_b32 v24, v5, v4, v3
	v_mov_b32_e32 v61, v25
	v_mov_b32_e32 v60, v24
.LBB189_791:                            ;   in Loop: Header=BB189_12 Depth=1
	s_or_b32 exec_lo, exec_lo, s22
.LBB189_792:                            ;   in Loop: Header=BB189_12 Depth=1
	s_or_b32 exec_lo, exec_lo, s21
.LBB189_793:                            ;   in Loop: Header=BB189_12 Depth=1
	s_or_b32 exec_lo, exec_lo, s20
	v_cmp_ne_u16_sdwa s6, v2, v25 src0_sel:BYTE_1 src1_sel:DWORD
	s_and_saveexec_b32 s20, s6
	s_cbranch_execz .LBB189_801
; %bb.794:                              ;   in Loop: Header=BB189_12 Depth=1
	v_mov_b32_e32 v114, v25
	v_cmp_ne_u16_sdwa s6, v2, v6 src0_sel:BYTE_1 src1_sel:DWORD
	v_mov_b32_e32 v94, v114
	v_mov_b32_e32 v95, v115
	s_and_saveexec_b32 s21, s6
	s_cbranch_execz .LBB189_800
; %bb.795:                              ;   in Loop: Header=BB189_12 Depth=1
	v_mov_b32_e32 v3, 0xffff
	v_mov_b32_e32 v37, v25
	;; [unrolled: 1-line block ×3, first 2 shown]
	s_mov_b32 s22, exec_lo
	v_and_b32_sdwa v3, v3, v2 dst_sel:DWORD dst_unused:UNUSED_PAD src0_sel:DWORD src1_sel:BYTE_1
	v_mov_b32_e32 v94, v37
	v_and_b32_e32 v4, 0x7f, v3
	v_cmpx_ne_u32_e32 0x7f, v4
	s_cbranch_execz .LBB189_799
; %bb.796:                              ;   in Loop: Header=BB189_12 Depth=1
	v_and_b32_e32 v24, 7, v3
	v_lshrrev_b32_e32 v3, 3, v4
	s_mov_b32 s23, exec_lo
	v_cmpx_gt_u32_e32 8, v4
; %bb.797:                              ;   in Loop: Header=BB189_12 Depth=1
	v_ffbh_u32_e32 v3, v24
	v_min_u32_e32 v3, 32, v3
	v_subrev_nc_u32_e32 v4, 28, v3
	v_sub_nc_u32_e32 v3, 29, v3
	v_lshlrev_b64 v[4:5], v4, v[24:25]
	v_and_b32_e32 v24, 7, v4
; %bb.798:                              ;   in Loop: Header=BB189_12 Depth=1
	s_or_b32 exec_lo, exec_lo, s23
	v_lshlrev_b32_e32 v2, 16, v2
	v_lshlrev_b32_e32 v4, 20, v24
	v_lshl_add_u32 v3, v3, 23, 0x3c000000
	v_mov_b32_e32 v94, v25
	v_and_b32_e32 v2, 0x80000000, v2
	v_or3_b32 v95, v4, v2, v3
.LBB189_799:                            ;   in Loop: Header=BB189_12 Depth=1
	s_or_b32 exec_lo, exec_lo, s22
.LBB189_800:                            ;   in Loop: Header=BB189_12 Depth=1
	s_or_b32 exec_lo, exec_lo, s21
.LBB189_801:                            ;   in Loop: Header=BB189_12 Depth=1
	s_or_b32 exec_lo, exec_lo, s20
	buffer_load_dword v2, off, s[0:3], s32 offset:192 ; 4-byte Folded Reload
	v_mov_b32_e32 v58, 0
	v_mov_b32_e32 v45, 0
	;; [unrolled: 1-line block ×4, first 2 shown]
	s_waitcnt vmcnt(0)
	v_add_co_u32 v2, s6, v0, v2
	v_add_co_ci_u32_e64 v3, null, 0, v1, s6
	flat_load_ushort v3, v[2:3]
	s_waitcnt vmcnt(0) lgkmcnt(0)
	v_and_b32_e32 v2, 0xffff, v3
	v_cmp_ne_u16_sdwa s6, v3, v25 src0_sel:BYTE_0 src1_sel:DWORD
	s_and_saveexec_b32 s20, s6
	s_cbranch_execz .LBB189_809
; %bb.802:                              ;   in Loop: Header=BB189_12 Depth=1
	v_bfrev_b32_e32 v45, 1
	v_mov_b32_e32 v46, 0
	v_cmp_ne_u16_sdwa s6, v2, v6 src0_sel:BYTE_0 src1_sel:DWORD
	s_and_saveexec_b32 s21, s6
	s_cbranch_execz .LBB189_808
; %bb.803:                              ;   in Loop: Header=BB189_12 Depth=1
	v_mov_b32_e32 v45, 0x7f800001
	v_and_b32_e32 v4, 0x7f, v2
	v_mov_b32_e32 v46, 0
	s_mov_b32 s22, exec_lo
	v_cmpx_ne_u32_e32 0x7f, v4
	s_cbranch_execz .LBB189_807
; %bb.804:                              ;   in Loop: Header=BB189_12 Depth=1
	v_and_b32_e32 v24, 7, v2
	v_lshrrev_b32_e32 v3, 3, v4
	s_mov_b32 s23, exec_lo
	v_cmpx_gt_u32_e32 8, v4
; %bb.805:                              ;   in Loop: Header=BB189_12 Depth=1
	v_ffbh_u32_e32 v3, v24
	v_min_u32_e32 v3, 32, v3
	v_subrev_nc_u32_e32 v4, 28, v3
	v_sub_nc_u32_e32 v3, 29, v3
	v_lshlrev_b64 v[4:5], v4, v[24:25]
	v_and_b32_e32 v24, 7, v4
; %bb.806:                              ;   in Loop: Header=BB189_12 Depth=1
	s_or_b32 exec_lo, exec_lo, s23
	v_lshlrev_b32_e32 v4, 24, v2
	v_lshlrev_b32_e32 v5, 20, v24
	v_lshl_add_u32 v3, v3, 23, 0x3c000000
	v_and_b32_e32 v4, 0x80000000, v4
	v_or3_b32 v24, v5, v4, v3
	v_mov_b32_e32 v46, v25
	v_mov_b32_e32 v45, v24
.LBB189_807:                            ;   in Loop: Header=BB189_12 Depth=1
	s_or_b32 exec_lo, exec_lo, s22
.LBB189_808:                            ;   in Loop: Header=BB189_12 Depth=1
	s_or_b32 exec_lo, exec_lo, s21
.LBB189_809:                            ;   in Loop: Header=BB189_12 Depth=1
	s_or_b32 exec_lo, exec_lo, s20
	v_cmp_ne_u16_sdwa s6, v2, v25 src0_sel:BYTE_1 src1_sel:DWORD
	s_and_saveexec_b32 s20, s6
	s_cbranch_execz .LBB189_817
; %bb.810:                              ;   in Loop: Header=BB189_12 Depth=1
	v_mov_b32_e32 v114, v25
	v_cmp_ne_u16_sdwa s6, v2, v6 src0_sel:BYTE_1 src1_sel:DWORD
	v_mov_b32_e32 v58, v114
	v_mov_b32_e32 v59, v115
	s_and_saveexec_b32 s21, s6
	s_cbranch_execz .LBB189_816
; %bb.811:                              ;   in Loop: Header=BB189_12 Depth=1
	v_mov_b32_e32 v3, 0xffff
	v_mov_b32_e32 v37, v25
	;; [unrolled: 1-line block ×3, first 2 shown]
	s_mov_b32 s22, exec_lo
	v_and_b32_sdwa v3, v3, v2 dst_sel:DWORD dst_unused:UNUSED_PAD src0_sel:DWORD src1_sel:BYTE_1
	v_mov_b32_e32 v58, v37
	v_and_b32_e32 v4, 0x7f, v3
	v_cmpx_ne_u32_e32 0x7f, v4
	s_cbranch_execz .LBB189_815
; %bb.812:                              ;   in Loop: Header=BB189_12 Depth=1
	v_and_b32_e32 v24, 7, v3
	v_lshrrev_b32_e32 v3, 3, v4
	s_mov_b32 s23, exec_lo
	v_cmpx_gt_u32_e32 8, v4
; %bb.813:                              ;   in Loop: Header=BB189_12 Depth=1
	v_ffbh_u32_e32 v3, v24
	v_min_u32_e32 v3, 32, v3
	v_subrev_nc_u32_e32 v4, 28, v3
	v_sub_nc_u32_e32 v3, 29, v3
	v_lshlrev_b64 v[4:5], v4, v[24:25]
	v_and_b32_e32 v24, 7, v4
; %bb.814:                              ;   in Loop: Header=BB189_12 Depth=1
	s_or_b32 exec_lo, exec_lo, s23
	v_lshlrev_b32_e32 v2, 16, v2
	v_lshlrev_b32_e32 v4, 20, v24
	v_lshl_add_u32 v3, v3, 23, 0x3c000000
	v_mov_b32_e32 v58, v25
	v_and_b32_e32 v2, 0x80000000, v2
	v_or3_b32 v59, v4, v2, v3
.LBB189_815:                            ;   in Loop: Header=BB189_12 Depth=1
	s_or_b32 exec_lo, exec_lo, s22
.LBB189_816:                            ;   in Loop: Header=BB189_12 Depth=1
	s_or_b32 exec_lo, exec_lo, s21
.LBB189_817:                            ;   in Loop: Header=BB189_12 Depth=1
	s_or_b32 exec_lo, exec_lo, s20
	buffer_load_dword v2, off, s[0:3], s32 offset:196 ; 4-byte Folded Reload
	v_mov_b32_e32 v62, 0
	v_mov_b32_e32 v78, 0
	;; [unrolled: 1-line block ×4, first 2 shown]
	s_waitcnt vmcnt(0)
	v_add_co_u32 v2, s6, v0, v2
	v_add_co_ci_u32_e64 v3, null, 0, v1, s6
	flat_load_ushort v3, v[2:3]
	s_waitcnt vmcnt(0) lgkmcnt(0)
	v_and_b32_e32 v2, 0xffff, v3
	v_cmp_ne_u16_sdwa s6, v3, v25 src0_sel:BYTE_0 src1_sel:DWORD
	s_and_saveexec_b32 s20, s6
	s_cbranch_execz .LBB189_825
; %bb.818:                              ;   in Loop: Header=BB189_12 Depth=1
	v_bfrev_b32_e32 v78, 1
	v_mov_b32_e32 v79, 0
	v_cmp_ne_u16_sdwa s6, v2, v6 src0_sel:BYTE_0 src1_sel:DWORD
	s_and_saveexec_b32 s21, s6
	s_cbranch_execz .LBB189_824
; %bb.819:                              ;   in Loop: Header=BB189_12 Depth=1
	v_mov_b32_e32 v78, 0x7f800001
	v_and_b32_e32 v4, 0x7f, v2
	v_mov_b32_e32 v79, 0
	s_mov_b32 s22, exec_lo
	v_cmpx_ne_u32_e32 0x7f, v4
	s_cbranch_execz .LBB189_823
; %bb.820:                              ;   in Loop: Header=BB189_12 Depth=1
	v_and_b32_e32 v24, 7, v2
	v_lshrrev_b32_e32 v3, 3, v4
	s_mov_b32 s23, exec_lo
	v_cmpx_gt_u32_e32 8, v4
; %bb.821:                              ;   in Loop: Header=BB189_12 Depth=1
	v_ffbh_u32_e32 v3, v24
	v_min_u32_e32 v3, 32, v3
	v_subrev_nc_u32_e32 v4, 28, v3
	v_sub_nc_u32_e32 v3, 29, v3
	v_lshlrev_b64 v[4:5], v4, v[24:25]
	v_and_b32_e32 v24, 7, v4
; %bb.822:                              ;   in Loop: Header=BB189_12 Depth=1
	s_or_b32 exec_lo, exec_lo, s23
	v_lshlrev_b32_e32 v4, 24, v2
	v_lshlrev_b32_e32 v5, 20, v24
	v_lshl_add_u32 v3, v3, 23, 0x3c000000
	v_and_b32_e32 v4, 0x80000000, v4
	v_or3_b32 v24, v5, v4, v3
	v_mov_b32_e32 v79, v25
	v_mov_b32_e32 v78, v24
.LBB189_823:                            ;   in Loop: Header=BB189_12 Depth=1
	s_or_b32 exec_lo, exec_lo, s22
.LBB189_824:                            ;   in Loop: Header=BB189_12 Depth=1
	s_or_b32 exec_lo, exec_lo, s21
.LBB189_825:                            ;   in Loop: Header=BB189_12 Depth=1
	s_or_b32 exec_lo, exec_lo, s20
	v_cmp_ne_u16_sdwa s6, v2, v25 src0_sel:BYTE_1 src1_sel:DWORD
	s_and_saveexec_b32 s20, s6
	s_cbranch_execz .LBB189_833
; %bb.826:                              ;   in Loop: Header=BB189_12 Depth=1
	v_mov_b32_e32 v114, v25
	v_cmp_ne_u16_sdwa s6, v2, v6 src0_sel:BYTE_1 src1_sel:DWORD
	v_mov_b32_e32 v62, v114
	v_mov_b32_e32 v63, v115
	s_and_saveexec_b32 s21, s6
	s_cbranch_execz .LBB189_832
; %bb.827:                              ;   in Loop: Header=BB189_12 Depth=1
	v_mov_b32_e32 v3, 0xffff
	v_mov_b32_e32 v37, v25
	v_mov_b32_e32 v63, v38
	s_mov_b32 s22, exec_lo
	v_and_b32_sdwa v3, v3, v2 dst_sel:DWORD dst_unused:UNUSED_PAD src0_sel:DWORD src1_sel:BYTE_1
	v_mov_b32_e32 v62, v37
	v_and_b32_e32 v4, 0x7f, v3
	v_cmpx_ne_u32_e32 0x7f, v4
	s_cbranch_execz .LBB189_831
; %bb.828:                              ;   in Loop: Header=BB189_12 Depth=1
	v_and_b32_e32 v24, 7, v3
	v_lshrrev_b32_e32 v3, 3, v4
	s_mov_b32 s23, exec_lo
	v_cmpx_gt_u32_e32 8, v4
; %bb.829:                              ;   in Loop: Header=BB189_12 Depth=1
	v_ffbh_u32_e32 v3, v24
	v_min_u32_e32 v3, 32, v3
	v_subrev_nc_u32_e32 v4, 28, v3
	v_sub_nc_u32_e32 v3, 29, v3
	v_lshlrev_b64 v[4:5], v4, v[24:25]
	v_and_b32_e32 v24, 7, v4
; %bb.830:                              ;   in Loop: Header=BB189_12 Depth=1
	s_or_b32 exec_lo, exec_lo, s23
	v_lshlrev_b32_e32 v2, 16, v2
	v_lshlrev_b32_e32 v4, 20, v24
	v_lshl_add_u32 v3, v3, 23, 0x3c000000
	v_mov_b32_e32 v62, v25
	v_and_b32_e32 v2, 0x80000000, v2
	v_or3_b32 v63, v4, v2, v3
.LBB189_831:                            ;   in Loop: Header=BB189_12 Depth=1
	s_or_b32 exec_lo, exec_lo, s22
.LBB189_832:                            ;   in Loop: Header=BB189_12 Depth=1
	s_or_b32 exec_lo, exec_lo, s21
.LBB189_833:                            ;   in Loop: Header=BB189_12 Depth=1
	s_or_b32 exec_lo, exec_lo, s20
	buffer_load_dword v2, off, s[0:3], s32 offset:200 ; 4-byte Folded Reload
	v_mov_b32_e32 v120, 0
	v_mov_b32_e32 v108, 0
	;; [unrolled: 1-line block ×4, first 2 shown]
	s_waitcnt vmcnt(0)
	v_add_co_u32 v0, s6, v0, v2
	v_add_co_ci_u32_e64 v1, null, 0, v1, s6
	flat_load_ushort v1, v[0:1]
	s_waitcnt vmcnt(0) lgkmcnt(0)
	v_and_b32_e32 v0, 0xffff, v1
	v_cmp_ne_u16_sdwa s6, v1, v25 src0_sel:BYTE_0 src1_sel:DWORD
	s_and_saveexec_b32 s20, s6
	s_cbranch_execz .LBB189_841
; %bb.834:                              ;   in Loop: Header=BB189_12 Depth=1
	v_bfrev_b32_e32 v108, 1
	v_mov_b32_e32 v109, 0
	v_cmp_ne_u16_sdwa s6, v0, v6 src0_sel:BYTE_0 src1_sel:DWORD
	s_and_saveexec_b32 s21, s6
	s_cbranch_execz .LBB189_840
; %bb.835:                              ;   in Loop: Header=BB189_12 Depth=1
	v_mov_b32_e32 v108, 0x7f800001
	v_and_b32_e32 v2, 0x7f, v0
	v_mov_b32_e32 v109, 0
	s_mov_b32 s22, exec_lo
	v_cmpx_ne_u32_e32 0x7f, v2
	s_cbranch_execz .LBB189_839
; %bb.836:                              ;   in Loop: Header=BB189_12 Depth=1
	v_and_b32_e32 v24, 7, v0
	v_lshrrev_b32_e32 v1, 3, v2
	s_mov_b32 s23, exec_lo
	v_cmpx_gt_u32_e32 8, v2
; %bb.837:                              ;   in Loop: Header=BB189_12 Depth=1
	v_ffbh_u32_e32 v1, v24
	v_min_u32_e32 v1, 32, v1
	v_subrev_nc_u32_e32 v2, 28, v1
	v_sub_nc_u32_e32 v1, 29, v1
	v_lshlrev_b64 v[2:3], v2, v[24:25]
	v_and_b32_e32 v24, 7, v2
; %bb.838:                              ;   in Loop: Header=BB189_12 Depth=1
	s_or_b32 exec_lo, exec_lo, s23
	v_lshlrev_b32_e32 v2, 24, v0
	v_lshlrev_b32_e32 v3, 20, v24
	v_lshl_add_u32 v1, v1, 23, 0x3c000000
	v_and_b32_e32 v2, 0x80000000, v2
	v_or3_b32 v24, v3, v2, v1
	v_mov_b32_e32 v109, v25
	v_mov_b32_e32 v108, v24
.LBB189_839:                            ;   in Loop: Header=BB189_12 Depth=1
	s_or_b32 exec_lo, exec_lo, s22
.LBB189_840:                            ;   in Loop: Header=BB189_12 Depth=1
	s_or_b32 exec_lo, exec_lo, s21
.LBB189_841:                            ;   in Loop: Header=BB189_12 Depth=1
	s_or_b32 exec_lo, exec_lo, s20
	v_cmp_ne_u16_sdwa s6, v0, v25 src0_sel:BYTE_1 src1_sel:DWORD
	s_and_saveexec_b32 s20, s6
	s_cbranch_execz .LBB189_849
; %bb.842:                              ;   in Loop: Header=BB189_12 Depth=1
	v_mov_b32_e32 v114, v25
	v_mov_b32_e32 v121, v115
	v_cmp_ne_u16_sdwa s6, v0, v6 src0_sel:BYTE_1 src1_sel:DWORD
	v_mov_b32_e32 v120, v114
	s_and_saveexec_b32 s21, s6
	s_cbranch_execz .LBB189_848
; %bb.843:                              ;   in Loop: Header=BB189_12 Depth=1
	v_mov_b32_e32 v1, 0xffff
	v_mov_b32_e32 v37, v25
	;; [unrolled: 1-line block ×3, first 2 shown]
	s_mov_b32 s22, exec_lo
	v_and_b32_sdwa v1, v1, v0 dst_sel:DWORD dst_unused:UNUSED_PAD src0_sel:DWORD src1_sel:BYTE_1
	v_mov_b32_e32 v120, v37
	v_and_b32_e32 v2, 0x7f, v1
	v_cmpx_ne_u32_e32 0x7f, v2
	s_cbranch_execz .LBB189_847
; %bb.844:                              ;   in Loop: Header=BB189_12 Depth=1
	v_and_b32_e32 v24, 7, v1
	v_lshrrev_b32_e32 v1, 3, v2
	s_mov_b32 s23, exec_lo
	v_cmpx_gt_u32_e32 8, v2
; %bb.845:                              ;   in Loop: Header=BB189_12 Depth=1
	v_ffbh_u32_e32 v1, v24
	v_min_u32_e32 v1, 32, v1
	v_subrev_nc_u32_e32 v2, 28, v1
	v_sub_nc_u32_e32 v1, 29, v1
	v_lshlrev_b64 v[2:3], v2, v[24:25]
	v_and_b32_e32 v24, 7, v2
; %bb.846:                              ;   in Loop: Header=BB189_12 Depth=1
	s_or_b32 exec_lo, exec_lo, s23
	v_lshlrev_b32_e32 v0, 16, v0
	v_lshlrev_b32_e32 v2, 20, v24
	v_lshl_add_u32 v1, v1, 23, 0x3c000000
	v_mov_b32_e32 v120, v25
	v_and_b32_e32 v0, 0x80000000, v0
	v_or3_b32 v121, v2, v0, v1
.LBB189_847:                            ;   in Loop: Header=BB189_12 Depth=1
	s_or_b32 exec_lo, exec_lo, s22
.LBB189_848:                            ;   in Loop: Header=BB189_12 Depth=1
	s_or_b32 exec_lo, exec_lo, s21
.LBB189_849:                            ;   in Loop: Header=BB189_12 Depth=1
	s_or_b32 exec_lo, exec_lo, s20
	v_add_co_u32 v0, s6, 0xd00, v88
	v_add_co_ci_u32_e64 v1, null, 0, v89, s6
	v_mov_b32_e32 v106, 0
	v_add_co_u32 v2, s6, v0, v118
	v_add_co_ci_u32_e64 v3, null, 0, v1, s6
	v_mov_b32_e32 v92, 0
	v_mov_b32_e32 v107, 0
	;; [unrolled: 1-line block ×3, first 2 shown]
	flat_load_ushort v3, v[2:3]
	s_waitcnt vmcnt(0) lgkmcnt(0)
	v_and_b32_e32 v2, 0xffff, v3
	v_cmp_ne_u16_sdwa s6, v3, v25 src0_sel:BYTE_0 src1_sel:DWORD
	s_and_saveexec_b32 s20, s6
	s_cbranch_execz .LBB189_857
; %bb.850:                              ;   in Loop: Header=BB189_12 Depth=1
	v_bfrev_b32_e32 v92, 1
	v_mov_b32_e32 v93, 0
	v_cmp_ne_u16_sdwa s6, v2, v6 src0_sel:BYTE_0 src1_sel:DWORD
	s_and_saveexec_b32 s21, s6
	s_cbranch_execz .LBB189_856
; %bb.851:                              ;   in Loop: Header=BB189_12 Depth=1
	v_mov_b32_e32 v92, 0x7f800001
	v_and_b32_e32 v4, 0x7f, v2
	v_mov_b32_e32 v93, 0
	s_mov_b32 s22, exec_lo
	v_cmpx_ne_u32_e32 0x7f, v4
	s_cbranch_execz .LBB189_855
; %bb.852:                              ;   in Loop: Header=BB189_12 Depth=1
	v_and_b32_e32 v24, 7, v2
	v_lshrrev_b32_e32 v3, 3, v4
	s_mov_b32 s23, exec_lo
	v_cmpx_gt_u32_e32 8, v4
; %bb.853:                              ;   in Loop: Header=BB189_12 Depth=1
	v_ffbh_u32_e32 v3, v24
	v_min_u32_e32 v3, 32, v3
	v_subrev_nc_u32_e32 v4, 28, v3
	v_sub_nc_u32_e32 v3, 29, v3
	v_lshlrev_b64 v[4:5], v4, v[24:25]
	v_and_b32_e32 v24, 7, v4
; %bb.854:                              ;   in Loop: Header=BB189_12 Depth=1
	s_or_b32 exec_lo, exec_lo, s23
	v_lshlrev_b32_e32 v4, 24, v2
	v_lshlrev_b32_e32 v5, 20, v24
	v_lshl_add_u32 v3, v3, 23, 0x3c000000
	v_and_b32_e32 v4, 0x80000000, v4
	v_or3_b32 v24, v5, v4, v3
	v_mov_b32_e32 v93, v25
	v_mov_b32_e32 v92, v24
.LBB189_855:                            ;   in Loop: Header=BB189_12 Depth=1
	s_or_b32 exec_lo, exec_lo, s22
.LBB189_856:                            ;   in Loop: Header=BB189_12 Depth=1
	s_or_b32 exec_lo, exec_lo, s21
.LBB189_857:                            ;   in Loop: Header=BB189_12 Depth=1
	s_or_b32 exec_lo, exec_lo, s20
	v_cmp_ne_u16_sdwa s6, v2, v25 src0_sel:BYTE_1 src1_sel:DWORD
	s_and_saveexec_b32 s20, s6
	s_cbranch_execz .LBB189_865
; %bb.858:                              ;   in Loop: Header=BB189_12 Depth=1
	v_mov_b32_e32 v114, v25
	v_cmp_ne_u16_sdwa s6, v2, v6 src0_sel:BYTE_1 src1_sel:DWORD
	v_mov_b32_e32 v106, v114
	v_mov_b32_e32 v107, v115
	s_and_saveexec_b32 s21, s6
	s_cbranch_execz .LBB189_864
; %bb.859:                              ;   in Loop: Header=BB189_12 Depth=1
	v_mov_b32_e32 v3, 0xffff
	v_mov_b32_e32 v37, v25
	;; [unrolled: 1-line block ×3, first 2 shown]
	s_mov_b32 s22, exec_lo
	v_and_b32_sdwa v3, v3, v2 dst_sel:DWORD dst_unused:UNUSED_PAD src0_sel:DWORD src1_sel:BYTE_1
	v_mov_b32_e32 v106, v37
	v_and_b32_e32 v4, 0x7f, v3
	v_cmpx_ne_u32_e32 0x7f, v4
	s_cbranch_execz .LBB189_863
; %bb.860:                              ;   in Loop: Header=BB189_12 Depth=1
	v_and_b32_e32 v24, 7, v3
	v_lshrrev_b32_e32 v3, 3, v4
	s_mov_b32 s23, exec_lo
	v_cmpx_gt_u32_e32 8, v4
; %bb.861:                              ;   in Loop: Header=BB189_12 Depth=1
	v_ffbh_u32_e32 v3, v24
	v_min_u32_e32 v3, 32, v3
	v_subrev_nc_u32_e32 v4, 28, v3
	v_sub_nc_u32_e32 v3, 29, v3
	v_lshlrev_b64 v[4:5], v4, v[24:25]
	v_and_b32_e32 v24, 7, v4
; %bb.862:                              ;   in Loop: Header=BB189_12 Depth=1
	s_or_b32 exec_lo, exec_lo, s23
	v_lshlrev_b32_e32 v2, 16, v2
	v_lshlrev_b32_e32 v4, 20, v24
	v_lshl_add_u32 v3, v3, 23, 0x3c000000
	v_mov_b32_e32 v106, v25
	v_and_b32_e32 v2, 0x80000000, v2
	v_or3_b32 v107, v4, v2, v3
.LBB189_863:                            ;   in Loop: Header=BB189_12 Depth=1
	s_or_b32 exec_lo, exec_lo, s22
.LBB189_864:                            ;   in Loop: Header=BB189_12 Depth=1
	s_or_b32 exec_lo, exec_lo, s21
.LBB189_865:                            ;   in Loop: Header=BB189_12 Depth=1
	s_or_b32 exec_lo, exec_lo, s20
	buffer_load_dword v2, off, s[0:3], s32 offset:192 ; 4-byte Folded Reload
	v_mov_b32_e32 v110, 0
	v_mov_b32_e32 v104, 0
	;; [unrolled: 1-line block ×4, first 2 shown]
	s_waitcnt vmcnt(0)
	v_add_co_u32 v2, s6, v0, v2
	v_add_co_ci_u32_e64 v3, null, 0, v1, s6
	flat_load_ushort v3, v[2:3]
	s_waitcnt vmcnt(0) lgkmcnt(0)
	v_and_b32_e32 v2, 0xffff, v3
	v_cmp_ne_u16_sdwa s6, v3, v25 src0_sel:BYTE_0 src1_sel:DWORD
	s_and_saveexec_b32 s20, s6
	s_cbranch_execz .LBB189_873
; %bb.866:                              ;   in Loop: Header=BB189_12 Depth=1
	v_bfrev_b32_e32 v104, 1
	v_mov_b32_e32 v105, 0
	v_cmp_ne_u16_sdwa s6, v2, v6 src0_sel:BYTE_0 src1_sel:DWORD
	s_and_saveexec_b32 s21, s6
	s_cbranch_execz .LBB189_872
; %bb.867:                              ;   in Loop: Header=BB189_12 Depth=1
	v_mov_b32_e32 v104, 0x7f800001
	v_and_b32_e32 v4, 0x7f, v2
	v_mov_b32_e32 v105, 0
	s_mov_b32 s22, exec_lo
	v_cmpx_ne_u32_e32 0x7f, v4
	s_cbranch_execz .LBB189_871
; %bb.868:                              ;   in Loop: Header=BB189_12 Depth=1
	v_and_b32_e32 v24, 7, v2
	v_lshrrev_b32_e32 v3, 3, v4
	s_mov_b32 s23, exec_lo
	v_cmpx_gt_u32_e32 8, v4
; %bb.869:                              ;   in Loop: Header=BB189_12 Depth=1
	v_ffbh_u32_e32 v3, v24
	v_min_u32_e32 v3, 32, v3
	v_subrev_nc_u32_e32 v4, 28, v3
	v_sub_nc_u32_e32 v3, 29, v3
	v_lshlrev_b64 v[4:5], v4, v[24:25]
	v_and_b32_e32 v24, 7, v4
; %bb.870:                              ;   in Loop: Header=BB189_12 Depth=1
	s_or_b32 exec_lo, exec_lo, s23
	v_lshlrev_b32_e32 v4, 24, v2
	v_lshlrev_b32_e32 v5, 20, v24
	v_lshl_add_u32 v3, v3, 23, 0x3c000000
	v_and_b32_e32 v4, 0x80000000, v4
	v_or3_b32 v24, v5, v4, v3
	v_mov_b32_e32 v105, v25
	v_mov_b32_e32 v104, v24
.LBB189_871:                            ;   in Loop: Header=BB189_12 Depth=1
	s_or_b32 exec_lo, exec_lo, s22
.LBB189_872:                            ;   in Loop: Header=BB189_12 Depth=1
	s_or_b32 exec_lo, exec_lo, s21
.LBB189_873:                            ;   in Loop: Header=BB189_12 Depth=1
	s_or_b32 exec_lo, exec_lo, s20
	v_cmp_ne_u16_sdwa s6, v2, v25 src0_sel:BYTE_1 src1_sel:DWORD
	s_and_saveexec_b32 s20, s6
	s_cbranch_execz .LBB189_881
; %bb.874:                              ;   in Loop: Header=BB189_12 Depth=1
	v_mov_b32_e32 v114, v25
	v_cmp_ne_u16_sdwa s6, v2, v6 src0_sel:BYTE_1 src1_sel:DWORD
	v_mov_b32_e32 v110, v114
	v_mov_b32_e32 v111, v115
	s_and_saveexec_b32 s21, s6
	s_cbranch_execz .LBB189_880
; %bb.875:                              ;   in Loop: Header=BB189_12 Depth=1
	v_mov_b32_e32 v3, 0xffff
	v_mov_b32_e32 v37, v25
	;; [unrolled: 1-line block ×3, first 2 shown]
	s_mov_b32 s22, exec_lo
	v_and_b32_sdwa v3, v3, v2 dst_sel:DWORD dst_unused:UNUSED_PAD src0_sel:DWORD src1_sel:BYTE_1
	v_mov_b32_e32 v110, v37
	v_and_b32_e32 v4, 0x7f, v3
	v_cmpx_ne_u32_e32 0x7f, v4
	s_cbranch_execz .LBB189_879
; %bb.876:                              ;   in Loop: Header=BB189_12 Depth=1
	v_and_b32_e32 v24, 7, v3
	v_lshrrev_b32_e32 v3, 3, v4
	s_mov_b32 s23, exec_lo
	v_cmpx_gt_u32_e32 8, v4
; %bb.877:                              ;   in Loop: Header=BB189_12 Depth=1
	v_ffbh_u32_e32 v3, v24
	v_min_u32_e32 v3, 32, v3
	v_subrev_nc_u32_e32 v4, 28, v3
	v_sub_nc_u32_e32 v3, 29, v3
	v_lshlrev_b64 v[4:5], v4, v[24:25]
	v_and_b32_e32 v24, 7, v4
; %bb.878:                              ;   in Loop: Header=BB189_12 Depth=1
	s_or_b32 exec_lo, exec_lo, s23
	v_lshlrev_b32_e32 v2, 16, v2
	v_lshlrev_b32_e32 v4, 20, v24
	v_lshl_add_u32 v3, v3, 23, 0x3c000000
	v_mov_b32_e32 v110, v25
	v_and_b32_e32 v2, 0x80000000, v2
	v_or3_b32 v111, v4, v2, v3
.LBB189_879:                            ;   in Loop: Header=BB189_12 Depth=1
	s_or_b32 exec_lo, exec_lo, s22
.LBB189_880:                            ;   in Loop: Header=BB189_12 Depth=1
	s_or_b32 exec_lo, exec_lo, s21
.LBB189_881:                            ;   in Loop: Header=BB189_12 Depth=1
	s_or_b32 exec_lo, exec_lo, s20
	buffer_load_dword v2, off, s[0:3], s32 offset:196 ; 4-byte Folded Reload
	v_mov_b32_e32 v124, 0
	v_mov_b32_e32 v122, 0
	v_mov_b32_e32 v125, 0
	v_mov_b32_e32 v123, 0
	s_waitcnt vmcnt(0)
	v_add_co_u32 v2, s6, v0, v2
	v_add_co_ci_u32_e64 v3, null, 0, v1, s6
	flat_load_ushort v3, v[2:3]
	s_waitcnt vmcnt(0) lgkmcnt(0)
	v_and_b32_e32 v2, 0xffff, v3
	v_cmp_ne_u16_sdwa s6, v3, v25 src0_sel:BYTE_0 src1_sel:DWORD
	s_and_saveexec_b32 s20, s6
	s_cbranch_execz .LBB189_889
; %bb.882:                              ;   in Loop: Header=BB189_12 Depth=1
	v_bfrev_b32_e32 v122, 1
	v_mov_b32_e32 v123, 0
	v_cmp_ne_u16_sdwa s6, v2, v6 src0_sel:BYTE_0 src1_sel:DWORD
	s_and_saveexec_b32 s21, s6
	s_cbranch_execz .LBB189_888
; %bb.883:                              ;   in Loop: Header=BB189_12 Depth=1
	v_mov_b32_e32 v122, 0x7f800001
	v_and_b32_e32 v4, 0x7f, v2
	v_mov_b32_e32 v123, 0
	s_mov_b32 s22, exec_lo
	v_cmpx_ne_u32_e32 0x7f, v4
	s_cbranch_execz .LBB189_887
; %bb.884:                              ;   in Loop: Header=BB189_12 Depth=1
	v_and_b32_e32 v24, 7, v2
	v_lshrrev_b32_e32 v3, 3, v4
	s_mov_b32 s23, exec_lo
	v_cmpx_gt_u32_e32 8, v4
; %bb.885:                              ;   in Loop: Header=BB189_12 Depth=1
	v_ffbh_u32_e32 v3, v24
	v_min_u32_e32 v3, 32, v3
	v_subrev_nc_u32_e32 v4, 28, v3
	v_sub_nc_u32_e32 v3, 29, v3
	v_lshlrev_b64 v[4:5], v4, v[24:25]
	v_and_b32_e32 v24, 7, v4
; %bb.886:                              ;   in Loop: Header=BB189_12 Depth=1
	s_or_b32 exec_lo, exec_lo, s23
	v_lshlrev_b32_e32 v4, 24, v2
	v_lshlrev_b32_e32 v5, 20, v24
	v_lshl_add_u32 v3, v3, 23, 0x3c000000
	v_and_b32_e32 v4, 0x80000000, v4
	v_or3_b32 v24, v5, v4, v3
	v_mov_b32_e32 v123, v25
	v_mov_b32_e32 v122, v24
.LBB189_887:                            ;   in Loop: Header=BB189_12 Depth=1
	s_or_b32 exec_lo, exec_lo, s22
.LBB189_888:                            ;   in Loop: Header=BB189_12 Depth=1
	s_or_b32 exec_lo, exec_lo, s21
.LBB189_889:                            ;   in Loop: Header=BB189_12 Depth=1
	s_or_b32 exec_lo, exec_lo, s20
	v_cmp_ne_u16_sdwa s6, v2, v25 src0_sel:BYTE_1 src1_sel:DWORD
	s_and_saveexec_b32 s20, s6
	s_cbranch_execz .LBB189_897
; %bb.890:                              ;   in Loop: Header=BB189_12 Depth=1
	v_mov_b32_e32 v114, v25
	v_mov_b32_e32 v125, v115
	v_cmp_ne_u16_sdwa s6, v2, v6 src0_sel:BYTE_1 src1_sel:DWORD
	v_mov_b32_e32 v124, v114
	s_and_saveexec_b32 s21, s6
	s_cbranch_execz .LBB189_896
; %bb.891:                              ;   in Loop: Header=BB189_12 Depth=1
	v_mov_b32_e32 v3, 0xffff
	v_mov_b32_e32 v37, v25
	;; [unrolled: 1-line block ×3, first 2 shown]
	s_mov_b32 s22, exec_lo
	v_and_b32_sdwa v3, v3, v2 dst_sel:DWORD dst_unused:UNUSED_PAD src0_sel:DWORD src1_sel:BYTE_1
	v_mov_b32_e32 v124, v37
	v_and_b32_e32 v4, 0x7f, v3
	v_cmpx_ne_u32_e32 0x7f, v4
	s_cbranch_execz .LBB189_895
; %bb.892:                              ;   in Loop: Header=BB189_12 Depth=1
	v_and_b32_e32 v24, 7, v3
	v_lshrrev_b32_e32 v3, 3, v4
	s_mov_b32 s23, exec_lo
	v_cmpx_gt_u32_e32 8, v4
; %bb.893:                              ;   in Loop: Header=BB189_12 Depth=1
	v_ffbh_u32_e32 v3, v24
	v_min_u32_e32 v3, 32, v3
	v_subrev_nc_u32_e32 v4, 28, v3
	v_sub_nc_u32_e32 v3, 29, v3
	v_lshlrev_b64 v[4:5], v4, v[24:25]
	v_and_b32_e32 v24, 7, v4
; %bb.894:                              ;   in Loop: Header=BB189_12 Depth=1
	s_or_b32 exec_lo, exec_lo, s23
	v_lshlrev_b32_e32 v2, 16, v2
	v_lshlrev_b32_e32 v4, 20, v24
	v_lshl_add_u32 v3, v3, 23, 0x3c000000
	v_mov_b32_e32 v124, v25
	v_and_b32_e32 v2, 0x80000000, v2
	v_or3_b32 v125, v4, v2, v3
.LBB189_895:                            ;   in Loop: Header=BB189_12 Depth=1
	s_or_b32 exec_lo, exec_lo, s22
.LBB189_896:                            ;   in Loop: Header=BB189_12 Depth=1
	s_or_b32 exec_lo, exec_lo, s21
.LBB189_897:                            ;   in Loop: Header=BB189_12 Depth=1
	s_or_b32 exec_lo, exec_lo, s20
	buffer_load_dword v2, off, s[0:3], s32 offset:200 ; 4-byte Folded Reload
	v_mov_b32_e32 v102, 0
	v_mov_b32_e32 v103, 0
	s_waitcnt vmcnt(0)
	v_add_co_u32 v0, s6, v0, v2
	v_add_co_ci_u32_e64 v1, null, 0, v1, s6
	v_mov_b32_e32 v2, 0
	v_mov_b32_e32 v3, 0
	flat_load_ushort v1, v[0:1]
	s_waitcnt vmcnt(0) lgkmcnt(0)
	v_and_b32_e32 v0, 0xffff, v1
	v_cmp_ne_u16_sdwa s6, v1, v25 src0_sel:BYTE_0 src1_sel:DWORD
	s_and_saveexec_b32 s20, s6
	s_cbranch_execz .LBB189_905
; %bb.898:                              ;   in Loop: Header=BB189_12 Depth=1
	v_bfrev_b32_e32 v2, 1
	v_mov_b32_e32 v3, 0
	v_cmp_ne_u16_sdwa s6, v0, v6 src0_sel:BYTE_0 src1_sel:DWORD
	s_and_saveexec_b32 s21, s6
	s_cbranch_execz .LBB189_904
; %bb.899:                              ;   in Loop: Header=BB189_12 Depth=1
	v_mov_b32_e32 v2, 0x7f800001
	v_and_b32_e32 v4, 0x7f, v0
	v_mov_b32_e32 v3, 0
	s_mov_b32 s22, exec_lo
	v_cmpx_ne_u32_e32 0x7f, v4
	s_cbranch_execz .LBB189_903
; %bb.900:                              ;   in Loop: Header=BB189_12 Depth=1
	v_and_b32_e32 v24, 7, v0
	v_lshrrev_b32_e32 v1, 3, v4
	s_mov_b32 s23, exec_lo
	v_cmpx_gt_u32_e32 8, v4
; %bb.901:                              ;   in Loop: Header=BB189_12 Depth=1
	v_ffbh_u32_e32 v1, v24
	v_min_u32_e32 v1, 32, v1
	v_subrev_nc_u32_e32 v2, 28, v1
	v_sub_nc_u32_e32 v1, 29, v1
	v_lshlrev_b64 v[2:3], v2, v[24:25]
	v_and_b32_e32 v24, 7, v2
; %bb.902:                              ;   in Loop: Header=BB189_12 Depth=1
	s_or_b32 exec_lo, exec_lo, s23
	v_lshlrev_b32_e32 v2, 24, v0
	v_lshlrev_b32_e32 v3, 20, v24
	v_lshl_add_u32 v1, v1, 23, 0x3c000000
	v_and_b32_e32 v2, 0x80000000, v2
	v_or3_b32 v24, v3, v2, v1
	v_mov_b32_e32 v2, v24
	v_mov_b32_e32 v3, v25
.LBB189_903:                            ;   in Loop: Header=BB189_12 Depth=1
	s_or_b32 exec_lo, exec_lo, s22
.LBB189_904:                            ;   in Loop: Header=BB189_12 Depth=1
	s_or_b32 exec_lo, exec_lo, s21
.LBB189_905:                            ;   in Loop: Header=BB189_12 Depth=1
	s_or_b32 exec_lo, exec_lo, s20
	v_cmp_ne_u16_sdwa s6, v0, v25 src0_sel:BYTE_1 src1_sel:DWORD
	s_and_saveexec_b32 s20, s6
	s_cbranch_execz .LBB189_913
; %bb.906:                              ;   in Loop: Header=BB189_12 Depth=1
	v_mov_b32_e32 v114, v25
	v_cmp_ne_u16_sdwa s6, v0, v6 src0_sel:BYTE_1 src1_sel:DWORD
	v_mov_b32_e32 v102, v114
	v_mov_b32_e32 v103, v115
	s_and_saveexec_b32 s21, s6
	s_cbranch_execz .LBB189_912
; %bb.907:                              ;   in Loop: Header=BB189_12 Depth=1
	v_mov_b32_e32 v1, 0xffff
	v_mov_b32_e32 v37, v25
	;; [unrolled: 1-line block ×3, first 2 shown]
	s_mov_b32 s22, exec_lo
	v_and_b32_sdwa v1, v1, v0 dst_sel:DWORD dst_unused:UNUSED_PAD src0_sel:DWORD src1_sel:BYTE_1
	v_mov_b32_e32 v102, v37
	v_and_b32_e32 v4, 0x7f, v1
	v_cmpx_ne_u32_e32 0x7f, v4
	s_cbranch_execz .LBB189_911
; %bb.908:                              ;   in Loop: Header=BB189_12 Depth=1
	v_and_b32_e32 v24, 7, v1
	v_lshrrev_b32_e32 v1, 3, v4
	s_mov_b32 s23, exec_lo
	v_cmpx_gt_u32_e32 8, v4
; %bb.909:                              ;   in Loop: Header=BB189_12 Depth=1
	v_ffbh_u32_e32 v1, v24
	v_min_u32_e32 v1, 32, v1
	v_subrev_nc_u32_e32 v4, 28, v1
	v_sub_nc_u32_e32 v1, 29, v1
	v_lshlrev_b64 v[4:5], v4, v[24:25]
	v_and_b32_e32 v24, 7, v4
; %bb.910:                              ;   in Loop: Header=BB189_12 Depth=1
	s_or_b32 exec_lo, exec_lo, s23
	v_lshlrev_b32_e32 v0, 16, v0
	v_lshlrev_b32_e32 v4, 20, v24
	v_lshl_add_u32 v1, v1, 23, 0x3c000000
	v_mov_b32_e32 v102, v25
	v_and_b32_e32 v0, 0x80000000, v0
	v_or3_b32 v103, v4, v0, v1
.LBB189_911:                            ;   in Loop: Header=BB189_12 Depth=1
	s_or_b32 exec_lo, exec_lo, s22
.LBB189_912:                            ;   in Loop: Header=BB189_12 Depth=1
	s_or_b32 exec_lo, exec_lo, s21
.LBB189_913:                            ;   in Loop: Header=BB189_12 Depth=1
	s_or_b32 exec_lo, exec_lo, s20
	v_add_co_u32 v14, s6, 0xe00, v88
	v_add_co_ci_u32_e64 v15, null, 0, v89, s6
	v_mov_b32_e32 v126, 0
	v_add_co_u32 v0, s6, v14, v118
	v_add_co_ci_u32_e64 v1, null, 0, v15, s6
	v_mov_b32_e32 v127, 0
	flat_load_ushort v0, v[0:1]
	s_waitcnt vmcnt(0) lgkmcnt(0)
	v_and_b32_e32 v4, 0xffff, v0
	v_cmp_ne_u16_sdwa s6, v0, v25 src0_sel:BYTE_0 src1_sel:DWORD
	v_mov_b32_e32 v0, 0
	v_mov_b32_e32 v1, 0
	s_and_saveexec_b32 s20, s6
	s_cbranch_execz .LBB189_921
; %bb.914:                              ;   in Loop: Header=BB189_12 Depth=1
	v_bfrev_b32_e32 v126, 1
	v_mov_b32_e32 v127, 0
	v_cmp_ne_u16_sdwa s6, v4, v6 src0_sel:BYTE_0 src1_sel:DWORD
	s_and_saveexec_b32 s21, s6
	s_cbranch_execz .LBB189_920
; %bb.915:                              ;   in Loop: Header=BB189_12 Depth=1
	v_mov_b32_e32 v126, 0x7f800001
	v_and_b32_e32 v12, 0x7f, v4
	v_mov_b32_e32 v127, 0
	s_mov_b32 s22, exec_lo
	v_cmpx_ne_u32_e32 0x7f, v12
	s_cbranch_execz .LBB189_919
; %bb.916:                              ;   in Loop: Header=BB189_12 Depth=1
	v_and_b32_e32 v24, 7, v4
	v_lshrrev_b32_e32 v5, 3, v12
	s_mov_b32 s23, exec_lo
	v_cmpx_gt_u32_e32 8, v12
; %bb.917:                              ;   in Loop: Header=BB189_12 Depth=1
	v_ffbh_u32_e32 v5, v24
	v_min_u32_e32 v5, 32, v5
	v_subrev_nc_u32_e32 v12, 28, v5
	v_sub_nc_u32_e32 v5, 29, v5
	v_lshlrev_b64 v[12:13], v12, v[24:25]
	v_and_b32_e32 v24, 7, v12
; %bb.918:                              ;   in Loop: Header=BB189_12 Depth=1
	s_or_b32 exec_lo, exec_lo, s23
	v_lshlrev_b32_e32 v12, 24, v4
	v_lshlrev_b32_e32 v13, 20, v24
	v_lshl_add_u32 v5, v5, 23, 0x3c000000
	v_and_b32_e32 v12, 0x80000000, v12
	v_or3_b32 v24, v13, v12, v5
	v_mov_b32_e32 v127, v25
	v_mov_b32_e32 v126, v24
.LBB189_919:                            ;   in Loop: Header=BB189_12 Depth=1
	s_or_b32 exec_lo, exec_lo, s22
.LBB189_920:                            ;   in Loop: Header=BB189_12 Depth=1
	s_or_b32 exec_lo, exec_lo, s21
.LBB189_921:                            ;   in Loop: Header=BB189_12 Depth=1
	s_or_b32 exec_lo, exec_lo, s20
	v_cmp_ne_u16_sdwa s6, v4, v25 src0_sel:BYTE_1 src1_sel:DWORD
	s_and_saveexec_b32 s20, s6
	s_cbranch_execz .LBB189_929
; %bb.922:                              ;   in Loop: Header=BB189_12 Depth=1
	v_mov_b32_e32 v114, v25
	v_cmp_ne_u16_sdwa s6, v4, v6 src0_sel:BYTE_1 src1_sel:DWORD
	v_mov_b32_e32 v0, v114
	v_mov_b32_e32 v1, v115
	s_and_saveexec_b32 s21, s6
	s_cbranch_execz .LBB189_928
; %bb.923:                              ;   in Loop: Header=BB189_12 Depth=1
	v_mov_b32_e32 v0, 0xffff
	v_mov_b32_e32 v37, v25
	s_mov_b32 s22, exec_lo
	v_and_b32_sdwa v12, v0, v4 dst_sel:DWORD dst_unused:UNUSED_PAD src0_sel:DWORD src1_sel:BYTE_1
	v_mov_b32_e32 v0, v37
	v_mov_b32_e32 v1, v38
	v_and_b32_e32 v5, 0x7f, v12
	v_cmpx_ne_u32_e32 0x7f, v5
	s_cbranch_execz .LBB189_927
; %bb.924:                              ;   in Loop: Header=BB189_12 Depth=1
	v_and_b32_e32 v24, 7, v12
	v_lshrrev_b32_e32 v0, 3, v5
	s_mov_b32 s23, exec_lo
	v_cmpx_gt_u32_e32 8, v5
; %bb.925:                              ;   in Loop: Header=BB189_12 Depth=1
	v_ffbh_u32_e32 v0, v24
	v_min_u32_e32 v0, 32, v0
	v_subrev_nc_u32_e32 v1, 28, v0
	v_sub_nc_u32_e32 v0, 29, v0
	v_lshlrev_b64 v[12:13], v1, v[24:25]
	v_and_b32_e32 v24, 7, v12
; %bb.926:                              ;   in Loop: Header=BB189_12 Depth=1
	s_or_b32 exec_lo, exec_lo, s23
	v_lshlrev_b32_e32 v1, 16, v4
	v_lshlrev_b32_e32 v4, 20, v24
	v_lshl_add_u32 v0, v0, 23, 0x3c000000
	v_and_b32_e32 v1, 0x80000000, v1
	v_or3_b32 v1, v4, v1, v0
	v_mov_b32_e32 v0, v25
.LBB189_927:                            ;   in Loop: Header=BB189_12 Depth=1
	s_or_b32 exec_lo, exec_lo, s22
.LBB189_928:                            ;   in Loop: Header=BB189_12 Depth=1
	s_or_b32 exec_lo, exec_lo, s21
.LBB189_929:                            ;   in Loop: Header=BB189_12 Depth=1
	s_or_b32 exec_lo, exec_lo, s20
	buffer_load_dword v4, off, s[0:3], s32 offset:192 ; 4-byte Folded Reload
	v_mov_b32_e32 v27, 0
	v_mov_b32_e32 v28, 0
	s_waitcnt vmcnt(0)
	v_add_co_u32 v4, s6, v14, v4
	v_add_co_ci_u32_e64 v5, null, 0, v15, s6
	flat_load_ushort v4, v[4:5]
	s_waitcnt vmcnt(0) lgkmcnt(0)
	v_and_b32_e32 v12, 0xffff, v4
	v_cmp_ne_u16_sdwa s6, v4, v25 src0_sel:BYTE_0 src1_sel:DWORD
	v_mov_b32_e32 v4, 0
	v_mov_b32_e32 v5, 0
	s_and_saveexec_b32 s20, s6
	s_cbranch_execz .LBB189_937
; %bb.930:                              ;   in Loop: Header=BB189_12 Depth=1
	v_bfrev_b32_e32 v27, 1
	v_mov_b32_e32 v28, 0
	v_cmp_ne_u16_sdwa s6, v12, v6 src0_sel:BYTE_0 src1_sel:DWORD
	s_and_saveexec_b32 s21, s6
	s_cbranch_execz .LBB189_936
; %bb.931:                              ;   in Loop: Header=BB189_12 Depth=1
	v_mov_b32_e32 v27, 0x7f800001
	v_and_b32_e32 v16, 0x7f, v12
	v_mov_b32_e32 v28, 0
	s_mov_b32 s22, exec_lo
	v_cmpx_ne_u32_e32 0x7f, v16
	s_cbranch_execz .LBB189_935
; %bb.932:                              ;   in Loop: Header=BB189_12 Depth=1
	v_and_b32_e32 v24, 7, v12
	v_lshrrev_b32_e32 v13, 3, v16
	s_mov_b32 s23, exec_lo
	v_cmpx_gt_u32_e32 8, v16
; %bb.933:                              ;   in Loop: Header=BB189_12 Depth=1
	v_ffbh_u32_e32 v13, v24
	v_min_u32_e32 v13, 32, v13
	v_subrev_nc_u32_e32 v16, 28, v13
	v_sub_nc_u32_e32 v13, 29, v13
	v_lshlrev_b64 v[16:17], v16, v[24:25]
	v_and_b32_e32 v24, 7, v16
; %bb.934:                              ;   in Loop: Header=BB189_12 Depth=1
	s_or_b32 exec_lo, exec_lo, s23
	v_lshlrev_b32_e32 v16, 24, v12
	v_lshlrev_b32_e32 v17, 20, v24
	v_lshl_add_u32 v13, v13, 23, 0x3c000000
	v_and_b32_e32 v16, 0x80000000, v16
	v_or3_b32 v24, v17, v16, v13
	v_mov_b32_e32 v28, v25
	v_mov_b32_e32 v27, v24
.LBB189_935:                            ;   in Loop: Header=BB189_12 Depth=1
	s_or_b32 exec_lo, exec_lo, s22
.LBB189_936:                            ;   in Loop: Header=BB189_12 Depth=1
	s_or_b32 exec_lo, exec_lo, s21
.LBB189_937:                            ;   in Loop: Header=BB189_12 Depth=1
	s_or_b32 exec_lo, exec_lo, s20
	v_cmp_ne_u16_sdwa s6, v12, v25 src0_sel:BYTE_1 src1_sel:DWORD
	s_and_saveexec_b32 s20, s6
	s_cbranch_execz .LBB189_945
; %bb.938:                              ;   in Loop: Header=BB189_12 Depth=1
	v_mov_b32_e32 v114, v25
	v_cmp_ne_u16_sdwa s6, v12, v6 src0_sel:BYTE_1 src1_sel:DWORD
	v_mov_b32_e32 v4, v114
	v_mov_b32_e32 v5, v115
	s_and_saveexec_b32 s21, s6
	s_cbranch_execz .LBB189_944
; %bb.939:                              ;   in Loop: Header=BB189_12 Depth=1
	v_mov_b32_e32 v4, 0xffff
	v_mov_b32_e32 v37, v25
	s_mov_b32 s22, exec_lo
	v_and_b32_sdwa v16, v4, v12 dst_sel:DWORD dst_unused:UNUSED_PAD src0_sel:DWORD src1_sel:BYTE_1
	v_mov_b32_e32 v4, v37
	v_mov_b32_e32 v5, v38
	v_and_b32_e32 v13, 0x7f, v16
	v_cmpx_ne_u32_e32 0x7f, v13
	s_cbranch_execz .LBB189_943
; %bb.940:                              ;   in Loop: Header=BB189_12 Depth=1
	v_and_b32_e32 v24, 7, v16
	v_lshrrev_b32_e32 v4, 3, v13
	s_mov_b32 s23, exec_lo
	v_cmpx_gt_u32_e32 8, v13
; %bb.941:                              ;   in Loop: Header=BB189_12 Depth=1
	v_ffbh_u32_e32 v4, v24
	v_min_u32_e32 v4, 32, v4
	v_subrev_nc_u32_e32 v5, 28, v4
	v_sub_nc_u32_e32 v4, 29, v4
	v_lshlrev_b64 v[16:17], v5, v[24:25]
	v_and_b32_e32 v24, 7, v16
; %bb.942:                              ;   in Loop: Header=BB189_12 Depth=1
	s_or_b32 exec_lo, exec_lo, s23
	v_lshlrev_b32_e32 v5, 16, v12
	v_lshlrev_b32_e32 v12, 20, v24
	v_lshl_add_u32 v4, v4, 23, 0x3c000000
	v_and_b32_e32 v5, 0x80000000, v5
	v_or3_b32 v5, v12, v5, v4
	v_mov_b32_e32 v4, v25
.LBB189_943:                            ;   in Loop: Header=BB189_12 Depth=1
	s_or_b32 exec_lo, exec_lo, s22
.LBB189_944:                            ;   in Loop: Header=BB189_12 Depth=1
	s_or_b32 exec_lo, exec_lo, s21
.LBB189_945:                            ;   in Loop: Header=BB189_12 Depth=1
	s_or_b32 exec_lo, exec_lo, s20
	buffer_load_dword v12, off, s[0:3], s32 offset:196 ; 4-byte Folded Reload
	v_mov_b32_e32 v16, 0
	v_mov_b32_e32 v17, 0
	s_waitcnt vmcnt(0)
	v_add_co_u32 v12, s6, v14, v12
	v_add_co_ci_u32_e64 v13, null, 0, v15, s6
	flat_load_ushort v12, v[12:13]
	s_waitcnt vmcnt(0) lgkmcnt(0)
	v_and_b32_e32 v29, 0xffff, v12
	v_cmp_ne_u16_sdwa s6, v12, v25 src0_sel:BYTE_0 src1_sel:DWORD
	v_mov_b32_e32 v12, 0
	v_mov_b32_e32 v13, 0
	s_and_saveexec_b32 s20, s6
	s_cbranch_execz .LBB189_953
; %bb.946:                              ;   in Loop: Header=BB189_12 Depth=1
	v_bfrev_b32_e32 v12, 1
	v_mov_b32_e32 v13, 0
	v_cmp_ne_u16_sdwa s6, v29, v6 src0_sel:BYTE_0 src1_sel:DWORD
	s_and_saveexec_b32 s21, s6
	s_cbranch_execz .LBB189_952
; %bb.947:                              ;   in Loop: Header=BB189_12 Depth=1
	v_mov_b32_e32 v12, 0x7f800001
	v_and_b32_e32 v30, 0x7f, v29
	v_mov_b32_e32 v13, 0
	s_mov_b32 s22, exec_lo
	v_cmpx_ne_u32_e32 0x7f, v30
	s_cbranch_execz .LBB189_951
; %bb.948:                              ;   in Loop: Header=BB189_12 Depth=1
	v_and_b32_e32 v24, 7, v29
	v_lshrrev_b32_e32 v12, 3, v30
	s_mov_b32 s23, exec_lo
	v_cmpx_gt_u32_e32 8, v30
; %bb.949:                              ;   in Loop: Header=BB189_12 Depth=1
	v_ffbh_u32_e32 v12, v24
	v_min_u32_e32 v12, 32, v12
	v_subrev_nc_u32_e32 v13, 28, v12
	v_sub_nc_u32_e32 v12, 29, v12
	v_lshlrev_b64 v[30:31], v13, v[24:25]
	v_and_b32_e32 v24, 7, v30
; %bb.950:                              ;   in Loop: Header=BB189_12 Depth=1
	s_or_b32 exec_lo, exec_lo, s23
	v_lshlrev_b32_e32 v13, 24, v29
	v_lshlrev_b32_e32 v24, 20, v24
	v_lshl_add_u32 v12, v12, 23, 0x3c000000
	v_and_b32_e32 v13, 0x80000000, v13
	v_or3_b32 v24, v24, v13, v12
	v_mov_b32_e32 v12, v24
	v_mov_b32_e32 v13, v25
.LBB189_951:                            ;   in Loop: Header=BB189_12 Depth=1
	s_or_b32 exec_lo, exec_lo, s22
.LBB189_952:                            ;   in Loop: Header=BB189_12 Depth=1
	s_or_b32 exec_lo, exec_lo, s21
.LBB189_953:                            ;   in Loop: Header=BB189_12 Depth=1
	s_or_b32 exec_lo, exec_lo, s20
	v_cmp_ne_u16_sdwa s6, v29, v25 src0_sel:BYTE_1 src1_sel:DWORD
	s_and_saveexec_b32 s20, s6
	s_cbranch_execz .LBB189_961
; %bb.954:                              ;   in Loop: Header=BB189_12 Depth=1
	v_mov_b32_e32 v114, v25
	v_cmp_ne_u16_sdwa s6, v29, v6 src0_sel:BYTE_1 src1_sel:DWORD
	v_mov_b32_e32 v16, v114
	v_mov_b32_e32 v17, v115
	s_and_saveexec_b32 s21, s6
	s_cbranch_execz .LBB189_960
; %bb.955:                              ;   in Loop: Header=BB189_12 Depth=1
	v_mov_b32_e32 v16, 0xffff
	v_mov_b32_e32 v37, v25
	s_mov_b32 s22, exec_lo
	v_and_b32_sdwa v24, v16, v29 dst_sel:DWORD dst_unused:UNUSED_PAD src0_sel:DWORD src1_sel:BYTE_1
	v_mov_b32_e32 v16, v37
	v_mov_b32_e32 v17, v38
	v_and_b32_e32 v30, 0x7f, v24
	v_cmpx_ne_u32_e32 0x7f, v30
	s_cbranch_execz .LBB189_959
; %bb.956:                              ;   in Loop: Header=BB189_12 Depth=1
	v_and_b32_e32 v24, 7, v24
	v_lshrrev_b32_e32 v16, 3, v30
	s_mov_b32 s23, exec_lo
	v_cmpx_gt_u32_e32 8, v30
; %bb.957:                              ;   in Loop: Header=BB189_12 Depth=1
	v_ffbh_u32_e32 v16, v24
	v_min_u32_e32 v16, 32, v16
	v_subrev_nc_u32_e32 v17, 28, v16
	v_sub_nc_u32_e32 v16, 29, v16
	v_lshlrev_b64 v[30:31], v17, v[24:25]
	v_and_b32_e32 v24, 7, v30
; %bb.958:                              ;   in Loop: Header=BB189_12 Depth=1
	s_or_b32 exec_lo, exec_lo, s23
	v_lshlrev_b32_e32 v17, 16, v29
	v_lshlrev_b32_e32 v24, 20, v24
	v_lshl_add_u32 v16, v16, 23, 0x3c000000
	v_and_b32_e32 v17, 0x80000000, v17
	v_or3_b32 v17, v24, v17, v16
	v_mov_b32_e32 v16, v25
.LBB189_959:                            ;   in Loop: Header=BB189_12 Depth=1
	s_or_b32 exec_lo, exec_lo, s22
.LBB189_960:                            ;   in Loop: Header=BB189_12 Depth=1
	s_or_b32 exec_lo, exec_lo, s21
.LBB189_961:                            ;   in Loop: Header=BB189_12 Depth=1
	s_or_b32 exec_lo, exec_lo, s20
	buffer_load_dword v20, off, s[0:3], s32 offset:200 ; 4-byte Folded Reload
	v_mov_b32_e32 v29, 0
	v_mov_b32_e32 v30, 0
	s_waitcnt vmcnt(0)
	v_add_co_u32 v14, s6, v14, v20
	v_add_co_ci_u32_e64 v15, null, 0, v15, s6
	flat_load_ushort v14, v[14:15]
	s_waitcnt vmcnt(0) lgkmcnt(0)
	v_and_b32_e32 v31, 0xffff, v14
	v_cmp_ne_u16_sdwa s6, v14, v25 src0_sel:BYTE_0 src1_sel:DWORD
	v_mov_b32_e32 v14, 0
	v_mov_b32_e32 v15, 0
	s_and_saveexec_b32 s20, s6
	s_cbranch_execz .LBB189_969
; %bb.962:                              ;   in Loop: Header=BB189_12 Depth=1
	v_bfrev_b32_e32 v14, 1
	v_mov_b32_e32 v15, 0
	v_cmp_ne_u16_sdwa s6, v31, v6 src0_sel:BYTE_0 src1_sel:DWORD
	s_and_saveexec_b32 s21, s6
	s_cbranch_execz .LBB189_968
; %bb.963:                              ;   in Loop: Header=BB189_12 Depth=1
	v_mov_b32_e32 v14, 0x7f800001
	v_and_b32_e32 v32, 0x7f, v31
	v_mov_b32_e32 v15, 0
	s_mov_b32 s22, exec_lo
	v_cmpx_ne_u32_e32 0x7f, v32
	s_cbranch_execz .LBB189_967
; %bb.964:                              ;   in Loop: Header=BB189_12 Depth=1
	v_and_b32_e32 v24, 7, v31
	v_lshrrev_b32_e32 v14, 3, v32
	s_mov_b32 s23, exec_lo
	v_cmpx_gt_u32_e32 8, v32
; %bb.965:                              ;   in Loop: Header=BB189_12 Depth=1
	v_ffbh_u32_e32 v14, v24
	v_min_u32_e32 v14, 32, v14
	v_subrev_nc_u32_e32 v15, 28, v14
	v_sub_nc_u32_e32 v14, 29, v14
	v_lshlrev_b64 v[32:33], v15, v[24:25]
	v_and_b32_e32 v24, 7, v32
; %bb.966:                              ;   in Loop: Header=BB189_12 Depth=1
	s_or_b32 exec_lo, exec_lo, s23
	v_lshlrev_b32_e32 v15, 24, v31
	v_lshlrev_b32_e32 v24, 20, v24
	v_lshl_add_u32 v14, v14, 23, 0x3c000000
	v_and_b32_e32 v15, 0x80000000, v15
	v_or3_b32 v24, v24, v15, v14
	v_mov_b32_e32 v14, v24
	v_mov_b32_e32 v15, v25
.LBB189_967:                            ;   in Loop: Header=BB189_12 Depth=1
	s_or_b32 exec_lo, exec_lo, s22
.LBB189_968:                            ;   in Loop: Header=BB189_12 Depth=1
	s_or_b32 exec_lo, exec_lo, s21
.LBB189_969:                            ;   in Loop: Header=BB189_12 Depth=1
	s_or_b32 exec_lo, exec_lo, s20
	v_cmp_ne_u16_sdwa s6, v31, v25 src0_sel:BYTE_1 src1_sel:DWORD
	s_and_saveexec_b32 s20, s6
	s_cbranch_execz .LBB189_977
; %bb.970:                              ;   in Loop: Header=BB189_12 Depth=1
	v_mov_b32_e32 v114, v25
	v_cmp_ne_u16_sdwa s6, v31, v6 src0_sel:BYTE_1 src1_sel:DWORD
	v_mov_b32_e32 v29, v114
	v_mov_b32_e32 v30, v115
	s_and_saveexec_b32 s21, s6
	s_cbranch_execz .LBB189_976
; %bb.971:                              ;   in Loop: Header=BB189_12 Depth=1
	v_mov_b32_e32 v20, 0xffff
	v_mov_b32_e32 v37, v25
	s_mov_b32 s22, exec_lo
	v_and_b32_sdwa v24, v20, v31 dst_sel:DWORD dst_unused:UNUSED_PAD src0_sel:DWORD src1_sel:BYTE_1
	v_mov_b32_e32 v29, v37
	v_mov_b32_e32 v30, v38
	v_and_b32_e32 v32, 0x7f, v24
	v_cmpx_ne_u32_e32 0x7f, v32
	s_cbranch_execz .LBB189_975
; %bb.972:                              ;   in Loop: Header=BB189_12 Depth=1
	v_and_b32_e32 v24, 7, v24
	v_lshrrev_b32_e32 v29, 3, v32
	s_mov_b32 s23, exec_lo
	v_cmpx_gt_u32_e32 8, v32
; %bb.973:                              ;   in Loop: Header=BB189_12 Depth=1
	v_ffbh_u32_e32 v29, v24
	v_min_u32_e32 v29, 32, v29
	v_subrev_nc_u32_e32 v30, 28, v29
	v_sub_nc_u32_e32 v29, 29, v29
	v_lshlrev_b64 v[32:33], v30, v[24:25]
	v_and_b32_e32 v24, 7, v32
; %bb.974:                              ;   in Loop: Header=BB189_12 Depth=1
	s_or_b32 exec_lo, exec_lo, s23
	v_lshlrev_b32_e32 v30, 16, v31
	v_lshlrev_b32_e32 v24, 20, v24
	v_lshl_add_u32 v29, v29, 23, 0x3c000000
	v_and_b32_e32 v30, 0x80000000, v30
	v_or3_b32 v30, v24, v30, v29
	v_mov_b32_e32 v29, v25
.LBB189_975:                            ;   in Loop: Header=BB189_12 Depth=1
	s_or_b32 exec_lo, exec_lo, s22
.LBB189_976:                            ;   in Loop: Header=BB189_12 Depth=1
	s_or_b32 exec_lo, exec_lo, s21
.LBB189_977:                            ;   in Loop: Header=BB189_12 Depth=1
	s_or_b32 exec_lo, exec_lo, s20
	v_add_co_u32 v35, s6, 0xf00, v88
	v_add_co_ci_u32_e64 v36, null, 0, v89, s6
	v_mov_b32_e32 v88, 0
	v_add_co_u32 v31, s6, v35, v118
	v_add_co_ci_u32_e64 v32, null, 0, v36, s6
	v_mov_b32_e32 v89, 0
	flat_load_ushort v24, v[31:32]
	v_mov_b32_e32 v31, 0
	v_mov_b32_e32 v32, 0
	s_waitcnt vmcnt(0) lgkmcnt(0)
	v_and_b32_e32 v33, 0xffff, v24
	v_cmp_ne_u16_sdwa s6, v24, v25 src0_sel:BYTE_0 src1_sel:DWORD
	s_and_saveexec_b32 s20, s6
	s_cbranch_execz .LBB189_985
; %bb.978:                              ;   in Loop: Header=BB189_12 Depth=1
	v_bfrev_b32_e32 v88, 1
	v_mov_b32_e32 v89, 0
	v_cmp_ne_u16_sdwa s6, v33, v6 src0_sel:BYTE_0 src1_sel:DWORD
	s_and_saveexec_b32 s21, s6
	s_cbranch_execz .LBB189_984
; %bb.979:                              ;   in Loop: Header=BB189_12 Depth=1
	v_mov_b32_e32 v88, 0x7f800001
	v_and_b32_e32 v37, 0x7f, v33
	v_mov_b32_e32 v89, 0
	s_mov_b32 s22, exec_lo
	v_cmpx_ne_u32_e32 0x7f, v37
	s_cbranch_execz .LBB189_983
; %bb.980:                              ;   in Loop: Header=BB189_12 Depth=1
	v_and_b32_e32 v24, 7, v33
	v_lshrrev_b32_e32 v34, 3, v37
	s_mov_b32 s23, exec_lo
	v_cmpx_gt_u32_e32 8, v37
; %bb.981:                              ;   in Loop: Header=BB189_12 Depth=1
	v_ffbh_u32_e32 v34, v24
	v_min_u32_e32 v34, 32, v34
	v_subrev_nc_u32_e32 v37, 28, v34
	v_sub_nc_u32_e32 v34, 29, v34
	v_lshlrev_b64 v[48:49], v37, v[24:25]
	v_and_b32_e32 v24, 7, v48
; %bb.982:                              ;   in Loop: Header=BB189_12 Depth=1
	s_or_b32 exec_lo, exec_lo, s23
	v_lshlrev_b32_e32 v37, 24, v33
	v_lshlrev_b32_e32 v24, 20, v24
	v_lshl_add_u32 v34, v34, 23, 0x3c000000
	v_and_b32_e32 v37, 0x80000000, v37
	v_or3_b32 v24, v24, v37, v34
	v_mov_b32_e32 v89, v25
	v_mov_b32_e32 v88, v24
.LBB189_983:                            ;   in Loop: Header=BB189_12 Depth=1
	s_or_b32 exec_lo, exec_lo, s22
.LBB189_984:                            ;   in Loop: Header=BB189_12 Depth=1
	s_or_b32 exec_lo, exec_lo, s21
.LBB189_985:                            ;   in Loop: Header=BB189_12 Depth=1
	s_or_b32 exec_lo, exec_lo, s20
	v_cmp_ne_u16_sdwa s6, v33, v25 src0_sel:BYTE_1 src1_sel:DWORD
	s_and_saveexec_b32 s20, s6
	s_cbranch_execz .LBB189_993
; %bb.986:                              ;   in Loop: Header=BB189_12 Depth=1
	v_mov_b32_e32 v114, v25
	v_cmp_ne_u16_sdwa s6, v33, v6 src0_sel:BYTE_1 src1_sel:DWORD
	v_mov_b32_e32 v31, v114
	v_mov_b32_e32 v32, v115
	s_and_saveexec_b32 s21, s6
	s_cbranch_execz .LBB189_992
; %bb.987:                              ;   in Loop: Header=BB189_12 Depth=1
	v_mov_b32_e32 v20, 0xffff
	v_mov_b32_e32 v37, v25
	s_mov_b32 s22, exec_lo
	v_and_b32_sdwa v24, v20, v33 dst_sel:DWORD dst_unused:UNUSED_PAD src0_sel:DWORD src1_sel:BYTE_1
	v_mov_b32_e32 v31, v37
	v_mov_b32_e32 v32, v38
	v_and_b32_e32 v34, 0x7f, v24
	v_cmpx_ne_u32_e32 0x7f, v34
	s_cbranch_execz .LBB189_991
; %bb.988:                              ;   in Loop: Header=BB189_12 Depth=1
	v_and_b32_e32 v24, 7, v24
	v_lshrrev_b32_e32 v31, 3, v34
	s_mov_b32 s23, exec_lo
	v_cmpx_gt_u32_e32 8, v34
; %bb.989:                              ;   in Loop: Header=BB189_12 Depth=1
	v_ffbh_u32_e32 v31, v24
	v_min_u32_e32 v31, 32, v31
	v_subrev_nc_u32_e32 v32, 28, v31
	v_sub_nc_u32_e32 v31, 29, v31
	v_lshlrev_b64 v[48:49], v32, v[24:25]
	v_and_b32_e32 v24, 7, v48
; %bb.990:                              ;   in Loop: Header=BB189_12 Depth=1
	s_or_b32 exec_lo, exec_lo, s23
	v_lshlrev_b32_e32 v32, 16, v33
	v_lshlrev_b32_e32 v24, 20, v24
	v_lshl_add_u32 v31, v31, 23, 0x3c000000
	v_and_b32_e32 v32, 0x80000000, v32
	v_or3_b32 v32, v24, v32, v31
	v_mov_b32_e32 v31, v25
.LBB189_991:                            ;   in Loop: Header=BB189_12 Depth=1
	s_or_b32 exec_lo, exec_lo, s22
.LBB189_992:                            ;   in Loop: Header=BB189_12 Depth=1
	s_or_b32 exec_lo, exec_lo, s21
.LBB189_993:                            ;   in Loop: Header=BB189_12 Depth=1
	s_or_b32 exec_lo, exec_lo, s20
	buffer_load_dword v20, off, s[0:3], s32 offset:192 ; 4-byte Folded Reload
	v_mov_b32_e32 v116, 0
	v_mov_b32_e32 v52, 0
	v_mov_b32_e32 v117, 0
	v_mov_b32_e32 v53, 0
	s_waitcnt vmcnt(0)
	v_add_co_u32 v33, s6, v35, v20
	v_add_co_ci_u32_e64 v34, null, 0, v36, s6
	flat_load_ushort v24, v[33:34]
	s_waitcnt vmcnt(0) lgkmcnt(0)
	v_and_b32_e32 v33, 0xffff, v24
	v_cmp_ne_u16_sdwa s6, v24, v25 src0_sel:BYTE_0 src1_sel:DWORD
	s_and_saveexec_b32 s20, s6
	s_cbranch_execz .LBB189_1001
; %bb.994:                              ;   in Loop: Header=BB189_12 Depth=1
	v_bfrev_b32_e32 v52, 1
	v_mov_b32_e32 v53, 0
	v_cmp_ne_u16_sdwa s6, v33, v6 src0_sel:BYTE_0 src1_sel:DWORD
	s_and_saveexec_b32 s21, s6
	s_cbranch_execz .LBB189_1000
; %bb.995:                              ;   in Loop: Header=BB189_12 Depth=1
	v_mov_b32_e32 v52, 0x7f800001
	v_and_b32_e32 v37, 0x7f, v33
	v_mov_b32_e32 v53, 0
	s_mov_b32 s22, exec_lo
	v_cmpx_ne_u32_e32 0x7f, v37
	s_cbranch_execz .LBB189_999
; %bb.996:                              ;   in Loop: Header=BB189_12 Depth=1
	v_and_b32_e32 v24, 7, v33
	v_lshrrev_b32_e32 v34, 3, v37
	s_mov_b32 s23, exec_lo
	v_cmpx_gt_u32_e32 8, v37
; %bb.997:                              ;   in Loop: Header=BB189_12 Depth=1
	v_ffbh_u32_e32 v34, v24
	v_min_u32_e32 v34, 32, v34
	v_subrev_nc_u32_e32 v37, 28, v34
	v_sub_nc_u32_e32 v34, 29, v34
	v_lshlrev_b64 v[48:49], v37, v[24:25]
	v_and_b32_e32 v24, 7, v48
; %bb.998:                              ;   in Loop: Header=BB189_12 Depth=1
	s_or_b32 exec_lo, exec_lo, s23
	v_lshlrev_b32_e32 v37, 24, v33
	v_lshlrev_b32_e32 v24, 20, v24
	v_lshl_add_u32 v34, v34, 23, 0x3c000000
	v_and_b32_e32 v37, 0x80000000, v37
	v_or3_b32 v24, v24, v37, v34
	v_mov_b32_e32 v53, v25
	v_mov_b32_e32 v52, v24
.LBB189_999:                            ;   in Loop: Header=BB189_12 Depth=1
	s_or_b32 exec_lo, exec_lo, s22
.LBB189_1000:                           ;   in Loop: Header=BB189_12 Depth=1
	s_or_b32 exec_lo, exec_lo, s21
.LBB189_1001:                           ;   in Loop: Header=BB189_12 Depth=1
	s_or_b32 exec_lo, exec_lo, s20
	v_cmp_ne_u16_sdwa s6, v33, v25 src0_sel:BYTE_1 src1_sel:DWORD
	s_and_saveexec_b32 s20, s6
	s_cbranch_execz .LBB189_1009
; %bb.1002:                             ;   in Loop: Header=BB189_12 Depth=1
	v_mov_b32_e32 v114, v25
	v_mov_b32_e32 v117, v115
	v_cmp_ne_u16_sdwa s6, v33, v6 src0_sel:BYTE_1 src1_sel:DWORD
	v_mov_b32_e32 v116, v114
	s_and_saveexec_b32 s21, s6
	s_cbranch_execz .LBB189_1008
; %bb.1003:                             ;   in Loop: Header=BB189_12 Depth=1
	v_mov_b32_e32 v20, 0xffff
	v_mov_b32_e32 v37, v25
	;; [unrolled: 1-line block ×3, first 2 shown]
	s_mov_b32 s22, exec_lo
	v_and_b32_sdwa v24, v20, v33 dst_sel:DWORD dst_unused:UNUSED_PAD src0_sel:DWORD src1_sel:BYTE_1
	v_mov_b32_e32 v116, v37
	v_and_b32_e32 v48, 0x7f, v24
	v_cmpx_ne_u32_e32 0x7f, v48
	s_cbranch_execz .LBB189_1007
; %bb.1004:                             ;   in Loop: Header=BB189_12 Depth=1
	v_and_b32_e32 v24, 7, v24
	v_lshrrev_b32_e32 v34, 3, v48
	s_mov_b32 s23, exec_lo
	v_cmpx_gt_u32_e32 8, v48
; %bb.1005:                             ;   in Loop: Header=BB189_12 Depth=1
	v_ffbh_u32_e32 v34, v24
	v_min_u32_e32 v34, 32, v34
	v_subrev_nc_u32_e32 v37, 28, v34
	v_sub_nc_u32_e32 v34, 29, v34
	v_lshlrev_b64 v[48:49], v37, v[24:25]
	v_and_b32_e32 v24, 7, v48
; %bb.1006:                             ;   in Loop: Header=BB189_12 Depth=1
	s_or_b32 exec_lo, exec_lo, s23
	v_lshlrev_b32_e32 v33, 16, v33
	v_lshlrev_b32_e32 v24, 20, v24
	v_lshl_add_u32 v34, v34, 23, 0x3c000000
	v_mov_b32_e32 v116, v25
	v_and_b32_e32 v33, 0x80000000, v33
	v_or3_b32 v117, v24, v33, v34
.LBB189_1007:                           ;   in Loop: Header=BB189_12 Depth=1
	s_or_b32 exec_lo, exec_lo, s22
.LBB189_1008:                           ;   in Loop: Header=BB189_12 Depth=1
	s_or_b32 exec_lo, exec_lo, s21
.LBB189_1009:                           ;   in Loop: Header=BB189_12 Depth=1
	s_or_b32 exec_lo, exec_lo, s20
	buffer_load_dword v20, off, s[0:3], s32 offset:196 ; 4-byte Folded Reload
	v_mov_b32_e32 v100, 0
	v_mov_b32_e32 v101, 0
	s_waitcnt vmcnt(0)
	v_add_co_u32 v33, s6, v35, v20
	v_add_co_ci_u32_e64 v34, null, 0, v36, s6
	flat_load_ushort v24, v[33:34]
	v_mov_b32_e32 v33, 0
	v_mov_b32_e32 v34, 0
	s_waitcnt vmcnt(0) lgkmcnt(0)
	v_and_b32_e32 v48, 0xffff, v24
	v_cmp_ne_u16_sdwa s6, v24, v25 src0_sel:BYTE_0 src1_sel:DWORD
	s_and_saveexec_b32 s20, s6
	s_cbranch_execz .LBB189_1017
; %bb.1010:                             ;   in Loop: Header=BB189_12 Depth=1
	v_bfrev_b32_e32 v100, 1
	v_mov_b32_e32 v101, 0
	v_cmp_ne_u16_sdwa s6, v48, v6 src0_sel:BYTE_0 src1_sel:DWORD
	s_and_saveexec_b32 s21, s6
	s_cbranch_execz .LBB189_1016
; %bb.1011:                             ;   in Loop: Header=BB189_12 Depth=1
	v_mov_b32_e32 v100, 0x7f800001
	v_and_b32_e32 v49, 0x7f, v48
	v_mov_b32_e32 v101, 0
	s_mov_b32 s22, exec_lo
	v_cmpx_ne_u32_e32 0x7f, v49
	s_cbranch_execz .LBB189_1015
; %bb.1012:                             ;   in Loop: Header=BB189_12 Depth=1
	v_and_b32_e32 v24, 7, v48
	v_lshrrev_b32_e32 v37, 3, v49
	s_mov_b32 s23, exec_lo
	v_cmpx_gt_u32_e32 8, v49
; %bb.1013:                             ;   in Loop: Header=BB189_12 Depth=1
	v_ffbh_u32_e32 v37, v24
	v_min_u32_e32 v37, 32, v37
	v_subrev_nc_u32_e32 v49, 28, v37
	v_sub_nc_u32_e32 v37, 29, v37
	v_lshlrev_b64 v[54:55], v49, v[24:25]
	v_and_b32_e32 v24, 7, v54
; %bb.1014:                             ;   in Loop: Header=BB189_12 Depth=1
	s_or_b32 exec_lo, exec_lo, s23
	v_lshlrev_b32_e32 v49, 24, v48
	v_lshlrev_b32_e32 v24, 20, v24
	v_lshl_add_u32 v37, v37, 23, 0x3c000000
	v_and_b32_e32 v49, 0x80000000, v49
	v_or3_b32 v24, v24, v49, v37
	v_mov_b32_e32 v101, v25
	v_mov_b32_e32 v100, v24
.LBB189_1015:                           ;   in Loop: Header=BB189_12 Depth=1
	s_or_b32 exec_lo, exec_lo, s22
.LBB189_1016:                           ;   in Loop: Header=BB189_12 Depth=1
	s_or_b32 exec_lo, exec_lo, s21
.LBB189_1017:                           ;   in Loop: Header=BB189_12 Depth=1
	s_or_b32 exec_lo, exec_lo, s20
	v_cmp_ne_u16_sdwa s6, v48, v25 src0_sel:BYTE_1 src1_sel:DWORD
	s_and_saveexec_b32 s20, s6
	s_cbranch_execz .LBB189_1025
; %bb.1018:                             ;   in Loop: Header=BB189_12 Depth=1
	v_mov_b32_e32 v114, v25
	v_cmp_ne_u16_sdwa s6, v48, v6 src0_sel:BYTE_1 src1_sel:DWORD
	v_mov_b32_e32 v33, v114
	v_mov_b32_e32 v34, v115
	s_and_saveexec_b32 s21, s6
	s_cbranch_execz .LBB189_1024
; %bb.1019:                             ;   in Loop: Header=BB189_12 Depth=1
	v_mov_b32_e32 v20, 0xffff
	v_mov_b32_e32 v37, v25
	s_mov_b32 s22, exec_lo
	v_and_b32_sdwa v24, v20, v48 dst_sel:DWORD dst_unused:UNUSED_PAD src0_sel:DWORD src1_sel:BYTE_1
	v_mov_b32_e32 v33, v37
	v_mov_b32_e32 v34, v38
	v_and_b32_e32 v49, 0x7f, v24
	v_cmpx_ne_u32_e32 0x7f, v49
	s_cbranch_execz .LBB189_1023
; %bb.1020:                             ;   in Loop: Header=BB189_12 Depth=1
	v_and_b32_e32 v24, 7, v24
	v_lshrrev_b32_e32 v33, 3, v49
	s_mov_b32 s23, exec_lo
	v_cmpx_gt_u32_e32 8, v49
; %bb.1021:                             ;   in Loop: Header=BB189_12 Depth=1
	v_ffbh_u32_e32 v33, v24
	v_min_u32_e32 v33, 32, v33
	v_subrev_nc_u32_e32 v34, 28, v33
	v_sub_nc_u32_e32 v33, 29, v33
	v_lshlrev_b64 v[54:55], v34, v[24:25]
	v_and_b32_e32 v24, 7, v54
; %bb.1022:                             ;   in Loop: Header=BB189_12 Depth=1
	s_or_b32 exec_lo, exec_lo, s23
	v_lshlrev_b32_e32 v34, 16, v48
	v_lshlrev_b32_e32 v24, 20, v24
	v_lshl_add_u32 v33, v33, 23, 0x3c000000
	v_and_b32_e32 v34, 0x80000000, v34
	v_or3_b32 v34, v24, v34, v33
	v_mov_b32_e32 v33, v25
.LBB189_1023:                           ;   in Loop: Header=BB189_12 Depth=1
	s_or_b32 exec_lo, exec_lo, s22
.LBB189_1024:                           ;   in Loop: Header=BB189_12 Depth=1
	s_or_b32 exec_lo, exec_lo, s21
.LBB189_1025:                           ;   in Loop: Header=BB189_12 Depth=1
	s_or_b32 exec_lo, exec_lo, s20
	buffer_load_dword v20, off, s[0:3], s32 offset:200 ; 4-byte Folded Reload
	v_mov_b32_e32 v48, 0
	v_mov_b32_e32 v49, 0
	s_waitcnt vmcnt(0)
	v_add_co_u32 v35, s6, v35, v20
	v_add_co_ci_u32_e64 v36, null, 0, v36, s6
	flat_load_ushort v24, v[35:36]
	v_mov_b32_e32 v35, 0
	v_mov_b32_e32 v36, 0
	s_waitcnt vmcnt(0) lgkmcnt(0)
	v_and_b32_e32 v54, 0xffff, v24
	v_cmp_ne_u16_sdwa s6, v24, v25 src0_sel:BYTE_0 src1_sel:DWORD
	s_and_saveexec_b32 s20, s6
	s_cbranch_execz .LBB189_1033
; %bb.1026:                             ;   in Loop: Header=BB189_12 Depth=1
	v_bfrev_b32_e32 v35, 1
	v_mov_b32_e32 v36, 0
	v_cmp_ne_u16_sdwa s6, v54, v6 src0_sel:BYTE_0 src1_sel:DWORD
	s_and_saveexec_b32 s21, s6
	s_cbranch_execz .LBB189_1032
; %bb.1027:                             ;   in Loop: Header=BB189_12 Depth=1
	v_mov_b32_e32 v35, 0x7f800001
	v_and_b32_e32 v37, 0x7f, v54
	v_mov_b32_e32 v36, 0
	s_mov_b32 s22, exec_lo
	v_cmpx_ne_u32_e32 0x7f, v37
	s_cbranch_execz .LBB189_1031
; %bb.1028:                             ;   in Loop: Header=BB189_12 Depth=1
	v_and_b32_e32 v24, 7, v54
	v_lshrrev_b32_e32 v35, 3, v37
	s_mov_b32 s23, exec_lo
	v_cmpx_gt_u32_e32 8, v37
; %bb.1029:                             ;   in Loop: Header=BB189_12 Depth=1
	v_ffbh_u32_e32 v35, v24
	v_min_u32_e32 v35, 32, v35
	v_subrev_nc_u32_e32 v36, 28, v35
	v_sub_nc_u32_e32 v35, 29, v35
	v_lshlrev_b64 v[36:37], v36, v[24:25]
	v_and_b32_e32 v24, 7, v36
; %bb.1030:                             ;   in Loop: Header=BB189_12 Depth=1
	s_or_b32 exec_lo, exec_lo, s23
	v_lshlrev_b32_e32 v36, 24, v54
	v_lshlrev_b32_e32 v24, 20, v24
	v_lshl_add_u32 v35, v35, 23, 0x3c000000
	v_and_b32_e32 v36, 0x80000000, v36
	v_or3_b32 v24, v24, v36, v35
	v_mov_b32_e32 v36, v25
	v_mov_b32_e32 v35, v24
.LBB189_1031:                           ;   in Loop: Header=BB189_12 Depth=1
	s_or_b32 exec_lo, exec_lo, s22
.LBB189_1032:                           ;   in Loop: Header=BB189_12 Depth=1
	s_or_b32 exec_lo, exec_lo, s21
.LBB189_1033:                           ;   in Loop: Header=BB189_12 Depth=1
	s_or_b32 exec_lo, exec_lo, s20
	v_cmp_ne_u16_sdwa s6, v54, v25 src0_sel:BYTE_1 src1_sel:DWORD
	s_and_saveexec_b32 s20, s6
	s_cbranch_execz .LBB189_1041
; %bb.1034:                             ;   in Loop: Header=BB189_12 Depth=1
	v_mov_b32_e32 v114, v25
	v_cmp_ne_u16_sdwa s6, v54, v6 src0_sel:BYTE_1 src1_sel:DWORD
	v_mov_b32_e32 v48, v114
	v_mov_b32_e32 v49, v115
	s_and_saveexec_b32 s21, s6
	s_cbranch_execz .LBB189_1040
; %bb.1035:                             ;   in Loop: Header=BB189_12 Depth=1
	v_mov_b32_e32 v20, 0xffff
	v_mov_b32_e32 v37, v25
	;; [unrolled: 1-line block ×3, first 2 shown]
	s_mov_b32 s22, exec_lo
	v_and_b32_sdwa v24, v20, v54 dst_sel:DWORD dst_unused:UNUSED_PAD src0_sel:DWORD src1_sel:BYTE_1
	v_mov_b32_e32 v48, v37
	v_and_b32_e32 v55, 0x7f, v24
	v_cmpx_ne_u32_e32 0x7f, v55
	s_cbranch_execz .LBB189_1039
; %bb.1036:                             ;   in Loop: Header=BB189_12 Depth=1
	v_and_b32_e32 v24, 7, v24
	v_lshrrev_b32_e32 v37, 3, v55
	s_mov_b32 s23, exec_lo
	v_cmpx_gt_u32_e32 8, v55
; %bb.1037:                             ;   in Loop: Header=BB189_12 Depth=1
	v_ffbh_u32_e32 v37, v24
	v_min_u32_e32 v37, 32, v37
	v_subrev_nc_u32_e32 v48, 28, v37
	v_sub_nc_u32_e32 v37, 29, v37
	v_lshlrev_b64 v[48:49], v48, v[24:25]
	v_and_b32_e32 v24, 7, v48
; %bb.1038:                             ;   in Loop: Header=BB189_12 Depth=1
	s_or_b32 exec_lo, exec_lo, s23
	v_lshlrev_b32_e32 v48, 16, v54
	v_lshlrev_b32_e32 v24, 20, v24
	v_lshl_add_u32 v37, v37, 23, 0x3c000000
	v_and_b32_e32 v48, 0x80000000, v48
	v_or3_b32 v49, v24, v48, v37
	v_mov_b32_e32 v48, v25
.LBB189_1039:                           ;   in Loop: Header=BB189_12 Depth=1
	s_or_b32 exec_lo, exec_lo, s22
.LBB189_1040:                           ;   in Loop: Header=BB189_12 Depth=1
	s_or_b32 exec_lo, exec_lo, s21
.LBB189_1041:                           ;   in Loop: Header=BB189_12 Depth=1
	s_or_b32 exec_lo, exec_lo, s20
	s_clause 0x1
	buffer_load_dword v54, off, s[0:3], s32 offset:240
	buffer_load_dword v55, off, s[0:3], s32 offset:244
	v_or_b32_e32 v86, v96, v86
	v_or_b32_e32 v34, v34, v101
	;; [unrolled: 1-line block ×20, first 2 shown]
	v_mul_f32_e32 v10, v51, v10
	v_mul_f32_e32 v7, v51, v7
	;; [unrolled: 1-line block ×5, first 2 shown]
	v_or_b32_e32 v5, v5, v28
	v_or_b32_e32 v28, v120, v108
	;; [unrolled: 1-line block ×7, first 2 shown]
	v_mul_f32_e32 v2, v51, v2
	v_mul_f32_e32 v4, v51, v4
	;; [unrolled: 1-line block ×3, first 2 shown]
	s_waitcnt vmcnt(1)
	v_or_b32_e32 v24, v54, v70
	s_waitcnt vmcnt(0)
	v_or_b32_e32 v37, v55, v71
	s_clause 0x1
	buffer_load_dword v70, off, s[0:3], s32 offset:232
	buffer_load_dword v71, off, s[0:3], s32 offset:236
	v_mul_f32_e32 v24, v51, v24
	v_mul_f32_e32 v37, v51, v37
	;; [unrolled: 1-line block ×4, first 2 shown]
	s_waitcnt vmcnt(1)
	v_or_b32_e32 v55, v70, v68
	s_waitcnt vmcnt(0)
	v_or_b32_e32 v54, v71, v69
	v_mul_f32_e32 v55, v51, v55
	v_mul_f32_e32 v54, v51, v54
	v_fmac_f32_e32 v24, v64, v55
	v_fmac_f32_e32 v37, v65, v54
	s_clause 0x3
	buffer_load_dword v64, off, s[0:3], s32 offset:264
	buffer_load_dword v65, off, s[0:3], s32 offset:268
	buffer_load_dword v66, off, s[0:3], s32 offset:272
	buffer_load_dword v67, off, s[0:3], s32 offset:276
	s_waitcnt vmcnt(1)
	v_or_b32_e32 v55, v66, v64
	s_waitcnt vmcnt(0)
	v_or_b32_e32 v54, v67, v65
	s_clause 0x3
	buffer_load_dword v64, off, s[0:3], s32 offset:248
	buffer_load_dword v65, off, s[0:3], s32 offset:252
	buffer_load_dword v66, off, s[0:3], s32 offset:256
	buffer_load_dword v67, off, s[0:3], s32 offset:260
	v_mul_f32_e32 v55, v51, v55
	v_mul_f32_e32 v54, v51, v54
	s_waitcnt vmcnt(1)
	v_or_b32_e32 v64, v66, v64
	s_waitcnt vmcnt(0)
	v_or_b32_e32 v65, v67, v65
	s_clause 0x3
	buffer_load_dword v66, off, s[0:3], s32 offset:996
	buffer_load_dword v67, off, s[0:3], s32 offset:1000
	buffer_load_dword v68, off, s[0:3], s32 offset:1004
	buffer_load_dword v69, off, s[0:3], s32 offset:1008
	v_mul_f32_e32 v64, v51, v64
	s_waitcnt vmcnt(3)
	v_fmac_f32_e32 v24, v66, v64
	v_mul_f32_e32 v64, v51, v65
	s_waitcnt vmcnt(1)
	v_fmac_f32_e32 v24, v68, v55
	v_fmac_f32_e32 v37, v67, v64
	s_clause 0x3
	buffer_load_dword v64, off, s[0:3], s32 offset:296
	buffer_load_dword v65, off, s[0:3], s32 offset:300
	buffer_load_dword v66, off, s[0:3], s32 offset:304
	buffer_load_dword v67, off, s[0:3], s32 offset:308
	s_waitcnt vmcnt(4)
	v_fmac_f32_e32 v37, v69, v54
	s_waitcnt vmcnt(1)
	v_or_b32_e32 v55, v66, v64
	s_waitcnt vmcnt(0)
	v_or_b32_e32 v54, v67, v65
	s_clause 0x3
	buffer_load_dword v64, off, s[0:3], s32 offset:280
	buffer_load_dword v65, off, s[0:3], s32 offset:284
	buffer_load_dword v66, off, s[0:3], s32 offset:288
	buffer_load_dword v67, off, s[0:3], s32 offset:292
	v_mul_f32_e32 v55, v51, v55
	v_mul_f32_e32 v54, v51, v54
	s_waitcnt vmcnt(1)
	v_or_b32_e32 v64, v66, v64
	s_waitcnt vmcnt(0)
	v_or_b32_e32 v65, v67, v65
	s_clause 0x3
	buffer_load_dword v66, off, s[0:3], s32 offset:1012
	buffer_load_dword v67, off, s[0:3], s32 offset:1016
	buffer_load_dword v68, off, s[0:3], s32 offset:1020
	buffer_load_dword v69, off, s[0:3], s32 offset:1024
	v_mul_f32_e32 v64, v51, v64
	s_waitcnt vmcnt(3)
	v_fmac_f32_e32 v24, v66, v64
	v_mul_f32_e32 v64, v51, v65
	s_waitcnt vmcnt(1)
	v_fmac_f32_e32 v24, v68, v55
	v_fmac_f32_e32 v37, v67, v64
	s_clause 0x3
	buffer_load_dword v64, off, s[0:3], s32 offset:328
	buffer_load_dword v65, off, s[0:3], s32 offset:332
	buffer_load_dword v66, off, s[0:3], s32 offset:336
	buffer_load_dword v67, off, s[0:3], s32 offset:340
	s_waitcnt vmcnt(4)
	v_fmac_f32_e32 v37, v69, v54
	;; [unrolled: 34-line block ×11, first 2 shown]
	s_waitcnt vmcnt(1)
	v_or_b32_e32 v55, v66, v64
	s_waitcnt vmcnt(0)
	v_or_b32_e32 v54, v67, v65
	s_clause 0x3
	buffer_load_dword v64, off, s[0:3], s32 offset:616
	buffer_load_dword v65, off, s[0:3], s32 offset:620
	;; [unrolled: 1-line block ×4, first 2 shown]
	s_waitcnt vmcnt(1)
	v_or_b32_e32 v64, v66, v64
	s_waitcnt vmcnt(0)
	v_or_b32_e32 v114, v67, v65
	s_clause 0x3
	buffer_load_dword v65, off, s[0:3], s32 offset:600
	buffer_load_dword v66, off, s[0:3], s32 offset:604
	;; [unrolled: 1-line block ×4, first 2 shown]
	v_mul_f32_e32 v20, v51, v64
	s_waitcnt vmcnt(1)
	v_or_b32_e32 v65, v67, v65
	s_waitcnt vmcnt(0)
	v_or_b32_e32 v66, v68, v66
	s_clause 0x1
	buffer_load_dword v67, off, s[0:3], s32 offset:1028
	buffer_load_dword v68, off, s[0:3], s32 offset:1032
	v_mul_f32_e32 v65, v51, v65
	s_waitcnt vmcnt(1)
	v_fmac_f32_e32 v24, v67, v65
	v_mul_f32_e32 v65, v51, v66
	s_waitcnt vmcnt(0)
	v_fmac_f32_e32 v37, v68, v65
	ds_read2_b64 v[64:67], v23 offset0:25 offset1:26
	ds_read2_b64 v[68:71], v23 offset0:27 offset1:28
	s_waitcnt lgkmcnt(1)
	v_fmac_f32_e32 v24, v64, v20
	v_mul_f32_e32 v20, v51, v114
	v_fmac_f32_e32 v37, v65, v20
	v_mul_f32_e32 v20, v51, v55
	;; [unrolled: 2-line block ×3, first 2 shown]
	s_clause 0x1
	buffer_load_dword v54, off, s[0:3], s32 offset:824
	buffer_load_dword v55, off, s[0:3], s32 offset:828
	v_fmac_f32_e32 v37, v67, v20
	s_clause 0x3
	buffer_load_dword v64, off, s[0:3], s32 offset:776
	buffer_load_dword v65, off, s[0:3], s32 offset:780
	;; [unrolled: 1-line block ×4, first 2 shown]
	s_waitcnt vmcnt(5)
	v_or_b32_e32 v54, v80, v54
	s_waitcnt vmcnt(4)
	v_or_b32_e32 v20, v81, v55
	;; [unrolled: 2-line block ×4, first 2 shown]
	s_clause 0x3
	buffer_load_dword v64, off, s[0:3], s32 offset:744
	buffer_load_dword v65, off, s[0:3], s32 offset:748
	;; [unrolled: 1-line block ×4, first 2 shown]
	v_mul_f32_e32 v54, v51, v54
	v_mul_f32_e32 v20, v51, v20
	v_mul_f32_e32 v80, v51, v80
	v_mul_f32_e32 v55, v51, v55
	s_waitcnt vmcnt(1)
	v_or_b32_e32 v96, v66, v64
	s_waitcnt vmcnt(0)
	v_or_b32_e32 v81, v67, v65
	s_clause 0x3
	buffer_load_dword v64, off, s[0:3], s32 offset:728
	buffer_load_dword v65, off, s[0:3], s32 offset:732
	;; [unrolled: 1-line block ×4, first 2 shown]
	v_mul_f32_e32 v96, v51, v96
	v_mul_f32_e32 v81, v51, v81
	s_waitcnt vmcnt(1)
	v_or_b32_e32 v101, v66, v64
	s_waitcnt vmcnt(0)
	v_or_b32_e32 v97, v67, v65
	s_clause 0x3
	buffer_load_dword v64, off, s[0:3], s32 offset:696
	buffer_load_dword v65, off, s[0:3], s32 offset:700
	;; [unrolled: 1-line block ×4, first 2 shown]
	v_mul_f32_e32 v101, v51, v101
	s_waitcnt vmcnt(1)
	v_or_b32_e32 v103, v66, v64
	s_waitcnt vmcnt(0)
	v_or_b32_e32 v102, v67, v65
	s_clause 0x3
	buffer_load_dword v64, off, s[0:3], s32 offset:680
	buffer_load_dword v65, off, s[0:3], s32 offset:684
	;; [unrolled: 1-line block ×4, first 2 shown]
	s_waitcnt vmcnt(1)
	v_or_b32_e32 v114, v66, v64
	s_waitcnt vmcnt(0)
	v_or_b32_e32 v21, v67, v65
	s_clause 0x3
	buffer_load_dword v64, off, s[0:3], s32 offset:664
	buffer_load_dword v65, off, s[0:3], s32 offset:668
	;; [unrolled: 1-line block ×4, first 2 shown]
	v_mul_f32_e32 v114, v51, v114
	s_waitcnt vmcnt(1)
	v_or_b32_e32 v64, v66, v64
	s_waitcnt vmcnt(0)
	v_or_b32_e32 v116, v67, v65
	s_clause 0x3
	buffer_load_dword v65, off, s[0:3], s32 offset:648
	buffer_load_dword v66, off, s[0:3], s32 offset:652
	;; [unrolled: 1-line block ×4, first 2 shown]
	v_mul_f32_e32 v64, v51, v64
	s_waitcnt vmcnt(1)
	v_or_b32_e32 v65, v41, v65
	s_waitcnt vmcnt(0)
	v_or_b32_e32 v66, v42, v66
	v_mul_f32_e32 v65, v51, v65
	v_mul_f32_e32 v66, v51, v66
	s_waitcnt lgkmcnt(0)
	v_fmac_f32_e32 v24, v68, v65
	v_fmac_f32_e32 v37, v69, v66
	v_mul_f32_e32 v68, v51, v116
	v_mul_f32_e32 v116, v51, v21
	v_or_b32_e32 v21, v32, v89
	v_fmac_f32_e32 v24, v70, v64
	ds_read2_b64 v[64:67], v23 offset0:29 offset1:30
	v_fmac_f32_e32 v37, v71, v68
	ds_read2_b64 v[68:71], v23 offset0:31 offset1:32
	v_mul_f32_e32 v32, v51, v103
	v_or_b32_e32 v103, v106, v92
	s_waitcnt lgkmcnt(1)
	v_fmac_f32_e32 v37, v65, v116
	s_clause 0x3
	buffer_load_dword v116, off, s[0:3], s32 offset:712
	buffer_load_dword v117, off, s[0:3], s32 offset:716
	;; [unrolled: 1-line block ×4, first 2 shown]
	v_fmac_f32_e32 v24, v64, v114
	v_mul_f32_e32 v64, v51, v102
	v_fmac_f32_e32 v24, v66, v32
	v_fmac_f32_e32 v37, v67, v64
	ds_read2_b64 v[64:67], v23 offset0:33 offset1:34
	v_or_b32_e32 v32, v110, v104
	s_waitcnt vmcnt(1)
	v_or_b32_e32 v102, v41, v116
	s_waitcnt vmcnt(0)
	v_or_b32_e32 v114, v42, v117
	v_or_b32_e32 v116, v62, v78
	v_mul_f32_e32 v102, v51, v102
	v_mul_f32_e32 v114, v51, v114
	s_waitcnt lgkmcnt(1)
	v_fmac_f32_e32 v24, v68, v102
	v_fmac_f32_e32 v37, v69, v114
	v_mul_f32_e32 v68, v51, v97
	v_or_b32_e32 v97, v90, v43
	v_or_b32_e32 v114, v94, v60
	v_fmac_f32_e32 v24, v70, v101
	v_or_b32_e32 v102, v58, v45
	v_fmac_f32_e32 v37, v71, v68
	ds_read2_b64 v[68:71], v23 offset0:35 offset1:36
	s_waitcnt lgkmcnt(1)
	v_fmac_f32_e32 v24, v64, v96
	v_fmac_f32_e32 v37, v65, v81
	;; [unrolled: 1-line block ×3, first 2 shown]
	s_clause 0x3
	buffer_load_dword v80, off, s[0:3], s32 offset:760
	buffer_load_dword v81, off, s[0:3], s32 offset:764
	;; [unrolled: 1-line block ×4, first 2 shown]
	v_fmac_f32_e32 v37, v67, v55
	ds_read2_b64 v[64:67], v23 offset0:37 offset1:38
	s_clause 0x3
	buffer_load_dword v55, off, s[0:3], s32 offset:792
	buffer_load_dword v56, off, s[0:3], s32 offset:796
	;; [unrolled: 1-line block ×4, first 2 shown]
	s_waitcnt vmcnt(5)
	v_or_b32_e32 v39, v41, v80
	s_waitcnt vmcnt(4)
	v_or_b32_e32 v80, v42, v81
	s_clause 0x1
	buffer_load_dword v42, off, s[0:3], s32 offset:832
	buffer_load_dword v43, off, s[0:3], s32 offset:836
	s_waitcnt vmcnt(3)
	v_or_b32_e32 v55, v72, v55
	s_waitcnt vmcnt(2)
	v_or_b32_e32 v84, v73, v56
	ds_read2_b64 v[72:75], v23 offset0:39 offset1:40
	v_mul_f32_e32 v39, v51, v39
	v_mul_f32_e32 v80, v51, v80
	;; [unrolled: 1-line block ×3, first 2 shown]
	s_waitcnt lgkmcnt(2)
	v_fmac_f32_e32 v24, v68, v39
	v_mul_f32_e32 v68, v51, v84
	v_fmac_f32_e32 v37, v69, v80
	v_mul_f32_e32 v80, v51, v87
	v_fmac_f32_e32 v24, v70, v55
	v_fmac_f32_e32 v37, v71, v68
	s_waitcnt lgkmcnt(1)
	v_fmac_f32_e32 v24, v64, v54
	v_mul_f32_e32 v54, v51, v86
	v_fmac_f32_e32 v37, v65, v20
	v_or_b32_e32 v20, v85, v83
	v_mul_f32_e32 v20, v51, v20
	s_waitcnt vmcnt(1)
	v_or_b32_e32 v81, v98, v42
	s_clause 0x3
	buffer_load_dword v41, off, s[0:3], s32 offset:808
	buffer_load_dword v42, off, s[0:3], s32 offset:812
	;; [unrolled: 1-line block ×4, first 2 shown]
	ds_read2_b64 v[68:71], v23 offset0:41 offset1:42
	s_waitcnt vmcnt(1)
	v_or_b32_e32 v39, v89, v41
	s_waitcnt vmcnt(0)
	v_or_b32_e32 v55, v90, v42
	v_mul_f32_e32 v39, v51, v39
	v_mul_f32_e32 v55, v51, v55
	v_fmac_f32_e32 v24, v66, v39
	v_mul_f32_e32 v39, v51, v82
	v_fmac_f32_e32 v37, v67, v55
	ds_read2_b64 v[64:67], v23 offset0:43 offset1:44
	v_mul_f32_e32 v55, v51, v81
	s_waitcnt lgkmcnt(2)
	v_fmac_f32_e32 v24, v72, v54
	v_or_b32_e32 v54, v99, v43
	v_fmac_f32_e32 v37, v73, v80
	ds_read2_b64 v[80:83], v23 offset0:45 offset1:46
	v_fmac_f32_e32 v24, v74, v39
	v_mul_f32_e32 v39, v51, v54
	v_fmac_f32_e32 v37, v75, v20
	v_mul_f32_e32 v20, v51, v100
	s_waitcnt lgkmcnt(2)
	v_fmac_f32_e32 v24, v68, v55
	v_fmac_f32_e32 v37, v69, v39
	;; [unrolled: 1-line block ×3, first 2 shown]
	v_mul_f32_e32 v10, v51, v22
	v_fmac_f32_e32 v37, v71, v11
	ds_read2_b64 v[68:71], v23 offset0:47 offset1:48
	v_or_b32_e32 v11, v77, v19
	s_waitcnt lgkmcnt(2)
	v_fmac_f32_e32 v24, v64, v20
	v_fmac_f32_e32 v37, v65, v10
	v_mul_f32_e32 v10, v51, v97
	v_mul_f32_e32 v11, v51, v11
	v_fmac_f32_e32 v24, v66, v7
	v_or_b32_e32 v7, v91, v44
	v_fmac_f32_e32 v37, v67, v8
	ds_read2_b64 v[64:67], v23 offset0:49 offset1:50
	v_mul_f32_e32 v8, v51, v30
	s_waitcnt lgkmcnt(2)
	v_fmac_f32_e32 v24, v80, v18
	v_mul_f32_e32 v7, v51, v7
	v_fmac_f32_e32 v37, v81, v11
	v_mul_f32_e32 v11, v51, v114
	v_mul_f32_e32 v18, v51, v29
	v_fmac_f32_e32 v24, v82, v10
	v_or_b32_e32 v10, v95, v61
	v_fmac_f32_e32 v37, v83, v7
	ds_read2_b64 v[80:83], v23 offset0:51 offset1:52
	v_or_b32_e32 v7, v59, v46
	s_waitcnt lgkmcnt(2)
	v_fmac_f32_e32 v24, v68, v8
	v_mul_f32_e32 v8, v51, v102
	v_mul_f32_e32 v10, v51, v10
	v_fmac_f32_e32 v37, v69, v18
	v_mul_f32_e32 v18, v51, v116
	v_fmac_f32_e32 v24, v70, v11
	v_or_b32_e32 v11, v63, v79
	v_mul_f32_e32 v7, v51, v7
	v_fmac_f32_e32 v37, v71, v10
	ds_read2_b64 v[68:71], v23 offset0:53 offset1:54
	s_waitcnt lgkmcnt(2)
	v_fmac_f32_e32 v24, v64, v8
	v_mul_f32_e32 v8, v51, v28
	v_mul_f32_e32 v10, v51, v11
	v_fmac_f32_e32 v37, v65, v7
	v_or_b32_e32 v7, v107, v93
	v_fmac_f32_e32 v24, v66, v18
	v_mul_f32_e32 v11, v51, v103
	v_mul_f32_e32 v18, v51, v27
	v_fmac_f32_e32 v37, v67, v10
	ds_read2_b64 v[27:30], v23 offset0:55 offset1:56
	s_waitcnt lgkmcnt(2)
	v_fmac_f32_e32 v24, v80, v8
	v_or_b32_e32 v8, v111, v105
	v_mul_f32_e32 v7, v51, v7
	v_fmac_f32_e32 v37, v81, v18
	v_mul_f32_e32 v10, v51, v32
	v_fmac_f32_e32 v24, v82, v11
	v_or_b32_e32 v11, v125, v123
	v_mul_f32_e32 v8, v51, v8
	v_fmac_f32_e32 v37, v83, v7
	v_mul_f32_e32 v7, v51, v17
	s_waitcnt lgkmcnt(1)
	v_fmac_f32_e32 v24, v68, v10
	ds_read2_b64 v[64:67], v23 offset0:57 offset1:58
	v_mul_f32_e32 v10, v51, v11
	v_fmac_f32_e32 v37, v69, v8
	v_mul_f32_e32 v8, v51, v3
	v_fmac_f32_e32 v24, v70, v7
	v_or_b32_e32 v7, v1, v127
	v_fmac_f32_e32 v37, v71, v10
	v_mul_f32_e32 v10, v51, v0
	s_waitcnt lgkmcnt(1)
	v_fmac_f32_e32 v24, v27, v2
	ds_read2_b64 v[0:3], v23 offset0:59 offset1:60
	v_mul_f32_e32 v7, v51, v7
	v_fmac_f32_e32 v37, v28, v8
	v_or_b32_e32 v8, v16, v12
	v_fmac_f32_e32 v24, v29, v10
	v_fmac_f32_e32 v37, v30, v7
	v_mul_f32_e32 v7, v51, v13
	v_mul_f32_e32 v8, v51, v8
	s_waitcnt lgkmcnt(1)
	v_fmac_f32_e32 v24, v64, v4
	ds_read2_b64 v[10:13], v23 offset0:61 offset1:62
	v_fmac_f32_e32 v37, v65, v5
	v_or_b32_e32 v4, v31, v88
	v_mul_f32_e32 v5, v51, v14
	v_fmac_f32_e32 v24, v66, v8
	v_mul_f32_e32 v8, v51, v15
	v_fmac_f32_e32 v37, v67, v7
	v_mul_f32_e32 v14, v51, v4
	v_mul_f32_e32 v7, v51, v21
	s_waitcnt lgkmcnt(1)
	v_fmac_f32_e32 v24, v0, v5
	ds_read_b64 v[4:5], v23 offset:504
	v_fmac_f32_e32 v37, v1, v8
	v_mul_f32_e32 v8, v51, v52
	v_mul_f32_e32 v1, v51, v53
	v_fmac_f32_e32 v24, v2, v14
	v_mul_f32_e32 v0, v51, v34
	v_fmac_f32_e32 v37, v3, v7
	v_mul_f32_e32 v2, v51, v33
	v_or_b32_e32 v3, v49, v36
	v_or_b32_e32 v7, v48, v35
	s_waitcnt lgkmcnt(1)
	v_fmac_f32_e32 v24, v10, v8
	v_mbcnt_lo_u32_b32 v8, -1, 0
	v_fmac_f32_e32 v37, v11, v1
	v_mul_f32_e32 v3, v51, v3
	v_mul_f32_e32 v7, v51, v7
	v_fmac_f32_e32 v24, v12, v2
	v_xor_b32_e32 v1, 1, v8
	v_fmac_f32_e32 v37, v13, v0
	s_waitcnt lgkmcnt(0)
	v_fmac_f32_e32 v24, v4, v7
	v_cmp_gt_i32_e64 s6, 32, v1
	v_fmac_f32_e32 v37, v5, v3
	v_cndmask_b32_e64 v0, v8, v1, s6
	v_lshlrev_b32_e32 v1, 2, v0
	v_add_f32_e32 v0, v24, v37
	ds_bpermute_b32 v1, v1, v0
	s_and_saveexec_b32 s20, vcc_lo
	s_cbranch_execz .LBB189_10
; %bb.1042:                             ;   in Loop: Header=BB189_12 Depth=1
	s_clause 0x1
	buffer_load_dword v2, off, s[0:3], s32 offset:1072
	buffer_load_dword v3, off, s[0:3], s32 offset:1064
	s_waitcnt lgkmcnt(0)
	v_add_f32_e32 v0, v0, v1
	s_load_dword s21, s[8:9], 0x0
	s_waitcnt vmcnt(1)
	v_add_nc_u32_e32 v2, v2, v26
	v_cvt_f32_i32_e32 v2, v2
	s_waitcnt vmcnt(0)
	v_mul_f32_e32 v2, v3, v2
	buffer_load_dword v3, off, s[0:3], s32 offset:1052 ; 4-byte Folded Reload
	v_cndmask_b32_e64 v1, 0, v2, s5
	buffer_load_dword v2, off, s[0:3], s32 offset:1068 ; 4-byte Folded Reload
	v_fmac_f32_e32 v1, v9, v0
	s_waitcnt vmcnt(1)
	v_max_f32_e32 v0, v3, v3
	s_waitcnt vmcnt(0)
	v_add_nc_u32_e32 v2, v2, v26
	v_max_f32_e32 v0, v0, v1
	v_cmp_lt_i32_e64 s6, v2, v119
	s_waitcnt lgkmcnt(0)
	v_add_nc_u32_e32 v2, s21, v47
	v_cndmask_b32_e64 v1, 0, v1, s6
	v_cndmask_b32_e64 v3, v3, v0, s6
	ds_write_b32 v2, v1
	buffer_store_dword v3, off, s[0:3], s32 offset:1052 ; 4-byte Folded Spill
	s_branch .LBB189_10
.LBB189_1043:
	s_or_b32 exec_lo, exec_lo, s19
	s_clause 0xe
	buffer_load_dword v102, off, s[0:3], s32 offset:1076
	buffer_load_dword v50, off, s[0:3], s32 offset:1080
	;; [unrolled: 1-line block ×15, first 2 shown]
.LBB189_1044:
	s_or_b32 exec_lo, exec_lo, s15
	v_mbcnt_lo_u32_b32 v6, -1, 0
	s_waitcnt vmcnt(0)
	v_max_f32_e32 v3, v13, v13
	v_and_b32_e32 v35, 31, v102
	s_waitcnt lgkmcnt(0)
	s_lshr_b32 s8, s13, 16
	v_xor_b32_e32 v0, 16, v6
	v_xor_b32_e32 v2, 8, v6
	;; [unrolled: 1-line block ×3, first 2 shown]
	v_cmp_gt_i32_e32 vcc_lo, 32, v0
	v_cndmask_b32_e32 v0, v6, v0, vcc_lo
	v_cmp_gt_i32_e32 vcc_lo, 32, v2
	v_lshlrev_b32_e32 v1, 2, v0
	v_cndmask_b32_e32 v2, v6, v2, vcc_lo
	v_cmp_gt_i32_e32 vcc_lo, 32, v4
	ds_bpermute_b32 v0, v1, v13
	v_lshlrev_b32_e32 v2, 2, v2
	v_cndmask_b32_e32 v4, v6, v4, vcc_lo
	s_waitcnt lgkmcnt(0)
	v_max_f32_e32 v0, v0, v0
	v_max_f32_e32 v0, v3, v0
	ds_bpermute_b32 v3, v2, v0
	s_waitcnt lgkmcnt(0)
	v_max_f32_e32 v5, v3, v3
	v_lshlrev_b32_e32 v3, 2, v4
	v_max_f32_e32 v0, v0, v5
	v_xor_b32_e32 v5, 2, v6
	ds_bpermute_b32 v4, v3, v0
	v_cmp_gt_i32_e32 vcc_lo, 32, v5
	v_cndmask_b32_e32 v5, v6, v5, vcc_lo
	v_cmp_eq_u32_e32 vcc_lo, 0, v35
	v_lshlrev_b32_e32 v30, 2, v5
	s_waitcnt lgkmcnt(0)
	v_max_f32_e32 v4, v4, v4
	v_max_f32_e32 v0, v0, v4
	v_lshlrev_b32_e32 v4, 2, v50
	ds_bpermute_b32 v5, v30, v0
	s_and_saveexec_b32 s5, vcc_lo
	s_cbranch_execz .LBB189_1046
; %bb.1045:
	s_waitcnt lgkmcnt(0)
	v_max_f32_e32 v5, v5, v5
	v_max_f32_e32 v0, v0, v0
	;; [unrolled: 1-line block ×3, first 2 shown]
	ds_write_b32 v4, v0 offset:1024
.LBB189_1046:
	s_or_b32 exec_lo, exec_lo, s5
	v_cmp_gt_u32_e64 s5, 4, v35
	v_mov_b32_e32 v0, 0xff7fffff
	s_waitcnt lgkmcnt(0)
	v_lshlrev_b32_e32 v5, 2, v35
	s_waitcnt_vscnt null, 0x0
	s_barrier
	buffer_gl0_inv
	s_and_saveexec_b32 s6, s5
; %bb.1047:
	ds_read_b32 v0, v5 offset:1024
; %bb.1048:
	s_or_b32 exec_lo, exec_lo, s6
	s_waitcnt lgkmcnt(0)
	ds_bpermute_b32 v6, v30, v0
	v_mbcnt_lo_u32_b32 v118, -1, 0
	v_max_f32_e32 v0, v0, v0
	v_mov_b32_e32 v8, 0
	v_xor_b32_e32 v7, 1, v118
	v_cmp_gt_i32_e64 s6, 32, v7
	v_cndmask_b32_e64 v7, v118, v7, s6
	s_waitcnt lgkmcnt(0)
	v_max_f32_e32 v6, v6, v6
	v_lshlrev_b32_e32 v7, 2, v7
	v_max_f32_e32 v0, v0, v6
	ds_bpermute_b32 v6, v7, v0
	s_waitcnt lgkmcnt(0)
	v_max_f32_e32 v6, v6, v6
	v_max_f32_e32 v0, v0, v6
	ds_bpermute_b32 v6, v8, v0
	buffer_load_dword v0, off, s[0:3], s32 offset:204 ; 4-byte Folded Reload
	s_waitcnt vmcnt(0)
	v_lshlrev_b32_e32 v0, 4, v0
	v_min_i32_e32 v0, v0, v119
	v_cmp_lt_i32_e64 s6, v102, v0
	s_and_saveexec_b32 s9, s6
	s_cbranch_execz .LBB189_1052
; %bb.1049:
	s_getpc_b64 s[20:21]
	s_add_u32 s20, s20, llvm.amdgcn.dynlds.offset.table@rel32@lo+4
	s_addc_u32 s21, s21, llvm.amdgcn.dynlds.offset.table@rel32@hi+12
	s_ashr_i32 s19, s18, 31
	v_mov_b32_e32 v8, 0
	s_lshl_b64 s[22:23], s[18:19], 2
	v_mov_b32_e32 v13, v102
	s_add_u32 s20, s20, s22
	s_addc_u32 s21, s21, s23
	s_mov_b32 s13, 0
	s_load_dword s7, s[20:21], 0x0
	s_waitcnt lgkmcnt(0)
	v_lshl_add_u32 v9, v102, 2, s7
	.p2align	6
.LBB189_1050:                           ; =>This Inner Loop Header: Depth=1
	ds_read_b32 v12, v9
	v_add_nc_u32_e32 v13, 0x80, v13
	v_cmp_ge_i32_e64 s7, v13, v0
	s_or_b32 s13, s7, s13
	s_waitcnt lgkmcnt(0)
	v_sub_f32_e32 v12, v12, v6
	v_mul_f32_e32 v12, 0x3fb8aa3b, v12
	v_exp_f32_e32 v12, v12
	ds_write_b32 v9, v12
	v_add_f32_e32 v8, v8, v12
	v_add_nc_u32_e32 v9, 0x200, v9
	s_andn2_b32 exec_lo, exec_lo, s13
	s_cbranch_execnz .LBB189_1050
; %bb.1051:
	s_or_b32 exec_lo, exec_lo, s13
.LBB189_1052:
	s_or_b32 exec_lo, exec_lo, s9
	ds_bpermute_b32 v1, v1, v8
	s_waitcnt lgkmcnt(0)
	v_add_f32_e32 v1, v8, v1
	ds_bpermute_b32 v2, v2, v1
	s_waitcnt lgkmcnt(0)
	v_add_f32_e32 v1, v1, v2
	;; [unrolled: 3-line block ×5, first 2 shown]
	s_and_saveexec_b32 s7, vcc_lo
; %bb.1053:
	ds_write_b32 v4, v1 offset:1040
; %bb.1054:
	s_or_b32 exec_lo, exec_lo, s7
	s_waitcnt lgkmcnt(0)
	s_barrier
	buffer_gl0_inv
	s_and_saveexec_b32 s7, s5
; %bb.1055:
	ds_read_b32 v1, v5 offset:1040
; %bb.1056:
	s_or_b32 exec_lo, exec_lo, s7
	s_waitcnt lgkmcnt(0)
	ds_bpermute_b32 v2, v30, v1
	s_waitcnt lgkmcnt(0)
	v_add_f32_e32 v1, v1, v2
	ds_bpermute_b32 v2, v7, v1
	s_waitcnt lgkmcnt(0)
	v_add_f32_e32 v1, v1, v2
	v_mov_b32_e32 v2, 0
	ds_bpermute_b32 v1, v2, v1
	s_and_saveexec_b32 s5, s6
	s_cbranch_execz .LBB189_1059
; %bb.1057:
	s_waitcnt lgkmcnt(0)
	v_add_f32_e32 v2, 0x358637bd, v1
	s_getpc_b64 s[6:7]
	s_add_u32 s6, s6, llvm.amdgcn.dynlds.offset.table@rel32@lo+4
	s_addc_u32 s7, s7, llvm.amdgcn.dynlds.offset.table@rel32@hi+12
	s_ashr_i32 s19, s18, 31
	s_lshl_b64 s[20:21], s[18:19], 2
	v_div_scale_f32 v1, null, v2, v2, 1.0
	v_div_scale_f32 v5, vcc_lo, 1.0, v2, 1.0
	s_add_u32 s6, s6, s20
	v_rcp_f32_e32 v3, v1
	s_addc_u32 s7, s7, s21
	s_load_dword s6, s[6:7], 0x0
	v_fma_f32 v4, -v1, v3, 1.0
	v_fmac_f32_e32 v3, v4, v3
	v_mul_f32_e32 v4, v5, v3
	v_fma_f32 v6, -v1, v4, v5
	v_fmac_f32_e32 v4, v6, v3
	v_fma_f32 v1, -v1, v4, v5
	v_div_fmas_f32 v3, v1, v3, v4
	s_waitcnt lgkmcnt(0)
	v_lshl_add_u32 v1, v102, 2, s6
	s_mov_b32 s6, 0
	v_div_fixup_f32 v2, v3, v2, 1.0
	v_mov_b32_e32 v3, v102
.LBB189_1058:                           ; =>This Inner Loop Header: Depth=1
	ds_read_b32 v4, v1
	v_add_nc_u32_e32 v3, 0x80, v3
	v_cmp_ge_i32_e32 vcc_lo, v3, v0
	s_or_b32 s6, vcc_lo, s6
	s_waitcnt lgkmcnt(0)
	v_mul_f32_e32 v4, v2, v4
	ds_write_b32 v1, v4
	v_add_nc_u32_e32 v1, 0x200, v1
	s_andn2_b32 exec_lo, exec_lo, s6
	s_cbranch_execnz .LBB189_1058
.LBB189_1059:
	s_or_b32 exec_lo, exec_lo, s5
	s_waitcnt lgkmcnt(0)
	s_barrier
	buffer_gl0_inv
	s_and_saveexec_b32 s5, s4
	s_xor_b32 s4, exec_lo, s5
	s_cbranch_execz .LBB189_1061
; %bb.1060:
                                        ; implicit-def: $vgpr0
                                        ; kill: killed $vgpr0
	s_ashr_i32 s19, s18, 31
                                        ; implicit-def: $vgpr0
                                        ; kill: killed $vgpr0
                                        ; implicit-def: $vgpr119
                                        ; implicit-def: $vgpr20
                                        ; implicit-def: $vgpr18
                                        ; implicit-def: $vgpr10
                                        ; implicit-def: $vgpr11
                                        ; implicit-def: $vgpr26
                                        ; implicit-def: $vgpr17
                                        ; implicit-def: $vgpr22
                                        ; implicit-def: $vgpr19
                                        ; implicit-def: $vgpr14
                                        ; implicit-def: $vgpr15_vgpr16
                                        ; implicit-def: $vgpr21
                                        ; implicit-def: $vgpr0
	buffer_store_dword v0, off, s[0:3], s32 offset:208 ; 4-byte Folded Spill
	buffer_store_dword v1, off, s[0:3], s32 offset:212 ; 4-byte Folded Spill
                                        ; implicit-def: $vgpr0
                                        ; kill: killed $vgpr0
                                        ; implicit-def: $vgpr0
                                        ; kill: killed $vgpr0
	;; [unrolled: 2-line block ×3, first 2 shown]
                                        ; implicit-def: $vgpr0_vgpr1
                                        ; kill: killed $vgpr0_vgpr1
                                        ; implicit-def: $vgpr0
                                        ; kill: killed $vgpr0
                                        ; implicit-def: $vgpr0
                                        ; kill: killed $vgpr0
.LBB189_1061:
	s_or_saveexec_b32 s5, s4
	v_mov_b32_e32 v0, s18
	v_mov_b32_e32 v98, 0
	;; [unrolled: 1-line block ×3, first 2 shown]
	v_and_b32_e32 v103, 3, v102
	v_mov_b32_e32 v100, 0
	v_mov_b32_e32 v99, 0
	;; [unrolled: 1-line block ×31, first 2 shown]
	s_xor_b32 exec_lo, exec_lo, s5
	s_cbranch_execz .LBB189_2155
; %bb.1062:
	v_add_co_u32 v1, vcc_lo, v20, v17
	v_and_b32_e32 v0, 12, v21
	v_add_co_ci_u32_e64 v2, null, v18, v22, vcc_lo
	v_mov_b32_e32 v4, 0
	buffer_store_dword v35, off, s[0:3], s32 offset:752 ; 4-byte Folded Spill
	buffer_store_dword v0, off, s[0:3], s32 offset:720 ; 4-byte Folded Spill
	;; [unrolled: 1-line block ×4, first 2 shown]
	v_and_b32_e32 v2, 0x7c, v14
	buffer_store_dword v4, off, s[0:3], s32 offset:472 ; 4-byte Folded Spill
	v_mov_b32_e32 v4, 0
	v_max_i32_e32 v6, v26, v19
	v_and_b32_e32 v1, 0x7c, v21
	v_add_co_u32 v2, vcc_lo, v2, v15
	buffer_store_dword v4, off, s[0:3], s32 offset:480 ; 4-byte Folded Spill
	v_mov_b32_e32 v4, 0
	v_cvt_f32_u32_e32 v0, v6
	v_sub_nc_u32_e32 v3, 0, v6
	buffer_store_dword v1, off, s[0:3], s32 offset:736 ; 4-byte Folded Spill
	v_or_b32_e32 v1, 0xf80, v21
	buffer_store_dword v4, off, s[0:3], s32 offset:488 ; 4-byte Folded Spill
	v_mov_b32_e32 v4, 0
	v_rcp_iflag_f32_e32 v0, v0
	s_ashr_i32 s19, s18, 31
	buffer_store_dword v1, off, s[0:3], s32 offset:744 ; 4-byte Folded Spill
	v_lshlrev_b32_e32 v1, 4, v103
	buffer_store_dword v4, off, s[0:3], s32 offset:496 ; 4-byte Folded Spill
	v_mov_b32_e32 v4, 0
	s_getpc_b64 s[6:7]
	s_add_u32 s6, s6, llvm.amdgcn.dynlds.offset.table@rel32@lo+4
	s_addc_u32 s7, s7, llvm.amdgcn.dynlds.offset.table@rel32@hi+12
	v_mov_b32_e32 v9, 0
	buffer_store_dword v103, off, s[0:3], s32 offset:760 ; 4-byte Folded Spill
	v_mov_b32_e32 v98, 0x80
	buffer_store_dword v4, off, s[0:3], s32 offset:504 ; 4-byte Folded Spill
	v_mov_b32_e32 v4, 0
	v_mul_f32_e32 v0, 0x4f7ffffe, v0
	v_bfrev_b32_e32 v12, 1
	v_mov_b32_e32 v14, 0x7f800001
	v_mov_b32_e32 v100, 0xff
	buffer_store_dword v4, off, s[0:3], s32 offset:512 ; 4-byte Folded Spill
	v_mov_b32_e32 v4, 0
	v_cvt_u32_f32_e32 v0, v0
	v_mov_b32_e32 v93, 0
	v_mov_b32_e32 v94, 0
	s_lshl_b64 s[20:21], s[18:19], 2
	buffer_store_dword v4, off, s[0:3], s32 offset:520 ; 4-byte Folded Spill
	v_add_co_ci_u32_e64 v4, null, 0, v16, vcc_lo
	v_add_co_u32 v19, vcc_lo, v10, v2
	buffer_load_dword v2, off, s[0:3], s32 offset:1092 ; 4-byte Folded Reload
	v_mul_lo_u32 v3, v3, v0
	v_lshl_or_b32 v103, v50, 6, v1
	v_add_co_ci_u32_e64 v20, null, v11, v4, vcc_lo
	v_mov_b32_e32 v23, 0
	v_mov_b32_e32 v5, 0
	;; [unrolled: 1-line block ×3, first 2 shown]
	s_add_u32 s6, s6, s20
	v_mul_hi_u32 v3, v0, v3
	s_mov_b32 s9, 0
	s_addc_u32 s7, s7, s21
	v_add_nc_u32_e32 v0, v0, v3
	buffer_store_dword v0, off, s[0:3], s32 offset:696 ; 4-byte Folded Spill
	v_mov_b32_e32 v0, 0
	buffer_store_dword v0, off, s[0:3], s32 offset:528 ; 4-byte Folded Spill
	v_mov_b32_e32 v0, 0
	;; [unrolled: 2-line block ×21, first 2 shown]
	buffer_store_dword v0, off, s[0:3], s32 offset:672 ; 4-byte Folded Spill
	s_branch .LBB189_1065
.LBB189_1063:                           ;   in Loop: Header=BB189_1065 Depth=1
	s_or_b32 exec_lo, exec_lo, s4
	v_mul_f32_e32 v11, v3, v92
	v_mul_f32_e32 v13, v3, v99
	;; [unrolled: 1-line block ×5, first 2 shown]
	v_fmac_f32_e32 v11, v2, v91
	v_fmac_f32_e32 v13, v2, v90
	;; [unrolled: 1-line block ×15, first 2 shown]
	v_add_f32_e32 v94, v94, v11
	buffer_load_dword v11, off, s[0:3], s32 offset:472 ; 4-byte Folded Reload
	v_mul_f32_e32 v18, v3, v61
	v_mul_f32_e32 v21, v3, v57
	v_fmac_f32_e32 v18, v2, v60
	v_fmac_f32_e32 v21, v2, v56
	v_fmac_f32_e32 v18, v4, v59
	v_fmac_f32_e32 v21, v4, v47
	v_fmac_f32_e32 v18, v5, v58
	v_fmac_f32_e32 v21, v5, v46
	s_waitcnt vmcnt(0)
	v_add_f32_e32 v11, v11, v13
	v_mul_f32_e32 v13, v3, v116
	buffer_store_dword v11, off, s[0:3], s32 offset:472 ; 4-byte Folded Spill
	buffer_load_dword v11, off, s[0:3], s32 offset:480 ; 4-byte Folded Reload
	v_fmac_f32_e32 v13, v2, v115
	v_fmac_f32_e32 v13, v4, v114
	v_fmac_f32_e32 v13, v5, v87
	s_waitcnt vmcnt(0)
	v_add_f32_e32 v11, v11, v15
	v_mul_f32_e32 v15, v3, v86
	buffer_store_dword v11, off, s[0:3], s32 offset:480 ; 4-byte Folded Spill
	buffer_load_dword v11, off, s[0:3], s32 offset:488 ; 4-byte Folded Reload
	v_fmac_f32_e32 v15, v2, v85
	v_fmac_f32_e32 v15, v4, v84
	v_fmac_f32_e32 v15, v5, v83
	;; [unrolled: 8-line block ×4, first 2 shown]
	s_waitcnt vmcnt(0)
	v_add_f32_e32 v11, v11, v18
	buffer_load_dword v18, off, s[0:3], s32 offset:520 ; 4-byte Folded Reload
	buffer_store_dword v11, off, s[0:3], s32 offset:504 ; 4-byte Folded Spill
	buffer_load_dword v11, off, s[0:3], s32 offset:512 ; 4-byte Folded Reload
	s_waitcnt vmcnt(0)
	v_add_f32_e32 v11, v11, v21
	buffer_store_dword v11, off, s[0:3], s32 offset:512 ; 4-byte Folded Spill
	v_mul_f32_e32 v11, v3, v45
	v_fmac_f32_e32 v11, v2, v44
	v_fmac_f32_e32 v11, v4, v43
	;; [unrolled: 1-line block ×3, first 2 shown]
	v_add_f32_e32 v18, v18, v11
	buffer_load_dword v11, off, s[0:3], s32 offset:528 ; 4-byte Folded Reload
	buffer_store_dword v18, off, s[0:3], s32 offset:520 ; 4-byte Folded Spill
	buffer_load_dword v18, off, s[0:3], s32 offset:560 ; 4-byte Folded Reload
	s_waitcnt vmcnt(1)
	v_add_f32_e32 v11, v11, v13
	v_mul_f32_e32 v13, v3, v54
	buffer_store_dword v11, off, s[0:3], s32 offset:528 ; 4-byte Folded Spill
	buffer_load_dword v11, off, s[0:3], s32 offset:536 ; 4-byte Folded Reload
	v_fmac_f32_e32 v13, v2, v53
	v_fmac_f32_e32 v13, v4, v52
	v_fmac_f32_e32 v13, v5, v51
	s_waitcnt vmcnt(0)
	v_add_f32_e32 v11, v11, v15
	v_mul_f32_e32 v15, v3, v50
	buffer_store_dword v11, off, s[0:3], s32 offset:536 ; 4-byte Folded Spill
	buffer_load_dword v11, off, s[0:3], s32 offset:544 ; 4-byte Folded Reload
	v_fmac_f32_e32 v15, v2, v49
	v_fmac_f32_e32 v15, v4, v48
	v_fmac_f32_e32 v15, v5, v39
	;; [unrolled: 8-line block ×3, first 2 shown]
	s_waitcnt vmcnt(0)
	v_add_f32_e32 v11, v11, v17
	v_mul_f32_e32 v17, v3, v34
	buffer_store_dword v11, off, s[0:3], s32 offset:552 ; 4-byte Folded Spill
	v_mul_f32_e32 v11, v3, v66
	v_fmac_f32_e32 v17, v2, v33
	v_fmac_f32_e32 v11, v2, v65
	;; [unrolled: 1-line block ×6, first 2 shown]
	v_add_f32_e32 v18, v18, v11
	buffer_load_dword v11, off, s[0:3], s32 offset:568 ; 4-byte Folded Reload
	buffer_store_dword v18, off, s[0:3], s32 offset:560 ; 4-byte Folded Spill
	buffer_load_dword v18, off, s[0:3], s32 offset:448 ; 4-byte Folded Reload
	s_waitcnt vmcnt(1)
	v_add_f32_e32 v11, v11, v13
	v_mul_f32_e32 v13, v3, v23
	buffer_load_dword v23, off, s[0:3], s32 offset:704 ; 4-byte Folded Reload
	buffer_store_dword v11, off, s[0:3], s32 offset:568 ; 4-byte Folded Spill
	buffer_load_dword v11, off, s[0:3], s32 offset:576 ; 4-byte Folded Reload
	v_fmac_f32_e32 v13, v2, v29
	v_fmac_f32_e32 v13, v4, v31
	v_fmac_f32_e32 v13, v5, v127
	s_waitcnt vmcnt(0)
	v_add_f32_e32 v11, v11, v15
	v_mul_f32_e32 v15, v3, v126
	buffer_store_dword v11, off, s[0:3], s32 offset:576 ; 4-byte Folded Spill
	buffer_load_dword v11, off, s[0:3], s32 offset:584 ; 4-byte Folded Reload
	v_fmac_f32_e32 v15, v2, v125
	v_fmac_f32_e32 v15, v4, v124
	v_fmac_f32_e32 v15, v5, v123
	s_waitcnt vmcnt(0)
	v_add_f32_e32 v11, v11, v16
	v_mul_f32_e32 v16, v3, v122
	;; [unrolled: 8-line block ×3, first 2 shown]
	buffer_store_dword v11, off, s[0:3], s32 offset:592 ; 4-byte Folded Spill
	v_mul_f32_e32 v11, v3, v28
	v_fmac_f32_e32 v17, v2, v109
	v_fmac_f32_e32 v11, v2, v27
	;; [unrolled: 1-line block ×6, first 2 shown]
	v_add_f32_e32 v23, v23, v11
	buffer_load_dword v11, off, s[0:3], s32 offset:600 ; 4-byte Folded Reload
	s_waitcnt vmcnt(0)
	v_add_f32_e32 v11, v11, v13
	buffer_load_dword v13, off, s[0:3], s32 offset:456 ; 4-byte Folded Reload
	buffer_store_dword v11, off, s[0:3], s32 offset:600 ; 4-byte Folded Spill
	buffer_load_dword v11, off, s[0:3], s32 offset:608 ; 4-byte Folded Reload
	s_waitcnt vmcnt(1)
	v_mul_f32_e32 v13, v3, v13
	s_waitcnt vmcnt(0)
	v_add_f32_e32 v11, v11, v15
	buffer_load_dword v15, off, s[0:3], s32 offset:424 ; 4-byte Folded Reload
	v_fmac_f32_e32 v13, v2, v18
	buffer_load_dword v18, off, s[0:3], s32 offset:416 ; 4-byte Folded Reload
	buffer_store_dword v11, off, s[0:3], s32 offset:608 ; 4-byte Folded Spill
	buffer_load_dword v11, off, s[0:3], s32 offset:616 ; 4-byte Folded Reload
	s_waitcnt vmcnt(2)
	v_mul_f32_e32 v15, v3, v15
	s_waitcnt vmcnt(0)
	v_add_f32_e32 v11, v11, v16
	buffer_load_dword v16, off, s[0:3], s32 offset:392 ; 4-byte Folded Reload
	v_fmac_f32_e32 v15, v2, v18
	;; [unrolled: 9-line block ×3, first 2 shown]
	buffer_load_dword v18, off, s[0:3], s32 offset:352 ; 4-byte Folded Reload
	buffer_store_dword v11, off, s[0:3], s32 offset:624 ; 4-byte Folded Spill
	v_mul_f32_e32 v11, v3, v106
	v_fmac_f32_e32 v11, v2, v105
	v_fmac_f32_e32 v11, v4, v104
	s_waitcnt vmcnt(1)
	v_mul_f32_e32 v17, v3, v17
	s_waitcnt vmcnt(0)
	v_fmac_f32_e32 v17, v2, v18
	buffer_load_dword v18, off, s[0:3], s32 offset:440 ; 4-byte Folded Reload
	s_waitcnt vmcnt(0)
	v_fmac_f32_e32 v13, v4, v18
	buffer_load_dword v18, off, s[0:3], s32 offset:408 ; 4-byte Folded Reload
	;; [unrolled: 3-line block ×10, first 2 shown]
	s_waitcnt vmcnt(0)
	v_add_f32_e32 v18, v18, v11
	buffer_load_dword v11, off, s[0:3], s32 offset:640 ; 4-byte Folded Reload
	buffer_store_dword v18, off, s[0:3], s32 offset:632 ; 4-byte Folded Spill
	s_waitcnt vmcnt(0)
	v_add_f32_e32 v11, v11, v13
	buffer_load_dword v13, off, s[0:3], s32 offset:296 ; 4-byte Folded Reload
	buffer_store_dword v11, off, s[0:3], s32 offset:640 ; 4-byte Folded Spill
	buffer_load_dword v11, off, s[0:3], s32 offset:648 ; 4-byte Folded Reload
	s_waitcnt vmcnt(0)
	v_add_f32_e32 v11, v11, v15
	buffer_load_dword v15, off, s[0:3], s32 offset:264 ; 4-byte Folded Reload
	v_mul_f32_e32 v13, v3, v13
	buffer_store_dword v11, off, s[0:3], s32 offset:648 ; 4-byte Folded Spill
	buffer_load_dword v11, off, s[0:3], s32 offset:656 ; 4-byte Folded Reload
	s_waitcnt vmcnt(0)
	v_add_f32_e32 v11, v11, v16
	buffer_load_dword v16, off, s[0:3], s32 offset:232 ; 4-byte Folded Reload
	v_mul_f32_e32 v15, v3, v15
	buffer_store_dword v11, off, s[0:3], s32 offset:656 ; 4-byte Folded Spill
	buffer_load_dword v11, off, s[0:3], s32 offset:664 ; 4-byte Folded Reload
	s_waitcnt vmcnt(1)
	v_mul_f32_e32 v16, v3, v16
	s_waitcnt vmcnt(0)
	v_add_f32_e32 v11, v11, v17
	buffer_store_dword v11, off, s[0:3], s32 offset:664 ; 4-byte Folded Spill
	buffer_load_dword v11, off, s[0:3], s32 offset:328 ; 4-byte Folded Reload
	s_waitcnt vmcnt(0)
	v_mul_f32_e32 v11, v3, v11
	v_mul_f32_e32 v3, v3, v10
	buffer_load_dword v10, off, s[0:3], s32 offset:320 ; 4-byte Folded Reload
	v_fmac_f32_e32 v3, v2, v8
	v_fmac_f32_e32 v3, v4, v1
	buffer_load_dword v1, off, s[0:3], s32 offset:304 ; 4-byte Folded Reload
	v_fmac_f32_e32 v3, v5, v0
	buffer_load_dword v0, off, s[0:3], s32 offset:680 ; 4-byte Folded Reload
	v_add_f32_e32 v93, v93, v3
	s_waitcnt vmcnt(2)
	v_fmac_f32_e32 v11, v2, v10
	buffer_load_dword v10, off, s[0:3], s32 offset:288 ; 4-byte Folded Reload
	s_waitcnt vmcnt(0)
	v_fmac_f32_e32 v13, v2, v10
	buffer_load_dword v10, off, s[0:3], s32 offset:256 ; 4-byte Folded Reload
	;; [unrolled: 3-line block ×5, first 2 shown]
	v_fmac_f32_e32 v11, v5, v1
	buffer_load_dword v1, off, s[0:3], s32 offset:272 ; 4-byte Folded Reload
	s_waitcnt vmcnt(1)
	v_fmac_f32_e32 v13, v4, v2
	buffer_load_dword v2, off, s[0:3], s32 offset:248 ; 4-byte Folded Reload
	s_waitcnt vmcnt(1)
	v_fmac_f32_e32 v13, v5, v1
	buffer_load_dword v1, off, s[0:3], s32 offset:240 ; 4-byte Folded Reload
	v_add_f32_e32 v0, v0, v13
	buffer_store_dword v0, off, s[0:3], s32 offset:680 ; 4-byte Folded Spill
	buffer_load_dword v0, off, s[0:3], s32 offset:688 ; 4-byte Folded Reload
	s_waitcnt vmcnt(2)
	v_fmac_f32_e32 v15, v4, v2
	buffer_load_dword v2, off, s[0:3], s32 offset:196 ; 4-byte Folded Reload
	s_waitcnt vmcnt(2)
	v_fmac_f32_e32 v15, v5, v1
	buffer_load_dword v1, off, s[0:3], s32 offset:192 ; 4-byte Folded Reload
	s_waitcnt vmcnt(2)
	v_add_f32_e32 v0, v0, v15
	buffer_store_dword v0, off, s[0:3], s32 offset:688 ; 4-byte Folded Spill
	buffer_load_dword v0, off, s[0:3], s32 offset:672 ; 4-byte Folded Reload
	s_waitcnt vmcnt(2)
	v_fmac_f32_e32 v16, v4, v2
	s_waitcnt vmcnt(1)
	v_fmac_f32_e32 v16, v5, v1
	buffer_load_dword v5, off, s[0:3], s32 offset:712 ; 4-byte Folded Reload
	s_waitcnt vmcnt(1)
	v_add_f32_e32 v0, v0, v16
	buffer_store_dword v0, off, s[0:3], s32 offset:672 ; 4-byte Folded Spill
	s_waitcnt vmcnt(0)
	v_add_f32_e32 v5, v5, v11
.LBB189_1064:                           ;   in Loop: Header=BB189_1065 Depth=1
	s_or_b32 exec_lo, exec_lo, s13
	buffer_load_dword v0, off, s[0:3], s32 offset:204 ; 4-byte Folded Reload
	v_add_nc_u32_e32 v113, 4, v113
	v_mov_b32_e32 v2, v95
	v_add_co_u32 v19, s4, v19, 16
	v_add_nc_u32_e32 v103, 0x100, v103
	v_add_co_ci_u32_e64 v20, null, 0, v20, s4
	v_add_nc_u32_e32 v2, 64, v2
	s_waitcnt vmcnt(0)
	v_cmp_ge_i32_e32 vcc_lo, v113, v0
	s_or_b32 s9, vcc_lo, s9
	s_andn2_b32 exec_lo, exec_lo, s9
	s_cbranch_execz .LBB189_2154
.LBB189_1065:                           ; =>This Inner Loop Header: Depth=1
	s_clause 0x1
	buffer_load_dword v0, off, s[0:3], s32 offset:224
	buffer_load_dword v4, off, s[0:3], s32 offset:216
	s_waitcnt vmcnt(2)
	v_mov_b32_e32 v95, v2
	s_waitcnt vmcnt(1)
	v_mul_hi_u32 v0, v2, v0
	s_waitcnt vmcnt(0)
	v_mul_lo_u32 v1, v0, v4
	v_sub_nc_u32_e32 v1, v2, v1
	v_add_nc_u32_e32 v2, 1, v0
	v_sub_nc_u32_e32 v3, v1, v4
	v_cmp_ge_u32_e32 vcc_lo, v1, v4
	v_cndmask_b32_e32 v1, v1, v3, vcc_lo
	v_cndmask_b32_e32 v0, v0, v2, vcc_lo
	v_cmp_ge_u32_e32 vcc_lo, v1, v4
	buffer_load_dword v1, off, s[0:3], s32 offset:220 ; 4-byte Folded Reload
	v_add_nc_u32_e32 v2, 1, v0
	v_cndmask_b32_e32 v0, v0, v2, vcc_lo
	s_waitcnt vmcnt(0)
	v_xor_b32_e32 v0, v0, v1
	v_sub_nc_u32_e32 v0, v0, v1
	s_clause 0x2
	buffer_load_dword v1, off, s[0:3], s32 offset:208
	buffer_load_dword v2, off, s[0:3], s32 offset:212
	;; [unrolled: 1-line block ×3, first 2 shown]
	s_waitcnt vmcnt(2)
	v_add_nc_u32_e32 v1, v0, v1
	s_waitcnt vmcnt(1)
	v_sub_nc_u32_e32 v2, 0, v1
	v_max_i32_e32 v2, v1, v2
	v_ashrrev_i32_e32 v1, 31, v1
	s_waitcnt vmcnt(0)
	v_mul_hi_u32 v3, v2, v3
	v_mul_lo_u32 v3, v3, v6
	v_sub_nc_u32_e32 v2, v2, v3
	v_sub_nc_u32_e32 v3, v2, v6
	v_cmp_ge_u32_e32 vcc_lo, v2, v6
	v_cndmask_b32_e32 v2, v2, v3, vcc_lo
	v_sub_nc_u32_e32 v3, v2, v6
	v_cmp_ge_u32_e32 vcc_lo, v2, v6
	v_cndmask_b32_e32 v2, v2, v3, vcc_lo
	v_xor_b32_e32 v2, v2, v1
	v_sub_nc_u32_e32 v1, v2, v1
	v_cmp_eq_u32_e32 vcc_lo, 0, v1
	buffer_load_dword v1, off, s[0:3], s32 offset:228 ; 4-byte Folded Reload
	s_waitcnt vmcnt(0)
	v_cmp_gt_i32_e64 s4, v0, v1
	s_or_b32 s4, vcc_lo, s4
	s_and_saveexec_b32 s13, s4
	s_cbranch_execz .LBB189_1064
; %bb.1066:                             ;   in Loop: Header=BB189_1065 Depth=1
	buffer_store_dword v5, off, s[0:3], s32 offset:712 ; 4-byte Folded Spill
	buffer_store_dword v23, off, s[0:3], s32 offset:704 ; 4-byte Folded Spill
	flat_load_dword v0, v[19:20]
	s_clause 0x2
	buffer_load_dword v1, off, s[0:3], s32 offset:840
	buffer_load_dword v2, off, s[0:3], s32 offset:728
	;; [unrolled: 1-line block ×3, first 2 shown]
	v_mov_b32_e32 v17, 0
	v_mov_b32_e32 v15, 0
	;; [unrolled: 1-line block ×4, first 2 shown]
	s_waitcnt vmcnt(0) lgkmcnt(0)
	v_mad_i64_i32 v[24:25], null, v0, v1, v[2:3]
	buffer_load_dword v0, off, s[0:3], s32 offset:736 ; 4-byte Folded Reload
	s_waitcnt vmcnt(0)
	v_add_co_u32 v0, vcc_lo, v24, v0
	v_add_co_ci_u32_e64 v1, null, 0, v25, vcc_lo
	flat_load_dword v23, v[0:1]
	s_clause 0x1
	buffer_load_dword v2, off, s[0:3], s32 offset:1036
	buffer_load_dword v3, off, s[0:3], s32 offset:1040
	s_load_dword s4, s[6:7], 0x0
	s_waitcnt vmcnt(2) lgkmcnt(0)
	v_cmp_ne_u16_sdwa s15, v23, v9 src0_sel:BYTE_0 src1_sel:DWORD
	s_waitcnt vmcnt(0)
	flat_load_dword v117, v[2:3]
	v_add_nc_u32_e32 v2, s4, v103
	ds_read_b128 v[2:5], v2
	s_and_saveexec_b32 s4, s15
	s_cbranch_execz .LBB189_1074
; %bb.1067:                             ;   in Loop: Header=BB189_1065 Depth=1
	v_bfrev_b32_e32 v15, 1
	v_mov_b32_e32 v16, 0
	v_cmp_ne_u16_sdwa s17, v23, v98 src0_sel:BYTE_0 src1_sel:DWORD
	s_and_saveexec_b32 s15, s17
	s_cbranch_execz .LBB189_1073
; %bb.1068:                             ;   in Loop: Header=BB189_1065 Depth=1
	v_mov_b32_e32 v15, 0x7f800001
	v_and_b32_e32 v11, 0x7f, v23
	v_mov_b32_e32 v16, 0
	s_mov_b32 s17, exec_lo
	v_cmpx_ne_u32_e32 0x7f, v11
	s_cbranch_execz .LBB189_1072
; %bb.1069:                             ;   in Loop: Header=BB189_1065 Depth=1
	v_and_b32_e32 v8, 7, v23
	v_lshrrev_b32_e32 v10, 3, v11
	s_mov_b32 s20, exec_lo
	v_cmpx_gt_u32_e32 8, v11
; %bb.1070:                             ;   in Loop: Header=BB189_1065 Depth=1
	v_ffbh_u32_e32 v10, v8
	v_min_u32_e32 v10, 32, v10
	v_subrev_nc_u32_e32 v11, 28, v10
	v_sub_nc_u32_e32 v10, 29, v10
	v_lshlrev_b64 v[15:16], v11, v[8:9]
	v_and_b32_e32 v8, 7, v15
; %bb.1071:                             ;   in Loop: Header=BB189_1065 Depth=1
	s_or_b32 exec_lo, exec_lo, s20
	v_lshlrev_b32_e32 v11, 24, v23
	v_lshlrev_b32_e32 v8, 20, v8
	v_lshl_add_u32 v10, v10, 23, 0x3c000000
	v_and_b32_e32 v11, 0x80000000, v11
	v_or3_b32 v8, v8, v11, v10
	v_mov_b32_e32 v16, v9
	v_mov_b32_e32 v15, v8
.LBB189_1072:                           ;   in Loop: Header=BB189_1065 Depth=1
	s_or_b32 exec_lo, exec_lo, s17
.LBB189_1073:                           ;   in Loop: Header=BB189_1065 Depth=1
	s_or_b32 exec_lo, exec_lo, s15
.LBB189_1074:                           ;   in Loop: Header=BB189_1065 Depth=1
	s_or_b32 exec_lo, exec_lo, s4
	v_cmp_ne_u16_sdwa s15, v23, v9 src0_sel:BYTE_1 src1_sel:DWORD
	s_and_saveexec_b32 s4, s15
	s_cbranch_execz .LBB189_1082
; %bb.1075:                             ;   in Loop: Header=BB189_1065 Depth=1
	v_mov_b32_e32 v11, v9
	v_mov_b32_e32 v18, v12
	v_cmp_ne_u16_sdwa s17, v23, v98 src0_sel:BYTE_1 src1_sel:DWORD
	v_mov_b32_e32 v17, v11
	s_and_saveexec_b32 s15, s17
	s_cbranch_execz .LBB189_1081
; %bb.1076:                             ;   in Loop: Header=BB189_1065 Depth=1
	v_mov_b32_e32 v8, 0xffff
	v_mov_b32_e32 v13, v9
	v_mov_b32_e32 v18, v14
	s_mov_b32 s17, exec_lo
	v_and_b32_sdwa v8, v8, v23 dst_sel:DWORD dst_unused:UNUSED_PAD src0_sel:DWORD src1_sel:BYTE_1
	v_mov_b32_e32 v17, v13
	v_and_b32_e32 v11, 0x7f, v8
	v_cmpx_ne_u32_e32 0x7f, v11
	s_cbranch_execz .LBB189_1080
; %bb.1077:                             ;   in Loop: Header=BB189_1065 Depth=1
	v_and_b32_e32 v8, 7, v8
	v_lshrrev_b32_e32 v10, 3, v11
	s_mov_b32 s20, exec_lo
	v_cmpx_gt_u32_e32 8, v11
; %bb.1078:                             ;   in Loop: Header=BB189_1065 Depth=1
	v_ffbh_u32_e32 v10, v8
	v_min_u32_e32 v10, 32, v10
	v_subrev_nc_u32_e32 v11, 28, v10
	v_sub_nc_u32_e32 v10, 29, v10
	v_lshlrev_b64 v[17:18], v11, v[8:9]
	v_and_b32_e32 v8, 7, v17
; %bb.1079:                             ;   in Loop: Header=BB189_1065 Depth=1
	s_or_b32 exec_lo, exec_lo, s20
	v_lshlrev_b32_e32 v11, 16, v23
	v_lshlrev_b32_e32 v8, 20, v8
	v_lshl_add_u32 v10, v10, 23, 0x3c000000
	v_mov_b32_e32 v17, v9
	v_and_b32_e32 v11, 0x80000000, v11
	v_or3_b32 v18, v8, v11, v10
.LBB189_1080:                           ;   in Loop: Header=BB189_1065 Depth=1
	s_or_b32 exec_lo, exec_lo, s17
.LBB189_1081:                           ;   in Loop: Header=BB189_1065 Depth=1
	s_or_b32 exec_lo, exec_lo, s15
.LBB189_1082:                           ;   in Loop: Header=BB189_1065 Depth=1
	s_or_b32 exec_lo, exec_lo, s4
	v_mov_b32_e32 v10, 0
	v_mov_b32_e32 v21, 0
	v_and_b32_sdwa v8, v23, v100 dst_sel:DWORD dst_unused:UNUSED_PAD src0_sel:WORD_1 src1_sel:DWORD
	v_mov_b32_e32 v11, 0
	v_mov_b32_e32 v22, 0
	s_mov_b32 s4, exec_lo
	v_cmpx_ne_u16_e32 0, v8
	s_cbranch_execz .LBB189_1090
; %bb.1083:                             ;   in Loop: Header=BB189_1065 Depth=1
	v_bfrev_b32_e32 v21, 1
	v_mov_b32_e32 v22, 0
	s_mov_b32 s15, exec_lo
	v_cmpx_ne_u16_e32 0x80, v8
	s_cbranch_execz .LBB189_1089
; %bb.1084:                             ;   in Loop: Header=BB189_1065 Depth=1
	v_mov_b32_e32 v21, 0x7f800001
	v_bfe_u32 v27, v23, 16, 7
	v_mov_b32_e32 v22, 0
	s_mov_b32 s17, exec_lo
	v_cmpx_ne_u32_e32 0x7f, v27
	s_cbranch_execz .LBB189_1088
; %bb.1085:                             ;   in Loop: Header=BB189_1065 Depth=1
	v_mov_b32_e32 v8, 7
	v_lshrrev_b32_e32 v13, 3, v27
	s_mov_b32 s20, exec_lo
	v_and_b32_sdwa v8, v23, v8 dst_sel:DWORD dst_unused:UNUSED_PAD src0_sel:WORD_1 src1_sel:DWORD
	v_cmpx_gt_u32_e32 8, v27
; %bb.1086:                             ;   in Loop: Header=BB189_1065 Depth=1
	v_ffbh_u32_e32 v13, v8
	v_min_u32_e32 v13, 32, v13
	v_subrev_nc_u32_e32 v21, 28, v13
	v_sub_nc_u32_e32 v13, 29, v13
	v_lshlrev_b64 v[21:22], v21, v[8:9]
	v_and_b32_e32 v8, 7, v21
; %bb.1087:                             ;   in Loop: Header=BB189_1065 Depth=1
	s_or_b32 exec_lo, exec_lo, s20
	v_mov_b32_e32 v21, 24
	v_lshlrev_b32_e32 v8, 20, v8
	v_lshl_add_u32 v13, v13, 23, 0x3c000000
	v_lshlrev_b32_sdwa v21, v21, v23 dst_sel:DWORD dst_unused:UNUSED_PAD src0_sel:DWORD src1_sel:WORD_1
	v_and_b32_e32 v21, 0x80000000, v21
	v_or3_b32 v8, v8, v21, v13
	v_mov_b32_e32 v22, v9
	v_mov_b32_e32 v21, v8
.LBB189_1088:                           ;   in Loop: Header=BB189_1065 Depth=1
	s_or_b32 exec_lo, exec_lo, s17
.LBB189_1089:                           ;   in Loop: Header=BB189_1065 Depth=1
	s_or_b32 exec_lo, exec_lo, s15
.LBB189_1090:                           ;   in Loop: Header=BB189_1065 Depth=1
	s_or_b32 exec_lo, exec_lo, s4
	s_mov_b32 s4, exec_lo
	v_cmpx_lt_u32_e32 0xffffff, v23
	s_cbranch_execz .LBB189_1098
; %bb.1091:                             ;   in Loop: Header=BB189_1065 Depth=1
	v_mov_b32_e32 v11, v9
	v_cmp_ne_u32_sdwa s17, v23, v98 src0_sel:BYTE_3 src1_sel:DWORD
	v_mov_b32_e32 v10, v11
	v_mov_b32_e32 v11, v12
	s_and_saveexec_b32 s15, s17
	s_cbranch_execz .LBB189_1097
; %bb.1092:                             ;   in Loop: Header=BB189_1065 Depth=1
	v_mov_b32_e32 v13, v9
	v_bfe_u32 v27, v23, 24, 7
	s_mov_b32 s17, exec_lo
	v_mov_b32_e32 v10, v13
	v_mov_b32_e32 v11, v14
	v_cmpx_ne_u32_e32 0x7f, v27
	s_cbranch_execz .LBB189_1096
; %bb.1093:                             ;   in Loop: Header=BB189_1065 Depth=1
	v_mov_b32_e32 v8, 7
	v_lshrrev_b32_e32 v10, 3, v27
	s_mov_b32 s20, exec_lo
	v_and_b32_sdwa v8, v23, v8 dst_sel:DWORD dst_unused:UNUSED_PAD src0_sel:BYTE_3 src1_sel:DWORD
	v_cmpx_gt_u32_e32 8, v27
; %bb.1094:                             ;   in Loop: Header=BB189_1065 Depth=1
	v_ffbh_u32_e32 v10, v8
	v_min_u32_e32 v10, 32, v10
	v_subrev_nc_u32_e32 v11, 28, v10
	v_sub_nc_u32_e32 v10, 29, v10
	v_lshlrev_b64 v[27:28], v11, v[8:9]
	v_and_b32_e32 v8, 7, v27
; %bb.1095:                             ;   in Loop: Header=BB189_1065 Depth=1
	s_or_b32 exec_lo, exec_lo, s20
	v_mov_b32_e32 v11, 24
	v_lshlrev_b32_e32 v8, 20, v8
	v_lshl_add_u32 v10, v10, 23, 0x3c000000
	v_lshlrev_b32_sdwa v11, v11, v23 dst_sel:DWORD dst_unused:UNUSED_PAD src0_sel:DWORD src1_sel:BYTE_3
	v_and_b32_e32 v11, 0x80000000, v11
	v_or3_b32 v11, v8, v11, v10
	v_mov_b32_e32 v10, v9
.LBB189_1096:                           ;   in Loop: Header=BB189_1065 Depth=1
	s_or_b32 exec_lo, exec_lo, s17
.LBB189_1097:                           ;   in Loop: Header=BB189_1065 Depth=1
	s_or_b32 exec_lo, exec_lo, s15
.LBB189_1098:                           ;   in Loop: Header=BB189_1065 Depth=1
	s_or_b32 exec_lo, exec_lo, s4
	buffer_load_dword v8, off, s[0:3], s32 offset:720 ; 4-byte Folded Reload
	v_or_b32_e32 v13, v18, v16
	v_or_b32_e32 v15, v17, v15
	v_or_b32_e32 v10, v10, v21
	v_or_b32_e32 v11, v11, v22
	s_waitcnt vmcnt(0)
	v_add_nc_u32_e32 v26, v8, v95
	buffer_load_dword v8, off, s[0:3], s32 offset:204 ; 4-byte Folded Reload
	v_add_nc_u32_e32 v42, 1, v26
	v_add_nc_u32_e32 v41, 2, v26
	v_add_nc_u32_e32 v40, 3, v26
	s_waitcnt vmcnt(0)
	v_add_nc_u32_e32 v8, -1, v8
	v_cmp_eq_u32_e32 vcc_lo, v8, v113
	s_waitcnt lgkmcnt(1)
	v_mul_f32_e32 v8, v117, v13
	buffer_store_dword v8, off, s[0:3], s32 offset:232 ; 4-byte Folded Spill
	v_mul_f32_e32 v8, v117, v15
	buffer_store_dword v8, off, s[0:3], s32 offset:200 ; 4-byte Folded Spill
	v_mul_f32_e32 v8, v117, v10
	buffer_store_dword v8, off, s[0:3], s32 offset:196 ; 4-byte Folded Spill
	v_mul_f32_e32 v8, v117, v11
	buffer_store_dword v8, off, s[0:3], s32 offset:192 ; 4-byte Folded Spill
	s_and_saveexec_b32 s15, vcc_lo
	s_cbranch_execz .LBB189_1100
; %bb.1099:                             ;   in Loop: Header=BB189_1065 Depth=1
	buffer_load_dword v8, off, s[0:3], s32 offset:200 ; 4-byte Folded Reload
	v_cmp_lt_i32_e64 s4, v26, v119
	s_waitcnt vmcnt(0)
	v_cndmask_b32_e64 v8, 0, v8, s4
	v_cmp_lt_i32_e64 s4, v42, v119
	buffer_store_dword v8, off, s[0:3], s32 offset:200 ; 4-byte Folded Spill
	buffer_load_dword v8, off, s[0:3], s32 offset:232 ; 4-byte Folded Reload
	s_waitcnt vmcnt(0)
	v_cndmask_b32_e64 v8, 0, v8, s4
	v_cmp_lt_i32_e64 s4, v41, v119
	buffer_store_dword v8, off, s[0:3], s32 offset:232 ; 4-byte Folded Spill
	buffer_load_dword v8, off, s[0:3], s32 offset:196 ; 4-byte Folded Reload
	;; [unrolled: 5-line block ×3, first 2 shown]
	s_waitcnt vmcnt(0)
	v_cndmask_b32_e64 v8, 0, v8, s4
	buffer_store_dword v8, off, s[0:3], s32 offset:192 ; 4-byte Folded Spill
.LBB189_1100:                           ;   in Loop: Header=BB189_1065 Depth=1
	s_or_b32 exec_lo, exec_lo, s15
	flat_load_dword v23, v[0:1] offset:128
	v_mov_b32_e32 v17, 0
	v_mov_b32_e32 v15, 0
	;; [unrolled: 1-line block ×4, first 2 shown]
	s_waitcnt vmcnt(0) lgkmcnt(0)
	v_cmp_ne_u16_sdwa s4, v23, v9 src0_sel:BYTE_0 src1_sel:DWORD
	s_and_saveexec_b32 s15, s4
	s_cbranch_execz .LBB189_1108
; %bb.1101:                             ;   in Loop: Header=BB189_1065 Depth=1
	v_bfrev_b32_e32 v15, 1
	v_mov_b32_e32 v16, 0
	v_cmp_ne_u16_sdwa s4, v23, v98 src0_sel:BYTE_0 src1_sel:DWORD
	s_and_saveexec_b32 s17, s4
	s_cbranch_execz .LBB189_1107
; %bb.1102:                             ;   in Loop: Header=BB189_1065 Depth=1
	v_mov_b32_e32 v15, 0x7f800001
	v_and_b32_e32 v11, 0x7f, v23
	v_mov_b32_e32 v16, 0
	s_mov_b32 s20, exec_lo
	v_cmpx_ne_u32_e32 0x7f, v11
	s_cbranch_execz .LBB189_1106
; %bb.1103:                             ;   in Loop: Header=BB189_1065 Depth=1
	v_and_b32_e32 v8, 7, v23
	v_lshrrev_b32_e32 v10, 3, v11
	s_mov_b32 s21, exec_lo
	v_cmpx_gt_u32_e32 8, v11
; %bb.1104:                             ;   in Loop: Header=BB189_1065 Depth=1
	v_ffbh_u32_e32 v10, v8
	v_min_u32_e32 v10, 32, v10
	v_subrev_nc_u32_e32 v11, 28, v10
	v_sub_nc_u32_e32 v10, 29, v10
	v_lshlrev_b64 v[15:16], v11, v[8:9]
	v_and_b32_e32 v8, 7, v15
; %bb.1105:                             ;   in Loop: Header=BB189_1065 Depth=1
	s_or_b32 exec_lo, exec_lo, s21
	v_lshlrev_b32_e32 v11, 24, v23
	v_lshlrev_b32_e32 v8, 20, v8
	v_lshl_add_u32 v10, v10, 23, 0x3c000000
	v_and_b32_e32 v11, 0x80000000, v11
	v_or3_b32 v8, v8, v11, v10
	v_mov_b32_e32 v16, v9
	v_mov_b32_e32 v15, v8
.LBB189_1106:                           ;   in Loop: Header=BB189_1065 Depth=1
	s_or_b32 exec_lo, exec_lo, s20
.LBB189_1107:                           ;   in Loop: Header=BB189_1065 Depth=1
	s_or_b32 exec_lo, exec_lo, s17
.LBB189_1108:                           ;   in Loop: Header=BB189_1065 Depth=1
	s_or_b32 exec_lo, exec_lo, s15
	v_cmp_ne_u16_sdwa s4, v23, v9 src0_sel:BYTE_1 src1_sel:DWORD
	s_and_saveexec_b32 s15, s4
	s_cbranch_execz .LBB189_1116
; %bb.1109:                             ;   in Loop: Header=BB189_1065 Depth=1
	v_mov_b32_e32 v11, v9
	v_mov_b32_e32 v18, v12
	v_cmp_ne_u16_sdwa s4, v23, v98 src0_sel:BYTE_1 src1_sel:DWORD
	v_mov_b32_e32 v17, v11
	s_and_saveexec_b32 s17, s4
	s_cbranch_execz .LBB189_1115
; %bb.1110:                             ;   in Loop: Header=BB189_1065 Depth=1
	v_mov_b32_e32 v8, 0xffff
	v_mov_b32_e32 v13, v9
	v_mov_b32_e32 v18, v14
	s_mov_b32 s20, exec_lo
	v_and_b32_sdwa v8, v8, v23 dst_sel:DWORD dst_unused:UNUSED_PAD src0_sel:DWORD src1_sel:BYTE_1
	v_mov_b32_e32 v17, v13
	v_and_b32_e32 v11, 0x7f, v8
	v_cmpx_ne_u32_e32 0x7f, v11
	s_cbranch_execz .LBB189_1114
; %bb.1111:                             ;   in Loop: Header=BB189_1065 Depth=1
	v_and_b32_e32 v8, 7, v8
	v_lshrrev_b32_e32 v10, 3, v11
	s_mov_b32 s21, exec_lo
	v_cmpx_gt_u32_e32 8, v11
; %bb.1112:                             ;   in Loop: Header=BB189_1065 Depth=1
	v_ffbh_u32_e32 v10, v8
	v_min_u32_e32 v10, 32, v10
	v_subrev_nc_u32_e32 v11, 28, v10
	v_sub_nc_u32_e32 v10, 29, v10
	v_lshlrev_b64 v[17:18], v11, v[8:9]
	v_and_b32_e32 v8, 7, v17
; %bb.1113:                             ;   in Loop: Header=BB189_1065 Depth=1
	s_or_b32 exec_lo, exec_lo, s21
	v_lshlrev_b32_e32 v11, 16, v23
	v_lshlrev_b32_e32 v8, 20, v8
	v_lshl_add_u32 v10, v10, 23, 0x3c000000
	v_mov_b32_e32 v17, v9
	v_and_b32_e32 v11, 0x80000000, v11
	v_or3_b32 v18, v8, v11, v10
.LBB189_1114:                           ;   in Loop: Header=BB189_1065 Depth=1
	s_or_b32 exec_lo, exec_lo, s20
.LBB189_1115:                           ;   in Loop: Header=BB189_1065 Depth=1
	s_or_b32 exec_lo, exec_lo, s17
.LBB189_1116:                           ;   in Loop: Header=BB189_1065 Depth=1
	s_or_b32 exec_lo, exec_lo, s15
	v_mov_b32_e32 v10, 0
	v_mov_b32_e32 v21, 0
	v_and_b32_sdwa v8, v23, v100 dst_sel:DWORD dst_unused:UNUSED_PAD src0_sel:WORD_1 src1_sel:DWORD
	v_mov_b32_e32 v11, 0
	v_mov_b32_e32 v22, 0
	s_mov_b32 s15, exec_lo
	v_cmpx_ne_u16_e32 0, v8
	s_cbranch_execz .LBB189_1124
; %bb.1117:                             ;   in Loop: Header=BB189_1065 Depth=1
	v_bfrev_b32_e32 v21, 1
	v_mov_b32_e32 v22, 0
	s_mov_b32 s17, exec_lo
	v_cmpx_ne_u16_e32 0x80, v8
	s_cbranch_execz .LBB189_1123
; %bb.1118:                             ;   in Loop: Header=BB189_1065 Depth=1
	v_mov_b32_e32 v21, 0x7f800001
	v_bfe_u32 v27, v23, 16, 7
	v_mov_b32_e32 v22, 0
	s_mov_b32 s20, exec_lo
	v_cmpx_ne_u32_e32 0x7f, v27
	s_cbranch_execz .LBB189_1122
; %bb.1119:                             ;   in Loop: Header=BB189_1065 Depth=1
	v_mov_b32_e32 v8, 7
	v_lshrrev_b32_e32 v13, 3, v27
	s_mov_b32 s21, exec_lo
	v_and_b32_sdwa v8, v23, v8 dst_sel:DWORD dst_unused:UNUSED_PAD src0_sel:WORD_1 src1_sel:DWORD
	v_cmpx_gt_u32_e32 8, v27
; %bb.1120:                             ;   in Loop: Header=BB189_1065 Depth=1
	v_ffbh_u32_e32 v13, v8
	v_min_u32_e32 v13, 32, v13
	v_subrev_nc_u32_e32 v21, 28, v13
	v_sub_nc_u32_e32 v13, 29, v13
	v_lshlrev_b64 v[21:22], v21, v[8:9]
	v_and_b32_e32 v8, 7, v21
; %bb.1121:                             ;   in Loop: Header=BB189_1065 Depth=1
	s_or_b32 exec_lo, exec_lo, s21
	v_mov_b32_e32 v21, 24
	v_lshlrev_b32_e32 v8, 20, v8
	v_lshl_add_u32 v13, v13, 23, 0x3c000000
	v_lshlrev_b32_sdwa v21, v21, v23 dst_sel:DWORD dst_unused:UNUSED_PAD src0_sel:DWORD src1_sel:WORD_1
	v_and_b32_e32 v21, 0x80000000, v21
	v_or3_b32 v8, v8, v21, v13
	v_mov_b32_e32 v22, v9
	v_mov_b32_e32 v21, v8
.LBB189_1122:                           ;   in Loop: Header=BB189_1065 Depth=1
	s_or_b32 exec_lo, exec_lo, s20
.LBB189_1123:                           ;   in Loop: Header=BB189_1065 Depth=1
	s_or_b32 exec_lo, exec_lo, s17
.LBB189_1124:                           ;   in Loop: Header=BB189_1065 Depth=1
	s_or_b32 exec_lo, exec_lo, s15
	s_mov_b32 s15, exec_lo
	v_cmpx_lt_u32_e32 0xffffff, v23
	s_cbranch_execz .LBB189_1132
; %bb.1125:                             ;   in Loop: Header=BB189_1065 Depth=1
	v_mov_b32_e32 v11, v9
	v_cmp_ne_u32_sdwa s4, v23, v98 src0_sel:BYTE_3 src1_sel:DWORD
	v_mov_b32_e32 v10, v11
	v_mov_b32_e32 v11, v12
	s_and_saveexec_b32 s17, s4
	s_cbranch_execz .LBB189_1131
; %bb.1126:                             ;   in Loop: Header=BB189_1065 Depth=1
	v_mov_b32_e32 v13, v9
	v_bfe_u32 v27, v23, 24, 7
	s_mov_b32 s20, exec_lo
	v_mov_b32_e32 v10, v13
	v_mov_b32_e32 v11, v14
	v_cmpx_ne_u32_e32 0x7f, v27
	s_cbranch_execz .LBB189_1130
; %bb.1127:                             ;   in Loop: Header=BB189_1065 Depth=1
	v_mov_b32_e32 v8, 7
	v_lshrrev_b32_e32 v10, 3, v27
	s_mov_b32 s21, exec_lo
	v_and_b32_sdwa v8, v23, v8 dst_sel:DWORD dst_unused:UNUSED_PAD src0_sel:BYTE_3 src1_sel:DWORD
	v_cmpx_gt_u32_e32 8, v27
; %bb.1128:                             ;   in Loop: Header=BB189_1065 Depth=1
	v_ffbh_u32_e32 v10, v8
	v_min_u32_e32 v10, 32, v10
	v_subrev_nc_u32_e32 v11, 28, v10
	v_sub_nc_u32_e32 v10, 29, v10
	v_lshlrev_b64 v[27:28], v11, v[8:9]
	v_and_b32_e32 v8, 7, v27
; %bb.1129:                             ;   in Loop: Header=BB189_1065 Depth=1
	s_or_b32 exec_lo, exec_lo, s21
	v_mov_b32_e32 v11, 24
	v_lshlrev_b32_e32 v8, 20, v8
	v_lshl_add_u32 v10, v10, 23, 0x3c000000
	v_lshlrev_b32_sdwa v11, v11, v23 dst_sel:DWORD dst_unused:UNUSED_PAD src0_sel:DWORD src1_sel:BYTE_3
	v_and_b32_e32 v11, 0x80000000, v11
	v_or3_b32 v11, v8, v11, v10
	v_mov_b32_e32 v10, v9
.LBB189_1130:                           ;   in Loop: Header=BB189_1065 Depth=1
	s_or_b32 exec_lo, exec_lo, s20
.LBB189_1131:                           ;   in Loop: Header=BB189_1065 Depth=1
	s_or_b32 exec_lo, exec_lo, s17
.LBB189_1132:                           ;   in Loop: Header=BB189_1065 Depth=1
	s_or_b32 exec_lo, exec_lo, s15
	v_or_b32_e32 v8, v18, v16
	v_or_b32_e32 v13, v17, v15
	;; [unrolled: 1-line block ×4, first 2 shown]
	v_mul_f32_e32 v8, v117, v8
	buffer_store_dword v8, off, s[0:3], s32 offset:264 ; 4-byte Folded Spill
	v_mul_f32_e32 v8, v117, v13
	buffer_store_dword v8, off, s[0:3], s32 offset:256 ; 4-byte Folded Spill
	;; [unrolled: 2-line block ×4, first 2 shown]
	s_and_saveexec_b32 s15, vcc_lo
	s_cbranch_execz .LBB189_1134
; %bb.1133:                             ;   in Loop: Header=BB189_1065 Depth=1
	buffer_load_dword v8, off, s[0:3], s32 offset:256 ; 4-byte Folded Reload
	v_cmp_lt_i32_e64 s4, v26, v119
	s_waitcnt vmcnt(0)
	v_cndmask_b32_e64 v8, 0, v8, s4
	v_cmp_lt_i32_e64 s4, v42, v119
	buffer_store_dword v8, off, s[0:3], s32 offset:256 ; 4-byte Folded Spill
	buffer_load_dword v8, off, s[0:3], s32 offset:264 ; 4-byte Folded Reload
	s_waitcnt vmcnt(0)
	v_cndmask_b32_e64 v8, 0, v8, s4
	v_cmp_lt_i32_e64 s4, v41, v119
	buffer_store_dword v8, off, s[0:3], s32 offset:264 ; 4-byte Folded Spill
	buffer_load_dword v8, off, s[0:3], s32 offset:248 ; 4-byte Folded Reload
	;; [unrolled: 5-line block ×3, first 2 shown]
	s_waitcnt vmcnt(0)
	v_cndmask_b32_e64 v8, 0, v8, s4
	buffer_store_dword v8, off, s[0:3], s32 offset:240 ; 4-byte Folded Spill
.LBB189_1134:                           ;   in Loop: Header=BB189_1065 Depth=1
	s_or_b32 exec_lo, exec_lo, s15
	flat_load_dword v23, v[0:1] offset:256
	v_mov_b32_e32 v17, 0
	v_mov_b32_e32 v15, 0
	;; [unrolled: 1-line block ×4, first 2 shown]
	s_waitcnt vmcnt(0) lgkmcnt(0)
	v_cmp_ne_u16_sdwa s4, v23, v9 src0_sel:BYTE_0 src1_sel:DWORD
	s_and_saveexec_b32 s15, s4
	s_cbranch_execz .LBB189_1142
; %bb.1135:                             ;   in Loop: Header=BB189_1065 Depth=1
	v_bfrev_b32_e32 v15, 1
	v_mov_b32_e32 v16, 0
	v_cmp_ne_u16_sdwa s4, v23, v98 src0_sel:BYTE_0 src1_sel:DWORD
	s_and_saveexec_b32 s17, s4
	s_cbranch_execz .LBB189_1141
; %bb.1136:                             ;   in Loop: Header=BB189_1065 Depth=1
	v_mov_b32_e32 v15, 0x7f800001
	v_and_b32_e32 v11, 0x7f, v23
	v_mov_b32_e32 v16, 0
	s_mov_b32 s20, exec_lo
	v_cmpx_ne_u32_e32 0x7f, v11
	s_cbranch_execz .LBB189_1140
; %bb.1137:                             ;   in Loop: Header=BB189_1065 Depth=1
	v_and_b32_e32 v8, 7, v23
	v_lshrrev_b32_e32 v10, 3, v11
	s_mov_b32 s21, exec_lo
	v_cmpx_gt_u32_e32 8, v11
; %bb.1138:                             ;   in Loop: Header=BB189_1065 Depth=1
	v_ffbh_u32_e32 v10, v8
	v_min_u32_e32 v10, 32, v10
	v_subrev_nc_u32_e32 v11, 28, v10
	v_sub_nc_u32_e32 v10, 29, v10
	v_lshlrev_b64 v[15:16], v11, v[8:9]
	v_and_b32_e32 v8, 7, v15
; %bb.1139:                             ;   in Loop: Header=BB189_1065 Depth=1
	s_or_b32 exec_lo, exec_lo, s21
	v_lshlrev_b32_e32 v11, 24, v23
	v_lshlrev_b32_e32 v8, 20, v8
	v_lshl_add_u32 v10, v10, 23, 0x3c000000
	v_and_b32_e32 v11, 0x80000000, v11
	v_or3_b32 v8, v8, v11, v10
	v_mov_b32_e32 v16, v9
	v_mov_b32_e32 v15, v8
.LBB189_1140:                           ;   in Loop: Header=BB189_1065 Depth=1
	s_or_b32 exec_lo, exec_lo, s20
.LBB189_1141:                           ;   in Loop: Header=BB189_1065 Depth=1
	s_or_b32 exec_lo, exec_lo, s17
.LBB189_1142:                           ;   in Loop: Header=BB189_1065 Depth=1
	s_or_b32 exec_lo, exec_lo, s15
	v_cmp_ne_u16_sdwa s4, v23, v9 src0_sel:BYTE_1 src1_sel:DWORD
	s_and_saveexec_b32 s15, s4
	s_cbranch_execz .LBB189_1150
; %bb.1143:                             ;   in Loop: Header=BB189_1065 Depth=1
	v_mov_b32_e32 v11, v9
	v_mov_b32_e32 v18, v12
	v_cmp_ne_u16_sdwa s4, v23, v98 src0_sel:BYTE_1 src1_sel:DWORD
	v_mov_b32_e32 v17, v11
	s_and_saveexec_b32 s17, s4
	s_cbranch_execz .LBB189_1149
; %bb.1144:                             ;   in Loop: Header=BB189_1065 Depth=1
	v_mov_b32_e32 v8, 0xffff
	v_mov_b32_e32 v13, v9
	;; [unrolled: 1-line block ×3, first 2 shown]
	s_mov_b32 s20, exec_lo
	v_and_b32_sdwa v8, v8, v23 dst_sel:DWORD dst_unused:UNUSED_PAD src0_sel:DWORD src1_sel:BYTE_1
	v_mov_b32_e32 v17, v13
	v_and_b32_e32 v11, 0x7f, v8
	v_cmpx_ne_u32_e32 0x7f, v11
	s_cbranch_execz .LBB189_1148
; %bb.1145:                             ;   in Loop: Header=BB189_1065 Depth=1
	v_and_b32_e32 v8, 7, v8
	v_lshrrev_b32_e32 v10, 3, v11
	s_mov_b32 s21, exec_lo
	v_cmpx_gt_u32_e32 8, v11
; %bb.1146:                             ;   in Loop: Header=BB189_1065 Depth=1
	v_ffbh_u32_e32 v10, v8
	v_min_u32_e32 v10, 32, v10
	v_subrev_nc_u32_e32 v11, 28, v10
	v_sub_nc_u32_e32 v10, 29, v10
	v_lshlrev_b64 v[17:18], v11, v[8:9]
	v_and_b32_e32 v8, 7, v17
; %bb.1147:                             ;   in Loop: Header=BB189_1065 Depth=1
	s_or_b32 exec_lo, exec_lo, s21
	v_lshlrev_b32_e32 v11, 16, v23
	v_lshlrev_b32_e32 v8, 20, v8
	v_lshl_add_u32 v10, v10, 23, 0x3c000000
	v_mov_b32_e32 v17, v9
	v_and_b32_e32 v11, 0x80000000, v11
	v_or3_b32 v18, v8, v11, v10
.LBB189_1148:                           ;   in Loop: Header=BB189_1065 Depth=1
	s_or_b32 exec_lo, exec_lo, s20
.LBB189_1149:                           ;   in Loop: Header=BB189_1065 Depth=1
	s_or_b32 exec_lo, exec_lo, s17
.LBB189_1150:                           ;   in Loop: Header=BB189_1065 Depth=1
	s_or_b32 exec_lo, exec_lo, s15
	v_mov_b32_e32 v10, 0
	v_mov_b32_e32 v21, 0
	v_and_b32_sdwa v8, v23, v100 dst_sel:DWORD dst_unused:UNUSED_PAD src0_sel:WORD_1 src1_sel:DWORD
	v_mov_b32_e32 v11, 0
	v_mov_b32_e32 v22, 0
	s_mov_b32 s15, exec_lo
	v_cmpx_ne_u16_e32 0, v8
	s_cbranch_execz .LBB189_1158
; %bb.1151:                             ;   in Loop: Header=BB189_1065 Depth=1
	v_bfrev_b32_e32 v21, 1
	v_mov_b32_e32 v22, 0
	s_mov_b32 s17, exec_lo
	v_cmpx_ne_u16_e32 0x80, v8
	s_cbranch_execz .LBB189_1157
; %bb.1152:                             ;   in Loop: Header=BB189_1065 Depth=1
	v_mov_b32_e32 v21, 0x7f800001
	v_bfe_u32 v27, v23, 16, 7
	v_mov_b32_e32 v22, 0
	s_mov_b32 s20, exec_lo
	v_cmpx_ne_u32_e32 0x7f, v27
	s_cbranch_execz .LBB189_1156
; %bb.1153:                             ;   in Loop: Header=BB189_1065 Depth=1
	v_mov_b32_e32 v8, 7
	v_lshrrev_b32_e32 v13, 3, v27
	s_mov_b32 s21, exec_lo
	v_and_b32_sdwa v8, v23, v8 dst_sel:DWORD dst_unused:UNUSED_PAD src0_sel:WORD_1 src1_sel:DWORD
	v_cmpx_gt_u32_e32 8, v27
; %bb.1154:                             ;   in Loop: Header=BB189_1065 Depth=1
	v_ffbh_u32_e32 v13, v8
	v_min_u32_e32 v13, 32, v13
	v_subrev_nc_u32_e32 v21, 28, v13
	v_sub_nc_u32_e32 v13, 29, v13
	v_lshlrev_b64 v[21:22], v21, v[8:9]
	v_and_b32_e32 v8, 7, v21
; %bb.1155:                             ;   in Loop: Header=BB189_1065 Depth=1
	s_or_b32 exec_lo, exec_lo, s21
	v_mov_b32_e32 v21, 24
	v_lshlrev_b32_e32 v8, 20, v8
	v_lshl_add_u32 v13, v13, 23, 0x3c000000
	v_lshlrev_b32_sdwa v21, v21, v23 dst_sel:DWORD dst_unused:UNUSED_PAD src0_sel:DWORD src1_sel:WORD_1
	v_and_b32_e32 v21, 0x80000000, v21
	v_or3_b32 v8, v8, v21, v13
	v_mov_b32_e32 v22, v9
	v_mov_b32_e32 v21, v8
.LBB189_1156:                           ;   in Loop: Header=BB189_1065 Depth=1
	s_or_b32 exec_lo, exec_lo, s20
.LBB189_1157:                           ;   in Loop: Header=BB189_1065 Depth=1
	s_or_b32 exec_lo, exec_lo, s17
.LBB189_1158:                           ;   in Loop: Header=BB189_1065 Depth=1
	s_or_b32 exec_lo, exec_lo, s15
	s_mov_b32 s15, exec_lo
	v_cmpx_lt_u32_e32 0xffffff, v23
	s_cbranch_execz .LBB189_1166
; %bb.1159:                             ;   in Loop: Header=BB189_1065 Depth=1
	v_mov_b32_e32 v11, v9
	v_cmp_ne_u32_sdwa s4, v23, v98 src0_sel:BYTE_3 src1_sel:DWORD
	v_mov_b32_e32 v10, v11
	v_mov_b32_e32 v11, v12
	s_and_saveexec_b32 s17, s4
	s_cbranch_execz .LBB189_1165
; %bb.1160:                             ;   in Loop: Header=BB189_1065 Depth=1
	v_mov_b32_e32 v13, v9
	v_bfe_u32 v27, v23, 24, 7
	s_mov_b32 s20, exec_lo
	v_mov_b32_e32 v10, v13
	v_mov_b32_e32 v11, v14
	v_cmpx_ne_u32_e32 0x7f, v27
	s_cbranch_execz .LBB189_1164
; %bb.1161:                             ;   in Loop: Header=BB189_1065 Depth=1
	v_mov_b32_e32 v8, 7
	v_lshrrev_b32_e32 v10, 3, v27
	s_mov_b32 s21, exec_lo
	v_and_b32_sdwa v8, v23, v8 dst_sel:DWORD dst_unused:UNUSED_PAD src0_sel:BYTE_3 src1_sel:DWORD
	v_cmpx_gt_u32_e32 8, v27
; %bb.1162:                             ;   in Loop: Header=BB189_1065 Depth=1
	v_ffbh_u32_e32 v10, v8
	v_min_u32_e32 v10, 32, v10
	v_subrev_nc_u32_e32 v11, 28, v10
	v_sub_nc_u32_e32 v10, 29, v10
	v_lshlrev_b64 v[27:28], v11, v[8:9]
	v_and_b32_e32 v8, 7, v27
; %bb.1163:                             ;   in Loop: Header=BB189_1065 Depth=1
	s_or_b32 exec_lo, exec_lo, s21
	v_mov_b32_e32 v11, 24
	v_lshlrev_b32_e32 v8, 20, v8
	v_lshl_add_u32 v10, v10, 23, 0x3c000000
	v_lshlrev_b32_sdwa v11, v11, v23 dst_sel:DWORD dst_unused:UNUSED_PAD src0_sel:DWORD src1_sel:BYTE_3
	v_and_b32_e32 v11, 0x80000000, v11
	v_or3_b32 v11, v8, v11, v10
	v_mov_b32_e32 v10, v9
.LBB189_1164:                           ;   in Loop: Header=BB189_1065 Depth=1
	s_or_b32 exec_lo, exec_lo, s20
.LBB189_1165:                           ;   in Loop: Header=BB189_1065 Depth=1
	s_or_b32 exec_lo, exec_lo, s17
.LBB189_1166:                           ;   in Loop: Header=BB189_1065 Depth=1
	s_or_b32 exec_lo, exec_lo, s15
	v_or_b32_e32 v8, v18, v16
	v_or_b32_e32 v13, v17, v15
	;; [unrolled: 1-line block ×4, first 2 shown]
	v_mul_f32_e32 v8, v117, v8
	buffer_store_dword v8, off, s[0:3], s32 offset:296 ; 4-byte Folded Spill
	v_mul_f32_e32 v8, v117, v13
	buffer_store_dword v8, off, s[0:3], s32 offset:288 ; 4-byte Folded Spill
	;; [unrolled: 2-line block ×4, first 2 shown]
	s_and_saveexec_b32 s15, vcc_lo
	s_cbranch_execz .LBB189_1168
; %bb.1167:                             ;   in Loop: Header=BB189_1065 Depth=1
	buffer_load_dword v8, off, s[0:3], s32 offset:288 ; 4-byte Folded Reload
	v_cmp_lt_i32_e64 s4, v26, v119
	s_waitcnt vmcnt(0)
	v_cndmask_b32_e64 v8, 0, v8, s4
	v_cmp_lt_i32_e64 s4, v42, v119
	buffer_store_dword v8, off, s[0:3], s32 offset:288 ; 4-byte Folded Spill
	buffer_load_dword v8, off, s[0:3], s32 offset:296 ; 4-byte Folded Reload
	s_waitcnt vmcnt(0)
	v_cndmask_b32_e64 v8, 0, v8, s4
	v_cmp_lt_i32_e64 s4, v41, v119
	buffer_store_dword v8, off, s[0:3], s32 offset:296 ; 4-byte Folded Spill
	buffer_load_dword v8, off, s[0:3], s32 offset:280 ; 4-byte Folded Reload
	;; [unrolled: 5-line block ×3, first 2 shown]
	s_waitcnt vmcnt(0)
	v_cndmask_b32_e64 v8, 0, v8, s4
	buffer_store_dword v8, off, s[0:3], s32 offset:272 ; 4-byte Folded Spill
.LBB189_1168:                           ;   in Loop: Header=BB189_1065 Depth=1
	s_or_b32 exec_lo, exec_lo, s15
	flat_load_dword v23, v[0:1] offset:384
	v_mov_b32_e32 v17, 0
	v_mov_b32_e32 v15, 0
	;; [unrolled: 1-line block ×4, first 2 shown]
	s_waitcnt vmcnt(0) lgkmcnt(0)
	v_cmp_ne_u16_sdwa s4, v23, v9 src0_sel:BYTE_0 src1_sel:DWORD
	s_and_saveexec_b32 s15, s4
	s_cbranch_execz .LBB189_1176
; %bb.1169:                             ;   in Loop: Header=BB189_1065 Depth=1
	v_bfrev_b32_e32 v15, 1
	v_mov_b32_e32 v16, 0
	v_cmp_ne_u16_sdwa s4, v23, v98 src0_sel:BYTE_0 src1_sel:DWORD
	s_and_saveexec_b32 s17, s4
	s_cbranch_execz .LBB189_1175
; %bb.1170:                             ;   in Loop: Header=BB189_1065 Depth=1
	v_mov_b32_e32 v15, 0x7f800001
	v_and_b32_e32 v11, 0x7f, v23
	v_mov_b32_e32 v16, 0
	s_mov_b32 s20, exec_lo
	v_cmpx_ne_u32_e32 0x7f, v11
	s_cbranch_execz .LBB189_1174
; %bb.1171:                             ;   in Loop: Header=BB189_1065 Depth=1
	v_and_b32_e32 v8, 7, v23
	v_lshrrev_b32_e32 v10, 3, v11
	s_mov_b32 s21, exec_lo
	v_cmpx_gt_u32_e32 8, v11
; %bb.1172:                             ;   in Loop: Header=BB189_1065 Depth=1
	v_ffbh_u32_e32 v10, v8
	v_min_u32_e32 v10, 32, v10
	v_subrev_nc_u32_e32 v11, 28, v10
	v_sub_nc_u32_e32 v10, 29, v10
	v_lshlrev_b64 v[15:16], v11, v[8:9]
	v_and_b32_e32 v8, 7, v15
; %bb.1173:                             ;   in Loop: Header=BB189_1065 Depth=1
	s_or_b32 exec_lo, exec_lo, s21
	v_lshlrev_b32_e32 v11, 24, v23
	v_lshlrev_b32_e32 v8, 20, v8
	v_lshl_add_u32 v10, v10, 23, 0x3c000000
	v_and_b32_e32 v11, 0x80000000, v11
	v_or3_b32 v8, v8, v11, v10
	v_mov_b32_e32 v16, v9
	v_mov_b32_e32 v15, v8
.LBB189_1174:                           ;   in Loop: Header=BB189_1065 Depth=1
	s_or_b32 exec_lo, exec_lo, s20
.LBB189_1175:                           ;   in Loop: Header=BB189_1065 Depth=1
	s_or_b32 exec_lo, exec_lo, s17
.LBB189_1176:                           ;   in Loop: Header=BB189_1065 Depth=1
	s_or_b32 exec_lo, exec_lo, s15
	v_cmp_ne_u16_sdwa s4, v23, v9 src0_sel:BYTE_1 src1_sel:DWORD
	s_and_saveexec_b32 s15, s4
	s_cbranch_execz .LBB189_1184
; %bb.1177:                             ;   in Loop: Header=BB189_1065 Depth=1
	v_mov_b32_e32 v11, v9
	v_mov_b32_e32 v18, v12
	v_cmp_ne_u16_sdwa s4, v23, v98 src0_sel:BYTE_1 src1_sel:DWORD
	v_mov_b32_e32 v17, v11
	s_and_saveexec_b32 s17, s4
	s_cbranch_execz .LBB189_1183
; %bb.1178:                             ;   in Loop: Header=BB189_1065 Depth=1
	v_mov_b32_e32 v8, 0xffff
	v_mov_b32_e32 v13, v9
	;; [unrolled: 1-line block ×3, first 2 shown]
	s_mov_b32 s20, exec_lo
	v_and_b32_sdwa v8, v8, v23 dst_sel:DWORD dst_unused:UNUSED_PAD src0_sel:DWORD src1_sel:BYTE_1
	v_mov_b32_e32 v17, v13
	v_and_b32_e32 v11, 0x7f, v8
	v_cmpx_ne_u32_e32 0x7f, v11
	s_cbranch_execz .LBB189_1182
; %bb.1179:                             ;   in Loop: Header=BB189_1065 Depth=1
	v_and_b32_e32 v8, 7, v8
	v_lshrrev_b32_e32 v10, 3, v11
	s_mov_b32 s21, exec_lo
	v_cmpx_gt_u32_e32 8, v11
; %bb.1180:                             ;   in Loop: Header=BB189_1065 Depth=1
	v_ffbh_u32_e32 v10, v8
	v_min_u32_e32 v10, 32, v10
	v_subrev_nc_u32_e32 v11, 28, v10
	v_sub_nc_u32_e32 v10, 29, v10
	v_lshlrev_b64 v[17:18], v11, v[8:9]
	v_and_b32_e32 v8, 7, v17
; %bb.1181:                             ;   in Loop: Header=BB189_1065 Depth=1
	s_or_b32 exec_lo, exec_lo, s21
	v_lshlrev_b32_e32 v11, 16, v23
	v_lshlrev_b32_e32 v8, 20, v8
	v_lshl_add_u32 v10, v10, 23, 0x3c000000
	v_mov_b32_e32 v17, v9
	v_and_b32_e32 v11, 0x80000000, v11
	v_or3_b32 v18, v8, v11, v10
.LBB189_1182:                           ;   in Loop: Header=BB189_1065 Depth=1
	s_or_b32 exec_lo, exec_lo, s20
.LBB189_1183:                           ;   in Loop: Header=BB189_1065 Depth=1
	s_or_b32 exec_lo, exec_lo, s17
.LBB189_1184:                           ;   in Loop: Header=BB189_1065 Depth=1
	s_or_b32 exec_lo, exec_lo, s15
	v_mov_b32_e32 v10, 0
	v_mov_b32_e32 v21, 0
	v_and_b32_sdwa v8, v23, v100 dst_sel:DWORD dst_unused:UNUSED_PAD src0_sel:WORD_1 src1_sel:DWORD
	v_mov_b32_e32 v11, 0
	v_mov_b32_e32 v22, 0
	s_mov_b32 s15, exec_lo
	v_cmpx_ne_u16_e32 0, v8
	s_cbranch_execz .LBB189_1192
; %bb.1185:                             ;   in Loop: Header=BB189_1065 Depth=1
	v_bfrev_b32_e32 v21, 1
	v_mov_b32_e32 v22, 0
	s_mov_b32 s17, exec_lo
	v_cmpx_ne_u16_e32 0x80, v8
	s_cbranch_execz .LBB189_1191
; %bb.1186:                             ;   in Loop: Header=BB189_1065 Depth=1
	v_mov_b32_e32 v21, 0x7f800001
	v_bfe_u32 v27, v23, 16, 7
	v_mov_b32_e32 v22, 0
	s_mov_b32 s20, exec_lo
	v_cmpx_ne_u32_e32 0x7f, v27
	s_cbranch_execz .LBB189_1190
; %bb.1187:                             ;   in Loop: Header=BB189_1065 Depth=1
	v_mov_b32_e32 v8, 7
	v_lshrrev_b32_e32 v13, 3, v27
	s_mov_b32 s21, exec_lo
	v_and_b32_sdwa v8, v23, v8 dst_sel:DWORD dst_unused:UNUSED_PAD src0_sel:WORD_1 src1_sel:DWORD
	v_cmpx_gt_u32_e32 8, v27
; %bb.1188:                             ;   in Loop: Header=BB189_1065 Depth=1
	v_ffbh_u32_e32 v13, v8
	v_min_u32_e32 v13, 32, v13
	v_subrev_nc_u32_e32 v21, 28, v13
	v_sub_nc_u32_e32 v13, 29, v13
	v_lshlrev_b64 v[21:22], v21, v[8:9]
	v_and_b32_e32 v8, 7, v21
; %bb.1189:                             ;   in Loop: Header=BB189_1065 Depth=1
	s_or_b32 exec_lo, exec_lo, s21
	v_mov_b32_e32 v21, 24
	v_lshlrev_b32_e32 v8, 20, v8
	v_lshl_add_u32 v13, v13, 23, 0x3c000000
	v_lshlrev_b32_sdwa v21, v21, v23 dst_sel:DWORD dst_unused:UNUSED_PAD src0_sel:DWORD src1_sel:WORD_1
	v_and_b32_e32 v21, 0x80000000, v21
	v_or3_b32 v8, v8, v21, v13
	v_mov_b32_e32 v22, v9
	v_mov_b32_e32 v21, v8
.LBB189_1190:                           ;   in Loop: Header=BB189_1065 Depth=1
	s_or_b32 exec_lo, exec_lo, s20
.LBB189_1191:                           ;   in Loop: Header=BB189_1065 Depth=1
	s_or_b32 exec_lo, exec_lo, s17
.LBB189_1192:                           ;   in Loop: Header=BB189_1065 Depth=1
	s_or_b32 exec_lo, exec_lo, s15
	s_mov_b32 s15, exec_lo
	v_cmpx_lt_u32_e32 0xffffff, v23
	s_cbranch_execz .LBB189_1200
; %bb.1193:                             ;   in Loop: Header=BB189_1065 Depth=1
	v_mov_b32_e32 v11, v9
	v_cmp_ne_u32_sdwa s4, v23, v98 src0_sel:BYTE_3 src1_sel:DWORD
	v_mov_b32_e32 v10, v11
	v_mov_b32_e32 v11, v12
	s_and_saveexec_b32 s17, s4
	s_cbranch_execz .LBB189_1199
; %bb.1194:                             ;   in Loop: Header=BB189_1065 Depth=1
	v_mov_b32_e32 v13, v9
	v_bfe_u32 v27, v23, 24, 7
	s_mov_b32 s20, exec_lo
	v_mov_b32_e32 v10, v13
	v_mov_b32_e32 v11, v14
	v_cmpx_ne_u32_e32 0x7f, v27
	s_cbranch_execz .LBB189_1198
; %bb.1195:                             ;   in Loop: Header=BB189_1065 Depth=1
	v_mov_b32_e32 v8, 7
	v_lshrrev_b32_e32 v10, 3, v27
	s_mov_b32 s21, exec_lo
	v_and_b32_sdwa v8, v23, v8 dst_sel:DWORD dst_unused:UNUSED_PAD src0_sel:BYTE_3 src1_sel:DWORD
	v_cmpx_gt_u32_e32 8, v27
; %bb.1196:                             ;   in Loop: Header=BB189_1065 Depth=1
	v_ffbh_u32_e32 v10, v8
	v_min_u32_e32 v10, 32, v10
	v_subrev_nc_u32_e32 v11, 28, v10
	v_sub_nc_u32_e32 v10, 29, v10
	v_lshlrev_b64 v[27:28], v11, v[8:9]
	v_and_b32_e32 v8, 7, v27
; %bb.1197:                             ;   in Loop: Header=BB189_1065 Depth=1
	s_or_b32 exec_lo, exec_lo, s21
	v_mov_b32_e32 v11, 24
	v_lshlrev_b32_e32 v8, 20, v8
	v_lshl_add_u32 v10, v10, 23, 0x3c000000
	v_lshlrev_b32_sdwa v11, v11, v23 dst_sel:DWORD dst_unused:UNUSED_PAD src0_sel:DWORD src1_sel:BYTE_3
	v_and_b32_e32 v11, 0x80000000, v11
	v_or3_b32 v11, v8, v11, v10
	v_mov_b32_e32 v10, v9
.LBB189_1198:                           ;   in Loop: Header=BB189_1065 Depth=1
	s_or_b32 exec_lo, exec_lo, s20
.LBB189_1199:                           ;   in Loop: Header=BB189_1065 Depth=1
	s_or_b32 exec_lo, exec_lo, s17
.LBB189_1200:                           ;   in Loop: Header=BB189_1065 Depth=1
	s_or_b32 exec_lo, exec_lo, s15
	v_or_b32_e32 v8, v18, v16
	v_or_b32_e32 v13, v17, v15
	v_or_b32_e32 v10, v10, v21
	v_or_b32_e32 v11, v11, v22
	v_mul_f32_e32 v8, v117, v8
	buffer_store_dword v8, off, s[0:3], s32 offset:328 ; 4-byte Folded Spill
	v_mul_f32_e32 v8, v117, v13
	buffer_store_dword v8, off, s[0:3], s32 offset:320 ; 4-byte Folded Spill
	;; [unrolled: 2-line block ×4, first 2 shown]
	s_and_saveexec_b32 s15, vcc_lo
	s_cbranch_execz .LBB189_1202
; %bb.1201:                             ;   in Loop: Header=BB189_1065 Depth=1
	buffer_load_dword v8, off, s[0:3], s32 offset:320 ; 4-byte Folded Reload
	v_cmp_lt_i32_e64 s4, v26, v119
	s_waitcnt vmcnt(0)
	v_cndmask_b32_e64 v8, 0, v8, s4
	v_cmp_lt_i32_e64 s4, v42, v119
	buffer_store_dword v8, off, s[0:3], s32 offset:320 ; 4-byte Folded Spill
	buffer_load_dword v8, off, s[0:3], s32 offset:328 ; 4-byte Folded Reload
	s_waitcnt vmcnt(0)
	v_cndmask_b32_e64 v8, 0, v8, s4
	v_cmp_lt_i32_e64 s4, v41, v119
	buffer_store_dword v8, off, s[0:3], s32 offset:328 ; 4-byte Folded Spill
	buffer_load_dword v8, off, s[0:3], s32 offset:312 ; 4-byte Folded Reload
	;; [unrolled: 5-line block ×3, first 2 shown]
	s_waitcnt vmcnt(0)
	v_cndmask_b32_e64 v8, 0, v8, s4
	buffer_store_dword v8, off, s[0:3], s32 offset:304 ; 4-byte Folded Spill
.LBB189_1202:                           ;   in Loop: Header=BB189_1065 Depth=1
	s_or_b32 exec_lo, exec_lo, s15
	flat_load_dword v23, v[0:1] offset:512
	v_mov_b32_e32 v17, 0
	v_mov_b32_e32 v15, 0
	;; [unrolled: 1-line block ×4, first 2 shown]
	s_waitcnt vmcnt(0) lgkmcnt(0)
	v_cmp_ne_u16_sdwa s4, v23, v9 src0_sel:BYTE_0 src1_sel:DWORD
	s_and_saveexec_b32 s15, s4
	s_cbranch_execz .LBB189_1210
; %bb.1203:                             ;   in Loop: Header=BB189_1065 Depth=1
	v_bfrev_b32_e32 v15, 1
	v_mov_b32_e32 v16, 0
	v_cmp_ne_u16_sdwa s4, v23, v98 src0_sel:BYTE_0 src1_sel:DWORD
	s_and_saveexec_b32 s17, s4
	s_cbranch_execz .LBB189_1209
; %bb.1204:                             ;   in Loop: Header=BB189_1065 Depth=1
	v_mov_b32_e32 v15, 0x7f800001
	v_and_b32_e32 v11, 0x7f, v23
	v_mov_b32_e32 v16, 0
	s_mov_b32 s20, exec_lo
	v_cmpx_ne_u32_e32 0x7f, v11
	s_cbranch_execz .LBB189_1208
; %bb.1205:                             ;   in Loop: Header=BB189_1065 Depth=1
	v_and_b32_e32 v8, 7, v23
	v_lshrrev_b32_e32 v10, 3, v11
	s_mov_b32 s21, exec_lo
	v_cmpx_gt_u32_e32 8, v11
; %bb.1206:                             ;   in Loop: Header=BB189_1065 Depth=1
	v_ffbh_u32_e32 v10, v8
	v_min_u32_e32 v10, 32, v10
	v_subrev_nc_u32_e32 v11, 28, v10
	v_sub_nc_u32_e32 v10, 29, v10
	v_lshlrev_b64 v[15:16], v11, v[8:9]
	v_and_b32_e32 v8, 7, v15
; %bb.1207:                             ;   in Loop: Header=BB189_1065 Depth=1
	s_or_b32 exec_lo, exec_lo, s21
	v_lshlrev_b32_e32 v11, 24, v23
	v_lshlrev_b32_e32 v8, 20, v8
	v_lshl_add_u32 v10, v10, 23, 0x3c000000
	v_and_b32_e32 v11, 0x80000000, v11
	v_or3_b32 v8, v8, v11, v10
	v_mov_b32_e32 v16, v9
	v_mov_b32_e32 v15, v8
.LBB189_1208:                           ;   in Loop: Header=BB189_1065 Depth=1
	s_or_b32 exec_lo, exec_lo, s20
.LBB189_1209:                           ;   in Loop: Header=BB189_1065 Depth=1
	s_or_b32 exec_lo, exec_lo, s17
.LBB189_1210:                           ;   in Loop: Header=BB189_1065 Depth=1
	s_or_b32 exec_lo, exec_lo, s15
	v_cmp_ne_u16_sdwa s4, v23, v9 src0_sel:BYTE_1 src1_sel:DWORD
	s_and_saveexec_b32 s15, s4
	s_cbranch_execz .LBB189_1218
; %bb.1211:                             ;   in Loop: Header=BB189_1065 Depth=1
	v_mov_b32_e32 v11, v9
	v_mov_b32_e32 v18, v12
	v_cmp_ne_u16_sdwa s4, v23, v98 src0_sel:BYTE_1 src1_sel:DWORD
	v_mov_b32_e32 v17, v11
	s_and_saveexec_b32 s17, s4
	s_cbranch_execz .LBB189_1217
; %bb.1212:                             ;   in Loop: Header=BB189_1065 Depth=1
	v_mov_b32_e32 v8, 0xffff
	v_mov_b32_e32 v13, v9
	;; [unrolled: 1-line block ×3, first 2 shown]
	s_mov_b32 s20, exec_lo
	v_and_b32_sdwa v8, v8, v23 dst_sel:DWORD dst_unused:UNUSED_PAD src0_sel:DWORD src1_sel:BYTE_1
	v_mov_b32_e32 v17, v13
	v_and_b32_e32 v11, 0x7f, v8
	v_cmpx_ne_u32_e32 0x7f, v11
	s_cbranch_execz .LBB189_1216
; %bb.1213:                             ;   in Loop: Header=BB189_1065 Depth=1
	v_and_b32_e32 v8, 7, v8
	v_lshrrev_b32_e32 v10, 3, v11
	s_mov_b32 s21, exec_lo
	v_cmpx_gt_u32_e32 8, v11
; %bb.1214:                             ;   in Loop: Header=BB189_1065 Depth=1
	v_ffbh_u32_e32 v10, v8
	v_min_u32_e32 v10, 32, v10
	v_subrev_nc_u32_e32 v11, 28, v10
	v_sub_nc_u32_e32 v10, 29, v10
	v_lshlrev_b64 v[17:18], v11, v[8:9]
	v_and_b32_e32 v8, 7, v17
; %bb.1215:                             ;   in Loop: Header=BB189_1065 Depth=1
	s_or_b32 exec_lo, exec_lo, s21
	v_lshlrev_b32_e32 v11, 16, v23
	v_lshlrev_b32_e32 v8, 20, v8
	v_lshl_add_u32 v10, v10, 23, 0x3c000000
	v_mov_b32_e32 v17, v9
	v_and_b32_e32 v11, 0x80000000, v11
	v_or3_b32 v18, v8, v11, v10
.LBB189_1216:                           ;   in Loop: Header=BB189_1065 Depth=1
	s_or_b32 exec_lo, exec_lo, s20
.LBB189_1217:                           ;   in Loop: Header=BB189_1065 Depth=1
	s_or_b32 exec_lo, exec_lo, s17
.LBB189_1218:                           ;   in Loop: Header=BB189_1065 Depth=1
	s_or_b32 exec_lo, exec_lo, s15
	v_mov_b32_e32 v10, 0
	v_mov_b32_e32 v21, 0
	v_and_b32_sdwa v8, v23, v100 dst_sel:DWORD dst_unused:UNUSED_PAD src0_sel:WORD_1 src1_sel:DWORD
	v_mov_b32_e32 v11, 0
	v_mov_b32_e32 v22, 0
	s_mov_b32 s15, exec_lo
	v_cmpx_ne_u16_e32 0, v8
	s_cbranch_execz .LBB189_1226
; %bb.1219:                             ;   in Loop: Header=BB189_1065 Depth=1
	v_bfrev_b32_e32 v21, 1
	v_mov_b32_e32 v22, 0
	s_mov_b32 s17, exec_lo
	v_cmpx_ne_u16_e32 0x80, v8
	s_cbranch_execz .LBB189_1225
; %bb.1220:                             ;   in Loop: Header=BB189_1065 Depth=1
	v_mov_b32_e32 v21, 0x7f800001
	v_bfe_u32 v27, v23, 16, 7
	v_mov_b32_e32 v22, 0
	s_mov_b32 s20, exec_lo
	v_cmpx_ne_u32_e32 0x7f, v27
	s_cbranch_execz .LBB189_1224
; %bb.1221:                             ;   in Loop: Header=BB189_1065 Depth=1
	v_mov_b32_e32 v8, 7
	v_lshrrev_b32_e32 v13, 3, v27
	s_mov_b32 s21, exec_lo
	v_and_b32_sdwa v8, v23, v8 dst_sel:DWORD dst_unused:UNUSED_PAD src0_sel:WORD_1 src1_sel:DWORD
	v_cmpx_gt_u32_e32 8, v27
; %bb.1222:                             ;   in Loop: Header=BB189_1065 Depth=1
	v_ffbh_u32_e32 v13, v8
	v_min_u32_e32 v13, 32, v13
	v_subrev_nc_u32_e32 v21, 28, v13
	v_sub_nc_u32_e32 v13, 29, v13
	v_lshlrev_b64 v[21:22], v21, v[8:9]
	v_and_b32_e32 v8, 7, v21
; %bb.1223:                             ;   in Loop: Header=BB189_1065 Depth=1
	s_or_b32 exec_lo, exec_lo, s21
	v_mov_b32_e32 v21, 24
	v_lshlrev_b32_e32 v8, 20, v8
	v_lshl_add_u32 v13, v13, 23, 0x3c000000
	v_lshlrev_b32_sdwa v21, v21, v23 dst_sel:DWORD dst_unused:UNUSED_PAD src0_sel:DWORD src1_sel:WORD_1
	v_and_b32_e32 v21, 0x80000000, v21
	v_or3_b32 v8, v8, v21, v13
	v_mov_b32_e32 v22, v9
	v_mov_b32_e32 v21, v8
.LBB189_1224:                           ;   in Loop: Header=BB189_1065 Depth=1
	s_or_b32 exec_lo, exec_lo, s20
.LBB189_1225:                           ;   in Loop: Header=BB189_1065 Depth=1
	s_or_b32 exec_lo, exec_lo, s17
.LBB189_1226:                           ;   in Loop: Header=BB189_1065 Depth=1
	s_or_b32 exec_lo, exec_lo, s15
	s_mov_b32 s15, exec_lo
	v_cmpx_lt_u32_e32 0xffffff, v23
	s_cbranch_execz .LBB189_1234
; %bb.1227:                             ;   in Loop: Header=BB189_1065 Depth=1
	v_mov_b32_e32 v11, v9
	v_cmp_ne_u32_sdwa s4, v23, v98 src0_sel:BYTE_3 src1_sel:DWORD
	v_mov_b32_e32 v10, v11
	v_mov_b32_e32 v11, v12
	s_and_saveexec_b32 s17, s4
	s_cbranch_execz .LBB189_1233
; %bb.1228:                             ;   in Loop: Header=BB189_1065 Depth=1
	v_mov_b32_e32 v13, v9
	v_bfe_u32 v27, v23, 24, 7
	s_mov_b32 s20, exec_lo
	v_mov_b32_e32 v10, v13
	v_mov_b32_e32 v11, v14
	v_cmpx_ne_u32_e32 0x7f, v27
	s_cbranch_execz .LBB189_1232
; %bb.1229:                             ;   in Loop: Header=BB189_1065 Depth=1
	v_mov_b32_e32 v8, 7
	v_lshrrev_b32_e32 v10, 3, v27
	s_mov_b32 s21, exec_lo
	v_and_b32_sdwa v8, v23, v8 dst_sel:DWORD dst_unused:UNUSED_PAD src0_sel:BYTE_3 src1_sel:DWORD
	v_cmpx_gt_u32_e32 8, v27
; %bb.1230:                             ;   in Loop: Header=BB189_1065 Depth=1
	v_ffbh_u32_e32 v10, v8
	v_min_u32_e32 v10, 32, v10
	v_subrev_nc_u32_e32 v11, 28, v10
	v_sub_nc_u32_e32 v10, 29, v10
	v_lshlrev_b64 v[27:28], v11, v[8:9]
	v_and_b32_e32 v8, 7, v27
; %bb.1231:                             ;   in Loop: Header=BB189_1065 Depth=1
	s_or_b32 exec_lo, exec_lo, s21
	v_mov_b32_e32 v11, 24
	v_lshlrev_b32_e32 v8, 20, v8
	v_lshl_add_u32 v10, v10, 23, 0x3c000000
	v_lshlrev_b32_sdwa v11, v11, v23 dst_sel:DWORD dst_unused:UNUSED_PAD src0_sel:DWORD src1_sel:BYTE_3
	v_and_b32_e32 v11, 0x80000000, v11
	v_or3_b32 v11, v8, v11, v10
	v_mov_b32_e32 v10, v9
.LBB189_1232:                           ;   in Loop: Header=BB189_1065 Depth=1
	s_or_b32 exec_lo, exec_lo, s20
.LBB189_1233:                           ;   in Loop: Header=BB189_1065 Depth=1
	s_or_b32 exec_lo, exec_lo, s17
.LBB189_1234:                           ;   in Loop: Header=BB189_1065 Depth=1
	s_or_b32 exec_lo, exec_lo, s15
	v_or_b32_e32 v8, v18, v16
	v_or_b32_e32 v13, v17, v15
	;; [unrolled: 1-line block ×4, first 2 shown]
	v_mul_f32_e32 v8, v117, v8
	buffer_store_dword v8, off, s[0:3], s32 offset:360 ; 4-byte Folded Spill
	v_mul_f32_e32 v8, v117, v13
	buffer_store_dword v8, off, s[0:3], s32 offset:352 ; 4-byte Folded Spill
	v_mul_f32_e32 v8, v117, v10
	buffer_store_dword v8, off, s[0:3], s32 offset:344 ; 4-byte Folded Spill
	v_mul_f32_e32 v8, v117, v11
	buffer_store_dword v8, off, s[0:3], s32 offset:336 ; 4-byte Folded Spill
	s_and_saveexec_b32 s15, vcc_lo
	s_cbranch_execz .LBB189_1236
; %bb.1235:                             ;   in Loop: Header=BB189_1065 Depth=1
	buffer_load_dword v8, off, s[0:3], s32 offset:352 ; 4-byte Folded Reload
	v_cmp_lt_i32_e64 s4, v26, v119
	s_waitcnt vmcnt(0)
	v_cndmask_b32_e64 v8, 0, v8, s4
	v_cmp_lt_i32_e64 s4, v42, v119
	buffer_store_dword v8, off, s[0:3], s32 offset:352 ; 4-byte Folded Spill
	buffer_load_dword v8, off, s[0:3], s32 offset:360 ; 4-byte Folded Reload
	s_waitcnt vmcnt(0)
	v_cndmask_b32_e64 v8, 0, v8, s4
	v_cmp_lt_i32_e64 s4, v41, v119
	buffer_store_dword v8, off, s[0:3], s32 offset:360 ; 4-byte Folded Spill
	buffer_load_dword v8, off, s[0:3], s32 offset:344 ; 4-byte Folded Reload
	;; [unrolled: 5-line block ×3, first 2 shown]
	s_waitcnt vmcnt(0)
	v_cndmask_b32_e64 v8, 0, v8, s4
	buffer_store_dword v8, off, s[0:3], s32 offset:336 ; 4-byte Folded Spill
.LBB189_1236:                           ;   in Loop: Header=BB189_1065 Depth=1
	s_or_b32 exec_lo, exec_lo, s15
	flat_load_dword v23, v[0:1] offset:640
	v_mov_b32_e32 v17, 0
	v_mov_b32_e32 v15, 0
	;; [unrolled: 1-line block ×4, first 2 shown]
	s_waitcnt vmcnt(0) lgkmcnt(0)
	v_cmp_ne_u16_sdwa s4, v23, v9 src0_sel:BYTE_0 src1_sel:DWORD
	s_and_saveexec_b32 s15, s4
	s_cbranch_execz .LBB189_1244
; %bb.1237:                             ;   in Loop: Header=BB189_1065 Depth=1
	v_bfrev_b32_e32 v15, 1
	v_mov_b32_e32 v16, 0
	v_cmp_ne_u16_sdwa s4, v23, v98 src0_sel:BYTE_0 src1_sel:DWORD
	s_and_saveexec_b32 s17, s4
	s_cbranch_execz .LBB189_1243
; %bb.1238:                             ;   in Loop: Header=BB189_1065 Depth=1
	v_mov_b32_e32 v15, 0x7f800001
	v_and_b32_e32 v11, 0x7f, v23
	v_mov_b32_e32 v16, 0
	s_mov_b32 s20, exec_lo
	v_cmpx_ne_u32_e32 0x7f, v11
	s_cbranch_execz .LBB189_1242
; %bb.1239:                             ;   in Loop: Header=BB189_1065 Depth=1
	v_and_b32_e32 v8, 7, v23
	v_lshrrev_b32_e32 v10, 3, v11
	s_mov_b32 s21, exec_lo
	v_cmpx_gt_u32_e32 8, v11
; %bb.1240:                             ;   in Loop: Header=BB189_1065 Depth=1
	v_ffbh_u32_e32 v10, v8
	v_min_u32_e32 v10, 32, v10
	v_subrev_nc_u32_e32 v11, 28, v10
	v_sub_nc_u32_e32 v10, 29, v10
	v_lshlrev_b64 v[15:16], v11, v[8:9]
	v_and_b32_e32 v8, 7, v15
; %bb.1241:                             ;   in Loop: Header=BB189_1065 Depth=1
	s_or_b32 exec_lo, exec_lo, s21
	v_lshlrev_b32_e32 v11, 24, v23
	v_lshlrev_b32_e32 v8, 20, v8
	v_lshl_add_u32 v10, v10, 23, 0x3c000000
	v_and_b32_e32 v11, 0x80000000, v11
	v_or3_b32 v8, v8, v11, v10
	v_mov_b32_e32 v16, v9
	v_mov_b32_e32 v15, v8
.LBB189_1242:                           ;   in Loop: Header=BB189_1065 Depth=1
	s_or_b32 exec_lo, exec_lo, s20
.LBB189_1243:                           ;   in Loop: Header=BB189_1065 Depth=1
	s_or_b32 exec_lo, exec_lo, s17
.LBB189_1244:                           ;   in Loop: Header=BB189_1065 Depth=1
	s_or_b32 exec_lo, exec_lo, s15
	v_cmp_ne_u16_sdwa s4, v23, v9 src0_sel:BYTE_1 src1_sel:DWORD
	s_and_saveexec_b32 s15, s4
	s_cbranch_execz .LBB189_1252
; %bb.1245:                             ;   in Loop: Header=BB189_1065 Depth=1
	v_mov_b32_e32 v11, v9
	v_mov_b32_e32 v18, v12
	v_cmp_ne_u16_sdwa s4, v23, v98 src0_sel:BYTE_1 src1_sel:DWORD
	v_mov_b32_e32 v17, v11
	s_and_saveexec_b32 s17, s4
	s_cbranch_execz .LBB189_1251
; %bb.1246:                             ;   in Loop: Header=BB189_1065 Depth=1
	v_mov_b32_e32 v8, 0xffff
	v_mov_b32_e32 v13, v9
	;; [unrolled: 1-line block ×3, first 2 shown]
	s_mov_b32 s20, exec_lo
	v_and_b32_sdwa v8, v8, v23 dst_sel:DWORD dst_unused:UNUSED_PAD src0_sel:DWORD src1_sel:BYTE_1
	v_mov_b32_e32 v17, v13
	v_and_b32_e32 v11, 0x7f, v8
	v_cmpx_ne_u32_e32 0x7f, v11
	s_cbranch_execz .LBB189_1250
; %bb.1247:                             ;   in Loop: Header=BB189_1065 Depth=1
	v_and_b32_e32 v8, 7, v8
	v_lshrrev_b32_e32 v10, 3, v11
	s_mov_b32 s21, exec_lo
	v_cmpx_gt_u32_e32 8, v11
; %bb.1248:                             ;   in Loop: Header=BB189_1065 Depth=1
	v_ffbh_u32_e32 v10, v8
	v_min_u32_e32 v10, 32, v10
	v_subrev_nc_u32_e32 v11, 28, v10
	v_sub_nc_u32_e32 v10, 29, v10
	v_lshlrev_b64 v[17:18], v11, v[8:9]
	v_and_b32_e32 v8, 7, v17
; %bb.1249:                             ;   in Loop: Header=BB189_1065 Depth=1
	s_or_b32 exec_lo, exec_lo, s21
	v_lshlrev_b32_e32 v11, 16, v23
	v_lshlrev_b32_e32 v8, 20, v8
	v_lshl_add_u32 v10, v10, 23, 0x3c000000
	v_mov_b32_e32 v17, v9
	v_and_b32_e32 v11, 0x80000000, v11
	v_or3_b32 v18, v8, v11, v10
.LBB189_1250:                           ;   in Loop: Header=BB189_1065 Depth=1
	s_or_b32 exec_lo, exec_lo, s20
.LBB189_1251:                           ;   in Loop: Header=BB189_1065 Depth=1
	s_or_b32 exec_lo, exec_lo, s17
.LBB189_1252:                           ;   in Loop: Header=BB189_1065 Depth=1
	s_or_b32 exec_lo, exec_lo, s15
	v_mov_b32_e32 v10, 0
	v_mov_b32_e32 v21, 0
	v_and_b32_sdwa v8, v23, v100 dst_sel:DWORD dst_unused:UNUSED_PAD src0_sel:WORD_1 src1_sel:DWORD
	v_mov_b32_e32 v11, 0
	v_mov_b32_e32 v22, 0
	s_mov_b32 s15, exec_lo
	v_cmpx_ne_u16_e32 0, v8
	s_cbranch_execz .LBB189_1260
; %bb.1253:                             ;   in Loop: Header=BB189_1065 Depth=1
	v_bfrev_b32_e32 v21, 1
	v_mov_b32_e32 v22, 0
	s_mov_b32 s17, exec_lo
	v_cmpx_ne_u16_e32 0x80, v8
	s_cbranch_execz .LBB189_1259
; %bb.1254:                             ;   in Loop: Header=BB189_1065 Depth=1
	v_mov_b32_e32 v21, 0x7f800001
	v_bfe_u32 v27, v23, 16, 7
	v_mov_b32_e32 v22, 0
	s_mov_b32 s20, exec_lo
	v_cmpx_ne_u32_e32 0x7f, v27
	s_cbranch_execz .LBB189_1258
; %bb.1255:                             ;   in Loop: Header=BB189_1065 Depth=1
	v_mov_b32_e32 v8, 7
	v_lshrrev_b32_e32 v13, 3, v27
	s_mov_b32 s21, exec_lo
	v_and_b32_sdwa v8, v23, v8 dst_sel:DWORD dst_unused:UNUSED_PAD src0_sel:WORD_1 src1_sel:DWORD
	v_cmpx_gt_u32_e32 8, v27
; %bb.1256:                             ;   in Loop: Header=BB189_1065 Depth=1
	v_ffbh_u32_e32 v13, v8
	v_min_u32_e32 v13, 32, v13
	v_subrev_nc_u32_e32 v21, 28, v13
	v_sub_nc_u32_e32 v13, 29, v13
	v_lshlrev_b64 v[21:22], v21, v[8:9]
	v_and_b32_e32 v8, 7, v21
; %bb.1257:                             ;   in Loop: Header=BB189_1065 Depth=1
	s_or_b32 exec_lo, exec_lo, s21
	v_mov_b32_e32 v21, 24
	v_lshlrev_b32_e32 v8, 20, v8
	v_lshl_add_u32 v13, v13, 23, 0x3c000000
	v_lshlrev_b32_sdwa v21, v21, v23 dst_sel:DWORD dst_unused:UNUSED_PAD src0_sel:DWORD src1_sel:WORD_1
	v_and_b32_e32 v21, 0x80000000, v21
	v_or3_b32 v8, v8, v21, v13
	v_mov_b32_e32 v22, v9
	v_mov_b32_e32 v21, v8
.LBB189_1258:                           ;   in Loop: Header=BB189_1065 Depth=1
	s_or_b32 exec_lo, exec_lo, s20
.LBB189_1259:                           ;   in Loop: Header=BB189_1065 Depth=1
	s_or_b32 exec_lo, exec_lo, s17
.LBB189_1260:                           ;   in Loop: Header=BB189_1065 Depth=1
	s_or_b32 exec_lo, exec_lo, s15
	s_mov_b32 s15, exec_lo
	v_cmpx_lt_u32_e32 0xffffff, v23
	s_cbranch_execz .LBB189_1268
; %bb.1261:                             ;   in Loop: Header=BB189_1065 Depth=1
	v_mov_b32_e32 v11, v9
	v_cmp_ne_u32_sdwa s4, v23, v98 src0_sel:BYTE_3 src1_sel:DWORD
	v_mov_b32_e32 v10, v11
	v_mov_b32_e32 v11, v12
	s_and_saveexec_b32 s17, s4
	s_cbranch_execz .LBB189_1267
; %bb.1262:                             ;   in Loop: Header=BB189_1065 Depth=1
	v_mov_b32_e32 v13, v9
	v_bfe_u32 v27, v23, 24, 7
	s_mov_b32 s20, exec_lo
	v_mov_b32_e32 v10, v13
	v_mov_b32_e32 v11, v14
	v_cmpx_ne_u32_e32 0x7f, v27
	s_cbranch_execz .LBB189_1266
; %bb.1263:                             ;   in Loop: Header=BB189_1065 Depth=1
	v_mov_b32_e32 v8, 7
	v_lshrrev_b32_e32 v10, 3, v27
	s_mov_b32 s21, exec_lo
	v_and_b32_sdwa v8, v23, v8 dst_sel:DWORD dst_unused:UNUSED_PAD src0_sel:BYTE_3 src1_sel:DWORD
	v_cmpx_gt_u32_e32 8, v27
; %bb.1264:                             ;   in Loop: Header=BB189_1065 Depth=1
	v_ffbh_u32_e32 v10, v8
	v_min_u32_e32 v10, 32, v10
	v_subrev_nc_u32_e32 v11, 28, v10
	v_sub_nc_u32_e32 v10, 29, v10
	v_lshlrev_b64 v[27:28], v11, v[8:9]
	v_and_b32_e32 v8, 7, v27
; %bb.1265:                             ;   in Loop: Header=BB189_1065 Depth=1
	s_or_b32 exec_lo, exec_lo, s21
	v_mov_b32_e32 v11, 24
	v_lshlrev_b32_e32 v8, 20, v8
	v_lshl_add_u32 v10, v10, 23, 0x3c000000
	v_lshlrev_b32_sdwa v11, v11, v23 dst_sel:DWORD dst_unused:UNUSED_PAD src0_sel:DWORD src1_sel:BYTE_3
	v_and_b32_e32 v11, 0x80000000, v11
	v_or3_b32 v11, v8, v11, v10
	v_mov_b32_e32 v10, v9
.LBB189_1266:                           ;   in Loop: Header=BB189_1065 Depth=1
	s_or_b32 exec_lo, exec_lo, s20
.LBB189_1267:                           ;   in Loop: Header=BB189_1065 Depth=1
	s_or_b32 exec_lo, exec_lo, s17
.LBB189_1268:                           ;   in Loop: Header=BB189_1065 Depth=1
	s_or_b32 exec_lo, exec_lo, s15
	v_or_b32_e32 v8, v18, v16
	v_or_b32_e32 v13, v17, v15
	;; [unrolled: 1-line block ×4, first 2 shown]
	v_mul_f32_e32 v8, v117, v8
	buffer_store_dword v8, off, s[0:3], s32 offset:392 ; 4-byte Folded Spill
	v_mul_f32_e32 v8, v117, v13
	buffer_store_dword v8, off, s[0:3], s32 offset:384 ; 4-byte Folded Spill
	v_mul_f32_e32 v8, v117, v10
	buffer_store_dword v8, off, s[0:3], s32 offset:376 ; 4-byte Folded Spill
	v_mul_f32_e32 v8, v117, v11
	buffer_store_dword v8, off, s[0:3], s32 offset:368 ; 4-byte Folded Spill
	s_and_saveexec_b32 s15, vcc_lo
	s_cbranch_execz .LBB189_1270
; %bb.1269:                             ;   in Loop: Header=BB189_1065 Depth=1
	buffer_load_dword v8, off, s[0:3], s32 offset:384 ; 4-byte Folded Reload
	v_cmp_lt_i32_e64 s4, v26, v119
	s_waitcnt vmcnt(0)
	v_cndmask_b32_e64 v8, 0, v8, s4
	v_cmp_lt_i32_e64 s4, v42, v119
	buffer_store_dword v8, off, s[0:3], s32 offset:384 ; 4-byte Folded Spill
	buffer_load_dword v8, off, s[0:3], s32 offset:392 ; 4-byte Folded Reload
	s_waitcnt vmcnt(0)
	v_cndmask_b32_e64 v8, 0, v8, s4
	v_cmp_lt_i32_e64 s4, v41, v119
	buffer_store_dword v8, off, s[0:3], s32 offset:392 ; 4-byte Folded Spill
	buffer_load_dword v8, off, s[0:3], s32 offset:376 ; 4-byte Folded Reload
	;; [unrolled: 5-line block ×3, first 2 shown]
	s_waitcnt vmcnt(0)
	v_cndmask_b32_e64 v8, 0, v8, s4
	buffer_store_dword v8, off, s[0:3], s32 offset:368 ; 4-byte Folded Spill
.LBB189_1270:                           ;   in Loop: Header=BB189_1065 Depth=1
	s_or_b32 exec_lo, exec_lo, s15
	flat_load_dword v23, v[0:1] offset:768
	v_mov_b32_e32 v17, 0
	v_mov_b32_e32 v15, 0
	;; [unrolled: 1-line block ×4, first 2 shown]
	s_waitcnt vmcnt(0) lgkmcnt(0)
	v_cmp_ne_u16_sdwa s4, v23, v9 src0_sel:BYTE_0 src1_sel:DWORD
	s_and_saveexec_b32 s15, s4
	s_cbranch_execz .LBB189_1278
; %bb.1271:                             ;   in Loop: Header=BB189_1065 Depth=1
	v_bfrev_b32_e32 v15, 1
	v_mov_b32_e32 v16, 0
	v_cmp_ne_u16_sdwa s4, v23, v98 src0_sel:BYTE_0 src1_sel:DWORD
	s_and_saveexec_b32 s17, s4
	s_cbranch_execz .LBB189_1277
; %bb.1272:                             ;   in Loop: Header=BB189_1065 Depth=1
	v_mov_b32_e32 v15, 0x7f800001
	v_and_b32_e32 v11, 0x7f, v23
	v_mov_b32_e32 v16, 0
	s_mov_b32 s20, exec_lo
	v_cmpx_ne_u32_e32 0x7f, v11
	s_cbranch_execz .LBB189_1276
; %bb.1273:                             ;   in Loop: Header=BB189_1065 Depth=1
	v_and_b32_e32 v8, 7, v23
	v_lshrrev_b32_e32 v10, 3, v11
	s_mov_b32 s21, exec_lo
	v_cmpx_gt_u32_e32 8, v11
; %bb.1274:                             ;   in Loop: Header=BB189_1065 Depth=1
	v_ffbh_u32_e32 v10, v8
	v_min_u32_e32 v10, 32, v10
	v_subrev_nc_u32_e32 v11, 28, v10
	v_sub_nc_u32_e32 v10, 29, v10
	v_lshlrev_b64 v[15:16], v11, v[8:9]
	v_and_b32_e32 v8, 7, v15
; %bb.1275:                             ;   in Loop: Header=BB189_1065 Depth=1
	s_or_b32 exec_lo, exec_lo, s21
	v_lshlrev_b32_e32 v11, 24, v23
	v_lshlrev_b32_e32 v8, 20, v8
	v_lshl_add_u32 v10, v10, 23, 0x3c000000
	v_and_b32_e32 v11, 0x80000000, v11
	v_or3_b32 v8, v8, v11, v10
	v_mov_b32_e32 v16, v9
	v_mov_b32_e32 v15, v8
.LBB189_1276:                           ;   in Loop: Header=BB189_1065 Depth=1
	s_or_b32 exec_lo, exec_lo, s20
.LBB189_1277:                           ;   in Loop: Header=BB189_1065 Depth=1
	s_or_b32 exec_lo, exec_lo, s17
.LBB189_1278:                           ;   in Loop: Header=BB189_1065 Depth=1
	s_or_b32 exec_lo, exec_lo, s15
	v_cmp_ne_u16_sdwa s4, v23, v9 src0_sel:BYTE_1 src1_sel:DWORD
	s_and_saveexec_b32 s15, s4
	s_cbranch_execz .LBB189_1286
; %bb.1279:                             ;   in Loop: Header=BB189_1065 Depth=1
	v_mov_b32_e32 v11, v9
	v_mov_b32_e32 v18, v12
	v_cmp_ne_u16_sdwa s4, v23, v98 src0_sel:BYTE_1 src1_sel:DWORD
	v_mov_b32_e32 v17, v11
	s_and_saveexec_b32 s17, s4
	s_cbranch_execz .LBB189_1285
; %bb.1280:                             ;   in Loop: Header=BB189_1065 Depth=1
	v_mov_b32_e32 v8, 0xffff
	v_mov_b32_e32 v13, v9
	;; [unrolled: 1-line block ×3, first 2 shown]
	s_mov_b32 s20, exec_lo
	v_and_b32_sdwa v8, v8, v23 dst_sel:DWORD dst_unused:UNUSED_PAD src0_sel:DWORD src1_sel:BYTE_1
	v_mov_b32_e32 v17, v13
	v_and_b32_e32 v11, 0x7f, v8
	v_cmpx_ne_u32_e32 0x7f, v11
	s_cbranch_execz .LBB189_1284
; %bb.1281:                             ;   in Loop: Header=BB189_1065 Depth=1
	v_and_b32_e32 v8, 7, v8
	v_lshrrev_b32_e32 v10, 3, v11
	s_mov_b32 s21, exec_lo
	v_cmpx_gt_u32_e32 8, v11
; %bb.1282:                             ;   in Loop: Header=BB189_1065 Depth=1
	v_ffbh_u32_e32 v10, v8
	v_min_u32_e32 v10, 32, v10
	v_subrev_nc_u32_e32 v11, 28, v10
	v_sub_nc_u32_e32 v10, 29, v10
	v_lshlrev_b64 v[17:18], v11, v[8:9]
	v_and_b32_e32 v8, 7, v17
; %bb.1283:                             ;   in Loop: Header=BB189_1065 Depth=1
	s_or_b32 exec_lo, exec_lo, s21
	v_lshlrev_b32_e32 v11, 16, v23
	v_lshlrev_b32_e32 v8, 20, v8
	v_lshl_add_u32 v10, v10, 23, 0x3c000000
	v_mov_b32_e32 v17, v9
	v_and_b32_e32 v11, 0x80000000, v11
	v_or3_b32 v18, v8, v11, v10
.LBB189_1284:                           ;   in Loop: Header=BB189_1065 Depth=1
	s_or_b32 exec_lo, exec_lo, s20
.LBB189_1285:                           ;   in Loop: Header=BB189_1065 Depth=1
	s_or_b32 exec_lo, exec_lo, s17
.LBB189_1286:                           ;   in Loop: Header=BB189_1065 Depth=1
	s_or_b32 exec_lo, exec_lo, s15
	v_mov_b32_e32 v10, 0
	v_mov_b32_e32 v21, 0
	v_and_b32_sdwa v8, v23, v100 dst_sel:DWORD dst_unused:UNUSED_PAD src0_sel:WORD_1 src1_sel:DWORD
	v_mov_b32_e32 v11, 0
	v_mov_b32_e32 v22, 0
	s_mov_b32 s15, exec_lo
	v_cmpx_ne_u16_e32 0, v8
	s_cbranch_execz .LBB189_1294
; %bb.1287:                             ;   in Loop: Header=BB189_1065 Depth=1
	v_bfrev_b32_e32 v21, 1
	v_mov_b32_e32 v22, 0
	s_mov_b32 s17, exec_lo
	v_cmpx_ne_u16_e32 0x80, v8
	s_cbranch_execz .LBB189_1293
; %bb.1288:                             ;   in Loop: Header=BB189_1065 Depth=1
	v_mov_b32_e32 v21, 0x7f800001
	v_bfe_u32 v27, v23, 16, 7
	v_mov_b32_e32 v22, 0
	s_mov_b32 s20, exec_lo
	v_cmpx_ne_u32_e32 0x7f, v27
	s_cbranch_execz .LBB189_1292
; %bb.1289:                             ;   in Loop: Header=BB189_1065 Depth=1
	v_mov_b32_e32 v8, 7
	v_lshrrev_b32_e32 v13, 3, v27
	s_mov_b32 s21, exec_lo
	v_and_b32_sdwa v8, v23, v8 dst_sel:DWORD dst_unused:UNUSED_PAD src0_sel:WORD_1 src1_sel:DWORD
	v_cmpx_gt_u32_e32 8, v27
; %bb.1290:                             ;   in Loop: Header=BB189_1065 Depth=1
	v_ffbh_u32_e32 v13, v8
	v_min_u32_e32 v13, 32, v13
	v_subrev_nc_u32_e32 v21, 28, v13
	v_sub_nc_u32_e32 v13, 29, v13
	v_lshlrev_b64 v[21:22], v21, v[8:9]
	v_and_b32_e32 v8, 7, v21
; %bb.1291:                             ;   in Loop: Header=BB189_1065 Depth=1
	s_or_b32 exec_lo, exec_lo, s21
	v_mov_b32_e32 v21, 24
	v_lshlrev_b32_e32 v8, 20, v8
	v_lshl_add_u32 v13, v13, 23, 0x3c000000
	v_lshlrev_b32_sdwa v21, v21, v23 dst_sel:DWORD dst_unused:UNUSED_PAD src0_sel:DWORD src1_sel:WORD_1
	v_and_b32_e32 v21, 0x80000000, v21
	v_or3_b32 v8, v8, v21, v13
	v_mov_b32_e32 v22, v9
	v_mov_b32_e32 v21, v8
.LBB189_1292:                           ;   in Loop: Header=BB189_1065 Depth=1
	s_or_b32 exec_lo, exec_lo, s20
.LBB189_1293:                           ;   in Loop: Header=BB189_1065 Depth=1
	s_or_b32 exec_lo, exec_lo, s17
.LBB189_1294:                           ;   in Loop: Header=BB189_1065 Depth=1
	s_or_b32 exec_lo, exec_lo, s15
	s_mov_b32 s15, exec_lo
	v_cmpx_lt_u32_e32 0xffffff, v23
	s_cbranch_execz .LBB189_1302
; %bb.1295:                             ;   in Loop: Header=BB189_1065 Depth=1
	v_mov_b32_e32 v11, v9
	v_cmp_ne_u32_sdwa s4, v23, v98 src0_sel:BYTE_3 src1_sel:DWORD
	v_mov_b32_e32 v10, v11
	v_mov_b32_e32 v11, v12
	s_and_saveexec_b32 s17, s4
	s_cbranch_execz .LBB189_1301
; %bb.1296:                             ;   in Loop: Header=BB189_1065 Depth=1
	v_mov_b32_e32 v13, v9
	v_bfe_u32 v27, v23, 24, 7
	s_mov_b32 s20, exec_lo
	v_mov_b32_e32 v10, v13
	v_mov_b32_e32 v11, v14
	v_cmpx_ne_u32_e32 0x7f, v27
	s_cbranch_execz .LBB189_1300
; %bb.1297:                             ;   in Loop: Header=BB189_1065 Depth=1
	v_mov_b32_e32 v8, 7
	v_lshrrev_b32_e32 v10, 3, v27
	s_mov_b32 s21, exec_lo
	v_and_b32_sdwa v8, v23, v8 dst_sel:DWORD dst_unused:UNUSED_PAD src0_sel:BYTE_3 src1_sel:DWORD
	v_cmpx_gt_u32_e32 8, v27
; %bb.1298:                             ;   in Loop: Header=BB189_1065 Depth=1
	v_ffbh_u32_e32 v10, v8
	v_min_u32_e32 v10, 32, v10
	v_subrev_nc_u32_e32 v11, 28, v10
	v_sub_nc_u32_e32 v10, 29, v10
	v_lshlrev_b64 v[27:28], v11, v[8:9]
	v_and_b32_e32 v8, 7, v27
; %bb.1299:                             ;   in Loop: Header=BB189_1065 Depth=1
	s_or_b32 exec_lo, exec_lo, s21
	v_mov_b32_e32 v11, 24
	v_lshlrev_b32_e32 v8, 20, v8
	v_lshl_add_u32 v10, v10, 23, 0x3c000000
	v_lshlrev_b32_sdwa v11, v11, v23 dst_sel:DWORD dst_unused:UNUSED_PAD src0_sel:DWORD src1_sel:BYTE_3
	v_and_b32_e32 v11, 0x80000000, v11
	v_or3_b32 v11, v8, v11, v10
	v_mov_b32_e32 v10, v9
.LBB189_1300:                           ;   in Loop: Header=BB189_1065 Depth=1
	s_or_b32 exec_lo, exec_lo, s20
.LBB189_1301:                           ;   in Loop: Header=BB189_1065 Depth=1
	s_or_b32 exec_lo, exec_lo, s17
.LBB189_1302:                           ;   in Loop: Header=BB189_1065 Depth=1
	s_or_b32 exec_lo, exec_lo, s15
	v_or_b32_e32 v8, v18, v16
	v_or_b32_e32 v13, v17, v15
	;; [unrolled: 1-line block ×4, first 2 shown]
	v_mul_f32_e32 v8, v117, v8
	buffer_store_dword v8, off, s[0:3], s32 offset:424 ; 4-byte Folded Spill
	v_mul_f32_e32 v8, v117, v13
	buffer_store_dword v8, off, s[0:3], s32 offset:416 ; 4-byte Folded Spill
	;; [unrolled: 2-line block ×4, first 2 shown]
	s_and_saveexec_b32 s15, vcc_lo
	s_cbranch_execz .LBB189_1304
; %bb.1303:                             ;   in Loop: Header=BB189_1065 Depth=1
	buffer_load_dword v8, off, s[0:3], s32 offset:416 ; 4-byte Folded Reload
	v_cmp_lt_i32_e64 s4, v26, v119
	s_waitcnt vmcnt(0)
	v_cndmask_b32_e64 v8, 0, v8, s4
	v_cmp_lt_i32_e64 s4, v42, v119
	buffer_store_dword v8, off, s[0:3], s32 offset:416 ; 4-byte Folded Spill
	buffer_load_dword v8, off, s[0:3], s32 offset:424 ; 4-byte Folded Reload
	s_waitcnt vmcnt(0)
	v_cndmask_b32_e64 v8, 0, v8, s4
	v_cmp_lt_i32_e64 s4, v41, v119
	buffer_store_dword v8, off, s[0:3], s32 offset:424 ; 4-byte Folded Spill
	buffer_load_dword v8, off, s[0:3], s32 offset:408 ; 4-byte Folded Reload
	s_waitcnt vmcnt(0)
	v_cndmask_b32_e64 v8, 0, v8, s4
	v_cmp_lt_i32_e64 s4, v40, v119
	buffer_store_dword v8, off, s[0:3], s32 offset:408 ; 4-byte Folded Spill
	buffer_load_dword v8, off, s[0:3], s32 offset:400 ; 4-byte Folded Reload
	s_waitcnt vmcnt(0)
	v_cndmask_b32_e64 v8, 0, v8, s4
	buffer_store_dword v8, off, s[0:3], s32 offset:400 ; 4-byte Folded Spill
.LBB189_1304:                           ;   in Loop: Header=BB189_1065 Depth=1
	s_or_b32 exec_lo, exec_lo, s15
	flat_load_dword v23, v[0:1] offset:896
	v_mov_b32_e32 v17, 0
	v_mov_b32_e32 v15, 0
	;; [unrolled: 1-line block ×4, first 2 shown]
	s_waitcnt vmcnt(0) lgkmcnt(0)
	v_cmp_ne_u16_sdwa s4, v23, v9 src0_sel:BYTE_0 src1_sel:DWORD
	s_and_saveexec_b32 s15, s4
	s_cbranch_execz .LBB189_1312
; %bb.1305:                             ;   in Loop: Header=BB189_1065 Depth=1
	v_bfrev_b32_e32 v15, 1
	v_mov_b32_e32 v16, 0
	v_cmp_ne_u16_sdwa s4, v23, v98 src0_sel:BYTE_0 src1_sel:DWORD
	s_and_saveexec_b32 s17, s4
	s_cbranch_execz .LBB189_1311
; %bb.1306:                             ;   in Loop: Header=BB189_1065 Depth=1
	v_mov_b32_e32 v15, 0x7f800001
	v_and_b32_e32 v11, 0x7f, v23
	v_mov_b32_e32 v16, 0
	s_mov_b32 s20, exec_lo
	v_cmpx_ne_u32_e32 0x7f, v11
	s_cbranch_execz .LBB189_1310
; %bb.1307:                             ;   in Loop: Header=BB189_1065 Depth=1
	v_and_b32_e32 v8, 7, v23
	v_lshrrev_b32_e32 v10, 3, v11
	s_mov_b32 s21, exec_lo
	v_cmpx_gt_u32_e32 8, v11
; %bb.1308:                             ;   in Loop: Header=BB189_1065 Depth=1
	v_ffbh_u32_e32 v10, v8
	v_min_u32_e32 v10, 32, v10
	v_subrev_nc_u32_e32 v11, 28, v10
	v_sub_nc_u32_e32 v10, 29, v10
	v_lshlrev_b64 v[15:16], v11, v[8:9]
	v_and_b32_e32 v8, 7, v15
; %bb.1309:                             ;   in Loop: Header=BB189_1065 Depth=1
	s_or_b32 exec_lo, exec_lo, s21
	v_lshlrev_b32_e32 v11, 24, v23
	v_lshlrev_b32_e32 v8, 20, v8
	v_lshl_add_u32 v10, v10, 23, 0x3c000000
	v_and_b32_e32 v11, 0x80000000, v11
	v_or3_b32 v8, v8, v11, v10
	v_mov_b32_e32 v16, v9
	v_mov_b32_e32 v15, v8
.LBB189_1310:                           ;   in Loop: Header=BB189_1065 Depth=1
	s_or_b32 exec_lo, exec_lo, s20
.LBB189_1311:                           ;   in Loop: Header=BB189_1065 Depth=1
	s_or_b32 exec_lo, exec_lo, s17
.LBB189_1312:                           ;   in Loop: Header=BB189_1065 Depth=1
	s_or_b32 exec_lo, exec_lo, s15
	v_cmp_ne_u16_sdwa s4, v23, v9 src0_sel:BYTE_1 src1_sel:DWORD
	s_and_saveexec_b32 s15, s4
	s_cbranch_execz .LBB189_1320
; %bb.1313:                             ;   in Loop: Header=BB189_1065 Depth=1
	v_mov_b32_e32 v11, v9
	v_mov_b32_e32 v18, v12
	v_cmp_ne_u16_sdwa s4, v23, v98 src0_sel:BYTE_1 src1_sel:DWORD
	v_mov_b32_e32 v17, v11
	s_and_saveexec_b32 s17, s4
	s_cbranch_execz .LBB189_1319
; %bb.1314:                             ;   in Loop: Header=BB189_1065 Depth=1
	v_mov_b32_e32 v8, 0xffff
	v_mov_b32_e32 v13, v9
	;; [unrolled: 1-line block ×3, first 2 shown]
	s_mov_b32 s20, exec_lo
	v_and_b32_sdwa v8, v8, v23 dst_sel:DWORD dst_unused:UNUSED_PAD src0_sel:DWORD src1_sel:BYTE_1
	v_mov_b32_e32 v17, v13
	v_and_b32_e32 v11, 0x7f, v8
	v_cmpx_ne_u32_e32 0x7f, v11
	s_cbranch_execz .LBB189_1318
; %bb.1315:                             ;   in Loop: Header=BB189_1065 Depth=1
	v_and_b32_e32 v8, 7, v8
	v_lshrrev_b32_e32 v10, 3, v11
	s_mov_b32 s21, exec_lo
	v_cmpx_gt_u32_e32 8, v11
; %bb.1316:                             ;   in Loop: Header=BB189_1065 Depth=1
	v_ffbh_u32_e32 v10, v8
	v_min_u32_e32 v10, 32, v10
	v_subrev_nc_u32_e32 v11, 28, v10
	v_sub_nc_u32_e32 v10, 29, v10
	v_lshlrev_b64 v[17:18], v11, v[8:9]
	v_and_b32_e32 v8, 7, v17
; %bb.1317:                             ;   in Loop: Header=BB189_1065 Depth=1
	s_or_b32 exec_lo, exec_lo, s21
	v_lshlrev_b32_e32 v11, 16, v23
	v_lshlrev_b32_e32 v8, 20, v8
	v_lshl_add_u32 v10, v10, 23, 0x3c000000
	v_mov_b32_e32 v17, v9
	v_and_b32_e32 v11, 0x80000000, v11
	v_or3_b32 v18, v8, v11, v10
.LBB189_1318:                           ;   in Loop: Header=BB189_1065 Depth=1
	s_or_b32 exec_lo, exec_lo, s20
.LBB189_1319:                           ;   in Loop: Header=BB189_1065 Depth=1
	s_or_b32 exec_lo, exec_lo, s17
.LBB189_1320:                           ;   in Loop: Header=BB189_1065 Depth=1
	s_or_b32 exec_lo, exec_lo, s15
	v_mov_b32_e32 v10, 0
	v_mov_b32_e32 v21, 0
	v_and_b32_sdwa v8, v23, v100 dst_sel:DWORD dst_unused:UNUSED_PAD src0_sel:WORD_1 src1_sel:DWORD
	v_mov_b32_e32 v11, 0
	v_mov_b32_e32 v22, 0
	s_mov_b32 s15, exec_lo
	v_cmpx_ne_u16_e32 0, v8
	s_cbranch_execz .LBB189_1328
; %bb.1321:                             ;   in Loop: Header=BB189_1065 Depth=1
	v_bfrev_b32_e32 v21, 1
	v_mov_b32_e32 v22, 0
	s_mov_b32 s17, exec_lo
	v_cmpx_ne_u16_e32 0x80, v8
	s_cbranch_execz .LBB189_1327
; %bb.1322:                             ;   in Loop: Header=BB189_1065 Depth=1
	v_mov_b32_e32 v21, 0x7f800001
	v_bfe_u32 v27, v23, 16, 7
	v_mov_b32_e32 v22, 0
	s_mov_b32 s20, exec_lo
	v_cmpx_ne_u32_e32 0x7f, v27
	s_cbranch_execz .LBB189_1326
; %bb.1323:                             ;   in Loop: Header=BB189_1065 Depth=1
	v_mov_b32_e32 v8, 7
	v_lshrrev_b32_e32 v13, 3, v27
	s_mov_b32 s21, exec_lo
	v_and_b32_sdwa v8, v23, v8 dst_sel:DWORD dst_unused:UNUSED_PAD src0_sel:WORD_1 src1_sel:DWORD
	v_cmpx_gt_u32_e32 8, v27
; %bb.1324:                             ;   in Loop: Header=BB189_1065 Depth=1
	v_ffbh_u32_e32 v13, v8
	v_min_u32_e32 v13, 32, v13
	v_subrev_nc_u32_e32 v21, 28, v13
	v_sub_nc_u32_e32 v13, 29, v13
	v_lshlrev_b64 v[21:22], v21, v[8:9]
	v_and_b32_e32 v8, 7, v21
; %bb.1325:                             ;   in Loop: Header=BB189_1065 Depth=1
	s_or_b32 exec_lo, exec_lo, s21
	v_mov_b32_e32 v21, 24
	v_lshlrev_b32_e32 v8, 20, v8
	v_lshl_add_u32 v13, v13, 23, 0x3c000000
	v_lshlrev_b32_sdwa v21, v21, v23 dst_sel:DWORD dst_unused:UNUSED_PAD src0_sel:DWORD src1_sel:WORD_1
	v_and_b32_e32 v21, 0x80000000, v21
	v_or3_b32 v8, v8, v21, v13
	v_mov_b32_e32 v22, v9
	v_mov_b32_e32 v21, v8
.LBB189_1326:                           ;   in Loop: Header=BB189_1065 Depth=1
	s_or_b32 exec_lo, exec_lo, s20
.LBB189_1327:                           ;   in Loop: Header=BB189_1065 Depth=1
	s_or_b32 exec_lo, exec_lo, s17
.LBB189_1328:                           ;   in Loop: Header=BB189_1065 Depth=1
	s_or_b32 exec_lo, exec_lo, s15
	s_mov_b32 s15, exec_lo
	v_cmpx_lt_u32_e32 0xffffff, v23
	s_cbranch_execz .LBB189_1336
; %bb.1329:                             ;   in Loop: Header=BB189_1065 Depth=1
	v_mov_b32_e32 v11, v9
	v_cmp_ne_u32_sdwa s4, v23, v98 src0_sel:BYTE_3 src1_sel:DWORD
	v_mov_b32_e32 v10, v11
	v_mov_b32_e32 v11, v12
	s_and_saveexec_b32 s17, s4
	s_cbranch_execz .LBB189_1335
; %bb.1330:                             ;   in Loop: Header=BB189_1065 Depth=1
	v_mov_b32_e32 v13, v9
	v_bfe_u32 v27, v23, 24, 7
	s_mov_b32 s20, exec_lo
	v_mov_b32_e32 v10, v13
	v_mov_b32_e32 v11, v14
	v_cmpx_ne_u32_e32 0x7f, v27
	s_cbranch_execz .LBB189_1334
; %bb.1331:                             ;   in Loop: Header=BB189_1065 Depth=1
	v_mov_b32_e32 v8, 7
	v_lshrrev_b32_e32 v10, 3, v27
	s_mov_b32 s21, exec_lo
	v_and_b32_sdwa v8, v23, v8 dst_sel:DWORD dst_unused:UNUSED_PAD src0_sel:BYTE_3 src1_sel:DWORD
	v_cmpx_gt_u32_e32 8, v27
; %bb.1332:                             ;   in Loop: Header=BB189_1065 Depth=1
	v_ffbh_u32_e32 v10, v8
	v_min_u32_e32 v10, 32, v10
	v_subrev_nc_u32_e32 v11, 28, v10
	v_sub_nc_u32_e32 v10, 29, v10
	v_lshlrev_b64 v[27:28], v11, v[8:9]
	v_and_b32_e32 v8, 7, v27
; %bb.1333:                             ;   in Loop: Header=BB189_1065 Depth=1
	s_or_b32 exec_lo, exec_lo, s21
	v_mov_b32_e32 v11, 24
	v_lshlrev_b32_e32 v8, 20, v8
	v_lshl_add_u32 v10, v10, 23, 0x3c000000
	v_lshlrev_b32_sdwa v11, v11, v23 dst_sel:DWORD dst_unused:UNUSED_PAD src0_sel:DWORD src1_sel:BYTE_3
	v_and_b32_e32 v11, 0x80000000, v11
	v_or3_b32 v11, v8, v11, v10
	v_mov_b32_e32 v10, v9
.LBB189_1334:                           ;   in Loop: Header=BB189_1065 Depth=1
	s_or_b32 exec_lo, exec_lo, s20
.LBB189_1335:                           ;   in Loop: Header=BB189_1065 Depth=1
	s_or_b32 exec_lo, exec_lo, s17
.LBB189_1336:                           ;   in Loop: Header=BB189_1065 Depth=1
	s_or_b32 exec_lo, exec_lo, s15
	v_or_b32_e32 v8, v18, v16
	v_or_b32_e32 v13, v17, v15
	;; [unrolled: 1-line block ×4, first 2 shown]
	v_mul_f32_e32 v8, v117, v8
	buffer_store_dword v8, off, s[0:3], s32 offset:456 ; 4-byte Folded Spill
	v_mul_f32_e32 v8, v117, v13
	buffer_store_dword v8, off, s[0:3], s32 offset:448 ; 4-byte Folded Spill
	;; [unrolled: 2-line block ×4, first 2 shown]
	s_and_saveexec_b32 s15, vcc_lo
	s_cbranch_execz .LBB189_1338
; %bb.1337:                             ;   in Loop: Header=BB189_1065 Depth=1
	buffer_load_dword v8, off, s[0:3], s32 offset:448 ; 4-byte Folded Reload
	v_cmp_lt_i32_e64 s4, v26, v119
	s_waitcnt vmcnt(0)
	v_cndmask_b32_e64 v8, 0, v8, s4
	v_cmp_lt_i32_e64 s4, v42, v119
	buffer_store_dword v8, off, s[0:3], s32 offset:448 ; 4-byte Folded Spill
	buffer_load_dword v8, off, s[0:3], s32 offset:456 ; 4-byte Folded Reload
	s_waitcnt vmcnt(0)
	v_cndmask_b32_e64 v8, 0, v8, s4
	v_cmp_lt_i32_e64 s4, v41, v119
	buffer_store_dword v8, off, s[0:3], s32 offset:456 ; 4-byte Folded Spill
	buffer_load_dword v8, off, s[0:3], s32 offset:440 ; 4-byte Folded Reload
	;; [unrolled: 5-line block ×3, first 2 shown]
	s_waitcnt vmcnt(0)
	v_cndmask_b32_e64 v8, 0, v8, s4
	buffer_store_dword v8, off, s[0:3], s32 offset:432 ; 4-byte Folded Spill
.LBB189_1338:                           ;   in Loop: Header=BB189_1065 Depth=1
	s_or_b32 exec_lo, exec_lo, s15
	flat_load_dword v23, v[0:1] offset:1024
	v_mov_b32_e32 v17, 0
	v_mov_b32_e32 v15, 0
	;; [unrolled: 1-line block ×4, first 2 shown]
	s_waitcnt vmcnt(0) lgkmcnt(0)
	v_cmp_ne_u16_sdwa s4, v23, v9 src0_sel:BYTE_0 src1_sel:DWORD
	s_and_saveexec_b32 s15, s4
	s_cbranch_execz .LBB189_1346
; %bb.1339:                             ;   in Loop: Header=BB189_1065 Depth=1
	v_bfrev_b32_e32 v15, 1
	v_mov_b32_e32 v16, 0
	v_cmp_ne_u16_sdwa s4, v23, v98 src0_sel:BYTE_0 src1_sel:DWORD
	s_and_saveexec_b32 s17, s4
	s_cbranch_execz .LBB189_1345
; %bb.1340:                             ;   in Loop: Header=BB189_1065 Depth=1
	v_mov_b32_e32 v15, 0x7f800001
	v_and_b32_e32 v11, 0x7f, v23
	v_mov_b32_e32 v16, 0
	s_mov_b32 s20, exec_lo
	v_cmpx_ne_u32_e32 0x7f, v11
	s_cbranch_execz .LBB189_1344
; %bb.1341:                             ;   in Loop: Header=BB189_1065 Depth=1
	v_and_b32_e32 v8, 7, v23
	v_lshrrev_b32_e32 v10, 3, v11
	s_mov_b32 s21, exec_lo
	v_cmpx_gt_u32_e32 8, v11
; %bb.1342:                             ;   in Loop: Header=BB189_1065 Depth=1
	v_ffbh_u32_e32 v10, v8
	v_min_u32_e32 v10, 32, v10
	v_subrev_nc_u32_e32 v11, 28, v10
	v_sub_nc_u32_e32 v10, 29, v10
	v_lshlrev_b64 v[15:16], v11, v[8:9]
	v_and_b32_e32 v8, 7, v15
; %bb.1343:                             ;   in Loop: Header=BB189_1065 Depth=1
	s_or_b32 exec_lo, exec_lo, s21
	v_lshlrev_b32_e32 v11, 24, v23
	v_lshlrev_b32_e32 v8, 20, v8
	v_lshl_add_u32 v10, v10, 23, 0x3c000000
	v_and_b32_e32 v11, 0x80000000, v11
	v_or3_b32 v8, v8, v11, v10
	v_mov_b32_e32 v16, v9
	v_mov_b32_e32 v15, v8
.LBB189_1344:                           ;   in Loop: Header=BB189_1065 Depth=1
	s_or_b32 exec_lo, exec_lo, s20
.LBB189_1345:                           ;   in Loop: Header=BB189_1065 Depth=1
	s_or_b32 exec_lo, exec_lo, s17
.LBB189_1346:                           ;   in Loop: Header=BB189_1065 Depth=1
	s_or_b32 exec_lo, exec_lo, s15
	v_cmp_ne_u16_sdwa s4, v23, v9 src0_sel:BYTE_1 src1_sel:DWORD
	s_and_saveexec_b32 s15, s4
	s_cbranch_execz .LBB189_1354
; %bb.1347:                             ;   in Loop: Header=BB189_1065 Depth=1
	v_mov_b32_e32 v11, v9
	v_mov_b32_e32 v18, v12
	v_cmp_ne_u16_sdwa s4, v23, v98 src0_sel:BYTE_1 src1_sel:DWORD
	v_mov_b32_e32 v17, v11
	s_and_saveexec_b32 s17, s4
	s_cbranch_execz .LBB189_1353
; %bb.1348:                             ;   in Loop: Header=BB189_1065 Depth=1
	v_mov_b32_e32 v8, 0xffff
	v_mov_b32_e32 v13, v9
	;; [unrolled: 1-line block ×3, first 2 shown]
	s_mov_b32 s20, exec_lo
	v_and_b32_sdwa v8, v8, v23 dst_sel:DWORD dst_unused:UNUSED_PAD src0_sel:DWORD src1_sel:BYTE_1
	v_mov_b32_e32 v17, v13
	v_and_b32_e32 v11, 0x7f, v8
	v_cmpx_ne_u32_e32 0x7f, v11
	s_cbranch_execz .LBB189_1352
; %bb.1349:                             ;   in Loop: Header=BB189_1065 Depth=1
	v_and_b32_e32 v8, 7, v8
	v_lshrrev_b32_e32 v10, 3, v11
	s_mov_b32 s21, exec_lo
	v_cmpx_gt_u32_e32 8, v11
; %bb.1350:                             ;   in Loop: Header=BB189_1065 Depth=1
	v_ffbh_u32_e32 v10, v8
	v_min_u32_e32 v10, 32, v10
	v_subrev_nc_u32_e32 v11, 28, v10
	v_sub_nc_u32_e32 v10, 29, v10
	v_lshlrev_b64 v[17:18], v11, v[8:9]
	v_and_b32_e32 v8, 7, v17
; %bb.1351:                             ;   in Loop: Header=BB189_1065 Depth=1
	s_or_b32 exec_lo, exec_lo, s21
	v_lshlrev_b32_e32 v11, 16, v23
	v_lshlrev_b32_e32 v8, 20, v8
	v_lshl_add_u32 v10, v10, 23, 0x3c000000
	v_mov_b32_e32 v17, v9
	v_and_b32_e32 v11, 0x80000000, v11
	v_or3_b32 v18, v8, v11, v10
.LBB189_1352:                           ;   in Loop: Header=BB189_1065 Depth=1
	s_or_b32 exec_lo, exec_lo, s20
.LBB189_1353:                           ;   in Loop: Header=BB189_1065 Depth=1
	s_or_b32 exec_lo, exec_lo, s17
.LBB189_1354:                           ;   in Loop: Header=BB189_1065 Depth=1
	s_or_b32 exec_lo, exec_lo, s15
	v_mov_b32_e32 v10, 0
	v_mov_b32_e32 v21, 0
	v_and_b32_sdwa v8, v23, v100 dst_sel:DWORD dst_unused:UNUSED_PAD src0_sel:WORD_1 src1_sel:DWORD
	v_mov_b32_e32 v11, 0
	v_mov_b32_e32 v22, 0
	s_mov_b32 s15, exec_lo
	v_cmpx_ne_u16_e32 0, v8
	s_cbranch_execz .LBB189_1362
; %bb.1355:                             ;   in Loop: Header=BB189_1065 Depth=1
	v_bfrev_b32_e32 v21, 1
	v_mov_b32_e32 v22, 0
	s_mov_b32 s17, exec_lo
	v_cmpx_ne_u16_e32 0x80, v8
	s_cbranch_execz .LBB189_1361
; %bb.1356:                             ;   in Loop: Header=BB189_1065 Depth=1
	v_mov_b32_e32 v21, 0x7f800001
	v_bfe_u32 v27, v23, 16, 7
	v_mov_b32_e32 v22, 0
	s_mov_b32 s20, exec_lo
	v_cmpx_ne_u32_e32 0x7f, v27
	s_cbranch_execz .LBB189_1360
; %bb.1357:                             ;   in Loop: Header=BB189_1065 Depth=1
	v_mov_b32_e32 v8, 7
	v_lshrrev_b32_e32 v13, 3, v27
	s_mov_b32 s21, exec_lo
	v_and_b32_sdwa v8, v23, v8 dst_sel:DWORD dst_unused:UNUSED_PAD src0_sel:WORD_1 src1_sel:DWORD
	v_cmpx_gt_u32_e32 8, v27
; %bb.1358:                             ;   in Loop: Header=BB189_1065 Depth=1
	v_ffbh_u32_e32 v13, v8
	v_min_u32_e32 v13, 32, v13
	v_subrev_nc_u32_e32 v21, 28, v13
	v_sub_nc_u32_e32 v13, 29, v13
	v_lshlrev_b64 v[21:22], v21, v[8:9]
	v_and_b32_e32 v8, 7, v21
; %bb.1359:                             ;   in Loop: Header=BB189_1065 Depth=1
	s_or_b32 exec_lo, exec_lo, s21
	v_mov_b32_e32 v21, 24
	v_lshlrev_b32_e32 v8, 20, v8
	v_lshl_add_u32 v13, v13, 23, 0x3c000000
	v_lshlrev_b32_sdwa v21, v21, v23 dst_sel:DWORD dst_unused:UNUSED_PAD src0_sel:DWORD src1_sel:WORD_1
	v_and_b32_e32 v21, 0x80000000, v21
	v_or3_b32 v8, v8, v21, v13
	v_mov_b32_e32 v22, v9
	v_mov_b32_e32 v21, v8
.LBB189_1360:                           ;   in Loop: Header=BB189_1065 Depth=1
	s_or_b32 exec_lo, exec_lo, s20
.LBB189_1361:                           ;   in Loop: Header=BB189_1065 Depth=1
	s_or_b32 exec_lo, exec_lo, s17
.LBB189_1362:                           ;   in Loop: Header=BB189_1065 Depth=1
	s_or_b32 exec_lo, exec_lo, s15
	s_mov_b32 s15, exec_lo
	v_cmpx_lt_u32_e32 0xffffff, v23
	s_cbranch_execz .LBB189_1370
; %bb.1363:                             ;   in Loop: Header=BB189_1065 Depth=1
	v_mov_b32_e32 v11, v9
	v_cmp_ne_u32_sdwa s4, v23, v98 src0_sel:BYTE_3 src1_sel:DWORD
	v_mov_b32_e32 v10, v11
	v_mov_b32_e32 v11, v12
	s_and_saveexec_b32 s17, s4
	s_cbranch_execz .LBB189_1369
; %bb.1364:                             ;   in Loop: Header=BB189_1065 Depth=1
	v_mov_b32_e32 v13, v9
	v_bfe_u32 v27, v23, 24, 7
	s_mov_b32 s20, exec_lo
	v_mov_b32_e32 v10, v13
	v_mov_b32_e32 v11, v14
	v_cmpx_ne_u32_e32 0x7f, v27
	s_cbranch_execz .LBB189_1368
; %bb.1365:                             ;   in Loop: Header=BB189_1065 Depth=1
	v_mov_b32_e32 v8, 7
	v_lshrrev_b32_e32 v10, 3, v27
	s_mov_b32 s21, exec_lo
	v_and_b32_sdwa v8, v23, v8 dst_sel:DWORD dst_unused:UNUSED_PAD src0_sel:BYTE_3 src1_sel:DWORD
	v_cmpx_gt_u32_e32 8, v27
; %bb.1366:                             ;   in Loop: Header=BB189_1065 Depth=1
	v_ffbh_u32_e32 v10, v8
	v_min_u32_e32 v10, 32, v10
	v_subrev_nc_u32_e32 v11, 28, v10
	v_sub_nc_u32_e32 v10, 29, v10
	v_lshlrev_b64 v[27:28], v11, v[8:9]
	v_and_b32_e32 v8, 7, v27
; %bb.1367:                             ;   in Loop: Header=BB189_1065 Depth=1
	s_or_b32 exec_lo, exec_lo, s21
	v_mov_b32_e32 v11, 24
	v_lshlrev_b32_e32 v8, 20, v8
	v_lshl_add_u32 v10, v10, 23, 0x3c000000
	v_lshlrev_b32_sdwa v11, v11, v23 dst_sel:DWORD dst_unused:UNUSED_PAD src0_sel:DWORD src1_sel:BYTE_3
	v_and_b32_e32 v11, 0x80000000, v11
	v_or3_b32 v11, v8, v11, v10
	v_mov_b32_e32 v10, v9
.LBB189_1368:                           ;   in Loop: Header=BB189_1065 Depth=1
	s_or_b32 exec_lo, exec_lo, s20
.LBB189_1369:                           ;   in Loop: Header=BB189_1065 Depth=1
	s_or_b32 exec_lo, exec_lo, s17
.LBB189_1370:                           ;   in Loop: Header=BB189_1065 Depth=1
	s_or_b32 exec_lo, exec_lo, s15
	v_or_b32_e32 v8, v18, v16
	v_or_b32_e32 v13, v17, v15
	;; [unrolled: 1-line block ×4, first 2 shown]
	v_mul_f32_e32 v106, v117, v8
	v_mul_f32_e32 v105, v117, v13
	;; [unrolled: 1-line block ×4, first 2 shown]
	buffer_store_dword v8, off, s[0:3], s32 offset:464 ; 4-byte Folded Spill
	s_and_saveexec_b32 s15, vcc_lo
	s_cbranch_execz .LBB189_1372
; %bb.1371:                             ;   in Loop: Header=BB189_1065 Depth=1
	buffer_load_dword v8, off, s[0:3], s32 offset:464 ; 4-byte Folded Reload
	v_cmp_lt_i32_e64 s4, v26, v119
	v_cndmask_b32_e64 v105, 0, v105, s4
	v_cmp_lt_i32_e64 s4, v42, v119
	v_cndmask_b32_e64 v106, 0, v106, s4
	;; [unrolled: 2-line block ×3, first 2 shown]
	v_cmp_lt_i32_e64 s4, v40, v119
	s_waitcnt vmcnt(0)
	v_cndmask_b32_e64 v8, 0, v8, s4
	buffer_store_dword v8, off, s[0:3], s32 offset:464 ; 4-byte Folded Spill
.LBB189_1372:                           ;   in Loop: Header=BB189_1065 Depth=1
	s_or_b32 exec_lo, exec_lo, s15
	flat_load_dword v23, v[0:1] offset:1152
	v_mov_b32_e32 v17, 0
	v_mov_b32_e32 v15, 0
	;; [unrolled: 1-line block ×4, first 2 shown]
	s_waitcnt vmcnt(0) lgkmcnt(0)
	v_cmp_ne_u16_sdwa s4, v23, v9 src0_sel:BYTE_0 src1_sel:DWORD
	s_and_saveexec_b32 s15, s4
	s_cbranch_execz .LBB189_1380
; %bb.1373:                             ;   in Loop: Header=BB189_1065 Depth=1
	v_bfrev_b32_e32 v15, 1
	v_mov_b32_e32 v16, 0
	v_cmp_ne_u16_sdwa s4, v23, v98 src0_sel:BYTE_0 src1_sel:DWORD
	s_and_saveexec_b32 s17, s4
	s_cbranch_execz .LBB189_1379
; %bb.1374:                             ;   in Loop: Header=BB189_1065 Depth=1
	v_mov_b32_e32 v15, 0x7f800001
	v_and_b32_e32 v11, 0x7f, v23
	v_mov_b32_e32 v16, 0
	s_mov_b32 s20, exec_lo
	v_cmpx_ne_u32_e32 0x7f, v11
	s_cbranch_execz .LBB189_1378
; %bb.1375:                             ;   in Loop: Header=BB189_1065 Depth=1
	v_and_b32_e32 v8, 7, v23
	v_lshrrev_b32_e32 v10, 3, v11
	s_mov_b32 s21, exec_lo
	v_cmpx_gt_u32_e32 8, v11
; %bb.1376:                             ;   in Loop: Header=BB189_1065 Depth=1
	v_ffbh_u32_e32 v10, v8
	v_min_u32_e32 v10, 32, v10
	v_subrev_nc_u32_e32 v11, 28, v10
	v_sub_nc_u32_e32 v10, 29, v10
	v_lshlrev_b64 v[15:16], v11, v[8:9]
	v_and_b32_e32 v8, 7, v15
; %bb.1377:                             ;   in Loop: Header=BB189_1065 Depth=1
	s_or_b32 exec_lo, exec_lo, s21
	v_lshlrev_b32_e32 v11, 24, v23
	v_lshlrev_b32_e32 v8, 20, v8
	v_lshl_add_u32 v10, v10, 23, 0x3c000000
	v_and_b32_e32 v11, 0x80000000, v11
	v_or3_b32 v8, v8, v11, v10
	v_mov_b32_e32 v16, v9
	v_mov_b32_e32 v15, v8
.LBB189_1378:                           ;   in Loop: Header=BB189_1065 Depth=1
	s_or_b32 exec_lo, exec_lo, s20
.LBB189_1379:                           ;   in Loop: Header=BB189_1065 Depth=1
	s_or_b32 exec_lo, exec_lo, s17
.LBB189_1380:                           ;   in Loop: Header=BB189_1065 Depth=1
	s_or_b32 exec_lo, exec_lo, s15
	v_cmp_ne_u16_sdwa s4, v23, v9 src0_sel:BYTE_1 src1_sel:DWORD
	s_and_saveexec_b32 s15, s4
	s_cbranch_execz .LBB189_1388
; %bb.1381:                             ;   in Loop: Header=BB189_1065 Depth=1
	v_mov_b32_e32 v11, v9
	v_mov_b32_e32 v18, v12
	v_cmp_ne_u16_sdwa s4, v23, v98 src0_sel:BYTE_1 src1_sel:DWORD
	v_mov_b32_e32 v17, v11
	s_and_saveexec_b32 s17, s4
	s_cbranch_execz .LBB189_1387
; %bb.1382:                             ;   in Loop: Header=BB189_1065 Depth=1
	v_mov_b32_e32 v8, 0xffff
	v_mov_b32_e32 v13, v9
	v_mov_b32_e32 v18, v14
	s_mov_b32 s20, exec_lo
	v_and_b32_sdwa v8, v8, v23 dst_sel:DWORD dst_unused:UNUSED_PAD src0_sel:DWORD src1_sel:BYTE_1
	v_mov_b32_e32 v17, v13
	v_and_b32_e32 v11, 0x7f, v8
	v_cmpx_ne_u32_e32 0x7f, v11
	s_cbranch_execz .LBB189_1386
; %bb.1383:                             ;   in Loop: Header=BB189_1065 Depth=1
	v_and_b32_e32 v8, 7, v8
	v_lshrrev_b32_e32 v10, 3, v11
	s_mov_b32 s21, exec_lo
	v_cmpx_gt_u32_e32 8, v11
; %bb.1384:                             ;   in Loop: Header=BB189_1065 Depth=1
	v_ffbh_u32_e32 v10, v8
	v_min_u32_e32 v10, 32, v10
	v_subrev_nc_u32_e32 v11, 28, v10
	v_sub_nc_u32_e32 v10, 29, v10
	v_lshlrev_b64 v[17:18], v11, v[8:9]
	v_and_b32_e32 v8, 7, v17
; %bb.1385:                             ;   in Loop: Header=BB189_1065 Depth=1
	s_or_b32 exec_lo, exec_lo, s21
	v_lshlrev_b32_e32 v11, 16, v23
	v_lshlrev_b32_e32 v8, 20, v8
	v_lshl_add_u32 v10, v10, 23, 0x3c000000
	v_mov_b32_e32 v17, v9
	v_and_b32_e32 v11, 0x80000000, v11
	v_or3_b32 v18, v8, v11, v10
.LBB189_1386:                           ;   in Loop: Header=BB189_1065 Depth=1
	s_or_b32 exec_lo, exec_lo, s20
.LBB189_1387:                           ;   in Loop: Header=BB189_1065 Depth=1
	s_or_b32 exec_lo, exec_lo, s17
.LBB189_1388:                           ;   in Loop: Header=BB189_1065 Depth=1
	s_or_b32 exec_lo, exec_lo, s15
	v_mov_b32_e32 v10, 0
	v_mov_b32_e32 v21, 0
	v_and_b32_sdwa v8, v23, v100 dst_sel:DWORD dst_unused:UNUSED_PAD src0_sel:WORD_1 src1_sel:DWORD
	v_mov_b32_e32 v11, 0
	v_mov_b32_e32 v22, 0
	s_mov_b32 s15, exec_lo
	v_cmpx_ne_u16_e32 0, v8
	s_cbranch_execz .LBB189_1396
; %bb.1389:                             ;   in Loop: Header=BB189_1065 Depth=1
	v_bfrev_b32_e32 v21, 1
	v_mov_b32_e32 v22, 0
	s_mov_b32 s17, exec_lo
	v_cmpx_ne_u16_e32 0x80, v8
	s_cbranch_execz .LBB189_1395
; %bb.1390:                             ;   in Loop: Header=BB189_1065 Depth=1
	v_mov_b32_e32 v21, 0x7f800001
	v_bfe_u32 v27, v23, 16, 7
	v_mov_b32_e32 v22, 0
	s_mov_b32 s20, exec_lo
	v_cmpx_ne_u32_e32 0x7f, v27
	s_cbranch_execz .LBB189_1394
; %bb.1391:                             ;   in Loop: Header=BB189_1065 Depth=1
	v_mov_b32_e32 v8, 7
	v_lshrrev_b32_e32 v13, 3, v27
	s_mov_b32 s21, exec_lo
	v_and_b32_sdwa v8, v23, v8 dst_sel:DWORD dst_unused:UNUSED_PAD src0_sel:WORD_1 src1_sel:DWORD
	v_cmpx_gt_u32_e32 8, v27
; %bb.1392:                             ;   in Loop: Header=BB189_1065 Depth=1
	v_ffbh_u32_e32 v13, v8
	v_min_u32_e32 v13, 32, v13
	v_subrev_nc_u32_e32 v21, 28, v13
	v_sub_nc_u32_e32 v13, 29, v13
	v_lshlrev_b64 v[21:22], v21, v[8:9]
	v_and_b32_e32 v8, 7, v21
; %bb.1393:                             ;   in Loop: Header=BB189_1065 Depth=1
	s_or_b32 exec_lo, exec_lo, s21
	v_mov_b32_e32 v21, 24
	v_lshlrev_b32_e32 v8, 20, v8
	v_lshl_add_u32 v13, v13, 23, 0x3c000000
	v_lshlrev_b32_sdwa v21, v21, v23 dst_sel:DWORD dst_unused:UNUSED_PAD src0_sel:DWORD src1_sel:WORD_1
	v_and_b32_e32 v21, 0x80000000, v21
	v_or3_b32 v8, v8, v21, v13
	v_mov_b32_e32 v22, v9
	v_mov_b32_e32 v21, v8
.LBB189_1394:                           ;   in Loop: Header=BB189_1065 Depth=1
	s_or_b32 exec_lo, exec_lo, s20
.LBB189_1395:                           ;   in Loop: Header=BB189_1065 Depth=1
	s_or_b32 exec_lo, exec_lo, s17
.LBB189_1396:                           ;   in Loop: Header=BB189_1065 Depth=1
	s_or_b32 exec_lo, exec_lo, s15
	s_mov_b32 s15, exec_lo
	v_cmpx_lt_u32_e32 0xffffff, v23
	s_cbranch_execz .LBB189_1404
; %bb.1397:                             ;   in Loop: Header=BB189_1065 Depth=1
	v_mov_b32_e32 v11, v9
	v_cmp_ne_u32_sdwa s4, v23, v98 src0_sel:BYTE_3 src1_sel:DWORD
	v_mov_b32_e32 v10, v11
	v_mov_b32_e32 v11, v12
	s_and_saveexec_b32 s17, s4
	s_cbranch_execz .LBB189_1403
; %bb.1398:                             ;   in Loop: Header=BB189_1065 Depth=1
	v_mov_b32_e32 v13, v9
	v_bfe_u32 v27, v23, 24, 7
	s_mov_b32 s20, exec_lo
	v_mov_b32_e32 v10, v13
	v_mov_b32_e32 v11, v14
	v_cmpx_ne_u32_e32 0x7f, v27
	s_cbranch_execz .LBB189_1402
; %bb.1399:                             ;   in Loop: Header=BB189_1065 Depth=1
	v_mov_b32_e32 v8, 7
	v_lshrrev_b32_e32 v10, 3, v27
	s_mov_b32 s21, exec_lo
	v_and_b32_sdwa v8, v23, v8 dst_sel:DWORD dst_unused:UNUSED_PAD src0_sel:BYTE_3 src1_sel:DWORD
	v_cmpx_gt_u32_e32 8, v27
; %bb.1400:                             ;   in Loop: Header=BB189_1065 Depth=1
	v_ffbh_u32_e32 v10, v8
	v_min_u32_e32 v10, 32, v10
	v_subrev_nc_u32_e32 v11, 28, v10
	v_sub_nc_u32_e32 v10, 29, v10
	v_lshlrev_b64 v[27:28], v11, v[8:9]
	v_and_b32_e32 v8, 7, v27
; %bb.1401:                             ;   in Loop: Header=BB189_1065 Depth=1
	s_or_b32 exec_lo, exec_lo, s21
	v_mov_b32_e32 v11, 24
	v_lshlrev_b32_e32 v8, 20, v8
	v_lshl_add_u32 v10, v10, 23, 0x3c000000
	v_lshlrev_b32_sdwa v11, v11, v23 dst_sel:DWORD dst_unused:UNUSED_PAD src0_sel:DWORD src1_sel:BYTE_3
	v_and_b32_e32 v11, 0x80000000, v11
	v_or3_b32 v11, v8, v11, v10
	v_mov_b32_e32 v10, v9
.LBB189_1402:                           ;   in Loop: Header=BB189_1065 Depth=1
	s_or_b32 exec_lo, exec_lo, s20
.LBB189_1403:                           ;   in Loop: Header=BB189_1065 Depth=1
	s_or_b32 exec_lo, exec_lo, s17
.LBB189_1404:                           ;   in Loop: Header=BB189_1065 Depth=1
	s_or_b32 exec_lo, exec_lo, s15
	v_or_b32_e32 v8, v18, v16
	v_or_b32_e32 v13, v17, v15
	;; [unrolled: 1-line block ×4, first 2 shown]
	v_mul_f32_e32 v110, v117, v8
	v_mul_f32_e32 v109, v117, v13
	;; [unrolled: 1-line block ×4, first 2 shown]
	s_and_saveexec_b32 s15, vcc_lo
	s_cbranch_execz .LBB189_1406
; %bb.1405:                             ;   in Loop: Header=BB189_1065 Depth=1
	v_cmp_lt_i32_e64 s4, v26, v119
	v_cndmask_b32_e64 v109, 0, v109, s4
	v_cmp_lt_i32_e64 s4, v42, v119
	v_cndmask_b32_e64 v110, 0, v110, s4
	;; [unrolled: 2-line block ×4, first 2 shown]
.LBB189_1406:                           ;   in Loop: Header=BB189_1065 Depth=1
	s_or_b32 exec_lo, exec_lo, s15
	flat_load_dword v23, v[0:1] offset:1280
	v_mov_b32_e32 v17, 0
	v_mov_b32_e32 v15, 0
	;; [unrolled: 1-line block ×4, first 2 shown]
	s_waitcnt vmcnt(0) lgkmcnt(0)
	v_cmp_ne_u16_sdwa s4, v23, v9 src0_sel:BYTE_0 src1_sel:DWORD
	s_and_saveexec_b32 s15, s4
	s_cbranch_execz .LBB189_1414
; %bb.1407:                             ;   in Loop: Header=BB189_1065 Depth=1
	v_bfrev_b32_e32 v15, 1
	v_mov_b32_e32 v16, 0
	v_cmp_ne_u16_sdwa s4, v23, v98 src0_sel:BYTE_0 src1_sel:DWORD
	s_and_saveexec_b32 s17, s4
	s_cbranch_execz .LBB189_1413
; %bb.1408:                             ;   in Loop: Header=BB189_1065 Depth=1
	v_mov_b32_e32 v15, 0x7f800001
	v_and_b32_e32 v11, 0x7f, v23
	v_mov_b32_e32 v16, 0
	s_mov_b32 s20, exec_lo
	v_cmpx_ne_u32_e32 0x7f, v11
	s_cbranch_execz .LBB189_1412
; %bb.1409:                             ;   in Loop: Header=BB189_1065 Depth=1
	v_and_b32_e32 v8, 7, v23
	v_lshrrev_b32_e32 v10, 3, v11
	s_mov_b32 s21, exec_lo
	v_cmpx_gt_u32_e32 8, v11
; %bb.1410:                             ;   in Loop: Header=BB189_1065 Depth=1
	v_ffbh_u32_e32 v10, v8
	v_min_u32_e32 v10, 32, v10
	v_subrev_nc_u32_e32 v11, 28, v10
	v_sub_nc_u32_e32 v10, 29, v10
	v_lshlrev_b64 v[15:16], v11, v[8:9]
	v_and_b32_e32 v8, 7, v15
; %bb.1411:                             ;   in Loop: Header=BB189_1065 Depth=1
	s_or_b32 exec_lo, exec_lo, s21
	v_lshlrev_b32_e32 v11, 24, v23
	v_lshlrev_b32_e32 v8, 20, v8
	v_lshl_add_u32 v10, v10, 23, 0x3c000000
	v_and_b32_e32 v11, 0x80000000, v11
	v_or3_b32 v8, v8, v11, v10
	v_mov_b32_e32 v16, v9
	v_mov_b32_e32 v15, v8
.LBB189_1412:                           ;   in Loop: Header=BB189_1065 Depth=1
	s_or_b32 exec_lo, exec_lo, s20
.LBB189_1413:                           ;   in Loop: Header=BB189_1065 Depth=1
	s_or_b32 exec_lo, exec_lo, s17
.LBB189_1414:                           ;   in Loop: Header=BB189_1065 Depth=1
	s_or_b32 exec_lo, exec_lo, s15
	v_cmp_ne_u16_sdwa s4, v23, v9 src0_sel:BYTE_1 src1_sel:DWORD
	s_and_saveexec_b32 s15, s4
	s_cbranch_execz .LBB189_1422
; %bb.1415:                             ;   in Loop: Header=BB189_1065 Depth=1
	v_mov_b32_e32 v11, v9
	v_mov_b32_e32 v18, v12
	v_cmp_ne_u16_sdwa s4, v23, v98 src0_sel:BYTE_1 src1_sel:DWORD
	v_mov_b32_e32 v17, v11
	s_and_saveexec_b32 s17, s4
	s_cbranch_execz .LBB189_1421
; %bb.1416:                             ;   in Loop: Header=BB189_1065 Depth=1
	v_mov_b32_e32 v8, 0xffff
	v_mov_b32_e32 v13, v9
	v_mov_b32_e32 v18, v14
	s_mov_b32 s20, exec_lo
	v_and_b32_sdwa v8, v8, v23 dst_sel:DWORD dst_unused:UNUSED_PAD src0_sel:DWORD src1_sel:BYTE_1
	v_mov_b32_e32 v17, v13
	v_and_b32_e32 v11, 0x7f, v8
	v_cmpx_ne_u32_e32 0x7f, v11
	s_cbranch_execz .LBB189_1420
; %bb.1417:                             ;   in Loop: Header=BB189_1065 Depth=1
	v_and_b32_e32 v8, 7, v8
	v_lshrrev_b32_e32 v10, 3, v11
	s_mov_b32 s21, exec_lo
	v_cmpx_gt_u32_e32 8, v11
; %bb.1418:                             ;   in Loop: Header=BB189_1065 Depth=1
	v_ffbh_u32_e32 v10, v8
	v_min_u32_e32 v10, 32, v10
	v_subrev_nc_u32_e32 v11, 28, v10
	v_sub_nc_u32_e32 v10, 29, v10
	v_lshlrev_b64 v[17:18], v11, v[8:9]
	v_and_b32_e32 v8, 7, v17
; %bb.1419:                             ;   in Loop: Header=BB189_1065 Depth=1
	s_or_b32 exec_lo, exec_lo, s21
	v_lshlrev_b32_e32 v11, 16, v23
	v_lshlrev_b32_e32 v8, 20, v8
	v_lshl_add_u32 v10, v10, 23, 0x3c000000
	v_mov_b32_e32 v17, v9
	v_and_b32_e32 v11, 0x80000000, v11
	v_or3_b32 v18, v8, v11, v10
.LBB189_1420:                           ;   in Loop: Header=BB189_1065 Depth=1
	s_or_b32 exec_lo, exec_lo, s20
.LBB189_1421:                           ;   in Loop: Header=BB189_1065 Depth=1
	s_or_b32 exec_lo, exec_lo, s17
.LBB189_1422:                           ;   in Loop: Header=BB189_1065 Depth=1
	s_or_b32 exec_lo, exec_lo, s15
	v_mov_b32_e32 v10, 0
	v_mov_b32_e32 v21, 0
	v_and_b32_sdwa v8, v23, v100 dst_sel:DWORD dst_unused:UNUSED_PAD src0_sel:WORD_1 src1_sel:DWORD
	v_mov_b32_e32 v11, 0
	v_mov_b32_e32 v22, 0
	s_mov_b32 s15, exec_lo
	v_cmpx_ne_u16_e32 0, v8
	s_cbranch_execz .LBB189_1430
; %bb.1423:                             ;   in Loop: Header=BB189_1065 Depth=1
	v_bfrev_b32_e32 v21, 1
	v_mov_b32_e32 v22, 0
	s_mov_b32 s17, exec_lo
	v_cmpx_ne_u16_e32 0x80, v8
	s_cbranch_execz .LBB189_1429
; %bb.1424:                             ;   in Loop: Header=BB189_1065 Depth=1
	v_mov_b32_e32 v21, 0x7f800001
	v_bfe_u32 v27, v23, 16, 7
	v_mov_b32_e32 v22, 0
	s_mov_b32 s20, exec_lo
	v_cmpx_ne_u32_e32 0x7f, v27
	s_cbranch_execz .LBB189_1428
; %bb.1425:                             ;   in Loop: Header=BB189_1065 Depth=1
	v_mov_b32_e32 v8, 7
	v_lshrrev_b32_e32 v13, 3, v27
	s_mov_b32 s21, exec_lo
	v_and_b32_sdwa v8, v23, v8 dst_sel:DWORD dst_unused:UNUSED_PAD src0_sel:WORD_1 src1_sel:DWORD
	v_cmpx_gt_u32_e32 8, v27
; %bb.1426:                             ;   in Loop: Header=BB189_1065 Depth=1
	v_ffbh_u32_e32 v13, v8
	v_min_u32_e32 v13, 32, v13
	v_subrev_nc_u32_e32 v21, 28, v13
	v_sub_nc_u32_e32 v13, 29, v13
	v_lshlrev_b64 v[21:22], v21, v[8:9]
	v_and_b32_e32 v8, 7, v21
; %bb.1427:                             ;   in Loop: Header=BB189_1065 Depth=1
	s_or_b32 exec_lo, exec_lo, s21
	v_mov_b32_e32 v21, 24
	v_lshlrev_b32_e32 v8, 20, v8
	v_lshl_add_u32 v13, v13, 23, 0x3c000000
	v_lshlrev_b32_sdwa v21, v21, v23 dst_sel:DWORD dst_unused:UNUSED_PAD src0_sel:DWORD src1_sel:WORD_1
	v_and_b32_e32 v21, 0x80000000, v21
	v_or3_b32 v8, v8, v21, v13
	v_mov_b32_e32 v22, v9
	v_mov_b32_e32 v21, v8
.LBB189_1428:                           ;   in Loop: Header=BB189_1065 Depth=1
	s_or_b32 exec_lo, exec_lo, s20
.LBB189_1429:                           ;   in Loop: Header=BB189_1065 Depth=1
	s_or_b32 exec_lo, exec_lo, s17
.LBB189_1430:                           ;   in Loop: Header=BB189_1065 Depth=1
	s_or_b32 exec_lo, exec_lo, s15
	s_mov_b32 s15, exec_lo
	v_cmpx_lt_u32_e32 0xffffff, v23
	s_cbranch_execz .LBB189_1438
; %bb.1431:                             ;   in Loop: Header=BB189_1065 Depth=1
	v_mov_b32_e32 v11, v9
	v_cmp_ne_u32_sdwa s4, v23, v98 src0_sel:BYTE_3 src1_sel:DWORD
	v_mov_b32_e32 v10, v11
	v_mov_b32_e32 v11, v12
	s_and_saveexec_b32 s17, s4
	s_cbranch_execz .LBB189_1437
; %bb.1432:                             ;   in Loop: Header=BB189_1065 Depth=1
	v_mov_b32_e32 v13, v9
	v_bfe_u32 v27, v23, 24, 7
	s_mov_b32 s20, exec_lo
	v_mov_b32_e32 v10, v13
	v_mov_b32_e32 v11, v14
	v_cmpx_ne_u32_e32 0x7f, v27
	s_cbranch_execz .LBB189_1436
; %bb.1433:                             ;   in Loop: Header=BB189_1065 Depth=1
	v_mov_b32_e32 v8, 7
	v_lshrrev_b32_e32 v10, 3, v27
	s_mov_b32 s21, exec_lo
	v_and_b32_sdwa v8, v23, v8 dst_sel:DWORD dst_unused:UNUSED_PAD src0_sel:BYTE_3 src1_sel:DWORD
	v_cmpx_gt_u32_e32 8, v27
; %bb.1434:                             ;   in Loop: Header=BB189_1065 Depth=1
	v_ffbh_u32_e32 v10, v8
	v_min_u32_e32 v10, 32, v10
	v_subrev_nc_u32_e32 v11, 28, v10
	v_sub_nc_u32_e32 v10, 29, v10
	v_lshlrev_b64 v[27:28], v11, v[8:9]
	v_and_b32_e32 v8, 7, v27
; %bb.1435:                             ;   in Loop: Header=BB189_1065 Depth=1
	s_or_b32 exec_lo, exec_lo, s21
	v_mov_b32_e32 v11, 24
	v_lshlrev_b32_e32 v8, 20, v8
	v_lshl_add_u32 v10, v10, 23, 0x3c000000
	v_lshlrev_b32_sdwa v11, v11, v23 dst_sel:DWORD dst_unused:UNUSED_PAD src0_sel:DWORD src1_sel:BYTE_3
	v_and_b32_e32 v11, 0x80000000, v11
	v_or3_b32 v11, v8, v11, v10
	v_mov_b32_e32 v10, v9
.LBB189_1436:                           ;   in Loop: Header=BB189_1065 Depth=1
	s_or_b32 exec_lo, exec_lo, s20
.LBB189_1437:                           ;   in Loop: Header=BB189_1065 Depth=1
	s_or_b32 exec_lo, exec_lo, s17
.LBB189_1438:                           ;   in Loop: Header=BB189_1065 Depth=1
	s_or_b32 exec_lo, exec_lo, s15
	v_or_b32_e32 v8, v18, v16
	v_or_b32_e32 v13, v17, v15
	;; [unrolled: 1-line block ×4, first 2 shown]
	v_mul_f32_e32 v122, v117, v8
	v_mul_f32_e32 v121, v117, v13
	;; [unrolled: 1-line block ×4, first 2 shown]
	s_and_saveexec_b32 s15, vcc_lo
	s_cbranch_execz .LBB189_1440
; %bb.1439:                             ;   in Loop: Header=BB189_1065 Depth=1
	v_cmp_lt_i32_e64 s4, v26, v119
	v_cndmask_b32_e64 v121, 0, v121, s4
	v_cmp_lt_i32_e64 s4, v42, v119
	v_cndmask_b32_e64 v122, 0, v122, s4
	;; [unrolled: 2-line block ×4, first 2 shown]
.LBB189_1440:                           ;   in Loop: Header=BB189_1065 Depth=1
	s_or_b32 exec_lo, exec_lo, s15
	flat_load_dword v23, v[0:1] offset:1408
	v_mov_b32_e32 v17, 0
	v_mov_b32_e32 v15, 0
	;; [unrolled: 1-line block ×4, first 2 shown]
	s_waitcnt vmcnt(0) lgkmcnt(0)
	v_cmp_ne_u16_sdwa s4, v23, v9 src0_sel:BYTE_0 src1_sel:DWORD
	s_and_saveexec_b32 s15, s4
	s_cbranch_execz .LBB189_1448
; %bb.1441:                             ;   in Loop: Header=BB189_1065 Depth=1
	v_bfrev_b32_e32 v15, 1
	v_mov_b32_e32 v16, 0
	v_cmp_ne_u16_sdwa s4, v23, v98 src0_sel:BYTE_0 src1_sel:DWORD
	s_and_saveexec_b32 s17, s4
	s_cbranch_execz .LBB189_1447
; %bb.1442:                             ;   in Loop: Header=BB189_1065 Depth=1
	v_mov_b32_e32 v15, 0x7f800001
	v_and_b32_e32 v11, 0x7f, v23
	v_mov_b32_e32 v16, 0
	s_mov_b32 s20, exec_lo
	v_cmpx_ne_u32_e32 0x7f, v11
	s_cbranch_execz .LBB189_1446
; %bb.1443:                             ;   in Loop: Header=BB189_1065 Depth=1
	v_and_b32_e32 v8, 7, v23
	v_lshrrev_b32_e32 v10, 3, v11
	s_mov_b32 s21, exec_lo
	v_cmpx_gt_u32_e32 8, v11
; %bb.1444:                             ;   in Loop: Header=BB189_1065 Depth=1
	v_ffbh_u32_e32 v10, v8
	v_min_u32_e32 v10, 32, v10
	v_subrev_nc_u32_e32 v11, 28, v10
	v_sub_nc_u32_e32 v10, 29, v10
	v_lshlrev_b64 v[15:16], v11, v[8:9]
	v_and_b32_e32 v8, 7, v15
; %bb.1445:                             ;   in Loop: Header=BB189_1065 Depth=1
	s_or_b32 exec_lo, exec_lo, s21
	v_lshlrev_b32_e32 v11, 24, v23
	v_lshlrev_b32_e32 v8, 20, v8
	v_lshl_add_u32 v10, v10, 23, 0x3c000000
	v_and_b32_e32 v11, 0x80000000, v11
	v_or3_b32 v8, v8, v11, v10
	v_mov_b32_e32 v16, v9
	v_mov_b32_e32 v15, v8
.LBB189_1446:                           ;   in Loop: Header=BB189_1065 Depth=1
	s_or_b32 exec_lo, exec_lo, s20
.LBB189_1447:                           ;   in Loop: Header=BB189_1065 Depth=1
	s_or_b32 exec_lo, exec_lo, s17
.LBB189_1448:                           ;   in Loop: Header=BB189_1065 Depth=1
	s_or_b32 exec_lo, exec_lo, s15
	v_cmp_ne_u16_sdwa s4, v23, v9 src0_sel:BYTE_1 src1_sel:DWORD
	s_and_saveexec_b32 s15, s4
	s_cbranch_execz .LBB189_1456
; %bb.1449:                             ;   in Loop: Header=BB189_1065 Depth=1
	v_mov_b32_e32 v11, v9
	v_mov_b32_e32 v18, v12
	v_cmp_ne_u16_sdwa s4, v23, v98 src0_sel:BYTE_1 src1_sel:DWORD
	v_mov_b32_e32 v17, v11
	s_and_saveexec_b32 s17, s4
	s_cbranch_execz .LBB189_1455
; %bb.1450:                             ;   in Loop: Header=BB189_1065 Depth=1
	v_mov_b32_e32 v8, 0xffff
	v_mov_b32_e32 v13, v9
	;; [unrolled: 1-line block ×3, first 2 shown]
	s_mov_b32 s20, exec_lo
	v_and_b32_sdwa v8, v8, v23 dst_sel:DWORD dst_unused:UNUSED_PAD src0_sel:DWORD src1_sel:BYTE_1
	v_mov_b32_e32 v17, v13
	v_and_b32_e32 v11, 0x7f, v8
	v_cmpx_ne_u32_e32 0x7f, v11
	s_cbranch_execz .LBB189_1454
; %bb.1451:                             ;   in Loop: Header=BB189_1065 Depth=1
	v_and_b32_e32 v8, 7, v8
	v_lshrrev_b32_e32 v10, 3, v11
	s_mov_b32 s21, exec_lo
	v_cmpx_gt_u32_e32 8, v11
; %bb.1452:                             ;   in Loop: Header=BB189_1065 Depth=1
	v_ffbh_u32_e32 v10, v8
	v_min_u32_e32 v10, 32, v10
	v_subrev_nc_u32_e32 v11, 28, v10
	v_sub_nc_u32_e32 v10, 29, v10
	v_lshlrev_b64 v[17:18], v11, v[8:9]
	v_and_b32_e32 v8, 7, v17
; %bb.1453:                             ;   in Loop: Header=BB189_1065 Depth=1
	s_or_b32 exec_lo, exec_lo, s21
	v_lshlrev_b32_e32 v11, 16, v23
	v_lshlrev_b32_e32 v8, 20, v8
	v_lshl_add_u32 v10, v10, 23, 0x3c000000
	v_mov_b32_e32 v17, v9
	v_and_b32_e32 v11, 0x80000000, v11
	v_or3_b32 v18, v8, v11, v10
.LBB189_1454:                           ;   in Loop: Header=BB189_1065 Depth=1
	s_or_b32 exec_lo, exec_lo, s20
.LBB189_1455:                           ;   in Loop: Header=BB189_1065 Depth=1
	s_or_b32 exec_lo, exec_lo, s17
.LBB189_1456:                           ;   in Loop: Header=BB189_1065 Depth=1
	s_or_b32 exec_lo, exec_lo, s15
	v_mov_b32_e32 v10, 0
	v_mov_b32_e32 v21, 0
	v_and_b32_sdwa v8, v23, v100 dst_sel:DWORD dst_unused:UNUSED_PAD src0_sel:WORD_1 src1_sel:DWORD
	v_mov_b32_e32 v11, 0
	v_mov_b32_e32 v22, 0
	s_mov_b32 s15, exec_lo
	v_cmpx_ne_u16_e32 0, v8
	s_cbranch_execz .LBB189_1464
; %bb.1457:                             ;   in Loop: Header=BB189_1065 Depth=1
	v_bfrev_b32_e32 v21, 1
	v_mov_b32_e32 v22, 0
	s_mov_b32 s17, exec_lo
	v_cmpx_ne_u16_e32 0x80, v8
	s_cbranch_execz .LBB189_1463
; %bb.1458:                             ;   in Loop: Header=BB189_1065 Depth=1
	v_mov_b32_e32 v21, 0x7f800001
	v_bfe_u32 v27, v23, 16, 7
	v_mov_b32_e32 v22, 0
	s_mov_b32 s20, exec_lo
	v_cmpx_ne_u32_e32 0x7f, v27
	s_cbranch_execz .LBB189_1462
; %bb.1459:                             ;   in Loop: Header=BB189_1065 Depth=1
	v_mov_b32_e32 v8, 7
	v_lshrrev_b32_e32 v13, 3, v27
	s_mov_b32 s21, exec_lo
	v_and_b32_sdwa v8, v23, v8 dst_sel:DWORD dst_unused:UNUSED_PAD src0_sel:WORD_1 src1_sel:DWORD
	v_cmpx_gt_u32_e32 8, v27
; %bb.1460:                             ;   in Loop: Header=BB189_1065 Depth=1
	v_ffbh_u32_e32 v13, v8
	v_min_u32_e32 v13, 32, v13
	v_subrev_nc_u32_e32 v21, 28, v13
	v_sub_nc_u32_e32 v13, 29, v13
	v_lshlrev_b64 v[21:22], v21, v[8:9]
	v_and_b32_e32 v8, 7, v21
; %bb.1461:                             ;   in Loop: Header=BB189_1065 Depth=1
	s_or_b32 exec_lo, exec_lo, s21
	v_mov_b32_e32 v21, 24
	v_lshlrev_b32_e32 v8, 20, v8
	v_lshl_add_u32 v13, v13, 23, 0x3c000000
	v_lshlrev_b32_sdwa v21, v21, v23 dst_sel:DWORD dst_unused:UNUSED_PAD src0_sel:DWORD src1_sel:WORD_1
	v_and_b32_e32 v21, 0x80000000, v21
	v_or3_b32 v8, v8, v21, v13
	v_mov_b32_e32 v22, v9
	v_mov_b32_e32 v21, v8
.LBB189_1462:                           ;   in Loop: Header=BB189_1065 Depth=1
	s_or_b32 exec_lo, exec_lo, s20
.LBB189_1463:                           ;   in Loop: Header=BB189_1065 Depth=1
	s_or_b32 exec_lo, exec_lo, s17
.LBB189_1464:                           ;   in Loop: Header=BB189_1065 Depth=1
	s_or_b32 exec_lo, exec_lo, s15
	s_mov_b32 s15, exec_lo
	v_cmpx_lt_u32_e32 0xffffff, v23
	s_cbranch_execz .LBB189_1472
; %bb.1465:                             ;   in Loop: Header=BB189_1065 Depth=1
	v_mov_b32_e32 v11, v9
	v_cmp_ne_u32_sdwa s4, v23, v98 src0_sel:BYTE_3 src1_sel:DWORD
	v_mov_b32_e32 v10, v11
	v_mov_b32_e32 v11, v12
	s_and_saveexec_b32 s17, s4
	s_cbranch_execz .LBB189_1471
; %bb.1466:                             ;   in Loop: Header=BB189_1065 Depth=1
	v_mov_b32_e32 v13, v9
	v_bfe_u32 v27, v23, 24, 7
	s_mov_b32 s20, exec_lo
	v_mov_b32_e32 v10, v13
	v_mov_b32_e32 v11, v14
	v_cmpx_ne_u32_e32 0x7f, v27
	s_cbranch_execz .LBB189_1470
; %bb.1467:                             ;   in Loop: Header=BB189_1065 Depth=1
	v_mov_b32_e32 v8, 7
	v_lshrrev_b32_e32 v10, 3, v27
	s_mov_b32 s21, exec_lo
	v_and_b32_sdwa v8, v23, v8 dst_sel:DWORD dst_unused:UNUSED_PAD src0_sel:BYTE_3 src1_sel:DWORD
	v_cmpx_gt_u32_e32 8, v27
; %bb.1468:                             ;   in Loop: Header=BB189_1065 Depth=1
	v_ffbh_u32_e32 v10, v8
	v_min_u32_e32 v10, 32, v10
	v_subrev_nc_u32_e32 v11, 28, v10
	v_sub_nc_u32_e32 v10, 29, v10
	v_lshlrev_b64 v[27:28], v11, v[8:9]
	v_and_b32_e32 v8, 7, v27
; %bb.1469:                             ;   in Loop: Header=BB189_1065 Depth=1
	s_or_b32 exec_lo, exec_lo, s21
	v_mov_b32_e32 v11, 24
	v_lshlrev_b32_e32 v8, 20, v8
	v_lshl_add_u32 v10, v10, 23, 0x3c000000
	v_lshlrev_b32_sdwa v11, v11, v23 dst_sel:DWORD dst_unused:UNUSED_PAD src0_sel:DWORD src1_sel:BYTE_3
	v_and_b32_e32 v11, 0x80000000, v11
	v_or3_b32 v11, v8, v11, v10
	v_mov_b32_e32 v10, v9
.LBB189_1470:                           ;   in Loop: Header=BB189_1065 Depth=1
	s_or_b32 exec_lo, exec_lo, s20
.LBB189_1471:                           ;   in Loop: Header=BB189_1065 Depth=1
	s_or_b32 exec_lo, exec_lo, s17
.LBB189_1472:                           ;   in Loop: Header=BB189_1065 Depth=1
	s_or_b32 exec_lo, exec_lo, s15
	v_or_b32_e32 v8, v18, v16
	v_or_b32_e32 v13, v17, v15
	;; [unrolled: 1-line block ×4, first 2 shown]
	v_mul_f32_e32 v126, v117, v8
	v_mul_f32_e32 v125, v117, v13
	;; [unrolled: 1-line block ×4, first 2 shown]
	s_and_saveexec_b32 s15, vcc_lo
	s_cbranch_execz .LBB189_1474
; %bb.1473:                             ;   in Loop: Header=BB189_1065 Depth=1
	v_cmp_lt_i32_e64 s4, v26, v119
	v_cndmask_b32_e64 v125, 0, v125, s4
	v_cmp_lt_i32_e64 s4, v42, v119
	v_cndmask_b32_e64 v126, 0, v126, s4
	v_cmp_lt_i32_e64 s4, v41, v119
	v_cndmask_b32_e64 v124, 0, v124, s4
	v_cmp_lt_i32_e64 s4, v40, v119
	v_cndmask_b32_e64 v123, 0, v123, s4
.LBB189_1474:                           ;   in Loop: Header=BB189_1065 Depth=1
	s_or_b32 exec_lo, exec_lo, s15
	flat_load_dword v23, v[0:1] offset:1536
	v_mov_b32_e32 v17, 0
	v_mov_b32_e32 v15, 0
	;; [unrolled: 1-line block ×4, first 2 shown]
	s_waitcnt vmcnt(0) lgkmcnt(0)
	v_cmp_ne_u16_sdwa s4, v23, v9 src0_sel:BYTE_0 src1_sel:DWORD
	s_and_saveexec_b32 s15, s4
	s_cbranch_execz .LBB189_1482
; %bb.1475:                             ;   in Loop: Header=BB189_1065 Depth=1
	v_bfrev_b32_e32 v15, 1
	v_mov_b32_e32 v16, 0
	v_cmp_ne_u16_sdwa s4, v23, v98 src0_sel:BYTE_0 src1_sel:DWORD
	s_and_saveexec_b32 s17, s4
	s_cbranch_execz .LBB189_1481
; %bb.1476:                             ;   in Loop: Header=BB189_1065 Depth=1
	v_mov_b32_e32 v15, 0x7f800001
	v_and_b32_e32 v11, 0x7f, v23
	v_mov_b32_e32 v16, 0
	s_mov_b32 s20, exec_lo
	v_cmpx_ne_u32_e32 0x7f, v11
	s_cbranch_execz .LBB189_1480
; %bb.1477:                             ;   in Loop: Header=BB189_1065 Depth=1
	v_and_b32_e32 v8, 7, v23
	v_lshrrev_b32_e32 v10, 3, v11
	s_mov_b32 s21, exec_lo
	v_cmpx_gt_u32_e32 8, v11
; %bb.1478:                             ;   in Loop: Header=BB189_1065 Depth=1
	v_ffbh_u32_e32 v10, v8
	v_min_u32_e32 v10, 32, v10
	v_subrev_nc_u32_e32 v11, 28, v10
	v_sub_nc_u32_e32 v10, 29, v10
	v_lshlrev_b64 v[15:16], v11, v[8:9]
	v_and_b32_e32 v8, 7, v15
; %bb.1479:                             ;   in Loop: Header=BB189_1065 Depth=1
	s_or_b32 exec_lo, exec_lo, s21
	v_lshlrev_b32_e32 v11, 24, v23
	v_lshlrev_b32_e32 v8, 20, v8
	v_lshl_add_u32 v10, v10, 23, 0x3c000000
	v_and_b32_e32 v11, 0x80000000, v11
	v_or3_b32 v8, v8, v11, v10
	v_mov_b32_e32 v16, v9
	v_mov_b32_e32 v15, v8
.LBB189_1480:                           ;   in Loop: Header=BB189_1065 Depth=1
	s_or_b32 exec_lo, exec_lo, s20
.LBB189_1481:                           ;   in Loop: Header=BB189_1065 Depth=1
	s_or_b32 exec_lo, exec_lo, s17
.LBB189_1482:                           ;   in Loop: Header=BB189_1065 Depth=1
	s_or_b32 exec_lo, exec_lo, s15
	v_cmp_ne_u16_sdwa s4, v23, v9 src0_sel:BYTE_1 src1_sel:DWORD
	s_and_saveexec_b32 s15, s4
	s_cbranch_execz .LBB189_1490
; %bb.1483:                             ;   in Loop: Header=BB189_1065 Depth=1
	v_mov_b32_e32 v11, v9
	v_mov_b32_e32 v18, v12
	v_cmp_ne_u16_sdwa s4, v23, v98 src0_sel:BYTE_1 src1_sel:DWORD
	v_mov_b32_e32 v17, v11
	s_and_saveexec_b32 s17, s4
	s_cbranch_execz .LBB189_1489
; %bb.1484:                             ;   in Loop: Header=BB189_1065 Depth=1
	v_mov_b32_e32 v8, 0xffff
	v_mov_b32_e32 v13, v9
	v_mov_b32_e32 v18, v14
	s_mov_b32 s20, exec_lo
	v_and_b32_sdwa v8, v8, v23 dst_sel:DWORD dst_unused:UNUSED_PAD src0_sel:DWORD src1_sel:BYTE_1
	v_mov_b32_e32 v17, v13
	v_and_b32_e32 v11, 0x7f, v8
	v_cmpx_ne_u32_e32 0x7f, v11
	s_cbranch_execz .LBB189_1488
; %bb.1485:                             ;   in Loop: Header=BB189_1065 Depth=1
	v_and_b32_e32 v8, 7, v8
	v_lshrrev_b32_e32 v10, 3, v11
	s_mov_b32 s21, exec_lo
	v_cmpx_gt_u32_e32 8, v11
; %bb.1486:                             ;   in Loop: Header=BB189_1065 Depth=1
	v_ffbh_u32_e32 v10, v8
	v_min_u32_e32 v10, 32, v10
	v_subrev_nc_u32_e32 v11, 28, v10
	v_sub_nc_u32_e32 v10, 29, v10
	v_lshlrev_b64 v[17:18], v11, v[8:9]
	v_and_b32_e32 v8, 7, v17
; %bb.1487:                             ;   in Loop: Header=BB189_1065 Depth=1
	s_or_b32 exec_lo, exec_lo, s21
	v_lshlrev_b32_e32 v11, 16, v23
	v_lshlrev_b32_e32 v8, 20, v8
	v_lshl_add_u32 v10, v10, 23, 0x3c000000
	v_mov_b32_e32 v17, v9
	v_and_b32_e32 v11, 0x80000000, v11
	v_or3_b32 v18, v8, v11, v10
.LBB189_1488:                           ;   in Loop: Header=BB189_1065 Depth=1
	s_or_b32 exec_lo, exec_lo, s20
.LBB189_1489:                           ;   in Loop: Header=BB189_1065 Depth=1
	s_or_b32 exec_lo, exec_lo, s17
.LBB189_1490:                           ;   in Loop: Header=BB189_1065 Depth=1
	s_or_b32 exec_lo, exec_lo, s15
	v_mov_b32_e32 v10, 0
	v_mov_b32_e32 v21, 0
	v_and_b32_sdwa v8, v23, v100 dst_sel:DWORD dst_unused:UNUSED_PAD src0_sel:WORD_1 src1_sel:DWORD
	v_mov_b32_e32 v11, 0
	v_mov_b32_e32 v22, 0
	s_mov_b32 s15, exec_lo
	v_cmpx_ne_u16_e32 0, v8
	s_cbranch_execz .LBB189_1498
; %bb.1491:                             ;   in Loop: Header=BB189_1065 Depth=1
	v_bfrev_b32_e32 v21, 1
	v_mov_b32_e32 v22, 0
	s_mov_b32 s17, exec_lo
	v_cmpx_ne_u16_e32 0x80, v8
	s_cbranch_execz .LBB189_1497
; %bb.1492:                             ;   in Loop: Header=BB189_1065 Depth=1
	v_mov_b32_e32 v21, 0x7f800001
	v_bfe_u32 v27, v23, 16, 7
	v_mov_b32_e32 v22, 0
	s_mov_b32 s20, exec_lo
	v_cmpx_ne_u32_e32 0x7f, v27
	s_cbranch_execz .LBB189_1496
; %bb.1493:                             ;   in Loop: Header=BB189_1065 Depth=1
	v_mov_b32_e32 v8, 7
	v_lshrrev_b32_e32 v13, 3, v27
	s_mov_b32 s21, exec_lo
	v_and_b32_sdwa v8, v23, v8 dst_sel:DWORD dst_unused:UNUSED_PAD src0_sel:WORD_1 src1_sel:DWORD
	v_cmpx_gt_u32_e32 8, v27
; %bb.1494:                             ;   in Loop: Header=BB189_1065 Depth=1
	v_ffbh_u32_e32 v13, v8
	v_min_u32_e32 v13, 32, v13
	v_subrev_nc_u32_e32 v21, 28, v13
	v_sub_nc_u32_e32 v13, 29, v13
	v_lshlrev_b64 v[21:22], v21, v[8:9]
	v_and_b32_e32 v8, 7, v21
; %bb.1495:                             ;   in Loop: Header=BB189_1065 Depth=1
	s_or_b32 exec_lo, exec_lo, s21
	v_mov_b32_e32 v21, 24
	v_lshlrev_b32_e32 v8, 20, v8
	v_lshl_add_u32 v13, v13, 23, 0x3c000000
	v_lshlrev_b32_sdwa v21, v21, v23 dst_sel:DWORD dst_unused:UNUSED_PAD src0_sel:DWORD src1_sel:WORD_1
	v_and_b32_e32 v21, 0x80000000, v21
	v_or3_b32 v8, v8, v21, v13
	v_mov_b32_e32 v22, v9
	v_mov_b32_e32 v21, v8
.LBB189_1496:                           ;   in Loop: Header=BB189_1065 Depth=1
	s_or_b32 exec_lo, exec_lo, s20
.LBB189_1497:                           ;   in Loop: Header=BB189_1065 Depth=1
	s_or_b32 exec_lo, exec_lo, s17
.LBB189_1498:                           ;   in Loop: Header=BB189_1065 Depth=1
	s_or_b32 exec_lo, exec_lo, s15
	s_mov_b32 s15, exec_lo
	v_cmpx_lt_u32_e32 0xffffff, v23
	s_cbranch_execz .LBB189_1506
; %bb.1499:                             ;   in Loop: Header=BB189_1065 Depth=1
	v_mov_b32_e32 v11, v9
	v_cmp_ne_u32_sdwa s4, v23, v98 src0_sel:BYTE_3 src1_sel:DWORD
	v_mov_b32_e32 v10, v11
	v_mov_b32_e32 v11, v12
	s_and_saveexec_b32 s17, s4
	s_cbranch_execz .LBB189_1505
; %bb.1500:                             ;   in Loop: Header=BB189_1065 Depth=1
	v_mov_b32_e32 v13, v9
	v_bfe_u32 v27, v23, 24, 7
	s_mov_b32 s20, exec_lo
	v_mov_b32_e32 v10, v13
	v_mov_b32_e32 v11, v14
	v_cmpx_ne_u32_e32 0x7f, v27
	s_cbranch_execz .LBB189_1504
; %bb.1501:                             ;   in Loop: Header=BB189_1065 Depth=1
	v_mov_b32_e32 v8, 7
	v_lshrrev_b32_e32 v10, 3, v27
	s_mov_b32 s21, exec_lo
	v_and_b32_sdwa v8, v23, v8 dst_sel:DWORD dst_unused:UNUSED_PAD src0_sel:BYTE_3 src1_sel:DWORD
	v_cmpx_gt_u32_e32 8, v27
; %bb.1502:                             ;   in Loop: Header=BB189_1065 Depth=1
	v_ffbh_u32_e32 v10, v8
	v_min_u32_e32 v10, 32, v10
	v_subrev_nc_u32_e32 v11, 28, v10
	v_sub_nc_u32_e32 v10, 29, v10
	v_lshlrev_b64 v[27:28], v11, v[8:9]
	v_and_b32_e32 v8, 7, v27
; %bb.1503:                             ;   in Loop: Header=BB189_1065 Depth=1
	s_or_b32 exec_lo, exec_lo, s21
	v_mov_b32_e32 v11, 24
	v_lshlrev_b32_e32 v8, 20, v8
	v_lshl_add_u32 v10, v10, 23, 0x3c000000
	v_lshlrev_b32_sdwa v11, v11, v23 dst_sel:DWORD dst_unused:UNUSED_PAD src0_sel:DWORD src1_sel:BYTE_3
	v_and_b32_e32 v11, 0x80000000, v11
	v_or3_b32 v11, v8, v11, v10
	v_mov_b32_e32 v10, v9
.LBB189_1504:                           ;   in Loop: Header=BB189_1065 Depth=1
	s_or_b32 exec_lo, exec_lo, s20
.LBB189_1505:                           ;   in Loop: Header=BB189_1065 Depth=1
	s_or_b32 exec_lo, exec_lo, s17
.LBB189_1506:                           ;   in Loop: Header=BB189_1065 Depth=1
	s_or_b32 exec_lo, exec_lo, s15
	v_or_b32_e32 v8, v18, v16
	v_or_b32_e32 v13, v17, v15
	;; [unrolled: 1-line block ×4, first 2 shown]
	v_mul_f32_e32 v23, v117, v8
	v_mul_f32_e32 v29, v117, v13
	;; [unrolled: 1-line block ×4, first 2 shown]
	s_and_saveexec_b32 s15, vcc_lo
	s_cbranch_execz .LBB189_1508
; %bb.1507:                             ;   in Loop: Header=BB189_1065 Depth=1
	v_cmp_lt_i32_e64 s4, v26, v119
	v_cndmask_b32_e64 v29, 0, v29, s4
	v_cmp_lt_i32_e64 s4, v42, v119
	v_cndmask_b32_e64 v23, 0, v23, s4
	;; [unrolled: 2-line block ×4, first 2 shown]
.LBB189_1508:                           ;   in Loop: Header=BB189_1065 Depth=1
	s_or_b32 exec_lo, exec_lo, s15
	flat_load_dword v27, v[0:1] offset:1664
	v_mov_b32_e32 v17, 0
	v_mov_b32_e32 v15, 0
	;; [unrolled: 1-line block ×4, first 2 shown]
	s_waitcnt vmcnt(0) lgkmcnt(0)
	v_cmp_ne_u16_sdwa s4, v27, v9 src0_sel:BYTE_0 src1_sel:DWORD
	s_and_saveexec_b32 s15, s4
	s_cbranch_execz .LBB189_1516
; %bb.1509:                             ;   in Loop: Header=BB189_1065 Depth=1
	v_bfrev_b32_e32 v15, 1
	v_mov_b32_e32 v16, 0
	v_cmp_ne_u16_sdwa s4, v27, v98 src0_sel:BYTE_0 src1_sel:DWORD
	s_and_saveexec_b32 s17, s4
	s_cbranch_execz .LBB189_1515
; %bb.1510:                             ;   in Loop: Header=BB189_1065 Depth=1
	v_mov_b32_e32 v15, 0x7f800001
	v_and_b32_e32 v11, 0x7f, v27
	v_mov_b32_e32 v16, 0
	s_mov_b32 s20, exec_lo
	v_cmpx_ne_u32_e32 0x7f, v11
	s_cbranch_execz .LBB189_1514
; %bb.1511:                             ;   in Loop: Header=BB189_1065 Depth=1
	v_and_b32_e32 v8, 7, v27
	v_lshrrev_b32_e32 v10, 3, v11
	s_mov_b32 s21, exec_lo
	v_cmpx_gt_u32_e32 8, v11
; %bb.1512:                             ;   in Loop: Header=BB189_1065 Depth=1
	v_ffbh_u32_e32 v10, v8
	v_min_u32_e32 v10, 32, v10
	v_subrev_nc_u32_e32 v11, 28, v10
	v_sub_nc_u32_e32 v10, 29, v10
	v_lshlrev_b64 v[15:16], v11, v[8:9]
	v_and_b32_e32 v8, 7, v15
; %bb.1513:                             ;   in Loop: Header=BB189_1065 Depth=1
	s_or_b32 exec_lo, exec_lo, s21
	v_lshlrev_b32_e32 v11, 24, v27
	v_lshlrev_b32_e32 v8, 20, v8
	v_lshl_add_u32 v10, v10, 23, 0x3c000000
	v_and_b32_e32 v11, 0x80000000, v11
	v_or3_b32 v8, v8, v11, v10
	v_mov_b32_e32 v16, v9
	v_mov_b32_e32 v15, v8
.LBB189_1514:                           ;   in Loop: Header=BB189_1065 Depth=1
	s_or_b32 exec_lo, exec_lo, s20
.LBB189_1515:                           ;   in Loop: Header=BB189_1065 Depth=1
	s_or_b32 exec_lo, exec_lo, s17
.LBB189_1516:                           ;   in Loop: Header=BB189_1065 Depth=1
	s_or_b32 exec_lo, exec_lo, s15
	v_cmp_ne_u16_sdwa s4, v27, v9 src0_sel:BYTE_1 src1_sel:DWORD
	s_and_saveexec_b32 s15, s4
	s_cbranch_execz .LBB189_1524
; %bb.1517:                             ;   in Loop: Header=BB189_1065 Depth=1
	v_mov_b32_e32 v11, v9
	v_mov_b32_e32 v18, v12
	v_cmp_ne_u16_sdwa s4, v27, v98 src0_sel:BYTE_1 src1_sel:DWORD
	v_mov_b32_e32 v17, v11
	s_and_saveexec_b32 s17, s4
	s_cbranch_execz .LBB189_1523
; %bb.1518:                             ;   in Loop: Header=BB189_1065 Depth=1
	v_mov_b32_e32 v8, 0xffff
	v_mov_b32_e32 v13, v9
	;; [unrolled: 1-line block ×3, first 2 shown]
	s_mov_b32 s20, exec_lo
	v_and_b32_sdwa v8, v8, v27 dst_sel:DWORD dst_unused:UNUSED_PAD src0_sel:DWORD src1_sel:BYTE_1
	v_mov_b32_e32 v17, v13
	v_and_b32_e32 v11, 0x7f, v8
	v_cmpx_ne_u32_e32 0x7f, v11
	s_cbranch_execz .LBB189_1522
; %bb.1519:                             ;   in Loop: Header=BB189_1065 Depth=1
	v_and_b32_e32 v8, 7, v8
	v_lshrrev_b32_e32 v10, 3, v11
	s_mov_b32 s21, exec_lo
	v_cmpx_gt_u32_e32 8, v11
; %bb.1520:                             ;   in Loop: Header=BB189_1065 Depth=1
	v_ffbh_u32_e32 v10, v8
	v_min_u32_e32 v10, 32, v10
	v_subrev_nc_u32_e32 v11, 28, v10
	v_sub_nc_u32_e32 v10, 29, v10
	v_lshlrev_b64 v[17:18], v11, v[8:9]
	v_and_b32_e32 v8, 7, v17
; %bb.1521:                             ;   in Loop: Header=BB189_1065 Depth=1
	s_or_b32 exec_lo, exec_lo, s21
	v_lshlrev_b32_e32 v11, 16, v27
	v_lshlrev_b32_e32 v8, 20, v8
	v_lshl_add_u32 v10, v10, 23, 0x3c000000
	v_mov_b32_e32 v17, v9
	v_and_b32_e32 v11, 0x80000000, v11
	v_or3_b32 v18, v8, v11, v10
.LBB189_1522:                           ;   in Loop: Header=BB189_1065 Depth=1
	s_or_b32 exec_lo, exec_lo, s20
.LBB189_1523:                           ;   in Loop: Header=BB189_1065 Depth=1
	s_or_b32 exec_lo, exec_lo, s17
.LBB189_1524:                           ;   in Loop: Header=BB189_1065 Depth=1
	s_or_b32 exec_lo, exec_lo, s15
	v_mov_b32_e32 v10, 0
	v_mov_b32_e32 v21, 0
	v_and_b32_sdwa v8, v27, v100 dst_sel:DWORD dst_unused:UNUSED_PAD src0_sel:WORD_1 src1_sel:DWORD
	v_mov_b32_e32 v11, 0
	v_mov_b32_e32 v22, 0
	s_mov_b32 s15, exec_lo
	v_cmpx_ne_u16_e32 0, v8
	s_cbranch_execz .LBB189_1532
; %bb.1525:                             ;   in Loop: Header=BB189_1065 Depth=1
	v_bfrev_b32_e32 v21, 1
	v_mov_b32_e32 v22, 0
	s_mov_b32 s17, exec_lo
	v_cmpx_ne_u16_e32 0x80, v8
	s_cbranch_execz .LBB189_1531
; %bb.1526:                             ;   in Loop: Header=BB189_1065 Depth=1
	v_mov_b32_e32 v21, 0x7f800001
	v_bfe_u32 v28, v27, 16, 7
	v_mov_b32_e32 v22, 0
	s_mov_b32 s20, exec_lo
	v_cmpx_ne_u32_e32 0x7f, v28
	s_cbranch_execz .LBB189_1530
; %bb.1527:                             ;   in Loop: Header=BB189_1065 Depth=1
	v_mov_b32_e32 v8, 7
	v_lshrrev_b32_e32 v13, 3, v28
	s_mov_b32 s21, exec_lo
	v_and_b32_sdwa v8, v27, v8 dst_sel:DWORD dst_unused:UNUSED_PAD src0_sel:WORD_1 src1_sel:DWORD
	v_cmpx_gt_u32_e32 8, v28
; %bb.1528:                             ;   in Loop: Header=BB189_1065 Depth=1
	v_ffbh_u32_e32 v13, v8
	v_min_u32_e32 v13, 32, v13
	v_subrev_nc_u32_e32 v21, 28, v13
	v_sub_nc_u32_e32 v13, 29, v13
	v_lshlrev_b64 v[21:22], v21, v[8:9]
	v_and_b32_e32 v8, 7, v21
; %bb.1529:                             ;   in Loop: Header=BB189_1065 Depth=1
	s_or_b32 exec_lo, exec_lo, s21
	v_mov_b32_e32 v21, 24
	v_lshlrev_b32_e32 v8, 20, v8
	v_lshl_add_u32 v13, v13, 23, 0x3c000000
	v_lshlrev_b32_sdwa v21, v21, v27 dst_sel:DWORD dst_unused:UNUSED_PAD src0_sel:DWORD src1_sel:WORD_1
	v_and_b32_e32 v21, 0x80000000, v21
	v_or3_b32 v8, v8, v21, v13
	v_mov_b32_e32 v22, v9
	v_mov_b32_e32 v21, v8
.LBB189_1530:                           ;   in Loop: Header=BB189_1065 Depth=1
	s_or_b32 exec_lo, exec_lo, s20
.LBB189_1531:                           ;   in Loop: Header=BB189_1065 Depth=1
	s_or_b32 exec_lo, exec_lo, s17
.LBB189_1532:                           ;   in Loop: Header=BB189_1065 Depth=1
	s_or_b32 exec_lo, exec_lo, s15
	s_mov_b32 s15, exec_lo
	v_cmpx_lt_u32_e32 0xffffff, v27
	s_cbranch_execz .LBB189_1540
; %bb.1533:                             ;   in Loop: Header=BB189_1065 Depth=1
	v_mov_b32_e32 v11, v9
	v_cmp_ne_u32_sdwa s4, v27, v98 src0_sel:BYTE_3 src1_sel:DWORD
	v_mov_b32_e32 v10, v11
	v_mov_b32_e32 v11, v12
	s_and_saveexec_b32 s17, s4
	s_cbranch_execz .LBB189_1539
; %bb.1534:                             ;   in Loop: Header=BB189_1065 Depth=1
	v_mov_b32_e32 v13, v9
	v_bfe_u32 v28, v27, 24, 7
	s_mov_b32 s20, exec_lo
	v_mov_b32_e32 v10, v13
	v_mov_b32_e32 v11, v14
	v_cmpx_ne_u32_e32 0x7f, v28
	s_cbranch_execz .LBB189_1538
; %bb.1535:                             ;   in Loop: Header=BB189_1065 Depth=1
	v_mov_b32_e32 v8, 7
	v_lshrrev_b32_e32 v10, 3, v28
	s_mov_b32 s21, exec_lo
	v_and_b32_sdwa v8, v27, v8 dst_sel:DWORD dst_unused:UNUSED_PAD src0_sel:BYTE_3 src1_sel:DWORD
	v_cmpx_gt_u32_e32 8, v28
; %bb.1536:                             ;   in Loop: Header=BB189_1065 Depth=1
	v_ffbh_u32_e32 v10, v8
	v_min_u32_e32 v10, 32, v10
	v_subrev_nc_u32_e32 v11, 28, v10
	v_sub_nc_u32_e32 v10, 29, v10
	v_lshlrev_b64 v[32:33], v11, v[8:9]
	v_and_b32_e32 v8, 7, v32
; %bb.1537:                             ;   in Loop: Header=BB189_1065 Depth=1
	s_or_b32 exec_lo, exec_lo, s21
	v_mov_b32_e32 v11, 24
	v_lshlrev_b32_e32 v8, 20, v8
	v_lshl_add_u32 v10, v10, 23, 0x3c000000
	v_lshlrev_b32_sdwa v11, v11, v27 dst_sel:DWORD dst_unused:UNUSED_PAD src0_sel:DWORD src1_sel:BYTE_3
	v_and_b32_e32 v11, 0x80000000, v11
	v_or3_b32 v11, v8, v11, v10
	v_mov_b32_e32 v10, v9
.LBB189_1538:                           ;   in Loop: Header=BB189_1065 Depth=1
	s_or_b32 exec_lo, exec_lo, s20
.LBB189_1539:                           ;   in Loop: Header=BB189_1065 Depth=1
	s_or_b32 exec_lo, exec_lo, s17
.LBB189_1540:                           ;   in Loop: Header=BB189_1065 Depth=1
	s_or_b32 exec_lo, exec_lo, s15
	v_or_b32_e32 v8, v18, v16
	v_or_b32_e32 v13, v17, v15
	v_or_b32_e32 v10, v10, v21
	v_or_b32_e32 v11, v11, v22
	v_mul_f32_e32 v28, v117, v8
	v_mul_f32_e32 v27, v117, v13
	;; [unrolled: 1-line block ×4, first 2 shown]
	s_and_saveexec_b32 s15, vcc_lo
	s_cbranch_execz .LBB189_1542
; %bb.1541:                             ;   in Loop: Header=BB189_1065 Depth=1
	v_cmp_lt_i32_e64 s4, v26, v119
	v_cndmask_b32_e64 v27, 0, v27, s4
	v_cmp_lt_i32_e64 s4, v42, v119
	v_cndmask_b32_e64 v28, 0, v28, s4
	;; [unrolled: 2-line block ×4, first 2 shown]
.LBB189_1542:                           ;   in Loop: Header=BB189_1065 Depth=1
	s_or_b32 exec_lo, exec_lo, s15
	flat_load_dword v32, v[0:1] offset:1792
	v_mov_b32_e32 v17, 0
	v_mov_b32_e32 v15, 0
	;; [unrolled: 1-line block ×4, first 2 shown]
	s_waitcnt vmcnt(0) lgkmcnt(0)
	v_cmp_ne_u16_sdwa s4, v32, v9 src0_sel:BYTE_0 src1_sel:DWORD
	s_and_saveexec_b32 s15, s4
	s_cbranch_execz .LBB189_1550
; %bb.1543:                             ;   in Loop: Header=BB189_1065 Depth=1
	v_bfrev_b32_e32 v15, 1
	v_mov_b32_e32 v16, 0
	v_cmp_ne_u16_sdwa s4, v32, v98 src0_sel:BYTE_0 src1_sel:DWORD
	s_and_saveexec_b32 s17, s4
	s_cbranch_execz .LBB189_1549
; %bb.1544:                             ;   in Loop: Header=BB189_1065 Depth=1
	v_mov_b32_e32 v15, 0x7f800001
	v_and_b32_e32 v11, 0x7f, v32
	v_mov_b32_e32 v16, 0
	s_mov_b32 s20, exec_lo
	v_cmpx_ne_u32_e32 0x7f, v11
	s_cbranch_execz .LBB189_1548
; %bb.1545:                             ;   in Loop: Header=BB189_1065 Depth=1
	v_and_b32_e32 v8, 7, v32
	v_lshrrev_b32_e32 v10, 3, v11
	s_mov_b32 s21, exec_lo
	v_cmpx_gt_u32_e32 8, v11
; %bb.1546:                             ;   in Loop: Header=BB189_1065 Depth=1
	v_ffbh_u32_e32 v10, v8
	v_min_u32_e32 v10, 32, v10
	v_subrev_nc_u32_e32 v11, 28, v10
	v_sub_nc_u32_e32 v10, 29, v10
	v_lshlrev_b64 v[15:16], v11, v[8:9]
	v_and_b32_e32 v8, 7, v15
; %bb.1547:                             ;   in Loop: Header=BB189_1065 Depth=1
	s_or_b32 exec_lo, exec_lo, s21
	v_lshlrev_b32_e32 v11, 24, v32
	v_lshlrev_b32_e32 v8, 20, v8
	v_lshl_add_u32 v10, v10, 23, 0x3c000000
	v_and_b32_e32 v11, 0x80000000, v11
	v_or3_b32 v8, v8, v11, v10
	v_mov_b32_e32 v16, v9
	v_mov_b32_e32 v15, v8
.LBB189_1548:                           ;   in Loop: Header=BB189_1065 Depth=1
	s_or_b32 exec_lo, exec_lo, s20
.LBB189_1549:                           ;   in Loop: Header=BB189_1065 Depth=1
	s_or_b32 exec_lo, exec_lo, s17
.LBB189_1550:                           ;   in Loop: Header=BB189_1065 Depth=1
	s_or_b32 exec_lo, exec_lo, s15
	v_cmp_ne_u16_sdwa s4, v32, v9 src0_sel:BYTE_1 src1_sel:DWORD
	s_and_saveexec_b32 s15, s4
	s_cbranch_execz .LBB189_1558
; %bb.1551:                             ;   in Loop: Header=BB189_1065 Depth=1
	v_mov_b32_e32 v11, v9
	v_mov_b32_e32 v18, v12
	v_cmp_ne_u16_sdwa s4, v32, v98 src0_sel:BYTE_1 src1_sel:DWORD
	v_mov_b32_e32 v17, v11
	s_and_saveexec_b32 s17, s4
	s_cbranch_execz .LBB189_1557
; %bb.1552:                             ;   in Loop: Header=BB189_1065 Depth=1
	v_mov_b32_e32 v8, 0xffff
	v_mov_b32_e32 v13, v9
	;; [unrolled: 1-line block ×3, first 2 shown]
	s_mov_b32 s20, exec_lo
	v_and_b32_sdwa v8, v8, v32 dst_sel:DWORD dst_unused:UNUSED_PAD src0_sel:DWORD src1_sel:BYTE_1
	v_mov_b32_e32 v17, v13
	v_and_b32_e32 v11, 0x7f, v8
	v_cmpx_ne_u32_e32 0x7f, v11
	s_cbranch_execz .LBB189_1556
; %bb.1553:                             ;   in Loop: Header=BB189_1065 Depth=1
	v_and_b32_e32 v8, 7, v8
	v_lshrrev_b32_e32 v10, 3, v11
	s_mov_b32 s21, exec_lo
	v_cmpx_gt_u32_e32 8, v11
; %bb.1554:                             ;   in Loop: Header=BB189_1065 Depth=1
	v_ffbh_u32_e32 v10, v8
	v_min_u32_e32 v10, 32, v10
	v_subrev_nc_u32_e32 v11, 28, v10
	v_sub_nc_u32_e32 v10, 29, v10
	v_lshlrev_b64 v[17:18], v11, v[8:9]
	v_and_b32_e32 v8, 7, v17
; %bb.1555:                             ;   in Loop: Header=BB189_1065 Depth=1
	s_or_b32 exec_lo, exec_lo, s21
	v_lshlrev_b32_e32 v11, 16, v32
	v_lshlrev_b32_e32 v8, 20, v8
	v_lshl_add_u32 v10, v10, 23, 0x3c000000
	v_mov_b32_e32 v17, v9
	v_and_b32_e32 v11, 0x80000000, v11
	v_or3_b32 v18, v8, v11, v10
.LBB189_1556:                           ;   in Loop: Header=BB189_1065 Depth=1
	s_or_b32 exec_lo, exec_lo, s20
.LBB189_1557:                           ;   in Loop: Header=BB189_1065 Depth=1
	s_or_b32 exec_lo, exec_lo, s17
.LBB189_1558:                           ;   in Loop: Header=BB189_1065 Depth=1
	s_or_b32 exec_lo, exec_lo, s15
	v_mov_b32_e32 v10, 0
	v_mov_b32_e32 v21, 0
	v_and_b32_sdwa v8, v32, v100 dst_sel:DWORD dst_unused:UNUSED_PAD src0_sel:WORD_1 src1_sel:DWORD
	v_mov_b32_e32 v11, 0
	v_mov_b32_e32 v22, 0
	s_mov_b32 s15, exec_lo
	v_cmpx_ne_u16_e32 0, v8
	s_cbranch_execz .LBB189_1566
; %bb.1559:                             ;   in Loop: Header=BB189_1065 Depth=1
	v_bfrev_b32_e32 v21, 1
	v_mov_b32_e32 v22, 0
	s_mov_b32 s17, exec_lo
	v_cmpx_ne_u16_e32 0x80, v8
	s_cbranch_execz .LBB189_1565
; %bb.1560:                             ;   in Loop: Header=BB189_1065 Depth=1
	v_mov_b32_e32 v21, 0x7f800001
	v_bfe_u32 v33, v32, 16, 7
	v_mov_b32_e32 v22, 0
	s_mov_b32 s20, exec_lo
	v_cmpx_ne_u32_e32 0x7f, v33
	s_cbranch_execz .LBB189_1564
; %bb.1561:                             ;   in Loop: Header=BB189_1065 Depth=1
	v_mov_b32_e32 v8, 7
	v_lshrrev_b32_e32 v13, 3, v33
	s_mov_b32 s21, exec_lo
	v_and_b32_sdwa v8, v32, v8 dst_sel:DWORD dst_unused:UNUSED_PAD src0_sel:WORD_1 src1_sel:DWORD
	v_cmpx_gt_u32_e32 8, v33
; %bb.1562:                             ;   in Loop: Header=BB189_1065 Depth=1
	v_ffbh_u32_e32 v13, v8
	v_min_u32_e32 v13, 32, v13
	v_subrev_nc_u32_e32 v21, 28, v13
	v_sub_nc_u32_e32 v13, 29, v13
	v_lshlrev_b64 v[21:22], v21, v[8:9]
	v_and_b32_e32 v8, 7, v21
; %bb.1563:                             ;   in Loop: Header=BB189_1065 Depth=1
	s_or_b32 exec_lo, exec_lo, s21
	v_mov_b32_e32 v21, 24
	v_lshlrev_b32_e32 v8, 20, v8
	v_lshl_add_u32 v13, v13, 23, 0x3c000000
	v_lshlrev_b32_sdwa v21, v21, v32 dst_sel:DWORD dst_unused:UNUSED_PAD src0_sel:DWORD src1_sel:WORD_1
	v_and_b32_e32 v21, 0x80000000, v21
	v_or3_b32 v8, v8, v21, v13
	v_mov_b32_e32 v22, v9
	v_mov_b32_e32 v21, v8
.LBB189_1564:                           ;   in Loop: Header=BB189_1065 Depth=1
	s_or_b32 exec_lo, exec_lo, s20
.LBB189_1565:                           ;   in Loop: Header=BB189_1065 Depth=1
	s_or_b32 exec_lo, exec_lo, s17
.LBB189_1566:                           ;   in Loop: Header=BB189_1065 Depth=1
	s_or_b32 exec_lo, exec_lo, s15
	s_mov_b32 s15, exec_lo
	v_cmpx_lt_u32_e32 0xffffff, v32
	s_cbranch_execz .LBB189_1574
; %bb.1567:                             ;   in Loop: Header=BB189_1065 Depth=1
	v_mov_b32_e32 v11, v9
	v_cmp_ne_u32_sdwa s4, v32, v98 src0_sel:BYTE_3 src1_sel:DWORD
	v_mov_b32_e32 v10, v11
	v_mov_b32_e32 v11, v12
	s_and_saveexec_b32 s17, s4
	s_cbranch_execz .LBB189_1573
; %bb.1568:                             ;   in Loop: Header=BB189_1065 Depth=1
	v_mov_b32_e32 v13, v9
	v_bfe_u32 v33, v32, 24, 7
	s_mov_b32 s20, exec_lo
	v_mov_b32_e32 v10, v13
	v_mov_b32_e32 v11, v14
	v_cmpx_ne_u32_e32 0x7f, v33
	s_cbranch_execz .LBB189_1572
; %bb.1569:                             ;   in Loop: Header=BB189_1065 Depth=1
	v_mov_b32_e32 v8, 7
	v_lshrrev_b32_e32 v10, 3, v33
	s_mov_b32 s21, exec_lo
	v_and_b32_sdwa v8, v32, v8 dst_sel:DWORD dst_unused:UNUSED_PAD src0_sel:BYTE_3 src1_sel:DWORD
	v_cmpx_gt_u32_e32 8, v33
; %bb.1570:                             ;   in Loop: Header=BB189_1065 Depth=1
	v_ffbh_u32_e32 v10, v8
	v_min_u32_e32 v10, 32, v10
	v_subrev_nc_u32_e32 v11, 28, v10
	v_sub_nc_u32_e32 v10, 29, v10
	v_lshlrev_b64 v[33:34], v11, v[8:9]
	v_and_b32_e32 v8, 7, v33
; %bb.1571:                             ;   in Loop: Header=BB189_1065 Depth=1
	s_or_b32 exec_lo, exec_lo, s21
	v_mov_b32_e32 v11, 24
	v_lshlrev_b32_e32 v8, 20, v8
	v_lshl_add_u32 v10, v10, 23, 0x3c000000
	v_lshlrev_b32_sdwa v11, v11, v32 dst_sel:DWORD dst_unused:UNUSED_PAD src0_sel:DWORD src1_sel:BYTE_3
	v_and_b32_e32 v11, 0x80000000, v11
	v_or3_b32 v11, v8, v11, v10
	v_mov_b32_e32 v10, v9
.LBB189_1572:                           ;   in Loop: Header=BB189_1065 Depth=1
	s_or_b32 exec_lo, exec_lo, s20
.LBB189_1573:                           ;   in Loop: Header=BB189_1065 Depth=1
	s_or_b32 exec_lo, exec_lo, s17
.LBB189_1574:                           ;   in Loop: Header=BB189_1065 Depth=1
	s_or_b32 exec_lo, exec_lo, s15
	v_or_b32_e32 v8, v18, v16
	v_or_b32_e32 v13, v17, v15
	;; [unrolled: 1-line block ×4, first 2 shown]
	v_mul_f32_e32 v34, v117, v8
	v_mul_f32_e32 v33, v117, v13
	;; [unrolled: 1-line block ×4, first 2 shown]
	s_and_saveexec_b32 s15, vcc_lo
	s_cbranch_execz .LBB189_1576
; %bb.1575:                             ;   in Loop: Header=BB189_1065 Depth=1
	v_cmp_lt_i32_e64 s4, v26, v119
	v_cndmask_b32_e64 v33, 0, v33, s4
	v_cmp_lt_i32_e64 s4, v42, v119
	v_cndmask_b32_e64 v34, 0, v34, s4
	;; [unrolled: 2-line block ×4, first 2 shown]
.LBB189_1576:                           ;   in Loop: Header=BB189_1065 Depth=1
	s_or_b32 exec_lo, exec_lo, s15
	flat_load_dword v35, v[0:1] offset:1920
	v_mov_b32_e32 v17, 0
	v_mov_b32_e32 v15, 0
	;; [unrolled: 1-line block ×4, first 2 shown]
	s_waitcnt vmcnt(0) lgkmcnt(0)
	v_cmp_ne_u16_sdwa s4, v35, v9 src0_sel:BYTE_0 src1_sel:DWORD
	s_and_saveexec_b32 s15, s4
	s_cbranch_execz .LBB189_1584
; %bb.1577:                             ;   in Loop: Header=BB189_1065 Depth=1
	v_bfrev_b32_e32 v15, 1
	v_mov_b32_e32 v16, 0
	v_cmp_ne_u16_sdwa s4, v35, v98 src0_sel:BYTE_0 src1_sel:DWORD
	s_and_saveexec_b32 s17, s4
	s_cbranch_execz .LBB189_1583
; %bb.1578:                             ;   in Loop: Header=BB189_1065 Depth=1
	v_mov_b32_e32 v15, 0x7f800001
	v_and_b32_e32 v11, 0x7f, v35
	v_mov_b32_e32 v16, 0
	s_mov_b32 s20, exec_lo
	v_cmpx_ne_u32_e32 0x7f, v11
	s_cbranch_execz .LBB189_1582
; %bb.1579:                             ;   in Loop: Header=BB189_1065 Depth=1
	v_and_b32_e32 v8, 7, v35
	v_lshrrev_b32_e32 v10, 3, v11
	s_mov_b32 s21, exec_lo
	v_cmpx_gt_u32_e32 8, v11
; %bb.1580:                             ;   in Loop: Header=BB189_1065 Depth=1
	v_ffbh_u32_e32 v10, v8
	v_min_u32_e32 v10, 32, v10
	v_subrev_nc_u32_e32 v11, 28, v10
	v_sub_nc_u32_e32 v10, 29, v10
	v_lshlrev_b64 v[15:16], v11, v[8:9]
	v_and_b32_e32 v8, 7, v15
; %bb.1581:                             ;   in Loop: Header=BB189_1065 Depth=1
	s_or_b32 exec_lo, exec_lo, s21
	v_lshlrev_b32_e32 v11, 24, v35
	v_lshlrev_b32_e32 v8, 20, v8
	v_lshl_add_u32 v10, v10, 23, 0x3c000000
	v_and_b32_e32 v11, 0x80000000, v11
	v_or3_b32 v8, v8, v11, v10
	v_mov_b32_e32 v16, v9
	v_mov_b32_e32 v15, v8
.LBB189_1582:                           ;   in Loop: Header=BB189_1065 Depth=1
	s_or_b32 exec_lo, exec_lo, s20
.LBB189_1583:                           ;   in Loop: Header=BB189_1065 Depth=1
	s_or_b32 exec_lo, exec_lo, s17
.LBB189_1584:                           ;   in Loop: Header=BB189_1065 Depth=1
	s_or_b32 exec_lo, exec_lo, s15
	v_cmp_ne_u16_sdwa s4, v35, v9 src0_sel:BYTE_1 src1_sel:DWORD
	s_and_saveexec_b32 s15, s4
	s_cbranch_execz .LBB189_1592
; %bb.1585:                             ;   in Loop: Header=BB189_1065 Depth=1
	v_mov_b32_e32 v11, v9
	v_mov_b32_e32 v18, v12
	v_cmp_ne_u16_sdwa s4, v35, v98 src0_sel:BYTE_1 src1_sel:DWORD
	v_mov_b32_e32 v17, v11
	s_and_saveexec_b32 s17, s4
	s_cbranch_execz .LBB189_1591
; %bb.1586:                             ;   in Loop: Header=BB189_1065 Depth=1
	v_mov_b32_e32 v8, 0xffff
	v_mov_b32_e32 v13, v9
	;; [unrolled: 1-line block ×3, first 2 shown]
	s_mov_b32 s20, exec_lo
	v_and_b32_sdwa v8, v8, v35 dst_sel:DWORD dst_unused:UNUSED_PAD src0_sel:DWORD src1_sel:BYTE_1
	v_mov_b32_e32 v17, v13
	v_and_b32_e32 v11, 0x7f, v8
	v_cmpx_ne_u32_e32 0x7f, v11
	s_cbranch_execz .LBB189_1590
; %bb.1587:                             ;   in Loop: Header=BB189_1065 Depth=1
	v_and_b32_e32 v8, 7, v8
	v_lshrrev_b32_e32 v10, 3, v11
	s_mov_b32 s21, exec_lo
	v_cmpx_gt_u32_e32 8, v11
; %bb.1588:                             ;   in Loop: Header=BB189_1065 Depth=1
	v_ffbh_u32_e32 v10, v8
	v_min_u32_e32 v10, 32, v10
	v_subrev_nc_u32_e32 v11, 28, v10
	v_sub_nc_u32_e32 v10, 29, v10
	v_lshlrev_b64 v[17:18], v11, v[8:9]
	v_and_b32_e32 v8, 7, v17
; %bb.1589:                             ;   in Loop: Header=BB189_1065 Depth=1
	s_or_b32 exec_lo, exec_lo, s21
	v_lshlrev_b32_e32 v11, 16, v35
	v_lshlrev_b32_e32 v8, 20, v8
	v_lshl_add_u32 v10, v10, 23, 0x3c000000
	v_mov_b32_e32 v17, v9
	v_and_b32_e32 v11, 0x80000000, v11
	v_or3_b32 v18, v8, v11, v10
.LBB189_1590:                           ;   in Loop: Header=BB189_1065 Depth=1
	s_or_b32 exec_lo, exec_lo, s20
.LBB189_1591:                           ;   in Loop: Header=BB189_1065 Depth=1
	s_or_b32 exec_lo, exec_lo, s17
.LBB189_1592:                           ;   in Loop: Header=BB189_1065 Depth=1
	s_or_b32 exec_lo, exec_lo, s15
	v_mov_b32_e32 v10, 0
	v_mov_b32_e32 v21, 0
	v_and_b32_sdwa v8, v35, v100 dst_sel:DWORD dst_unused:UNUSED_PAD src0_sel:WORD_1 src1_sel:DWORD
	v_mov_b32_e32 v11, 0
	v_mov_b32_e32 v22, 0
	s_mov_b32 s15, exec_lo
	v_cmpx_ne_u16_e32 0, v8
	s_cbranch_execz .LBB189_1600
; %bb.1593:                             ;   in Loop: Header=BB189_1065 Depth=1
	v_bfrev_b32_e32 v21, 1
	v_mov_b32_e32 v22, 0
	s_mov_b32 s17, exec_lo
	v_cmpx_ne_u16_e32 0x80, v8
	s_cbranch_execz .LBB189_1599
; %bb.1594:                             ;   in Loop: Header=BB189_1065 Depth=1
	v_mov_b32_e32 v21, 0x7f800001
	v_bfe_u32 v36, v35, 16, 7
	v_mov_b32_e32 v22, 0
	s_mov_b32 s20, exec_lo
	v_cmpx_ne_u32_e32 0x7f, v36
	s_cbranch_execz .LBB189_1598
; %bb.1595:                             ;   in Loop: Header=BB189_1065 Depth=1
	v_mov_b32_e32 v8, 7
	v_lshrrev_b32_e32 v13, 3, v36
	s_mov_b32 s21, exec_lo
	v_and_b32_sdwa v8, v35, v8 dst_sel:DWORD dst_unused:UNUSED_PAD src0_sel:WORD_1 src1_sel:DWORD
	v_cmpx_gt_u32_e32 8, v36
; %bb.1596:                             ;   in Loop: Header=BB189_1065 Depth=1
	v_ffbh_u32_e32 v13, v8
	v_min_u32_e32 v13, 32, v13
	v_subrev_nc_u32_e32 v21, 28, v13
	v_sub_nc_u32_e32 v13, 29, v13
	v_lshlrev_b64 v[21:22], v21, v[8:9]
	v_and_b32_e32 v8, 7, v21
; %bb.1597:                             ;   in Loop: Header=BB189_1065 Depth=1
	s_or_b32 exec_lo, exec_lo, s21
	v_mov_b32_e32 v21, 24
	v_lshlrev_b32_e32 v8, 20, v8
	v_lshl_add_u32 v13, v13, 23, 0x3c000000
	v_lshlrev_b32_sdwa v21, v21, v35 dst_sel:DWORD dst_unused:UNUSED_PAD src0_sel:DWORD src1_sel:WORD_1
	v_and_b32_e32 v21, 0x80000000, v21
	v_or3_b32 v8, v8, v21, v13
	v_mov_b32_e32 v22, v9
	v_mov_b32_e32 v21, v8
.LBB189_1598:                           ;   in Loop: Header=BB189_1065 Depth=1
	s_or_b32 exec_lo, exec_lo, s20
.LBB189_1599:                           ;   in Loop: Header=BB189_1065 Depth=1
	s_or_b32 exec_lo, exec_lo, s17
.LBB189_1600:                           ;   in Loop: Header=BB189_1065 Depth=1
	s_or_b32 exec_lo, exec_lo, s15
	s_mov_b32 s15, exec_lo
	v_cmpx_lt_u32_e32 0xffffff, v35
	s_cbranch_execz .LBB189_1608
; %bb.1601:                             ;   in Loop: Header=BB189_1065 Depth=1
	v_mov_b32_e32 v11, v9
	v_cmp_ne_u32_sdwa s4, v35, v98 src0_sel:BYTE_3 src1_sel:DWORD
	v_mov_b32_e32 v10, v11
	v_mov_b32_e32 v11, v12
	s_and_saveexec_b32 s17, s4
	s_cbranch_execz .LBB189_1607
; %bb.1602:                             ;   in Loop: Header=BB189_1065 Depth=1
	v_mov_b32_e32 v13, v9
	v_bfe_u32 v36, v35, 24, 7
	s_mov_b32 s20, exec_lo
	v_mov_b32_e32 v10, v13
	v_mov_b32_e32 v11, v14
	v_cmpx_ne_u32_e32 0x7f, v36
	s_cbranch_execz .LBB189_1606
; %bb.1603:                             ;   in Loop: Header=BB189_1065 Depth=1
	v_mov_b32_e32 v8, 7
	v_lshrrev_b32_e32 v10, 3, v36
	s_mov_b32 s21, exec_lo
	v_and_b32_sdwa v8, v35, v8 dst_sel:DWORD dst_unused:UNUSED_PAD src0_sel:BYTE_3 src1_sel:DWORD
	v_cmpx_gt_u32_e32 8, v36
; %bb.1604:                             ;   in Loop: Header=BB189_1065 Depth=1
	v_ffbh_u32_e32 v10, v8
	v_min_u32_e32 v10, 32, v10
	v_subrev_nc_u32_e32 v11, 28, v10
	v_sub_nc_u32_e32 v10, 29, v10
	v_lshlrev_b64 v[36:37], v11, v[8:9]
	v_and_b32_e32 v8, 7, v36
; %bb.1605:                             ;   in Loop: Header=BB189_1065 Depth=1
	s_or_b32 exec_lo, exec_lo, s21
	v_mov_b32_e32 v11, 24
	v_lshlrev_b32_e32 v8, 20, v8
	v_lshl_add_u32 v10, v10, 23, 0x3c000000
	v_lshlrev_b32_sdwa v11, v11, v35 dst_sel:DWORD dst_unused:UNUSED_PAD src0_sel:DWORD src1_sel:BYTE_3
	v_and_b32_e32 v11, 0x80000000, v11
	v_or3_b32 v11, v8, v11, v10
	v_mov_b32_e32 v10, v9
.LBB189_1606:                           ;   in Loop: Header=BB189_1065 Depth=1
	s_or_b32 exec_lo, exec_lo, s20
.LBB189_1607:                           ;   in Loop: Header=BB189_1065 Depth=1
	s_or_b32 exec_lo, exec_lo, s17
.LBB189_1608:                           ;   in Loop: Header=BB189_1065 Depth=1
	s_or_b32 exec_lo, exec_lo, s15
	v_or_b32_e32 v8, v18, v16
	v_or_b32_e32 v13, v17, v15
	;; [unrolled: 1-line block ×4, first 2 shown]
	v_mul_f32_e32 v38, v117, v8
	v_mul_f32_e32 v37, v117, v13
	;; [unrolled: 1-line block ×4, first 2 shown]
	s_and_saveexec_b32 s15, vcc_lo
	s_cbranch_execz .LBB189_1610
; %bb.1609:                             ;   in Loop: Header=BB189_1065 Depth=1
	v_cmp_lt_i32_e64 s4, v26, v119
	v_cndmask_b32_e64 v37, 0, v37, s4
	v_cmp_lt_i32_e64 s4, v42, v119
	v_cndmask_b32_e64 v38, 0, v38, s4
	;; [unrolled: 2-line block ×4, first 2 shown]
.LBB189_1610:                           ;   in Loop: Header=BB189_1065 Depth=1
	s_or_b32 exec_lo, exec_lo, s15
	v_add_co_u32 v0, s4, 0x800, v0
	v_add_co_ci_u32_e64 v1, null, 0, v1, s4
	v_mov_b32_e32 v17, 0
	v_mov_b32_e32 v15, 0
	;; [unrolled: 1-line block ×3, first 2 shown]
	flat_load_dword v39, v[0:1]
	v_mov_b32_e32 v16, 0
	s_waitcnt vmcnt(0) lgkmcnt(0)
	v_cmp_ne_u16_sdwa s4, v39, v9 src0_sel:BYTE_0 src1_sel:DWORD
	s_and_saveexec_b32 s15, s4
	s_cbranch_execz .LBB189_1618
; %bb.1611:                             ;   in Loop: Header=BB189_1065 Depth=1
	v_bfrev_b32_e32 v15, 1
	v_mov_b32_e32 v16, 0
	v_cmp_ne_u16_sdwa s4, v39, v98 src0_sel:BYTE_0 src1_sel:DWORD
	s_and_saveexec_b32 s17, s4
	s_cbranch_execz .LBB189_1617
; %bb.1612:                             ;   in Loop: Header=BB189_1065 Depth=1
	v_mov_b32_e32 v15, 0x7f800001
	v_and_b32_e32 v11, 0x7f, v39
	v_mov_b32_e32 v16, 0
	s_mov_b32 s20, exec_lo
	v_cmpx_ne_u32_e32 0x7f, v11
	s_cbranch_execz .LBB189_1616
; %bb.1613:                             ;   in Loop: Header=BB189_1065 Depth=1
	v_and_b32_e32 v8, 7, v39
	v_lshrrev_b32_e32 v10, 3, v11
	s_mov_b32 s21, exec_lo
	v_cmpx_gt_u32_e32 8, v11
; %bb.1614:                             ;   in Loop: Header=BB189_1065 Depth=1
	v_ffbh_u32_e32 v10, v8
	v_min_u32_e32 v10, 32, v10
	v_subrev_nc_u32_e32 v11, 28, v10
	v_sub_nc_u32_e32 v10, 29, v10
	v_lshlrev_b64 v[15:16], v11, v[8:9]
	v_and_b32_e32 v8, 7, v15
; %bb.1615:                             ;   in Loop: Header=BB189_1065 Depth=1
	s_or_b32 exec_lo, exec_lo, s21
	v_lshlrev_b32_e32 v11, 24, v39
	v_lshlrev_b32_e32 v8, 20, v8
	v_lshl_add_u32 v10, v10, 23, 0x3c000000
	v_and_b32_e32 v11, 0x80000000, v11
	v_or3_b32 v8, v8, v11, v10
	v_mov_b32_e32 v16, v9
	v_mov_b32_e32 v15, v8
.LBB189_1616:                           ;   in Loop: Header=BB189_1065 Depth=1
	s_or_b32 exec_lo, exec_lo, s20
.LBB189_1617:                           ;   in Loop: Header=BB189_1065 Depth=1
	s_or_b32 exec_lo, exec_lo, s17
.LBB189_1618:                           ;   in Loop: Header=BB189_1065 Depth=1
	s_or_b32 exec_lo, exec_lo, s15
	v_cmp_ne_u16_sdwa s4, v39, v9 src0_sel:BYTE_1 src1_sel:DWORD
	s_and_saveexec_b32 s15, s4
	s_cbranch_execz .LBB189_1626
; %bb.1619:                             ;   in Loop: Header=BB189_1065 Depth=1
	v_mov_b32_e32 v11, v9
	v_mov_b32_e32 v18, v12
	v_cmp_ne_u16_sdwa s4, v39, v98 src0_sel:BYTE_1 src1_sel:DWORD
	v_mov_b32_e32 v17, v11
	s_and_saveexec_b32 s17, s4
	s_cbranch_execz .LBB189_1625
; %bb.1620:                             ;   in Loop: Header=BB189_1065 Depth=1
	v_mov_b32_e32 v8, 0xffff
	v_mov_b32_e32 v13, v9
	;; [unrolled: 1-line block ×3, first 2 shown]
	s_mov_b32 s20, exec_lo
	v_and_b32_sdwa v8, v8, v39 dst_sel:DWORD dst_unused:UNUSED_PAD src0_sel:DWORD src1_sel:BYTE_1
	v_mov_b32_e32 v17, v13
	v_and_b32_e32 v11, 0x7f, v8
	v_cmpx_ne_u32_e32 0x7f, v11
	s_cbranch_execz .LBB189_1624
; %bb.1621:                             ;   in Loop: Header=BB189_1065 Depth=1
	v_and_b32_e32 v8, 7, v8
	v_lshrrev_b32_e32 v10, 3, v11
	s_mov_b32 s21, exec_lo
	v_cmpx_gt_u32_e32 8, v11
; %bb.1622:                             ;   in Loop: Header=BB189_1065 Depth=1
	v_ffbh_u32_e32 v10, v8
	v_min_u32_e32 v10, 32, v10
	v_subrev_nc_u32_e32 v11, 28, v10
	v_sub_nc_u32_e32 v10, 29, v10
	v_lshlrev_b64 v[17:18], v11, v[8:9]
	v_and_b32_e32 v8, 7, v17
; %bb.1623:                             ;   in Loop: Header=BB189_1065 Depth=1
	s_or_b32 exec_lo, exec_lo, s21
	v_lshlrev_b32_e32 v11, 16, v39
	v_lshlrev_b32_e32 v8, 20, v8
	v_lshl_add_u32 v10, v10, 23, 0x3c000000
	v_mov_b32_e32 v17, v9
	v_and_b32_e32 v11, 0x80000000, v11
	v_or3_b32 v18, v8, v11, v10
.LBB189_1624:                           ;   in Loop: Header=BB189_1065 Depth=1
	s_or_b32 exec_lo, exec_lo, s20
.LBB189_1625:                           ;   in Loop: Header=BB189_1065 Depth=1
	s_or_b32 exec_lo, exec_lo, s17
.LBB189_1626:                           ;   in Loop: Header=BB189_1065 Depth=1
	s_or_b32 exec_lo, exec_lo, s15
	v_mov_b32_e32 v10, 0
	v_mov_b32_e32 v21, 0
	v_and_b32_sdwa v8, v39, v100 dst_sel:DWORD dst_unused:UNUSED_PAD src0_sel:WORD_1 src1_sel:DWORD
	v_mov_b32_e32 v11, 0
	v_mov_b32_e32 v22, 0
	s_mov_b32 s15, exec_lo
	v_cmpx_ne_u16_e32 0, v8
	s_cbranch_execz .LBB189_1634
; %bb.1627:                             ;   in Loop: Header=BB189_1065 Depth=1
	v_bfrev_b32_e32 v21, 1
	v_mov_b32_e32 v22, 0
	s_mov_b32 s17, exec_lo
	v_cmpx_ne_u16_e32 0x80, v8
	s_cbranch_execz .LBB189_1633
; %bb.1628:                             ;   in Loop: Header=BB189_1065 Depth=1
	v_mov_b32_e32 v21, 0x7f800001
	v_bfe_u32 v48, v39, 16, 7
	v_mov_b32_e32 v22, 0
	s_mov_b32 s20, exec_lo
	v_cmpx_ne_u32_e32 0x7f, v48
	s_cbranch_execz .LBB189_1632
; %bb.1629:                             ;   in Loop: Header=BB189_1065 Depth=1
	v_mov_b32_e32 v8, 7
	v_lshrrev_b32_e32 v13, 3, v48
	s_mov_b32 s21, exec_lo
	v_and_b32_sdwa v8, v39, v8 dst_sel:DWORD dst_unused:UNUSED_PAD src0_sel:WORD_1 src1_sel:DWORD
	v_cmpx_gt_u32_e32 8, v48
; %bb.1630:                             ;   in Loop: Header=BB189_1065 Depth=1
	v_ffbh_u32_e32 v13, v8
	v_min_u32_e32 v13, 32, v13
	v_subrev_nc_u32_e32 v21, 28, v13
	v_sub_nc_u32_e32 v13, 29, v13
	v_lshlrev_b64 v[21:22], v21, v[8:9]
	v_and_b32_e32 v8, 7, v21
; %bb.1631:                             ;   in Loop: Header=BB189_1065 Depth=1
	s_or_b32 exec_lo, exec_lo, s21
	v_mov_b32_e32 v21, 24
	v_lshlrev_b32_e32 v8, 20, v8
	v_lshl_add_u32 v13, v13, 23, 0x3c000000
	v_lshlrev_b32_sdwa v21, v21, v39 dst_sel:DWORD dst_unused:UNUSED_PAD src0_sel:DWORD src1_sel:WORD_1
	v_and_b32_e32 v21, 0x80000000, v21
	v_or3_b32 v8, v8, v21, v13
	v_mov_b32_e32 v22, v9
	v_mov_b32_e32 v21, v8
.LBB189_1632:                           ;   in Loop: Header=BB189_1065 Depth=1
	s_or_b32 exec_lo, exec_lo, s20
.LBB189_1633:                           ;   in Loop: Header=BB189_1065 Depth=1
	s_or_b32 exec_lo, exec_lo, s17
.LBB189_1634:                           ;   in Loop: Header=BB189_1065 Depth=1
	s_or_b32 exec_lo, exec_lo, s15
	s_mov_b32 s15, exec_lo
	v_cmpx_lt_u32_e32 0xffffff, v39
	s_cbranch_execz .LBB189_1642
; %bb.1635:                             ;   in Loop: Header=BB189_1065 Depth=1
	v_mov_b32_e32 v11, v9
	v_cmp_ne_u32_sdwa s4, v39, v98 src0_sel:BYTE_3 src1_sel:DWORD
	v_mov_b32_e32 v10, v11
	v_mov_b32_e32 v11, v12
	s_and_saveexec_b32 s17, s4
	s_cbranch_execz .LBB189_1641
; %bb.1636:                             ;   in Loop: Header=BB189_1065 Depth=1
	v_mov_b32_e32 v13, v9
	v_bfe_u32 v48, v39, 24, 7
	s_mov_b32 s20, exec_lo
	v_mov_b32_e32 v10, v13
	v_mov_b32_e32 v11, v14
	v_cmpx_ne_u32_e32 0x7f, v48
	s_cbranch_execz .LBB189_1640
; %bb.1637:                             ;   in Loop: Header=BB189_1065 Depth=1
	v_mov_b32_e32 v8, 7
	v_lshrrev_b32_e32 v10, 3, v48
	s_mov_b32 s21, exec_lo
	v_and_b32_sdwa v8, v39, v8 dst_sel:DWORD dst_unused:UNUSED_PAD src0_sel:BYTE_3 src1_sel:DWORD
	v_cmpx_gt_u32_e32 8, v48
; %bb.1638:                             ;   in Loop: Header=BB189_1065 Depth=1
	v_ffbh_u32_e32 v10, v8
	v_min_u32_e32 v10, 32, v10
	v_subrev_nc_u32_e32 v11, 28, v10
	v_sub_nc_u32_e32 v10, 29, v10
	v_lshlrev_b64 v[48:49], v11, v[8:9]
	v_and_b32_e32 v8, 7, v48
; %bb.1639:                             ;   in Loop: Header=BB189_1065 Depth=1
	s_or_b32 exec_lo, exec_lo, s21
	v_mov_b32_e32 v11, 24
	v_lshlrev_b32_e32 v8, 20, v8
	v_lshl_add_u32 v10, v10, 23, 0x3c000000
	v_lshlrev_b32_sdwa v11, v11, v39 dst_sel:DWORD dst_unused:UNUSED_PAD src0_sel:DWORD src1_sel:BYTE_3
	v_and_b32_e32 v11, 0x80000000, v11
	v_or3_b32 v11, v8, v11, v10
	v_mov_b32_e32 v10, v9
.LBB189_1640:                           ;   in Loop: Header=BB189_1065 Depth=1
	s_or_b32 exec_lo, exec_lo, s20
.LBB189_1641:                           ;   in Loop: Header=BB189_1065 Depth=1
	s_or_b32 exec_lo, exec_lo, s17
.LBB189_1642:                           ;   in Loop: Header=BB189_1065 Depth=1
	s_or_b32 exec_lo, exec_lo, s15
	v_or_b32_e32 v8, v18, v16
	v_or_b32_e32 v13, v17, v15
	;; [unrolled: 1-line block ×4, first 2 shown]
	v_mul_f32_e32 v50, v117, v8
	v_mul_f32_e32 v49, v117, v13
	;; [unrolled: 1-line block ×4, first 2 shown]
	s_and_saveexec_b32 s15, vcc_lo
	s_cbranch_execz .LBB189_1644
; %bb.1643:                             ;   in Loop: Header=BB189_1065 Depth=1
	v_cmp_lt_i32_e64 s4, v26, v119
	v_cndmask_b32_e64 v49, 0, v49, s4
	v_cmp_lt_i32_e64 s4, v42, v119
	v_cndmask_b32_e64 v50, 0, v50, s4
	;; [unrolled: 2-line block ×4, first 2 shown]
.LBB189_1644:                           ;   in Loop: Header=BB189_1065 Depth=1
	s_or_b32 exec_lo, exec_lo, s15
	flat_load_dword v51, v[0:1] offset:128
	v_mov_b32_e32 v17, 0
	v_mov_b32_e32 v15, 0
	;; [unrolled: 1-line block ×4, first 2 shown]
	s_waitcnt vmcnt(0) lgkmcnt(0)
	v_cmp_ne_u16_sdwa s4, v51, v9 src0_sel:BYTE_0 src1_sel:DWORD
	s_and_saveexec_b32 s15, s4
	s_cbranch_execz .LBB189_1652
; %bb.1645:                             ;   in Loop: Header=BB189_1065 Depth=1
	v_bfrev_b32_e32 v15, 1
	v_mov_b32_e32 v16, 0
	v_cmp_ne_u16_sdwa s4, v51, v98 src0_sel:BYTE_0 src1_sel:DWORD
	s_and_saveexec_b32 s17, s4
	s_cbranch_execz .LBB189_1651
; %bb.1646:                             ;   in Loop: Header=BB189_1065 Depth=1
	v_mov_b32_e32 v15, 0x7f800001
	v_and_b32_e32 v11, 0x7f, v51
	v_mov_b32_e32 v16, 0
	s_mov_b32 s20, exec_lo
	v_cmpx_ne_u32_e32 0x7f, v11
	s_cbranch_execz .LBB189_1650
; %bb.1647:                             ;   in Loop: Header=BB189_1065 Depth=1
	v_and_b32_e32 v8, 7, v51
	v_lshrrev_b32_e32 v10, 3, v11
	s_mov_b32 s21, exec_lo
	v_cmpx_gt_u32_e32 8, v11
; %bb.1648:                             ;   in Loop: Header=BB189_1065 Depth=1
	v_ffbh_u32_e32 v10, v8
	v_min_u32_e32 v10, 32, v10
	v_subrev_nc_u32_e32 v11, 28, v10
	v_sub_nc_u32_e32 v10, 29, v10
	v_lshlrev_b64 v[15:16], v11, v[8:9]
	v_and_b32_e32 v8, 7, v15
; %bb.1649:                             ;   in Loop: Header=BB189_1065 Depth=1
	s_or_b32 exec_lo, exec_lo, s21
	v_lshlrev_b32_e32 v11, 24, v51
	v_lshlrev_b32_e32 v8, 20, v8
	v_lshl_add_u32 v10, v10, 23, 0x3c000000
	v_and_b32_e32 v11, 0x80000000, v11
	v_or3_b32 v8, v8, v11, v10
	v_mov_b32_e32 v16, v9
	v_mov_b32_e32 v15, v8
.LBB189_1650:                           ;   in Loop: Header=BB189_1065 Depth=1
	s_or_b32 exec_lo, exec_lo, s20
.LBB189_1651:                           ;   in Loop: Header=BB189_1065 Depth=1
	s_or_b32 exec_lo, exec_lo, s17
.LBB189_1652:                           ;   in Loop: Header=BB189_1065 Depth=1
	s_or_b32 exec_lo, exec_lo, s15
	v_cmp_ne_u16_sdwa s4, v51, v9 src0_sel:BYTE_1 src1_sel:DWORD
	s_and_saveexec_b32 s15, s4
	s_cbranch_execz .LBB189_1660
; %bb.1653:                             ;   in Loop: Header=BB189_1065 Depth=1
	v_mov_b32_e32 v11, v9
	v_mov_b32_e32 v18, v12
	v_cmp_ne_u16_sdwa s4, v51, v98 src0_sel:BYTE_1 src1_sel:DWORD
	v_mov_b32_e32 v17, v11
	s_and_saveexec_b32 s17, s4
	s_cbranch_execz .LBB189_1659
; %bb.1654:                             ;   in Loop: Header=BB189_1065 Depth=1
	v_mov_b32_e32 v8, 0xffff
	v_mov_b32_e32 v13, v9
	v_mov_b32_e32 v18, v14
	s_mov_b32 s20, exec_lo
	v_and_b32_sdwa v8, v8, v51 dst_sel:DWORD dst_unused:UNUSED_PAD src0_sel:DWORD src1_sel:BYTE_1
	v_mov_b32_e32 v17, v13
	v_and_b32_e32 v11, 0x7f, v8
	v_cmpx_ne_u32_e32 0x7f, v11
	s_cbranch_execz .LBB189_1658
; %bb.1655:                             ;   in Loop: Header=BB189_1065 Depth=1
	v_and_b32_e32 v8, 7, v8
	v_lshrrev_b32_e32 v10, 3, v11
	s_mov_b32 s21, exec_lo
	v_cmpx_gt_u32_e32 8, v11
; %bb.1656:                             ;   in Loop: Header=BB189_1065 Depth=1
	v_ffbh_u32_e32 v10, v8
	v_min_u32_e32 v10, 32, v10
	v_subrev_nc_u32_e32 v11, 28, v10
	v_sub_nc_u32_e32 v10, 29, v10
	v_lshlrev_b64 v[17:18], v11, v[8:9]
	v_and_b32_e32 v8, 7, v17
; %bb.1657:                             ;   in Loop: Header=BB189_1065 Depth=1
	s_or_b32 exec_lo, exec_lo, s21
	v_lshlrev_b32_e32 v11, 16, v51
	v_lshlrev_b32_e32 v8, 20, v8
	v_lshl_add_u32 v10, v10, 23, 0x3c000000
	v_mov_b32_e32 v17, v9
	v_and_b32_e32 v11, 0x80000000, v11
	v_or3_b32 v18, v8, v11, v10
.LBB189_1658:                           ;   in Loop: Header=BB189_1065 Depth=1
	s_or_b32 exec_lo, exec_lo, s20
.LBB189_1659:                           ;   in Loop: Header=BB189_1065 Depth=1
	s_or_b32 exec_lo, exec_lo, s17
.LBB189_1660:                           ;   in Loop: Header=BB189_1065 Depth=1
	s_or_b32 exec_lo, exec_lo, s15
	v_mov_b32_e32 v10, 0
	v_mov_b32_e32 v21, 0
	v_and_b32_sdwa v8, v51, v100 dst_sel:DWORD dst_unused:UNUSED_PAD src0_sel:WORD_1 src1_sel:DWORD
	v_mov_b32_e32 v11, 0
	v_mov_b32_e32 v22, 0
	s_mov_b32 s15, exec_lo
	v_cmpx_ne_u16_e32 0, v8
	s_cbranch_execz .LBB189_1668
; %bb.1661:                             ;   in Loop: Header=BB189_1065 Depth=1
	v_bfrev_b32_e32 v21, 1
	v_mov_b32_e32 v22, 0
	s_mov_b32 s17, exec_lo
	v_cmpx_ne_u16_e32 0x80, v8
	s_cbranch_execz .LBB189_1667
; %bb.1662:                             ;   in Loop: Header=BB189_1065 Depth=1
	v_mov_b32_e32 v21, 0x7f800001
	v_bfe_u32 v52, v51, 16, 7
	v_mov_b32_e32 v22, 0
	s_mov_b32 s20, exec_lo
	v_cmpx_ne_u32_e32 0x7f, v52
	s_cbranch_execz .LBB189_1666
; %bb.1663:                             ;   in Loop: Header=BB189_1065 Depth=1
	v_mov_b32_e32 v8, 7
	v_lshrrev_b32_e32 v13, 3, v52
	s_mov_b32 s21, exec_lo
	v_and_b32_sdwa v8, v51, v8 dst_sel:DWORD dst_unused:UNUSED_PAD src0_sel:WORD_1 src1_sel:DWORD
	v_cmpx_gt_u32_e32 8, v52
; %bb.1664:                             ;   in Loop: Header=BB189_1065 Depth=1
	v_ffbh_u32_e32 v13, v8
	v_min_u32_e32 v13, 32, v13
	v_subrev_nc_u32_e32 v21, 28, v13
	v_sub_nc_u32_e32 v13, 29, v13
	v_lshlrev_b64 v[21:22], v21, v[8:9]
	v_and_b32_e32 v8, 7, v21
; %bb.1665:                             ;   in Loop: Header=BB189_1065 Depth=1
	s_or_b32 exec_lo, exec_lo, s21
	v_mov_b32_e32 v21, 24
	v_lshlrev_b32_e32 v8, 20, v8
	v_lshl_add_u32 v13, v13, 23, 0x3c000000
	v_lshlrev_b32_sdwa v21, v21, v51 dst_sel:DWORD dst_unused:UNUSED_PAD src0_sel:DWORD src1_sel:WORD_1
	v_and_b32_e32 v21, 0x80000000, v21
	v_or3_b32 v8, v8, v21, v13
	v_mov_b32_e32 v22, v9
	v_mov_b32_e32 v21, v8
.LBB189_1666:                           ;   in Loop: Header=BB189_1065 Depth=1
	s_or_b32 exec_lo, exec_lo, s20
.LBB189_1667:                           ;   in Loop: Header=BB189_1065 Depth=1
	s_or_b32 exec_lo, exec_lo, s17
.LBB189_1668:                           ;   in Loop: Header=BB189_1065 Depth=1
	s_or_b32 exec_lo, exec_lo, s15
	s_mov_b32 s15, exec_lo
	v_cmpx_lt_u32_e32 0xffffff, v51
	s_cbranch_execz .LBB189_1676
; %bb.1669:                             ;   in Loop: Header=BB189_1065 Depth=1
	v_mov_b32_e32 v11, v9
	v_cmp_ne_u32_sdwa s4, v51, v98 src0_sel:BYTE_3 src1_sel:DWORD
	v_mov_b32_e32 v10, v11
	v_mov_b32_e32 v11, v12
	s_and_saveexec_b32 s17, s4
	s_cbranch_execz .LBB189_1675
; %bb.1670:                             ;   in Loop: Header=BB189_1065 Depth=1
	v_mov_b32_e32 v13, v9
	v_bfe_u32 v52, v51, 24, 7
	s_mov_b32 s20, exec_lo
	v_mov_b32_e32 v10, v13
	v_mov_b32_e32 v11, v14
	v_cmpx_ne_u32_e32 0x7f, v52
	s_cbranch_execz .LBB189_1674
; %bb.1671:                             ;   in Loop: Header=BB189_1065 Depth=1
	v_mov_b32_e32 v8, 7
	v_lshrrev_b32_e32 v10, 3, v52
	s_mov_b32 s21, exec_lo
	v_and_b32_sdwa v8, v51, v8 dst_sel:DWORD dst_unused:UNUSED_PAD src0_sel:BYTE_3 src1_sel:DWORD
	v_cmpx_gt_u32_e32 8, v52
; %bb.1672:                             ;   in Loop: Header=BB189_1065 Depth=1
	v_ffbh_u32_e32 v10, v8
	v_min_u32_e32 v10, 32, v10
	v_subrev_nc_u32_e32 v11, 28, v10
	v_sub_nc_u32_e32 v10, 29, v10
	v_lshlrev_b64 v[52:53], v11, v[8:9]
	v_and_b32_e32 v8, 7, v52
; %bb.1673:                             ;   in Loop: Header=BB189_1065 Depth=1
	s_or_b32 exec_lo, exec_lo, s21
	v_mov_b32_e32 v11, 24
	v_lshlrev_b32_e32 v8, 20, v8
	v_lshl_add_u32 v10, v10, 23, 0x3c000000
	v_lshlrev_b32_sdwa v11, v11, v51 dst_sel:DWORD dst_unused:UNUSED_PAD src0_sel:DWORD src1_sel:BYTE_3
	v_and_b32_e32 v11, 0x80000000, v11
	v_or3_b32 v11, v8, v11, v10
	v_mov_b32_e32 v10, v9
.LBB189_1674:                           ;   in Loop: Header=BB189_1065 Depth=1
	s_or_b32 exec_lo, exec_lo, s20
.LBB189_1675:                           ;   in Loop: Header=BB189_1065 Depth=1
	s_or_b32 exec_lo, exec_lo, s17
.LBB189_1676:                           ;   in Loop: Header=BB189_1065 Depth=1
	s_or_b32 exec_lo, exec_lo, s15
	v_or_b32_e32 v8, v18, v16
	v_or_b32_e32 v13, v17, v15
	;; [unrolled: 1-line block ×4, first 2 shown]
	v_mul_f32_e32 v54, v117, v8
	v_mul_f32_e32 v53, v117, v13
	;; [unrolled: 1-line block ×4, first 2 shown]
	s_and_saveexec_b32 s15, vcc_lo
	s_cbranch_execz .LBB189_1678
; %bb.1677:                             ;   in Loop: Header=BB189_1065 Depth=1
	v_cmp_lt_i32_e64 s4, v26, v119
	v_cndmask_b32_e64 v53, 0, v53, s4
	v_cmp_lt_i32_e64 s4, v42, v119
	v_cndmask_b32_e64 v54, 0, v54, s4
	;; [unrolled: 2-line block ×4, first 2 shown]
.LBB189_1678:                           ;   in Loop: Header=BB189_1065 Depth=1
	s_or_b32 exec_lo, exec_lo, s15
	flat_load_dword v55, v[0:1] offset:256
	v_mov_b32_e32 v17, 0
	v_mov_b32_e32 v15, 0
	;; [unrolled: 1-line block ×4, first 2 shown]
	s_waitcnt vmcnt(0) lgkmcnt(0)
	v_cmp_ne_u16_sdwa s4, v55, v9 src0_sel:BYTE_0 src1_sel:DWORD
	s_and_saveexec_b32 s15, s4
	s_cbranch_execz .LBB189_1686
; %bb.1679:                             ;   in Loop: Header=BB189_1065 Depth=1
	v_bfrev_b32_e32 v15, 1
	v_mov_b32_e32 v16, 0
	v_cmp_ne_u16_sdwa s4, v55, v98 src0_sel:BYTE_0 src1_sel:DWORD
	s_and_saveexec_b32 s17, s4
	s_cbranch_execz .LBB189_1685
; %bb.1680:                             ;   in Loop: Header=BB189_1065 Depth=1
	v_mov_b32_e32 v15, 0x7f800001
	v_and_b32_e32 v11, 0x7f, v55
	v_mov_b32_e32 v16, 0
	s_mov_b32 s20, exec_lo
	v_cmpx_ne_u32_e32 0x7f, v11
	s_cbranch_execz .LBB189_1684
; %bb.1681:                             ;   in Loop: Header=BB189_1065 Depth=1
	v_and_b32_e32 v8, 7, v55
	v_lshrrev_b32_e32 v10, 3, v11
	s_mov_b32 s21, exec_lo
	v_cmpx_gt_u32_e32 8, v11
; %bb.1682:                             ;   in Loop: Header=BB189_1065 Depth=1
	v_ffbh_u32_e32 v10, v8
	v_min_u32_e32 v10, 32, v10
	v_subrev_nc_u32_e32 v11, 28, v10
	v_sub_nc_u32_e32 v10, 29, v10
	v_lshlrev_b64 v[15:16], v11, v[8:9]
	v_and_b32_e32 v8, 7, v15
; %bb.1683:                             ;   in Loop: Header=BB189_1065 Depth=1
	s_or_b32 exec_lo, exec_lo, s21
	v_lshlrev_b32_e32 v11, 24, v55
	v_lshlrev_b32_e32 v8, 20, v8
	v_lshl_add_u32 v10, v10, 23, 0x3c000000
	v_and_b32_e32 v11, 0x80000000, v11
	v_or3_b32 v8, v8, v11, v10
	v_mov_b32_e32 v16, v9
	v_mov_b32_e32 v15, v8
.LBB189_1684:                           ;   in Loop: Header=BB189_1065 Depth=1
	s_or_b32 exec_lo, exec_lo, s20
.LBB189_1685:                           ;   in Loop: Header=BB189_1065 Depth=1
	s_or_b32 exec_lo, exec_lo, s17
.LBB189_1686:                           ;   in Loop: Header=BB189_1065 Depth=1
	s_or_b32 exec_lo, exec_lo, s15
	v_cmp_ne_u16_sdwa s4, v55, v9 src0_sel:BYTE_1 src1_sel:DWORD
	s_and_saveexec_b32 s15, s4
	s_cbranch_execz .LBB189_1694
; %bb.1687:                             ;   in Loop: Header=BB189_1065 Depth=1
	v_mov_b32_e32 v11, v9
	v_mov_b32_e32 v18, v12
	v_cmp_ne_u16_sdwa s4, v55, v98 src0_sel:BYTE_1 src1_sel:DWORD
	v_mov_b32_e32 v17, v11
	s_and_saveexec_b32 s17, s4
	s_cbranch_execz .LBB189_1693
; %bb.1688:                             ;   in Loop: Header=BB189_1065 Depth=1
	v_mov_b32_e32 v8, 0xffff
	v_mov_b32_e32 v13, v9
	;; [unrolled: 1-line block ×3, first 2 shown]
	s_mov_b32 s20, exec_lo
	v_and_b32_sdwa v8, v8, v55 dst_sel:DWORD dst_unused:UNUSED_PAD src0_sel:DWORD src1_sel:BYTE_1
	v_mov_b32_e32 v17, v13
	v_and_b32_e32 v11, 0x7f, v8
	v_cmpx_ne_u32_e32 0x7f, v11
	s_cbranch_execz .LBB189_1692
; %bb.1689:                             ;   in Loop: Header=BB189_1065 Depth=1
	v_and_b32_e32 v8, 7, v8
	v_lshrrev_b32_e32 v10, 3, v11
	s_mov_b32 s21, exec_lo
	v_cmpx_gt_u32_e32 8, v11
; %bb.1690:                             ;   in Loop: Header=BB189_1065 Depth=1
	v_ffbh_u32_e32 v10, v8
	v_min_u32_e32 v10, 32, v10
	v_subrev_nc_u32_e32 v11, 28, v10
	v_sub_nc_u32_e32 v10, 29, v10
	v_lshlrev_b64 v[17:18], v11, v[8:9]
	v_and_b32_e32 v8, 7, v17
; %bb.1691:                             ;   in Loop: Header=BB189_1065 Depth=1
	s_or_b32 exec_lo, exec_lo, s21
	v_lshlrev_b32_e32 v11, 16, v55
	v_lshlrev_b32_e32 v8, 20, v8
	v_lshl_add_u32 v10, v10, 23, 0x3c000000
	v_mov_b32_e32 v17, v9
	v_and_b32_e32 v11, 0x80000000, v11
	v_or3_b32 v18, v8, v11, v10
.LBB189_1692:                           ;   in Loop: Header=BB189_1065 Depth=1
	s_or_b32 exec_lo, exec_lo, s20
.LBB189_1693:                           ;   in Loop: Header=BB189_1065 Depth=1
	s_or_b32 exec_lo, exec_lo, s17
.LBB189_1694:                           ;   in Loop: Header=BB189_1065 Depth=1
	s_or_b32 exec_lo, exec_lo, s15
	v_mov_b32_e32 v10, 0
	v_mov_b32_e32 v21, 0
	v_and_b32_sdwa v8, v55, v100 dst_sel:DWORD dst_unused:UNUSED_PAD src0_sel:WORD_1 src1_sel:DWORD
	v_mov_b32_e32 v11, 0
	v_mov_b32_e32 v22, 0
	s_mov_b32 s15, exec_lo
	v_cmpx_ne_u16_e32 0, v8
	s_cbranch_execz .LBB189_1702
; %bb.1695:                             ;   in Loop: Header=BB189_1065 Depth=1
	v_bfrev_b32_e32 v21, 1
	v_mov_b32_e32 v22, 0
	s_mov_b32 s17, exec_lo
	v_cmpx_ne_u16_e32 0x80, v8
	s_cbranch_execz .LBB189_1701
; %bb.1696:                             ;   in Loop: Header=BB189_1065 Depth=1
	v_mov_b32_e32 v21, 0x7f800001
	v_bfe_u32 v64, v55, 16, 7
	v_mov_b32_e32 v22, 0
	s_mov_b32 s20, exec_lo
	v_cmpx_ne_u32_e32 0x7f, v64
	s_cbranch_execz .LBB189_1700
; %bb.1697:                             ;   in Loop: Header=BB189_1065 Depth=1
	v_mov_b32_e32 v8, 7
	v_lshrrev_b32_e32 v13, 3, v64
	s_mov_b32 s21, exec_lo
	v_and_b32_sdwa v8, v55, v8 dst_sel:DWORD dst_unused:UNUSED_PAD src0_sel:WORD_1 src1_sel:DWORD
	v_cmpx_gt_u32_e32 8, v64
; %bb.1698:                             ;   in Loop: Header=BB189_1065 Depth=1
	v_ffbh_u32_e32 v13, v8
	v_min_u32_e32 v13, 32, v13
	v_subrev_nc_u32_e32 v21, 28, v13
	v_sub_nc_u32_e32 v13, 29, v13
	v_lshlrev_b64 v[21:22], v21, v[8:9]
	v_and_b32_e32 v8, 7, v21
; %bb.1699:                             ;   in Loop: Header=BB189_1065 Depth=1
	s_or_b32 exec_lo, exec_lo, s21
	v_mov_b32_e32 v21, 24
	v_lshlrev_b32_e32 v8, 20, v8
	v_lshl_add_u32 v13, v13, 23, 0x3c000000
	v_lshlrev_b32_sdwa v21, v21, v55 dst_sel:DWORD dst_unused:UNUSED_PAD src0_sel:DWORD src1_sel:WORD_1
	v_and_b32_e32 v21, 0x80000000, v21
	v_or3_b32 v8, v8, v21, v13
	v_mov_b32_e32 v22, v9
	v_mov_b32_e32 v21, v8
.LBB189_1700:                           ;   in Loop: Header=BB189_1065 Depth=1
	s_or_b32 exec_lo, exec_lo, s20
.LBB189_1701:                           ;   in Loop: Header=BB189_1065 Depth=1
	s_or_b32 exec_lo, exec_lo, s17
.LBB189_1702:                           ;   in Loop: Header=BB189_1065 Depth=1
	s_or_b32 exec_lo, exec_lo, s15
	s_mov_b32 s15, exec_lo
	v_cmpx_lt_u32_e32 0xffffff, v55
	s_cbranch_execz .LBB189_1710
; %bb.1703:                             ;   in Loop: Header=BB189_1065 Depth=1
	v_mov_b32_e32 v11, v9
	v_cmp_ne_u32_sdwa s4, v55, v98 src0_sel:BYTE_3 src1_sel:DWORD
	v_mov_b32_e32 v10, v11
	v_mov_b32_e32 v11, v12
	s_and_saveexec_b32 s17, s4
	s_cbranch_execz .LBB189_1709
; %bb.1704:                             ;   in Loop: Header=BB189_1065 Depth=1
	v_mov_b32_e32 v13, v9
	v_bfe_u32 v64, v55, 24, 7
	s_mov_b32 s20, exec_lo
	v_mov_b32_e32 v10, v13
	v_mov_b32_e32 v11, v14
	v_cmpx_ne_u32_e32 0x7f, v64
	s_cbranch_execz .LBB189_1708
; %bb.1705:                             ;   in Loop: Header=BB189_1065 Depth=1
	v_mov_b32_e32 v8, 7
	v_lshrrev_b32_e32 v10, 3, v64
	s_mov_b32 s21, exec_lo
	v_and_b32_sdwa v8, v55, v8 dst_sel:DWORD dst_unused:UNUSED_PAD src0_sel:BYTE_3 src1_sel:DWORD
	v_cmpx_gt_u32_e32 8, v64
; %bb.1706:                             ;   in Loop: Header=BB189_1065 Depth=1
	v_ffbh_u32_e32 v10, v8
	v_min_u32_e32 v10, 32, v10
	v_subrev_nc_u32_e32 v11, 28, v10
	v_sub_nc_u32_e32 v10, 29, v10
	v_lshlrev_b64 v[64:65], v11, v[8:9]
	v_and_b32_e32 v8, 7, v64
; %bb.1707:                             ;   in Loop: Header=BB189_1065 Depth=1
	s_or_b32 exec_lo, exec_lo, s21
	v_mov_b32_e32 v11, 24
	v_lshlrev_b32_e32 v8, 20, v8
	v_lshl_add_u32 v10, v10, 23, 0x3c000000
	v_lshlrev_b32_sdwa v11, v11, v55 dst_sel:DWORD dst_unused:UNUSED_PAD src0_sel:DWORD src1_sel:BYTE_3
	v_and_b32_e32 v11, 0x80000000, v11
	v_or3_b32 v11, v8, v11, v10
	v_mov_b32_e32 v10, v9
.LBB189_1708:                           ;   in Loop: Header=BB189_1065 Depth=1
	s_or_b32 exec_lo, exec_lo, s20
.LBB189_1709:                           ;   in Loop: Header=BB189_1065 Depth=1
	s_or_b32 exec_lo, exec_lo, s17
.LBB189_1710:                           ;   in Loop: Header=BB189_1065 Depth=1
	s_or_b32 exec_lo, exec_lo, s15
	v_or_b32_e32 v8, v18, v16
	v_or_b32_e32 v13, v17, v15
	;; [unrolled: 1-line block ×4, first 2 shown]
	v_mul_f32_e32 v66, v117, v8
	v_mul_f32_e32 v65, v117, v13
	;; [unrolled: 1-line block ×4, first 2 shown]
	s_and_saveexec_b32 s15, vcc_lo
	s_cbranch_execz .LBB189_1712
; %bb.1711:                             ;   in Loop: Header=BB189_1065 Depth=1
	v_cmp_lt_i32_e64 s4, v26, v119
	v_cndmask_b32_e64 v65, 0, v65, s4
	v_cmp_lt_i32_e64 s4, v42, v119
	v_cndmask_b32_e64 v66, 0, v66, s4
	;; [unrolled: 2-line block ×4, first 2 shown]
.LBB189_1712:                           ;   in Loop: Header=BB189_1065 Depth=1
	s_or_b32 exec_lo, exec_lo, s15
	flat_load_dword v67, v[0:1] offset:384
	v_mov_b32_e32 v17, 0
	v_mov_b32_e32 v15, 0
	v_mov_b32_e32 v18, 0
	v_mov_b32_e32 v16, 0
	s_waitcnt vmcnt(0) lgkmcnt(0)
	v_cmp_ne_u16_sdwa s4, v67, v9 src0_sel:BYTE_0 src1_sel:DWORD
	s_and_saveexec_b32 s15, s4
	s_cbranch_execz .LBB189_1720
; %bb.1713:                             ;   in Loop: Header=BB189_1065 Depth=1
	v_bfrev_b32_e32 v15, 1
	v_mov_b32_e32 v16, 0
	v_cmp_ne_u16_sdwa s4, v67, v98 src0_sel:BYTE_0 src1_sel:DWORD
	s_and_saveexec_b32 s17, s4
	s_cbranch_execz .LBB189_1719
; %bb.1714:                             ;   in Loop: Header=BB189_1065 Depth=1
	v_mov_b32_e32 v15, 0x7f800001
	v_and_b32_e32 v11, 0x7f, v67
	v_mov_b32_e32 v16, 0
	s_mov_b32 s20, exec_lo
	v_cmpx_ne_u32_e32 0x7f, v11
	s_cbranch_execz .LBB189_1718
; %bb.1715:                             ;   in Loop: Header=BB189_1065 Depth=1
	v_and_b32_e32 v8, 7, v67
	v_lshrrev_b32_e32 v10, 3, v11
	s_mov_b32 s21, exec_lo
	v_cmpx_gt_u32_e32 8, v11
; %bb.1716:                             ;   in Loop: Header=BB189_1065 Depth=1
	v_ffbh_u32_e32 v10, v8
	v_min_u32_e32 v10, 32, v10
	v_subrev_nc_u32_e32 v11, 28, v10
	v_sub_nc_u32_e32 v10, 29, v10
	v_lshlrev_b64 v[15:16], v11, v[8:9]
	v_and_b32_e32 v8, 7, v15
; %bb.1717:                             ;   in Loop: Header=BB189_1065 Depth=1
	s_or_b32 exec_lo, exec_lo, s21
	v_lshlrev_b32_e32 v11, 24, v67
	v_lshlrev_b32_e32 v8, 20, v8
	v_lshl_add_u32 v10, v10, 23, 0x3c000000
	v_and_b32_e32 v11, 0x80000000, v11
	v_or3_b32 v8, v8, v11, v10
	v_mov_b32_e32 v16, v9
	v_mov_b32_e32 v15, v8
.LBB189_1718:                           ;   in Loop: Header=BB189_1065 Depth=1
	s_or_b32 exec_lo, exec_lo, s20
.LBB189_1719:                           ;   in Loop: Header=BB189_1065 Depth=1
	s_or_b32 exec_lo, exec_lo, s17
.LBB189_1720:                           ;   in Loop: Header=BB189_1065 Depth=1
	s_or_b32 exec_lo, exec_lo, s15
	v_cmp_ne_u16_sdwa s4, v67, v9 src0_sel:BYTE_1 src1_sel:DWORD
	s_and_saveexec_b32 s15, s4
	s_cbranch_execz .LBB189_1728
; %bb.1721:                             ;   in Loop: Header=BB189_1065 Depth=1
	v_mov_b32_e32 v11, v9
	v_mov_b32_e32 v18, v12
	v_cmp_ne_u16_sdwa s4, v67, v98 src0_sel:BYTE_1 src1_sel:DWORD
	v_mov_b32_e32 v17, v11
	s_and_saveexec_b32 s17, s4
	s_cbranch_execz .LBB189_1727
; %bb.1722:                             ;   in Loop: Header=BB189_1065 Depth=1
	v_mov_b32_e32 v8, 0xffff
	v_mov_b32_e32 v13, v9
	;; [unrolled: 1-line block ×3, first 2 shown]
	s_mov_b32 s20, exec_lo
	v_and_b32_sdwa v8, v8, v67 dst_sel:DWORD dst_unused:UNUSED_PAD src0_sel:DWORD src1_sel:BYTE_1
	v_mov_b32_e32 v17, v13
	v_and_b32_e32 v11, 0x7f, v8
	v_cmpx_ne_u32_e32 0x7f, v11
	s_cbranch_execz .LBB189_1726
; %bb.1723:                             ;   in Loop: Header=BB189_1065 Depth=1
	v_and_b32_e32 v8, 7, v8
	v_lshrrev_b32_e32 v10, 3, v11
	s_mov_b32 s21, exec_lo
	v_cmpx_gt_u32_e32 8, v11
; %bb.1724:                             ;   in Loop: Header=BB189_1065 Depth=1
	v_ffbh_u32_e32 v10, v8
	v_min_u32_e32 v10, 32, v10
	v_subrev_nc_u32_e32 v11, 28, v10
	v_sub_nc_u32_e32 v10, 29, v10
	v_lshlrev_b64 v[17:18], v11, v[8:9]
	v_and_b32_e32 v8, 7, v17
; %bb.1725:                             ;   in Loop: Header=BB189_1065 Depth=1
	s_or_b32 exec_lo, exec_lo, s21
	v_lshlrev_b32_e32 v11, 16, v67
	v_lshlrev_b32_e32 v8, 20, v8
	v_lshl_add_u32 v10, v10, 23, 0x3c000000
	v_mov_b32_e32 v17, v9
	v_and_b32_e32 v11, 0x80000000, v11
	v_or3_b32 v18, v8, v11, v10
.LBB189_1726:                           ;   in Loop: Header=BB189_1065 Depth=1
	s_or_b32 exec_lo, exec_lo, s20
.LBB189_1727:                           ;   in Loop: Header=BB189_1065 Depth=1
	s_or_b32 exec_lo, exec_lo, s17
.LBB189_1728:                           ;   in Loop: Header=BB189_1065 Depth=1
	s_or_b32 exec_lo, exec_lo, s15
	v_mov_b32_e32 v10, 0
	v_mov_b32_e32 v21, 0
	v_and_b32_sdwa v8, v67, v100 dst_sel:DWORD dst_unused:UNUSED_PAD src0_sel:WORD_1 src1_sel:DWORD
	v_mov_b32_e32 v11, 0
	v_mov_b32_e32 v22, 0
	s_mov_b32 s15, exec_lo
	v_cmpx_ne_u16_e32 0, v8
	s_cbranch_execz .LBB189_1736
; %bb.1729:                             ;   in Loop: Header=BB189_1065 Depth=1
	v_bfrev_b32_e32 v21, 1
	v_mov_b32_e32 v22, 0
	s_mov_b32 s17, exec_lo
	v_cmpx_ne_u16_e32 0x80, v8
	s_cbranch_execz .LBB189_1735
; %bb.1730:                             ;   in Loop: Header=BB189_1065 Depth=1
	v_mov_b32_e32 v21, 0x7f800001
	v_bfe_u32 v68, v67, 16, 7
	v_mov_b32_e32 v22, 0
	s_mov_b32 s20, exec_lo
	v_cmpx_ne_u32_e32 0x7f, v68
	s_cbranch_execz .LBB189_1734
; %bb.1731:                             ;   in Loop: Header=BB189_1065 Depth=1
	v_mov_b32_e32 v8, 7
	v_lshrrev_b32_e32 v13, 3, v68
	s_mov_b32 s21, exec_lo
	v_and_b32_sdwa v8, v67, v8 dst_sel:DWORD dst_unused:UNUSED_PAD src0_sel:WORD_1 src1_sel:DWORD
	v_cmpx_gt_u32_e32 8, v68
; %bb.1732:                             ;   in Loop: Header=BB189_1065 Depth=1
	v_ffbh_u32_e32 v13, v8
	v_min_u32_e32 v13, 32, v13
	v_subrev_nc_u32_e32 v21, 28, v13
	v_sub_nc_u32_e32 v13, 29, v13
	v_lshlrev_b64 v[21:22], v21, v[8:9]
	v_and_b32_e32 v8, 7, v21
; %bb.1733:                             ;   in Loop: Header=BB189_1065 Depth=1
	s_or_b32 exec_lo, exec_lo, s21
	v_mov_b32_e32 v21, 24
	v_lshlrev_b32_e32 v8, 20, v8
	v_lshl_add_u32 v13, v13, 23, 0x3c000000
	v_lshlrev_b32_sdwa v21, v21, v67 dst_sel:DWORD dst_unused:UNUSED_PAD src0_sel:DWORD src1_sel:WORD_1
	v_and_b32_e32 v21, 0x80000000, v21
	v_or3_b32 v8, v8, v21, v13
	v_mov_b32_e32 v22, v9
	v_mov_b32_e32 v21, v8
.LBB189_1734:                           ;   in Loop: Header=BB189_1065 Depth=1
	s_or_b32 exec_lo, exec_lo, s20
.LBB189_1735:                           ;   in Loop: Header=BB189_1065 Depth=1
	s_or_b32 exec_lo, exec_lo, s17
.LBB189_1736:                           ;   in Loop: Header=BB189_1065 Depth=1
	s_or_b32 exec_lo, exec_lo, s15
	s_mov_b32 s15, exec_lo
	v_cmpx_lt_u32_e32 0xffffff, v67
	s_cbranch_execz .LBB189_1744
; %bb.1737:                             ;   in Loop: Header=BB189_1065 Depth=1
	v_mov_b32_e32 v11, v9
	v_cmp_ne_u32_sdwa s4, v67, v98 src0_sel:BYTE_3 src1_sel:DWORD
	v_mov_b32_e32 v10, v11
	v_mov_b32_e32 v11, v12
	s_and_saveexec_b32 s17, s4
	s_cbranch_execz .LBB189_1743
; %bb.1738:                             ;   in Loop: Header=BB189_1065 Depth=1
	v_mov_b32_e32 v13, v9
	v_bfe_u32 v68, v67, 24, 7
	s_mov_b32 s20, exec_lo
	v_mov_b32_e32 v10, v13
	v_mov_b32_e32 v11, v14
	v_cmpx_ne_u32_e32 0x7f, v68
	s_cbranch_execz .LBB189_1742
; %bb.1739:                             ;   in Loop: Header=BB189_1065 Depth=1
	v_mov_b32_e32 v8, 7
	v_lshrrev_b32_e32 v10, 3, v68
	s_mov_b32 s21, exec_lo
	v_and_b32_sdwa v8, v67, v8 dst_sel:DWORD dst_unused:UNUSED_PAD src0_sel:BYTE_3 src1_sel:DWORD
	v_cmpx_gt_u32_e32 8, v68
; %bb.1740:                             ;   in Loop: Header=BB189_1065 Depth=1
	v_ffbh_u32_e32 v10, v8
	v_min_u32_e32 v10, 32, v10
	v_subrev_nc_u32_e32 v11, 28, v10
	v_sub_nc_u32_e32 v10, 29, v10
	v_lshlrev_b64 v[68:69], v11, v[8:9]
	v_and_b32_e32 v8, 7, v68
; %bb.1741:                             ;   in Loop: Header=BB189_1065 Depth=1
	s_or_b32 exec_lo, exec_lo, s21
	v_mov_b32_e32 v11, 24
	v_lshlrev_b32_e32 v8, 20, v8
	v_lshl_add_u32 v10, v10, 23, 0x3c000000
	v_lshlrev_b32_sdwa v11, v11, v67 dst_sel:DWORD dst_unused:UNUSED_PAD src0_sel:DWORD src1_sel:BYTE_3
	v_and_b32_e32 v11, 0x80000000, v11
	v_or3_b32 v11, v8, v11, v10
	v_mov_b32_e32 v10, v9
.LBB189_1742:                           ;   in Loop: Header=BB189_1065 Depth=1
	s_or_b32 exec_lo, exec_lo, s20
.LBB189_1743:                           ;   in Loop: Header=BB189_1065 Depth=1
	s_or_b32 exec_lo, exec_lo, s17
.LBB189_1744:                           ;   in Loop: Header=BB189_1065 Depth=1
	s_or_b32 exec_lo, exec_lo, s15
	v_or_b32_e32 v8, v18, v16
	v_or_b32_e32 v13, v17, v15
	;; [unrolled: 1-line block ×4, first 2 shown]
	v_mul_f32_e32 v70, v117, v8
	v_mul_f32_e32 v69, v117, v13
	v_mul_f32_e32 v68, v117, v10
	v_mul_f32_e32 v67, v117, v11
	s_and_saveexec_b32 s15, vcc_lo
	s_cbranch_execz .LBB189_1746
; %bb.1745:                             ;   in Loop: Header=BB189_1065 Depth=1
	v_cmp_lt_i32_e64 s4, v26, v119
	v_cndmask_b32_e64 v69, 0, v69, s4
	v_cmp_lt_i32_e64 s4, v42, v119
	v_cndmask_b32_e64 v70, 0, v70, s4
	;; [unrolled: 2-line block ×4, first 2 shown]
.LBB189_1746:                           ;   in Loop: Header=BB189_1065 Depth=1
	s_or_b32 exec_lo, exec_lo, s15
	flat_load_dword v71, v[0:1] offset:512
	v_mov_b32_e32 v17, 0
	v_mov_b32_e32 v15, 0
	;; [unrolled: 1-line block ×4, first 2 shown]
	s_waitcnt vmcnt(0) lgkmcnt(0)
	v_cmp_ne_u16_sdwa s4, v71, v9 src0_sel:BYTE_0 src1_sel:DWORD
	s_and_saveexec_b32 s15, s4
	s_cbranch_execz .LBB189_1754
; %bb.1747:                             ;   in Loop: Header=BB189_1065 Depth=1
	v_bfrev_b32_e32 v15, 1
	v_mov_b32_e32 v16, 0
	v_cmp_ne_u16_sdwa s4, v71, v98 src0_sel:BYTE_0 src1_sel:DWORD
	s_and_saveexec_b32 s17, s4
	s_cbranch_execz .LBB189_1753
; %bb.1748:                             ;   in Loop: Header=BB189_1065 Depth=1
	v_mov_b32_e32 v15, 0x7f800001
	v_and_b32_e32 v11, 0x7f, v71
	v_mov_b32_e32 v16, 0
	s_mov_b32 s20, exec_lo
	v_cmpx_ne_u32_e32 0x7f, v11
	s_cbranch_execz .LBB189_1752
; %bb.1749:                             ;   in Loop: Header=BB189_1065 Depth=1
	v_and_b32_e32 v8, 7, v71
	v_lshrrev_b32_e32 v10, 3, v11
	s_mov_b32 s21, exec_lo
	v_cmpx_gt_u32_e32 8, v11
; %bb.1750:                             ;   in Loop: Header=BB189_1065 Depth=1
	v_ffbh_u32_e32 v10, v8
	v_min_u32_e32 v10, 32, v10
	v_subrev_nc_u32_e32 v11, 28, v10
	v_sub_nc_u32_e32 v10, 29, v10
	v_lshlrev_b64 v[15:16], v11, v[8:9]
	v_and_b32_e32 v8, 7, v15
; %bb.1751:                             ;   in Loop: Header=BB189_1065 Depth=1
	s_or_b32 exec_lo, exec_lo, s21
	v_lshlrev_b32_e32 v11, 24, v71
	v_lshlrev_b32_e32 v8, 20, v8
	v_lshl_add_u32 v10, v10, 23, 0x3c000000
	v_and_b32_e32 v11, 0x80000000, v11
	v_or3_b32 v8, v8, v11, v10
	v_mov_b32_e32 v16, v9
	v_mov_b32_e32 v15, v8
.LBB189_1752:                           ;   in Loop: Header=BB189_1065 Depth=1
	s_or_b32 exec_lo, exec_lo, s20
.LBB189_1753:                           ;   in Loop: Header=BB189_1065 Depth=1
	s_or_b32 exec_lo, exec_lo, s17
.LBB189_1754:                           ;   in Loop: Header=BB189_1065 Depth=1
	s_or_b32 exec_lo, exec_lo, s15
	v_cmp_ne_u16_sdwa s4, v71, v9 src0_sel:BYTE_1 src1_sel:DWORD
	s_and_saveexec_b32 s15, s4
	s_cbranch_execz .LBB189_1762
; %bb.1755:                             ;   in Loop: Header=BB189_1065 Depth=1
	v_mov_b32_e32 v11, v9
	v_mov_b32_e32 v18, v12
	v_cmp_ne_u16_sdwa s4, v71, v98 src0_sel:BYTE_1 src1_sel:DWORD
	v_mov_b32_e32 v17, v11
	s_and_saveexec_b32 s17, s4
	s_cbranch_execz .LBB189_1761
; %bb.1756:                             ;   in Loop: Header=BB189_1065 Depth=1
	v_mov_b32_e32 v8, 0xffff
	v_mov_b32_e32 v13, v9
	;; [unrolled: 1-line block ×3, first 2 shown]
	s_mov_b32 s20, exec_lo
	v_and_b32_sdwa v8, v8, v71 dst_sel:DWORD dst_unused:UNUSED_PAD src0_sel:DWORD src1_sel:BYTE_1
	v_mov_b32_e32 v17, v13
	v_and_b32_e32 v11, 0x7f, v8
	v_cmpx_ne_u32_e32 0x7f, v11
	s_cbranch_execz .LBB189_1760
; %bb.1757:                             ;   in Loop: Header=BB189_1065 Depth=1
	v_and_b32_e32 v8, 7, v8
	v_lshrrev_b32_e32 v10, 3, v11
	s_mov_b32 s21, exec_lo
	v_cmpx_gt_u32_e32 8, v11
; %bb.1758:                             ;   in Loop: Header=BB189_1065 Depth=1
	v_ffbh_u32_e32 v10, v8
	v_min_u32_e32 v10, 32, v10
	v_subrev_nc_u32_e32 v11, 28, v10
	v_sub_nc_u32_e32 v10, 29, v10
	v_lshlrev_b64 v[17:18], v11, v[8:9]
	v_and_b32_e32 v8, 7, v17
; %bb.1759:                             ;   in Loop: Header=BB189_1065 Depth=1
	s_or_b32 exec_lo, exec_lo, s21
	v_lshlrev_b32_e32 v11, 16, v71
	v_lshlrev_b32_e32 v8, 20, v8
	v_lshl_add_u32 v10, v10, 23, 0x3c000000
	v_mov_b32_e32 v17, v9
	v_and_b32_e32 v11, 0x80000000, v11
	v_or3_b32 v18, v8, v11, v10
.LBB189_1760:                           ;   in Loop: Header=BB189_1065 Depth=1
	s_or_b32 exec_lo, exec_lo, s20
.LBB189_1761:                           ;   in Loop: Header=BB189_1065 Depth=1
	s_or_b32 exec_lo, exec_lo, s17
.LBB189_1762:                           ;   in Loop: Header=BB189_1065 Depth=1
	s_or_b32 exec_lo, exec_lo, s15
	v_mov_b32_e32 v10, 0
	v_mov_b32_e32 v21, 0
	v_and_b32_sdwa v8, v71, v100 dst_sel:DWORD dst_unused:UNUSED_PAD src0_sel:WORD_1 src1_sel:DWORD
	v_mov_b32_e32 v11, 0
	v_mov_b32_e32 v22, 0
	s_mov_b32 s15, exec_lo
	v_cmpx_ne_u16_e32 0, v8
	s_cbranch_execz .LBB189_1770
; %bb.1763:                             ;   in Loop: Header=BB189_1065 Depth=1
	v_bfrev_b32_e32 v21, 1
	v_mov_b32_e32 v22, 0
	s_mov_b32 s17, exec_lo
	v_cmpx_ne_u16_e32 0x80, v8
	s_cbranch_execz .LBB189_1769
; %bb.1764:                             ;   in Loop: Header=BB189_1065 Depth=1
	v_mov_b32_e32 v21, 0x7f800001
	v_bfe_u32 v80, v71, 16, 7
	v_mov_b32_e32 v22, 0
	s_mov_b32 s20, exec_lo
	v_cmpx_ne_u32_e32 0x7f, v80
	s_cbranch_execz .LBB189_1768
; %bb.1765:                             ;   in Loop: Header=BB189_1065 Depth=1
	v_mov_b32_e32 v8, 7
	v_lshrrev_b32_e32 v13, 3, v80
	s_mov_b32 s21, exec_lo
	v_and_b32_sdwa v8, v71, v8 dst_sel:DWORD dst_unused:UNUSED_PAD src0_sel:WORD_1 src1_sel:DWORD
	v_cmpx_gt_u32_e32 8, v80
; %bb.1766:                             ;   in Loop: Header=BB189_1065 Depth=1
	v_ffbh_u32_e32 v13, v8
	v_min_u32_e32 v13, 32, v13
	v_subrev_nc_u32_e32 v21, 28, v13
	v_sub_nc_u32_e32 v13, 29, v13
	v_lshlrev_b64 v[21:22], v21, v[8:9]
	v_and_b32_e32 v8, 7, v21
; %bb.1767:                             ;   in Loop: Header=BB189_1065 Depth=1
	s_or_b32 exec_lo, exec_lo, s21
	v_mov_b32_e32 v21, 24
	v_lshlrev_b32_e32 v8, 20, v8
	v_lshl_add_u32 v13, v13, 23, 0x3c000000
	v_lshlrev_b32_sdwa v21, v21, v71 dst_sel:DWORD dst_unused:UNUSED_PAD src0_sel:DWORD src1_sel:WORD_1
	v_and_b32_e32 v21, 0x80000000, v21
	v_or3_b32 v8, v8, v21, v13
	v_mov_b32_e32 v22, v9
	v_mov_b32_e32 v21, v8
.LBB189_1768:                           ;   in Loop: Header=BB189_1065 Depth=1
	s_or_b32 exec_lo, exec_lo, s20
.LBB189_1769:                           ;   in Loop: Header=BB189_1065 Depth=1
	s_or_b32 exec_lo, exec_lo, s17
.LBB189_1770:                           ;   in Loop: Header=BB189_1065 Depth=1
	s_or_b32 exec_lo, exec_lo, s15
	s_mov_b32 s15, exec_lo
	v_cmpx_lt_u32_e32 0xffffff, v71
	s_cbranch_execz .LBB189_1778
; %bb.1771:                             ;   in Loop: Header=BB189_1065 Depth=1
	v_mov_b32_e32 v11, v9
	v_cmp_ne_u32_sdwa s4, v71, v98 src0_sel:BYTE_3 src1_sel:DWORD
	v_mov_b32_e32 v10, v11
	v_mov_b32_e32 v11, v12
	s_and_saveexec_b32 s17, s4
	s_cbranch_execz .LBB189_1777
; %bb.1772:                             ;   in Loop: Header=BB189_1065 Depth=1
	v_mov_b32_e32 v13, v9
	v_bfe_u32 v80, v71, 24, 7
	s_mov_b32 s20, exec_lo
	v_mov_b32_e32 v10, v13
	v_mov_b32_e32 v11, v14
	v_cmpx_ne_u32_e32 0x7f, v80
	s_cbranch_execz .LBB189_1776
; %bb.1773:                             ;   in Loop: Header=BB189_1065 Depth=1
	v_mov_b32_e32 v8, 7
	v_lshrrev_b32_e32 v10, 3, v80
	s_mov_b32 s21, exec_lo
	v_and_b32_sdwa v8, v71, v8 dst_sel:DWORD dst_unused:UNUSED_PAD src0_sel:BYTE_3 src1_sel:DWORD
	v_cmpx_gt_u32_e32 8, v80
; %bb.1774:                             ;   in Loop: Header=BB189_1065 Depth=1
	v_ffbh_u32_e32 v10, v8
	v_min_u32_e32 v10, 32, v10
	v_subrev_nc_u32_e32 v11, 28, v10
	v_sub_nc_u32_e32 v10, 29, v10
	v_lshlrev_b64 v[80:81], v11, v[8:9]
	v_and_b32_e32 v8, 7, v80
; %bb.1775:                             ;   in Loop: Header=BB189_1065 Depth=1
	s_or_b32 exec_lo, exec_lo, s21
	v_mov_b32_e32 v11, 24
	v_lshlrev_b32_e32 v8, 20, v8
	v_lshl_add_u32 v10, v10, 23, 0x3c000000
	v_lshlrev_b32_sdwa v11, v11, v71 dst_sel:DWORD dst_unused:UNUSED_PAD src0_sel:DWORD src1_sel:BYTE_3
	v_and_b32_e32 v11, 0x80000000, v11
	v_or3_b32 v11, v8, v11, v10
	v_mov_b32_e32 v10, v9
.LBB189_1776:                           ;   in Loop: Header=BB189_1065 Depth=1
	s_or_b32 exec_lo, exec_lo, s20
.LBB189_1777:                           ;   in Loop: Header=BB189_1065 Depth=1
	s_or_b32 exec_lo, exec_lo, s17
.LBB189_1778:                           ;   in Loop: Header=BB189_1065 Depth=1
	s_or_b32 exec_lo, exec_lo, s15
	v_or_b32_e32 v8, v18, v16
	v_or_b32_e32 v13, v17, v15
	;; [unrolled: 1-line block ×4, first 2 shown]
	v_mul_f32_e32 v82, v117, v8
	v_mul_f32_e32 v81, v117, v13
	;; [unrolled: 1-line block ×4, first 2 shown]
	s_and_saveexec_b32 s15, vcc_lo
	s_cbranch_execz .LBB189_1780
; %bb.1779:                             ;   in Loop: Header=BB189_1065 Depth=1
	v_cmp_lt_i32_e64 s4, v26, v119
	v_cndmask_b32_e64 v81, 0, v81, s4
	v_cmp_lt_i32_e64 s4, v42, v119
	v_cndmask_b32_e64 v82, 0, v82, s4
	;; [unrolled: 2-line block ×4, first 2 shown]
.LBB189_1780:                           ;   in Loop: Header=BB189_1065 Depth=1
	s_or_b32 exec_lo, exec_lo, s15
	flat_load_dword v83, v[0:1] offset:640
	v_mov_b32_e32 v17, 0
	v_mov_b32_e32 v15, 0
	;; [unrolled: 1-line block ×4, first 2 shown]
	s_waitcnt vmcnt(0) lgkmcnt(0)
	v_cmp_ne_u16_sdwa s4, v83, v9 src0_sel:BYTE_0 src1_sel:DWORD
	s_and_saveexec_b32 s15, s4
	s_cbranch_execz .LBB189_1788
; %bb.1781:                             ;   in Loop: Header=BB189_1065 Depth=1
	v_bfrev_b32_e32 v15, 1
	v_mov_b32_e32 v16, 0
	v_cmp_ne_u16_sdwa s4, v83, v98 src0_sel:BYTE_0 src1_sel:DWORD
	s_and_saveexec_b32 s17, s4
	s_cbranch_execz .LBB189_1787
; %bb.1782:                             ;   in Loop: Header=BB189_1065 Depth=1
	v_mov_b32_e32 v15, 0x7f800001
	v_and_b32_e32 v11, 0x7f, v83
	v_mov_b32_e32 v16, 0
	s_mov_b32 s20, exec_lo
	v_cmpx_ne_u32_e32 0x7f, v11
	s_cbranch_execz .LBB189_1786
; %bb.1783:                             ;   in Loop: Header=BB189_1065 Depth=1
	v_and_b32_e32 v8, 7, v83
	v_lshrrev_b32_e32 v10, 3, v11
	s_mov_b32 s21, exec_lo
	v_cmpx_gt_u32_e32 8, v11
; %bb.1784:                             ;   in Loop: Header=BB189_1065 Depth=1
	v_ffbh_u32_e32 v10, v8
	v_min_u32_e32 v10, 32, v10
	v_subrev_nc_u32_e32 v11, 28, v10
	v_sub_nc_u32_e32 v10, 29, v10
	v_lshlrev_b64 v[15:16], v11, v[8:9]
	v_and_b32_e32 v8, 7, v15
; %bb.1785:                             ;   in Loop: Header=BB189_1065 Depth=1
	s_or_b32 exec_lo, exec_lo, s21
	v_lshlrev_b32_e32 v11, 24, v83
	v_lshlrev_b32_e32 v8, 20, v8
	v_lshl_add_u32 v10, v10, 23, 0x3c000000
	v_and_b32_e32 v11, 0x80000000, v11
	v_or3_b32 v8, v8, v11, v10
	v_mov_b32_e32 v16, v9
	v_mov_b32_e32 v15, v8
.LBB189_1786:                           ;   in Loop: Header=BB189_1065 Depth=1
	s_or_b32 exec_lo, exec_lo, s20
.LBB189_1787:                           ;   in Loop: Header=BB189_1065 Depth=1
	s_or_b32 exec_lo, exec_lo, s17
.LBB189_1788:                           ;   in Loop: Header=BB189_1065 Depth=1
	s_or_b32 exec_lo, exec_lo, s15
	v_cmp_ne_u16_sdwa s4, v83, v9 src0_sel:BYTE_1 src1_sel:DWORD
	s_and_saveexec_b32 s15, s4
	s_cbranch_execz .LBB189_1796
; %bb.1789:                             ;   in Loop: Header=BB189_1065 Depth=1
	v_mov_b32_e32 v11, v9
	v_mov_b32_e32 v18, v12
	v_cmp_ne_u16_sdwa s4, v83, v98 src0_sel:BYTE_1 src1_sel:DWORD
	v_mov_b32_e32 v17, v11
	s_and_saveexec_b32 s17, s4
	s_cbranch_execz .LBB189_1795
; %bb.1790:                             ;   in Loop: Header=BB189_1065 Depth=1
	v_mov_b32_e32 v8, 0xffff
	v_mov_b32_e32 v13, v9
	;; [unrolled: 1-line block ×3, first 2 shown]
	s_mov_b32 s20, exec_lo
	v_and_b32_sdwa v8, v8, v83 dst_sel:DWORD dst_unused:UNUSED_PAD src0_sel:DWORD src1_sel:BYTE_1
	v_mov_b32_e32 v17, v13
	v_and_b32_e32 v11, 0x7f, v8
	v_cmpx_ne_u32_e32 0x7f, v11
	s_cbranch_execz .LBB189_1794
; %bb.1791:                             ;   in Loop: Header=BB189_1065 Depth=1
	v_and_b32_e32 v8, 7, v8
	v_lshrrev_b32_e32 v10, 3, v11
	s_mov_b32 s21, exec_lo
	v_cmpx_gt_u32_e32 8, v11
; %bb.1792:                             ;   in Loop: Header=BB189_1065 Depth=1
	v_ffbh_u32_e32 v10, v8
	v_min_u32_e32 v10, 32, v10
	v_subrev_nc_u32_e32 v11, 28, v10
	v_sub_nc_u32_e32 v10, 29, v10
	v_lshlrev_b64 v[17:18], v11, v[8:9]
	v_and_b32_e32 v8, 7, v17
; %bb.1793:                             ;   in Loop: Header=BB189_1065 Depth=1
	s_or_b32 exec_lo, exec_lo, s21
	v_lshlrev_b32_e32 v11, 16, v83
	v_lshlrev_b32_e32 v8, 20, v8
	v_lshl_add_u32 v10, v10, 23, 0x3c000000
	v_mov_b32_e32 v17, v9
	v_and_b32_e32 v11, 0x80000000, v11
	v_or3_b32 v18, v8, v11, v10
.LBB189_1794:                           ;   in Loop: Header=BB189_1065 Depth=1
	s_or_b32 exec_lo, exec_lo, s20
.LBB189_1795:                           ;   in Loop: Header=BB189_1065 Depth=1
	s_or_b32 exec_lo, exec_lo, s17
.LBB189_1796:                           ;   in Loop: Header=BB189_1065 Depth=1
	s_or_b32 exec_lo, exec_lo, s15
	v_mov_b32_e32 v10, 0
	v_mov_b32_e32 v21, 0
	v_and_b32_sdwa v8, v83, v100 dst_sel:DWORD dst_unused:UNUSED_PAD src0_sel:WORD_1 src1_sel:DWORD
	v_mov_b32_e32 v11, 0
	v_mov_b32_e32 v22, 0
	s_mov_b32 s15, exec_lo
	v_cmpx_ne_u16_e32 0, v8
	s_cbranch_execz .LBB189_1804
; %bb.1797:                             ;   in Loop: Header=BB189_1065 Depth=1
	v_bfrev_b32_e32 v21, 1
	v_mov_b32_e32 v22, 0
	s_mov_b32 s17, exec_lo
	v_cmpx_ne_u16_e32 0x80, v8
	s_cbranch_execz .LBB189_1803
; %bb.1798:                             ;   in Loop: Header=BB189_1065 Depth=1
	v_mov_b32_e32 v21, 0x7f800001
	v_bfe_u32 v84, v83, 16, 7
	v_mov_b32_e32 v22, 0
	s_mov_b32 s20, exec_lo
	v_cmpx_ne_u32_e32 0x7f, v84
	s_cbranch_execz .LBB189_1802
; %bb.1799:                             ;   in Loop: Header=BB189_1065 Depth=1
	v_mov_b32_e32 v8, 7
	v_lshrrev_b32_e32 v13, 3, v84
	s_mov_b32 s21, exec_lo
	v_and_b32_sdwa v8, v83, v8 dst_sel:DWORD dst_unused:UNUSED_PAD src0_sel:WORD_1 src1_sel:DWORD
	v_cmpx_gt_u32_e32 8, v84
; %bb.1800:                             ;   in Loop: Header=BB189_1065 Depth=1
	v_ffbh_u32_e32 v13, v8
	v_min_u32_e32 v13, 32, v13
	v_subrev_nc_u32_e32 v21, 28, v13
	v_sub_nc_u32_e32 v13, 29, v13
	v_lshlrev_b64 v[21:22], v21, v[8:9]
	v_and_b32_e32 v8, 7, v21
; %bb.1801:                             ;   in Loop: Header=BB189_1065 Depth=1
	s_or_b32 exec_lo, exec_lo, s21
	v_mov_b32_e32 v21, 24
	v_lshlrev_b32_e32 v8, 20, v8
	v_lshl_add_u32 v13, v13, 23, 0x3c000000
	v_lshlrev_b32_sdwa v21, v21, v83 dst_sel:DWORD dst_unused:UNUSED_PAD src0_sel:DWORD src1_sel:WORD_1
	v_and_b32_e32 v21, 0x80000000, v21
	v_or3_b32 v8, v8, v21, v13
	v_mov_b32_e32 v22, v9
	v_mov_b32_e32 v21, v8
.LBB189_1802:                           ;   in Loop: Header=BB189_1065 Depth=1
	s_or_b32 exec_lo, exec_lo, s20
.LBB189_1803:                           ;   in Loop: Header=BB189_1065 Depth=1
	s_or_b32 exec_lo, exec_lo, s17
.LBB189_1804:                           ;   in Loop: Header=BB189_1065 Depth=1
	s_or_b32 exec_lo, exec_lo, s15
	s_mov_b32 s15, exec_lo
	v_cmpx_lt_u32_e32 0xffffff, v83
	s_cbranch_execz .LBB189_1812
; %bb.1805:                             ;   in Loop: Header=BB189_1065 Depth=1
	v_mov_b32_e32 v11, v9
	v_cmp_ne_u32_sdwa s4, v83, v98 src0_sel:BYTE_3 src1_sel:DWORD
	v_mov_b32_e32 v10, v11
	v_mov_b32_e32 v11, v12
	s_and_saveexec_b32 s17, s4
	s_cbranch_execz .LBB189_1811
; %bb.1806:                             ;   in Loop: Header=BB189_1065 Depth=1
	v_mov_b32_e32 v13, v9
	v_bfe_u32 v84, v83, 24, 7
	s_mov_b32 s20, exec_lo
	v_mov_b32_e32 v10, v13
	v_mov_b32_e32 v11, v14
	v_cmpx_ne_u32_e32 0x7f, v84
	s_cbranch_execz .LBB189_1810
; %bb.1807:                             ;   in Loop: Header=BB189_1065 Depth=1
	v_mov_b32_e32 v8, 7
	v_lshrrev_b32_e32 v10, 3, v84
	s_mov_b32 s21, exec_lo
	v_and_b32_sdwa v8, v83, v8 dst_sel:DWORD dst_unused:UNUSED_PAD src0_sel:BYTE_3 src1_sel:DWORD
	v_cmpx_gt_u32_e32 8, v84
; %bb.1808:                             ;   in Loop: Header=BB189_1065 Depth=1
	v_ffbh_u32_e32 v10, v8
	v_min_u32_e32 v10, 32, v10
	v_subrev_nc_u32_e32 v11, 28, v10
	v_sub_nc_u32_e32 v10, 29, v10
	v_lshlrev_b64 v[84:85], v11, v[8:9]
	v_and_b32_e32 v8, 7, v84
; %bb.1809:                             ;   in Loop: Header=BB189_1065 Depth=1
	s_or_b32 exec_lo, exec_lo, s21
	v_mov_b32_e32 v11, 24
	v_lshlrev_b32_e32 v8, 20, v8
	v_lshl_add_u32 v10, v10, 23, 0x3c000000
	v_lshlrev_b32_sdwa v11, v11, v83 dst_sel:DWORD dst_unused:UNUSED_PAD src0_sel:DWORD src1_sel:BYTE_3
	v_and_b32_e32 v11, 0x80000000, v11
	v_or3_b32 v11, v8, v11, v10
	v_mov_b32_e32 v10, v9
.LBB189_1810:                           ;   in Loop: Header=BB189_1065 Depth=1
	s_or_b32 exec_lo, exec_lo, s20
.LBB189_1811:                           ;   in Loop: Header=BB189_1065 Depth=1
	s_or_b32 exec_lo, exec_lo, s17
.LBB189_1812:                           ;   in Loop: Header=BB189_1065 Depth=1
	s_or_b32 exec_lo, exec_lo, s15
	v_or_b32_e32 v8, v18, v16
	v_or_b32_e32 v13, v17, v15
	;; [unrolled: 1-line block ×4, first 2 shown]
	v_mul_f32_e32 v86, v117, v8
	v_mul_f32_e32 v85, v117, v13
	;; [unrolled: 1-line block ×4, first 2 shown]
	s_and_saveexec_b32 s15, vcc_lo
	s_cbranch_execz .LBB189_1814
; %bb.1813:                             ;   in Loop: Header=BB189_1065 Depth=1
	v_cmp_lt_i32_e64 s4, v26, v119
	v_cndmask_b32_e64 v85, 0, v85, s4
	v_cmp_lt_i32_e64 s4, v42, v119
	v_cndmask_b32_e64 v86, 0, v86, s4
	;; [unrolled: 2-line block ×4, first 2 shown]
.LBB189_1814:                           ;   in Loop: Header=BB189_1065 Depth=1
	s_or_b32 exec_lo, exec_lo, s15
	flat_load_dword v87, v[0:1] offset:768
	v_mov_b32_e32 v17, 0
	v_mov_b32_e32 v15, 0
	;; [unrolled: 1-line block ×4, first 2 shown]
	s_waitcnt vmcnt(0) lgkmcnt(0)
	v_cmp_ne_u16_sdwa s4, v87, v9 src0_sel:BYTE_0 src1_sel:DWORD
	s_and_saveexec_b32 s15, s4
	s_cbranch_execz .LBB189_1822
; %bb.1815:                             ;   in Loop: Header=BB189_1065 Depth=1
	v_bfrev_b32_e32 v15, 1
	v_mov_b32_e32 v16, 0
	v_cmp_ne_u16_sdwa s4, v87, v98 src0_sel:BYTE_0 src1_sel:DWORD
	s_and_saveexec_b32 s17, s4
	s_cbranch_execz .LBB189_1821
; %bb.1816:                             ;   in Loop: Header=BB189_1065 Depth=1
	v_mov_b32_e32 v15, 0x7f800001
	v_and_b32_e32 v11, 0x7f, v87
	v_mov_b32_e32 v16, 0
	s_mov_b32 s20, exec_lo
	v_cmpx_ne_u32_e32 0x7f, v11
	s_cbranch_execz .LBB189_1820
; %bb.1817:                             ;   in Loop: Header=BB189_1065 Depth=1
	v_and_b32_e32 v8, 7, v87
	v_lshrrev_b32_e32 v10, 3, v11
	s_mov_b32 s21, exec_lo
	v_cmpx_gt_u32_e32 8, v11
; %bb.1818:                             ;   in Loop: Header=BB189_1065 Depth=1
	v_ffbh_u32_e32 v10, v8
	v_min_u32_e32 v10, 32, v10
	v_subrev_nc_u32_e32 v11, 28, v10
	v_sub_nc_u32_e32 v10, 29, v10
	v_lshlrev_b64 v[15:16], v11, v[8:9]
	v_and_b32_e32 v8, 7, v15
; %bb.1819:                             ;   in Loop: Header=BB189_1065 Depth=1
	s_or_b32 exec_lo, exec_lo, s21
	v_lshlrev_b32_e32 v11, 24, v87
	v_lshlrev_b32_e32 v8, 20, v8
	v_lshl_add_u32 v10, v10, 23, 0x3c000000
	v_and_b32_e32 v11, 0x80000000, v11
	v_or3_b32 v8, v8, v11, v10
	v_mov_b32_e32 v16, v9
	v_mov_b32_e32 v15, v8
.LBB189_1820:                           ;   in Loop: Header=BB189_1065 Depth=1
	s_or_b32 exec_lo, exec_lo, s20
.LBB189_1821:                           ;   in Loop: Header=BB189_1065 Depth=1
	s_or_b32 exec_lo, exec_lo, s17
.LBB189_1822:                           ;   in Loop: Header=BB189_1065 Depth=1
	s_or_b32 exec_lo, exec_lo, s15
	v_cmp_ne_u16_sdwa s4, v87, v9 src0_sel:BYTE_1 src1_sel:DWORD
	s_and_saveexec_b32 s15, s4
	s_cbranch_execz .LBB189_1830
; %bb.1823:                             ;   in Loop: Header=BB189_1065 Depth=1
	v_mov_b32_e32 v11, v9
	v_mov_b32_e32 v18, v12
	v_cmp_ne_u16_sdwa s4, v87, v98 src0_sel:BYTE_1 src1_sel:DWORD
	v_mov_b32_e32 v17, v11
	s_and_saveexec_b32 s17, s4
	s_cbranch_execz .LBB189_1829
; %bb.1824:                             ;   in Loop: Header=BB189_1065 Depth=1
	v_mov_b32_e32 v8, 0xffff
	v_mov_b32_e32 v13, v9
	;; [unrolled: 1-line block ×3, first 2 shown]
	s_mov_b32 s20, exec_lo
	v_and_b32_sdwa v8, v8, v87 dst_sel:DWORD dst_unused:UNUSED_PAD src0_sel:DWORD src1_sel:BYTE_1
	v_mov_b32_e32 v17, v13
	v_and_b32_e32 v11, 0x7f, v8
	v_cmpx_ne_u32_e32 0x7f, v11
	s_cbranch_execz .LBB189_1828
; %bb.1825:                             ;   in Loop: Header=BB189_1065 Depth=1
	v_and_b32_e32 v8, 7, v8
	v_lshrrev_b32_e32 v10, 3, v11
	s_mov_b32 s21, exec_lo
	v_cmpx_gt_u32_e32 8, v11
; %bb.1826:                             ;   in Loop: Header=BB189_1065 Depth=1
	v_ffbh_u32_e32 v10, v8
	v_min_u32_e32 v10, 32, v10
	v_subrev_nc_u32_e32 v11, 28, v10
	v_sub_nc_u32_e32 v10, 29, v10
	v_lshlrev_b64 v[17:18], v11, v[8:9]
	v_and_b32_e32 v8, 7, v17
; %bb.1827:                             ;   in Loop: Header=BB189_1065 Depth=1
	s_or_b32 exec_lo, exec_lo, s21
	v_lshlrev_b32_e32 v11, 16, v87
	v_lshlrev_b32_e32 v8, 20, v8
	v_lshl_add_u32 v10, v10, 23, 0x3c000000
	v_mov_b32_e32 v17, v9
	v_and_b32_e32 v11, 0x80000000, v11
	v_or3_b32 v18, v8, v11, v10
.LBB189_1828:                           ;   in Loop: Header=BB189_1065 Depth=1
	s_or_b32 exec_lo, exec_lo, s20
.LBB189_1829:                           ;   in Loop: Header=BB189_1065 Depth=1
	s_or_b32 exec_lo, exec_lo, s17
.LBB189_1830:                           ;   in Loop: Header=BB189_1065 Depth=1
	s_or_b32 exec_lo, exec_lo, s15
	v_mov_b32_e32 v10, 0
	v_mov_b32_e32 v21, 0
	v_and_b32_sdwa v8, v87, v100 dst_sel:DWORD dst_unused:UNUSED_PAD src0_sel:WORD_1 src1_sel:DWORD
	v_mov_b32_e32 v11, 0
	v_mov_b32_e32 v22, 0
	s_mov_b32 s15, exec_lo
	v_cmpx_ne_u16_e32 0, v8
	s_cbranch_execz .LBB189_1838
; %bb.1831:                             ;   in Loop: Header=BB189_1065 Depth=1
	v_bfrev_b32_e32 v21, 1
	v_mov_b32_e32 v22, 0
	s_mov_b32 s17, exec_lo
	v_cmpx_ne_u16_e32 0x80, v8
	s_cbranch_execz .LBB189_1837
; %bb.1832:                             ;   in Loop: Header=BB189_1065 Depth=1
	v_mov_b32_e32 v21, 0x7f800001
	v_bfe_u32 v99, v87, 16, 7
	v_mov_b32_e32 v22, 0
	s_mov_b32 s20, exec_lo
	v_cmpx_ne_u32_e32 0x7f, v99
	s_cbranch_execz .LBB189_1836
; %bb.1833:                             ;   in Loop: Header=BB189_1065 Depth=1
	v_mov_b32_e32 v8, 7
	v_lshrrev_b32_e32 v13, 3, v99
	s_mov_b32 s21, exec_lo
	v_and_b32_sdwa v8, v87, v8 dst_sel:DWORD dst_unused:UNUSED_PAD src0_sel:WORD_1 src1_sel:DWORD
	v_cmpx_gt_u32_e32 8, v99
; %bb.1834:                             ;   in Loop: Header=BB189_1065 Depth=1
	v_ffbh_u32_e32 v13, v8
	v_min_u32_e32 v13, 32, v13
	v_subrev_nc_u32_e32 v21, 28, v13
	v_sub_nc_u32_e32 v13, 29, v13
	v_lshlrev_b64 v[21:22], v21, v[8:9]
	v_and_b32_e32 v8, 7, v21
; %bb.1835:                             ;   in Loop: Header=BB189_1065 Depth=1
	s_or_b32 exec_lo, exec_lo, s21
	v_mov_b32_e32 v21, 24
	v_lshlrev_b32_e32 v8, 20, v8
	v_lshl_add_u32 v13, v13, 23, 0x3c000000
	v_lshlrev_b32_sdwa v21, v21, v87 dst_sel:DWORD dst_unused:UNUSED_PAD src0_sel:DWORD src1_sel:WORD_1
	v_and_b32_e32 v21, 0x80000000, v21
	v_or3_b32 v8, v8, v21, v13
	v_mov_b32_e32 v22, v9
	v_mov_b32_e32 v21, v8
.LBB189_1836:                           ;   in Loop: Header=BB189_1065 Depth=1
	s_or_b32 exec_lo, exec_lo, s20
.LBB189_1837:                           ;   in Loop: Header=BB189_1065 Depth=1
	s_or_b32 exec_lo, exec_lo, s17
.LBB189_1838:                           ;   in Loop: Header=BB189_1065 Depth=1
	s_or_b32 exec_lo, exec_lo, s15
	s_mov_b32 s15, exec_lo
	v_cmpx_lt_u32_e32 0xffffff, v87
	s_cbranch_execz .LBB189_1846
; %bb.1839:                             ;   in Loop: Header=BB189_1065 Depth=1
	v_mov_b32_e32 v11, v9
	v_cmp_ne_u32_sdwa s4, v87, v98 src0_sel:BYTE_3 src1_sel:DWORD
	v_mov_b32_e32 v10, v11
	v_mov_b32_e32 v11, v12
	s_and_saveexec_b32 s17, s4
	s_cbranch_execz .LBB189_1845
; %bb.1840:                             ;   in Loop: Header=BB189_1065 Depth=1
	v_mov_b32_e32 v13, v9
	v_bfe_u32 v99, v87, 24, 7
	s_mov_b32 s20, exec_lo
	v_mov_b32_e32 v10, v13
	v_mov_b32_e32 v11, v14
	v_cmpx_ne_u32_e32 0x7f, v99
	s_cbranch_execz .LBB189_1844
; %bb.1841:                             ;   in Loop: Header=BB189_1065 Depth=1
	v_mov_b32_e32 v8, 7
	v_lshrrev_b32_e32 v10, 3, v99
	s_mov_b32 s21, exec_lo
	v_and_b32_sdwa v8, v87, v8 dst_sel:DWORD dst_unused:UNUSED_PAD src0_sel:BYTE_3 src1_sel:DWORD
	v_cmpx_gt_u32_e32 8, v99
; %bb.1842:                             ;   in Loop: Header=BB189_1065 Depth=1
	v_ffbh_u32_e32 v10, v8
	v_min_u32_e32 v10, 32, v10
	v_subrev_nc_u32_e32 v11, 28, v10
	v_sub_nc_u32_e32 v10, 29, v10
	v_lshlrev_b64 v[101:102], v11, v[8:9]
	v_and_b32_e32 v8, 7, v101
; %bb.1843:                             ;   in Loop: Header=BB189_1065 Depth=1
	s_or_b32 exec_lo, exec_lo, s21
	v_mov_b32_e32 v11, 24
	v_lshlrev_b32_e32 v8, 20, v8
	v_lshl_add_u32 v10, v10, 23, 0x3c000000
	v_lshlrev_b32_sdwa v11, v11, v87 dst_sel:DWORD dst_unused:UNUSED_PAD src0_sel:DWORD src1_sel:BYTE_3
	v_and_b32_e32 v11, 0x80000000, v11
	v_or3_b32 v11, v8, v11, v10
	v_mov_b32_e32 v10, v9
.LBB189_1844:                           ;   in Loop: Header=BB189_1065 Depth=1
	s_or_b32 exec_lo, exec_lo, s20
.LBB189_1845:                           ;   in Loop: Header=BB189_1065 Depth=1
	s_or_b32 exec_lo, exec_lo, s17
.LBB189_1846:                           ;   in Loop: Header=BB189_1065 Depth=1
	s_or_b32 exec_lo, exec_lo, s15
	v_or_b32_e32 v8, v18, v16
	v_or_b32_e32 v13, v17, v15
	;; [unrolled: 1-line block ×4, first 2 shown]
	v_mul_f32_e32 v116, v117, v8
	v_mul_f32_e32 v115, v117, v13
	;; [unrolled: 1-line block ×4, first 2 shown]
	s_and_saveexec_b32 s15, vcc_lo
	s_cbranch_execz .LBB189_1848
; %bb.1847:                             ;   in Loop: Header=BB189_1065 Depth=1
	v_cmp_lt_i32_e64 s4, v26, v119
	v_cndmask_b32_e64 v115, 0, v115, s4
	v_cmp_lt_i32_e64 s4, v42, v119
	v_cndmask_b32_e64 v116, 0, v116, s4
	;; [unrolled: 2-line block ×4, first 2 shown]
.LBB189_1848:                           ;   in Loop: Header=BB189_1065 Depth=1
	s_or_b32 exec_lo, exec_lo, s15
	flat_load_dword v99, v[0:1] offset:896
	v_mov_b32_e32 v17, 0
	v_mov_b32_e32 v15, 0
	;; [unrolled: 1-line block ×4, first 2 shown]
	s_waitcnt vmcnt(0) lgkmcnt(0)
	v_cmp_ne_u16_sdwa s4, v99, v9 src0_sel:BYTE_0 src1_sel:DWORD
	s_and_saveexec_b32 s15, s4
	s_cbranch_execz .LBB189_1856
; %bb.1849:                             ;   in Loop: Header=BB189_1065 Depth=1
	v_bfrev_b32_e32 v15, 1
	v_mov_b32_e32 v16, 0
	v_cmp_ne_u16_sdwa s4, v99, v98 src0_sel:BYTE_0 src1_sel:DWORD
	s_and_saveexec_b32 s17, s4
	s_cbranch_execz .LBB189_1855
; %bb.1850:                             ;   in Loop: Header=BB189_1065 Depth=1
	v_mov_b32_e32 v15, 0x7f800001
	v_and_b32_e32 v11, 0x7f, v99
	v_mov_b32_e32 v16, 0
	s_mov_b32 s20, exec_lo
	v_cmpx_ne_u32_e32 0x7f, v11
	s_cbranch_execz .LBB189_1854
; %bb.1851:                             ;   in Loop: Header=BB189_1065 Depth=1
	v_and_b32_e32 v8, 7, v99
	v_lshrrev_b32_e32 v10, 3, v11
	s_mov_b32 s21, exec_lo
	v_cmpx_gt_u32_e32 8, v11
; %bb.1852:                             ;   in Loop: Header=BB189_1065 Depth=1
	v_ffbh_u32_e32 v10, v8
	v_min_u32_e32 v10, 32, v10
	v_subrev_nc_u32_e32 v11, 28, v10
	v_sub_nc_u32_e32 v10, 29, v10
	v_lshlrev_b64 v[15:16], v11, v[8:9]
	v_and_b32_e32 v8, 7, v15
; %bb.1853:                             ;   in Loop: Header=BB189_1065 Depth=1
	s_or_b32 exec_lo, exec_lo, s21
	v_lshlrev_b32_e32 v11, 24, v99
	v_lshlrev_b32_e32 v8, 20, v8
	v_lshl_add_u32 v10, v10, 23, 0x3c000000
	v_and_b32_e32 v11, 0x80000000, v11
	v_or3_b32 v8, v8, v11, v10
	v_mov_b32_e32 v16, v9
	v_mov_b32_e32 v15, v8
.LBB189_1854:                           ;   in Loop: Header=BB189_1065 Depth=1
	s_or_b32 exec_lo, exec_lo, s20
.LBB189_1855:                           ;   in Loop: Header=BB189_1065 Depth=1
	s_or_b32 exec_lo, exec_lo, s17
.LBB189_1856:                           ;   in Loop: Header=BB189_1065 Depth=1
	s_or_b32 exec_lo, exec_lo, s15
	v_cmp_ne_u16_sdwa s4, v99, v9 src0_sel:BYTE_1 src1_sel:DWORD
	s_and_saveexec_b32 s15, s4
	s_cbranch_execz .LBB189_1864
; %bb.1857:                             ;   in Loop: Header=BB189_1065 Depth=1
	v_mov_b32_e32 v11, v9
	v_mov_b32_e32 v18, v12
	v_cmp_ne_u16_sdwa s4, v99, v98 src0_sel:BYTE_1 src1_sel:DWORD
	v_mov_b32_e32 v17, v11
	s_and_saveexec_b32 s17, s4
	s_cbranch_execz .LBB189_1863
; %bb.1858:                             ;   in Loop: Header=BB189_1065 Depth=1
	v_mov_b32_e32 v8, 0xffff
	v_mov_b32_e32 v13, v9
	v_mov_b32_e32 v18, v14
	s_mov_b32 s20, exec_lo
	v_and_b32_sdwa v8, v8, v99 dst_sel:DWORD dst_unused:UNUSED_PAD src0_sel:DWORD src1_sel:BYTE_1
	v_mov_b32_e32 v17, v13
	v_and_b32_e32 v11, 0x7f, v8
	v_cmpx_ne_u32_e32 0x7f, v11
	s_cbranch_execz .LBB189_1862
; %bb.1859:                             ;   in Loop: Header=BB189_1065 Depth=1
	v_and_b32_e32 v8, 7, v8
	v_lshrrev_b32_e32 v10, 3, v11
	s_mov_b32 s21, exec_lo
	v_cmpx_gt_u32_e32 8, v11
; %bb.1860:                             ;   in Loop: Header=BB189_1065 Depth=1
	v_ffbh_u32_e32 v10, v8
	v_min_u32_e32 v10, 32, v10
	v_subrev_nc_u32_e32 v11, 28, v10
	v_sub_nc_u32_e32 v10, 29, v10
	v_lshlrev_b64 v[17:18], v11, v[8:9]
	v_and_b32_e32 v8, 7, v17
; %bb.1861:                             ;   in Loop: Header=BB189_1065 Depth=1
	s_or_b32 exec_lo, exec_lo, s21
	v_lshlrev_b32_e32 v11, 16, v99
	v_lshlrev_b32_e32 v8, 20, v8
	v_lshl_add_u32 v10, v10, 23, 0x3c000000
	v_mov_b32_e32 v17, v9
	v_and_b32_e32 v11, 0x80000000, v11
	v_or3_b32 v18, v8, v11, v10
.LBB189_1862:                           ;   in Loop: Header=BB189_1065 Depth=1
	s_or_b32 exec_lo, exec_lo, s20
.LBB189_1863:                           ;   in Loop: Header=BB189_1065 Depth=1
	s_or_b32 exec_lo, exec_lo, s17
.LBB189_1864:                           ;   in Loop: Header=BB189_1065 Depth=1
	s_or_b32 exec_lo, exec_lo, s15
	v_mov_b32_e32 v10, 0
	v_mov_b32_e32 v21, 0
	v_and_b32_sdwa v8, v99, v100 dst_sel:DWORD dst_unused:UNUSED_PAD src0_sel:WORD_1 src1_sel:DWORD
	v_mov_b32_e32 v11, 0
	v_mov_b32_e32 v22, 0
	s_mov_b32 s15, exec_lo
	v_cmpx_ne_u16_e32 0, v8
	s_cbranch_execz .LBB189_1872
; %bb.1865:                             ;   in Loop: Header=BB189_1065 Depth=1
	v_bfrev_b32_e32 v21, 1
	v_mov_b32_e32 v22, 0
	s_mov_b32 s17, exec_lo
	v_cmpx_ne_u16_e32 0x80, v8
	s_cbranch_execz .LBB189_1871
; %bb.1866:                             ;   in Loop: Header=BB189_1065 Depth=1
	v_mov_b32_e32 v21, 0x7f800001
	v_bfe_u32 v101, v99, 16, 7
	v_mov_b32_e32 v22, 0
	s_mov_b32 s20, exec_lo
	v_cmpx_ne_u32_e32 0x7f, v101
	s_cbranch_execz .LBB189_1870
; %bb.1867:                             ;   in Loop: Header=BB189_1065 Depth=1
	v_mov_b32_e32 v8, 7
	v_lshrrev_b32_e32 v13, 3, v101
	s_mov_b32 s21, exec_lo
	v_and_b32_sdwa v8, v99, v8 dst_sel:DWORD dst_unused:UNUSED_PAD src0_sel:WORD_1 src1_sel:DWORD
	v_cmpx_gt_u32_e32 8, v101
; %bb.1868:                             ;   in Loop: Header=BB189_1065 Depth=1
	v_ffbh_u32_e32 v13, v8
	v_min_u32_e32 v13, 32, v13
	v_subrev_nc_u32_e32 v21, 28, v13
	v_sub_nc_u32_e32 v13, 29, v13
	v_lshlrev_b64 v[21:22], v21, v[8:9]
	v_and_b32_e32 v8, 7, v21
; %bb.1869:                             ;   in Loop: Header=BB189_1065 Depth=1
	s_or_b32 exec_lo, exec_lo, s21
	v_mov_b32_e32 v21, 24
	v_lshlrev_b32_e32 v8, 20, v8
	v_lshl_add_u32 v13, v13, 23, 0x3c000000
	v_lshlrev_b32_sdwa v21, v21, v99 dst_sel:DWORD dst_unused:UNUSED_PAD src0_sel:DWORD src1_sel:WORD_1
	v_and_b32_e32 v21, 0x80000000, v21
	v_or3_b32 v8, v8, v21, v13
	v_mov_b32_e32 v22, v9
	v_mov_b32_e32 v21, v8
.LBB189_1870:                           ;   in Loop: Header=BB189_1065 Depth=1
	s_or_b32 exec_lo, exec_lo, s20
.LBB189_1871:                           ;   in Loop: Header=BB189_1065 Depth=1
	s_or_b32 exec_lo, exec_lo, s17
.LBB189_1872:                           ;   in Loop: Header=BB189_1065 Depth=1
	s_or_b32 exec_lo, exec_lo, s15
	s_mov_b32 s15, exec_lo
	v_cmpx_lt_u32_e32 0xffffff, v99
	s_cbranch_execz .LBB189_1880
; %bb.1873:                             ;   in Loop: Header=BB189_1065 Depth=1
	v_mov_b32_e32 v11, v9
	v_cmp_ne_u32_sdwa s4, v99, v98 src0_sel:BYTE_3 src1_sel:DWORD
	v_mov_b32_e32 v10, v11
	v_mov_b32_e32 v11, v12
	s_and_saveexec_b32 s17, s4
	s_cbranch_execz .LBB189_1879
; %bb.1874:                             ;   in Loop: Header=BB189_1065 Depth=1
	v_mov_b32_e32 v13, v9
	v_bfe_u32 v101, v99, 24, 7
	s_mov_b32 s20, exec_lo
	v_mov_b32_e32 v10, v13
	v_mov_b32_e32 v11, v14
	v_cmpx_ne_u32_e32 0x7f, v101
	s_cbranch_execz .LBB189_1878
; %bb.1875:                             ;   in Loop: Header=BB189_1065 Depth=1
	v_mov_b32_e32 v8, 7
	v_lshrrev_b32_e32 v10, 3, v101
	s_mov_b32 s21, exec_lo
	v_and_b32_sdwa v8, v99, v8 dst_sel:DWORD dst_unused:UNUSED_PAD src0_sel:BYTE_3 src1_sel:DWORD
	v_cmpx_gt_u32_e32 8, v101
; %bb.1876:                             ;   in Loop: Header=BB189_1065 Depth=1
	v_ffbh_u32_e32 v10, v8
	v_min_u32_e32 v10, 32, v10
	v_subrev_nc_u32_e32 v11, 28, v10
	v_sub_nc_u32_e32 v10, 29, v10
	v_lshlrev_b64 v[101:102], v11, v[8:9]
	v_and_b32_e32 v8, 7, v101
; %bb.1877:                             ;   in Loop: Header=BB189_1065 Depth=1
	s_or_b32 exec_lo, exec_lo, s21
	v_mov_b32_e32 v11, 24
	v_lshlrev_b32_e32 v8, 20, v8
	v_lshl_add_u32 v10, v10, 23, 0x3c000000
	v_lshlrev_b32_sdwa v11, v11, v99 dst_sel:DWORD dst_unused:UNUSED_PAD src0_sel:DWORD src1_sel:BYTE_3
	v_and_b32_e32 v11, 0x80000000, v11
	v_or3_b32 v11, v8, v11, v10
	v_mov_b32_e32 v10, v9
.LBB189_1878:                           ;   in Loop: Header=BB189_1065 Depth=1
	s_or_b32 exec_lo, exec_lo, s20
.LBB189_1879:                           ;   in Loop: Header=BB189_1065 Depth=1
	s_or_b32 exec_lo, exec_lo, s17
.LBB189_1880:                           ;   in Loop: Header=BB189_1065 Depth=1
	s_or_b32 exec_lo, exec_lo, s15
	v_or_b32_e32 v8, v18, v16
	v_or_b32_e32 v13, v17, v15
	;; [unrolled: 1-line block ×4, first 2 shown]
	v_mul_f32_e32 v45, v117, v8
	v_mul_f32_e32 v44, v117, v13
	;; [unrolled: 1-line block ×4, first 2 shown]
	s_and_saveexec_b32 s15, vcc_lo
	s_cbranch_execz .LBB189_1882
; %bb.1881:                             ;   in Loop: Header=BB189_1065 Depth=1
	v_cmp_lt_i32_e64 s4, v26, v119
	v_cndmask_b32_e64 v44, 0, v44, s4
	v_cmp_lt_i32_e64 s4, v42, v119
	v_cndmask_b32_e64 v45, 0, v45, s4
	;; [unrolled: 2-line block ×4, first 2 shown]
.LBB189_1882:                           ;   in Loop: Header=BB189_1065 Depth=1
	s_or_b32 exec_lo, exec_lo, s15
	flat_load_dword v99, v[0:1] offset:1024
	v_mov_b32_e32 v17, 0
	v_mov_b32_e32 v15, 0
	;; [unrolled: 1-line block ×4, first 2 shown]
	s_waitcnt vmcnt(0) lgkmcnt(0)
	v_cmp_ne_u16_sdwa s4, v99, v9 src0_sel:BYTE_0 src1_sel:DWORD
	s_and_saveexec_b32 s15, s4
	s_cbranch_execz .LBB189_1890
; %bb.1883:                             ;   in Loop: Header=BB189_1065 Depth=1
	v_bfrev_b32_e32 v15, 1
	v_mov_b32_e32 v16, 0
	v_cmp_ne_u16_sdwa s4, v99, v98 src0_sel:BYTE_0 src1_sel:DWORD
	s_and_saveexec_b32 s17, s4
	s_cbranch_execz .LBB189_1889
; %bb.1884:                             ;   in Loop: Header=BB189_1065 Depth=1
	v_mov_b32_e32 v15, 0x7f800001
	v_and_b32_e32 v11, 0x7f, v99
	v_mov_b32_e32 v16, 0
	s_mov_b32 s20, exec_lo
	v_cmpx_ne_u32_e32 0x7f, v11
	s_cbranch_execz .LBB189_1888
; %bb.1885:                             ;   in Loop: Header=BB189_1065 Depth=1
	v_and_b32_e32 v8, 7, v99
	v_lshrrev_b32_e32 v10, 3, v11
	s_mov_b32 s21, exec_lo
	v_cmpx_gt_u32_e32 8, v11
; %bb.1886:                             ;   in Loop: Header=BB189_1065 Depth=1
	v_ffbh_u32_e32 v10, v8
	v_min_u32_e32 v10, 32, v10
	v_subrev_nc_u32_e32 v11, 28, v10
	v_sub_nc_u32_e32 v10, 29, v10
	v_lshlrev_b64 v[15:16], v11, v[8:9]
	v_and_b32_e32 v8, 7, v15
; %bb.1887:                             ;   in Loop: Header=BB189_1065 Depth=1
	s_or_b32 exec_lo, exec_lo, s21
	v_lshlrev_b32_e32 v11, 24, v99
	v_lshlrev_b32_e32 v8, 20, v8
	v_lshl_add_u32 v10, v10, 23, 0x3c000000
	v_and_b32_e32 v11, 0x80000000, v11
	v_or3_b32 v8, v8, v11, v10
	v_mov_b32_e32 v16, v9
	v_mov_b32_e32 v15, v8
.LBB189_1888:                           ;   in Loop: Header=BB189_1065 Depth=1
	s_or_b32 exec_lo, exec_lo, s20
.LBB189_1889:                           ;   in Loop: Header=BB189_1065 Depth=1
	s_or_b32 exec_lo, exec_lo, s17
.LBB189_1890:                           ;   in Loop: Header=BB189_1065 Depth=1
	s_or_b32 exec_lo, exec_lo, s15
	v_cmp_ne_u16_sdwa s4, v99, v9 src0_sel:BYTE_1 src1_sel:DWORD
	s_and_saveexec_b32 s15, s4
	s_cbranch_execz .LBB189_1898
; %bb.1891:                             ;   in Loop: Header=BB189_1065 Depth=1
	v_mov_b32_e32 v11, v9
	v_mov_b32_e32 v18, v12
	v_cmp_ne_u16_sdwa s4, v99, v98 src0_sel:BYTE_1 src1_sel:DWORD
	v_mov_b32_e32 v17, v11
	s_and_saveexec_b32 s17, s4
	s_cbranch_execz .LBB189_1897
; %bb.1892:                             ;   in Loop: Header=BB189_1065 Depth=1
	v_mov_b32_e32 v8, 0xffff
	v_mov_b32_e32 v13, v9
	;; [unrolled: 1-line block ×3, first 2 shown]
	s_mov_b32 s20, exec_lo
	v_and_b32_sdwa v8, v8, v99 dst_sel:DWORD dst_unused:UNUSED_PAD src0_sel:DWORD src1_sel:BYTE_1
	v_mov_b32_e32 v17, v13
	v_and_b32_e32 v11, 0x7f, v8
	v_cmpx_ne_u32_e32 0x7f, v11
	s_cbranch_execz .LBB189_1896
; %bb.1893:                             ;   in Loop: Header=BB189_1065 Depth=1
	v_and_b32_e32 v8, 7, v8
	v_lshrrev_b32_e32 v10, 3, v11
	s_mov_b32 s21, exec_lo
	v_cmpx_gt_u32_e32 8, v11
; %bb.1894:                             ;   in Loop: Header=BB189_1065 Depth=1
	v_ffbh_u32_e32 v10, v8
	v_min_u32_e32 v10, 32, v10
	v_subrev_nc_u32_e32 v11, 28, v10
	v_sub_nc_u32_e32 v10, 29, v10
	v_lshlrev_b64 v[17:18], v11, v[8:9]
	v_and_b32_e32 v8, 7, v17
; %bb.1895:                             ;   in Loop: Header=BB189_1065 Depth=1
	s_or_b32 exec_lo, exec_lo, s21
	v_lshlrev_b32_e32 v11, 16, v99
	v_lshlrev_b32_e32 v8, 20, v8
	v_lshl_add_u32 v10, v10, 23, 0x3c000000
	v_mov_b32_e32 v17, v9
	v_and_b32_e32 v11, 0x80000000, v11
	v_or3_b32 v18, v8, v11, v10
.LBB189_1896:                           ;   in Loop: Header=BB189_1065 Depth=1
	s_or_b32 exec_lo, exec_lo, s20
.LBB189_1897:                           ;   in Loop: Header=BB189_1065 Depth=1
	s_or_b32 exec_lo, exec_lo, s17
.LBB189_1898:                           ;   in Loop: Header=BB189_1065 Depth=1
	s_or_b32 exec_lo, exec_lo, s15
	v_mov_b32_e32 v10, 0
	v_mov_b32_e32 v21, 0
	v_and_b32_sdwa v8, v99, v100 dst_sel:DWORD dst_unused:UNUSED_PAD src0_sel:WORD_1 src1_sel:DWORD
	v_mov_b32_e32 v11, 0
	v_mov_b32_e32 v22, 0
	s_mov_b32 s15, exec_lo
	v_cmpx_ne_u16_e32 0, v8
	s_cbranch_execz .LBB189_1906
; %bb.1899:                             ;   in Loop: Header=BB189_1065 Depth=1
	v_bfrev_b32_e32 v21, 1
	v_mov_b32_e32 v22, 0
	s_mov_b32 s17, exec_lo
	v_cmpx_ne_u16_e32 0x80, v8
	s_cbranch_execz .LBB189_1905
; %bb.1900:                             ;   in Loop: Header=BB189_1065 Depth=1
	v_mov_b32_e32 v21, 0x7f800001
	v_bfe_u32 v101, v99, 16, 7
	v_mov_b32_e32 v22, 0
	s_mov_b32 s20, exec_lo
	v_cmpx_ne_u32_e32 0x7f, v101
	s_cbranch_execz .LBB189_1904
; %bb.1901:                             ;   in Loop: Header=BB189_1065 Depth=1
	v_mov_b32_e32 v8, 7
	v_lshrrev_b32_e32 v13, 3, v101
	s_mov_b32 s21, exec_lo
	v_and_b32_sdwa v8, v99, v8 dst_sel:DWORD dst_unused:UNUSED_PAD src0_sel:WORD_1 src1_sel:DWORD
	v_cmpx_gt_u32_e32 8, v101
; %bb.1902:                             ;   in Loop: Header=BB189_1065 Depth=1
	v_ffbh_u32_e32 v13, v8
	v_min_u32_e32 v13, 32, v13
	v_subrev_nc_u32_e32 v21, 28, v13
	v_sub_nc_u32_e32 v13, 29, v13
	v_lshlrev_b64 v[21:22], v21, v[8:9]
	v_and_b32_e32 v8, 7, v21
; %bb.1903:                             ;   in Loop: Header=BB189_1065 Depth=1
	s_or_b32 exec_lo, exec_lo, s21
	v_mov_b32_e32 v21, 24
	v_lshlrev_b32_e32 v8, 20, v8
	v_lshl_add_u32 v13, v13, 23, 0x3c000000
	v_lshlrev_b32_sdwa v21, v21, v99 dst_sel:DWORD dst_unused:UNUSED_PAD src0_sel:DWORD src1_sel:WORD_1
	v_and_b32_e32 v21, 0x80000000, v21
	v_or3_b32 v8, v8, v21, v13
	v_mov_b32_e32 v22, v9
	v_mov_b32_e32 v21, v8
.LBB189_1904:                           ;   in Loop: Header=BB189_1065 Depth=1
	s_or_b32 exec_lo, exec_lo, s20
.LBB189_1905:                           ;   in Loop: Header=BB189_1065 Depth=1
	s_or_b32 exec_lo, exec_lo, s17
.LBB189_1906:                           ;   in Loop: Header=BB189_1065 Depth=1
	s_or_b32 exec_lo, exec_lo, s15
	s_mov_b32 s15, exec_lo
	v_cmpx_lt_u32_e32 0xffffff, v99
	s_cbranch_execz .LBB189_1914
; %bb.1907:                             ;   in Loop: Header=BB189_1065 Depth=1
	v_mov_b32_e32 v11, v9
	v_cmp_ne_u32_sdwa s4, v99, v98 src0_sel:BYTE_3 src1_sel:DWORD
	v_mov_b32_e32 v10, v11
	v_mov_b32_e32 v11, v12
	s_and_saveexec_b32 s17, s4
	s_cbranch_execz .LBB189_1913
; %bb.1908:                             ;   in Loop: Header=BB189_1065 Depth=1
	v_mov_b32_e32 v13, v9
	v_bfe_u32 v101, v99, 24, 7
	s_mov_b32 s20, exec_lo
	v_mov_b32_e32 v10, v13
	v_mov_b32_e32 v11, v14
	v_cmpx_ne_u32_e32 0x7f, v101
	s_cbranch_execz .LBB189_1912
; %bb.1909:                             ;   in Loop: Header=BB189_1065 Depth=1
	v_mov_b32_e32 v8, 7
	v_lshrrev_b32_e32 v10, 3, v101
	s_mov_b32 s21, exec_lo
	v_and_b32_sdwa v8, v99, v8 dst_sel:DWORD dst_unused:UNUSED_PAD src0_sel:BYTE_3 src1_sel:DWORD
	v_cmpx_gt_u32_e32 8, v101
; %bb.1910:                             ;   in Loop: Header=BB189_1065 Depth=1
	v_ffbh_u32_e32 v10, v8
	v_min_u32_e32 v10, 32, v10
	v_subrev_nc_u32_e32 v11, 28, v10
	v_sub_nc_u32_e32 v10, 29, v10
	v_lshlrev_b64 v[101:102], v11, v[8:9]
	v_and_b32_e32 v8, 7, v101
; %bb.1911:                             ;   in Loop: Header=BB189_1065 Depth=1
	s_or_b32 exec_lo, exec_lo, s21
	v_mov_b32_e32 v11, 24
	v_lshlrev_b32_e32 v8, 20, v8
	v_lshl_add_u32 v10, v10, 23, 0x3c000000
	v_lshlrev_b32_sdwa v11, v11, v99 dst_sel:DWORD dst_unused:UNUSED_PAD src0_sel:DWORD src1_sel:BYTE_3
	v_and_b32_e32 v11, 0x80000000, v11
	v_or3_b32 v11, v8, v11, v10
	v_mov_b32_e32 v10, v9
.LBB189_1912:                           ;   in Loop: Header=BB189_1065 Depth=1
	s_or_b32 exec_lo, exec_lo, s20
.LBB189_1913:                           ;   in Loop: Header=BB189_1065 Depth=1
	s_or_b32 exec_lo, exec_lo, s17
.LBB189_1914:                           ;   in Loop: Header=BB189_1065 Depth=1
	s_or_b32 exec_lo, exec_lo, s15
	v_or_b32_e32 v8, v18, v16
	v_or_b32_e32 v13, v17, v15
	;; [unrolled: 1-line block ×4, first 2 shown]
	v_mul_f32_e32 v57, v117, v8
	v_mul_f32_e32 v56, v117, v13
	v_mul_f32_e32 v47, v117, v10
	v_mul_f32_e32 v46, v117, v11
	s_and_saveexec_b32 s15, vcc_lo
	s_cbranch_execz .LBB189_1916
; %bb.1915:                             ;   in Loop: Header=BB189_1065 Depth=1
	v_cmp_lt_i32_e64 s4, v26, v119
	v_cndmask_b32_e64 v56, 0, v56, s4
	v_cmp_lt_i32_e64 s4, v42, v119
	v_cndmask_b32_e64 v57, 0, v57, s4
	;; [unrolled: 2-line block ×4, first 2 shown]
.LBB189_1916:                           ;   in Loop: Header=BB189_1065 Depth=1
	s_or_b32 exec_lo, exec_lo, s15
	flat_load_dword v99, v[0:1] offset:1152
	v_mov_b32_e32 v17, 0
	v_mov_b32_e32 v15, 0
	;; [unrolled: 1-line block ×4, first 2 shown]
	s_waitcnt vmcnt(0) lgkmcnt(0)
	v_cmp_ne_u16_sdwa s4, v99, v9 src0_sel:BYTE_0 src1_sel:DWORD
	s_and_saveexec_b32 s15, s4
	s_cbranch_execz .LBB189_1924
; %bb.1917:                             ;   in Loop: Header=BB189_1065 Depth=1
	v_bfrev_b32_e32 v15, 1
	v_mov_b32_e32 v16, 0
	v_cmp_ne_u16_sdwa s4, v99, v98 src0_sel:BYTE_0 src1_sel:DWORD
	s_and_saveexec_b32 s17, s4
	s_cbranch_execz .LBB189_1923
; %bb.1918:                             ;   in Loop: Header=BB189_1065 Depth=1
	v_mov_b32_e32 v15, 0x7f800001
	v_and_b32_e32 v11, 0x7f, v99
	v_mov_b32_e32 v16, 0
	s_mov_b32 s20, exec_lo
	v_cmpx_ne_u32_e32 0x7f, v11
	s_cbranch_execz .LBB189_1922
; %bb.1919:                             ;   in Loop: Header=BB189_1065 Depth=1
	v_and_b32_e32 v8, 7, v99
	v_lshrrev_b32_e32 v10, 3, v11
	s_mov_b32 s21, exec_lo
	v_cmpx_gt_u32_e32 8, v11
; %bb.1920:                             ;   in Loop: Header=BB189_1065 Depth=1
	v_ffbh_u32_e32 v10, v8
	v_min_u32_e32 v10, 32, v10
	v_subrev_nc_u32_e32 v11, 28, v10
	v_sub_nc_u32_e32 v10, 29, v10
	v_lshlrev_b64 v[15:16], v11, v[8:9]
	v_and_b32_e32 v8, 7, v15
; %bb.1921:                             ;   in Loop: Header=BB189_1065 Depth=1
	s_or_b32 exec_lo, exec_lo, s21
	v_lshlrev_b32_e32 v11, 24, v99
	v_lshlrev_b32_e32 v8, 20, v8
	v_lshl_add_u32 v10, v10, 23, 0x3c000000
	v_and_b32_e32 v11, 0x80000000, v11
	v_or3_b32 v8, v8, v11, v10
	v_mov_b32_e32 v16, v9
	v_mov_b32_e32 v15, v8
.LBB189_1922:                           ;   in Loop: Header=BB189_1065 Depth=1
	s_or_b32 exec_lo, exec_lo, s20
.LBB189_1923:                           ;   in Loop: Header=BB189_1065 Depth=1
	s_or_b32 exec_lo, exec_lo, s17
.LBB189_1924:                           ;   in Loop: Header=BB189_1065 Depth=1
	s_or_b32 exec_lo, exec_lo, s15
	v_cmp_ne_u16_sdwa s4, v99, v9 src0_sel:BYTE_1 src1_sel:DWORD
	s_and_saveexec_b32 s15, s4
	s_cbranch_execz .LBB189_1932
; %bb.1925:                             ;   in Loop: Header=BB189_1065 Depth=1
	v_mov_b32_e32 v11, v9
	v_mov_b32_e32 v18, v12
	v_cmp_ne_u16_sdwa s4, v99, v98 src0_sel:BYTE_1 src1_sel:DWORD
	v_mov_b32_e32 v17, v11
	s_and_saveexec_b32 s17, s4
	s_cbranch_execz .LBB189_1931
; %bb.1926:                             ;   in Loop: Header=BB189_1065 Depth=1
	v_mov_b32_e32 v8, 0xffff
	v_mov_b32_e32 v13, v9
	;; [unrolled: 1-line block ×3, first 2 shown]
	s_mov_b32 s20, exec_lo
	v_and_b32_sdwa v8, v8, v99 dst_sel:DWORD dst_unused:UNUSED_PAD src0_sel:DWORD src1_sel:BYTE_1
	v_mov_b32_e32 v17, v13
	v_and_b32_e32 v11, 0x7f, v8
	v_cmpx_ne_u32_e32 0x7f, v11
	s_cbranch_execz .LBB189_1930
; %bb.1927:                             ;   in Loop: Header=BB189_1065 Depth=1
	v_and_b32_e32 v8, 7, v8
	v_lshrrev_b32_e32 v10, 3, v11
	s_mov_b32 s21, exec_lo
	v_cmpx_gt_u32_e32 8, v11
; %bb.1928:                             ;   in Loop: Header=BB189_1065 Depth=1
	v_ffbh_u32_e32 v10, v8
	v_min_u32_e32 v10, 32, v10
	v_subrev_nc_u32_e32 v11, 28, v10
	v_sub_nc_u32_e32 v10, 29, v10
	v_lshlrev_b64 v[17:18], v11, v[8:9]
	v_and_b32_e32 v8, 7, v17
; %bb.1929:                             ;   in Loop: Header=BB189_1065 Depth=1
	s_or_b32 exec_lo, exec_lo, s21
	v_lshlrev_b32_e32 v11, 16, v99
	v_lshlrev_b32_e32 v8, 20, v8
	v_lshl_add_u32 v10, v10, 23, 0x3c000000
	v_mov_b32_e32 v17, v9
	v_and_b32_e32 v11, 0x80000000, v11
	v_or3_b32 v18, v8, v11, v10
.LBB189_1930:                           ;   in Loop: Header=BB189_1065 Depth=1
	s_or_b32 exec_lo, exec_lo, s20
.LBB189_1931:                           ;   in Loop: Header=BB189_1065 Depth=1
	s_or_b32 exec_lo, exec_lo, s17
.LBB189_1932:                           ;   in Loop: Header=BB189_1065 Depth=1
	s_or_b32 exec_lo, exec_lo, s15
	v_mov_b32_e32 v10, 0
	v_mov_b32_e32 v21, 0
	v_and_b32_sdwa v8, v99, v100 dst_sel:DWORD dst_unused:UNUSED_PAD src0_sel:WORD_1 src1_sel:DWORD
	v_mov_b32_e32 v11, 0
	v_mov_b32_e32 v22, 0
	s_mov_b32 s15, exec_lo
	v_cmpx_ne_u16_e32 0, v8
	s_cbranch_execz .LBB189_1940
; %bb.1933:                             ;   in Loop: Header=BB189_1065 Depth=1
	v_bfrev_b32_e32 v21, 1
	v_mov_b32_e32 v22, 0
	s_mov_b32 s17, exec_lo
	v_cmpx_ne_u16_e32 0x80, v8
	s_cbranch_execz .LBB189_1939
; %bb.1934:                             ;   in Loop: Header=BB189_1065 Depth=1
	v_mov_b32_e32 v21, 0x7f800001
	v_bfe_u32 v101, v99, 16, 7
	v_mov_b32_e32 v22, 0
	s_mov_b32 s20, exec_lo
	v_cmpx_ne_u32_e32 0x7f, v101
	s_cbranch_execz .LBB189_1938
; %bb.1935:                             ;   in Loop: Header=BB189_1065 Depth=1
	v_mov_b32_e32 v8, 7
	v_lshrrev_b32_e32 v13, 3, v101
	s_mov_b32 s21, exec_lo
	v_and_b32_sdwa v8, v99, v8 dst_sel:DWORD dst_unused:UNUSED_PAD src0_sel:WORD_1 src1_sel:DWORD
	v_cmpx_gt_u32_e32 8, v101
; %bb.1936:                             ;   in Loop: Header=BB189_1065 Depth=1
	v_ffbh_u32_e32 v13, v8
	v_min_u32_e32 v13, 32, v13
	v_subrev_nc_u32_e32 v21, 28, v13
	v_sub_nc_u32_e32 v13, 29, v13
	v_lshlrev_b64 v[21:22], v21, v[8:9]
	v_and_b32_e32 v8, 7, v21
; %bb.1937:                             ;   in Loop: Header=BB189_1065 Depth=1
	s_or_b32 exec_lo, exec_lo, s21
	v_mov_b32_e32 v21, 24
	v_lshlrev_b32_e32 v8, 20, v8
	v_lshl_add_u32 v13, v13, 23, 0x3c000000
	v_lshlrev_b32_sdwa v21, v21, v99 dst_sel:DWORD dst_unused:UNUSED_PAD src0_sel:DWORD src1_sel:WORD_1
	v_and_b32_e32 v21, 0x80000000, v21
	v_or3_b32 v8, v8, v21, v13
	v_mov_b32_e32 v22, v9
	v_mov_b32_e32 v21, v8
.LBB189_1938:                           ;   in Loop: Header=BB189_1065 Depth=1
	s_or_b32 exec_lo, exec_lo, s20
.LBB189_1939:                           ;   in Loop: Header=BB189_1065 Depth=1
	s_or_b32 exec_lo, exec_lo, s17
.LBB189_1940:                           ;   in Loop: Header=BB189_1065 Depth=1
	s_or_b32 exec_lo, exec_lo, s15
	s_mov_b32 s15, exec_lo
	v_cmpx_lt_u32_e32 0xffffff, v99
	s_cbranch_execz .LBB189_1948
; %bb.1941:                             ;   in Loop: Header=BB189_1065 Depth=1
	v_mov_b32_e32 v11, v9
	v_cmp_ne_u32_sdwa s4, v99, v98 src0_sel:BYTE_3 src1_sel:DWORD
	v_mov_b32_e32 v10, v11
	v_mov_b32_e32 v11, v12
	s_and_saveexec_b32 s17, s4
	s_cbranch_execz .LBB189_1947
; %bb.1942:                             ;   in Loop: Header=BB189_1065 Depth=1
	v_mov_b32_e32 v13, v9
	v_bfe_u32 v101, v99, 24, 7
	s_mov_b32 s20, exec_lo
	v_mov_b32_e32 v10, v13
	v_mov_b32_e32 v11, v14
	v_cmpx_ne_u32_e32 0x7f, v101
	s_cbranch_execz .LBB189_1946
; %bb.1943:                             ;   in Loop: Header=BB189_1065 Depth=1
	v_mov_b32_e32 v8, 7
	v_lshrrev_b32_e32 v10, 3, v101
	s_mov_b32 s21, exec_lo
	v_and_b32_sdwa v8, v99, v8 dst_sel:DWORD dst_unused:UNUSED_PAD src0_sel:BYTE_3 src1_sel:DWORD
	v_cmpx_gt_u32_e32 8, v101
; %bb.1944:                             ;   in Loop: Header=BB189_1065 Depth=1
	v_ffbh_u32_e32 v10, v8
	v_min_u32_e32 v10, 32, v10
	v_subrev_nc_u32_e32 v11, 28, v10
	v_sub_nc_u32_e32 v10, 29, v10
	v_lshlrev_b64 v[101:102], v11, v[8:9]
	v_and_b32_e32 v8, 7, v101
; %bb.1945:                             ;   in Loop: Header=BB189_1065 Depth=1
	s_or_b32 exec_lo, exec_lo, s21
	v_mov_b32_e32 v11, 24
	v_lshlrev_b32_e32 v8, 20, v8
	v_lshl_add_u32 v10, v10, 23, 0x3c000000
	v_lshlrev_b32_sdwa v11, v11, v99 dst_sel:DWORD dst_unused:UNUSED_PAD src0_sel:DWORD src1_sel:BYTE_3
	v_and_b32_e32 v11, 0x80000000, v11
	v_or3_b32 v11, v8, v11, v10
	v_mov_b32_e32 v10, v9
.LBB189_1946:                           ;   in Loop: Header=BB189_1065 Depth=1
	s_or_b32 exec_lo, exec_lo, s20
.LBB189_1947:                           ;   in Loop: Header=BB189_1065 Depth=1
	s_or_b32 exec_lo, exec_lo, s17
.LBB189_1948:                           ;   in Loop: Header=BB189_1065 Depth=1
	s_or_b32 exec_lo, exec_lo, s15
	v_or_b32_e32 v8, v18, v16
	v_or_b32_e32 v13, v17, v15
	;; [unrolled: 1-line block ×4, first 2 shown]
	v_mul_f32_e32 v61, v117, v8
	v_mul_f32_e32 v60, v117, v13
	;; [unrolled: 1-line block ×4, first 2 shown]
	s_and_saveexec_b32 s15, vcc_lo
	s_cbranch_execz .LBB189_1950
; %bb.1949:                             ;   in Loop: Header=BB189_1065 Depth=1
	v_cmp_lt_i32_e64 s4, v26, v119
	v_cndmask_b32_e64 v60, 0, v60, s4
	v_cmp_lt_i32_e64 s4, v42, v119
	v_cndmask_b32_e64 v61, 0, v61, s4
	;; [unrolled: 2-line block ×4, first 2 shown]
.LBB189_1950:                           ;   in Loop: Header=BB189_1065 Depth=1
	s_or_b32 exec_lo, exec_lo, s15
	flat_load_dword v99, v[0:1] offset:1280
	v_mov_b32_e32 v17, 0
	v_mov_b32_e32 v15, 0
	;; [unrolled: 1-line block ×4, first 2 shown]
	s_waitcnt vmcnt(0) lgkmcnt(0)
	v_cmp_ne_u16_sdwa s4, v99, v9 src0_sel:BYTE_0 src1_sel:DWORD
	s_and_saveexec_b32 s15, s4
	s_cbranch_execz .LBB189_1958
; %bb.1951:                             ;   in Loop: Header=BB189_1065 Depth=1
	v_bfrev_b32_e32 v15, 1
	v_mov_b32_e32 v16, 0
	v_cmp_ne_u16_sdwa s4, v99, v98 src0_sel:BYTE_0 src1_sel:DWORD
	s_and_saveexec_b32 s17, s4
	s_cbranch_execz .LBB189_1957
; %bb.1952:                             ;   in Loop: Header=BB189_1065 Depth=1
	v_mov_b32_e32 v15, 0x7f800001
	v_and_b32_e32 v11, 0x7f, v99
	v_mov_b32_e32 v16, 0
	s_mov_b32 s20, exec_lo
	v_cmpx_ne_u32_e32 0x7f, v11
	s_cbranch_execz .LBB189_1956
; %bb.1953:                             ;   in Loop: Header=BB189_1065 Depth=1
	v_and_b32_e32 v8, 7, v99
	v_lshrrev_b32_e32 v10, 3, v11
	s_mov_b32 s21, exec_lo
	v_cmpx_gt_u32_e32 8, v11
; %bb.1954:                             ;   in Loop: Header=BB189_1065 Depth=1
	v_ffbh_u32_e32 v10, v8
	v_min_u32_e32 v10, 32, v10
	v_subrev_nc_u32_e32 v11, 28, v10
	v_sub_nc_u32_e32 v10, 29, v10
	v_lshlrev_b64 v[15:16], v11, v[8:9]
	v_and_b32_e32 v8, 7, v15
; %bb.1955:                             ;   in Loop: Header=BB189_1065 Depth=1
	s_or_b32 exec_lo, exec_lo, s21
	v_lshlrev_b32_e32 v11, 24, v99
	v_lshlrev_b32_e32 v8, 20, v8
	v_lshl_add_u32 v10, v10, 23, 0x3c000000
	v_and_b32_e32 v11, 0x80000000, v11
	v_or3_b32 v8, v8, v11, v10
	v_mov_b32_e32 v16, v9
	v_mov_b32_e32 v15, v8
.LBB189_1956:                           ;   in Loop: Header=BB189_1065 Depth=1
	s_or_b32 exec_lo, exec_lo, s20
.LBB189_1957:                           ;   in Loop: Header=BB189_1065 Depth=1
	s_or_b32 exec_lo, exec_lo, s17
.LBB189_1958:                           ;   in Loop: Header=BB189_1065 Depth=1
	s_or_b32 exec_lo, exec_lo, s15
	v_cmp_ne_u16_sdwa s4, v99, v9 src0_sel:BYTE_1 src1_sel:DWORD
	s_and_saveexec_b32 s15, s4
	s_cbranch_execz .LBB189_1966
; %bb.1959:                             ;   in Loop: Header=BB189_1065 Depth=1
	v_mov_b32_e32 v11, v9
	v_mov_b32_e32 v18, v12
	v_cmp_ne_u16_sdwa s4, v99, v98 src0_sel:BYTE_1 src1_sel:DWORD
	v_mov_b32_e32 v17, v11
	s_and_saveexec_b32 s17, s4
	s_cbranch_execz .LBB189_1965
; %bb.1960:                             ;   in Loop: Header=BB189_1065 Depth=1
	v_mov_b32_e32 v8, 0xffff
	v_mov_b32_e32 v13, v9
	;; [unrolled: 1-line block ×3, first 2 shown]
	s_mov_b32 s20, exec_lo
	v_and_b32_sdwa v8, v8, v99 dst_sel:DWORD dst_unused:UNUSED_PAD src0_sel:DWORD src1_sel:BYTE_1
	v_mov_b32_e32 v17, v13
	v_and_b32_e32 v11, 0x7f, v8
	v_cmpx_ne_u32_e32 0x7f, v11
	s_cbranch_execz .LBB189_1964
; %bb.1961:                             ;   in Loop: Header=BB189_1065 Depth=1
	v_and_b32_e32 v8, 7, v8
	v_lshrrev_b32_e32 v10, 3, v11
	s_mov_b32 s21, exec_lo
	v_cmpx_gt_u32_e32 8, v11
; %bb.1962:                             ;   in Loop: Header=BB189_1065 Depth=1
	v_ffbh_u32_e32 v10, v8
	v_min_u32_e32 v10, 32, v10
	v_subrev_nc_u32_e32 v11, 28, v10
	v_sub_nc_u32_e32 v10, 29, v10
	v_lshlrev_b64 v[17:18], v11, v[8:9]
	v_and_b32_e32 v8, 7, v17
; %bb.1963:                             ;   in Loop: Header=BB189_1065 Depth=1
	s_or_b32 exec_lo, exec_lo, s21
	v_lshlrev_b32_e32 v11, 16, v99
	v_lshlrev_b32_e32 v8, 20, v8
	v_lshl_add_u32 v10, v10, 23, 0x3c000000
	v_mov_b32_e32 v17, v9
	v_and_b32_e32 v11, 0x80000000, v11
	v_or3_b32 v18, v8, v11, v10
.LBB189_1964:                           ;   in Loop: Header=BB189_1065 Depth=1
	s_or_b32 exec_lo, exec_lo, s20
.LBB189_1965:                           ;   in Loop: Header=BB189_1065 Depth=1
	s_or_b32 exec_lo, exec_lo, s17
.LBB189_1966:                           ;   in Loop: Header=BB189_1065 Depth=1
	s_or_b32 exec_lo, exec_lo, s15
	v_mov_b32_e32 v10, 0
	v_mov_b32_e32 v21, 0
	v_and_b32_sdwa v8, v99, v100 dst_sel:DWORD dst_unused:UNUSED_PAD src0_sel:WORD_1 src1_sel:DWORD
	v_mov_b32_e32 v11, 0
	v_mov_b32_e32 v22, 0
	s_mov_b32 s15, exec_lo
	v_cmpx_ne_u16_e32 0, v8
	s_cbranch_execz .LBB189_1974
; %bb.1967:                             ;   in Loop: Header=BB189_1065 Depth=1
	v_bfrev_b32_e32 v21, 1
	v_mov_b32_e32 v22, 0
	s_mov_b32 s17, exec_lo
	v_cmpx_ne_u16_e32 0x80, v8
	s_cbranch_execz .LBB189_1973
; %bb.1968:                             ;   in Loop: Header=BB189_1065 Depth=1
	v_mov_b32_e32 v21, 0x7f800001
	v_bfe_u32 v101, v99, 16, 7
	v_mov_b32_e32 v22, 0
	s_mov_b32 s20, exec_lo
	v_cmpx_ne_u32_e32 0x7f, v101
	s_cbranch_execz .LBB189_1972
; %bb.1969:                             ;   in Loop: Header=BB189_1065 Depth=1
	v_mov_b32_e32 v8, 7
	v_lshrrev_b32_e32 v13, 3, v101
	s_mov_b32 s21, exec_lo
	v_and_b32_sdwa v8, v99, v8 dst_sel:DWORD dst_unused:UNUSED_PAD src0_sel:WORD_1 src1_sel:DWORD
	v_cmpx_gt_u32_e32 8, v101
; %bb.1970:                             ;   in Loop: Header=BB189_1065 Depth=1
	v_ffbh_u32_e32 v13, v8
	v_min_u32_e32 v13, 32, v13
	v_subrev_nc_u32_e32 v21, 28, v13
	v_sub_nc_u32_e32 v13, 29, v13
	v_lshlrev_b64 v[21:22], v21, v[8:9]
	v_and_b32_e32 v8, 7, v21
; %bb.1971:                             ;   in Loop: Header=BB189_1065 Depth=1
	s_or_b32 exec_lo, exec_lo, s21
	v_mov_b32_e32 v21, 24
	v_lshlrev_b32_e32 v8, 20, v8
	v_lshl_add_u32 v13, v13, 23, 0x3c000000
	v_lshlrev_b32_sdwa v21, v21, v99 dst_sel:DWORD dst_unused:UNUSED_PAD src0_sel:DWORD src1_sel:WORD_1
	v_and_b32_e32 v21, 0x80000000, v21
	v_or3_b32 v8, v8, v21, v13
	v_mov_b32_e32 v22, v9
	v_mov_b32_e32 v21, v8
.LBB189_1972:                           ;   in Loop: Header=BB189_1065 Depth=1
	s_or_b32 exec_lo, exec_lo, s20
.LBB189_1973:                           ;   in Loop: Header=BB189_1065 Depth=1
	s_or_b32 exec_lo, exec_lo, s17
.LBB189_1974:                           ;   in Loop: Header=BB189_1065 Depth=1
	s_or_b32 exec_lo, exec_lo, s15
	s_mov_b32 s15, exec_lo
	v_cmpx_lt_u32_e32 0xffffff, v99
	s_cbranch_execz .LBB189_1982
; %bb.1975:                             ;   in Loop: Header=BB189_1065 Depth=1
	v_mov_b32_e32 v11, v9
	v_cmp_ne_u32_sdwa s4, v99, v98 src0_sel:BYTE_3 src1_sel:DWORD
	v_mov_b32_e32 v10, v11
	v_mov_b32_e32 v11, v12
	s_and_saveexec_b32 s17, s4
	s_cbranch_execz .LBB189_1981
; %bb.1976:                             ;   in Loop: Header=BB189_1065 Depth=1
	v_mov_b32_e32 v13, v9
	v_bfe_u32 v101, v99, 24, 7
	s_mov_b32 s20, exec_lo
	v_mov_b32_e32 v10, v13
	v_mov_b32_e32 v11, v14
	v_cmpx_ne_u32_e32 0x7f, v101
	s_cbranch_execz .LBB189_1980
; %bb.1977:                             ;   in Loop: Header=BB189_1065 Depth=1
	v_mov_b32_e32 v8, 7
	v_lshrrev_b32_e32 v10, 3, v101
	s_mov_b32 s21, exec_lo
	v_and_b32_sdwa v8, v99, v8 dst_sel:DWORD dst_unused:UNUSED_PAD src0_sel:BYTE_3 src1_sel:DWORD
	v_cmpx_gt_u32_e32 8, v101
; %bb.1978:                             ;   in Loop: Header=BB189_1065 Depth=1
	v_ffbh_u32_e32 v10, v8
	v_min_u32_e32 v10, 32, v10
	v_subrev_nc_u32_e32 v11, 28, v10
	v_sub_nc_u32_e32 v10, 29, v10
	v_lshlrev_b64 v[101:102], v11, v[8:9]
	v_and_b32_e32 v8, 7, v101
; %bb.1979:                             ;   in Loop: Header=BB189_1065 Depth=1
	s_or_b32 exec_lo, exec_lo, s21
	v_mov_b32_e32 v11, 24
	v_lshlrev_b32_e32 v8, 20, v8
	v_lshl_add_u32 v10, v10, 23, 0x3c000000
	v_lshlrev_b32_sdwa v11, v11, v99 dst_sel:DWORD dst_unused:UNUSED_PAD src0_sel:DWORD src1_sel:BYTE_3
	v_and_b32_e32 v11, 0x80000000, v11
	v_or3_b32 v11, v8, v11, v10
	v_mov_b32_e32 v10, v9
.LBB189_1980:                           ;   in Loop: Header=BB189_1065 Depth=1
	s_or_b32 exec_lo, exec_lo, s20
.LBB189_1981:                           ;   in Loop: Header=BB189_1065 Depth=1
	s_or_b32 exec_lo, exec_lo, s17
.LBB189_1982:                           ;   in Loop: Header=BB189_1065 Depth=1
	s_or_b32 exec_lo, exec_lo, s15
	v_or_b32_e32 v8, v18, v16
	v_or_b32_e32 v13, v17, v15
	;; [unrolled: 1-line block ×4, first 2 shown]
	v_mul_f32_e32 v73, v117, v8
	v_mul_f32_e32 v72, v117, v13
	;; [unrolled: 1-line block ×4, first 2 shown]
	s_and_saveexec_b32 s15, vcc_lo
	s_cbranch_execz .LBB189_1984
; %bb.1983:                             ;   in Loop: Header=BB189_1065 Depth=1
	v_cmp_lt_i32_e64 s4, v26, v119
	v_cndmask_b32_e64 v72, 0, v72, s4
	v_cmp_lt_i32_e64 s4, v42, v119
	v_cndmask_b32_e64 v73, 0, v73, s4
	;; [unrolled: 2-line block ×4, first 2 shown]
.LBB189_1984:                           ;   in Loop: Header=BB189_1065 Depth=1
	s_or_b32 exec_lo, exec_lo, s15
	flat_load_dword v99, v[0:1] offset:1408
	v_mov_b32_e32 v17, 0
	v_mov_b32_e32 v15, 0
	;; [unrolled: 1-line block ×4, first 2 shown]
	s_waitcnt vmcnt(0) lgkmcnt(0)
	v_cmp_ne_u16_sdwa s4, v99, v9 src0_sel:BYTE_0 src1_sel:DWORD
	s_and_saveexec_b32 s15, s4
	s_cbranch_execz .LBB189_1992
; %bb.1985:                             ;   in Loop: Header=BB189_1065 Depth=1
	v_bfrev_b32_e32 v15, 1
	v_mov_b32_e32 v16, 0
	v_cmp_ne_u16_sdwa s4, v99, v98 src0_sel:BYTE_0 src1_sel:DWORD
	s_and_saveexec_b32 s17, s4
	s_cbranch_execz .LBB189_1991
; %bb.1986:                             ;   in Loop: Header=BB189_1065 Depth=1
	v_mov_b32_e32 v15, 0x7f800001
	v_and_b32_e32 v11, 0x7f, v99
	v_mov_b32_e32 v16, 0
	s_mov_b32 s20, exec_lo
	v_cmpx_ne_u32_e32 0x7f, v11
	s_cbranch_execz .LBB189_1990
; %bb.1987:                             ;   in Loop: Header=BB189_1065 Depth=1
	v_and_b32_e32 v8, 7, v99
	v_lshrrev_b32_e32 v10, 3, v11
	s_mov_b32 s21, exec_lo
	v_cmpx_gt_u32_e32 8, v11
; %bb.1988:                             ;   in Loop: Header=BB189_1065 Depth=1
	v_ffbh_u32_e32 v10, v8
	v_min_u32_e32 v10, 32, v10
	v_subrev_nc_u32_e32 v11, 28, v10
	v_sub_nc_u32_e32 v10, 29, v10
	v_lshlrev_b64 v[15:16], v11, v[8:9]
	v_and_b32_e32 v8, 7, v15
; %bb.1989:                             ;   in Loop: Header=BB189_1065 Depth=1
	s_or_b32 exec_lo, exec_lo, s21
	v_lshlrev_b32_e32 v11, 24, v99
	v_lshlrev_b32_e32 v8, 20, v8
	v_lshl_add_u32 v10, v10, 23, 0x3c000000
	v_and_b32_e32 v11, 0x80000000, v11
	v_or3_b32 v8, v8, v11, v10
	v_mov_b32_e32 v16, v9
	v_mov_b32_e32 v15, v8
.LBB189_1990:                           ;   in Loop: Header=BB189_1065 Depth=1
	s_or_b32 exec_lo, exec_lo, s20
.LBB189_1991:                           ;   in Loop: Header=BB189_1065 Depth=1
	s_or_b32 exec_lo, exec_lo, s17
.LBB189_1992:                           ;   in Loop: Header=BB189_1065 Depth=1
	s_or_b32 exec_lo, exec_lo, s15
	v_cmp_ne_u16_sdwa s4, v99, v9 src0_sel:BYTE_1 src1_sel:DWORD
	s_and_saveexec_b32 s15, s4
	s_cbranch_execz .LBB189_2000
; %bb.1993:                             ;   in Loop: Header=BB189_1065 Depth=1
	v_mov_b32_e32 v11, v9
	v_mov_b32_e32 v18, v12
	v_cmp_ne_u16_sdwa s4, v99, v98 src0_sel:BYTE_1 src1_sel:DWORD
	v_mov_b32_e32 v17, v11
	s_and_saveexec_b32 s17, s4
	s_cbranch_execz .LBB189_1999
; %bb.1994:                             ;   in Loop: Header=BB189_1065 Depth=1
	v_mov_b32_e32 v8, 0xffff
	v_mov_b32_e32 v13, v9
	;; [unrolled: 1-line block ×3, first 2 shown]
	s_mov_b32 s20, exec_lo
	v_and_b32_sdwa v8, v8, v99 dst_sel:DWORD dst_unused:UNUSED_PAD src0_sel:DWORD src1_sel:BYTE_1
	v_mov_b32_e32 v17, v13
	v_and_b32_e32 v11, 0x7f, v8
	v_cmpx_ne_u32_e32 0x7f, v11
	s_cbranch_execz .LBB189_1998
; %bb.1995:                             ;   in Loop: Header=BB189_1065 Depth=1
	v_and_b32_e32 v8, 7, v8
	v_lshrrev_b32_e32 v10, 3, v11
	s_mov_b32 s21, exec_lo
	v_cmpx_gt_u32_e32 8, v11
; %bb.1996:                             ;   in Loop: Header=BB189_1065 Depth=1
	v_ffbh_u32_e32 v10, v8
	v_min_u32_e32 v10, 32, v10
	v_subrev_nc_u32_e32 v11, 28, v10
	v_sub_nc_u32_e32 v10, 29, v10
	v_lshlrev_b64 v[17:18], v11, v[8:9]
	v_and_b32_e32 v8, 7, v17
; %bb.1997:                             ;   in Loop: Header=BB189_1065 Depth=1
	s_or_b32 exec_lo, exec_lo, s21
	v_lshlrev_b32_e32 v11, 16, v99
	v_lshlrev_b32_e32 v8, 20, v8
	v_lshl_add_u32 v10, v10, 23, 0x3c000000
	v_mov_b32_e32 v17, v9
	v_and_b32_e32 v11, 0x80000000, v11
	v_or3_b32 v18, v8, v11, v10
.LBB189_1998:                           ;   in Loop: Header=BB189_1065 Depth=1
	s_or_b32 exec_lo, exec_lo, s20
.LBB189_1999:                           ;   in Loop: Header=BB189_1065 Depth=1
	s_or_b32 exec_lo, exec_lo, s17
.LBB189_2000:                           ;   in Loop: Header=BB189_1065 Depth=1
	s_or_b32 exec_lo, exec_lo, s15
	v_mov_b32_e32 v10, 0
	v_mov_b32_e32 v21, 0
	v_and_b32_sdwa v8, v99, v100 dst_sel:DWORD dst_unused:UNUSED_PAD src0_sel:WORD_1 src1_sel:DWORD
	v_mov_b32_e32 v11, 0
	v_mov_b32_e32 v22, 0
	s_mov_b32 s15, exec_lo
	v_cmpx_ne_u16_e32 0, v8
	s_cbranch_execz .LBB189_2008
; %bb.2001:                             ;   in Loop: Header=BB189_1065 Depth=1
	v_bfrev_b32_e32 v21, 1
	v_mov_b32_e32 v22, 0
	s_mov_b32 s17, exec_lo
	v_cmpx_ne_u16_e32 0x80, v8
	s_cbranch_execz .LBB189_2007
; %bb.2002:                             ;   in Loop: Header=BB189_1065 Depth=1
	v_mov_b32_e32 v21, 0x7f800001
	v_bfe_u32 v101, v99, 16, 7
	v_mov_b32_e32 v22, 0
	s_mov_b32 s20, exec_lo
	v_cmpx_ne_u32_e32 0x7f, v101
	s_cbranch_execz .LBB189_2006
; %bb.2003:                             ;   in Loop: Header=BB189_1065 Depth=1
	v_mov_b32_e32 v8, 7
	v_lshrrev_b32_e32 v13, 3, v101
	s_mov_b32 s21, exec_lo
	v_and_b32_sdwa v8, v99, v8 dst_sel:DWORD dst_unused:UNUSED_PAD src0_sel:WORD_1 src1_sel:DWORD
	v_cmpx_gt_u32_e32 8, v101
; %bb.2004:                             ;   in Loop: Header=BB189_1065 Depth=1
	v_ffbh_u32_e32 v13, v8
	v_min_u32_e32 v13, 32, v13
	v_subrev_nc_u32_e32 v21, 28, v13
	v_sub_nc_u32_e32 v13, 29, v13
	v_lshlrev_b64 v[21:22], v21, v[8:9]
	v_and_b32_e32 v8, 7, v21
; %bb.2005:                             ;   in Loop: Header=BB189_1065 Depth=1
	s_or_b32 exec_lo, exec_lo, s21
	v_mov_b32_e32 v21, 24
	v_lshlrev_b32_e32 v8, 20, v8
	v_lshl_add_u32 v13, v13, 23, 0x3c000000
	v_lshlrev_b32_sdwa v21, v21, v99 dst_sel:DWORD dst_unused:UNUSED_PAD src0_sel:DWORD src1_sel:WORD_1
	v_and_b32_e32 v21, 0x80000000, v21
	v_or3_b32 v8, v8, v21, v13
	v_mov_b32_e32 v22, v9
	v_mov_b32_e32 v21, v8
.LBB189_2006:                           ;   in Loop: Header=BB189_1065 Depth=1
	s_or_b32 exec_lo, exec_lo, s20
.LBB189_2007:                           ;   in Loop: Header=BB189_1065 Depth=1
	s_or_b32 exec_lo, exec_lo, s17
.LBB189_2008:                           ;   in Loop: Header=BB189_1065 Depth=1
	s_or_b32 exec_lo, exec_lo, s15
	s_mov_b32 s15, exec_lo
	v_cmpx_lt_u32_e32 0xffffff, v99
	s_cbranch_execz .LBB189_2016
; %bb.2009:                             ;   in Loop: Header=BB189_1065 Depth=1
	v_mov_b32_e32 v11, v9
	v_cmp_ne_u32_sdwa s4, v99, v98 src0_sel:BYTE_3 src1_sel:DWORD
	v_mov_b32_e32 v10, v11
	v_mov_b32_e32 v11, v12
	s_and_saveexec_b32 s17, s4
	s_cbranch_execz .LBB189_2015
; %bb.2010:                             ;   in Loop: Header=BB189_1065 Depth=1
	v_mov_b32_e32 v13, v9
	v_bfe_u32 v101, v99, 24, 7
	s_mov_b32 s20, exec_lo
	v_mov_b32_e32 v10, v13
	v_mov_b32_e32 v11, v14
	v_cmpx_ne_u32_e32 0x7f, v101
	s_cbranch_execz .LBB189_2014
; %bb.2011:                             ;   in Loop: Header=BB189_1065 Depth=1
	v_mov_b32_e32 v8, 7
	v_lshrrev_b32_e32 v10, 3, v101
	s_mov_b32 s21, exec_lo
	v_and_b32_sdwa v8, v99, v8 dst_sel:DWORD dst_unused:UNUSED_PAD src0_sel:BYTE_3 src1_sel:DWORD
	v_cmpx_gt_u32_e32 8, v101
; %bb.2012:                             ;   in Loop: Header=BB189_1065 Depth=1
	v_ffbh_u32_e32 v10, v8
	v_min_u32_e32 v10, 32, v10
	v_subrev_nc_u32_e32 v11, 28, v10
	v_sub_nc_u32_e32 v10, 29, v10
	v_lshlrev_b64 v[101:102], v11, v[8:9]
	v_and_b32_e32 v8, 7, v101
; %bb.2013:                             ;   in Loop: Header=BB189_1065 Depth=1
	s_or_b32 exec_lo, exec_lo, s21
	v_mov_b32_e32 v11, 24
	v_lshlrev_b32_e32 v8, 20, v8
	v_lshl_add_u32 v10, v10, 23, 0x3c000000
	v_lshlrev_b32_sdwa v11, v11, v99 dst_sel:DWORD dst_unused:UNUSED_PAD src0_sel:DWORD src1_sel:BYTE_3
	v_and_b32_e32 v11, 0x80000000, v11
	v_or3_b32 v11, v8, v11, v10
	v_mov_b32_e32 v10, v9
.LBB189_2014:                           ;   in Loop: Header=BB189_1065 Depth=1
	s_or_b32 exec_lo, exec_lo, s20
.LBB189_2015:                           ;   in Loop: Header=BB189_1065 Depth=1
	s_or_b32 exec_lo, exec_lo, s17
.LBB189_2016:                           ;   in Loop: Header=BB189_1065 Depth=1
	s_or_b32 exec_lo, exec_lo, s15
	v_or_b32_e32 v8, v18, v16
	v_or_b32_e32 v13, v17, v15
	;; [unrolled: 1-line block ×4, first 2 shown]
	v_mul_f32_e32 v77, v117, v8
	v_mul_f32_e32 v76, v117, v13
	;; [unrolled: 1-line block ×4, first 2 shown]
	s_and_saveexec_b32 s15, vcc_lo
	s_cbranch_execz .LBB189_2018
; %bb.2017:                             ;   in Loop: Header=BB189_1065 Depth=1
	v_cmp_lt_i32_e64 s4, v26, v119
	v_cndmask_b32_e64 v76, 0, v76, s4
	v_cmp_lt_i32_e64 s4, v42, v119
	v_cndmask_b32_e64 v77, 0, v77, s4
	;; [unrolled: 2-line block ×4, first 2 shown]
.LBB189_2018:                           ;   in Loop: Header=BB189_1065 Depth=1
	s_or_b32 exec_lo, exec_lo, s15
	flat_load_dword v99, v[0:1] offset:1536
	v_mov_b32_e32 v17, 0
	v_mov_b32_e32 v15, 0
	;; [unrolled: 1-line block ×4, first 2 shown]
	s_waitcnt vmcnt(0) lgkmcnt(0)
	v_cmp_ne_u16_sdwa s4, v99, v9 src0_sel:BYTE_0 src1_sel:DWORD
	s_and_saveexec_b32 s15, s4
	s_cbranch_execz .LBB189_2026
; %bb.2019:                             ;   in Loop: Header=BB189_1065 Depth=1
	v_bfrev_b32_e32 v15, 1
	v_mov_b32_e32 v16, 0
	v_cmp_ne_u16_sdwa s4, v99, v98 src0_sel:BYTE_0 src1_sel:DWORD
	s_and_saveexec_b32 s17, s4
	s_cbranch_execz .LBB189_2025
; %bb.2020:                             ;   in Loop: Header=BB189_1065 Depth=1
	v_mov_b32_e32 v15, 0x7f800001
	v_and_b32_e32 v11, 0x7f, v99
	v_mov_b32_e32 v16, 0
	s_mov_b32 s20, exec_lo
	v_cmpx_ne_u32_e32 0x7f, v11
	s_cbranch_execz .LBB189_2024
; %bb.2021:                             ;   in Loop: Header=BB189_1065 Depth=1
	v_and_b32_e32 v8, 7, v99
	v_lshrrev_b32_e32 v10, 3, v11
	s_mov_b32 s21, exec_lo
	v_cmpx_gt_u32_e32 8, v11
; %bb.2022:                             ;   in Loop: Header=BB189_1065 Depth=1
	v_ffbh_u32_e32 v10, v8
	v_min_u32_e32 v10, 32, v10
	v_subrev_nc_u32_e32 v11, 28, v10
	v_sub_nc_u32_e32 v10, 29, v10
	v_lshlrev_b64 v[15:16], v11, v[8:9]
	v_and_b32_e32 v8, 7, v15
; %bb.2023:                             ;   in Loop: Header=BB189_1065 Depth=1
	s_or_b32 exec_lo, exec_lo, s21
	v_lshlrev_b32_e32 v11, 24, v99
	v_lshlrev_b32_e32 v8, 20, v8
	v_lshl_add_u32 v10, v10, 23, 0x3c000000
	v_and_b32_e32 v11, 0x80000000, v11
	v_or3_b32 v8, v8, v11, v10
	v_mov_b32_e32 v16, v9
	v_mov_b32_e32 v15, v8
.LBB189_2024:                           ;   in Loop: Header=BB189_1065 Depth=1
	s_or_b32 exec_lo, exec_lo, s20
.LBB189_2025:                           ;   in Loop: Header=BB189_1065 Depth=1
	s_or_b32 exec_lo, exec_lo, s17
.LBB189_2026:                           ;   in Loop: Header=BB189_1065 Depth=1
	s_or_b32 exec_lo, exec_lo, s15
	v_cmp_ne_u16_sdwa s4, v99, v9 src0_sel:BYTE_1 src1_sel:DWORD
	s_and_saveexec_b32 s15, s4
	s_cbranch_execz .LBB189_2034
; %bb.2027:                             ;   in Loop: Header=BB189_1065 Depth=1
	v_mov_b32_e32 v11, v9
	v_mov_b32_e32 v18, v12
	v_cmp_ne_u16_sdwa s4, v99, v98 src0_sel:BYTE_1 src1_sel:DWORD
	v_mov_b32_e32 v17, v11
	s_and_saveexec_b32 s17, s4
	s_cbranch_execz .LBB189_2033
; %bb.2028:                             ;   in Loop: Header=BB189_1065 Depth=1
	v_mov_b32_e32 v8, 0xffff
	v_mov_b32_e32 v13, v9
	;; [unrolled: 1-line block ×3, first 2 shown]
	s_mov_b32 s20, exec_lo
	v_and_b32_sdwa v8, v8, v99 dst_sel:DWORD dst_unused:UNUSED_PAD src0_sel:DWORD src1_sel:BYTE_1
	v_mov_b32_e32 v17, v13
	v_and_b32_e32 v11, 0x7f, v8
	v_cmpx_ne_u32_e32 0x7f, v11
	s_cbranch_execz .LBB189_2032
; %bb.2029:                             ;   in Loop: Header=BB189_1065 Depth=1
	v_and_b32_e32 v8, 7, v8
	v_lshrrev_b32_e32 v10, 3, v11
	s_mov_b32 s21, exec_lo
	v_cmpx_gt_u32_e32 8, v11
; %bb.2030:                             ;   in Loop: Header=BB189_1065 Depth=1
	v_ffbh_u32_e32 v10, v8
	v_min_u32_e32 v10, 32, v10
	v_subrev_nc_u32_e32 v11, 28, v10
	v_sub_nc_u32_e32 v10, 29, v10
	v_lshlrev_b64 v[17:18], v11, v[8:9]
	v_and_b32_e32 v8, 7, v17
; %bb.2031:                             ;   in Loop: Header=BB189_1065 Depth=1
	s_or_b32 exec_lo, exec_lo, s21
	v_lshlrev_b32_e32 v11, 16, v99
	v_lshlrev_b32_e32 v8, 20, v8
	v_lshl_add_u32 v10, v10, 23, 0x3c000000
	v_mov_b32_e32 v17, v9
	v_and_b32_e32 v11, 0x80000000, v11
	v_or3_b32 v18, v8, v11, v10
.LBB189_2032:                           ;   in Loop: Header=BB189_1065 Depth=1
	s_or_b32 exec_lo, exec_lo, s20
.LBB189_2033:                           ;   in Loop: Header=BB189_1065 Depth=1
	s_or_b32 exec_lo, exec_lo, s17
.LBB189_2034:                           ;   in Loop: Header=BB189_1065 Depth=1
	s_or_b32 exec_lo, exec_lo, s15
	v_mov_b32_e32 v10, 0
	v_mov_b32_e32 v21, 0
	v_and_b32_sdwa v8, v99, v100 dst_sel:DWORD dst_unused:UNUSED_PAD src0_sel:WORD_1 src1_sel:DWORD
	v_mov_b32_e32 v11, 0
	v_mov_b32_e32 v22, 0
	s_mov_b32 s15, exec_lo
	v_cmpx_ne_u16_e32 0, v8
	s_cbranch_execz .LBB189_2042
; %bb.2035:                             ;   in Loop: Header=BB189_1065 Depth=1
	v_bfrev_b32_e32 v21, 1
	v_mov_b32_e32 v22, 0
	s_mov_b32 s17, exec_lo
	v_cmpx_ne_u16_e32 0x80, v8
	s_cbranch_execz .LBB189_2041
; %bb.2036:                             ;   in Loop: Header=BB189_1065 Depth=1
	v_mov_b32_e32 v21, 0x7f800001
	v_bfe_u32 v101, v99, 16, 7
	v_mov_b32_e32 v22, 0
	s_mov_b32 s20, exec_lo
	v_cmpx_ne_u32_e32 0x7f, v101
	s_cbranch_execz .LBB189_2040
; %bb.2037:                             ;   in Loop: Header=BB189_1065 Depth=1
	v_mov_b32_e32 v8, 7
	v_lshrrev_b32_e32 v13, 3, v101
	s_mov_b32 s21, exec_lo
	v_and_b32_sdwa v8, v99, v8 dst_sel:DWORD dst_unused:UNUSED_PAD src0_sel:WORD_1 src1_sel:DWORD
	v_cmpx_gt_u32_e32 8, v101
; %bb.2038:                             ;   in Loop: Header=BB189_1065 Depth=1
	v_ffbh_u32_e32 v13, v8
	v_min_u32_e32 v13, 32, v13
	v_subrev_nc_u32_e32 v21, 28, v13
	v_sub_nc_u32_e32 v13, 29, v13
	v_lshlrev_b64 v[21:22], v21, v[8:9]
	v_and_b32_e32 v8, 7, v21
; %bb.2039:                             ;   in Loop: Header=BB189_1065 Depth=1
	s_or_b32 exec_lo, exec_lo, s21
	v_mov_b32_e32 v21, 24
	v_lshlrev_b32_e32 v8, 20, v8
	v_lshl_add_u32 v13, v13, 23, 0x3c000000
	v_lshlrev_b32_sdwa v21, v21, v99 dst_sel:DWORD dst_unused:UNUSED_PAD src0_sel:DWORD src1_sel:WORD_1
	v_and_b32_e32 v21, 0x80000000, v21
	v_or3_b32 v8, v8, v21, v13
	v_mov_b32_e32 v22, v9
	v_mov_b32_e32 v21, v8
.LBB189_2040:                           ;   in Loop: Header=BB189_1065 Depth=1
	s_or_b32 exec_lo, exec_lo, s20
.LBB189_2041:                           ;   in Loop: Header=BB189_1065 Depth=1
	s_or_b32 exec_lo, exec_lo, s17
.LBB189_2042:                           ;   in Loop: Header=BB189_1065 Depth=1
	s_or_b32 exec_lo, exec_lo, s15
	s_mov_b32 s15, exec_lo
	v_cmpx_lt_u32_e32 0xffffff, v99
	s_cbranch_execz .LBB189_2050
; %bb.2043:                             ;   in Loop: Header=BB189_1065 Depth=1
	v_mov_b32_e32 v11, v9
	v_cmp_ne_u32_sdwa s4, v99, v98 src0_sel:BYTE_3 src1_sel:DWORD
	v_mov_b32_e32 v10, v11
	v_mov_b32_e32 v11, v12
	s_and_saveexec_b32 s17, s4
	s_cbranch_execz .LBB189_2049
; %bb.2044:                             ;   in Loop: Header=BB189_1065 Depth=1
	v_mov_b32_e32 v13, v9
	v_bfe_u32 v101, v99, 24, 7
	s_mov_b32 s20, exec_lo
	v_mov_b32_e32 v10, v13
	v_mov_b32_e32 v11, v14
	v_cmpx_ne_u32_e32 0x7f, v101
	s_cbranch_execz .LBB189_2048
; %bb.2045:                             ;   in Loop: Header=BB189_1065 Depth=1
	v_mov_b32_e32 v8, 7
	v_lshrrev_b32_e32 v10, 3, v101
	s_mov_b32 s21, exec_lo
	v_and_b32_sdwa v8, v99, v8 dst_sel:DWORD dst_unused:UNUSED_PAD src0_sel:BYTE_3 src1_sel:DWORD
	v_cmpx_gt_u32_e32 8, v101
; %bb.2046:                             ;   in Loop: Header=BB189_1065 Depth=1
	v_ffbh_u32_e32 v10, v8
	v_min_u32_e32 v10, 32, v10
	v_subrev_nc_u32_e32 v11, 28, v10
	v_sub_nc_u32_e32 v10, 29, v10
	v_lshlrev_b64 v[101:102], v11, v[8:9]
	v_and_b32_e32 v8, 7, v101
; %bb.2047:                             ;   in Loop: Header=BB189_1065 Depth=1
	s_or_b32 exec_lo, exec_lo, s21
	v_mov_b32_e32 v11, 24
	v_lshlrev_b32_e32 v8, 20, v8
	v_lshl_add_u32 v10, v10, 23, 0x3c000000
	v_lshlrev_b32_sdwa v11, v11, v99 dst_sel:DWORD dst_unused:UNUSED_PAD src0_sel:DWORD src1_sel:BYTE_3
	v_and_b32_e32 v11, 0x80000000, v11
	v_or3_b32 v11, v8, v11, v10
	v_mov_b32_e32 v10, v9
.LBB189_2048:                           ;   in Loop: Header=BB189_1065 Depth=1
	s_or_b32 exec_lo, exec_lo, s20
.LBB189_2049:                           ;   in Loop: Header=BB189_1065 Depth=1
	s_or_b32 exec_lo, exec_lo, s17
.LBB189_2050:                           ;   in Loop: Header=BB189_1065 Depth=1
	s_or_b32 exec_lo, exec_lo, s15
	v_or_b32_e32 v8, v18, v16
	v_or_b32_e32 v13, v17, v15
	;; [unrolled: 1-line block ×4, first 2 shown]
	v_mul_f32_e32 v89, v117, v8
	v_mul_f32_e32 v88, v117, v13
	;; [unrolled: 1-line block ×4, first 2 shown]
	s_and_saveexec_b32 s15, vcc_lo
	s_cbranch_execz .LBB189_2052
; %bb.2051:                             ;   in Loop: Header=BB189_1065 Depth=1
	v_cmp_lt_i32_e64 s4, v26, v119
	v_cndmask_b32_e64 v88, 0, v88, s4
	v_cmp_lt_i32_e64 s4, v42, v119
	v_cndmask_b32_e64 v89, 0, v89, s4
	;; [unrolled: 2-line block ×4, first 2 shown]
.LBB189_2052:                           ;   in Loop: Header=BB189_1065 Depth=1
	s_or_b32 exec_lo, exec_lo, s15
	flat_load_dword v99, v[0:1] offset:1664
	v_mov_b32_e32 v17, 0
	v_mov_b32_e32 v15, 0
	;; [unrolled: 1-line block ×4, first 2 shown]
	s_waitcnt vmcnt(0) lgkmcnt(0)
	v_cmp_ne_u16_sdwa s4, v99, v9 src0_sel:BYTE_0 src1_sel:DWORD
	s_and_saveexec_b32 s15, s4
	s_cbranch_execz .LBB189_2060
; %bb.2053:                             ;   in Loop: Header=BB189_1065 Depth=1
	v_bfrev_b32_e32 v15, 1
	v_mov_b32_e32 v16, 0
	v_cmp_ne_u16_sdwa s4, v99, v98 src0_sel:BYTE_0 src1_sel:DWORD
	s_and_saveexec_b32 s17, s4
	s_cbranch_execz .LBB189_2059
; %bb.2054:                             ;   in Loop: Header=BB189_1065 Depth=1
	v_mov_b32_e32 v15, 0x7f800001
	v_and_b32_e32 v11, 0x7f, v99
	v_mov_b32_e32 v16, 0
	s_mov_b32 s20, exec_lo
	v_cmpx_ne_u32_e32 0x7f, v11
	s_cbranch_execz .LBB189_2058
; %bb.2055:                             ;   in Loop: Header=BB189_1065 Depth=1
	v_and_b32_e32 v8, 7, v99
	v_lshrrev_b32_e32 v10, 3, v11
	s_mov_b32 s21, exec_lo
	v_cmpx_gt_u32_e32 8, v11
; %bb.2056:                             ;   in Loop: Header=BB189_1065 Depth=1
	v_ffbh_u32_e32 v10, v8
	v_min_u32_e32 v10, 32, v10
	v_subrev_nc_u32_e32 v11, 28, v10
	v_sub_nc_u32_e32 v10, 29, v10
	v_lshlrev_b64 v[15:16], v11, v[8:9]
	v_and_b32_e32 v8, 7, v15
; %bb.2057:                             ;   in Loop: Header=BB189_1065 Depth=1
	s_or_b32 exec_lo, exec_lo, s21
	v_lshlrev_b32_e32 v11, 24, v99
	v_lshlrev_b32_e32 v8, 20, v8
	v_lshl_add_u32 v10, v10, 23, 0x3c000000
	v_and_b32_e32 v11, 0x80000000, v11
	v_or3_b32 v8, v8, v11, v10
	v_mov_b32_e32 v16, v9
	v_mov_b32_e32 v15, v8
.LBB189_2058:                           ;   in Loop: Header=BB189_1065 Depth=1
	s_or_b32 exec_lo, exec_lo, s20
.LBB189_2059:                           ;   in Loop: Header=BB189_1065 Depth=1
	s_or_b32 exec_lo, exec_lo, s17
.LBB189_2060:                           ;   in Loop: Header=BB189_1065 Depth=1
	s_or_b32 exec_lo, exec_lo, s15
	v_cmp_ne_u16_sdwa s4, v99, v9 src0_sel:BYTE_1 src1_sel:DWORD
	s_and_saveexec_b32 s15, s4
	s_cbranch_execz .LBB189_2068
; %bb.2061:                             ;   in Loop: Header=BB189_1065 Depth=1
	v_mov_b32_e32 v11, v9
	v_mov_b32_e32 v18, v12
	v_cmp_ne_u16_sdwa s4, v99, v98 src0_sel:BYTE_1 src1_sel:DWORD
	v_mov_b32_e32 v17, v11
	s_and_saveexec_b32 s17, s4
	s_cbranch_execz .LBB189_2067
; %bb.2062:                             ;   in Loop: Header=BB189_1065 Depth=1
	v_mov_b32_e32 v8, 0xffff
	v_mov_b32_e32 v13, v9
	;; [unrolled: 1-line block ×3, first 2 shown]
	s_mov_b32 s20, exec_lo
	v_and_b32_sdwa v8, v8, v99 dst_sel:DWORD dst_unused:UNUSED_PAD src0_sel:DWORD src1_sel:BYTE_1
	v_mov_b32_e32 v17, v13
	v_and_b32_e32 v11, 0x7f, v8
	v_cmpx_ne_u32_e32 0x7f, v11
	s_cbranch_execz .LBB189_2066
; %bb.2063:                             ;   in Loop: Header=BB189_1065 Depth=1
	v_and_b32_e32 v8, 7, v8
	v_lshrrev_b32_e32 v10, 3, v11
	s_mov_b32 s21, exec_lo
	v_cmpx_gt_u32_e32 8, v11
; %bb.2064:                             ;   in Loop: Header=BB189_1065 Depth=1
	v_ffbh_u32_e32 v10, v8
	v_min_u32_e32 v10, 32, v10
	v_subrev_nc_u32_e32 v11, 28, v10
	v_sub_nc_u32_e32 v10, 29, v10
	v_lshlrev_b64 v[17:18], v11, v[8:9]
	v_and_b32_e32 v8, 7, v17
; %bb.2065:                             ;   in Loop: Header=BB189_1065 Depth=1
	s_or_b32 exec_lo, exec_lo, s21
	v_lshlrev_b32_e32 v11, 16, v99
	v_lshlrev_b32_e32 v8, 20, v8
	v_lshl_add_u32 v10, v10, 23, 0x3c000000
	v_mov_b32_e32 v17, v9
	v_and_b32_e32 v11, 0x80000000, v11
	v_or3_b32 v18, v8, v11, v10
.LBB189_2066:                           ;   in Loop: Header=BB189_1065 Depth=1
	s_or_b32 exec_lo, exec_lo, s20
.LBB189_2067:                           ;   in Loop: Header=BB189_1065 Depth=1
	s_or_b32 exec_lo, exec_lo, s17
.LBB189_2068:                           ;   in Loop: Header=BB189_1065 Depth=1
	s_or_b32 exec_lo, exec_lo, s15
	v_mov_b32_e32 v10, 0
	v_mov_b32_e32 v21, 0
	v_and_b32_sdwa v8, v99, v100 dst_sel:DWORD dst_unused:UNUSED_PAD src0_sel:WORD_1 src1_sel:DWORD
	v_mov_b32_e32 v11, 0
	v_mov_b32_e32 v22, 0
	s_mov_b32 s15, exec_lo
	v_cmpx_ne_u16_e32 0, v8
	s_cbranch_execz .LBB189_2076
; %bb.2069:                             ;   in Loop: Header=BB189_1065 Depth=1
	v_bfrev_b32_e32 v21, 1
	v_mov_b32_e32 v22, 0
	s_mov_b32 s17, exec_lo
	v_cmpx_ne_u16_e32 0x80, v8
	s_cbranch_execz .LBB189_2075
; %bb.2070:                             ;   in Loop: Header=BB189_1065 Depth=1
	v_mov_b32_e32 v21, 0x7f800001
	v_bfe_u32 v101, v99, 16, 7
	v_mov_b32_e32 v22, 0
	s_mov_b32 s20, exec_lo
	v_cmpx_ne_u32_e32 0x7f, v101
	s_cbranch_execz .LBB189_2074
; %bb.2071:                             ;   in Loop: Header=BB189_1065 Depth=1
	v_mov_b32_e32 v8, 7
	v_lshrrev_b32_e32 v13, 3, v101
	s_mov_b32 s21, exec_lo
	v_and_b32_sdwa v8, v99, v8 dst_sel:DWORD dst_unused:UNUSED_PAD src0_sel:WORD_1 src1_sel:DWORD
	v_cmpx_gt_u32_e32 8, v101
; %bb.2072:                             ;   in Loop: Header=BB189_1065 Depth=1
	v_ffbh_u32_e32 v13, v8
	v_min_u32_e32 v13, 32, v13
	v_subrev_nc_u32_e32 v21, 28, v13
	v_sub_nc_u32_e32 v13, 29, v13
	v_lshlrev_b64 v[21:22], v21, v[8:9]
	v_and_b32_e32 v8, 7, v21
; %bb.2073:                             ;   in Loop: Header=BB189_1065 Depth=1
	s_or_b32 exec_lo, exec_lo, s21
	v_mov_b32_e32 v21, 24
	v_lshlrev_b32_e32 v8, 20, v8
	v_lshl_add_u32 v13, v13, 23, 0x3c000000
	v_lshlrev_b32_sdwa v21, v21, v99 dst_sel:DWORD dst_unused:UNUSED_PAD src0_sel:DWORD src1_sel:WORD_1
	v_and_b32_e32 v21, 0x80000000, v21
	v_or3_b32 v8, v8, v21, v13
	v_mov_b32_e32 v22, v9
	v_mov_b32_e32 v21, v8
.LBB189_2074:                           ;   in Loop: Header=BB189_1065 Depth=1
	s_or_b32 exec_lo, exec_lo, s20
.LBB189_2075:                           ;   in Loop: Header=BB189_1065 Depth=1
	s_or_b32 exec_lo, exec_lo, s17
.LBB189_2076:                           ;   in Loop: Header=BB189_1065 Depth=1
	s_or_b32 exec_lo, exec_lo, s15
	s_mov_b32 s15, exec_lo
	v_cmpx_lt_u32_e32 0xffffff, v99
	s_cbranch_execz .LBB189_2084
; %bb.2077:                             ;   in Loop: Header=BB189_1065 Depth=1
	v_mov_b32_e32 v11, v9
	v_cmp_ne_u32_sdwa s4, v99, v98 src0_sel:BYTE_3 src1_sel:DWORD
	v_mov_b32_e32 v10, v11
	v_mov_b32_e32 v11, v12
	s_and_saveexec_b32 s17, s4
	s_cbranch_execz .LBB189_2083
; %bb.2078:                             ;   in Loop: Header=BB189_1065 Depth=1
	v_mov_b32_e32 v13, v9
	v_bfe_u32 v101, v99, 24, 7
	s_mov_b32 s20, exec_lo
	v_mov_b32_e32 v10, v13
	v_mov_b32_e32 v11, v14
	v_cmpx_ne_u32_e32 0x7f, v101
	s_cbranch_execz .LBB189_2082
; %bb.2079:                             ;   in Loop: Header=BB189_1065 Depth=1
	v_mov_b32_e32 v8, 7
	v_lshrrev_b32_e32 v10, 3, v101
	s_mov_b32 s21, exec_lo
	v_and_b32_sdwa v8, v99, v8 dst_sel:DWORD dst_unused:UNUSED_PAD src0_sel:BYTE_3 src1_sel:DWORD
	v_cmpx_gt_u32_e32 8, v101
; %bb.2080:                             ;   in Loop: Header=BB189_1065 Depth=1
	v_ffbh_u32_e32 v10, v8
	v_min_u32_e32 v10, 32, v10
	v_subrev_nc_u32_e32 v11, 28, v10
	v_sub_nc_u32_e32 v10, 29, v10
	v_lshlrev_b64 v[101:102], v11, v[8:9]
	v_and_b32_e32 v8, 7, v101
; %bb.2081:                             ;   in Loop: Header=BB189_1065 Depth=1
	s_or_b32 exec_lo, exec_lo, s21
	v_mov_b32_e32 v11, 24
	v_lshlrev_b32_e32 v8, 20, v8
	v_lshl_add_u32 v10, v10, 23, 0x3c000000
	v_lshlrev_b32_sdwa v11, v11, v99 dst_sel:DWORD dst_unused:UNUSED_PAD src0_sel:DWORD src1_sel:BYTE_3
	v_and_b32_e32 v11, 0x80000000, v11
	v_or3_b32 v11, v8, v11, v10
	v_mov_b32_e32 v10, v9
.LBB189_2082:                           ;   in Loop: Header=BB189_1065 Depth=1
	s_or_b32 exec_lo, exec_lo, s20
.LBB189_2083:                           ;   in Loop: Header=BB189_1065 Depth=1
	s_or_b32 exec_lo, exec_lo, s17
.LBB189_2084:                           ;   in Loop: Header=BB189_1065 Depth=1
	s_or_b32 exec_lo, exec_lo, s15
	v_or_b32_e32 v8, v18, v16
	v_or_b32_e32 v13, v17, v15
	;; [unrolled: 1-line block ×4, first 2 shown]
	v_mul_f32_e32 v99, v117, v8
	v_mul_f32_e32 v90, v117, v13
	;; [unrolled: 1-line block ×4, first 2 shown]
	s_and_saveexec_b32 s15, vcc_lo
	s_cbranch_execz .LBB189_2086
; %bb.2085:                             ;   in Loop: Header=BB189_1065 Depth=1
	v_cmp_lt_i32_e64 s4, v26, v119
	v_cndmask_b32_e64 v90, 0, v90, s4
	v_cmp_lt_i32_e64 s4, v42, v119
	v_cndmask_b32_e64 v99, 0, v99, s4
	v_cmp_lt_i32_e64 s4, v41, v119
	v_cndmask_b32_e64 v22, 0, v22, s4
	v_cmp_lt_i32_e64 s4, v40, v119
	v_cndmask_b32_e64 v21, 0, v21, s4
.LBB189_2086:                           ;   in Loop: Header=BB189_1065 Depth=1
	s_or_b32 exec_lo, exec_lo, s15
	flat_load_dword v101, v[0:1] offset:1792
	v_mov_b32_e32 v15, 0
	v_mov_b32_e32 v0, 0
	;; [unrolled: 1-line block ×4, first 2 shown]
	s_waitcnt vmcnt(0) lgkmcnt(0)
	v_cmp_ne_u16_sdwa s4, v101, v9 src0_sel:BYTE_0 src1_sel:DWORD
	s_and_saveexec_b32 s15, s4
	s_cbranch_execz .LBB189_2094
; %bb.2087:                             ;   in Loop: Header=BB189_1065 Depth=1
	v_bfrev_b32_e32 v0, 1
	v_mov_b32_e32 v1, 0
	v_cmp_ne_u16_sdwa s4, v101, v98 src0_sel:BYTE_0 src1_sel:DWORD
	s_and_saveexec_b32 s17, s4
	s_cbranch_execz .LBB189_2093
; %bb.2088:                             ;   in Loop: Header=BB189_1065 Depth=1
	v_mov_b32_e32 v0, 0x7f800001
	v_and_b32_e32 v10, 0x7f, v101
	v_mov_b32_e32 v1, 0
	s_mov_b32 s20, exec_lo
	v_cmpx_ne_u32_e32 0x7f, v10
	s_cbranch_execz .LBB189_2092
; %bb.2089:                             ;   in Loop: Header=BB189_1065 Depth=1
	v_and_b32_e32 v8, 7, v101
	v_lshrrev_b32_e32 v0, 3, v10
	s_mov_b32 s21, exec_lo
	v_cmpx_gt_u32_e32 8, v10
; %bb.2090:                             ;   in Loop: Header=BB189_1065 Depth=1
	v_ffbh_u32_e32 v0, v8
	v_min_u32_e32 v0, 32, v0
	v_subrev_nc_u32_e32 v1, 28, v0
	v_sub_nc_u32_e32 v0, 29, v0
	v_lshlrev_b64 v[10:11], v1, v[8:9]
	v_and_b32_e32 v8, 7, v10
; %bb.2091:                             ;   in Loop: Header=BB189_1065 Depth=1
	s_or_b32 exec_lo, exec_lo, s21
	v_lshlrev_b32_e32 v1, 24, v101
	v_lshlrev_b32_e32 v8, 20, v8
	v_lshl_add_u32 v0, v0, 23, 0x3c000000
	v_and_b32_e32 v1, 0x80000000, v1
	v_or3_b32 v8, v8, v1, v0
	v_mov_b32_e32 v0, v8
	v_mov_b32_e32 v1, v9
.LBB189_2092:                           ;   in Loop: Header=BB189_1065 Depth=1
	s_or_b32 exec_lo, exec_lo, s20
.LBB189_2093:                           ;   in Loop: Header=BB189_1065 Depth=1
	s_or_b32 exec_lo, exec_lo, s17
.LBB189_2094:                           ;   in Loop: Header=BB189_1065 Depth=1
	s_or_b32 exec_lo, exec_lo, s15
	v_cmp_ne_u16_sdwa s4, v101, v9 src0_sel:BYTE_1 src1_sel:DWORD
	s_and_saveexec_b32 s15, s4
	s_cbranch_execz .LBB189_2102
; %bb.2095:                             ;   in Loop: Header=BB189_1065 Depth=1
	v_mov_b32_e32 v11, v9
	v_mov_b32_e32 v16, v12
	v_cmp_ne_u16_sdwa s4, v101, v98 src0_sel:BYTE_1 src1_sel:DWORD
	v_mov_b32_e32 v15, v11
	s_and_saveexec_b32 s17, s4
	s_cbranch_execz .LBB189_2101
; %bb.2096:                             ;   in Loop: Header=BB189_1065 Depth=1
	v_mov_b32_e32 v8, 0xffff
	v_mov_b32_e32 v13, v9
	;; [unrolled: 1-line block ×3, first 2 shown]
	s_mov_b32 s20, exec_lo
	v_and_b32_sdwa v8, v8, v101 dst_sel:DWORD dst_unused:UNUSED_PAD src0_sel:DWORD src1_sel:BYTE_1
	v_mov_b32_e32 v15, v13
	v_and_b32_e32 v11, 0x7f, v8
	v_cmpx_ne_u32_e32 0x7f, v11
	s_cbranch_execz .LBB189_2100
; %bb.2097:                             ;   in Loop: Header=BB189_1065 Depth=1
	v_and_b32_e32 v8, 7, v8
	v_lshrrev_b32_e32 v10, 3, v11
	s_mov_b32 s21, exec_lo
	v_cmpx_gt_u32_e32 8, v11
; %bb.2098:                             ;   in Loop: Header=BB189_1065 Depth=1
	v_ffbh_u32_e32 v10, v8
	v_min_u32_e32 v10, 32, v10
	v_subrev_nc_u32_e32 v11, 28, v10
	v_sub_nc_u32_e32 v10, 29, v10
	v_lshlrev_b64 v[15:16], v11, v[8:9]
	v_and_b32_e32 v8, 7, v15
; %bb.2099:                             ;   in Loop: Header=BB189_1065 Depth=1
	s_or_b32 exec_lo, exec_lo, s21
	v_lshlrev_b32_e32 v11, 16, v101
	v_lshlrev_b32_e32 v8, 20, v8
	v_lshl_add_u32 v10, v10, 23, 0x3c000000
	v_mov_b32_e32 v15, v9
	v_and_b32_e32 v11, 0x80000000, v11
	v_or3_b32 v16, v8, v11, v10
.LBB189_2100:                           ;   in Loop: Header=BB189_1065 Depth=1
	s_or_b32 exec_lo, exec_lo, s20
.LBB189_2101:                           ;   in Loop: Header=BB189_1065 Depth=1
	s_or_b32 exec_lo, exec_lo, s17
.LBB189_2102:                           ;   in Loop: Header=BB189_1065 Depth=1
	s_or_b32 exec_lo, exec_lo, s15
	v_mov_b32_e32 v10, 0
	v_mov_b32_e32 v17, 0
	v_and_b32_sdwa v8, v101, v100 dst_sel:DWORD dst_unused:UNUSED_PAD src0_sel:WORD_1 src1_sel:DWORD
	v_mov_b32_e32 v11, 0
	v_mov_b32_e32 v18, 0
	s_mov_b32 s15, exec_lo
	v_cmpx_ne_u16_e32 0, v8
	s_cbranch_execz .LBB189_2110
; %bb.2103:                             ;   in Loop: Header=BB189_1065 Depth=1
	v_bfrev_b32_e32 v17, 1
	v_mov_b32_e32 v18, 0
	s_mov_b32 s17, exec_lo
	v_cmpx_ne_u16_e32 0x80, v8
	s_cbranch_execz .LBB189_2109
; %bb.2104:                             ;   in Loop: Header=BB189_1065 Depth=1
	v_mov_b32_e32 v17, 0x7f800001
	v_bfe_u32 v102, v101, 16, 7
	v_mov_b32_e32 v18, 0
	s_mov_b32 s20, exec_lo
	v_cmpx_ne_u32_e32 0x7f, v102
	s_cbranch_execz .LBB189_2108
; %bb.2105:                             ;   in Loop: Header=BB189_1065 Depth=1
	v_mov_b32_e32 v8, 7
	v_lshrrev_b32_e32 v13, 3, v102
	s_mov_b32 s21, exec_lo
	v_and_b32_sdwa v8, v101, v8 dst_sel:DWORD dst_unused:UNUSED_PAD src0_sel:WORD_1 src1_sel:DWORD
	v_cmpx_gt_u32_e32 8, v102
; %bb.2106:                             ;   in Loop: Header=BB189_1065 Depth=1
	v_ffbh_u32_e32 v13, v8
	v_min_u32_e32 v13, 32, v13
	v_subrev_nc_u32_e32 v17, 28, v13
	v_sub_nc_u32_e32 v13, 29, v13
	v_lshlrev_b64 v[17:18], v17, v[8:9]
	v_and_b32_e32 v8, 7, v17
; %bb.2107:                             ;   in Loop: Header=BB189_1065 Depth=1
	s_or_b32 exec_lo, exec_lo, s21
	v_mov_b32_e32 v17, 24
	v_lshlrev_b32_e32 v8, 20, v8
	v_lshl_add_u32 v13, v13, 23, 0x3c000000
	v_lshlrev_b32_sdwa v17, v17, v101 dst_sel:DWORD dst_unused:UNUSED_PAD src0_sel:DWORD src1_sel:WORD_1
	v_and_b32_e32 v17, 0x80000000, v17
	v_or3_b32 v8, v8, v17, v13
	v_mov_b32_e32 v18, v9
	v_mov_b32_e32 v17, v8
.LBB189_2108:                           ;   in Loop: Header=BB189_1065 Depth=1
	s_or_b32 exec_lo, exec_lo, s20
.LBB189_2109:                           ;   in Loop: Header=BB189_1065 Depth=1
	s_or_b32 exec_lo, exec_lo, s17
.LBB189_2110:                           ;   in Loop: Header=BB189_1065 Depth=1
	s_or_b32 exec_lo, exec_lo, s15
	s_mov_b32 s15, exec_lo
	v_cmpx_lt_u32_e32 0xffffff, v101
	s_cbranch_execz .LBB189_2118
; %bb.2111:                             ;   in Loop: Header=BB189_1065 Depth=1
	v_mov_b32_e32 v11, v9
	v_cmp_ne_u32_sdwa s4, v101, v98 src0_sel:BYTE_3 src1_sel:DWORD
	v_mov_b32_e32 v10, v11
	v_mov_b32_e32 v11, v12
	s_and_saveexec_b32 s17, s4
	s_cbranch_execz .LBB189_2117
; %bb.2112:                             ;   in Loop: Header=BB189_1065 Depth=1
	v_mov_b32_e32 v13, v9
	v_bfe_u32 v102, v101, 24, 7
	s_mov_b32 s20, exec_lo
	v_mov_b32_e32 v10, v13
	v_mov_b32_e32 v11, v14
	v_cmpx_ne_u32_e32 0x7f, v102
	s_cbranch_execz .LBB189_2116
; %bb.2113:                             ;   in Loop: Header=BB189_1065 Depth=1
	v_mov_b32_e32 v8, 7
	v_lshrrev_b32_e32 v10, 3, v102
	s_mov_b32 s21, exec_lo
	v_and_b32_sdwa v8, v101, v8 dst_sel:DWORD dst_unused:UNUSED_PAD src0_sel:BYTE_3 src1_sel:DWORD
	v_cmpx_gt_u32_e32 8, v102
; %bb.2114:                             ;   in Loop: Header=BB189_1065 Depth=1
	v_ffbh_u32_e32 v10, v8
	v_min_u32_e32 v10, 32, v10
	v_subrev_nc_u32_e32 v11, 28, v10
	v_sub_nc_u32_e32 v10, 29, v10
	v_lshlrev_b64 v[91:92], v11, v[8:9]
	v_and_b32_e32 v8, 7, v91
; %bb.2115:                             ;   in Loop: Header=BB189_1065 Depth=1
	s_or_b32 exec_lo, exec_lo, s21
	v_mov_b32_e32 v11, 24
	v_lshlrev_b32_e32 v8, 20, v8
	v_lshl_add_u32 v10, v10, 23, 0x3c000000
	v_lshlrev_b32_sdwa v11, v11, v101 dst_sel:DWORD dst_unused:UNUSED_PAD src0_sel:DWORD src1_sel:BYTE_3
	v_and_b32_e32 v11, 0x80000000, v11
	v_or3_b32 v11, v8, v11, v10
	v_mov_b32_e32 v10, v9
.LBB189_2116:                           ;   in Loop: Header=BB189_1065 Depth=1
	s_or_b32 exec_lo, exec_lo, s20
.LBB189_2117:                           ;   in Loop: Header=BB189_1065 Depth=1
	s_or_b32 exec_lo, exec_lo, s17
.LBB189_2118:                           ;   in Loop: Header=BB189_1065 Depth=1
	s_or_b32 exec_lo, exec_lo, s15
	v_or_b32_e32 v1, v16, v1
	v_or_b32_e32 v0, v15, v0
	v_or_b32_e32 v8, v10, v17
	v_or_b32_e32 v10, v11, v18
	v_mul_f32_e32 v92, v117, v1
	v_mul_f32_e32 v91, v117, v0
	;; [unrolled: 1-line block ×4, first 2 shown]
	s_and_saveexec_b32 s15, vcc_lo
	s_cbranch_execz .LBB189_2120
; %bb.2119:                             ;   in Loop: Header=BB189_1065 Depth=1
	v_cmp_lt_i32_e64 s4, v26, v119
	v_cndmask_b32_e64 v91, 0, v91, s4
	v_cmp_lt_i32_e64 s4, v42, v119
	v_cndmask_b32_e64 v92, 0, v92, s4
	;; [unrolled: 2-line block ×4, first 2 shown]
.LBB189_2120:                           ;   in Loop: Header=BB189_1065 Depth=1
	s_or_b32 exec_lo, exec_lo, s15
	buffer_load_dword v0, off, s[0:3], s32 offset:744 ; 4-byte Folded Reload
	v_mov_b32_e32 v15, 0
	v_mov_b32_e32 v16, 0
	s_waitcnt vmcnt(0)
	v_add_co_u32 v0, s4, v24, v0
	v_add_co_ci_u32_e64 v1, null, 0, v25, s4
	flat_load_dword v24, v[0:1]
	v_mov_b32_e32 v0, 0
	v_mov_b32_e32 v1, 0
	s_waitcnt vmcnt(0) lgkmcnt(0)
	v_cmp_ne_u16_sdwa s4, v24, v9 src0_sel:BYTE_0 src1_sel:DWORD
	s_and_saveexec_b32 s15, s4
	s_cbranch_execz .LBB189_2128
; %bb.2121:                             ;   in Loop: Header=BB189_1065 Depth=1
	v_bfrev_b32_e32 v0, 1
	v_mov_b32_e32 v1, 0
	v_cmp_ne_u16_sdwa s4, v24, v98 src0_sel:BYTE_0 src1_sel:DWORD
	s_and_saveexec_b32 s17, s4
	s_cbranch_execz .LBB189_2127
; %bb.2122:                             ;   in Loop: Header=BB189_1065 Depth=1
	v_mov_b32_e32 v0, 0x7f800001
	v_and_b32_e32 v10, 0x7f, v24
	v_mov_b32_e32 v1, 0
	s_mov_b32 s20, exec_lo
	v_cmpx_ne_u32_e32 0x7f, v10
	s_cbranch_execz .LBB189_2126
; %bb.2123:                             ;   in Loop: Header=BB189_1065 Depth=1
	v_and_b32_e32 v8, 7, v24
	v_lshrrev_b32_e32 v0, 3, v10
	s_mov_b32 s21, exec_lo
	v_cmpx_gt_u32_e32 8, v10
; %bb.2124:                             ;   in Loop: Header=BB189_1065 Depth=1
	v_ffbh_u32_e32 v0, v8
	v_min_u32_e32 v0, 32, v0
	v_subrev_nc_u32_e32 v1, 28, v0
	v_sub_nc_u32_e32 v0, 29, v0
	v_lshlrev_b64 v[10:11], v1, v[8:9]
	v_and_b32_e32 v8, 7, v10
; %bb.2125:                             ;   in Loop: Header=BB189_1065 Depth=1
	s_or_b32 exec_lo, exec_lo, s21
	v_lshlrev_b32_e32 v1, 24, v24
	v_lshlrev_b32_e32 v8, 20, v8
	v_lshl_add_u32 v0, v0, 23, 0x3c000000
	v_and_b32_e32 v1, 0x80000000, v1
	v_or3_b32 v8, v8, v1, v0
	v_mov_b32_e32 v0, v8
	v_mov_b32_e32 v1, v9
.LBB189_2126:                           ;   in Loop: Header=BB189_1065 Depth=1
	s_or_b32 exec_lo, exec_lo, s20
.LBB189_2127:                           ;   in Loop: Header=BB189_1065 Depth=1
	s_or_b32 exec_lo, exec_lo, s17
.LBB189_2128:                           ;   in Loop: Header=BB189_1065 Depth=1
	s_or_b32 exec_lo, exec_lo, s15
	v_cmp_ne_u16_sdwa s4, v24, v9 src0_sel:BYTE_1 src1_sel:DWORD
	s_and_saveexec_b32 s15, s4
	s_cbranch_execz .LBB189_2136
; %bb.2129:                             ;   in Loop: Header=BB189_1065 Depth=1
	v_mov_b32_e32 v11, v9
	v_mov_b32_e32 v16, v12
	v_cmp_ne_u16_sdwa s4, v24, v98 src0_sel:BYTE_1 src1_sel:DWORD
	v_mov_b32_e32 v15, v11
	s_and_saveexec_b32 s17, s4
	s_cbranch_execz .LBB189_2135
; %bb.2130:                             ;   in Loop: Header=BB189_1065 Depth=1
	v_mov_b32_e32 v8, 0xffff
	v_mov_b32_e32 v13, v9
	;; [unrolled: 1-line block ×3, first 2 shown]
	s_mov_b32 s20, exec_lo
	v_and_b32_sdwa v8, v8, v24 dst_sel:DWORD dst_unused:UNUSED_PAD src0_sel:DWORD src1_sel:BYTE_1
	v_mov_b32_e32 v15, v13
	v_and_b32_e32 v11, 0x7f, v8
	v_cmpx_ne_u32_e32 0x7f, v11
	s_cbranch_execz .LBB189_2134
; %bb.2131:                             ;   in Loop: Header=BB189_1065 Depth=1
	v_and_b32_e32 v8, 7, v8
	v_lshrrev_b32_e32 v10, 3, v11
	s_mov_b32 s21, exec_lo
	v_cmpx_gt_u32_e32 8, v11
; %bb.2132:                             ;   in Loop: Header=BB189_1065 Depth=1
	v_ffbh_u32_e32 v10, v8
	v_min_u32_e32 v10, 32, v10
	v_subrev_nc_u32_e32 v11, 28, v10
	v_sub_nc_u32_e32 v10, 29, v10
	v_lshlrev_b64 v[15:16], v11, v[8:9]
	v_and_b32_e32 v8, 7, v15
; %bb.2133:                             ;   in Loop: Header=BB189_1065 Depth=1
	s_or_b32 exec_lo, exec_lo, s21
	v_lshlrev_b32_e32 v11, 16, v24
	v_lshlrev_b32_e32 v8, 20, v8
	v_lshl_add_u32 v10, v10, 23, 0x3c000000
	v_mov_b32_e32 v15, v9
	v_and_b32_e32 v11, 0x80000000, v11
	v_or3_b32 v16, v8, v11, v10
.LBB189_2134:                           ;   in Loop: Header=BB189_1065 Depth=1
	s_or_b32 exec_lo, exec_lo, s20
.LBB189_2135:                           ;   in Loop: Header=BB189_1065 Depth=1
	s_or_b32 exec_lo, exec_lo, s17
.LBB189_2136:                           ;   in Loop: Header=BB189_1065 Depth=1
	s_or_b32 exec_lo, exec_lo, s15
	v_mov_b32_e32 v10, 0
	v_mov_b32_e32 v17, 0
	v_and_b32_sdwa v8, v24, v100 dst_sel:DWORD dst_unused:UNUSED_PAD src0_sel:WORD_1 src1_sel:DWORD
	v_mov_b32_e32 v11, 0
	v_mov_b32_e32 v18, 0
	s_mov_b32 s15, exec_lo
	v_cmpx_ne_u16_e32 0, v8
	s_cbranch_execz .LBB189_2144
; %bb.2137:                             ;   in Loop: Header=BB189_1065 Depth=1
	v_bfrev_b32_e32 v17, 1
	v_mov_b32_e32 v18, 0
	s_mov_b32 s17, exec_lo
	v_cmpx_ne_u16_e32 0x80, v8
	s_cbranch_execz .LBB189_2143
; %bb.2138:                             ;   in Loop: Header=BB189_1065 Depth=1
	v_mov_b32_e32 v17, 0x7f800001
	v_bfe_u32 v25, v24, 16, 7
	v_mov_b32_e32 v18, 0
	s_mov_b32 s20, exec_lo
	v_cmpx_ne_u32_e32 0x7f, v25
	s_cbranch_execz .LBB189_2142
; %bb.2139:                             ;   in Loop: Header=BB189_1065 Depth=1
	v_mov_b32_e32 v8, 7
	v_lshrrev_b32_e32 v13, 3, v25
	s_mov_b32 s21, exec_lo
	v_and_b32_sdwa v8, v24, v8 dst_sel:DWORD dst_unused:UNUSED_PAD src0_sel:WORD_1 src1_sel:DWORD
	v_cmpx_gt_u32_e32 8, v25
; %bb.2140:                             ;   in Loop: Header=BB189_1065 Depth=1
	v_ffbh_u32_e32 v13, v8
	v_min_u32_e32 v13, 32, v13
	v_subrev_nc_u32_e32 v17, 28, v13
	v_sub_nc_u32_e32 v13, 29, v13
	v_lshlrev_b64 v[17:18], v17, v[8:9]
	v_and_b32_e32 v8, 7, v17
; %bb.2141:                             ;   in Loop: Header=BB189_1065 Depth=1
	s_or_b32 exec_lo, exec_lo, s21
	v_mov_b32_e32 v17, 24
	v_lshlrev_b32_e32 v8, 20, v8
	v_lshl_add_u32 v13, v13, 23, 0x3c000000
	v_lshlrev_b32_sdwa v17, v17, v24 dst_sel:DWORD dst_unused:UNUSED_PAD src0_sel:DWORD src1_sel:WORD_1
	v_and_b32_e32 v17, 0x80000000, v17
	v_or3_b32 v8, v8, v17, v13
	v_mov_b32_e32 v18, v9
	v_mov_b32_e32 v17, v8
.LBB189_2142:                           ;   in Loop: Header=BB189_1065 Depth=1
	s_or_b32 exec_lo, exec_lo, s20
.LBB189_2143:                           ;   in Loop: Header=BB189_1065 Depth=1
	s_or_b32 exec_lo, exec_lo, s17
.LBB189_2144:                           ;   in Loop: Header=BB189_1065 Depth=1
	s_or_b32 exec_lo, exec_lo, s15
	s_mov_b32 s15, exec_lo
	v_cmpx_lt_u32_e32 0xffffff, v24
	s_cbranch_execz .LBB189_2152
; %bb.2145:                             ;   in Loop: Header=BB189_1065 Depth=1
	v_mov_b32_e32 v11, v9
	v_cmp_ne_u32_sdwa s4, v24, v98 src0_sel:BYTE_3 src1_sel:DWORD
	v_mov_b32_e32 v10, v11
	v_mov_b32_e32 v11, v12
	s_and_saveexec_b32 s17, s4
	s_cbranch_execz .LBB189_2151
; %bb.2146:                             ;   in Loop: Header=BB189_1065 Depth=1
	v_mov_b32_e32 v13, v9
	v_bfe_u32 v25, v24, 24, 7
	s_mov_b32 s20, exec_lo
	v_mov_b32_e32 v10, v13
	v_mov_b32_e32 v11, v14
	v_cmpx_ne_u32_e32 0x7f, v25
	s_cbranch_execz .LBB189_2150
; %bb.2147:                             ;   in Loop: Header=BB189_1065 Depth=1
	v_mov_b32_e32 v8, 7
	v_lshrrev_b32_e32 v10, 3, v25
	s_mov_b32 s21, exec_lo
	v_and_b32_sdwa v8, v24, v8 dst_sel:DWORD dst_unused:UNUSED_PAD src0_sel:BYTE_3 src1_sel:DWORD
	v_cmpx_gt_u32_e32 8, v25
	s_cbranch_execz .LBB189_2149
; %bb.2148:                             ;   in Loop: Header=BB189_1065 Depth=1
	v_ffbh_u32_e32 v10, v8
	v_mov_b32_e32 v13, v93
	v_mov_b32_e32 v25, v94
	v_min_u32_e32 v10, 32, v10
	v_subrev_nc_u32_e32 v11, 28, v10
	v_sub_nc_u32_e32 v10, 29, v10
	v_lshlrev_b64 v[93:94], v11, v[8:9]
	v_mov_b32_e32 v94, v25
	v_and_b32_e32 v8, 7, v93
	v_mov_b32_e32 v93, v13
.LBB189_2149:                           ;   in Loop: Header=BB189_1065 Depth=1
	s_or_b32 exec_lo, exec_lo, s21
	v_mov_b32_e32 v11, 24
	v_lshlrev_b32_e32 v8, 20, v8
	v_lshl_add_u32 v10, v10, 23, 0x3c000000
	v_lshlrev_b32_sdwa v11, v11, v24 dst_sel:DWORD dst_unused:UNUSED_PAD src0_sel:DWORD src1_sel:BYTE_3
	v_and_b32_e32 v11, 0x80000000, v11
	v_or3_b32 v11, v8, v11, v10
	v_mov_b32_e32 v10, v9
.LBB189_2150:                           ;   in Loop: Header=BB189_1065 Depth=1
	s_or_b32 exec_lo, exec_lo, s20
.LBB189_2151:                           ;   in Loop: Header=BB189_1065 Depth=1
	s_or_b32 exec_lo, exec_lo, s17
.LBB189_2152:                           ;   in Loop: Header=BB189_1065 Depth=1
	s_or_b32 exec_lo, exec_lo, s15
	v_or_b32_e32 v1, v16, v1
	v_or_b32_e32 v0, v15, v0
	;; [unrolled: 1-line block ×4, first 2 shown]
	v_mul_f32_e32 v10, v117, v1
	v_mul_f32_e32 v8, v117, v0
	v_mul_f32_e32 v1, v117, v13
	v_mul_f32_e32 v0, v117, v11
	s_and_saveexec_b32 s4, vcc_lo
	s_cbranch_execz .LBB189_1063
; %bb.2153:                             ;   in Loop: Header=BB189_1065 Depth=1
	v_cmp_lt_i32_e32 vcc_lo, v26, v119
	v_cndmask_b32_e32 v8, 0, v8, vcc_lo
	v_cmp_lt_i32_e32 vcc_lo, v42, v119
	v_cndmask_b32_e32 v10, 0, v10, vcc_lo
	;; [unrolled: 2-line block ×4, first 2 shown]
	s_branch .LBB189_1063
.LBB189_2154:
	s_or_b32 exec_lo, exec_lo, s9
	s_clause 0x1f
	buffer_load_dword v102, off, s[0:3], s32 offset:1076
	buffer_load_dword v50, off, s[0:3], s32 offset:1080
	;; [unrolled: 1-line block ×32, first 2 shown]
	v_mov_b32_e32 v0, s18
	v_mov_b32_e32 v1, s19
.LBB189_2155:
	s_or_b32 exec_lo, exec_lo, s5
	v_lshlrev_b64 v[0:1], 2, v[0:1]
	s_getpc_b64 s[4:5]
	s_add_u32 s4, s4, llvm.amdgcn.dynlds.offset.table@rel32@lo+4
	s_addc_u32 s5, s5, llvm.amdgcn.dynlds.offset.table@rel32@hi+12
	s_waitcnt vmcnt(0)
	s_waitcnt_vscnt null, 0x0
	s_barrier
	buffer_gl0_inv
	ds_bpermute_b32 v2, v30, v99
	v_add_co_u32 v0, vcc_lo, s4, v0
	v_add_co_ci_u32_e64 v1, null, s5, v1, vcc_lo
	ds_bpermute_b32 v3, v30, v5
	ds_bpermute_b32 v4, v30, v96
	v_mov_b32_e32 v97, v5
	global_load_dword v32, v[0:1], off
	ds_bpermute_b32 v0, v30, v98
	ds_bpermute_b32 v1, v30, v100
	;; [unrolled: 1-line block ×19, first 2 shown]
	v_mov_b32_e32 v71, v23
	ds_bpermute_b32 v23, v30, v54
	ds_bpermute_b32 v24, v30, v53
	;; [unrolled: 1-line block ×10, first 2 shown]
	s_waitcnt lgkmcnt(28)
	v_add_f32_e32 v0, v98, v0
	s_waitcnt lgkmcnt(27)
	v_add_f32_e32 v1, v100, v1
	v_add_f32_e32 v2, v99, v2
	;; [unrolled: 1-line block ×4, first 2 shown]
	s_waitcnt lgkmcnt(26)
	v_add_f32_e32 v5, v87, v5
	s_waitcnt lgkmcnt(25)
	v_add_f32_e32 v6, v86, v6
	;; [unrolled: 2-line block ×27, first 2 shown]
	v_lshrrev_b32_e32 v34, 2, v35
	v_and_b32_e32 v36, 28, v35
	v_lshlrev_b32_e32 v35, 10, v50
	ds_bpermute_b32 v30, v7, v0
	ds_bpermute_b32 v39, v7, v1
	;; [unrolled: 1-line block ×32, first 2 shown]
	v_and_b32_e32 v37, 0x3c3, v102
	s_waitcnt lgkmcnt(31)
	v_add_f32_e32 v0, v0, v30
	s_waitcnt lgkmcnt(30)
	v_add_f32_e32 v1, v1, v39
	;; [unrolled: 2-line block ×32, first 2 shown]
	s_mov_b32 s4, exec_lo
	s_waitcnt vmcnt(0)
	v_add_nc_u32_e32 v33, v32, v36
	v_cmpx_eq_u32_e32 64, v37
	s_cbranch_execz .LBB189_2157
; %bb.2156:
	v_add_nc_u32_e32 v36, v33, v35
	v_add_nc_u32_e32 v37, 0xfffff800, v36
	;; [unrolled: 1-line block ×8, first 2 shown]
	ds_write_b32 v37, v0
	ds_write_b32 v38, v1
	;; [unrolled: 1-line block ×7, first 2 shown]
	v_add_nc_u32_e32 v37, 0xfffff8e0, v36
	v_add_nc_u32_e32 v38, 0xfffff900, v36
	v_add_nc_u32_e32 v39, 0xfffff920, v36
	v_add_nc_u32_e32 v48, 0xfffff940, v36
	v_add_nc_u32_e32 v49, 0xfffff960, v36
	ds_write_b32 v37, v7
	ds_write_b32 v38, v8
	ds_write_b32 v39, v9
	ds_write_b32 v48, v10
	ds_write_b32 v49, v11
	v_add_nc_u32_e32 v37, 0xfffff980, v36
	v_add_nc_u32_e32 v38, 0xfffff9a0, v36
	v_add_nc_u32_e32 v39, 0xfffff9c0, v36
	v_add_nc_u32_e32 v48, 0xfffff9e0, v36
	v_add_nc_u32_e32 v49, 0xfffffa00, v36
	ds_write_b32 v37, v12
	ds_write_b32 v38, v13
	ds_write_b32 v39, v14
	ds_write_b32 v48, v15
	ds_write_b32 v49, v16
	v_add_nc_u32_e32 v37, 0xfffffa20, v36
	v_add_nc_u32_e32 v38, 0xfffffa40, v36
	v_add_nc_u32_e32 v39, 0xfffffa60, v36
	v_add_nc_u32_e32 v48, 0xfffffa80, v36
	v_add_nc_u32_e32 v49, 0xfffffaa0, v36
	ds_write_b32 v37, v17
	ds_write_b32 v38, v18
	ds_write_b32 v39, v19
	ds_write_b32 v48, v20
	ds_write_b32 v49, v21
	v_add_nc_u32_e32 v37, 0xfffffac0, v36
	v_add_nc_u32_e32 v38, 0xfffffae0, v36
	v_add_nc_u32_e32 v39, 0xfffffb00, v36
	v_add_nc_u32_e32 v48, 0xfffffb20, v36
	v_add_nc_u32_e32 v49, 0xfffffb40, v36
	ds_write_b32 v37, v22
	ds_write_b32 v38, v23
	ds_write_b32 v39, v24
	ds_write_b32 v48, v25
	ds_write_b32 v49, v26
	v_add_nc_u32_e32 v37, 0xfffffb60, v36
	v_add_nc_u32_e32 v38, 0xfffffb80, v36
	v_add_nc_u32_e32 v39, 0xfffffba0, v36
	v_add_nc_u32_e32 v48, 0xfffffbc0, v36
	v_add_nc_u32_e32 v36, 0xfffffbe0, v36
	ds_write_b32 v37, v27
	ds_write_b32 v38, v28
	ds_write_b32 v39, v29
	ds_write_b32 v48, v30
	ds_write_b32 v36, v31
.LBB189_2157:
	s_or_b32 exec_lo, exec_lo, s4
	v_lshlrev_b32_e32 v34, 2, v34
	s_mov_b32 s5, exec_lo
	v_cmp_eq_u32_e32 vcc_lo, 0, v103
	s_waitcnt lgkmcnt(0)
	s_barrier
	v_add3_u32 v32, v32, v35, v34
	buffer_gl0_inv
	v_cmpx_gt_u32_e32 64, v102
	s_cbranch_execz .LBB189_2192
; %bb.2158:
	s_and_saveexec_b32 s4, vcc_lo
	s_cbranch_execnz .LBB189_2232
; %bb.2159:
	s_or_b32 exec_lo, exec_lo, s4
	s_and_saveexec_b32 s4, vcc_lo
	s_cbranch_execnz .LBB189_2233
.LBB189_2160:
	s_or_b32 exec_lo, exec_lo, s4
	s_and_saveexec_b32 s4, vcc_lo
	s_cbranch_execnz .LBB189_2234
.LBB189_2161:
	s_or_b32 exec_lo, exec_lo, s4
	s_and_saveexec_b32 s4, vcc_lo
	s_cbranch_execnz .LBB189_2235
.LBB189_2162:
	s_or_b32 exec_lo, exec_lo, s4
	s_and_saveexec_b32 s4, vcc_lo
	s_cbranch_execnz .LBB189_2236
.LBB189_2163:
	s_or_b32 exec_lo, exec_lo, s4
	s_and_saveexec_b32 s4, vcc_lo
	s_cbranch_execnz .LBB189_2237
.LBB189_2164:
	s_or_b32 exec_lo, exec_lo, s4
	s_and_saveexec_b32 s4, vcc_lo
	s_cbranch_execnz .LBB189_2238
.LBB189_2165:
	s_or_b32 exec_lo, exec_lo, s4
	s_and_saveexec_b32 s4, vcc_lo
	s_cbranch_execnz .LBB189_2239
.LBB189_2166:
	s_or_b32 exec_lo, exec_lo, s4
	s_and_saveexec_b32 s4, vcc_lo
	s_cbranch_execnz .LBB189_2240
.LBB189_2167:
	s_or_b32 exec_lo, exec_lo, s4
	s_and_saveexec_b32 s4, vcc_lo
	s_cbranch_execnz .LBB189_2241
.LBB189_2168:
	s_or_b32 exec_lo, exec_lo, s4
	s_and_saveexec_b32 s4, vcc_lo
	s_cbranch_execnz .LBB189_2242
.LBB189_2169:
	s_or_b32 exec_lo, exec_lo, s4
	s_and_saveexec_b32 s4, vcc_lo
	s_cbranch_execnz .LBB189_2243
.LBB189_2170:
	s_or_b32 exec_lo, exec_lo, s4
	s_and_saveexec_b32 s4, vcc_lo
	s_cbranch_execnz .LBB189_2244
.LBB189_2171:
	s_or_b32 exec_lo, exec_lo, s4
	s_and_saveexec_b32 s4, vcc_lo
	s_cbranch_execnz .LBB189_2245
.LBB189_2172:
	s_or_b32 exec_lo, exec_lo, s4
	s_and_saveexec_b32 s4, vcc_lo
	s_cbranch_execnz .LBB189_2246
.LBB189_2173:
	s_or_b32 exec_lo, exec_lo, s4
	s_and_saveexec_b32 s4, vcc_lo
	s_cbranch_execnz .LBB189_2247
.LBB189_2174:
	s_or_b32 exec_lo, exec_lo, s4
	s_and_saveexec_b32 s4, vcc_lo
	s_cbranch_execnz .LBB189_2248
.LBB189_2175:
	s_or_b32 exec_lo, exec_lo, s4
	s_and_saveexec_b32 s4, vcc_lo
	s_cbranch_execnz .LBB189_2249
.LBB189_2176:
	s_or_b32 exec_lo, exec_lo, s4
	s_and_saveexec_b32 s4, vcc_lo
	s_cbranch_execnz .LBB189_2250
.LBB189_2177:
	s_or_b32 exec_lo, exec_lo, s4
	s_and_saveexec_b32 s4, vcc_lo
	s_cbranch_execnz .LBB189_2251
.LBB189_2178:
	s_or_b32 exec_lo, exec_lo, s4
	s_and_saveexec_b32 s4, vcc_lo
	s_cbranch_execnz .LBB189_2252
.LBB189_2179:
	s_or_b32 exec_lo, exec_lo, s4
	s_and_saveexec_b32 s4, vcc_lo
	s_cbranch_execnz .LBB189_2253
.LBB189_2180:
	s_or_b32 exec_lo, exec_lo, s4
	s_and_saveexec_b32 s4, vcc_lo
	s_cbranch_execnz .LBB189_2254
.LBB189_2181:
	s_or_b32 exec_lo, exec_lo, s4
	s_and_saveexec_b32 s4, vcc_lo
	s_cbranch_execnz .LBB189_2255
.LBB189_2182:
	s_or_b32 exec_lo, exec_lo, s4
	s_and_saveexec_b32 s4, vcc_lo
	s_cbranch_execnz .LBB189_2256
.LBB189_2183:
	s_or_b32 exec_lo, exec_lo, s4
	s_and_saveexec_b32 s4, vcc_lo
	s_cbranch_execnz .LBB189_2257
.LBB189_2184:
	s_or_b32 exec_lo, exec_lo, s4
	s_and_saveexec_b32 s4, vcc_lo
	s_cbranch_execnz .LBB189_2258
.LBB189_2185:
	s_or_b32 exec_lo, exec_lo, s4
	s_and_saveexec_b32 s4, vcc_lo
	s_cbranch_execnz .LBB189_2259
.LBB189_2186:
	s_or_b32 exec_lo, exec_lo, s4
	s_and_saveexec_b32 s4, vcc_lo
	s_cbranch_execnz .LBB189_2260
.LBB189_2187:
	s_or_b32 exec_lo, exec_lo, s4
	s_and_saveexec_b32 s4, vcc_lo
	s_cbranch_execnz .LBB189_2261
.LBB189_2188:
	s_or_b32 exec_lo, exec_lo, s4
	s_and_saveexec_b32 s4, vcc_lo
	s_cbranch_execnz .LBB189_2262
.LBB189_2189:
	s_or_b32 exec_lo, exec_lo, s4
	s_and_saveexec_b32 s4, vcc_lo
	s_cbranch_execz .LBB189_2191
.LBB189_2190:
	ds_read_b32 v34, v32 offset:992
	s_waitcnt lgkmcnt(0)
	v_add_f32_e32 v31, v34, v31
.LBB189_2191:
	s_or_b32 exec_lo, exec_lo, s4
.LBB189_2192:
	s_or_b32 exec_lo, exec_lo, s5
	v_and_b32_e32 v34, 0x3e3, v102
	s_mov_b32 s5, exec_lo
	s_barrier
	buffer_gl0_inv
	v_cmpx_eq_u32_e32 32, v34
	s_cbranch_execz .LBB189_2194
; %bb.2193:
	ds_write2_b32 v33, v0, v1 offset1:8
	ds_write2_b32 v33, v2, v3 offset0:16 offset1:24
	ds_write2_b32 v33, v4, v5 offset0:32 offset1:40
	;; [unrolled: 1-line block ×15, first 2 shown]
.LBB189_2194:
	s_or_b32 exec_lo, exec_lo, s5
	s_mov_b32 s5, exec_lo
	s_waitcnt lgkmcnt(0)
	s_barrier
	buffer_gl0_inv
	v_cmpx_gt_u32_e32 32, v102
	s_cbranch_execz .LBB189_2229
; %bb.2195:
	s_and_saveexec_b32 s4, vcc_lo
	s_cbranch_execnz .LBB189_2263
; %bb.2196:
	s_or_b32 exec_lo, exec_lo, s4
	s_and_saveexec_b32 s4, vcc_lo
	s_cbranch_execnz .LBB189_2264
.LBB189_2197:
	s_or_b32 exec_lo, exec_lo, s4
	s_and_saveexec_b32 s4, vcc_lo
	s_cbranch_execnz .LBB189_2265
.LBB189_2198:
	s_or_b32 exec_lo, exec_lo, s4
	s_and_saveexec_b32 s4, vcc_lo
	s_cbranch_execnz .LBB189_2266
.LBB189_2199:
	s_or_b32 exec_lo, exec_lo, s4
	s_and_saveexec_b32 s4, vcc_lo
	s_cbranch_execnz .LBB189_2267
.LBB189_2200:
	s_or_b32 exec_lo, exec_lo, s4
	s_and_saveexec_b32 s4, vcc_lo
	s_cbranch_execnz .LBB189_2268
.LBB189_2201:
	s_or_b32 exec_lo, exec_lo, s4
	s_and_saveexec_b32 s4, vcc_lo
	s_cbranch_execnz .LBB189_2269
.LBB189_2202:
	s_or_b32 exec_lo, exec_lo, s4
	s_and_saveexec_b32 s4, vcc_lo
	s_cbranch_execnz .LBB189_2270
.LBB189_2203:
	s_or_b32 exec_lo, exec_lo, s4
	s_and_saveexec_b32 s4, vcc_lo
	s_cbranch_execnz .LBB189_2271
.LBB189_2204:
	s_or_b32 exec_lo, exec_lo, s4
	s_and_saveexec_b32 s4, vcc_lo
	s_cbranch_execnz .LBB189_2272
.LBB189_2205:
	s_or_b32 exec_lo, exec_lo, s4
	s_and_saveexec_b32 s4, vcc_lo
	s_cbranch_execnz .LBB189_2273
.LBB189_2206:
	s_or_b32 exec_lo, exec_lo, s4
	s_and_saveexec_b32 s4, vcc_lo
	s_cbranch_execnz .LBB189_2274
.LBB189_2207:
	s_or_b32 exec_lo, exec_lo, s4
	s_and_saveexec_b32 s4, vcc_lo
	s_cbranch_execnz .LBB189_2275
.LBB189_2208:
	s_or_b32 exec_lo, exec_lo, s4
	s_and_saveexec_b32 s4, vcc_lo
	s_cbranch_execnz .LBB189_2276
.LBB189_2209:
	s_or_b32 exec_lo, exec_lo, s4
	s_and_saveexec_b32 s4, vcc_lo
	s_cbranch_execnz .LBB189_2277
.LBB189_2210:
	s_or_b32 exec_lo, exec_lo, s4
	s_and_saveexec_b32 s4, vcc_lo
	s_cbranch_execnz .LBB189_2278
.LBB189_2211:
	s_or_b32 exec_lo, exec_lo, s4
	s_and_saveexec_b32 s4, vcc_lo
	s_cbranch_execnz .LBB189_2279
.LBB189_2212:
	s_or_b32 exec_lo, exec_lo, s4
	s_and_saveexec_b32 s4, vcc_lo
	s_cbranch_execnz .LBB189_2280
.LBB189_2213:
	s_or_b32 exec_lo, exec_lo, s4
	s_and_saveexec_b32 s4, vcc_lo
	s_cbranch_execnz .LBB189_2281
.LBB189_2214:
	s_or_b32 exec_lo, exec_lo, s4
	s_and_saveexec_b32 s4, vcc_lo
	s_cbranch_execnz .LBB189_2282
.LBB189_2215:
	s_or_b32 exec_lo, exec_lo, s4
	s_and_saveexec_b32 s4, vcc_lo
	s_cbranch_execnz .LBB189_2283
.LBB189_2216:
	s_or_b32 exec_lo, exec_lo, s4
	s_and_saveexec_b32 s4, vcc_lo
	s_cbranch_execnz .LBB189_2284
.LBB189_2217:
	s_or_b32 exec_lo, exec_lo, s4
	s_and_saveexec_b32 s4, vcc_lo
	s_cbranch_execnz .LBB189_2285
.LBB189_2218:
	s_or_b32 exec_lo, exec_lo, s4
	s_and_saveexec_b32 s4, vcc_lo
	s_cbranch_execnz .LBB189_2286
.LBB189_2219:
	s_or_b32 exec_lo, exec_lo, s4
	s_and_saveexec_b32 s4, vcc_lo
	s_cbranch_execnz .LBB189_2287
.LBB189_2220:
	s_or_b32 exec_lo, exec_lo, s4
	s_and_saveexec_b32 s4, vcc_lo
	s_cbranch_execnz .LBB189_2288
.LBB189_2221:
	s_or_b32 exec_lo, exec_lo, s4
	s_and_saveexec_b32 s4, vcc_lo
	s_cbranch_execnz .LBB189_2289
.LBB189_2222:
	s_or_b32 exec_lo, exec_lo, s4
	s_and_saveexec_b32 s4, vcc_lo
	s_cbranch_execnz .LBB189_2290
.LBB189_2223:
	s_or_b32 exec_lo, exec_lo, s4
	s_and_saveexec_b32 s4, vcc_lo
	s_cbranch_execnz .LBB189_2291
.LBB189_2224:
	s_or_b32 exec_lo, exec_lo, s4
	s_and_saveexec_b32 s4, vcc_lo
	s_cbranch_execnz .LBB189_2292
.LBB189_2225:
	s_or_b32 exec_lo, exec_lo, s4
	s_and_saveexec_b32 s4, vcc_lo
	s_cbranch_execnz .LBB189_2293
.LBB189_2226:
	s_or_b32 exec_lo, exec_lo, s4
	s_and_saveexec_b32 s4, vcc_lo
	s_cbranch_execz .LBB189_2228
.LBB189_2227:
	ds_read_b32 v32, v32 offset:992
	s_waitcnt lgkmcnt(0)
	v_add_f32_e32 v31, v32, v31
.LBB189_2228:
	s_or_b32 exec_lo, exec_lo, s4
.LBB189_2229:
	s_or_b32 exec_lo, exec_lo, s5
	s_mov_b32 s4, exec_lo
	s_barrier
	buffer_gl0_inv
	v_cmpx_eq_u32_e32 0, v34
	s_cbranch_execz .LBB189_2231
; %bb.2230:
	s_clause 0x1
	buffer_load_dword v32, off, s[0:3], s32 offset:1088
	buffer_load_dword v33, off, s[0:3], s32 offset:1084
	s_and_b32 s5, 0xffff, s8
	s_cmp_lg_u32 s5, 0
	s_cselect_b32 s5, -1, 0
	s_cmp_lg_u32 s5, 0
	s_addc_u32 s5, s12, 0
	s_lshl_b32 s6, s14, 8
	s_mul_i32 s7, s10, s5
	s_mul_i32 s8, s16, s5
	;; [unrolled: 1-line block ×3, first 2 shown]
	s_ashr_i32 s9, s8, 31
	s_lshl_b32 s10, s7, 8
	s_lshl_b64 s[8:9], s[8:9], 2
	s_ashr_i32 s11, s10, 31
	s_ashr_i32 s7, s6, 31
	s_lshl_b64 s[10:11], s[10:11], 2
	s_lshl_b64 s[6:7], s[6:7], 2
	s_waitcnt vmcnt(1)
	v_add_co_u32 v32, vcc_lo, v32, s10
	s_waitcnt vmcnt(0)
	v_add_co_ci_u32_e64 v33, null, s11, v33, vcc_lo
	v_add_co_u32 v32, vcc_lo, v32, s8
	v_add_co_ci_u32_e64 v33, null, s9, v33, vcc_lo
	v_add_co_u32 v32, vcc_lo, v32, s6
	;; [unrolled: 2-line block ×3, first 2 shown]
	v_add_co_ci_u32_e64 v33, null, 0, v33, vcc_lo
	flat_store_dword v[32:33], v0
	flat_store_dword v[32:33], v1 offset:32
	flat_store_dword v[32:33], v2 offset:64
	;; [unrolled: 1-line block ×31, first 2 shown]
.LBB189_2231:
	s_or_b32 exec_lo, exec_lo, s4
	s_clause 0x2f
	buffer_load_dword v127, off, s[0:3], s32
	buffer_load_dword v126, off, s[0:3], s32 offset:4
	buffer_load_dword v125, off, s[0:3], s32 offset:8
	buffer_load_dword v124, off, s[0:3], s32 offset:12
	buffer_load_dword v123, off, s[0:3], s32 offset:16
	buffer_load_dword v122, off, s[0:3], s32 offset:20
	buffer_load_dword v121, off, s[0:3], s32 offset:24
	buffer_load_dword v120, off, s[0:3], s32 offset:28
	buffer_load_dword v111, off, s[0:3], s32 offset:32
	buffer_load_dword v110, off, s[0:3], s32 offset:36
	buffer_load_dword v109, off, s[0:3], s32 offset:40
	buffer_load_dword v108, off, s[0:3], s32 offset:44
	buffer_load_dword v107, off, s[0:3], s32 offset:48
	buffer_load_dword v106, off, s[0:3], s32 offset:52
	buffer_load_dword v105, off, s[0:3], s32 offset:56
	buffer_load_dword v104, off, s[0:3], s32 offset:60
	buffer_load_dword v95, off, s[0:3], s32 offset:64
	buffer_load_dword v94, off, s[0:3], s32 offset:68
	buffer_load_dword v93, off, s[0:3], s32 offset:72
	buffer_load_dword v92, off, s[0:3], s32 offset:76
	buffer_load_dword v91, off, s[0:3], s32 offset:80
	buffer_load_dword v90, off, s[0:3], s32 offset:84
	buffer_load_dword v89, off, s[0:3], s32 offset:88
	buffer_load_dword v88, off, s[0:3], s32 offset:92
	buffer_load_dword v79, off, s[0:3], s32 offset:96
	buffer_load_dword v78, off, s[0:3], s32 offset:100
	buffer_load_dword v77, off, s[0:3], s32 offset:104
	buffer_load_dword v76, off, s[0:3], s32 offset:108
	buffer_load_dword v75, off, s[0:3], s32 offset:112
	buffer_load_dword v74, off, s[0:3], s32 offset:116
	buffer_load_dword v73, off, s[0:3], s32 offset:120
	buffer_load_dword v72, off, s[0:3], s32 offset:124
	buffer_load_dword v63, off, s[0:3], s32 offset:128
	buffer_load_dword v62, off, s[0:3], s32 offset:132
	buffer_load_dword v61, off, s[0:3], s32 offset:136
	buffer_load_dword v60, off, s[0:3], s32 offset:140
	buffer_load_dword v59, off, s[0:3], s32 offset:144
	buffer_load_dword v58, off, s[0:3], s32 offset:148
	buffer_load_dword v57, off, s[0:3], s32 offset:152
	buffer_load_dword v56, off, s[0:3], s32 offset:156
	buffer_load_dword v47, off, s[0:3], s32 offset:160
	buffer_load_dword v46, off, s[0:3], s32 offset:164
	buffer_load_dword v45, off, s[0:3], s32 offset:168
	buffer_load_dword v44, off, s[0:3], s32 offset:172
	buffer_load_dword v43, off, s[0:3], s32 offset:176
	buffer_load_dword v42, off, s[0:3], s32 offset:180
	buffer_load_dword v41, off, s[0:3], s32 offset:184
	buffer_load_dword v40, off, s[0:3], s32 offset:188
	s_waitcnt vmcnt(0) lgkmcnt(0)
	s_setpc_b64 s[30:31]
.LBB189_2232:
	ds_read_b32 v34, v32
	s_waitcnt lgkmcnt(0)
	v_add_f32_e32 v0, v34, v0
	s_or_b32 exec_lo, exec_lo, s4
	s_and_saveexec_b32 s4, vcc_lo
	s_cbranch_execz .LBB189_2160
.LBB189_2233:
	ds_read_b32 v34, v32 offset:32
	s_waitcnt lgkmcnt(0)
	v_add_f32_e32 v1, v34, v1
	s_or_b32 exec_lo, exec_lo, s4
	s_and_saveexec_b32 s4, vcc_lo
	s_cbranch_execz .LBB189_2161
.LBB189_2234:
	ds_read_b32 v34, v32 offset:64
	s_waitcnt lgkmcnt(0)
	v_add_f32_e32 v2, v34, v2
	s_or_b32 exec_lo, exec_lo, s4
	s_and_saveexec_b32 s4, vcc_lo
	s_cbranch_execz .LBB189_2162
.LBB189_2235:
	ds_read_b32 v34, v32 offset:96
	s_waitcnt lgkmcnt(0)
	v_add_f32_e32 v3, v34, v3
	s_or_b32 exec_lo, exec_lo, s4
	s_and_saveexec_b32 s4, vcc_lo
	s_cbranch_execz .LBB189_2163
.LBB189_2236:
	ds_read_b32 v34, v32 offset:128
	s_waitcnt lgkmcnt(0)
	v_add_f32_e32 v4, v34, v4
	s_or_b32 exec_lo, exec_lo, s4
	s_and_saveexec_b32 s4, vcc_lo
	s_cbranch_execz .LBB189_2164
.LBB189_2237:
	ds_read_b32 v34, v32 offset:160
	s_waitcnt lgkmcnt(0)
	v_add_f32_e32 v5, v34, v5
	s_or_b32 exec_lo, exec_lo, s4
	s_and_saveexec_b32 s4, vcc_lo
	s_cbranch_execz .LBB189_2165
.LBB189_2238:
	ds_read_b32 v34, v32 offset:192
	s_waitcnt lgkmcnt(0)
	v_add_f32_e32 v6, v34, v6
	s_or_b32 exec_lo, exec_lo, s4
	s_and_saveexec_b32 s4, vcc_lo
	s_cbranch_execz .LBB189_2166
.LBB189_2239:
	ds_read_b32 v34, v32 offset:224
	s_waitcnt lgkmcnt(0)
	v_add_f32_e32 v7, v34, v7
	s_or_b32 exec_lo, exec_lo, s4
	s_and_saveexec_b32 s4, vcc_lo
	s_cbranch_execz .LBB189_2167
.LBB189_2240:
	ds_read_b32 v34, v32 offset:256
	s_waitcnt lgkmcnt(0)
	v_add_f32_e32 v8, v34, v8
	s_or_b32 exec_lo, exec_lo, s4
	s_and_saveexec_b32 s4, vcc_lo
	s_cbranch_execz .LBB189_2168
.LBB189_2241:
	ds_read_b32 v34, v32 offset:288
	s_waitcnt lgkmcnt(0)
	v_add_f32_e32 v9, v34, v9
	s_or_b32 exec_lo, exec_lo, s4
	s_and_saveexec_b32 s4, vcc_lo
	s_cbranch_execz .LBB189_2169
.LBB189_2242:
	ds_read_b32 v34, v32 offset:320
	s_waitcnt lgkmcnt(0)
	v_add_f32_e32 v10, v34, v10
	s_or_b32 exec_lo, exec_lo, s4
	s_and_saveexec_b32 s4, vcc_lo
	s_cbranch_execz .LBB189_2170
.LBB189_2243:
	ds_read_b32 v34, v32 offset:352
	s_waitcnt lgkmcnt(0)
	v_add_f32_e32 v11, v34, v11
	s_or_b32 exec_lo, exec_lo, s4
	s_and_saveexec_b32 s4, vcc_lo
	s_cbranch_execz .LBB189_2171
.LBB189_2244:
	ds_read_b32 v34, v32 offset:384
	s_waitcnt lgkmcnt(0)
	v_add_f32_e32 v12, v34, v12
	s_or_b32 exec_lo, exec_lo, s4
	s_and_saveexec_b32 s4, vcc_lo
	s_cbranch_execz .LBB189_2172
.LBB189_2245:
	ds_read_b32 v34, v32 offset:416
	s_waitcnt lgkmcnt(0)
	v_add_f32_e32 v13, v34, v13
	s_or_b32 exec_lo, exec_lo, s4
	s_and_saveexec_b32 s4, vcc_lo
	s_cbranch_execz .LBB189_2173
.LBB189_2246:
	ds_read_b32 v34, v32 offset:448
	s_waitcnt lgkmcnt(0)
	v_add_f32_e32 v14, v34, v14
	s_or_b32 exec_lo, exec_lo, s4
	s_and_saveexec_b32 s4, vcc_lo
	s_cbranch_execz .LBB189_2174
.LBB189_2247:
	ds_read_b32 v34, v32 offset:480
	s_waitcnt lgkmcnt(0)
	v_add_f32_e32 v15, v34, v15
	s_or_b32 exec_lo, exec_lo, s4
	s_and_saveexec_b32 s4, vcc_lo
	s_cbranch_execz .LBB189_2175
.LBB189_2248:
	ds_read_b32 v34, v32 offset:512
	s_waitcnt lgkmcnt(0)
	v_add_f32_e32 v16, v34, v16
	s_or_b32 exec_lo, exec_lo, s4
	s_and_saveexec_b32 s4, vcc_lo
	s_cbranch_execz .LBB189_2176
.LBB189_2249:
	ds_read_b32 v34, v32 offset:544
	s_waitcnt lgkmcnt(0)
	v_add_f32_e32 v17, v34, v17
	s_or_b32 exec_lo, exec_lo, s4
	s_and_saveexec_b32 s4, vcc_lo
	s_cbranch_execz .LBB189_2177
.LBB189_2250:
	ds_read_b32 v34, v32 offset:576
	s_waitcnt lgkmcnt(0)
	v_add_f32_e32 v18, v34, v18
	s_or_b32 exec_lo, exec_lo, s4
	s_and_saveexec_b32 s4, vcc_lo
	s_cbranch_execz .LBB189_2178
.LBB189_2251:
	ds_read_b32 v34, v32 offset:608
	s_waitcnt lgkmcnt(0)
	v_add_f32_e32 v19, v34, v19
	s_or_b32 exec_lo, exec_lo, s4
	s_and_saveexec_b32 s4, vcc_lo
	s_cbranch_execz .LBB189_2179
.LBB189_2252:
	ds_read_b32 v34, v32 offset:640
	s_waitcnt lgkmcnt(0)
	v_add_f32_e32 v20, v34, v20
	s_or_b32 exec_lo, exec_lo, s4
	s_and_saveexec_b32 s4, vcc_lo
	s_cbranch_execz .LBB189_2180
.LBB189_2253:
	ds_read_b32 v34, v32 offset:672
	s_waitcnt lgkmcnt(0)
	v_add_f32_e32 v21, v34, v21
	s_or_b32 exec_lo, exec_lo, s4
	s_and_saveexec_b32 s4, vcc_lo
	s_cbranch_execz .LBB189_2181
.LBB189_2254:
	ds_read_b32 v34, v32 offset:704
	s_waitcnt lgkmcnt(0)
	v_add_f32_e32 v22, v34, v22
	s_or_b32 exec_lo, exec_lo, s4
	s_and_saveexec_b32 s4, vcc_lo
	s_cbranch_execz .LBB189_2182
.LBB189_2255:
	ds_read_b32 v34, v32 offset:736
	s_waitcnt lgkmcnt(0)
	v_add_f32_e32 v23, v34, v23
	s_or_b32 exec_lo, exec_lo, s4
	s_and_saveexec_b32 s4, vcc_lo
	s_cbranch_execz .LBB189_2183
.LBB189_2256:
	ds_read_b32 v34, v32 offset:768
	s_waitcnt lgkmcnt(0)
	v_add_f32_e32 v24, v34, v24
	s_or_b32 exec_lo, exec_lo, s4
	s_and_saveexec_b32 s4, vcc_lo
	s_cbranch_execz .LBB189_2184
.LBB189_2257:
	ds_read_b32 v34, v32 offset:800
	s_waitcnt lgkmcnt(0)
	v_add_f32_e32 v25, v34, v25
	s_or_b32 exec_lo, exec_lo, s4
	s_and_saveexec_b32 s4, vcc_lo
	s_cbranch_execz .LBB189_2185
.LBB189_2258:
	ds_read_b32 v34, v32 offset:832
	s_waitcnt lgkmcnt(0)
	v_add_f32_e32 v26, v34, v26
	s_or_b32 exec_lo, exec_lo, s4
	s_and_saveexec_b32 s4, vcc_lo
	s_cbranch_execz .LBB189_2186
.LBB189_2259:
	ds_read_b32 v34, v32 offset:864
	s_waitcnt lgkmcnt(0)
	v_add_f32_e32 v27, v34, v27
	s_or_b32 exec_lo, exec_lo, s4
	s_and_saveexec_b32 s4, vcc_lo
	s_cbranch_execz .LBB189_2187
.LBB189_2260:
	ds_read_b32 v34, v32 offset:896
	s_waitcnt lgkmcnt(0)
	v_add_f32_e32 v28, v34, v28
	s_or_b32 exec_lo, exec_lo, s4
	s_and_saveexec_b32 s4, vcc_lo
	s_cbranch_execz .LBB189_2188
.LBB189_2261:
	ds_read_b32 v34, v32 offset:928
	s_waitcnt lgkmcnt(0)
	v_add_f32_e32 v29, v34, v29
	s_or_b32 exec_lo, exec_lo, s4
	s_and_saveexec_b32 s4, vcc_lo
	s_cbranch_execz .LBB189_2189
.LBB189_2262:
	ds_read_b32 v34, v32 offset:960
	s_waitcnt lgkmcnt(0)
	v_add_f32_e32 v30, v34, v30
	s_or_b32 exec_lo, exec_lo, s4
	s_and_saveexec_b32 s4, vcc_lo
	s_cbranch_execnz .LBB189_2190
	s_branch .LBB189_2191
.LBB189_2263:
	ds_read_b32 v33, v32
	s_waitcnt lgkmcnt(0)
	v_add_f32_e32 v0, v33, v0
	s_or_b32 exec_lo, exec_lo, s4
	s_and_saveexec_b32 s4, vcc_lo
	s_cbranch_execz .LBB189_2197
.LBB189_2264:
	ds_read_b32 v33, v32 offset:32
	s_waitcnt lgkmcnt(0)
	v_add_f32_e32 v1, v33, v1
	s_or_b32 exec_lo, exec_lo, s4
	s_and_saveexec_b32 s4, vcc_lo
	s_cbranch_execz .LBB189_2198
.LBB189_2265:
	ds_read_b32 v33, v32 offset:64
	s_waitcnt lgkmcnt(0)
	v_add_f32_e32 v2, v33, v2
	s_or_b32 exec_lo, exec_lo, s4
	s_and_saveexec_b32 s4, vcc_lo
	s_cbranch_execz .LBB189_2199
.LBB189_2266:
	ds_read_b32 v33, v32 offset:96
	s_waitcnt lgkmcnt(0)
	v_add_f32_e32 v3, v33, v3
	s_or_b32 exec_lo, exec_lo, s4
	s_and_saveexec_b32 s4, vcc_lo
	s_cbranch_execz .LBB189_2200
.LBB189_2267:
	ds_read_b32 v33, v32 offset:128
	s_waitcnt lgkmcnt(0)
	v_add_f32_e32 v4, v33, v4
	s_or_b32 exec_lo, exec_lo, s4
	s_and_saveexec_b32 s4, vcc_lo
	s_cbranch_execz .LBB189_2201
.LBB189_2268:
	ds_read_b32 v33, v32 offset:160
	s_waitcnt lgkmcnt(0)
	v_add_f32_e32 v5, v33, v5
	s_or_b32 exec_lo, exec_lo, s4
	s_and_saveexec_b32 s4, vcc_lo
	s_cbranch_execz .LBB189_2202
.LBB189_2269:
	ds_read_b32 v33, v32 offset:192
	s_waitcnt lgkmcnt(0)
	v_add_f32_e32 v6, v33, v6
	s_or_b32 exec_lo, exec_lo, s4
	s_and_saveexec_b32 s4, vcc_lo
	s_cbranch_execz .LBB189_2203
.LBB189_2270:
	ds_read_b32 v33, v32 offset:224
	s_waitcnt lgkmcnt(0)
	v_add_f32_e32 v7, v33, v7
	s_or_b32 exec_lo, exec_lo, s4
	s_and_saveexec_b32 s4, vcc_lo
	s_cbranch_execz .LBB189_2204
.LBB189_2271:
	ds_read_b32 v33, v32 offset:256
	s_waitcnt lgkmcnt(0)
	v_add_f32_e32 v8, v33, v8
	s_or_b32 exec_lo, exec_lo, s4
	s_and_saveexec_b32 s4, vcc_lo
	s_cbranch_execz .LBB189_2205
.LBB189_2272:
	ds_read_b32 v33, v32 offset:288
	s_waitcnt lgkmcnt(0)
	v_add_f32_e32 v9, v33, v9
	s_or_b32 exec_lo, exec_lo, s4
	s_and_saveexec_b32 s4, vcc_lo
	s_cbranch_execz .LBB189_2206
.LBB189_2273:
	ds_read_b32 v33, v32 offset:320
	s_waitcnt lgkmcnt(0)
	v_add_f32_e32 v10, v33, v10
	s_or_b32 exec_lo, exec_lo, s4
	s_and_saveexec_b32 s4, vcc_lo
	s_cbranch_execz .LBB189_2207
.LBB189_2274:
	ds_read_b32 v33, v32 offset:352
	s_waitcnt lgkmcnt(0)
	v_add_f32_e32 v11, v33, v11
	s_or_b32 exec_lo, exec_lo, s4
	s_and_saveexec_b32 s4, vcc_lo
	s_cbranch_execz .LBB189_2208
.LBB189_2275:
	ds_read_b32 v33, v32 offset:384
	s_waitcnt lgkmcnt(0)
	v_add_f32_e32 v12, v33, v12
	s_or_b32 exec_lo, exec_lo, s4
	s_and_saveexec_b32 s4, vcc_lo
	s_cbranch_execz .LBB189_2209
.LBB189_2276:
	ds_read_b32 v33, v32 offset:416
	s_waitcnt lgkmcnt(0)
	v_add_f32_e32 v13, v33, v13
	s_or_b32 exec_lo, exec_lo, s4
	s_and_saveexec_b32 s4, vcc_lo
	s_cbranch_execz .LBB189_2210
.LBB189_2277:
	ds_read_b32 v33, v32 offset:448
	s_waitcnt lgkmcnt(0)
	v_add_f32_e32 v14, v33, v14
	s_or_b32 exec_lo, exec_lo, s4
	s_and_saveexec_b32 s4, vcc_lo
	s_cbranch_execz .LBB189_2211
.LBB189_2278:
	ds_read_b32 v33, v32 offset:480
	s_waitcnt lgkmcnt(0)
	v_add_f32_e32 v15, v33, v15
	s_or_b32 exec_lo, exec_lo, s4
	s_and_saveexec_b32 s4, vcc_lo
	s_cbranch_execz .LBB189_2212
.LBB189_2279:
	ds_read_b32 v33, v32 offset:512
	s_waitcnt lgkmcnt(0)
	v_add_f32_e32 v16, v33, v16
	s_or_b32 exec_lo, exec_lo, s4
	s_and_saveexec_b32 s4, vcc_lo
	s_cbranch_execz .LBB189_2213
.LBB189_2280:
	ds_read_b32 v33, v32 offset:544
	s_waitcnt lgkmcnt(0)
	v_add_f32_e32 v17, v33, v17
	s_or_b32 exec_lo, exec_lo, s4
	s_and_saveexec_b32 s4, vcc_lo
	s_cbranch_execz .LBB189_2214
.LBB189_2281:
	ds_read_b32 v33, v32 offset:576
	s_waitcnt lgkmcnt(0)
	v_add_f32_e32 v18, v33, v18
	s_or_b32 exec_lo, exec_lo, s4
	s_and_saveexec_b32 s4, vcc_lo
	s_cbranch_execz .LBB189_2215
.LBB189_2282:
	ds_read_b32 v33, v32 offset:608
	s_waitcnt lgkmcnt(0)
	v_add_f32_e32 v19, v33, v19
	s_or_b32 exec_lo, exec_lo, s4
	s_and_saveexec_b32 s4, vcc_lo
	s_cbranch_execz .LBB189_2216
.LBB189_2283:
	ds_read_b32 v33, v32 offset:640
	s_waitcnt lgkmcnt(0)
	v_add_f32_e32 v20, v33, v20
	s_or_b32 exec_lo, exec_lo, s4
	s_and_saveexec_b32 s4, vcc_lo
	s_cbranch_execz .LBB189_2217
.LBB189_2284:
	ds_read_b32 v33, v32 offset:672
	s_waitcnt lgkmcnt(0)
	v_add_f32_e32 v21, v33, v21
	s_or_b32 exec_lo, exec_lo, s4
	s_and_saveexec_b32 s4, vcc_lo
	s_cbranch_execz .LBB189_2218
.LBB189_2285:
	ds_read_b32 v33, v32 offset:704
	s_waitcnt lgkmcnt(0)
	v_add_f32_e32 v22, v33, v22
	s_or_b32 exec_lo, exec_lo, s4
	s_and_saveexec_b32 s4, vcc_lo
	s_cbranch_execz .LBB189_2219
.LBB189_2286:
	ds_read_b32 v33, v32 offset:736
	s_waitcnt lgkmcnt(0)
	v_add_f32_e32 v23, v33, v23
	s_or_b32 exec_lo, exec_lo, s4
	s_and_saveexec_b32 s4, vcc_lo
	s_cbranch_execz .LBB189_2220
.LBB189_2287:
	ds_read_b32 v33, v32 offset:768
	s_waitcnt lgkmcnt(0)
	v_add_f32_e32 v24, v33, v24
	s_or_b32 exec_lo, exec_lo, s4
	s_and_saveexec_b32 s4, vcc_lo
	s_cbranch_execz .LBB189_2221
.LBB189_2288:
	ds_read_b32 v33, v32 offset:800
	s_waitcnt lgkmcnt(0)
	v_add_f32_e32 v25, v33, v25
	s_or_b32 exec_lo, exec_lo, s4
	s_and_saveexec_b32 s4, vcc_lo
	s_cbranch_execz .LBB189_2222
.LBB189_2289:
	ds_read_b32 v33, v32 offset:832
	s_waitcnt lgkmcnt(0)
	v_add_f32_e32 v26, v33, v26
	s_or_b32 exec_lo, exec_lo, s4
	s_and_saveexec_b32 s4, vcc_lo
	s_cbranch_execz .LBB189_2223
.LBB189_2290:
	ds_read_b32 v33, v32 offset:864
	s_waitcnt lgkmcnt(0)
	v_add_f32_e32 v27, v33, v27
	s_or_b32 exec_lo, exec_lo, s4
	s_and_saveexec_b32 s4, vcc_lo
	s_cbranch_execz .LBB189_2224
.LBB189_2291:
	ds_read_b32 v33, v32 offset:896
	s_waitcnt lgkmcnt(0)
	v_add_f32_e32 v28, v33, v28
	s_or_b32 exec_lo, exec_lo, s4
	s_and_saveexec_b32 s4, vcc_lo
	s_cbranch_execz .LBB189_2225
.LBB189_2292:
	ds_read_b32 v33, v32 offset:928
	s_waitcnt lgkmcnt(0)
	v_add_f32_e32 v29, v33, v29
	s_or_b32 exec_lo, exec_lo, s4
	s_and_saveexec_b32 s4, vcc_lo
	s_cbranch_execz .LBB189_2226
.LBB189_2293:
	ds_read_b32 v33, v32 offset:960
	s_waitcnt lgkmcnt(0)
	v_add_f32_e32 v30, v33, v30
	s_or_b32 exec_lo, exec_lo, s4
	s_and_saveexec_b32 s4, vcc_lo
	s_cbranch_execnz .LBB189_2227
	s_branch .LBB189_2228
.Lfunc_end189:
	.size	_ZN4vllm22paged_attention_kernelIfhLi256ELi16ELi128ELNS_18Fp8KVCacheDataTypeE1ELb1ELi0EEEvPfS2_PT_PKS3_PKT0_S9_ifPKiSB_iPKfiiiSD_SD_iiiii, .Lfunc_end189-_ZN4vllm22paged_attention_kernelIfhLi256ELi16ELi128ELNS_18Fp8KVCacheDataTypeE1ELb1ELi0EEEvPfS2_PT_PKS3_PKT0_S9_ifPKiSB_iPKfiiiSD_SD_iiiii
                                        ; -- End function
	.set .L_ZN4vllm22paged_attention_kernelIfhLi256ELi16ELi128ELNS_18Fp8KVCacheDataTypeE1ELb1ELi0EEEvPfS2_PT_PKS3_PKT0_S9_ifPKiSB_iPKfiiiSD_SD_iiiii.num_vgpr, 128
	.set .L_ZN4vllm22paged_attention_kernelIfhLi256ELi16ELi128ELNS_18Fp8KVCacheDataTypeE1ELb1ELi0EEEvPfS2_PT_PKS3_PKT0_S9_ifPKiSB_iPKfiiiSD_SD_iiiii.num_agpr, 0
	.set .L_ZN4vllm22paged_attention_kernelIfhLi256ELi16ELi128ELNS_18Fp8KVCacheDataTypeE1ELb1ELi0EEEvPfS2_PT_PKS3_PKT0_S9_ifPKiSB_iPKfiiiSD_SD_iiiii.numbered_sgpr, 33
	.set .L_ZN4vllm22paged_attention_kernelIfhLi256ELi16ELi128ELNS_18Fp8KVCacheDataTypeE1ELb1ELi0EEEvPfS2_PT_PKS3_PKT0_S9_ifPKiSB_iPKfiiiSD_SD_iiiii.num_named_barrier, 0
	.set .L_ZN4vllm22paged_attention_kernelIfhLi256ELi16ELi128ELNS_18Fp8KVCacheDataTypeE1ELb1ELi0EEEvPfS2_PT_PKS3_PKT0_S9_ifPKiSB_iPKfiiiSD_SD_iiiii.private_seg_size, 1148
	.set .L_ZN4vllm22paged_attention_kernelIfhLi256ELi16ELi128ELNS_18Fp8KVCacheDataTypeE1ELb1ELi0EEEvPfS2_PT_PKS3_PKT0_S9_ifPKiSB_iPKfiiiSD_SD_iiiii.uses_vcc, 1
	.set .L_ZN4vllm22paged_attention_kernelIfhLi256ELi16ELi128ELNS_18Fp8KVCacheDataTypeE1ELb1ELi0EEEvPfS2_PT_PKS3_PKT0_S9_ifPKiSB_iPKfiiiSD_SD_iiiii.uses_flat_scratch, 0
	.set .L_ZN4vllm22paged_attention_kernelIfhLi256ELi16ELi128ELNS_18Fp8KVCacheDataTypeE1ELb1ELi0EEEvPfS2_PT_PKS3_PKT0_S9_ifPKiSB_iPKfiiiSD_SD_iiiii.has_dyn_sized_stack, 0
	.set .L_ZN4vllm22paged_attention_kernelIfhLi256ELi16ELi128ELNS_18Fp8KVCacheDataTypeE1ELb1ELi0EEEvPfS2_PT_PKS3_PKT0_S9_ifPKiSB_iPKfiiiSD_SD_iiiii.has_recursion, 0
	.set .L_ZN4vllm22paged_attention_kernelIfhLi256ELi16ELi128ELNS_18Fp8KVCacheDataTypeE1ELb1ELi0EEEvPfS2_PT_PKS3_PKT0_S9_ifPKiSB_iPKfiiiSD_SD_iiiii.has_indirect_call, 0
	.section	.AMDGPU.csdata,"",@progbits
; Function info:
; codeLenInByte = 78604
; TotalNumSgprs: 35
; NumVgprs: 128
; ScratchSize: 1148
; MemoryBound: 0
	.section	.text._ZN4vllm25paged_attention_v1_kernelIfhLi256ELi16ELi128ELNS_18Fp8KVCacheDataTypeE1ELb1EEEvPT_PKS2_PKT0_S8_ifPKiSA_iPKfiiiSC_SC_iiiii,"axG",@progbits,_ZN4vllm25paged_attention_v1_kernelIfhLi256ELi16ELi128ELNS_18Fp8KVCacheDataTypeE1ELb1EEEvPT_PKS2_PKT0_S8_ifPKiSA_iPKfiiiSC_SC_iiiii,comdat
	.protected	_ZN4vllm25paged_attention_v1_kernelIfhLi256ELi16ELi128ELNS_18Fp8KVCacheDataTypeE1ELb1EEEvPT_PKS2_PKT0_S8_ifPKiSA_iPKfiiiSC_SC_iiiii ; -- Begin function _ZN4vllm25paged_attention_v1_kernelIfhLi256ELi16ELi128ELNS_18Fp8KVCacheDataTypeE1ELb1EEEvPT_PKS2_PKT0_S8_ifPKiSA_iPKfiiiSC_SC_iiiii
	.globl	_ZN4vllm25paged_attention_v1_kernelIfhLi256ELi16ELi128ELNS_18Fp8KVCacheDataTypeE1ELb1EEEvPT_PKS2_PKT0_S8_ifPKiSA_iPKfiiiSC_SC_iiiii
	.p2align	8
	.type	_ZN4vllm25paged_attention_v1_kernelIfhLi256ELi16ELi128ELNS_18Fp8KVCacheDataTypeE1ELb1EEEvPT_PKS2_PKT0_S8_ifPKiSA_iPKfiiiSC_SC_iiiii,@function
_ZN4vllm25paged_attention_v1_kernelIfhLi256ELi16ELi128ELNS_18Fp8KVCacheDataTypeE1ELb1EEEvPT_PKS2_PKT0_S8_ifPKiSA_iPKfiiiSC_SC_iiiii: ; @_ZN4vllm25paged_attention_v1_kernelIfhLi256ELi16ELi128ELNS_18Fp8KVCacheDataTypeE1ELb1EEEvPT_PKS2_PKT0_S8_ifPKiSA_iPKfiiiSC_SC_iiiii
; %bb.0:
	s_clause 0x7
	s_load_dwordx8 s[16:23], s[4:5], 0x0
	s_load_dwordx4 s[36:39], s[4:5], 0x20
	s_load_dwordx2 s[10:11], s[4:5], 0x30
	s_load_dword s13, s[4:5], 0x38
	s_load_dwordx2 s[34:35], s[4:5], 0x40
	s_load_dwordx8 s[24:31], s[4:5], 0x48
	s_load_dword s15, s[4:5], 0x78
	s_load_dwordx4 s[40:43], s[4:5], 0x68
	s_add_u32 s0, s0, s9
	s_addc_u32 s1, s1, 0
	v_mov_b32_e32 v31, v0
	s_mov_b32 s14, s8
	s_add_u32 s8, s4, 0x80
	s_addc_u32 s9, s5, 0
	s_getpc_b64 s[4:5]
	s_add_u32 s4, s4, _ZN4vllm22paged_attention_kernelIfhLi256ELi16ELi128ELNS_18Fp8KVCacheDataTypeE1ELb1ELi0EEEvPfS2_PT_PKS3_PKT0_S9_ifPKiSB_iPKfiiiSD_SD_iiiii@rel32@lo+4
	s_addc_u32 s5, s5, _ZN4vllm22paged_attention_kernelIfhLi256ELi16ELi128ELNS_18Fp8KVCacheDataTypeE1ELb1ELi0EEEvPfS2_PT_PKS3_PKT0_S9_ifPKiSB_iPKfiiiSD_SD_iiiii@rel32@hi+12
	s_mov_b32 s12, s6
	s_mov_b32 s32, 0
	s_waitcnt lgkmcnt(0)
	v_mov_b32_e32 v0, s16
	v_mov_b32_e32 v1, s17
	;; [unrolled: 1-line block ×29, first 2 shown]
	s_mov_b32 s13, s7
	s_mov_b32 s15, 27
	s_swappc_b64 s[30:31], s[4:5]
	s_endpgm
	.section	.rodata,"a",@progbits
	.p2align	6, 0x0
	.amdhsa_kernel _ZN4vllm25paged_attention_v1_kernelIfhLi256ELi16ELi128ELNS_18Fp8KVCacheDataTypeE1ELb1EEEvPT_PKS2_PKT0_S8_ifPKiSA_iPKfiiiSC_SC_iiiii
		.amdhsa_group_segment_fixed_size 1056
		.amdhsa_private_segment_fixed_size 1148
		.amdhsa_kernarg_size 384
		.amdhsa_user_sgpr_count 6
		.amdhsa_user_sgpr_private_segment_buffer 1
		.amdhsa_user_sgpr_dispatch_ptr 0
		.amdhsa_user_sgpr_queue_ptr 0
		.amdhsa_user_sgpr_kernarg_segment_ptr 1
		.amdhsa_user_sgpr_dispatch_id 0
		.amdhsa_user_sgpr_flat_scratch_init 0
		.amdhsa_user_sgpr_private_segment_size 0
		.amdhsa_wavefront_size32 1
		.amdhsa_uses_dynamic_stack 0
		.amdhsa_system_sgpr_private_segment_wavefront_offset 1
		.amdhsa_system_sgpr_workgroup_id_x 1
		.amdhsa_system_sgpr_workgroup_id_y 1
		.amdhsa_system_sgpr_workgroup_id_z 1
		.amdhsa_system_sgpr_workgroup_info 0
		.amdhsa_system_vgpr_workitem_id 0
		.amdhsa_next_free_vgpr 128
		.amdhsa_next_free_sgpr 44
		.amdhsa_reserve_vcc 1
		.amdhsa_reserve_flat_scratch 0
		.amdhsa_float_round_mode_32 0
		.amdhsa_float_round_mode_16_64 0
		.amdhsa_float_denorm_mode_32 3
		.amdhsa_float_denorm_mode_16_64 3
		.amdhsa_dx10_clamp 1
		.amdhsa_ieee_mode 1
		.amdhsa_fp16_overflow 0
		.amdhsa_workgroup_processor_mode 1
		.amdhsa_memory_ordered 1
		.amdhsa_forward_progress 1
		.amdhsa_shared_vgpr_count 0
		.amdhsa_exception_fp_ieee_invalid_op 0
		.amdhsa_exception_fp_denorm_src 0
		.amdhsa_exception_fp_ieee_div_zero 0
		.amdhsa_exception_fp_ieee_overflow 0
		.amdhsa_exception_fp_ieee_underflow 0
		.amdhsa_exception_fp_ieee_inexact 0
		.amdhsa_exception_int_div_zero 0
	.end_amdhsa_kernel
	.section	.text._ZN4vllm25paged_attention_v1_kernelIfhLi256ELi16ELi128ELNS_18Fp8KVCacheDataTypeE1ELb1EEEvPT_PKS2_PKT0_S8_ifPKiSA_iPKfiiiSC_SC_iiiii,"axG",@progbits,_ZN4vllm25paged_attention_v1_kernelIfhLi256ELi16ELi128ELNS_18Fp8KVCacheDataTypeE1ELb1EEEvPT_PKS2_PKT0_S8_ifPKiSA_iPKfiiiSC_SC_iiiii,comdat
.Lfunc_end190:
	.size	_ZN4vllm25paged_attention_v1_kernelIfhLi256ELi16ELi128ELNS_18Fp8KVCacheDataTypeE1ELb1EEEvPT_PKS2_PKT0_S8_ifPKiSA_iPKfiiiSC_SC_iiiii, .Lfunc_end190-_ZN4vllm25paged_attention_v1_kernelIfhLi256ELi16ELi128ELNS_18Fp8KVCacheDataTypeE1ELb1EEEvPT_PKS2_PKT0_S8_ifPKiSA_iPKfiiiSC_SC_iiiii
                                        ; -- End function
	.set _ZN4vllm25paged_attention_v1_kernelIfhLi256ELi16ELi128ELNS_18Fp8KVCacheDataTypeE1ELb1EEEvPT_PKS2_PKT0_S8_ifPKiSA_iPKfiiiSC_SC_iiiii.num_vgpr, max(32, .L_ZN4vllm22paged_attention_kernelIfhLi256ELi16ELi128ELNS_18Fp8KVCacheDataTypeE1ELb1ELi0EEEvPfS2_PT_PKS3_PKT0_S9_ifPKiSB_iPKfiiiSD_SD_iiiii.num_vgpr)
	.set _ZN4vllm25paged_attention_v1_kernelIfhLi256ELi16ELi128ELNS_18Fp8KVCacheDataTypeE1ELb1EEEvPT_PKS2_PKT0_S8_ifPKiSA_iPKfiiiSC_SC_iiiii.num_agpr, max(0, .L_ZN4vllm22paged_attention_kernelIfhLi256ELi16ELi128ELNS_18Fp8KVCacheDataTypeE1ELb1ELi0EEEvPfS2_PT_PKS3_PKT0_S9_ifPKiSB_iPKfiiiSD_SD_iiiii.num_agpr)
	.set _ZN4vllm25paged_attention_v1_kernelIfhLi256ELi16ELi128ELNS_18Fp8KVCacheDataTypeE1ELb1EEEvPT_PKS2_PKT0_S8_ifPKiSA_iPKfiiiSC_SC_iiiii.numbered_sgpr, max(44, .L_ZN4vllm22paged_attention_kernelIfhLi256ELi16ELi128ELNS_18Fp8KVCacheDataTypeE1ELb1ELi0EEEvPfS2_PT_PKS3_PKT0_S9_ifPKiSB_iPKfiiiSD_SD_iiiii.numbered_sgpr)
	.set _ZN4vllm25paged_attention_v1_kernelIfhLi256ELi16ELi128ELNS_18Fp8KVCacheDataTypeE1ELb1EEEvPT_PKS2_PKT0_S8_ifPKiSA_iPKfiiiSC_SC_iiiii.num_named_barrier, max(0, .L_ZN4vllm22paged_attention_kernelIfhLi256ELi16ELi128ELNS_18Fp8KVCacheDataTypeE1ELb1ELi0EEEvPfS2_PT_PKS3_PKT0_S9_ifPKiSB_iPKfiiiSD_SD_iiiii.num_named_barrier)
	.set _ZN4vllm25paged_attention_v1_kernelIfhLi256ELi16ELi128ELNS_18Fp8KVCacheDataTypeE1ELb1EEEvPT_PKS2_PKT0_S8_ifPKiSA_iPKfiiiSC_SC_iiiii.private_seg_size, 0+max(.L_ZN4vllm22paged_attention_kernelIfhLi256ELi16ELi128ELNS_18Fp8KVCacheDataTypeE1ELb1ELi0EEEvPfS2_PT_PKS3_PKT0_S9_ifPKiSB_iPKfiiiSD_SD_iiiii.private_seg_size)
	.set _ZN4vllm25paged_attention_v1_kernelIfhLi256ELi16ELi128ELNS_18Fp8KVCacheDataTypeE1ELb1EEEvPT_PKS2_PKT0_S8_ifPKiSA_iPKfiiiSC_SC_iiiii.uses_vcc, or(1, .L_ZN4vllm22paged_attention_kernelIfhLi256ELi16ELi128ELNS_18Fp8KVCacheDataTypeE1ELb1ELi0EEEvPfS2_PT_PKS3_PKT0_S9_ifPKiSB_iPKfiiiSD_SD_iiiii.uses_vcc)
	.set _ZN4vllm25paged_attention_v1_kernelIfhLi256ELi16ELi128ELNS_18Fp8KVCacheDataTypeE1ELb1EEEvPT_PKS2_PKT0_S8_ifPKiSA_iPKfiiiSC_SC_iiiii.uses_flat_scratch, or(0, .L_ZN4vllm22paged_attention_kernelIfhLi256ELi16ELi128ELNS_18Fp8KVCacheDataTypeE1ELb1ELi0EEEvPfS2_PT_PKS3_PKT0_S9_ifPKiSB_iPKfiiiSD_SD_iiiii.uses_flat_scratch)
	.set _ZN4vllm25paged_attention_v1_kernelIfhLi256ELi16ELi128ELNS_18Fp8KVCacheDataTypeE1ELb1EEEvPT_PKS2_PKT0_S8_ifPKiSA_iPKfiiiSC_SC_iiiii.has_dyn_sized_stack, or(0, .L_ZN4vllm22paged_attention_kernelIfhLi256ELi16ELi128ELNS_18Fp8KVCacheDataTypeE1ELb1ELi0EEEvPfS2_PT_PKS3_PKT0_S9_ifPKiSB_iPKfiiiSD_SD_iiiii.has_dyn_sized_stack)
	.set _ZN4vllm25paged_attention_v1_kernelIfhLi256ELi16ELi128ELNS_18Fp8KVCacheDataTypeE1ELb1EEEvPT_PKS2_PKT0_S8_ifPKiSA_iPKfiiiSC_SC_iiiii.has_recursion, or(0, .L_ZN4vllm22paged_attention_kernelIfhLi256ELi16ELi128ELNS_18Fp8KVCacheDataTypeE1ELb1ELi0EEEvPfS2_PT_PKS3_PKT0_S9_ifPKiSB_iPKfiiiSD_SD_iiiii.has_recursion)
	.set _ZN4vllm25paged_attention_v1_kernelIfhLi256ELi16ELi128ELNS_18Fp8KVCacheDataTypeE1ELb1EEEvPT_PKS2_PKT0_S8_ifPKiSA_iPKfiiiSC_SC_iiiii.has_indirect_call, or(0, .L_ZN4vllm22paged_attention_kernelIfhLi256ELi16ELi128ELNS_18Fp8KVCacheDataTypeE1ELb1ELi0EEEvPfS2_PT_PKS3_PKT0_S9_ifPKiSB_iPKfiiiSD_SD_iiiii.has_indirect_call)
	.section	.AMDGPU.csdata,"",@progbits
; Kernel info:
; codeLenInByte = 260
; TotalNumSgprs: 46
; NumVgprs: 128
; ScratchSize: 1148
; MemoryBound: 0
; FloatMode: 240
; IeeeMode: 1
; LDSByteSize: 1056 bytes/workgroup (compile time only)
; SGPRBlocks: 0
; VGPRBlocks: 15
; NumSGPRsForWavesPerEU: 46
; NumVGPRsForWavesPerEU: 128
; Occupancy: 8
; WaveLimiterHint : 1
; COMPUTE_PGM_RSRC2:SCRATCH_EN: 1
; COMPUTE_PGM_RSRC2:USER_SGPR: 6
; COMPUTE_PGM_RSRC2:TRAP_HANDLER: 0
; COMPUTE_PGM_RSRC2:TGID_X_EN: 1
; COMPUTE_PGM_RSRC2:TGID_Y_EN: 1
; COMPUTE_PGM_RSRC2:TGID_Z_EN: 1
; COMPUTE_PGM_RSRC2:TIDIG_COMP_CNT: 0
	.section	.text._ZN4vllm25paged_attention_v1_kernelIfhLi32ELi16ELi128ELNS_18Fp8KVCacheDataTypeE1ELb0EEEvPT_PKS2_PKT0_S8_ifPKiSA_iPKfiiiSC_SC_iiiii,"axG",@progbits,_ZN4vllm25paged_attention_v1_kernelIfhLi32ELi16ELi128ELNS_18Fp8KVCacheDataTypeE1ELb0EEEvPT_PKS2_PKT0_S8_ifPKiSA_iPKfiiiSC_SC_iiiii,comdat
	.protected	_ZN4vllm25paged_attention_v1_kernelIfhLi32ELi16ELi128ELNS_18Fp8KVCacheDataTypeE1ELb0EEEvPT_PKS2_PKT0_S8_ifPKiSA_iPKfiiiSC_SC_iiiii ; -- Begin function _ZN4vllm25paged_attention_v1_kernelIfhLi32ELi16ELi128ELNS_18Fp8KVCacheDataTypeE1ELb0EEEvPT_PKS2_PKT0_S8_ifPKiSA_iPKfiiiSC_SC_iiiii
	.globl	_ZN4vllm25paged_attention_v1_kernelIfhLi32ELi16ELi128ELNS_18Fp8KVCacheDataTypeE1ELb0EEEvPT_PKS2_PKT0_S8_ifPKiSA_iPKfiiiSC_SC_iiiii
	.p2align	8
	.type	_ZN4vllm25paged_attention_v1_kernelIfhLi32ELi16ELi128ELNS_18Fp8KVCacheDataTypeE1ELb0EEEvPT_PKS2_PKT0_S8_ifPKiSA_iPKfiiiSC_SC_iiiii,@function
_ZN4vllm25paged_attention_v1_kernelIfhLi32ELi16ELi128ELNS_18Fp8KVCacheDataTypeE1ELb0EEEvPT_PKS2_PKT0_S8_ifPKiSA_iPKfiiiSC_SC_iiiii: ; @_ZN4vllm25paged_attention_v1_kernelIfhLi32ELi16ELi128ELNS_18Fp8KVCacheDataTypeE1ELb0EEEvPT_PKS2_PKT0_S8_ifPKiSA_iPKfiiiSC_SC_iiiii
; %bb.0:
	s_clause 0x2
	s_load_dword s9, s[4:5], 0x80
	s_load_dwordx2 s[0:1], s[4:5], 0x30
	s_load_dwordx2 s[28:29], s[4:5], 0x20
	s_mov_b32 s10, s7
	s_ashr_i32 s11, s7, 31
	s_lshl_b64 s[2:3], s[10:11], 2
	s_waitcnt lgkmcnt(0)
	s_add_u32 s0, s0, s2
	s_addc_u32 s1, s1, s3
	s_abs_i32 s2, s28
	s_abs_i32 s11, s9
	v_cvt_f32_u32_e32 v1, s2
	s_sub_i32 s7, 0, s2
	v_rcp_iflag_f32_e32 v1, v1
	v_mul_f32_e32 v1, 0x4f7ffffe, v1
	v_cvt_u32_f32_e32 v1, v1
	v_readfirstlane_b32 s3, v1
	s_mul_i32 s7, s7, s3
	s_mul_hi_u32 s7, s3, s7
	s_add_i32 s3, s3, s7
	s_xor_b32 s7, s9, s28
	s_mul_hi_u32 s3, s11, s3
	s_ashr_i32 s7, s7, 31
	s_mul_i32 s12, s3, s2
	s_mov_b32 s28, 0
	s_sub_i32 s11, s11, s12
	s_add_i32 s12, s3, 1
	s_sub_i32 s13, s11, s2
	s_cmp_ge_u32 s11, s2
	s_cselect_b32 s3, s12, s3
	s_cselect_b32 s11, s13, s11
	s_add_i32 s12, s3, 1
	s_cmp_ge_u32 s11, s2
	s_cselect_b32 s2, s12, s3
	s_abs_i32 s17, s6
	s_xor_b32 s2, s2, s7
	s_sub_i32 s19, s2, s7
	s_load_dwordx2 s[2:3], s[4:5], 0x40
	s_abs_i32 s16, s19
	v_cvt_f32_u32_e32 v1, s16
	s_sub_i32 s11, 0, s16
	v_rcp_iflag_f32_e32 v1, v1
	v_mul_f32_e32 v1, 0x4f7ffffe, v1
	v_cvt_u32_f32_e32 v1, v1
	v_readfirstlane_b32 s7, v1
	s_mul_i32 s11, s11, s7
	s_mul_hi_u32 s11, s7, s11
	s_add_i32 s7, s7, s11
	s_waitcnt lgkmcnt(0)
	s_cmp_eq_u64 s[2:3], 0
	s_mul_hi_u32 s18, s17, s7
	s_cbranch_scc1 .LBB191_2
; %bb.1:
	s_ashr_i32 s7, s6, 31
	s_lshl_b64 s[12:13], s[6:7], 2
	s_add_u32 s2, s2, s12
	s_addc_u32 s3, s3, s13
	s_load_dword s28, s[2:3], 0x0
.LBB191_2:
	s_load_dword s11, s[0:1], 0x0
	s_load_dwordx4 s[12:15], s[4:5], 0x48
	v_and_b32_e32 v1, 1, v0
	v_lshlrev_b32_e32 v60, 2, v0
	s_ashr_i32 s0, s6, 31
	s_ashr_i32 s1, s19, 31
	s_lshl_b32 s6, s6, 5
	s_mov_b32 s2, exec_lo
	v_cmpx_gt_u32_e32 16, v0
	s_cbranch_execz .LBB191_4
; %bb.3:
	s_load_dwordx2 s[20:21], s[4:5], 0x8
	s_waitcnt lgkmcnt(0)
	s_mul_i32 s22, s12, s10
	v_lshlrev_b32_e32 v2, 3, v0
	s_ashr_i32 s23, s22, 31
	v_and_b32_e32 v4, 0xff8, v60
	s_lshl_b64 s[22:23], s[22:23], 2
	v_lshl_add_u32 v4, v1, 6, v4
	s_add_u32 s3, s20, s22
	s_addc_u32 s12, s21, s23
	s_ashr_i32 s7, s6, 31
	s_lshl_b64 s[20:21], s[6:7], 2
	s_add_u32 s20, s3, s20
	s_addc_u32 s21, s12, s21
	global_load_dwordx2 v[2:3], v2, s[20:21]
	s_waitcnt vmcnt(0)
	ds_write_b64 v4, v[2:3]
.LBB191_4:
	s_or_b32 exec_lo, exec_lo, s2
	s_waitcnt lgkmcnt(0)
	s_add_i32 s2, s11, 15
	s_clause 0x1
	s_load_dwordx2 s[22:23], s[4:5], 0x28
	s_load_dword s7, s[4:5], 0x38
	s_ashr_i32 s3, s2, 31
	s_xor_b32 s0, s0, s1
	s_lshr_b32 s3, s3, 28
	s_mul_i32 s1, s18, s16
	s_add_i32 s2, s2, s3
	s_sub_i32 s1, s17, s1
	s_ashr_i32 s12, s2, 4
	s_add_i32 s2, s18, 1
	s_sub_i32 s3, s1, s16
	s_cmp_ge_u32 s1, s16
	v_lshrrev_b32_e32 v59, 5, v0
	s_cselect_b32 s2, s2, s18
	s_cselect_b32 s1, s3, s1
	s_add_i32 s3, s2, 1
	s_cmp_ge_u32 s1, s16
	v_mbcnt_lo_u32_b32 v62, -1, 0
	s_cselect_b32 s1, s3, s2
	s_mov_b32 s2, exec_lo
	s_xor_b32 s1, s1, s0
	s_waitcnt lgkmcnt(0)
	s_mul_i32 s24, s7, s10
	s_sub_i32 s1, s1, s0
	v_cmp_gt_i32_e64 s0, s12, v59
	s_ashr_i32 s25, s24, 31
	s_barrier
	buffer_gl0_inv
                                        ; implicit-def: $vgpr18
                                        ; implicit-def: $vgpr63
	v_cmpx_le_i32_e64 s12, v59
	s_xor_b32 s2, exec_lo, s2
; %bb.5:
	v_mov_b32_e32 v18, 0
	v_mbcnt_lo_u32_b32 v62, -1, 0
	v_mov_b32_e32 v63, 32
                                        ; implicit-def: $vgpr1
; %bb.6:
	s_or_saveexec_b32 s15, s2
	s_clause 0x3
	s_load_dwordx2 s[20:21], s[4:5], 0x0
	s_load_dwordx2 s[26:27], s[4:5], 0x18
	s_load_dword s7, s[4:5], 0x88
	s_load_dwordx4 s[16:19], s[4:5], 0x58
	v_mov_b32_e32 v64, 0xff7fffff
	v_lshrrev_b32_e32 v61, 3, v0
	s_mul_i32 s14, s1, s14
	s_xor_b32 exec_lo, exec_lo, s15
	s_cbranch_execz .LBB191_140
; %bb.7:
	s_load_dwordx2 s[30:31], s[4:5], 0x10
	v_xor_b32_e32 v20, 1, v62
	v_bfe_u32 v17, v0, 1, 4
	v_lshlrev_b32_e32 v13, 6, v1
	v_lshlrev_b32_e32 v19, 1, v1
	v_cmp_eq_u32_e32 vcc_lo, 0, v1
	v_cmp_gt_i32_e64 s2, 32, v20
	v_lshlrev_b32_e32 v21, 4, v17
	s_waitcnt lgkmcnt(0)
	s_load_dword s4, s[16:17], 0x0
	ds_read_b128 v[1:4], v13
	ds_read_b128 v[5:8], v13 offset:16
	ds_read_b128 v[9:12], v13 offset:32
	;; [unrolled: 1-line block ×3, first 2 shown]
	s_ashr_i32 s3, s14, 31
	v_cndmask_b32_e64 v20, v62, v20, s2
	v_lshlrev_b32_e32 v22, 2, v17
	v_lshl_or_b32 v66, v59, 4, v17
	v_and_b32_e32 v17, 0x7c, v61
	v_mov_b32_e32 v18, 0
	v_lshlrev_b32_e32 v65, 2, v20
	v_mov_b32_e32 v63, 32
	v_cmp_neq_f32_e64 s1, s28, 0
	v_mov_b32_e32 v64, 0xff7fffff
	s_add_u32 s2, s30, s14
	s_addc_u32 s3, s31, s3
	v_add_co_u32 v21, s2, s2, v21
	v_add_co_ci_u32_e64 v23, null, s3, 0, s2
	s_sub_i32 s5, 1, s11
	v_add_co_u32 v19, s2, v21, v19
	v_lshl_or_b32 v21, v59, 6, v22
	v_add_co_ci_u32_e64 v20, null, 0, v23, s2
	s_lshl_b64 s[2:3], s[24:25], 2
	v_mov_b32_e32 v68, 0x80
	s_add_u32 s2, s22, s2
	v_add_nc_u32_e32 v67, 0xa0, v21
	s_addc_u32 s3, s23, s3
	v_add_co_u32 v21, s2, s2, v17
	v_add_co_ci_u32_e64 v22, null, s3, 0, s2
	v_bfrev_b32_e32 v24, 1
	v_mov_b32_e32 v69, 0xffff
	v_mov_b32_e32 v26, 0x7f800001
	;; [unrolled: 1-line block ×3, first 2 shown]
	s_mov_b32 s17, s13
	s_mov_b32 s16, 0
	s_waitcnt lgkmcnt(0)
	s_mov_b32 s30, s4
	s_branch .LBB191_9
.LBB191_8:                              ;   in Loop: Header=BB191_9 Depth=1
	s_or_b32 exec_lo, exec_lo, s3
	v_add_nc_u32_e32 v70, 4, v70
	v_add_co_u32 v21, s3, v21, 16
	v_add_nc_u32_e32 v66, 64, v66
	v_add_nc_u32_e32 v67, 0x100, v67
	v_cmp_le_i32_e64 s2, s12, v70
	v_add_co_ci_u32_e64 v22, null, 0, v22, s3
	s_or_b32 s16, s2, s16
	s_andn2_b32 exec_lo, exec_lo, s16
	s_cbranch_execz .LBB191_139
.LBB191_9:                              ; =>This Inner Loop Header: Depth=1
	global_load_dword v17, v[21:22], off
	v_mov_b32_e32 v29, 0
	v_mov_b32_e32 v27, 0
	;; [unrolled: 1-line block ×4, first 2 shown]
	s_waitcnt vmcnt(0)
	v_mad_i64_i32 v[31:32], null, v17, s17, v[19:20]
	global_load_ushort v17, v[31:32], off
	s_waitcnt vmcnt(0)
	v_and_b32_e32 v33, 0xffff, v17
	v_cmp_ne_u16_sdwa s2, v17, v18 src0_sel:BYTE_0 src1_sel:DWORD
	s_and_saveexec_b32 s3, s2
	s_cbranch_execz .LBB191_17
; %bb.10:                               ;   in Loop: Header=BB191_9 Depth=1
	v_bfrev_b32_e32 v27, 1
	v_mov_b32_e32 v28, 0
	v_cmp_ne_u16_sdwa s2, v33, v68 src0_sel:BYTE_0 src1_sel:DWORD
	s_and_saveexec_b32 s31, s2
	s_cbranch_execz .LBB191_16
; %bb.11:                               ;   in Loop: Header=BB191_9 Depth=1
	v_mov_b32_e32 v27, 0x7f800001
	v_and_b32_e32 v25, 0x7f, v33
	v_mov_b32_e32 v28, 0
	s_mov_b32 s33, exec_lo
	v_cmpx_ne_u32_e32 0x7f, v25
	s_cbranch_execz .LBB191_15
; %bb.12:                               ;   in Loop: Header=BB191_9 Depth=1
	v_and_b32_e32 v17, 7, v33
	s_waitcnt lgkmcnt(0)
	v_lshrrev_b32_e32 v23, 3, v25
	s_mov_b32 s34, exec_lo
	v_cmpx_gt_u32_e32 8, v25
; %bb.13:                               ;   in Loop: Header=BB191_9 Depth=1
	v_ffbh_u32_e32 v23, v17
	v_min_u32_e32 v23, 32, v23
	v_subrev_nc_u32_e32 v25, 28, v23
	v_sub_nc_u32_e32 v23, 29, v23
	v_lshlrev_b64 v[27:28], v25, v[17:18]
	v_and_b32_e32 v17, 7, v27
; %bb.14:                               ;   in Loop: Header=BB191_9 Depth=1
	s_or_b32 exec_lo, exec_lo, s34
	v_lshlrev_b32_e32 v25, 24, v33
	v_lshlrev_b32_e32 v17, 20, v17
	v_lshl_add_u32 v23, v23, 23, 0x3c000000
	v_and_b32_e32 v25, 0x80000000, v25
	v_or3_b32 v17, v17, v25, v23
	v_mov_b32_e32 v28, v18
	v_mov_b32_e32 v27, v17
.LBB191_15:                             ;   in Loop: Header=BB191_9 Depth=1
	s_or_b32 exec_lo, exec_lo, s33
.LBB191_16:                             ;   in Loop: Header=BB191_9 Depth=1
	s_or_b32 exec_lo, exec_lo, s31
.LBB191_17:                             ;   in Loop: Header=BB191_9 Depth=1
	s_or_b32 exec_lo, exec_lo, s3
	v_cmp_ne_u16_sdwa s2, v33, v18 src0_sel:BYTE_1 src1_sel:DWORD
	s_and_saveexec_b32 s3, s2
	s_cbranch_execz .LBB191_25
; %bb.18:                               ;   in Loop: Header=BB191_9 Depth=1
	s_waitcnt lgkmcnt(0)
	v_mov_b32_e32 v23, v18
	v_mov_b32_e32 v30, v24
	v_cmp_ne_u16_sdwa s2, v33, v68 src0_sel:BYTE_1 src1_sel:DWORD
	v_mov_b32_e32 v29, v23
	s_and_saveexec_b32 s31, s2
	s_cbranch_execz .LBB191_24
; %bb.19:                               ;   in Loop: Header=BB191_9 Depth=1
	v_and_b32_sdwa v17, v69, v33 dst_sel:DWORD dst_unused:UNUSED_PAD src0_sel:DWORD src1_sel:BYTE_1
	v_mov_b32_e32 v25, v18
	v_mov_b32_e32 v30, v26
	s_mov_b32 s33, exec_lo
	v_and_b32_e32 v34, 0x7f, v17
	v_mov_b32_e32 v29, v25
	v_cmpx_ne_u32_e32 0x7f, v34
	s_cbranch_execz .LBB191_23
; %bb.20:                               ;   in Loop: Header=BB191_9 Depth=1
	v_and_b32_e32 v17, 7, v17
	v_lshrrev_b32_e32 v23, 3, v34
	s_mov_b32 s34, exec_lo
	v_cmpx_gt_u32_e32 8, v34
; %bb.21:                               ;   in Loop: Header=BB191_9 Depth=1
	v_ffbh_u32_e32 v23, v17
	v_min_u32_e32 v23, 32, v23
	v_subrev_nc_u32_e32 v25, 28, v23
	v_sub_nc_u32_e32 v23, 29, v23
	v_lshlrev_b64 v[29:30], v25, v[17:18]
	v_and_b32_e32 v17, 7, v29
; %bb.22:                               ;   in Loop: Header=BB191_9 Depth=1
	s_or_b32 exec_lo, exec_lo, s34
	v_lshlrev_b32_e32 v25, 16, v33
	v_lshlrev_b32_e32 v17, 20, v17
	v_lshl_add_u32 v23, v23, 23, 0x3c000000
	v_mov_b32_e32 v29, v18
	v_and_b32_e32 v25, 0x80000000, v25
	v_or3_b32 v30, v17, v25, v23
.LBB191_23:                             ;   in Loop: Header=BB191_9 Depth=1
	s_or_b32 exec_lo, exec_lo, s33
.LBB191_24:                             ;   in Loop: Header=BB191_9 Depth=1
	s_or_b32 exec_lo, exec_lo, s31
.LBB191_25:                             ;   in Loop: Header=BB191_9 Depth=1
	s_or_b32 exec_lo, exec_lo, s3
	global_load_ushort v17, v[31:32], off offset:4
	v_mov_b32_e32 v35, 0
	v_mov_b32_e32 v33, 0
	;; [unrolled: 1-line block ×4, first 2 shown]
	s_waitcnt vmcnt(0)
	v_and_b32_e32 v37, 0xffff, v17
	v_cmp_ne_u16_sdwa s2, v17, v18 src0_sel:BYTE_0 src1_sel:DWORD
	s_and_saveexec_b32 s3, s2
	s_cbranch_execz .LBB191_33
; %bb.26:                               ;   in Loop: Header=BB191_9 Depth=1
	v_bfrev_b32_e32 v33, 1
	v_mov_b32_e32 v34, 0
	v_cmp_ne_u16_sdwa s2, v37, v68 src0_sel:BYTE_0 src1_sel:DWORD
	s_and_saveexec_b32 s31, s2
	s_cbranch_execz .LBB191_32
; %bb.27:                               ;   in Loop: Header=BB191_9 Depth=1
	v_mov_b32_e32 v33, 0x7f800001
	v_and_b32_e32 v25, 0x7f, v37
	v_mov_b32_e32 v34, 0
	s_mov_b32 s33, exec_lo
	v_cmpx_ne_u32_e32 0x7f, v25
	s_cbranch_execz .LBB191_31
; %bb.28:                               ;   in Loop: Header=BB191_9 Depth=1
	v_and_b32_e32 v17, 7, v37
	s_waitcnt lgkmcnt(0)
	v_lshrrev_b32_e32 v23, 3, v25
	s_mov_b32 s34, exec_lo
	v_cmpx_gt_u32_e32 8, v25
; %bb.29:                               ;   in Loop: Header=BB191_9 Depth=1
	v_ffbh_u32_e32 v23, v17
	v_min_u32_e32 v23, 32, v23
	v_subrev_nc_u32_e32 v25, 28, v23
	v_sub_nc_u32_e32 v23, 29, v23
	v_lshlrev_b64 v[33:34], v25, v[17:18]
	v_and_b32_e32 v17, 7, v33
; %bb.30:                               ;   in Loop: Header=BB191_9 Depth=1
	s_or_b32 exec_lo, exec_lo, s34
	v_lshlrev_b32_e32 v25, 24, v37
	v_lshlrev_b32_e32 v17, 20, v17
	v_lshl_add_u32 v23, v23, 23, 0x3c000000
	v_and_b32_e32 v25, 0x80000000, v25
	v_or3_b32 v17, v17, v25, v23
	v_mov_b32_e32 v34, v18
	v_mov_b32_e32 v33, v17
.LBB191_31:                             ;   in Loop: Header=BB191_9 Depth=1
	s_or_b32 exec_lo, exec_lo, s33
.LBB191_32:                             ;   in Loop: Header=BB191_9 Depth=1
	s_or_b32 exec_lo, exec_lo, s31
.LBB191_33:                             ;   in Loop: Header=BB191_9 Depth=1
	s_or_b32 exec_lo, exec_lo, s3
	v_cmp_ne_u16_sdwa s2, v37, v18 src0_sel:BYTE_1 src1_sel:DWORD
	s_and_saveexec_b32 s3, s2
	s_cbranch_execz .LBB191_41
; %bb.34:                               ;   in Loop: Header=BB191_9 Depth=1
	s_waitcnt lgkmcnt(0)
	v_mov_b32_e32 v23, v18
	v_mov_b32_e32 v36, v24
	v_cmp_ne_u16_sdwa s2, v37, v68 src0_sel:BYTE_1 src1_sel:DWORD
	v_mov_b32_e32 v35, v23
	s_and_saveexec_b32 s31, s2
	s_cbranch_execz .LBB191_40
; %bb.35:                               ;   in Loop: Header=BB191_9 Depth=1
	v_and_b32_sdwa v17, v69, v37 dst_sel:DWORD dst_unused:UNUSED_PAD src0_sel:DWORD src1_sel:BYTE_1
	v_mov_b32_e32 v25, v18
	v_mov_b32_e32 v36, v26
	s_mov_b32 s33, exec_lo
	v_and_b32_e32 v38, 0x7f, v17
	v_mov_b32_e32 v35, v25
	v_cmpx_ne_u32_e32 0x7f, v38
	s_cbranch_execz .LBB191_39
; %bb.36:                               ;   in Loop: Header=BB191_9 Depth=1
	v_and_b32_e32 v17, 7, v17
	v_lshrrev_b32_e32 v23, 3, v38
	s_mov_b32 s34, exec_lo
	v_cmpx_gt_u32_e32 8, v38
; %bb.37:                               ;   in Loop: Header=BB191_9 Depth=1
	v_ffbh_u32_e32 v23, v17
	v_min_u32_e32 v23, 32, v23
	v_subrev_nc_u32_e32 v25, 28, v23
	v_sub_nc_u32_e32 v23, 29, v23
	v_lshlrev_b64 v[35:36], v25, v[17:18]
	v_and_b32_e32 v17, 7, v35
; %bb.38:                               ;   in Loop: Header=BB191_9 Depth=1
	s_or_b32 exec_lo, exec_lo, s34
	v_lshlrev_b32_e32 v25, 16, v37
	v_lshlrev_b32_e32 v17, 20, v17
	v_lshl_add_u32 v23, v23, 23, 0x3c000000
	v_mov_b32_e32 v35, v18
	v_and_b32_e32 v25, 0x80000000, v25
	v_or3_b32 v36, v17, v25, v23
.LBB191_39:                             ;   in Loop: Header=BB191_9 Depth=1
	s_or_b32 exec_lo, exec_lo, s33
.LBB191_40:                             ;   in Loop: Header=BB191_9 Depth=1
	s_or_b32 exec_lo, exec_lo, s31
.LBB191_41:                             ;   in Loop: Header=BB191_9 Depth=1
	s_or_b32 exec_lo, exec_lo, s3
	global_load_ushort v17, v[31:32], off offset:8
	v_mov_b32_e32 v39, 0
	v_mov_b32_e32 v37, 0
	;; [unrolled: 1-line block ×4, first 2 shown]
	s_waitcnt vmcnt(0)
	v_and_b32_e32 v41, 0xffff, v17
	v_cmp_ne_u16_sdwa s2, v17, v18 src0_sel:BYTE_0 src1_sel:DWORD
	s_and_saveexec_b32 s3, s2
	s_cbranch_execz .LBB191_49
; %bb.42:                               ;   in Loop: Header=BB191_9 Depth=1
	v_bfrev_b32_e32 v37, 1
	v_mov_b32_e32 v38, 0
	v_cmp_ne_u16_sdwa s2, v41, v68 src0_sel:BYTE_0 src1_sel:DWORD
	s_and_saveexec_b32 s31, s2
	s_cbranch_execz .LBB191_48
; %bb.43:                               ;   in Loop: Header=BB191_9 Depth=1
	v_mov_b32_e32 v37, 0x7f800001
	v_and_b32_e32 v25, 0x7f, v41
	v_mov_b32_e32 v38, 0
	s_mov_b32 s33, exec_lo
	v_cmpx_ne_u32_e32 0x7f, v25
	s_cbranch_execz .LBB191_47
; %bb.44:                               ;   in Loop: Header=BB191_9 Depth=1
	v_and_b32_e32 v17, 7, v41
	s_waitcnt lgkmcnt(0)
	v_lshrrev_b32_e32 v23, 3, v25
	s_mov_b32 s34, exec_lo
	v_cmpx_gt_u32_e32 8, v25
; %bb.45:                               ;   in Loop: Header=BB191_9 Depth=1
	v_ffbh_u32_e32 v23, v17
	v_min_u32_e32 v23, 32, v23
	v_subrev_nc_u32_e32 v25, 28, v23
	v_sub_nc_u32_e32 v23, 29, v23
	v_lshlrev_b64 v[37:38], v25, v[17:18]
	v_and_b32_e32 v17, 7, v37
; %bb.46:                               ;   in Loop: Header=BB191_9 Depth=1
	s_or_b32 exec_lo, exec_lo, s34
	v_lshlrev_b32_e32 v25, 24, v41
	v_lshlrev_b32_e32 v17, 20, v17
	v_lshl_add_u32 v23, v23, 23, 0x3c000000
	v_and_b32_e32 v25, 0x80000000, v25
	v_or3_b32 v17, v17, v25, v23
	v_mov_b32_e32 v38, v18
	v_mov_b32_e32 v37, v17
.LBB191_47:                             ;   in Loop: Header=BB191_9 Depth=1
	s_or_b32 exec_lo, exec_lo, s33
.LBB191_48:                             ;   in Loop: Header=BB191_9 Depth=1
	s_or_b32 exec_lo, exec_lo, s31
.LBB191_49:                             ;   in Loop: Header=BB191_9 Depth=1
	s_or_b32 exec_lo, exec_lo, s3
	v_cmp_ne_u16_sdwa s2, v41, v18 src0_sel:BYTE_1 src1_sel:DWORD
	s_and_saveexec_b32 s3, s2
	s_cbranch_execz .LBB191_57
; %bb.50:                               ;   in Loop: Header=BB191_9 Depth=1
	s_waitcnt lgkmcnt(0)
	v_mov_b32_e32 v23, v18
	v_mov_b32_e32 v40, v24
	v_cmp_ne_u16_sdwa s2, v41, v68 src0_sel:BYTE_1 src1_sel:DWORD
	v_mov_b32_e32 v39, v23
	s_and_saveexec_b32 s31, s2
	s_cbranch_execz .LBB191_56
; %bb.51:                               ;   in Loop: Header=BB191_9 Depth=1
	v_and_b32_sdwa v17, v69, v41 dst_sel:DWORD dst_unused:UNUSED_PAD src0_sel:DWORD src1_sel:BYTE_1
	v_mov_b32_e32 v25, v18
	v_mov_b32_e32 v40, v26
	s_mov_b32 s33, exec_lo
	v_and_b32_e32 v42, 0x7f, v17
	v_mov_b32_e32 v39, v25
	v_cmpx_ne_u32_e32 0x7f, v42
	s_cbranch_execz .LBB191_55
; %bb.52:                               ;   in Loop: Header=BB191_9 Depth=1
	v_and_b32_e32 v17, 7, v17
	v_lshrrev_b32_e32 v23, 3, v42
	s_mov_b32 s34, exec_lo
	v_cmpx_gt_u32_e32 8, v42
; %bb.53:                               ;   in Loop: Header=BB191_9 Depth=1
	v_ffbh_u32_e32 v23, v17
	v_min_u32_e32 v23, 32, v23
	v_subrev_nc_u32_e32 v25, 28, v23
	v_sub_nc_u32_e32 v23, 29, v23
	v_lshlrev_b64 v[39:40], v25, v[17:18]
	v_and_b32_e32 v17, 7, v39
; %bb.54:                               ;   in Loop: Header=BB191_9 Depth=1
	s_or_b32 exec_lo, exec_lo, s34
	v_lshlrev_b32_e32 v25, 16, v41
	v_lshlrev_b32_e32 v17, 20, v17
	v_lshl_add_u32 v23, v23, 23, 0x3c000000
	v_mov_b32_e32 v39, v18
	v_and_b32_e32 v25, 0x80000000, v25
	v_or3_b32 v40, v17, v25, v23
.LBB191_55:                             ;   in Loop: Header=BB191_9 Depth=1
	s_or_b32 exec_lo, exec_lo, s33
.LBB191_56:                             ;   in Loop: Header=BB191_9 Depth=1
	s_or_b32 exec_lo, exec_lo, s31
.LBB191_57:                             ;   in Loop: Header=BB191_9 Depth=1
	s_or_b32 exec_lo, exec_lo, s3
	global_load_ushort v17, v[31:32], off offset:12
	v_mov_b32_e32 v43, 0
	v_mov_b32_e32 v41, 0
	;; [unrolled: 1-line block ×4, first 2 shown]
	s_waitcnt vmcnt(0)
	v_and_b32_e32 v45, 0xffff, v17
	v_cmp_ne_u16_sdwa s2, v17, v18 src0_sel:BYTE_0 src1_sel:DWORD
	s_and_saveexec_b32 s3, s2
	s_cbranch_execz .LBB191_65
; %bb.58:                               ;   in Loop: Header=BB191_9 Depth=1
	v_bfrev_b32_e32 v41, 1
	v_mov_b32_e32 v42, 0
	v_cmp_ne_u16_sdwa s2, v45, v68 src0_sel:BYTE_0 src1_sel:DWORD
	s_and_saveexec_b32 s31, s2
	s_cbranch_execz .LBB191_64
; %bb.59:                               ;   in Loop: Header=BB191_9 Depth=1
	v_mov_b32_e32 v41, 0x7f800001
	v_and_b32_e32 v25, 0x7f, v45
	v_mov_b32_e32 v42, 0
	s_mov_b32 s33, exec_lo
	v_cmpx_ne_u32_e32 0x7f, v25
	s_cbranch_execz .LBB191_63
; %bb.60:                               ;   in Loop: Header=BB191_9 Depth=1
	v_and_b32_e32 v17, 7, v45
	s_waitcnt lgkmcnt(0)
	v_lshrrev_b32_e32 v23, 3, v25
	s_mov_b32 s34, exec_lo
	v_cmpx_gt_u32_e32 8, v25
; %bb.61:                               ;   in Loop: Header=BB191_9 Depth=1
	v_ffbh_u32_e32 v23, v17
	v_min_u32_e32 v23, 32, v23
	v_subrev_nc_u32_e32 v25, 28, v23
	v_sub_nc_u32_e32 v23, 29, v23
	v_lshlrev_b64 v[41:42], v25, v[17:18]
	v_and_b32_e32 v17, 7, v41
; %bb.62:                               ;   in Loop: Header=BB191_9 Depth=1
	s_or_b32 exec_lo, exec_lo, s34
	v_lshlrev_b32_e32 v25, 24, v45
	v_lshlrev_b32_e32 v17, 20, v17
	v_lshl_add_u32 v23, v23, 23, 0x3c000000
	v_and_b32_e32 v25, 0x80000000, v25
	v_or3_b32 v17, v17, v25, v23
	v_mov_b32_e32 v42, v18
	v_mov_b32_e32 v41, v17
.LBB191_63:                             ;   in Loop: Header=BB191_9 Depth=1
	s_or_b32 exec_lo, exec_lo, s33
.LBB191_64:                             ;   in Loop: Header=BB191_9 Depth=1
	s_or_b32 exec_lo, exec_lo, s31
.LBB191_65:                             ;   in Loop: Header=BB191_9 Depth=1
	s_or_b32 exec_lo, exec_lo, s3
	v_cmp_ne_u16_sdwa s2, v45, v18 src0_sel:BYTE_1 src1_sel:DWORD
	s_and_saveexec_b32 s3, s2
	s_cbranch_execz .LBB191_73
; %bb.66:                               ;   in Loop: Header=BB191_9 Depth=1
	s_waitcnt lgkmcnt(0)
	v_mov_b32_e32 v23, v18
	v_mov_b32_e32 v44, v24
	v_cmp_ne_u16_sdwa s2, v45, v68 src0_sel:BYTE_1 src1_sel:DWORD
	v_mov_b32_e32 v43, v23
	s_and_saveexec_b32 s31, s2
	s_cbranch_execz .LBB191_72
; %bb.67:                               ;   in Loop: Header=BB191_9 Depth=1
	v_and_b32_sdwa v17, v69, v45 dst_sel:DWORD dst_unused:UNUSED_PAD src0_sel:DWORD src1_sel:BYTE_1
	v_mov_b32_e32 v25, v18
	v_mov_b32_e32 v44, v26
	s_mov_b32 s33, exec_lo
	v_and_b32_e32 v46, 0x7f, v17
	v_mov_b32_e32 v43, v25
	v_cmpx_ne_u32_e32 0x7f, v46
	s_cbranch_execz .LBB191_71
; %bb.68:                               ;   in Loop: Header=BB191_9 Depth=1
	v_and_b32_e32 v17, 7, v17
	v_lshrrev_b32_e32 v23, 3, v46
	s_mov_b32 s34, exec_lo
	v_cmpx_gt_u32_e32 8, v46
; %bb.69:                               ;   in Loop: Header=BB191_9 Depth=1
	v_ffbh_u32_e32 v23, v17
	v_min_u32_e32 v23, 32, v23
	v_subrev_nc_u32_e32 v25, 28, v23
	v_sub_nc_u32_e32 v23, 29, v23
	v_lshlrev_b64 v[43:44], v25, v[17:18]
	v_and_b32_e32 v17, 7, v43
; %bb.70:                               ;   in Loop: Header=BB191_9 Depth=1
	s_or_b32 exec_lo, exec_lo, s34
	v_lshlrev_b32_e32 v25, 16, v45
	v_lshlrev_b32_e32 v17, 20, v17
	v_lshl_add_u32 v23, v23, 23, 0x3c000000
	v_mov_b32_e32 v43, v18
	v_and_b32_e32 v25, 0x80000000, v25
	v_or3_b32 v44, v17, v25, v23
.LBB191_71:                             ;   in Loop: Header=BB191_9 Depth=1
	s_or_b32 exec_lo, exec_lo, s33
.LBB191_72:                             ;   in Loop: Header=BB191_9 Depth=1
	s_or_b32 exec_lo, exec_lo, s31
.LBB191_73:                             ;   in Loop: Header=BB191_9 Depth=1
	s_or_b32 exec_lo, exec_lo, s3
	global_load_ushort v17, v[31:32], off offset:256
	v_mov_b32_e32 v47, 0
	v_mov_b32_e32 v45, 0
	;; [unrolled: 1-line block ×4, first 2 shown]
	s_waitcnt vmcnt(0)
	v_and_b32_e32 v49, 0xffff, v17
	v_cmp_ne_u16_sdwa s2, v17, v18 src0_sel:BYTE_0 src1_sel:DWORD
	s_and_saveexec_b32 s3, s2
	s_cbranch_execz .LBB191_81
; %bb.74:                               ;   in Loop: Header=BB191_9 Depth=1
	v_bfrev_b32_e32 v45, 1
	v_mov_b32_e32 v46, 0
	v_cmp_ne_u16_sdwa s2, v49, v68 src0_sel:BYTE_0 src1_sel:DWORD
	s_and_saveexec_b32 s31, s2
	s_cbranch_execz .LBB191_80
; %bb.75:                               ;   in Loop: Header=BB191_9 Depth=1
	v_mov_b32_e32 v45, 0x7f800001
	v_and_b32_e32 v25, 0x7f, v49
	v_mov_b32_e32 v46, 0
	s_mov_b32 s33, exec_lo
	v_cmpx_ne_u32_e32 0x7f, v25
	s_cbranch_execz .LBB191_79
; %bb.76:                               ;   in Loop: Header=BB191_9 Depth=1
	v_and_b32_e32 v17, 7, v49
	s_waitcnt lgkmcnt(0)
	v_lshrrev_b32_e32 v23, 3, v25
	s_mov_b32 s34, exec_lo
	v_cmpx_gt_u32_e32 8, v25
; %bb.77:                               ;   in Loop: Header=BB191_9 Depth=1
	v_ffbh_u32_e32 v23, v17
	v_min_u32_e32 v23, 32, v23
	v_subrev_nc_u32_e32 v25, 28, v23
	v_sub_nc_u32_e32 v23, 29, v23
	v_lshlrev_b64 v[45:46], v25, v[17:18]
	v_and_b32_e32 v17, 7, v45
; %bb.78:                               ;   in Loop: Header=BB191_9 Depth=1
	s_or_b32 exec_lo, exec_lo, s34
	v_lshlrev_b32_e32 v25, 24, v49
	v_lshlrev_b32_e32 v17, 20, v17
	v_lshl_add_u32 v23, v23, 23, 0x3c000000
	v_and_b32_e32 v25, 0x80000000, v25
	v_or3_b32 v17, v17, v25, v23
	v_mov_b32_e32 v46, v18
	v_mov_b32_e32 v45, v17
.LBB191_79:                             ;   in Loop: Header=BB191_9 Depth=1
	s_or_b32 exec_lo, exec_lo, s33
.LBB191_80:                             ;   in Loop: Header=BB191_9 Depth=1
	s_or_b32 exec_lo, exec_lo, s31
.LBB191_81:                             ;   in Loop: Header=BB191_9 Depth=1
	s_or_b32 exec_lo, exec_lo, s3
	v_cmp_ne_u16_sdwa s2, v49, v18 src0_sel:BYTE_1 src1_sel:DWORD
	s_and_saveexec_b32 s3, s2
	s_cbranch_execz .LBB191_89
; %bb.82:                               ;   in Loop: Header=BB191_9 Depth=1
	s_waitcnt lgkmcnt(0)
	v_mov_b32_e32 v23, v18
	v_mov_b32_e32 v48, v24
	v_cmp_ne_u16_sdwa s2, v49, v68 src0_sel:BYTE_1 src1_sel:DWORD
	v_mov_b32_e32 v47, v23
	s_and_saveexec_b32 s31, s2
	s_cbranch_execz .LBB191_88
; %bb.83:                               ;   in Loop: Header=BB191_9 Depth=1
	v_and_b32_sdwa v17, v69, v49 dst_sel:DWORD dst_unused:UNUSED_PAD src0_sel:DWORD src1_sel:BYTE_1
	v_mov_b32_e32 v25, v18
	v_mov_b32_e32 v48, v26
	s_mov_b32 s33, exec_lo
	v_and_b32_e32 v50, 0x7f, v17
	v_mov_b32_e32 v47, v25
	v_cmpx_ne_u32_e32 0x7f, v50
	s_cbranch_execz .LBB191_87
; %bb.84:                               ;   in Loop: Header=BB191_9 Depth=1
	v_and_b32_e32 v17, 7, v17
	v_lshrrev_b32_e32 v23, 3, v50
	s_mov_b32 s34, exec_lo
	v_cmpx_gt_u32_e32 8, v50
; %bb.85:                               ;   in Loop: Header=BB191_9 Depth=1
	v_ffbh_u32_e32 v23, v17
	v_min_u32_e32 v23, 32, v23
	v_subrev_nc_u32_e32 v25, 28, v23
	v_sub_nc_u32_e32 v23, 29, v23
	v_lshlrev_b64 v[47:48], v25, v[17:18]
	v_and_b32_e32 v17, 7, v47
; %bb.86:                               ;   in Loop: Header=BB191_9 Depth=1
	s_or_b32 exec_lo, exec_lo, s34
	v_lshlrev_b32_e32 v25, 16, v49
	v_lshlrev_b32_e32 v17, 20, v17
	v_lshl_add_u32 v23, v23, 23, 0x3c000000
	v_mov_b32_e32 v47, v18
	v_and_b32_e32 v25, 0x80000000, v25
	v_or3_b32 v48, v17, v25, v23
.LBB191_87:                             ;   in Loop: Header=BB191_9 Depth=1
	s_or_b32 exec_lo, exec_lo, s33
.LBB191_88:                             ;   in Loop: Header=BB191_9 Depth=1
	s_or_b32 exec_lo, exec_lo, s31
.LBB191_89:                             ;   in Loop: Header=BB191_9 Depth=1
	s_or_b32 exec_lo, exec_lo, s3
	global_load_ushort v17, v[31:32], off offset:260
	v_mov_b32_e32 v51, 0
	v_mov_b32_e32 v49, 0
	;; [unrolled: 1-line block ×4, first 2 shown]
	s_waitcnt vmcnt(0)
	v_and_b32_e32 v53, 0xffff, v17
	v_cmp_ne_u16_sdwa s2, v17, v18 src0_sel:BYTE_0 src1_sel:DWORD
	s_and_saveexec_b32 s3, s2
	s_cbranch_execz .LBB191_97
; %bb.90:                               ;   in Loop: Header=BB191_9 Depth=1
	v_bfrev_b32_e32 v49, 1
	v_mov_b32_e32 v50, 0
	v_cmp_ne_u16_sdwa s2, v53, v68 src0_sel:BYTE_0 src1_sel:DWORD
	s_and_saveexec_b32 s31, s2
	s_cbranch_execz .LBB191_96
; %bb.91:                               ;   in Loop: Header=BB191_9 Depth=1
	v_mov_b32_e32 v49, 0x7f800001
	v_and_b32_e32 v25, 0x7f, v53
	v_mov_b32_e32 v50, 0
	s_mov_b32 s33, exec_lo
	v_cmpx_ne_u32_e32 0x7f, v25
	s_cbranch_execz .LBB191_95
; %bb.92:                               ;   in Loop: Header=BB191_9 Depth=1
	v_and_b32_e32 v17, 7, v53
	s_waitcnt lgkmcnt(0)
	v_lshrrev_b32_e32 v23, 3, v25
	s_mov_b32 s34, exec_lo
	v_cmpx_gt_u32_e32 8, v25
; %bb.93:                               ;   in Loop: Header=BB191_9 Depth=1
	v_ffbh_u32_e32 v23, v17
	v_min_u32_e32 v23, 32, v23
	v_subrev_nc_u32_e32 v25, 28, v23
	v_sub_nc_u32_e32 v23, 29, v23
	v_lshlrev_b64 v[49:50], v25, v[17:18]
	v_and_b32_e32 v17, 7, v49
; %bb.94:                               ;   in Loop: Header=BB191_9 Depth=1
	s_or_b32 exec_lo, exec_lo, s34
	v_lshlrev_b32_e32 v25, 24, v53
	v_lshlrev_b32_e32 v17, 20, v17
	v_lshl_add_u32 v23, v23, 23, 0x3c000000
	v_and_b32_e32 v25, 0x80000000, v25
	v_or3_b32 v17, v17, v25, v23
	v_mov_b32_e32 v50, v18
	v_mov_b32_e32 v49, v17
.LBB191_95:                             ;   in Loop: Header=BB191_9 Depth=1
	s_or_b32 exec_lo, exec_lo, s33
.LBB191_96:                             ;   in Loop: Header=BB191_9 Depth=1
	s_or_b32 exec_lo, exec_lo, s31
.LBB191_97:                             ;   in Loop: Header=BB191_9 Depth=1
	s_or_b32 exec_lo, exec_lo, s3
	v_cmp_ne_u16_sdwa s2, v53, v18 src0_sel:BYTE_1 src1_sel:DWORD
	s_and_saveexec_b32 s3, s2
	s_cbranch_execz .LBB191_105
; %bb.98:                               ;   in Loop: Header=BB191_9 Depth=1
	s_waitcnt lgkmcnt(0)
	v_mov_b32_e32 v23, v18
	v_mov_b32_e32 v52, v24
	v_cmp_ne_u16_sdwa s2, v53, v68 src0_sel:BYTE_1 src1_sel:DWORD
	v_mov_b32_e32 v51, v23
	s_and_saveexec_b32 s31, s2
	s_cbranch_execz .LBB191_104
; %bb.99:                               ;   in Loop: Header=BB191_9 Depth=1
	v_and_b32_sdwa v17, v69, v53 dst_sel:DWORD dst_unused:UNUSED_PAD src0_sel:DWORD src1_sel:BYTE_1
	v_mov_b32_e32 v25, v18
	v_mov_b32_e32 v52, v26
	s_mov_b32 s33, exec_lo
	v_and_b32_e32 v54, 0x7f, v17
	v_mov_b32_e32 v51, v25
	v_cmpx_ne_u32_e32 0x7f, v54
	s_cbranch_execz .LBB191_103
; %bb.100:                              ;   in Loop: Header=BB191_9 Depth=1
	v_and_b32_e32 v17, 7, v17
	v_lshrrev_b32_e32 v23, 3, v54
	s_mov_b32 s34, exec_lo
	v_cmpx_gt_u32_e32 8, v54
; %bb.101:                              ;   in Loop: Header=BB191_9 Depth=1
	v_ffbh_u32_e32 v23, v17
	v_min_u32_e32 v23, 32, v23
	v_subrev_nc_u32_e32 v25, 28, v23
	v_sub_nc_u32_e32 v23, 29, v23
	v_lshlrev_b64 v[51:52], v25, v[17:18]
	v_and_b32_e32 v17, 7, v51
; %bb.102:                              ;   in Loop: Header=BB191_9 Depth=1
	s_or_b32 exec_lo, exec_lo, s34
	v_lshlrev_b32_e32 v25, 16, v53
	v_lshlrev_b32_e32 v17, 20, v17
	v_lshl_add_u32 v23, v23, 23, 0x3c000000
	v_mov_b32_e32 v51, v18
	v_and_b32_e32 v25, 0x80000000, v25
	v_or3_b32 v52, v17, v25, v23
.LBB191_103:                            ;   in Loop: Header=BB191_9 Depth=1
	s_or_b32 exec_lo, exec_lo, s33
.LBB191_104:                            ;   in Loop: Header=BB191_9 Depth=1
	s_or_b32 exec_lo, exec_lo, s31
.LBB191_105:                            ;   in Loop: Header=BB191_9 Depth=1
	s_or_b32 exec_lo, exec_lo, s3
	global_load_ushort v17, v[31:32], off offset:264
	v_mov_b32_e32 v55, 0
	v_mov_b32_e32 v53, 0
	;; [unrolled: 1-line block ×4, first 2 shown]
	s_waitcnt vmcnt(0)
	v_and_b32_e32 v57, 0xffff, v17
	v_cmp_ne_u16_sdwa s2, v17, v18 src0_sel:BYTE_0 src1_sel:DWORD
	s_and_saveexec_b32 s3, s2
	s_cbranch_execz .LBB191_113
; %bb.106:                              ;   in Loop: Header=BB191_9 Depth=1
	v_bfrev_b32_e32 v53, 1
	v_mov_b32_e32 v54, 0
	v_cmp_ne_u16_sdwa s2, v57, v68 src0_sel:BYTE_0 src1_sel:DWORD
	s_and_saveexec_b32 s31, s2
	s_cbranch_execz .LBB191_112
; %bb.107:                              ;   in Loop: Header=BB191_9 Depth=1
	v_mov_b32_e32 v53, 0x7f800001
	v_and_b32_e32 v25, 0x7f, v57
	v_mov_b32_e32 v54, 0
	s_mov_b32 s33, exec_lo
	v_cmpx_ne_u32_e32 0x7f, v25
	s_cbranch_execz .LBB191_111
; %bb.108:                              ;   in Loop: Header=BB191_9 Depth=1
	v_and_b32_e32 v17, 7, v57
	s_waitcnt lgkmcnt(0)
	v_lshrrev_b32_e32 v23, 3, v25
	s_mov_b32 s34, exec_lo
	v_cmpx_gt_u32_e32 8, v25
; %bb.109:                              ;   in Loop: Header=BB191_9 Depth=1
	v_ffbh_u32_e32 v23, v17
	v_min_u32_e32 v23, 32, v23
	v_subrev_nc_u32_e32 v25, 28, v23
	v_sub_nc_u32_e32 v23, 29, v23
	v_lshlrev_b64 v[53:54], v25, v[17:18]
	v_and_b32_e32 v17, 7, v53
; %bb.110:                              ;   in Loop: Header=BB191_9 Depth=1
	s_or_b32 exec_lo, exec_lo, s34
	v_lshlrev_b32_e32 v25, 24, v57
	v_lshlrev_b32_e32 v17, 20, v17
	v_lshl_add_u32 v23, v23, 23, 0x3c000000
	v_and_b32_e32 v25, 0x80000000, v25
	v_or3_b32 v17, v17, v25, v23
	v_mov_b32_e32 v54, v18
	v_mov_b32_e32 v53, v17
.LBB191_111:                            ;   in Loop: Header=BB191_9 Depth=1
	s_or_b32 exec_lo, exec_lo, s33
.LBB191_112:                            ;   in Loop: Header=BB191_9 Depth=1
	s_or_b32 exec_lo, exec_lo, s31
.LBB191_113:                            ;   in Loop: Header=BB191_9 Depth=1
	s_or_b32 exec_lo, exec_lo, s3
	v_cmp_ne_u16_sdwa s2, v57, v18 src0_sel:BYTE_1 src1_sel:DWORD
	s_and_saveexec_b32 s3, s2
	s_cbranch_execz .LBB191_121
; %bb.114:                              ;   in Loop: Header=BB191_9 Depth=1
	s_waitcnt lgkmcnt(0)
	v_mov_b32_e32 v23, v18
	v_mov_b32_e32 v56, v24
	v_cmp_ne_u16_sdwa s2, v57, v68 src0_sel:BYTE_1 src1_sel:DWORD
	v_mov_b32_e32 v55, v23
	s_and_saveexec_b32 s31, s2
	s_cbranch_execz .LBB191_120
; %bb.115:                              ;   in Loop: Header=BB191_9 Depth=1
	v_and_b32_sdwa v17, v69, v57 dst_sel:DWORD dst_unused:UNUSED_PAD src0_sel:DWORD src1_sel:BYTE_1
	v_mov_b32_e32 v25, v18
	v_mov_b32_e32 v56, v26
	s_mov_b32 s33, exec_lo
	v_and_b32_e32 v58, 0x7f, v17
	v_mov_b32_e32 v55, v25
	v_cmpx_ne_u32_e32 0x7f, v58
	s_cbranch_execz .LBB191_119
; %bb.116:                              ;   in Loop: Header=BB191_9 Depth=1
	v_and_b32_e32 v17, 7, v17
	v_lshrrev_b32_e32 v23, 3, v58
	s_mov_b32 s34, exec_lo
	v_cmpx_gt_u32_e32 8, v58
; %bb.117:                              ;   in Loop: Header=BB191_9 Depth=1
	v_ffbh_u32_e32 v23, v17
	v_min_u32_e32 v23, 32, v23
	v_subrev_nc_u32_e32 v25, 28, v23
	v_sub_nc_u32_e32 v23, 29, v23
	v_lshlrev_b64 v[55:56], v25, v[17:18]
	v_and_b32_e32 v17, 7, v55
; %bb.118:                              ;   in Loop: Header=BB191_9 Depth=1
	s_or_b32 exec_lo, exec_lo, s34
	v_lshlrev_b32_e32 v25, 16, v57
	v_lshlrev_b32_e32 v17, 20, v17
	v_lshl_add_u32 v23, v23, 23, 0x3c000000
	v_mov_b32_e32 v55, v18
	v_and_b32_e32 v25, 0x80000000, v25
	v_or3_b32 v56, v17, v25, v23
.LBB191_119:                            ;   in Loop: Header=BB191_9 Depth=1
	s_or_b32 exec_lo, exec_lo, s33
.LBB191_120:                            ;   in Loop: Header=BB191_9 Depth=1
	s_or_b32 exec_lo, exec_lo, s31
.LBB191_121:                            ;   in Loop: Header=BB191_9 Depth=1
	s_or_b32 exec_lo, exec_lo, s3
	global_load_ushort v17, v[31:32], off offset:268
	v_mov_b32_e32 v57, 0
	v_mov_b32_e32 v31, 0
	;; [unrolled: 1-line block ×4, first 2 shown]
	s_waitcnt vmcnt(0)
	v_and_b32_e32 v71, 0xffff, v17
	v_cmp_ne_u16_sdwa s2, v17, v18 src0_sel:BYTE_0 src1_sel:DWORD
	s_and_saveexec_b32 s3, s2
	s_cbranch_execz .LBB191_129
; %bb.122:                              ;   in Loop: Header=BB191_9 Depth=1
	v_bfrev_b32_e32 v31, 1
	v_mov_b32_e32 v32, 0
	v_cmp_ne_u16_sdwa s2, v71, v68 src0_sel:BYTE_0 src1_sel:DWORD
	s_and_saveexec_b32 s31, s2
	s_cbranch_execz .LBB191_128
; %bb.123:                              ;   in Loop: Header=BB191_9 Depth=1
	v_mov_b32_e32 v31, 0x7f800001
	v_and_b32_e32 v25, 0x7f, v71
	v_mov_b32_e32 v32, 0
	s_mov_b32 s33, exec_lo
	v_cmpx_ne_u32_e32 0x7f, v25
	s_cbranch_execz .LBB191_127
; %bb.124:                              ;   in Loop: Header=BB191_9 Depth=1
	v_and_b32_e32 v17, 7, v71
	s_waitcnt lgkmcnt(0)
	v_lshrrev_b32_e32 v23, 3, v25
	s_mov_b32 s34, exec_lo
	v_cmpx_gt_u32_e32 8, v25
; %bb.125:                              ;   in Loop: Header=BB191_9 Depth=1
	v_ffbh_u32_e32 v23, v17
	v_min_u32_e32 v23, 32, v23
	v_subrev_nc_u32_e32 v25, 28, v23
	v_sub_nc_u32_e32 v23, 29, v23
	v_lshlrev_b64 v[31:32], v25, v[17:18]
	v_and_b32_e32 v17, 7, v31
; %bb.126:                              ;   in Loop: Header=BB191_9 Depth=1
	s_or_b32 exec_lo, exec_lo, s34
	v_lshlrev_b32_e32 v25, 24, v71
	v_lshlrev_b32_e32 v17, 20, v17
	v_lshl_add_u32 v23, v23, 23, 0x3c000000
	v_and_b32_e32 v25, 0x80000000, v25
	v_or3_b32 v17, v17, v25, v23
	v_mov_b32_e32 v32, v18
	v_mov_b32_e32 v31, v17
.LBB191_127:                            ;   in Loop: Header=BB191_9 Depth=1
	s_or_b32 exec_lo, exec_lo, s33
.LBB191_128:                            ;   in Loop: Header=BB191_9 Depth=1
	s_or_b32 exec_lo, exec_lo, s31
.LBB191_129:                            ;   in Loop: Header=BB191_9 Depth=1
	s_or_b32 exec_lo, exec_lo, s3
	v_cmp_ne_u16_sdwa s2, v71, v18 src0_sel:BYTE_1 src1_sel:DWORD
	s_and_saveexec_b32 s3, s2
	s_cbranch_execz .LBB191_137
; %bb.130:                              ;   in Loop: Header=BB191_9 Depth=1
	s_waitcnt lgkmcnt(0)
	v_mov_b32_e32 v23, v18
	v_mov_b32_e32 v58, v24
	v_cmp_ne_u16_sdwa s2, v71, v68 src0_sel:BYTE_1 src1_sel:DWORD
	v_mov_b32_e32 v57, v23
	s_and_saveexec_b32 s31, s2
	s_cbranch_execz .LBB191_136
; %bb.131:                              ;   in Loop: Header=BB191_9 Depth=1
	v_and_b32_sdwa v17, v69, v71 dst_sel:DWORD dst_unused:UNUSED_PAD src0_sel:DWORD src1_sel:BYTE_1
	v_mov_b32_e32 v25, v18
	v_mov_b32_e32 v58, v26
	s_mov_b32 s33, exec_lo
	v_and_b32_e32 v72, 0x7f, v17
	v_mov_b32_e32 v57, v25
	v_cmpx_ne_u32_e32 0x7f, v72
	s_cbranch_execz .LBB191_135
; %bb.132:                              ;   in Loop: Header=BB191_9 Depth=1
	v_and_b32_e32 v17, 7, v17
	v_lshrrev_b32_e32 v23, 3, v72
	s_mov_b32 s34, exec_lo
	v_cmpx_gt_u32_e32 8, v72
; %bb.133:                              ;   in Loop: Header=BB191_9 Depth=1
	v_ffbh_u32_e32 v23, v17
	v_min_u32_e32 v23, 32, v23
	v_subrev_nc_u32_e32 v25, 28, v23
	v_sub_nc_u32_e32 v23, 29, v23
	v_lshlrev_b64 v[57:58], v25, v[17:18]
	v_and_b32_e32 v17, 7, v57
; %bb.134:                              ;   in Loop: Header=BB191_9 Depth=1
	s_or_b32 exec_lo, exec_lo, s34
	v_lshlrev_b32_e32 v25, 16, v71
	v_lshlrev_b32_e32 v17, 20, v17
	v_lshl_add_u32 v23, v23, 23, 0x3c000000
	v_mov_b32_e32 v57, v18
	v_and_b32_e32 v25, 0x80000000, v25
	v_or3_b32 v58, v17, v25, v23
.LBB191_135:                            ;   in Loop: Header=BB191_9 Depth=1
	s_or_b32 exec_lo, exec_lo, s33
.LBB191_136:                            ;   in Loop: Header=BB191_9 Depth=1
	s_or_b32 exec_lo, exec_lo, s31
.LBB191_137:                            ;   in Loop: Header=BB191_9 Depth=1
	s_or_b32 exec_lo, exec_lo, s3
	v_or_b32_e32 v33, v35, v33
	v_or_b32_e32 v34, v36, v34
	;; [unrolled: 1-line block ×5, first 2 shown]
	v_mul_f32_e32 v29, s4, v33
	v_mul_f32_e32 v30, s30, v34
	v_or_b32_e32 v33, v39, v37
	v_mul_f32_e32 v28, s30, v28
	v_mul_f32_e32 v27, s4, v27
	;; [unrolled: 1-line block ×4, first 2 shown]
	v_or_b32_e32 v42, v44, v42
	v_or_b32_e32 v34, v43, v41
	v_mul_f32_e32 v35, s30, v35
	v_mul_f32_e32 v33, s4, v33
	v_fmac_f32_e32 v29, v1, v27
	v_fmac_f32_e32 v30, v2, v28
	v_or_b32_e32 v46, v48, v46
	v_or_b32_e32 v27, v47, v45
	v_mul_f32_e32 v28, s30, v42
	v_mul_f32_e32 v34, s4, v34
	v_fmac_f32_e32 v29, v5, v33
	v_fmac_f32_e32 v30, v6, v35
	;; [unrolled: 6-line block ×3, first 2 shown]
	v_or_b32_e32 v17, v56, v54
	s_waitcnt lgkmcnt(0)
	v_or_b32_e32 v23, v55, v53
	v_mul_f32_e32 v25, s30, v25
	v_mul_f32_e32 v28, s4, v33
	v_fmac_f32_e32 v29, v9, v27
	v_fmac_f32_e32 v30, v10, v35
	v_mul_f32_e32 v17, s30, v17
	v_mul_f32_e32 v23, s4, v23
	v_or_b32_e32 v27, v58, v32
	v_or_b32_e32 v31, v57, v31
	v_fmac_f32_e32 v29, v11, v28
	v_fmac_f32_e32 v30, v12, v25
	v_mul_f32_e32 v25, s30, v27
	v_mul_f32_e32 v27, s4, v31
	v_fmac_f32_e32 v29, v13, v23
	v_fmac_f32_e32 v30, v14, v17
	;; [unrolled: 1-line block ×4, first 2 shown]
	v_add_f32_e32 v17, v29, v30
	ds_bpermute_b32 v23, v65, v17
	s_and_saveexec_b32 s3, vcc_lo
	s_cbranch_execz .LBB191_8
; %bb.138:                              ;   in Loop: Header=BB191_9 Depth=1
	v_add_nc_u32_e32 v25, s5, v66
	s_waitcnt lgkmcnt(0)
	v_add_f32_e32 v17, v17, v23
	v_cmp_gt_i32_e64 s2, s11, v66
	v_cvt_f32_i32_e32 v25, v25
	v_mul_f32_e32 v25, s28, v25
	v_cndmask_b32_e64 v23, 0, v25, s1
	v_max_f32_e32 v25, v64, v64
	v_fmac_f32_e32 v23, s29, v17
	v_max_f32_e32 v17, v25, v23
	v_cndmask_b32_e64 v23, 0, v23, s2
	v_cndmask_b32_e64 v64, v64, v17, s2
	ds_write_b32 v67, v23
	s_branch .LBB191_8
.LBB191_139:
	s_or_b32 exec_lo, exec_lo, s16
.LBB191_140:
	s_or_b32 exec_lo, exec_lo, s15
	v_xor_b32_e32 v1, 16, v62
	v_xor_b32_e32 v3, 8, v62
	v_max_f32_e32 v4, v64, v64
	v_xor_b32_e32 v5, 4, v62
	v_and_b32_e32 v25, 31, v0
	v_cmp_lt_i32_e32 vcc_lo, v1, v63
	v_cndmask_b32_e32 v1, v62, v1, vcc_lo
	v_cmp_lt_i32_e32 vcc_lo, v3, v63
	v_lshlrev_b32_e32 v1, 2, v1
	v_cndmask_b32_e32 v3, v62, v3, vcc_lo
	v_cmp_lt_i32_e32 vcc_lo, v5, v63
	ds_bpermute_b32 v2, v1, v64
	v_lshlrev_b32_e32 v3, 2, v3
	v_cndmask_b32_e32 v5, v62, v5, vcc_lo
	s_waitcnt lgkmcnt(0)
	v_max_f32_e32 v2, v2, v2
	v_max_f32_e32 v2, v4, v2
	ds_bpermute_b32 v4, v3, v2
	s_waitcnt lgkmcnt(0)
	v_max_f32_e32 v6, v4, v4
	v_lshlrev_b32_e32 v4, 2, v5
	v_max_f32_e32 v2, v2, v6
	v_xor_b32_e32 v6, 2, v62
	ds_bpermute_b32 v5, v4, v2
	v_cmp_lt_i32_e32 vcc_lo, v6, v63
	v_cndmask_b32_e32 v6, v62, v6, vcc_lo
	v_cmp_eq_u32_e32 vcc_lo, 0, v25
	v_lshlrev_b32_e32 v26, 2, v6
	s_waitcnt lgkmcnt(0)
	v_max_f32_e32 v5, v5, v5
	v_max_f32_e32 v2, v2, v5
	v_lshlrev_b32_e32 v5, 2, v59
	ds_bpermute_b32 v6, v26, v2
	s_and_saveexec_b32 s1, vcc_lo
	s_cbranch_execz .LBB191_142
; %bb.141:
	s_waitcnt lgkmcnt(0)
	v_max_f32_e32 v6, v6, v6
	v_max_f32_e32 v2, v2, v2
	;; [unrolled: 1-line block ×3, first 2 shown]
	ds_write_b32 v5, v2 offset:128
.LBB191_142:
	s_or_b32 exec_lo, exec_lo, s1
	v_cmp_gt_u32_e64 s1, 4, v25
	v_mov_b32_e32 v2, 0xff7fffff
	s_waitcnt lgkmcnt(0)
	v_lshlrev_b32_e32 v6, 2, v25
	s_barrier
	buffer_gl0_inv
	s_and_saveexec_b32 s2, s1
; %bb.143:
	ds_read_b32 v2, v6 offset:128
; %bb.144:
	s_or_b32 exec_lo, exec_lo, s2
	s_waitcnt lgkmcnt(0)
	ds_bpermute_b32 v7, v26, v2
	v_xor_b32_e32 v8, 1, v62
	v_max_f32_e32 v2, v2, v2
	v_cmp_lt_i32_e64 s2, v8, v63
	v_cndmask_b32_e64 v8, v62, v8, s2
	s_lshl_b32 s2, s12, 4
	s_min_i32 s4, s2, s11
	v_lshlrev_b32_e32 v27, 2, v8
	v_cmp_gt_i32_e64 s2, s4, v0
	s_waitcnt lgkmcnt(0)
	v_max_f32_e32 v7, v7, v7
	v_max_f32_e32 v2, v2, v7
	ds_bpermute_b32 v7, v27, v2
	s_waitcnt lgkmcnt(0)
	v_max_f32_e32 v7, v7, v7
	v_max_f32_e32 v2, v2, v7
	v_lshlrev_b32_e32 v7, 2, v18
	ds_bpermute_b32 v8, v7, v2
	v_mov_b32_e32 v7, 0
	v_lshl_add_u32 v2, v0, 2, 0xa0
	s_and_saveexec_b32 s5, s2
	s_cbranch_execz .LBB191_148
; %bb.145:
	v_lshl_add_u32 v9, v0, 2, 0xa0
	v_mov_b32_e32 v7, 0
	v_mov_b32_e32 v10, v0
	s_mov_b32 s15, 0
	.p2align	6
.LBB191_146:                            ; =>This Inner Loop Header: Depth=1
	ds_read_b32 v11, v9
	v_add_nc_u32_e32 v10, 0x80, v10
	v_cmp_le_i32_e64 s3, s4, v10
	s_or_b32 s15, s3, s15
	s_waitcnt lgkmcnt(0)
	v_sub_f32_e32 v11, v11, v8
	v_mul_f32_e32 v11, 0x3fb8aa3b, v11
	v_exp_f32_e32 v11, v11
	ds_write_b32 v9, v11
	v_add_f32_e32 v7, v7, v11
	v_add_nc_u32_e32 v9, 0x200, v9
	s_andn2_b32 exec_lo, exec_lo, s15
	s_cbranch_execnz .LBB191_146
; %bb.147:
	s_or_b32 exec_lo, exec_lo, s15
.LBB191_148:
	s_or_b32 exec_lo, exec_lo, s5
	ds_bpermute_b32 v1, v1, v7
	s_waitcnt lgkmcnt(0)
	v_add_f32_e32 v1, v7, v1
	ds_bpermute_b32 v3, v3, v1
	s_waitcnt lgkmcnt(0)
	v_add_f32_e32 v1, v1, v3
	;; [unrolled: 3-line block ×5, first 2 shown]
	s_and_saveexec_b32 s3, vcc_lo
; %bb.149:
	ds_write_b32 v5, v1 offset:144
; %bb.150:
	s_or_b32 exec_lo, exec_lo, s3
	s_waitcnt lgkmcnt(0)
	s_barrier
	buffer_gl0_inv
	s_and_saveexec_b32 s3, s1
; %bb.151:
	ds_read_b32 v1, v6 offset:144
; %bb.152:
	s_or_b32 exec_lo, exec_lo, s3
	s_waitcnt lgkmcnt(0)
	ds_bpermute_b32 v3, v26, v1
	v_lshlrev_b32_e32 v4, 2, v62
	s_waitcnt lgkmcnt(0)
	v_add_f32_e32 v1, v1, v3
	ds_bpermute_b32 v3, v27, v1
	s_waitcnt lgkmcnt(0)
	v_add_f32_e32 v1, v1, v3
	v_and_b32_e32 v3, 0xffffff80, v4
	ds_bpermute_b32 v1, v3, v1
	s_and_saveexec_b32 s1, s2
	s_cbranch_execz .LBB191_155
; %bb.153:
	s_waitcnt lgkmcnt(0)
	v_add_f32_e32 v1, 0x358637bd, v1
	s_mov_b32 s2, 0
	v_div_scale_f32 v3, null, v1, v1, 1.0
	v_div_scale_f32 v6, vcc_lo, 1.0, v1, 1.0
	v_rcp_f32_e32 v4, v3
	v_fma_f32 v5, -v3, v4, 1.0
	v_fmac_f32_e32 v4, v5, v4
	v_mul_f32_e32 v5, v6, v4
	v_fma_f32 v7, -v3, v5, v6
	v_fmac_f32_e32 v5, v7, v4
	v_fma_f32 v3, -v3, v5, v6
	v_div_fmas_f32 v3, v3, v4, v5
	v_div_fixup_f32 v1, v3, v1, 1.0
	v_mov_b32_e32 v3, v0
.LBB191_154:                            ; =>This Inner Loop Header: Depth=1
	ds_read_b32 v4, v2
	v_add_nc_u32_e32 v3, 0x80, v3
	v_cmp_le_i32_e32 vcc_lo, s4, v3
	s_or_b32 s2, vcc_lo, s2
	s_waitcnt lgkmcnt(0)
	v_mul_f32_e32 v4, v1, v4
	ds_write_b32 v2, v4
	v_add_nc_u32_e32 v2, 0x200, v2
	s_andn2_b32 exec_lo, exec_lo, s2
	s_cbranch_execnz .LBB191_154
.LBB191_155:
	s_or_b32 exec_lo, exec_lo, s1
	v_mov_b32_e32 v30, 0
	v_and_b32_e32 v28, 3, v0
	v_mov_b32_e32 v32, 0
	v_mov_b32_e32 v31, 0
	;; [unrolled: 1-line block ×3, first 2 shown]
	s_waitcnt lgkmcnt(0)
	s_barrier
	buffer_gl0_inv
	s_and_saveexec_b32 s1, s0
	s_cbranch_execz .LBB191_295
; %bb.156:
	s_load_dword s2, s[18:19], 0x0
	v_and_b32_e32 v2, 0x7c, v60
	v_and_b32_e32 v1, 12, v60
	v_lshlrev_b32_e32 v4, 4, v59
	s_ashr_i32 s0, s14, 31
	s_add_u32 s4, s26, s14
	v_lshlrev_b32_e32 v3, 4, v28
	s_addc_u32 s0, s27, s0
	v_add_co_u32 v7, s4, s4, v2
	v_or3_b32 v33, v4, v1, 3
	v_and_b32_e32 v1, 0x7c, v61
	v_add_co_ci_u32_e64 v8, null, s0, 0, s4
	s_lshl_b64 s[4:5], s[24:25], 2
	s_add_i32 s3, s12, -1
	v_lshl_or_b32 v3, v59, 6, v3
	s_add_u32 s0, s22, s4
	s_addc_u32 s4, s23, s5
	v_add_co_u32 v9, s0, s0, v1
	v_mov_b32_e32 v6, 0
	v_add_nc_u32_e32 v34, 0xa0, v3
	v_add_co_ci_u32_e64 v10, null, s4, 0, s0
	v_mov_b32_e32 v35, 0x80
	v_bfrev_b32_e32 v12, 1
	v_mov_b32_e32 v36, 0xffff
	v_mov_b32_e32 v14, 0x7f800001
	;; [unrolled: 1-line block ×10, first 2 shown]
	s_mov_b32 s4, s13
	s_waitcnt lgkmcnt(0)
	s_mov_b32 s13, s2
	s_mov_b32 s5, 0
	s_branch .LBB191_158
.LBB191_157:                            ;   in Loop: Header=BB191_158 Depth=1
	s_or_b32 exec_lo, exec_lo, s0
	s_waitcnt lgkmcnt(0)
	v_mul_f32_e32 v16, v1, v53
	v_mul_f32_e32 v17, v1, v51
	;; [unrolled: 1-line block ×4, first 2 shown]
	v_add_nc_u32_e32 v40, 4, v40
	v_fmac_f32_e32 v16, v2, v52
	v_fmac_f32_e32 v17, v2, v50
	;; [unrolled: 1-line block ×4, first 2 shown]
	v_cmp_le_i32_e32 vcc_lo, s12, v40
	v_fmac_f32_e32 v16, v3, v24
	v_fmac_f32_e32 v17, v3, v49
	;; [unrolled: 1-line block ×4, first 2 shown]
	v_add_co_u32 v9, s0, v9, 16
	v_fmac_f32_e32 v16, v4, v23
	v_fmac_f32_e32 v17, v4, v48
	v_fmac_f32_e32 v18, v4, v41
	v_fmac_f32_e32 v1, v4, v5
	v_add_nc_u32_e32 v33, 64, v33
	v_add_f32_e32 v31, v31, v16
	v_add_f32_e32 v32, v32, v17
	;; [unrolled: 1-line block ×4, first 2 shown]
	v_add_nc_u32_e32 v34, 0x100, v34
	v_add_co_ci_u32_e64 v10, null, 0, v10, s0
	s_or_b32 s5, vcc_lo, s5
	s_andn2_b32 exec_lo, exec_lo, s5
	s_cbranch_execz .LBB191_294
.LBB191_158:                            ; =>This Inner Loop Header: Depth=1
	global_load_dword v1, v[9:10], off
	v_mov_b32_e32 v19, 0
	v_mov_b32_e32 v17, 0
	;; [unrolled: 1-line block ×4, first 2 shown]
	s_waitcnt vmcnt(0)
	v_mad_i64_i32 v[15:16], null, v1, s4, v[7:8]
	ds_read_b128 v[1:4], v34
	global_load_dword v41, v[15:16], off
	s_waitcnt vmcnt(0)
	v_cmp_ne_u16_sdwa s14, v41, v6 src0_sel:BYTE_0 src1_sel:DWORD
	s_and_saveexec_b32 s0, s14
	s_cbranch_execz .LBB191_166
; %bb.159:                              ;   in Loop: Header=BB191_158 Depth=1
	v_bfrev_b32_e32 v17, 1
	v_mov_b32_e32 v18, 0
	v_cmp_ne_u16_sdwa s15, v41, v35 src0_sel:BYTE_0 src1_sel:DWORD
	s_and_saveexec_b32 s14, s15
	s_cbranch_execz .LBB191_165
; %bb.160:                              ;   in Loop: Header=BB191_158 Depth=1
	v_mov_b32_e32 v17, 0x7f800001
	v_and_b32_e32 v13, 0x7f, v41
	v_mov_b32_e32 v18, 0
	s_mov_b32 s15, exec_lo
	v_cmpx_ne_u32_e32 0x7f, v13
	s_cbranch_execz .LBB191_164
; %bb.161:                              ;   in Loop: Header=BB191_158 Depth=1
	v_and_b32_e32 v5, 7, v41
	v_lshrrev_b32_e32 v11, 3, v13
	s_mov_b32 s16, exec_lo
	v_cmpx_gt_u32_e32 8, v13
; %bb.162:                              ;   in Loop: Header=BB191_158 Depth=1
	v_ffbh_u32_e32 v11, v5
	v_min_u32_e32 v11, 32, v11
	v_subrev_nc_u32_e32 v13, 28, v11
	v_sub_nc_u32_e32 v11, 29, v11
	v_lshlrev_b64 v[17:18], v13, v[5:6]
	v_and_b32_e32 v5, 7, v17
; %bb.163:                              ;   in Loop: Header=BB191_158 Depth=1
	s_or_b32 exec_lo, exec_lo, s16
	v_lshlrev_b32_e32 v13, 24, v41
	v_lshlrev_b32_e32 v5, 20, v5
	v_lshl_add_u32 v11, v11, 23, 0x3c000000
	v_and_b32_e32 v13, 0x80000000, v13
	v_or3_b32 v5, v5, v13, v11
	v_mov_b32_e32 v18, v6
	v_mov_b32_e32 v17, v5
.LBB191_164:                            ;   in Loop: Header=BB191_158 Depth=1
	s_or_b32 exec_lo, exec_lo, s15
.LBB191_165:                            ;   in Loop: Header=BB191_158 Depth=1
	s_or_b32 exec_lo, exec_lo, s14
.LBB191_166:                            ;   in Loop: Header=BB191_158 Depth=1
	s_or_b32 exec_lo, exec_lo, s0
	v_cmp_ne_u16_sdwa s14, v41, v6 src0_sel:BYTE_1 src1_sel:DWORD
	s_and_saveexec_b32 s0, s14
	s_cbranch_execz .LBB191_174
; %bb.167:                              ;   in Loop: Header=BB191_158 Depth=1
	v_mov_b32_e32 v11, v6
	v_mov_b32_e32 v20, v12
	v_cmp_ne_u16_sdwa s15, v41, v35 src0_sel:BYTE_1 src1_sel:DWORD
	v_mov_b32_e32 v19, v11
	s_and_saveexec_b32 s14, s15
	s_cbranch_execz .LBB191_173
; %bb.168:                              ;   in Loop: Header=BB191_158 Depth=1
	v_and_b32_sdwa v5, v36, v41 dst_sel:DWORD dst_unused:UNUSED_PAD src0_sel:DWORD src1_sel:BYTE_1
	v_mov_b32_e32 v13, v6
	v_mov_b32_e32 v20, v14
	s_mov_b32 s15, exec_lo
	v_and_b32_e32 v21, 0x7f, v5
	v_mov_b32_e32 v19, v13
	v_cmpx_ne_u32_e32 0x7f, v21
	s_cbranch_execz .LBB191_172
; %bb.169:                              ;   in Loop: Header=BB191_158 Depth=1
	v_and_b32_e32 v5, 7, v5
	v_lshrrev_b32_e32 v11, 3, v21
	s_mov_b32 s16, exec_lo
	v_cmpx_gt_u32_e32 8, v21
; %bb.170:                              ;   in Loop: Header=BB191_158 Depth=1
	v_ffbh_u32_e32 v11, v5
	v_min_u32_e32 v11, 32, v11
	v_subrev_nc_u32_e32 v13, 28, v11
	v_sub_nc_u32_e32 v11, 29, v11
	v_lshlrev_b64 v[19:20], v13, v[5:6]
	v_and_b32_e32 v5, 7, v19
; %bb.171:                              ;   in Loop: Header=BB191_158 Depth=1
	s_or_b32 exec_lo, exec_lo, s16
	v_lshlrev_b32_e32 v13, 16, v41
	v_lshlrev_b32_e32 v5, 20, v5
	v_lshl_add_u32 v11, v11, 23, 0x3c000000
	v_mov_b32_e32 v19, v6
	v_and_b32_e32 v13, 0x80000000, v13
	v_or3_b32 v20, v5, v13, v11
.LBB191_172:                            ;   in Loop: Header=BB191_158 Depth=1
	s_or_b32 exec_lo, exec_lo, s15
.LBB191_173:                            ;   in Loop: Header=BB191_158 Depth=1
	s_or_b32 exec_lo, exec_lo, s14
.LBB191_174:                            ;   in Loop: Header=BB191_158 Depth=1
	s_or_b32 exec_lo, exec_lo, s0
	v_mov_b32_e32 v23, 0
	v_mov_b32_e32 v21, 0
	v_and_b32_sdwa v5, v41, v37 dst_sel:DWORD dst_unused:UNUSED_PAD src0_sel:WORD_1 src1_sel:DWORD
	v_mov_b32_e32 v24, 0
	v_mov_b32_e32 v22, 0
	s_mov_b32 s0, exec_lo
	v_cmpx_ne_u16_e32 0, v5
	s_cbranch_execz .LBB191_182
; %bb.175:                              ;   in Loop: Header=BB191_158 Depth=1
	v_bfrev_b32_e32 v21, 1
	v_mov_b32_e32 v22, 0
	s_mov_b32 s14, exec_lo
	v_cmpx_ne_u16_e32 0x80, v5
	s_cbranch_execz .LBB191_181
; %bb.176:                              ;   in Loop: Header=BB191_158 Depth=1
	v_mov_b32_e32 v21, 0x7f800001
	v_bfe_u32 v13, v41, 16, 7
	v_mov_b32_e32 v22, 0
	s_mov_b32 s15, exec_lo
	v_cmpx_ne_u32_e32 0x7f, v13
	s_cbranch_execz .LBB191_180
; %bb.177:                              ;   in Loop: Header=BB191_158 Depth=1
	v_and_b32_sdwa v5, v41, v38 dst_sel:DWORD dst_unused:UNUSED_PAD src0_sel:WORD_1 src1_sel:DWORD
	v_lshrrev_b32_e32 v11, 3, v13
	s_mov_b32 s16, exec_lo
	v_cmpx_gt_u32_e32 8, v13
; %bb.178:                              ;   in Loop: Header=BB191_158 Depth=1
	v_ffbh_u32_e32 v11, v5
	v_min_u32_e32 v11, 32, v11
	v_subrev_nc_u32_e32 v13, 28, v11
	v_sub_nc_u32_e32 v11, 29, v11
	v_lshlrev_b64 v[21:22], v13, v[5:6]
	v_and_b32_e32 v5, 7, v21
; %bb.179:                              ;   in Loop: Header=BB191_158 Depth=1
	s_or_b32 exec_lo, exec_lo, s16
	v_lshlrev_b32_sdwa v13, v39, v41 dst_sel:DWORD dst_unused:UNUSED_PAD src0_sel:DWORD src1_sel:WORD_1
	v_lshlrev_b32_e32 v5, 20, v5
	v_lshl_add_u32 v11, v11, 23, 0x3c000000
	v_and_b32_e32 v13, 0x80000000, v13
	v_or3_b32 v5, v5, v13, v11
	v_mov_b32_e32 v22, v6
	v_mov_b32_e32 v21, v5
.LBB191_180:                            ;   in Loop: Header=BB191_158 Depth=1
	s_or_b32 exec_lo, exec_lo, s15
.LBB191_181:                            ;   in Loop: Header=BB191_158 Depth=1
	s_or_b32 exec_lo, exec_lo, s14
.LBB191_182:                            ;   in Loop: Header=BB191_158 Depth=1
	s_or_b32 exec_lo, exec_lo, s0
	s_mov_b32 s0, exec_lo
	v_cmpx_lt_u32_e32 0xffffff, v41
	s_cbranch_execz .LBB191_190
; %bb.183:                              ;   in Loop: Header=BB191_158 Depth=1
	v_mov_b32_e32 v11, v6
	v_mov_b32_e32 v24, v12
	v_cmp_ne_u32_sdwa s15, v41, v35 src0_sel:BYTE_3 src1_sel:DWORD
	v_mov_b32_e32 v23, v11
	s_and_saveexec_b32 s14, s15
	s_cbranch_execz .LBB191_189
; %bb.184:                              ;   in Loop: Header=BB191_158 Depth=1
	v_mov_b32_e32 v13, v6
	v_mov_b32_e32 v24, v14
	v_bfe_u32 v42, v41, 24, 7
	s_mov_b32 s15, exec_lo
	v_mov_b32_e32 v23, v13
	v_cmpx_ne_u32_e32 0x7f, v42
	s_cbranch_execz .LBB191_188
; %bb.185:                              ;   in Loop: Header=BB191_158 Depth=1
	v_and_b32_sdwa v5, v41, v38 dst_sel:DWORD dst_unused:UNUSED_PAD src0_sel:BYTE_3 src1_sel:DWORD
	v_lshrrev_b32_e32 v11, 3, v42
	s_mov_b32 s16, exec_lo
	v_cmpx_gt_u32_e32 8, v42
; %bb.186:                              ;   in Loop: Header=BB191_158 Depth=1
	v_ffbh_u32_e32 v11, v5
	v_min_u32_e32 v11, 32, v11
	v_subrev_nc_u32_e32 v13, 28, v11
	v_sub_nc_u32_e32 v11, 29, v11
	v_lshlrev_b64 v[23:24], v13, v[5:6]
	v_and_b32_e32 v5, 7, v23
; %bb.187:                              ;   in Loop: Header=BB191_158 Depth=1
	s_or_b32 exec_lo, exec_lo, s16
	v_lshlrev_b32_sdwa v13, v39, v41 dst_sel:DWORD dst_unused:UNUSED_PAD src0_sel:DWORD src1_sel:BYTE_3
	v_lshlrev_b32_e32 v5, 20, v5
	v_lshl_add_u32 v11, v11, 23, 0x3c000000
	v_mov_b32_e32 v23, v6
	v_and_b32_e32 v13, 0x80000000, v13
	v_or3_b32 v24, v5, v13, v11
.LBB191_188:                            ;   in Loop: Header=BB191_158 Depth=1
	s_or_b32 exec_lo, exec_lo, s15
.LBB191_189:                            ;   in Loop: Header=BB191_158 Depth=1
	s_or_b32 exec_lo, exec_lo, s14
.LBB191_190:                            ;   in Loop: Header=BB191_158 Depth=1
	s_or_b32 exec_lo, exec_lo, s0
	v_or_b32_e32 v5, v20, v18
	v_or_b32_e32 v11, v19, v17
	;; [unrolled: 1-line block ×4, first 2 shown]
	v_add_nc_u32_e32 v45, -3, v33
	v_cmp_eq_u32_e32 vcc_lo, s3, v40
	v_mul_f32_e32 v43, s13, v5
	v_mul_f32_e32 v44, s2, v11
	;; [unrolled: 1-line block ×4, first 2 shown]
	v_add_nc_u32_e32 v47, -2, v33
	v_add_nc_u32_e32 v46, -1, v33
	s_and_saveexec_b32 s14, vcc_lo
	s_cbranch_execz .LBB191_192
; %bb.191:                              ;   in Loop: Header=BB191_158 Depth=1
	v_cmp_gt_i32_e64 s0, s11, v45
	v_cndmask_b32_e64 v44, 0, v44, s0
	v_cmp_gt_i32_e64 s0, s11, v47
	v_cndmask_b32_e64 v43, 0, v43, s0
	;; [unrolled: 2-line block ×4, first 2 shown]
.LBB191_192:                            ;   in Loop: Header=BB191_158 Depth=1
	s_or_b32 exec_lo, exec_lo, s14
	global_load_dword v48, v[15:16], off offset:128
	v_mov_b32_e32 v19, 0
	v_mov_b32_e32 v17, 0
	;; [unrolled: 1-line block ×4, first 2 shown]
	s_waitcnt vmcnt(0)
	v_cmp_ne_u16_sdwa s0, v48, v6 src0_sel:BYTE_0 src1_sel:DWORD
	s_and_saveexec_b32 s14, s0
	s_cbranch_execz .LBB191_200
; %bb.193:                              ;   in Loop: Header=BB191_158 Depth=1
	v_bfrev_b32_e32 v17, 1
	v_mov_b32_e32 v18, 0
	v_cmp_ne_u16_sdwa s0, v48, v35 src0_sel:BYTE_0 src1_sel:DWORD
	s_and_saveexec_b32 s15, s0
	s_cbranch_execz .LBB191_199
; %bb.194:                              ;   in Loop: Header=BB191_158 Depth=1
	v_mov_b32_e32 v17, 0x7f800001
	v_and_b32_e32 v13, 0x7f, v48
	v_mov_b32_e32 v18, 0
	s_mov_b32 s16, exec_lo
	v_cmpx_ne_u32_e32 0x7f, v13
	s_cbranch_execz .LBB191_198
; %bb.195:                              ;   in Loop: Header=BB191_158 Depth=1
	v_and_b32_e32 v5, 7, v48
	v_lshrrev_b32_e32 v11, 3, v13
	s_mov_b32 s17, exec_lo
	v_cmpx_gt_u32_e32 8, v13
; %bb.196:                              ;   in Loop: Header=BB191_158 Depth=1
	v_ffbh_u32_e32 v11, v5
	v_min_u32_e32 v11, 32, v11
	v_subrev_nc_u32_e32 v13, 28, v11
	v_sub_nc_u32_e32 v11, 29, v11
	v_lshlrev_b64 v[17:18], v13, v[5:6]
	v_and_b32_e32 v5, 7, v17
; %bb.197:                              ;   in Loop: Header=BB191_158 Depth=1
	s_or_b32 exec_lo, exec_lo, s17
	v_lshlrev_b32_e32 v13, 24, v48
	v_lshlrev_b32_e32 v5, 20, v5
	v_lshl_add_u32 v11, v11, 23, 0x3c000000
	v_and_b32_e32 v13, 0x80000000, v13
	v_or3_b32 v5, v5, v13, v11
	v_mov_b32_e32 v18, v6
	v_mov_b32_e32 v17, v5
.LBB191_198:                            ;   in Loop: Header=BB191_158 Depth=1
	s_or_b32 exec_lo, exec_lo, s16
.LBB191_199:                            ;   in Loop: Header=BB191_158 Depth=1
	s_or_b32 exec_lo, exec_lo, s15
.LBB191_200:                            ;   in Loop: Header=BB191_158 Depth=1
	s_or_b32 exec_lo, exec_lo, s14
	v_cmp_ne_u16_sdwa s0, v48, v6 src0_sel:BYTE_1 src1_sel:DWORD
	s_and_saveexec_b32 s14, s0
	s_cbranch_execz .LBB191_208
; %bb.201:                              ;   in Loop: Header=BB191_158 Depth=1
	v_mov_b32_e32 v11, v6
	v_mov_b32_e32 v20, v12
	v_cmp_ne_u16_sdwa s0, v48, v35 src0_sel:BYTE_1 src1_sel:DWORD
	v_mov_b32_e32 v19, v11
	s_and_saveexec_b32 s15, s0
	s_cbranch_execz .LBB191_207
; %bb.202:                              ;   in Loop: Header=BB191_158 Depth=1
	v_and_b32_sdwa v5, v36, v48 dst_sel:DWORD dst_unused:UNUSED_PAD src0_sel:DWORD src1_sel:BYTE_1
	v_mov_b32_e32 v13, v6
	v_mov_b32_e32 v20, v14
	s_mov_b32 s16, exec_lo
	v_and_b32_e32 v21, 0x7f, v5
	v_mov_b32_e32 v19, v13
	v_cmpx_ne_u32_e32 0x7f, v21
	s_cbranch_execz .LBB191_206
; %bb.203:                              ;   in Loop: Header=BB191_158 Depth=1
	v_and_b32_e32 v5, 7, v5
	v_lshrrev_b32_e32 v11, 3, v21
	s_mov_b32 s17, exec_lo
	v_cmpx_gt_u32_e32 8, v21
; %bb.204:                              ;   in Loop: Header=BB191_158 Depth=1
	v_ffbh_u32_e32 v11, v5
	v_min_u32_e32 v11, 32, v11
	v_subrev_nc_u32_e32 v13, 28, v11
	v_sub_nc_u32_e32 v11, 29, v11
	v_lshlrev_b64 v[19:20], v13, v[5:6]
	v_and_b32_e32 v5, 7, v19
; %bb.205:                              ;   in Loop: Header=BB191_158 Depth=1
	s_or_b32 exec_lo, exec_lo, s17
	v_lshlrev_b32_e32 v13, 16, v48
	v_lshlrev_b32_e32 v5, 20, v5
	v_lshl_add_u32 v11, v11, 23, 0x3c000000
	v_mov_b32_e32 v19, v6
	v_and_b32_e32 v13, 0x80000000, v13
	v_or3_b32 v20, v5, v13, v11
.LBB191_206:                            ;   in Loop: Header=BB191_158 Depth=1
	s_or_b32 exec_lo, exec_lo, s16
.LBB191_207:                            ;   in Loop: Header=BB191_158 Depth=1
	s_or_b32 exec_lo, exec_lo, s15
.LBB191_208:                            ;   in Loop: Header=BB191_158 Depth=1
	s_or_b32 exec_lo, exec_lo, s14
	v_mov_b32_e32 v23, 0
	v_mov_b32_e32 v21, 0
	v_and_b32_sdwa v5, v48, v37 dst_sel:DWORD dst_unused:UNUSED_PAD src0_sel:WORD_1 src1_sel:DWORD
	v_mov_b32_e32 v24, 0
	v_mov_b32_e32 v22, 0
	s_mov_b32 s14, exec_lo
	v_cmpx_ne_u16_e32 0, v5
	s_cbranch_execz .LBB191_216
; %bb.209:                              ;   in Loop: Header=BB191_158 Depth=1
	v_bfrev_b32_e32 v21, 1
	v_mov_b32_e32 v22, 0
	s_mov_b32 s15, exec_lo
	v_cmpx_ne_u16_e32 0x80, v5
	s_cbranch_execz .LBB191_215
; %bb.210:                              ;   in Loop: Header=BB191_158 Depth=1
	v_mov_b32_e32 v21, 0x7f800001
	v_bfe_u32 v13, v48, 16, 7
	v_mov_b32_e32 v22, 0
	s_mov_b32 s16, exec_lo
	v_cmpx_ne_u32_e32 0x7f, v13
	s_cbranch_execz .LBB191_214
; %bb.211:                              ;   in Loop: Header=BB191_158 Depth=1
	v_and_b32_sdwa v5, v48, v38 dst_sel:DWORD dst_unused:UNUSED_PAD src0_sel:WORD_1 src1_sel:DWORD
	v_lshrrev_b32_e32 v11, 3, v13
	s_mov_b32 s17, exec_lo
	v_cmpx_gt_u32_e32 8, v13
; %bb.212:                              ;   in Loop: Header=BB191_158 Depth=1
	v_ffbh_u32_e32 v11, v5
	v_min_u32_e32 v11, 32, v11
	v_subrev_nc_u32_e32 v13, 28, v11
	v_sub_nc_u32_e32 v11, 29, v11
	v_lshlrev_b64 v[21:22], v13, v[5:6]
	v_and_b32_e32 v5, 7, v21
; %bb.213:                              ;   in Loop: Header=BB191_158 Depth=1
	s_or_b32 exec_lo, exec_lo, s17
	v_lshlrev_b32_sdwa v13, v39, v48 dst_sel:DWORD dst_unused:UNUSED_PAD src0_sel:DWORD src1_sel:WORD_1
	v_lshlrev_b32_e32 v5, 20, v5
	v_lshl_add_u32 v11, v11, 23, 0x3c000000
	v_and_b32_e32 v13, 0x80000000, v13
	v_or3_b32 v5, v5, v13, v11
	v_mov_b32_e32 v22, v6
	v_mov_b32_e32 v21, v5
.LBB191_214:                            ;   in Loop: Header=BB191_158 Depth=1
	s_or_b32 exec_lo, exec_lo, s16
.LBB191_215:                            ;   in Loop: Header=BB191_158 Depth=1
	s_or_b32 exec_lo, exec_lo, s15
.LBB191_216:                            ;   in Loop: Header=BB191_158 Depth=1
	s_or_b32 exec_lo, exec_lo, s14
	s_mov_b32 s14, exec_lo
	v_cmpx_lt_u32_e32 0xffffff, v48
	s_cbranch_execz .LBB191_224
; %bb.217:                              ;   in Loop: Header=BB191_158 Depth=1
	v_mov_b32_e32 v11, v6
	v_mov_b32_e32 v24, v12
	v_cmp_ne_u32_sdwa s0, v48, v35 src0_sel:BYTE_3 src1_sel:DWORD
	v_mov_b32_e32 v23, v11
	s_and_saveexec_b32 s15, s0
	s_cbranch_execz .LBB191_223
; %bb.218:                              ;   in Loop: Header=BB191_158 Depth=1
	v_mov_b32_e32 v13, v6
	v_mov_b32_e32 v24, v14
	v_bfe_u32 v49, v48, 24, 7
	s_mov_b32 s16, exec_lo
	v_mov_b32_e32 v23, v13
	v_cmpx_ne_u32_e32 0x7f, v49
	s_cbranch_execz .LBB191_222
; %bb.219:                              ;   in Loop: Header=BB191_158 Depth=1
	v_and_b32_sdwa v5, v48, v38 dst_sel:DWORD dst_unused:UNUSED_PAD src0_sel:BYTE_3 src1_sel:DWORD
	v_lshrrev_b32_e32 v11, 3, v49
	s_mov_b32 s17, exec_lo
	v_cmpx_gt_u32_e32 8, v49
; %bb.220:                              ;   in Loop: Header=BB191_158 Depth=1
	v_ffbh_u32_e32 v11, v5
	v_min_u32_e32 v11, 32, v11
	v_subrev_nc_u32_e32 v13, 28, v11
	v_sub_nc_u32_e32 v11, 29, v11
	v_lshlrev_b64 v[23:24], v13, v[5:6]
	v_and_b32_e32 v5, 7, v23
; %bb.221:                              ;   in Loop: Header=BB191_158 Depth=1
	s_or_b32 exec_lo, exec_lo, s17
	v_lshlrev_b32_sdwa v13, v39, v48 dst_sel:DWORD dst_unused:UNUSED_PAD src0_sel:DWORD src1_sel:BYTE_3
	v_lshlrev_b32_e32 v5, 20, v5
	v_lshl_add_u32 v11, v11, 23, 0x3c000000
	v_mov_b32_e32 v23, v6
	v_and_b32_e32 v13, 0x80000000, v13
	v_or3_b32 v24, v5, v13, v11
.LBB191_222:                            ;   in Loop: Header=BB191_158 Depth=1
	s_or_b32 exec_lo, exec_lo, s16
.LBB191_223:                            ;   in Loop: Header=BB191_158 Depth=1
	s_or_b32 exec_lo, exec_lo, s15
.LBB191_224:                            ;   in Loop: Header=BB191_158 Depth=1
	s_or_b32 exec_lo, exec_lo, s14
	v_or_b32_e32 v5, v20, v18
	v_or_b32_e32 v11, v19, v17
	;; [unrolled: 1-line block ×4, first 2 shown]
	v_mul_f32_e32 v50, s13, v5
	v_mul_f32_e32 v51, s2, v11
	;; [unrolled: 1-line block ×4, first 2 shown]
	s_and_saveexec_b32 s14, vcc_lo
	s_cbranch_execz .LBB191_226
; %bb.225:                              ;   in Loop: Header=BB191_158 Depth=1
	v_cmp_gt_i32_e64 s0, s11, v45
	v_cndmask_b32_e64 v51, 0, v51, s0
	v_cmp_gt_i32_e64 s0, s11, v47
	v_cndmask_b32_e64 v50, 0, v50, s0
	;; [unrolled: 2-line block ×4, first 2 shown]
.LBB191_226:                            ;   in Loop: Header=BB191_158 Depth=1
	s_or_b32 exec_lo, exec_lo, s14
	global_load_dword v52, v[15:16], off offset:256
	v_mov_b32_e32 v19, 0
	v_mov_b32_e32 v17, 0
	;; [unrolled: 1-line block ×4, first 2 shown]
	s_waitcnt vmcnt(0)
	v_cmp_ne_u16_sdwa s0, v52, v6 src0_sel:BYTE_0 src1_sel:DWORD
	s_and_saveexec_b32 s14, s0
	s_cbranch_execz .LBB191_234
; %bb.227:                              ;   in Loop: Header=BB191_158 Depth=1
	v_bfrev_b32_e32 v17, 1
	v_mov_b32_e32 v18, 0
	v_cmp_ne_u16_sdwa s0, v52, v35 src0_sel:BYTE_0 src1_sel:DWORD
	s_and_saveexec_b32 s15, s0
	s_cbranch_execz .LBB191_233
; %bb.228:                              ;   in Loop: Header=BB191_158 Depth=1
	v_mov_b32_e32 v17, 0x7f800001
	v_and_b32_e32 v13, 0x7f, v52
	v_mov_b32_e32 v18, 0
	s_mov_b32 s16, exec_lo
	v_cmpx_ne_u32_e32 0x7f, v13
	s_cbranch_execz .LBB191_232
; %bb.229:                              ;   in Loop: Header=BB191_158 Depth=1
	v_and_b32_e32 v5, 7, v52
	v_lshrrev_b32_e32 v11, 3, v13
	s_mov_b32 s17, exec_lo
	v_cmpx_gt_u32_e32 8, v13
; %bb.230:                              ;   in Loop: Header=BB191_158 Depth=1
	v_ffbh_u32_e32 v11, v5
	v_min_u32_e32 v11, 32, v11
	v_subrev_nc_u32_e32 v13, 28, v11
	v_sub_nc_u32_e32 v11, 29, v11
	v_lshlrev_b64 v[17:18], v13, v[5:6]
	v_and_b32_e32 v5, 7, v17
; %bb.231:                              ;   in Loop: Header=BB191_158 Depth=1
	s_or_b32 exec_lo, exec_lo, s17
	v_lshlrev_b32_e32 v13, 24, v52
	v_lshlrev_b32_e32 v5, 20, v5
	v_lshl_add_u32 v11, v11, 23, 0x3c000000
	v_and_b32_e32 v13, 0x80000000, v13
	v_or3_b32 v5, v5, v13, v11
	v_mov_b32_e32 v18, v6
	v_mov_b32_e32 v17, v5
.LBB191_232:                            ;   in Loop: Header=BB191_158 Depth=1
	s_or_b32 exec_lo, exec_lo, s16
.LBB191_233:                            ;   in Loop: Header=BB191_158 Depth=1
	s_or_b32 exec_lo, exec_lo, s15
.LBB191_234:                            ;   in Loop: Header=BB191_158 Depth=1
	s_or_b32 exec_lo, exec_lo, s14
	v_cmp_ne_u16_sdwa s0, v52, v6 src0_sel:BYTE_1 src1_sel:DWORD
	s_and_saveexec_b32 s14, s0
	s_cbranch_execz .LBB191_242
; %bb.235:                              ;   in Loop: Header=BB191_158 Depth=1
	v_mov_b32_e32 v11, v6
	v_mov_b32_e32 v20, v12
	v_cmp_ne_u16_sdwa s0, v52, v35 src0_sel:BYTE_1 src1_sel:DWORD
	v_mov_b32_e32 v19, v11
	s_and_saveexec_b32 s15, s0
	s_cbranch_execz .LBB191_241
; %bb.236:                              ;   in Loop: Header=BB191_158 Depth=1
	v_and_b32_sdwa v5, v36, v52 dst_sel:DWORD dst_unused:UNUSED_PAD src0_sel:DWORD src1_sel:BYTE_1
	v_mov_b32_e32 v13, v6
	v_mov_b32_e32 v20, v14
	s_mov_b32 s16, exec_lo
	v_and_b32_e32 v21, 0x7f, v5
	v_mov_b32_e32 v19, v13
	v_cmpx_ne_u32_e32 0x7f, v21
	s_cbranch_execz .LBB191_240
; %bb.237:                              ;   in Loop: Header=BB191_158 Depth=1
	v_and_b32_e32 v5, 7, v5
	v_lshrrev_b32_e32 v11, 3, v21
	s_mov_b32 s17, exec_lo
	v_cmpx_gt_u32_e32 8, v21
; %bb.238:                              ;   in Loop: Header=BB191_158 Depth=1
	v_ffbh_u32_e32 v11, v5
	v_min_u32_e32 v11, 32, v11
	v_subrev_nc_u32_e32 v13, 28, v11
	v_sub_nc_u32_e32 v11, 29, v11
	v_lshlrev_b64 v[19:20], v13, v[5:6]
	v_and_b32_e32 v5, 7, v19
; %bb.239:                              ;   in Loop: Header=BB191_158 Depth=1
	s_or_b32 exec_lo, exec_lo, s17
	v_lshlrev_b32_e32 v13, 16, v52
	v_lshlrev_b32_e32 v5, 20, v5
	v_lshl_add_u32 v11, v11, 23, 0x3c000000
	v_mov_b32_e32 v19, v6
	v_and_b32_e32 v13, 0x80000000, v13
	v_or3_b32 v20, v5, v13, v11
.LBB191_240:                            ;   in Loop: Header=BB191_158 Depth=1
	s_or_b32 exec_lo, exec_lo, s16
.LBB191_241:                            ;   in Loop: Header=BB191_158 Depth=1
	s_or_b32 exec_lo, exec_lo, s15
.LBB191_242:                            ;   in Loop: Header=BB191_158 Depth=1
	s_or_b32 exec_lo, exec_lo, s14
	v_mov_b32_e32 v23, 0
	v_mov_b32_e32 v21, 0
	v_and_b32_sdwa v5, v52, v37 dst_sel:DWORD dst_unused:UNUSED_PAD src0_sel:WORD_1 src1_sel:DWORD
	v_mov_b32_e32 v24, 0
	v_mov_b32_e32 v22, 0
	s_mov_b32 s14, exec_lo
	v_cmpx_ne_u16_e32 0, v5
	s_cbranch_execz .LBB191_250
; %bb.243:                              ;   in Loop: Header=BB191_158 Depth=1
	v_bfrev_b32_e32 v21, 1
	v_mov_b32_e32 v22, 0
	s_mov_b32 s15, exec_lo
	v_cmpx_ne_u16_e32 0x80, v5
	s_cbranch_execz .LBB191_249
; %bb.244:                              ;   in Loop: Header=BB191_158 Depth=1
	v_mov_b32_e32 v21, 0x7f800001
	v_bfe_u32 v13, v52, 16, 7
	v_mov_b32_e32 v22, 0
	s_mov_b32 s16, exec_lo
	v_cmpx_ne_u32_e32 0x7f, v13
	s_cbranch_execz .LBB191_248
; %bb.245:                              ;   in Loop: Header=BB191_158 Depth=1
	v_and_b32_sdwa v5, v52, v38 dst_sel:DWORD dst_unused:UNUSED_PAD src0_sel:WORD_1 src1_sel:DWORD
	v_lshrrev_b32_e32 v11, 3, v13
	s_mov_b32 s17, exec_lo
	v_cmpx_gt_u32_e32 8, v13
; %bb.246:                              ;   in Loop: Header=BB191_158 Depth=1
	v_ffbh_u32_e32 v11, v5
	v_min_u32_e32 v11, 32, v11
	v_subrev_nc_u32_e32 v13, 28, v11
	v_sub_nc_u32_e32 v11, 29, v11
	v_lshlrev_b64 v[21:22], v13, v[5:6]
	v_and_b32_e32 v5, 7, v21
; %bb.247:                              ;   in Loop: Header=BB191_158 Depth=1
	s_or_b32 exec_lo, exec_lo, s17
	v_lshlrev_b32_sdwa v13, v39, v52 dst_sel:DWORD dst_unused:UNUSED_PAD src0_sel:DWORD src1_sel:WORD_1
	v_lshlrev_b32_e32 v5, 20, v5
	v_lshl_add_u32 v11, v11, 23, 0x3c000000
	v_and_b32_e32 v13, 0x80000000, v13
	v_or3_b32 v5, v5, v13, v11
	v_mov_b32_e32 v22, v6
	v_mov_b32_e32 v21, v5
.LBB191_248:                            ;   in Loop: Header=BB191_158 Depth=1
	s_or_b32 exec_lo, exec_lo, s16
.LBB191_249:                            ;   in Loop: Header=BB191_158 Depth=1
	s_or_b32 exec_lo, exec_lo, s15
.LBB191_250:                            ;   in Loop: Header=BB191_158 Depth=1
	s_or_b32 exec_lo, exec_lo, s14
	s_mov_b32 s14, exec_lo
	v_cmpx_lt_u32_e32 0xffffff, v52
	s_cbranch_execz .LBB191_258
; %bb.251:                              ;   in Loop: Header=BB191_158 Depth=1
	v_mov_b32_e32 v11, v6
	v_mov_b32_e32 v24, v12
	v_cmp_ne_u32_sdwa s0, v52, v35 src0_sel:BYTE_3 src1_sel:DWORD
	v_mov_b32_e32 v23, v11
	s_and_saveexec_b32 s15, s0
	s_cbranch_execz .LBB191_257
; %bb.252:                              ;   in Loop: Header=BB191_158 Depth=1
	v_mov_b32_e32 v13, v6
	v_mov_b32_e32 v24, v14
	v_bfe_u32 v53, v52, 24, 7
	s_mov_b32 s16, exec_lo
	v_mov_b32_e32 v23, v13
	v_cmpx_ne_u32_e32 0x7f, v53
	s_cbranch_execz .LBB191_256
; %bb.253:                              ;   in Loop: Header=BB191_158 Depth=1
	v_and_b32_sdwa v5, v52, v38 dst_sel:DWORD dst_unused:UNUSED_PAD src0_sel:BYTE_3 src1_sel:DWORD
	v_lshrrev_b32_e32 v11, 3, v53
	s_mov_b32 s17, exec_lo
	v_cmpx_gt_u32_e32 8, v53
; %bb.254:                              ;   in Loop: Header=BB191_158 Depth=1
	v_ffbh_u32_e32 v11, v5
	v_min_u32_e32 v11, 32, v11
	v_subrev_nc_u32_e32 v13, 28, v11
	v_sub_nc_u32_e32 v11, 29, v11
	v_lshlrev_b64 v[23:24], v13, v[5:6]
	v_and_b32_e32 v5, 7, v23
; %bb.255:                              ;   in Loop: Header=BB191_158 Depth=1
	s_or_b32 exec_lo, exec_lo, s17
	v_lshlrev_b32_sdwa v13, v39, v52 dst_sel:DWORD dst_unused:UNUSED_PAD src0_sel:DWORD src1_sel:BYTE_3
	v_lshlrev_b32_e32 v5, 20, v5
	v_lshl_add_u32 v11, v11, 23, 0x3c000000
	v_mov_b32_e32 v23, v6
	v_and_b32_e32 v13, 0x80000000, v13
	v_or3_b32 v24, v5, v13, v11
.LBB191_256:                            ;   in Loop: Header=BB191_158 Depth=1
	s_or_b32 exec_lo, exec_lo, s16
.LBB191_257:                            ;   in Loop: Header=BB191_158 Depth=1
	s_or_b32 exec_lo, exec_lo, s15
.LBB191_258:                            ;   in Loop: Header=BB191_158 Depth=1
	s_or_b32 exec_lo, exec_lo, s14
	v_or_b32_e32 v5, v20, v18
	v_or_b32_e32 v11, v19, v17
	;; [unrolled: 1-line block ×4, first 2 shown]
	v_mul_f32_e32 v52, s13, v5
	v_mul_f32_e32 v53, s2, v11
	;; [unrolled: 1-line block ×4, first 2 shown]
	s_and_saveexec_b32 s14, vcc_lo
	s_cbranch_execz .LBB191_260
; %bb.259:                              ;   in Loop: Header=BB191_158 Depth=1
	v_cmp_gt_i32_e64 s0, s11, v45
	v_cndmask_b32_e64 v53, 0, v53, s0
	v_cmp_gt_i32_e64 s0, s11, v47
	v_cndmask_b32_e64 v52, 0, v52, s0
	;; [unrolled: 2-line block ×4, first 2 shown]
.LBB191_260:                            ;   in Loop: Header=BB191_158 Depth=1
	s_or_b32 exec_lo, exec_lo, s14
	global_load_dword v54, v[15:16], off offset:384
	v_mov_b32_e32 v17, 0
	v_mov_b32_e32 v15, 0
	;; [unrolled: 1-line block ×4, first 2 shown]
	s_waitcnt vmcnt(0)
	v_cmp_ne_u16_sdwa s0, v54, v6 src0_sel:BYTE_0 src1_sel:DWORD
	s_and_saveexec_b32 s14, s0
	s_cbranch_execz .LBB191_268
; %bb.261:                              ;   in Loop: Header=BB191_158 Depth=1
	v_bfrev_b32_e32 v15, 1
	v_mov_b32_e32 v16, 0
	v_cmp_ne_u16_sdwa s0, v54, v35 src0_sel:BYTE_0 src1_sel:DWORD
	s_and_saveexec_b32 s15, s0
	s_cbranch_execz .LBB191_267
; %bb.262:                              ;   in Loop: Header=BB191_158 Depth=1
	v_mov_b32_e32 v15, 0x7f800001
	v_and_b32_e32 v13, 0x7f, v54
	v_mov_b32_e32 v16, 0
	s_mov_b32 s16, exec_lo
	v_cmpx_ne_u32_e32 0x7f, v13
	s_cbranch_execz .LBB191_266
; %bb.263:                              ;   in Loop: Header=BB191_158 Depth=1
	v_and_b32_e32 v5, 7, v54
	v_lshrrev_b32_e32 v11, 3, v13
	s_mov_b32 s17, exec_lo
	v_cmpx_gt_u32_e32 8, v13
; %bb.264:                              ;   in Loop: Header=BB191_158 Depth=1
	v_ffbh_u32_e32 v11, v5
	v_min_u32_e32 v11, 32, v11
	v_subrev_nc_u32_e32 v13, 28, v11
	v_sub_nc_u32_e32 v11, 29, v11
	v_lshlrev_b64 v[15:16], v13, v[5:6]
	v_and_b32_e32 v5, 7, v15
; %bb.265:                              ;   in Loop: Header=BB191_158 Depth=1
	s_or_b32 exec_lo, exec_lo, s17
	v_lshlrev_b32_e32 v13, 24, v54
	v_lshlrev_b32_e32 v5, 20, v5
	v_lshl_add_u32 v11, v11, 23, 0x3c000000
	v_and_b32_e32 v13, 0x80000000, v13
	v_or3_b32 v5, v5, v13, v11
	v_mov_b32_e32 v16, v6
	v_mov_b32_e32 v15, v5
.LBB191_266:                            ;   in Loop: Header=BB191_158 Depth=1
	s_or_b32 exec_lo, exec_lo, s16
.LBB191_267:                            ;   in Loop: Header=BB191_158 Depth=1
	s_or_b32 exec_lo, exec_lo, s15
.LBB191_268:                            ;   in Loop: Header=BB191_158 Depth=1
	s_or_b32 exec_lo, exec_lo, s14
	v_cmp_ne_u16_sdwa s0, v54, v6 src0_sel:BYTE_1 src1_sel:DWORD
	s_and_saveexec_b32 s14, s0
	s_cbranch_execz .LBB191_276
; %bb.269:                              ;   in Loop: Header=BB191_158 Depth=1
	v_mov_b32_e32 v11, v6
	v_mov_b32_e32 v18, v12
	v_cmp_ne_u16_sdwa s0, v54, v35 src0_sel:BYTE_1 src1_sel:DWORD
	v_mov_b32_e32 v17, v11
	s_and_saveexec_b32 s15, s0
	s_cbranch_execz .LBB191_275
; %bb.270:                              ;   in Loop: Header=BB191_158 Depth=1
	v_and_b32_sdwa v5, v36, v54 dst_sel:DWORD dst_unused:UNUSED_PAD src0_sel:DWORD src1_sel:BYTE_1
	v_mov_b32_e32 v13, v6
	v_mov_b32_e32 v18, v14
	s_mov_b32 s16, exec_lo
	v_and_b32_e32 v19, 0x7f, v5
	v_mov_b32_e32 v17, v13
	v_cmpx_ne_u32_e32 0x7f, v19
	s_cbranch_execz .LBB191_274
; %bb.271:                              ;   in Loop: Header=BB191_158 Depth=1
	v_and_b32_e32 v5, 7, v5
	v_lshrrev_b32_e32 v11, 3, v19
	s_mov_b32 s17, exec_lo
	v_cmpx_gt_u32_e32 8, v19
; %bb.272:                              ;   in Loop: Header=BB191_158 Depth=1
	v_ffbh_u32_e32 v11, v5
	v_min_u32_e32 v11, 32, v11
	v_subrev_nc_u32_e32 v13, 28, v11
	v_sub_nc_u32_e32 v11, 29, v11
	v_lshlrev_b64 v[17:18], v13, v[5:6]
	v_and_b32_e32 v5, 7, v17
; %bb.273:                              ;   in Loop: Header=BB191_158 Depth=1
	s_or_b32 exec_lo, exec_lo, s17
	v_lshlrev_b32_e32 v13, 16, v54
	v_lshlrev_b32_e32 v5, 20, v5
	v_lshl_add_u32 v11, v11, 23, 0x3c000000
	v_mov_b32_e32 v17, v6
	v_and_b32_e32 v13, 0x80000000, v13
	v_or3_b32 v18, v5, v13, v11
.LBB191_274:                            ;   in Loop: Header=BB191_158 Depth=1
	s_or_b32 exec_lo, exec_lo, s16
.LBB191_275:                            ;   in Loop: Header=BB191_158 Depth=1
	s_or_b32 exec_lo, exec_lo, s15
.LBB191_276:                            ;   in Loop: Header=BB191_158 Depth=1
	s_or_b32 exec_lo, exec_lo, s14
	v_mov_b32_e32 v21, 0
	v_mov_b32_e32 v19, 0
	v_and_b32_sdwa v5, v54, v37 dst_sel:DWORD dst_unused:UNUSED_PAD src0_sel:WORD_1 src1_sel:DWORD
	v_mov_b32_e32 v22, 0
	v_mov_b32_e32 v20, 0
	s_mov_b32 s14, exec_lo
	v_cmpx_ne_u16_e32 0, v5
	s_cbranch_execz .LBB191_284
; %bb.277:                              ;   in Loop: Header=BB191_158 Depth=1
	v_bfrev_b32_e32 v19, 1
	v_mov_b32_e32 v20, 0
	s_mov_b32 s15, exec_lo
	v_cmpx_ne_u16_e32 0x80, v5
	s_cbranch_execz .LBB191_283
; %bb.278:                              ;   in Loop: Header=BB191_158 Depth=1
	v_mov_b32_e32 v19, 0x7f800001
	v_bfe_u32 v13, v54, 16, 7
	v_mov_b32_e32 v20, 0
	s_mov_b32 s16, exec_lo
	v_cmpx_ne_u32_e32 0x7f, v13
	s_cbranch_execz .LBB191_282
; %bb.279:                              ;   in Loop: Header=BB191_158 Depth=1
	v_and_b32_sdwa v5, v54, v38 dst_sel:DWORD dst_unused:UNUSED_PAD src0_sel:WORD_1 src1_sel:DWORD
	v_lshrrev_b32_e32 v11, 3, v13
	s_mov_b32 s17, exec_lo
	v_cmpx_gt_u32_e32 8, v13
; %bb.280:                              ;   in Loop: Header=BB191_158 Depth=1
	v_ffbh_u32_e32 v11, v5
	v_min_u32_e32 v11, 32, v11
	v_subrev_nc_u32_e32 v13, 28, v11
	v_sub_nc_u32_e32 v11, 29, v11
	v_lshlrev_b64 v[19:20], v13, v[5:6]
	v_and_b32_e32 v5, 7, v19
; %bb.281:                              ;   in Loop: Header=BB191_158 Depth=1
	s_or_b32 exec_lo, exec_lo, s17
	v_lshlrev_b32_sdwa v13, v39, v54 dst_sel:DWORD dst_unused:UNUSED_PAD src0_sel:DWORD src1_sel:WORD_1
	v_lshlrev_b32_e32 v5, 20, v5
	v_lshl_add_u32 v11, v11, 23, 0x3c000000
	v_and_b32_e32 v13, 0x80000000, v13
	v_or3_b32 v5, v5, v13, v11
	v_mov_b32_e32 v20, v6
	v_mov_b32_e32 v19, v5
.LBB191_282:                            ;   in Loop: Header=BB191_158 Depth=1
	s_or_b32 exec_lo, exec_lo, s16
.LBB191_283:                            ;   in Loop: Header=BB191_158 Depth=1
	s_or_b32 exec_lo, exec_lo, s15
.LBB191_284:                            ;   in Loop: Header=BB191_158 Depth=1
	s_or_b32 exec_lo, exec_lo, s14
	s_mov_b32 s14, exec_lo
	v_cmpx_lt_u32_e32 0xffffff, v54
	s_cbranch_execz .LBB191_292
; %bb.285:                              ;   in Loop: Header=BB191_158 Depth=1
	v_mov_b32_e32 v11, v6
	v_mov_b32_e32 v22, v12
	v_cmp_ne_u32_sdwa s0, v54, v35 src0_sel:BYTE_3 src1_sel:DWORD
	v_mov_b32_e32 v21, v11
	s_and_saveexec_b32 s15, s0
	s_cbranch_execz .LBB191_291
; %bb.286:                              ;   in Loop: Header=BB191_158 Depth=1
	v_mov_b32_e32 v13, v6
	v_mov_b32_e32 v22, v14
	v_bfe_u32 v55, v54, 24, 7
	s_mov_b32 s16, exec_lo
	v_mov_b32_e32 v21, v13
	v_cmpx_ne_u32_e32 0x7f, v55
	s_cbranch_execz .LBB191_290
; %bb.287:                              ;   in Loop: Header=BB191_158 Depth=1
	v_and_b32_sdwa v5, v54, v38 dst_sel:DWORD dst_unused:UNUSED_PAD src0_sel:BYTE_3 src1_sel:DWORD
	v_lshrrev_b32_e32 v11, 3, v55
	s_mov_b32 s17, exec_lo
	v_cmpx_gt_u32_e32 8, v55
; %bb.288:                              ;   in Loop: Header=BB191_158 Depth=1
	v_ffbh_u32_e32 v11, v5
	v_min_u32_e32 v11, 32, v11
	v_subrev_nc_u32_e32 v13, 28, v11
	v_sub_nc_u32_e32 v11, 29, v11
	v_lshlrev_b64 v[21:22], v13, v[5:6]
	v_and_b32_e32 v5, 7, v21
; %bb.289:                              ;   in Loop: Header=BB191_158 Depth=1
	s_or_b32 exec_lo, exec_lo, s17
	v_lshlrev_b32_sdwa v13, v39, v54 dst_sel:DWORD dst_unused:UNUSED_PAD src0_sel:DWORD src1_sel:BYTE_3
	v_lshlrev_b32_e32 v5, 20, v5
	v_lshl_add_u32 v11, v11, 23, 0x3c000000
	v_mov_b32_e32 v21, v6
	v_and_b32_e32 v13, 0x80000000, v13
	v_or3_b32 v22, v5, v13, v11
.LBB191_290:                            ;   in Loop: Header=BB191_158 Depth=1
	s_or_b32 exec_lo, exec_lo, s16
.LBB191_291:                            ;   in Loop: Header=BB191_158 Depth=1
	s_or_b32 exec_lo, exec_lo, s15
.LBB191_292:                            ;   in Loop: Header=BB191_158 Depth=1
	s_or_b32 exec_lo, exec_lo, s14
	v_or_b32_e32 v5, v18, v16
	v_or_b32_e32 v11, v17, v15
	;; [unrolled: 1-line block ×4, first 2 shown]
	v_mul_f32_e32 v13, s13, v5
	v_mul_f32_e32 v15, s2, v11
	;; [unrolled: 1-line block ×4, first 2 shown]
	s_and_saveexec_b32 s0, vcc_lo
	s_cbranch_execz .LBB191_157
; %bb.293:                              ;   in Loop: Header=BB191_158 Depth=1
	v_cmp_gt_i32_e32 vcc_lo, s11, v45
	v_cndmask_b32_e32 v15, 0, v15, vcc_lo
	v_cmp_gt_i32_e32 vcc_lo, s11, v47
	v_cndmask_b32_e32 v13, 0, v13, vcc_lo
	;; [unrolled: 2-line block ×4, first 2 shown]
	s_branch .LBB191_157
.LBB191_294:
	s_or_b32 exec_lo, exec_lo, s5
.LBB191_295:
	s_or_b32 exec_lo, exec_lo, s1
	ds_bpermute_b32 v1, v26, v30
	ds_bpermute_b32 v2, v26, v32
	;; [unrolled: 1-line block ×4, first 2 shown]
	v_and_b32_e32 v6, 28, v25
	v_lshrrev_b32_e32 v5, 2, v25
	v_and_b32_e32 v11, 0x3c3, v0
	s_mov_b32 s0, exec_lo
	s_waitcnt lgkmcnt(0)
	v_add_nc_u32_e32 v6, 0xa0, v6
	s_barrier
	buffer_gl0_inv
	v_add_f32_e32 v1, v30, v1
	v_add_f32_e32 v2, v32, v2
	v_add_f32_e32 v3, v31, v3
	v_add_f32_e32 v4, v29, v4
	ds_bpermute_b32 v7, v27, v1
	ds_bpermute_b32 v8, v27, v2
	;; [unrolled: 1-line block ×4, first 2 shown]
	s_waitcnt lgkmcnt(3)
	v_add_f32_e32 v1, v1, v7
	s_waitcnt lgkmcnt(2)
	v_add_f32_e32 v2, v2, v8
	;; [unrolled: 2-line block ×4, first 2 shown]
	v_cmpx_eq_u32_e32 64, v11
	s_cbranch_execz .LBB191_297
; %bb.296:
	v_lshl_add_u32 v7, v59, 7, v6
	v_add_nc_u32_e32 v8, 0xffffff00, v7
	v_add_nc_u32_e32 v9, 0xffffff20, v7
	;; [unrolled: 1-line block ×4, first 2 shown]
	ds_write_b32 v8, v1
	ds_write_b32 v9, v2
	;; [unrolled: 1-line block ×4, first 2 shown]
.LBB191_297:
	s_or_b32 exec_lo, exec_lo, s0
	v_and_b32_e32 v7, 0x3e0, v0
	v_lshlrev_b32_e32 v5, 2, v5
	s_mov_b32 s1, exec_lo
	v_cmp_eq_u32_e32 vcc_lo, 0, v28
	s_waitcnt lgkmcnt(0)
	v_lshlrev_b32_e32 v7, 2, v7
	s_barrier
	buffer_gl0_inv
	v_add3_u32 v5, 0xa0, v7, v5
	v_cmpx_gt_u32_e32 64, v0
	s_cbranch_execz .LBB191_304
; %bb.298:
	s_and_saveexec_b32 s0, vcc_lo
	s_cbranch_execnz .LBB191_316
; %bb.299:
	s_or_b32 exec_lo, exec_lo, s0
	s_and_saveexec_b32 s0, vcc_lo
	s_cbranch_execnz .LBB191_317
.LBB191_300:
	s_or_b32 exec_lo, exec_lo, s0
	s_and_saveexec_b32 s0, vcc_lo
	s_cbranch_execnz .LBB191_318
.LBB191_301:
	s_or_b32 exec_lo, exec_lo, s0
	s_and_saveexec_b32 s0, vcc_lo
	s_cbranch_execz .LBB191_303
.LBB191_302:
	ds_read_b32 v7, v5 offset:96
	s_waitcnt lgkmcnt(0)
	v_add_f32_e32 v4, v4, v7
.LBB191_303:
	s_or_b32 exec_lo, exec_lo, s0
.LBB191_304:
	s_or_b32 exec_lo, exec_lo, s1
	v_and_b32_e32 v7, 0x3e3, v0
	s_mov_b32 s1, exec_lo
	s_barrier
	buffer_gl0_inv
	v_cmpx_eq_u32_e32 32, v7
	s_cbranch_execz .LBB191_306
; %bb.305:
	ds_write2_b32 v6, v1, v2 offset1:8
	ds_write2_b32 v6, v3, v4 offset0:16 offset1:24
.LBB191_306:
	s_or_b32 exec_lo, exec_lo, s1
	s_mov_b32 s1, exec_lo
	s_waitcnt lgkmcnt(0)
	s_barrier
	buffer_gl0_inv
	v_cmpx_gt_u32_e32 32, v0
	s_cbranch_execz .LBB191_313
; %bb.307:
	s_and_saveexec_b32 s0, vcc_lo
	s_cbranch_execnz .LBB191_319
; %bb.308:
	s_or_b32 exec_lo, exec_lo, s0
	s_and_saveexec_b32 s0, vcc_lo
	s_cbranch_execnz .LBB191_320
.LBB191_309:
	s_or_b32 exec_lo, exec_lo, s0
	s_and_saveexec_b32 s0, vcc_lo
	s_cbranch_execnz .LBB191_321
.LBB191_310:
	s_or_b32 exec_lo, exec_lo, s0
	s_and_saveexec_b32 s0, vcc_lo
	s_cbranch_execz .LBB191_312
.LBB191_311:
	ds_read_b32 v5, v5 offset:96
	s_waitcnt lgkmcnt(0)
	v_add_f32_e32 v4, v4, v5
.LBB191_312:
	s_or_b32 exec_lo, exec_lo, s0
.LBB191_313:
	s_or_b32 exec_lo, exec_lo, s1
	s_barrier
	buffer_gl0_inv
	s_mov_b32 s0, exec_lo
	v_cmpx_eq_u32_e32 0, v7
	s_cbranch_execz .LBB191_315
; %bb.314:
	s_mul_i32 s0, s10, s7
	s_mul_i32 s2, s7, s6
	;; [unrolled: 1-line block ×3, first 2 shown]
	s_lshl_b32 s0, s0, 5
	s_ashr_i32 s1, s0, 31
	s_lshl_b64 s[0:1], s[0:1], 2
	s_add_u32 s4, s20, s0
	s_addc_u32 s5, s21, s1
	s_ashr_i32 s3, s2, 31
	s_lshl_b64 s[0:1], s[2:3], 2
	s_add_u32 s2, s4, s0
	s_addc_u32 s3, s5, s1
	s_lshl_b32 s0, s8, 5
	s_ashr_i32 s1, s0, 31
	s_lshl_b64 s[0:1], s[0:1], 2
	s_add_u32 s0, s2, s0
	s_addc_u32 s1, s3, s1
	global_store_dword v0, v1, s[0:1]
	global_store_dword v0, v2, s[0:1] offset:32
	global_store_dword v0, v3, s[0:1] offset:64
	;; [unrolled: 1-line block ×3, first 2 shown]
.LBB191_315:
	s_endpgm
.LBB191_316:
	ds_read_b32 v7, v5
	s_waitcnt lgkmcnt(0)
	v_add_f32_e32 v1, v1, v7
	s_or_b32 exec_lo, exec_lo, s0
	s_and_saveexec_b32 s0, vcc_lo
	s_cbranch_execz .LBB191_300
.LBB191_317:
	ds_read_b32 v7, v5 offset:32
	s_waitcnt lgkmcnt(0)
	v_add_f32_e32 v2, v2, v7
	s_or_b32 exec_lo, exec_lo, s0
	s_and_saveexec_b32 s0, vcc_lo
	s_cbranch_execz .LBB191_301
.LBB191_318:
	ds_read_b32 v7, v5 offset:64
	s_waitcnt lgkmcnt(0)
	v_add_f32_e32 v3, v3, v7
	s_or_b32 exec_lo, exec_lo, s0
	s_and_saveexec_b32 s0, vcc_lo
	s_cbranch_execnz .LBB191_302
	s_branch .LBB191_303
.LBB191_319:
	ds_read_b32 v6, v5
	s_waitcnt lgkmcnt(0)
	v_add_f32_e32 v1, v1, v6
	s_or_b32 exec_lo, exec_lo, s0
	s_and_saveexec_b32 s0, vcc_lo
	s_cbranch_execz .LBB191_309
.LBB191_320:
	ds_read_b32 v6, v5 offset:32
	s_waitcnt lgkmcnt(0)
	v_add_f32_e32 v2, v2, v6
	s_or_b32 exec_lo, exec_lo, s0
	s_and_saveexec_b32 s0, vcc_lo
	s_cbranch_execz .LBB191_310
.LBB191_321:
	ds_read_b32 v6, v5 offset:64
	s_waitcnt lgkmcnt(0)
	v_add_f32_e32 v3, v3, v6
	s_or_b32 exec_lo, exec_lo, s0
	s_and_saveexec_b32 s0, vcc_lo
	s_cbranch_execnz .LBB191_311
	s_branch .LBB191_312
	.section	.rodata,"a",@progbits
	.p2align	6, 0x0
	.amdhsa_kernel _ZN4vllm25paged_attention_v1_kernelIfhLi32ELi16ELi128ELNS_18Fp8KVCacheDataTypeE1ELb0EEEvPT_PKS2_PKT0_S8_ifPKiSA_iPKfiiiSC_SC_iiiii
		.amdhsa_group_segment_fixed_size 160
		.amdhsa_private_segment_fixed_size 0
		.amdhsa_kernarg_size 384
		.amdhsa_user_sgpr_count 6
		.amdhsa_user_sgpr_private_segment_buffer 1
		.amdhsa_user_sgpr_dispatch_ptr 0
		.amdhsa_user_sgpr_queue_ptr 0
		.amdhsa_user_sgpr_kernarg_segment_ptr 1
		.amdhsa_user_sgpr_dispatch_id 0
		.amdhsa_user_sgpr_flat_scratch_init 0
		.amdhsa_user_sgpr_private_segment_size 0
		.amdhsa_wavefront_size32 1
		.amdhsa_uses_dynamic_stack 0
		.amdhsa_system_sgpr_private_segment_wavefront_offset 0
		.amdhsa_system_sgpr_workgroup_id_x 1
		.amdhsa_system_sgpr_workgroup_id_y 1
		.amdhsa_system_sgpr_workgroup_id_z 1
		.amdhsa_system_sgpr_workgroup_info 0
		.amdhsa_system_vgpr_workitem_id 0
		.amdhsa_next_free_vgpr 73
		.amdhsa_next_free_sgpr 35
		.amdhsa_reserve_vcc 1
		.amdhsa_reserve_flat_scratch 0
		.amdhsa_float_round_mode_32 0
		.amdhsa_float_round_mode_16_64 0
		.amdhsa_float_denorm_mode_32 3
		.amdhsa_float_denorm_mode_16_64 3
		.amdhsa_dx10_clamp 1
		.amdhsa_ieee_mode 1
		.amdhsa_fp16_overflow 0
		.amdhsa_workgroup_processor_mode 1
		.amdhsa_memory_ordered 1
		.amdhsa_forward_progress 1
		.amdhsa_shared_vgpr_count 0
		.amdhsa_exception_fp_ieee_invalid_op 0
		.amdhsa_exception_fp_denorm_src 0
		.amdhsa_exception_fp_ieee_div_zero 0
		.amdhsa_exception_fp_ieee_overflow 0
		.amdhsa_exception_fp_ieee_underflow 0
		.amdhsa_exception_fp_ieee_inexact 0
		.amdhsa_exception_int_div_zero 0
	.end_amdhsa_kernel
	.section	.text._ZN4vllm25paged_attention_v1_kernelIfhLi32ELi16ELi128ELNS_18Fp8KVCacheDataTypeE1ELb0EEEvPT_PKS2_PKT0_S8_ifPKiSA_iPKfiiiSC_SC_iiiii,"axG",@progbits,_ZN4vllm25paged_attention_v1_kernelIfhLi32ELi16ELi128ELNS_18Fp8KVCacheDataTypeE1ELb0EEEvPT_PKS2_PKT0_S8_ifPKiSA_iPKfiiiSC_SC_iiiii,comdat
.Lfunc_end191:
	.size	_ZN4vllm25paged_attention_v1_kernelIfhLi32ELi16ELi128ELNS_18Fp8KVCacheDataTypeE1ELb0EEEvPT_PKS2_PKT0_S8_ifPKiSA_iPKfiiiSC_SC_iiiii, .Lfunc_end191-_ZN4vllm25paged_attention_v1_kernelIfhLi32ELi16ELi128ELNS_18Fp8KVCacheDataTypeE1ELb0EEEvPT_PKS2_PKT0_S8_ifPKiSA_iPKfiiiSC_SC_iiiii
                                        ; -- End function
	.set _ZN4vllm25paged_attention_v1_kernelIfhLi32ELi16ELi128ELNS_18Fp8KVCacheDataTypeE1ELb0EEEvPT_PKS2_PKT0_S8_ifPKiSA_iPKfiiiSC_SC_iiiii.num_vgpr, 73
	.set _ZN4vllm25paged_attention_v1_kernelIfhLi32ELi16ELi128ELNS_18Fp8KVCacheDataTypeE1ELb0EEEvPT_PKS2_PKT0_S8_ifPKiSA_iPKfiiiSC_SC_iiiii.num_agpr, 0
	.set _ZN4vllm25paged_attention_v1_kernelIfhLi32ELi16ELi128ELNS_18Fp8KVCacheDataTypeE1ELb0EEEvPT_PKS2_PKT0_S8_ifPKiSA_iPKfiiiSC_SC_iiiii.numbered_sgpr, 35
	.set _ZN4vllm25paged_attention_v1_kernelIfhLi32ELi16ELi128ELNS_18Fp8KVCacheDataTypeE1ELb0EEEvPT_PKS2_PKT0_S8_ifPKiSA_iPKfiiiSC_SC_iiiii.num_named_barrier, 0
	.set _ZN4vllm25paged_attention_v1_kernelIfhLi32ELi16ELi128ELNS_18Fp8KVCacheDataTypeE1ELb0EEEvPT_PKS2_PKT0_S8_ifPKiSA_iPKfiiiSC_SC_iiiii.private_seg_size, 0
	.set _ZN4vllm25paged_attention_v1_kernelIfhLi32ELi16ELi128ELNS_18Fp8KVCacheDataTypeE1ELb0EEEvPT_PKS2_PKT0_S8_ifPKiSA_iPKfiiiSC_SC_iiiii.uses_vcc, 1
	.set _ZN4vllm25paged_attention_v1_kernelIfhLi32ELi16ELi128ELNS_18Fp8KVCacheDataTypeE1ELb0EEEvPT_PKS2_PKT0_S8_ifPKiSA_iPKfiiiSC_SC_iiiii.uses_flat_scratch, 0
	.set _ZN4vllm25paged_attention_v1_kernelIfhLi32ELi16ELi128ELNS_18Fp8KVCacheDataTypeE1ELb0EEEvPT_PKS2_PKT0_S8_ifPKiSA_iPKfiiiSC_SC_iiiii.has_dyn_sized_stack, 0
	.set _ZN4vllm25paged_attention_v1_kernelIfhLi32ELi16ELi128ELNS_18Fp8KVCacheDataTypeE1ELb0EEEvPT_PKS2_PKT0_S8_ifPKiSA_iPKfiiiSC_SC_iiiii.has_recursion, 0
	.set _ZN4vllm25paged_attention_v1_kernelIfhLi32ELi16ELi128ELNS_18Fp8KVCacheDataTypeE1ELb0EEEvPT_PKS2_PKT0_S8_ifPKiSA_iPKfiiiSC_SC_iiiii.has_indirect_call, 0
	.section	.AMDGPU.csdata,"",@progbits
; Kernel info:
; codeLenInByte = 10248
; TotalNumSgprs: 37
; NumVgprs: 73
; ScratchSize: 0
; MemoryBound: 0
; FloatMode: 240
; IeeeMode: 1
; LDSByteSize: 160 bytes/workgroup (compile time only)
; SGPRBlocks: 0
; VGPRBlocks: 9
; NumSGPRsForWavesPerEU: 37
; NumVGPRsForWavesPerEU: 73
; Occupancy: 12
; WaveLimiterHint : 1
; COMPUTE_PGM_RSRC2:SCRATCH_EN: 0
; COMPUTE_PGM_RSRC2:USER_SGPR: 6
; COMPUTE_PGM_RSRC2:TRAP_HANDLER: 0
; COMPUTE_PGM_RSRC2:TGID_X_EN: 1
; COMPUTE_PGM_RSRC2:TGID_Y_EN: 1
; COMPUTE_PGM_RSRC2:TGID_Z_EN: 1
; COMPUTE_PGM_RSRC2:TIDIG_COMP_CNT: 0
	.section	.text._ZN4vllm25paged_attention_v1_kernelIfhLi64ELi16ELi128ELNS_18Fp8KVCacheDataTypeE1ELb0EEEvPT_PKS2_PKT0_S8_ifPKiSA_iPKfiiiSC_SC_iiiii,"axG",@progbits,_ZN4vllm25paged_attention_v1_kernelIfhLi64ELi16ELi128ELNS_18Fp8KVCacheDataTypeE1ELb0EEEvPT_PKS2_PKT0_S8_ifPKiSA_iPKfiiiSC_SC_iiiii,comdat
	.protected	_ZN4vllm25paged_attention_v1_kernelIfhLi64ELi16ELi128ELNS_18Fp8KVCacheDataTypeE1ELb0EEEvPT_PKS2_PKT0_S8_ifPKiSA_iPKfiiiSC_SC_iiiii ; -- Begin function _ZN4vllm25paged_attention_v1_kernelIfhLi64ELi16ELi128ELNS_18Fp8KVCacheDataTypeE1ELb0EEEvPT_PKS2_PKT0_S8_ifPKiSA_iPKfiiiSC_SC_iiiii
	.globl	_ZN4vllm25paged_attention_v1_kernelIfhLi64ELi16ELi128ELNS_18Fp8KVCacheDataTypeE1ELb0EEEvPT_PKS2_PKT0_S8_ifPKiSA_iPKfiiiSC_SC_iiiii
	.p2align	8
	.type	_ZN4vllm25paged_attention_v1_kernelIfhLi64ELi16ELi128ELNS_18Fp8KVCacheDataTypeE1ELb0EEEvPT_PKS2_PKT0_S8_ifPKiSA_iPKfiiiSC_SC_iiiii,@function
_ZN4vllm25paged_attention_v1_kernelIfhLi64ELi16ELi128ELNS_18Fp8KVCacheDataTypeE1ELb0EEEvPT_PKS2_PKT0_S8_ifPKiSA_iPKfiiiSC_SC_iiiii: ; @_ZN4vllm25paged_attention_v1_kernelIfhLi64ELi16ELi128ELNS_18Fp8KVCacheDataTypeE1ELb0EEEvPT_PKS2_PKT0_S8_ifPKiSA_iPKfiiiSC_SC_iiiii
; %bb.0:
	s_clause 0x2
	s_load_dword s9, s[4:5], 0x80
	s_load_dwordx2 s[0:1], s[4:5], 0x30
	s_load_dwordx2 s[28:29], s[4:5], 0x20
	s_mov_b32 s10, s7
	s_ashr_i32 s11, s7, 31
	s_lshl_b64 s[2:3], s[10:11], 2
	s_waitcnt lgkmcnt(0)
	s_add_u32 s0, s0, s2
	s_addc_u32 s1, s1, s3
	s_abs_i32 s2, s28
	s_abs_i32 s11, s9
	v_cvt_f32_u32_e32 v1, s2
	s_sub_i32 s7, 0, s2
	v_rcp_iflag_f32_e32 v1, v1
	v_mul_f32_e32 v1, 0x4f7ffffe, v1
	v_cvt_u32_f32_e32 v1, v1
	v_readfirstlane_b32 s3, v1
	s_mul_i32 s7, s7, s3
	s_mul_hi_u32 s7, s3, s7
	s_add_i32 s3, s3, s7
	s_xor_b32 s7, s9, s28
	s_mul_hi_u32 s3, s11, s3
	s_ashr_i32 s7, s7, 31
	s_mul_i32 s12, s3, s2
	s_mov_b32 s28, 0
	s_sub_i32 s11, s11, s12
	s_add_i32 s12, s3, 1
	s_sub_i32 s13, s11, s2
	s_cmp_ge_u32 s11, s2
	s_cselect_b32 s3, s12, s3
	s_cselect_b32 s11, s13, s11
	s_add_i32 s12, s3, 1
	s_cmp_ge_u32 s11, s2
	s_cselect_b32 s2, s12, s3
	s_abs_i32 s17, s6
	s_xor_b32 s2, s2, s7
	s_sub_i32 s19, s2, s7
	s_load_dwordx2 s[2:3], s[4:5], 0x40
	s_abs_i32 s16, s19
	v_cvt_f32_u32_e32 v1, s16
	s_sub_i32 s11, 0, s16
	v_rcp_iflag_f32_e32 v1, v1
	v_mul_f32_e32 v1, 0x4f7ffffe, v1
	v_cvt_u32_f32_e32 v1, v1
	v_readfirstlane_b32 s7, v1
	s_mul_i32 s11, s11, s7
	s_mul_hi_u32 s11, s7, s11
	s_add_i32 s7, s7, s11
	s_waitcnt lgkmcnt(0)
	s_cmp_eq_u64 s[2:3], 0
	s_mul_hi_u32 s18, s17, s7
	s_cbranch_scc1 .LBB192_2
; %bb.1:
	s_ashr_i32 s7, s6, 31
	s_lshl_b64 s[12:13], s[6:7], 2
	s_add_u32 s2, s2, s12
	s_addc_u32 s3, s3, s13
	s_load_dword s28, s[2:3], 0x0
.LBB192_2:
	s_load_dword s11, s[0:1], 0x0
	s_load_dwordx4 s[12:15], s[4:5], 0x48
	v_and_b32_e32 v33, 1, v0
	v_cmp_gt_u32_e64 s0, 32, v0
	v_lshlrev_b32_e32 v108, 2, v0
	s_ashr_i32 s1, s6, 31
	s_ashr_i32 s2, s19, 31
	s_lshl_b32 s6, s6, 6
	s_and_saveexec_b32 s3, s0
	s_cbranch_execz .LBB192_4
; %bb.3:
	s_load_dwordx2 s[20:21], s[4:5], 0x8
	s_waitcnt lgkmcnt(0)
	s_mul_i32 s22, s12, s10
	v_lshlrev_b32_e32 v1, 3, v0
	s_ashr_i32 s23, s22, 31
	v_and_b32_e32 v3, 0xff8, v108
	s_lshl_b64 s[22:23], s[22:23], 2
	v_lshl_add_u32 v3, v33, 7, v3
	s_add_u32 s12, s20, s22
	s_addc_u32 s15, s21, s23
	s_ashr_i32 s7, s6, 31
	s_lshl_b64 s[20:21], s[6:7], 2
	s_add_u32 s20, s12, s20
	s_addc_u32 s21, s15, s21
	global_load_dwordx2 v[1:2], v1, s[20:21]
	s_waitcnt vmcnt(0)
	ds_write_b64 v3, v[1:2]
.LBB192_4:
	s_or_b32 exec_lo, exec_lo, s3
	s_waitcnt lgkmcnt(0)
	s_add_i32 s3, s11, 15
	s_clause 0x1
	s_load_dwordx2 s[22:23], s[4:5], 0x28
	s_load_dword s15, s[4:5], 0x38
	s_ashr_i32 s7, s3, 31
	s_xor_b32 s1, s1, s2
	s_lshr_b32 s7, s7, 28
	s_mul_i32 s2, s18, s16
	s_add_i32 s3, s3, s7
	s_sub_i32 s2, s17, s2
	s_ashr_i32 s12, s3, 4
	s_add_i32 s3, s18, 1
	s_sub_i32 s7, s2, s16
	s_cmp_ge_u32 s2, s16
	v_lshrrev_b32_e32 v107, 5, v0
	s_cselect_b32 s3, s3, s18
	s_cselect_b32 s2, s7, s2
	s_add_i32 s7, s3, 1
	s_cmp_ge_u32 s2, s16
	v_mbcnt_lo_u32_b32 v110, -1, 0
	s_cselect_b32 s2, s7, s3
	s_mov_b32 s3, exec_lo
	s_xor_b32 s2, s2, s1
	s_waitcnt lgkmcnt(0)
	s_mul_i32 s24, s15, s10
	s_sub_i32 s2, s2, s1
	v_cmp_gt_i32_e64 s1, s12, v107
	s_ashr_i32 s25, s24, 31
	s_barrier
	buffer_gl0_inv
                                        ; implicit-def: $vgpr34
                                        ; implicit-def: $vgpr111
	v_cmpx_le_i32_e64 s12, v107
	s_xor_b32 s3, exec_lo, s3
; %bb.5:
	v_mov_b32_e32 v34, 0
	v_mbcnt_lo_u32_b32 v110, -1, 0
	v_mov_b32_e32 v111, 32
                                        ; implicit-def: $vgpr33
; %bb.6:
	s_or_saveexec_b32 s15, s3
	s_clause 0x3
	s_load_dwordx2 s[20:21], s[4:5], 0x0
	s_load_dwordx2 s[26:27], s[4:5], 0x18
	s_load_dword s7, s[4:5], 0x88
	s_load_dwordx4 s[16:19], s[4:5], 0x58
	v_mov_b32_e32 v112, 0xff7fffff
	v_lshrrev_b32_e32 v109, 3, v0
	s_mul_i32 s14, s2, s14
	s_xor_b32 exec_lo, exec_lo, s15
	s_cbranch_execz .LBB192_268
; %bb.7:
	s_load_dwordx2 s[2:3], s[4:5], 0x10
	v_lshlrev_b32_e32 v29, 7, v33
	v_bfe_u32 v37, v0, 1, 4
	v_xor_b32_e32 v36, 1, v110
	s_ashr_i32 s4, s14, 31
	ds_read_b128 v[1:4], v29
	ds_read_b128 v[5:8], v29 offset:16
	ds_read_b128 v[9:12], v29 offset:32
	;; [unrolled: 1-line block ×7, first 2 shown]
	s_waitcnt lgkmcnt(0)
	s_load_dword s5, s[16:17], 0x0
	v_lshlrev_b32_e32 v38, 4, v37
	v_cmp_gt_i32_e32 vcc_lo, 32, v36
	v_lshlrev_b32_e32 v35, 1, v33
	v_lshl_or_b32 v114, v107, 4, v37
	v_mov_b32_e32 v34, 0
	v_mov_b32_e32 v111, 32
	v_cndmask_b32_e32 v36, v110, v36, vcc_lo
	v_cmp_eq_u32_e32 vcc_lo, 0, v33
	v_lshlrev_b32_e32 v33, 2, v37
	v_and_b32_e32 v37, 0x7c, v109
	v_mov_b32_e32 v112, 0xff7fffff
	v_lshlrev_b32_e32 v113, 2, v36
	s_add_u32 s2, s2, s14
	s_addc_u32 s3, s3, s4
	v_add_co_u32 v38, s2, s2, v38
	v_add_co_ci_u32_e64 v39, null, s3, 0, s2
	s_lshl_b64 s[30:31], s[24:25], 2
	v_add_co_u32 v35, s3, v38, v35
	v_lshl_or_b32 v33, v107, 6, v33
	s_sub_i32 s16, 1, s11
	v_add_co_ci_u32_e64 v36, null, 0, v39, s3
	s_add_u32 s3, s22, s30
	s_addc_u32 s4, s23, s31
	v_add_co_u32 v37, s3, s3, v37
	v_cmp_neq_f32_e64 s2, s28, 0
	v_add_nc_u32_e32 v115, 0x120, v33
	v_add_co_ci_u32_e64 v38, null, s4, 0, s3
	v_mov_b32_e32 v116, 0x80
	v_bfrev_b32_e32 v40, 1
	v_mov_b32_e32 v117, 0xffff
	v_mov_b32_e32 v42, 0x7f800001
	;; [unrolled: 1-line block ×3, first 2 shown]
	s_mov_b32 s30, s13
	s_mov_b32 s17, 0
	s_waitcnt lgkmcnt(0)
	s_mov_b32 s31, s5
	s_branch .LBB192_9
.LBB192_8:                              ;   in Loop: Header=BB192_9 Depth=1
	s_or_b32 exec_lo, exec_lo, s4
	v_add_nc_u32_e32 v118, 4, v118
	v_add_co_u32 v37, s4, v37, 16
	v_add_nc_u32_e32 v114, 64, v114
	v_add_nc_u32_e32 v115, 0x100, v115
	v_cmp_le_i32_e64 s3, s12, v118
	v_add_co_ci_u32_e64 v38, null, 0, v38, s4
	s_or_b32 s17, s3, s17
	s_andn2_b32 exec_lo, exec_lo, s17
	s_cbranch_execz .LBB192_267
.LBB192_9:                              ; =>This Inner Loop Header: Depth=1
	global_load_dword v33, v[37:38], off
	v_mov_b32_e32 v45, 0
	v_mov_b32_e32 v43, 0
	;; [unrolled: 1-line block ×4, first 2 shown]
	s_waitcnt vmcnt(0)
	v_mad_i64_i32 v[51:52], null, v33, s30, v[35:36]
	global_load_ushort v33, v[51:52], off
	s_waitcnt vmcnt(0)
	v_and_b32_e32 v47, 0xffff, v33
	v_cmp_ne_u16_sdwa s3, v33, v34 src0_sel:BYTE_0 src1_sel:DWORD
	s_and_saveexec_b32 s4, s3
	s_cbranch_execz .LBB192_17
; %bb.10:                               ;   in Loop: Header=BB192_9 Depth=1
	v_bfrev_b32_e32 v43, 1
	v_mov_b32_e32 v44, 0
	v_cmp_ne_u16_sdwa s3, v47, v116 src0_sel:BYTE_0 src1_sel:DWORD
	s_and_saveexec_b32 s33, s3
	s_cbranch_execz .LBB192_16
; %bb.11:                               ;   in Loop: Header=BB192_9 Depth=1
	v_mov_b32_e32 v43, 0x7f800001
	v_and_b32_e32 v41, 0x7f, v47
	v_mov_b32_e32 v44, 0
	s_mov_b32 s34, exec_lo
	v_cmpx_ne_u32_e32 0x7f, v41
	s_cbranch_execz .LBB192_15
; %bb.12:                               ;   in Loop: Header=BB192_9 Depth=1
	v_and_b32_e32 v33, 7, v47
	s_waitcnt lgkmcnt(0)
	v_lshrrev_b32_e32 v39, 3, v41
	s_mov_b32 s35, exec_lo
	v_cmpx_gt_u32_e32 8, v41
; %bb.13:                               ;   in Loop: Header=BB192_9 Depth=1
	v_ffbh_u32_e32 v39, v33
	v_min_u32_e32 v39, 32, v39
	v_subrev_nc_u32_e32 v41, 28, v39
	v_sub_nc_u32_e32 v39, 29, v39
	v_lshlrev_b64 v[43:44], v41, v[33:34]
	v_and_b32_e32 v33, 7, v43
; %bb.14:                               ;   in Loop: Header=BB192_9 Depth=1
	s_or_b32 exec_lo, exec_lo, s35
	v_lshlrev_b32_e32 v41, 24, v47
	v_lshlrev_b32_e32 v33, 20, v33
	v_lshl_add_u32 v39, v39, 23, 0x3c000000
	v_and_b32_e32 v41, 0x80000000, v41
	v_or3_b32 v33, v33, v41, v39
	v_mov_b32_e32 v44, v34
	v_mov_b32_e32 v43, v33
.LBB192_15:                             ;   in Loop: Header=BB192_9 Depth=1
	s_or_b32 exec_lo, exec_lo, s34
.LBB192_16:                             ;   in Loop: Header=BB192_9 Depth=1
	s_or_b32 exec_lo, exec_lo, s33
.LBB192_17:                             ;   in Loop: Header=BB192_9 Depth=1
	s_or_b32 exec_lo, exec_lo, s4
	v_cmp_ne_u16_sdwa s3, v47, v34 src0_sel:BYTE_1 src1_sel:DWORD
	s_and_saveexec_b32 s4, s3
	s_cbranch_execz .LBB192_25
; %bb.18:                               ;   in Loop: Header=BB192_9 Depth=1
	s_waitcnt lgkmcnt(0)
	v_mov_b32_e32 v39, v34
	v_mov_b32_e32 v46, v40
	v_cmp_ne_u16_sdwa s3, v47, v116 src0_sel:BYTE_1 src1_sel:DWORD
	v_mov_b32_e32 v45, v39
	s_and_saveexec_b32 s33, s3
	s_cbranch_execz .LBB192_24
; %bb.19:                               ;   in Loop: Header=BB192_9 Depth=1
	v_and_b32_sdwa v33, v117, v47 dst_sel:DWORD dst_unused:UNUSED_PAD src0_sel:DWORD src1_sel:BYTE_1
	v_mov_b32_e32 v41, v34
	v_mov_b32_e32 v46, v42
	s_mov_b32 s34, exec_lo
	v_and_b32_e32 v48, 0x7f, v33
	v_mov_b32_e32 v45, v41
	v_cmpx_ne_u32_e32 0x7f, v48
	s_cbranch_execz .LBB192_23
; %bb.20:                               ;   in Loop: Header=BB192_9 Depth=1
	v_and_b32_e32 v33, 7, v33
	v_lshrrev_b32_e32 v39, 3, v48
	s_mov_b32 s35, exec_lo
	v_cmpx_gt_u32_e32 8, v48
; %bb.21:                               ;   in Loop: Header=BB192_9 Depth=1
	v_ffbh_u32_e32 v39, v33
	v_min_u32_e32 v39, 32, v39
	v_subrev_nc_u32_e32 v41, 28, v39
	v_sub_nc_u32_e32 v39, 29, v39
	v_lshlrev_b64 v[45:46], v41, v[33:34]
	v_and_b32_e32 v33, 7, v45
; %bb.22:                               ;   in Loop: Header=BB192_9 Depth=1
	s_or_b32 exec_lo, exec_lo, s35
	v_lshlrev_b32_e32 v41, 16, v47
	v_lshlrev_b32_e32 v33, 20, v33
	v_lshl_add_u32 v39, v39, 23, 0x3c000000
	v_mov_b32_e32 v45, v34
	v_and_b32_e32 v41, 0x80000000, v41
	v_or3_b32 v46, v33, v41, v39
.LBB192_23:                             ;   in Loop: Header=BB192_9 Depth=1
	s_or_b32 exec_lo, exec_lo, s34
.LBB192_24:                             ;   in Loop: Header=BB192_9 Depth=1
	s_or_b32 exec_lo, exec_lo, s33
.LBB192_25:                             ;   in Loop: Header=BB192_9 Depth=1
	s_or_b32 exec_lo, exec_lo, s4
	global_load_ushort v33, v[51:52], off offset:4
	v_mov_b32_e32 v49, 0
	v_mov_b32_e32 v47, 0
	;; [unrolled: 1-line block ×4, first 2 shown]
	s_waitcnt vmcnt(0)
	v_and_b32_e32 v53, 0xffff, v33
	v_cmp_ne_u16_sdwa s3, v33, v34 src0_sel:BYTE_0 src1_sel:DWORD
	s_and_saveexec_b32 s4, s3
	s_cbranch_execz .LBB192_33
; %bb.26:                               ;   in Loop: Header=BB192_9 Depth=1
	v_bfrev_b32_e32 v47, 1
	v_mov_b32_e32 v48, 0
	v_cmp_ne_u16_sdwa s3, v53, v116 src0_sel:BYTE_0 src1_sel:DWORD
	s_and_saveexec_b32 s33, s3
	s_cbranch_execz .LBB192_32
; %bb.27:                               ;   in Loop: Header=BB192_9 Depth=1
	v_mov_b32_e32 v47, 0x7f800001
	v_and_b32_e32 v41, 0x7f, v53
	v_mov_b32_e32 v48, 0
	s_mov_b32 s34, exec_lo
	v_cmpx_ne_u32_e32 0x7f, v41
	s_cbranch_execz .LBB192_31
; %bb.28:                               ;   in Loop: Header=BB192_9 Depth=1
	v_and_b32_e32 v33, 7, v53
	s_waitcnt lgkmcnt(0)
	v_lshrrev_b32_e32 v39, 3, v41
	s_mov_b32 s35, exec_lo
	v_cmpx_gt_u32_e32 8, v41
; %bb.29:                               ;   in Loop: Header=BB192_9 Depth=1
	v_ffbh_u32_e32 v39, v33
	v_min_u32_e32 v39, 32, v39
	v_subrev_nc_u32_e32 v41, 28, v39
	v_sub_nc_u32_e32 v39, 29, v39
	v_lshlrev_b64 v[47:48], v41, v[33:34]
	v_and_b32_e32 v33, 7, v47
; %bb.30:                               ;   in Loop: Header=BB192_9 Depth=1
	s_or_b32 exec_lo, exec_lo, s35
	v_lshlrev_b32_e32 v41, 24, v53
	v_lshlrev_b32_e32 v33, 20, v33
	v_lshl_add_u32 v39, v39, 23, 0x3c000000
	v_and_b32_e32 v41, 0x80000000, v41
	v_or3_b32 v33, v33, v41, v39
	v_mov_b32_e32 v48, v34
	v_mov_b32_e32 v47, v33
.LBB192_31:                             ;   in Loop: Header=BB192_9 Depth=1
	s_or_b32 exec_lo, exec_lo, s34
.LBB192_32:                             ;   in Loop: Header=BB192_9 Depth=1
	s_or_b32 exec_lo, exec_lo, s33
.LBB192_33:                             ;   in Loop: Header=BB192_9 Depth=1
	s_or_b32 exec_lo, exec_lo, s4
	v_cmp_ne_u16_sdwa s3, v53, v34 src0_sel:BYTE_1 src1_sel:DWORD
	s_and_saveexec_b32 s4, s3
	s_cbranch_execz .LBB192_41
; %bb.34:                               ;   in Loop: Header=BB192_9 Depth=1
	s_waitcnt lgkmcnt(0)
	v_mov_b32_e32 v39, v34
	v_mov_b32_e32 v50, v40
	v_cmp_ne_u16_sdwa s3, v53, v116 src0_sel:BYTE_1 src1_sel:DWORD
	v_mov_b32_e32 v49, v39
	s_and_saveexec_b32 s33, s3
	s_cbranch_execz .LBB192_40
; %bb.35:                               ;   in Loop: Header=BB192_9 Depth=1
	v_and_b32_sdwa v33, v117, v53 dst_sel:DWORD dst_unused:UNUSED_PAD src0_sel:DWORD src1_sel:BYTE_1
	v_mov_b32_e32 v41, v34
	v_mov_b32_e32 v50, v42
	s_mov_b32 s34, exec_lo
	v_and_b32_e32 v54, 0x7f, v33
	v_mov_b32_e32 v49, v41
	v_cmpx_ne_u32_e32 0x7f, v54
	s_cbranch_execz .LBB192_39
; %bb.36:                               ;   in Loop: Header=BB192_9 Depth=1
	v_and_b32_e32 v33, 7, v33
	v_lshrrev_b32_e32 v39, 3, v54
	s_mov_b32 s35, exec_lo
	v_cmpx_gt_u32_e32 8, v54
; %bb.37:                               ;   in Loop: Header=BB192_9 Depth=1
	v_ffbh_u32_e32 v39, v33
	v_min_u32_e32 v39, 32, v39
	v_subrev_nc_u32_e32 v41, 28, v39
	v_sub_nc_u32_e32 v39, 29, v39
	v_lshlrev_b64 v[49:50], v41, v[33:34]
	v_and_b32_e32 v33, 7, v49
; %bb.38:                               ;   in Loop: Header=BB192_9 Depth=1
	s_or_b32 exec_lo, exec_lo, s35
	v_lshlrev_b32_e32 v41, 16, v53
	v_lshlrev_b32_e32 v33, 20, v33
	v_lshl_add_u32 v39, v39, 23, 0x3c000000
	v_mov_b32_e32 v49, v34
	v_and_b32_e32 v41, 0x80000000, v41
	v_or3_b32 v50, v33, v41, v39
.LBB192_39:                             ;   in Loop: Header=BB192_9 Depth=1
	s_or_b32 exec_lo, exec_lo, s34
.LBB192_40:                             ;   in Loop: Header=BB192_9 Depth=1
	s_or_b32 exec_lo, exec_lo, s33
.LBB192_41:                             ;   in Loop: Header=BB192_9 Depth=1
	s_or_b32 exec_lo, exec_lo, s4
	global_load_ushort v33, v[51:52], off offset:8
	v_mov_b32_e32 v55, 0
	v_mov_b32_e32 v53, 0
	;; [unrolled: 1-line block ×4, first 2 shown]
	s_waitcnt vmcnt(0)
	v_and_b32_e32 v57, 0xffff, v33
	v_cmp_ne_u16_sdwa s3, v33, v34 src0_sel:BYTE_0 src1_sel:DWORD
	s_and_saveexec_b32 s4, s3
	s_cbranch_execz .LBB192_49
; %bb.42:                               ;   in Loop: Header=BB192_9 Depth=1
	v_bfrev_b32_e32 v53, 1
	v_mov_b32_e32 v54, 0
	v_cmp_ne_u16_sdwa s3, v57, v116 src0_sel:BYTE_0 src1_sel:DWORD
	s_and_saveexec_b32 s33, s3
	s_cbranch_execz .LBB192_48
; %bb.43:                               ;   in Loop: Header=BB192_9 Depth=1
	v_mov_b32_e32 v53, 0x7f800001
	v_and_b32_e32 v41, 0x7f, v57
	v_mov_b32_e32 v54, 0
	s_mov_b32 s34, exec_lo
	v_cmpx_ne_u32_e32 0x7f, v41
	s_cbranch_execz .LBB192_47
; %bb.44:                               ;   in Loop: Header=BB192_9 Depth=1
	v_and_b32_e32 v33, 7, v57
	s_waitcnt lgkmcnt(0)
	v_lshrrev_b32_e32 v39, 3, v41
	s_mov_b32 s35, exec_lo
	v_cmpx_gt_u32_e32 8, v41
; %bb.45:                               ;   in Loop: Header=BB192_9 Depth=1
	v_ffbh_u32_e32 v39, v33
	v_min_u32_e32 v39, 32, v39
	v_subrev_nc_u32_e32 v41, 28, v39
	v_sub_nc_u32_e32 v39, 29, v39
	v_lshlrev_b64 v[53:54], v41, v[33:34]
	v_and_b32_e32 v33, 7, v53
; %bb.46:                               ;   in Loop: Header=BB192_9 Depth=1
	s_or_b32 exec_lo, exec_lo, s35
	v_lshlrev_b32_e32 v41, 24, v57
	v_lshlrev_b32_e32 v33, 20, v33
	v_lshl_add_u32 v39, v39, 23, 0x3c000000
	v_and_b32_e32 v41, 0x80000000, v41
	v_or3_b32 v33, v33, v41, v39
	v_mov_b32_e32 v54, v34
	v_mov_b32_e32 v53, v33
.LBB192_47:                             ;   in Loop: Header=BB192_9 Depth=1
	s_or_b32 exec_lo, exec_lo, s34
.LBB192_48:                             ;   in Loop: Header=BB192_9 Depth=1
	s_or_b32 exec_lo, exec_lo, s33
.LBB192_49:                             ;   in Loop: Header=BB192_9 Depth=1
	s_or_b32 exec_lo, exec_lo, s4
	v_cmp_ne_u16_sdwa s3, v57, v34 src0_sel:BYTE_1 src1_sel:DWORD
	s_and_saveexec_b32 s4, s3
	s_cbranch_execz .LBB192_57
; %bb.50:                               ;   in Loop: Header=BB192_9 Depth=1
	s_waitcnt lgkmcnt(0)
	v_mov_b32_e32 v39, v34
	v_mov_b32_e32 v56, v40
	v_cmp_ne_u16_sdwa s3, v57, v116 src0_sel:BYTE_1 src1_sel:DWORD
	v_mov_b32_e32 v55, v39
	s_and_saveexec_b32 s33, s3
	s_cbranch_execz .LBB192_56
; %bb.51:                               ;   in Loop: Header=BB192_9 Depth=1
	v_and_b32_sdwa v33, v117, v57 dst_sel:DWORD dst_unused:UNUSED_PAD src0_sel:DWORD src1_sel:BYTE_1
	v_mov_b32_e32 v41, v34
	v_mov_b32_e32 v56, v42
	s_mov_b32 s34, exec_lo
	v_and_b32_e32 v58, 0x7f, v33
	v_mov_b32_e32 v55, v41
	v_cmpx_ne_u32_e32 0x7f, v58
	s_cbranch_execz .LBB192_55
; %bb.52:                               ;   in Loop: Header=BB192_9 Depth=1
	v_and_b32_e32 v33, 7, v33
	v_lshrrev_b32_e32 v39, 3, v58
	s_mov_b32 s35, exec_lo
	v_cmpx_gt_u32_e32 8, v58
; %bb.53:                               ;   in Loop: Header=BB192_9 Depth=1
	v_ffbh_u32_e32 v39, v33
	v_min_u32_e32 v39, 32, v39
	v_subrev_nc_u32_e32 v41, 28, v39
	v_sub_nc_u32_e32 v39, 29, v39
	v_lshlrev_b64 v[55:56], v41, v[33:34]
	v_and_b32_e32 v33, 7, v55
; %bb.54:                               ;   in Loop: Header=BB192_9 Depth=1
	s_or_b32 exec_lo, exec_lo, s35
	v_lshlrev_b32_e32 v41, 16, v57
	v_lshlrev_b32_e32 v33, 20, v33
	v_lshl_add_u32 v39, v39, 23, 0x3c000000
	v_mov_b32_e32 v55, v34
	v_and_b32_e32 v41, 0x80000000, v41
	v_or3_b32 v56, v33, v41, v39
.LBB192_55:                             ;   in Loop: Header=BB192_9 Depth=1
	s_or_b32 exec_lo, exec_lo, s34
.LBB192_56:                             ;   in Loop: Header=BB192_9 Depth=1
	s_or_b32 exec_lo, exec_lo, s33
.LBB192_57:                             ;   in Loop: Header=BB192_9 Depth=1
	s_or_b32 exec_lo, exec_lo, s4
	global_load_ushort v33, v[51:52], off offset:12
	v_mov_b32_e32 v59, 0
	v_mov_b32_e32 v57, 0
	;; [unrolled: 1-line block ×4, first 2 shown]
	s_waitcnt vmcnt(0)
	v_and_b32_e32 v61, 0xffff, v33
	v_cmp_ne_u16_sdwa s3, v33, v34 src0_sel:BYTE_0 src1_sel:DWORD
	s_and_saveexec_b32 s4, s3
	s_cbranch_execz .LBB192_65
; %bb.58:                               ;   in Loop: Header=BB192_9 Depth=1
	v_bfrev_b32_e32 v57, 1
	v_mov_b32_e32 v58, 0
	v_cmp_ne_u16_sdwa s3, v61, v116 src0_sel:BYTE_0 src1_sel:DWORD
	s_and_saveexec_b32 s33, s3
	s_cbranch_execz .LBB192_64
; %bb.59:                               ;   in Loop: Header=BB192_9 Depth=1
	v_mov_b32_e32 v57, 0x7f800001
	v_and_b32_e32 v41, 0x7f, v61
	v_mov_b32_e32 v58, 0
	s_mov_b32 s34, exec_lo
	v_cmpx_ne_u32_e32 0x7f, v41
	s_cbranch_execz .LBB192_63
; %bb.60:                               ;   in Loop: Header=BB192_9 Depth=1
	v_and_b32_e32 v33, 7, v61
	s_waitcnt lgkmcnt(0)
	v_lshrrev_b32_e32 v39, 3, v41
	s_mov_b32 s35, exec_lo
	v_cmpx_gt_u32_e32 8, v41
; %bb.61:                               ;   in Loop: Header=BB192_9 Depth=1
	v_ffbh_u32_e32 v39, v33
	v_min_u32_e32 v39, 32, v39
	v_subrev_nc_u32_e32 v41, 28, v39
	v_sub_nc_u32_e32 v39, 29, v39
	v_lshlrev_b64 v[57:58], v41, v[33:34]
	v_and_b32_e32 v33, 7, v57
; %bb.62:                               ;   in Loop: Header=BB192_9 Depth=1
	s_or_b32 exec_lo, exec_lo, s35
	v_lshlrev_b32_e32 v41, 24, v61
	v_lshlrev_b32_e32 v33, 20, v33
	v_lshl_add_u32 v39, v39, 23, 0x3c000000
	v_and_b32_e32 v41, 0x80000000, v41
	v_or3_b32 v33, v33, v41, v39
	v_mov_b32_e32 v58, v34
	v_mov_b32_e32 v57, v33
.LBB192_63:                             ;   in Loop: Header=BB192_9 Depth=1
	s_or_b32 exec_lo, exec_lo, s34
.LBB192_64:                             ;   in Loop: Header=BB192_9 Depth=1
	s_or_b32 exec_lo, exec_lo, s33
.LBB192_65:                             ;   in Loop: Header=BB192_9 Depth=1
	s_or_b32 exec_lo, exec_lo, s4
	v_cmp_ne_u16_sdwa s3, v61, v34 src0_sel:BYTE_1 src1_sel:DWORD
	s_and_saveexec_b32 s4, s3
	s_cbranch_execz .LBB192_73
; %bb.66:                               ;   in Loop: Header=BB192_9 Depth=1
	s_waitcnt lgkmcnt(0)
	v_mov_b32_e32 v39, v34
	v_mov_b32_e32 v60, v40
	v_cmp_ne_u16_sdwa s3, v61, v116 src0_sel:BYTE_1 src1_sel:DWORD
	v_mov_b32_e32 v59, v39
	s_and_saveexec_b32 s33, s3
	s_cbranch_execz .LBB192_72
; %bb.67:                               ;   in Loop: Header=BB192_9 Depth=1
	v_and_b32_sdwa v33, v117, v61 dst_sel:DWORD dst_unused:UNUSED_PAD src0_sel:DWORD src1_sel:BYTE_1
	v_mov_b32_e32 v41, v34
	v_mov_b32_e32 v60, v42
	s_mov_b32 s34, exec_lo
	v_and_b32_e32 v62, 0x7f, v33
	v_mov_b32_e32 v59, v41
	v_cmpx_ne_u32_e32 0x7f, v62
	s_cbranch_execz .LBB192_71
; %bb.68:                               ;   in Loop: Header=BB192_9 Depth=1
	v_and_b32_e32 v33, 7, v33
	v_lshrrev_b32_e32 v39, 3, v62
	s_mov_b32 s35, exec_lo
	v_cmpx_gt_u32_e32 8, v62
; %bb.69:                               ;   in Loop: Header=BB192_9 Depth=1
	v_ffbh_u32_e32 v39, v33
	v_min_u32_e32 v39, 32, v39
	v_subrev_nc_u32_e32 v41, 28, v39
	v_sub_nc_u32_e32 v39, 29, v39
	v_lshlrev_b64 v[59:60], v41, v[33:34]
	v_and_b32_e32 v33, 7, v59
; %bb.70:                               ;   in Loop: Header=BB192_9 Depth=1
	s_or_b32 exec_lo, exec_lo, s35
	v_lshlrev_b32_e32 v41, 16, v61
	v_lshlrev_b32_e32 v33, 20, v33
	v_lshl_add_u32 v39, v39, 23, 0x3c000000
	v_mov_b32_e32 v59, v34
	v_and_b32_e32 v41, 0x80000000, v41
	v_or3_b32 v60, v33, v41, v39
.LBB192_71:                             ;   in Loop: Header=BB192_9 Depth=1
	s_or_b32 exec_lo, exec_lo, s34
.LBB192_72:                             ;   in Loop: Header=BB192_9 Depth=1
	s_or_b32 exec_lo, exec_lo, s33
.LBB192_73:                             ;   in Loop: Header=BB192_9 Depth=1
	s_or_b32 exec_lo, exec_lo, s4
	global_load_ushort v33, v[51:52], off offset:256
	v_mov_b32_e32 v63, 0
	v_mov_b32_e32 v61, 0
	;; [unrolled: 1-line block ×4, first 2 shown]
	s_waitcnt vmcnt(0)
	v_and_b32_e32 v65, 0xffff, v33
	v_cmp_ne_u16_sdwa s3, v33, v34 src0_sel:BYTE_0 src1_sel:DWORD
	s_and_saveexec_b32 s4, s3
	s_cbranch_execz .LBB192_81
; %bb.74:                               ;   in Loop: Header=BB192_9 Depth=1
	v_bfrev_b32_e32 v61, 1
	v_mov_b32_e32 v62, 0
	v_cmp_ne_u16_sdwa s3, v65, v116 src0_sel:BYTE_0 src1_sel:DWORD
	s_and_saveexec_b32 s33, s3
	s_cbranch_execz .LBB192_80
; %bb.75:                               ;   in Loop: Header=BB192_9 Depth=1
	v_mov_b32_e32 v61, 0x7f800001
	v_and_b32_e32 v41, 0x7f, v65
	v_mov_b32_e32 v62, 0
	s_mov_b32 s34, exec_lo
	v_cmpx_ne_u32_e32 0x7f, v41
	s_cbranch_execz .LBB192_79
; %bb.76:                               ;   in Loop: Header=BB192_9 Depth=1
	v_and_b32_e32 v33, 7, v65
	s_waitcnt lgkmcnt(0)
	v_lshrrev_b32_e32 v39, 3, v41
	s_mov_b32 s35, exec_lo
	v_cmpx_gt_u32_e32 8, v41
; %bb.77:                               ;   in Loop: Header=BB192_9 Depth=1
	v_ffbh_u32_e32 v39, v33
	v_min_u32_e32 v39, 32, v39
	v_subrev_nc_u32_e32 v41, 28, v39
	v_sub_nc_u32_e32 v39, 29, v39
	v_lshlrev_b64 v[61:62], v41, v[33:34]
	v_and_b32_e32 v33, 7, v61
; %bb.78:                               ;   in Loop: Header=BB192_9 Depth=1
	s_or_b32 exec_lo, exec_lo, s35
	v_lshlrev_b32_e32 v41, 24, v65
	v_lshlrev_b32_e32 v33, 20, v33
	v_lshl_add_u32 v39, v39, 23, 0x3c000000
	v_and_b32_e32 v41, 0x80000000, v41
	v_or3_b32 v33, v33, v41, v39
	v_mov_b32_e32 v62, v34
	v_mov_b32_e32 v61, v33
.LBB192_79:                             ;   in Loop: Header=BB192_9 Depth=1
	s_or_b32 exec_lo, exec_lo, s34
.LBB192_80:                             ;   in Loop: Header=BB192_9 Depth=1
	s_or_b32 exec_lo, exec_lo, s33
.LBB192_81:                             ;   in Loop: Header=BB192_9 Depth=1
	s_or_b32 exec_lo, exec_lo, s4
	v_cmp_ne_u16_sdwa s3, v65, v34 src0_sel:BYTE_1 src1_sel:DWORD
	s_and_saveexec_b32 s4, s3
	s_cbranch_execz .LBB192_89
; %bb.82:                               ;   in Loop: Header=BB192_9 Depth=1
	s_waitcnt lgkmcnt(0)
	v_mov_b32_e32 v39, v34
	v_mov_b32_e32 v64, v40
	v_cmp_ne_u16_sdwa s3, v65, v116 src0_sel:BYTE_1 src1_sel:DWORD
	v_mov_b32_e32 v63, v39
	s_and_saveexec_b32 s33, s3
	s_cbranch_execz .LBB192_88
; %bb.83:                               ;   in Loop: Header=BB192_9 Depth=1
	v_and_b32_sdwa v33, v117, v65 dst_sel:DWORD dst_unused:UNUSED_PAD src0_sel:DWORD src1_sel:BYTE_1
	v_mov_b32_e32 v41, v34
	v_mov_b32_e32 v64, v42
	s_mov_b32 s34, exec_lo
	v_and_b32_e32 v66, 0x7f, v33
	v_mov_b32_e32 v63, v41
	v_cmpx_ne_u32_e32 0x7f, v66
	s_cbranch_execz .LBB192_87
; %bb.84:                               ;   in Loop: Header=BB192_9 Depth=1
	v_and_b32_e32 v33, 7, v33
	v_lshrrev_b32_e32 v39, 3, v66
	s_mov_b32 s35, exec_lo
	v_cmpx_gt_u32_e32 8, v66
; %bb.85:                               ;   in Loop: Header=BB192_9 Depth=1
	v_ffbh_u32_e32 v39, v33
	v_min_u32_e32 v39, 32, v39
	v_subrev_nc_u32_e32 v41, 28, v39
	v_sub_nc_u32_e32 v39, 29, v39
	v_lshlrev_b64 v[63:64], v41, v[33:34]
	v_and_b32_e32 v33, 7, v63
; %bb.86:                               ;   in Loop: Header=BB192_9 Depth=1
	s_or_b32 exec_lo, exec_lo, s35
	v_lshlrev_b32_e32 v41, 16, v65
	v_lshlrev_b32_e32 v33, 20, v33
	v_lshl_add_u32 v39, v39, 23, 0x3c000000
	v_mov_b32_e32 v63, v34
	v_and_b32_e32 v41, 0x80000000, v41
	v_or3_b32 v64, v33, v41, v39
.LBB192_87:                             ;   in Loop: Header=BB192_9 Depth=1
	s_or_b32 exec_lo, exec_lo, s34
.LBB192_88:                             ;   in Loop: Header=BB192_9 Depth=1
	s_or_b32 exec_lo, exec_lo, s33
.LBB192_89:                             ;   in Loop: Header=BB192_9 Depth=1
	s_or_b32 exec_lo, exec_lo, s4
	global_load_ushort v33, v[51:52], off offset:260
	v_mov_b32_e32 v67, 0
	v_mov_b32_e32 v65, 0
	v_mov_b32_e32 v68, 0
	v_mov_b32_e32 v66, 0
	s_waitcnt vmcnt(0)
	v_and_b32_e32 v69, 0xffff, v33
	v_cmp_ne_u16_sdwa s3, v33, v34 src0_sel:BYTE_0 src1_sel:DWORD
	s_and_saveexec_b32 s4, s3
	s_cbranch_execz .LBB192_97
; %bb.90:                               ;   in Loop: Header=BB192_9 Depth=1
	v_bfrev_b32_e32 v65, 1
	v_mov_b32_e32 v66, 0
	v_cmp_ne_u16_sdwa s3, v69, v116 src0_sel:BYTE_0 src1_sel:DWORD
	s_and_saveexec_b32 s33, s3
	s_cbranch_execz .LBB192_96
; %bb.91:                               ;   in Loop: Header=BB192_9 Depth=1
	v_mov_b32_e32 v65, 0x7f800001
	v_and_b32_e32 v41, 0x7f, v69
	v_mov_b32_e32 v66, 0
	s_mov_b32 s34, exec_lo
	v_cmpx_ne_u32_e32 0x7f, v41
	s_cbranch_execz .LBB192_95
; %bb.92:                               ;   in Loop: Header=BB192_9 Depth=1
	v_and_b32_e32 v33, 7, v69
	s_waitcnt lgkmcnt(0)
	v_lshrrev_b32_e32 v39, 3, v41
	s_mov_b32 s35, exec_lo
	v_cmpx_gt_u32_e32 8, v41
; %bb.93:                               ;   in Loop: Header=BB192_9 Depth=1
	v_ffbh_u32_e32 v39, v33
	v_min_u32_e32 v39, 32, v39
	v_subrev_nc_u32_e32 v41, 28, v39
	v_sub_nc_u32_e32 v39, 29, v39
	v_lshlrev_b64 v[65:66], v41, v[33:34]
	v_and_b32_e32 v33, 7, v65
; %bb.94:                               ;   in Loop: Header=BB192_9 Depth=1
	s_or_b32 exec_lo, exec_lo, s35
	v_lshlrev_b32_e32 v41, 24, v69
	v_lshlrev_b32_e32 v33, 20, v33
	v_lshl_add_u32 v39, v39, 23, 0x3c000000
	v_and_b32_e32 v41, 0x80000000, v41
	v_or3_b32 v33, v33, v41, v39
	v_mov_b32_e32 v66, v34
	v_mov_b32_e32 v65, v33
.LBB192_95:                             ;   in Loop: Header=BB192_9 Depth=1
	s_or_b32 exec_lo, exec_lo, s34
.LBB192_96:                             ;   in Loop: Header=BB192_9 Depth=1
	s_or_b32 exec_lo, exec_lo, s33
.LBB192_97:                             ;   in Loop: Header=BB192_9 Depth=1
	s_or_b32 exec_lo, exec_lo, s4
	v_cmp_ne_u16_sdwa s3, v69, v34 src0_sel:BYTE_1 src1_sel:DWORD
	s_and_saveexec_b32 s4, s3
	s_cbranch_execz .LBB192_105
; %bb.98:                               ;   in Loop: Header=BB192_9 Depth=1
	s_waitcnt lgkmcnt(0)
	v_mov_b32_e32 v39, v34
	v_mov_b32_e32 v68, v40
	v_cmp_ne_u16_sdwa s3, v69, v116 src0_sel:BYTE_1 src1_sel:DWORD
	v_mov_b32_e32 v67, v39
	s_and_saveexec_b32 s33, s3
	s_cbranch_execz .LBB192_104
; %bb.99:                               ;   in Loop: Header=BB192_9 Depth=1
	v_and_b32_sdwa v33, v117, v69 dst_sel:DWORD dst_unused:UNUSED_PAD src0_sel:DWORD src1_sel:BYTE_1
	v_mov_b32_e32 v41, v34
	v_mov_b32_e32 v68, v42
	s_mov_b32 s34, exec_lo
	v_and_b32_e32 v70, 0x7f, v33
	v_mov_b32_e32 v67, v41
	v_cmpx_ne_u32_e32 0x7f, v70
	s_cbranch_execz .LBB192_103
; %bb.100:                              ;   in Loop: Header=BB192_9 Depth=1
	v_and_b32_e32 v33, 7, v33
	v_lshrrev_b32_e32 v39, 3, v70
	s_mov_b32 s35, exec_lo
	v_cmpx_gt_u32_e32 8, v70
; %bb.101:                              ;   in Loop: Header=BB192_9 Depth=1
	v_ffbh_u32_e32 v39, v33
	v_min_u32_e32 v39, 32, v39
	v_subrev_nc_u32_e32 v41, 28, v39
	v_sub_nc_u32_e32 v39, 29, v39
	v_lshlrev_b64 v[67:68], v41, v[33:34]
	v_and_b32_e32 v33, 7, v67
; %bb.102:                              ;   in Loop: Header=BB192_9 Depth=1
	s_or_b32 exec_lo, exec_lo, s35
	v_lshlrev_b32_e32 v41, 16, v69
	v_lshlrev_b32_e32 v33, 20, v33
	v_lshl_add_u32 v39, v39, 23, 0x3c000000
	v_mov_b32_e32 v67, v34
	v_and_b32_e32 v41, 0x80000000, v41
	v_or3_b32 v68, v33, v41, v39
.LBB192_103:                            ;   in Loop: Header=BB192_9 Depth=1
	s_or_b32 exec_lo, exec_lo, s34
.LBB192_104:                            ;   in Loop: Header=BB192_9 Depth=1
	s_or_b32 exec_lo, exec_lo, s33
.LBB192_105:                            ;   in Loop: Header=BB192_9 Depth=1
	s_or_b32 exec_lo, exec_lo, s4
	global_load_ushort v33, v[51:52], off offset:264
	v_mov_b32_e32 v71, 0
	v_mov_b32_e32 v69, 0
	;; [unrolled: 1-line block ×4, first 2 shown]
	s_waitcnt vmcnt(0)
	v_and_b32_e32 v73, 0xffff, v33
	v_cmp_ne_u16_sdwa s3, v33, v34 src0_sel:BYTE_0 src1_sel:DWORD
	s_and_saveexec_b32 s4, s3
	s_cbranch_execz .LBB192_113
; %bb.106:                              ;   in Loop: Header=BB192_9 Depth=1
	v_bfrev_b32_e32 v69, 1
	v_mov_b32_e32 v70, 0
	v_cmp_ne_u16_sdwa s3, v73, v116 src0_sel:BYTE_0 src1_sel:DWORD
	s_and_saveexec_b32 s33, s3
	s_cbranch_execz .LBB192_112
; %bb.107:                              ;   in Loop: Header=BB192_9 Depth=1
	v_mov_b32_e32 v69, 0x7f800001
	v_and_b32_e32 v41, 0x7f, v73
	v_mov_b32_e32 v70, 0
	s_mov_b32 s34, exec_lo
	v_cmpx_ne_u32_e32 0x7f, v41
	s_cbranch_execz .LBB192_111
; %bb.108:                              ;   in Loop: Header=BB192_9 Depth=1
	v_and_b32_e32 v33, 7, v73
	s_waitcnt lgkmcnt(0)
	v_lshrrev_b32_e32 v39, 3, v41
	s_mov_b32 s35, exec_lo
	v_cmpx_gt_u32_e32 8, v41
; %bb.109:                              ;   in Loop: Header=BB192_9 Depth=1
	v_ffbh_u32_e32 v39, v33
	v_min_u32_e32 v39, 32, v39
	v_subrev_nc_u32_e32 v41, 28, v39
	v_sub_nc_u32_e32 v39, 29, v39
	v_lshlrev_b64 v[69:70], v41, v[33:34]
	v_and_b32_e32 v33, 7, v69
; %bb.110:                              ;   in Loop: Header=BB192_9 Depth=1
	s_or_b32 exec_lo, exec_lo, s35
	v_lshlrev_b32_e32 v41, 24, v73
	v_lshlrev_b32_e32 v33, 20, v33
	v_lshl_add_u32 v39, v39, 23, 0x3c000000
	v_and_b32_e32 v41, 0x80000000, v41
	v_or3_b32 v33, v33, v41, v39
	v_mov_b32_e32 v70, v34
	v_mov_b32_e32 v69, v33
.LBB192_111:                            ;   in Loop: Header=BB192_9 Depth=1
	s_or_b32 exec_lo, exec_lo, s34
.LBB192_112:                            ;   in Loop: Header=BB192_9 Depth=1
	s_or_b32 exec_lo, exec_lo, s33
.LBB192_113:                            ;   in Loop: Header=BB192_9 Depth=1
	s_or_b32 exec_lo, exec_lo, s4
	v_cmp_ne_u16_sdwa s3, v73, v34 src0_sel:BYTE_1 src1_sel:DWORD
	s_and_saveexec_b32 s4, s3
	s_cbranch_execz .LBB192_121
; %bb.114:                              ;   in Loop: Header=BB192_9 Depth=1
	s_waitcnt lgkmcnt(0)
	v_mov_b32_e32 v39, v34
	v_mov_b32_e32 v72, v40
	v_cmp_ne_u16_sdwa s3, v73, v116 src0_sel:BYTE_1 src1_sel:DWORD
	v_mov_b32_e32 v71, v39
	s_and_saveexec_b32 s33, s3
	s_cbranch_execz .LBB192_120
; %bb.115:                              ;   in Loop: Header=BB192_9 Depth=1
	v_and_b32_sdwa v33, v117, v73 dst_sel:DWORD dst_unused:UNUSED_PAD src0_sel:DWORD src1_sel:BYTE_1
	v_mov_b32_e32 v41, v34
	v_mov_b32_e32 v72, v42
	s_mov_b32 s34, exec_lo
	v_and_b32_e32 v74, 0x7f, v33
	v_mov_b32_e32 v71, v41
	v_cmpx_ne_u32_e32 0x7f, v74
	s_cbranch_execz .LBB192_119
; %bb.116:                              ;   in Loop: Header=BB192_9 Depth=1
	v_and_b32_e32 v33, 7, v33
	v_lshrrev_b32_e32 v39, 3, v74
	s_mov_b32 s35, exec_lo
	v_cmpx_gt_u32_e32 8, v74
; %bb.117:                              ;   in Loop: Header=BB192_9 Depth=1
	v_ffbh_u32_e32 v39, v33
	v_min_u32_e32 v39, 32, v39
	v_subrev_nc_u32_e32 v41, 28, v39
	v_sub_nc_u32_e32 v39, 29, v39
	v_lshlrev_b64 v[71:72], v41, v[33:34]
	v_and_b32_e32 v33, 7, v71
; %bb.118:                              ;   in Loop: Header=BB192_9 Depth=1
	s_or_b32 exec_lo, exec_lo, s35
	v_lshlrev_b32_e32 v41, 16, v73
	v_lshlrev_b32_e32 v33, 20, v33
	v_lshl_add_u32 v39, v39, 23, 0x3c000000
	v_mov_b32_e32 v71, v34
	v_and_b32_e32 v41, 0x80000000, v41
	v_or3_b32 v72, v33, v41, v39
.LBB192_119:                            ;   in Loop: Header=BB192_9 Depth=1
	s_or_b32 exec_lo, exec_lo, s34
.LBB192_120:                            ;   in Loop: Header=BB192_9 Depth=1
	s_or_b32 exec_lo, exec_lo, s33
.LBB192_121:                            ;   in Loop: Header=BB192_9 Depth=1
	s_or_b32 exec_lo, exec_lo, s4
	global_load_ushort v33, v[51:52], off offset:268
	v_mov_b32_e32 v75, 0
	v_mov_b32_e32 v73, 0
	;; [unrolled: 1-line block ×4, first 2 shown]
	s_waitcnt vmcnt(0)
	v_and_b32_e32 v77, 0xffff, v33
	v_cmp_ne_u16_sdwa s3, v33, v34 src0_sel:BYTE_0 src1_sel:DWORD
	s_and_saveexec_b32 s4, s3
	s_cbranch_execz .LBB192_129
; %bb.122:                              ;   in Loop: Header=BB192_9 Depth=1
	v_bfrev_b32_e32 v73, 1
	v_mov_b32_e32 v74, 0
	v_cmp_ne_u16_sdwa s3, v77, v116 src0_sel:BYTE_0 src1_sel:DWORD
	s_and_saveexec_b32 s33, s3
	s_cbranch_execz .LBB192_128
; %bb.123:                              ;   in Loop: Header=BB192_9 Depth=1
	v_mov_b32_e32 v73, 0x7f800001
	v_and_b32_e32 v41, 0x7f, v77
	v_mov_b32_e32 v74, 0
	s_mov_b32 s34, exec_lo
	v_cmpx_ne_u32_e32 0x7f, v41
	s_cbranch_execz .LBB192_127
; %bb.124:                              ;   in Loop: Header=BB192_9 Depth=1
	v_and_b32_e32 v33, 7, v77
	s_waitcnt lgkmcnt(0)
	v_lshrrev_b32_e32 v39, 3, v41
	s_mov_b32 s35, exec_lo
	v_cmpx_gt_u32_e32 8, v41
; %bb.125:                              ;   in Loop: Header=BB192_9 Depth=1
	v_ffbh_u32_e32 v39, v33
	v_min_u32_e32 v39, 32, v39
	v_subrev_nc_u32_e32 v41, 28, v39
	v_sub_nc_u32_e32 v39, 29, v39
	v_lshlrev_b64 v[73:74], v41, v[33:34]
	v_and_b32_e32 v33, 7, v73
; %bb.126:                              ;   in Loop: Header=BB192_9 Depth=1
	s_or_b32 exec_lo, exec_lo, s35
	v_lshlrev_b32_e32 v41, 24, v77
	v_lshlrev_b32_e32 v33, 20, v33
	v_lshl_add_u32 v39, v39, 23, 0x3c000000
	v_and_b32_e32 v41, 0x80000000, v41
	v_or3_b32 v33, v33, v41, v39
	v_mov_b32_e32 v74, v34
	v_mov_b32_e32 v73, v33
.LBB192_127:                            ;   in Loop: Header=BB192_9 Depth=1
	s_or_b32 exec_lo, exec_lo, s34
.LBB192_128:                            ;   in Loop: Header=BB192_9 Depth=1
	s_or_b32 exec_lo, exec_lo, s33
.LBB192_129:                            ;   in Loop: Header=BB192_9 Depth=1
	s_or_b32 exec_lo, exec_lo, s4
	v_cmp_ne_u16_sdwa s3, v77, v34 src0_sel:BYTE_1 src1_sel:DWORD
	s_and_saveexec_b32 s4, s3
	s_cbranch_execz .LBB192_137
; %bb.130:                              ;   in Loop: Header=BB192_9 Depth=1
	s_waitcnt lgkmcnt(0)
	v_mov_b32_e32 v39, v34
	v_mov_b32_e32 v76, v40
	v_cmp_ne_u16_sdwa s3, v77, v116 src0_sel:BYTE_1 src1_sel:DWORD
	v_mov_b32_e32 v75, v39
	s_and_saveexec_b32 s33, s3
	s_cbranch_execz .LBB192_136
; %bb.131:                              ;   in Loop: Header=BB192_9 Depth=1
	v_and_b32_sdwa v33, v117, v77 dst_sel:DWORD dst_unused:UNUSED_PAD src0_sel:DWORD src1_sel:BYTE_1
	v_mov_b32_e32 v41, v34
	v_mov_b32_e32 v76, v42
	s_mov_b32 s34, exec_lo
	v_and_b32_e32 v78, 0x7f, v33
	v_mov_b32_e32 v75, v41
	v_cmpx_ne_u32_e32 0x7f, v78
	s_cbranch_execz .LBB192_135
; %bb.132:                              ;   in Loop: Header=BB192_9 Depth=1
	v_and_b32_e32 v33, 7, v33
	v_lshrrev_b32_e32 v39, 3, v78
	s_mov_b32 s35, exec_lo
	v_cmpx_gt_u32_e32 8, v78
; %bb.133:                              ;   in Loop: Header=BB192_9 Depth=1
	v_ffbh_u32_e32 v39, v33
	v_min_u32_e32 v39, 32, v39
	v_subrev_nc_u32_e32 v41, 28, v39
	v_sub_nc_u32_e32 v39, 29, v39
	v_lshlrev_b64 v[75:76], v41, v[33:34]
	v_and_b32_e32 v33, 7, v75
; %bb.134:                              ;   in Loop: Header=BB192_9 Depth=1
	s_or_b32 exec_lo, exec_lo, s35
	v_lshlrev_b32_e32 v41, 16, v77
	v_lshlrev_b32_e32 v33, 20, v33
	v_lshl_add_u32 v39, v39, 23, 0x3c000000
	v_mov_b32_e32 v75, v34
	v_and_b32_e32 v41, 0x80000000, v41
	v_or3_b32 v76, v33, v41, v39
.LBB192_135:                            ;   in Loop: Header=BB192_9 Depth=1
	s_or_b32 exec_lo, exec_lo, s34
.LBB192_136:                            ;   in Loop: Header=BB192_9 Depth=1
	s_or_b32 exec_lo, exec_lo, s33
.LBB192_137:                            ;   in Loop: Header=BB192_9 Depth=1
	s_or_b32 exec_lo, exec_lo, s4
	global_load_ushort v33, v[51:52], off offset:512
	v_mov_b32_e32 v79, 0
	v_mov_b32_e32 v77, 0
	;; [unrolled: 1-line block ×4, first 2 shown]
	s_waitcnt vmcnt(0)
	v_and_b32_e32 v81, 0xffff, v33
	v_cmp_ne_u16_sdwa s3, v33, v34 src0_sel:BYTE_0 src1_sel:DWORD
	s_and_saveexec_b32 s4, s3
	s_cbranch_execz .LBB192_145
; %bb.138:                              ;   in Loop: Header=BB192_9 Depth=1
	v_bfrev_b32_e32 v77, 1
	v_mov_b32_e32 v78, 0
	v_cmp_ne_u16_sdwa s3, v81, v116 src0_sel:BYTE_0 src1_sel:DWORD
	s_and_saveexec_b32 s33, s3
	s_cbranch_execz .LBB192_144
; %bb.139:                              ;   in Loop: Header=BB192_9 Depth=1
	v_mov_b32_e32 v77, 0x7f800001
	v_and_b32_e32 v41, 0x7f, v81
	v_mov_b32_e32 v78, 0
	s_mov_b32 s34, exec_lo
	v_cmpx_ne_u32_e32 0x7f, v41
	s_cbranch_execz .LBB192_143
; %bb.140:                              ;   in Loop: Header=BB192_9 Depth=1
	v_and_b32_e32 v33, 7, v81
	s_waitcnt lgkmcnt(0)
	v_lshrrev_b32_e32 v39, 3, v41
	s_mov_b32 s35, exec_lo
	v_cmpx_gt_u32_e32 8, v41
; %bb.141:                              ;   in Loop: Header=BB192_9 Depth=1
	v_ffbh_u32_e32 v39, v33
	v_min_u32_e32 v39, 32, v39
	v_subrev_nc_u32_e32 v41, 28, v39
	v_sub_nc_u32_e32 v39, 29, v39
	v_lshlrev_b64 v[77:78], v41, v[33:34]
	v_and_b32_e32 v33, 7, v77
; %bb.142:                              ;   in Loop: Header=BB192_9 Depth=1
	s_or_b32 exec_lo, exec_lo, s35
	v_lshlrev_b32_e32 v41, 24, v81
	v_lshlrev_b32_e32 v33, 20, v33
	v_lshl_add_u32 v39, v39, 23, 0x3c000000
	v_and_b32_e32 v41, 0x80000000, v41
	v_or3_b32 v33, v33, v41, v39
	v_mov_b32_e32 v78, v34
	v_mov_b32_e32 v77, v33
.LBB192_143:                            ;   in Loop: Header=BB192_9 Depth=1
	s_or_b32 exec_lo, exec_lo, s34
.LBB192_144:                            ;   in Loop: Header=BB192_9 Depth=1
	s_or_b32 exec_lo, exec_lo, s33
.LBB192_145:                            ;   in Loop: Header=BB192_9 Depth=1
	s_or_b32 exec_lo, exec_lo, s4
	v_cmp_ne_u16_sdwa s3, v81, v34 src0_sel:BYTE_1 src1_sel:DWORD
	s_and_saveexec_b32 s4, s3
	s_cbranch_execz .LBB192_153
; %bb.146:                              ;   in Loop: Header=BB192_9 Depth=1
	s_waitcnt lgkmcnt(0)
	v_mov_b32_e32 v39, v34
	v_mov_b32_e32 v80, v40
	v_cmp_ne_u16_sdwa s3, v81, v116 src0_sel:BYTE_1 src1_sel:DWORD
	v_mov_b32_e32 v79, v39
	s_and_saveexec_b32 s33, s3
	s_cbranch_execz .LBB192_152
; %bb.147:                              ;   in Loop: Header=BB192_9 Depth=1
	v_and_b32_sdwa v33, v117, v81 dst_sel:DWORD dst_unused:UNUSED_PAD src0_sel:DWORD src1_sel:BYTE_1
	v_mov_b32_e32 v41, v34
	v_mov_b32_e32 v80, v42
	s_mov_b32 s34, exec_lo
	v_and_b32_e32 v82, 0x7f, v33
	v_mov_b32_e32 v79, v41
	v_cmpx_ne_u32_e32 0x7f, v82
	s_cbranch_execz .LBB192_151
; %bb.148:                              ;   in Loop: Header=BB192_9 Depth=1
	v_and_b32_e32 v33, 7, v33
	v_lshrrev_b32_e32 v39, 3, v82
	s_mov_b32 s35, exec_lo
	v_cmpx_gt_u32_e32 8, v82
; %bb.149:                              ;   in Loop: Header=BB192_9 Depth=1
	v_ffbh_u32_e32 v39, v33
	v_min_u32_e32 v39, 32, v39
	v_subrev_nc_u32_e32 v41, 28, v39
	v_sub_nc_u32_e32 v39, 29, v39
	v_lshlrev_b64 v[79:80], v41, v[33:34]
	v_and_b32_e32 v33, 7, v79
; %bb.150:                              ;   in Loop: Header=BB192_9 Depth=1
	s_or_b32 exec_lo, exec_lo, s35
	v_lshlrev_b32_e32 v41, 16, v81
	v_lshlrev_b32_e32 v33, 20, v33
	v_lshl_add_u32 v39, v39, 23, 0x3c000000
	v_mov_b32_e32 v79, v34
	v_and_b32_e32 v41, 0x80000000, v41
	v_or3_b32 v80, v33, v41, v39
.LBB192_151:                            ;   in Loop: Header=BB192_9 Depth=1
	s_or_b32 exec_lo, exec_lo, s34
.LBB192_152:                            ;   in Loop: Header=BB192_9 Depth=1
	s_or_b32 exec_lo, exec_lo, s33
.LBB192_153:                            ;   in Loop: Header=BB192_9 Depth=1
	s_or_b32 exec_lo, exec_lo, s4
	global_load_ushort v33, v[51:52], off offset:516
	v_mov_b32_e32 v83, 0
	v_mov_b32_e32 v81, 0
	;; [unrolled: 1-line block ×4, first 2 shown]
	s_waitcnt vmcnt(0)
	v_and_b32_e32 v85, 0xffff, v33
	v_cmp_ne_u16_sdwa s3, v33, v34 src0_sel:BYTE_0 src1_sel:DWORD
	s_and_saveexec_b32 s4, s3
	s_cbranch_execz .LBB192_161
; %bb.154:                              ;   in Loop: Header=BB192_9 Depth=1
	v_bfrev_b32_e32 v81, 1
	v_mov_b32_e32 v82, 0
	v_cmp_ne_u16_sdwa s3, v85, v116 src0_sel:BYTE_0 src1_sel:DWORD
	s_and_saveexec_b32 s33, s3
	s_cbranch_execz .LBB192_160
; %bb.155:                              ;   in Loop: Header=BB192_9 Depth=1
	v_mov_b32_e32 v81, 0x7f800001
	v_and_b32_e32 v41, 0x7f, v85
	v_mov_b32_e32 v82, 0
	s_mov_b32 s34, exec_lo
	v_cmpx_ne_u32_e32 0x7f, v41
	s_cbranch_execz .LBB192_159
; %bb.156:                              ;   in Loop: Header=BB192_9 Depth=1
	v_and_b32_e32 v33, 7, v85
	s_waitcnt lgkmcnt(0)
	v_lshrrev_b32_e32 v39, 3, v41
	s_mov_b32 s35, exec_lo
	v_cmpx_gt_u32_e32 8, v41
; %bb.157:                              ;   in Loop: Header=BB192_9 Depth=1
	v_ffbh_u32_e32 v39, v33
	v_min_u32_e32 v39, 32, v39
	v_subrev_nc_u32_e32 v41, 28, v39
	v_sub_nc_u32_e32 v39, 29, v39
	v_lshlrev_b64 v[81:82], v41, v[33:34]
	v_and_b32_e32 v33, 7, v81
; %bb.158:                              ;   in Loop: Header=BB192_9 Depth=1
	s_or_b32 exec_lo, exec_lo, s35
	v_lshlrev_b32_e32 v41, 24, v85
	v_lshlrev_b32_e32 v33, 20, v33
	v_lshl_add_u32 v39, v39, 23, 0x3c000000
	v_and_b32_e32 v41, 0x80000000, v41
	v_or3_b32 v33, v33, v41, v39
	v_mov_b32_e32 v82, v34
	v_mov_b32_e32 v81, v33
.LBB192_159:                            ;   in Loop: Header=BB192_9 Depth=1
	s_or_b32 exec_lo, exec_lo, s34
.LBB192_160:                            ;   in Loop: Header=BB192_9 Depth=1
	s_or_b32 exec_lo, exec_lo, s33
.LBB192_161:                            ;   in Loop: Header=BB192_9 Depth=1
	s_or_b32 exec_lo, exec_lo, s4
	v_cmp_ne_u16_sdwa s3, v85, v34 src0_sel:BYTE_1 src1_sel:DWORD
	s_and_saveexec_b32 s4, s3
	s_cbranch_execz .LBB192_169
; %bb.162:                              ;   in Loop: Header=BB192_9 Depth=1
	s_waitcnt lgkmcnt(0)
	v_mov_b32_e32 v39, v34
	v_mov_b32_e32 v84, v40
	v_cmp_ne_u16_sdwa s3, v85, v116 src0_sel:BYTE_1 src1_sel:DWORD
	v_mov_b32_e32 v83, v39
	s_and_saveexec_b32 s33, s3
	s_cbranch_execz .LBB192_168
; %bb.163:                              ;   in Loop: Header=BB192_9 Depth=1
	v_and_b32_sdwa v33, v117, v85 dst_sel:DWORD dst_unused:UNUSED_PAD src0_sel:DWORD src1_sel:BYTE_1
	v_mov_b32_e32 v41, v34
	v_mov_b32_e32 v84, v42
	s_mov_b32 s34, exec_lo
	v_and_b32_e32 v86, 0x7f, v33
	v_mov_b32_e32 v83, v41
	v_cmpx_ne_u32_e32 0x7f, v86
	s_cbranch_execz .LBB192_167
; %bb.164:                              ;   in Loop: Header=BB192_9 Depth=1
	v_and_b32_e32 v33, 7, v33
	v_lshrrev_b32_e32 v39, 3, v86
	s_mov_b32 s35, exec_lo
	v_cmpx_gt_u32_e32 8, v86
; %bb.165:                              ;   in Loop: Header=BB192_9 Depth=1
	v_ffbh_u32_e32 v39, v33
	v_min_u32_e32 v39, 32, v39
	v_subrev_nc_u32_e32 v41, 28, v39
	v_sub_nc_u32_e32 v39, 29, v39
	v_lshlrev_b64 v[83:84], v41, v[33:34]
	v_and_b32_e32 v33, 7, v83
; %bb.166:                              ;   in Loop: Header=BB192_9 Depth=1
	s_or_b32 exec_lo, exec_lo, s35
	v_lshlrev_b32_e32 v41, 16, v85
	v_lshlrev_b32_e32 v33, 20, v33
	v_lshl_add_u32 v39, v39, 23, 0x3c000000
	v_mov_b32_e32 v83, v34
	v_and_b32_e32 v41, 0x80000000, v41
	v_or3_b32 v84, v33, v41, v39
.LBB192_167:                            ;   in Loop: Header=BB192_9 Depth=1
	s_or_b32 exec_lo, exec_lo, s34
.LBB192_168:                            ;   in Loop: Header=BB192_9 Depth=1
	s_or_b32 exec_lo, exec_lo, s33
.LBB192_169:                            ;   in Loop: Header=BB192_9 Depth=1
	s_or_b32 exec_lo, exec_lo, s4
	global_load_ushort v33, v[51:52], off offset:520
	v_mov_b32_e32 v87, 0
	v_mov_b32_e32 v85, 0
	;; [unrolled: 1-line block ×4, first 2 shown]
	s_waitcnt vmcnt(0)
	v_and_b32_e32 v89, 0xffff, v33
	v_cmp_ne_u16_sdwa s3, v33, v34 src0_sel:BYTE_0 src1_sel:DWORD
	s_and_saveexec_b32 s4, s3
	s_cbranch_execz .LBB192_177
; %bb.170:                              ;   in Loop: Header=BB192_9 Depth=1
	v_bfrev_b32_e32 v85, 1
	v_mov_b32_e32 v86, 0
	v_cmp_ne_u16_sdwa s3, v89, v116 src0_sel:BYTE_0 src1_sel:DWORD
	s_and_saveexec_b32 s33, s3
	s_cbranch_execz .LBB192_176
; %bb.171:                              ;   in Loop: Header=BB192_9 Depth=1
	v_mov_b32_e32 v85, 0x7f800001
	v_and_b32_e32 v41, 0x7f, v89
	v_mov_b32_e32 v86, 0
	s_mov_b32 s34, exec_lo
	v_cmpx_ne_u32_e32 0x7f, v41
	s_cbranch_execz .LBB192_175
; %bb.172:                              ;   in Loop: Header=BB192_9 Depth=1
	v_and_b32_e32 v33, 7, v89
	s_waitcnt lgkmcnt(0)
	v_lshrrev_b32_e32 v39, 3, v41
	s_mov_b32 s35, exec_lo
	v_cmpx_gt_u32_e32 8, v41
; %bb.173:                              ;   in Loop: Header=BB192_9 Depth=1
	v_ffbh_u32_e32 v39, v33
	v_min_u32_e32 v39, 32, v39
	v_subrev_nc_u32_e32 v41, 28, v39
	v_sub_nc_u32_e32 v39, 29, v39
	v_lshlrev_b64 v[85:86], v41, v[33:34]
	v_and_b32_e32 v33, 7, v85
; %bb.174:                              ;   in Loop: Header=BB192_9 Depth=1
	s_or_b32 exec_lo, exec_lo, s35
	v_lshlrev_b32_e32 v41, 24, v89
	v_lshlrev_b32_e32 v33, 20, v33
	v_lshl_add_u32 v39, v39, 23, 0x3c000000
	v_and_b32_e32 v41, 0x80000000, v41
	v_or3_b32 v33, v33, v41, v39
	v_mov_b32_e32 v86, v34
	v_mov_b32_e32 v85, v33
.LBB192_175:                            ;   in Loop: Header=BB192_9 Depth=1
	s_or_b32 exec_lo, exec_lo, s34
.LBB192_176:                            ;   in Loop: Header=BB192_9 Depth=1
	s_or_b32 exec_lo, exec_lo, s33
.LBB192_177:                            ;   in Loop: Header=BB192_9 Depth=1
	s_or_b32 exec_lo, exec_lo, s4
	v_cmp_ne_u16_sdwa s3, v89, v34 src0_sel:BYTE_1 src1_sel:DWORD
	s_and_saveexec_b32 s4, s3
	s_cbranch_execz .LBB192_185
; %bb.178:                              ;   in Loop: Header=BB192_9 Depth=1
	s_waitcnt lgkmcnt(0)
	v_mov_b32_e32 v39, v34
	v_mov_b32_e32 v88, v40
	v_cmp_ne_u16_sdwa s3, v89, v116 src0_sel:BYTE_1 src1_sel:DWORD
	v_mov_b32_e32 v87, v39
	s_and_saveexec_b32 s33, s3
	s_cbranch_execz .LBB192_184
; %bb.179:                              ;   in Loop: Header=BB192_9 Depth=1
	v_and_b32_sdwa v33, v117, v89 dst_sel:DWORD dst_unused:UNUSED_PAD src0_sel:DWORD src1_sel:BYTE_1
	v_mov_b32_e32 v41, v34
	v_mov_b32_e32 v88, v42
	s_mov_b32 s34, exec_lo
	v_and_b32_e32 v90, 0x7f, v33
	v_mov_b32_e32 v87, v41
	v_cmpx_ne_u32_e32 0x7f, v90
	s_cbranch_execz .LBB192_183
; %bb.180:                              ;   in Loop: Header=BB192_9 Depth=1
	v_and_b32_e32 v33, 7, v33
	v_lshrrev_b32_e32 v39, 3, v90
	s_mov_b32 s35, exec_lo
	v_cmpx_gt_u32_e32 8, v90
; %bb.181:                              ;   in Loop: Header=BB192_9 Depth=1
	v_ffbh_u32_e32 v39, v33
	v_min_u32_e32 v39, 32, v39
	v_subrev_nc_u32_e32 v41, 28, v39
	v_sub_nc_u32_e32 v39, 29, v39
	v_lshlrev_b64 v[87:88], v41, v[33:34]
	v_and_b32_e32 v33, 7, v87
; %bb.182:                              ;   in Loop: Header=BB192_9 Depth=1
	s_or_b32 exec_lo, exec_lo, s35
	v_lshlrev_b32_e32 v41, 16, v89
	v_lshlrev_b32_e32 v33, 20, v33
	v_lshl_add_u32 v39, v39, 23, 0x3c000000
	v_mov_b32_e32 v87, v34
	v_and_b32_e32 v41, 0x80000000, v41
	v_or3_b32 v88, v33, v41, v39
.LBB192_183:                            ;   in Loop: Header=BB192_9 Depth=1
	s_or_b32 exec_lo, exec_lo, s34
.LBB192_184:                            ;   in Loop: Header=BB192_9 Depth=1
	s_or_b32 exec_lo, exec_lo, s33
.LBB192_185:                            ;   in Loop: Header=BB192_9 Depth=1
	s_or_b32 exec_lo, exec_lo, s4
	global_load_ushort v33, v[51:52], off offset:524
	v_mov_b32_e32 v91, 0
	v_mov_b32_e32 v89, 0
	;; [unrolled: 1-line block ×4, first 2 shown]
	s_waitcnt vmcnt(0)
	v_and_b32_e32 v93, 0xffff, v33
	v_cmp_ne_u16_sdwa s3, v33, v34 src0_sel:BYTE_0 src1_sel:DWORD
	s_and_saveexec_b32 s4, s3
	s_cbranch_execz .LBB192_193
; %bb.186:                              ;   in Loop: Header=BB192_9 Depth=1
	v_bfrev_b32_e32 v89, 1
	v_mov_b32_e32 v90, 0
	v_cmp_ne_u16_sdwa s3, v93, v116 src0_sel:BYTE_0 src1_sel:DWORD
	s_and_saveexec_b32 s33, s3
	s_cbranch_execz .LBB192_192
; %bb.187:                              ;   in Loop: Header=BB192_9 Depth=1
	v_mov_b32_e32 v89, 0x7f800001
	v_and_b32_e32 v41, 0x7f, v93
	v_mov_b32_e32 v90, 0
	s_mov_b32 s34, exec_lo
	v_cmpx_ne_u32_e32 0x7f, v41
	s_cbranch_execz .LBB192_191
; %bb.188:                              ;   in Loop: Header=BB192_9 Depth=1
	v_and_b32_e32 v33, 7, v93
	s_waitcnt lgkmcnt(0)
	v_lshrrev_b32_e32 v39, 3, v41
	s_mov_b32 s35, exec_lo
	v_cmpx_gt_u32_e32 8, v41
; %bb.189:                              ;   in Loop: Header=BB192_9 Depth=1
	v_ffbh_u32_e32 v39, v33
	v_min_u32_e32 v39, 32, v39
	v_subrev_nc_u32_e32 v41, 28, v39
	v_sub_nc_u32_e32 v39, 29, v39
	v_lshlrev_b64 v[89:90], v41, v[33:34]
	v_and_b32_e32 v33, 7, v89
; %bb.190:                              ;   in Loop: Header=BB192_9 Depth=1
	s_or_b32 exec_lo, exec_lo, s35
	v_lshlrev_b32_e32 v41, 24, v93
	v_lshlrev_b32_e32 v33, 20, v33
	v_lshl_add_u32 v39, v39, 23, 0x3c000000
	v_and_b32_e32 v41, 0x80000000, v41
	v_or3_b32 v33, v33, v41, v39
	v_mov_b32_e32 v90, v34
	v_mov_b32_e32 v89, v33
.LBB192_191:                            ;   in Loop: Header=BB192_9 Depth=1
	s_or_b32 exec_lo, exec_lo, s34
.LBB192_192:                            ;   in Loop: Header=BB192_9 Depth=1
	s_or_b32 exec_lo, exec_lo, s33
.LBB192_193:                            ;   in Loop: Header=BB192_9 Depth=1
	s_or_b32 exec_lo, exec_lo, s4
	v_cmp_ne_u16_sdwa s3, v93, v34 src0_sel:BYTE_1 src1_sel:DWORD
	s_and_saveexec_b32 s4, s3
	s_cbranch_execz .LBB192_201
; %bb.194:                              ;   in Loop: Header=BB192_9 Depth=1
	s_waitcnt lgkmcnt(0)
	v_mov_b32_e32 v39, v34
	v_mov_b32_e32 v92, v40
	v_cmp_ne_u16_sdwa s3, v93, v116 src0_sel:BYTE_1 src1_sel:DWORD
	v_mov_b32_e32 v91, v39
	s_and_saveexec_b32 s33, s3
	s_cbranch_execz .LBB192_200
; %bb.195:                              ;   in Loop: Header=BB192_9 Depth=1
	v_and_b32_sdwa v33, v117, v93 dst_sel:DWORD dst_unused:UNUSED_PAD src0_sel:DWORD src1_sel:BYTE_1
	v_mov_b32_e32 v41, v34
	v_mov_b32_e32 v92, v42
	s_mov_b32 s34, exec_lo
	v_and_b32_e32 v94, 0x7f, v33
	v_mov_b32_e32 v91, v41
	v_cmpx_ne_u32_e32 0x7f, v94
	s_cbranch_execz .LBB192_199
; %bb.196:                              ;   in Loop: Header=BB192_9 Depth=1
	v_and_b32_e32 v33, 7, v33
	v_lshrrev_b32_e32 v39, 3, v94
	s_mov_b32 s35, exec_lo
	v_cmpx_gt_u32_e32 8, v94
; %bb.197:                              ;   in Loop: Header=BB192_9 Depth=1
	v_ffbh_u32_e32 v39, v33
	v_min_u32_e32 v39, 32, v39
	v_subrev_nc_u32_e32 v41, 28, v39
	v_sub_nc_u32_e32 v39, 29, v39
	v_lshlrev_b64 v[91:92], v41, v[33:34]
	v_and_b32_e32 v33, 7, v91
; %bb.198:                              ;   in Loop: Header=BB192_9 Depth=1
	s_or_b32 exec_lo, exec_lo, s35
	v_lshlrev_b32_e32 v41, 16, v93
	v_lshlrev_b32_e32 v33, 20, v33
	v_lshl_add_u32 v39, v39, 23, 0x3c000000
	v_mov_b32_e32 v91, v34
	v_and_b32_e32 v41, 0x80000000, v41
	v_or3_b32 v92, v33, v41, v39
.LBB192_199:                            ;   in Loop: Header=BB192_9 Depth=1
	s_or_b32 exec_lo, exec_lo, s34
.LBB192_200:                            ;   in Loop: Header=BB192_9 Depth=1
	s_or_b32 exec_lo, exec_lo, s33
.LBB192_201:                            ;   in Loop: Header=BB192_9 Depth=1
	s_or_b32 exec_lo, exec_lo, s4
	global_load_ushort v33, v[51:52], off offset:768
	v_mov_b32_e32 v95, 0
	v_mov_b32_e32 v93, 0
	;; [unrolled: 1-line block ×4, first 2 shown]
	s_waitcnt vmcnt(0)
	v_and_b32_e32 v97, 0xffff, v33
	v_cmp_ne_u16_sdwa s3, v33, v34 src0_sel:BYTE_0 src1_sel:DWORD
	s_and_saveexec_b32 s4, s3
	s_cbranch_execz .LBB192_209
; %bb.202:                              ;   in Loop: Header=BB192_9 Depth=1
	v_bfrev_b32_e32 v93, 1
	v_mov_b32_e32 v94, 0
	v_cmp_ne_u16_sdwa s3, v97, v116 src0_sel:BYTE_0 src1_sel:DWORD
	s_and_saveexec_b32 s33, s3
	s_cbranch_execz .LBB192_208
; %bb.203:                              ;   in Loop: Header=BB192_9 Depth=1
	v_mov_b32_e32 v93, 0x7f800001
	v_and_b32_e32 v41, 0x7f, v97
	v_mov_b32_e32 v94, 0
	s_mov_b32 s34, exec_lo
	v_cmpx_ne_u32_e32 0x7f, v41
	s_cbranch_execz .LBB192_207
; %bb.204:                              ;   in Loop: Header=BB192_9 Depth=1
	v_and_b32_e32 v33, 7, v97
	s_waitcnt lgkmcnt(0)
	v_lshrrev_b32_e32 v39, 3, v41
	s_mov_b32 s35, exec_lo
	v_cmpx_gt_u32_e32 8, v41
; %bb.205:                              ;   in Loop: Header=BB192_9 Depth=1
	v_ffbh_u32_e32 v39, v33
	v_min_u32_e32 v39, 32, v39
	v_subrev_nc_u32_e32 v41, 28, v39
	v_sub_nc_u32_e32 v39, 29, v39
	v_lshlrev_b64 v[93:94], v41, v[33:34]
	v_and_b32_e32 v33, 7, v93
; %bb.206:                              ;   in Loop: Header=BB192_9 Depth=1
	s_or_b32 exec_lo, exec_lo, s35
	v_lshlrev_b32_e32 v41, 24, v97
	v_lshlrev_b32_e32 v33, 20, v33
	v_lshl_add_u32 v39, v39, 23, 0x3c000000
	v_and_b32_e32 v41, 0x80000000, v41
	v_or3_b32 v33, v33, v41, v39
	v_mov_b32_e32 v94, v34
	v_mov_b32_e32 v93, v33
.LBB192_207:                            ;   in Loop: Header=BB192_9 Depth=1
	s_or_b32 exec_lo, exec_lo, s34
.LBB192_208:                            ;   in Loop: Header=BB192_9 Depth=1
	s_or_b32 exec_lo, exec_lo, s33
.LBB192_209:                            ;   in Loop: Header=BB192_9 Depth=1
	s_or_b32 exec_lo, exec_lo, s4
	v_cmp_ne_u16_sdwa s3, v97, v34 src0_sel:BYTE_1 src1_sel:DWORD
	s_and_saveexec_b32 s4, s3
	s_cbranch_execz .LBB192_217
; %bb.210:                              ;   in Loop: Header=BB192_9 Depth=1
	s_waitcnt lgkmcnt(0)
	v_mov_b32_e32 v39, v34
	v_mov_b32_e32 v96, v40
	v_cmp_ne_u16_sdwa s3, v97, v116 src0_sel:BYTE_1 src1_sel:DWORD
	v_mov_b32_e32 v95, v39
	s_and_saveexec_b32 s33, s3
	s_cbranch_execz .LBB192_216
; %bb.211:                              ;   in Loop: Header=BB192_9 Depth=1
	v_and_b32_sdwa v33, v117, v97 dst_sel:DWORD dst_unused:UNUSED_PAD src0_sel:DWORD src1_sel:BYTE_1
	v_mov_b32_e32 v41, v34
	v_mov_b32_e32 v96, v42
	s_mov_b32 s34, exec_lo
	v_and_b32_e32 v98, 0x7f, v33
	v_mov_b32_e32 v95, v41
	v_cmpx_ne_u32_e32 0x7f, v98
	s_cbranch_execz .LBB192_215
; %bb.212:                              ;   in Loop: Header=BB192_9 Depth=1
	v_and_b32_e32 v33, 7, v33
	v_lshrrev_b32_e32 v39, 3, v98
	s_mov_b32 s35, exec_lo
	v_cmpx_gt_u32_e32 8, v98
; %bb.213:                              ;   in Loop: Header=BB192_9 Depth=1
	v_ffbh_u32_e32 v39, v33
	v_min_u32_e32 v39, 32, v39
	v_subrev_nc_u32_e32 v41, 28, v39
	v_sub_nc_u32_e32 v39, 29, v39
	v_lshlrev_b64 v[95:96], v41, v[33:34]
	v_and_b32_e32 v33, 7, v95
; %bb.214:                              ;   in Loop: Header=BB192_9 Depth=1
	s_or_b32 exec_lo, exec_lo, s35
	v_lshlrev_b32_e32 v41, 16, v97
	v_lshlrev_b32_e32 v33, 20, v33
	v_lshl_add_u32 v39, v39, 23, 0x3c000000
	v_mov_b32_e32 v95, v34
	v_and_b32_e32 v41, 0x80000000, v41
	v_or3_b32 v96, v33, v41, v39
.LBB192_215:                            ;   in Loop: Header=BB192_9 Depth=1
	s_or_b32 exec_lo, exec_lo, s34
.LBB192_216:                            ;   in Loop: Header=BB192_9 Depth=1
	s_or_b32 exec_lo, exec_lo, s33
.LBB192_217:                            ;   in Loop: Header=BB192_9 Depth=1
	s_or_b32 exec_lo, exec_lo, s4
	global_load_ushort v33, v[51:52], off offset:772
	v_mov_b32_e32 v99, 0
	v_mov_b32_e32 v97, 0
	;; [unrolled: 1-line block ×4, first 2 shown]
	s_waitcnt vmcnt(0)
	v_and_b32_e32 v101, 0xffff, v33
	v_cmp_ne_u16_sdwa s3, v33, v34 src0_sel:BYTE_0 src1_sel:DWORD
	s_and_saveexec_b32 s4, s3
	s_cbranch_execz .LBB192_225
; %bb.218:                              ;   in Loop: Header=BB192_9 Depth=1
	v_bfrev_b32_e32 v97, 1
	v_mov_b32_e32 v98, 0
	v_cmp_ne_u16_sdwa s3, v101, v116 src0_sel:BYTE_0 src1_sel:DWORD
	s_and_saveexec_b32 s33, s3
	s_cbranch_execz .LBB192_224
; %bb.219:                              ;   in Loop: Header=BB192_9 Depth=1
	v_mov_b32_e32 v97, 0x7f800001
	v_and_b32_e32 v41, 0x7f, v101
	v_mov_b32_e32 v98, 0
	s_mov_b32 s34, exec_lo
	v_cmpx_ne_u32_e32 0x7f, v41
	s_cbranch_execz .LBB192_223
; %bb.220:                              ;   in Loop: Header=BB192_9 Depth=1
	v_and_b32_e32 v33, 7, v101
	s_waitcnt lgkmcnt(0)
	v_lshrrev_b32_e32 v39, 3, v41
	s_mov_b32 s35, exec_lo
	v_cmpx_gt_u32_e32 8, v41
; %bb.221:                              ;   in Loop: Header=BB192_9 Depth=1
	v_ffbh_u32_e32 v39, v33
	v_min_u32_e32 v39, 32, v39
	v_subrev_nc_u32_e32 v41, 28, v39
	v_sub_nc_u32_e32 v39, 29, v39
	v_lshlrev_b64 v[97:98], v41, v[33:34]
	v_and_b32_e32 v33, 7, v97
; %bb.222:                              ;   in Loop: Header=BB192_9 Depth=1
	s_or_b32 exec_lo, exec_lo, s35
	v_lshlrev_b32_e32 v41, 24, v101
	v_lshlrev_b32_e32 v33, 20, v33
	v_lshl_add_u32 v39, v39, 23, 0x3c000000
	v_and_b32_e32 v41, 0x80000000, v41
	v_or3_b32 v33, v33, v41, v39
	v_mov_b32_e32 v98, v34
	v_mov_b32_e32 v97, v33
.LBB192_223:                            ;   in Loop: Header=BB192_9 Depth=1
	s_or_b32 exec_lo, exec_lo, s34
.LBB192_224:                            ;   in Loop: Header=BB192_9 Depth=1
	s_or_b32 exec_lo, exec_lo, s33
.LBB192_225:                            ;   in Loop: Header=BB192_9 Depth=1
	s_or_b32 exec_lo, exec_lo, s4
	v_cmp_ne_u16_sdwa s3, v101, v34 src0_sel:BYTE_1 src1_sel:DWORD
	s_and_saveexec_b32 s4, s3
	s_cbranch_execz .LBB192_233
; %bb.226:                              ;   in Loop: Header=BB192_9 Depth=1
	s_waitcnt lgkmcnt(0)
	v_mov_b32_e32 v39, v34
	v_mov_b32_e32 v100, v40
	v_cmp_ne_u16_sdwa s3, v101, v116 src0_sel:BYTE_1 src1_sel:DWORD
	v_mov_b32_e32 v99, v39
	s_and_saveexec_b32 s33, s3
	s_cbranch_execz .LBB192_232
; %bb.227:                              ;   in Loop: Header=BB192_9 Depth=1
	v_and_b32_sdwa v33, v117, v101 dst_sel:DWORD dst_unused:UNUSED_PAD src0_sel:DWORD src1_sel:BYTE_1
	v_mov_b32_e32 v41, v34
	v_mov_b32_e32 v100, v42
	s_mov_b32 s34, exec_lo
	v_and_b32_e32 v102, 0x7f, v33
	v_mov_b32_e32 v99, v41
	v_cmpx_ne_u32_e32 0x7f, v102
	s_cbranch_execz .LBB192_231
; %bb.228:                              ;   in Loop: Header=BB192_9 Depth=1
	v_and_b32_e32 v33, 7, v33
	v_lshrrev_b32_e32 v39, 3, v102
	s_mov_b32 s35, exec_lo
	v_cmpx_gt_u32_e32 8, v102
; %bb.229:                              ;   in Loop: Header=BB192_9 Depth=1
	v_ffbh_u32_e32 v39, v33
	v_min_u32_e32 v39, 32, v39
	v_subrev_nc_u32_e32 v41, 28, v39
	v_sub_nc_u32_e32 v39, 29, v39
	v_lshlrev_b64 v[99:100], v41, v[33:34]
	v_and_b32_e32 v33, 7, v99
; %bb.230:                              ;   in Loop: Header=BB192_9 Depth=1
	s_or_b32 exec_lo, exec_lo, s35
	v_lshlrev_b32_e32 v41, 16, v101
	v_lshlrev_b32_e32 v33, 20, v33
	v_lshl_add_u32 v39, v39, 23, 0x3c000000
	v_mov_b32_e32 v99, v34
	v_and_b32_e32 v41, 0x80000000, v41
	v_or3_b32 v100, v33, v41, v39
.LBB192_231:                            ;   in Loop: Header=BB192_9 Depth=1
	s_or_b32 exec_lo, exec_lo, s34
.LBB192_232:                            ;   in Loop: Header=BB192_9 Depth=1
	s_or_b32 exec_lo, exec_lo, s33
.LBB192_233:                            ;   in Loop: Header=BB192_9 Depth=1
	s_or_b32 exec_lo, exec_lo, s4
	global_load_ushort v33, v[51:52], off offset:776
	v_mov_b32_e32 v103, 0
	v_mov_b32_e32 v101, 0
	;; [unrolled: 1-line block ×4, first 2 shown]
	s_waitcnt vmcnt(0)
	v_and_b32_e32 v105, 0xffff, v33
	v_cmp_ne_u16_sdwa s3, v33, v34 src0_sel:BYTE_0 src1_sel:DWORD
	s_and_saveexec_b32 s4, s3
	s_cbranch_execz .LBB192_241
; %bb.234:                              ;   in Loop: Header=BB192_9 Depth=1
	v_bfrev_b32_e32 v101, 1
	v_mov_b32_e32 v102, 0
	v_cmp_ne_u16_sdwa s3, v105, v116 src0_sel:BYTE_0 src1_sel:DWORD
	s_and_saveexec_b32 s33, s3
	s_cbranch_execz .LBB192_240
; %bb.235:                              ;   in Loop: Header=BB192_9 Depth=1
	v_mov_b32_e32 v101, 0x7f800001
	v_and_b32_e32 v41, 0x7f, v105
	v_mov_b32_e32 v102, 0
	s_mov_b32 s34, exec_lo
	v_cmpx_ne_u32_e32 0x7f, v41
	s_cbranch_execz .LBB192_239
; %bb.236:                              ;   in Loop: Header=BB192_9 Depth=1
	v_and_b32_e32 v33, 7, v105
	s_waitcnt lgkmcnt(0)
	v_lshrrev_b32_e32 v39, 3, v41
	s_mov_b32 s35, exec_lo
	v_cmpx_gt_u32_e32 8, v41
; %bb.237:                              ;   in Loop: Header=BB192_9 Depth=1
	v_ffbh_u32_e32 v39, v33
	v_min_u32_e32 v39, 32, v39
	v_subrev_nc_u32_e32 v41, 28, v39
	v_sub_nc_u32_e32 v39, 29, v39
	v_lshlrev_b64 v[101:102], v41, v[33:34]
	v_and_b32_e32 v33, 7, v101
; %bb.238:                              ;   in Loop: Header=BB192_9 Depth=1
	s_or_b32 exec_lo, exec_lo, s35
	v_lshlrev_b32_e32 v41, 24, v105
	v_lshlrev_b32_e32 v33, 20, v33
	v_lshl_add_u32 v39, v39, 23, 0x3c000000
	v_and_b32_e32 v41, 0x80000000, v41
	v_or3_b32 v33, v33, v41, v39
	v_mov_b32_e32 v102, v34
	v_mov_b32_e32 v101, v33
.LBB192_239:                            ;   in Loop: Header=BB192_9 Depth=1
	s_or_b32 exec_lo, exec_lo, s34
.LBB192_240:                            ;   in Loop: Header=BB192_9 Depth=1
	s_or_b32 exec_lo, exec_lo, s33
.LBB192_241:                            ;   in Loop: Header=BB192_9 Depth=1
	s_or_b32 exec_lo, exec_lo, s4
	v_cmp_ne_u16_sdwa s3, v105, v34 src0_sel:BYTE_1 src1_sel:DWORD
	s_and_saveexec_b32 s4, s3
	s_cbranch_execz .LBB192_249
; %bb.242:                              ;   in Loop: Header=BB192_9 Depth=1
	s_waitcnt lgkmcnt(0)
	v_mov_b32_e32 v39, v34
	v_mov_b32_e32 v104, v40
	v_cmp_ne_u16_sdwa s3, v105, v116 src0_sel:BYTE_1 src1_sel:DWORD
	v_mov_b32_e32 v103, v39
	s_and_saveexec_b32 s33, s3
	s_cbranch_execz .LBB192_248
; %bb.243:                              ;   in Loop: Header=BB192_9 Depth=1
	v_and_b32_sdwa v33, v117, v105 dst_sel:DWORD dst_unused:UNUSED_PAD src0_sel:DWORD src1_sel:BYTE_1
	v_mov_b32_e32 v41, v34
	v_mov_b32_e32 v104, v42
	s_mov_b32 s34, exec_lo
	v_and_b32_e32 v106, 0x7f, v33
	v_mov_b32_e32 v103, v41
	v_cmpx_ne_u32_e32 0x7f, v106
	s_cbranch_execz .LBB192_247
; %bb.244:                              ;   in Loop: Header=BB192_9 Depth=1
	v_and_b32_e32 v33, 7, v33
	v_lshrrev_b32_e32 v39, 3, v106
	s_mov_b32 s35, exec_lo
	v_cmpx_gt_u32_e32 8, v106
; %bb.245:                              ;   in Loop: Header=BB192_9 Depth=1
	v_ffbh_u32_e32 v39, v33
	v_min_u32_e32 v39, 32, v39
	v_subrev_nc_u32_e32 v41, 28, v39
	v_sub_nc_u32_e32 v39, 29, v39
	v_lshlrev_b64 v[103:104], v41, v[33:34]
	v_and_b32_e32 v33, 7, v103
; %bb.246:                              ;   in Loop: Header=BB192_9 Depth=1
	s_or_b32 exec_lo, exec_lo, s35
	v_lshlrev_b32_e32 v41, 16, v105
	v_lshlrev_b32_e32 v33, 20, v33
	v_lshl_add_u32 v39, v39, 23, 0x3c000000
	v_mov_b32_e32 v103, v34
	v_and_b32_e32 v41, 0x80000000, v41
	v_or3_b32 v104, v33, v41, v39
.LBB192_247:                            ;   in Loop: Header=BB192_9 Depth=1
	s_or_b32 exec_lo, exec_lo, s34
.LBB192_248:                            ;   in Loop: Header=BB192_9 Depth=1
	s_or_b32 exec_lo, exec_lo, s33
.LBB192_249:                            ;   in Loop: Header=BB192_9 Depth=1
	s_or_b32 exec_lo, exec_lo, s4
	global_load_ushort v33, v[51:52], off offset:780
	v_mov_b32_e32 v105, 0
	v_mov_b32_e32 v51, 0
	;; [unrolled: 1-line block ×4, first 2 shown]
	s_waitcnt vmcnt(0)
	v_and_b32_e32 v119, 0xffff, v33
	v_cmp_ne_u16_sdwa s3, v33, v34 src0_sel:BYTE_0 src1_sel:DWORD
	s_and_saveexec_b32 s4, s3
	s_cbranch_execz .LBB192_257
; %bb.250:                              ;   in Loop: Header=BB192_9 Depth=1
	v_bfrev_b32_e32 v51, 1
	v_mov_b32_e32 v52, 0
	v_cmp_ne_u16_sdwa s3, v119, v116 src0_sel:BYTE_0 src1_sel:DWORD
	s_and_saveexec_b32 s33, s3
	s_cbranch_execz .LBB192_256
; %bb.251:                              ;   in Loop: Header=BB192_9 Depth=1
	v_mov_b32_e32 v51, 0x7f800001
	v_and_b32_e32 v41, 0x7f, v119
	v_mov_b32_e32 v52, 0
	s_mov_b32 s34, exec_lo
	v_cmpx_ne_u32_e32 0x7f, v41
	s_cbranch_execz .LBB192_255
; %bb.252:                              ;   in Loop: Header=BB192_9 Depth=1
	v_and_b32_e32 v33, 7, v119
	s_waitcnt lgkmcnt(0)
	v_lshrrev_b32_e32 v39, 3, v41
	s_mov_b32 s35, exec_lo
	v_cmpx_gt_u32_e32 8, v41
; %bb.253:                              ;   in Loop: Header=BB192_9 Depth=1
	v_ffbh_u32_e32 v39, v33
	v_min_u32_e32 v39, 32, v39
	v_subrev_nc_u32_e32 v41, 28, v39
	v_sub_nc_u32_e32 v39, 29, v39
	v_lshlrev_b64 v[51:52], v41, v[33:34]
	v_and_b32_e32 v33, 7, v51
; %bb.254:                              ;   in Loop: Header=BB192_9 Depth=1
	s_or_b32 exec_lo, exec_lo, s35
	v_lshlrev_b32_e32 v41, 24, v119
	v_lshlrev_b32_e32 v33, 20, v33
	v_lshl_add_u32 v39, v39, 23, 0x3c000000
	v_and_b32_e32 v41, 0x80000000, v41
	v_or3_b32 v33, v33, v41, v39
	v_mov_b32_e32 v52, v34
	v_mov_b32_e32 v51, v33
.LBB192_255:                            ;   in Loop: Header=BB192_9 Depth=1
	s_or_b32 exec_lo, exec_lo, s34
.LBB192_256:                            ;   in Loop: Header=BB192_9 Depth=1
	s_or_b32 exec_lo, exec_lo, s33
.LBB192_257:                            ;   in Loop: Header=BB192_9 Depth=1
	s_or_b32 exec_lo, exec_lo, s4
	v_cmp_ne_u16_sdwa s3, v119, v34 src0_sel:BYTE_1 src1_sel:DWORD
	s_and_saveexec_b32 s4, s3
	s_cbranch_execz .LBB192_265
; %bb.258:                              ;   in Loop: Header=BB192_9 Depth=1
	s_waitcnt lgkmcnt(0)
	v_mov_b32_e32 v39, v34
	v_mov_b32_e32 v106, v40
	v_cmp_ne_u16_sdwa s3, v119, v116 src0_sel:BYTE_1 src1_sel:DWORD
	v_mov_b32_e32 v105, v39
	s_and_saveexec_b32 s33, s3
	s_cbranch_execz .LBB192_264
; %bb.259:                              ;   in Loop: Header=BB192_9 Depth=1
	v_and_b32_sdwa v33, v117, v119 dst_sel:DWORD dst_unused:UNUSED_PAD src0_sel:DWORD src1_sel:BYTE_1
	v_mov_b32_e32 v41, v34
	v_mov_b32_e32 v106, v42
	s_mov_b32 s34, exec_lo
	v_and_b32_e32 v120, 0x7f, v33
	v_mov_b32_e32 v105, v41
	v_cmpx_ne_u32_e32 0x7f, v120
	s_cbranch_execz .LBB192_263
; %bb.260:                              ;   in Loop: Header=BB192_9 Depth=1
	v_and_b32_e32 v33, 7, v33
	v_lshrrev_b32_e32 v39, 3, v120
	s_mov_b32 s35, exec_lo
	v_cmpx_gt_u32_e32 8, v120
; %bb.261:                              ;   in Loop: Header=BB192_9 Depth=1
	v_ffbh_u32_e32 v39, v33
	v_min_u32_e32 v39, 32, v39
	v_subrev_nc_u32_e32 v41, 28, v39
	v_sub_nc_u32_e32 v39, 29, v39
	v_lshlrev_b64 v[105:106], v41, v[33:34]
	v_and_b32_e32 v33, 7, v105
; %bb.262:                              ;   in Loop: Header=BB192_9 Depth=1
	s_or_b32 exec_lo, exec_lo, s35
	v_lshlrev_b32_e32 v41, 16, v119
	v_lshlrev_b32_e32 v33, 20, v33
	v_lshl_add_u32 v39, v39, 23, 0x3c000000
	v_mov_b32_e32 v105, v34
	v_and_b32_e32 v41, 0x80000000, v41
	v_or3_b32 v106, v33, v41, v39
.LBB192_263:                            ;   in Loop: Header=BB192_9 Depth=1
	s_or_b32 exec_lo, exec_lo, s34
.LBB192_264:                            ;   in Loop: Header=BB192_9 Depth=1
	s_or_b32 exec_lo, exec_lo, s33
.LBB192_265:                            ;   in Loop: Header=BB192_9 Depth=1
	s_or_b32 exec_lo, exec_lo, s4
	v_or_b32_e32 v47, v49, v47
	v_or_b32_e32 v48, v50, v48
	;; [unrolled: 1-line block ×5, first 2 shown]
	v_mul_f32_e32 v45, s5, v47
	v_mul_f32_e32 v46, s31, v48
	v_or_b32_e32 v47, v55, v53
	v_mul_f32_e32 v44, s31, v44
	v_mul_f32_e32 v43, s5, v43
	;; [unrolled: 1-line block ×4, first 2 shown]
	v_or_b32_e32 v58, v60, v58
	v_or_b32_e32 v48, v59, v57
	v_mul_f32_e32 v49, s31, v49
	v_mul_f32_e32 v47, s5, v47
	v_fmac_f32_e32 v45, v1, v43
	v_fmac_f32_e32 v46, v2, v44
	v_or_b32_e32 v62, v64, v62
	v_or_b32_e32 v43, v63, v61
	v_mul_f32_e32 v44, s31, v58
	v_mul_f32_e32 v48, s5, v48
	v_fmac_f32_e32 v45, v5, v47
	v_fmac_f32_e32 v46, v6, v49
	;; [unrolled: 6-line block ×11, first 2 shown]
	v_or_b32_e32 v33, v104, v102
	s_waitcnt lgkmcnt(0)
	v_or_b32_e32 v39, v103, v101
	v_mul_f32_e32 v41, s31, v41
	v_mul_f32_e32 v43, s5, v43
	v_fmac_f32_e32 v45, v25, v44
	v_fmac_f32_e32 v46, v26, v49
	v_mul_f32_e32 v33, s31, v33
	v_mul_f32_e32 v39, s5, v39
	v_or_b32_e32 v44, v106, v52
	v_or_b32_e32 v47, v105, v51
	v_fmac_f32_e32 v45, v27, v43
	v_fmac_f32_e32 v46, v28, v41
	v_mul_f32_e32 v41, s31, v44
	v_mul_f32_e32 v43, s5, v47
	v_fmac_f32_e32 v45, v29, v39
	v_fmac_f32_e32 v46, v30, v33
	v_fmac_f32_e32 v45, v31, v43
	v_fmac_f32_e32 v46, v32, v41
	v_add_f32_e32 v33, v45, v46
	ds_bpermute_b32 v39, v113, v33
	s_and_saveexec_b32 s4, vcc_lo
	s_cbranch_execz .LBB192_8
; %bb.266:                              ;   in Loop: Header=BB192_9 Depth=1
	v_add_nc_u32_e32 v41, s16, v114
	s_waitcnt lgkmcnt(0)
	v_add_f32_e32 v33, v33, v39
	v_cmp_gt_i32_e64 s3, s11, v114
	v_cvt_f32_i32_e32 v41, v41
	v_mul_f32_e32 v41, s28, v41
	v_cndmask_b32_e64 v39, 0, v41, s2
	v_max_f32_e32 v41, v112, v112
	v_fmac_f32_e32 v39, s29, v33
	v_max_f32_e32 v33, v41, v39
	v_cndmask_b32_e64 v39, 0, v39, s3
	v_cndmask_b32_e64 v112, v112, v33, s3
	ds_write_b32 v115, v39
	s_branch .LBB192_8
.LBB192_267:
	s_or_b32 exec_lo, exec_lo, s17
.LBB192_268:
	s_or_b32 exec_lo, exec_lo, s15
	v_xor_b32_e32 v1, 16, v110
	v_xor_b32_e32 v3, 8, v110
	v_max_f32_e32 v4, v112, v112
	v_xor_b32_e32 v5, 4, v110
	v_and_b32_e32 v25, 31, v0
	v_cmp_lt_i32_e32 vcc_lo, v1, v111
	v_cndmask_b32_e32 v1, v110, v1, vcc_lo
	v_cmp_lt_i32_e32 vcc_lo, v3, v111
	v_lshlrev_b32_e32 v1, 2, v1
	v_cndmask_b32_e32 v3, v110, v3, vcc_lo
	v_cmp_lt_i32_e32 vcc_lo, v5, v111
	ds_bpermute_b32 v2, v1, v112
	v_lshlrev_b32_e32 v3, 2, v3
	v_cndmask_b32_e32 v5, v110, v5, vcc_lo
	s_waitcnt lgkmcnt(0)
	v_max_f32_e32 v2, v2, v2
	v_max_f32_e32 v2, v4, v2
	ds_bpermute_b32 v4, v3, v2
	s_waitcnt lgkmcnt(0)
	v_max_f32_e32 v6, v4, v4
	v_lshlrev_b32_e32 v4, 2, v5
	v_max_f32_e32 v2, v2, v6
	v_xor_b32_e32 v6, 2, v110
	ds_bpermute_b32 v5, v4, v2
	v_cmp_lt_i32_e32 vcc_lo, v6, v111
	v_cndmask_b32_e32 v6, v110, v6, vcc_lo
	v_cmp_eq_u32_e32 vcc_lo, 0, v25
	v_lshlrev_b32_e32 v26, 2, v6
	s_waitcnt lgkmcnt(0)
	v_max_f32_e32 v5, v5, v5
	v_max_f32_e32 v2, v2, v5
	v_lshlrev_b32_e32 v5, 2, v107
	ds_bpermute_b32 v6, v26, v2
	s_and_saveexec_b32 s2, vcc_lo
	s_cbranch_execz .LBB192_270
; %bb.269:
	s_waitcnt lgkmcnt(0)
	v_max_f32_e32 v6, v6, v6
	v_max_f32_e32 v2, v2, v2
	;; [unrolled: 1-line block ×3, first 2 shown]
	ds_write_b32 v5, v2 offset:256
.LBB192_270:
	s_or_b32 exec_lo, exec_lo, s2
	v_cmp_gt_u32_e64 s2, 4, v25
	v_mov_b32_e32 v2, 0xff7fffff
	s_waitcnt lgkmcnt(0)
	v_lshlrev_b32_e32 v6, 2, v25
	s_barrier
	buffer_gl0_inv
	s_and_saveexec_b32 s3, s2
; %bb.271:
	ds_read_b32 v2, v6 offset:256
; %bb.272:
	s_or_b32 exec_lo, exec_lo, s3
	s_waitcnt lgkmcnt(0)
	ds_bpermute_b32 v7, v26, v2
	v_xor_b32_e32 v8, 1, v110
	v_max_f32_e32 v2, v2, v2
	v_cmp_lt_i32_e64 s3, v8, v111
	v_cndmask_b32_e64 v8, v110, v8, s3
	s_lshl_b32 s3, s12, 4
	s_min_i32 s5, s3, s11
	v_lshlrev_b32_e32 v27, 2, v8
	v_cmp_gt_i32_e64 s3, s5, v0
	s_waitcnt lgkmcnt(0)
	v_max_f32_e32 v7, v7, v7
	v_max_f32_e32 v2, v2, v7
	ds_bpermute_b32 v7, v27, v2
	s_waitcnt lgkmcnt(0)
	v_max_f32_e32 v7, v7, v7
	v_max_f32_e32 v2, v2, v7
	v_lshlrev_b32_e32 v7, 2, v34
	ds_bpermute_b32 v8, v7, v2
	v_mov_b32_e32 v7, 0
	v_lshl_add_u32 v2, v0, 2, 0x120
	s_and_saveexec_b32 s15, s3
	s_cbranch_execz .LBB192_276
; %bb.273:
	v_lshl_add_u32 v9, v0, 2, 0x120
	v_mov_b32_e32 v7, 0
	v_mov_b32_e32 v10, v0
	s_mov_b32 s16, 0
	.p2align	6
.LBB192_274:                            ; =>This Inner Loop Header: Depth=1
	ds_read_b32 v11, v9
	v_add_nc_u32_e32 v10, 0x80, v10
	v_cmp_le_i32_e64 s4, s5, v10
	s_or_b32 s16, s4, s16
	s_waitcnt lgkmcnt(0)
	v_sub_f32_e32 v11, v11, v8
	v_mul_f32_e32 v11, 0x3fb8aa3b, v11
	v_exp_f32_e32 v11, v11
	ds_write_b32 v9, v11
	v_add_f32_e32 v7, v7, v11
	v_add_nc_u32_e32 v9, 0x200, v9
	s_andn2_b32 exec_lo, exec_lo, s16
	s_cbranch_execnz .LBB192_274
; %bb.275:
	s_or_b32 exec_lo, exec_lo, s16
.LBB192_276:
	s_or_b32 exec_lo, exec_lo, s15
	ds_bpermute_b32 v1, v1, v7
	s_waitcnt lgkmcnt(0)
	v_add_f32_e32 v1, v7, v1
	ds_bpermute_b32 v3, v3, v1
	s_waitcnt lgkmcnt(0)
	v_add_f32_e32 v1, v1, v3
	;; [unrolled: 3-line block ×5, first 2 shown]
	s_and_saveexec_b32 s4, vcc_lo
; %bb.277:
	ds_write_b32 v5, v1 offset:272
; %bb.278:
	s_or_b32 exec_lo, exec_lo, s4
	s_waitcnt lgkmcnt(0)
	s_barrier
	buffer_gl0_inv
	s_and_saveexec_b32 s4, s2
; %bb.279:
	ds_read_b32 v1, v6 offset:272
; %bb.280:
	s_or_b32 exec_lo, exec_lo, s4
	s_waitcnt lgkmcnt(0)
	ds_bpermute_b32 v3, v26, v1
	v_lshlrev_b32_e32 v4, 2, v110
	s_waitcnt lgkmcnt(0)
	v_add_f32_e32 v1, v1, v3
	ds_bpermute_b32 v3, v27, v1
	s_waitcnt lgkmcnt(0)
	v_add_f32_e32 v1, v1, v3
	v_and_b32_e32 v3, 0xffffff80, v4
	ds_bpermute_b32 v1, v3, v1
	s_and_saveexec_b32 s2, s3
	s_cbranch_execz .LBB192_283
; %bb.281:
	s_waitcnt lgkmcnt(0)
	v_add_f32_e32 v1, 0x358637bd, v1
	s_mov_b32 s3, 0
	v_div_scale_f32 v3, null, v1, v1, 1.0
	v_div_scale_f32 v6, vcc_lo, 1.0, v1, 1.0
	v_rcp_f32_e32 v4, v3
	v_fma_f32 v5, -v3, v4, 1.0
	v_fmac_f32_e32 v4, v5, v4
	v_mul_f32_e32 v5, v6, v4
	v_fma_f32 v7, -v3, v5, v6
	v_fmac_f32_e32 v5, v7, v4
	v_fma_f32 v3, -v3, v5, v6
	v_div_fmas_f32 v3, v3, v4, v5
	v_div_fixup_f32 v1, v3, v1, 1.0
	v_mov_b32_e32 v3, v0
.LBB192_282:                            ; =>This Inner Loop Header: Depth=1
	ds_read_b32 v4, v2
	v_add_nc_u32_e32 v3, 0x80, v3
	v_cmp_le_i32_e32 vcc_lo, s5, v3
	s_or_b32 s3, vcc_lo, s3
	s_waitcnt lgkmcnt(0)
	v_mul_f32_e32 v4, v1, v4
	ds_write_b32 v2, v4
	v_add_nc_u32_e32 v2, 0x200, v2
	s_andn2_b32 exec_lo, exec_lo, s3
	s_cbranch_execnz .LBB192_282
.LBB192_283:
	s_or_b32 exec_lo, exec_lo, s2
	v_mov_b32_e32 v34, 0
	v_and_b32_e32 v28, 3, v0
	v_mov_b32_e32 v36, 0
	v_mov_b32_e32 v35, 0
	;; [unrolled: 1-line block ×7, first 2 shown]
	s_waitcnt lgkmcnt(0)
	s_barrier
	buffer_gl0_inv
	s_and_saveexec_b32 s2, s1
	s_cbranch_execz .LBB192_559
; %bb.284:
	s_load_dword s3, s[18:19], 0x0
	v_and_b32_e32 v1, 12, v108
	v_lshlrev_b32_e32 v4, 4, v107
	v_and_b32_e32 v2, 0x7c, v108
	v_lshlrev_b32_e32 v3, 4, v28
	s_ashr_i32 s1, s14, 31
	s_add_u32 s5, s26, s14
	v_or3_b32 v37, v4, v1, 3
	v_and_b32_e32 v1, 0x7c, v109
	s_addc_u32 s1, s27, s1
	v_add_co_u32 v7, s5, s5, v2
	s_lshl_b64 s[14:15], s[24:25], 2
	s_add_i32 s4, s12, -1
	v_lshl_or_b32 v3, v107, 6, v3
	v_add_co_ci_u32_e64 v8, null, s1, 0, s5
	s_add_u32 s1, s22, s14
	s_addc_u32 s5, s23, s15
	v_add_co_u32 v9, s1, s1, v1
	v_mov_b32_e32 v6, 0
	v_add_nc_u32_e32 v38, 0x120, v3
	v_add_co_ci_u32_e64 v10, null, s5, 0, s1
	v_mov_b32_e32 v39, 0x80
	v_bfrev_b32_e32 v12, 1
	v_mov_b32_e32 v40, 0xffff
	v_mov_b32_e32 v14, 0x7f800001
	;; [unrolled: 1-line block ×14, first 2 shown]
	s_mov_b32 s5, s13
	s_waitcnt lgkmcnt(0)
	s_mov_b32 s14, s3
	s_mov_b32 s13, 0
	s_branch .LBB192_286
.LBB192_285:                            ;   in Loop: Header=BB192_286 Depth=1
	s_or_b32 exec_lo, exec_lo, s1
	s_waitcnt lgkmcnt(0)
	v_mul_f32_e32 v16, v1, v73
	v_mul_f32_e32 v17, v1, v71
	;; [unrolled: 1-line block ×8, first 2 shown]
	v_fmac_f32_e32 v16, v2, v72
	v_fmac_f32_e32 v17, v2, v70
	;; [unrolled: 1-line block ×16, first 2 shown]
	v_add_nc_u32_e32 v44, 4, v44
	v_fmac_f32_e32 v16, v4, v23
	v_fmac_f32_e32 v17, v4, v68
	;; [unrolled: 1-line block ×8, first 2 shown]
	v_cmp_le_i32_e32 vcc_lo, s12, v44
	v_add_co_u32 v9, s1, v9, 16
	v_add_f32_e32 v30, v30, v16
	v_add_f32_e32 v31, v31, v17
	;; [unrolled: 1-line block ×8, first 2 shown]
	v_add_nc_u32_e32 v37, 64, v37
	v_add_nc_u32_e32 v38, 0x100, v38
	v_add_co_ci_u32_e64 v10, null, 0, v10, s1
	s_or_b32 s13, vcc_lo, s13
	s_andn2_b32 exec_lo, exec_lo, s13
	s_cbranch_execz .LBB192_558
.LBB192_286:                            ; =>This Inner Loop Header: Depth=1
	global_load_dword v1, v[9:10], off
	v_mov_b32_e32 v19, 0
	v_mov_b32_e32 v17, 0
	;; [unrolled: 1-line block ×4, first 2 shown]
	s_waitcnt vmcnt(0)
	v_mad_i64_i32 v[15:16], null, v1, s5, v[7:8]
	ds_read_b128 v[1:4], v38
	global_load_dword v45, v[15:16], off
	s_waitcnt vmcnt(0)
	v_cmp_ne_u16_sdwa s15, v45, v6 src0_sel:BYTE_0 src1_sel:DWORD
	s_and_saveexec_b32 s1, s15
	s_cbranch_execz .LBB192_294
; %bb.287:                              ;   in Loop: Header=BB192_286 Depth=1
	v_bfrev_b32_e32 v17, 1
	v_mov_b32_e32 v18, 0
	v_cmp_ne_u16_sdwa s16, v45, v39 src0_sel:BYTE_0 src1_sel:DWORD
	s_and_saveexec_b32 s15, s16
	s_cbranch_execz .LBB192_293
; %bb.288:                              ;   in Loop: Header=BB192_286 Depth=1
	v_mov_b32_e32 v17, 0x7f800001
	v_and_b32_e32 v13, 0x7f, v45
	v_mov_b32_e32 v18, 0
	s_mov_b32 s16, exec_lo
	v_cmpx_ne_u32_e32 0x7f, v13
	s_cbranch_execz .LBB192_292
; %bb.289:                              ;   in Loop: Header=BB192_286 Depth=1
	v_and_b32_e32 v5, 7, v45
	v_lshrrev_b32_e32 v11, 3, v13
	s_mov_b32 s17, exec_lo
	v_cmpx_gt_u32_e32 8, v13
; %bb.290:                              ;   in Loop: Header=BB192_286 Depth=1
	v_ffbh_u32_e32 v11, v5
	v_min_u32_e32 v11, 32, v11
	v_subrev_nc_u32_e32 v13, 28, v11
	v_sub_nc_u32_e32 v11, 29, v11
	v_lshlrev_b64 v[17:18], v13, v[5:6]
	v_and_b32_e32 v5, 7, v17
; %bb.291:                              ;   in Loop: Header=BB192_286 Depth=1
	s_or_b32 exec_lo, exec_lo, s17
	v_lshlrev_b32_e32 v13, 24, v45
	v_lshlrev_b32_e32 v5, 20, v5
	v_lshl_add_u32 v11, v11, 23, 0x3c000000
	v_and_b32_e32 v13, 0x80000000, v13
	v_or3_b32 v5, v5, v13, v11
	v_mov_b32_e32 v18, v6
	v_mov_b32_e32 v17, v5
.LBB192_292:                            ;   in Loop: Header=BB192_286 Depth=1
	s_or_b32 exec_lo, exec_lo, s16
.LBB192_293:                            ;   in Loop: Header=BB192_286 Depth=1
	s_or_b32 exec_lo, exec_lo, s15
.LBB192_294:                            ;   in Loop: Header=BB192_286 Depth=1
	s_or_b32 exec_lo, exec_lo, s1
	v_cmp_ne_u16_sdwa s15, v45, v6 src0_sel:BYTE_1 src1_sel:DWORD
	s_and_saveexec_b32 s1, s15
	s_cbranch_execz .LBB192_302
; %bb.295:                              ;   in Loop: Header=BB192_286 Depth=1
	v_mov_b32_e32 v11, v6
	v_mov_b32_e32 v20, v12
	v_cmp_ne_u16_sdwa s16, v45, v39 src0_sel:BYTE_1 src1_sel:DWORD
	v_mov_b32_e32 v19, v11
	s_and_saveexec_b32 s15, s16
	s_cbranch_execz .LBB192_301
; %bb.296:                              ;   in Loop: Header=BB192_286 Depth=1
	v_and_b32_sdwa v5, v40, v45 dst_sel:DWORD dst_unused:UNUSED_PAD src0_sel:DWORD src1_sel:BYTE_1
	v_mov_b32_e32 v13, v6
	v_mov_b32_e32 v20, v14
	s_mov_b32 s16, exec_lo
	v_and_b32_e32 v21, 0x7f, v5
	v_mov_b32_e32 v19, v13
	v_cmpx_ne_u32_e32 0x7f, v21
	s_cbranch_execz .LBB192_300
; %bb.297:                              ;   in Loop: Header=BB192_286 Depth=1
	v_and_b32_e32 v5, 7, v5
	v_lshrrev_b32_e32 v11, 3, v21
	s_mov_b32 s17, exec_lo
	v_cmpx_gt_u32_e32 8, v21
; %bb.298:                              ;   in Loop: Header=BB192_286 Depth=1
	v_ffbh_u32_e32 v11, v5
	v_min_u32_e32 v11, 32, v11
	v_subrev_nc_u32_e32 v13, 28, v11
	v_sub_nc_u32_e32 v11, 29, v11
	v_lshlrev_b64 v[19:20], v13, v[5:6]
	v_and_b32_e32 v5, 7, v19
; %bb.299:                              ;   in Loop: Header=BB192_286 Depth=1
	s_or_b32 exec_lo, exec_lo, s17
	v_lshlrev_b32_e32 v13, 16, v45
	v_lshlrev_b32_e32 v5, 20, v5
	v_lshl_add_u32 v11, v11, 23, 0x3c000000
	v_mov_b32_e32 v19, v6
	v_and_b32_e32 v13, 0x80000000, v13
	v_or3_b32 v20, v5, v13, v11
.LBB192_300:                            ;   in Loop: Header=BB192_286 Depth=1
	s_or_b32 exec_lo, exec_lo, s16
.LBB192_301:                            ;   in Loop: Header=BB192_286 Depth=1
	s_or_b32 exec_lo, exec_lo, s15
.LBB192_302:                            ;   in Loop: Header=BB192_286 Depth=1
	s_or_b32 exec_lo, exec_lo, s1
	v_mov_b32_e32 v23, 0
	v_mov_b32_e32 v21, 0
	v_and_b32_sdwa v5, v45, v41 dst_sel:DWORD dst_unused:UNUSED_PAD src0_sel:WORD_1 src1_sel:DWORD
	v_mov_b32_e32 v24, 0
	v_mov_b32_e32 v22, 0
	s_mov_b32 s1, exec_lo
	v_cmpx_ne_u16_e32 0, v5
	s_cbranch_execz .LBB192_310
; %bb.303:                              ;   in Loop: Header=BB192_286 Depth=1
	v_bfrev_b32_e32 v21, 1
	v_mov_b32_e32 v22, 0
	s_mov_b32 s15, exec_lo
	v_cmpx_ne_u16_e32 0x80, v5
	s_cbranch_execz .LBB192_309
; %bb.304:                              ;   in Loop: Header=BB192_286 Depth=1
	v_mov_b32_e32 v21, 0x7f800001
	v_bfe_u32 v13, v45, 16, 7
	v_mov_b32_e32 v22, 0
	s_mov_b32 s16, exec_lo
	v_cmpx_ne_u32_e32 0x7f, v13
	s_cbranch_execz .LBB192_308
; %bb.305:                              ;   in Loop: Header=BB192_286 Depth=1
	v_and_b32_sdwa v5, v45, v42 dst_sel:DWORD dst_unused:UNUSED_PAD src0_sel:WORD_1 src1_sel:DWORD
	v_lshrrev_b32_e32 v11, 3, v13
	s_mov_b32 s17, exec_lo
	v_cmpx_gt_u32_e32 8, v13
; %bb.306:                              ;   in Loop: Header=BB192_286 Depth=1
	v_ffbh_u32_e32 v11, v5
	v_min_u32_e32 v11, 32, v11
	v_subrev_nc_u32_e32 v13, 28, v11
	v_sub_nc_u32_e32 v11, 29, v11
	v_lshlrev_b64 v[21:22], v13, v[5:6]
	v_and_b32_e32 v5, 7, v21
; %bb.307:                              ;   in Loop: Header=BB192_286 Depth=1
	s_or_b32 exec_lo, exec_lo, s17
	v_lshlrev_b32_sdwa v13, v43, v45 dst_sel:DWORD dst_unused:UNUSED_PAD src0_sel:DWORD src1_sel:WORD_1
	v_lshlrev_b32_e32 v5, 20, v5
	v_lshl_add_u32 v11, v11, 23, 0x3c000000
	v_and_b32_e32 v13, 0x80000000, v13
	v_or3_b32 v5, v5, v13, v11
	v_mov_b32_e32 v22, v6
	v_mov_b32_e32 v21, v5
.LBB192_308:                            ;   in Loop: Header=BB192_286 Depth=1
	s_or_b32 exec_lo, exec_lo, s16
.LBB192_309:                            ;   in Loop: Header=BB192_286 Depth=1
	s_or_b32 exec_lo, exec_lo, s15
.LBB192_310:                            ;   in Loop: Header=BB192_286 Depth=1
	s_or_b32 exec_lo, exec_lo, s1
	s_mov_b32 s1, exec_lo
	v_cmpx_lt_u32_e32 0xffffff, v45
	s_cbranch_execz .LBB192_318
; %bb.311:                              ;   in Loop: Header=BB192_286 Depth=1
	v_mov_b32_e32 v11, v6
	v_mov_b32_e32 v24, v12
	v_cmp_ne_u32_sdwa s16, v45, v39 src0_sel:BYTE_3 src1_sel:DWORD
	v_mov_b32_e32 v23, v11
	s_and_saveexec_b32 s15, s16
	s_cbranch_execz .LBB192_317
; %bb.312:                              ;   in Loop: Header=BB192_286 Depth=1
	v_mov_b32_e32 v13, v6
	v_mov_b32_e32 v24, v14
	v_bfe_u32 v46, v45, 24, 7
	s_mov_b32 s16, exec_lo
	v_mov_b32_e32 v23, v13
	v_cmpx_ne_u32_e32 0x7f, v46
	s_cbranch_execz .LBB192_316
; %bb.313:                              ;   in Loop: Header=BB192_286 Depth=1
	v_and_b32_sdwa v5, v45, v42 dst_sel:DWORD dst_unused:UNUSED_PAD src0_sel:BYTE_3 src1_sel:DWORD
	v_lshrrev_b32_e32 v11, 3, v46
	s_mov_b32 s17, exec_lo
	v_cmpx_gt_u32_e32 8, v46
; %bb.314:                              ;   in Loop: Header=BB192_286 Depth=1
	v_ffbh_u32_e32 v11, v5
	v_min_u32_e32 v11, 32, v11
	v_subrev_nc_u32_e32 v13, 28, v11
	v_sub_nc_u32_e32 v11, 29, v11
	v_lshlrev_b64 v[23:24], v13, v[5:6]
	v_and_b32_e32 v5, 7, v23
; %bb.315:                              ;   in Loop: Header=BB192_286 Depth=1
	s_or_b32 exec_lo, exec_lo, s17
	v_lshlrev_b32_sdwa v13, v43, v45 dst_sel:DWORD dst_unused:UNUSED_PAD src0_sel:DWORD src1_sel:BYTE_3
	v_lshlrev_b32_e32 v5, 20, v5
	v_lshl_add_u32 v11, v11, 23, 0x3c000000
	v_mov_b32_e32 v23, v6
	v_and_b32_e32 v13, 0x80000000, v13
	v_or3_b32 v24, v5, v13, v11
.LBB192_316:                            ;   in Loop: Header=BB192_286 Depth=1
	s_or_b32 exec_lo, exec_lo, s16
.LBB192_317:                            ;   in Loop: Header=BB192_286 Depth=1
	s_or_b32 exec_lo, exec_lo, s15
.LBB192_318:                            ;   in Loop: Header=BB192_286 Depth=1
	s_or_b32 exec_lo, exec_lo, s1
	v_or_b32_e32 v5, v20, v18
	v_or_b32_e32 v11, v19, v17
	v_or_b32_e32 v13, v23, v21
	v_or_b32_e32 v17, v24, v22
	v_add_nc_u32_e32 v49, -3, v37
	v_cmp_eq_u32_e32 vcc_lo, s4, v44
	v_mul_f32_e32 v47, s14, v5
	v_mul_f32_e32 v48, s3, v11
	;; [unrolled: 1-line block ×4, first 2 shown]
	v_add_nc_u32_e32 v51, -2, v37
	v_add_nc_u32_e32 v50, -1, v37
	s_and_saveexec_b32 s15, vcc_lo
	s_cbranch_execz .LBB192_320
; %bb.319:                              ;   in Loop: Header=BB192_286 Depth=1
	v_cmp_gt_i32_e64 s1, s11, v49
	v_cndmask_b32_e64 v48, 0, v48, s1
	v_cmp_gt_i32_e64 s1, s11, v51
	v_cndmask_b32_e64 v47, 0, v47, s1
	;; [unrolled: 2-line block ×4, first 2 shown]
.LBB192_320:                            ;   in Loop: Header=BB192_286 Depth=1
	s_or_b32 exec_lo, exec_lo, s15
	global_load_dword v52, v[15:16], off offset:128
	v_mov_b32_e32 v19, 0
	v_mov_b32_e32 v17, 0
	;; [unrolled: 1-line block ×4, first 2 shown]
	s_waitcnt vmcnt(0)
	v_cmp_ne_u16_sdwa s1, v52, v6 src0_sel:BYTE_0 src1_sel:DWORD
	s_and_saveexec_b32 s15, s1
	s_cbranch_execz .LBB192_328
; %bb.321:                              ;   in Loop: Header=BB192_286 Depth=1
	v_bfrev_b32_e32 v17, 1
	v_mov_b32_e32 v18, 0
	v_cmp_ne_u16_sdwa s1, v52, v39 src0_sel:BYTE_0 src1_sel:DWORD
	s_and_saveexec_b32 s16, s1
	s_cbranch_execz .LBB192_327
; %bb.322:                              ;   in Loop: Header=BB192_286 Depth=1
	v_mov_b32_e32 v17, 0x7f800001
	v_and_b32_e32 v13, 0x7f, v52
	v_mov_b32_e32 v18, 0
	s_mov_b32 s17, exec_lo
	v_cmpx_ne_u32_e32 0x7f, v13
	s_cbranch_execz .LBB192_326
; %bb.323:                              ;   in Loop: Header=BB192_286 Depth=1
	v_and_b32_e32 v5, 7, v52
	v_lshrrev_b32_e32 v11, 3, v13
	s_mov_b32 s18, exec_lo
	v_cmpx_gt_u32_e32 8, v13
; %bb.324:                              ;   in Loop: Header=BB192_286 Depth=1
	v_ffbh_u32_e32 v11, v5
	v_min_u32_e32 v11, 32, v11
	v_subrev_nc_u32_e32 v13, 28, v11
	v_sub_nc_u32_e32 v11, 29, v11
	v_lshlrev_b64 v[17:18], v13, v[5:6]
	v_and_b32_e32 v5, 7, v17
; %bb.325:                              ;   in Loop: Header=BB192_286 Depth=1
	s_or_b32 exec_lo, exec_lo, s18
	v_lshlrev_b32_e32 v13, 24, v52
	v_lshlrev_b32_e32 v5, 20, v5
	v_lshl_add_u32 v11, v11, 23, 0x3c000000
	v_and_b32_e32 v13, 0x80000000, v13
	v_or3_b32 v5, v5, v13, v11
	v_mov_b32_e32 v18, v6
	v_mov_b32_e32 v17, v5
.LBB192_326:                            ;   in Loop: Header=BB192_286 Depth=1
	s_or_b32 exec_lo, exec_lo, s17
.LBB192_327:                            ;   in Loop: Header=BB192_286 Depth=1
	s_or_b32 exec_lo, exec_lo, s16
.LBB192_328:                            ;   in Loop: Header=BB192_286 Depth=1
	s_or_b32 exec_lo, exec_lo, s15
	v_cmp_ne_u16_sdwa s1, v52, v6 src0_sel:BYTE_1 src1_sel:DWORD
	s_and_saveexec_b32 s15, s1
	s_cbranch_execz .LBB192_336
; %bb.329:                              ;   in Loop: Header=BB192_286 Depth=1
	v_mov_b32_e32 v11, v6
	v_mov_b32_e32 v20, v12
	v_cmp_ne_u16_sdwa s1, v52, v39 src0_sel:BYTE_1 src1_sel:DWORD
	v_mov_b32_e32 v19, v11
	s_and_saveexec_b32 s16, s1
	s_cbranch_execz .LBB192_335
; %bb.330:                              ;   in Loop: Header=BB192_286 Depth=1
	v_and_b32_sdwa v5, v40, v52 dst_sel:DWORD dst_unused:UNUSED_PAD src0_sel:DWORD src1_sel:BYTE_1
	v_mov_b32_e32 v13, v6
	v_mov_b32_e32 v20, v14
	s_mov_b32 s17, exec_lo
	v_and_b32_e32 v21, 0x7f, v5
	v_mov_b32_e32 v19, v13
	v_cmpx_ne_u32_e32 0x7f, v21
	s_cbranch_execz .LBB192_334
; %bb.331:                              ;   in Loop: Header=BB192_286 Depth=1
	v_and_b32_e32 v5, 7, v5
	v_lshrrev_b32_e32 v11, 3, v21
	s_mov_b32 s18, exec_lo
	v_cmpx_gt_u32_e32 8, v21
; %bb.332:                              ;   in Loop: Header=BB192_286 Depth=1
	v_ffbh_u32_e32 v11, v5
	v_min_u32_e32 v11, 32, v11
	v_subrev_nc_u32_e32 v13, 28, v11
	v_sub_nc_u32_e32 v11, 29, v11
	v_lshlrev_b64 v[19:20], v13, v[5:6]
	v_and_b32_e32 v5, 7, v19
; %bb.333:                              ;   in Loop: Header=BB192_286 Depth=1
	s_or_b32 exec_lo, exec_lo, s18
	v_lshlrev_b32_e32 v13, 16, v52
	v_lshlrev_b32_e32 v5, 20, v5
	v_lshl_add_u32 v11, v11, 23, 0x3c000000
	v_mov_b32_e32 v19, v6
	v_and_b32_e32 v13, 0x80000000, v13
	v_or3_b32 v20, v5, v13, v11
.LBB192_334:                            ;   in Loop: Header=BB192_286 Depth=1
	s_or_b32 exec_lo, exec_lo, s17
.LBB192_335:                            ;   in Loop: Header=BB192_286 Depth=1
	s_or_b32 exec_lo, exec_lo, s16
.LBB192_336:                            ;   in Loop: Header=BB192_286 Depth=1
	s_or_b32 exec_lo, exec_lo, s15
	v_mov_b32_e32 v23, 0
	v_mov_b32_e32 v21, 0
	v_and_b32_sdwa v5, v52, v41 dst_sel:DWORD dst_unused:UNUSED_PAD src0_sel:WORD_1 src1_sel:DWORD
	v_mov_b32_e32 v24, 0
	v_mov_b32_e32 v22, 0
	s_mov_b32 s15, exec_lo
	v_cmpx_ne_u16_e32 0, v5
	s_cbranch_execz .LBB192_344
; %bb.337:                              ;   in Loop: Header=BB192_286 Depth=1
	v_bfrev_b32_e32 v21, 1
	v_mov_b32_e32 v22, 0
	s_mov_b32 s16, exec_lo
	v_cmpx_ne_u16_e32 0x80, v5
	s_cbranch_execz .LBB192_343
; %bb.338:                              ;   in Loop: Header=BB192_286 Depth=1
	v_mov_b32_e32 v21, 0x7f800001
	v_bfe_u32 v13, v52, 16, 7
	v_mov_b32_e32 v22, 0
	s_mov_b32 s17, exec_lo
	v_cmpx_ne_u32_e32 0x7f, v13
	s_cbranch_execz .LBB192_342
; %bb.339:                              ;   in Loop: Header=BB192_286 Depth=1
	v_and_b32_sdwa v5, v52, v42 dst_sel:DWORD dst_unused:UNUSED_PAD src0_sel:WORD_1 src1_sel:DWORD
	v_lshrrev_b32_e32 v11, 3, v13
	s_mov_b32 s18, exec_lo
	v_cmpx_gt_u32_e32 8, v13
; %bb.340:                              ;   in Loop: Header=BB192_286 Depth=1
	v_ffbh_u32_e32 v11, v5
	v_min_u32_e32 v11, 32, v11
	v_subrev_nc_u32_e32 v13, 28, v11
	v_sub_nc_u32_e32 v11, 29, v11
	v_lshlrev_b64 v[21:22], v13, v[5:6]
	v_and_b32_e32 v5, 7, v21
; %bb.341:                              ;   in Loop: Header=BB192_286 Depth=1
	s_or_b32 exec_lo, exec_lo, s18
	v_lshlrev_b32_sdwa v13, v43, v52 dst_sel:DWORD dst_unused:UNUSED_PAD src0_sel:DWORD src1_sel:WORD_1
	v_lshlrev_b32_e32 v5, 20, v5
	v_lshl_add_u32 v11, v11, 23, 0x3c000000
	v_and_b32_e32 v13, 0x80000000, v13
	v_or3_b32 v5, v5, v13, v11
	v_mov_b32_e32 v22, v6
	v_mov_b32_e32 v21, v5
.LBB192_342:                            ;   in Loop: Header=BB192_286 Depth=1
	s_or_b32 exec_lo, exec_lo, s17
.LBB192_343:                            ;   in Loop: Header=BB192_286 Depth=1
	s_or_b32 exec_lo, exec_lo, s16
.LBB192_344:                            ;   in Loop: Header=BB192_286 Depth=1
	s_or_b32 exec_lo, exec_lo, s15
	s_mov_b32 s15, exec_lo
	v_cmpx_lt_u32_e32 0xffffff, v52
	s_cbranch_execz .LBB192_352
; %bb.345:                              ;   in Loop: Header=BB192_286 Depth=1
	v_mov_b32_e32 v11, v6
	v_mov_b32_e32 v24, v12
	v_cmp_ne_u32_sdwa s1, v52, v39 src0_sel:BYTE_3 src1_sel:DWORD
	v_mov_b32_e32 v23, v11
	s_and_saveexec_b32 s16, s1
	s_cbranch_execz .LBB192_351
; %bb.346:                              ;   in Loop: Header=BB192_286 Depth=1
	v_mov_b32_e32 v13, v6
	v_mov_b32_e32 v24, v14
	v_bfe_u32 v53, v52, 24, 7
	s_mov_b32 s17, exec_lo
	v_mov_b32_e32 v23, v13
	v_cmpx_ne_u32_e32 0x7f, v53
	s_cbranch_execz .LBB192_350
; %bb.347:                              ;   in Loop: Header=BB192_286 Depth=1
	v_and_b32_sdwa v5, v52, v42 dst_sel:DWORD dst_unused:UNUSED_PAD src0_sel:BYTE_3 src1_sel:DWORD
	v_lshrrev_b32_e32 v11, 3, v53
	s_mov_b32 s18, exec_lo
	v_cmpx_gt_u32_e32 8, v53
; %bb.348:                              ;   in Loop: Header=BB192_286 Depth=1
	v_ffbh_u32_e32 v11, v5
	v_min_u32_e32 v11, 32, v11
	v_subrev_nc_u32_e32 v13, 28, v11
	v_sub_nc_u32_e32 v11, 29, v11
	v_lshlrev_b64 v[23:24], v13, v[5:6]
	v_and_b32_e32 v5, 7, v23
; %bb.349:                              ;   in Loop: Header=BB192_286 Depth=1
	s_or_b32 exec_lo, exec_lo, s18
	v_lshlrev_b32_sdwa v13, v43, v52 dst_sel:DWORD dst_unused:UNUSED_PAD src0_sel:DWORD src1_sel:BYTE_3
	v_lshlrev_b32_e32 v5, 20, v5
	v_lshl_add_u32 v11, v11, 23, 0x3c000000
	v_mov_b32_e32 v23, v6
	v_and_b32_e32 v13, 0x80000000, v13
	v_or3_b32 v24, v5, v13, v11
.LBB192_350:                            ;   in Loop: Header=BB192_286 Depth=1
	s_or_b32 exec_lo, exec_lo, s17
.LBB192_351:                            ;   in Loop: Header=BB192_286 Depth=1
	s_or_b32 exec_lo, exec_lo, s16
.LBB192_352:                            ;   in Loop: Header=BB192_286 Depth=1
	s_or_b32 exec_lo, exec_lo, s15
	v_or_b32_e32 v5, v20, v18
	v_or_b32_e32 v11, v19, v17
	;; [unrolled: 1-line block ×4, first 2 shown]
	v_mul_f32_e32 v54, s14, v5
	v_mul_f32_e32 v55, s3, v11
	;; [unrolled: 1-line block ×4, first 2 shown]
	s_and_saveexec_b32 s15, vcc_lo
	s_cbranch_execz .LBB192_354
; %bb.353:                              ;   in Loop: Header=BB192_286 Depth=1
	v_cmp_gt_i32_e64 s1, s11, v49
	v_cndmask_b32_e64 v55, 0, v55, s1
	v_cmp_gt_i32_e64 s1, s11, v51
	v_cndmask_b32_e64 v54, 0, v54, s1
	;; [unrolled: 2-line block ×4, first 2 shown]
.LBB192_354:                            ;   in Loop: Header=BB192_286 Depth=1
	s_or_b32 exec_lo, exec_lo, s15
	global_load_dword v56, v[15:16], off offset:256
	v_mov_b32_e32 v19, 0
	v_mov_b32_e32 v17, 0
	v_mov_b32_e32 v20, 0
	v_mov_b32_e32 v18, 0
	s_waitcnt vmcnt(0)
	v_cmp_ne_u16_sdwa s1, v56, v6 src0_sel:BYTE_0 src1_sel:DWORD
	s_and_saveexec_b32 s15, s1
	s_cbranch_execz .LBB192_362
; %bb.355:                              ;   in Loop: Header=BB192_286 Depth=1
	v_bfrev_b32_e32 v17, 1
	v_mov_b32_e32 v18, 0
	v_cmp_ne_u16_sdwa s1, v56, v39 src0_sel:BYTE_0 src1_sel:DWORD
	s_and_saveexec_b32 s16, s1
	s_cbranch_execz .LBB192_361
; %bb.356:                              ;   in Loop: Header=BB192_286 Depth=1
	v_mov_b32_e32 v17, 0x7f800001
	v_and_b32_e32 v13, 0x7f, v56
	v_mov_b32_e32 v18, 0
	s_mov_b32 s17, exec_lo
	v_cmpx_ne_u32_e32 0x7f, v13
	s_cbranch_execz .LBB192_360
; %bb.357:                              ;   in Loop: Header=BB192_286 Depth=1
	v_and_b32_e32 v5, 7, v56
	v_lshrrev_b32_e32 v11, 3, v13
	s_mov_b32 s18, exec_lo
	v_cmpx_gt_u32_e32 8, v13
; %bb.358:                              ;   in Loop: Header=BB192_286 Depth=1
	v_ffbh_u32_e32 v11, v5
	v_min_u32_e32 v11, 32, v11
	v_subrev_nc_u32_e32 v13, 28, v11
	v_sub_nc_u32_e32 v11, 29, v11
	v_lshlrev_b64 v[17:18], v13, v[5:6]
	v_and_b32_e32 v5, 7, v17
; %bb.359:                              ;   in Loop: Header=BB192_286 Depth=1
	s_or_b32 exec_lo, exec_lo, s18
	v_lshlrev_b32_e32 v13, 24, v56
	v_lshlrev_b32_e32 v5, 20, v5
	v_lshl_add_u32 v11, v11, 23, 0x3c000000
	v_and_b32_e32 v13, 0x80000000, v13
	v_or3_b32 v5, v5, v13, v11
	v_mov_b32_e32 v18, v6
	v_mov_b32_e32 v17, v5
.LBB192_360:                            ;   in Loop: Header=BB192_286 Depth=1
	s_or_b32 exec_lo, exec_lo, s17
.LBB192_361:                            ;   in Loop: Header=BB192_286 Depth=1
	s_or_b32 exec_lo, exec_lo, s16
.LBB192_362:                            ;   in Loop: Header=BB192_286 Depth=1
	s_or_b32 exec_lo, exec_lo, s15
	v_cmp_ne_u16_sdwa s1, v56, v6 src0_sel:BYTE_1 src1_sel:DWORD
	s_and_saveexec_b32 s15, s1
	s_cbranch_execz .LBB192_370
; %bb.363:                              ;   in Loop: Header=BB192_286 Depth=1
	v_mov_b32_e32 v11, v6
	v_mov_b32_e32 v20, v12
	v_cmp_ne_u16_sdwa s1, v56, v39 src0_sel:BYTE_1 src1_sel:DWORD
	v_mov_b32_e32 v19, v11
	s_and_saveexec_b32 s16, s1
	s_cbranch_execz .LBB192_369
; %bb.364:                              ;   in Loop: Header=BB192_286 Depth=1
	v_and_b32_sdwa v5, v40, v56 dst_sel:DWORD dst_unused:UNUSED_PAD src0_sel:DWORD src1_sel:BYTE_1
	v_mov_b32_e32 v13, v6
	v_mov_b32_e32 v20, v14
	s_mov_b32 s17, exec_lo
	v_and_b32_e32 v21, 0x7f, v5
	v_mov_b32_e32 v19, v13
	v_cmpx_ne_u32_e32 0x7f, v21
	s_cbranch_execz .LBB192_368
; %bb.365:                              ;   in Loop: Header=BB192_286 Depth=1
	v_and_b32_e32 v5, 7, v5
	v_lshrrev_b32_e32 v11, 3, v21
	s_mov_b32 s18, exec_lo
	v_cmpx_gt_u32_e32 8, v21
; %bb.366:                              ;   in Loop: Header=BB192_286 Depth=1
	v_ffbh_u32_e32 v11, v5
	v_min_u32_e32 v11, 32, v11
	v_subrev_nc_u32_e32 v13, 28, v11
	v_sub_nc_u32_e32 v11, 29, v11
	v_lshlrev_b64 v[19:20], v13, v[5:6]
	v_and_b32_e32 v5, 7, v19
; %bb.367:                              ;   in Loop: Header=BB192_286 Depth=1
	s_or_b32 exec_lo, exec_lo, s18
	v_lshlrev_b32_e32 v13, 16, v56
	v_lshlrev_b32_e32 v5, 20, v5
	v_lshl_add_u32 v11, v11, 23, 0x3c000000
	v_mov_b32_e32 v19, v6
	v_and_b32_e32 v13, 0x80000000, v13
	v_or3_b32 v20, v5, v13, v11
.LBB192_368:                            ;   in Loop: Header=BB192_286 Depth=1
	s_or_b32 exec_lo, exec_lo, s17
.LBB192_369:                            ;   in Loop: Header=BB192_286 Depth=1
	s_or_b32 exec_lo, exec_lo, s16
.LBB192_370:                            ;   in Loop: Header=BB192_286 Depth=1
	s_or_b32 exec_lo, exec_lo, s15
	v_mov_b32_e32 v23, 0
	v_mov_b32_e32 v21, 0
	v_and_b32_sdwa v5, v56, v41 dst_sel:DWORD dst_unused:UNUSED_PAD src0_sel:WORD_1 src1_sel:DWORD
	v_mov_b32_e32 v24, 0
	v_mov_b32_e32 v22, 0
	s_mov_b32 s15, exec_lo
	v_cmpx_ne_u16_e32 0, v5
	s_cbranch_execz .LBB192_378
; %bb.371:                              ;   in Loop: Header=BB192_286 Depth=1
	v_bfrev_b32_e32 v21, 1
	v_mov_b32_e32 v22, 0
	s_mov_b32 s16, exec_lo
	v_cmpx_ne_u16_e32 0x80, v5
	s_cbranch_execz .LBB192_377
; %bb.372:                              ;   in Loop: Header=BB192_286 Depth=1
	v_mov_b32_e32 v21, 0x7f800001
	v_bfe_u32 v13, v56, 16, 7
	v_mov_b32_e32 v22, 0
	s_mov_b32 s17, exec_lo
	v_cmpx_ne_u32_e32 0x7f, v13
	s_cbranch_execz .LBB192_376
; %bb.373:                              ;   in Loop: Header=BB192_286 Depth=1
	v_and_b32_sdwa v5, v56, v42 dst_sel:DWORD dst_unused:UNUSED_PAD src0_sel:WORD_1 src1_sel:DWORD
	v_lshrrev_b32_e32 v11, 3, v13
	s_mov_b32 s18, exec_lo
	v_cmpx_gt_u32_e32 8, v13
; %bb.374:                              ;   in Loop: Header=BB192_286 Depth=1
	v_ffbh_u32_e32 v11, v5
	v_min_u32_e32 v11, 32, v11
	v_subrev_nc_u32_e32 v13, 28, v11
	v_sub_nc_u32_e32 v11, 29, v11
	v_lshlrev_b64 v[21:22], v13, v[5:6]
	v_and_b32_e32 v5, 7, v21
; %bb.375:                              ;   in Loop: Header=BB192_286 Depth=1
	s_or_b32 exec_lo, exec_lo, s18
	v_lshlrev_b32_sdwa v13, v43, v56 dst_sel:DWORD dst_unused:UNUSED_PAD src0_sel:DWORD src1_sel:WORD_1
	v_lshlrev_b32_e32 v5, 20, v5
	v_lshl_add_u32 v11, v11, 23, 0x3c000000
	v_and_b32_e32 v13, 0x80000000, v13
	v_or3_b32 v5, v5, v13, v11
	v_mov_b32_e32 v22, v6
	v_mov_b32_e32 v21, v5
.LBB192_376:                            ;   in Loop: Header=BB192_286 Depth=1
	s_or_b32 exec_lo, exec_lo, s17
.LBB192_377:                            ;   in Loop: Header=BB192_286 Depth=1
	s_or_b32 exec_lo, exec_lo, s16
.LBB192_378:                            ;   in Loop: Header=BB192_286 Depth=1
	s_or_b32 exec_lo, exec_lo, s15
	s_mov_b32 s15, exec_lo
	v_cmpx_lt_u32_e32 0xffffff, v56
	s_cbranch_execz .LBB192_386
; %bb.379:                              ;   in Loop: Header=BB192_286 Depth=1
	v_mov_b32_e32 v11, v6
	v_mov_b32_e32 v24, v12
	v_cmp_ne_u32_sdwa s1, v56, v39 src0_sel:BYTE_3 src1_sel:DWORD
	v_mov_b32_e32 v23, v11
	s_and_saveexec_b32 s16, s1
	s_cbranch_execz .LBB192_385
; %bb.380:                              ;   in Loop: Header=BB192_286 Depth=1
	v_mov_b32_e32 v13, v6
	v_mov_b32_e32 v24, v14
	v_bfe_u32 v57, v56, 24, 7
	s_mov_b32 s17, exec_lo
	v_mov_b32_e32 v23, v13
	v_cmpx_ne_u32_e32 0x7f, v57
	s_cbranch_execz .LBB192_384
; %bb.381:                              ;   in Loop: Header=BB192_286 Depth=1
	v_and_b32_sdwa v5, v56, v42 dst_sel:DWORD dst_unused:UNUSED_PAD src0_sel:BYTE_3 src1_sel:DWORD
	v_lshrrev_b32_e32 v11, 3, v57
	s_mov_b32 s18, exec_lo
	v_cmpx_gt_u32_e32 8, v57
; %bb.382:                              ;   in Loop: Header=BB192_286 Depth=1
	v_ffbh_u32_e32 v11, v5
	v_min_u32_e32 v11, 32, v11
	v_subrev_nc_u32_e32 v13, 28, v11
	v_sub_nc_u32_e32 v11, 29, v11
	v_lshlrev_b64 v[23:24], v13, v[5:6]
	v_and_b32_e32 v5, 7, v23
; %bb.383:                              ;   in Loop: Header=BB192_286 Depth=1
	s_or_b32 exec_lo, exec_lo, s18
	v_lshlrev_b32_sdwa v13, v43, v56 dst_sel:DWORD dst_unused:UNUSED_PAD src0_sel:DWORD src1_sel:BYTE_3
	v_lshlrev_b32_e32 v5, 20, v5
	v_lshl_add_u32 v11, v11, 23, 0x3c000000
	v_mov_b32_e32 v23, v6
	v_and_b32_e32 v13, 0x80000000, v13
	v_or3_b32 v24, v5, v13, v11
.LBB192_384:                            ;   in Loop: Header=BB192_286 Depth=1
	s_or_b32 exec_lo, exec_lo, s17
.LBB192_385:                            ;   in Loop: Header=BB192_286 Depth=1
	s_or_b32 exec_lo, exec_lo, s16
.LBB192_386:                            ;   in Loop: Header=BB192_286 Depth=1
	s_or_b32 exec_lo, exec_lo, s15
	v_or_b32_e32 v5, v20, v18
	v_or_b32_e32 v11, v19, v17
	;; [unrolled: 1-line block ×4, first 2 shown]
	v_mul_f32_e32 v58, s14, v5
	v_mul_f32_e32 v59, s3, v11
	;; [unrolled: 1-line block ×4, first 2 shown]
	s_and_saveexec_b32 s15, vcc_lo
	s_cbranch_execz .LBB192_388
; %bb.387:                              ;   in Loop: Header=BB192_286 Depth=1
	v_cmp_gt_i32_e64 s1, s11, v49
	v_cndmask_b32_e64 v59, 0, v59, s1
	v_cmp_gt_i32_e64 s1, s11, v51
	v_cndmask_b32_e64 v58, 0, v58, s1
	;; [unrolled: 2-line block ×4, first 2 shown]
.LBB192_388:                            ;   in Loop: Header=BB192_286 Depth=1
	s_or_b32 exec_lo, exec_lo, s15
	global_load_dword v60, v[15:16], off offset:384
	v_mov_b32_e32 v19, 0
	v_mov_b32_e32 v17, 0
	;; [unrolled: 1-line block ×4, first 2 shown]
	s_waitcnt vmcnt(0)
	v_cmp_ne_u16_sdwa s1, v60, v6 src0_sel:BYTE_0 src1_sel:DWORD
	s_and_saveexec_b32 s15, s1
	s_cbranch_execz .LBB192_396
; %bb.389:                              ;   in Loop: Header=BB192_286 Depth=1
	v_bfrev_b32_e32 v17, 1
	v_mov_b32_e32 v18, 0
	v_cmp_ne_u16_sdwa s1, v60, v39 src0_sel:BYTE_0 src1_sel:DWORD
	s_and_saveexec_b32 s16, s1
	s_cbranch_execz .LBB192_395
; %bb.390:                              ;   in Loop: Header=BB192_286 Depth=1
	v_mov_b32_e32 v17, 0x7f800001
	v_and_b32_e32 v13, 0x7f, v60
	v_mov_b32_e32 v18, 0
	s_mov_b32 s17, exec_lo
	v_cmpx_ne_u32_e32 0x7f, v13
	s_cbranch_execz .LBB192_394
; %bb.391:                              ;   in Loop: Header=BB192_286 Depth=1
	v_and_b32_e32 v5, 7, v60
	v_lshrrev_b32_e32 v11, 3, v13
	s_mov_b32 s18, exec_lo
	v_cmpx_gt_u32_e32 8, v13
; %bb.392:                              ;   in Loop: Header=BB192_286 Depth=1
	v_ffbh_u32_e32 v11, v5
	v_min_u32_e32 v11, 32, v11
	v_subrev_nc_u32_e32 v13, 28, v11
	v_sub_nc_u32_e32 v11, 29, v11
	v_lshlrev_b64 v[17:18], v13, v[5:6]
	v_and_b32_e32 v5, 7, v17
; %bb.393:                              ;   in Loop: Header=BB192_286 Depth=1
	s_or_b32 exec_lo, exec_lo, s18
	v_lshlrev_b32_e32 v13, 24, v60
	v_lshlrev_b32_e32 v5, 20, v5
	v_lshl_add_u32 v11, v11, 23, 0x3c000000
	v_and_b32_e32 v13, 0x80000000, v13
	v_or3_b32 v5, v5, v13, v11
	v_mov_b32_e32 v18, v6
	v_mov_b32_e32 v17, v5
.LBB192_394:                            ;   in Loop: Header=BB192_286 Depth=1
	s_or_b32 exec_lo, exec_lo, s17
.LBB192_395:                            ;   in Loop: Header=BB192_286 Depth=1
	s_or_b32 exec_lo, exec_lo, s16
.LBB192_396:                            ;   in Loop: Header=BB192_286 Depth=1
	s_or_b32 exec_lo, exec_lo, s15
	v_cmp_ne_u16_sdwa s1, v60, v6 src0_sel:BYTE_1 src1_sel:DWORD
	s_and_saveexec_b32 s15, s1
	s_cbranch_execz .LBB192_404
; %bb.397:                              ;   in Loop: Header=BB192_286 Depth=1
	v_mov_b32_e32 v11, v6
	v_mov_b32_e32 v20, v12
	v_cmp_ne_u16_sdwa s1, v60, v39 src0_sel:BYTE_1 src1_sel:DWORD
	v_mov_b32_e32 v19, v11
	s_and_saveexec_b32 s16, s1
	s_cbranch_execz .LBB192_403
; %bb.398:                              ;   in Loop: Header=BB192_286 Depth=1
	v_and_b32_sdwa v5, v40, v60 dst_sel:DWORD dst_unused:UNUSED_PAD src0_sel:DWORD src1_sel:BYTE_1
	v_mov_b32_e32 v13, v6
	v_mov_b32_e32 v20, v14
	s_mov_b32 s17, exec_lo
	v_and_b32_e32 v21, 0x7f, v5
	v_mov_b32_e32 v19, v13
	v_cmpx_ne_u32_e32 0x7f, v21
	s_cbranch_execz .LBB192_402
; %bb.399:                              ;   in Loop: Header=BB192_286 Depth=1
	v_and_b32_e32 v5, 7, v5
	v_lshrrev_b32_e32 v11, 3, v21
	s_mov_b32 s18, exec_lo
	v_cmpx_gt_u32_e32 8, v21
; %bb.400:                              ;   in Loop: Header=BB192_286 Depth=1
	v_ffbh_u32_e32 v11, v5
	v_min_u32_e32 v11, 32, v11
	v_subrev_nc_u32_e32 v13, 28, v11
	v_sub_nc_u32_e32 v11, 29, v11
	v_lshlrev_b64 v[19:20], v13, v[5:6]
	v_and_b32_e32 v5, 7, v19
; %bb.401:                              ;   in Loop: Header=BB192_286 Depth=1
	s_or_b32 exec_lo, exec_lo, s18
	v_lshlrev_b32_e32 v13, 16, v60
	v_lshlrev_b32_e32 v5, 20, v5
	v_lshl_add_u32 v11, v11, 23, 0x3c000000
	v_mov_b32_e32 v19, v6
	v_and_b32_e32 v13, 0x80000000, v13
	v_or3_b32 v20, v5, v13, v11
.LBB192_402:                            ;   in Loop: Header=BB192_286 Depth=1
	s_or_b32 exec_lo, exec_lo, s17
.LBB192_403:                            ;   in Loop: Header=BB192_286 Depth=1
	s_or_b32 exec_lo, exec_lo, s16
.LBB192_404:                            ;   in Loop: Header=BB192_286 Depth=1
	s_or_b32 exec_lo, exec_lo, s15
	v_mov_b32_e32 v23, 0
	v_mov_b32_e32 v21, 0
	v_and_b32_sdwa v5, v60, v41 dst_sel:DWORD dst_unused:UNUSED_PAD src0_sel:WORD_1 src1_sel:DWORD
	v_mov_b32_e32 v24, 0
	v_mov_b32_e32 v22, 0
	s_mov_b32 s15, exec_lo
	v_cmpx_ne_u16_e32 0, v5
	s_cbranch_execz .LBB192_412
; %bb.405:                              ;   in Loop: Header=BB192_286 Depth=1
	v_bfrev_b32_e32 v21, 1
	v_mov_b32_e32 v22, 0
	s_mov_b32 s16, exec_lo
	v_cmpx_ne_u16_e32 0x80, v5
	s_cbranch_execz .LBB192_411
; %bb.406:                              ;   in Loop: Header=BB192_286 Depth=1
	v_mov_b32_e32 v21, 0x7f800001
	v_bfe_u32 v13, v60, 16, 7
	v_mov_b32_e32 v22, 0
	s_mov_b32 s17, exec_lo
	v_cmpx_ne_u32_e32 0x7f, v13
	s_cbranch_execz .LBB192_410
; %bb.407:                              ;   in Loop: Header=BB192_286 Depth=1
	v_and_b32_sdwa v5, v60, v42 dst_sel:DWORD dst_unused:UNUSED_PAD src0_sel:WORD_1 src1_sel:DWORD
	v_lshrrev_b32_e32 v11, 3, v13
	s_mov_b32 s18, exec_lo
	v_cmpx_gt_u32_e32 8, v13
; %bb.408:                              ;   in Loop: Header=BB192_286 Depth=1
	v_ffbh_u32_e32 v11, v5
	v_min_u32_e32 v11, 32, v11
	v_subrev_nc_u32_e32 v13, 28, v11
	v_sub_nc_u32_e32 v11, 29, v11
	v_lshlrev_b64 v[21:22], v13, v[5:6]
	v_and_b32_e32 v5, 7, v21
; %bb.409:                              ;   in Loop: Header=BB192_286 Depth=1
	s_or_b32 exec_lo, exec_lo, s18
	v_lshlrev_b32_sdwa v13, v43, v60 dst_sel:DWORD dst_unused:UNUSED_PAD src0_sel:DWORD src1_sel:WORD_1
	v_lshlrev_b32_e32 v5, 20, v5
	v_lshl_add_u32 v11, v11, 23, 0x3c000000
	v_and_b32_e32 v13, 0x80000000, v13
	v_or3_b32 v5, v5, v13, v11
	v_mov_b32_e32 v22, v6
	v_mov_b32_e32 v21, v5
.LBB192_410:                            ;   in Loop: Header=BB192_286 Depth=1
	s_or_b32 exec_lo, exec_lo, s17
.LBB192_411:                            ;   in Loop: Header=BB192_286 Depth=1
	s_or_b32 exec_lo, exec_lo, s16
.LBB192_412:                            ;   in Loop: Header=BB192_286 Depth=1
	s_or_b32 exec_lo, exec_lo, s15
	s_mov_b32 s15, exec_lo
	v_cmpx_lt_u32_e32 0xffffff, v60
	s_cbranch_execz .LBB192_420
; %bb.413:                              ;   in Loop: Header=BB192_286 Depth=1
	v_mov_b32_e32 v11, v6
	v_mov_b32_e32 v24, v12
	v_cmp_ne_u32_sdwa s1, v60, v39 src0_sel:BYTE_3 src1_sel:DWORD
	v_mov_b32_e32 v23, v11
	s_and_saveexec_b32 s16, s1
	s_cbranch_execz .LBB192_419
; %bb.414:                              ;   in Loop: Header=BB192_286 Depth=1
	v_mov_b32_e32 v13, v6
	v_mov_b32_e32 v24, v14
	v_bfe_u32 v61, v60, 24, 7
	s_mov_b32 s17, exec_lo
	v_mov_b32_e32 v23, v13
	v_cmpx_ne_u32_e32 0x7f, v61
	s_cbranch_execz .LBB192_418
; %bb.415:                              ;   in Loop: Header=BB192_286 Depth=1
	v_and_b32_sdwa v5, v60, v42 dst_sel:DWORD dst_unused:UNUSED_PAD src0_sel:BYTE_3 src1_sel:DWORD
	v_lshrrev_b32_e32 v11, 3, v61
	s_mov_b32 s18, exec_lo
	v_cmpx_gt_u32_e32 8, v61
; %bb.416:                              ;   in Loop: Header=BB192_286 Depth=1
	v_ffbh_u32_e32 v11, v5
	v_min_u32_e32 v11, 32, v11
	v_subrev_nc_u32_e32 v13, 28, v11
	v_sub_nc_u32_e32 v11, 29, v11
	v_lshlrev_b64 v[23:24], v13, v[5:6]
	v_and_b32_e32 v5, 7, v23
; %bb.417:                              ;   in Loop: Header=BB192_286 Depth=1
	s_or_b32 exec_lo, exec_lo, s18
	v_lshlrev_b32_sdwa v13, v43, v60 dst_sel:DWORD dst_unused:UNUSED_PAD src0_sel:DWORD src1_sel:BYTE_3
	v_lshlrev_b32_e32 v5, 20, v5
	v_lshl_add_u32 v11, v11, 23, 0x3c000000
	v_mov_b32_e32 v23, v6
	v_and_b32_e32 v13, 0x80000000, v13
	v_or3_b32 v24, v5, v13, v11
.LBB192_418:                            ;   in Loop: Header=BB192_286 Depth=1
	s_or_b32 exec_lo, exec_lo, s17
.LBB192_419:                            ;   in Loop: Header=BB192_286 Depth=1
	s_or_b32 exec_lo, exec_lo, s16
.LBB192_420:                            ;   in Loop: Header=BB192_286 Depth=1
	s_or_b32 exec_lo, exec_lo, s15
	v_or_b32_e32 v5, v20, v18
	v_or_b32_e32 v11, v19, v17
	;; [unrolled: 1-line block ×4, first 2 shown]
	v_mul_f32_e32 v62, s14, v5
	v_mul_f32_e32 v63, s3, v11
	;; [unrolled: 1-line block ×4, first 2 shown]
	s_and_saveexec_b32 s15, vcc_lo
	s_cbranch_execz .LBB192_422
; %bb.421:                              ;   in Loop: Header=BB192_286 Depth=1
	v_cmp_gt_i32_e64 s1, s11, v49
	v_cndmask_b32_e64 v63, 0, v63, s1
	v_cmp_gt_i32_e64 s1, s11, v51
	v_cndmask_b32_e64 v62, 0, v62, s1
	;; [unrolled: 2-line block ×4, first 2 shown]
.LBB192_422:                            ;   in Loop: Header=BB192_286 Depth=1
	s_or_b32 exec_lo, exec_lo, s15
	global_load_dword v64, v[15:16], off offset:512
	v_mov_b32_e32 v19, 0
	v_mov_b32_e32 v17, 0
	;; [unrolled: 1-line block ×4, first 2 shown]
	s_waitcnt vmcnt(0)
	v_cmp_ne_u16_sdwa s1, v64, v6 src0_sel:BYTE_0 src1_sel:DWORD
	s_and_saveexec_b32 s15, s1
	s_cbranch_execz .LBB192_430
; %bb.423:                              ;   in Loop: Header=BB192_286 Depth=1
	v_bfrev_b32_e32 v17, 1
	v_mov_b32_e32 v18, 0
	v_cmp_ne_u16_sdwa s1, v64, v39 src0_sel:BYTE_0 src1_sel:DWORD
	s_and_saveexec_b32 s16, s1
	s_cbranch_execz .LBB192_429
; %bb.424:                              ;   in Loop: Header=BB192_286 Depth=1
	v_mov_b32_e32 v17, 0x7f800001
	v_and_b32_e32 v13, 0x7f, v64
	v_mov_b32_e32 v18, 0
	s_mov_b32 s17, exec_lo
	v_cmpx_ne_u32_e32 0x7f, v13
	s_cbranch_execz .LBB192_428
; %bb.425:                              ;   in Loop: Header=BB192_286 Depth=1
	v_and_b32_e32 v5, 7, v64
	v_lshrrev_b32_e32 v11, 3, v13
	s_mov_b32 s18, exec_lo
	v_cmpx_gt_u32_e32 8, v13
; %bb.426:                              ;   in Loop: Header=BB192_286 Depth=1
	v_ffbh_u32_e32 v11, v5
	v_min_u32_e32 v11, 32, v11
	v_subrev_nc_u32_e32 v13, 28, v11
	v_sub_nc_u32_e32 v11, 29, v11
	v_lshlrev_b64 v[17:18], v13, v[5:6]
	v_and_b32_e32 v5, 7, v17
; %bb.427:                              ;   in Loop: Header=BB192_286 Depth=1
	s_or_b32 exec_lo, exec_lo, s18
	v_lshlrev_b32_e32 v13, 24, v64
	v_lshlrev_b32_e32 v5, 20, v5
	v_lshl_add_u32 v11, v11, 23, 0x3c000000
	v_and_b32_e32 v13, 0x80000000, v13
	v_or3_b32 v5, v5, v13, v11
	v_mov_b32_e32 v18, v6
	v_mov_b32_e32 v17, v5
.LBB192_428:                            ;   in Loop: Header=BB192_286 Depth=1
	s_or_b32 exec_lo, exec_lo, s17
.LBB192_429:                            ;   in Loop: Header=BB192_286 Depth=1
	s_or_b32 exec_lo, exec_lo, s16
.LBB192_430:                            ;   in Loop: Header=BB192_286 Depth=1
	s_or_b32 exec_lo, exec_lo, s15
	v_cmp_ne_u16_sdwa s1, v64, v6 src0_sel:BYTE_1 src1_sel:DWORD
	s_and_saveexec_b32 s15, s1
	s_cbranch_execz .LBB192_438
; %bb.431:                              ;   in Loop: Header=BB192_286 Depth=1
	v_mov_b32_e32 v11, v6
	v_mov_b32_e32 v20, v12
	v_cmp_ne_u16_sdwa s1, v64, v39 src0_sel:BYTE_1 src1_sel:DWORD
	v_mov_b32_e32 v19, v11
	s_and_saveexec_b32 s16, s1
	s_cbranch_execz .LBB192_437
; %bb.432:                              ;   in Loop: Header=BB192_286 Depth=1
	v_and_b32_sdwa v5, v40, v64 dst_sel:DWORD dst_unused:UNUSED_PAD src0_sel:DWORD src1_sel:BYTE_1
	v_mov_b32_e32 v13, v6
	v_mov_b32_e32 v20, v14
	s_mov_b32 s17, exec_lo
	v_and_b32_e32 v21, 0x7f, v5
	v_mov_b32_e32 v19, v13
	v_cmpx_ne_u32_e32 0x7f, v21
	s_cbranch_execz .LBB192_436
; %bb.433:                              ;   in Loop: Header=BB192_286 Depth=1
	v_and_b32_e32 v5, 7, v5
	v_lshrrev_b32_e32 v11, 3, v21
	s_mov_b32 s18, exec_lo
	v_cmpx_gt_u32_e32 8, v21
; %bb.434:                              ;   in Loop: Header=BB192_286 Depth=1
	v_ffbh_u32_e32 v11, v5
	v_min_u32_e32 v11, 32, v11
	v_subrev_nc_u32_e32 v13, 28, v11
	v_sub_nc_u32_e32 v11, 29, v11
	v_lshlrev_b64 v[19:20], v13, v[5:6]
	v_and_b32_e32 v5, 7, v19
; %bb.435:                              ;   in Loop: Header=BB192_286 Depth=1
	s_or_b32 exec_lo, exec_lo, s18
	v_lshlrev_b32_e32 v13, 16, v64
	v_lshlrev_b32_e32 v5, 20, v5
	v_lshl_add_u32 v11, v11, 23, 0x3c000000
	v_mov_b32_e32 v19, v6
	v_and_b32_e32 v13, 0x80000000, v13
	v_or3_b32 v20, v5, v13, v11
.LBB192_436:                            ;   in Loop: Header=BB192_286 Depth=1
	s_or_b32 exec_lo, exec_lo, s17
.LBB192_437:                            ;   in Loop: Header=BB192_286 Depth=1
	s_or_b32 exec_lo, exec_lo, s16
.LBB192_438:                            ;   in Loop: Header=BB192_286 Depth=1
	s_or_b32 exec_lo, exec_lo, s15
	v_mov_b32_e32 v23, 0
	v_mov_b32_e32 v21, 0
	v_and_b32_sdwa v5, v64, v41 dst_sel:DWORD dst_unused:UNUSED_PAD src0_sel:WORD_1 src1_sel:DWORD
	v_mov_b32_e32 v24, 0
	v_mov_b32_e32 v22, 0
	s_mov_b32 s15, exec_lo
	v_cmpx_ne_u16_e32 0, v5
	s_cbranch_execz .LBB192_446
; %bb.439:                              ;   in Loop: Header=BB192_286 Depth=1
	v_bfrev_b32_e32 v21, 1
	v_mov_b32_e32 v22, 0
	s_mov_b32 s16, exec_lo
	v_cmpx_ne_u16_e32 0x80, v5
	s_cbranch_execz .LBB192_445
; %bb.440:                              ;   in Loop: Header=BB192_286 Depth=1
	v_mov_b32_e32 v21, 0x7f800001
	v_bfe_u32 v13, v64, 16, 7
	v_mov_b32_e32 v22, 0
	s_mov_b32 s17, exec_lo
	v_cmpx_ne_u32_e32 0x7f, v13
	s_cbranch_execz .LBB192_444
; %bb.441:                              ;   in Loop: Header=BB192_286 Depth=1
	v_and_b32_sdwa v5, v64, v42 dst_sel:DWORD dst_unused:UNUSED_PAD src0_sel:WORD_1 src1_sel:DWORD
	v_lshrrev_b32_e32 v11, 3, v13
	s_mov_b32 s18, exec_lo
	v_cmpx_gt_u32_e32 8, v13
; %bb.442:                              ;   in Loop: Header=BB192_286 Depth=1
	v_ffbh_u32_e32 v11, v5
	v_min_u32_e32 v11, 32, v11
	v_subrev_nc_u32_e32 v13, 28, v11
	v_sub_nc_u32_e32 v11, 29, v11
	v_lshlrev_b64 v[21:22], v13, v[5:6]
	v_and_b32_e32 v5, 7, v21
; %bb.443:                              ;   in Loop: Header=BB192_286 Depth=1
	s_or_b32 exec_lo, exec_lo, s18
	v_lshlrev_b32_sdwa v13, v43, v64 dst_sel:DWORD dst_unused:UNUSED_PAD src0_sel:DWORD src1_sel:WORD_1
	v_lshlrev_b32_e32 v5, 20, v5
	v_lshl_add_u32 v11, v11, 23, 0x3c000000
	v_and_b32_e32 v13, 0x80000000, v13
	v_or3_b32 v5, v5, v13, v11
	v_mov_b32_e32 v22, v6
	v_mov_b32_e32 v21, v5
.LBB192_444:                            ;   in Loop: Header=BB192_286 Depth=1
	s_or_b32 exec_lo, exec_lo, s17
.LBB192_445:                            ;   in Loop: Header=BB192_286 Depth=1
	s_or_b32 exec_lo, exec_lo, s16
.LBB192_446:                            ;   in Loop: Header=BB192_286 Depth=1
	s_or_b32 exec_lo, exec_lo, s15
	s_mov_b32 s15, exec_lo
	v_cmpx_lt_u32_e32 0xffffff, v64
	s_cbranch_execz .LBB192_454
; %bb.447:                              ;   in Loop: Header=BB192_286 Depth=1
	v_mov_b32_e32 v11, v6
	v_mov_b32_e32 v24, v12
	v_cmp_ne_u32_sdwa s1, v64, v39 src0_sel:BYTE_3 src1_sel:DWORD
	v_mov_b32_e32 v23, v11
	s_and_saveexec_b32 s16, s1
	s_cbranch_execz .LBB192_453
; %bb.448:                              ;   in Loop: Header=BB192_286 Depth=1
	v_mov_b32_e32 v13, v6
	v_mov_b32_e32 v24, v14
	v_bfe_u32 v65, v64, 24, 7
	s_mov_b32 s17, exec_lo
	v_mov_b32_e32 v23, v13
	v_cmpx_ne_u32_e32 0x7f, v65
	s_cbranch_execz .LBB192_452
; %bb.449:                              ;   in Loop: Header=BB192_286 Depth=1
	v_and_b32_sdwa v5, v64, v42 dst_sel:DWORD dst_unused:UNUSED_PAD src0_sel:BYTE_3 src1_sel:DWORD
	v_lshrrev_b32_e32 v11, 3, v65
	s_mov_b32 s18, exec_lo
	v_cmpx_gt_u32_e32 8, v65
; %bb.450:                              ;   in Loop: Header=BB192_286 Depth=1
	v_ffbh_u32_e32 v11, v5
	v_min_u32_e32 v11, 32, v11
	v_subrev_nc_u32_e32 v13, 28, v11
	v_sub_nc_u32_e32 v11, 29, v11
	v_lshlrev_b64 v[23:24], v13, v[5:6]
	v_and_b32_e32 v5, 7, v23
; %bb.451:                              ;   in Loop: Header=BB192_286 Depth=1
	s_or_b32 exec_lo, exec_lo, s18
	v_lshlrev_b32_sdwa v13, v43, v64 dst_sel:DWORD dst_unused:UNUSED_PAD src0_sel:DWORD src1_sel:BYTE_3
	v_lshlrev_b32_e32 v5, 20, v5
	v_lshl_add_u32 v11, v11, 23, 0x3c000000
	v_mov_b32_e32 v23, v6
	v_and_b32_e32 v13, 0x80000000, v13
	v_or3_b32 v24, v5, v13, v11
.LBB192_452:                            ;   in Loop: Header=BB192_286 Depth=1
	s_or_b32 exec_lo, exec_lo, s17
.LBB192_453:                            ;   in Loop: Header=BB192_286 Depth=1
	s_or_b32 exec_lo, exec_lo, s16
.LBB192_454:                            ;   in Loop: Header=BB192_286 Depth=1
	s_or_b32 exec_lo, exec_lo, s15
	v_or_b32_e32 v5, v20, v18
	v_or_b32_e32 v11, v19, v17
	;; [unrolled: 1-line block ×4, first 2 shown]
	v_mul_f32_e32 v66, s14, v5
	v_mul_f32_e32 v67, s3, v11
	;; [unrolled: 1-line block ×4, first 2 shown]
	s_and_saveexec_b32 s15, vcc_lo
	s_cbranch_execz .LBB192_456
; %bb.455:                              ;   in Loop: Header=BB192_286 Depth=1
	v_cmp_gt_i32_e64 s1, s11, v49
	v_cndmask_b32_e64 v67, 0, v67, s1
	v_cmp_gt_i32_e64 s1, s11, v51
	v_cndmask_b32_e64 v66, 0, v66, s1
	;; [unrolled: 2-line block ×4, first 2 shown]
.LBB192_456:                            ;   in Loop: Header=BB192_286 Depth=1
	s_or_b32 exec_lo, exec_lo, s15
	global_load_dword v68, v[15:16], off offset:640
	v_mov_b32_e32 v19, 0
	v_mov_b32_e32 v17, 0
	;; [unrolled: 1-line block ×4, first 2 shown]
	s_waitcnt vmcnt(0)
	v_cmp_ne_u16_sdwa s1, v68, v6 src0_sel:BYTE_0 src1_sel:DWORD
	s_and_saveexec_b32 s15, s1
	s_cbranch_execz .LBB192_464
; %bb.457:                              ;   in Loop: Header=BB192_286 Depth=1
	v_bfrev_b32_e32 v17, 1
	v_mov_b32_e32 v18, 0
	v_cmp_ne_u16_sdwa s1, v68, v39 src0_sel:BYTE_0 src1_sel:DWORD
	s_and_saveexec_b32 s16, s1
	s_cbranch_execz .LBB192_463
; %bb.458:                              ;   in Loop: Header=BB192_286 Depth=1
	v_mov_b32_e32 v17, 0x7f800001
	v_and_b32_e32 v13, 0x7f, v68
	v_mov_b32_e32 v18, 0
	s_mov_b32 s17, exec_lo
	v_cmpx_ne_u32_e32 0x7f, v13
	s_cbranch_execz .LBB192_462
; %bb.459:                              ;   in Loop: Header=BB192_286 Depth=1
	v_and_b32_e32 v5, 7, v68
	v_lshrrev_b32_e32 v11, 3, v13
	s_mov_b32 s18, exec_lo
	v_cmpx_gt_u32_e32 8, v13
; %bb.460:                              ;   in Loop: Header=BB192_286 Depth=1
	v_ffbh_u32_e32 v11, v5
	v_min_u32_e32 v11, 32, v11
	v_subrev_nc_u32_e32 v13, 28, v11
	v_sub_nc_u32_e32 v11, 29, v11
	v_lshlrev_b64 v[17:18], v13, v[5:6]
	v_and_b32_e32 v5, 7, v17
; %bb.461:                              ;   in Loop: Header=BB192_286 Depth=1
	s_or_b32 exec_lo, exec_lo, s18
	v_lshlrev_b32_e32 v13, 24, v68
	v_lshlrev_b32_e32 v5, 20, v5
	v_lshl_add_u32 v11, v11, 23, 0x3c000000
	v_and_b32_e32 v13, 0x80000000, v13
	v_or3_b32 v5, v5, v13, v11
	v_mov_b32_e32 v18, v6
	v_mov_b32_e32 v17, v5
.LBB192_462:                            ;   in Loop: Header=BB192_286 Depth=1
	s_or_b32 exec_lo, exec_lo, s17
.LBB192_463:                            ;   in Loop: Header=BB192_286 Depth=1
	s_or_b32 exec_lo, exec_lo, s16
.LBB192_464:                            ;   in Loop: Header=BB192_286 Depth=1
	s_or_b32 exec_lo, exec_lo, s15
	v_cmp_ne_u16_sdwa s1, v68, v6 src0_sel:BYTE_1 src1_sel:DWORD
	s_and_saveexec_b32 s15, s1
	s_cbranch_execz .LBB192_472
; %bb.465:                              ;   in Loop: Header=BB192_286 Depth=1
	v_mov_b32_e32 v11, v6
	v_mov_b32_e32 v20, v12
	v_cmp_ne_u16_sdwa s1, v68, v39 src0_sel:BYTE_1 src1_sel:DWORD
	v_mov_b32_e32 v19, v11
	s_and_saveexec_b32 s16, s1
	s_cbranch_execz .LBB192_471
; %bb.466:                              ;   in Loop: Header=BB192_286 Depth=1
	v_and_b32_sdwa v5, v40, v68 dst_sel:DWORD dst_unused:UNUSED_PAD src0_sel:DWORD src1_sel:BYTE_1
	v_mov_b32_e32 v13, v6
	v_mov_b32_e32 v20, v14
	s_mov_b32 s17, exec_lo
	v_and_b32_e32 v21, 0x7f, v5
	v_mov_b32_e32 v19, v13
	v_cmpx_ne_u32_e32 0x7f, v21
	s_cbranch_execz .LBB192_470
; %bb.467:                              ;   in Loop: Header=BB192_286 Depth=1
	v_and_b32_e32 v5, 7, v5
	v_lshrrev_b32_e32 v11, 3, v21
	s_mov_b32 s18, exec_lo
	v_cmpx_gt_u32_e32 8, v21
; %bb.468:                              ;   in Loop: Header=BB192_286 Depth=1
	v_ffbh_u32_e32 v11, v5
	v_min_u32_e32 v11, 32, v11
	v_subrev_nc_u32_e32 v13, 28, v11
	v_sub_nc_u32_e32 v11, 29, v11
	v_lshlrev_b64 v[19:20], v13, v[5:6]
	v_and_b32_e32 v5, 7, v19
; %bb.469:                              ;   in Loop: Header=BB192_286 Depth=1
	s_or_b32 exec_lo, exec_lo, s18
	v_lshlrev_b32_e32 v13, 16, v68
	v_lshlrev_b32_e32 v5, 20, v5
	v_lshl_add_u32 v11, v11, 23, 0x3c000000
	v_mov_b32_e32 v19, v6
	v_and_b32_e32 v13, 0x80000000, v13
	v_or3_b32 v20, v5, v13, v11
.LBB192_470:                            ;   in Loop: Header=BB192_286 Depth=1
	s_or_b32 exec_lo, exec_lo, s17
.LBB192_471:                            ;   in Loop: Header=BB192_286 Depth=1
	s_or_b32 exec_lo, exec_lo, s16
.LBB192_472:                            ;   in Loop: Header=BB192_286 Depth=1
	s_or_b32 exec_lo, exec_lo, s15
	v_mov_b32_e32 v23, 0
	v_mov_b32_e32 v21, 0
	v_and_b32_sdwa v5, v68, v41 dst_sel:DWORD dst_unused:UNUSED_PAD src0_sel:WORD_1 src1_sel:DWORD
	v_mov_b32_e32 v24, 0
	v_mov_b32_e32 v22, 0
	s_mov_b32 s15, exec_lo
	v_cmpx_ne_u16_e32 0, v5
	s_cbranch_execz .LBB192_480
; %bb.473:                              ;   in Loop: Header=BB192_286 Depth=1
	v_bfrev_b32_e32 v21, 1
	v_mov_b32_e32 v22, 0
	s_mov_b32 s16, exec_lo
	v_cmpx_ne_u16_e32 0x80, v5
	s_cbranch_execz .LBB192_479
; %bb.474:                              ;   in Loop: Header=BB192_286 Depth=1
	v_mov_b32_e32 v21, 0x7f800001
	v_bfe_u32 v13, v68, 16, 7
	v_mov_b32_e32 v22, 0
	s_mov_b32 s17, exec_lo
	v_cmpx_ne_u32_e32 0x7f, v13
	s_cbranch_execz .LBB192_478
; %bb.475:                              ;   in Loop: Header=BB192_286 Depth=1
	v_and_b32_sdwa v5, v68, v42 dst_sel:DWORD dst_unused:UNUSED_PAD src0_sel:WORD_1 src1_sel:DWORD
	v_lshrrev_b32_e32 v11, 3, v13
	s_mov_b32 s18, exec_lo
	v_cmpx_gt_u32_e32 8, v13
; %bb.476:                              ;   in Loop: Header=BB192_286 Depth=1
	v_ffbh_u32_e32 v11, v5
	v_min_u32_e32 v11, 32, v11
	v_subrev_nc_u32_e32 v13, 28, v11
	v_sub_nc_u32_e32 v11, 29, v11
	v_lshlrev_b64 v[21:22], v13, v[5:6]
	v_and_b32_e32 v5, 7, v21
; %bb.477:                              ;   in Loop: Header=BB192_286 Depth=1
	s_or_b32 exec_lo, exec_lo, s18
	v_lshlrev_b32_sdwa v13, v43, v68 dst_sel:DWORD dst_unused:UNUSED_PAD src0_sel:DWORD src1_sel:WORD_1
	v_lshlrev_b32_e32 v5, 20, v5
	v_lshl_add_u32 v11, v11, 23, 0x3c000000
	v_and_b32_e32 v13, 0x80000000, v13
	v_or3_b32 v5, v5, v13, v11
	v_mov_b32_e32 v22, v6
	v_mov_b32_e32 v21, v5
.LBB192_478:                            ;   in Loop: Header=BB192_286 Depth=1
	s_or_b32 exec_lo, exec_lo, s17
.LBB192_479:                            ;   in Loop: Header=BB192_286 Depth=1
	s_or_b32 exec_lo, exec_lo, s16
.LBB192_480:                            ;   in Loop: Header=BB192_286 Depth=1
	s_or_b32 exec_lo, exec_lo, s15
	s_mov_b32 s15, exec_lo
	v_cmpx_lt_u32_e32 0xffffff, v68
	s_cbranch_execz .LBB192_488
; %bb.481:                              ;   in Loop: Header=BB192_286 Depth=1
	v_mov_b32_e32 v11, v6
	v_mov_b32_e32 v24, v12
	v_cmp_ne_u32_sdwa s1, v68, v39 src0_sel:BYTE_3 src1_sel:DWORD
	v_mov_b32_e32 v23, v11
	s_and_saveexec_b32 s16, s1
	s_cbranch_execz .LBB192_487
; %bb.482:                              ;   in Loop: Header=BB192_286 Depth=1
	v_mov_b32_e32 v13, v6
	v_mov_b32_e32 v24, v14
	v_bfe_u32 v69, v68, 24, 7
	s_mov_b32 s17, exec_lo
	v_mov_b32_e32 v23, v13
	v_cmpx_ne_u32_e32 0x7f, v69
	s_cbranch_execz .LBB192_486
; %bb.483:                              ;   in Loop: Header=BB192_286 Depth=1
	v_and_b32_sdwa v5, v68, v42 dst_sel:DWORD dst_unused:UNUSED_PAD src0_sel:BYTE_3 src1_sel:DWORD
	v_lshrrev_b32_e32 v11, 3, v69
	s_mov_b32 s18, exec_lo
	v_cmpx_gt_u32_e32 8, v69
; %bb.484:                              ;   in Loop: Header=BB192_286 Depth=1
	v_ffbh_u32_e32 v11, v5
	v_min_u32_e32 v11, 32, v11
	v_subrev_nc_u32_e32 v13, 28, v11
	v_sub_nc_u32_e32 v11, 29, v11
	v_lshlrev_b64 v[23:24], v13, v[5:6]
	v_and_b32_e32 v5, 7, v23
; %bb.485:                              ;   in Loop: Header=BB192_286 Depth=1
	s_or_b32 exec_lo, exec_lo, s18
	v_lshlrev_b32_sdwa v13, v43, v68 dst_sel:DWORD dst_unused:UNUSED_PAD src0_sel:DWORD src1_sel:BYTE_3
	v_lshlrev_b32_e32 v5, 20, v5
	v_lshl_add_u32 v11, v11, 23, 0x3c000000
	v_mov_b32_e32 v23, v6
	v_and_b32_e32 v13, 0x80000000, v13
	v_or3_b32 v24, v5, v13, v11
.LBB192_486:                            ;   in Loop: Header=BB192_286 Depth=1
	s_or_b32 exec_lo, exec_lo, s17
.LBB192_487:                            ;   in Loop: Header=BB192_286 Depth=1
	s_or_b32 exec_lo, exec_lo, s16
.LBB192_488:                            ;   in Loop: Header=BB192_286 Depth=1
	s_or_b32 exec_lo, exec_lo, s15
	v_or_b32_e32 v5, v20, v18
	v_or_b32_e32 v11, v19, v17
	v_or_b32_e32 v13, v23, v21
	v_or_b32_e32 v17, v24, v22
	v_mul_f32_e32 v70, s14, v5
	v_mul_f32_e32 v71, s3, v11
	;; [unrolled: 1-line block ×4, first 2 shown]
	s_and_saveexec_b32 s15, vcc_lo
	s_cbranch_execz .LBB192_490
; %bb.489:                              ;   in Loop: Header=BB192_286 Depth=1
	v_cmp_gt_i32_e64 s1, s11, v49
	v_cndmask_b32_e64 v71, 0, v71, s1
	v_cmp_gt_i32_e64 s1, s11, v51
	v_cndmask_b32_e64 v70, 0, v70, s1
	;; [unrolled: 2-line block ×4, first 2 shown]
.LBB192_490:                            ;   in Loop: Header=BB192_286 Depth=1
	s_or_b32 exec_lo, exec_lo, s15
	global_load_dword v72, v[15:16], off offset:768
	v_mov_b32_e32 v19, 0
	v_mov_b32_e32 v17, 0
	;; [unrolled: 1-line block ×4, first 2 shown]
	s_waitcnt vmcnt(0)
	v_cmp_ne_u16_sdwa s1, v72, v6 src0_sel:BYTE_0 src1_sel:DWORD
	s_and_saveexec_b32 s15, s1
	s_cbranch_execz .LBB192_498
; %bb.491:                              ;   in Loop: Header=BB192_286 Depth=1
	v_bfrev_b32_e32 v17, 1
	v_mov_b32_e32 v18, 0
	v_cmp_ne_u16_sdwa s1, v72, v39 src0_sel:BYTE_0 src1_sel:DWORD
	s_and_saveexec_b32 s16, s1
	s_cbranch_execz .LBB192_497
; %bb.492:                              ;   in Loop: Header=BB192_286 Depth=1
	v_mov_b32_e32 v17, 0x7f800001
	v_and_b32_e32 v13, 0x7f, v72
	v_mov_b32_e32 v18, 0
	s_mov_b32 s17, exec_lo
	v_cmpx_ne_u32_e32 0x7f, v13
	s_cbranch_execz .LBB192_496
; %bb.493:                              ;   in Loop: Header=BB192_286 Depth=1
	v_and_b32_e32 v5, 7, v72
	v_lshrrev_b32_e32 v11, 3, v13
	s_mov_b32 s18, exec_lo
	v_cmpx_gt_u32_e32 8, v13
; %bb.494:                              ;   in Loop: Header=BB192_286 Depth=1
	v_ffbh_u32_e32 v11, v5
	v_min_u32_e32 v11, 32, v11
	v_subrev_nc_u32_e32 v13, 28, v11
	v_sub_nc_u32_e32 v11, 29, v11
	v_lshlrev_b64 v[17:18], v13, v[5:6]
	v_and_b32_e32 v5, 7, v17
; %bb.495:                              ;   in Loop: Header=BB192_286 Depth=1
	s_or_b32 exec_lo, exec_lo, s18
	v_lshlrev_b32_e32 v13, 24, v72
	v_lshlrev_b32_e32 v5, 20, v5
	v_lshl_add_u32 v11, v11, 23, 0x3c000000
	v_and_b32_e32 v13, 0x80000000, v13
	v_or3_b32 v5, v5, v13, v11
	v_mov_b32_e32 v18, v6
	v_mov_b32_e32 v17, v5
.LBB192_496:                            ;   in Loop: Header=BB192_286 Depth=1
	s_or_b32 exec_lo, exec_lo, s17
.LBB192_497:                            ;   in Loop: Header=BB192_286 Depth=1
	s_or_b32 exec_lo, exec_lo, s16
.LBB192_498:                            ;   in Loop: Header=BB192_286 Depth=1
	s_or_b32 exec_lo, exec_lo, s15
	v_cmp_ne_u16_sdwa s1, v72, v6 src0_sel:BYTE_1 src1_sel:DWORD
	s_and_saveexec_b32 s15, s1
	s_cbranch_execz .LBB192_506
; %bb.499:                              ;   in Loop: Header=BB192_286 Depth=1
	v_mov_b32_e32 v11, v6
	v_mov_b32_e32 v20, v12
	v_cmp_ne_u16_sdwa s1, v72, v39 src0_sel:BYTE_1 src1_sel:DWORD
	v_mov_b32_e32 v19, v11
	s_and_saveexec_b32 s16, s1
	s_cbranch_execz .LBB192_505
; %bb.500:                              ;   in Loop: Header=BB192_286 Depth=1
	v_and_b32_sdwa v5, v40, v72 dst_sel:DWORD dst_unused:UNUSED_PAD src0_sel:DWORD src1_sel:BYTE_1
	v_mov_b32_e32 v13, v6
	v_mov_b32_e32 v20, v14
	s_mov_b32 s17, exec_lo
	v_and_b32_e32 v21, 0x7f, v5
	v_mov_b32_e32 v19, v13
	v_cmpx_ne_u32_e32 0x7f, v21
	s_cbranch_execz .LBB192_504
; %bb.501:                              ;   in Loop: Header=BB192_286 Depth=1
	v_and_b32_e32 v5, 7, v5
	v_lshrrev_b32_e32 v11, 3, v21
	s_mov_b32 s18, exec_lo
	v_cmpx_gt_u32_e32 8, v21
; %bb.502:                              ;   in Loop: Header=BB192_286 Depth=1
	v_ffbh_u32_e32 v11, v5
	v_min_u32_e32 v11, 32, v11
	v_subrev_nc_u32_e32 v13, 28, v11
	v_sub_nc_u32_e32 v11, 29, v11
	v_lshlrev_b64 v[19:20], v13, v[5:6]
	v_and_b32_e32 v5, 7, v19
; %bb.503:                              ;   in Loop: Header=BB192_286 Depth=1
	s_or_b32 exec_lo, exec_lo, s18
	v_lshlrev_b32_e32 v13, 16, v72
	v_lshlrev_b32_e32 v5, 20, v5
	v_lshl_add_u32 v11, v11, 23, 0x3c000000
	v_mov_b32_e32 v19, v6
	v_and_b32_e32 v13, 0x80000000, v13
	v_or3_b32 v20, v5, v13, v11
.LBB192_504:                            ;   in Loop: Header=BB192_286 Depth=1
	s_or_b32 exec_lo, exec_lo, s17
.LBB192_505:                            ;   in Loop: Header=BB192_286 Depth=1
	s_or_b32 exec_lo, exec_lo, s16
.LBB192_506:                            ;   in Loop: Header=BB192_286 Depth=1
	s_or_b32 exec_lo, exec_lo, s15
	v_mov_b32_e32 v23, 0
	v_mov_b32_e32 v21, 0
	v_and_b32_sdwa v5, v72, v41 dst_sel:DWORD dst_unused:UNUSED_PAD src0_sel:WORD_1 src1_sel:DWORD
	v_mov_b32_e32 v24, 0
	v_mov_b32_e32 v22, 0
	s_mov_b32 s15, exec_lo
	v_cmpx_ne_u16_e32 0, v5
	s_cbranch_execz .LBB192_514
; %bb.507:                              ;   in Loop: Header=BB192_286 Depth=1
	v_bfrev_b32_e32 v21, 1
	v_mov_b32_e32 v22, 0
	s_mov_b32 s16, exec_lo
	v_cmpx_ne_u16_e32 0x80, v5
	s_cbranch_execz .LBB192_513
; %bb.508:                              ;   in Loop: Header=BB192_286 Depth=1
	v_mov_b32_e32 v21, 0x7f800001
	v_bfe_u32 v13, v72, 16, 7
	v_mov_b32_e32 v22, 0
	s_mov_b32 s17, exec_lo
	v_cmpx_ne_u32_e32 0x7f, v13
	s_cbranch_execz .LBB192_512
; %bb.509:                              ;   in Loop: Header=BB192_286 Depth=1
	v_and_b32_sdwa v5, v72, v42 dst_sel:DWORD dst_unused:UNUSED_PAD src0_sel:WORD_1 src1_sel:DWORD
	v_lshrrev_b32_e32 v11, 3, v13
	s_mov_b32 s18, exec_lo
	v_cmpx_gt_u32_e32 8, v13
; %bb.510:                              ;   in Loop: Header=BB192_286 Depth=1
	v_ffbh_u32_e32 v11, v5
	v_min_u32_e32 v11, 32, v11
	v_subrev_nc_u32_e32 v13, 28, v11
	v_sub_nc_u32_e32 v11, 29, v11
	v_lshlrev_b64 v[21:22], v13, v[5:6]
	v_and_b32_e32 v5, 7, v21
; %bb.511:                              ;   in Loop: Header=BB192_286 Depth=1
	s_or_b32 exec_lo, exec_lo, s18
	v_lshlrev_b32_sdwa v13, v43, v72 dst_sel:DWORD dst_unused:UNUSED_PAD src0_sel:DWORD src1_sel:WORD_1
	v_lshlrev_b32_e32 v5, 20, v5
	v_lshl_add_u32 v11, v11, 23, 0x3c000000
	v_and_b32_e32 v13, 0x80000000, v13
	v_or3_b32 v5, v5, v13, v11
	v_mov_b32_e32 v22, v6
	v_mov_b32_e32 v21, v5
.LBB192_512:                            ;   in Loop: Header=BB192_286 Depth=1
	s_or_b32 exec_lo, exec_lo, s17
.LBB192_513:                            ;   in Loop: Header=BB192_286 Depth=1
	s_or_b32 exec_lo, exec_lo, s16
.LBB192_514:                            ;   in Loop: Header=BB192_286 Depth=1
	s_or_b32 exec_lo, exec_lo, s15
	s_mov_b32 s15, exec_lo
	v_cmpx_lt_u32_e32 0xffffff, v72
	s_cbranch_execz .LBB192_522
; %bb.515:                              ;   in Loop: Header=BB192_286 Depth=1
	v_mov_b32_e32 v11, v6
	v_mov_b32_e32 v24, v12
	v_cmp_ne_u32_sdwa s1, v72, v39 src0_sel:BYTE_3 src1_sel:DWORD
	v_mov_b32_e32 v23, v11
	s_and_saveexec_b32 s16, s1
	s_cbranch_execz .LBB192_521
; %bb.516:                              ;   in Loop: Header=BB192_286 Depth=1
	v_mov_b32_e32 v13, v6
	v_mov_b32_e32 v24, v14
	v_bfe_u32 v73, v72, 24, 7
	s_mov_b32 s17, exec_lo
	v_mov_b32_e32 v23, v13
	v_cmpx_ne_u32_e32 0x7f, v73
	s_cbranch_execz .LBB192_520
; %bb.517:                              ;   in Loop: Header=BB192_286 Depth=1
	v_and_b32_sdwa v5, v72, v42 dst_sel:DWORD dst_unused:UNUSED_PAD src0_sel:BYTE_3 src1_sel:DWORD
	v_lshrrev_b32_e32 v11, 3, v73
	s_mov_b32 s18, exec_lo
	v_cmpx_gt_u32_e32 8, v73
; %bb.518:                              ;   in Loop: Header=BB192_286 Depth=1
	v_ffbh_u32_e32 v11, v5
	v_min_u32_e32 v11, 32, v11
	v_subrev_nc_u32_e32 v13, 28, v11
	v_sub_nc_u32_e32 v11, 29, v11
	v_lshlrev_b64 v[23:24], v13, v[5:6]
	v_and_b32_e32 v5, 7, v23
; %bb.519:                              ;   in Loop: Header=BB192_286 Depth=1
	s_or_b32 exec_lo, exec_lo, s18
	v_lshlrev_b32_sdwa v13, v43, v72 dst_sel:DWORD dst_unused:UNUSED_PAD src0_sel:DWORD src1_sel:BYTE_3
	v_lshlrev_b32_e32 v5, 20, v5
	v_lshl_add_u32 v11, v11, 23, 0x3c000000
	v_mov_b32_e32 v23, v6
	v_and_b32_e32 v13, 0x80000000, v13
	v_or3_b32 v24, v5, v13, v11
.LBB192_520:                            ;   in Loop: Header=BB192_286 Depth=1
	s_or_b32 exec_lo, exec_lo, s17
.LBB192_521:                            ;   in Loop: Header=BB192_286 Depth=1
	s_or_b32 exec_lo, exec_lo, s16
.LBB192_522:                            ;   in Loop: Header=BB192_286 Depth=1
	s_or_b32 exec_lo, exec_lo, s15
	v_or_b32_e32 v5, v20, v18
	v_or_b32_e32 v11, v19, v17
	;; [unrolled: 1-line block ×4, first 2 shown]
	v_mul_f32_e32 v72, s14, v5
	v_mul_f32_e32 v73, s3, v11
	v_mul_f32_e32 v24, s3, v13
	v_mul_f32_e32 v23, s14, v17
	s_and_saveexec_b32 s15, vcc_lo
	s_cbranch_execz .LBB192_524
; %bb.523:                              ;   in Loop: Header=BB192_286 Depth=1
	v_cmp_gt_i32_e64 s1, s11, v49
	v_cndmask_b32_e64 v73, 0, v73, s1
	v_cmp_gt_i32_e64 s1, s11, v51
	v_cndmask_b32_e64 v72, 0, v72, s1
	;; [unrolled: 2-line block ×4, first 2 shown]
.LBB192_524:                            ;   in Loop: Header=BB192_286 Depth=1
	s_or_b32 exec_lo, exec_lo, s15
	global_load_dword v74, v[15:16], off offset:896
	v_mov_b32_e32 v17, 0
	v_mov_b32_e32 v15, 0
	;; [unrolled: 1-line block ×4, first 2 shown]
	s_waitcnt vmcnt(0)
	v_cmp_ne_u16_sdwa s1, v74, v6 src0_sel:BYTE_0 src1_sel:DWORD
	s_and_saveexec_b32 s15, s1
	s_cbranch_execz .LBB192_532
; %bb.525:                              ;   in Loop: Header=BB192_286 Depth=1
	v_bfrev_b32_e32 v15, 1
	v_mov_b32_e32 v16, 0
	v_cmp_ne_u16_sdwa s1, v74, v39 src0_sel:BYTE_0 src1_sel:DWORD
	s_and_saveexec_b32 s16, s1
	s_cbranch_execz .LBB192_531
; %bb.526:                              ;   in Loop: Header=BB192_286 Depth=1
	v_mov_b32_e32 v15, 0x7f800001
	v_and_b32_e32 v13, 0x7f, v74
	v_mov_b32_e32 v16, 0
	s_mov_b32 s17, exec_lo
	v_cmpx_ne_u32_e32 0x7f, v13
	s_cbranch_execz .LBB192_530
; %bb.527:                              ;   in Loop: Header=BB192_286 Depth=1
	v_and_b32_e32 v5, 7, v74
	v_lshrrev_b32_e32 v11, 3, v13
	s_mov_b32 s18, exec_lo
	v_cmpx_gt_u32_e32 8, v13
; %bb.528:                              ;   in Loop: Header=BB192_286 Depth=1
	v_ffbh_u32_e32 v11, v5
	v_min_u32_e32 v11, 32, v11
	v_subrev_nc_u32_e32 v13, 28, v11
	v_sub_nc_u32_e32 v11, 29, v11
	v_lshlrev_b64 v[15:16], v13, v[5:6]
	v_and_b32_e32 v5, 7, v15
; %bb.529:                              ;   in Loop: Header=BB192_286 Depth=1
	s_or_b32 exec_lo, exec_lo, s18
	v_lshlrev_b32_e32 v13, 24, v74
	v_lshlrev_b32_e32 v5, 20, v5
	v_lshl_add_u32 v11, v11, 23, 0x3c000000
	v_and_b32_e32 v13, 0x80000000, v13
	v_or3_b32 v5, v5, v13, v11
	v_mov_b32_e32 v16, v6
	v_mov_b32_e32 v15, v5
.LBB192_530:                            ;   in Loop: Header=BB192_286 Depth=1
	s_or_b32 exec_lo, exec_lo, s17
.LBB192_531:                            ;   in Loop: Header=BB192_286 Depth=1
	s_or_b32 exec_lo, exec_lo, s16
.LBB192_532:                            ;   in Loop: Header=BB192_286 Depth=1
	s_or_b32 exec_lo, exec_lo, s15
	v_cmp_ne_u16_sdwa s1, v74, v6 src0_sel:BYTE_1 src1_sel:DWORD
	s_and_saveexec_b32 s15, s1
	s_cbranch_execz .LBB192_540
; %bb.533:                              ;   in Loop: Header=BB192_286 Depth=1
	v_mov_b32_e32 v11, v6
	v_mov_b32_e32 v18, v12
	v_cmp_ne_u16_sdwa s1, v74, v39 src0_sel:BYTE_1 src1_sel:DWORD
	v_mov_b32_e32 v17, v11
	s_and_saveexec_b32 s16, s1
	s_cbranch_execz .LBB192_539
; %bb.534:                              ;   in Loop: Header=BB192_286 Depth=1
	v_and_b32_sdwa v5, v40, v74 dst_sel:DWORD dst_unused:UNUSED_PAD src0_sel:DWORD src1_sel:BYTE_1
	v_mov_b32_e32 v13, v6
	v_mov_b32_e32 v18, v14
	s_mov_b32 s17, exec_lo
	v_and_b32_e32 v19, 0x7f, v5
	v_mov_b32_e32 v17, v13
	v_cmpx_ne_u32_e32 0x7f, v19
	s_cbranch_execz .LBB192_538
; %bb.535:                              ;   in Loop: Header=BB192_286 Depth=1
	v_and_b32_e32 v5, 7, v5
	v_lshrrev_b32_e32 v11, 3, v19
	s_mov_b32 s18, exec_lo
	v_cmpx_gt_u32_e32 8, v19
; %bb.536:                              ;   in Loop: Header=BB192_286 Depth=1
	v_ffbh_u32_e32 v11, v5
	v_min_u32_e32 v11, 32, v11
	v_subrev_nc_u32_e32 v13, 28, v11
	v_sub_nc_u32_e32 v11, 29, v11
	v_lshlrev_b64 v[17:18], v13, v[5:6]
	v_and_b32_e32 v5, 7, v17
; %bb.537:                              ;   in Loop: Header=BB192_286 Depth=1
	s_or_b32 exec_lo, exec_lo, s18
	v_lshlrev_b32_e32 v13, 16, v74
	v_lshlrev_b32_e32 v5, 20, v5
	v_lshl_add_u32 v11, v11, 23, 0x3c000000
	v_mov_b32_e32 v17, v6
	v_and_b32_e32 v13, 0x80000000, v13
	v_or3_b32 v18, v5, v13, v11
.LBB192_538:                            ;   in Loop: Header=BB192_286 Depth=1
	s_or_b32 exec_lo, exec_lo, s17
.LBB192_539:                            ;   in Loop: Header=BB192_286 Depth=1
	s_or_b32 exec_lo, exec_lo, s16
.LBB192_540:                            ;   in Loop: Header=BB192_286 Depth=1
	s_or_b32 exec_lo, exec_lo, s15
	v_mov_b32_e32 v21, 0
	v_mov_b32_e32 v19, 0
	v_and_b32_sdwa v5, v74, v41 dst_sel:DWORD dst_unused:UNUSED_PAD src0_sel:WORD_1 src1_sel:DWORD
	v_mov_b32_e32 v22, 0
	v_mov_b32_e32 v20, 0
	s_mov_b32 s15, exec_lo
	v_cmpx_ne_u16_e32 0, v5
	s_cbranch_execz .LBB192_548
; %bb.541:                              ;   in Loop: Header=BB192_286 Depth=1
	v_bfrev_b32_e32 v19, 1
	v_mov_b32_e32 v20, 0
	s_mov_b32 s16, exec_lo
	v_cmpx_ne_u16_e32 0x80, v5
	s_cbranch_execz .LBB192_547
; %bb.542:                              ;   in Loop: Header=BB192_286 Depth=1
	v_mov_b32_e32 v19, 0x7f800001
	v_bfe_u32 v13, v74, 16, 7
	v_mov_b32_e32 v20, 0
	s_mov_b32 s17, exec_lo
	v_cmpx_ne_u32_e32 0x7f, v13
	s_cbranch_execz .LBB192_546
; %bb.543:                              ;   in Loop: Header=BB192_286 Depth=1
	v_and_b32_sdwa v5, v74, v42 dst_sel:DWORD dst_unused:UNUSED_PAD src0_sel:WORD_1 src1_sel:DWORD
	v_lshrrev_b32_e32 v11, 3, v13
	s_mov_b32 s18, exec_lo
	v_cmpx_gt_u32_e32 8, v13
; %bb.544:                              ;   in Loop: Header=BB192_286 Depth=1
	v_ffbh_u32_e32 v11, v5
	v_min_u32_e32 v11, 32, v11
	v_subrev_nc_u32_e32 v13, 28, v11
	v_sub_nc_u32_e32 v11, 29, v11
	v_lshlrev_b64 v[19:20], v13, v[5:6]
	v_and_b32_e32 v5, 7, v19
; %bb.545:                              ;   in Loop: Header=BB192_286 Depth=1
	s_or_b32 exec_lo, exec_lo, s18
	v_lshlrev_b32_sdwa v13, v43, v74 dst_sel:DWORD dst_unused:UNUSED_PAD src0_sel:DWORD src1_sel:WORD_1
	v_lshlrev_b32_e32 v5, 20, v5
	v_lshl_add_u32 v11, v11, 23, 0x3c000000
	v_and_b32_e32 v13, 0x80000000, v13
	v_or3_b32 v5, v5, v13, v11
	v_mov_b32_e32 v20, v6
	v_mov_b32_e32 v19, v5
.LBB192_546:                            ;   in Loop: Header=BB192_286 Depth=1
	s_or_b32 exec_lo, exec_lo, s17
.LBB192_547:                            ;   in Loop: Header=BB192_286 Depth=1
	s_or_b32 exec_lo, exec_lo, s16
.LBB192_548:                            ;   in Loop: Header=BB192_286 Depth=1
	s_or_b32 exec_lo, exec_lo, s15
	s_mov_b32 s15, exec_lo
	v_cmpx_lt_u32_e32 0xffffff, v74
	s_cbranch_execz .LBB192_556
; %bb.549:                              ;   in Loop: Header=BB192_286 Depth=1
	v_mov_b32_e32 v11, v6
	v_mov_b32_e32 v22, v12
	v_cmp_ne_u32_sdwa s1, v74, v39 src0_sel:BYTE_3 src1_sel:DWORD
	v_mov_b32_e32 v21, v11
	s_and_saveexec_b32 s16, s1
	s_cbranch_execz .LBB192_555
; %bb.550:                              ;   in Loop: Header=BB192_286 Depth=1
	v_mov_b32_e32 v13, v6
	v_mov_b32_e32 v22, v14
	v_bfe_u32 v75, v74, 24, 7
	s_mov_b32 s17, exec_lo
	v_mov_b32_e32 v21, v13
	v_cmpx_ne_u32_e32 0x7f, v75
	s_cbranch_execz .LBB192_554
; %bb.551:                              ;   in Loop: Header=BB192_286 Depth=1
	v_and_b32_sdwa v5, v74, v42 dst_sel:DWORD dst_unused:UNUSED_PAD src0_sel:BYTE_3 src1_sel:DWORD
	v_lshrrev_b32_e32 v11, 3, v75
	s_mov_b32 s18, exec_lo
	v_cmpx_gt_u32_e32 8, v75
; %bb.552:                              ;   in Loop: Header=BB192_286 Depth=1
	v_ffbh_u32_e32 v11, v5
	v_min_u32_e32 v11, 32, v11
	v_subrev_nc_u32_e32 v13, 28, v11
	v_sub_nc_u32_e32 v11, 29, v11
	v_lshlrev_b64 v[21:22], v13, v[5:6]
	v_and_b32_e32 v5, 7, v21
; %bb.553:                              ;   in Loop: Header=BB192_286 Depth=1
	s_or_b32 exec_lo, exec_lo, s18
	v_lshlrev_b32_sdwa v13, v43, v74 dst_sel:DWORD dst_unused:UNUSED_PAD src0_sel:DWORD src1_sel:BYTE_3
	v_lshlrev_b32_e32 v5, 20, v5
	v_lshl_add_u32 v11, v11, 23, 0x3c000000
	v_mov_b32_e32 v21, v6
	v_and_b32_e32 v13, 0x80000000, v13
	v_or3_b32 v22, v5, v13, v11
.LBB192_554:                            ;   in Loop: Header=BB192_286 Depth=1
	s_or_b32 exec_lo, exec_lo, s17
.LBB192_555:                            ;   in Loop: Header=BB192_286 Depth=1
	s_or_b32 exec_lo, exec_lo, s16
.LBB192_556:                            ;   in Loop: Header=BB192_286 Depth=1
	s_or_b32 exec_lo, exec_lo, s15
	v_or_b32_e32 v5, v18, v16
	v_or_b32_e32 v11, v17, v15
	;; [unrolled: 1-line block ×4, first 2 shown]
	v_mul_f32_e32 v13, s14, v5
	v_mul_f32_e32 v15, s3, v11
	;; [unrolled: 1-line block ×4, first 2 shown]
	s_and_saveexec_b32 s1, vcc_lo
	s_cbranch_execz .LBB192_285
; %bb.557:                              ;   in Loop: Header=BB192_286 Depth=1
	v_cmp_gt_i32_e32 vcc_lo, s11, v49
	v_cndmask_b32_e32 v15, 0, v15, vcc_lo
	v_cmp_gt_i32_e32 vcc_lo, s11, v51
	v_cndmask_b32_e32 v13, 0, v13, vcc_lo
	;; [unrolled: 2-line block ×4, first 2 shown]
	s_branch .LBB192_285
.LBB192_558:
	s_or_b32 exec_lo, exec_lo, s13
.LBB192_559:
	s_or_b32 exec_lo, exec_lo, s2
	ds_bpermute_b32 v1, v26, v34
	ds_bpermute_b32 v2, v26, v36
	;; [unrolled: 1-line block ×8, first 2 shown]
	v_and_b32_e32 v10, 28, v25
	v_lshrrev_b32_e32 v9, 2, v25
	v_lshlrev_b32_e32 v11, 8, v107
	v_and_b32_e32 v20, 0x3c3, v0
	s_mov_b32 s1, exec_lo
	v_add_nc_u32_e32 v10, 0x120, v10
	s_waitcnt lgkmcnt(0)
	s_barrier
	buffer_gl0_inv
	v_add_f32_e32 v1, v34, v1
	v_add_f32_e32 v2, v36, v2
	;; [unrolled: 1-line block ×8, first 2 shown]
	ds_bpermute_b32 v12, v27, v1
	ds_bpermute_b32 v13, v27, v2
	;; [unrolled: 1-line block ×8, first 2 shown]
	s_waitcnt lgkmcnt(7)
	v_add_f32_e32 v1, v1, v12
	s_waitcnt lgkmcnt(6)
	v_add_f32_e32 v2, v2, v13
	;; [unrolled: 2-line block ×8, first 2 shown]
	v_cmpx_eq_u32_e32 64, v20
	s_cbranch_execz .LBB192_561
; %bb.560:
	v_add_nc_u32_e32 v12, v10, v11
	v_add_nc_u32_e32 v13, 0xfffffe00, v12
	;; [unrolled: 1-line block ×9, first 2 shown]
	ds_write_b32 v13, v1
	ds_write_b32 v14, v2
	ds_write_b32 v15, v3
	ds_write_b32 v16, v4
	ds_write_b32 v17, v5
	ds_write_b32 v18, v6
	ds_write_b32 v19, v7
	ds_write_b32 v12, v8
.LBB192_561:
	s_or_b32 exec_lo, exec_lo, s1
	v_lshlrev_b32_e32 v9, 2, v9
	s_mov_b32 s2, exec_lo
	v_cmp_eq_u32_e32 vcc_lo, 0, v28
	s_waitcnt lgkmcnt(0)
	s_barrier
	v_add3_u32 v9, 0x120, v11, v9
	buffer_gl0_inv
	v_cmpx_gt_u32_e32 64, v0
	s_cbranch_execz .LBB192_572
; %bb.562:
	s_and_saveexec_b32 s1, vcc_lo
	s_cbranch_execnz .LBB192_588
; %bb.563:
	s_or_b32 exec_lo, exec_lo, s1
	s_and_saveexec_b32 s1, vcc_lo
	s_cbranch_execnz .LBB192_589
.LBB192_564:
	s_or_b32 exec_lo, exec_lo, s1
	s_and_saveexec_b32 s1, vcc_lo
	s_cbranch_execnz .LBB192_590
.LBB192_565:
	s_or_b32 exec_lo, exec_lo, s1
	s_and_saveexec_b32 s1, vcc_lo
	s_cbranch_execnz .LBB192_591
.LBB192_566:
	s_or_b32 exec_lo, exec_lo, s1
	s_and_saveexec_b32 s1, vcc_lo
	s_cbranch_execnz .LBB192_592
.LBB192_567:
	s_or_b32 exec_lo, exec_lo, s1
	s_and_saveexec_b32 s1, vcc_lo
	s_cbranch_execnz .LBB192_593
.LBB192_568:
	s_or_b32 exec_lo, exec_lo, s1
	s_and_saveexec_b32 s1, vcc_lo
	s_cbranch_execnz .LBB192_594
.LBB192_569:
	s_or_b32 exec_lo, exec_lo, s1
	s_and_saveexec_b32 s1, vcc_lo
	s_cbranch_execz .LBB192_571
.LBB192_570:
	ds_read_b32 v11, v9 offset:224
	s_waitcnt lgkmcnt(0)
	v_add_f32_e32 v8, v8, v11
.LBB192_571:
	s_or_b32 exec_lo, exec_lo, s1
.LBB192_572:
	s_or_b32 exec_lo, exec_lo, s2
	v_and_b32_e32 v11, 0x3e3, v0
	s_mov_b32 s2, exec_lo
	s_barrier
	buffer_gl0_inv
	v_cmpx_eq_u32_e32 32, v11
	s_cbranch_execz .LBB192_574
; %bb.573:
	ds_write2_b32 v10, v1, v2 offset1:8
	ds_write2_b32 v10, v3, v4 offset0:16 offset1:24
	ds_write2_b32 v10, v5, v6 offset0:32 offset1:40
	;; [unrolled: 1-line block ×3, first 2 shown]
.LBB192_574:
	s_or_b32 exec_lo, exec_lo, s2
	s_waitcnt lgkmcnt(0)
	s_barrier
	buffer_gl0_inv
	s_and_saveexec_b32 s1, s0
	s_cbranch_execz .LBB192_585
; %bb.575:
	s_and_saveexec_b32 s0, vcc_lo
	s_cbranch_execnz .LBB192_595
; %bb.576:
	s_or_b32 exec_lo, exec_lo, s0
	s_and_saveexec_b32 s0, vcc_lo
	s_cbranch_execnz .LBB192_596
.LBB192_577:
	s_or_b32 exec_lo, exec_lo, s0
	s_and_saveexec_b32 s0, vcc_lo
	s_cbranch_execnz .LBB192_597
.LBB192_578:
	s_or_b32 exec_lo, exec_lo, s0
	s_and_saveexec_b32 s0, vcc_lo
	s_cbranch_execnz .LBB192_598
.LBB192_579:
	s_or_b32 exec_lo, exec_lo, s0
	s_and_saveexec_b32 s0, vcc_lo
	s_cbranch_execnz .LBB192_599
.LBB192_580:
	s_or_b32 exec_lo, exec_lo, s0
	s_and_saveexec_b32 s0, vcc_lo
	s_cbranch_execnz .LBB192_600
.LBB192_581:
	s_or_b32 exec_lo, exec_lo, s0
	s_and_saveexec_b32 s0, vcc_lo
	s_cbranch_execnz .LBB192_601
.LBB192_582:
	s_or_b32 exec_lo, exec_lo, s0
	s_and_saveexec_b32 s0, vcc_lo
	s_cbranch_execz .LBB192_584
.LBB192_583:
	ds_read_b32 v9, v9 offset:224
	s_waitcnt lgkmcnt(0)
	v_add_f32_e32 v8, v8, v9
.LBB192_584:
	s_or_b32 exec_lo, exec_lo, s0
.LBB192_585:
	s_or_b32 exec_lo, exec_lo, s1
	s_barrier
	buffer_gl0_inv
	s_mov_b32 s0, exec_lo
	v_cmpx_eq_u32_e32 0, v11
	s_cbranch_execz .LBB192_587
; %bb.586:
	s_mul_i32 s0, s10, s7
	s_mul_i32 s2, s7, s6
	;; [unrolled: 1-line block ×3, first 2 shown]
	s_lshl_b32 s0, s0, 6
	s_ashr_i32 s1, s0, 31
	s_lshl_b64 s[0:1], s[0:1], 2
	s_add_u32 s4, s20, s0
	s_addc_u32 s5, s21, s1
	s_ashr_i32 s3, s2, 31
	s_lshl_b64 s[0:1], s[2:3], 2
	s_add_u32 s2, s4, s0
	s_addc_u32 s3, s5, s1
	s_lshl_b32 s0, s8, 6
	s_ashr_i32 s1, s0, 31
	s_lshl_b64 s[0:1], s[0:1], 2
	s_add_u32 s0, s2, s0
	s_addc_u32 s1, s3, s1
	global_store_dword v0, v1, s[0:1]
	global_store_dword v0, v2, s[0:1] offset:32
	global_store_dword v0, v3, s[0:1] offset:64
	;; [unrolled: 1-line block ×7, first 2 shown]
.LBB192_587:
	s_endpgm
.LBB192_588:
	ds_read_b32 v11, v9
	s_waitcnt lgkmcnt(0)
	v_add_f32_e32 v1, v1, v11
	s_or_b32 exec_lo, exec_lo, s1
	s_and_saveexec_b32 s1, vcc_lo
	s_cbranch_execz .LBB192_564
.LBB192_589:
	ds_read_b32 v11, v9 offset:32
	s_waitcnt lgkmcnt(0)
	v_add_f32_e32 v2, v2, v11
	s_or_b32 exec_lo, exec_lo, s1
	s_and_saveexec_b32 s1, vcc_lo
	s_cbranch_execz .LBB192_565
.LBB192_590:
	ds_read_b32 v11, v9 offset:64
	s_waitcnt lgkmcnt(0)
	v_add_f32_e32 v3, v3, v11
	s_or_b32 exec_lo, exec_lo, s1
	s_and_saveexec_b32 s1, vcc_lo
	s_cbranch_execz .LBB192_566
.LBB192_591:
	ds_read_b32 v11, v9 offset:96
	s_waitcnt lgkmcnt(0)
	v_add_f32_e32 v4, v4, v11
	s_or_b32 exec_lo, exec_lo, s1
	s_and_saveexec_b32 s1, vcc_lo
	s_cbranch_execz .LBB192_567
.LBB192_592:
	ds_read_b32 v11, v9 offset:128
	s_waitcnt lgkmcnt(0)
	v_add_f32_e32 v5, v5, v11
	s_or_b32 exec_lo, exec_lo, s1
	s_and_saveexec_b32 s1, vcc_lo
	s_cbranch_execz .LBB192_568
.LBB192_593:
	ds_read_b32 v11, v9 offset:160
	s_waitcnt lgkmcnt(0)
	v_add_f32_e32 v6, v6, v11
	s_or_b32 exec_lo, exec_lo, s1
	s_and_saveexec_b32 s1, vcc_lo
	s_cbranch_execz .LBB192_569
.LBB192_594:
	ds_read_b32 v11, v9 offset:192
	s_waitcnt lgkmcnt(0)
	v_add_f32_e32 v7, v7, v11
	s_or_b32 exec_lo, exec_lo, s1
	s_and_saveexec_b32 s1, vcc_lo
	s_cbranch_execnz .LBB192_570
	s_branch .LBB192_571
.LBB192_595:
	ds_read_b32 v10, v9
	s_waitcnt lgkmcnt(0)
	v_add_f32_e32 v1, v1, v10
	s_or_b32 exec_lo, exec_lo, s0
	s_and_saveexec_b32 s0, vcc_lo
	s_cbranch_execz .LBB192_577
.LBB192_596:
	ds_read_b32 v10, v9 offset:32
	s_waitcnt lgkmcnt(0)
	v_add_f32_e32 v2, v2, v10
	s_or_b32 exec_lo, exec_lo, s0
	s_and_saveexec_b32 s0, vcc_lo
	s_cbranch_execz .LBB192_578
.LBB192_597:
	ds_read_b32 v10, v9 offset:64
	s_waitcnt lgkmcnt(0)
	v_add_f32_e32 v3, v3, v10
	s_or_b32 exec_lo, exec_lo, s0
	s_and_saveexec_b32 s0, vcc_lo
	s_cbranch_execz .LBB192_579
.LBB192_598:
	ds_read_b32 v10, v9 offset:96
	s_waitcnt lgkmcnt(0)
	v_add_f32_e32 v4, v4, v10
	s_or_b32 exec_lo, exec_lo, s0
	s_and_saveexec_b32 s0, vcc_lo
	s_cbranch_execz .LBB192_580
.LBB192_599:
	ds_read_b32 v10, v9 offset:128
	s_waitcnt lgkmcnt(0)
	v_add_f32_e32 v5, v5, v10
	s_or_b32 exec_lo, exec_lo, s0
	s_and_saveexec_b32 s0, vcc_lo
	s_cbranch_execz .LBB192_581
.LBB192_600:
	ds_read_b32 v10, v9 offset:160
	s_waitcnt lgkmcnt(0)
	v_add_f32_e32 v6, v6, v10
	s_or_b32 exec_lo, exec_lo, s0
	s_and_saveexec_b32 s0, vcc_lo
	s_cbranch_execz .LBB192_582
.LBB192_601:
	ds_read_b32 v10, v9 offset:192
	s_waitcnt lgkmcnt(0)
	v_add_f32_e32 v7, v7, v10
	s_or_b32 exec_lo, exec_lo, s0
	s_and_saveexec_b32 s0, vcc_lo
	s_cbranch_execnz .LBB192_583
	s_branch .LBB192_584
	.section	.rodata,"a",@progbits
	.p2align	6, 0x0
	.amdhsa_kernel _ZN4vllm25paged_attention_v1_kernelIfhLi64ELi16ELi128ELNS_18Fp8KVCacheDataTypeE1ELb0EEEvPT_PKS2_PKT0_S8_ifPKiSA_iPKfiiiSC_SC_iiiii
		.amdhsa_group_segment_fixed_size 288
		.amdhsa_private_segment_fixed_size 0
		.amdhsa_kernarg_size 384
		.amdhsa_user_sgpr_count 6
		.amdhsa_user_sgpr_private_segment_buffer 1
		.amdhsa_user_sgpr_dispatch_ptr 0
		.amdhsa_user_sgpr_queue_ptr 0
		.amdhsa_user_sgpr_kernarg_segment_ptr 1
		.amdhsa_user_sgpr_dispatch_id 0
		.amdhsa_user_sgpr_flat_scratch_init 0
		.amdhsa_user_sgpr_private_segment_size 0
		.amdhsa_wavefront_size32 1
		.amdhsa_uses_dynamic_stack 0
		.amdhsa_system_sgpr_private_segment_wavefront_offset 0
		.amdhsa_system_sgpr_workgroup_id_x 1
		.amdhsa_system_sgpr_workgroup_id_y 1
		.amdhsa_system_sgpr_workgroup_id_z 1
		.amdhsa_system_sgpr_workgroup_info 0
		.amdhsa_system_vgpr_workitem_id 0
		.amdhsa_next_free_vgpr 121
		.amdhsa_next_free_sgpr 36
		.amdhsa_reserve_vcc 1
		.amdhsa_reserve_flat_scratch 0
		.amdhsa_float_round_mode_32 0
		.amdhsa_float_round_mode_16_64 0
		.amdhsa_float_denorm_mode_32 3
		.amdhsa_float_denorm_mode_16_64 3
		.amdhsa_dx10_clamp 1
		.amdhsa_ieee_mode 1
		.amdhsa_fp16_overflow 0
		.amdhsa_workgroup_processor_mode 1
		.amdhsa_memory_ordered 1
		.amdhsa_forward_progress 1
		.amdhsa_shared_vgpr_count 0
		.amdhsa_exception_fp_ieee_invalid_op 0
		.amdhsa_exception_fp_denorm_src 0
		.amdhsa_exception_fp_ieee_div_zero 0
		.amdhsa_exception_fp_ieee_overflow 0
		.amdhsa_exception_fp_ieee_underflow 0
		.amdhsa_exception_fp_ieee_inexact 0
		.amdhsa_exception_int_div_zero 0
	.end_amdhsa_kernel
	.section	.text._ZN4vllm25paged_attention_v1_kernelIfhLi64ELi16ELi128ELNS_18Fp8KVCacheDataTypeE1ELb0EEEvPT_PKS2_PKT0_S8_ifPKiSA_iPKfiiiSC_SC_iiiii,"axG",@progbits,_ZN4vllm25paged_attention_v1_kernelIfhLi64ELi16ELi128ELNS_18Fp8KVCacheDataTypeE1ELb0EEEvPT_PKS2_PKT0_S8_ifPKiSA_iPKfiiiSC_SC_iiiii,comdat
.Lfunc_end192:
	.size	_ZN4vllm25paged_attention_v1_kernelIfhLi64ELi16ELi128ELNS_18Fp8KVCacheDataTypeE1ELb0EEEvPT_PKS2_PKT0_S8_ifPKiSA_iPKfiiiSC_SC_iiiii, .Lfunc_end192-_ZN4vllm25paged_attention_v1_kernelIfhLi64ELi16ELi128ELNS_18Fp8KVCacheDataTypeE1ELb0EEEvPT_PKS2_PKT0_S8_ifPKiSA_iPKfiiiSC_SC_iiiii
                                        ; -- End function
	.set _ZN4vllm25paged_attention_v1_kernelIfhLi64ELi16ELi128ELNS_18Fp8KVCacheDataTypeE1ELb0EEEvPT_PKS2_PKT0_S8_ifPKiSA_iPKfiiiSC_SC_iiiii.num_vgpr, 121
	.set _ZN4vllm25paged_attention_v1_kernelIfhLi64ELi16ELi128ELNS_18Fp8KVCacheDataTypeE1ELb0EEEvPT_PKS2_PKT0_S8_ifPKiSA_iPKfiiiSC_SC_iiiii.num_agpr, 0
	.set _ZN4vllm25paged_attention_v1_kernelIfhLi64ELi16ELi128ELNS_18Fp8KVCacheDataTypeE1ELb0EEEvPT_PKS2_PKT0_S8_ifPKiSA_iPKfiiiSC_SC_iiiii.numbered_sgpr, 36
	.set _ZN4vllm25paged_attention_v1_kernelIfhLi64ELi16ELi128ELNS_18Fp8KVCacheDataTypeE1ELb0EEEvPT_PKS2_PKT0_S8_ifPKiSA_iPKfiiiSC_SC_iiiii.num_named_barrier, 0
	.set _ZN4vllm25paged_attention_v1_kernelIfhLi64ELi16ELi128ELNS_18Fp8KVCacheDataTypeE1ELb0EEEvPT_PKS2_PKT0_S8_ifPKiSA_iPKfiiiSC_SC_iiiii.private_seg_size, 0
	.set _ZN4vllm25paged_attention_v1_kernelIfhLi64ELi16ELi128ELNS_18Fp8KVCacheDataTypeE1ELb0EEEvPT_PKS2_PKT0_S8_ifPKiSA_iPKfiiiSC_SC_iiiii.uses_vcc, 1
	.set _ZN4vllm25paged_attention_v1_kernelIfhLi64ELi16ELi128ELNS_18Fp8KVCacheDataTypeE1ELb0EEEvPT_PKS2_PKT0_S8_ifPKiSA_iPKfiiiSC_SC_iiiii.uses_flat_scratch, 0
	.set _ZN4vllm25paged_attention_v1_kernelIfhLi64ELi16ELi128ELNS_18Fp8KVCacheDataTypeE1ELb0EEEvPT_PKS2_PKT0_S8_ifPKiSA_iPKfiiiSC_SC_iiiii.has_dyn_sized_stack, 0
	.set _ZN4vllm25paged_attention_v1_kernelIfhLi64ELi16ELi128ELNS_18Fp8KVCacheDataTypeE1ELb0EEEvPT_PKS2_PKT0_S8_ifPKiSA_iPKfiiiSC_SC_iiiii.has_recursion, 0
	.set _ZN4vllm25paged_attention_v1_kernelIfhLi64ELi16ELi128ELNS_18Fp8KVCacheDataTypeE1ELb0EEEvPT_PKS2_PKT0_S8_ifPKiSA_iPKfiiiSC_SC_iiiii.has_indirect_call, 0
	.section	.AMDGPU.csdata,"",@progbits
; Kernel info:
; codeLenInByte = 18008
; TotalNumSgprs: 38
; NumVgprs: 121
; ScratchSize: 0
; MemoryBound: 0
; FloatMode: 240
; IeeeMode: 1
; LDSByteSize: 288 bytes/workgroup (compile time only)
; SGPRBlocks: 0
; VGPRBlocks: 15
; NumSGPRsForWavesPerEU: 38
; NumVGPRsForWavesPerEU: 121
; Occupancy: 8
; WaveLimiterHint : 1
; COMPUTE_PGM_RSRC2:SCRATCH_EN: 0
; COMPUTE_PGM_RSRC2:USER_SGPR: 6
; COMPUTE_PGM_RSRC2:TRAP_HANDLER: 0
; COMPUTE_PGM_RSRC2:TGID_X_EN: 1
; COMPUTE_PGM_RSRC2:TGID_Y_EN: 1
; COMPUTE_PGM_RSRC2:TGID_Z_EN: 1
; COMPUTE_PGM_RSRC2:TIDIG_COMP_CNT: 0
	.section	.text._ZN4vllm25paged_attention_v1_kernelIfhLi80ELi16ELi128ELNS_18Fp8KVCacheDataTypeE1ELb0EEEvPT_PKS2_PKT0_S8_ifPKiSA_iPKfiiiSC_SC_iiiii,"axG",@progbits,_ZN4vllm25paged_attention_v1_kernelIfhLi80ELi16ELi128ELNS_18Fp8KVCacheDataTypeE1ELb0EEEvPT_PKS2_PKT0_S8_ifPKiSA_iPKfiiiSC_SC_iiiii,comdat
	.protected	_ZN4vllm25paged_attention_v1_kernelIfhLi80ELi16ELi128ELNS_18Fp8KVCacheDataTypeE1ELb0EEEvPT_PKS2_PKT0_S8_ifPKiSA_iPKfiiiSC_SC_iiiii ; -- Begin function _ZN4vllm25paged_attention_v1_kernelIfhLi80ELi16ELi128ELNS_18Fp8KVCacheDataTypeE1ELb0EEEvPT_PKS2_PKT0_S8_ifPKiSA_iPKfiiiSC_SC_iiiii
	.globl	_ZN4vllm25paged_attention_v1_kernelIfhLi80ELi16ELi128ELNS_18Fp8KVCacheDataTypeE1ELb0EEEvPT_PKS2_PKT0_S8_ifPKiSA_iPKfiiiSC_SC_iiiii
	.p2align	8
	.type	_ZN4vllm25paged_attention_v1_kernelIfhLi80ELi16ELi128ELNS_18Fp8KVCacheDataTypeE1ELb0EEEvPT_PKS2_PKT0_S8_ifPKiSA_iPKfiiiSC_SC_iiiii,@function
_ZN4vllm25paged_attention_v1_kernelIfhLi80ELi16ELi128ELNS_18Fp8KVCacheDataTypeE1ELb0EEEvPT_PKS2_PKT0_S8_ifPKiSA_iPKfiiiSC_SC_iiiii: ; @_ZN4vllm25paged_attention_v1_kernelIfhLi80ELi16ELi128ELNS_18Fp8KVCacheDataTypeE1ELb0EEEvPT_PKS2_PKT0_S8_ifPKiSA_iPKfiiiSC_SC_iiiii
; %bb.0:
	s_mov_b64 s[38:39], s[2:3]
	s_mov_b64 s[36:37], s[0:1]
	s_mov_b32 s10, s7
	s_add_u32 s36, s36, s9
	s_clause 0x2
	s_load_dword s9, s[4:5], 0x80
	s_load_dwordx2 s[0:1], s[4:5], 0x30
	s_load_dwordx2 s[28:29], s[4:5], 0x20
	s_addc_u32 s37, s37, 0
	s_ashr_i32 s11, s7, 31
	v_mov_b32_e32 v85, v0
	s_lshl_b64 s[2:3], s[10:11], 2
	s_waitcnt lgkmcnt(0)
	s_add_u32 s0, s0, s2
	s_addc_u32 s1, s1, s3
	s_abs_i32 s2, s28
	s_abs_i32 s11, s9
	v_cvt_f32_u32_e32 v0, s2
	s_sub_i32 s7, 0, s2
	v_rcp_iflag_f32_e32 v0, v0
	v_mul_f32_e32 v0, 0x4f7ffffe, v0
	v_cvt_u32_f32_e32 v0, v0
	v_readfirstlane_b32 s3, v0
	s_mul_i32 s7, s7, s3
	s_mul_hi_u32 s7, s3, s7
	s_add_i32 s3, s3, s7
	s_xor_b32 s7, s9, s28
	s_mul_hi_u32 s3, s11, s3
	s_ashr_i32 s7, s7, 31
	s_mul_i32 s12, s3, s2
	s_mov_b32 s28, 0
	s_sub_i32 s11, s11, s12
	s_add_i32 s12, s3, 1
	s_sub_i32 s13, s11, s2
	s_cmp_ge_u32 s11, s2
	s_cselect_b32 s3, s12, s3
	s_cselect_b32 s11, s13, s11
	s_add_i32 s12, s3, 1
	s_cmp_ge_u32 s11, s2
	s_cselect_b32 s2, s12, s3
	s_abs_i32 s17, s6
	s_xor_b32 s2, s2, s7
	s_sub_i32 s19, s2, s7
	s_load_dwordx2 s[2:3], s[4:5], 0x40
	s_abs_i32 s16, s19
	v_cvt_f32_u32_e32 v0, s16
	s_sub_i32 s11, 0, s16
	v_rcp_iflag_f32_e32 v0, v0
	v_mul_f32_e32 v0, 0x4f7ffffe, v0
	v_cvt_u32_f32_e32 v0, v0
	v_readfirstlane_b32 s7, v0
	s_mul_i32 s11, s11, s7
	s_mul_hi_u32 s11, s7, s11
	s_add_i32 s7, s7, s11
	s_waitcnt lgkmcnt(0)
	s_cmp_eq_u64 s[2:3], 0
	s_mul_hi_u32 s18, s17, s7
	s_cbranch_scc1 .LBB193_2
; %bb.1:
	s_ashr_i32 s7, s6, 31
	s_lshl_b64 s[12:13], s[6:7], 2
	s_add_u32 s2, s2, s12
	s_addc_u32 s3, s3, s13
	s_load_dword s28, s[2:3], 0x0
.LBB193_2:
	s_load_dword s11, s[0:1], 0x0
	s_load_dwordx4 s[12:15], s[4:5], 0x48
	v_and_b32_e32 v0, 1, v85
	v_lshlrev_b32_e32 v11, 2, v85
	s_ashr_i32 s0, s6, 31
	s_ashr_i32 s1, s19, 31
	s_mulk_i32 s6, 0x50
	s_mov_b32 s2, exec_lo
	v_cmpx_gt_u32_e32 40, v85
	s_cbranch_execz .LBB193_4
; %bb.3:
	s_load_dwordx2 s[20:21], s[4:5], 0x8
	s_waitcnt lgkmcnt(0)
	s_mul_i32 s22, s12, s10
	v_lshlrev_b32_e32 v1, 3, v85
	s_ashr_i32 s23, s22, 31
	v_and_b32_e32 v3, 0xff8, v11
	s_lshl_b64 s[22:23], s[22:23], 2
	v_mad_u32_u24 v3, 0xa0, v0, v3
	s_add_u32 s3, s20, s22
	s_addc_u32 s12, s21, s23
	s_ashr_i32 s7, s6, 31
	s_lshl_b64 s[20:21], s[6:7], 2
	s_add_u32 s20, s3, s20
	s_addc_u32 s21, s12, s21
	global_load_dwordx2 v[1:2], v1, s[20:21]
	s_waitcnt vmcnt(0)
	ds_write_b64 v3, v[1:2]
.LBB193_4:
	s_or_b32 exec_lo, exec_lo, s2
	s_waitcnt lgkmcnt(0)
	s_add_i32 s2, s11, 15
	s_clause 0x1
	s_load_dwordx2 s[22:23], s[4:5], 0x28
	s_load_dword s7, s[4:5], 0x38
	s_ashr_i32 s3, s2, 31
	s_xor_b32 s0, s0, s1
	s_lshr_b32 s3, s3, 28
	s_mul_i32 s1, s18, s16
	s_add_i32 s2, s2, s3
	s_sub_i32 s1, s17, s1
	s_ashr_i32 s12, s2, 4
	s_add_i32 s2, s18, 1
	s_sub_i32 s3, s1, s16
	s_cmp_ge_u32 s1, s16
	v_lshrrev_b32_e32 v86, 5, v85
	s_cselect_b32 s2, s2, s18
	s_cselect_b32 s1, s3, s1
	s_add_i32 s3, s2, 1
	s_cmp_ge_u32 s1, s16
	v_mbcnt_lo_u32_b32 v28, -1, 0
	s_cselect_b32 s1, s3, s2
	s_mov_b32 s2, exec_lo
	s_xor_b32 s1, s1, s0
	s_waitcnt lgkmcnt(0)
	s_mul_i32 s24, s7, s10
	s_sub_i32 s1, s1, s0
	v_cmp_gt_i32_e64 s0, s12, v86
	s_ashr_i32 s25, s24, 31
	s_barrier
	buffer_gl0_inv
                                        ; implicit-def: $vgpr42
                                        ; implicit-def: $vgpr8
	v_cmpx_le_i32_e64 s12, v86
	s_xor_b32 s2, exec_lo, s2
; %bb.5:
	v_mov_b32_e32 v42, 0
	v_mbcnt_lo_u32_b32 v28, -1, 0
	v_mov_b32_e32 v8, 32
                                        ; implicit-def: $vgpr0
; %bb.6:
	s_or_saveexec_b32 s15, s2
	s_clause 0x3
	s_load_dwordx2 s[20:21], s[4:5], 0x0
	s_load_dwordx2 s[26:27], s[4:5], 0x18
	s_load_dword s7, s[4:5], 0x88
	s_load_dwordx4 s[16:19], s[4:5], 0x58
	v_mov_b32_e32 v3, 0xff7fffff
	v_lshrrev_b32_e32 v41, 3, v85
	s_mul_i32 s14, s1, s14
	s_xor_b32 exec_lo, exec_lo, s15
	s_cbranch_execz .LBB193_332
; %bb.7:
	v_mul_u32_u24_e32 v2, 0xa0, v0
	buffer_store_dword v11, off, s[36:39], 0 offset:56 ; 4-byte Folded Spill
	s_load_dwordx2 s[2:3], s[4:5], 0x10
	buffer_store_dword v85, off, s[36:39], 0 offset:48 ; 4-byte Folded Spill
	s_waitcnt lgkmcnt(0)
	s_load_dword s4, s[16:17], 0x0
	ds_read_b128 v[6:9], v2
	v_xor_b32_e32 v4, 1, v28
	v_bfe_u32 v1, v85, 1, 4
	s_ashr_i32 s1, s14, 31
	v_lshlrev_b32_e32 v3, 1, v0
	v_mov_b32_e32 v42, 0
	v_cmp_gt_i32_e32 vcc_lo, 32, v4
	v_lshlrev_b32_e32 v5, 4, v1
	v_bfrev_b32_e32 v127, 1
	v_mov_b32_e32 v50, 0x7f800001
	s_mov_b32 s17, s13
	v_cndmask_b32_e32 v4, v28, v4, vcc_lo
	v_cmp_eq_u32_e32 vcc_lo, 0, v0
	v_lshlrev_b32_e32 v0, 2, v1
	s_mov_b32 s16, 0
	s_waitcnt lgkmcnt(0)
	buffer_store_dword v6, off, s[36:39], 0 offset:4 ; 4-byte Folded Spill
	buffer_store_dword v7, off, s[36:39], 0 offset:8 ; 4-byte Folded Spill
	;; [unrolled: 1-line block ×4, first 2 shown]
	ds_read_b128 v[6:9], v2 offset:16
	s_add_u32 s2, s2, s14
	s_addc_u32 s1, s3, s1
	v_add_co_u32 v5, s2, s2, v5
	s_sub_i32 s5, 1, s11
	s_mov_b32 s30, s4
	s_waitcnt lgkmcnt(0)
	buffer_store_dword v6, off, s[36:39], 0 offset:20 ; 4-byte Folded Spill
	buffer_store_dword v7, off, s[36:39], 0 offset:24 ; 4-byte Folded Spill
	;; [unrolled: 1-line block ×4, first 2 shown]
	ds_read_b128 v[9:12], v2 offset:32
	ds_read_b128 v[13:16], v2 offset:48
	;; [unrolled: 1-line block ×4, first 2 shown]
	buffer_store_dword v28, off, s[36:39], 0 offset:64 ; 4-byte Folded Spill
	ds_read_b128 v[25:28], v2 offset:96
	ds_read_b128 v[29:32], v2 offset:112
	;; [unrolled: 1-line block ×4, first 2 shown]
	v_lshlrev_b32_e32 v2, 2, v4
	v_add_co_ci_u32_e64 v6, null, s1, 0, s2
	v_cmp_neq_f32_e64 s1, s28, 0
	v_mov_b32_e32 v4, v86
	buffer_store_dword v2, off, s[36:39], 0 offset:36 ; 4-byte Folded Spill
	v_add_co_u32 v2, s2, v5, v3
	v_add_co_ci_u32_e64 v3, null, 0, v6, s2
	buffer_store_dword v2, off, s[36:39], 0 offset:40 ; 4-byte Folded Spill
	buffer_store_dword v3, off, s[36:39], 0 offset:44 ; 4-byte Folded Spill
	v_lshl_or_b32 v2, v86, 6, v0
	v_and_b32_e32 v3, 0x7c, v41
	s_lshl_b64 s[2:3], s[24:25], 2
	v_lshl_or_b32 v0, v86, 4, v1
	s_add_u32 s2, s22, s2
	v_add_nc_u32_e32 v1, 0x160, v2
	v_mov_b32_e32 v2, 0xff7fffff
	s_addc_u32 s3, s23, s3
	v_add_co_u32 v45, s2, s2, v3
	v_add_co_ci_u32_e64 v46, null, s3, 0, s2
	buffer_store_dword v2, off, s[36:39], 0 ; 4-byte Folded Spill
	v_mov_b32_e32 v2, 0x80
	buffer_store_dword v41, off, s[36:39], 0 offset:60 ; 4-byte Folded Spill
	buffer_store_dword v4, off, s[36:39], 0 offset:52 ; 4-byte Folded Spill
	s_branch .LBB193_9
.LBB193_8:                              ;   in Loop: Header=BB193_9 Depth=1
	s_or_b32 exec_lo, exec_lo, s3
	v_add_nc_u32_e32 v4, 4, v4
	v_add_co_u32 v45, s3, v45, 16
	v_add_nc_u32_e32 v0, 64, v0
	v_add_nc_u32_e32 v1, 0x100, v1
	v_cmp_le_i32_e64 s2, s12, v4
	v_add_co_ci_u32_e64 v46, null, 0, v46, s3
	s_or_b32 s16, s2, s16
	s_andn2_b32 exec_lo, exec_lo, s16
	s_cbranch_execz .LBB193_331
.LBB193_9:                              ; =>This Inner Loop Header: Depth=1
	global_load_dword v3, v[45:46], off
	s_waitcnt lgkmcnt(0)
	s_clause 0x1
	buffer_load_dword v5, off, s[36:39], 0 offset:40
	buffer_load_dword v6, off, s[36:39], 0 offset:44
	v_mov_b32_e32 v53, 0
	v_mov_b32_e32 v51, 0
	;; [unrolled: 1-line block ×4, first 2 shown]
	s_waitcnt vmcnt(0)
	v_mad_i64_i32 v[59:60], null, v3, s17, v[5:6]
	global_load_ushort v5, v[59:60], off
	s_waitcnt vmcnt(0)
	v_and_b32_e32 v3, 0xffff, v5
	v_cmp_ne_u16_sdwa s2, v5, v42 src0_sel:BYTE_0 src1_sel:DWORD
	s_and_saveexec_b32 s3, s2
	s_cbranch_execz .LBB193_17
; %bb.10:                               ;   in Loop: Header=BB193_9 Depth=1
	v_bfrev_b32_e32 v51, 1
	v_mov_b32_e32 v52, 0
	v_cmp_ne_u16_sdwa s2, v3, v2 src0_sel:BYTE_0 src1_sel:DWORD
	s_and_saveexec_b32 s31, s2
	s_cbranch_execz .LBB193_16
; %bb.11:                               ;   in Loop: Header=BB193_9 Depth=1
	v_mov_b32_e32 v51, 0x7f800001
	v_and_b32_e32 v5, 0x7f, v3
	v_mov_b32_e32 v52, 0
	s_mov_b32 s33, exec_lo
	v_cmpx_ne_u32_e32 0x7f, v5
	s_cbranch_execz .LBB193_15
; %bb.12:                               ;   in Loop: Header=BB193_9 Depth=1
	v_and_b32_e32 v41, 7, v3
	v_lshrrev_b32_e32 v43, 3, v5
	s_mov_b32 s34, exec_lo
	v_cmpx_gt_u32_e32 8, v5
; %bb.13:                               ;   in Loop: Header=BB193_9 Depth=1
	v_ffbh_u32_e32 v5, v41
	v_min_u32_e32 v7, 32, v5
	v_subrev_nc_u32_e32 v5, 28, v7
	v_sub_nc_u32_e32 v43, 29, v7
	v_lshlrev_b64 v[5:6], v5, v[41:42]
	v_and_b32_e32 v41, 7, v5
; %bb.14:                               ;   in Loop: Header=BB193_9 Depth=1
	s_or_b32 exec_lo, exec_lo, s34
	v_lshlrev_b32_e32 v5, 24, v3
	v_lshlrev_b32_e32 v6, 20, v41
	v_lshl_add_u32 v7, v43, 23, 0x3c000000
	v_and_b32_e32 v5, 0x80000000, v5
	v_or3_b32 v41, v6, v5, v7
	v_mov_b32_e32 v52, v42
	v_mov_b32_e32 v51, v41
.LBB193_15:                             ;   in Loop: Header=BB193_9 Depth=1
	s_or_b32 exec_lo, exec_lo, s33
.LBB193_16:                             ;   in Loop: Header=BB193_9 Depth=1
	s_or_b32 exec_lo, exec_lo, s31
.LBB193_17:                             ;   in Loop: Header=BB193_9 Depth=1
	s_or_b32 exec_lo, exec_lo, s3
	v_cmp_ne_u16_sdwa s2, v3, v42 src0_sel:BYTE_1 src1_sel:DWORD
	s_and_saveexec_b32 s3, s2
	s_cbranch_execz .LBB193_25
; %bb.18:                               ;   in Loop: Header=BB193_9 Depth=1
	v_mov_b32_e32 v126, v42
	v_cmp_ne_u16_sdwa s2, v3, v2 src0_sel:BYTE_1 src1_sel:DWORD
	v_mov_b32_e32 v53, v126
	v_mov_b32_e32 v54, v127
	s_and_saveexec_b32 s31, s2
	s_cbranch_execz .LBB193_24
; %bb.19:                               ;   in Loop: Header=BB193_9 Depth=1
	v_mov_b32_e32 v5, 0xffff
	v_mov_b32_e32 v49, v42
	;; [unrolled: 1-line block ×3, first 2 shown]
	s_mov_b32 s33, exec_lo
	v_and_b32_sdwa v5, v5, v3 dst_sel:DWORD dst_unused:UNUSED_PAD src0_sel:DWORD src1_sel:BYTE_1
	v_mov_b32_e32 v53, v49
	v_and_b32_e32 v44, 0x7f, v5
	v_cmpx_ne_u32_e32 0x7f, v44
	s_cbranch_execz .LBB193_23
; %bb.20:                               ;   in Loop: Header=BB193_9 Depth=1
	v_and_b32_e32 v41, 7, v5
	v_lshrrev_b32_e32 v43, 3, v44
	s_mov_b32 s34, exec_lo
	v_cmpx_gt_u32_e32 8, v44
; %bb.21:                               ;   in Loop: Header=BB193_9 Depth=1
	v_ffbh_u32_e32 v5, v41
	v_min_u32_e32 v7, 32, v5
	v_subrev_nc_u32_e32 v5, 28, v7
	v_sub_nc_u32_e32 v43, 29, v7
	v_lshlrev_b64 v[5:6], v5, v[41:42]
	v_and_b32_e32 v41, 7, v5
; %bb.22:                               ;   in Loop: Header=BB193_9 Depth=1
	s_or_b32 exec_lo, exec_lo, s34
	v_lshlrev_b32_e32 v3, 16, v3
	v_lshlrev_b32_e32 v5, 20, v41
	v_lshl_add_u32 v6, v43, 23, 0x3c000000
	v_mov_b32_e32 v53, v42
	v_and_b32_e32 v3, 0x80000000, v3
	v_or3_b32 v54, v5, v3, v6
.LBB193_23:                             ;   in Loop: Header=BB193_9 Depth=1
	s_or_b32 exec_lo, exec_lo, s33
.LBB193_24:                             ;   in Loop: Header=BB193_9 Depth=1
	s_or_b32 exec_lo, exec_lo, s31
.LBB193_25:                             ;   in Loop: Header=BB193_9 Depth=1
	s_or_b32 exec_lo, exec_lo, s3
	global_load_ushort v5, v[59:60], off offset:4
	v_mov_b32_e32 v57, 0
	v_mov_b32_e32 v55, 0
	;; [unrolled: 1-line block ×4, first 2 shown]
	s_waitcnt vmcnt(0)
	v_and_b32_e32 v3, 0xffff, v5
	v_cmp_ne_u16_sdwa s2, v5, v42 src0_sel:BYTE_0 src1_sel:DWORD
	s_and_saveexec_b32 s3, s2
	s_cbranch_execz .LBB193_33
; %bb.26:                               ;   in Loop: Header=BB193_9 Depth=1
	v_bfrev_b32_e32 v55, 1
	v_mov_b32_e32 v56, 0
	v_cmp_ne_u16_sdwa s2, v3, v2 src0_sel:BYTE_0 src1_sel:DWORD
	s_and_saveexec_b32 s31, s2
	s_cbranch_execz .LBB193_32
; %bb.27:                               ;   in Loop: Header=BB193_9 Depth=1
	v_mov_b32_e32 v55, 0x7f800001
	v_and_b32_e32 v5, 0x7f, v3
	v_mov_b32_e32 v56, 0
	s_mov_b32 s33, exec_lo
	v_cmpx_ne_u32_e32 0x7f, v5
	s_cbranch_execz .LBB193_31
; %bb.28:                               ;   in Loop: Header=BB193_9 Depth=1
	v_and_b32_e32 v41, 7, v3
	v_lshrrev_b32_e32 v43, 3, v5
	s_mov_b32 s34, exec_lo
	v_cmpx_gt_u32_e32 8, v5
; %bb.29:                               ;   in Loop: Header=BB193_9 Depth=1
	v_ffbh_u32_e32 v5, v41
	v_min_u32_e32 v7, 32, v5
	v_subrev_nc_u32_e32 v5, 28, v7
	v_sub_nc_u32_e32 v43, 29, v7
	v_lshlrev_b64 v[5:6], v5, v[41:42]
	v_and_b32_e32 v41, 7, v5
; %bb.30:                               ;   in Loop: Header=BB193_9 Depth=1
	s_or_b32 exec_lo, exec_lo, s34
	v_lshlrev_b32_e32 v5, 24, v3
	v_lshlrev_b32_e32 v6, 20, v41
	v_lshl_add_u32 v7, v43, 23, 0x3c000000
	v_and_b32_e32 v5, 0x80000000, v5
	v_or3_b32 v41, v6, v5, v7
	v_mov_b32_e32 v56, v42
	v_mov_b32_e32 v55, v41
.LBB193_31:                             ;   in Loop: Header=BB193_9 Depth=1
	s_or_b32 exec_lo, exec_lo, s33
.LBB193_32:                             ;   in Loop: Header=BB193_9 Depth=1
	s_or_b32 exec_lo, exec_lo, s31
.LBB193_33:                             ;   in Loop: Header=BB193_9 Depth=1
	s_or_b32 exec_lo, exec_lo, s3
	v_cmp_ne_u16_sdwa s2, v3, v42 src0_sel:BYTE_1 src1_sel:DWORD
	s_and_saveexec_b32 s3, s2
	s_cbranch_execz .LBB193_41
; %bb.34:                               ;   in Loop: Header=BB193_9 Depth=1
	v_mov_b32_e32 v126, v42
	v_cmp_ne_u16_sdwa s2, v3, v2 src0_sel:BYTE_1 src1_sel:DWORD
	v_mov_b32_e32 v57, v126
	v_mov_b32_e32 v58, v127
	s_and_saveexec_b32 s31, s2
	s_cbranch_execz .LBB193_40
; %bb.35:                               ;   in Loop: Header=BB193_9 Depth=1
	v_mov_b32_e32 v5, 0xffff
	v_mov_b32_e32 v49, v42
	;; [unrolled: 1-line block ×3, first 2 shown]
	s_mov_b32 s33, exec_lo
	v_and_b32_sdwa v5, v5, v3 dst_sel:DWORD dst_unused:UNUSED_PAD src0_sel:DWORD src1_sel:BYTE_1
	v_mov_b32_e32 v57, v49
	v_and_b32_e32 v44, 0x7f, v5
	v_cmpx_ne_u32_e32 0x7f, v44
	s_cbranch_execz .LBB193_39
; %bb.36:                               ;   in Loop: Header=BB193_9 Depth=1
	v_and_b32_e32 v41, 7, v5
	v_lshrrev_b32_e32 v43, 3, v44
	s_mov_b32 s34, exec_lo
	v_cmpx_gt_u32_e32 8, v44
; %bb.37:                               ;   in Loop: Header=BB193_9 Depth=1
	v_ffbh_u32_e32 v5, v41
	v_min_u32_e32 v7, 32, v5
	v_subrev_nc_u32_e32 v5, 28, v7
	v_sub_nc_u32_e32 v43, 29, v7
	v_lshlrev_b64 v[5:6], v5, v[41:42]
	v_and_b32_e32 v41, 7, v5
; %bb.38:                               ;   in Loop: Header=BB193_9 Depth=1
	s_or_b32 exec_lo, exec_lo, s34
	v_lshlrev_b32_e32 v3, 16, v3
	v_lshlrev_b32_e32 v5, 20, v41
	v_lshl_add_u32 v6, v43, 23, 0x3c000000
	v_mov_b32_e32 v57, v42
	v_and_b32_e32 v3, 0x80000000, v3
	v_or3_b32 v58, v5, v3, v6
.LBB193_39:                             ;   in Loop: Header=BB193_9 Depth=1
	s_or_b32 exec_lo, exec_lo, s33
.LBB193_40:                             ;   in Loop: Header=BB193_9 Depth=1
	s_or_b32 exec_lo, exec_lo, s31
.LBB193_41:                             ;   in Loop: Header=BB193_9 Depth=1
	s_or_b32 exec_lo, exec_lo, s3
	global_load_ushort v5, v[59:60], off offset:8
	v_mov_b32_e32 v63, 0
	v_mov_b32_e32 v61, 0
	v_mov_b32_e32 v64, 0
	v_mov_b32_e32 v62, 0
	s_waitcnt vmcnt(0)
	v_and_b32_e32 v3, 0xffff, v5
	v_cmp_ne_u16_sdwa s2, v5, v42 src0_sel:BYTE_0 src1_sel:DWORD
	s_and_saveexec_b32 s3, s2
	s_cbranch_execz .LBB193_49
; %bb.42:                               ;   in Loop: Header=BB193_9 Depth=1
	v_bfrev_b32_e32 v61, 1
	v_mov_b32_e32 v62, 0
	v_cmp_ne_u16_sdwa s2, v3, v2 src0_sel:BYTE_0 src1_sel:DWORD
	s_and_saveexec_b32 s31, s2
	s_cbranch_execz .LBB193_48
; %bb.43:                               ;   in Loop: Header=BB193_9 Depth=1
	v_mov_b32_e32 v61, 0x7f800001
	v_and_b32_e32 v5, 0x7f, v3
	v_mov_b32_e32 v62, 0
	s_mov_b32 s33, exec_lo
	v_cmpx_ne_u32_e32 0x7f, v5
	s_cbranch_execz .LBB193_47
; %bb.44:                               ;   in Loop: Header=BB193_9 Depth=1
	v_and_b32_e32 v41, 7, v3
	v_lshrrev_b32_e32 v43, 3, v5
	s_mov_b32 s34, exec_lo
	v_cmpx_gt_u32_e32 8, v5
; %bb.45:                               ;   in Loop: Header=BB193_9 Depth=1
	v_ffbh_u32_e32 v5, v41
	v_min_u32_e32 v7, 32, v5
	v_subrev_nc_u32_e32 v5, 28, v7
	v_sub_nc_u32_e32 v43, 29, v7
	v_lshlrev_b64 v[5:6], v5, v[41:42]
	v_and_b32_e32 v41, 7, v5
; %bb.46:                               ;   in Loop: Header=BB193_9 Depth=1
	s_or_b32 exec_lo, exec_lo, s34
	v_lshlrev_b32_e32 v5, 24, v3
	v_lshlrev_b32_e32 v6, 20, v41
	v_lshl_add_u32 v7, v43, 23, 0x3c000000
	v_and_b32_e32 v5, 0x80000000, v5
	v_or3_b32 v41, v6, v5, v7
	v_mov_b32_e32 v62, v42
	v_mov_b32_e32 v61, v41
.LBB193_47:                             ;   in Loop: Header=BB193_9 Depth=1
	s_or_b32 exec_lo, exec_lo, s33
.LBB193_48:                             ;   in Loop: Header=BB193_9 Depth=1
	s_or_b32 exec_lo, exec_lo, s31
.LBB193_49:                             ;   in Loop: Header=BB193_9 Depth=1
	s_or_b32 exec_lo, exec_lo, s3
	v_cmp_ne_u16_sdwa s2, v3, v42 src0_sel:BYTE_1 src1_sel:DWORD
	s_and_saveexec_b32 s3, s2
	s_cbranch_execz .LBB193_57
; %bb.50:                               ;   in Loop: Header=BB193_9 Depth=1
	v_mov_b32_e32 v126, v42
	v_cmp_ne_u16_sdwa s2, v3, v2 src0_sel:BYTE_1 src1_sel:DWORD
	v_mov_b32_e32 v63, v126
	v_mov_b32_e32 v64, v127
	s_and_saveexec_b32 s31, s2
	s_cbranch_execz .LBB193_56
; %bb.51:                               ;   in Loop: Header=BB193_9 Depth=1
	v_mov_b32_e32 v5, 0xffff
	v_mov_b32_e32 v49, v42
	;; [unrolled: 1-line block ×3, first 2 shown]
	s_mov_b32 s33, exec_lo
	v_and_b32_sdwa v5, v5, v3 dst_sel:DWORD dst_unused:UNUSED_PAD src0_sel:DWORD src1_sel:BYTE_1
	v_mov_b32_e32 v63, v49
	v_and_b32_e32 v44, 0x7f, v5
	v_cmpx_ne_u32_e32 0x7f, v44
	s_cbranch_execz .LBB193_55
; %bb.52:                               ;   in Loop: Header=BB193_9 Depth=1
	v_and_b32_e32 v41, 7, v5
	v_lshrrev_b32_e32 v43, 3, v44
	s_mov_b32 s34, exec_lo
	v_cmpx_gt_u32_e32 8, v44
; %bb.53:                               ;   in Loop: Header=BB193_9 Depth=1
	v_ffbh_u32_e32 v5, v41
	v_min_u32_e32 v7, 32, v5
	v_subrev_nc_u32_e32 v5, 28, v7
	v_sub_nc_u32_e32 v43, 29, v7
	v_lshlrev_b64 v[5:6], v5, v[41:42]
	v_and_b32_e32 v41, 7, v5
; %bb.54:                               ;   in Loop: Header=BB193_9 Depth=1
	s_or_b32 exec_lo, exec_lo, s34
	v_lshlrev_b32_e32 v3, 16, v3
	v_lshlrev_b32_e32 v5, 20, v41
	v_lshl_add_u32 v6, v43, 23, 0x3c000000
	v_mov_b32_e32 v63, v42
	v_and_b32_e32 v3, 0x80000000, v3
	v_or3_b32 v64, v5, v3, v6
.LBB193_55:                             ;   in Loop: Header=BB193_9 Depth=1
	s_or_b32 exec_lo, exec_lo, s33
.LBB193_56:                             ;   in Loop: Header=BB193_9 Depth=1
	s_or_b32 exec_lo, exec_lo, s31
.LBB193_57:                             ;   in Loop: Header=BB193_9 Depth=1
	s_or_b32 exec_lo, exec_lo, s3
	global_load_ushort v5, v[59:60], off offset:12
	v_mov_b32_e32 v67, 0
	v_mov_b32_e32 v65, 0
	;; [unrolled: 1-line block ×4, first 2 shown]
	s_waitcnt vmcnt(0)
	v_and_b32_e32 v3, 0xffff, v5
	v_cmp_ne_u16_sdwa s2, v5, v42 src0_sel:BYTE_0 src1_sel:DWORD
	s_and_saveexec_b32 s3, s2
	s_cbranch_execz .LBB193_65
; %bb.58:                               ;   in Loop: Header=BB193_9 Depth=1
	v_bfrev_b32_e32 v65, 1
	v_mov_b32_e32 v66, 0
	v_cmp_ne_u16_sdwa s2, v3, v2 src0_sel:BYTE_0 src1_sel:DWORD
	s_and_saveexec_b32 s31, s2
	s_cbranch_execz .LBB193_64
; %bb.59:                               ;   in Loop: Header=BB193_9 Depth=1
	v_mov_b32_e32 v65, 0x7f800001
	v_and_b32_e32 v5, 0x7f, v3
	v_mov_b32_e32 v66, 0
	s_mov_b32 s33, exec_lo
	v_cmpx_ne_u32_e32 0x7f, v5
	s_cbranch_execz .LBB193_63
; %bb.60:                               ;   in Loop: Header=BB193_9 Depth=1
	v_and_b32_e32 v41, 7, v3
	v_lshrrev_b32_e32 v43, 3, v5
	s_mov_b32 s34, exec_lo
	v_cmpx_gt_u32_e32 8, v5
; %bb.61:                               ;   in Loop: Header=BB193_9 Depth=1
	v_ffbh_u32_e32 v5, v41
	v_min_u32_e32 v7, 32, v5
	v_subrev_nc_u32_e32 v5, 28, v7
	v_sub_nc_u32_e32 v43, 29, v7
	v_lshlrev_b64 v[5:6], v5, v[41:42]
	v_and_b32_e32 v41, 7, v5
; %bb.62:                               ;   in Loop: Header=BB193_9 Depth=1
	s_or_b32 exec_lo, exec_lo, s34
	v_lshlrev_b32_e32 v5, 24, v3
	v_lshlrev_b32_e32 v6, 20, v41
	v_lshl_add_u32 v7, v43, 23, 0x3c000000
	v_and_b32_e32 v5, 0x80000000, v5
	v_or3_b32 v41, v6, v5, v7
	v_mov_b32_e32 v66, v42
	v_mov_b32_e32 v65, v41
.LBB193_63:                             ;   in Loop: Header=BB193_9 Depth=1
	s_or_b32 exec_lo, exec_lo, s33
.LBB193_64:                             ;   in Loop: Header=BB193_9 Depth=1
	s_or_b32 exec_lo, exec_lo, s31
.LBB193_65:                             ;   in Loop: Header=BB193_9 Depth=1
	s_or_b32 exec_lo, exec_lo, s3
	v_cmp_ne_u16_sdwa s2, v3, v42 src0_sel:BYTE_1 src1_sel:DWORD
	s_and_saveexec_b32 s3, s2
	s_cbranch_execz .LBB193_73
; %bb.66:                               ;   in Loop: Header=BB193_9 Depth=1
	v_mov_b32_e32 v126, v42
	v_cmp_ne_u16_sdwa s2, v3, v2 src0_sel:BYTE_1 src1_sel:DWORD
	v_mov_b32_e32 v67, v126
	v_mov_b32_e32 v68, v127
	s_and_saveexec_b32 s31, s2
	s_cbranch_execz .LBB193_72
; %bb.67:                               ;   in Loop: Header=BB193_9 Depth=1
	v_mov_b32_e32 v5, 0xffff
	v_mov_b32_e32 v49, v42
	v_mov_b32_e32 v68, v50
	s_mov_b32 s33, exec_lo
	v_and_b32_sdwa v5, v5, v3 dst_sel:DWORD dst_unused:UNUSED_PAD src0_sel:DWORD src1_sel:BYTE_1
	v_mov_b32_e32 v67, v49
	v_and_b32_e32 v44, 0x7f, v5
	v_cmpx_ne_u32_e32 0x7f, v44
	s_cbranch_execz .LBB193_71
; %bb.68:                               ;   in Loop: Header=BB193_9 Depth=1
	v_and_b32_e32 v41, 7, v5
	v_lshrrev_b32_e32 v43, 3, v44
	s_mov_b32 s34, exec_lo
	v_cmpx_gt_u32_e32 8, v44
; %bb.69:                               ;   in Loop: Header=BB193_9 Depth=1
	v_ffbh_u32_e32 v5, v41
	v_min_u32_e32 v7, 32, v5
	v_subrev_nc_u32_e32 v5, 28, v7
	v_sub_nc_u32_e32 v43, 29, v7
	v_lshlrev_b64 v[5:6], v5, v[41:42]
	v_and_b32_e32 v41, 7, v5
; %bb.70:                               ;   in Loop: Header=BB193_9 Depth=1
	s_or_b32 exec_lo, exec_lo, s34
	v_lshlrev_b32_e32 v3, 16, v3
	v_lshlrev_b32_e32 v5, 20, v41
	v_lshl_add_u32 v6, v43, 23, 0x3c000000
	v_mov_b32_e32 v67, v42
	v_and_b32_e32 v3, 0x80000000, v3
	v_or3_b32 v68, v5, v3, v6
.LBB193_71:                             ;   in Loop: Header=BB193_9 Depth=1
	s_or_b32 exec_lo, exec_lo, s33
.LBB193_72:                             ;   in Loop: Header=BB193_9 Depth=1
	s_or_b32 exec_lo, exec_lo, s31
.LBB193_73:                             ;   in Loop: Header=BB193_9 Depth=1
	s_or_b32 exec_lo, exec_lo, s3
	global_load_ushort v5, v[59:60], off offset:256
	v_mov_b32_e32 v71, 0
	v_mov_b32_e32 v69, 0
	;; [unrolled: 1-line block ×4, first 2 shown]
	s_waitcnt vmcnt(0)
	v_and_b32_e32 v3, 0xffff, v5
	v_cmp_ne_u16_sdwa s2, v5, v42 src0_sel:BYTE_0 src1_sel:DWORD
	s_and_saveexec_b32 s3, s2
	s_cbranch_execz .LBB193_81
; %bb.74:                               ;   in Loop: Header=BB193_9 Depth=1
	v_bfrev_b32_e32 v69, 1
	v_mov_b32_e32 v70, 0
	v_cmp_ne_u16_sdwa s2, v3, v2 src0_sel:BYTE_0 src1_sel:DWORD
	s_and_saveexec_b32 s31, s2
	s_cbranch_execz .LBB193_80
; %bb.75:                               ;   in Loop: Header=BB193_9 Depth=1
	v_mov_b32_e32 v69, 0x7f800001
	v_and_b32_e32 v5, 0x7f, v3
	v_mov_b32_e32 v70, 0
	s_mov_b32 s33, exec_lo
	v_cmpx_ne_u32_e32 0x7f, v5
	s_cbranch_execz .LBB193_79
; %bb.76:                               ;   in Loop: Header=BB193_9 Depth=1
	v_and_b32_e32 v41, 7, v3
	v_lshrrev_b32_e32 v43, 3, v5
	s_mov_b32 s34, exec_lo
	v_cmpx_gt_u32_e32 8, v5
; %bb.77:                               ;   in Loop: Header=BB193_9 Depth=1
	v_ffbh_u32_e32 v5, v41
	v_min_u32_e32 v7, 32, v5
	v_subrev_nc_u32_e32 v5, 28, v7
	v_sub_nc_u32_e32 v43, 29, v7
	v_lshlrev_b64 v[5:6], v5, v[41:42]
	v_and_b32_e32 v41, 7, v5
; %bb.78:                               ;   in Loop: Header=BB193_9 Depth=1
	s_or_b32 exec_lo, exec_lo, s34
	v_lshlrev_b32_e32 v5, 24, v3
	v_lshlrev_b32_e32 v6, 20, v41
	v_lshl_add_u32 v7, v43, 23, 0x3c000000
	v_and_b32_e32 v5, 0x80000000, v5
	v_or3_b32 v41, v6, v5, v7
	v_mov_b32_e32 v70, v42
	v_mov_b32_e32 v69, v41
.LBB193_79:                             ;   in Loop: Header=BB193_9 Depth=1
	s_or_b32 exec_lo, exec_lo, s33
.LBB193_80:                             ;   in Loop: Header=BB193_9 Depth=1
	s_or_b32 exec_lo, exec_lo, s31
.LBB193_81:                             ;   in Loop: Header=BB193_9 Depth=1
	s_or_b32 exec_lo, exec_lo, s3
	v_cmp_ne_u16_sdwa s2, v3, v42 src0_sel:BYTE_1 src1_sel:DWORD
	s_and_saveexec_b32 s3, s2
	s_cbranch_execz .LBB193_89
; %bb.82:                               ;   in Loop: Header=BB193_9 Depth=1
	v_mov_b32_e32 v126, v42
	v_cmp_ne_u16_sdwa s2, v3, v2 src0_sel:BYTE_1 src1_sel:DWORD
	v_mov_b32_e32 v71, v126
	v_mov_b32_e32 v72, v127
	s_and_saveexec_b32 s31, s2
	s_cbranch_execz .LBB193_88
; %bb.83:                               ;   in Loop: Header=BB193_9 Depth=1
	v_mov_b32_e32 v5, 0xffff
	v_mov_b32_e32 v49, v42
	;; [unrolled: 1-line block ×3, first 2 shown]
	s_mov_b32 s33, exec_lo
	v_and_b32_sdwa v5, v5, v3 dst_sel:DWORD dst_unused:UNUSED_PAD src0_sel:DWORD src1_sel:BYTE_1
	v_mov_b32_e32 v71, v49
	v_and_b32_e32 v44, 0x7f, v5
	v_cmpx_ne_u32_e32 0x7f, v44
	s_cbranch_execz .LBB193_87
; %bb.84:                               ;   in Loop: Header=BB193_9 Depth=1
	v_and_b32_e32 v41, 7, v5
	v_lshrrev_b32_e32 v43, 3, v44
	s_mov_b32 s34, exec_lo
	v_cmpx_gt_u32_e32 8, v44
; %bb.85:                               ;   in Loop: Header=BB193_9 Depth=1
	v_ffbh_u32_e32 v5, v41
	v_min_u32_e32 v7, 32, v5
	v_subrev_nc_u32_e32 v5, 28, v7
	v_sub_nc_u32_e32 v43, 29, v7
	v_lshlrev_b64 v[5:6], v5, v[41:42]
	v_and_b32_e32 v41, 7, v5
; %bb.86:                               ;   in Loop: Header=BB193_9 Depth=1
	s_or_b32 exec_lo, exec_lo, s34
	v_lshlrev_b32_e32 v3, 16, v3
	v_lshlrev_b32_e32 v5, 20, v41
	v_lshl_add_u32 v6, v43, 23, 0x3c000000
	v_mov_b32_e32 v71, v42
	v_and_b32_e32 v3, 0x80000000, v3
	v_or3_b32 v72, v5, v3, v6
.LBB193_87:                             ;   in Loop: Header=BB193_9 Depth=1
	s_or_b32 exec_lo, exec_lo, s33
.LBB193_88:                             ;   in Loop: Header=BB193_9 Depth=1
	s_or_b32 exec_lo, exec_lo, s31
.LBB193_89:                             ;   in Loop: Header=BB193_9 Depth=1
	s_or_b32 exec_lo, exec_lo, s3
	global_load_ushort v5, v[59:60], off offset:260
	v_mov_b32_e32 v75, 0
	v_mov_b32_e32 v73, 0
	;; [unrolled: 1-line block ×4, first 2 shown]
	s_waitcnt vmcnt(0)
	v_and_b32_e32 v3, 0xffff, v5
	v_cmp_ne_u16_sdwa s2, v5, v42 src0_sel:BYTE_0 src1_sel:DWORD
	s_and_saveexec_b32 s3, s2
	s_cbranch_execz .LBB193_97
; %bb.90:                               ;   in Loop: Header=BB193_9 Depth=1
	v_bfrev_b32_e32 v73, 1
	v_mov_b32_e32 v74, 0
	v_cmp_ne_u16_sdwa s2, v3, v2 src0_sel:BYTE_0 src1_sel:DWORD
	s_and_saveexec_b32 s31, s2
	s_cbranch_execz .LBB193_96
; %bb.91:                               ;   in Loop: Header=BB193_9 Depth=1
	v_mov_b32_e32 v73, 0x7f800001
	v_and_b32_e32 v5, 0x7f, v3
	v_mov_b32_e32 v74, 0
	s_mov_b32 s33, exec_lo
	v_cmpx_ne_u32_e32 0x7f, v5
	s_cbranch_execz .LBB193_95
; %bb.92:                               ;   in Loop: Header=BB193_9 Depth=1
	v_and_b32_e32 v41, 7, v3
	v_lshrrev_b32_e32 v43, 3, v5
	s_mov_b32 s34, exec_lo
	v_cmpx_gt_u32_e32 8, v5
; %bb.93:                               ;   in Loop: Header=BB193_9 Depth=1
	v_ffbh_u32_e32 v5, v41
	v_min_u32_e32 v7, 32, v5
	v_subrev_nc_u32_e32 v5, 28, v7
	v_sub_nc_u32_e32 v43, 29, v7
	v_lshlrev_b64 v[5:6], v5, v[41:42]
	v_and_b32_e32 v41, 7, v5
; %bb.94:                               ;   in Loop: Header=BB193_9 Depth=1
	s_or_b32 exec_lo, exec_lo, s34
	v_lshlrev_b32_e32 v5, 24, v3
	v_lshlrev_b32_e32 v6, 20, v41
	v_lshl_add_u32 v7, v43, 23, 0x3c000000
	v_and_b32_e32 v5, 0x80000000, v5
	v_or3_b32 v41, v6, v5, v7
	v_mov_b32_e32 v74, v42
	v_mov_b32_e32 v73, v41
.LBB193_95:                             ;   in Loop: Header=BB193_9 Depth=1
	s_or_b32 exec_lo, exec_lo, s33
.LBB193_96:                             ;   in Loop: Header=BB193_9 Depth=1
	s_or_b32 exec_lo, exec_lo, s31
.LBB193_97:                             ;   in Loop: Header=BB193_9 Depth=1
	s_or_b32 exec_lo, exec_lo, s3
	v_cmp_ne_u16_sdwa s2, v3, v42 src0_sel:BYTE_1 src1_sel:DWORD
	s_and_saveexec_b32 s3, s2
	s_cbranch_execz .LBB193_105
; %bb.98:                               ;   in Loop: Header=BB193_9 Depth=1
	v_mov_b32_e32 v126, v42
	v_cmp_ne_u16_sdwa s2, v3, v2 src0_sel:BYTE_1 src1_sel:DWORD
	v_mov_b32_e32 v75, v126
	v_mov_b32_e32 v76, v127
	s_and_saveexec_b32 s31, s2
	s_cbranch_execz .LBB193_104
; %bb.99:                               ;   in Loop: Header=BB193_9 Depth=1
	v_mov_b32_e32 v5, 0xffff
	v_mov_b32_e32 v49, v42
	;; [unrolled: 1-line block ×3, first 2 shown]
	s_mov_b32 s33, exec_lo
	v_and_b32_sdwa v5, v5, v3 dst_sel:DWORD dst_unused:UNUSED_PAD src0_sel:DWORD src1_sel:BYTE_1
	v_mov_b32_e32 v75, v49
	v_and_b32_e32 v44, 0x7f, v5
	v_cmpx_ne_u32_e32 0x7f, v44
	s_cbranch_execz .LBB193_103
; %bb.100:                              ;   in Loop: Header=BB193_9 Depth=1
	v_and_b32_e32 v41, 7, v5
	v_lshrrev_b32_e32 v43, 3, v44
	s_mov_b32 s34, exec_lo
	v_cmpx_gt_u32_e32 8, v44
; %bb.101:                              ;   in Loop: Header=BB193_9 Depth=1
	v_ffbh_u32_e32 v5, v41
	v_min_u32_e32 v7, 32, v5
	v_subrev_nc_u32_e32 v5, 28, v7
	v_sub_nc_u32_e32 v43, 29, v7
	v_lshlrev_b64 v[5:6], v5, v[41:42]
	v_and_b32_e32 v41, 7, v5
; %bb.102:                              ;   in Loop: Header=BB193_9 Depth=1
	s_or_b32 exec_lo, exec_lo, s34
	v_lshlrev_b32_e32 v3, 16, v3
	v_lshlrev_b32_e32 v5, 20, v41
	v_lshl_add_u32 v6, v43, 23, 0x3c000000
	v_mov_b32_e32 v75, v42
	v_and_b32_e32 v3, 0x80000000, v3
	v_or3_b32 v76, v5, v3, v6
.LBB193_103:                            ;   in Loop: Header=BB193_9 Depth=1
	s_or_b32 exec_lo, exec_lo, s33
.LBB193_104:                            ;   in Loop: Header=BB193_9 Depth=1
	s_or_b32 exec_lo, exec_lo, s31
.LBB193_105:                            ;   in Loop: Header=BB193_9 Depth=1
	s_or_b32 exec_lo, exec_lo, s3
	global_load_ushort v5, v[59:60], off offset:264
	v_mov_b32_e32 v79, 0
	v_mov_b32_e32 v77, 0
	;; [unrolled: 1-line block ×4, first 2 shown]
	s_waitcnt vmcnt(0)
	v_and_b32_e32 v3, 0xffff, v5
	v_cmp_ne_u16_sdwa s2, v5, v42 src0_sel:BYTE_0 src1_sel:DWORD
	s_and_saveexec_b32 s3, s2
	s_cbranch_execz .LBB193_113
; %bb.106:                              ;   in Loop: Header=BB193_9 Depth=1
	v_bfrev_b32_e32 v77, 1
	v_mov_b32_e32 v78, 0
	v_cmp_ne_u16_sdwa s2, v3, v2 src0_sel:BYTE_0 src1_sel:DWORD
	s_and_saveexec_b32 s31, s2
	s_cbranch_execz .LBB193_112
; %bb.107:                              ;   in Loop: Header=BB193_9 Depth=1
	v_mov_b32_e32 v77, 0x7f800001
	v_and_b32_e32 v5, 0x7f, v3
	v_mov_b32_e32 v78, 0
	s_mov_b32 s33, exec_lo
	v_cmpx_ne_u32_e32 0x7f, v5
	s_cbranch_execz .LBB193_111
; %bb.108:                              ;   in Loop: Header=BB193_9 Depth=1
	v_and_b32_e32 v41, 7, v3
	v_lshrrev_b32_e32 v43, 3, v5
	s_mov_b32 s34, exec_lo
	v_cmpx_gt_u32_e32 8, v5
; %bb.109:                              ;   in Loop: Header=BB193_9 Depth=1
	v_ffbh_u32_e32 v5, v41
	v_min_u32_e32 v7, 32, v5
	v_subrev_nc_u32_e32 v5, 28, v7
	v_sub_nc_u32_e32 v43, 29, v7
	v_lshlrev_b64 v[5:6], v5, v[41:42]
	v_and_b32_e32 v41, 7, v5
; %bb.110:                              ;   in Loop: Header=BB193_9 Depth=1
	s_or_b32 exec_lo, exec_lo, s34
	v_lshlrev_b32_e32 v5, 24, v3
	v_lshlrev_b32_e32 v6, 20, v41
	v_lshl_add_u32 v7, v43, 23, 0x3c000000
	v_and_b32_e32 v5, 0x80000000, v5
	v_or3_b32 v41, v6, v5, v7
	v_mov_b32_e32 v78, v42
	v_mov_b32_e32 v77, v41
.LBB193_111:                            ;   in Loop: Header=BB193_9 Depth=1
	s_or_b32 exec_lo, exec_lo, s33
.LBB193_112:                            ;   in Loop: Header=BB193_9 Depth=1
	s_or_b32 exec_lo, exec_lo, s31
.LBB193_113:                            ;   in Loop: Header=BB193_9 Depth=1
	s_or_b32 exec_lo, exec_lo, s3
	v_cmp_ne_u16_sdwa s2, v3, v42 src0_sel:BYTE_1 src1_sel:DWORD
	s_and_saveexec_b32 s3, s2
	s_cbranch_execz .LBB193_121
; %bb.114:                              ;   in Loop: Header=BB193_9 Depth=1
	v_mov_b32_e32 v126, v42
	v_cmp_ne_u16_sdwa s2, v3, v2 src0_sel:BYTE_1 src1_sel:DWORD
	v_mov_b32_e32 v79, v126
	v_mov_b32_e32 v80, v127
	s_and_saveexec_b32 s31, s2
	s_cbranch_execz .LBB193_120
; %bb.115:                              ;   in Loop: Header=BB193_9 Depth=1
	v_mov_b32_e32 v5, 0xffff
	v_mov_b32_e32 v49, v42
	;; [unrolled: 1-line block ×3, first 2 shown]
	s_mov_b32 s33, exec_lo
	v_and_b32_sdwa v5, v5, v3 dst_sel:DWORD dst_unused:UNUSED_PAD src0_sel:DWORD src1_sel:BYTE_1
	v_mov_b32_e32 v79, v49
	v_and_b32_e32 v44, 0x7f, v5
	v_cmpx_ne_u32_e32 0x7f, v44
	s_cbranch_execz .LBB193_119
; %bb.116:                              ;   in Loop: Header=BB193_9 Depth=1
	v_and_b32_e32 v41, 7, v5
	v_lshrrev_b32_e32 v43, 3, v44
	s_mov_b32 s34, exec_lo
	v_cmpx_gt_u32_e32 8, v44
; %bb.117:                              ;   in Loop: Header=BB193_9 Depth=1
	v_ffbh_u32_e32 v5, v41
	v_min_u32_e32 v7, 32, v5
	v_subrev_nc_u32_e32 v5, 28, v7
	v_sub_nc_u32_e32 v43, 29, v7
	v_lshlrev_b64 v[5:6], v5, v[41:42]
	v_and_b32_e32 v41, 7, v5
; %bb.118:                              ;   in Loop: Header=BB193_9 Depth=1
	s_or_b32 exec_lo, exec_lo, s34
	v_lshlrev_b32_e32 v3, 16, v3
	v_lshlrev_b32_e32 v5, 20, v41
	v_lshl_add_u32 v6, v43, 23, 0x3c000000
	v_mov_b32_e32 v79, v42
	v_and_b32_e32 v3, 0x80000000, v3
	v_or3_b32 v80, v5, v3, v6
.LBB193_119:                            ;   in Loop: Header=BB193_9 Depth=1
	s_or_b32 exec_lo, exec_lo, s33
.LBB193_120:                            ;   in Loop: Header=BB193_9 Depth=1
	s_or_b32 exec_lo, exec_lo, s31
.LBB193_121:                            ;   in Loop: Header=BB193_9 Depth=1
	s_or_b32 exec_lo, exec_lo, s3
	global_load_ushort v5, v[59:60], off offset:268
	v_mov_b32_e32 v83, 0
	v_mov_b32_e32 v81, 0
	;; [unrolled: 1-line block ×4, first 2 shown]
	s_waitcnt vmcnt(0)
	v_and_b32_e32 v3, 0xffff, v5
	v_cmp_ne_u16_sdwa s2, v5, v42 src0_sel:BYTE_0 src1_sel:DWORD
	s_and_saveexec_b32 s3, s2
	s_cbranch_execz .LBB193_129
; %bb.122:                              ;   in Loop: Header=BB193_9 Depth=1
	v_bfrev_b32_e32 v81, 1
	v_mov_b32_e32 v82, 0
	v_cmp_ne_u16_sdwa s2, v3, v2 src0_sel:BYTE_0 src1_sel:DWORD
	s_and_saveexec_b32 s31, s2
	s_cbranch_execz .LBB193_128
; %bb.123:                              ;   in Loop: Header=BB193_9 Depth=1
	v_mov_b32_e32 v81, 0x7f800001
	v_and_b32_e32 v5, 0x7f, v3
	v_mov_b32_e32 v82, 0
	s_mov_b32 s33, exec_lo
	v_cmpx_ne_u32_e32 0x7f, v5
	s_cbranch_execz .LBB193_127
; %bb.124:                              ;   in Loop: Header=BB193_9 Depth=1
	v_and_b32_e32 v41, 7, v3
	v_lshrrev_b32_e32 v43, 3, v5
	s_mov_b32 s34, exec_lo
	v_cmpx_gt_u32_e32 8, v5
; %bb.125:                              ;   in Loop: Header=BB193_9 Depth=1
	v_ffbh_u32_e32 v5, v41
	v_min_u32_e32 v7, 32, v5
	v_subrev_nc_u32_e32 v5, 28, v7
	v_sub_nc_u32_e32 v43, 29, v7
	v_lshlrev_b64 v[5:6], v5, v[41:42]
	v_and_b32_e32 v41, 7, v5
; %bb.126:                              ;   in Loop: Header=BB193_9 Depth=1
	s_or_b32 exec_lo, exec_lo, s34
	v_lshlrev_b32_e32 v5, 24, v3
	v_lshlrev_b32_e32 v6, 20, v41
	v_lshl_add_u32 v7, v43, 23, 0x3c000000
	v_and_b32_e32 v5, 0x80000000, v5
	v_or3_b32 v41, v6, v5, v7
	v_mov_b32_e32 v82, v42
	v_mov_b32_e32 v81, v41
.LBB193_127:                            ;   in Loop: Header=BB193_9 Depth=1
	s_or_b32 exec_lo, exec_lo, s33
.LBB193_128:                            ;   in Loop: Header=BB193_9 Depth=1
	s_or_b32 exec_lo, exec_lo, s31
.LBB193_129:                            ;   in Loop: Header=BB193_9 Depth=1
	s_or_b32 exec_lo, exec_lo, s3
	v_cmp_ne_u16_sdwa s2, v3, v42 src0_sel:BYTE_1 src1_sel:DWORD
	s_and_saveexec_b32 s3, s2
	s_cbranch_execz .LBB193_137
; %bb.130:                              ;   in Loop: Header=BB193_9 Depth=1
	v_mov_b32_e32 v126, v42
	v_cmp_ne_u16_sdwa s2, v3, v2 src0_sel:BYTE_1 src1_sel:DWORD
	v_mov_b32_e32 v83, v126
	v_mov_b32_e32 v84, v127
	s_and_saveexec_b32 s31, s2
	s_cbranch_execz .LBB193_136
; %bb.131:                              ;   in Loop: Header=BB193_9 Depth=1
	v_mov_b32_e32 v5, 0xffff
	v_mov_b32_e32 v49, v42
	;; [unrolled: 1-line block ×3, first 2 shown]
	s_mov_b32 s33, exec_lo
	v_and_b32_sdwa v5, v5, v3 dst_sel:DWORD dst_unused:UNUSED_PAD src0_sel:DWORD src1_sel:BYTE_1
	v_mov_b32_e32 v83, v49
	v_and_b32_e32 v44, 0x7f, v5
	v_cmpx_ne_u32_e32 0x7f, v44
	s_cbranch_execz .LBB193_135
; %bb.132:                              ;   in Loop: Header=BB193_9 Depth=1
	v_and_b32_e32 v41, 7, v5
	v_lshrrev_b32_e32 v43, 3, v44
	s_mov_b32 s34, exec_lo
	v_cmpx_gt_u32_e32 8, v44
; %bb.133:                              ;   in Loop: Header=BB193_9 Depth=1
	v_ffbh_u32_e32 v5, v41
	v_min_u32_e32 v7, 32, v5
	v_subrev_nc_u32_e32 v5, 28, v7
	v_sub_nc_u32_e32 v43, 29, v7
	v_lshlrev_b64 v[5:6], v5, v[41:42]
	v_and_b32_e32 v41, 7, v5
; %bb.134:                              ;   in Loop: Header=BB193_9 Depth=1
	s_or_b32 exec_lo, exec_lo, s34
	v_lshlrev_b32_e32 v3, 16, v3
	v_lshlrev_b32_e32 v5, 20, v41
	v_lshl_add_u32 v6, v43, 23, 0x3c000000
	v_mov_b32_e32 v83, v42
	v_and_b32_e32 v3, 0x80000000, v3
	v_or3_b32 v84, v5, v3, v6
.LBB193_135:                            ;   in Loop: Header=BB193_9 Depth=1
	s_or_b32 exec_lo, exec_lo, s33
.LBB193_136:                            ;   in Loop: Header=BB193_9 Depth=1
	s_or_b32 exec_lo, exec_lo, s31
.LBB193_137:                            ;   in Loop: Header=BB193_9 Depth=1
	s_or_b32 exec_lo, exec_lo, s3
	global_load_ushort v5, v[59:60], off offset:512
	v_mov_b32_e32 v87, 0
	v_mov_b32_e32 v85, 0
	;; [unrolled: 1-line block ×4, first 2 shown]
	s_waitcnt vmcnt(0)
	v_and_b32_e32 v3, 0xffff, v5
	v_cmp_ne_u16_sdwa s2, v5, v42 src0_sel:BYTE_0 src1_sel:DWORD
	s_and_saveexec_b32 s3, s2
	s_cbranch_execz .LBB193_145
; %bb.138:                              ;   in Loop: Header=BB193_9 Depth=1
	v_bfrev_b32_e32 v85, 1
	v_mov_b32_e32 v86, 0
	v_cmp_ne_u16_sdwa s2, v3, v2 src0_sel:BYTE_0 src1_sel:DWORD
	s_and_saveexec_b32 s31, s2
	s_cbranch_execz .LBB193_144
; %bb.139:                              ;   in Loop: Header=BB193_9 Depth=1
	v_mov_b32_e32 v85, 0x7f800001
	v_and_b32_e32 v5, 0x7f, v3
	v_mov_b32_e32 v86, 0
	s_mov_b32 s33, exec_lo
	v_cmpx_ne_u32_e32 0x7f, v5
	s_cbranch_execz .LBB193_143
; %bb.140:                              ;   in Loop: Header=BB193_9 Depth=1
	v_and_b32_e32 v41, 7, v3
	v_lshrrev_b32_e32 v43, 3, v5
	s_mov_b32 s34, exec_lo
	v_cmpx_gt_u32_e32 8, v5
; %bb.141:                              ;   in Loop: Header=BB193_9 Depth=1
	v_ffbh_u32_e32 v5, v41
	v_min_u32_e32 v7, 32, v5
	v_subrev_nc_u32_e32 v5, 28, v7
	v_sub_nc_u32_e32 v43, 29, v7
	v_lshlrev_b64 v[5:6], v5, v[41:42]
	v_and_b32_e32 v41, 7, v5
; %bb.142:                              ;   in Loop: Header=BB193_9 Depth=1
	s_or_b32 exec_lo, exec_lo, s34
	v_lshlrev_b32_e32 v5, 24, v3
	v_lshlrev_b32_e32 v6, 20, v41
	v_lshl_add_u32 v7, v43, 23, 0x3c000000
	v_and_b32_e32 v5, 0x80000000, v5
	v_or3_b32 v41, v6, v5, v7
	v_mov_b32_e32 v86, v42
	v_mov_b32_e32 v85, v41
.LBB193_143:                            ;   in Loop: Header=BB193_9 Depth=1
	s_or_b32 exec_lo, exec_lo, s33
.LBB193_144:                            ;   in Loop: Header=BB193_9 Depth=1
	s_or_b32 exec_lo, exec_lo, s31
.LBB193_145:                            ;   in Loop: Header=BB193_9 Depth=1
	s_or_b32 exec_lo, exec_lo, s3
	v_cmp_ne_u16_sdwa s2, v3, v42 src0_sel:BYTE_1 src1_sel:DWORD
	s_and_saveexec_b32 s3, s2
	s_cbranch_execz .LBB193_153
; %bb.146:                              ;   in Loop: Header=BB193_9 Depth=1
	v_mov_b32_e32 v126, v42
	v_cmp_ne_u16_sdwa s2, v3, v2 src0_sel:BYTE_1 src1_sel:DWORD
	v_mov_b32_e32 v87, v126
	v_mov_b32_e32 v88, v127
	s_and_saveexec_b32 s31, s2
	s_cbranch_execz .LBB193_152
; %bb.147:                              ;   in Loop: Header=BB193_9 Depth=1
	v_mov_b32_e32 v5, 0xffff
	v_mov_b32_e32 v49, v42
	;; [unrolled: 1-line block ×3, first 2 shown]
	s_mov_b32 s33, exec_lo
	v_and_b32_sdwa v5, v5, v3 dst_sel:DWORD dst_unused:UNUSED_PAD src0_sel:DWORD src1_sel:BYTE_1
	v_mov_b32_e32 v87, v49
	v_and_b32_e32 v44, 0x7f, v5
	v_cmpx_ne_u32_e32 0x7f, v44
	s_cbranch_execz .LBB193_151
; %bb.148:                              ;   in Loop: Header=BB193_9 Depth=1
	v_and_b32_e32 v41, 7, v5
	v_lshrrev_b32_e32 v43, 3, v44
	s_mov_b32 s34, exec_lo
	v_cmpx_gt_u32_e32 8, v44
; %bb.149:                              ;   in Loop: Header=BB193_9 Depth=1
	v_ffbh_u32_e32 v5, v41
	v_min_u32_e32 v7, 32, v5
	v_subrev_nc_u32_e32 v5, 28, v7
	v_sub_nc_u32_e32 v43, 29, v7
	v_lshlrev_b64 v[5:6], v5, v[41:42]
	v_and_b32_e32 v41, 7, v5
; %bb.150:                              ;   in Loop: Header=BB193_9 Depth=1
	s_or_b32 exec_lo, exec_lo, s34
	v_lshlrev_b32_e32 v3, 16, v3
	v_lshlrev_b32_e32 v5, 20, v41
	v_lshl_add_u32 v6, v43, 23, 0x3c000000
	v_mov_b32_e32 v87, v42
	v_and_b32_e32 v3, 0x80000000, v3
	v_or3_b32 v88, v5, v3, v6
.LBB193_151:                            ;   in Loop: Header=BB193_9 Depth=1
	s_or_b32 exec_lo, exec_lo, s33
.LBB193_152:                            ;   in Loop: Header=BB193_9 Depth=1
	s_or_b32 exec_lo, exec_lo, s31
.LBB193_153:                            ;   in Loop: Header=BB193_9 Depth=1
	s_or_b32 exec_lo, exec_lo, s3
	global_load_ushort v5, v[59:60], off offset:516
	v_mov_b32_e32 v91, 0
	v_mov_b32_e32 v89, 0
	;; [unrolled: 1-line block ×4, first 2 shown]
	s_waitcnt vmcnt(0)
	v_and_b32_e32 v3, 0xffff, v5
	v_cmp_ne_u16_sdwa s2, v5, v42 src0_sel:BYTE_0 src1_sel:DWORD
	s_and_saveexec_b32 s3, s2
	s_cbranch_execz .LBB193_161
; %bb.154:                              ;   in Loop: Header=BB193_9 Depth=1
	v_bfrev_b32_e32 v89, 1
	v_mov_b32_e32 v90, 0
	v_cmp_ne_u16_sdwa s2, v3, v2 src0_sel:BYTE_0 src1_sel:DWORD
	s_and_saveexec_b32 s31, s2
	s_cbranch_execz .LBB193_160
; %bb.155:                              ;   in Loop: Header=BB193_9 Depth=1
	v_mov_b32_e32 v89, 0x7f800001
	v_and_b32_e32 v5, 0x7f, v3
	v_mov_b32_e32 v90, 0
	s_mov_b32 s33, exec_lo
	v_cmpx_ne_u32_e32 0x7f, v5
	s_cbranch_execz .LBB193_159
; %bb.156:                              ;   in Loop: Header=BB193_9 Depth=1
	v_and_b32_e32 v41, 7, v3
	v_lshrrev_b32_e32 v43, 3, v5
	s_mov_b32 s34, exec_lo
	v_cmpx_gt_u32_e32 8, v5
; %bb.157:                              ;   in Loop: Header=BB193_9 Depth=1
	v_ffbh_u32_e32 v5, v41
	v_min_u32_e32 v7, 32, v5
	v_subrev_nc_u32_e32 v5, 28, v7
	v_sub_nc_u32_e32 v43, 29, v7
	v_lshlrev_b64 v[5:6], v5, v[41:42]
	v_and_b32_e32 v41, 7, v5
; %bb.158:                              ;   in Loop: Header=BB193_9 Depth=1
	s_or_b32 exec_lo, exec_lo, s34
	v_lshlrev_b32_e32 v5, 24, v3
	v_lshlrev_b32_e32 v6, 20, v41
	v_lshl_add_u32 v7, v43, 23, 0x3c000000
	v_and_b32_e32 v5, 0x80000000, v5
	v_or3_b32 v41, v6, v5, v7
	v_mov_b32_e32 v90, v42
	v_mov_b32_e32 v89, v41
.LBB193_159:                            ;   in Loop: Header=BB193_9 Depth=1
	s_or_b32 exec_lo, exec_lo, s33
.LBB193_160:                            ;   in Loop: Header=BB193_9 Depth=1
	s_or_b32 exec_lo, exec_lo, s31
.LBB193_161:                            ;   in Loop: Header=BB193_9 Depth=1
	s_or_b32 exec_lo, exec_lo, s3
	v_cmp_ne_u16_sdwa s2, v3, v42 src0_sel:BYTE_1 src1_sel:DWORD
	s_and_saveexec_b32 s3, s2
	s_cbranch_execz .LBB193_169
; %bb.162:                              ;   in Loop: Header=BB193_9 Depth=1
	v_mov_b32_e32 v126, v42
	v_cmp_ne_u16_sdwa s2, v3, v2 src0_sel:BYTE_1 src1_sel:DWORD
	v_mov_b32_e32 v91, v126
	v_mov_b32_e32 v92, v127
	s_and_saveexec_b32 s31, s2
	s_cbranch_execz .LBB193_168
; %bb.163:                              ;   in Loop: Header=BB193_9 Depth=1
	v_mov_b32_e32 v5, 0xffff
	v_mov_b32_e32 v49, v42
	;; [unrolled: 1-line block ×3, first 2 shown]
	s_mov_b32 s33, exec_lo
	v_and_b32_sdwa v5, v5, v3 dst_sel:DWORD dst_unused:UNUSED_PAD src0_sel:DWORD src1_sel:BYTE_1
	v_mov_b32_e32 v91, v49
	v_and_b32_e32 v44, 0x7f, v5
	v_cmpx_ne_u32_e32 0x7f, v44
	s_cbranch_execz .LBB193_167
; %bb.164:                              ;   in Loop: Header=BB193_9 Depth=1
	v_and_b32_e32 v41, 7, v5
	v_lshrrev_b32_e32 v43, 3, v44
	s_mov_b32 s34, exec_lo
	v_cmpx_gt_u32_e32 8, v44
; %bb.165:                              ;   in Loop: Header=BB193_9 Depth=1
	v_ffbh_u32_e32 v5, v41
	v_min_u32_e32 v7, 32, v5
	v_subrev_nc_u32_e32 v5, 28, v7
	v_sub_nc_u32_e32 v43, 29, v7
	v_lshlrev_b64 v[5:6], v5, v[41:42]
	v_and_b32_e32 v41, 7, v5
; %bb.166:                              ;   in Loop: Header=BB193_9 Depth=1
	s_or_b32 exec_lo, exec_lo, s34
	v_lshlrev_b32_e32 v3, 16, v3
	v_lshlrev_b32_e32 v5, 20, v41
	v_lshl_add_u32 v6, v43, 23, 0x3c000000
	v_mov_b32_e32 v91, v42
	v_and_b32_e32 v3, 0x80000000, v3
	v_or3_b32 v92, v5, v3, v6
.LBB193_167:                            ;   in Loop: Header=BB193_9 Depth=1
	s_or_b32 exec_lo, exec_lo, s33
.LBB193_168:                            ;   in Loop: Header=BB193_9 Depth=1
	s_or_b32 exec_lo, exec_lo, s31
.LBB193_169:                            ;   in Loop: Header=BB193_9 Depth=1
	s_or_b32 exec_lo, exec_lo, s3
	global_load_ushort v5, v[59:60], off offset:520
	v_mov_b32_e32 v95, 0
	v_mov_b32_e32 v93, 0
	v_mov_b32_e32 v96, 0
	v_mov_b32_e32 v94, 0
	s_waitcnt vmcnt(0)
	v_and_b32_e32 v3, 0xffff, v5
	v_cmp_ne_u16_sdwa s2, v5, v42 src0_sel:BYTE_0 src1_sel:DWORD
	s_and_saveexec_b32 s3, s2
	s_cbranch_execz .LBB193_177
; %bb.170:                              ;   in Loop: Header=BB193_9 Depth=1
	v_bfrev_b32_e32 v93, 1
	v_mov_b32_e32 v94, 0
	v_cmp_ne_u16_sdwa s2, v3, v2 src0_sel:BYTE_0 src1_sel:DWORD
	s_and_saveexec_b32 s31, s2
	s_cbranch_execz .LBB193_176
; %bb.171:                              ;   in Loop: Header=BB193_9 Depth=1
	v_mov_b32_e32 v93, 0x7f800001
	v_and_b32_e32 v5, 0x7f, v3
	v_mov_b32_e32 v94, 0
	s_mov_b32 s33, exec_lo
	v_cmpx_ne_u32_e32 0x7f, v5
	s_cbranch_execz .LBB193_175
; %bb.172:                              ;   in Loop: Header=BB193_9 Depth=1
	v_and_b32_e32 v41, 7, v3
	v_lshrrev_b32_e32 v43, 3, v5
	s_mov_b32 s34, exec_lo
	v_cmpx_gt_u32_e32 8, v5
; %bb.173:                              ;   in Loop: Header=BB193_9 Depth=1
	v_ffbh_u32_e32 v5, v41
	v_min_u32_e32 v7, 32, v5
	v_subrev_nc_u32_e32 v5, 28, v7
	v_sub_nc_u32_e32 v43, 29, v7
	v_lshlrev_b64 v[5:6], v5, v[41:42]
	v_and_b32_e32 v41, 7, v5
; %bb.174:                              ;   in Loop: Header=BB193_9 Depth=1
	s_or_b32 exec_lo, exec_lo, s34
	v_lshlrev_b32_e32 v5, 24, v3
	v_lshlrev_b32_e32 v6, 20, v41
	v_lshl_add_u32 v7, v43, 23, 0x3c000000
	v_and_b32_e32 v5, 0x80000000, v5
	v_or3_b32 v41, v6, v5, v7
	v_mov_b32_e32 v94, v42
	v_mov_b32_e32 v93, v41
.LBB193_175:                            ;   in Loop: Header=BB193_9 Depth=1
	s_or_b32 exec_lo, exec_lo, s33
.LBB193_176:                            ;   in Loop: Header=BB193_9 Depth=1
	s_or_b32 exec_lo, exec_lo, s31
.LBB193_177:                            ;   in Loop: Header=BB193_9 Depth=1
	s_or_b32 exec_lo, exec_lo, s3
	v_cmp_ne_u16_sdwa s2, v3, v42 src0_sel:BYTE_1 src1_sel:DWORD
	s_and_saveexec_b32 s3, s2
	s_cbranch_execz .LBB193_185
; %bb.178:                              ;   in Loop: Header=BB193_9 Depth=1
	v_mov_b32_e32 v126, v42
	v_cmp_ne_u16_sdwa s2, v3, v2 src0_sel:BYTE_1 src1_sel:DWORD
	v_mov_b32_e32 v95, v126
	v_mov_b32_e32 v96, v127
	s_and_saveexec_b32 s31, s2
	s_cbranch_execz .LBB193_184
; %bb.179:                              ;   in Loop: Header=BB193_9 Depth=1
	v_mov_b32_e32 v5, 0xffff
	v_mov_b32_e32 v49, v42
	;; [unrolled: 1-line block ×3, first 2 shown]
	s_mov_b32 s33, exec_lo
	v_and_b32_sdwa v5, v5, v3 dst_sel:DWORD dst_unused:UNUSED_PAD src0_sel:DWORD src1_sel:BYTE_1
	v_mov_b32_e32 v95, v49
	v_and_b32_e32 v44, 0x7f, v5
	v_cmpx_ne_u32_e32 0x7f, v44
	s_cbranch_execz .LBB193_183
; %bb.180:                              ;   in Loop: Header=BB193_9 Depth=1
	v_and_b32_e32 v41, 7, v5
	v_lshrrev_b32_e32 v43, 3, v44
	s_mov_b32 s34, exec_lo
	v_cmpx_gt_u32_e32 8, v44
; %bb.181:                              ;   in Loop: Header=BB193_9 Depth=1
	v_ffbh_u32_e32 v5, v41
	v_min_u32_e32 v7, 32, v5
	v_subrev_nc_u32_e32 v5, 28, v7
	v_sub_nc_u32_e32 v43, 29, v7
	v_lshlrev_b64 v[5:6], v5, v[41:42]
	v_and_b32_e32 v41, 7, v5
; %bb.182:                              ;   in Loop: Header=BB193_9 Depth=1
	s_or_b32 exec_lo, exec_lo, s34
	v_lshlrev_b32_e32 v3, 16, v3
	v_lshlrev_b32_e32 v5, 20, v41
	v_lshl_add_u32 v6, v43, 23, 0x3c000000
	v_mov_b32_e32 v95, v42
	v_and_b32_e32 v3, 0x80000000, v3
	v_or3_b32 v96, v5, v3, v6
.LBB193_183:                            ;   in Loop: Header=BB193_9 Depth=1
	s_or_b32 exec_lo, exec_lo, s33
.LBB193_184:                            ;   in Loop: Header=BB193_9 Depth=1
	s_or_b32 exec_lo, exec_lo, s31
.LBB193_185:                            ;   in Loop: Header=BB193_9 Depth=1
	s_or_b32 exec_lo, exec_lo, s3
	global_load_ushort v5, v[59:60], off offset:524
	v_mov_b32_e32 v99, 0
	v_mov_b32_e32 v97, 0
	;; [unrolled: 1-line block ×4, first 2 shown]
	s_waitcnt vmcnt(0)
	v_and_b32_e32 v3, 0xffff, v5
	v_cmp_ne_u16_sdwa s2, v5, v42 src0_sel:BYTE_0 src1_sel:DWORD
	s_and_saveexec_b32 s3, s2
	s_cbranch_execz .LBB193_193
; %bb.186:                              ;   in Loop: Header=BB193_9 Depth=1
	v_bfrev_b32_e32 v97, 1
	v_mov_b32_e32 v98, 0
	v_cmp_ne_u16_sdwa s2, v3, v2 src0_sel:BYTE_0 src1_sel:DWORD
	s_and_saveexec_b32 s31, s2
	s_cbranch_execz .LBB193_192
; %bb.187:                              ;   in Loop: Header=BB193_9 Depth=1
	v_mov_b32_e32 v97, 0x7f800001
	v_and_b32_e32 v5, 0x7f, v3
	v_mov_b32_e32 v98, 0
	s_mov_b32 s33, exec_lo
	v_cmpx_ne_u32_e32 0x7f, v5
	s_cbranch_execz .LBB193_191
; %bb.188:                              ;   in Loop: Header=BB193_9 Depth=1
	v_and_b32_e32 v41, 7, v3
	v_lshrrev_b32_e32 v43, 3, v5
	s_mov_b32 s34, exec_lo
	v_cmpx_gt_u32_e32 8, v5
; %bb.189:                              ;   in Loop: Header=BB193_9 Depth=1
	v_ffbh_u32_e32 v5, v41
	v_min_u32_e32 v7, 32, v5
	v_subrev_nc_u32_e32 v5, 28, v7
	v_sub_nc_u32_e32 v43, 29, v7
	v_lshlrev_b64 v[5:6], v5, v[41:42]
	v_and_b32_e32 v41, 7, v5
; %bb.190:                              ;   in Loop: Header=BB193_9 Depth=1
	s_or_b32 exec_lo, exec_lo, s34
	v_lshlrev_b32_e32 v5, 24, v3
	v_lshlrev_b32_e32 v6, 20, v41
	v_lshl_add_u32 v7, v43, 23, 0x3c000000
	v_and_b32_e32 v5, 0x80000000, v5
	v_or3_b32 v41, v6, v5, v7
	v_mov_b32_e32 v98, v42
	v_mov_b32_e32 v97, v41
.LBB193_191:                            ;   in Loop: Header=BB193_9 Depth=1
	s_or_b32 exec_lo, exec_lo, s33
.LBB193_192:                            ;   in Loop: Header=BB193_9 Depth=1
	s_or_b32 exec_lo, exec_lo, s31
.LBB193_193:                            ;   in Loop: Header=BB193_9 Depth=1
	s_or_b32 exec_lo, exec_lo, s3
	v_cmp_ne_u16_sdwa s2, v3, v42 src0_sel:BYTE_1 src1_sel:DWORD
	s_and_saveexec_b32 s3, s2
	s_cbranch_execz .LBB193_201
; %bb.194:                              ;   in Loop: Header=BB193_9 Depth=1
	v_mov_b32_e32 v126, v42
	v_cmp_ne_u16_sdwa s2, v3, v2 src0_sel:BYTE_1 src1_sel:DWORD
	v_mov_b32_e32 v99, v126
	v_mov_b32_e32 v100, v127
	s_and_saveexec_b32 s31, s2
	s_cbranch_execz .LBB193_200
; %bb.195:                              ;   in Loop: Header=BB193_9 Depth=1
	v_mov_b32_e32 v5, 0xffff
	v_mov_b32_e32 v49, v42
	;; [unrolled: 1-line block ×3, first 2 shown]
	s_mov_b32 s33, exec_lo
	v_and_b32_sdwa v5, v5, v3 dst_sel:DWORD dst_unused:UNUSED_PAD src0_sel:DWORD src1_sel:BYTE_1
	v_mov_b32_e32 v99, v49
	v_and_b32_e32 v44, 0x7f, v5
	v_cmpx_ne_u32_e32 0x7f, v44
	s_cbranch_execz .LBB193_199
; %bb.196:                              ;   in Loop: Header=BB193_9 Depth=1
	v_and_b32_e32 v41, 7, v5
	v_lshrrev_b32_e32 v43, 3, v44
	s_mov_b32 s34, exec_lo
	v_cmpx_gt_u32_e32 8, v44
; %bb.197:                              ;   in Loop: Header=BB193_9 Depth=1
	v_ffbh_u32_e32 v5, v41
	v_min_u32_e32 v7, 32, v5
	v_subrev_nc_u32_e32 v5, 28, v7
	v_sub_nc_u32_e32 v43, 29, v7
	v_lshlrev_b64 v[5:6], v5, v[41:42]
	v_and_b32_e32 v41, 7, v5
; %bb.198:                              ;   in Loop: Header=BB193_9 Depth=1
	s_or_b32 exec_lo, exec_lo, s34
	v_lshlrev_b32_e32 v3, 16, v3
	v_lshlrev_b32_e32 v5, 20, v41
	v_lshl_add_u32 v6, v43, 23, 0x3c000000
	v_mov_b32_e32 v99, v42
	v_and_b32_e32 v3, 0x80000000, v3
	v_or3_b32 v100, v5, v3, v6
.LBB193_199:                            ;   in Loop: Header=BB193_9 Depth=1
	s_or_b32 exec_lo, exec_lo, s33
.LBB193_200:                            ;   in Loop: Header=BB193_9 Depth=1
	s_or_b32 exec_lo, exec_lo, s31
.LBB193_201:                            ;   in Loop: Header=BB193_9 Depth=1
	s_or_b32 exec_lo, exec_lo, s3
	global_load_ushort v5, v[59:60], off offset:768
	v_mov_b32_e32 v103, 0
	v_mov_b32_e32 v101, 0
	;; [unrolled: 1-line block ×4, first 2 shown]
	s_waitcnt vmcnt(0)
	v_and_b32_e32 v3, 0xffff, v5
	v_cmp_ne_u16_sdwa s2, v5, v42 src0_sel:BYTE_0 src1_sel:DWORD
	s_and_saveexec_b32 s3, s2
	s_cbranch_execz .LBB193_209
; %bb.202:                              ;   in Loop: Header=BB193_9 Depth=1
	v_bfrev_b32_e32 v101, 1
	v_mov_b32_e32 v102, 0
	v_cmp_ne_u16_sdwa s2, v3, v2 src0_sel:BYTE_0 src1_sel:DWORD
	s_and_saveexec_b32 s31, s2
	s_cbranch_execz .LBB193_208
; %bb.203:                              ;   in Loop: Header=BB193_9 Depth=1
	v_mov_b32_e32 v101, 0x7f800001
	v_and_b32_e32 v5, 0x7f, v3
	v_mov_b32_e32 v102, 0
	s_mov_b32 s33, exec_lo
	v_cmpx_ne_u32_e32 0x7f, v5
	s_cbranch_execz .LBB193_207
; %bb.204:                              ;   in Loop: Header=BB193_9 Depth=1
	v_and_b32_e32 v41, 7, v3
	v_lshrrev_b32_e32 v43, 3, v5
	s_mov_b32 s34, exec_lo
	v_cmpx_gt_u32_e32 8, v5
; %bb.205:                              ;   in Loop: Header=BB193_9 Depth=1
	v_ffbh_u32_e32 v5, v41
	v_min_u32_e32 v7, 32, v5
	v_subrev_nc_u32_e32 v5, 28, v7
	v_sub_nc_u32_e32 v43, 29, v7
	v_lshlrev_b64 v[5:6], v5, v[41:42]
	v_and_b32_e32 v41, 7, v5
; %bb.206:                              ;   in Loop: Header=BB193_9 Depth=1
	s_or_b32 exec_lo, exec_lo, s34
	v_lshlrev_b32_e32 v5, 24, v3
	v_lshlrev_b32_e32 v6, 20, v41
	v_lshl_add_u32 v7, v43, 23, 0x3c000000
	v_and_b32_e32 v5, 0x80000000, v5
	v_or3_b32 v41, v6, v5, v7
	v_mov_b32_e32 v102, v42
	v_mov_b32_e32 v101, v41
.LBB193_207:                            ;   in Loop: Header=BB193_9 Depth=1
	s_or_b32 exec_lo, exec_lo, s33
.LBB193_208:                            ;   in Loop: Header=BB193_9 Depth=1
	s_or_b32 exec_lo, exec_lo, s31
.LBB193_209:                            ;   in Loop: Header=BB193_9 Depth=1
	s_or_b32 exec_lo, exec_lo, s3
	v_cmp_ne_u16_sdwa s2, v3, v42 src0_sel:BYTE_1 src1_sel:DWORD
	s_and_saveexec_b32 s3, s2
	s_cbranch_execz .LBB193_217
; %bb.210:                              ;   in Loop: Header=BB193_9 Depth=1
	v_mov_b32_e32 v126, v42
	v_cmp_ne_u16_sdwa s2, v3, v2 src0_sel:BYTE_1 src1_sel:DWORD
	v_mov_b32_e32 v103, v126
	v_mov_b32_e32 v104, v127
	s_and_saveexec_b32 s31, s2
	s_cbranch_execz .LBB193_216
; %bb.211:                              ;   in Loop: Header=BB193_9 Depth=1
	v_mov_b32_e32 v5, 0xffff
	v_mov_b32_e32 v49, v42
	;; [unrolled: 1-line block ×3, first 2 shown]
	s_mov_b32 s33, exec_lo
	v_and_b32_sdwa v5, v5, v3 dst_sel:DWORD dst_unused:UNUSED_PAD src0_sel:DWORD src1_sel:BYTE_1
	v_mov_b32_e32 v103, v49
	v_and_b32_e32 v44, 0x7f, v5
	v_cmpx_ne_u32_e32 0x7f, v44
	s_cbranch_execz .LBB193_215
; %bb.212:                              ;   in Loop: Header=BB193_9 Depth=1
	v_and_b32_e32 v41, 7, v5
	v_lshrrev_b32_e32 v43, 3, v44
	s_mov_b32 s34, exec_lo
	v_cmpx_gt_u32_e32 8, v44
; %bb.213:                              ;   in Loop: Header=BB193_9 Depth=1
	v_ffbh_u32_e32 v5, v41
	v_min_u32_e32 v7, 32, v5
	v_subrev_nc_u32_e32 v5, 28, v7
	v_sub_nc_u32_e32 v43, 29, v7
	v_lshlrev_b64 v[5:6], v5, v[41:42]
	v_and_b32_e32 v41, 7, v5
; %bb.214:                              ;   in Loop: Header=BB193_9 Depth=1
	s_or_b32 exec_lo, exec_lo, s34
	v_lshlrev_b32_e32 v3, 16, v3
	v_lshlrev_b32_e32 v5, 20, v41
	v_lshl_add_u32 v6, v43, 23, 0x3c000000
	v_mov_b32_e32 v103, v42
	v_and_b32_e32 v3, 0x80000000, v3
	v_or3_b32 v104, v5, v3, v6
.LBB193_215:                            ;   in Loop: Header=BB193_9 Depth=1
	s_or_b32 exec_lo, exec_lo, s33
.LBB193_216:                            ;   in Loop: Header=BB193_9 Depth=1
	s_or_b32 exec_lo, exec_lo, s31
.LBB193_217:                            ;   in Loop: Header=BB193_9 Depth=1
	s_or_b32 exec_lo, exec_lo, s3
	global_load_ushort v5, v[59:60], off offset:772
	v_mov_b32_e32 v107, 0
	v_mov_b32_e32 v105, 0
	;; [unrolled: 1-line block ×4, first 2 shown]
	s_waitcnt vmcnt(0)
	v_and_b32_e32 v3, 0xffff, v5
	v_cmp_ne_u16_sdwa s2, v5, v42 src0_sel:BYTE_0 src1_sel:DWORD
	s_and_saveexec_b32 s3, s2
	s_cbranch_execz .LBB193_225
; %bb.218:                              ;   in Loop: Header=BB193_9 Depth=1
	v_bfrev_b32_e32 v105, 1
	v_mov_b32_e32 v106, 0
	v_cmp_ne_u16_sdwa s2, v3, v2 src0_sel:BYTE_0 src1_sel:DWORD
	s_and_saveexec_b32 s31, s2
	s_cbranch_execz .LBB193_224
; %bb.219:                              ;   in Loop: Header=BB193_9 Depth=1
	v_mov_b32_e32 v105, 0x7f800001
	v_and_b32_e32 v5, 0x7f, v3
	v_mov_b32_e32 v106, 0
	s_mov_b32 s33, exec_lo
	v_cmpx_ne_u32_e32 0x7f, v5
	s_cbranch_execz .LBB193_223
; %bb.220:                              ;   in Loop: Header=BB193_9 Depth=1
	v_and_b32_e32 v41, 7, v3
	v_lshrrev_b32_e32 v43, 3, v5
	s_mov_b32 s34, exec_lo
	v_cmpx_gt_u32_e32 8, v5
; %bb.221:                              ;   in Loop: Header=BB193_9 Depth=1
	v_ffbh_u32_e32 v5, v41
	v_min_u32_e32 v7, 32, v5
	v_subrev_nc_u32_e32 v5, 28, v7
	v_sub_nc_u32_e32 v43, 29, v7
	v_lshlrev_b64 v[5:6], v5, v[41:42]
	v_and_b32_e32 v41, 7, v5
; %bb.222:                              ;   in Loop: Header=BB193_9 Depth=1
	s_or_b32 exec_lo, exec_lo, s34
	v_lshlrev_b32_e32 v5, 24, v3
	v_lshlrev_b32_e32 v6, 20, v41
	v_lshl_add_u32 v7, v43, 23, 0x3c000000
	v_and_b32_e32 v5, 0x80000000, v5
	v_or3_b32 v41, v6, v5, v7
	v_mov_b32_e32 v106, v42
	v_mov_b32_e32 v105, v41
.LBB193_223:                            ;   in Loop: Header=BB193_9 Depth=1
	s_or_b32 exec_lo, exec_lo, s33
.LBB193_224:                            ;   in Loop: Header=BB193_9 Depth=1
	s_or_b32 exec_lo, exec_lo, s31
.LBB193_225:                            ;   in Loop: Header=BB193_9 Depth=1
	s_or_b32 exec_lo, exec_lo, s3
	v_cmp_ne_u16_sdwa s2, v3, v42 src0_sel:BYTE_1 src1_sel:DWORD
	s_and_saveexec_b32 s3, s2
	s_cbranch_execz .LBB193_233
; %bb.226:                              ;   in Loop: Header=BB193_9 Depth=1
	v_mov_b32_e32 v126, v42
	v_cmp_ne_u16_sdwa s2, v3, v2 src0_sel:BYTE_1 src1_sel:DWORD
	v_mov_b32_e32 v107, v126
	v_mov_b32_e32 v108, v127
	s_and_saveexec_b32 s31, s2
	s_cbranch_execz .LBB193_232
; %bb.227:                              ;   in Loop: Header=BB193_9 Depth=1
	v_mov_b32_e32 v5, 0xffff
	v_mov_b32_e32 v49, v42
	;; [unrolled: 1-line block ×3, first 2 shown]
	s_mov_b32 s33, exec_lo
	v_and_b32_sdwa v5, v5, v3 dst_sel:DWORD dst_unused:UNUSED_PAD src0_sel:DWORD src1_sel:BYTE_1
	v_mov_b32_e32 v107, v49
	v_and_b32_e32 v44, 0x7f, v5
	v_cmpx_ne_u32_e32 0x7f, v44
	s_cbranch_execz .LBB193_231
; %bb.228:                              ;   in Loop: Header=BB193_9 Depth=1
	v_and_b32_e32 v41, 7, v5
	v_lshrrev_b32_e32 v43, 3, v44
	s_mov_b32 s34, exec_lo
	v_cmpx_gt_u32_e32 8, v44
; %bb.229:                              ;   in Loop: Header=BB193_9 Depth=1
	v_ffbh_u32_e32 v5, v41
	v_min_u32_e32 v7, 32, v5
	v_subrev_nc_u32_e32 v5, 28, v7
	v_sub_nc_u32_e32 v43, 29, v7
	v_lshlrev_b64 v[5:6], v5, v[41:42]
	v_and_b32_e32 v41, 7, v5
; %bb.230:                              ;   in Loop: Header=BB193_9 Depth=1
	s_or_b32 exec_lo, exec_lo, s34
	v_lshlrev_b32_e32 v3, 16, v3
	v_lshlrev_b32_e32 v5, 20, v41
	v_lshl_add_u32 v6, v43, 23, 0x3c000000
	v_mov_b32_e32 v107, v42
	v_and_b32_e32 v3, 0x80000000, v3
	v_or3_b32 v108, v5, v3, v6
.LBB193_231:                            ;   in Loop: Header=BB193_9 Depth=1
	s_or_b32 exec_lo, exec_lo, s33
.LBB193_232:                            ;   in Loop: Header=BB193_9 Depth=1
	s_or_b32 exec_lo, exec_lo, s31
.LBB193_233:                            ;   in Loop: Header=BB193_9 Depth=1
	s_or_b32 exec_lo, exec_lo, s3
	global_load_ushort v5, v[59:60], off offset:776
	v_mov_b32_e32 v111, 0
	v_mov_b32_e32 v109, 0
	;; [unrolled: 1-line block ×4, first 2 shown]
	s_waitcnt vmcnt(0)
	v_and_b32_e32 v3, 0xffff, v5
	v_cmp_ne_u16_sdwa s2, v5, v42 src0_sel:BYTE_0 src1_sel:DWORD
	s_and_saveexec_b32 s3, s2
	s_cbranch_execz .LBB193_241
; %bb.234:                              ;   in Loop: Header=BB193_9 Depth=1
	v_bfrev_b32_e32 v109, 1
	v_mov_b32_e32 v110, 0
	v_cmp_ne_u16_sdwa s2, v3, v2 src0_sel:BYTE_0 src1_sel:DWORD
	s_and_saveexec_b32 s31, s2
	s_cbranch_execz .LBB193_240
; %bb.235:                              ;   in Loop: Header=BB193_9 Depth=1
	v_mov_b32_e32 v109, 0x7f800001
	v_and_b32_e32 v5, 0x7f, v3
	v_mov_b32_e32 v110, 0
	s_mov_b32 s33, exec_lo
	v_cmpx_ne_u32_e32 0x7f, v5
	s_cbranch_execz .LBB193_239
; %bb.236:                              ;   in Loop: Header=BB193_9 Depth=1
	v_and_b32_e32 v41, 7, v3
	v_lshrrev_b32_e32 v43, 3, v5
	s_mov_b32 s34, exec_lo
	v_cmpx_gt_u32_e32 8, v5
; %bb.237:                              ;   in Loop: Header=BB193_9 Depth=1
	v_ffbh_u32_e32 v5, v41
	v_min_u32_e32 v7, 32, v5
	v_subrev_nc_u32_e32 v5, 28, v7
	v_sub_nc_u32_e32 v43, 29, v7
	v_lshlrev_b64 v[5:6], v5, v[41:42]
	v_and_b32_e32 v41, 7, v5
; %bb.238:                              ;   in Loop: Header=BB193_9 Depth=1
	s_or_b32 exec_lo, exec_lo, s34
	v_lshlrev_b32_e32 v5, 24, v3
	v_lshlrev_b32_e32 v6, 20, v41
	v_lshl_add_u32 v7, v43, 23, 0x3c000000
	v_and_b32_e32 v5, 0x80000000, v5
	v_or3_b32 v41, v6, v5, v7
	v_mov_b32_e32 v110, v42
	v_mov_b32_e32 v109, v41
.LBB193_239:                            ;   in Loop: Header=BB193_9 Depth=1
	s_or_b32 exec_lo, exec_lo, s33
.LBB193_240:                            ;   in Loop: Header=BB193_9 Depth=1
	s_or_b32 exec_lo, exec_lo, s31
.LBB193_241:                            ;   in Loop: Header=BB193_9 Depth=1
	s_or_b32 exec_lo, exec_lo, s3
	v_cmp_ne_u16_sdwa s2, v3, v42 src0_sel:BYTE_1 src1_sel:DWORD
	s_and_saveexec_b32 s3, s2
	s_cbranch_execz .LBB193_249
; %bb.242:                              ;   in Loop: Header=BB193_9 Depth=1
	v_mov_b32_e32 v126, v42
	v_cmp_ne_u16_sdwa s2, v3, v2 src0_sel:BYTE_1 src1_sel:DWORD
	v_mov_b32_e32 v111, v126
	v_mov_b32_e32 v112, v127
	s_and_saveexec_b32 s31, s2
	s_cbranch_execz .LBB193_248
; %bb.243:                              ;   in Loop: Header=BB193_9 Depth=1
	v_mov_b32_e32 v5, 0xffff
	v_mov_b32_e32 v49, v42
	;; [unrolled: 1-line block ×3, first 2 shown]
	s_mov_b32 s33, exec_lo
	v_and_b32_sdwa v5, v5, v3 dst_sel:DWORD dst_unused:UNUSED_PAD src0_sel:DWORD src1_sel:BYTE_1
	v_mov_b32_e32 v111, v49
	v_and_b32_e32 v44, 0x7f, v5
	v_cmpx_ne_u32_e32 0x7f, v44
	s_cbranch_execz .LBB193_247
; %bb.244:                              ;   in Loop: Header=BB193_9 Depth=1
	v_and_b32_e32 v41, 7, v5
	v_lshrrev_b32_e32 v43, 3, v44
	s_mov_b32 s34, exec_lo
	v_cmpx_gt_u32_e32 8, v44
; %bb.245:                              ;   in Loop: Header=BB193_9 Depth=1
	v_ffbh_u32_e32 v5, v41
	v_min_u32_e32 v7, 32, v5
	v_subrev_nc_u32_e32 v5, 28, v7
	v_sub_nc_u32_e32 v43, 29, v7
	v_lshlrev_b64 v[5:6], v5, v[41:42]
	v_and_b32_e32 v41, 7, v5
; %bb.246:                              ;   in Loop: Header=BB193_9 Depth=1
	s_or_b32 exec_lo, exec_lo, s34
	v_lshlrev_b32_e32 v3, 16, v3
	v_lshlrev_b32_e32 v5, 20, v41
	v_lshl_add_u32 v6, v43, 23, 0x3c000000
	v_mov_b32_e32 v111, v42
	v_and_b32_e32 v3, 0x80000000, v3
	v_or3_b32 v112, v5, v3, v6
.LBB193_247:                            ;   in Loop: Header=BB193_9 Depth=1
	s_or_b32 exec_lo, exec_lo, s33
.LBB193_248:                            ;   in Loop: Header=BB193_9 Depth=1
	s_or_b32 exec_lo, exec_lo, s31
.LBB193_249:                            ;   in Loop: Header=BB193_9 Depth=1
	s_or_b32 exec_lo, exec_lo, s3
	global_load_ushort v5, v[59:60], off offset:780
	v_mov_b32_e32 v115, 0
	v_mov_b32_e32 v113, 0
	;; [unrolled: 1-line block ×4, first 2 shown]
	s_waitcnt vmcnt(0)
	v_and_b32_e32 v3, 0xffff, v5
	v_cmp_ne_u16_sdwa s2, v5, v42 src0_sel:BYTE_0 src1_sel:DWORD
	s_and_saveexec_b32 s3, s2
	s_cbranch_execz .LBB193_257
; %bb.250:                              ;   in Loop: Header=BB193_9 Depth=1
	v_bfrev_b32_e32 v113, 1
	v_mov_b32_e32 v114, 0
	v_cmp_ne_u16_sdwa s2, v3, v2 src0_sel:BYTE_0 src1_sel:DWORD
	s_and_saveexec_b32 s31, s2
	s_cbranch_execz .LBB193_256
; %bb.251:                              ;   in Loop: Header=BB193_9 Depth=1
	v_mov_b32_e32 v113, 0x7f800001
	v_and_b32_e32 v5, 0x7f, v3
	v_mov_b32_e32 v114, 0
	s_mov_b32 s33, exec_lo
	v_cmpx_ne_u32_e32 0x7f, v5
	s_cbranch_execz .LBB193_255
; %bb.252:                              ;   in Loop: Header=BB193_9 Depth=1
	v_and_b32_e32 v41, 7, v3
	v_lshrrev_b32_e32 v43, 3, v5
	s_mov_b32 s34, exec_lo
	v_cmpx_gt_u32_e32 8, v5
; %bb.253:                              ;   in Loop: Header=BB193_9 Depth=1
	v_ffbh_u32_e32 v5, v41
	v_min_u32_e32 v7, 32, v5
	v_subrev_nc_u32_e32 v5, 28, v7
	v_sub_nc_u32_e32 v43, 29, v7
	v_lshlrev_b64 v[5:6], v5, v[41:42]
	v_and_b32_e32 v41, 7, v5
; %bb.254:                              ;   in Loop: Header=BB193_9 Depth=1
	s_or_b32 exec_lo, exec_lo, s34
	v_lshlrev_b32_e32 v5, 24, v3
	v_lshlrev_b32_e32 v6, 20, v41
	v_lshl_add_u32 v7, v43, 23, 0x3c000000
	v_and_b32_e32 v5, 0x80000000, v5
	v_or3_b32 v41, v6, v5, v7
	v_mov_b32_e32 v114, v42
	v_mov_b32_e32 v113, v41
.LBB193_255:                            ;   in Loop: Header=BB193_9 Depth=1
	s_or_b32 exec_lo, exec_lo, s33
.LBB193_256:                            ;   in Loop: Header=BB193_9 Depth=1
	s_or_b32 exec_lo, exec_lo, s31
.LBB193_257:                            ;   in Loop: Header=BB193_9 Depth=1
	s_or_b32 exec_lo, exec_lo, s3
	v_cmp_ne_u16_sdwa s2, v3, v42 src0_sel:BYTE_1 src1_sel:DWORD
	s_and_saveexec_b32 s3, s2
	s_cbranch_execz .LBB193_265
; %bb.258:                              ;   in Loop: Header=BB193_9 Depth=1
	v_mov_b32_e32 v126, v42
	v_cmp_ne_u16_sdwa s2, v3, v2 src0_sel:BYTE_1 src1_sel:DWORD
	v_mov_b32_e32 v115, v126
	v_mov_b32_e32 v116, v127
	s_and_saveexec_b32 s31, s2
	s_cbranch_execz .LBB193_264
; %bb.259:                              ;   in Loop: Header=BB193_9 Depth=1
	v_mov_b32_e32 v5, 0xffff
	v_mov_b32_e32 v49, v42
	;; [unrolled: 1-line block ×3, first 2 shown]
	s_mov_b32 s33, exec_lo
	v_and_b32_sdwa v5, v5, v3 dst_sel:DWORD dst_unused:UNUSED_PAD src0_sel:DWORD src1_sel:BYTE_1
	v_mov_b32_e32 v115, v49
	v_and_b32_e32 v44, 0x7f, v5
	v_cmpx_ne_u32_e32 0x7f, v44
	s_cbranch_execz .LBB193_263
; %bb.260:                              ;   in Loop: Header=BB193_9 Depth=1
	v_and_b32_e32 v41, 7, v5
	v_lshrrev_b32_e32 v43, 3, v44
	s_mov_b32 s34, exec_lo
	v_cmpx_gt_u32_e32 8, v44
; %bb.261:                              ;   in Loop: Header=BB193_9 Depth=1
	v_ffbh_u32_e32 v5, v41
	v_min_u32_e32 v7, 32, v5
	v_subrev_nc_u32_e32 v5, 28, v7
	v_sub_nc_u32_e32 v43, 29, v7
	v_lshlrev_b64 v[5:6], v5, v[41:42]
	v_and_b32_e32 v41, 7, v5
; %bb.262:                              ;   in Loop: Header=BB193_9 Depth=1
	s_or_b32 exec_lo, exec_lo, s34
	v_lshlrev_b32_e32 v3, 16, v3
	v_lshlrev_b32_e32 v5, 20, v41
	v_lshl_add_u32 v6, v43, 23, 0x3c000000
	v_mov_b32_e32 v115, v42
	v_and_b32_e32 v3, 0x80000000, v3
	v_or3_b32 v116, v5, v3, v6
.LBB193_263:                            ;   in Loop: Header=BB193_9 Depth=1
	s_or_b32 exec_lo, exec_lo, s33
.LBB193_264:                            ;   in Loop: Header=BB193_9 Depth=1
	s_or_b32 exec_lo, exec_lo, s31
.LBB193_265:                            ;   in Loop: Header=BB193_9 Depth=1
	s_or_b32 exec_lo, exec_lo, s3
	global_load_ushort v3, v[59:60], off offset:1024
	v_mov_b32_e32 v119, 0
	v_mov_b32_e32 v117, 0
	v_mov_b32_e32 v120, 0
	v_mov_b32_e32 v118, 0
	s_waitcnt vmcnt(0)
	v_and_b32_e32 v43, 0xffff, v3
	v_cmp_ne_u16_sdwa s2, v3, v42 src0_sel:BYTE_0 src1_sel:DWORD
	s_and_saveexec_b32 s3, s2
	s_cbranch_execz .LBB193_273
; %bb.266:                              ;   in Loop: Header=BB193_9 Depth=1
	v_bfrev_b32_e32 v117, 1
	v_mov_b32_e32 v118, 0
	v_cmp_ne_u16_sdwa s2, v43, v2 src0_sel:BYTE_0 src1_sel:DWORD
	s_and_saveexec_b32 s31, s2
	s_cbranch_execz .LBB193_272
; %bb.267:                              ;   in Loop: Header=BB193_9 Depth=1
	v_mov_b32_e32 v117, 0x7f800001
	v_and_b32_e32 v5, 0x7f, v43
	v_mov_b32_e32 v118, 0
	s_mov_b32 s33, exec_lo
	v_cmpx_ne_u32_e32 0x7f, v5
	s_cbranch_execz .LBB193_271
; %bb.268:                              ;   in Loop: Header=BB193_9 Depth=1
	v_and_b32_e32 v41, 7, v43
	v_lshrrev_b32_e32 v3, 3, v5
	s_mov_b32 s34, exec_lo
	v_cmpx_gt_u32_e32 8, v5
; %bb.269:                              ;   in Loop: Header=BB193_9 Depth=1
	v_ffbh_u32_e32 v3, v41
	v_min_u32_e32 v3, 32, v3
	v_subrev_nc_u32_e32 v5, 28, v3
	v_sub_nc_u32_e32 v3, 29, v3
	v_lshlrev_b64 v[5:6], v5, v[41:42]
	v_and_b32_e32 v41, 7, v5
; %bb.270:                              ;   in Loop: Header=BB193_9 Depth=1
	s_or_b32 exec_lo, exec_lo, s34
	v_lshlrev_b32_e32 v5, 24, v43
	v_lshlrev_b32_e32 v6, 20, v41
	v_lshl_add_u32 v3, v3, 23, 0x3c000000
	v_and_b32_e32 v5, 0x80000000, v5
	v_or3_b32 v41, v6, v5, v3
	v_mov_b32_e32 v118, v42
	v_mov_b32_e32 v117, v41
.LBB193_271:                            ;   in Loop: Header=BB193_9 Depth=1
	s_or_b32 exec_lo, exec_lo, s33
.LBB193_272:                            ;   in Loop: Header=BB193_9 Depth=1
	s_or_b32 exec_lo, exec_lo, s31
.LBB193_273:                            ;   in Loop: Header=BB193_9 Depth=1
	s_or_b32 exec_lo, exec_lo, s3
	v_cmp_ne_u16_sdwa s2, v43, v42 src0_sel:BYTE_1 src1_sel:DWORD
	s_and_saveexec_b32 s3, s2
	s_cbranch_execz .LBB193_281
; %bb.274:                              ;   in Loop: Header=BB193_9 Depth=1
	v_mov_b32_e32 v126, v42
	v_cmp_ne_u16_sdwa s2, v43, v2 src0_sel:BYTE_1 src1_sel:DWORD
	v_mov_b32_e32 v119, v126
	v_mov_b32_e32 v120, v127
	s_and_saveexec_b32 s31, s2
	s_cbranch_execz .LBB193_280
; %bb.275:                              ;   in Loop: Header=BB193_9 Depth=1
	v_mov_b32_e32 v3, 0xffff
	v_mov_b32_e32 v49, v42
	v_mov_b32_e32 v120, v50
	s_mov_b32 s33, exec_lo
	v_and_b32_sdwa v3, v3, v43 dst_sel:DWORD dst_unused:UNUSED_PAD src0_sel:DWORD src1_sel:BYTE_1
	v_mov_b32_e32 v119, v49
	v_and_b32_e32 v44, 0x7f, v3
	v_cmpx_ne_u32_e32 0x7f, v44
	s_cbranch_execz .LBB193_279
; %bb.276:                              ;   in Loop: Header=BB193_9 Depth=1
	v_and_b32_e32 v41, 7, v3
	v_lshrrev_b32_e32 v3, 3, v44
	s_mov_b32 s34, exec_lo
	v_cmpx_gt_u32_e32 8, v44
; %bb.277:                              ;   in Loop: Header=BB193_9 Depth=1
	v_ffbh_u32_e32 v3, v41
	v_min_u32_e32 v3, 32, v3
	v_subrev_nc_u32_e32 v5, 28, v3
	v_sub_nc_u32_e32 v3, 29, v3
	v_lshlrev_b64 v[5:6], v5, v[41:42]
	v_and_b32_e32 v41, 7, v5
; %bb.278:                              ;   in Loop: Header=BB193_9 Depth=1
	s_or_b32 exec_lo, exec_lo, s34
	v_lshlrev_b32_e32 v5, 16, v43
	v_lshlrev_b32_e32 v6, 20, v41
	v_lshl_add_u32 v3, v3, 23, 0x3c000000
	v_mov_b32_e32 v119, v42
	v_and_b32_e32 v5, 0x80000000, v5
	v_or3_b32 v120, v6, v5, v3
.LBB193_279:                            ;   in Loop: Header=BB193_9 Depth=1
	s_or_b32 exec_lo, exec_lo, s33
.LBB193_280:                            ;   in Loop: Header=BB193_9 Depth=1
	s_or_b32 exec_lo, exec_lo, s31
.LBB193_281:                            ;   in Loop: Header=BB193_9 Depth=1
	s_or_b32 exec_lo, exec_lo, s3
	global_load_ushort v3, v[59:60], off offset:1028
	v_mov_b32_e32 v123, 0
	v_mov_b32_e32 v121, 0
	;; [unrolled: 1-line block ×4, first 2 shown]
	s_waitcnt vmcnt(0)
	v_and_b32_e32 v43, 0xffff, v3
	v_cmp_ne_u16_sdwa s2, v3, v42 src0_sel:BYTE_0 src1_sel:DWORD
	s_and_saveexec_b32 s3, s2
	s_cbranch_execz .LBB193_289
; %bb.282:                              ;   in Loop: Header=BB193_9 Depth=1
	v_bfrev_b32_e32 v121, 1
	v_mov_b32_e32 v122, 0
	v_cmp_ne_u16_sdwa s2, v43, v2 src0_sel:BYTE_0 src1_sel:DWORD
	s_and_saveexec_b32 s31, s2
	s_cbranch_execz .LBB193_288
; %bb.283:                              ;   in Loop: Header=BB193_9 Depth=1
	v_mov_b32_e32 v121, 0x7f800001
	v_and_b32_e32 v5, 0x7f, v43
	v_mov_b32_e32 v122, 0
	s_mov_b32 s33, exec_lo
	v_cmpx_ne_u32_e32 0x7f, v5
	s_cbranch_execz .LBB193_287
; %bb.284:                              ;   in Loop: Header=BB193_9 Depth=1
	v_and_b32_e32 v41, 7, v43
	v_lshrrev_b32_e32 v3, 3, v5
	s_mov_b32 s34, exec_lo
	v_cmpx_gt_u32_e32 8, v5
; %bb.285:                              ;   in Loop: Header=BB193_9 Depth=1
	v_ffbh_u32_e32 v3, v41
	v_min_u32_e32 v3, 32, v3
	v_subrev_nc_u32_e32 v5, 28, v3
	v_sub_nc_u32_e32 v3, 29, v3
	v_lshlrev_b64 v[5:6], v5, v[41:42]
	v_and_b32_e32 v41, 7, v5
; %bb.286:                              ;   in Loop: Header=BB193_9 Depth=1
	s_or_b32 exec_lo, exec_lo, s34
	v_lshlrev_b32_e32 v5, 24, v43
	v_lshlrev_b32_e32 v6, 20, v41
	v_lshl_add_u32 v3, v3, 23, 0x3c000000
	v_and_b32_e32 v5, 0x80000000, v5
	v_or3_b32 v41, v6, v5, v3
	v_mov_b32_e32 v122, v42
	v_mov_b32_e32 v121, v41
.LBB193_287:                            ;   in Loop: Header=BB193_9 Depth=1
	s_or_b32 exec_lo, exec_lo, s33
.LBB193_288:                            ;   in Loop: Header=BB193_9 Depth=1
	s_or_b32 exec_lo, exec_lo, s31
.LBB193_289:                            ;   in Loop: Header=BB193_9 Depth=1
	s_or_b32 exec_lo, exec_lo, s3
	v_cmp_ne_u16_sdwa s2, v43, v42 src0_sel:BYTE_1 src1_sel:DWORD
	s_and_saveexec_b32 s3, s2
	s_cbranch_execz .LBB193_297
; %bb.290:                              ;   in Loop: Header=BB193_9 Depth=1
	v_mov_b32_e32 v126, v42
	v_cmp_ne_u16_sdwa s2, v43, v2 src0_sel:BYTE_1 src1_sel:DWORD
	v_mov_b32_e32 v123, v126
	v_mov_b32_e32 v124, v127
	s_and_saveexec_b32 s31, s2
	s_cbranch_execz .LBB193_296
; %bb.291:                              ;   in Loop: Header=BB193_9 Depth=1
	v_mov_b32_e32 v3, 0xffff
	v_mov_b32_e32 v49, v42
	;; [unrolled: 1-line block ×3, first 2 shown]
	s_mov_b32 s33, exec_lo
	v_and_b32_sdwa v3, v3, v43 dst_sel:DWORD dst_unused:UNUSED_PAD src0_sel:DWORD src1_sel:BYTE_1
	v_mov_b32_e32 v123, v49
	v_and_b32_e32 v44, 0x7f, v3
	v_cmpx_ne_u32_e32 0x7f, v44
	s_cbranch_execz .LBB193_295
; %bb.292:                              ;   in Loop: Header=BB193_9 Depth=1
	v_and_b32_e32 v41, 7, v3
	v_lshrrev_b32_e32 v3, 3, v44
	s_mov_b32 s34, exec_lo
	v_cmpx_gt_u32_e32 8, v44
; %bb.293:                              ;   in Loop: Header=BB193_9 Depth=1
	v_ffbh_u32_e32 v3, v41
	v_min_u32_e32 v3, 32, v3
	v_subrev_nc_u32_e32 v5, 28, v3
	v_sub_nc_u32_e32 v3, 29, v3
	v_lshlrev_b64 v[5:6], v5, v[41:42]
	v_and_b32_e32 v41, 7, v5
; %bb.294:                              ;   in Loop: Header=BB193_9 Depth=1
	s_or_b32 exec_lo, exec_lo, s34
	v_lshlrev_b32_e32 v5, 16, v43
	v_lshlrev_b32_e32 v6, 20, v41
	v_lshl_add_u32 v3, v3, 23, 0x3c000000
	v_mov_b32_e32 v123, v42
	v_and_b32_e32 v5, 0x80000000, v5
	v_or3_b32 v124, v6, v5, v3
.LBB193_295:                            ;   in Loop: Header=BB193_9 Depth=1
	s_or_b32 exec_lo, exec_lo, s33
.LBB193_296:                            ;   in Loop: Header=BB193_9 Depth=1
	s_or_b32 exec_lo, exec_lo, s31
.LBB193_297:                            ;   in Loop: Header=BB193_9 Depth=1
	s_or_b32 exec_lo, exec_lo, s3
	global_load_ushort v3, v[59:60], off offset:1032
	v_mov_b32_e32 v47, 0
	v_mov_b32_e32 v43, 0
	;; [unrolled: 1-line block ×4, first 2 shown]
	s_waitcnt vmcnt(0)
	v_and_b32_e32 v125, 0xffff, v3
	v_cmp_ne_u16_sdwa s2, v3, v42 src0_sel:BYTE_0 src1_sel:DWORD
	s_and_saveexec_b32 s3, s2
	s_cbranch_execz .LBB193_305
; %bb.298:                              ;   in Loop: Header=BB193_9 Depth=1
	v_bfrev_b32_e32 v43, 1
	v_mov_b32_e32 v44, 0
	v_cmp_ne_u16_sdwa s2, v125, v2 src0_sel:BYTE_0 src1_sel:DWORD
	s_and_saveexec_b32 s31, s2
	s_cbranch_execz .LBB193_304
; %bb.299:                              ;   in Loop: Header=BB193_9 Depth=1
	v_mov_b32_e32 v43, 0x7f800001
	v_and_b32_e32 v5, 0x7f, v125
	v_mov_b32_e32 v44, 0
	s_mov_b32 s33, exec_lo
	v_cmpx_ne_u32_e32 0x7f, v5
	s_cbranch_execz .LBB193_303
; %bb.300:                              ;   in Loop: Header=BB193_9 Depth=1
	v_and_b32_e32 v41, 7, v125
	v_lshrrev_b32_e32 v3, 3, v5
	s_mov_b32 s34, exec_lo
	v_cmpx_gt_u32_e32 8, v5
; %bb.301:                              ;   in Loop: Header=BB193_9 Depth=1
	v_ffbh_u32_e32 v3, v41
	v_min_u32_e32 v3, 32, v3
	v_subrev_nc_u32_e32 v5, 28, v3
	v_sub_nc_u32_e32 v3, 29, v3
	v_lshlrev_b64 v[5:6], v5, v[41:42]
	v_and_b32_e32 v41, 7, v5
; %bb.302:                              ;   in Loop: Header=BB193_9 Depth=1
	s_or_b32 exec_lo, exec_lo, s34
	v_lshlrev_b32_e32 v5, 24, v125
	v_lshlrev_b32_e32 v6, 20, v41
	v_lshl_add_u32 v3, v3, 23, 0x3c000000
	v_and_b32_e32 v5, 0x80000000, v5
	v_or3_b32 v41, v6, v5, v3
	v_mov_b32_e32 v44, v42
	v_mov_b32_e32 v43, v41
.LBB193_303:                            ;   in Loop: Header=BB193_9 Depth=1
	s_or_b32 exec_lo, exec_lo, s33
.LBB193_304:                            ;   in Loop: Header=BB193_9 Depth=1
	s_or_b32 exec_lo, exec_lo, s31
.LBB193_305:                            ;   in Loop: Header=BB193_9 Depth=1
	s_or_b32 exec_lo, exec_lo, s3
	v_cmp_ne_u16_sdwa s2, v125, v42 src0_sel:BYTE_1 src1_sel:DWORD
	s_and_saveexec_b32 s3, s2
	s_cbranch_execz .LBB193_313
; %bb.306:                              ;   in Loop: Header=BB193_9 Depth=1
	v_mov_b32_e32 v126, v42
	v_cmp_ne_u16_sdwa s2, v125, v2 src0_sel:BYTE_1 src1_sel:DWORD
	v_mov_b32_e32 v47, v126
	v_mov_b32_e32 v48, v127
	s_and_saveexec_b32 s31, s2
	s_cbranch_execz .LBB193_312
; %bb.307:                              ;   in Loop: Header=BB193_9 Depth=1
	v_mov_b32_e32 v3, 0xffff
	v_mov_b32_e32 v49, v42
	s_mov_b32 s33, exec_lo
	v_and_b32_sdwa v3, v3, v125 dst_sel:DWORD dst_unused:UNUSED_PAD src0_sel:DWORD src1_sel:BYTE_1
	v_mov_b32_e32 v47, v49
	v_mov_b32_e32 v48, v50
	v_and_b32_e32 v126, 0x7f, v3
	v_cmpx_ne_u32_e32 0x7f, v126
	s_cbranch_execz .LBB193_311
; %bb.308:                              ;   in Loop: Header=BB193_9 Depth=1
	v_and_b32_e32 v41, 7, v3
	v_lshrrev_b32_e32 v3, 3, v126
	s_mov_b32 s34, exec_lo
	v_cmpx_gt_u32_e32 8, v126
; %bb.309:                              ;   in Loop: Header=BB193_9 Depth=1
	v_ffbh_u32_e32 v3, v41
	v_min_u32_e32 v3, 32, v3
	v_subrev_nc_u32_e32 v5, 28, v3
	v_sub_nc_u32_e32 v3, 29, v3
	v_lshlrev_b64 v[5:6], v5, v[41:42]
	v_and_b32_e32 v41, 7, v5
; %bb.310:                              ;   in Loop: Header=BB193_9 Depth=1
	s_or_b32 exec_lo, exec_lo, s34
	v_lshlrev_b32_e32 v5, 16, v125
	v_lshlrev_b32_e32 v6, 20, v41
	v_lshl_add_u32 v3, v3, 23, 0x3c000000
	v_mov_b32_e32 v47, v42
	v_and_b32_e32 v5, 0x80000000, v5
	v_or3_b32 v48, v6, v5, v3
.LBB193_311:                            ;   in Loop: Header=BB193_9 Depth=1
	s_or_b32 exec_lo, exec_lo, s33
.LBB193_312:                            ;   in Loop: Header=BB193_9 Depth=1
	s_or_b32 exec_lo, exec_lo, s31
.LBB193_313:                            ;   in Loop: Header=BB193_9 Depth=1
	s_or_b32 exec_lo, exec_lo, s3
	global_load_ushort v5, v[59:60], off offset:1036
	v_mov_b32_e32 v125, 0
	v_mov_b32_e32 v59, 0
	;; [unrolled: 1-line block ×4, first 2 shown]
	s_waitcnt vmcnt(0)
	v_and_b32_e32 v3, 0xffff, v5
	v_cmp_ne_u16_sdwa s2, v5, v42 src0_sel:BYTE_0 src1_sel:DWORD
	s_and_saveexec_b32 s3, s2
	s_cbranch_execz .LBB193_321
; %bb.314:                              ;   in Loop: Header=BB193_9 Depth=1
	v_bfrev_b32_e32 v59, 1
	v_mov_b32_e32 v60, 0
	v_cmp_ne_u16_sdwa s2, v3, v2 src0_sel:BYTE_0 src1_sel:DWORD
	s_and_saveexec_b32 s31, s2
	s_cbranch_execz .LBB193_320
; %bb.315:                              ;   in Loop: Header=BB193_9 Depth=1
	v_mov_b32_e32 v59, 0x7f800001
	v_and_b32_e32 v5, 0x7f, v3
	v_mov_b32_e32 v60, 0
	s_mov_b32 s33, exec_lo
	v_cmpx_ne_u32_e32 0x7f, v5
	s_cbranch_execz .LBB193_319
; %bb.316:                              ;   in Loop: Header=BB193_9 Depth=1
	v_and_b32_e32 v41, 7, v3
	v_lshrrev_b32_e32 v49, 3, v5
	s_mov_b32 s34, exec_lo
	v_cmpx_gt_u32_e32 8, v5
; %bb.317:                              ;   in Loop: Header=BB193_9 Depth=1
	v_ffbh_u32_e32 v5, v41
	v_min_u32_e32 v7, 32, v5
	v_subrev_nc_u32_e32 v5, 28, v7
	v_sub_nc_u32_e32 v49, 29, v7
	v_lshlrev_b64 v[5:6], v5, v[41:42]
	v_and_b32_e32 v41, 7, v5
; %bb.318:                              ;   in Loop: Header=BB193_9 Depth=1
	s_or_b32 exec_lo, exec_lo, s34
	v_lshlrev_b32_e32 v5, 24, v3
	v_lshlrev_b32_e32 v6, 20, v41
	v_lshl_add_u32 v7, v49, 23, 0x3c000000
	v_and_b32_e32 v5, 0x80000000, v5
	v_or3_b32 v41, v6, v5, v7
	v_mov_b32_e32 v60, v42
	v_mov_b32_e32 v59, v41
.LBB193_319:                            ;   in Loop: Header=BB193_9 Depth=1
	s_or_b32 exec_lo, exec_lo, s33
.LBB193_320:                            ;   in Loop: Header=BB193_9 Depth=1
	s_or_b32 exec_lo, exec_lo, s31
.LBB193_321:                            ;   in Loop: Header=BB193_9 Depth=1
	s_or_b32 exec_lo, exec_lo, s3
	v_cmp_ne_u16_sdwa s2, v3, v42 src0_sel:BYTE_1 src1_sel:DWORD
	s_and_saveexec_b32 s3, s2
	s_cbranch_execz .LBB193_329
; %bb.322:                              ;   in Loop: Header=BB193_9 Depth=1
	v_mov_b32_e32 v126, v42
	v_cmp_ne_u16_sdwa s2, v3, v2 src0_sel:BYTE_1 src1_sel:DWORD
	v_mov_b32_e32 v125, v126
	v_mov_b32_e32 v126, v127
	s_and_saveexec_b32 s31, s2
	s_cbranch_execz .LBB193_328
; %bb.323:                              ;   in Loop: Header=BB193_9 Depth=1
	v_mov_b32_e32 v5, 0xffff
	v_mov_b32_e32 v49, v42
	;; [unrolled: 1-line block ×3, first 2 shown]
	s_mov_b32 s33, exec_lo
	v_and_b32_sdwa v6, v5, v3 dst_sel:DWORD dst_unused:UNUSED_PAD src0_sel:DWORD src1_sel:BYTE_1
	v_mov_b32_e32 v125, v49
	v_and_b32_e32 v5, 0x7f, v6
	v_cmpx_ne_u32_e32 0x7f, v5
	s_cbranch_execz .LBB193_327
; %bb.324:                              ;   in Loop: Header=BB193_9 Depth=1
	v_and_b32_e32 v41, 7, v6
	v_lshrrev_b32_e32 v49, 3, v5
	s_mov_b32 s34, exec_lo
	v_cmpx_gt_u32_e32 8, v5
; %bb.325:                              ;   in Loop: Header=BB193_9 Depth=1
	v_ffbh_u32_e32 v5, v41
	v_min_u32_e32 v7, 32, v5
	v_subrev_nc_u32_e32 v5, 28, v7
	v_sub_nc_u32_e32 v49, 29, v7
	v_lshlrev_b64 v[5:6], v5, v[41:42]
	v_and_b32_e32 v41, 7, v5
; %bb.326:                              ;   in Loop: Header=BB193_9 Depth=1
	s_or_b32 exec_lo, exec_lo, s34
	v_lshlrev_b32_e32 v3, 16, v3
	v_lshlrev_b32_e32 v5, 20, v41
	v_lshl_add_u32 v6, v49, 23, 0x3c000000
	v_mov_b32_e32 v125, v42
	v_and_b32_e32 v3, 0x80000000, v3
	v_or3_b32 v126, v5, v3, v6
.LBB193_327:                            ;   in Loop: Header=BB193_9 Depth=1
	s_or_b32 exec_lo, exec_lo, s33
.LBB193_328:                            ;   in Loop: Header=BB193_9 Depth=1
	s_or_b32 exec_lo, exec_lo, s31
.LBB193_329:                            ;   in Loop: Header=BB193_9 Depth=1
	s_or_b32 exec_lo, exec_lo, s3
	v_or_b32_e32 v3, v57, v55
	v_or_b32_e32 v5, v58, v56
	;; [unrolled: 1-line block ×6, first 2 shown]
	s_clause 0x3
	buffer_load_dword v80, off, s[36:39], 0 offset:4
	buffer_load_dword v81, off, s[36:39], 0 offset:8
	;; [unrolled: 1-line block ×4, first 2 shown]
	v_or_b32_e32 v6, v53, v51
	v_mul_f32_e32 v3, s4, v3
	v_mul_f32_e32 v5, s30, v5
	v_or_b32_e32 v49, v63, v61
	v_or_b32_e32 v41, v48, v44
	v_mul_f32_e32 v6, s4, v6
	v_or_b32_e32 v48, v64, v62
	v_or_b32_e32 v43, v47, v43
	;; [unrolled: 1-line block ×31, first 2 shown]
	s_waitcnt vmcnt(1)
	v_mul_f32_e32 v3, v82, v3
	s_waitcnt vmcnt(0)
	v_mul_f32_e32 v5, v83, v5
	v_fmac_f32_e32 v3, v80, v6
	v_mul_f32_e32 v6, s30, v7
	v_fmac_f32_e32 v5, v81, v6
	s_clause 0x3
	buffer_load_dword v80, off, s[36:39], 0 offset:20
	buffer_load_dword v81, off, s[36:39], 0 offset:24
	;; [unrolled: 1-line block ×4, first 2 shown]
	v_mul_f32_e32 v6, s4, v49
	s_waitcnt vmcnt(3)
	v_fmac_f32_e32 v3, v80, v6
	v_mul_f32_e32 v6, s30, v48
	s_waitcnt vmcnt(2)
	v_fmac_f32_e32 v5, v81, v6
	;; [unrolled: 3-line block ×4, first 2 shown]
	v_mul_f32_e32 v6, s4, v51
	s_waitcnt lgkmcnt(7)
	v_fmac_f32_e32 v3, v9, v6
	v_mul_f32_e32 v6, s30, v8
	v_fmac_f32_e32 v5, v10, v6
	v_mul_f32_e32 v6, s4, v53
	v_fmac_f32_e32 v3, v11, v6
	v_mul_f32_e32 v6, s30, v52
	v_fmac_f32_e32 v5, v12, v6
	v_mul_f32_e32 v6, s4, v55
	s_waitcnt lgkmcnt(6)
	v_fmac_f32_e32 v3, v13, v6
	v_mul_f32_e32 v6, s30, v54
	v_fmac_f32_e32 v5, v14, v6
	v_mul_f32_e32 v6, s4, v57
	v_fmac_f32_e32 v3, v15, v6
	v_mul_f32_e32 v6, s30, v56
	v_fmac_f32_e32 v5, v16, v6
	v_mul_f32_e32 v6, s4, v61
	s_waitcnt lgkmcnt(5)
	v_fmac_f32_e32 v3, v17, v6
	v_mul_f32_e32 v6, s30, v58
	v_fmac_f32_e32 v5, v18, v6
	v_mul_f32_e32 v6, s4, v63
	v_fmac_f32_e32 v3, v19, v6
	v_mul_f32_e32 v6, s30, v62
	v_fmac_f32_e32 v5, v20, v6
	v_mul_f32_e32 v6, s4, v65
	s_waitcnt lgkmcnt(4)
	v_fmac_f32_e32 v3, v21, v6
	v_mul_f32_e32 v6, s30, v64
	v_fmac_f32_e32 v5, v22, v6
	v_mul_f32_e32 v6, s4, v67
	v_fmac_f32_e32 v3, v23, v6
	v_mul_f32_e32 v6, s30, v66
	v_fmac_f32_e32 v5, v24, v6
	v_mul_f32_e32 v6, s4, v69
	s_waitcnt lgkmcnt(3)
	v_fmac_f32_e32 v3, v25, v6
	v_mul_f32_e32 v6, s30, v68
	v_fmac_f32_e32 v5, v26, v6
	v_mul_f32_e32 v6, s4, v71
	v_fmac_f32_e32 v3, v27, v6
	v_mul_f32_e32 v6, s30, v70
	v_fmac_f32_e32 v5, v28, v6
	v_mul_f32_e32 v6, s4, v73
	s_waitcnt lgkmcnt(2)
	v_fmac_f32_e32 v3, v29, v6
	v_mul_f32_e32 v6, s30, v72
	v_fmac_f32_e32 v5, v30, v6
	v_mul_f32_e32 v6, s4, v75
	v_fmac_f32_e32 v3, v31, v6
	v_mul_f32_e32 v6, s30, v74
	v_fmac_f32_e32 v5, v32, v6
	v_mul_f32_e32 v6, s4, v77
	s_waitcnt lgkmcnt(1)
	v_fmac_f32_e32 v3, v33, v6
	v_mul_f32_e32 v6, s30, v76
	v_fmac_f32_e32 v5, v34, v6
	v_mul_f32_e32 v6, s4, v79
	v_fmac_f32_e32 v3, v35, v6
	v_mul_f32_e32 v6, s30, v78
	v_fmac_f32_e32 v5, v36, v6
	v_mul_f32_e32 v6, s4, v43
	s_waitcnt lgkmcnt(0)
	v_fmac_f32_e32 v3, v37, v6
	v_mul_f32_e32 v6, s30, v41
	v_fmac_f32_e32 v5, v38, v6
	v_mul_f32_e32 v6, s4, v59
	v_fmac_f32_e32 v3, v39, v6
	v_mul_f32_e32 v6, s30, v60
	v_fmac_f32_e32 v5, v40, v6
	v_add_f32_e32 v3, v3, v5
	buffer_load_dword v5, off, s[36:39], 0 offset:36 ; 4-byte Folded Reload
	s_waitcnt vmcnt(0)
	ds_bpermute_b32 v5, v5, v3
	s_and_saveexec_b32 s3, vcc_lo
	s_cbranch_execz .LBB193_8
; %bb.330:                              ;   in Loop: Header=BB193_9 Depth=1
	buffer_load_dword v7, off, s[36:39], 0  ; 4-byte Folded Reload
	v_add_nc_u32_e32 v6, s5, v0
	s_waitcnt lgkmcnt(0)
	v_add_f32_e32 v3, v3, v5
	v_cmp_gt_i32_e64 s2, s11, v0
	v_cvt_f32_i32_e32 v6, v6
	v_mul_f32_e32 v6, s28, v6
	v_cndmask_b32_e64 v5, 0, v6, s1
	v_fmac_f32_e32 v5, s29, v3
	s_waitcnt vmcnt(0)
	v_max_f32_e32 v6, v7, v7
	v_max_f32_e32 v3, v6, v5
	v_cndmask_b32_e64 v5, 0, v5, s2
	v_cndmask_b32_e64 v7, v7, v3, s2
	ds_write_b32 v1, v5
	buffer_store_dword v7, off, s[36:39], 0 ; 4-byte Folded Spill
	s_branch .LBB193_8
.LBB193_331:
	s_or_b32 exec_lo, exec_lo, s16
	s_clause 0x5
	buffer_load_dword v85, off, s[36:39], 0 offset:48
	buffer_load_dword v86, off, s[36:39], 0 offset:52
	;; [unrolled: 1-line block ×5, first 2 shown]
	buffer_load_dword v3, off, s[36:39], 0
	v_mov_b32_e32 v8, 32
.LBB193_332:
	s_or_b32 exec_lo, exec_lo, s15
	s_waitcnt vmcnt(1)
	v_xor_b32_e32 v0, 16, v28
	v_xor_b32_e32 v2, 8, v28
	;; [unrolled: 1-line block ×3, first 2 shown]
	v_and_b32_e32 v25, 31, v85
	v_cmp_lt_i32_e32 vcc_lo, v0, v8
	v_cndmask_b32_e32 v0, v28, v0, vcc_lo
	v_cmp_lt_i32_e32 vcc_lo, v2, v8
	v_lshlrev_b32_e32 v0, 2, v0
	v_cndmask_b32_e32 v2, v28, v2, vcc_lo
	v_cmp_lt_i32_e32 vcc_lo, v4, v8
	s_waitcnt vmcnt(0)
	ds_bpermute_b32 v1, v0, v3
	v_max_f32_e32 v3, v3, v3
	v_lshlrev_b32_e32 v2, 2, v2
	v_cndmask_b32_e32 v4, v28, v4, vcc_lo
	s_waitcnt lgkmcnt(0)
	v_max_f32_e32 v1, v1, v1
	v_max_f32_e32 v1, v3, v1
	ds_bpermute_b32 v3, v2, v1
	s_waitcnt lgkmcnt(0)
	v_max_f32_e32 v5, v3, v3
	v_lshlrev_b32_e32 v3, 2, v4
	v_max_f32_e32 v1, v1, v5
	v_xor_b32_e32 v5, 2, v28
	ds_bpermute_b32 v4, v3, v1
	v_cmp_lt_i32_e32 vcc_lo, v5, v8
	v_cndmask_b32_e32 v5, v28, v5, vcc_lo
	v_cmp_eq_u32_e32 vcc_lo, 0, v25
	v_lshlrev_b32_e32 v26, 2, v5
	s_waitcnt lgkmcnt(0)
	v_max_f32_e32 v4, v4, v4
	v_max_f32_e32 v1, v1, v4
	v_lshlrev_b32_e32 v4, 2, v86
	ds_bpermute_b32 v5, v26, v1
	s_and_saveexec_b32 s1, vcc_lo
	s_cbranch_execz .LBB193_334
; %bb.333:
	s_waitcnt lgkmcnt(0)
	v_max_f32_e32 v5, v5, v5
	v_max_f32_e32 v1, v1, v1
	;; [unrolled: 1-line block ×3, first 2 shown]
	ds_write_b32 v4, v1 offset:320
.LBB193_334:
	s_or_b32 exec_lo, exec_lo, s1
	v_cmp_gt_u32_e64 s1, 4, v25
	v_mov_b32_e32 v1, 0xff7fffff
	s_waitcnt lgkmcnt(0)
	v_lshlrev_b32_e32 v5, 2, v25
	s_waitcnt_vscnt null, 0x0
	s_barrier
	buffer_gl0_inv
	s_and_saveexec_b32 s2, s1
; %bb.335:
	ds_read_b32 v1, v5 offset:320
; %bb.336:
	s_or_b32 exec_lo, exec_lo, s2
	s_waitcnt lgkmcnt(0)
	ds_bpermute_b32 v6, v26, v1
	v_xor_b32_e32 v7, 1, v28
	v_max_f32_e32 v1, v1, v1
	v_cmp_lt_i32_e64 s2, v7, v8
	v_cndmask_b32_e64 v7, v28, v7, s2
	s_lshl_b32 s2, s12, 4
	s_min_i32 s4, s2, s11
	v_lshlrev_b32_e32 v27, 2, v7
	v_cmp_gt_i32_e64 s2, s4, v85
	s_waitcnt lgkmcnt(0)
	v_max_f32_e32 v6, v6, v6
	v_max_f32_e32 v1, v1, v6
	ds_bpermute_b32 v6, v27, v1
	s_waitcnt lgkmcnt(0)
	v_max_f32_e32 v6, v6, v6
	v_max_f32_e32 v1, v1, v6
	v_lshlrev_b32_e32 v6, 2, v42
	ds_bpermute_b32 v7, v6, v1
	v_mov_b32_e32 v6, 0
	v_lshl_add_u32 v1, v85, 2, 0x160
	s_and_saveexec_b32 s5, s2
	s_cbranch_execz .LBB193_340
; %bb.337:
	v_lshl_add_u32 v8, v85, 2, 0x160
	v_mov_b32_e32 v6, 0
	v_mov_b32_e32 v9, v85
	s_mov_b32 s15, 0
	.p2align	6
.LBB193_338:                            ; =>This Inner Loop Header: Depth=1
	ds_read_b32 v10, v8
	v_add_nc_u32_e32 v9, 0x80, v9
	v_cmp_le_i32_e64 s3, s4, v9
	s_or_b32 s15, s3, s15
	s_waitcnt lgkmcnt(0)
	v_sub_f32_e32 v10, v10, v7
	v_mul_f32_e32 v10, 0x3fb8aa3b, v10
	v_exp_f32_e32 v10, v10
	ds_write_b32 v8, v10
	v_add_f32_e32 v6, v6, v10
	v_add_nc_u32_e32 v8, 0x200, v8
	s_andn2_b32 exec_lo, exec_lo, s15
	s_cbranch_execnz .LBB193_338
; %bb.339:
	s_or_b32 exec_lo, exec_lo, s15
.LBB193_340:
	s_or_b32 exec_lo, exec_lo, s5
	ds_bpermute_b32 v0, v0, v6
	s_waitcnt lgkmcnt(0)
	v_add_f32_e32 v0, v6, v0
	ds_bpermute_b32 v2, v2, v0
	s_waitcnt lgkmcnt(0)
	v_add_f32_e32 v0, v0, v2
	;; [unrolled: 3-line block ×5, first 2 shown]
	s_and_saveexec_b32 s3, vcc_lo
; %bb.341:
	ds_write_b32 v4, v0 offset:336
; %bb.342:
	s_or_b32 exec_lo, exec_lo, s3
	s_waitcnt lgkmcnt(0)
	s_barrier
	buffer_gl0_inv
	s_and_saveexec_b32 s3, s1
; %bb.343:
	ds_read_b32 v0, v5 offset:336
; %bb.344:
	s_or_b32 exec_lo, exec_lo, s3
	s_waitcnt lgkmcnt(0)
	ds_bpermute_b32 v2, v26, v0
	v_lshlrev_b32_e32 v3, 2, v28
	s_waitcnt lgkmcnt(0)
	v_add_f32_e32 v0, v0, v2
	ds_bpermute_b32 v2, v27, v0
	s_waitcnt lgkmcnt(0)
	v_add_f32_e32 v0, v0, v2
	v_and_b32_e32 v2, 0xffffff80, v3
	ds_bpermute_b32 v0, v2, v0
	s_and_saveexec_b32 s1, s2
	s_cbranch_execz .LBB193_347
; %bb.345:
	s_waitcnt lgkmcnt(0)
	v_add_f32_e32 v0, 0x358637bd, v0
	s_mov_b32 s2, 0
	v_div_scale_f32 v2, null, v0, v0, 1.0
	v_div_scale_f32 v5, vcc_lo, 1.0, v0, 1.0
	v_rcp_f32_e32 v3, v2
	v_fma_f32 v4, -v2, v3, 1.0
	v_fmac_f32_e32 v3, v4, v3
	v_mul_f32_e32 v4, v5, v3
	v_fma_f32 v6, -v2, v4, v5
	v_fmac_f32_e32 v4, v6, v3
	v_fma_f32 v2, -v2, v4, v5
	v_div_fmas_f32 v2, v2, v3, v4
	v_div_fixup_f32 v0, v2, v0, 1.0
	v_mov_b32_e32 v2, v85
.LBB193_346:                            ; =>This Inner Loop Header: Depth=1
	ds_read_b32 v3, v1
	v_add_nc_u32_e32 v2, 0x80, v2
	v_cmp_le_i32_e32 vcc_lo, s4, v2
	s_or_b32 s2, vcc_lo, s2
	s_waitcnt lgkmcnt(0)
	v_mul_f32_e32 v3, v0, v3
	ds_write_b32 v1, v3
	v_add_nc_u32_e32 v1, 0x200, v1
	s_andn2_b32 exec_lo, exec_lo, s2
	s_cbranch_execnz .LBB193_346
.LBB193_347:
	s_or_b32 exec_lo, exec_lo, s1
	v_mov_b32_e32 v35, 0
	s_waitcnt lgkmcnt(0)
	v_and_b32_e32 v0, 3, v85
	v_mov_b32_e32 v37, 0
	v_mov_b32_e32 v36, 0
	;; [unrolled: 1-line block ×9, first 2 shown]
	s_barrier
	buffer_gl0_inv
	s_and_saveexec_b32 s1, s0
	s_cbranch_execz .LBB193_691
; %bb.348:
	s_load_dword s2, s[18:19], 0x0
	v_and_b32_e32 v2, 0x7c, v11
	v_and_b32_e32 v1, 12, v11
	v_lshlrev_b32_e32 v4, 4, v86
	s_ashr_i32 s0, s14, 31
	s_add_u32 s4, s26, s14
	v_lshlrev_b32_e32 v3, 4, v0
	s_addc_u32 s0, s27, s0
	v_add_co_u32 v7, s4, s4, v2
	v_or3_b32 v38, v4, v1, 3
	v_and_b32_e32 v1, 0x7c, v41
	v_add_co_ci_u32_e64 v8, null, s0, 0, s4
	s_lshl_b64 s[4:5], s[24:25], 2
	s_add_i32 s3, s12, -1
	v_lshl_or_b32 v3, v86, 6, v3
	s_add_u32 s0, s22, s4
	s_addc_u32 s4, s23, s5
	v_add_co_u32 v9, s0, s0, v1
	v_mov_b32_e32 v6, 0
	v_add_nc_u32_e32 v39, 0x160, v3
	v_add_co_ci_u32_e64 v10, null, s4, 0, s0
	v_mov_b32_e32 v40, 0x80
	v_bfrev_b32_e32 v12, 1
	v_mov_b32_e32 v41, 0xffff
	v_mov_b32_e32 v14, 0x7f800001
	;; [unrolled: 1-line block ×16, first 2 shown]
	s_mov_b32 s4, s13
	s_waitcnt lgkmcnt(0)
	s_mov_b32 s13, s2
	s_mov_b32 s5, 0
	s_branch .LBB193_350
.LBB193_349:                            ;   in Loop: Header=BB193_350 Depth=1
	s_or_b32 exec_lo, exec_lo, s0
	s_waitcnt lgkmcnt(0)
	v_mul_f32_e32 v16, v1, v82
	v_mul_f32_e32 v17, v1, v80
	;; [unrolled: 1-line block ×5, first 2 shown]
	v_fmac_f32_e32 v16, v2, v81
	v_fmac_f32_e32 v17, v2, v79
	;; [unrolled: 1-line block ×14, first 2 shown]
	v_add_nc_u32_e32 v45, 4, v45
	v_add_f32_e32 v29, v29, v16
	v_add_f32_e32 v30, v30, v17
	;; [unrolled: 1-line block ×3, first 2 shown]
	v_mul_f32_e32 v16, v1, v64
	v_add_f32_e32 v32, v32, v19
	v_mul_f32_e32 v17, v1, v60
	v_mul_f32_e32 v18, v1, v56
	;; [unrolled: 1-line block ×4, first 2 shown]
	v_fmac_f32_e32 v16, v2, v63
	v_fmac_f32_e32 v17, v2, v59
	v_fmac_f32_e32 v18, v2, v55
	v_fmac_f32_e32 v19, v2, v48
	v_fmac_f32_e32 v1, v2, v13
	v_fmac_f32_e32 v16, v3, v62
	v_fmac_f32_e32 v17, v3, v58
	v_fmac_f32_e32 v18, v3, v54
	v_fmac_f32_e32 v19, v3, v47
	v_fmac_f32_e32 v1, v3, v11
	v_fmac_f32_e32 v20, v4, v65
	v_fmac_f32_e32 v16, v4, v61
	v_fmac_f32_e32 v17, v4, v57
	v_fmac_f32_e32 v18, v4, v53
	v_fmac_f32_e32 v19, v4, v46
	v_fmac_f32_e32 v1, v4, v5
	v_cmp_le_i32_e32 vcc_lo, s12, v45
	v_add_co_u32 v9, s0, v9, 16
	v_add_f32_e32 v33, v33, v20
	v_add_f32_e32 v34, v34, v16
	;; [unrolled: 1-line block ×6, first 2 shown]
	v_add_nc_u32_e32 v38, 64, v38
	v_add_nc_u32_e32 v39, 0x100, v39
	v_add_co_ci_u32_e64 v10, null, 0, v10, s0
	s_or_b32 s5, vcc_lo, s5
	s_andn2_b32 exec_lo, exec_lo, s5
	s_cbranch_execz .LBB193_690
.LBB193_350:                            ; =>This Inner Loop Header: Depth=1
	global_load_dword v1, v[9:10], off
	v_mov_b32_e32 v19, 0
	v_mov_b32_e32 v17, 0
	;; [unrolled: 1-line block ×4, first 2 shown]
	s_waitcnt vmcnt(0)
	v_mad_i64_i32 v[15:16], null, v1, s4, v[7:8]
	ds_read_b128 v[1:4], v39
	global_load_dword v46, v[15:16], off
	s_waitcnt vmcnt(0)
	v_cmp_ne_u16_sdwa s14, v46, v6 src0_sel:BYTE_0 src1_sel:DWORD
	s_and_saveexec_b32 s0, s14
	s_cbranch_execz .LBB193_358
; %bb.351:                              ;   in Loop: Header=BB193_350 Depth=1
	v_bfrev_b32_e32 v17, 1
	v_mov_b32_e32 v18, 0
	v_cmp_ne_u16_sdwa s15, v46, v40 src0_sel:BYTE_0 src1_sel:DWORD
	s_and_saveexec_b32 s14, s15
	s_cbranch_execz .LBB193_357
; %bb.352:                              ;   in Loop: Header=BB193_350 Depth=1
	v_mov_b32_e32 v17, 0x7f800001
	v_and_b32_e32 v13, 0x7f, v46
	v_mov_b32_e32 v18, 0
	s_mov_b32 s15, exec_lo
	v_cmpx_ne_u32_e32 0x7f, v13
	s_cbranch_execz .LBB193_356
; %bb.353:                              ;   in Loop: Header=BB193_350 Depth=1
	v_and_b32_e32 v5, 7, v46
	v_lshrrev_b32_e32 v11, 3, v13
	s_mov_b32 s16, exec_lo
	v_cmpx_gt_u32_e32 8, v13
; %bb.354:                              ;   in Loop: Header=BB193_350 Depth=1
	v_ffbh_u32_e32 v11, v5
	v_min_u32_e32 v11, 32, v11
	v_subrev_nc_u32_e32 v13, 28, v11
	v_sub_nc_u32_e32 v11, 29, v11
	v_lshlrev_b64 v[17:18], v13, v[5:6]
	v_and_b32_e32 v5, 7, v17
; %bb.355:                              ;   in Loop: Header=BB193_350 Depth=1
	s_or_b32 exec_lo, exec_lo, s16
	v_lshlrev_b32_e32 v13, 24, v46
	v_lshlrev_b32_e32 v5, 20, v5
	v_lshl_add_u32 v11, v11, 23, 0x3c000000
	v_and_b32_e32 v13, 0x80000000, v13
	v_or3_b32 v5, v5, v13, v11
	v_mov_b32_e32 v18, v6
	v_mov_b32_e32 v17, v5
.LBB193_356:                            ;   in Loop: Header=BB193_350 Depth=1
	s_or_b32 exec_lo, exec_lo, s15
.LBB193_357:                            ;   in Loop: Header=BB193_350 Depth=1
	s_or_b32 exec_lo, exec_lo, s14
.LBB193_358:                            ;   in Loop: Header=BB193_350 Depth=1
	s_or_b32 exec_lo, exec_lo, s0
	v_cmp_ne_u16_sdwa s14, v46, v6 src0_sel:BYTE_1 src1_sel:DWORD
	s_and_saveexec_b32 s0, s14
	s_cbranch_execz .LBB193_366
; %bb.359:                              ;   in Loop: Header=BB193_350 Depth=1
	v_mov_b32_e32 v11, v6
	v_mov_b32_e32 v20, v12
	v_cmp_ne_u16_sdwa s15, v46, v40 src0_sel:BYTE_1 src1_sel:DWORD
	v_mov_b32_e32 v19, v11
	s_and_saveexec_b32 s14, s15
	s_cbranch_execz .LBB193_365
; %bb.360:                              ;   in Loop: Header=BB193_350 Depth=1
	v_and_b32_sdwa v5, v41, v46 dst_sel:DWORD dst_unused:UNUSED_PAD src0_sel:DWORD src1_sel:BYTE_1
	v_mov_b32_e32 v13, v6
	v_mov_b32_e32 v20, v14
	s_mov_b32 s15, exec_lo
	v_and_b32_e32 v21, 0x7f, v5
	v_mov_b32_e32 v19, v13
	v_cmpx_ne_u32_e32 0x7f, v21
	s_cbranch_execz .LBB193_364
; %bb.361:                              ;   in Loop: Header=BB193_350 Depth=1
	v_and_b32_e32 v5, 7, v5
	v_lshrrev_b32_e32 v11, 3, v21
	s_mov_b32 s16, exec_lo
	v_cmpx_gt_u32_e32 8, v21
; %bb.362:                              ;   in Loop: Header=BB193_350 Depth=1
	v_ffbh_u32_e32 v11, v5
	v_min_u32_e32 v11, 32, v11
	v_subrev_nc_u32_e32 v13, 28, v11
	v_sub_nc_u32_e32 v11, 29, v11
	v_lshlrev_b64 v[19:20], v13, v[5:6]
	v_and_b32_e32 v5, 7, v19
; %bb.363:                              ;   in Loop: Header=BB193_350 Depth=1
	s_or_b32 exec_lo, exec_lo, s16
	v_lshlrev_b32_e32 v13, 16, v46
	v_lshlrev_b32_e32 v5, 20, v5
	v_lshl_add_u32 v11, v11, 23, 0x3c000000
	v_mov_b32_e32 v19, v6
	v_and_b32_e32 v13, 0x80000000, v13
	v_or3_b32 v20, v5, v13, v11
.LBB193_364:                            ;   in Loop: Header=BB193_350 Depth=1
	s_or_b32 exec_lo, exec_lo, s15
.LBB193_365:                            ;   in Loop: Header=BB193_350 Depth=1
	s_or_b32 exec_lo, exec_lo, s14
.LBB193_366:                            ;   in Loop: Header=BB193_350 Depth=1
	s_or_b32 exec_lo, exec_lo, s0
	v_mov_b32_e32 v23, 0
	v_mov_b32_e32 v21, 0
	v_and_b32_sdwa v5, v46, v42 dst_sel:DWORD dst_unused:UNUSED_PAD src0_sel:WORD_1 src1_sel:DWORD
	v_mov_b32_e32 v24, 0
	v_mov_b32_e32 v22, 0
	s_mov_b32 s0, exec_lo
	v_cmpx_ne_u16_e32 0, v5
	s_cbranch_execz .LBB193_374
; %bb.367:                              ;   in Loop: Header=BB193_350 Depth=1
	v_bfrev_b32_e32 v21, 1
	v_mov_b32_e32 v22, 0
	s_mov_b32 s14, exec_lo
	v_cmpx_ne_u16_e32 0x80, v5
	s_cbranch_execz .LBB193_373
; %bb.368:                              ;   in Loop: Header=BB193_350 Depth=1
	v_mov_b32_e32 v21, 0x7f800001
	v_bfe_u32 v13, v46, 16, 7
	v_mov_b32_e32 v22, 0
	s_mov_b32 s15, exec_lo
	v_cmpx_ne_u32_e32 0x7f, v13
	s_cbranch_execz .LBB193_372
; %bb.369:                              ;   in Loop: Header=BB193_350 Depth=1
	v_and_b32_sdwa v5, v46, v43 dst_sel:DWORD dst_unused:UNUSED_PAD src0_sel:WORD_1 src1_sel:DWORD
	v_lshrrev_b32_e32 v11, 3, v13
	s_mov_b32 s16, exec_lo
	v_cmpx_gt_u32_e32 8, v13
; %bb.370:                              ;   in Loop: Header=BB193_350 Depth=1
	v_ffbh_u32_e32 v11, v5
	v_min_u32_e32 v11, 32, v11
	v_subrev_nc_u32_e32 v13, 28, v11
	v_sub_nc_u32_e32 v11, 29, v11
	v_lshlrev_b64 v[21:22], v13, v[5:6]
	v_and_b32_e32 v5, 7, v21
; %bb.371:                              ;   in Loop: Header=BB193_350 Depth=1
	s_or_b32 exec_lo, exec_lo, s16
	v_lshlrev_b32_sdwa v13, v44, v46 dst_sel:DWORD dst_unused:UNUSED_PAD src0_sel:DWORD src1_sel:WORD_1
	v_lshlrev_b32_e32 v5, 20, v5
	v_lshl_add_u32 v11, v11, 23, 0x3c000000
	v_and_b32_e32 v13, 0x80000000, v13
	v_or3_b32 v5, v5, v13, v11
	v_mov_b32_e32 v22, v6
	v_mov_b32_e32 v21, v5
.LBB193_372:                            ;   in Loop: Header=BB193_350 Depth=1
	s_or_b32 exec_lo, exec_lo, s15
.LBB193_373:                            ;   in Loop: Header=BB193_350 Depth=1
	s_or_b32 exec_lo, exec_lo, s14
.LBB193_374:                            ;   in Loop: Header=BB193_350 Depth=1
	s_or_b32 exec_lo, exec_lo, s0
	s_mov_b32 s0, exec_lo
	v_cmpx_lt_u32_e32 0xffffff, v46
	s_cbranch_execz .LBB193_382
; %bb.375:                              ;   in Loop: Header=BB193_350 Depth=1
	v_mov_b32_e32 v11, v6
	v_mov_b32_e32 v24, v12
	v_cmp_ne_u32_sdwa s15, v46, v40 src0_sel:BYTE_3 src1_sel:DWORD
	v_mov_b32_e32 v23, v11
	s_and_saveexec_b32 s14, s15
	s_cbranch_execz .LBB193_381
; %bb.376:                              ;   in Loop: Header=BB193_350 Depth=1
	v_mov_b32_e32 v13, v6
	v_mov_b32_e32 v24, v14
	v_bfe_u32 v47, v46, 24, 7
	s_mov_b32 s15, exec_lo
	v_mov_b32_e32 v23, v13
	v_cmpx_ne_u32_e32 0x7f, v47
	s_cbranch_execz .LBB193_380
; %bb.377:                              ;   in Loop: Header=BB193_350 Depth=1
	v_and_b32_sdwa v5, v46, v43 dst_sel:DWORD dst_unused:UNUSED_PAD src0_sel:BYTE_3 src1_sel:DWORD
	v_lshrrev_b32_e32 v11, 3, v47
	s_mov_b32 s16, exec_lo
	v_cmpx_gt_u32_e32 8, v47
; %bb.378:                              ;   in Loop: Header=BB193_350 Depth=1
	v_ffbh_u32_e32 v11, v5
	v_min_u32_e32 v11, 32, v11
	v_subrev_nc_u32_e32 v13, 28, v11
	v_sub_nc_u32_e32 v11, 29, v11
	v_lshlrev_b64 v[23:24], v13, v[5:6]
	v_and_b32_e32 v5, 7, v23
; %bb.379:                              ;   in Loop: Header=BB193_350 Depth=1
	s_or_b32 exec_lo, exec_lo, s16
	v_lshlrev_b32_sdwa v13, v44, v46 dst_sel:DWORD dst_unused:UNUSED_PAD src0_sel:DWORD src1_sel:BYTE_3
	v_lshlrev_b32_e32 v5, 20, v5
	v_lshl_add_u32 v11, v11, 23, 0x3c000000
	v_mov_b32_e32 v23, v6
	v_and_b32_e32 v13, 0x80000000, v13
	v_or3_b32 v24, v5, v13, v11
.LBB193_380:                            ;   in Loop: Header=BB193_350 Depth=1
	s_or_b32 exec_lo, exec_lo, s15
.LBB193_381:                            ;   in Loop: Header=BB193_350 Depth=1
	s_or_b32 exec_lo, exec_lo, s14
.LBB193_382:                            ;   in Loop: Header=BB193_350 Depth=1
	s_or_b32 exec_lo, exec_lo, s0
	v_or_b32_e32 v5, v20, v18
	v_or_b32_e32 v11, v19, v17
	;; [unrolled: 1-line block ×4, first 2 shown]
	v_add_nc_u32_e32 v50, -3, v38
	v_cmp_eq_u32_e32 vcc_lo, s3, v45
	v_mul_f32_e32 v48, s13, v5
	v_mul_f32_e32 v49, s2, v11
	v_mul_f32_e32 v47, s2, v13
	v_mul_f32_e32 v46, s13, v17
	v_add_nc_u32_e32 v52, -2, v38
	v_add_nc_u32_e32 v51, -1, v38
	s_and_saveexec_b32 s14, vcc_lo
	s_cbranch_execz .LBB193_384
; %bb.383:                              ;   in Loop: Header=BB193_350 Depth=1
	v_cmp_gt_i32_e64 s0, s11, v50
	v_cndmask_b32_e64 v49, 0, v49, s0
	v_cmp_gt_i32_e64 s0, s11, v52
	v_cndmask_b32_e64 v48, 0, v48, s0
	;; [unrolled: 2-line block ×4, first 2 shown]
.LBB193_384:                            ;   in Loop: Header=BB193_350 Depth=1
	s_or_b32 exec_lo, exec_lo, s14
	global_load_dword v53, v[15:16], off offset:128
	v_mov_b32_e32 v19, 0
	v_mov_b32_e32 v17, 0
	;; [unrolled: 1-line block ×4, first 2 shown]
	s_waitcnt vmcnt(0)
	v_cmp_ne_u16_sdwa s0, v53, v6 src0_sel:BYTE_0 src1_sel:DWORD
	s_and_saveexec_b32 s14, s0
	s_cbranch_execz .LBB193_392
; %bb.385:                              ;   in Loop: Header=BB193_350 Depth=1
	v_bfrev_b32_e32 v17, 1
	v_mov_b32_e32 v18, 0
	v_cmp_ne_u16_sdwa s0, v53, v40 src0_sel:BYTE_0 src1_sel:DWORD
	s_and_saveexec_b32 s15, s0
	s_cbranch_execz .LBB193_391
; %bb.386:                              ;   in Loop: Header=BB193_350 Depth=1
	v_mov_b32_e32 v17, 0x7f800001
	v_and_b32_e32 v13, 0x7f, v53
	v_mov_b32_e32 v18, 0
	s_mov_b32 s16, exec_lo
	v_cmpx_ne_u32_e32 0x7f, v13
	s_cbranch_execz .LBB193_390
; %bb.387:                              ;   in Loop: Header=BB193_350 Depth=1
	v_and_b32_e32 v5, 7, v53
	v_lshrrev_b32_e32 v11, 3, v13
	s_mov_b32 s17, exec_lo
	v_cmpx_gt_u32_e32 8, v13
; %bb.388:                              ;   in Loop: Header=BB193_350 Depth=1
	v_ffbh_u32_e32 v11, v5
	v_min_u32_e32 v11, 32, v11
	v_subrev_nc_u32_e32 v13, 28, v11
	v_sub_nc_u32_e32 v11, 29, v11
	v_lshlrev_b64 v[17:18], v13, v[5:6]
	v_and_b32_e32 v5, 7, v17
; %bb.389:                              ;   in Loop: Header=BB193_350 Depth=1
	s_or_b32 exec_lo, exec_lo, s17
	v_lshlrev_b32_e32 v13, 24, v53
	v_lshlrev_b32_e32 v5, 20, v5
	v_lshl_add_u32 v11, v11, 23, 0x3c000000
	v_and_b32_e32 v13, 0x80000000, v13
	v_or3_b32 v5, v5, v13, v11
	v_mov_b32_e32 v18, v6
	v_mov_b32_e32 v17, v5
.LBB193_390:                            ;   in Loop: Header=BB193_350 Depth=1
	s_or_b32 exec_lo, exec_lo, s16
.LBB193_391:                            ;   in Loop: Header=BB193_350 Depth=1
	s_or_b32 exec_lo, exec_lo, s15
.LBB193_392:                            ;   in Loop: Header=BB193_350 Depth=1
	s_or_b32 exec_lo, exec_lo, s14
	v_cmp_ne_u16_sdwa s0, v53, v6 src0_sel:BYTE_1 src1_sel:DWORD
	s_and_saveexec_b32 s14, s0
	s_cbranch_execz .LBB193_400
; %bb.393:                              ;   in Loop: Header=BB193_350 Depth=1
	v_mov_b32_e32 v11, v6
	v_mov_b32_e32 v20, v12
	v_cmp_ne_u16_sdwa s0, v53, v40 src0_sel:BYTE_1 src1_sel:DWORD
	v_mov_b32_e32 v19, v11
	s_and_saveexec_b32 s15, s0
	s_cbranch_execz .LBB193_399
; %bb.394:                              ;   in Loop: Header=BB193_350 Depth=1
	v_and_b32_sdwa v5, v41, v53 dst_sel:DWORD dst_unused:UNUSED_PAD src0_sel:DWORD src1_sel:BYTE_1
	v_mov_b32_e32 v13, v6
	v_mov_b32_e32 v20, v14
	s_mov_b32 s16, exec_lo
	v_and_b32_e32 v21, 0x7f, v5
	v_mov_b32_e32 v19, v13
	v_cmpx_ne_u32_e32 0x7f, v21
	s_cbranch_execz .LBB193_398
; %bb.395:                              ;   in Loop: Header=BB193_350 Depth=1
	v_and_b32_e32 v5, 7, v5
	v_lshrrev_b32_e32 v11, 3, v21
	s_mov_b32 s17, exec_lo
	v_cmpx_gt_u32_e32 8, v21
; %bb.396:                              ;   in Loop: Header=BB193_350 Depth=1
	v_ffbh_u32_e32 v11, v5
	v_min_u32_e32 v11, 32, v11
	v_subrev_nc_u32_e32 v13, 28, v11
	v_sub_nc_u32_e32 v11, 29, v11
	v_lshlrev_b64 v[19:20], v13, v[5:6]
	v_and_b32_e32 v5, 7, v19
; %bb.397:                              ;   in Loop: Header=BB193_350 Depth=1
	s_or_b32 exec_lo, exec_lo, s17
	v_lshlrev_b32_e32 v13, 16, v53
	v_lshlrev_b32_e32 v5, 20, v5
	v_lshl_add_u32 v11, v11, 23, 0x3c000000
	v_mov_b32_e32 v19, v6
	v_and_b32_e32 v13, 0x80000000, v13
	v_or3_b32 v20, v5, v13, v11
.LBB193_398:                            ;   in Loop: Header=BB193_350 Depth=1
	s_or_b32 exec_lo, exec_lo, s16
.LBB193_399:                            ;   in Loop: Header=BB193_350 Depth=1
	s_or_b32 exec_lo, exec_lo, s15
.LBB193_400:                            ;   in Loop: Header=BB193_350 Depth=1
	s_or_b32 exec_lo, exec_lo, s14
	v_mov_b32_e32 v23, 0
	v_mov_b32_e32 v21, 0
	v_and_b32_sdwa v5, v53, v42 dst_sel:DWORD dst_unused:UNUSED_PAD src0_sel:WORD_1 src1_sel:DWORD
	v_mov_b32_e32 v24, 0
	v_mov_b32_e32 v22, 0
	s_mov_b32 s14, exec_lo
	v_cmpx_ne_u16_e32 0, v5
	s_cbranch_execz .LBB193_408
; %bb.401:                              ;   in Loop: Header=BB193_350 Depth=1
	v_bfrev_b32_e32 v21, 1
	v_mov_b32_e32 v22, 0
	s_mov_b32 s15, exec_lo
	v_cmpx_ne_u16_e32 0x80, v5
	s_cbranch_execz .LBB193_407
; %bb.402:                              ;   in Loop: Header=BB193_350 Depth=1
	v_mov_b32_e32 v21, 0x7f800001
	v_bfe_u32 v13, v53, 16, 7
	v_mov_b32_e32 v22, 0
	s_mov_b32 s16, exec_lo
	v_cmpx_ne_u32_e32 0x7f, v13
	s_cbranch_execz .LBB193_406
; %bb.403:                              ;   in Loop: Header=BB193_350 Depth=1
	v_and_b32_sdwa v5, v53, v43 dst_sel:DWORD dst_unused:UNUSED_PAD src0_sel:WORD_1 src1_sel:DWORD
	v_lshrrev_b32_e32 v11, 3, v13
	s_mov_b32 s17, exec_lo
	v_cmpx_gt_u32_e32 8, v13
; %bb.404:                              ;   in Loop: Header=BB193_350 Depth=1
	v_ffbh_u32_e32 v11, v5
	v_min_u32_e32 v11, 32, v11
	v_subrev_nc_u32_e32 v13, 28, v11
	v_sub_nc_u32_e32 v11, 29, v11
	v_lshlrev_b64 v[21:22], v13, v[5:6]
	v_and_b32_e32 v5, 7, v21
; %bb.405:                              ;   in Loop: Header=BB193_350 Depth=1
	s_or_b32 exec_lo, exec_lo, s17
	v_lshlrev_b32_sdwa v13, v44, v53 dst_sel:DWORD dst_unused:UNUSED_PAD src0_sel:DWORD src1_sel:WORD_1
	v_lshlrev_b32_e32 v5, 20, v5
	v_lshl_add_u32 v11, v11, 23, 0x3c000000
	v_and_b32_e32 v13, 0x80000000, v13
	v_or3_b32 v5, v5, v13, v11
	v_mov_b32_e32 v22, v6
	v_mov_b32_e32 v21, v5
.LBB193_406:                            ;   in Loop: Header=BB193_350 Depth=1
	s_or_b32 exec_lo, exec_lo, s16
.LBB193_407:                            ;   in Loop: Header=BB193_350 Depth=1
	s_or_b32 exec_lo, exec_lo, s15
.LBB193_408:                            ;   in Loop: Header=BB193_350 Depth=1
	s_or_b32 exec_lo, exec_lo, s14
	s_mov_b32 s14, exec_lo
	v_cmpx_lt_u32_e32 0xffffff, v53
	s_cbranch_execz .LBB193_416
; %bb.409:                              ;   in Loop: Header=BB193_350 Depth=1
	v_mov_b32_e32 v11, v6
	v_mov_b32_e32 v24, v12
	v_cmp_ne_u32_sdwa s0, v53, v40 src0_sel:BYTE_3 src1_sel:DWORD
	v_mov_b32_e32 v23, v11
	s_and_saveexec_b32 s15, s0
	s_cbranch_execz .LBB193_415
; %bb.410:                              ;   in Loop: Header=BB193_350 Depth=1
	v_mov_b32_e32 v13, v6
	v_mov_b32_e32 v24, v14
	v_bfe_u32 v54, v53, 24, 7
	s_mov_b32 s16, exec_lo
	v_mov_b32_e32 v23, v13
	v_cmpx_ne_u32_e32 0x7f, v54
	s_cbranch_execz .LBB193_414
; %bb.411:                              ;   in Loop: Header=BB193_350 Depth=1
	v_and_b32_sdwa v5, v53, v43 dst_sel:DWORD dst_unused:UNUSED_PAD src0_sel:BYTE_3 src1_sel:DWORD
	v_lshrrev_b32_e32 v11, 3, v54
	s_mov_b32 s17, exec_lo
	v_cmpx_gt_u32_e32 8, v54
; %bb.412:                              ;   in Loop: Header=BB193_350 Depth=1
	v_ffbh_u32_e32 v11, v5
	v_min_u32_e32 v11, 32, v11
	v_subrev_nc_u32_e32 v13, 28, v11
	v_sub_nc_u32_e32 v11, 29, v11
	v_lshlrev_b64 v[23:24], v13, v[5:6]
	v_and_b32_e32 v5, 7, v23
; %bb.413:                              ;   in Loop: Header=BB193_350 Depth=1
	s_or_b32 exec_lo, exec_lo, s17
	v_lshlrev_b32_sdwa v13, v44, v53 dst_sel:DWORD dst_unused:UNUSED_PAD src0_sel:DWORD src1_sel:BYTE_3
	v_lshlrev_b32_e32 v5, 20, v5
	v_lshl_add_u32 v11, v11, 23, 0x3c000000
	v_mov_b32_e32 v23, v6
	v_and_b32_e32 v13, 0x80000000, v13
	v_or3_b32 v24, v5, v13, v11
.LBB193_414:                            ;   in Loop: Header=BB193_350 Depth=1
	s_or_b32 exec_lo, exec_lo, s16
.LBB193_415:                            ;   in Loop: Header=BB193_350 Depth=1
	s_or_b32 exec_lo, exec_lo, s15
.LBB193_416:                            ;   in Loop: Header=BB193_350 Depth=1
	s_or_b32 exec_lo, exec_lo, s14
	v_or_b32_e32 v5, v20, v18
	v_or_b32_e32 v11, v19, v17
	;; [unrolled: 1-line block ×4, first 2 shown]
	v_mul_f32_e32 v55, s13, v5
	v_mul_f32_e32 v56, s2, v11
	;; [unrolled: 1-line block ×4, first 2 shown]
	s_and_saveexec_b32 s14, vcc_lo
	s_cbranch_execz .LBB193_418
; %bb.417:                              ;   in Loop: Header=BB193_350 Depth=1
	v_cmp_gt_i32_e64 s0, s11, v50
	v_cndmask_b32_e64 v56, 0, v56, s0
	v_cmp_gt_i32_e64 s0, s11, v52
	v_cndmask_b32_e64 v55, 0, v55, s0
	;; [unrolled: 2-line block ×4, first 2 shown]
.LBB193_418:                            ;   in Loop: Header=BB193_350 Depth=1
	s_or_b32 exec_lo, exec_lo, s14
	global_load_dword v57, v[15:16], off offset:256
	v_mov_b32_e32 v19, 0
	v_mov_b32_e32 v17, 0
	;; [unrolled: 1-line block ×4, first 2 shown]
	s_waitcnt vmcnt(0)
	v_cmp_ne_u16_sdwa s0, v57, v6 src0_sel:BYTE_0 src1_sel:DWORD
	s_and_saveexec_b32 s14, s0
	s_cbranch_execz .LBB193_426
; %bb.419:                              ;   in Loop: Header=BB193_350 Depth=1
	v_bfrev_b32_e32 v17, 1
	v_mov_b32_e32 v18, 0
	v_cmp_ne_u16_sdwa s0, v57, v40 src0_sel:BYTE_0 src1_sel:DWORD
	s_and_saveexec_b32 s15, s0
	s_cbranch_execz .LBB193_425
; %bb.420:                              ;   in Loop: Header=BB193_350 Depth=1
	v_mov_b32_e32 v17, 0x7f800001
	v_and_b32_e32 v13, 0x7f, v57
	v_mov_b32_e32 v18, 0
	s_mov_b32 s16, exec_lo
	v_cmpx_ne_u32_e32 0x7f, v13
	s_cbranch_execz .LBB193_424
; %bb.421:                              ;   in Loop: Header=BB193_350 Depth=1
	v_and_b32_e32 v5, 7, v57
	v_lshrrev_b32_e32 v11, 3, v13
	s_mov_b32 s17, exec_lo
	v_cmpx_gt_u32_e32 8, v13
; %bb.422:                              ;   in Loop: Header=BB193_350 Depth=1
	v_ffbh_u32_e32 v11, v5
	v_min_u32_e32 v11, 32, v11
	v_subrev_nc_u32_e32 v13, 28, v11
	v_sub_nc_u32_e32 v11, 29, v11
	v_lshlrev_b64 v[17:18], v13, v[5:6]
	v_and_b32_e32 v5, 7, v17
; %bb.423:                              ;   in Loop: Header=BB193_350 Depth=1
	s_or_b32 exec_lo, exec_lo, s17
	v_lshlrev_b32_e32 v13, 24, v57
	v_lshlrev_b32_e32 v5, 20, v5
	v_lshl_add_u32 v11, v11, 23, 0x3c000000
	v_and_b32_e32 v13, 0x80000000, v13
	v_or3_b32 v5, v5, v13, v11
	v_mov_b32_e32 v18, v6
	v_mov_b32_e32 v17, v5
.LBB193_424:                            ;   in Loop: Header=BB193_350 Depth=1
	s_or_b32 exec_lo, exec_lo, s16
.LBB193_425:                            ;   in Loop: Header=BB193_350 Depth=1
	s_or_b32 exec_lo, exec_lo, s15
.LBB193_426:                            ;   in Loop: Header=BB193_350 Depth=1
	s_or_b32 exec_lo, exec_lo, s14
	v_cmp_ne_u16_sdwa s0, v57, v6 src0_sel:BYTE_1 src1_sel:DWORD
	s_and_saveexec_b32 s14, s0
	s_cbranch_execz .LBB193_434
; %bb.427:                              ;   in Loop: Header=BB193_350 Depth=1
	v_mov_b32_e32 v11, v6
	v_mov_b32_e32 v20, v12
	v_cmp_ne_u16_sdwa s0, v57, v40 src0_sel:BYTE_1 src1_sel:DWORD
	v_mov_b32_e32 v19, v11
	s_and_saveexec_b32 s15, s0
	s_cbranch_execz .LBB193_433
; %bb.428:                              ;   in Loop: Header=BB193_350 Depth=1
	v_and_b32_sdwa v5, v41, v57 dst_sel:DWORD dst_unused:UNUSED_PAD src0_sel:DWORD src1_sel:BYTE_1
	v_mov_b32_e32 v13, v6
	v_mov_b32_e32 v20, v14
	s_mov_b32 s16, exec_lo
	v_and_b32_e32 v21, 0x7f, v5
	v_mov_b32_e32 v19, v13
	v_cmpx_ne_u32_e32 0x7f, v21
	s_cbranch_execz .LBB193_432
; %bb.429:                              ;   in Loop: Header=BB193_350 Depth=1
	v_and_b32_e32 v5, 7, v5
	v_lshrrev_b32_e32 v11, 3, v21
	s_mov_b32 s17, exec_lo
	v_cmpx_gt_u32_e32 8, v21
; %bb.430:                              ;   in Loop: Header=BB193_350 Depth=1
	v_ffbh_u32_e32 v11, v5
	v_min_u32_e32 v11, 32, v11
	v_subrev_nc_u32_e32 v13, 28, v11
	v_sub_nc_u32_e32 v11, 29, v11
	v_lshlrev_b64 v[19:20], v13, v[5:6]
	v_and_b32_e32 v5, 7, v19
; %bb.431:                              ;   in Loop: Header=BB193_350 Depth=1
	s_or_b32 exec_lo, exec_lo, s17
	v_lshlrev_b32_e32 v13, 16, v57
	v_lshlrev_b32_e32 v5, 20, v5
	v_lshl_add_u32 v11, v11, 23, 0x3c000000
	v_mov_b32_e32 v19, v6
	v_and_b32_e32 v13, 0x80000000, v13
	v_or3_b32 v20, v5, v13, v11
.LBB193_432:                            ;   in Loop: Header=BB193_350 Depth=1
	s_or_b32 exec_lo, exec_lo, s16
.LBB193_433:                            ;   in Loop: Header=BB193_350 Depth=1
	s_or_b32 exec_lo, exec_lo, s15
.LBB193_434:                            ;   in Loop: Header=BB193_350 Depth=1
	s_or_b32 exec_lo, exec_lo, s14
	v_mov_b32_e32 v23, 0
	v_mov_b32_e32 v21, 0
	v_and_b32_sdwa v5, v57, v42 dst_sel:DWORD dst_unused:UNUSED_PAD src0_sel:WORD_1 src1_sel:DWORD
	v_mov_b32_e32 v24, 0
	v_mov_b32_e32 v22, 0
	s_mov_b32 s14, exec_lo
	v_cmpx_ne_u16_e32 0, v5
	s_cbranch_execz .LBB193_442
; %bb.435:                              ;   in Loop: Header=BB193_350 Depth=1
	v_bfrev_b32_e32 v21, 1
	v_mov_b32_e32 v22, 0
	s_mov_b32 s15, exec_lo
	v_cmpx_ne_u16_e32 0x80, v5
	s_cbranch_execz .LBB193_441
; %bb.436:                              ;   in Loop: Header=BB193_350 Depth=1
	v_mov_b32_e32 v21, 0x7f800001
	v_bfe_u32 v13, v57, 16, 7
	v_mov_b32_e32 v22, 0
	s_mov_b32 s16, exec_lo
	v_cmpx_ne_u32_e32 0x7f, v13
	s_cbranch_execz .LBB193_440
; %bb.437:                              ;   in Loop: Header=BB193_350 Depth=1
	v_and_b32_sdwa v5, v57, v43 dst_sel:DWORD dst_unused:UNUSED_PAD src0_sel:WORD_1 src1_sel:DWORD
	v_lshrrev_b32_e32 v11, 3, v13
	s_mov_b32 s17, exec_lo
	v_cmpx_gt_u32_e32 8, v13
; %bb.438:                              ;   in Loop: Header=BB193_350 Depth=1
	v_ffbh_u32_e32 v11, v5
	v_min_u32_e32 v11, 32, v11
	v_subrev_nc_u32_e32 v13, 28, v11
	v_sub_nc_u32_e32 v11, 29, v11
	v_lshlrev_b64 v[21:22], v13, v[5:6]
	v_and_b32_e32 v5, 7, v21
; %bb.439:                              ;   in Loop: Header=BB193_350 Depth=1
	s_or_b32 exec_lo, exec_lo, s17
	v_lshlrev_b32_sdwa v13, v44, v57 dst_sel:DWORD dst_unused:UNUSED_PAD src0_sel:DWORD src1_sel:WORD_1
	v_lshlrev_b32_e32 v5, 20, v5
	v_lshl_add_u32 v11, v11, 23, 0x3c000000
	v_and_b32_e32 v13, 0x80000000, v13
	v_or3_b32 v5, v5, v13, v11
	v_mov_b32_e32 v22, v6
	v_mov_b32_e32 v21, v5
.LBB193_440:                            ;   in Loop: Header=BB193_350 Depth=1
	s_or_b32 exec_lo, exec_lo, s16
.LBB193_441:                            ;   in Loop: Header=BB193_350 Depth=1
	s_or_b32 exec_lo, exec_lo, s15
.LBB193_442:                            ;   in Loop: Header=BB193_350 Depth=1
	s_or_b32 exec_lo, exec_lo, s14
	s_mov_b32 s14, exec_lo
	v_cmpx_lt_u32_e32 0xffffff, v57
	s_cbranch_execz .LBB193_450
; %bb.443:                              ;   in Loop: Header=BB193_350 Depth=1
	v_mov_b32_e32 v11, v6
	v_mov_b32_e32 v24, v12
	v_cmp_ne_u32_sdwa s0, v57, v40 src0_sel:BYTE_3 src1_sel:DWORD
	v_mov_b32_e32 v23, v11
	s_and_saveexec_b32 s15, s0
	s_cbranch_execz .LBB193_449
; %bb.444:                              ;   in Loop: Header=BB193_350 Depth=1
	v_mov_b32_e32 v13, v6
	v_mov_b32_e32 v24, v14
	v_bfe_u32 v58, v57, 24, 7
	s_mov_b32 s16, exec_lo
	v_mov_b32_e32 v23, v13
	v_cmpx_ne_u32_e32 0x7f, v58
	s_cbranch_execz .LBB193_448
; %bb.445:                              ;   in Loop: Header=BB193_350 Depth=1
	v_and_b32_sdwa v5, v57, v43 dst_sel:DWORD dst_unused:UNUSED_PAD src0_sel:BYTE_3 src1_sel:DWORD
	v_lshrrev_b32_e32 v11, 3, v58
	s_mov_b32 s17, exec_lo
	v_cmpx_gt_u32_e32 8, v58
; %bb.446:                              ;   in Loop: Header=BB193_350 Depth=1
	v_ffbh_u32_e32 v11, v5
	v_min_u32_e32 v11, 32, v11
	v_subrev_nc_u32_e32 v13, 28, v11
	v_sub_nc_u32_e32 v11, 29, v11
	v_lshlrev_b64 v[23:24], v13, v[5:6]
	v_and_b32_e32 v5, 7, v23
; %bb.447:                              ;   in Loop: Header=BB193_350 Depth=1
	s_or_b32 exec_lo, exec_lo, s17
	v_lshlrev_b32_sdwa v13, v44, v57 dst_sel:DWORD dst_unused:UNUSED_PAD src0_sel:DWORD src1_sel:BYTE_3
	v_lshlrev_b32_e32 v5, 20, v5
	v_lshl_add_u32 v11, v11, 23, 0x3c000000
	v_mov_b32_e32 v23, v6
	v_and_b32_e32 v13, 0x80000000, v13
	v_or3_b32 v24, v5, v13, v11
.LBB193_448:                            ;   in Loop: Header=BB193_350 Depth=1
	s_or_b32 exec_lo, exec_lo, s16
.LBB193_449:                            ;   in Loop: Header=BB193_350 Depth=1
	s_or_b32 exec_lo, exec_lo, s15
.LBB193_450:                            ;   in Loop: Header=BB193_350 Depth=1
	s_or_b32 exec_lo, exec_lo, s14
	v_or_b32_e32 v5, v20, v18
	v_or_b32_e32 v11, v19, v17
	;; [unrolled: 1-line block ×4, first 2 shown]
	v_mul_f32_e32 v59, s13, v5
	v_mul_f32_e32 v60, s2, v11
	;; [unrolled: 1-line block ×4, first 2 shown]
	s_and_saveexec_b32 s14, vcc_lo
	s_cbranch_execz .LBB193_452
; %bb.451:                              ;   in Loop: Header=BB193_350 Depth=1
	v_cmp_gt_i32_e64 s0, s11, v50
	v_cndmask_b32_e64 v60, 0, v60, s0
	v_cmp_gt_i32_e64 s0, s11, v52
	v_cndmask_b32_e64 v59, 0, v59, s0
	;; [unrolled: 2-line block ×4, first 2 shown]
.LBB193_452:                            ;   in Loop: Header=BB193_350 Depth=1
	s_or_b32 exec_lo, exec_lo, s14
	global_load_dword v61, v[15:16], off offset:384
	v_mov_b32_e32 v19, 0
	v_mov_b32_e32 v17, 0
	;; [unrolled: 1-line block ×4, first 2 shown]
	s_waitcnt vmcnt(0)
	v_cmp_ne_u16_sdwa s0, v61, v6 src0_sel:BYTE_0 src1_sel:DWORD
	s_and_saveexec_b32 s14, s0
	s_cbranch_execz .LBB193_460
; %bb.453:                              ;   in Loop: Header=BB193_350 Depth=1
	v_bfrev_b32_e32 v17, 1
	v_mov_b32_e32 v18, 0
	v_cmp_ne_u16_sdwa s0, v61, v40 src0_sel:BYTE_0 src1_sel:DWORD
	s_and_saveexec_b32 s15, s0
	s_cbranch_execz .LBB193_459
; %bb.454:                              ;   in Loop: Header=BB193_350 Depth=1
	v_mov_b32_e32 v17, 0x7f800001
	v_and_b32_e32 v13, 0x7f, v61
	v_mov_b32_e32 v18, 0
	s_mov_b32 s16, exec_lo
	v_cmpx_ne_u32_e32 0x7f, v13
	s_cbranch_execz .LBB193_458
; %bb.455:                              ;   in Loop: Header=BB193_350 Depth=1
	v_and_b32_e32 v5, 7, v61
	v_lshrrev_b32_e32 v11, 3, v13
	s_mov_b32 s17, exec_lo
	v_cmpx_gt_u32_e32 8, v13
; %bb.456:                              ;   in Loop: Header=BB193_350 Depth=1
	v_ffbh_u32_e32 v11, v5
	v_min_u32_e32 v11, 32, v11
	v_subrev_nc_u32_e32 v13, 28, v11
	v_sub_nc_u32_e32 v11, 29, v11
	v_lshlrev_b64 v[17:18], v13, v[5:6]
	v_and_b32_e32 v5, 7, v17
; %bb.457:                              ;   in Loop: Header=BB193_350 Depth=1
	s_or_b32 exec_lo, exec_lo, s17
	v_lshlrev_b32_e32 v13, 24, v61
	v_lshlrev_b32_e32 v5, 20, v5
	v_lshl_add_u32 v11, v11, 23, 0x3c000000
	v_and_b32_e32 v13, 0x80000000, v13
	v_or3_b32 v5, v5, v13, v11
	v_mov_b32_e32 v18, v6
	v_mov_b32_e32 v17, v5
.LBB193_458:                            ;   in Loop: Header=BB193_350 Depth=1
	s_or_b32 exec_lo, exec_lo, s16
.LBB193_459:                            ;   in Loop: Header=BB193_350 Depth=1
	s_or_b32 exec_lo, exec_lo, s15
.LBB193_460:                            ;   in Loop: Header=BB193_350 Depth=1
	s_or_b32 exec_lo, exec_lo, s14
	v_cmp_ne_u16_sdwa s0, v61, v6 src0_sel:BYTE_1 src1_sel:DWORD
	s_and_saveexec_b32 s14, s0
	s_cbranch_execz .LBB193_468
; %bb.461:                              ;   in Loop: Header=BB193_350 Depth=1
	v_mov_b32_e32 v11, v6
	v_mov_b32_e32 v20, v12
	v_cmp_ne_u16_sdwa s0, v61, v40 src0_sel:BYTE_1 src1_sel:DWORD
	v_mov_b32_e32 v19, v11
	s_and_saveexec_b32 s15, s0
	s_cbranch_execz .LBB193_467
; %bb.462:                              ;   in Loop: Header=BB193_350 Depth=1
	v_and_b32_sdwa v5, v41, v61 dst_sel:DWORD dst_unused:UNUSED_PAD src0_sel:DWORD src1_sel:BYTE_1
	v_mov_b32_e32 v13, v6
	v_mov_b32_e32 v20, v14
	s_mov_b32 s16, exec_lo
	v_and_b32_e32 v21, 0x7f, v5
	v_mov_b32_e32 v19, v13
	v_cmpx_ne_u32_e32 0x7f, v21
	s_cbranch_execz .LBB193_466
; %bb.463:                              ;   in Loop: Header=BB193_350 Depth=1
	v_and_b32_e32 v5, 7, v5
	v_lshrrev_b32_e32 v11, 3, v21
	s_mov_b32 s17, exec_lo
	v_cmpx_gt_u32_e32 8, v21
; %bb.464:                              ;   in Loop: Header=BB193_350 Depth=1
	v_ffbh_u32_e32 v11, v5
	v_min_u32_e32 v11, 32, v11
	v_subrev_nc_u32_e32 v13, 28, v11
	v_sub_nc_u32_e32 v11, 29, v11
	v_lshlrev_b64 v[19:20], v13, v[5:6]
	v_and_b32_e32 v5, 7, v19
; %bb.465:                              ;   in Loop: Header=BB193_350 Depth=1
	s_or_b32 exec_lo, exec_lo, s17
	v_lshlrev_b32_e32 v13, 16, v61
	v_lshlrev_b32_e32 v5, 20, v5
	v_lshl_add_u32 v11, v11, 23, 0x3c000000
	v_mov_b32_e32 v19, v6
	v_and_b32_e32 v13, 0x80000000, v13
	v_or3_b32 v20, v5, v13, v11
.LBB193_466:                            ;   in Loop: Header=BB193_350 Depth=1
	s_or_b32 exec_lo, exec_lo, s16
.LBB193_467:                            ;   in Loop: Header=BB193_350 Depth=1
	s_or_b32 exec_lo, exec_lo, s15
.LBB193_468:                            ;   in Loop: Header=BB193_350 Depth=1
	s_or_b32 exec_lo, exec_lo, s14
	v_mov_b32_e32 v23, 0
	v_mov_b32_e32 v21, 0
	v_and_b32_sdwa v5, v61, v42 dst_sel:DWORD dst_unused:UNUSED_PAD src0_sel:WORD_1 src1_sel:DWORD
	v_mov_b32_e32 v24, 0
	v_mov_b32_e32 v22, 0
	s_mov_b32 s14, exec_lo
	v_cmpx_ne_u16_e32 0, v5
	s_cbranch_execz .LBB193_476
; %bb.469:                              ;   in Loop: Header=BB193_350 Depth=1
	v_bfrev_b32_e32 v21, 1
	v_mov_b32_e32 v22, 0
	s_mov_b32 s15, exec_lo
	v_cmpx_ne_u16_e32 0x80, v5
	s_cbranch_execz .LBB193_475
; %bb.470:                              ;   in Loop: Header=BB193_350 Depth=1
	v_mov_b32_e32 v21, 0x7f800001
	v_bfe_u32 v13, v61, 16, 7
	v_mov_b32_e32 v22, 0
	s_mov_b32 s16, exec_lo
	v_cmpx_ne_u32_e32 0x7f, v13
	s_cbranch_execz .LBB193_474
; %bb.471:                              ;   in Loop: Header=BB193_350 Depth=1
	v_and_b32_sdwa v5, v61, v43 dst_sel:DWORD dst_unused:UNUSED_PAD src0_sel:WORD_1 src1_sel:DWORD
	v_lshrrev_b32_e32 v11, 3, v13
	s_mov_b32 s17, exec_lo
	v_cmpx_gt_u32_e32 8, v13
; %bb.472:                              ;   in Loop: Header=BB193_350 Depth=1
	v_ffbh_u32_e32 v11, v5
	v_min_u32_e32 v11, 32, v11
	v_subrev_nc_u32_e32 v13, 28, v11
	v_sub_nc_u32_e32 v11, 29, v11
	v_lshlrev_b64 v[21:22], v13, v[5:6]
	v_and_b32_e32 v5, 7, v21
; %bb.473:                              ;   in Loop: Header=BB193_350 Depth=1
	s_or_b32 exec_lo, exec_lo, s17
	v_lshlrev_b32_sdwa v13, v44, v61 dst_sel:DWORD dst_unused:UNUSED_PAD src0_sel:DWORD src1_sel:WORD_1
	v_lshlrev_b32_e32 v5, 20, v5
	v_lshl_add_u32 v11, v11, 23, 0x3c000000
	v_and_b32_e32 v13, 0x80000000, v13
	v_or3_b32 v5, v5, v13, v11
	v_mov_b32_e32 v22, v6
	v_mov_b32_e32 v21, v5
.LBB193_474:                            ;   in Loop: Header=BB193_350 Depth=1
	s_or_b32 exec_lo, exec_lo, s16
.LBB193_475:                            ;   in Loop: Header=BB193_350 Depth=1
	s_or_b32 exec_lo, exec_lo, s15
.LBB193_476:                            ;   in Loop: Header=BB193_350 Depth=1
	s_or_b32 exec_lo, exec_lo, s14
	s_mov_b32 s14, exec_lo
	v_cmpx_lt_u32_e32 0xffffff, v61
	s_cbranch_execz .LBB193_484
; %bb.477:                              ;   in Loop: Header=BB193_350 Depth=1
	v_mov_b32_e32 v11, v6
	v_mov_b32_e32 v24, v12
	v_cmp_ne_u32_sdwa s0, v61, v40 src0_sel:BYTE_3 src1_sel:DWORD
	v_mov_b32_e32 v23, v11
	s_and_saveexec_b32 s15, s0
	s_cbranch_execz .LBB193_483
; %bb.478:                              ;   in Loop: Header=BB193_350 Depth=1
	v_mov_b32_e32 v13, v6
	v_mov_b32_e32 v24, v14
	v_bfe_u32 v62, v61, 24, 7
	s_mov_b32 s16, exec_lo
	v_mov_b32_e32 v23, v13
	v_cmpx_ne_u32_e32 0x7f, v62
	s_cbranch_execz .LBB193_482
; %bb.479:                              ;   in Loop: Header=BB193_350 Depth=1
	v_and_b32_sdwa v5, v61, v43 dst_sel:DWORD dst_unused:UNUSED_PAD src0_sel:BYTE_3 src1_sel:DWORD
	v_lshrrev_b32_e32 v11, 3, v62
	s_mov_b32 s17, exec_lo
	v_cmpx_gt_u32_e32 8, v62
; %bb.480:                              ;   in Loop: Header=BB193_350 Depth=1
	v_ffbh_u32_e32 v11, v5
	v_min_u32_e32 v11, 32, v11
	v_subrev_nc_u32_e32 v13, 28, v11
	v_sub_nc_u32_e32 v11, 29, v11
	v_lshlrev_b64 v[23:24], v13, v[5:6]
	v_and_b32_e32 v5, 7, v23
; %bb.481:                              ;   in Loop: Header=BB193_350 Depth=1
	s_or_b32 exec_lo, exec_lo, s17
	v_lshlrev_b32_sdwa v13, v44, v61 dst_sel:DWORD dst_unused:UNUSED_PAD src0_sel:DWORD src1_sel:BYTE_3
	v_lshlrev_b32_e32 v5, 20, v5
	v_lshl_add_u32 v11, v11, 23, 0x3c000000
	v_mov_b32_e32 v23, v6
	v_and_b32_e32 v13, 0x80000000, v13
	v_or3_b32 v24, v5, v13, v11
.LBB193_482:                            ;   in Loop: Header=BB193_350 Depth=1
	s_or_b32 exec_lo, exec_lo, s16
.LBB193_483:                            ;   in Loop: Header=BB193_350 Depth=1
	s_or_b32 exec_lo, exec_lo, s15
.LBB193_484:                            ;   in Loop: Header=BB193_350 Depth=1
	s_or_b32 exec_lo, exec_lo, s14
	v_or_b32_e32 v5, v20, v18
	v_or_b32_e32 v11, v19, v17
	;; [unrolled: 1-line block ×4, first 2 shown]
	v_mul_f32_e32 v63, s13, v5
	v_mul_f32_e32 v64, s2, v11
	v_mul_f32_e32 v62, s2, v13
	v_mul_f32_e32 v61, s13, v17
	s_and_saveexec_b32 s14, vcc_lo
	s_cbranch_execz .LBB193_486
; %bb.485:                              ;   in Loop: Header=BB193_350 Depth=1
	v_cmp_gt_i32_e64 s0, s11, v50
	v_cndmask_b32_e64 v64, 0, v64, s0
	v_cmp_gt_i32_e64 s0, s11, v52
	v_cndmask_b32_e64 v63, 0, v63, s0
	v_cmp_gt_i32_e64 s0, s11, v51
	v_cndmask_b32_e64 v62, 0, v62, s0
	v_cmp_gt_i32_e64 s0, s11, v38
	v_cndmask_b32_e64 v61, 0, v61, s0
.LBB193_486:                            ;   in Loop: Header=BB193_350 Depth=1
	s_or_b32 exec_lo, exec_lo, s14
	global_load_dword v65, v[15:16], off offset:512
	v_mov_b32_e32 v19, 0
	v_mov_b32_e32 v17, 0
	;; [unrolled: 1-line block ×4, first 2 shown]
	s_waitcnt vmcnt(0)
	v_cmp_ne_u16_sdwa s0, v65, v6 src0_sel:BYTE_0 src1_sel:DWORD
	s_and_saveexec_b32 s14, s0
	s_cbranch_execz .LBB193_494
; %bb.487:                              ;   in Loop: Header=BB193_350 Depth=1
	v_bfrev_b32_e32 v17, 1
	v_mov_b32_e32 v18, 0
	v_cmp_ne_u16_sdwa s0, v65, v40 src0_sel:BYTE_0 src1_sel:DWORD
	s_and_saveexec_b32 s15, s0
	s_cbranch_execz .LBB193_493
; %bb.488:                              ;   in Loop: Header=BB193_350 Depth=1
	v_mov_b32_e32 v17, 0x7f800001
	v_and_b32_e32 v13, 0x7f, v65
	v_mov_b32_e32 v18, 0
	s_mov_b32 s16, exec_lo
	v_cmpx_ne_u32_e32 0x7f, v13
	s_cbranch_execz .LBB193_492
; %bb.489:                              ;   in Loop: Header=BB193_350 Depth=1
	v_and_b32_e32 v5, 7, v65
	v_lshrrev_b32_e32 v11, 3, v13
	s_mov_b32 s17, exec_lo
	v_cmpx_gt_u32_e32 8, v13
; %bb.490:                              ;   in Loop: Header=BB193_350 Depth=1
	v_ffbh_u32_e32 v11, v5
	v_min_u32_e32 v11, 32, v11
	v_subrev_nc_u32_e32 v13, 28, v11
	v_sub_nc_u32_e32 v11, 29, v11
	v_lshlrev_b64 v[17:18], v13, v[5:6]
	v_and_b32_e32 v5, 7, v17
; %bb.491:                              ;   in Loop: Header=BB193_350 Depth=1
	s_or_b32 exec_lo, exec_lo, s17
	v_lshlrev_b32_e32 v13, 24, v65
	v_lshlrev_b32_e32 v5, 20, v5
	v_lshl_add_u32 v11, v11, 23, 0x3c000000
	v_and_b32_e32 v13, 0x80000000, v13
	v_or3_b32 v5, v5, v13, v11
	v_mov_b32_e32 v18, v6
	v_mov_b32_e32 v17, v5
.LBB193_492:                            ;   in Loop: Header=BB193_350 Depth=1
	s_or_b32 exec_lo, exec_lo, s16
.LBB193_493:                            ;   in Loop: Header=BB193_350 Depth=1
	s_or_b32 exec_lo, exec_lo, s15
.LBB193_494:                            ;   in Loop: Header=BB193_350 Depth=1
	s_or_b32 exec_lo, exec_lo, s14
	v_cmp_ne_u16_sdwa s0, v65, v6 src0_sel:BYTE_1 src1_sel:DWORD
	s_and_saveexec_b32 s14, s0
	s_cbranch_execz .LBB193_502
; %bb.495:                              ;   in Loop: Header=BB193_350 Depth=1
	v_mov_b32_e32 v11, v6
	v_mov_b32_e32 v20, v12
	v_cmp_ne_u16_sdwa s0, v65, v40 src0_sel:BYTE_1 src1_sel:DWORD
	v_mov_b32_e32 v19, v11
	s_and_saveexec_b32 s15, s0
	s_cbranch_execz .LBB193_501
; %bb.496:                              ;   in Loop: Header=BB193_350 Depth=1
	v_and_b32_sdwa v5, v41, v65 dst_sel:DWORD dst_unused:UNUSED_PAD src0_sel:DWORD src1_sel:BYTE_1
	v_mov_b32_e32 v13, v6
	v_mov_b32_e32 v20, v14
	s_mov_b32 s16, exec_lo
	v_and_b32_e32 v21, 0x7f, v5
	v_mov_b32_e32 v19, v13
	v_cmpx_ne_u32_e32 0x7f, v21
	s_cbranch_execz .LBB193_500
; %bb.497:                              ;   in Loop: Header=BB193_350 Depth=1
	v_and_b32_e32 v5, 7, v5
	v_lshrrev_b32_e32 v11, 3, v21
	s_mov_b32 s17, exec_lo
	v_cmpx_gt_u32_e32 8, v21
; %bb.498:                              ;   in Loop: Header=BB193_350 Depth=1
	v_ffbh_u32_e32 v11, v5
	v_min_u32_e32 v11, 32, v11
	v_subrev_nc_u32_e32 v13, 28, v11
	v_sub_nc_u32_e32 v11, 29, v11
	v_lshlrev_b64 v[19:20], v13, v[5:6]
	v_and_b32_e32 v5, 7, v19
; %bb.499:                              ;   in Loop: Header=BB193_350 Depth=1
	s_or_b32 exec_lo, exec_lo, s17
	v_lshlrev_b32_e32 v13, 16, v65
	v_lshlrev_b32_e32 v5, 20, v5
	v_lshl_add_u32 v11, v11, 23, 0x3c000000
	v_mov_b32_e32 v19, v6
	v_and_b32_e32 v13, 0x80000000, v13
	v_or3_b32 v20, v5, v13, v11
.LBB193_500:                            ;   in Loop: Header=BB193_350 Depth=1
	s_or_b32 exec_lo, exec_lo, s16
.LBB193_501:                            ;   in Loop: Header=BB193_350 Depth=1
	s_or_b32 exec_lo, exec_lo, s15
.LBB193_502:                            ;   in Loop: Header=BB193_350 Depth=1
	s_or_b32 exec_lo, exec_lo, s14
	v_mov_b32_e32 v23, 0
	v_mov_b32_e32 v21, 0
	v_and_b32_sdwa v5, v65, v42 dst_sel:DWORD dst_unused:UNUSED_PAD src0_sel:WORD_1 src1_sel:DWORD
	v_mov_b32_e32 v24, 0
	v_mov_b32_e32 v22, 0
	s_mov_b32 s14, exec_lo
	v_cmpx_ne_u16_e32 0, v5
	s_cbranch_execz .LBB193_510
; %bb.503:                              ;   in Loop: Header=BB193_350 Depth=1
	v_bfrev_b32_e32 v21, 1
	v_mov_b32_e32 v22, 0
	s_mov_b32 s15, exec_lo
	v_cmpx_ne_u16_e32 0x80, v5
	s_cbranch_execz .LBB193_509
; %bb.504:                              ;   in Loop: Header=BB193_350 Depth=1
	v_mov_b32_e32 v21, 0x7f800001
	v_bfe_u32 v13, v65, 16, 7
	v_mov_b32_e32 v22, 0
	s_mov_b32 s16, exec_lo
	v_cmpx_ne_u32_e32 0x7f, v13
	s_cbranch_execz .LBB193_508
; %bb.505:                              ;   in Loop: Header=BB193_350 Depth=1
	v_and_b32_sdwa v5, v65, v43 dst_sel:DWORD dst_unused:UNUSED_PAD src0_sel:WORD_1 src1_sel:DWORD
	v_lshrrev_b32_e32 v11, 3, v13
	s_mov_b32 s17, exec_lo
	v_cmpx_gt_u32_e32 8, v13
; %bb.506:                              ;   in Loop: Header=BB193_350 Depth=1
	v_ffbh_u32_e32 v11, v5
	v_min_u32_e32 v11, 32, v11
	v_subrev_nc_u32_e32 v13, 28, v11
	v_sub_nc_u32_e32 v11, 29, v11
	v_lshlrev_b64 v[21:22], v13, v[5:6]
	v_and_b32_e32 v5, 7, v21
; %bb.507:                              ;   in Loop: Header=BB193_350 Depth=1
	s_or_b32 exec_lo, exec_lo, s17
	v_lshlrev_b32_sdwa v13, v44, v65 dst_sel:DWORD dst_unused:UNUSED_PAD src0_sel:DWORD src1_sel:WORD_1
	v_lshlrev_b32_e32 v5, 20, v5
	v_lshl_add_u32 v11, v11, 23, 0x3c000000
	v_and_b32_e32 v13, 0x80000000, v13
	v_or3_b32 v5, v5, v13, v11
	v_mov_b32_e32 v22, v6
	v_mov_b32_e32 v21, v5
.LBB193_508:                            ;   in Loop: Header=BB193_350 Depth=1
	s_or_b32 exec_lo, exec_lo, s16
.LBB193_509:                            ;   in Loop: Header=BB193_350 Depth=1
	s_or_b32 exec_lo, exec_lo, s15
.LBB193_510:                            ;   in Loop: Header=BB193_350 Depth=1
	s_or_b32 exec_lo, exec_lo, s14
	s_mov_b32 s14, exec_lo
	v_cmpx_lt_u32_e32 0xffffff, v65
	s_cbranch_execz .LBB193_518
; %bb.511:                              ;   in Loop: Header=BB193_350 Depth=1
	v_mov_b32_e32 v11, v6
	v_mov_b32_e32 v24, v12
	v_cmp_ne_u32_sdwa s0, v65, v40 src0_sel:BYTE_3 src1_sel:DWORD
	v_mov_b32_e32 v23, v11
	s_and_saveexec_b32 s15, s0
	s_cbranch_execz .LBB193_517
; %bb.512:                              ;   in Loop: Header=BB193_350 Depth=1
	v_mov_b32_e32 v13, v6
	v_mov_b32_e32 v24, v14
	v_bfe_u32 v66, v65, 24, 7
	s_mov_b32 s16, exec_lo
	v_mov_b32_e32 v23, v13
	v_cmpx_ne_u32_e32 0x7f, v66
	s_cbranch_execz .LBB193_516
; %bb.513:                              ;   in Loop: Header=BB193_350 Depth=1
	v_and_b32_sdwa v5, v65, v43 dst_sel:DWORD dst_unused:UNUSED_PAD src0_sel:BYTE_3 src1_sel:DWORD
	v_lshrrev_b32_e32 v11, 3, v66
	s_mov_b32 s17, exec_lo
	v_cmpx_gt_u32_e32 8, v66
; %bb.514:                              ;   in Loop: Header=BB193_350 Depth=1
	v_ffbh_u32_e32 v11, v5
	v_min_u32_e32 v11, 32, v11
	v_subrev_nc_u32_e32 v13, 28, v11
	v_sub_nc_u32_e32 v11, 29, v11
	v_lshlrev_b64 v[23:24], v13, v[5:6]
	v_and_b32_e32 v5, 7, v23
; %bb.515:                              ;   in Loop: Header=BB193_350 Depth=1
	s_or_b32 exec_lo, exec_lo, s17
	v_lshlrev_b32_sdwa v13, v44, v65 dst_sel:DWORD dst_unused:UNUSED_PAD src0_sel:DWORD src1_sel:BYTE_3
	v_lshlrev_b32_e32 v5, 20, v5
	v_lshl_add_u32 v11, v11, 23, 0x3c000000
	v_mov_b32_e32 v23, v6
	v_and_b32_e32 v13, 0x80000000, v13
	v_or3_b32 v24, v5, v13, v11
.LBB193_516:                            ;   in Loop: Header=BB193_350 Depth=1
	s_or_b32 exec_lo, exec_lo, s16
.LBB193_517:                            ;   in Loop: Header=BB193_350 Depth=1
	s_or_b32 exec_lo, exec_lo, s15
.LBB193_518:                            ;   in Loop: Header=BB193_350 Depth=1
	s_or_b32 exec_lo, exec_lo, s14
	v_or_b32_e32 v5, v20, v18
	v_or_b32_e32 v11, v19, v17
	;; [unrolled: 1-line block ×4, first 2 shown]
	v_mul_f32_e32 v67, s13, v5
	v_mul_f32_e32 v68, s2, v11
	;; [unrolled: 1-line block ×4, first 2 shown]
	s_and_saveexec_b32 s14, vcc_lo
	s_cbranch_execz .LBB193_520
; %bb.519:                              ;   in Loop: Header=BB193_350 Depth=1
	v_cmp_gt_i32_e64 s0, s11, v50
	v_cndmask_b32_e64 v68, 0, v68, s0
	v_cmp_gt_i32_e64 s0, s11, v52
	v_cndmask_b32_e64 v67, 0, v67, s0
	;; [unrolled: 2-line block ×4, first 2 shown]
.LBB193_520:                            ;   in Loop: Header=BB193_350 Depth=1
	s_or_b32 exec_lo, exec_lo, s14
	global_load_dword v69, v[15:16], off offset:640
	v_mov_b32_e32 v19, 0
	v_mov_b32_e32 v17, 0
	;; [unrolled: 1-line block ×4, first 2 shown]
	s_waitcnt vmcnt(0)
	v_cmp_ne_u16_sdwa s0, v69, v6 src0_sel:BYTE_0 src1_sel:DWORD
	s_and_saveexec_b32 s14, s0
	s_cbranch_execz .LBB193_528
; %bb.521:                              ;   in Loop: Header=BB193_350 Depth=1
	v_bfrev_b32_e32 v17, 1
	v_mov_b32_e32 v18, 0
	v_cmp_ne_u16_sdwa s0, v69, v40 src0_sel:BYTE_0 src1_sel:DWORD
	s_and_saveexec_b32 s15, s0
	s_cbranch_execz .LBB193_527
; %bb.522:                              ;   in Loop: Header=BB193_350 Depth=1
	v_mov_b32_e32 v17, 0x7f800001
	v_and_b32_e32 v13, 0x7f, v69
	v_mov_b32_e32 v18, 0
	s_mov_b32 s16, exec_lo
	v_cmpx_ne_u32_e32 0x7f, v13
	s_cbranch_execz .LBB193_526
; %bb.523:                              ;   in Loop: Header=BB193_350 Depth=1
	v_and_b32_e32 v5, 7, v69
	v_lshrrev_b32_e32 v11, 3, v13
	s_mov_b32 s17, exec_lo
	v_cmpx_gt_u32_e32 8, v13
; %bb.524:                              ;   in Loop: Header=BB193_350 Depth=1
	v_ffbh_u32_e32 v11, v5
	v_min_u32_e32 v11, 32, v11
	v_subrev_nc_u32_e32 v13, 28, v11
	v_sub_nc_u32_e32 v11, 29, v11
	v_lshlrev_b64 v[17:18], v13, v[5:6]
	v_and_b32_e32 v5, 7, v17
; %bb.525:                              ;   in Loop: Header=BB193_350 Depth=1
	s_or_b32 exec_lo, exec_lo, s17
	v_lshlrev_b32_e32 v13, 24, v69
	v_lshlrev_b32_e32 v5, 20, v5
	v_lshl_add_u32 v11, v11, 23, 0x3c000000
	v_and_b32_e32 v13, 0x80000000, v13
	v_or3_b32 v5, v5, v13, v11
	v_mov_b32_e32 v18, v6
	v_mov_b32_e32 v17, v5
.LBB193_526:                            ;   in Loop: Header=BB193_350 Depth=1
	s_or_b32 exec_lo, exec_lo, s16
.LBB193_527:                            ;   in Loop: Header=BB193_350 Depth=1
	s_or_b32 exec_lo, exec_lo, s15
.LBB193_528:                            ;   in Loop: Header=BB193_350 Depth=1
	s_or_b32 exec_lo, exec_lo, s14
	v_cmp_ne_u16_sdwa s0, v69, v6 src0_sel:BYTE_1 src1_sel:DWORD
	s_and_saveexec_b32 s14, s0
	s_cbranch_execz .LBB193_536
; %bb.529:                              ;   in Loop: Header=BB193_350 Depth=1
	v_mov_b32_e32 v11, v6
	v_mov_b32_e32 v20, v12
	v_cmp_ne_u16_sdwa s0, v69, v40 src0_sel:BYTE_1 src1_sel:DWORD
	v_mov_b32_e32 v19, v11
	s_and_saveexec_b32 s15, s0
	s_cbranch_execz .LBB193_535
; %bb.530:                              ;   in Loop: Header=BB193_350 Depth=1
	v_and_b32_sdwa v5, v41, v69 dst_sel:DWORD dst_unused:UNUSED_PAD src0_sel:DWORD src1_sel:BYTE_1
	v_mov_b32_e32 v13, v6
	v_mov_b32_e32 v20, v14
	s_mov_b32 s16, exec_lo
	v_and_b32_e32 v21, 0x7f, v5
	v_mov_b32_e32 v19, v13
	v_cmpx_ne_u32_e32 0x7f, v21
	s_cbranch_execz .LBB193_534
; %bb.531:                              ;   in Loop: Header=BB193_350 Depth=1
	v_and_b32_e32 v5, 7, v5
	v_lshrrev_b32_e32 v11, 3, v21
	s_mov_b32 s17, exec_lo
	v_cmpx_gt_u32_e32 8, v21
; %bb.532:                              ;   in Loop: Header=BB193_350 Depth=1
	v_ffbh_u32_e32 v11, v5
	v_min_u32_e32 v11, 32, v11
	v_subrev_nc_u32_e32 v13, 28, v11
	v_sub_nc_u32_e32 v11, 29, v11
	v_lshlrev_b64 v[19:20], v13, v[5:6]
	v_and_b32_e32 v5, 7, v19
; %bb.533:                              ;   in Loop: Header=BB193_350 Depth=1
	s_or_b32 exec_lo, exec_lo, s17
	v_lshlrev_b32_e32 v13, 16, v69
	v_lshlrev_b32_e32 v5, 20, v5
	v_lshl_add_u32 v11, v11, 23, 0x3c000000
	v_mov_b32_e32 v19, v6
	v_and_b32_e32 v13, 0x80000000, v13
	v_or3_b32 v20, v5, v13, v11
.LBB193_534:                            ;   in Loop: Header=BB193_350 Depth=1
	s_or_b32 exec_lo, exec_lo, s16
.LBB193_535:                            ;   in Loop: Header=BB193_350 Depth=1
	s_or_b32 exec_lo, exec_lo, s15
.LBB193_536:                            ;   in Loop: Header=BB193_350 Depth=1
	s_or_b32 exec_lo, exec_lo, s14
	v_mov_b32_e32 v23, 0
	v_mov_b32_e32 v21, 0
	v_and_b32_sdwa v5, v69, v42 dst_sel:DWORD dst_unused:UNUSED_PAD src0_sel:WORD_1 src1_sel:DWORD
	v_mov_b32_e32 v24, 0
	v_mov_b32_e32 v22, 0
	s_mov_b32 s14, exec_lo
	v_cmpx_ne_u16_e32 0, v5
	s_cbranch_execz .LBB193_544
; %bb.537:                              ;   in Loop: Header=BB193_350 Depth=1
	v_bfrev_b32_e32 v21, 1
	v_mov_b32_e32 v22, 0
	s_mov_b32 s15, exec_lo
	v_cmpx_ne_u16_e32 0x80, v5
	s_cbranch_execz .LBB193_543
; %bb.538:                              ;   in Loop: Header=BB193_350 Depth=1
	v_mov_b32_e32 v21, 0x7f800001
	v_bfe_u32 v13, v69, 16, 7
	v_mov_b32_e32 v22, 0
	s_mov_b32 s16, exec_lo
	v_cmpx_ne_u32_e32 0x7f, v13
	s_cbranch_execz .LBB193_542
; %bb.539:                              ;   in Loop: Header=BB193_350 Depth=1
	v_and_b32_sdwa v5, v69, v43 dst_sel:DWORD dst_unused:UNUSED_PAD src0_sel:WORD_1 src1_sel:DWORD
	v_lshrrev_b32_e32 v11, 3, v13
	s_mov_b32 s17, exec_lo
	v_cmpx_gt_u32_e32 8, v13
; %bb.540:                              ;   in Loop: Header=BB193_350 Depth=1
	v_ffbh_u32_e32 v11, v5
	v_min_u32_e32 v11, 32, v11
	v_subrev_nc_u32_e32 v13, 28, v11
	v_sub_nc_u32_e32 v11, 29, v11
	v_lshlrev_b64 v[21:22], v13, v[5:6]
	v_and_b32_e32 v5, 7, v21
; %bb.541:                              ;   in Loop: Header=BB193_350 Depth=1
	s_or_b32 exec_lo, exec_lo, s17
	v_lshlrev_b32_sdwa v13, v44, v69 dst_sel:DWORD dst_unused:UNUSED_PAD src0_sel:DWORD src1_sel:WORD_1
	v_lshlrev_b32_e32 v5, 20, v5
	v_lshl_add_u32 v11, v11, 23, 0x3c000000
	v_and_b32_e32 v13, 0x80000000, v13
	v_or3_b32 v5, v5, v13, v11
	v_mov_b32_e32 v22, v6
	v_mov_b32_e32 v21, v5
.LBB193_542:                            ;   in Loop: Header=BB193_350 Depth=1
	s_or_b32 exec_lo, exec_lo, s16
.LBB193_543:                            ;   in Loop: Header=BB193_350 Depth=1
	s_or_b32 exec_lo, exec_lo, s15
.LBB193_544:                            ;   in Loop: Header=BB193_350 Depth=1
	s_or_b32 exec_lo, exec_lo, s14
	s_mov_b32 s14, exec_lo
	v_cmpx_lt_u32_e32 0xffffff, v69
	s_cbranch_execz .LBB193_552
; %bb.545:                              ;   in Loop: Header=BB193_350 Depth=1
	v_mov_b32_e32 v11, v6
	v_mov_b32_e32 v24, v12
	v_cmp_ne_u32_sdwa s0, v69, v40 src0_sel:BYTE_3 src1_sel:DWORD
	v_mov_b32_e32 v23, v11
	s_and_saveexec_b32 s15, s0
	s_cbranch_execz .LBB193_551
; %bb.546:                              ;   in Loop: Header=BB193_350 Depth=1
	v_mov_b32_e32 v13, v6
	v_mov_b32_e32 v24, v14
	v_bfe_u32 v70, v69, 24, 7
	s_mov_b32 s16, exec_lo
	v_mov_b32_e32 v23, v13
	v_cmpx_ne_u32_e32 0x7f, v70
	s_cbranch_execz .LBB193_550
; %bb.547:                              ;   in Loop: Header=BB193_350 Depth=1
	v_and_b32_sdwa v5, v69, v43 dst_sel:DWORD dst_unused:UNUSED_PAD src0_sel:BYTE_3 src1_sel:DWORD
	v_lshrrev_b32_e32 v11, 3, v70
	s_mov_b32 s17, exec_lo
	v_cmpx_gt_u32_e32 8, v70
; %bb.548:                              ;   in Loop: Header=BB193_350 Depth=1
	v_ffbh_u32_e32 v11, v5
	v_min_u32_e32 v11, 32, v11
	v_subrev_nc_u32_e32 v13, 28, v11
	v_sub_nc_u32_e32 v11, 29, v11
	v_lshlrev_b64 v[23:24], v13, v[5:6]
	v_and_b32_e32 v5, 7, v23
; %bb.549:                              ;   in Loop: Header=BB193_350 Depth=1
	s_or_b32 exec_lo, exec_lo, s17
	v_lshlrev_b32_sdwa v13, v44, v69 dst_sel:DWORD dst_unused:UNUSED_PAD src0_sel:DWORD src1_sel:BYTE_3
	v_lshlrev_b32_e32 v5, 20, v5
	v_lshl_add_u32 v11, v11, 23, 0x3c000000
	v_mov_b32_e32 v23, v6
	v_and_b32_e32 v13, 0x80000000, v13
	v_or3_b32 v24, v5, v13, v11
.LBB193_550:                            ;   in Loop: Header=BB193_350 Depth=1
	s_or_b32 exec_lo, exec_lo, s16
.LBB193_551:                            ;   in Loop: Header=BB193_350 Depth=1
	s_or_b32 exec_lo, exec_lo, s15
.LBB193_552:                            ;   in Loop: Header=BB193_350 Depth=1
	s_or_b32 exec_lo, exec_lo, s14
	v_or_b32_e32 v5, v20, v18
	v_or_b32_e32 v11, v19, v17
	;; [unrolled: 1-line block ×4, first 2 shown]
	v_mul_f32_e32 v71, s13, v5
	v_mul_f32_e32 v72, s2, v11
	;; [unrolled: 1-line block ×4, first 2 shown]
	s_and_saveexec_b32 s14, vcc_lo
	s_cbranch_execz .LBB193_554
; %bb.553:                              ;   in Loop: Header=BB193_350 Depth=1
	v_cmp_gt_i32_e64 s0, s11, v50
	v_cndmask_b32_e64 v72, 0, v72, s0
	v_cmp_gt_i32_e64 s0, s11, v52
	v_cndmask_b32_e64 v71, 0, v71, s0
	;; [unrolled: 2-line block ×4, first 2 shown]
.LBB193_554:                            ;   in Loop: Header=BB193_350 Depth=1
	s_or_b32 exec_lo, exec_lo, s14
	global_load_dword v73, v[15:16], off offset:768
	v_mov_b32_e32 v19, 0
	v_mov_b32_e32 v17, 0
	;; [unrolled: 1-line block ×4, first 2 shown]
	s_waitcnt vmcnt(0)
	v_cmp_ne_u16_sdwa s0, v73, v6 src0_sel:BYTE_0 src1_sel:DWORD
	s_and_saveexec_b32 s14, s0
	s_cbranch_execz .LBB193_562
; %bb.555:                              ;   in Loop: Header=BB193_350 Depth=1
	v_bfrev_b32_e32 v17, 1
	v_mov_b32_e32 v18, 0
	v_cmp_ne_u16_sdwa s0, v73, v40 src0_sel:BYTE_0 src1_sel:DWORD
	s_and_saveexec_b32 s15, s0
	s_cbranch_execz .LBB193_561
; %bb.556:                              ;   in Loop: Header=BB193_350 Depth=1
	v_mov_b32_e32 v17, 0x7f800001
	v_and_b32_e32 v13, 0x7f, v73
	v_mov_b32_e32 v18, 0
	s_mov_b32 s16, exec_lo
	v_cmpx_ne_u32_e32 0x7f, v13
	s_cbranch_execz .LBB193_560
; %bb.557:                              ;   in Loop: Header=BB193_350 Depth=1
	v_and_b32_e32 v5, 7, v73
	v_lshrrev_b32_e32 v11, 3, v13
	s_mov_b32 s17, exec_lo
	v_cmpx_gt_u32_e32 8, v13
; %bb.558:                              ;   in Loop: Header=BB193_350 Depth=1
	v_ffbh_u32_e32 v11, v5
	v_min_u32_e32 v11, 32, v11
	v_subrev_nc_u32_e32 v13, 28, v11
	v_sub_nc_u32_e32 v11, 29, v11
	v_lshlrev_b64 v[17:18], v13, v[5:6]
	v_and_b32_e32 v5, 7, v17
; %bb.559:                              ;   in Loop: Header=BB193_350 Depth=1
	s_or_b32 exec_lo, exec_lo, s17
	v_lshlrev_b32_e32 v13, 24, v73
	v_lshlrev_b32_e32 v5, 20, v5
	v_lshl_add_u32 v11, v11, 23, 0x3c000000
	v_and_b32_e32 v13, 0x80000000, v13
	v_or3_b32 v5, v5, v13, v11
	v_mov_b32_e32 v18, v6
	v_mov_b32_e32 v17, v5
.LBB193_560:                            ;   in Loop: Header=BB193_350 Depth=1
	s_or_b32 exec_lo, exec_lo, s16
.LBB193_561:                            ;   in Loop: Header=BB193_350 Depth=1
	s_or_b32 exec_lo, exec_lo, s15
.LBB193_562:                            ;   in Loop: Header=BB193_350 Depth=1
	s_or_b32 exec_lo, exec_lo, s14
	v_cmp_ne_u16_sdwa s0, v73, v6 src0_sel:BYTE_1 src1_sel:DWORD
	s_and_saveexec_b32 s14, s0
	s_cbranch_execz .LBB193_570
; %bb.563:                              ;   in Loop: Header=BB193_350 Depth=1
	v_mov_b32_e32 v11, v6
	v_mov_b32_e32 v20, v12
	v_cmp_ne_u16_sdwa s0, v73, v40 src0_sel:BYTE_1 src1_sel:DWORD
	v_mov_b32_e32 v19, v11
	s_and_saveexec_b32 s15, s0
	s_cbranch_execz .LBB193_569
; %bb.564:                              ;   in Loop: Header=BB193_350 Depth=1
	v_and_b32_sdwa v5, v41, v73 dst_sel:DWORD dst_unused:UNUSED_PAD src0_sel:DWORD src1_sel:BYTE_1
	v_mov_b32_e32 v13, v6
	v_mov_b32_e32 v20, v14
	s_mov_b32 s16, exec_lo
	v_and_b32_e32 v21, 0x7f, v5
	v_mov_b32_e32 v19, v13
	v_cmpx_ne_u32_e32 0x7f, v21
	s_cbranch_execz .LBB193_568
; %bb.565:                              ;   in Loop: Header=BB193_350 Depth=1
	v_and_b32_e32 v5, 7, v5
	v_lshrrev_b32_e32 v11, 3, v21
	s_mov_b32 s17, exec_lo
	v_cmpx_gt_u32_e32 8, v21
; %bb.566:                              ;   in Loop: Header=BB193_350 Depth=1
	v_ffbh_u32_e32 v11, v5
	v_min_u32_e32 v11, 32, v11
	v_subrev_nc_u32_e32 v13, 28, v11
	v_sub_nc_u32_e32 v11, 29, v11
	v_lshlrev_b64 v[19:20], v13, v[5:6]
	v_and_b32_e32 v5, 7, v19
; %bb.567:                              ;   in Loop: Header=BB193_350 Depth=1
	s_or_b32 exec_lo, exec_lo, s17
	v_lshlrev_b32_e32 v13, 16, v73
	v_lshlrev_b32_e32 v5, 20, v5
	v_lshl_add_u32 v11, v11, 23, 0x3c000000
	v_mov_b32_e32 v19, v6
	v_and_b32_e32 v13, 0x80000000, v13
	v_or3_b32 v20, v5, v13, v11
.LBB193_568:                            ;   in Loop: Header=BB193_350 Depth=1
	s_or_b32 exec_lo, exec_lo, s16
.LBB193_569:                            ;   in Loop: Header=BB193_350 Depth=1
	s_or_b32 exec_lo, exec_lo, s15
.LBB193_570:                            ;   in Loop: Header=BB193_350 Depth=1
	s_or_b32 exec_lo, exec_lo, s14
	v_mov_b32_e32 v23, 0
	v_mov_b32_e32 v21, 0
	v_and_b32_sdwa v5, v73, v42 dst_sel:DWORD dst_unused:UNUSED_PAD src0_sel:WORD_1 src1_sel:DWORD
	v_mov_b32_e32 v24, 0
	v_mov_b32_e32 v22, 0
	s_mov_b32 s14, exec_lo
	v_cmpx_ne_u16_e32 0, v5
	s_cbranch_execz .LBB193_578
; %bb.571:                              ;   in Loop: Header=BB193_350 Depth=1
	v_bfrev_b32_e32 v21, 1
	v_mov_b32_e32 v22, 0
	s_mov_b32 s15, exec_lo
	v_cmpx_ne_u16_e32 0x80, v5
	s_cbranch_execz .LBB193_577
; %bb.572:                              ;   in Loop: Header=BB193_350 Depth=1
	v_mov_b32_e32 v21, 0x7f800001
	v_bfe_u32 v13, v73, 16, 7
	v_mov_b32_e32 v22, 0
	s_mov_b32 s16, exec_lo
	v_cmpx_ne_u32_e32 0x7f, v13
	s_cbranch_execz .LBB193_576
; %bb.573:                              ;   in Loop: Header=BB193_350 Depth=1
	v_and_b32_sdwa v5, v73, v43 dst_sel:DWORD dst_unused:UNUSED_PAD src0_sel:WORD_1 src1_sel:DWORD
	v_lshrrev_b32_e32 v11, 3, v13
	s_mov_b32 s17, exec_lo
	v_cmpx_gt_u32_e32 8, v13
; %bb.574:                              ;   in Loop: Header=BB193_350 Depth=1
	v_ffbh_u32_e32 v11, v5
	v_min_u32_e32 v11, 32, v11
	v_subrev_nc_u32_e32 v13, 28, v11
	v_sub_nc_u32_e32 v11, 29, v11
	v_lshlrev_b64 v[21:22], v13, v[5:6]
	v_and_b32_e32 v5, 7, v21
; %bb.575:                              ;   in Loop: Header=BB193_350 Depth=1
	s_or_b32 exec_lo, exec_lo, s17
	v_lshlrev_b32_sdwa v13, v44, v73 dst_sel:DWORD dst_unused:UNUSED_PAD src0_sel:DWORD src1_sel:WORD_1
	v_lshlrev_b32_e32 v5, 20, v5
	v_lshl_add_u32 v11, v11, 23, 0x3c000000
	v_and_b32_e32 v13, 0x80000000, v13
	v_or3_b32 v5, v5, v13, v11
	v_mov_b32_e32 v22, v6
	v_mov_b32_e32 v21, v5
.LBB193_576:                            ;   in Loop: Header=BB193_350 Depth=1
	s_or_b32 exec_lo, exec_lo, s16
.LBB193_577:                            ;   in Loop: Header=BB193_350 Depth=1
	s_or_b32 exec_lo, exec_lo, s15
.LBB193_578:                            ;   in Loop: Header=BB193_350 Depth=1
	s_or_b32 exec_lo, exec_lo, s14
	s_mov_b32 s14, exec_lo
	v_cmpx_lt_u32_e32 0xffffff, v73
	s_cbranch_execz .LBB193_586
; %bb.579:                              ;   in Loop: Header=BB193_350 Depth=1
	v_mov_b32_e32 v11, v6
	v_mov_b32_e32 v24, v12
	v_cmp_ne_u32_sdwa s0, v73, v40 src0_sel:BYTE_3 src1_sel:DWORD
	v_mov_b32_e32 v23, v11
	s_and_saveexec_b32 s15, s0
	s_cbranch_execz .LBB193_585
; %bb.580:                              ;   in Loop: Header=BB193_350 Depth=1
	v_mov_b32_e32 v13, v6
	v_mov_b32_e32 v24, v14
	v_bfe_u32 v74, v73, 24, 7
	s_mov_b32 s16, exec_lo
	v_mov_b32_e32 v23, v13
	v_cmpx_ne_u32_e32 0x7f, v74
	s_cbranch_execz .LBB193_584
; %bb.581:                              ;   in Loop: Header=BB193_350 Depth=1
	v_and_b32_sdwa v5, v73, v43 dst_sel:DWORD dst_unused:UNUSED_PAD src0_sel:BYTE_3 src1_sel:DWORD
	v_lshrrev_b32_e32 v11, 3, v74
	s_mov_b32 s17, exec_lo
	v_cmpx_gt_u32_e32 8, v74
; %bb.582:                              ;   in Loop: Header=BB193_350 Depth=1
	v_ffbh_u32_e32 v11, v5
	v_min_u32_e32 v11, 32, v11
	v_subrev_nc_u32_e32 v13, 28, v11
	v_sub_nc_u32_e32 v11, 29, v11
	v_lshlrev_b64 v[23:24], v13, v[5:6]
	v_and_b32_e32 v5, 7, v23
; %bb.583:                              ;   in Loop: Header=BB193_350 Depth=1
	s_or_b32 exec_lo, exec_lo, s17
	v_lshlrev_b32_sdwa v13, v44, v73 dst_sel:DWORD dst_unused:UNUSED_PAD src0_sel:DWORD src1_sel:BYTE_3
	v_lshlrev_b32_e32 v5, 20, v5
	v_lshl_add_u32 v11, v11, 23, 0x3c000000
	v_mov_b32_e32 v23, v6
	v_and_b32_e32 v13, 0x80000000, v13
	v_or3_b32 v24, v5, v13, v11
.LBB193_584:                            ;   in Loop: Header=BB193_350 Depth=1
	s_or_b32 exec_lo, exec_lo, s16
.LBB193_585:                            ;   in Loop: Header=BB193_350 Depth=1
	s_or_b32 exec_lo, exec_lo, s15
.LBB193_586:                            ;   in Loop: Header=BB193_350 Depth=1
	s_or_b32 exec_lo, exec_lo, s14
	v_or_b32_e32 v5, v20, v18
	v_or_b32_e32 v11, v19, v17
	;; [unrolled: 1-line block ×4, first 2 shown]
	v_mul_f32_e32 v75, s13, v5
	v_mul_f32_e32 v76, s2, v11
	;; [unrolled: 1-line block ×4, first 2 shown]
	s_and_saveexec_b32 s14, vcc_lo
	s_cbranch_execz .LBB193_588
; %bb.587:                              ;   in Loop: Header=BB193_350 Depth=1
	v_cmp_gt_i32_e64 s0, s11, v50
	v_cndmask_b32_e64 v76, 0, v76, s0
	v_cmp_gt_i32_e64 s0, s11, v52
	v_cndmask_b32_e64 v75, 0, v75, s0
	;; [unrolled: 2-line block ×4, first 2 shown]
.LBB193_588:                            ;   in Loop: Header=BB193_350 Depth=1
	s_or_b32 exec_lo, exec_lo, s14
	global_load_dword v77, v[15:16], off offset:896
	v_mov_b32_e32 v19, 0
	v_mov_b32_e32 v17, 0
	v_mov_b32_e32 v20, 0
	v_mov_b32_e32 v18, 0
	s_waitcnt vmcnt(0)
	v_cmp_ne_u16_sdwa s0, v77, v6 src0_sel:BYTE_0 src1_sel:DWORD
	s_and_saveexec_b32 s14, s0
	s_cbranch_execz .LBB193_596
; %bb.589:                              ;   in Loop: Header=BB193_350 Depth=1
	v_bfrev_b32_e32 v17, 1
	v_mov_b32_e32 v18, 0
	v_cmp_ne_u16_sdwa s0, v77, v40 src0_sel:BYTE_0 src1_sel:DWORD
	s_and_saveexec_b32 s15, s0
	s_cbranch_execz .LBB193_595
; %bb.590:                              ;   in Loop: Header=BB193_350 Depth=1
	v_mov_b32_e32 v17, 0x7f800001
	v_and_b32_e32 v13, 0x7f, v77
	v_mov_b32_e32 v18, 0
	s_mov_b32 s16, exec_lo
	v_cmpx_ne_u32_e32 0x7f, v13
	s_cbranch_execz .LBB193_594
; %bb.591:                              ;   in Loop: Header=BB193_350 Depth=1
	v_and_b32_e32 v5, 7, v77
	v_lshrrev_b32_e32 v11, 3, v13
	s_mov_b32 s17, exec_lo
	v_cmpx_gt_u32_e32 8, v13
; %bb.592:                              ;   in Loop: Header=BB193_350 Depth=1
	v_ffbh_u32_e32 v11, v5
	v_min_u32_e32 v11, 32, v11
	v_subrev_nc_u32_e32 v13, 28, v11
	v_sub_nc_u32_e32 v11, 29, v11
	v_lshlrev_b64 v[17:18], v13, v[5:6]
	v_and_b32_e32 v5, 7, v17
; %bb.593:                              ;   in Loop: Header=BB193_350 Depth=1
	s_or_b32 exec_lo, exec_lo, s17
	v_lshlrev_b32_e32 v13, 24, v77
	v_lshlrev_b32_e32 v5, 20, v5
	v_lshl_add_u32 v11, v11, 23, 0x3c000000
	v_and_b32_e32 v13, 0x80000000, v13
	v_or3_b32 v5, v5, v13, v11
	v_mov_b32_e32 v18, v6
	v_mov_b32_e32 v17, v5
.LBB193_594:                            ;   in Loop: Header=BB193_350 Depth=1
	s_or_b32 exec_lo, exec_lo, s16
.LBB193_595:                            ;   in Loop: Header=BB193_350 Depth=1
	s_or_b32 exec_lo, exec_lo, s15
.LBB193_596:                            ;   in Loop: Header=BB193_350 Depth=1
	s_or_b32 exec_lo, exec_lo, s14
	v_cmp_ne_u16_sdwa s0, v77, v6 src0_sel:BYTE_1 src1_sel:DWORD
	s_and_saveexec_b32 s14, s0
	s_cbranch_execz .LBB193_604
; %bb.597:                              ;   in Loop: Header=BB193_350 Depth=1
	v_mov_b32_e32 v11, v6
	v_mov_b32_e32 v20, v12
	v_cmp_ne_u16_sdwa s0, v77, v40 src0_sel:BYTE_1 src1_sel:DWORD
	v_mov_b32_e32 v19, v11
	s_and_saveexec_b32 s15, s0
	s_cbranch_execz .LBB193_603
; %bb.598:                              ;   in Loop: Header=BB193_350 Depth=1
	v_and_b32_sdwa v5, v41, v77 dst_sel:DWORD dst_unused:UNUSED_PAD src0_sel:DWORD src1_sel:BYTE_1
	v_mov_b32_e32 v13, v6
	v_mov_b32_e32 v20, v14
	s_mov_b32 s16, exec_lo
	v_and_b32_e32 v21, 0x7f, v5
	v_mov_b32_e32 v19, v13
	v_cmpx_ne_u32_e32 0x7f, v21
	s_cbranch_execz .LBB193_602
; %bb.599:                              ;   in Loop: Header=BB193_350 Depth=1
	v_and_b32_e32 v5, 7, v5
	v_lshrrev_b32_e32 v11, 3, v21
	s_mov_b32 s17, exec_lo
	v_cmpx_gt_u32_e32 8, v21
; %bb.600:                              ;   in Loop: Header=BB193_350 Depth=1
	v_ffbh_u32_e32 v11, v5
	v_min_u32_e32 v11, 32, v11
	v_subrev_nc_u32_e32 v13, 28, v11
	v_sub_nc_u32_e32 v11, 29, v11
	v_lshlrev_b64 v[19:20], v13, v[5:6]
	v_and_b32_e32 v5, 7, v19
; %bb.601:                              ;   in Loop: Header=BB193_350 Depth=1
	s_or_b32 exec_lo, exec_lo, s17
	v_lshlrev_b32_e32 v13, 16, v77
	v_lshlrev_b32_e32 v5, 20, v5
	v_lshl_add_u32 v11, v11, 23, 0x3c000000
	v_mov_b32_e32 v19, v6
	v_and_b32_e32 v13, 0x80000000, v13
	v_or3_b32 v20, v5, v13, v11
.LBB193_602:                            ;   in Loop: Header=BB193_350 Depth=1
	s_or_b32 exec_lo, exec_lo, s16
.LBB193_603:                            ;   in Loop: Header=BB193_350 Depth=1
	s_or_b32 exec_lo, exec_lo, s15
.LBB193_604:                            ;   in Loop: Header=BB193_350 Depth=1
	s_or_b32 exec_lo, exec_lo, s14
	v_mov_b32_e32 v23, 0
	v_mov_b32_e32 v21, 0
	v_and_b32_sdwa v5, v77, v42 dst_sel:DWORD dst_unused:UNUSED_PAD src0_sel:WORD_1 src1_sel:DWORD
	v_mov_b32_e32 v24, 0
	v_mov_b32_e32 v22, 0
	s_mov_b32 s14, exec_lo
	v_cmpx_ne_u16_e32 0, v5
	s_cbranch_execz .LBB193_612
; %bb.605:                              ;   in Loop: Header=BB193_350 Depth=1
	v_bfrev_b32_e32 v21, 1
	v_mov_b32_e32 v22, 0
	s_mov_b32 s15, exec_lo
	v_cmpx_ne_u16_e32 0x80, v5
	s_cbranch_execz .LBB193_611
; %bb.606:                              ;   in Loop: Header=BB193_350 Depth=1
	v_mov_b32_e32 v21, 0x7f800001
	v_bfe_u32 v13, v77, 16, 7
	v_mov_b32_e32 v22, 0
	s_mov_b32 s16, exec_lo
	v_cmpx_ne_u32_e32 0x7f, v13
	s_cbranch_execz .LBB193_610
; %bb.607:                              ;   in Loop: Header=BB193_350 Depth=1
	v_and_b32_sdwa v5, v77, v43 dst_sel:DWORD dst_unused:UNUSED_PAD src0_sel:WORD_1 src1_sel:DWORD
	v_lshrrev_b32_e32 v11, 3, v13
	s_mov_b32 s17, exec_lo
	v_cmpx_gt_u32_e32 8, v13
; %bb.608:                              ;   in Loop: Header=BB193_350 Depth=1
	v_ffbh_u32_e32 v11, v5
	v_min_u32_e32 v11, 32, v11
	v_subrev_nc_u32_e32 v13, 28, v11
	v_sub_nc_u32_e32 v11, 29, v11
	v_lshlrev_b64 v[21:22], v13, v[5:6]
	v_and_b32_e32 v5, 7, v21
; %bb.609:                              ;   in Loop: Header=BB193_350 Depth=1
	s_or_b32 exec_lo, exec_lo, s17
	v_lshlrev_b32_sdwa v13, v44, v77 dst_sel:DWORD dst_unused:UNUSED_PAD src0_sel:DWORD src1_sel:WORD_1
	v_lshlrev_b32_e32 v5, 20, v5
	v_lshl_add_u32 v11, v11, 23, 0x3c000000
	v_and_b32_e32 v13, 0x80000000, v13
	v_or3_b32 v5, v5, v13, v11
	v_mov_b32_e32 v22, v6
	v_mov_b32_e32 v21, v5
.LBB193_610:                            ;   in Loop: Header=BB193_350 Depth=1
	s_or_b32 exec_lo, exec_lo, s16
.LBB193_611:                            ;   in Loop: Header=BB193_350 Depth=1
	s_or_b32 exec_lo, exec_lo, s15
.LBB193_612:                            ;   in Loop: Header=BB193_350 Depth=1
	s_or_b32 exec_lo, exec_lo, s14
	s_mov_b32 s14, exec_lo
	v_cmpx_lt_u32_e32 0xffffff, v77
	s_cbranch_execz .LBB193_620
; %bb.613:                              ;   in Loop: Header=BB193_350 Depth=1
	v_mov_b32_e32 v11, v6
	v_mov_b32_e32 v24, v12
	v_cmp_ne_u32_sdwa s0, v77, v40 src0_sel:BYTE_3 src1_sel:DWORD
	v_mov_b32_e32 v23, v11
	s_and_saveexec_b32 s15, s0
	s_cbranch_execz .LBB193_619
; %bb.614:                              ;   in Loop: Header=BB193_350 Depth=1
	v_mov_b32_e32 v13, v6
	v_mov_b32_e32 v24, v14
	v_bfe_u32 v78, v77, 24, 7
	s_mov_b32 s16, exec_lo
	v_mov_b32_e32 v23, v13
	v_cmpx_ne_u32_e32 0x7f, v78
	s_cbranch_execz .LBB193_618
; %bb.615:                              ;   in Loop: Header=BB193_350 Depth=1
	v_and_b32_sdwa v5, v77, v43 dst_sel:DWORD dst_unused:UNUSED_PAD src0_sel:BYTE_3 src1_sel:DWORD
	v_lshrrev_b32_e32 v11, 3, v78
	s_mov_b32 s17, exec_lo
	v_cmpx_gt_u32_e32 8, v78
; %bb.616:                              ;   in Loop: Header=BB193_350 Depth=1
	v_ffbh_u32_e32 v11, v5
	v_min_u32_e32 v11, 32, v11
	v_subrev_nc_u32_e32 v13, 28, v11
	v_sub_nc_u32_e32 v11, 29, v11
	v_lshlrev_b64 v[23:24], v13, v[5:6]
	v_and_b32_e32 v5, 7, v23
; %bb.617:                              ;   in Loop: Header=BB193_350 Depth=1
	s_or_b32 exec_lo, exec_lo, s17
	v_lshlrev_b32_sdwa v13, v44, v77 dst_sel:DWORD dst_unused:UNUSED_PAD src0_sel:DWORD src1_sel:BYTE_3
	v_lshlrev_b32_e32 v5, 20, v5
	v_lshl_add_u32 v11, v11, 23, 0x3c000000
	v_mov_b32_e32 v23, v6
	v_and_b32_e32 v13, 0x80000000, v13
	v_or3_b32 v24, v5, v13, v11
.LBB193_618:                            ;   in Loop: Header=BB193_350 Depth=1
	s_or_b32 exec_lo, exec_lo, s16
.LBB193_619:                            ;   in Loop: Header=BB193_350 Depth=1
	s_or_b32 exec_lo, exec_lo, s15
.LBB193_620:                            ;   in Loop: Header=BB193_350 Depth=1
	s_or_b32 exec_lo, exec_lo, s14
	v_or_b32_e32 v5, v20, v18
	v_or_b32_e32 v11, v19, v17
	;; [unrolled: 1-line block ×4, first 2 shown]
	v_mul_f32_e32 v79, s13, v5
	v_mul_f32_e32 v80, s2, v11
	;; [unrolled: 1-line block ×4, first 2 shown]
	s_and_saveexec_b32 s14, vcc_lo
	s_cbranch_execz .LBB193_622
; %bb.621:                              ;   in Loop: Header=BB193_350 Depth=1
	v_cmp_gt_i32_e64 s0, s11, v50
	v_cndmask_b32_e64 v80, 0, v80, s0
	v_cmp_gt_i32_e64 s0, s11, v52
	v_cndmask_b32_e64 v79, 0, v79, s0
	;; [unrolled: 2-line block ×4, first 2 shown]
.LBB193_622:                            ;   in Loop: Header=BB193_350 Depth=1
	s_or_b32 exec_lo, exec_lo, s14
	global_load_dword v81, v[15:16], off offset:1024
	v_mov_b32_e32 v19, 0
	v_mov_b32_e32 v17, 0
	;; [unrolled: 1-line block ×4, first 2 shown]
	s_waitcnt vmcnt(0)
	v_cmp_ne_u16_sdwa s0, v81, v6 src0_sel:BYTE_0 src1_sel:DWORD
	s_and_saveexec_b32 s14, s0
	s_cbranch_execz .LBB193_630
; %bb.623:                              ;   in Loop: Header=BB193_350 Depth=1
	v_bfrev_b32_e32 v17, 1
	v_mov_b32_e32 v18, 0
	v_cmp_ne_u16_sdwa s0, v81, v40 src0_sel:BYTE_0 src1_sel:DWORD
	s_and_saveexec_b32 s15, s0
	s_cbranch_execz .LBB193_629
; %bb.624:                              ;   in Loop: Header=BB193_350 Depth=1
	v_mov_b32_e32 v17, 0x7f800001
	v_and_b32_e32 v13, 0x7f, v81
	v_mov_b32_e32 v18, 0
	s_mov_b32 s16, exec_lo
	v_cmpx_ne_u32_e32 0x7f, v13
	s_cbranch_execz .LBB193_628
; %bb.625:                              ;   in Loop: Header=BB193_350 Depth=1
	v_and_b32_e32 v5, 7, v81
	v_lshrrev_b32_e32 v11, 3, v13
	s_mov_b32 s17, exec_lo
	v_cmpx_gt_u32_e32 8, v13
; %bb.626:                              ;   in Loop: Header=BB193_350 Depth=1
	v_ffbh_u32_e32 v11, v5
	v_min_u32_e32 v11, 32, v11
	v_subrev_nc_u32_e32 v13, 28, v11
	v_sub_nc_u32_e32 v11, 29, v11
	v_lshlrev_b64 v[17:18], v13, v[5:6]
	v_and_b32_e32 v5, 7, v17
; %bb.627:                              ;   in Loop: Header=BB193_350 Depth=1
	s_or_b32 exec_lo, exec_lo, s17
	v_lshlrev_b32_e32 v13, 24, v81
	v_lshlrev_b32_e32 v5, 20, v5
	v_lshl_add_u32 v11, v11, 23, 0x3c000000
	v_and_b32_e32 v13, 0x80000000, v13
	v_or3_b32 v5, v5, v13, v11
	v_mov_b32_e32 v18, v6
	v_mov_b32_e32 v17, v5
.LBB193_628:                            ;   in Loop: Header=BB193_350 Depth=1
	s_or_b32 exec_lo, exec_lo, s16
.LBB193_629:                            ;   in Loop: Header=BB193_350 Depth=1
	s_or_b32 exec_lo, exec_lo, s15
.LBB193_630:                            ;   in Loop: Header=BB193_350 Depth=1
	s_or_b32 exec_lo, exec_lo, s14
	v_cmp_ne_u16_sdwa s0, v81, v6 src0_sel:BYTE_1 src1_sel:DWORD
	s_and_saveexec_b32 s14, s0
	s_cbranch_execz .LBB193_638
; %bb.631:                              ;   in Loop: Header=BB193_350 Depth=1
	v_mov_b32_e32 v11, v6
	v_mov_b32_e32 v20, v12
	v_cmp_ne_u16_sdwa s0, v81, v40 src0_sel:BYTE_1 src1_sel:DWORD
	v_mov_b32_e32 v19, v11
	s_and_saveexec_b32 s15, s0
	s_cbranch_execz .LBB193_637
; %bb.632:                              ;   in Loop: Header=BB193_350 Depth=1
	v_and_b32_sdwa v5, v41, v81 dst_sel:DWORD dst_unused:UNUSED_PAD src0_sel:DWORD src1_sel:BYTE_1
	v_mov_b32_e32 v13, v6
	v_mov_b32_e32 v20, v14
	s_mov_b32 s16, exec_lo
	v_and_b32_e32 v21, 0x7f, v5
	v_mov_b32_e32 v19, v13
	v_cmpx_ne_u32_e32 0x7f, v21
	s_cbranch_execz .LBB193_636
; %bb.633:                              ;   in Loop: Header=BB193_350 Depth=1
	v_and_b32_e32 v5, 7, v5
	v_lshrrev_b32_e32 v11, 3, v21
	s_mov_b32 s17, exec_lo
	v_cmpx_gt_u32_e32 8, v21
; %bb.634:                              ;   in Loop: Header=BB193_350 Depth=1
	v_ffbh_u32_e32 v11, v5
	v_min_u32_e32 v11, 32, v11
	v_subrev_nc_u32_e32 v13, 28, v11
	v_sub_nc_u32_e32 v11, 29, v11
	v_lshlrev_b64 v[19:20], v13, v[5:6]
	v_and_b32_e32 v5, 7, v19
; %bb.635:                              ;   in Loop: Header=BB193_350 Depth=1
	s_or_b32 exec_lo, exec_lo, s17
	v_lshlrev_b32_e32 v13, 16, v81
	v_lshlrev_b32_e32 v5, 20, v5
	v_lshl_add_u32 v11, v11, 23, 0x3c000000
	v_mov_b32_e32 v19, v6
	v_and_b32_e32 v13, 0x80000000, v13
	v_or3_b32 v20, v5, v13, v11
.LBB193_636:                            ;   in Loop: Header=BB193_350 Depth=1
	s_or_b32 exec_lo, exec_lo, s16
.LBB193_637:                            ;   in Loop: Header=BB193_350 Depth=1
	s_or_b32 exec_lo, exec_lo, s15
.LBB193_638:                            ;   in Loop: Header=BB193_350 Depth=1
	s_or_b32 exec_lo, exec_lo, s14
	v_mov_b32_e32 v23, 0
	v_mov_b32_e32 v21, 0
	v_and_b32_sdwa v5, v81, v42 dst_sel:DWORD dst_unused:UNUSED_PAD src0_sel:WORD_1 src1_sel:DWORD
	v_mov_b32_e32 v24, 0
	v_mov_b32_e32 v22, 0
	s_mov_b32 s14, exec_lo
	v_cmpx_ne_u16_e32 0, v5
	s_cbranch_execz .LBB193_646
; %bb.639:                              ;   in Loop: Header=BB193_350 Depth=1
	v_bfrev_b32_e32 v21, 1
	v_mov_b32_e32 v22, 0
	s_mov_b32 s15, exec_lo
	v_cmpx_ne_u16_e32 0x80, v5
	s_cbranch_execz .LBB193_645
; %bb.640:                              ;   in Loop: Header=BB193_350 Depth=1
	v_mov_b32_e32 v21, 0x7f800001
	v_bfe_u32 v13, v81, 16, 7
	v_mov_b32_e32 v22, 0
	s_mov_b32 s16, exec_lo
	v_cmpx_ne_u32_e32 0x7f, v13
	s_cbranch_execz .LBB193_644
; %bb.641:                              ;   in Loop: Header=BB193_350 Depth=1
	v_and_b32_sdwa v5, v81, v43 dst_sel:DWORD dst_unused:UNUSED_PAD src0_sel:WORD_1 src1_sel:DWORD
	v_lshrrev_b32_e32 v11, 3, v13
	s_mov_b32 s17, exec_lo
	v_cmpx_gt_u32_e32 8, v13
; %bb.642:                              ;   in Loop: Header=BB193_350 Depth=1
	v_ffbh_u32_e32 v11, v5
	v_min_u32_e32 v11, 32, v11
	v_subrev_nc_u32_e32 v13, 28, v11
	v_sub_nc_u32_e32 v11, 29, v11
	v_lshlrev_b64 v[21:22], v13, v[5:6]
	v_and_b32_e32 v5, 7, v21
; %bb.643:                              ;   in Loop: Header=BB193_350 Depth=1
	s_or_b32 exec_lo, exec_lo, s17
	v_lshlrev_b32_sdwa v13, v44, v81 dst_sel:DWORD dst_unused:UNUSED_PAD src0_sel:DWORD src1_sel:WORD_1
	v_lshlrev_b32_e32 v5, 20, v5
	v_lshl_add_u32 v11, v11, 23, 0x3c000000
	v_and_b32_e32 v13, 0x80000000, v13
	v_or3_b32 v5, v5, v13, v11
	v_mov_b32_e32 v22, v6
	v_mov_b32_e32 v21, v5
.LBB193_644:                            ;   in Loop: Header=BB193_350 Depth=1
	s_or_b32 exec_lo, exec_lo, s16
.LBB193_645:                            ;   in Loop: Header=BB193_350 Depth=1
	s_or_b32 exec_lo, exec_lo, s15
.LBB193_646:                            ;   in Loop: Header=BB193_350 Depth=1
	s_or_b32 exec_lo, exec_lo, s14
	s_mov_b32 s14, exec_lo
	v_cmpx_lt_u32_e32 0xffffff, v81
	s_cbranch_execz .LBB193_654
; %bb.647:                              ;   in Loop: Header=BB193_350 Depth=1
	v_mov_b32_e32 v11, v6
	v_mov_b32_e32 v24, v12
	v_cmp_ne_u32_sdwa s0, v81, v40 src0_sel:BYTE_3 src1_sel:DWORD
	v_mov_b32_e32 v23, v11
	s_and_saveexec_b32 s15, s0
	s_cbranch_execz .LBB193_653
; %bb.648:                              ;   in Loop: Header=BB193_350 Depth=1
	v_mov_b32_e32 v13, v6
	v_mov_b32_e32 v24, v14
	v_bfe_u32 v82, v81, 24, 7
	s_mov_b32 s16, exec_lo
	v_mov_b32_e32 v23, v13
	v_cmpx_ne_u32_e32 0x7f, v82
	s_cbranch_execz .LBB193_652
; %bb.649:                              ;   in Loop: Header=BB193_350 Depth=1
	v_and_b32_sdwa v5, v81, v43 dst_sel:DWORD dst_unused:UNUSED_PAD src0_sel:BYTE_3 src1_sel:DWORD
	v_lshrrev_b32_e32 v11, 3, v82
	s_mov_b32 s17, exec_lo
	v_cmpx_gt_u32_e32 8, v82
; %bb.650:                              ;   in Loop: Header=BB193_350 Depth=1
	v_ffbh_u32_e32 v11, v5
	v_min_u32_e32 v11, 32, v11
	v_subrev_nc_u32_e32 v13, 28, v11
	v_sub_nc_u32_e32 v11, 29, v11
	v_lshlrev_b64 v[23:24], v13, v[5:6]
	v_and_b32_e32 v5, 7, v23
; %bb.651:                              ;   in Loop: Header=BB193_350 Depth=1
	s_or_b32 exec_lo, exec_lo, s17
	v_lshlrev_b32_sdwa v13, v44, v81 dst_sel:DWORD dst_unused:UNUSED_PAD src0_sel:DWORD src1_sel:BYTE_3
	v_lshlrev_b32_e32 v5, 20, v5
	v_lshl_add_u32 v11, v11, 23, 0x3c000000
	v_mov_b32_e32 v23, v6
	v_and_b32_e32 v13, 0x80000000, v13
	v_or3_b32 v24, v5, v13, v11
.LBB193_652:                            ;   in Loop: Header=BB193_350 Depth=1
	s_or_b32 exec_lo, exec_lo, s16
.LBB193_653:                            ;   in Loop: Header=BB193_350 Depth=1
	s_or_b32 exec_lo, exec_lo, s15
.LBB193_654:                            ;   in Loop: Header=BB193_350 Depth=1
	s_or_b32 exec_lo, exec_lo, s14
	v_or_b32_e32 v5, v20, v18
	v_or_b32_e32 v11, v19, v17
	;; [unrolled: 1-line block ×4, first 2 shown]
	v_mul_f32_e32 v81, s13, v5
	v_mul_f32_e32 v82, s2, v11
	v_mul_f32_e32 v24, s2, v13
	v_mul_f32_e32 v23, s13, v17
	s_and_saveexec_b32 s14, vcc_lo
	s_cbranch_execz .LBB193_656
; %bb.655:                              ;   in Loop: Header=BB193_350 Depth=1
	v_cmp_gt_i32_e64 s0, s11, v50
	v_cndmask_b32_e64 v82, 0, v82, s0
	v_cmp_gt_i32_e64 s0, s11, v52
	v_cndmask_b32_e64 v81, 0, v81, s0
	;; [unrolled: 2-line block ×4, first 2 shown]
.LBB193_656:                            ;   in Loop: Header=BB193_350 Depth=1
	s_or_b32 exec_lo, exec_lo, s14
	global_load_dword v83, v[15:16], off offset:1152
	v_mov_b32_e32 v17, 0
	v_mov_b32_e32 v15, 0
	v_mov_b32_e32 v18, 0
	v_mov_b32_e32 v16, 0
	s_waitcnt vmcnt(0)
	v_cmp_ne_u16_sdwa s0, v83, v6 src0_sel:BYTE_0 src1_sel:DWORD
	s_and_saveexec_b32 s14, s0
	s_cbranch_execz .LBB193_664
; %bb.657:                              ;   in Loop: Header=BB193_350 Depth=1
	v_bfrev_b32_e32 v15, 1
	v_mov_b32_e32 v16, 0
	v_cmp_ne_u16_sdwa s0, v83, v40 src0_sel:BYTE_0 src1_sel:DWORD
	s_and_saveexec_b32 s15, s0
	s_cbranch_execz .LBB193_663
; %bb.658:                              ;   in Loop: Header=BB193_350 Depth=1
	v_mov_b32_e32 v15, 0x7f800001
	v_and_b32_e32 v13, 0x7f, v83
	v_mov_b32_e32 v16, 0
	s_mov_b32 s16, exec_lo
	v_cmpx_ne_u32_e32 0x7f, v13
	s_cbranch_execz .LBB193_662
; %bb.659:                              ;   in Loop: Header=BB193_350 Depth=1
	v_and_b32_e32 v5, 7, v83
	v_lshrrev_b32_e32 v11, 3, v13
	s_mov_b32 s17, exec_lo
	v_cmpx_gt_u32_e32 8, v13
; %bb.660:                              ;   in Loop: Header=BB193_350 Depth=1
	v_ffbh_u32_e32 v11, v5
	v_min_u32_e32 v11, 32, v11
	v_subrev_nc_u32_e32 v13, 28, v11
	v_sub_nc_u32_e32 v11, 29, v11
	v_lshlrev_b64 v[15:16], v13, v[5:6]
	v_and_b32_e32 v5, 7, v15
; %bb.661:                              ;   in Loop: Header=BB193_350 Depth=1
	s_or_b32 exec_lo, exec_lo, s17
	v_lshlrev_b32_e32 v13, 24, v83
	v_lshlrev_b32_e32 v5, 20, v5
	v_lshl_add_u32 v11, v11, 23, 0x3c000000
	v_and_b32_e32 v13, 0x80000000, v13
	v_or3_b32 v5, v5, v13, v11
	v_mov_b32_e32 v16, v6
	v_mov_b32_e32 v15, v5
.LBB193_662:                            ;   in Loop: Header=BB193_350 Depth=1
	s_or_b32 exec_lo, exec_lo, s16
.LBB193_663:                            ;   in Loop: Header=BB193_350 Depth=1
	s_or_b32 exec_lo, exec_lo, s15
.LBB193_664:                            ;   in Loop: Header=BB193_350 Depth=1
	s_or_b32 exec_lo, exec_lo, s14
	v_cmp_ne_u16_sdwa s0, v83, v6 src0_sel:BYTE_1 src1_sel:DWORD
	s_and_saveexec_b32 s14, s0
	s_cbranch_execz .LBB193_672
; %bb.665:                              ;   in Loop: Header=BB193_350 Depth=1
	v_mov_b32_e32 v11, v6
	v_mov_b32_e32 v18, v12
	v_cmp_ne_u16_sdwa s0, v83, v40 src0_sel:BYTE_1 src1_sel:DWORD
	v_mov_b32_e32 v17, v11
	s_and_saveexec_b32 s15, s0
	s_cbranch_execz .LBB193_671
; %bb.666:                              ;   in Loop: Header=BB193_350 Depth=1
	v_and_b32_sdwa v5, v41, v83 dst_sel:DWORD dst_unused:UNUSED_PAD src0_sel:DWORD src1_sel:BYTE_1
	v_mov_b32_e32 v13, v6
	v_mov_b32_e32 v18, v14
	s_mov_b32 s16, exec_lo
	v_and_b32_e32 v19, 0x7f, v5
	v_mov_b32_e32 v17, v13
	v_cmpx_ne_u32_e32 0x7f, v19
	s_cbranch_execz .LBB193_670
; %bb.667:                              ;   in Loop: Header=BB193_350 Depth=1
	v_and_b32_e32 v5, 7, v5
	v_lshrrev_b32_e32 v11, 3, v19
	s_mov_b32 s17, exec_lo
	v_cmpx_gt_u32_e32 8, v19
; %bb.668:                              ;   in Loop: Header=BB193_350 Depth=1
	v_ffbh_u32_e32 v11, v5
	v_min_u32_e32 v11, 32, v11
	v_subrev_nc_u32_e32 v13, 28, v11
	v_sub_nc_u32_e32 v11, 29, v11
	v_lshlrev_b64 v[17:18], v13, v[5:6]
	v_and_b32_e32 v5, 7, v17
; %bb.669:                              ;   in Loop: Header=BB193_350 Depth=1
	s_or_b32 exec_lo, exec_lo, s17
	v_lshlrev_b32_e32 v13, 16, v83
	v_lshlrev_b32_e32 v5, 20, v5
	v_lshl_add_u32 v11, v11, 23, 0x3c000000
	v_mov_b32_e32 v17, v6
	v_and_b32_e32 v13, 0x80000000, v13
	v_or3_b32 v18, v5, v13, v11
.LBB193_670:                            ;   in Loop: Header=BB193_350 Depth=1
	s_or_b32 exec_lo, exec_lo, s16
.LBB193_671:                            ;   in Loop: Header=BB193_350 Depth=1
	s_or_b32 exec_lo, exec_lo, s15
.LBB193_672:                            ;   in Loop: Header=BB193_350 Depth=1
	s_or_b32 exec_lo, exec_lo, s14
	v_mov_b32_e32 v21, 0
	v_mov_b32_e32 v19, 0
	v_and_b32_sdwa v5, v83, v42 dst_sel:DWORD dst_unused:UNUSED_PAD src0_sel:WORD_1 src1_sel:DWORD
	v_mov_b32_e32 v22, 0
	v_mov_b32_e32 v20, 0
	s_mov_b32 s14, exec_lo
	v_cmpx_ne_u16_e32 0, v5
	s_cbranch_execz .LBB193_680
; %bb.673:                              ;   in Loop: Header=BB193_350 Depth=1
	v_bfrev_b32_e32 v19, 1
	v_mov_b32_e32 v20, 0
	s_mov_b32 s15, exec_lo
	v_cmpx_ne_u16_e32 0x80, v5
	s_cbranch_execz .LBB193_679
; %bb.674:                              ;   in Loop: Header=BB193_350 Depth=1
	v_mov_b32_e32 v19, 0x7f800001
	v_bfe_u32 v13, v83, 16, 7
	v_mov_b32_e32 v20, 0
	s_mov_b32 s16, exec_lo
	v_cmpx_ne_u32_e32 0x7f, v13
	s_cbranch_execz .LBB193_678
; %bb.675:                              ;   in Loop: Header=BB193_350 Depth=1
	v_and_b32_sdwa v5, v83, v43 dst_sel:DWORD dst_unused:UNUSED_PAD src0_sel:WORD_1 src1_sel:DWORD
	v_lshrrev_b32_e32 v11, 3, v13
	s_mov_b32 s17, exec_lo
	v_cmpx_gt_u32_e32 8, v13
; %bb.676:                              ;   in Loop: Header=BB193_350 Depth=1
	v_ffbh_u32_e32 v11, v5
	v_min_u32_e32 v11, 32, v11
	v_subrev_nc_u32_e32 v13, 28, v11
	v_sub_nc_u32_e32 v11, 29, v11
	v_lshlrev_b64 v[19:20], v13, v[5:6]
	v_and_b32_e32 v5, 7, v19
; %bb.677:                              ;   in Loop: Header=BB193_350 Depth=1
	s_or_b32 exec_lo, exec_lo, s17
	v_lshlrev_b32_sdwa v13, v44, v83 dst_sel:DWORD dst_unused:UNUSED_PAD src0_sel:DWORD src1_sel:WORD_1
	v_lshlrev_b32_e32 v5, 20, v5
	v_lshl_add_u32 v11, v11, 23, 0x3c000000
	v_and_b32_e32 v13, 0x80000000, v13
	v_or3_b32 v5, v5, v13, v11
	v_mov_b32_e32 v20, v6
	v_mov_b32_e32 v19, v5
.LBB193_678:                            ;   in Loop: Header=BB193_350 Depth=1
	s_or_b32 exec_lo, exec_lo, s16
.LBB193_679:                            ;   in Loop: Header=BB193_350 Depth=1
	s_or_b32 exec_lo, exec_lo, s15
.LBB193_680:                            ;   in Loop: Header=BB193_350 Depth=1
	s_or_b32 exec_lo, exec_lo, s14
	s_mov_b32 s14, exec_lo
	v_cmpx_lt_u32_e32 0xffffff, v83
	s_cbranch_execz .LBB193_688
; %bb.681:                              ;   in Loop: Header=BB193_350 Depth=1
	v_mov_b32_e32 v11, v6
	v_mov_b32_e32 v22, v12
	v_cmp_ne_u32_sdwa s0, v83, v40 src0_sel:BYTE_3 src1_sel:DWORD
	v_mov_b32_e32 v21, v11
	s_and_saveexec_b32 s15, s0
	s_cbranch_execz .LBB193_687
; %bb.682:                              ;   in Loop: Header=BB193_350 Depth=1
	v_mov_b32_e32 v13, v6
	v_mov_b32_e32 v22, v14
	v_bfe_u32 v84, v83, 24, 7
	s_mov_b32 s16, exec_lo
	v_mov_b32_e32 v21, v13
	v_cmpx_ne_u32_e32 0x7f, v84
	s_cbranch_execz .LBB193_686
; %bb.683:                              ;   in Loop: Header=BB193_350 Depth=1
	v_and_b32_sdwa v5, v83, v43 dst_sel:DWORD dst_unused:UNUSED_PAD src0_sel:BYTE_3 src1_sel:DWORD
	v_lshrrev_b32_e32 v11, 3, v84
	s_mov_b32 s17, exec_lo
	v_cmpx_gt_u32_e32 8, v84
; %bb.684:                              ;   in Loop: Header=BB193_350 Depth=1
	v_ffbh_u32_e32 v11, v5
	v_min_u32_e32 v11, 32, v11
	v_subrev_nc_u32_e32 v13, 28, v11
	v_sub_nc_u32_e32 v11, 29, v11
	v_lshlrev_b64 v[21:22], v13, v[5:6]
	v_and_b32_e32 v5, 7, v21
; %bb.685:                              ;   in Loop: Header=BB193_350 Depth=1
	s_or_b32 exec_lo, exec_lo, s17
	v_lshlrev_b32_sdwa v13, v44, v83 dst_sel:DWORD dst_unused:UNUSED_PAD src0_sel:DWORD src1_sel:BYTE_3
	v_lshlrev_b32_e32 v5, 20, v5
	v_lshl_add_u32 v11, v11, 23, 0x3c000000
	v_mov_b32_e32 v21, v6
	v_and_b32_e32 v13, 0x80000000, v13
	v_or3_b32 v22, v5, v13, v11
.LBB193_686:                            ;   in Loop: Header=BB193_350 Depth=1
	s_or_b32 exec_lo, exec_lo, s16
.LBB193_687:                            ;   in Loop: Header=BB193_350 Depth=1
	s_or_b32 exec_lo, exec_lo, s15
.LBB193_688:                            ;   in Loop: Header=BB193_350 Depth=1
	s_or_b32 exec_lo, exec_lo, s14
	v_or_b32_e32 v5, v18, v16
	v_or_b32_e32 v11, v17, v15
	;; [unrolled: 1-line block ×4, first 2 shown]
	v_mul_f32_e32 v13, s13, v5
	v_mul_f32_e32 v15, s2, v11
	;; [unrolled: 1-line block ×4, first 2 shown]
	s_and_saveexec_b32 s0, vcc_lo
	s_cbranch_execz .LBB193_349
; %bb.689:                              ;   in Loop: Header=BB193_350 Depth=1
	v_cmp_gt_i32_e32 vcc_lo, s11, v50
	v_cndmask_b32_e32 v15, 0, v15, vcc_lo
	v_cmp_gt_i32_e32 vcc_lo, s11, v52
	v_cndmask_b32_e32 v13, 0, v13, vcc_lo
	;; [unrolled: 2-line block ×4, first 2 shown]
	s_branch .LBB193_349
.LBB193_690:
	s_or_b32 exec_lo, exec_lo, s5
.LBB193_691:
	s_or_b32 exec_lo, exec_lo, s1
	ds_bpermute_b32 v1, v26, v35
	ds_bpermute_b32 v2, v26, v37
	;; [unrolled: 1-line block ×10, first 2 shown]
	v_and_b32_e32 v11, 28, v25
	v_lshrrev_b32_e32 v12, 2, v25
	v_mul_u32_u24_e32 v13, 0x140, v86
	v_and_b32_e32 v24, 0x3c3, v85
	s_mov_b32 s0, exec_lo
	v_add_nc_u32_e32 v11, 0x160, v11
	s_waitcnt lgkmcnt(0)
	s_barrier
	buffer_gl0_inv
	v_add_f32_e32 v1, v35, v1
	v_add_f32_e32 v2, v37, v2
	;; [unrolled: 1-line block ×10, first 2 shown]
	ds_bpermute_b32 v14, v27, v1
	ds_bpermute_b32 v15, v27, v2
	;; [unrolled: 1-line block ×10, first 2 shown]
	s_waitcnt lgkmcnt(9)
	v_add_f32_e32 v1, v1, v14
	s_waitcnt lgkmcnt(8)
	v_add_f32_e32 v2, v2, v15
	;; [unrolled: 2-line block ×10, first 2 shown]
	v_cmpx_eq_u32_e32 64, v24
	s_cbranch_execz .LBB193_693
; %bb.692:
	v_add_nc_u32_e32 v14, v11, v13
	v_add_nc_u32_e32 v15, 0xfffffd80, v14
	v_add_nc_u32_e32 v16, 0xfffffda0, v14
	v_add_nc_u32_e32 v17, 0xfffffdc0, v14
	v_add_nc_u32_e32 v18, 0xfffffde0, v14
	v_add_nc_u32_e32 v19, 0xfffffe00, v14
	ds_write_b32 v15, v1
	ds_write_b32 v16, v2
	;; [unrolled: 1-line block ×5, first 2 shown]
	v_add_nc_u32_e32 v15, 0xfffffe20, v14
	v_add_nc_u32_e32 v16, 0xfffffe40, v14
	;; [unrolled: 1-line block ×5, first 2 shown]
	ds_write_b32 v15, v6
	ds_write_b32 v16, v7
	;; [unrolled: 1-line block ×5, first 2 shown]
.LBB193_693:
	s_or_b32 exec_lo, exec_lo, s0
	v_lshlrev_b32_e32 v12, 2, v12
	v_cmp_eq_u32_e32 vcc_lo, 0, v0
	s_mov_b32 s1, exec_lo
	s_waitcnt lgkmcnt(0)
	s_barrier
	v_add3_u32 v0, 0x160, v13, v12
	buffer_gl0_inv
	v_cmpx_gt_u32_e32 64, v85
	s_cbranch_execz .LBB193_706
; %bb.694:
	s_and_saveexec_b32 s0, vcc_lo
	s_cbranch_execnz .LBB193_724
; %bb.695:
	s_or_b32 exec_lo, exec_lo, s0
	s_and_saveexec_b32 s0, vcc_lo
	s_cbranch_execnz .LBB193_725
.LBB193_696:
	s_or_b32 exec_lo, exec_lo, s0
	s_and_saveexec_b32 s0, vcc_lo
	s_cbranch_execnz .LBB193_726
.LBB193_697:
	s_or_b32 exec_lo, exec_lo, s0
	s_and_saveexec_b32 s0, vcc_lo
	s_cbranch_execnz .LBB193_727
.LBB193_698:
	s_or_b32 exec_lo, exec_lo, s0
	s_and_saveexec_b32 s0, vcc_lo
	s_cbranch_execnz .LBB193_728
.LBB193_699:
	s_or_b32 exec_lo, exec_lo, s0
	s_and_saveexec_b32 s0, vcc_lo
	s_cbranch_execnz .LBB193_729
.LBB193_700:
	s_or_b32 exec_lo, exec_lo, s0
	s_and_saveexec_b32 s0, vcc_lo
	s_cbranch_execnz .LBB193_730
.LBB193_701:
	s_or_b32 exec_lo, exec_lo, s0
	s_and_saveexec_b32 s0, vcc_lo
	s_cbranch_execnz .LBB193_731
.LBB193_702:
	s_or_b32 exec_lo, exec_lo, s0
	s_and_saveexec_b32 s0, vcc_lo
	s_cbranch_execnz .LBB193_732
.LBB193_703:
	s_or_b32 exec_lo, exec_lo, s0
	s_and_saveexec_b32 s0, vcc_lo
	s_cbranch_execz .LBB193_705
.LBB193_704:
	ds_read_b32 v12, v0 offset:288
	s_waitcnt lgkmcnt(0)
	v_add_f32_e32 v10, v10, v12
.LBB193_705:
	s_or_b32 exec_lo, exec_lo, s0
.LBB193_706:
	s_or_b32 exec_lo, exec_lo, s1
	v_and_b32_e32 v12, 0x3e3, v85
	s_mov_b32 s1, exec_lo
	s_barrier
	buffer_gl0_inv
	v_cmpx_eq_u32_e32 32, v12
	s_cbranch_execz .LBB193_708
; %bb.707:
	ds_write2_b32 v11, v1, v2 offset1:8
	ds_write2_b32 v11, v3, v4 offset0:16 offset1:24
	ds_write2_b32 v11, v5, v6 offset0:32 offset1:40
	;; [unrolled: 1-line block ×4, first 2 shown]
.LBB193_708:
	s_or_b32 exec_lo, exec_lo, s1
	s_mov_b32 s1, exec_lo
	s_waitcnt lgkmcnt(0)
	s_barrier
	buffer_gl0_inv
	v_cmpx_gt_u32_e32 32, v85
	s_cbranch_execz .LBB193_721
; %bb.709:
	s_and_saveexec_b32 s0, vcc_lo
	s_cbranch_execnz .LBB193_733
; %bb.710:
	s_or_b32 exec_lo, exec_lo, s0
	s_and_saveexec_b32 s0, vcc_lo
	s_cbranch_execnz .LBB193_734
.LBB193_711:
	s_or_b32 exec_lo, exec_lo, s0
	s_and_saveexec_b32 s0, vcc_lo
	s_cbranch_execnz .LBB193_735
.LBB193_712:
	s_or_b32 exec_lo, exec_lo, s0
	s_and_saveexec_b32 s0, vcc_lo
	s_cbranch_execnz .LBB193_736
.LBB193_713:
	s_or_b32 exec_lo, exec_lo, s0
	s_and_saveexec_b32 s0, vcc_lo
	s_cbranch_execnz .LBB193_737
.LBB193_714:
	s_or_b32 exec_lo, exec_lo, s0
	s_and_saveexec_b32 s0, vcc_lo
	s_cbranch_execnz .LBB193_738
.LBB193_715:
	s_or_b32 exec_lo, exec_lo, s0
	s_and_saveexec_b32 s0, vcc_lo
	s_cbranch_execnz .LBB193_739
.LBB193_716:
	s_or_b32 exec_lo, exec_lo, s0
	s_and_saveexec_b32 s0, vcc_lo
	s_cbranch_execnz .LBB193_740
.LBB193_717:
	s_or_b32 exec_lo, exec_lo, s0
	s_and_saveexec_b32 s0, vcc_lo
	s_cbranch_execnz .LBB193_741
.LBB193_718:
	s_or_b32 exec_lo, exec_lo, s0
	s_and_saveexec_b32 s0, vcc_lo
	s_cbranch_execz .LBB193_720
.LBB193_719:
	ds_read_b32 v0, v0 offset:288
	s_waitcnt lgkmcnt(0)
	v_add_f32_e32 v10, v10, v0
.LBB193_720:
	s_or_b32 exec_lo, exec_lo, s0
.LBB193_721:
	s_or_b32 exec_lo, exec_lo, s1
	s_barrier
	buffer_gl0_inv
	s_mov_b32 s0, exec_lo
	v_cmpx_eq_u32_e32 0, v12
	s_cbranch_execz .LBB193_723
; %bb.722:
	s_mul_i32 s0, s10, s7
	s_mul_i32 s2, s7, s6
	;; [unrolled: 1-line block ×3, first 2 shown]
	s_mulk_i32 s0, 0x50
	s_ashr_i32 s1, s0, 31
	s_lshl_b64 s[0:1], s[0:1], 2
	s_add_u32 s4, s20, s0
	s_addc_u32 s5, s21, s1
	s_ashr_i32 s3, s2, 31
	s_lshl_b64 s[0:1], s[2:3], 2
	s_mul_i32 s2, s8, 0x50
	s_add_u32 s4, s4, s0
	s_addc_u32 s5, s5, s1
	s_ashr_i32 s3, s2, 31
	s_lshl_b64 s[0:1], s[2:3], 2
	s_add_u32 s0, s4, s0
	s_addc_u32 s1, s5, s1
	global_store_dword v85, v1, s[0:1]
	global_store_dword v85, v2, s[0:1] offset:32
	global_store_dword v85, v3, s[0:1] offset:64
	;; [unrolled: 1-line block ×9, first 2 shown]
.LBB193_723:
	s_endpgm
.LBB193_724:
	ds_read_b32 v12, v0
	s_waitcnt lgkmcnt(0)
	v_add_f32_e32 v1, v1, v12
	s_or_b32 exec_lo, exec_lo, s0
	s_and_saveexec_b32 s0, vcc_lo
	s_cbranch_execz .LBB193_696
.LBB193_725:
	ds_read_b32 v12, v0 offset:32
	s_waitcnt lgkmcnt(0)
	v_add_f32_e32 v2, v2, v12
	s_or_b32 exec_lo, exec_lo, s0
	s_and_saveexec_b32 s0, vcc_lo
	s_cbranch_execz .LBB193_697
.LBB193_726:
	ds_read_b32 v12, v0 offset:64
	s_waitcnt lgkmcnt(0)
	v_add_f32_e32 v3, v3, v12
	s_or_b32 exec_lo, exec_lo, s0
	s_and_saveexec_b32 s0, vcc_lo
	s_cbranch_execz .LBB193_698
.LBB193_727:
	ds_read_b32 v12, v0 offset:96
	s_waitcnt lgkmcnt(0)
	v_add_f32_e32 v4, v4, v12
	s_or_b32 exec_lo, exec_lo, s0
	s_and_saveexec_b32 s0, vcc_lo
	s_cbranch_execz .LBB193_699
.LBB193_728:
	ds_read_b32 v12, v0 offset:128
	s_waitcnt lgkmcnt(0)
	v_add_f32_e32 v5, v5, v12
	s_or_b32 exec_lo, exec_lo, s0
	s_and_saveexec_b32 s0, vcc_lo
	s_cbranch_execz .LBB193_700
.LBB193_729:
	ds_read_b32 v12, v0 offset:160
	s_waitcnt lgkmcnt(0)
	v_add_f32_e32 v6, v6, v12
	s_or_b32 exec_lo, exec_lo, s0
	s_and_saveexec_b32 s0, vcc_lo
	s_cbranch_execz .LBB193_701
.LBB193_730:
	ds_read_b32 v12, v0 offset:192
	s_waitcnt lgkmcnt(0)
	v_add_f32_e32 v7, v7, v12
	s_or_b32 exec_lo, exec_lo, s0
	s_and_saveexec_b32 s0, vcc_lo
	s_cbranch_execz .LBB193_702
.LBB193_731:
	ds_read_b32 v12, v0 offset:224
	s_waitcnt lgkmcnt(0)
	v_add_f32_e32 v8, v8, v12
	s_or_b32 exec_lo, exec_lo, s0
	s_and_saveexec_b32 s0, vcc_lo
	s_cbranch_execz .LBB193_703
.LBB193_732:
	ds_read_b32 v12, v0 offset:256
	s_waitcnt lgkmcnt(0)
	v_add_f32_e32 v9, v9, v12
	s_or_b32 exec_lo, exec_lo, s0
	s_and_saveexec_b32 s0, vcc_lo
	s_cbranch_execnz .LBB193_704
	s_branch .LBB193_705
.LBB193_733:
	ds_read_b32 v11, v0
	s_waitcnt lgkmcnt(0)
	v_add_f32_e32 v1, v1, v11
	s_or_b32 exec_lo, exec_lo, s0
	s_and_saveexec_b32 s0, vcc_lo
	s_cbranch_execz .LBB193_711
.LBB193_734:
	ds_read_b32 v11, v0 offset:32
	s_waitcnt lgkmcnt(0)
	v_add_f32_e32 v2, v2, v11
	s_or_b32 exec_lo, exec_lo, s0
	s_and_saveexec_b32 s0, vcc_lo
	s_cbranch_execz .LBB193_712
.LBB193_735:
	ds_read_b32 v11, v0 offset:64
	s_waitcnt lgkmcnt(0)
	v_add_f32_e32 v3, v3, v11
	s_or_b32 exec_lo, exec_lo, s0
	s_and_saveexec_b32 s0, vcc_lo
	s_cbranch_execz .LBB193_713
.LBB193_736:
	ds_read_b32 v11, v0 offset:96
	s_waitcnt lgkmcnt(0)
	v_add_f32_e32 v4, v4, v11
	s_or_b32 exec_lo, exec_lo, s0
	s_and_saveexec_b32 s0, vcc_lo
	s_cbranch_execz .LBB193_714
.LBB193_737:
	ds_read_b32 v11, v0 offset:128
	s_waitcnt lgkmcnt(0)
	v_add_f32_e32 v5, v5, v11
	s_or_b32 exec_lo, exec_lo, s0
	s_and_saveexec_b32 s0, vcc_lo
	s_cbranch_execz .LBB193_715
.LBB193_738:
	ds_read_b32 v11, v0 offset:160
	s_waitcnt lgkmcnt(0)
	v_add_f32_e32 v6, v6, v11
	s_or_b32 exec_lo, exec_lo, s0
	s_and_saveexec_b32 s0, vcc_lo
	s_cbranch_execz .LBB193_716
.LBB193_739:
	ds_read_b32 v11, v0 offset:192
	s_waitcnt lgkmcnt(0)
	v_add_f32_e32 v7, v7, v11
	s_or_b32 exec_lo, exec_lo, s0
	s_and_saveexec_b32 s0, vcc_lo
	s_cbranch_execz .LBB193_717
.LBB193_740:
	ds_read_b32 v11, v0 offset:224
	s_waitcnt lgkmcnt(0)
	v_add_f32_e32 v8, v8, v11
	s_or_b32 exec_lo, exec_lo, s0
	s_and_saveexec_b32 s0, vcc_lo
	s_cbranch_execz .LBB193_718
.LBB193_741:
	ds_read_b32 v11, v0 offset:256
	s_waitcnt lgkmcnt(0)
	v_add_f32_e32 v9, v9, v11
	s_or_b32 exec_lo, exec_lo, s0
	s_and_saveexec_b32 s0, vcc_lo
	s_cbranch_execnz .LBB193_719
	s_branch .LBB193_720
	.section	.rodata,"a",@progbits
	.p2align	6, 0x0
	.amdhsa_kernel _ZN4vllm25paged_attention_v1_kernelIfhLi80ELi16ELi128ELNS_18Fp8KVCacheDataTypeE1ELb0EEEvPT_PKS2_PKT0_S8_ifPKiSA_iPKfiiiSC_SC_iiiii
		.amdhsa_group_segment_fixed_size 352
		.amdhsa_private_segment_fixed_size 72
		.amdhsa_kernarg_size 384
		.amdhsa_user_sgpr_count 6
		.amdhsa_user_sgpr_private_segment_buffer 1
		.amdhsa_user_sgpr_dispatch_ptr 0
		.amdhsa_user_sgpr_queue_ptr 0
		.amdhsa_user_sgpr_kernarg_segment_ptr 1
		.amdhsa_user_sgpr_dispatch_id 0
		.amdhsa_user_sgpr_flat_scratch_init 0
		.amdhsa_user_sgpr_private_segment_size 0
		.amdhsa_wavefront_size32 1
		.amdhsa_uses_dynamic_stack 0
		.amdhsa_system_sgpr_private_segment_wavefront_offset 1
		.amdhsa_system_sgpr_workgroup_id_x 1
		.amdhsa_system_sgpr_workgroup_id_y 1
		.amdhsa_system_sgpr_workgroup_id_z 1
		.amdhsa_system_sgpr_workgroup_info 0
		.amdhsa_system_vgpr_workitem_id 0
		.amdhsa_next_free_vgpr 128
		.amdhsa_next_free_sgpr 40
		.amdhsa_reserve_vcc 1
		.amdhsa_reserve_flat_scratch 0
		.amdhsa_float_round_mode_32 0
		.amdhsa_float_round_mode_16_64 0
		.amdhsa_float_denorm_mode_32 3
		.amdhsa_float_denorm_mode_16_64 3
		.amdhsa_dx10_clamp 1
		.amdhsa_ieee_mode 1
		.amdhsa_fp16_overflow 0
		.amdhsa_workgroup_processor_mode 1
		.amdhsa_memory_ordered 1
		.amdhsa_forward_progress 1
		.amdhsa_shared_vgpr_count 0
		.amdhsa_exception_fp_ieee_invalid_op 0
		.amdhsa_exception_fp_denorm_src 0
		.amdhsa_exception_fp_ieee_div_zero 0
		.amdhsa_exception_fp_ieee_overflow 0
		.amdhsa_exception_fp_ieee_underflow 0
		.amdhsa_exception_fp_ieee_inexact 0
		.amdhsa_exception_int_div_zero 0
	.end_amdhsa_kernel
	.section	.text._ZN4vllm25paged_attention_v1_kernelIfhLi80ELi16ELi128ELNS_18Fp8KVCacheDataTypeE1ELb0EEEvPT_PKS2_PKT0_S8_ifPKiSA_iPKfiiiSC_SC_iiiii,"axG",@progbits,_ZN4vllm25paged_attention_v1_kernelIfhLi80ELi16ELi128ELNS_18Fp8KVCacheDataTypeE1ELb0EEEvPT_PKS2_PKT0_S8_ifPKiSA_iPKfiiiSC_SC_iiiii,comdat
.Lfunc_end193:
	.size	_ZN4vllm25paged_attention_v1_kernelIfhLi80ELi16ELi128ELNS_18Fp8KVCacheDataTypeE1ELb0EEEvPT_PKS2_PKT0_S8_ifPKiSA_iPKfiiiSC_SC_iiiii, .Lfunc_end193-_ZN4vllm25paged_attention_v1_kernelIfhLi80ELi16ELi128ELNS_18Fp8KVCacheDataTypeE1ELb0EEEvPT_PKS2_PKT0_S8_ifPKiSA_iPKfiiiSC_SC_iiiii
                                        ; -- End function
	.set _ZN4vllm25paged_attention_v1_kernelIfhLi80ELi16ELi128ELNS_18Fp8KVCacheDataTypeE1ELb0EEEvPT_PKS2_PKT0_S8_ifPKiSA_iPKfiiiSC_SC_iiiii.num_vgpr, 128
	.set _ZN4vllm25paged_attention_v1_kernelIfhLi80ELi16ELi128ELNS_18Fp8KVCacheDataTypeE1ELb0EEEvPT_PKS2_PKT0_S8_ifPKiSA_iPKfiiiSC_SC_iiiii.num_agpr, 0
	.set _ZN4vllm25paged_attention_v1_kernelIfhLi80ELi16ELi128ELNS_18Fp8KVCacheDataTypeE1ELb0EEEvPT_PKS2_PKT0_S8_ifPKiSA_iPKfiiiSC_SC_iiiii.numbered_sgpr, 40
	.set _ZN4vllm25paged_attention_v1_kernelIfhLi80ELi16ELi128ELNS_18Fp8KVCacheDataTypeE1ELb0EEEvPT_PKS2_PKT0_S8_ifPKiSA_iPKfiiiSC_SC_iiiii.num_named_barrier, 0
	.set _ZN4vllm25paged_attention_v1_kernelIfhLi80ELi16ELi128ELNS_18Fp8KVCacheDataTypeE1ELb0EEEvPT_PKS2_PKT0_S8_ifPKiSA_iPKfiiiSC_SC_iiiii.private_seg_size, 72
	.set _ZN4vllm25paged_attention_v1_kernelIfhLi80ELi16ELi128ELNS_18Fp8KVCacheDataTypeE1ELb0EEEvPT_PKS2_PKT0_S8_ifPKiSA_iPKfiiiSC_SC_iiiii.uses_vcc, 1
	.set _ZN4vllm25paged_attention_v1_kernelIfhLi80ELi16ELi128ELNS_18Fp8KVCacheDataTypeE1ELb0EEEvPT_PKS2_PKT0_S8_ifPKiSA_iPKfiiiSC_SC_iiiii.uses_flat_scratch, 0
	.set _ZN4vllm25paged_attention_v1_kernelIfhLi80ELi16ELi128ELNS_18Fp8KVCacheDataTypeE1ELb0EEEvPT_PKS2_PKT0_S8_ifPKiSA_iPKfiiiSC_SC_iiiii.has_dyn_sized_stack, 0
	.set _ZN4vllm25paged_attention_v1_kernelIfhLi80ELi16ELi128ELNS_18Fp8KVCacheDataTypeE1ELb0EEEvPT_PKS2_PKT0_S8_ifPKiSA_iPKfiiiSC_SC_iiiii.has_recursion, 0
	.set _ZN4vllm25paged_attention_v1_kernelIfhLi80ELi16ELi128ELNS_18Fp8KVCacheDataTypeE1ELb0EEEvPT_PKS2_PKT0_S8_ifPKiSA_iPKfiiiSC_SC_iiiii.has_indirect_call, 0
	.section	.AMDGPU.csdata,"",@progbits
; Kernel info:
; codeLenInByte = 22324
; TotalNumSgprs: 42
; NumVgprs: 128
; ScratchSize: 72
; MemoryBound: 0
; FloatMode: 240
; IeeeMode: 1
; LDSByteSize: 352 bytes/workgroup (compile time only)
; SGPRBlocks: 0
; VGPRBlocks: 15
; NumSGPRsForWavesPerEU: 42
; NumVGPRsForWavesPerEU: 128
; Occupancy: 8
; WaveLimiterHint : 1
; COMPUTE_PGM_RSRC2:SCRATCH_EN: 1
; COMPUTE_PGM_RSRC2:USER_SGPR: 6
; COMPUTE_PGM_RSRC2:TRAP_HANDLER: 0
; COMPUTE_PGM_RSRC2:TGID_X_EN: 1
; COMPUTE_PGM_RSRC2:TGID_Y_EN: 1
; COMPUTE_PGM_RSRC2:TGID_Z_EN: 1
; COMPUTE_PGM_RSRC2:TIDIG_COMP_CNT: 0
	.section	.text._ZN4vllm25paged_attention_v1_kernelIfhLi96ELi16ELi128ELNS_18Fp8KVCacheDataTypeE1ELb0EEEvPT_PKS2_PKT0_S8_ifPKiSA_iPKfiiiSC_SC_iiiii,"axG",@progbits,_ZN4vllm25paged_attention_v1_kernelIfhLi96ELi16ELi128ELNS_18Fp8KVCacheDataTypeE1ELb0EEEvPT_PKS2_PKT0_S8_ifPKiSA_iPKfiiiSC_SC_iiiii,comdat
	.protected	_ZN4vllm25paged_attention_v1_kernelIfhLi96ELi16ELi128ELNS_18Fp8KVCacheDataTypeE1ELb0EEEvPT_PKS2_PKT0_S8_ifPKiSA_iPKfiiiSC_SC_iiiii ; -- Begin function _ZN4vllm25paged_attention_v1_kernelIfhLi96ELi16ELi128ELNS_18Fp8KVCacheDataTypeE1ELb0EEEvPT_PKS2_PKT0_S8_ifPKiSA_iPKfiiiSC_SC_iiiii
	.globl	_ZN4vllm25paged_attention_v1_kernelIfhLi96ELi16ELi128ELNS_18Fp8KVCacheDataTypeE1ELb0EEEvPT_PKS2_PKT0_S8_ifPKiSA_iPKfiiiSC_SC_iiiii
	.p2align	8
	.type	_ZN4vllm25paged_attention_v1_kernelIfhLi96ELi16ELi128ELNS_18Fp8KVCacheDataTypeE1ELb0EEEvPT_PKS2_PKT0_S8_ifPKiSA_iPKfiiiSC_SC_iiiii,@function
_ZN4vllm25paged_attention_v1_kernelIfhLi96ELi16ELi128ELNS_18Fp8KVCacheDataTypeE1ELb0EEEvPT_PKS2_PKT0_S8_ifPKiSA_iPKfiiiSC_SC_iiiii: ; @_ZN4vllm25paged_attention_v1_kernelIfhLi96ELi16ELi128ELNS_18Fp8KVCacheDataTypeE1ELb0EEEvPT_PKS2_PKT0_S8_ifPKiSA_iPKfiiiSC_SC_iiiii
; %bb.0:
	s_mov_b64 s[38:39], s[2:3]
	s_mov_b64 s[36:37], s[0:1]
	s_mov_b32 s10, s7
	s_add_u32 s36, s36, s9
	s_clause 0x2
	s_load_dword s9, s[4:5], 0x80
	s_load_dwordx2 s[0:1], s[4:5], 0x30
	s_load_dwordx2 s[28:29], s[4:5], 0x20
	s_addc_u32 s37, s37, 0
	s_ashr_i32 s11, s7, 31
	v_mov_b32_e32 v95, v0
	s_lshl_b64 s[2:3], s[10:11], 2
	s_waitcnt lgkmcnt(0)
	s_add_u32 s0, s0, s2
	s_addc_u32 s1, s1, s3
	s_abs_i32 s2, s28
	s_abs_i32 s11, s9
	v_cvt_f32_u32_e32 v0, s2
	s_sub_i32 s7, 0, s2
	v_rcp_iflag_f32_e32 v0, v0
	v_mul_f32_e32 v0, 0x4f7ffffe, v0
	v_cvt_u32_f32_e32 v0, v0
	v_readfirstlane_b32 s3, v0
	s_mul_i32 s7, s7, s3
	s_mul_hi_u32 s7, s3, s7
	s_add_i32 s3, s3, s7
	s_xor_b32 s7, s9, s28
	s_mul_hi_u32 s3, s11, s3
	s_ashr_i32 s7, s7, 31
	s_mul_i32 s12, s3, s2
	s_mov_b32 s28, 0
	s_sub_i32 s11, s11, s12
	s_add_i32 s12, s3, 1
	s_sub_i32 s13, s11, s2
	s_cmp_ge_u32 s11, s2
	s_cselect_b32 s3, s12, s3
	s_cselect_b32 s11, s13, s11
	s_add_i32 s12, s3, 1
	s_cmp_ge_u32 s11, s2
	s_cselect_b32 s2, s12, s3
	s_abs_i32 s17, s6
	s_xor_b32 s2, s2, s7
	s_sub_i32 s19, s2, s7
	s_load_dwordx2 s[2:3], s[4:5], 0x40
	s_abs_i32 s16, s19
	v_cvt_f32_u32_e32 v0, s16
	s_sub_i32 s11, 0, s16
	v_rcp_iflag_f32_e32 v0, v0
	v_mul_f32_e32 v0, 0x4f7ffffe, v0
	v_cvt_u32_f32_e32 v0, v0
	v_readfirstlane_b32 s7, v0
	s_mul_i32 s11, s11, s7
	s_mul_hi_u32 s11, s7, s11
	s_add_i32 s7, s7, s11
	s_waitcnt lgkmcnt(0)
	s_cmp_eq_u64 s[2:3], 0
	s_mul_hi_u32 s18, s17, s7
	s_cbranch_scc1 .LBB194_2
; %bb.1:
	s_ashr_i32 s7, s6, 31
	s_lshl_b64 s[12:13], s[6:7], 2
	s_add_u32 s2, s2, s12
	s_addc_u32 s3, s3, s13
	s_load_dword s28, s[2:3], 0x0
.LBB194_2:
	s_load_dword s11, s[0:1], 0x0
	s_load_dwordx4 s[12:15], s[4:5], 0x48
	v_and_b32_e32 v0, 1, v95
	v_lshlrev_b32_e32 v11, 2, v95
	s_ashr_i32 s0, s6, 31
	s_ashr_i32 s1, s19, 31
	s_mulk_i32 s6, 0x60
	s_mov_b32 s2, exec_lo
	v_cmpx_gt_u32_e32 48, v95
	s_cbranch_execz .LBB194_4
; %bb.3:
	s_load_dwordx2 s[20:21], s[4:5], 0x8
	s_waitcnt lgkmcnt(0)
	s_mul_i32 s22, s12, s10
	v_lshlrev_b32_e32 v1, 3, v95
	s_ashr_i32 s23, s22, 31
	v_and_b32_e32 v3, 0xff8, v11
	s_lshl_b64 s[22:23], s[22:23], 2
	v_mad_u32_u24 v3, 0xc0, v0, v3
	s_add_u32 s3, s20, s22
	s_addc_u32 s12, s21, s23
	s_ashr_i32 s7, s6, 31
	s_lshl_b64 s[20:21], s[6:7], 2
	s_add_u32 s20, s3, s20
	s_addc_u32 s21, s12, s21
	global_load_dwordx2 v[1:2], v1, s[20:21]
	s_waitcnt vmcnt(0)
	ds_write_b64 v3, v[1:2]
.LBB194_4:
	s_or_b32 exec_lo, exec_lo, s2
	s_waitcnt lgkmcnt(0)
	s_add_i32 s2, s11, 15
	s_clause 0x1
	s_load_dwordx2 s[22:23], s[4:5], 0x28
	s_load_dword s7, s[4:5], 0x38
	s_ashr_i32 s3, s2, 31
	s_xor_b32 s0, s0, s1
	s_lshr_b32 s3, s3, 28
	s_mul_i32 s1, s18, s16
	s_add_i32 s2, s2, s3
	s_sub_i32 s1, s17, s1
	s_ashr_i32 s12, s2, 4
	s_add_i32 s2, s18, 1
	s_sub_i32 s3, s1, s16
	s_cmp_ge_u32 s1, s16
	v_lshrrev_b32_e32 v96, 5, v95
	s_cselect_b32 s2, s2, s18
	s_cselect_b32 s1, s3, s1
	s_add_i32 s3, s2, 1
	s_cmp_ge_u32 s1, s16
	v_mbcnt_lo_u32_b32 v13, -1, 0
	s_cselect_b32 s1, s3, s2
	s_mov_b32 s2, exec_lo
	s_xor_b32 s1, s1, s0
	s_waitcnt lgkmcnt(0)
	s_mul_i32 s24, s7, s10
	s_sub_i32 s1, s1, s0
	v_cmp_gt_i32_e64 s0, s12, v96
	s_ashr_i32 s25, s24, 31
	s_barrier
	buffer_gl0_inv
                                        ; implicit-def: $vgpr50
                                        ; implicit-def: $vgpr8
	v_cmpx_le_i32_e64 s12, v96
	s_xor_b32 s2, exec_lo, s2
; %bb.5:
	v_mov_b32_e32 v50, 0
	v_mbcnt_lo_u32_b32 v13, -1, 0
	v_mov_b32_e32 v8, 32
                                        ; implicit-def: $vgpr0
; %bb.6:
	s_or_saveexec_b32 s15, s2
	s_clause 0x3
	s_load_dwordx2 s[20:21], s[4:5], 0x0
	s_load_dwordx2 s[26:27], s[4:5], 0x18
	s_load_dword s7, s[4:5], 0x88
	s_load_dwordx4 s[16:19], s[4:5], 0x58
	v_mov_b32_e32 v3, 0xff7fffff
	v_lshrrev_b32_e32 v12, 3, v95
	s_mul_i32 s14, s1, s14
	s_xor_b32 exec_lo, exec_lo, s15
	s_cbranch_execz .LBB194_396
; %bb.7:
	v_mul_u32_u24_e32 v2, 0xc0, v0
	buffer_store_dword v11, off, s[36:39], 0 offset:152 ; 4-byte Folded Spill
	s_load_dwordx2 s[2:3], s[4:5], 0x10
	buffer_store_dword v95, off, s[36:39], 0 offset:144 ; 4-byte Folded Spill
	s_waitcnt lgkmcnt(0)
	s_load_dword s4, s[16:17], 0x0
	ds_read_b128 v[6:9], v2
	v_xor_b32_e32 v4, 1, v13
	v_bfe_u32 v1, v95, 1, 4
	s_ashr_i32 s1, s14, 31
	v_lshlrev_b32_e32 v3, 1, v0
	v_mov_b32_e32 v28, v96
	v_cmp_gt_i32_e32 vcc_lo, 32, v4
	v_lshlrev_b32_e32 v5, 4, v1
	v_mov_b32_e32 v50, 0
	v_mov_b32_e32 v27, 0x80
	v_lshl_or_b32 v127, v28, 4, v1
	v_cndmask_b32_e32 v4, v13, v4, vcc_lo
	v_cmp_eq_u32_e32 vcc_lo, 0, v0
	v_lshlrev_b32_e32 v0, 2, v1
	v_and_b32_e32 v1, 0x7c, v12
	v_bfrev_b32_e32 v22, 1
	v_lshlrev_b32_e32 v4, 2, v4
	s_add_u32 s2, s2, s14
	s_addc_u32 s1, s3, s1
	v_add_co_u32 v5, s2, s2, v5
	s_waitcnt lgkmcnt(0)
	buffer_store_dword v6, off, s[36:39], 0 offset:4 ; 4-byte Folded Spill
	buffer_store_dword v7, off, s[36:39], 0 offset:8 ; 4-byte Folded Spill
	;; [unrolled: 1-line block ×4, first 2 shown]
	ds_read_b128 v[6:9], v2 offset:16
	v_lshl_or_b32 v0, v96, 6, v0
	s_sub_i32 s5, 1, s11
	v_mov_b32_e32 v58, 0x7f800001
	s_mov_b32 s17, s13
	s_mov_b32 s16, 0
	v_add_nc_u32_e32 v0, 0x1a0, v0
	s_mov_b32 s30, s4
	s_waitcnt lgkmcnt(0)
	buffer_store_dword v6, off, s[36:39], 0 offset:20 ; 4-byte Folded Spill
	buffer_store_dword v7, off, s[36:39], 0 offset:24 ; 4-byte Folded Spill
	buffer_store_dword v8, off, s[36:39], 0 offset:28 ; 4-byte Folded Spill
	buffer_store_dword v9, off, s[36:39], 0 offset:32 ; 4-byte Folded Spill
	ds_read_b128 v[6:9], v2 offset:32
	s_waitcnt lgkmcnt(0)
	buffer_store_dword v6, off, s[36:39], 0 offset:36 ; 4-byte Folded Spill
	buffer_store_dword v7, off, s[36:39], 0 offset:40 ; 4-byte Folded Spill
	buffer_store_dword v8, off, s[36:39], 0 offset:44 ; 4-byte Folded Spill
	buffer_store_dword v9, off, s[36:39], 0 offset:48 ; 4-byte Folded Spill
	ds_read_b128 v[6:9], v2 offset:48
	;; [unrolled: 6-line block ×5, first 2 shown]
	buffer_store_dword v13, off, s[36:39], 0 offset:160 ; 4-byte Folded Spill
	v_add_co_ci_u32_e64 v6, null, s1, 0, s2
	v_add_co_u32 v3, s2, v5, v3
	v_cmp_neq_f32_e64 s1, s28, 0
	s_waitcnt lgkmcnt(0)
	buffer_store_dword v7, off, s[36:39], 0 offset:100 ; 4-byte Folded Spill
	buffer_store_dword v8, off, s[36:39], 0 offset:104 ; 4-byte Folded Spill
	;; [unrolled: 1-line block ×4, first 2 shown]
	ds_read_b128 v[7:10], v2 offset:112
	s_waitcnt lgkmcnt(0)
	buffer_store_dword v7, off, s[36:39], 0 offset:116 ; 4-byte Folded Spill
	buffer_store_dword v8, off, s[36:39], 0 offset:120 ; 4-byte Folded Spill
	;; [unrolled: 1-line block ×5, first 2 shown]
	v_add_co_ci_u32_e64 v4, null, 0, v6, s2
	buffer_store_dword v3, off, s[36:39], 0 offset:136 ; 4-byte Folded Spill
	buffer_store_dword v4, off, s[36:39], 0 offset:140 ; 4-byte Folded Spill
	ds_read_b128 v[33:36], v2 offset:128
	ds_read_b128 v[37:40], v2 offset:144
	ds_read_b128 v[41:44], v2 offset:160
	ds_read_b128 v[45:48], v2 offset:176
	s_lshl_b64 s[2:3], s[24:25], 2
	buffer_store_dword v12, off, s[36:39], 0 offset:156 ; 4-byte Folded Spill
	s_add_u32 s2, s22, s2
	s_addc_u32 s3, s23, s3
	v_add_co_u32 v53, s2, s2, v1
	v_add_co_ci_u32_e64 v54, null, s3, 0, s2
	v_mov_b32_e32 v1, 0xff7fffff
	buffer_store_dword v28, off, s[36:39], 0 offset:148 ; 4-byte Folded Spill
	buffer_store_dword v1, off, s[36:39], 0 ; 4-byte Folded Spill
	s_branch .LBB194_9
.LBB194_8:                              ;   in Loop: Header=BB194_9 Depth=1
	s_or_b32 exec_lo, exec_lo, s3
	v_add_nc_u32_e32 v28, 4, v28
	v_add_co_u32 v53, s3, v53, 16
	v_add_nc_u32_e32 v127, 64, v127
	v_add_nc_u32_e32 v0, 0x100, v0
	v_cmp_le_i32_e64 s2, s12, v28
	v_add_co_ci_u32_e64 v54, null, 0, v54, s3
	s_or_b32 s16, s2, s16
	s_andn2_b32 exec_lo, exec_lo, s16
	s_cbranch_execz .LBB194_395
.LBB194_9:                              ; =>This Inner Loop Header: Depth=1
	global_load_dword v1, v[53:54], off
	s_waitcnt lgkmcnt(0)
	s_clause 0x1
	buffer_load_dword v2, off, s[36:39], 0 offset:136
	buffer_load_dword v3, off, s[36:39], 0 offset:140
	v_mov_b32_e32 v25, 0
	v_mov_b32_e32 v59, 0
	;; [unrolled: 1-line block ×4, first 2 shown]
	s_waitcnt vmcnt(0)
	v_mad_i64_i32 v[67:68], null, v1, s17, v[2:3]
	global_load_ushort v2, v[67:68], off
	s_waitcnt vmcnt(0)
	v_and_b32_e32 v1, 0xffff, v2
	v_cmp_ne_u16_sdwa s2, v2, v50 src0_sel:BYTE_0 src1_sel:DWORD
	s_and_saveexec_b32 s3, s2
	s_cbranch_execz .LBB194_17
; %bb.10:                               ;   in Loop: Header=BB194_9 Depth=1
	v_bfrev_b32_e32 v59, 1
	v_mov_b32_e32 v60, 0
	v_cmp_ne_u16_sdwa s2, v1, v27 src0_sel:BYTE_0 src1_sel:DWORD
	s_and_saveexec_b32 s31, s2
	s_cbranch_execz .LBB194_16
; %bb.11:                               ;   in Loop: Header=BB194_9 Depth=1
	v_mov_b32_e32 v59, 0x7f800001
	v_and_b32_e32 v3, 0x7f, v1
	v_mov_b32_e32 v60, 0
	s_mov_b32 s33, exec_lo
	v_cmpx_ne_u32_e32 0x7f, v3
	s_cbranch_execz .LBB194_15
; %bb.12:                               ;   in Loop: Header=BB194_9 Depth=1
	v_and_b32_e32 v49, 7, v1
	v_lshrrev_b32_e32 v2, 3, v3
	s_mov_b32 s34, exec_lo
	v_cmpx_gt_u32_e32 8, v3
; %bb.13:                               ;   in Loop: Header=BB194_9 Depth=1
	v_ffbh_u32_e32 v2, v49
	v_min_u32_e32 v2, 32, v2
	v_subrev_nc_u32_e32 v3, 28, v2
	v_sub_nc_u32_e32 v2, 29, v2
	v_lshlrev_b64 v[3:4], v3, v[49:50]
	v_and_b32_e32 v49, 7, v3
; %bb.14:                               ;   in Loop: Header=BB194_9 Depth=1
	s_or_b32 exec_lo, exec_lo, s34
	v_lshlrev_b32_e32 v3, 24, v1
	v_lshlrev_b32_e32 v4, 20, v49
	v_lshl_add_u32 v2, v2, 23, 0x3c000000
	v_and_b32_e32 v3, 0x80000000, v3
	v_or3_b32 v49, v4, v3, v2
	v_mov_b32_e32 v60, v50
	v_mov_b32_e32 v59, v49
.LBB194_15:                             ;   in Loop: Header=BB194_9 Depth=1
	s_or_b32 exec_lo, exec_lo, s33
.LBB194_16:                             ;   in Loop: Header=BB194_9 Depth=1
	s_or_b32 exec_lo, exec_lo, s31
.LBB194_17:                             ;   in Loop: Header=BB194_9 Depth=1
	s_or_b32 exec_lo, exec_lo, s3
	v_cmp_ne_u16_sdwa s2, v1, v50 src0_sel:BYTE_1 src1_sel:DWORD
	s_and_saveexec_b32 s3, s2
	s_cbranch_execz .LBB194_25
; %bb.18:                               ;   in Loop: Header=BB194_9 Depth=1
	v_mov_b32_e32 v21, v50
	v_mov_b32_e32 v26, v22
	v_cmp_ne_u16_sdwa s2, v1, v27 src0_sel:BYTE_1 src1_sel:DWORD
	v_mov_b32_e32 v25, v21
	s_and_saveexec_b32 s31, s2
	s_cbranch_execz .LBB194_24
; %bb.19:                               ;   in Loop: Header=BB194_9 Depth=1
	v_mov_b32_e32 v2, 0xffff
	v_mov_b32_e32 v57, v50
	s_mov_b32 s33, exec_lo
	v_and_b32_sdwa v2, v2, v1 dst_sel:DWORD dst_unused:UNUSED_PAD src0_sel:DWORD src1_sel:BYTE_1
	v_mov_b32_e32 v25, v57
	v_mov_b32_e32 v26, v58
	v_and_b32_e32 v3, 0x7f, v2
	v_cmpx_ne_u32_e32 0x7f, v3
	s_cbranch_execz .LBB194_23
; %bb.20:                               ;   in Loop: Header=BB194_9 Depth=1
	v_and_b32_e32 v49, 7, v2
	v_lshrrev_b32_e32 v2, 3, v3
	s_mov_b32 s34, exec_lo
	v_cmpx_gt_u32_e32 8, v3
; %bb.21:                               ;   in Loop: Header=BB194_9 Depth=1
	v_ffbh_u32_e32 v2, v49
	v_min_u32_e32 v2, 32, v2
	v_subrev_nc_u32_e32 v3, 28, v2
	v_sub_nc_u32_e32 v2, 29, v2
	v_lshlrev_b64 v[3:4], v3, v[49:50]
	v_and_b32_e32 v49, 7, v3
; %bb.22:                               ;   in Loop: Header=BB194_9 Depth=1
	s_or_b32 exec_lo, exec_lo, s34
	v_lshlrev_b32_e32 v1, 16, v1
	v_lshlrev_b32_e32 v3, 20, v49
	v_lshl_add_u32 v2, v2, 23, 0x3c000000
	v_mov_b32_e32 v25, v50
	v_and_b32_e32 v1, 0x80000000, v1
	v_or3_b32 v26, v3, v1, v2
.LBB194_23:                             ;   in Loop: Header=BB194_9 Depth=1
	s_or_b32 exec_lo, exec_lo, s33
.LBB194_24:                             ;   in Loop: Header=BB194_9 Depth=1
	s_or_b32 exec_lo, exec_lo, s31
.LBB194_25:                             ;   in Loop: Header=BB194_9 Depth=1
	s_or_b32 exec_lo, exec_lo, s3
	global_load_ushort v2, v[67:68], off offset:4
	v_mov_b32_e32 v65, 0
	v_mov_b32_e32 v63, 0
	;; [unrolled: 1-line block ×4, first 2 shown]
	s_waitcnt vmcnt(0)
	v_and_b32_e32 v1, 0xffff, v2
	v_cmp_ne_u16_sdwa s2, v2, v50 src0_sel:BYTE_0 src1_sel:DWORD
	s_and_saveexec_b32 s3, s2
	s_cbranch_execz .LBB194_33
; %bb.26:                               ;   in Loop: Header=BB194_9 Depth=1
	v_bfrev_b32_e32 v63, 1
	v_mov_b32_e32 v64, 0
	v_cmp_ne_u16_sdwa s2, v1, v27 src0_sel:BYTE_0 src1_sel:DWORD
	s_and_saveexec_b32 s31, s2
	s_cbranch_execz .LBB194_32
; %bb.27:                               ;   in Loop: Header=BB194_9 Depth=1
	v_mov_b32_e32 v63, 0x7f800001
	v_and_b32_e32 v3, 0x7f, v1
	v_mov_b32_e32 v64, 0
	s_mov_b32 s33, exec_lo
	v_cmpx_ne_u32_e32 0x7f, v3
	s_cbranch_execz .LBB194_31
; %bb.28:                               ;   in Loop: Header=BB194_9 Depth=1
	v_and_b32_e32 v49, 7, v1
	v_lshrrev_b32_e32 v2, 3, v3
	s_mov_b32 s34, exec_lo
	v_cmpx_gt_u32_e32 8, v3
; %bb.29:                               ;   in Loop: Header=BB194_9 Depth=1
	v_ffbh_u32_e32 v2, v49
	v_min_u32_e32 v2, 32, v2
	v_subrev_nc_u32_e32 v3, 28, v2
	v_sub_nc_u32_e32 v2, 29, v2
	v_lshlrev_b64 v[3:4], v3, v[49:50]
	v_and_b32_e32 v49, 7, v3
; %bb.30:                               ;   in Loop: Header=BB194_9 Depth=1
	s_or_b32 exec_lo, exec_lo, s34
	v_lshlrev_b32_e32 v3, 24, v1
	v_lshlrev_b32_e32 v4, 20, v49
	v_lshl_add_u32 v2, v2, 23, 0x3c000000
	v_and_b32_e32 v3, 0x80000000, v3
	v_or3_b32 v49, v4, v3, v2
	v_mov_b32_e32 v64, v50
	v_mov_b32_e32 v63, v49
.LBB194_31:                             ;   in Loop: Header=BB194_9 Depth=1
	s_or_b32 exec_lo, exec_lo, s33
.LBB194_32:                             ;   in Loop: Header=BB194_9 Depth=1
	s_or_b32 exec_lo, exec_lo, s31
.LBB194_33:                             ;   in Loop: Header=BB194_9 Depth=1
	s_or_b32 exec_lo, exec_lo, s3
	v_cmp_ne_u16_sdwa s2, v1, v50 src0_sel:BYTE_1 src1_sel:DWORD
	s_and_saveexec_b32 s3, s2
	s_cbranch_execz .LBB194_41
; %bb.34:                               ;   in Loop: Header=BB194_9 Depth=1
	v_mov_b32_e32 v21, v50
	v_mov_b32_e32 v66, v22
	v_cmp_ne_u16_sdwa s2, v1, v27 src0_sel:BYTE_1 src1_sel:DWORD
	v_mov_b32_e32 v65, v21
	s_and_saveexec_b32 s31, s2
	s_cbranch_execz .LBB194_40
; %bb.35:                               ;   in Loop: Header=BB194_9 Depth=1
	v_mov_b32_e32 v2, 0xffff
	v_mov_b32_e32 v57, v50
	;; [unrolled: 1-line block ×3, first 2 shown]
	s_mov_b32 s33, exec_lo
	v_and_b32_sdwa v2, v2, v1 dst_sel:DWORD dst_unused:UNUSED_PAD src0_sel:DWORD src1_sel:BYTE_1
	v_mov_b32_e32 v65, v57
	v_and_b32_e32 v3, 0x7f, v2
	v_cmpx_ne_u32_e32 0x7f, v3
	s_cbranch_execz .LBB194_39
; %bb.36:                               ;   in Loop: Header=BB194_9 Depth=1
	v_and_b32_e32 v49, 7, v2
	v_lshrrev_b32_e32 v2, 3, v3
	s_mov_b32 s34, exec_lo
	v_cmpx_gt_u32_e32 8, v3
; %bb.37:                               ;   in Loop: Header=BB194_9 Depth=1
	v_ffbh_u32_e32 v2, v49
	v_min_u32_e32 v2, 32, v2
	v_subrev_nc_u32_e32 v3, 28, v2
	v_sub_nc_u32_e32 v2, 29, v2
	v_lshlrev_b64 v[3:4], v3, v[49:50]
	v_and_b32_e32 v49, 7, v3
; %bb.38:                               ;   in Loop: Header=BB194_9 Depth=1
	s_or_b32 exec_lo, exec_lo, s34
	v_lshlrev_b32_e32 v1, 16, v1
	v_lshlrev_b32_e32 v3, 20, v49
	v_lshl_add_u32 v2, v2, 23, 0x3c000000
	v_mov_b32_e32 v65, v50
	v_and_b32_e32 v1, 0x80000000, v1
	v_or3_b32 v66, v3, v1, v2
.LBB194_39:                             ;   in Loop: Header=BB194_9 Depth=1
	s_or_b32 exec_lo, exec_lo, s33
.LBB194_40:                             ;   in Loop: Header=BB194_9 Depth=1
	s_or_b32 exec_lo, exec_lo, s31
.LBB194_41:                             ;   in Loop: Header=BB194_9 Depth=1
	s_or_b32 exec_lo, exec_lo, s3
	global_load_ushort v2, v[67:68], off offset:8
	v_mov_b32_e32 v71, 0
	v_mov_b32_e32 v69, 0
	;; [unrolled: 1-line block ×4, first 2 shown]
	s_waitcnt vmcnt(0)
	v_and_b32_e32 v1, 0xffff, v2
	v_cmp_ne_u16_sdwa s2, v2, v50 src0_sel:BYTE_0 src1_sel:DWORD
	s_and_saveexec_b32 s3, s2
	s_cbranch_execz .LBB194_49
; %bb.42:                               ;   in Loop: Header=BB194_9 Depth=1
	v_bfrev_b32_e32 v69, 1
	v_mov_b32_e32 v70, 0
	v_cmp_ne_u16_sdwa s2, v1, v27 src0_sel:BYTE_0 src1_sel:DWORD
	s_and_saveexec_b32 s31, s2
	s_cbranch_execz .LBB194_48
; %bb.43:                               ;   in Loop: Header=BB194_9 Depth=1
	v_mov_b32_e32 v69, 0x7f800001
	v_and_b32_e32 v3, 0x7f, v1
	v_mov_b32_e32 v70, 0
	s_mov_b32 s33, exec_lo
	v_cmpx_ne_u32_e32 0x7f, v3
	s_cbranch_execz .LBB194_47
; %bb.44:                               ;   in Loop: Header=BB194_9 Depth=1
	v_and_b32_e32 v49, 7, v1
	v_lshrrev_b32_e32 v2, 3, v3
	s_mov_b32 s34, exec_lo
	v_cmpx_gt_u32_e32 8, v3
; %bb.45:                               ;   in Loop: Header=BB194_9 Depth=1
	v_ffbh_u32_e32 v2, v49
	v_min_u32_e32 v2, 32, v2
	v_subrev_nc_u32_e32 v3, 28, v2
	v_sub_nc_u32_e32 v2, 29, v2
	v_lshlrev_b64 v[3:4], v3, v[49:50]
	v_and_b32_e32 v49, 7, v3
; %bb.46:                               ;   in Loop: Header=BB194_9 Depth=1
	s_or_b32 exec_lo, exec_lo, s34
	v_lshlrev_b32_e32 v3, 24, v1
	v_lshlrev_b32_e32 v4, 20, v49
	v_lshl_add_u32 v2, v2, 23, 0x3c000000
	v_and_b32_e32 v3, 0x80000000, v3
	v_or3_b32 v49, v4, v3, v2
	v_mov_b32_e32 v70, v50
	v_mov_b32_e32 v69, v49
.LBB194_47:                             ;   in Loop: Header=BB194_9 Depth=1
	s_or_b32 exec_lo, exec_lo, s33
.LBB194_48:                             ;   in Loop: Header=BB194_9 Depth=1
	s_or_b32 exec_lo, exec_lo, s31
.LBB194_49:                             ;   in Loop: Header=BB194_9 Depth=1
	s_or_b32 exec_lo, exec_lo, s3
	v_cmp_ne_u16_sdwa s2, v1, v50 src0_sel:BYTE_1 src1_sel:DWORD
	s_and_saveexec_b32 s3, s2
	s_cbranch_execz .LBB194_57
; %bb.50:                               ;   in Loop: Header=BB194_9 Depth=1
	v_mov_b32_e32 v21, v50
	v_mov_b32_e32 v72, v22
	v_cmp_ne_u16_sdwa s2, v1, v27 src0_sel:BYTE_1 src1_sel:DWORD
	v_mov_b32_e32 v71, v21
	s_and_saveexec_b32 s31, s2
	s_cbranch_execz .LBB194_56
; %bb.51:                               ;   in Loop: Header=BB194_9 Depth=1
	v_mov_b32_e32 v2, 0xffff
	v_mov_b32_e32 v57, v50
	;; [unrolled: 1-line block ×3, first 2 shown]
	s_mov_b32 s33, exec_lo
	v_and_b32_sdwa v2, v2, v1 dst_sel:DWORD dst_unused:UNUSED_PAD src0_sel:DWORD src1_sel:BYTE_1
	v_mov_b32_e32 v71, v57
	v_and_b32_e32 v3, 0x7f, v2
	v_cmpx_ne_u32_e32 0x7f, v3
	s_cbranch_execz .LBB194_55
; %bb.52:                               ;   in Loop: Header=BB194_9 Depth=1
	v_and_b32_e32 v49, 7, v2
	v_lshrrev_b32_e32 v2, 3, v3
	s_mov_b32 s34, exec_lo
	v_cmpx_gt_u32_e32 8, v3
; %bb.53:                               ;   in Loop: Header=BB194_9 Depth=1
	v_ffbh_u32_e32 v2, v49
	v_min_u32_e32 v2, 32, v2
	v_subrev_nc_u32_e32 v3, 28, v2
	v_sub_nc_u32_e32 v2, 29, v2
	v_lshlrev_b64 v[3:4], v3, v[49:50]
	v_and_b32_e32 v49, 7, v3
; %bb.54:                               ;   in Loop: Header=BB194_9 Depth=1
	s_or_b32 exec_lo, exec_lo, s34
	v_lshlrev_b32_e32 v1, 16, v1
	v_lshlrev_b32_e32 v3, 20, v49
	v_lshl_add_u32 v2, v2, 23, 0x3c000000
	v_mov_b32_e32 v71, v50
	v_and_b32_e32 v1, 0x80000000, v1
	v_or3_b32 v72, v3, v1, v2
.LBB194_55:                             ;   in Loop: Header=BB194_9 Depth=1
	s_or_b32 exec_lo, exec_lo, s33
.LBB194_56:                             ;   in Loop: Header=BB194_9 Depth=1
	s_or_b32 exec_lo, exec_lo, s31
.LBB194_57:                             ;   in Loop: Header=BB194_9 Depth=1
	s_or_b32 exec_lo, exec_lo, s3
	global_load_ushort v2, v[67:68], off offset:12
	v_mov_b32_e32 v75, 0
	v_mov_b32_e32 v73, 0
	;; [unrolled: 1-line block ×4, first 2 shown]
	s_waitcnt vmcnt(0)
	v_and_b32_e32 v1, 0xffff, v2
	v_cmp_ne_u16_sdwa s2, v2, v50 src0_sel:BYTE_0 src1_sel:DWORD
	s_and_saveexec_b32 s3, s2
	s_cbranch_execz .LBB194_65
; %bb.58:                               ;   in Loop: Header=BB194_9 Depth=1
	v_bfrev_b32_e32 v73, 1
	v_mov_b32_e32 v74, 0
	v_cmp_ne_u16_sdwa s2, v1, v27 src0_sel:BYTE_0 src1_sel:DWORD
	s_and_saveexec_b32 s31, s2
	s_cbranch_execz .LBB194_64
; %bb.59:                               ;   in Loop: Header=BB194_9 Depth=1
	v_mov_b32_e32 v73, 0x7f800001
	v_and_b32_e32 v3, 0x7f, v1
	v_mov_b32_e32 v74, 0
	s_mov_b32 s33, exec_lo
	v_cmpx_ne_u32_e32 0x7f, v3
	s_cbranch_execz .LBB194_63
; %bb.60:                               ;   in Loop: Header=BB194_9 Depth=1
	v_and_b32_e32 v49, 7, v1
	v_lshrrev_b32_e32 v2, 3, v3
	s_mov_b32 s34, exec_lo
	v_cmpx_gt_u32_e32 8, v3
; %bb.61:                               ;   in Loop: Header=BB194_9 Depth=1
	v_ffbh_u32_e32 v2, v49
	v_min_u32_e32 v2, 32, v2
	v_subrev_nc_u32_e32 v3, 28, v2
	v_sub_nc_u32_e32 v2, 29, v2
	v_lshlrev_b64 v[3:4], v3, v[49:50]
	v_and_b32_e32 v49, 7, v3
; %bb.62:                               ;   in Loop: Header=BB194_9 Depth=1
	s_or_b32 exec_lo, exec_lo, s34
	v_lshlrev_b32_e32 v3, 24, v1
	v_lshlrev_b32_e32 v4, 20, v49
	v_lshl_add_u32 v2, v2, 23, 0x3c000000
	v_and_b32_e32 v3, 0x80000000, v3
	v_or3_b32 v49, v4, v3, v2
	v_mov_b32_e32 v74, v50
	v_mov_b32_e32 v73, v49
.LBB194_63:                             ;   in Loop: Header=BB194_9 Depth=1
	s_or_b32 exec_lo, exec_lo, s33
.LBB194_64:                             ;   in Loop: Header=BB194_9 Depth=1
	s_or_b32 exec_lo, exec_lo, s31
.LBB194_65:                             ;   in Loop: Header=BB194_9 Depth=1
	s_or_b32 exec_lo, exec_lo, s3
	v_cmp_ne_u16_sdwa s2, v1, v50 src0_sel:BYTE_1 src1_sel:DWORD
	s_and_saveexec_b32 s3, s2
	s_cbranch_execz .LBB194_73
; %bb.66:                               ;   in Loop: Header=BB194_9 Depth=1
	v_mov_b32_e32 v21, v50
	v_mov_b32_e32 v76, v22
	v_cmp_ne_u16_sdwa s2, v1, v27 src0_sel:BYTE_1 src1_sel:DWORD
	v_mov_b32_e32 v75, v21
	s_and_saveexec_b32 s31, s2
	s_cbranch_execz .LBB194_72
; %bb.67:                               ;   in Loop: Header=BB194_9 Depth=1
	v_mov_b32_e32 v2, 0xffff
	v_mov_b32_e32 v57, v50
	v_mov_b32_e32 v76, v58
	s_mov_b32 s33, exec_lo
	v_and_b32_sdwa v2, v2, v1 dst_sel:DWORD dst_unused:UNUSED_PAD src0_sel:DWORD src1_sel:BYTE_1
	v_mov_b32_e32 v75, v57
	v_and_b32_e32 v3, 0x7f, v2
	v_cmpx_ne_u32_e32 0x7f, v3
	s_cbranch_execz .LBB194_71
; %bb.68:                               ;   in Loop: Header=BB194_9 Depth=1
	v_and_b32_e32 v49, 7, v2
	v_lshrrev_b32_e32 v2, 3, v3
	s_mov_b32 s34, exec_lo
	v_cmpx_gt_u32_e32 8, v3
; %bb.69:                               ;   in Loop: Header=BB194_9 Depth=1
	v_ffbh_u32_e32 v2, v49
	v_min_u32_e32 v2, 32, v2
	v_subrev_nc_u32_e32 v3, 28, v2
	v_sub_nc_u32_e32 v2, 29, v2
	v_lshlrev_b64 v[3:4], v3, v[49:50]
	v_and_b32_e32 v49, 7, v3
; %bb.70:                               ;   in Loop: Header=BB194_9 Depth=1
	s_or_b32 exec_lo, exec_lo, s34
	v_lshlrev_b32_e32 v1, 16, v1
	v_lshlrev_b32_e32 v3, 20, v49
	v_lshl_add_u32 v2, v2, 23, 0x3c000000
	v_mov_b32_e32 v75, v50
	v_and_b32_e32 v1, 0x80000000, v1
	v_or3_b32 v76, v3, v1, v2
.LBB194_71:                             ;   in Loop: Header=BB194_9 Depth=1
	s_or_b32 exec_lo, exec_lo, s33
.LBB194_72:                             ;   in Loop: Header=BB194_9 Depth=1
	s_or_b32 exec_lo, exec_lo, s31
.LBB194_73:                             ;   in Loop: Header=BB194_9 Depth=1
	s_or_b32 exec_lo, exec_lo, s3
	global_load_ushort v2, v[67:68], off offset:256
	v_mov_b32_e32 v79, 0
	v_mov_b32_e32 v77, 0
	;; [unrolled: 1-line block ×4, first 2 shown]
	s_waitcnt vmcnt(0)
	v_and_b32_e32 v1, 0xffff, v2
	v_cmp_ne_u16_sdwa s2, v2, v50 src0_sel:BYTE_0 src1_sel:DWORD
	s_and_saveexec_b32 s3, s2
	s_cbranch_execz .LBB194_81
; %bb.74:                               ;   in Loop: Header=BB194_9 Depth=1
	v_bfrev_b32_e32 v77, 1
	v_mov_b32_e32 v78, 0
	v_cmp_ne_u16_sdwa s2, v1, v27 src0_sel:BYTE_0 src1_sel:DWORD
	s_and_saveexec_b32 s31, s2
	s_cbranch_execz .LBB194_80
; %bb.75:                               ;   in Loop: Header=BB194_9 Depth=1
	v_mov_b32_e32 v77, 0x7f800001
	v_and_b32_e32 v3, 0x7f, v1
	v_mov_b32_e32 v78, 0
	s_mov_b32 s33, exec_lo
	v_cmpx_ne_u32_e32 0x7f, v3
	s_cbranch_execz .LBB194_79
; %bb.76:                               ;   in Loop: Header=BB194_9 Depth=1
	v_and_b32_e32 v49, 7, v1
	v_lshrrev_b32_e32 v2, 3, v3
	s_mov_b32 s34, exec_lo
	v_cmpx_gt_u32_e32 8, v3
; %bb.77:                               ;   in Loop: Header=BB194_9 Depth=1
	v_ffbh_u32_e32 v2, v49
	v_min_u32_e32 v2, 32, v2
	v_subrev_nc_u32_e32 v3, 28, v2
	v_sub_nc_u32_e32 v2, 29, v2
	v_lshlrev_b64 v[3:4], v3, v[49:50]
	v_and_b32_e32 v49, 7, v3
; %bb.78:                               ;   in Loop: Header=BB194_9 Depth=1
	s_or_b32 exec_lo, exec_lo, s34
	v_lshlrev_b32_e32 v3, 24, v1
	v_lshlrev_b32_e32 v4, 20, v49
	v_lshl_add_u32 v2, v2, 23, 0x3c000000
	v_and_b32_e32 v3, 0x80000000, v3
	v_or3_b32 v49, v4, v3, v2
	v_mov_b32_e32 v78, v50
	v_mov_b32_e32 v77, v49
.LBB194_79:                             ;   in Loop: Header=BB194_9 Depth=1
	s_or_b32 exec_lo, exec_lo, s33
.LBB194_80:                             ;   in Loop: Header=BB194_9 Depth=1
	s_or_b32 exec_lo, exec_lo, s31
.LBB194_81:                             ;   in Loop: Header=BB194_9 Depth=1
	s_or_b32 exec_lo, exec_lo, s3
	v_cmp_ne_u16_sdwa s2, v1, v50 src0_sel:BYTE_1 src1_sel:DWORD
	s_and_saveexec_b32 s3, s2
	s_cbranch_execz .LBB194_89
; %bb.82:                               ;   in Loop: Header=BB194_9 Depth=1
	v_mov_b32_e32 v21, v50
	v_mov_b32_e32 v80, v22
	v_cmp_ne_u16_sdwa s2, v1, v27 src0_sel:BYTE_1 src1_sel:DWORD
	v_mov_b32_e32 v79, v21
	s_and_saveexec_b32 s31, s2
	s_cbranch_execz .LBB194_88
; %bb.83:                               ;   in Loop: Header=BB194_9 Depth=1
	v_mov_b32_e32 v2, 0xffff
	v_mov_b32_e32 v57, v50
	;; [unrolled: 1-line block ×3, first 2 shown]
	s_mov_b32 s33, exec_lo
	v_and_b32_sdwa v2, v2, v1 dst_sel:DWORD dst_unused:UNUSED_PAD src0_sel:DWORD src1_sel:BYTE_1
	v_mov_b32_e32 v79, v57
	v_and_b32_e32 v3, 0x7f, v2
	v_cmpx_ne_u32_e32 0x7f, v3
	s_cbranch_execz .LBB194_87
; %bb.84:                               ;   in Loop: Header=BB194_9 Depth=1
	v_and_b32_e32 v49, 7, v2
	v_lshrrev_b32_e32 v2, 3, v3
	s_mov_b32 s34, exec_lo
	v_cmpx_gt_u32_e32 8, v3
; %bb.85:                               ;   in Loop: Header=BB194_9 Depth=1
	v_ffbh_u32_e32 v2, v49
	v_min_u32_e32 v2, 32, v2
	v_subrev_nc_u32_e32 v3, 28, v2
	v_sub_nc_u32_e32 v2, 29, v2
	v_lshlrev_b64 v[3:4], v3, v[49:50]
	v_and_b32_e32 v49, 7, v3
; %bb.86:                               ;   in Loop: Header=BB194_9 Depth=1
	s_or_b32 exec_lo, exec_lo, s34
	v_lshlrev_b32_e32 v1, 16, v1
	v_lshlrev_b32_e32 v3, 20, v49
	v_lshl_add_u32 v2, v2, 23, 0x3c000000
	v_mov_b32_e32 v79, v50
	v_and_b32_e32 v1, 0x80000000, v1
	v_or3_b32 v80, v3, v1, v2
.LBB194_87:                             ;   in Loop: Header=BB194_9 Depth=1
	s_or_b32 exec_lo, exec_lo, s33
.LBB194_88:                             ;   in Loop: Header=BB194_9 Depth=1
	s_or_b32 exec_lo, exec_lo, s31
.LBB194_89:                             ;   in Loop: Header=BB194_9 Depth=1
	s_or_b32 exec_lo, exec_lo, s3
	global_load_ushort v2, v[67:68], off offset:260
	v_mov_b32_e32 v83, 0
	v_mov_b32_e32 v81, 0
	;; [unrolled: 1-line block ×4, first 2 shown]
	s_waitcnt vmcnt(0)
	v_and_b32_e32 v1, 0xffff, v2
	v_cmp_ne_u16_sdwa s2, v2, v50 src0_sel:BYTE_0 src1_sel:DWORD
	s_and_saveexec_b32 s3, s2
	s_cbranch_execz .LBB194_97
; %bb.90:                               ;   in Loop: Header=BB194_9 Depth=1
	v_bfrev_b32_e32 v81, 1
	v_mov_b32_e32 v82, 0
	v_cmp_ne_u16_sdwa s2, v1, v27 src0_sel:BYTE_0 src1_sel:DWORD
	s_and_saveexec_b32 s31, s2
	s_cbranch_execz .LBB194_96
; %bb.91:                               ;   in Loop: Header=BB194_9 Depth=1
	v_mov_b32_e32 v81, 0x7f800001
	v_and_b32_e32 v3, 0x7f, v1
	v_mov_b32_e32 v82, 0
	s_mov_b32 s33, exec_lo
	v_cmpx_ne_u32_e32 0x7f, v3
	s_cbranch_execz .LBB194_95
; %bb.92:                               ;   in Loop: Header=BB194_9 Depth=1
	v_and_b32_e32 v49, 7, v1
	v_lshrrev_b32_e32 v2, 3, v3
	s_mov_b32 s34, exec_lo
	v_cmpx_gt_u32_e32 8, v3
; %bb.93:                               ;   in Loop: Header=BB194_9 Depth=1
	v_ffbh_u32_e32 v2, v49
	v_min_u32_e32 v2, 32, v2
	v_subrev_nc_u32_e32 v3, 28, v2
	v_sub_nc_u32_e32 v2, 29, v2
	v_lshlrev_b64 v[3:4], v3, v[49:50]
	v_and_b32_e32 v49, 7, v3
; %bb.94:                               ;   in Loop: Header=BB194_9 Depth=1
	s_or_b32 exec_lo, exec_lo, s34
	v_lshlrev_b32_e32 v3, 24, v1
	v_lshlrev_b32_e32 v4, 20, v49
	v_lshl_add_u32 v2, v2, 23, 0x3c000000
	v_and_b32_e32 v3, 0x80000000, v3
	v_or3_b32 v49, v4, v3, v2
	v_mov_b32_e32 v82, v50
	v_mov_b32_e32 v81, v49
.LBB194_95:                             ;   in Loop: Header=BB194_9 Depth=1
	s_or_b32 exec_lo, exec_lo, s33
.LBB194_96:                             ;   in Loop: Header=BB194_9 Depth=1
	s_or_b32 exec_lo, exec_lo, s31
.LBB194_97:                             ;   in Loop: Header=BB194_9 Depth=1
	s_or_b32 exec_lo, exec_lo, s3
	v_cmp_ne_u16_sdwa s2, v1, v50 src0_sel:BYTE_1 src1_sel:DWORD
	s_and_saveexec_b32 s3, s2
	s_cbranch_execz .LBB194_105
; %bb.98:                               ;   in Loop: Header=BB194_9 Depth=1
	v_mov_b32_e32 v21, v50
	v_mov_b32_e32 v84, v22
	v_cmp_ne_u16_sdwa s2, v1, v27 src0_sel:BYTE_1 src1_sel:DWORD
	v_mov_b32_e32 v83, v21
	s_and_saveexec_b32 s31, s2
	s_cbranch_execz .LBB194_104
; %bb.99:                               ;   in Loop: Header=BB194_9 Depth=1
	v_mov_b32_e32 v2, 0xffff
	v_mov_b32_e32 v57, v50
	v_mov_b32_e32 v84, v58
	s_mov_b32 s33, exec_lo
	v_and_b32_sdwa v2, v2, v1 dst_sel:DWORD dst_unused:UNUSED_PAD src0_sel:DWORD src1_sel:BYTE_1
	v_mov_b32_e32 v83, v57
	v_and_b32_e32 v3, 0x7f, v2
	v_cmpx_ne_u32_e32 0x7f, v3
	s_cbranch_execz .LBB194_103
; %bb.100:                              ;   in Loop: Header=BB194_9 Depth=1
	v_and_b32_e32 v49, 7, v2
	v_lshrrev_b32_e32 v2, 3, v3
	s_mov_b32 s34, exec_lo
	v_cmpx_gt_u32_e32 8, v3
; %bb.101:                              ;   in Loop: Header=BB194_9 Depth=1
	v_ffbh_u32_e32 v2, v49
	v_min_u32_e32 v2, 32, v2
	v_subrev_nc_u32_e32 v3, 28, v2
	v_sub_nc_u32_e32 v2, 29, v2
	v_lshlrev_b64 v[3:4], v3, v[49:50]
	v_and_b32_e32 v49, 7, v3
; %bb.102:                              ;   in Loop: Header=BB194_9 Depth=1
	s_or_b32 exec_lo, exec_lo, s34
	v_lshlrev_b32_e32 v1, 16, v1
	v_lshlrev_b32_e32 v3, 20, v49
	v_lshl_add_u32 v2, v2, 23, 0x3c000000
	v_mov_b32_e32 v83, v50
	v_and_b32_e32 v1, 0x80000000, v1
	v_or3_b32 v84, v3, v1, v2
.LBB194_103:                            ;   in Loop: Header=BB194_9 Depth=1
	s_or_b32 exec_lo, exec_lo, s33
.LBB194_104:                            ;   in Loop: Header=BB194_9 Depth=1
	s_or_b32 exec_lo, exec_lo, s31
.LBB194_105:                            ;   in Loop: Header=BB194_9 Depth=1
	s_or_b32 exec_lo, exec_lo, s3
	global_load_ushort v2, v[67:68], off offset:264
	v_mov_b32_e32 v87, 0
	v_mov_b32_e32 v85, 0
	;; [unrolled: 1-line block ×4, first 2 shown]
	s_waitcnt vmcnt(0)
	v_and_b32_e32 v1, 0xffff, v2
	v_cmp_ne_u16_sdwa s2, v2, v50 src0_sel:BYTE_0 src1_sel:DWORD
	s_and_saveexec_b32 s3, s2
	s_cbranch_execz .LBB194_113
; %bb.106:                              ;   in Loop: Header=BB194_9 Depth=1
	v_bfrev_b32_e32 v85, 1
	v_mov_b32_e32 v86, 0
	v_cmp_ne_u16_sdwa s2, v1, v27 src0_sel:BYTE_0 src1_sel:DWORD
	s_and_saveexec_b32 s31, s2
	s_cbranch_execz .LBB194_112
; %bb.107:                              ;   in Loop: Header=BB194_9 Depth=1
	v_mov_b32_e32 v85, 0x7f800001
	v_and_b32_e32 v3, 0x7f, v1
	v_mov_b32_e32 v86, 0
	s_mov_b32 s33, exec_lo
	v_cmpx_ne_u32_e32 0x7f, v3
	s_cbranch_execz .LBB194_111
; %bb.108:                              ;   in Loop: Header=BB194_9 Depth=1
	v_and_b32_e32 v49, 7, v1
	v_lshrrev_b32_e32 v2, 3, v3
	s_mov_b32 s34, exec_lo
	v_cmpx_gt_u32_e32 8, v3
; %bb.109:                              ;   in Loop: Header=BB194_9 Depth=1
	v_ffbh_u32_e32 v2, v49
	v_min_u32_e32 v2, 32, v2
	v_subrev_nc_u32_e32 v3, 28, v2
	v_sub_nc_u32_e32 v2, 29, v2
	v_lshlrev_b64 v[3:4], v3, v[49:50]
	v_and_b32_e32 v49, 7, v3
; %bb.110:                              ;   in Loop: Header=BB194_9 Depth=1
	s_or_b32 exec_lo, exec_lo, s34
	v_lshlrev_b32_e32 v3, 24, v1
	v_lshlrev_b32_e32 v4, 20, v49
	v_lshl_add_u32 v2, v2, 23, 0x3c000000
	v_and_b32_e32 v3, 0x80000000, v3
	v_or3_b32 v49, v4, v3, v2
	v_mov_b32_e32 v86, v50
	v_mov_b32_e32 v85, v49
.LBB194_111:                            ;   in Loop: Header=BB194_9 Depth=1
	s_or_b32 exec_lo, exec_lo, s33
.LBB194_112:                            ;   in Loop: Header=BB194_9 Depth=1
	s_or_b32 exec_lo, exec_lo, s31
.LBB194_113:                            ;   in Loop: Header=BB194_9 Depth=1
	s_or_b32 exec_lo, exec_lo, s3
	v_cmp_ne_u16_sdwa s2, v1, v50 src0_sel:BYTE_1 src1_sel:DWORD
	s_and_saveexec_b32 s3, s2
	s_cbranch_execz .LBB194_121
; %bb.114:                              ;   in Loop: Header=BB194_9 Depth=1
	v_mov_b32_e32 v21, v50
	v_mov_b32_e32 v88, v22
	v_cmp_ne_u16_sdwa s2, v1, v27 src0_sel:BYTE_1 src1_sel:DWORD
	v_mov_b32_e32 v87, v21
	s_and_saveexec_b32 s31, s2
	s_cbranch_execz .LBB194_120
; %bb.115:                              ;   in Loop: Header=BB194_9 Depth=1
	v_mov_b32_e32 v2, 0xffff
	v_mov_b32_e32 v57, v50
	;; [unrolled: 1-line block ×3, first 2 shown]
	s_mov_b32 s33, exec_lo
	v_and_b32_sdwa v2, v2, v1 dst_sel:DWORD dst_unused:UNUSED_PAD src0_sel:DWORD src1_sel:BYTE_1
	v_mov_b32_e32 v87, v57
	v_and_b32_e32 v3, 0x7f, v2
	v_cmpx_ne_u32_e32 0x7f, v3
	s_cbranch_execz .LBB194_119
; %bb.116:                              ;   in Loop: Header=BB194_9 Depth=1
	v_and_b32_e32 v49, 7, v2
	v_lshrrev_b32_e32 v2, 3, v3
	s_mov_b32 s34, exec_lo
	v_cmpx_gt_u32_e32 8, v3
; %bb.117:                              ;   in Loop: Header=BB194_9 Depth=1
	v_ffbh_u32_e32 v2, v49
	v_min_u32_e32 v2, 32, v2
	v_subrev_nc_u32_e32 v3, 28, v2
	v_sub_nc_u32_e32 v2, 29, v2
	v_lshlrev_b64 v[3:4], v3, v[49:50]
	v_and_b32_e32 v49, 7, v3
; %bb.118:                              ;   in Loop: Header=BB194_9 Depth=1
	s_or_b32 exec_lo, exec_lo, s34
	v_lshlrev_b32_e32 v1, 16, v1
	v_lshlrev_b32_e32 v3, 20, v49
	v_lshl_add_u32 v2, v2, 23, 0x3c000000
	v_mov_b32_e32 v87, v50
	v_and_b32_e32 v1, 0x80000000, v1
	v_or3_b32 v88, v3, v1, v2
.LBB194_119:                            ;   in Loop: Header=BB194_9 Depth=1
	s_or_b32 exec_lo, exec_lo, s33
.LBB194_120:                            ;   in Loop: Header=BB194_9 Depth=1
	s_or_b32 exec_lo, exec_lo, s31
.LBB194_121:                            ;   in Loop: Header=BB194_9 Depth=1
	s_or_b32 exec_lo, exec_lo, s3
	global_load_ushort v2, v[67:68], off offset:268
	v_mov_b32_e32 v91, 0
	v_mov_b32_e32 v89, 0
	;; [unrolled: 1-line block ×4, first 2 shown]
	s_waitcnt vmcnt(0)
	v_and_b32_e32 v1, 0xffff, v2
	v_cmp_ne_u16_sdwa s2, v2, v50 src0_sel:BYTE_0 src1_sel:DWORD
	s_and_saveexec_b32 s3, s2
	s_cbranch_execz .LBB194_129
; %bb.122:                              ;   in Loop: Header=BB194_9 Depth=1
	v_bfrev_b32_e32 v89, 1
	v_mov_b32_e32 v90, 0
	v_cmp_ne_u16_sdwa s2, v1, v27 src0_sel:BYTE_0 src1_sel:DWORD
	s_and_saveexec_b32 s31, s2
	s_cbranch_execz .LBB194_128
; %bb.123:                              ;   in Loop: Header=BB194_9 Depth=1
	v_mov_b32_e32 v89, 0x7f800001
	v_and_b32_e32 v3, 0x7f, v1
	v_mov_b32_e32 v90, 0
	s_mov_b32 s33, exec_lo
	v_cmpx_ne_u32_e32 0x7f, v3
	s_cbranch_execz .LBB194_127
; %bb.124:                              ;   in Loop: Header=BB194_9 Depth=1
	v_and_b32_e32 v49, 7, v1
	v_lshrrev_b32_e32 v2, 3, v3
	s_mov_b32 s34, exec_lo
	v_cmpx_gt_u32_e32 8, v3
; %bb.125:                              ;   in Loop: Header=BB194_9 Depth=1
	v_ffbh_u32_e32 v2, v49
	v_min_u32_e32 v2, 32, v2
	v_subrev_nc_u32_e32 v3, 28, v2
	v_sub_nc_u32_e32 v2, 29, v2
	v_lshlrev_b64 v[3:4], v3, v[49:50]
	v_and_b32_e32 v49, 7, v3
; %bb.126:                              ;   in Loop: Header=BB194_9 Depth=1
	s_or_b32 exec_lo, exec_lo, s34
	v_lshlrev_b32_e32 v3, 24, v1
	v_lshlrev_b32_e32 v4, 20, v49
	v_lshl_add_u32 v2, v2, 23, 0x3c000000
	v_and_b32_e32 v3, 0x80000000, v3
	v_or3_b32 v49, v4, v3, v2
	v_mov_b32_e32 v90, v50
	v_mov_b32_e32 v89, v49
.LBB194_127:                            ;   in Loop: Header=BB194_9 Depth=1
	s_or_b32 exec_lo, exec_lo, s33
.LBB194_128:                            ;   in Loop: Header=BB194_9 Depth=1
	s_or_b32 exec_lo, exec_lo, s31
.LBB194_129:                            ;   in Loop: Header=BB194_9 Depth=1
	s_or_b32 exec_lo, exec_lo, s3
	v_cmp_ne_u16_sdwa s2, v1, v50 src0_sel:BYTE_1 src1_sel:DWORD
	s_and_saveexec_b32 s3, s2
	s_cbranch_execz .LBB194_137
; %bb.130:                              ;   in Loop: Header=BB194_9 Depth=1
	v_mov_b32_e32 v21, v50
	v_mov_b32_e32 v92, v22
	v_cmp_ne_u16_sdwa s2, v1, v27 src0_sel:BYTE_1 src1_sel:DWORD
	v_mov_b32_e32 v91, v21
	s_and_saveexec_b32 s31, s2
	s_cbranch_execz .LBB194_136
; %bb.131:                              ;   in Loop: Header=BB194_9 Depth=1
	v_mov_b32_e32 v2, 0xffff
	v_mov_b32_e32 v57, v50
	v_mov_b32_e32 v92, v58
	s_mov_b32 s33, exec_lo
	v_and_b32_sdwa v2, v2, v1 dst_sel:DWORD dst_unused:UNUSED_PAD src0_sel:DWORD src1_sel:BYTE_1
	v_mov_b32_e32 v91, v57
	v_and_b32_e32 v3, 0x7f, v2
	v_cmpx_ne_u32_e32 0x7f, v3
	s_cbranch_execz .LBB194_135
; %bb.132:                              ;   in Loop: Header=BB194_9 Depth=1
	v_and_b32_e32 v49, 7, v2
	v_lshrrev_b32_e32 v2, 3, v3
	s_mov_b32 s34, exec_lo
	v_cmpx_gt_u32_e32 8, v3
; %bb.133:                              ;   in Loop: Header=BB194_9 Depth=1
	v_ffbh_u32_e32 v2, v49
	v_min_u32_e32 v2, 32, v2
	v_subrev_nc_u32_e32 v3, 28, v2
	v_sub_nc_u32_e32 v2, 29, v2
	v_lshlrev_b64 v[3:4], v3, v[49:50]
	v_and_b32_e32 v49, 7, v3
; %bb.134:                              ;   in Loop: Header=BB194_9 Depth=1
	s_or_b32 exec_lo, exec_lo, s34
	v_lshlrev_b32_e32 v1, 16, v1
	v_lshlrev_b32_e32 v3, 20, v49
	v_lshl_add_u32 v2, v2, 23, 0x3c000000
	v_mov_b32_e32 v91, v50
	v_and_b32_e32 v1, 0x80000000, v1
	v_or3_b32 v92, v3, v1, v2
.LBB194_135:                            ;   in Loop: Header=BB194_9 Depth=1
	s_or_b32 exec_lo, exec_lo, s33
.LBB194_136:                            ;   in Loop: Header=BB194_9 Depth=1
	s_or_b32 exec_lo, exec_lo, s31
.LBB194_137:                            ;   in Loop: Header=BB194_9 Depth=1
	s_or_b32 exec_lo, exec_lo, s3
	global_load_ushort v2, v[67:68], off offset:512
	v_mov_b32_e32 v95, 0
	v_mov_b32_e32 v93, 0
	v_mov_b32_e32 v96, 0
	v_mov_b32_e32 v94, 0
	s_waitcnt vmcnt(0)
	v_and_b32_e32 v1, 0xffff, v2
	v_cmp_ne_u16_sdwa s2, v2, v50 src0_sel:BYTE_0 src1_sel:DWORD
	s_and_saveexec_b32 s3, s2
	s_cbranch_execz .LBB194_145
; %bb.138:                              ;   in Loop: Header=BB194_9 Depth=1
	v_bfrev_b32_e32 v93, 1
	v_mov_b32_e32 v94, 0
	v_cmp_ne_u16_sdwa s2, v1, v27 src0_sel:BYTE_0 src1_sel:DWORD
	s_and_saveexec_b32 s31, s2
	s_cbranch_execz .LBB194_144
; %bb.139:                              ;   in Loop: Header=BB194_9 Depth=1
	v_mov_b32_e32 v93, 0x7f800001
	v_and_b32_e32 v3, 0x7f, v1
	v_mov_b32_e32 v94, 0
	s_mov_b32 s33, exec_lo
	v_cmpx_ne_u32_e32 0x7f, v3
	s_cbranch_execz .LBB194_143
; %bb.140:                              ;   in Loop: Header=BB194_9 Depth=1
	v_and_b32_e32 v49, 7, v1
	v_lshrrev_b32_e32 v2, 3, v3
	s_mov_b32 s34, exec_lo
	v_cmpx_gt_u32_e32 8, v3
; %bb.141:                              ;   in Loop: Header=BB194_9 Depth=1
	v_ffbh_u32_e32 v2, v49
	v_min_u32_e32 v2, 32, v2
	v_subrev_nc_u32_e32 v3, 28, v2
	v_sub_nc_u32_e32 v2, 29, v2
	v_lshlrev_b64 v[3:4], v3, v[49:50]
	v_and_b32_e32 v49, 7, v3
; %bb.142:                              ;   in Loop: Header=BB194_9 Depth=1
	s_or_b32 exec_lo, exec_lo, s34
	v_lshlrev_b32_e32 v3, 24, v1
	v_lshlrev_b32_e32 v4, 20, v49
	v_lshl_add_u32 v2, v2, 23, 0x3c000000
	v_and_b32_e32 v3, 0x80000000, v3
	v_or3_b32 v49, v4, v3, v2
	v_mov_b32_e32 v94, v50
	v_mov_b32_e32 v93, v49
.LBB194_143:                            ;   in Loop: Header=BB194_9 Depth=1
	s_or_b32 exec_lo, exec_lo, s33
.LBB194_144:                            ;   in Loop: Header=BB194_9 Depth=1
	s_or_b32 exec_lo, exec_lo, s31
.LBB194_145:                            ;   in Loop: Header=BB194_9 Depth=1
	s_or_b32 exec_lo, exec_lo, s3
	v_cmp_ne_u16_sdwa s2, v1, v50 src0_sel:BYTE_1 src1_sel:DWORD
	s_and_saveexec_b32 s3, s2
	s_cbranch_execz .LBB194_153
; %bb.146:                              ;   in Loop: Header=BB194_9 Depth=1
	v_mov_b32_e32 v21, v50
	v_mov_b32_e32 v96, v22
	v_cmp_ne_u16_sdwa s2, v1, v27 src0_sel:BYTE_1 src1_sel:DWORD
	v_mov_b32_e32 v95, v21
	s_and_saveexec_b32 s31, s2
	s_cbranch_execz .LBB194_152
; %bb.147:                              ;   in Loop: Header=BB194_9 Depth=1
	v_mov_b32_e32 v2, 0xffff
	v_mov_b32_e32 v57, v50
	;; [unrolled: 1-line block ×3, first 2 shown]
	s_mov_b32 s33, exec_lo
	v_and_b32_sdwa v2, v2, v1 dst_sel:DWORD dst_unused:UNUSED_PAD src0_sel:DWORD src1_sel:BYTE_1
	v_mov_b32_e32 v95, v57
	v_and_b32_e32 v3, 0x7f, v2
	v_cmpx_ne_u32_e32 0x7f, v3
	s_cbranch_execz .LBB194_151
; %bb.148:                              ;   in Loop: Header=BB194_9 Depth=1
	v_and_b32_e32 v49, 7, v2
	v_lshrrev_b32_e32 v2, 3, v3
	s_mov_b32 s34, exec_lo
	v_cmpx_gt_u32_e32 8, v3
; %bb.149:                              ;   in Loop: Header=BB194_9 Depth=1
	v_ffbh_u32_e32 v2, v49
	v_min_u32_e32 v2, 32, v2
	v_subrev_nc_u32_e32 v3, 28, v2
	v_sub_nc_u32_e32 v2, 29, v2
	v_lshlrev_b64 v[3:4], v3, v[49:50]
	v_and_b32_e32 v49, 7, v3
; %bb.150:                              ;   in Loop: Header=BB194_9 Depth=1
	s_or_b32 exec_lo, exec_lo, s34
	v_lshlrev_b32_e32 v1, 16, v1
	v_lshlrev_b32_e32 v3, 20, v49
	v_lshl_add_u32 v2, v2, 23, 0x3c000000
	v_mov_b32_e32 v95, v50
	v_and_b32_e32 v1, 0x80000000, v1
	v_or3_b32 v96, v3, v1, v2
.LBB194_151:                            ;   in Loop: Header=BB194_9 Depth=1
	s_or_b32 exec_lo, exec_lo, s33
.LBB194_152:                            ;   in Loop: Header=BB194_9 Depth=1
	s_or_b32 exec_lo, exec_lo, s31
.LBB194_153:                            ;   in Loop: Header=BB194_9 Depth=1
	s_or_b32 exec_lo, exec_lo, s3
	global_load_ushort v2, v[67:68], off offset:516
	v_mov_b32_e32 v99, 0
	v_mov_b32_e32 v97, 0
	;; [unrolled: 1-line block ×4, first 2 shown]
	s_waitcnt vmcnt(0)
	v_and_b32_e32 v1, 0xffff, v2
	v_cmp_ne_u16_sdwa s2, v2, v50 src0_sel:BYTE_0 src1_sel:DWORD
	s_and_saveexec_b32 s3, s2
	s_cbranch_execz .LBB194_161
; %bb.154:                              ;   in Loop: Header=BB194_9 Depth=1
	v_bfrev_b32_e32 v97, 1
	v_mov_b32_e32 v98, 0
	v_cmp_ne_u16_sdwa s2, v1, v27 src0_sel:BYTE_0 src1_sel:DWORD
	s_and_saveexec_b32 s31, s2
	s_cbranch_execz .LBB194_160
; %bb.155:                              ;   in Loop: Header=BB194_9 Depth=1
	v_mov_b32_e32 v97, 0x7f800001
	v_and_b32_e32 v3, 0x7f, v1
	v_mov_b32_e32 v98, 0
	s_mov_b32 s33, exec_lo
	v_cmpx_ne_u32_e32 0x7f, v3
	s_cbranch_execz .LBB194_159
; %bb.156:                              ;   in Loop: Header=BB194_9 Depth=1
	v_and_b32_e32 v49, 7, v1
	v_lshrrev_b32_e32 v2, 3, v3
	s_mov_b32 s34, exec_lo
	v_cmpx_gt_u32_e32 8, v3
; %bb.157:                              ;   in Loop: Header=BB194_9 Depth=1
	v_ffbh_u32_e32 v2, v49
	v_min_u32_e32 v2, 32, v2
	v_subrev_nc_u32_e32 v3, 28, v2
	v_sub_nc_u32_e32 v2, 29, v2
	v_lshlrev_b64 v[3:4], v3, v[49:50]
	v_and_b32_e32 v49, 7, v3
; %bb.158:                              ;   in Loop: Header=BB194_9 Depth=1
	s_or_b32 exec_lo, exec_lo, s34
	v_lshlrev_b32_e32 v3, 24, v1
	v_lshlrev_b32_e32 v4, 20, v49
	v_lshl_add_u32 v2, v2, 23, 0x3c000000
	v_and_b32_e32 v3, 0x80000000, v3
	v_or3_b32 v49, v4, v3, v2
	v_mov_b32_e32 v98, v50
	v_mov_b32_e32 v97, v49
.LBB194_159:                            ;   in Loop: Header=BB194_9 Depth=1
	s_or_b32 exec_lo, exec_lo, s33
.LBB194_160:                            ;   in Loop: Header=BB194_9 Depth=1
	s_or_b32 exec_lo, exec_lo, s31
.LBB194_161:                            ;   in Loop: Header=BB194_9 Depth=1
	s_or_b32 exec_lo, exec_lo, s3
	v_cmp_ne_u16_sdwa s2, v1, v50 src0_sel:BYTE_1 src1_sel:DWORD
	s_and_saveexec_b32 s3, s2
	s_cbranch_execz .LBB194_169
; %bb.162:                              ;   in Loop: Header=BB194_9 Depth=1
	v_mov_b32_e32 v21, v50
	v_mov_b32_e32 v100, v22
	v_cmp_ne_u16_sdwa s2, v1, v27 src0_sel:BYTE_1 src1_sel:DWORD
	v_mov_b32_e32 v99, v21
	s_and_saveexec_b32 s31, s2
	s_cbranch_execz .LBB194_168
; %bb.163:                              ;   in Loop: Header=BB194_9 Depth=1
	v_mov_b32_e32 v2, 0xffff
	v_mov_b32_e32 v57, v50
	;; [unrolled: 1-line block ×3, first 2 shown]
	s_mov_b32 s33, exec_lo
	v_and_b32_sdwa v2, v2, v1 dst_sel:DWORD dst_unused:UNUSED_PAD src0_sel:DWORD src1_sel:BYTE_1
	v_mov_b32_e32 v99, v57
	v_and_b32_e32 v3, 0x7f, v2
	v_cmpx_ne_u32_e32 0x7f, v3
	s_cbranch_execz .LBB194_167
; %bb.164:                              ;   in Loop: Header=BB194_9 Depth=1
	v_and_b32_e32 v49, 7, v2
	v_lshrrev_b32_e32 v2, 3, v3
	s_mov_b32 s34, exec_lo
	v_cmpx_gt_u32_e32 8, v3
; %bb.165:                              ;   in Loop: Header=BB194_9 Depth=1
	v_ffbh_u32_e32 v2, v49
	v_min_u32_e32 v2, 32, v2
	v_subrev_nc_u32_e32 v3, 28, v2
	v_sub_nc_u32_e32 v2, 29, v2
	v_lshlrev_b64 v[3:4], v3, v[49:50]
	v_and_b32_e32 v49, 7, v3
; %bb.166:                              ;   in Loop: Header=BB194_9 Depth=1
	s_or_b32 exec_lo, exec_lo, s34
	v_lshlrev_b32_e32 v1, 16, v1
	v_lshlrev_b32_e32 v3, 20, v49
	v_lshl_add_u32 v2, v2, 23, 0x3c000000
	v_mov_b32_e32 v99, v50
	v_and_b32_e32 v1, 0x80000000, v1
	v_or3_b32 v100, v3, v1, v2
.LBB194_167:                            ;   in Loop: Header=BB194_9 Depth=1
	s_or_b32 exec_lo, exec_lo, s33
.LBB194_168:                            ;   in Loop: Header=BB194_9 Depth=1
	s_or_b32 exec_lo, exec_lo, s31
.LBB194_169:                            ;   in Loop: Header=BB194_9 Depth=1
	s_or_b32 exec_lo, exec_lo, s3
	global_load_ushort v2, v[67:68], off offset:520
	v_mov_b32_e32 v103, 0
	v_mov_b32_e32 v101, 0
	;; [unrolled: 1-line block ×4, first 2 shown]
	s_waitcnt vmcnt(0)
	v_and_b32_e32 v1, 0xffff, v2
	v_cmp_ne_u16_sdwa s2, v2, v50 src0_sel:BYTE_0 src1_sel:DWORD
	s_and_saveexec_b32 s3, s2
	s_cbranch_execz .LBB194_177
; %bb.170:                              ;   in Loop: Header=BB194_9 Depth=1
	v_bfrev_b32_e32 v101, 1
	v_mov_b32_e32 v102, 0
	v_cmp_ne_u16_sdwa s2, v1, v27 src0_sel:BYTE_0 src1_sel:DWORD
	s_and_saveexec_b32 s31, s2
	s_cbranch_execz .LBB194_176
; %bb.171:                              ;   in Loop: Header=BB194_9 Depth=1
	v_mov_b32_e32 v101, 0x7f800001
	v_and_b32_e32 v3, 0x7f, v1
	v_mov_b32_e32 v102, 0
	s_mov_b32 s33, exec_lo
	v_cmpx_ne_u32_e32 0x7f, v3
	s_cbranch_execz .LBB194_175
; %bb.172:                              ;   in Loop: Header=BB194_9 Depth=1
	v_and_b32_e32 v49, 7, v1
	v_lshrrev_b32_e32 v2, 3, v3
	s_mov_b32 s34, exec_lo
	v_cmpx_gt_u32_e32 8, v3
; %bb.173:                              ;   in Loop: Header=BB194_9 Depth=1
	v_ffbh_u32_e32 v2, v49
	v_min_u32_e32 v2, 32, v2
	v_subrev_nc_u32_e32 v3, 28, v2
	v_sub_nc_u32_e32 v2, 29, v2
	v_lshlrev_b64 v[3:4], v3, v[49:50]
	v_and_b32_e32 v49, 7, v3
; %bb.174:                              ;   in Loop: Header=BB194_9 Depth=1
	s_or_b32 exec_lo, exec_lo, s34
	v_lshlrev_b32_e32 v3, 24, v1
	v_lshlrev_b32_e32 v4, 20, v49
	v_lshl_add_u32 v2, v2, 23, 0x3c000000
	v_and_b32_e32 v3, 0x80000000, v3
	v_or3_b32 v49, v4, v3, v2
	v_mov_b32_e32 v102, v50
	v_mov_b32_e32 v101, v49
.LBB194_175:                            ;   in Loop: Header=BB194_9 Depth=1
	s_or_b32 exec_lo, exec_lo, s33
.LBB194_176:                            ;   in Loop: Header=BB194_9 Depth=1
	s_or_b32 exec_lo, exec_lo, s31
.LBB194_177:                            ;   in Loop: Header=BB194_9 Depth=1
	s_or_b32 exec_lo, exec_lo, s3
	v_cmp_ne_u16_sdwa s2, v1, v50 src0_sel:BYTE_1 src1_sel:DWORD
	s_and_saveexec_b32 s3, s2
	s_cbranch_execz .LBB194_185
; %bb.178:                              ;   in Loop: Header=BB194_9 Depth=1
	v_mov_b32_e32 v21, v50
	v_mov_b32_e32 v104, v22
	v_cmp_ne_u16_sdwa s2, v1, v27 src0_sel:BYTE_1 src1_sel:DWORD
	v_mov_b32_e32 v103, v21
	s_and_saveexec_b32 s31, s2
	s_cbranch_execz .LBB194_184
; %bb.179:                              ;   in Loop: Header=BB194_9 Depth=1
	v_mov_b32_e32 v2, 0xffff
	v_mov_b32_e32 v57, v50
	;; [unrolled: 1-line block ×3, first 2 shown]
	s_mov_b32 s33, exec_lo
	v_and_b32_sdwa v2, v2, v1 dst_sel:DWORD dst_unused:UNUSED_PAD src0_sel:DWORD src1_sel:BYTE_1
	v_mov_b32_e32 v103, v57
	v_and_b32_e32 v3, 0x7f, v2
	v_cmpx_ne_u32_e32 0x7f, v3
	s_cbranch_execz .LBB194_183
; %bb.180:                              ;   in Loop: Header=BB194_9 Depth=1
	v_and_b32_e32 v49, 7, v2
	v_lshrrev_b32_e32 v2, 3, v3
	s_mov_b32 s34, exec_lo
	v_cmpx_gt_u32_e32 8, v3
; %bb.181:                              ;   in Loop: Header=BB194_9 Depth=1
	v_ffbh_u32_e32 v2, v49
	v_min_u32_e32 v2, 32, v2
	v_subrev_nc_u32_e32 v3, 28, v2
	v_sub_nc_u32_e32 v2, 29, v2
	v_lshlrev_b64 v[3:4], v3, v[49:50]
	v_and_b32_e32 v49, 7, v3
; %bb.182:                              ;   in Loop: Header=BB194_9 Depth=1
	s_or_b32 exec_lo, exec_lo, s34
	v_lshlrev_b32_e32 v1, 16, v1
	v_lshlrev_b32_e32 v3, 20, v49
	v_lshl_add_u32 v2, v2, 23, 0x3c000000
	v_mov_b32_e32 v103, v50
	v_and_b32_e32 v1, 0x80000000, v1
	v_or3_b32 v104, v3, v1, v2
.LBB194_183:                            ;   in Loop: Header=BB194_9 Depth=1
	s_or_b32 exec_lo, exec_lo, s33
.LBB194_184:                            ;   in Loop: Header=BB194_9 Depth=1
	s_or_b32 exec_lo, exec_lo, s31
.LBB194_185:                            ;   in Loop: Header=BB194_9 Depth=1
	s_or_b32 exec_lo, exec_lo, s3
	global_load_ushort v2, v[67:68], off offset:524
	v_mov_b32_e32 v107, 0
	v_mov_b32_e32 v105, 0
	;; [unrolled: 1-line block ×4, first 2 shown]
	s_waitcnt vmcnt(0)
	v_and_b32_e32 v1, 0xffff, v2
	v_cmp_ne_u16_sdwa s2, v2, v50 src0_sel:BYTE_0 src1_sel:DWORD
	s_and_saveexec_b32 s3, s2
	s_cbranch_execz .LBB194_193
; %bb.186:                              ;   in Loop: Header=BB194_9 Depth=1
	v_bfrev_b32_e32 v105, 1
	v_mov_b32_e32 v106, 0
	v_cmp_ne_u16_sdwa s2, v1, v27 src0_sel:BYTE_0 src1_sel:DWORD
	s_and_saveexec_b32 s31, s2
	s_cbranch_execz .LBB194_192
; %bb.187:                              ;   in Loop: Header=BB194_9 Depth=1
	v_mov_b32_e32 v105, 0x7f800001
	v_and_b32_e32 v3, 0x7f, v1
	v_mov_b32_e32 v106, 0
	s_mov_b32 s33, exec_lo
	v_cmpx_ne_u32_e32 0x7f, v3
	s_cbranch_execz .LBB194_191
; %bb.188:                              ;   in Loop: Header=BB194_9 Depth=1
	v_and_b32_e32 v49, 7, v1
	v_lshrrev_b32_e32 v2, 3, v3
	s_mov_b32 s34, exec_lo
	v_cmpx_gt_u32_e32 8, v3
; %bb.189:                              ;   in Loop: Header=BB194_9 Depth=1
	v_ffbh_u32_e32 v2, v49
	v_min_u32_e32 v2, 32, v2
	v_subrev_nc_u32_e32 v3, 28, v2
	v_sub_nc_u32_e32 v2, 29, v2
	v_lshlrev_b64 v[3:4], v3, v[49:50]
	v_and_b32_e32 v49, 7, v3
; %bb.190:                              ;   in Loop: Header=BB194_9 Depth=1
	s_or_b32 exec_lo, exec_lo, s34
	v_lshlrev_b32_e32 v3, 24, v1
	v_lshlrev_b32_e32 v4, 20, v49
	v_lshl_add_u32 v2, v2, 23, 0x3c000000
	v_and_b32_e32 v3, 0x80000000, v3
	v_or3_b32 v49, v4, v3, v2
	v_mov_b32_e32 v106, v50
	v_mov_b32_e32 v105, v49
.LBB194_191:                            ;   in Loop: Header=BB194_9 Depth=1
	s_or_b32 exec_lo, exec_lo, s33
.LBB194_192:                            ;   in Loop: Header=BB194_9 Depth=1
	s_or_b32 exec_lo, exec_lo, s31
.LBB194_193:                            ;   in Loop: Header=BB194_9 Depth=1
	s_or_b32 exec_lo, exec_lo, s3
	v_cmp_ne_u16_sdwa s2, v1, v50 src0_sel:BYTE_1 src1_sel:DWORD
	s_and_saveexec_b32 s3, s2
	s_cbranch_execz .LBB194_201
; %bb.194:                              ;   in Loop: Header=BB194_9 Depth=1
	v_mov_b32_e32 v21, v50
	v_mov_b32_e32 v108, v22
	v_cmp_ne_u16_sdwa s2, v1, v27 src0_sel:BYTE_1 src1_sel:DWORD
	v_mov_b32_e32 v107, v21
	s_and_saveexec_b32 s31, s2
	s_cbranch_execz .LBB194_200
; %bb.195:                              ;   in Loop: Header=BB194_9 Depth=1
	v_mov_b32_e32 v2, 0xffff
	v_mov_b32_e32 v57, v50
	;; [unrolled: 1-line block ×3, first 2 shown]
	s_mov_b32 s33, exec_lo
	v_and_b32_sdwa v2, v2, v1 dst_sel:DWORD dst_unused:UNUSED_PAD src0_sel:DWORD src1_sel:BYTE_1
	v_mov_b32_e32 v107, v57
	v_and_b32_e32 v3, 0x7f, v2
	v_cmpx_ne_u32_e32 0x7f, v3
	s_cbranch_execz .LBB194_199
; %bb.196:                              ;   in Loop: Header=BB194_9 Depth=1
	v_and_b32_e32 v49, 7, v2
	v_lshrrev_b32_e32 v2, 3, v3
	s_mov_b32 s34, exec_lo
	v_cmpx_gt_u32_e32 8, v3
; %bb.197:                              ;   in Loop: Header=BB194_9 Depth=1
	v_ffbh_u32_e32 v2, v49
	v_min_u32_e32 v2, 32, v2
	v_subrev_nc_u32_e32 v3, 28, v2
	v_sub_nc_u32_e32 v2, 29, v2
	v_lshlrev_b64 v[3:4], v3, v[49:50]
	v_and_b32_e32 v49, 7, v3
; %bb.198:                              ;   in Loop: Header=BB194_9 Depth=1
	s_or_b32 exec_lo, exec_lo, s34
	v_lshlrev_b32_e32 v1, 16, v1
	v_lshlrev_b32_e32 v3, 20, v49
	v_lshl_add_u32 v2, v2, 23, 0x3c000000
	v_mov_b32_e32 v107, v50
	v_and_b32_e32 v1, 0x80000000, v1
	v_or3_b32 v108, v3, v1, v2
.LBB194_199:                            ;   in Loop: Header=BB194_9 Depth=1
	s_or_b32 exec_lo, exec_lo, s33
.LBB194_200:                            ;   in Loop: Header=BB194_9 Depth=1
	s_or_b32 exec_lo, exec_lo, s31
.LBB194_201:                            ;   in Loop: Header=BB194_9 Depth=1
	s_or_b32 exec_lo, exec_lo, s3
	global_load_ushort v2, v[67:68], off offset:768
	v_mov_b32_e32 v111, 0
	v_mov_b32_e32 v109, 0
	;; [unrolled: 1-line block ×4, first 2 shown]
	s_waitcnt vmcnt(0)
	v_and_b32_e32 v1, 0xffff, v2
	v_cmp_ne_u16_sdwa s2, v2, v50 src0_sel:BYTE_0 src1_sel:DWORD
	s_and_saveexec_b32 s3, s2
	s_cbranch_execz .LBB194_209
; %bb.202:                              ;   in Loop: Header=BB194_9 Depth=1
	v_bfrev_b32_e32 v109, 1
	v_mov_b32_e32 v110, 0
	v_cmp_ne_u16_sdwa s2, v1, v27 src0_sel:BYTE_0 src1_sel:DWORD
	s_and_saveexec_b32 s31, s2
	s_cbranch_execz .LBB194_208
; %bb.203:                              ;   in Loop: Header=BB194_9 Depth=1
	v_mov_b32_e32 v109, 0x7f800001
	v_and_b32_e32 v3, 0x7f, v1
	v_mov_b32_e32 v110, 0
	s_mov_b32 s33, exec_lo
	v_cmpx_ne_u32_e32 0x7f, v3
	s_cbranch_execz .LBB194_207
; %bb.204:                              ;   in Loop: Header=BB194_9 Depth=1
	v_and_b32_e32 v49, 7, v1
	v_lshrrev_b32_e32 v2, 3, v3
	s_mov_b32 s34, exec_lo
	v_cmpx_gt_u32_e32 8, v3
; %bb.205:                              ;   in Loop: Header=BB194_9 Depth=1
	v_ffbh_u32_e32 v2, v49
	v_min_u32_e32 v2, 32, v2
	v_subrev_nc_u32_e32 v3, 28, v2
	v_sub_nc_u32_e32 v2, 29, v2
	v_lshlrev_b64 v[3:4], v3, v[49:50]
	v_and_b32_e32 v49, 7, v3
; %bb.206:                              ;   in Loop: Header=BB194_9 Depth=1
	s_or_b32 exec_lo, exec_lo, s34
	v_lshlrev_b32_e32 v3, 24, v1
	v_lshlrev_b32_e32 v4, 20, v49
	v_lshl_add_u32 v2, v2, 23, 0x3c000000
	v_and_b32_e32 v3, 0x80000000, v3
	v_or3_b32 v49, v4, v3, v2
	v_mov_b32_e32 v110, v50
	v_mov_b32_e32 v109, v49
.LBB194_207:                            ;   in Loop: Header=BB194_9 Depth=1
	s_or_b32 exec_lo, exec_lo, s33
.LBB194_208:                            ;   in Loop: Header=BB194_9 Depth=1
	s_or_b32 exec_lo, exec_lo, s31
.LBB194_209:                            ;   in Loop: Header=BB194_9 Depth=1
	s_or_b32 exec_lo, exec_lo, s3
	v_cmp_ne_u16_sdwa s2, v1, v50 src0_sel:BYTE_1 src1_sel:DWORD
	s_and_saveexec_b32 s3, s2
	s_cbranch_execz .LBB194_217
; %bb.210:                              ;   in Loop: Header=BB194_9 Depth=1
	v_mov_b32_e32 v21, v50
	v_mov_b32_e32 v112, v22
	v_cmp_ne_u16_sdwa s2, v1, v27 src0_sel:BYTE_1 src1_sel:DWORD
	v_mov_b32_e32 v111, v21
	s_and_saveexec_b32 s31, s2
	s_cbranch_execz .LBB194_216
; %bb.211:                              ;   in Loop: Header=BB194_9 Depth=1
	v_mov_b32_e32 v2, 0xffff
	v_mov_b32_e32 v57, v50
	;; [unrolled: 1-line block ×3, first 2 shown]
	s_mov_b32 s33, exec_lo
	v_and_b32_sdwa v2, v2, v1 dst_sel:DWORD dst_unused:UNUSED_PAD src0_sel:DWORD src1_sel:BYTE_1
	v_mov_b32_e32 v111, v57
	v_and_b32_e32 v3, 0x7f, v2
	v_cmpx_ne_u32_e32 0x7f, v3
	s_cbranch_execz .LBB194_215
; %bb.212:                              ;   in Loop: Header=BB194_9 Depth=1
	v_and_b32_e32 v49, 7, v2
	v_lshrrev_b32_e32 v2, 3, v3
	s_mov_b32 s34, exec_lo
	v_cmpx_gt_u32_e32 8, v3
; %bb.213:                              ;   in Loop: Header=BB194_9 Depth=1
	v_ffbh_u32_e32 v2, v49
	v_min_u32_e32 v2, 32, v2
	v_subrev_nc_u32_e32 v3, 28, v2
	v_sub_nc_u32_e32 v2, 29, v2
	v_lshlrev_b64 v[3:4], v3, v[49:50]
	v_and_b32_e32 v49, 7, v3
; %bb.214:                              ;   in Loop: Header=BB194_9 Depth=1
	s_or_b32 exec_lo, exec_lo, s34
	v_lshlrev_b32_e32 v1, 16, v1
	v_lshlrev_b32_e32 v3, 20, v49
	v_lshl_add_u32 v2, v2, 23, 0x3c000000
	v_mov_b32_e32 v111, v50
	v_and_b32_e32 v1, 0x80000000, v1
	v_or3_b32 v112, v3, v1, v2
.LBB194_215:                            ;   in Loop: Header=BB194_9 Depth=1
	s_or_b32 exec_lo, exec_lo, s33
.LBB194_216:                            ;   in Loop: Header=BB194_9 Depth=1
	s_or_b32 exec_lo, exec_lo, s31
.LBB194_217:                            ;   in Loop: Header=BB194_9 Depth=1
	s_or_b32 exec_lo, exec_lo, s3
	global_load_ushort v2, v[67:68], off offset:772
	v_mov_b32_e32 v115, 0
	v_mov_b32_e32 v113, 0
	;; [unrolled: 1-line block ×4, first 2 shown]
	s_waitcnt vmcnt(0)
	v_and_b32_e32 v1, 0xffff, v2
	v_cmp_ne_u16_sdwa s2, v2, v50 src0_sel:BYTE_0 src1_sel:DWORD
	s_and_saveexec_b32 s3, s2
	s_cbranch_execz .LBB194_225
; %bb.218:                              ;   in Loop: Header=BB194_9 Depth=1
	v_bfrev_b32_e32 v113, 1
	v_mov_b32_e32 v114, 0
	v_cmp_ne_u16_sdwa s2, v1, v27 src0_sel:BYTE_0 src1_sel:DWORD
	s_and_saveexec_b32 s31, s2
	s_cbranch_execz .LBB194_224
; %bb.219:                              ;   in Loop: Header=BB194_9 Depth=1
	v_mov_b32_e32 v113, 0x7f800001
	v_and_b32_e32 v3, 0x7f, v1
	v_mov_b32_e32 v114, 0
	s_mov_b32 s33, exec_lo
	v_cmpx_ne_u32_e32 0x7f, v3
	s_cbranch_execz .LBB194_223
; %bb.220:                              ;   in Loop: Header=BB194_9 Depth=1
	v_and_b32_e32 v49, 7, v1
	v_lshrrev_b32_e32 v2, 3, v3
	s_mov_b32 s34, exec_lo
	v_cmpx_gt_u32_e32 8, v3
; %bb.221:                              ;   in Loop: Header=BB194_9 Depth=1
	v_ffbh_u32_e32 v2, v49
	v_min_u32_e32 v2, 32, v2
	v_subrev_nc_u32_e32 v3, 28, v2
	v_sub_nc_u32_e32 v2, 29, v2
	v_lshlrev_b64 v[3:4], v3, v[49:50]
	v_and_b32_e32 v49, 7, v3
; %bb.222:                              ;   in Loop: Header=BB194_9 Depth=1
	s_or_b32 exec_lo, exec_lo, s34
	v_lshlrev_b32_e32 v3, 24, v1
	v_lshlrev_b32_e32 v4, 20, v49
	v_lshl_add_u32 v2, v2, 23, 0x3c000000
	v_and_b32_e32 v3, 0x80000000, v3
	v_or3_b32 v49, v4, v3, v2
	v_mov_b32_e32 v114, v50
	v_mov_b32_e32 v113, v49
.LBB194_223:                            ;   in Loop: Header=BB194_9 Depth=1
	s_or_b32 exec_lo, exec_lo, s33
.LBB194_224:                            ;   in Loop: Header=BB194_9 Depth=1
	s_or_b32 exec_lo, exec_lo, s31
.LBB194_225:                            ;   in Loop: Header=BB194_9 Depth=1
	s_or_b32 exec_lo, exec_lo, s3
	v_cmp_ne_u16_sdwa s2, v1, v50 src0_sel:BYTE_1 src1_sel:DWORD
	s_and_saveexec_b32 s3, s2
	s_cbranch_execz .LBB194_233
; %bb.226:                              ;   in Loop: Header=BB194_9 Depth=1
	v_mov_b32_e32 v21, v50
	v_mov_b32_e32 v116, v22
	v_cmp_ne_u16_sdwa s2, v1, v27 src0_sel:BYTE_1 src1_sel:DWORD
	v_mov_b32_e32 v115, v21
	s_and_saveexec_b32 s31, s2
	s_cbranch_execz .LBB194_232
; %bb.227:                              ;   in Loop: Header=BB194_9 Depth=1
	v_mov_b32_e32 v2, 0xffff
	v_mov_b32_e32 v57, v50
	;; [unrolled: 1-line block ×3, first 2 shown]
	s_mov_b32 s33, exec_lo
	v_and_b32_sdwa v2, v2, v1 dst_sel:DWORD dst_unused:UNUSED_PAD src0_sel:DWORD src1_sel:BYTE_1
	v_mov_b32_e32 v115, v57
	v_and_b32_e32 v3, 0x7f, v2
	v_cmpx_ne_u32_e32 0x7f, v3
	s_cbranch_execz .LBB194_231
; %bb.228:                              ;   in Loop: Header=BB194_9 Depth=1
	v_and_b32_e32 v49, 7, v2
	v_lshrrev_b32_e32 v2, 3, v3
	s_mov_b32 s34, exec_lo
	v_cmpx_gt_u32_e32 8, v3
; %bb.229:                              ;   in Loop: Header=BB194_9 Depth=1
	v_ffbh_u32_e32 v2, v49
	v_min_u32_e32 v2, 32, v2
	v_subrev_nc_u32_e32 v3, 28, v2
	v_sub_nc_u32_e32 v2, 29, v2
	v_lshlrev_b64 v[3:4], v3, v[49:50]
	v_and_b32_e32 v49, 7, v3
; %bb.230:                              ;   in Loop: Header=BB194_9 Depth=1
	s_or_b32 exec_lo, exec_lo, s34
	v_lshlrev_b32_e32 v1, 16, v1
	v_lshlrev_b32_e32 v3, 20, v49
	v_lshl_add_u32 v2, v2, 23, 0x3c000000
	v_mov_b32_e32 v115, v50
	v_and_b32_e32 v1, 0x80000000, v1
	v_or3_b32 v116, v3, v1, v2
.LBB194_231:                            ;   in Loop: Header=BB194_9 Depth=1
	s_or_b32 exec_lo, exec_lo, s33
.LBB194_232:                            ;   in Loop: Header=BB194_9 Depth=1
	s_or_b32 exec_lo, exec_lo, s31
.LBB194_233:                            ;   in Loop: Header=BB194_9 Depth=1
	s_or_b32 exec_lo, exec_lo, s3
	global_load_ushort v2, v[67:68], off offset:776
	v_mov_b32_e32 v119, 0
	v_mov_b32_e32 v117, 0
	;; [unrolled: 1-line block ×4, first 2 shown]
	s_waitcnt vmcnt(0)
	v_and_b32_e32 v1, 0xffff, v2
	v_cmp_ne_u16_sdwa s2, v2, v50 src0_sel:BYTE_0 src1_sel:DWORD
	s_and_saveexec_b32 s3, s2
	s_cbranch_execz .LBB194_241
; %bb.234:                              ;   in Loop: Header=BB194_9 Depth=1
	v_bfrev_b32_e32 v117, 1
	v_mov_b32_e32 v118, 0
	v_cmp_ne_u16_sdwa s2, v1, v27 src0_sel:BYTE_0 src1_sel:DWORD
	s_and_saveexec_b32 s31, s2
	s_cbranch_execz .LBB194_240
; %bb.235:                              ;   in Loop: Header=BB194_9 Depth=1
	v_mov_b32_e32 v117, 0x7f800001
	v_and_b32_e32 v3, 0x7f, v1
	v_mov_b32_e32 v118, 0
	s_mov_b32 s33, exec_lo
	v_cmpx_ne_u32_e32 0x7f, v3
	s_cbranch_execz .LBB194_239
; %bb.236:                              ;   in Loop: Header=BB194_9 Depth=1
	v_and_b32_e32 v49, 7, v1
	v_lshrrev_b32_e32 v2, 3, v3
	s_mov_b32 s34, exec_lo
	v_cmpx_gt_u32_e32 8, v3
; %bb.237:                              ;   in Loop: Header=BB194_9 Depth=1
	v_ffbh_u32_e32 v2, v49
	v_min_u32_e32 v2, 32, v2
	v_subrev_nc_u32_e32 v3, 28, v2
	v_sub_nc_u32_e32 v2, 29, v2
	v_lshlrev_b64 v[3:4], v3, v[49:50]
	v_and_b32_e32 v49, 7, v3
; %bb.238:                              ;   in Loop: Header=BB194_9 Depth=1
	s_or_b32 exec_lo, exec_lo, s34
	v_lshlrev_b32_e32 v3, 24, v1
	v_lshlrev_b32_e32 v4, 20, v49
	v_lshl_add_u32 v2, v2, 23, 0x3c000000
	v_and_b32_e32 v3, 0x80000000, v3
	v_or3_b32 v49, v4, v3, v2
	v_mov_b32_e32 v118, v50
	v_mov_b32_e32 v117, v49
.LBB194_239:                            ;   in Loop: Header=BB194_9 Depth=1
	s_or_b32 exec_lo, exec_lo, s33
.LBB194_240:                            ;   in Loop: Header=BB194_9 Depth=1
	s_or_b32 exec_lo, exec_lo, s31
.LBB194_241:                            ;   in Loop: Header=BB194_9 Depth=1
	s_or_b32 exec_lo, exec_lo, s3
	v_cmp_ne_u16_sdwa s2, v1, v50 src0_sel:BYTE_1 src1_sel:DWORD
	s_and_saveexec_b32 s3, s2
	s_cbranch_execz .LBB194_249
; %bb.242:                              ;   in Loop: Header=BB194_9 Depth=1
	v_mov_b32_e32 v21, v50
	v_mov_b32_e32 v120, v22
	v_cmp_ne_u16_sdwa s2, v1, v27 src0_sel:BYTE_1 src1_sel:DWORD
	v_mov_b32_e32 v119, v21
	s_and_saveexec_b32 s31, s2
	s_cbranch_execz .LBB194_248
; %bb.243:                              ;   in Loop: Header=BB194_9 Depth=1
	v_mov_b32_e32 v2, 0xffff
	v_mov_b32_e32 v57, v50
	;; [unrolled: 1-line block ×3, first 2 shown]
	s_mov_b32 s33, exec_lo
	v_and_b32_sdwa v2, v2, v1 dst_sel:DWORD dst_unused:UNUSED_PAD src0_sel:DWORD src1_sel:BYTE_1
	v_mov_b32_e32 v119, v57
	v_and_b32_e32 v3, 0x7f, v2
	v_cmpx_ne_u32_e32 0x7f, v3
	s_cbranch_execz .LBB194_247
; %bb.244:                              ;   in Loop: Header=BB194_9 Depth=1
	v_and_b32_e32 v49, 7, v2
	v_lshrrev_b32_e32 v2, 3, v3
	s_mov_b32 s34, exec_lo
	v_cmpx_gt_u32_e32 8, v3
; %bb.245:                              ;   in Loop: Header=BB194_9 Depth=1
	v_ffbh_u32_e32 v2, v49
	v_min_u32_e32 v2, 32, v2
	v_subrev_nc_u32_e32 v3, 28, v2
	v_sub_nc_u32_e32 v2, 29, v2
	v_lshlrev_b64 v[3:4], v3, v[49:50]
	v_and_b32_e32 v49, 7, v3
; %bb.246:                              ;   in Loop: Header=BB194_9 Depth=1
	s_or_b32 exec_lo, exec_lo, s34
	v_lshlrev_b32_e32 v1, 16, v1
	v_lshlrev_b32_e32 v3, 20, v49
	v_lshl_add_u32 v2, v2, 23, 0x3c000000
	v_mov_b32_e32 v119, v50
	v_and_b32_e32 v1, 0x80000000, v1
	v_or3_b32 v120, v3, v1, v2
.LBB194_247:                            ;   in Loop: Header=BB194_9 Depth=1
	s_or_b32 exec_lo, exec_lo, s33
.LBB194_248:                            ;   in Loop: Header=BB194_9 Depth=1
	s_or_b32 exec_lo, exec_lo, s31
.LBB194_249:                            ;   in Loop: Header=BB194_9 Depth=1
	s_or_b32 exec_lo, exec_lo, s3
	global_load_ushort v2, v[67:68], off offset:780
	v_mov_b32_e32 v123, 0
	v_mov_b32_e32 v121, 0
	;; [unrolled: 1-line block ×4, first 2 shown]
	s_waitcnt vmcnt(0)
	v_and_b32_e32 v1, 0xffff, v2
	v_cmp_ne_u16_sdwa s2, v2, v50 src0_sel:BYTE_0 src1_sel:DWORD
	s_and_saveexec_b32 s3, s2
	s_cbranch_execz .LBB194_257
; %bb.250:                              ;   in Loop: Header=BB194_9 Depth=1
	v_bfrev_b32_e32 v121, 1
	v_mov_b32_e32 v122, 0
	v_cmp_ne_u16_sdwa s2, v1, v27 src0_sel:BYTE_0 src1_sel:DWORD
	s_and_saveexec_b32 s31, s2
	s_cbranch_execz .LBB194_256
; %bb.251:                              ;   in Loop: Header=BB194_9 Depth=1
	v_mov_b32_e32 v121, 0x7f800001
	v_and_b32_e32 v3, 0x7f, v1
	v_mov_b32_e32 v122, 0
	s_mov_b32 s33, exec_lo
	v_cmpx_ne_u32_e32 0x7f, v3
	s_cbranch_execz .LBB194_255
; %bb.252:                              ;   in Loop: Header=BB194_9 Depth=1
	v_and_b32_e32 v49, 7, v1
	v_lshrrev_b32_e32 v2, 3, v3
	s_mov_b32 s34, exec_lo
	v_cmpx_gt_u32_e32 8, v3
; %bb.253:                              ;   in Loop: Header=BB194_9 Depth=1
	v_ffbh_u32_e32 v2, v49
	v_min_u32_e32 v2, 32, v2
	v_subrev_nc_u32_e32 v3, 28, v2
	v_sub_nc_u32_e32 v2, 29, v2
	v_lshlrev_b64 v[3:4], v3, v[49:50]
	v_and_b32_e32 v49, 7, v3
; %bb.254:                              ;   in Loop: Header=BB194_9 Depth=1
	s_or_b32 exec_lo, exec_lo, s34
	v_lshlrev_b32_e32 v3, 24, v1
	v_lshlrev_b32_e32 v4, 20, v49
	v_lshl_add_u32 v2, v2, 23, 0x3c000000
	v_and_b32_e32 v3, 0x80000000, v3
	v_or3_b32 v49, v4, v3, v2
	v_mov_b32_e32 v122, v50
	v_mov_b32_e32 v121, v49
.LBB194_255:                            ;   in Loop: Header=BB194_9 Depth=1
	s_or_b32 exec_lo, exec_lo, s33
.LBB194_256:                            ;   in Loop: Header=BB194_9 Depth=1
	s_or_b32 exec_lo, exec_lo, s31
.LBB194_257:                            ;   in Loop: Header=BB194_9 Depth=1
	s_or_b32 exec_lo, exec_lo, s3
	v_cmp_ne_u16_sdwa s2, v1, v50 src0_sel:BYTE_1 src1_sel:DWORD
	s_and_saveexec_b32 s3, s2
	s_cbranch_execz .LBB194_265
; %bb.258:                              ;   in Loop: Header=BB194_9 Depth=1
	v_mov_b32_e32 v21, v50
	v_mov_b32_e32 v124, v22
	v_cmp_ne_u16_sdwa s2, v1, v27 src0_sel:BYTE_1 src1_sel:DWORD
	v_mov_b32_e32 v123, v21
	s_and_saveexec_b32 s31, s2
	s_cbranch_execz .LBB194_264
; %bb.259:                              ;   in Loop: Header=BB194_9 Depth=1
	v_mov_b32_e32 v2, 0xffff
	v_mov_b32_e32 v57, v50
	;; [unrolled: 1-line block ×3, first 2 shown]
	s_mov_b32 s33, exec_lo
	v_and_b32_sdwa v2, v2, v1 dst_sel:DWORD dst_unused:UNUSED_PAD src0_sel:DWORD src1_sel:BYTE_1
	v_mov_b32_e32 v123, v57
	v_and_b32_e32 v3, 0x7f, v2
	v_cmpx_ne_u32_e32 0x7f, v3
	s_cbranch_execz .LBB194_263
; %bb.260:                              ;   in Loop: Header=BB194_9 Depth=1
	v_and_b32_e32 v49, 7, v2
	v_lshrrev_b32_e32 v2, 3, v3
	s_mov_b32 s34, exec_lo
	v_cmpx_gt_u32_e32 8, v3
; %bb.261:                              ;   in Loop: Header=BB194_9 Depth=1
	v_ffbh_u32_e32 v2, v49
	v_min_u32_e32 v2, 32, v2
	v_subrev_nc_u32_e32 v3, 28, v2
	v_sub_nc_u32_e32 v2, 29, v2
	v_lshlrev_b64 v[3:4], v3, v[49:50]
	v_and_b32_e32 v49, 7, v3
; %bb.262:                              ;   in Loop: Header=BB194_9 Depth=1
	s_or_b32 exec_lo, exec_lo, s34
	v_lshlrev_b32_e32 v1, 16, v1
	v_lshlrev_b32_e32 v3, 20, v49
	v_lshl_add_u32 v2, v2, 23, 0x3c000000
	v_mov_b32_e32 v123, v50
	v_and_b32_e32 v1, 0x80000000, v1
	v_or3_b32 v124, v3, v1, v2
.LBB194_263:                            ;   in Loop: Header=BB194_9 Depth=1
	s_or_b32 exec_lo, exec_lo, s33
.LBB194_264:                            ;   in Loop: Header=BB194_9 Depth=1
	s_or_b32 exec_lo, exec_lo, s31
.LBB194_265:                            ;   in Loop: Header=BB194_9 Depth=1
	s_or_b32 exec_lo, exec_lo, s3
	global_load_ushort v2, v[67:68], off offset:1024
	v_mov_b32_e32 v51, 0
	v_mov_b32_e32 v125, 0
	;; [unrolled: 1-line block ×4, first 2 shown]
	s_waitcnt vmcnt(0)
	v_and_b32_e32 v1, 0xffff, v2
	v_cmp_ne_u16_sdwa s2, v2, v50 src0_sel:BYTE_0 src1_sel:DWORD
	s_and_saveexec_b32 s3, s2
	s_cbranch_execz .LBB194_273
; %bb.266:                              ;   in Loop: Header=BB194_9 Depth=1
	v_bfrev_b32_e32 v125, 1
	v_mov_b32_e32 v126, 0
	v_cmp_ne_u16_sdwa s2, v1, v27 src0_sel:BYTE_0 src1_sel:DWORD
	s_and_saveexec_b32 s31, s2
	s_cbranch_execz .LBB194_272
; %bb.267:                              ;   in Loop: Header=BB194_9 Depth=1
	v_mov_b32_e32 v125, 0x7f800001
	v_and_b32_e32 v3, 0x7f, v1
	v_mov_b32_e32 v126, 0
	s_mov_b32 s33, exec_lo
	v_cmpx_ne_u32_e32 0x7f, v3
	s_cbranch_execz .LBB194_271
; %bb.268:                              ;   in Loop: Header=BB194_9 Depth=1
	v_and_b32_e32 v49, 7, v1
	v_lshrrev_b32_e32 v2, 3, v3
	s_mov_b32 s34, exec_lo
	v_cmpx_gt_u32_e32 8, v3
; %bb.269:                              ;   in Loop: Header=BB194_9 Depth=1
	v_ffbh_u32_e32 v2, v49
	v_min_u32_e32 v2, 32, v2
	v_subrev_nc_u32_e32 v3, 28, v2
	v_sub_nc_u32_e32 v2, 29, v2
	v_lshlrev_b64 v[3:4], v3, v[49:50]
	v_and_b32_e32 v49, 7, v3
; %bb.270:                              ;   in Loop: Header=BB194_9 Depth=1
	s_or_b32 exec_lo, exec_lo, s34
	v_lshlrev_b32_e32 v3, 24, v1
	v_lshlrev_b32_e32 v4, 20, v49
	v_lshl_add_u32 v2, v2, 23, 0x3c000000
	v_and_b32_e32 v3, 0x80000000, v3
	v_or3_b32 v49, v4, v3, v2
	v_mov_b32_e32 v126, v50
	v_mov_b32_e32 v125, v49
.LBB194_271:                            ;   in Loop: Header=BB194_9 Depth=1
	s_or_b32 exec_lo, exec_lo, s33
.LBB194_272:                            ;   in Loop: Header=BB194_9 Depth=1
	s_or_b32 exec_lo, exec_lo, s31
.LBB194_273:                            ;   in Loop: Header=BB194_9 Depth=1
	s_or_b32 exec_lo, exec_lo, s3
	v_cmp_ne_u16_sdwa s2, v1, v50 src0_sel:BYTE_1 src1_sel:DWORD
	s_and_saveexec_b32 s3, s2
	s_cbranch_execz .LBB194_281
; %bb.274:                              ;   in Loop: Header=BB194_9 Depth=1
	v_mov_b32_e32 v21, v50
	v_mov_b32_e32 v52, v22
	v_cmp_ne_u16_sdwa s2, v1, v27 src0_sel:BYTE_1 src1_sel:DWORD
	v_mov_b32_e32 v51, v21
	s_and_saveexec_b32 s31, s2
	s_cbranch_execz .LBB194_280
; %bb.275:                              ;   in Loop: Header=BB194_9 Depth=1
	v_mov_b32_e32 v2, 0xffff
	v_mov_b32_e32 v57, v50
	s_mov_b32 s33, exec_lo
	v_and_b32_sdwa v2, v2, v1 dst_sel:DWORD dst_unused:UNUSED_PAD src0_sel:DWORD src1_sel:BYTE_1
	v_mov_b32_e32 v51, v57
	v_mov_b32_e32 v52, v58
	v_and_b32_e32 v3, 0x7f, v2
	v_cmpx_ne_u32_e32 0x7f, v3
	s_cbranch_execz .LBB194_279
; %bb.276:                              ;   in Loop: Header=BB194_9 Depth=1
	v_and_b32_e32 v49, 7, v2
	v_lshrrev_b32_e32 v2, 3, v3
	s_mov_b32 s34, exec_lo
	v_cmpx_gt_u32_e32 8, v3
; %bb.277:                              ;   in Loop: Header=BB194_9 Depth=1
	v_ffbh_u32_e32 v2, v49
	v_min_u32_e32 v2, 32, v2
	v_subrev_nc_u32_e32 v3, 28, v2
	v_sub_nc_u32_e32 v2, 29, v2
	v_lshlrev_b64 v[3:4], v3, v[49:50]
	v_and_b32_e32 v49, 7, v3
; %bb.278:                              ;   in Loop: Header=BB194_9 Depth=1
	s_or_b32 exec_lo, exec_lo, s34
	v_lshlrev_b32_e32 v1, 16, v1
	v_lshlrev_b32_e32 v3, 20, v49
	v_lshl_add_u32 v2, v2, 23, 0x3c000000
	v_mov_b32_e32 v51, v50
	v_and_b32_e32 v1, 0x80000000, v1
	v_or3_b32 v52, v3, v1, v2
.LBB194_279:                            ;   in Loop: Header=BB194_9 Depth=1
	s_or_b32 exec_lo, exec_lo, s33
.LBB194_280:                            ;   in Loop: Header=BB194_9 Depth=1
	s_or_b32 exec_lo, exec_lo, s31
.LBB194_281:                            ;   in Loop: Header=BB194_9 Depth=1
	s_or_b32 exec_lo, exec_lo, s3
	global_load_ushort v1, v[67:68], off offset:1028
	v_mov_b32_e32 v3, 0
	v_mov_b32_e32 v4, 0
	s_waitcnt vmcnt(0)
	v_and_b32_e32 v5, 0xffff, v1
	v_cmp_ne_u16_sdwa s2, v1, v50 src0_sel:BYTE_0 src1_sel:DWORD
	v_mov_b32_e32 v1, 0
	v_mov_b32_e32 v2, 0
	s_and_saveexec_b32 s3, s2
	s_cbranch_execz .LBB194_289
; %bb.282:                              ;   in Loop: Header=BB194_9 Depth=1
	v_bfrev_b32_e32 v1, 1
	v_mov_b32_e32 v2, 0
	v_cmp_ne_u16_sdwa s2, v5, v27 src0_sel:BYTE_0 src1_sel:DWORD
	s_and_saveexec_b32 s31, s2
	s_cbranch_execz .LBB194_288
; %bb.283:                              ;   in Loop: Header=BB194_9 Depth=1
	v_mov_b32_e32 v1, 0x7f800001
	v_and_b32_e32 v6, 0x7f, v5
	v_mov_b32_e32 v2, 0
	s_mov_b32 s33, exec_lo
	v_cmpx_ne_u32_e32 0x7f, v6
	s_cbranch_execz .LBB194_287
; %bb.284:                              ;   in Loop: Header=BB194_9 Depth=1
	v_and_b32_e32 v49, 7, v5
	v_lshrrev_b32_e32 v1, 3, v6
	s_mov_b32 s34, exec_lo
	v_cmpx_gt_u32_e32 8, v6
; %bb.285:                              ;   in Loop: Header=BB194_9 Depth=1
	v_ffbh_u32_e32 v1, v49
	v_min_u32_e32 v1, 32, v1
	v_subrev_nc_u32_e32 v2, 28, v1
	v_sub_nc_u32_e32 v1, 29, v1
	v_lshlrev_b64 v[6:7], v2, v[49:50]
	v_and_b32_e32 v49, 7, v6
; %bb.286:                              ;   in Loop: Header=BB194_9 Depth=1
	s_or_b32 exec_lo, exec_lo, s34
	v_lshlrev_b32_e32 v2, 24, v5
	v_lshlrev_b32_e32 v6, 20, v49
	v_lshl_add_u32 v1, v1, 23, 0x3c000000
	v_and_b32_e32 v2, 0x80000000, v2
	v_or3_b32 v49, v6, v2, v1
	v_mov_b32_e32 v1, v49
	v_mov_b32_e32 v2, v50
.LBB194_287:                            ;   in Loop: Header=BB194_9 Depth=1
	s_or_b32 exec_lo, exec_lo, s33
.LBB194_288:                            ;   in Loop: Header=BB194_9 Depth=1
	s_or_b32 exec_lo, exec_lo, s31
.LBB194_289:                            ;   in Loop: Header=BB194_9 Depth=1
	s_or_b32 exec_lo, exec_lo, s3
	v_cmp_ne_u16_sdwa s2, v5, v50 src0_sel:BYTE_1 src1_sel:DWORD
	s_and_saveexec_b32 s3, s2
	s_cbranch_execz .LBB194_297
; %bb.290:                              ;   in Loop: Header=BB194_9 Depth=1
	v_mov_b32_e32 v21, v50
	v_cmp_ne_u16_sdwa s2, v5, v27 src0_sel:BYTE_1 src1_sel:DWORD
	v_mov_b32_e32 v3, v21
	v_mov_b32_e32 v4, v22
	s_and_saveexec_b32 s31, s2
	s_cbranch_execz .LBB194_296
; %bb.291:                              ;   in Loop: Header=BB194_9 Depth=1
	v_mov_b32_e32 v3, 0xffff
	v_mov_b32_e32 v57, v50
	s_mov_b32 s33, exec_lo
	v_and_b32_sdwa v7, v3, v5 dst_sel:DWORD dst_unused:UNUSED_PAD src0_sel:DWORD src1_sel:BYTE_1
	v_mov_b32_e32 v3, v57
	v_mov_b32_e32 v4, v58
	v_and_b32_e32 v6, 0x7f, v7
	v_cmpx_ne_u32_e32 0x7f, v6
	s_cbranch_execz .LBB194_295
; %bb.292:                              ;   in Loop: Header=BB194_9 Depth=1
	v_and_b32_e32 v49, 7, v7
	v_lshrrev_b32_e32 v3, 3, v6
	s_mov_b32 s34, exec_lo
	v_cmpx_gt_u32_e32 8, v6
; %bb.293:                              ;   in Loop: Header=BB194_9 Depth=1
	v_ffbh_u32_e32 v3, v49
	v_min_u32_e32 v3, 32, v3
	v_subrev_nc_u32_e32 v4, 28, v3
	v_sub_nc_u32_e32 v3, 29, v3
	v_lshlrev_b64 v[6:7], v4, v[49:50]
	v_and_b32_e32 v49, 7, v6
; %bb.294:                              ;   in Loop: Header=BB194_9 Depth=1
	s_or_b32 exec_lo, exec_lo, s34
	v_lshlrev_b32_e32 v4, 16, v5
	v_lshlrev_b32_e32 v5, 20, v49
	v_lshl_add_u32 v3, v3, 23, 0x3c000000
	v_and_b32_e32 v4, 0x80000000, v4
	v_or3_b32 v4, v5, v4, v3
	v_mov_b32_e32 v3, v50
.LBB194_295:                            ;   in Loop: Header=BB194_9 Depth=1
	s_or_b32 exec_lo, exec_lo, s33
.LBB194_296:                            ;   in Loop: Header=BB194_9 Depth=1
	s_or_b32 exec_lo, exec_lo, s31
.LBB194_297:                            ;   in Loop: Header=BB194_9 Depth=1
	s_or_b32 exec_lo, exec_lo, s3
	global_load_ushort v5, v[67:68], off offset:1032
	v_mov_b32_e32 v7, 0
	v_mov_b32_e32 v8, 0
	s_waitcnt vmcnt(0)
	v_and_b32_e32 v9, 0xffff, v5
	v_cmp_ne_u16_sdwa s2, v5, v50 src0_sel:BYTE_0 src1_sel:DWORD
	v_mov_b32_e32 v5, 0
	v_mov_b32_e32 v6, 0
	s_and_saveexec_b32 s3, s2
	s_cbranch_execz .LBB194_305
; %bb.298:                              ;   in Loop: Header=BB194_9 Depth=1
	v_bfrev_b32_e32 v5, 1
	v_mov_b32_e32 v6, 0
	v_cmp_ne_u16_sdwa s2, v9, v27 src0_sel:BYTE_0 src1_sel:DWORD
	s_and_saveexec_b32 s31, s2
	s_cbranch_execz .LBB194_304
; %bb.299:                              ;   in Loop: Header=BB194_9 Depth=1
	v_mov_b32_e32 v5, 0x7f800001
	v_and_b32_e32 v10, 0x7f, v9
	v_mov_b32_e32 v6, 0
	s_mov_b32 s33, exec_lo
	v_cmpx_ne_u32_e32 0x7f, v10
	s_cbranch_execz .LBB194_303
; %bb.300:                              ;   in Loop: Header=BB194_9 Depth=1
	v_and_b32_e32 v49, 7, v9
	v_lshrrev_b32_e32 v5, 3, v10
	s_mov_b32 s34, exec_lo
	v_cmpx_gt_u32_e32 8, v10
; %bb.301:                              ;   in Loop: Header=BB194_9 Depth=1
	v_ffbh_u32_e32 v5, v49
	v_min_u32_e32 v5, 32, v5
	v_subrev_nc_u32_e32 v6, 28, v5
	v_sub_nc_u32_e32 v5, 29, v5
	v_lshlrev_b64 v[10:11], v6, v[49:50]
	v_and_b32_e32 v49, 7, v10
; %bb.302:                              ;   in Loop: Header=BB194_9 Depth=1
	s_or_b32 exec_lo, exec_lo, s34
	v_lshlrev_b32_e32 v6, 24, v9
	v_lshlrev_b32_e32 v10, 20, v49
	v_lshl_add_u32 v5, v5, 23, 0x3c000000
	v_and_b32_e32 v6, 0x80000000, v6
	v_or3_b32 v49, v10, v6, v5
	v_mov_b32_e32 v5, v49
	v_mov_b32_e32 v6, v50
.LBB194_303:                            ;   in Loop: Header=BB194_9 Depth=1
	s_or_b32 exec_lo, exec_lo, s33
.LBB194_304:                            ;   in Loop: Header=BB194_9 Depth=1
	s_or_b32 exec_lo, exec_lo, s31
.LBB194_305:                            ;   in Loop: Header=BB194_9 Depth=1
	s_or_b32 exec_lo, exec_lo, s3
	v_cmp_ne_u16_sdwa s2, v9, v50 src0_sel:BYTE_1 src1_sel:DWORD
	s_and_saveexec_b32 s3, s2
	s_cbranch_execz .LBB194_313
; %bb.306:                              ;   in Loop: Header=BB194_9 Depth=1
	v_mov_b32_e32 v21, v50
	v_cmp_ne_u16_sdwa s2, v9, v27 src0_sel:BYTE_1 src1_sel:DWORD
	v_mov_b32_e32 v7, v21
	v_mov_b32_e32 v8, v22
	s_and_saveexec_b32 s31, s2
	s_cbranch_execz .LBB194_312
; %bb.307:                              ;   in Loop: Header=BB194_9 Depth=1
	v_mov_b32_e32 v7, 0xffff
	v_mov_b32_e32 v57, v50
	s_mov_b32 s33, exec_lo
	v_and_b32_sdwa v11, v7, v9 dst_sel:DWORD dst_unused:UNUSED_PAD src0_sel:DWORD src1_sel:BYTE_1
	v_mov_b32_e32 v7, v57
	v_mov_b32_e32 v8, v58
	v_and_b32_e32 v10, 0x7f, v11
	v_cmpx_ne_u32_e32 0x7f, v10
	s_cbranch_execz .LBB194_311
; %bb.308:                              ;   in Loop: Header=BB194_9 Depth=1
	v_and_b32_e32 v49, 7, v11
	v_lshrrev_b32_e32 v7, 3, v10
	s_mov_b32 s34, exec_lo
	v_cmpx_gt_u32_e32 8, v10
; %bb.309:                              ;   in Loop: Header=BB194_9 Depth=1
	v_ffbh_u32_e32 v7, v49
	v_min_u32_e32 v7, 32, v7
	v_subrev_nc_u32_e32 v8, 28, v7
	v_sub_nc_u32_e32 v7, 29, v7
	v_lshlrev_b64 v[10:11], v8, v[49:50]
	v_and_b32_e32 v49, 7, v10
; %bb.310:                              ;   in Loop: Header=BB194_9 Depth=1
	s_or_b32 exec_lo, exec_lo, s34
	v_lshlrev_b32_e32 v8, 16, v9
	v_lshlrev_b32_e32 v9, 20, v49
	v_lshl_add_u32 v7, v7, 23, 0x3c000000
	v_and_b32_e32 v8, 0x80000000, v8
	v_or3_b32 v8, v9, v8, v7
	v_mov_b32_e32 v7, v50
.LBB194_311:                            ;   in Loop: Header=BB194_9 Depth=1
	s_or_b32 exec_lo, exec_lo, s33
.LBB194_312:                            ;   in Loop: Header=BB194_9 Depth=1
	s_or_b32 exec_lo, exec_lo, s31
.LBB194_313:                            ;   in Loop: Header=BB194_9 Depth=1
	s_or_b32 exec_lo, exec_lo, s3
	global_load_ushort v9, v[67:68], off offset:1036
	v_mov_b32_e32 v11, 0
	v_mov_b32_e32 v12, 0
	s_waitcnt vmcnt(0)
	v_and_b32_e32 v13, 0xffff, v9
	v_cmp_ne_u16_sdwa s2, v9, v50 src0_sel:BYTE_0 src1_sel:DWORD
	v_mov_b32_e32 v9, 0
	v_mov_b32_e32 v10, 0
	s_and_saveexec_b32 s3, s2
	s_cbranch_execz .LBB194_321
; %bb.314:                              ;   in Loop: Header=BB194_9 Depth=1
	v_bfrev_b32_e32 v9, 1
	v_mov_b32_e32 v10, 0
	v_cmp_ne_u16_sdwa s2, v13, v27 src0_sel:BYTE_0 src1_sel:DWORD
	s_and_saveexec_b32 s31, s2
	s_cbranch_execz .LBB194_320
; %bb.315:                              ;   in Loop: Header=BB194_9 Depth=1
	v_mov_b32_e32 v9, 0x7f800001
	v_and_b32_e32 v14, 0x7f, v13
	v_mov_b32_e32 v10, 0
	s_mov_b32 s33, exec_lo
	v_cmpx_ne_u32_e32 0x7f, v14
	s_cbranch_execz .LBB194_319
; %bb.316:                              ;   in Loop: Header=BB194_9 Depth=1
	v_and_b32_e32 v49, 7, v13
	v_lshrrev_b32_e32 v9, 3, v14
	s_mov_b32 s34, exec_lo
	v_cmpx_gt_u32_e32 8, v14
; %bb.317:                              ;   in Loop: Header=BB194_9 Depth=1
	v_ffbh_u32_e32 v9, v49
	v_min_u32_e32 v9, 32, v9
	v_subrev_nc_u32_e32 v10, 28, v9
	v_sub_nc_u32_e32 v9, 29, v9
	v_lshlrev_b64 v[14:15], v10, v[49:50]
	v_and_b32_e32 v49, 7, v14
; %bb.318:                              ;   in Loop: Header=BB194_9 Depth=1
	s_or_b32 exec_lo, exec_lo, s34
	v_lshlrev_b32_e32 v10, 24, v13
	v_lshlrev_b32_e32 v14, 20, v49
	v_lshl_add_u32 v9, v9, 23, 0x3c000000
	v_and_b32_e32 v10, 0x80000000, v10
	v_or3_b32 v49, v14, v10, v9
	v_mov_b32_e32 v9, v49
	v_mov_b32_e32 v10, v50
.LBB194_319:                            ;   in Loop: Header=BB194_9 Depth=1
	s_or_b32 exec_lo, exec_lo, s33
.LBB194_320:                            ;   in Loop: Header=BB194_9 Depth=1
	s_or_b32 exec_lo, exec_lo, s31
.LBB194_321:                            ;   in Loop: Header=BB194_9 Depth=1
	s_or_b32 exec_lo, exec_lo, s3
	v_cmp_ne_u16_sdwa s2, v13, v50 src0_sel:BYTE_1 src1_sel:DWORD
	s_and_saveexec_b32 s3, s2
	s_cbranch_execz .LBB194_329
; %bb.322:                              ;   in Loop: Header=BB194_9 Depth=1
	v_mov_b32_e32 v21, v50
	v_cmp_ne_u16_sdwa s2, v13, v27 src0_sel:BYTE_1 src1_sel:DWORD
	v_mov_b32_e32 v11, v21
	v_mov_b32_e32 v12, v22
	s_and_saveexec_b32 s31, s2
	s_cbranch_execz .LBB194_328
; %bb.323:                              ;   in Loop: Header=BB194_9 Depth=1
	v_mov_b32_e32 v11, 0xffff
	v_mov_b32_e32 v57, v50
	s_mov_b32 s33, exec_lo
	v_and_b32_sdwa v15, v11, v13 dst_sel:DWORD dst_unused:UNUSED_PAD src0_sel:DWORD src1_sel:BYTE_1
	v_mov_b32_e32 v11, v57
	v_mov_b32_e32 v12, v58
	v_and_b32_e32 v14, 0x7f, v15
	v_cmpx_ne_u32_e32 0x7f, v14
	s_cbranch_execz .LBB194_327
; %bb.324:                              ;   in Loop: Header=BB194_9 Depth=1
	v_and_b32_e32 v49, 7, v15
	v_lshrrev_b32_e32 v11, 3, v14
	s_mov_b32 s34, exec_lo
	v_cmpx_gt_u32_e32 8, v14
; %bb.325:                              ;   in Loop: Header=BB194_9 Depth=1
	v_ffbh_u32_e32 v11, v49
	v_min_u32_e32 v11, 32, v11
	v_subrev_nc_u32_e32 v12, 28, v11
	v_sub_nc_u32_e32 v11, 29, v11
	v_lshlrev_b64 v[14:15], v12, v[49:50]
	v_and_b32_e32 v49, 7, v14
; %bb.326:                              ;   in Loop: Header=BB194_9 Depth=1
	s_or_b32 exec_lo, exec_lo, s34
	v_lshlrev_b32_e32 v12, 16, v13
	v_lshlrev_b32_e32 v13, 20, v49
	v_lshl_add_u32 v11, v11, 23, 0x3c000000
	v_and_b32_e32 v12, 0x80000000, v12
	v_or3_b32 v12, v13, v12, v11
	v_mov_b32_e32 v11, v50
.LBB194_327:                            ;   in Loop: Header=BB194_9 Depth=1
	s_or_b32 exec_lo, exec_lo, s33
.LBB194_328:                            ;   in Loop: Header=BB194_9 Depth=1
	s_or_b32 exec_lo, exec_lo, s31
.LBB194_329:                            ;   in Loop: Header=BB194_9 Depth=1
	s_or_b32 exec_lo, exec_lo, s3
	global_load_ushort v13, v[67:68], off offset:1280
	v_mov_b32_e32 v15, 0
	v_mov_b32_e32 v16, 0
	s_waitcnt vmcnt(0)
	v_and_b32_e32 v17, 0xffff, v13
	v_cmp_ne_u16_sdwa s2, v13, v50 src0_sel:BYTE_0 src1_sel:DWORD
	v_mov_b32_e32 v13, 0
	v_mov_b32_e32 v14, 0
	s_and_saveexec_b32 s3, s2
	s_cbranch_execz .LBB194_337
; %bb.330:                              ;   in Loop: Header=BB194_9 Depth=1
	v_bfrev_b32_e32 v13, 1
	v_mov_b32_e32 v14, 0
	v_cmp_ne_u16_sdwa s2, v17, v27 src0_sel:BYTE_0 src1_sel:DWORD
	s_and_saveexec_b32 s31, s2
	s_cbranch_execz .LBB194_336
; %bb.331:                              ;   in Loop: Header=BB194_9 Depth=1
	v_mov_b32_e32 v13, 0x7f800001
	v_and_b32_e32 v18, 0x7f, v17
	v_mov_b32_e32 v14, 0
	s_mov_b32 s33, exec_lo
	v_cmpx_ne_u32_e32 0x7f, v18
	s_cbranch_execz .LBB194_335
; %bb.332:                              ;   in Loop: Header=BB194_9 Depth=1
	v_and_b32_e32 v49, 7, v17
	v_lshrrev_b32_e32 v13, 3, v18
	s_mov_b32 s34, exec_lo
	v_cmpx_gt_u32_e32 8, v18
; %bb.333:                              ;   in Loop: Header=BB194_9 Depth=1
	v_ffbh_u32_e32 v13, v49
	v_min_u32_e32 v13, 32, v13
	v_subrev_nc_u32_e32 v14, 28, v13
	v_sub_nc_u32_e32 v13, 29, v13
	v_lshlrev_b64 v[18:19], v14, v[49:50]
	v_and_b32_e32 v49, 7, v18
; %bb.334:                              ;   in Loop: Header=BB194_9 Depth=1
	s_or_b32 exec_lo, exec_lo, s34
	v_lshlrev_b32_e32 v14, 24, v17
	v_lshlrev_b32_e32 v18, 20, v49
	v_lshl_add_u32 v13, v13, 23, 0x3c000000
	v_and_b32_e32 v14, 0x80000000, v14
	v_or3_b32 v49, v18, v14, v13
	v_mov_b32_e32 v13, v49
	v_mov_b32_e32 v14, v50
.LBB194_335:                            ;   in Loop: Header=BB194_9 Depth=1
	s_or_b32 exec_lo, exec_lo, s33
.LBB194_336:                            ;   in Loop: Header=BB194_9 Depth=1
	s_or_b32 exec_lo, exec_lo, s31
.LBB194_337:                            ;   in Loop: Header=BB194_9 Depth=1
	s_or_b32 exec_lo, exec_lo, s3
	v_cmp_ne_u16_sdwa s2, v17, v50 src0_sel:BYTE_1 src1_sel:DWORD
	s_and_saveexec_b32 s3, s2
	s_cbranch_execz .LBB194_345
; %bb.338:                              ;   in Loop: Header=BB194_9 Depth=1
	v_mov_b32_e32 v21, v50
	v_cmp_ne_u16_sdwa s2, v17, v27 src0_sel:BYTE_1 src1_sel:DWORD
	v_mov_b32_e32 v15, v21
	v_mov_b32_e32 v16, v22
	s_and_saveexec_b32 s31, s2
	s_cbranch_execz .LBB194_344
; %bb.339:                              ;   in Loop: Header=BB194_9 Depth=1
	v_mov_b32_e32 v15, 0xffff
	v_mov_b32_e32 v57, v50
	s_mov_b32 s33, exec_lo
	v_and_b32_sdwa v19, v15, v17 dst_sel:DWORD dst_unused:UNUSED_PAD src0_sel:DWORD src1_sel:BYTE_1
	v_mov_b32_e32 v15, v57
	v_mov_b32_e32 v16, v58
	v_and_b32_e32 v18, 0x7f, v19
	v_cmpx_ne_u32_e32 0x7f, v18
	s_cbranch_execz .LBB194_343
; %bb.340:                              ;   in Loop: Header=BB194_9 Depth=1
	v_and_b32_e32 v49, 7, v19
	v_lshrrev_b32_e32 v15, 3, v18
	s_mov_b32 s34, exec_lo
	v_cmpx_gt_u32_e32 8, v18
; %bb.341:                              ;   in Loop: Header=BB194_9 Depth=1
	v_ffbh_u32_e32 v15, v49
	v_min_u32_e32 v15, 32, v15
	v_subrev_nc_u32_e32 v16, 28, v15
	v_sub_nc_u32_e32 v15, 29, v15
	v_lshlrev_b64 v[18:19], v16, v[49:50]
	v_and_b32_e32 v49, 7, v18
; %bb.342:                              ;   in Loop: Header=BB194_9 Depth=1
	s_or_b32 exec_lo, exec_lo, s34
	v_lshlrev_b32_e32 v16, 16, v17
	v_lshlrev_b32_e32 v17, 20, v49
	v_lshl_add_u32 v15, v15, 23, 0x3c000000
	v_and_b32_e32 v16, 0x80000000, v16
	v_or3_b32 v16, v17, v16, v15
	v_mov_b32_e32 v15, v50
.LBB194_343:                            ;   in Loop: Header=BB194_9 Depth=1
	s_or_b32 exec_lo, exec_lo, s33
.LBB194_344:                            ;   in Loop: Header=BB194_9 Depth=1
	s_or_b32 exec_lo, exec_lo, s31
.LBB194_345:                            ;   in Loop: Header=BB194_9 Depth=1
	s_or_b32 exec_lo, exec_lo, s3
	global_load_ushort v17, v[67:68], off offset:1284
	v_mov_b32_e32 v19, 0
	v_mov_b32_e32 v20, 0
	s_waitcnt vmcnt(0)
	v_and_b32_e32 v23, 0xffff, v17
	v_cmp_ne_u16_sdwa s2, v17, v50 src0_sel:BYTE_0 src1_sel:DWORD
	v_mov_b32_e32 v17, 0
	v_mov_b32_e32 v18, 0
	s_and_saveexec_b32 s3, s2
	s_cbranch_execz .LBB194_353
; %bb.346:                              ;   in Loop: Header=BB194_9 Depth=1
	v_bfrev_b32_e32 v17, 1
	v_mov_b32_e32 v18, 0
	v_cmp_ne_u16_sdwa s2, v23, v27 src0_sel:BYTE_0 src1_sel:DWORD
	s_and_saveexec_b32 s31, s2
	s_cbranch_execz .LBB194_352
; %bb.347:                              ;   in Loop: Header=BB194_9 Depth=1
	v_mov_b32_e32 v17, 0x7f800001
	v_and_b32_e32 v21, 0x7f, v23
	v_mov_b32_e32 v18, 0
	s_mov_b32 s33, exec_lo
	v_cmpx_ne_u32_e32 0x7f, v21
	s_cbranch_execz .LBB194_351
; %bb.348:                              ;   in Loop: Header=BB194_9 Depth=1
	v_and_b32_e32 v49, 7, v23
	v_lshrrev_b32_e32 v17, 3, v21
	s_mov_b32 s34, exec_lo
	v_cmpx_gt_u32_e32 8, v21
; %bb.349:                              ;   in Loop: Header=BB194_9 Depth=1
	v_ffbh_u32_e32 v17, v49
	v_min_u32_e32 v17, 32, v17
	v_subrev_nc_u32_e32 v18, 28, v17
	v_sub_nc_u32_e32 v17, 29, v17
	v_lshlrev_b64 v[29:30], v18, v[49:50]
	v_and_b32_e32 v49, 7, v29
; %bb.350:                              ;   in Loop: Header=BB194_9 Depth=1
	s_or_b32 exec_lo, exec_lo, s34
	v_lshlrev_b32_e32 v18, 24, v23
	v_lshlrev_b32_e32 v21, 20, v49
	v_lshl_add_u32 v17, v17, 23, 0x3c000000
	v_and_b32_e32 v18, 0x80000000, v18
	v_or3_b32 v49, v21, v18, v17
	v_mov_b32_e32 v17, v49
	v_mov_b32_e32 v18, v50
.LBB194_351:                            ;   in Loop: Header=BB194_9 Depth=1
	s_or_b32 exec_lo, exec_lo, s33
.LBB194_352:                            ;   in Loop: Header=BB194_9 Depth=1
	s_or_b32 exec_lo, exec_lo, s31
.LBB194_353:                            ;   in Loop: Header=BB194_9 Depth=1
	s_or_b32 exec_lo, exec_lo, s3
	v_cmp_ne_u16_sdwa s2, v23, v50 src0_sel:BYTE_1 src1_sel:DWORD
	s_and_saveexec_b32 s3, s2
	s_cbranch_execz .LBB194_361
; %bb.354:                              ;   in Loop: Header=BB194_9 Depth=1
	v_mov_b32_e32 v21, v50
	v_cmp_ne_u16_sdwa s2, v23, v27 src0_sel:BYTE_1 src1_sel:DWORD
	v_mov_b32_e32 v19, v21
	v_mov_b32_e32 v20, v22
	s_and_saveexec_b32 s31, s2
	s_cbranch_execz .LBB194_360
; %bb.355:                              ;   in Loop: Header=BB194_9 Depth=1
	v_mov_b32_e32 v19, 0xffff
	v_mov_b32_e32 v57, v50
	s_mov_b32 s33, exec_lo
	v_and_b32_sdwa v24, v19, v23 dst_sel:DWORD dst_unused:UNUSED_PAD src0_sel:DWORD src1_sel:BYTE_1
	v_mov_b32_e32 v19, v57
	v_mov_b32_e32 v20, v58
	v_and_b32_e32 v21, 0x7f, v24
	v_cmpx_ne_u32_e32 0x7f, v21
	s_cbranch_execz .LBB194_359
; %bb.356:                              ;   in Loop: Header=BB194_9 Depth=1
	v_and_b32_e32 v49, 7, v24
	v_lshrrev_b32_e32 v19, 3, v21
	s_mov_b32 s34, exec_lo
	v_cmpx_gt_u32_e32 8, v21
; %bb.357:                              ;   in Loop: Header=BB194_9 Depth=1
	v_ffbh_u32_e32 v19, v49
	v_min_u32_e32 v19, 32, v19
	v_subrev_nc_u32_e32 v20, 28, v19
	v_sub_nc_u32_e32 v19, 29, v19
	v_lshlrev_b64 v[20:21], v20, v[49:50]
	v_and_b32_e32 v49, 7, v20
; %bb.358:                              ;   in Loop: Header=BB194_9 Depth=1
	s_or_b32 exec_lo, exec_lo, s34
	v_lshlrev_b32_e32 v20, 16, v23
	v_lshlrev_b32_e32 v21, 20, v49
	v_lshl_add_u32 v19, v19, 23, 0x3c000000
	v_and_b32_e32 v20, 0x80000000, v20
	v_or3_b32 v20, v21, v20, v19
	v_mov_b32_e32 v19, v50
.LBB194_359:                            ;   in Loop: Header=BB194_9 Depth=1
	s_or_b32 exec_lo, exec_lo, s33
.LBB194_360:                            ;   in Loop: Header=BB194_9 Depth=1
	s_or_b32 exec_lo, exec_lo, s31
.LBB194_361:                            ;   in Loop: Header=BB194_9 Depth=1
	s_or_b32 exec_lo, exec_lo, s3
	global_load_ushort v21, v[67:68], off offset:1288
	v_mov_b32_e32 v61, 0
	v_mov_b32_e32 v23, 0
	;; [unrolled: 1-line block ×4, first 2 shown]
	s_waitcnt vmcnt(0)
	v_and_b32_e32 v55, 0xffff, v21
	v_cmp_ne_u16_sdwa s2, v21, v50 src0_sel:BYTE_0 src1_sel:DWORD
	s_and_saveexec_b32 s3, s2
	s_cbranch_execz .LBB194_369
; %bb.362:                              ;   in Loop: Header=BB194_9 Depth=1
	v_bfrev_b32_e32 v23, 1
	v_mov_b32_e32 v24, 0
	v_cmp_ne_u16_sdwa s2, v55, v27 src0_sel:BYTE_0 src1_sel:DWORD
	s_and_saveexec_b32 s31, s2
	s_cbranch_execz .LBB194_368
; %bb.363:                              ;   in Loop: Header=BB194_9 Depth=1
	v_mov_b32_e32 v23, 0x7f800001
	v_and_b32_e32 v29, 0x7f, v55
	v_mov_b32_e32 v24, 0
	s_mov_b32 s33, exec_lo
	v_cmpx_ne_u32_e32 0x7f, v29
	s_cbranch_execz .LBB194_367
; %bb.364:                              ;   in Loop: Header=BB194_9 Depth=1
	v_and_b32_e32 v49, 7, v55
	v_lshrrev_b32_e32 v21, 3, v29
	s_mov_b32 s34, exec_lo
	v_cmpx_gt_u32_e32 8, v29
; %bb.365:                              ;   in Loop: Header=BB194_9 Depth=1
	v_ffbh_u32_e32 v21, v49
	v_min_u32_e32 v21, 32, v21
	v_subrev_nc_u32_e32 v23, 28, v21
	v_sub_nc_u32_e32 v21, 29, v21
	v_lshlrev_b64 v[23:24], v23, v[49:50]
	v_and_b32_e32 v49, 7, v23
; %bb.366:                              ;   in Loop: Header=BB194_9 Depth=1
	s_or_b32 exec_lo, exec_lo, s34
	v_lshlrev_b32_e32 v23, 24, v55
	v_lshlrev_b32_e32 v24, 20, v49
	v_lshl_add_u32 v21, v21, 23, 0x3c000000
	v_and_b32_e32 v23, 0x80000000, v23
	v_or3_b32 v49, v24, v23, v21
	v_mov_b32_e32 v23, v49
	v_mov_b32_e32 v24, v50
.LBB194_367:                            ;   in Loop: Header=BB194_9 Depth=1
	s_or_b32 exec_lo, exec_lo, s33
.LBB194_368:                            ;   in Loop: Header=BB194_9 Depth=1
	s_or_b32 exec_lo, exec_lo, s31
.LBB194_369:                            ;   in Loop: Header=BB194_9 Depth=1
	s_or_b32 exec_lo, exec_lo, s3
	v_cmp_ne_u16_sdwa s2, v55, v50 src0_sel:BYTE_1 src1_sel:DWORD
	s_and_saveexec_b32 s3, s2
	s_cbranch_execz .LBB194_377
; %bb.370:                              ;   in Loop: Header=BB194_9 Depth=1
	v_mov_b32_e32 v21, v50
	v_mov_b32_e32 v62, v22
	v_cmp_ne_u16_sdwa s2, v55, v27 src0_sel:BYTE_1 src1_sel:DWORD
	v_mov_b32_e32 v61, v21
	s_and_saveexec_b32 s31, s2
	s_cbranch_execz .LBB194_376
; %bb.371:                              ;   in Loop: Header=BB194_9 Depth=1
	v_mov_b32_e32 v21, 0xffff
	v_mov_b32_e32 v57, v50
	;; [unrolled: 1-line block ×3, first 2 shown]
	s_mov_b32 s33, exec_lo
	v_and_b32_sdwa v21, v21, v55 dst_sel:DWORD dst_unused:UNUSED_PAD src0_sel:DWORD src1_sel:BYTE_1
	v_mov_b32_e32 v61, v57
	v_and_b32_e32 v29, 0x7f, v21
	v_cmpx_ne_u32_e32 0x7f, v29
	s_cbranch_execz .LBB194_375
; %bb.372:                              ;   in Loop: Header=BB194_9 Depth=1
	v_and_b32_e32 v49, 7, v21
	v_lshrrev_b32_e32 v21, 3, v29
	s_mov_b32 s34, exec_lo
	v_cmpx_gt_u32_e32 8, v29
; %bb.373:                              ;   in Loop: Header=BB194_9 Depth=1
	v_ffbh_u32_e32 v21, v49
	v_min_u32_e32 v21, 32, v21
	v_subrev_nc_u32_e32 v29, 28, v21
	v_sub_nc_u32_e32 v21, 29, v21
	v_lshlrev_b64 v[29:30], v29, v[49:50]
	v_and_b32_e32 v49, 7, v29
; %bb.374:                              ;   in Loop: Header=BB194_9 Depth=1
	s_or_b32 exec_lo, exec_lo, s34
	v_lshlrev_b32_e32 v29, 16, v55
	v_lshlrev_b32_e32 v30, 20, v49
	v_lshl_add_u32 v21, v21, 23, 0x3c000000
	v_mov_b32_e32 v61, v50
	v_and_b32_e32 v29, 0x80000000, v29
	v_or3_b32 v62, v30, v29, v21
.LBB194_375:                            ;   in Loop: Header=BB194_9 Depth=1
	s_or_b32 exec_lo, exec_lo, s33
.LBB194_376:                            ;   in Loop: Header=BB194_9 Depth=1
	s_or_b32 exec_lo, exec_lo, s31
.LBB194_377:                            ;   in Loop: Header=BB194_9 Depth=1
	s_or_b32 exec_lo, exec_lo, s3
	global_load_ushort v21, v[67:68], off offset:1292
	v_mov_b32_e32 v55, 0
	v_mov_b32_e32 v67, 0
	;; [unrolled: 1-line block ×4, first 2 shown]
	s_waitcnt vmcnt(0)
	v_and_b32_e32 v29, 0xffff, v21
	v_cmp_ne_u16_sdwa s2, v21, v50 src0_sel:BYTE_0 src1_sel:DWORD
	s_and_saveexec_b32 s3, s2
	s_cbranch_execz .LBB194_385
; %bb.378:                              ;   in Loop: Header=BB194_9 Depth=1
	v_bfrev_b32_e32 v67, 1
	v_mov_b32_e32 v68, 0
	v_cmp_ne_u16_sdwa s2, v29, v27 src0_sel:BYTE_0 src1_sel:DWORD
	s_and_saveexec_b32 s31, s2
	s_cbranch_execz .LBB194_384
; %bb.379:                              ;   in Loop: Header=BB194_9 Depth=1
	v_mov_b32_e32 v67, 0x7f800001
	v_and_b32_e32 v30, 0x7f, v29
	v_mov_b32_e32 v68, 0
	s_mov_b32 s33, exec_lo
	v_cmpx_ne_u32_e32 0x7f, v30
	s_cbranch_execz .LBB194_383
; %bb.380:                              ;   in Loop: Header=BB194_9 Depth=1
	v_and_b32_e32 v49, 7, v29
	v_lshrrev_b32_e32 v21, 3, v30
	s_mov_b32 s34, exec_lo
	v_cmpx_gt_u32_e32 8, v30
; %bb.381:                              ;   in Loop: Header=BB194_9 Depth=1
	v_ffbh_u32_e32 v21, v49
	v_min_u32_e32 v21, 32, v21
	v_subrev_nc_u32_e32 v30, 28, v21
	v_sub_nc_u32_e32 v21, 29, v21
	v_lshlrev_b64 v[30:31], v30, v[49:50]
	v_and_b32_e32 v49, 7, v30
; %bb.382:                              ;   in Loop: Header=BB194_9 Depth=1
	s_or_b32 exec_lo, exec_lo, s34
	v_lshlrev_b32_e32 v30, 24, v29
	v_lshlrev_b32_e32 v31, 20, v49
	v_lshl_add_u32 v21, v21, 23, 0x3c000000
	v_and_b32_e32 v30, 0x80000000, v30
	v_or3_b32 v49, v31, v30, v21
	v_mov_b32_e32 v68, v50
	v_mov_b32_e32 v67, v49
.LBB194_383:                            ;   in Loop: Header=BB194_9 Depth=1
	s_or_b32 exec_lo, exec_lo, s33
.LBB194_384:                            ;   in Loop: Header=BB194_9 Depth=1
	s_or_b32 exec_lo, exec_lo, s31
.LBB194_385:                            ;   in Loop: Header=BB194_9 Depth=1
	s_or_b32 exec_lo, exec_lo, s3
	v_cmp_ne_u16_sdwa s2, v29, v50 src0_sel:BYTE_1 src1_sel:DWORD
	s_and_saveexec_b32 s3, s2
	s_cbranch_execz .LBB194_393
; %bb.386:                              ;   in Loop: Header=BB194_9 Depth=1
	v_mov_b32_e32 v21, v50
	v_mov_b32_e32 v56, v22
	v_cmp_ne_u16_sdwa s2, v29, v27 src0_sel:BYTE_1 src1_sel:DWORD
	v_mov_b32_e32 v55, v21
	s_and_saveexec_b32 s31, s2
	s_cbranch_execz .LBB194_392
; %bb.387:                              ;   in Loop: Header=BB194_9 Depth=1
	v_mov_b32_e32 v21, 0xffff
	v_mov_b32_e32 v57, v50
	s_mov_b32 s33, exec_lo
	v_and_b32_sdwa v21, v21, v29 dst_sel:DWORD dst_unused:UNUSED_PAD src0_sel:DWORD src1_sel:BYTE_1
	v_mov_b32_e32 v55, v57
	v_mov_b32_e32 v56, v58
	v_and_b32_e32 v30, 0x7f, v21
	v_cmpx_ne_u32_e32 0x7f, v30
	s_cbranch_execz .LBB194_391
; %bb.388:                              ;   in Loop: Header=BB194_9 Depth=1
	v_and_b32_e32 v49, 7, v21
	v_lshrrev_b32_e32 v21, 3, v30
	s_mov_b32 s34, exec_lo
	v_cmpx_gt_u32_e32 8, v30
; %bb.389:                              ;   in Loop: Header=BB194_9 Depth=1
	v_ffbh_u32_e32 v21, v49
	v_min_u32_e32 v21, 32, v21
	v_subrev_nc_u32_e32 v30, 28, v21
	v_sub_nc_u32_e32 v21, 29, v21
	v_lshlrev_b64 v[30:31], v30, v[49:50]
	v_and_b32_e32 v49, 7, v30
; %bb.390:                              ;   in Loop: Header=BB194_9 Depth=1
	s_or_b32 exec_lo, exec_lo, s34
	v_lshlrev_b32_e32 v29, 16, v29
	v_lshlrev_b32_e32 v30, 20, v49
	v_lshl_add_u32 v21, v21, 23, 0x3c000000
	v_mov_b32_e32 v55, v50
	v_and_b32_e32 v29, 0x80000000, v29
	v_or3_b32 v56, v30, v29, v21
.LBB194_391:                            ;   in Loop: Header=BB194_9 Depth=1
	s_or_b32 exec_lo, exec_lo, s33
.LBB194_392:                            ;   in Loop: Header=BB194_9 Depth=1
	s_or_b32 exec_lo, exec_lo, s31
.LBB194_393:                            ;   in Loop: Header=BB194_9 Depth=1
	s_or_b32 exec_lo, exec_lo, s3
	v_or_b32_e32 v2, v4, v2
	v_or_b32_e32 v1, v3, v1
	;; [unrolled: 1-line block ×10, first 2 shown]
	s_clause 0x3
	buffer_load_dword v15, off, s[36:39], 0 offset:4
	buffer_load_dword v16, off, s[36:39], 0 offset:8
	;; [unrolled: 1-line block ×4, first 2 shown]
	v_or_b32_e32 v65, v65, v63
	v_or_b32_e32 v25, v25, v59
	;; [unrolled: 1-line block ×5, first 2 shown]
	v_mul_f32_e32 v13, s4, v65
	v_mul_f32_e32 v14, s4, v25
	v_or_b32_e32 v70, v72, v70
	v_or_b32_e32 v73, v75, v73
	;; [unrolled: 1-line block ×30, first 2 shown]
	v_mul_f32_e32 v1, s4, v1
	v_or_b32_e32 v52, v52, v126
	v_or_b32_e32 v12, v55, v67
	;; [unrolled: 1-line block ×3, first 2 shown]
	s_waitcnt vmcnt(1)
	v_mul_f32_e32 v13, v17, v13
	v_fmac_f32_e32 v13, v15, v14
	v_mul_f32_e32 v14, s30, v63
	v_mul_f32_e32 v15, s30, v26
	s_waitcnt vmcnt(0)
	v_mul_f32_e32 v14, v18, v14
	v_fmac_f32_e32 v14, v16, v15
	s_clause 0x3
	buffer_load_dword v16, off, s[36:39], 0 offset:20
	buffer_load_dword v17, off, s[36:39], 0 offset:24
	buffer_load_dword v18, off, s[36:39], 0 offset:28
	buffer_load_dword v19, off, s[36:39], 0 offset:32
	v_mul_f32_e32 v15, s4, v69
	s_waitcnt vmcnt(3)
	v_fmac_f32_e32 v13, v16, v15
	v_mul_f32_e32 v15, s30, v70
	s_waitcnt vmcnt(2)
	v_fmac_f32_e32 v14, v17, v15
	v_mul_f32_e32 v15, s4, v73
	s_waitcnt vmcnt(1)
	v_fmac_f32_e32 v13, v18, v15
	v_mul_f32_e32 v15, s30, v74
	s_waitcnt vmcnt(0)
	v_fmac_f32_e32 v14, v19, v15
	s_clause 0x3
	buffer_load_dword v16, off, s[36:39], 0 offset:36
	buffer_load_dword v17, off, s[36:39], 0 offset:40
	buffer_load_dword v18, off, s[36:39], 0 offset:44
	buffer_load_dword v19, off, s[36:39], 0 offset:48
	v_mul_f32_e32 v15, s4, v77
	s_waitcnt vmcnt(3)
	v_fmac_f32_e32 v13, v16, v15
	v_mul_f32_e32 v15, s30, v78
	s_waitcnt vmcnt(2)
	v_fmac_f32_e32 v14, v17, v15
	v_mul_f32_e32 v15, s4, v81
	s_waitcnt vmcnt(1)
	v_fmac_f32_e32 v13, v18, v15
	v_mul_f32_e32 v15, s30, v82
	s_waitcnt vmcnt(0)
	;; [unrolled: 17-line block ×7, first 2 shown]
	v_fmac_f32_e32 v14, v19, v15
	v_mul_f32_e32 v15, s4, v51
	s_waitcnt lgkmcnt(3)
	v_fmac_f32_e32 v13, v33, v15
	v_mul_f32_e32 v15, s30, v52
	v_fmac_f32_e32 v13, v35, v1
	v_mul_f32_e32 v1, s30, v2
	buffer_load_dword v2, off, s[36:39], 0 offset:132 ; 4-byte Folded Reload
	v_fmac_f32_e32 v14, v34, v15
	v_fmac_f32_e32 v14, v36, v1
	v_mul_f32_e32 v1, s4, v4
	s_waitcnt lgkmcnt(2)
	v_fmac_f32_e32 v13, v37, v1
	v_mul_f32_e32 v1, s30, v3
	v_fmac_f32_e32 v14, v38, v1
	v_mul_f32_e32 v1, s4, v6
	v_fmac_f32_e32 v13, v39, v1
	v_mul_f32_e32 v1, s30, v5
	v_fmac_f32_e32 v14, v40, v1
	v_mul_f32_e32 v1, s4, v8
	s_waitcnt lgkmcnt(1)
	v_fmac_f32_e32 v13, v41, v1
	v_mul_f32_e32 v1, s30, v7
	v_fmac_f32_e32 v14, v42, v1
	v_mul_f32_e32 v1, s4, v10
	v_fmac_f32_e32 v13, v43, v1
	v_mul_f32_e32 v1, s30, v9
	;; [unrolled: 9-line block ×3, first 2 shown]
	v_fmac_f32_e32 v14, v48, v1
	v_add_f32_e32 v1, v13, v14
	s_waitcnt vmcnt(0)
	ds_bpermute_b32 v2, v2, v1
	s_and_saveexec_b32 s3, vcc_lo
	s_cbranch_execz .LBB194_8
; %bb.394:                              ;   in Loop: Header=BB194_9 Depth=1
	buffer_load_dword v4, off, s[36:39], 0  ; 4-byte Folded Reload
	v_add_nc_u32_e32 v3, s5, v127
	s_waitcnt lgkmcnt(0)
	v_add_f32_e32 v1, v1, v2
	v_cmp_gt_i32_e64 s2, s11, v127
	v_cvt_f32_i32_e32 v3, v3
	v_mul_f32_e32 v3, s28, v3
	v_cndmask_b32_e64 v2, 0, v3, s1
	v_fmac_f32_e32 v2, s29, v1
	s_waitcnt vmcnt(0)
	v_max_f32_e32 v3, v4, v4
	v_max_f32_e32 v1, v3, v2
	v_cndmask_b32_e64 v2, 0, v2, s2
	v_cndmask_b32_e64 v4, v4, v1, s2
	ds_write_b32 v0, v2
	buffer_store_dword v4, off, s[36:39], 0 ; 4-byte Folded Spill
	s_branch .LBB194_8
.LBB194_395:
	s_or_b32 exec_lo, exec_lo, s16
	s_clause 0x5
	buffer_load_dword v95, off, s[36:39], 0 offset:144
	buffer_load_dword v96, off, s[36:39], 0 offset:148
	;; [unrolled: 1-line block ×5, first 2 shown]
	buffer_load_dword v3, off, s[36:39], 0
	v_mov_b32_e32 v8, 32
.LBB194_396:
	s_or_b32 exec_lo, exec_lo, s15
	s_waitcnt vmcnt(1)
	v_xor_b32_e32 v0, 16, v13
	s_waitcnt lgkmcnt(0)
	v_xor_b32_e32 v2, 8, v13
	v_xor_b32_e32 v4, 4, v13
	v_and_b32_e32 v25, 31, v95
	v_cmp_lt_i32_e32 vcc_lo, v0, v8
	v_cndmask_b32_e32 v0, v13, v0, vcc_lo
	v_cmp_lt_i32_e32 vcc_lo, v2, v8
	v_lshlrev_b32_e32 v0, 2, v0
	v_cndmask_b32_e32 v2, v13, v2, vcc_lo
	v_cmp_lt_i32_e32 vcc_lo, v4, v8
	s_waitcnt vmcnt(0)
	ds_bpermute_b32 v1, v0, v3
	v_max_f32_e32 v3, v3, v3
	v_lshlrev_b32_e32 v2, 2, v2
	v_cndmask_b32_e32 v4, v13, v4, vcc_lo
	s_waitcnt lgkmcnt(0)
	v_max_f32_e32 v1, v1, v1
	v_max_f32_e32 v1, v3, v1
	ds_bpermute_b32 v3, v2, v1
	s_waitcnt lgkmcnt(0)
	v_max_f32_e32 v5, v3, v3
	v_lshlrev_b32_e32 v3, 2, v4
	v_max_f32_e32 v1, v1, v5
	v_xor_b32_e32 v5, 2, v13
	ds_bpermute_b32 v4, v3, v1
	v_cmp_lt_i32_e32 vcc_lo, v5, v8
	v_cndmask_b32_e32 v5, v13, v5, vcc_lo
	v_cmp_eq_u32_e32 vcc_lo, 0, v25
	v_lshlrev_b32_e32 v26, 2, v5
	s_waitcnt lgkmcnt(0)
	v_max_f32_e32 v4, v4, v4
	v_max_f32_e32 v1, v1, v4
	v_lshlrev_b32_e32 v4, 2, v96
	ds_bpermute_b32 v5, v26, v1
	s_and_saveexec_b32 s1, vcc_lo
	s_cbranch_execz .LBB194_398
; %bb.397:
	s_waitcnt lgkmcnt(0)
	v_max_f32_e32 v5, v5, v5
	v_max_f32_e32 v1, v1, v1
	;; [unrolled: 1-line block ×3, first 2 shown]
	ds_write_b32 v4, v1 offset:384
.LBB194_398:
	s_or_b32 exec_lo, exec_lo, s1
	v_cmp_gt_u32_e64 s1, 4, v25
	v_mov_b32_e32 v1, 0xff7fffff
	s_waitcnt lgkmcnt(0)
	v_lshlrev_b32_e32 v5, 2, v25
	s_waitcnt_vscnt null, 0x0
	s_barrier
	buffer_gl0_inv
	s_and_saveexec_b32 s2, s1
; %bb.399:
	ds_read_b32 v1, v5 offset:384
; %bb.400:
	s_or_b32 exec_lo, exec_lo, s2
	s_waitcnt lgkmcnt(0)
	ds_bpermute_b32 v6, v26, v1
	v_xor_b32_e32 v7, 1, v13
	v_max_f32_e32 v1, v1, v1
	v_cmp_lt_i32_e64 s2, v7, v8
	v_cndmask_b32_e64 v7, v13, v7, s2
	s_lshl_b32 s2, s12, 4
	s_min_i32 s4, s2, s11
	v_lshlrev_b32_e32 v29, 2, v7
	v_cmp_gt_i32_e64 s2, s4, v95
	s_waitcnt lgkmcnt(0)
	v_max_f32_e32 v6, v6, v6
	v_max_f32_e32 v1, v1, v6
	ds_bpermute_b32 v6, v29, v1
	s_waitcnt lgkmcnt(0)
	v_max_f32_e32 v6, v6, v6
	v_max_f32_e32 v1, v1, v6
	v_lshlrev_b32_e32 v6, 2, v50
	ds_bpermute_b32 v7, v6, v1
	v_mov_b32_e32 v6, 0
	v_lshl_add_u32 v1, v95, 2, 0x1a0
	s_and_saveexec_b32 s5, s2
	s_cbranch_execz .LBB194_404
; %bb.401:
	v_lshl_add_u32 v8, v95, 2, 0x1a0
	v_mov_b32_e32 v6, 0
	v_mov_b32_e32 v9, v95
	s_mov_b32 s15, 0
	.p2align	6
.LBB194_402:                            ; =>This Inner Loop Header: Depth=1
	ds_read_b32 v10, v8
	v_add_nc_u32_e32 v9, 0x80, v9
	v_cmp_le_i32_e64 s3, s4, v9
	s_or_b32 s15, s3, s15
	s_waitcnt lgkmcnt(0)
	v_sub_f32_e32 v10, v10, v7
	v_mul_f32_e32 v10, 0x3fb8aa3b, v10
	v_exp_f32_e32 v10, v10
	ds_write_b32 v8, v10
	v_add_f32_e32 v6, v6, v10
	v_add_nc_u32_e32 v8, 0x200, v8
	s_andn2_b32 exec_lo, exec_lo, s15
	s_cbranch_execnz .LBB194_402
; %bb.403:
	s_or_b32 exec_lo, exec_lo, s15
.LBB194_404:
	s_or_b32 exec_lo, exec_lo, s5
	ds_bpermute_b32 v0, v0, v6
	s_waitcnt lgkmcnt(0)
	v_add_f32_e32 v0, v6, v0
	ds_bpermute_b32 v2, v2, v0
	s_waitcnt lgkmcnt(0)
	v_add_f32_e32 v0, v0, v2
	;; [unrolled: 3-line block ×5, first 2 shown]
	s_and_saveexec_b32 s3, vcc_lo
; %bb.405:
	ds_write_b32 v4, v0 offset:400
; %bb.406:
	s_or_b32 exec_lo, exec_lo, s3
	s_waitcnt lgkmcnt(0)
	s_barrier
	buffer_gl0_inv
	s_and_saveexec_b32 s3, s1
; %bb.407:
	ds_read_b32 v0, v5 offset:400
; %bb.408:
	s_or_b32 exec_lo, exec_lo, s3
	s_waitcnt lgkmcnt(0)
	ds_bpermute_b32 v2, v26, v0
	v_lshlrev_b32_e32 v3, 2, v13
	s_waitcnt lgkmcnt(0)
	v_add_f32_e32 v0, v0, v2
	ds_bpermute_b32 v2, v29, v0
	s_waitcnt lgkmcnt(0)
	v_add_f32_e32 v0, v0, v2
	v_and_b32_e32 v2, 0xffffff80, v3
	ds_bpermute_b32 v0, v2, v0
	s_and_saveexec_b32 s1, s2
	s_cbranch_execz .LBB194_411
; %bb.409:
	s_waitcnt lgkmcnt(0)
	v_add_f32_e32 v0, 0x358637bd, v0
	s_mov_b32 s2, 0
	v_div_scale_f32 v2, null, v0, v0, 1.0
	v_div_scale_f32 v5, vcc_lo, 1.0, v0, 1.0
	v_rcp_f32_e32 v3, v2
	v_fma_f32 v4, -v2, v3, 1.0
	v_fmac_f32_e32 v3, v4, v3
	v_mul_f32_e32 v4, v5, v3
	v_fma_f32 v6, -v2, v4, v5
	v_fmac_f32_e32 v4, v6, v3
	v_fma_f32 v2, -v2, v4, v5
	v_div_fmas_f32 v2, v2, v3, v4
	v_div_fixup_f32 v0, v2, v0, 1.0
	v_mov_b32_e32 v2, v95
.LBB194_410:                            ; =>This Inner Loop Header: Depth=1
	ds_read_b32 v3, v1
	v_add_nc_u32_e32 v2, 0x80, v2
	v_cmp_le_i32_e32 vcc_lo, s4, v2
	s_or_b32 s2, vcc_lo, s2
	s_waitcnt lgkmcnt(0)
	v_mul_f32_e32 v3, v0, v3
	ds_write_b32 v1, v3
	v_add_nc_u32_e32 v1, 0x200, v1
	s_andn2_b32 exec_lo, exec_lo, s2
	s_cbranch_execnz .LBB194_410
.LBB194_411:
	s_or_b32 exec_lo, exec_lo, s1
	v_mov_b32_e32 v37, 0
	v_and_b32_e32 v28, 3, v95
	v_mov_b32_e32 v39, 0
	v_mov_b32_e32 v38, 0
	v_mov_b32_e32 v36, 0
	v_mov_b32_e32 v35, 0
	v_mov_b32_e32 v34, 0
	v_mov_b32_e32 v33, 0
	v_mov_b32_e32 v32, 0
	v_mov_b32_e32 v31, 0
	v_mov_b32_e32 v30, 0
	v_mov_b32_e32 v27, 0
	s_waitcnt lgkmcnt(0)
	v_mov_b32_e32 v0, 0
	s_barrier
	buffer_gl0_inv
	s_and_saveexec_b32 s1, s0
	s_cbranch_execz .LBB194_823
; %bb.412:
	s_load_dword s2, s[18:19], 0x0
	v_and_b32_e32 v1, 0x7c, v11
	v_and_b32_e32 v0, 12, v11
	v_lshlrev_b32_e32 v3, 4, v96
	s_ashr_i32 s0, s14, 31
	s_add_u32 s4, s26, s14
	v_lshlrev_b32_e32 v2, 4, v28
	s_addc_u32 s0, s27, s0
	v_add_co_u32 v7, s4, s4, v1
	v_or3_b32 v40, v3, v0, 3
	v_and_b32_e32 v0, 0x7c, v12
	v_add_co_ci_u32_e64 v8, null, s0, 0, s4
	s_lshl_b64 s[4:5], s[24:25], 2
	s_add_i32 s3, s12, -1
	v_lshl_or_b32 v2, v96, 6, v2
	s_add_u32 s0, s22, s4
	s_addc_u32 s4, s23, s5
	v_add_co_u32 v9, s0, s0, v0
	v_mov_b32_e32 v6, 0
	v_add_nc_u32_e32 v41, 0x1a0, v2
	v_add_co_ci_u32_e64 v10, null, s4, 0, s0
	v_mov_b32_e32 v42, 0x80
	v_bfrev_b32_e32 v12, 1
	v_mov_b32_e32 v43, 0xffff
	v_mov_b32_e32 v14, 0x7f800001
	;; [unrolled: 1-line block ×18, first 2 shown]
	s_mov_b32 s4, s13
	s_waitcnt lgkmcnt(0)
	s_mov_b32 s13, s2
	s_mov_b32 s5, 0
	s_branch .LBB194_414
.LBB194_413:                            ;   in Loop: Header=BB194_414 Depth=1
	s_or_b32 exec_lo, exec_lo, s0
	s_waitcnt lgkmcnt(0)
	v_mul_f32_e32 v16, v1, v92
	v_mul_f32_e32 v17, v1, v90
	;; [unrolled: 1-line block ×5, first 2 shown]
	v_fmac_f32_e32 v16, v2, v91
	v_fmac_f32_e32 v17, v2, v89
	;; [unrolled: 1-line block ×4, first 2 shown]
	v_mul_f32_e32 v21, v1, v74
	v_fmac_f32_e32 v16, v3, v24
	v_fmac_f32_e32 v17, v3, v88
	;; [unrolled: 1-line block ×4, first 2 shown]
	v_mul_f32_e32 v22, v1, v70
	v_fmac_f32_e32 v16, v4, v23
	v_fmac_f32_e32 v17, v4, v87
	;; [unrolled: 1-line block ×5, first 2 shown]
	v_add_f32_e32 v27, v27, v16
	v_add_f32_e32 v30, v30, v17
	;; [unrolled: 1-line block ×4, first 2 shown]
	v_mul_f32_e32 v16, v1, v66
	v_mul_f32_e32 v17, v1, v62
	;; [unrolled: 1-line block ×5, first 2 shown]
	v_fmac_f32_e32 v21, v2, v73
	v_fmac_f32_e32 v22, v2, v69
	;; [unrolled: 1-line block ×15, first 2 shown]
	v_add_nc_u32_e32 v47, 4, v47
	v_fmac_f32_e32 v20, v4, v75
	v_fmac_f32_e32 v21, v4, v71
	;; [unrolled: 1-line block ×8, first 2 shown]
	v_cmp_le_i32_e32 vcc_lo, s12, v47
	v_add_co_u32 v9, s0, v9, 16
	v_add_f32_e32 v33, v33, v20
	v_add_f32_e32 v34, v34, v21
	;; [unrolled: 1-line block ×8, first 2 shown]
	v_add_nc_u32_e32 v40, 64, v40
	v_add_nc_u32_e32 v41, 0x100, v41
	v_add_co_ci_u32_e64 v10, null, 0, v10, s0
	s_or_b32 s5, vcc_lo, s5
	s_andn2_b32 exec_lo, exec_lo, s5
	s_cbranch_execz .LBB194_822
.LBB194_414:                            ; =>This Inner Loop Header: Depth=1
	global_load_dword v1, v[9:10], off
	v_mov_b32_e32 v19, 0
	v_mov_b32_e32 v17, 0
	;; [unrolled: 1-line block ×4, first 2 shown]
	s_waitcnt vmcnt(0)
	v_mad_i64_i32 v[15:16], null, v1, s4, v[7:8]
	ds_read_b128 v[1:4], v41
	global_load_dword v48, v[15:16], off
	s_waitcnt vmcnt(0)
	v_cmp_ne_u16_sdwa s14, v48, v6 src0_sel:BYTE_0 src1_sel:DWORD
	s_and_saveexec_b32 s0, s14
	s_cbranch_execz .LBB194_422
; %bb.415:                              ;   in Loop: Header=BB194_414 Depth=1
	v_bfrev_b32_e32 v17, 1
	v_mov_b32_e32 v18, 0
	v_cmp_ne_u16_sdwa s15, v48, v42 src0_sel:BYTE_0 src1_sel:DWORD
	s_and_saveexec_b32 s14, s15
	s_cbranch_execz .LBB194_421
; %bb.416:                              ;   in Loop: Header=BB194_414 Depth=1
	v_mov_b32_e32 v17, 0x7f800001
	v_and_b32_e32 v13, 0x7f, v48
	v_mov_b32_e32 v18, 0
	s_mov_b32 s15, exec_lo
	v_cmpx_ne_u32_e32 0x7f, v13
	s_cbranch_execz .LBB194_420
; %bb.417:                              ;   in Loop: Header=BB194_414 Depth=1
	v_and_b32_e32 v5, 7, v48
	v_lshrrev_b32_e32 v11, 3, v13
	s_mov_b32 s16, exec_lo
	v_cmpx_gt_u32_e32 8, v13
; %bb.418:                              ;   in Loop: Header=BB194_414 Depth=1
	v_ffbh_u32_e32 v11, v5
	v_min_u32_e32 v11, 32, v11
	v_subrev_nc_u32_e32 v13, 28, v11
	v_sub_nc_u32_e32 v11, 29, v11
	v_lshlrev_b64 v[17:18], v13, v[5:6]
	v_and_b32_e32 v5, 7, v17
; %bb.419:                              ;   in Loop: Header=BB194_414 Depth=1
	s_or_b32 exec_lo, exec_lo, s16
	v_lshlrev_b32_e32 v13, 24, v48
	v_lshlrev_b32_e32 v5, 20, v5
	v_lshl_add_u32 v11, v11, 23, 0x3c000000
	v_and_b32_e32 v13, 0x80000000, v13
	v_or3_b32 v5, v5, v13, v11
	v_mov_b32_e32 v18, v6
	v_mov_b32_e32 v17, v5
.LBB194_420:                            ;   in Loop: Header=BB194_414 Depth=1
	s_or_b32 exec_lo, exec_lo, s15
.LBB194_421:                            ;   in Loop: Header=BB194_414 Depth=1
	s_or_b32 exec_lo, exec_lo, s14
.LBB194_422:                            ;   in Loop: Header=BB194_414 Depth=1
	s_or_b32 exec_lo, exec_lo, s0
	v_cmp_ne_u16_sdwa s14, v48, v6 src0_sel:BYTE_1 src1_sel:DWORD
	s_and_saveexec_b32 s0, s14
	s_cbranch_execz .LBB194_430
; %bb.423:                              ;   in Loop: Header=BB194_414 Depth=1
	v_mov_b32_e32 v11, v6
	v_mov_b32_e32 v20, v12
	v_cmp_ne_u16_sdwa s15, v48, v42 src0_sel:BYTE_1 src1_sel:DWORD
	v_mov_b32_e32 v19, v11
	s_and_saveexec_b32 s14, s15
	s_cbranch_execz .LBB194_429
; %bb.424:                              ;   in Loop: Header=BB194_414 Depth=1
	v_and_b32_sdwa v5, v43, v48 dst_sel:DWORD dst_unused:UNUSED_PAD src0_sel:DWORD src1_sel:BYTE_1
	v_mov_b32_e32 v13, v6
	v_mov_b32_e32 v20, v14
	s_mov_b32 s15, exec_lo
	v_and_b32_e32 v21, 0x7f, v5
	v_mov_b32_e32 v19, v13
	v_cmpx_ne_u32_e32 0x7f, v21
	s_cbranch_execz .LBB194_428
; %bb.425:                              ;   in Loop: Header=BB194_414 Depth=1
	v_and_b32_e32 v5, 7, v5
	v_lshrrev_b32_e32 v11, 3, v21
	s_mov_b32 s16, exec_lo
	v_cmpx_gt_u32_e32 8, v21
; %bb.426:                              ;   in Loop: Header=BB194_414 Depth=1
	v_ffbh_u32_e32 v11, v5
	v_min_u32_e32 v11, 32, v11
	v_subrev_nc_u32_e32 v13, 28, v11
	v_sub_nc_u32_e32 v11, 29, v11
	v_lshlrev_b64 v[19:20], v13, v[5:6]
	v_and_b32_e32 v5, 7, v19
; %bb.427:                              ;   in Loop: Header=BB194_414 Depth=1
	s_or_b32 exec_lo, exec_lo, s16
	v_lshlrev_b32_e32 v13, 16, v48
	v_lshlrev_b32_e32 v5, 20, v5
	v_lshl_add_u32 v11, v11, 23, 0x3c000000
	v_mov_b32_e32 v19, v6
	v_and_b32_e32 v13, 0x80000000, v13
	v_or3_b32 v20, v5, v13, v11
.LBB194_428:                            ;   in Loop: Header=BB194_414 Depth=1
	s_or_b32 exec_lo, exec_lo, s15
.LBB194_429:                            ;   in Loop: Header=BB194_414 Depth=1
	s_or_b32 exec_lo, exec_lo, s14
.LBB194_430:                            ;   in Loop: Header=BB194_414 Depth=1
	s_or_b32 exec_lo, exec_lo, s0
	v_mov_b32_e32 v23, 0
	v_mov_b32_e32 v21, 0
	v_and_b32_sdwa v5, v48, v44 dst_sel:DWORD dst_unused:UNUSED_PAD src0_sel:WORD_1 src1_sel:DWORD
	v_mov_b32_e32 v24, 0
	v_mov_b32_e32 v22, 0
	s_mov_b32 s0, exec_lo
	v_cmpx_ne_u16_e32 0, v5
	s_cbranch_execz .LBB194_438
; %bb.431:                              ;   in Loop: Header=BB194_414 Depth=1
	v_bfrev_b32_e32 v21, 1
	v_mov_b32_e32 v22, 0
	s_mov_b32 s14, exec_lo
	v_cmpx_ne_u16_e32 0x80, v5
	s_cbranch_execz .LBB194_437
; %bb.432:                              ;   in Loop: Header=BB194_414 Depth=1
	v_mov_b32_e32 v21, 0x7f800001
	v_bfe_u32 v13, v48, 16, 7
	v_mov_b32_e32 v22, 0
	s_mov_b32 s15, exec_lo
	v_cmpx_ne_u32_e32 0x7f, v13
	s_cbranch_execz .LBB194_436
; %bb.433:                              ;   in Loop: Header=BB194_414 Depth=1
	v_and_b32_sdwa v5, v48, v45 dst_sel:DWORD dst_unused:UNUSED_PAD src0_sel:WORD_1 src1_sel:DWORD
	v_lshrrev_b32_e32 v11, 3, v13
	s_mov_b32 s16, exec_lo
	v_cmpx_gt_u32_e32 8, v13
; %bb.434:                              ;   in Loop: Header=BB194_414 Depth=1
	v_ffbh_u32_e32 v11, v5
	v_min_u32_e32 v11, 32, v11
	v_subrev_nc_u32_e32 v13, 28, v11
	v_sub_nc_u32_e32 v11, 29, v11
	v_lshlrev_b64 v[21:22], v13, v[5:6]
	v_and_b32_e32 v5, 7, v21
; %bb.435:                              ;   in Loop: Header=BB194_414 Depth=1
	s_or_b32 exec_lo, exec_lo, s16
	v_lshlrev_b32_sdwa v13, v46, v48 dst_sel:DWORD dst_unused:UNUSED_PAD src0_sel:DWORD src1_sel:WORD_1
	v_lshlrev_b32_e32 v5, 20, v5
	v_lshl_add_u32 v11, v11, 23, 0x3c000000
	v_and_b32_e32 v13, 0x80000000, v13
	v_or3_b32 v5, v5, v13, v11
	v_mov_b32_e32 v22, v6
	v_mov_b32_e32 v21, v5
.LBB194_436:                            ;   in Loop: Header=BB194_414 Depth=1
	s_or_b32 exec_lo, exec_lo, s15
.LBB194_437:                            ;   in Loop: Header=BB194_414 Depth=1
	s_or_b32 exec_lo, exec_lo, s14
.LBB194_438:                            ;   in Loop: Header=BB194_414 Depth=1
	s_or_b32 exec_lo, exec_lo, s0
	s_mov_b32 s0, exec_lo
	v_cmpx_lt_u32_e32 0xffffff, v48
	s_cbranch_execz .LBB194_446
; %bb.439:                              ;   in Loop: Header=BB194_414 Depth=1
	v_mov_b32_e32 v11, v6
	v_mov_b32_e32 v24, v12
	v_cmp_ne_u32_sdwa s15, v48, v42 src0_sel:BYTE_3 src1_sel:DWORD
	v_mov_b32_e32 v23, v11
	s_and_saveexec_b32 s14, s15
	s_cbranch_execz .LBB194_445
; %bb.440:                              ;   in Loop: Header=BB194_414 Depth=1
	v_mov_b32_e32 v13, v6
	v_mov_b32_e32 v24, v14
	v_bfe_u32 v49, v48, 24, 7
	s_mov_b32 s15, exec_lo
	v_mov_b32_e32 v23, v13
	v_cmpx_ne_u32_e32 0x7f, v49
	s_cbranch_execz .LBB194_444
; %bb.441:                              ;   in Loop: Header=BB194_414 Depth=1
	v_and_b32_sdwa v5, v48, v45 dst_sel:DWORD dst_unused:UNUSED_PAD src0_sel:BYTE_3 src1_sel:DWORD
	v_lshrrev_b32_e32 v11, 3, v49
	s_mov_b32 s16, exec_lo
	v_cmpx_gt_u32_e32 8, v49
; %bb.442:                              ;   in Loop: Header=BB194_414 Depth=1
	v_ffbh_u32_e32 v11, v5
	v_min_u32_e32 v11, 32, v11
	v_subrev_nc_u32_e32 v13, 28, v11
	v_sub_nc_u32_e32 v11, 29, v11
	v_lshlrev_b64 v[23:24], v13, v[5:6]
	v_and_b32_e32 v5, 7, v23
; %bb.443:                              ;   in Loop: Header=BB194_414 Depth=1
	s_or_b32 exec_lo, exec_lo, s16
	v_lshlrev_b32_sdwa v13, v46, v48 dst_sel:DWORD dst_unused:UNUSED_PAD src0_sel:DWORD src1_sel:BYTE_3
	v_lshlrev_b32_e32 v5, 20, v5
	v_lshl_add_u32 v11, v11, 23, 0x3c000000
	v_mov_b32_e32 v23, v6
	v_and_b32_e32 v13, 0x80000000, v13
	v_or3_b32 v24, v5, v13, v11
.LBB194_444:                            ;   in Loop: Header=BB194_414 Depth=1
	s_or_b32 exec_lo, exec_lo, s15
.LBB194_445:                            ;   in Loop: Header=BB194_414 Depth=1
	s_or_b32 exec_lo, exec_lo, s14
.LBB194_446:                            ;   in Loop: Header=BB194_414 Depth=1
	s_or_b32 exec_lo, exec_lo, s0
	v_or_b32_e32 v5, v20, v18
	v_or_b32_e32 v11, v19, v17
	;; [unrolled: 1-line block ×4, first 2 shown]
	v_add_nc_u32_e32 v52, -3, v40
	v_cmp_eq_u32_e32 vcc_lo, s3, v47
	v_mul_f32_e32 v50, s13, v5
	v_mul_f32_e32 v51, s2, v11
	;; [unrolled: 1-line block ×4, first 2 shown]
	v_add_nc_u32_e32 v54, -2, v40
	v_add_nc_u32_e32 v53, -1, v40
	s_and_saveexec_b32 s14, vcc_lo
	s_cbranch_execz .LBB194_448
; %bb.447:                              ;   in Loop: Header=BB194_414 Depth=1
	v_cmp_gt_i32_e64 s0, s11, v52
	v_cndmask_b32_e64 v51, 0, v51, s0
	v_cmp_gt_i32_e64 s0, s11, v54
	v_cndmask_b32_e64 v50, 0, v50, s0
	v_cmp_gt_i32_e64 s0, s11, v53
	v_cndmask_b32_e64 v49, 0, v49, s0
	v_cmp_gt_i32_e64 s0, s11, v40
	v_cndmask_b32_e64 v48, 0, v48, s0
.LBB194_448:                            ;   in Loop: Header=BB194_414 Depth=1
	s_or_b32 exec_lo, exec_lo, s14
	global_load_dword v55, v[15:16], off offset:128
	v_mov_b32_e32 v19, 0
	v_mov_b32_e32 v17, 0
	;; [unrolled: 1-line block ×4, first 2 shown]
	s_waitcnt vmcnt(0)
	v_cmp_ne_u16_sdwa s0, v55, v6 src0_sel:BYTE_0 src1_sel:DWORD
	s_and_saveexec_b32 s14, s0
	s_cbranch_execz .LBB194_456
; %bb.449:                              ;   in Loop: Header=BB194_414 Depth=1
	v_bfrev_b32_e32 v17, 1
	v_mov_b32_e32 v18, 0
	v_cmp_ne_u16_sdwa s0, v55, v42 src0_sel:BYTE_0 src1_sel:DWORD
	s_and_saveexec_b32 s15, s0
	s_cbranch_execz .LBB194_455
; %bb.450:                              ;   in Loop: Header=BB194_414 Depth=1
	v_mov_b32_e32 v17, 0x7f800001
	v_and_b32_e32 v13, 0x7f, v55
	v_mov_b32_e32 v18, 0
	s_mov_b32 s16, exec_lo
	v_cmpx_ne_u32_e32 0x7f, v13
	s_cbranch_execz .LBB194_454
; %bb.451:                              ;   in Loop: Header=BB194_414 Depth=1
	v_and_b32_e32 v5, 7, v55
	v_lshrrev_b32_e32 v11, 3, v13
	s_mov_b32 s17, exec_lo
	v_cmpx_gt_u32_e32 8, v13
; %bb.452:                              ;   in Loop: Header=BB194_414 Depth=1
	v_ffbh_u32_e32 v11, v5
	v_min_u32_e32 v11, 32, v11
	v_subrev_nc_u32_e32 v13, 28, v11
	v_sub_nc_u32_e32 v11, 29, v11
	v_lshlrev_b64 v[17:18], v13, v[5:6]
	v_and_b32_e32 v5, 7, v17
; %bb.453:                              ;   in Loop: Header=BB194_414 Depth=1
	s_or_b32 exec_lo, exec_lo, s17
	v_lshlrev_b32_e32 v13, 24, v55
	v_lshlrev_b32_e32 v5, 20, v5
	v_lshl_add_u32 v11, v11, 23, 0x3c000000
	v_and_b32_e32 v13, 0x80000000, v13
	v_or3_b32 v5, v5, v13, v11
	v_mov_b32_e32 v18, v6
	v_mov_b32_e32 v17, v5
.LBB194_454:                            ;   in Loop: Header=BB194_414 Depth=1
	s_or_b32 exec_lo, exec_lo, s16
.LBB194_455:                            ;   in Loop: Header=BB194_414 Depth=1
	s_or_b32 exec_lo, exec_lo, s15
.LBB194_456:                            ;   in Loop: Header=BB194_414 Depth=1
	s_or_b32 exec_lo, exec_lo, s14
	v_cmp_ne_u16_sdwa s0, v55, v6 src0_sel:BYTE_1 src1_sel:DWORD
	s_and_saveexec_b32 s14, s0
	s_cbranch_execz .LBB194_464
; %bb.457:                              ;   in Loop: Header=BB194_414 Depth=1
	v_mov_b32_e32 v11, v6
	v_mov_b32_e32 v20, v12
	v_cmp_ne_u16_sdwa s0, v55, v42 src0_sel:BYTE_1 src1_sel:DWORD
	v_mov_b32_e32 v19, v11
	s_and_saveexec_b32 s15, s0
	s_cbranch_execz .LBB194_463
; %bb.458:                              ;   in Loop: Header=BB194_414 Depth=1
	v_and_b32_sdwa v5, v43, v55 dst_sel:DWORD dst_unused:UNUSED_PAD src0_sel:DWORD src1_sel:BYTE_1
	v_mov_b32_e32 v13, v6
	v_mov_b32_e32 v20, v14
	s_mov_b32 s16, exec_lo
	v_and_b32_e32 v21, 0x7f, v5
	v_mov_b32_e32 v19, v13
	v_cmpx_ne_u32_e32 0x7f, v21
	s_cbranch_execz .LBB194_462
; %bb.459:                              ;   in Loop: Header=BB194_414 Depth=1
	v_and_b32_e32 v5, 7, v5
	v_lshrrev_b32_e32 v11, 3, v21
	s_mov_b32 s17, exec_lo
	v_cmpx_gt_u32_e32 8, v21
; %bb.460:                              ;   in Loop: Header=BB194_414 Depth=1
	v_ffbh_u32_e32 v11, v5
	v_min_u32_e32 v11, 32, v11
	v_subrev_nc_u32_e32 v13, 28, v11
	v_sub_nc_u32_e32 v11, 29, v11
	v_lshlrev_b64 v[19:20], v13, v[5:6]
	v_and_b32_e32 v5, 7, v19
; %bb.461:                              ;   in Loop: Header=BB194_414 Depth=1
	s_or_b32 exec_lo, exec_lo, s17
	v_lshlrev_b32_e32 v13, 16, v55
	v_lshlrev_b32_e32 v5, 20, v5
	v_lshl_add_u32 v11, v11, 23, 0x3c000000
	v_mov_b32_e32 v19, v6
	v_and_b32_e32 v13, 0x80000000, v13
	v_or3_b32 v20, v5, v13, v11
.LBB194_462:                            ;   in Loop: Header=BB194_414 Depth=1
	s_or_b32 exec_lo, exec_lo, s16
.LBB194_463:                            ;   in Loop: Header=BB194_414 Depth=1
	s_or_b32 exec_lo, exec_lo, s15
.LBB194_464:                            ;   in Loop: Header=BB194_414 Depth=1
	s_or_b32 exec_lo, exec_lo, s14
	v_mov_b32_e32 v23, 0
	v_mov_b32_e32 v21, 0
	v_and_b32_sdwa v5, v55, v44 dst_sel:DWORD dst_unused:UNUSED_PAD src0_sel:WORD_1 src1_sel:DWORD
	v_mov_b32_e32 v24, 0
	v_mov_b32_e32 v22, 0
	s_mov_b32 s14, exec_lo
	v_cmpx_ne_u16_e32 0, v5
	s_cbranch_execz .LBB194_472
; %bb.465:                              ;   in Loop: Header=BB194_414 Depth=1
	v_bfrev_b32_e32 v21, 1
	v_mov_b32_e32 v22, 0
	s_mov_b32 s15, exec_lo
	v_cmpx_ne_u16_e32 0x80, v5
	s_cbranch_execz .LBB194_471
; %bb.466:                              ;   in Loop: Header=BB194_414 Depth=1
	v_mov_b32_e32 v21, 0x7f800001
	v_bfe_u32 v13, v55, 16, 7
	v_mov_b32_e32 v22, 0
	s_mov_b32 s16, exec_lo
	v_cmpx_ne_u32_e32 0x7f, v13
	s_cbranch_execz .LBB194_470
; %bb.467:                              ;   in Loop: Header=BB194_414 Depth=1
	v_and_b32_sdwa v5, v55, v45 dst_sel:DWORD dst_unused:UNUSED_PAD src0_sel:WORD_1 src1_sel:DWORD
	v_lshrrev_b32_e32 v11, 3, v13
	s_mov_b32 s17, exec_lo
	v_cmpx_gt_u32_e32 8, v13
; %bb.468:                              ;   in Loop: Header=BB194_414 Depth=1
	v_ffbh_u32_e32 v11, v5
	v_min_u32_e32 v11, 32, v11
	v_subrev_nc_u32_e32 v13, 28, v11
	v_sub_nc_u32_e32 v11, 29, v11
	v_lshlrev_b64 v[21:22], v13, v[5:6]
	v_and_b32_e32 v5, 7, v21
; %bb.469:                              ;   in Loop: Header=BB194_414 Depth=1
	s_or_b32 exec_lo, exec_lo, s17
	v_lshlrev_b32_sdwa v13, v46, v55 dst_sel:DWORD dst_unused:UNUSED_PAD src0_sel:DWORD src1_sel:WORD_1
	v_lshlrev_b32_e32 v5, 20, v5
	v_lshl_add_u32 v11, v11, 23, 0x3c000000
	v_and_b32_e32 v13, 0x80000000, v13
	v_or3_b32 v5, v5, v13, v11
	v_mov_b32_e32 v22, v6
	v_mov_b32_e32 v21, v5
.LBB194_470:                            ;   in Loop: Header=BB194_414 Depth=1
	s_or_b32 exec_lo, exec_lo, s16
.LBB194_471:                            ;   in Loop: Header=BB194_414 Depth=1
	s_or_b32 exec_lo, exec_lo, s15
.LBB194_472:                            ;   in Loop: Header=BB194_414 Depth=1
	s_or_b32 exec_lo, exec_lo, s14
	s_mov_b32 s14, exec_lo
	v_cmpx_lt_u32_e32 0xffffff, v55
	s_cbranch_execz .LBB194_480
; %bb.473:                              ;   in Loop: Header=BB194_414 Depth=1
	v_mov_b32_e32 v11, v6
	v_mov_b32_e32 v24, v12
	v_cmp_ne_u32_sdwa s0, v55, v42 src0_sel:BYTE_3 src1_sel:DWORD
	v_mov_b32_e32 v23, v11
	s_and_saveexec_b32 s15, s0
	s_cbranch_execz .LBB194_479
; %bb.474:                              ;   in Loop: Header=BB194_414 Depth=1
	v_mov_b32_e32 v13, v6
	v_mov_b32_e32 v24, v14
	v_bfe_u32 v56, v55, 24, 7
	s_mov_b32 s16, exec_lo
	v_mov_b32_e32 v23, v13
	v_cmpx_ne_u32_e32 0x7f, v56
	s_cbranch_execz .LBB194_478
; %bb.475:                              ;   in Loop: Header=BB194_414 Depth=1
	v_and_b32_sdwa v5, v55, v45 dst_sel:DWORD dst_unused:UNUSED_PAD src0_sel:BYTE_3 src1_sel:DWORD
	v_lshrrev_b32_e32 v11, 3, v56
	s_mov_b32 s17, exec_lo
	v_cmpx_gt_u32_e32 8, v56
; %bb.476:                              ;   in Loop: Header=BB194_414 Depth=1
	v_ffbh_u32_e32 v11, v5
	v_min_u32_e32 v11, 32, v11
	v_subrev_nc_u32_e32 v13, 28, v11
	v_sub_nc_u32_e32 v11, 29, v11
	v_lshlrev_b64 v[23:24], v13, v[5:6]
	v_and_b32_e32 v5, 7, v23
; %bb.477:                              ;   in Loop: Header=BB194_414 Depth=1
	s_or_b32 exec_lo, exec_lo, s17
	v_lshlrev_b32_sdwa v13, v46, v55 dst_sel:DWORD dst_unused:UNUSED_PAD src0_sel:DWORD src1_sel:BYTE_3
	v_lshlrev_b32_e32 v5, 20, v5
	v_lshl_add_u32 v11, v11, 23, 0x3c000000
	v_mov_b32_e32 v23, v6
	v_and_b32_e32 v13, 0x80000000, v13
	v_or3_b32 v24, v5, v13, v11
.LBB194_478:                            ;   in Loop: Header=BB194_414 Depth=1
	s_or_b32 exec_lo, exec_lo, s16
.LBB194_479:                            ;   in Loop: Header=BB194_414 Depth=1
	s_or_b32 exec_lo, exec_lo, s15
.LBB194_480:                            ;   in Loop: Header=BB194_414 Depth=1
	s_or_b32 exec_lo, exec_lo, s14
	v_or_b32_e32 v5, v20, v18
	v_or_b32_e32 v11, v19, v17
	;; [unrolled: 1-line block ×4, first 2 shown]
	v_mul_f32_e32 v57, s13, v5
	v_mul_f32_e32 v58, s2, v11
	v_mul_f32_e32 v56, s2, v13
	v_mul_f32_e32 v55, s13, v17
	s_and_saveexec_b32 s14, vcc_lo
	s_cbranch_execz .LBB194_482
; %bb.481:                              ;   in Loop: Header=BB194_414 Depth=1
	v_cmp_gt_i32_e64 s0, s11, v52
	v_cndmask_b32_e64 v58, 0, v58, s0
	v_cmp_gt_i32_e64 s0, s11, v54
	v_cndmask_b32_e64 v57, 0, v57, s0
	;; [unrolled: 2-line block ×4, first 2 shown]
.LBB194_482:                            ;   in Loop: Header=BB194_414 Depth=1
	s_or_b32 exec_lo, exec_lo, s14
	global_load_dword v59, v[15:16], off offset:256
	v_mov_b32_e32 v19, 0
	v_mov_b32_e32 v17, 0
	;; [unrolled: 1-line block ×4, first 2 shown]
	s_waitcnt vmcnt(0)
	v_cmp_ne_u16_sdwa s0, v59, v6 src0_sel:BYTE_0 src1_sel:DWORD
	s_and_saveexec_b32 s14, s0
	s_cbranch_execz .LBB194_490
; %bb.483:                              ;   in Loop: Header=BB194_414 Depth=1
	v_bfrev_b32_e32 v17, 1
	v_mov_b32_e32 v18, 0
	v_cmp_ne_u16_sdwa s0, v59, v42 src0_sel:BYTE_0 src1_sel:DWORD
	s_and_saveexec_b32 s15, s0
	s_cbranch_execz .LBB194_489
; %bb.484:                              ;   in Loop: Header=BB194_414 Depth=1
	v_mov_b32_e32 v17, 0x7f800001
	v_and_b32_e32 v13, 0x7f, v59
	v_mov_b32_e32 v18, 0
	s_mov_b32 s16, exec_lo
	v_cmpx_ne_u32_e32 0x7f, v13
	s_cbranch_execz .LBB194_488
; %bb.485:                              ;   in Loop: Header=BB194_414 Depth=1
	v_and_b32_e32 v5, 7, v59
	v_lshrrev_b32_e32 v11, 3, v13
	s_mov_b32 s17, exec_lo
	v_cmpx_gt_u32_e32 8, v13
; %bb.486:                              ;   in Loop: Header=BB194_414 Depth=1
	v_ffbh_u32_e32 v11, v5
	v_min_u32_e32 v11, 32, v11
	v_subrev_nc_u32_e32 v13, 28, v11
	v_sub_nc_u32_e32 v11, 29, v11
	v_lshlrev_b64 v[17:18], v13, v[5:6]
	v_and_b32_e32 v5, 7, v17
; %bb.487:                              ;   in Loop: Header=BB194_414 Depth=1
	s_or_b32 exec_lo, exec_lo, s17
	v_lshlrev_b32_e32 v13, 24, v59
	v_lshlrev_b32_e32 v5, 20, v5
	v_lshl_add_u32 v11, v11, 23, 0x3c000000
	v_and_b32_e32 v13, 0x80000000, v13
	v_or3_b32 v5, v5, v13, v11
	v_mov_b32_e32 v18, v6
	v_mov_b32_e32 v17, v5
.LBB194_488:                            ;   in Loop: Header=BB194_414 Depth=1
	s_or_b32 exec_lo, exec_lo, s16
.LBB194_489:                            ;   in Loop: Header=BB194_414 Depth=1
	s_or_b32 exec_lo, exec_lo, s15
.LBB194_490:                            ;   in Loop: Header=BB194_414 Depth=1
	s_or_b32 exec_lo, exec_lo, s14
	v_cmp_ne_u16_sdwa s0, v59, v6 src0_sel:BYTE_1 src1_sel:DWORD
	s_and_saveexec_b32 s14, s0
	s_cbranch_execz .LBB194_498
; %bb.491:                              ;   in Loop: Header=BB194_414 Depth=1
	v_mov_b32_e32 v11, v6
	v_mov_b32_e32 v20, v12
	v_cmp_ne_u16_sdwa s0, v59, v42 src0_sel:BYTE_1 src1_sel:DWORD
	v_mov_b32_e32 v19, v11
	s_and_saveexec_b32 s15, s0
	s_cbranch_execz .LBB194_497
; %bb.492:                              ;   in Loop: Header=BB194_414 Depth=1
	v_and_b32_sdwa v5, v43, v59 dst_sel:DWORD dst_unused:UNUSED_PAD src0_sel:DWORD src1_sel:BYTE_1
	v_mov_b32_e32 v13, v6
	v_mov_b32_e32 v20, v14
	s_mov_b32 s16, exec_lo
	v_and_b32_e32 v21, 0x7f, v5
	v_mov_b32_e32 v19, v13
	v_cmpx_ne_u32_e32 0x7f, v21
	s_cbranch_execz .LBB194_496
; %bb.493:                              ;   in Loop: Header=BB194_414 Depth=1
	v_and_b32_e32 v5, 7, v5
	v_lshrrev_b32_e32 v11, 3, v21
	s_mov_b32 s17, exec_lo
	v_cmpx_gt_u32_e32 8, v21
; %bb.494:                              ;   in Loop: Header=BB194_414 Depth=1
	v_ffbh_u32_e32 v11, v5
	v_min_u32_e32 v11, 32, v11
	v_subrev_nc_u32_e32 v13, 28, v11
	v_sub_nc_u32_e32 v11, 29, v11
	v_lshlrev_b64 v[19:20], v13, v[5:6]
	v_and_b32_e32 v5, 7, v19
; %bb.495:                              ;   in Loop: Header=BB194_414 Depth=1
	s_or_b32 exec_lo, exec_lo, s17
	v_lshlrev_b32_e32 v13, 16, v59
	v_lshlrev_b32_e32 v5, 20, v5
	v_lshl_add_u32 v11, v11, 23, 0x3c000000
	v_mov_b32_e32 v19, v6
	v_and_b32_e32 v13, 0x80000000, v13
	v_or3_b32 v20, v5, v13, v11
.LBB194_496:                            ;   in Loop: Header=BB194_414 Depth=1
	s_or_b32 exec_lo, exec_lo, s16
.LBB194_497:                            ;   in Loop: Header=BB194_414 Depth=1
	s_or_b32 exec_lo, exec_lo, s15
.LBB194_498:                            ;   in Loop: Header=BB194_414 Depth=1
	s_or_b32 exec_lo, exec_lo, s14
	v_mov_b32_e32 v23, 0
	v_mov_b32_e32 v21, 0
	v_and_b32_sdwa v5, v59, v44 dst_sel:DWORD dst_unused:UNUSED_PAD src0_sel:WORD_1 src1_sel:DWORD
	v_mov_b32_e32 v24, 0
	v_mov_b32_e32 v22, 0
	s_mov_b32 s14, exec_lo
	v_cmpx_ne_u16_e32 0, v5
	s_cbranch_execz .LBB194_506
; %bb.499:                              ;   in Loop: Header=BB194_414 Depth=1
	v_bfrev_b32_e32 v21, 1
	v_mov_b32_e32 v22, 0
	s_mov_b32 s15, exec_lo
	v_cmpx_ne_u16_e32 0x80, v5
	s_cbranch_execz .LBB194_505
; %bb.500:                              ;   in Loop: Header=BB194_414 Depth=1
	v_mov_b32_e32 v21, 0x7f800001
	v_bfe_u32 v13, v59, 16, 7
	v_mov_b32_e32 v22, 0
	s_mov_b32 s16, exec_lo
	v_cmpx_ne_u32_e32 0x7f, v13
	s_cbranch_execz .LBB194_504
; %bb.501:                              ;   in Loop: Header=BB194_414 Depth=1
	v_and_b32_sdwa v5, v59, v45 dst_sel:DWORD dst_unused:UNUSED_PAD src0_sel:WORD_1 src1_sel:DWORD
	v_lshrrev_b32_e32 v11, 3, v13
	s_mov_b32 s17, exec_lo
	v_cmpx_gt_u32_e32 8, v13
; %bb.502:                              ;   in Loop: Header=BB194_414 Depth=1
	v_ffbh_u32_e32 v11, v5
	v_min_u32_e32 v11, 32, v11
	v_subrev_nc_u32_e32 v13, 28, v11
	v_sub_nc_u32_e32 v11, 29, v11
	v_lshlrev_b64 v[21:22], v13, v[5:6]
	v_and_b32_e32 v5, 7, v21
; %bb.503:                              ;   in Loop: Header=BB194_414 Depth=1
	s_or_b32 exec_lo, exec_lo, s17
	v_lshlrev_b32_sdwa v13, v46, v59 dst_sel:DWORD dst_unused:UNUSED_PAD src0_sel:DWORD src1_sel:WORD_1
	v_lshlrev_b32_e32 v5, 20, v5
	v_lshl_add_u32 v11, v11, 23, 0x3c000000
	v_and_b32_e32 v13, 0x80000000, v13
	v_or3_b32 v5, v5, v13, v11
	v_mov_b32_e32 v22, v6
	v_mov_b32_e32 v21, v5
.LBB194_504:                            ;   in Loop: Header=BB194_414 Depth=1
	s_or_b32 exec_lo, exec_lo, s16
.LBB194_505:                            ;   in Loop: Header=BB194_414 Depth=1
	s_or_b32 exec_lo, exec_lo, s15
.LBB194_506:                            ;   in Loop: Header=BB194_414 Depth=1
	s_or_b32 exec_lo, exec_lo, s14
	s_mov_b32 s14, exec_lo
	v_cmpx_lt_u32_e32 0xffffff, v59
	s_cbranch_execz .LBB194_514
; %bb.507:                              ;   in Loop: Header=BB194_414 Depth=1
	v_mov_b32_e32 v11, v6
	v_mov_b32_e32 v24, v12
	v_cmp_ne_u32_sdwa s0, v59, v42 src0_sel:BYTE_3 src1_sel:DWORD
	v_mov_b32_e32 v23, v11
	s_and_saveexec_b32 s15, s0
	s_cbranch_execz .LBB194_513
; %bb.508:                              ;   in Loop: Header=BB194_414 Depth=1
	v_mov_b32_e32 v13, v6
	v_mov_b32_e32 v24, v14
	v_bfe_u32 v60, v59, 24, 7
	s_mov_b32 s16, exec_lo
	v_mov_b32_e32 v23, v13
	v_cmpx_ne_u32_e32 0x7f, v60
	s_cbranch_execz .LBB194_512
; %bb.509:                              ;   in Loop: Header=BB194_414 Depth=1
	v_and_b32_sdwa v5, v59, v45 dst_sel:DWORD dst_unused:UNUSED_PAD src0_sel:BYTE_3 src1_sel:DWORD
	v_lshrrev_b32_e32 v11, 3, v60
	s_mov_b32 s17, exec_lo
	v_cmpx_gt_u32_e32 8, v60
; %bb.510:                              ;   in Loop: Header=BB194_414 Depth=1
	v_ffbh_u32_e32 v11, v5
	v_min_u32_e32 v11, 32, v11
	v_subrev_nc_u32_e32 v13, 28, v11
	v_sub_nc_u32_e32 v11, 29, v11
	v_lshlrev_b64 v[23:24], v13, v[5:6]
	v_and_b32_e32 v5, 7, v23
; %bb.511:                              ;   in Loop: Header=BB194_414 Depth=1
	s_or_b32 exec_lo, exec_lo, s17
	v_lshlrev_b32_sdwa v13, v46, v59 dst_sel:DWORD dst_unused:UNUSED_PAD src0_sel:DWORD src1_sel:BYTE_3
	v_lshlrev_b32_e32 v5, 20, v5
	v_lshl_add_u32 v11, v11, 23, 0x3c000000
	v_mov_b32_e32 v23, v6
	v_and_b32_e32 v13, 0x80000000, v13
	v_or3_b32 v24, v5, v13, v11
.LBB194_512:                            ;   in Loop: Header=BB194_414 Depth=1
	s_or_b32 exec_lo, exec_lo, s16
.LBB194_513:                            ;   in Loop: Header=BB194_414 Depth=1
	s_or_b32 exec_lo, exec_lo, s15
.LBB194_514:                            ;   in Loop: Header=BB194_414 Depth=1
	s_or_b32 exec_lo, exec_lo, s14
	v_or_b32_e32 v5, v20, v18
	v_or_b32_e32 v11, v19, v17
	;; [unrolled: 1-line block ×4, first 2 shown]
	v_mul_f32_e32 v61, s13, v5
	v_mul_f32_e32 v62, s2, v11
	;; [unrolled: 1-line block ×4, first 2 shown]
	s_and_saveexec_b32 s14, vcc_lo
	s_cbranch_execz .LBB194_516
; %bb.515:                              ;   in Loop: Header=BB194_414 Depth=1
	v_cmp_gt_i32_e64 s0, s11, v52
	v_cndmask_b32_e64 v62, 0, v62, s0
	v_cmp_gt_i32_e64 s0, s11, v54
	v_cndmask_b32_e64 v61, 0, v61, s0
	;; [unrolled: 2-line block ×4, first 2 shown]
.LBB194_516:                            ;   in Loop: Header=BB194_414 Depth=1
	s_or_b32 exec_lo, exec_lo, s14
	global_load_dword v63, v[15:16], off offset:384
	v_mov_b32_e32 v19, 0
	v_mov_b32_e32 v17, 0
	;; [unrolled: 1-line block ×4, first 2 shown]
	s_waitcnt vmcnt(0)
	v_cmp_ne_u16_sdwa s0, v63, v6 src0_sel:BYTE_0 src1_sel:DWORD
	s_and_saveexec_b32 s14, s0
	s_cbranch_execz .LBB194_524
; %bb.517:                              ;   in Loop: Header=BB194_414 Depth=1
	v_bfrev_b32_e32 v17, 1
	v_mov_b32_e32 v18, 0
	v_cmp_ne_u16_sdwa s0, v63, v42 src0_sel:BYTE_0 src1_sel:DWORD
	s_and_saveexec_b32 s15, s0
	s_cbranch_execz .LBB194_523
; %bb.518:                              ;   in Loop: Header=BB194_414 Depth=1
	v_mov_b32_e32 v17, 0x7f800001
	v_and_b32_e32 v13, 0x7f, v63
	v_mov_b32_e32 v18, 0
	s_mov_b32 s16, exec_lo
	v_cmpx_ne_u32_e32 0x7f, v13
	s_cbranch_execz .LBB194_522
; %bb.519:                              ;   in Loop: Header=BB194_414 Depth=1
	v_and_b32_e32 v5, 7, v63
	v_lshrrev_b32_e32 v11, 3, v13
	s_mov_b32 s17, exec_lo
	v_cmpx_gt_u32_e32 8, v13
; %bb.520:                              ;   in Loop: Header=BB194_414 Depth=1
	v_ffbh_u32_e32 v11, v5
	v_min_u32_e32 v11, 32, v11
	v_subrev_nc_u32_e32 v13, 28, v11
	v_sub_nc_u32_e32 v11, 29, v11
	v_lshlrev_b64 v[17:18], v13, v[5:6]
	v_and_b32_e32 v5, 7, v17
; %bb.521:                              ;   in Loop: Header=BB194_414 Depth=1
	s_or_b32 exec_lo, exec_lo, s17
	v_lshlrev_b32_e32 v13, 24, v63
	v_lshlrev_b32_e32 v5, 20, v5
	v_lshl_add_u32 v11, v11, 23, 0x3c000000
	v_and_b32_e32 v13, 0x80000000, v13
	v_or3_b32 v5, v5, v13, v11
	v_mov_b32_e32 v18, v6
	v_mov_b32_e32 v17, v5
.LBB194_522:                            ;   in Loop: Header=BB194_414 Depth=1
	s_or_b32 exec_lo, exec_lo, s16
.LBB194_523:                            ;   in Loop: Header=BB194_414 Depth=1
	s_or_b32 exec_lo, exec_lo, s15
.LBB194_524:                            ;   in Loop: Header=BB194_414 Depth=1
	s_or_b32 exec_lo, exec_lo, s14
	v_cmp_ne_u16_sdwa s0, v63, v6 src0_sel:BYTE_1 src1_sel:DWORD
	s_and_saveexec_b32 s14, s0
	s_cbranch_execz .LBB194_532
; %bb.525:                              ;   in Loop: Header=BB194_414 Depth=1
	v_mov_b32_e32 v11, v6
	v_mov_b32_e32 v20, v12
	v_cmp_ne_u16_sdwa s0, v63, v42 src0_sel:BYTE_1 src1_sel:DWORD
	v_mov_b32_e32 v19, v11
	s_and_saveexec_b32 s15, s0
	s_cbranch_execz .LBB194_531
; %bb.526:                              ;   in Loop: Header=BB194_414 Depth=1
	v_and_b32_sdwa v5, v43, v63 dst_sel:DWORD dst_unused:UNUSED_PAD src0_sel:DWORD src1_sel:BYTE_1
	v_mov_b32_e32 v13, v6
	v_mov_b32_e32 v20, v14
	s_mov_b32 s16, exec_lo
	v_and_b32_e32 v21, 0x7f, v5
	v_mov_b32_e32 v19, v13
	v_cmpx_ne_u32_e32 0x7f, v21
	s_cbranch_execz .LBB194_530
; %bb.527:                              ;   in Loop: Header=BB194_414 Depth=1
	v_and_b32_e32 v5, 7, v5
	v_lshrrev_b32_e32 v11, 3, v21
	s_mov_b32 s17, exec_lo
	v_cmpx_gt_u32_e32 8, v21
; %bb.528:                              ;   in Loop: Header=BB194_414 Depth=1
	v_ffbh_u32_e32 v11, v5
	v_min_u32_e32 v11, 32, v11
	v_subrev_nc_u32_e32 v13, 28, v11
	v_sub_nc_u32_e32 v11, 29, v11
	v_lshlrev_b64 v[19:20], v13, v[5:6]
	v_and_b32_e32 v5, 7, v19
; %bb.529:                              ;   in Loop: Header=BB194_414 Depth=1
	s_or_b32 exec_lo, exec_lo, s17
	v_lshlrev_b32_e32 v13, 16, v63
	v_lshlrev_b32_e32 v5, 20, v5
	v_lshl_add_u32 v11, v11, 23, 0x3c000000
	v_mov_b32_e32 v19, v6
	v_and_b32_e32 v13, 0x80000000, v13
	v_or3_b32 v20, v5, v13, v11
.LBB194_530:                            ;   in Loop: Header=BB194_414 Depth=1
	s_or_b32 exec_lo, exec_lo, s16
.LBB194_531:                            ;   in Loop: Header=BB194_414 Depth=1
	s_or_b32 exec_lo, exec_lo, s15
.LBB194_532:                            ;   in Loop: Header=BB194_414 Depth=1
	s_or_b32 exec_lo, exec_lo, s14
	v_mov_b32_e32 v23, 0
	v_mov_b32_e32 v21, 0
	v_and_b32_sdwa v5, v63, v44 dst_sel:DWORD dst_unused:UNUSED_PAD src0_sel:WORD_1 src1_sel:DWORD
	v_mov_b32_e32 v24, 0
	v_mov_b32_e32 v22, 0
	s_mov_b32 s14, exec_lo
	v_cmpx_ne_u16_e32 0, v5
	s_cbranch_execz .LBB194_540
; %bb.533:                              ;   in Loop: Header=BB194_414 Depth=1
	v_bfrev_b32_e32 v21, 1
	v_mov_b32_e32 v22, 0
	s_mov_b32 s15, exec_lo
	v_cmpx_ne_u16_e32 0x80, v5
	s_cbranch_execz .LBB194_539
; %bb.534:                              ;   in Loop: Header=BB194_414 Depth=1
	v_mov_b32_e32 v21, 0x7f800001
	v_bfe_u32 v13, v63, 16, 7
	v_mov_b32_e32 v22, 0
	s_mov_b32 s16, exec_lo
	v_cmpx_ne_u32_e32 0x7f, v13
	s_cbranch_execz .LBB194_538
; %bb.535:                              ;   in Loop: Header=BB194_414 Depth=1
	v_and_b32_sdwa v5, v63, v45 dst_sel:DWORD dst_unused:UNUSED_PAD src0_sel:WORD_1 src1_sel:DWORD
	v_lshrrev_b32_e32 v11, 3, v13
	s_mov_b32 s17, exec_lo
	v_cmpx_gt_u32_e32 8, v13
; %bb.536:                              ;   in Loop: Header=BB194_414 Depth=1
	v_ffbh_u32_e32 v11, v5
	v_min_u32_e32 v11, 32, v11
	v_subrev_nc_u32_e32 v13, 28, v11
	v_sub_nc_u32_e32 v11, 29, v11
	v_lshlrev_b64 v[21:22], v13, v[5:6]
	v_and_b32_e32 v5, 7, v21
; %bb.537:                              ;   in Loop: Header=BB194_414 Depth=1
	s_or_b32 exec_lo, exec_lo, s17
	v_lshlrev_b32_sdwa v13, v46, v63 dst_sel:DWORD dst_unused:UNUSED_PAD src0_sel:DWORD src1_sel:WORD_1
	v_lshlrev_b32_e32 v5, 20, v5
	v_lshl_add_u32 v11, v11, 23, 0x3c000000
	v_and_b32_e32 v13, 0x80000000, v13
	v_or3_b32 v5, v5, v13, v11
	v_mov_b32_e32 v22, v6
	v_mov_b32_e32 v21, v5
.LBB194_538:                            ;   in Loop: Header=BB194_414 Depth=1
	s_or_b32 exec_lo, exec_lo, s16
.LBB194_539:                            ;   in Loop: Header=BB194_414 Depth=1
	s_or_b32 exec_lo, exec_lo, s15
.LBB194_540:                            ;   in Loop: Header=BB194_414 Depth=1
	s_or_b32 exec_lo, exec_lo, s14
	s_mov_b32 s14, exec_lo
	v_cmpx_lt_u32_e32 0xffffff, v63
	s_cbranch_execz .LBB194_548
; %bb.541:                              ;   in Loop: Header=BB194_414 Depth=1
	v_mov_b32_e32 v11, v6
	v_mov_b32_e32 v24, v12
	v_cmp_ne_u32_sdwa s0, v63, v42 src0_sel:BYTE_3 src1_sel:DWORD
	v_mov_b32_e32 v23, v11
	s_and_saveexec_b32 s15, s0
	s_cbranch_execz .LBB194_547
; %bb.542:                              ;   in Loop: Header=BB194_414 Depth=1
	v_mov_b32_e32 v13, v6
	v_mov_b32_e32 v24, v14
	v_bfe_u32 v64, v63, 24, 7
	s_mov_b32 s16, exec_lo
	v_mov_b32_e32 v23, v13
	v_cmpx_ne_u32_e32 0x7f, v64
	s_cbranch_execz .LBB194_546
; %bb.543:                              ;   in Loop: Header=BB194_414 Depth=1
	v_and_b32_sdwa v5, v63, v45 dst_sel:DWORD dst_unused:UNUSED_PAD src0_sel:BYTE_3 src1_sel:DWORD
	v_lshrrev_b32_e32 v11, 3, v64
	s_mov_b32 s17, exec_lo
	v_cmpx_gt_u32_e32 8, v64
; %bb.544:                              ;   in Loop: Header=BB194_414 Depth=1
	v_ffbh_u32_e32 v11, v5
	v_min_u32_e32 v11, 32, v11
	v_subrev_nc_u32_e32 v13, 28, v11
	v_sub_nc_u32_e32 v11, 29, v11
	v_lshlrev_b64 v[23:24], v13, v[5:6]
	v_and_b32_e32 v5, 7, v23
; %bb.545:                              ;   in Loop: Header=BB194_414 Depth=1
	s_or_b32 exec_lo, exec_lo, s17
	v_lshlrev_b32_sdwa v13, v46, v63 dst_sel:DWORD dst_unused:UNUSED_PAD src0_sel:DWORD src1_sel:BYTE_3
	v_lshlrev_b32_e32 v5, 20, v5
	v_lshl_add_u32 v11, v11, 23, 0x3c000000
	v_mov_b32_e32 v23, v6
	v_and_b32_e32 v13, 0x80000000, v13
	v_or3_b32 v24, v5, v13, v11
.LBB194_546:                            ;   in Loop: Header=BB194_414 Depth=1
	s_or_b32 exec_lo, exec_lo, s16
.LBB194_547:                            ;   in Loop: Header=BB194_414 Depth=1
	s_or_b32 exec_lo, exec_lo, s15
.LBB194_548:                            ;   in Loop: Header=BB194_414 Depth=1
	s_or_b32 exec_lo, exec_lo, s14
	v_or_b32_e32 v5, v20, v18
	v_or_b32_e32 v11, v19, v17
	;; [unrolled: 1-line block ×4, first 2 shown]
	v_mul_f32_e32 v65, s13, v5
	v_mul_f32_e32 v66, s2, v11
	;; [unrolled: 1-line block ×4, first 2 shown]
	s_and_saveexec_b32 s14, vcc_lo
	s_cbranch_execz .LBB194_550
; %bb.549:                              ;   in Loop: Header=BB194_414 Depth=1
	v_cmp_gt_i32_e64 s0, s11, v52
	v_cndmask_b32_e64 v66, 0, v66, s0
	v_cmp_gt_i32_e64 s0, s11, v54
	v_cndmask_b32_e64 v65, 0, v65, s0
	;; [unrolled: 2-line block ×4, first 2 shown]
.LBB194_550:                            ;   in Loop: Header=BB194_414 Depth=1
	s_or_b32 exec_lo, exec_lo, s14
	global_load_dword v67, v[15:16], off offset:512
	v_mov_b32_e32 v19, 0
	v_mov_b32_e32 v17, 0
	;; [unrolled: 1-line block ×4, first 2 shown]
	s_waitcnt vmcnt(0)
	v_cmp_ne_u16_sdwa s0, v67, v6 src0_sel:BYTE_0 src1_sel:DWORD
	s_and_saveexec_b32 s14, s0
	s_cbranch_execz .LBB194_558
; %bb.551:                              ;   in Loop: Header=BB194_414 Depth=1
	v_bfrev_b32_e32 v17, 1
	v_mov_b32_e32 v18, 0
	v_cmp_ne_u16_sdwa s0, v67, v42 src0_sel:BYTE_0 src1_sel:DWORD
	s_and_saveexec_b32 s15, s0
	s_cbranch_execz .LBB194_557
; %bb.552:                              ;   in Loop: Header=BB194_414 Depth=1
	v_mov_b32_e32 v17, 0x7f800001
	v_and_b32_e32 v13, 0x7f, v67
	v_mov_b32_e32 v18, 0
	s_mov_b32 s16, exec_lo
	v_cmpx_ne_u32_e32 0x7f, v13
	s_cbranch_execz .LBB194_556
; %bb.553:                              ;   in Loop: Header=BB194_414 Depth=1
	v_and_b32_e32 v5, 7, v67
	v_lshrrev_b32_e32 v11, 3, v13
	s_mov_b32 s17, exec_lo
	v_cmpx_gt_u32_e32 8, v13
; %bb.554:                              ;   in Loop: Header=BB194_414 Depth=1
	v_ffbh_u32_e32 v11, v5
	v_min_u32_e32 v11, 32, v11
	v_subrev_nc_u32_e32 v13, 28, v11
	v_sub_nc_u32_e32 v11, 29, v11
	v_lshlrev_b64 v[17:18], v13, v[5:6]
	v_and_b32_e32 v5, 7, v17
; %bb.555:                              ;   in Loop: Header=BB194_414 Depth=1
	s_or_b32 exec_lo, exec_lo, s17
	v_lshlrev_b32_e32 v13, 24, v67
	v_lshlrev_b32_e32 v5, 20, v5
	v_lshl_add_u32 v11, v11, 23, 0x3c000000
	v_and_b32_e32 v13, 0x80000000, v13
	v_or3_b32 v5, v5, v13, v11
	v_mov_b32_e32 v18, v6
	v_mov_b32_e32 v17, v5
.LBB194_556:                            ;   in Loop: Header=BB194_414 Depth=1
	s_or_b32 exec_lo, exec_lo, s16
.LBB194_557:                            ;   in Loop: Header=BB194_414 Depth=1
	s_or_b32 exec_lo, exec_lo, s15
.LBB194_558:                            ;   in Loop: Header=BB194_414 Depth=1
	s_or_b32 exec_lo, exec_lo, s14
	v_cmp_ne_u16_sdwa s0, v67, v6 src0_sel:BYTE_1 src1_sel:DWORD
	s_and_saveexec_b32 s14, s0
	s_cbranch_execz .LBB194_566
; %bb.559:                              ;   in Loop: Header=BB194_414 Depth=1
	v_mov_b32_e32 v11, v6
	v_mov_b32_e32 v20, v12
	v_cmp_ne_u16_sdwa s0, v67, v42 src0_sel:BYTE_1 src1_sel:DWORD
	v_mov_b32_e32 v19, v11
	s_and_saveexec_b32 s15, s0
	s_cbranch_execz .LBB194_565
; %bb.560:                              ;   in Loop: Header=BB194_414 Depth=1
	v_and_b32_sdwa v5, v43, v67 dst_sel:DWORD dst_unused:UNUSED_PAD src0_sel:DWORD src1_sel:BYTE_1
	v_mov_b32_e32 v13, v6
	v_mov_b32_e32 v20, v14
	s_mov_b32 s16, exec_lo
	v_and_b32_e32 v21, 0x7f, v5
	v_mov_b32_e32 v19, v13
	v_cmpx_ne_u32_e32 0x7f, v21
	s_cbranch_execz .LBB194_564
; %bb.561:                              ;   in Loop: Header=BB194_414 Depth=1
	v_and_b32_e32 v5, 7, v5
	v_lshrrev_b32_e32 v11, 3, v21
	s_mov_b32 s17, exec_lo
	v_cmpx_gt_u32_e32 8, v21
; %bb.562:                              ;   in Loop: Header=BB194_414 Depth=1
	v_ffbh_u32_e32 v11, v5
	v_min_u32_e32 v11, 32, v11
	v_subrev_nc_u32_e32 v13, 28, v11
	v_sub_nc_u32_e32 v11, 29, v11
	v_lshlrev_b64 v[19:20], v13, v[5:6]
	v_and_b32_e32 v5, 7, v19
; %bb.563:                              ;   in Loop: Header=BB194_414 Depth=1
	s_or_b32 exec_lo, exec_lo, s17
	v_lshlrev_b32_e32 v13, 16, v67
	v_lshlrev_b32_e32 v5, 20, v5
	v_lshl_add_u32 v11, v11, 23, 0x3c000000
	v_mov_b32_e32 v19, v6
	v_and_b32_e32 v13, 0x80000000, v13
	v_or3_b32 v20, v5, v13, v11
.LBB194_564:                            ;   in Loop: Header=BB194_414 Depth=1
	s_or_b32 exec_lo, exec_lo, s16
.LBB194_565:                            ;   in Loop: Header=BB194_414 Depth=1
	s_or_b32 exec_lo, exec_lo, s15
.LBB194_566:                            ;   in Loop: Header=BB194_414 Depth=1
	s_or_b32 exec_lo, exec_lo, s14
	v_mov_b32_e32 v23, 0
	v_mov_b32_e32 v21, 0
	v_and_b32_sdwa v5, v67, v44 dst_sel:DWORD dst_unused:UNUSED_PAD src0_sel:WORD_1 src1_sel:DWORD
	v_mov_b32_e32 v24, 0
	v_mov_b32_e32 v22, 0
	s_mov_b32 s14, exec_lo
	v_cmpx_ne_u16_e32 0, v5
	s_cbranch_execz .LBB194_574
; %bb.567:                              ;   in Loop: Header=BB194_414 Depth=1
	v_bfrev_b32_e32 v21, 1
	v_mov_b32_e32 v22, 0
	s_mov_b32 s15, exec_lo
	v_cmpx_ne_u16_e32 0x80, v5
	s_cbranch_execz .LBB194_573
; %bb.568:                              ;   in Loop: Header=BB194_414 Depth=1
	v_mov_b32_e32 v21, 0x7f800001
	v_bfe_u32 v13, v67, 16, 7
	v_mov_b32_e32 v22, 0
	s_mov_b32 s16, exec_lo
	v_cmpx_ne_u32_e32 0x7f, v13
	s_cbranch_execz .LBB194_572
; %bb.569:                              ;   in Loop: Header=BB194_414 Depth=1
	v_and_b32_sdwa v5, v67, v45 dst_sel:DWORD dst_unused:UNUSED_PAD src0_sel:WORD_1 src1_sel:DWORD
	v_lshrrev_b32_e32 v11, 3, v13
	s_mov_b32 s17, exec_lo
	v_cmpx_gt_u32_e32 8, v13
; %bb.570:                              ;   in Loop: Header=BB194_414 Depth=1
	v_ffbh_u32_e32 v11, v5
	v_min_u32_e32 v11, 32, v11
	v_subrev_nc_u32_e32 v13, 28, v11
	v_sub_nc_u32_e32 v11, 29, v11
	v_lshlrev_b64 v[21:22], v13, v[5:6]
	v_and_b32_e32 v5, 7, v21
; %bb.571:                              ;   in Loop: Header=BB194_414 Depth=1
	s_or_b32 exec_lo, exec_lo, s17
	v_lshlrev_b32_sdwa v13, v46, v67 dst_sel:DWORD dst_unused:UNUSED_PAD src0_sel:DWORD src1_sel:WORD_1
	v_lshlrev_b32_e32 v5, 20, v5
	v_lshl_add_u32 v11, v11, 23, 0x3c000000
	v_and_b32_e32 v13, 0x80000000, v13
	v_or3_b32 v5, v5, v13, v11
	v_mov_b32_e32 v22, v6
	v_mov_b32_e32 v21, v5
.LBB194_572:                            ;   in Loop: Header=BB194_414 Depth=1
	s_or_b32 exec_lo, exec_lo, s16
.LBB194_573:                            ;   in Loop: Header=BB194_414 Depth=1
	s_or_b32 exec_lo, exec_lo, s15
.LBB194_574:                            ;   in Loop: Header=BB194_414 Depth=1
	s_or_b32 exec_lo, exec_lo, s14
	s_mov_b32 s14, exec_lo
	v_cmpx_lt_u32_e32 0xffffff, v67
	s_cbranch_execz .LBB194_582
; %bb.575:                              ;   in Loop: Header=BB194_414 Depth=1
	v_mov_b32_e32 v11, v6
	v_mov_b32_e32 v24, v12
	v_cmp_ne_u32_sdwa s0, v67, v42 src0_sel:BYTE_3 src1_sel:DWORD
	v_mov_b32_e32 v23, v11
	s_and_saveexec_b32 s15, s0
	s_cbranch_execz .LBB194_581
; %bb.576:                              ;   in Loop: Header=BB194_414 Depth=1
	v_mov_b32_e32 v13, v6
	v_mov_b32_e32 v24, v14
	v_bfe_u32 v68, v67, 24, 7
	s_mov_b32 s16, exec_lo
	v_mov_b32_e32 v23, v13
	v_cmpx_ne_u32_e32 0x7f, v68
	s_cbranch_execz .LBB194_580
; %bb.577:                              ;   in Loop: Header=BB194_414 Depth=1
	v_and_b32_sdwa v5, v67, v45 dst_sel:DWORD dst_unused:UNUSED_PAD src0_sel:BYTE_3 src1_sel:DWORD
	v_lshrrev_b32_e32 v11, 3, v68
	s_mov_b32 s17, exec_lo
	v_cmpx_gt_u32_e32 8, v68
; %bb.578:                              ;   in Loop: Header=BB194_414 Depth=1
	v_ffbh_u32_e32 v11, v5
	v_min_u32_e32 v11, 32, v11
	v_subrev_nc_u32_e32 v13, 28, v11
	v_sub_nc_u32_e32 v11, 29, v11
	v_lshlrev_b64 v[23:24], v13, v[5:6]
	v_and_b32_e32 v5, 7, v23
; %bb.579:                              ;   in Loop: Header=BB194_414 Depth=1
	s_or_b32 exec_lo, exec_lo, s17
	v_lshlrev_b32_sdwa v13, v46, v67 dst_sel:DWORD dst_unused:UNUSED_PAD src0_sel:DWORD src1_sel:BYTE_3
	v_lshlrev_b32_e32 v5, 20, v5
	v_lshl_add_u32 v11, v11, 23, 0x3c000000
	v_mov_b32_e32 v23, v6
	v_and_b32_e32 v13, 0x80000000, v13
	v_or3_b32 v24, v5, v13, v11
.LBB194_580:                            ;   in Loop: Header=BB194_414 Depth=1
	s_or_b32 exec_lo, exec_lo, s16
.LBB194_581:                            ;   in Loop: Header=BB194_414 Depth=1
	s_or_b32 exec_lo, exec_lo, s15
.LBB194_582:                            ;   in Loop: Header=BB194_414 Depth=1
	s_or_b32 exec_lo, exec_lo, s14
	v_or_b32_e32 v5, v20, v18
	v_or_b32_e32 v11, v19, v17
	;; [unrolled: 1-line block ×4, first 2 shown]
	v_mul_f32_e32 v69, s13, v5
	v_mul_f32_e32 v70, s2, v11
	v_mul_f32_e32 v68, s2, v13
	v_mul_f32_e32 v67, s13, v17
	s_and_saveexec_b32 s14, vcc_lo
	s_cbranch_execz .LBB194_584
; %bb.583:                              ;   in Loop: Header=BB194_414 Depth=1
	v_cmp_gt_i32_e64 s0, s11, v52
	v_cndmask_b32_e64 v70, 0, v70, s0
	v_cmp_gt_i32_e64 s0, s11, v54
	v_cndmask_b32_e64 v69, 0, v69, s0
	;; [unrolled: 2-line block ×4, first 2 shown]
.LBB194_584:                            ;   in Loop: Header=BB194_414 Depth=1
	s_or_b32 exec_lo, exec_lo, s14
	global_load_dword v71, v[15:16], off offset:640
	v_mov_b32_e32 v19, 0
	v_mov_b32_e32 v17, 0
	;; [unrolled: 1-line block ×4, first 2 shown]
	s_waitcnt vmcnt(0)
	v_cmp_ne_u16_sdwa s0, v71, v6 src0_sel:BYTE_0 src1_sel:DWORD
	s_and_saveexec_b32 s14, s0
	s_cbranch_execz .LBB194_592
; %bb.585:                              ;   in Loop: Header=BB194_414 Depth=1
	v_bfrev_b32_e32 v17, 1
	v_mov_b32_e32 v18, 0
	v_cmp_ne_u16_sdwa s0, v71, v42 src0_sel:BYTE_0 src1_sel:DWORD
	s_and_saveexec_b32 s15, s0
	s_cbranch_execz .LBB194_591
; %bb.586:                              ;   in Loop: Header=BB194_414 Depth=1
	v_mov_b32_e32 v17, 0x7f800001
	v_and_b32_e32 v13, 0x7f, v71
	v_mov_b32_e32 v18, 0
	s_mov_b32 s16, exec_lo
	v_cmpx_ne_u32_e32 0x7f, v13
	s_cbranch_execz .LBB194_590
; %bb.587:                              ;   in Loop: Header=BB194_414 Depth=1
	v_and_b32_e32 v5, 7, v71
	v_lshrrev_b32_e32 v11, 3, v13
	s_mov_b32 s17, exec_lo
	v_cmpx_gt_u32_e32 8, v13
; %bb.588:                              ;   in Loop: Header=BB194_414 Depth=1
	v_ffbh_u32_e32 v11, v5
	v_min_u32_e32 v11, 32, v11
	v_subrev_nc_u32_e32 v13, 28, v11
	v_sub_nc_u32_e32 v11, 29, v11
	v_lshlrev_b64 v[17:18], v13, v[5:6]
	v_and_b32_e32 v5, 7, v17
; %bb.589:                              ;   in Loop: Header=BB194_414 Depth=1
	s_or_b32 exec_lo, exec_lo, s17
	v_lshlrev_b32_e32 v13, 24, v71
	v_lshlrev_b32_e32 v5, 20, v5
	v_lshl_add_u32 v11, v11, 23, 0x3c000000
	v_and_b32_e32 v13, 0x80000000, v13
	v_or3_b32 v5, v5, v13, v11
	v_mov_b32_e32 v18, v6
	v_mov_b32_e32 v17, v5
.LBB194_590:                            ;   in Loop: Header=BB194_414 Depth=1
	s_or_b32 exec_lo, exec_lo, s16
.LBB194_591:                            ;   in Loop: Header=BB194_414 Depth=1
	s_or_b32 exec_lo, exec_lo, s15
.LBB194_592:                            ;   in Loop: Header=BB194_414 Depth=1
	s_or_b32 exec_lo, exec_lo, s14
	v_cmp_ne_u16_sdwa s0, v71, v6 src0_sel:BYTE_1 src1_sel:DWORD
	s_and_saveexec_b32 s14, s0
	s_cbranch_execz .LBB194_600
; %bb.593:                              ;   in Loop: Header=BB194_414 Depth=1
	v_mov_b32_e32 v11, v6
	v_mov_b32_e32 v20, v12
	v_cmp_ne_u16_sdwa s0, v71, v42 src0_sel:BYTE_1 src1_sel:DWORD
	v_mov_b32_e32 v19, v11
	s_and_saveexec_b32 s15, s0
	s_cbranch_execz .LBB194_599
; %bb.594:                              ;   in Loop: Header=BB194_414 Depth=1
	v_and_b32_sdwa v5, v43, v71 dst_sel:DWORD dst_unused:UNUSED_PAD src0_sel:DWORD src1_sel:BYTE_1
	v_mov_b32_e32 v13, v6
	v_mov_b32_e32 v20, v14
	s_mov_b32 s16, exec_lo
	v_and_b32_e32 v21, 0x7f, v5
	v_mov_b32_e32 v19, v13
	v_cmpx_ne_u32_e32 0x7f, v21
	s_cbranch_execz .LBB194_598
; %bb.595:                              ;   in Loop: Header=BB194_414 Depth=1
	v_and_b32_e32 v5, 7, v5
	v_lshrrev_b32_e32 v11, 3, v21
	s_mov_b32 s17, exec_lo
	v_cmpx_gt_u32_e32 8, v21
; %bb.596:                              ;   in Loop: Header=BB194_414 Depth=1
	v_ffbh_u32_e32 v11, v5
	v_min_u32_e32 v11, 32, v11
	v_subrev_nc_u32_e32 v13, 28, v11
	v_sub_nc_u32_e32 v11, 29, v11
	v_lshlrev_b64 v[19:20], v13, v[5:6]
	v_and_b32_e32 v5, 7, v19
; %bb.597:                              ;   in Loop: Header=BB194_414 Depth=1
	s_or_b32 exec_lo, exec_lo, s17
	v_lshlrev_b32_e32 v13, 16, v71
	v_lshlrev_b32_e32 v5, 20, v5
	v_lshl_add_u32 v11, v11, 23, 0x3c000000
	v_mov_b32_e32 v19, v6
	v_and_b32_e32 v13, 0x80000000, v13
	v_or3_b32 v20, v5, v13, v11
.LBB194_598:                            ;   in Loop: Header=BB194_414 Depth=1
	s_or_b32 exec_lo, exec_lo, s16
.LBB194_599:                            ;   in Loop: Header=BB194_414 Depth=1
	s_or_b32 exec_lo, exec_lo, s15
.LBB194_600:                            ;   in Loop: Header=BB194_414 Depth=1
	s_or_b32 exec_lo, exec_lo, s14
	v_mov_b32_e32 v23, 0
	v_mov_b32_e32 v21, 0
	v_and_b32_sdwa v5, v71, v44 dst_sel:DWORD dst_unused:UNUSED_PAD src0_sel:WORD_1 src1_sel:DWORD
	v_mov_b32_e32 v24, 0
	v_mov_b32_e32 v22, 0
	s_mov_b32 s14, exec_lo
	v_cmpx_ne_u16_e32 0, v5
	s_cbranch_execz .LBB194_608
; %bb.601:                              ;   in Loop: Header=BB194_414 Depth=1
	v_bfrev_b32_e32 v21, 1
	v_mov_b32_e32 v22, 0
	s_mov_b32 s15, exec_lo
	v_cmpx_ne_u16_e32 0x80, v5
	s_cbranch_execz .LBB194_607
; %bb.602:                              ;   in Loop: Header=BB194_414 Depth=1
	v_mov_b32_e32 v21, 0x7f800001
	v_bfe_u32 v13, v71, 16, 7
	v_mov_b32_e32 v22, 0
	s_mov_b32 s16, exec_lo
	v_cmpx_ne_u32_e32 0x7f, v13
	s_cbranch_execz .LBB194_606
; %bb.603:                              ;   in Loop: Header=BB194_414 Depth=1
	v_and_b32_sdwa v5, v71, v45 dst_sel:DWORD dst_unused:UNUSED_PAD src0_sel:WORD_1 src1_sel:DWORD
	v_lshrrev_b32_e32 v11, 3, v13
	s_mov_b32 s17, exec_lo
	v_cmpx_gt_u32_e32 8, v13
; %bb.604:                              ;   in Loop: Header=BB194_414 Depth=1
	v_ffbh_u32_e32 v11, v5
	v_min_u32_e32 v11, 32, v11
	v_subrev_nc_u32_e32 v13, 28, v11
	v_sub_nc_u32_e32 v11, 29, v11
	v_lshlrev_b64 v[21:22], v13, v[5:6]
	v_and_b32_e32 v5, 7, v21
; %bb.605:                              ;   in Loop: Header=BB194_414 Depth=1
	s_or_b32 exec_lo, exec_lo, s17
	v_lshlrev_b32_sdwa v13, v46, v71 dst_sel:DWORD dst_unused:UNUSED_PAD src0_sel:DWORD src1_sel:WORD_1
	v_lshlrev_b32_e32 v5, 20, v5
	v_lshl_add_u32 v11, v11, 23, 0x3c000000
	v_and_b32_e32 v13, 0x80000000, v13
	v_or3_b32 v5, v5, v13, v11
	v_mov_b32_e32 v22, v6
	v_mov_b32_e32 v21, v5
.LBB194_606:                            ;   in Loop: Header=BB194_414 Depth=1
	s_or_b32 exec_lo, exec_lo, s16
.LBB194_607:                            ;   in Loop: Header=BB194_414 Depth=1
	s_or_b32 exec_lo, exec_lo, s15
.LBB194_608:                            ;   in Loop: Header=BB194_414 Depth=1
	s_or_b32 exec_lo, exec_lo, s14
	s_mov_b32 s14, exec_lo
	v_cmpx_lt_u32_e32 0xffffff, v71
	s_cbranch_execz .LBB194_616
; %bb.609:                              ;   in Loop: Header=BB194_414 Depth=1
	v_mov_b32_e32 v11, v6
	v_mov_b32_e32 v24, v12
	v_cmp_ne_u32_sdwa s0, v71, v42 src0_sel:BYTE_3 src1_sel:DWORD
	v_mov_b32_e32 v23, v11
	s_and_saveexec_b32 s15, s0
	s_cbranch_execz .LBB194_615
; %bb.610:                              ;   in Loop: Header=BB194_414 Depth=1
	v_mov_b32_e32 v13, v6
	v_mov_b32_e32 v24, v14
	v_bfe_u32 v72, v71, 24, 7
	s_mov_b32 s16, exec_lo
	v_mov_b32_e32 v23, v13
	v_cmpx_ne_u32_e32 0x7f, v72
	s_cbranch_execz .LBB194_614
; %bb.611:                              ;   in Loop: Header=BB194_414 Depth=1
	v_and_b32_sdwa v5, v71, v45 dst_sel:DWORD dst_unused:UNUSED_PAD src0_sel:BYTE_3 src1_sel:DWORD
	v_lshrrev_b32_e32 v11, 3, v72
	s_mov_b32 s17, exec_lo
	v_cmpx_gt_u32_e32 8, v72
; %bb.612:                              ;   in Loop: Header=BB194_414 Depth=1
	v_ffbh_u32_e32 v11, v5
	v_min_u32_e32 v11, 32, v11
	v_subrev_nc_u32_e32 v13, 28, v11
	v_sub_nc_u32_e32 v11, 29, v11
	v_lshlrev_b64 v[23:24], v13, v[5:6]
	v_and_b32_e32 v5, 7, v23
; %bb.613:                              ;   in Loop: Header=BB194_414 Depth=1
	s_or_b32 exec_lo, exec_lo, s17
	v_lshlrev_b32_sdwa v13, v46, v71 dst_sel:DWORD dst_unused:UNUSED_PAD src0_sel:DWORD src1_sel:BYTE_3
	v_lshlrev_b32_e32 v5, 20, v5
	v_lshl_add_u32 v11, v11, 23, 0x3c000000
	v_mov_b32_e32 v23, v6
	v_and_b32_e32 v13, 0x80000000, v13
	v_or3_b32 v24, v5, v13, v11
.LBB194_614:                            ;   in Loop: Header=BB194_414 Depth=1
	s_or_b32 exec_lo, exec_lo, s16
.LBB194_615:                            ;   in Loop: Header=BB194_414 Depth=1
	s_or_b32 exec_lo, exec_lo, s15
.LBB194_616:                            ;   in Loop: Header=BB194_414 Depth=1
	s_or_b32 exec_lo, exec_lo, s14
	v_or_b32_e32 v5, v20, v18
	v_or_b32_e32 v11, v19, v17
	;; [unrolled: 1-line block ×4, first 2 shown]
	v_mul_f32_e32 v73, s13, v5
	v_mul_f32_e32 v74, s2, v11
	;; [unrolled: 1-line block ×4, first 2 shown]
	s_and_saveexec_b32 s14, vcc_lo
	s_cbranch_execz .LBB194_618
; %bb.617:                              ;   in Loop: Header=BB194_414 Depth=1
	v_cmp_gt_i32_e64 s0, s11, v52
	v_cndmask_b32_e64 v74, 0, v74, s0
	v_cmp_gt_i32_e64 s0, s11, v54
	v_cndmask_b32_e64 v73, 0, v73, s0
	;; [unrolled: 2-line block ×4, first 2 shown]
.LBB194_618:                            ;   in Loop: Header=BB194_414 Depth=1
	s_or_b32 exec_lo, exec_lo, s14
	global_load_dword v75, v[15:16], off offset:768
	v_mov_b32_e32 v19, 0
	v_mov_b32_e32 v17, 0
	;; [unrolled: 1-line block ×4, first 2 shown]
	s_waitcnt vmcnt(0)
	v_cmp_ne_u16_sdwa s0, v75, v6 src0_sel:BYTE_0 src1_sel:DWORD
	s_and_saveexec_b32 s14, s0
	s_cbranch_execz .LBB194_626
; %bb.619:                              ;   in Loop: Header=BB194_414 Depth=1
	v_bfrev_b32_e32 v17, 1
	v_mov_b32_e32 v18, 0
	v_cmp_ne_u16_sdwa s0, v75, v42 src0_sel:BYTE_0 src1_sel:DWORD
	s_and_saveexec_b32 s15, s0
	s_cbranch_execz .LBB194_625
; %bb.620:                              ;   in Loop: Header=BB194_414 Depth=1
	v_mov_b32_e32 v17, 0x7f800001
	v_and_b32_e32 v13, 0x7f, v75
	v_mov_b32_e32 v18, 0
	s_mov_b32 s16, exec_lo
	v_cmpx_ne_u32_e32 0x7f, v13
	s_cbranch_execz .LBB194_624
; %bb.621:                              ;   in Loop: Header=BB194_414 Depth=1
	v_and_b32_e32 v5, 7, v75
	v_lshrrev_b32_e32 v11, 3, v13
	s_mov_b32 s17, exec_lo
	v_cmpx_gt_u32_e32 8, v13
; %bb.622:                              ;   in Loop: Header=BB194_414 Depth=1
	v_ffbh_u32_e32 v11, v5
	v_min_u32_e32 v11, 32, v11
	v_subrev_nc_u32_e32 v13, 28, v11
	v_sub_nc_u32_e32 v11, 29, v11
	v_lshlrev_b64 v[17:18], v13, v[5:6]
	v_and_b32_e32 v5, 7, v17
; %bb.623:                              ;   in Loop: Header=BB194_414 Depth=1
	s_or_b32 exec_lo, exec_lo, s17
	v_lshlrev_b32_e32 v13, 24, v75
	v_lshlrev_b32_e32 v5, 20, v5
	v_lshl_add_u32 v11, v11, 23, 0x3c000000
	v_and_b32_e32 v13, 0x80000000, v13
	v_or3_b32 v5, v5, v13, v11
	v_mov_b32_e32 v18, v6
	v_mov_b32_e32 v17, v5
.LBB194_624:                            ;   in Loop: Header=BB194_414 Depth=1
	s_or_b32 exec_lo, exec_lo, s16
.LBB194_625:                            ;   in Loop: Header=BB194_414 Depth=1
	s_or_b32 exec_lo, exec_lo, s15
.LBB194_626:                            ;   in Loop: Header=BB194_414 Depth=1
	s_or_b32 exec_lo, exec_lo, s14
	v_cmp_ne_u16_sdwa s0, v75, v6 src0_sel:BYTE_1 src1_sel:DWORD
	s_and_saveexec_b32 s14, s0
	s_cbranch_execz .LBB194_634
; %bb.627:                              ;   in Loop: Header=BB194_414 Depth=1
	v_mov_b32_e32 v11, v6
	v_mov_b32_e32 v20, v12
	v_cmp_ne_u16_sdwa s0, v75, v42 src0_sel:BYTE_1 src1_sel:DWORD
	v_mov_b32_e32 v19, v11
	s_and_saveexec_b32 s15, s0
	s_cbranch_execz .LBB194_633
; %bb.628:                              ;   in Loop: Header=BB194_414 Depth=1
	v_and_b32_sdwa v5, v43, v75 dst_sel:DWORD dst_unused:UNUSED_PAD src0_sel:DWORD src1_sel:BYTE_1
	v_mov_b32_e32 v13, v6
	v_mov_b32_e32 v20, v14
	s_mov_b32 s16, exec_lo
	v_and_b32_e32 v21, 0x7f, v5
	v_mov_b32_e32 v19, v13
	v_cmpx_ne_u32_e32 0x7f, v21
	s_cbranch_execz .LBB194_632
; %bb.629:                              ;   in Loop: Header=BB194_414 Depth=1
	v_and_b32_e32 v5, 7, v5
	v_lshrrev_b32_e32 v11, 3, v21
	s_mov_b32 s17, exec_lo
	v_cmpx_gt_u32_e32 8, v21
; %bb.630:                              ;   in Loop: Header=BB194_414 Depth=1
	v_ffbh_u32_e32 v11, v5
	v_min_u32_e32 v11, 32, v11
	v_subrev_nc_u32_e32 v13, 28, v11
	v_sub_nc_u32_e32 v11, 29, v11
	v_lshlrev_b64 v[19:20], v13, v[5:6]
	v_and_b32_e32 v5, 7, v19
; %bb.631:                              ;   in Loop: Header=BB194_414 Depth=1
	s_or_b32 exec_lo, exec_lo, s17
	v_lshlrev_b32_e32 v13, 16, v75
	v_lshlrev_b32_e32 v5, 20, v5
	v_lshl_add_u32 v11, v11, 23, 0x3c000000
	v_mov_b32_e32 v19, v6
	v_and_b32_e32 v13, 0x80000000, v13
	v_or3_b32 v20, v5, v13, v11
.LBB194_632:                            ;   in Loop: Header=BB194_414 Depth=1
	s_or_b32 exec_lo, exec_lo, s16
.LBB194_633:                            ;   in Loop: Header=BB194_414 Depth=1
	s_or_b32 exec_lo, exec_lo, s15
.LBB194_634:                            ;   in Loop: Header=BB194_414 Depth=1
	s_or_b32 exec_lo, exec_lo, s14
	v_mov_b32_e32 v23, 0
	v_mov_b32_e32 v21, 0
	v_and_b32_sdwa v5, v75, v44 dst_sel:DWORD dst_unused:UNUSED_PAD src0_sel:WORD_1 src1_sel:DWORD
	v_mov_b32_e32 v24, 0
	v_mov_b32_e32 v22, 0
	s_mov_b32 s14, exec_lo
	v_cmpx_ne_u16_e32 0, v5
	s_cbranch_execz .LBB194_642
; %bb.635:                              ;   in Loop: Header=BB194_414 Depth=1
	v_bfrev_b32_e32 v21, 1
	v_mov_b32_e32 v22, 0
	s_mov_b32 s15, exec_lo
	v_cmpx_ne_u16_e32 0x80, v5
	s_cbranch_execz .LBB194_641
; %bb.636:                              ;   in Loop: Header=BB194_414 Depth=1
	v_mov_b32_e32 v21, 0x7f800001
	v_bfe_u32 v13, v75, 16, 7
	v_mov_b32_e32 v22, 0
	s_mov_b32 s16, exec_lo
	v_cmpx_ne_u32_e32 0x7f, v13
	s_cbranch_execz .LBB194_640
; %bb.637:                              ;   in Loop: Header=BB194_414 Depth=1
	v_and_b32_sdwa v5, v75, v45 dst_sel:DWORD dst_unused:UNUSED_PAD src0_sel:WORD_1 src1_sel:DWORD
	v_lshrrev_b32_e32 v11, 3, v13
	s_mov_b32 s17, exec_lo
	v_cmpx_gt_u32_e32 8, v13
; %bb.638:                              ;   in Loop: Header=BB194_414 Depth=1
	v_ffbh_u32_e32 v11, v5
	v_min_u32_e32 v11, 32, v11
	v_subrev_nc_u32_e32 v13, 28, v11
	v_sub_nc_u32_e32 v11, 29, v11
	v_lshlrev_b64 v[21:22], v13, v[5:6]
	v_and_b32_e32 v5, 7, v21
; %bb.639:                              ;   in Loop: Header=BB194_414 Depth=1
	s_or_b32 exec_lo, exec_lo, s17
	v_lshlrev_b32_sdwa v13, v46, v75 dst_sel:DWORD dst_unused:UNUSED_PAD src0_sel:DWORD src1_sel:WORD_1
	v_lshlrev_b32_e32 v5, 20, v5
	v_lshl_add_u32 v11, v11, 23, 0x3c000000
	v_and_b32_e32 v13, 0x80000000, v13
	v_or3_b32 v5, v5, v13, v11
	v_mov_b32_e32 v22, v6
	v_mov_b32_e32 v21, v5
.LBB194_640:                            ;   in Loop: Header=BB194_414 Depth=1
	s_or_b32 exec_lo, exec_lo, s16
.LBB194_641:                            ;   in Loop: Header=BB194_414 Depth=1
	s_or_b32 exec_lo, exec_lo, s15
.LBB194_642:                            ;   in Loop: Header=BB194_414 Depth=1
	s_or_b32 exec_lo, exec_lo, s14
	s_mov_b32 s14, exec_lo
	v_cmpx_lt_u32_e32 0xffffff, v75
	s_cbranch_execz .LBB194_650
; %bb.643:                              ;   in Loop: Header=BB194_414 Depth=1
	v_mov_b32_e32 v11, v6
	v_mov_b32_e32 v24, v12
	v_cmp_ne_u32_sdwa s0, v75, v42 src0_sel:BYTE_3 src1_sel:DWORD
	v_mov_b32_e32 v23, v11
	s_and_saveexec_b32 s15, s0
	s_cbranch_execz .LBB194_649
; %bb.644:                              ;   in Loop: Header=BB194_414 Depth=1
	v_mov_b32_e32 v13, v6
	v_mov_b32_e32 v24, v14
	v_bfe_u32 v76, v75, 24, 7
	s_mov_b32 s16, exec_lo
	v_mov_b32_e32 v23, v13
	v_cmpx_ne_u32_e32 0x7f, v76
	s_cbranch_execz .LBB194_648
; %bb.645:                              ;   in Loop: Header=BB194_414 Depth=1
	v_and_b32_sdwa v5, v75, v45 dst_sel:DWORD dst_unused:UNUSED_PAD src0_sel:BYTE_3 src1_sel:DWORD
	v_lshrrev_b32_e32 v11, 3, v76
	s_mov_b32 s17, exec_lo
	v_cmpx_gt_u32_e32 8, v76
; %bb.646:                              ;   in Loop: Header=BB194_414 Depth=1
	v_ffbh_u32_e32 v11, v5
	v_min_u32_e32 v11, 32, v11
	v_subrev_nc_u32_e32 v13, 28, v11
	v_sub_nc_u32_e32 v11, 29, v11
	v_lshlrev_b64 v[23:24], v13, v[5:6]
	v_and_b32_e32 v5, 7, v23
; %bb.647:                              ;   in Loop: Header=BB194_414 Depth=1
	s_or_b32 exec_lo, exec_lo, s17
	v_lshlrev_b32_sdwa v13, v46, v75 dst_sel:DWORD dst_unused:UNUSED_PAD src0_sel:DWORD src1_sel:BYTE_3
	v_lshlrev_b32_e32 v5, 20, v5
	v_lshl_add_u32 v11, v11, 23, 0x3c000000
	v_mov_b32_e32 v23, v6
	v_and_b32_e32 v13, 0x80000000, v13
	v_or3_b32 v24, v5, v13, v11
.LBB194_648:                            ;   in Loop: Header=BB194_414 Depth=1
	s_or_b32 exec_lo, exec_lo, s16
.LBB194_649:                            ;   in Loop: Header=BB194_414 Depth=1
	s_or_b32 exec_lo, exec_lo, s15
.LBB194_650:                            ;   in Loop: Header=BB194_414 Depth=1
	s_or_b32 exec_lo, exec_lo, s14
	v_or_b32_e32 v5, v20, v18
	v_or_b32_e32 v11, v19, v17
	;; [unrolled: 1-line block ×4, first 2 shown]
	v_mul_f32_e32 v77, s13, v5
	v_mul_f32_e32 v78, s2, v11
	;; [unrolled: 1-line block ×4, first 2 shown]
	s_and_saveexec_b32 s14, vcc_lo
	s_cbranch_execz .LBB194_652
; %bb.651:                              ;   in Loop: Header=BB194_414 Depth=1
	v_cmp_gt_i32_e64 s0, s11, v52
	v_cndmask_b32_e64 v78, 0, v78, s0
	v_cmp_gt_i32_e64 s0, s11, v54
	v_cndmask_b32_e64 v77, 0, v77, s0
	;; [unrolled: 2-line block ×4, first 2 shown]
.LBB194_652:                            ;   in Loop: Header=BB194_414 Depth=1
	s_or_b32 exec_lo, exec_lo, s14
	global_load_dword v79, v[15:16], off offset:896
	v_mov_b32_e32 v19, 0
	v_mov_b32_e32 v17, 0
	;; [unrolled: 1-line block ×4, first 2 shown]
	s_waitcnt vmcnt(0)
	v_cmp_ne_u16_sdwa s0, v79, v6 src0_sel:BYTE_0 src1_sel:DWORD
	s_and_saveexec_b32 s14, s0
	s_cbranch_execz .LBB194_660
; %bb.653:                              ;   in Loop: Header=BB194_414 Depth=1
	v_bfrev_b32_e32 v17, 1
	v_mov_b32_e32 v18, 0
	v_cmp_ne_u16_sdwa s0, v79, v42 src0_sel:BYTE_0 src1_sel:DWORD
	s_and_saveexec_b32 s15, s0
	s_cbranch_execz .LBB194_659
; %bb.654:                              ;   in Loop: Header=BB194_414 Depth=1
	v_mov_b32_e32 v17, 0x7f800001
	v_and_b32_e32 v13, 0x7f, v79
	v_mov_b32_e32 v18, 0
	s_mov_b32 s16, exec_lo
	v_cmpx_ne_u32_e32 0x7f, v13
	s_cbranch_execz .LBB194_658
; %bb.655:                              ;   in Loop: Header=BB194_414 Depth=1
	v_and_b32_e32 v5, 7, v79
	v_lshrrev_b32_e32 v11, 3, v13
	s_mov_b32 s17, exec_lo
	v_cmpx_gt_u32_e32 8, v13
; %bb.656:                              ;   in Loop: Header=BB194_414 Depth=1
	v_ffbh_u32_e32 v11, v5
	v_min_u32_e32 v11, 32, v11
	v_subrev_nc_u32_e32 v13, 28, v11
	v_sub_nc_u32_e32 v11, 29, v11
	v_lshlrev_b64 v[17:18], v13, v[5:6]
	v_and_b32_e32 v5, 7, v17
; %bb.657:                              ;   in Loop: Header=BB194_414 Depth=1
	s_or_b32 exec_lo, exec_lo, s17
	v_lshlrev_b32_e32 v13, 24, v79
	v_lshlrev_b32_e32 v5, 20, v5
	v_lshl_add_u32 v11, v11, 23, 0x3c000000
	v_and_b32_e32 v13, 0x80000000, v13
	v_or3_b32 v5, v5, v13, v11
	v_mov_b32_e32 v18, v6
	v_mov_b32_e32 v17, v5
.LBB194_658:                            ;   in Loop: Header=BB194_414 Depth=1
	s_or_b32 exec_lo, exec_lo, s16
.LBB194_659:                            ;   in Loop: Header=BB194_414 Depth=1
	s_or_b32 exec_lo, exec_lo, s15
.LBB194_660:                            ;   in Loop: Header=BB194_414 Depth=1
	s_or_b32 exec_lo, exec_lo, s14
	v_cmp_ne_u16_sdwa s0, v79, v6 src0_sel:BYTE_1 src1_sel:DWORD
	s_and_saveexec_b32 s14, s0
	s_cbranch_execz .LBB194_668
; %bb.661:                              ;   in Loop: Header=BB194_414 Depth=1
	v_mov_b32_e32 v11, v6
	v_mov_b32_e32 v20, v12
	v_cmp_ne_u16_sdwa s0, v79, v42 src0_sel:BYTE_1 src1_sel:DWORD
	v_mov_b32_e32 v19, v11
	s_and_saveexec_b32 s15, s0
	s_cbranch_execz .LBB194_667
; %bb.662:                              ;   in Loop: Header=BB194_414 Depth=1
	v_and_b32_sdwa v5, v43, v79 dst_sel:DWORD dst_unused:UNUSED_PAD src0_sel:DWORD src1_sel:BYTE_1
	v_mov_b32_e32 v13, v6
	v_mov_b32_e32 v20, v14
	s_mov_b32 s16, exec_lo
	v_and_b32_e32 v21, 0x7f, v5
	v_mov_b32_e32 v19, v13
	v_cmpx_ne_u32_e32 0x7f, v21
	s_cbranch_execz .LBB194_666
; %bb.663:                              ;   in Loop: Header=BB194_414 Depth=1
	v_and_b32_e32 v5, 7, v5
	v_lshrrev_b32_e32 v11, 3, v21
	s_mov_b32 s17, exec_lo
	v_cmpx_gt_u32_e32 8, v21
; %bb.664:                              ;   in Loop: Header=BB194_414 Depth=1
	v_ffbh_u32_e32 v11, v5
	v_min_u32_e32 v11, 32, v11
	v_subrev_nc_u32_e32 v13, 28, v11
	v_sub_nc_u32_e32 v11, 29, v11
	v_lshlrev_b64 v[19:20], v13, v[5:6]
	v_and_b32_e32 v5, 7, v19
; %bb.665:                              ;   in Loop: Header=BB194_414 Depth=1
	s_or_b32 exec_lo, exec_lo, s17
	v_lshlrev_b32_e32 v13, 16, v79
	v_lshlrev_b32_e32 v5, 20, v5
	v_lshl_add_u32 v11, v11, 23, 0x3c000000
	v_mov_b32_e32 v19, v6
	v_and_b32_e32 v13, 0x80000000, v13
	v_or3_b32 v20, v5, v13, v11
.LBB194_666:                            ;   in Loop: Header=BB194_414 Depth=1
	s_or_b32 exec_lo, exec_lo, s16
.LBB194_667:                            ;   in Loop: Header=BB194_414 Depth=1
	s_or_b32 exec_lo, exec_lo, s15
.LBB194_668:                            ;   in Loop: Header=BB194_414 Depth=1
	s_or_b32 exec_lo, exec_lo, s14
	v_mov_b32_e32 v23, 0
	v_mov_b32_e32 v21, 0
	v_and_b32_sdwa v5, v79, v44 dst_sel:DWORD dst_unused:UNUSED_PAD src0_sel:WORD_1 src1_sel:DWORD
	v_mov_b32_e32 v24, 0
	v_mov_b32_e32 v22, 0
	s_mov_b32 s14, exec_lo
	v_cmpx_ne_u16_e32 0, v5
	s_cbranch_execz .LBB194_676
; %bb.669:                              ;   in Loop: Header=BB194_414 Depth=1
	v_bfrev_b32_e32 v21, 1
	v_mov_b32_e32 v22, 0
	s_mov_b32 s15, exec_lo
	v_cmpx_ne_u16_e32 0x80, v5
	s_cbranch_execz .LBB194_675
; %bb.670:                              ;   in Loop: Header=BB194_414 Depth=1
	v_mov_b32_e32 v21, 0x7f800001
	v_bfe_u32 v13, v79, 16, 7
	v_mov_b32_e32 v22, 0
	s_mov_b32 s16, exec_lo
	v_cmpx_ne_u32_e32 0x7f, v13
	s_cbranch_execz .LBB194_674
; %bb.671:                              ;   in Loop: Header=BB194_414 Depth=1
	v_and_b32_sdwa v5, v79, v45 dst_sel:DWORD dst_unused:UNUSED_PAD src0_sel:WORD_1 src1_sel:DWORD
	v_lshrrev_b32_e32 v11, 3, v13
	s_mov_b32 s17, exec_lo
	v_cmpx_gt_u32_e32 8, v13
; %bb.672:                              ;   in Loop: Header=BB194_414 Depth=1
	v_ffbh_u32_e32 v11, v5
	v_min_u32_e32 v11, 32, v11
	v_subrev_nc_u32_e32 v13, 28, v11
	v_sub_nc_u32_e32 v11, 29, v11
	v_lshlrev_b64 v[21:22], v13, v[5:6]
	v_and_b32_e32 v5, 7, v21
; %bb.673:                              ;   in Loop: Header=BB194_414 Depth=1
	s_or_b32 exec_lo, exec_lo, s17
	v_lshlrev_b32_sdwa v13, v46, v79 dst_sel:DWORD dst_unused:UNUSED_PAD src0_sel:DWORD src1_sel:WORD_1
	v_lshlrev_b32_e32 v5, 20, v5
	v_lshl_add_u32 v11, v11, 23, 0x3c000000
	v_and_b32_e32 v13, 0x80000000, v13
	v_or3_b32 v5, v5, v13, v11
	v_mov_b32_e32 v22, v6
	v_mov_b32_e32 v21, v5
.LBB194_674:                            ;   in Loop: Header=BB194_414 Depth=1
	s_or_b32 exec_lo, exec_lo, s16
.LBB194_675:                            ;   in Loop: Header=BB194_414 Depth=1
	s_or_b32 exec_lo, exec_lo, s15
.LBB194_676:                            ;   in Loop: Header=BB194_414 Depth=1
	s_or_b32 exec_lo, exec_lo, s14
	s_mov_b32 s14, exec_lo
	v_cmpx_lt_u32_e32 0xffffff, v79
	s_cbranch_execz .LBB194_684
; %bb.677:                              ;   in Loop: Header=BB194_414 Depth=1
	v_mov_b32_e32 v11, v6
	v_mov_b32_e32 v24, v12
	v_cmp_ne_u32_sdwa s0, v79, v42 src0_sel:BYTE_3 src1_sel:DWORD
	v_mov_b32_e32 v23, v11
	s_and_saveexec_b32 s15, s0
	s_cbranch_execz .LBB194_683
; %bb.678:                              ;   in Loop: Header=BB194_414 Depth=1
	v_mov_b32_e32 v13, v6
	v_mov_b32_e32 v24, v14
	v_bfe_u32 v80, v79, 24, 7
	s_mov_b32 s16, exec_lo
	v_mov_b32_e32 v23, v13
	v_cmpx_ne_u32_e32 0x7f, v80
	s_cbranch_execz .LBB194_682
; %bb.679:                              ;   in Loop: Header=BB194_414 Depth=1
	v_and_b32_sdwa v5, v79, v45 dst_sel:DWORD dst_unused:UNUSED_PAD src0_sel:BYTE_3 src1_sel:DWORD
	v_lshrrev_b32_e32 v11, 3, v80
	s_mov_b32 s17, exec_lo
	v_cmpx_gt_u32_e32 8, v80
; %bb.680:                              ;   in Loop: Header=BB194_414 Depth=1
	v_ffbh_u32_e32 v11, v5
	v_min_u32_e32 v11, 32, v11
	v_subrev_nc_u32_e32 v13, 28, v11
	v_sub_nc_u32_e32 v11, 29, v11
	v_lshlrev_b64 v[23:24], v13, v[5:6]
	v_and_b32_e32 v5, 7, v23
; %bb.681:                              ;   in Loop: Header=BB194_414 Depth=1
	s_or_b32 exec_lo, exec_lo, s17
	v_lshlrev_b32_sdwa v13, v46, v79 dst_sel:DWORD dst_unused:UNUSED_PAD src0_sel:DWORD src1_sel:BYTE_3
	v_lshlrev_b32_e32 v5, 20, v5
	v_lshl_add_u32 v11, v11, 23, 0x3c000000
	v_mov_b32_e32 v23, v6
	v_and_b32_e32 v13, 0x80000000, v13
	v_or3_b32 v24, v5, v13, v11
.LBB194_682:                            ;   in Loop: Header=BB194_414 Depth=1
	s_or_b32 exec_lo, exec_lo, s16
.LBB194_683:                            ;   in Loop: Header=BB194_414 Depth=1
	s_or_b32 exec_lo, exec_lo, s15
.LBB194_684:                            ;   in Loop: Header=BB194_414 Depth=1
	s_or_b32 exec_lo, exec_lo, s14
	v_or_b32_e32 v5, v20, v18
	v_or_b32_e32 v11, v19, v17
	;; [unrolled: 1-line block ×4, first 2 shown]
	v_mul_f32_e32 v81, s13, v5
	v_mul_f32_e32 v82, s2, v11
	;; [unrolled: 1-line block ×4, first 2 shown]
	s_and_saveexec_b32 s14, vcc_lo
	s_cbranch_execz .LBB194_686
; %bb.685:                              ;   in Loop: Header=BB194_414 Depth=1
	v_cmp_gt_i32_e64 s0, s11, v52
	v_cndmask_b32_e64 v82, 0, v82, s0
	v_cmp_gt_i32_e64 s0, s11, v54
	v_cndmask_b32_e64 v81, 0, v81, s0
	;; [unrolled: 2-line block ×4, first 2 shown]
.LBB194_686:                            ;   in Loop: Header=BB194_414 Depth=1
	s_or_b32 exec_lo, exec_lo, s14
	global_load_dword v83, v[15:16], off offset:1024
	v_mov_b32_e32 v19, 0
	v_mov_b32_e32 v17, 0
	;; [unrolled: 1-line block ×4, first 2 shown]
	s_waitcnt vmcnt(0)
	v_cmp_ne_u16_sdwa s0, v83, v6 src0_sel:BYTE_0 src1_sel:DWORD
	s_and_saveexec_b32 s14, s0
	s_cbranch_execz .LBB194_694
; %bb.687:                              ;   in Loop: Header=BB194_414 Depth=1
	v_bfrev_b32_e32 v17, 1
	v_mov_b32_e32 v18, 0
	v_cmp_ne_u16_sdwa s0, v83, v42 src0_sel:BYTE_0 src1_sel:DWORD
	s_and_saveexec_b32 s15, s0
	s_cbranch_execz .LBB194_693
; %bb.688:                              ;   in Loop: Header=BB194_414 Depth=1
	v_mov_b32_e32 v17, 0x7f800001
	v_and_b32_e32 v13, 0x7f, v83
	v_mov_b32_e32 v18, 0
	s_mov_b32 s16, exec_lo
	v_cmpx_ne_u32_e32 0x7f, v13
	s_cbranch_execz .LBB194_692
; %bb.689:                              ;   in Loop: Header=BB194_414 Depth=1
	v_and_b32_e32 v5, 7, v83
	v_lshrrev_b32_e32 v11, 3, v13
	s_mov_b32 s17, exec_lo
	v_cmpx_gt_u32_e32 8, v13
; %bb.690:                              ;   in Loop: Header=BB194_414 Depth=1
	v_ffbh_u32_e32 v11, v5
	v_min_u32_e32 v11, 32, v11
	v_subrev_nc_u32_e32 v13, 28, v11
	v_sub_nc_u32_e32 v11, 29, v11
	v_lshlrev_b64 v[17:18], v13, v[5:6]
	v_and_b32_e32 v5, 7, v17
; %bb.691:                              ;   in Loop: Header=BB194_414 Depth=1
	s_or_b32 exec_lo, exec_lo, s17
	v_lshlrev_b32_e32 v13, 24, v83
	v_lshlrev_b32_e32 v5, 20, v5
	v_lshl_add_u32 v11, v11, 23, 0x3c000000
	v_and_b32_e32 v13, 0x80000000, v13
	v_or3_b32 v5, v5, v13, v11
	v_mov_b32_e32 v18, v6
	v_mov_b32_e32 v17, v5
.LBB194_692:                            ;   in Loop: Header=BB194_414 Depth=1
	s_or_b32 exec_lo, exec_lo, s16
.LBB194_693:                            ;   in Loop: Header=BB194_414 Depth=1
	s_or_b32 exec_lo, exec_lo, s15
.LBB194_694:                            ;   in Loop: Header=BB194_414 Depth=1
	s_or_b32 exec_lo, exec_lo, s14
	v_cmp_ne_u16_sdwa s0, v83, v6 src0_sel:BYTE_1 src1_sel:DWORD
	s_and_saveexec_b32 s14, s0
	s_cbranch_execz .LBB194_702
; %bb.695:                              ;   in Loop: Header=BB194_414 Depth=1
	v_mov_b32_e32 v11, v6
	v_mov_b32_e32 v20, v12
	v_cmp_ne_u16_sdwa s0, v83, v42 src0_sel:BYTE_1 src1_sel:DWORD
	v_mov_b32_e32 v19, v11
	s_and_saveexec_b32 s15, s0
	s_cbranch_execz .LBB194_701
; %bb.696:                              ;   in Loop: Header=BB194_414 Depth=1
	v_and_b32_sdwa v5, v43, v83 dst_sel:DWORD dst_unused:UNUSED_PAD src0_sel:DWORD src1_sel:BYTE_1
	v_mov_b32_e32 v13, v6
	v_mov_b32_e32 v20, v14
	s_mov_b32 s16, exec_lo
	v_and_b32_e32 v21, 0x7f, v5
	v_mov_b32_e32 v19, v13
	v_cmpx_ne_u32_e32 0x7f, v21
	s_cbranch_execz .LBB194_700
; %bb.697:                              ;   in Loop: Header=BB194_414 Depth=1
	v_and_b32_e32 v5, 7, v5
	v_lshrrev_b32_e32 v11, 3, v21
	s_mov_b32 s17, exec_lo
	v_cmpx_gt_u32_e32 8, v21
; %bb.698:                              ;   in Loop: Header=BB194_414 Depth=1
	v_ffbh_u32_e32 v11, v5
	v_min_u32_e32 v11, 32, v11
	v_subrev_nc_u32_e32 v13, 28, v11
	v_sub_nc_u32_e32 v11, 29, v11
	v_lshlrev_b64 v[19:20], v13, v[5:6]
	v_and_b32_e32 v5, 7, v19
; %bb.699:                              ;   in Loop: Header=BB194_414 Depth=1
	s_or_b32 exec_lo, exec_lo, s17
	v_lshlrev_b32_e32 v13, 16, v83
	v_lshlrev_b32_e32 v5, 20, v5
	v_lshl_add_u32 v11, v11, 23, 0x3c000000
	v_mov_b32_e32 v19, v6
	v_and_b32_e32 v13, 0x80000000, v13
	v_or3_b32 v20, v5, v13, v11
.LBB194_700:                            ;   in Loop: Header=BB194_414 Depth=1
	s_or_b32 exec_lo, exec_lo, s16
.LBB194_701:                            ;   in Loop: Header=BB194_414 Depth=1
	s_or_b32 exec_lo, exec_lo, s15
.LBB194_702:                            ;   in Loop: Header=BB194_414 Depth=1
	s_or_b32 exec_lo, exec_lo, s14
	v_mov_b32_e32 v23, 0
	v_mov_b32_e32 v21, 0
	v_and_b32_sdwa v5, v83, v44 dst_sel:DWORD dst_unused:UNUSED_PAD src0_sel:WORD_1 src1_sel:DWORD
	v_mov_b32_e32 v24, 0
	v_mov_b32_e32 v22, 0
	s_mov_b32 s14, exec_lo
	v_cmpx_ne_u16_e32 0, v5
	s_cbranch_execz .LBB194_710
; %bb.703:                              ;   in Loop: Header=BB194_414 Depth=1
	v_bfrev_b32_e32 v21, 1
	v_mov_b32_e32 v22, 0
	s_mov_b32 s15, exec_lo
	v_cmpx_ne_u16_e32 0x80, v5
	s_cbranch_execz .LBB194_709
; %bb.704:                              ;   in Loop: Header=BB194_414 Depth=1
	v_mov_b32_e32 v21, 0x7f800001
	v_bfe_u32 v13, v83, 16, 7
	v_mov_b32_e32 v22, 0
	s_mov_b32 s16, exec_lo
	v_cmpx_ne_u32_e32 0x7f, v13
	s_cbranch_execz .LBB194_708
; %bb.705:                              ;   in Loop: Header=BB194_414 Depth=1
	v_and_b32_sdwa v5, v83, v45 dst_sel:DWORD dst_unused:UNUSED_PAD src0_sel:WORD_1 src1_sel:DWORD
	v_lshrrev_b32_e32 v11, 3, v13
	s_mov_b32 s17, exec_lo
	v_cmpx_gt_u32_e32 8, v13
; %bb.706:                              ;   in Loop: Header=BB194_414 Depth=1
	v_ffbh_u32_e32 v11, v5
	v_min_u32_e32 v11, 32, v11
	v_subrev_nc_u32_e32 v13, 28, v11
	v_sub_nc_u32_e32 v11, 29, v11
	v_lshlrev_b64 v[21:22], v13, v[5:6]
	v_and_b32_e32 v5, 7, v21
; %bb.707:                              ;   in Loop: Header=BB194_414 Depth=1
	s_or_b32 exec_lo, exec_lo, s17
	v_lshlrev_b32_sdwa v13, v46, v83 dst_sel:DWORD dst_unused:UNUSED_PAD src0_sel:DWORD src1_sel:WORD_1
	v_lshlrev_b32_e32 v5, 20, v5
	v_lshl_add_u32 v11, v11, 23, 0x3c000000
	v_and_b32_e32 v13, 0x80000000, v13
	v_or3_b32 v5, v5, v13, v11
	v_mov_b32_e32 v22, v6
	v_mov_b32_e32 v21, v5
.LBB194_708:                            ;   in Loop: Header=BB194_414 Depth=1
	s_or_b32 exec_lo, exec_lo, s16
.LBB194_709:                            ;   in Loop: Header=BB194_414 Depth=1
	s_or_b32 exec_lo, exec_lo, s15
.LBB194_710:                            ;   in Loop: Header=BB194_414 Depth=1
	s_or_b32 exec_lo, exec_lo, s14
	s_mov_b32 s14, exec_lo
	v_cmpx_lt_u32_e32 0xffffff, v83
	s_cbranch_execz .LBB194_718
; %bb.711:                              ;   in Loop: Header=BB194_414 Depth=1
	v_mov_b32_e32 v11, v6
	v_mov_b32_e32 v24, v12
	v_cmp_ne_u32_sdwa s0, v83, v42 src0_sel:BYTE_3 src1_sel:DWORD
	v_mov_b32_e32 v23, v11
	s_and_saveexec_b32 s15, s0
	s_cbranch_execz .LBB194_717
; %bb.712:                              ;   in Loop: Header=BB194_414 Depth=1
	v_mov_b32_e32 v13, v6
	v_mov_b32_e32 v24, v14
	v_bfe_u32 v84, v83, 24, 7
	s_mov_b32 s16, exec_lo
	v_mov_b32_e32 v23, v13
	v_cmpx_ne_u32_e32 0x7f, v84
	s_cbranch_execz .LBB194_716
; %bb.713:                              ;   in Loop: Header=BB194_414 Depth=1
	v_and_b32_sdwa v5, v83, v45 dst_sel:DWORD dst_unused:UNUSED_PAD src0_sel:BYTE_3 src1_sel:DWORD
	v_lshrrev_b32_e32 v11, 3, v84
	s_mov_b32 s17, exec_lo
	v_cmpx_gt_u32_e32 8, v84
; %bb.714:                              ;   in Loop: Header=BB194_414 Depth=1
	v_ffbh_u32_e32 v11, v5
	v_min_u32_e32 v11, 32, v11
	v_subrev_nc_u32_e32 v13, 28, v11
	v_sub_nc_u32_e32 v11, 29, v11
	v_lshlrev_b64 v[23:24], v13, v[5:6]
	v_and_b32_e32 v5, 7, v23
; %bb.715:                              ;   in Loop: Header=BB194_414 Depth=1
	s_or_b32 exec_lo, exec_lo, s17
	v_lshlrev_b32_sdwa v13, v46, v83 dst_sel:DWORD dst_unused:UNUSED_PAD src0_sel:DWORD src1_sel:BYTE_3
	v_lshlrev_b32_e32 v5, 20, v5
	v_lshl_add_u32 v11, v11, 23, 0x3c000000
	v_mov_b32_e32 v23, v6
	v_and_b32_e32 v13, 0x80000000, v13
	v_or3_b32 v24, v5, v13, v11
.LBB194_716:                            ;   in Loop: Header=BB194_414 Depth=1
	s_or_b32 exec_lo, exec_lo, s16
.LBB194_717:                            ;   in Loop: Header=BB194_414 Depth=1
	s_or_b32 exec_lo, exec_lo, s15
.LBB194_718:                            ;   in Loop: Header=BB194_414 Depth=1
	s_or_b32 exec_lo, exec_lo, s14
	v_or_b32_e32 v5, v20, v18
	v_or_b32_e32 v11, v19, v17
	;; [unrolled: 1-line block ×4, first 2 shown]
	v_mul_f32_e32 v85, s13, v5
	v_mul_f32_e32 v86, s2, v11
	;; [unrolled: 1-line block ×4, first 2 shown]
	s_and_saveexec_b32 s14, vcc_lo
	s_cbranch_execz .LBB194_720
; %bb.719:                              ;   in Loop: Header=BB194_414 Depth=1
	v_cmp_gt_i32_e64 s0, s11, v52
	v_cndmask_b32_e64 v86, 0, v86, s0
	v_cmp_gt_i32_e64 s0, s11, v54
	v_cndmask_b32_e64 v85, 0, v85, s0
	;; [unrolled: 2-line block ×4, first 2 shown]
.LBB194_720:                            ;   in Loop: Header=BB194_414 Depth=1
	s_or_b32 exec_lo, exec_lo, s14
	global_load_dword v87, v[15:16], off offset:1152
	v_mov_b32_e32 v19, 0
	v_mov_b32_e32 v17, 0
	;; [unrolled: 1-line block ×4, first 2 shown]
	s_waitcnt vmcnt(0)
	v_cmp_ne_u16_sdwa s0, v87, v6 src0_sel:BYTE_0 src1_sel:DWORD
	s_and_saveexec_b32 s14, s0
	s_cbranch_execz .LBB194_728
; %bb.721:                              ;   in Loop: Header=BB194_414 Depth=1
	v_bfrev_b32_e32 v17, 1
	v_mov_b32_e32 v18, 0
	v_cmp_ne_u16_sdwa s0, v87, v42 src0_sel:BYTE_0 src1_sel:DWORD
	s_and_saveexec_b32 s15, s0
	s_cbranch_execz .LBB194_727
; %bb.722:                              ;   in Loop: Header=BB194_414 Depth=1
	v_mov_b32_e32 v17, 0x7f800001
	v_and_b32_e32 v13, 0x7f, v87
	v_mov_b32_e32 v18, 0
	s_mov_b32 s16, exec_lo
	v_cmpx_ne_u32_e32 0x7f, v13
	s_cbranch_execz .LBB194_726
; %bb.723:                              ;   in Loop: Header=BB194_414 Depth=1
	v_and_b32_e32 v5, 7, v87
	v_lshrrev_b32_e32 v11, 3, v13
	s_mov_b32 s17, exec_lo
	v_cmpx_gt_u32_e32 8, v13
; %bb.724:                              ;   in Loop: Header=BB194_414 Depth=1
	v_ffbh_u32_e32 v11, v5
	v_min_u32_e32 v11, 32, v11
	v_subrev_nc_u32_e32 v13, 28, v11
	v_sub_nc_u32_e32 v11, 29, v11
	v_lshlrev_b64 v[17:18], v13, v[5:6]
	v_and_b32_e32 v5, 7, v17
; %bb.725:                              ;   in Loop: Header=BB194_414 Depth=1
	s_or_b32 exec_lo, exec_lo, s17
	v_lshlrev_b32_e32 v13, 24, v87
	v_lshlrev_b32_e32 v5, 20, v5
	v_lshl_add_u32 v11, v11, 23, 0x3c000000
	v_and_b32_e32 v13, 0x80000000, v13
	v_or3_b32 v5, v5, v13, v11
	v_mov_b32_e32 v18, v6
	v_mov_b32_e32 v17, v5
.LBB194_726:                            ;   in Loop: Header=BB194_414 Depth=1
	s_or_b32 exec_lo, exec_lo, s16
.LBB194_727:                            ;   in Loop: Header=BB194_414 Depth=1
	s_or_b32 exec_lo, exec_lo, s15
.LBB194_728:                            ;   in Loop: Header=BB194_414 Depth=1
	s_or_b32 exec_lo, exec_lo, s14
	v_cmp_ne_u16_sdwa s0, v87, v6 src0_sel:BYTE_1 src1_sel:DWORD
	s_and_saveexec_b32 s14, s0
	s_cbranch_execz .LBB194_736
; %bb.729:                              ;   in Loop: Header=BB194_414 Depth=1
	v_mov_b32_e32 v11, v6
	v_mov_b32_e32 v20, v12
	v_cmp_ne_u16_sdwa s0, v87, v42 src0_sel:BYTE_1 src1_sel:DWORD
	v_mov_b32_e32 v19, v11
	s_and_saveexec_b32 s15, s0
	s_cbranch_execz .LBB194_735
; %bb.730:                              ;   in Loop: Header=BB194_414 Depth=1
	v_and_b32_sdwa v5, v43, v87 dst_sel:DWORD dst_unused:UNUSED_PAD src0_sel:DWORD src1_sel:BYTE_1
	v_mov_b32_e32 v13, v6
	v_mov_b32_e32 v20, v14
	s_mov_b32 s16, exec_lo
	v_and_b32_e32 v21, 0x7f, v5
	v_mov_b32_e32 v19, v13
	v_cmpx_ne_u32_e32 0x7f, v21
	s_cbranch_execz .LBB194_734
; %bb.731:                              ;   in Loop: Header=BB194_414 Depth=1
	v_and_b32_e32 v5, 7, v5
	v_lshrrev_b32_e32 v11, 3, v21
	s_mov_b32 s17, exec_lo
	v_cmpx_gt_u32_e32 8, v21
; %bb.732:                              ;   in Loop: Header=BB194_414 Depth=1
	v_ffbh_u32_e32 v11, v5
	v_min_u32_e32 v11, 32, v11
	v_subrev_nc_u32_e32 v13, 28, v11
	v_sub_nc_u32_e32 v11, 29, v11
	v_lshlrev_b64 v[19:20], v13, v[5:6]
	v_and_b32_e32 v5, 7, v19
; %bb.733:                              ;   in Loop: Header=BB194_414 Depth=1
	s_or_b32 exec_lo, exec_lo, s17
	v_lshlrev_b32_e32 v13, 16, v87
	v_lshlrev_b32_e32 v5, 20, v5
	v_lshl_add_u32 v11, v11, 23, 0x3c000000
	v_mov_b32_e32 v19, v6
	v_and_b32_e32 v13, 0x80000000, v13
	v_or3_b32 v20, v5, v13, v11
.LBB194_734:                            ;   in Loop: Header=BB194_414 Depth=1
	s_or_b32 exec_lo, exec_lo, s16
.LBB194_735:                            ;   in Loop: Header=BB194_414 Depth=1
	s_or_b32 exec_lo, exec_lo, s15
.LBB194_736:                            ;   in Loop: Header=BB194_414 Depth=1
	s_or_b32 exec_lo, exec_lo, s14
	v_mov_b32_e32 v23, 0
	v_mov_b32_e32 v21, 0
	v_and_b32_sdwa v5, v87, v44 dst_sel:DWORD dst_unused:UNUSED_PAD src0_sel:WORD_1 src1_sel:DWORD
	v_mov_b32_e32 v24, 0
	v_mov_b32_e32 v22, 0
	s_mov_b32 s14, exec_lo
	v_cmpx_ne_u16_e32 0, v5
	s_cbranch_execz .LBB194_744
; %bb.737:                              ;   in Loop: Header=BB194_414 Depth=1
	v_bfrev_b32_e32 v21, 1
	v_mov_b32_e32 v22, 0
	s_mov_b32 s15, exec_lo
	v_cmpx_ne_u16_e32 0x80, v5
	s_cbranch_execz .LBB194_743
; %bb.738:                              ;   in Loop: Header=BB194_414 Depth=1
	v_mov_b32_e32 v21, 0x7f800001
	v_bfe_u32 v13, v87, 16, 7
	v_mov_b32_e32 v22, 0
	s_mov_b32 s16, exec_lo
	v_cmpx_ne_u32_e32 0x7f, v13
	s_cbranch_execz .LBB194_742
; %bb.739:                              ;   in Loop: Header=BB194_414 Depth=1
	v_and_b32_sdwa v5, v87, v45 dst_sel:DWORD dst_unused:UNUSED_PAD src0_sel:WORD_1 src1_sel:DWORD
	v_lshrrev_b32_e32 v11, 3, v13
	s_mov_b32 s17, exec_lo
	v_cmpx_gt_u32_e32 8, v13
; %bb.740:                              ;   in Loop: Header=BB194_414 Depth=1
	v_ffbh_u32_e32 v11, v5
	v_min_u32_e32 v11, 32, v11
	v_subrev_nc_u32_e32 v13, 28, v11
	v_sub_nc_u32_e32 v11, 29, v11
	v_lshlrev_b64 v[21:22], v13, v[5:6]
	v_and_b32_e32 v5, 7, v21
; %bb.741:                              ;   in Loop: Header=BB194_414 Depth=1
	s_or_b32 exec_lo, exec_lo, s17
	v_lshlrev_b32_sdwa v13, v46, v87 dst_sel:DWORD dst_unused:UNUSED_PAD src0_sel:DWORD src1_sel:WORD_1
	v_lshlrev_b32_e32 v5, 20, v5
	v_lshl_add_u32 v11, v11, 23, 0x3c000000
	v_and_b32_e32 v13, 0x80000000, v13
	v_or3_b32 v5, v5, v13, v11
	v_mov_b32_e32 v22, v6
	v_mov_b32_e32 v21, v5
.LBB194_742:                            ;   in Loop: Header=BB194_414 Depth=1
	s_or_b32 exec_lo, exec_lo, s16
.LBB194_743:                            ;   in Loop: Header=BB194_414 Depth=1
	s_or_b32 exec_lo, exec_lo, s15
.LBB194_744:                            ;   in Loop: Header=BB194_414 Depth=1
	s_or_b32 exec_lo, exec_lo, s14
	s_mov_b32 s14, exec_lo
	v_cmpx_lt_u32_e32 0xffffff, v87
	s_cbranch_execz .LBB194_752
; %bb.745:                              ;   in Loop: Header=BB194_414 Depth=1
	v_mov_b32_e32 v11, v6
	v_mov_b32_e32 v24, v12
	v_cmp_ne_u32_sdwa s0, v87, v42 src0_sel:BYTE_3 src1_sel:DWORD
	v_mov_b32_e32 v23, v11
	s_and_saveexec_b32 s15, s0
	s_cbranch_execz .LBB194_751
; %bb.746:                              ;   in Loop: Header=BB194_414 Depth=1
	v_mov_b32_e32 v13, v6
	v_mov_b32_e32 v24, v14
	v_bfe_u32 v88, v87, 24, 7
	s_mov_b32 s16, exec_lo
	v_mov_b32_e32 v23, v13
	v_cmpx_ne_u32_e32 0x7f, v88
	s_cbranch_execz .LBB194_750
; %bb.747:                              ;   in Loop: Header=BB194_414 Depth=1
	v_and_b32_sdwa v5, v87, v45 dst_sel:DWORD dst_unused:UNUSED_PAD src0_sel:BYTE_3 src1_sel:DWORD
	v_lshrrev_b32_e32 v11, 3, v88
	s_mov_b32 s17, exec_lo
	v_cmpx_gt_u32_e32 8, v88
; %bb.748:                              ;   in Loop: Header=BB194_414 Depth=1
	v_ffbh_u32_e32 v11, v5
	v_min_u32_e32 v11, 32, v11
	v_subrev_nc_u32_e32 v13, 28, v11
	v_sub_nc_u32_e32 v11, 29, v11
	v_lshlrev_b64 v[23:24], v13, v[5:6]
	v_and_b32_e32 v5, 7, v23
; %bb.749:                              ;   in Loop: Header=BB194_414 Depth=1
	s_or_b32 exec_lo, exec_lo, s17
	v_lshlrev_b32_sdwa v13, v46, v87 dst_sel:DWORD dst_unused:UNUSED_PAD src0_sel:DWORD src1_sel:BYTE_3
	v_lshlrev_b32_e32 v5, 20, v5
	v_lshl_add_u32 v11, v11, 23, 0x3c000000
	v_mov_b32_e32 v23, v6
	v_and_b32_e32 v13, 0x80000000, v13
	v_or3_b32 v24, v5, v13, v11
.LBB194_750:                            ;   in Loop: Header=BB194_414 Depth=1
	s_or_b32 exec_lo, exec_lo, s16
.LBB194_751:                            ;   in Loop: Header=BB194_414 Depth=1
	s_or_b32 exec_lo, exec_lo, s15
.LBB194_752:                            ;   in Loop: Header=BB194_414 Depth=1
	s_or_b32 exec_lo, exec_lo, s14
	v_or_b32_e32 v5, v20, v18
	v_or_b32_e32 v11, v19, v17
	;; [unrolled: 1-line block ×4, first 2 shown]
	v_mul_f32_e32 v89, s13, v5
	v_mul_f32_e32 v90, s2, v11
	;; [unrolled: 1-line block ×4, first 2 shown]
	s_and_saveexec_b32 s14, vcc_lo
	s_cbranch_execz .LBB194_754
; %bb.753:                              ;   in Loop: Header=BB194_414 Depth=1
	v_cmp_gt_i32_e64 s0, s11, v52
	v_cndmask_b32_e64 v90, 0, v90, s0
	v_cmp_gt_i32_e64 s0, s11, v54
	v_cndmask_b32_e64 v89, 0, v89, s0
	;; [unrolled: 2-line block ×4, first 2 shown]
.LBB194_754:                            ;   in Loop: Header=BB194_414 Depth=1
	s_or_b32 exec_lo, exec_lo, s14
	global_load_dword v91, v[15:16], off offset:1280
	v_mov_b32_e32 v19, 0
	v_mov_b32_e32 v17, 0
	v_mov_b32_e32 v20, 0
	v_mov_b32_e32 v18, 0
	s_waitcnt vmcnt(0)
	v_cmp_ne_u16_sdwa s0, v91, v6 src0_sel:BYTE_0 src1_sel:DWORD
	s_and_saveexec_b32 s14, s0
	s_cbranch_execz .LBB194_762
; %bb.755:                              ;   in Loop: Header=BB194_414 Depth=1
	v_bfrev_b32_e32 v17, 1
	v_mov_b32_e32 v18, 0
	v_cmp_ne_u16_sdwa s0, v91, v42 src0_sel:BYTE_0 src1_sel:DWORD
	s_and_saveexec_b32 s15, s0
	s_cbranch_execz .LBB194_761
; %bb.756:                              ;   in Loop: Header=BB194_414 Depth=1
	v_mov_b32_e32 v17, 0x7f800001
	v_and_b32_e32 v13, 0x7f, v91
	v_mov_b32_e32 v18, 0
	s_mov_b32 s16, exec_lo
	v_cmpx_ne_u32_e32 0x7f, v13
	s_cbranch_execz .LBB194_760
; %bb.757:                              ;   in Loop: Header=BB194_414 Depth=1
	v_and_b32_e32 v5, 7, v91
	v_lshrrev_b32_e32 v11, 3, v13
	s_mov_b32 s17, exec_lo
	v_cmpx_gt_u32_e32 8, v13
; %bb.758:                              ;   in Loop: Header=BB194_414 Depth=1
	v_ffbh_u32_e32 v11, v5
	v_min_u32_e32 v11, 32, v11
	v_subrev_nc_u32_e32 v13, 28, v11
	v_sub_nc_u32_e32 v11, 29, v11
	v_lshlrev_b64 v[17:18], v13, v[5:6]
	v_and_b32_e32 v5, 7, v17
; %bb.759:                              ;   in Loop: Header=BB194_414 Depth=1
	s_or_b32 exec_lo, exec_lo, s17
	v_lshlrev_b32_e32 v13, 24, v91
	v_lshlrev_b32_e32 v5, 20, v5
	v_lshl_add_u32 v11, v11, 23, 0x3c000000
	v_and_b32_e32 v13, 0x80000000, v13
	v_or3_b32 v5, v5, v13, v11
	v_mov_b32_e32 v18, v6
	v_mov_b32_e32 v17, v5
.LBB194_760:                            ;   in Loop: Header=BB194_414 Depth=1
	s_or_b32 exec_lo, exec_lo, s16
.LBB194_761:                            ;   in Loop: Header=BB194_414 Depth=1
	s_or_b32 exec_lo, exec_lo, s15
.LBB194_762:                            ;   in Loop: Header=BB194_414 Depth=1
	s_or_b32 exec_lo, exec_lo, s14
	v_cmp_ne_u16_sdwa s0, v91, v6 src0_sel:BYTE_1 src1_sel:DWORD
	s_and_saveexec_b32 s14, s0
	s_cbranch_execz .LBB194_770
; %bb.763:                              ;   in Loop: Header=BB194_414 Depth=1
	v_mov_b32_e32 v11, v6
	v_mov_b32_e32 v20, v12
	v_cmp_ne_u16_sdwa s0, v91, v42 src0_sel:BYTE_1 src1_sel:DWORD
	v_mov_b32_e32 v19, v11
	s_and_saveexec_b32 s15, s0
	s_cbranch_execz .LBB194_769
; %bb.764:                              ;   in Loop: Header=BB194_414 Depth=1
	v_and_b32_sdwa v5, v43, v91 dst_sel:DWORD dst_unused:UNUSED_PAD src0_sel:DWORD src1_sel:BYTE_1
	v_mov_b32_e32 v13, v6
	v_mov_b32_e32 v20, v14
	s_mov_b32 s16, exec_lo
	v_and_b32_e32 v21, 0x7f, v5
	v_mov_b32_e32 v19, v13
	v_cmpx_ne_u32_e32 0x7f, v21
	s_cbranch_execz .LBB194_768
; %bb.765:                              ;   in Loop: Header=BB194_414 Depth=1
	v_and_b32_e32 v5, 7, v5
	v_lshrrev_b32_e32 v11, 3, v21
	s_mov_b32 s17, exec_lo
	v_cmpx_gt_u32_e32 8, v21
; %bb.766:                              ;   in Loop: Header=BB194_414 Depth=1
	v_ffbh_u32_e32 v11, v5
	v_min_u32_e32 v11, 32, v11
	v_subrev_nc_u32_e32 v13, 28, v11
	v_sub_nc_u32_e32 v11, 29, v11
	v_lshlrev_b64 v[19:20], v13, v[5:6]
	v_and_b32_e32 v5, 7, v19
; %bb.767:                              ;   in Loop: Header=BB194_414 Depth=1
	s_or_b32 exec_lo, exec_lo, s17
	v_lshlrev_b32_e32 v13, 16, v91
	v_lshlrev_b32_e32 v5, 20, v5
	v_lshl_add_u32 v11, v11, 23, 0x3c000000
	v_mov_b32_e32 v19, v6
	v_and_b32_e32 v13, 0x80000000, v13
	v_or3_b32 v20, v5, v13, v11
.LBB194_768:                            ;   in Loop: Header=BB194_414 Depth=1
	s_or_b32 exec_lo, exec_lo, s16
.LBB194_769:                            ;   in Loop: Header=BB194_414 Depth=1
	s_or_b32 exec_lo, exec_lo, s15
.LBB194_770:                            ;   in Loop: Header=BB194_414 Depth=1
	s_or_b32 exec_lo, exec_lo, s14
	v_mov_b32_e32 v23, 0
	v_mov_b32_e32 v21, 0
	v_and_b32_sdwa v5, v91, v44 dst_sel:DWORD dst_unused:UNUSED_PAD src0_sel:WORD_1 src1_sel:DWORD
	v_mov_b32_e32 v24, 0
	v_mov_b32_e32 v22, 0
	s_mov_b32 s14, exec_lo
	v_cmpx_ne_u16_e32 0, v5
	s_cbranch_execz .LBB194_778
; %bb.771:                              ;   in Loop: Header=BB194_414 Depth=1
	v_bfrev_b32_e32 v21, 1
	v_mov_b32_e32 v22, 0
	s_mov_b32 s15, exec_lo
	v_cmpx_ne_u16_e32 0x80, v5
	s_cbranch_execz .LBB194_777
; %bb.772:                              ;   in Loop: Header=BB194_414 Depth=1
	v_mov_b32_e32 v21, 0x7f800001
	v_bfe_u32 v13, v91, 16, 7
	v_mov_b32_e32 v22, 0
	s_mov_b32 s16, exec_lo
	v_cmpx_ne_u32_e32 0x7f, v13
	s_cbranch_execz .LBB194_776
; %bb.773:                              ;   in Loop: Header=BB194_414 Depth=1
	v_and_b32_sdwa v5, v91, v45 dst_sel:DWORD dst_unused:UNUSED_PAD src0_sel:WORD_1 src1_sel:DWORD
	v_lshrrev_b32_e32 v11, 3, v13
	s_mov_b32 s17, exec_lo
	v_cmpx_gt_u32_e32 8, v13
; %bb.774:                              ;   in Loop: Header=BB194_414 Depth=1
	v_ffbh_u32_e32 v11, v5
	v_min_u32_e32 v11, 32, v11
	v_subrev_nc_u32_e32 v13, 28, v11
	v_sub_nc_u32_e32 v11, 29, v11
	v_lshlrev_b64 v[21:22], v13, v[5:6]
	v_and_b32_e32 v5, 7, v21
; %bb.775:                              ;   in Loop: Header=BB194_414 Depth=1
	s_or_b32 exec_lo, exec_lo, s17
	v_lshlrev_b32_sdwa v13, v46, v91 dst_sel:DWORD dst_unused:UNUSED_PAD src0_sel:DWORD src1_sel:WORD_1
	v_lshlrev_b32_e32 v5, 20, v5
	v_lshl_add_u32 v11, v11, 23, 0x3c000000
	v_and_b32_e32 v13, 0x80000000, v13
	v_or3_b32 v5, v5, v13, v11
	v_mov_b32_e32 v22, v6
	v_mov_b32_e32 v21, v5
.LBB194_776:                            ;   in Loop: Header=BB194_414 Depth=1
	s_or_b32 exec_lo, exec_lo, s16
.LBB194_777:                            ;   in Loop: Header=BB194_414 Depth=1
	s_or_b32 exec_lo, exec_lo, s15
.LBB194_778:                            ;   in Loop: Header=BB194_414 Depth=1
	s_or_b32 exec_lo, exec_lo, s14
	s_mov_b32 s14, exec_lo
	v_cmpx_lt_u32_e32 0xffffff, v91
	s_cbranch_execz .LBB194_786
; %bb.779:                              ;   in Loop: Header=BB194_414 Depth=1
	v_mov_b32_e32 v11, v6
	v_mov_b32_e32 v24, v12
	v_cmp_ne_u32_sdwa s0, v91, v42 src0_sel:BYTE_3 src1_sel:DWORD
	v_mov_b32_e32 v23, v11
	s_and_saveexec_b32 s15, s0
	s_cbranch_execz .LBB194_785
; %bb.780:                              ;   in Loop: Header=BB194_414 Depth=1
	v_mov_b32_e32 v13, v6
	v_mov_b32_e32 v24, v14
	v_bfe_u32 v92, v91, 24, 7
	s_mov_b32 s16, exec_lo
	v_mov_b32_e32 v23, v13
	v_cmpx_ne_u32_e32 0x7f, v92
	s_cbranch_execz .LBB194_784
; %bb.781:                              ;   in Loop: Header=BB194_414 Depth=1
	v_and_b32_sdwa v5, v91, v45 dst_sel:DWORD dst_unused:UNUSED_PAD src0_sel:BYTE_3 src1_sel:DWORD
	v_lshrrev_b32_e32 v11, 3, v92
	s_mov_b32 s17, exec_lo
	v_cmpx_gt_u32_e32 8, v92
; %bb.782:                              ;   in Loop: Header=BB194_414 Depth=1
	v_ffbh_u32_e32 v11, v5
	v_min_u32_e32 v11, 32, v11
	v_subrev_nc_u32_e32 v13, 28, v11
	v_sub_nc_u32_e32 v11, 29, v11
	v_lshlrev_b64 v[23:24], v13, v[5:6]
	v_and_b32_e32 v5, 7, v23
; %bb.783:                              ;   in Loop: Header=BB194_414 Depth=1
	s_or_b32 exec_lo, exec_lo, s17
	v_lshlrev_b32_sdwa v13, v46, v91 dst_sel:DWORD dst_unused:UNUSED_PAD src0_sel:DWORD src1_sel:BYTE_3
	v_lshlrev_b32_e32 v5, 20, v5
	v_lshl_add_u32 v11, v11, 23, 0x3c000000
	v_mov_b32_e32 v23, v6
	v_and_b32_e32 v13, 0x80000000, v13
	v_or3_b32 v24, v5, v13, v11
.LBB194_784:                            ;   in Loop: Header=BB194_414 Depth=1
	s_or_b32 exec_lo, exec_lo, s16
.LBB194_785:                            ;   in Loop: Header=BB194_414 Depth=1
	s_or_b32 exec_lo, exec_lo, s15
.LBB194_786:                            ;   in Loop: Header=BB194_414 Depth=1
	s_or_b32 exec_lo, exec_lo, s14
	v_or_b32_e32 v5, v20, v18
	v_or_b32_e32 v11, v19, v17
	v_or_b32_e32 v13, v23, v21
	v_or_b32_e32 v17, v24, v22
	v_mul_f32_e32 v91, s13, v5
	v_mul_f32_e32 v92, s2, v11
	;; [unrolled: 1-line block ×4, first 2 shown]
	s_and_saveexec_b32 s14, vcc_lo
	s_cbranch_execz .LBB194_788
; %bb.787:                              ;   in Loop: Header=BB194_414 Depth=1
	v_cmp_gt_i32_e64 s0, s11, v52
	v_cndmask_b32_e64 v92, 0, v92, s0
	v_cmp_gt_i32_e64 s0, s11, v54
	v_cndmask_b32_e64 v91, 0, v91, s0
	;; [unrolled: 2-line block ×4, first 2 shown]
.LBB194_788:                            ;   in Loop: Header=BB194_414 Depth=1
	s_or_b32 exec_lo, exec_lo, s14
	global_load_dword v93, v[15:16], off offset:1408
	v_mov_b32_e32 v17, 0
	v_mov_b32_e32 v15, 0
	;; [unrolled: 1-line block ×4, first 2 shown]
	s_waitcnt vmcnt(0)
	v_cmp_ne_u16_sdwa s0, v93, v6 src0_sel:BYTE_0 src1_sel:DWORD
	s_and_saveexec_b32 s14, s0
	s_cbranch_execz .LBB194_796
; %bb.789:                              ;   in Loop: Header=BB194_414 Depth=1
	v_bfrev_b32_e32 v15, 1
	v_mov_b32_e32 v16, 0
	v_cmp_ne_u16_sdwa s0, v93, v42 src0_sel:BYTE_0 src1_sel:DWORD
	s_and_saveexec_b32 s15, s0
	s_cbranch_execz .LBB194_795
; %bb.790:                              ;   in Loop: Header=BB194_414 Depth=1
	v_mov_b32_e32 v15, 0x7f800001
	v_and_b32_e32 v13, 0x7f, v93
	v_mov_b32_e32 v16, 0
	s_mov_b32 s16, exec_lo
	v_cmpx_ne_u32_e32 0x7f, v13
	s_cbranch_execz .LBB194_794
; %bb.791:                              ;   in Loop: Header=BB194_414 Depth=1
	v_and_b32_e32 v5, 7, v93
	v_lshrrev_b32_e32 v11, 3, v13
	s_mov_b32 s17, exec_lo
	v_cmpx_gt_u32_e32 8, v13
; %bb.792:                              ;   in Loop: Header=BB194_414 Depth=1
	v_ffbh_u32_e32 v11, v5
	v_min_u32_e32 v11, 32, v11
	v_subrev_nc_u32_e32 v13, 28, v11
	v_sub_nc_u32_e32 v11, 29, v11
	v_lshlrev_b64 v[15:16], v13, v[5:6]
	v_and_b32_e32 v5, 7, v15
; %bb.793:                              ;   in Loop: Header=BB194_414 Depth=1
	s_or_b32 exec_lo, exec_lo, s17
	v_lshlrev_b32_e32 v13, 24, v93
	v_lshlrev_b32_e32 v5, 20, v5
	v_lshl_add_u32 v11, v11, 23, 0x3c000000
	v_and_b32_e32 v13, 0x80000000, v13
	v_or3_b32 v5, v5, v13, v11
	v_mov_b32_e32 v16, v6
	v_mov_b32_e32 v15, v5
.LBB194_794:                            ;   in Loop: Header=BB194_414 Depth=1
	s_or_b32 exec_lo, exec_lo, s16
.LBB194_795:                            ;   in Loop: Header=BB194_414 Depth=1
	s_or_b32 exec_lo, exec_lo, s15
.LBB194_796:                            ;   in Loop: Header=BB194_414 Depth=1
	s_or_b32 exec_lo, exec_lo, s14
	v_cmp_ne_u16_sdwa s0, v93, v6 src0_sel:BYTE_1 src1_sel:DWORD
	s_and_saveexec_b32 s14, s0
	s_cbranch_execz .LBB194_804
; %bb.797:                              ;   in Loop: Header=BB194_414 Depth=1
	v_mov_b32_e32 v11, v6
	v_mov_b32_e32 v18, v12
	v_cmp_ne_u16_sdwa s0, v93, v42 src0_sel:BYTE_1 src1_sel:DWORD
	v_mov_b32_e32 v17, v11
	s_and_saveexec_b32 s15, s0
	s_cbranch_execz .LBB194_803
; %bb.798:                              ;   in Loop: Header=BB194_414 Depth=1
	v_and_b32_sdwa v5, v43, v93 dst_sel:DWORD dst_unused:UNUSED_PAD src0_sel:DWORD src1_sel:BYTE_1
	v_mov_b32_e32 v13, v6
	v_mov_b32_e32 v18, v14
	s_mov_b32 s16, exec_lo
	v_and_b32_e32 v19, 0x7f, v5
	v_mov_b32_e32 v17, v13
	v_cmpx_ne_u32_e32 0x7f, v19
	s_cbranch_execz .LBB194_802
; %bb.799:                              ;   in Loop: Header=BB194_414 Depth=1
	v_and_b32_e32 v5, 7, v5
	v_lshrrev_b32_e32 v11, 3, v19
	s_mov_b32 s17, exec_lo
	v_cmpx_gt_u32_e32 8, v19
; %bb.800:                              ;   in Loop: Header=BB194_414 Depth=1
	v_ffbh_u32_e32 v11, v5
	v_min_u32_e32 v11, 32, v11
	v_subrev_nc_u32_e32 v13, 28, v11
	v_sub_nc_u32_e32 v11, 29, v11
	v_lshlrev_b64 v[17:18], v13, v[5:6]
	v_and_b32_e32 v5, 7, v17
; %bb.801:                              ;   in Loop: Header=BB194_414 Depth=1
	s_or_b32 exec_lo, exec_lo, s17
	v_lshlrev_b32_e32 v13, 16, v93
	v_lshlrev_b32_e32 v5, 20, v5
	v_lshl_add_u32 v11, v11, 23, 0x3c000000
	v_mov_b32_e32 v17, v6
	v_and_b32_e32 v13, 0x80000000, v13
	v_or3_b32 v18, v5, v13, v11
.LBB194_802:                            ;   in Loop: Header=BB194_414 Depth=1
	s_or_b32 exec_lo, exec_lo, s16
.LBB194_803:                            ;   in Loop: Header=BB194_414 Depth=1
	s_or_b32 exec_lo, exec_lo, s15
.LBB194_804:                            ;   in Loop: Header=BB194_414 Depth=1
	s_or_b32 exec_lo, exec_lo, s14
	v_mov_b32_e32 v21, 0
	v_mov_b32_e32 v19, 0
	v_and_b32_sdwa v5, v93, v44 dst_sel:DWORD dst_unused:UNUSED_PAD src0_sel:WORD_1 src1_sel:DWORD
	v_mov_b32_e32 v22, 0
	v_mov_b32_e32 v20, 0
	s_mov_b32 s14, exec_lo
	v_cmpx_ne_u16_e32 0, v5
	s_cbranch_execz .LBB194_812
; %bb.805:                              ;   in Loop: Header=BB194_414 Depth=1
	v_bfrev_b32_e32 v19, 1
	v_mov_b32_e32 v20, 0
	s_mov_b32 s15, exec_lo
	v_cmpx_ne_u16_e32 0x80, v5
	s_cbranch_execz .LBB194_811
; %bb.806:                              ;   in Loop: Header=BB194_414 Depth=1
	v_mov_b32_e32 v19, 0x7f800001
	v_bfe_u32 v13, v93, 16, 7
	v_mov_b32_e32 v20, 0
	s_mov_b32 s16, exec_lo
	v_cmpx_ne_u32_e32 0x7f, v13
	s_cbranch_execz .LBB194_810
; %bb.807:                              ;   in Loop: Header=BB194_414 Depth=1
	v_and_b32_sdwa v5, v93, v45 dst_sel:DWORD dst_unused:UNUSED_PAD src0_sel:WORD_1 src1_sel:DWORD
	v_lshrrev_b32_e32 v11, 3, v13
	s_mov_b32 s17, exec_lo
	v_cmpx_gt_u32_e32 8, v13
; %bb.808:                              ;   in Loop: Header=BB194_414 Depth=1
	v_ffbh_u32_e32 v11, v5
	v_min_u32_e32 v11, 32, v11
	v_subrev_nc_u32_e32 v13, 28, v11
	v_sub_nc_u32_e32 v11, 29, v11
	v_lshlrev_b64 v[19:20], v13, v[5:6]
	v_and_b32_e32 v5, 7, v19
; %bb.809:                              ;   in Loop: Header=BB194_414 Depth=1
	s_or_b32 exec_lo, exec_lo, s17
	v_lshlrev_b32_sdwa v13, v46, v93 dst_sel:DWORD dst_unused:UNUSED_PAD src0_sel:DWORD src1_sel:WORD_1
	v_lshlrev_b32_e32 v5, 20, v5
	v_lshl_add_u32 v11, v11, 23, 0x3c000000
	v_and_b32_e32 v13, 0x80000000, v13
	v_or3_b32 v5, v5, v13, v11
	v_mov_b32_e32 v20, v6
	v_mov_b32_e32 v19, v5
.LBB194_810:                            ;   in Loop: Header=BB194_414 Depth=1
	s_or_b32 exec_lo, exec_lo, s16
.LBB194_811:                            ;   in Loop: Header=BB194_414 Depth=1
	s_or_b32 exec_lo, exec_lo, s15
.LBB194_812:                            ;   in Loop: Header=BB194_414 Depth=1
	s_or_b32 exec_lo, exec_lo, s14
	s_mov_b32 s14, exec_lo
	v_cmpx_lt_u32_e32 0xffffff, v93
	s_cbranch_execz .LBB194_820
; %bb.813:                              ;   in Loop: Header=BB194_414 Depth=1
	v_mov_b32_e32 v11, v6
	v_mov_b32_e32 v22, v12
	v_cmp_ne_u32_sdwa s0, v93, v42 src0_sel:BYTE_3 src1_sel:DWORD
	v_mov_b32_e32 v21, v11
	s_and_saveexec_b32 s15, s0
	s_cbranch_execz .LBB194_819
; %bb.814:                              ;   in Loop: Header=BB194_414 Depth=1
	v_mov_b32_e32 v13, v6
	v_mov_b32_e32 v22, v14
	v_bfe_u32 v94, v93, 24, 7
	s_mov_b32 s16, exec_lo
	v_mov_b32_e32 v21, v13
	v_cmpx_ne_u32_e32 0x7f, v94
	s_cbranch_execz .LBB194_818
; %bb.815:                              ;   in Loop: Header=BB194_414 Depth=1
	v_and_b32_sdwa v5, v93, v45 dst_sel:DWORD dst_unused:UNUSED_PAD src0_sel:BYTE_3 src1_sel:DWORD
	v_lshrrev_b32_e32 v11, 3, v94
	s_mov_b32 s17, exec_lo
	v_cmpx_gt_u32_e32 8, v94
; %bb.816:                              ;   in Loop: Header=BB194_414 Depth=1
	v_ffbh_u32_e32 v11, v5
	v_min_u32_e32 v11, 32, v11
	v_subrev_nc_u32_e32 v13, 28, v11
	v_sub_nc_u32_e32 v11, 29, v11
	v_lshlrev_b64 v[21:22], v13, v[5:6]
	v_and_b32_e32 v5, 7, v21
; %bb.817:                              ;   in Loop: Header=BB194_414 Depth=1
	s_or_b32 exec_lo, exec_lo, s17
	v_lshlrev_b32_sdwa v13, v46, v93 dst_sel:DWORD dst_unused:UNUSED_PAD src0_sel:DWORD src1_sel:BYTE_3
	v_lshlrev_b32_e32 v5, 20, v5
	v_lshl_add_u32 v11, v11, 23, 0x3c000000
	v_mov_b32_e32 v21, v6
	v_and_b32_e32 v13, 0x80000000, v13
	v_or3_b32 v22, v5, v13, v11
.LBB194_818:                            ;   in Loop: Header=BB194_414 Depth=1
	s_or_b32 exec_lo, exec_lo, s16
.LBB194_819:                            ;   in Loop: Header=BB194_414 Depth=1
	s_or_b32 exec_lo, exec_lo, s15
.LBB194_820:                            ;   in Loop: Header=BB194_414 Depth=1
	s_or_b32 exec_lo, exec_lo, s14
	v_or_b32_e32 v5, v18, v16
	v_or_b32_e32 v11, v17, v15
	;; [unrolled: 1-line block ×4, first 2 shown]
	v_mul_f32_e32 v13, s13, v5
	v_mul_f32_e32 v15, s2, v11
	;; [unrolled: 1-line block ×4, first 2 shown]
	s_and_saveexec_b32 s0, vcc_lo
	s_cbranch_execz .LBB194_413
; %bb.821:                              ;   in Loop: Header=BB194_414 Depth=1
	v_cmp_gt_i32_e32 vcc_lo, s11, v52
	v_cndmask_b32_e32 v15, 0, v15, vcc_lo
	v_cmp_gt_i32_e32 vcc_lo, s11, v54
	v_cndmask_b32_e32 v13, 0, v13, vcc_lo
	v_cmp_gt_i32_e32 vcc_lo, s11, v53
	v_cndmask_b32_e32 v11, 0, v11, vcc_lo
	v_cmp_gt_i32_e32 vcc_lo, s11, v40
	v_cndmask_b32_e32 v5, 0, v5, vcc_lo
	s_branch .LBB194_413
.LBB194_822:
	s_or_b32 exec_lo, exec_lo, s5
.LBB194_823:
	s_or_b32 exec_lo, exec_lo, s1
	ds_bpermute_b32 v1, v26, v37
	ds_bpermute_b32 v2, v26, v39
	;; [unrolled: 1-line block ×12, first 2 shown]
	s_mov_b32 s0, exec_lo
	s_waitcnt lgkmcnt(0)
	s_barrier
	buffer_gl0_inv
	v_add_f32_e32 v1, v37, v1
	v_add_f32_e32 v2, v39, v2
	;; [unrolled: 1-line block ×12, first 2 shown]
	ds_bpermute_b32 v0, v29, v1
	ds_bpermute_b32 v13, v29, v2
	ds_bpermute_b32 v14, v29, v3
	ds_bpermute_b32 v15, v29, v4
	ds_bpermute_b32 v16, v29, v5
	ds_bpermute_b32 v17, v29, v6
	ds_bpermute_b32 v18, v29, v7
	ds_bpermute_b32 v19, v29, v8
	ds_bpermute_b32 v20, v29, v9
	ds_bpermute_b32 v21, v29, v10
	ds_bpermute_b32 v22, v29, v11
	ds_bpermute_b32 v23, v29, v12
	s_waitcnt lgkmcnt(11)
	v_add_f32_e32 v0, v1, v0
	s_waitcnt lgkmcnt(10)
	v_add_f32_e32 v1, v2, v13
	v_and_b32_e32 v13, 28, v25
	s_waitcnt lgkmcnt(9)
	v_add_f32_e32 v2, v3, v14
	s_waitcnt lgkmcnt(8)
	v_add_f32_e32 v3, v4, v15
	;; [unrolled: 2-line block ×9, first 2 shown]
	v_and_b32_e32 v15, 0x3c3, v95
	s_waitcnt lgkmcnt(0)
	v_add_f32_e32 v11, v12, v23
	v_lshrrev_b32_e32 v12, 2, v25
	v_add_nc_u32_e32 v13, 0x1a0, v13
	v_mul_u32_u24_e32 v14, 0x180, v96
	v_cmpx_eq_u32_e32 64, v15
	s_cbranch_execz .LBB194_825
; %bb.824:
	v_add_nc_u32_e32 v15, v13, v14
	v_add_nc_u32_e32 v16, 0xfffffd00, v15
	;; [unrolled: 1-line block ×8, first 2 shown]
	ds_write_b32 v16, v0
	ds_write_b32 v17, v1
	;; [unrolled: 1-line block ×7, first 2 shown]
	v_add_nc_u32_e32 v16, 0xfffffde0, v15
	v_add_nc_u32_e32 v17, 0xfffffe00, v15
	;; [unrolled: 1-line block ×5, first 2 shown]
	ds_write_b32 v16, v7
	ds_write_b32 v17, v8
	;; [unrolled: 1-line block ×5, first 2 shown]
.LBB194_825:
	s_or_b32 exec_lo, exec_lo, s0
	v_lshlrev_b32_e32 v12, 2, v12
	s_mov_b32 s1, exec_lo
	v_cmp_eq_u32_e32 vcc_lo, 0, v28
	s_waitcnt lgkmcnt(0)
	s_barrier
	v_add3_u32 v12, 0x1a0, v14, v12
	buffer_gl0_inv
	v_cmpx_gt_u32_e32 64, v95
	s_cbranch_execz .LBB194_840
; %bb.826:
	s_and_saveexec_b32 s0, vcc_lo
	s_cbranch_execnz .LBB194_860
; %bb.827:
	s_or_b32 exec_lo, exec_lo, s0
	s_and_saveexec_b32 s0, vcc_lo
	s_cbranch_execnz .LBB194_861
.LBB194_828:
	s_or_b32 exec_lo, exec_lo, s0
	s_and_saveexec_b32 s0, vcc_lo
	s_cbranch_execnz .LBB194_862
.LBB194_829:
	s_or_b32 exec_lo, exec_lo, s0
	s_and_saveexec_b32 s0, vcc_lo
	s_cbranch_execnz .LBB194_863
.LBB194_830:
	s_or_b32 exec_lo, exec_lo, s0
	s_and_saveexec_b32 s0, vcc_lo
	s_cbranch_execnz .LBB194_864
.LBB194_831:
	s_or_b32 exec_lo, exec_lo, s0
	s_and_saveexec_b32 s0, vcc_lo
	s_cbranch_execnz .LBB194_865
.LBB194_832:
	s_or_b32 exec_lo, exec_lo, s0
	s_and_saveexec_b32 s0, vcc_lo
	s_cbranch_execnz .LBB194_866
.LBB194_833:
	s_or_b32 exec_lo, exec_lo, s0
	s_and_saveexec_b32 s0, vcc_lo
	s_cbranch_execnz .LBB194_867
.LBB194_834:
	s_or_b32 exec_lo, exec_lo, s0
	s_and_saveexec_b32 s0, vcc_lo
	s_cbranch_execnz .LBB194_868
.LBB194_835:
	s_or_b32 exec_lo, exec_lo, s0
	s_and_saveexec_b32 s0, vcc_lo
	s_cbranch_execnz .LBB194_869
.LBB194_836:
	s_or_b32 exec_lo, exec_lo, s0
	s_and_saveexec_b32 s0, vcc_lo
	s_cbranch_execnz .LBB194_870
.LBB194_837:
	s_or_b32 exec_lo, exec_lo, s0
	s_and_saveexec_b32 s0, vcc_lo
	s_cbranch_execz .LBB194_839
.LBB194_838:
	ds_read_b32 v14, v12 offset:352
	s_waitcnt lgkmcnt(0)
	v_add_f32_e32 v11, v11, v14
.LBB194_839:
	s_or_b32 exec_lo, exec_lo, s0
.LBB194_840:
	s_or_b32 exec_lo, exec_lo, s1
	v_and_b32_e32 v14, 0x3e3, v95
	s_mov_b32 s1, exec_lo
	s_barrier
	buffer_gl0_inv
	v_cmpx_eq_u32_e32 32, v14
	s_cbranch_execz .LBB194_842
; %bb.841:
	ds_write2_b32 v13, v0, v1 offset1:8
	ds_write2_b32 v13, v2, v3 offset0:16 offset1:24
	ds_write2_b32 v13, v4, v5 offset0:32 offset1:40
	;; [unrolled: 1-line block ×5, first 2 shown]
.LBB194_842:
	s_or_b32 exec_lo, exec_lo, s1
	s_mov_b32 s1, exec_lo
	s_waitcnt lgkmcnt(0)
	s_barrier
	buffer_gl0_inv
	v_cmpx_gt_u32_e32 32, v95
	s_cbranch_execz .LBB194_857
; %bb.843:
	s_and_saveexec_b32 s0, vcc_lo
	s_cbranch_execnz .LBB194_871
; %bb.844:
	s_or_b32 exec_lo, exec_lo, s0
	s_and_saveexec_b32 s0, vcc_lo
	s_cbranch_execnz .LBB194_872
.LBB194_845:
	s_or_b32 exec_lo, exec_lo, s0
	s_and_saveexec_b32 s0, vcc_lo
	s_cbranch_execnz .LBB194_873
.LBB194_846:
	s_or_b32 exec_lo, exec_lo, s0
	s_and_saveexec_b32 s0, vcc_lo
	s_cbranch_execnz .LBB194_874
.LBB194_847:
	s_or_b32 exec_lo, exec_lo, s0
	s_and_saveexec_b32 s0, vcc_lo
	s_cbranch_execnz .LBB194_875
.LBB194_848:
	s_or_b32 exec_lo, exec_lo, s0
	s_and_saveexec_b32 s0, vcc_lo
	s_cbranch_execnz .LBB194_876
.LBB194_849:
	s_or_b32 exec_lo, exec_lo, s0
	s_and_saveexec_b32 s0, vcc_lo
	s_cbranch_execnz .LBB194_877
.LBB194_850:
	s_or_b32 exec_lo, exec_lo, s0
	s_and_saveexec_b32 s0, vcc_lo
	s_cbranch_execnz .LBB194_878
.LBB194_851:
	s_or_b32 exec_lo, exec_lo, s0
	s_and_saveexec_b32 s0, vcc_lo
	s_cbranch_execnz .LBB194_879
.LBB194_852:
	s_or_b32 exec_lo, exec_lo, s0
	s_and_saveexec_b32 s0, vcc_lo
	s_cbranch_execnz .LBB194_880
.LBB194_853:
	s_or_b32 exec_lo, exec_lo, s0
	s_and_saveexec_b32 s0, vcc_lo
	s_cbranch_execnz .LBB194_881
.LBB194_854:
	s_or_b32 exec_lo, exec_lo, s0
	s_and_saveexec_b32 s0, vcc_lo
	s_cbranch_execz .LBB194_856
.LBB194_855:
	ds_read_b32 v12, v12 offset:352
	s_waitcnt lgkmcnt(0)
	v_add_f32_e32 v11, v11, v12
.LBB194_856:
	s_or_b32 exec_lo, exec_lo, s0
.LBB194_857:
	s_or_b32 exec_lo, exec_lo, s1
	s_barrier
	buffer_gl0_inv
	s_mov_b32 s0, exec_lo
	v_cmpx_eq_u32_e32 0, v14
	s_cbranch_execz .LBB194_859
; %bb.858:
	s_mul_i32 s0, s10, s7
	s_mul_i32 s2, s7, s6
	;; [unrolled: 1-line block ×3, first 2 shown]
	s_mulk_i32 s0, 0x60
	s_ashr_i32 s1, s0, 31
	s_lshl_b64 s[0:1], s[0:1], 2
	s_add_u32 s4, s20, s0
	s_addc_u32 s5, s21, s1
	s_ashr_i32 s3, s2, 31
	s_lshl_b64 s[0:1], s[2:3], 2
	s_mul_i32 s2, s8, 0x60
	s_add_u32 s4, s4, s0
	s_addc_u32 s5, s5, s1
	s_ashr_i32 s3, s2, 31
	s_lshl_b64 s[0:1], s[2:3], 2
	s_add_u32 s0, s4, s0
	s_addc_u32 s1, s5, s1
	global_store_dword v95, v0, s[0:1]
	global_store_dword v95, v1, s[0:1] offset:32
	global_store_dword v95, v2, s[0:1] offset:64
	;; [unrolled: 1-line block ×11, first 2 shown]
.LBB194_859:
	s_endpgm
.LBB194_860:
	ds_read_b32 v14, v12
	s_waitcnt lgkmcnt(0)
	v_add_f32_e32 v0, v0, v14
	s_or_b32 exec_lo, exec_lo, s0
	s_and_saveexec_b32 s0, vcc_lo
	s_cbranch_execz .LBB194_828
.LBB194_861:
	ds_read_b32 v14, v12 offset:32
	s_waitcnt lgkmcnt(0)
	v_add_f32_e32 v1, v1, v14
	s_or_b32 exec_lo, exec_lo, s0
	s_and_saveexec_b32 s0, vcc_lo
	s_cbranch_execz .LBB194_829
.LBB194_862:
	ds_read_b32 v14, v12 offset:64
	s_waitcnt lgkmcnt(0)
	v_add_f32_e32 v2, v2, v14
	s_or_b32 exec_lo, exec_lo, s0
	s_and_saveexec_b32 s0, vcc_lo
	s_cbranch_execz .LBB194_830
.LBB194_863:
	ds_read_b32 v14, v12 offset:96
	s_waitcnt lgkmcnt(0)
	v_add_f32_e32 v3, v3, v14
	s_or_b32 exec_lo, exec_lo, s0
	s_and_saveexec_b32 s0, vcc_lo
	s_cbranch_execz .LBB194_831
.LBB194_864:
	ds_read_b32 v14, v12 offset:128
	s_waitcnt lgkmcnt(0)
	v_add_f32_e32 v4, v4, v14
	s_or_b32 exec_lo, exec_lo, s0
	s_and_saveexec_b32 s0, vcc_lo
	s_cbranch_execz .LBB194_832
.LBB194_865:
	ds_read_b32 v14, v12 offset:160
	s_waitcnt lgkmcnt(0)
	v_add_f32_e32 v5, v5, v14
	s_or_b32 exec_lo, exec_lo, s0
	s_and_saveexec_b32 s0, vcc_lo
	s_cbranch_execz .LBB194_833
.LBB194_866:
	ds_read_b32 v14, v12 offset:192
	s_waitcnt lgkmcnt(0)
	v_add_f32_e32 v6, v6, v14
	s_or_b32 exec_lo, exec_lo, s0
	s_and_saveexec_b32 s0, vcc_lo
	s_cbranch_execz .LBB194_834
.LBB194_867:
	ds_read_b32 v14, v12 offset:224
	s_waitcnt lgkmcnt(0)
	v_add_f32_e32 v7, v7, v14
	s_or_b32 exec_lo, exec_lo, s0
	s_and_saveexec_b32 s0, vcc_lo
	s_cbranch_execz .LBB194_835
.LBB194_868:
	ds_read_b32 v14, v12 offset:256
	s_waitcnt lgkmcnt(0)
	v_add_f32_e32 v8, v8, v14
	s_or_b32 exec_lo, exec_lo, s0
	s_and_saveexec_b32 s0, vcc_lo
	s_cbranch_execz .LBB194_836
.LBB194_869:
	ds_read_b32 v14, v12 offset:288
	s_waitcnt lgkmcnt(0)
	v_add_f32_e32 v9, v9, v14
	s_or_b32 exec_lo, exec_lo, s0
	s_and_saveexec_b32 s0, vcc_lo
	s_cbranch_execz .LBB194_837
.LBB194_870:
	ds_read_b32 v14, v12 offset:320
	s_waitcnt lgkmcnt(0)
	v_add_f32_e32 v10, v10, v14
	s_or_b32 exec_lo, exec_lo, s0
	s_and_saveexec_b32 s0, vcc_lo
	s_cbranch_execnz .LBB194_838
	s_branch .LBB194_839
.LBB194_871:
	ds_read_b32 v13, v12
	s_waitcnt lgkmcnt(0)
	v_add_f32_e32 v0, v0, v13
	s_or_b32 exec_lo, exec_lo, s0
	s_and_saveexec_b32 s0, vcc_lo
	s_cbranch_execz .LBB194_845
.LBB194_872:
	ds_read_b32 v13, v12 offset:32
	s_waitcnt lgkmcnt(0)
	v_add_f32_e32 v1, v1, v13
	s_or_b32 exec_lo, exec_lo, s0
	s_and_saveexec_b32 s0, vcc_lo
	s_cbranch_execz .LBB194_846
.LBB194_873:
	ds_read_b32 v13, v12 offset:64
	s_waitcnt lgkmcnt(0)
	v_add_f32_e32 v2, v2, v13
	s_or_b32 exec_lo, exec_lo, s0
	s_and_saveexec_b32 s0, vcc_lo
	s_cbranch_execz .LBB194_847
.LBB194_874:
	ds_read_b32 v13, v12 offset:96
	s_waitcnt lgkmcnt(0)
	v_add_f32_e32 v3, v3, v13
	s_or_b32 exec_lo, exec_lo, s0
	s_and_saveexec_b32 s0, vcc_lo
	s_cbranch_execz .LBB194_848
.LBB194_875:
	ds_read_b32 v13, v12 offset:128
	s_waitcnt lgkmcnt(0)
	v_add_f32_e32 v4, v4, v13
	s_or_b32 exec_lo, exec_lo, s0
	s_and_saveexec_b32 s0, vcc_lo
	s_cbranch_execz .LBB194_849
.LBB194_876:
	ds_read_b32 v13, v12 offset:160
	s_waitcnt lgkmcnt(0)
	v_add_f32_e32 v5, v5, v13
	s_or_b32 exec_lo, exec_lo, s0
	s_and_saveexec_b32 s0, vcc_lo
	s_cbranch_execz .LBB194_850
.LBB194_877:
	ds_read_b32 v13, v12 offset:192
	s_waitcnt lgkmcnt(0)
	v_add_f32_e32 v6, v6, v13
	s_or_b32 exec_lo, exec_lo, s0
	s_and_saveexec_b32 s0, vcc_lo
	s_cbranch_execz .LBB194_851
.LBB194_878:
	ds_read_b32 v13, v12 offset:224
	s_waitcnt lgkmcnt(0)
	v_add_f32_e32 v7, v7, v13
	s_or_b32 exec_lo, exec_lo, s0
	s_and_saveexec_b32 s0, vcc_lo
	s_cbranch_execz .LBB194_852
.LBB194_879:
	ds_read_b32 v13, v12 offset:256
	s_waitcnt lgkmcnt(0)
	v_add_f32_e32 v8, v8, v13
	s_or_b32 exec_lo, exec_lo, s0
	s_and_saveexec_b32 s0, vcc_lo
	s_cbranch_execz .LBB194_853
.LBB194_880:
	ds_read_b32 v13, v12 offset:288
	s_waitcnt lgkmcnt(0)
	v_add_f32_e32 v9, v9, v13
	s_or_b32 exec_lo, exec_lo, s0
	s_and_saveexec_b32 s0, vcc_lo
	s_cbranch_execz .LBB194_854
.LBB194_881:
	ds_read_b32 v13, v12 offset:320
	s_waitcnt lgkmcnt(0)
	v_add_f32_e32 v10, v10, v13
	s_or_b32 exec_lo, exec_lo, s0
	s_and_saveexec_b32 s0, vcc_lo
	s_cbranch_execnz .LBB194_855
	s_branch .LBB194_856
	.section	.rodata,"a",@progbits
	.p2align	6, 0x0
	.amdhsa_kernel _ZN4vllm25paged_attention_v1_kernelIfhLi96ELi16ELi128ELNS_18Fp8KVCacheDataTypeE1ELb0EEEvPT_PKS2_PKT0_S8_ifPKiSA_iPKfiiiSC_SC_iiiii
		.amdhsa_group_segment_fixed_size 416
		.amdhsa_private_segment_fixed_size 168
		.amdhsa_kernarg_size 384
		.amdhsa_user_sgpr_count 6
		.amdhsa_user_sgpr_private_segment_buffer 1
		.amdhsa_user_sgpr_dispatch_ptr 0
		.amdhsa_user_sgpr_queue_ptr 0
		.amdhsa_user_sgpr_kernarg_segment_ptr 1
		.amdhsa_user_sgpr_dispatch_id 0
		.amdhsa_user_sgpr_flat_scratch_init 0
		.amdhsa_user_sgpr_private_segment_size 0
		.amdhsa_wavefront_size32 1
		.amdhsa_uses_dynamic_stack 0
		.amdhsa_system_sgpr_private_segment_wavefront_offset 1
		.amdhsa_system_sgpr_workgroup_id_x 1
		.amdhsa_system_sgpr_workgroup_id_y 1
		.amdhsa_system_sgpr_workgroup_id_z 1
		.amdhsa_system_sgpr_workgroup_info 0
		.amdhsa_system_vgpr_workitem_id 0
		.amdhsa_next_free_vgpr 128
		.amdhsa_next_free_sgpr 40
		.amdhsa_reserve_vcc 1
		.amdhsa_reserve_flat_scratch 0
		.amdhsa_float_round_mode_32 0
		.amdhsa_float_round_mode_16_64 0
		.amdhsa_float_denorm_mode_32 3
		.amdhsa_float_denorm_mode_16_64 3
		.amdhsa_dx10_clamp 1
		.amdhsa_ieee_mode 1
		.amdhsa_fp16_overflow 0
		.amdhsa_workgroup_processor_mode 1
		.amdhsa_memory_ordered 1
		.amdhsa_forward_progress 1
		.amdhsa_shared_vgpr_count 0
		.amdhsa_exception_fp_ieee_invalid_op 0
		.amdhsa_exception_fp_denorm_src 0
		.amdhsa_exception_fp_ieee_div_zero 0
		.amdhsa_exception_fp_ieee_overflow 0
		.amdhsa_exception_fp_ieee_underflow 0
		.amdhsa_exception_fp_ieee_inexact 0
		.amdhsa_exception_int_div_zero 0
	.end_amdhsa_kernel
	.section	.text._ZN4vllm25paged_attention_v1_kernelIfhLi96ELi16ELi128ELNS_18Fp8KVCacheDataTypeE1ELb0EEEvPT_PKS2_PKT0_S8_ifPKiSA_iPKfiiiSC_SC_iiiii,"axG",@progbits,_ZN4vllm25paged_attention_v1_kernelIfhLi96ELi16ELi128ELNS_18Fp8KVCacheDataTypeE1ELb0EEEvPT_PKS2_PKT0_S8_ifPKiSA_iPKfiiiSC_SC_iiiii,comdat
.Lfunc_end194:
	.size	_ZN4vllm25paged_attention_v1_kernelIfhLi96ELi16ELi128ELNS_18Fp8KVCacheDataTypeE1ELb0EEEvPT_PKS2_PKT0_S8_ifPKiSA_iPKfiiiSC_SC_iiiii, .Lfunc_end194-_ZN4vllm25paged_attention_v1_kernelIfhLi96ELi16ELi128ELNS_18Fp8KVCacheDataTypeE1ELb0EEEvPT_PKS2_PKT0_S8_ifPKiSA_iPKfiiiSC_SC_iiiii
                                        ; -- End function
	.set _ZN4vllm25paged_attention_v1_kernelIfhLi96ELi16ELi128ELNS_18Fp8KVCacheDataTypeE1ELb0EEEvPT_PKS2_PKT0_S8_ifPKiSA_iPKfiiiSC_SC_iiiii.num_vgpr, 128
	.set _ZN4vllm25paged_attention_v1_kernelIfhLi96ELi16ELi128ELNS_18Fp8KVCacheDataTypeE1ELb0EEEvPT_PKS2_PKT0_S8_ifPKiSA_iPKfiiiSC_SC_iiiii.num_agpr, 0
	.set _ZN4vllm25paged_attention_v1_kernelIfhLi96ELi16ELi128ELNS_18Fp8KVCacheDataTypeE1ELb0EEEvPT_PKS2_PKT0_S8_ifPKiSA_iPKfiiiSC_SC_iiiii.numbered_sgpr, 40
	.set _ZN4vllm25paged_attention_v1_kernelIfhLi96ELi16ELi128ELNS_18Fp8KVCacheDataTypeE1ELb0EEEvPT_PKS2_PKT0_S8_ifPKiSA_iPKfiiiSC_SC_iiiii.num_named_barrier, 0
	.set _ZN4vllm25paged_attention_v1_kernelIfhLi96ELi16ELi128ELNS_18Fp8KVCacheDataTypeE1ELb0EEEvPT_PKS2_PKT0_S8_ifPKiSA_iPKfiiiSC_SC_iiiii.private_seg_size, 168
	.set _ZN4vllm25paged_attention_v1_kernelIfhLi96ELi16ELi128ELNS_18Fp8KVCacheDataTypeE1ELb0EEEvPT_PKS2_PKT0_S8_ifPKiSA_iPKfiiiSC_SC_iiiii.uses_vcc, 1
	.set _ZN4vllm25paged_attention_v1_kernelIfhLi96ELi16ELi128ELNS_18Fp8KVCacheDataTypeE1ELb0EEEvPT_PKS2_PKT0_S8_ifPKiSA_iPKfiiiSC_SC_iiiii.uses_flat_scratch, 0
	.set _ZN4vllm25paged_attention_v1_kernelIfhLi96ELi16ELi128ELNS_18Fp8KVCacheDataTypeE1ELb0EEEvPT_PKS2_PKT0_S8_ifPKiSA_iPKfiiiSC_SC_iiiii.has_dyn_sized_stack, 0
	.set _ZN4vllm25paged_attention_v1_kernelIfhLi96ELi16ELi128ELNS_18Fp8KVCacheDataTypeE1ELb0EEEvPT_PKS2_PKT0_S8_ifPKiSA_iPKfiiiSC_SC_iiiii.has_recursion, 0
	.set _ZN4vllm25paged_attention_v1_kernelIfhLi96ELi16ELi128ELNS_18Fp8KVCacheDataTypeE1ELb0EEEvPT_PKS2_PKT0_S8_ifPKiSA_iPKfiiiSC_SC_iiiii.has_indirect_call, 0
	.section	.AMDGPU.csdata,"",@progbits
; Kernel info:
; codeLenInByte = 26756
; TotalNumSgprs: 42
; NumVgprs: 128
; ScratchSize: 168
; MemoryBound: 0
; FloatMode: 240
; IeeeMode: 1
; LDSByteSize: 416 bytes/workgroup (compile time only)
; SGPRBlocks: 0
; VGPRBlocks: 15
; NumSGPRsForWavesPerEU: 42
; NumVGPRsForWavesPerEU: 128
; Occupancy: 8
; WaveLimiterHint : 1
; COMPUTE_PGM_RSRC2:SCRATCH_EN: 1
; COMPUTE_PGM_RSRC2:USER_SGPR: 6
; COMPUTE_PGM_RSRC2:TRAP_HANDLER: 0
; COMPUTE_PGM_RSRC2:TGID_X_EN: 1
; COMPUTE_PGM_RSRC2:TGID_Y_EN: 1
; COMPUTE_PGM_RSRC2:TGID_Z_EN: 1
; COMPUTE_PGM_RSRC2:TIDIG_COMP_CNT: 0
	.section	.text._ZN4vllm25paged_attention_v1_kernelIfhLi112ELi16ELi128ELNS_18Fp8KVCacheDataTypeE1ELb0EEEvPT_PKS2_PKT0_S8_ifPKiSA_iPKfiiiSC_SC_iiiii,"axG",@progbits,_ZN4vllm25paged_attention_v1_kernelIfhLi112ELi16ELi128ELNS_18Fp8KVCacheDataTypeE1ELb0EEEvPT_PKS2_PKT0_S8_ifPKiSA_iPKfiiiSC_SC_iiiii,comdat
	.protected	_ZN4vllm25paged_attention_v1_kernelIfhLi112ELi16ELi128ELNS_18Fp8KVCacheDataTypeE1ELb0EEEvPT_PKS2_PKT0_S8_ifPKiSA_iPKfiiiSC_SC_iiiii ; -- Begin function _ZN4vllm25paged_attention_v1_kernelIfhLi112ELi16ELi128ELNS_18Fp8KVCacheDataTypeE1ELb0EEEvPT_PKS2_PKT0_S8_ifPKiSA_iPKfiiiSC_SC_iiiii
	.globl	_ZN4vllm25paged_attention_v1_kernelIfhLi112ELi16ELi128ELNS_18Fp8KVCacheDataTypeE1ELb0EEEvPT_PKS2_PKT0_S8_ifPKiSA_iPKfiiiSC_SC_iiiii
	.p2align	8
	.type	_ZN4vllm25paged_attention_v1_kernelIfhLi112ELi16ELi128ELNS_18Fp8KVCacheDataTypeE1ELb0EEEvPT_PKS2_PKT0_S8_ifPKiSA_iPKfiiiSC_SC_iiiii,@function
_ZN4vllm25paged_attention_v1_kernelIfhLi112ELi16ELi128ELNS_18Fp8KVCacheDataTypeE1ELb0EEEvPT_PKS2_PKT0_S8_ifPKiSA_iPKfiiiSC_SC_iiiii: ; @_ZN4vllm25paged_attention_v1_kernelIfhLi112ELi16ELi128ELNS_18Fp8KVCacheDataTypeE1ELb0EEEvPT_PKS2_PKT0_S8_ifPKiSA_iPKfiiiSC_SC_iiiii
; %bb.0:
	s_mov_b64 s[38:39], s[2:3]
	s_mov_b64 s[36:37], s[0:1]
	s_mov_b32 s10, s7
	s_add_u32 s36, s36, s9
	s_clause 0x2
	s_load_dword s9, s[4:5], 0x80
	s_load_dwordx2 s[0:1], s[4:5], 0x30
	s_load_dwordx2 s[28:29], s[4:5], 0x20
	s_addc_u32 s37, s37, 0
	s_ashr_i32 s11, s7, 31
	v_mov_b32_e32 v105, v0
	s_lshl_b64 s[2:3], s[10:11], 2
	s_waitcnt lgkmcnt(0)
	s_add_u32 s0, s0, s2
	s_addc_u32 s1, s1, s3
	s_abs_i32 s2, s28
	s_abs_i32 s11, s9
	v_cvt_f32_u32_e32 v0, s2
	s_sub_i32 s7, 0, s2
	v_rcp_iflag_f32_e32 v0, v0
	v_mul_f32_e32 v0, 0x4f7ffffe, v0
	v_cvt_u32_f32_e32 v0, v0
	v_readfirstlane_b32 s3, v0
	s_mul_i32 s7, s7, s3
	s_mul_hi_u32 s7, s3, s7
	s_add_i32 s3, s3, s7
	s_xor_b32 s7, s9, s28
	s_mul_hi_u32 s3, s11, s3
	s_ashr_i32 s7, s7, 31
	s_mul_i32 s12, s3, s2
	s_mov_b32 s28, 0
	s_sub_i32 s11, s11, s12
	s_add_i32 s12, s3, 1
	s_sub_i32 s13, s11, s2
	s_cmp_ge_u32 s11, s2
	s_cselect_b32 s3, s12, s3
	s_cselect_b32 s11, s13, s11
	s_add_i32 s12, s3, 1
	s_cmp_ge_u32 s11, s2
	s_cselect_b32 s2, s12, s3
	s_abs_i32 s17, s6
	s_xor_b32 s2, s2, s7
	s_sub_i32 s19, s2, s7
	s_load_dwordx2 s[2:3], s[4:5], 0x40
	s_abs_i32 s16, s19
	v_cvt_f32_u32_e32 v0, s16
	s_sub_i32 s11, 0, s16
	v_rcp_iflag_f32_e32 v0, v0
	v_mul_f32_e32 v0, 0x4f7ffffe, v0
	v_cvt_u32_f32_e32 v0, v0
	v_readfirstlane_b32 s7, v0
	s_mul_i32 s11, s11, s7
	s_mul_hi_u32 s11, s7, s11
	s_add_i32 s7, s7, s11
	s_waitcnt lgkmcnt(0)
	s_cmp_eq_u64 s[2:3], 0
	s_mul_hi_u32 s18, s17, s7
	s_cbranch_scc1 .LBB195_2
; %bb.1:
	s_ashr_i32 s7, s6, 31
	s_lshl_b64 s[12:13], s[6:7], 2
	s_add_u32 s2, s2, s12
	s_addc_u32 s3, s3, s13
	s_load_dword s28, s[2:3], 0x0
.LBB195_2:
	s_load_dword s11, s[0:1], 0x0
	s_load_dwordx4 s[12:15], s[4:5], 0x48
	v_and_b32_e32 v0, 1, v105
	v_lshlrev_b32_e32 v11, 2, v105
	s_ashr_i32 s0, s6, 31
	s_ashr_i32 s1, s19, 31
	s_mulk_i32 s6, 0x70
	s_mov_b32 s2, exec_lo
	v_cmpx_gt_u32_e32 56, v105
	s_cbranch_execz .LBB195_4
; %bb.3:
	s_load_dwordx2 s[20:21], s[4:5], 0x8
	s_waitcnt lgkmcnt(0)
	s_mul_i32 s22, s12, s10
	v_lshlrev_b32_e32 v1, 3, v105
	s_ashr_i32 s23, s22, 31
	v_and_b32_e32 v3, 0xff8, v11
	s_lshl_b64 s[22:23], s[22:23], 2
	v_mad_u32_u24 v3, 0xe0, v0, v3
	s_add_u32 s3, s20, s22
	s_addc_u32 s12, s21, s23
	s_ashr_i32 s7, s6, 31
	s_lshl_b64 s[20:21], s[6:7], 2
	s_add_u32 s20, s3, s20
	s_addc_u32 s21, s12, s21
	global_load_dwordx2 v[1:2], v1, s[20:21]
	s_waitcnt vmcnt(0)
	ds_write_b64 v3, v[1:2]
.LBB195_4:
	s_or_b32 exec_lo, exec_lo, s2
	s_waitcnt lgkmcnt(0)
	s_add_i32 s2, s11, 15
	s_clause 0x1
	s_load_dwordx2 s[22:23], s[4:5], 0x28
	s_load_dword s7, s[4:5], 0x38
	s_ashr_i32 s3, s2, 31
	s_xor_b32 s0, s0, s1
	s_lshr_b32 s3, s3, 28
	s_mul_i32 s1, s18, s16
	s_add_i32 s2, s2, s3
	s_sub_i32 s1, s17, s1
	s_ashr_i32 s12, s2, 4
	s_add_i32 s2, s18, 1
	s_sub_i32 s3, s1, s16
	s_cmp_ge_u32 s1, s16
	v_lshrrev_b32_e32 v106, 5, v105
	s_cselect_b32 s2, s2, s18
	s_cselect_b32 s1, s3, s1
	s_add_i32 s3, s2, 1
	s_cmp_ge_u32 s1, s16
	v_mbcnt_lo_u32_b32 v13, -1, 0
	s_cselect_b32 s1, s3, s2
	s_mov_b32 s2, exec_lo
	s_xor_b32 s1, s1, s0
	s_waitcnt lgkmcnt(0)
	s_mul_i32 s24, s7, s10
	s_sub_i32 s1, s1, s0
	v_cmp_gt_i32_e64 s0, s12, v106
	s_ashr_i32 s25, s24, 31
	s_barrier
	buffer_gl0_inv
                                        ; implicit-def: $vgpr58
                                        ; implicit-def: $vgpr8
	v_cmpx_le_i32_e64 s12, v106
	s_xor_b32 s2, exec_lo, s2
; %bb.5:
	v_mov_b32_e32 v58, 0
	v_mbcnt_lo_u32_b32 v13, -1, 0
	v_mov_b32_e32 v8, 32
                                        ; implicit-def: $vgpr0
; %bb.6:
	s_or_saveexec_b32 s15, s2
	s_clause 0x3
	s_load_dwordx2 s[20:21], s[4:5], 0x0
	s_load_dwordx2 s[26:27], s[4:5], 0x18
	s_load_dword s7, s[4:5], 0x88
	s_load_dwordx4 s[16:19], s[4:5], 0x58
	v_mov_b32_e32 v56, 0xff7fffff
	v_lshrrev_b32_e32 v12, 3, v105
	s_mul_i32 s14, s1, s14
	s_xor_b32 exec_lo, exec_lo, s15
	s_cbranch_execz .LBB195_460
; %bb.7:
	v_mul_u32_u24_e32 v2, 0xe0, v0
	buffer_store_dword v11, off, s[36:39], 0 offset:240 ; 4-byte Folded Spill
	s_load_dwordx2 s[2:3], s[4:5], 0x10
	buffer_store_dword v105, off, s[36:39], 0 offset:236 ; 4-byte Folded Spill
	s_waitcnt lgkmcnt(0)
	s_load_dword s4, s[16:17], 0x0
	ds_read_b128 v[6:9], v2
	v_xor_b32_e32 v4, 1, v13
	v_bfe_u32 v1, v105, 1, 4
	s_ashr_i32 s1, s14, 31
	v_lshlrev_b32_e32 v3, 1, v0
	v_mov_b32_e32 v52, v106
	v_cmp_gt_i32_e32 vcc_lo, 32, v4
	v_lshlrev_b32_e32 v5, 4, v1
	v_mov_b32_e32 v58, 0
	v_mov_b32_e32 v56, 0xff7fffff
	v_lshl_or_b32 v127, v52, 4, v1
	v_cndmask_b32_e32 v4, v13, v4, vcc_lo
	v_cmp_eq_u32_e32 vcc_lo, 0, v0
	v_lshlrev_b32_e32 v0, 2, v1
	v_mov_b32_e32 v51, 0x80
	v_bfrev_b32_e32 v46, 1
	v_lshlrev_b32_e32 v4, 2, v4
	s_add_u32 s2, s2, s14
	s_addc_u32 s1, s3, s1
	v_add_co_u32 v5, s2, s2, v5
	s_waitcnt lgkmcnt(0)
	buffer_store_dword v6, off, s[36:39], 0 ; 4-byte Folded Spill
	buffer_store_dword v7, off, s[36:39], 0 offset:4 ; 4-byte Folded Spill
	buffer_store_dword v8, off, s[36:39], 0 offset:8 ; 4-byte Folded Spill
	;; [unrolled: 1-line block ×3, first 2 shown]
	ds_read_b128 v[6:9], v2 offset:16
	v_lshl_or_b32 v0, v106, 6, v0
	s_sub_i32 s5, 1, s11
	v_mov_b32_e32 v70, 0x7f800001
	s_mov_b32 s17, s13
	s_mov_b32 s16, 0
	v_add_nc_u32_e32 v0, 0x1e0, v0
	s_mov_b32 s30, s4
	s_waitcnt lgkmcnt(0)
	buffer_store_dword v6, off, s[36:39], 0 offset:16 ; 4-byte Folded Spill
	buffer_store_dword v7, off, s[36:39], 0 offset:20 ; 4-byte Folded Spill
	buffer_store_dword v8, off, s[36:39], 0 offset:24 ; 4-byte Folded Spill
	buffer_store_dword v9, off, s[36:39], 0 offset:28 ; 4-byte Folded Spill
	ds_read_b128 v[6:9], v2 offset:32
	s_waitcnt lgkmcnt(0)
	buffer_store_dword v6, off, s[36:39], 0 offset:32 ; 4-byte Folded Spill
	buffer_store_dword v7, off, s[36:39], 0 offset:36 ; 4-byte Folded Spill
	buffer_store_dword v8, off, s[36:39], 0 offset:40 ; 4-byte Folded Spill
	buffer_store_dword v9, off, s[36:39], 0 offset:44 ; 4-byte Folded Spill
	ds_read_b128 v[6:9], v2 offset:48
	s_waitcnt lgkmcnt(0)
	buffer_store_dword v6, off, s[36:39], 0 offset:48 ; 4-byte Folded Spill
	buffer_store_dword v7, off, s[36:39], 0 offset:52 ; 4-byte Folded Spill
	buffer_store_dword v8, off, s[36:39], 0 offset:56 ; 4-byte Folded Spill
	buffer_store_dword v9, off, s[36:39], 0 offset:60 ; 4-byte Folded Spill
	ds_read_b128 v[6:9], v2 offset:64
	s_waitcnt lgkmcnt(0)
	buffer_store_dword v6, off, s[36:39], 0 offset:64 ; 4-byte Folded Spill
	buffer_store_dword v7, off, s[36:39], 0 offset:68 ; 4-byte Folded Spill
	buffer_store_dword v8, off, s[36:39], 0 offset:72 ; 4-byte Folded Spill
	buffer_store_dword v9, off, s[36:39], 0 offset:76 ; 4-byte Folded Spill
	ds_read_b128 v[6:9], v2 offset:80
	s_waitcnt lgkmcnt(0)
	buffer_store_dword v6, off, s[36:39], 0 offset:80 ; 4-byte Folded Spill
	buffer_store_dword v7, off, s[36:39], 0 offset:84 ; 4-byte Folded Spill
	buffer_store_dword v8, off, s[36:39], 0 offset:88 ; 4-byte Folded Spill
	buffer_store_dword v9, off, s[36:39], 0 offset:92 ; 4-byte Folded Spill
	ds_read_b128 v[7:10], v2 offset:96
	buffer_store_dword v13, off, s[36:39], 0 offset:248 ; 4-byte Folded Spill
	v_add_co_ci_u32_e64 v6, null, s1, 0, s2
	v_add_co_u32 v3, s2, v5, v3
	v_cmp_neq_f32_e64 s1, s28, 0
	s_waitcnt lgkmcnt(0)
	buffer_store_dword v7, off, s[36:39], 0 offset:96 ; 4-byte Folded Spill
	buffer_store_dword v8, off, s[36:39], 0 offset:100 ; 4-byte Folded Spill
	;; [unrolled: 1-line block ×4, first 2 shown]
	ds_read_b128 v[7:10], v2 offset:112
	s_waitcnt lgkmcnt(0)
	buffer_store_dword v7, off, s[36:39], 0 offset:112 ; 4-byte Folded Spill
	buffer_store_dword v8, off, s[36:39], 0 offset:116 ; 4-byte Folded Spill
	;; [unrolled: 1-line block ×5, first 2 shown]
	v_add_co_ci_u32_e64 v4, null, 0, v6, s2
	buffer_store_dword v3, off, s[36:39], 0 offset:132 ; 4-byte Folded Spill
	buffer_store_dword v4, off, s[36:39], 0 offset:136 ; 4-byte Folded Spill
	ds_read_b128 v[3:6], v2 offset:128
	s_lshl_b64 s[2:3], s[24:25], 2
	s_waitcnt lgkmcnt(0)
	buffer_store_dword v3, off, s[36:39], 0 offset:140 ; 4-byte Folded Spill
	buffer_store_dword v4, off, s[36:39], 0 offset:144 ; 4-byte Folded Spill
	;; [unrolled: 1-line block ×4, first 2 shown]
	ds_read_b128 v[3:6], v2 offset:144
	s_add_u32 s2, s22, s2
	s_addc_u32 s3, s23, s3
	s_waitcnt lgkmcnt(0)
	buffer_store_dword v3, off, s[36:39], 0 offset:156 ; 4-byte Folded Spill
	buffer_store_dword v4, off, s[36:39], 0 offset:160 ; 4-byte Folded Spill
	buffer_store_dword v5, off, s[36:39], 0 offset:164 ; 4-byte Folded Spill
	buffer_store_dword v6, off, s[36:39], 0 offset:168 ; 4-byte Folded Spill
	ds_read_b128 v[3:6], v2 offset:160
	s_waitcnt lgkmcnt(0)
	buffer_store_dword v3, off, s[36:39], 0 offset:172 ; 4-byte Folded Spill
	buffer_store_dword v4, off, s[36:39], 0 offset:176 ; 4-byte Folded Spill
	buffer_store_dword v5, off, s[36:39], 0 offset:180 ; 4-byte Folded Spill
	buffer_store_dword v6, off, s[36:39], 0 offset:184 ; 4-byte Folded Spill
	ds_read_b128 v[3:6], v2 offset:176
	;; [unrolled: 6-line block ×4, first 2 shown]
	s_waitcnt lgkmcnt(0)
	buffer_store_dword v1, off, s[36:39], 0 offset:220 ; 4-byte Folded Spill
	buffer_store_dword v2, off, s[36:39], 0 offset:224 ; 4-byte Folded Spill
	;; [unrolled: 1-line block ×5, first 2 shown]
	v_and_b32_e32 v1, 0x7c, v12
	buffer_store_dword v52, off, s[36:39], 0 offset:252 ; 4-byte Folded Spill
	v_add_co_u32 v61, s2, s2, v1
	v_add_co_ci_u32_e64 v62, null, s3, 0, s2
	s_branch .LBB195_9
.LBB195_8:                              ;   in Loop: Header=BB195_9 Depth=1
	s_or_b32 exec_lo, exec_lo, s3
	v_add_nc_u32_e32 v52, 4, v52
	v_add_co_u32 v61, s3, v61, 16
	v_add_nc_u32_e32 v127, 64, v127
	v_add_nc_u32_e32 v0, 0x100, v0
	v_cmp_le_i32_e64 s2, s12, v52
	v_add_co_ci_u32_e64 v62, null, 0, v62, s3
	s_or_b32 s16, s2, s16
	s_andn2_b32 exec_lo, exec_lo, s16
	s_cbranch_execz .LBB195_459
.LBB195_9:                              ; =>This Inner Loop Header: Depth=1
	global_load_dword v1, v[61:62], off
	s_waitcnt lgkmcnt(0)
	s_clause 0x1
	buffer_load_dword v2, off, s[36:39], 0 offset:132
	buffer_load_dword v3, off, s[36:39], 0 offset:136
	v_mov_b32_e32 v49, 0
	v_mov_b32_e32 v67, 0
	;; [unrolled: 1-line block ×4, first 2 shown]
	s_waitcnt vmcnt(0)
	v_mad_i64_i32 v[75:76], null, v1, s17, v[2:3]
	global_load_ushort v2, v[75:76], off
	s_waitcnt vmcnt(0)
	v_and_b32_e32 v1, 0xffff, v2
	v_cmp_ne_u16_sdwa s2, v2, v58 src0_sel:BYTE_0 src1_sel:DWORD
	s_and_saveexec_b32 s3, s2
	s_cbranch_execz .LBB195_17
; %bb.10:                               ;   in Loop: Header=BB195_9 Depth=1
	v_bfrev_b32_e32 v67, 1
	v_mov_b32_e32 v68, 0
	v_cmp_ne_u16_sdwa s2, v1, v51 src0_sel:BYTE_0 src1_sel:DWORD
	s_and_saveexec_b32 s31, s2
	s_cbranch_execz .LBB195_16
; %bb.11:                               ;   in Loop: Header=BB195_9 Depth=1
	v_mov_b32_e32 v67, 0x7f800001
	v_and_b32_e32 v3, 0x7f, v1
	v_mov_b32_e32 v68, 0
	s_mov_b32 s33, exec_lo
	v_cmpx_ne_u32_e32 0x7f, v3
	s_cbranch_execz .LBB195_15
; %bb.12:                               ;   in Loop: Header=BB195_9 Depth=1
	v_and_b32_e32 v57, 7, v1
	v_lshrrev_b32_e32 v2, 3, v3
	s_mov_b32 s34, exec_lo
	v_cmpx_gt_u32_e32 8, v3
; %bb.13:                               ;   in Loop: Header=BB195_9 Depth=1
	v_ffbh_u32_e32 v2, v57
	v_min_u32_e32 v2, 32, v2
	v_subrev_nc_u32_e32 v3, 28, v2
	v_sub_nc_u32_e32 v2, 29, v2
	v_lshlrev_b64 v[3:4], v3, v[57:58]
	v_and_b32_e32 v57, 7, v3
; %bb.14:                               ;   in Loop: Header=BB195_9 Depth=1
	s_or_b32 exec_lo, exec_lo, s34
	v_lshlrev_b32_e32 v3, 24, v1
	v_lshlrev_b32_e32 v4, 20, v57
	v_lshl_add_u32 v2, v2, 23, 0x3c000000
	v_and_b32_e32 v3, 0x80000000, v3
	v_or3_b32 v57, v4, v3, v2
	v_mov_b32_e32 v68, v58
	v_mov_b32_e32 v67, v57
.LBB195_15:                             ;   in Loop: Header=BB195_9 Depth=1
	s_or_b32 exec_lo, exec_lo, s33
.LBB195_16:                             ;   in Loop: Header=BB195_9 Depth=1
	s_or_b32 exec_lo, exec_lo, s31
.LBB195_17:                             ;   in Loop: Header=BB195_9 Depth=1
	s_or_b32 exec_lo, exec_lo, s3
	v_cmp_ne_u16_sdwa s2, v1, v58 src0_sel:BYTE_1 src1_sel:DWORD
	s_and_saveexec_b32 s3, s2
	s_cbranch_execz .LBB195_25
; %bb.18:                               ;   in Loop: Header=BB195_9 Depth=1
	v_mov_b32_e32 v45, v58
	v_mov_b32_e32 v50, v46
	v_cmp_ne_u16_sdwa s2, v1, v51 src0_sel:BYTE_1 src1_sel:DWORD
	v_mov_b32_e32 v49, v45
	s_and_saveexec_b32 s31, s2
	s_cbranch_execz .LBB195_24
; %bb.19:                               ;   in Loop: Header=BB195_9 Depth=1
	v_mov_b32_e32 v2, 0xffff
	v_mov_b32_e32 v69, v58
	s_mov_b32 s33, exec_lo
	v_and_b32_sdwa v2, v2, v1 dst_sel:DWORD dst_unused:UNUSED_PAD src0_sel:DWORD src1_sel:BYTE_1
	v_mov_b32_e32 v49, v69
	v_mov_b32_e32 v50, v70
	v_and_b32_e32 v3, 0x7f, v2
	v_cmpx_ne_u32_e32 0x7f, v3
	s_cbranch_execz .LBB195_23
; %bb.20:                               ;   in Loop: Header=BB195_9 Depth=1
	v_and_b32_e32 v57, 7, v2
	v_lshrrev_b32_e32 v2, 3, v3
	s_mov_b32 s34, exec_lo
	v_cmpx_gt_u32_e32 8, v3
; %bb.21:                               ;   in Loop: Header=BB195_9 Depth=1
	v_ffbh_u32_e32 v2, v57
	v_min_u32_e32 v2, 32, v2
	v_subrev_nc_u32_e32 v3, 28, v2
	v_sub_nc_u32_e32 v2, 29, v2
	v_lshlrev_b64 v[3:4], v3, v[57:58]
	v_and_b32_e32 v57, 7, v3
; %bb.22:                               ;   in Loop: Header=BB195_9 Depth=1
	s_or_b32 exec_lo, exec_lo, s34
	v_lshlrev_b32_e32 v1, 16, v1
	v_lshlrev_b32_e32 v3, 20, v57
	v_lshl_add_u32 v2, v2, 23, 0x3c000000
	v_mov_b32_e32 v49, v58
	v_and_b32_e32 v1, 0x80000000, v1
	v_or3_b32 v50, v3, v1, v2
.LBB195_23:                             ;   in Loop: Header=BB195_9 Depth=1
	s_or_b32 exec_lo, exec_lo, s33
.LBB195_24:                             ;   in Loop: Header=BB195_9 Depth=1
	s_or_b32 exec_lo, exec_lo, s31
.LBB195_25:                             ;   in Loop: Header=BB195_9 Depth=1
	s_or_b32 exec_lo, exec_lo, s3
	global_load_ushort v2, v[75:76], off offset:4
	v_mov_b32_e32 v73, 0
	v_mov_b32_e32 v71, 0
	;; [unrolled: 1-line block ×4, first 2 shown]
	s_waitcnt vmcnt(0)
	v_and_b32_e32 v1, 0xffff, v2
	v_cmp_ne_u16_sdwa s2, v2, v58 src0_sel:BYTE_0 src1_sel:DWORD
	s_and_saveexec_b32 s3, s2
	s_cbranch_execz .LBB195_33
; %bb.26:                               ;   in Loop: Header=BB195_9 Depth=1
	v_bfrev_b32_e32 v71, 1
	v_mov_b32_e32 v72, 0
	v_cmp_ne_u16_sdwa s2, v1, v51 src0_sel:BYTE_0 src1_sel:DWORD
	s_and_saveexec_b32 s31, s2
	s_cbranch_execz .LBB195_32
; %bb.27:                               ;   in Loop: Header=BB195_9 Depth=1
	v_mov_b32_e32 v71, 0x7f800001
	v_and_b32_e32 v3, 0x7f, v1
	v_mov_b32_e32 v72, 0
	s_mov_b32 s33, exec_lo
	v_cmpx_ne_u32_e32 0x7f, v3
	s_cbranch_execz .LBB195_31
; %bb.28:                               ;   in Loop: Header=BB195_9 Depth=1
	v_and_b32_e32 v57, 7, v1
	v_lshrrev_b32_e32 v2, 3, v3
	s_mov_b32 s34, exec_lo
	v_cmpx_gt_u32_e32 8, v3
; %bb.29:                               ;   in Loop: Header=BB195_9 Depth=1
	v_ffbh_u32_e32 v2, v57
	v_min_u32_e32 v2, 32, v2
	v_subrev_nc_u32_e32 v3, 28, v2
	v_sub_nc_u32_e32 v2, 29, v2
	v_lshlrev_b64 v[3:4], v3, v[57:58]
	v_and_b32_e32 v57, 7, v3
; %bb.30:                               ;   in Loop: Header=BB195_9 Depth=1
	s_or_b32 exec_lo, exec_lo, s34
	v_lshlrev_b32_e32 v3, 24, v1
	v_lshlrev_b32_e32 v4, 20, v57
	v_lshl_add_u32 v2, v2, 23, 0x3c000000
	v_and_b32_e32 v3, 0x80000000, v3
	v_or3_b32 v57, v4, v3, v2
	v_mov_b32_e32 v72, v58
	v_mov_b32_e32 v71, v57
.LBB195_31:                             ;   in Loop: Header=BB195_9 Depth=1
	s_or_b32 exec_lo, exec_lo, s33
.LBB195_32:                             ;   in Loop: Header=BB195_9 Depth=1
	s_or_b32 exec_lo, exec_lo, s31
.LBB195_33:                             ;   in Loop: Header=BB195_9 Depth=1
	s_or_b32 exec_lo, exec_lo, s3
	v_cmp_ne_u16_sdwa s2, v1, v58 src0_sel:BYTE_1 src1_sel:DWORD
	s_and_saveexec_b32 s3, s2
	s_cbranch_execz .LBB195_41
; %bb.34:                               ;   in Loop: Header=BB195_9 Depth=1
	v_mov_b32_e32 v45, v58
	v_mov_b32_e32 v74, v46
	v_cmp_ne_u16_sdwa s2, v1, v51 src0_sel:BYTE_1 src1_sel:DWORD
	v_mov_b32_e32 v73, v45
	s_and_saveexec_b32 s31, s2
	s_cbranch_execz .LBB195_40
; %bb.35:                               ;   in Loop: Header=BB195_9 Depth=1
	v_mov_b32_e32 v2, 0xffff
	v_mov_b32_e32 v69, v58
	;; [unrolled: 1-line block ×3, first 2 shown]
	s_mov_b32 s33, exec_lo
	v_and_b32_sdwa v2, v2, v1 dst_sel:DWORD dst_unused:UNUSED_PAD src0_sel:DWORD src1_sel:BYTE_1
	v_mov_b32_e32 v73, v69
	v_and_b32_e32 v3, 0x7f, v2
	v_cmpx_ne_u32_e32 0x7f, v3
	s_cbranch_execz .LBB195_39
; %bb.36:                               ;   in Loop: Header=BB195_9 Depth=1
	v_and_b32_e32 v57, 7, v2
	v_lshrrev_b32_e32 v2, 3, v3
	s_mov_b32 s34, exec_lo
	v_cmpx_gt_u32_e32 8, v3
; %bb.37:                               ;   in Loop: Header=BB195_9 Depth=1
	v_ffbh_u32_e32 v2, v57
	v_min_u32_e32 v2, 32, v2
	v_subrev_nc_u32_e32 v3, 28, v2
	v_sub_nc_u32_e32 v2, 29, v2
	v_lshlrev_b64 v[3:4], v3, v[57:58]
	v_and_b32_e32 v57, 7, v3
; %bb.38:                               ;   in Loop: Header=BB195_9 Depth=1
	s_or_b32 exec_lo, exec_lo, s34
	v_lshlrev_b32_e32 v1, 16, v1
	v_lshlrev_b32_e32 v3, 20, v57
	v_lshl_add_u32 v2, v2, 23, 0x3c000000
	v_mov_b32_e32 v73, v58
	v_and_b32_e32 v1, 0x80000000, v1
	v_or3_b32 v74, v3, v1, v2
.LBB195_39:                             ;   in Loop: Header=BB195_9 Depth=1
	s_or_b32 exec_lo, exec_lo, s33
.LBB195_40:                             ;   in Loop: Header=BB195_9 Depth=1
	s_or_b32 exec_lo, exec_lo, s31
.LBB195_41:                             ;   in Loop: Header=BB195_9 Depth=1
	s_or_b32 exec_lo, exec_lo, s3
	global_load_ushort v2, v[75:76], off offset:8
	v_mov_b32_e32 v79, 0
	v_mov_b32_e32 v77, 0
	;; [unrolled: 1-line block ×4, first 2 shown]
	s_waitcnt vmcnt(0)
	v_and_b32_e32 v1, 0xffff, v2
	v_cmp_ne_u16_sdwa s2, v2, v58 src0_sel:BYTE_0 src1_sel:DWORD
	s_and_saveexec_b32 s3, s2
	s_cbranch_execz .LBB195_49
; %bb.42:                               ;   in Loop: Header=BB195_9 Depth=1
	v_bfrev_b32_e32 v77, 1
	v_mov_b32_e32 v78, 0
	v_cmp_ne_u16_sdwa s2, v1, v51 src0_sel:BYTE_0 src1_sel:DWORD
	s_and_saveexec_b32 s31, s2
	s_cbranch_execz .LBB195_48
; %bb.43:                               ;   in Loop: Header=BB195_9 Depth=1
	v_mov_b32_e32 v77, 0x7f800001
	v_and_b32_e32 v3, 0x7f, v1
	v_mov_b32_e32 v78, 0
	s_mov_b32 s33, exec_lo
	v_cmpx_ne_u32_e32 0x7f, v3
	s_cbranch_execz .LBB195_47
; %bb.44:                               ;   in Loop: Header=BB195_9 Depth=1
	v_and_b32_e32 v57, 7, v1
	v_lshrrev_b32_e32 v2, 3, v3
	s_mov_b32 s34, exec_lo
	v_cmpx_gt_u32_e32 8, v3
; %bb.45:                               ;   in Loop: Header=BB195_9 Depth=1
	v_ffbh_u32_e32 v2, v57
	v_min_u32_e32 v2, 32, v2
	v_subrev_nc_u32_e32 v3, 28, v2
	v_sub_nc_u32_e32 v2, 29, v2
	v_lshlrev_b64 v[3:4], v3, v[57:58]
	v_and_b32_e32 v57, 7, v3
; %bb.46:                               ;   in Loop: Header=BB195_9 Depth=1
	s_or_b32 exec_lo, exec_lo, s34
	v_lshlrev_b32_e32 v3, 24, v1
	v_lshlrev_b32_e32 v4, 20, v57
	v_lshl_add_u32 v2, v2, 23, 0x3c000000
	v_and_b32_e32 v3, 0x80000000, v3
	v_or3_b32 v57, v4, v3, v2
	v_mov_b32_e32 v78, v58
	v_mov_b32_e32 v77, v57
.LBB195_47:                             ;   in Loop: Header=BB195_9 Depth=1
	s_or_b32 exec_lo, exec_lo, s33
.LBB195_48:                             ;   in Loop: Header=BB195_9 Depth=1
	s_or_b32 exec_lo, exec_lo, s31
.LBB195_49:                             ;   in Loop: Header=BB195_9 Depth=1
	s_or_b32 exec_lo, exec_lo, s3
	v_cmp_ne_u16_sdwa s2, v1, v58 src0_sel:BYTE_1 src1_sel:DWORD
	s_and_saveexec_b32 s3, s2
	s_cbranch_execz .LBB195_57
; %bb.50:                               ;   in Loop: Header=BB195_9 Depth=1
	v_mov_b32_e32 v45, v58
	v_mov_b32_e32 v80, v46
	v_cmp_ne_u16_sdwa s2, v1, v51 src0_sel:BYTE_1 src1_sel:DWORD
	v_mov_b32_e32 v79, v45
	s_and_saveexec_b32 s31, s2
	s_cbranch_execz .LBB195_56
; %bb.51:                               ;   in Loop: Header=BB195_9 Depth=1
	v_mov_b32_e32 v2, 0xffff
	v_mov_b32_e32 v69, v58
	;; [unrolled: 1-line block ×3, first 2 shown]
	s_mov_b32 s33, exec_lo
	v_and_b32_sdwa v2, v2, v1 dst_sel:DWORD dst_unused:UNUSED_PAD src0_sel:DWORD src1_sel:BYTE_1
	v_mov_b32_e32 v79, v69
	v_and_b32_e32 v3, 0x7f, v2
	v_cmpx_ne_u32_e32 0x7f, v3
	s_cbranch_execz .LBB195_55
; %bb.52:                               ;   in Loop: Header=BB195_9 Depth=1
	v_and_b32_e32 v57, 7, v2
	v_lshrrev_b32_e32 v2, 3, v3
	s_mov_b32 s34, exec_lo
	v_cmpx_gt_u32_e32 8, v3
; %bb.53:                               ;   in Loop: Header=BB195_9 Depth=1
	v_ffbh_u32_e32 v2, v57
	v_min_u32_e32 v2, 32, v2
	v_subrev_nc_u32_e32 v3, 28, v2
	v_sub_nc_u32_e32 v2, 29, v2
	v_lshlrev_b64 v[3:4], v3, v[57:58]
	v_and_b32_e32 v57, 7, v3
; %bb.54:                               ;   in Loop: Header=BB195_9 Depth=1
	s_or_b32 exec_lo, exec_lo, s34
	v_lshlrev_b32_e32 v1, 16, v1
	v_lshlrev_b32_e32 v3, 20, v57
	v_lshl_add_u32 v2, v2, 23, 0x3c000000
	v_mov_b32_e32 v79, v58
	v_and_b32_e32 v1, 0x80000000, v1
	v_or3_b32 v80, v3, v1, v2
.LBB195_55:                             ;   in Loop: Header=BB195_9 Depth=1
	s_or_b32 exec_lo, exec_lo, s33
.LBB195_56:                             ;   in Loop: Header=BB195_9 Depth=1
	s_or_b32 exec_lo, exec_lo, s31
.LBB195_57:                             ;   in Loop: Header=BB195_9 Depth=1
	s_or_b32 exec_lo, exec_lo, s3
	global_load_ushort v2, v[75:76], off offset:12
	v_mov_b32_e32 v83, 0
	v_mov_b32_e32 v81, 0
	v_mov_b32_e32 v84, 0
	v_mov_b32_e32 v82, 0
	s_waitcnt vmcnt(0)
	v_and_b32_e32 v1, 0xffff, v2
	v_cmp_ne_u16_sdwa s2, v2, v58 src0_sel:BYTE_0 src1_sel:DWORD
	s_and_saveexec_b32 s3, s2
	s_cbranch_execz .LBB195_65
; %bb.58:                               ;   in Loop: Header=BB195_9 Depth=1
	v_bfrev_b32_e32 v81, 1
	v_mov_b32_e32 v82, 0
	v_cmp_ne_u16_sdwa s2, v1, v51 src0_sel:BYTE_0 src1_sel:DWORD
	s_and_saveexec_b32 s31, s2
	s_cbranch_execz .LBB195_64
; %bb.59:                               ;   in Loop: Header=BB195_9 Depth=1
	v_mov_b32_e32 v81, 0x7f800001
	v_and_b32_e32 v3, 0x7f, v1
	v_mov_b32_e32 v82, 0
	s_mov_b32 s33, exec_lo
	v_cmpx_ne_u32_e32 0x7f, v3
	s_cbranch_execz .LBB195_63
; %bb.60:                               ;   in Loop: Header=BB195_9 Depth=1
	v_and_b32_e32 v57, 7, v1
	v_lshrrev_b32_e32 v2, 3, v3
	s_mov_b32 s34, exec_lo
	v_cmpx_gt_u32_e32 8, v3
; %bb.61:                               ;   in Loop: Header=BB195_9 Depth=1
	v_ffbh_u32_e32 v2, v57
	v_min_u32_e32 v2, 32, v2
	v_subrev_nc_u32_e32 v3, 28, v2
	v_sub_nc_u32_e32 v2, 29, v2
	v_lshlrev_b64 v[3:4], v3, v[57:58]
	v_and_b32_e32 v57, 7, v3
; %bb.62:                               ;   in Loop: Header=BB195_9 Depth=1
	s_or_b32 exec_lo, exec_lo, s34
	v_lshlrev_b32_e32 v3, 24, v1
	v_lshlrev_b32_e32 v4, 20, v57
	v_lshl_add_u32 v2, v2, 23, 0x3c000000
	v_and_b32_e32 v3, 0x80000000, v3
	v_or3_b32 v57, v4, v3, v2
	v_mov_b32_e32 v82, v58
	v_mov_b32_e32 v81, v57
.LBB195_63:                             ;   in Loop: Header=BB195_9 Depth=1
	s_or_b32 exec_lo, exec_lo, s33
.LBB195_64:                             ;   in Loop: Header=BB195_9 Depth=1
	s_or_b32 exec_lo, exec_lo, s31
.LBB195_65:                             ;   in Loop: Header=BB195_9 Depth=1
	s_or_b32 exec_lo, exec_lo, s3
	v_cmp_ne_u16_sdwa s2, v1, v58 src0_sel:BYTE_1 src1_sel:DWORD
	s_and_saveexec_b32 s3, s2
	s_cbranch_execz .LBB195_73
; %bb.66:                               ;   in Loop: Header=BB195_9 Depth=1
	v_mov_b32_e32 v45, v58
	v_mov_b32_e32 v84, v46
	v_cmp_ne_u16_sdwa s2, v1, v51 src0_sel:BYTE_1 src1_sel:DWORD
	v_mov_b32_e32 v83, v45
	s_and_saveexec_b32 s31, s2
	s_cbranch_execz .LBB195_72
; %bb.67:                               ;   in Loop: Header=BB195_9 Depth=1
	v_mov_b32_e32 v2, 0xffff
	v_mov_b32_e32 v69, v58
	;; [unrolled: 1-line block ×3, first 2 shown]
	s_mov_b32 s33, exec_lo
	v_and_b32_sdwa v2, v2, v1 dst_sel:DWORD dst_unused:UNUSED_PAD src0_sel:DWORD src1_sel:BYTE_1
	v_mov_b32_e32 v83, v69
	v_and_b32_e32 v3, 0x7f, v2
	v_cmpx_ne_u32_e32 0x7f, v3
	s_cbranch_execz .LBB195_71
; %bb.68:                               ;   in Loop: Header=BB195_9 Depth=1
	v_and_b32_e32 v57, 7, v2
	v_lshrrev_b32_e32 v2, 3, v3
	s_mov_b32 s34, exec_lo
	v_cmpx_gt_u32_e32 8, v3
; %bb.69:                               ;   in Loop: Header=BB195_9 Depth=1
	v_ffbh_u32_e32 v2, v57
	v_min_u32_e32 v2, 32, v2
	v_subrev_nc_u32_e32 v3, 28, v2
	v_sub_nc_u32_e32 v2, 29, v2
	v_lshlrev_b64 v[3:4], v3, v[57:58]
	v_and_b32_e32 v57, 7, v3
; %bb.70:                               ;   in Loop: Header=BB195_9 Depth=1
	s_or_b32 exec_lo, exec_lo, s34
	v_lshlrev_b32_e32 v1, 16, v1
	v_lshlrev_b32_e32 v3, 20, v57
	v_lshl_add_u32 v2, v2, 23, 0x3c000000
	v_mov_b32_e32 v83, v58
	v_and_b32_e32 v1, 0x80000000, v1
	v_or3_b32 v84, v3, v1, v2
.LBB195_71:                             ;   in Loop: Header=BB195_9 Depth=1
	s_or_b32 exec_lo, exec_lo, s33
.LBB195_72:                             ;   in Loop: Header=BB195_9 Depth=1
	s_or_b32 exec_lo, exec_lo, s31
.LBB195_73:                             ;   in Loop: Header=BB195_9 Depth=1
	s_or_b32 exec_lo, exec_lo, s3
	global_load_ushort v2, v[75:76], off offset:256
	v_mov_b32_e32 v87, 0
	v_mov_b32_e32 v85, 0
	;; [unrolled: 1-line block ×4, first 2 shown]
	s_waitcnt vmcnt(0)
	v_and_b32_e32 v1, 0xffff, v2
	v_cmp_ne_u16_sdwa s2, v2, v58 src0_sel:BYTE_0 src1_sel:DWORD
	s_and_saveexec_b32 s3, s2
	s_cbranch_execz .LBB195_81
; %bb.74:                               ;   in Loop: Header=BB195_9 Depth=1
	v_bfrev_b32_e32 v85, 1
	v_mov_b32_e32 v86, 0
	v_cmp_ne_u16_sdwa s2, v1, v51 src0_sel:BYTE_0 src1_sel:DWORD
	s_and_saveexec_b32 s31, s2
	s_cbranch_execz .LBB195_80
; %bb.75:                               ;   in Loop: Header=BB195_9 Depth=1
	v_mov_b32_e32 v85, 0x7f800001
	v_and_b32_e32 v3, 0x7f, v1
	v_mov_b32_e32 v86, 0
	s_mov_b32 s33, exec_lo
	v_cmpx_ne_u32_e32 0x7f, v3
	s_cbranch_execz .LBB195_79
; %bb.76:                               ;   in Loop: Header=BB195_9 Depth=1
	v_and_b32_e32 v57, 7, v1
	v_lshrrev_b32_e32 v2, 3, v3
	s_mov_b32 s34, exec_lo
	v_cmpx_gt_u32_e32 8, v3
; %bb.77:                               ;   in Loop: Header=BB195_9 Depth=1
	v_ffbh_u32_e32 v2, v57
	v_min_u32_e32 v2, 32, v2
	v_subrev_nc_u32_e32 v3, 28, v2
	v_sub_nc_u32_e32 v2, 29, v2
	v_lshlrev_b64 v[3:4], v3, v[57:58]
	v_and_b32_e32 v57, 7, v3
; %bb.78:                               ;   in Loop: Header=BB195_9 Depth=1
	s_or_b32 exec_lo, exec_lo, s34
	v_lshlrev_b32_e32 v3, 24, v1
	v_lshlrev_b32_e32 v4, 20, v57
	v_lshl_add_u32 v2, v2, 23, 0x3c000000
	v_and_b32_e32 v3, 0x80000000, v3
	v_or3_b32 v57, v4, v3, v2
	v_mov_b32_e32 v86, v58
	v_mov_b32_e32 v85, v57
.LBB195_79:                             ;   in Loop: Header=BB195_9 Depth=1
	s_or_b32 exec_lo, exec_lo, s33
.LBB195_80:                             ;   in Loop: Header=BB195_9 Depth=1
	s_or_b32 exec_lo, exec_lo, s31
.LBB195_81:                             ;   in Loop: Header=BB195_9 Depth=1
	s_or_b32 exec_lo, exec_lo, s3
	v_cmp_ne_u16_sdwa s2, v1, v58 src0_sel:BYTE_1 src1_sel:DWORD
	s_and_saveexec_b32 s3, s2
	s_cbranch_execz .LBB195_89
; %bb.82:                               ;   in Loop: Header=BB195_9 Depth=1
	v_mov_b32_e32 v45, v58
	v_mov_b32_e32 v88, v46
	v_cmp_ne_u16_sdwa s2, v1, v51 src0_sel:BYTE_1 src1_sel:DWORD
	v_mov_b32_e32 v87, v45
	s_and_saveexec_b32 s31, s2
	s_cbranch_execz .LBB195_88
; %bb.83:                               ;   in Loop: Header=BB195_9 Depth=1
	v_mov_b32_e32 v2, 0xffff
	v_mov_b32_e32 v69, v58
	;; [unrolled: 1-line block ×3, first 2 shown]
	s_mov_b32 s33, exec_lo
	v_and_b32_sdwa v2, v2, v1 dst_sel:DWORD dst_unused:UNUSED_PAD src0_sel:DWORD src1_sel:BYTE_1
	v_mov_b32_e32 v87, v69
	v_and_b32_e32 v3, 0x7f, v2
	v_cmpx_ne_u32_e32 0x7f, v3
	s_cbranch_execz .LBB195_87
; %bb.84:                               ;   in Loop: Header=BB195_9 Depth=1
	v_and_b32_e32 v57, 7, v2
	v_lshrrev_b32_e32 v2, 3, v3
	s_mov_b32 s34, exec_lo
	v_cmpx_gt_u32_e32 8, v3
; %bb.85:                               ;   in Loop: Header=BB195_9 Depth=1
	v_ffbh_u32_e32 v2, v57
	v_min_u32_e32 v2, 32, v2
	v_subrev_nc_u32_e32 v3, 28, v2
	v_sub_nc_u32_e32 v2, 29, v2
	v_lshlrev_b64 v[3:4], v3, v[57:58]
	v_and_b32_e32 v57, 7, v3
; %bb.86:                               ;   in Loop: Header=BB195_9 Depth=1
	s_or_b32 exec_lo, exec_lo, s34
	v_lshlrev_b32_e32 v1, 16, v1
	v_lshlrev_b32_e32 v3, 20, v57
	v_lshl_add_u32 v2, v2, 23, 0x3c000000
	v_mov_b32_e32 v87, v58
	v_and_b32_e32 v1, 0x80000000, v1
	v_or3_b32 v88, v3, v1, v2
.LBB195_87:                             ;   in Loop: Header=BB195_9 Depth=1
	s_or_b32 exec_lo, exec_lo, s33
.LBB195_88:                             ;   in Loop: Header=BB195_9 Depth=1
	s_or_b32 exec_lo, exec_lo, s31
.LBB195_89:                             ;   in Loop: Header=BB195_9 Depth=1
	s_or_b32 exec_lo, exec_lo, s3
	global_load_ushort v2, v[75:76], off offset:260
	v_mov_b32_e32 v91, 0
	v_mov_b32_e32 v89, 0
	;; [unrolled: 1-line block ×4, first 2 shown]
	s_waitcnt vmcnt(0)
	v_and_b32_e32 v1, 0xffff, v2
	v_cmp_ne_u16_sdwa s2, v2, v58 src0_sel:BYTE_0 src1_sel:DWORD
	s_and_saveexec_b32 s3, s2
	s_cbranch_execz .LBB195_97
; %bb.90:                               ;   in Loop: Header=BB195_9 Depth=1
	v_bfrev_b32_e32 v89, 1
	v_mov_b32_e32 v90, 0
	v_cmp_ne_u16_sdwa s2, v1, v51 src0_sel:BYTE_0 src1_sel:DWORD
	s_and_saveexec_b32 s31, s2
	s_cbranch_execz .LBB195_96
; %bb.91:                               ;   in Loop: Header=BB195_9 Depth=1
	v_mov_b32_e32 v89, 0x7f800001
	v_and_b32_e32 v3, 0x7f, v1
	v_mov_b32_e32 v90, 0
	s_mov_b32 s33, exec_lo
	v_cmpx_ne_u32_e32 0x7f, v3
	s_cbranch_execz .LBB195_95
; %bb.92:                               ;   in Loop: Header=BB195_9 Depth=1
	v_and_b32_e32 v57, 7, v1
	v_lshrrev_b32_e32 v2, 3, v3
	s_mov_b32 s34, exec_lo
	v_cmpx_gt_u32_e32 8, v3
; %bb.93:                               ;   in Loop: Header=BB195_9 Depth=1
	v_ffbh_u32_e32 v2, v57
	v_min_u32_e32 v2, 32, v2
	v_subrev_nc_u32_e32 v3, 28, v2
	v_sub_nc_u32_e32 v2, 29, v2
	v_lshlrev_b64 v[3:4], v3, v[57:58]
	v_and_b32_e32 v57, 7, v3
; %bb.94:                               ;   in Loop: Header=BB195_9 Depth=1
	s_or_b32 exec_lo, exec_lo, s34
	v_lshlrev_b32_e32 v3, 24, v1
	v_lshlrev_b32_e32 v4, 20, v57
	v_lshl_add_u32 v2, v2, 23, 0x3c000000
	v_and_b32_e32 v3, 0x80000000, v3
	v_or3_b32 v57, v4, v3, v2
	v_mov_b32_e32 v90, v58
	v_mov_b32_e32 v89, v57
.LBB195_95:                             ;   in Loop: Header=BB195_9 Depth=1
	s_or_b32 exec_lo, exec_lo, s33
.LBB195_96:                             ;   in Loop: Header=BB195_9 Depth=1
	s_or_b32 exec_lo, exec_lo, s31
.LBB195_97:                             ;   in Loop: Header=BB195_9 Depth=1
	s_or_b32 exec_lo, exec_lo, s3
	v_cmp_ne_u16_sdwa s2, v1, v58 src0_sel:BYTE_1 src1_sel:DWORD
	s_and_saveexec_b32 s3, s2
	s_cbranch_execz .LBB195_105
; %bb.98:                               ;   in Loop: Header=BB195_9 Depth=1
	v_mov_b32_e32 v45, v58
	v_mov_b32_e32 v92, v46
	v_cmp_ne_u16_sdwa s2, v1, v51 src0_sel:BYTE_1 src1_sel:DWORD
	v_mov_b32_e32 v91, v45
	s_and_saveexec_b32 s31, s2
	s_cbranch_execz .LBB195_104
; %bb.99:                               ;   in Loop: Header=BB195_9 Depth=1
	v_mov_b32_e32 v2, 0xffff
	v_mov_b32_e32 v69, v58
	;; [unrolled: 1-line block ×3, first 2 shown]
	s_mov_b32 s33, exec_lo
	v_and_b32_sdwa v2, v2, v1 dst_sel:DWORD dst_unused:UNUSED_PAD src0_sel:DWORD src1_sel:BYTE_1
	v_mov_b32_e32 v91, v69
	v_and_b32_e32 v3, 0x7f, v2
	v_cmpx_ne_u32_e32 0x7f, v3
	s_cbranch_execz .LBB195_103
; %bb.100:                              ;   in Loop: Header=BB195_9 Depth=1
	v_and_b32_e32 v57, 7, v2
	v_lshrrev_b32_e32 v2, 3, v3
	s_mov_b32 s34, exec_lo
	v_cmpx_gt_u32_e32 8, v3
; %bb.101:                              ;   in Loop: Header=BB195_9 Depth=1
	v_ffbh_u32_e32 v2, v57
	v_min_u32_e32 v2, 32, v2
	v_subrev_nc_u32_e32 v3, 28, v2
	v_sub_nc_u32_e32 v2, 29, v2
	v_lshlrev_b64 v[3:4], v3, v[57:58]
	v_and_b32_e32 v57, 7, v3
; %bb.102:                              ;   in Loop: Header=BB195_9 Depth=1
	s_or_b32 exec_lo, exec_lo, s34
	v_lshlrev_b32_e32 v1, 16, v1
	v_lshlrev_b32_e32 v3, 20, v57
	v_lshl_add_u32 v2, v2, 23, 0x3c000000
	v_mov_b32_e32 v91, v58
	v_and_b32_e32 v1, 0x80000000, v1
	v_or3_b32 v92, v3, v1, v2
.LBB195_103:                            ;   in Loop: Header=BB195_9 Depth=1
	s_or_b32 exec_lo, exec_lo, s33
.LBB195_104:                            ;   in Loop: Header=BB195_9 Depth=1
	s_or_b32 exec_lo, exec_lo, s31
.LBB195_105:                            ;   in Loop: Header=BB195_9 Depth=1
	s_or_b32 exec_lo, exec_lo, s3
	global_load_ushort v2, v[75:76], off offset:264
	v_mov_b32_e32 v95, 0
	v_mov_b32_e32 v93, 0
	v_mov_b32_e32 v96, 0
	v_mov_b32_e32 v94, 0
	s_waitcnt vmcnt(0)
	v_and_b32_e32 v1, 0xffff, v2
	v_cmp_ne_u16_sdwa s2, v2, v58 src0_sel:BYTE_0 src1_sel:DWORD
	s_and_saveexec_b32 s3, s2
	s_cbranch_execz .LBB195_113
; %bb.106:                              ;   in Loop: Header=BB195_9 Depth=1
	v_bfrev_b32_e32 v93, 1
	v_mov_b32_e32 v94, 0
	v_cmp_ne_u16_sdwa s2, v1, v51 src0_sel:BYTE_0 src1_sel:DWORD
	s_and_saveexec_b32 s31, s2
	s_cbranch_execz .LBB195_112
; %bb.107:                              ;   in Loop: Header=BB195_9 Depth=1
	v_mov_b32_e32 v93, 0x7f800001
	v_and_b32_e32 v3, 0x7f, v1
	v_mov_b32_e32 v94, 0
	s_mov_b32 s33, exec_lo
	v_cmpx_ne_u32_e32 0x7f, v3
	s_cbranch_execz .LBB195_111
; %bb.108:                              ;   in Loop: Header=BB195_9 Depth=1
	v_and_b32_e32 v57, 7, v1
	v_lshrrev_b32_e32 v2, 3, v3
	s_mov_b32 s34, exec_lo
	v_cmpx_gt_u32_e32 8, v3
; %bb.109:                              ;   in Loop: Header=BB195_9 Depth=1
	v_ffbh_u32_e32 v2, v57
	v_min_u32_e32 v2, 32, v2
	v_subrev_nc_u32_e32 v3, 28, v2
	v_sub_nc_u32_e32 v2, 29, v2
	v_lshlrev_b64 v[3:4], v3, v[57:58]
	v_and_b32_e32 v57, 7, v3
; %bb.110:                              ;   in Loop: Header=BB195_9 Depth=1
	s_or_b32 exec_lo, exec_lo, s34
	v_lshlrev_b32_e32 v3, 24, v1
	v_lshlrev_b32_e32 v4, 20, v57
	v_lshl_add_u32 v2, v2, 23, 0x3c000000
	v_and_b32_e32 v3, 0x80000000, v3
	v_or3_b32 v57, v4, v3, v2
	v_mov_b32_e32 v94, v58
	v_mov_b32_e32 v93, v57
.LBB195_111:                            ;   in Loop: Header=BB195_9 Depth=1
	s_or_b32 exec_lo, exec_lo, s33
.LBB195_112:                            ;   in Loop: Header=BB195_9 Depth=1
	s_or_b32 exec_lo, exec_lo, s31
.LBB195_113:                            ;   in Loop: Header=BB195_9 Depth=1
	s_or_b32 exec_lo, exec_lo, s3
	v_cmp_ne_u16_sdwa s2, v1, v58 src0_sel:BYTE_1 src1_sel:DWORD
	s_and_saveexec_b32 s3, s2
	s_cbranch_execz .LBB195_121
; %bb.114:                              ;   in Loop: Header=BB195_9 Depth=1
	v_mov_b32_e32 v45, v58
	v_mov_b32_e32 v96, v46
	v_cmp_ne_u16_sdwa s2, v1, v51 src0_sel:BYTE_1 src1_sel:DWORD
	v_mov_b32_e32 v95, v45
	s_and_saveexec_b32 s31, s2
	s_cbranch_execz .LBB195_120
; %bb.115:                              ;   in Loop: Header=BB195_9 Depth=1
	v_mov_b32_e32 v2, 0xffff
	v_mov_b32_e32 v69, v58
	;; [unrolled: 1-line block ×3, first 2 shown]
	s_mov_b32 s33, exec_lo
	v_and_b32_sdwa v2, v2, v1 dst_sel:DWORD dst_unused:UNUSED_PAD src0_sel:DWORD src1_sel:BYTE_1
	v_mov_b32_e32 v95, v69
	v_and_b32_e32 v3, 0x7f, v2
	v_cmpx_ne_u32_e32 0x7f, v3
	s_cbranch_execz .LBB195_119
; %bb.116:                              ;   in Loop: Header=BB195_9 Depth=1
	v_and_b32_e32 v57, 7, v2
	v_lshrrev_b32_e32 v2, 3, v3
	s_mov_b32 s34, exec_lo
	v_cmpx_gt_u32_e32 8, v3
; %bb.117:                              ;   in Loop: Header=BB195_9 Depth=1
	v_ffbh_u32_e32 v2, v57
	v_min_u32_e32 v2, 32, v2
	v_subrev_nc_u32_e32 v3, 28, v2
	v_sub_nc_u32_e32 v2, 29, v2
	v_lshlrev_b64 v[3:4], v3, v[57:58]
	v_and_b32_e32 v57, 7, v3
; %bb.118:                              ;   in Loop: Header=BB195_9 Depth=1
	s_or_b32 exec_lo, exec_lo, s34
	v_lshlrev_b32_e32 v1, 16, v1
	v_lshlrev_b32_e32 v3, 20, v57
	v_lshl_add_u32 v2, v2, 23, 0x3c000000
	v_mov_b32_e32 v95, v58
	v_and_b32_e32 v1, 0x80000000, v1
	v_or3_b32 v96, v3, v1, v2
.LBB195_119:                            ;   in Loop: Header=BB195_9 Depth=1
	s_or_b32 exec_lo, exec_lo, s33
.LBB195_120:                            ;   in Loop: Header=BB195_9 Depth=1
	s_or_b32 exec_lo, exec_lo, s31
.LBB195_121:                            ;   in Loop: Header=BB195_9 Depth=1
	s_or_b32 exec_lo, exec_lo, s3
	global_load_ushort v2, v[75:76], off offset:268
	v_mov_b32_e32 v99, 0
	v_mov_b32_e32 v97, 0
	;; [unrolled: 1-line block ×4, first 2 shown]
	s_waitcnt vmcnt(0)
	v_and_b32_e32 v1, 0xffff, v2
	v_cmp_ne_u16_sdwa s2, v2, v58 src0_sel:BYTE_0 src1_sel:DWORD
	s_and_saveexec_b32 s3, s2
	s_cbranch_execz .LBB195_129
; %bb.122:                              ;   in Loop: Header=BB195_9 Depth=1
	v_bfrev_b32_e32 v97, 1
	v_mov_b32_e32 v98, 0
	v_cmp_ne_u16_sdwa s2, v1, v51 src0_sel:BYTE_0 src1_sel:DWORD
	s_and_saveexec_b32 s31, s2
	s_cbranch_execz .LBB195_128
; %bb.123:                              ;   in Loop: Header=BB195_9 Depth=1
	v_mov_b32_e32 v97, 0x7f800001
	v_and_b32_e32 v3, 0x7f, v1
	v_mov_b32_e32 v98, 0
	s_mov_b32 s33, exec_lo
	v_cmpx_ne_u32_e32 0x7f, v3
	s_cbranch_execz .LBB195_127
; %bb.124:                              ;   in Loop: Header=BB195_9 Depth=1
	v_and_b32_e32 v57, 7, v1
	v_lshrrev_b32_e32 v2, 3, v3
	s_mov_b32 s34, exec_lo
	v_cmpx_gt_u32_e32 8, v3
; %bb.125:                              ;   in Loop: Header=BB195_9 Depth=1
	v_ffbh_u32_e32 v2, v57
	v_min_u32_e32 v2, 32, v2
	v_subrev_nc_u32_e32 v3, 28, v2
	v_sub_nc_u32_e32 v2, 29, v2
	v_lshlrev_b64 v[3:4], v3, v[57:58]
	v_and_b32_e32 v57, 7, v3
; %bb.126:                              ;   in Loop: Header=BB195_9 Depth=1
	s_or_b32 exec_lo, exec_lo, s34
	v_lshlrev_b32_e32 v3, 24, v1
	v_lshlrev_b32_e32 v4, 20, v57
	v_lshl_add_u32 v2, v2, 23, 0x3c000000
	v_and_b32_e32 v3, 0x80000000, v3
	v_or3_b32 v57, v4, v3, v2
	v_mov_b32_e32 v98, v58
	v_mov_b32_e32 v97, v57
.LBB195_127:                            ;   in Loop: Header=BB195_9 Depth=1
	s_or_b32 exec_lo, exec_lo, s33
.LBB195_128:                            ;   in Loop: Header=BB195_9 Depth=1
	s_or_b32 exec_lo, exec_lo, s31
.LBB195_129:                            ;   in Loop: Header=BB195_9 Depth=1
	s_or_b32 exec_lo, exec_lo, s3
	v_cmp_ne_u16_sdwa s2, v1, v58 src0_sel:BYTE_1 src1_sel:DWORD
	s_and_saveexec_b32 s3, s2
	s_cbranch_execz .LBB195_137
; %bb.130:                              ;   in Loop: Header=BB195_9 Depth=1
	v_mov_b32_e32 v45, v58
	v_mov_b32_e32 v100, v46
	v_cmp_ne_u16_sdwa s2, v1, v51 src0_sel:BYTE_1 src1_sel:DWORD
	v_mov_b32_e32 v99, v45
	s_and_saveexec_b32 s31, s2
	s_cbranch_execz .LBB195_136
; %bb.131:                              ;   in Loop: Header=BB195_9 Depth=1
	v_mov_b32_e32 v2, 0xffff
	v_mov_b32_e32 v69, v58
	;; [unrolled: 1-line block ×3, first 2 shown]
	s_mov_b32 s33, exec_lo
	v_and_b32_sdwa v2, v2, v1 dst_sel:DWORD dst_unused:UNUSED_PAD src0_sel:DWORD src1_sel:BYTE_1
	v_mov_b32_e32 v99, v69
	v_and_b32_e32 v3, 0x7f, v2
	v_cmpx_ne_u32_e32 0x7f, v3
	s_cbranch_execz .LBB195_135
; %bb.132:                              ;   in Loop: Header=BB195_9 Depth=1
	v_and_b32_e32 v57, 7, v2
	v_lshrrev_b32_e32 v2, 3, v3
	s_mov_b32 s34, exec_lo
	v_cmpx_gt_u32_e32 8, v3
; %bb.133:                              ;   in Loop: Header=BB195_9 Depth=1
	v_ffbh_u32_e32 v2, v57
	v_min_u32_e32 v2, 32, v2
	v_subrev_nc_u32_e32 v3, 28, v2
	v_sub_nc_u32_e32 v2, 29, v2
	v_lshlrev_b64 v[3:4], v3, v[57:58]
	v_and_b32_e32 v57, 7, v3
; %bb.134:                              ;   in Loop: Header=BB195_9 Depth=1
	s_or_b32 exec_lo, exec_lo, s34
	v_lshlrev_b32_e32 v1, 16, v1
	v_lshlrev_b32_e32 v3, 20, v57
	v_lshl_add_u32 v2, v2, 23, 0x3c000000
	v_mov_b32_e32 v99, v58
	v_and_b32_e32 v1, 0x80000000, v1
	v_or3_b32 v100, v3, v1, v2
.LBB195_135:                            ;   in Loop: Header=BB195_9 Depth=1
	s_or_b32 exec_lo, exec_lo, s33
.LBB195_136:                            ;   in Loop: Header=BB195_9 Depth=1
	s_or_b32 exec_lo, exec_lo, s31
.LBB195_137:                            ;   in Loop: Header=BB195_9 Depth=1
	s_or_b32 exec_lo, exec_lo, s3
	global_load_ushort v2, v[75:76], off offset:512
	v_mov_b32_e32 v103, 0
	v_mov_b32_e32 v101, 0
	;; [unrolled: 1-line block ×4, first 2 shown]
	s_waitcnt vmcnt(0)
	v_and_b32_e32 v1, 0xffff, v2
	v_cmp_ne_u16_sdwa s2, v2, v58 src0_sel:BYTE_0 src1_sel:DWORD
	s_and_saveexec_b32 s3, s2
	s_cbranch_execz .LBB195_145
; %bb.138:                              ;   in Loop: Header=BB195_9 Depth=1
	v_bfrev_b32_e32 v101, 1
	v_mov_b32_e32 v102, 0
	v_cmp_ne_u16_sdwa s2, v1, v51 src0_sel:BYTE_0 src1_sel:DWORD
	s_and_saveexec_b32 s31, s2
	s_cbranch_execz .LBB195_144
; %bb.139:                              ;   in Loop: Header=BB195_9 Depth=1
	v_mov_b32_e32 v101, 0x7f800001
	v_and_b32_e32 v3, 0x7f, v1
	v_mov_b32_e32 v102, 0
	s_mov_b32 s33, exec_lo
	v_cmpx_ne_u32_e32 0x7f, v3
	s_cbranch_execz .LBB195_143
; %bb.140:                              ;   in Loop: Header=BB195_9 Depth=1
	v_and_b32_e32 v57, 7, v1
	v_lshrrev_b32_e32 v2, 3, v3
	s_mov_b32 s34, exec_lo
	v_cmpx_gt_u32_e32 8, v3
; %bb.141:                              ;   in Loop: Header=BB195_9 Depth=1
	v_ffbh_u32_e32 v2, v57
	v_min_u32_e32 v2, 32, v2
	v_subrev_nc_u32_e32 v3, 28, v2
	v_sub_nc_u32_e32 v2, 29, v2
	v_lshlrev_b64 v[3:4], v3, v[57:58]
	v_and_b32_e32 v57, 7, v3
; %bb.142:                              ;   in Loop: Header=BB195_9 Depth=1
	s_or_b32 exec_lo, exec_lo, s34
	v_lshlrev_b32_e32 v3, 24, v1
	v_lshlrev_b32_e32 v4, 20, v57
	v_lshl_add_u32 v2, v2, 23, 0x3c000000
	v_and_b32_e32 v3, 0x80000000, v3
	v_or3_b32 v57, v4, v3, v2
	v_mov_b32_e32 v102, v58
	v_mov_b32_e32 v101, v57
.LBB195_143:                            ;   in Loop: Header=BB195_9 Depth=1
	s_or_b32 exec_lo, exec_lo, s33
.LBB195_144:                            ;   in Loop: Header=BB195_9 Depth=1
	s_or_b32 exec_lo, exec_lo, s31
.LBB195_145:                            ;   in Loop: Header=BB195_9 Depth=1
	s_or_b32 exec_lo, exec_lo, s3
	v_cmp_ne_u16_sdwa s2, v1, v58 src0_sel:BYTE_1 src1_sel:DWORD
	s_and_saveexec_b32 s3, s2
	s_cbranch_execz .LBB195_153
; %bb.146:                              ;   in Loop: Header=BB195_9 Depth=1
	v_mov_b32_e32 v45, v58
	v_mov_b32_e32 v104, v46
	v_cmp_ne_u16_sdwa s2, v1, v51 src0_sel:BYTE_1 src1_sel:DWORD
	v_mov_b32_e32 v103, v45
	s_and_saveexec_b32 s31, s2
	s_cbranch_execz .LBB195_152
; %bb.147:                              ;   in Loop: Header=BB195_9 Depth=1
	v_mov_b32_e32 v2, 0xffff
	v_mov_b32_e32 v69, v58
	v_mov_b32_e32 v104, v70
	s_mov_b32 s33, exec_lo
	v_and_b32_sdwa v2, v2, v1 dst_sel:DWORD dst_unused:UNUSED_PAD src0_sel:DWORD src1_sel:BYTE_1
	v_mov_b32_e32 v103, v69
	v_and_b32_e32 v3, 0x7f, v2
	v_cmpx_ne_u32_e32 0x7f, v3
	s_cbranch_execz .LBB195_151
; %bb.148:                              ;   in Loop: Header=BB195_9 Depth=1
	v_and_b32_e32 v57, 7, v2
	v_lshrrev_b32_e32 v2, 3, v3
	s_mov_b32 s34, exec_lo
	v_cmpx_gt_u32_e32 8, v3
; %bb.149:                              ;   in Loop: Header=BB195_9 Depth=1
	v_ffbh_u32_e32 v2, v57
	v_min_u32_e32 v2, 32, v2
	v_subrev_nc_u32_e32 v3, 28, v2
	v_sub_nc_u32_e32 v2, 29, v2
	v_lshlrev_b64 v[3:4], v3, v[57:58]
	v_and_b32_e32 v57, 7, v3
; %bb.150:                              ;   in Loop: Header=BB195_9 Depth=1
	s_or_b32 exec_lo, exec_lo, s34
	v_lshlrev_b32_e32 v1, 16, v1
	v_lshlrev_b32_e32 v3, 20, v57
	v_lshl_add_u32 v2, v2, 23, 0x3c000000
	v_mov_b32_e32 v103, v58
	v_and_b32_e32 v1, 0x80000000, v1
	v_or3_b32 v104, v3, v1, v2
.LBB195_151:                            ;   in Loop: Header=BB195_9 Depth=1
	s_or_b32 exec_lo, exec_lo, s33
.LBB195_152:                            ;   in Loop: Header=BB195_9 Depth=1
	s_or_b32 exec_lo, exec_lo, s31
.LBB195_153:                            ;   in Loop: Header=BB195_9 Depth=1
	s_or_b32 exec_lo, exec_lo, s3
	global_load_ushort v2, v[75:76], off offset:516
	v_mov_b32_e32 v107, 0
	v_mov_b32_e32 v105, 0
	;; [unrolled: 1-line block ×4, first 2 shown]
	s_waitcnt vmcnt(0)
	v_and_b32_e32 v1, 0xffff, v2
	v_cmp_ne_u16_sdwa s2, v2, v58 src0_sel:BYTE_0 src1_sel:DWORD
	s_and_saveexec_b32 s3, s2
	s_cbranch_execz .LBB195_161
; %bb.154:                              ;   in Loop: Header=BB195_9 Depth=1
	v_bfrev_b32_e32 v105, 1
	v_mov_b32_e32 v106, 0
	v_cmp_ne_u16_sdwa s2, v1, v51 src0_sel:BYTE_0 src1_sel:DWORD
	s_and_saveexec_b32 s31, s2
	s_cbranch_execz .LBB195_160
; %bb.155:                              ;   in Loop: Header=BB195_9 Depth=1
	v_mov_b32_e32 v105, 0x7f800001
	v_and_b32_e32 v3, 0x7f, v1
	v_mov_b32_e32 v106, 0
	s_mov_b32 s33, exec_lo
	v_cmpx_ne_u32_e32 0x7f, v3
	s_cbranch_execz .LBB195_159
; %bb.156:                              ;   in Loop: Header=BB195_9 Depth=1
	v_and_b32_e32 v57, 7, v1
	v_lshrrev_b32_e32 v2, 3, v3
	s_mov_b32 s34, exec_lo
	v_cmpx_gt_u32_e32 8, v3
; %bb.157:                              ;   in Loop: Header=BB195_9 Depth=1
	v_ffbh_u32_e32 v2, v57
	v_min_u32_e32 v2, 32, v2
	v_subrev_nc_u32_e32 v3, 28, v2
	v_sub_nc_u32_e32 v2, 29, v2
	v_lshlrev_b64 v[3:4], v3, v[57:58]
	v_and_b32_e32 v57, 7, v3
; %bb.158:                              ;   in Loop: Header=BB195_9 Depth=1
	s_or_b32 exec_lo, exec_lo, s34
	v_lshlrev_b32_e32 v3, 24, v1
	v_lshlrev_b32_e32 v4, 20, v57
	v_lshl_add_u32 v2, v2, 23, 0x3c000000
	v_and_b32_e32 v3, 0x80000000, v3
	v_or3_b32 v57, v4, v3, v2
	v_mov_b32_e32 v106, v58
	v_mov_b32_e32 v105, v57
.LBB195_159:                            ;   in Loop: Header=BB195_9 Depth=1
	s_or_b32 exec_lo, exec_lo, s33
.LBB195_160:                            ;   in Loop: Header=BB195_9 Depth=1
	s_or_b32 exec_lo, exec_lo, s31
.LBB195_161:                            ;   in Loop: Header=BB195_9 Depth=1
	s_or_b32 exec_lo, exec_lo, s3
	v_cmp_ne_u16_sdwa s2, v1, v58 src0_sel:BYTE_1 src1_sel:DWORD
	s_and_saveexec_b32 s3, s2
	s_cbranch_execz .LBB195_169
; %bb.162:                              ;   in Loop: Header=BB195_9 Depth=1
	v_mov_b32_e32 v45, v58
	v_mov_b32_e32 v108, v46
	v_cmp_ne_u16_sdwa s2, v1, v51 src0_sel:BYTE_1 src1_sel:DWORD
	v_mov_b32_e32 v107, v45
	s_and_saveexec_b32 s31, s2
	s_cbranch_execz .LBB195_168
; %bb.163:                              ;   in Loop: Header=BB195_9 Depth=1
	v_mov_b32_e32 v2, 0xffff
	v_mov_b32_e32 v69, v58
	v_mov_b32_e32 v108, v70
	s_mov_b32 s33, exec_lo
	v_and_b32_sdwa v2, v2, v1 dst_sel:DWORD dst_unused:UNUSED_PAD src0_sel:DWORD src1_sel:BYTE_1
	v_mov_b32_e32 v107, v69
	v_and_b32_e32 v3, 0x7f, v2
	v_cmpx_ne_u32_e32 0x7f, v3
	s_cbranch_execz .LBB195_167
; %bb.164:                              ;   in Loop: Header=BB195_9 Depth=1
	v_and_b32_e32 v57, 7, v2
	v_lshrrev_b32_e32 v2, 3, v3
	s_mov_b32 s34, exec_lo
	v_cmpx_gt_u32_e32 8, v3
; %bb.165:                              ;   in Loop: Header=BB195_9 Depth=1
	v_ffbh_u32_e32 v2, v57
	v_min_u32_e32 v2, 32, v2
	v_subrev_nc_u32_e32 v3, 28, v2
	v_sub_nc_u32_e32 v2, 29, v2
	v_lshlrev_b64 v[3:4], v3, v[57:58]
	v_and_b32_e32 v57, 7, v3
; %bb.166:                              ;   in Loop: Header=BB195_9 Depth=1
	s_or_b32 exec_lo, exec_lo, s34
	v_lshlrev_b32_e32 v1, 16, v1
	v_lshlrev_b32_e32 v3, 20, v57
	v_lshl_add_u32 v2, v2, 23, 0x3c000000
	v_mov_b32_e32 v107, v58
	v_and_b32_e32 v1, 0x80000000, v1
	v_or3_b32 v108, v3, v1, v2
.LBB195_167:                            ;   in Loop: Header=BB195_9 Depth=1
	s_or_b32 exec_lo, exec_lo, s33
.LBB195_168:                            ;   in Loop: Header=BB195_9 Depth=1
	s_or_b32 exec_lo, exec_lo, s31
.LBB195_169:                            ;   in Loop: Header=BB195_9 Depth=1
	s_or_b32 exec_lo, exec_lo, s3
	global_load_ushort v2, v[75:76], off offset:520
	v_mov_b32_e32 v111, 0
	v_mov_b32_e32 v109, 0
	v_mov_b32_e32 v112, 0
	v_mov_b32_e32 v110, 0
	s_waitcnt vmcnt(0)
	v_and_b32_e32 v1, 0xffff, v2
	v_cmp_ne_u16_sdwa s2, v2, v58 src0_sel:BYTE_0 src1_sel:DWORD
	s_and_saveexec_b32 s3, s2
	s_cbranch_execz .LBB195_177
; %bb.170:                              ;   in Loop: Header=BB195_9 Depth=1
	v_bfrev_b32_e32 v109, 1
	v_mov_b32_e32 v110, 0
	v_cmp_ne_u16_sdwa s2, v1, v51 src0_sel:BYTE_0 src1_sel:DWORD
	s_and_saveexec_b32 s31, s2
	s_cbranch_execz .LBB195_176
; %bb.171:                              ;   in Loop: Header=BB195_9 Depth=1
	v_mov_b32_e32 v109, 0x7f800001
	v_and_b32_e32 v3, 0x7f, v1
	v_mov_b32_e32 v110, 0
	s_mov_b32 s33, exec_lo
	v_cmpx_ne_u32_e32 0x7f, v3
	s_cbranch_execz .LBB195_175
; %bb.172:                              ;   in Loop: Header=BB195_9 Depth=1
	v_and_b32_e32 v57, 7, v1
	v_lshrrev_b32_e32 v2, 3, v3
	s_mov_b32 s34, exec_lo
	v_cmpx_gt_u32_e32 8, v3
; %bb.173:                              ;   in Loop: Header=BB195_9 Depth=1
	v_ffbh_u32_e32 v2, v57
	v_min_u32_e32 v2, 32, v2
	v_subrev_nc_u32_e32 v3, 28, v2
	v_sub_nc_u32_e32 v2, 29, v2
	v_lshlrev_b64 v[3:4], v3, v[57:58]
	v_and_b32_e32 v57, 7, v3
; %bb.174:                              ;   in Loop: Header=BB195_9 Depth=1
	s_or_b32 exec_lo, exec_lo, s34
	v_lshlrev_b32_e32 v3, 24, v1
	v_lshlrev_b32_e32 v4, 20, v57
	v_lshl_add_u32 v2, v2, 23, 0x3c000000
	v_and_b32_e32 v3, 0x80000000, v3
	v_or3_b32 v57, v4, v3, v2
	v_mov_b32_e32 v110, v58
	v_mov_b32_e32 v109, v57
.LBB195_175:                            ;   in Loop: Header=BB195_9 Depth=1
	s_or_b32 exec_lo, exec_lo, s33
.LBB195_176:                            ;   in Loop: Header=BB195_9 Depth=1
	s_or_b32 exec_lo, exec_lo, s31
.LBB195_177:                            ;   in Loop: Header=BB195_9 Depth=1
	s_or_b32 exec_lo, exec_lo, s3
	v_cmp_ne_u16_sdwa s2, v1, v58 src0_sel:BYTE_1 src1_sel:DWORD
	s_and_saveexec_b32 s3, s2
	s_cbranch_execz .LBB195_185
; %bb.178:                              ;   in Loop: Header=BB195_9 Depth=1
	v_mov_b32_e32 v45, v58
	v_mov_b32_e32 v112, v46
	v_cmp_ne_u16_sdwa s2, v1, v51 src0_sel:BYTE_1 src1_sel:DWORD
	v_mov_b32_e32 v111, v45
	s_and_saveexec_b32 s31, s2
	s_cbranch_execz .LBB195_184
; %bb.179:                              ;   in Loop: Header=BB195_9 Depth=1
	v_mov_b32_e32 v2, 0xffff
	v_mov_b32_e32 v69, v58
	;; [unrolled: 1-line block ×3, first 2 shown]
	s_mov_b32 s33, exec_lo
	v_and_b32_sdwa v2, v2, v1 dst_sel:DWORD dst_unused:UNUSED_PAD src0_sel:DWORD src1_sel:BYTE_1
	v_mov_b32_e32 v111, v69
	v_and_b32_e32 v3, 0x7f, v2
	v_cmpx_ne_u32_e32 0x7f, v3
	s_cbranch_execz .LBB195_183
; %bb.180:                              ;   in Loop: Header=BB195_9 Depth=1
	v_and_b32_e32 v57, 7, v2
	v_lshrrev_b32_e32 v2, 3, v3
	s_mov_b32 s34, exec_lo
	v_cmpx_gt_u32_e32 8, v3
; %bb.181:                              ;   in Loop: Header=BB195_9 Depth=1
	v_ffbh_u32_e32 v2, v57
	v_min_u32_e32 v2, 32, v2
	v_subrev_nc_u32_e32 v3, 28, v2
	v_sub_nc_u32_e32 v2, 29, v2
	v_lshlrev_b64 v[3:4], v3, v[57:58]
	v_and_b32_e32 v57, 7, v3
; %bb.182:                              ;   in Loop: Header=BB195_9 Depth=1
	s_or_b32 exec_lo, exec_lo, s34
	v_lshlrev_b32_e32 v1, 16, v1
	v_lshlrev_b32_e32 v3, 20, v57
	v_lshl_add_u32 v2, v2, 23, 0x3c000000
	v_mov_b32_e32 v111, v58
	v_and_b32_e32 v1, 0x80000000, v1
	v_or3_b32 v112, v3, v1, v2
.LBB195_183:                            ;   in Loop: Header=BB195_9 Depth=1
	s_or_b32 exec_lo, exec_lo, s33
.LBB195_184:                            ;   in Loop: Header=BB195_9 Depth=1
	s_or_b32 exec_lo, exec_lo, s31
.LBB195_185:                            ;   in Loop: Header=BB195_9 Depth=1
	s_or_b32 exec_lo, exec_lo, s3
	global_load_ushort v2, v[75:76], off offset:524
	v_mov_b32_e32 v115, 0
	v_mov_b32_e32 v113, 0
	v_mov_b32_e32 v116, 0
	v_mov_b32_e32 v114, 0
	s_waitcnt vmcnt(0)
	v_and_b32_e32 v1, 0xffff, v2
	v_cmp_ne_u16_sdwa s2, v2, v58 src0_sel:BYTE_0 src1_sel:DWORD
	s_and_saveexec_b32 s3, s2
	s_cbranch_execz .LBB195_193
; %bb.186:                              ;   in Loop: Header=BB195_9 Depth=1
	v_bfrev_b32_e32 v113, 1
	v_mov_b32_e32 v114, 0
	v_cmp_ne_u16_sdwa s2, v1, v51 src0_sel:BYTE_0 src1_sel:DWORD
	s_and_saveexec_b32 s31, s2
	s_cbranch_execz .LBB195_192
; %bb.187:                              ;   in Loop: Header=BB195_9 Depth=1
	v_mov_b32_e32 v113, 0x7f800001
	v_and_b32_e32 v3, 0x7f, v1
	v_mov_b32_e32 v114, 0
	s_mov_b32 s33, exec_lo
	v_cmpx_ne_u32_e32 0x7f, v3
	s_cbranch_execz .LBB195_191
; %bb.188:                              ;   in Loop: Header=BB195_9 Depth=1
	v_and_b32_e32 v57, 7, v1
	v_lshrrev_b32_e32 v2, 3, v3
	s_mov_b32 s34, exec_lo
	v_cmpx_gt_u32_e32 8, v3
; %bb.189:                              ;   in Loop: Header=BB195_9 Depth=1
	v_ffbh_u32_e32 v2, v57
	v_min_u32_e32 v2, 32, v2
	v_subrev_nc_u32_e32 v3, 28, v2
	v_sub_nc_u32_e32 v2, 29, v2
	v_lshlrev_b64 v[3:4], v3, v[57:58]
	v_and_b32_e32 v57, 7, v3
; %bb.190:                              ;   in Loop: Header=BB195_9 Depth=1
	s_or_b32 exec_lo, exec_lo, s34
	v_lshlrev_b32_e32 v3, 24, v1
	v_lshlrev_b32_e32 v4, 20, v57
	v_lshl_add_u32 v2, v2, 23, 0x3c000000
	v_and_b32_e32 v3, 0x80000000, v3
	v_or3_b32 v57, v4, v3, v2
	v_mov_b32_e32 v114, v58
	v_mov_b32_e32 v113, v57
.LBB195_191:                            ;   in Loop: Header=BB195_9 Depth=1
	s_or_b32 exec_lo, exec_lo, s33
.LBB195_192:                            ;   in Loop: Header=BB195_9 Depth=1
	s_or_b32 exec_lo, exec_lo, s31
.LBB195_193:                            ;   in Loop: Header=BB195_9 Depth=1
	s_or_b32 exec_lo, exec_lo, s3
	v_cmp_ne_u16_sdwa s2, v1, v58 src0_sel:BYTE_1 src1_sel:DWORD
	s_and_saveexec_b32 s3, s2
	s_cbranch_execz .LBB195_201
; %bb.194:                              ;   in Loop: Header=BB195_9 Depth=1
	v_mov_b32_e32 v45, v58
	v_mov_b32_e32 v116, v46
	v_cmp_ne_u16_sdwa s2, v1, v51 src0_sel:BYTE_1 src1_sel:DWORD
	v_mov_b32_e32 v115, v45
	s_and_saveexec_b32 s31, s2
	s_cbranch_execz .LBB195_200
; %bb.195:                              ;   in Loop: Header=BB195_9 Depth=1
	v_mov_b32_e32 v2, 0xffff
	v_mov_b32_e32 v69, v58
	;; [unrolled: 1-line block ×3, first 2 shown]
	s_mov_b32 s33, exec_lo
	v_and_b32_sdwa v2, v2, v1 dst_sel:DWORD dst_unused:UNUSED_PAD src0_sel:DWORD src1_sel:BYTE_1
	v_mov_b32_e32 v115, v69
	v_and_b32_e32 v3, 0x7f, v2
	v_cmpx_ne_u32_e32 0x7f, v3
	s_cbranch_execz .LBB195_199
; %bb.196:                              ;   in Loop: Header=BB195_9 Depth=1
	v_and_b32_e32 v57, 7, v2
	v_lshrrev_b32_e32 v2, 3, v3
	s_mov_b32 s34, exec_lo
	v_cmpx_gt_u32_e32 8, v3
; %bb.197:                              ;   in Loop: Header=BB195_9 Depth=1
	v_ffbh_u32_e32 v2, v57
	v_min_u32_e32 v2, 32, v2
	v_subrev_nc_u32_e32 v3, 28, v2
	v_sub_nc_u32_e32 v2, 29, v2
	v_lshlrev_b64 v[3:4], v3, v[57:58]
	v_and_b32_e32 v57, 7, v3
; %bb.198:                              ;   in Loop: Header=BB195_9 Depth=1
	s_or_b32 exec_lo, exec_lo, s34
	v_lshlrev_b32_e32 v1, 16, v1
	v_lshlrev_b32_e32 v3, 20, v57
	v_lshl_add_u32 v2, v2, 23, 0x3c000000
	v_mov_b32_e32 v115, v58
	v_and_b32_e32 v1, 0x80000000, v1
	v_or3_b32 v116, v3, v1, v2
.LBB195_199:                            ;   in Loop: Header=BB195_9 Depth=1
	s_or_b32 exec_lo, exec_lo, s33
.LBB195_200:                            ;   in Loop: Header=BB195_9 Depth=1
	s_or_b32 exec_lo, exec_lo, s31
.LBB195_201:                            ;   in Loop: Header=BB195_9 Depth=1
	s_or_b32 exec_lo, exec_lo, s3
	global_load_ushort v2, v[75:76], off offset:768
	v_mov_b32_e32 v119, 0
	v_mov_b32_e32 v117, 0
	;; [unrolled: 1-line block ×4, first 2 shown]
	s_waitcnt vmcnt(0)
	v_and_b32_e32 v1, 0xffff, v2
	v_cmp_ne_u16_sdwa s2, v2, v58 src0_sel:BYTE_0 src1_sel:DWORD
	s_and_saveexec_b32 s3, s2
	s_cbranch_execz .LBB195_209
; %bb.202:                              ;   in Loop: Header=BB195_9 Depth=1
	v_bfrev_b32_e32 v117, 1
	v_mov_b32_e32 v118, 0
	v_cmp_ne_u16_sdwa s2, v1, v51 src0_sel:BYTE_0 src1_sel:DWORD
	s_and_saveexec_b32 s31, s2
	s_cbranch_execz .LBB195_208
; %bb.203:                              ;   in Loop: Header=BB195_9 Depth=1
	v_mov_b32_e32 v117, 0x7f800001
	v_and_b32_e32 v3, 0x7f, v1
	v_mov_b32_e32 v118, 0
	s_mov_b32 s33, exec_lo
	v_cmpx_ne_u32_e32 0x7f, v3
	s_cbranch_execz .LBB195_207
; %bb.204:                              ;   in Loop: Header=BB195_9 Depth=1
	v_and_b32_e32 v57, 7, v1
	v_lshrrev_b32_e32 v2, 3, v3
	s_mov_b32 s34, exec_lo
	v_cmpx_gt_u32_e32 8, v3
; %bb.205:                              ;   in Loop: Header=BB195_9 Depth=1
	v_ffbh_u32_e32 v2, v57
	v_min_u32_e32 v2, 32, v2
	v_subrev_nc_u32_e32 v3, 28, v2
	v_sub_nc_u32_e32 v2, 29, v2
	v_lshlrev_b64 v[3:4], v3, v[57:58]
	v_and_b32_e32 v57, 7, v3
; %bb.206:                              ;   in Loop: Header=BB195_9 Depth=1
	s_or_b32 exec_lo, exec_lo, s34
	v_lshlrev_b32_e32 v3, 24, v1
	v_lshlrev_b32_e32 v4, 20, v57
	v_lshl_add_u32 v2, v2, 23, 0x3c000000
	v_and_b32_e32 v3, 0x80000000, v3
	v_or3_b32 v57, v4, v3, v2
	v_mov_b32_e32 v118, v58
	v_mov_b32_e32 v117, v57
.LBB195_207:                            ;   in Loop: Header=BB195_9 Depth=1
	s_or_b32 exec_lo, exec_lo, s33
.LBB195_208:                            ;   in Loop: Header=BB195_9 Depth=1
	s_or_b32 exec_lo, exec_lo, s31
.LBB195_209:                            ;   in Loop: Header=BB195_9 Depth=1
	s_or_b32 exec_lo, exec_lo, s3
	v_cmp_ne_u16_sdwa s2, v1, v58 src0_sel:BYTE_1 src1_sel:DWORD
	s_and_saveexec_b32 s3, s2
	s_cbranch_execz .LBB195_217
; %bb.210:                              ;   in Loop: Header=BB195_9 Depth=1
	v_mov_b32_e32 v45, v58
	v_mov_b32_e32 v120, v46
	v_cmp_ne_u16_sdwa s2, v1, v51 src0_sel:BYTE_1 src1_sel:DWORD
	v_mov_b32_e32 v119, v45
	s_and_saveexec_b32 s31, s2
	s_cbranch_execz .LBB195_216
; %bb.211:                              ;   in Loop: Header=BB195_9 Depth=1
	v_mov_b32_e32 v2, 0xffff
	v_mov_b32_e32 v69, v58
	;; [unrolled: 1-line block ×3, first 2 shown]
	s_mov_b32 s33, exec_lo
	v_and_b32_sdwa v2, v2, v1 dst_sel:DWORD dst_unused:UNUSED_PAD src0_sel:DWORD src1_sel:BYTE_1
	v_mov_b32_e32 v119, v69
	v_and_b32_e32 v3, 0x7f, v2
	v_cmpx_ne_u32_e32 0x7f, v3
	s_cbranch_execz .LBB195_215
; %bb.212:                              ;   in Loop: Header=BB195_9 Depth=1
	v_and_b32_e32 v57, 7, v2
	v_lshrrev_b32_e32 v2, 3, v3
	s_mov_b32 s34, exec_lo
	v_cmpx_gt_u32_e32 8, v3
; %bb.213:                              ;   in Loop: Header=BB195_9 Depth=1
	v_ffbh_u32_e32 v2, v57
	v_min_u32_e32 v2, 32, v2
	v_subrev_nc_u32_e32 v3, 28, v2
	v_sub_nc_u32_e32 v2, 29, v2
	v_lshlrev_b64 v[3:4], v3, v[57:58]
	v_and_b32_e32 v57, 7, v3
; %bb.214:                              ;   in Loop: Header=BB195_9 Depth=1
	s_or_b32 exec_lo, exec_lo, s34
	v_lshlrev_b32_e32 v1, 16, v1
	v_lshlrev_b32_e32 v3, 20, v57
	v_lshl_add_u32 v2, v2, 23, 0x3c000000
	v_mov_b32_e32 v119, v58
	v_and_b32_e32 v1, 0x80000000, v1
	v_or3_b32 v120, v3, v1, v2
.LBB195_215:                            ;   in Loop: Header=BB195_9 Depth=1
	s_or_b32 exec_lo, exec_lo, s33
.LBB195_216:                            ;   in Loop: Header=BB195_9 Depth=1
	s_or_b32 exec_lo, exec_lo, s31
.LBB195_217:                            ;   in Loop: Header=BB195_9 Depth=1
	s_or_b32 exec_lo, exec_lo, s3
	global_load_ushort v2, v[75:76], off offset:772
	v_mov_b32_e32 v123, 0
	v_mov_b32_e32 v121, 0
	v_mov_b32_e32 v124, 0
	v_mov_b32_e32 v122, 0
	s_waitcnt vmcnt(0)
	v_and_b32_e32 v1, 0xffff, v2
	v_cmp_ne_u16_sdwa s2, v2, v58 src0_sel:BYTE_0 src1_sel:DWORD
	s_and_saveexec_b32 s3, s2
	s_cbranch_execz .LBB195_225
; %bb.218:                              ;   in Loop: Header=BB195_9 Depth=1
	v_bfrev_b32_e32 v121, 1
	v_mov_b32_e32 v122, 0
	v_cmp_ne_u16_sdwa s2, v1, v51 src0_sel:BYTE_0 src1_sel:DWORD
	s_and_saveexec_b32 s31, s2
	s_cbranch_execz .LBB195_224
; %bb.219:                              ;   in Loop: Header=BB195_9 Depth=1
	v_mov_b32_e32 v121, 0x7f800001
	v_and_b32_e32 v3, 0x7f, v1
	v_mov_b32_e32 v122, 0
	s_mov_b32 s33, exec_lo
	v_cmpx_ne_u32_e32 0x7f, v3
	s_cbranch_execz .LBB195_223
; %bb.220:                              ;   in Loop: Header=BB195_9 Depth=1
	v_and_b32_e32 v57, 7, v1
	v_lshrrev_b32_e32 v2, 3, v3
	s_mov_b32 s34, exec_lo
	v_cmpx_gt_u32_e32 8, v3
; %bb.221:                              ;   in Loop: Header=BB195_9 Depth=1
	v_ffbh_u32_e32 v2, v57
	v_min_u32_e32 v2, 32, v2
	v_subrev_nc_u32_e32 v3, 28, v2
	v_sub_nc_u32_e32 v2, 29, v2
	v_lshlrev_b64 v[3:4], v3, v[57:58]
	v_and_b32_e32 v57, 7, v3
; %bb.222:                              ;   in Loop: Header=BB195_9 Depth=1
	s_or_b32 exec_lo, exec_lo, s34
	v_lshlrev_b32_e32 v3, 24, v1
	v_lshlrev_b32_e32 v4, 20, v57
	v_lshl_add_u32 v2, v2, 23, 0x3c000000
	v_and_b32_e32 v3, 0x80000000, v3
	v_or3_b32 v57, v4, v3, v2
	v_mov_b32_e32 v122, v58
	v_mov_b32_e32 v121, v57
.LBB195_223:                            ;   in Loop: Header=BB195_9 Depth=1
	s_or_b32 exec_lo, exec_lo, s33
.LBB195_224:                            ;   in Loop: Header=BB195_9 Depth=1
	s_or_b32 exec_lo, exec_lo, s31
.LBB195_225:                            ;   in Loop: Header=BB195_9 Depth=1
	s_or_b32 exec_lo, exec_lo, s3
	v_cmp_ne_u16_sdwa s2, v1, v58 src0_sel:BYTE_1 src1_sel:DWORD
	s_and_saveexec_b32 s3, s2
	s_cbranch_execz .LBB195_233
; %bb.226:                              ;   in Loop: Header=BB195_9 Depth=1
	v_mov_b32_e32 v45, v58
	v_mov_b32_e32 v124, v46
	v_cmp_ne_u16_sdwa s2, v1, v51 src0_sel:BYTE_1 src1_sel:DWORD
	v_mov_b32_e32 v123, v45
	s_and_saveexec_b32 s31, s2
	s_cbranch_execz .LBB195_232
; %bb.227:                              ;   in Loop: Header=BB195_9 Depth=1
	v_mov_b32_e32 v2, 0xffff
	v_mov_b32_e32 v69, v58
	;; [unrolled: 1-line block ×3, first 2 shown]
	s_mov_b32 s33, exec_lo
	v_and_b32_sdwa v2, v2, v1 dst_sel:DWORD dst_unused:UNUSED_PAD src0_sel:DWORD src1_sel:BYTE_1
	v_mov_b32_e32 v123, v69
	v_and_b32_e32 v3, 0x7f, v2
	v_cmpx_ne_u32_e32 0x7f, v3
	s_cbranch_execz .LBB195_231
; %bb.228:                              ;   in Loop: Header=BB195_9 Depth=1
	v_and_b32_e32 v57, 7, v2
	v_lshrrev_b32_e32 v2, 3, v3
	s_mov_b32 s34, exec_lo
	v_cmpx_gt_u32_e32 8, v3
; %bb.229:                              ;   in Loop: Header=BB195_9 Depth=1
	v_ffbh_u32_e32 v2, v57
	v_min_u32_e32 v2, 32, v2
	v_subrev_nc_u32_e32 v3, 28, v2
	v_sub_nc_u32_e32 v2, 29, v2
	v_lshlrev_b64 v[3:4], v3, v[57:58]
	v_and_b32_e32 v57, 7, v3
; %bb.230:                              ;   in Loop: Header=BB195_9 Depth=1
	s_or_b32 exec_lo, exec_lo, s34
	v_lshlrev_b32_e32 v1, 16, v1
	v_lshlrev_b32_e32 v3, 20, v57
	v_lshl_add_u32 v2, v2, 23, 0x3c000000
	v_mov_b32_e32 v123, v58
	v_and_b32_e32 v1, 0x80000000, v1
	v_or3_b32 v124, v3, v1, v2
.LBB195_231:                            ;   in Loop: Header=BB195_9 Depth=1
	s_or_b32 exec_lo, exec_lo, s33
.LBB195_232:                            ;   in Loop: Header=BB195_9 Depth=1
	s_or_b32 exec_lo, exec_lo, s31
.LBB195_233:                            ;   in Loop: Header=BB195_9 Depth=1
	s_or_b32 exec_lo, exec_lo, s3
	global_load_ushort v1, v[75:76], off offset:776
	v_mov_b32_e32 v3, 0
	v_mov_b32_e32 v4, 0
	s_waitcnt vmcnt(0)
	v_and_b32_e32 v5, 0xffff, v1
	v_cmp_ne_u16_sdwa s2, v1, v58 src0_sel:BYTE_0 src1_sel:DWORD
	v_mov_b32_e32 v1, 0
	v_mov_b32_e32 v2, 0
	s_and_saveexec_b32 s3, s2
	s_cbranch_execz .LBB195_241
; %bb.234:                              ;   in Loop: Header=BB195_9 Depth=1
	v_bfrev_b32_e32 v1, 1
	v_mov_b32_e32 v2, 0
	v_cmp_ne_u16_sdwa s2, v5, v51 src0_sel:BYTE_0 src1_sel:DWORD
	s_and_saveexec_b32 s31, s2
	s_cbranch_execz .LBB195_240
; %bb.235:                              ;   in Loop: Header=BB195_9 Depth=1
	v_mov_b32_e32 v1, 0x7f800001
	v_and_b32_e32 v6, 0x7f, v5
	v_mov_b32_e32 v2, 0
	s_mov_b32 s33, exec_lo
	v_cmpx_ne_u32_e32 0x7f, v6
	s_cbranch_execz .LBB195_239
; %bb.236:                              ;   in Loop: Header=BB195_9 Depth=1
	v_and_b32_e32 v57, 7, v5
	v_lshrrev_b32_e32 v1, 3, v6
	s_mov_b32 s34, exec_lo
	v_cmpx_gt_u32_e32 8, v6
; %bb.237:                              ;   in Loop: Header=BB195_9 Depth=1
	v_ffbh_u32_e32 v1, v57
	v_min_u32_e32 v1, 32, v1
	v_subrev_nc_u32_e32 v2, 28, v1
	v_sub_nc_u32_e32 v1, 29, v1
	v_lshlrev_b64 v[6:7], v2, v[57:58]
	v_and_b32_e32 v57, 7, v6
; %bb.238:                              ;   in Loop: Header=BB195_9 Depth=1
	s_or_b32 exec_lo, exec_lo, s34
	v_lshlrev_b32_e32 v2, 24, v5
	v_lshlrev_b32_e32 v6, 20, v57
	v_lshl_add_u32 v1, v1, 23, 0x3c000000
	v_and_b32_e32 v2, 0x80000000, v2
	v_or3_b32 v57, v6, v2, v1
	v_mov_b32_e32 v1, v57
	v_mov_b32_e32 v2, v58
.LBB195_239:                            ;   in Loop: Header=BB195_9 Depth=1
	s_or_b32 exec_lo, exec_lo, s33
.LBB195_240:                            ;   in Loop: Header=BB195_9 Depth=1
	s_or_b32 exec_lo, exec_lo, s31
.LBB195_241:                            ;   in Loop: Header=BB195_9 Depth=1
	s_or_b32 exec_lo, exec_lo, s3
	v_cmp_ne_u16_sdwa s2, v5, v58 src0_sel:BYTE_1 src1_sel:DWORD
	s_and_saveexec_b32 s3, s2
	s_cbranch_execz .LBB195_249
; %bb.242:                              ;   in Loop: Header=BB195_9 Depth=1
	v_mov_b32_e32 v45, v58
	v_cmp_ne_u16_sdwa s2, v5, v51 src0_sel:BYTE_1 src1_sel:DWORD
	v_mov_b32_e32 v3, v45
	v_mov_b32_e32 v4, v46
	s_and_saveexec_b32 s31, s2
	s_cbranch_execz .LBB195_248
; %bb.243:                              ;   in Loop: Header=BB195_9 Depth=1
	v_mov_b32_e32 v3, 0xffff
	v_mov_b32_e32 v69, v58
	s_mov_b32 s33, exec_lo
	v_and_b32_sdwa v7, v3, v5 dst_sel:DWORD dst_unused:UNUSED_PAD src0_sel:DWORD src1_sel:BYTE_1
	v_mov_b32_e32 v3, v69
	v_mov_b32_e32 v4, v70
	v_and_b32_e32 v6, 0x7f, v7
	v_cmpx_ne_u32_e32 0x7f, v6
	s_cbranch_execz .LBB195_247
; %bb.244:                              ;   in Loop: Header=BB195_9 Depth=1
	v_and_b32_e32 v57, 7, v7
	v_lshrrev_b32_e32 v3, 3, v6
	s_mov_b32 s34, exec_lo
	v_cmpx_gt_u32_e32 8, v6
; %bb.245:                              ;   in Loop: Header=BB195_9 Depth=1
	v_ffbh_u32_e32 v3, v57
	v_min_u32_e32 v3, 32, v3
	v_subrev_nc_u32_e32 v4, 28, v3
	v_sub_nc_u32_e32 v3, 29, v3
	v_lshlrev_b64 v[6:7], v4, v[57:58]
	v_and_b32_e32 v57, 7, v6
; %bb.246:                              ;   in Loop: Header=BB195_9 Depth=1
	s_or_b32 exec_lo, exec_lo, s34
	v_lshlrev_b32_e32 v4, 16, v5
	v_lshlrev_b32_e32 v5, 20, v57
	v_lshl_add_u32 v3, v3, 23, 0x3c000000
	v_and_b32_e32 v4, 0x80000000, v4
	v_or3_b32 v4, v5, v4, v3
	v_mov_b32_e32 v3, v58
.LBB195_247:                            ;   in Loop: Header=BB195_9 Depth=1
	s_or_b32 exec_lo, exec_lo, s33
.LBB195_248:                            ;   in Loop: Header=BB195_9 Depth=1
	s_or_b32 exec_lo, exec_lo, s31
.LBB195_249:                            ;   in Loop: Header=BB195_9 Depth=1
	s_or_b32 exec_lo, exec_lo, s3
	global_load_ushort v6, v[75:76], off offset:780
	v_mov_b32_e32 v59, 0
	v_mov_b32_e32 v125, 0
	;; [unrolled: 1-line block ×4, first 2 shown]
	s_waitcnt vmcnt(0)
	v_and_b32_e32 v5, 0xffff, v6
	v_cmp_ne_u16_sdwa s2, v6, v58 src0_sel:BYTE_0 src1_sel:DWORD
	s_and_saveexec_b32 s3, s2
	s_cbranch_execz .LBB195_257
; %bb.250:                              ;   in Loop: Header=BB195_9 Depth=1
	v_bfrev_b32_e32 v125, 1
	v_mov_b32_e32 v126, 0
	v_cmp_ne_u16_sdwa s2, v5, v51 src0_sel:BYTE_0 src1_sel:DWORD
	s_and_saveexec_b32 s31, s2
	s_cbranch_execz .LBB195_256
; %bb.251:                              ;   in Loop: Header=BB195_9 Depth=1
	v_mov_b32_e32 v125, 0x7f800001
	v_and_b32_e32 v7, 0x7f, v5
	v_mov_b32_e32 v126, 0
	s_mov_b32 s33, exec_lo
	v_cmpx_ne_u32_e32 0x7f, v7
	s_cbranch_execz .LBB195_255
; %bb.252:                              ;   in Loop: Header=BB195_9 Depth=1
	v_and_b32_e32 v57, 7, v5
	v_lshrrev_b32_e32 v6, 3, v7
	s_mov_b32 s34, exec_lo
	v_cmpx_gt_u32_e32 8, v7
; %bb.253:                              ;   in Loop: Header=BB195_9 Depth=1
	v_ffbh_u32_e32 v6, v57
	v_min_u32_e32 v6, 32, v6
	v_subrev_nc_u32_e32 v7, 28, v6
	v_sub_nc_u32_e32 v6, 29, v6
	v_lshlrev_b64 v[7:8], v7, v[57:58]
	v_and_b32_e32 v57, 7, v7
; %bb.254:                              ;   in Loop: Header=BB195_9 Depth=1
	s_or_b32 exec_lo, exec_lo, s34
	v_lshlrev_b32_e32 v7, 24, v5
	v_lshlrev_b32_e32 v8, 20, v57
	v_lshl_add_u32 v6, v6, 23, 0x3c000000
	v_and_b32_e32 v7, 0x80000000, v7
	v_or3_b32 v57, v8, v7, v6
	v_mov_b32_e32 v126, v58
	v_mov_b32_e32 v125, v57
.LBB195_255:                            ;   in Loop: Header=BB195_9 Depth=1
	s_or_b32 exec_lo, exec_lo, s33
.LBB195_256:                            ;   in Loop: Header=BB195_9 Depth=1
	s_or_b32 exec_lo, exec_lo, s31
.LBB195_257:                            ;   in Loop: Header=BB195_9 Depth=1
	s_or_b32 exec_lo, exec_lo, s3
	v_cmp_ne_u16_sdwa s2, v5, v58 src0_sel:BYTE_1 src1_sel:DWORD
	s_and_saveexec_b32 s3, s2
	s_cbranch_execz .LBB195_265
; %bb.258:                              ;   in Loop: Header=BB195_9 Depth=1
	v_mov_b32_e32 v45, v58
	v_mov_b32_e32 v60, v46
	v_cmp_ne_u16_sdwa s2, v5, v51 src0_sel:BYTE_1 src1_sel:DWORD
	v_mov_b32_e32 v59, v45
	s_and_saveexec_b32 s31, s2
	s_cbranch_execz .LBB195_264
; %bb.259:                              ;   in Loop: Header=BB195_9 Depth=1
	v_mov_b32_e32 v6, 0xffff
	v_mov_b32_e32 v69, v58
	s_mov_b32 s33, exec_lo
	v_and_b32_sdwa v6, v6, v5 dst_sel:DWORD dst_unused:UNUSED_PAD src0_sel:DWORD src1_sel:BYTE_1
	v_mov_b32_e32 v59, v69
	v_mov_b32_e32 v60, v70
	v_and_b32_e32 v7, 0x7f, v6
	v_cmpx_ne_u32_e32 0x7f, v7
	s_cbranch_execz .LBB195_263
; %bb.260:                              ;   in Loop: Header=BB195_9 Depth=1
	v_and_b32_e32 v57, 7, v6
	v_lshrrev_b32_e32 v6, 3, v7
	s_mov_b32 s34, exec_lo
	v_cmpx_gt_u32_e32 8, v7
; %bb.261:                              ;   in Loop: Header=BB195_9 Depth=1
	v_ffbh_u32_e32 v6, v57
	v_min_u32_e32 v6, 32, v6
	v_subrev_nc_u32_e32 v7, 28, v6
	v_sub_nc_u32_e32 v6, 29, v6
	v_lshlrev_b64 v[7:8], v7, v[57:58]
	v_and_b32_e32 v57, 7, v7
; %bb.262:                              ;   in Loop: Header=BB195_9 Depth=1
	s_or_b32 exec_lo, exec_lo, s34
	v_lshlrev_b32_e32 v5, 16, v5
	v_lshlrev_b32_e32 v7, 20, v57
	v_lshl_add_u32 v6, v6, 23, 0x3c000000
	v_mov_b32_e32 v59, v58
	v_and_b32_e32 v5, 0x80000000, v5
	v_or3_b32 v60, v7, v5, v6
.LBB195_263:                            ;   in Loop: Header=BB195_9 Depth=1
	s_or_b32 exec_lo, exec_lo, s33
.LBB195_264:                            ;   in Loop: Header=BB195_9 Depth=1
	s_or_b32 exec_lo, exec_lo, s31
.LBB195_265:                            ;   in Loop: Header=BB195_9 Depth=1
	s_or_b32 exec_lo, exec_lo, s3
	global_load_ushort v5, v[75:76], off offset:1024
	v_mov_b32_e32 v7, 0
	v_mov_b32_e32 v8, 0
	s_waitcnt vmcnt(0)
	v_and_b32_e32 v9, 0xffff, v5
	v_cmp_ne_u16_sdwa s2, v5, v58 src0_sel:BYTE_0 src1_sel:DWORD
	v_mov_b32_e32 v5, 0
	v_mov_b32_e32 v6, 0
	s_and_saveexec_b32 s3, s2
	s_cbranch_execz .LBB195_273
; %bb.266:                              ;   in Loop: Header=BB195_9 Depth=1
	v_bfrev_b32_e32 v5, 1
	v_mov_b32_e32 v6, 0
	v_cmp_ne_u16_sdwa s2, v9, v51 src0_sel:BYTE_0 src1_sel:DWORD
	s_and_saveexec_b32 s31, s2
	s_cbranch_execz .LBB195_272
; %bb.267:                              ;   in Loop: Header=BB195_9 Depth=1
	v_mov_b32_e32 v5, 0x7f800001
	v_and_b32_e32 v10, 0x7f, v9
	v_mov_b32_e32 v6, 0
	s_mov_b32 s33, exec_lo
	v_cmpx_ne_u32_e32 0x7f, v10
	s_cbranch_execz .LBB195_271
; %bb.268:                              ;   in Loop: Header=BB195_9 Depth=1
	v_and_b32_e32 v57, 7, v9
	v_lshrrev_b32_e32 v5, 3, v10
	s_mov_b32 s34, exec_lo
	v_cmpx_gt_u32_e32 8, v10
; %bb.269:                              ;   in Loop: Header=BB195_9 Depth=1
	v_ffbh_u32_e32 v5, v57
	v_min_u32_e32 v5, 32, v5
	v_subrev_nc_u32_e32 v6, 28, v5
	v_sub_nc_u32_e32 v5, 29, v5
	v_lshlrev_b64 v[10:11], v6, v[57:58]
	v_and_b32_e32 v57, 7, v10
; %bb.270:                              ;   in Loop: Header=BB195_9 Depth=1
	s_or_b32 exec_lo, exec_lo, s34
	v_lshlrev_b32_e32 v6, 24, v9
	v_lshlrev_b32_e32 v10, 20, v57
	v_lshl_add_u32 v5, v5, 23, 0x3c000000
	v_and_b32_e32 v6, 0x80000000, v6
	v_or3_b32 v57, v10, v6, v5
	v_mov_b32_e32 v5, v57
	v_mov_b32_e32 v6, v58
.LBB195_271:                            ;   in Loop: Header=BB195_9 Depth=1
	s_or_b32 exec_lo, exec_lo, s33
.LBB195_272:                            ;   in Loop: Header=BB195_9 Depth=1
	s_or_b32 exec_lo, exec_lo, s31
.LBB195_273:                            ;   in Loop: Header=BB195_9 Depth=1
	s_or_b32 exec_lo, exec_lo, s3
	v_cmp_ne_u16_sdwa s2, v9, v58 src0_sel:BYTE_1 src1_sel:DWORD
	s_and_saveexec_b32 s3, s2
	s_cbranch_execz .LBB195_281
; %bb.274:                              ;   in Loop: Header=BB195_9 Depth=1
	v_mov_b32_e32 v45, v58
	v_cmp_ne_u16_sdwa s2, v9, v51 src0_sel:BYTE_1 src1_sel:DWORD
	v_mov_b32_e32 v7, v45
	v_mov_b32_e32 v8, v46
	s_and_saveexec_b32 s31, s2
	s_cbranch_execz .LBB195_280
; %bb.275:                              ;   in Loop: Header=BB195_9 Depth=1
	v_mov_b32_e32 v7, 0xffff
	v_mov_b32_e32 v69, v58
	s_mov_b32 s33, exec_lo
	v_and_b32_sdwa v11, v7, v9 dst_sel:DWORD dst_unused:UNUSED_PAD src0_sel:DWORD src1_sel:BYTE_1
	v_mov_b32_e32 v7, v69
	v_mov_b32_e32 v8, v70
	v_and_b32_e32 v10, 0x7f, v11
	v_cmpx_ne_u32_e32 0x7f, v10
	s_cbranch_execz .LBB195_279
; %bb.276:                              ;   in Loop: Header=BB195_9 Depth=1
	v_and_b32_e32 v57, 7, v11
	v_lshrrev_b32_e32 v7, 3, v10
	s_mov_b32 s34, exec_lo
	v_cmpx_gt_u32_e32 8, v10
; %bb.277:                              ;   in Loop: Header=BB195_9 Depth=1
	v_ffbh_u32_e32 v7, v57
	v_min_u32_e32 v7, 32, v7
	v_subrev_nc_u32_e32 v8, 28, v7
	v_sub_nc_u32_e32 v7, 29, v7
	v_lshlrev_b64 v[10:11], v8, v[57:58]
	v_and_b32_e32 v57, 7, v10
; %bb.278:                              ;   in Loop: Header=BB195_9 Depth=1
	s_or_b32 exec_lo, exec_lo, s34
	v_lshlrev_b32_e32 v8, 16, v9
	v_lshlrev_b32_e32 v9, 20, v57
	v_lshl_add_u32 v7, v7, 23, 0x3c000000
	v_and_b32_e32 v8, 0x80000000, v8
	v_or3_b32 v8, v9, v8, v7
	v_mov_b32_e32 v7, v58
.LBB195_279:                            ;   in Loop: Header=BB195_9 Depth=1
	s_or_b32 exec_lo, exec_lo, s33
.LBB195_280:                            ;   in Loop: Header=BB195_9 Depth=1
	s_or_b32 exec_lo, exec_lo, s31
.LBB195_281:                            ;   in Loop: Header=BB195_9 Depth=1
	s_or_b32 exec_lo, exec_lo, s3
	global_load_ushort v9, v[75:76], off offset:1028
	v_mov_b32_e32 v11, 0
	v_mov_b32_e32 v12, 0
	s_waitcnt vmcnt(0)
	v_and_b32_e32 v13, 0xffff, v9
	v_cmp_ne_u16_sdwa s2, v9, v58 src0_sel:BYTE_0 src1_sel:DWORD
	v_mov_b32_e32 v9, 0
	v_mov_b32_e32 v10, 0
	s_and_saveexec_b32 s3, s2
	s_cbranch_execz .LBB195_289
; %bb.282:                              ;   in Loop: Header=BB195_9 Depth=1
	v_bfrev_b32_e32 v9, 1
	v_mov_b32_e32 v10, 0
	v_cmp_ne_u16_sdwa s2, v13, v51 src0_sel:BYTE_0 src1_sel:DWORD
	s_and_saveexec_b32 s31, s2
	s_cbranch_execz .LBB195_288
; %bb.283:                              ;   in Loop: Header=BB195_9 Depth=1
	v_mov_b32_e32 v9, 0x7f800001
	v_and_b32_e32 v14, 0x7f, v13
	v_mov_b32_e32 v10, 0
	s_mov_b32 s33, exec_lo
	v_cmpx_ne_u32_e32 0x7f, v14
	s_cbranch_execz .LBB195_287
; %bb.284:                              ;   in Loop: Header=BB195_9 Depth=1
	v_and_b32_e32 v57, 7, v13
	v_lshrrev_b32_e32 v9, 3, v14
	s_mov_b32 s34, exec_lo
	v_cmpx_gt_u32_e32 8, v14
; %bb.285:                              ;   in Loop: Header=BB195_9 Depth=1
	v_ffbh_u32_e32 v9, v57
	v_min_u32_e32 v9, 32, v9
	v_subrev_nc_u32_e32 v10, 28, v9
	v_sub_nc_u32_e32 v9, 29, v9
	v_lshlrev_b64 v[14:15], v10, v[57:58]
	v_and_b32_e32 v57, 7, v14
; %bb.286:                              ;   in Loop: Header=BB195_9 Depth=1
	s_or_b32 exec_lo, exec_lo, s34
	v_lshlrev_b32_e32 v10, 24, v13
	v_lshlrev_b32_e32 v14, 20, v57
	v_lshl_add_u32 v9, v9, 23, 0x3c000000
	v_and_b32_e32 v10, 0x80000000, v10
	v_or3_b32 v57, v14, v10, v9
	v_mov_b32_e32 v9, v57
	v_mov_b32_e32 v10, v58
.LBB195_287:                            ;   in Loop: Header=BB195_9 Depth=1
	s_or_b32 exec_lo, exec_lo, s33
.LBB195_288:                            ;   in Loop: Header=BB195_9 Depth=1
	s_or_b32 exec_lo, exec_lo, s31
.LBB195_289:                            ;   in Loop: Header=BB195_9 Depth=1
	s_or_b32 exec_lo, exec_lo, s3
	v_cmp_ne_u16_sdwa s2, v13, v58 src0_sel:BYTE_1 src1_sel:DWORD
	s_and_saveexec_b32 s3, s2
	s_cbranch_execz .LBB195_297
; %bb.290:                              ;   in Loop: Header=BB195_9 Depth=1
	v_mov_b32_e32 v45, v58
	v_cmp_ne_u16_sdwa s2, v13, v51 src0_sel:BYTE_1 src1_sel:DWORD
	v_mov_b32_e32 v11, v45
	v_mov_b32_e32 v12, v46
	s_and_saveexec_b32 s31, s2
	s_cbranch_execz .LBB195_296
; %bb.291:                              ;   in Loop: Header=BB195_9 Depth=1
	v_mov_b32_e32 v11, 0xffff
	v_mov_b32_e32 v69, v58
	s_mov_b32 s33, exec_lo
	v_and_b32_sdwa v15, v11, v13 dst_sel:DWORD dst_unused:UNUSED_PAD src0_sel:DWORD src1_sel:BYTE_1
	v_mov_b32_e32 v11, v69
	v_mov_b32_e32 v12, v70
	v_and_b32_e32 v14, 0x7f, v15
	v_cmpx_ne_u32_e32 0x7f, v14
	s_cbranch_execz .LBB195_295
; %bb.292:                              ;   in Loop: Header=BB195_9 Depth=1
	v_and_b32_e32 v57, 7, v15
	v_lshrrev_b32_e32 v11, 3, v14
	s_mov_b32 s34, exec_lo
	v_cmpx_gt_u32_e32 8, v14
; %bb.293:                              ;   in Loop: Header=BB195_9 Depth=1
	v_ffbh_u32_e32 v11, v57
	v_min_u32_e32 v11, 32, v11
	v_subrev_nc_u32_e32 v12, 28, v11
	v_sub_nc_u32_e32 v11, 29, v11
	v_lshlrev_b64 v[14:15], v12, v[57:58]
	v_and_b32_e32 v57, 7, v14
; %bb.294:                              ;   in Loop: Header=BB195_9 Depth=1
	s_or_b32 exec_lo, exec_lo, s34
	v_lshlrev_b32_e32 v12, 16, v13
	v_lshlrev_b32_e32 v13, 20, v57
	v_lshl_add_u32 v11, v11, 23, 0x3c000000
	v_and_b32_e32 v12, 0x80000000, v12
	v_or3_b32 v12, v13, v12, v11
	v_mov_b32_e32 v11, v58
.LBB195_295:                            ;   in Loop: Header=BB195_9 Depth=1
	s_or_b32 exec_lo, exec_lo, s33
.LBB195_296:                            ;   in Loop: Header=BB195_9 Depth=1
	s_or_b32 exec_lo, exec_lo, s31
.LBB195_297:                            ;   in Loop: Header=BB195_9 Depth=1
	s_or_b32 exec_lo, exec_lo, s3
	global_load_ushort v13, v[75:76], off offset:1032
	v_mov_b32_e32 v15, 0
	v_mov_b32_e32 v16, 0
	s_waitcnt vmcnt(0)
	v_and_b32_e32 v17, 0xffff, v13
	v_cmp_ne_u16_sdwa s2, v13, v58 src0_sel:BYTE_0 src1_sel:DWORD
	v_mov_b32_e32 v13, 0
	v_mov_b32_e32 v14, 0
	s_and_saveexec_b32 s3, s2
	s_cbranch_execz .LBB195_305
; %bb.298:                              ;   in Loop: Header=BB195_9 Depth=1
	v_bfrev_b32_e32 v13, 1
	v_mov_b32_e32 v14, 0
	v_cmp_ne_u16_sdwa s2, v17, v51 src0_sel:BYTE_0 src1_sel:DWORD
	s_and_saveexec_b32 s31, s2
	s_cbranch_execz .LBB195_304
; %bb.299:                              ;   in Loop: Header=BB195_9 Depth=1
	v_mov_b32_e32 v13, 0x7f800001
	v_and_b32_e32 v18, 0x7f, v17
	v_mov_b32_e32 v14, 0
	s_mov_b32 s33, exec_lo
	v_cmpx_ne_u32_e32 0x7f, v18
	s_cbranch_execz .LBB195_303
; %bb.300:                              ;   in Loop: Header=BB195_9 Depth=1
	v_and_b32_e32 v57, 7, v17
	v_lshrrev_b32_e32 v13, 3, v18
	s_mov_b32 s34, exec_lo
	v_cmpx_gt_u32_e32 8, v18
; %bb.301:                              ;   in Loop: Header=BB195_9 Depth=1
	v_ffbh_u32_e32 v13, v57
	v_min_u32_e32 v13, 32, v13
	v_subrev_nc_u32_e32 v14, 28, v13
	v_sub_nc_u32_e32 v13, 29, v13
	v_lshlrev_b64 v[18:19], v14, v[57:58]
	v_and_b32_e32 v57, 7, v18
; %bb.302:                              ;   in Loop: Header=BB195_9 Depth=1
	s_or_b32 exec_lo, exec_lo, s34
	v_lshlrev_b32_e32 v14, 24, v17
	v_lshlrev_b32_e32 v18, 20, v57
	v_lshl_add_u32 v13, v13, 23, 0x3c000000
	v_and_b32_e32 v14, 0x80000000, v14
	v_or3_b32 v57, v18, v14, v13
	v_mov_b32_e32 v13, v57
	v_mov_b32_e32 v14, v58
.LBB195_303:                            ;   in Loop: Header=BB195_9 Depth=1
	s_or_b32 exec_lo, exec_lo, s33
.LBB195_304:                            ;   in Loop: Header=BB195_9 Depth=1
	s_or_b32 exec_lo, exec_lo, s31
.LBB195_305:                            ;   in Loop: Header=BB195_9 Depth=1
	s_or_b32 exec_lo, exec_lo, s3
	v_cmp_ne_u16_sdwa s2, v17, v58 src0_sel:BYTE_1 src1_sel:DWORD
	s_and_saveexec_b32 s3, s2
	s_cbranch_execz .LBB195_313
; %bb.306:                              ;   in Loop: Header=BB195_9 Depth=1
	v_mov_b32_e32 v45, v58
	v_cmp_ne_u16_sdwa s2, v17, v51 src0_sel:BYTE_1 src1_sel:DWORD
	v_mov_b32_e32 v15, v45
	v_mov_b32_e32 v16, v46
	s_and_saveexec_b32 s31, s2
	s_cbranch_execz .LBB195_312
; %bb.307:                              ;   in Loop: Header=BB195_9 Depth=1
	v_mov_b32_e32 v15, 0xffff
	v_mov_b32_e32 v69, v58
	s_mov_b32 s33, exec_lo
	v_and_b32_sdwa v19, v15, v17 dst_sel:DWORD dst_unused:UNUSED_PAD src0_sel:DWORD src1_sel:BYTE_1
	v_mov_b32_e32 v15, v69
	v_mov_b32_e32 v16, v70
	v_and_b32_e32 v18, 0x7f, v19
	v_cmpx_ne_u32_e32 0x7f, v18
	s_cbranch_execz .LBB195_311
; %bb.308:                              ;   in Loop: Header=BB195_9 Depth=1
	v_and_b32_e32 v57, 7, v19
	v_lshrrev_b32_e32 v15, 3, v18
	s_mov_b32 s34, exec_lo
	v_cmpx_gt_u32_e32 8, v18
; %bb.309:                              ;   in Loop: Header=BB195_9 Depth=1
	v_ffbh_u32_e32 v15, v57
	v_min_u32_e32 v15, 32, v15
	v_subrev_nc_u32_e32 v16, 28, v15
	v_sub_nc_u32_e32 v15, 29, v15
	v_lshlrev_b64 v[18:19], v16, v[57:58]
	v_and_b32_e32 v57, 7, v18
; %bb.310:                              ;   in Loop: Header=BB195_9 Depth=1
	s_or_b32 exec_lo, exec_lo, s34
	v_lshlrev_b32_e32 v16, 16, v17
	v_lshlrev_b32_e32 v17, 20, v57
	v_lshl_add_u32 v15, v15, 23, 0x3c000000
	v_and_b32_e32 v16, 0x80000000, v16
	v_or3_b32 v16, v17, v16, v15
	v_mov_b32_e32 v15, v58
.LBB195_311:                            ;   in Loop: Header=BB195_9 Depth=1
	s_or_b32 exec_lo, exec_lo, s33
.LBB195_312:                            ;   in Loop: Header=BB195_9 Depth=1
	s_or_b32 exec_lo, exec_lo, s31
.LBB195_313:                            ;   in Loop: Header=BB195_9 Depth=1
	s_or_b32 exec_lo, exec_lo, s3
	global_load_ushort v17, v[75:76], off offset:1036
	v_mov_b32_e32 v19, 0
	v_mov_b32_e32 v20, 0
	s_waitcnt vmcnt(0)
	v_and_b32_e32 v21, 0xffff, v17
	v_cmp_ne_u16_sdwa s2, v17, v58 src0_sel:BYTE_0 src1_sel:DWORD
	v_mov_b32_e32 v17, 0
	v_mov_b32_e32 v18, 0
	s_and_saveexec_b32 s3, s2
	s_cbranch_execz .LBB195_321
; %bb.314:                              ;   in Loop: Header=BB195_9 Depth=1
	v_bfrev_b32_e32 v17, 1
	v_mov_b32_e32 v18, 0
	v_cmp_ne_u16_sdwa s2, v21, v51 src0_sel:BYTE_0 src1_sel:DWORD
	s_and_saveexec_b32 s31, s2
	s_cbranch_execz .LBB195_320
; %bb.315:                              ;   in Loop: Header=BB195_9 Depth=1
	v_mov_b32_e32 v17, 0x7f800001
	v_and_b32_e32 v22, 0x7f, v21
	v_mov_b32_e32 v18, 0
	s_mov_b32 s33, exec_lo
	v_cmpx_ne_u32_e32 0x7f, v22
	s_cbranch_execz .LBB195_319
; %bb.316:                              ;   in Loop: Header=BB195_9 Depth=1
	v_and_b32_e32 v57, 7, v21
	v_lshrrev_b32_e32 v17, 3, v22
	s_mov_b32 s34, exec_lo
	v_cmpx_gt_u32_e32 8, v22
; %bb.317:                              ;   in Loop: Header=BB195_9 Depth=1
	v_ffbh_u32_e32 v17, v57
	v_min_u32_e32 v17, 32, v17
	v_subrev_nc_u32_e32 v18, 28, v17
	v_sub_nc_u32_e32 v17, 29, v17
	v_lshlrev_b64 v[22:23], v18, v[57:58]
	v_and_b32_e32 v57, 7, v22
; %bb.318:                              ;   in Loop: Header=BB195_9 Depth=1
	s_or_b32 exec_lo, exec_lo, s34
	v_lshlrev_b32_e32 v18, 24, v21
	v_lshlrev_b32_e32 v22, 20, v57
	v_lshl_add_u32 v17, v17, 23, 0x3c000000
	v_and_b32_e32 v18, 0x80000000, v18
	v_or3_b32 v57, v22, v18, v17
	v_mov_b32_e32 v17, v57
	v_mov_b32_e32 v18, v58
.LBB195_319:                            ;   in Loop: Header=BB195_9 Depth=1
	s_or_b32 exec_lo, exec_lo, s33
.LBB195_320:                            ;   in Loop: Header=BB195_9 Depth=1
	s_or_b32 exec_lo, exec_lo, s31
.LBB195_321:                            ;   in Loop: Header=BB195_9 Depth=1
	s_or_b32 exec_lo, exec_lo, s3
	v_cmp_ne_u16_sdwa s2, v21, v58 src0_sel:BYTE_1 src1_sel:DWORD
	s_and_saveexec_b32 s3, s2
	s_cbranch_execz .LBB195_329
; %bb.322:                              ;   in Loop: Header=BB195_9 Depth=1
	v_mov_b32_e32 v45, v58
	v_cmp_ne_u16_sdwa s2, v21, v51 src0_sel:BYTE_1 src1_sel:DWORD
	v_mov_b32_e32 v19, v45
	v_mov_b32_e32 v20, v46
	s_and_saveexec_b32 s31, s2
	s_cbranch_execz .LBB195_328
; %bb.323:                              ;   in Loop: Header=BB195_9 Depth=1
	v_mov_b32_e32 v19, 0xffff
	v_mov_b32_e32 v69, v58
	s_mov_b32 s33, exec_lo
	v_and_b32_sdwa v23, v19, v21 dst_sel:DWORD dst_unused:UNUSED_PAD src0_sel:DWORD src1_sel:BYTE_1
	v_mov_b32_e32 v19, v69
	v_mov_b32_e32 v20, v70
	v_and_b32_e32 v22, 0x7f, v23
	v_cmpx_ne_u32_e32 0x7f, v22
	s_cbranch_execz .LBB195_327
; %bb.324:                              ;   in Loop: Header=BB195_9 Depth=1
	v_and_b32_e32 v57, 7, v23
	v_lshrrev_b32_e32 v19, 3, v22
	s_mov_b32 s34, exec_lo
	v_cmpx_gt_u32_e32 8, v22
; %bb.325:                              ;   in Loop: Header=BB195_9 Depth=1
	v_ffbh_u32_e32 v19, v57
	v_min_u32_e32 v19, 32, v19
	v_subrev_nc_u32_e32 v20, 28, v19
	v_sub_nc_u32_e32 v19, 29, v19
	v_lshlrev_b64 v[22:23], v20, v[57:58]
	v_and_b32_e32 v57, 7, v22
; %bb.326:                              ;   in Loop: Header=BB195_9 Depth=1
	s_or_b32 exec_lo, exec_lo, s34
	v_lshlrev_b32_e32 v20, 16, v21
	v_lshlrev_b32_e32 v21, 20, v57
	v_lshl_add_u32 v19, v19, 23, 0x3c000000
	v_and_b32_e32 v20, 0x80000000, v20
	v_or3_b32 v20, v21, v20, v19
	v_mov_b32_e32 v19, v58
.LBB195_327:                            ;   in Loop: Header=BB195_9 Depth=1
	s_or_b32 exec_lo, exec_lo, s33
.LBB195_328:                            ;   in Loop: Header=BB195_9 Depth=1
	s_or_b32 exec_lo, exec_lo, s31
.LBB195_329:                            ;   in Loop: Header=BB195_9 Depth=1
	s_or_b32 exec_lo, exec_lo, s3
	global_load_ushort v21, v[75:76], off offset:1280
	v_mov_b32_e32 v23, 0
	v_mov_b32_e32 v24, 0
	s_waitcnt vmcnt(0)
	v_and_b32_e32 v25, 0xffff, v21
	v_cmp_ne_u16_sdwa s2, v21, v58 src0_sel:BYTE_0 src1_sel:DWORD
	v_mov_b32_e32 v21, 0
	v_mov_b32_e32 v22, 0
	s_and_saveexec_b32 s3, s2
	s_cbranch_execz .LBB195_337
; %bb.330:                              ;   in Loop: Header=BB195_9 Depth=1
	v_bfrev_b32_e32 v21, 1
	v_mov_b32_e32 v22, 0
	v_cmp_ne_u16_sdwa s2, v25, v51 src0_sel:BYTE_0 src1_sel:DWORD
	s_and_saveexec_b32 s31, s2
	s_cbranch_execz .LBB195_336
; %bb.331:                              ;   in Loop: Header=BB195_9 Depth=1
	v_mov_b32_e32 v21, 0x7f800001
	v_and_b32_e32 v26, 0x7f, v25
	v_mov_b32_e32 v22, 0
	s_mov_b32 s33, exec_lo
	v_cmpx_ne_u32_e32 0x7f, v26
	s_cbranch_execz .LBB195_335
; %bb.332:                              ;   in Loop: Header=BB195_9 Depth=1
	v_and_b32_e32 v57, 7, v25
	v_lshrrev_b32_e32 v21, 3, v26
	s_mov_b32 s34, exec_lo
	v_cmpx_gt_u32_e32 8, v26
; %bb.333:                              ;   in Loop: Header=BB195_9 Depth=1
	v_ffbh_u32_e32 v21, v57
	v_min_u32_e32 v21, 32, v21
	v_subrev_nc_u32_e32 v22, 28, v21
	v_sub_nc_u32_e32 v21, 29, v21
	v_lshlrev_b64 v[26:27], v22, v[57:58]
	v_and_b32_e32 v57, 7, v26
; %bb.334:                              ;   in Loop: Header=BB195_9 Depth=1
	s_or_b32 exec_lo, exec_lo, s34
	v_lshlrev_b32_e32 v22, 24, v25
	v_lshlrev_b32_e32 v26, 20, v57
	v_lshl_add_u32 v21, v21, 23, 0x3c000000
	v_and_b32_e32 v22, 0x80000000, v22
	v_or3_b32 v57, v26, v22, v21
	v_mov_b32_e32 v21, v57
	v_mov_b32_e32 v22, v58
.LBB195_335:                            ;   in Loop: Header=BB195_9 Depth=1
	s_or_b32 exec_lo, exec_lo, s33
.LBB195_336:                            ;   in Loop: Header=BB195_9 Depth=1
	s_or_b32 exec_lo, exec_lo, s31
.LBB195_337:                            ;   in Loop: Header=BB195_9 Depth=1
	s_or_b32 exec_lo, exec_lo, s3
	v_cmp_ne_u16_sdwa s2, v25, v58 src0_sel:BYTE_1 src1_sel:DWORD
	s_and_saveexec_b32 s3, s2
	s_cbranch_execz .LBB195_345
; %bb.338:                              ;   in Loop: Header=BB195_9 Depth=1
	v_mov_b32_e32 v45, v58
	v_cmp_ne_u16_sdwa s2, v25, v51 src0_sel:BYTE_1 src1_sel:DWORD
	v_mov_b32_e32 v23, v45
	v_mov_b32_e32 v24, v46
	s_and_saveexec_b32 s31, s2
	s_cbranch_execz .LBB195_344
; %bb.339:                              ;   in Loop: Header=BB195_9 Depth=1
	v_mov_b32_e32 v23, 0xffff
	v_mov_b32_e32 v69, v58
	s_mov_b32 s33, exec_lo
	v_and_b32_sdwa v27, v23, v25 dst_sel:DWORD dst_unused:UNUSED_PAD src0_sel:DWORD src1_sel:BYTE_1
	v_mov_b32_e32 v23, v69
	v_mov_b32_e32 v24, v70
	v_and_b32_e32 v26, 0x7f, v27
	v_cmpx_ne_u32_e32 0x7f, v26
	s_cbranch_execz .LBB195_343
; %bb.340:                              ;   in Loop: Header=BB195_9 Depth=1
	v_and_b32_e32 v57, 7, v27
	v_lshrrev_b32_e32 v23, 3, v26
	s_mov_b32 s34, exec_lo
	v_cmpx_gt_u32_e32 8, v26
; %bb.341:                              ;   in Loop: Header=BB195_9 Depth=1
	v_ffbh_u32_e32 v23, v57
	v_min_u32_e32 v23, 32, v23
	v_subrev_nc_u32_e32 v24, 28, v23
	v_sub_nc_u32_e32 v23, 29, v23
	v_lshlrev_b64 v[26:27], v24, v[57:58]
	v_and_b32_e32 v57, 7, v26
; %bb.342:                              ;   in Loop: Header=BB195_9 Depth=1
	s_or_b32 exec_lo, exec_lo, s34
	v_lshlrev_b32_e32 v24, 16, v25
	v_lshlrev_b32_e32 v25, 20, v57
	v_lshl_add_u32 v23, v23, 23, 0x3c000000
	v_and_b32_e32 v24, 0x80000000, v24
	v_or3_b32 v24, v25, v24, v23
	v_mov_b32_e32 v23, v58
.LBB195_343:                            ;   in Loop: Header=BB195_9 Depth=1
	s_or_b32 exec_lo, exec_lo, s33
.LBB195_344:                            ;   in Loop: Header=BB195_9 Depth=1
	s_or_b32 exec_lo, exec_lo, s31
.LBB195_345:                            ;   in Loop: Header=BB195_9 Depth=1
	s_or_b32 exec_lo, exec_lo, s3
	global_load_ushort v25, v[75:76], off offset:1284
	v_mov_b32_e32 v27, 0
	v_mov_b32_e32 v28, 0
	s_waitcnt vmcnt(0)
	v_and_b32_e32 v29, 0xffff, v25
	v_cmp_ne_u16_sdwa s2, v25, v58 src0_sel:BYTE_0 src1_sel:DWORD
	v_mov_b32_e32 v25, 0
	v_mov_b32_e32 v26, 0
	s_and_saveexec_b32 s3, s2
	s_cbranch_execz .LBB195_353
; %bb.346:                              ;   in Loop: Header=BB195_9 Depth=1
	v_bfrev_b32_e32 v25, 1
	v_mov_b32_e32 v26, 0
	v_cmp_ne_u16_sdwa s2, v29, v51 src0_sel:BYTE_0 src1_sel:DWORD
	s_and_saveexec_b32 s31, s2
	s_cbranch_execz .LBB195_352
; %bb.347:                              ;   in Loop: Header=BB195_9 Depth=1
	v_mov_b32_e32 v25, 0x7f800001
	v_and_b32_e32 v30, 0x7f, v29
	v_mov_b32_e32 v26, 0
	s_mov_b32 s33, exec_lo
	v_cmpx_ne_u32_e32 0x7f, v30
	s_cbranch_execz .LBB195_351
; %bb.348:                              ;   in Loop: Header=BB195_9 Depth=1
	v_and_b32_e32 v57, 7, v29
	v_lshrrev_b32_e32 v25, 3, v30
	s_mov_b32 s34, exec_lo
	v_cmpx_gt_u32_e32 8, v30
; %bb.349:                              ;   in Loop: Header=BB195_9 Depth=1
	v_ffbh_u32_e32 v25, v57
	v_min_u32_e32 v25, 32, v25
	v_subrev_nc_u32_e32 v26, 28, v25
	v_sub_nc_u32_e32 v25, 29, v25
	v_lshlrev_b64 v[30:31], v26, v[57:58]
	v_and_b32_e32 v57, 7, v30
; %bb.350:                              ;   in Loop: Header=BB195_9 Depth=1
	s_or_b32 exec_lo, exec_lo, s34
	v_lshlrev_b32_e32 v26, 24, v29
	v_lshlrev_b32_e32 v30, 20, v57
	v_lshl_add_u32 v25, v25, 23, 0x3c000000
	v_and_b32_e32 v26, 0x80000000, v26
	v_or3_b32 v57, v30, v26, v25
	v_mov_b32_e32 v25, v57
	v_mov_b32_e32 v26, v58
.LBB195_351:                            ;   in Loop: Header=BB195_9 Depth=1
	s_or_b32 exec_lo, exec_lo, s33
.LBB195_352:                            ;   in Loop: Header=BB195_9 Depth=1
	s_or_b32 exec_lo, exec_lo, s31
.LBB195_353:                            ;   in Loop: Header=BB195_9 Depth=1
	s_or_b32 exec_lo, exec_lo, s3
	v_cmp_ne_u16_sdwa s2, v29, v58 src0_sel:BYTE_1 src1_sel:DWORD
	s_and_saveexec_b32 s3, s2
	s_cbranch_execz .LBB195_361
; %bb.354:                              ;   in Loop: Header=BB195_9 Depth=1
	v_mov_b32_e32 v45, v58
	v_cmp_ne_u16_sdwa s2, v29, v51 src0_sel:BYTE_1 src1_sel:DWORD
	v_mov_b32_e32 v27, v45
	v_mov_b32_e32 v28, v46
	s_and_saveexec_b32 s31, s2
	s_cbranch_execz .LBB195_360
; %bb.355:                              ;   in Loop: Header=BB195_9 Depth=1
	v_mov_b32_e32 v27, 0xffff
	v_mov_b32_e32 v69, v58
	s_mov_b32 s33, exec_lo
	v_and_b32_sdwa v31, v27, v29 dst_sel:DWORD dst_unused:UNUSED_PAD src0_sel:DWORD src1_sel:BYTE_1
	v_mov_b32_e32 v27, v69
	v_mov_b32_e32 v28, v70
	v_and_b32_e32 v30, 0x7f, v31
	v_cmpx_ne_u32_e32 0x7f, v30
	s_cbranch_execz .LBB195_359
; %bb.356:                              ;   in Loop: Header=BB195_9 Depth=1
	v_and_b32_e32 v57, 7, v31
	v_lshrrev_b32_e32 v27, 3, v30
	s_mov_b32 s34, exec_lo
	v_cmpx_gt_u32_e32 8, v30
; %bb.357:                              ;   in Loop: Header=BB195_9 Depth=1
	v_ffbh_u32_e32 v27, v57
	v_min_u32_e32 v27, 32, v27
	v_subrev_nc_u32_e32 v28, 28, v27
	v_sub_nc_u32_e32 v27, 29, v27
	v_lshlrev_b64 v[30:31], v28, v[57:58]
	v_and_b32_e32 v57, 7, v30
; %bb.358:                              ;   in Loop: Header=BB195_9 Depth=1
	s_or_b32 exec_lo, exec_lo, s34
	v_lshlrev_b32_e32 v28, 16, v29
	v_lshlrev_b32_e32 v29, 20, v57
	v_lshl_add_u32 v27, v27, 23, 0x3c000000
	v_and_b32_e32 v28, 0x80000000, v28
	v_or3_b32 v28, v29, v28, v27
	v_mov_b32_e32 v27, v58
.LBB195_359:                            ;   in Loop: Header=BB195_9 Depth=1
	s_or_b32 exec_lo, exec_lo, s33
.LBB195_360:                            ;   in Loop: Header=BB195_9 Depth=1
	s_or_b32 exec_lo, exec_lo, s31
.LBB195_361:                            ;   in Loop: Header=BB195_9 Depth=1
	s_or_b32 exec_lo, exec_lo, s3
	global_load_ushort v29, v[75:76], off offset:1288
	v_mov_b32_e32 v31, 0
	v_mov_b32_e32 v32, 0
	s_waitcnt vmcnt(0)
	v_and_b32_e32 v33, 0xffff, v29
	v_cmp_ne_u16_sdwa s2, v29, v58 src0_sel:BYTE_0 src1_sel:DWORD
	v_mov_b32_e32 v29, 0
	v_mov_b32_e32 v30, 0
	s_and_saveexec_b32 s3, s2
	s_cbranch_execz .LBB195_369
; %bb.362:                              ;   in Loop: Header=BB195_9 Depth=1
	v_bfrev_b32_e32 v29, 1
	v_mov_b32_e32 v30, 0
	v_cmp_ne_u16_sdwa s2, v33, v51 src0_sel:BYTE_0 src1_sel:DWORD
	s_and_saveexec_b32 s31, s2
	s_cbranch_execz .LBB195_368
; %bb.363:                              ;   in Loop: Header=BB195_9 Depth=1
	v_mov_b32_e32 v29, 0x7f800001
	v_and_b32_e32 v34, 0x7f, v33
	v_mov_b32_e32 v30, 0
	s_mov_b32 s33, exec_lo
	v_cmpx_ne_u32_e32 0x7f, v34
	s_cbranch_execz .LBB195_367
; %bb.364:                              ;   in Loop: Header=BB195_9 Depth=1
	v_and_b32_e32 v57, 7, v33
	v_lshrrev_b32_e32 v29, 3, v34
	s_mov_b32 s34, exec_lo
	v_cmpx_gt_u32_e32 8, v34
; %bb.365:                              ;   in Loop: Header=BB195_9 Depth=1
	v_ffbh_u32_e32 v29, v57
	v_min_u32_e32 v29, 32, v29
	v_subrev_nc_u32_e32 v30, 28, v29
	v_sub_nc_u32_e32 v29, 29, v29
	v_lshlrev_b64 v[34:35], v30, v[57:58]
	v_and_b32_e32 v57, 7, v34
; %bb.366:                              ;   in Loop: Header=BB195_9 Depth=1
	s_or_b32 exec_lo, exec_lo, s34
	v_lshlrev_b32_e32 v30, 24, v33
	v_lshlrev_b32_e32 v34, 20, v57
	v_lshl_add_u32 v29, v29, 23, 0x3c000000
	v_and_b32_e32 v30, 0x80000000, v30
	v_or3_b32 v57, v34, v30, v29
	v_mov_b32_e32 v29, v57
	v_mov_b32_e32 v30, v58
.LBB195_367:                            ;   in Loop: Header=BB195_9 Depth=1
	s_or_b32 exec_lo, exec_lo, s33
.LBB195_368:                            ;   in Loop: Header=BB195_9 Depth=1
	s_or_b32 exec_lo, exec_lo, s31
.LBB195_369:                            ;   in Loop: Header=BB195_9 Depth=1
	s_or_b32 exec_lo, exec_lo, s3
	v_cmp_ne_u16_sdwa s2, v33, v58 src0_sel:BYTE_1 src1_sel:DWORD
	s_and_saveexec_b32 s3, s2
	s_cbranch_execz .LBB195_377
; %bb.370:                              ;   in Loop: Header=BB195_9 Depth=1
	v_mov_b32_e32 v45, v58
	v_cmp_ne_u16_sdwa s2, v33, v51 src0_sel:BYTE_1 src1_sel:DWORD
	v_mov_b32_e32 v31, v45
	v_mov_b32_e32 v32, v46
	s_and_saveexec_b32 s31, s2
	s_cbranch_execz .LBB195_376
; %bb.371:                              ;   in Loop: Header=BB195_9 Depth=1
	v_mov_b32_e32 v31, 0xffff
	v_mov_b32_e32 v69, v58
	s_mov_b32 s33, exec_lo
	v_and_b32_sdwa v35, v31, v33 dst_sel:DWORD dst_unused:UNUSED_PAD src0_sel:DWORD src1_sel:BYTE_1
	v_mov_b32_e32 v31, v69
	v_mov_b32_e32 v32, v70
	v_and_b32_e32 v34, 0x7f, v35
	v_cmpx_ne_u32_e32 0x7f, v34
	s_cbranch_execz .LBB195_375
; %bb.372:                              ;   in Loop: Header=BB195_9 Depth=1
	v_and_b32_e32 v57, 7, v35
	v_lshrrev_b32_e32 v31, 3, v34
	s_mov_b32 s34, exec_lo
	v_cmpx_gt_u32_e32 8, v34
; %bb.373:                              ;   in Loop: Header=BB195_9 Depth=1
	v_ffbh_u32_e32 v31, v57
	v_min_u32_e32 v31, 32, v31
	v_subrev_nc_u32_e32 v32, 28, v31
	v_sub_nc_u32_e32 v31, 29, v31
	v_lshlrev_b64 v[34:35], v32, v[57:58]
	v_and_b32_e32 v57, 7, v34
; %bb.374:                              ;   in Loop: Header=BB195_9 Depth=1
	s_or_b32 exec_lo, exec_lo, s34
	v_lshlrev_b32_e32 v32, 16, v33
	v_lshlrev_b32_e32 v33, 20, v57
	v_lshl_add_u32 v31, v31, 23, 0x3c000000
	v_and_b32_e32 v32, 0x80000000, v32
	v_or3_b32 v32, v33, v32, v31
	v_mov_b32_e32 v31, v58
.LBB195_375:                            ;   in Loop: Header=BB195_9 Depth=1
	s_or_b32 exec_lo, exec_lo, s33
.LBB195_376:                            ;   in Loop: Header=BB195_9 Depth=1
	s_or_b32 exec_lo, exec_lo, s31
.LBB195_377:                            ;   in Loop: Header=BB195_9 Depth=1
	s_or_b32 exec_lo, exec_lo, s3
	global_load_ushort v33, v[75:76], off offset:1292
	v_mov_b32_e32 v35, 0
	v_mov_b32_e32 v36, 0
	s_waitcnt vmcnt(0)
	v_and_b32_e32 v37, 0xffff, v33
	v_cmp_ne_u16_sdwa s2, v33, v58 src0_sel:BYTE_0 src1_sel:DWORD
	v_mov_b32_e32 v33, 0
	v_mov_b32_e32 v34, 0
	s_and_saveexec_b32 s3, s2
	s_cbranch_execz .LBB195_385
; %bb.378:                              ;   in Loop: Header=BB195_9 Depth=1
	v_bfrev_b32_e32 v33, 1
	v_mov_b32_e32 v34, 0
	v_cmp_ne_u16_sdwa s2, v37, v51 src0_sel:BYTE_0 src1_sel:DWORD
	s_and_saveexec_b32 s31, s2
	s_cbranch_execz .LBB195_384
; %bb.379:                              ;   in Loop: Header=BB195_9 Depth=1
	v_mov_b32_e32 v33, 0x7f800001
	v_and_b32_e32 v38, 0x7f, v37
	v_mov_b32_e32 v34, 0
	s_mov_b32 s33, exec_lo
	v_cmpx_ne_u32_e32 0x7f, v38
	s_cbranch_execz .LBB195_383
; %bb.380:                              ;   in Loop: Header=BB195_9 Depth=1
	v_and_b32_e32 v57, 7, v37
	v_lshrrev_b32_e32 v33, 3, v38
	s_mov_b32 s34, exec_lo
	v_cmpx_gt_u32_e32 8, v38
; %bb.381:                              ;   in Loop: Header=BB195_9 Depth=1
	v_ffbh_u32_e32 v33, v57
	v_min_u32_e32 v33, 32, v33
	v_subrev_nc_u32_e32 v34, 28, v33
	v_sub_nc_u32_e32 v33, 29, v33
	v_lshlrev_b64 v[38:39], v34, v[57:58]
	v_and_b32_e32 v57, 7, v38
; %bb.382:                              ;   in Loop: Header=BB195_9 Depth=1
	s_or_b32 exec_lo, exec_lo, s34
	v_lshlrev_b32_e32 v34, 24, v37
	v_lshlrev_b32_e32 v38, 20, v57
	v_lshl_add_u32 v33, v33, 23, 0x3c000000
	v_and_b32_e32 v34, 0x80000000, v34
	v_or3_b32 v57, v38, v34, v33
	v_mov_b32_e32 v33, v57
	v_mov_b32_e32 v34, v58
.LBB195_383:                            ;   in Loop: Header=BB195_9 Depth=1
	s_or_b32 exec_lo, exec_lo, s33
.LBB195_384:                            ;   in Loop: Header=BB195_9 Depth=1
	s_or_b32 exec_lo, exec_lo, s31
.LBB195_385:                            ;   in Loop: Header=BB195_9 Depth=1
	s_or_b32 exec_lo, exec_lo, s3
	v_cmp_ne_u16_sdwa s2, v37, v58 src0_sel:BYTE_1 src1_sel:DWORD
	s_and_saveexec_b32 s3, s2
	s_cbranch_execz .LBB195_393
; %bb.386:                              ;   in Loop: Header=BB195_9 Depth=1
	v_mov_b32_e32 v45, v58
	v_cmp_ne_u16_sdwa s2, v37, v51 src0_sel:BYTE_1 src1_sel:DWORD
	v_mov_b32_e32 v35, v45
	v_mov_b32_e32 v36, v46
	s_and_saveexec_b32 s31, s2
	s_cbranch_execz .LBB195_392
; %bb.387:                              ;   in Loop: Header=BB195_9 Depth=1
	v_mov_b32_e32 v35, 0xffff
	v_mov_b32_e32 v69, v58
	s_mov_b32 s33, exec_lo
	v_and_b32_sdwa v39, v35, v37 dst_sel:DWORD dst_unused:UNUSED_PAD src0_sel:DWORD src1_sel:BYTE_1
	v_mov_b32_e32 v35, v69
	v_mov_b32_e32 v36, v70
	v_and_b32_e32 v38, 0x7f, v39
	v_cmpx_ne_u32_e32 0x7f, v38
	s_cbranch_execz .LBB195_391
; %bb.388:                              ;   in Loop: Header=BB195_9 Depth=1
	v_and_b32_e32 v57, 7, v39
	v_lshrrev_b32_e32 v35, 3, v38
	s_mov_b32 s34, exec_lo
	v_cmpx_gt_u32_e32 8, v38
; %bb.389:                              ;   in Loop: Header=BB195_9 Depth=1
	v_ffbh_u32_e32 v35, v57
	v_min_u32_e32 v35, 32, v35
	v_subrev_nc_u32_e32 v36, 28, v35
	v_sub_nc_u32_e32 v35, 29, v35
	v_lshlrev_b64 v[38:39], v36, v[57:58]
	v_and_b32_e32 v57, 7, v38
; %bb.390:                              ;   in Loop: Header=BB195_9 Depth=1
	s_or_b32 exec_lo, exec_lo, s34
	v_lshlrev_b32_e32 v36, 16, v37
	v_lshlrev_b32_e32 v37, 20, v57
	v_lshl_add_u32 v35, v35, 23, 0x3c000000
	v_and_b32_e32 v36, 0x80000000, v36
	v_or3_b32 v36, v37, v36, v35
	v_mov_b32_e32 v35, v58
.LBB195_391:                            ;   in Loop: Header=BB195_9 Depth=1
	s_or_b32 exec_lo, exec_lo, s33
.LBB195_392:                            ;   in Loop: Header=BB195_9 Depth=1
	s_or_b32 exec_lo, exec_lo, s31
.LBB195_393:                            ;   in Loop: Header=BB195_9 Depth=1
	s_or_b32 exec_lo, exec_lo, s3
	global_load_ushort v37, v[75:76], off offset:1536
	v_mov_b32_e32 v39, 0
	v_mov_b32_e32 v40, 0
	s_waitcnt vmcnt(0)
	v_and_b32_e32 v41, 0xffff, v37
	v_cmp_ne_u16_sdwa s2, v37, v58 src0_sel:BYTE_0 src1_sel:DWORD
	v_mov_b32_e32 v37, 0
	v_mov_b32_e32 v38, 0
	s_and_saveexec_b32 s3, s2
	s_cbranch_execz .LBB195_401
; %bb.394:                              ;   in Loop: Header=BB195_9 Depth=1
	v_bfrev_b32_e32 v37, 1
	v_mov_b32_e32 v38, 0
	v_cmp_ne_u16_sdwa s2, v41, v51 src0_sel:BYTE_0 src1_sel:DWORD
	s_and_saveexec_b32 s31, s2
	s_cbranch_execz .LBB195_400
; %bb.395:                              ;   in Loop: Header=BB195_9 Depth=1
	v_mov_b32_e32 v37, 0x7f800001
	v_and_b32_e32 v42, 0x7f, v41
	v_mov_b32_e32 v38, 0
	s_mov_b32 s33, exec_lo
	v_cmpx_ne_u32_e32 0x7f, v42
	s_cbranch_execz .LBB195_399
; %bb.396:                              ;   in Loop: Header=BB195_9 Depth=1
	v_and_b32_e32 v57, 7, v41
	v_lshrrev_b32_e32 v37, 3, v42
	s_mov_b32 s34, exec_lo
	v_cmpx_gt_u32_e32 8, v42
; %bb.397:                              ;   in Loop: Header=BB195_9 Depth=1
	v_ffbh_u32_e32 v37, v57
	v_min_u32_e32 v37, 32, v37
	v_subrev_nc_u32_e32 v38, 28, v37
	v_sub_nc_u32_e32 v37, 29, v37
	v_lshlrev_b64 v[42:43], v38, v[57:58]
	v_and_b32_e32 v57, 7, v42
; %bb.398:                              ;   in Loop: Header=BB195_9 Depth=1
	s_or_b32 exec_lo, exec_lo, s34
	v_lshlrev_b32_e32 v38, 24, v41
	v_lshlrev_b32_e32 v42, 20, v57
	v_lshl_add_u32 v37, v37, 23, 0x3c000000
	v_and_b32_e32 v38, 0x80000000, v38
	v_or3_b32 v57, v42, v38, v37
	v_mov_b32_e32 v37, v57
	v_mov_b32_e32 v38, v58
.LBB195_399:                            ;   in Loop: Header=BB195_9 Depth=1
	s_or_b32 exec_lo, exec_lo, s33
.LBB195_400:                            ;   in Loop: Header=BB195_9 Depth=1
	s_or_b32 exec_lo, exec_lo, s31
.LBB195_401:                            ;   in Loop: Header=BB195_9 Depth=1
	s_or_b32 exec_lo, exec_lo, s3
	v_cmp_ne_u16_sdwa s2, v41, v58 src0_sel:BYTE_1 src1_sel:DWORD
	s_and_saveexec_b32 s3, s2
	s_cbranch_execz .LBB195_409
; %bb.402:                              ;   in Loop: Header=BB195_9 Depth=1
	v_mov_b32_e32 v45, v58
	v_cmp_ne_u16_sdwa s2, v41, v51 src0_sel:BYTE_1 src1_sel:DWORD
	v_mov_b32_e32 v39, v45
	v_mov_b32_e32 v40, v46
	s_and_saveexec_b32 s31, s2
	s_cbranch_execz .LBB195_408
; %bb.403:                              ;   in Loop: Header=BB195_9 Depth=1
	v_mov_b32_e32 v39, 0xffff
	v_mov_b32_e32 v69, v58
	s_mov_b32 s33, exec_lo
	v_and_b32_sdwa v43, v39, v41 dst_sel:DWORD dst_unused:UNUSED_PAD src0_sel:DWORD src1_sel:BYTE_1
	v_mov_b32_e32 v39, v69
	v_mov_b32_e32 v40, v70
	v_and_b32_e32 v42, 0x7f, v43
	v_cmpx_ne_u32_e32 0x7f, v42
	s_cbranch_execz .LBB195_407
; %bb.404:                              ;   in Loop: Header=BB195_9 Depth=1
	v_and_b32_e32 v57, 7, v43
	v_lshrrev_b32_e32 v39, 3, v42
	s_mov_b32 s34, exec_lo
	v_cmpx_gt_u32_e32 8, v42
; %bb.405:                              ;   in Loop: Header=BB195_9 Depth=1
	v_ffbh_u32_e32 v39, v57
	v_min_u32_e32 v39, 32, v39
	v_subrev_nc_u32_e32 v40, 28, v39
	v_sub_nc_u32_e32 v39, 29, v39
	v_lshlrev_b64 v[42:43], v40, v[57:58]
	v_and_b32_e32 v57, 7, v42
; %bb.406:                              ;   in Loop: Header=BB195_9 Depth=1
	s_or_b32 exec_lo, exec_lo, s34
	v_lshlrev_b32_e32 v40, 16, v41
	v_lshlrev_b32_e32 v41, 20, v57
	v_lshl_add_u32 v39, v39, 23, 0x3c000000
	v_and_b32_e32 v40, 0x80000000, v40
	v_or3_b32 v40, v41, v40, v39
	v_mov_b32_e32 v39, v58
.LBB195_407:                            ;   in Loop: Header=BB195_9 Depth=1
	s_or_b32 exec_lo, exec_lo, s33
.LBB195_408:                            ;   in Loop: Header=BB195_9 Depth=1
	s_or_b32 exec_lo, exec_lo, s31
.LBB195_409:                            ;   in Loop: Header=BB195_9 Depth=1
	s_or_b32 exec_lo, exec_lo, s3
	global_load_ushort v41, v[75:76], off offset:1540
	v_mov_b32_e32 v43, 0
	v_mov_b32_e32 v44, 0
	s_waitcnt vmcnt(0)
	v_and_b32_e32 v47, 0xffff, v41
	v_cmp_ne_u16_sdwa s2, v41, v58 src0_sel:BYTE_0 src1_sel:DWORD
	v_mov_b32_e32 v41, 0
	v_mov_b32_e32 v42, 0
	s_and_saveexec_b32 s3, s2
	s_cbranch_execz .LBB195_417
; %bb.410:                              ;   in Loop: Header=BB195_9 Depth=1
	v_bfrev_b32_e32 v41, 1
	v_mov_b32_e32 v42, 0
	v_cmp_ne_u16_sdwa s2, v47, v51 src0_sel:BYTE_0 src1_sel:DWORD
	s_and_saveexec_b32 s31, s2
	s_cbranch_execz .LBB195_416
; %bb.411:                              ;   in Loop: Header=BB195_9 Depth=1
	v_mov_b32_e32 v41, 0x7f800001
	v_and_b32_e32 v45, 0x7f, v47
	v_mov_b32_e32 v42, 0
	s_mov_b32 s33, exec_lo
	v_cmpx_ne_u32_e32 0x7f, v45
	s_cbranch_execz .LBB195_415
; %bb.412:                              ;   in Loop: Header=BB195_9 Depth=1
	v_and_b32_e32 v57, 7, v47
	v_lshrrev_b32_e32 v41, 3, v45
	s_mov_b32 s34, exec_lo
	v_cmpx_gt_u32_e32 8, v45
; %bb.413:                              ;   in Loop: Header=BB195_9 Depth=1
	v_ffbh_u32_e32 v41, v57
	v_min_u32_e32 v41, 32, v41
	v_subrev_nc_u32_e32 v42, 28, v41
	v_sub_nc_u32_e32 v41, 29, v41
	v_lshlrev_b64 v[53:54], v42, v[57:58]
	v_and_b32_e32 v57, 7, v53
; %bb.414:                              ;   in Loop: Header=BB195_9 Depth=1
	s_or_b32 exec_lo, exec_lo, s34
	v_lshlrev_b32_e32 v42, 24, v47
	v_lshlrev_b32_e32 v45, 20, v57
	v_lshl_add_u32 v41, v41, 23, 0x3c000000
	v_and_b32_e32 v42, 0x80000000, v42
	v_or3_b32 v57, v45, v42, v41
	v_mov_b32_e32 v41, v57
	v_mov_b32_e32 v42, v58
.LBB195_415:                            ;   in Loop: Header=BB195_9 Depth=1
	s_or_b32 exec_lo, exec_lo, s33
.LBB195_416:                            ;   in Loop: Header=BB195_9 Depth=1
	s_or_b32 exec_lo, exec_lo, s31
.LBB195_417:                            ;   in Loop: Header=BB195_9 Depth=1
	s_or_b32 exec_lo, exec_lo, s3
	v_cmp_ne_u16_sdwa s2, v47, v58 src0_sel:BYTE_1 src1_sel:DWORD
	s_and_saveexec_b32 s3, s2
	s_cbranch_execz .LBB195_425
; %bb.418:                              ;   in Loop: Header=BB195_9 Depth=1
	v_mov_b32_e32 v45, v58
	v_cmp_ne_u16_sdwa s2, v47, v51 src0_sel:BYTE_1 src1_sel:DWORD
	v_mov_b32_e32 v43, v45
	v_mov_b32_e32 v44, v46
	s_and_saveexec_b32 s31, s2
	s_cbranch_execz .LBB195_424
; %bb.419:                              ;   in Loop: Header=BB195_9 Depth=1
	v_mov_b32_e32 v43, 0xffff
	v_mov_b32_e32 v69, v58
	s_mov_b32 s33, exec_lo
	v_and_b32_sdwa v48, v43, v47 dst_sel:DWORD dst_unused:UNUSED_PAD src0_sel:DWORD src1_sel:BYTE_1
	v_mov_b32_e32 v43, v69
	v_mov_b32_e32 v44, v70
	v_and_b32_e32 v45, 0x7f, v48
	v_cmpx_ne_u32_e32 0x7f, v45
	s_cbranch_execz .LBB195_423
; %bb.420:                              ;   in Loop: Header=BB195_9 Depth=1
	v_and_b32_e32 v57, 7, v48
	v_lshrrev_b32_e32 v43, 3, v45
	s_mov_b32 s34, exec_lo
	v_cmpx_gt_u32_e32 8, v45
; %bb.421:                              ;   in Loop: Header=BB195_9 Depth=1
	v_ffbh_u32_e32 v43, v57
	v_min_u32_e32 v43, 32, v43
	v_subrev_nc_u32_e32 v44, 28, v43
	v_sub_nc_u32_e32 v43, 29, v43
	v_lshlrev_b64 v[44:45], v44, v[57:58]
	v_and_b32_e32 v57, 7, v44
; %bb.422:                              ;   in Loop: Header=BB195_9 Depth=1
	s_or_b32 exec_lo, exec_lo, s34
	v_lshlrev_b32_e32 v44, 16, v47
	v_lshlrev_b32_e32 v45, 20, v57
	v_lshl_add_u32 v43, v43, 23, 0x3c000000
	v_and_b32_e32 v44, 0x80000000, v44
	v_or3_b32 v44, v45, v44, v43
	v_mov_b32_e32 v43, v58
.LBB195_423:                            ;   in Loop: Header=BB195_9 Depth=1
	s_or_b32 exec_lo, exec_lo, s33
.LBB195_424:                            ;   in Loop: Header=BB195_9 Depth=1
	s_or_b32 exec_lo, exec_lo, s31
.LBB195_425:                            ;   in Loop: Header=BB195_9 Depth=1
	s_or_b32 exec_lo, exec_lo, s3
	global_load_ushort v45, v[75:76], off offset:1544
	v_mov_b32_e32 v63, 0
	v_mov_b32_e32 v47, 0
	;; [unrolled: 1-line block ×4, first 2 shown]
	s_waitcnt vmcnt(0)
	v_and_b32_e32 v65, 0xffff, v45
	v_cmp_ne_u16_sdwa s2, v45, v58 src0_sel:BYTE_0 src1_sel:DWORD
	s_and_saveexec_b32 s3, s2
	s_cbranch_execz .LBB195_433
; %bb.426:                              ;   in Loop: Header=BB195_9 Depth=1
	v_bfrev_b32_e32 v47, 1
	v_mov_b32_e32 v48, 0
	v_cmp_ne_u16_sdwa s2, v65, v51 src0_sel:BYTE_0 src1_sel:DWORD
	s_and_saveexec_b32 s31, s2
	s_cbranch_execz .LBB195_432
; %bb.427:                              ;   in Loop: Header=BB195_9 Depth=1
	v_mov_b32_e32 v47, 0x7f800001
	v_and_b32_e32 v53, 0x7f, v65
	v_mov_b32_e32 v48, 0
	s_mov_b32 s33, exec_lo
	v_cmpx_ne_u32_e32 0x7f, v53
	s_cbranch_execz .LBB195_431
; %bb.428:                              ;   in Loop: Header=BB195_9 Depth=1
	v_and_b32_e32 v57, 7, v65
	v_lshrrev_b32_e32 v45, 3, v53
	s_mov_b32 s34, exec_lo
	v_cmpx_gt_u32_e32 8, v53
; %bb.429:                              ;   in Loop: Header=BB195_9 Depth=1
	v_ffbh_u32_e32 v45, v57
	v_min_u32_e32 v45, 32, v45
	v_subrev_nc_u32_e32 v47, 28, v45
	v_sub_nc_u32_e32 v45, 29, v45
	v_lshlrev_b64 v[47:48], v47, v[57:58]
	v_and_b32_e32 v57, 7, v47
; %bb.430:                              ;   in Loop: Header=BB195_9 Depth=1
	s_or_b32 exec_lo, exec_lo, s34
	v_lshlrev_b32_e32 v47, 24, v65
	v_lshlrev_b32_e32 v48, 20, v57
	v_lshl_add_u32 v45, v45, 23, 0x3c000000
	v_and_b32_e32 v47, 0x80000000, v47
	v_or3_b32 v57, v48, v47, v45
	v_mov_b32_e32 v47, v57
	v_mov_b32_e32 v48, v58
.LBB195_431:                            ;   in Loop: Header=BB195_9 Depth=1
	s_or_b32 exec_lo, exec_lo, s33
.LBB195_432:                            ;   in Loop: Header=BB195_9 Depth=1
	s_or_b32 exec_lo, exec_lo, s31
.LBB195_433:                            ;   in Loop: Header=BB195_9 Depth=1
	s_or_b32 exec_lo, exec_lo, s3
	v_cmp_ne_u16_sdwa s2, v65, v58 src0_sel:BYTE_1 src1_sel:DWORD
	s_and_saveexec_b32 s3, s2
	s_cbranch_execz .LBB195_441
; %bb.434:                              ;   in Loop: Header=BB195_9 Depth=1
	v_mov_b32_e32 v45, v58
	v_mov_b32_e32 v64, v46
	v_cmp_ne_u16_sdwa s2, v65, v51 src0_sel:BYTE_1 src1_sel:DWORD
	v_mov_b32_e32 v63, v45
	s_and_saveexec_b32 s31, s2
	s_cbranch_execz .LBB195_440
; %bb.435:                              ;   in Loop: Header=BB195_9 Depth=1
	v_mov_b32_e32 v45, 0xffff
	v_mov_b32_e32 v69, v58
	s_mov_b32 s33, exec_lo
	v_and_b32_sdwa v45, v45, v65 dst_sel:DWORD dst_unused:UNUSED_PAD src0_sel:DWORD src1_sel:BYTE_1
	v_mov_b32_e32 v63, v69
	v_mov_b32_e32 v64, v70
	v_and_b32_e32 v53, 0x7f, v45
	v_cmpx_ne_u32_e32 0x7f, v53
	s_cbranch_execz .LBB195_439
; %bb.436:                              ;   in Loop: Header=BB195_9 Depth=1
	v_and_b32_e32 v57, 7, v45
	v_lshrrev_b32_e32 v45, 3, v53
	s_mov_b32 s34, exec_lo
	v_cmpx_gt_u32_e32 8, v53
; %bb.437:                              ;   in Loop: Header=BB195_9 Depth=1
	v_ffbh_u32_e32 v45, v57
	v_min_u32_e32 v45, 32, v45
	v_subrev_nc_u32_e32 v53, 28, v45
	v_sub_nc_u32_e32 v45, 29, v45
	v_lshlrev_b64 v[53:54], v53, v[57:58]
	v_and_b32_e32 v57, 7, v53
; %bb.438:                              ;   in Loop: Header=BB195_9 Depth=1
	s_or_b32 exec_lo, exec_lo, s34
	v_lshlrev_b32_e32 v53, 16, v65
	v_lshlrev_b32_e32 v54, 20, v57
	v_lshl_add_u32 v45, v45, 23, 0x3c000000
	v_mov_b32_e32 v63, v58
	v_and_b32_e32 v53, 0x80000000, v53
	v_or3_b32 v64, v54, v53, v45
.LBB195_439:                            ;   in Loop: Header=BB195_9 Depth=1
	s_or_b32 exec_lo, exec_lo, s33
.LBB195_440:                            ;   in Loop: Header=BB195_9 Depth=1
	s_or_b32 exec_lo, exec_lo, s31
.LBB195_441:                            ;   in Loop: Header=BB195_9 Depth=1
	s_or_b32 exec_lo, exec_lo, s3
	global_load_ushort v45, v[75:76], off offset:1548
	v_mov_b32_e32 v65, 0
	v_mov_b32_e32 v75, 0
	;; [unrolled: 1-line block ×4, first 2 shown]
	s_waitcnt vmcnt(0)
	v_and_b32_e32 v53, 0xffff, v45
	v_cmp_ne_u16_sdwa s2, v45, v58 src0_sel:BYTE_0 src1_sel:DWORD
	s_and_saveexec_b32 s3, s2
	s_cbranch_execz .LBB195_449
; %bb.442:                              ;   in Loop: Header=BB195_9 Depth=1
	v_bfrev_b32_e32 v75, 1
	v_mov_b32_e32 v76, 0
	v_cmp_ne_u16_sdwa s2, v53, v51 src0_sel:BYTE_0 src1_sel:DWORD
	s_and_saveexec_b32 s31, s2
	s_cbranch_execz .LBB195_448
; %bb.443:                              ;   in Loop: Header=BB195_9 Depth=1
	v_mov_b32_e32 v75, 0x7f800001
	v_and_b32_e32 v54, 0x7f, v53
	v_mov_b32_e32 v76, 0
	s_mov_b32 s33, exec_lo
	v_cmpx_ne_u32_e32 0x7f, v54
	s_cbranch_execz .LBB195_447
; %bb.444:                              ;   in Loop: Header=BB195_9 Depth=1
	v_and_b32_e32 v57, 7, v53
	v_lshrrev_b32_e32 v45, 3, v54
	s_mov_b32 s34, exec_lo
	v_cmpx_gt_u32_e32 8, v54
; %bb.445:                              ;   in Loop: Header=BB195_9 Depth=1
	v_ffbh_u32_e32 v45, v57
	v_min_u32_e32 v45, 32, v45
	v_subrev_nc_u32_e32 v54, 28, v45
	v_sub_nc_u32_e32 v45, 29, v45
	v_lshlrev_b64 v[54:55], v54, v[57:58]
	v_and_b32_e32 v57, 7, v54
; %bb.446:                              ;   in Loop: Header=BB195_9 Depth=1
	s_or_b32 exec_lo, exec_lo, s34
	v_lshlrev_b32_e32 v54, 24, v53
	v_lshlrev_b32_e32 v55, 20, v57
	v_lshl_add_u32 v45, v45, 23, 0x3c000000
	v_and_b32_e32 v54, 0x80000000, v54
	v_or3_b32 v57, v55, v54, v45
	v_mov_b32_e32 v76, v58
	v_mov_b32_e32 v75, v57
.LBB195_447:                            ;   in Loop: Header=BB195_9 Depth=1
	s_or_b32 exec_lo, exec_lo, s33
.LBB195_448:                            ;   in Loop: Header=BB195_9 Depth=1
	s_or_b32 exec_lo, exec_lo, s31
.LBB195_449:                            ;   in Loop: Header=BB195_9 Depth=1
	s_or_b32 exec_lo, exec_lo, s3
	v_cmp_ne_u16_sdwa s2, v53, v58 src0_sel:BYTE_1 src1_sel:DWORD
	s_and_saveexec_b32 s3, s2
	s_cbranch_execz .LBB195_457
; %bb.450:                              ;   in Loop: Header=BB195_9 Depth=1
	v_mov_b32_e32 v45, v58
	v_mov_b32_e32 v66, v46
	v_cmp_ne_u16_sdwa s2, v53, v51 src0_sel:BYTE_1 src1_sel:DWORD
	v_mov_b32_e32 v65, v45
	s_and_saveexec_b32 s31, s2
	s_cbranch_execz .LBB195_456
; %bb.451:                              ;   in Loop: Header=BB195_9 Depth=1
	v_mov_b32_e32 v45, 0xffff
	v_mov_b32_e32 v69, v58
	s_mov_b32 s33, exec_lo
	v_and_b32_sdwa v45, v45, v53 dst_sel:DWORD dst_unused:UNUSED_PAD src0_sel:DWORD src1_sel:BYTE_1
	v_mov_b32_e32 v65, v69
	v_mov_b32_e32 v66, v70
	v_and_b32_e32 v54, 0x7f, v45
	v_cmpx_ne_u32_e32 0x7f, v54
	s_cbranch_execz .LBB195_455
; %bb.452:                              ;   in Loop: Header=BB195_9 Depth=1
	v_and_b32_e32 v57, 7, v45
	v_lshrrev_b32_e32 v45, 3, v54
	s_mov_b32 s34, exec_lo
	v_cmpx_gt_u32_e32 8, v54
; %bb.453:                              ;   in Loop: Header=BB195_9 Depth=1
	v_ffbh_u32_e32 v45, v57
	v_min_u32_e32 v45, 32, v45
	v_subrev_nc_u32_e32 v54, 28, v45
	v_sub_nc_u32_e32 v45, 29, v45
	v_lshlrev_b64 v[54:55], v54, v[57:58]
	v_and_b32_e32 v57, 7, v54
; %bb.454:                              ;   in Loop: Header=BB195_9 Depth=1
	s_or_b32 exec_lo, exec_lo, s34
	v_lshlrev_b32_e32 v53, 16, v53
	v_lshlrev_b32_e32 v54, 20, v57
	v_lshl_add_u32 v45, v45, 23, 0x3c000000
	v_mov_b32_e32 v65, v58
	v_and_b32_e32 v53, 0x80000000, v53
	v_or3_b32 v66, v54, v53, v45
.LBB195_455:                            ;   in Loop: Header=BB195_9 Depth=1
	s_or_b32 exec_lo, exec_lo, s33
.LBB195_456:                            ;   in Loop: Header=BB195_9 Depth=1
	s_or_b32 exec_lo, exec_lo, s31
.LBB195_457:                            ;   in Loop: Header=BB195_9 Depth=1
	s_or_b32 exec_lo, exec_lo, s3
	v_or_b32_e32 v6, v8, v6
	v_or_b32_e32 v5, v7, v5
	;; [unrolled: 1-line block ×8, first 2 shown]
	s_clause 0x3
	buffer_load_dword v29, off, s[36:39], 0
	buffer_load_dword v30, off, s[36:39], 0 offset:4
	buffer_load_dword v31, off, s[36:39], 0 offset:8
	;; [unrolled: 1-line block ×3, first 2 shown]
	v_or_b32_e32 v73, v73, v71
	v_or_b32_e32 v49, v49, v67
	;; [unrolled: 1-line block ×5, first 2 shown]
	v_mul_f32_e32 v27, s4, v73
	v_or_b32_e32 v10, v15, v13
	v_or_b32_e32 v15, v28, v26
	v_mul_f32_e32 v28, s4, v49
	v_or_b32_e32 v50, v50, v68
	v_or_b32_e32 v20, v35, v33
	;; [unrolled: 1-line block ×31, first 2 shown]
	v_mul_f32_e32 v4, s4, v4
	v_or_b32_e32 v53, v60, v126
	v_mul_f32_e32 v1, s4, v1
	v_mul_f32_e32 v3, s30, v3
	v_or_b32_e32 v14, v23, v21
	v_or_b32_e32 v13, v24, v22
	;; [unrolled: 1-line block ×9, first 2 shown]
	s_waitcnt vmcnt(1)
	v_mul_f32_e32 v27, v31, v27
	v_fmac_f32_e32 v27, v29, v28
	v_mul_f32_e32 v28, s30, v71
	v_mul_f32_e32 v29, s30, v50
	s_waitcnt vmcnt(0)
	v_mul_f32_e32 v28, v32, v28
	v_fmac_f32_e32 v28, v30, v29
	s_clause 0x3
	buffer_load_dword v30, off, s[36:39], 0 offset:16
	buffer_load_dword v31, off, s[36:39], 0 offset:20
	buffer_load_dword v32, off, s[36:39], 0 offset:24
	buffer_load_dword v33, off, s[36:39], 0 offset:28
	v_mul_f32_e32 v29, s4, v77
	s_waitcnt vmcnt(3)
	v_fmac_f32_e32 v27, v30, v29
	v_mul_f32_e32 v29, s30, v78
	s_waitcnt vmcnt(2)
	v_fmac_f32_e32 v28, v31, v29
	v_mul_f32_e32 v29, s4, v81
	s_waitcnt vmcnt(1)
	v_fmac_f32_e32 v27, v32, v29
	v_mul_f32_e32 v29, s30, v82
	s_waitcnt vmcnt(0)
	v_fmac_f32_e32 v28, v33, v29
	s_clause 0x3
	buffer_load_dword v30, off, s[36:39], 0 offset:32
	buffer_load_dword v31, off, s[36:39], 0 offset:36
	buffer_load_dword v32, off, s[36:39], 0 offset:40
	buffer_load_dword v33, off, s[36:39], 0 offset:44
	v_mul_f32_e32 v29, s4, v85
	s_waitcnt vmcnt(3)
	v_fmac_f32_e32 v27, v30, v29
	v_mul_f32_e32 v29, s30, v86
	s_waitcnt vmcnt(2)
	v_fmac_f32_e32 v28, v31, v29
	v_mul_f32_e32 v29, s4, v89
	s_waitcnt vmcnt(1)
	v_fmac_f32_e32 v27, v32, v29
	v_mul_f32_e32 v29, s30, v90
	s_waitcnt vmcnt(0)
	;; [unrolled: 17-line block ×5, first 2 shown]
	v_fmac_f32_e32 v28, v33, v29
	s_clause 0x3
	buffer_load_dword v30, off, s[36:39], 0 offset:96
	buffer_load_dword v31, off, s[36:39], 0 offset:100
	;; [unrolled: 1-line block ×4, first 2 shown]
	v_mul_f32_e32 v29, s4, v57
	s_waitcnt vmcnt(3)
	v_fmac_f32_e32 v27, v30, v29
	v_mul_f32_e32 v29, s30, v48
	s_waitcnt vmcnt(1)
	v_fmac_f32_e32 v27, v32, v4
	v_fmac_f32_e32 v28, v31, v29
	s_clause 0x3
	buffer_load_dword v29, off, s[36:39], 0 offset:112
	buffer_load_dword v30, off, s[36:39], 0 offset:116
	;; [unrolled: 1-line block ×4, first 2 shown]
	s_waitcnt vmcnt(4)
	v_fmac_f32_e32 v28, v33, v3
	s_waitcnt vmcnt(3)
	v_fmac_f32_e32 v27, v29, v1
	v_mul_f32_e32 v1, s30, v2
	s_waitcnt vmcnt(2)
	v_fmac_f32_e32 v28, v30, v1
	v_mul_f32_e32 v1, s4, v54
	;; [unrolled: 3-line block ×4, first 2 shown]
	s_clause 0x3
	buffer_load_dword v2, off, s[36:39], 0 offset:140
	buffer_load_dword v3, off, s[36:39], 0 offset:144
	;; [unrolled: 1-line block ×4, first 2 shown]
	s_waitcnt vmcnt(3)
	v_fmac_f32_e32 v27, v2, v1
	v_mul_f32_e32 v1, s30, v6
	s_waitcnt vmcnt(2)
	v_fmac_f32_e32 v28, v3, v1
	v_mul_f32_e32 v1, s4, v8
	s_waitcnt vmcnt(1)
	v_fmac_f32_e32 v27, v4, v1
	v_mul_f32_e32 v1, s30, v7
	s_waitcnt vmcnt(0)
	v_fmac_f32_e32 v28, v5, v1
	s_clause 0x3
	buffer_load_dword v2, off, s[36:39], 0 offset:156
	buffer_load_dword v3, off, s[36:39], 0 offset:160
	buffer_load_dword v4, off, s[36:39], 0 offset:164
	buffer_load_dword v5, off, s[36:39], 0 offset:168
	v_mul_f32_e32 v1, s4, v10
	s_waitcnt vmcnt(3)
	v_fmac_f32_e32 v27, v2, v1
	v_mul_f32_e32 v1, s30, v9
	s_waitcnt vmcnt(2)
	v_fmac_f32_e32 v28, v3, v1
	v_mul_f32_e32 v1, s4, v12
	s_waitcnt vmcnt(1)
	v_fmac_f32_e32 v27, v4, v1
	v_mul_f32_e32 v1, s30, v11
	s_waitcnt vmcnt(0)
	v_fmac_f32_e32 v28, v5, v1
	s_clause 0x3
	buffer_load_dword v2, off, s[36:39], 0 offset:172
	buffer_load_dword v3, off, s[36:39], 0 offset:176
	buffer_load_dword v4, off, s[36:39], 0 offset:180
	buffer_load_dword v5, off, s[36:39], 0 offset:184
	v_mul_f32_e32 v1, s4, v14
	;; [unrolled: 17-line block ×5, first 2 shown]
	s_waitcnt vmcnt(3)
	v_fmac_f32_e32 v27, v2, v1
	buffer_load_dword v2, off, s[36:39], 0 offset:128 ; 4-byte Folded Reload
	v_mul_f32_e32 v1, s30, v45
	s_waitcnt vmcnt(3)
	v_fmac_f32_e32 v28, v3, v1
	v_mul_f32_e32 v1, s4, v26
	s_waitcnt vmcnt(2)
	v_fmac_f32_e32 v27, v4, v1
	;; [unrolled: 3-line block ×3, first 2 shown]
	v_add_f32_e32 v1, v27, v28
	s_waitcnt vmcnt(0)
	ds_bpermute_b32 v2, v2, v1
	s_and_saveexec_b32 s3, vcc_lo
	s_cbranch_execz .LBB195_8
; %bb.458:                              ;   in Loop: Header=BB195_9 Depth=1
	v_add_nc_u32_e32 v3, s5, v127
	s_waitcnt lgkmcnt(0)
	v_add_f32_e32 v1, v1, v2
	v_cmp_gt_i32_e64 s2, s11, v127
	v_cvt_f32_i32_e32 v3, v3
	v_mul_f32_e32 v3, s28, v3
	v_cndmask_b32_e64 v2, 0, v3, s1
	v_max_f32_e32 v3, v56, v56
	v_fmac_f32_e32 v2, s29, v1
	v_max_f32_e32 v1, v3, v2
	v_cndmask_b32_e64 v2, 0, v2, s2
	v_cndmask_b32_e64 v56, v56, v1, s2
	ds_write_b32 v0, v2
	s_branch .LBB195_8
.LBB195_459:
	s_or_b32 exec_lo, exec_lo, s16
	s_clause 0x4
	buffer_load_dword v105, off, s[36:39], 0 offset:236
	buffer_load_dword v106, off, s[36:39], 0 offset:252
	;; [unrolled: 1-line block ×5, first 2 shown]
	v_mov_b32_e32 v8, 32
.LBB195_460:
	s_or_b32 exec_lo, exec_lo, s15
	s_waitcnt vmcnt(0)
	v_xor_b32_e32 v0, 16, v13
	s_waitcnt lgkmcnt(0)
	v_xor_b32_e32 v2, 8, v13
	v_max_f32_e32 v3, v56, v56
	v_xor_b32_e32 v4, 4, v13
	v_and_b32_e32 v25, 31, v105
	v_cmp_lt_i32_e32 vcc_lo, v0, v8
	v_cndmask_b32_e32 v0, v13, v0, vcc_lo
	v_cmp_lt_i32_e32 vcc_lo, v2, v8
	v_lshlrev_b32_e32 v0, 2, v0
	v_cndmask_b32_e32 v2, v13, v2, vcc_lo
	v_cmp_lt_i32_e32 vcc_lo, v4, v8
	ds_bpermute_b32 v1, v0, v56
	v_lshlrev_b32_e32 v2, 2, v2
	v_cndmask_b32_e32 v4, v13, v4, vcc_lo
	s_waitcnt lgkmcnt(0)
	v_max_f32_e32 v1, v1, v1
	v_max_f32_e32 v1, v3, v1
	ds_bpermute_b32 v3, v2, v1
	s_waitcnt lgkmcnt(0)
	v_max_f32_e32 v5, v3, v3
	v_lshlrev_b32_e32 v3, 2, v4
	v_max_f32_e32 v1, v1, v5
	v_xor_b32_e32 v5, 2, v13
	ds_bpermute_b32 v4, v3, v1
	v_cmp_lt_i32_e32 vcc_lo, v5, v8
	v_cndmask_b32_e32 v5, v13, v5, vcc_lo
	v_cmp_eq_u32_e32 vcc_lo, 0, v25
	v_lshlrev_b32_e32 v26, 2, v5
	s_waitcnt lgkmcnt(0)
	v_max_f32_e32 v4, v4, v4
	v_max_f32_e32 v1, v1, v4
	v_lshlrev_b32_e32 v4, 2, v106
	ds_bpermute_b32 v5, v26, v1
	s_and_saveexec_b32 s1, vcc_lo
	s_cbranch_execz .LBB195_462
; %bb.461:
	s_waitcnt lgkmcnt(0)
	v_max_f32_e32 v5, v5, v5
	v_max_f32_e32 v1, v1, v1
	v_max_f32_e32 v1, v1, v5
	ds_write_b32 v4, v1 offset:448
.LBB195_462:
	s_or_b32 exec_lo, exec_lo, s1
	v_cmp_gt_u32_e64 s1, 4, v25
	v_mov_b32_e32 v1, 0xff7fffff
	s_waitcnt lgkmcnt(0)
	v_lshlrev_b32_e32 v5, 2, v25
	s_waitcnt_vscnt null, 0x0
	s_barrier
	buffer_gl0_inv
	s_and_saveexec_b32 s2, s1
; %bb.463:
	ds_read_b32 v1, v5 offset:448
; %bb.464:
	s_or_b32 exec_lo, exec_lo, s2
	s_waitcnt lgkmcnt(0)
	ds_bpermute_b32 v6, v26, v1
	v_xor_b32_e32 v7, 1, v13
	v_max_f32_e32 v1, v1, v1
	v_cmp_lt_i32_e64 s2, v7, v8
	v_cndmask_b32_e64 v7, v13, v7, s2
	s_lshl_b32 s2, s12, 4
	s_min_i32 s4, s2, s11
	v_lshlrev_b32_e32 v27, 2, v7
	v_cmp_gt_i32_e64 s2, s4, v105
	s_waitcnt lgkmcnt(0)
	v_max_f32_e32 v6, v6, v6
	v_max_f32_e32 v1, v1, v6
	ds_bpermute_b32 v6, v27, v1
	s_waitcnt lgkmcnt(0)
	v_max_f32_e32 v6, v6, v6
	v_max_f32_e32 v1, v1, v6
	v_lshlrev_b32_e32 v6, 2, v58
	ds_bpermute_b32 v7, v6, v1
	v_mov_b32_e32 v6, 0
	v_lshl_add_u32 v1, v105, 2, 0x1e0
	s_and_saveexec_b32 s5, s2
	s_cbranch_execz .LBB195_468
; %bb.465:
	v_lshl_add_u32 v8, v105, 2, 0x1e0
	v_mov_b32_e32 v6, 0
	v_mov_b32_e32 v9, v105
	s_mov_b32 s15, 0
	.p2align	6
.LBB195_466:                            ; =>This Inner Loop Header: Depth=1
	ds_read_b32 v10, v8
	v_add_nc_u32_e32 v9, 0x80, v9
	v_cmp_le_i32_e64 s3, s4, v9
	s_or_b32 s15, s3, s15
	s_waitcnt lgkmcnt(0)
	v_sub_f32_e32 v10, v10, v7
	v_mul_f32_e32 v10, 0x3fb8aa3b, v10
	v_exp_f32_e32 v10, v10
	ds_write_b32 v8, v10
	v_add_f32_e32 v6, v6, v10
	v_add_nc_u32_e32 v8, 0x200, v8
	s_andn2_b32 exec_lo, exec_lo, s15
	s_cbranch_execnz .LBB195_466
; %bb.467:
	s_or_b32 exec_lo, exec_lo, s15
.LBB195_468:
	s_or_b32 exec_lo, exec_lo, s5
	ds_bpermute_b32 v0, v0, v6
	s_waitcnt lgkmcnt(0)
	v_add_f32_e32 v0, v6, v0
	ds_bpermute_b32 v2, v2, v0
	s_waitcnt lgkmcnt(0)
	v_add_f32_e32 v0, v0, v2
	;; [unrolled: 3-line block ×5, first 2 shown]
	s_and_saveexec_b32 s3, vcc_lo
; %bb.469:
	ds_write_b32 v4, v0 offset:464
; %bb.470:
	s_or_b32 exec_lo, exec_lo, s3
	s_waitcnt lgkmcnt(0)
	s_barrier
	buffer_gl0_inv
	s_and_saveexec_b32 s3, s1
; %bb.471:
	ds_read_b32 v0, v5 offset:464
; %bb.472:
	s_or_b32 exec_lo, exec_lo, s3
	s_waitcnt lgkmcnt(0)
	ds_bpermute_b32 v2, v26, v0
	v_lshlrev_b32_e32 v3, 2, v13
	s_waitcnt lgkmcnt(0)
	v_add_f32_e32 v0, v0, v2
	ds_bpermute_b32 v2, v27, v0
	s_waitcnt lgkmcnt(0)
	v_add_f32_e32 v0, v0, v2
	v_and_b32_e32 v2, 0xffffff80, v3
	ds_bpermute_b32 v0, v2, v0
	s_and_saveexec_b32 s1, s2
	s_cbranch_execz .LBB195_475
; %bb.473:
	s_waitcnt lgkmcnt(0)
	v_add_f32_e32 v0, 0x358637bd, v0
	s_mov_b32 s2, 0
	v_div_scale_f32 v2, null, v0, v0, 1.0
	v_div_scale_f32 v5, vcc_lo, 1.0, v0, 1.0
	v_rcp_f32_e32 v3, v2
	v_fma_f32 v4, -v2, v3, 1.0
	v_fmac_f32_e32 v3, v4, v3
	v_mul_f32_e32 v4, v5, v3
	v_fma_f32 v6, -v2, v4, v5
	v_fmac_f32_e32 v4, v6, v3
	v_fma_f32 v2, -v2, v4, v5
	v_div_fmas_f32 v2, v2, v3, v4
	v_div_fixup_f32 v0, v2, v0, 1.0
	v_mov_b32_e32 v2, v105
.LBB195_474:                            ; =>This Inner Loop Header: Depth=1
	ds_read_b32 v3, v1
	v_add_nc_u32_e32 v2, 0x80, v2
	v_cmp_le_i32_e32 vcc_lo, s4, v2
	s_or_b32 s2, vcc_lo, s2
	s_waitcnt lgkmcnt(0)
	v_mul_f32_e32 v3, v0, v3
	ds_write_b32 v1, v3
	v_add_nc_u32_e32 v1, 0x200, v1
	s_andn2_b32 exec_lo, exec_lo, s2
	s_cbranch_execnz .LBB195_474
.LBB195_475:
	s_or_b32 exec_lo, exec_lo, s1
	v_mov_b32_e32 v39, 0
	v_and_b32_e32 v28, 3, v105
	v_mov_b32_e32 v41, 0
	v_mov_b32_e32 v40, 0
	;; [unrolled: 1-line block ×12, first 2 shown]
	s_waitcnt lgkmcnt(0)
	v_mov_b32_e32 v0, 0
	s_barrier
	buffer_gl0_inv
	s_and_saveexec_b32 s1, s0
	s_cbranch_execz .LBB195_955
; %bb.476:
	s_load_dword s2, s[18:19], 0x0
	v_and_b32_e32 v1, 0x7c, v11
	v_and_b32_e32 v0, 12, v11
	v_lshlrev_b32_e32 v3, 4, v106
	s_ashr_i32 s0, s14, 31
	s_add_u32 s4, s26, s14
	v_lshlrev_b32_e32 v2, 4, v28
	s_addc_u32 s0, s27, s0
	v_add_co_u32 v7, s4, s4, v1
	v_or3_b32 v42, v3, v0, 3
	v_and_b32_e32 v0, 0x7c, v12
	v_add_co_ci_u32_e64 v8, null, s0, 0, s4
	s_lshl_b64 s[4:5], s[24:25], 2
	s_add_i32 s3, s12, -1
	v_lshl_or_b32 v2, v106, 6, v2
	s_add_u32 s0, s22, s4
	s_addc_u32 s4, s23, s5
	v_add_co_u32 v9, s0, s0, v0
	v_mov_b32_e32 v6, 0
	v_add_nc_u32_e32 v43, 0x1e0, v2
	v_add_co_ci_u32_e64 v10, null, s4, 0, s0
	v_mov_b32_e32 v44, 0x80
	v_bfrev_b32_e32 v12, 1
	v_mov_b32_e32 v45, 0xffff
	v_mov_b32_e32 v14, 0x7f800001
	;; [unrolled: 1-line block ×20, first 2 shown]
	s_mov_b32 s4, s13
	s_waitcnt lgkmcnt(0)
	s_mov_b32 s13, s2
	s_mov_b32 s5, 0
	s_branch .LBB195_478
.LBB195_477:                            ;   in Loop: Header=BB195_478 Depth=1
	s_or_b32 exec_lo, exec_lo, s0
	s_waitcnt lgkmcnt(0)
	v_mul_f32_e32 v16, v1, v102
	v_mul_f32_e32 v17, v1, v100
	;; [unrolled: 1-line block ×5, first 2 shown]
	v_fmac_f32_e32 v16, v2, v101
	v_fmac_f32_e32 v17, v2, v99
	;; [unrolled: 1-line block ×14, first 2 shown]
	v_add_nc_u32_e32 v49, 4, v49
	v_add_f32_e32 v29, v29, v16
	v_add_f32_e32 v30, v30, v17
	;; [unrolled: 1-line block ×4, first 2 shown]
	v_mul_f32_e32 v16, v1, v84
	v_mul_f32_e32 v17, v1, v80
	;; [unrolled: 1-line block ×4, first 2 shown]
	v_fmac_f32_e32 v20, v4, v85
	v_fmac_f32_e32 v16, v2, v83
	;; [unrolled: 1-line block ×5, first 2 shown]
	v_cmp_le_i32_e32 vcc_lo, s12, v49
	v_fmac_f32_e32 v16, v3, v82
	v_fmac_f32_e32 v17, v3, v78
	;; [unrolled: 1-line block ×4, first 2 shown]
	v_add_co_u32 v9, s0, v9, 16
	v_fmac_f32_e32 v16, v4, v81
	v_fmac_f32_e32 v17, v4, v77
	;; [unrolled: 1-line block ×4, first 2 shown]
	v_add_f32_e32 v33, v33, v20
	v_add_f32_e32 v34, v34, v16
	;; [unrolled: 1-line block ×3, first 2 shown]
	v_mul_f32_e32 v16, v1, v68
	v_add_f32_e32 v36, v36, v18
	v_add_f32_e32 v37, v37, v19
	v_mul_f32_e32 v17, v1, v64
	v_mul_f32_e32 v18, v1, v60
	;; [unrolled: 1-line block ×4, first 2 shown]
	v_fmac_f32_e32 v16, v2, v67
	v_fmac_f32_e32 v17, v2, v63
	;; [unrolled: 1-line block ×15, first 2 shown]
	v_add_f32_e32 v38, v38, v16
	v_add_f32_e32 v40, v40, v17
	;; [unrolled: 1-line block ×5, first 2 shown]
	v_add_nc_u32_e32 v42, 64, v42
	v_add_nc_u32_e32 v43, 0x100, v43
	v_add_co_ci_u32_e64 v10, null, 0, v10, s0
	s_or_b32 s5, vcc_lo, s5
	s_andn2_b32 exec_lo, exec_lo, s5
	s_cbranch_execz .LBB195_954
.LBB195_478:                            ; =>This Inner Loop Header: Depth=1
	global_load_dword v1, v[9:10], off
	v_mov_b32_e32 v19, 0
	v_mov_b32_e32 v17, 0
	;; [unrolled: 1-line block ×4, first 2 shown]
	s_waitcnt vmcnt(0)
	v_mad_i64_i32 v[15:16], null, v1, s4, v[7:8]
	ds_read_b128 v[1:4], v43
	global_load_dword v50, v[15:16], off
	s_waitcnt vmcnt(0)
	v_cmp_ne_u16_sdwa s14, v50, v6 src0_sel:BYTE_0 src1_sel:DWORD
	s_and_saveexec_b32 s0, s14
	s_cbranch_execz .LBB195_486
; %bb.479:                              ;   in Loop: Header=BB195_478 Depth=1
	v_bfrev_b32_e32 v17, 1
	v_mov_b32_e32 v18, 0
	v_cmp_ne_u16_sdwa s15, v50, v44 src0_sel:BYTE_0 src1_sel:DWORD
	s_and_saveexec_b32 s14, s15
	s_cbranch_execz .LBB195_485
; %bb.480:                              ;   in Loop: Header=BB195_478 Depth=1
	v_mov_b32_e32 v17, 0x7f800001
	v_and_b32_e32 v13, 0x7f, v50
	v_mov_b32_e32 v18, 0
	s_mov_b32 s15, exec_lo
	v_cmpx_ne_u32_e32 0x7f, v13
	s_cbranch_execz .LBB195_484
; %bb.481:                              ;   in Loop: Header=BB195_478 Depth=1
	v_and_b32_e32 v5, 7, v50
	v_lshrrev_b32_e32 v11, 3, v13
	s_mov_b32 s16, exec_lo
	v_cmpx_gt_u32_e32 8, v13
; %bb.482:                              ;   in Loop: Header=BB195_478 Depth=1
	v_ffbh_u32_e32 v11, v5
	v_min_u32_e32 v11, 32, v11
	v_subrev_nc_u32_e32 v13, 28, v11
	v_sub_nc_u32_e32 v11, 29, v11
	v_lshlrev_b64 v[17:18], v13, v[5:6]
	v_and_b32_e32 v5, 7, v17
; %bb.483:                              ;   in Loop: Header=BB195_478 Depth=1
	s_or_b32 exec_lo, exec_lo, s16
	v_lshlrev_b32_e32 v13, 24, v50
	v_lshlrev_b32_e32 v5, 20, v5
	v_lshl_add_u32 v11, v11, 23, 0x3c000000
	v_and_b32_e32 v13, 0x80000000, v13
	v_or3_b32 v5, v5, v13, v11
	v_mov_b32_e32 v18, v6
	v_mov_b32_e32 v17, v5
.LBB195_484:                            ;   in Loop: Header=BB195_478 Depth=1
	s_or_b32 exec_lo, exec_lo, s15
.LBB195_485:                            ;   in Loop: Header=BB195_478 Depth=1
	s_or_b32 exec_lo, exec_lo, s14
.LBB195_486:                            ;   in Loop: Header=BB195_478 Depth=1
	s_or_b32 exec_lo, exec_lo, s0
	v_cmp_ne_u16_sdwa s14, v50, v6 src0_sel:BYTE_1 src1_sel:DWORD
	s_and_saveexec_b32 s0, s14
	s_cbranch_execz .LBB195_494
; %bb.487:                              ;   in Loop: Header=BB195_478 Depth=1
	v_mov_b32_e32 v11, v6
	v_mov_b32_e32 v20, v12
	v_cmp_ne_u16_sdwa s15, v50, v44 src0_sel:BYTE_1 src1_sel:DWORD
	v_mov_b32_e32 v19, v11
	s_and_saveexec_b32 s14, s15
	s_cbranch_execz .LBB195_493
; %bb.488:                              ;   in Loop: Header=BB195_478 Depth=1
	v_and_b32_sdwa v5, v45, v50 dst_sel:DWORD dst_unused:UNUSED_PAD src0_sel:DWORD src1_sel:BYTE_1
	v_mov_b32_e32 v13, v6
	v_mov_b32_e32 v20, v14
	s_mov_b32 s15, exec_lo
	v_and_b32_e32 v21, 0x7f, v5
	v_mov_b32_e32 v19, v13
	v_cmpx_ne_u32_e32 0x7f, v21
	s_cbranch_execz .LBB195_492
; %bb.489:                              ;   in Loop: Header=BB195_478 Depth=1
	v_and_b32_e32 v5, 7, v5
	v_lshrrev_b32_e32 v11, 3, v21
	s_mov_b32 s16, exec_lo
	v_cmpx_gt_u32_e32 8, v21
; %bb.490:                              ;   in Loop: Header=BB195_478 Depth=1
	v_ffbh_u32_e32 v11, v5
	v_min_u32_e32 v11, 32, v11
	v_subrev_nc_u32_e32 v13, 28, v11
	v_sub_nc_u32_e32 v11, 29, v11
	v_lshlrev_b64 v[19:20], v13, v[5:6]
	v_and_b32_e32 v5, 7, v19
; %bb.491:                              ;   in Loop: Header=BB195_478 Depth=1
	s_or_b32 exec_lo, exec_lo, s16
	v_lshlrev_b32_e32 v13, 16, v50
	v_lshlrev_b32_e32 v5, 20, v5
	v_lshl_add_u32 v11, v11, 23, 0x3c000000
	v_mov_b32_e32 v19, v6
	v_and_b32_e32 v13, 0x80000000, v13
	v_or3_b32 v20, v5, v13, v11
.LBB195_492:                            ;   in Loop: Header=BB195_478 Depth=1
	s_or_b32 exec_lo, exec_lo, s15
.LBB195_493:                            ;   in Loop: Header=BB195_478 Depth=1
	s_or_b32 exec_lo, exec_lo, s14
.LBB195_494:                            ;   in Loop: Header=BB195_478 Depth=1
	s_or_b32 exec_lo, exec_lo, s0
	v_mov_b32_e32 v23, 0
	v_mov_b32_e32 v21, 0
	v_and_b32_sdwa v5, v50, v46 dst_sel:DWORD dst_unused:UNUSED_PAD src0_sel:WORD_1 src1_sel:DWORD
	v_mov_b32_e32 v24, 0
	v_mov_b32_e32 v22, 0
	s_mov_b32 s0, exec_lo
	v_cmpx_ne_u16_e32 0, v5
	s_cbranch_execz .LBB195_502
; %bb.495:                              ;   in Loop: Header=BB195_478 Depth=1
	v_bfrev_b32_e32 v21, 1
	v_mov_b32_e32 v22, 0
	s_mov_b32 s14, exec_lo
	v_cmpx_ne_u16_e32 0x80, v5
	s_cbranch_execz .LBB195_501
; %bb.496:                              ;   in Loop: Header=BB195_478 Depth=1
	v_mov_b32_e32 v21, 0x7f800001
	v_bfe_u32 v13, v50, 16, 7
	v_mov_b32_e32 v22, 0
	s_mov_b32 s15, exec_lo
	v_cmpx_ne_u32_e32 0x7f, v13
	s_cbranch_execz .LBB195_500
; %bb.497:                              ;   in Loop: Header=BB195_478 Depth=1
	v_and_b32_sdwa v5, v50, v47 dst_sel:DWORD dst_unused:UNUSED_PAD src0_sel:WORD_1 src1_sel:DWORD
	v_lshrrev_b32_e32 v11, 3, v13
	s_mov_b32 s16, exec_lo
	v_cmpx_gt_u32_e32 8, v13
; %bb.498:                              ;   in Loop: Header=BB195_478 Depth=1
	v_ffbh_u32_e32 v11, v5
	v_min_u32_e32 v11, 32, v11
	v_subrev_nc_u32_e32 v13, 28, v11
	v_sub_nc_u32_e32 v11, 29, v11
	v_lshlrev_b64 v[21:22], v13, v[5:6]
	v_and_b32_e32 v5, 7, v21
; %bb.499:                              ;   in Loop: Header=BB195_478 Depth=1
	s_or_b32 exec_lo, exec_lo, s16
	v_lshlrev_b32_sdwa v13, v48, v50 dst_sel:DWORD dst_unused:UNUSED_PAD src0_sel:DWORD src1_sel:WORD_1
	v_lshlrev_b32_e32 v5, 20, v5
	v_lshl_add_u32 v11, v11, 23, 0x3c000000
	v_and_b32_e32 v13, 0x80000000, v13
	v_or3_b32 v5, v5, v13, v11
	v_mov_b32_e32 v22, v6
	v_mov_b32_e32 v21, v5
.LBB195_500:                            ;   in Loop: Header=BB195_478 Depth=1
	s_or_b32 exec_lo, exec_lo, s15
.LBB195_501:                            ;   in Loop: Header=BB195_478 Depth=1
	s_or_b32 exec_lo, exec_lo, s14
.LBB195_502:                            ;   in Loop: Header=BB195_478 Depth=1
	s_or_b32 exec_lo, exec_lo, s0
	s_mov_b32 s0, exec_lo
	v_cmpx_lt_u32_e32 0xffffff, v50
	s_cbranch_execz .LBB195_510
; %bb.503:                              ;   in Loop: Header=BB195_478 Depth=1
	v_mov_b32_e32 v11, v6
	v_mov_b32_e32 v24, v12
	v_cmp_ne_u32_sdwa s15, v50, v44 src0_sel:BYTE_3 src1_sel:DWORD
	v_mov_b32_e32 v23, v11
	s_and_saveexec_b32 s14, s15
	s_cbranch_execz .LBB195_509
; %bb.504:                              ;   in Loop: Header=BB195_478 Depth=1
	v_mov_b32_e32 v13, v6
	v_mov_b32_e32 v24, v14
	v_bfe_u32 v51, v50, 24, 7
	s_mov_b32 s15, exec_lo
	v_mov_b32_e32 v23, v13
	v_cmpx_ne_u32_e32 0x7f, v51
	s_cbranch_execz .LBB195_508
; %bb.505:                              ;   in Loop: Header=BB195_478 Depth=1
	v_and_b32_sdwa v5, v50, v47 dst_sel:DWORD dst_unused:UNUSED_PAD src0_sel:BYTE_3 src1_sel:DWORD
	v_lshrrev_b32_e32 v11, 3, v51
	s_mov_b32 s16, exec_lo
	v_cmpx_gt_u32_e32 8, v51
; %bb.506:                              ;   in Loop: Header=BB195_478 Depth=1
	v_ffbh_u32_e32 v11, v5
	v_min_u32_e32 v11, 32, v11
	v_subrev_nc_u32_e32 v13, 28, v11
	v_sub_nc_u32_e32 v11, 29, v11
	v_lshlrev_b64 v[23:24], v13, v[5:6]
	v_and_b32_e32 v5, 7, v23
; %bb.507:                              ;   in Loop: Header=BB195_478 Depth=1
	s_or_b32 exec_lo, exec_lo, s16
	v_lshlrev_b32_sdwa v13, v48, v50 dst_sel:DWORD dst_unused:UNUSED_PAD src0_sel:DWORD src1_sel:BYTE_3
	v_lshlrev_b32_e32 v5, 20, v5
	v_lshl_add_u32 v11, v11, 23, 0x3c000000
	v_mov_b32_e32 v23, v6
	v_and_b32_e32 v13, 0x80000000, v13
	v_or3_b32 v24, v5, v13, v11
.LBB195_508:                            ;   in Loop: Header=BB195_478 Depth=1
	s_or_b32 exec_lo, exec_lo, s15
.LBB195_509:                            ;   in Loop: Header=BB195_478 Depth=1
	s_or_b32 exec_lo, exec_lo, s14
.LBB195_510:                            ;   in Loop: Header=BB195_478 Depth=1
	s_or_b32 exec_lo, exec_lo, s0
	v_or_b32_e32 v5, v20, v18
	v_or_b32_e32 v11, v19, v17
	;; [unrolled: 1-line block ×4, first 2 shown]
	v_add_nc_u32_e32 v54, -3, v42
	v_cmp_eq_u32_e32 vcc_lo, s3, v49
	v_mul_f32_e32 v52, s13, v5
	v_mul_f32_e32 v53, s2, v11
	;; [unrolled: 1-line block ×4, first 2 shown]
	v_add_nc_u32_e32 v56, -2, v42
	v_add_nc_u32_e32 v55, -1, v42
	s_and_saveexec_b32 s14, vcc_lo
	s_cbranch_execz .LBB195_512
; %bb.511:                              ;   in Loop: Header=BB195_478 Depth=1
	v_cmp_gt_i32_e64 s0, s11, v54
	v_cndmask_b32_e64 v53, 0, v53, s0
	v_cmp_gt_i32_e64 s0, s11, v56
	v_cndmask_b32_e64 v52, 0, v52, s0
	v_cmp_gt_i32_e64 s0, s11, v55
	v_cndmask_b32_e64 v51, 0, v51, s0
	v_cmp_gt_i32_e64 s0, s11, v42
	v_cndmask_b32_e64 v50, 0, v50, s0
.LBB195_512:                            ;   in Loop: Header=BB195_478 Depth=1
	s_or_b32 exec_lo, exec_lo, s14
	global_load_dword v57, v[15:16], off offset:128
	v_mov_b32_e32 v19, 0
	v_mov_b32_e32 v17, 0
	;; [unrolled: 1-line block ×4, first 2 shown]
	s_waitcnt vmcnt(0)
	v_cmp_ne_u16_sdwa s0, v57, v6 src0_sel:BYTE_0 src1_sel:DWORD
	s_and_saveexec_b32 s14, s0
	s_cbranch_execz .LBB195_520
; %bb.513:                              ;   in Loop: Header=BB195_478 Depth=1
	v_bfrev_b32_e32 v17, 1
	v_mov_b32_e32 v18, 0
	v_cmp_ne_u16_sdwa s0, v57, v44 src0_sel:BYTE_0 src1_sel:DWORD
	s_and_saveexec_b32 s15, s0
	s_cbranch_execz .LBB195_519
; %bb.514:                              ;   in Loop: Header=BB195_478 Depth=1
	v_mov_b32_e32 v17, 0x7f800001
	v_and_b32_e32 v13, 0x7f, v57
	v_mov_b32_e32 v18, 0
	s_mov_b32 s16, exec_lo
	v_cmpx_ne_u32_e32 0x7f, v13
	s_cbranch_execz .LBB195_518
; %bb.515:                              ;   in Loop: Header=BB195_478 Depth=1
	v_and_b32_e32 v5, 7, v57
	v_lshrrev_b32_e32 v11, 3, v13
	s_mov_b32 s17, exec_lo
	v_cmpx_gt_u32_e32 8, v13
; %bb.516:                              ;   in Loop: Header=BB195_478 Depth=1
	v_ffbh_u32_e32 v11, v5
	v_min_u32_e32 v11, 32, v11
	v_subrev_nc_u32_e32 v13, 28, v11
	v_sub_nc_u32_e32 v11, 29, v11
	v_lshlrev_b64 v[17:18], v13, v[5:6]
	v_and_b32_e32 v5, 7, v17
; %bb.517:                              ;   in Loop: Header=BB195_478 Depth=1
	s_or_b32 exec_lo, exec_lo, s17
	v_lshlrev_b32_e32 v13, 24, v57
	v_lshlrev_b32_e32 v5, 20, v5
	v_lshl_add_u32 v11, v11, 23, 0x3c000000
	v_and_b32_e32 v13, 0x80000000, v13
	v_or3_b32 v5, v5, v13, v11
	v_mov_b32_e32 v18, v6
	v_mov_b32_e32 v17, v5
.LBB195_518:                            ;   in Loop: Header=BB195_478 Depth=1
	s_or_b32 exec_lo, exec_lo, s16
.LBB195_519:                            ;   in Loop: Header=BB195_478 Depth=1
	s_or_b32 exec_lo, exec_lo, s15
.LBB195_520:                            ;   in Loop: Header=BB195_478 Depth=1
	s_or_b32 exec_lo, exec_lo, s14
	v_cmp_ne_u16_sdwa s0, v57, v6 src0_sel:BYTE_1 src1_sel:DWORD
	s_and_saveexec_b32 s14, s0
	s_cbranch_execz .LBB195_528
; %bb.521:                              ;   in Loop: Header=BB195_478 Depth=1
	v_mov_b32_e32 v11, v6
	v_mov_b32_e32 v20, v12
	v_cmp_ne_u16_sdwa s0, v57, v44 src0_sel:BYTE_1 src1_sel:DWORD
	v_mov_b32_e32 v19, v11
	s_and_saveexec_b32 s15, s0
	s_cbranch_execz .LBB195_527
; %bb.522:                              ;   in Loop: Header=BB195_478 Depth=1
	v_and_b32_sdwa v5, v45, v57 dst_sel:DWORD dst_unused:UNUSED_PAD src0_sel:DWORD src1_sel:BYTE_1
	v_mov_b32_e32 v13, v6
	v_mov_b32_e32 v20, v14
	s_mov_b32 s16, exec_lo
	v_and_b32_e32 v21, 0x7f, v5
	v_mov_b32_e32 v19, v13
	v_cmpx_ne_u32_e32 0x7f, v21
	s_cbranch_execz .LBB195_526
; %bb.523:                              ;   in Loop: Header=BB195_478 Depth=1
	v_and_b32_e32 v5, 7, v5
	v_lshrrev_b32_e32 v11, 3, v21
	s_mov_b32 s17, exec_lo
	v_cmpx_gt_u32_e32 8, v21
; %bb.524:                              ;   in Loop: Header=BB195_478 Depth=1
	v_ffbh_u32_e32 v11, v5
	v_min_u32_e32 v11, 32, v11
	v_subrev_nc_u32_e32 v13, 28, v11
	v_sub_nc_u32_e32 v11, 29, v11
	v_lshlrev_b64 v[19:20], v13, v[5:6]
	v_and_b32_e32 v5, 7, v19
; %bb.525:                              ;   in Loop: Header=BB195_478 Depth=1
	s_or_b32 exec_lo, exec_lo, s17
	v_lshlrev_b32_e32 v13, 16, v57
	v_lshlrev_b32_e32 v5, 20, v5
	v_lshl_add_u32 v11, v11, 23, 0x3c000000
	v_mov_b32_e32 v19, v6
	v_and_b32_e32 v13, 0x80000000, v13
	v_or3_b32 v20, v5, v13, v11
.LBB195_526:                            ;   in Loop: Header=BB195_478 Depth=1
	s_or_b32 exec_lo, exec_lo, s16
.LBB195_527:                            ;   in Loop: Header=BB195_478 Depth=1
	s_or_b32 exec_lo, exec_lo, s15
.LBB195_528:                            ;   in Loop: Header=BB195_478 Depth=1
	s_or_b32 exec_lo, exec_lo, s14
	v_mov_b32_e32 v23, 0
	v_mov_b32_e32 v21, 0
	v_and_b32_sdwa v5, v57, v46 dst_sel:DWORD dst_unused:UNUSED_PAD src0_sel:WORD_1 src1_sel:DWORD
	v_mov_b32_e32 v24, 0
	v_mov_b32_e32 v22, 0
	s_mov_b32 s14, exec_lo
	v_cmpx_ne_u16_e32 0, v5
	s_cbranch_execz .LBB195_536
; %bb.529:                              ;   in Loop: Header=BB195_478 Depth=1
	v_bfrev_b32_e32 v21, 1
	v_mov_b32_e32 v22, 0
	s_mov_b32 s15, exec_lo
	v_cmpx_ne_u16_e32 0x80, v5
	s_cbranch_execz .LBB195_535
; %bb.530:                              ;   in Loop: Header=BB195_478 Depth=1
	v_mov_b32_e32 v21, 0x7f800001
	v_bfe_u32 v13, v57, 16, 7
	v_mov_b32_e32 v22, 0
	s_mov_b32 s16, exec_lo
	v_cmpx_ne_u32_e32 0x7f, v13
	s_cbranch_execz .LBB195_534
; %bb.531:                              ;   in Loop: Header=BB195_478 Depth=1
	v_and_b32_sdwa v5, v57, v47 dst_sel:DWORD dst_unused:UNUSED_PAD src0_sel:WORD_1 src1_sel:DWORD
	v_lshrrev_b32_e32 v11, 3, v13
	s_mov_b32 s17, exec_lo
	v_cmpx_gt_u32_e32 8, v13
; %bb.532:                              ;   in Loop: Header=BB195_478 Depth=1
	v_ffbh_u32_e32 v11, v5
	v_min_u32_e32 v11, 32, v11
	v_subrev_nc_u32_e32 v13, 28, v11
	v_sub_nc_u32_e32 v11, 29, v11
	v_lshlrev_b64 v[21:22], v13, v[5:6]
	v_and_b32_e32 v5, 7, v21
; %bb.533:                              ;   in Loop: Header=BB195_478 Depth=1
	s_or_b32 exec_lo, exec_lo, s17
	v_lshlrev_b32_sdwa v13, v48, v57 dst_sel:DWORD dst_unused:UNUSED_PAD src0_sel:DWORD src1_sel:WORD_1
	v_lshlrev_b32_e32 v5, 20, v5
	v_lshl_add_u32 v11, v11, 23, 0x3c000000
	v_and_b32_e32 v13, 0x80000000, v13
	v_or3_b32 v5, v5, v13, v11
	v_mov_b32_e32 v22, v6
	v_mov_b32_e32 v21, v5
.LBB195_534:                            ;   in Loop: Header=BB195_478 Depth=1
	s_or_b32 exec_lo, exec_lo, s16
.LBB195_535:                            ;   in Loop: Header=BB195_478 Depth=1
	s_or_b32 exec_lo, exec_lo, s15
.LBB195_536:                            ;   in Loop: Header=BB195_478 Depth=1
	s_or_b32 exec_lo, exec_lo, s14
	s_mov_b32 s14, exec_lo
	v_cmpx_lt_u32_e32 0xffffff, v57
	s_cbranch_execz .LBB195_544
; %bb.537:                              ;   in Loop: Header=BB195_478 Depth=1
	v_mov_b32_e32 v11, v6
	v_mov_b32_e32 v24, v12
	v_cmp_ne_u32_sdwa s0, v57, v44 src0_sel:BYTE_3 src1_sel:DWORD
	v_mov_b32_e32 v23, v11
	s_and_saveexec_b32 s15, s0
	s_cbranch_execz .LBB195_543
; %bb.538:                              ;   in Loop: Header=BB195_478 Depth=1
	v_mov_b32_e32 v13, v6
	v_mov_b32_e32 v24, v14
	v_bfe_u32 v58, v57, 24, 7
	s_mov_b32 s16, exec_lo
	v_mov_b32_e32 v23, v13
	v_cmpx_ne_u32_e32 0x7f, v58
	s_cbranch_execz .LBB195_542
; %bb.539:                              ;   in Loop: Header=BB195_478 Depth=1
	v_and_b32_sdwa v5, v57, v47 dst_sel:DWORD dst_unused:UNUSED_PAD src0_sel:BYTE_3 src1_sel:DWORD
	v_lshrrev_b32_e32 v11, 3, v58
	s_mov_b32 s17, exec_lo
	v_cmpx_gt_u32_e32 8, v58
; %bb.540:                              ;   in Loop: Header=BB195_478 Depth=1
	v_ffbh_u32_e32 v11, v5
	v_min_u32_e32 v11, 32, v11
	v_subrev_nc_u32_e32 v13, 28, v11
	v_sub_nc_u32_e32 v11, 29, v11
	v_lshlrev_b64 v[23:24], v13, v[5:6]
	v_and_b32_e32 v5, 7, v23
; %bb.541:                              ;   in Loop: Header=BB195_478 Depth=1
	s_or_b32 exec_lo, exec_lo, s17
	v_lshlrev_b32_sdwa v13, v48, v57 dst_sel:DWORD dst_unused:UNUSED_PAD src0_sel:DWORD src1_sel:BYTE_3
	v_lshlrev_b32_e32 v5, 20, v5
	v_lshl_add_u32 v11, v11, 23, 0x3c000000
	v_mov_b32_e32 v23, v6
	v_and_b32_e32 v13, 0x80000000, v13
	v_or3_b32 v24, v5, v13, v11
.LBB195_542:                            ;   in Loop: Header=BB195_478 Depth=1
	s_or_b32 exec_lo, exec_lo, s16
.LBB195_543:                            ;   in Loop: Header=BB195_478 Depth=1
	s_or_b32 exec_lo, exec_lo, s15
.LBB195_544:                            ;   in Loop: Header=BB195_478 Depth=1
	s_or_b32 exec_lo, exec_lo, s14
	v_or_b32_e32 v5, v20, v18
	v_or_b32_e32 v11, v19, v17
	;; [unrolled: 1-line block ×4, first 2 shown]
	v_mul_f32_e32 v59, s13, v5
	v_mul_f32_e32 v60, s2, v11
	;; [unrolled: 1-line block ×4, first 2 shown]
	s_and_saveexec_b32 s14, vcc_lo
	s_cbranch_execz .LBB195_546
; %bb.545:                              ;   in Loop: Header=BB195_478 Depth=1
	v_cmp_gt_i32_e64 s0, s11, v54
	v_cndmask_b32_e64 v60, 0, v60, s0
	v_cmp_gt_i32_e64 s0, s11, v56
	v_cndmask_b32_e64 v59, 0, v59, s0
	;; [unrolled: 2-line block ×4, first 2 shown]
.LBB195_546:                            ;   in Loop: Header=BB195_478 Depth=1
	s_or_b32 exec_lo, exec_lo, s14
	global_load_dword v61, v[15:16], off offset:256
	v_mov_b32_e32 v19, 0
	v_mov_b32_e32 v17, 0
	;; [unrolled: 1-line block ×4, first 2 shown]
	s_waitcnt vmcnt(0)
	v_cmp_ne_u16_sdwa s0, v61, v6 src0_sel:BYTE_0 src1_sel:DWORD
	s_and_saveexec_b32 s14, s0
	s_cbranch_execz .LBB195_554
; %bb.547:                              ;   in Loop: Header=BB195_478 Depth=1
	v_bfrev_b32_e32 v17, 1
	v_mov_b32_e32 v18, 0
	v_cmp_ne_u16_sdwa s0, v61, v44 src0_sel:BYTE_0 src1_sel:DWORD
	s_and_saveexec_b32 s15, s0
	s_cbranch_execz .LBB195_553
; %bb.548:                              ;   in Loop: Header=BB195_478 Depth=1
	v_mov_b32_e32 v17, 0x7f800001
	v_and_b32_e32 v13, 0x7f, v61
	v_mov_b32_e32 v18, 0
	s_mov_b32 s16, exec_lo
	v_cmpx_ne_u32_e32 0x7f, v13
	s_cbranch_execz .LBB195_552
; %bb.549:                              ;   in Loop: Header=BB195_478 Depth=1
	v_and_b32_e32 v5, 7, v61
	v_lshrrev_b32_e32 v11, 3, v13
	s_mov_b32 s17, exec_lo
	v_cmpx_gt_u32_e32 8, v13
; %bb.550:                              ;   in Loop: Header=BB195_478 Depth=1
	v_ffbh_u32_e32 v11, v5
	v_min_u32_e32 v11, 32, v11
	v_subrev_nc_u32_e32 v13, 28, v11
	v_sub_nc_u32_e32 v11, 29, v11
	v_lshlrev_b64 v[17:18], v13, v[5:6]
	v_and_b32_e32 v5, 7, v17
; %bb.551:                              ;   in Loop: Header=BB195_478 Depth=1
	s_or_b32 exec_lo, exec_lo, s17
	v_lshlrev_b32_e32 v13, 24, v61
	v_lshlrev_b32_e32 v5, 20, v5
	v_lshl_add_u32 v11, v11, 23, 0x3c000000
	v_and_b32_e32 v13, 0x80000000, v13
	v_or3_b32 v5, v5, v13, v11
	v_mov_b32_e32 v18, v6
	v_mov_b32_e32 v17, v5
.LBB195_552:                            ;   in Loop: Header=BB195_478 Depth=1
	s_or_b32 exec_lo, exec_lo, s16
.LBB195_553:                            ;   in Loop: Header=BB195_478 Depth=1
	s_or_b32 exec_lo, exec_lo, s15
.LBB195_554:                            ;   in Loop: Header=BB195_478 Depth=1
	s_or_b32 exec_lo, exec_lo, s14
	v_cmp_ne_u16_sdwa s0, v61, v6 src0_sel:BYTE_1 src1_sel:DWORD
	s_and_saveexec_b32 s14, s0
	s_cbranch_execz .LBB195_562
; %bb.555:                              ;   in Loop: Header=BB195_478 Depth=1
	v_mov_b32_e32 v11, v6
	v_mov_b32_e32 v20, v12
	v_cmp_ne_u16_sdwa s0, v61, v44 src0_sel:BYTE_1 src1_sel:DWORD
	v_mov_b32_e32 v19, v11
	s_and_saveexec_b32 s15, s0
	s_cbranch_execz .LBB195_561
; %bb.556:                              ;   in Loop: Header=BB195_478 Depth=1
	v_and_b32_sdwa v5, v45, v61 dst_sel:DWORD dst_unused:UNUSED_PAD src0_sel:DWORD src1_sel:BYTE_1
	v_mov_b32_e32 v13, v6
	v_mov_b32_e32 v20, v14
	s_mov_b32 s16, exec_lo
	v_and_b32_e32 v21, 0x7f, v5
	v_mov_b32_e32 v19, v13
	v_cmpx_ne_u32_e32 0x7f, v21
	s_cbranch_execz .LBB195_560
; %bb.557:                              ;   in Loop: Header=BB195_478 Depth=1
	v_and_b32_e32 v5, 7, v5
	v_lshrrev_b32_e32 v11, 3, v21
	s_mov_b32 s17, exec_lo
	v_cmpx_gt_u32_e32 8, v21
; %bb.558:                              ;   in Loop: Header=BB195_478 Depth=1
	v_ffbh_u32_e32 v11, v5
	v_min_u32_e32 v11, 32, v11
	v_subrev_nc_u32_e32 v13, 28, v11
	v_sub_nc_u32_e32 v11, 29, v11
	v_lshlrev_b64 v[19:20], v13, v[5:6]
	v_and_b32_e32 v5, 7, v19
; %bb.559:                              ;   in Loop: Header=BB195_478 Depth=1
	s_or_b32 exec_lo, exec_lo, s17
	v_lshlrev_b32_e32 v13, 16, v61
	v_lshlrev_b32_e32 v5, 20, v5
	v_lshl_add_u32 v11, v11, 23, 0x3c000000
	v_mov_b32_e32 v19, v6
	v_and_b32_e32 v13, 0x80000000, v13
	v_or3_b32 v20, v5, v13, v11
.LBB195_560:                            ;   in Loop: Header=BB195_478 Depth=1
	s_or_b32 exec_lo, exec_lo, s16
.LBB195_561:                            ;   in Loop: Header=BB195_478 Depth=1
	s_or_b32 exec_lo, exec_lo, s15
.LBB195_562:                            ;   in Loop: Header=BB195_478 Depth=1
	s_or_b32 exec_lo, exec_lo, s14
	v_mov_b32_e32 v23, 0
	v_mov_b32_e32 v21, 0
	v_and_b32_sdwa v5, v61, v46 dst_sel:DWORD dst_unused:UNUSED_PAD src0_sel:WORD_1 src1_sel:DWORD
	v_mov_b32_e32 v24, 0
	v_mov_b32_e32 v22, 0
	s_mov_b32 s14, exec_lo
	v_cmpx_ne_u16_e32 0, v5
	s_cbranch_execz .LBB195_570
; %bb.563:                              ;   in Loop: Header=BB195_478 Depth=1
	v_bfrev_b32_e32 v21, 1
	v_mov_b32_e32 v22, 0
	s_mov_b32 s15, exec_lo
	v_cmpx_ne_u16_e32 0x80, v5
	s_cbranch_execz .LBB195_569
; %bb.564:                              ;   in Loop: Header=BB195_478 Depth=1
	v_mov_b32_e32 v21, 0x7f800001
	v_bfe_u32 v13, v61, 16, 7
	v_mov_b32_e32 v22, 0
	s_mov_b32 s16, exec_lo
	v_cmpx_ne_u32_e32 0x7f, v13
	s_cbranch_execz .LBB195_568
; %bb.565:                              ;   in Loop: Header=BB195_478 Depth=1
	v_and_b32_sdwa v5, v61, v47 dst_sel:DWORD dst_unused:UNUSED_PAD src0_sel:WORD_1 src1_sel:DWORD
	v_lshrrev_b32_e32 v11, 3, v13
	s_mov_b32 s17, exec_lo
	v_cmpx_gt_u32_e32 8, v13
; %bb.566:                              ;   in Loop: Header=BB195_478 Depth=1
	v_ffbh_u32_e32 v11, v5
	v_min_u32_e32 v11, 32, v11
	v_subrev_nc_u32_e32 v13, 28, v11
	v_sub_nc_u32_e32 v11, 29, v11
	v_lshlrev_b64 v[21:22], v13, v[5:6]
	v_and_b32_e32 v5, 7, v21
; %bb.567:                              ;   in Loop: Header=BB195_478 Depth=1
	s_or_b32 exec_lo, exec_lo, s17
	v_lshlrev_b32_sdwa v13, v48, v61 dst_sel:DWORD dst_unused:UNUSED_PAD src0_sel:DWORD src1_sel:WORD_1
	v_lshlrev_b32_e32 v5, 20, v5
	v_lshl_add_u32 v11, v11, 23, 0x3c000000
	v_and_b32_e32 v13, 0x80000000, v13
	v_or3_b32 v5, v5, v13, v11
	v_mov_b32_e32 v22, v6
	v_mov_b32_e32 v21, v5
.LBB195_568:                            ;   in Loop: Header=BB195_478 Depth=1
	s_or_b32 exec_lo, exec_lo, s16
.LBB195_569:                            ;   in Loop: Header=BB195_478 Depth=1
	s_or_b32 exec_lo, exec_lo, s15
.LBB195_570:                            ;   in Loop: Header=BB195_478 Depth=1
	s_or_b32 exec_lo, exec_lo, s14
	s_mov_b32 s14, exec_lo
	v_cmpx_lt_u32_e32 0xffffff, v61
	s_cbranch_execz .LBB195_578
; %bb.571:                              ;   in Loop: Header=BB195_478 Depth=1
	v_mov_b32_e32 v11, v6
	v_mov_b32_e32 v24, v12
	v_cmp_ne_u32_sdwa s0, v61, v44 src0_sel:BYTE_3 src1_sel:DWORD
	v_mov_b32_e32 v23, v11
	s_and_saveexec_b32 s15, s0
	s_cbranch_execz .LBB195_577
; %bb.572:                              ;   in Loop: Header=BB195_478 Depth=1
	v_mov_b32_e32 v13, v6
	v_mov_b32_e32 v24, v14
	v_bfe_u32 v62, v61, 24, 7
	s_mov_b32 s16, exec_lo
	v_mov_b32_e32 v23, v13
	v_cmpx_ne_u32_e32 0x7f, v62
	s_cbranch_execz .LBB195_576
; %bb.573:                              ;   in Loop: Header=BB195_478 Depth=1
	v_and_b32_sdwa v5, v61, v47 dst_sel:DWORD dst_unused:UNUSED_PAD src0_sel:BYTE_3 src1_sel:DWORD
	v_lshrrev_b32_e32 v11, 3, v62
	s_mov_b32 s17, exec_lo
	v_cmpx_gt_u32_e32 8, v62
; %bb.574:                              ;   in Loop: Header=BB195_478 Depth=1
	v_ffbh_u32_e32 v11, v5
	v_min_u32_e32 v11, 32, v11
	v_subrev_nc_u32_e32 v13, 28, v11
	v_sub_nc_u32_e32 v11, 29, v11
	v_lshlrev_b64 v[23:24], v13, v[5:6]
	v_and_b32_e32 v5, 7, v23
; %bb.575:                              ;   in Loop: Header=BB195_478 Depth=1
	s_or_b32 exec_lo, exec_lo, s17
	v_lshlrev_b32_sdwa v13, v48, v61 dst_sel:DWORD dst_unused:UNUSED_PAD src0_sel:DWORD src1_sel:BYTE_3
	v_lshlrev_b32_e32 v5, 20, v5
	v_lshl_add_u32 v11, v11, 23, 0x3c000000
	v_mov_b32_e32 v23, v6
	v_and_b32_e32 v13, 0x80000000, v13
	v_or3_b32 v24, v5, v13, v11
.LBB195_576:                            ;   in Loop: Header=BB195_478 Depth=1
	s_or_b32 exec_lo, exec_lo, s16
.LBB195_577:                            ;   in Loop: Header=BB195_478 Depth=1
	s_or_b32 exec_lo, exec_lo, s15
.LBB195_578:                            ;   in Loop: Header=BB195_478 Depth=1
	s_or_b32 exec_lo, exec_lo, s14
	v_or_b32_e32 v5, v20, v18
	v_or_b32_e32 v11, v19, v17
	;; [unrolled: 1-line block ×4, first 2 shown]
	v_mul_f32_e32 v63, s13, v5
	v_mul_f32_e32 v64, s2, v11
	;; [unrolled: 1-line block ×4, first 2 shown]
	s_and_saveexec_b32 s14, vcc_lo
	s_cbranch_execz .LBB195_580
; %bb.579:                              ;   in Loop: Header=BB195_478 Depth=1
	v_cmp_gt_i32_e64 s0, s11, v54
	v_cndmask_b32_e64 v64, 0, v64, s0
	v_cmp_gt_i32_e64 s0, s11, v56
	v_cndmask_b32_e64 v63, 0, v63, s0
	;; [unrolled: 2-line block ×4, first 2 shown]
.LBB195_580:                            ;   in Loop: Header=BB195_478 Depth=1
	s_or_b32 exec_lo, exec_lo, s14
	global_load_dword v65, v[15:16], off offset:384
	v_mov_b32_e32 v19, 0
	v_mov_b32_e32 v17, 0
	;; [unrolled: 1-line block ×4, first 2 shown]
	s_waitcnt vmcnt(0)
	v_cmp_ne_u16_sdwa s0, v65, v6 src0_sel:BYTE_0 src1_sel:DWORD
	s_and_saveexec_b32 s14, s0
	s_cbranch_execz .LBB195_588
; %bb.581:                              ;   in Loop: Header=BB195_478 Depth=1
	v_bfrev_b32_e32 v17, 1
	v_mov_b32_e32 v18, 0
	v_cmp_ne_u16_sdwa s0, v65, v44 src0_sel:BYTE_0 src1_sel:DWORD
	s_and_saveexec_b32 s15, s0
	s_cbranch_execz .LBB195_587
; %bb.582:                              ;   in Loop: Header=BB195_478 Depth=1
	v_mov_b32_e32 v17, 0x7f800001
	v_and_b32_e32 v13, 0x7f, v65
	v_mov_b32_e32 v18, 0
	s_mov_b32 s16, exec_lo
	v_cmpx_ne_u32_e32 0x7f, v13
	s_cbranch_execz .LBB195_586
; %bb.583:                              ;   in Loop: Header=BB195_478 Depth=1
	v_and_b32_e32 v5, 7, v65
	v_lshrrev_b32_e32 v11, 3, v13
	s_mov_b32 s17, exec_lo
	v_cmpx_gt_u32_e32 8, v13
; %bb.584:                              ;   in Loop: Header=BB195_478 Depth=1
	v_ffbh_u32_e32 v11, v5
	v_min_u32_e32 v11, 32, v11
	v_subrev_nc_u32_e32 v13, 28, v11
	v_sub_nc_u32_e32 v11, 29, v11
	v_lshlrev_b64 v[17:18], v13, v[5:6]
	v_and_b32_e32 v5, 7, v17
; %bb.585:                              ;   in Loop: Header=BB195_478 Depth=1
	s_or_b32 exec_lo, exec_lo, s17
	v_lshlrev_b32_e32 v13, 24, v65
	v_lshlrev_b32_e32 v5, 20, v5
	v_lshl_add_u32 v11, v11, 23, 0x3c000000
	v_and_b32_e32 v13, 0x80000000, v13
	v_or3_b32 v5, v5, v13, v11
	v_mov_b32_e32 v18, v6
	v_mov_b32_e32 v17, v5
.LBB195_586:                            ;   in Loop: Header=BB195_478 Depth=1
	s_or_b32 exec_lo, exec_lo, s16
.LBB195_587:                            ;   in Loop: Header=BB195_478 Depth=1
	s_or_b32 exec_lo, exec_lo, s15
.LBB195_588:                            ;   in Loop: Header=BB195_478 Depth=1
	s_or_b32 exec_lo, exec_lo, s14
	v_cmp_ne_u16_sdwa s0, v65, v6 src0_sel:BYTE_1 src1_sel:DWORD
	s_and_saveexec_b32 s14, s0
	s_cbranch_execz .LBB195_596
; %bb.589:                              ;   in Loop: Header=BB195_478 Depth=1
	v_mov_b32_e32 v11, v6
	v_mov_b32_e32 v20, v12
	v_cmp_ne_u16_sdwa s0, v65, v44 src0_sel:BYTE_1 src1_sel:DWORD
	v_mov_b32_e32 v19, v11
	s_and_saveexec_b32 s15, s0
	s_cbranch_execz .LBB195_595
; %bb.590:                              ;   in Loop: Header=BB195_478 Depth=1
	v_and_b32_sdwa v5, v45, v65 dst_sel:DWORD dst_unused:UNUSED_PAD src0_sel:DWORD src1_sel:BYTE_1
	v_mov_b32_e32 v13, v6
	v_mov_b32_e32 v20, v14
	s_mov_b32 s16, exec_lo
	v_and_b32_e32 v21, 0x7f, v5
	v_mov_b32_e32 v19, v13
	v_cmpx_ne_u32_e32 0x7f, v21
	s_cbranch_execz .LBB195_594
; %bb.591:                              ;   in Loop: Header=BB195_478 Depth=1
	v_and_b32_e32 v5, 7, v5
	v_lshrrev_b32_e32 v11, 3, v21
	s_mov_b32 s17, exec_lo
	v_cmpx_gt_u32_e32 8, v21
; %bb.592:                              ;   in Loop: Header=BB195_478 Depth=1
	v_ffbh_u32_e32 v11, v5
	v_min_u32_e32 v11, 32, v11
	v_subrev_nc_u32_e32 v13, 28, v11
	v_sub_nc_u32_e32 v11, 29, v11
	v_lshlrev_b64 v[19:20], v13, v[5:6]
	v_and_b32_e32 v5, 7, v19
; %bb.593:                              ;   in Loop: Header=BB195_478 Depth=1
	s_or_b32 exec_lo, exec_lo, s17
	v_lshlrev_b32_e32 v13, 16, v65
	v_lshlrev_b32_e32 v5, 20, v5
	v_lshl_add_u32 v11, v11, 23, 0x3c000000
	v_mov_b32_e32 v19, v6
	v_and_b32_e32 v13, 0x80000000, v13
	v_or3_b32 v20, v5, v13, v11
.LBB195_594:                            ;   in Loop: Header=BB195_478 Depth=1
	s_or_b32 exec_lo, exec_lo, s16
.LBB195_595:                            ;   in Loop: Header=BB195_478 Depth=1
	s_or_b32 exec_lo, exec_lo, s15
.LBB195_596:                            ;   in Loop: Header=BB195_478 Depth=1
	s_or_b32 exec_lo, exec_lo, s14
	v_mov_b32_e32 v23, 0
	v_mov_b32_e32 v21, 0
	v_and_b32_sdwa v5, v65, v46 dst_sel:DWORD dst_unused:UNUSED_PAD src0_sel:WORD_1 src1_sel:DWORD
	v_mov_b32_e32 v24, 0
	v_mov_b32_e32 v22, 0
	s_mov_b32 s14, exec_lo
	v_cmpx_ne_u16_e32 0, v5
	s_cbranch_execz .LBB195_604
; %bb.597:                              ;   in Loop: Header=BB195_478 Depth=1
	v_bfrev_b32_e32 v21, 1
	v_mov_b32_e32 v22, 0
	s_mov_b32 s15, exec_lo
	v_cmpx_ne_u16_e32 0x80, v5
	s_cbranch_execz .LBB195_603
; %bb.598:                              ;   in Loop: Header=BB195_478 Depth=1
	v_mov_b32_e32 v21, 0x7f800001
	v_bfe_u32 v13, v65, 16, 7
	v_mov_b32_e32 v22, 0
	s_mov_b32 s16, exec_lo
	v_cmpx_ne_u32_e32 0x7f, v13
	s_cbranch_execz .LBB195_602
; %bb.599:                              ;   in Loop: Header=BB195_478 Depth=1
	v_and_b32_sdwa v5, v65, v47 dst_sel:DWORD dst_unused:UNUSED_PAD src0_sel:WORD_1 src1_sel:DWORD
	v_lshrrev_b32_e32 v11, 3, v13
	s_mov_b32 s17, exec_lo
	v_cmpx_gt_u32_e32 8, v13
; %bb.600:                              ;   in Loop: Header=BB195_478 Depth=1
	v_ffbh_u32_e32 v11, v5
	v_min_u32_e32 v11, 32, v11
	v_subrev_nc_u32_e32 v13, 28, v11
	v_sub_nc_u32_e32 v11, 29, v11
	v_lshlrev_b64 v[21:22], v13, v[5:6]
	v_and_b32_e32 v5, 7, v21
; %bb.601:                              ;   in Loop: Header=BB195_478 Depth=1
	s_or_b32 exec_lo, exec_lo, s17
	v_lshlrev_b32_sdwa v13, v48, v65 dst_sel:DWORD dst_unused:UNUSED_PAD src0_sel:DWORD src1_sel:WORD_1
	v_lshlrev_b32_e32 v5, 20, v5
	v_lshl_add_u32 v11, v11, 23, 0x3c000000
	v_and_b32_e32 v13, 0x80000000, v13
	v_or3_b32 v5, v5, v13, v11
	v_mov_b32_e32 v22, v6
	v_mov_b32_e32 v21, v5
.LBB195_602:                            ;   in Loop: Header=BB195_478 Depth=1
	s_or_b32 exec_lo, exec_lo, s16
.LBB195_603:                            ;   in Loop: Header=BB195_478 Depth=1
	s_or_b32 exec_lo, exec_lo, s15
.LBB195_604:                            ;   in Loop: Header=BB195_478 Depth=1
	s_or_b32 exec_lo, exec_lo, s14
	s_mov_b32 s14, exec_lo
	v_cmpx_lt_u32_e32 0xffffff, v65
	s_cbranch_execz .LBB195_612
; %bb.605:                              ;   in Loop: Header=BB195_478 Depth=1
	v_mov_b32_e32 v11, v6
	v_mov_b32_e32 v24, v12
	v_cmp_ne_u32_sdwa s0, v65, v44 src0_sel:BYTE_3 src1_sel:DWORD
	v_mov_b32_e32 v23, v11
	s_and_saveexec_b32 s15, s0
	s_cbranch_execz .LBB195_611
; %bb.606:                              ;   in Loop: Header=BB195_478 Depth=1
	v_mov_b32_e32 v13, v6
	v_mov_b32_e32 v24, v14
	v_bfe_u32 v66, v65, 24, 7
	s_mov_b32 s16, exec_lo
	v_mov_b32_e32 v23, v13
	v_cmpx_ne_u32_e32 0x7f, v66
	s_cbranch_execz .LBB195_610
; %bb.607:                              ;   in Loop: Header=BB195_478 Depth=1
	v_and_b32_sdwa v5, v65, v47 dst_sel:DWORD dst_unused:UNUSED_PAD src0_sel:BYTE_3 src1_sel:DWORD
	v_lshrrev_b32_e32 v11, 3, v66
	s_mov_b32 s17, exec_lo
	v_cmpx_gt_u32_e32 8, v66
; %bb.608:                              ;   in Loop: Header=BB195_478 Depth=1
	v_ffbh_u32_e32 v11, v5
	v_min_u32_e32 v11, 32, v11
	v_subrev_nc_u32_e32 v13, 28, v11
	v_sub_nc_u32_e32 v11, 29, v11
	v_lshlrev_b64 v[23:24], v13, v[5:6]
	v_and_b32_e32 v5, 7, v23
; %bb.609:                              ;   in Loop: Header=BB195_478 Depth=1
	s_or_b32 exec_lo, exec_lo, s17
	v_lshlrev_b32_sdwa v13, v48, v65 dst_sel:DWORD dst_unused:UNUSED_PAD src0_sel:DWORD src1_sel:BYTE_3
	v_lshlrev_b32_e32 v5, 20, v5
	v_lshl_add_u32 v11, v11, 23, 0x3c000000
	v_mov_b32_e32 v23, v6
	v_and_b32_e32 v13, 0x80000000, v13
	v_or3_b32 v24, v5, v13, v11
.LBB195_610:                            ;   in Loop: Header=BB195_478 Depth=1
	s_or_b32 exec_lo, exec_lo, s16
.LBB195_611:                            ;   in Loop: Header=BB195_478 Depth=1
	s_or_b32 exec_lo, exec_lo, s15
.LBB195_612:                            ;   in Loop: Header=BB195_478 Depth=1
	s_or_b32 exec_lo, exec_lo, s14
	v_or_b32_e32 v5, v20, v18
	v_or_b32_e32 v11, v19, v17
	;; [unrolled: 1-line block ×4, first 2 shown]
	v_mul_f32_e32 v67, s13, v5
	v_mul_f32_e32 v68, s2, v11
	;; [unrolled: 1-line block ×4, first 2 shown]
	s_and_saveexec_b32 s14, vcc_lo
	s_cbranch_execz .LBB195_614
; %bb.613:                              ;   in Loop: Header=BB195_478 Depth=1
	v_cmp_gt_i32_e64 s0, s11, v54
	v_cndmask_b32_e64 v68, 0, v68, s0
	v_cmp_gt_i32_e64 s0, s11, v56
	v_cndmask_b32_e64 v67, 0, v67, s0
	;; [unrolled: 2-line block ×4, first 2 shown]
.LBB195_614:                            ;   in Loop: Header=BB195_478 Depth=1
	s_or_b32 exec_lo, exec_lo, s14
	global_load_dword v69, v[15:16], off offset:512
	v_mov_b32_e32 v19, 0
	v_mov_b32_e32 v17, 0
	v_mov_b32_e32 v20, 0
	v_mov_b32_e32 v18, 0
	s_waitcnt vmcnt(0)
	v_cmp_ne_u16_sdwa s0, v69, v6 src0_sel:BYTE_0 src1_sel:DWORD
	s_and_saveexec_b32 s14, s0
	s_cbranch_execz .LBB195_622
; %bb.615:                              ;   in Loop: Header=BB195_478 Depth=1
	v_bfrev_b32_e32 v17, 1
	v_mov_b32_e32 v18, 0
	v_cmp_ne_u16_sdwa s0, v69, v44 src0_sel:BYTE_0 src1_sel:DWORD
	s_and_saveexec_b32 s15, s0
	s_cbranch_execz .LBB195_621
; %bb.616:                              ;   in Loop: Header=BB195_478 Depth=1
	v_mov_b32_e32 v17, 0x7f800001
	v_and_b32_e32 v13, 0x7f, v69
	v_mov_b32_e32 v18, 0
	s_mov_b32 s16, exec_lo
	v_cmpx_ne_u32_e32 0x7f, v13
	s_cbranch_execz .LBB195_620
; %bb.617:                              ;   in Loop: Header=BB195_478 Depth=1
	v_and_b32_e32 v5, 7, v69
	v_lshrrev_b32_e32 v11, 3, v13
	s_mov_b32 s17, exec_lo
	v_cmpx_gt_u32_e32 8, v13
; %bb.618:                              ;   in Loop: Header=BB195_478 Depth=1
	v_ffbh_u32_e32 v11, v5
	v_min_u32_e32 v11, 32, v11
	v_subrev_nc_u32_e32 v13, 28, v11
	v_sub_nc_u32_e32 v11, 29, v11
	v_lshlrev_b64 v[17:18], v13, v[5:6]
	v_and_b32_e32 v5, 7, v17
; %bb.619:                              ;   in Loop: Header=BB195_478 Depth=1
	s_or_b32 exec_lo, exec_lo, s17
	v_lshlrev_b32_e32 v13, 24, v69
	v_lshlrev_b32_e32 v5, 20, v5
	v_lshl_add_u32 v11, v11, 23, 0x3c000000
	v_and_b32_e32 v13, 0x80000000, v13
	v_or3_b32 v5, v5, v13, v11
	v_mov_b32_e32 v18, v6
	v_mov_b32_e32 v17, v5
.LBB195_620:                            ;   in Loop: Header=BB195_478 Depth=1
	s_or_b32 exec_lo, exec_lo, s16
.LBB195_621:                            ;   in Loop: Header=BB195_478 Depth=1
	s_or_b32 exec_lo, exec_lo, s15
.LBB195_622:                            ;   in Loop: Header=BB195_478 Depth=1
	s_or_b32 exec_lo, exec_lo, s14
	v_cmp_ne_u16_sdwa s0, v69, v6 src0_sel:BYTE_1 src1_sel:DWORD
	s_and_saveexec_b32 s14, s0
	s_cbranch_execz .LBB195_630
; %bb.623:                              ;   in Loop: Header=BB195_478 Depth=1
	v_mov_b32_e32 v11, v6
	v_mov_b32_e32 v20, v12
	v_cmp_ne_u16_sdwa s0, v69, v44 src0_sel:BYTE_1 src1_sel:DWORD
	v_mov_b32_e32 v19, v11
	s_and_saveexec_b32 s15, s0
	s_cbranch_execz .LBB195_629
; %bb.624:                              ;   in Loop: Header=BB195_478 Depth=1
	v_and_b32_sdwa v5, v45, v69 dst_sel:DWORD dst_unused:UNUSED_PAD src0_sel:DWORD src1_sel:BYTE_1
	v_mov_b32_e32 v13, v6
	v_mov_b32_e32 v20, v14
	s_mov_b32 s16, exec_lo
	v_and_b32_e32 v21, 0x7f, v5
	v_mov_b32_e32 v19, v13
	v_cmpx_ne_u32_e32 0x7f, v21
	s_cbranch_execz .LBB195_628
; %bb.625:                              ;   in Loop: Header=BB195_478 Depth=1
	v_and_b32_e32 v5, 7, v5
	v_lshrrev_b32_e32 v11, 3, v21
	s_mov_b32 s17, exec_lo
	v_cmpx_gt_u32_e32 8, v21
; %bb.626:                              ;   in Loop: Header=BB195_478 Depth=1
	v_ffbh_u32_e32 v11, v5
	v_min_u32_e32 v11, 32, v11
	v_subrev_nc_u32_e32 v13, 28, v11
	v_sub_nc_u32_e32 v11, 29, v11
	v_lshlrev_b64 v[19:20], v13, v[5:6]
	v_and_b32_e32 v5, 7, v19
; %bb.627:                              ;   in Loop: Header=BB195_478 Depth=1
	s_or_b32 exec_lo, exec_lo, s17
	v_lshlrev_b32_e32 v13, 16, v69
	v_lshlrev_b32_e32 v5, 20, v5
	v_lshl_add_u32 v11, v11, 23, 0x3c000000
	v_mov_b32_e32 v19, v6
	v_and_b32_e32 v13, 0x80000000, v13
	v_or3_b32 v20, v5, v13, v11
.LBB195_628:                            ;   in Loop: Header=BB195_478 Depth=1
	s_or_b32 exec_lo, exec_lo, s16
.LBB195_629:                            ;   in Loop: Header=BB195_478 Depth=1
	s_or_b32 exec_lo, exec_lo, s15
.LBB195_630:                            ;   in Loop: Header=BB195_478 Depth=1
	s_or_b32 exec_lo, exec_lo, s14
	v_mov_b32_e32 v23, 0
	v_mov_b32_e32 v21, 0
	v_and_b32_sdwa v5, v69, v46 dst_sel:DWORD dst_unused:UNUSED_PAD src0_sel:WORD_1 src1_sel:DWORD
	v_mov_b32_e32 v24, 0
	v_mov_b32_e32 v22, 0
	s_mov_b32 s14, exec_lo
	v_cmpx_ne_u16_e32 0, v5
	s_cbranch_execz .LBB195_638
; %bb.631:                              ;   in Loop: Header=BB195_478 Depth=1
	v_bfrev_b32_e32 v21, 1
	v_mov_b32_e32 v22, 0
	s_mov_b32 s15, exec_lo
	v_cmpx_ne_u16_e32 0x80, v5
	s_cbranch_execz .LBB195_637
; %bb.632:                              ;   in Loop: Header=BB195_478 Depth=1
	v_mov_b32_e32 v21, 0x7f800001
	v_bfe_u32 v13, v69, 16, 7
	v_mov_b32_e32 v22, 0
	s_mov_b32 s16, exec_lo
	v_cmpx_ne_u32_e32 0x7f, v13
	s_cbranch_execz .LBB195_636
; %bb.633:                              ;   in Loop: Header=BB195_478 Depth=1
	v_and_b32_sdwa v5, v69, v47 dst_sel:DWORD dst_unused:UNUSED_PAD src0_sel:WORD_1 src1_sel:DWORD
	v_lshrrev_b32_e32 v11, 3, v13
	s_mov_b32 s17, exec_lo
	v_cmpx_gt_u32_e32 8, v13
; %bb.634:                              ;   in Loop: Header=BB195_478 Depth=1
	v_ffbh_u32_e32 v11, v5
	v_min_u32_e32 v11, 32, v11
	v_subrev_nc_u32_e32 v13, 28, v11
	v_sub_nc_u32_e32 v11, 29, v11
	v_lshlrev_b64 v[21:22], v13, v[5:6]
	v_and_b32_e32 v5, 7, v21
; %bb.635:                              ;   in Loop: Header=BB195_478 Depth=1
	s_or_b32 exec_lo, exec_lo, s17
	v_lshlrev_b32_sdwa v13, v48, v69 dst_sel:DWORD dst_unused:UNUSED_PAD src0_sel:DWORD src1_sel:WORD_1
	v_lshlrev_b32_e32 v5, 20, v5
	v_lshl_add_u32 v11, v11, 23, 0x3c000000
	v_and_b32_e32 v13, 0x80000000, v13
	v_or3_b32 v5, v5, v13, v11
	v_mov_b32_e32 v22, v6
	v_mov_b32_e32 v21, v5
.LBB195_636:                            ;   in Loop: Header=BB195_478 Depth=1
	s_or_b32 exec_lo, exec_lo, s16
.LBB195_637:                            ;   in Loop: Header=BB195_478 Depth=1
	s_or_b32 exec_lo, exec_lo, s15
.LBB195_638:                            ;   in Loop: Header=BB195_478 Depth=1
	s_or_b32 exec_lo, exec_lo, s14
	s_mov_b32 s14, exec_lo
	v_cmpx_lt_u32_e32 0xffffff, v69
	s_cbranch_execz .LBB195_646
; %bb.639:                              ;   in Loop: Header=BB195_478 Depth=1
	v_mov_b32_e32 v11, v6
	v_mov_b32_e32 v24, v12
	v_cmp_ne_u32_sdwa s0, v69, v44 src0_sel:BYTE_3 src1_sel:DWORD
	v_mov_b32_e32 v23, v11
	s_and_saveexec_b32 s15, s0
	s_cbranch_execz .LBB195_645
; %bb.640:                              ;   in Loop: Header=BB195_478 Depth=1
	v_mov_b32_e32 v13, v6
	v_mov_b32_e32 v24, v14
	v_bfe_u32 v70, v69, 24, 7
	s_mov_b32 s16, exec_lo
	v_mov_b32_e32 v23, v13
	v_cmpx_ne_u32_e32 0x7f, v70
	s_cbranch_execz .LBB195_644
; %bb.641:                              ;   in Loop: Header=BB195_478 Depth=1
	v_and_b32_sdwa v5, v69, v47 dst_sel:DWORD dst_unused:UNUSED_PAD src0_sel:BYTE_3 src1_sel:DWORD
	v_lshrrev_b32_e32 v11, 3, v70
	s_mov_b32 s17, exec_lo
	v_cmpx_gt_u32_e32 8, v70
; %bb.642:                              ;   in Loop: Header=BB195_478 Depth=1
	v_ffbh_u32_e32 v11, v5
	v_min_u32_e32 v11, 32, v11
	v_subrev_nc_u32_e32 v13, 28, v11
	v_sub_nc_u32_e32 v11, 29, v11
	v_lshlrev_b64 v[23:24], v13, v[5:6]
	v_and_b32_e32 v5, 7, v23
; %bb.643:                              ;   in Loop: Header=BB195_478 Depth=1
	s_or_b32 exec_lo, exec_lo, s17
	v_lshlrev_b32_sdwa v13, v48, v69 dst_sel:DWORD dst_unused:UNUSED_PAD src0_sel:DWORD src1_sel:BYTE_3
	v_lshlrev_b32_e32 v5, 20, v5
	v_lshl_add_u32 v11, v11, 23, 0x3c000000
	v_mov_b32_e32 v23, v6
	v_and_b32_e32 v13, 0x80000000, v13
	v_or3_b32 v24, v5, v13, v11
.LBB195_644:                            ;   in Loop: Header=BB195_478 Depth=1
	s_or_b32 exec_lo, exec_lo, s16
.LBB195_645:                            ;   in Loop: Header=BB195_478 Depth=1
	s_or_b32 exec_lo, exec_lo, s15
.LBB195_646:                            ;   in Loop: Header=BB195_478 Depth=1
	s_or_b32 exec_lo, exec_lo, s14
	v_or_b32_e32 v5, v20, v18
	v_or_b32_e32 v11, v19, v17
	;; [unrolled: 1-line block ×4, first 2 shown]
	v_mul_f32_e32 v71, s13, v5
	v_mul_f32_e32 v72, s2, v11
	;; [unrolled: 1-line block ×4, first 2 shown]
	s_and_saveexec_b32 s14, vcc_lo
	s_cbranch_execz .LBB195_648
; %bb.647:                              ;   in Loop: Header=BB195_478 Depth=1
	v_cmp_gt_i32_e64 s0, s11, v54
	v_cndmask_b32_e64 v72, 0, v72, s0
	v_cmp_gt_i32_e64 s0, s11, v56
	v_cndmask_b32_e64 v71, 0, v71, s0
	;; [unrolled: 2-line block ×4, first 2 shown]
.LBB195_648:                            ;   in Loop: Header=BB195_478 Depth=1
	s_or_b32 exec_lo, exec_lo, s14
	global_load_dword v73, v[15:16], off offset:640
	v_mov_b32_e32 v19, 0
	v_mov_b32_e32 v17, 0
	;; [unrolled: 1-line block ×4, first 2 shown]
	s_waitcnt vmcnt(0)
	v_cmp_ne_u16_sdwa s0, v73, v6 src0_sel:BYTE_0 src1_sel:DWORD
	s_and_saveexec_b32 s14, s0
	s_cbranch_execz .LBB195_656
; %bb.649:                              ;   in Loop: Header=BB195_478 Depth=1
	v_bfrev_b32_e32 v17, 1
	v_mov_b32_e32 v18, 0
	v_cmp_ne_u16_sdwa s0, v73, v44 src0_sel:BYTE_0 src1_sel:DWORD
	s_and_saveexec_b32 s15, s0
	s_cbranch_execz .LBB195_655
; %bb.650:                              ;   in Loop: Header=BB195_478 Depth=1
	v_mov_b32_e32 v17, 0x7f800001
	v_and_b32_e32 v13, 0x7f, v73
	v_mov_b32_e32 v18, 0
	s_mov_b32 s16, exec_lo
	v_cmpx_ne_u32_e32 0x7f, v13
	s_cbranch_execz .LBB195_654
; %bb.651:                              ;   in Loop: Header=BB195_478 Depth=1
	v_and_b32_e32 v5, 7, v73
	v_lshrrev_b32_e32 v11, 3, v13
	s_mov_b32 s17, exec_lo
	v_cmpx_gt_u32_e32 8, v13
; %bb.652:                              ;   in Loop: Header=BB195_478 Depth=1
	v_ffbh_u32_e32 v11, v5
	v_min_u32_e32 v11, 32, v11
	v_subrev_nc_u32_e32 v13, 28, v11
	v_sub_nc_u32_e32 v11, 29, v11
	v_lshlrev_b64 v[17:18], v13, v[5:6]
	v_and_b32_e32 v5, 7, v17
; %bb.653:                              ;   in Loop: Header=BB195_478 Depth=1
	s_or_b32 exec_lo, exec_lo, s17
	v_lshlrev_b32_e32 v13, 24, v73
	v_lshlrev_b32_e32 v5, 20, v5
	v_lshl_add_u32 v11, v11, 23, 0x3c000000
	v_and_b32_e32 v13, 0x80000000, v13
	v_or3_b32 v5, v5, v13, v11
	v_mov_b32_e32 v18, v6
	v_mov_b32_e32 v17, v5
.LBB195_654:                            ;   in Loop: Header=BB195_478 Depth=1
	s_or_b32 exec_lo, exec_lo, s16
.LBB195_655:                            ;   in Loop: Header=BB195_478 Depth=1
	s_or_b32 exec_lo, exec_lo, s15
.LBB195_656:                            ;   in Loop: Header=BB195_478 Depth=1
	s_or_b32 exec_lo, exec_lo, s14
	v_cmp_ne_u16_sdwa s0, v73, v6 src0_sel:BYTE_1 src1_sel:DWORD
	s_and_saveexec_b32 s14, s0
	s_cbranch_execz .LBB195_664
; %bb.657:                              ;   in Loop: Header=BB195_478 Depth=1
	v_mov_b32_e32 v11, v6
	v_mov_b32_e32 v20, v12
	v_cmp_ne_u16_sdwa s0, v73, v44 src0_sel:BYTE_1 src1_sel:DWORD
	v_mov_b32_e32 v19, v11
	s_and_saveexec_b32 s15, s0
	s_cbranch_execz .LBB195_663
; %bb.658:                              ;   in Loop: Header=BB195_478 Depth=1
	v_and_b32_sdwa v5, v45, v73 dst_sel:DWORD dst_unused:UNUSED_PAD src0_sel:DWORD src1_sel:BYTE_1
	v_mov_b32_e32 v13, v6
	v_mov_b32_e32 v20, v14
	s_mov_b32 s16, exec_lo
	v_and_b32_e32 v21, 0x7f, v5
	v_mov_b32_e32 v19, v13
	v_cmpx_ne_u32_e32 0x7f, v21
	s_cbranch_execz .LBB195_662
; %bb.659:                              ;   in Loop: Header=BB195_478 Depth=1
	v_and_b32_e32 v5, 7, v5
	v_lshrrev_b32_e32 v11, 3, v21
	s_mov_b32 s17, exec_lo
	v_cmpx_gt_u32_e32 8, v21
; %bb.660:                              ;   in Loop: Header=BB195_478 Depth=1
	v_ffbh_u32_e32 v11, v5
	v_min_u32_e32 v11, 32, v11
	v_subrev_nc_u32_e32 v13, 28, v11
	v_sub_nc_u32_e32 v11, 29, v11
	v_lshlrev_b64 v[19:20], v13, v[5:6]
	v_and_b32_e32 v5, 7, v19
; %bb.661:                              ;   in Loop: Header=BB195_478 Depth=1
	s_or_b32 exec_lo, exec_lo, s17
	v_lshlrev_b32_e32 v13, 16, v73
	v_lshlrev_b32_e32 v5, 20, v5
	v_lshl_add_u32 v11, v11, 23, 0x3c000000
	v_mov_b32_e32 v19, v6
	v_and_b32_e32 v13, 0x80000000, v13
	v_or3_b32 v20, v5, v13, v11
.LBB195_662:                            ;   in Loop: Header=BB195_478 Depth=1
	s_or_b32 exec_lo, exec_lo, s16
.LBB195_663:                            ;   in Loop: Header=BB195_478 Depth=1
	s_or_b32 exec_lo, exec_lo, s15
.LBB195_664:                            ;   in Loop: Header=BB195_478 Depth=1
	s_or_b32 exec_lo, exec_lo, s14
	v_mov_b32_e32 v23, 0
	v_mov_b32_e32 v21, 0
	v_and_b32_sdwa v5, v73, v46 dst_sel:DWORD dst_unused:UNUSED_PAD src0_sel:WORD_1 src1_sel:DWORD
	v_mov_b32_e32 v24, 0
	v_mov_b32_e32 v22, 0
	s_mov_b32 s14, exec_lo
	v_cmpx_ne_u16_e32 0, v5
	s_cbranch_execz .LBB195_672
; %bb.665:                              ;   in Loop: Header=BB195_478 Depth=1
	v_bfrev_b32_e32 v21, 1
	v_mov_b32_e32 v22, 0
	s_mov_b32 s15, exec_lo
	v_cmpx_ne_u16_e32 0x80, v5
	s_cbranch_execz .LBB195_671
; %bb.666:                              ;   in Loop: Header=BB195_478 Depth=1
	v_mov_b32_e32 v21, 0x7f800001
	v_bfe_u32 v13, v73, 16, 7
	v_mov_b32_e32 v22, 0
	s_mov_b32 s16, exec_lo
	v_cmpx_ne_u32_e32 0x7f, v13
	s_cbranch_execz .LBB195_670
; %bb.667:                              ;   in Loop: Header=BB195_478 Depth=1
	v_and_b32_sdwa v5, v73, v47 dst_sel:DWORD dst_unused:UNUSED_PAD src0_sel:WORD_1 src1_sel:DWORD
	v_lshrrev_b32_e32 v11, 3, v13
	s_mov_b32 s17, exec_lo
	v_cmpx_gt_u32_e32 8, v13
; %bb.668:                              ;   in Loop: Header=BB195_478 Depth=1
	v_ffbh_u32_e32 v11, v5
	v_min_u32_e32 v11, 32, v11
	v_subrev_nc_u32_e32 v13, 28, v11
	v_sub_nc_u32_e32 v11, 29, v11
	v_lshlrev_b64 v[21:22], v13, v[5:6]
	v_and_b32_e32 v5, 7, v21
; %bb.669:                              ;   in Loop: Header=BB195_478 Depth=1
	s_or_b32 exec_lo, exec_lo, s17
	v_lshlrev_b32_sdwa v13, v48, v73 dst_sel:DWORD dst_unused:UNUSED_PAD src0_sel:DWORD src1_sel:WORD_1
	v_lshlrev_b32_e32 v5, 20, v5
	v_lshl_add_u32 v11, v11, 23, 0x3c000000
	v_and_b32_e32 v13, 0x80000000, v13
	v_or3_b32 v5, v5, v13, v11
	v_mov_b32_e32 v22, v6
	v_mov_b32_e32 v21, v5
.LBB195_670:                            ;   in Loop: Header=BB195_478 Depth=1
	s_or_b32 exec_lo, exec_lo, s16
.LBB195_671:                            ;   in Loop: Header=BB195_478 Depth=1
	s_or_b32 exec_lo, exec_lo, s15
.LBB195_672:                            ;   in Loop: Header=BB195_478 Depth=1
	s_or_b32 exec_lo, exec_lo, s14
	s_mov_b32 s14, exec_lo
	v_cmpx_lt_u32_e32 0xffffff, v73
	s_cbranch_execz .LBB195_680
; %bb.673:                              ;   in Loop: Header=BB195_478 Depth=1
	v_mov_b32_e32 v11, v6
	v_mov_b32_e32 v24, v12
	v_cmp_ne_u32_sdwa s0, v73, v44 src0_sel:BYTE_3 src1_sel:DWORD
	v_mov_b32_e32 v23, v11
	s_and_saveexec_b32 s15, s0
	s_cbranch_execz .LBB195_679
; %bb.674:                              ;   in Loop: Header=BB195_478 Depth=1
	v_mov_b32_e32 v13, v6
	v_mov_b32_e32 v24, v14
	v_bfe_u32 v74, v73, 24, 7
	s_mov_b32 s16, exec_lo
	v_mov_b32_e32 v23, v13
	v_cmpx_ne_u32_e32 0x7f, v74
	s_cbranch_execz .LBB195_678
; %bb.675:                              ;   in Loop: Header=BB195_478 Depth=1
	v_and_b32_sdwa v5, v73, v47 dst_sel:DWORD dst_unused:UNUSED_PAD src0_sel:BYTE_3 src1_sel:DWORD
	v_lshrrev_b32_e32 v11, 3, v74
	s_mov_b32 s17, exec_lo
	v_cmpx_gt_u32_e32 8, v74
; %bb.676:                              ;   in Loop: Header=BB195_478 Depth=1
	v_ffbh_u32_e32 v11, v5
	v_min_u32_e32 v11, 32, v11
	v_subrev_nc_u32_e32 v13, 28, v11
	v_sub_nc_u32_e32 v11, 29, v11
	v_lshlrev_b64 v[23:24], v13, v[5:6]
	v_and_b32_e32 v5, 7, v23
; %bb.677:                              ;   in Loop: Header=BB195_478 Depth=1
	s_or_b32 exec_lo, exec_lo, s17
	v_lshlrev_b32_sdwa v13, v48, v73 dst_sel:DWORD dst_unused:UNUSED_PAD src0_sel:DWORD src1_sel:BYTE_3
	v_lshlrev_b32_e32 v5, 20, v5
	v_lshl_add_u32 v11, v11, 23, 0x3c000000
	v_mov_b32_e32 v23, v6
	v_and_b32_e32 v13, 0x80000000, v13
	v_or3_b32 v24, v5, v13, v11
.LBB195_678:                            ;   in Loop: Header=BB195_478 Depth=1
	s_or_b32 exec_lo, exec_lo, s16
.LBB195_679:                            ;   in Loop: Header=BB195_478 Depth=1
	s_or_b32 exec_lo, exec_lo, s15
.LBB195_680:                            ;   in Loop: Header=BB195_478 Depth=1
	s_or_b32 exec_lo, exec_lo, s14
	v_or_b32_e32 v5, v20, v18
	v_or_b32_e32 v11, v19, v17
	;; [unrolled: 1-line block ×4, first 2 shown]
	v_mul_f32_e32 v75, s13, v5
	v_mul_f32_e32 v76, s2, v11
	v_mul_f32_e32 v74, s2, v13
	v_mul_f32_e32 v73, s13, v17
	s_and_saveexec_b32 s14, vcc_lo
	s_cbranch_execz .LBB195_682
; %bb.681:                              ;   in Loop: Header=BB195_478 Depth=1
	v_cmp_gt_i32_e64 s0, s11, v54
	v_cndmask_b32_e64 v76, 0, v76, s0
	v_cmp_gt_i32_e64 s0, s11, v56
	v_cndmask_b32_e64 v75, 0, v75, s0
	;; [unrolled: 2-line block ×4, first 2 shown]
.LBB195_682:                            ;   in Loop: Header=BB195_478 Depth=1
	s_or_b32 exec_lo, exec_lo, s14
	global_load_dword v77, v[15:16], off offset:768
	v_mov_b32_e32 v19, 0
	v_mov_b32_e32 v17, 0
	;; [unrolled: 1-line block ×4, first 2 shown]
	s_waitcnt vmcnt(0)
	v_cmp_ne_u16_sdwa s0, v77, v6 src0_sel:BYTE_0 src1_sel:DWORD
	s_and_saveexec_b32 s14, s0
	s_cbranch_execz .LBB195_690
; %bb.683:                              ;   in Loop: Header=BB195_478 Depth=1
	v_bfrev_b32_e32 v17, 1
	v_mov_b32_e32 v18, 0
	v_cmp_ne_u16_sdwa s0, v77, v44 src0_sel:BYTE_0 src1_sel:DWORD
	s_and_saveexec_b32 s15, s0
	s_cbranch_execz .LBB195_689
; %bb.684:                              ;   in Loop: Header=BB195_478 Depth=1
	v_mov_b32_e32 v17, 0x7f800001
	v_and_b32_e32 v13, 0x7f, v77
	v_mov_b32_e32 v18, 0
	s_mov_b32 s16, exec_lo
	v_cmpx_ne_u32_e32 0x7f, v13
	s_cbranch_execz .LBB195_688
; %bb.685:                              ;   in Loop: Header=BB195_478 Depth=1
	v_and_b32_e32 v5, 7, v77
	v_lshrrev_b32_e32 v11, 3, v13
	s_mov_b32 s17, exec_lo
	v_cmpx_gt_u32_e32 8, v13
; %bb.686:                              ;   in Loop: Header=BB195_478 Depth=1
	v_ffbh_u32_e32 v11, v5
	v_min_u32_e32 v11, 32, v11
	v_subrev_nc_u32_e32 v13, 28, v11
	v_sub_nc_u32_e32 v11, 29, v11
	v_lshlrev_b64 v[17:18], v13, v[5:6]
	v_and_b32_e32 v5, 7, v17
; %bb.687:                              ;   in Loop: Header=BB195_478 Depth=1
	s_or_b32 exec_lo, exec_lo, s17
	v_lshlrev_b32_e32 v13, 24, v77
	v_lshlrev_b32_e32 v5, 20, v5
	v_lshl_add_u32 v11, v11, 23, 0x3c000000
	v_and_b32_e32 v13, 0x80000000, v13
	v_or3_b32 v5, v5, v13, v11
	v_mov_b32_e32 v18, v6
	v_mov_b32_e32 v17, v5
.LBB195_688:                            ;   in Loop: Header=BB195_478 Depth=1
	s_or_b32 exec_lo, exec_lo, s16
.LBB195_689:                            ;   in Loop: Header=BB195_478 Depth=1
	s_or_b32 exec_lo, exec_lo, s15
.LBB195_690:                            ;   in Loop: Header=BB195_478 Depth=1
	s_or_b32 exec_lo, exec_lo, s14
	v_cmp_ne_u16_sdwa s0, v77, v6 src0_sel:BYTE_1 src1_sel:DWORD
	s_and_saveexec_b32 s14, s0
	s_cbranch_execz .LBB195_698
; %bb.691:                              ;   in Loop: Header=BB195_478 Depth=1
	v_mov_b32_e32 v11, v6
	v_mov_b32_e32 v20, v12
	v_cmp_ne_u16_sdwa s0, v77, v44 src0_sel:BYTE_1 src1_sel:DWORD
	v_mov_b32_e32 v19, v11
	s_and_saveexec_b32 s15, s0
	s_cbranch_execz .LBB195_697
; %bb.692:                              ;   in Loop: Header=BB195_478 Depth=1
	v_and_b32_sdwa v5, v45, v77 dst_sel:DWORD dst_unused:UNUSED_PAD src0_sel:DWORD src1_sel:BYTE_1
	v_mov_b32_e32 v13, v6
	v_mov_b32_e32 v20, v14
	s_mov_b32 s16, exec_lo
	v_and_b32_e32 v21, 0x7f, v5
	v_mov_b32_e32 v19, v13
	v_cmpx_ne_u32_e32 0x7f, v21
	s_cbranch_execz .LBB195_696
; %bb.693:                              ;   in Loop: Header=BB195_478 Depth=1
	v_and_b32_e32 v5, 7, v5
	v_lshrrev_b32_e32 v11, 3, v21
	s_mov_b32 s17, exec_lo
	v_cmpx_gt_u32_e32 8, v21
; %bb.694:                              ;   in Loop: Header=BB195_478 Depth=1
	v_ffbh_u32_e32 v11, v5
	v_min_u32_e32 v11, 32, v11
	v_subrev_nc_u32_e32 v13, 28, v11
	v_sub_nc_u32_e32 v11, 29, v11
	v_lshlrev_b64 v[19:20], v13, v[5:6]
	v_and_b32_e32 v5, 7, v19
; %bb.695:                              ;   in Loop: Header=BB195_478 Depth=1
	s_or_b32 exec_lo, exec_lo, s17
	v_lshlrev_b32_e32 v13, 16, v77
	v_lshlrev_b32_e32 v5, 20, v5
	v_lshl_add_u32 v11, v11, 23, 0x3c000000
	v_mov_b32_e32 v19, v6
	v_and_b32_e32 v13, 0x80000000, v13
	v_or3_b32 v20, v5, v13, v11
.LBB195_696:                            ;   in Loop: Header=BB195_478 Depth=1
	s_or_b32 exec_lo, exec_lo, s16
.LBB195_697:                            ;   in Loop: Header=BB195_478 Depth=1
	s_or_b32 exec_lo, exec_lo, s15
.LBB195_698:                            ;   in Loop: Header=BB195_478 Depth=1
	s_or_b32 exec_lo, exec_lo, s14
	v_mov_b32_e32 v23, 0
	v_mov_b32_e32 v21, 0
	v_and_b32_sdwa v5, v77, v46 dst_sel:DWORD dst_unused:UNUSED_PAD src0_sel:WORD_1 src1_sel:DWORD
	v_mov_b32_e32 v24, 0
	v_mov_b32_e32 v22, 0
	s_mov_b32 s14, exec_lo
	v_cmpx_ne_u16_e32 0, v5
	s_cbranch_execz .LBB195_706
; %bb.699:                              ;   in Loop: Header=BB195_478 Depth=1
	v_bfrev_b32_e32 v21, 1
	v_mov_b32_e32 v22, 0
	s_mov_b32 s15, exec_lo
	v_cmpx_ne_u16_e32 0x80, v5
	s_cbranch_execz .LBB195_705
; %bb.700:                              ;   in Loop: Header=BB195_478 Depth=1
	v_mov_b32_e32 v21, 0x7f800001
	v_bfe_u32 v13, v77, 16, 7
	v_mov_b32_e32 v22, 0
	s_mov_b32 s16, exec_lo
	v_cmpx_ne_u32_e32 0x7f, v13
	s_cbranch_execz .LBB195_704
; %bb.701:                              ;   in Loop: Header=BB195_478 Depth=1
	v_and_b32_sdwa v5, v77, v47 dst_sel:DWORD dst_unused:UNUSED_PAD src0_sel:WORD_1 src1_sel:DWORD
	v_lshrrev_b32_e32 v11, 3, v13
	s_mov_b32 s17, exec_lo
	v_cmpx_gt_u32_e32 8, v13
; %bb.702:                              ;   in Loop: Header=BB195_478 Depth=1
	v_ffbh_u32_e32 v11, v5
	v_min_u32_e32 v11, 32, v11
	v_subrev_nc_u32_e32 v13, 28, v11
	v_sub_nc_u32_e32 v11, 29, v11
	v_lshlrev_b64 v[21:22], v13, v[5:6]
	v_and_b32_e32 v5, 7, v21
; %bb.703:                              ;   in Loop: Header=BB195_478 Depth=1
	s_or_b32 exec_lo, exec_lo, s17
	v_lshlrev_b32_sdwa v13, v48, v77 dst_sel:DWORD dst_unused:UNUSED_PAD src0_sel:DWORD src1_sel:WORD_1
	v_lshlrev_b32_e32 v5, 20, v5
	v_lshl_add_u32 v11, v11, 23, 0x3c000000
	v_and_b32_e32 v13, 0x80000000, v13
	v_or3_b32 v5, v5, v13, v11
	v_mov_b32_e32 v22, v6
	v_mov_b32_e32 v21, v5
.LBB195_704:                            ;   in Loop: Header=BB195_478 Depth=1
	s_or_b32 exec_lo, exec_lo, s16
.LBB195_705:                            ;   in Loop: Header=BB195_478 Depth=1
	s_or_b32 exec_lo, exec_lo, s15
.LBB195_706:                            ;   in Loop: Header=BB195_478 Depth=1
	s_or_b32 exec_lo, exec_lo, s14
	s_mov_b32 s14, exec_lo
	v_cmpx_lt_u32_e32 0xffffff, v77
	s_cbranch_execz .LBB195_714
; %bb.707:                              ;   in Loop: Header=BB195_478 Depth=1
	v_mov_b32_e32 v11, v6
	v_mov_b32_e32 v24, v12
	v_cmp_ne_u32_sdwa s0, v77, v44 src0_sel:BYTE_3 src1_sel:DWORD
	v_mov_b32_e32 v23, v11
	s_and_saveexec_b32 s15, s0
	s_cbranch_execz .LBB195_713
; %bb.708:                              ;   in Loop: Header=BB195_478 Depth=1
	v_mov_b32_e32 v13, v6
	v_mov_b32_e32 v24, v14
	v_bfe_u32 v78, v77, 24, 7
	s_mov_b32 s16, exec_lo
	v_mov_b32_e32 v23, v13
	v_cmpx_ne_u32_e32 0x7f, v78
	s_cbranch_execz .LBB195_712
; %bb.709:                              ;   in Loop: Header=BB195_478 Depth=1
	v_and_b32_sdwa v5, v77, v47 dst_sel:DWORD dst_unused:UNUSED_PAD src0_sel:BYTE_3 src1_sel:DWORD
	v_lshrrev_b32_e32 v11, 3, v78
	s_mov_b32 s17, exec_lo
	v_cmpx_gt_u32_e32 8, v78
; %bb.710:                              ;   in Loop: Header=BB195_478 Depth=1
	v_ffbh_u32_e32 v11, v5
	v_min_u32_e32 v11, 32, v11
	v_subrev_nc_u32_e32 v13, 28, v11
	v_sub_nc_u32_e32 v11, 29, v11
	v_lshlrev_b64 v[23:24], v13, v[5:6]
	v_and_b32_e32 v5, 7, v23
; %bb.711:                              ;   in Loop: Header=BB195_478 Depth=1
	s_or_b32 exec_lo, exec_lo, s17
	v_lshlrev_b32_sdwa v13, v48, v77 dst_sel:DWORD dst_unused:UNUSED_PAD src0_sel:DWORD src1_sel:BYTE_3
	v_lshlrev_b32_e32 v5, 20, v5
	v_lshl_add_u32 v11, v11, 23, 0x3c000000
	v_mov_b32_e32 v23, v6
	v_and_b32_e32 v13, 0x80000000, v13
	v_or3_b32 v24, v5, v13, v11
.LBB195_712:                            ;   in Loop: Header=BB195_478 Depth=1
	s_or_b32 exec_lo, exec_lo, s16
.LBB195_713:                            ;   in Loop: Header=BB195_478 Depth=1
	s_or_b32 exec_lo, exec_lo, s15
.LBB195_714:                            ;   in Loop: Header=BB195_478 Depth=1
	s_or_b32 exec_lo, exec_lo, s14
	v_or_b32_e32 v5, v20, v18
	v_or_b32_e32 v11, v19, v17
	v_or_b32_e32 v13, v23, v21
	v_or_b32_e32 v17, v24, v22
	v_mul_f32_e32 v79, s13, v5
	v_mul_f32_e32 v80, s2, v11
	;; [unrolled: 1-line block ×4, first 2 shown]
	s_and_saveexec_b32 s14, vcc_lo
	s_cbranch_execz .LBB195_716
; %bb.715:                              ;   in Loop: Header=BB195_478 Depth=1
	v_cmp_gt_i32_e64 s0, s11, v54
	v_cndmask_b32_e64 v80, 0, v80, s0
	v_cmp_gt_i32_e64 s0, s11, v56
	v_cndmask_b32_e64 v79, 0, v79, s0
	;; [unrolled: 2-line block ×4, first 2 shown]
.LBB195_716:                            ;   in Loop: Header=BB195_478 Depth=1
	s_or_b32 exec_lo, exec_lo, s14
	global_load_dword v81, v[15:16], off offset:896
	v_mov_b32_e32 v19, 0
	v_mov_b32_e32 v17, 0
	;; [unrolled: 1-line block ×4, first 2 shown]
	s_waitcnt vmcnt(0)
	v_cmp_ne_u16_sdwa s0, v81, v6 src0_sel:BYTE_0 src1_sel:DWORD
	s_and_saveexec_b32 s14, s0
	s_cbranch_execz .LBB195_724
; %bb.717:                              ;   in Loop: Header=BB195_478 Depth=1
	v_bfrev_b32_e32 v17, 1
	v_mov_b32_e32 v18, 0
	v_cmp_ne_u16_sdwa s0, v81, v44 src0_sel:BYTE_0 src1_sel:DWORD
	s_and_saveexec_b32 s15, s0
	s_cbranch_execz .LBB195_723
; %bb.718:                              ;   in Loop: Header=BB195_478 Depth=1
	v_mov_b32_e32 v17, 0x7f800001
	v_and_b32_e32 v13, 0x7f, v81
	v_mov_b32_e32 v18, 0
	s_mov_b32 s16, exec_lo
	v_cmpx_ne_u32_e32 0x7f, v13
	s_cbranch_execz .LBB195_722
; %bb.719:                              ;   in Loop: Header=BB195_478 Depth=1
	v_and_b32_e32 v5, 7, v81
	v_lshrrev_b32_e32 v11, 3, v13
	s_mov_b32 s17, exec_lo
	v_cmpx_gt_u32_e32 8, v13
; %bb.720:                              ;   in Loop: Header=BB195_478 Depth=1
	v_ffbh_u32_e32 v11, v5
	v_min_u32_e32 v11, 32, v11
	v_subrev_nc_u32_e32 v13, 28, v11
	v_sub_nc_u32_e32 v11, 29, v11
	v_lshlrev_b64 v[17:18], v13, v[5:6]
	v_and_b32_e32 v5, 7, v17
; %bb.721:                              ;   in Loop: Header=BB195_478 Depth=1
	s_or_b32 exec_lo, exec_lo, s17
	v_lshlrev_b32_e32 v13, 24, v81
	v_lshlrev_b32_e32 v5, 20, v5
	v_lshl_add_u32 v11, v11, 23, 0x3c000000
	v_and_b32_e32 v13, 0x80000000, v13
	v_or3_b32 v5, v5, v13, v11
	v_mov_b32_e32 v18, v6
	v_mov_b32_e32 v17, v5
.LBB195_722:                            ;   in Loop: Header=BB195_478 Depth=1
	s_or_b32 exec_lo, exec_lo, s16
.LBB195_723:                            ;   in Loop: Header=BB195_478 Depth=1
	s_or_b32 exec_lo, exec_lo, s15
.LBB195_724:                            ;   in Loop: Header=BB195_478 Depth=1
	s_or_b32 exec_lo, exec_lo, s14
	v_cmp_ne_u16_sdwa s0, v81, v6 src0_sel:BYTE_1 src1_sel:DWORD
	s_and_saveexec_b32 s14, s0
	s_cbranch_execz .LBB195_732
; %bb.725:                              ;   in Loop: Header=BB195_478 Depth=1
	v_mov_b32_e32 v11, v6
	v_mov_b32_e32 v20, v12
	v_cmp_ne_u16_sdwa s0, v81, v44 src0_sel:BYTE_1 src1_sel:DWORD
	v_mov_b32_e32 v19, v11
	s_and_saveexec_b32 s15, s0
	s_cbranch_execz .LBB195_731
; %bb.726:                              ;   in Loop: Header=BB195_478 Depth=1
	v_and_b32_sdwa v5, v45, v81 dst_sel:DWORD dst_unused:UNUSED_PAD src0_sel:DWORD src1_sel:BYTE_1
	v_mov_b32_e32 v13, v6
	v_mov_b32_e32 v20, v14
	s_mov_b32 s16, exec_lo
	v_and_b32_e32 v21, 0x7f, v5
	v_mov_b32_e32 v19, v13
	v_cmpx_ne_u32_e32 0x7f, v21
	s_cbranch_execz .LBB195_730
; %bb.727:                              ;   in Loop: Header=BB195_478 Depth=1
	v_and_b32_e32 v5, 7, v5
	v_lshrrev_b32_e32 v11, 3, v21
	s_mov_b32 s17, exec_lo
	v_cmpx_gt_u32_e32 8, v21
; %bb.728:                              ;   in Loop: Header=BB195_478 Depth=1
	v_ffbh_u32_e32 v11, v5
	v_min_u32_e32 v11, 32, v11
	v_subrev_nc_u32_e32 v13, 28, v11
	v_sub_nc_u32_e32 v11, 29, v11
	v_lshlrev_b64 v[19:20], v13, v[5:6]
	v_and_b32_e32 v5, 7, v19
; %bb.729:                              ;   in Loop: Header=BB195_478 Depth=1
	s_or_b32 exec_lo, exec_lo, s17
	v_lshlrev_b32_e32 v13, 16, v81
	v_lshlrev_b32_e32 v5, 20, v5
	v_lshl_add_u32 v11, v11, 23, 0x3c000000
	v_mov_b32_e32 v19, v6
	v_and_b32_e32 v13, 0x80000000, v13
	v_or3_b32 v20, v5, v13, v11
.LBB195_730:                            ;   in Loop: Header=BB195_478 Depth=1
	s_or_b32 exec_lo, exec_lo, s16
.LBB195_731:                            ;   in Loop: Header=BB195_478 Depth=1
	s_or_b32 exec_lo, exec_lo, s15
.LBB195_732:                            ;   in Loop: Header=BB195_478 Depth=1
	s_or_b32 exec_lo, exec_lo, s14
	v_mov_b32_e32 v23, 0
	v_mov_b32_e32 v21, 0
	v_and_b32_sdwa v5, v81, v46 dst_sel:DWORD dst_unused:UNUSED_PAD src0_sel:WORD_1 src1_sel:DWORD
	v_mov_b32_e32 v24, 0
	v_mov_b32_e32 v22, 0
	s_mov_b32 s14, exec_lo
	v_cmpx_ne_u16_e32 0, v5
	s_cbranch_execz .LBB195_740
; %bb.733:                              ;   in Loop: Header=BB195_478 Depth=1
	v_bfrev_b32_e32 v21, 1
	v_mov_b32_e32 v22, 0
	s_mov_b32 s15, exec_lo
	v_cmpx_ne_u16_e32 0x80, v5
	s_cbranch_execz .LBB195_739
; %bb.734:                              ;   in Loop: Header=BB195_478 Depth=1
	v_mov_b32_e32 v21, 0x7f800001
	v_bfe_u32 v13, v81, 16, 7
	v_mov_b32_e32 v22, 0
	s_mov_b32 s16, exec_lo
	v_cmpx_ne_u32_e32 0x7f, v13
	s_cbranch_execz .LBB195_738
; %bb.735:                              ;   in Loop: Header=BB195_478 Depth=1
	v_and_b32_sdwa v5, v81, v47 dst_sel:DWORD dst_unused:UNUSED_PAD src0_sel:WORD_1 src1_sel:DWORD
	v_lshrrev_b32_e32 v11, 3, v13
	s_mov_b32 s17, exec_lo
	v_cmpx_gt_u32_e32 8, v13
; %bb.736:                              ;   in Loop: Header=BB195_478 Depth=1
	v_ffbh_u32_e32 v11, v5
	v_min_u32_e32 v11, 32, v11
	v_subrev_nc_u32_e32 v13, 28, v11
	v_sub_nc_u32_e32 v11, 29, v11
	v_lshlrev_b64 v[21:22], v13, v[5:6]
	v_and_b32_e32 v5, 7, v21
; %bb.737:                              ;   in Loop: Header=BB195_478 Depth=1
	s_or_b32 exec_lo, exec_lo, s17
	v_lshlrev_b32_sdwa v13, v48, v81 dst_sel:DWORD dst_unused:UNUSED_PAD src0_sel:DWORD src1_sel:WORD_1
	v_lshlrev_b32_e32 v5, 20, v5
	v_lshl_add_u32 v11, v11, 23, 0x3c000000
	v_and_b32_e32 v13, 0x80000000, v13
	v_or3_b32 v5, v5, v13, v11
	v_mov_b32_e32 v22, v6
	v_mov_b32_e32 v21, v5
.LBB195_738:                            ;   in Loop: Header=BB195_478 Depth=1
	s_or_b32 exec_lo, exec_lo, s16
.LBB195_739:                            ;   in Loop: Header=BB195_478 Depth=1
	s_or_b32 exec_lo, exec_lo, s15
.LBB195_740:                            ;   in Loop: Header=BB195_478 Depth=1
	s_or_b32 exec_lo, exec_lo, s14
	s_mov_b32 s14, exec_lo
	v_cmpx_lt_u32_e32 0xffffff, v81
	s_cbranch_execz .LBB195_748
; %bb.741:                              ;   in Loop: Header=BB195_478 Depth=1
	v_mov_b32_e32 v11, v6
	v_mov_b32_e32 v24, v12
	v_cmp_ne_u32_sdwa s0, v81, v44 src0_sel:BYTE_3 src1_sel:DWORD
	v_mov_b32_e32 v23, v11
	s_and_saveexec_b32 s15, s0
	s_cbranch_execz .LBB195_747
; %bb.742:                              ;   in Loop: Header=BB195_478 Depth=1
	v_mov_b32_e32 v13, v6
	v_mov_b32_e32 v24, v14
	v_bfe_u32 v82, v81, 24, 7
	s_mov_b32 s16, exec_lo
	v_mov_b32_e32 v23, v13
	v_cmpx_ne_u32_e32 0x7f, v82
	s_cbranch_execz .LBB195_746
; %bb.743:                              ;   in Loop: Header=BB195_478 Depth=1
	v_and_b32_sdwa v5, v81, v47 dst_sel:DWORD dst_unused:UNUSED_PAD src0_sel:BYTE_3 src1_sel:DWORD
	v_lshrrev_b32_e32 v11, 3, v82
	s_mov_b32 s17, exec_lo
	v_cmpx_gt_u32_e32 8, v82
; %bb.744:                              ;   in Loop: Header=BB195_478 Depth=1
	v_ffbh_u32_e32 v11, v5
	v_min_u32_e32 v11, 32, v11
	v_subrev_nc_u32_e32 v13, 28, v11
	v_sub_nc_u32_e32 v11, 29, v11
	v_lshlrev_b64 v[23:24], v13, v[5:6]
	v_and_b32_e32 v5, 7, v23
; %bb.745:                              ;   in Loop: Header=BB195_478 Depth=1
	s_or_b32 exec_lo, exec_lo, s17
	v_lshlrev_b32_sdwa v13, v48, v81 dst_sel:DWORD dst_unused:UNUSED_PAD src0_sel:DWORD src1_sel:BYTE_3
	v_lshlrev_b32_e32 v5, 20, v5
	v_lshl_add_u32 v11, v11, 23, 0x3c000000
	v_mov_b32_e32 v23, v6
	v_and_b32_e32 v13, 0x80000000, v13
	v_or3_b32 v24, v5, v13, v11
.LBB195_746:                            ;   in Loop: Header=BB195_478 Depth=1
	s_or_b32 exec_lo, exec_lo, s16
.LBB195_747:                            ;   in Loop: Header=BB195_478 Depth=1
	s_or_b32 exec_lo, exec_lo, s15
.LBB195_748:                            ;   in Loop: Header=BB195_478 Depth=1
	s_or_b32 exec_lo, exec_lo, s14
	v_or_b32_e32 v5, v20, v18
	v_or_b32_e32 v11, v19, v17
	;; [unrolled: 1-line block ×4, first 2 shown]
	v_mul_f32_e32 v83, s13, v5
	v_mul_f32_e32 v84, s2, v11
	;; [unrolled: 1-line block ×4, first 2 shown]
	s_and_saveexec_b32 s14, vcc_lo
	s_cbranch_execz .LBB195_750
; %bb.749:                              ;   in Loop: Header=BB195_478 Depth=1
	v_cmp_gt_i32_e64 s0, s11, v54
	v_cndmask_b32_e64 v84, 0, v84, s0
	v_cmp_gt_i32_e64 s0, s11, v56
	v_cndmask_b32_e64 v83, 0, v83, s0
	;; [unrolled: 2-line block ×4, first 2 shown]
.LBB195_750:                            ;   in Loop: Header=BB195_478 Depth=1
	s_or_b32 exec_lo, exec_lo, s14
	global_load_dword v85, v[15:16], off offset:1024
	v_mov_b32_e32 v19, 0
	v_mov_b32_e32 v17, 0
	;; [unrolled: 1-line block ×4, first 2 shown]
	s_waitcnt vmcnt(0)
	v_cmp_ne_u16_sdwa s0, v85, v6 src0_sel:BYTE_0 src1_sel:DWORD
	s_and_saveexec_b32 s14, s0
	s_cbranch_execz .LBB195_758
; %bb.751:                              ;   in Loop: Header=BB195_478 Depth=1
	v_bfrev_b32_e32 v17, 1
	v_mov_b32_e32 v18, 0
	v_cmp_ne_u16_sdwa s0, v85, v44 src0_sel:BYTE_0 src1_sel:DWORD
	s_and_saveexec_b32 s15, s0
	s_cbranch_execz .LBB195_757
; %bb.752:                              ;   in Loop: Header=BB195_478 Depth=1
	v_mov_b32_e32 v17, 0x7f800001
	v_and_b32_e32 v13, 0x7f, v85
	v_mov_b32_e32 v18, 0
	s_mov_b32 s16, exec_lo
	v_cmpx_ne_u32_e32 0x7f, v13
	s_cbranch_execz .LBB195_756
; %bb.753:                              ;   in Loop: Header=BB195_478 Depth=1
	v_and_b32_e32 v5, 7, v85
	v_lshrrev_b32_e32 v11, 3, v13
	s_mov_b32 s17, exec_lo
	v_cmpx_gt_u32_e32 8, v13
; %bb.754:                              ;   in Loop: Header=BB195_478 Depth=1
	v_ffbh_u32_e32 v11, v5
	v_min_u32_e32 v11, 32, v11
	v_subrev_nc_u32_e32 v13, 28, v11
	v_sub_nc_u32_e32 v11, 29, v11
	v_lshlrev_b64 v[17:18], v13, v[5:6]
	v_and_b32_e32 v5, 7, v17
; %bb.755:                              ;   in Loop: Header=BB195_478 Depth=1
	s_or_b32 exec_lo, exec_lo, s17
	v_lshlrev_b32_e32 v13, 24, v85
	v_lshlrev_b32_e32 v5, 20, v5
	v_lshl_add_u32 v11, v11, 23, 0x3c000000
	v_and_b32_e32 v13, 0x80000000, v13
	v_or3_b32 v5, v5, v13, v11
	v_mov_b32_e32 v18, v6
	v_mov_b32_e32 v17, v5
.LBB195_756:                            ;   in Loop: Header=BB195_478 Depth=1
	s_or_b32 exec_lo, exec_lo, s16
.LBB195_757:                            ;   in Loop: Header=BB195_478 Depth=1
	s_or_b32 exec_lo, exec_lo, s15
.LBB195_758:                            ;   in Loop: Header=BB195_478 Depth=1
	s_or_b32 exec_lo, exec_lo, s14
	v_cmp_ne_u16_sdwa s0, v85, v6 src0_sel:BYTE_1 src1_sel:DWORD
	s_and_saveexec_b32 s14, s0
	s_cbranch_execz .LBB195_766
; %bb.759:                              ;   in Loop: Header=BB195_478 Depth=1
	v_mov_b32_e32 v11, v6
	v_mov_b32_e32 v20, v12
	v_cmp_ne_u16_sdwa s0, v85, v44 src0_sel:BYTE_1 src1_sel:DWORD
	v_mov_b32_e32 v19, v11
	s_and_saveexec_b32 s15, s0
	s_cbranch_execz .LBB195_765
; %bb.760:                              ;   in Loop: Header=BB195_478 Depth=1
	v_and_b32_sdwa v5, v45, v85 dst_sel:DWORD dst_unused:UNUSED_PAD src0_sel:DWORD src1_sel:BYTE_1
	v_mov_b32_e32 v13, v6
	v_mov_b32_e32 v20, v14
	s_mov_b32 s16, exec_lo
	v_and_b32_e32 v21, 0x7f, v5
	v_mov_b32_e32 v19, v13
	v_cmpx_ne_u32_e32 0x7f, v21
	s_cbranch_execz .LBB195_764
; %bb.761:                              ;   in Loop: Header=BB195_478 Depth=1
	v_and_b32_e32 v5, 7, v5
	v_lshrrev_b32_e32 v11, 3, v21
	s_mov_b32 s17, exec_lo
	v_cmpx_gt_u32_e32 8, v21
; %bb.762:                              ;   in Loop: Header=BB195_478 Depth=1
	v_ffbh_u32_e32 v11, v5
	v_min_u32_e32 v11, 32, v11
	v_subrev_nc_u32_e32 v13, 28, v11
	v_sub_nc_u32_e32 v11, 29, v11
	v_lshlrev_b64 v[19:20], v13, v[5:6]
	v_and_b32_e32 v5, 7, v19
; %bb.763:                              ;   in Loop: Header=BB195_478 Depth=1
	s_or_b32 exec_lo, exec_lo, s17
	v_lshlrev_b32_e32 v13, 16, v85
	v_lshlrev_b32_e32 v5, 20, v5
	v_lshl_add_u32 v11, v11, 23, 0x3c000000
	v_mov_b32_e32 v19, v6
	v_and_b32_e32 v13, 0x80000000, v13
	v_or3_b32 v20, v5, v13, v11
.LBB195_764:                            ;   in Loop: Header=BB195_478 Depth=1
	s_or_b32 exec_lo, exec_lo, s16
.LBB195_765:                            ;   in Loop: Header=BB195_478 Depth=1
	s_or_b32 exec_lo, exec_lo, s15
.LBB195_766:                            ;   in Loop: Header=BB195_478 Depth=1
	s_or_b32 exec_lo, exec_lo, s14
	v_mov_b32_e32 v23, 0
	v_mov_b32_e32 v21, 0
	v_and_b32_sdwa v5, v85, v46 dst_sel:DWORD dst_unused:UNUSED_PAD src0_sel:WORD_1 src1_sel:DWORD
	v_mov_b32_e32 v24, 0
	v_mov_b32_e32 v22, 0
	s_mov_b32 s14, exec_lo
	v_cmpx_ne_u16_e32 0, v5
	s_cbranch_execz .LBB195_774
; %bb.767:                              ;   in Loop: Header=BB195_478 Depth=1
	v_bfrev_b32_e32 v21, 1
	v_mov_b32_e32 v22, 0
	s_mov_b32 s15, exec_lo
	v_cmpx_ne_u16_e32 0x80, v5
	s_cbranch_execz .LBB195_773
; %bb.768:                              ;   in Loop: Header=BB195_478 Depth=1
	v_mov_b32_e32 v21, 0x7f800001
	v_bfe_u32 v13, v85, 16, 7
	v_mov_b32_e32 v22, 0
	s_mov_b32 s16, exec_lo
	v_cmpx_ne_u32_e32 0x7f, v13
	s_cbranch_execz .LBB195_772
; %bb.769:                              ;   in Loop: Header=BB195_478 Depth=1
	v_and_b32_sdwa v5, v85, v47 dst_sel:DWORD dst_unused:UNUSED_PAD src0_sel:WORD_1 src1_sel:DWORD
	v_lshrrev_b32_e32 v11, 3, v13
	s_mov_b32 s17, exec_lo
	v_cmpx_gt_u32_e32 8, v13
; %bb.770:                              ;   in Loop: Header=BB195_478 Depth=1
	v_ffbh_u32_e32 v11, v5
	v_min_u32_e32 v11, 32, v11
	v_subrev_nc_u32_e32 v13, 28, v11
	v_sub_nc_u32_e32 v11, 29, v11
	v_lshlrev_b64 v[21:22], v13, v[5:6]
	v_and_b32_e32 v5, 7, v21
; %bb.771:                              ;   in Loop: Header=BB195_478 Depth=1
	s_or_b32 exec_lo, exec_lo, s17
	v_lshlrev_b32_sdwa v13, v48, v85 dst_sel:DWORD dst_unused:UNUSED_PAD src0_sel:DWORD src1_sel:WORD_1
	v_lshlrev_b32_e32 v5, 20, v5
	v_lshl_add_u32 v11, v11, 23, 0x3c000000
	v_and_b32_e32 v13, 0x80000000, v13
	v_or3_b32 v5, v5, v13, v11
	v_mov_b32_e32 v22, v6
	v_mov_b32_e32 v21, v5
.LBB195_772:                            ;   in Loop: Header=BB195_478 Depth=1
	s_or_b32 exec_lo, exec_lo, s16
.LBB195_773:                            ;   in Loop: Header=BB195_478 Depth=1
	s_or_b32 exec_lo, exec_lo, s15
.LBB195_774:                            ;   in Loop: Header=BB195_478 Depth=1
	s_or_b32 exec_lo, exec_lo, s14
	s_mov_b32 s14, exec_lo
	v_cmpx_lt_u32_e32 0xffffff, v85
	s_cbranch_execz .LBB195_782
; %bb.775:                              ;   in Loop: Header=BB195_478 Depth=1
	v_mov_b32_e32 v11, v6
	v_mov_b32_e32 v24, v12
	v_cmp_ne_u32_sdwa s0, v85, v44 src0_sel:BYTE_3 src1_sel:DWORD
	v_mov_b32_e32 v23, v11
	s_and_saveexec_b32 s15, s0
	s_cbranch_execz .LBB195_781
; %bb.776:                              ;   in Loop: Header=BB195_478 Depth=1
	v_mov_b32_e32 v13, v6
	v_mov_b32_e32 v24, v14
	v_bfe_u32 v86, v85, 24, 7
	s_mov_b32 s16, exec_lo
	v_mov_b32_e32 v23, v13
	v_cmpx_ne_u32_e32 0x7f, v86
	s_cbranch_execz .LBB195_780
; %bb.777:                              ;   in Loop: Header=BB195_478 Depth=1
	v_and_b32_sdwa v5, v85, v47 dst_sel:DWORD dst_unused:UNUSED_PAD src0_sel:BYTE_3 src1_sel:DWORD
	v_lshrrev_b32_e32 v11, 3, v86
	s_mov_b32 s17, exec_lo
	v_cmpx_gt_u32_e32 8, v86
; %bb.778:                              ;   in Loop: Header=BB195_478 Depth=1
	v_ffbh_u32_e32 v11, v5
	v_min_u32_e32 v11, 32, v11
	v_subrev_nc_u32_e32 v13, 28, v11
	v_sub_nc_u32_e32 v11, 29, v11
	v_lshlrev_b64 v[23:24], v13, v[5:6]
	v_and_b32_e32 v5, 7, v23
; %bb.779:                              ;   in Loop: Header=BB195_478 Depth=1
	s_or_b32 exec_lo, exec_lo, s17
	v_lshlrev_b32_sdwa v13, v48, v85 dst_sel:DWORD dst_unused:UNUSED_PAD src0_sel:DWORD src1_sel:BYTE_3
	v_lshlrev_b32_e32 v5, 20, v5
	v_lshl_add_u32 v11, v11, 23, 0x3c000000
	v_mov_b32_e32 v23, v6
	v_and_b32_e32 v13, 0x80000000, v13
	v_or3_b32 v24, v5, v13, v11
.LBB195_780:                            ;   in Loop: Header=BB195_478 Depth=1
	s_or_b32 exec_lo, exec_lo, s16
.LBB195_781:                            ;   in Loop: Header=BB195_478 Depth=1
	s_or_b32 exec_lo, exec_lo, s15
.LBB195_782:                            ;   in Loop: Header=BB195_478 Depth=1
	s_or_b32 exec_lo, exec_lo, s14
	v_or_b32_e32 v5, v20, v18
	v_or_b32_e32 v11, v19, v17
	;; [unrolled: 1-line block ×4, first 2 shown]
	v_mul_f32_e32 v87, s13, v5
	v_mul_f32_e32 v88, s2, v11
	;; [unrolled: 1-line block ×4, first 2 shown]
	s_and_saveexec_b32 s14, vcc_lo
	s_cbranch_execz .LBB195_784
; %bb.783:                              ;   in Loop: Header=BB195_478 Depth=1
	v_cmp_gt_i32_e64 s0, s11, v54
	v_cndmask_b32_e64 v88, 0, v88, s0
	v_cmp_gt_i32_e64 s0, s11, v56
	v_cndmask_b32_e64 v87, 0, v87, s0
	;; [unrolled: 2-line block ×4, first 2 shown]
.LBB195_784:                            ;   in Loop: Header=BB195_478 Depth=1
	s_or_b32 exec_lo, exec_lo, s14
	global_load_dword v89, v[15:16], off offset:1152
	v_mov_b32_e32 v19, 0
	v_mov_b32_e32 v17, 0
	;; [unrolled: 1-line block ×4, first 2 shown]
	s_waitcnt vmcnt(0)
	v_cmp_ne_u16_sdwa s0, v89, v6 src0_sel:BYTE_0 src1_sel:DWORD
	s_and_saveexec_b32 s14, s0
	s_cbranch_execz .LBB195_792
; %bb.785:                              ;   in Loop: Header=BB195_478 Depth=1
	v_bfrev_b32_e32 v17, 1
	v_mov_b32_e32 v18, 0
	v_cmp_ne_u16_sdwa s0, v89, v44 src0_sel:BYTE_0 src1_sel:DWORD
	s_and_saveexec_b32 s15, s0
	s_cbranch_execz .LBB195_791
; %bb.786:                              ;   in Loop: Header=BB195_478 Depth=1
	v_mov_b32_e32 v17, 0x7f800001
	v_and_b32_e32 v13, 0x7f, v89
	v_mov_b32_e32 v18, 0
	s_mov_b32 s16, exec_lo
	v_cmpx_ne_u32_e32 0x7f, v13
	s_cbranch_execz .LBB195_790
; %bb.787:                              ;   in Loop: Header=BB195_478 Depth=1
	v_and_b32_e32 v5, 7, v89
	v_lshrrev_b32_e32 v11, 3, v13
	s_mov_b32 s17, exec_lo
	v_cmpx_gt_u32_e32 8, v13
; %bb.788:                              ;   in Loop: Header=BB195_478 Depth=1
	v_ffbh_u32_e32 v11, v5
	v_min_u32_e32 v11, 32, v11
	v_subrev_nc_u32_e32 v13, 28, v11
	v_sub_nc_u32_e32 v11, 29, v11
	v_lshlrev_b64 v[17:18], v13, v[5:6]
	v_and_b32_e32 v5, 7, v17
; %bb.789:                              ;   in Loop: Header=BB195_478 Depth=1
	s_or_b32 exec_lo, exec_lo, s17
	v_lshlrev_b32_e32 v13, 24, v89
	v_lshlrev_b32_e32 v5, 20, v5
	v_lshl_add_u32 v11, v11, 23, 0x3c000000
	v_and_b32_e32 v13, 0x80000000, v13
	v_or3_b32 v5, v5, v13, v11
	v_mov_b32_e32 v18, v6
	v_mov_b32_e32 v17, v5
.LBB195_790:                            ;   in Loop: Header=BB195_478 Depth=1
	s_or_b32 exec_lo, exec_lo, s16
.LBB195_791:                            ;   in Loop: Header=BB195_478 Depth=1
	s_or_b32 exec_lo, exec_lo, s15
.LBB195_792:                            ;   in Loop: Header=BB195_478 Depth=1
	s_or_b32 exec_lo, exec_lo, s14
	v_cmp_ne_u16_sdwa s0, v89, v6 src0_sel:BYTE_1 src1_sel:DWORD
	s_and_saveexec_b32 s14, s0
	s_cbranch_execz .LBB195_800
; %bb.793:                              ;   in Loop: Header=BB195_478 Depth=1
	v_mov_b32_e32 v11, v6
	v_mov_b32_e32 v20, v12
	v_cmp_ne_u16_sdwa s0, v89, v44 src0_sel:BYTE_1 src1_sel:DWORD
	v_mov_b32_e32 v19, v11
	s_and_saveexec_b32 s15, s0
	s_cbranch_execz .LBB195_799
; %bb.794:                              ;   in Loop: Header=BB195_478 Depth=1
	v_and_b32_sdwa v5, v45, v89 dst_sel:DWORD dst_unused:UNUSED_PAD src0_sel:DWORD src1_sel:BYTE_1
	v_mov_b32_e32 v13, v6
	v_mov_b32_e32 v20, v14
	s_mov_b32 s16, exec_lo
	v_and_b32_e32 v21, 0x7f, v5
	v_mov_b32_e32 v19, v13
	v_cmpx_ne_u32_e32 0x7f, v21
	s_cbranch_execz .LBB195_798
; %bb.795:                              ;   in Loop: Header=BB195_478 Depth=1
	v_and_b32_e32 v5, 7, v5
	v_lshrrev_b32_e32 v11, 3, v21
	s_mov_b32 s17, exec_lo
	v_cmpx_gt_u32_e32 8, v21
; %bb.796:                              ;   in Loop: Header=BB195_478 Depth=1
	v_ffbh_u32_e32 v11, v5
	v_min_u32_e32 v11, 32, v11
	v_subrev_nc_u32_e32 v13, 28, v11
	v_sub_nc_u32_e32 v11, 29, v11
	v_lshlrev_b64 v[19:20], v13, v[5:6]
	v_and_b32_e32 v5, 7, v19
; %bb.797:                              ;   in Loop: Header=BB195_478 Depth=1
	s_or_b32 exec_lo, exec_lo, s17
	v_lshlrev_b32_e32 v13, 16, v89
	v_lshlrev_b32_e32 v5, 20, v5
	v_lshl_add_u32 v11, v11, 23, 0x3c000000
	v_mov_b32_e32 v19, v6
	v_and_b32_e32 v13, 0x80000000, v13
	v_or3_b32 v20, v5, v13, v11
.LBB195_798:                            ;   in Loop: Header=BB195_478 Depth=1
	s_or_b32 exec_lo, exec_lo, s16
.LBB195_799:                            ;   in Loop: Header=BB195_478 Depth=1
	s_or_b32 exec_lo, exec_lo, s15
.LBB195_800:                            ;   in Loop: Header=BB195_478 Depth=1
	s_or_b32 exec_lo, exec_lo, s14
	v_mov_b32_e32 v23, 0
	v_mov_b32_e32 v21, 0
	v_and_b32_sdwa v5, v89, v46 dst_sel:DWORD dst_unused:UNUSED_PAD src0_sel:WORD_1 src1_sel:DWORD
	v_mov_b32_e32 v24, 0
	v_mov_b32_e32 v22, 0
	s_mov_b32 s14, exec_lo
	v_cmpx_ne_u16_e32 0, v5
	s_cbranch_execz .LBB195_808
; %bb.801:                              ;   in Loop: Header=BB195_478 Depth=1
	v_bfrev_b32_e32 v21, 1
	v_mov_b32_e32 v22, 0
	s_mov_b32 s15, exec_lo
	v_cmpx_ne_u16_e32 0x80, v5
	s_cbranch_execz .LBB195_807
; %bb.802:                              ;   in Loop: Header=BB195_478 Depth=1
	v_mov_b32_e32 v21, 0x7f800001
	v_bfe_u32 v13, v89, 16, 7
	v_mov_b32_e32 v22, 0
	s_mov_b32 s16, exec_lo
	v_cmpx_ne_u32_e32 0x7f, v13
	s_cbranch_execz .LBB195_806
; %bb.803:                              ;   in Loop: Header=BB195_478 Depth=1
	v_and_b32_sdwa v5, v89, v47 dst_sel:DWORD dst_unused:UNUSED_PAD src0_sel:WORD_1 src1_sel:DWORD
	v_lshrrev_b32_e32 v11, 3, v13
	s_mov_b32 s17, exec_lo
	v_cmpx_gt_u32_e32 8, v13
; %bb.804:                              ;   in Loop: Header=BB195_478 Depth=1
	v_ffbh_u32_e32 v11, v5
	v_min_u32_e32 v11, 32, v11
	v_subrev_nc_u32_e32 v13, 28, v11
	v_sub_nc_u32_e32 v11, 29, v11
	v_lshlrev_b64 v[21:22], v13, v[5:6]
	v_and_b32_e32 v5, 7, v21
; %bb.805:                              ;   in Loop: Header=BB195_478 Depth=1
	s_or_b32 exec_lo, exec_lo, s17
	v_lshlrev_b32_sdwa v13, v48, v89 dst_sel:DWORD dst_unused:UNUSED_PAD src0_sel:DWORD src1_sel:WORD_1
	v_lshlrev_b32_e32 v5, 20, v5
	v_lshl_add_u32 v11, v11, 23, 0x3c000000
	v_and_b32_e32 v13, 0x80000000, v13
	v_or3_b32 v5, v5, v13, v11
	v_mov_b32_e32 v22, v6
	v_mov_b32_e32 v21, v5
.LBB195_806:                            ;   in Loop: Header=BB195_478 Depth=1
	s_or_b32 exec_lo, exec_lo, s16
.LBB195_807:                            ;   in Loop: Header=BB195_478 Depth=1
	s_or_b32 exec_lo, exec_lo, s15
.LBB195_808:                            ;   in Loop: Header=BB195_478 Depth=1
	s_or_b32 exec_lo, exec_lo, s14
	s_mov_b32 s14, exec_lo
	v_cmpx_lt_u32_e32 0xffffff, v89
	s_cbranch_execz .LBB195_816
; %bb.809:                              ;   in Loop: Header=BB195_478 Depth=1
	v_mov_b32_e32 v11, v6
	v_mov_b32_e32 v24, v12
	v_cmp_ne_u32_sdwa s0, v89, v44 src0_sel:BYTE_3 src1_sel:DWORD
	v_mov_b32_e32 v23, v11
	s_and_saveexec_b32 s15, s0
	s_cbranch_execz .LBB195_815
; %bb.810:                              ;   in Loop: Header=BB195_478 Depth=1
	v_mov_b32_e32 v13, v6
	v_mov_b32_e32 v24, v14
	v_bfe_u32 v90, v89, 24, 7
	s_mov_b32 s16, exec_lo
	v_mov_b32_e32 v23, v13
	v_cmpx_ne_u32_e32 0x7f, v90
	s_cbranch_execz .LBB195_814
; %bb.811:                              ;   in Loop: Header=BB195_478 Depth=1
	v_and_b32_sdwa v5, v89, v47 dst_sel:DWORD dst_unused:UNUSED_PAD src0_sel:BYTE_3 src1_sel:DWORD
	v_lshrrev_b32_e32 v11, 3, v90
	s_mov_b32 s17, exec_lo
	v_cmpx_gt_u32_e32 8, v90
; %bb.812:                              ;   in Loop: Header=BB195_478 Depth=1
	v_ffbh_u32_e32 v11, v5
	v_min_u32_e32 v11, 32, v11
	v_subrev_nc_u32_e32 v13, 28, v11
	v_sub_nc_u32_e32 v11, 29, v11
	v_lshlrev_b64 v[23:24], v13, v[5:6]
	v_and_b32_e32 v5, 7, v23
; %bb.813:                              ;   in Loop: Header=BB195_478 Depth=1
	s_or_b32 exec_lo, exec_lo, s17
	v_lshlrev_b32_sdwa v13, v48, v89 dst_sel:DWORD dst_unused:UNUSED_PAD src0_sel:DWORD src1_sel:BYTE_3
	v_lshlrev_b32_e32 v5, 20, v5
	v_lshl_add_u32 v11, v11, 23, 0x3c000000
	v_mov_b32_e32 v23, v6
	v_and_b32_e32 v13, 0x80000000, v13
	v_or3_b32 v24, v5, v13, v11
.LBB195_814:                            ;   in Loop: Header=BB195_478 Depth=1
	s_or_b32 exec_lo, exec_lo, s16
.LBB195_815:                            ;   in Loop: Header=BB195_478 Depth=1
	s_or_b32 exec_lo, exec_lo, s15
.LBB195_816:                            ;   in Loop: Header=BB195_478 Depth=1
	s_or_b32 exec_lo, exec_lo, s14
	v_or_b32_e32 v5, v20, v18
	v_or_b32_e32 v11, v19, v17
	;; [unrolled: 1-line block ×4, first 2 shown]
	v_mul_f32_e32 v91, s13, v5
	v_mul_f32_e32 v92, s2, v11
	;; [unrolled: 1-line block ×4, first 2 shown]
	s_and_saveexec_b32 s14, vcc_lo
	s_cbranch_execz .LBB195_818
; %bb.817:                              ;   in Loop: Header=BB195_478 Depth=1
	v_cmp_gt_i32_e64 s0, s11, v54
	v_cndmask_b32_e64 v92, 0, v92, s0
	v_cmp_gt_i32_e64 s0, s11, v56
	v_cndmask_b32_e64 v91, 0, v91, s0
	;; [unrolled: 2-line block ×4, first 2 shown]
.LBB195_818:                            ;   in Loop: Header=BB195_478 Depth=1
	s_or_b32 exec_lo, exec_lo, s14
	global_load_dword v93, v[15:16], off offset:1280
	v_mov_b32_e32 v19, 0
	v_mov_b32_e32 v17, 0
	;; [unrolled: 1-line block ×4, first 2 shown]
	s_waitcnt vmcnt(0)
	v_cmp_ne_u16_sdwa s0, v93, v6 src0_sel:BYTE_0 src1_sel:DWORD
	s_and_saveexec_b32 s14, s0
	s_cbranch_execz .LBB195_826
; %bb.819:                              ;   in Loop: Header=BB195_478 Depth=1
	v_bfrev_b32_e32 v17, 1
	v_mov_b32_e32 v18, 0
	v_cmp_ne_u16_sdwa s0, v93, v44 src0_sel:BYTE_0 src1_sel:DWORD
	s_and_saveexec_b32 s15, s0
	s_cbranch_execz .LBB195_825
; %bb.820:                              ;   in Loop: Header=BB195_478 Depth=1
	v_mov_b32_e32 v17, 0x7f800001
	v_and_b32_e32 v13, 0x7f, v93
	v_mov_b32_e32 v18, 0
	s_mov_b32 s16, exec_lo
	v_cmpx_ne_u32_e32 0x7f, v13
	s_cbranch_execz .LBB195_824
; %bb.821:                              ;   in Loop: Header=BB195_478 Depth=1
	v_and_b32_e32 v5, 7, v93
	v_lshrrev_b32_e32 v11, 3, v13
	s_mov_b32 s17, exec_lo
	v_cmpx_gt_u32_e32 8, v13
; %bb.822:                              ;   in Loop: Header=BB195_478 Depth=1
	v_ffbh_u32_e32 v11, v5
	v_min_u32_e32 v11, 32, v11
	v_subrev_nc_u32_e32 v13, 28, v11
	v_sub_nc_u32_e32 v11, 29, v11
	v_lshlrev_b64 v[17:18], v13, v[5:6]
	v_and_b32_e32 v5, 7, v17
; %bb.823:                              ;   in Loop: Header=BB195_478 Depth=1
	s_or_b32 exec_lo, exec_lo, s17
	v_lshlrev_b32_e32 v13, 24, v93
	v_lshlrev_b32_e32 v5, 20, v5
	v_lshl_add_u32 v11, v11, 23, 0x3c000000
	v_and_b32_e32 v13, 0x80000000, v13
	v_or3_b32 v5, v5, v13, v11
	v_mov_b32_e32 v18, v6
	v_mov_b32_e32 v17, v5
.LBB195_824:                            ;   in Loop: Header=BB195_478 Depth=1
	s_or_b32 exec_lo, exec_lo, s16
.LBB195_825:                            ;   in Loop: Header=BB195_478 Depth=1
	s_or_b32 exec_lo, exec_lo, s15
.LBB195_826:                            ;   in Loop: Header=BB195_478 Depth=1
	s_or_b32 exec_lo, exec_lo, s14
	v_cmp_ne_u16_sdwa s0, v93, v6 src0_sel:BYTE_1 src1_sel:DWORD
	s_and_saveexec_b32 s14, s0
	s_cbranch_execz .LBB195_834
; %bb.827:                              ;   in Loop: Header=BB195_478 Depth=1
	v_mov_b32_e32 v11, v6
	v_mov_b32_e32 v20, v12
	v_cmp_ne_u16_sdwa s0, v93, v44 src0_sel:BYTE_1 src1_sel:DWORD
	v_mov_b32_e32 v19, v11
	s_and_saveexec_b32 s15, s0
	s_cbranch_execz .LBB195_833
; %bb.828:                              ;   in Loop: Header=BB195_478 Depth=1
	v_and_b32_sdwa v5, v45, v93 dst_sel:DWORD dst_unused:UNUSED_PAD src0_sel:DWORD src1_sel:BYTE_1
	v_mov_b32_e32 v13, v6
	v_mov_b32_e32 v20, v14
	s_mov_b32 s16, exec_lo
	v_and_b32_e32 v21, 0x7f, v5
	v_mov_b32_e32 v19, v13
	v_cmpx_ne_u32_e32 0x7f, v21
	s_cbranch_execz .LBB195_832
; %bb.829:                              ;   in Loop: Header=BB195_478 Depth=1
	v_and_b32_e32 v5, 7, v5
	v_lshrrev_b32_e32 v11, 3, v21
	s_mov_b32 s17, exec_lo
	v_cmpx_gt_u32_e32 8, v21
; %bb.830:                              ;   in Loop: Header=BB195_478 Depth=1
	v_ffbh_u32_e32 v11, v5
	v_min_u32_e32 v11, 32, v11
	v_subrev_nc_u32_e32 v13, 28, v11
	v_sub_nc_u32_e32 v11, 29, v11
	v_lshlrev_b64 v[19:20], v13, v[5:6]
	v_and_b32_e32 v5, 7, v19
; %bb.831:                              ;   in Loop: Header=BB195_478 Depth=1
	s_or_b32 exec_lo, exec_lo, s17
	v_lshlrev_b32_e32 v13, 16, v93
	v_lshlrev_b32_e32 v5, 20, v5
	v_lshl_add_u32 v11, v11, 23, 0x3c000000
	v_mov_b32_e32 v19, v6
	v_and_b32_e32 v13, 0x80000000, v13
	v_or3_b32 v20, v5, v13, v11
.LBB195_832:                            ;   in Loop: Header=BB195_478 Depth=1
	s_or_b32 exec_lo, exec_lo, s16
.LBB195_833:                            ;   in Loop: Header=BB195_478 Depth=1
	s_or_b32 exec_lo, exec_lo, s15
.LBB195_834:                            ;   in Loop: Header=BB195_478 Depth=1
	s_or_b32 exec_lo, exec_lo, s14
	v_mov_b32_e32 v23, 0
	v_mov_b32_e32 v21, 0
	v_and_b32_sdwa v5, v93, v46 dst_sel:DWORD dst_unused:UNUSED_PAD src0_sel:WORD_1 src1_sel:DWORD
	v_mov_b32_e32 v24, 0
	v_mov_b32_e32 v22, 0
	s_mov_b32 s14, exec_lo
	v_cmpx_ne_u16_e32 0, v5
	s_cbranch_execz .LBB195_842
; %bb.835:                              ;   in Loop: Header=BB195_478 Depth=1
	v_bfrev_b32_e32 v21, 1
	v_mov_b32_e32 v22, 0
	s_mov_b32 s15, exec_lo
	v_cmpx_ne_u16_e32 0x80, v5
	s_cbranch_execz .LBB195_841
; %bb.836:                              ;   in Loop: Header=BB195_478 Depth=1
	v_mov_b32_e32 v21, 0x7f800001
	v_bfe_u32 v13, v93, 16, 7
	v_mov_b32_e32 v22, 0
	s_mov_b32 s16, exec_lo
	v_cmpx_ne_u32_e32 0x7f, v13
	s_cbranch_execz .LBB195_840
; %bb.837:                              ;   in Loop: Header=BB195_478 Depth=1
	v_and_b32_sdwa v5, v93, v47 dst_sel:DWORD dst_unused:UNUSED_PAD src0_sel:WORD_1 src1_sel:DWORD
	v_lshrrev_b32_e32 v11, 3, v13
	s_mov_b32 s17, exec_lo
	v_cmpx_gt_u32_e32 8, v13
; %bb.838:                              ;   in Loop: Header=BB195_478 Depth=1
	v_ffbh_u32_e32 v11, v5
	v_min_u32_e32 v11, 32, v11
	v_subrev_nc_u32_e32 v13, 28, v11
	v_sub_nc_u32_e32 v11, 29, v11
	v_lshlrev_b64 v[21:22], v13, v[5:6]
	v_and_b32_e32 v5, 7, v21
; %bb.839:                              ;   in Loop: Header=BB195_478 Depth=1
	s_or_b32 exec_lo, exec_lo, s17
	v_lshlrev_b32_sdwa v13, v48, v93 dst_sel:DWORD dst_unused:UNUSED_PAD src0_sel:DWORD src1_sel:WORD_1
	v_lshlrev_b32_e32 v5, 20, v5
	v_lshl_add_u32 v11, v11, 23, 0x3c000000
	v_and_b32_e32 v13, 0x80000000, v13
	v_or3_b32 v5, v5, v13, v11
	v_mov_b32_e32 v22, v6
	v_mov_b32_e32 v21, v5
.LBB195_840:                            ;   in Loop: Header=BB195_478 Depth=1
	s_or_b32 exec_lo, exec_lo, s16
.LBB195_841:                            ;   in Loop: Header=BB195_478 Depth=1
	s_or_b32 exec_lo, exec_lo, s15
.LBB195_842:                            ;   in Loop: Header=BB195_478 Depth=1
	s_or_b32 exec_lo, exec_lo, s14
	s_mov_b32 s14, exec_lo
	v_cmpx_lt_u32_e32 0xffffff, v93
	s_cbranch_execz .LBB195_850
; %bb.843:                              ;   in Loop: Header=BB195_478 Depth=1
	v_mov_b32_e32 v11, v6
	v_mov_b32_e32 v24, v12
	v_cmp_ne_u32_sdwa s0, v93, v44 src0_sel:BYTE_3 src1_sel:DWORD
	v_mov_b32_e32 v23, v11
	s_and_saveexec_b32 s15, s0
	s_cbranch_execz .LBB195_849
; %bb.844:                              ;   in Loop: Header=BB195_478 Depth=1
	v_mov_b32_e32 v13, v6
	v_mov_b32_e32 v24, v14
	v_bfe_u32 v94, v93, 24, 7
	s_mov_b32 s16, exec_lo
	v_mov_b32_e32 v23, v13
	v_cmpx_ne_u32_e32 0x7f, v94
	s_cbranch_execz .LBB195_848
; %bb.845:                              ;   in Loop: Header=BB195_478 Depth=1
	v_and_b32_sdwa v5, v93, v47 dst_sel:DWORD dst_unused:UNUSED_PAD src0_sel:BYTE_3 src1_sel:DWORD
	v_lshrrev_b32_e32 v11, 3, v94
	s_mov_b32 s17, exec_lo
	v_cmpx_gt_u32_e32 8, v94
; %bb.846:                              ;   in Loop: Header=BB195_478 Depth=1
	v_ffbh_u32_e32 v11, v5
	v_min_u32_e32 v11, 32, v11
	v_subrev_nc_u32_e32 v13, 28, v11
	v_sub_nc_u32_e32 v11, 29, v11
	v_lshlrev_b64 v[23:24], v13, v[5:6]
	v_and_b32_e32 v5, 7, v23
; %bb.847:                              ;   in Loop: Header=BB195_478 Depth=1
	s_or_b32 exec_lo, exec_lo, s17
	v_lshlrev_b32_sdwa v13, v48, v93 dst_sel:DWORD dst_unused:UNUSED_PAD src0_sel:DWORD src1_sel:BYTE_3
	v_lshlrev_b32_e32 v5, 20, v5
	v_lshl_add_u32 v11, v11, 23, 0x3c000000
	v_mov_b32_e32 v23, v6
	v_and_b32_e32 v13, 0x80000000, v13
	v_or3_b32 v24, v5, v13, v11
.LBB195_848:                            ;   in Loop: Header=BB195_478 Depth=1
	s_or_b32 exec_lo, exec_lo, s16
.LBB195_849:                            ;   in Loop: Header=BB195_478 Depth=1
	s_or_b32 exec_lo, exec_lo, s15
.LBB195_850:                            ;   in Loop: Header=BB195_478 Depth=1
	s_or_b32 exec_lo, exec_lo, s14
	v_or_b32_e32 v5, v20, v18
	v_or_b32_e32 v11, v19, v17
	;; [unrolled: 1-line block ×4, first 2 shown]
	v_mul_f32_e32 v95, s13, v5
	v_mul_f32_e32 v96, s2, v11
	v_mul_f32_e32 v94, s2, v13
	v_mul_f32_e32 v93, s13, v17
	s_and_saveexec_b32 s14, vcc_lo
	s_cbranch_execz .LBB195_852
; %bb.851:                              ;   in Loop: Header=BB195_478 Depth=1
	v_cmp_gt_i32_e64 s0, s11, v54
	v_cndmask_b32_e64 v96, 0, v96, s0
	v_cmp_gt_i32_e64 s0, s11, v56
	v_cndmask_b32_e64 v95, 0, v95, s0
	v_cmp_gt_i32_e64 s0, s11, v55
	v_cndmask_b32_e64 v94, 0, v94, s0
	v_cmp_gt_i32_e64 s0, s11, v42
	v_cndmask_b32_e64 v93, 0, v93, s0
.LBB195_852:                            ;   in Loop: Header=BB195_478 Depth=1
	s_or_b32 exec_lo, exec_lo, s14
	global_load_dword v97, v[15:16], off offset:1408
	v_mov_b32_e32 v19, 0
	v_mov_b32_e32 v17, 0
	;; [unrolled: 1-line block ×4, first 2 shown]
	s_waitcnt vmcnt(0)
	v_cmp_ne_u16_sdwa s0, v97, v6 src0_sel:BYTE_0 src1_sel:DWORD
	s_and_saveexec_b32 s14, s0
	s_cbranch_execz .LBB195_860
; %bb.853:                              ;   in Loop: Header=BB195_478 Depth=1
	v_bfrev_b32_e32 v17, 1
	v_mov_b32_e32 v18, 0
	v_cmp_ne_u16_sdwa s0, v97, v44 src0_sel:BYTE_0 src1_sel:DWORD
	s_and_saveexec_b32 s15, s0
	s_cbranch_execz .LBB195_859
; %bb.854:                              ;   in Loop: Header=BB195_478 Depth=1
	v_mov_b32_e32 v17, 0x7f800001
	v_and_b32_e32 v13, 0x7f, v97
	v_mov_b32_e32 v18, 0
	s_mov_b32 s16, exec_lo
	v_cmpx_ne_u32_e32 0x7f, v13
	s_cbranch_execz .LBB195_858
; %bb.855:                              ;   in Loop: Header=BB195_478 Depth=1
	v_and_b32_e32 v5, 7, v97
	v_lshrrev_b32_e32 v11, 3, v13
	s_mov_b32 s17, exec_lo
	v_cmpx_gt_u32_e32 8, v13
; %bb.856:                              ;   in Loop: Header=BB195_478 Depth=1
	v_ffbh_u32_e32 v11, v5
	v_min_u32_e32 v11, 32, v11
	v_subrev_nc_u32_e32 v13, 28, v11
	v_sub_nc_u32_e32 v11, 29, v11
	v_lshlrev_b64 v[17:18], v13, v[5:6]
	v_and_b32_e32 v5, 7, v17
; %bb.857:                              ;   in Loop: Header=BB195_478 Depth=1
	s_or_b32 exec_lo, exec_lo, s17
	v_lshlrev_b32_e32 v13, 24, v97
	v_lshlrev_b32_e32 v5, 20, v5
	v_lshl_add_u32 v11, v11, 23, 0x3c000000
	v_and_b32_e32 v13, 0x80000000, v13
	v_or3_b32 v5, v5, v13, v11
	v_mov_b32_e32 v18, v6
	v_mov_b32_e32 v17, v5
.LBB195_858:                            ;   in Loop: Header=BB195_478 Depth=1
	s_or_b32 exec_lo, exec_lo, s16
.LBB195_859:                            ;   in Loop: Header=BB195_478 Depth=1
	s_or_b32 exec_lo, exec_lo, s15
.LBB195_860:                            ;   in Loop: Header=BB195_478 Depth=1
	s_or_b32 exec_lo, exec_lo, s14
	v_cmp_ne_u16_sdwa s0, v97, v6 src0_sel:BYTE_1 src1_sel:DWORD
	s_and_saveexec_b32 s14, s0
	s_cbranch_execz .LBB195_868
; %bb.861:                              ;   in Loop: Header=BB195_478 Depth=1
	v_mov_b32_e32 v11, v6
	v_mov_b32_e32 v20, v12
	v_cmp_ne_u16_sdwa s0, v97, v44 src0_sel:BYTE_1 src1_sel:DWORD
	v_mov_b32_e32 v19, v11
	s_and_saveexec_b32 s15, s0
	s_cbranch_execz .LBB195_867
; %bb.862:                              ;   in Loop: Header=BB195_478 Depth=1
	v_and_b32_sdwa v5, v45, v97 dst_sel:DWORD dst_unused:UNUSED_PAD src0_sel:DWORD src1_sel:BYTE_1
	v_mov_b32_e32 v13, v6
	v_mov_b32_e32 v20, v14
	s_mov_b32 s16, exec_lo
	v_and_b32_e32 v21, 0x7f, v5
	v_mov_b32_e32 v19, v13
	v_cmpx_ne_u32_e32 0x7f, v21
	s_cbranch_execz .LBB195_866
; %bb.863:                              ;   in Loop: Header=BB195_478 Depth=1
	v_and_b32_e32 v5, 7, v5
	v_lshrrev_b32_e32 v11, 3, v21
	s_mov_b32 s17, exec_lo
	v_cmpx_gt_u32_e32 8, v21
; %bb.864:                              ;   in Loop: Header=BB195_478 Depth=1
	v_ffbh_u32_e32 v11, v5
	v_min_u32_e32 v11, 32, v11
	v_subrev_nc_u32_e32 v13, 28, v11
	v_sub_nc_u32_e32 v11, 29, v11
	v_lshlrev_b64 v[19:20], v13, v[5:6]
	v_and_b32_e32 v5, 7, v19
; %bb.865:                              ;   in Loop: Header=BB195_478 Depth=1
	s_or_b32 exec_lo, exec_lo, s17
	v_lshlrev_b32_e32 v13, 16, v97
	v_lshlrev_b32_e32 v5, 20, v5
	v_lshl_add_u32 v11, v11, 23, 0x3c000000
	v_mov_b32_e32 v19, v6
	v_and_b32_e32 v13, 0x80000000, v13
	v_or3_b32 v20, v5, v13, v11
.LBB195_866:                            ;   in Loop: Header=BB195_478 Depth=1
	s_or_b32 exec_lo, exec_lo, s16
.LBB195_867:                            ;   in Loop: Header=BB195_478 Depth=1
	s_or_b32 exec_lo, exec_lo, s15
.LBB195_868:                            ;   in Loop: Header=BB195_478 Depth=1
	s_or_b32 exec_lo, exec_lo, s14
	v_mov_b32_e32 v23, 0
	v_mov_b32_e32 v21, 0
	v_and_b32_sdwa v5, v97, v46 dst_sel:DWORD dst_unused:UNUSED_PAD src0_sel:WORD_1 src1_sel:DWORD
	v_mov_b32_e32 v24, 0
	v_mov_b32_e32 v22, 0
	s_mov_b32 s14, exec_lo
	v_cmpx_ne_u16_e32 0, v5
	s_cbranch_execz .LBB195_876
; %bb.869:                              ;   in Loop: Header=BB195_478 Depth=1
	v_bfrev_b32_e32 v21, 1
	v_mov_b32_e32 v22, 0
	s_mov_b32 s15, exec_lo
	v_cmpx_ne_u16_e32 0x80, v5
	s_cbranch_execz .LBB195_875
; %bb.870:                              ;   in Loop: Header=BB195_478 Depth=1
	v_mov_b32_e32 v21, 0x7f800001
	v_bfe_u32 v13, v97, 16, 7
	v_mov_b32_e32 v22, 0
	s_mov_b32 s16, exec_lo
	v_cmpx_ne_u32_e32 0x7f, v13
	s_cbranch_execz .LBB195_874
; %bb.871:                              ;   in Loop: Header=BB195_478 Depth=1
	v_and_b32_sdwa v5, v97, v47 dst_sel:DWORD dst_unused:UNUSED_PAD src0_sel:WORD_1 src1_sel:DWORD
	v_lshrrev_b32_e32 v11, 3, v13
	s_mov_b32 s17, exec_lo
	v_cmpx_gt_u32_e32 8, v13
; %bb.872:                              ;   in Loop: Header=BB195_478 Depth=1
	v_ffbh_u32_e32 v11, v5
	v_min_u32_e32 v11, 32, v11
	v_subrev_nc_u32_e32 v13, 28, v11
	v_sub_nc_u32_e32 v11, 29, v11
	v_lshlrev_b64 v[21:22], v13, v[5:6]
	v_and_b32_e32 v5, 7, v21
; %bb.873:                              ;   in Loop: Header=BB195_478 Depth=1
	s_or_b32 exec_lo, exec_lo, s17
	v_lshlrev_b32_sdwa v13, v48, v97 dst_sel:DWORD dst_unused:UNUSED_PAD src0_sel:DWORD src1_sel:WORD_1
	v_lshlrev_b32_e32 v5, 20, v5
	v_lshl_add_u32 v11, v11, 23, 0x3c000000
	v_and_b32_e32 v13, 0x80000000, v13
	v_or3_b32 v5, v5, v13, v11
	v_mov_b32_e32 v22, v6
	v_mov_b32_e32 v21, v5
.LBB195_874:                            ;   in Loop: Header=BB195_478 Depth=1
	s_or_b32 exec_lo, exec_lo, s16
.LBB195_875:                            ;   in Loop: Header=BB195_478 Depth=1
	s_or_b32 exec_lo, exec_lo, s15
.LBB195_876:                            ;   in Loop: Header=BB195_478 Depth=1
	s_or_b32 exec_lo, exec_lo, s14
	s_mov_b32 s14, exec_lo
	v_cmpx_lt_u32_e32 0xffffff, v97
	s_cbranch_execz .LBB195_884
; %bb.877:                              ;   in Loop: Header=BB195_478 Depth=1
	v_mov_b32_e32 v11, v6
	v_mov_b32_e32 v24, v12
	v_cmp_ne_u32_sdwa s0, v97, v44 src0_sel:BYTE_3 src1_sel:DWORD
	v_mov_b32_e32 v23, v11
	s_and_saveexec_b32 s15, s0
	s_cbranch_execz .LBB195_883
; %bb.878:                              ;   in Loop: Header=BB195_478 Depth=1
	v_mov_b32_e32 v13, v6
	v_mov_b32_e32 v24, v14
	v_bfe_u32 v98, v97, 24, 7
	s_mov_b32 s16, exec_lo
	v_mov_b32_e32 v23, v13
	v_cmpx_ne_u32_e32 0x7f, v98
	s_cbranch_execz .LBB195_882
; %bb.879:                              ;   in Loop: Header=BB195_478 Depth=1
	v_and_b32_sdwa v5, v97, v47 dst_sel:DWORD dst_unused:UNUSED_PAD src0_sel:BYTE_3 src1_sel:DWORD
	v_lshrrev_b32_e32 v11, 3, v98
	s_mov_b32 s17, exec_lo
	v_cmpx_gt_u32_e32 8, v98
; %bb.880:                              ;   in Loop: Header=BB195_478 Depth=1
	v_ffbh_u32_e32 v11, v5
	v_min_u32_e32 v11, 32, v11
	v_subrev_nc_u32_e32 v13, 28, v11
	v_sub_nc_u32_e32 v11, 29, v11
	v_lshlrev_b64 v[23:24], v13, v[5:6]
	v_and_b32_e32 v5, 7, v23
; %bb.881:                              ;   in Loop: Header=BB195_478 Depth=1
	s_or_b32 exec_lo, exec_lo, s17
	v_lshlrev_b32_sdwa v13, v48, v97 dst_sel:DWORD dst_unused:UNUSED_PAD src0_sel:DWORD src1_sel:BYTE_3
	v_lshlrev_b32_e32 v5, 20, v5
	v_lshl_add_u32 v11, v11, 23, 0x3c000000
	v_mov_b32_e32 v23, v6
	v_and_b32_e32 v13, 0x80000000, v13
	v_or3_b32 v24, v5, v13, v11
.LBB195_882:                            ;   in Loop: Header=BB195_478 Depth=1
	s_or_b32 exec_lo, exec_lo, s16
.LBB195_883:                            ;   in Loop: Header=BB195_478 Depth=1
	s_or_b32 exec_lo, exec_lo, s15
.LBB195_884:                            ;   in Loop: Header=BB195_478 Depth=1
	s_or_b32 exec_lo, exec_lo, s14
	v_or_b32_e32 v5, v20, v18
	v_or_b32_e32 v11, v19, v17
	;; [unrolled: 1-line block ×4, first 2 shown]
	v_mul_f32_e32 v99, s13, v5
	v_mul_f32_e32 v100, s2, v11
	v_mul_f32_e32 v98, s2, v13
	v_mul_f32_e32 v97, s13, v17
	s_and_saveexec_b32 s14, vcc_lo
	s_cbranch_execz .LBB195_886
; %bb.885:                              ;   in Loop: Header=BB195_478 Depth=1
	v_cmp_gt_i32_e64 s0, s11, v54
	v_cndmask_b32_e64 v100, 0, v100, s0
	v_cmp_gt_i32_e64 s0, s11, v56
	v_cndmask_b32_e64 v99, 0, v99, s0
	;; [unrolled: 2-line block ×4, first 2 shown]
.LBB195_886:                            ;   in Loop: Header=BB195_478 Depth=1
	s_or_b32 exec_lo, exec_lo, s14
	global_load_dword v101, v[15:16], off offset:1536
	v_mov_b32_e32 v19, 0
	v_mov_b32_e32 v17, 0
	;; [unrolled: 1-line block ×4, first 2 shown]
	s_waitcnt vmcnt(0)
	v_cmp_ne_u16_sdwa s0, v101, v6 src0_sel:BYTE_0 src1_sel:DWORD
	s_and_saveexec_b32 s14, s0
	s_cbranch_execz .LBB195_894
; %bb.887:                              ;   in Loop: Header=BB195_478 Depth=1
	v_bfrev_b32_e32 v17, 1
	v_mov_b32_e32 v18, 0
	v_cmp_ne_u16_sdwa s0, v101, v44 src0_sel:BYTE_0 src1_sel:DWORD
	s_and_saveexec_b32 s15, s0
	s_cbranch_execz .LBB195_893
; %bb.888:                              ;   in Loop: Header=BB195_478 Depth=1
	v_mov_b32_e32 v17, 0x7f800001
	v_and_b32_e32 v13, 0x7f, v101
	v_mov_b32_e32 v18, 0
	s_mov_b32 s16, exec_lo
	v_cmpx_ne_u32_e32 0x7f, v13
	s_cbranch_execz .LBB195_892
; %bb.889:                              ;   in Loop: Header=BB195_478 Depth=1
	v_and_b32_e32 v5, 7, v101
	v_lshrrev_b32_e32 v11, 3, v13
	s_mov_b32 s17, exec_lo
	v_cmpx_gt_u32_e32 8, v13
; %bb.890:                              ;   in Loop: Header=BB195_478 Depth=1
	v_ffbh_u32_e32 v11, v5
	v_min_u32_e32 v11, 32, v11
	v_subrev_nc_u32_e32 v13, 28, v11
	v_sub_nc_u32_e32 v11, 29, v11
	v_lshlrev_b64 v[17:18], v13, v[5:6]
	v_and_b32_e32 v5, 7, v17
; %bb.891:                              ;   in Loop: Header=BB195_478 Depth=1
	s_or_b32 exec_lo, exec_lo, s17
	v_lshlrev_b32_e32 v13, 24, v101
	v_lshlrev_b32_e32 v5, 20, v5
	v_lshl_add_u32 v11, v11, 23, 0x3c000000
	v_and_b32_e32 v13, 0x80000000, v13
	v_or3_b32 v5, v5, v13, v11
	v_mov_b32_e32 v18, v6
	v_mov_b32_e32 v17, v5
.LBB195_892:                            ;   in Loop: Header=BB195_478 Depth=1
	s_or_b32 exec_lo, exec_lo, s16
.LBB195_893:                            ;   in Loop: Header=BB195_478 Depth=1
	s_or_b32 exec_lo, exec_lo, s15
.LBB195_894:                            ;   in Loop: Header=BB195_478 Depth=1
	s_or_b32 exec_lo, exec_lo, s14
	v_cmp_ne_u16_sdwa s0, v101, v6 src0_sel:BYTE_1 src1_sel:DWORD
	s_and_saveexec_b32 s14, s0
	s_cbranch_execz .LBB195_902
; %bb.895:                              ;   in Loop: Header=BB195_478 Depth=1
	v_mov_b32_e32 v11, v6
	v_mov_b32_e32 v20, v12
	v_cmp_ne_u16_sdwa s0, v101, v44 src0_sel:BYTE_1 src1_sel:DWORD
	v_mov_b32_e32 v19, v11
	s_and_saveexec_b32 s15, s0
	s_cbranch_execz .LBB195_901
; %bb.896:                              ;   in Loop: Header=BB195_478 Depth=1
	v_and_b32_sdwa v5, v45, v101 dst_sel:DWORD dst_unused:UNUSED_PAD src0_sel:DWORD src1_sel:BYTE_1
	v_mov_b32_e32 v13, v6
	v_mov_b32_e32 v20, v14
	s_mov_b32 s16, exec_lo
	v_and_b32_e32 v21, 0x7f, v5
	v_mov_b32_e32 v19, v13
	v_cmpx_ne_u32_e32 0x7f, v21
	s_cbranch_execz .LBB195_900
; %bb.897:                              ;   in Loop: Header=BB195_478 Depth=1
	v_and_b32_e32 v5, 7, v5
	v_lshrrev_b32_e32 v11, 3, v21
	s_mov_b32 s17, exec_lo
	v_cmpx_gt_u32_e32 8, v21
; %bb.898:                              ;   in Loop: Header=BB195_478 Depth=1
	v_ffbh_u32_e32 v11, v5
	v_min_u32_e32 v11, 32, v11
	v_subrev_nc_u32_e32 v13, 28, v11
	v_sub_nc_u32_e32 v11, 29, v11
	v_lshlrev_b64 v[19:20], v13, v[5:6]
	v_and_b32_e32 v5, 7, v19
; %bb.899:                              ;   in Loop: Header=BB195_478 Depth=1
	s_or_b32 exec_lo, exec_lo, s17
	v_lshlrev_b32_e32 v13, 16, v101
	v_lshlrev_b32_e32 v5, 20, v5
	v_lshl_add_u32 v11, v11, 23, 0x3c000000
	v_mov_b32_e32 v19, v6
	v_and_b32_e32 v13, 0x80000000, v13
	v_or3_b32 v20, v5, v13, v11
.LBB195_900:                            ;   in Loop: Header=BB195_478 Depth=1
	s_or_b32 exec_lo, exec_lo, s16
.LBB195_901:                            ;   in Loop: Header=BB195_478 Depth=1
	s_or_b32 exec_lo, exec_lo, s15
.LBB195_902:                            ;   in Loop: Header=BB195_478 Depth=1
	s_or_b32 exec_lo, exec_lo, s14
	v_mov_b32_e32 v23, 0
	v_mov_b32_e32 v21, 0
	v_and_b32_sdwa v5, v101, v46 dst_sel:DWORD dst_unused:UNUSED_PAD src0_sel:WORD_1 src1_sel:DWORD
	v_mov_b32_e32 v24, 0
	v_mov_b32_e32 v22, 0
	s_mov_b32 s14, exec_lo
	v_cmpx_ne_u16_e32 0, v5
	s_cbranch_execz .LBB195_910
; %bb.903:                              ;   in Loop: Header=BB195_478 Depth=1
	v_bfrev_b32_e32 v21, 1
	v_mov_b32_e32 v22, 0
	s_mov_b32 s15, exec_lo
	v_cmpx_ne_u16_e32 0x80, v5
	s_cbranch_execz .LBB195_909
; %bb.904:                              ;   in Loop: Header=BB195_478 Depth=1
	v_mov_b32_e32 v21, 0x7f800001
	v_bfe_u32 v13, v101, 16, 7
	v_mov_b32_e32 v22, 0
	s_mov_b32 s16, exec_lo
	v_cmpx_ne_u32_e32 0x7f, v13
	s_cbranch_execz .LBB195_908
; %bb.905:                              ;   in Loop: Header=BB195_478 Depth=1
	v_and_b32_sdwa v5, v101, v47 dst_sel:DWORD dst_unused:UNUSED_PAD src0_sel:WORD_1 src1_sel:DWORD
	v_lshrrev_b32_e32 v11, 3, v13
	s_mov_b32 s17, exec_lo
	v_cmpx_gt_u32_e32 8, v13
; %bb.906:                              ;   in Loop: Header=BB195_478 Depth=1
	v_ffbh_u32_e32 v11, v5
	v_min_u32_e32 v11, 32, v11
	v_subrev_nc_u32_e32 v13, 28, v11
	v_sub_nc_u32_e32 v11, 29, v11
	v_lshlrev_b64 v[21:22], v13, v[5:6]
	v_and_b32_e32 v5, 7, v21
; %bb.907:                              ;   in Loop: Header=BB195_478 Depth=1
	s_or_b32 exec_lo, exec_lo, s17
	v_lshlrev_b32_sdwa v13, v48, v101 dst_sel:DWORD dst_unused:UNUSED_PAD src0_sel:DWORD src1_sel:WORD_1
	v_lshlrev_b32_e32 v5, 20, v5
	v_lshl_add_u32 v11, v11, 23, 0x3c000000
	v_and_b32_e32 v13, 0x80000000, v13
	v_or3_b32 v5, v5, v13, v11
	v_mov_b32_e32 v22, v6
	v_mov_b32_e32 v21, v5
.LBB195_908:                            ;   in Loop: Header=BB195_478 Depth=1
	s_or_b32 exec_lo, exec_lo, s16
.LBB195_909:                            ;   in Loop: Header=BB195_478 Depth=1
	s_or_b32 exec_lo, exec_lo, s15
.LBB195_910:                            ;   in Loop: Header=BB195_478 Depth=1
	s_or_b32 exec_lo, exec_lo, s14
	s_mov_b32 s14, exec_lo
	v_cmpx_lt_u32_e32 0xffffff, v101
	s_cbranch_execz .LBB195_918
; %bb.911:                              ;   in Loop: Header=BB195_478 Depth=1
	v_mov_b32_e32 v11, v6
	v_mov_b32_e32 v24, v12
	v_cmp_ne_u32_sdwa s0, v101, v44 src0_sel:BYTE_3 src1_sel:DWORD
	v_mov_b32_e32 v23, v11
	s_and_saveexec_b32 s15, s0
	s_cbranch_execz .LBB195_917
; %bb.912:                              ;   in Loop: Header=BB195_478 Depth=1
	v_mov_b32_e32 v13, v6
	v_mov_b32_e32 v24, v14
	v_bfe_u32 v102, v101, 24, 7
	s_mov_b32 s16, exec_lo
	v_mov_b32_e32 v23, v13
	v_cmpx_ne_u32_e32 0x7f, v102
	s_cbranch_execz .LBB195_916
; %bb.913:                              ;   in Loop: Header=BB195_478 Depth=1
	v_and_b32_sdwa v5, v101, v47 dst_sel:DWORD dst_unused:UNUSED_PAD src0_sel:BYTE_3 src1_sel:DWORD
	v_lshrrev_b32_e32 v11, 3, v102
	s_mov_b32 s17, exec_lo
	v_cmpx_gt_u32_e32 8, v102
; %bb.914:                              ;   in Loop: Header=BB195_478 Depth=1
	v_ffbh_u32_e32 v11, v5
	v_min_u32_e32 v11, 32, v11
	v_subrev_nc_u32_e32 v13, 28, v11
	v_sub_nc_u32_e32 v11, 29, v11
	v_lshlrev_b64 v[23:24], v13, v[5:6]
	v_and_b32_e32 v5, 7, v23
; %bb.915:                              ;   in Loop: Header=BB195_478 Depth=1
	s_or_b32 exec_lo, exec_lo, s17
	v_lshlrev_b32_sdwa v13, v48, v101 dst_sel:DWORD dst_unused:UNUSED_PAD src0_sel:DWORD src1_sel:BYTE_3
	v_lshlrev_b32_e32 v5, 20, v5
	v_lshl_add_u32 v11, v11, 23, 0x3c000000
	v_mov_b32_e32 v23, v6
	v_and_b32_e32 v13, 0x80000000, v13
	v_or3_b32 v24, v5, v13, v11
.LBB195_916:                            ;   in Loop: Header=BB195_478 Depth=1
	s_or_b32 exec_lo, exec_lo, s16
.LBB195_917:                            ;   in Loop: Header=BB195_478 Depth=1
	s_or_b32 exec_lo, exec_lo, s15
.LBB195_918:                            ;   in Loop: Header=BB195_478 Depth=1
	s_or_b32 exec_lo, exec_lo, s14
	v_or_b32_e32 v5, v20, v18
	v_or_b32_e32 v11, v19, v17
	;; [unrolled: 1-line block ×4, first 2 shown]
	v_mul_f32_e32 v101, s13, v5
	v_mul_f32_e32 v102, s2, v11
	;; [unrolled: 1-line block ×4, first 2 shown]
	s_and_saveexec_b32 s14, vcc_lo
	s_cbranch_execz .LBB195_920
; %bb.919:                              ;   in Loop: Header=BB195_478 Depth=1
	v_cmp_gt_i32_e64 s0, s11, v54
	v_cndmask_b32_e64 v102, 0, v102, s0
	v_cmp_gt_i32_e64 s0, s11, v56
	v_cndmask_b32_e64 v101, 0, v101, s0
	;; [unrolled: 2-line block ×4, first 2 shown]
.LBB195_920:                            ;   in Loop: Header=BB195_478 Depth=1
	s_or_b32 exec_lo, exec_lo, s14
	global_load_dword v103, v[15:16], off offset:1664
	v_mov_b32_e32 v17, 0
	v_mov_b32_e32 v15, 0
	;; [unrolled: 1-line block ×4, first 2 shown]
	s_waitcnt vmcnt(0)
	v_cmp_ne_u16_sdwa s0, v103, v6 src0_sel:BYTE_0 src1_sel:DWORD
	s_and_saveexec_b32 s14, s0
	s_cbranch_execz .LBB195_928
; %bb.921:                              ;   in Loop: Header=BB195_478 Depth=1
	v_bfrev_b32_e32 v15, 1
	v_mov_b32_e32 v16, 0
	v_cmp_ne_u16_sdwa s0, v103, v44 src0_sel:BYTE_0 src1_sel:DWORD
	s_and_saveexec_b32 s15, s0
	s_cbranch_execz .LBB195_927
; %bb.922:                              ;   in Loop: Header=BB195_478 Depth=1
	v_mov_b32_e32 v15, 0x7f800001
	v_and_b32_e32 v13, 0x7f, v103
	v_mov_b32_e32 v16, 0
	s_mov_b32 s16, exec_lo
	v_cmpx_ne_u32_e32 0x7f, v13
	s_cbranch_execz .LBB195_926
; %bb.923:                              ;   in Loop: Header=BB195_478 Depth=1
	v_and_b32_e32 v5, 7, v103
	v_lshrrev_b32_e32 v11, 3, v13
	s_mov_b32 s17, exec_lo
	v_cmpx_gt_u32_e32 8, v13
; %bb.924:                              ;   in Loop: Header=BB195_478 Depth=1
	v_ffbh_u32_e32 v11, v5
	v_min_u32_e32 v11, 32, v11
	v_subrev_nc_u32_e32 v13, 28, v11
	v_sub_nc_u32_e32 v11, 29, v11
	v_lshlrev_b64 v[15:16], v13, v[5:6]
	v_and_b32_e32 v5, 7, v15
; %bb.925:                              ;   in Loop: Header=BB195_478 Depth=1
	s_or_b32 exec_lo, exec_lo, s17
	v_lshlrev_b32_e32 v13, 24, v103
	v_lshlrev_b32_e32 v5, 20, v5
	v_lshl_add_u32 v11, v11, 23, 0x3c000000
	v_and_b32_e32 v13, 0x80000000, v13
	v_or3_b32 v5, v5, v13, v11
	v_mov_b32_e32 v16, v6
	v_mov_b32_e32 v15, v5
.LBB195_926:                            ;   in Loop: Header=BB195_478 Depth=1
	s_or_b32 exec_lo, exec_lo, s16
.LBB195_927:                            ;   in Loop: Header=BB195_478 Depth=1
	s_or_b32 exec_lo, exec_lo, s15
.LBB195_928:                            ;   in Loop: Header=BB195_478 Depth=1
	s_or_b32 exec_lo, exec_lo, s14
	v_cmp_ne_u16_sdwa s0, v103, v6 src0_sel:BYTE_1 src1_sel:DWORD
	s_and_saveexec_b32 s14, s0
	s_cbranch_execz .LBB195_936
; %bb.929:                              ;   in Loop: Header=BB195_478 Depth=1
	v_mov_b32_e32 v11, v6
	v_mov_b32_e32 v18, v12
	v_cmp_ne_u16_sdwa s0, v103, v44 src0_sel:BYTE_1 src1_sel:DWORD
	v_mov_b32_e32 v17, v11
	s_and_saveexec_b32 s15, s0
	s_cbranch_execz .LBB195_935
; %bb.930:                              ;   in Loop: Header=BB195_478 Depth=1
	v_and_b32_sdwa v5, v45, v103 dst_sel:DWORD dst_unused:UNUSED_PAD src0_sel:DWORD src1_sel:BYTE_1
	v_mov_b32_e32 v13, v6
	v_mov_b32_e32 v18, v14
	s_mov_b32 s16, exec_lo
	v_and_b32_e32 v19, 0x7f, v5
	v_mov_b32_e32 v17, v13
	v_cmpx_ne_u32_e32 0x7f, v19
	s_cbranch_execz .LBB195_934
; %bb.931:                              ;   in Loop: Header=BB195_478 Depth=1
	v_and_b32_e32 v5, 7, v5
	v_lshrrev_b32_e32 v11, 3, v19
	s_mov_b32 s17, exec_lo
	v_cmpx_gt_u32_e32 8, v19
; %bb.932:                              ;   in Loop: Header=BB195_478 Depth=1
	v_ffbh_u32_e32 v11, v5
	v_min_u32_e32 v11, 32, v11
	v_subrev_nc_u32_e32 v13, 28, v11
	v_sub_nc_u32_e32 v11, 29, v11
	v_lshlrev_b64 v[17:18], v13, v[5:6]
	v_and_b32_e32 v5, 7, v17
; %bb.933:                              ;   in Loop: Header=BB195_478 Depth=1
	s_or_b32 exec_lo, exec_lo, s17
	v_lshlrev_b32_e32 v13, 16, v103
	v_lshlrev_b32_e32 v5, 20, v5
	v_lshl_add_u32 v11, v11, 23, 0x3c000000
	v_mov_b32_e32 v17, v6
	v_and_b32_e32 v13, 0x80000000, v13
	v_or3_b32 v18, v5, v13, v11
.LBB195_934:                            ;   in Loop: Header=BB195_478 Depth=1
	s_or_b32 exec_lo, exec_lo, s16
.LBB195_935:                            ;   in Loop: Header=BB195_478 Depth=1
	s_or_b32 exec_lo, exec_lo, s15
.LBB195_936:                            ;   in Loop: Header=BB195_478 Depth=1
	s_or_b32 exec_lo, exec_lo, s14
	v_mov_b32_e32 v21, 0
	v_mov_b32_e32 v19, 0
	v_and_b32_sdwa v5, v103, v46 dst_sel:DWORD dst_unused:UNUSED_PAD src0_sel:WORD_1 src1_sel:DWORD
	v_mov_b32_e32 v22, 0
	v_mov_b32_e32 v20, 0
	s_mov_b32 s14, exec_lo
	v_cmpx_ne_u16_e32 0, v5
	s_cbranch_execz .LBB195_944
; %bb.937:                              ;   in Loop: Header=BB195_478 Depth=1
	v_bfrev_b32_e32 v19, 1
	v_mov_b32_e32 v20, 0
	s_mov_b32 s15, exec_lo
	v_cmpx_ne_u16_e32 0x80, v5
	s_cbranch_execz .LBB195_943
; %bb.938:                              ;   in Loop: Header=BB195_478 Depth=1
	v_mov_b32_e32 v19, 0x7f800001
	v_bfe_u32 v13, v103, 16, 7
	v_mov_b32_e32 v20, 0
	s_mov_b32 s16, exec_lo
	v_cmpx_ne_u32_e32 0x7f, v13
	s_cbranch_execz .LBB195_942
; %bb.939:                              ;   in Loop: Header=BB195_478 Depth=1
	v_and_b32_sdwa v5, v103, v47 dst_sel:DWORD dst_unused:UNUSED_PAD src0_sel:WORD_1 src1_sel:DWORD
	v_lshrrev_b32_e32 v11, 3, v13
	s_mov_b32 s17, exec_lo
	v_cmpx_gt_u32_e32 8, v13
; %bb.940:                              ;   in Loop: Header=BB195_478 Depth=1
	v_ffbh_u32_e32 v11, v5
	v_min_u32_e32 v11, 32, v11
	v_subrev_nc_u32_e32 v13, 28, v11
	v_sub_nc_u32_e32 v11, 29, v11
	v_lshlrev_b64 v[19:20], v13, v[5:6]
	v_and_b32_e32 v5, 7, v19
; %bb.941:                              ;   in Loop: Header=BB195_478 Depth=1
	s_or_b32 exec_lo, exec_lo, s17
	v_lshlrev_b32_sdwa v13, v48, v103 dst_sel:DWORD dst_unused:UNUSED_PAD src0_sel:DWORD src1_sel:WORD_1
	v_lshlrev_b32_e32 v5, 20, v5
	v_lshl_add_u32 v11, v11, 23, 0x3c000000
	v_and_b32_e32 v13, 0x80000000, v13
	v_or3_b32 v5, v5, v13, v11
	v_mov_b32_e32 v20, v6
	v_mov_b32_e32 v19, v5
.LBB195_942:                            ;   in Loop: Header=BB195_478 Depth=1
	s_or_b32 exec_lo, exec_lo, s16
.LBB195_943:                            ;   in Loop: Header=BB195_478 Depth=1
	s_or_b32 exec_lo, exec_lo, s15
.LBB195_944:                            ;   in Loop: Header=BB195_478 Depth=1
	s_or_b32 exec_lo, exec_lo, s14
	s_mov_b32 s14, exec_lo
	v_cmpx_lt_u32_e32 0xffffff, v103
	s_cbranch_execz .LBB195_952
; %bb.945:                              ;   in Loop: Header=BB195_478 Depth=1
	v_mov_b32_e32 v11, v6
	v_mov_b32_e32 v22, v12
	v_cmp_ne_u32_sdwa s0, v103, v44 src0_sel:BYTE_3 src1_sel:DWORD
	v_mov_b32_e32 v21, v11
	s_and_saveexec_b32 s15, s0
	s_cbranch_execz .LBB195_951
; %bb.946:                              ;   in Loop: Header=BB195_478 Depth=1
	v_mov_b32_e32 v13, v6
	v_mov_b32_e32 v22, v14
	v_bfe_u32 v104, v103, 24, 7
	s_mov_b32 s16, exec_lo
	v_mov_b32_e32 v21, v13
	v_cmpx_ne_u32_e32 0x7f, v104
	s_cbranch_execz .LBB195_950
; %bb.947:                              ;   in Loop: Header=BB195_478 Depth=1
	v_and_b32_sdwa v5, v103, v47 dst_sel:DWORD dst_unused:UNUSED_PAD src0_sel:BYTE_3 src1_sel:DWORD
	v_lshrrev_b32_e32 v11, 3, v104
	s_mov_b32 s17, exec_lo
	v_cmpx_gt_u32_e32 8, v104
; %bb.948:                              ;   in Loop: Header=BB195_478 Depth=1
	v_ffbh_u32_e32 v11, v5
	v_min_u32_e32 v11, 32, v11
	v_subrev_nc_u32_e32 v13, 28, v11
	v_sub_nc_u32_e32 v11, 29, v11
	v_lshlrev_b64 v[21:22], v13, v[5:6]
	v_and_b32_e32 v5, 7, v21
; %bb.949:                              ;   in Loop: Header=BB195_478 Depth=1
	s_or_b32 exec_lo, exec_lo, s17
	v_lshlrev_b32_sdwa v13, v48, v103 dst_sel:DWORD dst_unused:UNUSED_PAD src0_sel:DWORD src1_sel:BYTE_3
	v_lshlrev_b32_e32 v5, 20, v5
	v_lshl_add_u32 v11, v11, 23, 0x3c000000
	v_mov_b32_e32 v21, v6
	v_and_b32_e32 v13, 0x80000000, v13
	v_or3_b32 v22, v5, v13, v11
.LBB195_950:                            ;   in Loop: Header=BB195_478 Depth=1
	s_or_b32 exec_lo, exec_lo, s16
.LBB195_951:                            ;   in Loop: Header=BB195_478 Depth=1
	s_or_b32 exec_lo, exec_lo, s15
.LBB195_952:                            ;   in Loop: Header=BB195_478 Depth=1
	s_or_b32 exec_lo, exec_lo, s14
	v_or_b32_e32 v5, v18, v16
	v_or_b32_e32 v11, v17, v15
	;; [unrolled: 1-line block ×4, first 2 shown]
	v_mul_f32_e32 v13, s13, v5
	v_mul_f32_e32 v15, s2, v11
	;; [unrolled: 1-line block ×4, first 2 shown]
	s_and_saveexec_b32 s0, vcc_lo
	s_cbranch_execz .LBB195_477
; %bb.953:                              ;   in Loop: Header=BB195_478 Depth=1
	v_cmp_gt_i32_e32 vcc_lo, s11, v54
	v_cndmask_b32_e32 v15, 0, v15, vcc_lo
	v_cmp_gt_i32_e32 vcc_lo, s11, v56
	v_cndmask_b32_e32 v13, 0, v13, vcc_lo
	;; [unrolled: 2-line block ×4, first 2 shown]
	s_branch .LBB195_477
.LBB195_954:
	s_or_b32 exec_lo, exec_lo, s5
.LBB195_955:
	s_or_b32 exec_lo, exec_lo, s1
	ds_bpermute_b32 v1, v26, v39
	ds_bpermute_b32 v2, v26, v41
	;; [unrolled: 1-line block ×14, first 2 shown]
	s_mov_b32 s0, exec_lo
	s_waitcnt lgkmcnt(0)
	s_barrier
	buffer_gl0_inv
	v_add_f32_e32 v1, v39, v1
	v_add_f32_e32 v2, v41, v2
	;; [unrolled: 1-line block ×7, first 2 shown]
	ds_bpermute_b32 v15, v27, v1
	v_add_f32_e32 v8, v34, v8
	v_add_f32_e32 v9, v33, v9
	;; [unrolled: 1-line block ×7, first 2 shown]
	ds_bpermute_b32 v16, v27, v2
	ds_bpermute_b32 v17, v27, v3
	;; [unrolled: 1-line block ×13, first 2 shown]
	s_waitcnt lgkmcnt(13)
	v_add_f32_e32 v0, v1, v15
	v_and_b32_e32 v15, 28, v25
	v_add_nc_u32_e32 v15, 0x1e0, v15
	s_waitcnt lgkmcnt(12)
	v_add_f32_e32 v1, v2, v16
	s_waitcnt lgkmcnt(11)
	v_add_f32_e32 v2, v3, v17
	;; [unrolled: 2-line block ×12, first 2 shown]
	v_and_b32_e32 v17, 0x3c3, v105
	s_waitcnt lgkmcnt(0)
	v_add_f32_e32 v13, v14, v27
	v_lshrrev_b32_e32 v14, 2, v25
	v_mul_u32_u24_e32 v16, 0x1c0, v106
	v_cmpx_eq_u32_e32 64, v17
	s_cbranch_execz .LBB195_957
; %bb.956:
	v_add_nc_u32_e32 v17, v15, v16
	v_add_nc_u32_e32 v18, 0xfffffc80, v17
	;; [unrolled: 1-line block ×7, first 2 shown]
	ds_write_b32 v18, v0
	ds_write_b32 v19, v1
	;; [unrolled: 1-line block ×4, first 2 shown]
	v_add_nc_u32_e32 v18, 0xfffffd40, v17
	v_add_nc_u32_e32 v19, 0xfffffd60, v17
	;; [unrolled: 1-line block ×3, first 2 shown]
	ds_write_b32 v22, v4
	ds_write_b32 v23, v5
	;; [unrolled: 1-line block ×5, first 2 shown]
	v_add_nc_u32_e32 v18, 0xfffffda0, v17
	v_add_nc_u32_e32 v19, 0xfffffdc0, v17
	;; [unrolled: 1-line block ×5, first 2 shown]
	ds_write_b32 v18, v9
	ds_write_b32 v19, v10
	;; [unrolled: 1-line block ×5, first 2 shown]
.LBB195_957:
	s_or_b32 exec_lo, exec_lo, s0
	v_lshlrev_b32_e32 v14, 2, v14
	s_mov_b32 s1, exec_lo
	v_cmp_eq_u32_e32 vcc_lo, 0, v28
	s_waitcnt lgkmcnt(0)
	s_barrier
	v_add3_u32 v14, 0x1e0, v16, v14
	buffer_gl0_inv
	v_cmpx_gt_u32_e32 64, v105
	s_cbranch_execz .LBB195_974
; %bb.958:
	s_and_saveexec_b32 s0, vcc_lo
	s_cbranch_execnz .LBB195_996
; %bb.959:
	s_or_b32 exec_lo, exec_lo, s0
	s_and_saveexec_b32 s0, vcc_lo
	s_cbranch_execnz .LBB195_997
.LBB195_960:
	s_or_b32 exec_lo, exec_lo, s0
	s_and_saveexec_b32 s0, vcc_lo
	s_cbranch_execnz .LBB195_998
.LBB195_961:
	s_or_b32 exec_lo, exec_lo, s0
	s_and_saveexec_b32 s0, vcc_lo
	s_cbranch_execnz .LBB195_999
.LBB195_962:
	s_or_b32 exec_lo, exec_lo, s0
	s_and_saveexec_b32 s0, vcc_lo
	s_cbranch_execnz .LBB195_1000
.LBB195_963:
	s_or_b32 exec_lo, exec_lo, s0
	s_and_saveexec_b32 s0, vcc_lo
	s_cbranch_execnz .LBB195_1001
.LBB195_964:
	s_or_b32 exec_lo, exec_lo, s0
	s_and_saveexec_b32 s0, vcc_lo
	s_cbranch_execnz .LBB195_1002
.LBB195_965:
	s_or_b32 exec_lo, exec_lo, s0
	s_and_saveexec_b32 s0, vcc_lo
	s_cbranch_execnz .LBB195_1003
.LBB195_966:
	s_or_b32 exec_lo, exec_lo, s0
	s_and_saveexec_b32 s0, vcc_lo
	s_cbranch_execnz .LBB195_1004
.LBB195_967:
	s_or_b32 exec_lo, exec_lo, s0
	s_and_saveexec_b32 s0, vcc_lo
	s_cbranch_execnz .LBB195_1005
.LBB195_968:
	s_or_b32 exec_lo, exec_lo, s0
	s_and_saveexec_b32 s0, vcc_lo
	s_cbranch_execnz .LBB195_1006
.LBB195_969:
	s_or_b32 exec_lo, exec_lo, s0
	s_and_saveexec_b32 s0, vcc_lo
	s_cbranch_execnz .LBB195_1007
.LBB195_970:
	s_or_b32 exec_lo, exec_lo, s0
	s_and_saveexec_b32 s0, vcc_lo
	s_cbranch_execnz .LBB195_1008
.LBB195_971:
	s_or_b32 exec_lo, exec_lo, s0
	s_and_saveexec_b32 s0, vcc_lo
	s_cbranch_execz .LBB195_973
.LBB195_972:
	ds_read_b32 v16, v14 offset:416
	s_waitcnt lgkmcnt(0)
	v_add_f32_e32 v13, v13, v16
.LBB195_973:
	s_or_b32 exec_lo, exec_lo, s0
.LBB195_974:
	s_or_b32 exec_lo, exec_lo, s1
	v_and_b32_e32 v16, 0x3e3, v105
	s_mov_b32 s1, exec_lo
	s_barrier
	buffer_gl0_inv
	v_cmpx_eq_u32_e32 32, v16
	s_cbranch_execz .LBB195_976
; %bb.975:
	ds_write2_b32 v15, v0, v1 offset1:8
	ds_write2_b32 v15, v2, v3 offset0:16 offset1:24
	ds_write2_b32 v15, v4, v5 offset0:32 offset1:40
	;; [unrolled: 1-line block ×6, first 2 shown]
.LBB195_976:
	s_or_b32 exec_lo, exec_lo, s1
	s_mov_b32 s1, exec_lo
	s_waitcnt lgkmcnt(0)
	s_barrier
	buffer_gl0_inv
	v_cmpx_gt_u32_e32 32, v105
	s_cbranch_execz .LBB195_993
; %bb.977:
	s_and_saveexec_b32 s0, vcc_lo
	s_cbranch_execnz .LBB195_1009
; %bb.978:
	s_or_b32 exec_lo, exec_lo, s0
	s_and_saveexec_b32 s0, vcc_lo
	s_cbranch_execnz .LBB195_1010
.LBB195_979:
	s_or_b32 exec_lo, exec_lo, s0
	s_and_saveexec_b32 s0, vcc_lo
	s_cbranch_execnz .LBB195_1011
.LBB195_980:
	s_or_b32 exec_lo, exec_lo, s0
	s_and_saveexec_b32 s0, vcc_lo
	s_cbranch_execnz .LBB195_1012
.LBB195_981:
	s_or_b32 exec_lo, exec_lo, s0
	s_and_saveexec_b32 s0, vcc_lo
	s_cbranch_execnz .LBB195_1013
.LBB195_982:
	s_or_b32 exec_lo, exec_lo, s0
	s_and_saveexec_b32 s0, vcc_lo
	s_cbranch_execnz .LBB195_1014
.LBB195_983:
	s_or_b32 exec_lo, exec_lo, s0
	s_and_saveexec_b32 s0, vcc_lo
	s_cbranch_execnz .LBB195_1015
.LBB195_984:
	s_or_b32 exec_lo, exec_lo, s0
	s_and_saveexec_b32 s0, vcc_lo
	s_cbranch_execnz .LBB195_1016
.LBB195_985:
	s_or_b32 exec_lo, exec_lo, s0
	s_and_saveexec_b32 s0, vcc_lo
	s_cbranch_execnz .LBB195_1017
.LBB195_986:
	s_or_b32 exec_lo, exec_lo, s0
	s_and_saveexec_b32 s0, vcc_lo
	s_cbranch_execnz .LBB195_1018
.LBB195_987:
	s_or_b32 exec_lo, exec_lo, s0
	s_and_saveexec_b32 s0, vcc_lo
	s_cbranch_execnz .LBB195_1019
.LBB195_988:
	s_or_b32 exec_lo, exec_lo, s0
	s_and_saveexec_b32 s0, vcc_lo
	s_cbranch_execnz .LBB195_1020
.LBB195_989:
	s_or_b32 exec_lo, exec_lo, s0
	s_and_saveexec_b32 s0, vcc_lo
	s_cbranch_execnz .LBB195_1021
.LBB195_990:
	s_or_b32 exec_lo, exec_lo, s0
	s_and_saveexec_b32 s0, vcc_lo
	s_cbranch_execz .LBB195_992
.LBB195_991:
	ds_read_b32 v14, v14 offset:416
	s_waitcnt lgkmcnt(0)
	v_add_f32_e32 v13, v13, v14
.LBB195_992:
	s_or_b32 exec_lo, exec_lo, s0
.LBB195_993:
	s_or_b32 exec_lo, exec_lo, s1
	s_barrier
	buffer_gl0_inv
	s_mov_b32 s0, exec_lo
	v_cmpx_eq_u32_e32 0, v16
	s_cbranch_execz .LBB195_995
; %bb.994:
	s_mul_i32 s0, s10, s7
	s_mul_i32 s2, s7, s6
	;; [unrolled: 1-line block ×3, first 2 shown]
	s_mulk_i32 s0, 0x70
	s_ashr_i32 s1, s0, 31
	s_lshl_b64 s[0:1], s[0:1], 2
	s_add_u32 s4, s20, s0
	s_addc_u32 s5, s21, s1
	s_ashr_i32 s3, s2, 31
	s_lshl_b64 s[0:1], s[2:3], 2
	s_mul_i32 s2, s8, 0x70
	s_add_u32 s4, s4, s0
	s_addc_u32 s5, s5, s1
	s_ashr_i32 s3, s2, 31
	s_lshl_b64 s[0:1], s[2:3], 2
	s_add_u32 s0, s4, s0
	s_addc_u32 s1, s5, s1
	global_store_dword v105, v0, s[0:1]
	global_store_dword v105, v1, s[0:1] offset:32
	global_store_dword v105, v2, s[0:1] offset:64
	;; [unrolled: 1-line block ×13, first 2 shown]
.LBB195_995:
	s_endpgm
.LBB195_996:
	ds_read_b32 v16, v14
	s_waitcnt lgkmcnt(0)
	v_add_f32_e32 v0, v0, v16
	s_or_b32 exec_lo, exec_lo, s0
	s_and_saveexec_b32 s0, vcc_lo
	s_cbranch_execz .LBB195_960
.LBB195_997:
	ds_read_b32 v16, v14 offset:32
	s_waitcnt lgkmcnt(0)
	v_add_f32_e32 v1, v1, v16
	s_or_b32 exec_lo, exec_lo, s0
	s_and_saveexec_b32 s0, vcc_lo
	s_cbranch_execz .LBB195_961
.LBB195_998:
	ds_read_b32 v16, v14 offset:64
	s_waitcnt lgkmcnt(0)
	v_add_f32_e32 v2, v2, v16
	s_or_b32 exec_lo, exec_lo, s0
	s_and_saveexec_b32 s0, vcc_lo
	s_cbranch_execz .LBB195_962
.LBB195_999:
	ds_read_b32 v16, v14 offset:96
	s_waitcnt lgkmcnt(0)
	v_add_f32_e32 v3, v3, v16
	s_or_b32 exec_lo, exec_lo, s0
	s_and_saveexec_b32 s0, vcc_lo
	s_cbranch_execz .LBB195_963
.LBB195_1000:
	ds_read_b32 v16, v14 offset:128
	s_waitcnt lgkmcnt(0)
	v_add_f32_e32 v4, v4, v16
	s_or_b32 exec_lo, exec_lo, s0
	s_and_saveexec_b32 s0, vcc_lo
	s_cbranch_execz .LBB195_964
.LBB195_1001:
	ds_read_b32 v16, v14 offset:160
	s_waitcnt lgkmcnt(0)
	v_add_f32_e32 v5, v5, v16
	s_or_b32 exec_lo, exec_lo, s0
	s_and_saveexec_b32 s0, vcc_lo
	s_cbranch_execz .LBB195_965
.LBB195_1002:
	ds_read_b32 v16, v14 offset:192
	s_waitcnt lgkmcnt(0)
	v_add_f32_e32 v6, v6, v16
	s_or_b32 exec_lo, exec_lo, s0
	s_and_saveexec_b32 s0, vcc_lo
	s_cbranch_execz .LBB195_966
.LBB195_1003:
	ds_read_b32 v16, v14 offset:224
	s_waitcnt lgkmcnt(0)
	v_add_f32_e32 v7, v7, v16
	s_or_b32 exec_lo, exec_lo, s0
	s_and_saveexec_b32 s0, vcc_lo
	s_cbranch_execz .LBB195_967
.LBB195_1004:
	ds_read_b32 v16, v14 offset:256
	s_waitcnt lgkmcnt(0)
	v_add_f32_e32 v8, v8, v16
	s_or_b32 exec_lo, exec_lo, s0
	s_and_saveexec_b32 s0, vcc_lo
	s_cbranch_execz .LBB195_968
.LBB195_1005:
	ds_read_b32 v16, v14 offset:288
	s_waitcnt lgkmcnt(0)
	v_add_f32_e32 v9, v9, v16
	s_or_b32 exec_lo, exec_lo, s0
	s_and_saveexec_b32 s0, vcc_lo
	s_cbranch_execz .LBB195_969
.LBB195_1006:
	ds_read_b32 v16, v14 offset:320
	s_waitcnt lgkmcnt(0)
	v_add_f32_e32 v10, v10, v16
	s_or_b32 exec_lo, exec_lo, s0
	s_and_saveexec_b32 s0, vcc_lo
	s_cbranch_execz .LBB195_970
.LBB195_1007:
	ds_read_b32 v16, v14 offset:352
	s_waitcnt lgkmcnt(0)
	v_add_f32_e32 v11, v11, v16
	s_or_b32 exec_lo, exec_lo, s0
	s_and_saveexec_b32 s0, vcc_lo
	s_cbranch_execz .LBB195_971
.LBB195_1008:
	ds_read_b32 v16, v14 offset:384
	s_waitcnt lgkmcnt(0)
	v_add_f32_e32 v12, v12, v16
	s_or_b32 exec_lo, exec_lo, s0
	s_and_saveexec_b32 s0, vcc_lo
	s_cbranch_execnz .LBB195_972
	s_branch .LBB195_973
.LBB195_1009:
	ds_read_b32 v15, v14
	s_waitcnt lgkmcnt(0)
	v_add_f32_e32 v0, v0, v15
	s_or_b32 exec_lo, exec_lo, s0
	s_and_saveexec_b32 s0, vcc_lo
	s_cbranch_execz .LBB195_979
.LBB195_1010:
	ds_read_b32 v15, v14 offset:32
	s_waitcnt lgkmcnt(0)
	v_add_f32_e32 v1, v1, v15
	s_or_b32 exec_lo, exec_lo, s0
	s_and_saveexec_b32 s0, vcc_lo
	s_cbranch_execz .LBB195_980
.LBB195_1011:
	ds_read_b32 v15, v14 offset:64
	s_waitcnt lgkmcnt(0)
	v_add_f32_e32 v2, v2, v15
	s_or_b32 exec_lo, exec_lo, s0
	s_and_saveexec_b32 s0, vcc_lo
	s_cbranch_execz .LBB195_981
.LBB195_1012:
	ds_read_b32 v15, v14 offset:96
	s_waitcnt lgkmcnt(0)
	v_add_f32_e32 v3, v3, v15
	s_or_b32 exec_lo, exec_lo, s0
	s_and_saveexec_b32 s0, vcc_lo
	s_cbranch_execz .LBB195_982
.LBB195_1013:
	ds_read_b32 v15, v14 offset:128
	s_waitcnt lgkmcnt(0)
	v_add_f32_e32 v4, v4, v15
	s_or_b32 exec_lo, exec_lo, s0
	s_and_saveexec_b32 s0, vcc_lo
	s_cbranch_execz .LBB195_983
.LBB195_1014:
	ds_read_b32 v15, v14 offset:160
	s_waitcnt lgkmcnt(0)
	v_add_f32_e32 v5, v5, v15
	s_or_b32 exec_lo, exec_lo, s0
	s_and_saveexec_b32 s0, vcc_lo
	s_cbranch_execz .LBB195_984
.LBB195_1015:
	ds_read_b32 v15, v14 offset:192
	s_waitcnt lgkmcnt(0)
	v_add_f32_e32 v6, v6, v15
	s_or_b32 exec_lo, exec_lo, s0
	s_and_saveexec_b32 s0, vcc_lo
	s_cbranch_execz .LBB195_985
.LBB195_1016:
	ds_read_b32 v15, v14 offset:224
	s_waitcnt lgkmcnt(0)
	v_add_f32_e32 v7, v7, v15
	s_or_b32 exec_lo, exec_lo, s0
	s_and_saveexec_b32 s0, vcc_lo
	s_cbranch_execz .LBB195_986
.LBB195_1017:
	ds_read_b32 v15, v14 offset:256
	s_waitcnt lgkmcnt(0)
	v_add_f32_e32 v8, v8, v15
	s_or_b32 exec_lo, exec_lo, s0
	s_and_saveexec_b32 s0, vcc_lo
	s_cbranch_execz .LBB195_987
.LBB195_1018:
	ds_read_b32 v15, v14 offset:288
	s_waitcnt lgkmcnt(0)
	v_add_f32_e32 v9, v9, v15
	s_or_b32 exec_lo, exec_lo, s0
	s_and_saveexec_b32 s0, vcc_lo
	s_cbranch_execz .LBB195_988
.LBB195_1019:
	ds_read_b32 v15, v14 offset:320
	s_waitcnt lgkmcnt(0)
	v_add_f32_e32 v10, v10, v15
	s_or_b32 exec_lo, exec_lo, s0
	s_and_saveexec_b32 s0, vcc_lo
	s_cbranch_execz .LBB195_989
.LBB195_1020:
	ds_read_b32 v15, v14 offset:352
	s_waitcnt lgkmcnt(0)
	v_add_f32_e32 v11, v11, v15
	s_or_b32 exec_lo, exec_lo, s0
	s_and_saveexec_b32 s0, vcc_lo
	s_cbranch_execz .LBB195_990
.LBB195_1021:
	ds_read_b32 v15, v14 offset:384
	s_waitcnt lgkmcnt(0)
	v_add_f32_e32 v12, v12, v15
	s_or_b32 exec_lo, exec_lo, s0
	s_and_saveexec_b32 s0, vcc_lo
	s_cbranch_execnz .LBB195_991
	s_branch .LBB195_992
	.section	.rodata,"a",@progbits
	.p2align	6, 0x0
	.amdhsa_kernel _ZN4vllm25paged_attention_v1_kernelIfhLi112ELi16ELi128ELNS_18Fp8KVCacheDataTypeE1ELb0EEEvPT_PKS2_PKT0_S8_ifPKiSA_iPKfiiiSC_SC_iiiii
		.amdhsa_group_segment_fixed_size 480
		.amdhsa_private_segment_fixed_size 260
		.amdhsa_kernarg_size 384
		.amdhsa_user_sgpr_count 6
		.amdhsa_user_sgpr_private_segment_buffer 1
		.amdhsa_user_sgpr_dispatch_ptr 0
		.amdhsa_user_sgpr_queue_ptr 0
		.amdhsa_user_sgpr_kernarg_segment_ptr 1
		.amdhsa_user_sgpr_dispatch_id 0
		.amdhsa_user_sgpr_flat_scratch_init 0
		.amdhsa_user_sgpr_private_segment_size 0
		.amdhsa_wavefront_size32 1
		.amdhsa_uses_dynamic_stack 0
		.amdhsa_system_sgpr_private_segment_wavefront_offset 1
		.amdhsa_system_sgpr_workgroup_id_x 1
		.amdhsa_system_sgpr_workgroup_id_y 1
		.amdhsa_system_sgpr_workgroup_id_z 1
		.amdhsa_system_sgpr_workgroup_info 0
		.amdhsa_system_vgpr_workitem_id 0
		.amdhsa_next_free_vgpr 128
		.amdhsa_next_free_sgpr 40
		.amdhsa_reserve_vcc 1
		.amdhsa_reserve_flat_scratch 0
		.amdhsa_float_round_mode_32 0
		.amdhsa_float_round_mode_16_64 0
		.amdhsa_float_denorm_mode_32 3
		.amdhsa_float_denorm_mode_16_64 3
		.amdhsa_dx10_clamp 1
		.amdhsa_ieee_mode 1
		.amdhsa_fp16_overflow 0
		.amdhsa_workgroup_processor_mode 1
		.amdhsa_memory_ordered 1
		.amdhsa_forward_progress 1
		.amdhsa_shared_vgpr_count 0
		.amdhsa_exception_fp_ieee_invalid_op 0
		.amdhsa_exception_fp_denorm_src 0
		.amdhsa_exception_fp_ieee_div_zero 0
		.amdhsa_exception_fp_ieee_overflow 0
		.amdhsa_exception_fp_ieee_underflow 0
		.amdhsa_exception_fp_ieee_inexact 0
		.amdhsa_exception_int_div_zero 0
	.end_amdhsa_kernel
	.section	.text._ZN4vllm25paged_attention_v1_kernelIfhLi112ELi16ELi128ELNS_18Fp8KVCacheDataTypeE1ELb0EEEvPT_PKS2_PKT0_S8_ifPKiSA_iPKfiiiSC_SC_iiiii,"axG",@progbits,_ZN4vllm25paged_attention_v1_kernelIfhLi112ELi16ELi128ELNS_18Fp8KVCacheDataTypeE1ELb0EEEvPT_PKS2_PKT0_S8_ifPKiSA_iPKfiiiSC_SC_iiiii,comdat
.Lfunc_end195:
	.size	_ZN4vllm25paged_attention_v1_kernelIfhLi112ELi16ELi128ELNS_18Fp8KVCacheDataTypeE1ELb0EEEvPT_PKS2_PKT0_S8_ifPKiSA_iPKfiiiSC_SC_iiiii, .Lfunc_end195-_ZN4vllm25paged_attention_v1_kernelIfhLi112ELi16ELi128ELNS_18Fp8KVCacheDataTypeE1ELb0EEEvPT_PKS2_PKT0_S8_ifPKiSA_iPKfiiiSC_SC_iiiii
                                        ; -- End function
	.set _ZN4vllm25paged_attention_v1_kernelIfhLi112ELi16ELi128ELNS_18Fp8KVCacheDataTypeE1ELb0EEEvPT_PKS2_PKT0_S8_ifPKiSA_iPKfiiiSC_SC_iiiii.num_vgpr, 128
	.set _ZN4vllm25paged_attention_v1_kernelIfhLi112ELi16ELi128ELNS_18Fp8KVCacheDataTypeE1ELb0EEEvPT_PKS2_PKT0_S8_ifPKiSA_iPKfiiiSC_SC_iiiii.num_agpr, 0
	.set _ZN4vllm25paged_attention_v1_kernelIfhLi112ELi16ELi128ELNS_18Fp8KVCacheDataTypeE1ELb0EEEvPT_PKS2_PKT0_S8_ifPKiSA_iPKfiiiSC_SC_iiiii.numbered_sgpr, 40
	.set _ZN4vllm25paged_attention_v1_kernelIfhLi112ELi16ELi128ELNS_18Fp8KVCacheDataTypeE1ELb0EEEvPT_PKS2_PKT0_S8_ifPKiSA_iPKfiiiSC_SC_iiiii.num_named_barrier, 0
	.set _ZN4vllm25paged_attention_v1_kernelIfhLi112ELi16ELi128ELNS_18Fp8KVCacheDataTypeE1ELb0EEEvPT_PKS2_PKT0_S8_ifPKiSA_iPKfiiiSC_SC_iiiii.private_seg_size, 260
	.set _ZN4vllm25paged_attention_v1_kernelIfhLi112ELi16ELi128ELNS_18Fp8KVCacheDataTypeE1ELb0EEEvPT_PKS2_PKT0_S8_ifPKiSA_iPKfiiiSC_SC_iiiii.uses_vcc, 1
	.set _ZN4vllm25paged_attention_v1_kernelIfhLi112ELi16ELi128ELNS_18Fp8KVCacheDataTypeE1ELb0EEEvPT_PKS2_PKT0_S8_ifPKiSA_iPKfiiiSC_SC_iiiii.uses_flat_scratch, 0
	.set _ZN4vllm25paged_attention_v1_kernelIfhLi112ELi16ELi128ELNS_18Fp8KVCacheDataTypeE1ELb0EEEvPT_PKS2_PKT0_S8_ifPKiSA_iPKfiiiSC_SC_iiiii.has_dyn_sized_stack, 0
	.set _ZN4vllm25paged_attention_v1_kernelIfhLi112ELi16ELi128ELNS_18Fp8KVCacheDataTypeE1ELb0EEEvPT_PKS2_PKT0_S8_ifPKiSA_iPKfiiiSC_SC_iiiii.has_recursion, 0
	.set _ZN4vllm25paged_attention_v1_kernelIfhLi112ELi16ELi128ELNS_18Fp8KVCacheDataTypeE1ELb0EEEvPT_PKS2_PKT0_S8_ifPKiSA_iPKfiiiSC_SC_iiiii.has_indirect_call, 0
	.section	.AMDGPU.csdata,"",@progbits
; Kernel info:
; codeLenInByte = 31060
; TotalNumSgprs: 42
; NumVgprs: 128
; ScratchSize: 260
; MemoryBound: 0
; FloatMode: 240
; IeeeMode: 1
; LDSByteSize: 480 bytes/workgroup (compile time only)
; SGPRBlocks: 0
; VGPRBlocks: 15
; NumSGPRsForWavesPerEU: 42
; NumVGPRsForWavesPerEU: 128
; Occupancy: 8
; WaveLimiterHint : 1
; COMPUTE_PGM_RSRC2:SCRATCH_EN: 1
; COMPUTE_PGM_RSRC2:USER_SGPR: 6
; COMPUTE_PGM_RSRC2:TRAP_HANDLER: 0
; COMPUTE_PGM_RSRC2:TGID_X_EN: 1
; COMPUTE_PGM_RSRC2:TGID_Y_EN: 1
; COMPUTE_PGM_RSRC2:TGID_Z_EN: 1
; COMPUTE_PGM_RSRC2:TIDIG_COMP_CNT: 0
	.section	.text._ZN4vllm25paged_attention_v1_kernelIfhLi120ELi16ELi128ELNS_18Fp8KVCacheDataTypeE1ELb0EEEvPT_PKS2_PKT0_S8_ifPKiSA_iPKfiiiSC_SC_iiiii,"axG",@progbits,_ZN4vllm25paged_attention_v1_kernelIfhLi120ELi16ELi128ELNS_18Fp8KVCacheDataTypeE1ELb0EEEvPT_PKS2_PKT0_S8_ifPKiSA_iPKfiiiSC_SC_iiiii,comdat
	.protected	_ZN4vllm25paged_attention_v1_kernelIfhLi120ELi16ELi128ELNS_18Fp8KVCacheDataTypeE1ELb0EEEvPT_PKS2_PKT0_S8_ifPKiSA_iPKfiiiSC_SC_iiiii ; -- Begin function _ZN4vllm25paged_attention_v1_kernelIfhLi120ELi16ELi128ELNS_18Fp8KVCacheDataTypeE1ELb0EEEvPT_PKS2_PKT0_S8_ifPKiSA_iPKfiiiSC_SC_iiiii
	.globl	_ZN4vllm25paged_attention_v1_kernelIfhLi120ELi16ELi128ELNS_18Fp8KVCacheDataTypeE1ELb0EEEvPT_PKS2_PKT0_S8_ifPKiSA_iPKfiiiSC_SC_iiiii
	.p2align	8
	.type	_ZN4vllm25paged_attention_v1_kernelIfhLi120ELi16ELi128ELNS_18Fp8KVCacheDataTypeE1ELb0EEEvPT_PKS2_PKT0_S8_ifPKiSA_iPKfiiiSC_SC_iiiii,@function
_ZN4vllm25paged_attention_v1_kernelIfhLi120ELi16ELi128ELNS_18Fp8KVCacheDataTypeE1ELb0EEEvPT_PKS2_PKT0_S8_ifPKiSA_iPKfiiiSC_SC_iiiii: ; @_ZN4vllm25paged_attention_v1_kernelIfhLi120ELi16ELi128ELNS_18Fp8KVCacheDataTypeE1ELb0EEEvPT_PKS2_PKT0_S8_ifPKiSA_iPKfiiiSC_SC_iiiii
; %bb.0:
	s_mov_b64 s[38:39], s[2:3]
	s_mov_b64 s[36:37], s[0:1]
	s_mov_b32 s10, s7
	s_add_u32 s36, s36, s9
	s_clause 0x2
	s_load_dword s9, s[4:5], 0x80
	s_load_dwordx2 s[0:1], s[4:5], 0x30
	s_load_dwordx2 s[28:29], s[4:5], 0x20
	s_addc_u32 s37, s37, 0
	s_ashr_i32 s11, s7, 31
	v_mov_b32_e32 v110, v0
	s_lshl_b64 s[2:3], s[10:11], 2
	s_waitcnt lgkmcnt(0)
	s_add_u32 s0, s0, s2
	s_addc_u32 s1, s1, s3
	s_abs_i32 s2, s28
	s_abs_i32 s11, s9
	v_cvt_f32_u32_e32 v0, s2
	s_sub_i32 s7, 0, s2
	v_rcp_iflag_f32_e32 v0, v0
	v_mul_f32_e32 v0, 0x4f7ffffe, v0
	v_cvt_u32_f32_e32 v0, v0
	v_readfirstlane_b32 s3, v0
	s_mul_i32 s7, s7, s3
	s_mul_hi_u32 s7, s3, s7
	s_add_i32 s3, s3, s7
	s_xor_b32 s7, s9, s28
	s_mul_hi_u32 s3, s11, s3
	s_ashr_i32 s7, s7, 31
	s_mul_i32 s12, s3, s2
	s_mov_b32 s28, 0
	s_sub_i32 s11, s11, s12
	s_add_i32 s12, s3, 1
	s_sub_i32 s13, s11, s2
	s_cmp_ge_u32 s11, s2
	s_cselect_b32 s3, s12, s3
	s_cselect_b32 s11, s13, s11
	s_add_i32 s12, s3, 1
	s_cmp_ge_u32 s11, s2
	s_cselect_b32 s2, s12, s3
	s_abs_i32 s17, s6
	s_xor_b32 s2, s2, s7
	s_sub_i32 s19, s2, s7
	s_load_dwordx2 s[2:3], s[4:5], 0x40
	s_abs_i32 s16, s19
	v_cvt_f32_u32_e32 v0, s16
	s_sub_i32 s11, 0, s16
	v_rcp_iflag_f32_e32 v0, v0
	v_mul_f32_e32 v0, 0x4f7ffffe, v0
	v_cvt_u32_f32_e32 v0, v0
	v_readfirstlane_b32 s7, v0
	s_mul_i32 s11, s11, s7
	s_mul_hi_u32 s11, s7, s11
	s_add_i32 s7, s7, s11
	s_waitcnt lgkmcnt(0)
	s_cmp_eq_u64 s[2:3], 0
	s_mul_hi_u32 s18, s17, s7
	s_cbranch_scc1 .LBB196_2
; %bb.1:
	s_ashr_i32 s7, s6, 31
	s_lshl_b64 s[12:13], s[6:7], 2
	s_add_u32 s2, s2, s12
	s_addc_u32 s3, s3, s13
	s_load_dword s28, s[2:3], 0x0
.LBB196_2:
	s_load_dword s11, s[0:1], 0x0
	s_load_dwordx4 s[12:15], s[4:5], 0x48
	v_and_b32_e32 v0, 1, v110
	v_lshlrev_b32_e32 v11, 2, v110
	s_ashr_i32 s0, s6, 31
	s_ashr_i32 s1, s19, 31
	s_mulk_i32 s6, 0x78
	s_mov_b32 s2, exec_lo
	v_cmpx_gt_u32_e32 60, v110
	s_cbranch_execz .LBB196_4
; %bb.3:
	s_load_dwordx2 s[20:21], s[4:5], 0x8
	s_waitcnt lgkmcnt(0)
	s_mul_i32 s22, s12, s10
	v_lshlrev_b32_e32 v1, 3, v110
	s_ashr_i32 s23, s22, 31
	v_and_b32_e32 v3, 0xff8, v11
	s_lshl_b64 s[22:23], s[22:23], 2
	v_mad_u32_u24 v3, 0xf0, v0, v3
	s_add_u32 s3, s20, s22
	s_addc_u32 s12, s21, s23
	s_ashr_i32 s7, s6, 31
	s_lshl_b64 s[20:21], s[6:7], 2
	s_add_u32 s20, s3, s20
	s_addc_u32 s21, s12, s21
	global_load_dwordx2 v[1:2], v1, s[20:21]
	s_waitcnt vmcnt(0)
	ds_write_b64 v3, v[1:2]
.LBB196_4:
	s_or_b32 exec_lo, exec_lo, s2
	s_waitcnt lgkmcnt(0)
	s_add_i32 s2, s11, 15
	s_clause 0x1
	s_load_dwordx2 s[22:23], s[4:5], 0x28
	s_load_dword s7, s[4:5], 0x38
	s_ashr_i32 s3, s2, 31
	s_xor_b32 s0, s0, s1
	s_lshr_b32 s3, s3, 28
	s_mul_i32 s1, s18, s16
	s_add_i32 s2, s2, s3
	s_sub_i32 s1, s17, s1
	s_ashr_i32 s12, s2, 4
	s_add_i32 s2, s18, 1
	s_sub_i32 s3, s1, s16
	s_cmp_ge_u32 s1, s16
	v_lshrrev_b32_e32 v111, 5, v110
	s_cselect_b32 s2, s2, s18
	s_cselect_b32 s1, s3, s1
	s_add_i32 s3, s2, 1
	s_cmp_ge_u32 s1, s16
	v_mbcnt_lo_u32_b32 v13, -1, 0
	s_cselect_b32 s1, s3, s2
	s_mov_b32 s2, exec_lo
	s_xor_b32 s1, s1, s0
	s_waitcnt lgkmcnt(0)
	s_mul_i32 s24, s7, s10
	s_sub_i32 s1, s1, s0
	v_cmp_gt_i32_e64 s0, s12, v111
	s_ashr_i32 s25, s24, 31
	s_barrier
	buffer_gl0_inv
                                        ; implicit-def: $vgpr62
                                        ; implicit-def: $vgpr8
	v_cmpx_le_i32_e64 s12, v111
	s_xor_b32 s2, exec_lo, s2
; %bb.5:
	v_mov_b32_e32 v62, 0
	v_mbcnt_lo_u32_b32 v13, -1, 0
	v_mov_b32_e32 v8, 32
                                        ; implicit-def: $vgpr0
; %bb.6:
	s_or_saveexec_b32 s15, s2
	s_clause 0x3
	s_load_dwordx2 s[20:21], s[4:5], 0x0
	s_load_dwordx2 s[26:27], s[4:5], 0x18
	s_load_dword s7, s[4:5], 0x88
	s_load_dwordx4 s[16:19], s[4:5], 0x58
	v_mov_b32_e32 v3, 0xff7fffff
	v_lshrrev_b32_e32 v12, 3, v110
	s_mul_i32 s14, s1, s14
	s_xor_b32 exec_lo, exec_lo, s15
	s_cbranch_execz .LBB196_492
; %bb.7:
	v_mul_u32_u24_e32 v2, 0xf0, v0
	buffer_store_dword v11, off, s[36:39], 0 offset:288 ; 4-byte Folded Spill
	s_load_dwordx2 s[2:3], s[4:5], 0x10
	buffer_store_dword v110, off, s[36:39], 0 offset:280 ; 4-byte Folded Spill
	s_waitcnt lgkmcnt(0)
	s_load_dword s4, s[16:17], 0x0
	ds_read_b128 v[6:9], v2
	v_xor_b32_e32 v4, 1, v13
	v_bfe_u32 v1, v110, 1, 4
	s_ashr_i32 s1, s14, 31
	v_lshlrev_b32_e32 v3, 1, v0
	v_mov_b32_e32 v76, v111
	v_cmp_gt_i32_e32 vcc_lo, 32, v4
	v_lshlrev_b32_e32 v5, 4, v1
	v_mov_b32_e32 v62, 0
	v_mov_b32_e32 v75, 0x80
	v_lshl_or_b32 v127, v76, 4, v1
	v_cndmask_b32_e32 v4, v13, v4, vcc_lo
	v_cmp_eq_u32_e32 vcc_lo, 0, v0
	v_lshlrev_b32_e32 v0, 2, v1
	v_bfrev_b32_e32 v58, 1
	v_mov_b32_e32 v74, 0x7f800001
	v_lshlrev_b32_e32 v4, 2, v4
	s_add_u32 s2, s2, s14
	s_addc_u32 s1, s3, s1
	v_add_co_u32 v5, s2, s2, v5
	s_waitcnt lgkmcnt(0)
	buffer_store_dword v6, off, s[36:39], 0 offset:28 ; 4-byte Folded Spill
	buffer_store_dword v7, off, s[36:39], 0 offset:32 ; 4-byte Folded Spill
	;; [unrolled: 1-line block ×4, first 2 shown]
	ds_read_b128 v[6:9], v2 offset:16
	v_lshl_or_b32 v0, v111, 6, v0
	s_sub_i32 s5, 1, s11
	s_mov_b32 s17, s13
	s_mov_b32 s16, 0
	s_mov_b32 s30, s4
	v_add_nc_u32_e32 v0, 0x200, v0
	s_waitcnt lgkmcnt(0)
	buffer_store_dword v6, off, s[36:39], 0 offset:44 ; 4-byte Folded Spill
	buffer_store_dword v7, off, s[36:39], 0 offset:48 ; 4-byte Folded Spill
	buffer_store_dword v8, off, s[36:39], 0 offset:52 ; 4-byte Folded Spill
	buffer_store_dword v9, off, s[36:39], 0 offset:56 ; 4-byte Folded Spill
	ds_read_b128 v[6:9], v2 offset:32
	s_waitcnt lgkmcnt(0)
	buffer_store_dword v6, off, s[36:39], 0 offset:60 ; 4-byte Folded Spill
	buffer_store_dword v7, off, s[36:39], 0 offset:64 ; 4-byte Folded Spill
	buffer_store_dword v8, off, s[36:39], 0 offset:68 ; 4-byte Folded Spill
	buffer_store_dword v9, off, s[36:39], 0 offset:72 ; 4-byte Folded Spill
	ds_read_b128 v[6:9], v2 offset:48
	;; [unrolled: 6-line block ×5, first 2 shown]
	buffer_store_dword v13, off, s[36:39], 0 offset:296 ; 4-byte Folded Spill
	v_add_co_ci_u32_e64 v6, null, s1, 0, s2
	v_add_co_u32 v3, s2, v5, v3
	v_cmp_neq_f32_e64 s1, s28, 0
	s_waitcnt lgkmcnt(0)
	buffer_store_dword v7, off, s[36:39], 0 offset:124 ; 4-byte Folded Spill
	buffer_store_dword v8, off, s[36:39], 0 offset:128 ; 4-byte Folded Spill
	buffer_store_dword v9, off, s[36:39], 0 offset:132 ; 4-byte Folded Spill
	buffer_store_dword v10, off, s[36:39], 0 offset:136 ; 4-byte Folded Spill
	ds_read_b128 v[7:10], v2 offset:112
	s_waitcnt lgkmcnt(0)
	buffer_store_dword v7, off, s[36:39], 0 offset:140 ; 4-byte Folded Spill
	buffer_store_dword v8, off, s[36:39], 0 offset:144 ; 4-byte Folded Spill
	;; [unrolled: 1-line block ×5, first 2 shown]
	v_add_co_ci_u32_e64 v4, null, 0, v6, s2
	buffer_store_dword v3, off, s[36:39], 0 offset:160 ; 4-byte Folded Spill
	buffer_store_dword v4, off, s[36:39], 0 offset:164 ; 4-byte Folded Spill
	ds_read_b128 v[3:6], v2 offset:128
	s_lshl_b64 s[2:3], s[24:25], 2
	s_waitcnt lgkmcnt(0)
	buffer_store_dword v3, off, s[36:39], 0 offset:168 ; 4-byte Folded Spill
	buffer_store_dword v4, off, s[36:39], 0 offset:172 ; 4-byte Folded Spill
	;; [unrolled: 1-line block ×4, first 2 shown]
	ds_read_b128 v[3:6], v2 offset:144
	s_add_u32 s2, s22, s2
	s_addc_u32 s3, s23, s3
	s_waitcnt lgkmcnt(0)
	buffer_store_dword v3, off, s[36:39], 0 offset:184 ; 4-byte Folded Spill
	buffer_store_dword v4, off, s[36:39], 0 offset:188 ; 4-byte Folded Spill
	buffer_store_dword v5, off, s[36:39], 0 offset:192 ; 4-byte Folded Spill
	buffer_store_dword v6, off, s[36:39], 0 offset:196 ; 4-byte Folded Spill
	ds_read_b128 v[3:6], v2 offset:160
	s_waitcnt lgkmcnt(0)
	buffer_store_dword v3, off, s[36:39], 0 offset:200 ; 4-byte Folded Spill
	buffer_store_dword v4, off, s[36:39], 0 offset:204 ; 4-byte Folded Spill
	buffer_store_dword v5, off, s[36:39], 0 offset:208 ; 4-byte Folded Spill
	buffer_store_dword v6, off, s[36:39], 0 offset:212 ; 4-byte Folded Spill
	ds_read_b128 v[3:6], v2 offset:176
	;; [unrolled: 6-line block ×5, first 2 shown]
	s_waitcnt lgkmcnt(0)
	buffer_store_dword v1, off, s[36:39], 0 offset:264 ; 4-byte Folded Spill
	buffer_store_dword v2, off, s[36:39], 0 offset:268 ; 4-byte Folded Spill
	;; [unrolled: 1-line block ×5, first 2 shown]
	v_and_b32_e32 v1, 0x7c, v12
	buffer_store_dword v76, off, s[36:39], 0 offset:284 ; 4-byte Folded Spill
	v_add_co_u32 v65, s2, s2, v1
	v_add_co_ci_u32_e64 v66, null, s3, 0, s2
	v_mov_b32_e32 v1, 0xff7fffff
	buffer_store_dword v1, off, s[36:39], 0 offset:24 ; 4-byte Folded Spill
	s_branch .LBB196_9
.LBB196_8:                              ;   in Loop: Header=BB196_9 Depth=1
	s_or_b32 exec_lo, exec_lo, s3
	v_add_nc_u32_e32 v76, 4, v76
	v_add_co_u32 v65, s3, v65, 16
	v_add_nc_u32_e32 v127, 64, v127
	v_add_nc_u32_e32 v0, 0x100, v0
	v_cmp_le_i32_e64 s2, s12, v76
	v_add_co_ci_u32_e64 v66, null, 0, v66, s3
	s_or_b32 s16, s2, s16
	s_andn2_b32 exec_lo, exec_lo, s16
	s_cbranch_execz .LBB196_491
.LBB196_9:                              ; =>This Inner Loop Header: Depth=1
	global_load_dword v1, v[65:66], off
	s_waitcnt lgkmcnt(0)
	s_clause 0x1
	buffer_load_dword v2, off, s[36:39], 0 offset:160
	buffer_load_dword v3, off, s[36:39], 0 offset:164
	s_waitcnt vmcnt(0)
	v_mad_i64_i32 v[79:80], null, v1, s17, v[2:3]
	v_mov_b32_e32 v3, 0
	v_mov_b32_e32 v4, 0
	global_load_ushort v2, v[79:80], off
	buffer_store_dword v3, off, s[36:39], 0 offset:8 ; 4-byte Folded Spill
	buffer_store_dword v4, off, s[36:39], 0 offset:12 ; 4-byte Folded Spill
	v_mov_b32_e32 v3, 0
	v_mov_b32_e32 v4, 0
	buffer_store_dword v3, off, s[36:39], 0 ; 4-byte Folded Spill
	buffer_store_dword v4, off, s[36:39], 0 offset:4 ; 4-byte Folded Spill
	s_waitcnt vmcnt(0)
	v_and_b32_e32 v1, 0xffff, v2
	v_cmp_ne_u16_sdwa s2, v2, v62 src0_sel:BYTE_0 src1_sel:DWORD
	s_and_saveexec_b32 s3, s2
	s_cbranch_execz .LBB196_17
; %bb.10:                               ;   in Loop: Header=BB196_9 Depth=1
	v_bfrev_b32_e32 v2, 1
	v_mov_b32_e32 v3, 0
	v_cmp_ne_u16_sdwa s2, v1, v75 src0_sel:BYTE_0 src1_sel:DWORD
	buffer_store_dword v2, off, s[36:39], 0 ; 4-byte Folded Spill
	buffer_store_dword v3, off, s[36:39], 0 offset:4 ; 4-byte Folded Spill
	s_and_saveexec_b32 s31, s2
	s_cbranch_execz .LBB196_16
; %bb.11:                               ;   in Loop: Header=BB196_9 Depth=1
	v_mov_b32_e32 v4, 0x7f800001
	v_and_b32_e32 v3, 0x7f, v1
	v_mov_b32_e32 v5, 0
	s_mov_b32 s33, exec_lo
	buffer_store_dword v4, off, s[36:39], 0 ; 4-byte Folded Spill
	buffer_store_dword v5, off, s[36:39], 0 offset:4 ; 4-byte Folded Spill
	v_cmpx_ne_u32_e32 0x7f, v3
	s_cbranch_execz .LBB196_15
; %bb.12:                               ;   in Loop: Header=BB196_9 Depth=1
	v_and_b32_e32 v61, 7, v1
	v_lshrrev_b32_e32 v2, 3, v3
	s_mov_b32 s34, exec_lo
	v_cmpx_gt_u32_e32 8, v3
; %bb.13:                               ;   in Loop: Header=BB196_9 Depth=1
	v_ffbh_u32_e32 v2, v61
	v_min_u32_e32 v2, 32, v2
	v_subrev_nc_u32_e32 v3, 28, v2
	v_sub_nc_u32_e32 v2, 29, v2
	v_lshlrev_b64 v[3:4], v3, v[61:62]
	v_and_b32_e32 v61, 7, v3
; %bb.14:                               ;   in Loop: Header=BB196_9 Depth=1
	s_or_b32 exec_lo, exec_lo, s34
	v_lshlrev_b32_e32 v3, 24, v1
	v_lshlrev_b32_e32 v4, 20, v61
	v_lshl_add_u32 v2, v2, 23, 0x3c000000
	v_and_b32_e32 v3, 0x80000000, v3
	v_or3_b32 v61, v4, v3, v2
	buffer_store_dword v61, off, s[36:39], 0 ; 4-byte Folded Spill
	buffer_store_dword v62, off, s[36:39], 0 offset:4 ; 4-byte Folded Spill
.LBB196_15:                             ;   in Loop: Header=BB196_9 Depth=1
	s_or_b32 exec_lo, exec_lo, s33
.LBB196_16:                             ;   in Loop: Header=BB196_9 Depth=1
	s_or_b32 exec_lo, exec_lo, s31
.LBB196_17:                             ;   in Loop: Header=BB196_9 Depth=1
	s_or_b32 exec_lo, exec_lo, s3
	v_cmp_ne_u16_sdwa s2, v1, v62 src0_sel:BYTE_1 src1_sel:DWORD
	s_and_saveexec_b32 s3, s2
	s_cbranch_execz .LBB196_25
; %bb.18:                               ;   in Loop: Header=BB196_9 Depth=1
	v_mov_b32_e32 v57, v62
	v_cmp_ne_u16_sdwa s2, v1, v75 src0_sel:BYTE_1 src1_sel:DWORD
	buffer_store_dword v57, off, s[36:39], 0 offset:8 ; 4-byte Folded Spill
	buffer_store_dword v58, off, s[36:39], 0 offset:12 ; 4-byte Folded Spill
	s_and_saveexec_b32 s31, s2
	s_cbranch_execz .LBB196_24
; %bb.19:                               ;   in Loop: Header=BB196_9 Depth=1
	v_mov_b32_e32 v2, 0xffff
	v_mov_b32_e32 v73, v62
	s_mov_b32 s33, exec_lo
	buffer_store_dword v73, off, s[36:39], 0 offset:8 ; 4-byte Folded Spill
	buffer_store_dword v74, off, s[36:39], 0 offset:12 ; 4-byte Folded Spill
	v_and_b32_sdwa v2, v2, v1 dst_sel:DWORD dst_unused:UNUSED_PAD src0_sel:DWORD src1_sel:BYTE_1
	v_and_b32_e32 v3, 0x7f, v2
	v_cmpx_ne_u32_e32 0x7f, v3
	s_cbranch_execz .LBB196_23
; %bb.20:                               ;   in Loop: Header=BB196_9 Depth=1
	v_and_b32_e32 v61, 7, v2
	v_lshrrev_b32_e32 v2, 3, v3
	s_mov_b32 s34, exec_lo
	v_cmpx_gt_u32_e32 8, v3
; %bb.21:                               ;   in Loop: Header=BB196_9 Depth=1
	v_ffbh_u32_e32 v2, v61
	v_min_u32_e32 v2, 32, v2
	v_subrev_nc_u32_e32 v3, 28, v2
	v_sub_nc_u32_e32 v2, 29, v2
	v_lshlrev_b64 v[3:4], v3, v[61:62]
	v_and_b32_e32 v61, 7, v3
; %bb.22:                               ;   in Loop: Header=BB196_9 Depth=1
	s_or_b32 exec_lo, exec_lo, s34
	v_lshlrev_b32_e32 v1, 16, v1
	v_lshlrev_b32_e32 v3, 20, v61
	v_lshl_add_u32 v2, v2, 23, 0x3c000000
	v_and_b32_e32 v1, 0x80000000, v1
	v_or3_b32 v2, v3, v1, v2
	v_mov_b32_e32 v1, v62
	buffer_store_dword v1, off, s[36:39], 0 offset:8 ; 4-byte Folded Spill
	buffer_store_dword v2, off, s[36:39], 0 offset:12 ; 4-byte Folded Spill
.LBB196_23:                             ;   in Loop: Header=BB196_9 Depth=1
	s_or_b32 exec_lo, exec_lo, s33
.LBB196_24:                             ;   in Loop: Header=BB196_9 Depth=1
	s_or_b32 exec_lo, exec_lo, s31
.LBB196_25:                             ;   in Loop: Header=BB196_9 Depth=1
	s_or_b32 exec_lo, exec_lo, s3
	global_load_ushort v2, v[79:80], off offset:4
	v_mov_b32_e32 v77, 0
	v_mov_b32_e32 v3, 0
	;; [unrolled: 1-line block ×4, first 2 shown]
	buffer_store_dword v3, off, s[36:39], 0 offset:16 ; 4-byte Folded Spill
	buffer_store_dword v4, off, s[36:39], 0 offset:20 ; 4-byte Folded Spill
	s_waitcnt vmcnt(0)
	v_and_b32_e32 v1, 0xffff, v2
	v_cmp_ne_u16_sdwa s2, v2, v62 src0_sel:BYTE_0 src1_sel:DWORD
	s_and_saveexec_b32 s3, s2
	s_cbranch_execz .LBB196_33
; %bb.26:                               ;   in Loop: Header=BB196_9 Depth=1
	v_bfrev_b32_e32 v2, 1
	v_mov_b32_e32 v3, 0
	v_cmp_ne_u16_sdwa s2, v1, v75 src0_sel:BYTE_0 src1_sel:DWORD
	buffer_store_dword v2, off, s[36:39], 0 offset:16 ; 4-byte Folded Spill
	buffer_store_dword v3, off, s[36:39], 0 offset:20 ; 4-byte Folded Spill
	s_and_saveexec_b32 s31, s2
	s_cbranch_execz .LBB196_32
; %bb.27:                               ;   in Loop: Header=BB196_9 Depth=1
	v_mov_b32_e32 v4, 0x7f800001
	v_and_b32_e32 v3, 0x7f, v1
	v_mov_b32_e32 v5, 0
	s_mov_b32 s33, exec_lo
	buffer_store_dword v4, off, s[36:39], 0 offset:16 ; 4-byte Folded Spill
	buffer_store_dword v5, off, s[36:39], 0 offset:20 ; 4-byte Folded Spill
	v_cmpx_ne_u32_e32 0x7f, v3
	s_cbranch_execz .LBB196_31
; %bb.28:                               ;   in Loop: Header=BB196_9 Depth=1
	v_and_b32_e32 v61, 7, v1
	v_lshrrev_b32_e32 v2, 3, v3
	s_mov_b32 s34, exec_lo
	v_cmpx_gt_u32_e32 8, v3
; %bb.29:                               ;   in Loop: Header=BB196_9 Depth=1
	v_ffbh_u32_e32 v2, v61
	v_min_u32_e32 v2, 32, v2
	v_subrev_nc_u32_e32 v3, 28, v2
	v_sub_nc_u32_e32 v2, 29, v2
	v_lshlrev_b64 v[3:4], v3, v[61:62]
	v_and_b32_e32 v61, 7, v3
; %bb.30:                               ;   in Loop: Header=BB196_9 Depth=1
	s_or_b32 exec_lo, exec_lo, s34
	v_lshlrev_b32_e32 v3, 24, v1
	v_lshlrev_b32_e32 v4, 20, v61
	v_lshl_add_u32 v2, v2, 23, 0x3c000000
	v_and_b32_e32 v3, 0x80000000, v3
	v_or3_b32 v61, v4, v3, v2
	buffer_store_dword v61, off, s[36:39], 0 offset:16 ; 4-byte Folded Spill
	buffer_store_dword v62, off, s[36:39], 0 offset:20 ; 4-byte Folded Spill
.LBB196_31:                             ;   in Loop: Header=BB196_9 Depth=1
	s_or_b32 exec_lo, exec_lo, s33
.LBB196_32:                             ;   in Loop: Header=BB196_9 Depth=1
	s_or_b32 exec_lo, exec_lo, s31
.LBB196_33:                             ;   in Loop: Header=BB196_9 Depth=1
	s_or_b32 exec_lo, exec_lo, s3
	v_cmp_ne_u16_sdwa s2, v1, v62 src0_sel:BYTE_1 src1_sel:DWORD
	s_and_saveexec_b32 s3, s2
	s_cbranch_execz .LBB196_41
; %bb.34:                               ;   in Loop: Header=BB196_9 Depth=1
	v_mov_b32_e32 v57, v62
	v_mov_b32_e32 v78, v58
	v_cmp_ne_u16_sdwa s2, v1, v75 src0_sel:BYTE_1 src1_sel:DWORD
	v_mov_b32_e32 v77, v57
	s_and_saveexec_b32 s31, s2
	s_cbranch_execz .LBB196_40
; %bb.35:                               ;   in Loop: Header=BB196_9 Depth=1
	v_mov_b32_e32 v2, 0xffff
	v_mov_b32_e32 v73, v62
	;; [unrolled: 1-line block ×3, first 2 shown]
	s_mov_b32 s33, exec_lo
	v_and_b32_sdwa v2, v2, v1 dst_sel:DWORD dst_unused:UNUSED_PAD src0_sel:DWORD src1_sel:BYTE_1
	v_mov_b32_e32 v77, v73
	v_and_b32_e32 v3, 0x7f, v2
	v_cmpx_ne_u32_e32 0x7f, v3
	s_cbranch_execz .LBB196_39
; %bb.36:                               ;   in Loop: Header=BB196_9 Depth=1
	v_and_b32_e32 v61, 7, v2
	v_lshrrev_b32_e32 v2, 3, v3
	s_mov_b32 s34, exec_lo
	v_cmpx_gt_u32_e32 8, v3
; %bb.37:                               ;   in Loop: Header=BB196_9 Depth=1
	v_ffbh_u32_e32 v2, v61
	v_min_u32_e32 v2, 32, v2
	v_subrev_nc_u32_e32 v3, 28, v2
	v_sub_nc_u32_e32 v2, 29, v2
	v_lshlrev_b64 v[3:4], v3, v[61:62]
	v_and_b32_e32 v61, 7, v3
; %bb.38:                               ;   in Loop: Header=BB196_9 Depth=1
	s_or_b32 exec_lo, exec_lo, s34
	v_lshlrev_b32_e32 v1, 16, v1
	v_lshlrev_b32_e32 v3, 20, v61
	v_lshl_add_u32 v2, v2, 23, 0x3c000000
	v_mov_b32_e32 v77, v62
	v_and_b32_e32 v1, 0x80000000, v1
	v_or3_b32 v78, v3, v1, v2
.LBB196_39:                             ;   in Loop: Header=BB196_9 Depth=1
	s_or_b32 exec_lo, exec_lo, s33
.LBB196_40:                             ;   in Loop: Header=BB196_9 Depth=1
	s_or_b32 exec_lo, exec_lo, s31
.LBB196_41:                             ;   in Loop: Header=BB196_9 Depth=1
	s_or_b32 exec_lo, exec_lo, s3
	global_load_ushort v2, v[79:80], off offset:8
	v_mov_b32_e32 v83, 0
	v_mov_b32_e32 v81, 0
	;; [unrolled: 1-line block ×4, first 2 shown]
	s_waitcnt vmcnt(0)
	v_and_b32_e32 v1, 0xffff, v2
	v_cmp_ne_u16_sdwa s2, v2, v62 src0_sel:BYTE_0 src1_sel:DWORD
	s_and_saveexec_b32 s3, s2
	s_cbranch_execz .LBB196_49
; %bb.42:                               ;   in Loop: Header=BB196_9 Depth=1
	v_bfrev_b32_e32 v81, 1
	v_mov_b32_e32 v82, 0
	v_cmp_ne_u16_sdwa s2, v1, v75 src0_sel:BYTE_0 src1_sel:DWORD
	s_and_saveexec_b32 s31, s2
	s_cbranch_execz .LBB196_48
; %bb.43:                               ;   in Loop: Header=BB196_9 Depth=1
	v_mov_b32_e32 v81, 0x7f800001
	v_and_b32_e32 v3, 0x7f, v1
	v_mov_b32_e32 v82, 0
	s_mov_b32 s33, exec_lo
	v_cmpx_ne_u32_e32 0x7f, v3
	s_cbranch_execz .LBB196_47
; %bb.44:                               ;   in Loop: Header=BB196_9 Depth=1
	v_and_b32_e32 v61, 7, v1
	v_lshrrev_b32_e32 v2, 3, v3
	s_mov_b32 s34, exec_lo
	v_cmpx_gt_u32_e32 8, v3
; %bb.45:                               ;   in Loop: Header=BB196_9 Depth=1
	v_ffbh_u32_e32 v2, v61
	v_min_u32_e32 v2, 32, v2
	v_subrev_nc_u32_e32 v3, 28, v2
	v_sub_nc_u32_e32 v2, 29, v2
	v_lshlrev_b64 v[3:4], v3, v[61:62]
	v_and_b32_e32 v61, 7, v3
; %bb.46:                               ;   in Loop: Header=BB196_9 Depth=1
	s_or_b32 exec_lo, exec_lo, s34
	v_lshlrev_b32_e32 v3, 24, v1
	v_lshlrev_b32_e32 v4, 20, v61
	v_lshl_add_u32 v2, v2, 23, 0x3c000000
	v_and_b32_e32 v3, 0x80000000, v3
	v_or3_b32 v61, v4, v3, v2
	v_mov_b32_e32 v82, v62
	v_mov_b32_e32 v81, v61
.LBB196_47:                             ;   in Loop: Header=BB196_9 Depth=1
	s_or_b32 exec_lo, exec_lo, s33
.LBB196_48:                             ;   in Loop: Header=BB196_9 Depth=1
	s_or_b32 exec_lo, exec_lo, s31
.LBB196_49:                             ;   in Loop: Header=BB196_9 Depth=1
	s_or_b32 exec_lo, exec_lo, s3
	v_cmp_ne_u16_sdwa s2, v1, v62 src0_sel:BYTE_1 src1_sel:DWORD
	s_and_saveexec_b32 s3, s2
	s_cbranch_execz .LBB196_57
; %bb.50:                               ;   in Loop: Header=BB196_9 Depth=1
	v_mov_b32_e32 v57, v62
	v_mov_b32_e32 v84, v58
	v_cmp_ne_u16_sdwa s2, v1, v75 src0_sel:BYTE_1 src1_sel:DWORD
	v_mov_b32_e32 v83, v57
	s_and_saveexec_b32 s31, s2
	s_cbranch_execz .LBB196_56
; %bb.51:                               ;   in Loop: Header=BB196_9 Depth=1
	v_mov_b32_e32 v2, 0xffff
	v_mov_b32_e32 v73, v62
	;; [unrolled: 1-line block ×3, first 2 shown]
	s_mov_b32 s33, exec_lo
	v_and_b32_sdwa v2, v2, v1 dst_sel:DWORD dst_unused:UNUSED_PAD src0_sel:DWORD src1_sel:BYTE_1
	v_mov_b32_e32 v83, v73
	v_and_b32_e32 v3, 0x7f, v2
	v_cmpx_ne_u32_e32 0x7f, v3
	s_cbranch_execz .LBB196_55
; %bb.52:                               ;   in Loop: Header=BB196_9 Depth=1
	v_and_b32_e32 v61, 7, v2
	v_lshrrev_b32_e32 v2, 3, v3
	s_mov_b32 s34, exec_lo
	v_cmpx_gt_u32_e32 8, v3
; %bb.53:                               ;   in Loop: Header=BB196_9 Depth=1
	v_ffbh_u32_e32 v2, v61
	v_min_u32_e32 v2, 32, v2
	v_subrev_nc_u32_e32 v3, 28, v2
	v_sub_nc_u32_e32 v2, 29, v2
	v_lshlrev_b64 v[3:4], v3, v[61:62]
	v_and_b32_e32 v61, 7, v3
; %bb.54:                               ;   in Loop: Header=BB196_9 Depth=1
	s_or_b32 exec_lo, exec_lo, s34
	v_lshlrev_b32_e32 v1, 16, v1
	v_lshlrev_b32_e32 v3, 20, v61
	v_lshl_add_u32 v2, v2, 23, 0x3c000000
	v_mov_b32_e32 v83, v62
	v_and_b32_e32 v1, 0x80000000, v1
	v_or3_b32 v84, v3, v1, v2
.LBB196_55:                             ;   in Loop: Header=BB196_9 Depth=1
	s_or_b32 exec_lo, exec_lo, s33
.LBB196_56:                             ;   in Loop: Header=BB196_9 Depth=1
	s_or_b32 exec_lo, exec_lo, s31
.LBB196_57:                             ;   in Loop: Header=BB196_9 Depth=1
	s_or_b32 exec_lo, exec_lo, s3
	global_load_ushort v2, v[79:80], off offset:12
	v_mov_b32_e32 v87, 0
	v_mov_b32_e32 v85, 0
	;; [unrolled: 1-line block ×4, first 2 shown]
	s_waitcnt vmcnt(0)
	v_and_b32_e32 v1, 0xffff, v2
	v_cmp_ne_u16_sdwa s2, v2, v62 src0_sel:BYTE_0 src1_sel:DWORD
	s_and_saveexec_b32 s3, s2
	s_cbranch_execz .LBB196_65
; %bb.58:                               ;   in Loop: Header=BB196_9 Depth=1
	v_bfrev_b32_e32 v85, 1
	v_mov_b32_e32 v86, 0
	v_cmp_ne_u16_sdwa s2, v1, v75 src0_sel:BYTE_0 src1_sel:DWORD
	s_and_saveexec_b32 s31, s2
	s_cbranch_execz .LBB196_64
; %bb.59:                               ;   in Loop: Header=BB196_9 Depth=1
	v_mov_b32_e32 v85, 0x7f800001
	v_and_b32_e32 v3, 0x7f, v1
	v_mov_b32_e32 v86, 0
	s_mov_b32 s33, exec_lo
	v_cmpx_ne_u32_e32 0x7f, v3
	s_cbranch_execz .LBB196_63
; %bb.60:                               ;   in Loop: Header=BB196_9 Depth=1
	v_and_b32_e32 v61, 7, v1
	v_lshrrev_b32_e32 v2, 3, v3
	s_mov_b32 s34, exec_lo
	v_cmpx_gt_u32_e32 8, v3
; %bb.61:                               ;   in Loop: Header=BB196_9 Depth=1
	v_ffbh_u32_e32 v2, v61
	v_min_u32_e32 v2, 32, v2
	v_subrev_nc_u32_e32 v3, 28, v2
	v_sub_nc_u32_e32 v2, 29, v2
	v_lshlrev_b64 v[3:4], v3, v[61:62]
	v_and_b32_e32 v61, 7, v3
; %bb.62:                               ;   in Loop: Header=BB196_9 Depth=1
	s_or_b32 exec_lo, exec_lo, s34
	v_lshlrev_b32_e32 v3, 24, v1
	v_lshlrev_b32_e32 v4, 20, v61
	v_lshl_add_u32 v2, v2, 23, 0x3c000000
	v_and_b32_e32 v3, 0x80000000, v3
	v_or3_b32 v61, v4, v3, v2
	v_mov_b32_e32 v86, v62
	v_mov_b32_e32 v85, v61
.LBB196_63:                             ;   in Loop: Header=BB196_9 Depth=1
	s_or_b32 exec_lo, exec_lo, s33
.LBB196_64:                             ;   in Loop: Header=BB196_9 Depth=1
	s_or_b32 exec_lo, exec_lo, s31
.LBB196_65:                             ;   in Loop: Header=BB196_9 Depth=1
	s_or_b32 exec_lo, exec_lo, s3
	v_cmp_ne_u16_sdwa s2, v1, v62 src0_sel:BYTE_1 src1_sel:DWORD
	s_and_saveexec_b32 s3, s2
	s_cbranch_execz .LBB196_73
; %bb.66:                               ;   in Loop: Header=BB196_9 Depth=1
	v_mov_b32_e32 v57, v62
	v_mov_b32_e32 v88, v58
	v_cmp_ne_u16_sdwa s2, v1, v75 src0_sel:BYTE_1 src1_sel:DWORD
	v_mov_b32_e32 v87, v57
	s_and_saveexec_b32 s31, s2
	s_cbranch_execz .LBB196_72
; %bb.67:                               ;   in Loop: Header=BB196_9 Depth=1
	v_mov_b32_e32 v2, 0xffff
	v_mov_b32_e32 v73, v62
	;; [unrolled: 1-line block ×3, first 2 shown]
	s_mov_b32 s33, exec_lo
	v_and_b32_sdwa v2, v2, v1 dst_sel:DWORD dst_unused:UNUSED_PAD src0_sel:DWORD src1_sel:BYTE_1
	v_mov_b32_e32 v87, v73
	v_and_b32_e32 v3, 0x7f, v2
	v_cmpx_ne_u32_e32 0x7f, v3
	s_cbranch_execz .LBB196_71
; %bb.68:                               ;   in Loop: Header=BB196_9 Depth=1
	v_and_b32_e32 v61, 7, v2
	v_lshrrev_b32_e32 v2, 3, v3
	s_mov_b32 s34, exec_lo
	v_cmpx_gt_u32_e32 8, v3
; %bb.69:                               ;   in Loop: Header=BB196_9 Depth=1
	v_ffbh_u32_e32 v2, v61
	v_min_u32_e32 v2, 32, v2
	v_subrev_nc_u32_e32 v3, 28, v2
	v_sub_nc_u32_e32 v2, 29, v2
	v_lshlrev_b64 v[3:4], v3, v[61:62]
	v_and_b32_e32 v61, 7, v3
; %bb.70:                               ;   in Loop: Header=BB196_9 Depth=1
	s_or_b32 exec_lo, exec_lo, s34
	v_lshlrev_b32_e32 v1, 16, v1
	v_lshlrev_b32_e32 v3, 20, v61
	v_lshl_add_u32 v2, v2, 23, 0x3c000000
	v_mov_b32_e32 v87, v62
	v_and_b32_e32 v1, 0x80000000, v1
	v_or3_b32 v88, v3, v1, v2
.LBB196_71:                             ;   in Loop: Header=BB196_9 Depth=1
	s_or_b32 exec_lo, exec_lo, s33
.LBB196_72:                             ;   in Loop: Header=BB196_9 Depth=1
	s_or_b32 exec_lo, exec_lo, s31
.LBB196_73:                             ;   in Loop: Header=BB196_9 Depth=1
	s_or_b32 exec_lo, exec_lo, s3
	global_load_ushort v2, v[79:80], off offset:256
	v_mov_b32_e32 v91, 0
	v_mov_b32_e32 v89, 0
	v_mov_b32_e32 v92, 0
	v_mov_b32_e32 v90, 0
	s_waitcnt vmcnt(0)
	v_and_b32_e32 v1, 0xffff, v2
	v_cmp_ne_u16_sdwa s2, v2, v62 src0_sel:BYTE_0 src1_sel:DWORD
	s_and_saveexec_b32 s3, s2
	s_cbranch_execz .LBB196_81
; %bb.74:                               ;   in Loop: Header=BB196_9 Depth=1
	v_bfrev_b32_e32 v89, 1
	v_mov_b32_e32 v90, 0
	v_cmp_ne_u16_sdwa s2, v1, v75 src0_sel:BYTE_0 src1_sel:DWORD
	s_and_saveexec_b32 s31, s2
	s_cbranch_execz .LBB196_80
; %bb.75:                               ;   in Loop: Header=BB196_9 Depth=1
	v_mov_b32_e32 v89, 0x7f800001
	v_and_b32_e32 v3, 0x7f, v1
	v_mov_b32_e32 v90, 0
	s_mov_b32 s33, exec_lo
	v_cmpx_ne_u32_e32 0x7f, v3
	s_cbranch_execz .LBB196_79
; %bb.76:                               ;   in Loop: Header=BB196_9 Depth=1
	v_and_b32_e32 v61, 7, v1
	v_lshrrev_b32_e32 v2, 3, v3
	s_mov_b32 s34, exec_lo
	v_cmpx_gt_u32_e32 8, v3
; %bb.77:                               ;   in Loop: Header=BB196_9 Depth=1
	v_ffbh_u32_e32 v2, v61
	v_min_u32_e32 v2, 32, v2
	v_subrev_nc_u32_e32 v3, 28, v2
	v_sub_nc_u32_e32 v2, 29, v2
	v_lshlrev_b64 v[3:4], v3, v[61:62]
	v_and_b32_e32 v61, 7, v3
; %bb.78:                               ;   in Loop: Header=BB196_9 Depth=1
	s_or_b32 exec_lo, exec_lo, s34
	v_lshlrev_b32_e32 v3, 24, v1
	v_lshlrev_b32_e32 v4, 20, v61
	v_lshl_add_u32 v2, v2, 23, 0x3c000000
	v_and_b32_e32 v3, 0x80000000, v3
	v_or3_b32 v61, v4, v3, v2
	v_mov_b32_e32 v90, v62
	v_mov_b32_e32 v89, v61
.LBB196_79:                             ;   in Loop: Header=BB196_9 Depth=1
	s_or_b32 exec_lo, exec_lo, s33
.LBB196_80:                             ;   in Loop: Header=BB196_9 Depth=1
	s_or_b32 exec_lo, exec_lo, s31
.LBB196_81:                             ;   in Loop: Header=BB196_9 Depth=1
	s_or_b32 exec_lo, exec_lo, s3
	v_cmp_ne_u16_sdwa s2, v1, v62 src0_sel:BYTE_1 src1_sel:DWORD
	s_and_saveexec_b32 s3, s2
	s_cbranch_execz .LBB196_89
; %bb.82:                               ;   in Loop: Header=BB196_9 Depth=1
	v_mov_b32_e32 v57, v62
	v_mov_b32_e32 v92, v58
	v_cmp_ne_u16_sdwa s2, v1, v75 src0_sel:BYTE_1 src1_sel:DWORD
	v_mov_b32_e32 v91, v57
	s_and_saveexec_b32 s31, s2
	s_cbranch_execz .LBB196_88
; %bb.83:                               ;   in Loop: Header=BB196_9 Depth=1
	v_mov_b32_e32 v2, 0xffff
	v_mov_b32_e32 v73, v62
	;; [unrolled: 1-line block ×3, first 2 shown]
	s_mov_b32 s33, exec_lo
	v_and_b32_sdwa v2, v2, v1 dst_sel:DWORD dst_unused:UNUSED_PAD src0_sel:DWORD src1_sel:BYTE_1
	v_mov_b32_e32 v91, v73
	v_and_b32_e32 v3, 0x7f, v2
	v_cmpx_ne_u32_e32 0x7f, v3
	s_cbranch_execz .LBB196_87
; %bb.84:                               ;   in Loop: Header=BB196_9 Depth=1
	v_and_b32_e32 v61, 7, v2
	v_lshrrev_b32_e32 v2, 3, v3
	s_mov_b32 s34, exec_lo
	v_cmpx_gt_u32_e32 8, v3
; %bb.85:                               ;   in Loop: Header=BB196_9 Depth=1
	v_ffbh_u32_e32 v2, v61
	v_min_u32_e32 v2, 32, v2
	v_subrev_nc_u32_e32 v3, 28, v2
	v_sub_nc_u32_e32 v2, 29, v2
	v_lshlrev_b64 v[3:4], v3, v[61:62]
	v_and_b32_e32 v61, 7, v3
; %bb.86:                               ;   in Loop: Header=BB196_9 Depth=1
	s_or_b32 exec_lo, exec_lo, s34
	v_lshlrev_b32_e32 v1, 16, v1
	v_lshlrev_b32_e32 v3, 20, v61
	v_lshl_add_u32 v2, v2, 23, 0x3c000000
	v_mov_b32_e32 v91, v62
	v_and_b32_e32 v1, 0x80000000, v1
	v_or3_b32 v92, v3, v1, v2
.LBB196_87:                             ;   in Loop: Header=BB196_9 Depth=1
	s_or_b32 exec_lo, exec_lo, s33
.LBB196_88:                             ;   in Loop: Header=BB196_9 Depth=1
	s_or_b32 exec_lo, exec_lo, s31
.LBB196_89:                             ;   in Loop: Header=BB196_9 Depth=1
	s_or_b32 exec_lo, exec_lo, s3
	global_load_ushort v2, v[79:80], off offset:260
	v_mov_b32_e32 v95, 0
	v_mov_b32_e32 v93, 0
	;; [unrolled: 1-line block ×4, first 2 shown]
	s_waitcnt vmcnt(0)
	v_and_b32_e32 v1, 0xffff, v2
	v_cmp_ne_u16_sdwa s2, v2, v62 src0_sel:BYTE_0 src1_sel:DWORD
	s_and_saveexec_b32 s3, s2
	s_cbranch_execz .LBB196_97
; %bb.90:                               ;   in Loop: Header=BB196_9 Depth=1
	v_bfrev_b32_e32 v93, 1
	v_mov_b32_e32 v94, 0
	v_cmp_ne_u16_sdwa s2, v1, v75 src0_sel:BYTE_0 src1_sel:DWORD
	s_and_saveexec_b32 s31, s2
	s_cbranch_execz .LBB196_96
; %bb.91:                               ;   in Loop: Header=BB196_9 Depth=1
	v_mov_b32_e32 v93, 0x7f800001
	v_and_b32_e32 v3, 0x7f, v1
	v_mov_b32_e32 v94, 0
	s_mov_b32 s33, exec_lo
	v_cmpx_ne_u32_e32 0x7f, v3
	s_cbranch_execz .LBB196_95
; %bb.92:                               ;   in Loop: Header=BB196_9 Depth=1
	v_and_b32_e32 v61, 7, v1
	v_lshrrev_b32_e32 v2, 3, v3
	s_mov_b32 s34, exec_lo
	v_cmpx_gt_u32_e32 8, v3
; %bb.93:                               ;   in Loop: Header=BB196_9 Depth=1
	v_ffbh_u32_e32 v2, v61
	v_min_u32_e32 v2, 32, v2
	v_subrev_nc_u32_e32 v3, 28, v2
	v_sub_nc_u32_e32 v2, 29, v2
	v_lshlrev_b64 v[3:4], v3, v[61:62]
	v_and_b32_e32 v61, 7, v3
; %bb.94:                               ;   in Loop: Header=BB196_9 Depth=1
	s_or_b32 exec_lo, exec_lo, s34
	v_lshlrev_b32_e32 v3, 24, v1
	v_lshlrev_b32_e32 v4, 20, v61
	v_lshl_add_u32 v2, v2, 23, 0x3c000000
	v_and_b32_e32 v3, 0x80000000, v3
	v_or3_b32 v61, v4, v3, v2
	v_mov_b32_e32 v94, v62
	v_mov_b32_e32 v93, v61
.LBB196_95:                             ;   in Loop: Header=BB196_9 Depth=1
	s_or_b32 exec_lo, exec_lo, s33
.LBB196_96:                             ;   in Loop: Header=BB196_9 Depth=1
	s_or_b32 exec_lo, exec_lo, s31
.LBB196_97:                             ;   in Loop: Header=BB196_9 Depth=1
	s_or_b32 exec_lo, exec_lo, s3
	v_cmp_ne_u16_sdwa s2, v1, v62 src0_sel:BYTE_1 src1_sel:DWORD
	s_and_saveexec_b32 s3, s2
	s_cbranch_execz .LBB196_105
; %bb.98:                               ;   in Loop: Header=BB196_9 Depth=1
	v_mov_b32_e32 v57, v62
	v_mov_b32_e32 v96, v58
	v_cmp_ne_u16_sdwa s2, v1, v75 src0_sel:BYTE_1 src1_sel:DWORD
	v_mov_b32_e32 v95, v57
	s_and_saveexec_b32 s31, s2
	s_cbranch_execz .LBB196_104
; %bb.99:                               ;   in Loop: Header=BB196_9 Depth=1
	v_mov_b32_e32 v2, 0xffff
	v_mov_b32_e32 v73, v62
	;; [unrolled: 1-line block ×3, first 2 shown]
	s_mov_b32 s33, exec_lo
	v_and_b32_sdwa v2, v2, v1 dst_sel:DWORD dst_unused:UNUSED_PAD src0_sel:DWORD src1_sel:BYTE_1
	v_mov_b32_e32 v95, v73
	v_and_b32_e32 v3, 0x7f, v2
	v_cmpx_ne_u32_e32 0x7f, v3
	s_cbranch_execz .LBB196_103
; %bb.100:                              ;   in Loop: Header=BB196_9 Depth=1
	v_and_b32_e32 v61, 7, v2
	v_lshrrev_b32_e32 v2, 3, v3
	s_mov_b32 s34, exec_lo
	v_cmpx_gt_u32_e32 8, v3
; %bb.101:                              ;   in Loop: Header=BB196_9 Depth=1
	v_ffbh_u32_e32 v2, v61
	v_min_u32_e32 v2, 32, v2
	v_subrev_nc_u32_e32 v3, 28, v2
	v_sub_nc_u32_e32 v2, 29, v2
	v_lshlrev_b64 v[3:4], v3, v[61:62]
	v_and_b32_e32 v61, 7, v3
; %bb.102:                              ;   in Loop: Header=BB196_9 Depth=1
	s_or_b32 exec_lo, exec_lo, s34
	v_lshlrev_b32_e32 v1, 16, v1
	v_lshlrev_b32_e32 v3, 20, v61
	v_lshl_add_u32 v2, v2, 23, 0x3c000000
	v_mov_b32_e32 v95, v62
	v_and_b32_e32 v1, 0x80000000, v1
	v_or3_b32 v96, v3, v1, v2
.LBB196_103:                            ;   in Loop: Header=BB196_9 Depth=1
	s_or_b32 exec_lo, exec_lo, s33
.LBB196_104:                            ;   in Loop: Header=BB196_9 Depth=1
	s_or_b32 exec_lo, exec_lo, s31
.LBB196_105:                            ;   in Loop: Header=BB196_9 Depth=1
	s_or_b32 exec_lo, exec_lo, s3
	global_load_ushort v2, v[79:80], off offset:264
	v_mov_b32_e32 v99, 0
	v_mov_b32_e32 v97, 0
	v_mov_b32_e32 v100, 0
	v_mov_b32_e32 v98, 0
	s_waitcnt vmcnt(0)
	v_and_b32_e32 v1, 0xffff, v2
	v_cmp_ne_u16_sdwa s2, v2, v62 src0_sel:BYTE_0 src1_sel:DWORD
	s_and_saveexec_b32 s3, s2
	s_cbranch_execz .LBB196_113
; %bb.106:                              ;   in Loop: Header=BB196_9 Depth=1
	v_bfrev_b32_e32 v97, 1
	v_mov_b32_e32 v98, 0
	v_cmp_ne_u16_sdwa s2, v1, v75 src0_sel:BYTE_0 src1_sel:DWORD
	s_and_saveexec_b32 s31, s2
	s_cbranch_execz .LBB196_112
; %bb.107:                              ;   in Loop: Header=BB196_9 Depth=1
	v_mov_b32_e32 v97, 0x7f800001
	v_and_b32_e32 v3, 0x7f, v1
	v_mov_b32_e32 v98, 0
	s_mov_b32 s33, exec_lo
	v_cmpx_ne_u32_e32 0x7f, v3
	s_cbranch_execz .LBB196_111
; %bb.108:                              ;   in Loop: Header=BB196_9 Depth=1
	v_and_b32_e32 v61, 7, v1
	v_lshrrev_b32_e32 v2, 3, v3
	s_mov_b32 s34, exec_lo
	v_cmpx_gt_u32_e32 8, v3
; %bb.109:                              ;   in Loop: Header=BB196_9 Depth=1
	v_ffbh_u32_e32 v2, v61
	v_min_u32_e32 v2, 32, v2
	v_subrev_nc_u32_e32 v3, 28, v2
	v_sub_nc_u32_e32 v2, 29, v2
	v_lshlrev_b64 v[3:4], v3, v[61:62]
	v_and_b32_e32 v61, 7, v3
; %bb.110:                              ;   in Loop: Header=BB196_9 Depth=1
	s_or_b32 exec_lo, exec_lo, s34
	v_lshlrev_b32_e32 v3, 24, v1
	v_lshlrev_b32_e32 v4, 20, v61
	v_lshl_add_u32 v2, v2, 23, 0x3c000000
	v_and_b32_e32 v3, 0x80000000, v3
	v_or3_b32 v61, v4, v3, v2
	v_mov_b32_e32 v98, v62
	v_mov_b32_e32 v97, v61
.LBB196_111:                            ;   in Loop: Header=BB196_9 Depth=1
	s_or_b32 exec_lo, exec_lo, s33
.LBB196_112:                            ;   in Loop: Header=BB196_9 Depth=1
	s_or_b32 exec_lo, exec_lo, s31
.LBB196_113:                            ;   in Loop: Header=BB196_9 Depth=1
	s_or_b32 exec_lo, exec_lo, s3
	v_cmp_ne_u16_sdwa s2, v1, v62 src0_sel:BYTE_1 src1_sel:DWORD
	s_and_saveexec_b32 s3, s2
	s_cbranch_execz .LBB196_121
; %bb.114:                              ;   in Loop: Header=BB196_9 Depth=1
	v_mov_b32_e32 v57, v62
	v_mov_b32_e32 v100, v58
	v_cmp_ne_u16_sdwa s2, v1, v75 src0_sel:BYTE_1 src1_sel:DWORD
	v_mov_b32_e32 v99, v57
	s_and_saveexec_b32 s31, s2
	s_cbranch_execz .LBB196_120
; %bb.115:                              ;   in Loop: Header=BB196_9 Depth=1
	v_mov_b32_e32 v2, 0xffff
	v_mov_b32_e32 v73, v62
	;; [unrolled: 1-line block ×3, first 2 shown]
	s_mov_b32 s33, exec_lo
	v_and_b32_sdwa v2, v2, v1 dst_sel:DWORD dst_unused:UNUSED_PAD src0_sel:DWORD src1_sel:BYTE_1
	v_mov_b32_e32 v99, v73
	v_and_b32_e32 v3, 0x7f, v2
	v_cmpx_ne_u32_e32 0x7f, v3
	s_cbranch_execz .LBB196_119
; %bb.116:                              ;   in Loop: Header=BB196_9 Depth=1
	v_and_b32_e32 v61, 7, v2
	v_lshrrev_b32_e32 v2, 3, v3
	s_mov_b32 s34, exec_lo
	v_cmpx_gt_u32_e32 8, v3
; %bb.117:                              ;   in Loop: Header=BB196_9 Depth=1
	v_ffbh_u32_e32 v2, v61
	v_min_u32_e32 v2, 32, v2
	v_subrev_nc_u32_e32 v3, 28, v2
	v_sub_nc_u32_e32 v2, 29, v2
	v_lshlrev_b64 v[3:4], v3, v[61:62]
	v_and_b32_e32 v61, 7, v3
; %bb.118:                              ;   in Loop: Header=BB196_9 Depth=1
	s_or_b32 exec_lo, exec_lo, s34
	v_lshlrev_b32_e32 v1, 16, v1
	v_lshlrev_b32_e32 v3, 20, v61
	v_lshl_add_u32 v2, v2, 23, 0x3c000000
	v_mov_b32_e32 v99, v62
	v_and_b32_e32 v1, 0x80000000, v1
	v_or3_b32 v100, v3, v1, v2
.LBB196_119:                            ;   in Loop: Header=BB196_9 Depth=1
	s_or_b32 exec_lo, exec_lo, s33
.LBB196_120:                            ;   in Loop: Header=BB196_9 Depth=1
	s_or_b32 exec_lo, exec_lo, s31
.LBB196_121:                            ;   in Loop: Header=BB196_9 Depth=1
	s_or_b32 exec_lo, exec_lo, s3
	global_load_ushort v2, v[79:80], off offset:268
	v_mov_b32_e32 v103, 0
	v_mov_b32_e32 v101, 0
	;; [unrolled: 1-line block ×4, first 2 shown]
	s_waitcnt vmcnt(0)
	v_and_b32_e32 v1, 0xffff, v2
	v_cmp_ne_u16_sdwa s2, v2, v62 src0_sel:BYTE_0 src1_sel:DWORD
	s_and_saveexec_b32 s3, s2
	s_cbranch_execz .LBB196_129
; %bb.122:                              ;   in Loop: Header=BB196_9 Depth=1
	v_bfrev_b32_e32 v101, 1
	v_mov_b32_e32 v102, 0
	v_cmp_ne_u16_sdwa s2, v1, v75 src0_sel:BYTE_0 src1_sel:DWORD
	s_and_saveexec_b32 s31, s2
	s_cbranch_execz .LBB196_128
; %bb.123:                              ;   in Loop: Header=BB196_9 Depth=1
	v_mov_b32_e32 v101, 0x7f800001
	v_and_b32_e32 v3, 0x7f, v1
	v_mov_b32_e32 v102, 0
	s_mov_b32 s33, exec_lo
	v_cmpx_ne_u32_e32 0x7f, v3
	s_cbranch_execz .LBB196_127
; %bb.124:                              ;   in Loop: Header=BB196_9 Depth=1
	v_and_b32_e32 v61, 7, v1
	v_lshrrev_b32_e32 v2, 3, v3
	s_mov_b32 s34, exec_lo
	v_cmpx_gt_u32_e32 8, v3
; %bb.125:                              ;   in Loop: Header=BB196_9 Depth=1
	v_ffbh_u32_e32 v2, v61
	v_min_u32_e32 v2, 32, v2
	v_subrev_nc_u32_e32 v3, 28, v2
	v_sub_nc_u32_e32 v2, 29, v2
	v_lshlrev_b64 v[3:4], v3, v[61:62]
	v_and_b32_e32 v61, 7, v3
; %bb.126:                              ;   in Loop: Header=BB196_9 Depth=1
	s_or_b32 exec_lo, exec_lo, s34
	v_lshlrev_b32_e32 v3, 24, v1
	v_lshlrev_b32_e32 v4, 20, v61
	v_lshl_add_u32 v2, v2, 23, 0x3c000000
	v_and_b32_e32 v3, 0x80000000, v3
	v_or3_b32 v61, v4, v3, v2
	v_mov_b32_e32 v102, v62
	v_mov_b32_e32 v101, v61
.LBB196_127:                            ;   in Loop: Header=BB196_9 Depth=1
	s_or_b32 exec_lo, exec_lo, s33
.LBB196_128:                            ;   in Loop: Header=BB196_9 Depth=1
	s_or_b32 exec_lo, exec_lo, s31
.LBB196_129:                            ;   in Loop: Header=BB196_9 Depth=1
	s_or_b32 exec_lo, exec_lo, s3
	v_cmp_ne_u16_sdwa s2, v1, v62 src0_sel:BYTE_1 src1_sel:DWORD
	s_and_saveexec_b32 s3, s2
	s_cbranch_execz .LBB196_137
; %bb.130:                              ;   in Loop: Header=BB196_9 Depth=1
	v_mov_b32_e32 v57, v62
	v_mov_b32_e32 v104, v58
	v_cmp_ne_u16_sdwa s2, v1, v75 src0_sel:BYTE_1 src1_sel:DWORD
	v_mov_b32_e32 v103, v57
	s_and_saveexec_b32 s31, s2
	s_cbranch_execz .LBB196_136
; %bb.131:                              ;   in Loop: Header=BB196_9 Depth=1
	v_mov_b32_e32 v2, 0xffff
	v_mov_b32_e32 v73, v62
	;; [unrolled: 1-line block ×3, first 2 shown]
	s_mov_b32 s33, exec_lo
	v_and_b32_sdwa v2, v2, v1 dst_sel:DWORD dst_unused:UNUSED_PAD src0_sel:DWORD src1_sel:BYTE_1
	v_mov_b32_e32 v103, v73
	v_and_b32_e32 v3, 0x7f, v2
	v_cmpx_ne_u32_e32 0x7f, v3
	s_cbranch_execz .LBB196_135
; %bb.132:                              ;   in Loop: Header=BB196_9 Depth=1
	v_and_b32_e32 v61, 7, v2
	v_lshrrev_b32_e32 v2, 3, v3
	s_mov_b32 s34, exec_lo
	v_cmpx_gt_u32_e32 8, v3
; %bb.133:                              ;   in Loop: Header=BB196_9 Depth=1
	v_ffbh_u32_e32 v2, v61
	v_min_u32_e32 v2, 32, v2
	v_subrev_nc_u32_e32 v3, 28, v2
	v_sub_nc_u32_e32 v2, 29, v2
	v_lshlrev_b64 v[3:4], v3, v[61:62]
	v_and_b32_e32 v61, 7, v3
; %bb.134:                              ;   in Loop: Header=BB196_9 Depth=1
	s_or_b32 exec_lo, exec_lo, s34
	v_lshlrev_b32_e32 v1, 16, v1
	v_lshlrev_b32_e32 v3, 20, v61
	v_lshl_add_u32 v2, v2, 23, 0x3c000000
	v_mov_b32_e32 v103, v62
	v_and_b32_e32 v1, 0x80000000, v1
	v_or3_b32 v104, v3, v1, v2
.LBB196_135:                            ;   in Loop: Header=BB196_9 Depth=1
	s_or_b32 exec_lo, exec_lo, s33
.LBB196_136:                            ;   in Loop: Header=BB196_9 Depth=1
	s_or_b32 exec_lo, exec_lo, s31
.LBB196_137:                            ;   in Loop: Header=BB196_9 Depth=1
	s_or_b32 exec_lo, exec_lo, s3
	global_load_ushort v2, v[79:80], off offset:512
	v_mov_b32_e32 v107, 0
	v_mov_b32_e32 v105, 0
	;; [unrolled: 1-line block ×4, first 2 shown]
	s_waitcnt vmcnt(0)
	v_and_b32_e32 v1, 0xffff, v2
	v_cmp_ne_u16_sdwa s2, v2, v62 src0_sel:BYTE_0 src1_sel:DWORD
	s_and_saveexec_b32 s3, s2
	s_cbranch_execz .LBB196_145
; %bb.138:                              ;   in Loop: Header=BB196_9 Depth=1
	v_bfrev_b32_e32 v105, 1
	v_mov_b32_e32 v106, 0
	v_cmp_ne_u16_sdwa s2, v1, v75 src0_sel:BYTE_0 src1_sel:DWORD
	s_and_saveexec_b32 s31, s2
	s_cbranch_execz .LBB196_144
; %bb.139:                              ;   in Loop: Header=BB196_9 Depth=1
	v_mov_b32_e32 v105, 0x7f800001
	v_and_b32_e32 v3, 0x7f, v1
	v_mov_b32_e32 v106, 0
	s_mov_b32 s33, exec_lo
	v_cmpx_ne_u32_e32 0x7f, v3
	s_cbranch_execz .LBB196_143
; %bb.140:                              ;   in Loop: Header=BB196_9 Depth=1
	v_and_b32_e32 v61, 7, v1
	v_lshrrev_b32_e32 v2, 3, v3
	s_mov_b32 s34, exec_lo
	v_cmpx_gt_u32_e32 8, v3
; %bb.141:                              ;   in Loop: Header=BB196_9 Depth=1
	v_ffbh_u32_e32 v2, v61
	v_min_u32_e32 v2, 32, v2
	v_subrev_nc_u32_e32 v3, 28, v2
	v_sub_nc_u32_e32 v2, 29, v2
	v_lshlrev_b64 v[3:4], v3, v[61:62]
	v_and_b32_e32 v61, 7, v3
; %bb.142:                              ;   in Loop: Header=BB196_9 Depth=1
	s_or_b32 exec_lo, exec_lo, s34
	v_lshlrev_b32_e32 v3, 24, v1
	v_lshlrev_b32_e32 v4, 20, v61
	v_lshl_add_u32 v2, v2, 23, 0x3c000000
	v_and_b32_e32 v3, 0x80000000, v3
	v_or3_b32 v61, v4, v3, v2
	v_mov_b32_e32 v106, v62
	v_mov_b32_e32 v105, v61
.LBB196_143:                            ;   in Loop: Header=BB196_9 Depth=1
	s_or_b32 exec_lo, exec_lo, s33
.LBB196_144:                            ;   in Loop: Header=BB196_9 Depth=1
	s_or_b32 exec_lo, exec_lo, s31
.LBB196_145:                            ;   in Loop: Header=BB196_9 Depth=1
	s_or_b32 exec_lo, exec_lo, s3
	v_cmp_ne_u16_sdwa s2, v1, v62 src0_sel:BYTE_1 src1_sel:DWORD
	s_and_saveexec_b32 s3, s2
	s_cbranch_execz .LBB196_153
; %bb.146:                              ;   in Loop: Header=BB196_9 Depth=1
	v_mov_b32_e32 v57, v62
	v_mov_b32_e32 v108, v58
	v_cmp_ne_u16_sdwa s2, v1, v75 src0_sel:BYTE_1 src1_sel:DWORD
	v_mov_b32_e32 v107, v57
	s_and_saveexec_b32 s31, s2
	s_cbranch_execz .LBB196_152
; %bb.147:                              ;   in Loop: Header=BB196_9 Depth=1
	v_mov_b32_e32 v2, 0xffff
	v_mov_b32_e32 v73, v62
	;; [unrolled: 1-line block ×3, first 2 shown]
	s_mov_b32 s33, exec_lo
	v_and_b32_sdwa v2, v2, v1 dst_sel:DWORD dst_unused:UNUSED_PAD src0_sel:DWORD src1_sel:BYTE_1
	v_mov_b32_e32 v107, v73
	v_and_b32_e32 v3, 0x7f, v2
	v_cmpx_ne_u32_e32 0x7f, v3
	s_cbranch_execz .LBB196_151
; %bb.148:                              ;   in Loop: Header=BB196_9 Depth=1
	v_and_b32_e32 v61, 7, v2
	v_lshrrev_b32_e32 v2, 3, v3
	s_mov_b32 s34, exec_lo
	v_cmpx_gt_u32_e32 8, v3
; %bb.149:                              ;   in Loop: Header=BB196_9 Depth=1
	v_ffbh_u32_e32 v2, v61
	v_min_u32_e32 v2, 32, v2
	v_subrev_nc_u32_e32 v3, 28, v2
	v_sub_nc_u32_e32 v2, 29, v2
	v_lshlrev_b64 v[3:4], v3, v[61:62]
	v_and_b32_e32 v61, 7, v3
; %bb.150:                              ;   in Loop: Header=BB196_9 Depth=1
	s_or_b32 exec_lo, exec_lo, s34
	v_lshlrev_b32_e32 v1, 16, v1
	v_lshlrev_b32_e32 v3, 20, v61
	v_lshl_add_u32 v2, v2, 23, 0x3c000000
	v_mov_b32_e32 v107, v62
	v_and_b32_e32 v1, 0x80000000, v1
	v_or3_b32 v108, v3, v1, v2
.LBB196_151:                            ;   in Loop: Header=BB196_9 Depth=1
	s_or_b32 exec_lo, exec_lo, s33
.LBB196_152:                            ;   in Loop: Header=BB196_9 Depth=1
	s_or_b32 exec_lo, exec_lo, s31
.LBB196_153:                            ;   in Loop: Header=BB196_9 Depth=1
	s_or_b32 exec_lo, exec_lo, s3
	global_load_ushort v2, v[79:80], off offset:516
	v_mov_b32_e32 v111, 0
	v_mov_b32_e32 v109, 0
	;; [unrolled: 1-line block ×4, first 2 shown]
	s_waitcnt vmcnt(0)
	v_and_b32_e32 v1, 0xffff, v2
	v_cmp_ne_u16_sdwa s2, v2, v62 src0_sel:BYTE_0 src1_sel:DWORD
	s_and_saveexec_b32 s3, s2
	s_cbranch_execz .LBB196_161
; %bb.154:                              ;   in Loop: Header=BB196_9 Depth=1
	v_bfrev_b32_e32 v109, 1
	v_mov_b32_e32 v110, 0
	v_cmp_ne_u16_sdwa s2, v1, v75 src0_sel:BYTE_0 src1_sel:DWORD
	s_and_saveexec_b32 s31, s2
	s_cbranch_execz .LBB196_160
; %bb.155:                              ;   in Loop: Header=BB196_9 Depth=1
	v_mov_b32_e32 v109, 0x7f800001
	v_and_b32_e32 v3, 0x7f, v1
	v_mov_b32_e32 v110, 0
	s_mov_b32 s33, exec_lo
	v_cmpx_ne_u32_e32 0x7f, v3
	s_cbranch_execz .LBB196_159
; %bb.156:                              ;   in Loop: Header=BB196_9 Depth=1
	v_and_b32_e32 v61, 7, v1
	v_lshrrev_b32_e32 v2, 3, v3
	s_mov_b32 s34, exec_lo
	v_cmpx_gt_u32_e32 8, v3
; %bb.157:                              ;   in Loop: Header=BB196_9 Depth=1
	v_ffbh_u32_e32 v2, v61
	v_min_u32_e32 v2, 32, v2
	v_subrev_nc_u32_e32 v3, 28, v2
	v_sub_nc_u32_e32 v2, 29, v2
	v_lshlrev_b64 v[3:4], v3, v[61:62]
	v_and_b32_e32 v61, 7, v3
; %bb.158:                              ;   in Loop: Header=BB196_9 Depth=1
	s_or_b32 exec_lo, exec_lo, s34
	v_lshlrev_b32_e32 v3, 24, v1
	v_lshlrev_b32_e32 v4, 20, v61
	v_lshl_add_u32 v2, v2, 23, 0x3c000000
	v_and_b32_e32 v3, 0x80000000, v3
	v_or3_b32 v61, v4, v3, v2
	v_mov_b32_e32 v110, v62
	v_mov_b32_e32 v109, v61
.LBB196_159:                            ;   in Loop: Header=BB196_9 Depth=1
	s_or_b32 exec_lo, exec_lo, s33
.LBB196_160:                            ;   in Loop: Header=BB196_9 Depth=1
	s_or_b32 exec_lo, exec_lo, s31
.LBB196_161:                            ;   in Loop: Header=BB196_9 Depth=1
	s_or_b32 exec_lo, exec_lo, s3
	v_cmp_ne_u16_sdwa s2, v1, v62 src0_sel:BYTE_1 src1_sel:DWORD
	s_and_saveexec_b32 s3, s2
	s_cbranch_execz .LBB196_169
; %bb.162:                              ;   in Loop: Header=BB196_9 Depth=1
	v_mov_b32_e32 v57, v62
	v_mov_b32_e32 v112, v58
	v_cmp_ne_u16_sdwa s2, v1, v75 src0_sel:BYTE_1 src1_sel:DWORD
	v_mov_b32_e32 v111, v57
	s_and_saveexec_b32 s31, s2
	s_cbranch_execz .LBB196_168
; %bb.163:                              ;   in Loop: Header=BB196_9 Depth=1
	v_mov_b32_e32 v2, 0xffff
	v_mov_b32_e32 v73, v62
	;; [unrolled: 1-line block ×3, first 2 shown]
	s_mov_b32 s33, exec_lo
	v_and_b32_sdwa v2, v2, v1 dst_sel:DWORD dst_unused:UNUSED_PAD src0_sel:DWORD src1_sel:BYTE_1
	v_mov_b32_e32 v111, v73
	v_and_b32_e32 v3, 0x7f, v2
	v_cmpx_ne_u32_e32 0x7f, v3
	s_cbranch_execz .LBB196_167
; %bb.164:                              ;   in Loop: Header=BB196_9 Depth=1
	v_and_b32_e32 v61, 7, v2
	v_lshrrev_b32_e32 v2, 3, v3
	s_mov_b32 s34, exec_lo
	v_cmpx_gt_u32_e32 8, v3
; %bb.165:                              ;   in Loop: Header=BB196_9 Depth=1
	v_ffbh_u32_e32 v2, v61
	v_min_u32_e32 v2, 32, v2
	v_subrev_nc_u32_e32 v3, 28, v2
	v_sub_nc_u32_e32 v2, 29, v2
	v_lshlrev_b64 v[3:4], v3, v[61:62]
	v_and_b32_e32 v61, 7, v3
; %bb.166:                              ;   in Loop: Header=BB196_9 Depth=1
	s_or_b32 exec_lo, exec_lo, s34
	v_lshlrev_b32_e32 v1, 16, v1
	v_lshlrev_b32_e32 v3, 20, v61
	v_lshl_add_u32 v2, v2, 23, 0x3c000000
	v_mov_b32_e32 v111, v62
	v_and_b32_e32 v1, 0x80000000, v1
	v_or3_b32 v112, v3, v1, v2
.LBB196_167:                            ;   in Loop: Header=BB196_9 Depth=1
	s_or_b32 exec_lo, exec_lo, s33
.LBB196_168:                            ;   in Loop: Header=BB196_9 Depth=1
	s_or_b32 exec_lo, exec_lo, s31
.LBB196_169:                            ;   in Loop: Header=BB196_9 Depth=1
	s_or_b32 exec_lo, exec_lo, s3
	global_load_ushort v2, v[79:80], off offset:520
	v_mov_b32_e32 v115, 0
	v_mov_b32_e32 v113, 0
	;; [unrolled: 1-line block ×4, first 2 shown]
	s_waitcnt vmcnt(0)
	v_and_b32_e32 v1, 0xffff, v2
	v_cmp_ne_u16_sdwa s2, v2, v62 src0_sel:BYTE_0 src1_sel:DWORD
	s_and_saveexec_b32 s3, s2
	s_cbranch_execz .LBB196_177
; %bb.170:                              ;   in Loop: Header=BB196_9 Depth=1
	v_bfrev_b32_e32 v113, 1
	v_mov_b32_e32 v114, 0
	v_cmp_ne_u16_sdwa s2, v1, v75 src0_sel:BYTE_0 src1_sel:DWORD
	s_and_saveexec_b32 s31, s2
	s_cbranch_execz .LBB196_176
; %bb.171:                              ;   in Loop: Header=BB196_9 Depth=1
	v_mov_b32_e32 v113, 0x7f800001
	v_and_b32_e32 v3, 0x7f, v1
	v_mov_b32_e32 v114, 0
	s_mov_b32 s33, exec_lo
	v_cmpx_ne_u32_e32 0x7f, v3
	s_cbranch_execz .LBB196_175
; %bb.172:                              ;   in Loop: Header=BB196_9 Depth=1
	v_and_b32_e32 v61, 7, v1
	v_lshrrev_b32_e32 v2, 3, v3
	s_mov_b32 s34, exec_lo
	v_cmpx_gt_u32_e32 8, v3
; %bb.173:                              ;   in Loop: Header=BB196_9 Depth=1
	v_ffbh_u32_e32 v2, v61
	v_min_u32_e32 v2, 32, v2
	v_subrev_nc_u32_e32 v3, 28, v2
	v_sub_nc_u32_e32 v2, 29, v2
	v_lshlrev_b64 v[3:4], v3, v[61:62]
	v_and_b32_e32 v61, 7, v3
; %bb.174:                              ;   in Loop: Header=BB196_9 Depth=1
	s_or_b32 exec_lo, exec_lo, s34
	v_lshlrev_b32_e32 v3, 24, v1
	v_lshlrev_b32_e32 v4, 20, v61
	v_lshl_add_u32 v2, v2, 23, 0x3c000000
	v_and_b32_e32 v3, 0x80000000, v3
	v_or3_b32 v61, v4, v3, v2
	v_mov_b32_e32 v114, v62
	v_mov_b32_e32 v113, v61
.LBB196_175:                            ;   in Loop: Header=BB196_9 Depth=1
	s_or_b32 exec_lo, exec_lo, s33
.LBB196_176:                            ;   in Loop: Header=BB196_9 Depth=1
	s_or_b32 exec_lo, exec_lo, s31
.LBB196_177:                            ;   in Loop: Header=BB196_9 Depth=1
	s_or_b32 exec_lo, exec_lo, s3
	v_cmp_ne_u16_sdwa s2, v1, v62 src0_sel:BYTE_1 src1_sel:DWORD
	s_and_saveexec_b32 s3, s2
	s_cbranch_execz .LBB196_185
; %bb.178:                              ;   in Loop: Header=BB196_9 Depth=1
	v_mov_b32_e32 v57, v62
	v_mov_b32_e32 v116, v58
	v_cmp_ne_u16_sdwa s2, v1, v75 src0_sel:BYTE_1 src1_sel:DWORD
	v_mov_b32_e32 v115, v57
	s_and_saveexec_b32 s31, s2
	s_cbranch_execz .LBB196_184
; %bb.179:                              ;   in Loop: Header=BB196_9 Depth=1
	v_mov_b32_e32 v2, 0xffff
	v_mov_b32_e32 v73, v62
	;; [unrolled: 1-line block ×3, first 2 shown]
	s_mov_b32 s33, exec_lo
	v_and_b32_sdwa v2, v2, v1 dst_sel:DWORD dst_unused:UNUSED_PAD src0_sel:DWORD src1_sel:BYTE_1
	v_mov_b32_e32 v115, v73
	v_and_b32_e32 v3, 0x7f, v2
	v_cmpx_ne_u32_e32 0x7f, v3
	s_cbranch_execz .LBB196_183
; %bb.180:                              ;   in Loop: Header=BB196_9 Depth=1
	v_and_b32_e32 v61, 7, v2
	v_lshrrev_b32_e32 v2, 3, v3
	s_mov_b32 s34, exec_lo
	v_cmpx_gt_u32_e32 8, v3
; %bb.181:                              ;   in Loop: Header=BB196_9 Depth=1
	v_ffbh_u32_e32 v2, v61
	v_min_u32_e32 v2, 32, v2
	v_subrev_nc_u32_e32 v3, 28, v2
	v_sub_nc_u32_e32 v2, 29, v2
	v_lshlrev_b64 v[3:4], v3, v[61:62]
	v_and_b32_e32 v61, 7, v3
; %bb.182:                              ;   in Loop: Header=BB196_9 Depth=1
	s_or_b32 exec_lo, exec_lo, s34
	v_lshlrev_b32_e32 v1, 16, v1
	v_lshlrev_b32_e32 v3, 20, v61
	v_lshl_add_u32 v2, v2, 23, 0x3c000000
	v_mov_b32_e32 v115, v62
	v_and_b32_e32 v1, 0x80000000, v1
	v_or3_b32 v116, v3, v1, v2
.LBB196_183:                            ;   in Loop: Header=BB196_9 Depth=1
	s_or_b32 exec_lo, exec_lo, s33
.LBB196_184:                            ;   in Loop: Header=BB196_9 Depth=1
	s_or_b32 exec_lo, exec_lo, s31
.LBB196_185:                            ;   in Loop: Header=BB196_9 Depth=1
	s_or_b32 exec_lo, exec_lo, s3
	global_load_ushort v2, v[79:80], off offset:524
	v_mov_b32_e32 v119, 0
	v_mov_b32_e32 v117, 0
	;; [unrolled: 1-line block ×4, first 2 shown]
	s_waitcnt vmcnt(0)
	v_and_b32_e32 v1, 0xffff, v2
	v_cmp_ne_u16_sdwa s2, v2, v62 src0_sel:BYTE_0 src1_sel:DWORD
	s_and_saveexec_b32 s3, s2
	s_cbranch_execz .LBB196_193
; %bb.186:                              ;   in Loop: Header=BB196_9 Depth=1
	v_bfrev_b32_e32 v117, 1
	v_mov_b32_e32 v118, 0
	v_cmp_ne_u16_sdwa s2, v1, v75 src0_sel:BYTE_0 src1_sel:DWORD
	s_and_saveexec_b32 s31, s2
	s_cbranch_execz .LBB196_192
; %bb.187:                              ;   in Loop: Header=BB196_9 Depth=1
	v_mov_b32_e32 v117, 0x7f800001
	v_and_b32_e32 v3, 0x7f, v1
	v_mov_b32_e32 v118, 0
	s_mov_b32 s33, exec_lo
	v_cmpx_ne_u32_e32 0x7f, v3
	s_cbranch_execz .LBB196_191
; %bb.188:                              ;   in Loop: Header=BB196_9 Depth=1
	v_and_b32_e32 v61, 7, v1
	v_lshrrev_b32_e32 v2, 3, v3
	s_mov_b32 s34, exec_lo
	v_cmpx_gt_u32_e32 8, v3
; %bb.189:                              ;   in Loop: Header=BB196_9 Depth=1
	v_ffbh_u32_e32 v2, v61
	v_min_u32_e32 v2, 32, v2
	v_subrev_nc_u32_e32 v3, 28, v2
	v_sub_nc_u32_e32 v2, 29, v2
	v_lshlrev_b64 v[3:4], v3, v[61:62]
	v_and_b32_e32 v61, 7, v3
; %bb.190:                              ;   in Loop: Header=BB196_9 Depth=1
	s_or_b32 exec_lo, exec_lo, s34
	v_lshlrev_b32_e32 v3, 24, v1
	v_lshlrev_b32_e32 v4, 20, v61
	v_lshl_add_u32 v2, v2, 23, 0x3c000000
	v_and_b32_e32 v3, 0x80000000, v3
	v_or3_b32 v61, v4, v3, v2
	v_mov_b32_e32 v118, v62
	v_mov_b32_e32 v117, v61
.LBB196_191:                            ;   in Loop: Header=BB196_9 Depth=1
	s_or_b32 exec_lo, exec_lo, s33
.LBB196_192:                            ;   in Loop: Header=BB196_9 Depth=1
	s_or_b32 exec_lo, exec_lo, s31
.LBB196_193:                            ;   in Loop: Header=BB196_9 Depth=1
	s_or_b32 exec_lo, exec_lo, s3
	v_cmp_ne_u16_sdwa s2, v1, v62 src0_sel:BYTE_1 src1_sel:DWORD
	s_and_saveexec_b32 s3, s2
	s_cbranch_execz .LBB196_201
; %bb.194:                              ;   in Loop: Header=BB196_9 Depth=1
	v_mov_b32_e32 v57, v62
	v_mov_b32_e32 v120, v58
	v_cmp_ne_u16_sdwa s2, v1, v75 src0_sel:BYTE_1 src1_sel:DWORD
	v_mov_b32_e32 v119, v57
	s_and_saveexec_b32 s31, s2
	s_cbranch_execz .LBB196_200
; %bb.195:                              ;   in Loop: Header=BB196_9 Depth=1
	v_mov_b32_e32 v2, 0xffff
	v_mov_b32_e32 v73, v62
	;; [unrolled: 1-line block ×3, first 2 shown]
	s_mov_b32 s33, exec_lo
	v_and_b32_sdwa v2, v2, v1 dst_sel:DWORD dst_unused:UNUSED_PAD src0_sel:DWORD src1_sel:BYTE_1
	v_mov_b32_e32 v119, v73
	v_and_b32_e32 v3, 0x7f, v2
	v_cmpx_ne_u32_e32 0x7f, v3
	s_cbranch_execz .LBB196_199
; %bb.196:                              ;   in Loop: Header=BB196_9 Depth=1
	v_and_b32_e32 v61, 7, v2
	v_lshrrev_b32_e32 v2, 3, v3
	s_mov_b32 s34, exec_lo
	v_cmpx_gt_u32_e32 8, v3
; %bb.197:                              ;   in Loop: Header=BB196_9 Depth=1
	v_ffbh_u32_e32 v2, v61
	v_min_u32_e32 v2, 32, v2
	v_subrev_nc_u32_e32 v3, 28, v2
	v_sub_nc_u32_e32 v2, 29, v2
	v_lshlrev_b64 v[3:4], v3, v[61:62]
	v_and_b32_e32 v61, 7, v3
; %bb.198:                              ;   in Loop: Header=BB196_9 Depth=1
	s_or_b32 exec_lo, exec_lo, s34
	v_lshlrev_b32_e32 v1, 16, v1
	v_lshlrev_b32_e32 v3, 20, v61
	v_lshl_add_u32 v2, v2, 23, 0x3c000000
	v_mov_b32_e32 v119, v62
	v_and_b32_e32 v1, 0x80000000, v1
	v_or3_b32 v120, v3, v1, v2
.LBB196_199:                            ;   in Loop: Header=BB196_9 Depth=1
	s_or_b32 exec_lo, exec_lo, s33
.LBB196_200:                            ;   in Loop: Header=BB196_9 Depth=1
	s_or_b32 exec_lo, exec_lo, s31
.LBB196_201:                            ;   in Loop: Header=BB196_9 Depth=1
	s_or_b32 exec_lo, exec_lo, s3
	global_load_ushort v2, v[79:80], off offset:768
	v_mov_b32_e32 v123, 0
	v_mov_b32_e32 v121, 0
	;; [unrolled: 1-line block ×4, first 2 shown]
	s_waitcnt vmcnt(0)
	v_and_b32_e32 v1, 0xffff, v2
	v_cmp_ne_u16_sdwa s2, v2, v62 src0_sel:BYTE_0 src1_sel:DWORD
	s_and_saveexec_b32 s3, s2
	s_cbranch_execz .LBB196_209
; %bb.202:                              ;   in Loop: Header=BB196_9 Depth=1
	v_bfrev_b32_e32 v121, 1
	v_mov_b32_e32 v122, 0
	v_cmp_ne_u16_sdwa s2, v1, v75 src0_sel:BYTE_0 src1_sel:DWORD
	s_and_saveexec_b32 s31, s2
	s_cbranch_execz .LBB196_208
; %bb.203:                              ;   in Loop: Header=BB196_9 Depth=1
	v_mov_b32_e32 v121, 0x7f800001
	v_and_b32_e32 v3, 0x7f, v1
	v_mov_b32_e32 v122, 0
	s_mov_b32 s33, exec_lo
	v_cmpx_ne_u32_e32 0x7f, v3
	s_cbranch_execz .LBB196_207
; %bb.204:                              ;   in Loop: Header=BB196_9 Depth=1
	v_and_b32_e32 v61, 7, v1
	v_lshrrev_b32_e32 v2, 3, v3
	s_mov_b32 s34, exec_lo
	v_cmpx_gt_u32_e32 8, v3
; %bb.205:                              ;   in Loop: Header=BB196_9 Depth=1
	v_ffbh_u32_e32 v2, v61
	v_min_u32_e32 v2, 32, v2
	v_subrev_nc_u32_e32 v3, 28, v2
	v_sub_nc_u32_e32 v2, 29, v2
	v_lshlrev_b64 v[3:4], v3, v[61:62]
	v_and_b32_e32 v61, 7, v3
; %bb.206:                              ;   in Loop: Header=BB196_9 Depth=1
	s_or_b32 exec_lo, exec_lo, s34
	v_lshlrev_b32_e32 v3, 24, v1
	v_lshlrev_b32_e32 v4, 20, v61
	v_lshl_add_u32 v2, v2, 23, 0x3c000000
	v_and_b32_e32 v3, 0x80000000, v3
	v_or3_b32 v61, v4, v3, v2
	v_mov_b32_e32 v122, v62
	v_mov_b32_e32 v121, v61
.LBB196_207:                            ;   in Loop: Header=BB196_9 Depth=1
	s_or_b32 exec_lo, exec_lo, s33
.LBB196_208:                            ;   in Loop: Header=BB196_9 Depth=1
	s_or_b32 exec_lo, exec_lo, s31
.LBB196_209:                            ;   in Loop: Header=BB196_9 Depth=1
	s_or_b32 exec_lo, exec_lo, s3
	v_cmp_ne_u16_sdwa s2, v1, v62 src0_sel:BYTE_1 src1_sel:DWORD
	s_and_saveexec_b32 s3, s2
	s_cbranch_execz .LBB196_217
; %bb.210:                              ;   in Loop: Header=BB196_9 Depth=1
	v_mov_b32_e32 v57, v62
	v_mov_b32_e32 v124, v58
	v_cmp_ne_u16_sdwa s2, v1, v75 src0_sel:BYTE_1 src1_sel:DWORD
	v_mov_b32_e32 v123, v57
	s_and_saveexec_b32 s31, s2
	s_cbranch_execz .LBB196_216
; %bb.211:                              ;   in Loop: Header=BB196_9 Depth=1
	v_mov_b32_e32 v2, 0xffff
	v_mov_b32_e32 v73, v62
	;; [unrolled: 1-line block ×3, first 2 shown]
	s_mov_b32 s33, exec_lo
	v_and_b32_sdwa v2, v2, v1 dst_sel:DWORD dst_unused:UNUSED_PAD src0_sel:DWORD src1_sel:BYTE_1
	v_mov_b32_e32 v123, v73
	v_and_b32_e32 v3, 0x7f, v2
	v_cmpx_ne_u32_e32 0x7f, v3
	s_cbranch_execz .LBB196_215
; %bb.212:                              ;   in Loop: Header=BB196_9 Depth=1
	v_and_b32_e32 v61, 7, v2
	v_lshrrev_b32_e32 v2, 3, v3
	s_mov_b32 s34, exec_lo
	v_cmpx_gt_u32_e32 8, v3
; %bb.213:                              ;   in Loop: Header=BB196_9 Depth=1
	v_ffbh_u32_e32 v2, v61
	v_min_u32_e32 v2, 32, v2
	v_subrev_nc_u32_e32 v3, 28, v2
	v_sub_nc_u32_e32 v2, 29, v2
	v_lshlrev_b64 v[3:4], v3, v[61:62]
	v_and_b32_e32 v61, 7, v3
; %bb.214:                              ;   in Loop: Header=BB196_9 Depth=1
	s_or_b32 exec_lo, exec_lo, s34
	v_lshlrev_b32_e32 v1, 16, v1
	v_lshlrev_b32_e32 v3, 20, v61
	v_lshl_add_u32 v2, v2, 23, 0x3c000000
	v_mov_b32_e32 v123, v62
	v_and_b32_e32 v1, 0x80000000, v1
	v_or3_b32 v124, v3, v1, v2
.LBB196_215:                            ;   in Loop: Header=BB196_9 Depth=1
	s_or_b32 exec_lo, exec_lo, s33
.LBB196_216:                            ;   in Loop: Header=BB196_9 Depth=1
	s_or_b32 exec_lo, exec_lo, s31
.LBB196_217:                            ;   in Loop: Header=BB196_9 Depth=1
	s_or_b32 exec_lo, exec_lo, s3
	global_load_ushort v2, v[79:80], off offset:772
	v_mov_b32_e32 v63, 0
	v_mov_b32_e32 v125, 0
	;; [unrolled: 1-line block ×4, first 2 shown]
	s_waitcnt vmcnt(0)
	v_and_b32_e32 v1, 0xffff, v2
	v_cmp_ne_u16_sdwa s2, v2, v62 src0_sel:BYTE_0 src1_sel:DWORD
	s_and_saveexec_b32 s3, s2
	s_cbranch_execz .LBB196_225
; %bb.218:                              ;   in Loop: Header=BB196_9 Depth=1
	v_bfrev_b32_e32 v125, 1
	v_mov_b32_e32 v126, 0
	v_cmp_ne_u16_sdwa s2, v1, v75 src0_sel:BYTE_0 src1_sel:DWORD
	s_and_saveexec_b32 s31, s2
	s_cbranch_execz .LBB196_224
; %bb.219:                              ;   in Loop: Header=BB196_9 Depth=1
	v_mov_b32_e32 v125, 0x7f800001
	v_and_b32_e32 v3, 0x7f, v1
	v_mov_b32_e32 v126, 0
	s_mov_b32 s33, exec_lo
	v_cmpx_ne_u32_e32 0x7f, v3
	s_cbranch_execz .LBB196_223
; %bb.220:                              ;   in Loop: Header=BB196_9 Depth=1
	v_and_b32_e32 v61, 7, v1
	v_lshrrev_b32_e32 v2, 3, v3
	s_mov_b32 s34, exec_lo
	v_cmpx_gt_u32_e32 8, v3
; %bb.221:                              ;   in Loop: Header=BB196_9 Depth=1
	v_ffbh_u32_e32 v2, v61
	v_min_u32_e32 v2, 32, v2
	v_subrev_nc_u32_e32 v3, 28, v2
	v_sub_nc_u32_e32 v2, 29, v2
	v_lshlrev_b64 v[3:4], v3, v[61:62]
	v_and_b32_e32 v61, 7, v3
; %bb.222:                              ;   in Loop: Header=BB196_9 Depth=1
	s_or_b32 exec_lo, exec_lo, s34
	v_lshlrev_b32_e32 v3, 24, v1
	v_lshlrev_b32_e32 v4, 20, v61
	v_lshl_add_u32 v2, v2, 23, 0x3c000000
	v_and_b32_e32 v3, 0x80000000, v3
	v_or3_b32 v61, v4, v3, v2
	v_mov_b32_e32 v126, v62
	v_mov_b32_e32 v125, v61
.LBB196_223:                            ;   in Loop: Header=BB196_9 Depth=1
	s_or_b32 exec_lo, exec_lo, s33
.LBB196_224:                            ;   in Loop: Header=BB196_9 Depth=1
	s_or_b32 exec_lo, exec_lo, s31
.LBB196_225:                            ;   in Loop: Header=BB196_9 Depth=1
	s_or_b32 exec_lo, exec_lo, s3
	v_cmp_ne_u16_sdwa s2, v1, v62 src0_sel:BYTE_1 src1_sel:DWORD
	s_and_saveexec_b32 s3, s2
	s_cbranch_execz .LBB196_233
; %bb.226:                              ;   in Loop: Header=BB196_9 Depth=1
	v_mov_b32_e32 v57, v62
	v_mov_b32_e32 v64, v58
	v_cmp_ne_u16_sdwa s2, v1, v75 src0_sel:BYTE_1 src1_sel:DWORD
	v_mov_b32_e32 v63, v57
	s_and_saveexec_b32 s31, s2
	s_cbranch_execz .LBB196_232
; %bb.227:                              ;   in Loop: Header=BB196_9 Depth=1
	v_mov_b32_e32 v2, 0xffff
	v_mov_b32_e32 v73, v62
	s_mov_b32 s33, exec_lo
	v_and_b32_sdwa v2, v2, v1 dst_sel:DWORD dst_unused:UNUSED_PAD src0_sel:DWORD src1_sel:BYTE_1
	v_mov_b32_e32 v63, v73
	v_mov_b32_e32 v64, v74
	v_and_b32_e32 v3, 0x7f, v2
	v_cmpx_ne_u32_e32 0x7f, v3
	s_cbranch_execz .LBB196_231
; %bb.228:                              ;   in Loop: Header=BB196_9 Depth=1
	v_and_b32_e32 v61, 7, v2
	v_lshrrev_b32_e32 v2, 3, v3
	s_mov_b32 s34, exec_lo
	v_cmpx_gt_u32_e32 8, v3
; %bb.229:                              ;   in Loop: Header=BB196_9 Depth=1
	v_ffbh_u32_e32 v2, v61
	v_min_u32_e32 v2, 32, v2
	v_subrev_nc_u32_e32 v3, 28, v2
	v_sub_nc_u32_e32 v2, 29, v2
	v_lshlrev_b64 v[3:4], v3, v[61:62]
	v_and_b32_e32 v61, 7, v3
; %bb.230:                              ;   in Loop: Header=BB196_9 Depth=1
	s_or_b32 exec_lo, exec_lo, s34
	v_lshlrev_b32_e32 v1, 16, v1
	v_lshlrev_b32_e32 v3, 20, v61
	v_lshl_add_u32 v2, v2, 23, 0x3c000000
	v_mov_b32_e32 v63, v62
	v_and_b32_e32 v1, 0x80000000, v1
	v_or3_b32 v64, v3, v1, v2
.LBB196_231:                            ;   in Loop: Header=BB196_9 Depth=1
	s_or_b32 exec_lo, exec_lo, s33
.LBB196_232:                            ;   in Loop: Header=BB196_9 Depth=1
	s_or_b32 exec_lo, exec_lo, s31
.LBB196_233:                            ;   in Loop: Header=BB196_9 Depth=1
	s_or_b32 exec_lo, exec_lo, s3
	global_load_ushort v1, v[79:80], off offset:776
	v_mov_b32_e32 v3, 0
	v_mov_b32_e32 v4, 0
	s_waitcnt vmcnt(0)
	v_and_b32_e32 v5, 0xffff, v1
	v_cmp_ne_u16_sdwa s2, v1, v62 src0_sel:BYTE_0 src1_sel:DWORD
	v_mov_b32_e32 v1, 0
	v_mov_b32_e32 v2, 0
	s_and_saveexec_b32 s3, s2
	s_cbranch_execz .LBB196_241
; %bb.234:                              ;   in Loop: Header=BB196_9 Depth=1
	v_bfrev_b32_e32 v1, 1
	v_mov_b32_e32 v2, 0
	v_cmp_ne_u16_sdwa s2, v5, v75 src0_sel:BYTE_0 src1_sel:DWORD
	s_and_saveexec_b32 s31, s2
	s_cbranch_execz .LBB196_240
; %bb.235:                              ;   in Loop: Header=BB196_9 Depth=1
	v_mov_b32_e32 v1, 0x7f800001
	v_and_b32_e32 v6, 0x7f, v5
	v_mov_b32_e32 v2, 0
	s_mov_b32 s33, exec_lo
	v_cmpx_ne_u32_e32 0x7f, v6
	s_cbranch_execz .LBB196_239
; %bb.236:                              ;   in Loop: Header=BB196_9 Depth=1
	v_and_b32_e32 v61, 7, v5
	v_lshrrev_b32_e32 v1, 3, v6
	s_mov_b32 s34, exec_lo
	v_cmpx_gt_u32_e32 8, v6
; %bb.237:                              ;   in Loop: Header=BB196_9 Depth=1
	v_ffbh_u32_e32 v1, v61
	v_min_u32_e32 v1, 32, v1
	v_subrev_nc_u32_e32 v2, 28, v1
	v_sub_nc_u32_e32 v1, 29, v1
	v_lshlrev_b64 v[6:7], v2, v[61:62]
	v_and_b32_e32 v61, 7, v6
; %bb.238:                              ;   in Loop: Header=BB196_9 Depth=1
	s_or_b32 exec_lo, exec_lo, s34
	v_lshlrev_b32_e32 v2, 24, v5
	v_lshlrev_b32_e32 v6, 20, v61
	v_lshl_add_u32 v1, v1, 23, 0x3c000000
	v_and_b32_e32 v2, 0x80000000, v2
	v_or3_b32 v61, v6, v2, v1
	v_mov_b32_e32 v1, v61
	v_mov_b32_e32 v2, v62
.LBB196_239:                            ;   in Loop: Header=BB196_9 Depth=1
	s_or_b32 exec_lo, exec_lo, s33
.LBB196_240:                            ;   in Loop: Header=BB196_9 Depth=1
	s_or_b32 exec_lo, exec_lo, s31
.LBB196_241:                            ;   in Loop: Header=BB196_9 Depth=1
	s_or_b32 exec_lo, exec_lo, s3
	v_cmp_ne_u16_sdwa s2, v5, v62 src0_sel:BYTE_1 src1_sel:DWORD
	s_and_saveexec_b32 s3, s2
	s_cbranch_execz .LBB196_249
; %bb.242:                              ;   in Loop: Header=BB196_9 Depth=1
	v_mov_b32_e32 v57, v62
	v_cmp_ne_u16_sdwa s2, v5, v75 src0_sel:BYTE_1 src1_sel:DWORD
	v_mov_b32_e32 v3, v57
	v_mov_b32_e32 v4, v58
	s_and_saveexec_b32 s31, s2
	s_cbranch_execz .LBB196_248
; %bb.243:                              ;   in Loop: Header=BB196_9 Depth=1
	v_mov_b32_e32 v3, 0xffff
	v_mov_b32_e32 v73, v62
	s_mov_b32 s33, exec_lo
	v_and_b32_sdwa v7, v3, v5 dst_sel:DWORD dst_unused:UNUSED_PAD src0_sel:DWORD src1_sel:BYTE_1
	v_mov_b32_e32 v3, v73
	v_mov_b32_e32 v4, v74
	v_and_b32_e32 v6, 0x7f, v7
	v_cmpx_ne_u32_e32 0x7f, v6
	s_cbranch_execz .LBB196_247
; %bb.244:                              ;   in Loop: Header=BB196_9 Depth=1
	v_and_b32_e32 v61, 7, v7
	v_lshrrev_b32_e32 v3, 3, v6
	s_mov_b32 s34, exec_lo
	v_cmpx_gt_u32_e32 8, v6
; %bb.245:                              ;   in Loop: Header=BB196_9 Depth=1
	v_ffbh_u32_e32 v3, v61
	v_min_u32_e32 v3, 32, v3
	v_subrev_nc_u32_e32 v4, 28, v3
	v_sub_nc_u32_e32 v3, 29, v3
	v_lshlrev_b64 v[6:7], v4, v[61:62]
	v_and_b32_e32 v61, 7, v6
; %bb.246:                              ;   in Loop: Header=BB196_9 Depth=1
	s_or_b32 exec_lo, exec_lo, s34
	v_lshlrev_b32_e32 v4, 16, v5
	v_lshlrev_b32_e32 v5, 20, v61
	v_lshl_add_u32 v3, v3, 23, 0x3c000000
	v_and_b32_e32 v4, 0x80000000, v4
	v_or3_b32 v4, v5, v4, v3
	v_mov_b32_e32 v3, v62
.LBB196_247:                            ;   in Loop: Header=BB196_9 Depth=1
	s_or_b32 exec_lo, exec_lo, s33
.LBB196_248:                            ;   in Loop: Header=BB196_9 Depth=1
	s_or_b32 exec_lo, exec_lo, s31
.LBB196_249:                            ;   in Loop: Header=BB196_9 Depth=1
	s_or_b32 exec_lo, exec_lo, s3
	global_load_ushort v5, v[79:80], off offset:780
	v_mov_b32_e32 v7, 0
	v_mov_b32_e32 v8, 0
	s_waitcnt vmcnt(0)
	v_and_b32_e32 v9, 0xffff, v5
	v_cmp_ne_u16_sdwa s2, v5, v62 src0_sel:BYTE_0 src1_sel:DWORD
	v_mov_b32_e32 v5, 0
	v_mov_b32_e32 v6, 0
	s_and_saveexec_b32 s3, s2
	s_cbranch_execz .LBB196_257
; %bb.250:                              ;   in Loop: Header=BB196_9 Depth=1
	v_bfrev_b32_e32 v5, 1
	v_mov_b32_e32 v6, 0
	v_cmp_ne_u16_sdwa s2, v9, v75 src0_sel:BYTE_0 src1_sel:DWORD
	s_and_saveexec_b32 s31, s2
	s_cbranch_execz .LBB196_256
; %bb.251:                              ;   in Loop: Header=BB196_9 Depth=1
	v_mov_b32_e32 v5, 0x7f800001
	v_and_b32_e32 v10, 0x7f, v9
	v_mov_b32_e32 v6, 0
	s_mov_b32 s33, exec_lo
	v_cmpx_ne_u32_e32 0x7f, v10
	s_cbranch_execz .LBB196_255
; %bb.252:                              ;   in Loop: Header=BB196_9 Depth=1
	v_and_b32_e32 v61, 7, v9
	v_lshrrev_b32_e32 v5, 3, v10
	s_mov_b32 s34, exec_lo
	v_cmpx_gt_u32_e32 8, v10
; %bb.253:                              ;   in Loop: Header=BB196_9 Depth=1
	v_ffbh_u32_e32 v5, v61
	v_min_u32_e32 v5, 32, v5
	v_subrev_nc_u32_e32 v6, 28, v5
	v_sub_nc_u32_e32 v5, 29, v5
	v_lshlrev_b64 v[10:11], v6, v[61:62]
	v_and_b32_e32 v61, 7, v10
; %bb.254:                              ;   in Loop: Header=BB196_9 Depth=1
	s_or_b32 exec_lo, exec_lo, s34
	v_lshlrev_b32_e32 v6, 24, v9
	v_lshlrev_b32_e32 v10, 20, v61
	v_lshl_add_u32 v5, v5, 23, 0x3c000000
	v_and_b32_e32 v6, 0x80000000, v6
	v_or3_b32 v61, v10, v6, v5
	v_mov_b32_e32 v5, v61
	v_mov_b32_e32 v6, v62
.LBB196_255:                            ;   in Loop: Header=BB196_9 Depth=1
	s_or_b32 exec_lo, exec_lo, s33
.LBB196_256:                            ;   in Loop: Header=BB196_9 Depth=1
	s_or_b32 exec_lo, exec_lo, s31
.LBB196_257:                            ;   in Loop: Header=BB196_9 Depth=1
	s_or_b32 exec_lo, exec_lo, s3
	v_cmp_ne_u16_sdwa s2, v9, v62 src0_sel:BYTE_1 src1_sel:DWORD
	s_and_saveexec_b32 s3, s2
	s_cbranch_execz .LBB196_265
; %bb.258:                              ;   in Loop: Header=BB196_9 Depth=1
	v_mov_b32_e32 v57, v62
	v_cmp_ne_u16_sdwa s2, v9, v75 src0_sel:BYTE_1 src1_sel:DWORD
	v_mov_b32_e32 v7, v57
	v_mov_b32_e32 v8, v58
	s_and_saveexec_b32 s31, s2
	s_cbranch_execz .LBB196_264
; %bb.259:                              ;   in Loop: Header=BB196_9 Depth=1
	v_mov_b32_e32 v7, 0xffff
	v_mov_b32_e32 v73, v62
	s_mov_b32 s33, exec_lo
	v_and_b32_sdwa v11, v7, v9 dst_sel:DWORD dst_unused:UNUSED_PAD src0_sel:DWORD src1_sel:BYTE_1
	v_mov_b32_e32 v7, v73
	v_mov_b32_e32 v8, v74
	v_and_b32_e32 v10, 0x7f, v11
	v_cmpx_ne_u32_e32 0x7f, v10
	s_cbranch_execz .LBB196_263
; %bb.260:                              ;   in Loop: Header=BB196_9 Depth=1
	v_and_b32_e32 v61, 7, v11
	v_lshrrev_b32_e32 v7, 3, v10
	s_mov_b32 s34, exec_lo
	v_cmpx_gt_u32_e32 8, v10
; %bb.261:                              ;   in Loop: Header=BB196_9 Depth=1
	v_ffbh_u32_e32 v7, v61
	v_min_u32_e32 v7, 32, v7
	v_subrev_nc_u32_e32 v8, 28, v7
	v_sub_nc_u32_e32 v7, 29, v7
	v_lshlrev_b64 v[10:11], v8, v[61:62]
	v_and_b32_e32 v61, 7, v10
; %bb.262:                              ;   in Loop: Header=BB196_9 Depth=1
	s_or_b32 exec_lo, exec_lo, s34
	v_lshlrev_b32_e32 v8, 16, v9
	v_lshlrev_b32_e32 v9, 20, v61
	v_lshl_add_u32 v7, v7, 23, 0x3c000000
	v_and_b32_e32 v8, 0x80000000, v8
	v_or3_b32 v8, v9, v8, v7
	v_mov_b32_e32 v7, v62
.LBB196_263:                            ;   in Loop: Header=BB196_9 Depth=1
	s_or_b32 exec_lo, exec_lo, s33
.LBB196_264:                            ;   in Loop: Header=BB196_9 Depth=1
	s_or_b32 exec_lo, exec_lo, s31
.LBB196_265:                            ;   in Loop: Header=BB196_9 Depth=1
	s_or_b32 exec_lo, exec_lo, s3
	global_load_ushort v9, v[79:80], off offset:1024
	v_mov_b32_e32 v11, 0
	v_mov_b32_e32 v12, 0
	s_waitcnt vmcnt(0)
	v_and_b32_e32 v13, 0xffff, v9
	v_cmp_ne_u16_sdwa s2, v9, v62 src0_sel:BYTE_0 src1_sel:DWORD
	v_mov_b32_e32 v9, 0
	v_mov_b32_e32 v10, 0
	s_and_saveexec_b32 s3, s2
	s_cbranch_execz .LBB196_273
; %bb.266:                              ;   in Loop: Header=BB196_9 Depth=1
	v_bfrev_b32_e32 v9, 1
	v_mov_b32_e32 v10, 0
	v_cmp_ne_u16_sdwa s2, v13, v75 src0_sel:BYTE_0 src1_sel:DWORD
	s_and_saveexec_b32 s31, s2
	s_cbranch_execz .LBB196_272
; %bb.267:                              ;   in Loop: Header=BB196_9 Depth=1
	v_mov_b32_e32 v9, 0x7f800001
	v_and_b32_e32 v14, 0x7f, v13
	v_mov_b32_e32 v10, 0
	s_mov_b32 s33, exec_lo
	v_cmpx_ne_u32_e32 0x7f, v14
	s_cbranch_execz .LBB196_271
; %bb.268:                              ;   in Loop: Header=BB196_9 Depth=1
	v_and_b32_e32 v61, 7, v13
	v_lshrrev_b32_e32 v9, 3, v14
	s_mov_b32 s34, exec_lo
	v_cmpx_gt_u32_e32 8, v14
; %bb.269:                              ;   in Loop: Header=BB196_9 Depth=1
	v_ffbh_u32_e32 v9, v61
	v_min_u32_e32 v9, 32, v9
	v_subrev_nc_u32_e32 v10, 28, v9
	v_sub_nc_u32_e32 v9, 29, v9
	v_lshlrev_b64 v[14:15], v10, v[61:62]
	v_and_b32_e32 v61, 7, v14
; %bb.270:                              ;   in Loop: Header=BB196_9 Depth=1
	s_or_b32 exec_lo, exec_lo, s34
	v_lshlrev_b32_e32 v10, 24, v13
	v_lshlrev_b32_e32 v14, 20, v61
	v_lshl_add_u32 v9, v9, 23, 0x3c000000
	v_and_b32_e32 v10, 0x80000000, v10
	v_or3_b32 v61, v14, v10, v9
	v_mov_b32_e32 v9, v61
	v_mov_b32_e32 v10, v62
.LBB196_271:                            ;   in Loop: Header=BB196_9 Depth=1
	s_or_b32 exec_lo, exec_lo, s33
.LBB196_272:                            ;   in Loop: Header=BB196_9 Depth=1
	s_or_b32 exec_lo, exec_lo, s31
.LBB196_273:                            ;   in Loop: Header=BB196_9 Depth=1
	s_or_b32 exec_lo, exec_lo, s3
	v_cmp_ne_u16_sdwa s2, v13, v62 src0_sel:BYTE_1 src1_sel:DWORD
	s_and_saveexec_b32 s3, s2
	s_cbranch_execz .LBB196_281
; %bb.274:                              ;   in Loop: Header=BB196_9 Depth=1
	v_mov_b32_e32 v57, v62
	v_cmp_ne_u16_sdwa s2, v13, v75 src0_sel:BYTE_1 src1_sel:DWORD
	v_mov_b32_e32 v11, v57
	v_mov_b32_e32 v12, v58
	s_and_saveexec_b32 s31, s2
	s_cbranch_execz .LBB196_280
; %bb.275:                              ;   in Loop: Header=BB196_9 Depth=1
	v_mov_b32_e32 v11, 0xffff
	v_mov_b32_e32 v73, v62
	s_mov_b32 s33, exec_lo
	v_and_b32_sdwa v15, v11, v13 dst_sel:DWORD dst_unused:UNUSED_PAD src0_sel:DWORD src1_sel:BYTE_1
	v_mov_b32_e32 v11, v73
	v_mov_b32_e32 v12, v74
	v_and_b32_e32 v14, 0x7f, v15
	v_cmpx_ne_u32_e32 0x7f, v14
	s_cbranch_execz .LBB196_279
; %bb.276:                              ;   in Loop: Header=BB196_9 Depth=1
	v_and_b32_e32 v61, 7, v15
	v_lshrrev_b32_e32 v11, 3, v14
	s_mov_b32 s34, exec_lo
	v_cmpx_gt_u32_e32 8, v14
; %bb.277:                              ;   in Loop: Header=BB196_9 Depth=1
	v_ffbh_u32_e32 v11, v61
	v_min_u32_e32 v11, 32, v11
	v_subrev_nc_u32_e32 v12, 28, v11
	v_sub_nc_u32_e32 v11, 29, v11
	v_lshlrev_b64 v[14:15], v12, v[61:62]
	v_and_b32_e32 v61, 7, v14
; %bb.278:                              ;   in Loop: Header=BB196_9 Depth=1
	s_or_b32 exec_lo, exec_lo, s34
	v_lshlrev_b32_e32 v12, 16, v13
	v_lshlrev_b32_e32 v13, 20, v61
	v_lshl_add_u32 v11, v11, 23, 0x3c000000
	v_and_b32_e32 v12, 0x80000000, v12
	v_or3_b32 v12, v13, v12, v11
	v_mov_b32_e32 v11, v62
.LBB196_279:                            ;   in Loop: Header=BB196_9 Depth=1
	s_or_b32 exec_lo, exec_lo, s33
.LBB196_280:                            ;   in Loop: Header=BB196_9 Depth=1
	s_or_b32 exec_lo, exec_lo, s31
.LBB196_281:                            ;   in Loop: Header=BB196_9 Depth=1
	s_or_b32 exec_lo, exec_lo, s3
	global_load_ushort v14, v[79:80], off offset:1028
	v_mov_b32_e32 v19, 0
	v_mov_b32_e32 v17, 0
	;; [unrolled: 1-line block ×4, first 2 shown]
	s_waitcnt vmcnt(0)
	v_and_b32_e32 v13, 0xffff, v14
	v_cmp_ne_u16_sdwa s2, v14, v62 src0_sel:BYTE_0 src1_sel:DWORD
	s_and_saveexec_b32 s3, s2
	s_cbranch_execz .LBB196_289
; %bb.282:                              ;   in Loop: Header=BB196_9 Depth=1
	v_bfrev_b32_e32 v17, 1
	v_mov_b32_e32 v18, 0
	v_cmp_ne_u16_sdwa s2, v13, v75 src0_sel:BYTE_0 src1_sel:DWORD
	s_and_saveexec_b32 s31, s2
	s_cbranch_execz .LBB196_288
; %bb.283:                              ;   in Loop: Header=BB196_9 Depth=1
	v_mov_b32_e32 v17, 0x7f800001
	v_and_b32_e32 v15, 0x7f, v13
	v_mov_b32_e32 v18, 0
	s_mov_b32 s33, exec_lo
	v_cmpx_ne_u32_e32 0x7f, v15
	s_cbranch_execz .LBB196_287
; %bb.284:                              ;   in Loop: Header=BB196_9 Depth=1
	v_and_b32_e32 v61, 7, v13
	v_lshrrev_b32_e32 v14, 3, v15
	s_mov_b32 s34, exec_lo
	v_cmpx_gt_u32_e32 8, v15
; %bb.285:                              ;   in Loop: Header=BB196_9 Depth=1
	v_ffbh_u32_e32 v14, v61
	v_min_u32_e32 v14, 32, v14
	v_subrev_nc_u32_e32 v15, 28, v14
	v_sub_nc_u32_e32 v14, 29, v14
	v_lshlrev_b64 v[15:16], v15, v[61:62]
	v_and_b32_e32 v61, 7, v15
; %bb.286:                              ;   in Loop: Header=BB196_9 Depth=1
	s_or_b32 exec_lo, exec_lo, s34
	v_lshlrev_b32_e32 v15, 24, v13
	v_lshlrev_b32_e32 v16, 20, v61
	v_lshl_add_u32 v14, v14, 23, 0x3c000000
	v_and_b32_e32 v15, 0x80000000, v15
	v_or3_b32 v61, v16, v15, v14
	v_mov_b32_e32 v17, v61
	v_mov_b32_e32 v18, v62
.LBB196_287:                            ;   in Loop: Header=BB196_9 Depth=1
	s_or_b32 exec_lo, exec_lo, s33
.LBB196_288:                            ;   in Loop: Header=BB196_9 Depth=1
	s_or_b32 exec_lo, exec_lo, s31
.LBB196_289:                            ;   in Loop: Header=BB196_9 Depth=1
	s_or_b32 exec_lo, exec_lo, s3
	v_cmp_ne_u16_sdwa s2, v13, v62 src0_sel:BYTE_1 src1_sel:DWORD
	s_and_saveexec_b32 s3, s2
	s_cbranch_execz .LBB196_297
; %bb.290:                              ;   in Loop: Header=BB196_9 Depth=1
	v_mov_b32_e32 v57, v62
	v_cmp_ne_u16_sdwa s2, v13, v75 src0_sel:BYTE_1 src1_sel:DWORD
	v_mov_b32_e32 v19, v57
	v_mov_b32_e32 v20, v58
	s_and_saveexec_b32 s31, s2
	s_cbranch_execz .LBB196_296
; %bb.291:                              ;   in Loop: Header=BB196_9 Depth=1
	v_mov_b32_e32 v14, 0xffff
	v_mov_b32_e32 v73, v62
	s_mov_b32 s33, exec_lo
	v_and_b32_sdwa v14, v14, v13 dst_sel:DWORD dst_unused:UNUSED_PAD src0_sel:DWORD src1_sel:BYTE_1
	v_mov_b32_e32 v19, v73
	v_mov_b32_e32 v20, v74
	v_and_b32_e32 v15, 0x7f, v14
	v_cmpx_ne_u32_e32 0x7f, v15
	s_cbranch_execz .LBB196_295
; %bb.292:                              ;   in Loop: Header=BB196_9 Depth=1
	v_and_b32_e32 v61, 7, v14
	v_lshrrev_b32_e32 v14, 3, v15
	s_mov_b32 s34, exec_lo
	v_cmpx_gt_u32_e32 8, v15
; %bb.293:                              ;   in Loop: Header=BB196_9 Depth=1
	v_ffbh_u32_e32 v14, v61
	v_min_u32_e32 v14, 32, v14
	v_subrev_nc_u32_e32 v15, 28, v14
	v_sub_nc_u32_e32 v14, 29, v14
	v_lshlrev_b64 v[15:16], v15, v[61:62]
	v_and_b32_e32 v61, 7, v15
; %bb.294:                              ;   in Loop: Header=BB196_9 Depth=1
	s_or_b32 exec_lo, exec_lo, s34
	v_lshlrev_b32_e32 v13, 16, v13
	v_lshlrev_b32_e32 v15, 20, v61
	v_lshl_add_u32 v14, v14, 23, 0x3c000000
	v_mov_b32_e32 v19, v62
	v_and_b32_e32 v13, 0x80000000, v13
	v_or3_b32 v20, v15, v13, v14
.LBB196_295:                            ;   in Loop: Header=BB196_9 Depth=1
	s_or_b32 exec_lo, exec_lo, s33
.LBB196_296:                            ;   in Loop: Header=BB196_9 Depth=1
	s_or_b32 exec_lo, exec_lo, s31
.LBB196_297:                            ;   in Loop: Header=BB196_9 Depth=1
	s_or_b32 exec_lo, exec_lo, s3
	global_load_ushort v13, v[79:80], off offset:1032
	v_mov_b32_e32 v15, 0
	v_mov_b32_e32 v16, 0
	s_waitcnt vmcnt(0)
	v_and_b32_e32 v21, 0xffff, v13
	v_cmp_ne_u16_sdwa s2, v13, v62 src0_sel:BYTE_0 src1_sel:DWORD
	v_mov_b32_e32 v13, 0
	v_mov_b32_e32 v14, 0
	s_and_saveexec_b32 s3, s2
	s_cbranch_execz .LBB196_305
; %bb.298:                              ;   in Loop: Header=BB196_9 Depth=1
	v_bfrev_b32_e32 v13, 1
	v_mov_b32_e32 v14, 0
	v_cmp_ne_u16_sdwa s2, v21, v75 src0_sel:BYTE_0 src1_sel:DWORD
	s_and_saveexec_b32 s31, s2
	s_cbranch_execz .LBB196_304
; %bb.299:                              ;   in Loop: Header=BB196_9 Depth=1
	v_mov_b32_e32 v13, 0x7f800001
	v_and_b32_e32 v22, 0x7f, v21
	v_mov_b32_e32 v14, 0
	s_mov_b32 s33, exec_lo
	v_cmpx_ne_u32_e32 0x7f, v22
	s_cbranch_execz .LBB196_303
; %bb.300:                              ;   in Loop: Header=BB196_9 Depth=1
	v_and_b32_e32 v61, 7, v21
	v_lshrrev_b32_e32 v13, 3, v22
	s_mov_b32 s34, exec_lo
	v_cmpx_gt_u32_e32 8, v22
; %bb.301:                              ;   in Loop: Header=BB196_9 Depth=1
	v_ffbh_u32_e32 v13, v61
	v_min_u32_e32 v13, 32, v13
	v_subrev_nc_u32_e32 v14, 28, v13
	v_sub_nc_u32_e32 v13, 29, v13
	v_lshlrev_b64 v[22:23], v14, v[61:62]
	v_and_b32_e32 v61, 7, v22
; %bb.302:                              ;   in Loop: Header=BB196_9 Depth=1
	s_or_b32 exec_lo, exec_lo, s34
	v_lshlrev_b32_e32 v14, 24, v21
	v_lshlrev_b32_e32 v22, 20, v61
	v_lshl_add_u32 v13, v13, 23, 0x3c000000
	v_and_b32_e32 v14, 0x80000000, v14
	v_or3_b32 v61, v22, v14, v13
	v_mov_b32_e32 v13, v61
	v_mov_b32_e32 v14, v62
.LBB196_303:                            ;   in Loop: Header=BB196_9 Depth=1
	s_or_b32 exec_lo, exec_lo, s33
.LBB196_304:                            ;   in Loop: Header=BB196_9 Depth=1
	s_or_b32 exec_lo, exec_lo, s31
.LBB196_305:                            ;   in Loop: Header=BB196_9 Depth=1
	s_or_b32 exec_lo, exec_lo, s3
	v_cmp_ne_u16_sdwa s2, v21, v62 src0_sel:BYTE_1 src1_sel:DWORD
	s_and_saveexec_b32 s3, s2
	s_cbranch_execz .LBB196_313
; %bb.306:                              ;   in Loop: Header=BB196_9 Depth=1
	v_mov_b32_e32 v57, v62
	v_cmp_ne_u16_sdwa s2, v21, v75 src0_sel:BYTE_1 src1_sel:DWORD
	v_mov_b32_e32 v15, v57
	v_mov_b32_e32 v16, v58
	s_and_saveexec_b32 s31, s2
	s_cbranch_execz .LBB196_312
; %bb.307:                              ;   in Loop: Header=BB196_9 Depth=1
	v_mov_b32_e32 v15, 0xffff
	v_mov_b32_e32 v73, v62
	s_mov_b32 s33, exec_lo
	v_and_b32_sdwa v23, v15, v21 dst_sel:DWORD dst_unused:UNUSED_PAD src0_sel:DWORD src1_sel:BYTE_1
	v_mov_b32_e32 v15, v73
	v_mov_b32_e32 v16, v74
	v_and_b32_e32 v22, 0x7f, v23
	v_cmpx_ne_u32_e32 0x7f, v22
	s_cbranch_execz .LBB196_311
; %bb.308:                              ;   in Loop: Header=BB196_9 Depth=1
	v_and_b32_e32 v61, 7, v23
	v_lshrrev_b32_e32 v15, 3, v22
	s_mov_b32 s34, exec_lo
	v_cmpx_gt_u32_e32 8, v22
; %bb.309:                              ;   in Loop: Header=BB196_9 Depth=1
	v_ffbh_u32_e32 v15, v61
	v_min_u32_e32 v15, 32, v15
	v_subrev_nc_u32_e32 v16, 28, v15
	v_sub_nc_u32_e32 v15, 29, v15
	v_lshlrev_b64 v[22:23], v16, v[61:62]
	v_and_b32_e32 v61, 7, v22
; %bb.310:                              ;   in Loop: Header=BB196_9 Depth=1
	s_or_b32 exec_lo, exec_lo, s34
	v_lshlrev_b32_e32 v16, 16, v21
	v_lshlrev_b32_e32 v21, 20, v61
	v_lshl_add_u32 v15, v15, 23, 0x3c000000
	v_and_b32_e32 v16, 0x80000000, v16
	v_or3_b32 v16, v21, v16, v15
	v_mov_b32_e32 v15, v62
.LBB196_311:                            ;   in Loop: Header=BB196_9 Depth=1
	s_or_b32 exec_lo, exec_lo, s33
.LBB196_312:                            ;   in Loop: Header=BB196_9 Depth=1
	s_or_b32 exec_lo, exec_lo, s31
.LBB196_313:                            ;   in Loop: Header=BB196_9 Depth=1
	s_or_b32 exec_lo, exec_lo, s3
	global_load_ushort v21, v[79:80], off offset:1036
	v_mov_b32_e32 v23, 0
	v_mov_b32_e32 v24, 0
	s_waitcnt vmcnt(0)
	v_and_b32_e32 v25, 0xffff, v21
	v_cmp_ne_u16_sdwa s2, v21, v62 src0_sel:BYTE_0 src1_sel:DWORD
	v_mov_b32_e32 v21, 0
	v_mov_b32_e32 v22, 0
	s_and_saveexec_b32 s3, s2
	s_cbranch_execz .LBB196_321
; %bb.314:                              ;   in Loop: Header=BB196_9 Depth=1
	v_bfrev_b32_e32 v21, 1
	v_mov_b32_e32 v22, 0
	v_cmp_ne_u16_sdwa s2, v25, v75 src0_sel:BYTE_0 src1_sel:DWORD
	s_and_saveexec_b32 s31, s2
	s_cbranch_execz .LBB196_320
; %bb.315:                              ;   in Loop: Header=BB196_9 Depth=1
	v_mov_b32_e32 v21, 0x7f800001
	v_and_b32_e32 v26, 0x7f, v25
	v_mov_b32_e32 v22, 0
	s_mov_b32 s33, exec_lo
	v_cmpx_ne_u32_e32 0x7f, v26
	s_cbranch_execz .LBB196_319
; %bb.316:                              ;   in Loop: Header=BB196_9 Depth=1
	v_and_b32_e32 v61, 7, v25
	v_lshrrev_b32_e32 v21, 3, v26
	s_mov_b32 s34, exec_lo
	v_cmpx_gt_u32_e32 8, v26
; %bb.317:                              ;   in Loop: Header=BB196_9 Depth=1
	v_ffbh_u32_e32 v21, v61
	v_min_u32_e32 v21, 32, v21
	v_subrev_nc_u32_e32 v22, 28, v21
	v_sub_nc_u32_e32 v21, 29, v21
	v_lshlrev_b64 v[26:27], v22, v[61:62]
	v_and_b32_e32 v61, 7, v26
; %bb.318:                              ;   in Loop: Header=BB196_9 Depth=1
	s_or_b32 exec_lo, exec_lo, s34
	v_lshlrev_b32_e32 v22, 24, v25
	v_lshlrev_b32_e32 v26, 20, v61
	v_lshl_add_u32 v21, v21, 23, 0x3c000000
	v_and_b32_e32 v22, 0x80000000, v22
	v_or3_b32 v61, v26, v22, v21
	v_mov_b32_e32 v21, v61
	v_mov_b32_e32 v22, v62
.LBB196_319:                            ;   in Loop: Header=BB196_9 Depth=1
	s_or_b32 exec_lo, exec_lo, s33
.LBB196_320:                            ;   in Loop: Header=BB196_9 Depth=1
	s_or_b32 exec_lo, exec_lo, s31
.LBB196_321:                            ;   in Loop: Header=BB196_9 Depth=1
	s_or_b32 exec_lo, exec_lo, s3
	v_cmp_ne_u16_sdwa s2, v25, v62 src0_sel:BYTE_1 src1_sel:DWORD
	s_and_saveexec_b32 s3, s2
	s_cbranch_execz .LBB196_329
; %bb.322:                              ;   in Loop: Header=BB196_9 Depth=1
	v_mov_b32_e32 v57, v62
	v_cmp_ne_u16_sdwa s2, v25, v75 src0_sel:BYTE_1 src1_sel:DWORD
	v_mov_b32_e32 v23, v57
	v_mov_b32_e32 v24, v58
	s_and_saveexec_b32 s31, s2
	s_cbranch_execz .LBB196_328
; %bb.323:                              ;   in Loop: Header=BB196_9 Depth=1
	v_mov_b32_e32 v23, 0xffff
	v_mov_b32_e32 v73, v62
	s_mov_b32 s33, exec_lo
	v_and_b32_sdwa v27, v23, v25 dst_sel:DWORD dst_unused:UNUSED_PAD src0_sel:DWORD src1_sel:BYTE_1
	v_mov_b32_e32 v23, v73
	v_mov_b32_e32 v24, v74
	v_and_b32_e32 v26, 0x7f, v27
	v_cmpx_ne_u32_e32 0x7f, v26
	s_cbranch_execz .LBB196_327
; %bb.324:                              ;   in Loop: Header=BB196_9 Depth=1
	v_and_b32_e32 v61, 7, v27
	v_lshrrev_b32_e32 v23, 3, v26
	s_mov_b32 s34, exec_lo
	v_cmpx_gt_u32_e32 8, v26
; %bb.325:                              ;   in Loop: Header=BB196_9 Depth=1
	v_ffbh_u32_e32 v23, v61
	v_min_u32_e32 v23, 32, v23
	v_subrev_nc_u32_e32 v24, 28, v23
	v_sub_nc_u32_e32 v23, 29, v23
	v_lshlrev_b64 v[26:27], v24, v[61:62]
	v_and_b32_e32 v61, 7, v26
; %bb.326:                              ;   in Loop: Header=BB196_9 Depth=1
	s_or_b32 exec_lo, exec_lo, s34
	v_lshlrev_b32_e32 v24, 16, v25
	v_lshlrev_b32_e32 v25, 20, v61
	v_lshl_add_u32 v23, v23, 23, 0x3c000000
	v_and_b32_e32 v24, 0x80000000, v24
	v_or3_b32 v24, v25, v24, v23
	v_mov_b32_e32 v23, v62
.LBB196_327:                            ;   in Loop: Header=BB196_9 Depth=1
	s_or_b32 exec_lo, exec_lo, s33
.LBB196_328:                            ;   in Loop: Header=BB196_9 Depth=1
	s_or_b32 exec_lo, exec_lo, s31
.LBB196_329:                            ;   in Loop: Header=BB196_9 Depth=1
	s_or_b32 exec_lo, exec_lo, s3
	global_load_ushort v25, v[79:80], off offset:1280
	v_mov_b32_e32 v27, 0
	v_mov_b32_e32 v28, 0
	s_waitcnt vmcnt(0)
	v_and_b32_e32 v29, 0xffff, v25
	v_cmp_ne_u16_sdwa s2, v25, v62 src0_sel:BYTE_0 src1_sel:DWORD
	v_mov_b32_e32 v25, 0
	v_mov_b32_e32 v26, 0
	s_and_saveexec_b32 s3, s2
	s_cbranch_execz .LBB196_337
; %bb.330:                              ;   in Loop: Header=BB196_9 Depth=1
	v_bfrev_b32_e32 v25, 1
	v_mov_b32_e32 v26, 0
	v_cmp_ne_u16_sdwa s2, v29, v75 src0_sel:BYTE_0 src1_sel:DWORD
	s_and_saveexec_b32 s31, s2
	s_cbranch_execz .LBB196_336
; %bb.331:                              ;   in Loop: Header=BB196_9 Depth=1
	v_mov_b32_e32 v25, 0x7f800001
	v_and_b32_e32 v30, 0x7f, v29
	v_mov_b32_e32 v26, 0
	s_mov_b32 s33, exec_lo
	v_cmpx_ne_u32_e32 0x7f, v30
	s_cbranch_execz .LBB196_335
; %bb.332:                              ;   in Loop: Header=BB196_9 Depth=1
	v_and_b32_e32 v61, 7, v29
	v_lshrrev_b32_e32 v25, 3, v30
	s_mov_b32 s34, exec_lo
	v_cmpx_gt_u32_e32 8, v30
; %bb.333:                              ;   in Loop: Header=BB196_9 Depth=1
	v_ffbh_u32_e32 v25, v61
	v_min_u32_e32 v25, 32, v25
	v_subrev_nc_u32_e32 v26, 28, v25
	v_sub_nc_u32_e32 v25, 29, v25
	v_lshlrev_b64 v[30:31], v26, v[61:62]
	v_and_b32_e32 v61, 7, v30
; %bb.334:                              ;   in Loop: Header=BB196_9 Depth=1
	s_or_b32 exec_lo, exec_lo, s34
	v_lshlrev_b32_e32 v26, 24, v29
	v_lshlrev_b32_e32 v30, 20, v61
	v_lshl_add_u32 v25, v25, 23, 0x3c000000
	v_and_b32_e32 v26, 0x80000000, v26
	v_or3_b32 v61, v30, v26, v25
	v_mov_b32_e32 v25, v61
	v_mov_b32_e32 v26, v62
.LBB196_335:                            ;   in Loop: Header=BB196_9 Depth=1
	s_or_b32 exec_lo, exec_lo, s33
.LBB196_336:                            ;   in Loop: Header=BB196_9 Depth=1
	s_or_b32 exec_lo, exec_lo, s31
.LBB196_337:                            ;   in Loop: Header=BB196_9 Depth=1
	s_or_b32 exec_lo, exec_lo, s3
	v_cmp_ne_u16_sdwa s2, v29, v62 src0_sel:BYTE_1 src1_sel:DWORD
	s_and_saveexec_b32 s3, s2
	s_cbranch_execz .LBB196_345
; %bb.338:                              ;   in Loop: Header=BB196_9 Depth=1
	v_mov_b32_e32 v57, v62
	v_cmp_ne_u16_sdwa s2, v29, v75 src0_sel:BYTE_1 src1_sel:DWORD
	v_mov_b32_e32 v27, v57
	v_mov_b32_e32 v28, v58
	s_and_saveexec_b32 s31, s2
	s_cbranch_execz .LBB196_344
; %bb.339:                              ;   in Loop: Header=BB196_9 Depth=1
	v_mov_b32_e32 v27, 0xffff
	v_mov_b32_e32 v73, v62
	s_mov_b32 s33, exec_lo
	v_and_b32_sdwa v31, v27, v29 dst_sel:DWORD dst_unused:UNUSED_PAD src0_sel:DWORD src1_sel:BYTE_1
	v_mov_b32_e32 v27, v73
	v_mov_b32_e32 v28, v74
	v_and_b32_e32 v30, 0x7f, v31
	v_cmpx_ne_u32_e32 0x7f, v30
	s_cbranch_execz .LBB196_343
; %bb.340:                              ;   in Loop: Header=BB196_9 Depth=1
	v_and_b32_e32 v61, 7, v31
	v_lshrrev_b32_e32 v27, 3, v30
	s_mov_b32 s34, exec_lo
	v_cmpx_gt_u32_e32 8, v30
; %bb.341:                              ;   in Loop: Header=BB196_9 Depth=1
	v_ffbh_u32_e32 v27, v61
	v_min_u32_e32 v27, 32, v27
	v_subrev_nc_u32_e32 v28, 28, v27
	v_sub_nc_u32_e32 v27, 29, v27
	v_lshlrev_b64 v[30:31], v28, v[61:62]
	v_and_b32_e32 v61, 7, v30
; %bb.342:                              ;   in Loop: Header=BB196_9 Depth=1
	s_or_b32 exec_lo, exec_lo, s34
	v_lshlrev_b32_e32 v28, 16, v29
	v_lshlrev_b32_e32 v29, 20, v61
	v_lshl_add_u32 v27, v27, 23, 0x3c000000
	v_and_b32_e32 v28, 0x80000000, v28
	v_or3_b32 v28, v29, v28, v27
	v_mov_b32_e32 v27, v62
.LBB196_343:                            ;   in Loop: Header=BB196_9 Depth=1
	s_or_b32 exec_lo, exec_lo, s33
.LBB196_344:                            ;   in Loop: Header=BB196_9 Depth=1
	s_or_b32 exec_lo, exec_lo, s31
.LBB196_345:                            ;   in Loop: Header=BB196_9 Depth=1
	s_or_b32 exec_lo, exec_lo, s3
	global_load_ushort v29, v[79:80], off offset:1284
	v_mov_b32_e32 v31, 0
	v_mov_b32_e32 v32, 0
	s_waitcnt vmcnt(0)
	v_and_b32_e32 v33, 0xffff, v29
	v_cmp_ne_u16_sdwa s2, v29, v62 src0_sel:BYTE_0 src1_sel:DWORD
	v_mov_b32_e32 v29, 0
	v_mov_b32_e32 v30, 0
	s_and_saveexec_b32 s3, s2
	s_cbranch_execz .LBB196_353
; %bb.346:                              ;   in Loop: Header=BB196_9 Depth=1
	v_bfrev_b32_e32 v29, 1
	v_mov_b32_e32 v30, 0
	v_cmp_ne_u16_sdwa s2, v33, v75 src0_sel:BYTE_0 src1_sel:DWORD
	s_and_saveexec_b32 s31, s2
	s_cbranch_execz .LBB196_352
; %bb.347:                              ;   in Loop: Header=BB196_9 Depth=1
	v_mov_b32_e32 v29, 0x7f800001
	v_and_b32_e32 v34, 0x7f, v33
	v_mov_b32_e32 v30, 0
	s_mov_b32 s33, exec_lo
	v_cmpx_ne_u32_e32 0x7f, v34
	s_cbranch_execz .LBB196_351
; %bb.348:                              ;   in Loop: Header=BB196_9 Depth=1
	v_and_b32_e32 v61, 7, v33
	v_lshrrev_b32_e32 v29, 3, v34
	s_mov_b32 s34, exec_lo
	v_cmpx_gt_u32_e32 8, v34
; %bb.349:                              ;   in Loop: Header=BB196_9 Depth=1
	v_ffbh_u32_e32 v29, v61
	v_min_u32_e32 v29, 32, v29
	v_subrev_nc_u32_e32 v30, 28, v29
	v_sub_nc_u32_e32 v29, 29, v29
	v_lshlrev_b64 v[34:35], v30, v[61:62]
	v_and_b32_e32 v61, 7, v34
; %bb.350:                              ;   in Loop: Header=BB196_9 Depth=1
	s_or_b32 exec_lo, exec_lo, s34
	v_lshlrev_b32_e32 v30, 24, v33
	v_lshlrev_b32_e32 v34, 20, v61
	v_lshl_add_u32 v29, v29, 23, 0x3c000000
	v_and_b32_e32 v30, 0x80000000, v30
	v_or3_b32 v61, v34, v30, v29
	v_mov_b32_e32 v29, v61
	v_mov_b32_e32 v30, v62
.LBB196_351:                            ;   in Loop: Header=BB196_9 Depth=1
	s_or_b32 exec_lo, exec_lo, s33
.LBB196_352:                            ;   in Loop: Header=BB196_9 Depth=1
	s_or_b32 exec_lo, exec_lo, s31
.LBB196_353:                            ;   in Loop: Header=BB196_9 Depth=1
	s_or_b32 exec_lo, exec_lo, s3
	v_cmp_ne_u16_sdwa s2, v33, v62 src0_sel:BYTE_1 src1_sel:DWORD
	s_and_saveexec_b32 s3, s2
	s_cbranch_execz .LBB196_361
; %bb.354:                              ;   in Loop: Header=BB196_9 Depth=1
	v_mov_b32_e32 v57, v62
	v_cmp_ne_u16_sdwa s2, v33, v75 src0_sel:BYTE_1 src1_sel:DWORD
	v_mov_b32_e32 v31, v57
	v_mov_b32_e32 v32, v58
	s_and_saveexec_b32 s31, s2
	s_cbranch_execz .LBB196_360
; %bb.355:                              ;   in Loop: Header=BB196_9 Depth=1
	v_mov_b32_e32 v31, 0xffff
	v_mov_b32_e32 v73, v62
	s_mov_b32 s33, exec_lo
	v_and_b32_sdwa v35, v31, v33 dst_sel:DWORD dst_unused:UNUSED_PAD src0_sel:DWORD src1_sel:BYTE_1
	v_mov_b32_e32 v31, v73
	v_mov_b32_e32 v32, v74
	v_and_b32_e32 v34, 0x7f, v35
	v_cmpx_ne_u32_e32 0x7f, v34
	s_cbranch_execz .LBB196_359
; %bb.356:                              ;   in Loop: Header=BB196_9 Depth=1
	v_and_b32_e32 v61, 7, v35
	v_lshrrev_b32_e32 v31, 3, v34
	s_mov_b32 s34, exec_lo
	v_cmpx_gt_u32_e32 8, v34
; %bb.357:                              ;   in Loop: Header=BB196_9 Depth=1
	v_ffbh_u32_e32 v31, v61
	v_min_u32_e32 v31, 32, v31
	v_subrev_nc_u32_e32 v32, 28, v31
	v_sub_nc_u32_e32 v31, 29, v31
	v_lshlrev_b64 v[34:35], v32, v[61:62]
	v_and_b32_e32 v61, 7, v34
; %bb.358:                              ;   in Loop: Header=BB196_9 Depth=1
	s_or_b32 exec_lo, exec_lo, s34
	v_lshlrev_b32_e32 v32, 16, v33
	v_lshlrev_b32_e32 v33, 20, v61
	v_lshl_add_u32 v31, v31, 23, 0x3c000000
	v_and_b32_e32 v32, 0x80000000, v32
	v_or3_b32 v32, v33, v32, v31
	v_mov_b32_e32 v31, v62
.LBB196_359:                            ;   in Loop: Header=BB196_9 Depth=1
	s_or_b32 exec_lo, exec_lo, s33
.LBB196_360:                            ;   in Loop: Header=BB196_9 Depth=1
	s_or_b32 exec_lo, exec_lo, s31
.LBB196_361:                            ;   in Loop: Header=BB196_9 Depth=1
	s_or_b32 exec_lo, exec_lo, s3
	global_load_ushort v33, v[79:80], off offset:1288
	v_mov_b32_e32 v35, 0
	v_mov_b32_e32 v36, 0
	s_waitcnt vmcnt(0)
	v_and_b32_e32 v37, 0xffff, v33
	v_cmp_ne_u16_sdwa s2, v33, v62 src0_sel:BYTE_0 src1_sel:DWORD
	v_mov_b32_e32 v33, 0
	v_mov_b32_e32 v34, 0
	s_and_saveexec_b32 s3, s2
	s_cbranch_execz .LBB196_369
; %bb.362:                              ;   in Loop: Header=BB196_9 Depth=1
	v_bfrev_b32_e32 v33, 1
	v_mov_b32_e32 v34, 0
	v_cmp_ne_u16_sdwa s2, v37, v75 src0_sel:BYTE_0 src1_sel:DWORD
	s_and_saveexec_b32 s31, s2
	s_cbranch_execz .LBB196_368
; %bb.363:                              ;   in Loop: Header=BB196_9 Depth=1
	v_mov_b32_e32 v33, 0x7f800001
	v_and_b32_e32 v38, 0x7f, v37
	v_mov_b32_e32 v34, 0
	s_mov_b32 s33, exec_lo
	v_cmpx_ne_u32_e32 0x7f, v38
	s_cbranch_execz .LBB196_367
; %bb.364:                              ;   in Loop: Header=BB196_9 Depth=1
	v_and_b32_e32 v61, 7, v37
	v_lshrrev_b32_e32 v33, 3, v38
	s_mov_b32 s34, exec_lo
	v_cmpx_gt_u32_e32 8, v38
; %bb.365:                              ;   in Loop: Header=BB196_9 Depth=1
	v_ffbh_u32_e32 v33, v61
	v_min_u32_e32 v33, 32, v33
	v_subrev_nc_u32_e32 v34, 28, v33
	v_sub_nc_u32_e32 v33, 29, v33
	v_lshlrev_b64 v[38:39], v34, v[61:62]
	v_and_b32_e32 v61, 7, v38
; %bb.366:                              ;   in Loop: Header=BB196_9 Depth=1
	s_or_b32 exec_lo, exec_lo, s34
	v_lshlrev_b32_e32 v34, 24, v37
	v_lshlrev_b32_e32 v38, 20, v61
	v_lshl_add_u32 v33, v33, 23, 0x3c000000
	v_and_b32_e32 v34, 0x80000000, v34
	v_or3_b32 v61, v38, v34, v33
	v_mov_b32_e32 v33, v61
	v_mov_b32_e32 v34, v62
.LBB196_367:                            ;   in Loop: Header=BB196_9 Depth=1
	s_or_b32 exec_lo, exec_lo, s33
.LBB196_368:                            ;   in Loop: Header=BB196_9 Depth=1
	s_or_b32 exec_lo, exec_lo, s31
.LBB196_369:                            ;   in Loop: Header=BB196_9 Depth=1
	s_or_b32 exec_lo, exec_lo, s3
	v_cmp_ne_u16_sdwa s2, v37, v62 src0_sel:BYTE_1 src1_sel:DWORD
	s_and_saveexec_b32 s3, s2
	s_cbranch_execz .LBB196_377
; %bb.370:                              ;   in Loop: Header=BB196_9 Depth=1
	v_mov_b32_e32 v57, v62
	v_cmp_ne_u16_sdwa s2, v37, v75 src0_sel:BYTE_1 src1_sel:DWORD
	v_mov_b32_e32 v35, v57
	v_mov_b32_e32 v36, v58
	s_and_saveexec_b32 s31, s2
	s_cbranch_execz .LBB196_376
; %bb.371:                              ;   in Loop: Header=BB196_9 Depth=1
	v_mov_b32_e32 v35, 0xffff
	v_mov_b32_e32 v73, v62
	s_mov_b32 s33, exec_lo
	v_and_b32_sdwa v39, v35, v37 dst_sel:DWORD dst_unused:UNUSED_PAD src0_sel:DWORD src1_sel:BYTE_1
	v_mov_b32_e32 v35, v73
	v_mov_b32_e32 v36, v74
	v_and_b32_e32 v38, 0x7f, v39
	v_cmpx_ne_u32_e32 0x7f, v38
	s_cbranch_execz .LBB196_375
; %bb.372:                              ;   in Loop: Header=BB196_9 Depth=1
	v_and_b32_e32 v61, 7, v39
	v_lshrrev_b32_e32 v35, 3, v38
	s_mov_b32 s34, exec_lo
	v_cmpx_gt_u32_e32 8, v38
; %bb.373:                              ;   in Loop: Header=BB196_9 Depth=1
	v_ffbh_u32_e32 v35, v61
	v_min_u32_e32 v35, 32, v35
	v_subrev_nc_u32_e32 v36, 28, v35
	v_sub_nc_u32_e32 v35, 29, v35
	v_lshlrev_b64 v[38:39], v36, v[61:62]
	v_and_b32_e32 v61, 7, v38
; %bb.374:                              ;   in Loop: Header=BB196_9 Depth=1
	s_or_b32 exec_lo, exec_lo, s34
	v_lshlrev_b32_e32 v36, 16, v37
	v_lshlrev_b32_e32 v37, 20, v61
	v_lshl_add_u32 v35, v35, 23, 0x3c000000
	v_and_b32_e32 v36, 0x80000000, v36
	v_or3_b32 v36, v37, v36, v35
	v_mov_b32_e32 v35, v62
.LBB196_375:                            ;   in Loop: Header=BB196_9 Depth=1
	s_or_b32 exec_lo, exec_lo, s33
.LBB196_376:                            ;   in Loop: Header=BB196_9 Depth=1
	s_or_b32 exec_lo, exec_lo, s31
.LBB196_377:                            ;   in Loop: Header=BB196_9 Depth=1
	s_or_b32 exec_lo, exec_lo, s3
	global_load_ushort v37, v[79:80], off offset:1292
	v_mov_b32_e32 v39, 0
	v_mov_b32_e32 v40, 0
	s_waitcnt vmcnt(0)
	v_and_b32_e32 v41, 0xffff, v37
	v_cmp_ne_u16_sdwa s2, v37, v62 src0_sel:BYTE_0 src1_sel:DWORD
	v_mov_b32_e32 v37, 0
	v_mov_b32_e32 v38, 0
	s_and_saveexec_b32 s3, s2
	s_cbranch_execz .LBB196_385
; %bb.378:                              ;   in Loop: Header=BB196_9 Depth=1
	v_bfrev_b32_e32 v37, 1
	v_mov_b32_e32 v38, 0
	v_cmp_ne_u16_sdwa s2, v41, v75 src0_sel:BYTE_0 src1_sel:DWORD
	s_and_saveexec_b32 s31, s2
	s_cbranch_execz .LBB196_384
; %bb.379:                              ;   in Loop: Header=BB196_9 Depth=1
	v_mov_b32_e32 v37, 0x7f800001
	v_and_b32_e32 v42, 0x7f, v41
	v_mov_b32_e32 v38, 0
	s_mov_b32 s33, exec_lo
	v_cmpx_ne_u32_e32 0x7f, v42
	s_cbranch_execz .LBB196_383
; %bb.380:                              ;   in Loop: Header=BB196_9 Depth=1
	v_and_b32_e32 v61, 7, v41
	v_lshrrev_b32_e32 v37, 3, v42
	s_mov_b32 s34, exec_lo
	v_cmpx_gt_u32_e32 8, v42
; %bb.381:                              ;   in Loop: Header=BB196_9 Depth=1
	v_ffbh_u32_e32 v37, v61
	v_min_u32_e32 v37, 32, v37
	v_subrev_nc_u32_e32 v38, 28, v37
	v_sub_nc_u32_e32 v37, 29, v37
	v_lshlrev_b64 v[42:43], v38, v[61:62]
	v_and_b32_e32 v61, 7, v42
; %bb.382:                              ;   in Loop: Header=BB196_9 Depth=1
	s_or_b32 exec_lo, exec_lo, s34
	v_lshlrev_b32_e32 v38, 24, v41
	v_lshlrev_b32_e32 v42, 20, v61
	v_lshl_add_u32 v37, v37, 23, 0x3c000000
	v_and_b32_e32 v38, 0x80000000, v38
	v_or3_b32 v61, v42, v38, v37
	v_mov_b32_e32 v37, v61
	v_mov_b32_e32 v38, v62
.LBB196_383:                            ;   in Loop: Header=BB196_9 Depth=1
	s_or_b32 exec_lo, exec_lo, s33
.LBB196_384:                            ;   in Loop: Header=BB196_9 Depth=1
	s_or_b32 exec_lo, exec_lo, s31
.LBB196_385:                            ;   in Loop: Header=BB196_9 Depth=1
	s_or_b32 exec_lo, exec_lo, s3
	v_cmp_ne_u16_sdwa s2, v41, v62 src0_sel:BYTE_1 src1_sel:DWORD
	s_and_saveexec_b32 s3, s2
	s_cbranch_execz .LBB196_393
; %bb.386:                              ;   in Loop: Header=BB196_9 Depth=1
	v_mov_b32_e32 v57, v62
	v_cmp_ne_u16_sdwa s2, v41, v75 src0_sel:BYTE_1 src1_sel:DWORD
	v_mov_b32_e32 v39, v57
	v_mov_b32_e32 v40, v58
	s_and_saveexec_b32 s31, s2
	s_cbranch_execz .LBB196_392
; %bb.387:                              ;   in Loop: Header=BB196_9 Depth=1
	v_mov_b32_e32 v39, 0xffff
	v_mov_b32_e32 v73, v62
	s_mov_b32 s33, exec_lo
	v_and_b32_sdwa v43, v39, v41 dst_sel:DWORD dst_unused:UNUSED_PAD src0_sel:DWORD src1_sel:BYTE_1
	v_mov_b32_e32 v39, v73
	v_mov_b32_e32 v40, v74
	v_and_b32_e32 v42, 0x7f, v43
	v_cmpx_ne_u32_e32 0x7f, v42
	s_cbranch_execz .LBB196_391
; %bb.388:                              ;   in Loop: Header=BB196_9 Depth=1
	v_and_b32_e32 v61, 7, v43
	v_lshrrev_b32_e32 v39, 3, v42
	s_mov_b32 s34, exec_lo
	v_cmpx_gt_u32_e32 8, v42
; %bb.389:                              ;   in Loop: Header=BB196_9 Depth=1
	v_ffbh_u32_e32 v39, v61
	v_min_u32_e32 v39, 32, v39
	v_subrev_nc_u32_e32 v40, 28, v39
	v_sub_nc_u32_e32 v39, 29, v39
	v_lshlrev_b64 v[42:43], v40, v[61:62]
	v_and_b32_e32 v61, 7, v42
; %bb.390:                              ;   in Loop: Header=BB196_9 Depth=1
	s_or_b32 exec_lo, exec_lo, s34
	v_lshlrev_b32_e32 v40, 16, v41
	v_lshlrev_b32_e32 v41, 20, v61
	v_lshl_add_u32 v39, v39, 23, 0x3c000000
	v_and_b32_e32 v40, 0x80000000, v40
	v_or3_b32 v40, v41, v40, v39
	v_mov_b32_e32 v39, v62
.LBB196_391:                            ;   in Loop: Header=BB196_9 Depth=1
	s_or_b32 exec_lo, exec_lo, s33
.LBB196_392:                            ;   in Loop: Header=BB196_9 Depth=1
	s_or_b32 exec_lo, exec_lo, s31
.LBB196_393:                            ;   in Loop: Header=BB196_9 Depth=1
	s_or_b32 exec_lo, exec_lo, s3
	global_load_ushort v41, v[79:80], off offset:1536
	v_mov_b32_e32 v43, 0
	v_mov_b32_e32 v44, 0
	s_waitcnt vmcnt(0)
	v_and_b32_e32 v45, 0xffff, v41
	v_cmp_ne_u16_sdwa s2, v41, v62 src0_sel:BYTE_0 src1_sel:DWORD
	v_mov_b32_e32 v41, 0
	v_mov_b32_e32 v42, 0
	s_and_saveexec_b32 s3, s2
	s_cbranch_execz .LBB196_401
; %bb.394:                              ;   in Loop: Header=BB196_9 Depth=1
	v_bfrev_b32_e32 v41, 1
	v_mov_b32_e32 v42, 0
	v_cmp_ne_u16_sdwa s2, v45, v75 src0_sel:BYTE_0 src1_sel:DWORD
	s_and_saveexec_b32 s31, s2
	s_cbranch_execz .LBB196_400
; %bb.395:                              ;   in Loop: Header=BB196_9 Depth=1
	v_mov_b32_e32 v41, 0x7f800001
	v_and_b32_e32 v46, 0x7f, v45
	v_mov_b32_e32 v42, 0
	s_mov_b32 s33, exec_lo
	v_cmpx_ne_u32_e32 0x7f, v46
	s_cbranch_execz .LBB196_399
; %bb.396:                              ;   in Loop: Header=BB196_9 Depth=1
	v_and_b32_e32 v61, 7, v45
	v_lshrrev_b32_e32 v41, 3, v46
	s_mov_b32 s34, exec_lo
	v_cmpx_gt_u32_e32 8, v46
; %bb.397:                              ;   in Loop: Header=BB196_9 Depth=1
	v_ffbh_u32_e32 v41, v61
	v_min_u32_e32 v41, 32, v41
	v_subrev_nc_u32_e32 v42, 28, v41
	v_sub_nc_u32_e32 v41, 29, v41
	v_lshlrev_b64 v[46:47], v42, v[61:62]
	v_and_b32_e32 v61, 7, v46
; %bb.398:                              ;   in Loop: Header=BB196_9 Depth=1
	s_or_b32 exec_lo, exec_lo, s34
	v_lshlrev_b32_e32 v42, 24, v45
	v_lshlrev_b32_e32 v46, 20, v61
	v_lshl_add_u32 v41, v41, 23, 0x3c000000
	v_and_b32_e32 v42, 0x80000000, v42
	v_or3_b32 v61, v46, v42, v41
	v_mov_b32_e32 v41, v61
	v_mov_b32_e32 v42, v62
.LBB196_399:                            ;   in Loop: Header=BB196_9 Depth=1
	s_or_b32 exec_lo, exec_lo, s33
.LBB196_400:                            ;   in Loop: Header=BB196_9 Depth=1
	s_or_b32 exec_lo, exec_lo, s31
.LBB196_401:                            ;   in Loop: Header=BB196_9 Depth=1
	s_or_b32 exec_lo, exec_lo, s3
	v_cmp_ne_u16_sdwa s2, v45, v62 src0_sel:BYTE_1 src1_sel:DWORD
	s_and_saveexec_b32 s3, s2
	s_cbranch_execz .LBB196_409
; %bb.402:                              ;   in Loop: Header=BB196_9 Depth=1
	v_mov_b32_e32 v57, v62
	v_cmp_ne_u16_sdwa s2, v45, v75 src0_sel:BYTE_1 src1_sel:DWORD
	v_mov_b32_e32 v43, v57
	v_mov_b32_e32 v44, v58
	s_and_saveexec_b32 s31, s2
	s_cbranch_execz .LBB196_408
; %bb.403:                              ;   in Loop: Header=BB196_9 Depth=1
	v_mov_b32_e32 v43, 0xffff
	v_mov_b32_e32 v73, v62
	s_mov_b32 s33, exec_lo
	v_and_b32_sdwa v47, v43, v45 dst_sel:DWORD dst_unused:UNUSED_PAD src0_sel:DWORD src1_sel:BYTE_1
	v_mov_b32_e32 v43, v73
	v_mov_b32_e32 v44, v74
	v_and_b32_e32 v46, 0x7f, v47
	v_cmpx_ne_u32_e32 0x7f, v46
	s_cbranch_execz .LBB196_407
; %bb.404:                              ;   in Loop: Header=BB196_9 Depth=1
	v_and_b32_e32 v61, 7, v47
	v_lshrrev_b32_e32 v43, 3, v46
	s_mov_b32 s34, exec_lo
	v_cmpx_gt_u32_e32 8, v46
; %bb.405:                              ;   in Loop: Header=BB196_9 Depth=1
	v_ffbh_u32_e32 v43, v61
	v_min_u32_e32 v43, 32, v43
	v_subrev_nc_u32_e32 v44, 28, v43
	v_sub_nc_u32_e32 v43, 29, v43
	v_lshlrev_b64 v[46:47], v44, v[61:62]
	v_and_b32_e32 v61, 7, v46
; %bb.406:                              ;   in Loop: Header=BB196_9 Depth=1
	s_or_b32 exec_lo, exec_lo, s34
	v_lshlrev_b32_e32 v44, 16, v45
	v_lshlrev_b32_e32 v45, 20, v61
	v_lshl_add_u32 v43, v43, 23, 0x3c000000
	v_and_b32_e32 v44, 0x80000000, v44
	v_or3_b32 v44, v45, v44, v43
	v_mov_b32_e32 v43, v62
.LBB196_407:                            ;   in Loop: Header=BB196_9 Depth=1
	s_or_b32 exec_lo, exec_lo, s33
.LBB196_408:                            ;   in Loop: Header=BB196_9 Depth=1
	s_or_b32 exec_lo, exec_lo, s31
.LBB196_409:                            ;   in Loop: Header=BB196_9 Depth=1
	s_or_b32 exec_lo, exec_lo, s3
	global_load_ushort v45, v[79:80], off offset:1540
	v_mov_b32_e32 v47, 0
	v_mov_b32_e32 v48, 0
	s_waitcnt vmcnt(0)
	v_and_b32_e32 v49, 0xffff, v45
	v_cmp_ne_u16_sdwa s2, v45, v62 src0_sel:BYTE_0 src1_sel:DWORD
	v_mov_b32_e32 v45, 0
	v_mov_b32_e32 v46, 0
	s_and_saveexec_b32 s3, s2
	s_cbranch_execz .LBB196_417
; %bb.410:                              ;   in Loop: Header=BB196_9 Depth=1
	v_bfrev_b32_e32 v45, 1
	v_mov_b32_e32 v46, 0
	v_cmp_ne_u16_sdwa s2, v49, v75 src0_sel:BYTE_0 src1_sel:DWORD
	s_and_saveexec_b32 s31, s2
	s_cbranch_execz .LBB196_416
; %bb.411:                              ;   in Loop: Header=BB196_9 Depth=1
	v_mov_b32_e32 v45, 0x7f800001
	v_and_b32_e32 v50, 0x7f, v49
	v_mov_b32_e32 v46, 0
	s_mov_b32 s33, exec_lo
	v_cmpx_ne_u32_e32 0x7f, v50
	s_cbranch_execz .LBB196_415
; %bb.412:                              ;   in Loop: Header=BB196_9 Depth=1
	v_and_b32_e32 v61, 7, v49
	v_lshrrev_b32_e32 v45, 3, v50
	s_mov_b32 s34, exec_lo
	v_cmpx_gt_u32_e32 8, v50
; %bb.413:                              ;   in Loop: Header=BB196_9 Depth=1
	v_ffbh_u32_e32 v45, v61
	v_min_u32_e32 v45, 32, v45
	v_subrev_nc_u32_e32 v46, 28, v45
	v_sub_nc_u32_e32 v45, 29, v45
	v_lshlrev_b64 v[50:51], v46, v[61:62]
	v_and_b32_e32 v61, 7, v50
; %bb.414:                              ;   in Loop: Header=BB196_9 Depth=1
	s_or_b32 exec_lo, exec_lo, s34
	v_lshlrev_b32_e32 v46, 24, v49
	v_lshlrev_b32_e32 v50, 20, v61
	v_lshl_add_u32 v45, v45, 23, 0x3c000000
	v_and_b32_e32 v46, 0x80000000, v46
	v_or3_b32 v61, v50, v46, v45
	v_mov_b32_e32 v45, v61
	v_mov_b32_e32 v46, v62
.LBB196_415:                            ;   in Loop: Header=BB196_9 Depth=1
	s_or_b32 exec_lo, exec_lo, s33
.LBB196_416:                            ;   in Loop: Header=BB196_9 Depth=1
	s_or_b32 exec_lo, exec_lo, s31
.LBB196_417:                            ;   in Loop: Header=BB196_9 Depth=1
	s_or_b32 exec_lo, exec_lo, s3
	v_cmp_ne_u16_sdwa s2, v49, v62 src0_sel:BYTE_1 src1_sel:DWORD
	s_and_saveexec_b32 s3, s2
	s_cbranch_execz .LBB196_425
; %bb.418:                              ;   in Loop: Header=BB196_9 Depth=1
	v_mov_b32_e32 v57, v62
	v_cmp_ne_u16_sdwa s2, v49, v75 src0_sel:BYTE_1 src1_sel:DWORD
	v_mov_b32_e32 v47, v57
	v_mov_b32_e32 v48, v58
	s_and_saveexec_b32 s31, s2
	s_cbranch_execz .LBB196_424
; %bb.419:                              ;   in Loop: Header=BB196_9 Depth=1
	v_mov_b32_e32 v47, 0xffff
	v_mov_b32_e32 v73, v62
	s_mov_b32 s33, exec_lo
	v_and_b32_sdwa v51, v47, v49 dst_sel:DWORD dst_unused:UNUSED_PAD src0_sel:DWORD src1_sel:BYTE_1
	v_mov_b32_e32 v47, v73
	v_mov_b32_e32 v48, v74
	v_and_b32_e32 v50, 0x7f, v51
	v_cmpx_ne_u32_e32 0x7f, v50
	s_cbranch_execz .LBB196_423
; %bb.420:                              ;   in Loop: Header=BB196_9 Depth=1
	v_and_b32_e32 v61, 7, v51
	v_lshrrev_b32_e32 v47, 3, v50
	s_mov_b32 s34, exec_lo
	v_cmpx_gt_u32_e32 8, v50
; %bb.421:                              ;   in Loop: Header=BB196_9 Depth=1
	v_ffbh_u32_e32 v47, v61
	v_min_u32_e32 v47, 32, v47
	v_subrev_nc_u32_e32 v48, 28, v47
	v_sub_nc_u32_e32 v47, 29, v47
	v_lshlrev_b64 v[50:51], v48, v[61:62]
	v_and_b32_e32 v61, 7, v50
; %bb.422:                              ;   in Loop: Header=BB196_9 Depth=1
	s_or_b32 exec_lo, exec_lo, s34
	v_lshlrev_b32_e32 v48, 16, v49
	v_lshlrev_b32_e32 v49, 20, v61
	v_lshl_add_u32 v47, v47, 23, 0x3c000000
	v_and_b32_e32 v48, 0x80000000, v48
	v_or3_b32 v48, v49, v48, v47
	v_mov_b32_e32 v47, v62
.LBB196_423:                            ;   in Loop: Header=BB196_9 Depth=1
	s_or_b32 exec_lo, exec_lo, s33
.LBB196_424:                            ;   in Loop: Header=BB196_9 Depth=1
	s_or_b32 exec_lo, exec_lo, s31
.LBB196_425:                            ;   in Loop: Header=BB196_9 Depth=1
	s_or_b32 exec_lo, exec_lo, s3
	global_load_ushort v49, v[79:80], off offset:1544
	v_mov_b32_e32 v51, 0
	v_mov_b32_e32 v52, 0
	s_waitcnt vmcnt(0)
	v_and_b32_e32 v53, 0xffff, v49
	v_cmp_ne_u16_sdwa s2, v49, v62 src0_sel:BYTE_0 src1_sel:DWORD
	v_mov_b32_e32 v49, 0
	v_mov_b32_e32 v50, 0
	s_and_saveexec_b32 s3, s2
	s_cbranch_execz .LBB196_433
; %bb.426:                              ;   in Loop: Header=BB196_9 Depth=1
	v_bfrev_b32_e32 v49, 1
	v_mov_b32_e32 v50, 0
	v_cmp_ne_u16_sdwa s2, v53, v75 src0_sel:BYTE_0 src1_sel:DWORD
	s_and_saveexec_b32 s31, s2
	s_cbranch_execz .LBB196_432
; %bb.427:                              ;   in Loop: Header=BB196_9 Depth=1
	v_mov_b32_e32 v49, 0x7f800001
	v_and_b32_e32 v54, 0x7f, v53
	v_mov_b32_e32 v50, 0
	s_mov_b32 s33, exec_lo
	v_cmpx_ne_u32_e32 0x7f, v54
	s_cbranch_execz .LBB196_431
; %bb.428:                              ;   in Loop: Header=BB196_9 Depth=1
	v_and_b32_e32 v61, 7, v53
	v_lshrrev_b32_e32 v49, 3, v54
	s_mov_b32 s34, exec_lo
	v_cmpx_gt_u32_e32 8, v54
; %bb.429:                              ;   in Loop: Header=BB196_9 Depth=1
	v_ffbh_u32_e32 v49, v61
	v_min_u32_e32 v49, 32, v49
	v_subrev_nc_u32_e32 v50, 28, v49
	v_sub_nc_u32_e32 v49, 29, v49
	v_lshlrev_b64 v[54:55], v50, v[61:62]
	v_and_b32_e32 v61, 7, v54
; %bb.430:                              ;   in Loop: Header=BB196_9 Depth=1
	s_or_b32 exec_lo, exec_lo, s34
	v_lshlrev_b32_e32 v50, 24, v53
	v_lshlrev_b32_e32 v54, 20, v61
	v_lshl_add_u32 v49, v49, 23, 0x3c000000
	v_and_b32_e32 v50, 0x80000000, v50
	v_or3_b32 v61, v54, v50, v49
	v_mov_b32_e32 v49, v61
	v_mov_b32_e32 v50, v62
.LBB196_431:                            ;   in Loop: Header=BB196_9 Depth=1
	s_or_b32 exec_lo, exec_lo, s33
.LBB196_432:                            ;   in Loop: Header=BB196_9 Depth=1
	s_or_b32 exec_lo, exec_lo, s31
.LBB196_433:                            ;   in Loop: Header=BB196_9 Depth=1
	s_or_b32 exec_lo, exec_lo, s3
	v_cmp_ne_u16_sdwa s2, v53, v62 src0_sel:BYTE_1 src1_sel:DWORD
	s_and_saveexec_b32 s3, s2
	s_cbranch_execz .LBB196_441
; %bb.434:                              ;   in Loop: Header=BB196_9 Depth=1
	v_mov_b32_e32 v57, v62
	v_cmp_ne_u16_sdwa s2, v53, v75 src0_sel:BYTE_1 src1_sel:DWORD
	v_mov_b32_e32 v51, v57
	v_mov_b32_e32 v52, v58
	s_and_saveexec_b32 s31, s2
	s_cbranch_execz .LBB196_440
; %bb.435:                              ;   in Loop: Header=BB196_9 Depth=1
	v_mov_b32_e32 v51, 0xffff
	v_mov_b32_e32 v73, v62
	s_mov_b32 s33, exec_lo
	v_and_b32_sdwa v55, v51, v53 dst_sel:DWORD dst_unused:UNUSED_PAD src0_sel:DWORD src1_sel:BYTE_1
	v_mov_b32_e32 v51, v73
	v_mov_b32_e32 v52, v74
	v_and_b32_e32 v54, 0x7f, v55
	v_cmpx_ne_u32_e32 0x7f, v54
	s_cbranch_execz .LBB196_439
; %bb.436:                              ;   in Loop: Header=BB196_9 Depth=1
	v_and_b32_e32 v61, 7, v55
	v_lshrrev_b32_e32 v51, 3, v54
	s_mov_b32 s34, exec_lo
	v_cmpx_gt_u32_e32 8, v54
; %bb.437:                              ;   in Loop: Header=BB196_9 Depth=1
	v_ffbh_u32_e32 v51, v61
	v_min_u32_e32 v51, 32, v51
	v_subrev_nc_u32_e32 v52, 28, v51
	v_sub_nc_u32_e32 v51, 29, v51
	v_lshlrev_b64 v[54:55], v52, v[61:62]
	v_and_b32_e32 v61, 7, v54
; %bb.438:                              ;   in Loop: Header=BB196_9 Depth=1
	s_or_b32 exec_lo, exec_lo, s34
	v_lshlrev_b32_e32 v52, 16, v53
	v_lshlrev_b32_e32 v53, 20, v61
	v_lshl_add_u32 v51, v51, 23, 0x3c000000
	v_and_b32_e32 v52, 0x80000000, v52
	v_or3_b32 v52, v53, v52, v51
	v_mov_b32_e32 v51, v62
.LBB196_439:                            ;   in Loop: Header=BB196_9 Depth=1
	s_or_b32 exec_lo, exec_lo, s33
.LBB196_440:                            ;   in Loop: Header=BB196_9 Depth=1
	s_or_b32 exec_lo, exec_lo, s31
.LBB196_441:                            ;   in Loop: Header=BB196_9 Depth=1
	s_or_b32 exec_lo, exec_lo, s3
	global_load_ushort v53, v[79:80], off offset:1548
	v_mov_b32_e32 v55, 0
	v_mov_b32_e32 v56, 0
	s_waitcnt vmcnt(0)
	v_and_b32_e32 v59, 0xffff, v53
	v_cmp_ne_u16_sdwa s2, v53, v62 src0_sel:BYTE_0 src1_sel:DWORD
	v_mov_b32_e32 v53, 0
	v_mov_b32_e32 v54, 0
	s_and_saveexec_b32 s3, s2
	s_cbranch_execz .LBB196_449
; %bb.442:                              ;   in Loop: Header=BB196_9 Depth=1
	v_bfrev_b32_e32 v53, 1
	v_mov_b32_e32 v54, 0
	v_cmp_ne_u16_sdwa s2, v59, v75 src0_sel:BYTE_0 src1_sel:DWORD
	s_and_saveexec_b32 s31, s2
	s_cbranch_execz .LBB196_448
; %bb.443:                              ;   in Loop: Header=BB196_9 Depth=1
	v_mov_b32_e32 v53, 0x7f800001
	v_and_b32_e32 v57, 0x7f, v59
	v_mov_b32_e32 v54, 0
	s_mov_b32 s33, exec_lo
	v_cmpx_ne_u32_e32 0x7f, v57
	s_cbranch_execz .LBB196_447
; %bb.444:                              ;   in Loop: Header=BB196_9 Depth=1
	v_and_b32_e32 v61, 7, v59
	v_lshrrev_b32_e32 v53, 3, v57
	s_mov_b32 s34, exec_lo
	v_cmpx_gt_u32_e32 8, v57
; %bb.445:                              ;   in Loop: Header=BB196_9 Depth=1
	v_ffbh_u32_e32 v53, v61
	v_min_u32_e32 v53, 32, v53
	v_subrev_nc_u32_e32 v54, 28, v53
	v_sub_nc_u32_e32 v53, 29, v53
	v_lshlrev_b64 v[60:61], v54, v[61:62]
	v_and_b32_e32 v61, 7, v60
; %bb.446:                              ;   in Loop: Header=BB196_9 Depth=1
	s_or_b32 exec_lo, exec_lo, s34
	v_lshlrev_b32_e32 v54, 24, v59
	v_lshlrev_b32_e32 v57, 20, v61
	v_lshl_add_u32 v53, v53, 23, 0x3c000000
	v_and_b32_e32 v54, 0x80000000, v54
	v_or3_b32 v61, v57, v54, v53
	v_mov_b32_e32 v53, v61
	v_mov_b32_e32 v54, v62
.LBB196_447:                            ;   in Loop: Header=BB196_9 Depth=1
	s_or_b32 exec_lo, exec_lo, s33
.LBB196_448:                            ;   in Loop: Header=BB196_9 Depth=1
	s_or_b32 exec_lo, exec_lo, s31
.LBB196_449:                            ;   in Loop: Header=BB196_9 Depth=1
	s_or_b32 exec_lo, exec_lo, s3
	v_cmp_ne_u16_sdwa s2, v59, v62 src0_sel:BYTE_1 src1_sel:DWORD
	s_and_saveexec_b32 s3, s2
	s_cbranch_execz .LBB196_457
; %bb.450:                              ;   in Loop: Header=BB196_9 Depth=1
	v_mov_b32_e32 v57, v62
	v_cmp_ne_u16_sdwa s2, v59, v75 src0_sel:BYTE_1 src1_sel:DWORD
	v_mov_b32_e32 v55, v57
	v_mov_b32_e32 v56, v58
	s_and_saveexec_b32 s31, s2
	s_cbranch_execz .LBB196_456
; %bb.451:                              ;   in Loop: Header=BB196_9 Depth=1
	v_mov_b32_e32 v55, 0xffff
	v_mov_b32_e32 v73, v62
	s_mov_b32 s33, exec_lo
	v_and_b32_sdwa v60, v55, v59 dst_sel:DWORD dst_unused:UNUSED_PAD src0_sel:DWORD src1_sel:BYTE_1
	v_mov_b32_e32 v55, v73
	v_mov_b32_e32 v56, v74
	v_and_b32_e32 v57, 0x7f, v60
	v_cmpx_ne_u32_e32 0x7f, v57
	s_cbranch_execz .LBB196_455
; %bb.452:                              ;   in Loop: Header=BB196_9 Depth=1
	v_and_b32_e32 v61, 7, v60
	v_lshrrev_b32_e32 v55, 3, v57
	s_mov_b32 s34, exec_lo
	v_cmpx_gt_u32_e32 8, v57
; %bb.453:                              ;   in Loop: Header=BB196_9 Depth=1
	v_ffbh_u32_e32 v55, v61
	v_min_u32_e32 v55, 32, v55
	v_subrev_nc_u32_e32 v56, 28, v55
	v_sub_nc_u32_e32 v55, 29, v55
	v_lshlrev_b64 v[56:57], v56, v[61:62]
	v_and_b32_e32 v61, 7, v56
; %bb.454:                              ;   in Loop: Header=BB196_9 Depth=1
	s_or_b32 exec_lo, exec_lo, s34
	v_lshlrev_b32_e32 v56, 16, v59
	v_lshlrev_b32_e32 v57, 20, v61
	v_lshl_add_u32 v55, v55, 23, 0x3c000000
	v_and_b32_e32 v56, 0x80000000, v56
	v_or3_b32 v56, v57, v56, v55
	v_mov_b32_e32 v55, v62
.LBB196_455:                            ;   in Loop: Header=BB196_9 Depth=1
	s_or_b32 exec_lo, exec_lo, s33
.LBB196_456:                            ;   in Loop: Header=BB196_9 Depth=1
	s_or_b32 exec_lo, exec_lo, s31
.LBB196_457:                            ;   in Loop: Header=BB196_9 Depth=1
	s_or_b32 exec_lo, exec_lo, s3
	global_load_ushort v57, v[79:80], off offset:1792
	v_mov_b32_e32 v67, 0
	v_mov_b32_e32 v59, 0
	;; [unrolled: 1-line block ×4, first 2 shown]
	s_waitcnt vmcnt(0)
	v_and_b32_e32 v69, 0xffff, v57
	v_cmp_ne_u16_sdwa s2, v57, v62 src0_sel:BYTE_0 src1_sel:DWORD
	s_and_saveexec_b32 s3, s2
	s_cbranch_execz .LBB196_465
; %bb.458:                              ;   in Loop: Header=BB196_9 Depth=1
	v_bfrev_b32_e32 v59, 1
	v_mov_b32_e32 v60, 0
	v_cmp_ne_u16_sdwa s2, v69, v75 src0_sel:BYTE_0 src1_sel:DWORD
	s_and_saveexec_b32 s31, s2
	s_cbranch_execz .LBB196_464
; %bb.459:                              ;   in Loop: Header=BB196_9 Depth=1
	v_mov_b32_e32 v59, 0x7f800001
	v_and_b32_e32 v70, 0x7f, v69
	v_mov_b32_e32 v60, 0
	s_mov_b32 s33, exec_lo
	v_cmpx_ne_u32_e32 0x7f, v70
	s_cbranch_execz .LBB196_463
; %bb.460:                              ;   in Loop: Header=BB196_9 Depth=1
	v_and_b32_e32 v61, 7, v69
	v_lshrrev_b32_e32 v57, 3, v70
	s_mov_b32 s34, exec_lo
	v_cmpx_gt_u32_e32 8, v70
; %bb.461:                              ;   in Loop: Header=BB196_9 Depth=1
	v_ffbh_u32_e32 v57, v61
	v_min_u32_e32 v57, 32, v57
	v_subrev_nc_u32_e32 v59, 28, v57
	v_sub_nc_u32_e32 v57, 29, v57
	v_lshlrev_b64 v[59:60], v59, v[61:62]
	v_and_b32_e32 v61, 7, v59
; %bb.462:                              ;   in Loop: Header=BB196_9 Depth=1
	s_or_b32 exec_lo, exec_lo, s34
	v_lshlrev_b32_e32 v59, 24, v69
	v_lshlrev_b32_e32 v60, 20, v61
	v_lshl_add_u32 v57, v57, 23, 0x3c000000
	v_and_b32_e32 v59, 0x80000000, v59
	v_or3_b32 v61, v60, v59, v57
	v_mov_b32_e32 v59, v61
	v_mov_b32_e32 v60, v62
.LBB196_463:                            ;   in Loop: Header=BB196_9 Depth=1
	s_or_b32 exec_lo, exec_lo, s33
.LBB196_464:                            ;   in Loop: Header=BB196_9 Depth=1
	s_or_b32 exec_lo, exec_lo, s31
.LBB196_465:                            ;   in Loop: Header=BB196_9 Depth=1
	s_or_b32 exec_lo, exec_lo, s3
	v_cmp_ne_u16_sdwa s2, v69, v62 src0_sel:BYTE_1 src1_sel:DWORD
	s_and_saveexec_b32 s3, s2
	s_cbranch_execz .LBB196_473
; %bb.466:                              ;   in Loop: Header=BB196_9 Depth=1
	v_mov_b32_e32 v57, v62
	v_mov_b32_e32 v68, v58
	v_cmp_ne_u16_sdwa s2, v69, v75 src0_sel:BYTE_1 src1_sel:DWORD
	v_mov_b32_e32 v67, v57
	s_and_saveexec_b32 s31, s2
	s_cbranch_execz .LBB196_472
; %bb.467:                              ;   in Loop: Header=BB196_9 Depth=1
	v_mov_b32_e32 v57, 0xffff
	v_mov_b32_e32 v73, v62
	s_mov_b32 s33, exec_lo
	v_and_b32_sdwa v57, v57, v69 dst_sel:DWORD dst_unused:UNUSED_PAD src0_sel:DWORD src1_sel:BYTE_1
	v_mov_b32_e32 v67, v73
	v_mov_b32_e32 v68, v74
	v_and_b32_e32 v70, 0x7f, v57
	v_cmpx_ne_u32_e32 0x7f, v70
	s_cbranch_execz .LBB196_471
; %bb.468:                              ;   in Loop: Header=BB196_9 Depth=1
	v_and_b32_e32 v61, 7, v57
	v_lshrrev_b32_e32 v57, 3, v70
	s_mov_b32 s34, exec_lo
	v_cmpx_gt_u32_e32 8, v70
; %bb.469:                              ;   in Loop: Header=BB196_9 Depth=1
	v_ffbh_u32_e32 v57, v61
	v_min_u32_e32 v57, 32, v57
	v_subrev_nc_u32_e32 v67, 28, v57
	v_sub_nc_u32_e32 v57, 29, v57
	v_lshlrev_b64 v[67:68], v67, v[61:62]
	v_and_b32_e32 v61, 7, v67
; %bb.470:                              ;   in Loop: Header=BB196_9 Depth=1
	s_or_b32 exec_lo, exec_lo, s34
	v_lshlrev_b32_e32 v67, 16, v69
	v_lshlrev_b32_e32 v61, 20, v61
	v_lshl_add_u32 v57, v57, 23, 0x3c000000
	v_and_b32_e32 v67, 0x80000000, v67
	v_or3_b32 v68, v61, v67, v57
	v_mov_b32_e32 v67, v62
.LBB196_471:                            ;   in Loop: Header=BB196_9 Depth=1
	s_or_b32 exec_lo, exec_lo, s33
.LBB196_472:                            ;   in Loop: Header=BB196_9 Depth=1
	s_or_b32 exec_lo, exec_lo, s31
.LBB196_473:                            ;   in Loop: Header=BB196_9 Depth=1
	s_or_b32 exec_lo, exec_lo, s3
	global_load_ushort v57, v[79:80], off offset:1796
	v_mov_b32_e32 v69, 0
	v_mov_b32_e32 v79, 0
	;; [unrolled: 1-line block ×4, first 2 shown]
	s_waitcnt vmcnt(0)
	v_and_b32_e32 v71, 0xffff, v57
	v_cmp_ne_u16_sdwa s2, v57, v62 src0_sel:BYTE_0 src1_sel:DWORD
	s_and_saveexec_b32 s3, s2
	s_cbranch_execz .LBB196_481
; %bb.474:                              ;   in Loop: Header=BB196_9 Depth=1
	v_bfrev_b32_e32 v79, 1
	v_mov_b32_e32 v80, 0
	v_cmp_ne_u16_sdwa s2, v71, v75 src0_sel:BYTE_0 src1_sel:DWORD
	s_and_saveexec_b32 s31, s2
	s_cbranch_execz .LBB196_480
; %bb.475:                              ;   in Loop: Header=BB196_9 Depth=1
	v_mov_b32_e32 v79, 0x7f800001
	v_and_b32_e32 v72, 0x7f, v71
	v_mov_b32_e32 v80, 0
	s_mov_b32 s33, exec_lo
	v_cmpx_ne_u32_e32 0x7f, v72
	s_cbranch_execz .LBB196_479
; %bb.476:                              ;   in Loop: Header=BB196_9 Depth=1
	v_and_b32_e32 v61, 7, v71
	v_lshrrev_b32_e32 v57, 3, v72
	s_mov_b32 s34, exec_lo
	v_cmpx_gt_u32_e32 8, v72
; %bb.477:                              ;   in Loop: Header=BB196_9 Depth=1
	v_ffbh_u32_e32 v57, v61
	v_min_u32_e32 v57, 32, v57
	v_subrev_nc_u32_e32 v72, 28, v57
	v_sub_nc_u32_e32 v57, 29, v57
	v_lshlrev_b64 v[72:73], v72, v[61:62]
	v_and_b32_e32 v61, 7, v72
; %bb.478:                              ;   in Loop: Header=BB196_9 Depth=1
	s_or_b32 exec_lo, exec_lo, s34
	v_lshlrev_b32_e32 v72, 24, v71
	v_lshlrev_b32_e32 v61, 20, v61
	v_lshl_add_u32 v57, v57, 23, 0x3c000000
	v_and_b32_e32 v72, 0x80000000, v72
	v_or3_b32 v61, v61, v72, v57
	v_mov_b32_e32 v80, v62
	v_mov_b32_e32 v79, v61
.LBB196_479:                            ;   in Loop: Header=BB196_9 Depth=1
	s_or_b32 exec_lo, exec_lo, s33
.LBB196_480:                            ;   in Loop: Header=BB196_9 Depth=1
	s_or_b32 exec_lo, exec_lo, s31
.LBB196_481:                            ;   in Loop: Header=BB196_9 Depth=1
	s_or_b32 exec_lo, exec_lo, s3
	v_cmp_ne_u16_sdwa s2, v71, v62 src0_sel:BYTE_1 src1_sel:DWORD
	s_and_saveexec_b32 s3, s2
	s_cbranch_execz .LBB196_489
; %bb.482:                              ;   in Loop: Header=BB196_9 Depth=1
	v_mov_b32_e32 v57, v62
	v_mov_b32_e32 v70, v58
	v_cmp_ne_u16_sdwa s2, v71, v75 src0_sel:BYTE_1 src1_sel:DWORD
	v_mov_b32_e32 v69, v57
	s_and_saveexec_b32 s31, s2
	s_cbranch_execz .LBB196_488
; %bb.483:                              ;   in Loop: Header=BB196_9 Depth=1
	v_mov_b32_e32 v57, 0xffff
	v_mov_b32_e32 v73, v62
	s_mov_b32 s33, exec_lo
	v_and_b32_sdwa v57, v57, v71 dst_sel:DWORD dst_unused:UNUSED_PAD src0_sel:DWORD src1_sel:BYTE_1
	v_mov_b32_e32 v69, v73
	v_mov_b32_e32 v70, v74
	v_and_b32_e32 v72, 0x7f, v57
	v_cmpx_ne_u32_e32 0x7f, v72
	s_cbranch_execz .LBB196_487
; %bb.484:                              ;   in Loop: Header=BB196_9 Depth=1
	v_and_b32_e32 v61, 7, v57
	v_lshrrev_b32_e32 v57, 3, v72
	s_mov_b32 s34, exec_lo
	v_cmpx_gt_u32_e32 8, v72
; %bb.485:                              ;   in Loop: Header=BB196_9 Depth=1
	v_ffbh_u32_e32 v57, v61
	v_min_u32_e32 v57, 32, v57
	v_subrev_nc_u32_e32 v69, 28, v57
	v_sub_nc_u32_e32 v57, 29, v57
	v_lshlrev_b64 v[69:70], v69, v[61:62]
	v_and_b32_e32 v61, 7, v69
; %bb.486:                              ;   in Loop: Header=BB196_9 Depth=1
	s_or_b32 exec_lo, exec_lo, s34
	v_lshlrev_b32_e32 v69, 16, v71
	v_lshlrev_b32_e32 v61, 20, v61
	v_lshl_add_u32 v57, v57, 23, 0x3c000000
	v_and_b32_e32 v69, 0x80000000, v69
	v_or3_b32 v70, v61, v69, v57
	v_mov_b32_e32 v69, v62
.LBB196_487:                            ;   in Loop: Header=BB196_9 Depth=1
	s_or_b32 exec_lo, exec_lo, s33
.LBB196_488:                            ;   in Loop: Header=BB196_9 Depth=1
	s_or_b32 exec_lo, exec_lo, s31
.LBB196_489:                            ;   in Loop: Header=BB196_9 Depth=1
	s_or_b32 exec_lo, exec_lo, s3
	s_clause 0x1
	buffer_load_dword v71, off, s[36:39], 0 offset:16
	buffer_load_dword v72, off, s[36:39], 0 offset:20
	v_or_b32_e32 v86, v88, v86
	v_or_b32_e32 v85, v87, v85
	;; [unrolled: 1-line block ×43, first 2 shown]
	v_mul_f32_e32 v20, s4, v20
	v_mul_f32_e32 v19, s30, v19
	v_or_b32_e32 v6, v8, v6
	v_mul_f32_e32 v11, s30, v11
	v_mul_f32_e32 v12, s4, v12
	v_or_b32_e32 v5, v7, v5
	v_or_b32_e32 v7, v124, v122
	;; [unrolled: 1-line block ×3, first 2 shown]
	v_mul_f32_e32 v4, s4, v4
	v_mul_f32_e32 v3, s30, v3
	;; [unrolled: 1-line block ×5, first 2 shown]
	v_or_b32_e32 v15, v15, v13
	v_or_b32_e32 v26, v36, v34
	;; [unrolled: 1-line block ×9, first 2 shown]
	s_waitcnt vmcnt(1)
	v_or_b32_e32 v83, v77, v71
	s_waitcnt vmcnt(0)
	v_or_b32_e32 v77, v78, v72
	s_clause 0x7
	buffer_load_dword v71, off, s[36:39], 0
	buffer_load_dword v72, off, s[36:39], 0 offset:4
	buffer_load_dword v87, off, s[36:39], 0 offset:8
	;; [unrolled: 1-line block ×7, first 2 shown]
	v_mul_f32_e32 v39, s4, v83
	s_waitcnt vmcnt(5)
	v_or_b32_e32 v71, v87, v71
	s_waitcnt vmcnt(1)
	v_mul_f32_e32 v39, v43, v39
	v_or_b32_e32 v72, v88, v72
	v_mul_f32_e32 v40, s4, v71
	v_fmac_f32_e32 v39, v41, v40
	v_mul_f32_e32 v40, s30, v77
	v_mul_f32_e32 v41, s30, v72
	s_waitcnt vmcnt(0)
	v_mul_f32_e32 v40, v44, v40
	v_fmac_f32_e32 v40, v42, v41
	s_clause 0x3
	buffer_load_dword v42, off, s[36:39], 0 offset:44
	buffer_load_dword v43, off, s[36:39], 0 offset:48
	buffer_load_dword v44, off, s[36:39], 0 offset:52
	buffer_load_dword v45, off, s[36:39], 0 offset:56
	v_mul_f32_e32 v41, s4, v81
	s_waitcnt vmcnt(3)
	v_fmac_f32_e32 v39, v42, v41
	v_mul_f32_e32 v41, s30, v82
	s_waitcnt vmcnt(2)
	v_fmac_f32_e32 v40, v43, v41
	v_mul_f32_e32 v41, s4, v85
	s_waitcnt vmcnt(1)
	v_fmac_f32_e32 v39, v44, v41
	v_mul_f32_e32 v41, s30, v86
	s_waitcnt vmcnt(0)
	v_fmac_f32_e32 v40, v45, v41
	s_clause 0x3
	buffer_load_dword v42, off, s[36:39], 0 offset:60
	buffer_load_dword v43, off, s[36:39], 0 offset:64
	buffer_load_dword v44, off, s[36:39], 0 offset:68
	buffer_load_dword v45, off, s[36:39], 0 offset:72
	v_mul_f32_e32 v41, s4, v89
	s_waitcnt vmcnt(3)
	v_fmac_f32_e32 v39, v42, v41
	v_mul_f32_e32 v41, s30, v90
	s_waitcnt vmcnt(2)
	v_fmac_f32_e32 v40, v43, v41
	v_mul_f32_e32 v41, s4, v93
	s_waitcnt vmcnt(1)
	v_fmac_f32_e32 v39, v44, v41
	v_mul_f32_e32 v41, s30, v94
	s_waitcnt vmcnt(0)
	;; [unrolled: 17-line block ×4, first 2 shown]
	v_fmac_f32_e32 v40, v45, v41
	s_clause 0x3
	buffer_load_dword v41, off, s[36:39], 0 offset:108
	buffer_load_dword v42, off, s[36:39], 0 offset:112
	;; [unrolled: 1-line block ×4, first 2 shown]
	s_waitcnt vmcnt(3)
	v_fmac_f32_e32 v39, v41, v20
	s_waitcnt vmcnt(2)
	v_fmac_f32_e32 v40, v42, v19
	s_waitcnt vmcnt(1)
	v_fmac_f32_e32 v39, v43, v12
	s_waitcnt vmcnt(0)
	v_fmac_f32_e32 v40, v44, v11
	s_clause 0x3
	buffer_load_dword v41, off, s[36:39], 0 offset:124
	buffer_load_dword v42, off, s[36:39], 0 offset:128
	;; [unrolled: 1-line block ×4, first 2 shown]
	s_waitcnt vmcnt(3)
	v_fmac_f32_e32 v39, v41, v8
	s_waitcnt vmcnt(2)
	v_fmac_f32_e32 v40, v42, v7
	;; [unrolled: 2-line block ×4, first 2 shown]
	s_clause 0x3
	buffer_load_dword v41, off, s[36:39], 0 offset:140
	buffer_load_dword v42, off, s[36:39], 0 offset:144
	;; [unrolled: 1-line block ×4, first 2 shown]
	s_waitcnt vmcnt(3)
	v_fmac_f32_e32 v39, v41, v1
	v_mul_f32_e32 v1, s30, v2
	s_waitcnt vmcnt(2)
	v_fmac_f32_e32 v40, v42, v1
	v_mul_f32_e32 v1, s4, v5
	s_clause 0x3
	buffer_load_dword v2, off, s[36:39], 0 offset:168
	buffer_load_dword v3, off, s[36:39], 0 offset:172
	;; [unrolled: 1-line block ×4, first 2 shown]
	s_waitcnt vmcnt(5)
	v_fmac_f32_e32 v39, v43, v1
	v_mul_f32_e32 v1, s30, v6
	s_waitcnt vmcnt(4)
	v_fmac_f32_e32 v40, v44, v1
	v_mul_f32_e32 v1, s4, v9
	;; [unrolled: 3-line block ×5, first 2 shown]
	s_waitcnt vmcnt(0)
	v_fmac_f32_e32 v40, v5, v1
	s_clause 0x3
	buffer_load_dword v2, off, s[36:39], 0 offset:184
	buffer_load_dword v3, off, s[36:39], 0 offset:188
	buffer_load_dword v4, off, s[36:39], 0 offset:192
	buffer_load_dword v5, off, s[36:39], 0 offset:196
	v_mul_f32_e32 v1, s4, v15
	s_waitcnt vmcnt(3)
	v_fmac_f32_e32 v39, v2, v1
	v_mul_f32_e32 v1, s30, v14
	s_waitcnt vmcnt(2)
	v_fmac_f32_e32 v40, v3, v1
	v_mul_f32_e32 v1, s4, v21
	s_waitcnt vmcnt(1)
	v_fmac_f32_e32 v39, v4, v1
	v_mul_f32_e32 v1, s30, v16
	s_waitcnt vmcnt(0)
	v_fmac_f32_e32 v40, v5, v1
	s_clause 0x3
	buffer_load_dword v2, off, s[36:39], 0 offset:200
	buffer_load_dword v3, off, s[36:39], 0 offset:204
	buffer_load_dword v4, off, s[36:39], 0 offset:208
	buffer_load_dword v5, off, s[36:39], 0 offset:212
	v_mul_f32_e32 v1, s4, v23
	s_waitcnt vmcnt(3)
	v_fmac_f32_e32 v39, v2, v1
	v_mul_f32_e32 v1, s30, v22
	s_waitcnt vmcnt(2)
	v_fmac_f32_e32 v40, v3, v1
	v_mul_f32_e32 v1, s4, v25
	s_waitcnt vmcnt(1)
	v_fmac_f32_e32 v39, v4, v1
	v_mul_f32_e32 v1, s30, v24
	;; [unrolled: 17-line block ×5, first 2 shown]
	s_waitcnt vmcnt(0)
	v_fmac_f32_e32 v40, v5, v1
	s_clause 0x3
	buffer_load_dword v2, off, s[36:39], 0 offset:264
	buffer_load_dword v3, off, s[36:39], 0 offset:268
	;; [unrolled: 1-line block ×4, first 2 shown]
	v_mul_f32_e32 v1, s4, v59
	s_waitcnt vmcnt(3)
	v_fmac_f32_e32 v39, v2, v1
	buffer_load_dword v2, off, s[36:39], 0 offset:156 ; 4-byte Folded Reload
	v_mul_f32_e32 v1, s30, v57
	s_waitcnt vmcnt(3)
	v_fmac_f32_e32 v40, v3, v1
	v_mul_f32_e32 v1, s4, v38
	s_waitcnt vmcnt(2)
	v_fmac_f32_e32 v39, v4, v1
	;; [unrolled: 3-line block ×3, first 2 shown]
	v_add_f32_e32 v1, v39, v40
	s_waitcnt vmcnt(0)
	ds_bpermute_b32 v2, v2, v1
	s_and_saveexec_b32 s3, vcc_lo
	s_cbranch_execz .LBB196_8
; %bb.490:                              ;   in Loop: Header=BB196_9 Depth=1
	buffer_load_dword v4, off, s[36:39], 0 offset:24 ; 4-byte Folded Reload
	v_add_nc_u32_e32 v3, s5, v127
	s_waitcnt lgkmcnt(0)
	v_add_f32_e32 v1, v1, v2
	v_cmp_gt_i32_e64 s2, s11, v127
	v_cvt_f32_i32_e32 v3, v3
	v_mul_f32_e32 v3, s28, v3
	v_cndmask_b32_e64 v2, 0, v3, s1
	v_fmac_f32_e32 v2, s29, v1
	s_waitcnt vmcnt(0)
	v_max_f32_e32 v3, v4, v4
	v_max_f32_e32 v1, v3, v2
	v_cndmask_b32_e64 v2, 0, v2, s2
	v_cndmask_b32_e64 v4, v4, v1, s2
	ds_write_b32 v0, v2
	buffer_store_dword v4, off, s[36:39], 0 offset:24 ; 4-byte Folded Spill
	s_branch .LBB196_8
.LBB196_491:
	s_or_b32 exec_lo, exec_lo, s16
	s_clause 0x5
	buffer_load_dword v110, off, s[36:39], 0 offset:280
	buffer_load_dword v111, off, s[36:39], 0 offset:284
	;; [unrolled: 1-line block ×6, first 2 shown]
	v_mov_b32_e32 v8, 32
.LBB196_492:
	s_or_b32 exec_lo, exec_lo, s15
	s_waitcnt vmcnt(1)
	v_xor_b32_e32 v0, 16, v13
	s_waitcnt lgkmcnt(0)
	v_xor_b32_e32 v2, 8, v13
	v_xor_b32_e32 v4, 4, v13
	v_and_b32_e32 v25, 31, v110
	v_cmp_lt_i32_e32 vcc_lo, v0, v8
	v_cndmask_b32_e32 v0, v13, v0, vcc_lo
	v_cmp_lt_i32_e32 vcc_lo, v2, v8
	v_lshlrev_b32_e32 v0, 2, v0
	v_cndmask_b32_e32 v2, v13, v2, vcc_lo
	v_cmp_lt_i32_e32 vcc_lo, v4, v8
	s_waitcnt vmcnt(0)
	ds_bpermute_b32 v1, v0, v3
	v_max_f32_e32 v3, v3, v3
	v_lshlrev_b32_e32 v2, 2, v2
	v_cndmask_b32_e32 v4, v13, v4, vcc_lo
	s_waitcnt lgkmcnt(0)
	v_max_f32_e32 v1, v1, v1
	v_max_f32_e32 v1, v3, v1
	ds_bpermute_b32 v3, v2, v1
	s_waitcnt lgkmcnt(0)
	v_max_f32_e32 v5, v3, v3
	v_lshlrev_b32_e32 v3, 2, v4
	v_max_f32_e32 v1, v1, v5
	v_xor_b32_e32 v5, 2, v13
	ds_bpermute_b32 v4, v3, v1
	v_cmp_lt_i32_e32 vcc_lo, v5, v8
	v_cndmask_b32_e32 v5, v13, v5, vcc_lo
	v_cmp_eq_u32_e32 vcc_lo, 0, v25
	v_lshlrev_b32_e32 v26, 2, v5
	s_waitcnt lgkmcnt(0)
	v_max_f32_e32 v4, v4, v4
	v_max_f32_e32 v1, v1, v4
	v_lshlrev_b32_e32 v4, 2, v111
	ds_bpermute_b32 v5, v26, v1
	s_and_saveexec_b32 s1, vcc_lo
	s_cbranch_execz .LBB196_494
; %bb.493:
	s_waitcnt lgkmcnt(0)
	v_max_f32_e32 v5, v5, v5
	v_max_f32_e32 v1, v1, v1
	;; [unrolled: 1-line block ×3, first 2 shown]
	ds_write_b32 v4, v1 offset:480
.LBB196_494:
	s_or_b32 exec_lo, exec_lo, s1
	v_cmp_gt_u32_e64 s1, 4, v25
	v_mov_b32_e32 v1, 0xff7fffff
	s_waitcnt lgkmcnt(0)
	v_lshlrev_b32_e32 v5, 2, v25
	s_waitcnt_vscnt null, 0x0
	s_barrier
	buffer_gl0_inv
	s_and_saveexec_b32 s2, s1
; %bb.495:
	ds_read_b32 v1, v5 offset:480
; %bb.496:
	s_or_b32 exec_lo, exec_lo, s2
	s_waitcnt lgkmcnt(0)
	ds_bpermute_b32 v6, v26, v1
	v_xor_b32_e32 v7, 1, v13
	v_max_f32_e32 v1, v1, v1
	v_cmp_lt_i32_e64 s2, v7, v8
	v_cndmask_b32_e64 v7, v13, v7, s2
	s_lshl_b32 s2, s12, 4
	s_min_i32 s4, s2, s11
	v_lshlrev_b32_e32 v27, 2, v7
	v_cmp_gt_i32_e64 s2, s4, v110
	s_waitcnt lgkmcnt(0)
	v_max_f32_e32 v6, v6, v6
	v_max_f32_e32 v1, v1, v6
	ds_bpermute_b32 v6, v27, v1
	s_waitcnt lgkmcnt(0)
	v_max_f32_e32 v6, v6, v6
	v_max_f32_e32 v1, v1, v6
	v_lshlrev_b32_e32 v6, 2, v62
	ds_bpermute_b32 v7, v6, v1
	v_mov_b32_e32 v6, 0
	v_lshl_add_u32 v1, v110, 2, 0x200
	s_and_saveexec_b32 s5, s2
	s_cbranch_execz .LBB196_500
; %bb.497:
	v_lshl_add_u32 v8, v110, 2, 0x200
	v_mov_b32_e32 v6, 0
	v_mov_b32_e32 v9, v110
	s_mov_b32 s15, 0
	.p2align	6
.LBB196_498:                            ; =>This Inner Loop Header: Depth=1
	ds_read_b32 v10, v8
	v_add_nc_u32_e32 v9, 0x80, v9
	v_cmp_le_i32_e64 s3, s4, v9
	s_or_b32 s15, s3, s15
	s_waitcnt lgkmcnt(0)
	v_sub_f32_e32 v10, v10, v7
	v_mul_f32_e32 v10, 0x3fb8aa3b, v10
	v_exp_f32_e32 v10, v10
	ds_write_b32 v8, v10
	v_add_f32_e32 v6, v6, v10
	v_add_nc_u32_e32 v8, 0x200, v8
	s_andn2_b32 exec_lo, exec_lo, s15
	s_cbranch_execnz .LBB196_498
; %bb.499:
	s_or_b32 exec_lo, exec_lo, s15
.LBB196_500:
	s_or_b32 exec_lo, exec_lo, s5
	ds_bpermute_b32 v0, v0, v6
	s_waitcnt lgkmcnt(0)
	v_add_f32_e32 v0, v6, v0
	ds_bpermute_b32 v2, v2, v0
	s_waitcnt lgkmcnt(0)
	v_add_f32_e32 v0, v0, v2
	;; [unrolled: 3-line block ×5, first 2 shown]
	s_and_saveexec_b32 s3, vcc_lo
; %bb.501:
	ds_write_b32 v4, v0 offset:496
; %bb.502:
	s_or_b32 exec_lo, exec_lo, s3
	s_waitcnt lgkmcnt(0)
	s_barrier
	buffer_gl0_inv
	s_and_saveexec_b32 s3, s1
; %bb.503:
	ds_read_b32 v0, v5 offset:496
; %bb.504:
	s_or_b32 exec_lo, exec_lo, s3
	s_waitcnt lgkmcnt(0)
	ds_bpermute_b32 v2, v26, v0
	v_lshlrev_b32_e32 v3, 2, v13
	s_waitcnt lgkmcnt(0)
	v_add_f32_e32 v0, v0, v2
	ds_bpermute_b32 v2, v27, v0
	s_waitcnt lgkmcnt(0)
	v_add_f32_e32 v0, v0, v2
	v_and_b32_e32 v2, 0xffffff80, v3
	ds_bpermute_b32 v0, v2, v0
	s_and_saveexec_b32 s1, s2
	s_cbranch_execz .LBB196_507
; %bb.505:
	s_waitcnt lgkmcnt(0)
	v_add_f32_e32 v0, 0x358637bd, v0
	s_mov_b32 s2, 0
	v_div_scale_f32 v2, null, v0, v0, 1.0
	v_div_scale_f32 v5, vcc_lo, 1.0, v0, 1.0
	v_rcp_f32_e32 v3, v2
	v_fma_f32 v4, -v2, v3, 1.0
	v_fmac_f32_e32 v3, v4, v3
	v_mul_f32_e32 v4, v5, v3
	v_fma_f32 v6, -v2, v4, v5
	v_fmac_f32_e32 v4, v6, v3
	v_fma_f32 v2, -v2, v4, v5
	v_div_fmas_f32 v2, v2, v3, v4
	v_div_fixup_f32 v0, v2, v0, 1.0
	v_mov_b32_e32 v2, v110
.LBB196_506:                            ; =>This Inner Loop Header: Depth=1
	ds_read_b32 v3, v1
	v_add_nc_u32_e32 v2, 0x80, v2
	v_cmp_le_i32_e32 vcc_lo, s4, v2
	s_or_b32 s2, vcc_lo, s2
	s_waitcnt lgkmcnt(0)
	v_mul_f32_e32 v3, v0, v3
	ds_write_b32 v1, v3
	v_add_nc_u32_e32 v1, 0x200, v1
	s_andn2_b32 exec_lo, exec_lo, s2
	s_cbranch_execnz .LBB196_506
.LBB196_507:
	s_or_b32 exec_lo, exec_lo, s1
	v_mov_b32_e32 v40, 0
	v_and_b32_e32 v28, 3, v110
	v_mov_b32_e32 v42, 0
	v_mov_b32_e32 v41, 0
	;; [unrolled: 1-line block ×13, first 2 shown]
	s_waitcnt lgkmcnt(0)
	v_mov_b32_e32 v0, 0
	s_barrier
	buffer_gl0_inv
	s_and_saveexec_b32 s1, s0
	s_cbranch_execz .LBB196_1021
; %bb.508:
	s_load_dword s2, s[18:19], 0x0
	v_and_b32_e32 v1, 0x7c, v11
	v_and_b32_e32 v0, 12, v11
	v_lshlrev_b32_e32 v3, 4, v111
	s_ashr_i32 s0, s14, 31
	s_add_u32 s4, s26, s14
	v_lshlrev_b32_e32 v2, 4, v28
	s_addc_u32 s0, s27, s0
	v_add_co_u32 v7, s4, s4, v1
	v_or3_b32 v43, v3, v0, 3
	v_and_b32_e32 v0, 0x7c, v12
	v_add_co_ci_u32_e64 v8, null, s0, 0, s4
	s_lshl_b64 s[4:5], s[24:25], 2
	s_add_i32 s3, s12, -1
	v_lshl_or_b32 v2, v111, 6, v2
	s_add_u32 s0, s22, s4
	s_addc_u32 s4, s23, s5
	v_add_co_u32 v9, s0, s0, v0
	v_mov_b32_e32 v6, 0
	v_add_nc_u32_e32 v44, 0x200, v2
	v_add_co_ci_u32_e64 v10, null, s4, 0, s0
	v_mov_b32_e32 v45, 0x80
	v_bfrev_b32_e32 v12, 1
	v_mov_b32_e32 v46, 0xffff
	v_mov_b32_e32 v14, 0x7f800001
	;; [unrolled: 1-line block ×21, first 2 shown]
	s_mov_b32 s4, s13
	s_waitcnt lgkmcnt(0)
	s_mov_b32 s13, s2
	s_mov_b32 s5, 0
	s_branch .LBB196_510
.LBB196_509:                            ;   in Loop: Header=BB196_510 Depth=1
	s_or_b32 exec_lo, exec_lo, s0
	s_waitcnt lgkmcnt(0)
	v_mul_f32_e32 v16, v1, v107
	v_mul_f32_e32 v17, v1, v105
	;; [unrolled: 1-line block ×5, first 2 shown]
	v_fmac_f32_e32 v16, v2, v106
	v_fmac_f32_e32 v17, v2, v104
	;; [unrolled: 1-line block ×15, first 2 shown]
	v_add_f32_e32 v29, v29, v16
	v_add_f32_e32 v30, v30, v17
	;; [unrolled: 1-line block ×3, first 2 shown]
	v_mul_f32_e32 v16, v1, v89
	v_add_f32_e32 v32, v32, v19
	v_mul_f32_e32 v17, v1, v85
	v_mul_f32_e32 v18, v1, v81
	v_mul_f32_e32 v19, v1, v77
	v_fmac_f32_e32 v16, v2, v88
	v_add_f32_e32 v33, v33, v20
	v_fmac_f32_e32 v17, v2, v84
	v_fmac_f32_e32 v18, v2, v80
	;; [unrolled: 1-line block ×4, first 2 shown]
	v_mul_f32_e32 v20, v1, v73
	v_fmac_f32_e32 v17, v3, v83
	v_fmac_f32_e32 v18, v3, v79
	;; [unrolled: 1-line block ×8, first 2 shown]
	v_add_f32_e32 v34, v34, v16
	v_mul_f32_e32 v16, v1, v69
	v_add_f32_e32 v35, v35, v17
	v_add_f32_e32 v36, v36, v18
	;; [unrolled: 1-line block ×3, first 2 shown]
	v_mul_f32_e32 v17, v1, v65
	v_mul_f32_e32 v18, v1, v61
	;; [unrolled: 1-line block ×4, first 2 shown]
	v_fmac_f32_e32 v16, v2, v68
	v_fmac_f32_e32 v17, v2, v64
	;; [unrolled: 1-line block ×11, first 2 shown]
	v_add_nc_u32_e32 v50, 4, v50
	v_fmac_f32_e32 v20, v4, v70
	v_fmac_f32_e32 v16, v4, v66
	;; [unrolled: 1-line block ×6, first 2 shown]
	v_cmp_le_i32_e32 vcc_lo, s12, v50
	v_add_co_u32 v9, s0, v9, 16
	v_add_f32_e32 v38, v38, v20
	v_add_f32_e32 v39, v39, v16
	;; [unrolled: 1-line block ×6, first 2 shown]
	v_add_nc_u32_e32 v43, 64, v43
	v_add_nc_u32_e32 v44, 0x100, v44
	v_add_co_ci_u32_e64 v10, null, 0, v10, s0
	s_or_b32 s5, vcc_lo, s5
	s_andn2_b32 exec_lo, exec_lo, s5
	s_cbranch_execz .LBB196_1020
.LBB196_510:                            ; =>This Inner Loop Header: Depth=1
	global_load_dword v1, v[9:10], off
	v_mov_b32_e32 v19, 0
	v_mov_b32_e32 v17, 0
	;; [unrolled: 1-line block ×4, first 2 shown]
	s_waitcnt vmcnt(0)
	v_mad_i64_i32 v[15:16], null, v1, s4, v[7:8]
	ds_read_b128 v[1:4], v44
	global_load_dword v51, v[15:16], off
	s_waitcnt vmcnt(0)
	v_cmp_ne_u16_sdwa s14, v51, v6 src0_sel:BYTE_0 src1_sel:DWORD
	s_and_saveexec_b32 s0, s14
	s_cbranch_execz .LBB196_518
; %bb.511:                              ;   in Loop: Header=BB196_510 Depth=1
	v_bfrev_b32_e32 v17, 1
	v_mov_b32_e32 v18, 0
	v_cmp_ne_u16_sdwa s15, v51, v45 src0_sel:BYTE_0 src1_sel:DWORD
	s_and_saveexec_b32 s14, s15
	s_cbranch_execz .LBB196_517
; %bb.512:                              ;   in Loop: Header=BB196_510 Depth=1
	v_mov_b32_e32 v17, 0x7f800001
	v_and_b32_e32 v13, 0x7f, v51
	v_mov_b32_e32 v18, 0
	s_mov_b32 s15, exec_lo
	v_cmpx_ne_u32_e32 0x7f, v13
	s_cbranch_execz .LBB196_516
; %bb.513:                              ;   in Loop: Header=BB196_510 Depth=1
	v_and_b32_e32 v5, 7, v51
	v_lshrrev_b32_e32 v11, 3, v13
	s_mov_b32 s16, exec_lo
	v_cmpx_gt_u32_e32 8, v13
; %bb.514:                              ;   in Loop: Header=BB196_510 Depth=1
	v_ffbh_u32_e32 v11, v5
	v_min_u32_e32 v11, 32, v11
	v_subrev_nc_u32_e32 v13, 28, v11
	v_sub_nc_u32_e32 v11, 29, v11
	v_lshlrev_b64 v[17:18], v13, v[5:6]
	v_and_b32_e32 v5, 7, v17
; %bb.515:                              ;   in Loop: Header=BB196_510 Depth=1
	s_or_b32 exec_lo, exec_lo, s16
	v_lshlrev_b32_e32 v13, 24, v51
	v_lshlrev_b32_e32 v5, 20, v5
	v_lshl_add_u32 v11, v11, 23, 0x3c000000
	v_and_b32_e32 v13, 0x80000000, v13
	v_or3_b32 v5, v5, v13, v11
	v_mov_b32_e32 v18, v6
	v_mov_b32_e32 v17, v5
.LBB196_516:                            ;   in Loop: Header=BB196_510 Depth=1
	s_or_b32 exec_lo, exec_lo, s15
.LBB196_517:                            ;   in Loop: Header=BB196_510 Depth=1
	s_or_b32 exec_lo, exec_lo, s14
.LBB196_518:                            ;   in Loop: Header=BB196_510 Depth=1
	s_or_b32 exec_lo, exec_lo, s0
	v_cmp_ne_u16_sdwa s14, v51, v6 src0_sel:BYTE_1 src1_sel:DWORD
	s_and_saveexec_b32 s0, s14
	s_cbranch_execz .LBB196_526
; %bb.519:                              ;   in Loop: Header=BB196_510 Depth=1
	v_mov_b32_e32 v11, v6
	v_mov_b32_e32 v20, v12
	v_cmp_ne_u16_sdwa s15, v51, v45 src0_sel:BYTE_1 src1_sel:DWORD
	v_mov_b32_e32 v19, v11
	s_and_saveexec_b32 s14, s15
	s_cbranch_execz .LBB196_525
; %bb.520:                              ;   in Loop: Header=BB196_510 Depth=1
	v_and_b32_sdwa v5, v46, v51 dst_sel:DWORD dst_unused:UNUSED_PAD src0_sel:DWORD src1_sel:BYTE_1
	v_mov_b32_e32 v13, v6
	v_mov_b32_e32 v20, v14
	s_mov_b32 s15, exec_lo
	v_and_b32_e32 v21, 0x7f, v5
	v_mov_b32_e32 v19, v13
	v_cmpx_ne_u32_e32 0x7f, v21
	s_cbranch_execz .LBB196_524
; %bb.521:                              ;   in Loop: Header=BB196_510 Depth=1
	v_and_b32_e32 v5, 7, v5
	v_lshrrev_b32_e32 v11, 3, v21
	s_mov_b32 s16, exec_lo
	v_cmpx_gt_u32_e32 8, v21
; %bb.522:                              ;   in Loop: Header=BB196_510 Depth=1
	v_ffbh_u32_e32 v11, v5
	v_min_u32_e32 v11, 32, v11
	v_subrev_nc_u32_e32 v13, 28, v11
	v_sub_nc_u32_e32 v11, 29, v11
	v_lshlrev_b64 v[19:20], v13, v[5:6]
	v_and_b32_e32 v5, 7, v19
; %bb.523:                              ;   in Loop: Header=BB196_510 Depth=1
	s_or_b32 exec_lo, exec_lo, s16
	v_lshlrev_b32_e32 v13, 16, v51
	v_lshlrev_b32_e32 v5, 20, v5
	v_lshl_add_u32 v11, v11, 23, 0x3c000000
	v_mov_b32_e32 v19, v6
	v_and_b32_e32 v13, 0x80000000, v13
	v_or3_b32 v20, v5, v13, v11
.LBB196_524:                            ;   in Loop: Header=BB196_510 Depth=1
	s_or_b32 exec_lo, exec_lo, s15
.LBB196_525:                            ;   in Loop: Header=BB196_510 Depth=1
	s_or_b32 exec_lo, exec_lo, s14
.LBB196_526:                            ;   in Loop: Header=BB196_510 Depth=1
	s_or_b32 exec_lo, exec_lo, s0
	v_mov_b32_e32 v23, 0
	v_mov_b32_e32 v21, 0
	v_and_b32_sdwa v5, v51, v47 dst_sel:DWORD dst_unused:UNUSED_PAD src0_sel:WORD_1 src1_sel:DWORD
	v_mov_b32_e32 v24, 0
	v_mov_b32_e32 v22, 0
	s_mov_b32 s0, exec_lo
	v_cmpx_ne_u16_e32 0, v5
	s_cbranch_execz .LBB196_534
; %bb.527:                              ;   in Loop: Header=BB196_510 Depth=1
	v_bfrev_b32_e32 v21, 1
	v_mov_b32_e32 v22, 0
	s_mov_b32 s14, exec_lo
	v_cmpx_ne_u16_e32 0x80, v5
	s_cbranch_execz .LBB196_533
; %bb.528:                              ;   in Loop: Header=BB196_510 Depth=1
	v_mov_b32_e32 v21, 0x7f800001
	v_bfe_u32 v13, v51, 16, 7
	v_mov_b32_e32 v22, 0
	s_mov_b32 s15, exec_lo
	v_cmpx_ne_u32_e32 0x7f, v13
	s_cbranch_execz .LBB196_532
; %bb.529:                              ;   in Loop: Header=BB196_510 Depth=1
	v_and_b32_sdwa v5, v51, v48 dst_sel:DWORD dst_unused:UNUSED_PAD src0_sel:WORD_1 src1_sel:DWORD
	v_lshrrev_b32_e32 v11, 3, v13
	s_mov_b32 s16, exec_lo
	v_cmpx_gt_u32_e32 8, v13
; %bb.530:                              ;   in Loop: Header=BB196_510 Depth=1
	v_ffbh_u32_e32 v11, v5
	v_min_u32_e32 v11, 32, v11
	v_subrev_nc_u32_e32 v13, 28, v11
	v_sub_nc_u32_e32 v11, 29, v11
	v_lshlrev_b64 v[21:22], v13, v[5:6]
	v_and_b32_e32 v5, 7, v21
; %bb.531:                              ;   in Loop: Header=BB196_510 Depth=1
	s_or_b32 exec_lo, exec_lo, s16
	v_lshlrev_b32_sdwa v13, v49, v51 dst_sel:DWORD dst_unused:UNUSED_PAD src0_sel:DWORD src1_sel:WORD_1
	v_lshlrev_b32_e32 v5, 20, v5
	v_lshl_add_u32 v11, v11, 23, 0x3c000000
	v_and_b32_e32 v13, 0x80000000, v13
	v_or3_b32 v5, v5, v13, v11
	v_mov_b32_e32 v22, v6
	v_mov_b32_e32 v21, v5
.LBB196_532:                            ;   in Loop: Header=BB196_510 Depth=1
	s_or_b32 exec_lo, exec_lo, s15
.LBB196_533:                            ;   in Loop: Header=BB196_510 Depth=1
	s_or_b32 exec_lo, exec_lo, s14
.LBB196_534:                            ;   in Loop: Header=BB196_510 Depth=1
	s_or_b32 exec_lo, exec_lo, s0
	s_mov_b32 s0, exec_lo
	v_cmpx_lt_u32_e32 0xffffff, v51
	s_cbranch_execz .LBB196_542
; %bb.535:                              ;   in Loop: Header=BB196_510 Depth=1
	v_mov_b32_e32 v11, v6
	v_mov_b32_e32 v24, v12
	v_cmp_ne_u32_sdwa s15, v51, v45 src0_sel:BYTE_3 src1_sel:DWORD
	v_mov_b32_e32 v23, v11
	s_and_saveexec_b32 s14, s15
	s_cbranch_execz .LBB196_541
; %bb.536:                              ;   in Loop: Header=BB196_510 Depth=1
	v_mov_b32_e32 v13, v6
	v_mov_b32_e32 v24, v14
	v_bfe_u32 v52, v51, 24, 7
	s_mov_b32 s15, exec_lo
	v_mov_b32_e32 v23, v13
	v_cmpx_ne_u32_e32 0x7f, v52
	s_cbranch_execz .LBB196_540
; %bb.537:                              ;   in Loop: Header=BB196_510 Depth=1
	v_and_b32_sdwa v5, v51, v48 dst_sel:DWORD dst_unused:UNUSED_PAD src0_sel:BYTE_3 src1_sel:DWORD
	v_lshrrev_b32_e32 v11, 3, v52
	s_mov_b32 s16, exec_lo
	v_cmpx_gt_u32_e32 8, v52
; %bb.538:                              ;   in Loop: Header=BB196_510 Depth=1
	v_ffbh_u32_e32 v11, v5
	v_min_u32_e32 v11, 32, v11
	v_subrev_nc_u32_e32 v13, 28, v11
	v_sub_nc_u32_e32 v11, 29, v11
	v_lshlrev_b64 v[23:24], v13, v[5:6]
	v_and_b32_e32 v5, 7, v23
; %bb.539:                              ;   in Loop: Header=BB196_510 Depth=1
	s_or_b32 exec_lo, exec_lo, s16
	v_lshlrev_b32_sdwa v13, v49, v51 dst_sel:DWORD dst_unused:UNUSED_PAD src0_sel:DWORD src1_sel:BYTE_3
	v_lshlrev_b32_e32 v5, 20, v5
	v_lshl_add_u32 v11, v11, 23, 0x3c000000
	v_mov_b32_e32 v23, v6
	v_and_b32_e32 v13, 0x80000000, v13
	v_or3_b32 v24, v5, v13, v11
.LBB196_540:                            ;   in Loop: Header=BB196_510 Depth=1
	s_or_b32 exec_lo, exec_lo, s15
.LBB196_541:                            ;   in Loop: Header=BB196_510 Depth=1
	s_or_b32 exec_lo, exec_lo, s14
.LBB196_542:                            ;   in Loop: Header=BB196_510 Depth=1
	s_or_b32 exec_lo, exec_lo, s0
	v_or_b32_e32 v5, v20, v18
	v_or_b32_e32 v11, v19, v17
	;; [unrolled: 1-line block ×4, first 2 shown]
	v_add_nc_u32_e32 v55, -3, v43
	v_cmp_eq_u32_e32 vcc_lo, s3, v50
	v_mul_f32_e32 v53, s13, v5
	v_mul_f32_e32 v54, s2, v11
	;; [unrolled: 1-line block ×4, first 2 shown]
	v_add_nc_u32_e32 v57, -2, v43
	v_add_nc_u32_e32 v56, -1, v43
	s_and_saveexec_b32 s14, vcc_lo
	s_cbranch_execz .LBB196_544
; %bb.543:                              ;   in Loop: Header=BB196_510 Depth=1
	v_cmp_gt_i32_e64 s0, s11, v55
	v_cndmask_b32_e64 v54, 0, v54, s0
	v_cmp_gt_i32_e64 s0, s11, v57
	v_cndmask_b32_e64 v53, 0, v53, s0
	;; [unrolled: 2-line block ×4, first 2 shown]
.LBB196_544:                            ;   in Loop: Header=BB196_510 Depth=1
	s_or_b32 exec_lo, exec_lo, s14
	global_load_dword v58, v[15:16], off offset:128
	v_mov_b32_e32 v19, 0
	v_mov_b32_e32 v17, 0
	;; [unrolled: 1-line block ×4, first 2 shown]
	s_waitcnt vmcnt(0)
	v_cmp_ne_u16_sdwa s0, v58, v6 src0_sel:BYTE_0 src1_sel:DWORD
	s_and_saveexec_b32 s14, s0
	s_cbranch_execz .LBB196_552
; %bb.545:                              ;   in Loop: Header=BB196_510 Depth=1
	v_bfrev_b32_e32 v17, 1
	v_mov_b32_e32 v18, 0
	v_cmp_ne_u16_sdwa s0, v58, v45 src0_sel:BYTE_0 src1_sel:DWORD
	s_and_saveexec_b32 s15, s0
	s_cbranch_execz .LBB196_551
; %bb.546:                              ;   in Loop: Header=BB196_510 Depth=1
	v_mov_b32_e32 v17, 0x7f800001
	v_and_b32_e32 v13, 0x7f, v58
	v_mov_b32_e32 v18, 0
	s_mov_b32 s16, exec_lo
	v_cmpx_ne_u32_e32 0x7f, v13
	s_cbranch_execz .LBB196_550
; %bb.547:                              ;   in Loop: Header=BB196_510 Depth=1
	v_and_b32_e32 v5, 7, v58
	v_lshrrev_b32_e32 v11, 3, v13
	s_mov_b32 s17, exec_lo
	v_cmpx_gt_u32_e32 8, v13
; %bb.548:                              ;   in Loop: Header=BB196_510 Depth=1
	v_ffbh_u32_e32 v11, v5
	v_min_u32_e32 v11, 32, v11
	v_subrev_nc_u32_e32 v13, 28, v11
	v_sub_nc_u32_e32 v11, 29, v11
	v_lshlrev_b64 v[17:18], v13, v[5:6]
	v_and_b32_e32 v5, 7, v17
; %bb.549:                              ;   in Loop: Header=BB196_510 Depth=1
	s_or_b32 exec_lo, exec_lo, s17
	v_lshlrev_b32_e32 v13, 24, v58
	v_lshlrev_b32_e32 v5, 20, v5
	v_lshl_add_u32 v11, v11, 23, 0x3c000000
	v_and_b32_e32 v13, 0x80000000, v13
	v_or3_b32 v5, v5, v13, v11
	v_mov_b32_e32 v18, v6
	v_mov_b32_e32 v17, v5
.LBB196_550:                            ;   in Loop: Header=BB196_510 Depth=1
	s_or_b32 exec_lo, exec_lo, s16
.LBB196_551:                            ;   in Loop: Header=BB196_510 Depth=1
	s_or_b32 exec_lo, exec_lo, s15
.LBB196_552:                            ;   in Loop: Header=BB196_510 Depth=1
	s_or_b32 exec_lo, exec_lo, s14
	v_cmp_ne_u16_sdwa s0, v58, v6 src0_sel:BYTE_1 src1_sel:DWORD
	s_and_saveexec_b32 s14, s0
	s_cbranch_execz .LBB196_560
; %bb.553:                              ;   in Loop: Header=BB196_510 Depth=1
	v_mov_b32_e32 v11, v6
	v_mov_b32_e32 v20, v12
	v_cmp_ne_u16_sdwa s0, v58, v45 src0_sel:BYTE_1 src1_sel:DWORD
	v_mov_b32_e32 v19, v11
	s_and_saveexec_b32 s15, s0
	s_cbranch_execz .LBB196_559
; %bb.554:                              ;   in Loop: Header=BB196_510 Depth=1
	v_and_b32_sdwa v5, v46, v58 dst_sel:DWORD dst_unused:UNUSED_PAD src0_sel:DWORD src1_sel:BYTE_1
	v_mov_b32_e32 v13, v6
	v_mov_b32_e32 v20, v14
	s_mov_b32 s16, exec_lo
	v_and_b32_e32 v21, 0x7f, v5
	v_mov_b32_e32 v19, v13
	v_cmpx_ne_u32_e32 0x7f, v21
	s_cbranch_execz .LBB196_558
; %bb.555:                              ;   in Loop: Header=BB196_510 Depth=1
	v_and_b32_e32 v5, 7, v5
	v_lshrrev_b32_e32 v11, 3, v21
	s_mov_b32 s17, exec_lo
	v_cmpx_gt_u32_e32 8, v21
; %bb.556:                              ;   in Loop: Header=BB196_510 Depth=1
	v_ffbh_u32_e32 v11, v5
	v_min_u32_e32 v11, 32, v11
	v_subrev_nc_u32_e32 v13, 28, v11
	v_sub_nc_u32_e32 v11, 29, v11
	v_lshlrev_b64 v[19:20], v13, v[5:6]
	v_and_b32_e32 v5, 7, v19
; %bb.557:                              ;   in Loop: Header=BB196_510 Depth=1
	s_or_b32 exec_lo, exec_lo, s17
	v_lshlrev_b32_e32 v13, 16, v58
	v_lshlrev_b32_e32 v5, 20, v5
	v_lshl_add_u32 v11, v11, 23, 0x3c000000
	v_mov_b32_e32 v19, v6
	v_and_b32_e32 v13, 0x80000000, v13
	v_or3_b32 v20, v5, v13, v11
.LBB196_558:                            ;   in Loop: Header=BB196_510 Depth=1
	s_or_b32 exec_lo, exec_lo, s16
.LBB196_559:                            ;   in Loop: Header=BB196_510 Depth=1
	s_or_b32 exec_lo, exec_lo, s15
.LBB196_560:                            ;   in Loop: Header=BB196_510 Depth=1
	s_or_b32 exec_lo, exec_lo, s14
	v_mov_b32_e32 v23, 0
	v_mov_b32_e32 v21, 0
	v_and_b32_sdwa v5, v58, v47 dst_sel:DWORD dst_unused:UNUSED_PAD src0_sel:WORD_1 src1_sel:DWORD
	v_mov_b32_e32 v24, 0
	v_mov_b32_e32 v22, 0
	s_mov_b32 s14, exec_lo
	v_cmpx_ne_u16_e32 0, v5
	s_cbranch_execz .LBB196_568
; %bb.561:                              ;   in Loop: Header=BB196_510 Depth=1
	v_bfrev_b32_e32 v21, 1
	v_mov_b32_e32 v22, 0
	s_mov_b32 s15, exec_lo
	v_cmpx_ne_u16_e32 0x80, v5
	s_cbranch_execz .LBB196_567
; %bb.562:                              ;   in Loop: Header=BB196_510 Depth=1
	v_mov_b32_e32 v21, 0x7f800001
	v_bfe_u32 v13, v58, 16, 7
	v_mov_b32_e32 v22, 0
	s_mov_b32 s16, exec_lo
	v_cmpx_ne_u32_e32 0x7f, v13
	s_cbranch_execz .LBB196_566
; %bb.563:                              ;   in Loop: Header=BB196_510 Depth=1
	v_and_b32_sdwa v5, v58, v48 dst_sel:DWORD dst_unused:UNUSED_PAD src0_sel:WORD_1 src1_sel:DWORD
	v_lshrrev_b32_e32 v11, 3, v13
	s_mov_b32 s17, exec_lo
	v_cmpx_gt_u32_e32 8, v13
; %bb.564:                              ;   in Loop: Header=BB196_510 Depth=1
	v_ffbh_u32_e32 v11, v5
	v_min_u32_e32 v11, 32, v11
	v_subrev_nc_u32_e32 v13, 28, v11
	v_sub_nc_u32_e32 v11, 29, v11
	v_lshlrev_b64 v[21:22], v13, v[5:6]
	v_and_b32_e32 v5, 7, v21
; %bb.565:                              ;   in Loop: Header=BB196_510 Depth=1
	s_or_b32 exec_lo, exec_lo, s17
	v_lshlrev_b32_sdwa v13, v49, v58 dst_sel:DWORD dst_unused:UNUSED_PAD src0_sel:DWORD src1_sel:WORD_1
	v_lshlrev_b32_e32 v5, 20, v5
	v_lshl_add_u32 v11, v11, 23, 0x3c000000
	v_and_b32_e32 v13, 0x80000000, v13
	v_or3_b32 v5, v5, v13, v11
	v_mov_b32_e32 v22, v6
	v_mov_b32_e32 v21, v5
.LBB196_566:                            ;   in Loop: Header=BB196_510 Depth=1
	s_or_b32 exec_lo, exec_lo, s16
.LBB196_567:                            ;   in Loop: Header=BB196_510 Depth=1
	s_or_b32 exec_lo, exec_lo, s15
.LBB196_568:                            ;   in Loop: Header=BB196_510 Depth=1
	s_or_b32 exec_lo, exec_lo, s14
	s_mov_b32 s14, exec_lo
	v_cmpx_lt_u32_e32 0xffffff, v58
	s_cbranch_execz .LBB196_576
; %bb.569:                              ;   in Loop: Header=BB196_510 Depth=1
	v_mov_b32_e32 v11, v6
	v_mov_b32_e32 v24, v12
	v_cmp_ne_u32_sdwa s0, v58, v45 src0_sel:BYTE_3 src1_sel:DWORD
	v_mov_b32_e32 v23, v11
	s_and_saveexec_b32 s15, s0
	s_cbranch_execz .LBB196_575
; %bb.570:                              ;   in Loop: Header=BB196_510 Depth=1
	v_mov_b32_e32 v13, v6
	v_mov_b32_e32 v24, v14
	v_bfe_u32 v59, v58, 24, 7
	s_mov_b32 s16, exec_lo
	v_mov_b32_e32 v23, v13
	v_cmpx_ne_u32_e32 0x7f, v59
	s_cbranch_execz .LBB196_574
; %bb.571:                              ;   in Loop: Header=BB196_510 Depth=1
	v_and_b32_sdwa v5, v58, v48 dst_sel:DWORD dst_unused:UNUSED_PAD src0_sel:BYTE_3 src1_sel:DWORD
	v_lshrrev_b32_e32 v11, 3, v59
	s_mov_b32 s17, exec_lo
	v_cmpx_gt_u32_e32 8, v59
; %bb.572:                              ;   in Loop: Header=BB196_510 Depth=1
	v_ffbh_u32_e32 v11, v5
	v_min_u32_e32 v11, 32, v11
	v_subrev_nc_u32_e32 v13, 28, v11
	v_sub_nc_u32_e32 v11, 29, v11
	v_lshlrev_b64 v[23:24], v13, v[5:6]
	v_and_b32_e32 v5, 7, v23
; %bb.573:                              ;   in Loop: Header=BB196_510 Depth=1
	s_or_b32 exec_lo, exec_lo, s17
	v_lshlrev_b32_sdwa v13, v49, v58 dst_sel:DWORD dst_unused:UNUSED_PAD src0_sel:DWORD src1_sel:BYTE_3
	v_lshlrev_b32_e32 v5, 20, v5
	v_lshl_add_u32 v11, v11, 23, 0x3c000000
	v_mov_b32_e32 v23, v6
	v_and_b32_e32 v13, 0x80000000, v13
	v_or3_b32 v24, v5, v13, v11
.LBB196_574:                            ;   in Loop: Header=BB196_510 Depth=1
	s_or_b32 exec_lo, exec_lo, s16
.LBB196_575:                            ;   in Loop: Header=BB196_510 Depth=1
	s_or_b32 exec_lo, exec_lo, s15
.LBB196_576:                            ;   in Loop: Header=BB196_510 Depth=1
	s_or_b32 exec_lo, exec_lo, s14
	v_or_b32_e32 v5, v20, v18
	v_or_b32_e32 v11, v19, v17
	;; [unrolled: 1-line block ×4, first 2 shown]
	v_mul_f32_e32 v60, s13, v5
	v_mul_f32_e32 v61, s2, v11
	;; [unrolled: 1-line block ×4, first 2 shown]
	s_and_saveexec_b32 s14, vcc_lo
	s_cbranch_execz .LBB196_578
; %bb.577:                              ;   in Loop: Header=BB196_510 Depth=1
	v_cmp_gt_i32_e64 s0, s11, v55
	v_cndmask_b32_e64 v61, 0, v61, s0
	v_cmp_gt_i32_e64 s0, s11, v57
	v_cndmask_b32_e64 v60, 0, v60, s0
	;; [unrolled: 2-line block ×4, first 2 shown]
.LBB196_578:                            ;   in Loop: Header=BB196_510 Depth=1
	s_or_b32 exec_lo, exec_lo, s14
	global_load_dword v62, v[15:16], off offset:256
	v_mov_b32_e32 v19, 0
	v_mov_b32_e32 v17, 0
	;; [unrolled: 1-line block ×4, first 2 shown]
	s_waitcnt vmcnt(0)
	v_cmp_ne_u16_sdwa s0, v62, v6 src0_sel:BYTE_0 src1_sel:DWORD
	s_and_saveexec_b32 s14, s0
	s_cbranch_execz .LBB196_586
; %bb.579:                              ;   in Loop: Header=BB196_510 Depth=1
	v_bfrev_b32_e32 v17, 1
	v_mov_b32_e32 v18, 0
	v_cmp_ne_u16_sdwa s0, v62, v45 src0_sel:BYTE_0 src1_sel:DWORD
	s_and_saveexec_b32 s15, s0
	s_cbranch_execz .LBB196_585
; %bb.580:                              ;   in Loop: Header=BB196_510 Depth=1
	v_mov_b32_e32 v17, 0x7f800001
	v_and_b32_e32 v13, 0x7f, v62
	v_mov_b32_e32 v18, 0
	s_mov_b32 s16, exec_lo
	v_cmpx_ne_u32_e32 0x7f, v13
	s_cbranch_execz .LBB196_584
; %bb.581:                              ;   in Loop: Header=BB196_510 Depth=1
	v_and_b32_e32 v5, 7, v62
	v_lshrrev_b32_e32 v11, 3, v13
	s_mov_b32 s17, exec_lo
	v_cmpx_gt_u32_e32 8, v13
; %bb.582:                              ;   in Loop: Header=BB196_510 Depth=1
	v_ffbh_u32_e32 v11, v5
	v_min_u32_e32 v11, 32, v11
	v_subrev_nc_u32_e32 v13, 28, v11
	v_sub_nc_u32_e32 v11, 29, v11
	v_lshlrev_b64 v[17:18], v13, v[5:6]
	v_and_b32_e32 v5, 7, v17
; %bb.583:                              ;   in Loop: Header=BB196_510 Depth=1
	s_or_b32 exec_lo, exec_lo, s17
	v_lshlrev_b32_e32 v13, 24, v62
	v_lshlrev_b32_e32 v5, 20, v5
	v_lshl_add_u32 v11, v11, 23, 0x3c000000
	v_and_b32_e32 v13, 0x80000000, v13
	v_or3_b32 v5, v5, v13, v11
	v_mov_b32_e32 v18, v6
	v_mov_b32_e32 v17, v5
.LBB196_584:                            ;   in Loop: Header=BB196_510 Depth=1
	s_or_b32 exec_lo, exec_lo, s16
.LBB196_585:                            ;   in Loop: Header=BB196_510 Depth=1
	s_or_b32 exec_lo, exec_lo, s15
.LBB196_586:                            ;   in Loop: Header=BB196_510 Depth=1
	s_or_b32 exec_lo, exec_lo, s14
	v_cmp_ne_u16_sdwa s0, v62, v6 src0_sel:BYTE_1 src1_sel:DWORD
	s_and_saveexec_b32 s14, s0
	s_cbranch_execz .LBB196_594
; %bb.587:                              ;   in Loop: Header=BB196_510 Depth=1
	v_mov_b32_e32 v11, v6
	v_mov_b32_e32 v20, v12
	v_cmp_ne_u16_sdwa s0, v62, v45 src0_sel:BYTE_1 src1_sel:DWORD
	v_mov_b32_e32 v19, v11
	s_and_saveexec_b32 s15, s0
	s_cbranch_execz .LBB196_593
; %bb.588:                              ;   in Loop: Header=BB196_510 Depth=1
	v_and_b32_sdwa v5, v46, v62 dst_sel:DWORD dst_unused:UNUSED_PAD src0_sel:DWORD src1_sel:BYTE_1
	v_mov_b32_e32 v13, v6
	v_mov_b32_e32 v20, v14
	s_mov_b32 s16, exec_lo
	v_and_b32_e32 v21, 0x7f, v5
	v_mov_b32_e32 v19, v13
	v_cmpx_ne_u32_e32 0x7f, v21
	s_cbranch_execz .LBB196_592
; %bb.589:                              ;   in Loop: Header=BB196_510 Depth=1
	v_and_b32_e32 v5, 7, v5
	v_lshrrev_b32_e32 v11, 3, v21
	s_mov_b32 s17, exec_lo
	v_cmpx_gt_u32_e32 8, v21
; %bb.590:                              ;   in Loop: Header=BB196_510 Depth=1
	v_ffbh_u32_e32 v11, v5
	v_min_u32_e32 v11, 32, v11
	v_subrev_nc_u32_e32 v13, 28, v11
	v_sub_nc_u32_e32 v11, 29, v11
	v_lshlrev_b64 v[19:20], v13, v[5:6]
	v_and_b32_e32 v5, 7, v19
; %bb.591:                              ;   in Loop: Header=BB196_510 Depth=1
	s_or_b32 exec_lo, exec_lo, s17
	v_lshlrev_b32_e32 v13, 16, v62
	v_lshlrev_b32_e32 v5, 20, v5
	v_lshl_add_u32 v11, v11, 23, 0x3c000000
	v_mov_b32_e32 v19, v6
	v_and_b32_e32 v13, 0x80000000, v13
	v_or3_b32 v20, v5, v13, v11
.LBB196_592:                            ;   in Loop: Header=BB196_510 Depth=1
	s_or_b32 exec_lo, exec_lo, s16
.LBB196_593:                            ;   in Loop: Header=BB196_510 Depth=1
	s_or_b32 exec_lo, exec_lo, s15
.LBB196_594:                            ;   in Loop: Header=BB196_510 Depth=1
	s_or_b32 exec_lo, exec_lo, s14
	v_mov_b32_e32 v23, 0
	v_mov_b32_e32 v21, 0
	v_and_b32_sdwa v5, v62, v47 dst_sel:DWORD dst_unused:UNUSED_PAD src0_sel:WORD_1 src1_sel:DWORD
	v_mov_b32_e32 v24, 0
	v_mov_b32_e32 v22, 0
	s_mov_b32 s14, exec_lo
	v_cmpx_ne_u16_e32 0, v5
	s_cbranch_execz .LBB196_602
; %bb.595:                              ;   in Loop: Header=BB196_510 Depth=1
	v_bfrev_b32_e32 v21, 1
	v_mov_b32_e32 v22, 0
	s_mov_b32 s15, exec_lo
	v_cmpx_ne_u16_e32 0x80, v5
	s_cbranch_execz .LBB196_601
; %bb.596:                              ;   in Loop: Header=BB196_510 Depth=1
	v_mov_b32_e32 v21, 0x7f800001
	v_bfe_u32 v13, v62, 16, 7
	v_mov_b32_e32 v22, 0
	s_mov_b32 s16, exec_lo
	v_cmpx_ne_u32_e32 0x7f, v13
	s_cbranch_execz .LBB196_600
; %bb.597:                              ;   in Loop: Header=BB196_510 Depth=1
	v_and_b32_sdwa v5, v62, v48 dst_sel:DWORD dst_unused:UNUSED_PAD src0_sel:WORD_1 src1_sel:DWORD
	v_lshrrev_b32_e32 v11, 3, v13
	s_mov_b32 s17, exec_lo
	v_cmpx_gt_u32_e32 8, v13
; %bb.598:                              ;   in Loop: Header=BB196_510 Depth=1
	v_ffbh_u32_e32 v11, v5
	v_min_u32_e32 v11, 32, v11
	v_subrev_nc_u32_e32 v13, 28, v11
	v_sub_nc_u32_e32 v11, 29, v11
	v_lshlrev_b64 v[21:22], v13, v[5:6]
	v_and_b32_e32 v5, 7, v21
; %bb.599:                              ;   in Loop: Header=BB196_510 Depth=1
	s_or_b32 exec_lo, exec_lo, s17
	v_lshlrev_b32_sdwa v13, v49, v62 dst_sel:DWORD dst_unused:UNUSED_PAD src0_sel:DWORD src1_sel:WORD_1
	v_lshlrev_b32_e32 v5, 20, v5
	v_lshl_add_u32 v11, v11, 23, 0x3c000000
	v_and_b32_e32 v13, 0x80000000, v13
	v_or3_b32 v5, v5, v13, v11
	v_mov_b32_e32 v22, v6
	v_mov_b32_e32 v21, v5
.LBB196_600:                            ;   in Loop: Header=BB196_510 Depth=1
	s_or_b32 exec_lo, exec_lo, s16
.LBB196_601:                            ;   in Loop: Header=BB196_510 Depth=1
	s_or_b32 exec_lo, exec_lo, s15
.LBB196_602:                            ;   in Loop: Header=BB196_510 Depth=1
	s_or_b32 exec_lo, exec_lo, s14
	s_mov_b32 s14, exec_lo
	v_cmpx_lt_u32_e32 0xffffff, v62
	s_cbranch_execz .LBB196_610
; %bb.603:                              ;   in Loop: Header=BB196_510 Depth=1
	v_mov_b32_e32 v11, v6
	v_mov_b32_e32 v24, v12
	v_cmp_ne_u32_sdwa s0, v62, v45 src0_sel:BYTE_3 src1_sel:DWORD
	v_mov_b32_e32 v23, v11
	s_and_saveexec_b32 s15, s0
	s_cbranch_execz .LBB196_609
; %bb.604:                              ;   in Loop: Header=BB196_510 Depth=1
	v_mov_b32_e32 v13, v6
	v_mov_b32_e32 v24, v14
	v_bfe_u32 v63, v62, 24, 7
	s_mov_b32 s16, exec_lo
	v_mov_b32_e32 v23, v13
	v_cmpx_ne_u32_e32 0x7f, v63
	s_cbranch_execz .LBB196_608
; %bb.605:                              ;   in Loop: Header=BB196_510 Depth=1
	v_and_b32_sdwa v5, v62, v48 dst_sel:DWORD dst_unused:UNUSED_PAD src0_sel:BYTE_3 src1_sel:DWORD
	v_lshrrev_b32_e32 v11, 3, v63
	s_mov_b32 s17, exec_lo
	v_cmpx_gt_u32_e32 8, v63
; %bb.606:                              ;   in Loop: Header=BB196_510 Depth=1
	v_ffbh_u32_e32 v11, v5
	v_min_u32_e32 v11, 32, v11
	v_subrev_nc_u32_e32 v13, 28, v11
	v_sub_nc_u32_e32 v11, 29, v11
	v_lshlrev_b64 v[23:24], v13, v[5:6]
	v_and_b32_e32 v5, 7, v23
; %bb.607:                              ;   in Loop: Header=BB196_510 Depth=1
	s_or_b32 exec_lo, exec_lo, s17
	v_lshlrev_b32_sdwa v13, v49, v62 dst_sel:DWORD dst_unused:UNUSED_PAD src0_sel:DWORD src1_sel:BYTE_3
	v_lshlrev_b32_e32 v5, 20, v5
	v_lshl_add_u32 v11, v11, 23, 0x3c000000
	v_mov_b32_e32 v23, v6
	v_and_b32_e32 v13, 0x80000000, v13
	v_or3_b32 v24, v5, v13, v11
.LBB196_608:                            ;   in Loop: Header=BB196_510 Depth=1
	s_or_b32 exec_lo, exec_lo, s16
.LBB196_609:                            ;   in Loop: Header=BB196_510 Depth=1
	s_or_b32 exec_lo, exec_lo, s15
.LBB196_610:                            ;   in Loop: Header=BB196_510 Depth=1
	s_or_b32 exec_lo, exec_lo, s14
	v_or_b32_e32 v5, v20, v18
	v_or_b32_e32 v11, v19, v17
	;; [unrolled: 1-line block ×4, first 2 shown]
	v_mul_f32_e32 v64, s13, v5
	v_mul_f32_e32 v65, s2, v11
	;; [unrolled: 1-line block ×4, first 2 shown]
	s_and_saveexec_b32 s14, vcc_lo
	s_cbranch_execz .LBB196_612
; %bb.611:                              ;   in Loop: Header=BB196_510 Depth=1
	v_cmp_gt_i32_e64 s0, s11, v55
	v_cndmask_b32_e64 v65, 0, v65, s0
	v_cmp_gt_i32_e64 s0, s11, v57
	v_cndmask_b32_e64 v64, 0, v64, s0
	;; [unrolled: 2-line block ×4, first 2 shown]
.LBB196_612:                            ;   in Loop: Header=BB196_510 Depth=1
	s_or_b32 exec_lo, exec_lo, s14
	global_load_dword v66, v[15:16], off offset:384
	v_mov_b32_e32 v19, 0
	v_mov_b32_e32 v17, 0
	;; [unrolled: 1-line block ×4, first 2 shown]
	s_waitcnt vmcnt(0)
	v_cmp_ne_u16_sdwa s0, v66, v6 src0_sel:BYTE_0 src1_sel:DWORD
	s_and_saveexec_b32 s14, s0
	s_cbranch_execz .LBB196_620
; %bb.613:                              ;   in Loop: Header=BB196_510 Depth=1
	v_bfrev_b32_e32 v17, 1
	v_mov_b32_e32 v18, 0
	v_cmp_ne_u16_sdwa s0, v66, v45 src0_sel:BYTE_0 src1_sel:DWORD
	s_and_saveexec_b32 s15, s0
	s_cbranch_execz .LBB196_619
; %bb.614:                              ;   in Loop: Header=BB196_510 Depth=1
	v_mov_b32_e32 v17, 0x7f800001
	v_and_b32_e32 v13, 0x7f, v66
	v_mov_b32_e32 v18, 0
	s_mov_b32 s16, exec_lo
	v_cmpx_ne_u32_e32 0x7f, v13
	s_cbranch_execz .LBB196_618
; %bb.615:                              ;   in Loop: Header=BB196_510 Depth=1
	v_and_b32_e32 v5, 7, v66
	v_lshrrev_b32_e32 v11, 3, v13
	s_mov_b32 s17, exec_lo
	v_cmpx_gt_u32_e32 8, v13
; %bb.616:                              ;   in Loop: Header=BB196_510 Depth=1
	v_ffbh_u32_e32 v11, v5
	v_min_u32_e32 v11, 32, v11
	v_subrev_nc_u32_e32 v13, 28, v11
	v_sub_nc_u32_e32 v11, 29, v11
	v_lshlrev_b64 v[17:18], v13, v[5:6]
	v_and_b32_e32 v5, 7, v17
; %bb.617:                              ;   in Loop: Header=BB196_510 Depth=1
	s_or_b32 exec_lo, exec_lo, s17
	v_lshlrev_b32_e32 v13, 24, v66
	v_lshlrev_b32_e32 v5, 20, v5
	v_lshl_add_u32 v11, v11, 23, 0x3c000000
	v_and_b32_e32 v13, 0x80000000, v13
	v_or3_b32 v5, v5, v13, v11
	v_mov_b32_e32 v18, v6
	v_mov_b32_e32 v17, v5
.LBB196_618:                            ;   in Loop: Header=BB196_510 Depth=1
	s_or_b32 exec_lo, exec_lo, s16
.LBB196_619:                            ;   in Loop: Header=BB196_510 Depth=1
	s_or_b32 exec_lo, exec_lo, s15
.LBB196_620:                            ;   in Loop: Header=BB196_510 Depth=1
	s_or_b32 exec_lo, exec_lo, s14
	v_cmp_ne_u16_sdwa s0, v66, v6 src0_sel:BYTE_1 src1_sel:DWORD
	s_and_saveexec_b32 s14, s0
	s_cbranch_execz .LBB196_628
; %bb.621:                              ;   in Loop: Header=BB196_510 Depth=1
	v_mov_b32_e32 v11, v6
	v_mov_b32_e32 v20, v12
	v_cmp_ne_u16_sdwa s0, v66, v45 src0_sel:BYTE_1 src1_sel:DWORD
	v_mov_b32_e32 v19, v11
	s_and_saveexec_b32 s15, s0
	s_cbranch_execz .LBB196_627
; %bb.622:                              ;   in Loop: Header=BB196_510 Depth=1
	v_and_b32_sdwa v5, v46, v66 dst_sel:DWORD dst_unused:UNUSED_PAD src0_sel:DWORD src1_sel:BYTE_1
	v_mov_b32_e32 v13, v6
	v_mov_b32_e32 v20, v14
	s_mov_b32 s16, exec_lo
	v_and_b32_e32 v21, 0x7f, v5
	v_mov_b32_e32 v19, v13
	v_cmpx_ne_u32_e32 0x7f, v21
	s_cbranch_execz .LBB196_626
; %bb.623:                              ;   in Loop: Header=BB196_510 Depth=1
	v_and_b32_e32 v5, 7, v5
	v_lshrrev_b32_e32 v11, 3, v21
	s_mov_b32 s17, exec_lo
	v_cmpx_gt_u32_e32 8, v21
; %bb.624:                              ;   in Loop: Header=BB196_510 Depth=1
	v_ffbh_u32_e32 v11, v5
	v_min_u32_e32 v11, 32, v11
	v_subrev_nc_u32_e32 v13, 28, v11
	v_sub_nc_u32_e32 v11, 29, v11
	v_lshlrev_b64 v[19:20], v13, v[5:6]
	v_and_b32_e32 v5, 7, v19
; %bb.625:                              ;   in Loop: Header=BB196_510 Depth=1
	s_or_b32 exec_lo, exec_lo, s17
	v_lshlrev_b32_e32 v13, 16, v66
	v_lshlrev_b32_e32 v5, 20, v5
	v_lshl_add_u32 v11, v11, 23, 0x3c000000
	v_mov_b32_e32 v19, v6
	v_and_b32_e32 v13, 0x80000000, v13
	v_or3_b32 v20, v5, v13, v11
.LBB196_626:                            ;   in Loop: Header=BB196_510 Depth=1
	s_or_b32 exec_lo, exec_lo, s16
.LBB196_627:                            ;   in Loop: Header=BB196_510 Depth=1
	s_or_b32 exec_lo, exec_lo, s15
.LBB196_628:                            ;   in Loop: Header=BB196_510 Depth=1
	s_or_b32 exec_lo, exec_lo, s14
	v_mov_b32_e32 v23, 0
	v_mov_b32_e32 v21, 0
	v_and_b32_sdwa v5, v66, v47 dst_sel:DWORD dst_unused:UNUSED_PAD src0_sel:WORD_1 src1_sel:DWORD
	v_mov_b32_e32 v24, 0
	v_mov_b32_e32 v22, 0
	s_mov_b32 s14, exec_lo
	v_cmpx_ne_u16_e32 0, v5
	s_cbranch_execz .LBB196_636
; %bb.629:                              ;   in Loop: Header=BB196_510 Depth=1
	v_bfrev_b32_e32 v21, 1
	v_mov_b32_e32 v22, 0
	s_mov_b32 s15, exec_lo
	v_cmpx_ne_u16_e32 0x80, v5
	s_cbranch_execz .LBB196_635
; %bb.630:                              ;   in Loop: Header=BB196_510 Depth=1
	v_mov_b32_e32 v21, 0x7f800001
	v_bfe_u32 v13, v66, 16, 7
	v_mov_b32_e32 v22, 0
	s_mov_b32 s16, exec_lo
	v_cmpx_ne_u32_e32 0x7f, v13
	s_cbranch_execz .LBB196_634
; %bb.631:                              ;   in Loop: Header=BB196_510 Depth=1
	v_and_b32_sdwa v5, v66, v48 dst_sel:DWORD dst_unused:UNUSED_PAD src0_sel:WORD_1 src1_sel:DWORD
	v_lshrrev_b32_e32 v11, 3, v13
	s_mov_b32 s17, exec_lo
	v_cmpx_gt_u32_e32 8, v13
; %bb.632:                              ;   in Loop: Header=BB196_510 Depth=1
	v_ffbh_u32_e32 v11, v5
	v_min_u32_e32 v11, 32, v11
	v_subrev_nc_u32_e32 v13, 28, v11
	v_sub_nc_u32_e32 v11, 29, v11
	v_lshlrev_b64 v[21:22], v13, v[5:6]
	v_and_b32_e32 v5, 7, v21
; %bb.633:                              ;   in Loop: Header=BB196_510 Depth=1
	s_or_b32 exec_lo, exec_lo, s17
	v_lshlrev_b32_sdwa v13, v49, v66 dst_sel:DWORD dst_unused:UNUSED_PAD src0_sel:DWORD src1_sel:WORD_1
	v_lshlrev_b32_e32 v5, 20, v5
	v_lshl_add_u32 v11, v11, 23, 0x3c000000
	v_and_b32_e32 v13, 0x80000000, v13
	v_or3_b32 v5, v5, v13, v11
	v_mov_b32_e32 v22, v6
	v_mov_b32_e32 v21, v5
.LBB196_634:                            ;   in Loop: Header=BB196_510 Depth=1
	s_or_b32 exec_lo, exec_lo, s16
.LBB196_635:                            ;   in Loop: Header=BB196_510 Depth=1
	s_or_b32 exec_lo, exec_lo, s15
.LBB196_636:                            ;   in Loop: Header=BB196_510 Depth=1
	s_or_b32 exec_lo, exec_lo, s14
	s_mov_b32 s14, exec_lo
	v_cmpx_lt_u32_e32 0xffffff, v66
	s_cbranch_execz .LBB196_644
; %bb.637:                              ;   in Loop: Header=BB196_510 Depth=1
	v_mov_b32_e32 v11, v6
	v_mov_b32_e32 v24, v12
	v_cmp_ne_u32_sdwa s0, v66, v45 src0_sel:BYTE_3 src1_sel:DWORD
	v_mov_b32_e32 v23, v11
	s_and_saveexec_b32 s15, s0
	s_cbranch_execz .LBB196_643
; %bb.638:                              ;   in Loop: Header=BB196_510 Depth=1
	v_mov_b32_e32 v13, v6
	v_mov_b32_e32 v24, v14
	v_bfe_u32 v67, v66, 24, 7
	s_mov_b32 s16, exec_lo
	v_mov_b32_e32 v23, v13
	v_cmpx_ne_u32_e32 0x7f, v67
	s_cbranch_execz .LBB196_642
; %bb.639:                              ;   in Loop: Header=BB196_510 Depth=1
	v_and_b32_sdwa v5, v66, v48 dst_sel:DWORD dst_unused:UNUSED_PAD src0_sel:BYTE_3 src1_sel:DWORD
	v_lshrrev_b32_e32 v11, 3, v67
	s_mov_b32 s17, exec_lo
	v_cmpx_gt_u32_e32 8, v67
; %bb.640:                              ;   in Loop: Header=BB196_510 Depth=1
	v_ffbh_u32_e32 v11, v5
	v_min_u32_e32 v11, 32, v11
	v_subrev_nc_u32_e32 v13, 28, v11
	v_sub_nc_u32_e32 v11, 29, v11
	v_lshlrev_b64 v[23:24], v13, v[5:6]
	v_and_b32_e32 v5, 7, v23
; %bb.641:                              ;   in Loop: Header=BB196_510 Depth=1
	s_or_b32 exec_lo, exec_lo, s17
	v_lshlrev_b32_sdwa v13, v49, v66 dst_sel:DWORD dst_unused:UNUSED_PAD src0_sel:DWORD src1_sel:BYTE_3
	v_lshlrev_b32_e32 v5, 20, v5
	v_lshl_add_u32 v11, v11, 23, 0x3c000000
	v_mov_b32_e32 v23, v6
	v_and_b32_e32 v13, 0x80000000, v13
	v_or3_b32 v24, v5, v13, v11
.LBB196_642:                            ;   in Loop: Header=BB196_510 Depth=1
	s_or_b32 exec_lo, exec_lo, s16
.LBB196_643:                            ;   in Loop: Header=BB196_510 Depth=1
	s_or_b32 exec_lo, exec_lo, s15
.LBB196_644:                            ;   in Loop: Header=BB196_510 Depth=1
	s_or_b32 exec_lo, exec_lo, s14
	v_or_b32_e32 v5, v20, v18
	v_or_b32_e32 v11, v19, v17
	;; [unrolled: 1-line block ×4, first 2 shown]
	v_mul_f32_e32 v68, s13, v5
	v_mul_f32_e32 v69, s2, v11
	;; [unrolled: 1-line block ×4, first 2 shown]
	s_and_saveexec_b32 s14, vcc_lo
	s_cbranch_execz .LBB196_646
; %bb.645:                              ;   in Loop: Header=BB196_510 Depth=1
	v_cmp_gt_i32_e64 s0, s11, v55
	v_cndmask_b32_e64 v69, 0, v69, s0
	v_cmp_gt_i32_e64 s0, s11, v57
	v_cndmask_b32_e64 v68, 0, v68, s0
	v_cmp_gt_i32_e64 s0, s11, v56
	v_cndmask_b32_e64 v67, 0, v67, s0
	v_cmp_gt_i32_e64 s0, s11, v43
	v_cndmask_b32_e64 v66, 0, v66, s0
.LBB196_646:                            ;   in Loop: Header=BB196_510 Depth=1
	s_or_b32 exec_lo, exec_lo, s14
	global_load_dword v70, v[15:16], off offset:512
	v_mov_b32_e32 v19, 0
	v_mov_b32_e32 v17, 0
	;; [unrolled: 1-line block ×4, first 2 shown]
	s_waitcnt vmcnt(0)
	v_cmp_ne_u16_sdwa s0, v70, v6 src0_sel:BYTE_0 src1_sel:DWORD
	s_and_saveexec_b32 s14, s0
	s_cbranch_execz .LBB196_654
; %bb.647:                              ;   in Loop: Header=BB196_510 Depth=1
	v_bfrev_b32_e32 v17, 1
	v_mov_b32_e32 v18, 0
	v_cmp_ne_u16_sdwa s0, v70, v45 src0_sel:BYTE_0 src1_sel:DWORD
	s_and_saveexec_b32 s15, s0
	s_cbranch_execz .LBB196_653
; %bb.648:                              ;   in Loop: Header=BB196_510 Depth=1
	v_mov_b32_e32 v17, 0x7f800001
	v_and_b32_e32 v13, 0x7f, v70
	v_mov_b32_e32 v18, 0
	s_mov_b32 s16, exec_lo
	v_cmpx_ne_u32_e32 0x7f, v13
	s_cbranch_execz .LBB196_652
; %bb.649:                              ;   in Loop: Header=BB196_510 Depth=1
	v_and_b32_e32 v5, 7, v70
	v_lshrrev_b32_e32 v11, 3, v13
	s_mov_b32 s17, exec_lo
	v_cmpx_gt_u32_e32 8, v13
; %bb.650:                              ;   in Loop: Header=BB196_510 Depth=1
	v_ffbh_u32_e32 v11, v5
	v_min_u32_e32 v11, 32, v11
	v_subrev_nc_u32_e32 v13, 28, v11
	v_sub_nc_u32_e32 v11, 29, v11
	v_lshlrev_b64 v[17:18], v13, v[5:6]
	v_and_b32_e32 v5, 7, v17
; %bb.651:                              ;   in Loop: Header=BB196_510 Depth=1
	s_or_b32 exec_lo, exec_lo, s17
	v_lshlrev_b32_e32 v13, 24, v70
	v_lshlrev_b32_e32 v5, 20, v5
	v_lshl_add_u32 v11, v11, 23, 0x3c000000
	v_and_b32_e32 v13, 0x80000000, v13
	v_or3_b32 v5, v5, v13, v11
	v_mov_b32_e32 v18, v6
	v_mov_b32_e32 v17, v5
.LBB196_652:                            ;   in Loop: Header=BB196_510 Depth=1
	s_or_b32 exec_lo, exec_lo, s16
.LBB196_653:                            ;   in Loop: Header=BB196_510 Depth=1
	s_or_b32 exec_lo, exec_lo, s15
.LBB196_654:                            ;   in Loop: Header=BB196_510 Depth=1
	s_or_b32 exec_lo, exec_lo, s14
	v_cmp_ne_u16_sdwa s0, v70, v6 src0_sel:BYTE_1 src1_sel:DWORD
	s_and_saveexec_b32 s14, s0
	s_cbranch_execz .LBB196_662
; %bb.655:                              ;   in Loop: Header=BB196_510 Depth=1
	v_mov_b32_e32 v11, v6
	v_mov_b32_e32 v20, v12
	v_cmp_ne_u16_sdwa s0, v70, v45 src0_sel:BYTE_1 src1_sel:DWORD
	v_mov_b32_e32 v19, v11
	s_and_saveexec_b32 s15, s0
	s_cbranch_execz .LBB196_661
; %bb.656:                              ;   in Loop: Header=BB196_510 Depth=1
	v_and_b32_sdwa v5, v46, v70 dst_sel:DWORD dst_unused:UNUSED_PAD src0_sel:DWORD src1_sel:BYTE_1
	v_mov_b32_e32 v13, v6
	v_mov_b32_e32 v20, v14
	s_mov_b32 s16, exec_lo
	v_and_b32_e32 v21, 0x7f, v5
	v_mov_b32_e32 v19, v13
	v_cmpx_ne_u32_e32 0x7f, v21
	s_cbranch_execz .LBB196_660
; %bb.657:                              ;   in Loop: Header=BB196_510 Depth=1
	v_and_b32_e32 v5, 7, v5
	v_lshrrev_b32_e32 v11, 3, v21
	s_mov_b32 s17, exec_lo
	v_cmpx_gt_u32_e32 8, v21
; %bb.658:                              ;   in Loop: Header=BB196_510 Depth=1
	v_ffbh_u32_e32 v11, v5
	v_min_u32_e32 v11, 32, v11
	v_subrev_nc_u32_e32 v13, 28, v11
	v_sub_nc_u32_e32 v11, 29, v11
	v_lshlrev_b64 v[19:20], v13, v[5:6]
	v_and_b32_e32 v5, 7, v19
; %bb.659:                              ;   in Loop: Header=BB196_510 Depth=1
	s_or_b32 exec_lo, exec_lo, s17
	v_lshlrev_b32_e32 v13, 16, v70
	v_lshlrev_b32_e32 v5, 20, v5
	v_lshl_add_u32 v11, v11, 23, 0x3c000000
	v_mov_b32_e32 v19, v6
	v_and_b32_e32 v13, 0x80000000, v13
	v_or3_b32 v20, v5, v13, v11
.LBB196_660:                            ;   in Loop: Header=BB196_510 Depth=1
	s_or_b32 exec_lo, exec_lo, s16
.LBB196_661:                            ;   in Loop: Header=BB196_510 Depth=1
	s_or_b32 exec_lo, exec_lo, s15
.LBB196_662:                            ;   in Loop: Header=BB196_510 Depth=1
	s_or_b32 exec_lo, exec_lo, s14
	v_mov_b32_e32 v23, 0
	v_mov_b32_e32 v21, 0
	v_and_b32_sdwa v5, v70, v47 dst_sel:DWORD dst_unused:UNUSED_PAD src0_sel:WORD_1 src1_sel:DWORD
	v_mov_b32_e32 v24, 0
	v_mov_b32_e32 v22, 0
	s_mov_b32 s14, exec_lo
	v_cmpx_ne_u16_e32 0, v5
	s_cbranch_execz .LBB196_670
; %bb.663:                              ;   in Loop: Header=BB196_510 Depth=1
	v_bfrev_b32_e32 v21, 1
	v_mov_b32_e32 v22, 0
	s_mov_b32 s15, exec_lo
	v_cmpx_ne_u16_e32 0x80, v5
	s_cbranch_execz .LBB196_669
; %bb.664:                              ;   in Loop: Header=BB196_510 Depth=1
	v_mov_b32_e32 v21, 0x7f800001
	v_bfe_u32 v13, v70, 16, 7
	v_mov_b32_e32 v22, 0
	s_mov_b32 s16, exec_lo
	v_cmpx_ne_u32_e32 0x7f, v13
	s_cbranch_execz .LBB196_668
; %bb.665:                              ;   in Loop: Header=BB196_510 Depth=1
	v_and_b32_sdwa v5, v70, v48 dst_sel:DWORD dst_unused:UNUSED_PAD src0_sel:WORD_1 src1_sel:DWORD
	v_lshrrev_b32_e32 v11, 3, v13
	s_mov_b32 s17, exec_lo
	v_cmpx_gt_u32_e32 8, v13
; %bb.666:                              ;   in Loop: Header=BB196_510 Depth=1
	v_ffbh_u32_e32 v11, v5
	v_min_u32_e32 v11, 32, v11
	v_subrev_nc_u32_e32 v13, 28, v11
	v_sub_nc_u32_e32 v11, 29, v11
	v_lshlrev_b64 v[21:22], v13, v[5:6]
	v_and_b32_e32 v5, 7, v21
; %bb.667:                              ;   in Loop: Header=BB196_510 Depth=1
	s_or_b32 exec_lo, exec_lo, s17
	v_lshlrev_b32_sdwa v13, v49, v70 dst_sel:DWORD dst_unused:UNUSED_PAD src0_sel:DWORD src1_sel:WORD_1
	v_lshlrev_b32_e32 v5, 20, v5
	v_lshl_add_u32 v11, v11, 23, 0x3c000000
	v_and_b32_e32 v13, 0x80000000, v13
	v_or3_b32 v5, v5, v13, v11
	v_mov_b32_e32 v22, v6
	v_mov_b32_e32 v21, v5
.LBB196_668:                            ;   in Loop: Header=BB196_510 Depth=1
	s_or_b32 exec_lo, exec_lo, s16
.LBB196_669:                            ;   in Loop: Header=BB196_510 Depth=1
	s_or_b32 exec_lo, exec_lo, s15
.LBB196_670:                            ;   in Loop: Header=BB196_510 Depth=1
	s_or_b32 exec_lo, exec_lo, s14
	s_mov_b32 s14, exec_lo
	v_cmpx_lt_u32_e32 0xffffff, v70
	s_cbranch_execz .LBB196_678
; %bb.671:                              ;   in Loop: Header=BB196_510 Depth=1
	v_mov_b32_e32 v11, v6
	v_mov_b32_e32 v24, v12
	v_cmp_ne_u32_sdwa s0, v70, v45 src0_sel:BYTE_3 src1_sel:DWORD
	v_mov_b32_e32 v23, v11
	s_and_saveexec_b32 s15, s0
	s_cbranch_execz .LBB196_677
; %bb.672:                              ;   in Loop: Header=BB196_510 Depth=1
	v_mov_b32_e32 v13, v6
	v_mov_b32_e32 v24, v14
	v_bfe_u32 v71, v70, 24, 7
	s_mov_b32 s16, exec_lo
	v_mov_b32_e32 v23, v13
	v_cmpx_ne_u32_e32 0x7f, v71
	s_cbranch_execz .LBB196_676
; %bb.673:                              ;   in Loop: Header=BB196_510 Depth=1
	v_and_b32_sdwa v5, v70, v48 dst_sel:DWORD dst_unused:UNUSED_PAD src0_sel:BYTE_3 src1_sel:DWORD
	v_lshrrev_b32_e32 v11, 3, v71
	s_mov_b32 s17, exec_lo
	v_cmpx_gt_u32_e32 8, v71
; %bb.674:                              ;   in Loop: Header=BB196_510 Depth=1
	v_ffbh_u32_e32 v11, v5
	v_min_u32_e32 v11, 32, v11
	v_subrev_nc_u32_e32 v13, 28, v11
	v_sub_nc_u32_e32 v11, 29, v11
	v_lshlrev_b64 v[23:24], v13, v[5:6]
	v_and_b32_e32 v5, 7, v23
; %bb.675:                              ;   in Loop: Header=BB196_510 Depth=1
	s_or_b32 exec_lo, exec_lo, s17
	v_lshlrev_b32_sdwa v13, v49, v70 dst_sel:DWORD dst_unused:UNUSED_PAD src0_sel:DWORD src1_sel:BYTE_3
	v_lshlrev_b32_e32 v5, 20, v5
	v_lshl_add_u32 v11, v11, 23, 0x3c000000
	v_mov_b32_e32 v23, v6
	v_and_b32_e32 v13, 0x80000000, v13
	v_or3_b32 v24, v5, v13, v11
.LBB196_676:                            ;   in Loop: Header=BB196_510 Depth=1
	s_or_b32 exec_lo, exec_lo, s16
.LBB196_677:                            ;   in Loop: Header=BB196_510 Depth=1
	s_or_b32 exec_lo, exec_lo, s15
.LBB196_678:                            ;   in Loop: Header=BB196_510 Depth=1
	s_or_b32 exec_lo, exec_lo, s14
	v_or_b32_e32 v5, v20, v18
	v_or_b32_e32 v11, v19, v17
	v_or_b32_e32 v13, v23, v21
	v_or_b32_e32 v17, v24, v22
	v_mul_f32_e32 v72, s13, v5
	v_mul_f32_e32 v73, s2, v11
	;; [unrolled: 1-line block ×4, first 2 shown]
	s_and_saveexec_b32 s14, vcc_lo
	s_cbranch_execz .LBB196_680
; %bb.679:                              ;   in Loop: Header=BB196_510 Depth=1
	v_cmp_gt_i32_e64 s0, s11, v55
	v_cndmask_b32_e64 v73, 0, v73, s0
	v_cmp_gt_i32_e64 s0, s11, v57
	v_cndmask_b32_e64 v72, 0, v72, s0
	v_cmp_gt_i32_e64 s0, s11, v56
	v_cndmask_b32_e64 v71, 0, v71, s0
	v_cmp_gt_i32_e64 s0, s11, v43
	v_cndmask_b32_e64 v70, 0, v70, s0
.LBB196_680:                            ;   in Loop: Header=BB196_510 Depth=1
	s_or_b32 exec_lo, exec_lo, s14
	global_load_dword v74, v[15:16], off offset:640
	v_mov_b32_e32 v19, 0
	v_mov_b32_e32 v17, 0
	;; [unrolled: 1-line block ×4, first 2 shown]
	s_waitcnt vmcnt(0)
	v_cmp_ne_u16_sdwa s0, v74, v6 src0_sel:BYTE_0 src1_sel:DWORD
	s_and_saveexec_b32 s14, s0
	s_cbranch_execz .LBB196_688
; %bb.681:                              ;   in Loop: Header=BB196_510 Depth=1
	v_bfrev_b32_e32 v17, 1
	v_mov_b32_e32 v18, 0
	v_cmp_ne_u16_sdwa s0, v74, v45 src0_sel:BYTE_0 src1_sel:DWORD
	s_and_saveexec_b32 s15, s0
	s_cbranch_execz .LBB196_687
; %bb.682:                              ;   in Loop: Header=BB196_510 Depth=1
	v_mov_b32_e32 v17, 0x7f800001
	v_and_b32_e32 v13, 0x7f, v74
	v_mov_b32_e32 v18, 0
	s_mov_b32 s16, exec_lo
	v_cmpx_ne_u32_e32 0x7f, v13
	s_cbranch_execz .LBB196_686
; %bb.683:                              ;   in Loop: Header=BB196_510 Depth=1
	v_and_b32_e32 v5, 7, v74
	v_lshrrev_b32_e32 v11, 3, v13
	s_mov_b32 s17, exec_lo
	v_cmpx_gt_u32_e32 8, v13
; %bb.684:                              ;   in Loop: Header=BB196_510 Depth=1
	v_ffbh_u32_e32 v11, v5
	v_min_u32_e32 v11, 32, v11
	v_subrev_nc_u32_e32 v13, 28, v11
	v_sub_nc_u32_e32 v11, 29, v11
	v_lshlrev_b64 v[17:18], v13, v[5:6]
	v_and_b32_e32 v5, 7, v17
; %bb.685:                              ;   in Loop: Header=BB196_510 Depth=1
	s_or_b32 exec_lo, exec_lo, s17
	v_lshlrev_b32_e32 v13, 24, v74
	v_lshlrev_b32_e32 v5, 20, v5
	v_lshl_add_u32 v11, v11, 23, 0x3c000000
	v_and_b32_e32 v13, 0x80000000, v13
	v_or3_b32 v5, v5, v13, v11
	v_mov_b32_e32 v18, v6
	v_mov_b32_e32 v17, v5
.LBB196_686:                            ;   in Loop: Header=BB196_510 Depth=1
	s_or_b32 exec_lo, exec_lo, s16
.LBB196_687:                            ;   in Loop: Header=BB196_510 Depth=1
	s_or_b32 exec_lo, exec_lo, s15
.LBB196_688:                            ;   in Loop: Header=BB196_510 Depth=1
	s_or_b32 exec_lo, exec_lo, s14
	v_cmp_ne_u16_sdwa s0, v74, v6 src0_sel:BYTE_1 src1_sel:DWORD
	s_and_saveexec_b32 s14, s0
	s_cbranch_execz .LBB196_696
; %bb.689:                              ;   in Loop: Header=BB196_510 Depth=1
	v_mov_b32_e32 v11, v6
	v_mov_b32_e32 v20, v12
	v_cmp_ne_u16_sdwa s0, v74, v45 src0_sel:BYTE_1 src1_sel:DWORD
	v_mov_b32_e32 v19, v11
	s_and_saveexec_b32 s15, s0
	s_cbranch_execz .LBB196_695
; %bb.690:                              ;   in Loop: Header=BB196_510 Depth=1
	v_and_b32_sdwa v5, v46, v74 dst_sel:DWORD dst_unused:UNUSED_PAD src0_sel:DWORD src1_sel:BYTE_1
	v_mov_b32_e32 v13, v6
	v_mov_b32_e32 v20, v14
	s_mov_b32 s16, exec_lo
	v_and_b32_e32 v21, 0x7f, v5
	v_mov_b32_e32 v19, v13
	v_cmpx_ne_u32_e32 0x7f, v21
	s_cbranch_execz .LBB196_694
; %bb.691:                              ;   in Loop: Header=BB196_510 Depth=1
	v_and_b32_e32 v5, 7, v5
	v_lshrrev_b32_e32 v11, 3, v21
	s_mov_b32 s17, exec_lo
	v_cmpx_gt_u32_e32 8, v21
; %bb.692:                              ;   in Loop: Header=BB196_510 Depth=1
	v_ffbh_u32_e32 v11, v5
	v_min_u32_e32 v11, 32, v11
	v_subrev_nc_u32_e32 v13, 28, v11
	v_sub_nc_u32_e32 v11, 29, v11
	v_lshlrev_b64 v[19:20], v13, v[5:6]
	v_and_b32_e32 v5, 7, v19
; %bb.693:                              ;   in Loop: Header=BB196_510 Depth=1
	s_or_b32 exec_lo, exec_lo, s17
	v_lshlrev_b32_e32 v13, 16, v74
	v_lshlrev_b32_e32 v5, 20, v5
	v_lshl_add_u32 v11, v11, 23, 0x3c000000
	v_mov_b32_e32 v19, v6
	v_and_b32_e32 v13, 0x80000000, v13
	v_or3_b32 v20, v5, v13, v11
.LBB196_694:                            ;   in Loop: Header=BB196_510 Depth=1
	s_or_b32 exec_lo, exec_lo, s16
.LBB196_695:                            ;   in Loop: Header=BB196_510 Depth=1
	s_or_b32 exec_lo, exec_lo, s15
.LBB196_696:                            ;   in Loop: Header=BB196_510 Depth=1
	s_or_b32 exec_lo, exec_lo, s14
	v_mov_b32_e32 v23, 0
	v_mov_b32_e32 v21, 0
	v_and_b32_sdwa v5, v74, v47 dst_sel:DWORD dst_unused:UNUSED_PAD src0_sel:WORD_1 src1_sel:DWORD
	v_mov_b32_e32 v24, 0
	v_mov_b32_e32 v22, 0
	s_mov_b32 s14, exec_lo
	v_cmpx_ne_u16_e32 0, v5
	s_cbranch_execz .LBB196_704
; %bb.697:                              ;   in Loop: Header=BB196_510 Depth=1
	v_bfrev_b32_e32 v21, 1
	v_mov_b32_e32 v22, 0
	s_mov_b32 s15, exec_lo
	v_cmpx_ne_u16_e32 0x80, v5
	s_cbranch_execz .LBB196_703
; %bb.698:                              ;   in Loop: Header=BB196_510 Depth=1
	v_mov_b32_e32 v21, 0x7f800001
	v_bfe_u32 v13, v74, 16, 7
	v_mov_b32_e32 v22, 0
	s_mov_b32 s16, exec_lo
	v_cmpx_ne_u32_e32 0x7f, v13
	s_cbranch_execz .LBB196_702
; %bb.699:                              ;   in Loop: Header=BB196_510 Depth=1
	v_and_b32_sdwa v5, v74, v48 dst_sel:DWORD dst_unused:UNUSED_PAD src0_sel:WORD_1 src1_sel:DWORD
	v_lshrrev_b32_e32 v11, 3, v13
	s_mov_b32 s17, exec_lo
	v_cmpx_gt_u32_e32 8, v13
; %bb.700:                              ;   in Loop: Header=BB196_510 Depth=1
	v_ffbh_u32_e32 v11, v5
	v_min_u32_e32 v11, 32, v11
	v_subrev_nc_u32_e32 v13, 28, v11
	v_sub_nc_u32_e32 v11, 29, v11
	v_lshlrev_b64 v[21:22], v13, v[5:6]
	v_and_b32_e32 v5, 7, v21
; %bb.701:                              ;   in Loop: Header=BB196_510 Depth=1
	s_or_b32 exec_lo, exec_lo, s17
	v_lshlrev_b32_sdwa v13, v49, v74 dst_sel:DWORD dst_unused:UNUSED_PAD src0_sel:DWORD src1_sel:WORD_1
	v_lshlrev_b32_e32 v5, 20, v5
	v_lshl_add_u32 v11, v11, 23, 0x3c000000
	v_and_b32_e32 v13, 0x80000000, v13
	v_or3_b32 v5, v5, v13, v11
	v_mov_b32_e32 v22, v6
	v_mov_b32_e32 v21, v5
.LBB196_702:                            ;   in Loop: Header=BB196_510 Depth=1
	s_or_b32 exec_lo, exec_lo, s16
.LBB196_703:                            ;   in Loop: Header=BB196_510 Depth=1
	s_or_b32 exec_lo, exec_lo, s15
.LBB196_704:                            ;   in Loop: Header=BB196_510 Depth=1
	s_or_b32 exec_lo, exec_lo, s14
	s_mov_b32 s14, exec_lo
	v_cmpx_lt_u32_e32 0xffffff, v74
	s_cbranch_execz .LBB196_712
; %bb.705:                              ;   in Loop: Header=BB196_510 Depth=1
	v_mov_b32_e32 v11, v6
	v_mov_b32_e32 v24, v12
	v_cmp_ne_u32_sdwa s0, v74, v45 src0_sel:BYTE_3 src1_sel:DWORD
	v_mov_b32_e32 v23, v11
	s_and_saveexec_b32 s15, s0
	s_cbranch_execz .LBB196_711
; %bb.706:                              ;   in Loop: Header=BB196_510 Depth=1
	v_mov_b32_e32 v13, v6
	v_mov_b32_e32 v24, v14
	v_bfe_u32 v75, v74, 24, 7
	s_mov_b32 s16, exec_lo
	v_mov_b32_e32 v23, v13
	v_cmpx_ne_u32_e32 0x7f, v75
	s_cbranch_execz .LBB196_710
; %bb.707:                              ;   in Loop: Header=BB196_510 Depth=1
	v_and_b32_sdwa v5, v74, v48 dst_sel:DWORD dst_unused:UNUSED_PAD src0_sel:BYTE_3 src1_sel:DWORD
	v_lshrrev_b32_e32 v11, 3, v75
	s_mov_b32 s17, exec_lo
	v_cmpx_gt_u32_e32 8, v75
; %bb.708:                              ;   in Loop: Header=BB196_510 Depth=1
	v_ffbh_u32_e32 v11, v5
	v_min_u32_e32 v11, 32, v11
	v_subrev_nc_u32_e32 v13, 28, v11
	v_sub_nc_u32_e32 v11, 29, v11
	v_lshlrev_b64 v[23:24], v13, v[5:6]
	v_and_b32_e32 v5, 7, v23
; %bb.709:                              ;   in Loop: Header=BB196_510 Depth=1
	s_or_b32 exec_lo, exec_lo, s17
	v_lshlrev_b32_sdwa v13, v49, v74 dst_sel:DWORD dst_unused:UNUSED_PAD src0_sel:DWORD src1_sel:BYTE_3
	v_lshlrev_b32_e32 v5, 20, v5
	v_lshl_add_u32 v11, v11, 23, 0x3c000000
	v_mov_b32_e32 v23, v6
	v_and_b32_e32 v13, 0x80000000, v13
	v_or3_b32 v24, v5, v13, v11
.LBB196_710:                            ;   in Loop: Header=BB196_510 Depth=1
	s_or_b32 exec_lo, exec_lo, s16
.LBB196_711:                            ;   in Loop: Header=BB196_510 Depth=1
	s_or_b32 exec_lo, exec_lo, s15
.LBB196_712:                            ;   in Loop: Header=BB196_510 Depth=1
	s_or_b32 exec_lo, exec_lo, s14
	v_or_b32_e32 v5, v20, v18
	v_or_b32_e32 v11, v19, v17
	;; [unrolled: 1-line block ×4, first 2 shown]
	v_mul_f32_e32 v76, s13, v5
	v_mul_f32_e32 v77, s2, v11
	;; [unrolled: 1-line block ×4, first 2 shown]
	s_and_saveexec_b32 s14, vcc_lo
	s_cbranch_execz .LBB196_714
; %bb.713:                              ;   in Loop: Header=BB196_510 Depth=1
	v_cmp_gt_i32_e64 s0, s11, v55
	v_cndmask_b32_e64 v77, 0, v77, s0
	v_cmp_gt_i32_e64 s0, s11, v57
	v_cndmask_b32_e64 v76, 0, v76, s0
	;; [unrolled: 2-line block ×4, first 2 shown]
.LBB196_714:                            ;   in Loop: Header=BB196_510 Depth=1
	s_or_b32 exec_lo, exec_lo, s14
	global_load_dword v78, v[15:16], off offset:768
	v_mov_b32_e32 v19, 0
	v_mov_b32_e32 v17, 0
	;; [unrolled: 1-line block ×4, first 2 shown]
	s_waitcnt vmcnt(0)
	v_cmp_ne_u16_sdwa s0, v78, v6 src0_sel:BYTE_0 src1_sel:DWORD
	s_and_saveexec_b32 s14, s0
	s_cbranch_execz .LBB196_722
; %bb.715:                              ;   in Loop: Header=BB196_510 Depth=1
	v_bfrev_b32_e32 v17, 1
	v_mov_b32_e32 v18, 0
	v_cmp_ne_u16_sdwa s0, v78, v45 src0_sel:BYTE_0 src1_sel:DWORD
	s_and_saveexec_b32 s15, s0
	s_cbranch_execz .LBB196_721
; %bb.716:                              ;   in Loop: Header=BB196_510 Depth=1
	v_mov_b32_e32 v17, 0x7f800001
	v_and_b32_e32 v13, 0x7f, v78
	v_mov_b32_e32 v18, 0
	s_mov_b32 s16, exec_lo
	v_cmpx_ne_u32_e32 0x7f, v13
	s_cbranch_execz .LBB196_720
; %bb.717:                              ;   in Loop: Header=BB196_510 Depth=1
	v_and_b32_e32 v5, 7, v78
	v_lshrrev_b32_e32 v11, 3, v13
	s_mov_b32 s17, exec_lo
	v_cmpx_gt_u32_e32 8, v13
; %bb.718:                              ;   in Loop: Header=BB196_510 Depth=1
	v_ffbh_u32_e32 v11, v5
	v_min_u32_e32 v11, 32, v11
	v_subrev_nc_u32_e32 v13, 28, v11
	v_sub_nc_u32_e32 v11, 29, v11
	v_lshlrev_b64 v[17:18], v13, v[5:6]
	v_and_b32_e32 v5, 7, v17
; %bb.719:                              ;   in Loop: Header=BB196_510 Depth=1
	s_or_b32 exec_lo, exec_lo, s17
	v_lshlrev_b32_e32 v13, 24, v78
	v_lshlrev_b32_e32 v5, 20, v5
	v_lshl_add_u32 v11, v11, 23, 0x3c000000
	v_and_b32_e32 v13, 0x80000000, v13
	v_or3_b32 v5, v5, v13, v11
	v_mov_b32_e32 v18, v6
	v_mov_b32_e32 v17, v5
.LBB196_720:                            ;   in Loop: Header=BB196_510 Depth=1
	s_or_b32 exec_lo, exec_lo, s16
.LBB196_721:                            ;   in Loop: Header=BB196_510 Depth=1
	s_or_b32 exec_lo, exec_lo, s15
.LBB196_722:                            ;   in Loop: Header=BB196_510 Depth=1
	s_or_b32 exec_lo, exec_lo, s14
	v_cmp_ne_u16_sdwa s0, v78, v6 src0_sel:BYTE_1 src1_sel:DWORD
	s_and_saveexec_b32 s14, s0
	s_cbranch_execz .LBB196_730
; %bb.723:                              ;   in Loop: Header=BB196_510 Depth=1
	v_mov_b32_e32 v11, v6
	v_mov_b32_e32 v20, v12
	v_cmp_ne_u16_sdwa s0, v78, v45 src0_sel:BYTE_1 src1_sel:DWORD
	v_mov_b32_e32 v19, v11
	s_and_saveexec_b32 s15, s0
	s_cbranch_execz .LBB196_729
; %bb.724:                              ;   in Loop: Header=BB196_510 Depth=1
	v_and_b32_sdwa v5, v46, v78 dst_sel:DWORD dst_unused:UNUSED_PAD src0_sel:DWORD src1_sel:BYTE_1
	v_mov_b32_e32 v13, v6
	v_mov_b32_e32 v20, v14
	s_mov_b32 s16, exec_lo
	v_and_b32_e32 v21, 0x7f, v5
	v_mov_b32_e32 v19, v13
	v_cmpx_ne_u32_e32 0x7f, v21
	s_cbranch_execz .LBB196_728
; %bb.725:                              ;   in Loop: Header=BB196_510 Depth=1
	v_and_b32_e32 v5, 7, v5
	v_lshrrev_b32_e32 v11, 3, v21
	s_mov_b32 s17, exec_lo
	v_cmpx_gt_u32_e32 8, v21
; %bb.726:                              ;   in Loop: Header=BB196_510 Depth=1
	v_ffbh_u32_e32 v11, v5
	v_min_u32_e32 v11, 32, v11
	v_subrev_nc_u32_e32 v13, 28, v11
	v_sub_nc_u32_e32 v11, 29, v11
	v_lshlrev_b64 v[19:20], v13, v[5:6]
	v_and_b32_e32 v5, 7, v19
; %bb.727:                              ;   in Loop: Header=BB196_510 Depth=1
	s_or_b32 exec_lo, exec_lo, s17
	v_lshlrev_b32_e32 v13, 16, v78
	v_lshlrev_b32_e32 v5, 20, v5
	v_lshl_add_u32 v11, v11, 23, 0x3c000000
	v_mov_b32_e32 v19, v6
	v_and_b32_e32 v13, 0x80000000, v13
	v_or3_b32 v20, v5, v13, v11
.LBB196_728:                            ;   in Loop: Header=BB196_510 Depth=1
	s_or_b32 exec_lo, exec_lo, s16
.LBB196_729:                            ;   in Loop: Header=BB196_510 Depth=1
	s_or_b32 exec_lo, exec_lo, s15
.LBB196_730:                            ;   in Loop: Header=BB196_510 Depth=1
	s_or_b32 exec_lo, exec_lo, s14
	v_mov_b32_e32 v23, 0
	v_mov_b32_e32 v21, 0
	v_and_b32_sdwa v5, v78, v47 dst_sel:DWORD dst_unused:UNUSED_PAD src0_sel:WORD_1 src1_sel:DWORD
	v_mov_b32_e32 v24, 0
	v_mov_b32_e32 v22, 0
	s_mov_b32 s14, exec_lo
	v_cmpx_ne_u16_e32 0, v5
	s_cbranch_execz .LBB196_738
; %bb.731:                              ;   in Loop: Header=BB196_510 Depth=1
	v_bfrev_b32_e32 v21, 1
	v_mov_b32_e32 v22, 0
	s_mov_b32 s15, exec_lo
	v_cmpx_ne_u16_e32 0x80, v5
	s_cbranch_execz .LBB196_737
; %bb.732:                              ;   in Loop: Header=BB196_510 Depth=1
	v_mov_b32_e32 v21, 0x7f800001
	v_bfe_u32 v13, v78, 16, 7
	v_mov_b32_e32 v22, 0
	s_mov_b32 s16, exec_lo
	v_cmpx_ne_u32_e32 0x7f, v13
	s_cbranch_execz .LBB196_736
; %bb.733:                              ;   in Loop: Header=BB196_510 Depth=1
	v_and_b32_sdwa v5, v78, v48 dst_sel:DWORD dst_unused:UNUSED_PAD src0_sel:WORD_1 src1_sel:DWORD
	v_lshrrev_b32_e32 v11, 3, v13
	s_mov_b32 s17, exec_lo
	v_cmpx_gt_u32_e32 8, v13
; %bb.734:                              ;   in Loop: Header=BB196_510 Depth=1
	v_ffbh_u32_e32 v11, v5
	v_min_u32_e32 v11, 32, v11
	v_subrev_nc_u32_e32 v13, 28, v11
	v_sub_nc_u32_e32 v11, 29, v11
	v_lshlrev_b64 v[21:22], v13, v[5:6]
	v_and_b32_e32 v5, 7, v21
; %bb.735:                              ;   in Loop: Header=BB196_510 Depth=1
	s_or_b32 exec_lo, exec_lo, s17
	v_lshlrev_b32_sdwa v13, v49, v78 dst_sel:DWORD dst_unused:UNUSED_PAD src0_sel:DWORD src1_sel:WORD_1
	v_lshlrev_b32_e32 v5, 20, v5
	v_lshl_add_u32 v11, v11, 23, 0x3c000000
	v_and_b32_e32 v13, 0x80000000, v13
	v_or3_b32 v5, v5, v13, v11
	v_mov_b32_e32 v22, v6
	v_mov_b32_e32 v21, v5
.LBB196_736:                            ;   in Loop: Header=BB196_510 Depth=1
	s_or_b32 exec_lo, exec_lo, s16
.LBB196_737:                            ;   in Loop: Header=BB196_510 Depth=1
	s_or_b32 exec_lo, exec_lo, s15
.LBB196_738:                            ;   in Loop: Header=BB196_510 Depth=1
	s_or_b32 exec_lo, exec_lo, s14
	s_mov_b32 s14, exec_lo
	v_cmpx_lt_u32_e32 0xffffff, v78
	s_cbranch_execz .LBB196_746
; %bb.739:                              ;   in Loop: Header=BB196_510 Depth=1
	v_mov_b32_e32 v11, v6
	v_mov_b32_e32 v24, v12
	v_cmp_ne_u32_sdwa s0, v78, v45 src0_sel:BYTE_3 src1_sel:DWORD
	v_mov_b32_e32 v23, v11
	s_and_saveexec_b32 s15, s0
	s_cbranch_execz .LBB196_745
; %bb.740:                              ;   in Loop: Header=BB196_510 Depth=1
	v_mov_b32_e32 v13, v6
	v_mov_b32_e32 v24, v14
	v_bfe_u32 v79, v78, 24, 7
	s_mov_b32 s16, exec_lo
	v_mov_b32_e32 v23, v13
	v_cmpx_ne_u32_e32 0x7f, v79
	s_cbranch_execz .LBB196_744
; %bb.741:                              ;   in Loop: Header=BB196_510 Depth=1
	v_and_b32_sdwa v5, v78, v48 dst_sel:DWORD dst_unused:UNUSED_PAD src0_sel:BYTE_3 src1_sel:DWORD
	v_lshrrev_b32_e32 v11, 3, v79
	s_mov_b32 s17, exec_lo
	v_cmpx_gt_u32_e32 8, v79
; %bb.742:                              ;   in Loop: Header=BB196_510 Depth=1
	v_ffbh_u32_e32 v11, v5
	v_min_u32_e32 v11, 32, v11
	v_subrev_nc_u32_e32 v13, 28, v11
	v_sub_nc_u32_e32 v11, 29, v11
	v_lshlrev_b64 v[23:24], v13, v[5:6]
	v_and_b32_e32 v5, 7, v23
; %bb.743:                              ;   in Loop: Header=BB196_510 Depth=1
	s_or_b32 exec_lo, exec_lo, s17
	v_lshlrev_b32_sdwa v13, v49, v78 dst_sel:DWORD dst_unused:UNUSED_PAD src0_sel:DWORD src1_sel:BYTE_3
	v_lshlrev_b32_e32 v5, 20, v5
	v_lshl_add_u32 v11, v11, 23, 0x3c000000
	v_mov_b32_e32 v23, v6
	v_and_b32_e32 v13, 0x80000000, v13
	v_or3_b32 v24, v5, v13, v11
.LBB196_744:                            ;   in Loop: Header=BB196_510 Depth=1
	s_or_b32 exec_lo, exec_lo, s16
.LBB196_745:                            ;   in Loop: Header=BB196_510 Depth=1
	s_or_b32 exec_lo, exec_lo, s15
.LBB196_746:                            ;   in Loop: Header=BB196_510 Depth=1
	s_or_b32 exec_lo, exec_lo, s14
	v_or_b32_e32 v5, v20, v18
	v_or_b32_e32 v11, v19, v17
	;; [unrolled: 1-line block ×4, first 2 shown]
	v_mul_f32_e32 v80, s13, v5
	v_mul_f32_e32 v81, s2, v11
	v_mul_f32_e32 v79, s2, v13
	v_mul_f32_e32 v78, s13, v17
	s_and_saveexec_b32 s14, vcc_lo
	s_cbranch_execz .LBB196_748
; %bb.747:                              ;   in Loop: Header=BB196_510 Depth=1
	v_cmp_gt_i32_e64 s0, s11, v55
	v_cndmask_b32_e64 v81, 0, v81, s0
	v_cmp_gt_i32_e64 s0, s11, v57
	v_cndmask_b32_e64 v80, 0, v80, s0
	;; [unrolled: 2-line block ×4, first 2 shown]
.LBB196_748:                            ;   in Loop: Header=BB196_510 Depth=1
	s_or_b32 exec_lo, exec_lo, s14
	global_load_dword v82, v[15:16], off offset:896
	v_mov_b32_e32 v19, 0
	v_mov_b32_e32 v17, 0
	;; [unrolled: 1-line block ×4, first 2 shown]
	s_waitcnt vmcnt(0)
	v_cmp_ne_u16_sdwa s0, v82, v6 src0_sel:BYTE_0 src1_sel:DWORD
	s_and_saveexec_b32 s14, s0
	s_cbranch_execz .LBB196_756
; %bb.749:                              ;   in Loop: Header=BB196_510 Depth=1
	v_bfrev_b32_e32 v17, 1
	v_mov_b32_e32 v18, 0
	v_cmp_ne_u16_sdwa s0, v82, v45 src0_sel:BYTE_0 src1_sel:DWORD
	s_and_saveexec_b32 s15, s0
	s_cbranch_execz .LBB196_755
; %bb.750:                              ;   in Loop: Header=BB196_510 Depth=1
	v_mov_b32_e32 v17, 0x7f800001
	v_and_b32_e32 v13, 0x7f, v82
	v_mov_b32_e32 v18, 0
	s_mov_b32 s16, exec_lo
	v_cmpx_ne_u32_e32 0x7f, v13
	s_cbranch_execz .LBB196_754
; %bb.751:                              ;   in Loop: Header=BB196_510 Depth=1
	v_and_b32_e32 v5, 7, v82
	v_lshrrev_b32_e32 v11, 3, v13
	s_mov_b32 s17, exec_lo
	v_cmpx_gt_u32_e32 8, v13
; %bb.752:                              ;   in Loop: Header=BB196_510 Depth=1
	v_ffbh_u32_e32 v11, v5
	v_min_u32_e32 v11, 32, v11
	v_subrev_nc_u32_e32 v13, 28, v11
	v_sub_nc_u32_e32 v11, 29, v11
	v_lshlrev_b64 v[17:18], v13, v[5:6]
	v_and_b32_e32 v5, 7, v17
; %bb.753:                              ;   in Loop: Header=BB196_510 Depth=1
	s_or_b32 exec_lo, exec_lo, s17
	v_lshlrev_b32_e32 v13, 24, v82
	v_lshlrev_b32_e32 v5, 20, v5
	v_lshl_add_u32 v11, v11, 23, 0x3c000000
	v_and_b32_e32 v13, 0x80000000, v13
	v_or3_b32 v5, v5, v13, v11
	v_mov_b32_e32 v18, v6
	v_mov_b32_e32 v17, v5
.LBB196_754:                            ;   in Loop: Header=BB196_510 Depth=1
	s_or_b32 exec_lo, exec_lo, s16
.LBB196_755:                            ;   in Loop: Header=BB196_510 Depth=1
	s_or_b32 exec_lo, exec_lo, s15
.LBB196_756:                            ;   in Loop: Header=BB196_510 Depth=1
	s_or_b32 exec_lo, exec_lo, s14
	v_cmp_ne_u16_sdwa s0, v82, v6 src0_sel:BYTE_1 src1_sel:DWORD
	s_and_saveexec_b32 s14, s0
	s_cbranch_execz .LBB196_764
; %bb.757:                              ;   in Loop: Header=BB196_510 Depth=1
	v_mov_b32_e32 v11, v6
	v_mov_b32_e32 v20, v12
	v_cmp_ne_u16_sdwa s0, v82, v45 src0_sel:BYTE_1 src1_sel:DWORD
	v_mov_b32_e32 v19, v11
	s_and_saveexec_b32 s15, s0
	s_cbranch_execz .LBB196_763
; %bb.758:                              ;   in Loop: Header=BB196_510 Depth=1
	v_and_b32_sdwa v5, v46, v82 dst_sel:DWORD dst_unused:UNUSED_PAD src0_sel:DWORD src1_sel:BYTE_1
	v_mov_b32_e32 v13, v6
	v_mov_b32_e32 v20, v14
	s_mov_b32 s16, exec_lo
	v_and_b32_e32 v21, 0x7f, v5
	v_mov_b32_e32 v19, v13
	v_cmpx_ne_u32_e32 0x7f, v21
	s_cbranch_execz .LBB196_762
; %bb.759:                              ;   in Loop: Header=BB196_510 Depth=1
	v_and_b32_e32 v5, 7, v5
	v_lshrrev_b32_e32 v11, 3, v21
	s_mov_b32 s17, exec_lo
	v_cmpx_gt_u32_e32 8, v21
; %bb.760:                              ;   in Loop: Header=BB196_510 Depth=1
	v_ffbh_u32_e32 v11, v5
	v_min_u32_e32 v11, 32, v11
	v_subrev_nc_u32_e32 v13, 28, v11
	v_sub_nc_u32_e32 v11, 29, v11
	v_lshlrev_b64 v[19:20], v13, v[5:6]
	v_and_b32_e32 v5, 7, v19
; %bb.761:                              ;   in Loop: Header=BB196_510 Depth=1
	s_or_b32 exec_lo, exec_lo, s17
	v_lshlrev_b32_e32 v13, 16, v82
	v_lshlrev_b32_e32 v5, 20, v5
	v_lshl_add_u32 v11, v11, 23, 0x3c000000
	v_mov_b32_e32 v19, v6
	v_and_b32_e32 v13, 0x80000000, v13
	v_or3_b32 v20, v5, v13, v11
.LBB196_762:                            ;   in Loop: Header=BB196_510 Depth=1
	s_or_b32 exec_lo, exec_lo, s16
.LBB196_763:                            ;   in Loop: Header=BB196_510 Depth=1
	s_or_b32 exec_lo, exec_lo, s15
.LBB196_764:                            ;   in Loop: Header=BB196_510 Depth=1
	s_or_b32 exec_lo, exec_lo, s14
	v_mov_b32_e32 v23, 0
	v_mov_b32_e32 v21, 0
	v_and_b32_sdwa v5, v82, v47 dst_sel:DWORD dst_unused:UNUSED_PAD src0_sel:WORD_1 src1_sel:DWORD
	v_mov_b32_e32 v24, 0
	v_mov_b32_e32 v22, 0
	s_mov_b32 s14, exec_lo
	v_cmpx_ne_u16_e32 0, v5
	s_cbranch_execz .LBB196_772
; %bb.765:                              ;   in Loop: Header=BB196_510 Depth=1
	v_bfrev_b32_e32 v21, 1
	v_mov_b32_e32 v22, 0
	s_mov_b32 s15, exec_lo
	v_cmpx_ne_u16_e32 0x80, v5
	s_cbranch_execz .LBB196_771
; %bb.766:                              ;   in Loop: Header=BB196_510 Depth=1
	v_mov_b32_e32 v21, 0x7f800001
	v_bfe_u32 v13, v82, 16, 7
	v_mov_b32_e32 v22, 0
	s_mov_b32 s16, exec_lo
	v_cmpx_ne_u32_e32 0x7f, v13
	s_cbranch_execz .LBB196_770
; %bb.767:                              ;   in Loop: Header=BB196_510 Depth=1
	v_and_b32_sdwa v5, v82, v48 dst_sel:DWORD dst_unused:UNUSED_PAD src0_sel:WORD_1 src1_sel:DWORD
	v_lshrrev_b32_e32 v11, 3, v13
	s_mov_b32 s17, exec_lo
	v_cmpx_gt_u32_e32 8, v13
; %bb.768:                              ;   in Loop: Header=BB196_510 Depth=1
	v_ffbh_u32_e32 v11, v5
	v_min_u32_e32 v11, 32, v11
	v_subrev_nc_u32_e32 v13, 28, v11
	v_sub_nc_u32_e32 v11, 29, v11
	v_lshlrev_b64 v[21:22], v13, v[5:6]
	v_and_b32_e32 v5, 7, v21
; %bb.769:                              ;   in Loop: Header=BB196_510 Depth=1
	s_or_b32 exec_lo, exec_lo, s17
	v_lshlrev_b32_sdwa v13, v49, v82 dst_sel:DWORD dst_unused:UNUSED_PAD src0_sel:DWORD src1_sel:WORD_1
	v_lshlrev_b32_e32 v5, 20, v5
	v_lshl_add_u32 v11, v11, 23, 0x3c000000
	v_and_b32_e32 v13, 0x80000000, v13
	v_or3_b32 v5, v5, v13, v11
	v_mov_b32_e32 v22, v6
	v_mov_b32_e32 v21, v5
.LBB196_770:                            ;   in Loop: Header=BB196_510 Depth=1
	s_or_b32 exec_lo, exec_lo, s16
.LBB196_771:                            ;   in Loop: Header=BB196_510 Depth=1
	s_or_b32 exec_lo, exec_lo, s15
.LBB196_772:                            ;   in Loop: Header=BB196_510 Depth=1
	s_or_b32 exec_lo, exec_lo, s14
	s_mov_b32 s14, exec_lo
	v_cmpx_lt_u32_e32 0xffffff, v82
	s_cbranch_execz .LBB196_780
; %bb.773:                              ;   in Loop: Header=BB196_510 Depth=1
	v_mov_b32_e32 v11, v6
	v_mov_b32_e32 v24, v12
	v_cmp_ne_u32_sdwa s0, v82, v45 src0_sel:BYTE_3 src1_sel:DWORD
	v_mov_b32_e32 v23, v11
	s_and_saveexec_b32 s15, s0
	s_cbranch_execz .LBB196_779
; %bb.774:                              ;   in Loop: Header=BB196_510 Depth=1
	v_mov_b32_e32 v13, v6
	v_mov_b32_e32 v24, v14
	v_bfe_u32 v83, v82, 24, 7
	s_mov_b32 s16, exec_lo
	v_mov_b32_e32 v23, v13
	v_cmpx_ne_u32_e32 0x7f, v83
	s_cbranch_execz .LBB196_778
; %bb.775:                              ;   in Loop: Header=BB196_510 Depth=1
	v_and_b32_sdwa v5, v82, v48 dst_sel:DWORD dst_unused:UNUSED_PAD src0_sel:BYTE_3 src1_sel:DWORD
	v_lshrrev_b32_e32 v11, 3, v83
	s_mov_b32 s17, exec_lo
	v_cmpx_gt_u32_e32 8, v83
; %bb.776:                              ;   in Loop: Header=BB196_510 Depth=1
	v_ffbh_u32_e32 v11, v5
	v_min_u32_e32 v11, 32, v11
	v_subrev_nc_u32_e32 v13, 28, v11
	v_sub_nc_u32_e32 v11, 29, v11
	v_lshlrev_b64 v[23:24], v13, v[5:6]
	v_and_b32_e32 v5, 7, v23
; %bb.777:                              ;   in Loop: Header=BB196_510 Depth=1
	s_or_b32 exec_lo, exec_lo, s17
	v_lshlrev_b32_sdwa v13, v49, v82 dst_sel:DWORD dst_unused:UNUSED_PAD src0_sel:DWORD src1_sel:BYTE_3
	v_lshlrev_b32_e32 v5, 20, v5
	v_lshl_add_u32 v11, v11, 23, 0x3c000000
	v_mov_b32_e32 v23, v6
	v_and_b32_e32 v13, 0x80000000, v13
	v_or3_b32 v24, v5, v13, v11
.LBB196_778:                            ;   in Loop: Header=BB196_510 Depth=1
	s_or_b32 exec_lo, exec_lo, s16
.LBB196_779:                            ;   in Loop: Header=BB196_510 Depth=1
	s_or_b32 exec_lo, exec_lo, s15
.LBB196_780:                            ;   in Loop: Header=BB196_510 Depth=1
	s_or_b32 exec_lo, exec_lo, s14
	v_or_b32_e32 v5, v20, v18
	v_or_b32_e32 v11, v19, v17
	;; [unrolled: 1-line block ×4, first 2 shown]
	v_mul_f32_e32 v84, s13, v5
	v_mul_f32_e32 v85, s2, v11
	;; [unrolled: 1-line block ×4, first 2 shown]
	s_and_saveexec_b32 s14, vcc_lo
	s_cbranch_execz .LBB196_782
; %bb.781:                              ;   in Loop: Header=BB196_510 Depth=1
	v_cmp_gt_i32_e64 s0, s11, v55
	v_cndmask_b32_e64 v85, 0, v85, s0
	v_cmp_gt_i32_e64 s0, s11, v57
	v_cndmask_b32_e64 v84, 0, v84, s0
	;; [unrolled: 2-line block ×4, first 2 shown]
.LBB196_782:                            ;   in Loop: Header=BB196_510 Depth=1
	s_or_b32 exec_lo, exec_lo, s14
	global_load_dword v86, v[15:16], off offset:1024
	v_mov_b32_e32 v19, 0
	v_mov_b32_e32 v17, 0
	;; [unrolled: 1-line block ×4, first 2 shown]
	s_waitcnt vmcnt(0)
	v_cmp_ne_u16_sdwa s0, v86, v6 src0_sel:BYTE_0 src1_sel:DWORD
	s_and_saveexec_b32 s14, s0
	s_cbranch_execz .LBB196_790
; %bb.783:                              ;   in Loop: Header=BB196_510 Depth=1
	v_bfrev_b32_e32 v17, 1
	v_mov_b32_e32 v18, 0
	v_cmp_ne_u16_sdwa s0, v86, v45 src0_sel:BYTE_0 src1_sel:DWORD
	s_and_saveexec_b32 s15, s0
	s_cbranch_execz .LBB196_789
; %bb.784:                              ;   in Loop: Header=BB196_510 Depth=1
	v_mov_b32_e32 v17, 0x7f800001
	v_and_b32_e32 v13, 0x7f, v86
	v_mov_b32_e32 v18, 0
	s_mov_b32 s16, exec_lo
	v_cmpx_ne_u32_e32 0x7f, v13
	s_cbranch_execz .LBB196_788
; %bb.785:                              ;   in Loop: Header=BB196_510 Depth=1
	v_and_b32_e32 v5, 7, v86
	v_lshrrev_b32_e32 v11, 3, v13
	s_mov_b32 s17, exec_lo
	v_cmpx_gt_u32_e32 8, v13
; %bb.786:                              ;   in Loop: Header=BB196_510 Depth=1
	v_ffbh_u32_e32 v11, v5
	v_min_u32_e32 v11, 32, v11
	v_subrev_nc_u32_e32 v13, 28, v11
	v_sub_nc_u32_e32 v11, 29, v11
	v_lshlrev_b64 v[17:18], v13, v[5:6]
	v_and_b32_e32 v5, 7, v17
; %bb.787:                              ;   in Loop: Header=BB196_510 Depth=1
	s_or_b32 exec_lo, exec_lo, s17
	v_lshlrev_b32_e32 v13, 24, v86
	v_lshlrev_b32_e32 v5, 20, v5
	v_lshl_add_u32 v11, v11, 23, 0x3c000000
	v_and_b32_e32 v13, 0x80000000, v13
	v_or3_b32 v5, v5, v13, v11
	v_mov_b32_e32 v18, v6
	v_mov_b32_e32 v17, v5
.LBB196_788:                            ;   in Loop: Header=BB196_510 Depth=1
	s_or_b32 exec_lo, exec_lo, s16
.LBB196_789:                            ;   in Loop: Header=BB196_510 Depth=1
	s_or_b32 exec_lo, exec_lo, s15
.LBB196_790:                            ;   in Loop: Header=BB196_510 Depth=1
	s_or_b32 exec_lo, exec_lo, s14
	v_cmp_ne_u16_sdwa s0, v86, v6 src0_sel:BYTE_1 src1_sel:DWORD
	s_and_saveexec_b32 s14, s0
	s_cbranch_execz .LBB196_798
; %bb.791:                              ;   in Loop: Header=BB196_510 Depth=1
	v_mov_b32_e32 v11, v6
	v_mov_b32_e32 v20, v12
	v_cmp_ne_u16_sdwa s0, v86, v45 src0_sel:BYTE_1 src1_sel:DWORD
	v_mov_b32_e32 v19, v11
	s_and_saveexec_b32 s15, s0
	s_cbranch_execz .LBB196_797
; %bb.792:                              ;   in Loop: Header=BB196_510 Depth=1
	v_and_b32_sdwa v5, v46, v86 dst_sel:DWORD dst_unused:UNUSED_PAD src0_sel:DWORD src1_sel:BYTE_1
	v_mov_b32_e32 v13, v6
	v_mov_b32_e32 v20, v14
	s_mov_b32 s16, exec_lo
	v_and_b32_e32 v21, 0x7f, v5
	v_mov_b32_e32 v19, v13
	v_cmpx_ne_u32_e32 0x7f, v21
	s_cbranch_execz .LBB196_796
; %bb.793:                              ;   in Loop: Header=BB196_510 Depth=1
	v_and_b32_e32 v5, 7, v5
	v_lshrrev_b32_e32 v11, 3, v21
	s_mov_b32 s17, exec_lo
	v_cmpx_gt_u32_e32 8, v21
; %bb.794:                              ;   in Loop: Header=BB196_510 Depth=1
	v_ffbh_u32_e32 v11, v5
	v_min_u32_e32 v11, 32, v11
	v_subrev_nc_u32_e32 v13, 28, v11
	v_sub_nc_u32_e32 v11, 29, v11
	v_lshlrev_b64 v[19:20], v13, v[5:6]
	v_and_b32_e32 v5, 7, v19
; %bb.795:                              ;   in Loop: Header=BB196_510 Depth=1
	s_or_b32 exec_lo, exec_lo, s17
	v_lshlrev_b32_e32 v13, 16, v86
	v_lshlrev_b32_e32 v5, 20, v5
	v_lshl_add_u32 v11, v11, 23, 0x3c000000
	v_mov_b32_e32 v19, v6
	v_and_b32_e32 v13, 0x80000000, v13
	v_or3_b32 v20, v5, v13, v11
.LBB196_796:                            ;   in Loop: Header=BB196_510 Depth=1
	s_or_b32 exec_lo, exec_lo, s16
.LBB196_797:                            ;   in Loop: Header=BB196_510 Depth=1
	s_or_b32 exec_lo, exec_lo, s15
.LBB196_798:                            ;   in Loop: Header=BB196_510 Depth=1
	s_or_b32 exec_lo, exec_lo, s14
	v_mov_b32_e32 v23, 0
	v_mov_b32_e32 v21, 0
	v_and_b32_sdwa v5, v86, v47 dst_sel:DWORD dst_unused:UNUSED_PAD src0_sel:WORD_1 src1_sel:DWORD
	v_mov_b32_e32 v24, 0
	v_mov_b32_e32 v22, 0
	s_mov_b32 s14, exec_lo
	v_cmpx_ne_u16_e32 0, v5
	s_cbranch_execz .LBB196_806
; %bb.799:                              ;   in Loop: Header=BB196_510 Depth=1
	v_bfrev_b32_e32 v21, 1
	v_mov_b32_e32 v22, 0
	s_mov_b32 s15, exec_lo
	v_cmpx_ne_u16_e32 0x80, v5
	s_cbranch_execz .LBB196_805
; %bb.800:                              ;   in Loop: Header=BB196_510 Depth=1
	v_mov_b32_e32 v21, 0x7f800001
	v_bfe_u32 v13, v86, 16, 7
	v_mov_b32_e32 v22, 0
	s_mov_b32 s16, exec_lo
	v_cmpx_ne_u32_e32 0x7f, v13
	s_cbranch_execz .LBB196_804
; %bb.801:                              ;   in Loop: Header=BB196_510 Depth=1
	v_and_b32_sdwa v5, v86, v48 dst_sel:DWORD dst_unused:UNUSED_PAD src0_sel:WORD_1 src1_sel:DWORD
	v_lshrrev_b32_e32 v11, 3, v13
	s_mov_b32 s17, exec_lo
	v_cmpx_gt_u32_e32 8, v13
; %bb.802:                              ;   in Loop: Header=BB196_510 Depth=1
	v_ffbh_u32_e32 v11, v5
	v_min_u32_e32 v11, 32, v11
	v_subrev_nc_u32_e32 v13, 28, v11
	v_sub_nc_u32_e32 v11, 29, v11
	v_lshlrev_b64 v[21:22], v13, v[5:6]
	v_and_b32_e32 v5, 7, v21
; %bb.803:                              ;   in Loop: Header=BB196_510 Depth=1
	s_or_b32 exec_lo, exec_lo, s17
	v_lshlrev_b32_sdwa v13, v49, v86 dst_sel:DWORD dst_unused:UNUSED_PAD src0_sel:DWORD src1_sel:WORD_1
	v_lshlrev_b32_e32 v5, 20, v5
	v_lshl_add_u32 v11, v11, 23, 0x3c000000
	v_and_b32_e32 v13, 0x80000000, v13
	v_or3_b32 v5, v5, v13, v11
	v_mov_b32_e32 v22, v6
	v_mov_b32_e32 v21, v5
.LBB196_804:                            ;   in Loop: Header=BB196_510 Depth=1
	s_or_b32 exec_lo, exec_lo, s16
.LBB196_805:                            ;   in Loop: Header=BB196_510 Depth=1
	s_or_b32 exec_lo, exec_lo, s15
.LBB196_806:                            ;   in Loop: Header=BB196_510 Depth=1
	s_or_b32 exec_lo, exec_lo, s14
	s_mov_b32 s14, exec_lo
	v_cmpx_lt_u32_e32 0xffffff, v86
	s_cbranch_execz .LBB196_814
; %bb.807:                              ;   in Loop: Header=BB196_510 Depth=1
	v_mov_b32_e32 v11, v6
	v_mov_b32_e32 v24, v12
	v_cmp_ne_u32_sdwa s0, v86, v45 src0_sel:BYTE_3 src1_sel:DWORD
	v_mov_b32_e32 v23, v11
	s_and_saveexec_b32 s15, s0
	s_cbranch_execz .LBB196_813
; %bb.808:                              ;   in Loop: Header=BB196_510 Depth=1
	v_mov_b32_e32 v13, v6
	v_mov_b32_e32 v24, v14
	v_bfe_u32 v87, v86, 24, 7
	s_mov_b32 s16, exec_lo
	v_mov_b32_e32 v23, v13
	v_cmpx_ne_u32_e32 0x7f, v87
	s_cbranch_execz .LBB196_812
; %bb.809:                              ;   in Loop: Header=BB196_510 Depth=1
	v_and_b32_sdwa v5, v86, v48 dst_sel:DWORD dst_unused:UNUSED_PAD src0_sel:BYTE_3 src1_sel:DWORD
	v_lshrrev_b32_e32 v11, 3, v87
	s_mov_b32 s17, exec_lo
	v_cmpx_gt_u32_e32 8, v87
; %bb.810:                              ;   in Loop: Header=BB196_510 Depth=1
	v_ffbh_u32_e32 v11, v5
	v_min_u32_e32 v11, 32, v11
	v_subrev_nc_u32_e32 v13, 28, v11
	v_sub_nc_u32_e32 v11, 29, v11
	v_lshlrev_b64 v[23:24], v13, v[5:6]
	v_and_b32_e32 v5, 7, v23
; %bb.811:                              ;   in Loop: Header=BB196_510 Depth=1
	s_or_b32 exec_lo, exec_lo, s17
	v_lshlrev_b32_sdwa v13, v49, v86 dst_sel:DWORD dst_unused:UNUSED_PAD src0_sel:DWORD src1_sel:BYTE_3
	v_lshlrev_b32_e32 v5, 20, v5
	v_lshl_add_u32 v11, v11, 23, 0x3c000000
	v_mov_b32_e32 v23, v6
	v_and_b32_e32 v13, 0x80000000, v13
	v_or3_b32 v24, v5, v13, v11
.LBB196_812:                            ;   in Loop: Header=BB196_510 Depth=1
	s_or_b32 exec_lo, exec_lo, s16
.LBB196_813:                            ;   in Loop: Header=BB196_510 Depth=1
	s_or_b32 exec_lo, exec_lo, s15
.LBB196_814:                            ;   in Loop: Header=BB196_510 Depth=1
	s_or_b32 exec_lo, exec_lo, s14
	v_or_b32_e32 v5, v20, v18
	v_or_b32_e32 v11, v19, v17
	v_or_b32_e32 v13, v23, v21
	v_or_b32_e32 v17, v24, v22
	v_mul_f32_e32 v88, s13, v5
	v_mul_f32_e32 v89, s2, v11
	;; [unrolled: 1-line block ×4, first 2 shown]
	s_and_saveexec_b32 s14, vcc_lo
	s_cbranch_execz .LBB196_816
; %bb.815:                              ;   in Loop: Header=BB196_510 Depth=1
	v_cmp_gt_i32_e64 s0, s11, v55
	v_cndmask_b32_e64 v89, 0, v89, s0
	v_cmp_gt_i32_e64 s0, s11, v57
	v_cndmask_b32_e64 v88, 0, v88, s0
	;; [unrolled: 2-line block ×4, first 2 shown]
.LBB196_816:                            ;   in Loop: Header=BB196_510 Depth=1
	s_or_b32 exec_lo, exec_lo, s14
	global_load_dword v90, v[15:16], off offset:1152
	v_mov_b32_e32 v19, 0
	v_mov_b32_e32 v17, 0
	;; [unrolled: 1-line block ×4, first 2 shown]
	s_waitcnt vmcnt(0)
	v_cmp_ne_u16_sdwa s0, v90, v6 src0_sel:BYTE_0 src1_sel:DWORD
	s_and_saveexec_b32 s14, s0
	s_cbranch_execz .LBB196_824
; %bb.817:                              ;   in Loop: Header=BB196_510 Depth=1
	v_bfrev_b32_e32 v17, 1
	v_mov_b32_e32 v18, 0
	v_cmp_ne_u16_sdwa s0, v90, v45 src0_sel:BYTE_0 src1_sel:DWORD
	s_and_saveexec_b32 s15, s0
	s_cbranch_execz .LBB196_823
; %bb.818:                              ;   in Loop: Header=BB196_510 Depth=1
	v_mov_b32_e32 v17, 0x7f800001
	v_and_b32_e32 v13, 0x7f, v90
	v_mov_b32_e32 v18, 0
	s_mov_b32 s16, exec_lo
	v_cmpx_ne_u32_e32 0x7f, v13
	s_cbranch_execz .LBB196_822
; %bb.819:                              ;   in Loop: Header=BB196_510 Depth=1
	v_and_b32_e32 v5, 7, v90
	v_lshrrev_b32_e32 v11, 3, v13
	s_mov_b32 s17, exec_lo
	v_cmpx_gt_u32_e32 8, v13
; %bb.820:                              ;   in Loop: Header=BB196_510 Depth=1
	v_ffbh_u32_e32 v11, v5
	v_min_u32_e32 v11, 32, v11
	v_subrev_nc_u32_e32 v13, 28, v11
	v_sub_nc_u32_e32 v11, 29, v11
	v_lshlrev_b64 v[17:18], v13, v[5:6]
	v_and_b32_e32 v5, 7, v17
; %bb.821:                              ;   in Loop: Header=BB196_510 Depth=1
	s_or_b32 exec_lo, exec_lo, s17
	v_lshlrev_b32_e32 v13, 24, v90
	v_lshlrev_b32_e32 v5, 20, v5
	v_lshl_add_u32 v11, v11, 23, 0x3c000000
	v_and_b32_e32 v13, 0x80000000, v13
	v_or3_b32 v5, v5, v13, v11
	v_mov_b32_e32 v18, v6
	v_mov_b32_e32 v17, v5
.LBB196_822:                            ;   in Loop: Header=BB196_510 Depth=1
	s_or_b32 exec_lo, exec_lo, s16
.LBB196_823:                            ;   in Loop: Header=BB196_510 Depth=1
	s_or_b32 exec_lo, exec_lo, s15
.LBB196_824:                            ;   in Loop: Header=BB196_510 Depth=1
	s_or_b32 exec_lo, exec_lo, s14
	v_cmp_ne_u16_sdwa s0, v90, v6 src0_sel:BYTE_1 src1_sel:DWORD
	s_and_saveexec_b32 s14, s0
	s_cbranch_execz .LBB196_832
; %bb.825:                              ;   in Loop: Header=BB196_510 Depth=1
	v_mov_b32_e32 v11, v6
	v_mov_b32_e32 v20, v12
	v_cmp_ne_u16_sdwa s0, v90, v45 src0_sel:BYTE_1 src1_sel:DWORD
	v_mov_b32_e32 v19, v11
	s_and_saveexec_b32 s15, s0
	s_cbranch_execz .LBB196_831
; %bb.826:                              ;   in Loop: Header=BB196_510 Depth=1
	v_and_b32_sdwa v5, v46, v90 dst_sel:DWORD dst_unused:UNUSED_PAD src0_sel:DWORD src1_sel:BYTE_1
	v_mov_b32_e32 v13, v6
	v_mov_b32_e32 v20, v14
	s_mov_b32 s16, exec_lo
	v_and_b32_e32 v21, 0x7f, v5
	v_mov_b32_e32 v19, v13
	v_cmpx_ne_u32_e32 0x7f, v21
	s_cbranch_execz .LBB196_830
; %bb.827:                              ;   in Loop: Header=BB196_510 Depth=1
	v_and_b32_e32 v5, 7, v5
	v_lshrrev_b32_e32 v11, 3, v21
	s_mov_b32 s17, exec_lo
	v_cmpx_gt_u32_e32 8, v21
; %bb.828:                              ;   in Loop: Header=BB196_510 Depth=1
	v_ffbh_u32_e32 v11, v5
	v_min_u32_e32 v11, 32, v11
	v_subrev_nc_u32_e32 v13, 28, v11
	v_sub_nc_u32_e32 v11, 29, v11
	v_lshlrev_b64 v[19:20], v13, v[5:6]
	v_and_b32_e32 v5, 7, v19
; %bb.829:                              ;   in Loop: Header=BB196_510 Depth=1
	s_or_b32 exec_lo, exec_lo, s17
	v_lshlrev_b32_e32 v13, 16, v90
	v_lshlrev_b32_e32 v5, 20, v5
	v_lshl_add_u32 v11, v11, 23, 0x3c000000
	v_mov_b32_e32 v19, v6
	v_and_b32_e32 v13, 0x80000000, v13
	v_or3_b32 v20, v5, v13, v11
.LBB196_830:                            ;   in Loop: Header=BB196_510 Depth=1
	s_or_b32 exec_lo, exec_lo, s16
.LBB196_831:                            ;   in Loop: Header=BB196_510 Depth=1
	s_or_b32 exec_lo, exec_lo, s15
.LBB196_832:                            ;   in Loop: Header=BB196_510 Depth=1
	s_or_b32 exec_lo, exec_lo, s14
	v_mov_b32_e32 v23, 0
	v_mov_b32_e32 v21, 0
	v_and_b32_sdwa v5, v90, v47 dst_sel:DWORD dst_unused:UNUSED_PAD src0_sel:WORD_1 src1_sel:DWORD
	v_mov_b32_e32 v24, 0
	v_mov_b32_e32 v22, 0
	s_mov_b32 s14, exec_lo
	v_cmpx_ne_u16_e32 0, v5
	s_cbranch_execz .LBB196_840
; %bb.833:                              ;   in Loop: Header=BB196_510 Depth=1
	v_bfrev_b32_e32 v21, 1
	v_mov_b32_e32 v22, 0
	s_mov_b32 s15, exec_lo
	v_cmpx_ne_u16_e32 0x80, v5
	s_cbranch_execz .LBB196_839
; %bb.834:                              ;   in Loop: Header=BB196_510 Depth=1
	v_mov_b32_e32 v21, 0x7f800001
	v_bfe_u32 v13, v90, 16, 7
	v_mov_b32_e32 v22, 0
	s_mov_b32 s16, exec_lo
	v_cmpx_ne_u32_e32 0x7f, v13
	s_cbranch_execz .LBB196_838
; %bb.835:                              ;   in Loop: Header=BB196_510 Depth=1
	v_and_b32_sdwa v5, v90, v48 dst_sel:DWORD dst_unused:UNUSED_PAD src0_sel:WORD_1 src1_sel:DWORD
	v_lshrrev_b32_e32 v11, 3, v13
	s_mov_b32 s17, exec_lo
	v_cmpx_gt_u32_e32 8, v13
; %bb.836:                              ;   in Loop: Header=BB196_510 Depth=1
	v_ffbh_u32_e32 v11, v5
	v_min_u32_e32 v11, 32, v11
	v_subrev_nc_u32_e32 v13, 28, v11
	v_sub_nc_u32_e32 v11, 29, v11
	v_lshlrev_b64 v[21:22], v13, v[5:6]
	v_and_b32_e32 v5, 7, v21
; %bb.837:                              ;   in Loop: Header=BB196_510 Depth=1
	s_or_b32 exec_lo, exec_lo, s17
	v_lshlrev_b32_sdwa v13, v49, v90 dst_sel:DWORD dst_unused:UNUSED_PAD src0_sel:DWORD src1_sel:WORD_1
	v_lshlrev_b32_e32 v5, 20, v5
	v_lshl_add_u32 v11, v11, 23, 0x3c000000
	v_and_b32_e32 v13, 0x80000000, v13
	v_or3_b32 v5, v5, v13, v11
	v_mov_b32_e32 v22, v6
	v_mov_b32_e32 v21, v5
.LBB196_838:                            ;   in Loop: Header=BB196_510 Depth=1
	s_or_b32 exec_lo, exec_lo, s16
.LBB196_839:                            ;   in Loop: Header=BB196_510 Depth=1
	s_or_b32 exec_lo, exec_lo, s15
.LBB196_840:                            ;   in Loop: Header=BB196_510 Depth=1
	s_or_b32 exec_lo, exec_lo, s14
	s_mov_b32 s14, exec_lo
	v_cmpx_lt_u32_e32 0xffffff, v90
	s_cbranch_execz .LBB196_848
; %bb.841:                              ;   in Loop: Header=BB196_510 Depth=1
	v_mov_b32_e32 v11, v6
	v_mov_b32_e32 v24, v12
	v_cmp_ne_u32_sdwa s0, v90, v45 src0_sel:BYTE_3 src1_sel:DWORD
	v_mov_b32_e32 v23, v11
	s_and_saveexec_b32 s15, s0
	s_cbranch_execz .LBB196_847
; %bb.842:                              ;   in Loop: Header=BB196_510 Depth=1
	v_mov_b32_e32 v13, v6
	v_mov_b32_e32 v24, v14
	v_bfe_u32 v91, v90, 24, 7
	s_mov_b32 s16, exec_lo
	v_mov_b32_e32 v23, v13
	v_cmpx_ne_u32_e32 0x7f, v91
	s_cbranch_execz .LBB196_846
; %bb.843:                              ;   in Loop: Header=BB196_510 Depth=1
	v_and_b32_sdwa v5, v90, v48 dst_sel:DWORD dst_unused:UNUSED_PAD src0_sel:BYTE_3 src1_sel:DWORD
	v_lshrrev_b32_e32 v11, 3, v91
	s_mov_b32 s17, exec_lo
	v_cmpx_gt_u32_e32 8, v91
; %bb.844:                              ;   in Loop: Header=BB196_510 Depth=1
	v_ffbh_u32_e32 v11, v5
	v_min_u32_e32 v11, 32, v11
	v_subrev_nc_u32_e32 v13, 28, v11
	v_sub_nc_u32_e32 v11, 29, v11
	v_lshlrev_b64 v[23:24], v13, v[5:6]
	v_and_b32_e32 v5, 7, v23
; %bb.845:                              ;   in Loop: Header=BB196_510 Depth=1
	s_or_b32 exec_lo, exec_lo, s17
	v_lshlrev_b32_sdwa v13, v49, v90 dst_sel:DWORD dst_unused:UNUSED_PAD src0_sel:DWORD src1_sel:BYTE_3
	v_lshlrev_b32_e32 v5, 20, v5
	v_lshl_add_u32 v11, v11, 23, 0x3c000000
	v_mov_b32_e32 v23, v6
	v_and_b32_e32 v13, 0x80000000, v13
	v_or3_b32 v24, v5, v13, v11
.LBB196_846:                            ;   in Loop: Header=BB196_510 Depth=1
	s_or_b32 exec_lo, exec_lo, s16
.LBB196_847:                            ;   in Loop: Header=BB196_510 Depth=1
	s_or_b32 exec_lo, exec_lo, s15
.LBB196_848:                            ;   in Loop: Header=BB196_510 Depth=1
	s_or_b32 exec_lo, exec_lo, s14
	v_or_b32_e32 v5, v20, v18
	v_or_b32_e32 v11, v19, v17
	;; [unrolled: 1-line block ×4, first 2 shown]
	v_mul_f32_e32 v92, s13, v5
	v_mul_f32_e32 v93, s2, v11
	;; [unrolled: 1-line block ×4, first 2 shown]
	s_and_saveexec_b32 s14, vcc_lo
	s_cbranch_execz .LBB196_850
; %bb.849:                              ;   in Loop: Header=BB196_510 Depth=1
	v_cmp_gt_i32_e64 s0, s11, v55
	v_cndmask_b32_e64 v93, 0, v93, s0
	v_cmp_gt_i32_e64 s0, s11, v57
	v_cndmask_b32_e64 v92, 0, v92, s0
	;; [unrolled: 2-line block ×4, first 2 shown]
.LBB196_850:                            ;   in Loop: Header=BB196_510 Depth=1
	s_or_b32 exec_lo, exec_lo, s14
	global_load_dword v94, v[15:16], off offset:1280
	v_mov_b32_e32 v19, 0
	v_mov_b32_e32 v17, 0
	;; [unrolled: 1-line block ×4, first 2 shown]
	s_waitcnt vmcnt(0)
	v_cmp_ne_u16_sdwa s0, v94, v6 src0_sel:BYTE_0 src1_sel:DWORD
	s_and_saveexec_b32 s14, s0
	s_cbranch_execz .LBB196_858
; %bb.851:                              ;   in Loop: Header=BB196_510 Depth=1
	v_bfrev_b32_e32 v17, 1
	v_mov_b32_e32 v18, 0
	v_cmp_ne_u16_sdwa s0, v94, v45 src0_sel:BYTE_0 src1_sel:DWORD
	s_and_saveexec_b32 s15, s0
	s_cbranch_execz .LBB196_857
; %bb.852:                              ;   in Loop: Header=BB196_510 Depth=1
	v_mov_b32_e32 v17, 0x7f800001
	v_and_b32_e32 v13, 0x7f, v94
	v_mov_b32_e32 v18, 0
	s_mov_b32 s16, exec_lo
	v_cmpx_ne_u32_e32 0x7f, v13
	s_cbranch_execz .LBB196_856
; %bb.853:                              ;   in Loop: Header=BB196_510 Depth=1
	v_and_b32_e32 v5, 7, v94
	v_lshrrev_b32_e32 v11, 3, v13
	s_mov_b32 s17, exec_lo
	v_cmpx_gt_u32_e32 8, v13
; %bb.854:                              ;   in Loop: Header=BB196_510 Depth=1
	v_ffbh_u32_e32 v11, v5
	v_min_u32_e32 v11, 32, v11
	v_subrev_nc_u32_e32 v13, 28, v11
	v_sub_nc_u32_e32 v11, 29, v11
	v_lshlrev_b64 v[17:18], v13, v[5:6]
	v_and_b32_e32 v5, 7, v17
; %bb.855:                              ;   in Loop: Header=BB196_510 Depth=1
	s_or_b32 exec_lo, exec_lo, s17
	v_lshlrev_b32_e32 v13, 24, v94
	v_lshlrev_b32_e32 v5, 20, v5
	v_lshl_add_u32 v11, v11, 23, 0x3c000000
	v_and_b32_e32 v13, 0x80000000, v13
	v_or3_b32 v5, v5, v13, v11
	v_mov_b32_e32 v18, v6
	v_mov_b32_e32 v17, v5
.LBB196_856:                            ;   in Loop: Header=BB196_510 Depth=1
	s_or_b32 exec_lo, exec_lo, s16
.LBB196_857:                            ;   in Loop: Header=BB196_510 Depth=1
	s_or_b32 exec_lo, exec_lo, s15
.LBB196_858:                            ;   in Loop: Header=BB196_510 Depth=1
	s_or_b32 exec_lo, exec_lo, s14
	v_cmp_ne_u16_sdwa s0, v94, v6 src0_sel:BYTE_1 src1_sel:DWORD
	s_and_saveexec_b32 s14, s0
	s_cbranch_execz .LBB196_866
; %bb.859:                              ;   in Loop: Header=BB196_510 Depth=1
	v_mov_b32_e32 v11, v6
	v_mov_b32_e32 v20, v12
	v_cmp_ne_u16_sdwa s0, v94, v45 src0_sel:BYTE_1 src1_sel:DWORD
	v_mov_b32_e32 v19, v11
	s_and_saveexec_b32 s15, s0
	s_cbranch_execz .LBB196_865
; %bb.860:                              ;   in Loop: Header=BB196_510 Depth=1
	v_and_b32_sdwa v5, v46, v94 dst_sel:DWORD dst_unused:UNUSED_PAD src0_sel:DWORD src1_sel:BYTE_1
	v_mov_b32_e32 v13, v6
	v_mov_b32_e32 v20, v14
	s_mov_b32 s16, exec_lo
	v_and_b32_e32 v21, 0x7f, v5
	v_mov_b32_e32 v19, v13
	v_cmpx_ne_u32_e32 0x7f, v21
	s_cbranch_execz .LBB196_864
; %bb.861:                              ;   in Loop: Header=BB196_510 Depth=1
	v_and_b32_e32 v5, 7, v5
	v_lshrrev_b32_e32 v11, 3, v21
	s_mov_b32 s17, exec_lo
	v_cmpx_gt_u32_e32 8, v21
; %bb.862:                              ;   in Loop: Header=BB196_510 Depth=1
	v_ffbh_u32_e32 v11, v5
	v_min_u32_e32 v11, 32, v11
	v_subrev_nc_u32_e32 v13, 28, v11
	v_sub_nc_u32_e32 v11, 29, v11
	v_lshlrev_b64 v[19:20], v13, v[5:6]
	v_and_b32_e32 v5, 7, v19
; %bb.863:                              ;   in Loop: Header=BB196_510 Depth=1
	s_or_b32 exec_lo, exec_lo, s17
	v_lshlrev_b32_e32 v13, 16, v94
	v_lshlrev_b32_e32 v5, 20, v5
	v_lshl_add_u32 v11, v11, 23, 0x3c000000
	v_mov_b32_e32 v19, v6
	v_and_b32_e32 v13, 0x80000000, v13
	v_or3_b32 v20, v5, v13, v11
.LBB196_864:                            ;   in Loop: Header=BB196_510 Depth=1
	s_or_b32 exec_lo, exec_lo, s16
.LBB196_865:                            ;   in Loop: Header=BB196_510 Depth=1
	s_or_b32 exec_lo, exec_lo, s15
.LBB196_866:                            ;   in Loop: Header=BB196_510 Depth=1
	s_or_b32 exec_lo, exec_lo, s14
	v_mov_b32_e32 v23, 0
	v_mov_b32_e32 v21, 0
	v_and_b32_sdwa v5, v94, v47 dst_sel:DWORD dst_unused:UNUSED_PAD src0_sel:WORD_1 src1_sel:DWORD
	v_mov_b32_e32 v24, 0
	v_mov_b32_e32 v22, 0
	s_mov_b32 s14, exec_lo
	v_cmpx_ne_u16_e32 0, v5
	s_cbranch_execz .LBB196_874
; %bb.867:                              ;   in Loop: Header=BB196_510 Depth=1
	v_bfrev_b32_e32 v21, 1
	v_mov_b32_e32 v22, 0
	s_mov_b32 s15, exec_lo
	v_cmpx_ne_u16_e32 0x80, v5
	s_cbranch_execz .LBB196_873
; %bb.868:                              ;   in Loop: Header=BB196_510 Depth=1
	v_mov_b32_e32 v21, 0x7f800001
	v_bfe_u32 v13, v94, 16, 7
	v_mov_b32_e32 v22, 0
	s_mov_b32 s16, exec_lo
	v_cmpx_ne_u32_e32 0x7f, v13
	s_cbranch_execz .LBB196_872
; %bb.869:                              ;   in Loop: Header=BB196_510 Depth=1
	v_and_b32_sdwa v5, v94, v48 dst_sel:DWORD dst_unused:UNUSED_PAD src0_sel:WORD_1 src1_sel:DWORD
	v_lshrrev_b32_e32 v11, 3, v13
	s_mov_b32 s17, exec_lo
	v_cmpx_gt_u32_e32 8, v13
; %bb.870:                              ;   in Loop: Header=BB196_510 Depth=1
	v_ffbh_u32_e32 v11, v5
	v_min_u32_e32 v11, 32, v11
	v_subrev_nc_u32_e32 v13, 28, v11
	v_sub_nc_u32_e32 v11, 29, v11
	v_lshlrev_b64 v[21:22], v13, v[5:6]
	v_and_b32_e32 v5, 7, v21
; %bb.871:                              ;   in Loop: Header=BB196_510 Depth=1
	s_or_b32 exec_lo, exec_lo, s17
	v_lshlrev_b32_sdwa v13, v49, v94 dst_sel:DWORD dst_unused:UNUSED_PAD src0_sel:DWORD src1_sel:WORD_1
	v_lshlrev_b32_e32 v5, 20, v5
	v_lshl_add_u32 v11, v11, 23, 0x3c000000
	v_and_b32_e32 v13, 0x80000000, v13
	v_or3_b32 v5, v5, v13, v11
	v_mov_b32_e32 v22, v6
	v_mov_b32_e32 v21, v5
.LBB196_872:                            ;   in Loop: Header=BB196_510 Depth=1
	s_or_b32 exec_lo, exec_lo, s16
.LBB196_873:                            ;   in Loop: Header=BB196_510 Depth=1
	s_or_b32 exec_lo, exec_lo, s15
.LBB196_874:                            ;   in Loop: Header=BB196_510 Depth=1
	s_or_b32 exec_lo, exec_lo, s14
	s_mov_b32 s14, exec_lo
	v_cmpx_lt_u32_e32 0xffffff, v94
	s_cbranch_execz .LBB196_882
; %bb.875:                              ;   in Loop: Header=BB196_510 Depth=1
	v_mov_b32_e32 v11, v6
	v_mov_b32_e32 v24, v12
	v_cmp_ne_u32_sdwa s0, v94, v45 src0_sel:BYTE_3 src1_sel:DWORD
	v_mov_b32_e32 v23, v11
	s_and_saveexec_b32 s15, s0
	s_cbranch_execz .LBB196_881
; %bb.876:                              ;   in Loop: Header=BB196_510 Depth=1
	v_mov_b32_e32 v13, v6
	v_mov_b32_e32 v24, v14
	v_bfe_u32 v95, v94, 24, 7
	s_mov_b32 s16, exec_lo
	v_mov_b32_e32 v23, v13
	v_cmpx_ne_u32_e32 0x7f, v95
	s_cbranch_execz .LBB196_880
; %bb.877:                              ;   in Loop: Header=BB196_510 Depth=1
	v_and_b32_sdwa v5, v94, v48 dst_sel:DWORD dst_unused:UNUSED_PAD src0_sel:BYTE_3 src1_sel:DWORD
	v_lshrrev_b32_e32 v11, 3, v95
	s_mov_b32 s17, exec_lo
	v_cmpx_gt_u32_e32 8, v95
; %bb.878:                              ;   in Loop: Header=BB196_510 Depth=1
	v_ffbh_u32_e32 v11, v5
	v_min_u32_e32 v11, 32, v11
	v_subrev_nc_u32_e32 v13, 28, v11
	v_sub_nc_u32_e32 v11, 29, v11
	v_lshlrev_b64 v[23:24], v13, v[5:6]
	v_and_b32_e32 v5, 7, v23
; %bb.879:                              ;   in Loop: Header=BB196_510 Depth=1
	s_or_b32 exec_lo, exec_lo, s17
	v_lshlrev_b32_sdwa v13, v49, v94 dst_sel:DWORD dst_unused:UNUSED_PAD src0_sel:DWORD src1_sel:BYTE_3
	v_lshlrev_b32_e32 v5, 20, v5
	v_lshl_add_u32 v11, v11, 23, 0x3c000000
	v_mov_b32_e32 v23, v6
	v_and_b32_e32 v13, 0x80000000, v13
	v_or3_b32 v24, v5, v13, v11
.LBB196_880:                            ;   in Loop: Header=BB196_510 Depth=1
	s_or_b32 exec_lo, exec_lo, s16
.LBB196_881:                            ;   in Loop: Header=BB196_510 Depth=1
	s_or_b32 exec_lo, exec_lo, s15
.LBB196_882:                            ;   in Loop: Header=BB196_510 Depth=1
	s_or_b32 exec_lo, exec_lo, s14
	v_or_b32_e32 v5, v20, v18
	v_or_b32_e32 v11, v19, v17
	;; [unrolled: 1-line block ×4, first 2 shown]
	v_mul_f32_e32 v96, s13, v5
	v_mul_f32_e32 v97, s2, v11
	;; [unrolled: 1-line block ×4, first 2 shown]
	s_and_saveexec_b32 s14, vcc_lo
	s_cbranch_execz .LBB196_884
; %bb.883:                              ;   in Loop: Header=BB196_510 Depth=1
	v_cmp_gt_i32_e64 s0, s11, v55
	v_cndmask_b32_e64 v97, 0, v97, s0
	v_cmp_gt_i32_e64 s0, s11, v57
	v_cndmask_b32_e64 v96, 0, v96, s0
	;; [unrolled: 2-line block ×4, first 2 shown]
.LBB196_884:                            ;   in Loop: Header=BB196_510 Depth=1
	s_or_b32 exec_lo, exec_lo, s14
	global_load_dword v98, v[15:16], off offset:1408
	v_mov_b32_e32 v19, 0
	v_mov_b32_e32 v17, 0
	;; [unrolled: 1-line block ×4, first 2 shown]
	s_waitcnt vmcnt(0)
	v_cmp_ne_u16_sdwa s0, v98, v6 src0_sel:BYTE_0 src1_sel:DWORD
	s_and_saveexec_b32 s14, s0
	s_cbranch_execz .LBB196_892
; %bb.885:                              ;   in Loop: Header=BB196_510 Depth=1
	v_bfrev_b32_e32 v17, 1
	v_mov_b32_e32 v18, 0
	v_cmp_ne_u16_sdwa s0, v98, v45 src0_sel:BYTE_0 src1_sel:DWORD
	s_and_saveexec_b32 s15, s0
	s_cbranch_execz .LBB196_891
; %bb.886:                              ;   in Loop: Header=BB196_510 Depth=1
	v_mov_b32_e32 v17, 0x7f800001
	v_and_b32_e32 v13, 0x7f, v98
	v_mov_b32_e32 v18, 0
	s_mov_b32 s16, exec_lo
	v_cmpx_ne_u32_e32 0x7f, v13
	s_cbranch_execz .LBB196_890
; %bb.887:                              ;   in Loop: Header=BB196_510 Depth=1
	v_and_b32_e32 v5, 7, v98
	v_lshrrev_b32_e32 v11, 3, v13
	s_mov_b32 s17, exec_lo
	v_cmpx_gt_u32_e32 8, v13
; %bb.888:                              ;   in Loop: Header=BB196_510 Depth=1
	v_ffbh_u32_e32 v11, v5
	v_min_u32_e32 v11, 32, v11
	v_subrev_nc_u32_e32 v13, 28, v11
	v_sub_nc_u32_e32 v11, 29, v11
	v_lshlrev_b64 v[17:18], v13, v[5:6]
	v_and_b32_e32 v5, 7, v17
; %bb.889:                              ;   in Loop: Header=BB196_510 Depth=1
	s_or_b32 exec_lo, exec_lo, s17
	v_lshlrev_b32_e32 v13, 24, v98
	v_lshlrev_b32_e32 v5, 20, v5
	v_lshl_add_u32 v11, v11, 23, 0x3c000000
	v_and_b32_e32 v13, 0x80000000, v13
	v_or3_b32 v5, v5, v13, v11
	v_mov_b32_e32 v18, v6
	v_mov_b32_e32 v17, v5
.LBB196_890:                            ;   in Loop: Header=BB196_510 Depth=1
	s_or_b32 exec_lo, exec_lo, s16
.LBB196_891:                            ;   in Loop: Header=BB196_510 Depth=1
	s_or_b32 exec_lo, exec_lo, s15
.LBB196_892:                            ;   in Loop: Header=BB196_510 Depth=1
	s_or_b32 exec_lo, exec_lo, s14
	v_cmp_ne_u16_sdwa s0, v98, v6 src0_sel:BYTE_1 src1_sel:DWORD
	s_and_saveexec_b32 s14, s0
	s_cbranch_execz .LBB196_900
; %bb.893:                              ;   in Loop: Header=BB196_510 Depth=1
	v_mov_b32_e32 v11, v6
	v_mov_b32_e32 v20, v12
	v_cmp_ne_u16_sdwa s0, v98, v45 src0_sel:BYTE_1 src1_sel:DWORD
	v_mov_b32_e32 v19, v11
	s_and_saveexec_b32 s15, s0
	s_cbranch_execz .LBB196_899
; %bb.894:                              ;   in Loop: Header=BB196_510 Depth=1
	v_and_b32_sdwa v5, v46, v98 dst_sel:DWORD dst_unused:UNUSED_PAD src0_sel:DWORD src1_sel:BYTE_1
	v_mov_b32_e32 v13, v6
	v_mov_b32_e32 v20, v14
	s_mov_b32 s16, exec_lo
	v_and_b32_e32 v21, 0x7f, v5
	v_mov_b32_e32 v19, v13
	v_cmpx_ne_u32_e32 0x7f, v21
	s_cbranch_execz .LBB196_898
; %bb.895:                              ;   in Loop: Header=BB196_510 Depth=1
	v_and_b32_e32 v5, 7, v5
	v_lshrrev_b32_e32 v11, 3, v21
	s_mov_b32 s17, exec_lo
	v_cmpx_gt_u32_e32 8, v21
; %bb.896:                              ;   in Loop: Header=BB196_510 Depth=1
	v_ffbh_u32_e32 v11, v5
	v_min_u32_e32 v11, 32, v11
	v_subrev_nc_u32_e32 v13, 28, v11
	v_sub_nc_u32_e32 v11, 29, v11
	v_lshlrev_b64 v[19:20], v13, v[5:6]
	v_and_b32_e32 v5, 7, v19
; %bb.897:                              ;   in Loop: Header=BB196_510 Depth=1
	s_or_b32 exec_lo, exec_lo, s17
	v_lshlrev_b32_e32 v13, 16, v98
	v_lshlrev_b32_e32 v5, 20, v5
	v_lshl_add_u32 v11, v11, 23, 0x3c000000
	v_mov_b32_e32 v19, v6
	v_and_b32_e32 v13, 0x80000000, v13
	v_or3_b32 v20, v5, v13, v11
.LBB196_898:                            ;   in Loop: Header=BB196_510 Depth=1
	s_or_b32 exec_lo, exec_lo, s16
.LBB196_899:                            ;   in Loop: Header=BB196_510 Depth=1
	s_or_b32 exec_lo, exec_lo, s15
.LBB196_900:                            ;   in Loop: Header=BB196_510 Depth=1
	s_or_b32 exec_lo, exec_lo, s14
	v_mov_b32_e32 v23, 0
	v_mov_b32_e32 v21, 0
	v_and_b32_sdwa v5, v98, v47 dst_sel:DWORD dst_unused:UNUSED_PAD src0_sel:WORD_1 src1_sel:DWORD
	v_mov_b32_e32 v24, 0
	v_mov_b32_e32 v22, 0
	s_mov_b32 s14, exec_lo
	v_cmpx_ne_u16_e32 0, v5
	s_cbranch_execz .LBB196_908
; %bb.901:                              ;   in Loop: Header=BB196_510 Depth=1
	v_bfrev_b32_e32 v21, 1
	v_mov_b32_e32 v22, 0
	s_mov_b32 s15, exec_lo
	v_cmpx_ne_u16_e32 0x80, v5
	s_cbranch_execz .LBB196_907
; %bb.902:                              ;   in Loop: Header=BB196_510 Depth=1
	v_mov_b32_e32 v21, 0x7f800001
	v_bfe_u32 v13, v98, 16, 7
	v_mov_b32_e32 v22, 0
	s_mov_b32 s16, exec_lo
	v_cmpx_ne_u32_e32 0x7f, v13
	s_cbranch_execz .LBB196_906
; %bb.903:                              ;   in Loop: Header=BB196_510 Depth=1
	v_and_b32_sdwa v5, v98, v48 dst_sel:DWORD dst_unused:UNUSED_PAD src0_sel:WORD_1 src1_sel:DWORD
	v_lshrrev_b32_e32 v11, 3, v13
	s_mov_b32 s17, exec_lo
	v_cmpx_gt_u32_e32 8, v13
; %bb.904:                              ;   in Loop: Header=BB196_510 Depth=1
	v_ffbh_u32_e32 v11, v5
	v_min_u32_e32 v11, 32, v11
	v_subrev_nc_u32_e32 v13, 28, v11
	v_sub_nc_u32_e32 v11, 29, v11
	v_lshlrev_b64 v[21:22], v13, v[5:6]
	v_and_b32_e32 v5, 7, v21
; %bb.905:                              ;   in Loop: Header=BB196_510 Depth=1
	s_or_b32 exec_lo, exec_lo, s17
	v_lshlrev_b32_sdwa v13, v49, v98 dst_sel:DWORD dst_unused:UNUSED_PAD src0_sel:DWORD src1_sel:WORD_1
	v_lshlrev_b32_e32 v5, 20, v5
	v_lshl_add_u32 v11, v11, 23, 0x3c000000
	v_and_b32_e32 v13, 0x80000000, v13
	v_or3_b32 v5, v5, v13, v11
	v_mov_b32_e32 v22, v6
	v_mov_b32_e32 v21, v5
.LBB196_906:                            ;   in Loop: Header=BB196_510 Depth=1
	s_or_b32 exec_lo, exec_lo, s16
.LBB196_907:                            ;   in Loop: Header=BB196_510 Depth=1
	s_or_b32 exec_lo, exec_lo, s15
.LBB196_908:                            ;   in Loop: Header=BB196_510 Depth=1
	s_or_b32 exec_lo, exec_lo, s14
	s_mov_b32 s14, exec_lo
	v_cmpx_lt_u32_e32 0xffffff, v98
	s_cbranch_execz .LBB196_916
; %bb.909:                              ;   in Loop: Header=BB196_510 Depth=1
	v_mov_b32_e32 v11, v6
	v_mov_b32_e32 v24, v12
	v_cmp_ne_u32_sdwa s0, v98, v45 src0_sel:BYTE_3 src1_sel:DWORD
	v_mov_b32_e32 v23, v11
	s_and_saveexec_b32 s15, s0
	s_cbranch_execz .LBB196_915
; %bb.910:                              ;   in Loop: Header=BB196_510 Depth=1
	v_mov_b32_e32 v13, v6
	v_mov_b32_e32 v24, v14
	v_bfe_u32 v99, v98, 24, 7
	s_mov_b32 s16, exec_lo
	v_mov_b32_e32 v23, v13
	v_cmpx_ne_u32_e32 0x7f, v99
	s_cbranch_execz .LBB196_914
; %bb.911:                              ;   in Loop: Header=BB196_510 Depth=1
	v_and_b32_sdwa v5, v98, v48 dst_sel:DWORD dst_unused:UNUSED_PAD src0_sel:BYTE_3 src1_sel:DWORD
	v_lshrrev_b32_e32 v11, 3, v99
	s_mov_b32 s17, exec_lo
	v_cmpx_gt_u32_e32 8, v99
; %bb.912:                              ;   in Loop: Header=BB196_510 Depth=1
	v_ffbh_u32_e32 v11, v5
	v_min_u32_e32 v11, 32, v11
	v_subrev_nc_u32_e32 v13, 28, v11
	v_sub_nc_u32_e32 v11, 29, v11
	v_lshlrev_b64 v[23:24], v13, v[5:6]
	v_and_b32_e32 v5, 7, v23
; %bb.913:                              ;   in Loop: Header=BB196_510 Depth=1
	s_or_b32 exec_lo, exec_lo, s17
	v_lshlrev_b32_sdwa v13, v49, v98 dst_sel:DWORD dst_unused:UNUSED_PAD src0_sel:DWORD src1_sel:BYTE_3
	v_lshlrev_b32_e32 v5, 20, v5
	v_lshl_add_u32 v11, v11, 23, 0x3c000000
	v_mov_b32_e32 v23, v6
	v_and_b32_e32 v13, 0x80000000, v13
	v_or3_b32 v24, v5, v13, v11
.LBB196_914:                            ;   in Loop: Header=BB196_510 Depth=1
	s_or_b32 exec_lo, exec_lo, s16
.LBB196_915:                            ;   in Loop: Header=BB196_510 Depth=1
	s_or_b32 exec_lo, exec_lo, s15
.LBB196_916:                            ;   in Loop: Header=BB196_510 Depth=1
	s_or_b32 exec_lo, exec_lo, s14
	v_or_b32_e32 v5, v20, v18
	v_or_b32_e32 v11, v19, v17
	;; [unrolled: 1-line block ×4, first 2 shown]
	v_mul_f32_e32 v100, s13, v5
	v_mul_f32_e32 v101, s2, v11
	;; [unrolled: 1-line block ×4, first 2 shown]
	s_and_saveexec_b32 s14, vcc_lo
	s_cbranch_execz .LBB196_918
; %bb.917:                              ;   in Loop: Header=BB196_510 Depth=1
	v_cmp_gt_i32_e64 s0, s11, v55
	v_cndmask_b32_e64 v101, 0, v101, s0
	v_cmp_gt_i32_e64 s0, s11, v57
	v_cndmask_b32_e64 v100, 0, v100, s0
	;; [unrolled: 2-line block ×4, first 2 shown]
.LBB196_918:                            ;   in Loop: Header=BB196_510 Depth=1
	s_or_b32 exec_lo, exec_lo, s14
	global_load_dword v102, v[15:16], off offset:1536
	v_mov_b32_e32 v19, 0
	v_mov_b32_e32 v17, 0
	;; [unrolled: 1-line block ×4, first 2 shown]
	s_waitcnt vmcnt(0)
	v_cmp_ne_u16_sdwa s0, v102, v6 src0_sel:BYTE_0 src1_sel:DWORD
	s_and_saveexec_b32 s14, s0
	s_cbranch_execz .LBB196_926
; %bb.919:                              ;   in Loop: Header=BB196_510 Depth=1
	v_bfrev_b32_e32 v17, 1
	v_mov_b32_e32 v18, 0
	v_cmp_ne_u16_sdwa s0, v102, v45 src0_sel:BYTE_0 src1_sel:DWORD
	s_and_saveexec_b32 s15, s0
	s_cbranch_execz .LBB196_925
; %bb.920:                              ;   in Loop: Header=BB196_510 Depth=1
	v_mov_b32_e32 v17, 0x7f800001
	v_and_b32_e32 v13, 0x7f, v102
	v_mov_b32_e32 v18, 0
	s_mov_b32 s16, exec_lo
	v_cmpx_ne_u32_e32 0x7f, v13
	s_cbranch_execz .LBB196_924
; %bb.921:                              ;   in Loop: Header=BB196_510 Depth=1
	v_and_b32_e32 v5, 7, v102
	v_lshrrev_b32_e32 v11, 3, v13
	s_mov_b32 s17, exec_lo
	v_cmpx_gt_u32_e32 8, v13
; %bb.922:                              ;   in Loop: Header=BB196_510 Depth=1
	v_ffbh_u32_e32 v11, v5
	v_min_u32_e32 v11, 32, v11
	v_subrev_nc_u32_e32 v13, 28, v11
	v_sub_nc_u32_e32 v11, 29, v11
	v_lshlrev_b64 v[17:18], v13, v[5:6]
	v_and_b32_e32 v5, 7, v17
; %bb.923:                              ;   in Loop: Header=BB196_510 Depth=1
	s_or_b32 exec_lo, exec_lo, s17
	v_lshlrev_b32_e32 v13, 24, v102
	v_lshlrev_b32_e32 v5, 20, v5
	v_lshl_add_u32 v11, v11, 23, 0x3c000000
	v_and_b32_e32 v13, 0x80000000, v13
	v_or3_b32 v5, v5, v13, v11
	v_mov_b32_e32 v18, v6
	v_mov_b32_e32 v17, v5
.LBB196_924:                            ;   in Loop: Header=BB196_510 Depth=1
	s_or_b32 exec_lo, exec_lo, s16
.LBB196_925:                            ;   in Loop: Header=BB196_510 Depth=1
	s_or_b32 exec_lo, exec_lo, s15
.LBB196_926:                            ;   in Loop: Header=BB196_510 Depth=1
	s_or_b32 exec_lo, exec_lo, s14
	v_cmp_ne_u16_sdwa s0, v102, v6 src0_sel:BYTE_1 src1_sel:DWORD
	s_and_saveexec_b32 s14, s0
	s_cbranch_execz .LBB196_934
; %bb.927:                              ;   in Loop: Header=BB196_510 Depth=1
	v_mov_b32_e32 v11, v6
	v_mov_b32_e32 v20, v12
	v_cmp_ne_u16_sdwa s0, v102, v45 src0_sel:BYTE_1 src1_sel:DWORD
	v_mov_b32_e32 v19, v11
	s_and_saveexec_b32 s15, s0
	s_cbranch_execz .LBB196_933
; %bb.928:                              ;   in Loop: Header=BB196_510 Depth=1
	v_and_b32_sdwa v5, v46, v102 dst_sel:DWORD dst_unused:UNUSED_PAD src0_sel:DWORD src1_sel:BYTE_1
	v_mov_b32_e32 v13, v6
	v_mov_b32_e32 v20, v14
	s_mov_b32 s16, exec_lo
	v_and_b32_e32 v21, 0x7f, v5
	v_mov_b32_e32 v19, v13
	v_cmpx_ne_u32_e32 0x7f, v21
	s_cbranch_execz .LBB196_932
; %bb.929:                              ;   in Loop: Header=BB196_510 Depth=1
	v_and_b32_e32 v5, 7, v5
	v_lshrrev_b32_e32 v11, 3, v21
	s_mov_b32 s17, exec_lo
	v_cmpx_gt_u32_e32 8, v21
; %bb.930:                              ;   in Loop: Header=BB196_510 Depth=1
	v_ffbh_u32_e32 v11, v5
	v_min_u32_e32 v11, 32, v11
	v_subrev_nc_u32_e32 v13, 28, v11
	v_sub_nc_u32_e32 v11, 29, v11
	v_lshlrev_b64 v[19:20], v13, v[5:6]
	v_and_b32_e32 v5, 7, v19
; %bb.931:                              ;   in Loop: Header=BB196_510 Depth=1
	s_or_b32 exec_lo, exec_lo, s17
	v_lshlrev_b32_e32 v13, 16, v102
	v_lshlrev_b32_e32 v5, 20, v5
	v_lshl_add_u32 v11, v11, 23, 0x3c000000
	v_mov_b32_e32 v19, v6
	v_and_b32_e32 v13, 0x80000000, v13
	v_or3_b32 v20, v5, v13, v11
.LBB196_932:                            ;   in Loop: Header=BB196_510 Depth=1
	s_or_b32 exec_lo, exec_lo, s16
.LBB196_933:                            ;   in Loop: Header=BB196_510 Depth=1
	s_or_b32 exec_lo, exec_lo, s15
.LBB196_934:                            ;   in Loop: Header=BB196_510 Depth=1
	s_or_b32 exec_lo, exec_lo, s14
	v_mov_b32_e32 v23, 0
	v_mov_b32_e32 v21, 0
	v_and_b32_sdwa v5, v102, v47 dst_sel:DWORD dst_unused:UNUSED_PAD src0_sel:WORD_1 src1_sel:DWORD
	v_mov_b32_e32 v24, 0
	v_mov_b32_e32 v22, 0
	s_mov_b32 s14, exec_lo
	v_cmpx_ne_u16_e32 0, v5
	s_cbranch_execz .LBB196_942
; %bb.935:                              ;   in Loop: Header=BB196_510 Depth=1
	v_bfrev_b32_e32 v21, 1
	v_mov_b32_e32 v22, 0
	s_mov_b32 s15, exec_lo
	v_cmpx_ne_u16_e32 0x80, v5
	s_cbranch_execz .LBB196_941
; %bb.936:                              ;   in Loop: Header=BB196_510 Depth=1
	v_mov_b32_e32 v21, 0x7f800001
	v_bfe_u32 v13, v102, 16, 7
	v_mov_b32_e32 v22, 0
	s_mov_b32 s16, exec_lo
	v_cmpx_ne_u32_e32 0x7f, v13
	s_cbranch_execz .LBB196_940
; %bb.937:                              ;   in Loop: Header=BB196_510 Depth=1
	v_and_b32_sdwa v5, v102, v48 dst_sel:DWORD dst_unused:UNUSED_PAD src0_sel:WORD_1 src1_sel:DWORD
	v_lshrrev_b32_e32 v11, 3, v13
	s_mov_b32 s17, exec_lo
	v_cmpx_gt_u32_e32 8, v13
; %bb.938:                              ;   in Loop: Header=BB196_510 Depth=1
	v_ffbh_u32_e32 v11, v5
	v_min_u32_e32 v11, 32, v11
	v_subrev_nc_u32_e32 v13, 28, v11
	v_sub_nc_u32_e32 v11, 29, v11
	v_lshlrev_b64 v[21:22], v13, v[5:6]
	v_and_b32_e32 v5, 7, v21
; %bb.939:                              ;   in Loop: Header=BB196_510 Depth=1
	s_or_b32 exec_lo, exec_lo, s17
	v_lshlrev_b32_sdwa v13, v49, v102 dst_sel:DWORD dst_unused:UNUSED_PAD src0_sel:DWORD src1_sel:WORD_1
	v_lshlrev_b32_e32 v5, 20, v5
	v_lshl_add_u32 v11, v11, 23, 0x3c000000
	v_and_b32_e32 v13, 0x80000000, v13
	v_or3_b32 v5, v5, v13, v11
	v_mov_b32_e32 v22, v6
	v_mov_b32_e32 v21, v5
.LBB196_940:                            ;   in Loop: Header=BB196_510 Depth=1
	s_or_b32 exec_lo, exec_lo, s16
.LBB196_941:                            ;   in Loop: Header=BB196_510 Depth=1
	s_or_b32 exec_lo, exec_lo, s15
.LBB196_942:                            ;   in Loop: Header=BB196_510 Depth=1
	s_or_b32 exec_lo, exec_lo, s14
	s_mov_b32 s14, exec_lo
	v_cmpx_lt_u32_e32 0xffffff, v102
	s_cbranch_execz .LBB196_950
; %bb.943:                              ;   in Loop: Header=BB196_510 Depth=1
	v_mov_b32_e32 v11, v6
	v_mov_b32_e32 v24, v12
	v_cmp_ne_u32_sdwa s0, v102, v45 src0_sel:BYTE_3 src1_sel:DWORD
	v_mov_b32_e32 v23, v11
	s_and_saveexec_b32 s15, s0
	s_cbranch_execz .LBB196_949
; %bb.944:                              ;   in Loop: Header=BB196_510 Depth=1
	v_mov_b32_e32 v13, v6
	v_mov_b32_e32 v24, v14
	v_bfe_u32 v103, v102, 24, 7
	s_mov_b32 s16, exec_lo
	v_mov_b32_e32 v23, v13
	v_cmpx_ne_u32_e32 0x7f, v103
	s_cbranch_execz .LBB196_948
; %bb.945:                              ;   in Loop: Header=BB196_510 Depth=1
	v_and_b32_sdwa v5, v102, v48 dst_sel:DWORD dst_unused:UNUSED_PAD src0_sel:BYTE_3 src1_sel:DWORD
	v_lshrrev_b32_e32 v11, 3, v103
	s_mov_b32 s17, exec_lo
	v_cmpx_gt_u32_e32 8, v103
; %bb.946:                              ;   in Loop: Header=BB196_510 Depth=1
	v_ffbh_u32_e32 v11, v5
	v_min_u32_e32 v11, 32, v11
	v_subrev_nc_u32_e32 v13, 28, v11
	v_sub_nc_u32_e32 v11, 29, v11
	v_lshlrev_b64 v[23:24], v13, v[5:6]
	v_and_b32_e32 v5, 7, v23
; %bb.947:                              ;   in Loop: Header=BB196_510 Depth=1
	s_or_b32 exec_lo, exec_lo, s17
	v_lshlrev_b32_sdwa v13, v49, v102 dst_sel:DWORD dst_unused:UNUSED_PAD src0_sel:DWORD src1_sel:BYTE_3
	v_lshlrev_b32_e32 v5, 20, v5
	v_lshl_add_u32 v11, v11, 23, 0x3c000000
	v_mov_b32_e32 v23, v6
	v_and_b32_e32 v13, 0x80000000, v13
	v_or3_b32 v24, v5, v13, v11
.LBB196_948:                            ;   in Loop: Header=BB196_510 Depth=1
	s_or_b32 exec_lo, exec_lo, s16
.LBB196_949:                            ;   in Loop: Header=BB196_510 Depth=1
	s_or_b32 exec_lo, exec_lo, s15
.LBB196_950:                            ;   in Loop: Header=BB196_510 Depth=1
	s_or_b32 exec_lo, exec_lo, s14
	v_or_b32_e32 v5, v20, v18
	v_or_b32_e32 v11, v19, v17
	;; [unrolled: 1-line block ×4, first 2 shown]
	v_mul_f32_e32 v104, s13, v5
	v_mul_f32_e32 v105, s2, v11
	;; [unrolled: 1-line block ×4, first 2 shown]
	s_and_saveexec_b32 s14, vcc_lo
	s_cbranch_execz .LBB196_952
; %bb.951:                              ;   in Loop: Header=BB196_510 Depth=1
	v_cmp_gt_i32_e64 s0, s11, v55
	v_cndmask_b32_e64 v105, 0, v105, s0
	v_cmp_gt_i32_e64 s0, s11, v57
	v_cndmask_b32_e64 v104, 0, v104, s0
	;; [unrolled: 2-line block ×4, first 2 shown]
.LBB196_952:                            ;   in Loop: Header=BB196_510 Depth=1
	s_or_b32 exec_lo, exec_lo, s14
	global_load_dword v106, v[15:16], off offset:1664
	v_mov_b32_e32 v19, 0
	v_mov_b32_e32 v17, 0
	;; [unrolled: 1-line block ×4, first 2 shown]
	s_waitcnt vmcnt(0)
	v_cmp_ne_u16_sdwa s0, v106, v6 src0_sel:BYTE_0 src1_sel:DWORD
	s_and_saveexec_b32 s14, s0
	s_cbranch_execz .LBB196_960
; %bb.953:                              ;   in Loop: Header=BB196_510 Depth=1
	v_bfrev_b32_e32 v17, 1
	v_mov_b32_e32 v18, 0
	v_cmp_ne_u16_sdwa s0, v106, v45 src0_sel:BYTE_0 src1_sel:DWORD
	s_and_saveexec_b32 s15, s0
	s_cbranch_execz .LBB196_959
; %bb.954:                              ;   in Loop: Header=BB196_510 Depth=1
	v_mov_b32_e32 v17, 0x7f800001
	v_and_b32_e32 v13, 0x7f, v106
	v_mov_b32_e32 v18, 0
	s_mov_b32 s16, exec_lo
	v_cmpx_ne_u32_e32 0x7f, v13
	s_cbranch_execz .LBB196_958
; %bb.955:                              ;   in Loop: Header=BB196_510 Depth=1
	v_and_b32_e32 v5, 7, v106
	v_lshrrev_b32_e32 v11, 3, v13
	s_mov_b32 s17, exec_lo
	v_cmpx_gt_u32_e32 8, v13
; %bb.956:                              ;   in Loop: Header=BB196_510 Depth=1
	v_ffbh_u32_e32 v11, v5
	v_min_u32_e32 v11, 32, v11
	v_subrev_nc_u32_e32 v13, 28, v11
	v_sub_nc_u32_e32 v11, 29, v11
	v_lshlrev_b64 v[17:18], v13, v[5:6]
	v_and_b32_e32 v5, 7, v17
; %bb.957:                              ;   in Loop: Header=BB196_510 Depth=1
	s_or_b32 exec_lo, exec_lo, s17
	v_lshlrev_b32_e32 v13, 24, v106
	v_lshlrev_b32_e32 v5, 20, v5
	v_lshl_add_u32 v11, v11, 23, 0x3c000000
	v_and_b32_e32 v13, 0x80000000, v13
	v_or3_b32 v5, v5, v13, v11
	v_mov_b32_e32 v18, v6
	v_mov_b32_e32 v17, v5
.LBB196_958:                            ;   in Loop: Header=BB196_510 Depth=1
	s_or_b32 exec_lo, exec_lo, s16
.LBB196_959:                            ;   in Loop: Header=BB196_510 Depth=1
	s_or_b32 exec_lo, exec_lo, s15
.LBB196_960:                            ;   in Loop: Header=BB196_510 Depth=1
	s_or_b32 exec_lo, exec_lo, s14
	v_cmp_ne_u16_sdwa s0, v106, v6 src0_sel:BYTE_1 src1_sel:DWORD
	s_and_saveexec_b32 s14, s0
	s_cbranch_execz .LBB196_968
; %bb.961:                              ;   in Loop: Header=BB196_510 Depth=1
	v_mov_b32_e32 v11, v6
	v_mov_b32_e32 v20, v12
	v_cmp_ne_u16_sdwa s0, v106, v45 src0_sel:BYTE_1 src1_sel:DWORD
	v_mov_b32_e32 v19, v11
	s_and_saveexec_b32 s15, s0
	s_cbranch_execz .LBB196_967
; %bb.962:                              ;   in Loop: Header=BB196_510 Depth=1
	v_and_b32_sdwa v5, v46, v106 dst_sel:DWORD dst_unused:UNUSED_PAD src0_sel:DWORD src1_sel:BYTE_1
	v_mov_b32_e32 v13, v6
	v_mov_b32_e32 v20, v14
	s_mov_b32 s16, exec_lo
	v_and_b32_e32 v21, 0x7f, v5
	v_mov_b32_e32 v19, v13
	v_cmpx_ne_u32_e32 0x7f, v21
	s_cbranch_execz .LBB196_966
; %bb.963:                              ;   in Loop: Header=BB196_510 Depth=1
	v_and_b32_e32 v5, 7, v5
	v_lshrrev_b32_e32 v11, 3, v21
	s_mov_b32 s17, exec_lo
	v_cmpx_gt_u32_e32 8, v21
; %bb.964:                              ;   in Loop: Header=BB196_510 Depth=1
	v_ffbh_u32_e32 v11, v5
	v_min_u32_e32 v11, 32, v11
	v_subrev_nc_u32_e32 v13, 28, v11
	v_sub_nc_u32_e32 v11, 29, v11
	v_lshlrev_b64 v[19:20], v13, v[5:6]
	v_and_b32_e32 v5, 7, v19
; %bb.965:                              ;   in Loop: Header=BB196_510 Depth=1
	s_or_b32 exec_lo, exec_lo, s17
	v_lshlrev_b32_e32 v13, 16, v106
	v_lshlrev_b32_e32 v5, 20, v5
	v_lshl_add_u32 v11, v11, 23, 0x3c000000
	v_mov_b32_e32 v19, v6
	v_and_b32_e32 v13, 0x80000000, v13
	v_or3_b32 v20, v5, v13, v11
.LBB196_966:                            ;   in Loop: Header=BB196_510 Depth=1
	s_or_b32 exec_lo, exec_lo, s16
.LBB196_967:                            ;   in Loop: Header=BB196_510 Depth=1
	s_or_b32 exec_lo, exec_lo, s15
.LBB196_968:                            ;   in Loop: Header=BB196_510 Depth=1
	s_or_b32 exec_lo, exec_lo, s14
	v_mov_b32_e32 v23, 0
	v_mov_b32_e32 v21, 0
	v_and_b32_sdwa v5, v106, v47 dst_sel:DWORD dst_unused:UNUSED_PAD src0_sel:WORD_1 src1_sel:DWORD
	v_mov_b32_e32 v24, 0
	v_mov_b32_e32 v22, 0
	s_mov_b32 s14, exec_lo
	v_cmpx_ne_u16_e32 0, v5
	s_cbranch_execz .LBB196_976
; %bb.969:                              ;   in Loop: Header=BB196_510 Depth=1
	v_bfrev_b32_e32 v21, 1
	v_mov_b32_e32 v22, 0
	s_mov_b32 s15, exec_lo
	v_cmpx_ne_u16_e32 0x80, v5
	s_cbranch_execz .LBB196_975
; %bb.970:                              ;   in Loop: Header=BB196_510 Depth=1
	v_mov_b32_e32 v21, 0x7f800001
	v_bfe_u32 v13, v106, 16, 7
	v_mov_b32_e32 v22, 0
	s_mov_b32 s16, exec_lo
	v_cmpx_ne_u32_e32 0x7f, v13
	s_cbranch_execz .LBB196_974
; %bb.971:                              ;   in Loop: Header=BB196_510 Depth=1
	v_and_b32_sdwa v5, v106, v48 dst_sel:DWORD dst_unused:UNUSED_PAD src0_sel:WORD_1 src1_sel:DWORD
	v_lshrrev_b32_e32 v11, 3, v13
	s_mov_b32 s17, exec_lo
	v_cmpx_gt_u32_e32 8, v13
; %bb.972:                              ;   in Loop: Header=BB196_510 Depth=1
	v_ffbh_u32_e32 v11, v5
	v_min_u32_e32 v11, 32, v11
	v_subrev_nc_u32_e32 v13, 28, v11
	v_sub_nc_u32_e32 v11, 29, v11
	v_lshlrev_b64 v[21:22], v13, v[5:6]
	v_and_b32_e32 v5, 7, v21
; %bb.973:                              ;   in Loop: Header=BB196_510 Depth=1
	s_or_b32 exec_lo, exec_lo, s17
	v_lshlrev_b32_sdwa v13, v49, v106 dst_sel:DWORD dst_unused:UNUSED_PAD src0_sel:DWORD src1_sel:WORD_1
	v_lshlrev_b32_e32 v5, 20, v5
	v_lshl_add_u32 v11, v11, 23, 0x3c000000
	v_and_b32_e32 v13, 0x80000000, v13
	v_or3_b32 v5, v5, v13, v11
	v_mov_b32_e32 v22, v6
	v_mov_b32_e32 v21, v5
.LBB196_974:                            ;   in Loop: Header=BB196_510 Depth=1
	s_or_b32 exec_lo, exec_lo, s16
.LBB196_975:                            ;   in Loop: Header=BB196_510 Depth=1
	s_or_b32 exec_lo, exec_lo, s15
.LBB196_976:                            ;   in Loop: Header=BB196_510 Depth=1
	s_or_b32 exec_lo, exec_lo, s14
	s_mov_b32 s14, exec_lo
	v_cmpx_lt_u32_e32 0xffffff, v106
	s_cbranch_execz .LBB196_984
; %bb.977:                              ;   in Loop: Header=BB196_510 Depth=1
	v_mov_b32_e32 v11, v6
	v_mov_b32_e32 v24, v12
	v_cmp_ne_u32_sdwa s0, v106, v45 src0_sel:BYTE_3 src1_sel:DWORD
	v_mov_b32_e32 v23, v11
	s_and_saveexec_b32 s15, s0
	s_cbranch_execz .LBB196_983
; %bb.978:                              ;   in Loop: Header=BB196_510 Depth=1
	v_mov_b32_e32 v13, v6
	v_mov_b32_e32 v24, v14
	v_bfe_u32 v107, v106, 24, 7
	s_mov_b32 s16, exec_lo
	v_mov_b32_e32 v23, v13
	v_cmpx_ne_u32_e32 0x7f, v107
	s_cbranch_execz .LBB196_982
; %bb.979:                              ;   in Loop: Header=BB196_510 Depth=1
	v_and_b32_sdwa v5, v106, v48 dst_sel:DWORD dst_unused:UNUSED_PAD src0_sel:BYTE_3 src1_sel:DWORD
	v_lshrrev_b32_e32 v11, 3, v107
	s_mov_b32 s17, exec_lo
	v_cmpx_gt_u32_e32 8, v107
; %bb.980:                              ;   in Loop: Header=BB196_510 Depth=1
	v_ffbh_u32_e32 v11, v5
	v_min_u32_e32 v11, 32, v11
	v_subrev_nc_u32_e32 v13, 28, v11
	v_sub_nc_u32_e32 v11, 29, v11
	v_lshlrev_b64 v[23:24], v13, v[5:6]
	v_and_b32_e32 v5, 7, v23
; %bb.981:                              ;   in Loop: Header=BB196_510 Depth=1
	s_or_b32 exec_lo, exec_lo, s17
	v_lshlrev_b32_sdwa v13, v49, v106 dst_sel:DWORD dst_unused:UNUSED_PAD src0_sel:DWORD src1_sel:BYTE_3
	v_lshlrev_b32_e32 v5, 20, v5
	v_lshl_add_u32 v11, v11, 23, 0x3c000000
	v_mov_b32_e32 v23, v6
	v_and_b32_e32 v13, 0x80000000, v13
	v_or3_b32 v24, v5, v13, v11
.LBB196_982:                            ;   in Loop: Header=BB196_510 Depth=1
	s_or_b32 exec_lo, exec_lo, s16
.LBB196_983:                            ;   in Loop: Header=BB196_510 Depth=1
	s_or_b32 exec_lo, exec_lo, s15
.LBB196_984:                            ;   in Loop: Header=BB196_510 Depth=1
	s_or_b32 exec_lo, exec_lo, s14
	v_or_b32_e32 v5, v20, v18
	v_or_b32_e32 v11, v19, v17
	;; [unrolled: 1-line block ×4, first 2 shown]
	v_mul_f32_e32 v106, s13, v5
	v_mul_f32_e32 v107, s2, v11
	;; [unrolled: 1-line block ×4, first 2 shown]
	s_and_saveexec_b32 s14, vcc_lo
	s_cbranch_execz .LBB196_986
; %bb.985:                              ;   in Loop: Header=BB196_510 Depth=1
	v_cmp_gt_i32_e64 s0, s11, v55
	v_cndmask_b32_e64 v107, 0, v107, s0
	v_cmp_gt_i32_e64 s0, s11, v57
	v_cndmask_b32_e64 v106, 0, v106, s0
	;; [unrolled: 2-line block ×4, first 2 shown]
.LBB196_986:                            ;   in Loop: Header=BB196_510 Depth=1
	s_or_b32 exec_lo, exec_lo, s14
	global_load_dword v108, v[15:16], off offset:1792
	v_mov_b32_e32 v17, 0
	v_mov_b32_e32 v15, 0
	;; [unrolled: 1-line block ×4, first 2 shown]
	s_waitcnt vmcnt(0)
	v_cmp_ne_u16_sdwa s0, v108, v6 src0_sel:BYTE_0 src1_sel:DWORD
	s_and_saveexec_b32 s14, s0
	s_cbranch_execz .LBB196_994
; %bb.987:                              ;   in Loop: Header=BB196_510 Depth=1
	v_bfrev_b32_e32 v15, 1
	v_mov_b32_e32 v16, 0
	v_cmp_ne_u16_sdwa s0, v108, v45 src0_sel:BYTE_0 src1_sel:DWORD
	s_and_saveexec_b32 s15, s0
	s_cbranch_execz .LBB196_993
; %bb.988:                              ;   in Loop: Header=BB196_510 Depth=1
	v_mov_b32_e32 v15, 0x7f800001
	v_and_b32_e32 v13, 0x7f, v108
	v_mov_b32_e32 v16, 0
	s_mov_b32 s16, exec_lo
	v_cmpx_ne_u32_e32 0x7f, v13
	s_cbranch_execz .LBB196_992
; %bb.989:                              ;   in Loop: Header=BB196_510 Depth=1
	v_and_b32_e32 v5, 7, v108
	v_lshrrev_b32_e32 v11, 3, v13
	s_mov_b32 s17, exec_lo
	v_cmpx_gt_u32_e32 8, v13
; %bb.990:                              ;   in Loop: Header=BB196_510 Depth=1
	v_ffbh_u32_e32 v11, v5
	v_min_u32_e32 v11, 32, v11
	v_subrev_nc_u32_e32 v13, 28, v11
	v_sub_nc_u32_e32 v11, 29, v11
	v_lshlrev_b64 v[15:16], v13, v[5:6]
	v_and_b32_e32 v5, 7, v15
; %bb.991:                              ;   in Loop: Header=BB196_510 Depth=1
	s_or_b32 exec_lo, exec_lo, s17
	v_lshlrev_b32_e32 v13, 24, v108
	v_lshlrev_b32_e32 v5, 20, v5
	v_lshl_add_u32 v11, v11, 23, 0x3c000000
	v_and_b32_e32 v13, 0x80000000, v13
	v_or3_b32 v5, v5, v13, v11
	v_mov_b32_e32 v16, v6
	v_mov_b32_e32 v15, v5
.LBB196_992:                            ;   in Loop: Header=BB196_510 Depth=1
	s_or_b32 exec_lo, exec_lo, s16
.LBB196_993:                            ;   in Loop: Header=BB196_510 Depth=1
	s_or_b32 exec_lo, exec_lo, s15
.LBB196_994:                            ;   in Loop: Header=BB196_510 Depth=1
	s_or_b32 exec_lo, exec_lo, s14
	v_cmp_ne_u16_sdwa s0, v108, v6 src0_sel:BYTE_1 src1_sel:DWORD
	s_and_saveexec_b32 s14, s0
	s_cbranch_execz .LBB196_1002
; %bb.995:                              ;   in Loop: Header=BB196_510 Depth=1
	v_mov_b32_e32 v11, v6
	v_mov_b32_e32 v18, v12
	v_cmp_ne_u16_sdwa s0, v108, v45 src0_sel:BYTE_1 src1_sel:DWORD
	v_mov_b32_e32 v17, v11
	s_and_saveexec_b32 s15, s0
	s_cbranch_execz .LBB196_1001
; %bb.996:                              ;   in Loop: Header=BB196_510 Depth=1
	v_and_b32_sdwa v5, v46, v108 dst_sel:DWORD dst_unused:UNUSED_PAD src0_sel:DWORD src1_sel:BYTE_1
	v_mov_b32_e32 v13, v6
	v_mov_b32_e32 v18, v14
	s_mov_b32 s16, exec_lo
	v_and_b32_e32 v19, 0x7f, v5
	v_mov_b32_e32 v17, v13
	v_cmpx_ne_u32_e32 0x7f, v19
	s_cbranch_execz .LBB196_1000
; %bb.997:                              ;   in Loop: Header=BB196_510 Depth=1
	v_and_b32_e32 v5, 7, v5
	v_lshrrev_b32_e32 v11, 3, v19
	s_mov_b32 s17, exec_lo
	v_cmpx_gt_u32_e32 8, v19
; %bb.998:                              ;   in Loop: Header=BB196_510 Depth=1
	v_ffbh_u32_e32 v11, v5
	v_min_u32_e32 v11, 32, v11
	v_subrev_nc_u32_e32 v13, 28, v11
	v_sub_nc_u32_e32 v11, 29, v11
	v_lshlrev_b64 v[17:18], v13, v[5:6]
	v_and_b32_e32 v5, 7, v17
; %bb.999:                              ;   in Loop: Header=BB196_510 Depth=1
	s_or_b32 exec_lo, exec_lo, s17
	v_lshlrev_b32_e32 v13, 16, v108
	v_lshlrev_b32_e32 v5, 20, v5
	v_lshl_add_u32 v11, v11, 23, 0x3c000000
	v_mov_b32_e32 v17, v6
	v_and_b32_e32 v13, 0x80000000, v13
	v_or3_b32 v18, v5, v13, v11
.LBB196_1000:                           ;   in Loop: Header=BB196_510 Depth=1
	s_or_b32 exec_lo, exec_lo, s16
.LBB196_1001:                           ;   in Loop: Header=BB196_510 Depth=1
	s_or_b32 exec_lo, exec_lo, s15
.LBB196_1002:                           ;   in Loop: Header=BB196_510 Depth=1
	s_or_b32 exec_lo, exec_lo, s14
	v_mov_b32_e32 v21, 0
	v_mov_b32_e32 v19, 0
	v_and_b32_sdwa v5, v108, v47 dst_sel:DWORD dst_unused:UNUSED_PAD src0_sel:WORD_1 src1_sel:DWORD
	v_mov_b32_e32 v22, 0
	v_mov_b32_e32 v20, 0
	s_mov_b32 s14, exec_lo
	v_cmpx_ne_u16_e32 0, v5
	s_cbranch_execz .LBB196_1010
; %bb.1003:                             ;   in Loop: Header=BB196_510 Depth=1
	v_bfrev_b32_e32 v19, 1
	v_mov_b32_e32 v20, 0
	s_mov_b32 s15, exec_lo
	v_cmpx_ne_u16_e32 0x80, v5
	s_cbranch_execz .LBB196_1009
; %bb.1004:                             ;   in Loop: Header=BB196_510 Depth=1
	v_mov_b32_e32 v19, 0x7f800001
	v_bfe_u32 v13, v108, 16, 7
	v_mov_b32_e32 v20, 0
	s_mov_b32 s16, exec_lo
	v_cmpx_ne_u32_e32 0x7f, v13
	s_cbranch_execz .LBB196_1008
; %bb.1005:                             ;   in Loop: Header=BB196_510 Depth=1
	v_and_b32_sdwa v5, v108, v48 dst_sel:DWORD dst_unused:UNUSED_PAD src0_sel:WORD_1 src1_sel:DWORD
	v_lshrrev_b32_e32 v11, 3, v13
	s_mov_b32 s17, exec_lo
	v_cmpx_gt_u32_e32 8, v13
; %bb.1006:                             ;   in Loop: Header=BB196_510 Depth=1
	v_ffbh_u32_e32 v11, v5
	v_min_u32_e32 v11, 32, v11
	v_subrev_nc_u32_e32 v13, 28, v11
	v_sub_nc_u32_e32 v11, 29, v11
	v_lshlrev_b64 v[19:20], v13, v[5:6]
	v_and_b32_e32 v5, 7, v19
; %bb.1007:                             ;   in Loop: Header=BB196_510 Depth=1
	s_or_b32 exec_lo, exec_lo, s17
	v_lshlrev_b32_sdwa v13, v49, v108 dst_sel:DWORD dst_unused:UNUSED_PAD src0_sel:DWORD src1_sel:WORD_1
	v_lshlrev_b32_e32 v5, 20, v5
	v_lshl_add_u32 v11, v11, 23, 0x3c000000
	v_and_b32_e32 v13, 0x80000000, v13
	v_or3_b32 v5, v5, v13, v11
	v_mov_b32_e32 v20, v6
	v_mov_b32_e32 v19, v5
.LBB196_1008:                           ;   in Loop: Header=BB196_510 Depth=1
	s_or_b32 exec_lo, exec_lo, s16
.LBB196_1009:                           ;   in Loop: Header=BB196_510 Depth=1
	s_or_b32 exec_lo, exec_lo, s15
.LBB196_1010:                           ;   in Loop: Header=BB196_510 Depth=1
	s_or_b32 exec_lo, exec_lo, s14
	s_mov_b32 s14, exec_lo
	v_cmpx_lt_u32_e32 0xffffff, v108
	s_cbranch_execz .LBB196_1018
; %bb.1011:                             ;   in Loop: Header=BB196_510 Depth=1
	v_mov_b32_e32 v11, v6
	v_mov_b32_e32 v22, v12
	v_cmp_ne_u32_sdwa s0, v108, v45 src0_sel:BYTE_3 src1_sel:DWORD
	v_mov_b32_e32 v21, v11
	s_and_saveexec_b32 s15, s0
	s_cbranch_execz .LBB196_1017
; %bb.1012:                             ;   in Loop: Header=BB196_510 Depth=1
	v_mov_b32_e32 v13, v6
	v_mov_b32_e32 v22, v14
	v_bfe_u32 v109, v108, 24, 7
	s_mov_b32 s16, exec_lo
	v_mov_b32_e32 v21, v13
	v_cmpx_ne_u32_e32 0x7f, v109
	s_cbranch_execz .LBB196_1016
; %bb.1013:                             ;   in Loop: Header=BB196_510 Depth=1
	v_and_b32_sdwa v5, v108, v48 dst_sel:DWORD dst_unused:UNUSED_PAD src0_sel:BYTE_3 src1_sel:DWORD
	v_lshrrev_b32_e32 v11, 3, v109
	s_mov_b32 s17, exec_lo
	v_cmpx_gt_u32_e32 8, v109
; %bb.1014:                             ;   in Loop: Header=BB196_510 Depth=1
	v_ffbh_u32_e32 v11, v5
	v_min_u32_e32 v11, 32, v11
	v_subrev_nc_u32_e32 v13, 28, v11
	v_sub_nc_u32_e32 v11, 29, v11
	v_lshlrev_b64 v[21:22], v13, v[5:6]
	v_and_b32_e32 v5, 7, v21
; %bb.1015:                             ;   in Loop: Header=BB196_510 Depth=1
	s_or_b32 exec_lo, exec_lo, s17
	v_lshlrev_b32_sdwa v13, v49, v108 dst_sel:DWORD dst_unused:UNUSED_PAD src0_sel:DWORD src1_sel:BYTE_3
	v_lshlrev_b32_e32 v5, 20, v5
	v_lshl_add_u32 v11, v11, 23, 0x3c000000
	v_mov_b32_e32 v21, v6
	v_and_b32_e32 v13, 0x80000000, v13
	v_or3_b32 v22, v5, v13, v11
.LBB196_1016:                           ;   in Loop: Header=BB196_510 Depth=1
	s_or_b32 exec_lo, exec_lo, s16
.LBB196_1017:                           ;   in Loop: Header=BB196_510 Depth=1
	s_or_b32 exec_lo, exec_lo, s15
.LBB196_1018:                           ;   in Loop: Header=BB196_510 Depth=1
	s_or_b32 exec_lo, exec_lo, s14
	v_or_b32_e32 v5, v18, v16
	v_or_b32_e32 v11, v17, v15
	;; [unrolled: 1-line block ×4, first 2 shown]
	v_mul_f32_e32 v13, s13, v5
	v_mul_f32_e32 v15, s2, v11
	;; [unrolled: 1-line block ×4, first 2 shown]
	s_and_saveexec_b32 s0, vcc_lo
	s_cbranch_execz .LBB196_509
; %bb.1019:                             ;   in Loop: Header=BB196_510 Depth=1
	v_cmp_gt_i32_e32 vcc_lo, s11, v55
	v_cndmask_b32_e32 v15, 0, v15, vcc_lo
	v_cmp_gt_i32_e32 vcc_lo, s11, v57
	v_cndmask_b32_e32 v13, 0, v13, vcc_lo
	v_cmp_gt_i32_e32 vcc_lo, s11, v56
	v_cndmask_b32_e32 v11, 0, v11, vcc_lo
	v_cmp_gt_i32_e32 vcc_lo, s11, v43
	v_cndmask_b32_e32 v5, 0, v5, vcc_lo
	s_branch .LBB196_509
.LBB196_1020:
	s_or_b32 exec_lo, exec_lo, s5
.LBB196_1021:
	s_or_b32 exec_lo, exec_lo, s1
	ds_bpermute_b32 v1, v26, v40
	ds_bpermute_b32 v2, v26, v42
	;; [unrolled: 1-line block ×15, first 2 shown]
	s_mov_b32 s0, exec_lo
	s_waitcnt lgkmcnt(0)
	s_barrier
	buffer_gl0_inv
	v_add_f32_e32 v1, v40, v1
	v_add_f32_e32 v2, v42, v2
	;; [unrolled: 1-line block ×7, first 2 shown]
	ds_bpermute_b32 v16, v27, v1
	v_add_f32_e32 v8, v35, v8
	v_add_f32_e32 v9, v34, v9
	;; [unrolled: 1-line block ×8, first 2 shown]
	ds_bpermute_b32 v17, v27, v2
	ds_bpermute_b32 v18, v27, v3
	;; [unrolled: 1-line block ×14, first 2 shown]
	s_waitcnt lgkmcnt(14)
	v_add_f32_e32 v0, v1, v16
	v_and_b32_e32 v16, 28, v25
	s_waitcnt lgkmcnt(13)
	v_add_f32_e32 v1, v2, v17
	s_waitcnt lgkmcnt(12)
	v_add_f32_e32 v2, v3, v18
	;; [unrolled: 2-line block ×13, first 2 shown]
	v_and_b32_e32 v18, 0x3c3, v110
	s_waitcnt lgkmcnt(0)
	v_add_f32_e32 v14, v15, v27
	v_lshrrev_b32_e32 v15, 2, v25
	v_add_nc_u32_e32 v16, 0x200, v16
	v_mul_u32_u24_e32 v17, 0x1e0, v111
	v_cmpx_eq_u32_e32 64, v18
	s_cbranch_execz .LBB196_1023
; %bb.1022:
	v_add_nc_u32_e32 v18, v16, v17
	v_add_nc_u32_e32 v19, 0xfffffc40, v18
	;; [unrolled: 1-line block ×6, first 2 shown]
	ds_write_b32 v19, v0
	ds_write_b32 v20, v1
	;; [unrolled: 1-line block ×5, first 2 shown]
	v_add_nc_u32_e32 v19, 0xfffffce0, v18
	v_add_nc_u32_e32 v20, 0xfffffd00, v18
	;; [unrolled: 1-line block ×5, first 2 shown]
	ds_write_b32 v19, v5
	ds_write_b32 v20, v6
	;; [unrolled: 1-line block ×5, first 2 shown]
	v_add_nc_u32_e32 v19, 0xfffffd80, v18
	v_add_nc_u32_e32 v20, 0xfffffda0, v18
	;; [unrolled: 1-line block ×5, first 2 shown]
	ds_write_b32 v19, v10
	ds_write_b32 v20, v11
	;; [unrolled: 1-line block ×5, first 2 shown]
.LBB196_1023:
	s_or_b32 exec_lo, exec_lo, s0
	v_lshlrev_b32_e32 v15, 2, v15
	s_mov_b32 s1, exec_lo
	v_cmp_eq_u32_e32 vcc_lo, 0, v28
	s_waitcnt lgkmcnt(0)
	s_barrier
	v_add3_u32 v15, 0x200, v17, v15
	buffer_gl0_inv
	v_cmpx_gt_u32_e32 64, v110
	s_cbranch_execz .LBB196_1041
; %bb.1024:
	s_and_saveexec_b32 s0, vcc_lo
	s_cbranch_execnz .LBB196_1064
; %bb.1025:
	s_or_b32 exec_lo, exec_lo, s0
	s_and_saveexec_b32 s0, vcc_lo
	s_cbranch_execnz .LBB196_1065
.LBB196_1026:
	s_or_b32 exec_lo, exec_lo, s0
	s_and_saveexec_b32 s0, vcc_lo
	s_cbranch_execnz .LBB196_1066
.LBB196_1027:
	s_or_b32 exec_lo, exec_lo, s0
	s_and_saveexec_b32 s0, vcc_lo
	s_cbranch_execnz .LBB196_1067
.LBB196_1028:
	s_or_b32 exec_lo, exec_lo, s0
	s_and_saveexec_b32 s0, vcc_lo
	s_cbranch_execnz .LBB196_1068
.LBB196_1029:
	s_or_b32 exec_lo, exec_lo, s0
	s_and_saveexec_b32 s0, vcc_lo
	s_cbranch_execnz .LBB196_1069
.LBB196_1030:
	s_or_b32 exec_lo, exec_lo, s0
	s_and_saveexec_b32 s0, vcc_lo
	s_cbranch_execnz .LBB196_1070
.LBB196_1031:
	s_or_b32 exec_lo, exec_lo, s0
	s_and_saveexec_b32 s0, vcc_lo
	s_cbranch_execnz .LBB196_1071
.LBB196_1032:
	s_or_b32 exec_lo, exec_lo, s0
	s_and_saveexec_b32 s0, vcc_lo
	s_cbranch_execnz .LBB196_1072
.LBB196_1033:
	s_or_b32 exec_lo, exec_lo, s0
	s_and_saveexec_b32 s0, vcc_lo
	s_cbranch_execnz .LBB196_1073
.LBB196_1034:
	s_or_b32 exec_lo, exec_lo, s0
	s_and_saveexec_b32 s0, vcc_lo
	s_cbranch_execnz .LBB196_1074
.LBB196_1035:
	s_or_b32 exec_lo, exec_lo, s0
	s_and_saveexec_b32 s0, vcc_lo
	s_cbranch_execnz .LBB196_1075
.LBB196_1036:
	s_or_b32 exec_lo, exec_lo, s0
	s_and_saveexec_b32 s0, vcc_lo
	s_cbranch_execnz .LBB196_1076
.LBB196_1037:
	s_or_b32 exec_lo, exec_lo, s0
	s_and_saveexec_b32 s0, vcc_lo
	s_cbranch_execnz .LBB196_1077
.LBB196_1038:
	s_or_b32 exec_lo, exec_lo, s0
	s_and_saveexec_b32 s0, vcc_lo
	s_cbranch_execz .LBB196_1040
.LBB196_1039:
	ds_read_b32 v17, v15 offset:448
	s_waitcnt lgkmcnt(0)
	v_add_f32_e32 v14, v14, v17
.LBB196_1040:
	s_or_b32 exec_lo, exec_lo, s0
.LBB196_1041:
	s_or_b32 exec_lo, exec_lo, s1
	v_and_b32_e32 v17, 0x3e3, v110
	s_mov_b32 s1, exec_lo
	s_barrier
	buffer_gl0_inv
	v_cmpx_eq_u32_e32 32, v17
	s_cbranch_execz .LBB196_1043
; %bb.1042:
	ds_write2_b32 v16, v0, v1 offset1:8
	ds_write2_b32 v16, v2, v3 offset0:16 offset1:24
	ds_write2_b32 v16, v4, v5 offset0:32 offset1:40
	;; [unrolled: 1-line block ×6, first 2 shown]
	ds_write_b32 v16, v14 offset:448
.LBB196_1043:
	s_or_b32 exec_lo, exec_lo, s1
	s_mov_b32 s1, exec_lo
	s_waitcnt lgkmcnt(0)
	s_barrier
	buffer_gl0_inv
	v_cmpx_gt_u32_e32 32, v110
	s_cbranch_execz .LBB196_1061
; %bb.1044:
	s_and_saveexec_b32 s0, vcc_lo
	s_cbranch_execnz .LBB196_1078
; %bb.1045:
	s_or_b32 exec_lo, exec_lo, s0
	s_and_saveexec_b32 s0, vcc_lo
	s_cbranch_execnz .LBB196_1079
.LBB196_1046:
	s_or_b32 exec_lo, exec_lo, s0
	s_and_saveexec_b32 s0, vcc_lo
	s_cbranch_execnz .LBB196_1080
.LBB196_1047:
	s_or_b32 exec_lo, exec_lo, s0
	s_and_saveexec_b32 s0, vcc_lo
	s_cbranch_execnz .LBB196_1081
.LBB196_1048:
	s_or_b32 exec_lo, exec_lo, s0
	s_and_saveexec_b32 s0, vcc_lo
	s_cbranch_execnz .LBB196_1082
.LBB196_1049:
	s_or_b32 exec_lo, exec_lo, s0
	s_and_saveexec_b32 s0, vcc_lo
	s_cbranch_execnz .LBB196_1083
.LBB196_1050:
	s_or_b32 exec_lo, exec_lo, s0
	s_and_saveexec_b32 s0, vcc_lo
	s_cbranch_execnz .LBB196_1084
.LBB196_1051:
	s_or_b32 exec_lo, exec_lo, s0
	s_and_saveexec_b32 s0, vcc_lo
	s_cbranch_execnz .LBB196_1085
.LBB196_1052:
	s_or_b32 exec_lo, exec_lo, s0
	s_and_saveexec_b32 s0, vcc_lo
	s_cbranch_execnz .LBB196_1086
.LBB196_1053:
	s_or_b32 exec_lo, exec_lo, s0
	s_and_saveexec_b32 s0, vcc_lo
	s_cbranch_execnz .LBB196_1087
.LBB196_1054:
	s_or_b32 exec_lo, exec_lo, s0
	s_and_saveexec_b32 s0, vcc_lo
	s_cbranch_execnz .LBB196_1088
.LBB196_1055:
	s_or_b32 exec_lo, exec_lo, s0
	s_and_saveexec_b32 s0, vcc_lo
	s_cbranch_execnz .LBB196_1089
.LBB196_1056:
	s_or_b32 exec_lo, exec_lo, s0
	s_and_saveexec_b32 s0, vcc_lo
	s_cbranch_execnz .LBB196_1090
.LBB196_1057:
	s_or_b32 exec_lo, exec_lo, s0
	s_and_saveexec_b32 s0, vcc_lo
	s_cbranch_execnz .LBB196_1091
.LBB196_1058:
	s_or_b32 exec_lo, exec_lo, s0
	s_and_saveexec_b32 s0, vcc_lo
	s_cbranch_execz .LBB196_1060
.LBB196_1059:
	ds_read_b32 v15, v15 offset:448
	s_waitcnt lgkmcnt(0)
	v_add_f32_e32 v14, v14, v15
.LBB196_1060:
	s_or_b32 exec_lo, exec_lo, s0
.LBB196_1061:
	s_or_b32 exec_lo, exec_lo, s1
	s_barrier
	buffer_gl0_inv
	s_mov_b32 s0, exec_lo
	v_cmpx_eq_u32_e32 0, v17
	s_cbranch_execz .LBB196_1063
; %bb.1062:
	s_mul_i32 s0, s10, s7
	s_mul_i32 s2, s7, s6
	;; [unrolled: 1-line block ×3, first 2 shown]
	s_mulk_i32 s0, 0x78
	s_ashr_i32 s1, s0, 31
	s_lshl_b64 s[0:1], s[0:1], 2
	s_add_u32 s4, s20, s0
	s_addc_u32 s5, s21, s1
	s_ashr_i32 s3, s2, 31
	s_lshl_b64 s[0:1], s[2:3], 2
	s_mul_i32 s2, s8, 0x78
	s_add_u32 s4, s4, s0
	s_addc_u32 s5, s5, s1
	s_ashr_i32 s3, s2, 31
	s_lshl_b64 s[0:1], s[2:3], 2
	s_add_u32 s0, s4, s0
	s_addc_u32 s1, s5, s1
	global_store_dword v110, v0, s[0:1]
	global_store_dword v110, v1, s[0:1] offset:32
	global_store_dword v110, v2, s[0:1] offset:64
	;; [unrolled: 1-line block ×14, first 2 shown]
.LBB196_1063:
	s_endpgm
.LBB196_1064:
	ds_read_b32 v17, v15
	s_waitcnt lgkmcnt(0)
	v_add_f32_e32 v0, v0, v17
	s_or_b32 exec_lo, exec_lo, s0
	s_and_saveexec_b32 s0, vcc_lo
	s_cbranch_execz .LBB196_1026
.LBB196_1065:
	ds_read_b32 v17, v15 offset:32
	s_waitcnt lgkmcnt(0)
	v_add_f32_e32 v1, v1, v17
	s_or_b32 exec_lo, exec_lo, s0
	s_and_saveexec_b32 s0, vcc_lo
	s_cbranch_execz .LBB196_1027
.LBB196_1066:
	ds_read_b32 v17, v15 offset:64
	s_waitcnt lgkmcnt(0)
	v_add_f32_e32 v2, v2, v17
	s_or_b32 exec_lo, exec_lo, s0
	s_and_saveexec_b32 s0, vcc_lo
	s_cbranch_execz .LBB196_1028
.LBB196_1067:
	ds_read_b32 v17, v15 offset:96
	s_waitcnt lgkmcnt(0)
	v_add_f32_e32 v3, v3, v17
	s_or_b32 exec_lo, exec_lo, s0
	s_and_saveexec_b32 s0, vcc_lo
	s_cbranch_execz .LBB196_1029
.LBB196_1068:
	ds_read_b32 v17, v15 offset:128
	s_waitcnt lgkmcnt(0)
	v_add_f32_e32 v4, v4, v17
	s_or_b32 exec_lo, exec_lo, s0
	s_and_saveexec_b32 s0, vcc_lo
	s_cbranch_execz .LBB196_1030
.LBB196_1069:
	ds_read_b32 v17, v15 offset:160
	s_waitcnt lgkmcnt(0)
	v_add_f32_e32 v5, v5, v17
	s_or_b32 exec_lo, exec_lo, s0
	s_and_saveexec_b32 s0, vcc_lo
	s_cbranch_execz .LBB196_1031
.LBB196_1070:
	ds_read_b32 v17, v15 offset:192
	s_waitcnt lgkmcnt(0)
	v_add_f32_e32 v6, v6, v17
	s_or_b32 exec_lo, exec_lo, s0
	s_and_saveexec_b32 s0, vcc_lo
	s_cbranch_execz .LBB196_1032
.LBB196_1071:
	ds_read_b32 v17, v15 offset:224
	s_waitcnt lgkmcnt(0)
	v_add_f32_e32 v7, v7, v17
	s_or_b32 exec_lo, exec_lo, s0
	s_and_saveexec_b32 s0, vcc_lo
	s_cbranch_execz .LBB196_1033
.LBB196_1072:
	ds_read_b32 v17, v15 offset:256
	s_waitcnt lgkmcnt(0)
	v_add_f32_e32 v8, v8, v17
	s_or_b32 exec_lo, exec_lo, s0
	s_and_saveexec_b32 s0, vcc_lo
	s_cbranch_execz .LBB196_1034
.LBB196_1073:
	ds_read_b32 v17, v15 offset:288
	s_waitcnt lgkmcnt(0)
	v_add_f32_e32 v9, v9, v17
	s_or_b32 exec_lo, exec_lo, s0
	s_and_saveexec_b32 s0, vcc_lo
	s_cbranch_execz .LBB196_1035
.LBB196_1074:
	ds_read_b32 v17, v15 offset:320
	s_waitcnt lgkmcnt(0)
	v_add_f32_e32 v10, v10, v17
	s_or_b32 exec_lo, exec_lo, s0
	s_and_saveexec_b32 s0, vcc_lo
	s_cbranch_execz .LBB196_1036
.LBB196_1075:
	ds_read_b32 v17, v15 offset:352
	s_waitcnt lgkmcnt(0)
	v_add_f32_e32 v11, v11, v17
	s_or_b32 exec_lo, exec_lo, s0
	s_and_saveexec_b32 s0, vcc_lo
	s_cbranch_execz .LBB196_1037
.LBB196_1076:
	ds_read_b32 v17, v15 offset:384
	s_waitcnt lgkmcnt(0)
	v_add_f32_e32 v12, v12, v17
	s_or_b32 exec_lo, exec_lo, s0
	s_and_saveexec_b32 s0, vcc_lo
	s_cbranch_execz .LBB196_1038
.LBB196_1077:
	ds_read_b32 v17, v15 offset:416
	s_waitcnt lgkmcnt(0)
	v_add_f32_e32 v13, v13, v17
	s_or_b32 exec_lo, exec_lo, s0
	s_and_saveexec_b32 s0, vcc_lo
	s_cbranch_execnz .LBB196_1039
	s_branch .LBB196_1040
.LBB196_1078:
	ds_read_b32 v16, v15
	s_waitcnt lgkmcnt(0)
	v_add_f32_e32 v0, v0, v16
	s_or_b32 exec_lo, exec_lo, s0
	s_and_saveexec_b32 s0, vcc_lo
	s_cbranch_execz .LBB196_1046
.LBB196_1079:
	ds_read_b32 v16, v15 offset:32
	s_waitcnt lgkmcnt(0)
	v_add_f32_e32 v1, v1, v16
	s_or_b32 exec_lo, exec_lo, s0
	s_and_saveexec_b32 s0, vcc_lo
	s_cbranch_execz .LBB196_1047
.LBB196_1080:
	ds_read_b32 v16, v15 offset:64
	s_waitcnt lgkmcnt(0)
	v_add_f32_e32 v2, v2, v16
	s_or_b32 exec_lo, exec_lo, s0
	s_and_saveexec_b32 s0, vcc_lo
	s_cbranch_execz .LBB196_1048
.LBB196_1081:
	ds_read_b32 v16, v15 offset:96
	s_waitcnt lgkmcnt(0)
	v_add_f32_e32 v3, v3, v16
	s_or_b32 exec_lo, exec_lo, s0
	s_and_saveexec_b32 s0, vcc_lo
	s_cbranch_execz .LBB196_1049
.LBB196_1082:
	ds_read_b32 v16, v15 offset:128
	s_waitcnt lgkmcnt(0)
	v_add_f32_e32 v4, v4, v16
	s_or_b32 exec_lo, exec_lo, s0
	s_and_saveexec_b32 s0, vcc_lo
	s_cbranch_execz .LBB196_1050
.LBB196_1083:
	ds_read_b32 v16, v15 offset:160
	s_waitcnt lgkmcnt(0)
	v_add_f32_e32 v5, v5, v16
	s_or_b32 exec_lo, exec_lo, s0
	s_and_saveexec_b32 s0, vcc_lo
	s_cbranch_execz .LBB196_1051
.LBB196_1084:
	ds_read_b32 v16, v15 offset:192
	s_waitcnt lgkmcnt(0)
	v_add_f32_e32 v6, v6, v16
	s_or_b32 exec_lo, exec_lo, s0
	s_and_saveexec_b32 s0, vcc_lo
	s_cbranch_execz .LBB196_1052
.LBB196_1085:
	ds_read_b32 v16, v15 offset:224
	s_waitcnt lgkmcnt(0)
	v_add_f32_e32 v7, v7, v16
	s_or_b32 exec_lo, exec_lo, s0
	s_and_saveexec_b32 s0, vcc_lo
	s_cbranch_execz .LBB196_1053
.LBB196_1086:
	ds_read_b32 v16, v15 offset:256
	s_waitcnt lgkmcnt(0)
	v_add_f32_e32 v8, v8, v16
	s_or_b32 exec_lo, exec_lo, s0
	s_and_saveexec_b32 s0, vcc_lo
	s_cbranch_execz .LBB196_1054
.LBB196_1087:
	ds_read_b32 v16, v15 offset:288
	s_waitcnt lgkmcnt(0)
	v_add_f32_e32 v9, v9, v16
	s_or_b32 exec_lo, exec_lo, s0
	s_and_saveexec_b32 s0, vcc_lo
	s_cbranch_execz .LBB196_1055
.LBB196_1088:
	ds_read_b32 v16, v15 offset:320
	s_waitcnt lgkmcnt(0)
	v_add_f32_e32 v10, v10, v16
	s_or_b32 exec_lo, exec_lo, s0
	s_and_saveexec_b32 s0, vcc_lo
	s_cbranch_execz .LBB196_1056
.LBB196_1089:
	ds_read_b32 v16, v15 offset:352
	s_waitcnt lgkmcnt(0)
	v_add_f32_e32 v11, v11, v16
	s_or_b32 exec_lo, exec_lo, s0
	s_and_saveexec_b32 s0, vcc_lo
	s_cbranch_execz .LBB196_1057
.LBB196_1090:
	ds_read_b32 v16, v15 offset:384
	s_waitcnt lgkmcnt(0)
	v_add_f32_e32 v12, v12, v16
	s_or_b32 exec_lo, exec_lo, s0
	s_and_saveexec_b32 s0, vcc_lo
	s_cbranch_execz .LBB196_1058
.LBB196_1091:
	ds_read_b32 v16, v15 offset:416
	s_waitcnt lgkmcnt(0)
	v_add_f32_e32 v13, v13, v16
	s_or_b32 exec_lo, exec_lo, s0
	s_and_saveexec_b32 s0, vcc_lo
	s_cbranch_execnz .LBB196_1059
	s_branch .LBB196_1060
	.section	.rodata,"a",@progbits
	.p2align	6, 0x0
	.amdhsa_kernel _ZN4vllm25paged_attention_v1_kernelIfhLi120ELi16ELi128ELNS_18Fp8KVCacheDataTypeE1ELb0EEEvPT_PKS2_PKT0_S8_ifPKiSA_iPKfiiiSC_SC_iiiii
		.amdhsa_group_segment_fixed_size 512
		.amdhsa_private_segment_fixed_size 304
		.amdhsa_kernarg_size 384
		.amdhsa_user_sgpr_count 6
		.amdhsa_user_sgpr_private_segment_buffer 1
		.amdhsa_user_sgpr_dispatch_ptr 0
		.amdhsa_user_sgpr_queue_ptr 0
		.amdhsa_user_sgpr_kernarg_segment_ptr 1
		.amdhsa_user_sgpr_dispatch_id 0
		.amdhsa_user_sgpr_flat_scratch_init 0
		.amdhsa_user_sgpr_private_segment_size 0
		.amdhsa_wavefront_size32 1
		.amdhsa_uses_dynamic_stack 0
		.amdhsa_system_sgpr_private_segment_wavefront_offset 1
		.amdhsa_system_sgpr_workgroup_id_x 1
		.amdhsa_system_sgpr_workgroup_id_y 1
		.amdhsa_system_sgpr_workgroup_id_z 1
		.amdhsa_system_sgpr_workgroup_info 0
		.amdhsa_system_vgpr_workitem_id 0
		.amdhsa_next_free_vgpr 128
		.amdhsa_next_free_sgpr 40
		.amdhsa_reserve_vcc 1
		.amdhsa_reserve_flat_scratch 0
		.amdhsa_float_round_mode_32 0
		.amdhsa_float_round_mode_16_64 0
		.amdhsa_float_denorm_mode_32 3
		.amdhsa_float_denorm_mode_16_64 3
		.amdhsa_dx10_clamp 1
		.amdhsa_ieee_mode 1
		.amdhsa_fp16_overflow 0
		.amdhsa_workgroup_processor_mode 1
		.amdhsa_memory_ordered 1
		.amdhsa_forward_progress 1
		.amdhsa_shared_vgpr_count 0
		.amdhsa_exception_fp_ieee_invalid_op 0
		.amdhsa_exception_fp_denorm_src 0
		.amdhsa_exception_fp_ieee_div_zero 0
		.amdhsa_exception_fp_ieee_overflow 0
		.amdhsa_exception_fp_ieee_underflow 0
		.amdhsa_exception_fp_ieee_inexact 0
		.amdhsa_exception_int_div_zero 0
	.end_amdhsa_kernel
	.section	.text._ZN4vllm25paged_attention_v1_kernelIfhLi120ELi16ELi128ELNS_18Fp8KVCacheDataTypeE1ELb0EEEvPT_PKS2_PKT0_S8_ifPKiSA_iPKfiiiSC_SC_iiiii,"axG",@progbits,_ZN4vllm25paged_attention_v1_kernelIfhLi120ELi16ELi128ELNS_18Fp8KVCacheDataTypeE1ELb0EEEvPT_PKS2_PKT0_S8_ifPKiSA_iPKfiiiSC_SC_iiiii,comdat
.Lfunc_end196:
	.size	_ZN4vllm25paged_attention_v1_kernelIfhLi120ELi16ELi128ELNS_18Fp8KVCacheDataTypeE1ELb0EEEvPT_PKS2_PKT0_S8_ifPKiSA_iPKfiiiSC_SC_iiiii, .Lfunc_end196-_ZN4vllm25paged_attention_v1_kernelIfhLi120ELi16ELi128ELNS_18Fp8KVCacheDataTypeE1ELb0EEEvPT_PKS2_PKT0_S8_ifPKiSA_iPKfiiiSC_SC_iiiii
                                        ; -- End function
	.set _ZN4vllm25paged_attention_v1_kernelIfhLi120ELi16ELi128ELNS_18Fp8KVCacheDataTypeE1ELb0EEEvPT_PKS2_PKT0_S8_ifPKiSA_iPKfiiiSC_SC_iiiii.num_vgpr, 128
	.set _ZN4vllm25paged_attention_v1_kernelIfhLi120ELi16ELi128ELNS_18Fp8KVCacheDataTypeE1ELb0EEEvPT_PKS2_PKT0_S8_ifPKiSA_iPKfiiiSC_SC_iiiii.num_agpr, 0
	.set _ZN4vllm25paged_attention_v1_kernelIfhLi120ELi16ELi128ELNS_18Fp8KVCacheDataTypeE1ELb0EEEvPT_PKS2_PKT0_S8_ifPKiSA_iPKfiiiSC_SC_iiiii.numbered_sgpr, 40
	.set _ZN4vllm25paged_attention_v1_kernelIfhLi120ELi16ELi128ELNS_18Fp8KVCacheDataTypeE1ELb0EEEvPT_PKS2_PKT0_S8_ifPKiSA_iPKfiiiSC_SC_iiiii.num_named_barrier, 0
	.set _ZN4vllm25paged_attention_v1_kernelIfhLi120ELi16ELi128ELNS_18Fp8KVCacheDataTypeE1ELb0EEEvPT_PKS2_PKT0_S8_ifPKiSA_iPKfiiiSC_SC_iiiii.private_seg_size, 304
	.set _ZN4vllm25paged_attention_v1_kernelIfhLi120ELi16ELi128ELNS_18Fp8KVCacheDataTypeE1ELb0EEEvPT_PKS2_PKT0_S8_ifPKiSA_iPKfiiiSC_SC_iiiii.uses_vcc, 1
	.set _ZN4vllm25paged_attention_v1_kernelIfhLi120ELi16ELi128ELNS_18Fp8KVCacheDataTypeE1ELb0EEEvPT_PKS2_PKT0_S8_ifPKiSA_iPKfiiiSC_SC_iiiii.uses_flat_scratch, 0
	.set _ZN4vllm25paged_attention_v1_kernelIfhLi120ELi16ELi128ELNS_18Fp8KVCacheDataTypeE1ELb0EEEvPT_PKS2_PKT0_S8_ifPKiSA_iPKfiiiSC_SC_iiiii.has_dyn_sized_stack, 0
	.set _ZN4vllm25paged_attention_v1_kernelIfhLi120ELi16ELi128ELNS_18Fp8KVCacheDataTypeE1ELb0EEEvPT_PKS2_PKT0_S8_ifPKiSA_iPKfiiiSC_SC_iiiii.has_recursion, 0
	.set _ZN4vllm25paged_attention_v1_kernelIfhLi120ELi16ELi128ELNS_18Fp8KVCacheDataTypeE1ELb0EEEvPT_PKS2_PKT0_S8_ifPKiSA_iPKfiiiSC_SC_iiiii.has_indirect_call, 0
	.section	.AMDGPU.csdata,"",@progbits
; Kernel info:
; codeLenInByte = 33408
; TotalNumSgprs: 42
; NumVgprs: 128
; ScratchSize: 304
; MemoryBound: 0
; FloatMode: 240
; IeeeMode: 1
; LDSByteSize: 512 bytes/workgroup (compile time only)
; SGPRBlocks: 0
; VGPRBlocks: 15
; NumSGPRsForWavesPerEU: 42
; NumVGPRsForWavesPerEU: 128
; Occupancy: 8
; WaveLimiterHint : 1
; COMPUTE_PGM_RSRC2:SCRATCH_EN: 1
; COMPUTE_PGM_RSRC2:USER_SGPR: 6
; COMPUTE_PGM_RSRC2:TRAP_HANDLER: 0
; COMPUTE_PGM_RSRC2:TGID_X_EN: 1
; COMPUTE_PGM_RSRC2:TGID_Y_EN: 1
; COMPUTE_PGM_RSRC2:TGID_Z_EN: 1
; COMPUTE_PGM_RSRC2:TIDIG_COMP_CNT: 0
	.section	.text._ZN4vllm25paged_attention_v1_kernelIfhLi128ELi16ELi128ELNS_18Fp8KVCacheDataTypeE1ELb0EEEvPT_PKS2_PKT0_S8_ifPKiSA_iPKfiiiSC_SC_iiiii,"axG",@progbits,_ZN4vllm25paged_attention_v1_kernelIfhLi128ELi16ELi128ELNS_18Fp8KVCacheDataTypeE1ELb0EEEvPT_PKS2_PKT0_S8_ifPKiSA_iPKfiiiSC_SC_iiiii,comdat
	.protected	_ZN4vllm25paged_attention_v1_kernelIfhLi128ELi16ELi128ELNS_18Fp8KVCacheDataTypeE1ELb0EEEvPT_PKS2_PKT0_S8_ifPKiSA_iPKfiiiSC_SC_iiiii ; -- Begin function _ZN4vllm25paged_attention_v1_kernelIfhLi128ELi16ELi128ELNS_18Fp8KVCacheDataTypeE1ELb0EEEvPT_PKS2_PKT0_S8_ifPKiSA_iPKfiiiSC_SC_iiiii
	.globl	_ZN4vllm25paged_attention_v1_kernelIfhLi128ELi16ELi128ELNS_18Fp8KVCacheDataTypeE1ELb0EEEvPT_PKS2_PKT0_S8_ifPKiSA_iPKfiiiSC_SC_iiiii
	.p2align	8
	.type	_ZN4vllm25paged_attention_v1_kernelIfhLi128ELi16ELi128ELNS_18Fp8KVCacheDataTypeE1ELb0EEEvPT_PKS2_PKT0_S8_ifPKiSA_iPKfiiiSC_SC_iiiii,@function
_ZN4vllm25paged_attention_v1_kernelIfhLi128ELi16ELi128ELNS_18Fp8KVCacheDataTypeE1ELb0EEEvPT_PKS2_PKT0_S8_ifPKiSA_iPKfiiiSC_SC_iiiii: ; @_ZN4vllm25paged_attention_v1_kernelIfhLi128ELi16ELi128ELNS_18Fp8KVCacheDataTypeE1ELb0EEEvPT_PKS2_PKT0_S8_ifPKiSA_iPKfiiiSC_SC_iiiii
; %bb.0:
	s_mov_b64 s[38:39], s[2:3]
	s_mov_b64 s[36:37], s[0:1]
	s_mov_b32 s10, s7
	s_add_u32 s36, s36, s9
	s_clause 0x2
	s_load_dword s9, s[4:5], 0x80
	s_load_dwordx2 s[0:1], s[4:5], 0x30
	s_load_dwordx2 s[28:29], s[4:5], 0x20
	s_addc_u32 s37, s37, 0
	s_ashr_i32 s11, s7, 31
	v_mov_b32_e32 v115, v0
	s_lshl_b64 s[2:3], s[10:11], 2
	s_waitcnt lgkmcnt(0)
	s_add_u32 s0, s0, s2
	s_addc_u32 s1, s1, s3
	s_abs_i32 s2, s28
	s_abs_i32 s11, s9
	v_cvt_f32_u32_e32 v0, s2
	s_sub_i32 s7, 0, s2
	v_rcp_iflag_f32_e32 v0, v0
	v_mul_f32_e32 v0, 0x4f7ffffe, v0
	v_cvt_u32_f32_e32 v0, v0
	v_readfirstlane_b32 s3, v0
	s_mul_i32 s7, s7, s3
	s_mul_hi_u32 s7, s3, s7
	s_add_i32 s3, s3, s7
	s_xor_b32 s7, s9, s28
	s_mul_hi_u32 s3, s11, s3
	s_ashr_i32 s7, s7, 31
	s_mul_i32 s12, s3, s2
	s_mov_b32 s28, 0
	s_sub_i32 s11, s11, s12
	s_add_i32 s12, s3, 1
	s_sub_i32 s13, s11, s2
	s_cmp_ge_u32 s11, s2
	s_cselect_b32 s3, s12, s3
	s_cselect_b32 s11, s13, s11
	s_add_i32 s12, s3, 1
	s_cmp_ge_u32 s11, s2
	s_cselect_b32 s2, s12, s3
	s_abs_i32 s17, s6
	s_xor_b32 s2, s2, s7
	s_sub_i32 s19, s2, s7
	s_load_dwordx2 s[2:3], s[4:5], 0x40
	s_abs_i32 s16, s19
	v_cvt_f32_u32_e32 v0, s16
	s_sub_i32 s11, 0, s16
	v_rcp_iflag_f32_e32 v0, v0
	v_mul_f32_e32 v0, 0x4f7ffffe, v0
	v_cvt_u32_f32_e32 v0, v0
	v_readfirstlane_b32 s7, v0
	s_mul_i32 s11, s11, s7
	s_mul_hi_u32 s11, s7, s11
	s_add_i32 s7, s7, s11
	s_waitcnt lgkmcnt(0)
	s_cmp_eq_u64 s[2:3], 0
	s_mul_hi_u32 s18, s17, s7
	s_cbranch_scc1 .LBB197_2
; %bb.1:
	s_ashr_i32 s7, s6, 31
	s_lshl_b64 s[12:13], s[6:7], 2
	s_add_u32 s2, s2, s12
	s_addc_u32 s3, s3, s13
	s_load_dword s28, s[2:3], 0x0
.LBB197_2:
	s_load_dword s11, s[0:1], 0x0
	s_load_dwordx4 s[12:15], s[4:5], 0x48
	v_and_b32_e32 v0, 1, v115
	v_cmp_gt_u32_e64 s0, 64, v115
	v_lshlrev_b32_e32 v11, 2, v115
	s_ashr_i32 s1, s6, 31
	s_ashr_i32 s2, s19, 31
	s_lshl_b32 s6, s6, 7
	s_and_saveexec_b32 s3, s0
	s_cbranch_execz .LBB197_4
; %bb.3:
	s_load_dwordx2 s[20:21], s[4:5], 0x8
	s_waitcnt lgkmcnt(0)
	s_mul_i32 s22, s12, s10
	v_lshlrev_b32_e32 v1, 3, v115
	s_ashr_i32 s23, s22, 31
	v_and_b32_e32 v3, 0xff8, v11
	s_lshl_b64 s[22:23], s[22:23], 2
	v_lshl_add_u32 v3, v0, 8, v3
	s_add_u32 s12, s20, s22
	s_addc_u32 s15, s21, s23
	s_ashr_i32 s7, s6, 31
	s_lshl_b64 s[20:21], s[6:7], 2
	s_add_u32 s20, s12, s20
	s_addc_u32 s21, s15, s21
	global_load_dwordx2 v[1:2], v1, s[20:21]
	s_waitcnt vmcnt(0)
	ds_write_b64 v3, v[1:2]
.LBB197_4:
	s_or_b32 exec_lo, exec_lo, s3
	s_waitcnt lgkmcnt(0)
	s_add_i32 s3, s11, 15
	s_clause 0x1
	s_load_dwordx2 s[22:23], s[4:5], 0x28
	s_load_dword s15, s[4:5], 0x38
	s_ashr_i32 s7, s3, 31
	s_xor_b32 s1, s1, s2
	s_lshr_b32 s7, s7, 28
	s_mul_i32 s2, s18, s16
	s_add_i32 s3, s3, s7
	s_sub_i32 s2, s17, s2
	s_ashr_i32 s12, s3, 4
	s_add_i32 s3, s18, 1
	s_sub_i32 s7, s2, s16
	s_cmp_ge_u32 s2, s16
	v_lshrrev_b32_e32 v116, 5, v115
	s_cselect_b32 s3, s3, s18
	s_cselect_b32 s2, s7, s2
	s_add_i32 s7, s3, 1
	s_cmp_ge_u32 s2, s16
	v_mbcnt_lo_u32_b32 v13, -1, 0
	s_cselect_b32 s2, s7, s3
	s_mov_b32 s3, exec_lo
	s_xor_b32 s2, s2, s1
	s_waitcnt lgkmcnt(0)
	s_mul_i32 s24, s15, s10
	s_sub_i32 s2, s2, s1
	v_cmp_gt_i32_e64 s1, s12, v116
	s_ashr_i32 s25, s24, 31
	s_barrier
	buffer_gl0_inv
                                        ; implicit-def: $vgpr66
                                        ; implicit-def: $vgpr8
	v_cmpx_le_i32_e64 s12, v116
	s_xor_b32 s3, exec_lo, s3
; %bb.5:
	v_mov_b32_e32 v66, 0
	v_mbcnt_lo_u32_b32 v13, -1, 0
	v_mov_b32_e32 v8, 32
                                        ; implicit-def: $vgpr0
; %bb.6:
	s_or_saveexec_b32 s15, s3
	s_clause 0x3
	s_load_dwordx2 s[20:21], s[4:5], 0x0
	s_load_dwordx2 s[26:27], s[4:5], 0x18
	s_load_dword s7, s[4:5], 0x88
	s_load_dwordx4 s[16:19], s[4:5], 0x58
	v_mov_b32_e32 v3, 0xff7fffff
	v_lshrrev_b32_e32 v12, 3, v115
	s_mul_i32 s14, s2, s14
	s_xor_b32 exec_lo, exec_lo, s15
	s_cbranch_execz .LBB197_524
; %bb.7:
	v_lshlrev_b32_e32 v2, 8, v0
	buffer_store_dword v11, off, s[36:39], 0 offset:336 ; 4-byte Folded Spill
	s_load_dwordx2 s[2:3], s[4:5], 0x10
	buffer_store_dword v115, off, s[36:39], 0 offset:328 ; 4-byte Folded Spill
	s_waitcnt lgkmcnt(0)
	s_load_dword s5, s[16:17], 0x0
	ds_read_b128 v[6:9], v2
	v_xor_b32_e32 v4, 1, v13
	v_bfe_u32 v1, v115, 1, 4
	s_ashr_i32 s4, s14, 31
	v_lshlrev_b32_e32 v3, 1, v0
	v_mov_b32_e32 v90, v116
	v_cmp_gt_i32_e32 vcc_lo, 32, v4
	v_lshlrev_b32_e32 v5, 4, v1
	v_mov_b32_e32 v66, 0
	v_mov_b32_e32 v89, 0x80
	v_lshl_or_b32 v127, v90, 4, v1
	v_cndmask_b32_e32 v4, v13, v4, vcc_lo
	v_cmp_eq_u32_e32 vcc_lo, 0, v0
	v_lshlrev_b32_e32 v0, 2, v1
	v_bfrev_b32_e32 v82, 1
	v_mov_b32_e32 v80, 0x7f800001
	v_lshlrev_b32_e32 v4, 2, v4
	s_add_u32 s2, s2, s14
	s_addc_u32 s3, s3, s4
	v_add_co_u32 v5, s2, s2, v5
	s_waitcnt lgkmcnt(0)
	buffer_store_dword v6, off, s[36:39], 0 offset:60 ; 4-byte Folded Spill
	buffer_store_dword v7, off, s[36:39], 0 offset:64 ; 4-byte Folded Spill
	;; [unrolled: 1-line block ×4, first 2 shown]
	ds_read_b128 v[6:9], v2 offset:16
	s_lshl_b64 s[30:31], s[24:25], 2
	v_lshl_or_b32 v0, v116, 6, v0
	s_sub_i32 s16, 1, s11
	s_mov_b32 s17, 0
	s_waitcnt lgkmcnt(0)
	buffer_store_dword v6, off, s[36:39], 0 offset:76 ; 4-byte Folded Spill
	buffer_store_dword v7, off, s[36:39], 0 offset:80 ; 4-byte Folded Spill
	buffer_store_dword v8, off, s[36:39], 0 offset:84 ; 4-byte Folded Spill
	buffer_store_dword v9, off, s[36:39], 0 offset:88 ; 4-byte Folded Spill
	ds_read_b128 v[6:9], v2 offset:32
	v_add_nc_u32_e32 v0, 0x220, v0
	s_waitcnt lgkmcnt(0)
	buffer_store_dword v6, off, s[36:39], 0 offset:92 ; 4-byte Folded Spill
	buffer_store_dword v7, off, s[36:39], 0 offset:96 ; 4-byte Folded Spill
	buffer_store_dword v8, off, s[36:39], 0 offset:100 ; 4-byte Folded Spill
	buffer_store_dword v9, off, s[36:39], 0 offset:104 ; 4-byte Folded Spill
	ds_read_b128 v[6:9], v2 offset:48
	s_waitcnt lgkmcnt(0)
	buffer_store_dword v6, off, s[36:39], 0 offset:108 ; 4-byte Folded Spill
	buffer_store_dword v7, off, s[36:39], 0 offset:112 ; 4-byte Folded Spill
	buffer_store_dword v8, off, s[36:39], 0 offset:116 ; 4-byte Folded Spill
	buffer_store_dword v9, off, s[36:39], 0 offset:120 ; 4-byte Folded Spill
	ds_read_b128 v[6:9], v2 offset:64
	;; [unrolled: 6-line block ×4, first 2 shown]
	buffer_store_dword v13, off, s[36:39], 0 offset:344 ; 4-byte Folded Spill
	v_add_co_ci_u32_e64 v6, null, s3, 0, s2
	v_add_co_u32 v3, s3, v5, v3
	v_cmp_neq_f32_e64 s2, s28, 0
	s_waitcnt lgkmcnt(0)
	buffer_store_dword v7, off, s[36:39], 0 offset:156 ; 4-byte Folded Spill
	buffer_store_dword v8, off, s[36:39], 0 offset:160 ; 4-byte Folded Spill
	;; [unrolled: 1-line block ×4, first 2 shown]
	ds_read_b128 v[7:10], v2 offset:112
	s_waitcnt lgkmcnt(0)
	buffer_store_dword v7, off, s[36:39], 0 offset:172 ; 4-byte Folded Spill
	buffer_store_dword v8, off, s[36:39], 0 offset:176 ; 4-byte Folded Spill
	buffer_store_dword v9, off, s[36:39], 0 offset:180 ; 4-byte Folded Spill
	buffer_store_dword v10, off, s[36:39], 0 offset:184 ; 4-byte Folded Spill
	buffer_store_dword v4, off, s[36:39], 0 offset:188 ; 4-byte Folded Spill
	v_add_co_ci_u32_e64 v4, null, 0, v6, s3
	buffer_store_dword v3, off, s[36:39], 0 offset:192 ; 4-byte Folded Spill
	buffer_store_dword v4, off, s[36:39], 0 offset:196 ; 4-byte Folded Spill
	ds_read_b128 v[3:6], v2 offset:128
	s_add_u32 s3, s22, s30
	s_addc_u32 s4, s23, s31
	s_mov_b32 s30, s13
	s_mov_b32 s31, s5
	s_waitcnt lgkmcnt(0)
	buffer_store_dword v3, off, s[36:39], 0 offset:200 ; 4-byte Folded Spill
	buffer_store_dword v4, off, s[36:39], 0 offset:204 ; 4-byte Folded Spill
	buffer_store_dword v5, off, s[36:39], 0 offset:208 ; 4-byte Folded Spill
	buffer_store_dword v6, off, s[36:39], 0 offset:212 ; 4-byte Folded Spill
	ds_read_b128 v[3:6], v2 offset:144
	s_waitcnt lgkmcnt(0)
	buffer_store_dword v3, off, s[36:39], 0 offset:216 ; 4-byte Folded Spill
	buffer_store_dword v4, off, s[36:39], 0 offset:220 ; 4-byte Folded Spill
	buffer_store_dword v5, off, s[36:39], 0 offset:224 ; 4-byte Folded Spill
	buffer_store_dword v6, off, s[36:39], 0 offset:228 ; 4-byte Folded Spill
	ds_read_b128 v[3:6], v2 offset:160
	;; [unrolled: 6-line block ×7, first 2 shown]
	s_waitcnt lgkmcnt(0)
	buffer_store_dword v1, off, s[36:39], 0 offset:312 ; 4-byte Folded Spill
	buffer_store_dword v2, off, s[36:39], 0 offset:316 ; 4-byte Folded Spill
	;; [unrolled: 1-line block ×5, first 2 shown]
	v_and_b32_e32 v1, 0x7c, v12
	buffer_store_dword v90, off, s[36:39], 0 offset:332 ; 4-byte Folded Spill
	v_add_co_u32 v69, s3, s3, v1
	v_add_co_ci_u32_e64 v70, null, s4, 0, s3
	v_mov_b32_e32 v1, 0xff7fffff
	buffer_store_dword v1, off, s[36:39], 0 offset:56 ; 4-byte Folded Spill
	s_branch .LBB197_9
.LBB197_8:                              ;   in Loop: Header=BB197_9 Depth=1
	s_or_b32 exec_lo, exec_lo, s4
	v_add_nc_u32_e32 v90, 4, v90
	v_add_co_u32 v69, s4, v69, 16
	v_add_nc_u32_e32 v127, 64, v127
	v_add_nc_u32_e32 v0, 0x100, v0
	v_cmp_le_i32_e64 s3, s12, v90
	v_add_co_ci_u32_e64 v70, null, 0, v70, s4
	s_or_b32 s17, s3, s17
	s_andn2_b32 exec_lo, exec_lo, s17
	s_cbranch_execz .LBB197_523
.LBB197_9:                              ; =>This Inner Loop Header: Depth=1
	global_load_dword v1, v[69:70], off
	s_waitcnt lgkmcnt(0)
	s_clause 0x1
	buffer_load_dword v2, off, s[36:39], 0 offset:192
	buffer_load_dword v3, off, s[36:39], 0 offset:196
	s_waitcnt vmcnt(0)
	v_mad_i64_i32 v[83:84], null, v1, s30, v[2:3]
	v_mov_b32_e32 v3, 0
	v_mov_b32_e32 v4, 0
	global_load_ushort v2, v[83:84], off
	buffer_store_dword v3, off, s[36:39], 0 offset:8 ; 4-byte Folded Spill
	buffer_store_dword v4, off, s[36:39], 0 offset:12 ; 4-byte Folded Spill
	v_mov_b32_e32 v3, 0
	v_mov_b32_e32 v4, 0
	buffer_store_dword v3, off, s[36:39], 0 ; 4-byte Folded Spill
	buffer_store_dword v4, off, s[36:39], 0 offset:4 ; 4-byte Folded Spill
	s_waitcnt vmcnt(0)
	v_and_b32_e32 v1, 0xffff, v2
	v_cmp_ne_u16_sdwa s3, v2, v66 src0_sel:BYTE_0 src1_sel:DWORD
	s_and_saveexec_b32 s4, s3
	s_cbranch_execz .LBB197_17
; %bb.10:                               ;   in Loop: Header=BB197_9 Depth=1
	v_bfrev_b32_e32 v2, 1
	v_mov_b32_e32 v3, 0
	v_cmp_ne_u16_sdwa s3, v1, v89 src0_sel:BYTE_0 src1_sel:DWORD
	buffer_store_dword v2, off, s[36:39], 0 ; 4-byte Folded Spill
	buffer_store_dword v3, off, s[36:39], 0 offset:4 ; 4-byte Folded Spill
	s_and_saveexec_b32 s33, s3
	s_cbranch_execz .LBB197_16
; %bb.11:                               ;   in Loop: Header=BB197_9 Depth=1
	v_mov_b32_e32 v4, 0x7f800001
	v_and_b32_e32 v3, 0x7f, v1
	v_mov_b32_e32 v5, 0
	s_mov_b32 s34, exec_lo
	buffer_store_dword v4, off, s[36:39], 0 ; 4-byte Folded Spill
	buffer_store_dword v5, off, s[36:39], 0 offset:4 ; 4-byte Folded Spill
	v_cmpx_ne_u32_e32 0x7f, v3
	s_cbranch_execz .LBB197_15
; %bb.12:                               ;   in Loop: Header=BB197_9 Depth=1
	v_and_b32_e32 v65, 7, v1
	v_lshrrev_b32_e32 v2, 3, v3
	s_mov_b32 s35, exec_lo
	v_cmpx_gt_u32_e32 8, v3
; %bb.13:                               ;   in Loop: Header=BB197_9 Depth=1
	v_ffbh_u32_e32 v2, v65
	v_min_u32_e32 v2, 32, v2
	v_subrev_nc_u32_e32 v3, 28, v2
	v_sub_nc_u32_e32 v2, 29, v2
	v_lshlrev_b64 v[3:4], v3, v[65:66]
	v_and_b32_e32 v65, 7, v3
; %bb.14:                               ;   in Loop: Header=BB197_9 Depth=1
	s_or_b32 exec_lo, exec_lo, s35
	v_lshlrev_b32_e32 v3, 24, v1
	v_lshlrev_b32_e32 v4, 20, v65
	v_lshl_add_u32 v2, v2, 23, 0x3c000000
	v_and_b32_e32 v3, 0x80000000, v3
	v_or3_b32 v65, v4, v3, v2
	buffer_store_dword v65, off, s[36:39], 0 ; 4-byte Folded Spill
	buffer_store_dword v66, off, s[36:39], 0 offset:4 ; 4-byte Folded Spill
.LBB197_15:                             ;   in Loop: Header=BB197_9 Depth=1
	s_or_b32 exec_lo, exec_lo, s34
.LBB197_16:                             ;   in Loop: Header=BB197_9 Depth=1
	s_or_b32 exec_lo, exec_lo, s33
.LBB197_17:                             ;   in Loop: Header=BB197_9 Depth=1
	s_or_b32 exec_lo, exec_lo, s4
	v_cmp_ne_u16_sdwa s3, v1, v66 src0_sel:BYTE_1 src1_sel:DWORD
	s_and_saveexec_b32 s4, s3
	s_cbranch_execz .LBB197_25
; %bb.18:                               ;   in Loop: Header=BB197_9 Depth=1
	v_mov_b32_e32 v81, v66
	v_cmp_ne_u16_sdwa s3, v1, v89 src0_sel:BYTE_1 src1_sel:DWORD
	buffer_store_dword v81, off, s[36:39], 0 offset:8 ; 4-byte Folded Spill
	buffer_store_dword v82, off, s[36:39], 0 offset:12 ; 4-byte Folded Spill
	s_and_saveexec_b32 s33, s3
	s_cbranch_execz .LBB197_24
; %bb.19:                               ;   in Loop: Header=BB197_9 Depth=1
	v_mov_b32_e32 v2, 0xffff
	v_mov_b32_e32 v79, v66
	s_mov_b32 s34, exec_lo
	buffer_store_dword v79, off, s[36:39], 0 offset:8 ; 4-byte Folded Spill
	buffer_store_dword v80, off, s[36:39], 0 offset:12 ; 4-byte Folded Spill
	v_and_b32_sdwa v2, v2, v1 dst_sel:DWORD dst_unused:UNUSED_PAD src0_sel:DWORD src1_sel:BYTE_1
	v_and_b32_e32 v3, 0x7f, v2
	v_cmpx_ne_u32_e32 0x7f, v3
	s_cbranch_execz .LBB197_23
; %bb.20:                               ;   in Loop: Header=BB197_9 Depth=1
	v_and_b32_e32 v65, 7, v2
	v_lshrrev_b32_e32 v2, 3, v3
	s_mov_b32 s35, exec_lo
	v_cmpx_gt_u32_e32 8, v3
; %bb.21:                               ;   in Loop: Header=BB197_9 Depth=1
	v_ffbh_u32_e32 v2, v65
	v_min_u32_e32 v2, 32, v2
	v_subrev_nc_u32_e32 v3, 28, v2
	v_sub_nc_u32_e32 v2, 29, v2
	v_lshlrev_b64 v[3:4], v3, v[65:66]
	v_and_b32_e32 v65, 7, v3
; %bb.22:                               ;   in Loop: Header=BB197_9 Depth=1
	s_or_b32 exec_lo, exec_lo, s35
	v_lshlrev_b32_e32 v1, 16, v1
	v_lshlrev_b32_e32 v3, 20, v65
	v_lshl_add_u32 v2, v2, 23, 0x3c000000
	v_and_b32_e32 v1, 0x80000000, v1
	v_or3_b32 v2, v3, v1, v2
	v_mov_b32_e32 v1, v66
	buffer_store_dword v1, off, s[36:39], 0 offset:8 ; 4-byte Folded Spill
	buffer_store_dword v2, off, s[36:39], 0 offset:12 ; 4-byte Folded Spill
.LBB197_23:                             ;   in Loop: Header=BB197_9 Depth=1
	s_or_b32 exec_lo, exec_lo, s34
.LBB197_24:                             ;   in Loop: Header=BB197_9 Depth=1
	s_or_b32 exec_lo, exec_lo, s33
.LBB197_25:                             ;   in Loop: Header=BB197_9 Depth=1
	s_or_b32 exec_lo, exec_lo, s4
	global_load_ushort v2, v[83:84], off offset:4
	v_mov_b32_e32 v3, 0
	v_mov_b32_e32 v4, 0
	buffer_store_dword v3, off, s[36:39], 0 offset:24 ; 4-byte Folded Spill
	buffer_store_dword v4, off, s[36:39], 0 offset:28 ; 4-byte Folded Spill
	v_mov_b32_e32 v3, 0
	v_mov_b32_e32 v4, 0
	buffer_store_dword v3, off, s[36:39], 0 offset:16 ; 4-byte Folded Spill
	buffer_store_dword v4, off, s[36:39], 0 offset:20 ; 4-byte Folded Spill
	s_waitcnt vmcnt(0)
	v_and_b32_e32 v1, 0xffff, v2
	v_cmp_ne_u16_sdwa s3, v2, v66 src0_sel:BYTE_0 src1_sel:DWORD
	s_and_saveexec_b32 s4, s3
	s_cbranch_execz .LBB197_33
; %bb.26:                               ;   in Loop: Header=BB197_9 Depth=1
	v_bfrev_b32_e32 v2, 1
	v_mov_b32_e32 v3, 0
	v_cmp_ne_u16_sdwa s3, v1, v89 src0_sel:BYTE_0 src1_sel:DWORD
	buffer_store_dword v2, off, s[36:39], 0 offset:16 ; 4-byte Folded Spill
	buffer_store_dword v3, off, s[36:39], 0 offset:20 ; 4-byte Folded Spill
	s_and_saveexec_b32 s33, s3
	s_cbranch_execz .LBB197_32
; %bb.27:                               ;   in Loop: Header=BB197_9 Depth=1
	v_mov_b32_e32 v4, 0x7f800001
	v_and_b32_e32 v3, 0x7f, v1
	v_mov_b32_e32 v5, 0
	s_mov_b32 s34, exec_lo
	buffer_store_dword v4, off, s[36:39], 0 offset:16 ; 4-byte Folded Spill
	buffer_store_dword v5, off, s[36:39], 0 offset:20 ; 4-byte Folded Spill
	v_cmpx_ne_u32_e32 0x7f, v3
	s_cbranch_execz .LBB197_31
; %bb.28:                               ;   in Loop: Header=BB197_9 Depth=1
	v_and_b32_e32 v65, 7, v1
	v_lshrrev_b32_e32 v2, 3, v3
	s_mov_b32 s35, exec_lo
	v_cmpx_gt_u32_e32 8, v3
; %bb.29:                               ;   in Loop: Header=BB197_9 Depth=1
	v_ffbh_u32_e32 v2, v65
	v_min_u32_e32 v2, 32, v2
	v_subrev_nc_u32_e32 v3, 28, v2
	v_sub_nc_u32_e32 v2, 29, v2
	v_lshlrev_b64 v[3:4], v3, v[65:66]
	v_and_b32_e32 v65, 7, v3
; %bb.30:                               ;   in Loop: Header=BB197_9 Depth=1
	s_or_b32 exec_lo, exec_lo, s35
	v_lshlrev_b32_e32 v3, 24, v1
	v_lshlrev_b32_e32 v4, 20, v65
	v_lshl_add_u32 v2, v2, 23, 0x3c000000
	v_and_b32_e32 v3, 0x80000000, v3
	v_or3_b32 v65, v4, v3, v2
	buffer_store_dword v65, off, s[36:39], 0 offset:16 ; 4-byte Folded Spill
	buffer_store_dword v66, off, s[36:39], 0 offset:20 ; 4-byte Folded Spill
.LBB197_31:                             ;   in Loop: Header=BB197_9 Depth=1
	s_or_b32 exec_lo, exec_lo, s34
.LBB197_32:                             ;   in Loop: Header=BB197_9 Depth=1
	s_or_b32 exec_lo, exec_lo, s33
.LBB197_33:                             ;   in Loop: Header=BB197_9 Depth=1
	s_or_b32 exec_lo, exec_lo, s4
	v_cmp_ne_u16_sdwa s3, v1, v66 src0_sel:BYTE_1 src1_sel:DWORD
	s_and_saveexec_b32 s4, s3
	s_cbranch_execz .LBB197_41
; %bb.34:                               ;   in Loop: Header=BB197_9 Depth=1
	v_mov_b32_e32 v81, v66
	v_cmp_ne_u16_sdwa s3, v1, v89 src0_sel:BYTE_1 src1_sel:DWORD
	buffer_store_dword v81, off, s[36:39], 0 offset:24 ; 4-byte Folded Spill
	buffer_store_dword v82, off, s[36:39], 0 offset:28 ; 4-byte Folded Spill
	s_and_saveexec_b32 s33, s3
	s_cbranch_execz .LBB197_40
; %bb.35:                               ;   in Loop: Header=BB197_9 Depth=1
	v_mov_b32_e32 v2, 0xffff
	v_mov_b32_e32 v79, v66
	s_mov_b32 s34, exec_lo
	buffer_store_dword v79, off, s[36:39], 0 offset:24 ; 4-byte Folded Spill
	buffer_store_dword v80, off, s[36:39], 0 offset:28 ; 4-byte Folded Spill
	v_and_b32_sdwa v2, v2, v1 dst_sel:DWORD dst_unused:UNUSED_PAD src0_sel:DWORD src1_sel:BYTE_1
	v_and_b32_e32 v3, 0x7f, v2
	v_cmpx_ne_u32_e32 0x7f, v3
	s_cbranch_execz .LBB197_39
; %bb.36:                               ;   in Loop: Header=BB197_9 Depth=1
	v_and_b32_e32 v65, 7, v2
	v_lshrrev_b32_e32 v2, 3, v3
	s_mov_b32 s35, exec_lo
	v_cmpx_gt_u32_e32 8, v3
; %bb.37:                               ;   in Loop: Header=BB197_9 Depth=1
	v_ffbh_u32_e32 v2, v65
	v_min_u32_e32 v2, 32, v2
	v_subrev_nc_u32_e32 v3, 28, v2
	v_sub_nc_u32_e32 v2, 29, v2
	v_lshlrev_b64 v[3:4], v3, v[65:66]
	v_and_b32_e32 v65, 7, v3
; %bb.38:                               ;   in Loop: Header=BB197_9 Depth=1
	s_or_b32 exec_lo, exec_lo, s35
	v_lshlrev_b32_e32 v1, 16, v1
	v_lshlrev_b32_e32 v3, 20, v65
	v_lshl_add_u32 v2, v2, 23, 0x3c000000
	v_and_b32_e32 v1, 0x80000000, v1
	v_or3_b32 v2, v3, v1, v2
	v_mov_b32_e32 v1, v66
	buffer_store_dword v1, off, s[36:39], 0 offset:24 ; 4-byte Folded Spill
	buffer_store_dword v2, off, s[36:39], 0 offset:28 ; 4-byte Folded Spill
.LBB197_39:                             ;   in Loop: Header=BB197_9 Depth=1
	s_or_b32 exec_lo, exec_lo, s34
.LBB197_40:                             ;   in Loop: Header=BB197_9 Depth=1
	s_or_b32 exec_lo, exec_lo, s33
.LBB197_41:                             ;   in Loop: Header=BB197_9 Depth=1
	s_or_b32 exec_lo, exec_lo, s4
	global_load_ushort v2, v[83:84], off offset:8
	v_mov_b32_e32 v3, 0
	v_mov_b32_e32 v4, 0
	buffer_store_dword v3, off, s[36:39], 0 offset:40 ; 4-byte Folded Spill
	buffer_store_dword v4, off, s[36:39], 0 offset:44 ; 4-byte Folded Spill
	v_mov_b32_e32 v3, 0
	v_mov_b32_e32 v4, 0
	buffer_store_dword v3, off, s[36:39], 0 offset:32 ; 4-byte Folded Spill
	buffer_store_dword v4, off, s[36:39], 0 offset:36 ; 4-byte Folded Spill
	s_waitcnt vmcnt(0)
	v_and_b32_e32 v1, 0xffff, v2
	v_cmp_ne_u16_sdwa s3, v2, v66 src0_sel:BYTE_0 src1_sel:DWORD
	s_and_saveexec_b32 s4, s3
	s_cbranch_execz .LBB197_49
; %bb.42:                               ;   in Loop: Header=BB197_9 Depth=1
	v_bfrev_b32_e32 v2, 1
	v_mov_b32_e32 v3, 0
	v_cmp_ne_u16_sdwa s3, v1, v89 src0_sel:BYTE_0 src1_sel:DWORD
	buffer_store_dword v2, off, s[36:39], 0 offset:32 ; 4-byte Folded Spill
	buffer_store_dword v3, off, s[36:39], 0 offset:36 ; 4-byte Folded Spill
	s_and_saveexec_b32 s33, s3
	s_cbranch_execz .LBB197_48
; %bb.43:                               ;   in Loop: Header=BB197_9 Depth=1
	v_mov_b32_e32 v4, 0x7f800001
	v_and_b32_e32 v3, 0x7f, v1
	v_mov_b32_e32 v5, 0
	s_mov_b32 s34, exec_lo
	buffer_store_dword v4, off, s[36:39], 0 offset:32 ; 4-byte Folded Spill
	buffer_store_dword v5, off, s[36:39], 0 offset:36 ; 4-byte Folded Spill
	v_cmpx_ne_u32_e32 0x7f, v3
	s_cbranch_execz .LBB197_47
; %bb.44:                               ;   in Loop: Header=BB197_9 Depth=1
	v_and_b32_e32 v65, 7, v1
	v_lshrrev_b32_e32 v2, 3, v3
	s_mov_b32 s35, exec_lo
	v_cmpx_gt_u32_e32 8, v3
; %bb.45:                               ;   in Loop: Header=BB197_9 Depth=1
	v_ffbh_u32_e32 v2, v65
	v_min_u32_e32 v2, 32, v2
	v_subrev_nc_u32_e32 v3, 28, v2
	v_sub_nc_u32_e32 v2, 29, v2
	v_lshlrev_b64 v[3:4], v3, v[65:66]
	v_and_b32_e32 v65, 7, v3
; %bb.46:                               ;   in Loop: Header=BB197_9 Depth=1
	s_or_b32 exec_lo, exec_lo, s35
	v_lshlrev_b32_e32 v3, 24, v1
	v_lshlrev_b32_e32 v4, 20, v65
	v_lshl_add_u32 v2, v2, 23, 0x3c000000
	v_and_b32_e32 v3, 0x80000000, v3
	v_or3_b32 v65, v4, v3, v2
	buffer_store_dword v65, off, s[36:39], 0 offset:32 ; 4-byte Folded Spill
	buffer_store_dword v66, off, s[36:39], 0 offset:36 ; 4-byte Folded Spill
.LBB197_47:                             ;   in Loop: Header=BB197_9 Depth=1
	s_or_b32 exec_lo, exec_lo, s34
.LBB197_48:                             ;   in Loop: Header=BB197_9 Depth=1
	s_or_b32 exec_lo, exec_lo, s33
.LBB197_49:                             ;   in Loop: Header=BB197_9 Depth=1
	s_or_b32 exec_lo, exec_lo, s4
	v_cmp_ne_u16_sdwa s3, v1, v66 src0_sel:BYTE_1 src1_sel:DWORD
	s_and_saveexec_b32 s4, s3
	s_cbranch_execz .LBB197_57
; %bb.50:                               ;   in Loop: Header=BB197_9 Depth=1
	v_mov_b32_e32 v81, v66
	v_cmp_ne_u16_sdwa s3, v1, v89 src0_sel:BYTE_1 src1_sel:DWORD
	buffer_store_dword v81, off, s[36:39], 0 offset:40 ; 4-byte Folded Spill
	buffer_store_dword v82, off, s[36:39], 0 offset:44 ; 4-byte Folded Spill
	s_and_saveexec_b32 s33, s3
	s_cbranch_execz .LBB197_56
; %bb.51:                               ;   in Loop: Header=BB197_9 Depth=1
	v_mov_b32_e32 v2, 0xffff
	v_mov_b32_e32 v79, v66
	s_mov_b32 s34, exec_lo
	buffer_store_dword v79, off, s[36:39], 0 offset:40 ; 4-byte Folded Spill
	buffer_store_dword v80, off, s[36:39], 0 offset:44 ; 4-byte Folded Spill
	v_and_b32_sdwa v2, v2, v1 dst_sel:DWORD dst_unused:UNUSED_PAD src0_sel:DWORD src1_sel:BYTE_1
	v_and_b32_e32 v3, 0x7f, v2
	v_cmpx_ne_u32_e32 0x7f, v3
	s_cbranch_execz .LBB197_55
; %bb.52:                               ;   in Loop: Header=BB197_9 Depth=1
	v_and_b32_e32 v65, 7, v2
	v_lshrrev_b32_e32 v2, 3, v3
	s_mov_b32 s35, exec_lo
	v_cmpx_gt_u32_e32 8, v3
; %bb.53:                               ;   in Loop: Header=BB197_9 Depth=1
	v_ffbh_u32_e32 v2, v65
	v_min_u32_e32 v2, 32, v2
	v_subrev_nc_u32_e32 v3, 28, v2
	v_sub_nc_u32_e32 v2, 29, v2
	v_lshlrev_b64 v[3:4], v3, v[65:66]
	v_and_b32_e32 v65, 7, v3
; %bb.54:                               ;   in Loop: Header=BB197_9 Depth=1
	s_or_b32 exec_lo, exec_lo, s35
	v_lshlrev_b32_e32 v1, 16, v1
	v_lshlrev_b32_e32 v3, 20, v65
	v_lshl_add_u32 v2, v2, 23, 0x3c000000
	v_and_b32_e32 v1, 0x80000000, v1
	v_or3_b32 v2, v3, v1, v2
	v_mov_b32_e32 v1, v66
	buffer_store_dword v1, off, s[36:39], 0 offset:40 ; 4-byte Folded Spill
	buffer_store_dword v2, off, s[36:39], 0 offset:44 ; 4-byte Folded Spill
.LBB197_55:                             ;   in Loop: Header=BB197_9 Depth=1
	s_or_b32 exec_lo, exec_lo, s34
.LBB197_56:                             ;   in Loop: Header=BB197_9 Depth=1
	s_or_b32 exec_lo, exec_lo, s33
.LBB197_57:                             ;   in Loop: Header=BB197_9 Depth=1
	s_or_b32 exec_lo, exec_lo, s4
	global_load_ushort v2, v[83:84], off offset:12
	v_mov_b32_e32 v91, 0
	v_mov_b32_e32 v3, 0
	;; [unrolled: 1-line block ×4, first 2 shown]
	buffer_store_dword v3, off, s[36:39], 0 offset:48 ; 4-byte Folded Spill
	buffer_store_dword v4, off, s[36:39], 0 offset:52 ; 4-byte Folded Spill
	s_waitcnt vmcnt(0)
	v_and_b32_e32 v1, 0xffff, v2
	v_cmp_ne_u16_sdwa s3, v2, v66 src0_sel:BYTE_0 src1_sel:DWORD
	s_and_saveexec_b32 s4, s3
	s_cbranch_execz .LBB197_65
; %bb.58:                               ;   in Loop: Header=BB197_9 Depth=1
	v_bfrev_b32_e32 v2, 1
	v_mov_b32_e32 v3, 0
	v_cmp_ne_u16_sdwa s3, v1, v89 src0_sel:BYTE_0 src1_sel:DWORD
	buffer_store_dword v2, off, s[36:39], 0 offset:48 ; 4-byte Folded Spill
	buffer_store_dword v3, off, s[36:39], 0 offset:52 ; 4-byte Folded Spill
	s_and_saveexec_b32 s33, s3
	s_cbranch_execz .LBB197_64
; %bb.59:                               ;   in Loop: Header=BB197_9 Depth=1
	v_mov_b32_e32 v4, 0x7f800001
	v_and_b32_e32 v3, 0x7f, v1
	v_mov_b32_e32 v5, 0
	s_mov_b32 s34, exec_lo
	buffer_store_dword v4, off, s[36:39], 0 offset:48 ; 4-byte Folded Spill
	buffer_store_dword v5, off, s[36:39], 0 offset:52 ; 4-byte Folded Spill
	v_cmpx_ne_u32_e32 0x7f, v3
	s_cbranch_execz .LBB197_63
; %bb.60:                               ;   in Loop: Header=BB197_9 Depth=1
	v_and_b32_e32 v65, 7, v1
	v_lshrrev_b32_e32 v2, 3, v3
	s_mov_b32 s35, exec_lo
	v_cmpx_gt_u32_e32 8, v3
; %bb.61:                               ;   in Loop: Header=BB197_9 Depth=1
	v_ffbh_u32_e32 v2, v65
	v_min_u32_e32 v2, 32, v2
	v_subrev_nc_u32_e32 v3, 28, v2
	v_sub_nc_u32_e32 v2, 29, v2
	v_lshlrev_b64 v[3:4], v3, v[65:66]
	v_and_b32_e32 v65, 7, v3
; %bb.62:                               ;   in Loop: Header=BB197_9 Depth=1
	s_or_b32 exec_lo, exec_lo, s35
	v_lshlrev_b32_e32 v3, 24, v1
	v_lshlrev_b32_e32 v4, 20, v65
	v_lshl_add_u32 v2, v2, 23, 0x3c000000
	v_and_b32_e32 v3, 0x80000000, v3
	v_or3_b32 v65, v4, v3, v2
	buffer_store_dword v65, off, s[36:39], 0 offset:48 ; 4-byte Folded Spill
	buffer_store_dword v66, off, s[36:39], 0 offset:52 ; 4-byte Folded Spill
.LBB197_63:                             ;   in Loop: Header=BB197_9 Depth=1
	s_or_b32 exec_lo, exec_lo, s34
.LBB197_64:                             ;   in Loop: Header=BB197_9 Depth=1
	s_or_b32 exec_lo, exec_lo, s33
.LBB197_65:                             ;   in Loop: Header=BB197_9 Depth=1
	s_or_b32 exec_lo, exec_lo, s4
	v_cmp_ne_u16_sdwa s3, v1, v66 src0_sel:BYTE_1 src1_sel:DWORD
	s_and_saveexec_b32 s4, s3
	s_cbranch_execz .LBB197_73
; %bb.66:                               ;   in Loop: Header=BB197_9 Depth=1
	v_mov_b32_e32 v81, v66
	v_mov_b32_e32 v92, v82
	v_cmp_ne_u16_sdwa s3, v1, v89 src0_sel:BYTE_1 src1_sel:DWORD
	v_mov_b32_e32 v91, v81
	s_and_saveexec_b32 s33, s3
	s_cbranch_execz .LBB197_72
; %bb.67:                               ;   in Loop: Header=BB197_9 Depth=1
	v_mov_b32_e32 v2, 0xffff
	v_mov_b32_e32 v79, v66
	;; [unrolled: 1-line block ×3, first 2 shown]
	s_mov_b32 s34, exec_lo
	v_and_b32_sdwa v2, v2, v1 dst_sel:DWORD dst_unused:UNUSED_PAD src0_sel:DWORD src1_sel:BYTE_1
	v_mov_b32_e32 v91, v79
	v_and_b32_e32 v3, 0x7f, v2
	v_cmpx_ne_u32_e32 0x7f, v3
	s_cbranch_execz .LBB197_71
; %bb.68:                               ;   in Loop: Header=BB197_9 Depth=1
	v_and_b32_e32 v65, 7, v2
	v_lshrrev_b32_e32 v2, 3, v3
	s_mov_b32 s35, exec_lo
	v_cmpx_gt_u32_e32 8, v3
; %bb.69:                               ;   in Loop: Header=BB197_9 Depth=1
	v_ffbh_u32_e32 v2, v65
	v_min_u32_e32 v2, 32, v2
	v_subrev_nc_u32_e32 v3, 28, v2
	v_sub_nc_u32_e32 v2, 29, v2
	v_lshlrev_b64 v[3:4], v3, v[65:66]
	v_and_b32_e32 v65, 7, v3
; %bb.70:                               ;   in Loop: Header=BB197_9 Depth=1
	s_or_b32 exec_lo, exec_lo, s35
	v_lshlrev_b32_e32 v1, 16, v1
	v_lshlrev_b32_e32 v3, 20, v65
	v_lshl_add_u32 v2, v2, 23, 0x3c000000
	v_mov_b32_e32 v91, v66
	v_and_b32_e32 v1, 0x80000000, v1
	v_or3_b32 v92, v3, v1, v2
.LBB197_71:                             ;   in Loop: Header=BB197_9 Depth=1
	s_or_b32 exec_lo, exec_lo, s34
.LBB197_72:                             ;   in Loop: Header=BB197_9 Depth=1
	s_or_b32 exec_lo, exec_lo, s33
.LBB197_73:                             ;   in Loop: Header=BB197_9 Depth=1
	s_or_b32 exec_lo, exec_lo, s4
	global_load_ushort v2, v[83:84], off offset:256
	v_mov_b32_e32 v95, 0
	v_mov_b32_e32 v93, 0
	;; [unrolled: 1-line block ×4, first 2 shown]
	s_waitcnt vmcnt(0)
	v_and_b32_e32 v1, 0xffff, v2
	v_cmp_ne_u16_sdwa s3, v2, v66 src0_sel:BYTE_0 src1_sel:DWORD
	s_and_saveexec_b32 s4, s3
	s_cbranch_execz .LBB197_81
; %bb.74:                               ;   in Loop: Header=BB197_9 Depth=1
	v_bfrev_b32_e32 v93, 1
	v_mov_b32_e32 v94, 0
	v_cmp_ne_u16_sdwa s3, v1, v89 src0_sel:BYTE_0 src1_sel:DWORD
	s_and_saveexec_b32 s33, s3
	s_cbranch_execz .LBB197_80
; %bb.75:                               ;   in Loop: Header=BB197_9 Depth=1
	v_mov_b32_e32 v93, 0x7f800001
	v_and_b32_e32 v3, 0x7f, v1
	v_mov_b32_e32 v94, 0
	s_mov_b32 s34, exec_lo
	v_cmpx_ne_u32_e32 0x7f, v3
	s_cbranch_execz .LBB197_79
; %bb.76:                               ;   in Loop: Header=BB197_9 Depth=1
	v_and_b32_e32 v65, 7, v1
	v_lshrrev_b32_e32 v2, 3, v3
	s_mov_b32 s35, exec_lo
	v_cmpx_gt_u32_e32 8, v3
; %bb.77:                               ;   in Loop: Header=BB197_9 Depth=1
	v_ffbh_u32_e32 v2, v65
	v_min_u32_e32 v2, 32, v2
	v_subrev_nc_u32_e32 v3, 28, v2
	v_sub_nc_u32_e32 v2, 29, v2
	v_lshlrev_b64 v[3:4], v3, v[65:66]
	v_and_b32_e32 v65, 7, v3
; %bb.78:                               ;   in Loop: Header=BB197_9 Depth=1
	s_or_b32 exec_lo, exec_lo, s35
	v_lshlrev_b32_e32 v3, 24, v1
	v_lshlrev_b32_e32 v4, 20, v65
	v_lshl_add_u32 v2, v2, 23, 0x3c000000
	v_and_b32_e32 v3, 0x80000000, v3
	v_or3_b32 v65, v4, v3, v2
	v_mov_b32_e32 v94, v66
	v_mov_b32_e32 v93, v65
.LBB197_79:                             ;   in Loop: Header=BB197_9 Depth=1
	s_or_b32 exec_lo, exec_lo, s34
.LBB197_80:                             ;   in Loop: Header=BB197_9 Depth=1
	s_or_b32 exec_lo, exec_lo, s33
.LBB197_81:                             ;   in Loop: Header=BB197_9 Depth=1
	s_or_b32 exec_lo, exec_lo, s4
	v_cmp_ne_u16_sdwa s3, v1, v66 src0_sel:BYTE_1 src1_sel:DWORD
	s_and_saveexec_b32 s4, s3
	s_cbranch_execz .LBB197_89
; %bb.82:                               ;   in Loop: Header=BB197_9 Depth=1
	v_mov_b32_e32 v81, v66
	v_mov_b32_e32 v96, v82
	v_cmp_ne_u16_sdwa s3, v1, v89 src0_sel:BYTE_1 src1_sel:DWORD
	v_mov_b32_e32 v95, v81
	s_and_saveexec_b32 s33, s3
	s_cbranch_execz .LBB197_88
; %bb.83:                               ;   in Loop: Header=BB197_9 Depth=1
	v_mov_b32_e32 v2, 0xffff
	v_mov_b32_e32 v79, v66
	;; [unrolled: 1-line block ×3, first 2 shown]
	s_mov_b32 s34, exec_lo
	v_and_b32_sdwa v2, v2, v1 dst_sel:DWORD dst_unused:UNUSED_PAD src0_sel:DWORD src1_sel:BYTE_1
	v_mov_b32_e32 v95, v79
	v_and_b32_e32 v3, 0x7f, v2
	v_cmpx_ne_u32_e32 0x7f, v3
	s_cbranch_execz .LBB197_87
; %bb.84:                               ;   in Loop: Header=BB197_9 Depth=1
	v_and_b32_e32 v65, 7, v2
	v_lshrrev_b32_e32 v2, 3, v3
	s_mov_b32 s35, exec_lo
	v_cmpx_gt_u32_e32 8, v3
; %bb.85:                               ;   in Loop: Header=BB197_9 Depth=1
	v_ffbh_u32_e32 v2, v65
	v_min_u32_e32 v2, 32, v2
	v_subrev_nc_u32_e32 v3, 28, v2
	v_sub_nc_u32_e32 v2, 29, v2
	v_lshlrev_b64 v[3:4], v3, v[65:66]
	v_and_b32_e32 v65, 7, v3
; %bb.86:                               ;   in Loop: Header=BB197_9 Depth=1
	s_or_b32 exec_lo, exec_lo, s35
	v_lshlrev_b32_e32 v1, 16, v1
	v_lshlrev_b32_e32 v3, 20, v65
	v_lshl_add_u32 v2, v2, 23, 0x3c000000
	v_mov_b32_e32 v95, v66
	v_and_b32_e32 v1, 0x80000000, v1
	v_or3_b32 v96, v3, v1, v2
.LBB197_87:                             ;   in Loop: Header=BB197_9 Depth=1
	s_or_b32 exec_lo, exec_lo, s34
.LBB197_88:                             ;   in Loop: Header=BB197_9 Depth=1
	s_or_b32 exec_lo, exec_lo, s33
.LBB197_89:                             ;   in Loop: Header=BB197_9 Depth=1
	s_or_b32 exec_lo, exec_lo, s4
	global_load_ushort v2, v[83:84], off offset:260
	v_mov_b32_e32 v99, 0
	v_mov_b32_e32 v97, 0
	;; [unrolled: 1-line block ×4, first 2 shown]
	s_waitcnt vmcnt(0)
	v_and_b32_e32 v1, 0xffff, v2
	v_cmp_ne_u16_sdwa s3, v2, v66 src0_sel:BYTE_0 src1_sel:DWORD
	s_and_saveexec_b32 s4, s3
	s_cbranch_execz .LBB197_97
; %bb.90:                               ;   in Loop: Header=BB197_9 Depth=1
	v_bfrev_b32_e32 v97, 1
	v_mov_b32_e32 v98, 0
	v_cmp_ne_u16_sdwa s3, v1, v89 src0_sel:BYTE_0 src1_sel:DWORD
	s_and_saveexec_b32 s33, s3
	s_cbranch_execz .LBB197_96
; %bb.91:                               ;   in Loop: Header=BB197_9 Depth=1
	v_mov_b32_e32 v97, 0x7f800001
	v_and_b32_e32 v3, 0x7f, v1
	v_mov_b32_e32 v98, 0
	s_mov_b32 s34, exec_lo
	v_cmpx_ne_u32_e32 0x7f, v3
	s_cbranch_execz .LBB197_95
; %bb.92:                               ;   in Loop: Header=BB197_9 Depth=1
	v_and_b32_e32 v65, 7, v1
	v_lshrrev_b32_e32 v2, 3, v3
	s_mov_b32 s35, exec_lo
	v_cmpx_gt_u32_e32 8, v3
; %bb.93:                               ;   in Loop: Header=BB197_9 Depth=1
	v_ffbh_u32_e32 v2, v65
	v_min_u32_e32 v2, 32, v2
	v_subrev_nc_u32_e32 v3, 28, v2
	v_sub_nc_u32_e32 v2, 29, v2
	v_lshlrev_b64 v[3:4], v3, v[65:66]
	v_and_b32_e32 v65, 7, v3
; %bb.94:                               ;   in Loop: Header=BB197_9 Depth=1
	s_or_b32 exec_lo, exec_lo, s35
	v_lshlrev_b32_e32 v3, 24, v1
	v_lshlrev_b32_e32 v4, 20, v65
	v_lshl_add_u32 v2, v2, 23, 0x3c000000
	v_and_b32_e32 v3, 0x80000000, v3
	v_or3_b32 v65, v4, v3, v2
	v_mov_b32_e32 v98, v66
	v_mov_b32_e32 v97, v65
.LBB197_95:                             ;   in Loop: Header=BB197_9 Depth=1
	s_or_b32 exec_lo, exec_lo, s34
.LBB197_96:                             ;   in Loop: Header=BB197_9 Depth=1
	s_or_b32 exec_lo, exec_lo, s33
.LBB197_97:                             ;   in Loop: Header=BB197_9 Depth=1
	s_or_b32 exec_lo, exec_lo, s4
	v_cmp_ne_u16_sdwa s3, v1, v66 src0_sel:BYTE_1 src1_sel:DWORD
	s_and_saveexec_b32 s4, s3
	s_cbranch_execz .LBB197_105
; %bb.98:                               ;   in Loop: Header=BB197_9 Depth=1
	v_mov_b32_e32 v81, v66
	v_mov_b32_e32 v100, v82
	v_cmp_ne_u16_sdwa s3, v1, v89 src0_sel:BYTE_1 src1_sel:DWORD
	v_mov_b32_e32 v99, v81
	s_and_saveexec_b32 s33, s3
	s_cbranch_execz .LBB197_104
; %bb.99:                               ;   in Loop: Header=BB197_9 Depth=1
	v_mov_b32_e32 v2, 0xffff
	v_mov_b32_e32 v79, v66
	v_mov_b32_e32 v100, v80
	s_mov_b32 s34, exec_lo
	v_and_b32_sdwa v2, v2, v1 dst_sel:DWORD dst_unused:UNUSED_PAD src0_sel:DWORD src1_sel:BYTE_1
	v_mov_b32_e32 v99, v79
	v_and_b32_e32 v3, 0x7f, v2
	v_cmpx_ne_u32_e32 0x7f, v3
	s_cbranch_execz .LBB197_103
; %bb.100:                              ;   in Loop: Header=BB197_9 Depth=1
	v_and_b32_e32 v65, 7, v2
	v_lshrrev_b32_e32 v2, 3, v3
	s_mov_b32 s35, exec_lo
	v_cmpx_gt_u32_e32 8, v3
; %bb.101:                              ;   in Loop: Header=BB197_9 Depth=1
	v_ffbh_u32_e32 v2, v65
	v_min_u32_e32 v2, 32, v2
	v_subrev_nc_u32_e32 v3, 28, v2
	v_sub_nc_u32_e32 v2, 29, v2
	v_lshlrev_b64 v[3:4], v3, v[65:66]
	v_and_b32_e32 v65, 7, v3
; %bb.102:                              ;   in Loop: Header=BB197_9 Depth=1
	s_or_b32 exec_lo, exec_lo, s35
	v_lshlrev_b32_e32 v1, 16, v1
	v_lshlrev_b32_e32 v3, 20, v65
	v_lshl_add_u32 v2, v2, 23, 0x3c000000
	v_mov_b32_e32 v99, v66
	v_and_b32_e32 v1, 0x80000000, v1
	v_or3_b32 v100, v3, v1, v2
.LBB197_103:                            ;   in Loop: Header=BB197_9 Depth=1
	s_or_b32 exec_lo, exec_lo, s34
.LBB197_104:                            ;   in Loop: Header=BB197_9 Depth=1
	s_or_b32 exec_lo, exec_lo, s33
.LBB197_105:                            ;   in Loop: Header=BB197_9 Depth=1
	s_or_b32 exec_lo, exec_lo, s4
	global_load_ushort v2, v[83:84], off offset:264
	v_mov_b32_e32 v103, 0
	v_mov_b32_e32 v101, 0
	;; [unrolled: 1-line block ×4, first 2 shown]
	s_waitcnt vmcnt(0)
	v_and_b32_e32 v1, 0xffff, v2
	v_cmp_ne_u16_sdwa s3, v2, v66 src0_sel:BYTE_0 src1_sel:DWORD
	s_and_saveexec_b32 s4, s3
	s_cbranch_execz .LBB197_113
; %bb.106:                              ;   in Loop: Header=BB197_9 Depth=1
	v_bfrev_b32_e32 v101, 1
	v_mov_b32_e32 v102, 0
	v_cmp_ne_u16_sdwa s3, v1, v89 src0_sel:BYTE_0 src1_sel:DWORD
	s_and_saveexec_b32 s33, s3
	s_cbranch_execz .LBB197_112
; %bb.107:                              ;   in Loop: Header=BB197_9 Depth=1
	v_mov_b32_e32 v101, 0x7f800001
	v_and_b32_e32 v3, 0x7f, v1
	v_mov_b32_e32 v102, 0
	s_mov_b32 s34, exec_lo
	v_cmpx_ne_u32_e32 0x7f, v3
	s_cbranch_execz .LBB197_111
; %bb.108:                              ;   in Loop: Header=BB197_9 Depth=1
	v_and_b32_e32 v65, 7, v1
	v_lshrrev_b32_e32 v2, 3, v3
	s_mov_b32 s35, exec_lo
	v_cmpx_gt_u32_e32 8, v3
; %bb.109:                              ;   in Loop: Header=BB197_9 Depth=1
	v_ffbh_u32_e32 v2, v65
	v_min_u32_e32 v2, 32, v2
	v_subrev_nc_u32_e32 v3, 28, v2
	v_sub_nc_u32_e32 v2, 29, v2
	v_lshlrev_b64 v[3:4], v3, v[65:66]
	v_and_b32_e32 v65, 7, v3
; %bb.110:                              ;   in Loop: Header=BB197_9 Depth=1
	s_or_b32 exec_lo, exec_lo, s35
	v_lshlrev_b32_e32 v3, 24, v1
	v_lshlrev_b32_e32 v4, 20, v65
	v_lshl_add_u32 v2, v2, 23, 0x3c000000
	v_and_b32_e32 v3, 0x80000000, v3
	v_or3_b32 v65, v4, v3, v2
	v_mov_b32_e32 v102, v66
	v_mov_b32_e32 v101, v65
.LBB197_111:                            ;   in Loop: Header=BB197_9 Depth=1
	s_or_b32 exec_lo, exec_lo, s34
.LBB197_112:                            ;   in Loop: Header=BB197_9 Depth=1
	s_or_b32 exec_lo, exec_lo, s33
.LBB197_113:                            ;   in Loop: Header=BB197_9 Depth=1
	s_or_b32 exec_lo, exec_lo, s4
	v_cmp_ne_u16_sdwa s3, v1, v66 src0_sel:BYTE_1 src1_sel:DWORD
	s_and_saveexec_b32 s4, s3
	s_cbranch_execz .LBB197_121
; %bb.114:                              ;   in Loop: Header=BB197_9 Depth=1
	v_mov_b32_e32 v81, v66
	v_mov_b32_e32 v104, v82
	v_cmp_ne_u16_sdwa s3, v1, v89 src0_sel:BYTE_1 src1_sel:DWORD
	v_mov_b32_e32 v103, v81
	s_and_saveexec_b32 s33, s3
	s_cbranch_execz .LBB197_120
; %bb.115:                              ;   in Loop: Header=BB197_9 Depth=1
	v_mov_b32_e32 v2, 0xffff
	v_mov_b32_e32 v79, v66
	;; [unrolled: 1-line block ×3, first 2 shown]
	s_mov_b32 s34, exec_lo
	v_and_b32_sdwa v2, v2, v1 dst_sel:DWORD dst_unused:UNUSED_PAD src0_sel:DWORD src1_sel:BYTE_1
	v_mov_b32_e32 v103, v79
	v_and_b32_e32 v3, 0x7f, v2
	v_cmpx_ne_u32_e32 0x7f, v3
	s_cbranch_execz .LBB197_119
; %bb.116:                              ;   in Loop: Header=BB197_9 Depth=1
	v_and_b32_e32 v65, 7, v2
	v_lshrrev_b32_e32 v2, 3, v3
	s_mov_b32 s35, exec_lo
	v_cmpx_gt_u32_e32 8, v3
; %bb.117:                              ;   in Loop: Header=BB197_9 Depth=1
	v_ffbh_u32_e32 v2, v65
	v_min_u32_e32 v2, 32, v2
	v_subrev_nc_u32_e32 v3, 28, v2
	v_sub_nc_u32_e32 v2, 29, v2
	v_lshlrev_b64 v[3:4], v3, v[65:66]
	v_and_b32_e32 v65, 7, v3
; %bb.118:                              ;   in Loop: Header=BB197_9 Depth=1
	s_or_b32 exec_lo, exec_lo, s35
	v_lshlrev_b32_e32 v1, 16, v1
	v_lshlrev_b32_e32 v3, 20, v65
	v_lshl_add_u32 v2, v2, 23, 0x3c000000
	v_mov_b32_e32 v103, v66
	v_and_b32_e32 v1, 0x80000000, v1
	v_or3_b32 v104, v3, v1, v2
.LBB197_119:                            ;   in Loop: Header=BB197_9 Depth=1
	s_or_b32 exec_lo, exec_lo, s34
.LBB197_120:                            ;   in Loop: Header=BB197_9 Depth=1
	s_or_b32 exec_lo, exec_lo, s33
.LBB197_121:                            ;   in Loop: Header=BB197_9 Depth=1
	s_or_b32 exec_lo, exec_lo, s4
	global_load_ushort v2, v[83:84], off offset:268
	v_mov_b32_e32 v107, 0
	v_mov_b32_e32 v105, 0
	;; [unrolled: 1-line block ×4, first 2 shown]
	s_waitcnt vmcnt(0)
	v_and_b32_e32 v1, 0xffff, v2
	v_cmp_ne_u16_sdwa s3, v2, v66 src0_sel:BYTE_0 src1_sel:DWORD
	s_and_saveexec_b32 s4, s3
	s_cbranch_execz .LBB197_129
; %bb.122:                              ;   in Loop: Header=BB197_9 Depth=1
	v_bfrev_b32_e32 v105, 1
	v_mov_b32_e32 v106, 0
	v_cmp_ne_u16_sdwa s3, v1, v89 src0_sel:BYTE_0 src1_sel:DWORD
	s_and_saveexec_b32 s33, s3
	s_cbranch_execz .LBB197_128
; %bb.123:                              ;   in Loop: Header=BB197_9 Depth=1
	v_mov_b32_e32 v105, 0x7f800001
	v_and_b32_e32 v3, 0x7f, v1
	v_mov_b32_e32 v106, 0
	s_mov_b32 s34, exec_lo
	v_cmpx_ne_u32_e32 0x7f, v3
	s_cbranch_execz .LBB197_127
; %bb.124:                              ;   in Loop: Header=BB197_9 Depth=1
	v_and_b32_e32 v65, 7, v1
	v_lshrrev_b32_e32 v2, 3, v3
	s_mov_b32 s35, exec_lo
	v_cmpx_gt_u32_e32 8, v3
; %bb.125:                              ;   in Loop: Header=BB197_9 Depth=1
	v_ffbh_u32_e32 v2, v65
	v_min_u32_e32 v2, 32, v2
	v_subrev_nc_u32_e32 v3, 28, v2
	v_sub_nc_u32_e32 v2, 29, v2
	v_lshlrev_b64 v[3:4], v3, v[65:66]
	v_and_b32_e32 v65, 7, v3
; %bb.126:                              ;   in Loop: Header=BB197_9 Depth=1
	s_or_b32 exec_lo, exec_lo, s35
	v_lshlrev_b32_e32 v3, 24, v1
	v_lshlrev_b32_e32 v4, 20, v65
	v_lshl_add_u32 v2, v2, 23, 0x3c000000
	v_and_b32_e32 v3, 0x80000000, v3
	v_or3_b32 v65, v4, v3, v2
	v_mov_b32_e32 v106, v66
	v_mov_b32_e32 v105, v65
.LBB197_127:                            ;   in Loop: Header=BB197_9 Depth=1
	s_or_b32 exec_lo, exec_lo, s34
.LBB197_128:                            ;   in Loop: Header=BB197_9 Depth=1
	s_or_b32 exec_lo, exec_lo, s33
.LBB197_129:                            ;   in Loop: Header=BB197_9 Depth=1
	s_or_b32 exec_lo, exec_lo, s4
	v_cmp_ne_u16_sdwa s3, v1, v66 src0_sel:BYTE_1 src1_sel:DWORD
	s_and_saveexec_b32 s4, s3
	s_cbranch_execz .LBB197_137
; %bb.130:                              ;   in Loop: Header=BB197_9 Depth=1
	v_mov_b32_e32 v81, v66
	v_mov_b32_e32 v108, v82
	v_cmp_ne_u16_sdwa s3, v1, v89 src0_sel:BYTE_1 src1_sel:DWORD
	v_mov_b32_e32 v107, v81
	s_and_saveexec_b32 s33, s3
	s_cbranch_execz .LBB197_136
; %bb.131:                              ;   in Loop: Header=BB197_9 Depth=1
	v_mov_b32_e32 v2, 0xffff
	v_mov_b32_e32 v79, v66
	;; [unrolled: 1-line block ×3, first 2 shown]
	s_mov_b32 s34, exec_lo
	v_and_b32_sdwa v2, v2, v1 dst_sel:DWORD dst_unused:UNUSED_PAD src0_sel:DWORD src1_sel:BYTE_1
	v_mov_b32_e32 v107, v79
	v_and_b32_e32 v3, 0x7f, v2
	v_cmpx_ne_u32_e32 0x7f, v3
	s_cbranch_execz .LBB197_135
; %bb.132:                              ;   in Loop: Header=BB197_9 Depth=1
	v_and_b32_e32 v65, 7, v2
	v_lshrrev_b32_e32 v2, 3, v3
	s_mov_b32 s35, exec_lo
	v_cmpx_gt_u32_e32 8, v3
; %bb.133:                              ;   in Loop: Header=BB197_9 Depth=1
	v_ffbh_u32_e32 v2, v65
	v_min_u32_e32 v2, 32, v2
	v_subrev_nc_u32_e32 v3, 28, v2
	v_sub_nc_u32_e32 v2, 29, v2
	v_lshlrev_b64 v[3:4], v3, v[65:66]
	v_and_b32_e32 v65, 7, v3
; %bb.134:                              ;   in Loop: Header=BB197_9 Depth=1
	s_or_b32 exec_lo, exec_lo, s35
	v_lshlrev_b32_e32 v1, 16, v1
	v_lshlrev_b32_e32 v3, 20, v65
	v_lshl_add_u32 v2, v2, 23, 0x3c000000
	v_mov_b32_e32 v107, v66
	v_and_b32_e32 v1, 0x80000000, v1
	v_or3_b32 v108, v3, v1, v2
.LBB197_135:                            ;   in Loop: Header=BB197_9 Depth=1
	s_or_b32 exec_lo, exec_lo, s34
.LBB197_136:                            ;   in Loop: Header=BB197_9 Depth=1
	s_or_b32 exec_lo, exec_lo, s33
.LBB197_137:                            ;   in Loop: Header=BB197_9 Depth=1
	s_or_b32 exec_lo, exec_lo, s4
	global_load_ushort v2, v[83:84], off offset:512
	v_mov_b32_e32 v111, 0
	v_mov_b32_e32 v109, 0
	;; [unrolled: 1-line block ×4, first 2 shown]
	s_waitcnt vmcnt(0)
	v_and_b32_e32 v1, 0xffff, v2
	v_cmp_ne_u16_sdwa s3, v2, v66 src0_sel:BYTE_0 src1_sel:DWORD
	s_and_saveexec_b32 s4, s3
	s_cbranch_execz .LBB197_145
; %bb.138:                              ;   in Loop: Header=BB197_9 Depth=1
	v_bfrev_b32_e32 v109, 1
	v_mov_b32_e32 v110, 0
	v_cmp_ne_u16_sdwa s3, v1, v89 src0_sel:BYTE_0 src1_sel:DWORD
	s_and_saveexec_b32 s33, s3
	s_cbranch_execz .LBB197_144
; %bb.139:                              ;   in Loop: Header=BB197_9 Depth=1
	v_mov_b32_e32 v109, 0x7f800001
	v_and_b32_e32 v3, 0x7f, v1
	v_mov_b32_e32 v110, 0
	s_mov_b32 s34, exec_lo
	v_cmpx_ne_u32_e32 0x7f, v3
	s_cbranch_execz .LBB197_143
; %bb.140:                              ;   in Loop: Header=BB197_9 Depth=1
	v_and_b32_e32 v65, 7, v1
	v_lshrrev_b32_e32 v2, 3, v3
	s_mov_b32 s35, exec_lo
	v_cmpx_gt_u32_e32 8, v3
; %bb.141:                              ;   in Loop: Header=BB197_9 Depth=1
	v_ffbh_u32_e32 v2, v65
	v_min_u32_e32 v2, 32, v2
	v_subrev_nc_u32_e32 v3, 28, v2
	v_sub_nc_u32_e32 v2, 29, v2
	v_lshlrev_b64 v[3:4], v3, v[65:66]
	v_and_b32_e32 v65, 7, v3
; %bb.142:                              ;   in Loop: Header=BB197_9 Depth=1
	s_or_b32 exec_lo, exec_lo, s35
	v_lshlrev_b32_e32 v3, 24, v1
	v_lshlrev_b32_e32 v4, 20, v65
	v_lshl_add_u32 v2, v2, 23, 0x3c000000
	v_and_b32_e32 v3, 0x80000000, v3
	v_or3_b32 v65, v4, v3, v2
	v_mov_b32_e32 v110, v66
	v_mov_b32_e32 v109, v65
.LBB197_143:                            ;   in Loop: Header=BB197_9 Depth=1
	s_or_b32 exec_lo, exec_lo, s34
.LBB197_144:                            ;   in Loop: Header=BB197_9 Depth=1
	s_or_b32 exec_lo, exec_lo, s33
.LBB197_145:                            ;   in Loop: Header=BB197_9 Depth=1
	s_or_b32 exec_lo, exec_lo, s4
	v_cmp_ne_u16_sdwa s3, v1, v66 src0_sel:BYTE_1 src1_sel:DWORD
	s_and_saveexec_b32 s4, s3
	s_cbranch_execz .LBB197_153
; %bb.146:                              ;   in Loop: Header=BB197_9 Depth=1
	v_mov_b32_e32 v81, v66
	v_mov_b32_e32 v112, v82
	v_cmp_ne_u16_sdwa s3, v1, v89 src0_sel:BYTE_1 src1_sel:DWORD
	v_mov_b32_e32 v111, v81
	s_and_saveexec_b32 s33, s3
	s_cbranch_execz .LBB197_152
; %bb.147:                              ;   in Loop: Header=BB197_9 Depth=1
	v_mov_b32_e32 v2, 0xffff
	v_mov_b32_e32 v79, v66
	;; [unrolled: 1-line block ×3, first 2 shown]
	s_mov_b32 s34, exec_lo
	v_and_b32_sdwa v2, v2, v1 dst_sel:DWORD dst_unused:UNUSED_PAD src0_sel:DWORD src1_sel:BYTE_1
	v_mov_b32_e32 v111, v79
	v_and_b32_e32 v3, 0x7f, v2
	v_cmpx_ne_u32_e32 0x7f, v3
	s_cbranch_execz .LBB197_151
; %bb.148:                              ;   in Loop: Header=BB197_9 Depth=1
	v_and_b32_e32 v65, 7, v2
	v_lshrrev_b32_e32 v2, 3, v3
	s_mov_b32 s35, exec_lo
	v_cmpx_gt_u32_e32 8, v3
; %bb.149:                              ;   in Loop: Header=BB197_9 Depth=1
	v_ffbh_u32_e32 v2, v65
	v_min_u32_e32 v2, 32, v2
	v_subrev_nc_u32_e32 v3, 28, v2
	v_sub_nc_u32_e32 v2, 29, v2
	v_lshlrev_b64 v[3:4], v3, v[65:66]
	v_and_b32_e32 v65, 7, v3
; %bb.150:                              ;   in Loop: Header=BB197_9 Depth=1
	s_or_b32 exec_lo, exec_lo, s35
	v_lshlrev_b32_e32 v1, 16, v1
	v_lshlrev_b32_e32 v3, 20, v65
	v_lshl_add_u32 v2, v2, 23, 0x3c000000
	v_mov_b32_e32 v111, v66
	v_and_b32_e32 v1, 0x80000000, v1
	v_or3_b32 v112, v3, v1, v2
.LBB197_151:                            ;   in Loop: Header=BB197_9 Depth=1
	s_or_b32 exec_lo, exec_lo, s34
.LBB197_152:                            ;   in Loop: Header=BB197_9 Depth=1
	s_or_b32 exec_lo, exec_lo, s33
.LBB197_153:                            ;   in Loop: Header=BB197_9 Depth=1
	s_or_b32 exec_lo, exec_lo, s4
	global_load_ushort v2, v[83:84], off offset:516
	v_mov_b32_e32 v115, 0
	v_mov_b32_e32 v113, 0
	;; [unrolled: 1-line block ×4, first 2 shown]
	s_waitcnt vmcnt(0)
	v_and_b32_e32 v1, 0xffff, v2
	v_cmp_ne_u16_sdwa s3, v2, v66 src0_sel:BYTE_0 src1_sel:DWORD
	s_and_saveexec_b32 s4, s3
	s_cbranch_execz .LBB197_161
; %bb.154:                              ;   in Loop: Header=BB197_9 Depth=1
	v_bfrev_b32_e32 v113, 1
	v_mov_b32_e32 v114, 0
	v_cmp_ne_u16_sdwa s3, v1, v89 src0_sel:BYTE_0 src1_sel:DWORD
	s_and_saveexec_b32 s33, s3
	s_cbranch_execz .LBB197_160
; %bb.155:                              ;   in Loop: Header=BB197_9 Depth=1
	v_mov_b32_e32 v113, 0x7f800001
	v_and_b32_e32 v3, 0x7f, v1
	v_mov_b32_e32 v114, 0
	s_mov_b32 s34, exec_lo
	v_cmpx_ne_u32_e32 0x7f, v3
	s_cbranch_execz .LBB197_159
; %bb.156:                              ;   in Loop: Header=BB197_9 Depth=1
	v_and_b32_e32 v65, 7, v1
	v_lshrrev_b32_e32 v2, 3, v3
	s_mov_b32 s35, exec_lo
	v_cmpx_gt_u32_e32 8, v3
; %bb.157:                              ;   in Loop: Header=BB197_9 Depth=1
	v_ffbh_u32_e32 v2, v65
	v_min_u32_e32 v2, 32, v2
	v_subrev_nc_u32_e32 v3, 28, v2
	v_sub_nc_u32_e32 v2, 29, v2
	v_lshlrev_b64 v[3:4], v3, v[65:66]
	v_and_b32_e32 v65, 7, v3
; %bb.158:                              ;   in Loop: Header=BB197_9 Depth=1
	s_or_b32 exec_lo, exec_lo, s35
	v_lshlrev_b32_e32 v3, 24, v1
	v_lshlrev_b32_e32 v4, 20, v65
	v_lshl_add_u32 v2, v2, 23, 0x3c000000
	v_and_b32_e32 v3, 0x80000000, v3
	v_or3_b32 v65, v4, v3, v2
	v_mov_b32_e32 v114, v66
	v_mov_b32_e32 v113, v65
.LBB197_159:                            ;   in Loop: Header=BB197_9 Depth=1
	s_or_b32 exec_lo, exec_lo, s34
.LBB197_160:                            ;   in Loop: Header=BB197_9 Depth=1
	s_or_b32 exec_lo, exec_lo, s33
.LBB197_161:                            ;   in Loop: Header=BB197_9 Depth=1
	s_or_b32 exec_lo, exec_lo, s4
	v_cmp_ne_u16_sdwa s3, v1, v66 src0_sel:BYTE_1 src1_sel:DWORD
	s_and_saveexec_b32 s4, s3
	s_cbranch_execz .LBB197_169
; %bb.162:                              ;   in Loop: Header=BB197_9 Depth=1
	v_mov_b32_e32 v81, v66
	v_mov_b32_e32 v116, v82
	v_cmp_ne_u16_sdwa s3, v1, v89 src0_sel:BYTE_1 src1_sel:DWORD
	v_mov_b32_e32 v115, v81
	s_and_saveexec_b32 s33, s3
	s_cbranch_execz .LBB197_168
; %bb.163:                              ;   in Loop: Header=BB197_9 Depth=1
	v_mov_b32_e32 v2, 0xffff
	v_mov_b32_e32 v79, v66
	;; [unrolled: 1-line block ×3, first 2 shown]
	s_mov_b32 s34, exec_lo
	v_and_b32_sdwa v2, v2, v1 dst_sel:DWORD dst_unused:UNUSED_PAD src0_sel:DWORD src1_sel:BYTE_1
	v_mov_b32_e32 v115, v79
	v_and_b32_e32 v3, 0x7f, v2
	v_cmpx_ne_u32_e32 0x7f, v3
	s_cbranch_execz .LBB197_167
; %bb.164:                              ;   in Loop: Header=BB197_9 Depth=1
	v_and_b32_e32 v65, 7, v2
	v_lshrrev_b32_e32 v2, 3, v3
	s_mov_b32 s35, exec_lo
	v_cmpx_gt_u32_e32 8, v3
; %bb.165:                              ;   in Loop: Header=BB197_9 Depth=1
	v_ffbh_u32_e32 v2, v65
	v_min_u32_e32 v2, 32, v2
	v_subrev_nc_u32_e32 v3, 28, v2
	v_sub_nc_u32_e32 v2, 29, v2
	v_lshlrev_b64 v[3:4], v3, v[65:66]
	v_and_b32_e32 v65, 7, v3
; %bb.166:                              ;   in Loop: Header=BB197_9 Depth=1
	s_or_b32 exec_lo, exec_lo, s35
	v_lshlrev_b32_e32 v1, 16, v1
	v_lshlrev_b32_e32 v3, 20, v65
	v_lshl_add_u32 v2, v2, 23, 0x3c000000
	v_mov_b32_e32 v115, v66
	v_and_b32_e32 v1, 0x80000000, v1
	v_or3_b32 v116, v3, v1, v2
.LBB197_167:                            ;   in Loop: Header=BB197_9 Depth=1
	s_or_b32 exec_lo, exec_lo, s34
.LBB197_168:                            ;   in Loop: Header=BB197_9 Depth=1
	s_or_b32 exec_lo, exec_lo, s33
.LBB197_169:                            ;   in Loop: Header=BB197_9 Depth=1
	s_or_b32 exec_lo, exec_lo, s4
	global_load_ushort v2, v[83:84], off offset:520
	v_mov_b32_e32 v119, 0
	v_mov_b32_e32 v117, 0
	;; [unrolled: 1-line block ×4, first 2 shown]
	s_waitcnt vmcnt(0)
	v_and_b32_e32 v1, 0xffff, v2
	v_cmp_ne_u16_sdwa s3, v2, v66 src0_sel:BYTE_0 src1_sel:DWORD
	s_and_saveexec_b32 s4, s3
	s_cbranch_execz .LBB197_177
; %bb.170:                              ;   in Loop: Header=BB197_9 Depth=1
	v_bfrev_b32_e32 v117, 1
	v_mov_b32_e32 v118, 0
	v_cmp_ne_u16_sdwa s3, v1, v89 src0_sel:BYTE_0 src1_sel:DWORD
	s_and_saveexec_b32 s33, s3
	s_cbranch_execz .LBB197_176
; %bb.171:                              ;   in Loop: Header=BB197_9 Depth=1
	v_mov_b32_e32 v117, 0x7f800001
	v_and_b32_e32 v3, 0x7f, v1
	v_mov_b32_e32 v118, 0
	s_mov_b32 s34, exec_lo
	v_cmpx_ne_u32_e32 0x7f, v3
	s_cbranch_execz .LBB197_175
; %bb.172:                              ;   in Loop: Header=BB197_9 Depth=1
	v_and_b32_e32 v65, 7, v1
	v_lshrrev_b32_e32 v2, 3, v3
	s_mov_b32 s35, exec_lo
	v_cmpx_gt_u32_e32 8, v3
; %bb.173:                              ;   in Loop: Header=BB197_9 Depth=1
	v_ffbh_u32_e32 v2, v65
	v_min_u32_e32 v2, 32, v2
	v_subrev_nc_u32_e32 v3, 28, v2
	v_sub_nc_u32_e32 v2, 29, v2
	v_lshlrev_b64 v[3:4], v3, v[65:66]
	v_and_b32_e32 v65, 7, v3
; %bb.174:                              ;   in Loop: Header=BB197_9 Depth=1
	s_or_b32 exec_lo, exec_lo, s35
	v_lshlrev_b32_e32 v3, 24, v1
	v_lshlrev_b32_e32 v4, 20, v65
	v_lshl_add_u32 v2, v2, 23, 0x3c000000
	v_and_b32_e32 v3, 0x80000000, v3
	v_or3_b32 v65, v4, v3, v2
	v_mov_b32_e32 v118, v66
	v_mov_b32_e32 v117, v65
.LBB197_175:                            ;   in Loop: Header=BB197_9 Depth=1
	s_or_b32 exec_lo, exec_lo, s34
.LBB197_176:                            ;   in Loop: Header=BB197_9 Depth=1
	s_or_b32 exec_lo, exec_lo, s33
.LBB197_177:                            ;   in Loop: Header=BB197_9 Depth=1
	s_or_b32 exec_lo, exec_lo, s4
	v_cmp_ne_u16_sdwa s3, v1, v66 src0_sel:BYTE_1 src1_sel:DWORD
	s_and_saveexec_b32 s4, s3
	s_cbranch_execz .LBB197_185
; %bb.178:                              ;   in Loop: Header=BB197_9 Depth=1
	v_mov_b32_e32 v81, v66
	v_mov_b32_e32 v120, v82
	v_cmp_ne_u16_sdwa s3, v1, v89 src0_sel:BYTE_1 src1_sel:DWORD
	v_mov_b32_e32 v119, v81
	s_and_saveexec_b32 s33, s3
	s_cbranch_execz .LBB197_184
; %bb.179:                              ;   in Loop: Header=BB197_9 Depth=1
	v_mov_b32_e32 v2, 0xffff
	v_mov_b32_e32 v79, v66
	;; [unrolled: 1-line block ×3, first 2 shown]
	s_mov_b32 s34, exec_lo
	v_and_b32_sdwa v2, v2, v1 dst_sel:DWORD dst_unused:UNUSED_PAD src0_sel:DWORD src1_sel:BYTE_1
	v_mov_b32_e32 v119, v79
	v_and_b32_e32 v3, 0x7f, v2
	v_cmpx_ne_u32_e32 0x7f, v3
	s_cbranch_execz .LBB197_183
; %bb.180:                              ;   in Loop: Header=BB197_9 Depth=1
	v_and_b32_e32 v65, 7, v2
	v_lshrrev_b32_e32 v2, 3, v3
	s_mov_b32 s35, exec_lo
	v_cmpx_gt_u32_e32 8, v3
; %bb.181:                              ;   in Loop: Header=BB197_9 Depth=1
	v_ffbh_u32_e32 v2, v65
	v_min_u32_e32 v2, 32, v2
	v_subrev_nc_u32_e32 v3, 28, v2
	v_sub_nc_u32_e32 v2, 29, v2
	v_lshlrev_b64 v[3:4], v3, v[65:66]
	v_and_b32_e32 v65, 7, v3
; %bb.182:                              ;   in Loop: Header=BB197_9 Depth=1
	s_or_b32 exec_lo, exec_lo, s35
	v_lshlrev_b32_e32 v1, 16, v1
	v_lshlrev_b32_e32 v3, 20, v65
	v_lshl_add_u32 v2, v2, 23, 0x3c000000
	v_mov_b32_e32 v119, v66
	v_and_b32_e32 v1, 0x80000000, v1
	v_or3_b32 v120, v3, v1, v2
.LBB197_183:                            ;   in Loop: Header=BB197_9 Depth=1
	s_or_b32 exec_lo, exec_lo, s34
.LBB197_184:                            ;   in Loop: Header=BB197_9 Depth=1
	s_or_b32 exec_lo, exec_lo, s33
.LBB197_185:                            ;   in Loop: Header=BB197_9 Depth=1
	s_or_b32 exec_lo, exec_lo, s4
	global_load_ushort v2, v[83:84], off offset:524
	v_mov_b32_e32 v123, 0
	v_mov_b32_e32 v121, 0
	;; [unrolled: 1-line block ×4, first 2 shown]
	s_waitcnt vmcnt(0)
	v_and_b32_e32 v1, 0xffff, v2
	v_cmp_ne_u16_sdwa s3, v2, v66 src0_sel:BYTE_0 src1_sel:DWORD
	s_and_saveexec_b32 s4, s3
	s_cbranch_execz .LBB197_193
; %bb.186:                              ;   in Loop: Header=BB197_9 Depth=1
	v_bfrev_b32_e32 v121, 1
	v_mov_b32_e32 v122, 0
	v_cmp_ne_u16_sdwa s3, v1, v89 src0_sel:BYTE_0 src1_sel:DWORD
	s_and_saveexec_b32 s33, s3
	s_cbranch_execz .LBB197_192
; %bb.187:                              ;   in Loop: Header=BB197_9 Depth=1
	v_mov_b32_e32 v121, 0x7f800001
	v_and_b32_e32 v3, 0x7f, v1
	v_mov_b32_e32 v122, 0
	s_mov_b32 s34, exec_lo
	v_cmpx_ne_u32_e32 0x7f, v3
	s_cbranch_execz .LBB197_191
; %bb.188:                              ;   in Loop: Header=BB197_9 Depth=1
	v_and_b32_e32 v65, 7, v1
	v_lshrrev_b32_e32 v2, 3, v3
	s_mov_b32 s35, exec_lo
	v_cmpx_gt_u32_e32 8, v3
; %bb.189:                              ;   in Loop: Header=BB197_9 Depth=1
	v_ffbh_u32_e32 v2, v65
	v_min_u32_e32 v2, 32, v2
	v_subrev_nc_u32_e32 v3, 28, v2
	v_sub_nc_u32_e32 v2, 29, v2
	v_lshlrev_b64 v[3:4], v3, v[65:66]
	v_and_b32_e32 v65, 7, v3
; %bb.190:                              ;   in Loop: Header=BB197_9 Depth=1
	s_or_b32 exec_lo, exec_lo, s35
	v_lshlrev_b32_e32 v3, 24, v1
	v_lshlrev_b32_e32 v4, 20, v65
	v_lshl_add_u32 v2, v2, 23, 0x3c000000
	v_and_b32_e32 v3, 0x80000000, v3
	v_or3_b32 v65, v4, v3, v2
	v_mov_b32_e32 v122, v66
	v_mov_b32_e32 v121, v65
.LBB197_191:                            ;   in Loop: Header=BB197_9 Depth=1
	s_or_b32 exec_lo, exec_lo, s34
.LBB197_192:                            ;   in Loop: Header=BB197_9 Depth=1
	s_or_b32 exec_lo, exec_lo, s33
.LBB197_193:                            ;   in Loop: Header=BB197_9 Depth=1
	s_or_b32 exec_lo, exec_lo, s4
	v_cmp_ne_u16_sdwa s3, v1, v66 src0_sel:BYTE_1 src1_sel:DWORD
	s_and_saveexec_b32 s4, s3
	s_cbranch_execz .LBB197_201
; %bb.194:                              ;   in Loop: Header=BB197_9 Depth=1
	v_mov_b32_e32 v81, v66
	v_mov_b32_e32 v124, v82
	v_cmp_ne_u16_sdwa s3, v1, v89 src0_sel:BYTE_1 src1_sel:DWORD
	v_mov_b32_e32 v123, v81
	s_and_saveexec_b32 s33, s3
	s_cbranch_execz .LBB197_200
; %bb.195:                              ;   in Loop: Header=BB197_9 Depth=1
	v_mov_b32_e32 v2, 0xffff
	v_mov_b32_e32 v79, v66
	;; [unrolled: 1-line block ×3, first 2 shown]
	s_mov_b32 s34, exec_lo
	v_and_b32_sdwa v2, v2, v1 dst_sel:DWORD dst_unused:UNUSED_PAD src0_sel:DWORD src1_sel:BYTE_1
	v_mov_b32_e32 v123, v79
	v_and_b32_e32 v3, 0x7f, v2
	v_cmpx_ne_u32_e32 0x7f, v3
	s_cbranch_execz .LBB197_199
; %bb.196:                              ;   in Loop: Header=BB197_9 Depth=1
	v_and_b32_e32 v65, 7, v2
	v_lshrrev_b32_e32 v2, 3, v3
	s_mov_b32 s35, exec_lo
	v_cmpx_gt_u32_e32 8, v3
; %bb.197:                              ;   in Loop: Header=BB197_9 Depth=1
	v_ffbh_u32_e32 v2, v65
	v_min_u32_e32 v2, 32, v2
	v_subrev_nc_u32_e32 v3, 28, v2
	v_sub_nc_u32_e32 v2, 29, v2
	v_lshlrev_b64 v[3:4], v3, v[65:66]
	v_and_b32_e32 v65, 7, v3
; %bb.198:                              ;   in Loop: Header=BB197_9 Depth=1
	s_or_b32 exec_lo, exec_lo, s35
	v_lshlrev_b32_e32 v1, 16, v1
	v_lshlrev_b32_e32 v3, 20, v65
	v_lshl_add_u32 v2, v2, 23, 0x3c000000
	v_mov_b32_e32 v123, v66
	v_and_b32_e32 v1, 0x80000000, v1
	v_or3_b32 v124, v3, v1, v2
.LBB197_199:                            ;   in Loop: Header=BB197_9 Depth=1
	s_or_b32 exec_lo, exec_lo, s34
.LBB197_200:                            ;   in Loop: Header=BB197_9 Depth=1
	s_or_b32 exec_lo, exec_lo, s33
.LBB197_201:                            ;   in Loop: Header=BB197_9 Depth=1
	s_or_b32 exec_lo, exec_lo, s4
	global_load_ushort v2, v[83:84], off offset:768
	v_mov_b32_e32 v67, 0
	v_mov_b32_e32 v125, 0
	;; [unrolled: 1-line block ×4, first 2 shown]
	s_waitcnt vmcnt(0)
	v_and_b32_e32 v1, 0xffff, v2
	v_cmp_ne_u16_sdwa s3, v2, v66 src0_sel:BYTE_0 src1_sel:DWORD
	s_and_saveexec_b32 s4, s3
	s_cbranch_execz .LBB197_209
; %bb.202:                              ;   in Loop: Header=BB197_9 Depth=1
	v_bfrev_b32_e32 v125, 1
	v_mov_b32_e32 v126, 0
	v_cmp_ne_u16_sdwa s3, v1, v89 src0_sel:BYTE_0 src1_sel:DWORD
	s_and_saveexec_b32 s33, s3
	s_cbranch_execz .LBB197_208
; %bb.203:                              ;   in Loop: Header=BB197_9 Depth=1
	v_mov_b32_e32 v125, 0x7f800001
	v_and_b32_e32 v3, 0x7f, v1
	v_mov_b32_e32 v126, 0
	s_mov_b32 s34, exec_lo
	v_cmpx_ne_u32_e32 0x7f, v3
	s_cbranch_execz .LBB197_207
; %bb.204:                              ;   in Loop: Header=BB197_9 Depth=1
	v_and_b32_e32 v65, 7, v1
	v_lshrrev_b32_e32 v2, 3, v3
	s_mov_b32 s35, exec_lo
	v_cmpx_gt_u32_e32 8, v3
; %bb.205:                              ;   in Loop: Header=BB197_9 Depth=1
	v_ffbh_u32_e32 v2, v65
	v_min_u32_e32 v2, 32, v2
	v_subrev_nc_u32_e32 v3, 28, v2
	v_sub_nc_u32_e32 v2, 29, v2
	v_lshlrev_b64 v[3:4], v3, v[65:66]
	v_and_b32_e32 v65, 7, v3
; %bb.206:                              ;   in Loop: Header=BB197_9 Depth=1
	s_or_b32 exec_lo, exec_lo, s35
	v_lshlrev_b32_e32 v3, 24, v1
	v_lshlrev_b32_e32 v4, 20, v65
	v_lshl_add_u32 v2, v2, 23, 0x3c000000
	v_and_b32_e32 v3, 0x80000000, v3
	v_or3_b32 v65, v4, v3, v2
	v_mov_b32_e32 v126, v66
	v_mov_b32_e32 v125, v65
.LBB197_207:                            ;   in Loop: Header=BB197_9 Depth=1
	s_or_b32 exec_lo, exec_lo, s34
.LBB197_208:                            ;   in Loop: Header=BB197_9 Depth=1
	s_or_b32 exec_lo, exec_lo, s33
.LBB197_209:                            ;   in Loop: Header=BB197_9 Depth=1
	s_or_b32 exec_lo, exec_lo, s4
	v_cmp_ne_u16_sdwa s3, v1, v66 src0_sel:BYTE_1 src1_sel:DWORD
	s_and_saveexec_b32 s4, s3
	s_cbranch_execz .LBB197_217
; %bb.210:                              ;   in Loop: Header=BB197_9 Depth=1
	v_mov_b32_e32 v81, v66
	v_cmp_ne_u16_sdwa s3, v1, v89 src0_sel:BYTE_1 src1_sel:DWORD
	v_mov_b32_e32 v67, v81
	v_mov_b32_e32 v68, v82
	s_and_saveexec_b32 s33, s3
	s_cbranch_execz .LBB197_216
; %bb.211:                              ;   in Loop: Header=BB197_9 Depth=1
	v_mov_b32_e32 v2, 0xffff
	v_mov_b32_e32 v79, v66
	s_mov_b32 s34, exec_lo
	v_and_b32_sdwa v2, v2, v1 dst_sel:DWORD dst_unused:UNUSED_PAD src0_sel:DWORD src1_sel:BYTE_1
	v_mov_b32_e32 v67, v79
	v_mov_b32_e32 v68, v80
	v_and_b32_e32 v3, 0x7f, v2
	v_cmpx_ne_u32_e32 0x7f, v3
	s_cbranch_execz .LBB197_215
; %bb.212:                              ;   in Loop: Header=BB197_9 Depth=1
	v_and_b32_e32 v65, 7, v2
	v_lshrrev_b32_e32 v2, 3, v3
	s_mov_b32 s35, exec_lo
	v_cmpx_gt_u32_e32 8, v3
; %bb.213:                              ;   in Loop: Header=BB197_9 Depth=1
	v_ffbh_u32_e32 v2, v65
	v_min_u32_e32 v2, 32, v2
	v_subrev_nc_u32_e32 v3, 28, v2
	v_sub_nc_u32_e32 v2, 29, v2
	v_lshlrev_b64 v[3:4], v3, v[65:66]
	v_and_b32_e32 v65, 7, v3
; %bb.214:                              ;   in Loop: Header=BB197_9 Depth=1
	s_or_b32 exec_lo, exec_lo, s35
	v_lshlrev_b32_e32 v1, 16, v1
	v_lshlrev_b32_e32 v3, 20, v65
	v_lshl_add_u32 v2, v2, 23, 0x3c000000
	v_mov_b32_e32 v67, v66
	v_and_b32_e32 v1, 0x80000000, v1
	v_or3_b32 v68, v3, v1, v2
.LBB197_215:                            ;   in Loop: Header=BB197_9 Depth=1
	s_or_b32 exec_lo, exec_lo, s34
.LBB197_216:                            ;   in Loop: Header=BB197_9 Depth=1
	s_or_b32 exec_lo, exec_lo, s33
.LBB197_217:                            ;   in Loop: Header=BB197_9 Depth=1
	s_or_b32 exec_lo, exec_lo, s4
	global_load_ushort v1, v[83:84], off offset:772
	v_mov_b32_e32 v3, 0
	v_mov_b32_e32 v4, 0
	s_waitcnt vmcnt(0)
	v_and_b32_e32 v5, 0xffff, v1
	v_cmp_ne_u16_sdwa s3, v1, v66 src0_sel:BYTE_0 src1_sel:DWORD
	v_mov_b32_e32 v1, 0
	v_mov_b32_e32 v2, 0
	s_and_saveexec_b32 s4, s3
	s_cbranch_execz .LBB197_225
; %bb.218:                              ;   in Loop: Header=BB197_9 Depth=1
	v_bfrev_b32_e32 v1, 1
	v_mov_b32_e32 v2, 0
	v_cmp_ne_u16_sdwa s3, v5, v89 src0_sel:BYTE_0 src1_sel:DWORD
	s_and_saveexec_b32 s33, s3
	s_cbranch_execz .LBB197_224
; %bb.219:                              ;   in Loop: Header=BB197_9 Depth=1
	v_mov_b32_e32 v1, 0x7f800001
	v_and_b32_e32 v6, 0x7f, v5
	v_mov_b32_e32 v2, 0
	s_mov_b32 s34, exec_lo
	v_cmpx_ne_u32_e32 0x7f, v6
	s_cbranch_execz .LBB197_223
; %bb.220:                              ;   in Loop: Header=BB197_9 Depth=1
	v_and_b32_e32 v65, 7, v5
	v_lshrrev_b32_e32 v1, 3, v6
	s_mov_b32 s35, exec_lo
	v_cmpx_gt_u32_e32 8, v6
; %bb.221:                              ;   in Loop: Header=BB197_9 Depth=1
	v_ffbh_u32_e32 v1, v65
	v_min_u32_e32 v1, 32, v1
	v_subrev_nc_u32_e32 v2, 28, v1
	v_sub_nc_u32_e32 v1, 29, v1
	v_lshlrev_b64 v[6:7], v2, v[65:66]
	v_and_b32_e32 v65, 7, v6
; %bb.222:                              ;   in Loop: Header=BB197_9 Depth=1
	s_or_b32 exec_lo, exec_lo, s35
	v_lshlrev_b32_e32 v2, 24, v5
	v_lshlrev_b32_e32 v6, 20, v65
	v_lshl_add_u32 v1, v1, 23, 0x3c000000
	v_and_b32_e32 v2, 0x80000000, v2
	v_or3_b32 v65, v6, v2, v1
	v_mov_b32_e32 v1, v65
	v_mov_b32_e32 v2, v66
.LBB197_223:                            ;   in Loop: Header=BB197_9 Depth=1
	s_or_b32 exec_lo, exec_lo, s34
.LBB197_224:                            ;   in Loop: Header=BB197_9 Depth=1
	s_or_b32 exec_lo, exec_lo, s33
.LBB197_225:                            ;   in Loop: Header=BB197_9 Depth=1
	s_or_b32 exec_lo, exec_lo, s4
	v_cmp_ne_u16_sdwa s3, v5, v66 src0_sel:BYTE_1 src1_sel:DWORD
	s_and_saveexec_b32 s4, s3
	s_cbranch_execz .LBB197_233
; %bb.226:                              ;   in Loop: Header=BB197_9 Depth=1
	v_mov_b32_e32 v81, v66
	v_cmp_ne_u16_sdwa s3, v5, v89 src0_sel:BYTE_1 src1_sel:DWORD
	v_mov_b32_e32 v3, v81
	v_mov_b32_e32 v4, v82
	s_and_saveexec_b32 s33, s3
	s_cbranch_execz .LBB197_232
; %bb.227:                              ;   in Loop: Header=BB197_9 Depth=1
	v_mov_b32_e32 v3, 0xffff
	v_mov_b32_e32 v79, v66
	s_mov_b32 s34, exec_lo
	v_and_b32_sdwa v7, v3, v5 dst_sel:DWORD dst_unused:UNUSED_PAD src0_sel:DWORD src1_sel:BYTE_1
	v_mov_b32_e32 v3, v79
	v_mov_b32_e32 v4, v80
	v_and_b32_e32 v6, 0x7f, v7
	v_cmpx_ne_u32_e32 0x7f, v6
	s_cbranch_execz .LBB197_231
; %bb.228:                              ;   in Loop: Header=BB197_9 Depth=1
	v_and_b32_e32 v65, 7, v7
	v_lshrrev_b32_e32 v3, 3, v6
	s_mov_b32 s35, exec_lo
	v_cmpx_gt_u32_e32 8, v6
; %bb.229:                              ;   in Loop: Header=BB197_9 Depth=1
	v_ffbh_u32_e32 v3, v65
	v_min_u32_e32 v3, 32, v3
	v_subrev_nc_u32_e32 v4, 28, v3
	v_sub_nc_u32_e32 v3, 29, v3
	v_lshlrev_b64 v[6:7], v4, v[65:66]
	v_and_b32_e32 v65, 7, v6
; %bb.230:                              ;   in Loop: Header=BB197_9 Depth=1
	s_or_b32 exec_lo, exec_lo, s35
	v_lshlrev_b32_e32 v4, 16, v5
	v_lshlrev_b32_e32 v5, 20, v65
	v_lshl_add_u32 v3, v3, 23, 0x3c000000
	v_and_b32_e32 v4, 0x80000000, v4
	v_or3_b32 v4, v5, v4, v3
	v_mov_b32_e32 v3, v66
.LBB197_231:                            ;   in Loop: Header=BB197_9 Depth=1
	s_or_b32 exec_lo, exec_lo, s34
.LBB197_232:                            ;   in Loop: Header=BB197_9 Depth=1
	s_or_b32 exec_lo, exec_lo, s33
.LBB197_233:                            ;   in Loop: Header=BB197_9 Depth=1
	s_or_b32 exec_lo, exec_lo, s4
	global_load_ushort v5, v[83:84], off offset:776
	v_mov_b32_e32 v7, 0
	v_mov_b32_e32 v8, 0
	s_waitcnt vmcnt(0)
	v_and_b32_e32 v9, 0xffff, v5
	v_cmp_ne_u16_sdwa s3, v5, v66 src0_sel:BYTE_0 src1_sel:DWORD
	v_mov_b32_e32 v5, 0
	v_mov_b32_e32 v6, 0
	s_and_saveexec_b32 s4, s3
	s_cbranch_execz .LBB197_241
; %bb.234:                              ;   in Loop: Header=BB197_9 Depth=1
	v_bfrev_b32_e32 v5, 1
	v_mov_b32_e32 v6, 0
	v_cmp_ne_u16_sdwa s3, v9, v89 src0_sel:BYTE_0 src1_sel:DWORD
	s_and_saveexec_b32 s33, s3
	s_cbranch_execz .LBB197_240
; %bb.235:                              ;   in Loop: Header=BB197_9 Depth=1
	v_mov_b32_e32 v5, 0x7f800001
	v_and_b32_e32 v10, 0x7f, v9
	v_mov_b32_e32 v6, 0
	s_mov_b32 s34, exec_lo
	v_cmpx_ne_u32_e32 0x7f, v10
	s_cbranch_execz .LBB197_239
; %bb.236:                              ;   in Loop: Header=BB197_9 Depth=1
	v_and_b32_e32 v65, 7, v9
	v_lshrrev_b32_e32 v5, 3, v10
	s_mov_b32 s35, exec_lo
	v_cmpx_gt_u32_e32 8, v10
; %bb.237:                              ;   in Loop: Header=BB197_9 Depth=1
	v_ffbh_u32_e32 v5, v65
	v_min_u32_e32 v5, 32, v5
	v_subrev_nc_u32_e32 v6, 28, v5
	v_sub_nc_u32_e32 v5, 29, v5
	v_lshlrev_b64 v[10:11], v6, v[65:66]
	v_and_b32_e32 v65, 7, v10
; %bb.238:                              ;   in Loop: Header=BB197_9 Depth=1
	s_or_b32 exec_lo, exec_lo, s35
	v_lshlrev_b32_e32 v6, 24, v9
	v_lshlrev_b32_e32 v10, 20, v65
	v_lshl_add_u32 v5, v5, 23, 0x3c000000
	v_and_b32_e32 v6, 0x80000000, v6
	v_or3_b32 v65, v10, v6, v5
	v_mov_b32_e32 v5, v65
	v_mov_b32_e32 v6, v66
.LBB197_239:                            ;   in Loop: Header=BB197_9 Depth=1
	s_or_b32 exec_lo, exec_lo, s34
.LBB197_240:                            ;   in Loop: Header=BB197_9 Depth=1
	s_or_b32 exec_lo, exec_lo, s33
.LBB197_241:                            ;   in Loop: Header=BB197_9 Depth=1
	s_or_b32 exec_lo, exec_lo, s4
	v_cmp_ne_u16_sdwa s3, v9, v66 src0_sel:BYTE_1 src1_sel:DWORD
	s_and_saveexec_b32 s4, s3
	s_cbranch_execz .LBB197_249
; %bb.242:                              ;   in Loop: Header=BB197_9 Depth=1
	v_mov_b32_e32 v81, v66
	v_cmp_ne_u16_sdwa s3, v9, v89 src0_sel:BYTE_1 src1_sel:DWORD
	v_mov_b32_e32 v7, v81
	v_mov_b32_e32 v8, v82
	s_and_saveexec_b32 s33, s3
	s_cbranch_execz .LBB197_248
; %bb.243:                              ;   in Loop: Header=BB197_9 Depth=1
	v_mov_b32_e32 v7, 0xffff
	v_mov_b32_e32 v79, v66
	s_mov_b32 s34, exec_lo
	v_and_b32_sdwa v11, v7, v9 dst_sel:DWORD dst_unused:UNUSED_PAD src0_sel:DWORD src1_sel:BYTE_1
	v_mov_b32_e32 v7, v79
	v_mov_b32_e32 v8, v80
	v_and_b32_e32 v10, 0x7f, v11
	v_cmpx_ne_u32_e32 0x7f, v10
	s_cbranch_execz .LBB197_247
; %bb.244:                              ;   in Loop: Header=BB197_9 Depth=1
	v_and_b32_e32 v65, 7, v11
	v_lshrrev_b32_e32 v7, 3, v10
	s_mov_b32 s35, exec_lo
	v_cmpx_gt_u32_e32 8, v10
; %bb.245:                              ;   in Loop: Header=BB197_9 Depth=1
	v_ffbh_u32_e32 v7, v65
	v_min_u32_e32 v7, 32, v7
	v_subrev_nc_u32_e32 v8, 28, v7
	v_sub_nc_u32_e32 v7, 29, v7
	v_lshlrev_b64 v[10:11], v8, v[65:66]
	v_and_b32_e32 v65, 7, v10
; %bb.246:                              ;   in Loop: Header=BB197_9 Depth=1
	s_or_b32 exec_lo, exec_lo, s35
	v_lshlrev_b32_e32 v8, 16, v9
	v_lshlrev_b32_e32 v9, 20, v65
	v_lshl_add_u32 v7, v7, 23, 0x3c000000
	v_and_b32_e32 v8, 0x80000000, v8
	v_or3_b32 v8, v9, v8, v7
	v_mov_b32_e32 v7, v66
.LBB197_247:                            ;   in Loop: Header=BB197_9 Depth=1
	s_or_b32 exec_lo, exec_lo, s34
.LBB197_248:                            ;   in Loop: Header=BB197_9 Depth=1
	s_or_b32 exec_lo, exec_lo, s33
.LBB197_249:                            ;   in Loop: Header=BB197_9 Depth=1
	s_or_b32 exec_lo, exec_lo, s4
	global_load_ushort v9, v[83:84], off offset:780
	v_mov_b32_e32 v11, 0
	v_mov_b32_e32 v12, 0
	s_waitcnt vmcnt(0)
	v_and_b32_e32 v13, 0xffff, v9
	v_cmp_ne_u16_sdwa s3, v9, v66 src0_sel:BYTE_0 src1_sel:DWORD
	v_mov_b32_e32 v9, 0
	v_mov_b32_e32 v10, 0
	s_and_saveexec_b32 s4, s3
	s_cbranch_execz .LBB197_257
; %bb.250:                              ;   in Loop: Header=BB197_9 Depth=1
	v_bfrev_b32_e32 v9, 1
	v_mov_b32_e32 v10, 0
	v_cmp_ne_u16_sdwa s3, v13, v89 src0_sel:BYTE_0 src1_sel:DWORD
	s_and_saveexec_b32 s33, s3
	s_cbranch_execz .LBB197_256
; %bb.251:                              ;   in Loop: Header=BB197_9 Depth=1
	v_mov_b32_e32 v9, 0x7f800001
	v_and_b32_e32 v14, 0x7f, v13
	v_mov_b32_e32 v10, 0
	s_mov_b32 s34, exec_lo
	v_cmpx_ne_u32_e32 0x7f, v14
	s_cbranch_execz .LBB197_255
; %bb.252:                              ;   in Loop: Header=BB197_9 Depth=1
	v_and_b32_e32 v65, 7, v13
	v_lshrrev_b32_e32 v9, 3, v14
	s_mov_b32 s35, exec_lo
	v_cmpx_gt_u32_e32 8, v14
; %bb.253:                              ;   in Loop: Header=BB197_9 Depth=1
	v_ffbh_u32_e32 v9, v65
	v_min_u32_e32 v9, 32, v9
	v_subrev_nc_u32_e32 v10, 28, v9
	v_sub_nc_u32_e32 v9, 29, v9
	v_lshlrev_b64 v[14:15], v10, v[65:66]
	v_and_b32_e32 v65, 7, v14
; %bb.254:                              ;   in Loop: Header=BB197_9 Depth=1
	s_or_b32 exec_lo, exec_lo, s35
	v_lshlrev_b32_e32 v10, 24, v13
	v_lshlrev_b32_e32 v14, 20, v65
	v_lshl_add_u32 v9, v9, 23, 0x3c000000
	v_and_b32_e32 v10, 0x80000000, v10
	v_or3_b32 v65, v14, v10, v9
	v_mov_b32_e32 v9, v65
	v_mov_b32_e32 v10, v66
.LBB197_255:                            ;   in Loop: Header=BB197_9 Depth=1
	s_or_b32 exec_lo, exec_lo, s34
.LBB197_256:                            ;   in Loop: Header=BB197_9 Depth=1
	s_or_b32 exec_lo, exec_lo, s33
.LBB197_257:                            ;   in Loop: Header=BB197_9 Depth=1
	s_or_b32 exec_lo, exec_lo, s4
	v_cmp_ne_u16_sdwa s3, v13, v66 src0_sel:BYTE_1 src1_sel:DWORD
	s_and_saveexec_b32 s4, s3
	s_cbranch_execz .LBB197_265
; %bb.258:                              ;   in Loop: Header=BB197_9 Depth=1
	v_mov_b32_e32 v81, v66
	v_cmp_ne_u16_sdwa s3, v13, v89 src0_sel:BYTE_1 src1_sel:DWORD
	v_mov_b32_e32 v11, v81
	v_mov_b32_e32 v12, v82
	s_and_saveexec_b32 s33, s3
	s_cbranch_execz .LBB197_264
; %bb.259:                              ;   in Loop: Header=BB197_9 Depth=1
	v_mov_b32_e32 v11, 0xffff
	v_mov_b32_e32 v79, v66
	s_mov_b32 s34, exec_lo
	v_and_b32_sdwa v15, v11, v13 dst_sel:DWORD dst_unused:UNUSED_PAD src0_sel:DWORD src1_sel:BYTE_1
	v_mov_b32_e32 v11, v79
	v_mov_b32_e32 v12, v80
	v_and_b32_e32 v14, 0x7f, v15
	v_cmpx_ne_u32_e32 0x7f, v14
	s_cbranch_execz .LBB197_263
; %bb.260:                              ;   in Loop: Header=BB197_9 Depth=1
	v_and_b32_e32 v65, 7, v15
	v_lshrrev_b32_e32 v11, 3, v14
	s_mov_b32 s35, exec_lo
	v_cmpx_gt_u32_e32 8, v14
; %bb.261:                              ;   in Loop: Header=BB197_9 Depth=1
	v_ffbh_u32_e32 v11, v65
	v_min_u32_e32 v11, 32, v11
	v_subrev_nc_u32_e32 v12, 28, v11
	v_sub_nc_u32_e32 v11, 29, v11
	v_lshlrev_b64 v[14:15], v12, v[65:66]
	v_and_b32_e32 v65, 7, v14
; %bb.262:                              ;   in Loop: Header=BB197_9 Depth=1
	s_or_b32 exec_lo, exec_lo, s35
	v_lshlrev_b32_e32 v12, 16, v13
	v_lshlrev_b32_e32 v13, 20, v65
	v_lshl_add_u32 v11, v11, 23, 0x3c000000
	v_and_b32_e32 v12, 0x80000000, v12
	v_or3_b32 v12, v13, v12, v11
	v_mov_b32_e32 v11, v66
.LBB197_263:                            ;   in Loop: Header=BB197_9 Depth=1
	s_or_b32 exec_lo, exec_lo, s34
.LBB197_264:                            ;   in Loop: Header=BB197_9 Depth=1
	s_or_b32 exec_lo, exec_lo, s33
.LBB197_265:                            ;   in Loop: Header=BB197_9 Depth=1
	s_or_b32 exec_lo, exec_lo, s4
	global_load_ushort v13, v[83:84], off offset:1024
	v_mov_b32_e32 v15, 0
	v_mov_b32_e32 v16, 0
	s_waitcnt vmcnt(0)
	v_and_b32_e32 v17, 0xffff, v13
	v_cmp_ne_u16_sdwa s3, v13, v66 src0_sel:BYTE_0 src1_sel:DWORD
	v_mov_b32_e32 v13, 0
	v_mov_b32_e32 v14, 0
	s_and_saveexec_b32 s4, s3
	s_cbranch_execz .LBB197_273
; %bb.266:                              ;   in Loop: Header=BB197_9 Depth=1
	v_bfrev_b32_e32 v13, 1
	v_mov_b32_e32 v14, 0
	v_cmp_ne_u16_sdwa s3, v17, v89 src0_sel:BYTE_0 src1_sel:DWORD
	s_and_saveexec_b32 s33, s3
	s_cbranch_execz .LBB197_272
; %bb.267:                              ;   in Loop: Header=BB197_9 Depth=1
	v_mov_b32_e32 v13, 0x7f800001
	v_and_b32_e32 v18, 0x7f, v17
	v_mov_b32_e32 v14, 0
	s_mov_b32 s34, exec_lo
	v_cmpx_ne_u32_e32 0x7f, v18
	s_cbranch_execz .LBB197_271
; %bb.268:                              ;   in Loop: Header=BB197_9 Depth=1
	v_and_b32_e32 v65, 7, v17
	v_lshrrev_b32_e32 v13, 3, v18
	s_mov_b32 s35, exec_lo
	v_cmpx_gt_u32_e32 8, v18
; %bb.269:                              ;   in Loop: Header=BB197_9 Depth=1
	v_ffbh_u32_e32 v13, v65
	v_min_u32_e32 v13, 32, v13
	v_subrev_nc_u32_e32 v14, 28, v13
	v_sub_nc_u32_e32 v13, 29, v13
	v_lshlrev_b64 v[18:19], v14, v[65:66]
	v_and_b32_e32 v65, 7, v18
; %bb.270:                              ;   in Loop: Header=BB197_9 Depth=1
	s_or_b32 exec_lo, exec_lo, s35
	v_lshlrev_b32_e32 v14, 24, v17
	v_lshlrev_b32_e32 v18, 20, v65
	v_lshl_add_u32 v13, v13, 23, 0x3c000000
	v_and_b32_e32 v14, 0x80000000, v14
	v_or3_b32 v65, v18, v14, v13
	v_mov_b32_e32 v13, v65
	v_mov_b32_e32 v14, v66
.LBB197_271:                            ;   in Loop: Header=BB197_9 Depth=1
	s_or_b32 exec_lo, exec_lo, s34
.LBB197_272:                            ;   in Loop: Header=BB197_9 Depth=1
	s_or_b32 exec_lo, exec_lo, s33
.LBB197_273:                            ;   in Loop: Header=BB197_9 Depth=1
	s_or_b32 exec_lo, exec_lo, s4
	v_cmp_ne_u16_sdwa s3, v17, v66 src0_sel:BYTE_1 src1_sel:DWORD
	s_and_saveexec_b32 s4, s3
	s_cbranch_execz .LBB197_281
; %bb.274:                              ;   in Loop: Header=BB197_9 Depth=1
	v_mov_b32_e32 v81, v66
	v_cmp_ne_u16_sdwa s3, v17, v89 src0_sel:BYTE_1 src1_sel:DWORD
	v_mov_b32_e32 v15, v81
	v_mov_b32_e32 v16, v82
	s_and_saveexec_b32 s33, s3
	s_cbranch_execz .LBB197_280
; %bb.275:                              ;   in Loop: Header=BB197_9 Depth=1
	v_mov_b32_e32 v15, 0xffff
	v_mov_b32_e32 v79, v66
	s_mov_b32 s34, exec_lo
	v_and_b32_sdwa v19, v15, v17 dst_sel:DWORD dst_unused:UNUSED_PAD src0_sel:DWORD src1_sel:BYTE_1
	v_mov_b32_e32 v15, v79
	v_mov_b32_e32 v16, v80
	v_and_b32_e32 v18, 0x7f, v19
	v_cmpx_ne_u32_e32 0x7f, v18
	s_cbranch_execz .LBB197_279
; %bb.276:                              ;   in Loop: Header=BB197_9 Depth=1
	v_and_b32_e32 v65, 7, v19
	v_lshrrev_b32_e32 v15, 3, v18
	s_mov_b32 s35, exec_lo
	v_cmpx_gt_u32_e32 8, v18
; %bb.277:                              ;   in Loop: Header=BB197_9 Depth=1
	v_ffbh_u32_e32 v15, v65
	v_min_u32_e32 v15, 32, v15
	v_subrev_nc_u32_e32 v16, 28, v15
	v_sub_nc_u32_e32 v15, 29, v15
	v_lshlrev_b64 v[18:19], v16, v[65:66]
	v_and_b32_e32 v65, 7, v18
; %bb.278:                              ;   in Loop: Header=BB197_9 Depth=1
	s_or_b32 exec_lo, exec_lo, s35
	v_lshlrev_b32_e32 v16, 16, v17
	v_lshlrev_b32_e32 v17, 20, v65
	v_lshl_add_u32 v15, v15, 23, 0x3c000000
	v_and_b32_e32 v16, 0x80000000, v16
	v_or3_b32 v16, v17, v16, v15
	v_mov_b32_e32 v15, v66
.LBB197_279:                            ;   in Loop: Header=BB197_9 Depth=1
	s_or_b32 exec_lo, exec_lo, s34
.LBB197_280:                            ;   in Loop: Header=BB197_9 Depth=1
	s_or_b32 exec_lo, exec_lo, s33
.LBB197_281:                            ;   in Loop: Header=BB197_9 Depth=1
	s_or_b32 exec_lo, exec_lo, s4
	global_load_ushort v17, v[83:84], off offset:1028
	v_mov_b32_e32 v19, 0
	v_mov_b32_e32 v20, 0
	s_waitcnt vmcnt(0)
	v_and_b32_e32 v21, 0xffff, v17
	v_cmp_ne_u16_sdwa s3, v17, v66 src0_sel:BYTE_0 src1_sel:DWORD
	v_mov_b32_e32 v17, 0
	v_mov_b32_e32 v18, 0
	s_and_saveexec_b32 s4, s3
	s_cbranch_execz .LBB197_289
; %bb.282:                              ;   in Loop: Header=BB197_9 Depth=1
	v_bfrev_b32_e32 v17, 1
	v_mov_b32_e32 v18, 0
	v_cmp_ne_u16_sdwa s3, v21, v89 src0_sel:BYTE_0 src1_sel:DWORD
	s_and_saveexec_b32 s33, s3
	s_cbranch_execz .LBB197_288
; %bb.283:                              ;   in Loop: Header=BB197_9 Depth=1
	v_mov_b32_e32 v17, 0x7f800001
	v_and_b32_e32 v22, 0x7f, v21
	v_mov_b32_e32 v18, 0
	s_mov_b32 s34, exec_lo
	v_cmpx_ne_u32_e32 0x7f, v22
	s_cbranch_execz .LBB197_287
; %bb.284:                              ;   in Loop: Header=BB197_9 Depth=1
	v_and_b32_e32 v65, 7, v21
	v_lshrrev_b32_e32 v17, 3, v22
	s_mov_b32 s35, exec_lo
	v_cmpx_gt_u32_e32 8, v22
; %bb.285:                              ;   in Loop: Header=BB197_9 Depth=1
	v_ffbh_u32_e32 v17, v65
	v_min_u32_e32 v17, 32, v17
	v_subrev_nc_u32_e32 v18, 28, v17
	v_sub_nc_u32_e32 v17, 29, v17
	v_lshlrev_b64 v[22:23], v18, v[65:66]
	v_and_b32_e32 v65, 7, v22
; %bb.286:                              ;   in Loop: Header=BB197_9 Depth=1
	s_or_b32 exec_lo, exec_lo, s35
	v_lshlrev_b32_e32 v18, 24, v21
	v_lshlrev_b32_e32 v22, 20, v65
	v_lshl_add_u32 v17, v17, 23, 0x3c000000
	v_and_b32_e32 v18, 0x80000000, v18
	v_or3_b32 v65, v22, v18, v17
	v_mov_b32_e32 v17, v65
	v_mov_b32_e32 v18, v66
.LBB197_287:                            ;   in Loop: Header=BB197_9 Depth=1
	s_or_b32 exec_lo, exec_lo, s34
.LBB197_288:                            ;   in Loop: Header=BB197_9 Depth=1
	s_or_b32 exec_lo, exec_lo, s33
.LBB197_289:                            ;   in Loop: Header=BB197_9 Depth=1
	s_or_b32 exec_lo, exec_lo, s4
	v_cmp_ne_u16_sdwa s3, v21, v66 src0_sel:BYTE_1 src1_sel:DWORD
	s_and_saveexec_b32 s4, s3
	s_cbranch_execz .LBB197_297
; %bb.290:                              ;   in Loop: Header=BB197_9 Depth=1
	v_mov_b32_e32 v81, v66
	v_cmp_ne_u16_sdwa s3, v21, v89 src0_sel:BYTE_1 src1_sel:DWORD
	v_mov_b32_e32 v19, v81
	v_mov_b32_e32 v20, v82
	s_and_saveexec_b32 s33, s3
	s_cbranch_execz .LBB197_296
; %bb.291:                              ;   in Loop: Header=BB197_9 Depth=1
	v_mov_b32_e32 v19, 0xffff
	v_mov_b32_e32 v79, v66
	s_mov_b32 s34, exec_lo
	v_and_b32_sdwa v23, v19, v21 dst_sel:DWORD dst_unused:UNUSED_PAD src0_sel:DWORD src1_sel:BYTE_1
	v_mov_b32_e32 v19, v79
	v_mov_b32_e32 v20, v80
	v_and_b32_e32 v22, 0x7f, v23
	v_cmpx_ne_u32_e32 0x7f, v22
	s_cbranch_execz .LBB197_295
; %bb.292:                              ;   in Loop: Header=BB197_9 Depth=1
	v_and_b32_e32 v65, 7, v23
	v_lshrrev_b32_e32 v19, 3, v22
	s_mov_b32 s35, exec_lo
	v_cmpx_gt_u32_e32 8, v22
; %bb.293:                              ;   in Loop: Header=BB197_9 Depth=1
	v_ffbh_u32_e32 v19, v65
	v_min_u32_e32 v19, 32, v19
	v_subrev_nc_u32_e32 v20, 28, v19
	v_sub_nc_u32_e32 v19, 29, v19
	v_lshlrev_b64 v[22:23], v20, v[65:66]
	v_and_b32_e32 v65, 7, v22
; %bb.294:                              ;   in Loop: Header=BB197_9 Depth=1
	s_or_b32 exec_lo, exec_lo, s35
	v_lshlrev_b32_e32 v20, 16, v21
	v_lshlrev_b32_e32 v21, 20, v65
	v_lshl_add_u32 v19, v19, 23, 0x3c000000
	v_and_b32_e32 v20, 0x80000000, v20
	v_or3_b32 v20, v21, v20, v19
	v_mov_b32_e32 v19, v66
.LBB197_295:                            ;   in Loop: Header=BB197_9 Depth=1
	s_or_b32 exec_lo, exec_lo, s34
.LBB197_296:                            ;   in Loop: Header=BB197_9 Depth=1
	s_or_b32 exec_lo, exec_lo, s33
.LBB197_297:                            ;   in Loop: Header=BB197_9 Depth=1
	s_or_b32 exec_lo, exec_lo, s4
	global_load_ushort v21, v[83:84], off offset:1032
	v_mov_b32_e32 v23, 0
	v_mov_b32_e32 v24, 0
	s_waitcnt vmcnt(0)
	v_and_b32_e32 v25, 0xffff, v21
	v_cmp_ne_u16_sdwa s3, v21, v66 src0_sel:BYTE_0 src1_sel:DWORD
	v_mov_b32_e32 v21, 0
	v_mov_b32_e32 v22, 0
	s_and_saveexec_b32 s4, s3
	s_cbranch_execz .LBB197_305
; %bb.298:                              ;   in Loop: Header=BB197_9 Depth=1
	v_bfrev_b32_e32 v21, 1
	v_mov_b32_e32 v22, 0
	v_cmp_ne_u16_sdwa s3, v25, v89 src0_sel:BYTE_0 src1_sel:DWORD
	s_and_saveexec_b32 s33, s3
	s_cbranch_execz .LBB197_304
; %bb.299:                              ;   in Loop: Header=BB197_9 Depth=1
	v_mov_b32_e32 v21, 0x7f800001
	v_and_b32_e32 v26, 0x7f, v25
	v_mov_b32_e32 v22, 0
	s_mov_b32 s34, exec_lo
	v_cmpx_ne_u32_e32 0x7f, v26
	s_cbranch_execz .LBB197_303
; %bb.300:                              ;   in Loop: Header=BB197_9 Depth=1
	v_and_b32_e32 v65, 7, v25
	v_lshrrev_b32_e32 v21, 3, v26
	s_mov_b32 s35, exec_lo
	v_cmpx_gt_u32_e32 8, v26
; %bb.301:                              ;   in Loop: Header=BB197_9 Depth=1
	v_ffbh_u32_e32 v21, v65
	v_min_u32_e32 v21, 32, v21
	v_subrev_nc_u32_e32 v22, 28, v21
	v_sub_nc_u32_e32 v21, 29, v21
	v_lshlrev_b64 v[26:27], v22, v[65:66]
	v_and_b32_e32 v65, 7, v26
; %bb.302:                              ;   in Loop: Header=BB197_9 Depth=1
	s_or_b32 exec_lo, exec_lo, s35
	v_lshlrev_b32_e32 v22, 24, v25
	v_lshlrev_b32_e32 v26, 20, v65
	v_lshl_add_u32 v21, v21, 23, 0x3c000000
	v_and_b32_e32 v22, 0x80000000, v22
	v_or3_b32 v65, v26, v22, v21
	v_mov_b32_e32 v21, v65
	v_mov_b32_e32 v22, v66
.LBB197_303:                            ;   in Loop: Header=BB197_9 Depth=1
	s_or_b32 exec_lo, exec_lo, s34
.LBB197_304:                            ;   in Loop: Header=BB197_9 Depth=1
	s_or_b32 exec_lo, exec_lo, s33
.LBB197_305:                            ;   in Loop: Header=BB197_9 Depth=1
	s_or_b32 exec_lo, exec_lo, s4
	v_cmp_ne_u16_sdwa s3, v25, v66 src0_sel:BYTE_1 src1_sel:DWORD
	s_and_saveexec_b32 s4, s3
	s_cbranch_execz .LBB197_313
; %bb.306:                              ;   in Loop: Header=BB197_9 Depth=1
	v_mov_b32_e32 v81, v66
	v_cmp_ne_u16_sdwa s3, v25, v89 src0_sel:BYTE_1 src1_sel:DWORD
	v_mov_b32_e32 v23, v81
	v_mov_b32_e32 v24, v82
	s_and_saveexec_b32 s33, s3
	s_cbranch_execz .LBB197_312
; %bb.307:                              ;   in Loop: Header=BB197_9 Depth=1
	v_mov_b32_e32 v23, 0xffff
	v_mov_b32_e32 v79, v66
	s_mov_b32 s34, exec_lo
	v_and_b32_sdwa v27, v23, v25 dst_sel:DWORD dst_unused:UNUSED_PAD src0_sel:DWORD src1_sel:BYTE_1
	v_mov_b32_e32 v23, v79
	v_mov_b32_e32 v24, v80
	v_and_b32_e32 v26, 0x7f, v27
	v_cmpx_ne_u32_e32 0x7f, v26
	s_cbranch_execz .LBB197_311
; %bb.308:                              ;   in Loop: Header=BB197_9 Depth=1
	v_and_b32_e32 v65, 7, v27
	v_lshrrev_b32_e32 v23, 3, v26
	s_mov_b32 s35, exec_lo
	v_cmpx_gt_u32_e32 8, v26
; %bb.309:                              ;   in Loop: Header=BB197_9 Depth=1
	v_ffbh_u32_e32 v23, v65
	v_min_u32_e32 v23, 32, v23
	v_subrev_nc_u32_e32 v24, 28, v23
	v_sub_nc_u32_e32 v23, 29, v23
	v_lshlrev_b64 v[26:27], v24, v[65:66]
	v_and_b32_e32 v65, 7, v26
; %bb.310:                              ;   in Loop: Header=BB197_9 Depth=1
	s_or_b32 exec_lo, exec_lo, s35
	v_lshlrev_b32_e32 v24, 16, v25
	v_lshlrev_b32_e32 v25, 20, v65
	v_lshl_add_u32 v23, v23, 23, 0x3c000000
	v_and_b32_e32 v24, 0x80000000, v24
	v_or3_b32 v24, v25, v24, v23
	v_mov_b32_e32 v23, v66
.LBB197_311:                            ;   in Loop: Header=BB197_9 Depth=1
	s_or_b32 exec_lo, exec_lo, s34
.LBB197_312:                            ;   in Loop: Header=BB197_9 Depth=1
	s_or_b32 exec_lo, exec_lo, s33
.LBB197_313:                            ;   in Loop: Header=BB197_9 Depth=1
	s_or_b32 exec_lo, exec_lo, s4
	global_load_ushort v25, v[83:84], off offset:1036
	v_mov_b32_e32 v27, 0
	v_mov_b32_e32 v28, 0
	s_waitcnt vmcnt(0)
	v_and_b32_e32 v29, 0xffff, v25
	v_cmp_ne_u16_sdwa s3, v25, v66 src0_sel:BYTE_0 src1_sel:DWORD
	v_mov_b32_e32 v25, 0
	v_mov_b32_e32 v26, 0
	s_and_saveexec_b32 s4, s3
	s_cbranch_execz .LBB197_321
; %bb.314:                              ;   in Loop: Header=BB197_9 Depth=1
	v_bfrev_b32_e32 v25, 1
	v_mov_b32_e32 v26, 0
	v_cmp_ne_u16_sdwa s3, v29, v89 src0_sel:BYTE_0 src1_sel:DWORD
	s_and_saveexec_b32 s33, s3
	s_cbranch_execz .LBB197_320
; %bb.315:                              ;   in Loop: Header=BB197_9 Depth=1
	v_mov_b32_e32 v25, 0x7f800001
	v_and_b32_e32 v30, 0x7f, v29
	v_mov_b32_e32 v26, 0
	s_mov_b32 s34, exec_lo
	v_cmpx_ne_u32_e32 0x7f, v30
	s_cbranch_execz .LBB197_319
; %bb.316:                              ;   in Loop: Header=BB197_9 Depth=1
	v_and_b32_e32 v65, 7, v29
	v_lshrrev_b32_e32 v25, 3, v30
	s_mov_b32 s35, exec_lo
	v_cmpx_gt_u32_e32 8, v30
; %bb.317:                              ;   in Loop: Header=BB197_9 Depth=1
	v_ffbh_u32_e32 v25, v65
	v_min_u32_e32 v25, 32, v25
	v_subrev_nc_u32_e32 v26, 28, v25
	v_sub_nc_u32_e32 v25, 29, v25
	v_lshlrev_b64 v[30:31], v26, v[65:66]
	v_and_b32_e32 v65, 7, v30
; %bb.318:                              ;   in Loop: Header=BB197_9 Depth=1
	s_or_b32 exec_lo, exec_lo, s35
	v_lshlrev_b32_e32 v26, 24, v29
	v_lshlrev_b32_e32 v30, 20, v65
	v_lshl_add_u32 v25, v25, 23, 0x3c000000
	v_and_b32_e32 v26, 0x80000000, v26
	v_or3_b32 v65, v30, v26, v25
	v_mov_b32_e32 v25, v65
	v_mov_b32_e32 v26, v66
.LBB197_319:                            ;   in Loop: Header=BB197_9 Depth=1
	s_or_b32 exec_lo, exec_lo, s34
.LBB197_320:                            ;   in Loop: Header=BB197_9 Depth=1
	s_or_b32 exec_lo, exec_lo, s33
.LBB197_321:                            ;   in Loop: Header=BB197_9 Depth=1
	s_or_b32 exec_lo, exec_lo, s4
	v_cmp_ne_u16_sdwa s3, v29, v66 src0_sel:BYTE_1 src1_sel:DWORD
	s_and_saveexec_b32 s4, s3
	s_cbranch_execz .LBB197_329
; %bb.322:                              ;   in Loop: Header=BB197_9 Depth=1
	v_mov_b32_e32 v81, v66
	v_cmp_ne_u16_sdwa s3, v29, v89 src0_sel:BYTE_1 src1_sel:DWORD
	v_mov_b32_e32 v27, v81
	v_mov_b32_e32 v28, v82
	s_and_saveexec_b32 s33, s3
	s_cbranch_execz .LBB197_328
; %bb.323:                              ;   in Loop: Header=BB197_9 Depth=1
	v_mov_b32_e32 v27, 0xffff
	v_mov_b32_e32 v79, v66
	s_mov_b32 s34, exec_lo
	v_and_b32_sdwa v31, v27, v29 dst_sel:DWORD dst_unused:UNUSED_PAD src0_sel:DWORD src1_sel:BYTE_1
	v_mov_b32_e32 v27, v79
	v_mov_b32_e32 v28, v80
	v_and_b32_e32 v30, 0x7f, v31
	v_cmpx_ne_u32_e32 0x7f, v30
	s_cbranch_execz .LBB197_327
; %bb.324:                              ;   in Loop: Header=BB197_9 Depth=1
	v_and_b32_e32 v65, 7, v31
	v_lshrrev_b32_e32 v27, 3, v30
	s_mov_b32 s35, exec_lo
	v_cmpx_gt_u32_e32 8, v30
; %bb.325:                              ;   in Loop: Header=BB197_9 Depth=1
	v_ffbh_u32_e32 v27, v65
	v_min_u32_e32 v27, 32, v27
	v_subrev_nc_u32_e32 v28, 28, v27
	v_sub_nc_u32_e32 v27, 29, v27
	v_lshlrev_b64 v[30:31], v28, v[65:66]
	v_and_b32_e32 v65, 7, v30
; %bb.326:                              ;   in Loop: Header=BB197_9 Depth=1
	s_or_b32 exec_lo, exec_lo, s35
	v_lshlrev_b32_e32 v28, 16, v29
	v_lshlrev_b32_e32 v29, 20, v65
	v_lshl_add_u32 v27, v27, 23, 0x3c000000
	v_and_b32_e32 v28, 0x80000000, v28
	v_or3_b32 v28, v29, v28, v27
	v_mov_b32_e32 v27, v66
.LBB197_327:                            ;   in Loop: Header=BB197_9 Depth=1
	s_or_b32 exec_lo, exec_lo, s34
.LBB197_328:                            ;   in Loop: Header=BB197_9 Depth=1
	s_or_b32 exec_lo, exec_lo, s33
.LBB197_329:                            ;   in Loop: Header=BB197_9 Depth=1
	s_or_b32 exec_lo, exec_lo, s4
	global_load_ushort v30, v[83:84], off offset:1280
	v_mov_b32_e32 v35, 0
	v_mov_b32_e32 v33, 0
	;; [unrolled: 1-line block ×4, first 2 shown]
	s_waitcnt vmcnt(0)
	v_and_b32_e32 v29, 0xffff, v30
	v_cmp_ne_u16_sdwa s3, v30, v66 src0_sel:BYTE_0 src1_sel:DWORD
	s_and_saveexec_b32 s4, s3
	s_cbranch_execz .LBB197_337
; %bb.330:                              ;   in Loop: Header=BB197_9 Depth=1
	v_bfrev_b32_e32 v33, 1
	v_mov_b32_e32 v34, 0
	v_cmp_ne_u16_sdwa s3, v29, v89 src0_sel:BYTE_0 src1_sel:DWORD
	s_and_saveexec_b32 s33, s3
	s_cbranch_execz .LBB197_336
; %bb.331:                              ;   in Loop: Header=BB197_9 Depth=1
	v_mov_b32_e32 v33, 0x7f800001
	v_and_b32_e32 v31, 0x7f, v29
	v_mov_b32_e32 v34, 0
	s_mov_b32 s34, exec_lo
	v_cmpx_ne_u32_e32 0x7f, v31
	s_cbranch_execz .LBB197_335
; %bb.332:                              ;   in Loop: Header=BB197_9 Depth=1
	v_and_b32_e32 v65, 7, v29
	v_lshrrev_b32_e32 v30, 3, v31
	s_mov_b32 s35, exec_lo
	v_cmpx_gt_u32_e32 8, v31
; %bb.333:                              ;   in Loop: Header=BB197_9 Depth=1
	v_ffbh_u32_e32 v30, v65
	v_min_u32_e32 v30, 32, v30
	v_subrev_nc_u32_e32 v31, 28, v30
	v_sub_nc_u32_e32 v30, 29, v30
	v_lshlrev_b64 v[31:32], v31, v[65:66]
	v_and_b32_e32 v65, 7, v31
; %bb.334:                              ;   in Loop: Header=BB197_9 Depth=1
	s_or_b32 exec_lo, exec_lo, s35
	v_lshlrev_b32_e32 v31, 24, v29
	v_lshlrev_b32_e32 v32, 20, v65
	v_lshl_add_u32 v30, v30, 23, 0x3c000000
	v_and_b32_e32 v31, 0x80000000, v31
	v_or3_b32 v65, v32, v31, v30
	v_mov_b32_e32 v33, v65
	v_mov_b32_e32 v34, v66
.LBB197_335:                            ;   in Loop: Header=BB197_9 Depth=1
	s_or_b32 exec_lo, exec_lo, s34
.LBB197_336:                            ;   in Loop: Header=BB197_9 Depth=1
	s_or_b32 exec_lo, exec_lo, s33
.LBB197_337:                            ;   in Loop: Header=BB197_9 Depth=1
	s_or_b32 exec_lo, exec_lo, s4
	v_cmp_ne_u16_sdwa s3, v29, v66 src0_sel:BYTE_1 src1_sel:DWORD
	s_and_saveexec_b32 s4, s3
	s_cbranch_execz .LBB197_345
; %bb.338:                              ;   in Loop: Header=BB197_9 Depth=1
	v_mov_b32_e32 v81, v66
	v_cmp_ne_u16_sdwa s3, v29, v89 src0_sel:BYTE_1 src1_sel:DWORD
	v_mov_b32_e32 v35, v81
	v_mov_b32_e32 v36, v82
	s_and_saveexec_b32 s33, s3
	s_cbranch_execz .LBB197_344
; %bb.339:                              ;   in Loop: Header=BB197_9 Depth=1
	v_mov_b32_e32 v30, 0xffff
	v_mov_b32_e32 v79, v66
	s_mov_b32 s34, exec_lo
	v_and_b32_sdwa v30, v30, v29 dst_sel:DWORD dst_unused:UNUSED_PAD src0_sel:DWORD src1_sel:BYTE_1
	v_mov_b32_e32 v35, v79
	v_mov_b32_e32 v36, v80
	v_and_b32_e32 v31, 0x7f, v30
	v_cmpx_ne_u32_e32 0x7f, v31
	s_cbranch_execz .LBB197_343
; %bb.340:                              ;   in Loop: Header=BB197_9 Depth=1
	v_and_b32_e32 v65, 7, v30
	v_lshrrev_b32_e32 v30, 3, v31
	s_mov_b32 s35, exec_lo
	v_cmpx_gt_u32_e32 8, v31
; %bb.341:                              ;   in Loop: Header=BB197_9 Depth=1
	v_ffbh_u32_e32 v30, v65
	v_min_u32_e32 v30, 32, v30
	v_subrev_nc_u32_e32 v31, 28, v30
	v_sub_nc_u32_e32 v30, 29, v30
	v_lshlrev_b64 v[31:32], v31, v[65:66]
	v_and_b32_e32 v65, 7, v31
; %bb.342:                              ;   in Loop: Header=BB197_9 Depth=1
	s_or_b32 exec_lo, exec_lo, s35
	v_lshlrev_b32_e32 v29, 16, v29
	v_lshlrev_b32_e32 v31, 20, v65
	v_lshl_add_u32 v30, v30, 23, 0x3c000000
	v_mov_b32_e32 v35, v66
	v_and_b32_e32 v29, 0x80000000, v29
	v_or3_b32 v36, v31, v29, v30
.LBB197_343:                            ;   in Loop: Header=BB197_9 Depth=1
	s_or_b32 exec_lo, exec_lo, s34
.LBB197_344:                            ;   in Loop: Header=BB197_9 Depth=1
	s_or_b32 exec_lo, exec_lo, s33
.LBB197_345:                            ;   in Loop: Header=BB197_9 Depth=1
	s_or_b32 exec_lo, exec_lo, s4
	global_load_ushort v29, v[83:84], off offset:1284
	v_mov_b32_e32 v31, 0
	v_mov_b32_e32 v32, 0
	s_waitcnt vmcnt(0)
	v_and_b32_e32 v37, 0xffff, v29
	v_cmp_ne_u16_sdwa s3, v29, v66 src0_sel:BYTE_0 src1_sel:DWORD
	v_mov_b32_e32 v29, 0
	v_mov_b32_e32 v30, 0
	s_and_saveexec_b32 s4, s3
	s_cbranch_execz .LBB197_353
; %bb.346:                              ;   in Loop: Header=BB197_9 Depth=1
	v_bfrev_b32_e32 v29, 1
	v_mov_b32_e32 v30, 0
	v_cmp_ne_u16_sdwa s3, v37, v89 src0_sel:BYTE_0 src1_sel:DWORD
	s_and_saveexec_b32 s33, s3
	s_cbranch_execz .LBB197_352
; %bb.347:                              ;   in Loop: Header=BB197_9 Depth=1
	v_mov_b32_e32 v29, 0x7f800001
	v_and_b32_e32 v38, 0x7f, v37
	v_mov_b32_e32 v30, 0
	s_mov_b32 s34, exec_lo
	v_cmpx_ne_u32_e32 0x7f, v38
	s_cbranch_execz .LBB197_351
; %bb.348:                              ;   in Loop: Header=BB197_9 Depth=1
	v_and_b32_e32 v65, 7, v37
	v_lshrrev_b32_e32 v29, 3, v38
	s_mov_b32 s35, exec_lo
	v_cmpx_gt_u32_e32 8, v38
; %bb.349:                              ;   in Loop: Header=BB197_9 Depth=1
	v_ffbh_u32_e32 v29, v65
	v_min_u32_e32 v29, 32, v29
	v_subrev_nc_u32_e32 v30, 28, v29
	v_sub_nc_u32_e32 v29, 29, v29
	v_lshlrev_b64 v[38:39], v30, v[65:66]
	v_and_b32_e32 v65, 7, v38
; %bb.350:                              ;   in Loop: Header=BB197_9 Depth=1
	s_or_b32 exec_lo, exec_lo, s35
	v_lshlrev_b32_e32 v30, 24, v37
	v_lshlrev_b32_e32 v38, 20, v65
	v_lshl_add_u32 v29, v29, 23, 0x3c000000
	v_and_b32_e32 v30, 0x80000000, v30
	v_or3_b32 v65, v38, v30, v29
	v_mov_b32_e32 v29, v65
	v_mov_b32_e32 v30, v66
.LBB197_351:                            ;   in Loop: Header=BB197_9 Depth=1
	s_or_b32 exec_lo, exec_lo, s34
.LBB197_352:                            ;   in Loop: Header=BB197_9 Depth=1
	s_or_b32 exec_lo, exec_lo, s33
.LBB197_353:                            ;   in Loop: Header=BB197_9 Depth=1
	s_or_b32 exec_lo, exec_lo, s4
	v_cmp_ne_u16_sdwa s3, v37, v66 src0_sel:BYTE_1 src1_sel:DWORD
	s_and_saveexec_b32 s4, s3
	s_cbranch_execz .LBB197_361
; %bb.354:                              ;   in Loop: Header=BB197_9 Depth=1
	v_mov_b32_e32 v81, v66
	v_cmp_ne_u16_sdwa s3, v37, v89 src0_sel:BYTE_1 src1_sel:DWORD
	v_mov_b32_e32 v31, v81
	v_mov_b32_e32 v32, v82
	s_and_saveexec_b32 s33, s3
	s_cbranch_execz .LBB197_360
; %bb.355:                              ;   in Loop: Header=BB197_9 Depth=1
	v_mov_b32_e32 v31, 0xffff
	v_mov_b32_e32 v79, v66
	s_mov_b32 s34, exec_lo
	v_and_b32_sdwa v39, v31, v37 dst_sel:DWORD dst_unused:UNUSED_PAD src0_sel:DWORD src1_sel:BYTE_1
	v_mov_b32_e32 v31, v79
	v_mov_b32_e32 v32, v80
	v_and_b32_e32 v38, 0x7f, v39
	v_cmpx_ne_u32_e32 0x7f, v38
	s_cbranch_execz .LBB197_359
; %bb.356:                              ;   in Loop: Header=BB197_9 Depth=1
	v_and_b32_e32 v65, 7, v39
	v_lshrrev_b32_e32 v31, 3, v38
	s_mov_b32 s35, exec_lo
	v_cmpx_gt_u32_e32 8, v38
; %bb.357:                              ;   in Loop: Header=BB197_9 Depth=1
	v_ffbh_u32_e32 v31, v65
	v_min_u32_e32 v31, 32, v31
	v_subrev_nc_u32_e32 v32, 28, v31
	v_sub_nc_u32_e32 v31, 29, v31
	v_lshlrev_b64 v[38:39], v32, v[65:66]
	v_and_b32_e32 v65, 7, v38
; %bb.358:                              ;   in Loop: Header=BB197_9 Depth=1
	s_or_b32 exec_lo, exec_lo, s35
	v_lshlrev_b32_e32 v32, 16, v37
	v_lshlrev_b32_e32 v37, 20, v65
	v_lshl_add_u32 v31, v31, 23, 0x3c000000
	v_and_b32_e32 v32, 0x80000000, v32
	v_or3_b32 v32, v37, v32, v31
	v_mov_b32_e32 v31, v66
.LBB197_359:                            ;   in Loop: Header=BB197_9 Depth=1
	s_or_b32 exec_lo, exec_lo, s34
.LBB197_360:                            ;   in Loop: Header=BB197_9 Depth=1
	s_or_b32 exec_lo, exec_lo, s33
.LBB197_361:                            ;   in Loop: Header=BB197_9 Depth=1
	s_or_b32 exec_lo, exec_lo, s4
	global_load_ushort v37, v[83:84], off offset:1288
	v_mov_b32_e32 v39, 0
	v_mov_b32_e32 v40, 0
	s_waitcnt vmcnt(0)
	v_and_b32_e32 v41, 0xffff, v37
	v_cmp_ne_u16_sdwa s3, v37, v66 src0_sel:BYTE_0 src1_sel:DWORD
	v_mov_b32_e32 v37, 0
	v_mov_b32_e32 v38, 0
	s_and_saveexec_b32 s4, s3
	s_cbranch_execz .LBB197_369
; %bb.362:                              ;   in Loop: Header=BB197_9 Depth=1
	v_bfrev_b32_e32 v37, 1
	v_mov_b32_e32 v38, 0
	v_cmp_ne_u16_sdwa s3, v41, v89 src0_sel:BYTE_0 src1_sel:DWORD
	s_and_saveexec_b32 s33, s3
	s_cbranch_execz .LBB197_368
; %bb.363:                              ;   in Loop: Header=BB197_9 Depth=1
	v_mov_b32_e32 v37, 0x7f800001
	v_and_b32_e32 v42, 0x7f, v41
	v_mov_b32_e32 v38, 0
	s_mov_b32 s34, exec_lo
	v_cmpx_ne_u32_e32 0x7f, v42
	s_cbranch_execz .LBB197_367
; %bb.364:                              ;   in Loop: Header=BB197_9 Depth=1
	v_and_b32_e32 v65, 7, v41
	v_lshrrev_b32_e32 v37, 3, v42
	s_mov_b32 s35, exec_lo
	v_cmpx_gt_u32_e32 8, v42
; %bb.365:                              ;   in Loop: Header=BB197_9 Depth=1
	v_ffbh_u32_e32 v37, v65
	v_min_u32_e32 v37, 32, v37
	v_subrev_nc_u32_e32 v38, 28, v37
	v_sub_nc_u32_e32 v37, 29, v37
	v_lshlrev_b64 v[42:43], v38, v[65:66]
	v_and_b32_e32 v65, 7, v42
; %bb.366:                              ;   in Loop: Header=BB197_9 Depth=1
	s_or_b32 exec_lo, exec_lo, s35
	v_lshlrev_b32_e32 v38, 24, v41
	v_lshlrev_b32_e32 v42, 20, v65
	v_lshl_add_u32 v37, v37, 23, 0x3c000000
	v_and_b32_e32 v38, 0x80000000, v38
	v_or3_b32 v65, v42, v38, v37
	v_mov_b32_e32 v37, v65
	v_mov_b32_e32 v38, v66
.LBB197_367:                            ;   in Loop: Header=BB197_9 Depth=1
	s_or_b32 exec_lo, exec_lo, s34
.LBB197_368:                            ;   in Loop: Header=BB197_9 Depth=1
	s_or_b32 exec_lo, exec_lo, s33
.LBB197_369:                            ;   in Loop: Header=BB197_9 Depth=1
	s_or_b32 exec_lo, exec_lo, s4
	v_cmp_ne_u16_sdwa s3, v41, v66 src0_sel:BYTE_1 src1_sel:DWORD
	s_and_saveexec_b32 s4, s3
	s_cbranch_execz .LBB197_377
; %bb.370:                              ;   in Loop: Header=BB197_9 Depth=1
	v_mov_b32_e32 v81, v66
	v_cmp_ne_u16_sdwa s3, v41, v89 src0_sel:BYTE_1 src1_sel:DWORD
	v_mov_b32_e32 v39, v81
	v_mov_b32_e32 v40, v82
	s_and_saveexec_b32 s33, s3
	s_cbranch_execz .LBB197_376
; %bb.371:                              ;   in Loop: Header=BB197_9 Depth=1
	v_mov_b32_e32 v39, 0xffff
	v_mov_b32_e32 v79, v66
	s_mov_b32 s34, exec_lo
	v_and_b32_sdwa v43, v39, v41 dst_sel:DWORD dst_unused:UNUSED_PAD src0_sel:DWORD src1_sel:BYTE_1
	v_mov_b32_e32 v39, v79
	v_mov_b32_e32 v40, v80
	v_and_b32_e32 v42, 0x7f, v43
	v_cmpx_ne_u32_e32 0x7f, v42
	s_cbranch_execz .LBB197_375
; %bb.372:                              ;   in Loop: Header=BB197_9 Depth=1
	v_and_b32_e32 v65, 7, v43
	v_lshrrev_b32_e32 v39, 3, v42
	s_mov_b32 s35, exec_lo
	v_cmpx_gt_u32_e32 8, v42
; %bb.373:                              ;   in Loop: Header=BB197_9 Depth=1
	v_ffbh_u32_e32 v39, v65
	v_min_u32_e32 v39, 32, v39
	v_subrev_nc_u32_e32 v40, 28, v39
	v_sub_nc_u32_e32 v39, 29, v39
	v_lshlrev_b64 v[42:43], v40, v[65:66]
	v_and_b32_e32 v65, 7, v42
; %bb.374:                              ;   in Loop: Header=BB197_9 Depth=1
	s_or_b32 exec_lo, exec_lo, s35
	v_lshlrev_b32_e32 v40, 16, v41
	v_lshlrev_b32_e32 v41, 20, v65
	v_lshl_add_u32 v39, v39, 23, 0x3c000000
	v_and_b32_e32 v40, 0x80000000, v40
	v_or3_b32 v40, v41, v40, v39
	v_mov_b32_e32 v39, v66
.LBB197_375:                            ;   in Loop: Header=BB197_9 Depth=1
	s_or_b32 exec_lo, exec_lo, s34
.LBB197_376:                            ;   in Loop: Header=BB197_9 Depth=1
	s_or_b32 exec_lo, exec_lo, s33
.LBB197_377:                            ;   in Loop: Header=BB197_9 Depth=1
	s_or_b32 exec_lo, exec_lo, s4
	global_load_ushort v41, v[83:84], off offset:1292
	v_mov_b32_e32 v43, 0
	v_mov_b32_e32 v44, 0
	s_waitcnt vmcnt(0)
	v_and_b32_e32 v45, 0xffff, v41
	v_cmp_ne_u16_sdwa s3, v41, v66 src0_sel:BYTE_0 src1_sel:DWORD
	v_mov_b32_e32 v41, 0
	v_mov_b32_e32 v42, 0
	s_and_saveexec_b32 s4, s3
	s_cbranch_execz .LBB197_385
; %bb.378:                              ;   in Loop: Header=BB197_9 Depth=1
	v_bfrev_b32_e32 v41, 1
	v_mov_b32_e32 v42, 0
	v_cmp_ne_u16_sdwa s3, v45, v89 src0_sel:BYTE_0 src1_sel:DWORD
	s_and_saveexec_b32 s33, s3
	s_cbranch_execz .LBB197_384
; %bb.379:                              ;   in Loop: Header=BB197_9 Depth=1
	v_mov_b32_e32 v41, 0x7f800001
	v_and_b32_e32 v46, 0x7f, v45
	v_mov_b32_e32 v42, 0
	s_mov_b32 s34, exec_lo
	v_cmpx_ne_u32_e32 0x7f, v46
	s_cbranch_execz .LBB197_383
; %bb.380:                              ;   in Loop: Header=BB197_9 Depth=1
	v_and_b32_e32 v65, 7, v45
	v_lshrrev_b32_e32 v41, 3, v46
	s_mov_b32 s35, exec_lo
	v_cmpx_gt_u32_e32 8, v46
; %bb.381:                              ;   in Loop: Header=BB197_9 Depth=1
	v_ffbh_u32_e32 v41, v65
	v_min_u32_e32 v41, 32, v41
	v_subrev_nc_u32_e32 v42, 28, v41
	v_sub_nc_u32_e32 v41, 29, v41
	v_lshlrev_b64 v[46:47], v42, v[65:66]
	v_and_b32_e32 v65, 7, v46
; %bb.382:                              ;   in Loop: Header=BB197_9 Depth=1
	s_or_b32 exec_lo, exec_lo, s35
	v_lshlrev_b32_e32 v42, 24, v45
	v_lshlrev_b32_e32 v46, 20, v65
	v_lshl_add_u32 v41, v41, 23, 0x3c000000
	v_and_b32_e32 v42, 0x80000000, v42
	v_or3_b32 v65, v46, v42, v41
	v_mov_b32_e32 v41, v65
	v_mov_b32_e32 v42, v66
.LBB197_383:                            ;   in Loop: Header=BB197_9 Depth=1
	s_or_b32 exec_lo, exec_lo, s34
.LBB197_384:                            ;   in Loop: Header=BB197_9 Depth=1
	s_or_b32 exec_lo, exec_lo, s33
.LBB197_385:                            ;   in Loop: Header=BB197_9 Depth=1
	s_or_b32 exec_lo, exec_lo, s4
	v_cmp_ne_u16_sdwa s3, v45, v66 src0_sel:BYTE_1 src1_sel:DWORD
	s_and_saveexec_b32 s4, s3
	s_cbranch_execz .LBB197_393
; %bb.386:                              ;   in Loop: Header=BB197_9 Depth=1
	v_mov_b32_e32 v81, v66
	v_cmp_ne_u16_sdwa s3, v45, v89 src0_sel:BYTE_1 src1_sel:DWORD
	v_mov_b32_e32 v43, v81
	v_mov_b32_e32 v44, v82
	s_and_saveexec_b32 s33, s3
	s_cbranch_execz .LBB197_392
; %bb.387:                              ;   in Loop: Header=BB197_9 Depth=1
	v_mov_b32_e32 v43, 0xffff
	v_mov_b32_e32 v79, v66
	s_mov_b32 s34, exec_lo
	v_and_b32_sdwa v47, v43, v45 dst_sel:DWORD dst_unused:UNUSED_PAD src0_sel:DWORD src1_sel:BYTE_1
	v_mov_b32_e32 v43, v79
	v_mov_b32_e32 v44, v80
	v_and_b32_e32 v46, 0x7f, v47
	v_cmpx_ne_u32_e32 0x7f, v46
	s_cbranch_execz .LBB197_391
; %bb.388:                              ;   in Loop: Header=BB197_9 Depth=1
	v_and_b32_e32 v65, 7, v47
	v_lshrrev_b32_e32 v43, 3, v46
	s_mov_b32 s35, exec_lo
	v_cmpx_gt_u32_e32 8, v46
; %bb.389:                              ;   in Loop: Header=BB197_9 Depth=1
	v_ffbh_u32_e32 v43, v65
	v_min_u32_e32 v43, 32, v43
	v_subrev_nc_u32_e32 v44, 28, v43
	v_sub_nc_u32_e32 v43, 29, v43
	v_lshlrev_b64 v[46:47], v44, v[65:66]
	v_and_b32_e32 v65, 7, v46
; %bb.390:                              ;   in Loop: Header=BB197_9 Depth=1
	s_or_b32 exec_lo, exec_lo, s35
	v_lshlrev_b32_e32 v44, 16, v45
	v_lshlrev_b32_e32 v45, 20, v65
	v_lshl_add_u32 v43, v43, 23, 0x3c000000
	v_and_b32_e32 v44, 0x80000000, v44
	v_or3_b32 v44, v45, v44, v43
	v_mov_b32_e32 v43, v66
.LBB197_391:                            ;   in Loop: Header=BB197_9 Depth=1
	s_or_b32 exec_lo, exec_lo, s34
.LBB197_392:                            ;   in Loop: Header=BB197_9 Depth=1
	s_or_b32 exec_lo, exec_lo, s33
.LBB197_393:                            ;   in Loop: Header=BB197_9 Depth=1
	s_or_b32 exec_lo, exec_lo, s4
	global_load_ushort v45, v[83:84], off offset:1536
	v_mov_b32_e32 v47, 0
	v_mov_b32_e32 v48, 0
	s_waitcnt vmcnt(0)
	v_and_b32_e32 v49, 0xffff, v45
	v_cmp_ne_u16_sdwa s3, v45, v66 src0_sel:BYTE_0 src1_sel:DWORD
	v_mov_b32_e32 v45, 0
	v_mov_b32_e32 v46, 0
	s_and_saveexec_b32 s4, s3
	s_cbranch_execz .LBB197_401
; %bb.394:                              ;   in Loop: Header=BB197_9 Depth=1
	v_bfrev_b32_e32 v45, 1
	v_mov_b32_e32 v46, 0
	v_cmp_ne_u16_sdwa s3, v49, v89 src0_sel:BYTE_0 src1_sel:DWORD
	s_and_saveexec_b32 s33, s3
	s_cbranch_execz .LBB197_400
; %bb.395:                              ;   in Loop: Header=BB197_9 Depth=1
	v_mov_b32_e32 v45, 0x7f800001
	v_and_b32_e32 v50, 0x7f, v49
	v_mov_b32_e32 v46, 0
	s_mov_b32 s34, exec_lo
	v_cmpx_ne_u32_e32 0x7f, v50
	s_cbranch_execz .LBB197_399
; %bb.396:                              ;   in Loop: Header=BB197_9 Depth=1
	v_and_b32_e32 v65, 7, v49
	v_lshrrev_b32_e32 v45, 3, v50
	s_mov_b32 s35, exec_lo
	v_cmpx_gt_u32_e32 8, v50
; %bb.397:                              ;   in Loop: Header=BB197_9 Depth=1
	v_ffbh_u32_e32 v45, v65
	v_min_u32_e32 v45, 32, v45
	v_subrev_nc_u32_e32 v46, 28, v45
	v_sub_nc_u32_e32 v45, 29, v45
	v_lshlrev_b64 v[50:51], v46, v[65:66]
	v_and_b32_e32 v65, 7, v50
; %bb.398:                              ;   in Loop: Header=BB197_9 Depth=1
	s_or_b32 exec_lo, exec_lo, s35
	v_lshlrev_b32_e32 v46, 24, v49
	v_lshlrev_b32_e32 v50, 20, v65
	v_lshl_add_u32 v45, v45, 23, 0x3c000000
	v_and_b32_e32 v46, 0x80000000, v46
	v_or3_b32 v65, v50, v46, v45
	v_mov_b32_e32 v45, v65
	v_mov_b32_e32 v46, v66
.LBB197_399:                            ;   in Loop: Header=BB197_9 Depth=1
	s_or_b32 exec_lo, exec_lo, s34
.LBB197_400:                            ;   in Loop: Header=BB197_9 Depth=1
	s_or_b32 exec_lo, exec_lo, s33
.LBB197_401:                            ;   in Loop: Header=BB197_9 Depth=1
	s_or_b32 exec_lo, exec_lo, s4
	v_cmp_ne_u16_sdwa s3, v49, v66 src0_sel:BYTE_1 src1_sel:DWORD
	s_and_saveexec_b32 s4, s3
	s_cbranch_execz .LBB197_409
; %bb.402:                              ;   in Loop: Header=BB197_9 Depth=1
	v_mov_b32_e32 v81, v66
	v_cmp_ne_u16_sdwa s3, v49, v89 src0_sel:BYTE_1 src1_sel:DWORD
	v_mov_b32_e32 v47, v81
	v_mov_b32_e32 v48, v82
	s_and_saveexec_b32 s33, s3
	s_cbranch_execz .LBB197_408
; %bb.403:                              ;   in Loop: Header=BB197_9 Depth=1
	v_mov_b32_e32 v47, 0xffff
	v_mov_b32_e32 v79, v66
	s_mov_b32 s34, exec_lo
	v_and_b32_sdwa v51, v47, v49 dst_sel:DWORD dst_unused:UNUSED_PAD src0_sel:DWORD src1_sel:BYTE_1
	v_mov_b32_e32 v47, v79
	v_mov_b32_e32 v48, v80
	v_and_b32_e32 v50, 0x7f, v51
	v_cmpx_ne_u32_e32 0x7f, v50
	s_cbranch_execz .LBB197_407
; %bb.404:                              ;   in Loop: Header=BB197_9 Depth=1
	v_and_b32_e32 v65, 7, v51
	v_lshrrev_b32_e32 v47, 3, v50
	s_mov_b32 s35, exec_lo
	v_cmpx_gt_u32_e32 8, v50
; %bb.405:                              ;   in Loop: Header=BB197_9 Depth=1
	v_ffbh_u32_e32 v47, v65
	v_min_u32_e32 v47, 32, v47
	v_subrev_nc_u32_e32 v48, 28, v47
	v_sub_nc_u32_e32 v47, 29, v47
	v_lshlrev_b64 v[50:51], v48, v[65:66]
	v_and_b32_e32 v65, 7, v50
; %bb.406:                              ;   in Loop: Header=BB197_9 Depth=1
	s_or_b32 exec_lo, exec_lo, s35
	v_lshlrev_b32_e32 v48, 16, v49
	v_lshlrev_b32_e32 v49, 20, v65
	v_lshl_add_u32 v47, v47, 23, 0x3c000000
	v_and_b32_e32 v48, 0x80000000, v48
	v_or3_b32 v48, v49, v48, v47
	v_mov_b32_e32 v47, v66
.LBB197_407:                            ;   in Loop: Header=BB197_9 Depth=1
	s_or_b32 exec_lo, exec_lo, s34
.LBB197_408:                            ;   in Loop: Header=BB197_9 Depth=1
	s_or_b32 exec_lo, exec_lo, s33
.LBB197_409:                            ;   in Loop: Header=BB197_9 Depth=1
	s_or_b32 exec_lo, exec_lo, s4
	global_load_ushort v49, v[83:84], off offset:1540
	v_mov_b32_e32 v51, 0
	v_mov_b32_e32 v52, 0
	s_waitcnt vmcnt(0)
	v_and_b32_e32 v53, 0xffff, v49
	v_cmp_ne_u16_sdwa s3, v49, v66 src0_sel:BYTE_0 src1_sel:DWORD
	v_mov_b32_e32 v49, 0
	v_mov_b32_e32 v50, 0
	s_and_saveexec_b32 s4, s3
	s_cbranch_execz .LBB197_417
; %bb.410:                              ;   in Loop: Header=BB197_9 Depth=1
	v_bfrev_b32_e32 v49, 1
	v_mov_b32_e32 v50, 0
	v_cmp_ne_u16_sdwa s3, v53, v89 src0_sel:BYTE_0 src1_sel:DWORD
	s_and_saveexec_b32 s33, s3
	s_cbranch_execz .LBB197_416
; %bb.411:                              ;   in Loop: Header=BB197_9 Depth=1
	v_mov_b32_e32 v49, 0x7f800001
	v_and_b32_e32 v54, 0x7f, v53
	v_mov_b32_e32 v50, 0
	s_mov_b32 s34, exec_lo
	v_cmpx_ne_u32_e32 0x7f, v54
	s_cbranch_execz .LBB197_415
; %bb.412:                              ;   in Loop: Header=BB197_9 Depth=1
	v_and_b32_e32 v65, 7, v53
	v_lshrrev_b32_e32 v49, 3, v54
	s_mov_b32 s35, exec_lo
	v_cmpx_gt_u32_e32 8, v54
; %bb.413:                              ;   in Loop: Header=BB197_9 Depth=1
	v_ffbh_u32_e32 v49, v65
	v_min_u32_e32 v49, 32, v49
	v_subrev_nc_u32_e32 v50, 28, v49
	v_sub_nc_u32_e32 v49, 29, v49
	v_lshlrev_b64 v[54:55], v50, v[65:66]
	v_and_b32_e32 v65, 7, v54
; %bb.414:                              ;   in Loop: Header=BB197_9 Depth=1
	s_or_b32 exec_lo, exec_lo, s35
	v_lshlrev_b32_e32 v50, 24, v53
	v_lshlrev_b32_e32 v54, 20, v65
	v_lshl_add_u32 v49, v49, 23, 0x3c000000
	v_and_b32_e32 v50, 0x80000000, v50
	v_or3_b32 v65, v54, v50, v49
	v_mov_b32_e32 v49, v65
	v_mov_b32_e32 v50, v66
.LBB197_415:                            ;   in Loop: Header=BB197_9 Depth=1
	s_or_b32 exec_lo, exec_lo, s34
.LBB197_416:                            ;   in Loop: Header=BB197_9 Depth=1
	s_or_b32 exec_lo, exec_lo, s33
.LBB197_417:                            ;   in Loop: Header=BB197_9 Depth=1
	s_or_b32 exec_lo, exec_lo, s4
	v_cmp_ne_u16_sdwa s3, v53, v66 src0_sel:BYTE_1 src1_sel:DWORD
	s_and_saveexec_b32 s4, s3
	s_cbranch_execz .LBB197_425
; %bb.418:                              ;   in Loop: Header=BB197_9 Depth=1
	v_mov_b32_e32 v81, v66
	v_cmp_ne_u16_sdwa s3, v53, v89 src0_sel:BYTE_1 src1_sel:DWORD
	v_mov_b32_e32 v51, v81
	v_mov_b32_e32 v52, v82
	s_and_saveexec_b32 s33, s3
	s_cbranch_execz .LBB197_424
; %bb.419:                              ;   in Loop: Header=BB197_9 Depth=1
	v_mov_b32_e32 v51, 0xffff
	v_mov_b32_e32 v79, v66
	s_mov_b32 s34, exec_lo
	v_and_b32_sdwa v55, v51, v53 dst_sel:DWORD dst_unused:UNUSED_PAD src0_sel:DWORD src1_sel:BYTE_1
	v_mov_b32_e32 v51, v79
	v_mov_b32_e32 v52, v80
	v_and_b32_e32 v54, 0x7f, v55
	v_cmpx_ne_u32_e32 0x7f, v54
	s_cbranch_execz .LBB197_423
; %bb.420:                              ;   in Loop: Header=BB197_9 Depth=1
	v_and_b32_e32 v65, 7, v55
	v_lshrrev_b32_e32 v51, 3, v54
	s_mov_b32 s35, exec_lo
	v_cmpx_gt_u32_e32 8, v54
; %bb.421:                              ;   in Loop: Header=BB197_9 Depth=1
	v_ffbh_u32_e32 v51, v65
	v_min_u32_e32 v51, 32, v51
	v_subrev_nc_u32_e32 v52, 28, v51
	v_sub_nc_u32_e32 v51, 29, v51
	v_lshlrev_b64 v[54:55], v52, v[65:66]
	v_and_b32_e32 v65, 7, v54
; %bb.422:                              ;   in Loop: Header=BB197_9 Depth=1
	s_or_b32 exec_lo, exec_lo, s35
	v_lshlrev_b32_e32 v52, 16, v53
	v_lshlrev_b32_e32 v53, 20, v65
	v_lshl_add_u32 v51, v51, 23, 0x3c000000
	v_and_b32_e32 v52, 0x80000000, v52
	v_or3_b32 v52, v53, v52, v51
	v_mov_b32_e32 v51, v66
.LBB197_423:                            ;   in Loop: Header=BB197_9 Depth=1
	s_or_b32 exec_lo, exec_lo, s34
.LBB197_424:                            ;   in Loop: Header=BB197_9 Depth=1
	s_or_b32 exec_lo, exec_lo, s33
.LBB197_425:                            ;   in Loop: Header=BB197_9 Depth=1
	s_or_b32 exec_lo, exec_lo, s4
	global_load_ushort v53, v[83:84], off offset:1544
	v_mov_b32_e32 v55, 0
	v_mov_b32_e32 v56, 0
	s_waitcnt vmcnt(0)
	v_and_b32_e32 v57, 0xffff, v53
	v_cmp_ne_u16_sdwa s3, v53, v66 src0_sel:BYTE_0 src1_sel:DWORD
	v_mov_b32_e32 v53, 0
	v_mov_b32_e32 v54, 0
	s_and_saveexec_b32 s4, s3
	s_cbranch_execz .LBB197_433
; %bb.426:                              ;   in Loop: Header=BB197_9 Depth=1
	v_bfrev_b32_e32 v53, 1
	v_mov_b32_e32 v54, 0
	v_cmp_ne_u16_sdwa s3, v57, v89 src0_sel:BYTE_0 src1_sel:DWORD
	s_and_saveexec_b32 s33, s3
	s_cbranch_execz .LBB197_432
; %bb.427:                              ;   in Loop: Header=BB197_9 Depth=1
	v_mov_b32_e32 v53, 0x7f800001
	v_and_b32_e32 v58, 0x7f, v57
	v_mov_b32_e32 v54, 0
	s_mov_b32 s34, exec_lo
	v_cmpx_ne_u32_e32 0x7f, v58
	s_cbranch_execz .LBB197_431
; %bb.428:                              ;   in Loop: Header=BB197_9 Depth=1
	v_and_b32_e32 v65, 7, v57
	v_lshrrev_b32_e32 v53, 3, v58
	s_mov_b32 s35, exec_lo
	v_cmpx_gt_u32_e32 8, v58
; %bb.429:                              ;   in Loop: Header=BB197_9 Depth=1
	v_ffbh_u32_e32 v53, v65
	v_min_u32_e32 v53, 32, v53
	v_subrev_nc_u32_e32 v54, 28, v53
	v_sub_nc_u32_e32 v53, 29, v53
	v_lshlrev_b64 v[58:59], v54, v[65:66]
	v_and_b32_e32 v65, 7, v58
; %bb.430:                              ;   in Loop: Header=BB197_9 Depth=1
	s_or_b32 exec_lo, exec_lo, s35
	v_lshlrev_b32_e32 v54, 24, v57
	v_lshlrev_b32_e32 v58, 20, v65
	v_lshl_add_u32 v53, v53, 23, 0x3c000000
	v_and_b32_e32 v54, 0x80000000, v54
	v_or3_b32 v65, v58, v54, v53
	v_mov_b32_e32 v53, v65
	v_mov_b32_e32 v54, v66
.LBB197_431:                            ;   in Loop: Header=BB197_9 Depth=1
	s_or_b32 exec_lo, exec_lo, s34
.LBB197_432:                            ;   in Loop: Header=BB197_9 Depth=1
	s_or_b32 exec_lo, exec_lo, s33
.LBB197_433:                            ;   in Loop: Header=BB197_9 Depth=1
	s_or_b32 exec_lo, exec_lo, s4
	v_cmp_ne_u16_sdwa s3, v57, v66 src0_sel:BYTE_1 src1_sel:DWORD
	s_and_saveexec_b32 s4, s3
	s_cbranch_execz .LBB197_441
; %bb.434:                              ;   in Loop: Header=BB197_9 Depth=1
	v_mov_b32_e32 v81, v66
	v_cmp_ne_u16_sdwa s3, v57, v89 src0_sel:BYTE_1 src1_sel:DWORD
	v_mov_b32_e32 v55, v81
	v_mov_b32_e32 v56, v82
	s_and_saveexec_b32 s33, s3
	s_cbranch_execz .LBB197_440
; %bb.435:                              ;   in Loop: Header=BB197_9 Depth=1
	v_mov_b32_e32 v55, 0xffff
	v_mov_b32_e32 v79, v66
	s_mov_b32 s34, exec_lo
	v_and_b32_sdwa v59, v55, v57 dst_sel:DWORD dst_unused:UNUSED_PAD src0_sel:DWORD src1_sel:BYTE_1
	v_mov_b32_e32 v55, v79
	v_mov_b32_e32 v56, v80
	v_and_b32_e32 v58, 0x7f, v59
	v_cmpx_ne_u32_e32 0x7f, v58
	s_cbranch_execz .LBB197_439
; %bb.436:                              ;   in Loop: Header=BB197_9 Depth=1
	v_and_b32_e32 v65, 7, v59
	v_lshrrev_b32_e32 v55, 3, v58
	s_mov_b32 s35, exec_lo
	v_cmpx_gt_u32_e32 8, v58
; %bb.437:                              ;   in Loop: Header=BB197_9 Depth=1
	v_ffbh_u32_e32 v55, v65
	v_min_u32_e32 v55, 32, v55
	v_subrev_nc_u32_e32 v56, 28, v55
	v_sub_nc_u32_e32 v55, 29, v55
	v_lshlrev_b64 v[58:59], v56, v[65:66]
	v_and_b32_e32 v65, 7, v58
; %bb.438:                              ;   in Loop: Header=BB197_9 Depth=1
	s_or_b32 exec_lo, exec_lo, s35
	v_lshlrev_b32_e32 v56, 16, v57
	v_lshlrev_b32_e32 v57, 20, v65
	v_lshl_add_u32 v55, v55, 23, 0x3c000000
	v_and_b32_e32 v56, 0x80000000, v56
	v_or3_b32 v56, v57, v56, v55
	v_mov_b32_e32 v55, v66
.LBB197_439:                            ;   in Loop: Header=BB197_9 Depth=1
	s_or_b32 exec_lo, exec_lo, s34
.LBB197_440:                            ;   in Loop: Header=BB197_9 Depth=1
	s_or_b32 exec_lo, exec_lo, s33
.LBB197_441:                            ;   in Loop: Header=BB197_9 Depth=1
	s_or_b32 exec_lo, exec_lo, s4
	global_load_ushort v57, v[83:84], off offset:1548
	v_mov_b32_e32 v59, 0
	v_mov_b32_e32 v60, 0
	s_waitcnt vmcnt(0)
	v_and_b32_e32 v61, 0xffff, v57
	v_cmp_ne_u16_sdwa s3, v57, v66 src0_sel:BYTE_0 src1_sel:DWORD
	v_mov_b32_e32 v57, 0
	v_mov_b32_e32 v58, 0
	s_and_saveexec_b32 s4, s3
	s_cbranch_execz .LBB197_449
; %bb.442:                              ;   in Loop: Header=BB197_9 Depth=1
	v_bfrev_b32_e32 v57, 1
	v_mov_b32_e32 v58, 0
	v_cmp_ne_u16_sdwa s3, v61, v89 src0_sel:BYTE_0 src1_sel:DWORD
	s_and_saveexec_b32 s33, s3
	s_cbranch_execz .LBB197_448
; %bb.443:                              ;   in Loop: Header=BB197_9 Depth=1
	v_mov_b32_e32 v57, 0x7f800001
	v_and_b32_e32 v62, 0x7f, v61
	v_mov_b32_e32 v58, 0
	s_mov_b32 s34, exec_lo
	v_cmpx_ne_u32_e32 0x7f, v62
	s_cbranch_execz .LBB197_447
; %bb.444:                              ;   in Loop: Header=BB197_9 Depth=1
	v_and_b32_e32 v65, 7, v61
	v_lshrrev_b32_e32 v57, 3, v62
	s_mov_b32 s35, exec_lo
	v_cmpx_gt_u32_e32 8, v62
; %bb.445:                              ;   in Loop: Header=BB197_9 Depth=1
	v_ffbh_u32_e32 v57, v65
	v_min_u32_e32 v57, 32, v57
	v_subrev_nc_u32_e32 v58, 28, v57
	v_sub_nc_u32_e32 v57, 29, v57
	v_lshlrev_b64 v[62:63], v58, v[65:66]
	v_and_b32_e32 v65, 7, v62
; %bb.446:                              ;   in Loop: Header=BB197_9 Depth=1
	s_or_b32 exec_lo, exec_lo, s35
	v_lshlrev_b32_e32 v58, 24, v61
	v_lshlrev_b32_e32 v62, 20, v65
	v_lshl_add_u32 v57, v57, 23, 0x3c000000
	v_and_b32_e32 v58, 0x80000000, v58
	v_or3_b32 v65, v62, v58, v57
	v_mov_b32_e32 v57, v65
	v_mov_b32_e32 v58, v66
.LBB197_447:                            ;   in Loop: Header=BB197_9 Depth=1
	s_or_b32 exec_lo, exec_lo, s34
.LBB197_448:                            ;   in Loop: Header=BB197_9 Depth=1
	s_or_b32 exec_lo, exec_lo, s33
.LBB197_449:                            ;   in Loop: Header=BB197_9 Depth=1
	s_or_b32 exec_lo, exec_lo, s4
	v_cmp_ne_u16_sdwa s3, v61, v66 src0_sel:BYTE_1 src1_sel:DWORD
	s_and_saveexec_b32 s4, s3
	s_cbranch_execz .LBB197_457
; %bb.450:                              ;   in Loop: Header=BB197_9 Depth=1
	v_mov_b32_e32 v81, v66
	v_cmp_ne_u16_sdwa s3, v61, v89 src0_sel:BYTE_1 src1_sel:DWORD
	v_mov_b32_e32 v59, v81
	v_mov_b32_e32 v60, v82
	s_and_saveexec_b32 s33, s3
	s_cbranch_execz .LBB197_456
; %bb.451:                              ;   in Loop: Header=BB197_9 Depth=1
	v_mov_b32_e32 v59, 0xffff
	v_mov_b32_e32 v79, v66
	s_mov_b32 s34, exec_lo
	v_and_b32_sdwa v63, v59, v61 dst_sel:DWORD dst_unused:UNUSED_PAD src0_sel:DWORD src1_sel:BYTE_1
	v_mov_b32_e32 v59, v79
	v_mov_b32_e32 v60, v80
	v_and_b32_e32 v62, 0x7f, v63
	v_cmpx_ne_u32_e32 0x7f, v62
	s_cbranch_execz .LBB197_455
; %bb.452:                              ;   in Loop: Header=BB197_9 Depth=1
	v_and_b32_e32 v65, 7, v63
	v_lshrrev_b32_e32 v59, 3, v62
	s_mov_b32 s35, exec_lo
	v_cmpx_gt_u32_e32 8, v62
; %bb.453:                              ;   in Loop: Header=BB197_9 Depth=1
	v_ffbh_u32_e32 v59, v65
	v_min_u32_e32 v59, 32, v59
	v_subrev_nc_u32_e32 v60, 28, v59
	v_sub_nc_u32_e32 v59, 29, v59
	v_lshlrev_b64 v[62:63], v60, v[65:66]
	v_and_b32_e32 v65, 7, v62
; %bb.454:                              ;   in Loop: Header=BB197_9 Depth=1
	s_or_b32 exec_lo, exec_lo, s35
	v_lshlrev_b32_e32 v60, 16, v61
	v_lshlrev_b32_e32 v61, 20, v65
	v_lshl_add_u32 v59, v59, 23, 0x3c000000
	v_and_b32_e32 v60, 0x80000000, v60
	v_or3_b32 v60, v61, v60, v59
	v_mov_b32_e32 v59, v66
.LBB197_455:                            ;   in Loop: Header=BB197_9 Depth=1
	s_or_b32 exec_lo, exec_lo, s34
.LBB197_456:                            ;   in Loop: Header=BB197_9 Depth=1
	s_or_b32 exec_lo, exec_lo, s33
.LBB197_457:                            ;   in Loop: Header=BB197_9 Depth=1
	s_or_b32 exec_lo, exec_lo, s4
	global_load_ushort v61, v[83:84], off offset:1792
	v_mov_b32_e32 v63, 0
	v_mov_b32_e32 v64, 0
	s_waitcnt vmcnt(0)
	v_and_b32_e32 v71, 0xffff, v61
	v_cmp_ne_u16_sdwa s3, v61, v66 src0_sel:BYTE_0 src1_sel:DWORD
	v_mov_b32_e32 v61, 0
	v_mov_b32_e32 v62, 0
	s_and_saveexec_b32 s4, s3
	s_cbranch_execz .LBB197_465
; %bb.458:                              ;   in Loop: Header=BB197_9 Depth=1
	v_bfrev_b32_e32 v61, 1
	v_mov_b32_e32 v62, 0
	v_cmp_ne_u16_sdwa s3, v71, v89 src0_sel:BYTE_0 src1_sel:DWORD
	s_and_saveexec_b32 s33, s3
	s_cbranch_execz .LBB197_464
; %bb.459:                              ;   in Loop: Header=BB197_9 Depth=1
	v_mov_b32_e32 v61, 0x7f800001
	v_and_b32_e32 v72, 0x7f, v71
	v_mov_b32_e32 v62, 0
	s_mov_b32 s34, exec_lo
	v_cmpx_ne_u32_e32 0x7f, v72
	s_cbranch_execz .LBB197_463
; %bb.460:                              ;   in Loop: Header=BB197_9 Depth=1
	v_and_b32_e32 v65, 7, v71
	v_lshrrev_b32_e32 v61, 3, v72
	s_mov_b32 s35, exec_lo
	v_cmpx_gt_u32_e32 8, v72
; %bb.461:                              ;   in Loop: Header=BB197_9 Depth=1
	v_ffbh_u32_e32 v61, v65
	v_min_u32_e32 v61, 32, v61
	v_subrev_nc_u32_e32 v62, 28, v61
	v_sub_nc_u32_e32 v61, 29, v61
	v_lshlrev_b64 v[72:73], v62, v[65:66]
	v_and_b32_e32 v65, 7, v72
; %bb.462:                              ;   in Loop: Header=BB197_9 Depth=1
	s_or_b32 exec_lo, exec_lo, s35
	v_lshlrev_b32_e32 v62, 24, v71
	v_lshlrev_b32_e32 v65, 20, v65
	v_lshl_add_u32 v61, v61, 23, 0x3c000000
	v_and_b32_e32 v62, 0x80000000, v62
	v_or3_b32 v65, v65, v62, v61
	v_mov_b32_e32 v61, v65
	v_mov_b32_e32 v62, v66
.LBB197_463:                            ;   in Loop: Header=BB197_9 Depth=1
	s_or_b32 exec_lo, exec_lo, s34
.LBB197_464:                            ;   in Loop: Header=BB197_9 Depth=1
	s_or_b32 exec_lo, exec_lo, s33
.LBB197_465:                            ;   in Loop: Header=BB197_9 Depth=1
	s_or_b32 exec_lo, exec_lo, s4
	v_cmp_ne_u16_sdwa s3, v71, v66 src0_sel:BYTE_1 src1_sel:DWORD
	s_and_saveexec_b32 s4, s3
	s_cbranch_execz .LBB197_473
; %bb.466:                              ;   in Loop: Header=BB197_9 Depth=1
	v_mov_b32_e32 v81, v66
	v_cmp_ne_u16_sdwa s3, v71, v89 src0_sel:BYTE_1 src1_sel:DWORD
	v_mov_b32_e32 v63, v81
	v_mov_b32_e32 v64, v82
	s_and_saveexec_b32 s33, s3
	s_cbranch_execz .LBB197_472
; %bb.467:                              ;   in Loop: Header=BB197_9 Depth=1
	v_mov_b32_e32 v63, 0xffff
	v_mov_b32_e32 v79, v66
	s_mov_b32 s34, exec_lo
	v_and_b32_sdwa v65, v63, v71 dst_sel:DWORD dst_unused:UNUSED_PAD src0_sel:DWORD src1_sel:BYTE_1
	v_mov_b32_e32 v63, v79
	v_mov_b32_e32 v64, v80
	v_and_b32_e32 v72, 0x7f, v65
	v_cmpx_ne_u32_e32 0x7f, v72
	s_cbranch_execz .LBB197_471
; %bb.468:                              ;   in Loop: Header=BB197_9 Depth=1
	v_and_b32_e32 v65, 7, v65
	v_lshrrev_b32_e32 v63, 3, v72
	s_mov_b32 s35, exec_lo
	v_cmpx_gt_u32_e32 8, v72
; %bb.469:                              ;   in Loop: Header=BB197_9 Depth=1
	v_ffbh_u32_e32 v63, v65
	v_min_u32_e32 v63, 32, v63
	v_subrev_nc_u32_e32 v64, 28, v63
	v_sub_nc_u32_e32 v63, 29, v63
	v_lshlrev_b64 v[64:65], v64, v[65:66]
	v_and_b32_e32 v65, 7, v64
; %bb.470:                              ;   in Loop: Header=BB197_9 Depth=1
	s_or_b32 exec_lo, exec_lo, s35
	v_lshlrev_b32_e32 v64, 16, v71
	v_lshlrev_b32_e32 v65, 20, v65
	v_lshl_add_u32 v63, v63, 23, 0x3c000000
	v_and_b32_e32 v64, 0x80000000, v64
	v_or3_b32 v64, v65, v64, v63
	v_mov_b32_e32 v63, v66
.LBB197_471:                            ;   in Loop: Header=BB197_9 Depth=1
	s_or_b32 exec_lo, exec_lo, s34
.LBB197_472:                            ;   in Loop: Header=BB197_9 Depth=1
	s_or_b32 exec_lo, exec_lo, s33
.LBB197_473:                            ;   in Loop: Header=BB197_9 Depth=1
	s_or_b32 exec_lo, exec_lo, s4
	global_load_ushort v65, v[83:84], off offset:1796
	v_mov_b32_e32 v73, 0
	v_mov_b32_e32 v75, 0
	;; [unrolled: 1-line block ×4, first 2 shown]
	s_waitcnt vmcnt(0)
	v_and_b32_e32 v71, 0xffff, v65
	v_cmp_ne_u16_sdwa s3, v65, v66 src0_sel:BYTE_0 src1_sel:DWORD
	s_and_saveexec_b32 s4, s3
	s_cbranch_execz .LBB197_481
; %bb.474:                              ;   in Loop: Header=BB197_9 Depth=1
	v_bfrev_b32_e32 v75, 1
	v_mov_b32_e32 v76, 0
	v_cmp_ne_u16_sdwa s3, v71, v89 src0_sel:BYTE_0 src1_sel:DWORD
	s_and_saveexec_b32 s33, s3
	s_cbranch_execz .LBB197_480
; %bb.475:                              ;   in Loop: Header=BB197_9 Depth=1
	v_mov_b32_e32 v75, 0x7f800001
	v_and_b32_e32 v77, 0x7f, v71
	v_mov_b32_e32 v76, 0
	s_mov_b32 s34, exec_lo
	v_cmpx_ne_u32_e32 0x7f, v77
	s_cbranch_execz .LBB197_479
; %bb.476:                              ;   in Loop: Header=BB197_9 Depth=1
	v_and_b32_e32 v65, 7, v71
	v_lshrrev_b32_e32 v72, 3, v77
	s_mov_b32 s35, exec_lo
	v_cmpx_gt_u32_e32 8, v77
; %bb.477:                              ;   in Loop: Header=BB197_9 Depth=1
	v_ffbh_u32_e32 v72, v65
	v_min_u32_e32 v72, 32, v72
	v_subrev_nc_u32_e32 v75, 28, v72
	v_sub_nc_u32_e32 v72, 29, v72
	v_lshlrev_b64 v[75:76], v75, v[65:66]
	v_and_b32_e32 v65, 7, v75
; %bb.478:                              ;   in Loop: Header=BB197_9 Depth=1
	s_or_b32 exec_lo, exec_lo, s35
	v_lshlrev_b32_e32 v75, 24, v71
	v_lshlrev_b32_e32 v65, 20, v65
	v_lshl_add_u32 v72, v72, 23, 0x3c000000
	v_and_b32_e32 v75, 0x80000000, v75
	v_or3_b32 v65, v65, v75, v72
	v_mov_b32_e32 v76, v66
	v_mov_b32_e32 v75, v65
.LBB197_479:                            ;   in Loop: Header=BB197_9 Depth=1
	s_or_b32 exec_lo, exec_lo, s34
.LBB197_480:                            ;   in Loop: Header=BB197_9 Depth=1
	s_or_b32 exec_lo, exec_lo, s33
.LBB197_481:                            ;   in Loop: Header=BB197_9 Depth=1
	s_or_b32 exec_lo, exec_lo, s4
	v_cmp_ne_u16_sdwa s3, v71, v66 src0_sel:BYTE_1 src1_sel:DWORD
	s_and_saveexec_b32 s4, s3
	s_cbranch_execz .LBB197_489
; %bb.482:                              ;   in Loop: Header=BB197_9 Depth=1
	v_mov_b32_e32 v81, v66
	v_cmp_ne_u16_sdwa s3, v71, v89 src0_sel:BYTE_1 src1_sel:DWORD
	v_mov_b32_e32 v73, v81
	v_mov_b32_e32 v74, v82
	s_and_saveexec_b32 s33, s3
	s_cbranch_execz .LBB197_488
; %bb.483:                              ;   in Loop: Header=BB197_9 Depth=1
	v_mov_b32_e32 v65, 0xffff
	v_mov_b32_e32 v79, v66
	s_mov_b32 s34, exec_lo
	v_and_b32_sdwa v65, v65, v71 dst_sel:DWORD dst_unused:UNUSED_PAD src0_sel:DWORD src1_sel:BYTE_1
	v_mov_b32_e32 v73, v79
	v_mov_b32_e32 v74, v80
	v_and_b32_e32 v77, 0x7f, v65
	v_cmpx_ne_u32_e32 0x7f, v77
	s_cbranch_execz .LBB197_487
; %bb.484:                              ;   in Loop: Header=BB197_9 Depth=1
	v_and_b32_e32 v65, 7, v65
	v_lshrrev_b32_e32 v72, 3, v77
	s_mov_b32 s35, exec_lo
	v_cmpx_gt_u32_e32 8, v77
; %bb.485:                              ;   in Loop: Header=BB197_9 Depth=1
	v_ffbh_u32_e32 v72, v65
	v_min_u32_e32 v72, 32, v72
	v_subrev_nc_u32_e32 v73, 28, v72
	v_sub_nc_u32_e32 v72, 29, v72
	v_lshlrev_b64 v[73:74], v73, v[65:66]
	v_and_b32_e32 v65, 7, v73
; %bb.486:                              ;   in Loop: Header=BB197_9 Depth=1
	s_or_b32 exec_lo, exec_lo, s35
	v_lshlrev_b32_e32 v71, 16, v71
	v_lshlrev_b32_e32 v65, 20, v65
	v_lshl_add_u32 v72, v72, 23, 0x3c000000
	v_mov_b32_e32 v73, v66
	v_and_b32_e32 v71, 0x80000000, v71
	v_or3_b32 v74, v65, v71, v72
.LBB197_487:                            ;   in Loop: Header=BB197_9 Depth=1
	s_or_b32 exec_lo, exec_lo, s34
.LBB197_488:                            ;   in Loop: Header=BB197_9 Depth=1
	s_or_b32 exec_lo, exec_lo, s33
.LBB197_489:                            ;   in Loop: Header=BB197_9 Depth=1
	s_or_b32 exec_lo, exec_lo, s4
	global_load_ushort v65, v[83:84], off offset:1800
	v_mov_b32_e32 v71, 0
	v_mov_b32_e32 v85, 0
	;; [unrolled: 1-line block ×4, first 2 shown]
	s_waitcnt vmcnt(0)
	v_and_b32_e32 v77, 0xffff, v65
	v_cmp_ne_u16_sdwa s3, v65, v66 src0_sel:BYTE_0 src1_sel:DWORD
	s_and_saveexec_b32 s4, s3
	s_cbranch_execz .LBB197_497
; %bb.490:                              ;   in Loop: Header=BB197_9 Depth=1
	v_bfrev_b32_e32 v85, 1
	v_mov_b32_e32 v86, 0
	v_cmp_ne_u16_sdwa s3, v77, v89 src0_sel:BYTE_0 src1_sel:DWORD
	s_and_saveexec_b32 s33, s3
	s_cbranch_execz .LBB197_496
; %bb.491:                              ;   in Loop: Header=BB197_9 Depth=1
	v_mov_b32_e32 v85, 0x7f800001
	v_and_b32_e32 v79, 0x7f, v77
	v_mov_b32_e32 v86, 0
	s_mov_b32 s34, exec_lo
	v_cmpx_ne_u32_e32 0x7f, v79
	s_cbranch_execz .LBB197_495
; %bb.492:                              ;   in Loop: Header=BB197_9 Depth=1
	v_and_b32_e32 v65, 7, v77
	v_lshrrev_b32_e32 v78, 3, v79
	s_mov_b32 s35, exec_lo
	v_cmpx_gt_u32_e32 8, v79
; %bb.493:                              ;   in Loop: Header=BB197_9 Depth=1
	v_ffbh_u32_e32 v78, v65
	v_min_u32_e32 v78, 32, v78
	v_subrev_nc_u32_e32 v79, 28, v78
	v_sub_nc_u32_e32 v78, 29, v78
	v_lshlrev_b64 v[85:86], v79, v[65:66]
	v_and_b32_e32 v65, 7, v85
; %bb.494:                              ;   in Loop: Header=BB197_9 Depth=1
	s_or_b32 exec_lo, exec_lo, s35
	v_lshlrev_b32_e32 v79, 24, v77
	v_lshlrev_b32_e32 v65, 20, v65
	v_lshl_add_u32 v78, v78, 23, 0x3c000000
	v_and_b32_e32 v79, 0x80000000, v79
	v_or3_b32 v65, v65, v79, v78
	v_mov_b32_e32 v86, v66
	v_mov_b32_e32 v85, v65
.LBB197_495:                            ;   in Loop: Header=BB197_9 Depth=1
	s_or_b32 exec_lo, exec_lo, s34
.LBB197_496:                            ;   in Loop: Header=BB197_9 Depth=1
	s_or_b32 exec_lo, exec_lo, s33
.LBB197_497:                            ;   in Loop: Header=BB197_9 Depth=1
	s_or_b32 exec_lo, exec_lo, s4
	v_cmp_ne_u16_sdwa s3, v77, v66 src0_sel:BYTE_1 src1_sel:DWORD
	s_and_saveexec_b32 s4, s3
	s_cbranch_execz .LBB197_505
; %bb.498:                              ;   in Loop: Header=BB197_9 Depth=1
	v_mov_b32_e32 v81, v66
	v_cmp_ne_u16_sdwa s3, v77, v89 src0_sel:BYTE_1 src1_sel:DWORD
	v_mov_b32_e32 v71, v81
	v_mov_b32_e32 v72, v82
	s_and_saveexec_b32 s33, s3
	s_cbranch_execz .LBB197_504
; %bb.499:                              ;   in Loop: Header=BB197_9 Depth=1
	v_mov_b32_e32 v65, 0xffff
	v_mov_b32_e32 v79, v66
	s_mov_b32 s34, exec_lo
	v_and_b32_sdwa v65, v65, v77 dst_sel:DWORD dst_unused:UNUSED_PAD src0_sel:DWORD src1_sel:BYTE_1
	v_mov_b32_e32 v71, v79
	v_mov_b32_e32 v72, v80
	v_and_b32_e32 v78, 0x7f, v65
	v_cmpx_ne_u32_e32 0x7f, v78
	s_cbranch_execz .LBB197_503
; %bb.500:                              ;   in Loop: Header=BB197_9 Depth=1
	v_and_b32_e32 v65, 7, v65
	v_lshrrev_b32_e32 v71, 3, v78
	s_mov_b32 s35, exec_lo
	v_cmpx_gt_u32_e32 8, v78
; %bb.501:                              ;   in Loop: Header=BB197_9 Depth=1
	v_ffbh_u32_e32 v71, v65
	v_min_u32_e32 v71, 32, v71
	v_subrev_nc_u32_e32 v72, 28, v71
	v_sub_nc_u32_e32 v71, 29, v71
	v_lshlrev_b64 v[78:79], v72, v[65:66]
	v_and_b32_e32 v65, 7, v78
; %bb.502:                              ;   in Loop: Header=BB197_9 Depth=1
	s_or_b32 exec_lo, exec_lo, s35
	v_lshlrev_b32_e32 v72, 16, v77
	v_lshlrev_b32_e32 v65, 20, v65
	v_lshl_add_u32 v71, v71, 23, 0x3c000000
	v_and_b32_e32 v72, 0x80000000, v72
	v_or3_b32 v72, v65, v72, v71
	v_mov_b32_e32 v71, v66
.LBB197_503:                            ;   in Loop: Header=BB197_9 Depth=1
	s_or_b32 exec_lo, exec_lo, s34
.LBB197_504:                            ;   in Loop: Header=BB197_9 Depth=1
	s_or_b32 exec_lo, exec_lo, s33
.LBB197_505:                            ;   in Loop: Header=BB197_9 Depth=1
	s_or_b32 exec_lo, exec_lo, s4
	global_load_ushort v65, v[83:84], off offset:1804
	v_mov_b32_e32 v77, 0
	v_mov_b32_e32 v83, 0
	;; [unrolled: 1-line block ×4, first 2 shown]
	s_waitcnt vmcnt(0)
	v_and_b32_e32 v87, 0xffff, v65
	v_cmp_ne_u16_sdwa s3, v65, v66 src0_sel:BYTE_0 src1_sel:DWORD
	s_and_saveexec_b32 s4, s3
	s_cbranch_execz .LBB197_513
; %bb.506:                              ;   in Loop: Header=BB197_9 Depth=1
	v_bfrev_b32_e32 v83, 1
	v_mov_b32_e32 v84, 0
	v_cmp_ne_u16_sdwa s3, v87, v89 src0_sel:BYTE_0 src1_sel:DWORD
	s_and_saveexec_b32 s33, s3
	s_cbranch_execz .LBB197_512
; %bb.507:                              ;   in Loop: Header=BB197_9 Depth=1
	v_mov_b32_e32 v83, 0x7f800001
	v_and_b32_e32 v81, 0x7f, v87
	v_mov_b32_e32 v84, 0
	s_mov_b32 s34, exec_lo
	v_cmpx_ne_u32_e32 0x7f, v81
	s_cbranch_execz .LBB197_511
; %bb.508:                              ;   in Loop: Header=BB197_9 Depth=1
	v_and_b32_e32 v65, 7, v87
	v_lshrrev_b32_e32 v79, 3, v81
	s_mov_b32 s35, exec_lo
	v_cmpx_gt_u32_e32 8, v81
; %bb.509:                              ;   in Loop: Header=BB197_9 Depth=1
	v_ffbh_u32_e32 v79, v65
	v_min_u32_e32 v79, 32, v79
	v_subrev_nc_u32_e32 v81, 28, v79
	v_sub_nc_u32_e32 v79, 29, v79
	v_lshlrev_b64 v[83:84], v81, v[65:66]
	v_and_b32_e32 v65, 7, v83
; %bb.510:                              ;   in Loop: Header=BB197_9 Depth=1
	s_or_b32 exec_lo, exec_lo, s35
	v_lshlrev_b32_e32 v81, 24, v87
	v_lshlrev_b32_e32 v65, 20, v65
	v_lshl_add_u32 v79, v79, 23, 0x3c000000
	v_and_b32_e32 v81, 0x80000000, v81
	v_or3_b32 v65, v65, v81, v79
	v_mov_b32_e32 v84, v66
	v_mov_b32_e32 v83, v65
.LBB197_511:                            ;   in Loop: Header=BB197_9 Depth=1
	s_or_b32 exec_lo, exec_lo, s34
.LBB197_512:                            ;   in Loop: Header=BB197_9 Depth=1
	s_or_b32 exec_lo, exec_lo, s33
.LBB197_513:                            ;   in Loop: Header=BB197_9 Depth=1
	s_or_b32 exec_lo, exec_lo, s4
	v_cmp_ne_u16_sdwa s3, v87, v66 src0_sel:BYTE_1 src1_sel:DWORD
	s_and_saveexec_b32 s4, s3
	s_cbranch_execz .LBB197_521
; %bb.514:                              ;   in Loop: Header=BB197_9 Depth=1
	v_mov_b32_e32 v81, v66
	v_cmp_ne_u16_sdwa s3, v87, v89 src0_sel:BYTE_1 src1_sel:DWORD
	v_mov_b32_e32 v77, v81
	v_mov_b32_e32 v78, v82
	s_and_saveexec_b32 s33, s3
	s_cbranch_execz .LBB197_520
; %bb.515:                              ;   in Loop: Header=BB197_9 Depth=1
	v_mov_b32_e32 v65, 0xffff
	v_mov_b32_e32 v79, v66
	s_mov_b32 s34, exec_lo
	v_and_b32_sdwa v65, v65, v87 dst_sel:DWORD dst_unused:UNUSED_PAD src0_sel:DWORD src1_sel:BYTE_1
	v_mov_b32_e32 v77, v79
	v_mov_b32_e32 v78, v80
	v_and_b32_e32 v81, 0x7f, v65
	v_cmpx_ne_u32_e32 0x7f, v81
	s_cbranch_execz .LBB197_519
; %bb.516:                              ;   in Loop: Header=BB197_9 Depth=1
	v_and_b32_e32 v65, 7, v65
	v_lshrrev_b32_e32 v77, 3, v81
	s_mov_b32 s35, exec_lo
	v_cmpx_gt_u32_e32 8, v81
; %bb.517:                              ;   in Loop: Header=BB197_9 Depth=1
	v_ffbh_u32_e32 v77, v65
	v_min_u32_e32 v77, 32, v77
	v_subrev_nc_u32_e32 v78, 28, v77
	v_sub_nc_u32_e32 v77, 29, v77
	v_lshlrev_b64 v[78:79], v78, v[65:66]
	v_and_b32_e32 v65, 7, v78
; %bb.518:                              ;   in Loop: Header=BB197_9 Depth=1
	s_or_b32 exec_lo, exec_lo, s35
	v_lshlrev_b32_e32 v78, 16, v87
	v_lshlrev_b32_e32 v65, 20, v65
	v_lshl_add_u32 v77, v77, 23, 0x3c000000
	v_and_b32_e32 v78, 0x80000000, v78
	v_or3_b32 v78, v65, v78, v77
	v_mov_b32_e32 v77, v66
.LBB197_519:                            ;   in Loop: Header=BB197_9 Depth=1
	s_or_b32 exec_lo, exec_lo, s34
.LBB197_520:                            ;   in Loop: Header=BB197_9 Depth=1
	s_or_b32 exec_lo, exec_lo, s33
.LBB197_521:                            ;   in Loop: Header=BB197_9 Depth=1
	s_or_b32 exec_lo, exec_lo, s4
	v_or_b32_e32 v65, v72, v86
	v_or_b32_e32 v71, v71, v85
	s_clause 0x1
	buffer_load_dword v85, off, s[36:39], 0 offset:48
	buffer_load_dword v86, off, s[36:39], 0 offset:52
	v_or_b32_e32 v2, v4, v2
	v_or_b32_e32 v1, v3, v1
	;; [unrolled: 1-line block ×22, first 2 shown]
	v_mul_f32_e32 v36, s5, v36
	v_or_b32_e32 v27, v104, v102
	v_or_b32_e32 v28, v103, v101
	v_mul_f32_e32 v35, s31, v35
	v_or_b32_e32 v22, v24, v22
	v_or_b32_e32 v21, v23, v21
	;; [unrolled: 1-line block ×4, first 2 shown]
	v_mul_f32_e32 v28, s5, v28
	v_mul_f32_e32 v27, s31, v27
	v_or_b32_e32 v18, v20, v18
	v_mul_f32_e32 v23, s31, v23
	v_mul_f32_e32 v24, s5, v24
	v_or_b32_e32 v17, v19, v17
	v_or_b32_e32 v19, v112, v110
	;; [unrolled: 1-line block ×7, first 2 shown]
	v_mul_f32_e32 v20, s5, v20
	v_mul_f32_e32 v19, s31, v19
	v_or_b32_e32 v10, v12, v10
	v_mul_f32_e32 v15, s31, v15
	v_mul_f32_e32 v16, s5, v16
	v_or_b32_e32 v9, v11, v9
	v_or_b32_e32 v11, v120, v118
	;; [unrolled: 1-line block ×7, first 2 shown]
	v_mul_f32_e32 v12, s5, v12
	v_mul_f32_e32 v11, s31, v11
	;; [unrolled: 1-line block ×7, first 2 shown]
	v_or_b32_e32 v32, v32, v30
	v_or_b32_e32 v44, v51, v49
	;; [unrolled: 1-line block ×8, first 2 shown]
	s_waitcnt vmcnt(1)
	v_or_b32_e32 v79, v91, v85
	s_waitcnt vmcnt(0)
	v_or_b32_e32 v72, v92, v86
	s_clause 0x3
	buffer_load_dword v85, off, s[36:39], 0 offset:32
	buffer_load_dword v86, off, s[36:39], 0 offset:36
	;; [unrolled: 1-line block ×4, first 2 shown]
	s_waitcnt vmcnt(1)
	v_or_b32_e32 v85, v87, v85
	s_waitcnt vmcnt(0)
	v_or_b32_e32 v81, v88, v86
	s_clause 0x3
	buffer_load_dword v86, off, s[36:39], 0 offset:16
	buffer_load_dword v87, off, s[36:39], 0 offset:20
	;; [unrolled: 1-line block ×4, first 2 shown]
	s_waitcnt vmcnt(1)
	v_or_b32_e32 v88, v91, v86
	s_waitcnt vmcnt(0)
	v_or_b32_e32 v86, v92, v87
	s_clause 0x7
	buffer_load_dword v91, off, s[36:39], 0
	buffer_load_dword v92, off, s[36:39], 0 offset:4
	buffer_load_dword v93, off, s[36:39], 0 offset:8
	;; [unrolled: 1-line block ×7, first 2 shown]
	s_waitcnt vmcnt(5)
	v_or_b32_e32 v91, v93, v91
	s_waitcnt vmcnt(4)
	v_or_b32_e32 v87, v94, v92
	v_or_b32_e32 v92, v31, v29
	v_mul_f32_e32 v31, s5, v88
	v_or_b32_e32 v29, v74, v76
	v_mul_f32_e32 v53, s5, v91
	s_waitcnt vmcnt(1)
	v_mul_f32_e32 v31, v56, v31
	v_fmac_f32_e32 v31, v54, v53
	v_mul_f32_e32 v53, s31, v86
	v_mul_f32_e32 v54, s31, v87
	s_waitcnt vmcnt(0)
	v_mul_f32_e32 v53, v57, v53
	v_fmac_f32_e32 v53, v55, v54
	s_clause 0x3
	buffer_load_dword v55, off, s[36:39], 0 offset:76
	buffer_load_dword v56, off, s[36:39], 0 offset:80
	buffer_load_dword v57, off, s[36:39], 0 offset:84
	buffer_load_dword v58, off, s[36:39], 0 offset:88
	v_mul_f32_e32 v54, s5, v85
	s_waitcnt vmcnt(3)
	v_fmac_f32_e32 v31, v55, v54
	v_mul_f32_e32 v54, s31, v81
	s_waitcnt vmcnt(2)
	v_fmac_f32_e32 v53, v56, v54
	;; [unrolled: 3-line block ×4, first 2 shown]
	s_clause 0x3
	buffer_load_dword v55, off, s[36:39], 0 offset:92
	buffer_load_dword v56, off, s[36:39], 0 offset:96
	;; [unrolled: 1-line block ×4, first 2 shown]
	v_mul_f32_e32 v54, s5, v68
	s_waitcnt vmcnt(3)
	v_fmac_f32_e32 v31, v55, v54
	v_mul_f32_e32 v54, s31, v67
	s_waitcnt vmcnt(1)
	v_fmac_f32_e32 v31, v57, v36
	v_fmac_f32_e32 v53, v56, v54
	s_clause 0x3
	buffer_load_dword v54, off, s[36:39], 0 offset:108
	buffer_load_dword v55, off, s[36:39], 0 offset:112
	;; [unrolled: 1-line block ×4, first 2 shown]
	s_waitcnt vmcnt(4)
	v_fmac_f32_e32 v53, v58, v35
	s_waitcnt vmcnt(3)
	v_fmac_f32_e32 v31, v54, v28
	;; [unrolled: 2-line block ×5, first 2 shown]
	s_clause 0x3
	buffer_load_dword v54, off, s[36:39], 0 offset:124
	buffer_load_dword v55, off, s[36:39], 0 offset:128
	;; [unrolled: 1-line block ×4, first 2 shown]
	s_waitcnt vmcnt(3)
	v_fmac_f32_e32 v31, v54, v20
	s_waitcnt vmcnt(2)
	v_fmac_f32_e32 v53, v55, v19
	;; [unrolled: 2-line block ×4, first 2 shown]
	s_clause 0x3
	buffer_load_dword v54, off, s[36:39], 0 offset:140
	buffer_load_dword v55, off, s[36:39], 0 offset:144
	;; [unrolled: 1-line block ×4, first 2 shown]
	s_waitcnt vmcnt(3)
	v_fmac_f32_e32 v31, v54, v12
	s_waitcnt vmcnt(2)
	v_fmac_f32_e32 v53, v55, v11
	;; [unrolled: 2-line block ×4, first 2 shown]
	s_clause 0x3
	buffer_load_dword v54, off, s[36:39], 0 offset:156
	buffer_load_dword v55, off, s[36:39], 0 offset:160
	;; [unrolled: 1-line block ×4, first 2 shown]
	s_waitcnt vmcnt(3)
	v_fmac_f32_e32 v31, v54, v4
	s_waitcnt vmcnt(2)
	v_fmac_f32_e32 v53, v55, v3
	;; [unrolled: 2-line block ×3, first 2 shown]
	v_mul_f32_e32 v1, s31, v2
	s_waitcnt vmcnt(0)
	v_fmac_f32_e32 v53, v57, v1
	v_mul_f32_e32 v1, s5, v5
	s_clause 0x3
	buffer_load_dword v2, off, s[36:39], 0 offset:172
	buffer_load_dword v3, off, s[36:39], 0 offset:176
	;; [unrolled: 1-line block ×4, first 2 shown]
	s_waitcnt vmcnt(3)
	v_fmac_f32_e32 v31, v2, v1
	v_mul_f32_e32 v1, s31, v6
	s_waitcnt vmcnt(2)
	v_fmac_f32_e32 v53, v3, v1
	v_mul_f32_e32 v1, s5, v9
	s_waitcnt vmcnt(1)
	v_fmac_f32_e32 v31, v4, v1
	v_mul_f32_e32 v1, s31, v10
	s_waitcnt vmcnt(0)
	v_fmac_f32_e32 v53, v5, v1
	s_clause 0x3
	buffer_load_dword v2, off, s[36:39], 0 offset:200
	buffer_load_dword v3, off, s[36:39], 0 offset:204
	buffer_load_dword v4, off, s[36:39], 0 offset:208
	buffer_load_dword v5, off, s[36:39], 0 offset:212
	v_mul_f32_e32 v1, s5, v13
	s_waitcnt vmcnt(3)
	v_fmac_f32_e32 v31, v2, v1
	v_mul_f32_e32 v1, s31, v14
	s_waitcnt vmcnt(2)
	v_fmac_f32_e32 v53, v3, v1
	v_mul_f32_e32 v1, s5, v17
	s_waitcnt vmcnt(1)
	v_fmac_f32_e32 v31, v4, v1
	v_mul_f32_e32 v1, s31, v18
	s_waitcnt vmcnt(0)
	v_fmac_f32_e32 v53, v5, v1
	s_clause 0x3
	buffer_load_dword v2, off, s[36:39], 0 offset:216
	buffer_load_dword v3, off, s[36:39], 0 offset:220
	buffer_load_dword v4, off, s[36:39], 0 offset:224
	buffer_load_dword v5, off, s[36:39], 0 offset:228
	v_mul_f32_e32 v1, s5, v21
	;; [unrolled: 17-line block ×8, first 2 shown]
	s_waitcnt vmcnt(3)
	v_fmac_f32_e32 v31, v2, v1
	buffer_load_dword v2, off, s[36:39], 0 offset:188 ; 4-byte Folded Reload
	v_mul_f32_e32 v1, s31, v65
	s_waitcnt vmcnt(3)
	v_fmac_f32_e32 v53, v3, v1
	v_mul_f32_e32 v1, s5, v52
	s_waitcnt vmcnt(2)
	v_fmac_f32_e32 v31, v4, v1
	;; [unrolled: 3-line block ×3, first 2 shown]
	v_add_f32_e32 v1, v31, v53
	s_waitcnt vmcnt(0)
	ds_bpermute_b32 v2, v2, v1
	s_and_saveexec_b32 s4, vcc_lo
	s_cbranch_execz .LBB197_8
; %bb.522:                              ;   in Loop: Header=BB197_9 Depth=1
	buffer_load_dword v4, off, s[36:39], 0 offset:56 ; 4-byte Folded Reload
	v_add_nc_u32_e32 v3, s16, v127
	s_waitcnt lgkmcnt(0)
	v_add_f32_e32 v1, v1, v2
	v_cmp_gt_i32_e64 s3, s11, v127
	v_cvt_f32_i32_e32 v3, v3
	v_mul_f32_e32 v3, s28, v3
	v_cndmask_b32_e64 v2, 0, v3, s2
	v_fmac_f32_e32 v2, s29, v1
	s_waitcnt vmcnt(0)
	v_max_f32_e32 v3, v4, v4
	v_max_f32_e32 v1, v3, v2
	v_cndmask_b32_e64 v2, 0, v2, s3
	v_cndmask_b32_e64 v4, v4, v1, s3
	ds_write_b32 v0, v2
	buffer_store_dword v4, off, s[36:39], 0 offset:56 ; 4-byte Folded Spill
	s_branch .LBB197_8
.LBB197_523:
	s_or_b32 exec_lo, exec_lo, s17
	s_clause 0x5
	buffer_load_dword v115, off, s[36:39], 0 offset:328
	buffer_load_dword v116, off, s[36:39], 0 offset:332
	;; [unrolled: 1-line block ×6, first 2 shown]
	v_mov_b32_e32 v8, 32
.LBB197_524:
	s_or_b32 exec_lo, exec_lo, s15
	s_waitcnt vmcnt(1)
	v_xor_b32_e32 v0, 16, v13
	s_waitcnt lgkmcnt(0)
	v_xor_b32_e32 v2, 8, v13
	v_xor_b32_e32 v4, 4, v13
	v_and_b32_e32 v25, 31, v115
	v_cmp_lt_i32_e32 vcc_lo, v0, v8
	v_cndmask_b32_e32 v0, v13, v0, vcc_lo
	v_cmp_lt_i32_e32 vcc_lo, v2, v8
	v_lshlrev_b32_e32 v0, 2, v0
	v_cndmask_b32_e32 v2, v13, v2, vcc_lo
	v_cmp_lt_i32_e32 vcc_lo, v4, v8
	s_waitcnt vmcnt(0)
	ds_bpermute_b32 v1, v0, v3
	v_max_f32_e32 v3, v3, v3
	v_lshlrev_b32_e32 v2, 2, v2
	v_cndmask_b32_e32 v4, v13, v4, vcc_lo
	s_waitcnt lgkmcnt(0)
	v_max_f32_e32 v1, v1, v1
	v_max_f32_e32 v1, v3, v1
	ds_bpermute_b32 v3, v2, v1
	s_waitcnt lgkmcnt(0)
	v_max_f32_e32 v5, v3, v3
	v_lshlrev_b32_e32 v3, 2, v4
	v_max_f32_e32 v1, v1, v5
	v_xor_b32_e32 v5, 2, v13
	ds_bpermute_b32 v4, v3, v1
	v_cmp_lt_i32_e32 vcc_lo, v5, v8
	v_cndmask_b32_e32 v5, v13, v5, vcc_lo
	v_cmp_eq_u32_e32 vcc_lo, 0, v25
	v_lshlrev_b32_e32 v26, 2, v5
	s_waitcnt lgkmcnt(0)
	v_max_f32_e32 v4, v4, v4
	v_max_f32_e32 v1, v1, v4
	v_lshlrev_b32_e32 v4, 2, v116
	ds_bpermute_b32 v5, v26, v1
	s_and_saveexec_b32 s2, vcc_lo
	s_cbranch_execz .LBB197_526
; %bb.525:
	s_waitcnt lgkmcnt(0)
	v_max_f32_e32 v5, v5, v5
	v_max_f32_e32 v1, v1, v1
	;; [unrolled: 1-line block ×3, first 2 shown]
	ds_write_b32 v4, v1 offset:512
.LBB197_526:
	s_or_b32 exec_lo, exec_lo, s2
	v_cmp_gt_u32_e64 s2, 4, v25
	v_mov_b32_e32 v1, 0xff7fffff
	s_waitcnt lgkmcnt(0)
	v_lshlrev_b32_e32 v5, 2, v25
	s_waitcnt_vscnt null, 0x0
	s_barrier
	buffer_gl0_inv
	s_and_saveexec_b32 s3, s2
; %bb.527:
	ds_read_b32 v1, v5 offset:512
; %bb.528:
	s_or_b32 exec_lo, exec_lo, s3
	s_waitcnt lgkmcnt(0)
	ds_bpermute_b32 v6, v26, v1
	v_xor_b32_e32 v7, 1, v13
	v_max_f32_e32 v1, v1, v1
	v_cmp_lt_i32_e64 s3, v7, v8
	v_cndmask_b32_e64 v7, v13, v7, s3
	s_lshl_b32 s3, s12, 4
	s_min_i32 s5, s3, s11
	v_lshlrev_b32_e32 v27, 2, v7
	v_cmp_gt_i32_e64 s3, s5, v115
	s_waitcnt lgkmcnt(0)
	v_max_f32_e32 v6, v6, v6
	v_max_f32_e32 v1, v1, v6
	ds_bpermute_b32 v6, v27, v1
	s_waitcnt lgkmcnt(0)
	v_max_f32_e32 v6, v6, v6
	v_max_f32_e32 v1, v1, v6
	v_lshlrev_b32_e32 v6, 2, v66
	ds_bpermute_b32 v7, v6, v1
	v_mov_b32_e32 v6, 0
	v_lshl_add_u32 v1, v115, 2, 0x220
	s_and_saveexec_b32 s15, s3
	s_cbranch_execz .LBB197_532
; %bb.529:
	v_lshl_add_u32 v8, v115, 2, 0x220
	v_mov_b32_e32 v6, 0
	v_mov_b32_e32 v9, v115
	s_mov_b32 s16, 0
	.p2align	6
.LBB197_530:                            ; =>This Inner Loop Header: Depth=1
	ds_read_b32 v10, v8
	v_add_nc_u32_e32 v9, 0x80, v9
	v_cmp_le_i32_e64 s4, s5, v9
	s_or_b32 s16, s4, s16
	s_waitcnt lgkmcnt(0)
	v_sub_f32_e32 v10, v10, v7
	v_mul_f32_e32 v10, 0x3fb8aa3b, v10
	v_exp_f32_e32 v10, v10
	ds_write_b32 v8, v10
	v_add_f32_e32 v6, v6, v10
	v_add_nc_u32_e32 v8, 0x200, v8
	s_andn2_b32 exec_lo, exec_lo, s16
	s_cbranch_execnz .LBB197_530
; %bb.531:
	s_or_b32 exec_lo, exec_lo, s16
.LBB197_532:
	s_or_b32 exec_lo, exec_lo, s15
	ds_bpermute_b32 v0, v0, v6
	s_waitcnt lgkmcnt(0)
	v_add_f32_e32 v0, v6, v0
	ds_bpermute_b32 v2, v2, v0
	s_waitcnt lgkmcnt(0)
	v_add_f32_e32 v0, v0, v2
	;; [unrolled: 3-line block ×5, first 2 shown]
	s_and_saveexec_b32 s4, vcc_lo
; %bb.533:
	ds_write_b32 v4, v0 offset:528
; %bb.534:
	s_or_b32 exec_lo, exec_lo, s4
	s_waitcnt lgkmcnt(0)
	s_barrier
	buffer_gl0_inv
	s_and_saveexec_b32 s4, s2
; %bb.535:
	ds_read_b32 v0, v5 offset:528
; %bb.536:
	s_or_b32 exec_lo, exec_lo, s4
	s_waitcnt lgkmcnt(0)
	ds_bpermute_b32 v2, v26, v0
	v_lshlrev_b32_e32 v3, 2, v13
	s_waitcnt lgkmcnt(0)
	v_add_f32_e32 v0, v0, v2
	ds_bpermute_b32 v2, v27, v0
	s_waitcnt lgkmcnt(0)
	v_add_f32_e32 v0, v0, v2
	v_and_b32_e32 v2, 0xffffff80, v3
	ds_bpermute_b32 v0, v2, v0
	s_and_saveexec_b32 s2, s3
	s_cbranch_execz .LBB197_539
; %bb.537:
	s_waitcnt lgkmcnt(0)
	v_add_f32_e32 v0, 0x358637bd, v0
	s_mov_b32 s3, 0
	v_div_scale_f32 v2, null, v0, v0, 1.0
	v_div_scale_f32 v5, vcc_lo, 1.0, v0, 1.0
	v_rcp_f32_e32 v3, v2
	v_fma_f32 v4, -v2, v3, 1.0
	v_fmac_f32_e32 v3, v4, v3
	v_mul_f32_e32 v4, v5, v3
	v_fma_f32 v6, -v2, v4, v5
	v_fmac_f32_e32 v4, v6, v3
	v_fma_f32 v2, -v2, v4, v5
	v_div_fmas_f32 v2, v2, v3, v4
	v_div_fixup_f32 v0, v2, v0, 1.0
	v_mov_b32_e32 v2, v115
.LBB197_538:                            ; =>This Inner Loop Header: Depth=1
	ds_read_b32 v3, v1
	v_add_nc_u32_e32 v2, 0x80, v2
	v_cmp_le_i32_e32 vcc_lo, s5, v2
	s_or_b32 s3, vcc_lo, s3
	s_waitcnt lgkmcnt(0)
	v_mul_f32_e32 v3, v0, v3
	ds_write_b32 v1, v3
	v_add_nc_u32_e32 v1, 0x200, v1
	s_andn2_b32 exec_lo, exec_lo, s3
	s_cbranch_execnz .LBB197_538
.LBB197_539:
	s_or_b32 exec_lo, exec_lo, s2
	v_mov_b32_e32 v41, 0
	v_and_b32_e32 v28, 3, v115
	v_mov_b32_e32 v43, 0
	v_mov_b32_e32 v42, 0
	;; [unrolled: 1-line block ×14, first 2 shown]
	s_waitcnt lgkmcnt(0)
	v_mov_b32_e32 v0, 0
	s_barrier
	buffer_gl0_inv
	s_and_saveexec_b32 s2, s1
	s_cbranch_execz .LBB197_1087
; %bb.540:
	s_load_dword s3, s[18:19], 0x0
	v_and_b32_e32 v0, 12, v11
	v_lshlrev_b32_e32 v3, 4, v116
	v_and_b32_e32 v1, 0x7c, v11
	v_lshlrev_b32_e32 v2, 4, v28
	s_ashr_i32 s1, s14, 31
	s_add_u32 s5, s26, s14
	v_or3_b32 v44, v3, v0, 3
	v_and_b32_e32 v0, 0x7c, v12
	s_addc_u32 s1, s27, s1
	v_add_co_u32 v7, s5, s5, v1
	s_lshl_b64 s[14:15], s[24:25], 2
	s_add_i32 s4, s12, -1
	v_lshl_or_b32 v2, v116, 6, v2
	v_add_co_ci_u32_e64 v8, null, s1, 0, s5
	s_add_u32 s1, s22, s14
	s_addc_u32 s5, s23, s15
	v_add_co_u32 v9, s1, s1, v0
	v_mov_b32_e32 v6, 0
	v_add_nc_u32_e32 v45, 0x220, v2
	v_add_co_ci_u32_e64 v10, null, s5, 0, s1
	v_mov_b32_e32 v46, 0x80
	v_bfrev_b32_e32 v12, 1
	v_mov_b32_e32 v47, 0xffff
	v_mov_b32_e32 v14, 0x7f800001
	;; [unrolled: 1-line block ×22, first 2 shown]
	s_mov_b32 s5, s13
	s_waitcnt lgkmcnt(0)
	s_mov_b32 s14, s3
	s_mov_b32 s13, 0
	s_branch .LBB197_542
.LBB197_541:                            ;   in Loop: Header=BB197_542 Depth=1
	s_or_b32 exec_lo, exec_lo, s1
	s_waitcnt lgkmcnt(0)
	v_mul_f32_e32 v16, v1, v112
	v_mul_f32_e32 v17, v1, v110
	;; [unrolled: 1-line block ×5, first 2 shown]
	v_fmac_f32_e32 v16, v2, v111
	v_fmac_f32_e32 v17, v2, v109
	v_fmac_f32_e32 v18, v2, v105
	v_fmac_f32_e32 v19, v2, v101
	v_fmac_f32_e32 v20, v2, v97
	v_fmac_f32_e32 v16, v3, v24
	v_fmac_f32_e32 v17, v3, v108
	v_fmac_f32_e32 v18, v3, v104
	v_fmac_f32_e32 v19, v3, v100
	v_fmac_f32_e32 v20, v3, v96
	v_fmac_f32_e32 v16, v4, v23
	v_fmac_f32_e32 v17, v4, v107
	v_fmac_f32_e32 v18, v4, v103
	v_fmac_f32_e32 v19, v4, v99
	v_fmac_f32_e32 v20, v4, v95
	v_add_f32_e32 v29, v29, v16
	v_add_f32_e32 v30, v30, v17
	;; [unrolled: 1-line block ×4, first 2 shown]
	v_mul_f32_e32 v16, v1, v90
	v_mul_f32_e32 v17, v1, v86
	;; [unrolled: 1-line block ×5, first 2 shown]
	v_fmac_f32_e32 v16, v2, v89
	v_fmac_f32_e32 v17, v2, v85
	;; [unrolled: 1-line block ×4, first 2 shown]
	v_add_f32_e32 v33, v33, v20
	v_fmac_f32_e32 v16, v3, v88
	v_fmac_f32_e32 v17, v3, v84
	;; [unrolled: 1-line block ×4, first 2 shown]
	v_mul_f32_e32 v20, v1, v74
	v_fmac_f32_e32 v16, v4, v87
	v_fmac_f32_e32 v17, v4, v83
	;; [unrolled: 1-line block ×5, first 2 shown]
	v_add_f32_e32 v35, v35, v16
	v_add_f32_e32 v36, v36, v17
	;; [unrolled: 1-line block ×3, first 2 shown]
	v_mul_f32_e32 v16, v1, v70
	v_add_f32_e32 v38, v38, v19
	v_mul_f32_e32 v17, v1, v66
	v_mul_f32_e32 v18, v1, v62
	;; [unrolled: 1-line block ×4, first 2 shown]
	v_fmac_f32_e32 v20, v2, v73
	v_fmac_f32_e32 v16, v2, v69
	;; [unrolled: 1-line block ×13, first 2 shown]
	v_add_nc_u32_e32 v51, 4, v51
	v_fmac_f32_e32 v21, v4, v91
	v_fmac_f32_e32 v20, v4, v71
	;; [unrolled: 1-line block ×7, first 2 shown]
	v_cmp_le_i32_e32 vcc_lo, s12, v51
	v_add_co_u32 v9, s1, v9, 16
	v_add_f32_e32 v34, v34, v21
	v_add_f32_e32 v39, v39, v20
	;; [unrolled: 1-line block ×7, first 2 shown]
	v_add_nc_u32_e32 v44, 64, v44
	v_add_nc_u32_e32 v45, 0x100, v45
	v_add_co_ci_u32_e64 v10, null, 0, v10, s1
	s_or_b32 s13, vcc_lo, s13
	s_andn2_b32 exec_lo, exec_lo, s13
	s_cbranch_execz .LBB197_1086
.LBB197_542:                            ; =>This Inner Loop Header: Depth=1
	global_load_dword v1, v[9:10], off
	v_mov_b32_e32 v19, 0
	v_mov_b32_e32 v17, 0
	;; [unrolled: 1-line block ×4, first 2 shown]
	s_waitcnt vmcnt(0)
	v_mad_i64_i32 v[15:16], null, v1, s5, v[7:8]
	ds_read_b128 v[1:4], v45
	global_load_dword v52, v[15:16], off
	s_waitcnt vmcnt(0)
	v_cmp_ne_u16_sdwa s15, v52, v6 src0_sel:BYTE_0 src1_sel:DWORD
	s_and_saveexec_b32 s1, s15
	s_cbranch_execz .LBB197_550
; %bb.543:                              ;   in Loop: Header=BB197_542 Depth=1
	v_bfrev_b32_e32 v17, 1
	v_mov_b32_e32 v18, 0
	v_cmp_ne_u16_sdwa s16, v52, v46 src0_sel:BYTE_0 src1_sel:DWORD
	s_and_saveexec_b32 s15, s16
	s_cbranch_execz .LBB197_549
; %bb.544:                              ;   in Loop: Header=BB197_542 Depth=1
	v_mov_b32_e32 v17, 0x7f800001
	v_and_b32_e32 v13, 0x7f, v52
	v_mov_b32_e32 v18, 0
	s_mov_b32 s16, exec_lo
	v_cmpx_ne_u32_e32 0x7f, v13
	s_cbranch_execz .LBB197_548
; %bb.545:                              ;   in Loop: Header=BB197_542 Depth=1
	v_and_b32_e32 v5, 7, v52
	v_lshrrev_b32_e32 v11, 3, v13
	s_mov_b32 s17, exec_lo
	v_cmpx_gt_u32_e32 8, v13
; %bb.546:                              ;   in Loop: Header=BB197_542 Depth=1
	v_ffbh_u32_e32 v11, v5
	v_min_u32_e32 v11, 32, v11
	v_subrev_nc_u32_e32 v13, 28, v11
	v_sub_nc_u32_e32 v11, 29, v11
	v_lshlrev_b64 v[17:18], v13, v[5:6]
	v_and_b32_e32 v5, 7, v17
; %bb.547:                              ;   in Loop: Header=BB197_542 Depth=1
	s_or_b32 exec_lo, exec_lo, s17
	v_lshlrev_b32_e32 v13, 24, v52
	v_lshlrev_b32_e32 v5, 20, v5
	v_lshl_add_u32 v11, v11, 23, 0x3c000000
	v_and_b32_e32 v13, 0x80000000, v13
	v_or3_b32 v5, v5, v13, v11
	v_mov_b32_e32 v18, v6
	v_mov_b32_e32 v17, v5
.LBB197_548:                            ;   in Loop: Header=BB197_542 Depth=1
	s_or_b32 exec_lo, exec_lo, s16
.LBB197_549:                            ;   in Loop: Header=BB197_542 Depth=1
	s_or_b32 exec_lo, exec_lo, s15
.LBB197_550:                            ;   in Loop: Header=BB197_542 Depth=1
	s_or_b32 exec_lo, exec_lo, s1
	v_cmp_ne_u16_sdwa s15, v52, v6 src0_sel:BYTE_1 src1_sel:DWORD
	s_and_saveexec_b32 s1, s15
	s_cbranch_execz .LBB197_558
; %bb.551:                              ;   in Loop: Header=BB197_542 Depth=1
	v_mov_b32_e32 v11, v6
	v_mov_b32_e32 v20, v12
	v_cmp_ne_u16_sdwa s16, v52, v46 src0_sel:BYTE_1 src1_sel:DWORD
	v_mov_b32_e32 v19, v11
	s_and_saveexec_b32 s15, s16
	s_cbranch_execz .LBB197_557
; %bb.552:                              ;   in Loop: Header=BB197_542 Depth=1
	v_and_b32_sdwa v5, v47, v52 dst_sel:DWORD dst_unused:UNUSED_PAD src0_sel:DWORD src1_sel:BYTE_1
	v_mov_b32_e32 v13, v6
	v_mov_b32_e32 v20, v14
	s_mov_b32 s16, exec_lo
	v_and_b32_e32 v21, 0x7f, v5
	v_mov_b32_e32 v19, v13
	v_cmpx_ne_u32_e32 0x7f, v21
	s_cbranch_execz .LBB197_556
; %bb.553:                              ;   in Loop: Header=BB197_542 Depth=1
	v_and_b32_e32 v5, 7, v5
	v_lshrrev_b32_e32 v11, 3, v21
	s_mov_b32 s17, exec_lo
	v_cmpx_gt_u32_e32 8, v21
; %bb.554:                              ;   in Loop: Header=BB197_542 Depth=1
	v_ffbh_u32_e32 v11, v5
	v_min_u32_e32 v11, 32, v11
	v_subrev_nc_u32_e32 v13, 28, v11
	v_sub_nc_u32_e32 v11, 29, v11
	v_lshlrev_b64 v[19:20], v13, v[5:6]
	v_and_b32_e32 v5, 7, v19
; %bb.555:                              ;   in Loop: Header=BB197_542 Depth=1
	s_or_b32 exec_lo, exec_lo, s17
	v_lshlrev_b32_e32 v13, 16, v52
	v_lshlrev_b32_e32 v5, 20, v5
	v_lshl_add_u32 v11, v11, 23, 0x3c000000
	v_mov_b32_e32 v19, v6
	v_and_b32_e32 v13, 0x80000000, v13
	v_or3_b32 v20, v5, v13, v11
.LBB197_556:                            ;   in Loop: Header=BB197_542 Depth=1
	s_or_b32 exec_lo, exec_lo, s16
.LBB197_557:                            ;   in Loop: Header=BB197_542 Depth=1
	s_or_b32 exec_lo, exec_lo, s15
.LBB197_558:                            ;   in Loop: Header=BB197_542 Depth=1
	s_or_b32 exec_lo, exec_lo, s1
	v_mov_b32_e32 v23, 0
	v_mov_b32_e32 v21, 0
	v_and_b32_sdwa v5, v52, v48 dst_sel:DWORD dst_unused:UNUSED_PAD src0_sel:WORD_1 src1_sel:DWORD
	v_mov_b32_e32 v24, 0
	v_mov_b32_e32 v22, 0
	s_mov_b32 s1, exec_lo
	v_cmpx_ne_u16_e32 0, v5
	s_cbranch_execz .LBB197_566
; %bb.559:                              ;   in Loop: Header=BB197_542 Depth=1
	v_bfrev_b32_e32 v21, 1
	v_mov_b32_e32 v22, 0
	s_mov_b32 s15, exec_lo
	v_cmpx_ne_u16_e32 0x80, v5
	s_cbranch_execz .LBB197_565
; %bb.560:                              ;   in Loop: Header=BB197_542 Depth=1
	v_mov_b32_e32 v21, 0x7f800001
	v_bfe_u32 v13, v52, 16, 7
	v_mov_b32_e32 v22, 0
	s_mov_b32 s16, exec_lo
	v_cmpx_ne_u32_e32 0x7f, v13
	s_cbranch_execz .LBB197_564
; %bb.561:                              ;   in Loop: Header=BB197_542 Depth=1
	v_and_b32_sdwa v5, v52, v49 dst_sel:DWORD dst_unused:UNUSED_PAD src0_sel:WORD_1 src1_sel:DWORD
	v_lshrrev_b32_e32 v11, 3, v13
	s_mov_b32 s17, exec_lo
	v_cmpx_gt_u32_e32 8, v13
; %bb.562:                              ;   in Loop: Header=BB197_542 Depth=1
	v_ffbh_u32_e32 v11, v5
	v_min_u32_e32 v11, 32, v11
	v_subrev_nc_u32_e32 v13, 28, v11
	v_sub_nc_u32_e32 v11, 29, v11
	v_lshlrev_b64 v[21:22], v13, v[5:6]
	v_and_b32_e32 v5, 7, v21
; %bb.563:                              ;   in Loop: Header=BB197_542 Depth=1
	s_or_b32 exec_lo, exec_lo, s17
	v_lshlrev_b32_sdwa v13, v50, v52 dst_sel:DWORD dst_unused:UNUSED_PAD src0_sel:DWORD src1_sel:WORD_1
	v_lshlrev_b32_e32 v5, 20, v5
	v_lshl_add_u32 v11, v11, 23, 0x3c000000
	v_and_b32_e32 v13, 0x80000000, v13
	v_or3_b32 v5, v5, v13, v11
	v_mov_b32_e32 v22, v6
	v_mov_b32_e32 v21, v5
.LBB197_564:                            ;   in Loop: Header=BB197_542 Depth=1
	s_or_b32 exec_lo, exec_lo, s16
.LBB197_565:                            ;   in Loop: Header=BB197_542 Depth=1
	s_or_b32 exec_lo, exec_lo, s15
.LBB197_566:                            ;   in Loop: Header=BB197_542 Depth=1
	s_or_b32 exec_lo, exec_lo, s1
	s_mov_b32 s1, exec_lo
	v_cmpx_lt_u32_e32 0xffffff, v52
	s_cbranch_execz .LBB197_574
; %bb.567:                              ;   in Loop: Header=BB197_542 Depth=1
	v_mov_b32_e32 v11, v6
	v_mov_b32_e32 v24, v12
	v_cmp_ne_u32_sdwa s16, v52, v46 src0_sel:BYTE_3 src1_sel:DWORD
	v_mov_b32_e32 v23, v11
	s_and_saveexec_b32 s15, s16
	s_cbranch_execz .LBB197_573
; %bb.568:                              ;   in Loop: Header=BB197_542 Depth=1
	v_mov_b32_e32 v13, v6
	v_mov_b32_e32 v24, v14
	v_bfe_u32 v53, v52, 24, 7
	s_mov_b32 s16, exec_lo
	v_mov_b32_e32 v23, v13
	v_cmpx_ne_u32_e32 0x7f, v53
	s_cbranch_execz .LBB197_572
; %bb.569:                              ;   in Loop: Header=BB197_542 Depth=1
	v_and_b32_sdwa v5, v52, v49 dst_sel:DWORD dst_unused:UNUSED_PAD src0_sel:BYTE_3 src1_sel:DWORD
	v_lshrrev_b32_e32 v11, 3, v53
	s_mov_b32 s17, exec_lo
	v_cmpx_gt_u32_e32 8, v53
; %bb.570:                              ;   in Loop: Header=BB197_542 Depth=1
	v_ffbh_u32_e32 v11, v5
	v_min_u32_e32 v11, 32, v11
	v_subrev_nc_u32_e32 v13, 28, v11
	v_sub_nc_u32_e32 v11, 29, v11
	v_lshlrev_b64 v[23:24], v13, v[5:6]
	v_and_b32_e32 v5, 7, v23
; %bb.571:                              ;   in Loop: Header=BB197_542 Depth=1
	s_or_b32 exec_lo, exec_lo, s17
	v_lshlrev_b32_sdwa v13, v50, v52 dst_sel:DWORD dst_unused:UNUSED_PAD src0_sel:DWORD src1_sel:BYTE_3
	v_lshlrev_b32_e32 v5, 20, v5
	v_lshl_add_u32 v11, v11, 23, 0x3c000000
	v_mov_b32_e32 v23, v6
	v_and_b32_e32 v13, 0x80000000, v13
	v_or3_b32 v24, v5, v13, v11
.LBB197_572:                            ;   in Loop: Header=BB197_542 Depth=1
	s_or_b32 exec_lo, exec_lo, s16
.LBB197_573:                            ;   in Loop: Header=BB197_542 Depth=1
	s_or_b32 exec_lo, exec_lo, s15
.LBB197_574:                            ;   in Loop: Header=BB197_542 Depth=1
	s_or_b32 exec_lo, exec_lo, s1
	v_or_b32_e32 v5, v20, v18
	v_or_b32_e32 v11, v19, v17
	;; [unrolled: 1-line block ×4, first 2 shown]
	v_add_nc_u32_e32 v56, -3, v44
	v_cmp_eq_u32_e32 vcc_lo, s4, v51
	v_mul_f32_e32 v54, s14, v5
	v_mul_f32_e32 v55, s3, v11
	;; [unrolled: 1-line block ×4, first 2 shown]
	v_add_nc_u32_e32 v58, -2, v44
	v_add_nc_u32_e32 v57, -1, v44
	s_and_saveexec_b32 s15, vcc_lo
	s_cbranch_execz .LBB197_576
; %bb.575:                              ;   in Loop: Header=BB197_542 Depth=1
	v_cmp_gt_i32_e64 s1, s11, v56
	v_cndmask_b32_e64 v55, 0, v55, s1
	v_cmp_gt_i32_e64 s1, s11, v58
	v_cndmask_b32_e64 v54, 0, v54, s1
	v_cmp_gt_i32_e64 s1, s11, v57
	v_cndmask_b32_e64 v53, 0, v53, s1
	v_cmp_gt_i32_e64 s1, s11, v44
	v_cndmask_b32_e64 v52, 0, v52, s1
.LBB197_576:                            ;   in Loop: Header=BB197_542 Depth=1
	s_or_b32 exec_lo, exec_lo, s15
	global_load_dword v59, v[15:16], off offset:128
	v_mov_b32_e32 v19, 0
	v_mov_b32_e32 v17, 0
	;; [unrolled: 1-line block ×4, first 2 shown]
	s_waitcnt vmcnt(0)
	v_cmp_ne_u16_sdwa s1, v59, v6 src0_sel:BYTE_0 src1_sel:DWORD
	s_and_saveexec_b32 s15, s1
	s_cbranch_execz .LBB197_584
; %bb.577:                              ;   in Loop: Header=BB197_542 Depth=1
	v_bfrev_b32_e32 v17, 1
	v_mov_b32_e32 v18, 0
	v_cmp_ne_u16_sdwa s1, v59, v46 src0_sel:BYTE_0 src1_sel:DWORD
	s_and_saveexec_b32 s16, s1
	s_cbranch_execz .LBB197_583
; %bb.578:                              ;   in Loop: Header=BB197_542 Depth=1
	v_mov_b32_e32 v17, 0x7f800001
	v_and_b32_e32 v13, 0x7f, v59
	v_mov_b32_e32 v18, 0
	s_mov_b32 s17, exec_lo
	v_cmpx_ne_u32_e32 0x7f, v13
	s_cbranch_execz .LBB197_582
; %bb.579:                              ;   in Loop: Header=BB197_542 Depth=1
	v_and_b32_e32 v5, 7, v59
	v_lshrrev_b32_e32 v11, 3, v13
	s_mov_b32 s18, exec_lo
	v_cmpx_gt_u32_e32 8, v13
; %bb.580:                              ;   in Loop: Header=BB197_542 Depth=1
	v_ffbh_u32_e32 v11, v5
	v_min_u32_e32 v11, 32, v11
	v_subrev_nc_u32_e32 v13, 28, v11
	v_sub_nc_u32_e32 v11, 29, v11
	v_lshlrev_b64 v[17:18], v13, v[5:6]
	v_and_b32_e32 v5, 7, v17
; %bb.581:                              ;   in Loop: Header=BB197_542 Depth=1
	s_or_b32 exec_lo, exec_lo, s18
	v_lshlrev_b32_e32 v13, 24, v59
	v_lshlrev_b32_e32 v5, 20, v5
	v_lshl_add_u32 v11, v11, 23, 0x3c000000
	v_and_b32_e32 v13, 0x80000000, v13
	v_or3_b32 v5, v5, v13, v11
	v_mov_b32_e32 v18, v6
	v_mov_b32_e32 v17, v5
.LBB197_582:                            ;   in Loop: Header=BB197_542 Depth=1
	s_or_b32 exec_lo, exec_lo, s17
.LBB197_583:                            ;   in Loop: Header=BB197_542 Depth=1
	s_or_b32 exec_lo, exec_lo, s16
.LBB197_584:                            ;   in Loop: Header=BB197_542 Depth=1
	s_or_b32 exec_lo, exec_lo, s15
	v_cmp_ne_u16_sdwa s1, v59, v6 src0_sel:BYTE_1 src1_sel:DWORD
	s_and_saveexec_b32 s15, s1
	s_cbranch_execz .LBB197_592
; %bb.585:                              ;   in Loop: Header=BB197_542 Depth=1
	v_mov_b32_e32 v11, v6
	v_mov_b32_e32 v20, v12
	v_cmp_ne_u16_sdwa s1, v59, v46 src0_sel:BYTE_1 src1_sel:DWORD
	v_mov_b32_e32 v19, v11
	s_and_saveexec_b32 s16, s1
	s_cbranch_execz .LBB197_591
; %bb.586:                              ;   in Loop: Header=BB197_542 Depth=1
	v_and_b32_sdwa v5, v47, v59 dst_sel:DWORD dst_unused:UNUSED_PAD src0_sel:DWORD src1_sel:BYTE_1
	v_mov_b32_e32 v13, v6
	v_mov_b32_e32 v20, v14
	s_mov_b32 s17, exec_lo
	v_and_b32_e32 v21, 0x7f, v5
	v_mov_b32_e32 v19, v13
	v_cmpx_ne_u32_e32 0x7f, v21
	s_cbranch_execz .LBB197_590
; %bb.587:                              ;   in Loop: Header=BB197_542 Depth=1
	v_and_b32_e32 v5, 7, v5
	v_lshrrev_b32_e32 v11, 3, v21
	s_mov_b32 s18, exec_lo
	v_cmpx_gt_u32_e32 8, v21
; %bb.588:                              ;   in Loop: Header=BB197_542 Depth=1
	v_ffbh_u32_e32 v11, v5
	v_min_u32_e32 v11, 32, v11
	v_subrev_nc_u32_e32 v13, 28, v11
	v_sub_nc_u32_e32 v11, 29, v11
	v_lshlrev_b64 v[19:20], v13, v[5:6]
	v_and_b32_e32 v5, 7, v19
; %bb.589:                              ;   in Loop: Header=BB197_542 Depth=1
	s_or_b32 exec_lo, exec_lo, s18
	v_lshlrev_b32_e32 v13, 16, v59
	v_lshlrev_b32_e32 v5, 20, v5
	v_lshl_add_u32 v11, v11, 23, 0x3c000000
	v_mov_b32_e32 v19, v6
	v_and_b32_e32 v13, 0x80000000, v13
	v_or3_b32 v20, v5, v13, v11
.LBB197_590:                            ;   in Loop: Header=BB197_542 Depth=1
	s_or_b32 exec_lo, exec_lo, s17
.LBB197_591:                            ;   in Loop: Header=BB197_542 Depth=1
	s_or_b32 exec_lo, exec_lo, s16
.LBB197_592:                            ;   in Loop: Header=BB197_542 Depth=1
	s_or_b32 exec_lo, exec_lo, s15
	v_mov_b32_e32 v23, 0
	v_mov_b32_e32 v21, 0
	v_and_b32_sdwa v5, v59, v48 dst_sel:DWORD dst_unused:UNUSED_PAD src0_sel:WORD_1 src1_sel:DWORD
	v_mov_b32_e32 v24, 0
	v_mov_b32_e32 v22, 0
	s_mov_b32 s15, exec_lo
	v_cmpx_ne_u16_e32 0, v5
	s_cbranch_execz .LBB197_600
; %bb.593:                              ;   in Loop: Header=BB197_542 Depth=1
	v_bfrev_b32_e32 v21, 1
	v_mov_b32_e32 v22, 0
	s_mov_b32 s16, exec_lo
	v_cmpx_ne_u16_e32 0x80, v5
	s_cbranch_execz .LBB197_599
; %bb.594:                              ;   in Loop: Header=BB197_542 Depth=1
	v_mov_b32_e32 v21, 0x7f800001
	v_bfe_u32 v13, v59, 16, 7
	v_mov_b32_e32 v22, 0
	s_mov_b32 s17, exec_lo
	v_cmpx_ne_u32_e32 0x7f, v13
	s_cbranch_execz .LBB197_598
; %bb.595:                              ;   in Loop: Header=BB197_542 Depth=1
	v_and_b32_sdwa v5, v59, v49 dst_sel:DWORD dst_unused:UNUSED_PAD src0_sel:WORD_1 src1_sel:DWORD
	v_lshrrev_b32_e32 v11, 3, v13
	s_mov_b32 s18, exec_lo
	v_cmpx_gt_u32_e32 8, v13
; %bb.596:                              ;   in Loop: Header=BB197_542 Depth=1
	v_ffbh_u32_e32 v11, v5
	v_min_u32_e32 v11, 32, v11
	v_subrev_nc_u32_e32 v13, 28, v11
	v_sub_nc_u32_e32 v11, 29, v11
	v_lshlrev_b64 v[21:22], v13, v[5:6]
	v_and_b32_e32 v5, 7, v21
; %bb.597:                              ;   in Loop: Header=BB197_542 Depth=1
	s_or_b32 exec_lo, exec_lo, s18
	v_lshlrev_b32_sdwa v13, v50, v59 dst_sel:DWORD dst_unused:UNUSED_PAD src0_sel:DWORD src1_sel:WORD_1
	v_lshlrev_b32_e32 v5, 20, v5
	v_lshl_add_u32 v11, v11, 23, 0x3c000000
	v_and_b32_e32 v13, 0x80000000, v13
	v_or3_b32 v5, v5, v13, v11
	v_mov_b32_e32 v22, v6
	v_mov_b32_e32 v21, v5
.LBB197_598:                            ;   in Loop: Header=BB197_542 Depth=1
	s_or_b32 exec_lo, exec_lo, s17
.LBB197_599:                            ;   in Loop: Header=BB197_542 Depth=1
	s_or_b32 exec_lo, exec_lo, s16
.LBB197_600:                            ;   in Loop: Header=BB197_542 Depth=1
	s_or_b32 exec_lo, exec_lo, s15
	s_mov_b32 s15, exec_lo
	v_cmpx_lt_u32_e32 0xffffff, v59
	s_cbranch_execz .LBB197_608
; %bb.601:                              ;   in Loop: Header=BB197_542 Depth=1
	v_mov_b32_e32 v11, v6
	v_mov_b32_e32 v24, v12
	v_cmp_ne_u32_sdwa s1, v59, v46 src0_sel:BYTE_3 src1_sel:DWORD
	v_mov_b32_e32 v23, v11
	s_and_saveexec_b32 s16, s1
	s_cbranch_execz .LBB197_607
; %bb.602:                              ;   in Loop: Header=BB197_542 Depth=1
	v_mov_b32_e32 v13, v6
	v_mov_b32_e32 v24, v14
	v_bfe_u32 v60, v59, 24, 7
	s_mov_b32 s17, exec_lo
	v_mov_b32_e32 v23, v13
	v_cmpx_ne_u32_e32 0x7f, v60
	s_cbranch_execz .LBB197_606
; %bb.603:                              ;   in Loop: Header=BB197_542 Depth=1
	v_and_b32_sdwa v5, v59, v49 dst_sel:DWORD dst_unused:UNUSED_PAD src0_sel:BYTE_3 src1_sel:DWORD
	v_lshrrev_b32_e32 v11, 3, v60
	s_mov_b32 s18, exec_lo
	v_cmpx_gt_u32_e32 8, v60
; %bb.604:                              ;   in Loop: Header=BB197_542 Depth=1
	v_ffbh_u32_e32 v11, v5
	v_min_u32_e32 v11, 32, v11
	v_subrev_nc_u32_e32 v13, 28, v11
	v_sub_nc_u32_e32 v11, 29, v11
	v_lshlrev_b64 v[23:24], v13, v[5:6]
	v_and_b32_e32 v5, 7, v23
; %bb.605:                              ;   in Loop: Header=BB197_542 Depth=1
	s_or_b32 exec_lo, exec_lo, s18
	v_lshlrev_b32_sdwa v13, v50, v59 dst_sel:DWORD dst_unused:UNUSED_PAD src0_sel:DWORD src1_sel:BYTE_3
	v_lshlrev_b32_e32 v5, 20, v5
	v_lshl_add_u32 v11, v11, 23, 0x3c000000
	v_mov_b32_e32 v23, v6
	v_and_b32_e32 v13, 0x80000000, v13
	v_or3_b32 v24, v5, v13, v11
.LBB197_606:                            ;   in Loop: Header=BB197_542 Depth=1
	s_or_b32 exec_lo, exec_lo, s17
.LBB197_607:                            ;   in Loop: Header=BB197_542 Depth=1
	s_or_b32 exec_lo, exec_lo, s16
.LBB197_608:                            ;   in Loop: Header=BB197_542 Depth=1
	s_or_b32 exec_lo, exec_lo, s15
	v_or_b32_e32 v5, v20, v18
	v_or_b32_e32 v11, v19, v17
	;; [unrolled: 1-line block ×4, first 2 shown]
	v_mul_f32_e32 v61, s14, v5
	v_mul_f32_e32 v62, s3, v11
	;; [unrolled: 1-line block ×4, first 2 shown]
	s_and_saveexec_b32 s15, vcc_lo
	s_cbranch_execz .LBB197_610
; %bb.609:                              ;   in Loop: Header=BB197_542 Depth=1
	v_cmp_gt_i32_e64 s1, s11, v56
	v_cndmask_b32_e64 v62, 0, v62, s1
	v_cmp_gt_i32_e64 s1, s11, v58
	v_cndmask_b32_e64 v61, 0, v61, s1
	;; [unrolled: 2-line block ×4, first 2 shown]
.LBB197_610:                            ;   in Loop: Header=BB197_542 Depth=1
	s_or_b32 exec_lo, exec_lo, s15
	global_load_dword v63, v[15:16], off offset:256
	v_mov_b32_e32 v19, 0
	v_mov_b32_e32 v17, 0
	;; [unrolled: 1-line block ×4, first 2 shown]
	s_waitcnt vmcnt(0)
	v_cmp_ne_u16_sdwa s1, v63, v6 src0_sel:BYTE_0 src1_sel:DWORD
	s_and_saveexec_b32 s15, s1
	s_cbranch_execz .LBB197_618
; %bb.611:                              ;   in Loop: Header=BB197_542 Depth=1
	v_bfrev_b32_e32 v17, 1
	v_mov_b32_e32 v18, 0
	v_cmp_ne_u16_sdwa s1, v63, v46 src0_sel:BYTE_0 src1_sel:DWORD
	s_and_saveexec_b32 s16, s1
	s_cbranch_execz .LBB197_617
; %bb.612:                              ;   in Loop: Header=BB197_542 Depth=1
	v_mov_b32_e32 v17, 0x7f800001
	v_and_b32_e32 v13, 0x7f, v63
	v_mov_b32_e32 v18, 0
	s_mov_b32 s17, exec_lo
	v_cmpx_ne_u32_e32 0x7f, v13
	s_cbranch_execz .LBB197_616
; %bb.613:                              ;   in Loop: Header=BB197_542 Depth=1
	v_and_b32_e32 v5, 7, v63
	v_lshrrev_b32_e32 v11, 3, v13
	s_mov_b32 s18, exec_lo
	v_cmpx_gt_u32_e32 8, v13
; %bb.614:                              ;   in Loop: Header=BB197_542 Depth=1
	v_ffbh_u32_e32 v11, v5
	v_min_u32_e32 v11, 32, v11
	v_subrev_nc_u32_e32 v13, 28, v11
	v_sub_nc_u32_e32 v11, 29, v11
	v_lshlrev_b64 v[17:18], v13, v[5:6]
	v_and_b32_e32 v5, 7, v17
; %bb.615:                              ;   in Loop: Header=BB197_542 Depth=1
	s_or_b32 exec_lo, exec_lo, s18
	v_lshlrev_b32_e32 v13, 24, v63
	v_lshlrev_b32_e32 v5, 20, v5
	v_lshl_add_u32 v11, v11, 23, 0x3c000000
	v_and_b32_e32 v13, 0x80000000, v13
	v_or3_b32 v5, v5, v13, v11
	v_mov_b32_e32 v18, v6
	v_mov_b32_e32 v17, v5
.LBB197_616:                            ;   in Loop: Header=BB197_542 Depth=1
	s_or_b32 exec_lo, exec_lo, s17
.LBB197_617:                            ;   in Loop: Header=BB197_542 Depth=1
	s_or_b32 exec_lo, exec_lo, s16
.LBB197_618:                            ;   in Loop: Header=BB197_542 Depth=1
	s_or_b32 exec_lo, exec_lo, s15
	v_cmp_ne_u16_sdwa s1, v63, v6 src0_sel:BYTE_1 src1_sel:DWORD
	s_and_saveexec_b32 s15, s1
	s_cbranch_execz .LBB197_626
; %bb.619:                              ;   in Loop: Header=BB197_542 Depth=1
	v_mov_b32_e32 v11, v6
	v_mov_b32_e32 v20, v12
	v_cmp_ne_u16_sdwa s1, v63, v46 src0_sel:BYTE_1 src1_sel:DWORD
	v_mov_b32_e32 v19, v11
	s_and_saveexec_b32 s16, s1
	s_cbranch_execz .LBB197_625
; %bb.620:                              ;   in Loop: Header=BB197_542 Depth=1
	v_and_b32_sdwa v5, v47, v63 dst_sel:DWORD dst_unused:UNUSED_PAD src0_sel:DWORD src1_sel:BYTE_1
	v_mov_b32_e32 v13, v6
	v_mov_b32_e32 v20, v14
	s_mov_b32 s17, exec_lo
	v_and_b32_e32 v21, 0x7f, v5
	v_mov_b32_e32 v19, v13
	v_cmpx_ne_u32_e32 0x7f, v21
	s_cbranch_execz .LBB197_624
; %bb.621:                              ;   in Loop: Header=BB197_542 Depth=1
	v_and_b32_e32 v5, 7, v5
	v_lshrrev_b32_e32 v11, 3, v21
	s_mov_b32 s18, exec_lo
	v_cmpx_gt_u32_e32 8, v21
; %bb.622:                              ;   in Loop: Header=BB197_542 Depth=1
	v_ffbh_u32_e32 v11, v5
	v_min_u32_e32 v11, 32, v11
	v_subrev_nc_u32_e32 v13, 28, v11
	v_sub_nc_u32_e32 v11, 29, v11
	v_lshlrev_b64 v[19:20], v13, v[5:6]
	v_and_b32_e32 v5, 7, v19
; %bb.623:                              ;   in Loop: Header=BB197_542 Depth=1
	s_or_b32 exec_lo, exec_lo, s18
	v_lshlrev_b32_e32 v13, 16, v63
	v_lshlrev_b32_e32 v5, 20, v5
	v_lshl_add_u32 v11, v11, 23, 0x3c000000
	v_mov_b32_e32 v19, v6
	v_and_b32_e32 v13, 0x80000000, v13
	v_or3_b32 v20, v5, v13, v11
.LBB197_624:                            ;   in Loop: Header=BB197_542 Depth=1
	s_or_b32 exec_lo, exec_lo, s17
.LBB197_625:                            ;   in Loop: Header=BB197_542 Depth=1
	s_or_b32 exec_lo, exec_lo, s16
.LBB197_626:                            ;   in Loop: Header=BB197_542 Depth=1
	s_or_b32 exec_lo, exec_lo, s15
	v_mov_b32_e32 v23, 0
	v_mov_b32_e32 v21, 0
	v_and_b32_sdwa v5, v63, v48 dst_sel:DWORD dst_unused:UNUSED_PAD src0_sel:WORD_1 src1_sel:DWORD
	v_mov_b32_e32 v24, 0
	v_mov_b32_e32 v22, 0
	s_mov_b32 s15, exec_lo
	v_cmpx_ne_u16_e32 0, v5
	s_cbranch_execz .LBB197_634
; %bb.627:                              ;   in Loop: Header=BB197_542 Depth=1
	v_bfrev_b32_e32 v21, 1
	v_mov_b32_e32 v22, 0
	s_mov_b32 s16, exec_lo
	v_cmpx_ne_u16_e32 0x80, v5
	s_cbranch_execz .LBB197_633
; %bb.628:                              ;   in Loop: Header=BB197_542 Depth=1
	v_mov_b32_e32 v21, 0x7f800001
	v_bfe_u32 v13, v63, 16, 7
	v_mov_b32_e32 v22, 0
	s_mov_b32 s17, exec_lo
	v_cmpx_ne_u32_e32 0x7f, v13
	s_cbranch_execz .LBB197_632
; %bb.629:                              ;   in Loop: Header=BB197_542 Depth=1
	v_and_b32_sdwa v5, v63, v49 dst_sel:DWORD dst_unused:UNUSED_PAD src0_sel:WORD_1 src1_sel:DWORD
	v_lshrrev_b32_e32 v11, 3, v13
	s_mov_b32 s18, exec_lo
	v_cmpx_gt_u32_e32 8, v13
; %bb.630:                              ;   in Loop: Header=BB197_542 Depth=1
	v_ffbh_u32_e32 v11, v5
	v_min_u32_e32 v11, 32, v11
	v_subrev_nc_u32_e32 v13, 28, v11
	v_sub_nc_u32_e32 v11, 29, v11
	v_lshlrev_b64 v[21:22], v13, v[5:6]
	v_and_b32_e32 v5, 7, v21
; %bb.631:                              ;   in Loop: Header=BB197_542 Depth=1
	s_or_b32 exec_lo, exec_lo, s18
	v_lshlrev_b32_sdwa v13, v50, v63 dst_sel:DWORD dst_unused:UNUSED_PAD src0_sel:DWORD src1_sel:WORD_1
	v_lshlrev_b32_e32 v5, 20, v5
	v_lshl_add_u32 v11, v11, 23, 0x3c000000
	v_and_b32_e32 v13, 0x80000000, v13
	v_or3_b32 v5, v5, v13, v11
	v_mov_b32_e32 v22, v6
	v_mov_b32_e32 v21, v5
.LBB197_632:                            ;   in Loop: Header=BB197_542 Depth=1
	s_or_b32 exec_lo, exec_lo, s17
.LBB197_633:                            ;   in Loop: Header=BB197_542 Depth=1
	s_or_b32 exec_lo, exec_lo, s16
.LBB197_634:                            ;   in Loop: Header=BB197_542 Depth=1
	s_or_b32 exec_lo, exec_lo, s15
	s_mov_b32 s15, exec_lo
	v_cmpx_lt_u32_e32 0xffffff, v63
	s_cbranch_execz .LBB197_642
; %bb.635:                              ;   in Loop: Header=BB197_542 Depth=1
	v_mov_b32_e32 v11, v6
	v_mov_b32_e32 v24, v12
	v_cmp_ne_u32_sdwa s1, v63, v46 src0_sel:BYTE_3 src1_sel:DWORD
	v_mov_b32_e32 v23, v11
	s_and_saveexec_b32 s16, s1
	s_cbranch_execz .LBB197_641
; %bb.636:                              ;   in Loop: Header=BB197_542 Depth=1
	v_mov_b32_e32 v13, v6
	v_mov_b32_e32 v24, v14
	v_bfe_u32 v64, v63, 24, 7
	s_mov_b32 s17, exec_lo
	v_mov_b32_e32 v23, v13
	v_cmpx_ne_u32_e32 0x7f, v64
	s_cbranch_execz .LBB197_640
; %bb.637:                              ;   in Loop: Header=BB197_542 Depth=1
	v_and_b32_sdwa v5, v63, v49 dst_sel:DWORD dst_unused:UNUSED_PAD src0_sel:BYTE_3 src1_sel:DWORD
	v_lshrrev_b32_e32 v11, 3, v64
	s_mov_b32 s18, exec_lo
	v_cmpx_gt_u32_e32 8, v64
; %bb.638:                              ;   in Loop: Header=BB197_542 Depth=1
	v_ffbh_u32_e32 v11, v5
	v_min_u32_e32 v11, 32, v11
	v_subrev_nc_u32_e32 v13, 28, v11
	v_sub_nc_u32_e32 v11, 29, v11
	v_lshlrev_b64 v[23:24], v13, v[5:6]
	v_and_b32_e32 v5, 7, v23
; %bb.639:                              ;   in Loop: Header=BB197_542 Depth=1
	s_or_b32 exec_lo, exec_lo, s18
	v_lshlrev_b32_sdwa v13, v50, v63 dst_sel:DWORD dst_unused:UNUSED_PAD src0_sel:DWORD src1_sel:BYTE_3
	v_lshlrev_b32_e32 v5, 20, v5
	v_lshl_add_u32 v11, v11, 23, 0x3c000000
	v_mov_b32_e32 v23, v6
	v_and_b32_e32 v13, 0x80000000, v13
	v_or3_b32 v24, v5, v13, v11
.LBB197_640:                            ;   in Loop: Header=BB197_542 Depth=1
	s_or_b32 exec_lo, exec_lo, s17
.LBB197_641:                            ;   in Loop: Header=BB197_542 Depth=1
	s_or_b32 exec_lo, exec_lo, s16
.LBB197_642:                            ;   in Loop: Header=BB197_542 Depth=1
	s_or_b32 exec_lo, exec_lo, s15
	v_or_b32_e32 v5, v20, v18
	v_or_b32_e32 v11, v19, v17
	;; [unrolled: 1-line block ×4, first 2 shown]
	v_mul_f32_e32 v65, s14, v5
	v_mul_f32_e32 v66, s3, v11
	;; [unrolled: 1-line block ×4, first 2 shown]
	s_and_saveexec_b32 s15, vcc_lo
	s_cbranch_execz .LBB197_644
; %bb.643:                              ;   in Loop: Header=BB197_542 Depth=1
	v_cmp_gt_i32_e64 s1, s11, v56
	v_cndmask_b32_e64 v66, 0, v66, s1
	v_cmp_gt_i32_e64 s1, s11, v58
	v_cndmask_b32_e64 v65, 0, v65, s1
	v_cmp_gt_i32_e64 s1, s11, v57
	v_cndmask_b32_e64 v64, 0, v64, s1
	v_cmp_gt_i32_e64 s1, s11, v44
	v_cndmask_b32_e64 v63, 0, v63, s1
.LBB197_644:                            ;   in Loop: Header=BB197_542 Depth=1
	s_or_b32 exec_lo, exec_lo, s15
	global_load_dword v67, v[15:16], off offset:384
	v_mov_b32_e32 v19, 0
	v_mov_b32_e32 v17, 0
	;; [unrolled: 1-line block ×4, first 2 shown]
	s_waitcnt vmcnt(0)
	v_cmp_ne_u16_sdwa s1, v67, v6 src0_sel:BYTE_0 src1_sel:DWORD
	s_and_saveexec_b32 s15, s1
	s_cbranch_execz .LBB197_652
; %bb.645:                              ;   in Loop: Header=BB197_542 Depth=1
	v_bfrev_b32_e32 v17, 1
	v_mov_b32_e32 v18, 0
	v_cmp_ne_u16_sdwa s1, v67, v46 src0_sel:BYTE_0 src1_sel:DWORD
	s_and_saveexec_b32 s16, s1
	s_cbranch_execz .LBB197_651
; %bb.646:                              ;   in Loop: Header=BB197_542 Depth=1
	v_mov_b32_e32 v17, 0x7f800001
	v_and_b32_e32 v13, 0x7f, v67
	v_mov_b32_e32 v18, 0
	s_mov_b32 s17, exec_lo
	v_cmpx_ne_u32_e32 0x7f, v13
	s_cbranch_execz .LBB197_650
; %bb.647:                              ;   in Loop: Header=BB197_542 Depth=1
	v_and_b32_e32 v5, 7, v67
	v_lshrrev_b32_e32 v11, 3, v13
	s_mov_b32 s18, exec_lo
	v_cmpx_gt_u32_e32 8, v13
; %bb.648:                              ;   in Loop: Header=BB197_542 Depth=1
	v_ffbh_u32_e32 v11, v5
	v_min_u32_e32 v11, 32, v11
	v_subrev_nc_u32_e32 v13, 28, v11
	v_sub_nc_u32_e32 v11, 29, v11
	v_lshlrev_b64 v[17:18], v13, v[5:6]
	v_and_b32_e32 v5, 7, v17
; %bb.649:                              ;   in Loop: Header=BB197_542 Depth=1
	s_or_b32 exec_lo, exec_lo, s18
	v_lshlrev_b32_e32 v13, 24, v67
	v_lshlrev_b32_e32 v5, 20, v5
	v_lshl_add_u32 v11, v11, 23, 0x3c000000
	v_and_b32_e32 v13, 0x80000000, v13
	v_or3_b32 v5, v5, v13, v11
	v_mov_b32_e32 v18, v6
	v_mov_b32_e32 v17, v5
.LBB197_650:                            ;   in Loop: Header=BB197_542 Depth=1
	s_or_b32 exec_lo, exec_lo, s17
.LBB197_651:                            ;   in Loop: Header=BB197_542 Depth=1
	s_or_b32 exec_lo, exec_lo, s16
.LBB197_652:                            ;   in Loop: Header=BB197_542 Depth=1
	s_or_b32 exec_lo, exec_lo, s15
	v_cmp_ne_u16_sdwa s1, v67, v6 src0_sel:BYTE_1 src1_sel:DWORD
	s_and_saveexec_b32 s15, s1
	s_cbranch_execz .LBB197_660
; %bb.653:                              ;   in Loop: Header=BB197_542 Depth=1
	v_mov_b32_e32 v11, v6
	v_mov_b32_e32 v20, v12
	v_cmp_ne_u16_sdwa s1, v67, v46 src0_sel:BYTE_1 src1_sel:DWORD
	v_mov_b32_e32 v19, v11
	s_and_saveexec_b32 s16, s1
	s_cbranch_execz .LBB197_659
; %bb.654:                              ;   in Loop: Header=BB197_542 Depth=1
	v_and_b32_sdwa v5, v47, v67 dst_sel:DWORD dst_unused:UNUSED_PAD src0_sel:DWORD src1_sel:BYTE_1
	v_mov_b32_e32 v13, v6
	v_mov_b32_e32 v20, v14
	s_mov_b32 s17, exec_lo
	v_and_b32_e32 v21, 0x7f, v5
	v_mov_b32_e32 v19, v13
	v_cmpx_ne_u32_e32 0x7f, v21
	s_cbranch_execz .LBB197_658
; %bb.655:                              ;   in Loop: Header=BB197_542 Depth=1
	v_and_b32_e32 v5, 7, v5
	v_lshrrev_b32_e32 v11, 3, v21
	s_mov_b32 s18, exec_lo
	v_cmpx_gt_u32_e32 8, v21
; %bb.656:                              ;   in Loop: Header=BB197_542 Depth=1
	v_ffbh_u32_e32 v11, v5
	v_min_u32_e32 v11, 32, v11
	v_subrev_nc_u32_e32 v13, 28, v11
	v_sub_nc_u32_e32 v11, 29, v11
	v_lshlrev_b64 v[19:20], v13, v[5:6]
	v_and_b32_e32 v5, 7, v19
; %bb.657:                              ;   in Loop: Header=BB197_542 Depth=1
	s_or_b32 exec_lo, exec_lo, s18
	v_lshlrev_b32_e32 v13, 16, v67
	v_lshlrev_b32_e32 v5, 20, v5
	v_lshl_add_u32 v11, v11, 23, 0x3c000000
	v_mov_b32_e32 v19, v6
	v_and_b32_e32 v13, 0x80000000, v13
	v_or3_b32 v20, v5, v13, v11
.LBB197_658:                            ;   in Loop: Header=BB197_542 Depth=1
	s_or_b32 exec_lo, exec_lo, s17
.LBB197_659:                            ;   in Loop: Header=BB197_542 Depth=1
	s_or_b32 exec_lo, exec_lo, s16
.LBB197_660:                            ;   in Loop: Header=BB197_542 Depth=1
	s_or_b32 exec_lo, exec_lo, s15
	v_mov_b32_e32 v23, 0
	v_mov_b32_e32 v21, 0
	v_and_b32_sdwa v5, v67, v48 dst_sel:DWORD dst_unused:UNUSED_PAD src0_sel:WORD_1 src1_sel:DWORD
	v_mov_b32_e32 v24, 0
	v_mov_b32_e32 v22, 0
	s_mov_b32 s15, exec_lo
	v_cmpx_ne_u16_e32 0, v5
	s_cbranch_execz .LBB197_668
; %bb.661:                              ;   in Loop: Header=BB197_542 Depth=1
	v_bfrev_b32_e32 v21, 1
	v_mov_b32_e32 v22, 0
	s_mov_b32 s16, exec_lo
	v_cmpx_ne_u16_e32 0x80, v5
	s_cbranch_execz .LBB197_667
; %bb.662:                              ;   in Loop: Header=BB197_542 Depth=1
	v_mov_b32_e32 v21, 0x7f800001
	v_bfe_u32 v13, v67, 16, 7
	v_mov_b32_e32 v22, 0
	s_mov_b32 s17, exec_lo
	v_cmpx_ne_u32_e32 0x7f, v13
	s_cbranch_execz .LBB197_666
; %bb.663:                              ;   in Loop: Header=BB197_542 Depth=1
	v_and_b32_sdwa v5, v67, v49 dst_sel:DWORD dst_unused:UNUSED_PAD src0_sel:WORD_1 src1_sel:DWORD
	v_lshrrev_b32_e32 v11, 3, v13
	s_mov_b32 s18, exec_lo
	v_cmpx_gt_u32_e32 8, v13
; %bb.664:                              ;   in Loop: Header=BB197_542 Depth=1
	v_ffbh_u32_e32 v11, v5
	v_min_u32_e32 v11, 32, v11
	v_subrev_nc_u32_e32 v13, 28, v11
	v_sub_nc_u32_e32 v11, 29, v11
	v_lshlrev_b64 v[21:22], v13, v[5:6]
	v_and_b32_e32 v5, 7, v21
; %bb.665:                              ;   in Loop: Header=BB197_542 Depth=1
	s_or_b32 exec_lo, exec_lo, s18
	v_lshlrev_b32_sdwa v13, v50, v67 dst_sel:DWORD dst_unused:UNUSED_PAD src0_sel:DWORD src1_sel:WORD_1
	v_lshlrev_b32_e32 v5, 20, v5
	v_lshl_add_u32 v11, v11, 23, 0x3c000000
	v_and_b32_e32 v13, 0x80000000, v13
	v_or3_b32 v5, v5, v13, v11
	v_mov_b32_e32 v22, v6
	v_mov_b32_e32 v21, v5
.LBB197_666:                            ;   in Loop: Header=BB197_542 Depth=1
	s_or_b32 exec_lo, exec_lo, s17
.LBB197_667:                            ;   in Loop: Header=BB197_542 Depth=1
	s_or_b32 exec_lo, exec_lo, s16
.LBB197_668:                            ;   in Loop: Header=BB197_542 Depth=1
	s_or_b32 exec_lo, exec_lo, s15
	s_mov_b32 s15, exec_lo
	v_cmpx_lt_u32_e32 0xffffff, v67
	s_cbranch_execz .LBB197_676
; %bb.669:                              ;   in Loop: Header=BB197_542 Depth=1
	v_mov_b32_e32 v11, v6
	v_mov_b32_e32 v24, v12
	v_cmp_ne_u32_sdwa s1, v67, v46 src0_sel:BYTE_3 src1_sel:DWORD
	v_mov_b32_e32 v23, v11
	s_and_saveexec_b32 s16, s1
	s_cbranch_execz .LBB197_675
; %bb.670:                              ;   in Loop: Header=BB197_542 Depth=1
	v_mov_b32_e32 v13, v6
	v_mov_b32_e32 v24, v14
	v_bfe_u32 v68, v67, 24, 7
	s_mov_b32 s17, exec_lo
	v_mov_b32_e32 v23, v13
	v_cmpx_ne_u32_e32 0x7f, v68
	s_cbranch_execz .LBB197_674
; %bb.671:                              ;   in Loop: Header=BB197_542 Depth=1
	v_and_b32_sdwa v5, v67, v49 dst_sel:DWORD dst_unused:UNUSED_PAD src0_sel:BYTE_3 src1_sel:DWORD
	v_lshrrev_b32_e32 v11, 3, v68
	s_mov_b32 s18, exec_lo
	v_cmpx_gt_u32_e32 8, v68
; %bb.672:                              ;   in Loop: Header=BB197_542 Depth=1
	v_ffbh_u32_e32 v11, v5
	v_min_u32_e32 v11, 32, v11
	v_subrev_nc_u32_e32 v13, 28, v11
	v_sub_nc_u32_e32 v11, 29, v11
	v_lshlrev_b64 v[23:24], v13, v[5:6]
	v_and_b32_e32 v5, 7, v23
; %bb.673:                              ;   in Loop: Header=BB197_542 Depth=1
	s_or_b32 exec_lo, exec_lo, s18
	v_lshlrev_b32_sdwa v13, v50, v67 dst_sel:DWORD dst_unused:UNUSED_PAD src0_sel:DWORD src1_sel:BYTE_3
	v_lshlrev_b32_e32 v5, 20, v5
	v_lshl_add_u32 v11, v11, 23, 0x3c000000
	v_mov_b32_e32 v23, v6
	v_and_b32_e32 v13, 0x80000000, v13
	v_or3_b32 v24, v5, v13, v11
.LBB197_674:                            ;   in Loop: Header=BB197_542 Depth=1
	s_or_b32 exec_lo, exec_lo, s17
.LBB197_675:                            ;   in Loop: Header=BB197_542 Depth=1
	s_or_b32 exec_lo, exec_lo, s16
.LBB197_676:                            ;   in Loop: Header=BB197_542 Depth=1
	s_or_b32 exec_lo, exec_lo, s15
	v_or_b32_e32 v5, v20, v18
	v_or_b32_e32 v11, v19, v17
	;; [unrolled: 1-line block ×4, first 2 shown]
	v_mul_f32_e32 v69, s14, v5
	v_mul_f32_e32 v70, s3, v11
	;; [unrolled: 1-line block ×4, first 2 shown]
	s_and_saveexec_b32 s15, vcc_lo
	s_cbranch_execz .LBB197_678
; %bb.677:                              ;   in Loop: Header=BB197_542 Depth=1
	v_cmp_gt_i32_e64 s1, s11, v56
	v_cndmask_b32_e64 v70, 0, v70, s1
	v_cmp_gt_i32_e64 s1, s11, v58
	v_cndmask_b32_e64 v69, 0, v69, s1
	;; [unrolled: 2-line block ×4, first 2 shown]
.LBB197_678:                            ;   in Loop: Header=BB197_542 Depth=1
	s_or_b32 exec_lo, exec_lo, s15
	global_load_dword v71, v[15:16], off offset:512
	v_mov_b32_e32 v19, 0
	v_mov_b32_e32 v17, 0
	;; [unrolled: 1-line block ×4, first 2 shown]
	s_waitcnt vmcnt(0)
	v_cmp_ne_u16_sdwa s1, v71, v6 src0_sel:BYTE_0 src1_sel:DWORD
	s_and_saveexec_b32 s15, s1
	s_cbranch_execz .LBB197_686
; %bb.679:                              ;   in Loop: Header=BB197_542 Depth=1
	v_bfrev_b32_e32 v17, 1
	v_mov_b32_e32 v18, 0
	v_cmp_ne_u16_sdwa s1, v71, v46 src0_sel:BYTE_0 src1_sel:DWORD
	s_and_saveexec_b32 s16, s1
	s_cbranch_execz .LBB197_685
; %bb.680:                              ;   in Loop: Header=BB197_542 Depth=1
	v_mov_b32_e32 v17, 0x7f800001
	v_and_b32_e32 v13, 0x7f, v71
	v_mov_b32_e32 v18, 0
	s_mov_b32 s17, exec_lo
	v_cmpx_ne_u32_e32 0x7f, v13
	s_cbranch_execz .LBB197_684
; %bb.681:                              ;   in Loop: Header=BB197_542 Depth=1
	v_and_b32_e32 v5, 7, v71
	v_lshrrev_b32_e32 v11, 3, v13
	s_mov_b32 s18, exec_lo
	v_cmpx_gt_u32_e32 8, v13
; %bb.682:                              ;   in Loop: Header=BB197_542 Depth=1
	v_ffbh_u32_e32 v11, v5
	v_min_u32_e32 v11, 32, v11
	v_subrev_nc_u32_e32 v13, 28, v11
	v_sub_nc_u32_e32 v11, 29, v11
	v_lshlrev_b64 v[17:18], v13, v[5:6]
	v_and_b32_e32 v5, 7, v17
; %bb.683:                              ;   in Loop: Header=BB197_542 Depth=1
	s_or_b32 exec_lo, exec_lo, s18
	v_lshlrev_b32_e32 v13, 24, v71
	v_lshlrev_b32_e32 v5, 20, v5
	v_lshl_add_u32 v11, v11, 23, 0x3c000000
	v_and_b32_e32 v13, 0x80000000, v13
	v_or3_b32 v5, v5, v13, v11
	v_mov_b32_e32 v18, v6
	v_mov_b32_e32 v17, v5
.LBB197_684:                            ;   in Loop: Header=BB197_542 Depth=1
	s_or_b32 exec_lo, exec_lo, s17
.LBB197_685:                            ;   in Loop: Header=BB197_542 Depth=1
	s_or_b32 exec_lo, exec_lo, s16
.LBB197_686:                            ;   in Loop: Header=BB197_542 Depth=1
	s_or_b32 exec_lo, exec_lo, s15
	v_cmp_ne_u16_sdwa s1, v71, v6 src0_sel:BYTE_1 src1_sel:DWORD
	s_and_saveexec_b32 s15, s1
	s_cbranch_execz .LBB197_694
; %bb.687:                              ;   in Loop: Header=BB197_542 Depth=1
	v_mov_b32_e32 v11, v6
	v_mov_b32_e32 v20, v12
	v_cmp_ne_u16_sdwa s1, v71, v46 src0_sel:BYTE_1 src1_sel:DWORD
	v_mov_b32_e32 v19, v11
	s_and_saveexec_b32 s16, s1
	s_cbranch_execz .LBB197_693
; %bb.688:                              ;   in Loop: Header=BB197_542 Depth=1
	v_and_b32_sdwa v5, v47, v71 dst_sel:DWORD dst_unused:UNUSED_PAD src0_sel:DWORD src1_sel:BYTE_1
	v_mov_b32_e32 v13, v6
	v_mov_b32_e32 v20, v14
	s_mov_b32 s17, exec_lo
	v_and_b32_e32 v21, 0x7f, v5
	v_mov_b32_e32 v19, v13
	v_cmpx_ne_u32_e32 0x7f, v21
	s_cbranch_execz .LBB197_692
; %bb.689:                              ;   in Loop: Header=BB197_542 Depth=1
	v_and_b32_e32 v5, 7, v5
	v_lshrrev_b32_e32 v11, 3, v21
	s_mov_b32 s18, exec_lo
	v_cmpx_gt_u32_e32 8, v21
; %bb.690:                              ;   in Loop: Header=BB197_542 Depth=1
	v_ffbh_u32_e32 v11, v5
	v_min_u32_e32 v11, 32, v11
	v_subrev_nc_u32_e32 v13, 28, v11
	v_sub_nc_u32_e32 v11, 29, v11
	v_lshlrev_b64 v[19:20], v13, v[5:6]
	v_and_b32_e32 v5, 7, v19
; %bb.691:                              ;   in Loop: Header=BB197_542 Depth=1
	s_or_b32 exec_lo, exec_lo, s18
	v_lshlrev_b32_e32 v13, 16, v71
	v_lshlrev_b32_e32 v5, 20, v5
	v_lshl_add_u32 v11, v11, 23, 0x3c000000
	v_mov_b32_e32 v19, v6
	v_and_b32_e32 v13, 0x80000000, v13
	v_or3_b32 v20, v5, v13, v11
.LBB197_692:                            ;   in Loop: Header=BB197_542 Depth=1
	s_or_b32 exec_lo, exec_lo, s17
.LBB197_693:                            ;   in Loop: Header=BB197_542 Depth=1
	s_or_b32 exec_lo, exec_lo, s16
.LBB197_694:                            ;   in Loop: Header=BB197_542 Depth=1
	s_or_b32 exec_lo, exec_lo, s15
	v_mov_b32_e32 v23, 0
	v_mov_b32_e32 v21, 0
	v_and_b32_sdwa v5, v71, v48 dst_sel:DWORD dst_unused:UNUSED_PAD src0_sel:WORD_1 src1_sel:DWORD
	v_mov_b32_e32 v24, 0
	v_mov_b32_e32 v22, 0
	s_mov_b32 s15, exec_lo
	v_cmpx_ne_u16_e32 0, v5
	s_cbranch_execz .LBB197_702
; %bb.695:                              ;   in Loop: Header=BB197_542 Depth=1
	v_bfrev_b32_e32 v21, 1
	v_mov_b32_e32 v22, 0
	s_mov_b32 s16, exec_lo
	v_cmpx_ne_u16_e32 0x80, v5
	s_cbranch_execz .LBB197_701
; %bb.696:                              ;   in Loop: Header=BB197_542 Depth=1
	v_mov_b32_e32 v21, 0x7f800001
	v_bfe_u32 v13, v71, 16, 7
	v_mov_b32_e32 v22, 0
	s_mov_b32 s17, exec_lo
	v_cmpx_ne_u32_e32 0x7f, v13
	s_cbranch_execz .LBB197_700
; %bb.697:                              ;   in Loop: Header=BB197_542 Depth=1
	v_and_b32_sdwa v5, v71, v49 dst_sel:DWORD dst_unused:UNUSED_PAD src0_sel:WORD_1 src1_sel:DWORD
	v_lshrrev_b32_e32 v11, 3, v13
	s_mov_b32 s18, exec_lo
	v_cmpx_gt_u32_e32 8, v13
; %bb.698:                              ;   in Loop: Header=BB197_542 Depth=1
	v_ffbh_u32_e32 v11, v5
	v_min_u32_e32 v11, 32, v11
	v_subrev_nc_u32_e32 v13, 28, v11
	v_sub_nc_u32_e32 v11, 29, v11
	v_lshlrev_b64 v[21:22], v13, v[5:6]
	v_and_b32_e32 v5, 7, v21
; %bb.699:                              ;   in Loop: Header=BB197_542 Depth=1
	s_or_b32 exec_lo, exec_lo, s18
	v_lshlrev_b32_sdwa v13, v50, v71 dst_sel:DWORD dst_unused:UNUSED_PAD src0_sel:DWORD src1_sel:WORD_1
	v_lshlrev_b32_e32 v5, 20, v5
	v_lshl_add_u32 v11, v11, 23, 0x3c000000
	v_and_b32_e32 v13, 0x80000000, v13
	v_or3_b32 v5, v5, v13, v11
	v_mov_b32_e32 v22, v6
	v_mov_b32_e32 v21, v5
.LBB197_700:                            ;   in Loop: Header=BB197_542 Depth=1
	s_or_b32 exec_lo, exec_lo, s17
.LBB197_701:                            ;   in Loop: Header=BB197_542 Depth=1
	s_or_b32 exec_lo, exec_lo, s16
.LBB197_702:                            ;   in Loop: Header=BB197_542 Depth=1
	s_or_b32 exec_lo, exec_lo, s15
	s_mov_b32 s15, exec_lo
	v_cmpx_lt_u32_e32 0xffffff, v71
	s_cbranch_execz .LBB197_710
; %bb.703:                              ;   in Loop: Header=BB197_542 Depth=1
	v_mov_b32_e32 v11, v6
	v_mov_b32_e32 v24, v12
	v_cmp_ne_u32_sdwa s1, v71, v46 src0_sel:BYTE_3 src1_sel:DWORD
	v_mov_b32_e32 v23, v11
	s_and_saveexec_b32 s16, s1
	s_cbranch_execz .LBB197_709
; %bb.704:                              ;   in Loop: Header=BB197_542 Depth=1
	v_mov_b32_e32 v13, v6
	v_mov_b32_e32 v24, v14
	v_bfe_u32 v72, v71, 24, 7
	s_mov_b32 s17, exec_lo
	v_mov_b32_e32 v23, v13
	v_cmpx_ne_u32_e32 0x7f, v72
	s_cbranch_execz .LBB197_708
; %bb.705:                              ;   in Loop: Header=BB197_542 Depth=1
	v_and_b32_sdwa v5, v71, v49 dst_sel:DWORD dst_unused:UNUSED_PAD src0_sel:BYTE_3 src1_sel:DWORD
	v_lshrrev_b32_e32 v11, 3, v72
	s_mov_b32 s18, exec_lo
	v_cmpx_gt_u32_e32 8, v72
; %bb.706:                              ;   in Loop: Header=BB197_542 Depth=1
	v_ffbh_u32_e32 v11, v5
	v_min_u32_e32 v11, 32, v11
	v_subrev_nc_u32_e32 v13, 28, v11
	v_sub_nc_u32_e32 v11, 29, v11
	v_lshlrev_b64 v[23:24], v13, v[5:6]
	v_and_b32_e32 v5, 7, v23
; %bb.707:                              ;   in Loop: Header=BB197_542 Depth=1
	s_or_b32 exec_lo, exec_lo, s18
	v_lshlrev_b32_sdwa v13, v50, v71 dst_sel:DWORD dst_unused:UNUSED_PAD src0_sel:DWORD src1_sel:BYTE_3
	v_lshlrev_b32_e32 v5, 20, v5
	v_lshl_add_u32 v11, v11, 23, 0x3c000000
	v_mov_b32_e32 v23, v6
	v_and_b32_e32 v13, 0x80000000, v13
	v_or3_b32 v24, v5, v13, v11
.LBB197_708:                            ;   in Loop: Header=BB197_542 Depth=1
	s_or_b32 exec_lo, exec_lo, s17
.LBB197_709:                            ;   in Loop: Header=BB197_542 Depth=1
	s_or_b32 exec_lo, exec_lo, s16
.LBB197_710:                            ;   in Loop: Header=BB197_542 Depth=1
	s_or_b32 exec_lo, exec_lo, s15
	v_or_b32_e32 v5, v20, v18
	v_or_b32_e32 v11, v19, v17
	;; [unrolled: 1-line block ×4, first 2 shown]
	v_mul_f32_e32 v73, s14, v5
	v_mul_f32_e32 v74, s3, v11
	;; [unrolled: 1-line block ×4, first 2 shown]
	s_and_saveexec_b32 s15, vcc_lo
	s_cbranch_execz .LBB197_712
; %bb.711:                              ;   in Loop: Header=BB197_542 Depth=1
	v_cmp_gt_i32_e64 s1, s11, v56
	v_cndmask_b32_e64 v74, 0, v74, s1
	v_cmp_gt_i32_e64 s1, s11, v58
	v_cndmask_b32_e64 v73, 0, v73, s1
	;; [unrolled: 2-line block ×4, first 2 shown]
.LBB197_712:                            ;   in Loop: Header=BB197_542 Depth=1
	s_or_b32 exec_lo, exec_lo, s15
	global_load_dword v75, v[15:16], off offset:640
	v_mov_b32_e32 v19, 0
	v_mov_b32_e32 v17, 0
	;; [unrolled: 1-line block ×4, first 2 shown]
	s_waitcnt vmcnt(0)
	v_cmp_ne_u16_sdwa s1, v75, v6 src0_sel:BYTE_0 src1_sel:DWORD
	s_and_saveexec_b32 s15, s1
	s_cbranch_execz .LBB197_720
; %bb.713:                              ;   in Loop: Header=BB197_542 Depth=1
	v_bfrev_b32_e32 v17, 1
	v_mov_b32_e32 v18, 0
	v_cmp_ne_u16_sdwa s1, v75, v46 src0_sel:BYTE_0 src1_sel:DWORD
	s_and_saveexec_b32 s16, s1
	s_cbranch_execz .LBB197_719
; %bb.714:                              ;   in Loop: Header=BB197_542 Depth=1
	v_mov_b32_e32 v17, 0x7f800001
	v_and_b32_e32 v13, 0x7f, v75
	v_mov_b32_e32 v18, 0
	s_mov_b32 s17, exec_lo
	v_cmpx_ne_u32_e32 0x7f, v13
	s_cbranch_execz .LBB197_718
; %bb.715:                              ;   in Loop: Header=BB197_542 Depth=1
	v_and_b32_e32 v5, 7, v75
	v_lshrrev_b32_e32 v11, 3, v13
	s_mov_b32 s18, exec_lo
	v_cmpx_gt_u32_e32 8, v13
; %bb.716:                              ;   in Loop: Header=BB197_542 Depth=1
	v_ffbh_u32_e32 v11, v5
	v_min_u32_e32 v11, 32, v11
	v_subrev_nc_u32_e32 v13, 28, v11
	v_sub_nc_u32_e32 v11, 29, v11
	v_lshlrev_b64 v[17:18], v13, v[5:6]
	v_and_b32_e32 v5, 7, v17
; %bb.717:                              ;   in Loop: Header=BB197_542 Depth=1
	s_or_b32 exec_lo, exec_lo, s18
	v_lshlrev_b32_e32 v13, 24, v75
	v_lshlrev_b32_e32 v5, 20, v5
	v_lshl_add_u32 v11, v11, 23, 0x3c000000
	v_and_b32_e32 v13, 0x80000000, v13
	v_or3_b32 v5, v5, v13, v11
	v_mov_b32_e32 v18, v6
	v_mov_b32_e32 v17, v5
.LBB197_718:                            ;   in Loop: Header=BB197_542 Depth=1
	s_or_b32 exec_lo, exec_lo, s17
.LBB197_719:                            ;   in Loop: Header=BB197_542 Depth=1
	s_or_b32 exec_lo, exec_lo, s16
.LBB197_720:                            ;   in Loop: Header=BB197_542 Depth=1
	s_or_b32 exec_lo, exec_lo, s15
	v_cmp_ne_u16_sdwa s1, v75, v6 src0_sel:BYTE_1 src1_sel:DWORD
	s_and_saveexec_b32 s15, s1
	s_cbranch_execz .LBB197_728
; %bb.721:                              ;   in Loop: Header=BB197_542 Depth=1
	v_mov_b32_e32 v11, v6
	v_mov_b32_e32 v20, v12
	v_cmp_ne_u16_sdwa s1, v75, v46 src0_sel:BYTE_1 src1_sel:DWORD
	v_mov_b32_e32 v19, v11
	s_and_saveexec_b32 s16, s1
	s_cbranch_execz .LBB197_727
; %bb.722:                              ;   in Loop: Header=BB197_542 Depth=1
	v_and_b32_sdwa v5, v47, v75 dst_sel:DWORD dst_unused:UNUSED_PAD src0_sel:DWORD src1_sel:BYTE_1
	v_mov_b32_e32 v13, v6
	v_mov_b32_e32 v20, v14
	s_mov_b32 s17, exec_lo
	v_and_b32_e32 v21, 0x7f, v5
	v_mov_b32_e32 v19, v13
	v_cmpx_ne_u32_e32 0x7f, v21
	s_cbranch_execz .LBB197_726
; %bb.723:                              ;   in Loop: Header=BB197_542 Depth=1
	v_and_b32_e32 v5, 7, v5
	v_lshrrev_b32_e32 v11, 3, v21
	s_mov_b32 s18, exec_lo
	v_cmpx_gt_u32_e32 8, v21
; %bb.724:                              ;   in Loop: Header=BB197_542 Depth=1
	v_ffbh_u32_e32 v11, v5
	v_min_u32_e32 v11, 32, v11
	v_subrev_nc_u32_e32 v13, 28, v11
	v_sub_nc_u32_e32 v11, 29, v11
	v_lshlrev_b64 v[19:20], v13, v[5:6]
	v_and_b32_e32 v5, 7, v19
; %bb.725:                              ;   in Loop: Header=BB197_542 Depth=1
	s_or_b32 exec_lo, exec_lo, s18
	v_lshlrev_b32_e32 v13, 16, v75
	v_lshlrev_b32_e32 v5, 20, v5
	v_lshl_add_u32 v11, v11, 23, 0x3c000000
	v_mov_b32_e32 v19, v6
	v_and_b32_e32 v13, 0x80000000, v13
	v_or3_b32 v20, v5, v13, v11
.LBB197_726:                            ;   in Loop: Header=BB197_542 Depth=1
	s_or_b32 exec_lo, exec_lo, s17
.LBB197_727:                            ;   in Loop: Header=BB197_542 Depth=1
	s_or_b32 exec_lo, exec_lo, s16
.LBB197_728:                            ;   in Loop: Header=BB197_542 Depth=1
	s_or_b32 exec_lo, exec_lo, s15
	v_mov_b32_e32 v23, 0
	v_mov_b32_e32 v21, 0
	v_and_b32_sdwa v5, v75, v48 dst_sel:DWORD dst_unused:UNUSED_PAD src0_sel:WORD_1 src1_sel:DWORD
	v_mov_b32_e32 v24, 0
	v_mov_b32_e32 v22, 0
	s_mov_b32 s15, exec_lo
	v_cmpx_ne_u16_e32 0, v5
	s_cbranch_execz .LBB197_736
; %bb.729:                              ;   in Loop: Header=BB197_542 Depth=1
	v_bfrev_b32_e32 v21, 1
	v_mov_b32_e32 v22, 0
	s_mov_b32 s16, exec_lo
	v_cmpx_ne_u16_e32 0x80, v5
	s_cbranch_execz .LBB197_735
; %bb.730:                              ;   in Loop: Header=BB197_542 Depth=1
	v_mov_b32_e32 v21, 0x7f800001
	v_bfe_u32 v13, v75, 16, 7
	v_mov_b32_e32 v22, 0
	s_mov_b32 s17, exec_lo
	v_cmpx_ne_u32_e32 0x7f, v13
	s_cbranch_execz .LBB197_734
; %bb.731:                              ;   in Loop: Header=BB197_542 Depth=1
	v_and_b32_sdwa v5, v75, v49 dst_sel:DWORD dst_unused:UNUSED_PAD src0_sel:WORD_1 src1_sel:DWORD
	v_lshrrev_b32_e32 v11, 3, v13
	s_mov_b32 s18, exec_lo
	v_cmpx_gt_u32_e32 8, v13
; %bb.732:                              ;   in Loop: Header=BB197_542 Depth=1
	v_ffbh_u32_e32 v11, v5
	v_min_u32_e32 v11, 32, v11
	v_subrev_nc_u32_e32 v13, 28, v11
	v_sub_nc_u32_e32 v11, 29, v11
	v_lshlrev_b64 v[21:22], v13, v[5:6]
	v_and_b32_e32 v5, 7, v21
; %bb.733:                              ;   in Loop: Header=BB197_542 Depth=1
	s_or_b32 exec_lo, exec_lo, s18
	v_lshlrev_b32_sdwa v13, v50, v75 dst_sel:DWORD dst_unused:UNUSED_PAD src0_sel:DWORD src1_sel:WORD_1
	v_lshlrev_b32_e32 v5, 20, v5
	v_lshl_add_u32 v11, v11, 23, 0x3c000000
	v_and_b32_e32 v13, 0x80000000, v13
	v_or3_b32 v5, v5, v13, v11
	v_mov_b32_e32 v22, v6
	v_mov_b32_e32 v21, v5
.LBB197_734:                            ;   in Loop: Header=BB197_542 Depth=1
	s_or_b32 exec_lo, exec_lo, s17
.LBB197_735:                            ;   in Loop: Header=BB197_542 Depth=1
	s_or_b32 exec_lo, exec_lo, s16
.LBB197_736:                            ;   in Loop: Header=BB197_542 Depth=1
	s_or_b32 exec_lo, exec_lo, s15
	s_mov_b32 s15, exec_lo
	v_cmpx_lt_u32_e32 0xffffff, v75
	s_cbranch_execz .LBB197_744
; %bb.737:                              ;   in Loop: Header=BB197_542 Depth=1
	v_mov_b32_e32 v11, v6
	v_mov_b32_e32 v24, v12
	v_cmp_ne_u32_sdwa s1, v75, v46 src0_sel:BYTE_3 src1_sel:DWORD
	v_mov_b32_e32 v23, v11
	s_and_saveexec_b32 s16, s1
	s_cbranch_execz .LBB197_743
; %bb.738:                              ;   in Loop: Header=BB197_542 Depth=1
	v_mov_b32_e32 v13, v6
	v_mov_b32_e32 v24, v14
	v_bfe_u32 v76, v75, 24, 7
	s_mov_b32 s17, exec_lo
	v_mov_b32_e32 v23, v13
	v_cmpx_ne_u32_e32 0x7f, v76
	s_cbranch_execz .LBB197_742
; %bb.739:                              ;   in Loop: Header=BB197_542 Depth=1
	v_and_b32_sdwa v5, v75, v49 dst_sel:DWORD dst_unused:UNUSED_PAD src0_sel:BYTE_3 src1_sel:DWORD
	v_lshrrev_b32_e32 v11, 3, v76
	s_mov_b32 s18, exec_lo
	v_cmpx_gt_u32_e32 8, v76
; %bb.740:                              ;   in Loop: Header=BB197_542 Depth=1
	v_ffbh_u32_e32 v11, v5
	v_min_u32_e32 v11, 32, v11
	v_subrev_nc_u32_e32 v13, 28, v11
	v_sub_nc_u32_e32 v11, 29, v11
	v_lshlrev_b64 v[23:24], v13, v[5:6]
	v_and_b32_e32 v5, 7, v23
; %bb.741:                              ;   in Loop: Header=BB197_542 Depth=1
	s_or_b32 exec_lo, exec_lo, s18
	v_lshlrev_b32_sdwa v13, v50, v75 dst_sel:DWORD dst_unused:UNUSED_PAD src0_sel:DWORD src1_sel:BYTE_3
	v_lshlrev_b32_e32 v5, 20, v5
	v_lshl_add_u32 v11, v11, 23, 0x3c000000
	v_mov_b32_e32 v23, v6
	v_and_b32_e32 v13, 0x80000000, v13
	v_or3_b32 v24, v5, v13, v11
.LBB197_742:                            ;   in Loop: Header=BB197_542 Depth=1
	s_or_b32 exec_lo, exec_lo, s17
.LBB197_743:                            ;   in Loop: Header=BB197_542 Depth=1
	s_or_b32 exec_lo, exec_lo, s16
.LBB197_744:                            ;   in Loop: Header=BB197_542 Depth=1
	s_or_b32 exec_lo, exec_lo, s15
	v_or_b32_e32 v5, v20, v18
	v_or_b32_e32 v11, v19, v17
	;; [unrolled: 1-line block ×4, first 2 shown]
	v_mul_f32_e32 v77, s14, v5
	v_mul_f32_e32 v78, s3, v11
	;; [unrolled: 1-line block ×4, first 2 shown]
	s_and_saveexec_b32 s15, vcc_lo
	s_cbranch_execz .LBB197_746
; %bb.745:                              ;   in Loop: Header=BB197_542 Depth=1
	v_cmp_gt_i32_e64 s1, s11, v56
	v_cndmask_b32_e64 v78, 0, v78, s1
	v_cmp_gt_i32_e64 s1, s11, v58
	v_cndmask_b32_e64 v77, 0, v77, s1
	;; [unrolled: 2-line block ×4, first 2 shown]
.LBB197_746:                            ;   in Loop: Header=BB197_542 Depth=1
	s_or_b32 exec_lo, exec_lo, s15
	global_load_dword v79, v[15:16], off offset:768
	v_mov_b32_e32 v19, 0
	v_mov_b32_e32 v17, 0
	;; [unrolled: 1-line block ×4, first 2 shown]
	s_waitcnt vmcnt(0)
	v_cmp_ne_u16_sdwa s1, v79, v6 src0_sel:BYTE_0 src1_sel:DWORD
	s_and_saveexec_b32 s15, s1
	s_cbranch_execz .LBB197_754
; %bb.747:                              ;   in Loop: Header=BB197_542 Depth=1
	v_bfrev_b32_e32 v17, 1
	v_mov_b32_e32 v18, 0
	v_cmp_ne_u16_sdwa s1, v79, v46 src0_sel:BYTE_0 src1_sel:DWORD
	s_and_saveexec_b32 s16, s1
	s_cbranch_execz .LBB197_753
; %bb.748:                              ;   in Loop: Header=BB197_542 Depth=1
	v_mov_b32_e32 v17, 0x7f800001
	v_and_b32_e32 v13, 0x7f, v79
	v_mov_b32_e32 v18, 0
	s_mov_b32 s17, exec_lo
	v_cmpx_ne_u32_e32 0x7f, v13
	s_cbranch_execz .LBB197_752
; %bb.749:                              ;   in Loop: Header=BB197_542 Depth=1
	v_and_b32_e32 v5, 7, v79
	v_lshrrev_b32_e32 v11, 3, v13
	s_mov_b32 s18, exec_lo
	v_cmpx_gt_u32_e32 8, v13
; %bb.750:                              ;   in Loop: Header=BB197_542 Depth=1
	v_ffbh_u32_e32 v11, v5
	v_min_u32_e32 v11, 32, v11
	v_subrev_nc_u32_e32 v13, 28, v11
	v_sub_nc_u32_e32 v11, 29, v11
	v_lshlrev_b64 v[17:18], v13, v[5:6]
	v_and_b32_e32 v5, 7, v17
; %bb.751:                              ;   in Loop: Header=BB197_542 Depth=1
	s_or_b32 exec_lo, exec_lo, s18
	v_lshlrev_b32_e32 v13, 24, v79
	v_lshlrev_b32_e32 v5, 20, v5
	v_lshl_add_u32 v11, v11, 23, 0x3c000000
	v_and_b32_e32 v13, 0x80000000, v13
	v_or3_b32 v5, v5, v13, v11
	v_mov_b32_e32 v18, v6
	v_mov_b32_e32 v17, v5
.LBB197_752:                            ;   in Loop: Header=BB197_542 Depth=1
	s_or_b32 exec_lo, exec_lo, s17
.LBB197_753:                            ;   in Loop: Header=BB197_542 Depth=1
	s_or_b32 exec_lo, exec_lo, s16
.LBB197_754:                            ;   in Loop: Header=BB197_542 Depth=1
	s_or_b32 exec_lo, exec_lo, s15
	v_cmp_ne_u16_sdwa s1, v79, v6 src0_sel:BYTE_1 src1_sel:DWORD
	s_and_saveexec_b32 s15, s1
	s_cbranch_execz .LBB197_762
; %bb.755:                              ;   in Loop: Header=BB197_542 Depth=1
	v_mov_b32_e32 v11, v6
	v_mov_b32_e32 v20, v12
	v_cmp_ne_u16_sdwa s1, v79, v46 src0_sel:BYTE_1 src1_sel:DWORD
	v_mov_b32_e32 v19, v11
	s_and_saveexec_b32 s16, s1
	s_cbranch_execz .LBB197_761
; %bb.756:                              ;   in Loop: Header=BB197_542 Depth=1
	v_and_b32_sdwa v5, v47, v79 dst_sel:DWORD dst_unused:UNUSED_PAD src0_sel:DWORD src1_sel:BYTE_1
	v_mov_b32_e32 v13, v6
	v_mov_b32_e32 v20, v14
	s_mov_b32 s17, exec_lo
	v_and_b32_e32 v21, 0x7f, v5
	v_mov_b32_e32 v19, v13
	v_cmpx_ne_u32_e32 0x7f, v21
	s_cbranch_execz .LBB197_760
; %bb.757:                              ;   in Loop: Header=BB197_542 Depth=1
	v_and_b32_e32 v5, 7, v5
	v_lshrrev_b32_e32 v11, 3, v21
	s_mov_b32 s18, exec_lo
	v_cmpx_gt_u32_e32 8, v21
; %bb.758:                              ;   in Loop: Header=BB197_542 Depth=1
	v_ffbh_u32_e32 v11, v5
	v_min_u32_e32 v11, 32, v11
	v_subrev_nc_u32_e32 v13, 28, v11
	v_sub_nc_u32_e32 v11, 29, v11
	v_lshlrev_b64 v[19:20], v13, v[5:6]
	v_and_b32_e32 v5, 7, v19
; %bb.759:                              ;   in Loop: Header=BB197_542 Depth=1
	s_or_b32 exec_lo, exec_lo, s18
	v_lshlrev_b32_e32 v13, 16, v79
	v_lshlrev_b32_e32 v5, 20, v5
	v_lshl_add_u32 v11, v11, 23, 0x3c000000
	v_mov_b32_e32 v19, v6
	v_and_b32_e32 v13, 0x80000000, v13
	v_or3_b32 v20, v5, v13, v11
.LBB197_760:                            ;   in Loop: Header=BB197_542 Depth=1
	s_or_b32 exec_lo, exec_lo, s17
.LBB197_761:                            ;   in Loop: Header=BB197_542 Depth=1
	s_or_b32 exec_lo, exec_lo, s16
.LBB197_762:                            ;   in Loop: Header=BB197_542 Depth=1
	s_or_b32 exec_lo, exec_lo, s15
	v_mov_b32_e32 v23, 0
	v_mov_b32_e32 v21, 0
	v_and_b32_sdwa v5, v79, v48 dst_sel:DWORD dst_unused:UNUSED_PAD src0_sel:WORD_1 src1_sel:DWORD
	v_mov_b32_e32 v24, 0
	v_mov_b32_e32 v22, 0
	s_mov_b32 s15, exec_lo
	v_cmpx_ne_u16_e32 0, v5
	s_cbranch_execz .LBB197_770
; %bb.763:                              ;   in Loop: Header=BB197_542 Depth=1
	v_bfrev_b32_e32 v21, 1
	v_mov_b32_e32 v22, 0
	s_mov_b32 s16, exec_lo
	v_cmpx_ne_u16_e32 0x80, v5
	s_cbranch_execz .LBB197_769
; %bb.764:                              ;   in Loop: Header=BB197_542 Depth=1
	v_mov_b32_e32 v21, 0x7f800001
	v_bfe_u32 v13, v79, 16, 7
	v_mov_b32_e32 v22, 0
	s_mov_b32 s17, exec_lo
	v_cmpx_ne_u32_e32 0x7f, v13
	s_cbranch_execz .LBB197_768
; %bb.765:                              ;   in Loop: Header=BB197_542 Depth=1
	v_and_b32_sdwa v5, v79, v49 dst_sel:DWORD dst_unused:UNUSED_PAD src0_sel:WORD_1 src1_sel:DWORD
	v_lshrrev_b32_e32 v11, 3, v13
	s_mov_b32 s18, exec_lo
	v_cmpx_gt_u32_e32 8, v13
; %bb.766:                              ;   in Loop: Header=BB197_542 Depth=1
	v_ffbh_u32_e32 v11, v5
	v_min_u32_e32 v11, 32, v11
	v_subrev_nc_u32_e32 v13, 28, v11
	v_sub_nc_u32_e32 v11, 29, v11
	v_lshlrev_b64 v[21:22], v13, v[5:6]
	v_and_b32_e32 v5, 7, v21
; %bb.767:                              ;   in Loop: Header=BB197_542 Depth=1
	s_or_b32 exec_lo, exec_lo, s18
	v_lshlrev_b32_sdwa v13, v50, v79 dst_sel:DWORD dst_unused:UNUSED_PAD src0_sel:DWORD src1_sel:WORD_1
	v_lshlrev_b32_e32 v5, 20, v5
	v_lshl_add_u32 v11, v11, 23, 0x3c000000
	v_and_b32_e32 v13, 0x80000000, v13
	v_or3_b32 v5, v5, v13, v11
	v_mov_b32_e32 v22, v6
	v_mov_b32_e32 v21, v5
.LBB197_768:                            ;   in Loop: Header=BB197_542 Depth=1
	s_or_b32 exec_lo, exec_lo, s17
.LBB197_769:                            ;   in Loop: Header=BB197_542 Depth=1
	s_or_b32 exec_lo, exec_lo, s16
.LBB197_770:                            ;   in Loop: Header=BB197_542 Depth=1
	s_or_b32 exec_lo, exec_lo, s15
	s_mov_b32 s15, exec_lo
	v_cmpx_lt_u32_e32 0xffffff, v79
	s_cbranch_execz .LBB197_778
; %bb.771:                              ;   in Loop: Header=BB197_542 Depth=1
	v_mov_b32_e32 v11, v6
	v_mov_b32_e32 v24, v12
	v_cmp_ne_u32_sdwa s1, v79, v46 src0_sel:BYTE_3 src1_sel:DWORD
	v_mov_b32_e32 v23, v11
	s_and_saveexec_b32 s16, s1
	s_cbranch_execz .LBB197_777
; %bb.772:                              ;   in Loop: Header=BB197_542 Depth=1
	v_mov_b32_e32 v13, v6
	v_mov_b32_e32 v24, v14
	v_bfe_u32 v80, v79, 24, 7
	s_mov_b32 s17, exec_lo
	v_mov_b32_e32 v23, v13
	v_cmpx_ne_u32_e32 0x7f, v80
	s_cbranch_execz .LBB197_776
; %bb.773:                              ;   in Loop: Header=BB197_542 Depth=1
	v_and_b32_sdwa v5, v79, v49 dst_sel:DWORD dst_unused:UNUSED_PAD src0_sel:BYTE_3 src1_sel:DWORD
	v_lshrrev_b32_e32 v11, 3, v80
	s_mov_b32 s18, exec_lo
	v_cmpx_gt_u32_e32 8, v80
; %bb.774:                              ;   in Loop: Header=BB197_542 Depth=1
	v_ffbh_u32_e32 v11, v5
	v_min_u32_e32 v11, 32, v11
	v_subrev_nc_u32_e32 v13, 28, v11
	v_sub_nc_u32_e32 v11, 29, v11
	v_lshlrev_b64 v[23:24], v13, v[5:6]
	v_and_b32_e32 v5, 7, v23
; %bb.775:                              ;   in Loop: Header=BB197_542 Depth=1
	s_or_b32 exec_lo, exec_lo, s18
	v_lshlrev_b32_sdwa v13, v50, v79 dst_sel:DWORD dst_unused:UNUSED_PAD src0_sel:DWORD src1_sel:BYTE_3
	v_lshlrev_b32_e32 v5, 20, v5
	v_lshl_add_u32 v11, v11, 23, 0x3c000000
	v_mov_b32_e32 v23, v6
	v_and_b32_e32 v13, 0x80000000, v13
	v_or3_b32 v24, v5, v13, v11
.LBB197_776:                            ;   in Loop: Header=BB197_542 Depth=1
	s_or_b32 exec_lo, exec_lo, s17
.LBB197_777:                            ;   in Loop: Header=BB197_542 Depth=1
	s_or_b32 exec_lo, exec_lo, s16
.LBB197_778:                            ;   in Loop: Header=BB197_542 Depth=1
	s_or_b32 exec_lo, exec_lo, s15
	v_or_b32_e32 v5, v20, v18
	v_or_b32_e32 v11, v19, v17
	;; [unrolled: 1-line block ×4, first 2 shown]
	v_mul_f32_e32 v81, s14, v5
	v_mul_f32_e32 v82, s3, v11
	;; [unrolled: 1-line block ×4, first 2 shown]
	s_and_saveexec_b32 s15, vcc_lo
	s_cbranch_execz .LBB197_780
; %bb.779:                              ;   in Loop: Header=BB197_542 Depth=1
	v_cmp_gt_i32_e64 s1, s11, v56
	v_cndmask_b32_e64 v82, 0, v82, s1
	v_cmp_gt_i32_e64 s1, s11, v58
	v_cndmask_b32_e64 v81, 0, v81, s1
	;; [unrolled: 2-line block ×4, first 2 shown]
.LBB197_780:                            ;   in Loop: Header=BB197_542 Depth=1
	s_or_b32 exec_lo, exec_lo, s15
	global_load_dword v83, v[15:16], off offset:896
	v_mov_b32_e32 v19, 0
	v_mov_b32_e32 v17, 0
	;; [unrolled: 1-line block ×4, first 2 shown]
	s_waitcnt vmcnt(0)
	v_cmp_ne_u16_sdwa s1, v83, v6 src0_sel:BYTE_0 src1_sel:DWORD
	s_and_saveexec_b32 s15, s1
	s_cbranch_execz .LBB197_788
; %bb.781:                              ;   in Loop: Header=BB197_542 Depth=1
	v_bfrev_b32_e32 v17, 1
	v_mov_b32_e32 v18, 0
	v_cmp_ne_u16_sdwa s1, v83, v46 src0_sel:BYTE_0 src1_sel:DWORD
	s_and_saveexec_b32 s16, s1
	s_cbranch_execz .LBB197_787
; %bb.782:                              ;   in Loop: Header=BB197_542 Depth=1
	v_mov_b32_e32 v17, 0x7f800001
	v_and_b32_e32 v13, 0x7f, v83
	v_mov_b32_e32 v18, 0
	s_mov_b32 s17, exec_lo
	v_cmpx_ne_u32_e32 0x7f, v13
	s_cbranch_execz .LBB197_786
; %bb.783:                              ;   in Loop: Header=BB197_542 Depth=1
	v_and_b32_e32 v5, 7, v83
	v_lshrrev_b32_e32 v11, 3, v13
	s_mov_b32 s18, exec_lo
	v_cmpx_gt_u32_e32 8, v13
; %bb.784:                              ;   in Loop: Header=BB197_542 Depth=1
	v_ffbh_u32_e32 v11, v5
	v_min_u32_e32 v11, 32, v11
	v_subrev_nc_u32_e32 v13, 28, v11
	v_sub_nc_u32_e32 v11, 29, v11
	v_lshlrev_b64 v[17:18], v13, v[5:6]
	v_and_b32_e32 v5, 7, v17
; %bb.785:                              ;   in Loop: Header=BB197_542 Depth=1
	s_or_b32 exec_lo, exec_lo, s18
	v_lshlrev_b32_e32 v13, 24, v83
	v_lshlrev_b32_e32 v5, 20, v5
	v_lshl_add_u32 v11, v11, 23, 0x3c000000
	v_and_b32_e32 v13, 0x80000000, v13
	v_or3_b32 v5, v5, v13, v11
	v_mov_b32_e32 v18, v6
	v_mov_b32_e32 v17, v5
.LBB197_786:                            ;   in Loop: Header=BB197_542 Depth=1
	s_or_b32 exec_lo, exec_lo, s17
.LBB197_787:                            ;   in Loop: Header=BB197_542 Depth=1
	s_or_b32 exec_lo, exec_lo, s16
.LBB197_788:                            ;   in Loop: Header=BB197_542 Depth=1
	s_or_b32 exec_lo, exec_lo, s15
	v_cmp_ne_u16_sdwa s1, v83, v6 src0_sel:BYTE_1 src1_sel:DWORD
	s_and_saveexec_b32 s15, s1
	s_cbranch_execz .LBB197_796
; %bb.789:                              ;   in Loop: Header=BB197_542 Depth=1
	v_mov_b32_e32 v11, v6
	v_mov_b32_e32 v20, v12
	v_cmp_ne_u16_sdwa s1, v83, v46 src0_sel:BYTE_1 src1_sel:DWORD
	v_mov_b32_e32 v19, v11
	s_and_saveexec_b32 s16, s1
	s_cbranch_execz .LBB197_795
; %bb.790:                              ;   in Loop: Header=BB197_542 Depth=1
	v_and_b32_sdwa v5, v47, v83 dst_sel:DWORD dst_unused:UNUSED_PAD src0_sel:DWORD src1_sel:BYTE_1
	v_mov_b32_e32 v13, v6
	v_mov_b32_e32 v20, v14
	s_mov_b32 s17, exec_lo
	v_and_b32_e32 v21, 0x7f, v5
	v_mov_b32_e32 v19, v13
	v_cmpx_ne_u32_e32 0x7f, v21
	s_cbranch_execz .LBB197_794
; %bb.791:                              ;   in Loop: Header=BB197_542 Depth=1
	v_and_b32_e32 v5, 7, v5
	v_lshrrev_b32_e32 v11, 3, v21
	s_mov_b32 s18, exec_lo
	v_cmpx_gt_u32_e32 8, v21
; %bb.792:                              ;   in Loop: Header=BB197_542 Depth=1
	v_ffbh_u32_e32 v11, v5
	v_min_u32_e32 v11, 32, v11
	v_subrev_nc_u32_e32 v13, 28, v11
	v_sub_nc_u32_e32 v11, 29, v11
	v_lshlrev_b64 v[19:20], v13, v[5:6]
	v_and_b32_e32 v5, 7, v19
; %bb.793:                              ;   in Loop: Header=BB197_542 Depth=1
	s_or_b32 exec_lo, exec_lo, s18
	v_lshlrev_b32_e32 v13, 16, v83
	v_lshlrev_b32_e32 v5, 20, v5
	v_lshl_add_u32 v11, v11, 23, 0x3c000000
	v_mov_b32_e32 v19, v6
	v_and_b32_e32 v13, 0x80000000, v13
	v_or3_b32 v20, v5, v13, v11
.LBB197_794:                            ;   in Loop: Header=BB197_542 Depth=1
	s_or_b32 exec_lo, exec_lo, s17
.LBB197_795:                            ;   in Loop: Header=BB197_542 Depth=1
	s_or_b32 exec_lo, exec_lo, s16
.LBB197_796:                            ;   in Loop: Header=BB197_542 Depth=1
	s_or_b32 exec_lo, exec_lo, s15
	v_mov_b32_e32 v23, 0
	v_mov_b32_e32 v21, 0
	v_and_b32_sdwa v5, v83, v48 dst_sel:DWORD dst_unused:UNUSED_PAD src0_sel:WORD_1 src1_sel:DWORD
	v_mov_b32_e32 v24, 0
	v_mov_b32_e32 v22, 0
	s_mov_b32 s15, exec_lo
	v_cmpx_ne_u16_e32 0, v5
	s_cbranch_execz .LBB197_804
; %bb.797:                              ;   in Loop: Header=BB197_542 Depth=1
	v_bfrev_b32_e32 v21, 1
	v_mov_b32_e32 v22, 0
	s_mov_b32 s16, exec_lo
	v_cmpx_ne_u16_e32 0x80, v5
	s_cbranch_execz .LBB197_803
; %bb.798:                              ;   in Loop: Header=BB197_542 Depth=1
	v_mov_b32_e32 v21, 0x7f800001
	v_bfe_u32 v13, v83, 16, 7
	v_mov_b32_e32 v22, 0
	s_mov_b32 s17, exec_lo
	v_cmpx_ne_u32_e32 0x7f, v13
	s_cbranch_execz .LBB197_802
; %bb.799:                              ;   in Loop: Header=BB197_542 Depth=1
	v_and_b32_sdwa v5, v83, v49 dst_sel:DWORD dst_unused:UNUSED_PAD src0_sel:WORD_1 src1_sel:DWORD
	v_lshrrev_b32_e32 v11, 3, v13
	s_mov_b32 s18, exec_lo
	v_cmpx_gt_u32_e32 8, v13
; %bb.800:                              ;   in Loop: Header=BB197_542 Depth=1
	v_ffbh_u32_e32 v11, v5
	v_min_u32_e32 v11, 32, v11
	v_subrev_nc_u32_e32 v13, 28, v11
	v_sub_nc_u32_e32 v11, 29, v11
	v_lshlrev_b64 v[21:22], v13, v[5:6]
	v_and_b32_e32 v5, 7, v21
; %bb.801:                              ;   in Loop: Header=BB197_542 Depth=1
	s_or_b32 exec_lo, exec_lo, s18
	v_lshlrev_b32_sdwa v13, v50, v83 dst_sel:DWORD dst_unused:UNUSED_PAD src0_sel:DWORD src1_sel:WORD_1
	v_lshlrev_b32_e32 v5, 20, v5
	v_lshl_add_u32 v11, v11, 23, 0x3c000000
	v_and_b32_e32 v13, 0x80000000, v13
	v_or3_b32 v5, v5, v13, v11
	v_mov_b32_e32 v22, v6
	v_mov_b32_e32 v21, v5
.LBB197_802:                            ;   in Loop: Header=BB197_542 Depth=1
	s_or_b32 exec_lo, exec_lo, s17
.LBB197_803:                            ;   in Loop: Header=BB197_542 Depth=1
	s_or_b32 exec_lo, exec_lo, s16
.LBB197_804:                            ;   in Loop: Header=BB197_542 Depth=1
	s_or_b32 exec_lo, exec_lo, s15
	s_mov_b32 s15, exec_lo
	v_cmpx_lt_u32_e32 0xffffff, v83
	s_cbranch_execz .LBB197_812
; %bb.805:                              ;   in Loop: Header=BB197_542 Depth=1
	v_mov_b32_e32 v11, v6
	v_mov_b32_e32 v24, v12
	v_cmp_ne_u32_sdwa s1, v83, v46 src0_sel:BYTE_3 src1_sel:DWORD
	v_mov_b32_e32 v23, v11
	s_and_saveexec_b32 s16, s1
	s_cbranch_execz .LBB197_811
; %bb.806:                              ;   in Loop: Header=BB197_542 Depth=1
	v_mov_b32_e32 v13, v6
	v_mov_b32_e32 v24, v14
	v_bfe_u32 v84, v83, 24, 7
	s_mov_b32 s17, exec_lo
	v_mov_b32_e32 v23, v13
	v_cmpx_ne_u32_e32 0x7f, v84
	s_cbranch_execz .LBB197_810
; %bb.807:                              ;   in Loop: Header=BB197_542 Depth=1
	v_and_b32_sdwa v5, v83, v49 dst_sel:DWORD dst_unused:UNUSED_PAD src0_sel:BYTE_3 src1_sel:DWORD
	v_lshrrev_b32_e32 v11, 3, v84
	s_mov_b32 s18, exec_lo
	v_cmpx_gt_u32_e32 8, v84
; %bb.808:                              ;   in Loop: Header=BB197_542 Depth=1
	v_ffbh_u32_e32 v11, v5
	v_min_u32_e32 v11, 32, v11
	v_subrev_nc_u32_e32 v13, 28, v11
	v_sub_nc_u32_e32 v11, 29, v11
	v_lshlrev_b64 v[23:24], v13, v[5:6]
	v_and_b32_e32 v5, 7, v23
; %bb.809:                              ;   in Loop: Header=BB197_542 Depth=1
	s_or_b32 exec_lo, exec_lo, s18
	v_lshlrev_b32_sdwa v13, v50, v83 dst_sel:DWORD dst_unused:UNUSED_PAD src0_sel:DWORD src1_sel:BYTE_3
	v_lshlrev_b32_e32 v5, 20, v5
	v_lshl_add_u32 v11, v11, 23, 0x3c000000
	v_mov_b32_e32 v23, v6
	v_and_b32_e32 v13, 0x80000000, v13
	v_or3_b32 v24, v5, v13, v11
.LBB197_810:                            ;   in Loop: Header=BB197_542 Depth=1
	s_or_b32 exec_lo, exec_lo, s17
.LBB197_811:                            ;   in Loop: Header=BB197_542 Depth=1
	s_or_b32 exec_lo, exec_lo, s16
.LBB197_812:                            ;   in Loop: Header=BB197_542 Depth=1
	s_or_b32 exec_lo, exec_lo, s15
	v_or_b32_e32 v5, v20, v18
	v_or_b32_e32 v11, v19, v17
	;; [unrolled: 1-line block ×4, first 2 shown]
	v_mul_f32_e32 v85, s14, v5
	v_mul_f32_e32 v86, s3, v11
	v_mul_f32_e32 v84, s3, v13
	v_mul_f32_e32 v83, s14, v17
	s_and_saveexec_b32 s15, vcc_lo
	s_cbranch_execz .LBB197_814
; %bb.813:                              ;   in Loop: Header=BB197_542 Depth=1
	v_cmp_gt_i32_e64 s1, s11, v56
	v_cndmask_b32_e64 v86, 0, v86, s1
	v_cmp_gt_i32_e64 s1, s11, v58
	v_cndmask_b32_e64 v85, 0, v85, s1
	;; [unrolled: 2-line block ×4, first 2 shown]
.LBB197_814:                            ;   in Loop: Header=BB197_542 Depth=1
	s_or_b32 exec_lo, exec_lo, s15
	global_load_dword v87, v[15:16], off offset:1024
	v_mov_b32_e32 v19, 0
	v_mov_b32_e32 v17, 0
	;; [unrolled: 1-line block ×4, first 2 shown]
	s_waitcnt vmcnt(0)
	v_cmp_ne_u16_sdwa s1, v87, v6 src0_sel:BYTE_0 src1_sel:DWORD
	s_and_saveexec_b32 s15, s1
	s_cbranch_execz .LBB197_822
; %bb.815:                              ;   in Loop: Header=BB197_542 Depth=1
	v_bfrev_b32_e32 v17, 1
	v_mov_b32_e32 v18, 0
	v_cmp_ne_u16_sdwa s1, v87, v46 src0_sel:BYTE_0 src1_sel:DWORD
	s_and_saveexec_b32 s16, s1
	s_cbranch_execz .LBB197_821
; %bb.816:                              ;   in Loop: Header=BB197_542 Depth=1
	v_mov_b32_e32 v17, 0x7f800001
	v_and_b32_e32 v13, 0x7f, v87
	v_mov_b32_e32 v18, 0
	s_mov_b32 s17, exec_lo
	v_cmpx_ne_u32_e32 0x7f, v13
	s_cbranch_execz .LBB197_820
; %bb.817:                              ;   in Loop: Header=BB197_542 Depth=1
	v_and_b32_e32 v5, 7, v87
	v_lshrrev_b32_e32 v11, 3, v13
	s_mov_b32 s18, exec_lo
	v_cmpx_gt_u32_e32 8, v13
; %bb.818:                              ;   in Loop: Header=BB197_542 Depth=1
	v_ffbh_u32_e32 v11, v5
	v_min_u32_e32 v11, 32, v11
	v_subrev_nc_u32_e32 v13, 28, v11
	v_sub_nc_u32_e32 v11, 29, v11
	v_lshlrev_b64 v[17:18], v13, v[5:6]
	v_and_b32_e32 v5, 7, v17
; %bb.819:                              ;   in Loop: Header=BB197_542 Depth=1
	s_or_b32 exec_lo, exec_lo, s18
	v_lshlrev_b32_e32 v13, 24, v87
	v_lshlrev_b32_e32 v5, 20, v5
	v_lshl_add_u32 v11, v11, 23, 0x3c000000
	v_and_b32_e32 v13, 0x80000000, v13
	v_or3_b32 v5, v5, v13, v11
	v_mov_b32_e32 v18, v6
	v_mov_b32_e32 v17, v5
.LBB197_820:                            ;   in Loop: Header=BB197_542 Depth=1
	s_or_b32 exec_lo, exec_lo, s17
.LBB197_821:                            ;   in Loop: Header=BB197_542 Depth=1
	s_or_b32 exec_lo, exec_lo, s16
.LBB197_822:                            ;   in Loop: Header=BB197_542 Depth=1
	s_or_b32 exec_lo, exec_lo, s15
	v_cmp_ne_u16_sdwa s1, v87, v6 src0_sel:BYTE_1 src1_sel:DWORD
	s_and_saveexec_b32 s15, s1
	s_cbranch_execz .LBB197_830
; %bb.823:                              ;   in Loop: Header=BB197_542 Depth=1
	v_mov_b32_e32 v11, v6
	v_mov_b32_e32 v20, v12
	v_cmp_ne_u16_sdwa s1, v87, v46 src0_sel:BYTE_1 src1_sel:DWORD
	v_mov_b32_e32 v19, v11
	s_and_saveexec_b32 s16, s1
	s_cbranch_execz .LBB197_829
; %bb.824:                              ;   in Loop: Header=BB197_542 Depth=1
	v_and_b32_sdwa v5, v47, v87 dst_sel:DWORD dst_unused:UNUSED_PAD src0_sel:DWORD src1_sel:BYTE_1
	v_mov_b32_e32 v13, v6
	v_mov_b32_e32 v20, v14
	s_mov_b32 s17, exec_lo
	v_and_b32_e32 v21, 0x7f, v5
	v_mov_b32_e32 v19, v13
	v_cmpx_ne_u32_e32 0x7f, v21
	s_cbranch_execz .LBB197_828
; %bb.825:                              ;   in Loop: Header=BB197_542 Depth=1
	v_and_b32_e32 v5, 7, v5
	v_lshrrev_b32_e32 v11, 3, v21
	s_mov_b32 s18, exec_lo
	v_cmpx_gt_u32_e32 8, v21
; %bb.826:                              ;   in Loop: Header=BB197_542 Depth=1
	v_ffbh_u32_e32 v11, v5
	v_min_u32_e32 v11, 32, v11
	v_subrev_nc_u32_e32 v13, 28, v11
	v_sub_nc_u32_e32 v11, 29, v11
	v_lshlrev_b64 v[19:20], v13, v[5:6]
	v_and_b32_e32 v5, 7, v19
; %bb.827:                              ;   in Loop: Header=BB197_542 Depth=1
	s_or_b32 exec_lo, exec_lo, s18
	v_lshlrev_b32_e32 v13, 16, v87
	v_lshlrev_b32_e32 v5, 20, v5
	v_lshl_add_u32 v11, v11, 23, 0x3c000000
	v_mov_b32_e32 v19, v6
	v_and_b32_e32 v13, 0x80000000, v13
	v_or3_b32 v20, v5, v13, v11
.LBB197_828:                            ;   in Loop: Header=BB197_542 Depth=1
	s_or_b32 exec_lo, exec_lo, s17
.LBB197_829:                            ;   in Loop: Header=BB197_542 Depth=1
	s_or_b32 exec_lo, exec_lo, s16
.LBB197_830:                            ;   in Loop: Header=BB197_542 Depth=1
	s_or_b32 exec_lo, exec_lo, s15
	v_mov_b32_e32 v23, 0
	v_mov_b32_e32 v21, 0
	v_and_b32_sdwa v5, v87, v48 dst_sel:DWORD dst_unused:UNUSED_PAD src0_sel:WORD_1 src1_sel:DWORD
	v_mov_b32_e32 v24, 0
	v_mov_b32_e32 v22, 0
	s_mov_b32 s15, exec_lo
	v_cmpx_ne_u16_e32 0, v5
	s_cbranch_execz .LBB197_838
; %bb.831:                              ;   in Loop: Header=BB197_542 Depth=1
	v_bfrev_b32_e32 v21, 1
	v_mov_b32_e32 v22, 0
	s_mov_b32 s16, exec_lo
	v_cmpx_ne_u16_e32 0x80, v5
	s_cbranch_execz .LBB197_837
; %bb.832:                              ;   in Loop: Header=BB197_542 Depth=1
	v_mov_b32_e32 v21, 0x7f800001
	v_bfe_u32 v13, v87, 16, 7
	v_mov_b32_e32 v22, 0
	s_mov_b32 s17, exec_lo
	v_cmpx_ne_u32_e32 0x7f, v13
	s_cbranch_execz .LBB197_836
; %bb.833:                              ;   in Loop: Header=BB197_542 Depth=1
	v_and_b32_sdwa v5, v87, v49 dst_sel:DWORD dst_unused:UNUSED_PAD src0_sel:WORD_1 src1_sel:DWORD
	v_lshrrev_b32_e32 v11, 3, v13
	s_mov_b32 s18, exec_lo
	v_cmpx_gt_u32_e32 8, v13
; %bb.834:                              ;   in Loop: Header=BB197_542 Depth=1
	v_ffbh_u32_e32 v11, v5
	v_min_u32_e32 v11, 32, v11
	v_subrev_nc_u32_e32 v13, 28, v11
	v_sub_nc_u32_e32 v11, 29, v11
	v_lshlrev_b64 v[21:22], v13, v[5:6]
	v_and_b32_e32 v5, 7, v21
; %bb.835:                              ;   in Loop: Header=BB197_542 Depth=1
	s_or_b32 exec_lo, exec_lo, s18
	v_lshlrev_b32_sdwa v13, v50, v87 dst_sel:DWORD dst_unused:UNUSED_PAD src0_sel:DWORD src1_sel:WORD_1
	v_lshlrev_b32_e32 v5, 20, v5
	v_lshl_add_u32 v11, v11, 23, 0x3c000000
	v_and_b32_e32 v13, 0x80000000, v13
	v_or3_b32 v5, v5, v13, v11
	v_mov_b32_e32 v22, v6
	v_mov_b32_e32 v21, v5
.LBB197_836:                            ;   in Loop: Header=BB197_542 Depth=1
	s_or_b32 exec_lo, exec_lo, s17
.LBB197_837:                            ;   in Loop: Header=BB197_542 Depth=1
	s_or_b32 exec_lo, exec_lo, s16
.LBB197_838:                            ;   in Loop: Header=BB197_542 Depth=1
	s_or_b32 exec_lo, exec_lo, s15
	s_mov_b32 s15, exec_lo
	v_cmpx_lt_u32_e32 0xffffff, v87
	s_cbranch_execz .LBB197_846
; %bb.839:                              ;   in Loop: Header=BB197_542 Depth=1
	v_mov_b32_e32 v11, v6
	v_mov_b32_e32 v24, v12
	v_cmp_ne_u32_sdwa s1, v87, v46 src0_sel:BYTE_3 src1_sel:DWORD
	v_mov_b32_e32 v23, v11
	s_and_saveexec_b32 s16, s1
	s_cbranch_execz .LBB197_845
; %bb.840:                              ;   in Loop: Header=BB197_542 Depth=1
	v_mov_b32_e32 v13, v6
	v_mov_b32_e32 v24, v14
	v_bfe_u32 v88, v87, 24, 7
	s_mov_b32 s17, exec_lo
	v_mov_b32_e32 v23, v13
	v_cmpx_ne_u32_e32 0x7f, v88
	s_cbranch_execz .LBB197_844
; %bb.841:                              ;   in Loop: Header=BB197_542 Depth=1
	v_and_b32_sdwa v5, v87, v49 dst_sel:DWORD dst_unused:UNUSED_PAD src0_sel:BYTE_3 src1_sel:DWORD
	v_lshrrev_b32_e32 v11, 3, v88
	s_mov_b32 s18, exec_lo
	v_cmpx_gt_u32_e32 8, v88
; %bb.842:                              ;   in Loop: Header=BB197_542 Depth=1
	v_ffbh_u32_e32 v11, v5
	v_min_u32_e32 v11, 32, v11
	v_subrev_nc_u32_e32 v13, 28, v11
	v_sub_nc_u32_e32 v11, 29, v11
	v_lshlrev_b64 v[23:24], v13, v[5:6]
	v_and_b32_e32 v5, 7, v23
; %bb.843:                              ;   in Loop: Header=BB197_542 Depth=1
	s_or_b32 exec_lo, exec_lo, s18
	v_lshlrev_b32_sdwa v13, v50, v87 dst_sel:DWORD dst_unused:UNUSED_PAD src0_sel:DWORD src1_sel:BYTE_3
	v_lshlrev_b32_e32 v5, 20, v5
	v_lshl_add_u32 v11, v11, 23, 0x3c000000
	v_mov_b32_e32 v23, v6
	v_and_b32_e32 v13, 0x80000000, v13
	v_or3_b32 v24, v5, v13, v11
.LBB197_844:                            ;   in Loop: Header=BB197_542 Depth=1
	s_or_b32 exec_lo, exec_lo, s17
.LBB197_845:                            ;   in Loop: Header=BB197_542 Depth=1
	s_or_b32 exec_lo, exec_lo, s16
.LBB197_846:                            ;   in Loop: Header=BB197_542 Depth=1
	s_or_b32 exec_lo, exec_lo, s15
	v_or_b32_e32 v5, v20, v18
	v_or_b32_e32 v11, v19, v17
	;; [unrolled: 1-line block ×4, first 2 shown]
	v_mul_f32_e32 v89, s14, v5
	v_mul_f32_e32 v90, s3, v11
	v_mul_f32_e32 v88, s3, v13
	v_mul_f32_e32 v87, s14, v17
	s_and_saveexec_b32 s15, vcc_lo
	s_cbranch_execz .LBB197_848
; %bb.847:                              ;   in Loop: Header=BB197_542 Depth=1
	v_cmp_gt_i32_e64 s1, s11, v56
	v_cndmask_b32_e64 v90, 0, v90, s1
	v_cmp_gt_i32_e64 s1, s11, v58
	v_cndmask_b32_e64 v89, 0, v89, s1
	;; [unrolled: 2-line block ×4, first 2 shown]
.LBB197_848:                            ;   in Loop: Header=BB197_542 Depth=1
	s_or_b32 exec_lo, exec_lo, s15
	global_load_dword v91, v[15:16], off offset:1152
	v_mov_b32_e32 v19, 0
	v_mov_b32_e32 v17, 0
	;; [unrolled: 1-line block ×4, first 2 shown]
	s_waitcnt vmcnt(0)
	v_cmp_ne_u16_sdwa s1, v91, v6 src0_sel:BYTE_0 src1_sel:DWORD
	s_and_saveexec_b32 s15, s1
	s_cbranch_execz .LBB197_856
; %bb.849:                              ;   in Loop: Header=BB197_542 Depth=1
	v_bfrev_b32_e32 v17, 1
	v_mov_b32_e32 v18, 0
	v_cmp_ne_u16_sdwa s1, v91, v46 src0_sel:BYTE_0 src1_sel:DWORD
	s_and_saveexec_b32 s16, s1
	s_cbranch_execz .LBB197_855
; %bb.850:                              ;   in Loop: Header=BB197_542 Depth=1
	v_mov_b32_e32 v17, 0x7f800001
	v_and_b32_e32 v13, 0x7f, v91
	v_mov_b32_e32 v18, 0
	s_mov_b32 s17, exec_lo
	v_cmpx_ne_u32_e32 0x7f, v13
	s_cbranch_execz .LBB197_854
; %bb.851:                              ;   in Loop: Header=BB197_542 Depth=1
	v_and_b32_e32 v5, 7, v91
	v_lshrrev_b32_e32 v11, 3, v13
	s_mov_b32 s18, exec_lo
	v_cmpx_gt_u32_e32 8, v13
; %bb.852:                              ;   in Loop: Header=BB197_542 Depth=1
	v_ffbh_u32_e32 v11, v5
	v_min_u32_e32 v11, 32, v11
	v_subrev_nc_u32_e32 v13, 28, v11
	v_sub_nc_u32_e32 v11, 29, v11
	v_lshlrev_b64 v[17:18], v13, v[5:6]
	v_and_b32_e32 v5, 7, v17
; %bb.853:                              ;   in Loop: Header=BB197_542 Depth=1
	s_or_b32 exec_lo, exec_lo, s18
	v_lshlrev_b32_e32 v13, 24, v91
	v_lshlrev_b32_e32 v5, 20, v5
	v_lshl_add_u32 v11, v11, 23, 0x3c000000
	v_and_b32_e32 v13, 0x80000000, v13
	v_or3_b32 v5, v5, v13, v11
	v_mov_b32_e32 v18, v6
	v_mov_b32_e32 v17, v5
.LBB197_854:                            ;   in Loop: Header=BB197_542 Depth=1
	s_or_b32 exec_lo, exec_lo, s17
.LBB197_855:                            ;   in Loop: Header=BB197_542 Depth=1
	s_or_b32 exec_lo, exec_lo, s16
.LBB197_856:                            ;   in Loop: Header=BB197_542 Depth=1
	s_or_b32 exec_lo, exec_lo, s15
	v_cmp_ne_u16_sdwa s1, v91, v6 src0_sel:BYTE_1 src1_sel:DWORD
	s_and_saveexec_b32 s15, s1
	s_cbranch_execz .LBB197_864
; %bb.857:                              ;   in Loop: Header=BB197_542 Depth=1
	v_mov_b32_e32 v11, v6
	v_mov_b32_e32 v20, v12
	v_cmp_ne_u16_sdwa s1, v91, v46 src0_sel:BYTE_1 src1_sel:DWORD
	v_mov_b32_e32 v19, v11
	s_and_saveexec_b32 s16, s1
	s_cbranch_execz .LBB197_863
; %bb.858:                              ;   in Loop: Header=BB197_542 Depth=1
	v_and_b32_sdwa v5, v47, v91 dst_sel:DWORD dst_unused:UNUSED_PAD src0_sel:DWORD src1_sel:BYTE_1
	v_mov_b32_e32 v13, v6
	v_mov_b32_e32 v20, v14
	s_mov_b32 s17, exec_lo
	v_and_b32_e32 v21, 0x7f, v5
	v_mov_b32_e32 v19, v13
	v_cmpx_ne_u32_e32 0x7f, v21
	s_cbranch_execz .LBB197_862
; %bb.859:                              ;   in Loop: Header=BB197_542 Depth=1
	v_and_b32_e32 v5, 7, v5
	v_lshrrev_b32_e32 v11, 3, v21
	s_mov_b32 s18, exec_lo
	v_cmpx_gt_u32_e32 8, v21
; %bb.860:                              ;   in Loop: Header=BB197_542 Depth=1
	v_ffbh_u32_e32 v11, v5
	v_min_u32_e32 v11, 32, v11
	v_subrev_nc_u32_e32 v13, 28, v11
	v_sub_nc_u32_e32 v11, 29, v11
	v_lshlrev_b64 v[19:20], v13, v[5:6]
	v_and_b32_e32 v5, 7, v19
; %bb.861:                              ;   in Loop: Header=BB197_542 Depth=1
	s_or_b32 exec_lo, exec_lo, s18
	v_lshlrev_b32_e32 v13, 16, v91
	v_lshlrev_b32_e32 v5, 20, v5
	v_lshl_add_u32 v11, v11, 23, 0x3c000000
	v_mov_b32_e32 v19, v6
	v_and_b32_e32 v13, 0x80000000, v13
	v_or3_b32 v20, v5, v13, v11
.LBB197_862:                            ;   in Loop: Header=BB197_542 Depth=1
	s_or_b32 exec_lo, exec_lo, s17
.LBB197_863:                            ;   in Loop: Header=BB197_542 Depth=1
	s_or_b32 exec_lo, exec_lo, s16
.LBB197_864:                            ;   in Loop: Header=BB197_542 Depth=1
	s_or_b32 exec_lo, exec_lo, s15
	v_mov_b32_e32 v23, 0
	v_mov_b32_e32 v21, 0
	v_and_b32_sdwa v5, v91, v48 dst_sel:DWORD dst_unused:UNUSED_PAD src0_sel:WORD_1 src1_sel:DWORD
	v_mov_b32_e32 v24, 0
	v_mov_b32_e32 v22, 0
	s_mov_b32 s15, exec_lo
	v_cmpx_ne_u16_e32 0, v5
	s_cbranch_execz .LBB197_872
; %bb.865:                              ;   in Loop: Header=BB197_542 Depth=1
	v_bfrev_b32_e32 v21, 1
	v_mov_b32_e32 v22, 0
	s_mov_b32 s16, exec_lo
	v_cmpx_ne_u16_e32 0x80, v5
	s_cbranch_execz .LBB197_871
; %bb.866:                              ;   in Loop: Header=BB197_542 Depth=1
	v_mov_b32_e32 v21, 0x7f800001
	v_bfe_u32 v13, v91, 16, 7
	v_mov_b32_e32 v22, 0
	s_mov_b32 s17, exec_lo
	v_cmpx_ne_u32_e32 0x7f, v13
	s_cbranch_execz .LBB197_870
; %bb.867:                              ;   in Loop: Header=BB197_542 Depth=1
	v_and_b32_sdwa v5, v91, v49 dst_sel:DWORD dst_unused:UNUSED_PAD src0_sel:WORD_1 src1_sel:DWORD
	v_lshrrev_b32_e32 v11, 3, v13
	s_mov_b32 s18, exec_lo
	v_cmpx_gt_u32_e32 8, v13
; %bb.868:                              ;   in Loop: Header=BB197_542 Depth=1
	v_ffbh_u32_e32 v11, v5
	v_min_u32_e32 v11, 32, v11
	v_subrev_nc_u32_e32 v13, 28, v11
	v_sub_nc_u32_e32 v11, 29, v11
	v_lshlrev_b64 v[21:22], v13, v[5:6]
	v_and_b32_e32 v5, 7, v21
; %bb.869:                              ;   in Loop: Header=BB197_542 Depth=1
	s_or_b32 exec_lo, exec_lo, s18
	v_lshlrev_b32_sdwa v13, v50, v91 dst_sel:DWORD dst_unused:UNUSED_PAD src0_sel:DWORD src1_sel:WORD_1
	v_lshlrev_b32_e32 v5, 20, v5
	v_lshl_add_u32 v11, v11, 23, 0x3c000000
	v_and_b32_e32 v13, 0x80000000, v13
	v_or3_b32 v5, v5, v13, v11
	v_mov_b32_e32 v22, v6
	v_mov_b32_e32 v21, v5
.LBB197_870:                            ;   in Loop: Header=BB197_542 Depth=1
	s_or_b32 exec_lo, exec_lo, s17
.LBB197_871:                            ;   in Loop: Header=BB197_542 Depth=1
	s_or_b32 exec_lo, exec_lo, s16
.LBB197_872:                            ;   in Loop: Header=BB197_542 Depth=1
	s_or_b32 exec_lo, exec_lo, s15
	s_mov_b32 s15, exec_lo
	v_cmpx_lt_u32_e32 0xffffff, v91
	s_cbranch_execz .LBB197_880
; %bb.873:                              ;   in Loop: Header=BB197_542 Depth=1
	v_mov_b32_e32 v11, v6
	v_mov_b32_e32 v24, v12
	v_cmp_ne_u32_sdwa s1, v91, v46 src0_sel:BYTE_3 src1_sel:DWORD
	v_mov_b32_e32 v23, v11
	s_and_saveexec_b32 s16, s1
	s_cbranch_execz .LBB197_879
; %bb.874:                              ;   in Loop: Header=BB197_542 Depth=1
	v_mov_b32_e32 v13, v6
	v_mov_b32_e32 v24, v14
	v_bfe_u32 v92, v91, 24, 7
	s_mov_b32 s17, exec_lo
	v_mov_b32_e32 v23, v13
	v_cmpx_ne_u32_e32 0x7f, v92
	s_cbranch_execz .LBB197_878
; %bb.875:                              ;   in Loop: Header=BB197_542 Depth=1
	v_and_b32_sdwa v5, v91, v49 dst_sel:DWORD dst_unused:UNUSED_PAD src0_sel:BYTE_3 src1_sel:DWORD
	v_lshrrev_b32_e32 v11, 3, v92
	s_mov_b32 s18, exec_lo
	v_cmpx_gt_u32_e32 8, v92
; %bb.876:                              ;   in Loop: Header=BB197_542 Depth=1
	v_ffbh_u32_e32 v11, v5
	v_min_u32_e32 v11, 32, v11
	v_subrev_nc_u32_e32 v13, 28, v11
	v_sub_nc_u32_e32 v11, 29, v11
	v_lshlrev_b64 v[23:24], v13, v[5:6]
	v_and_b32_e32 v5, 7, v23
; %bb.877:                              ;   in Loop: Header=BB197_542 Depth=1
	s_or_b32 exec_lo, exec_lo, s18
	v_lshlrev_b32_sdwa v13, v50, v91 dst_sel:DWORD dst_unused:UNUSED_PAD src0_sel:DWORD src1_sel:BYTE_3
	v_lshlrev_b32_e32 v5, 20, v5
	v_lshl_add_u32 v11, v11, 23, 0x3c000000
	v_mov_b32_e32 v23, v6
	v_and_b32_e32 v13, 0x80000000, v13
	v_or3_b32 v24, v5, v13, v11
.LBB197_878:                            ;   in Loop: Header=BB197_542 Depth=1
	s_or_b32 exec_lo, exec_lo, s17
.LBB197_879:                            ;   in Loop: Header=BB197_542 Depth=1
	s_or_b32 exec_lo, exec_lo, s16
.LBB197_880:                            ;   in Loop: Header=BB197_542 Depth=1
	s_or_b32 exec_lo, exec_lo, s15
	v_or_b32_e32 v5, v20, v18
	v_or_b32_e32 v11, v19, v17
	;; [unrolled: 1-line block ×4, first 2 shown]
	v_mul_f32_e32 v93, s14, v5
	v_mul_f32_e32 v94, s3, v11
	;; [unrolled: 1-line block ×4, first 2 shown]
	s_and_saveexec_b32 s15, vcc_lo
	s_cbranch_execz .LBB197_882
; %bb.881:                              ;   in Loop: Header=BB197_542 Depth=1
	v_cmp_gt_i32_e64 s1, s11, v56
	v_cndmask_b32_e64 v94, 0, v94, s1
	v_cmp_gt_i32_e64 s1, s11, v58
	v_cndmask_b32_e64 v93, 0, v93, s1
	;; [unrolled: 2-line block ×4, first 2 shown]
.LBB197_882:                            ;   in Loop: Header=BB197_542 Depth=1
	s_or_b32 exec_lo, exec_lo, s15
	global_load_dword v95, v[15:16], off offset:1280
	v_mov_b32_e32 v19, 0
	v_mov_b32_e32 v17, 0
	;; [unrolled: 1-line block ×4, first 2 shown]
	s_waitcnt vmcnt(0)
	v_cmp_ne_u16_sdwa s1, v95, v6 src0_sel:BYTE_0 src1_sel:DWORD
	s_and_saveexec_b32 s15, s1
	s_cbranch_execz .LBB197_890
; %bb.883:                              ;   in Loop: Header=BB197_542 Depth=1
	v_bfrev_b32_e32 v17, 1
	v_mov_b32_e32 v18, 0
	v_cmp_ne_u16_sdwa s1, v95, v46 src0_sel:BYTE_0 src1_sel:DWORD
	s_and_saveexec_b32 s16, s1
	s_cbranch_execz .LBB197_889
; %bb.884:                              ;   in Loop: Header=BB197_542 Depth=1
	v_mov_b32_e32 v17, 0x7f800001
	v_and_b32_e32 v13, 0x7f, v95
	v_mov_b32_e32 v18, 0
	s_mov_b32 s17, exec_lo
	v_cmpx_ne_u32_e32 0x7f, v13
	s_cbranch_execz .LBB197_888
; %bb.885:                              ;   in Loop: Header=BB197_542 Depth=1
	v_and_b32_e32 v5, 7, v95
	v_lshrrev_b32_e32 v11, 3, v13
	s_mov_b32 s18, exec_lo
	v_cmpx_gt_u32_e32 8, v13
; %bb.886:                              ;   in Loop: Header=BB197_542 Depth=1
	v_ffbh_u32_e32 v11, v5
	v_min_u32_e32 v11, 32, v11
	v_subrev_nc_u32_e32 v13, 28, v11
	v_sub_nc_u32_e32 v11, 29, v11
	v_lshlrev_b64 v[17:18], v13, v[5:6]
	v_and_b32_e32 v5, 7, v17
; %bb.887:                              ;   in Loop: Header=BB197_542 Depth=1
	s_or_b32 exec_lo, exec_lo, s18
	v_lshlrev_b32_e32 v13, 24, v95
	v_lshlrev_b32_e32 v5, 20, v5
	v_lshl_add_u32 v11, v11, 23, 0x3c000000
	v_and_b32_e32 v13, 0x80000000, v13
	v_or3_b32 v5, v5, v13, v11
	v_mov_b32_e32 v18, v6
	v_mov_b32_e32 v17, v5
.LBB197_888:                            ;   in Loop: Header=BB197_542 Depth=1
	s_or_b32 exec_lo, exec_lo, s17
.LBB197_889:                            ;   in Loop: Header=BB197_542 Depth=1
	s_or_b32 exec_lo, exec_lo, s16
.LBB197_890:                            ;   in Loop: Header=BB197_542 Depth=1
	s_or_b32 exec_lo, exec_lo, s15
	v_cmp_ne_u16_sdwa s1, v95, v6 src0_sel:BYTE_1 src1_sel:DWORD
	s_and_saveexec_b32 s15, s1
	s_cbranch_execz .LBB197_898
; %bb.891:                              ;   in Loop: Header=BB197_542 Depth=1
	v_mov_b32_e32 v11, v6
	v_mov_b32_e32 v20, v12
	v_cmp_ne_u16_sdwa s1, v95, v46 src0_sel:BYTE_1 src1_sel:DWORD
	v_mov_b32_e32 v19, v11
	s_and_saveexec_b32 s16, s1
	s_cbranch_execz .LBB197_897
; %bb.892:                              ;   in Loop: Header=BB197_542 Depth=1
	v_and_b32_sdwa v5, v47, v95 dst_sel:DWORD dst_unused:UNUSED_PAD src0_sel:DWORD src1_sel:BYTE_1
	v_mov_b32_e32 v13, v6
	v_mov_b32_e32 v20, v14
	s_mov_b32 s17, exec_lo
	v_and_b32_e32 v21, 0x7f, v5
	v_mov_b32_e32 v19, v13
	v_cmpx_ne_u32_e32 0x7f, v21
	s_cbranch_execz .LBB197_896
; %bb.893:                              ;   in Loop: Header=BB197_542 Depth=1
	v_and_b32_e32 v5, 7, v5
	v_lshrrev_b32_e32 v11, 3, v21
	s_mov_b32 s18, exec_lo
	v_cmpx_gt_u32_e32 8, v21
; %bb.894:                              ;   in Loop: Header=BB197_542 Depth=1
	v_ffbh_u32_e32 v11, v5
	v_min_u32_e32 v11, 32, v11
	v_subrev_nc_u32_e32 v13, 28, v11
	v_sub_nc_u32_e32 v11, 29, v11
	v_lshlrev_b64 v[19:20], v13, v[5:6]
	v_and_b32_e32 v5, 7, v19
; %bb.895:                              ;   in Loop: Header=BB197_542 Depth=1
	s_or_b32 exec_lo, exec_lo, s18
	v_lshlrev_b32_e32 v13, 16, v95
	v_lshlrev_b32_e32 v5, 20, v5
	v_lshl_add_u32 v11, v11, 23, 0x3c000000
	v_mov_b32_e32 v19, v6
	v_and_b32_e32 v13, 0x80000000, v13
	v_or3_b32 v20, v5, v13, v11
.LBB197_896:                            ;   in Loop: Header=BB197_542 Depth=1
	s_or_b32 exec_lo, exec_lo, s17
.LBB197_897:                            ;   in Loop: Header=BB197_542 Depth=1
	s_or_b32 exec_lo, exec_lo, s16
.LBB197_898:                            ;   in Loop: Header=BB197_542 Depth=1
	s_or_b32 exec_lo, exec_lo, s15
	v_mov_b32_e32 v23, 0
	v_mov_b32_e32 v21, 0
	v_and_b32_sdwa v5, v95, v48 dst_sel:DWORD dst_unused:UNUSED_PAD src0_sel:WORD_1 src1_sel:DWORD
	v_mov_b32_e32 v24, 0
	v_mov_b32_e32 v22, 0
	s_mov_b32 s15, exec_lo
	v_cmpx_ne_u16_e32 0, v5
	s_cbranch_execz .LBB197_906
; %bb.899:                              ;   in Loop: Header=BB197_542 Depth=1
	v_bfrev_b32_e32 v21, 1
	v_mov_b32_e32 v22, 0
	s_mov_b32 s16, exec_lo
	v_cmpx_ne_u16_e32 0x80, v5
	s_cbranch_execz .LBB197_905
; %bb.900:                              ;   in Loop: Header=BB197_542 Depth=1
	v_mov_b32_e32 v21, 0x7f800001
	v_bfe_u32 v13, v95, 16, 7
	v_mov_b32_e32 v22, 0
	s_mov_b32 s17, exec_lo
	v_cmpx_ne_u32_e32 0x7f, v13
	s_cbranch_execz .LBB197_904
; %bb.901:                              ;   in Loop: Header=BB197_542 Depth=1
	v_and_b32_sdwa v5, v95, v49 dst_sel:DWORD dst_unused:UNUSED_PAD src0_sel:WORD_1 src1_sel:DWORD
	v_lshrrev_b32_e32 v11, 3, v13
	s_mov_b32 s18, exec_lo
	v_cmpx_gt_u32_e32 8, v13
; %bb.902:                              ;   in Loop: Header=BB197_542 Depth=1
	v_ffbh_u32_e32 v11, v5
	v_min_u32_e32 v11, 32, v11
	v_subrev_nc_u32_e32 v13, 28, v11
	v_sub_nc_u32_e32 v11, 29, v11
	v_lshlrev_b64 v[21:22], v13, v[5:6]
	v_and_b32_e32 v5, 7, v21
; %bb.903:                              ;   in Loop: Header=BB197_542 Depth=1
	s_or_b32 exec_lo, exec_lo, s18
	v_lshlrev_b32_sdwa v13, v50, v95 dst_sel:DWORD dst_unused:UNUSED_PAD src0_sel:DWORD src1_sel:WORD_1
	v_lshlrev_b32_e32 v5, 20, v5
	v_lshl_add_u32 v11, v11, 23, 0x3c000000
	v_and_b32_e32 v13, 0x80000000, v13
	v_or3_b32 v5, v5, v13, v11
	v_mov_b32_e32 v22, v6
	v_mov_b32_e32 v21, v5
.LBB197_904:                            ;   in Loop: Header=BB197_542 Depth=1
	s_or_b32 exec_lo, exec_lo, s17
.LBB197_905:                            ;   in Loop: Header=BB197_542 Depth=1
	s_or_b32 exec_lo, exec_lo, s16
.LBB197_906:                            ;   in Loop: Header=BB197_542 Depth=1
	s_or_b32 exec_lo, exec_lo, s15
	s_mov_b32 s15, exec_lo
	v_cmpx_lt_u32_e32 0xffffff, v95
	s_cbranch_execz .LBB197_914
; %bb.907:                              ;   in Loop: Header=BB197_542 Depth=1
	v_mov_b32_e32 v11, v6
	v_mov_b32_e32 v24, v12
	v_cmp_ne_u32_sdwa s1, v95, v46 src0_sel:BYTE_3 src1_sel:DWORD
	v_mov_b32_e32 v23, v11
	s_and_saveexec_b32 s16, s1
	s_cbranch_execz .LBB197_913
; %bb.908:                              ;   in Loop: Header=BB197_542 Depth=1
	v_mov_b32_e32 v13, v6
	v_mov_b32_e32 v24, v14
	v_bfe_u32 v96, v95, 24, 7
	s_mov_b32 s17, exec_lo
	v_mov_b32_e32 v23, v13
	v_cmpx_ne_u32_e32 0x7f, v96
	s_cbranch_execz .LBB197_912
; %bb.909:                              ;   in Loop: Header=BB197_542 Depth=1
	v_and_b32_sdwa v5, v95, v49 dst_sel:DWORD dst_unused:UNUSED_PAD src0_sel:BYTE_3 src1_sel:DWORD
	v_lshrrev_b32_e32 v11, 3, v96
	s_mov_b32 s18, exec_lo
	v_cmpx_gt_u32_e32 8, v96
; %bb.910:                              ;   in Loop: Header=BB197_542 Depth=1
	v_ffbh_u32_e32 v11, v5
	v_min_u32_e32 v11, 32, v11
	v_subrev_nc_u32_e32 v13, 28, v11
	v_sub_nc_u32_e32 v11, 29, v11
	v_lshlrev_b64 v[23:24], v13, v[5:6]
	v_and_b32_e32 v5, 7, v23
; %bb.911:                              ;   in Loop: Header=BB197_542 Depth=1
	s_or_b32 exec_lo, exec_lo, s18
	v_lshlrev_b32_sdwa v13, v50, v95 dst_sel:DWORD dst_unused:UNUSED_PAD src0_sel:DWORD src1_sel:BYTE_3
	v_lshlrev_b32_e32 v5, 20, v5
	v_lshl_add_u32 v11, v11, 23, 0x3c000000
	v_mov_b32_e32 v23, v6
	v_and_b32_e32 v13, 0x80000000, v13
	v_or3_b32 v24, v5, v13, v11
.LBB197_912:                            ;   in Loop: Header=BB197_542 Depth=1
	s_or_b32 exec_lo, exec_lo, s17
.LBB197_913:                            ;   in Loop: Header=BB197_542 Depth=1
	s_or_b32 exec_lo, exec_lo, s16
.LBB197_914:                            ;   in Loop: Header=BB197_542 Depth=1
	s_or_b32 exec_lo, exec_lo, s15
	v_or_b32_e32 v5, v20, v18
	v_or_b32_e32 v11, v19, v17
	;; [unrolled: 1-line block ×4, first 2 shown]
	v_mul_f32_e32 v97, s14, v5
	v_mul_f32_e32 v98, s3, v11
	v_mul_f32_e32 v96, s3, v13
	v_mul_f32_e32 v95, s14, v17
	s_and_saveexec_b32 s15, vcc_lo
	s_cbranch_execz .LBB197_916
; %bb.915:                              ;   in Loop: Header=BB197_542 Depth=1
	v_cmp_gt_i32_e64 s1, s11, v56
	v_cndmask_b32_e64 v98, 0, v98, s1
	v_cmp_gt_i32_e64 s1, s11, v58
	v_cndmask_b32_e64 v97, 0, v97, s1
	;; [unrolled: 2-line block ×4, first 2 shown]
.LBB197_916:                            ;   in Loop: Header=BB197_542 Depth=1
	s_or_b32 exec_lo, exec_lo, s15
	global_load_dword v99, v[15:16], off offset:1408
	v_mov_b32_e32 v19, 0
	v_mov_b32_e32 v17, 0
	;; [unrolled: 1-line block ×4, first 2 shown]
	s_waitcnt vmcnt(0)
	v_cmp_ne_u16_sdwa s1, v99, v6 src0_sel:BYTE_0 src1_sel:DWORD
	s_and_saveexec_b32 s15, s1
	s_cbranch_execz .LBB197_924
; %bb.917:                              ;   in Loop: Header=BB197_542 Depth=1
	v_bfrev_b32_e32 v17, 1
	v_mov_b32_e32 v18, 0
	v_cmp_ne_u16_sdwa s1, v99, v46 src0_sel:BYTE_0 src1_sel:DWORD
	s_and_saveexec_b32 s16, s1
	s_cbranch_execz .LBB197_923
; %bb.918:                              ;   in Loop: Header=BB197_542 Depth=1
	v_mov_b32_e32 v17, 0x7f800001
	v_and_b32_e32 v13, 0x7f, v99
	v_mov_b32_e32 v18, 0
	s_mov_b32 s17, exec_lo
	v_cmpx_ne_u32_e32 0x7f, v13
	s_cbranch_execz .LBB197_922
; %bb.919:                              ;   in Loop: Header=BB197_542 Depth=1
	v_and_b32_e32 v5, 7, v99
	v_lshrrev_b32_e32 v11, 3, v13
	s_mov_b32 s18, exec_lo
	v_cmpx_gt_u32_e32 8, v13
; %bb.920:                              ;   in Loop: Header=BB197_542 Depth=1
	v_ffbh_u32_e32 v11, v5
	v_min_u32_e32 v11, 32, v11
	v_subrev_nc_u32_e32 v13, 28, v11
	v_sub_nc_u32_e32 v11, 29, v11
	v_lshlrev_b64 v[17:18], v13, v[5:6]
	v_and_b32_e32 v5, 7, v17
; %bb.921:                              ;   in Loop: Header=BB197_542 Depth=1
	s_or_b32 exec_lo, exec_lo, s18
	v_lshlrev_b32_e32 v13, 24, v99
	v_lshlrev_b32_e32 v5, 20, v5
	v_lshl_add_u32 v11, v11, 23, 0x3c000000
	v_and_b32_e32 v13, 0x80000000, v13
	v_or3_b32 v5, v5, v13, v11
	v_mov_b32_e32 v18, v6
	v_mov_b32_e32 v17, v5
.LBB197_922:                            ;   in Loop: Header=BB197_542 Depth=1
	s_or_b32 exec_lo, exec_lo, s17
.LBB197_923:                            ;   in Loop: Header=BB197_542 Depth=1
	s_or_b32 exec_lo, exec_lo, s16
.LBB197_924:                            ;   in Loop: Header=BB197_542 Depth=1
	s_or_b32 exec_lo, exec_lo, s15
	v_cmp_ne_u16_sdwa s1, v99, v6 src0_sel:BYTE_1 src1_sel:DWORD
	s_and_saveexec_b32 s15, s1
	s_cbranch_execz .LBB197_932
; %bb.925:                              ;   in Loop: Header=BB197_542 Depth=1
	v_mov_b32_e32 v11, v6
	v_mov_b32_e32 v20, v12
	v_cmp_ne_u16_sdwa s1, v99, v46 src0_sel:BYTE_1 src1_sel:DWORD
	v_mov_b32_e32 v19, v11
	s_and_saveexec_b32 s16, s1
	s_cbranch_execz .LBB197_931
; %bb.926:                              ;   in Loop: Header=BB197_542 Depth=1
	v_and_b32_sdwa v5, v47, v99 dst_sel:DWORD dst_unused:UNUSED_PAD src0_sel:DWORD src1_sel:BYTE_1
	v_mov_b32_e32 v13, v6
	v_mov_b32_e32 v20, v14
	s_mov_b32 s17, exec_lo
	v_and_b32_e32 v21, 0x7f, v5
	v_mov_b32_e32 v19, v13
	v_cmpx_ne_u32_e32 0x7f, v21
	s_cbranch_execz .LBB197_930
; %bb.927:                              ;   in Loop: Header=BB197_542 Depth=1
	v_and_b32_e32 v5, 7, v5
	v_lshrrev_b32_e32 v11, 3, v21
	s_mov_b32 s18, exec_lo
	v_cmpx_gt_u32_e32 8, v21
; %bb.928:                              ;   in Loop: Header=BB197_542 Depth=1
	v_ffbh_u32_e32 v11, v5
	v_min_u32_e32 v11, 32, v11
	v_subrev_nc_u32_e32 v13, 28, v11
	v_sub_nc_u32_e32 v11, 29, v11
	v_lshlrev_b64 v[19:20], v13, v[5:6]
	v_and_b32_e32 v5, 7, v19
; %bb.929:                              ;   in Loop: Header=BB197_542 Depth=1
	s_or_b32 exec_lo, exec_lo, s18
	v_lshlrev_b32_e32 v13, 16, v99
	v_lshlrev_b32_e32 v5, 20, v5
	v_lshl_add_u32 v11, v11, 23, 0x3c000000
	v_mov_b32_e32 v19, v6
	v_and_b32_e32 v13, 0x80000000, v13
	v_or3_b32 v20, v5, v13, v11
.LBB197_930:                            ;   in Loop: Header=BB197_542 Depth=1
	s_or_b32 exec_lo, exec_lo, s17
.LBB197_931:                            ;   in Loop: Header=BB197_542 Depth=1
	s_or_b32 exec_lo, exec_lo, s16
.LBB197_932:                            ;   in Loop: Header=BB197_542 Depth=1
	s_or_b32 exec_lo, exec_lo, s15
	v_mov_b32_e32 v23, 0
	v_mov_b32_e32 v21, 0
	v_and_b32_sdwa v5, v99, v48 dst_sel:DWORD dst_unused:UNUSED_PAD src0_sel:WORD_1 src1_sel:DWORD
	v_mov_b32_e32 v24, 0
	v_mov_b32_e32 v22, 0
	s_mov_b32 s15, exec_lo
	v_cmpx_ne_u16_e32 0, v5
	s_cbranch_execz .LBB197_940
; %bb.933:                              ;   in Loop: Header=BB197_542 Depth=1
	v_bfrev_b32_e32 v21, 1
	v_mov_b32_e32 v22, 0
	s_mov_b32 s16, exec_lo
	v_cmpx_ne_u16_e32 0x80, v5
	s_cbranch_execz .LBB197_939
; %bb.934:                              ;   in Loop: Header=BB197_542 Depth=1
	v_mov_b32_e32 v21, 0x7f800001
	v_bfe_u32 v13, v99, 16, 7
	v_mov_b32_e32 v22, 0
	s_mov_b32 s17, exec_lo
	v_cmpx_ne_u32_e32 0x7f, v13
	s_cbranch_execz .LBB197_938
; %bb.935:                              ;   in Loop: Header=BB197_542 Depth=1
	v_and_b32_sdwa v5, v99, v49 dst_sel:DWORD dst_unused:UNUSED_PAD src0_sel:WORD_1 src1_sel:DWORD
	v_lshrrev_b32_e32 v11, 3, v13
	s_mov_b32 s18, exec_lo
	v_cmpx_gt_u32_e32 8, v13
; %bb.936:                              ;   in Loop: Header=BB197_542 Depth=1
	v_ffbh_u32_e32 v11, v5
	v_min_u32_e32 v11, 32, v11
	v_subrev_nc_u32_e32 v13, 28, v11
	v_sub_nc_u32_e32 v11, 29, v11
	v_lshlrev_b64 v[21:22], v13, v[5:6]
	v_and_b32_e32 v5, 7, v21
; %bb.937:                              ;   in Loop: Header=BB197_542 Depth=1
	s_or_b32 exec_lo, exec_lo, s18
	v_lshlrev_b32_sdwa v13, v50, v99 dst_sel:DWORD dst_unused:UNUSED_PAD src0_sel:DWORD src1_sel:WORD_1
	v_lshlrev_b32_e32 v5, 20, v5
	v_lshl_add_u32 v11, v11, 23, 0x3c000000
	v_and_b32_e32 v13, 0x80000000, v13
	v_or3_b32 v5, v5, v13, v11
	v_mov_b32_e32 v22, v6
	v_mov_b32_e32 v21, v5
.LBB197_938:                            ;   in Loop: Header=BB197_542 Depth=1
	s_or_b32 exec_lo, exec_lo, s17
.LBB197_939:                            ;   in Loop: Header=BB197_542 Depth=1
	s_or_b32 exec_lo, exec_lo, s16
.LBB197_940:                            ;   in Loop: Header=BB197_542 Depth=1
	s_or_b32 exec_lo, exec_lo, s15
	s_mov_b32 s15, exec_lo
	v_cmpx_lt_u32_e32 0xffffff, v99
	s_cbranch_execz .LBB197_948
; %bb.941:                              ;   in Loop: Header=BB197_542 Depth=1
	v_mov_b32_e32 v11, v6
	v_mov_b32_e32 v24, v12
	v_cmp_ne_u32_sdwa s1, v99, v46 src0_sel:BYTE_3 src1_sel:DWORD
	v_mov_b32_e32 v23, v11
	s_and_saveexec_b32 s16, s1
	s_cbranch_execz .LBB197_947
; %bb.942:                              ;   in Loop: Header=BB197_542 Depth=1
	v_mov_b32_e32 v13, v6
	v_mov_b32_e32 v24, v14
	v_bfe_u32 v100, v99, 24, 7
	s_mov_b32 s17, exec_lo
	v_mov_b32_e32 v23, v13
	v_cmpx_ne_u32_e32 0x7f, v100
	s_cbranch_execz .LBB197_946
; %bb.943:                              ;   in Loop: Header=BB197_542 Depth=1
	v_and_b32_sdwa v5, v99, v49 dst_sel:DWORD dst_unused:UNUSED_PAD src0_sel:BYTE_3 src1_sel:DWORD
	v_lshrrev_b32_e32 v11, 3, v100
	s_mov_b32 s18, exec_lo
	v_cmpx_gt_u32_e32 8, v100
; %bb.944:                              ;   in Loop: Header=BB197_542 Depth=1
	v_ffbh_u32_e32 v11, v5
	v_min_u32_e32 v11, 32, v11
	v_subrev_nc_u32_e32 v13, 28, v11
	v_sub_nc_u32_e32 v11, 29, v11
	v_lshlrev_b64 v[23:24], v13, v[5:6]
	v_and_b32_e32 v5, 7, v23
; %bb.945:                              ;   in Loop: Header=BB197_542 Depth=1
	s_or_b32 exec_lo, exec_lo, s18
	v_lshlrev_b32_sdwa v13, v50, v99 dst_sel:DWORD dst_unused:UNUSED_PAD src0_sel:DWORD src1_sel:BYTE_3
	v_lshlrev_b32_e32 v5, 20, v5
	v_lshl_add_u32 v11, v11, 23, 0x3c000000
	v_mov_b32_e32 v23, v6
	v_and_b32_e32 v13, 0x80000000, v13
	v_or3_b32 v24, v5, v13, v11
.LBB197_946:                            ;   in Loop: Header=BB197_542 Depth=1
	s_or_b32 exec_lo, exec_lo, s17
.LBB197_947:                            ;   in Loop: Header=BB197_542 Depth=1
	s_or_b32 exec_lo, exec_lo, s16
.LBB197_948:                            ;   in Loop: Header=BB197_542 Depth=1
	s_or_b32 exec_lo, exec_lo, s15
	v_or_b32_e32 v5, v20, v18
	v_or_b32_e32 v11, v19, v17
	;; [unrolled: 1-line block ×4, first 2 shown]
	v_mul_f32_e32 v101, s14, v5
	v_mul_f32_e32 v102, s3, v11
	;; [unrolled: 1-line block ×4, first 2 shown]
	s_and_saveexec_b32 s15, vcc_lo
	s_cbranch_execz .LBB197_950
; %bb.949:                              ;   in Loop: Header=BB197_542 Depth=1
	v_cmp_gt_i32_e64 s1, s11, v56
	v_cndmask_b32_e64 v102, 0, v102, s1
	v_cmp_gt_i32_e64 s1, s11, v58
	v_cndmask_b32_e64 v101, 0, v101, s1
	;; [unrolled: 2-line block ×4, first 2 shown]
.LBB197_950:                            ;   in Loop: Header=BB197_542 Depth=1
	s_or_b32 exec_lo, exec_lo, s15
	global_load_dword v103, v[15:16], off offset:1536
	v_mov_b32_e32 v19, 0
	v_mov_b32_e32 v17, 0
	;; [unrolled: 1-line block ×4, first 2 shown]
	s_waitcnt vmcnt(0)
	v_cmp_ne_u16_sdwa s1, v103, v6 src0_sel:BYTE_0 src1_sel:DWORD
	s_and_saveexec_b32 s15, s1
	s_cbranch_execz .LBB197_958
; %bb.951:                              ;   in Loop: Header=BB197_542 Depth=1
	v_bfrev_b32_e32 v17, 1
	v_mov_b32_e32 v18, 0
	v_cmp_ne_u16_sdwa s1, v103, v46 src0_sel:BYTE_0 src1_sel:DWORD
	s_and_saveexec_b32 s16, s1
	s_cbranch_execz .LBB197_957
; %bb.952:                              ;   in Loop: Header=BB197_542 Depth=1
	v_mov_b32_e32 v17, 0x7f800001
	v_and_b32_e32 v13, 0x7f, v103
	v_mov_b32_e32 v18, 0
	s_mov_b32 s17, exec_lo
	v_cmpx_ne_u32_e32 0x7f, v13
	s_cbranch_execz .LBB197_956
; %bb.953:                              ;   in Loop: Header=BB197_542 Depth=1
	v_and_b32_e32 v5, 7, v103
	v_lshrrev_b32_e32 v11, 3, v13
	s_mov_b32 s18, exec_lo
	v_cmpx_gt_u32_e32 8, v13
; %bb.954:                              ;   in Loop: Header=BB197_542 Depth=1
	v_ffbh_u32_e32 v11, v5
	v_min_u32_e32 v11, 32, v11
	v_subrev_nc_u32_e32 v13, 28, v11
	v_sub_nc_u32_e32 v11, 29, v11
	v_lshlrev_b64 v[17:18], v13, v[5:6]
	v_and_b32_e32 v5, 7, v17
; %bb.955:                              ;   in Loop: Header=BB197_542 Depth=1
	s_or_b32 exec_lo, exec_lo, s18
	v_lshlrev_b32_e32 v13, 24, v103
	v_lshlrev_b32_e32 v5, 20, v5
	v_lshl_add_u32 v11, v11, 23, 0x3c000000
	v_and_b32_e32 v13, 0x80000000, v13
	v_or3_b32 v5, v5, v13, v11
	v_mov_b32_e32 v18, v6
	v_mov_b32_e32 v17, v5
.LBB197_956:                            ;   in Loop: Header=BB197_542 Depth=1
	s_or_b32 exec_lo, exec_lo, s17
.LBB197_957:                            ;   in Loop: Header=BB197_542 Depth=1
	s_or_b32 exec_lo, exec_lo, s16
.LBB197_958:                            ;   in Loop: Header=BB197_542 Depth=1
	s_or_b32 exec_lo, exec_lo, s15
	v_cmp_ne_u16_sdwa s1, v103, v6 src0_sel:BYTE_1 src1_sel:DWORD
	s_and_saveexec_b32 s15, s1
	s_cbranch_execz .LBB197_966
; %bb.959:                              ;   in Loop: Header=BB197_542 Depth=1
	v_mov_b32_e32 v11, v6
	v_mov_b32_e32 v20, v12
	v_cmp_ne_u16_sdwa s1, v103, v46 src0_sel:BYTE_1 src1_sel:DWORD
	v_mov_b32_e32 v19, v11
	s_and_saveexec_b32 s16, s1
	s_cbranch_execz .LBB197_965
; %bb.960:                              ;   in Loop: Header=BB197_542 Depth=1
	v_and_b32_sdwa v5, v47, v103 dst_sel:DWORD dst_unused:UNUSED_PAD src0_sel:DWORD src1_sel:BYTE_1
	v_mov_b32_e32 v13, v6
	v_mov_b32_e32 v20, v14
	s_mov_b32 s17, exec_lo
	v_and_b32_e32 v21, 0x7f, v5
	v_mov_b32_e32 v19, v13
	v_cmpx_ne_u32_e32 0x7f, v21
	s_cbranch_execz .LBB197_964
; %bb.961:                              ;   in Loop: Header=BB197_542 Depth=1
	v_and_b32_e32 v5, 7, v5
	v_lshrrev_b32_e32 v11, 3, v21
	s_mov_b32 s18, exec_lo
	v_cmpx_gt_u32_e32 8, v21
; %bb.962:                              ;   in Loop: Header=BB197_542 Depth=1
	v_ffbh_u32_e32 v11, v5
	v_min_u32_e32 v11, 32, v11
	v_subrev_nc_u32_e32 v13, 28, v11
	v_sub_nc_u32_e32 v11, 29, v11
	v_lshlrev_b64 v[19:20], v13, v[5:6]
	v_and_b32_e32 v5, 7, v19
; %bb.963:                              ;   in Loop: Header=BB197_542 Depth=1
	s_or_b32 exec_lo, exec_lo, s18
	v_lshlrev_b32_e32 v13, 16, v103
	v_lshlrev_b32_e32 v5, 20, v5
	v_lshl_add_u32 v11, v11, 23, 0x3c000000
	v_mov_b32_e32 v19, v6
	v_and_b32_e32 v13, 0x80000000, v13
	v_or3_b32 v20, v5, v13, v11
.LBB197_964:                            ;   in Loop: Header=BB197_542 Depth=1
	s_or_b32 exec_lo, exec_lo, s17
.LBB197_965:                            ;   in Loop: Header=BB197_542 Depth=1
	s_or_b32 exec_lo, exec_lo, s16
.LBB197_966:                            ;   in Loop: Header=BB197_542 Depth=1
	s_or_b32 exec_lo, exec_lo, s15
	v_mov_b32_e32 v23, 0
	v_mov_b32_e32 v21, 0
	v_and_b32_sdwa v5, v103, v48 dst_sel:DWORD dst_unused:UNUSED_PAD src0_sel:WORD_1 src1_sel:DWORD
	v_mov_b32_e32 v24, 0
	v_mov_b32_e32 v22, 0
	s_mov_b32 s15, exec_lo
	v_cmpx_ne_u16_e32 0, v5
	s_cbranch_execz .LBB197_974
; %bb.967:                              ;   in Loop: Header=BB197_542 Depth=1
	v_bfrev_b32_e32 v21, 1
	v_mov_b32_e32 v22, 0
	s_mov_b32 s16, exec_lo
	v_cmpx_ne_u16_e32 0x80, v5
	s_cbranch_execz .LBB197_973
; %bb.968:                              ;   in Loop: Header=BB197_542 Depth=1
	v_mov_b32_e32 v21, 0x7f800001
	v_bfe_u32 v13, v103, 16, 7
	v_mov_b32_e32 v22, 0
	s_mov_b32 s17, exec_lo
	v_cmpx_ne_u32_e32 0x7f, v13
	s_cbranch_execz .LBB197_972
; %bb.969:                              ;   in Loop: Header=BB197_542 Depth=1
	v_and_b32_sdwa v5, v103, v49 dst_sel:DWORD dst_unused:UNUSED_PAD src0_sel:WORD_1 src1_sel:DWORD
	v_lshrrev_b32_e32 v11, 3, v13
	s_mov_b32 s18, exec_lo
	v_cmpx_gt_u32_e32 8, v13
; %bb.970:                              ;   in Loop: Header=BB197_542 Depth=1
	v_ffbh_u32_e32 v11, v5
	v_min_u32_e32 v11, 32, v11
	v_subrev_nc_u32_e32 v13, 28, v11
	v_sub_nc_u32_e32 v11, 29, v11
	v_lshlrev_b64 v[21:22], v13, v[5:6]
	v_and_b32_e32 v5, 7, v21
; %bb.971:                              ;   in Loop: Header=BB197_542 Depth=1
	s_or_b32 exec_lo, exec_lo, s18
	v_lshlrev_b32_sdwa v13, v50, v103 dst_sel:DWORD dst_unused:UNUSED_PAD src0_sel:DWORD src1_sel:WORD_1
	v_lshlrev_b32_e32 v5, 20, v5
	v_lshl_add_u32 v11, v11, 23, 0x3c000000
	v_and_b32_e32 v13, 0x80000000, v13
	v_or3_b32 v5, v5, v13, v11
	v_mov_b32_e32 v22, v6
	v_mov_b32_e32 v21, v5
.LBB197_972:                            ;   in Loop: Header=BB197_542 Depth=1
	s_or_b32 exec_lo, exec_lo, s17
.LBB197_973:                            ;   in Loop: Header=BB197_542 Depth=1
	s_or_b32 exec_lo, exec_lo, s16
.LBB197_974:                            ;   in Loop: Header=BB197_542 Depth=1
	s_or_b32 exec_lo, exec_lo, s15
	s_mov_b32 s15, exec_lo
	v_cmpx_lt_u32_e32 0xffffff, v103
	s_cbranch_execz .LBB197_982
; %bb.975:                              ;   in Loop: Header=BB197_542 Depth=1
	v_mov_b32_e32 v11, v6
	v_mov_b32_e32 v24, v12
	v_cmp_ne_u32_sdwa s1, v103, v46 src0_sel:BYTE_3 src1_sel:DWORD
	v_mov_b32_e32 v23, v11
	s_and_saveexec_b32 s16, s1
	s_cbranch_execz .LBB197_981
; %bb.976:                              ;   in Loop: Header=BB197_542 Depth=1
	v_mov_b32_e32 v13, v6
	v_mov_b32_e32 v24, v14
	v_bfe_u32 v104, v103, 24, 7
	s_mov_b32 s17, exec_lo
	v_mov_b32_e32 v23, v13
	v_cmpx_ne_u32_e32 0x7f, v104
	s_cbranch_execz .LBB197_980
; %bb.977:                              ;   in Loop: Header=BB197_542 Depth=1
	v_and_b32_sdwa v5, v103, v49 dst_sel:DWORD dst_unused:UNUSED_PAD src0_sel:BYTE_3 src1_sel:DWORD
	v_lshrrev_b32_e32 v11, 3, v104
	s_mov_b32 s18, exec_lo
	v_cmpx_gt_u32_e32 8, v104
; %bb.978:                              ;   in Loop: Header=BB197_542 Depth=1
	v_ffbh_u32_e32 v11, v5
	v_min_u32_e32 v11, 32, v11
	v_subrev_nc_u32_e32 v13, 28, v11
	v_sub_nc_u32_e32 v11, 29, v11
	v_lshlrev_b64 v[23:24], v13, v[5:6]
	v_and_b32_e32 v5, 7, v23
; %bb.979:                              ;   in Loop: Header=BB197_542 Depth=1
	s_or_b32 exec_lo, exec_lo, s18
	v_lshlrev_b32_sdwa v13, v50, v103 dst_sel:DWORD dst_unused:UNUSED_PAD src0_sel:DWORD src1_sel:BYTE_3
	v_lshlrev_b32_e32 v5, 20, v5
	v_lshl_add_u32 v11, v11, 23, 0x3c000000
	v_mov_b32_e32 v23, v6
	v_and_b32_e32 v13, 0x80000000, v13
	v_or3_b32 v24, v5, v13, v11
.LBB197_980:                            ;   in Loop: Header=BB197_542 Depth=1
	s_or_b32 exec_lo, exec_lo, s17
.LBB197_981:                            ;   in Loop: Header=BB197_542 Depth=1
	s_or_b32 exec_lo, exec_lo, s16
.LBB197_982:                            ;   in Loop: Header=BB197_542 Depth=1
	s_or_b32 exec_lo, exec_lo, s15
	v_or_b32_e32 v5, v20, v18
	v_or_b32_e32 v11, v19, v17
	;; [unrolled: 1-line block ×4, first 2 shown]
	v_mul_f32_e32 v105, s14, v5
	v_mul_f32_e32 v106, s3, v11
	;; [unrolled: 1-line block ×4, first 2 shown]
	s_and_saveexec_b32 s15, vcc_lo
	s_cbranch_execz .LBB197_984
; %bb.983:                              ;   in Loop: Header=BB197_542 Depth=1
	v_cmp_gt_i32_e64 s1, s11, v56
	v_cndmask_b32_e64 v106, 0, v106, s1
	v_cmp_gt_i32_e64 s1, s11, v58
	v_cndmask_b32_e64 v105, 0, v105, s1
	;; [unrolled: 2-line block ×4, first 2 shown]
.LBB197_984:                            ;   in Loop: Header=BB197_542 Depth=1
	s_or_b32 exec_lo, exec_lo, s15
	global_load_dword v107, v[15:16], off offset:1664
	v_mov_b32_e32 v19, 0
	v_mov_b32_e32 v17, 0
	;; [unrolled: 1-line block ×4, first 2 shown]
	s_waitcnt vmcnt(0)
	v_cmp_ne_u16_sdwa s1, v107, v6 src0_sel:BYTE_0 src1_sel:DWORD
	s_and_saveexec_b32 s15, s1
	s_cbranch_execz .LBB197_992
; %bb.985:                              ;   in Loop: Header=BB197_542 Depth=1
	v_bfrev_b32_e32 v17, 1
	v_mov_b32_e32 v18, 0
	v_cmp_ne_u16_sdwa s1, v107, v46 src0_sel:BYTE_0 src1_sel:DWORD
	s_and_saveexec_b32 s16, s1
	s_cbranch_execz .LBB197_991
; %bb.986:                              ;   in Loop: Header=BB197_542 Depth=1
	v_mov_b32_e32 v17, 0x7f800001
	v_and_b32_e32 v13, 0x7f, v107
	v_mov_b32_e32 v18, 0
	s_mov_b32 s17, exec_lo
	v_cmpx_ne_u32_e32 0x7f, v13
	s_cbranch_execz .LBB197_990
; %bb.987:                              ;   in Loop: Header=BB197_542 Depth=1
	v_and_b32_e32 v5, 7, v107
	v_lshrrev_b32_e32 v11, 3, v13
	s_mov_b32 s18, exec_lo
	v_cmpx_gt_u32_e32 8, v13
; %bb.988:                              ;   in Loop: Header=BB197_542 Depth=1
	v_ffbh_u32_e32 v11, v5
	v_min_u32_e32 v11, 32, v11
	v_subrev_nc_u32_e32 v13, 28, v11
	v_sub_nc_u32_e32 v11, 29, v11
	v_lshlrev_b64 v[17:18], v13, v[5:6]
	v_and_b32_e32 v5, 7, v17
; %bb.989:                              ;   in Loop: Header=BB197_542 Depth=1
	s_or_b32 exec_lo, exec_lo, s18
	v_lshlrev_b32_e32 v13, 24, v107
	v_lshlrev_b32_e32 v5, 20, v5
	v_lshl_add_u32 v11, v11, 23, 0x3c000000
	v_and_b32_e32 v13, 0x80000000, v13
	v_or3_b32 v5, v5, v13, v11
	v_mov_b32_e32 v18, v6
	v_mov_b32_e32 v17, v5
.LBB197_990:                            ;   in Loop: Header=BB197_542 Depth=1
	s_or_b32 exec_lo, exec_lo, s17
.LBB197_991:                            ;   in Loop: Header=BB197_542 Depth=1
	s_or_b32 exec_lo, exec_lo, s16
.LBB197_992:                            ;   in Loop: Header=BB197_542 Depth=1
	s_or_b32 exec_lo, exec_lo, s15
	v_cmp_ne_u16_sdwa s1, v107, v6 src0_sel:BYTE_1 src1_sel:DWORD
	s_and_saveexec_b32 s15, s1
	s_cbranch_execz .LBB197_1000
; %bb.993:                              ;   in Loop: Header=BB197_542 Depth=1
	v_mov_b32_e32 v11, v6
	v_mov_b32_e32 v20, v12
	v_cmp_ne_u16_sdwa s1, v107, v46 src0_sel:BYTE_1 src1_sel:DWORD
	v_mov_b32_e32 v19, v11
	s_and_saveexec_b32 s16, s1
	s_cbranch_execz .LBB197_999
; %bb.994:                              ;   in Loop: Header=BB197_542 Depth=1
	v_and_b32_sdwa v5, v47, v107 dst_sel:DWORD dst_unused:UNUSED_PAD src0_sel:DWORD src1_sel:BYTE_1
	v_mov_b32_e32 v13, v6
	v_mov_b32_e32 v20, v14
	s_mov_b32 s17, exec_lo
	v_and_b32_e32 v21, 0x7f, v5
	v_mov_b32_e32 v19, v13
	v_cmpx_ne_u32_e32 0x7f, v21
	s_cbranch_execz .LBB197_998
; %bb.995:                              ;   in Loop: Header=BB197_542 Depth=1
	v_and_b32_e32 v5, 7, v5
	v_lshrrev_b32_e32 v11, 3, v21
	s_mov_b32 s18, exec_lo
	v_cmpx_gt_u32_e32 8, v21
; %bb.996:                              ;   in Loop: Header=BB197_542 Depth=1
	v_ffbh_u32_e32 v11, v5
	v_min_u32_e32 v11, 32, v11
	v_subrev_nc_u32_e32 v13, 28, v11
	v_sub_nc_u32_e32 v11, 29, v11
	v_lshlrev_b64 v[19:20], v13, v[5:6]
	v_and_b32_e32 v5, 7, v19
; %bb.997:                              ;   in Loop: Header=BB197_542 Depth=1
	s_or_b32 exec_lo, exec_lo, s18
	v_lshlrev_b32_e32 v13, 16, v107
	v_lshlrev_b32_e32 v5, 20, v5
	v_lshl_add_u32 v11, v11, 23, 0x3c000000
	v_mov_b32_e32 v19, v6
	v_and_b32_e32 v13, 0x80000000, v13
	v_or3_b32 v20, v5, v13, v11
.LBB197_998:                            ;   in Loop: Header=BB197_542 Depth=1
	s_or_b32 exec_lo, exec_lo, s17
.LBB197_999:                            ;   in Loop: Header=BB197_542 Depth=1
	s_or_b32 exec_lo, exec_lo, s16
.LBB197_1000:                           ;   in Loop: Header=BB197_542 Depth=1
	s_or_b32 exec_lo, exec_lo, s15
	v_mov_b32_e32 v23, 0
	v_mov_b32_e32 v21, 0
	v_and_b32_sdwa v5, v107, v48 dst_sel:DWORD dst_unused:UNUSED_PAD src0_sel:WORD_1 src1_sel:DWORD
	v_mov_b32_e32 v24, 0
	v_mov_b32_e32 v22, 0
	s_mov_b32 s15, exec_lo
	v_cmpx_ne_u16_e32 0, v5
	s_cbranch_execz .LBB197_1008
; %bb.1001:                             ;   in Loop: Header=BB197_542 Depth=1
	v_bfrev_b32_e32 v21, 1
	v_mov_b32_e32 v22, 0
	s_mov_b32 s16, exec_lo
	v_cmpx_ne_u16_e32 0x80, v5
	s_cbranch_execz .LBB197_1007
; %bb.1002:                             ;   in Loop: Header=BB197_542 Depth=1
	v_mov_b32_e32 v21, 0x7f800001
	v_bfe_u32 v13, v107, 16, 7
	v_mov_b32_e32 v22, 0
	s_mov_b32 s17, exec_lo
	v_cmpx_ne_u32_e32 0x7f, v13
	s_cbranch_execz .LBB197_1006
; %bb.1003:                             ;   in Loop: Header=BB197_542 Depth=1
	v_and_b32_sdwa v5, v107, v49 dst_sel:DWORD dst_unused:UNUSED_PAD src0_sel:WORD_1 src1_sel:DWORD
	v_lshrrev_b32_e32 v11, 3, v13
	s_mov_b32 s18, exec_lo
	v_cmpx_gt_u32_e32 8, v13
; %bb.1004:                             ;   in Loop: Header=BB197_542 Depth=1
	v_ffbh_u32_e32 v11, v5
	v_min_u32_e32 v11, 32, v11
	v_subrev_nc_u32_e32 v13, 28, v11
	v_sub_nc_u32_e32 v11, 29, v11
	v_lshlrev_b64 v[21:22], v13, v[5:6]
	v_and_b32_e32 v5, 7, v21
; %bb.1005:                             ;   in Loop: Header=BB197_542 Depth=1
	s_or_b32 exec_lo, exec_lo, s18
	v_lshlrev_b32_sdwa v13, v50, v107 dst_sel:DWORD dst_unused:UNUSED_PAD src0_sel:DWORD src1_sel:WORD_1
	v_lshlrev_b32_e32 v5, 20, v5
	v_lshl_add_u32 v11, v11, 23, 0x3c000000
	v_and_b32_e32 v13, 0x80000000, v13
	v_or3_b32 v5, v5, v13, v11
	v_mov_b32_e32 v22, v6
	v_mov_b32_e32 v21, v5
.LBB197_1006:                           ;   in Loop: Header=BB197_542 Depth=1
	s_or_b32 exec_lo, exec_lo, s17
.LBB197_1007:                           ;   in Loop: Header=BB197_542 Depth=1
	s_or_b32 exec_lo, exec_lo, s16
.LBB197_1008:                           ;   in Loop: Header=BB197_542 Depth=1
	s_or_b32 exec_lo, exec_lo, s15
	s_mov_b32 s15, exec_lo
	v_cmpx_lt_u32_e32 0xffffff, v107
	s_cbranch_execz .LBB197_1016
; %bb.1009:                             ;   in Loop: Header=BB197_542 Depth=1
	v_mov_b32_e32 v11, v6
	v_mov_b32_e32 v24, v12
	v_cmp_ne_u32_sdwa s1, v107, v46 src0_sel:BYTE_3 src1_sel:DWORD
	v_mov_b32_e32 v23, v11
	s_and_saveexec_b32 s16, s1
	s_cbranch_execz .LBB197_1015
; %bb.1010:                             ;   in Loop: Header=BB197_542 Depth=1
	v_mov_b32_e32 v13, v6
	v_mov_b32_e32 v24, v14
	v_bfe_u32 v108, v107, 24, 7
	s_mov_b32 s17, exec_lo
	v_mov_b32_e32 v23, v13
	v_cmpx_ne_u32_e32 0x7f, v108
	s_cbranch_execz .LBB197_1014
; %bb.1011:                             ;   in Loop: Header=BB197_542 Depth=1
	v_and_b32_sdwa v5, v107, v49 dst_sel:DWORD dst_unused:UNUSED_PAD src0_sel:BYTE_3 src1_sel:DWORD
	v_lshrrev_b32_e32 v11, 3, v108
	s_mov_b32 s18, exec_lo
	v_cmpx_gt_u32_e32 8, v108
; %bb.1012:                             ;   in Loop: Header=BB197_542 Depth=1
	v_ffbh_u32_e32 v11, v5
	v_min_u32_e32 v11, 32, v11
	v_subrev_nc_u32_e32 v13, 28, v11
	v_sub_nc_u32_e32 v11, 29, v11
	v_lshlrev_b64 v[23:24], v13, v[5:6]
	v_and_b32_e32 v5, 7, v23
; %bb.1013:                             ;   in Loop: Header=BB197_542 Depth=1
	s_or_b32 exec_lo, exec_lo, s18
	v_lshlrev_b32_sdwa v13, v50, v107 dst_sel:DWORD dst_unused:UNUSED_PAD src0_sel:DWORD src1_sel:BYTE_3
	v_lshlrev_b32_e32 v5, 20, v5
	v_lshl_add_u32 v11, v11, 23, 0x3c000000
	v_mov_b32_e32 v23, v6
	v_and_b32_e32 v13, 0x80000000, v13
	v_or3_b32 v24, v5, v13, v11
.LBB197_1014:                           ;   in Loop: Header=BB197_542 Depth=1
	s_or_b32 exec_lo, exec_lo, s17
.LBB197_1015:                           ;   in Loop: Header=BB197_542 Depth=1
	s_or_b32 exec_lo, exec_lo, s16
.LBB197_1016:                           ;   in Loop: Header=BB197_542 Depth=1
	s_or_b32 exec_lo, exec_lo, s15
	v_or_b32_e32 v5, v20, v18
	v_or_b32_e32 v11, v19, v17
	;; [unrolled: 1-line block ×4, first 2 shown]
	v_mul_f32_e32 v109, s14, v5
	v_mul_f32_e32 v110, s3, v11
	v_mul_f32_e32 v108, s3, v13
	v_mul_f32_e32 v107, s14, v17
	s_and_saveexec_b32 s15, vcc_lo
	s_cbranch_execz .LBB197_1018
; %bb.1017:                             ;   in Loop: Header=BB197_542 Depth=1
	v_cmp_gt_i32_e64 s1, s11, v56
	v_cndmask_b32_e64 v110, 0, v110, s1
	v_cmp_gt_i32_e64 s1, s11, v58
	v_cndmask_b32_e64 v109, 0, v109, s1
	;; [unrolled: 2-line block ×4, first 2 shown]
.LBB197_1018:                           ;   in Loop: Header=BB197_542 Depth=1
	s_or_b32 exec_lo, exec_lo, s15
	global_load_dword v111, v[15:16], off offset:1792
	v_mov_b32_e32 v19, 0
	v_mov_b32_e32 v17, 0
	;; [unrolled: 1-line block ×4, first 2 shown]
	s_waitcnt vmcnt(0)
	v_cmp_ne_u16_sdwa s1, v111, v6 src0_sel:BYTE_0 src1_sel:DWORD
	s_and_saveexec_b32 s15, s1
	s_cbranch_execz .LBB197_1026
; %bb.1019:                             ;   in Loop: Header=BB197_542 Depth=1
	v_bfrev_b32_e32 v17, 1
	v_mov_b32_e32 v18, 0
	v_cmp_ne_u16_sdwa s1, v111, v46 src0_sel:BYTE_0 src1_sel:DWORD
	s_and_saveexec_b32 s16, s1
	s_cbranch_execz .LBB197_1025
; %bb.1020:                             ;   in Loop: Header=BB197_542 Depth=1
	v_mov_b32_e32 v17, 0x7f800001
	v_and_b32_e32 v13, 0x7f, v111
	v_mov_b32_e32 v18, 0
	s_mov_b32 s17, exec_lo
	v_cmpx_ne_u32_e32 0x7f, v13
	s_cbranch_execz .LBB197_1024
; %bb.1021:                             ;   in Loop: Header=BB197_542 Depth=1
	v_and_b32_e32 v5, 7, v111
	v_lshrrev_b32_e32 v11, 3, v13
	s_mov_b32 s18, exec_lo
	v_cmpx_gt_u32_e32 8, v13
; %bb.1022:                             ;   in Loop: Header=BB197_542 Depth=1
	v_ffbh_u32_e32 v11, v5
	v_min_u32_e32 v11, 32, v11
	v_subrev_nc_u32_e32 v13, 28, v11
	v_sub_nc_u32_e32 v11, 29, v11
	v_lshlrev_b64 v[17:18], v13, v[5:6]
	v_and_b32_e32 v5, 7, v17
; %bb.1023:                             ;   in Loop: Header=BB197_542 Depth=1
	s_or_b32 exec_lo, exec_lo, s18
	v_lshlrev_b32_e32 v13, 24, v111
	v_lshlrev_b32_e32 v5, 20, v5
	v_lshl_add_u32 v11, v11, 23, 0x3c000000
	v_and_b32_e32 v13, 0x80000000, v13
	v_or3_b32 v5, v5, v13, v11
	v_mov_b32_e32 v18, v6
	v_mov_b32_e32 v17, v5
.LBB197_1024:                           ;   in Loop: Header=BB197_542 Depth=1
	s_or_b32 exec_lo, exec_lo, s17
.LBB197_1025:                           ;   in Loop: Header=BB197_542 Depth=1
	s_or_b32 exec_lo, exec_lo, s16
.LBB197_1026:                           ;   in Loop: Header=BB197_542 Depth=1
	s_or_b32 exec_lo, exec_lo, s15
	v_cmp_ne_u16_sdwa s1, v111, v6 src0_sel:BYTE_1 src1_sel:DWORD
	s_and_saveexec_b32 s15, s1
	s_cbranch_execz .LBB197_1034
; %bb.1027:                             ;   in Loop: Header=BB197_542 Depth=1
	v_mov_b32_e32 v11, v6
	v_mov_b32_e32 v20, v12
	v_cmp_ne_u16_sdwa s1, v111, v46 src0_sel:BYTE_1 src1_sel:DWORD
	v_mov_b32_e32 v19, v11
	s_and_saveexec_b32 s16, s1
	s_cbranch_execz .LBB197_1033
; %bb.1028:                             ;   in Loop: Header=BB197_542 Depth=1
	v_and_b32_sdwa v5, v47, v111 dst_sel:DWORD dst_unused:UNUSED_PAD src0_sel:DWORD src1_sel:BYTE_1
	v_mov_b32_e32 v13, v6
	v_mov_b32_e32 v20, v14
	s_mov_b32 s17, exec_lo
	v_and_b32_e32 v21, 0x7f, v5
	v_mov_b32_e32 v19, v13
	v_cmpx_ne_u32_e32 0x7f, v21
	s_cbranch_execz .LBB197_1032
; %bb.1029:                             ;   in Loop: Header=BB197_542 Depth=1
	v_and_b32_e32 v5, 7, v5
	v_lshrrev_b32_e32 v11, 3, v21
	s_mov_b32 s18, exec_lo
	v_cmpx_gt_u32_e32 8, v21
; %bb.1030:                             ;   in Loop: Header=BB197_542 Depth=1
	v_ffbh_u32_e32 v11, v5
	v_min_u32_e32 v11, 32, v11
	v_subrev_nc_u32_e32 v13, 28, v11
	v_sub_nc_u32_e32 v11, 29, v11
	v_lshlrev_b64 v[19:20], v13, v[5:6]
	v_and_b32_e32 v5, 7, v19
; %bb.1031:                             ;   in Loop: Header=BB197_542 Depth=1
	s_or_b32 exec_lo, exec_lo, s18
	v_lshlrev_b32_e32 v13, 16, v111
	v_lshlrev_b32_e32 v5, 20, v5
	v_lshl_add_u32 v11, v11, 23, 0x3c000000
	v_mov_b32_e32 v19, v6
	v_and_b32_e32 v13, 0x80000000, v13
	v_or3_b32 v20, v5, v13, v11
.LBB197_1032:                           ;   in Loop: Header=BB197_542 Depth=1
	s_or_b32 exec_lo, exec_lo, s17
.LBB197_1033:                           ;   in Loop: Header=BB197_542 Depth=1
	s_or_b32 exec_lo, exec_lo, s16
.LBB197_1034:                           ;   in Loop: Header=BB197_542 Depth=1
	s_or_b32 exec_lo, exec_lo, s15
	v_mov_b32_e32 v23, 0
	v_mov_b32_e32 v21, 0
	v_and_b32_sdwa v5, v111, v48 dst_sel:DWORD dst_unused:UNUSED_PAD src0_sel:WORD_1 src1_sel:DWORD
	v_mov_b32_e32 v24, 0
	v_mov_b32_e32 v22, 0
	s_mov_b32 s15, exec_lo
	v_cmpx_ne_u16_e32 0, v5
	s_cbranch_execz .LBB197_1042
; %bb.1035:                             ;   in Loop: Header=BB197_542 Depth=1
	v_bfrev_b32_e32 v21, 1
	v_mov_b32_e32 v22, 0
	s_mov_b32 s16, exec_lo
	v_cmpx_ne_u16_e32 0x80, v5
	s_cbranch_execz .LBB197_1041
; %bb.1036:                             ;   in Loop: Header=BB197_542 Depth=1
	v_mov_b32_e32 v21, 0x7f800001
	v_bfe_u32 v13, v111, 16, 7
	v_mov_b32_e32 v22, 0
	s_mov_b32 s17, exec_lo
	v_cmpx_ne_u32_e32 0x7f, v13
	s_cbranch_execz .LBB197_1040
; %bb.1037:                             ;   in Loop: Header=BB197_542 Depth=1
	v_and_b32_sdwa v5, v111, v49 dst_sel:DWORD dst_unused:UNUSED_PAD src0_sel:WORD_1 src1_sel:DWORD
	v_lshrrev_b32_e32 v11, 3, v13
	s_mov_b32 s18, exec_lo
	v_cmpx_gt_u32_e32 8, v13
; %bb.1038:                             ;   in Loop: Header=BB197_542 Depth=1
	v_ffbh_u32_e32 v11, v5
	v_min_u32_e32 v11, 32, v11
	v_subrev_nc_u32_e32 v13, 28, v11
	v_sub_nc_u32_e32 v11, 29, v11
	v_lshlrev_b64 v[21:22], v13, v[5:6]
	v_and_b32_e32 v5, 7, v21
; %bb.1039:                             ;   in Loop: Header=BB197_542 Depth=1
	s_or_b32 exec_lo, exec_lo, s18
	v_lshlrev_b32_sdwa v13, v50, v111 dst_sel:DWORD dst_unused:UNUSED_PAD src0_sel:DWORD src1_sel:WORD_1
	v_lshlrev_b32_e32 v5, 20, v5
	v_lshl_add_u32 v11, v11, 23, 0x3c000000
	v_and_b32_e32 v13, 0x80000000, v13
	v_or3_b32 v5, v5, v13, v11
	v_mov_b32_e32 v22, v6
	v_mov_b32_e32 v21, v5
.LBB197_1040:                           ;   in Loop: Header=BB197_542 Depth=1
	s_or_b32 exec_lo, exec_lo, s17
.LBB197_1041:                           ;   in Loop: Header=BB197_542 Depth=1
	s_or_b32 exec_lo, exec_lo, s16
.LBB197_1042:                           ;   in Loop: Header=BB197_542 Depth=1
	s_or_b32 exec_lo, exec_lo, s15
	s_mov_b32 s15, exec_lo
	v_cmpx_lt_u32_e32 0xffffff, v111
	s_cbranch_execz .LBB197_1050
; %bb.1043:                             ;   in Loop: Header=BB197_542 Depth=1
	v_mov_b32_e32 v11, v6
	v_mov_b32_e32 v24, v12
	v_cmp_ne_u32_sdwa s1, v111, v46 src0_sel:BYTE_3 src1_sel:DWORD
	v_mov_b32_e32 v23, v11
	s_and_saveexec_b32 s16, s1
	s_cbranch_execz .LBB197_1049
; %bb.1044:                             ;   in Loop: Header=BB197_542 Depth=1
	v_mov_b32_e32 v13, v6
	v_mov_b32_e32 v24, v14
	v_bfe_u32 v112, v111, 24, 7
	s_mov_b32 s17, exec_lo
	v_mov_b32_e32 v23, v13
	v_cmpx_ne_u32_e32 0x7f, v112
	s_cbranch_execz .LBB197_1048
; %bb.1045:                             ;   in Loop: Header=BB197_542 Depth=1
	v_and_b32_sdwa v5, v111, v49 dst_sel:DWORD dst_unused:UNUSED_PAD src0_sel:BYTE_3 src1_sel:DWORD
	v_lshrrev_b32_e32 v11, 3, v112
	s_mov_b32 s18, exec_lo
	v_cmpx_gt_u32_e32 8, v112
; %bb.1046:                             ;   in Loop: Header=BB197_542 Depth=1
	v_ffbh_u32_e32 v11, v5
	v_min_u32_e32 v11, 32, v11
	v_subrev_nc_u32_e32 v13, 28, v11
	v_sub_nc_u32_e32 v11, 29, v11
	v_lshlrev_b64 v[23:24], v13, v[5:6]
	v_and_b32_e32 v5, 7, v23
; %bb.1047:                             ;   in Loop: Header=BB197_542 Depth=1
	s_or_b32 exec_lo, exec_lo, s18
	v_lshlrev_b32_sdwa v13, v50, v111 dst_sel:DWORD dst_unused:UNUSED_PAD src0_sel:DWORD src1_sel:BYTE_3
	v_lshlrev_b32_e32 v5, 20, v5
	v_lshl_add_u32 v11, v11, 23, 0x3c000000
	v_mov_b32_e32 v23, v6
	v_and_b32_e32 v13, 0x80000000, v13
	v_or3_b32 v24, v5, v13, v11
.LBB197_1048:                           ;   in Loop: Header=BB197_542 Depth=1
	s_or_b32 exec_lo, exec_lo, s17
.LBB197_1049:                           ;   in Loop: Header=BB197_542 Depth=1
	s_or_b32 exec_lo, exec_lo, s16
.LBB197_1050:                           ;   in Loop: Header=BB197_542 Depth=1
	s_or_b32 exec_lo, exec_lo, s15
	v_or_b32_e32 v5, v20, v18
	v_or_b32_e32 v11, v19, v17
	;; [unrolled: 1-line block ×4, first 2 shown]
	v_mul_f32_e32 v111, s14, v5
	v_mul_f32_e32 v112, s3, v11
	;; [unrolled: 1-line block ×4, first 2 shown]
	s_and_saveexec_b32 s15, vcc_lo
	s_cbranch_execz .LBB197_1052
; %bb.1051:                             ;   in Loop: Header=BB197_542 Depth=1
	v_cmp_gt_i32_e64 s1, s11, v56
	v_cndmask_b32_e64 v112, 0, v112, s1
	v_cmp_gt_i32_e64 s1, s11, v58
	v_cndmask_b32_e64 v111, 0, v111, s1
	v_cmp_gt_i32_e64 s1, s11, v57
	v_cndmask_b32_e64 v24, 0, v24, s1
	v_cmp_gt_i32_e64 s1, s11, v44
	v_cndmask_b32_e64 v23, 0, v23, s1
.LBB197_1052:                           ;   in Loop: Header=BB197_542 Depth=1
	s_or_b32 exec_lo, exec_lo, s15
	global_load_dword v113, v[15:16], off offset:1920
	v_mov_b32_e32 v17, 0
	v_mov_b32_e32 v15, 0
	;; [unrolled: 1-line block ×4, first 2 shown]
	s_waitcnt vmcnt(0)
	v_cmp_ne_u16_sdwa s1, v113, v6 src0_sel:BYTE_0 src1_sel:DWORD
	s_and_saveexec_b32 s15, s1
	s_cbranch_execz .LBB197_1060
; %bb.1053:                             ;   in Loop: Header=BB197_542 Depth=1
	v_bfrev_b32_e32 v15, 1
	v_mov_b32_e32 v16, 0
	v_cmp_ne_u16_sdwa s1, v113, v46 src0_sel:BYTE_0 src1_sel:DWORD
	s_and_saveexec_b32 s16, s1
	s_cbranch_execz .LBB197_1059
; %bb.1054:                             ;   in Loop: Header=BB197_542 Depth=1
	v_mov_b32_e32 v15, 0x7f800001
	v_and_b32_e32 v13, 0x7f, v113
	v_mov_b32_e32 v16, 0
	s_mov_b32 s17, exec_lo
	v_cmpx_ne_u32_e32 0x7f, v13
	s_cbranch_execz .LBB197_1058
; %bb.1055:                             ;   in Loop: Header=BB197_542 Depth=1
	v_and_b32_e32 v5, 7, v113
	v_lshrrev_b32_e32 v11, 3, v13
	s_mov_b32 s18, exec_lo
	v_cmpx_gt_u32_e32 8, v13
; %bb.1056:                             ;   in Loop: Header=BB197_542 Depth=1
	v_ffbh_u32_e32 v11, v5
	v_min_u32_e32 v11, 32, v11
	v_subrev_nc_u32_e32 v13, 28, v11
	v_sub_nc_u32_e32 v11, 29, v11
	v_lshlrev_b64 v[15:16], v13, v[5:6]
	v_and_b32_e32 v5, 7, v15
; %bb.1057:                             ;   in Loop: Header=BB197_542 Depth=1
	s_or_b32 exec_lo, exec_lo, s18
	v_lshlrev_b32_e32 v13, 24, v113
	v_lshlrev_b32_e32 v5, 20, v5
	v_lshl_add_u32 v11, v11, 23, 0x3c000000
	v_and_b32_e32 v13, 0x80000000, v13
	v_or3_b32 v5, v5, v13, v11
	v_mov_b32_e32 v16, v6
	v_mov_b32_e32 v15, v5
.LBB197_1058:                           ;   in Loop: Header=BB197_542 Depth=1
	s_or_b32 exec_lo, exec_lo, s17
.LBB197_1059:                           ;   in Loop: Header=BB197_542 Depth=1
	s_or_b32 exec_lo, exec_lo, s16
.LBB197_1060:                           ;   in Loop: Header=BB197_542 Depth=1
	s_or_b32 exec_lo, exec_lo, s15
	v_cmp_ne_u16_sdwa s1, v113, v6 src0_sel:BYTE_1 src1_sel:DWORD
	s_and_saveexec_b32 s15, s1
	s_cbranch_execz .LBB197_1068
; %bb.1061:                             ;   in Loop: Header=BB197_542 Depth=1
	v_mov_b32_e32 v11, v6
	v_mov_b32_e32 v18, v12
	v_cmp_ne_u16_sdwa s1, v113, v46 src0_sel:BYTE_1 src1_sel:DWORD
	v_mov_b32_e32 v17, v11
	s_and_saveexec_b32 s16, s1
	s_cbranch_execz .LBB197_1067
; %bb.1062:                             ;   in Loop: Header=BB197_542 Depth=1
	v_and_b32_sdwa v5, v47, v113 dst_sel:DWORD dst_unused:UNUSED_PAD src0_sel:DWORD src1_sel:BYTE_1
	v_mov_b32_e32 v13, v6
	v_mov_b32_e32 v18, v14
	s_mov_b32 s17, exec_lo
	v_and_b32_e32 v19, 0x7f, v5
	v_mov_b32_e32 v17, v13
	v_cmpx_ne_u32_e32 0x7f, v19
	s_cbranch_execz .LBB197_1066
; %bb.1063:                             ;   in Loop: Header=BB197_542 Depth=1
	v_and_b32_e32 v5, 7, v5
	v_lshrrev_b32_e32 v11, 3, v19
	s_mov_b32 s18, exec_lo
	v_cmpx_gt_u32_e32 8, v19
; %bb.1064:                             ;   in Loop: Header=BB197_542 Depth=1
	v_ffbh_u32_e32 v11, v5
	v_min_u32_e32 v11, 32, v11
	v_subrev_nc_u32_e32 v13, 28, v11
	v_sub_nc_u32_e32 v11, 29, v11
	v_lshlrev_b64 v[17:18], v13, v[5:6]
	v_and_b32_e32 v5, 7, v17
; %bb.1065:                             ;   in Loop: Header=BB197_542 Depth=1
	s_or_b32 exec_lo, exec_lo, s18
	v_lshlrev_b32_e32 v13, 16, v113
	v_lshlrev_b32_e32 v5, 20, v5
	v_lshl_add_u32 v11, v11, 23, 0x3c000000
	v_mov_b32_e32 v17, v6
	v_and_b32_e32 v13, 0x80000000, v13
	v_or3_b32 v18, v5, v13, v11
.LBB197_1066:                           ;   in Loop: Header=BB197_542 Depth=1
	s_or_b32 exec_lo, exec_lo, s17
.LBB197_1067:                           ;   in Loop: Header=BB197_542 Depth=1
	s_or_b32 exec_lo, exec_lo, s16
.LBB197_1068:                           ;   in Loop: Header=BB197_542 Depth=1
	s_or_b32 exec_lo, exec_lo, s15
	v_mov_b32_e32 v21, 0
	v_mov_b32_e32 v19, 0
	v_and_b32_sdwa v5, v113, v48 dst_sel:DWORD dst_unused:UNUSED_PAD src0_sel:WORD_1 src1_sel:DWORD
	v_mov_b32_e32 v22, 0
	v_mov_b32_e32 v20, 0
	s_mov_b32 s15, exec_lo
	v_cmpx_ne_u16_e32 0, v5
	s_cbranch_execz .LBB197_1076
; %bb.1069:                             ;   in Loop: Header=BB197_542 Depth=1
	v_bfrev_b32_e32 v19, 1
	v_mov_b32_e32 v20, 0
	s_mov_b32 s16, exec_lo
	v_cmpx_ne_u16_e32 0x80, v5
	s_cbranch_execz .LBB197_1075
; %bb.1070:                             ;   in Loop: Header=BB197_542 Depth=1
	v_mov_b32_e32 v19, 0x7f800001
	v_bfe_u32 v13, v113, 16, 7
	v_mov_b32_e32 v20, 0
	s_mov_b32 s17, exec_lo
	v_cmpx_ne_u32_e32 0x7f, v13
	s_cbranch_execz .LBB197_1074
; %bb.1071:                             ;   in Loop: Header=BB197_542 Depth=1
	v_and_b32_sdwa v5, v113, v49 dst_sel:DWORD dst_unused:UNUSED_PAD src0_sel:WORD_1 src1_sel:DWORD
	v_lshrrev_b32_e32 v11, 3, v13
	s_mov_b32 s18, exec_lo
	v_cmpx_gt_u32_e32 8, v13
; %bb.1072:                             ;   in Loop: Header=BB197_542 Depth=1
	v_ffbh_u32_e32 v11, v5
	v_min_u32_e32 v11, 32, v11
	v_subrev_nc_u32_e32 v13, 28, v11
	v_sub_nc_u32_e32 v11, 29, v11
	v_lshlrev_b64 v[19:20], v13, v[5:6]
	v_and_b32_e32 v5, 7, v19
; %bb.1073:                             ;   in Loop: Header=BB197_542 Depth=1
	s_or_b32 exec_lo, exec_lo, s18
	v_lshlrev_b32_sdwa v13, v50, v113 dst_sel:DWORD dst_unused:UNUSED_PAD src0_sel:DWORD src1_sel:WORD_1
	v_lshlrev_b32_e32 v5, 20, v5
	v_lshl_add_u32 v11, v11, 23, 0x3c000000
	v_and_b32_e32 v13, 0x80000000, v13
	v_or3_b32 v5, v5, v13, v11
	v_mov_b32_e32 v20, v6
	v_mov_b32_e32 v19, v5
.LBB197_1074:                           ;   in Loop: Header=BB197_542 Depth=1
	s_or_b32 exec_lo, exec_lo, s17
.LBB197_1075:                           ;   in Loop: Header=BB197_542 Depth=1
	s_or_b32 exec_lo, exec_lo, s16
.LBB197_1076:                           ;   in Loop: Header=BB197_542 Depth=1
	s_or_b32 exec_lo, exec_lo, s15
	s_mov_b32 s15, exec_lo
	v_cmpx_lt_u32_e32 0xffffff, v113
	s_cbranch_execz .LBB197_1084
; %bb.1077:                             ;   in Loop: Header=BB197_542 Depth=1
	v_mov_b32_e32 v11, v6
	v_mov_b32_e32 v22, v12
	v_cmp_ne_u32_sdwa s1, v113, v46 src0_sel:BYTE_3 src1_sel:DWORD
	v_mov_b32_e32 v21, v11
	s_and_saveexec_b32 s16, s1
	s_cbranch_execz .LBB197_1083
; %bb.1078:                             ;   in Loop: Header=BB197_542 Depth=1
	v_mov_b32_e32 v13, v6
	v_mov_b32_e32 v22, v14
	v_bfe_u32 v114, v113, 24, 7
	s_mov_b32 s17, exec_lo
	v_mov_b32_e32 v21, v13
	v_cmpx_ne_u32_e32 0x7f, v114
	s_cbranch_execz .LBB197_1082
; %bb.1079:                             ;   in Loop: Header=BB197_542 Depth=1
	v_and_b32_sdwa v5, v113, v49 dst_sel:DWORD dst_unused:UNUSED_PAD src0_sel:BYTE_3 src1_sel:DWORD
	v_lshrrev_b32_e32 v11, 3, v114
	s_mov_b32 s18, exec_lo
	v_cmpx_gt_u32_e32 8, v114
; %bb.1080:                             ;   in Loop: Header=BB197_542 Depth=1
	v_ffbh_u32_e32 v11, v5
	v_min_u32_e32 v11, 32, v11
	v_subrev_nc_u32_e32 v13, 28, v11
	v_sub_nc_u32_e32 v11, 29, v11
	v_lshlrev_b64 v[21:22], v13, v[5:6]
	v_and_b32_e32 v5, 7, v21
; %bb.1081:                             ;   in Loop: Header=BB197_542 Depth=1
	s_or_b32 exec_lo, exec_lo, s18
	v_lshlrev_b32_sdwa v13, v50, v113 dst_sel:DWORD dst_unused:UNUSED_PAD src0_sel:DWORD src1_sel:BYTE_3
	v_lshlrev_b32_e32 v5, 20, v5
	v_lshl_add_u32 v11, v11, 23, 0x3c000000
	v_mov_b32_e32 v21, v6
	v_and_b32_e32 v13, 0x80000000, v13
	v_or3_b32 v22, v5, v13, v11
.LBB197_1082:                           ;   in Loop: Header=BB197_542 Depth=1
	s_or_b32 exec_lo, exec_lo, s17
.LBB197_1083:                           ;   in Loop: Header=BB197_542 Depth=1
	s_or_b32 exec_lo, exec_lo, s16
.LBB197_1084:                           ;   in Loop: Header=BB197_542 Depth=1
	s_or_b32 exec_lo, exec_lo, s15
	v_or_b32_e32 v5, v18, v16
	v_or_b32_e32 v11, v17, v15
	;; [unrolled: 1-line block ×4, first 2 shown]
	v_mul_f32_e32 v13, s14, v5
	v_mul_f32_e32 v15, s3, v11
	;; [unrolled: 1-line block ×4, first 2 shown]
	s_and_saveexec_b32 s1, vcc_lo
	s_cbranch_execz .LBB197_541
; %bb.1085:                             ;   in Loop: Header=BB197_542 Depth=1
	v_cmp_gt_i32_e32 vcc_lo, s11, v56
	v_cndmask_b32_e32 v15, 0, v15, vcc_lo
	v_cmp_gt_i32_e32 vcc_lo, s11, v58
	v_cndmask_b32_e32 v13, 0, v13, vcc_lo
	;; [unrolled: 2-line block ×4, first 2 shown]
	s_branch .LBB197_541
.LBB197_1086:
	s_or_b32 exec_lo, exec_lo, s13
.LBB197_1087:
	s_or_b32 exec_lo, exec_lo, s2
	ds_bpermute_b32 v1, v26, v41
	ds_bpermute_b32 v2, v26, v43
	;; [unrolled: 1-line block ×16, first 2 shown]
	s_mov_b32 s1, exec_lo
	s_waitcnt lgkmcnt(0)
	s_barrier
	buffer_gl0_inv
	v_add_f32_e32 v1, v41, v1
	v_add_f32_e32 v2, v43, v2
	;; [unrolled: 1-line block ×6, first 2 shown]
	ds_bpermute_b32 v17, v27, v1
	v_add_f32_e32 v7, v37, v7
	v_add_f32_e32 v8, v36, v8
	v_add_f32_e32 v9, v35, v9
	v_add_f32_e32 v10, v34, v10
	v_add_f32_e32 v11, v33, v11
	v_add_f32_e32 v12, v32, v12
	v_add_f32_e32 v13, v31, v13
	v_add_f32_e32 v14, v30, v14
	v_add_f32_e32 v15, v29, v15
	v_add_f32_e32 v16, v0, v16
	ds_bpermute_b32 v18, v27, v2
	ds_bpermute_b32 v19, v27, v3
	;; [unrolled: 1-line block ×15, first 2 shown]
	s_waitcnt lgkmcnt(15)
	v_add_f32_e32 v0, v1, v17
	v_and_b32_e32 v17, 28, v25
	s_waitcnt lgkmcnt(14)
	v_add_f32_e32 v1, v2, v18
	s_waitcnt lgkmcnt(13)
	v_add_f32_e32 v2, v3, v19
	;; [unrolled: 2-line block ×14, first 2 shown]
	v_and_b32_e32 v19, 0x3c3, v115
	s_waitcnt lgkmcnt(0)
	v_add_f32_e32 v15, v16, v27
	v_lshrrev_b32_e32 v16, 2, v25
	v_add_nc_u32_e32 v17, 0x220, v17
	v_lshlrev_b32_e32 v18, 9, v116
	v_cmpx_eq_u32_e32 64, v19
	s_cbranch_execz .LBB197_1089
; %bb.1088:
	v_add_nc_u32_e32 v19, v17, v18
	v_add_nc_u32_e32 v20, 0xfffffc00, v19
	;; [unrolled: 1-line block ×7, first 2 shown]
	ds_write_b32 v20, v0
	ds_write_b32 v21, v1
	;; [unrolled: 1-line block ×6, first 2 shown]
	v_add_nc_u32_e32 v20, 0xfffffcc0, v19
	v_add_nc_u32_e32 v21, 0xfffffce0, v19
	;; [unrolled: 1-line block ×5, first 2 shown]
	ds_write_b32 v20, v6
	ds_write_b32 v21, v7
	;; [unrolled: 1-line block ×5, first 2 shown]
	v_add_nc_u32_e32 v20, 0xfffffd60, v19
	v_add_nc_u32_e32 v21, 0xfffffd80, v19
	;; [unrolled: 1-line block ×5, first 2 shown]
	ds_write_b32 v20, v11
	ds_write_b32 v21, v12
	;; [unrolled: 1-line block ×5, first 2 shown]
.LBB197_1089:
	s_or_b32 exec_lo, exec_lo, s1
	v_lshlrev_b32_e32 v16, 2, v16
	v_cmp_eq_u32_e32 vcc_lo, 0, v28
	s_waitcnt lgkmcnt(0)
	s_barrier
	buffer_gl0_inv
	v_add3_u32 v16, 0x220, v18, v16
	s_and_saveexec_b32 s1, s0
	s_cbranch_execz .LBB197_1108
; %bb.1090:
	s_and_saveexec_b32 s0, vcc_lo
	s_cbranch_execnz .LBB197_1132
; %bb.1091:
	s_or_b32 exec_lo, exec_lo, s0
	s_and_saveexec_b32 s0, vcc_lo
	s_cbranch_execnz .LBB197_1133
.LBB197_1092:
	s_or_b32 exec_lo, exec_lo, s0
	s_and_saveexec_b32 s0, vcc_lo
	s_cbranch_execnz .LBB197_1134
.LBB197_1093:
	s_or_b32 exec_lo, exec_lo, s0
	s_and_saveexec_b32 s0, vcc_lo
	s_cbranch_execnz .LBB197_1135
.LBB197_1094:
	s_or_b32 exec_lo, exec_lo, s0
	s_and_saveexec_b32 s0, vcc_lo
	s_cbranch_execnz .LBB197_1136
.LBB197_1095:
	s_or_b32 exec_lo, exec_lo, s0
	s_and_saveexec_b32 s0, vcc_lo
	s_cbranch_execnz .LBB197_1137
.LBB197_1096:
	s_or_b32 exec_lo, exec_lo, s0
	s_and_saveexec_b32 s0, vcc_lo
	s_cbranch_execnz .LBB197_1138
.LBB197_1097:
	s_or_b32 exec_lo, exec_lo, s0
	s_and_saveexec_b32 s0, vcc_lo
	s_cbranch_execnz .LBB197_1139
.LBB197_1098:
	s_or_b32 exec_lo, exec_lo, s0
	s_and_saveexec_b32 s0, vcc_lo
	s_cbranch_execnz .LBB197_1140
.LBB197_1099:
	s_or_b32 exec_lo, exec_lo, s0
	s_and_saveexec_b32 s0, vcc_lo
	s_cbranch_execnz .LBB197_1141
.LBB197_1100:
	s_or_b32 exec_lo, exec_lo, s0
	s_and_saveexec_b32 s0, vcc_lo
	s_cbranch_execnz .LBB197_1142
.LBB197_1101:
	s_or_b32 exec_lo, exec_lo, s0
	s_and_saveexec_b32 s0, vcc_lo
	s_cbranch_execnz .LBB197_1143
.LBB197_1102:
	s_or_b32 exec_lo, exec_lo, s0
	s_and_saveexec_b32 s0, vcc_lo
	s_cbranch_execnz .LBB197_1144
.LBB197_1103:
	s_or_b32 exec_lo, exec_lo, s0
	s_and_saveexec_b32 s0, vcc_lo
	s_cbranch_execnz .LBB197_1145
.LBB197_1104:
	s_or_b32 exec_lo, exec_lo, s0
	s_and_saveexec_b32 s0, vcc_lo
	s_cbranch_execnz .LBB197_1146
.LBB197_1105:
	s_or_b32 exec_lo, exec_lo, s0
	s_and_saveexec_b32 s0, vcc_lo
	s_cbranch_execz .LBB197_1107
.LBB197_1106:
	ds_read_b32 v18, v16 offset:480
	s_waitcnt lgkmcnt(0)
	v_add_f32_e32 v15, v15, v18
.LBB197_1107:
	s_or_b32 exec_lo, exec_lo, s0
.LBB197_1108:
	s_or_b32 exec_lo, exec_lo, s1
	v_and_b32_e32 v18, 0x3e3, v115
	s_mov_b32 s1, exec_lo
	s_barrier
	buffer_gl0_inv
	v_cmpx_eq_u32_e32 32, v18
	s_cbranch_execz .LBB197_1110
; %bb.1109:
	ds_write2_b32 v17, v0, v1 offset1:8
	ds_write2_b32 v17, v2, v3 offset0:16 offset1:24
	ds_write2_b32 v17, v4, v5 offset0:32 offset1:40
	;; [unrolled: 1-line block ×7, first 2 shown]
.LBB197_1110:
	s_or_b32 exec_lo, exec_lo, s1
	s_mov_b32 s1, exec_lo
	s_waitcnt lgkmcnt(0)
	s_barrier
	buffer_gl0_inv
	v_cmpx_gt_u32_e32 32, v115
	s_cbranch_execz .LBB197_1129
; %bb.1111:
	s_and_saveexec_b32 s0, vcc_lo
	s_cbranch_execnz .LBB197_1147
; %bb.1112:
	s_or_b32 exec_lo, exec_lo, s0
	s_and_saveexec_b32 s0, vcc_lo
	s_cbranch_execnz .LBB197_1148
.LBB197_1113:
	s_or_b32 exec_lo, exec_lo, s0
	s_and_saveexec_b32 s0, vcc_lo
	s_cbranch_execnz .LBB197_1149
.LBB197_1114:
	s_or_b32 exec_lo, exec_lo, s0
	s_and_saveexec_b32 s0, vcc_lo
	s_cbranch_execnz .LBB197_1150
.LBB197_1115:
	s_or_b32 exec_lo, exec_lo, s0
	s_and_saveexec_b32 s0, vcc_lo
	s_cbranch_execnz .LBB197_1151
.LBB197_1116:
	s_or_b32 exec_lo, exec_lo, s0
	s_and_saveexec_b32 s0, vcc_lo
	s_cbranch_execnz .LBB197_1152
.LBB197_1117:
	s_or_b32 exec_lo, exec_lo, s0
	s_and_saveexec_b32 s0, vcc_lo
	s_cbranch_execnz .LBB197_1153
.LBB197_1118:
	s_or_b32 exec_lo, exec_lo, s0
	s_and_saveexec_b32 s0, vcc_lo
	s_cbranch_execnz .LBB197_1154
.LBB197_1119:
	s_or_b32 exec_lo, exec_lo, s0
	s_and_saveexec_b32 s0, vcc_lo
	s_cbranch_execnz .LBB197_1155
.LBB197_1120:
	s_or_b32 exec_lo, exec_lo, s0
	s_and_saveexec_b32 s0, vcc_lo
	s_cbranch_execnz .LBB197_1156
.LBB197_1121:
	s_or_b32 exec_lo, exec_lo, s0
	s_and_saveexec_b32 s0, vcc_lo
	s_cbranch_execnz .LBB197_1157
.LBB197_1122:
	s_or_b32 exec_lo, exec_lo, s0
	s_and_saveexec_b32 s0, vcc_lo
	s_cbranch_execnz .LBB197_1158
.LBB197_1123:
	s_or_b32 exec_lo, exec_lo, s0
	s_and_saveexec_b32 s0, vcc_lo
	s_cbranch_execnz .LBB197_1159
.LBB197_1124:
	s_or_b32 exec_lo, exec_lo, s0
	s_and_saveexec_b32 s0, vcc_lo
	s_cbranch_execnz .LBB197_1160
.LBB197_1125:
	s_or_b32 exec_lo, exec_lo, s0
	s_and_saveexec_b32 s0, vcc_lo
	s_cbranch_execnz .LBB197_1161
.LBB197_1126:
	s_or_b32 exec_lo, exec_lo, s0
	s_and_saveexec_b32 s0, vcc_lo
	s_cbranch_execz .LBB197_1128
.LBB197_1127:
	ds_read_b32 v16, v16 offset:480
	s_waitcnt lgkmcnt(0)
	v_add_f32_e32 v15, v15, v16
.LBB197_1128:
	s_or_b32 exec_lo, exec_lo, s0
.LBB197_1129:
	s_or_b32 exec_lo, exec_lo, s1
	s_barrier
	buffer_gl0_inv
	s_mov_b32 s0, exec_lo
	v_cmpx_eq_u32_e32 0, v18
	s_cbranch_execz .LBB197_1131
; %bb.1130:
	s_mul_i32 s0, s10, s7
	s_mul_i32 s2, s7, s6
	s_mul_i32 s0, s0, s9
	s_lshl_b32 s0, s0, 7
	s_ashr_i32 s1, s0, 31
	s_lshl_b64 s[0:1], s[0:1], 2
	s_add_u32 s4, s20, s0
	s_addc_u32 s5, s21, s1
	s_ashr_i32 s3, s2, 31
	s_lshl_b64 s[0:1], s[2:3], 2
	s_add_u32 s2, s4, s0
	s_addc_u32 s3, s5, s1
	s_lshl_b32 s0, s8, 7
	s_ashr_i32 s1, s0, 31
	s_lshl_b64 s[0:1], s[0:1], 2
	s_add_u32 s0, s2, s0
	s_addc_u32 s1, s3, s1
	global_store_dword v115, v0, s[0:1]
	global_store_dword v115, v1, s[0:1] offset:32
	global_store_dword v115, v2, s[0:1] offset:64
	;; [unrolled: 1-line block ×15, first 2 shown]
.LBB197_1131:
	s_endpgm
.LBB197_1132:
	ds_read_b32 v18, v16
	s_waitcnt lgkmcnt(0)
	v_add_f32_e32 v0, v0, v18
	s_or_b32 exec_lo, exec_lo, s0
	s_and_saveexec_b32 s0, vcc_lo
	s_cbranch_execz .LBB197_1092
.LBB197_1133:
	ds_read_b32 v18, v16 offset:32
	s_waitcnt lgkmcnt(0)
	v_add_f32_e32 v1, v1, v18
	s_or_b32 exec_lo, exec_lo, s0
	s_and_saveexec_b32 s0, vcc_lo
	s_cbranch_execz .LBB197_1093
.LBB197_1134:
	ds_read_b32 v18, v16 offset:64
	s_waitcnt lgkmcnt(0)
	v_add_f32_e32 v2, v2, v18
	s_or_b32 exec_lo, exec_lo, s0
	s_and_saveexec_b32 s0, vcc_lo
	s_cbranch_execz .LBB197_1094
.LBB197_1135:
	ds_read_b32 v18, v16 offset:96
	s_waitcnt lgkmcnt(0)
	v_add_f32_e32 v3, v3, v18
	s_or_b32 exec_lo, exec_lo, s0
	s_and_saveexec_b32 s0, vcc_lo
	s_cbranch_execz .LBB197_1095
.LBB197_1136:
	ds_read_b32 v18, v16 offset:128
	s_waitcnt lgkmcnt(0)
	v_add_f32_e32 v4, v4, v18
	s_or_b32 exec_lo, exec_lo, s0
	s_and_saveexec_b32 s0, vcc_lo
	s_cbranch_execz .LBB197_1096
.LBB197_1137:
	ds_read_b32 v18, v16 offset:160
	s_waitcnt lgkmcnt(0)
	v_add_f32_e32 v5, v5, v18
	s_or_b32 exec_lo, exec_lo, s0
	s_and_saveexec_b32 s0, vcc_lo
	s_cbranch_execz .LBB197_1097
.LBB197_1138:
	ds_read_b32 v18, v16 offset:192
	s_waitcnt lgkmcnt(0)
	v_add_f32_e32 v6, v6, v18
	s_or_b32 exec_lo, exec_lo, s0
	s_and_saveexec_b32 s0, vcc_lo
	s_cbranch_execz .LBB197_1098
.LBB197_1139:
	ds_read_b32 v18, v16 offset:224
	s_waitcnt lgkmcnt(0)
	v_add_f32_e32 v7, v7, v18
	s_or_b32 exec_lo, exec_lo, s0
	s_and_saveexec_b32 s0, vcc_lo
	s_cbranch_execz .LBB197_1099
.LBB197_1140:
	ds_read_b32 v18, v16 offset:256
	s_waitcnt lgkmcnt(0)
	v_add_f32_e32 v8, v8, v18
	s_or_b32 exec_lo, exec_lo, s0
	s_and_saveexec_b32 s0, vcc_lo
	s_cbranch_execz .LBB197_1100
.LBB197_1141:
	ds_read_b32 v18, v16 offset:288
	s_waitcnt lgkmcnt(0)
	v_add_f32_e32 v9, v9, v18
	s_or_b32 exec_lo, exec_lo, s0
	s_and_saveexec_b32 s0, vcc_lo
	s_cbranch_execz .LBB197_1101
.LBB197_1142:
	ds_read_b32 v18, v16 offset:320
	s_waitcnt lgkmcnt(0)
	v_add_f32_e32 v10, v10, v18
	s_or_b32 exec_lo, exec_lo, s0
	s_and_saveexec_b32 s0, vcc_lo
	s_cbranch_execz .LBB197_1102
.LBB197_1143:
	ds_read_b32 v18, v16 offset:352
	s_waitcnt lgkmcnt(0)
	v_add_f32_e32 v11, v11, v18
	s_or_b32 exec_lo, exec_lo, s0
	s_and_saveexec_b32 s0, vcc_lo
	s_cbranch_execz .LBB197_1103
.LBB197_1144:
	ds_read_b32 v18, v16 offset:384
	s_waitcnt lgkmcnt(0)
	v_add_f32_e32 v12, v12, v18
	s_or_b32 exec_lo, exec_lo, s0
	s_and_saveexec_b32 s0, vcc_lo
	s_cbranch_execz .LBB197_1104
.LBB197_1145:
	ds_read_b32 v18, v16 offset:416
	s_waitcnt lgkmcnt(0)
	v_add_f32_e32 v13, v13, v18
	s_or_b32 exec_lo, exec_lo, s0
	s_and_saveexec_b32 s0, vcc_lo
	s_cbranch_execz .LBB197_1105
.LBB197_1146:
	ds_read_b32 v18, v16 offset:448
	s_waitcnt lgkmcnt(0)
	v_add_f32_e32 v14, v14, v18
	s_or_b32 exec_lo, exec_lo, s0
	s_and_saveexec_b32 s0, vcc_lo
	s_cbranch_execnz .LBB197_1106
	s_branch .LBB197_1107
.LBB197_1147:
	ds_read_b32 v17, v16
	s_waitcnt lgkmcnt(0)
	v_add_f32_e32 v0, v0, v17
	s_or_b32 exec_lo, exec_lo, s0
	s_and_saveexec_b32 s0, vcc_lo
	s_cbranch_execz .LBB197_1113
.LBB197_1148:
	ds_read_b32 v17, v16 offset:32
	s_waitcnt lgkmcnt(0)
	v_add_f32_e32 v1, v1, v17
	s_or_b32 exec_lo, exec_lo, s0
	s_and_saveexec_b32 s0, vcc_lo
	s_cbranch_execz .LBB197_1114
.LBB197_1149:
	ds_read_b32 v17, v16 offset:64
	s_waitcnt lgkmcnt(0)
	v_add_f32_e32 v2, v2, v17
	s_or_b32 exec_lo, exec_lo, s0
	s_and_saveexec_b32 s0, vcc_lo
	s_cbranch_execz .LBB197_1115
.LBB197_1150:
	ds_read_b32 v17, v16 offset:96
	s_waitcnt lgkmcnt(0)
	v_add_f32_e32 v3, v3, v17
	s_or_b32 exec_lo, exec_lo, s0
	s_and_saveexec_b32 s0, vcc_lo
	s_cbranch_execz .LBB197_1116
.LBB197_1151:
	ds_read_b32 v17, v16 offset:128
	s_waitcnt lgkmcnt(0)
	v_add_f32_e32 v4, v4, v17
	s_or_b32 exec_lo, exec_lo, s0
	s_and_saveexec_b32 s0, vcc_lo
	s_cbranch_execz .LBB197_1117
.LBB197_1152:
	ds_read_b32 v17, v16 offset:160
	s_waitcnt lgkmcnt(0)
	v_add_f32_e32 v5, v5, v17
	s_or_b32 exec_lo, exec_lo, s0
	s_and_saveexec_b32 s0, vcc_lo
	s_cbranch_execz .LBB197_1118
.LBB197_1153:
	ds_read_b32 v17, v16 offset:192
	s_waitcnt lgkmcnt(0)
	v_add_f32_e32 v6, v6, v17
	s_or_b32 exec_lo, exec_lo, s0
	s_and_saveexec_b32 s0, vcc_lo
	s_cbranch_execz .LBB197_1119
.LBB197_1154:
	ds_read_b32 v17, v16 offset:224
	s_waitcnt lgkmcnt(0)
	v_add_f32_e32 v7, v7, v17
	s_or_b32 exec_lo, exec_lo, s0
	s_and_saveexec_b32 s0, vcc_lo
	s_cbranch_execz .LBB197_1120
.LBB197_1155:
	ds_read_b32 v17, v16 offset:256
	s_waitcnt lgkmcnt(0)
	v_add_f32_e32 v8, v8, v17
	s_or_b32 exec_lo, exec_lo, s0
	s_and_saveexec_b32 s0, vcc_lo
	s_cbranch_execz .LBB197_1121
.LBB197_1156:
	ds_read_b32 v17, v16 offset:288
	s_waitcnt lgkmcnt(0)
	v_add_f32_e32 v9, v9, v17
	s_or_b32 exec_lo, exec_lo, s0
	s_and_saveexec_b32 s0, vcc_lo
	s_cbranch_execz .LBB197_1122
.LBB197_1157:
	ds_read_b32 v17, v16 offset:320
	s_waitcnt lgkmcnt(0)
	v_add_f32_e32 v10, v10, v17
	s_or_b32 exec_lo, exec_lo, s0
	s_and_saveexec_b32 s0, vcc_lo
	s_cbranch_execz .LBB197_1123
.LBB197_1158:
	ds_read_b32 v17, v16 offset:352
	s_waitcnt lgkmcnt(0)
	v_add_f32_e32 v11, v11, v17
	s_or_b32 exec_lo, exec_lo, s0
	s_and_saveexec_b32 s0, vcc_lo
	s_cbranch_execz .LBB197_1124
.LBB197_1159:
	ds_read_b32 v17, v16 offset:384
	s_waitcnt lgkmcnt(0)
	v_add_f32_e32 v12, v12, v17
	s_or_b32 exec_lo, exec_lo, s0
	s_and_saveexec_b32 s0, vcc_lo
	s_cbranch_execz .LBB197_1125
.LBB197_1160:
	ds_read_b32 v17, v16 offset:416
	s_waitcnt lgkmcnt(0)
	v_add_f32_e32 v13, v13, v17
	s_or_b32 exec_lo, exec_lo, s0
	s_and_saveexec_b32 s0, vcc_lo
	s_cbranch_execz .LBB197_1126
.LBB197_1161:
	ds_read_b32 v17, v16 offset:448
	s_waitcnt lgkmcnt(0)
	v_add_f32_e32 v14, v14, v17
	s_or_b32 exec_lo, exec_lo, s0
	s_and_saveexec_b32 s0, vcc_lo
	s_cbranch_execnz .LBB197_1127
	s_branch .LBB197_1128
	.section	.rodata,"a",@progbits
	.p2align	6, 0x0
	.amdhsa_kernel _ZN4vllm25paged_attention_v1_kernelIfhLi128ELi16ELi128ELNS_18Fp8KVCacheDataTypeE1ELb0EEEvPT_PKS2_PKT0_S8_ifPKiSA_iPKfiiiSC_SC_iiiii
		.amdhsa_group_segment_fixed_size 544
		.amdhsa_private_segment_fixed_size 352
		.amdhsa_kernarg_size 384
		.amdhsa_user_sgpr_count 6
		.amdhsa_user_sgpr_private_segment_buffer 1
		.amdhsa_user_sgpr_dispatch_ptr 0
		.amdhsa_user_sgpr_queue_ptr 0
		.amdhsa_user_sgpr_kernarg_segment_ptr 1
		.amdhsa_user_sgpr_dispatch_id 0
		.amdhsa_user_sgpr_flat_scratch_init 0
		.amdhsa_user_sgpr_private_segment_size 0
		.amdhsa_wavefront_size32 1
		.amdhsa_uses_dynamic_stack 0
		.amdhsa_system_sgpr_private_segment_wavefront_offset 1
		.amdhsa_system_sgpr_workgroup_id_x 1
		.amdhsa_system_sgpr_workgroup_id_y 1
		.amdhsa_system_sgpr_workgroup_id_z 1
		.amdhsa_system_sgpr_workgroup_info 0
		.amdhsa_system_vgpr_workitem_id 0
		.amdhsa_next_free_vgpr 128
		.amdhsa_next_free_sgpr 40
		.amdhsa_reserve_vcc 1
		.amdhsa_reserve_flat_scratch 0
		.amdhsa_float_round_mode_32 0
		.amdhsa_float_round_mode_16_64 0
		.amdhsa_float_denorm_mode_32 3
		.amdhsa_float_denorm_mode_16_64 3
		.amdhsa_dx10_clamp 1
		.amdhsa_ieee_mode 1
		.amdhsa_fp16_overflow 0
		.amdhsa_workgroup_processor_mode 1
		.amdhsa_memory_ordered 1
		.amdhsa_forward_progress 1
		.amdhsa_shared_vgpr_count 0
		.amdhsa_exception_fp_ieee_invalid_op 0
		.amdhsa_exception_fp_denorm_src 0
		.amdhsa_exception_fp_ieee_div_zero 0
		.amdhsa_exception_fp_ieee_overflow 0
		.amdhsa_exception_fp_ieee_underflow 0
		.amdhsa_exception_fp_ieee_inexact 0
		.amdhsa_exception_int_div_zero 0
	.end_amdhsa_kernel
	.section	.text._ZN4vllm25paged_attention_v1_kernelIfhLi128ELi16ELi128ELNS_18Fp8KVCacheDataTypeE1ELb0EEEvPT_PKS2_PKT0_S8_ifPKiSA_iPKfiiiSC_SC_iiiii,"axG",@progbits,_ZN4vllm25paged_attention_v1_kernelIfhLi128ELi16ELi128ELNS_18Fp8KVCacheDataTypeE1ELb0EEEvPT_PKS2_PKT0_S8_ifPKiSA_iPKfiiiSC_SC_iiiii,comdat
.Lfunc_end197:
	.size	_ZN4vllm25paged_attention_v1_kernelIfhLi128ELi16ELi128ELNS_18Fp8KVCacheDataTypeE1ELb0EEEvPT_PKS2_PKT0_S8_ifPKiSA_iPKfiiiSC_SC_iiiii, .Lfunc_end197-_ZN4vllm25paged_attention_v1_kernelIfhLi128ELi16ELi128ELNS_18Fp8KVCacheDataTypeE1ELb0EEEvPT_PKS2_PKT0_S8_ifPKiSA_iPKfiiiSC_SC_iiiii
                                        ; -- End function
	.set _ZN4vllm25paged_attention_v1_kernelIfhLi128ELi16ELi128ELNS_18Fp8KVCacheDataTypeE1ELb0EEEvPT_PKS2_PKT0_S8_ifPKiSA_iPKfiiiSC_SC_iiiii.num_vgpr, 128
	.set _ZN4vllm25paged_attention_v1_kernelIfhLi128ELi16ELi128ELNS_18Fp8KVCacheDataTypeE1ELb0EEEvPT_PKS2_PKT0_S8_ifPKiSA_iPKfiiiSC_SC_iiiii.num_agpr, 0
	.set _ZN4vllm25paged_attention_v1_kernelIfhLi128ELi16ELi128ELNS_18Fp8KVCacheDataTypeE1ELb0EEEvPT_PKS2_PKT0_S8_ifPKiSA_iPKfiiiSC_SC_iiiii.numbered_sgpr, 40
	.set _ZN4vllm25paged_attention_v1_kernelIfhLi128ELi16ELi128ELNS_18Fp8KVCacheDataTypeE1ELb0EEEvPT_PKS2_PKT0_S8_ifPKiSA_iPKfiiiSC_SC_iiiii.num_named_barrier, 0
	.set _ZN4vllm25paged_attention_v1_kernelIfhLi128ELi16ELi128ELNS_18Fp8KVCacheDataTypeE1ELb0EEEvPT_PKS2_PKT0_S8_ifPKiSA_iPKfiiiSC_SC_iiiii.private_seg_size, 352
	.set _ZN4vllm25paged_attention_v1_kernelIfhLi128ELi16ELi128ELNS_18Fp8KVCacheDataTypeE1ELb0EEEvPT_PKS2_PKT0_S8_ifPKiSA_iPKfiiiSC_SC_iiiii.uses_vcc, 1
	.set _ZN4vllm25paged_attention_v1_kernelIfhLi128ELi16ELi128ELNS_18Fp8KVCacheDataTypeE1ELb0EEEvPT_PKS2_PKT0_S8_ifPKiSA_iPKfiiiSC_SC_iiiii.uses_flat_scratch, 0
	.set _ZN4vllm25paged_attention_v1_kernelIfhLi128ELi16ELi128ELNS_18Fp8KVCacheDataTypeE1ELb0EEEvPT_PKS2_PKT0_S8_ifPKiSA_iPKfiiiSC_SC_iiiii.has_dyn_sized_stack, 0
	.set _ZN4vllm25paged_attention_v1_kernelIfhLi128ELi16ELi128ELNS_18Fp8KVCacheDataTypeE1ELb0EEEvPT_PKS2_PKT0_S8_ifPKiSA_iPKfiiiSC_SC_iiiii.has_recursion, 0
	.set _ZN4vllm25paged_attention_v1_kernelIfhLi128ELi16ELi128ELNS_18Fp8KVCacheDataTypeE1ELb0EEEvPT_PKS2_PKT0_S8_ifPKiSA_iPKfiiiSC_SC_iiiii.has_indirect_call, 0
	.section	.AMDGPU.csdata,"",@progbits
; Kernel info:
; codeLenInByte = 35672
; TotalNumSgprs: 42
; NumVgprs: 128
; ScratchSize: 352
; MemoryBound: 0
; FloatMode: 240
; IeeeMode: 1
; LDSByteSize: 544 bytes/workgroup (compile time only)
; SGPRBlocks: 0
; VGPRBlocks: 15
; NumSGPRsForWavesPerEU: 42
; NumVGPRsForWavesPerEU: 128
; Occupancy: 8
; WaveLimiterHint : 1
; COMPUTE_PGM_RSRC2:SCRATCH_EN: 1
; COMPUTE_PGM_RSRC2:USER_SGPR: 6
; COMPUTE_PGM_RSRC2:TRAP_HANDLER: 0
; COMPUTE_PGM_RSRC2:TGID_X_EN: 1
; COMPUTE_PGM_RSRC2:TGID_Y_EN: 1
; COMPUTE_PGM_RSRC2:TGID_Z_EN: 1
; COMPUTE_PGM_RSRC2:TIDIG_COMP_CNT: 0
	.text
	.p2align	2                               ; -- Begin function _ZN4vllm22paged_attention_kernelIfhLi192ELi16ELi128ELNS_18Fp8KVCacheDataTypeE1ELb0ELi0EEEvPfS2_PT_PKS3_PKT0_S9_ifPKiSB_iPKfiiiSD_SD_iiiii
	.type	_ZN4vllm22paged_attention_kernelIfhLi192ELi16ELi128ELNS_18Fp8KVCacheDataTypeE1ELb0ELi0EEEvPfS2_PT_PKS3_PKT0_S9_ifPKiSB_iPKfiiiSD_SD_iiiii,@function
_ZN4vllm22paged_attention_kernelIfhLi192ELi16ELi128ELNS_18Fp8KVCacheDataTypeE1ELb0ELi0EEEvPfS2_PT_PKS3_PKT0_S9_ifPKiSB_iPKfiiiSD_SD_iiiii: ; @_ZN4vllm22paged_attention_kernelIfhLi192ELi16ELi128ELNS_18Fp8KVCacheDataTypeE1ELb0ELi0EEEvPfS2_PT_PKS3_PKT0_S9_ifPKiSB_iPKfiiiSD_SD_iiiii
; %bb.0:
	s_waitcnt vmcnt(0) expcnt(0) lgkmcnt(0)
	buffer_store_dword v40, off, s[0:3], s32 offset:188 ; 4-byte Folded Spill
	buffer_store_dword v41, off, s[0:3], s32 offset:184 ; 4-byte Folded Spill
	;; [unrolled: 1-line block ×47, first 2 shown]
	buffer_store_dword v127, off, s[0:3], s32 ; 4-byte Folded Spill
	s_mov_b32 s10, s13
	s_ashr_i32 s11, s13, 31
	buffer_store_dword v20, off, s[0:3], s32 offset:540 ; 4-byte Folded Spill
	buffer_store_dword v21, off, s[0:3], s32 offset:544 ; 4-byte Folded Spill
	;; [unrolled: 1-line block ×4, first 2 shown]
	s_lshl_b64 s[4:5], s[10:11], 2
	buffer_store_dword v1, off, s[0:3], s32 offset:964 ; 4-byte Folded Spill
	buffer_store_dword v0, off, s[0:3], s32 offset:968 ; 4-byte Folded Spill
	v_add_co_u32 v0, vcc_lo, v12, s4
	v_add_co_ci_u32_e64 v1, null, s5, v13, vcc_lo
	s_clause 0x1
	s_load_dword s4, s[8:9], 0x10
	s_load_dword s5, s[8:9], 0x0
	v_mov_b32_e32 v20, v6
	flat_load_dword v116, v[0:1]
	v_sub_nc_u32_e32 v0, 0, v8
	s_mov_b32 s16, s15
	v_max_i32_e32 v0, v8, v0
	v_cvt_f32_u32_e32 v1, v0
	v_sub_nc_u32_e32 v6, 0, v0
	v_rcp_iflag_f32_e32 v1, v1
	s_waitcnt lgkmcnt(0)
	s_lshr_b32 s4, s4, 16
	s_cmp_lg_u32 s4, 0
	s_cselect_b32 s4, -1, 0
	s_cmp_lg_u32 s4, 0
	s_addc_u32 s11, s5, 0
	v_mul_f32_e32 v1, 0x4f7ffffe, v1
	s_abs_i32 s4, s11
	s_mov_b32 s5, exec_lo
	v_cvt_u32_f32_e32 v1, v1
	v_mul_lo_u32 v6, v6, v1
	v_mul_hi_u32 v6, v1, v6
	v_add_nc_u32_e32 v1, v1, v6
	v_mul_hi_u32 v1, s4, v1
	v_mul_lo_u32 v6, v1, v0
	v_add_nc_u32_e32 v12, 1, v1
	v_sub_nc_u32_e32 v6, s4, v6
	s_abs_i32 s4, s12
	v_sub_nc_u32_e32 v9, v6, v0
	v_cmp_ge_u32_e32 vcc_lo, v6, v0
	v_cndmask_b32_e32 v1, v1, v12, vcc_lo
	v_cndmask_b32_e32 v6, v6, v9, vcc_lo
	v_xor_b32_e32 v12, s11, v8
	v_add_nc_u32_e32 v8, 1, v1
	v_cmp_ge_u32_e32 vcc_lo, v6, v0
	v_ashrrev_i32_e32 v9, 31, v12
	v_cndmask_b32_e32 v0, v1, v8, vcc_lo
	v_xor_b32_e32 v0, v0, v9
	v_sub_nc_u32_e32 v6, v0, v9
	v_sub_nc_u32_e32 v0, 0, v6
	v_max_i32_e32 v18, v6, v0
	v_cvt_f32_u32_e32 v0, v18
	v_sub_nc_u32_e32 v1, 0, v18
	v_rcp_iflag_f32_e32 v0, v0
	v_mul_f32_e32 v0, 0x4f7ffffe, v0
	v_cvt_u32_f32_e32 v0, v0
	v_mul_lo_u32 v1, v1, v0
	v_mul_hi_u32 v1, v0, v1
	v_add_nc_u32_e32 v0, v0, v1
	v_mad_u64_u32 v[0:1], null, s4, v0, 0
	v_mov_b32_e32 v0, 0
	buffer_store_dword v0, off, s[0:3], s32 offset:948 ; 4-byte Folded Spill
	v_cmpx_ne_u64_e32 0, v[15:16]
	s_cbranch_execz .LBB198_2
; %bb.1:
	s_ashr_i32 s13, s12, 31
	s_lshl_b64 s[6:7], s[12:13], 2
	v_add_co_u32 v8, vcc_lo, v15, s6
	v_add_co_ci_u32_e64 v9, null, s7, v16, vcc_lo
	flat_load_dword v0, v[8:9]
	s_waitcnt vmcnt(0) lgkmcnt(0)
	buffer_store_dword v0, off, s[0:3], s32 offset:948 ; 4-byte Folded Spill
.LBB198_2:
	s_or_b32 exec_lo, exec_lo, s5
	v_and_b32_e32 v12, 0x3ff, v31
	v_ashrrev_i32_e32 v0, 31, v6
	v_and_b32_e32 v6, 1, v31
	s_ashr_i32 s5, s12, 31
	s_mulk_i32 s12, 0xc0
	v_lshlrev_b32_e32 v15, 2, v12
	s_mov_b32 s6, exec_lo
	v_cmpx_gt_u32_e32 0x60, v12
	s_cbranch_execz .LBB198_4
; %bb.3:
	v_mul_lo_u32 v8, v17, s10
	s_ashr_i32 s13, s12, 31
	v_lshlrev_b32_e32 v13, 3, v12
	s_lshl_b64 s[18:19], s[12:13], 2
	v_ashrrev_i32_e32 v9, 31, v8
	v_lshlrev_b64 v[8:9], 2, v[8:9]
	v_add_co_u32 v2, vcc_lo, v2, v8
	v_add_co_ci_u32_e64 v3, null, v3, v9, vcc_lo
	v_and_b32_e32 v8, 0xff8, v15
	v_add_co_u32 v2, vcc_lo, v2, s18
	v_add_co_ci_u32_e64 v3, null, s19, v3, vcc_lo
	v_mad_u32_u24 v8, 0x180, v6, v8
	v_add_co_u32 v2, vcc_lo, v2, v13
	v_add_co_ci_u32_e64 v3, null, 0, v3, vcc_lo
	flat_load_dwordx2 v[2:3], v[2:3]
	s_waitcnt vmcnt(0) lgkmcnt(0)
	ds_write_b64 v8, v[2:3]
.LBB198_4:
	s_or_b32 exec_lo, exec_lo, s6
	v_mul_lo_u32 v2, v1, v18
	s_waitcnt vmcnt(0)
	v_add_nc_u32_e32 v3, 15, v116
	v_add_nc_u32_e32 v8, 1, v1
	v_mbcnt_lo_u32_b32 v21, -1, 0
                                        ; implicit-def: $vgpr105
	v_ashrrev_i32_e32 v9, 31, v3
	v_sub_nc_u32_e32 v2, s4, v2
	v_sub_nc_u32_e32 v13, v2, v18
	v_cmp_ge_u32_e32 vcc_lo, v2, v18
	v_cndmask_b32_e32 v1, v1, v8, vcc_lo
	v_cndmask_b32_e32 v2, v2, v13, vcc_lo
	v_lshrrev_b32_e32 v8, 28, v9
	v_xor_b32_e32 v13, s5, v0
	v_mul_lo_u32 v0, v14, s10
	v_add_nc_u32_e32 v9, 1, v1
	v_cmp_ge_u32_e32 vcc_lo, v2, v18
	v_add_nc_u32_e32 v3, v3, v8
	v_lshrrev_b32_e32 v8, 5, v12
	v_cndmask_b32_e32 v1, v1, v9, vcc_lo
	v_ashrrev_i32_e32 v3, 4, v3
	buffer_store_dword v8, off, s[0:3], s32 offset:960 ; 4-byte Folded Spill
	buffer_store_dword v3, off, s[0:3], s32 offset:208 ; 4-byte Folded Spill
	v_xor_b32_e32 v2, v1, v13
	v_ashrrev_i32_e32 v1, 31, v0
	v_cmp_ge_i32_e64 s4, v8, v3
	s_waitcnt lgkmcnt(0)
	s_waitcnt_vscnt null, 0x0
	s_barrier
	v_sub_nc_u32_e32 v2, v2, v13
	buffer_gl0_inv
                                        ; implicit-def: $vgpr13
	s_mov_b32 s5, exec_lo
	v_mov_b32_e32 v9, v12
	s_and_b32 s6, s5, s4
	s_xor_b32 s5, s6, s5
	s_mov_b32 exec_lo, s6
	s_cbranch_execz .LBB198_6
; %bb.5:
	v_mov_b32_e32 v105, 0
	v_mbcnt_lo_u32_b32 v21, -1, 0
	v_mov_b32_e32 v13, 32
                                        ; implicit-def: $vgpr3
                                        ; kill: killed $vgpr3
                                        ; implicit-def: $vgpr3
                                        ; kill: killed $vgpr3
                                        ; implicit-def: $vgpr3
	buffer_store_dword v3, off, s[0:3], s32 offset:540 ; 4-byte Folded Spill
	buffer_store_dword v4, off, s[0:3], s32 offset:544 ; 4-byte Folded Spill
                                        ; implicit-def: $vgpr4
                                        ; implicit-def: $vgpr5
                                        ; implicit-def: $vgpr6
.LBB198_6:
	s_or_saveexec_b32 s7, s5
	s_clause 0x1
	s_load_dword s15, s[8:9], 0x14
	s_load_dword s13, s[8:9], 0x8
	v_mul_lo_u32 v18, v2, v19
	v_lshlrev_b64 v[16:17], 2, v[0:1]
	v_mov_b32_e32 v3, 0xff7fffff
	v_lshrrev_b32_e32 v14, 3, v9
	buffer_store_dword v9, off, s[0:3], s32 offset:956 ; 4-byte Folded Spill
	v_ashrrev_i32_e32 v19, 31, v18
	s_xor_b32 exec_lo, exec_lo, s7
	s_cbranch_execz .LBB198_780
; %bb.7:
	v_bfe_u32 v0, v9, 1, 4
	v_add_co_u32 v1, vcc_lo, v4, v18
	v_add_co_ci_u32_e64 v2, null, v5, v19, vcc_lo
	v_lshlrev_b32_e32 v3, 4, v0
	buffer_store_dword v15, off, s[0:3], s32 offset:996 ; 4-byte Folded Spill
	buffer_store_dword v20, off, s[0:3], s32 offset:992 ; 4-byte Folded Spill
	;; [unrolled: 1-line block ×7, first 2 shown]
	s_ashr_i32 s17, s16, 31
	v_add_co_u32 v1, vcc_lo, v1, v3
	v_add_co_ci_u32_e64 v2, null, 0, v2, vcc_lo
	v_lshlrev_b32_e32 v3, 1, v6
	v_mov_b32_e32 v105, 0
	s_lshl_b64 s[8:9], s[16:17], 2
	buffer_store_dword v1, off, s[0:3], s32 offset:552 ; 4-byte Folded Spill
	buffer_store_dword v2, off, s[0:3], s32 offset:556 ; 4-byte Folded Spill
	v_mul_u32_u24_e32 v1, 0x180, v6
	v_xor_b32_e32 v2, 1, v21
	v_mov_b32_e32 v9, 0x80
	v_bfrev_b32_e32 v101, 1
	v_mov_b32_e32 v97, 0x7f800001
	ds_read_b128 v[22:25], v1
	v_cmp_gt_i32_e32 vcc_lo, 32, v2
	s_getpc_b64 s[20:21]
	s_add_u32 s20, s20, llvm.amdgcn.dynlds.offset.table@rel32@lo+4
	s_addc_u32 s21, s21, llvm.amdgcn.dynlds.offset.table@rel32@hi+12
	s_add_u32 s8, s20, s8
	s_mov_b32 s18, 0
	s_addc_u32 s9, s21, s9
	v_cndmask_b32_e32 v2, v21, v2, vcc_lo
	v_cmp_eq_u32_e32 vcc_lo, 0, v6
	s_waitcnt lgkmcnt(0)
	buffer_store_dword v22, off, s[0:3], s32 offset:560 ; 4-byte Folded Spill
	buffer_store_dword v23, off, s[0:3], s32 offset:564 ; 4-byte Folded Spill
	;; [unrolled: 1-line block ×4, first 2 shown]
	ds_read_b128 v[22:25], v1 offset:16
	v_lshlrev_b32_e32 v2, 2, v2
	s_waitcnt lgkmcnt(0)
	buffer_store_dword v22, off, s[0:3], s32 offset:576 ; 4-byte Folded Spill
	buffer_store_dword v23, off, s[0:3], s32 offset:580 ; 4-byte Folded Spill
	buffer_store_dword v24, off, s[0:3], s32 offset:584 ; 4-byte Folded Spill
	buffer_store_dword v25, off, s[0:3], s32 offset:588 ; 4-byte Folded Spill
	ds_read_b128 v[22:25], v1 offset:32
	s_waitcnt lgkmcnt(0)
	buffer_store_dword v22, off, s[0:3], s32 offset:592 ; 4-byte Folded Spill
	buffer_store_dword v23, off, s[0:3], s32 offset:596 ; 4-byte Folded Spill
	buffer_store_dword v24, off, s[0:3], s32 offset:600 ; 4-byte Folded Spill
	buffer_store_dword v25, off, s[0:3], s32 offset:604 ; 4-byte Folded Spill
	ds_read_b128 v[22:25], v1 offset:48
	;; [unrolled: 6-line block ×11, first 2 shown]
	s_waitcnt lgkmcnt(0)
	buffer_store_dword v22, off, s[0:3], s32 offset:752 ; 4-byte Folded Spill
	buffer_store_dword v23, off, s[0:3], s32 offset:756 ; 4-byte Folded Spill
	;; [unrolled: 1-line block ×5, first 2 shown]
	buffer_load_dword v2, off, s[0:3], s32 offset:948 ; 4-byte Folded Reload
	buffer_store_dword v21, off, s[0:3], s32 offset:1020 ; 4-byte Folded Spill
	s_waitcnt vmcnt(0)
	v_cmp_neq_f32_e64 s5, 0, v2
	v_or_b32_e32 v2, 4, v3
	buffer_store_dword v2, off, s[0:3], s32 offset:196 ; 4-byte Folded Spill
	v_or_b32_e32 v2, 8, v3
	buffer_store_dword v2, off, s[0:3], s32 offset:200 ; 4-byte Folded Spill
	buffer_store_dword v3, off, s[0:3], s32 offset:192 ; 4-byte Folded Spill
	v_or_b32_e32 v2, 12, v3
	buffer_store_dword v2, off, s[0:3], s32 offset:204 ; 4-byte Folded Spill
	ds_read_b128 v[2:5], v1 offset:208
	s_waitcnt lgkmcnt(0)
	buffer_store_dword v2, off, s[0:3], s32 offset:772 ; 4-byte Folded Spill
	buffer_store_dword v3, off, s[0:3], s32 offset:776 ; 4-byte Folded Spill
	buffer_store_dword v4, off, s[0:3], s32 offset:780 ; 4-byte Folded Spill
	buffer_store_dword v5, off, s[0:3], s32 offset:784 ; 4-byte Folded Spill
	ds_read_b128 v[2:5], v1 offset:224
	s_waitcnt lgkmcnt(0)
	buffer_store_dword v2, off, s[0:3], s32 offset:788 ; 4-byte Folded Spill
	buffer_store_dword v3, off, s[0:3], s32 offset:792 ; 4-byte Folded Spill
	buffer_store_dword v4, off, s[0:3], s32 offset:796 ; 4-byte Folded Spill
	;; [unrolled: 6-line block ×11, first 2 shown]
	buffer_store_dword v4, off, s[0:3], s32 offset:944 ; 4-byte Folded Spill
	v_and_b32_e32 v1, 0x7c, v14
	buffer_store_dword v14, off, s[0:3], s32 offset:1008 ; 4-byte Folded Spill
	v_add_co_u32 v1, s6, v1, v16
	buffer_store_dword v16, off, s[0:3], s32 offset:1000 ; 4-byte Folded Spill
	buffer_store_dword v17, off, s[0:3], s32 offset:1004 ; 4-byte Folded Spill
	;; [unrolled: 1-line block ×4, first 2 shown]
	v_add_co_ci_u32_e64 v2, null, 0, v17, s6
	v_add_co_u32 v108, s6, v10, v1
	buffer_load_dword v1, off, s[0:3], s32 offset:960 ; 4-byte Folded Reload
	v_add_co_ci_u32_e64 v109, null, v11, v2, s6
	s_waitcnt vmcnt(0)
	v_lshl_or_b32 v2, v1, 4, v0
	v_lshlrev_b32_e32 v0, 2, v0
	v_mov_b32_e32 v5, v1
	buffer_store_dword v2, off, s[0:3], s32 offset:524 ; 4-byte Folded Spill
	v_lshl_or_b32 v0, v1, 6, v0
	buffer_store_dword v0, off, s[0:3], s32 offset:528 ; 4-byte Folded Spill
	v_mov_b32_e32 v0, 0xff7fffff
	buffer_store_dword v0, off, s[0:3], s32 offset:548 ; 4-byte Folded Spill
	s_branch .LBB198_9
.LBB198_8:                              ;   in Loop: Header=BB198_9 Depth=1
	s_or_b32 exec_lo, exec_lo, s17
	buffer_load_dword v0, off, s[0:3], s32 offset:524 ; 4-byte Folded Reload
	s_waitcnt vmcnt(1)
	v_add_nc_u32_e32 v5, 4, v5
	v_add_co_u32 v108, s6, v108, 16
	v_add_co_ci_u32_e64 v109, null, 0, v109, s6
	s_waitcnt vmcnt(0)
	v_add_nc_u32_e32 v0, 64, v0
	buffer_store_dword v0, off, s[0:3], s32 offset:524 ; 4-byte Folded Spill
	buffer_load_dword v0, off, s[0:3], s32 offset:528 ; 4-byte Folded Reload
	s_waitcnt vmcnt(0)
	v_add_nc_u32_e32 v0, 0x100, v0
	buffer_store_dword v0, off, s[0:3], s32 offset:528 ; 4-byte Folded Spill
	buffer_load_dword v0, off, s[0:3], s32 offset:208 ; 4-byte Folded Reload
	s_waitcnt vmcnt(0)
	v_cmp_ge_i32_e64 s6, v5, v0
	s_or_b32 s18, s6, s18
	s_andn2_b32 exec_lo, exec_lo, s18
	s_cbranch_execz .LBB198_779
.LBB198_9:                              ; =>This Inner Loop Header: Depth=1
	buffer_store_dword v5, off, s[0:3], s32 offset:536 ; 4-byte Folded Spill
	flat_load_dword v0, v[108:109]
	s_waitcnt lgkmcnt(1)
	s_clause 0x2
	buffer_load_dword v1, off, s[0:3], s32 offset:532
	buffer_load_dword v2, off, s[0:3], s32 offset:552
	buffer_load_dword v3, off, s[0:3], s32 offset:556
	v_mov_b32_e32 v4, 0
	v_mov_b32_e32 v88, 0
	v_mov_b32_e32 v5, 0
	v_mov_b32_e32 v89, 0
	s_waitcnt vmcnt(0) lgkmcnt(0)
	v_mad_i64_i32 v[2:3], null, v0, v1, v[2:3]
	s_clause 0x1
	buffer_load_dword v0, off, s[0:3], s32 offset:540
	buffer_load_dword v1, off, s[0:3], s32 offset:544
	s_waitcnt vmcnt(0)
	flat_load_dword v117, v[0:1]
	buffer_load_dword v0, off, s[0:3], s32 offset:192 ; 4-byte Folded Reload
	s_waitcnt vmcnt(0)
	v_add_co_u32 v102, s6, v2, v0
	v_add_co_ci_u32_e64 v103, null, 0, v3, s6
	flat_load_ushort v1, v[102:103]
	buffer_store_dword v4, off, s[0:3], s32 offset:212 ; 4-byte Folded Spill
	buffer_store_dword v5, off, s[0:3], s32 offset:216 ; 4-byte Folded Spill
	s_waitcnt vmcnt(0) lgkmcnt(0)
	v_and_b32_e32 v0, 0xffff, v1
	v_cmp_ne_u16_sdwa s6, v1, v105 src0_sel:BYTE_0 src1_sel:DWORD
	s_and_saveexec_b32 s17, s6
	s_cbranch_execz .LBB198_17
; %bb.10:                               ;   in Loop: Header=BB198_9 Depth=1
	v_bfrev_b32_e32 v88, 1
	v_mov_b32_e32 v89, 0
	v_cmp_ne_u16_sdwa s6, v0, v9 src0_sel:BYTE_0 src1_sel:DWORD
	s_and_saveexec_b32 s19, s6
	s_cbranch_execz .LBB198_16
; %bb.11:                               ;   in Loop: Header=BB198_9 Depth=1
	v_mov_b32_e32 v88, 0x7f800001
	v_and_b32_e32 v4, 0x7f, v0
	v_mov_b32_e32 v89, 0
	s_mov_b32 s20, exec_lo
	v_cmpx_ne_u32_e32 0x7f, v4
	s_cbranch_execz .LBB198_15
; %bb.12:                               ;   in Loop: Header=BB198_9 Depth=1
	v_and_b32_e32 v104, 7, v0
	v_lshrrev_b32_e32 v1, 3, v4
	s_mov_b32 s21, exec_lo
	v_cmpx_gt_u32_e32 8, v4
; %bb.13:                               ;   in Loop: Header=BB198_9 Depth=1
	v_ffbh_u32_e32 v1, v104
	v_min_u32_e32 v1, 32, v1
	v_subrev_nc_u32_e32 v4, 28, v1
	v_sub_nc_u32_e32 v1, 29, v1
	v_lshlrev_b64 v[4:5], v4, v[104:105]
	v_and_b32_e32 v104, 7, v4
; %bb.14:                               ;   in Loop: Header=BB198_9 Depth=1
	s_or_b32 exec_lo, exec_lo, s21
	v_lshlrev_b32_e32 v4, 24, v0
	v_lshlrev_b32_e32 v5, 20, v104
	v_lshl_add_u32 v1, v1, 23, 0x3c000000
	v_and_b32_e32 v4, 0x80000000, v4
	v_or3_b32 v104, v5, v4, v1
	v_mov_b32_e32 v88, v104
	v_mov_b32_e32 v89, v105
.LBB198_15:                             ;   in Loop: Header=BB198_9 Depth=1
	s_or_b32 exec_lo, exec_lo, s20
.LBB198_16:                             ;   in Loop: Header=BB198_9 Depth=1
	s_or_b32 exec_lo, exec_lo, s19
.LBB198_17:                             ;   in Loop: Header=BB198_9 Depth=1
	s_or_b32 exec_lo, exec_lo, s17
	v_cmp_ne_u16_sdwa s6, v0, v105 src0_sel:BYTE_1 src1_sel:DWORD
	s_and_saveexec_b32 s17, s6
	s_cbranch_execz .LBB198_25
; %bb.18:                               ;   in Loop: Header=BB198_9 Depth=1
	v_mov_b32_e32 v100, v105
	v_cmp_ne_u16_sdwa s6, v0, v9 src0_sel:BYTE_1 src1_sel:DWORD
	buffer_store_dword v100, off, s[0:3], s32 offset:212 ; 4-byte Folded Spill
	buffer_store_dword v101, off, s[0:3], s32 offset:216 ; 4-byte Folded Spill
	s_and_saveexec_b32 s19, s6
	s_cbranch_execz .LBB198_24
; %bb.19:                               ;   in Loop: Header=BB198_9 Depth=1
	v_mov_b32_e32 v1, 0xffff
	v_mov_b32_e32 v96, v105
	s_mov_b32 s20, exec_lo
	buffer_store_dword v96, off, s[0:3], s32 offset:212 ; 4-byte Folded Spill
	buffer_store_dword v97, off, s[0:3], s32 offset:216 ; 4-byte Folded Spill
	v_and_b32_sdwa v1, v1, v0 dst_sel:DWORD dst_unused:UNUSED_PAD src0_sel:DWORD src1_sel:BYTE_1
	v_and_b32_e32 v4, 0x7f, v1
	v_cmpx_ne_u32_e32 0x7f, v4
	s_cbranch_execz .LBB198_23
; %bb.20:                               ;   in Loop: Header=BB198_9 Depth=1
	v_and_b32_e32 v104, 7, v1
	v_lshrrev_b32_e32 v1, 3, v4
	s_mov_b32 s21, exec_lo
	v_cmpx_gt_u32_e32 8, v4
; %bb.21:                               ;   in Loop: Header=BB198_9 Depth=1
	v_ffbh_u32_e32 v1, v104
	v_min_u32_e32 v1, 32, v1
	v_subrev_nc_u32_e32 v4, 28, v1
	v_sub_nc_u32_e32 v1, 29, v1
	v_lshlrev_b64 v[4:5], v4, v[104:105]
	v_and_b32_e32 v104, 7, v4
; %bb.22:                               ;   in Loop: Header=BB198_9 Depth=1
	s_or_b32 exec_lo, exec_lo, s21
	v_lshlrev_b32_e32 v0, 16, v0
	v_lshlrev_b32_e32 v4, 20, v104
	v_lshl_add_u32 v1, v1, 23, 0x3c000000
	v_and_b32_e32 v0, 0x80000000, v0
	v_or3_b32 v1, v4, v0, v1
	v_mov_b32_e32 v0, v105
	buffer_store_dword v0, off, s[0:3], s32 offset:212 ; 4-byte Folded Spill
	buffer_store_dword v1, off, s[0:3], s32 offset:216 ; 4-byte Folded Spill
.LBB198_23:                             ;   in Loop: Header=BB198_9 Depth=1
	s_or_b32 exec_lo, exec_lo, s20
.LBB198_24:                             ;   in Loop: Header=BB198_9 Depth=1
	s_or_b32 exec_lo, exec_lo, s19
.LBB198_25:                             ;   in Loop: Header=BB198_9 Depth=1
	s_or_b32 exec_lo, exec_lo, s17
	flat_load_ushort v1, v[102:103] offset:4
	v_mov_b32_e32 v4, 0
	v_mov_b32_e32 v5, 0
	buffer_store_dword v4, off, s[0:3], s32 offset:228 ; 4-byte Folded Spill
	buffer_store_dword v5, off, s[0:3], s32 offset:232 ; 4-byte Folded Spill
	v_mov_b32_e32 v4, 0
	v_mov_b32_e32 v5, 0
	buffer_store_dword v4, off, s[0:3], s32 offset:220 ; 4-byte Folded Spill
	buffer_store_dword v5, off, s[0:3], s32 offset:224 ; 4-byte Folded Spill
	s_waitcnt vmcnt(0) lgkmcnt(0)
	v_and_b32_e32 v0, 0xffff, v1
	v_cmp_ne_u16_sdwa s6, v1, v105 src0_sel:BYTE_0 src1_sel:DWORD
	s_and_saveexec_b32 s17, s6
	s_cbranch_execz .LBB198_33
; %bb.26:                               ;   in Loop: Header=BB198_9 Depth=1
	v_bfrev_b32_e32 v4, 1
	v_mov_b32_e32 v5, 0
	v_cmp_ne_u16_sdwa s6, v0, v9 src0_sel:BYTE_0 src1_sel:DWORD
	buffer_store_dword v4, off, s[0:3], s32 offset:220 ; 4-byte Folded Spill
	buffer_store_dword v5, off, s[0:3], s32 offset:224 ; 4-byte Folded Spill
	s_and_saveexec_b32 s19, s6
	s_cbranch_execz .LBB198_32
; %bb.27:                               ;   in Loop: Header=BB198_9 Depth=1
	v_mov_b32_e32 v5, 0x7f800001
	v_and_b32_e32 v4, 0x7f, v0
	v_mov_b32_e32 v6, 0
	s_mov_b32 s20, exec_lo
	buffer_store_dword v5, off, s[0:3], s32 offset:220 ; 4-byte Folded Spill
	buffer_store_dword v6, off, s[0:3], s32 offset:224 ; 4-byte Folded Spill
	v_cmpx_ne_u32_e32 0x7f, v4
	s_cbranch_execz .LBB198_31
; %bb.28:                               ;   in Loop: Header=BB198_9 Depth=1
	v_and_b32_e32 v104, 7, v0
	v_lshrrev_b32_e32 v1, 3, v4
	s_mov_b32 s21, exec_lo
	v_cmpx_gt_u32_e32 8, v4
; %bb.29:                               ;   in Loop: Header=BB198_9 Depth=1
	v_ffbh_u32_e32 v1, v104
	v_min_u32_e32 v1, 32, v1
	v_subrev_nc_u32_e32 v4, 28, v1
	v_sub_nc_u32_e32 v1, 29, v1
	v_lshlrev_b64 v[4:5], v4, v[104:105]
	v_and_b32_e32 v104, 7, v4
; %bb.30:                               ;   in Loop: Header=BB198_9 Depth=1
	s_or_b32 exec_lo, exec_lo, s21
	v_lshlrev_b32_e32 v4, 24, v0
	v_lshlrev_b32_e32 v5, 20, v104
	v_lshl_add_u32 v1, v1, 23, 0x3c000000
	v_and_b32_e32 v4, 0x80000000, v4
	v_or3_b32 v104, v5, v4, v1
	buffer_store_dword v104, off, s[0:3], s32 offset:220 ; 4-byte Folded Spill
	buffer_store_dword v105, off, s[0:3], s32 offset:224 ; 4-byte Folded Spill
.LBB198_31:                             ;   in Loop: Header=BB198_9 Depth=1
	s_or_b32 exec_lo, exec_lo, s20
.LBB198_32:                             ;   in Loop: Header=BB198_9 Depth=1
	s_or_b32 exec_lo, exec_lo, s19
.LBB198_33:                             ;   in Loop: Header=BB198_9 Depth=1
	s_or_b32 exec_lo, exec_lo, s17
	v_cmp_ne_u16_sdwa s6, v0, v105 src0_sel:BYTE_1 src1_sel:DWORD
	s_and_saveexec_b32 s17, s6
	s_cbranch_execz .LBB198_41
; %bb.34:                               ;   in Loop: Header=BB198_9 Depth=1
	v_mov_b32_e32 v100, v105
	v_cmp_ne_u16_sdwa s6, v0, v9 src0_sel:BYTE_1 src1_sel:DWORD
	buffer_store_dword v100, off, s[0:3], s32 offset:228 ; 4-byte Folded Spill
	buffer_store_dword v101, off, s[0:3], s32 offset:232 ; 4-byte Folded Spill
	s_and_saveexec_b32 s19, s6
	s_cbranch_execz .LBB198_40
; %bb.35:                               ;   in Loop: Header=BB198_9 Depth=1
	v_mov_b32_e32 v1, 0xffff
	v_mov_b32_e32 v96, v105
	s_mov_b32 s20, exec_lo
	buffer_store_dword v96, off, s[0:3], s32 offset:228 ; 4-byte Folded Spill
	buffer_store_dword v97, off, s[0:3], s32 offset:232 ; 4-byte Folded Spill
	v_and_b32_sdwa v1, v1, v0 dst_sel:DWORD dst_unused:UNUSED_PAD src0_sel:DWORD src1_sel:BYTE_1
	v_and_b32_e32 v4, 0x7f, v1
	v_cmpx_ne_u32_e32 0x7f, v4
	s_cbranch_execz .LBB198_39
; %bb.36:                               ;   in Loop: Header=BB198_9 Depth=1
	v_and_b32_e32 v104, 7, v1
	v_lshrrev_b32_e32 v1, 3, v4
	s_mov_b32 s21, exec_lo
	v_cmpx_gt_u32_e32 8, v4
; %bb.37:                               ;   in Loop: Header=BB198_9 Depth=1
	v_ffbh_u32_e32 v1, v104
	v_min_u32_e32 v1, 32, v1
	v_subrev_nc_u32_e32 v4, 28, v1
	v_sub_nc_u32_e32 v1, 29, v1
	v_lshlrev_b64 v[4:5], v4, v[104:105]
	v_and_b32_e32 v104, 7, v4
; %bb.38:                               ;   in Loop: Header=BB198_9 Depth=1
	s_or_b32 exec_lo, exec_lo, s21
	v_lshlrev_b32_e32 v0, 16, v0
	v_lshlrev_b32_e32 v4, 20, v104
	v_lshl_add_u32 v1, v1, 23, 0x3c000000
	v_and_b32_e32 v0, 0x80000000, v0
	v_or3_b32 v1, v4, v0, v1
	v_mov_b32_e32 v0, v105
	buffer_store_dword v0, off, s[0:3], s32 offset:228 ; 4-byte Folded Spill
	buffer_store_dword v1, off, s[0:3], s32 offset:232 ; 4-byte Folded Spill
.LBB198_39:                             ;   in Loop: Header=BB198_9 Depth=1
	s_or_b32 exec_lo, exec_lo, s20
.LBB198_40:                             ;   in Loop: Header=BB198_9 Depth=1
	s_or_b32 exec_lo, exec_lo, s19
.LBB198_41:                             ;   in Loop: Header=BB198_9 Depth=1
	s_or_b32 exec_lo, exec_lo, s17
	flat_load_ushort v1, v[102:103] offset:8
	v_mov_b32_e32 v4, 0
	v_mov_b32_e32 v5, 0
	buffer_store_dword v4, off, s[0:3], s32 offset:244 ; 4-byte Folded Spill
	buffer_store_dword v5, off, s[0:3], s32 offset:248 ; 4-byte Folded Spill
	v_mov_b32_e32 v4, 0
	v_mov_b32_e32 v5, 0
	buffer_store_dword v4, off, s[0:3], s32 offset:236 ; 4-byte Folded Spill
	buffer_store_dword v5, off, s[0:3], s32 offset:240 ; 4-byte Folded Spill
	s_waitcnt vmcnt(0) lgkmcnt(0)
	v_and_b32_e32 v0, 0xffff, v1
	v_cmp_ne_u16_sdwa s6, v1, v105 src0_sel:BYTE_0 src1_sel:DWORD
	s_and_saveexec_b32 s17, s6
	s_cbranch_execz .LBB198_49
; %bb.42:                               ;   in Loop: Header=BB198_9 Depth=1
	v_bfrev_b32_e32 v4, 1
	v_mov_b32_e32 v5, 0
	v_cmp_ne_u16_sdwa s6, v0, v9 src0_sel:BYTE_0 src1_sel:DWORD
	buffer_store_dword v4, off, s[0:3], s32 offset:236 ; 4-byte Folded Spill
	buffer_store_dword v5, off, s[0:3], s32 offset:240 ; 4-byte Folded Spill
	s_and_saveexec_b32 s19, s6
	s_cbranch_execz .LBB198_48
; %bb.43:                               ;   in Loop: Header=BB198_9 Depth=1
	v_mov_b32_e32 v5, 0x7f800001
	v_and_b32_e32 v4, 0x7f, v0
	v_mov_b32_e32 v6, 0
	s_mov_b32 s20, exec_lo
	buffer_store_dword v5, off, s[0:3], s32 offset:236 ; 4-byte Folded Spill
	buffer_store_dword v6, off, s[0:3], s32 offset:240 ; 4-byte Folded Spill
	v_cmpx_ne_u32_e32 0x7f, v4
	s_cbranch_execz .LBB198_47
; %bb.44:                               ;   in Loop: Header=BB198_9 Depth=1
	v_and_b32_e32 v104, 7, v0
	v_lshrrev_b32_e32 v1, 3, v4
	s_mov_b32 s21, exec_lo
	v_cmpx_gt_u32_e32 8, v4
; %bb.45:                               ;   in Loop: Header=BB198_9 Depth=1
	v_ffbh_u32_e32 v1, v104
	v_min_u32_e32 v1, 32, v1
	v_subrev_nc_u32_e32 v4, 28, v1
	v_sub_nc_u32_e32 v1, 29, v1
	v_lshlrev_b64 v[4:5], v4, v[104:105]
	v_and_b32_e32 v104, 7, v4
; %bb.46:                               ;   in Loop: Header=BB198_9 Depth=1
	s_or_b32 exec_lo, exec_lo, s21
	v_lshlrev_b32_e32 v4, 24, v0
	v_lshlrev_b32_e32 v5, 20, v104
	v_lshl_add_u32 v1, v1, 23, 0x3c000000
	v_and_b32_e32 v4, 0x80000000, v4
	v_or3_b32 v104, v5, v4, v1
	buffer_store_dword v104, off, s[0:3], s32 offset:236 ; 4-byte Folded Spill
	buffer_store_dword v105, off, s[0:3], s32 offset:240 ; 4-byte Folded Spill
.LBB198_47:                             ;   in Loop: Header=BB198_9 Depth=1
	s_or_b32 exec_lo, exec_lo, s20
.LBB198_48:                             ;   in Loop: Header=BB198_9 Depth=1
	s_or_b32 exec_lo, exec_lo, s19
.LBB198_49:                             ;   in Loop: Header=BB198_9 Depth=1
	s_or_b32 exec_lo, exec_lo, s17
	v_cmp_ne_u16_sdwa s6, v0, v105 src0_sel:BYTE_1 src1_sel:DWORD
	s_and_saveexec_b32 s17, s6
	s_cbranch_execz .LBB198_57
; %bb.50:                               ;   in Loop: Header=BB198_9 Depth=1
	v_mov_b32_e32 v100, v105
	v_cmp_ne_u16_sdwa s6, v0, v9 src0_sel:BYTE_1 src1_sel:DWORD
	buffer_store_dword v100, off, s[0:3], s32 offset:244 ; 4-byte Folded Spill
	buffer_store_dword v101, off, s[0:3], s32 offset:248 ; 4-byte Folded Spill
	s_and_saveexec_b32 s19, s6
	s_cbranch_execz .LBB198_56
; %bb.51:                               ;   in Loop: Header=BB198_9 Depth=1
	v_mov_b32_e32 v1, 0xffff
	v_mov_b32_e32 v96, v105
	s_mov_b32 s20, exec_lo
	buffer_store_dword v96, off, s[0:3], s32 offset:244 ; 4-byte Folded Spill
	buffer_store_dword v97, off, s[0:3], s32 offset:248 ; 4-byte Folded Spill
	v_and_b32_sdwa v1, v1, v0 dst_sel:DWORD dst_unused:UNUSED_PAD src0_sel:DWORD src1_sel:BYTE_1
	v_and_b32_e32 v4, 0x7f, v1
	v_cmpx_ne_u32_e32 0x7f, v4
	s_cbranch_execz .LBB198_55
; %bb.52:                               ;   in Loop: Header=BB198_9 Depth=1
	v_and_b32_e32 v104, 7, v1
	v_lshrrev_b32_e32 v1, 3, v4
	s_mov_b32 s21, exec_lo
	v_cmpx_gt_u32_e32 8, v4
; %bb.53:                               ;   in Loop: Header=BB198_9 Depth=1
	v_ffbh_u32_e32 v1, v104
	v_min_u32_e32 v1, 32, v1
	v_subrev_nc_u32_e32 v4, 28, v1
	v_sub_nc_u32_e32 v1, 29, v1
	v_lshlrev_b64 v[4:5], v4, v[104:105]
	v_and_b32_e32 v104, 7, v4
; %bb.54:                               ;   in Loop: Header=BB198_9 Depth=1
	s_or_b32 exec_lo, exec_lo, s21
	v_lshlrev_b32_e32 v0, 16, v0
	v_lshlrev_b32_e32 v4, 20, v104
	v_lshl_add_u32 v1, v1, 23, 0x3c000000
	v_and_b32_e32 v0, 0x80000000, v0
	v_or3_b32 v1, v4, v0, v1
	v_mov_b32_e32 v0, v105
	buffer_store_dword v0, off, s[0:3], s32 offset:244 ; 4-byte Folded Spill
	buffer_store_dword v1, off, s[0:3], s32 offset:248 ; 4-byte Folded Spill
.LBB198_55:                             ;   in Loop: Header=BB198_9 Depth=1
	s_or_b32 exec_lo, exec_lo, s20
.LBB198_56:                             ;   in Loop: Header=BB198_9 Depth=1
	s_or_b32 exec_lo, exec_lo, s19
.LBB198_57:                             ;   in Loop: Header=BB198_9 Depth=1
	s_or_b32 exec_lo, exec_lo, s17
	flat_load_ushort v1, v[102:103] offset:12
	v_mov_b32_e32 v4, 0
	v_mov_b32_e32 v5, 0
	buffer_store_dword v4, off, s[0:3], s32 offset:260 ; 4-byte Folded Spill
	buffer_store_dword v5, off, s[0:3], s32 offset:264 ; 4-byte Folded Spill
	v_mov_b32_e32 v4, 0
	v_mov_b32_e32 v5, 0
	buffer_store_dword v4, off, s[0:3], s32 offset:252 ; 4-byte Folded Spill
	buffer_store_dword v5, off, s[0:3], s32 offset:256 ; 4-byte Folded Spill
	s_waitcnt vmcnt(0) lgkmcnt(0)
	v_and_b32_e32 v0, 0xffff, v1
	v_cmp_ne_u16_sdwa s6, v1, v105 src0_sel:BYTE_0 src1_sel:DWORD
	s_and_saveexec_b32 s17, s6
	s_cbranch_execz .LBB198_65
; %bb.58:                               ;   in Loop: Header=BB198_9 Depth=1
	v_bfrev_b32_e32 v4, 1
	v_mov_b32_e32 v5, 0
	v_cmp_ne_u16_sdwa s6, v0, v9 src0_sel:BYTE_0 src1_sel:DWORD
	buffer_store_dword v4, off, s[0:3], s32 offset:252 ; 4-byte Folded Spill
	buffer_store_dword v5, off, s[0:3], s32 offset:256 ; 4-byte Folded Spill
	s_and_saveexec_b32 s19, s6
	s_cbranch_execz .LBB198_64
; %bb.59:                               ;   in Loop: Header=BB198_9 Depth=1
	v_mov_b32_e32 v5, 0x7f800001
	v_and_b32_e32 v4, 0x7f, v0
	v_mov_b32_e32 v6, 0
	s_mov_b32 s20, exec_lo
	buffer_store_dword v5, off, s[0:3], s32 offset:252 ; 4-byte Folded Spill
	buffer_store_dword v6, off, s[0:3], s32 offset:256 ; 4-byte Folded Spill
	v_cmpx_ne_u32_e32 0x7f, v4
	s_cbranch_execz .LBB198_63
; %bb.60:                               ;   in Loop: Header=BB198_9 Depth=1
	v_and_b32_e32 v104, 7, v0
	v_lshrrev_b32_e32 v1, 3, v4
	s_mov_b32 s21, exec_lo
	v_cmpx_gt_u32_e32 8, v4
; %bb.61:                               ;   in Loop: Header=BB198_9 Depth=1
	v_ffbh_u32_e32 v1, v104
	v_min_u32_e32 v1, 32, v1
	v_subrev_nc_u32_e32 v4, 28, v1
	v_sub_nc_u32_e32 v1, 29, v1
	v_lshlrev_b64 v[4:5], v4, v[104:105]
	v_and_b32_e32 v104, 7, v4
; %bb.62:                               ;   in Loop: Header=BB198_9 Depth=1
	s_or_b32 exec_lo, exec_lo, s21
	v_lshlrev_b32_e32 v4, 24, v0
	v_lshlrev_b32_e32 v5, 20, v104
	v_lshl_add_u32 v1, v1, 23, 0x3c000000
	v_and_b32_e32 v4, 0x80000000, v4
	v_or3_b32 v104, v5, v4, v1
	buffer_store_dword v104, off, s[0:3], s32 offset:252 ; 4-byte Folded Spill
	buffer_store_dword v105, off, s[0:3], s32 offset:256 ; 4-byte Folded Spill
.LBB198_63:                             ;   in Loop: Header=BB198_9 Depth=1
	s_or_b32 exec_lo, exec_lo, s20
.LBB198_64:                             ;   in Loop: Header=BB198_9 Depth=1
	s_or_b32 exec_lo, exec_lo, s19
.LBB198_65:                             ;   in Loop: Header=BB198_9 Depth=1
	s_or_b32 exec_lo, exec_lo, s17
	v_cmp_ne_u16_sdwa s6, v0, v105 src0_sel:BYTE_1 src1_sel:DWORD
	s_and_saveexec_b32 s17, s6
	s_cbranch_execz .LBB198_73
; %bb.66:                               ;   in Loop: Header=BB198_9 Depth=1
	v_mov_b32_e32 v100, v105
	v_cmp_ne_u16_sdwa s6, v0, v9 src0_sel:BYTE_1 src1_sel:DWORD
	buffer_store_dword v100, off, s[0:3], s32 offset:260 ; 4-byte Folded Spill
	buffer_store_dword v101, off, s[0:3], s32 offset:264 ; 4-byte Folded Spill
	s_and_saveexec_b32 s19, s6
	s_cbranch_execz .LBB198_72
; %bb.67:                               ;   in Loop: Header=BB198_9 Depth=1
	v_mov_b32_e32 v1, 0xffff
	v_mov_b32_e32 v96, v105
	s_mov_b32 s20, exec_lo
	buffer_store_dword v96, off, s[0:3], s32 offset:260 ; 4-byte Folded Spill
	buffer_store_dword v97, off, s[0:3], s32 offset:264 ; 4-byte Folded Spill
	v_and_b32_sdwa v1, v1, v0 dst_sel:DWORD dst_unused:UNUSED_PAD src0_sel:DWORD src1_sel:BYTE_1
	v_and_b32_e32 v4, 0x7f, v1
	v_cmpx_ne_u32_e32 0x7f, v4
	s_cbranch_execz .LBB198_71
; %bb.68:                               ;   in Loop: Header=BB198_9 Depth=1
	v_and_b32_e32 v104, 7, v1
	v_lshrrev_b32_e32 v1, 3, v4
	s_mov_b32 s21, exec_lo
	v_cmpx_gt_u32_e32 8, v4
; %bb.69:                               ;   in Loop: Header=BB198_9 Depth=1
	v_ffbh_u32_e32 v1, v104
	v_min_u32_e32 v1, 32, v1
	v_subrev_nc_u32_e32 v4, 28, v1
	v_sub_nc_u32_e32 v1, 29, v1
	v_lshlrev_b64 v[4:5], v4, v[104:105]
	v_and_b32_e32 v104, 7, v4
; %bb.70:                               ;   in Loop: Header=BB198_9 Depth=1
	s_or_b32 exec_lo, exec_lo, s21
	v_lshlrev_b32_e32 v0, 16, v0
	v_lshlrev_b32_e32 v4, 20, v104
	v_lshl_add_u32 v1, v1, 23, 0x3c000000
	v_and_b32_e32 v0, 0x80000000, v0
	v_or3_b32 v1, v4, v0, v1
	v_mov_b32_e32 v0, v105
	buffer_store_dword v0, off, s[0:3], s32 offset:260 ; 4-byte Folded Spill
	buffer_store_dword v1, off, s[0:3], s32 offset:264 ; 4-byte Folded Spill
.LBB198_71:                             ;   in Loop: Header=BB198_9 Depth=1
	s_or_b32 exec_lo, exec_lo, s20
.LBB198_72:                             ;   in Loop: Header=BB198_9 Depth=1
	s_or_b32 exec_lo, exec_lo, s19
.LBB198_73:                             ;   in Loop: Header=BB198_9 Depth=1
	s_or_b32 exec_lo, exec_lo, s17
	flat_load_ushort v1, v[102:103] offset:256
	v_mov_b32_e32 v4, 0
	v_mov_b32_e32 v5, 0
	buffer_store_dword v4, off, s[0:3], s32 offset:276 ; 4-byte Folded Spill
	buffer_store_dword v5, off, s[0:3], s32 offset:280 ; 4-byte Folded Spill
	v_mov_b32_e32 v4, 0
	v_mov_b32_e32 v5, 0
	buffer_store_dword v4, off, s[0:3], s32 offset:268 ; 4-byte Folded Spill
	buffer_store_dword v5, off, s[0:3], s32 offset:272 ; 4-byte Folded Spill
	s_waitcnt vmcnt(0) lgkmcnt(0)
	v_and_b32_e32 v0, 0xffff, v1
	v_cmp_ne_u16_sdwa s6, v1, v105 src0_sel:BYTE_0 src1_sel:DWORD
	s_and_saveexec_b32 s17, s6
	s_cbranch_execz .LBB198_81
; %bb.74:                               ;   in Loop: Header=BB198_9 Depth=1
	v_bfrev_b32_e32 v4, 1
	v_mov_b32_e32 v5, 0
	v_cmp_ne_u16_sdwa s6, v0, v9 src0_sel:BYTE_0 src1_sel:DWORD
	buffer_store_dword v4, off, s[0:3], s32 offset:268 ; 4-byte Folded Spill
	buffer_store_dword v5, off, s[0:3], s32 offset:272 ; 4-byte Folded Spill
	s_and_saveexec_b32 s19, s6
	s_cbranch_execz .LBB198_80
; %bb.75:                               ;   in Loop: Header=BB198_9 Depth=1
	v_mov_b32_e32 v5, 0x7f800001
	v_and_b32_e32 v4, 0x7f, v0
	v_mov_b32_e32 v6, 0
	s_mov_b32 s20, exec_lo
	buffer_store_dword v5, off, s[0:3], s32 offset:268 ; 4-byte Folded Spill
	buffer_store_dword v6, off, s[0:3], s32 offset:272 ; 4-byte Folded Spill
	v_cmpx_ne_u32_e32 0x7f, v4
	s_cbranch_execz .LBB198_79
; %bb.76:                               ;   in Loop: Header=BB198_9 Depth=1
	v_and_b32_e32 v104, 7, v0
	v_lshrrev_b32_e32 v1, 3, v4
	s_mov_b32 s21, exec_lo
	v_cmpx_gt_u32_e32 8, v4
; %bb.77:                               ;   in Loop: Header=BB198_9 Depth=1
	v_ffbh_u32_e32 v1, v104
	v_min_u32_e32 v1, 32, v1
	v_subrev_nc_u32_e32 v4, 28, v1
	v_sub_nc_u32_e32 v1, 29, v1
	v_lshlrev_b64 v[4:5], v4, v[104:105]
	v_and_b32_e32 v104, 7, v4
; %bb.78:                               ;   in Loop: Header=BB198_9 Depth=1
	s_or_b32 exec_lo, exec_lo, s21
	v_lshlrev_b32_e32 v4, 24, v0
	v_lshlrev_b32_e32 v5, 20, v104
	v_lshl_add_u32 v1, v1, 23, 0x3c000000
	v_and_b32_e32 v4, 0x80000000, v4
	v_or3_b32 v104, v5, v4, v1
	buffer_store_dword v104, off, s[0:3], s32 offset:268 ; 4-byte Folded Spill
	buffer_store_dword v105, off, s[0:3], s32 offset:272 ; 4-byte Folded Spill
.LBB198_79:                             ;   in Loop: Header=BB198_9 Depth=1
	s_or_b32 exec_lo, exec_lo, s20
.LBB198_80:                             ;   in Loop: Header=BB198_9 Depth=1
	s_or_b32 exec_lo, exec_lo, s19
.LBB198_81:                             ;   in Loop: Header=BB198_9 Depth=1
	s_or_b32 exec_lo, exec_lo, s17
	v_cmp_ne_u16_sdwa s6, v0, v105 src0_sel:BYTE_1 src1_sel:DWORD
	s_and_saveexec_b32 s17, s6
	s_cbranch_execz .LBB198_89
; %bb.82:                               ;   in Loop: Header=BB198_9 Depth=1
	v_mov_b32_e32 v100, v105
	v_cmp_ne_u16_sdwa s6, v0, v9 src0_sel:BYTE_1 src1_sel:DWORD
	buffer_store_dword v100, off, s[0:3], s32 offset:276 ; 4-byte Folded Spill
	buffer_store_dword v101, off, s[0:3], s32 offset:280 ; 4-byte Folded Spill
	s_and_saveexec_b32 s19, s6
	s_cbranch_execz .LBB198_88
; %bb.83:                               ;   in Loop: Header=BB198_9 Depth=1
	v_mov_b32_e32 v1, 0xffff
	v_mov_b32_e32 v96, v105
	s_mov_b32 s20, exec_lo
	buffer_store_dword v96, off, s[0:3], s32 offset:276 ; 4-byte Folded Spill
	buffer_store_dword v97, off, s[0:3], s32 offset:280 ; 4-byte Folded Spill
	v_and_b32_sdwa v1, v1, v0 dst_sel:DWORD dst_unused:UNUSED_PAD src0_sel:DWORD src1_sel:BYTE_1
	v_and_b32_e32 v4, 0x7f, v1
	v_cmpx_ne_u32_e32 0x7f, v4
	s_cbranch_execz .LBB198_87
; %bb.84:                               ;   in Loop: Header=BB198_9 Depth=1
	v_and_b32_e32 v104, 7, v1
	v_lshrrev_b32_e32 v1, 3, v4
	s_mov_b32 s21, exec_lo
	v_cmpx_gt_u32_e32 8, v4
; %bb.85:                               ;   in Loop: Header=BB198_9 Depth=1
	v_ffbh_u32_e32 v1, v104
	v_min_u32_e32 v1, 32, v1
	v_subrev_nc_u32_e32 v4, 28, v1
	v_sub_nc_u32_e32 v1, 29, v1
	v_lshlrev_b64 v[4:5], v4, v[104:105]
	v_and_b32_e32 v104, 7, v4
; %bb.86:                               ;   in Loop: Header=BB198_9 Depth=1
	s_or_b32 exec_lo, exec_lo, s21
	v_lshlrev_b32_e32 v0, 16, v0
	v_lshlrev_b32_e32 v4, 20, v104
	v_lshl_add_u32 v1, v1, 23, 0x3c000000
	v_and_b32_e32 v0, 0x80000000, v0
	v_or3_b32 v1, v4, v0, v1
	v_mov_b32_e32 v0, v105
	buffer_store_dword v0, off, s[0:3], s32 offset:276 ; 4-byte Folded Spill
	buffer_store_dword v1, off, s[0:3], s32 offset:280 ; 4-byte Folded Spill
.LBB198_87:                             ;   in Loop: Header=BB198_9 Depth=1
	s_or_b32 exec_lo, exec_lo, s20
.LBB198_88:                             ;   in Loop: Header=BB198_9 Depth=1
	s_or_b32 exec_lo, exec_lo, s19
.LBB198_89:                             ;   in Loop: Header=BB198_9 Depth=1
	s_or_b32 exec_lo, exec_lo, s17
	flat_load_ushort v1, v[102:103] offset:260
	v_mov_b32_e32 v4, 0
	v_mov_b32_e32 v5, 0
	buffer_store_dword v4, off, s[0:3], s32 offset:292 ; 4-byte Folded Spill
	buffer_store_dword v5, off, s[0:3], s32 offset:296 ; 4-byte Folded Spill
	v_mov_b32_e32 v4, 0
	v_mov_b32_e32 v5, 0
	buffer_store_dword v4, off, s[0:3], s32 offset:284 ; 4-byte Folded Spill
	buffer_store_dword v5, off, s[0:3], s32 offset:288 ; 4-byte Folded Spill
	s_waitcnt vmcnt(0) lgkmcnt(0)
	v_and_b32_e32 v0, 0xffff, v1
	v_cmp_ne_u16_sdwa s6, v1, v105 src0_sel:BYTE_0 src1_sel:DWORD
	s_and_saveexec_b32 s17, s6
	s_cbranch_execz .LBB198_97
; %bb.90:                               ;   in Loop: Header=BB198_9 Depth=1
	v_bfrev_b32_e32 v4, 1
	v_mov_b32_e32 v5, 0
	v_cmp_ne_u16_sdwa s6, v0, v9 src0_sel:BYTE_0 src1_sel:DWORD
	buffer_store_dword v4, off, s[0:3], s32 offset:284 ; 4-byte Folded Spill
	buffer_store_dword v5, off, s[0:3], s32 offset:288 ; 4-byte Folded Spill
	s_and_saveexec_b32 s19, s6
	s_cbranch_execz .LBB198_96
; %bb.91:                               ;   in Loop: Header=BB198_9 Depth=1
	v_mov_b32_e32 v5, 0x7f800001
	v_and_b32_e32 v4, 0x7f, v0
	v_mov_b32_e32 v6, 0
	s_mov_b32 s20, exec_lo
	buffer_store_dword v5, off, s[0:3], s32 offset:284 ; 4-byte Folded Spill
	buffer_store_dword v6, off, s[0:3], s32 offset:288 ; 4-byte Folded Spill
	v_cmpx_ne_u32_e32 0x7f, v4
	s_cbranch_execz .LBB198_95
; %bb.92:                               ;   in Loop: Header=BB198_9 Depth=1
	v_and_b32_e32 v104, 7, v0
	v_lshrrev_b32_e32 v1, 3, v4
	s_mov_b32 s21, exec_lo
	v_cmpx_gt_u32_e32 8, v4
; %bb.93:                               ;   in Loop: Header=BB198_9 Depth=1
	v_ffbh_u32_e32 v1, v104
	v_min_u32_e32 v1, 32, v1
	v_subrev_nc_u32_e32 v4, 28, v1
	v_sub_nc_u32_e32 v1, 29, v1
	v_lshlrev_b64 v[4:5], v4, v[104:105]
	v_and_b32_e32 v104, 7, v4
; %bb.94:                               ;   in Loop: Header=BB198_9 Depth=1
	s_or_b32 exec_lo, exec_lo, s21
	v_lshlrev_b32_e32 v4, 24, v0
	v_lshlrev_b32_e32 v5, 20, v104
	v_lshl_add_u32 v1, v1, 23, 0x3c000000
	v_and_b32_e32 v4, 0x80000000, v4
	v_or3_b32 v104, v5, v4, v1
	buffer_store_dword v104, off, s[0:3], s32 offset:284 ; 4-byte Folded Spill
	buffer_store_dword v105, off, s[0:3], s32 offset:288 ; 4-byte Folded Spill
.LBB198_95:                             ;   in Loop: Header=BB198_9 Depth=1
	s_or_b32 exec_lo, exec_lo, s20
.LBB198_96:                             ;   in Loop: Header=BB198_9 Depth=1
	s_or_b32 exec_lo, exec_lo, s19
.LBB198_97:                             ;   in Loop: Header=BB198_9 Depth=1
	s_or_b32 exec_lo, exec_lo, s17
	v_cmp_ne_u16_sdwa s6, v0, v105 src0_sel:BYTE_1 src1_sel:DWORD
	s_and_saveexec_b32 s17, s6
	s_cbranch_execz .LBB198_105
; %bb.98:                               ;   in Loop: Header=BB198_9 Depth=1
	v_mov_b32_e32 v100, v105
	v_cmp_ne_u16_sdwa s6, v0, v9 src0_sel:BYTE_1 src1_sel:DWORD
	buffer_store_dword v100, off, s[0:3], s32 offset:292 ; 4-byte Folded Spill
	buffer_store_dword v101, off, s[0:3], s32 offset:296 ; 4-byte Folded Spill
	s_and_saveexec_b32 s19, s6
	s_cbranch_execz .LBB198_104
; %bb.99:                               ;   in Loop: Header=BB198_9 Depth=1
	v_mov_b32_e32 v1, 0xffff
	v_mov_b32_e32 v96, v105
	s_mov_b32 s20, exec_lo
	buffer_store_dword v96, off, s[0:3], s32 offset:292 ; 4-byte Folded Spill
	buffer_store_dword v97, off, s[0:3], s32 offset:296 ; 4-byte Folded Spill
	v_and_b32_sdwa v1, v1, v0 dst_sel:DWORD dst_unused:UNUSED_PAD src0_sel:DWORD src1_sel:BYTE_1
	v_and_b32_e32 v4, 0x7f, v1
	v_cmpx_ne_u32_e32 0x7f, v4
	s_cbranch_execz .LBB198_103
; %bb.100:                              ;   in Loop: Header=BB198_9 Depth=1
	v_and_b32_e32 v104, 7, v1
	v_lshrrev_b32_e32 v1, 3, v4
	s_mov_b32 s21, exec_lo
	v_cmpx_gt_u32_e32 8, v4
; %bb.101:                              ;   in Loop: Header=BB198_9 Depth=1
	v_ffbh_u32_e32 v1, v104
	v_min_u32_e32 v1, 32, v1
	v_subrev_nc_u32_e32 v4, 28, v1
	v_sub_nc_u32_e32 v1, 29, v1
	v_lshlrev_b64 v[4:5], v4, v[104:105]
	v_and_b32_e32 v104, 7, v4
; %bb.102:                              ;   in Loop: Header=BB198_9 Depth=1
	s_or_b32 exec_lo, exec_lo, s21
	v_lshlrev_b32_e32 v0, 16, v0
	v_lshlrev_b32_e32 v4, 20, v104
	v_lshl_add_u32 v1, v1, 23, 0x3c000000
	v_and_b32_e32 v0, 0x80000000, v0
	v_or3_b32 v1, v4, v0, v1
	v_mov_b32_e32 v0, v105
	buffer_store_dword v0, off, s[0:3], s32 offset:292 ; 4-byte Folded Spill
	buffer_store_dword v1, off, s[0:3], s32 offset:296 ; 4-byte Folded Spill
.LBB198_103:                            ;   in Loop: Header=BB198_9 Depth=1
	s_or_b32 exec_lo, exec_lo, s20
.LBB198_104:                            ;   in Loop: Header=BB198_9 Depth=1
	s_or_b32 exec_lo, exec_lo, s19
.LBB198_105:                            ;   in Loop: Header=BB198_9 Depth=1
	s_or_b32 exec_lo, exec_lo, s17
	flat_load_ushort v1, v[102:103] offset:264
	v_mov_b32_e32 v4, 0
	v_mov_b32_e32 v5, 0
	buffer_store_dword v4, off, s[0:3], s32 offset:308 ; 4-byte Folded Spill
	buffer_store_dword v5, off, s[0:3], s32 offset:312 ; 4-byte Folded Spill
	v_mov_b32_e32 v4, 0
	v_mov_b32_e32 v5, 0
	buffer_store_dword v4, off, s[0:3], s32 offset:300 ; 4-byte Folded Spill
	buffer_store_dword v5, off, s[0:3], s32 offset:304 ; 4-byte Folded Spill
	s_waitcnt vmcnt(0) lgkmcnt(0)
	v_and_b32_e32 v0, 0xffff, v1
	v_cmp_ne_u16_sdwa s6, v1, v105 src0_sel:BYTE_0 src1_sel:DWORD
	s_and_saveexec_b32 s17, s6
	s_cbranch_execz .LBB198_113
; %bb.106:                              ;   in Loop: Header=BB198_9 Depth=1
	v_bfrev_b32_e32 v4, 1
	v_mov_b32_e32 v5, 0
	v_cmp_ne_u16_sdwa s6, v0, v9 src0_sel:BYTE_0 src1_sel:DWORD
	buffer_store_dword v4, off, s[0:3], s32 offset:300 ; 4-byte Folded Spill
	buffer_store_dword v5, off, s[0:3], s32 offset:304 ; 4-byte Folded Spill
	s_and_saveexec_b32 s19, s6
	s_cbranch_execz .LBB198_112
; %bb.107:                              ;   in Loop: Header=BB198_9 Depth=1
	v_mov_b32_e32 v5, 0x7f800001
	v_and_b32_e32 v4, 0x7f, v0
	v_mov_b32_e32 v6, 0
	s_mov_b32 s20, exec_lo
	buffer_store_dword v5, off, s[0:3], s32 offset:300 ; 4-byte Folded Spill
	buffer_store_dword v6, off, s[0:3], s32 offset:304 ; 4-byte Folded Spill
	v_cmpx_ne_u32_e32 0x7f, v4
	s_cbranch_execz .LBB198_111
; %bb.108:                              ;   in Loop: Header=BB198_9 Depth=1
	v_and_b32_e32 v104, 7, v0
	v_lshrrev_b32_e32 v1, 3, v4
	s_mov_b32 s21, exec_lo
	v_cmpx_gt_u32_e32 8, v4
; %bb.109:                              ;   in Loop: Header=BB198_9 Depth=1
	v_ffbh_u32_e32 v1, v104
	v_min_u32_e32 v1, 32, v1
	v_subrev_nc_u32_e32 v4, 28, v1
	v_sub_nc_u32_e32 v1, 29, v1
	v_lshlrev_b64 v[4:5], v4, v[104:105]
	v_and_b32_e32 v104, 7, v4
; %bb.110:                              ;   in Loop: Header=BB198_9 Depth=1
	s_or_b32 exec_lo, exec_lo, s21
	v_lshlrev_b32_e32 v4, 24, v0
	v_lshlrev_b32_e32 v5, 20, v104
	v_lshl_add_u32 v1, v1, 23, 0x3c000000
	v_and_b32_e32 v4, 0x80000000, v4
	v_or3_b32 v104, v5, v4, v1
	buffer_store_dword v104, off, s[0:3], s32 offset:300 ; 4-byte Folded Spill
	buffer_store_dword v105, off, s[0:3], s32 offset:304 ; 4-byte Folded Spill
.LBB198_111:                            ;   in Loop: Header=BB198_9 Depth=1
	s_or_b32 exec_lo, exec_lo, s20
.LBB198_112:                            ;   in Loop: Header=BB198_9 Depth=1
	s_or_b32 exec_lo, exec_lo, s19
.LBB198_113:                            ;   in Loop: Header=BB198_9 Depth=1
	s_or_b32 exec_lo, exec_lo, s17
	v_cmp_ne_u16_sdwa s6, v0, v105 src0_sel:BYTE_1 src1_sel:DWORD
	s_and_saveexec_b32 s17, s6
	s_cbranch_execz .LBB198_121
; %bb.114:                              ;   in Loop: Header=BB198_9 Depth=1
	v_mov_b32_e32 v100, v105
	v_cmp_ne_u16_sdwa s6, v0, v9 src0_sel:BYTE_1 src1_sel:DWORD
	buffer_store_dword v100, off, s[0:3], s32 offset:308 ; 4-byte Folded Spill
	buffer_store_dword v101, off, s[0:3], s32 offset:312 ; 4-byte Folded Spill
	s_and_saveexec_b32 s19, s6
	s_cbranch_execz .LBB198_120
; %bb.115:                              ;   in Loop: Header=BB198_9 Depth=1
	v_mov_b32_e32 v1, 0xffff
	v_mov_b32_e32 v96, v105
	s_mov_b32 s20, exec_lo
	buffer_store_dword v96, off, s[0:3], s32 offset:308 ; 4-byte Folded Spill
	buffer_store_dword v97, off, s[0:3], s32 offset:312 ; 4-byte Folded Spill
	v_and_b32_sdwa v1, v1, v0 dst_sel:DWORD dst_unused:UNUSED_PAD src0_sel:DWORD src1_sel:BYTE_1
	v_and_b32_e32 v4, 0x7f, v1
	v_cmpx_ne_u32_e32 0x7f, v4
	s_cbranch_execz .LBB198_119
; %bb.116:                              ;   in Loop: Header=BB198_9 Depth=1
	v_and_b32_e32 v104, 7, v1
	v_lshrrev_b32_e32 v1, 3, v4
	s_mov_b32 s21, exec_lo
	v_cmpx_gt_u32_e32 8, v4
; %bb.117:                              ;   in Loop: Header=BB198_9 Depth=1
	v_ffbh_u32_e32 v1, v104
	v_min_u32_e32 v1, 32, v1
	v_subrev_nc_u32_e32 v4, 28, v1
	v_sub_nc_u32_e32 v1, 29, v1
	v_lshlrev_b64 v[4:5], v4, v[104:105]
	v_and_b32_e32 v104, 7, v4
; %bb.118:                              ;   in Loop: Header=BB198_9 Depth=1
	s_or_b32 exec_lo, exec_lo, s21
	v_lshlrev_b32_e32 v0, 16, v0
	v_lshlrev_b32_e32 v4, 20, v104
	v_lshl_add_u32 v1, v1, 23, 0x3c000000
	v_and_b32_e32 v0, 0x80000000, v0
	v_or3_b32 v1, v4, v0, v1
	v_mov_b32_e32 v0, v105
	buffer_store_dword v0, off, s[0:3], s32 offset:308 ; 4-byte Folded Spill
	buffer_store_dword v1, off, s[0:3], s32 offset:312 ; 4-byte Folded Spill
.LBB198_119:                            ;   in Loop: Header=BB198_9 Depth=1
	s_or_b32 exec_lo, exec_lo, s20
.LBB198_120:                            ;   in Loop: Header=BB198_9 Depth=1
	s_or_b32 exec_lo, exec_lo, s19
.LBB198_121:                            ;   in Loop: Header=BB198_9 Depth=1
	s_or_b32 exec_lo, exec_lo, s17
	flat_load_ushort v1, v[102:103] offset:268
	v_mov_b32_e32 v4, 0
	v_mov_b32_e32 v5, 0
	buffer_store_dword v4, off, s[0:3], s32 offset:324 ; 4-byte Folded Spill
	buffer_store_dword v5, off, s[0:3], s32 offset:328 ; 4-byte Folded Spill
	v_mov_b32_e32 v4, 0
	v_mov_b32_e32 v5, 0
	buffer_store_dword v4, off, s[0:3], s32 offset:316 ; 4-byte Folded Spill
	buffer_store_dword v5, off, s[0:3], s32 offset:320 ; 4-byte Folded Spill
	s_waitcnt vmcnt(0) lgkmcnt(0)
	v_and_b32_e32 v0, 0xffff, v1
	v_cmp_ne_u16_sdwa s6, v1, v105 src0_sel:BYTE_0 src1_sel:DWORD
	s_and_saveexec_b32 s17, s6
	s_cbranch_execz .LBB198_129
; %bb.122:                              ;   in Loop: Header=BB198_9 Depth=1
	v_bfrev_b32_e32 v4, 1
	v_mov_b32_e32 v5, 0
	v_cmp_ne_u16_sdwa s6, v0, v9 src0_sel:BYTE_0 src1_sel:DWORD
	buffer_store_dword v4, off, s[0:3], s32 offset:316 ; 4-byte Folded Spill
	buffer_store_dword v5, off, s[0:3], s32 offset:320 ; 4-byte Folded Spill
	s_and_saveexec_b32 s19, s6
	s_cbranch_execz .LBB198_128
; %bb.123:                              ;   in Loop: Header=BB198_9 Depth=1
	v_mov_b32_e32 v5, 0x7f800001
	v_and_b32_e32 v4, 0x7f, v0
	v_mov_b32_e32 v6, 0
	s_mov_b32 s20, exec_lo
	buffer_store_dword v5, off, s[0:3], s32 offset:316 ; 4-byte Folded Spill
	buffer_store_dword v6, off, s[0:3], s32 offset:320 ; 4-byte Folded Spill
	v_cmpx_ne_u32_e32 0x7f, v4
	s_cbranch_execz .LBB198_127
; %bb.124:                              ;   in Loop: Header=BB198_9 Depth=1
	v_and_b32_e32 v104, 7, v0
	v_lshrrev_b32_e32 v1, 3, v4
	s_mov_b32 s21, exec_lo
	v_cmpx_gt_u32_e32 8, v4
; %bb.125:                              ;   in Loop: Header=BB198_9 Depth=1
	v_ffbh_u32_e32 v1, v104
	v_min_u32_e32 v1, 32, v1
	v_subrev_nc_u32_e32 v4, 28, v1
	v_sub_nc_u32_e32 v1, 29, v1
	v_lshlrev_b64 v[4:5], v4, v[104:105]
	v_and_b32_e32 v104, 7, v4
; %bb.126:                              ;   in Loop: Header=BB198_9 Depth=1
	s_or_b32 exec_lo, exec_lo, s21
	v_lshlrev_b32_e32 v4, 24, v0
	v_lshlrev_b32_e32 v5, 20, v104
	v_lshl_add_u32 v1, v1, 23, 0x3c000000
	v_and_b32_e32 v4, 0x80000000, v4
	v_or3_b32 v104, v5, v4, v1
	buffer_store_dword v104, off, s[0:3], s32 offset:316 ; 4-byte Folded Spill
	buffer_store_dword v105, off, s[0:3], s32 offset:320 ; 4-byte Folded Spill
.LBB198_127:                            ;   in Loop: Header=BB198_9 Depth=1
	s_or_b32 exec_lo, exec_lo, s20
.LBB198_128:                            ;   in Loop: Header=BB198_9 Depth=1
	s_or_b32 exec_lo, exec_lo, s19
.LBB198_129:                            ;   in Loop: Header=BB198_9 Depth=1
	s_or_b32 exec_lo, exec_lo, s17
	v_cmp_ne_u16_sdwa s6, v0, v105 src0_sel:BYTE_1 src1_sel:DWORD
	s_and_saveexec_b32 s17, s6
	s_cbranch_execz .LBB198_137
; %bb.130:                              ;   in Loop: Header=BB198_9 Depth=1
	v_mov_b32_e32 v100, v105
	v_cmp_ne_u16_sdwa s6, v0, v9 src0_sel:BYTE_1 src1_sel:DWORD
	buffer_store_dword v100, off, s[0:3], s32 offset:324 ; 4-byte Folded Spill
	buffer_store_dword v101, off, s[0:3], s32 offset:328 ; 4-byte Folded Spill
	s_and_saveexec_b32 s19, s6
	s_cbranch_execz .LBB198_136
; %bb.131:                              ;   in Loop: Header=BB198_9 Depth=1
	v_mov_b32_e32 v1, 0xffff
	v_mov_b32_e32 v96, v105
	s_mov_b32 s20, exec_lo
	buffer_store_dword v96, off, s[0:3], s32 offset:324 ; 4-byte Folded Spill
	buffer_store_dword v97, off, s[0:3], s32 offset:328 ; 4-byte Folded Spill
	v_and_b32_sdwa v1, v1, v0 dst_sel:DWORD dst_unused:UNUSED_PAD src0_sel:DWORD src1_sel:BYTE_1
	v_and_b32_e32 v4, 0x7f, v1
	v_cmpx_ne_u32_e32 0x7f, v4
	s_cbranch_execz .LBB198_135
; %bb.132:                              ;   in Loop: Header=BB198_9 Depth=1
	v_and_b32_e32 v104, 7, v1
	v_lshrrev_b32_e32 v1, 3, v4
	s_mov_b32 s21, exec_lo
	v_cmpx_gt_u32_e32 8, v4
; %bb.133:                              ;   in Loop: Header=BB198_9 Depth=1
	v_ffbh_u32_e32 v1, v104
	v_min_u32_e32 v1, 32, v1
	v_subrev_nc_u32_e32 v4, 28, v1
	v_sub_nc_u32_e32 v1, 29, v1
	v_lshlrev_b64 v[4:5], v4, v[104:105]
	v_and_b32_e32 v104, 7, v4
; %bb.134:                              ;   in Loop: Header=BB198_9 Depth=1
	s_or_b32 exec_lo, exec_lo, s21
	v_lshlrev_b32_e32 v0, 16, v0
	v_lshlrev_b32_e32 v4, 20, v104
	v_lshl_add_u32 v1, v1, 23, 0x3c000000
	v_and_b32_e32 v0, 0x80000000, v0
	v_or3_b32 v1, v4, v0, v1
	v_mov_b32_e32 v0, v105
	buffer_store_dword v0, off, s[0:3], s32 offset:324 ; 4-byte Folded Spill
	buffer_store_dword v1, off, s[0:3], s32 offset:328 ; 4-byte Folded Spill
.LBB198_135:                            ;   in Loop: Header=BB198_9 Depth=1
	s_or_b32 exec_lo, exec_lo, s20
.LBB198_136:                            ;   in Loop: Header=BB198_9 Depth=1
	s_or_b32 exec_lo, exec_lo, s19
.LBB198_137:                            ;   in Loop: Header=BB198_9 Depth=1
	s_or_b32 exec_lo, exec_lo, s17
	flat_load_ushort v1, v[102:103] offset:512
	v_mov_b32_e32 v4, 0
	v_mov_b32_e32 v5, 0
	buffer_store_dword v4, off, s[0:3], s32 offset:340 ; 4-byte Folded Spill
	buffer_store_dword v5, off, s[0:3], s32 offset:344 ; 4-byte Folded Spill
	v_mov_b32_e32 v4, 0
	v_mov_b32_e32 v5, 0
	buffer_store_dword v4, off, s[0:3], s32 offset:332 ; 4-byte Folded Spill
	buffer_store_dword v5, off, s[0:3], s32 offset:336 ; 4-byte Folded Spill
	s_waitcnt vmcnt(0) lgkmcnt(0)
	v_and_b32_e32 v0, 0xffff, v1
	v_cmp_ne_u16_sdwa s6, v1, v105 src0_sel:BYTE_0 src1_sel:DWORD
	s_and_saveexec_b32 s17, s6
	s_cbranch_execz .LBB198_145
; %bb.138:                              ;   in Loop: Header=BB198_9 Depth=1
	v_bfrev_b32_e32 v4, 1
	v_mov_b32_e32 v5, 0
	v_cmp_ne_u16_sdwa s6, v0, v9 src0_sel:BYTE_0 src1_sel:DWORD
	buffer_store_dword v4, off, s[0:3], s32 offset:332 ; 4-byte Folded Spill
	buffer_store_dword v5, off, s[0:3], s32 offset:336 ; 4-byte Folded Spill
	s_and_saveexec_b32 s19, s6
	s_cbranch_execz .LBB198_144
; %bb.139:                              ;   in Loop: Header=BB198_9 Depth=1
	v_mov_b32_e32 v5, 0x7f800001
	v_and_b32_e32 v4, 0x7f, v0
	v_mov_b32_e32 v6, 0
	s_mov_b32 s20, exec_lo
	buffer_store_dword v5, off, s[0:3], s32 offset:332 ; 4-byte Folded Spill
	buffer_store_dword v6, off, s[0:3], s32 offset:336 ; 4-byte Folded Spill
	v_cmpx_ne_u32_e32 0x7f, v4
	s_cbranch_execz .LBB198_143
; %bb.140:                              ;   in Loop: Header=BB198_9 Depth=1
	v_and_b32_e32 v104, 7, v0
	v_lshrrev_b32_e32 v1, 3, v4
	s_mov_b32 s21, exec_lo
	v_cmpx_gt_u32_e32 8, v4
; %bb.141:                              ;   in Loop: Header=BB198_9 Depth=1
	v_ffbh_u32_e32 v1, v104
	v_min_u32_e32 v1, 32, v1
	v_subrev_nc_u32_e32 v4, 28, v1
	v_sub_nc_u32_e32 v1, 29, v1
	v_lshlrev_b64 v[4:5], v4, v[104:105]
	v_and_b32_e32 v104, 7, v4
; %bb.142:                              ;   in Loop: Header=BB198_9 Depth=1
	s_or_b32 exec_lo, exec_lo, s21
	v_lshlrev_b32_e32 v4, 24, v0
	v_lshlrev_b32_e32 v5, 20, v104
	v_lshl_add_u32 v1, v1, 23, 0x3c000000
	v_and_b32_e32 v4, 0x80000000, v4
	v_or3_b32 v104, v5, v4, v1
	buffer_store_dword v104, off, s[0:3], s32 offset:332 ; 4-byte Folded Spill
	buffer_store_dword v105, off, s[0:3], s32 offset:336 ; 4-byte Folded Spill
.LBB198_143:                            ;   in Loop: Header=BB198_9 Depth=1
	s_or_b32 exec_lo, exec_lo, s20
.LBB198_144:                            ;   in Loop: Header=BB198_9 Depth=1
	s_or_b32 exec_lo, exec_lo, s19
.LBB198_145:                            ;   in Loop: Header=BB198_9 Depth=1
	s_or_b32 exec_lo, exec_lo, s17
	v_cmp_ne_u16_sdwa s6, v0, v105 src0_sel:BYTE_1 src1_sel:DWORD
	s_and_saveexec_b32 s17, s6
	s_cbranch_execz .LBB198_153
; %bb.146:                              ;   in Loop: Header=BB198_9 Depth=1
	v_mov_b32_e32 v100, v105
	v_cmp_ne_u16_sdwa s6, v0, v9 src0_sel:BYTE_1 src1_sel:DWORD
	buffer_store_dword v100, off, s[0:3], s32 offset:340 ; 4-byte Folded Spill
	buffer_store_dword v101, off, s[0:3], s32 offset:344 ; 4-byte Folded Spill
	s_and_saveexec_b32 s19, s6
	s_cbranch_execz .LBB198_152
; %bb.147:                              ;   in Loop: Header=BB198_9 Depth=1
	v_mov_b32_e32 v1, 0xffff
	v_mov_b32_e32 v96, v105
	s_mov_b32 s20, exec_lo
	buffer_store_dword v96, off, s[0:3], s32 offset:340 ; 4-byte Folded Spill
	buffer_store_dword v97, off, s[0:3], s32 offset:344 ; 4-byte Folded Spill
	v_and_b32_sdwa v1, v1, v0 dst_sel:DWORD dst_unused:UNUSED_PAD src0_sel:DWORD src1_sel:BYTE_1
	v_and_b32_e32 v4, 0x7f, v1
	v_cmpx_ne_u32_e32 0x7f, v4
	s_cbranch_execz .LBB198_151
; %bb.148:                              ;   in Loop: Header=BB198_9 Depth=1
	v_and_b32_e32 v104, 7, v1
	v_lshrrev_b32_e32 v1, 3, v4
	s_mov_b32 s21, exec_lo
	v_cmpx_gt_u32_e32 8, v4
; %bb.149:                              ;   in Loop: Header=BB198_9 Depth=1
	v_ffbh_u32_e32 v1, v104
	v_min_u32_e32 v1, 32, v1
	v_subrev_nc_u32_e32 v4, 28, v1
	v_sub_nc_u32_e32 v1, 29, v1
	v_lshlrev_b64 v[4:5], v4, v[104:105]
	v_and_b32_e32 v104, 7, v4
; %bb.150:                              ;   in Loop: Header=BB198_9 Depth=1
	s_or_b32 exec_lo, exec_lo, s21
	v_lshlrev_b32_e32 v0, 16, v0
	v_lshlrev_b32_e32 v4, 20, v104
	v_lshl_add_u32 v1, v1, 23, 0x3c000000
	v_and_b32_e32 v0, 0x80000000, v0
	v_or3_b32 v1, v4, v0, v1
	v_mov_b32_e32 v0, v105
	buffer_store_dword v0, off, s[0:3], s32 offset:340 ; 4-byte Folded Spill
	buffer_store_dword v1, off, s[0:3], s32 offset:344 ; 4-byte Folded Spill
.LBB198_151:                            ;   in Loop: Header=BB198_9 Depth=1
	s_or_b32 exec_lo, exec_lo, s20
.LBB198_152:                            ;   in Loop: Header=BB198_9 Depth=1
	s_or_b32 exec_lo, exec_lo, s19
.LBB198_153:                            ;   in Loop: Header=BB198_9 Depth=1
	s_or_b32 exec_lo, exec_lo, s17
	flat_load_ushort v1, v[102:103] offset:516
	v_mov_b32_e32 v4, 0
	v_mov_b32_e32 v5, 0
	buffer_store_dword v4, off, s[0:3], s32 offset:356 ; 4-byte Folded Spill
	buffer_store_dword v5, off, s[0:3], s32 offset:360 ; 4-byte Folded Spill
	v_mov_b32_e32 v4, 0
	v_mov_b32_e32 v5, 0
	buffer_store_dword v4, off, s[0:3], s32 offset:348 ; 4-byte Folded Spill
	buffer_store_dword v5, off, s[0:3], s32 offset:352 ; 4-byte Folded Spill
	s_waitcnt vmcnt(0) lgkmcnt(0)
	v_and_b32_e32 v0, 0xffff, v1
	v_cmp_ne_u16_sdwa s6, v1, v105 src0_sel:BYTE_0 src1_sel:DWORD
	s_and_saveexec_b32 s17, s6
	s_cbranch_execz .LBB198_161
; %bb.154:                              ;   in Loop: Header=BB198_9 Depth=1
	v_bfrev_b32_e32 v4, 1
	v_mov_b32_e32 v5, 0
	v_cmp_ne_u16_sdwa s6, v0, v9 src0_sel:BYTE_0 src1_sel:DWORD
	buffer_store_dword v4, off, s[0:3], s32 offset:348 ; 4-byte Folded Spill
	buffer_store_dword v5, off, s[0:3], s32 offset:352 ; 4-byte Folded Spill
	s_and_saveexec_b32 s19, s6
	s_cbranch_execz .LBB198_160
; %bb.155:                              ;   in Loop: Header=BB198_9 Depth=1
	v_mov_b32_e32 v5, 0x7f800001
	v_and_b32_e32 v4, 0x7f, v0
	v_mov_b32_e32 v6, 0
	s_mov_b32 s20, exec_lo
	buffer_store_dword v5, off, s[0:3], s32 offset:348 ; 4-byte Folded Spill
	buffer_store_dword v6, off, s[0:3], s32 offset:352 ; 4-byte Folded Spill
	v_cmpx_ne_u32_e32 0x7f, v4
	s_cbranch_execz .LBB198_159
; %bb.156:                              ;   in Loop: Header=BB198_9 Depth=1
	v_and_b32_e32 v104, 7, v0
	v_lshrrev_b32_e32 v1, 3, v4
	s_mov_b32 s21, exec_lo
	v_cmpx_gt_u32_e32 8, v4
; %bb.157:                              ;   in Loop: Header=BB198_9 Depth=1
	v_ffbh_u32_e32 v1, v104
	v_min_u32_e32 v1, 32, v1
	v_subrev_nc_u32_e32 v4, 28, v1
	v_sub_nc_u32_e32 v1, 29, v1
	v_lshlrev_b64 v[4:5], v4, v[104:105]
	v_and_b32_e32 v104, 7, v4
; %bb.158:                              ;   in Loop: Header=BB198_9 Depth=1
	s_or_b32 exec_lo, exec_lo, s21
	v_lshlrev_b32_e32 v4, 24, v0
	v_lshlrev_b32_e32 v5, 20, v104
	v_lshl_add_u32 v1, v1, 23, 0x3c000000
	v_and_b32_e32 v4, 0x80000000, v4
	v_or3_b32 v104, v5, v4, v1
	buffer_store_dword v104, off, s[0:3], s32 offset:348 ; 4-byte Folded Spill
	buffer_store_dword v105, off, s[0:3], s32 offset:352 ; 4-byte Folded Spill
.LBB198_159:                            ;   in Loop: Header=BB198_9 Depth=1
	s_or_b32 exec_lo, exec_lo, s20
.LBB198_160:                            ;   in Loop: Header=BB198_9 Depth=1
	s_or_b32 exec_lo, exec_lo, s19
.LBB198_161:                            ;   in Loop: Header=BB198_9 Depth=1
	s_or_b32 exec_lo, exec_lo, s17
	v_cmp_ne_u16_sdwa s6, v0, v105 src0_sel:BYTE_1 src1_sel:DWORD
	s_and_saveexec_b32 s17, s6
	s_cbranch_execz .LBB198_169
; %bb.162:                              ;   in Loop: Header=BB198_9 Depth=1
	v_mov_b32_e32 v100, v105
	v_cmp_ne_u16_sdwa s6, v0, v9 src0_sel:BYTE_1 src1_sel:DWORD
	buffer_store_dword v100, off, s[0:3], s32 offset:356 ; 4-byte Folded Spill
	buffer_store_dword v101, off, s[0:3], s32 offset:360 ; 4-byte Folded Spill
	s_and_saveexec_b32 s19, s6
	s_cbranch_execz .LBB198_168
; %bb.163:                              ;   in Loop: Header=BB198_9 Depth=1
	v_mov_b32_e32 v1, 0xffff
	v_mov_b32_e32 v96, v105
	s_mov_b32 s20, exec_lo
	buffer_store_dword v96, off, s[0:3], s32 offset:356 ; 4-byte Folded Spill
	buffer_store_dword v97, off, s[0:3], s32 offset:360 ; 4-byte Folded Spill
	v_and_b32_sdwa v1, v1, v0 dst_sel:DWORD dst_unused:UNUSED_PAD src0_sel:DWORD src1_sel:BYTE_1
	v_and_b32_e32 v4, 0x7f, v1
	v_cmpx_ne_u32_e32 0x7f, v4
	s_cbranch_execz .LBB198_167
; %bb.164:                              ;   in Loop: Header=BB198_9 Depth=1
	v_and_b32_e32 v104, 7, v1
	v_lshrrev_b32_e32 v1, 3, v4
	s_mov_b32 s21, exec_lo
	v_cmpx_gt_u32_e32 8, v4
; %bb.165:                              ;   in Loop: Header=BB198_9 Depth=1
	v_ffbh_u32_e32 v1, v104
	v_min_u32_e32 v1, 32, v1
	v_subrev_nc_u32_e32 v4, 28, v1
	v_sub_nc_u32_e32 v1, 29, v1
	v_lshlrev_b64 v[4:5], v4, v[104:105]
	v_and_b32_e32 v104, 7, v4
; %bb.166:                              ;   in Loop: Header=BB198_9 Depth=1
	s_or_b32 exec_lo, exec_lo, s21
	v_lshlrev_b32_e32 v0, 16, v0
	v_lshlrev_b32_e32 v4, 20, v104
	v_lshl_add_u32 v1, v1, 23, 0x3c000000
	v_and_b32_e32 v0, 0x80000000, v0
	v_or3_b32 v1, v4, v0, v1
	v_mov_b32_e32 v0, v105
	buffer_store_dword v0, off, s[0:3], s32 offset:356 ; 4-byte Folded Spill
	buffer_store_dword v1, off, s[0:3], s32 offset:360 ; 4-byte Folded Spill
.LBB198_167:                            ;   in Loop: Header=BB198_9 Depth=1
	s_or_b32 exec_lo, exec_lo, s20
.LBB198_168:                            ;   in Loop: Header=BB198_9 Depth=1
	s_or_b32 exec_lo, exec_lo, s19
.LBB198_169:                            ;   in Loop: Header=BB198_9 Depth=1
	s_or_b32 exec_lo, exec_lo, s17
	flat_load_ushort v1, v[102:103] offset:520
	v_mov_b32_e32 v4, 0
	v_mov_b32_e32 v5, 0
	buffer_store_dword v4, off, s[0:3], s32 offset:372 ; 4-byte Folded Spill
	buffer_store_dword v5, off, s[0:3], s32 offset:376 ; 4-byte Folded Spill
	v_mov_b32_e32 v4, 0
	v_mov_b32_e32 v5, 0
	buffer_store_dword v4, off, s[0:3], s32 offset:364 ; 4-byte Folded Spill
	buffer_store_dword v5, off, s[0:3], s32 offset:368 ; 4-byte Folded Spill
	s_waitcnt vmcnt(0) lgkmcnt(0)
	v_and_b32_e32 v0, 0xffff, v1
	v_cmp_ne_u16_sdwa s6, v1, v105 src0_sel:BYTE_0 src1_sel:DWORD
	s_and_saveexec_b32 s17, s6
	s_cbranch_execz .LBB198_177
; %bb.170:                              ;   in Loop: Header=BB198_9 Depth=1
	v_bfrev_b32_e32 v4, 1
	v_mov_b32_e32 v5, 0
	v_cmp_ne_u16_sdwa s6, v0, v9 src0_sel:BYTE_0 src1_sel:DWORD
	buffer_store_dword v4, off, s[0:3], s32 offset:364 ; 4-byte Folded Spill
	buffer_store_dword v5, off, s[0:3], s32 offset:368 ; 4-byte Folded Spill
	s_and_saveexec_b32 s19, s6
	s_cbranch_execz .LBB198_176
; %bb.171:                              ;   in Loop: Header=BB198_9 Depth=1
	v_mov_b32_e32 v5, 0x7f800001
	v_and_b32_e32 v4, 0x7f, v0
	v_mov_b32_e32 v6, 0
	s_mov_b32 s20, exec_lo
	buffer_store_dword v5, off, s[0:3], s32 offset:364 ; 4-byte Folded Spill
	buffer_store_dword v6, off, s[0:3], s32 offset:368 ; 4-byte Folded Spill
	v_cmpx_ne_u32_e32 0x7f, v4
	s_cbranch_execz .LBB198_175
; %bb.172:                              ;   in Loop: Header=BB198_9 Depth=1
	v_and_b32_e32 v104, 7, v0
	v_lshrrev_b32_e32 v1, 3, v4
	s_mov_b32 s21, exec_lo
	v_cmpx_gt_u32_e32 8, v4
; %bb.173:                              ;   in Loop: Header=BB198_9 Depth=1
	v_ffbh_u32_e32 v1, v104
	v_min_u32_e32 v1, 32, v1
	v_subrev_nc_u32_e32 v4, 28, v1
	v_sub_nc_u32_e32 v1, 29, v1
	v_lshlrev_b64 v[4:5], v4, v[104:105]
	v_and_b32_e32 v104, 7, v4
; %bb.174:                              ;   in Loop: Header=BB198_9 Depth=1
	s_or_b32 exec_lo, exec_lo, s21
	v_lshlrev_b32_e32 v4, 24, v0
	v_lshlrev_b32_e32 v5, 20, v104
	v_lshl_add_u32 v1, v1, 23, 0x3c000000
	v_and_b32_e32 v4, 0x80000000, v4
	v_or3_b32 v104, v5, v4, v1
	buffer_store_dword v104, off, s[0:3], s32 offset:364 ; 4-byte Folded Spill
	buffer_store_dword v105, off, s[0:3], s32 offset:368 ; 4-byte Folded Spill
.LBB198_175:                            ;   in Loop: Header=BB198_9 Depth=1
	s_or_b32 exec_lo, exec_lo, s20
.LBB198_176:                            ;   in Loop: Header=BB198_9 Depth=1
	s_or_b32 exec_lo, exec_lo, s19
.LBB198_177:                            ;   in Loop: Header=BB198_9 Depth=1
	s_or_b32 exec_lo, exec_lo, s17
	v_cmp_ne_u16_sdwa s6, v0, v105 src0_sel:BYTE_1 src1_sel:DWORD
	s_and_saveexec_b32 s17, s6
	s_cbranch_execz .LBB198_185
; %bb.178:                              ;   in Loop: Header=BB198_9 Depth=1
	v_mov_b32_e32 v100, v105
	v_cmp_ne_u16_sdwa s6, v0, v9 src0_sel:BYTE_1 src1_sel:DWORD
	buffer_store_dword v100, off, s[0:3], s32 offset:372 ; 4-byte Folded Spill
	buffer_store_dword v101, off, s[0:3], s32 offset:376 ; 4-byte Folded Spill
	s_and_saveexec_b32 s19, s6
	s_cbranch_execz .LBB198_184
; %bb.179:                              ;   in Loop: Header=BB198_9 Depth=1
	v_mov_b32_e32 v1, 0xffff
	v_mov_b32_e32 v96, v105
	s_mov_b32 s20, exec_lo
	buffer_store_dword v96, off, s[0:3], s32 offset:372 ; 4-byte Folded Spill
	buffer_store_dword v97, off, s[0:3], s32 offset:376 ; 4-byte Folded Spill
	v_and_b32_sdwa v1, v1, v0 dst_sel:DWORD dst_unused:UNUSED_PAD src0_sel:DWORD src1_sel:BYTE_1
	v_and_b32_e32 v4, 0x7f, v1
	v_cmpx_ne_u32_e32 0x7f, v4
	s_cbranch_execz .LBB198_183
; %bb.180:                              ;   in Loop: Header=BB198_9 Depth=1
	v_and_b32_e32 v104, 7, v1
	v_lshrrev_b32_e32 v1, 3, v4
	s_mov_b32 s21, exec_lo
	v_cmpx_gt_u32_e32 8, v4
; %bb.181:                              ;   in Loop: Header=BB198_9 Depth=1
	v_ffbh_u32_e32 v1, v104
	v_min_u32_e32 v1, 32, v1
	v_subrev_nc_u32_e32 v4, 28, v1
	v_sub_nc_u32_e32 v1, 29, v1
	v_lshlrev_b64 v[4:5], v4, v[104:105]
	v_and_b32_e32 v104, 7, v4
; %bb.182:                              ;   in Loop: Header=BB198_9 Depth=1
	s_or_b32 exec_lo, exec_lo, s21
	v_lshlrev_b32_e32 v0, 16, v0
	v_lshlrev_b32_e32 v4, 20, v104
	v_lshl_add_u32 v1, v1, 23, 0x3c000000
	v_and_b32_e32 v0, 0x80000000, v0
	v_or3_b32 v1, v4, v0, v1
	v_mov_b32_e32 v0, v105
	buffer_store_dword v0, off, s[0:3], s32 offset:372 ; 4-byte Folded Spill
	buffer_store_dword v1, off, s[0:3], s32 offset:376 ; 4-byte Folded Spill
.LBB198_183:                            ;   in Loop: Header=BB198_9 Depth=1
	s_or_b32 exec_lo, exec_lo, s20
.LBB198_184:                            ;   in Loop: Header=BB198_9 Depth=1
	s_or_b32 exec_lo, exec_lo, s19
.LBB198_185:                            ;   in Loop: Header=BB198_9 Depth=1
	s_or_b32 exec_lo, exec_lo, s17
	flat_load_ushort v1, v[102:103] offset:524
	v_mov_b32_e32 v4, 0
	v_mov_b32_e32 v5, 0
	buffer_store_dword v4, off, s[0:3], s32 offset:388 ; 4-byte Folded Spill
	buffer_store_dword v5, off, s[0:3], s32 offset:392 ; 4-byte Folded Spill
	v_mov_b32_e32 v4, 0
	v_mov_b32_e32 v5, 0
	buffer_store_dword v4, off, s[0:3], s32 offset:380 ; 4-byte Folded Spill
	buffer_store_dword v5, off, s[0:3], s32 offset:384 ; 4-byte Folded Spill
	s_waitcnt vmcnt(0) lgkmcnt(0)
	v_and_b32_e32 v0, 0xffff, v1
	v_cmp_ne_u16_sdwa s6, v1, v105 src0_sel:BYTE_0 src1_sel:DWORD
	s_and_saveexec_b32 s17, s6
	s_cbranch_execz .LBB198_193
; %bb.186:                              ;   in Loop: Header=BB198_9 Depth=1
	v_bfrev_b32_e32 v4, 1
	v_mov_b32_e32 v5, 0
	v_cmp_ne_u16_sdwa s6, v0, v9 src0_sel:BYTE_0 src1_sel:DWORD
	buffer_store_dword v4, off, s[0:3], s32 offset:380 ; 4-byte Folded Spill
	buffer_store_dword v5, off, s[0:3], s32 offset:384 ; 4-byte Folded Spill
	s_and_saveexec_b32 s19, s6
	s_cbranch_execz .LBB198_192
; %bb.187:                              ;   in Loop: Header=BB198_9 Depth=1
	v_mov_b32_e32 v5, 0x7f800001
	v_and_b32_e32 v4, 0x7f, v0
	v_mov_b32_e32 v6, 0
	s_mov_b32 s20, exec_lo
	buffer_store_dword v5, off, s[0:3], s32 offset:380 ; 4-byte Folded Spill
	buffer_store_dword v6, off, s[0:3], s32 offset:384 ; 4-byte Folded Spill
	v_cmpx_ne_u32_e32 0x7f, v4
	s_cbranch_execz .LBB198_191
; %bb.188:                              ;   in Loop: Header=BB198_9 Depth=1
	v_and_b32_e32 v104, 7, v0
	v_lshrrev_b32_e32 v1, 3, v4
	s_mov_b32 s21, exec_lo
	v_cmpx_gt_u32_e32 8, v4
; %bb.189:                              ;   in Loop: Header=BB198_9 Depth=1
	v_ffbh_u32_e32 v1, v104
	v_min_u32_e32 v1, 32, v1
	v_subrev_nc_u32_e32 v4, 28, v1
	v_sub_nc_u32_e32 v1, 29, v1
	v_lshlrev_b64 v[4:5], v4, v[104:105]
	v_and_b32_e32 v104, 7, v4
; %bb.190:                              ;   in Loop: Header=BB198_9 Depth=1
	s_or_b32 exec_lo, exec_lo, s21
	v_lshlrev_b32_e32 v4, 24, v0
	v_lshlrev_b32_e32 v5, 20, v104
	v_lshl_add_u32 v1, v1, 23, 0x3c000000
	v_and_b32_e32 v4, 0x80000000, v4
	v_or3_b32 v104, v5, v4, v1
	buffer_store_dword v104, off, s[0:3], s32 offset:380 ; 4-byte Folded Spill
	buffer_store_dword v105, off, s[0:3], s32 offset:384 ; 4-byte Folded Spill
.LBB198_191:                            ;   in Loop: Header=BB198_9 Depth=1
	s_or_b32 exec_lo, exec_lo, s20
.LBB198_192:                            ;   in Loop: Header=BB198_9 Depth=1
	s_or_b32 exec_lo, exec_lo, s19
.LBB198_193:                            ;   in Loop: Header=BB198_9 Depth=1
	s_or_b32 exec_lo, exec_lo, s17
	v_cmp_ne_u16_sdwa s6, v0, v105 src0_sel:BYTE_1 src1_sel:DWORD
	s_and_saveexec_b32 s17, s6
	s_cbranch_execz .LBB198_201
; %bb.194:                              ;   in Loop: Header=BB198_9 Depth=1
	v_mov_b32_e32 v100, v105
	v_cmp_ne_u16_sdwa s6, v0, v9 src0_sel:BYTE_1 src1_sel:DWORD
	buffer_store_dword v100, off, s[0:3], s32 offset:388 ; 4-byte Folded Spill
	buffer_store_dword v101, off, s[0:3], s32 offset:392 ; 4-byte Folded Spill
	s_and_saveexec_b32 s19, s6
	s_cbranch_execz .LBB198_200
; %bb.195:                              ;   in Loop: Header=BB198_9 Depth=1
	v_mov_b32_e32 v1, 0xffff
	v_mov_b32_e32 v96, v105
	s_mov_b32 s20, exec_lo
	buffer_store_dword v96, off, s[0:3], s32 offset:388 ; 4-byte Folded Spill
	buffer_store_dword v97, off, s[0:3], s32 offset:392 ; 4-byte Folded Spill
	v_and_b32_sdwa v1, v1, v0 dst_sel:DWORD dst_unused:UNUSED_PAD src0_sel:DWORD src1_sel:BYTE_1
	v_and_b32_e32 v4, 0x7f, v1
	v_cmpx_ne_u32_e32 0x7f, v4
	s_cbranch_execz .LBB198_199
; %bb.196:                              ;   in Loop: Header=BB198_9 Depth=1
	v_and_b32_e32 v104, 7, v1
	v_lshrrev_b32_e32 v1, 3, v4
	s_mov_b32 s21, exec_lo
	v_cmpx_gt_u32_e32 8, v4
; %bb.197:                              ;   in Loop: Header=BB198_9 Depth=1
	v_ffbh_u32_e32 v1, v104
	v_min_u32_e32 v1, 32, v1
	v_subrev_nc_u32_e32 v4, 28, v1
	v_sub_nc_u32_e32 v1, 29, v1
	v_lshlrev_b64 v[4:5], v4, v[104:105]
	v_and_b32_e32 v104, 7, v4
; %bb.198:                              ;   in Loop: Header=BB198_9 Depth=1
	s_or_b32 exec_lo, exec_lo, s21
	v_lshlrev_b32_e32 v0, 16, v0
	v_lshlrev_b32_e32 v4, 20, v104
	v_lshl_add_u32 v1, v1, 23, 0x3c000000
	v_and_b32_e32 v0, 0x80000000, v0
	v_or3_b32 v1, v4, v0, v1
	v_mov_b32_e32 v0, v105
	buffer_store_dword v0, off, s[0:3], s32 offset:388 ; 4-byte Folded Spill
	buffer_store_dword v1, off, s[0:3], s32 offset:392 ; 4-byte Folded Spill
.LBB198_199:                            ;   in Loop: Header=BB198_9 Depth=1
	s_or_b32 exec_lo, exec_lo, s20
.LBB198_200:                            ;   in Loop: Header=BB198_9 Depth=1
	s_or_b32 exec_lo, exec_lo, s19
.LBB198_201:                            ;   in Loop: Header=BB198_9 Depth=1
	s_or_b32 exec_lo, exec_lo, s17
	flat_load_ushort v1, v[102:103] offset:768
	v_mov_b32_e32 v4, 0
	v_mov_b32_e32 v5, 0
	buffer_store_dword v4, off, s[0:3], s32 offset:404 ; 4-byte Folded Spill
	buffer_store_dword v5, off, s[0:3], s32 offset:408 ; 4-byte Folded Spill
	v_mov_b32_e32 v4, 0
	v_mov_b32_e32 v5, 0
	buffer_store_dword v4, off, s[0:3], s32 offset:396 ; 4-byte Folded Spill
	buffer_store_dword v5, off, s[0:3], s32 offset:400 ; 4-byte Folded Spill
	s_waitcnt vmcnt(0) lgkmcnt(0)
	v_and_b32_e32 v0, 0xffff, v1
	v_cmp_ne_u16_sdwa s6, v1, v105 src0_sel:BYTE_0 src1_sel:DWORD
	s_and_saveexec_b32 s17, s6
	s_cbranch_execz .LBB198_209
; %bb.202:                              ;   in Loop: Header=BB198_9 Depth=1
	v_bfrev_b32_e32 v4, 1
	v_mov_b32_e32 v5, 0
	v_cmp_ne_u16_sdwa s6, v0, v9 src0_sel:BYTE_0 src1_sel:DWORD
	buffer_store_dword v4, off, s[0:3], s32 offset:396 ; 4-byte Folded Spill
	buffer_store_dword v5, off, s[0:3], s32 offset:400 ; 4-byte Folded Spill
	s_and_saveexec_b32 s19, s6
	s_cbranch_execz .LBB198_208
; %bb.203:                              ;   in Loop: Header=BB198_9 Depth=1
	v_mov_b32_e32 v5, 0x7f800001
	v_and_b32_e32 v4, 0x7f, v0
	v_mov_b32_e32 v6, 0
	s_mov_b32 s20, exec_lo
	buffer_store_dword v5, off, s[0:3], s32 offset:396 ; 4-byte Folded Spill
	buffer_store_dword v6, off, s[0:3], s32 offset:400 ; 4-byte Folded Spill
	v_cmpx_ne_u32_e32 0x7f, v4
	s_cbranch_execz .LBB198_207
; %bb.204:                              ;   in Loop: Header=BB198_9 Depth=1
	v_and_b32_e32 v104, 7, v0
	v_lshrrev_b32_e32 v1, 3, v4
	s_mov_b32 s21, exec_lo
	v_cmpx_gt_u32_e32 8, v4
; %bb.205:                              ;   in Loop: Header=BB198_9 Depth=1
	v_ffbh_u32_e32 v1, v104
	v_min_u32_e32 v1, 32, v1
	v_subrev_nc_u32_e32 v4, 28, v1
	v_sub_nc_u32_e32 v1, 29, v1
	v_lshlrev_b64 v[4:5], v4, v[104:105]
	v_and_b32_e32 v104, 7, v4
; %bb.206:                              ;   in Loop: Header=BB198_9 Depth=1
	s_or_b32 exec_lo, exec_lo, s21
	v_lshlrev_b32_e32 v4, 24, v0
	v_lshlrev_b32_e32 v5, 20, v104
	v_lshl_add_u32 v1, v1, 23, 0x3c000000
	v_and_b32_e32 v4, 0x80000000, v4
	v_or3_b32 v104, v5, v4, v1
	buffer_store_dword v104, off, s[0:3], s32 offset:396 ; 4-byte Folded Spill
	buffer_store_dword v105, off, s[0:3], s32 offset:400 ; 4-byte Folded Spill
.LBB198_207:                            ;   in Loop: Header=BB198_9 Depth=1
	s_or_b32 exec_lo, exec_lo, s20
.LBB198_208:                            ;   in Loop: Header=BB198_9 Depth=1
	s_or_b32 exec_lo, exec_lo, s19
.LBB198_209:                            ;   in Loop: Header=BB198_9 Depth=1
	s_or_b32 exec_lo, exec_lo, s17
	v_cmp_ne_u16_sdwa s6, v0, v105 src0_sel:BYTE_1 src1_sel:DWORD
	s_and_saveexec_b32 s17, s6
	s_cbranch_execz .LBB198_217
; %bb.210:                              ;   in Loop: Header=BB198_9 Depth=1
	v_mov_b32_e32 v100, v105
	v_cmp_ne_u16_sdwa s6, v0, v9 src0_sel:BYTE_1 src1_sel:DWORD
	buffer_store_dword v100, off, s[0:3], s32 offset:404 ; 4-byte Folded Spill
	buffer_store_dword v101, off, s[0:3], s32 offset:408 ; 4-byte Folded Spill
	s_and_saveexec_b32 s19, s6
	s_cbranch_execz .LBB198_216
; %bb.211:                              ;   in Loop: Header=BB198_9 Depth=1
	v_mov_b32_e32 v1, 0xffff
	v_mov_b32_e32 v96, v105
	s_mov_b32 s20, exec_lo
	buffer_store_dword v96, off, s[0:3], s32 offset:404 ; 4-byte Folded Spill
	buffer_store_dword v97, off, s[0:3], s32 offset:408 ; 4-byte Folded Spill
	v_and_b32_sdwa v1, v1, v0 dst_sel:DWORD dst_unused:UNUSED_PAD src0_sel:DWORD src1_sel:BYTE_1
	v_and_b32_e32 v4, 0x7f, v1
	v_cmpx_ne_u32_e32 0x7f, v4
	s_cbranch_execz .LBB198_215
; %bb.212:                              ;   in Loop: Header=BB198_9 Depth=1
	v_and_b32_e32 v104, 7, v1
	v_lshrrev_b32_e32 v1, 3, v4
	s_mov_b32 s21, exec_lo
	v_cmpx_gt_u32_e32 8, v4
; %bb.213:                              ;   in Loop: Header=BB198_9 Depth=1
	v_ffbh_u32_e32 v1, v104
	v_min_u32_e32 v1, 32, v1
	v_subrev_nc_u32_e32 v4, 28, v1
	v_sub_nc_u32_e32 v1, 29, v1
	v_lshlrev_b64 v[4:5], v4, v[104:105]
	v_and_b32_e32 v104, 7, v4
; %bb.214:                              ;   in Loop: Header=BB198_9 Depth=1
	s_or_b32 exec_lo, exec_lo, s21
	v_lshlrev_b32_e32 v0, 16, v0
	v_lshlrev_b32_e32 v4, 20, v104
	v_lshl_add_u32 v1, v1, 23, 0x3c000000
	v_and_b32_e32 v0, 0x80000000, v0
	v_or3_b32 v1, v4, v0, v1
	v_mov_b32_e32 v0, v105
	buffer_store_dword v0, off, s[0:3], s32 offset:404 ; 4-byte Folded Spill
	buffer_store_dword v1, off, s[0:3], s32 offset:408 ; 4-byte Folded Spill
.LBB198_215:                            ;   in Loop: Header=BB198_9 Depth=1
	s_or_b32 exec_lo, exec_lo, s20
.LBB198_216:                            ;   in Loop: Header=BB198_9 Depth=1
	s_or_b32 exec_lo, exec_lo, s19
.LBB198_217:                            ;   in Loop: Header=BB198_9 Depth=1
	s_or_b32 exec_lo, exec_lo, s17
	flat_load_ushort v1, v[102:103] offset:772
	v_mov_b32_e32 v4, 0
	v_mov_b32_e32 v5, 0
	buffer_store_dword v4, off, s[0:3], s32 offset:420 ; 4-byte Folded Spill
	buffer_store_dword v5, off, s[0:3], s32 offset:424 ; 4-byte Folded Spill
	v_mov_b32_e32 v4, 0
	v_mov_b32_e32 v5, 0
	buffer_store_dword v4, off, s[0:3], s32 offset:412 ; 4-byte Folded Spill
	buffer_store_dword v5, off, s[0:3], s32 offset:416 ; 4-byte Folded Spill
	s_waitcnt vmcnt(0) lgkmcnt(0)
	v_and_b32_e32 v0, 0xffff, v1
	v_cmp_ne_u16_sdwa s6, v1, v105 src0_sel:BYTE_0 src1_sel:DWORD
	s_and_saveexec_b32 s17, s6
	s_cbranch_execz .LBB198_225
; %bb.218:                              ;   in Loop: Header=BB198_9 Depth=1
	v_bfrev_b32_e32 v4, 1
	v_mov_b32_e32 v5, 0
	v_cmp_ne_u16_sdwa s6, v0, v9 src0_sel:BYTE_0 src1_sel:DWORD
	buffer_store_dword v4, off, s[0:3], s32 offset:412 ; 4-byte Folded Spill
	buffer_store_dword v5, off, s[0:3], s32 offset:416 ; 4-byte Folded Spill
	s_and_saveexec_b32 s19, s6
	s_cbranch_execz .LBB198_224
; %bb.219:                              ;   in Loop: Header=BB198_9 Depth=1
	v_mov_b32_e32 v5, 0x7f800001
	v_and_b32_e32 v4, 0x7f, v0
	v_mov_b32_e32 v6, 0
	s_mov_b32 s20, exec_lo
	buffer_store_dword v5, off, s[0:3], s32 offset:412 ; 4-byte Folded Spill
	buffer_store_dword v6, off, s[0:3], s32 offset:416 ; 4-byte Folded Spill
	v_cmpx_ne_u32_e32 0x7f, v4
	s_cbranch_execz .LBB198_223
; %bb.220:                              ;   in Loop: Header=BB198_9 Depth=1
	v_and_b32_e32 v104, 7, v0
	v_lshrrev_b32_e32 v1, 3, v4
	s_mov_b32 s21, exec_lo
	v_cmpx_gt_u32_e32 8, v4
; %bb.221:                              ;   in Loop: Header=BB198_9 Depth=1
	v_ffbh_u32_e32 v1, v104
	v_min_u32_e32 v1, 32, v1
	v_subrev_nc_u32_e32 v4, 28, v1
	v_sub_nc_u32_e32 v1, 29, v1
	v_lshlrev_b64 v[4:5], v4, v[104:105]
	v_and_b32_e32 v104, 7, v4
; %bb.222:                              ;   in Loop: Header=BB198_9 Depth=1
	s_or_b32 exec_lo, exec_lo, s21
	v_lshlrev_b32_e32 v4, 24, v0
	v_lshlrev_b32_e32 v5, 20, v104
	v_lshl_add_u32 v1, v1, 23, 0x3c000000
	v_and_b32_e32 v4, 0x80000000, v4
	v_or3_b32 v104, v5, v4, v1
	buffer_store_dword v104, off, s[0:3], s32 offset:412 ; 4-byte Folded Spill
	buffer_store_dword v105, off, s[0:3], s32 offset:416 ; 4-byte Folded Spill
.LBB198_223:                            ;   in Loop: Header=BB198_9 Depth=1
	s_or_b32 exec_lo, exec_lo, s20
.LBB198_224:                            ;   in Loop: Header=BB198_9 Depth=1
	s_or_b32 exec_lo, exec_lo, s19
.LBB198_225:                            ;   in Loop: Header=BB198_9 Depth=1
	s_or_b32 exec_lo, exec_lo, s17
	v_cmp_ne_u16_sdwa s6, v0, v105 src0_sel:BYTE_1 src1_sel:DWORD
	s_and_saveexec_b32 s17, s6
	s_cbranch_execz .LBB198_233
; %bb.226:                              ;   in Loop: Header=BB198_9 Depth=1
	v_mov_b32_e32 v100, v105
	v_cmp_ne_u16_sdwa s6, v0, v9 src0_sel:BYTE_1 src1_sel:DWORD
	buffer_store_dword v100, off, s[0:3], s32 offset:420 ; 4-byte Folded Spill
	buffer_store_dword v101, off, s[0:3], s32 offset:424 ; 4-byte Folded Spill
	s_and_saveexec_b32 s19, s6
	s_cbranch_execz .LBB198_232
; %bb.227:                              ;   in Loop: Header=BB198_9 Depth=1
	v_mov_b32_e32 v1, 0xffff
	v_mov_b32_e32 v96, v105
	s_mov_b32 s20, exec_lo
	buffer_store_dword v96, off, s[0:3], s32 offset:420 ; 4-byte Folded Spill
	buffer_store_dword v97, off, s[0:3], s32 offset:424 ; 4-byte Folded Spill
	v_and_b32_sdwa v1, v1, v0 dst_sel:DWORD dst_unused:UNUSED_PAD src0_sel:DWORD src1_sel:BYTE_1
	v_and_b32_e32 v4, 0x7f, v1
	v_cmpx_ne_u32_e32 0x7f, v4
	s_cbranch_execz .LBB198_231
; %bb.228:                              ;   in Loop: Header=BB198_9 Depth=1
	v_and_b32_e32 v104, 7, v1
	v_lshrrev_b32_e32 v1, 3, v4
	s_mov_b32 s21, exec_lo
	v_cmpx_gt_u32_e32 8, v4
; %bb.229:                              ;   in Loop: Header=BB198_9 Depth=1
	v_ffbh_u32_e32 v1, v104
	v_min_u32_e32 v1, 32, v1
	v_subrev_nc_u32_e32 v4, 28, v1
	v_sub_nc_u32_e32 v1, 29, v1
	v_lshlrev_b64 v[4:5], v4, v[104:105]
	v_and_b32_e32 v104, 7, v4
; %bb.230:                              ;   in Loop: Header=BB198_9 Depth=1
	s_or_b32 exec_lo, exec_lo, s21
	v_lshlrev_b32_e32 v0, 16, v0
	v_lshlrev_b32_e32 v4, 20, v104
	v_lshl_add_u32 v1, v1, 23, 0x3c000000
	v_and_b32_e32 v0, 0x80000000, v0
	v_or3_b32 v1, v4, v0, v1
	v_mov_b32_e32 v0, v105
	buffer_store_dword v0, off, s[0:3], s32 offset:420 ; 4-byte Folded Spill
	buffer_store_dword v1, off, s[0:3], s32 offset:424 ; 4-byte Folded Spill
.LBB198_231:                            ;   in Loop: Header=BB198_9 Depth=1
	s_or_b32 exec_lo, exec_lo, s20
.LBB198_232:                            ;   in Loop: Header=BB198_9 Depth=1
	s_or_b32 exec_lo, exec_lo, s19
.LBB198_233:                            ;   in Loop: Header=BB198_9 Depth=1
	s_or_b32 exec_lo, exec_lo, s17
	flat_load_ushort v1, v[102:103] offset:776
	v_mov_b32_e32 v4, 0
	v_mov_b32_e32 v5, 0
	buffer_store_dword v4, off, s[0:3], s32 offset:436 ; 4-byte Folded Spill
	buffer_store_dword v5, off, s[0:3], s32 offset:440 ; 4-byte Folded Spill
	v_mov_b32_e32 v4, 0
	v_mov_b32_e32 v5, 0
	buffer_store_dword v4, off, s[0:3], s32 offset:428 ; 4-byte Folded Spill
	buffer_store_dword v5, off, s[0:3], s32 offset:432 ; 4-byte Folded Spill
	s_waitcnt vmcnt(0) lgkmcnt(0)
	v_and_b32_e32 v0, 0xffff, v1
	v_cmp_ne_u16_sdwa s6, v1, v105 src0_sel:BYTE_0 src1_sel:DWORD
	s_and_saveexec_b32 s17, s6
	s_cbranch_execz .LBB198_241
; %bb.234:                              ;   in Loop: Header=BB198_9 Depth=1
	v_bfrev_b32_e32 v4, 1
	v_mov_b32_e32 v5, 0
	v_cmp_ne_u16_sdwa s6, v0, v9 src0_sel:BYTE_0 src1_sel:DWORD
	buffer_store_dword v4, off, s[0:3], s32 offset:428 ; 4-byte Folded Spill
	buffer_store_dword v5, off, s[0:3], s32 offset:432 ; 4-byte Folded Spill
	s_and_saveexec_b32 s19, s6
	s_cbranch_execz .LBB198_240
; %bb.235:                              ;   in Loop: Header=BB198_9 Depth=1
	v_mov_b32_e32 v5, 0x7f800001
	v_and_b32_e32 v4, 0x7f, v0
	v_mov_b32_e32 v6, 0
	s_mov_b32 s20, exec_lo
	buffer_store_dword v5, off, s[0:3], s32 offset:428 ; 4-byte Folded Spill
	buffer_store_dword v6, off, s[0:3], s32 offset:432 ; 4-byte Folded Spill
	v_cmpx_ne_u32_e32 0x7f, v4
	s_cbranch_execz .LBB198_239
; %bb.236:                              ;   in Loop: Header=BB198_9 Depth=1
	v_and_b32_e32 v104, 7, v0
	v_lshrrev_b32_e32 v1, 3, v4
	s_mov_b32 s21, exec_lo
	v_cmpx_gt_u32_e32 8, v4
; %bb.237:                              ;   in Loop: Header=BB198_9 Depth=1
	v_ffbh_u32_e32 v1, v104
	v_min_u32_e32 v1, 32, v1
	v_subrev_nc_u32_e32 v4, 28, v1
	v_sub_nc_u32_e32 v1, 29, v1
	v_lshlrev_b64 v[4:5], v4, v[104:105]
	v_and_b32_e32 v104, 7, v4
; %bb.238:                              ;   in Loop: Header=BB198_9 Depth=1
	s_or_b32 exec_lo, exec_lo, s21
	v_lshlrev_b32_e32 v4, 24, v0
	v_lshlrev_b32_e32 v5, 20, v104
	v_lshl_add_u32 v1, v1, 23, 0x3c000000
	v_and_b32_e32 v4, 0x80000000, v4
	v_or3_b32 v104, v5, v4, v1
	buffer_store_dword v104, off, s[0:3], s32 offset:428 ; 4-byte Folded Spill
	buffer_store_dword v105, off, s[0:3], s32 offset:432 ; 4-byte Folded Spill
.LBB198_239:                            ;   in Loop: Header=BB198_9 Depth=1
	s_or_b32 exec_lo, exec_lo, s20
.LBB198_240:                            ;   in Loop: Header=BB198_9 Depth=1
	s_or_b32 exec_lo, exec_lo, s19
.LBB198_241:                            ;   in Loop: Header=BB198_9 Depth=1
	s_or_b32 exec_lo, exec_lo, s17
	v_cmp_ne_u16_sdwa s6, v0, v105 src0_sel:BYTE_1 src1_sel:DWORD
	s_and_saveexec_b32 s17, s6
	s_cbranch_execz .LBB198_249
; %bb.242:                              ;   in Loop: Header=BB198_9 Depth=1
	v_mov_b32_e32 v100, v105
	v_cmp_ne_u16_sdwa s6, v0, v9 src0_sel:BYTE_1 src1_sel:DWORD
	buffer_store_dword v100, off, s[0:3], s32 offset:436 ; 4-byte Folded Spill
	buffer_store_dword v101, off, s[0:3], s32 offset:440 ; 4-byte Folded Spill
	s_and_saveexec_b32 s19, s6
	s_cbranch_execz .LBB198_248
; %bb.243:                              ;   in Loop: Header=BB198_9 Depth=1
	v_mov_b32_e32 v1, 0xffff
	v_mov_b32_e32 v96, v105
	s_mov_b32 s20, exec_lo
	buffer_store_dword v96, off, s[0:3], s32 offset:436 ; 4-byte Folded Spill
	buffer_store_dword v97, off, s[0:3], s32 offset:440 ; 4-byte Folded Spill
	v_and_b32_sdwa v1, v1, v0 dst_sel:DWORD dst_unused:UNUSED_PAD src0_sel:DWORD src1_sel:BYTE_1
	v_and_b32_e32 v4, 0x7f, v1
	v_cmpx_ne_u32_e32 0x7f, v4
	s_cbranch_execz .LBB198_247
; %bb.244:                              ;   in Loop: Header=BB198_9 Depth=1
	v_and_b32_e32 v104, 7, v1
	v_lshrrev_b32_e32 v1, 3, v4
	s_mov_b32 s21, exec_lo
	v_cmpx_gt_u32_e32 8, v4
; %bb.245:                              ;   in Loop: Header=BB198_9 Depth=1
	v_ffbh_u32_e32 v1, v104
	v_min_u32_e32 v1, 32, v1
	v_subrev_nc_u32_e32 v4, 28, v1
	v_sub_nc_u32_e32 v1, 29, v1
	v_lshlrev_b64 v[4:5], v4, v[104:105]
	v_and_b32_e32 v104, 7, v4
; %bb.246:                              ;   in Loop: Header=BB198_9 Depth=1
	s_or_b32 exec_lo, exec_lo, s21
	v_lshlrev_b32_e32 v0, 16, v0
	v_lshlrev_b32_e32 v4, 20, v104
	v_lshl_add_u32 v1, v1, 23, 0x3c000000
	v_and_b32_e32 v0, 0x80000000, v0
	v_or3_b32 v1, v4, v0, v1
	v_mov_b32_e32 v0, v105
	buffer_store_dword v0, off, s[0:3], s32 offset:436 ; 4-byte Folded Spill
	buffer_store_dword v1, off, s[0:3], s32 offset:440 ; 4-byte Folded Spill
.LBB198_247:                            ;   in Loop: Header=BB198_9 Depth=1
	s_or_b32 exec_lo, exec_lo, s20
.LBB198_248:                            ;   in Loop: Header=BB198_9 Depth=1
	s_or_b32 exec_lo, exec_lo, s19
.LBB198_249:                            ;   in Loop: Header=BB198_9 Depth=1
	s_or_b32 exec_lo, exec_lo, s17
	flat_load_ushort v1, v[102:103] offset:780
	v_mov_b32_e32 v4, 0
	v_mov_b32_e32 v5, 0
	buffer_store_dword v4, off, s[0:3], s32 offset:452 ; 4-byte Folded Spill
	buffer_store_dword v5, off, s[0:3], s32 offset:456 ; 4-byte Folded Spill
	v_mov_b32_e32 v4, 0
	v_mov_b32_e32 v5, 0
	buffer_store_dword v4, off, s[0:3], s32 offset:444 ; 4-byte Folded Spill
	buffer_store_dword v5, off, s[0:3], s32 offset:448 ; 4-byte Folded Spill
	s_waitcnt vmcnt(0) lgkmcnt(0)
	v_and_b32_e32 v0, 0xffff, v1
	v_cmp_ne_u16_sdwa s6, v1, v105 src0_sel:BYTE_0 src1_sel:DWORD
	s_and_saveexec_b32 s17, s6
	s_cbranch_execz .LBB198_257
; %bb.250:                              ;   in Loop: Header=BB198_9 Depth=1
	v_bfrev_b32_e32 v4, 1
	v_mov_b32_e32 v5, 0
	v_cmp_ne_u16_sdwa s6, v0, v9 src0_sel:BYTE_0 src1_sel:DWORD
	buffer_store_dword v4, off, s[0:3], s32 offset:444 ; 4-byte Folded Spill
	buffer_store_dword v5, off, s[0:3], s32 offset:448 ; 4-byte Folded Spill
	s_and_saveexec_b32 s19, s6
	s_cbranch_execz .LBB198_256
; %bb.251:                              ;   in Loop: Header=BB198_9 Depth=1
	v_mov_b32_e32 v5, 0x7f800001
	v_and_b32_e32 v4, 0x7f, v0
	v_mov_b32_e32 v6, 0
	s_mov_b32 s20, exec_lo
	buffer_store_dword v5, off, s[0:3], s32 offset:444 ; 4-byte Folded Spill
	buffer_store_dword v6, off, s[0:3], s32 offset:448 ; 4-byte Folded Spill
	v_cmpx_ne_u32_e32 0x7f, v4
	s_cbranch_execz .LBB198_255
; %bb.252:                              ;   in Loop: Header=BB198_9 Depth=1
	v_and_b32_e32 v104, 7, v0
	v_lshrrev_b32_e32 v1, 3, v4
	s_mov_b32 s21, exec_lo
	v_cmpx_gt_u32_e32 8, v4
; %bb.253:                              ;   in Loop: Header=BB198_9 Depth=1
	v_ffbh_u32_e32 v1, v104
	v_min_u32_e32 v1, 32, v1
	v_subrev_nc_u32_e32 v4, 28, v1
	v_sub_nc_u32_e32 v1, 29, v1
	v_lshlrev_b64 v[4:5], v4, v[104:105]
	v_and_b32_e32 v104, 7, v4
; %bb.254:                              ;   in Loop: Header=BB198_9 Depth=1
	s_or_b32 exec_lo, exec_lo, s21
	v_lshlrev_b32_e32 v4, 24, v0
	v_lshlrev_b32_e32 v5, 20, v104
	v_lshl_add_u32 v1, v1, 23, 0x3c000000
	v_and_b32_e32 v4, 0x80000000, v4
	v_or3_b32 v104, v5, v4, v1
	buffer_store_dword v104, off, s[0:3], s32 offset:444 ; 4-byte Folded Spill
	buffer_store_dword v105, off, s[0:3], s32 offset:448 ; 4-byte Folded Spill
.LBB198_255:                            ;   in Loop: Header=BB198_9 Depth=1
	s_or_b32 exec_lo, exec_lo, s20
.LBB198_256:                            ;   in Loop: Header=BB198_9 Depth=1
	s_or_b32 exec_lo, exec_lo, s19
.LBB198_257:                            ;   in Loop: Header=BB198_9 Depth=1
	s_or_b32 exec_lo, exec_lo, s17
	v_cmp_ne_u16_sdwa s6, v0, v105 src0_sel:BYTE_1 src1_sel:DWORD
	s_and_saveexec_b32 s17, s6
	s_cbranch_execz .LBB198_265
; %bb.258:                              ;   in Loop: Header=BB198_9 Depth=1
	v_mov_b32_e32 v100, v105
	v_cmp_ne_u16_sdwa s6, v0, v9 src0_sel:BYTE_1 src1_sel:DWORD
	buffer_store_dword v100, off, s[0:3], s32 offset:452 ; 4-byte Folded Spill
	buffer_store_dword v101, off, s[0:3], s32 offset:456 ; 4-byte Folded Spill
	s_and_saveexec_b32 s19, s6
	s_cbranch_execz .LBB198_264
; %bb.259:                              ;   in Loop: Header=BB198_9 Depth=1
	v_mov_b32_e32 v1, 0xffff
	v_mov_b32_e32 v96, v105
	s_mov_b32 s20, exec_lo
	buffer_store_dword v96, off, s[0:3], s32 offset:452 ; 4-byte Folded Spill
	buffer_store_dword v97, off, s[0:3], s32 offset:456 ; 4-byte Folded Spill
	v_and_b32_sdwa v1, v1, v0 dst_sel:DWORD dst_unused:UNUSED_PAD src0_sel:DWORD src1_sel:BYTE_1
	v_and_b32_e32 v4, 0x7f, v1
	v_cmpx_ne_u32_e32 0x7f, v4
	s_cbranch_execz .LBB198_263
; %bb.260:                              ;   in Loop: Header=BB198_9 Depth=1
	v_and_b32_e32 v104, 7, v1
	v_lshrrev_b32_e32 v1, 3, v4
	s_mov_b32 s21, exec_lo
	v_cmpx_gt_u32_e32 8, v4
; %bb.261:                              ;   in Loop: Header=BB198_9 Depth=1
	v_ffbh_u32_e32 v1, v104
	v_min_u32_e32 v1, 32, v1
	v_subrev_nc_u32_e32 v4, 28, v1
	v_sub_nc_u32_e32 v1, 29, v1
	v_lshlrev_b64 v[4:5], v4, v[104:105]
	v_and_b32_e32 v104, 7, v4
; %bb.262:                              ;   in Loop: Header=BB198_9 Depth=1
	s_or_b32 exec_lo, exec_lo, s21
	v_lshlrev_b32_e32 v0, 16, v0
	v_lshlrev_b32_e32 v4, 20, v104
	v_lshl_add_u32 v1, v1, 23, 0x3c000000
	v_and_b32_e32 v0, 0x80000000, v0
	v_or3_b32 v1, v4, v0, v1
	v_mov_b32_e32 v0, v105
	buffer_store_dword v0, off, s[0:3], s32 offset:452 ; 4-byte Folded Spill
	buffer_store_dword v1, off, s[0:3], s32 offset:456 ; 4-byte Folded Spill
.LBB198_263:                            ;   in Loop: Header=BB198_9 Depth=1
	s_or_b32 exec_lo, exec_lo, s20
.LBB198_264:                            ;   in Loop: Header=BB198_9 Depth=1
	s_or_b32 exec_lo, exec_lo, s19
.LBB198_265:                            ;   in Loop: Header=BB198_9 Depth=1
	s_or_b32 exec_lo, exec_lo, s17
	flat_load_ushort v1, v[102:103] offset:1024
	v_mov_b32_e32 v4, 0
	v_mov_b32_e32 v5, 0
	buffer_store_dword v4, off, s[0:3], s32 offset:468 ; 4-byte Folded Spill
	buffer_store_dword v5, off, s[0:3], s32 offset:472 ; 4-byte Folded Spill
	v_mov_b32_e32 v4, 0
	v_mov_b32_e32 v5, 0
	buffer_store_dword v4, off, s[0:3], s32 offset:460 ; 4-byte Folded Spill
	buffer_store_dword v5, off, s[0:3], s32 offset:464 ; 4-byte Folded Spill
	s_waitcnt vmcnt(0) lgkmcnt(0)
	v_and_b32_e32 v0, 0xffff, v1
	v_cmp_ne_u16_sdwa s6, v1, v105 src0_sel:BYTE_0 src1_sel:DWORD
	s_and_saveexec_b32 s17, s6
	s_cbranch_execz .LBB198_273
; %bb.266:                              ;   in Loop: Header=BB198_9 Depth=1
	v_bfrev_b32_e32 v4, 1
	v_mov_b32_e32 v5, 0
	v_cmp_ne_u16_sdwa s6, v0, v9 src0_sel:BYTE_0 src1_sel:DWORD
	buffer_store_dword v4, off, s[0:3], s32 offset:460 ; 4-byte Folded Spill
	buffer_store_dword v5, off, s[0:3], s32 offset:464 ; 4-byte Folded Spill
	s_and_saveexec_b32 s19, s6
	s_cbranch_execz .LBB198_272
; %bb.267:                              ;   in Loop: Header=BB198_9 Depth=1
	v_mov_b32_e32 v5, 0x7f800001
	v_and_b32_e32 v4, 0x7f, v0
	v_mov_b32_e32 v6, 0
	s_mov_b32 s20, exec_lo
	buffer_store_dword v5, off, s[0:3], s32 offset:460 ; 4-byte Folded Spill
	buffer_store_dword v6, off, s[0:3], s32 offset:464 ; 4-byte Folded Spill
	v_cmpx_ne_u32_e32 0x7f, v4
	s_cbranch_execz .LBB198_271
; %bb.268:                              ;   in Loop: Header=BB198_9 Depth=1
	v_and_b32_e32 v104, 7, v0
	v_lshrrev_b32_e32 v1, 3, v4
	s_mov_b32 s21, exec_lo
	v_cmpx_gt_u32_e32 8, v4
; %bb.269:                              ;   in Loop: Header=BB198_9 Depth=1
	v_ffbh_u32_e32 v1, v104
	v_min_u32_e32 v1, 32, v1
	v_subrev_nc_u32_e32 v4, 28, v1
	v_sub_nc_u32_e32 v1, 29, v1
	v_lshlrev_b64 v[4:5], v4, v[104:105]
	v_and_b32_e32 v104, 7, v4
; %bb.270:                              ;   in Loop: Header=BB198_9 Depth=1
	s_or_b32 exec_lo, exec_lo, s21
	v_lshlrev_b32_e32 v4, 24, v0
	v_lshlrev_b32_e32 v5, 20, v104
	v_lshl_add_u32 v1, v1, 23, 0x3c000000
	v_and_b32_e32 v4, 0x80000000, v4
	v_or3_b32 v104, v5, v4, v1
	buffer_store_dword v104, off, s[0:3], s32 offset:460 ; 4-byte Folded Spill
	buffer_store_dword v105, off, s[0:3], s32 offset:464 ; 4-byte Folded Spill
.LBB198_271:                            ;   in Loop: Header=BB198_9 Depth=1
	s_or_b32 exec_lo, exec_lo, s20
.LBB198_272:                            ;   in Loop: Header=BB198_9 Depth=1
	s_or_b32 exec_lo, exec_lo, s19
.LBB198_273:                            ;   in Loop: Header=BB198_9 Depth=1
	s_or_b32 exec_lo, exec_lo, s17
	v_cmp_ne_u16_sdwa s6, v0, v105 src0_sel:BYTE_1 src1_sel:DWORD
	s_and_saveexec_b32 s17, s6
	s_cbranch_execz .LBB198_281
; %bb.274:                              ;   in Loop: Header=BB198_9 Depth=1
	v_mov_b32_e32 v100, v105
	v_cmp_ne_u16_sdwa s6, v0, v9 src0_sel:BYTE_1 src1_sel:DWORD
	buffer_store_dword v100, off, s[0:3], s32 offset:468 ; 4-byte Folded Spill
	buffer_store_dword v101, off, s[0:3], s32 offset:472 ; 4-byte Folded Spill
	s_and_saveexec_b32 s19, s6
	s_cbranch_execz .LBB198_280
; %bb.275:                              ;   in Loop: Header=BB198_9 Depth=1
	v_mov_b32_e32 v1, 0xffff
	v_mov_b32_e32 v96, v105
	s_mov_b32 s20, exec_lo
	buffer_store_dword v96, off, s[0:3], s32 offset:468 ; 4-byte Folded Spill
	buffer_store_dword v97, off, s[0:3], s32 offset:472 ; 4-byte Folded Spill
	v_and_b32_sdwa v1, v1, v0 dst_sel:DWORD dst_unused:UNUSED_PAD src0_sel:DWORD src1_sel:BYTE_1
	v_and_b32_e32 v4, 0x7f, v1
	v_cmpx_ne_u32_e32 0x7f, v4
	s_cbranch_execz .LBB198_279
; %bb.276:                              ;   in Loop: Header=BB198_9 Depth=1
	v_and_b32_e32 v104, 7, v1
	v_lshrrev_b32_e32 v1, 3, v4
	s_mov_b32 s21, exec_lo
	v_cmpx_gt_u32_e32 8, v4
; %bb.277:                              ;   in Loop: Header=BB198_9 Depth=1
	v_ffbh_u32_e32 v1, v104
	v_min_u32_e32 v1, 32, v1
	v_subrev_nc_u32_e32 v4, 28, v1
	v_sub_nc_u32_e32 v1, 29, v1
	v_lshlrev_b64 v[4:5], v4, v[104:105]
	v_and_b32_e32 v104, 7, v4
; %bb.278:                              ;   in Loop: Header=BB198_9 Depth=1
	s_or_b32 exec_lo, exec_lo, s21
	v_lshlrev_b32_e32 v0, 16, v0
	v_lshlrev_b32_e32 v4, 20, v104
	v_lshl_add_u32 v1, v1, 23, 0x3c000000
	v_and_b32_e32 v0, 0x80000000, v0
	v_or3_b32 v1, v4, v0, v1
	v_mov_b32_e32 v0, v105
	buffer_store_dword v0, off, s[0:3], s32 offset:468 ; 4-byte Folded Spill
	buffer_store_dword v1, off, s[0:3], s32 offset:472 ; 4-byte Folded Spill
.LBB198_279:                            ;   in Loop: Header=BB198_9 Depth=1
	s_or_b32 exec_lo, exec_lo, s20
.LBB198_280:                            ;   in Loop: Header=BB198_9 Depth=1
	s_or_b32 exec_lo, exec_lo, s19
.LBB198_281:                            ;   in Loop: Header=BB198_9 Depth=1
	s_or_b32 exec_lo, exec_lo, s17
	flat_load_ushort v1, v[102:103] offset:1028
	v_mov_b32_e32 v4, 0
	v_mov_b32_e32 v5, 0
	buffer_store_dword v4, off, s[0:3], s32 offset:484 ; 4-byte Folded Spill
	buffer_store_dword v5, off, s[0:3], s32 offset:488 ; 4-byte Folded Spill
	v_mov_b32_e32 v4, 0
	v_mov_b32_e32 v5, 0
	buffer_store_dword v4, off, s[0:3], s32 offset:476 ; 4-byte Folded Spill
	buffer_store_dword v5, off, s[0:3], s32 offset:480 ; 4-byte Folded Spill
	s_waitcnt vmcnt(0) lgkmcnt(0)
	v_and_b32_e32 v0, 0xffff, v1
	v_cmp_ne_u16_sdwa s6, v1, v105 src0_sel:BYTE_0 src1_sel:DWORD
	s_and_saveexec_b32 s17, s6
	s_cbranch_execz .LBB198_289
; %bb.282:                              ;   in Loop: Header=BB198_9 Depth=1
	v_bfrev_b32_e32 v4, 1
	v_mov_b32_e32 v5, 0
	v_cmp_ne_u16_sdwa s6, v0, v9 src0_sel:BYTE_0 src1_sel:DWORD
	buffer_store_dword v4, off, s[0:3], s32 offset:476 ; 4-byte Folded Spill
	buffer_store_dword v5, off, s[0:3], s32 offset:480 ; 4-byte Folded Spill
	s_and_saveexec_b32 s19, s6
	s_cbranch_execz .LBB198_288
; %bb.283:                              ;   in Loop: Header=BB198_9 Depth=1
	v_mov_b32_e32 v5, 0x7f800001
	v_and_b32_e32 v4, 0x7f, v0
	v_mov_b32_e32 v6, 0
	s_mov_b32 s20, exec_lo
	buffer_store_dword v5, off, s[0:3], s32 offset:476 ; 4-byte Folded Spill
	buffer_store_dword v6, off, s[0:3], s32 offset:480 ; 4-byte Folded Spill
	v_cmpx_ne_u32_e32 0x7f, v4
	s_cbranch_execz .LBB198_287
; %bb.284:                              ;   in Loop: Header=BB198_9 Depth=1
	v_and_b32_e32 v104, 7, v0
	v_lshrrev_b32_e32 v1, 3, v4
	s_mov_b32 s21, exec_lo
	v_cmpx_gt_u32_e32 8, v4
; %bb.285:                              ;   in Loop: Header=BB198_9 Depth=1
	v_ffbh_u32_e32 v1, v104
	v_min_u32_e32 v1, 32, v1
	v_subrev_nc_u32_e32 v4, 28, v1
	v_sub_nc_u32_e32 v1, 29, v1
	v_lshlrev_b64 v[4:5], v4, v[104:105]
	v_and_b32_e32 v104, 7, v4
; %bb.286:                              ;   in Loop: Header=BB198_9 Depth=1
	s_or_b32 exec_lo, exec_lo, s21
	v_lshlrev_b32_e32 v4, 24, v0
	v_lshlrev_b32_e32 v5, 20, v104
	v_lshl_add_u32 v1, v1, 23, 0x3c000000
	v_and_b32_e32 v4, 0x80000000, v4
	v_or3_b32 v104, v5, v4, v1
	buffer_store_dword v104, off, s[0:3], s32 offset:476 ; 4-byte Folded Spill
	buffer_store_dword v105, off, s[0:3], s32 offset:480 ; 4-byte Folded Spill
.LBB198_287:                            ;   in Loop: Header=BB198_9 Depth=1
	s_or_b32 exec_lo, exec_lo, s20
.LBB198_288:                            ;   in Loop: Header=BB198_9 Depth=1
	s_or_b32 exec_lo, exec_lo, s19
.LBB198_289:                            ;   in Loop: Header=BB198_9 Depth=1
	s_or_b32 exec_lo, exec_lo, s17
	v_cmp_ne_u16_sdwa s6, v0, v105 src0_sel:BYTE_1 src1_sel:DWORD
	s_and_saveexec_b32 s17, s6
	s_cbranch_execz .LBB198_297
; %bb.290:                              ;   in Loop: Header=BB198_9 Depth=1
	v_mov_b32_e32 v100, v105
	v_cmp_ne_u16_sdwa s6, v0, v9 src0_sel:BYTE_1 src1_sel:DWORD
	buffer_store_dword v100, off, s[0:3], s32 offset:484 ; 4-byte Folded Spill
	buffer_store_dword v101, off, s[0:3], s32 offset:488 ; 4-byte Folded Spill
	s_and_saveexec_b32 s19, s6
	s_cbranch_execz .LBB198_296
; %bb.291:                              ;   in Loop: Header=BB198_9 Depth=1
	v_mov_b32_e32 v1, 0xffff
	v_mov_b32_e32 v96, v105
	s_mov_b32 s20, exec_lo
	buffer_store_dword v96, off, s[0:3], s32 offset:484 ; 4-byte Folded Spill
	buffer_store_dword v97, off, s[0:3], s32 offset:488 ; 4-byte Folded Spill
	v_and_b32_sdwa v1, v1, v0 dst_sel:DWORD dst_unused:UNUSED_PAD src0_sel:DWORD src1_sel:BYTE_1
	v_and_b32_e32 v4, 0x7f, v1
	v_cmpx_ne_u32_e32 0x7f, v4
	s_cbranch_execz .LBB198_295
; %bb.292:                              ;   in Loop: Header=BB198_9 Depth=1
	v_and_b32_e32 v104, 7, v1
	v_lshrrev_b32_e32 v1, 3, v4
	s_mov_b32 s21, exec_lo
	v_cmpx_gt_u32_e32 8, v4
; %bb.293:                              ;   in Loop: Header=BB198_9 Depth=1
	v_ffbh_u32_e32 v1, v104
	v_min_u32_e32 v1, 32, v1
	v_subrev_nc_u32_e32 v4, 28, v1
	v_sub_nc_u32_e32 v1, 29, v1
	v_lshlrev_b64 v[4:5], v4, v[104:105]
	v_and_b32_e32 v104, 7, v4
; %bb.294:                              ;   in Loop: Header=BB198_9 Depth=1
	s_or_b32 exec_lo, exec_lo, s21
	v_lshlrev_b32_e32 v0, 16, v0
	v_lshlrev_b32_e32 v4, 20, v104
	v_lshl_add_u32 v1, v1, 23, 0x3c000000
	v_and_b32_e32 v0, 0x80000000, v0
	v_or3_b32 v1, v4, v0, v1
	v_mov_b32_e32 v0, v105
	buffer_store_dword v0, off, s[0:3], s32 offset:484 ; 4-byte Folded Spill
	buffer_store_dword v1, off, s[0:3], s32 offset:488 ; 4-byte Folded Spill
.LBB198_295:                            ;   in Loop: Header=BB198_9 Depth=1
	s_or_b32 exec_lo, exec_lo, s20
.LBB198_296:                            ;   in Loop: Header=BB198_9 Depth=1
	s_or_b32 exec_lo, exec_lo, s19
.LBB198_297:                            ;   in Loop: Header=BB198_9 Depth=1
	s_or_b32 exec_lo, exec_lo, s17
	flat_load_ushort v1, v[102:103] offset:1032
	v_mov_b32_e32 v4, 0
	v_mov_b32_e32 v5, 0
	buffer_store_dword v4, off, s[0:3], s32 offset:500 ; 4-byte Folded Spill
	buffer_store_dword v5, off, s[0:3], s32 offset:504 ; 4-byte Folded Spill
	v_mov_b32_e32 v4, 0
	v_mov_b32_e32 v5, 0
	buffer_store_dword v4, off, s[0:3], s32 offset:492 ; 4-byte Folded Spill
	buffer_store_dword v5, off, s[0:3], s32 offset:496 ; 4-byte Folded Spill
	s_waitcnt vmcnt(0) lgkmcnt(0)
	v_and_b32_e32 v0, 0xffff, v1
	v_cmp_ne_u16_sdwa s6, v1, v105 src0_sel:BYTE_0 src1_sel:DWORD
	s_and_saveexec_b32 s17, s6
	s_cbranch_execz .LBB198_305
; %bb.298:                              ;   in Loop: Header=BB198_9 Depth=1
	v_bfrev_b32_e32 v4, 1
	v_mov_b32_e32 v5, 0
	v_cmp_ne_u16_sdwa s6, v0, v9 src0_sel:BYTE_0 src1_sel:DWORD
	buffer_store_dword v4, off, s[0:3], s32 offset:492 ; 4-byte Folded Spill
	buffer_store_dword v5, off, s[0:3], s32 offset:496 ; 4-byte Folded Spill
	s_and_saveexec_b32 s19, s6
	s_cbranch_execz .LBB198_304
; %bb.299:                              ;   in Loop: Header=BB198_9 Depth=1
	v_mov_b32_e32 v5, 0x7f800001
	v_and_b32_e32 v4, 0x7f, v0
	v_mov_b32_e32 v6, 0
	s_mov_b32 s20, exec_lo
	buffer_store_dword v5, off, s[0:3], s32 offset:492 ; 4-byte Folded Spill
	buffer_store_dword v6, off, s[0:3], s32 offset:496 ; 4-byte Folded Spill
	v_cmpx_ne_u32_e32 0x7f, v4
	s_cbranch_execz .LBB198_303
; %bb.300:                              ;   in Loop: Header=BB198_9 Depth=1
	v_and_b32_e32 v104, 7, v0
	v_lshrrev_b32_e32 v1, 3, v4
	s_mov_b32 s21, exec_lo
	v_cmpx_gt_u32_e32 8, v4
; %bb.301:                              ;   in Loop: Header=BB198_9 Depth=1
	v_ffbh_u32_e32 v1, v104
	v_min_u32_e32 v1, 32, v1
	v_subrev_nc_u32_e32 v4, 28, v1
	v_sub_nc_u32_e32 v1, 29, v1
	v_lshlrev_b64 v[4:5], v4, v[104:105]
	v_and_b32_e32 v104, 7, v4
; %bb.302:                              ;   in Loop: Header=BB198_9 Depth=1
	s_or_b32 exec_lo, exec_lo, s21
	v_lshlrev_b32_e32 v4, 24, v0
	v_lshlrev_b32_e32 v5, 20, v104
	v_lshl_add_u32 v1, v1, 23, 0x3c000000
	v_and_b32_e32 v4, 0x80000000, v4
	v_or3_b32 v104, v5, v4, v1
	buffer_store_dword v104, off, s[0:3], s32 offset:492 ; 4-byte Folded Spill
	buffer_store_dword v105, off, s[0:3], s32 offset:496 ; 4-byte Folded Spill
.LBB198_303:                            ;   in Loop: Header=BB198_9 Depth=1
	s_or_b32 exec_lo, exec_lo, s20
.LBB198_304:                            ;   in Loop: Header=BB198_9 Depth=1
	s_or_b32 exec_lo, exec_lo, s19
.LBB198_305:                            ;   in Loop: Header=BB198_9 Depth=1
	s_or_b32 exec_lo, exec_lo, s17
	v_cmp_ne_u16_sdwa s6, v0, v105 src0_sel:BYTE_1 src1_sel:DWORD
	s_and_saveexec_b32 s17, s6
	s_cbranch_execz .LBB198_313
; %bb.306:                              ;   in Loop: Header=BB198_9 Depth=1
	v_mov_b32_e32 v100, v105
	v_cmp_ne_u16_sdwa s6, v0, v9 src0_sel:BYTE_1 src1_sel:DWORD
	buffer_store_dword v100, off, s[0:3], s32 offset:500 ; 4-byte Folded Spill
	buffer_store_dword v101, off, s[0:3], s32 offset:504 ; 4-byte Folded Spill
	s_and_saveexec_b32 s19, s6
	s_cbranch_execz .LBB198_312
; %bb.307:                              ;   in Loop: Header=BB198_9 Depth=1
	v_mov_b32_e32 v1, 0xffff
	v_mov_b32_e32 v96, v105
	s_mov_b32 s20, exec_lo
	buffer_store_dword v96, off, s[0:3], s32 offset:500 ; 4-byte Folded Spill
	buffer_store_dword v97, off, s[0:3], s32 offset:504 ; 4-byte Folded Spill
	v_and_b32_sdwa v1, v1, v0 dst_sel:DWORD dst_unused:UNUSED_PAD src0_sel:DWORD src1_sel:BYTE_1
	v_and_b32_e32 v4, 0x7f, v1
	v_cmpx_ne_u32_e32 0x7f, v4
	s_cbranch_execz .LBB198_311
; %bb.308:                              ;   in Loop: Header=BB198_9 Depth=1
	v_and_b32_e32 v104, 7, v1
	v_lshrrev_b32_e32 v1, 3, v4
	s_mov_b32 s21, exec_lo
	v_cmpx_gt_u32_e32 8, v4
; %bb.309:                              ;   in Loop: Header=BB198_9 Depth=1
	v_ffbh_u32_e32 v1, v104
	v_min_u32_e32 v1, 32, v1
	v_subrev_nc_u32_e32 v4, 28, v1
	v_sub_nc_u32_e32 v1, 29, v1
	v_lshlrev_b64 v[4:5], v4, v[104:105]
	v_and_b32_e32 v104, 7, v4
; %bb.310:                              ;   in Loop: Header=BB198_9 Depth=1
	s_or_b32 exec_lo, exec_lo, s21
	v_lshlrev_b32_e32 v0, 16, v0
	v_lshlrev_b32_e32 v4, 20, v104
	v_lshl_add_u32 v1, v1, 23, 0x3c000000
	v_and_b32_e32 v0, 0x80000000, v0
	v_or3_b32 v1, v4, v0, v1
	v_mov_b32_e32 v0, v105
	buffer_store_dword v0, off, s[0:3], s32 offset:500 ; 4-byte Folded Spill
	buffer_store_dword v1, off, s[0:3], s32 offset:504 ; 4-byte Folded Spill
.LBB198_311:                            ;   in Loop: Header=BB198_9 Depth=1
	s_or_b32 exec_lo, exec_lo, s20
.LBB198_312:                            ;   in Loop: Header=BB198_9 Depth=1
	s_or_b32 exec_lo, exec_lo, s19
.LBB198_313:                            ;   in Loop: Header=BB198_9 Depth=1
	s_or_b32 exec_lo, exec_lo, s17
	flat_load_ushort v1, v[102:103] offset:1036
	v_mov_b32_e32 v118, 0
	v_mov_b32_e32 v4, 0
	;; [unrolled: 1-line block ×4, first 2 shown]
	buffer_store_dword v4, off, s[0:3], s32 offset:508 ; 4-byte Folded Spill
	buffer_store_dword v5, off, s[0:3], s32 offset:512 ; 4-byte Folded Spill
	s_waitcnt vmcnt(0) lgkmcnt(0)
	v_and_b32_e32 v0, 0xffff, v1
	v_cmp_ne_u16_sdwa s6, v1, v105 src0_sel:BYTE_0 src1_sel:DWORD
	s_and_saveexec_b32 s17, s6
	s_cbranch_execz .LBB198_321
; %bb.314:                              ;   in Loop: Header=BB198_9 Depth=1
	v_bfrev_b32_e32 v4, 1
	v_mov_b32_e32 v5, 0
	v_cmp_ne_u16_sdwa s6, v0, v9 src0_sel:BYTE_0 src1_sel:DWORD
	buffer_store_dword v4, off, s[0:3], s32 offset:508 ; 4-byte Folded Spill
	buffer_store_dword v5, off, s[0:3], s32 offset:512 ; 4-byte Folded Spill
	s_and_saveexec_b32 s19, s6
	s_cbranch_execz .LBB198_320
; %bb.315:                              ;   in Loop: Header=BB198_9 Depth=1
	v_mov_b32_e32 v5, 0x7f800001
	v_and_b32_e32 v4, 0x7f, v0
	v_mov_b32_e32 v6, 0
	s_mov_b32 s20, exec_lo
	buffer_store_dword v5, off, s[0:3], s32 offset:508 ; 4-byte Folded Spill
	buffer_store_dword v6, off, s[0:3], s32 offset:512 ; 4-byte Folded Spill
	v_cmpx_ne_u32_e32 0x7f, v4
	s_cbranch_execz .LBB198_319
; %bb.316:                              ;   in Loop: Header=BB198_9 Depth=1
	v_and_b32_e32 v104, 7, v0
	v_lshrrev_b32_e32 v1, 3, v4
	s_mov_b32 s21, exec_lo
	v_cmpx_gt_u32_e32 8, v4
; %bb.317:                              ;   in Loop: Header=BB198_9 Depth=1
	v_ffbh_u32_e32 v1, v104
	v_min_u32_e32 v1, 32, v1
	v_subrev_nc_u32_e32 v4, 28, v1
	v_sub_nc_u32_e32 v1, 29, v1
	v_lshlrev_b64 v[4:5], v4, v[104:105]
	v_and_b32_e32 v104, 7, v4
; %bb.318:                              ;   in Loop: Header=BB198_9 Depth=1
	s_or_b32 exec_lo, exec_lo, s21
	v_lshlrev_b32_e32 v4, 24, v0
	v_lshlrev_b32_e32 v5, 20, v104
	v_lshl_add_u32 v1, v1, 23, 0x3c000000
	v_and_b32_e32 v4, 0x80000000, v4
	v_or3_b32 v104, v5, v4, v1
	buffer_store_dword v104, off, s[0:3], s32 offset:508 ; 4-byte Folded Spill
	buffer_store_dword v105, off, s[0:3], s32 offset:512 ; 4-byte Folded Spill
.LBB198_319:                            ;   in Loop: Header=BB198_9 Depth=1
	s_or_b32 exec_lo, exec_lo, s20
.LBB198_320:                            ;   in Loop: Header=BB198_9 Depth=1
	s_or_b32 exec_lo, exec_lo, s19
.LBB198_321:                            ;   in Loop: Header=BB198_9 Depth=1
	s_or_b32 exec_lo, exec_lo, s17
	v_cmp_ne_u16_sdwa s6, v0, v105 src0_sel:BYTE_1 src1_sel:DWORD
	s_and_saveexec_b32 s17, s6
	s_cbranch_execz .LBB198_329
; %bb.322:                              ;   in Loop: Header=BB198_9 Depth=1
	v_mov_b32_e32 v100, v105
	v_mov_b32_e32 v119, v101
	v_cmp_ne_u16_sdwa s6, v0, v9 src0_sel:BYTE_1 src1_sel:DWORD
	v_mov_b32_e32 v118, v100
	s_and_saveexec_b32 s19, s6
	s_cbranch_execz .LBB198_328
; %bb.323:                              ;   in Loop: Header=BB198_9 Depth=1
	v_mov_b32_e32 v1, 0xffff
	v_mov_b32_e32 v96, v105
	;; [unrolled: 1-line block ×3, first 2 shown]
	s_mov_b32 s20, exec_lo
	v_and_b32_sdwa v1, v1, v0 dst_sel:DWORD dst_unused:UNUSED_PAD src0_sel:DWORD src1_sel:BYTE_1
	v_mov_b32_e32 v118, v96
	v_and_b32_e32 v4, 0x7f, v1
	v_cmpx_ne_u32_e32 0x7f, v4
	s_cbranch_execz .LBB198_327
; %bb.324:                              ;   in Loop: Header=BB198_9 Depth=1
	v_and_b32_e32 v104, 7, v1
	v_lshrrev_b32_e32 v1, 3, v4
	s_mov_b32 s21, exec_lo
	v_cmpx_gt_u32_e32 8, v4
; %bb.325:                              ;   in Loop: Header=BB198_9 Depth=1
	v_ffbh_u32_e32 v1, v104
	v_min_u32_e32 v1, 32, v1
	v_subrev_nc_u32_e32 v4, 28, v1
	v_sub_nc_u32_e32 v1, 29, v1
	v_lshlrev_b64 v[4:5], v4, v[104:105]
	v_and_b32_e32 v104, 7, v4
; %bb.326:                              ;   in Loop: Header=BB198_9 Depth=1
	s_or_b32 exec_lo, exec_lo, s21
	v_lshlrev_b32_e32 v0, 16, v0
	v_lshlrev_b32_e32 v4, 20, v104
	v_lshl_add_u32 v1, v1, 23, 0x3c000000
	v_mov_b32_e32 v118, v105
	v_and_b32_e32 v0, 0x80000000, v0
	v_or3_b32 v119, v4, v0, v1
.LBB198_327:                            ;   in Loop: Header=BB198_9 Depth=1
	s_or_b32 exec_lo, exec_lo, s20
.LBB198_328:                            ;   in Loop: Header=BB198_9 Depth=1
	s_or_b32 exec_lo, exec_lo, s19
.LBB198_329:                            ;   in Loop: Header=BB198_9 Depth=1
	s_or_b32 exec_lo, exec_lo, s17
	flat_load_ushort v1, v[102:103] offset:1280
	v_mov_b32_e32 v42, 0
	v_mov_b32_e32 v4, 0
	;; [unrolled: 1-line block ×4, first 2 shown]
	buffer_store_dword v4, off, s[0:3], s32 offset:516 ; 4-byte Folded Spill
	buffer_store_dword v5, off, s[0:3], s32 offset:520 ; 4-byte Folded Spill
	s_waitcnt vmcnt(0) lgkmcnt(0)
	v_and_b32_e32 v0, 0xffff, v1
	v_cmp_ne_u16_sdwa s6, v1, v105 src0_sel:BYTE_0 src1_sel:DWORD
	s_and_saveexec_b32 s17, s6
	s_cbranch_execz .LBB198_337
; %bb.330:                              ;   in Loop: Header=BB198_9 Depth=1
	v_bfrev_b32_e32 v4, 1
	v_mov_b32_e32 v5, 0
	v_cmp_ne_u16_sdwa s6, v0, v9 src0_sel:BYTE_0 src1_sel:DWORD
	buffer_store_dword v4, off, s[0:3], s32 offset:516 ; 4-byte Folded Spill
	buffer_store_dword v5, off, s[0:3], s32 offset:520 ; 4-byte Folded Spill
	s_and_saveexec_b32 s19, s6
	s_cbranch_execz .LBB198_336
; %bb.331:                              ;   in Loop: Header=BB198_9 Depth=1
	v_mov_b32_e32 v5, 0x7f800001
	v_and_b32_e32 v4, 0x7f, v0
	v_mov_b32_e32 v6, 0
	s_mov_b32 s20, exec_lo
	buffer_store_dword v5, off, s[0:3], s32 offset:516 ; 4-byte Folded Spill
	buffer_store_dword v6, off, s[0:3], s32 offset:520 ; 4-byte Folded Spill
	v_cmpx_ne_u32_e32 0x7f, v4
	s_cbranch_execz .LBB198_335
; %bb.332:                              ;   in Loop: Header=BB198_9 Depth=1
	v_and_b32_e32 v104, 7, v0
	v_lshrrev_b32_e32 v1, 3, v4
	s_mov_b32 s21, exec_lo
	v_cmpx_gt_u32_e32 8, v4
; %bb.333:                              ;   in Loop: Header=BB198_9 Depth=1
	v_ffbh_u32_e32 v1, v104
	v_min_u32_e32 v1, 32, v1
	v_subrev_nc_u32_e32 v4, 28, v1
	v_sub_nc_u32_e32 v1, 29, v1
	v_lshlrev_b64 v[4:5], v4, v[104:105]
	v_and_b32_e32 v104, 7, v4
; %bb.334:                              ;   in Loop: Header=BB198_9 Depth=1
	s_or_b32 exec_lo, exec_lo, s21
	v_lshlrev_b32_e32 v4, 24, v0
	v_lshlrev_b32_e32 v5, 20, v104
	v_lshl_add_u32 v1, v1, 23, 0x3c000000
	v_and_b32_e32 v4, 0x80000000, v4
	v_or3_b32 v104, v5, v4, v1
	buffer_store_dword v104, off, s[0:3], s32 offset:516 ; 4-byte Folded Spill
	buffer_store_dword v105, off, s[0:3], s32 offset:520 ; 4-byte Folded Spill
.LBB198_335:                            ;   in Loop: Header=BB198_9 Depth=1
	s_or_b32 exec_lo, exec_lo, s20
.LBB198_336:                            ;   in Loop: Header=BB198_9 Depth=1
	s_or_b32 exec_lo, exec_lo, s19
.LBB198_337:                            ;   in Loop: Header=BB198_9 Depth=1
	s_or_b32 exec_lo, exec_lo, s17
	v_cmp_ne_u16_sdwa s6, v0, v105 src0_sel:BYTE_1 src1_sel:DWORD
	s_and_saveexec_b32 s17, s6
	s_cbranch_execz .LBB198_345
; %bb.338:                              ;   in Loop: Header=BB198_9 Depth=1
	v_mov_b32_e32 v100, v105
	v_cmp_ne_u16_sdwa s6, v0, v9 src0_sel:BYTE_1 src1_sel:DWORD
	v_mov_b32_e32 v42, v100
	v_mov_b32_e32 v43, v101
	s_and_saveexec_b32 s19, s6
	s_cbranch_execz .LBB198_344
; %bb.339:                              ;   in Loop: Header=BB198_9 Depth=1
	v_mov_b32_e32 v1, 0xffff
	v_mov_b32_e32 v96, v105
	s_mov_b32 s20, exec_lo
	v_and_b32_sdwa v1, v1, v0 dst_sel:DWORD dst_unused:UNUSED_PAD src0_sel:DWORD src1_sel:BYTE_1
	v_mov_b32_e32 v42, v96
	v_mov_b32_e32 v43, v97
	v_and_b32_e32 v4, 0x7f, v1
	v_cmpx_ne_u32_e32 0x7f, v4
	s_cbranch_execz .LBB198_343
; %bb.340:                              ;   in Loop: Header=BB198_9 Depth=1
	v_and_b32_e32 v104, 7, v1
	v_lshrrev_b32_e32 v1, 3, v4
	s_mov_b32 s21, exec_lo
	v_cmpx_gt_u32_e32 8, v4
; %bb.341:                              ;   in Loop: Header=BB198_9 Depth=1
	v_ffbh_u32_e32 v1, v104
	v_min_u32_e32 v1, 32, v1
	v_subrev_nc_u32_e32 v4, 28, v1
	v_sub_nc_u32_e32 v1, 29, v1
	v_lshlrev_b64 v[4:5], v4, v[104:105]
	v_and_b32_e32 v104, 7, v4
; %bb.342:                              ;   in Loop: Header=BB198_9 Depth=1
	s_or_b32 exec_lo, exec_lo, s21
	v_lshlrev_b32_e32 v0, 16, v0
	v_lshlrev_b32_e32 v4, 20, v104
	v_lshl_add_u32 v1, v1, 23, 0x3c000000
	v_mov_b32_e32 v42, v105
	v_and_b32_e32 v0, 0x80000000, v0
	v_or3_b32 v43, v4, v0, v1
.LBB198_343:                            ;   in Loop: Header=BB198_9 Depth=1
	s_or_b32 exec_lo, exec_lo, s20
.LBB198_344:                            ;   in Loop: Header=BB198_9 Depth=1
	s_or_b32 exec_lo, exec_lo, s19
.LBB198_345:                            ;   in Loop: Header=BB198_9 Depth=1
	s_or_b32 exec_lo, exec_lo, s17
	flat_load_ushort v1, v[102:103] offset:1284
	v_mov_b32_e32 v46, 0
	v_mov_b32_e32 v44, 0
	;; [unrolled: 1-line block ×4, first 2 shown]
	s_waitcnt vmcnt(0) lgkmcnt(0)
	v_and_b32_e32 v0, 0xffff, v1
	v_cmp_ne_u16_sdwa s6, v1, v105 src0_sel:BYTE_0 src1_sel:DWORD
	s_and_saveexec_b32 s17, s6
	s_cbranch_execz .LBB198_353
; %bb.346:                              ;   in Loop: Header=BB198_9 Depth=1
	v_bfrev_b32_e32 v44, 1
	v_mov_b32_e32 v45, 0
	v_cmp_ne_u16_sdwa s6, v0, v9 src0_sel:BYTE_0 src1_sel:DWORD
	s_and_saveexec_b32 s19, s6
	s_cbranch_execz .LBB198_352
; %bb.347:                              ;   in Loop: Header=BB198_9 Depth=1
	v_mov_b32_e32 v44, 0x7f800001
	v_and_b32_e32 v4, 0x7f, v0
	v_mov_b32_e32 v45, 0
	s_mov_b32 s20, exec_lo
	v_cmpx_ne_u32_e32 0x7f, v4
	s_cbranch_execz .LBB198_351
; %bb.348:                              ;   in Loop: Header=BB198_9 Depth=1
	v_and_b32_e32 v104, 7, v0
	v_lshrrev_b32_e32 v1, 3, v4
	s_mov_b32 s21, exec_lo
	v_cmpx_gt_u32_e32 8, v4
; %bb.349:                              ;   in Loop: Header=BB198_9 Depth=1
	v_ffbh_u32_e32 v1, v104
	v_min_u32_e32 v1, 32, v1
	v_subrev_nc_u32_e32 v4, 28, v1
	v_sub_nc_u32_e32 v1, 29, v1
	v_lshlrev_b64 v[4:5], v4, v[104:105]
	v_and_b32_e32 v104, 7, v4
; %bb.350:                              ;   in Loop: Header=BB198_9 Depth=1
	s_or_b32 exec_lo, exec_lo, s21
	v_lshlrev_b32_e32 v4, 24, v0
	v_lshlrev_b32_e32 v5, 20, v104
	v_lshl_add_u32 v1, v1, 23, 0x3c000000
	v_and_b32_e32 v4, 0x80000000, v4
	v_or3_b32 v104, v5, v4, v1
	v_mov_b32_e32 v44, v104
	v_mov_b32_e32 v45, v105
.LBB198_351:                            ;   in Loop: Header=BB198_9 Depth=1
	s_or_b32 exec_lo, exec_lo, s20
.LBB198_352:                            ;   in Loop: Header=BB198_9 Depth=1
	s_or_b32 exec_lo, exec_lo, s19
.LBB198_353:                            ;   in Loop: Header=BB198_9 Depth=1
	s_or_b32 exec_lo, exec_lo, s17
	v_cmp_ne_u16_sdwa s6, v0, v105 src0_sel:BYTE_1 src1_sel:DWORD
	s_and_saveexec_b32 s17, s6
	s_cbranch_execz .LBB198_361
; %bb.354:                              ;   in Loop: Header=BB198_9 Depth=1
	v_mov_b32_e32 v100, v105
	v_cmp_ne_u16_sdwa s6, v0, v9 src0_sel:BYTE_1 src1_sel:DWORD
	v_mov_b32_e32 v46, v100
	v_mov_b32_e32 v47, v101
	s_and_saveexec_b32 s19, s6
	s_cbranch_execz .LBB198_360
; %bb.355:                              ;   in Loop: Header=BB198_9 Depth=1
	v_mov_b32_e32 v1, 0xffff
	v_mov_b32_e32 v96, v105
	s_mov_b32 s20, exec_lo
	v_and_b32_sdwa v1, v1, v0 dst_sel:DWORD dst_unused:UNUSED_PAD src0_sel:DWORD src1_sel:BYTE_1
	v_mov_b32_e32 v46, v96
	v_mov_b32_e32 v47, v97
	v_and_b32_e32 v4, 0x7f, v1
	v_cmpx_ne_u32_e32 0x7f, v4
	s_cbranch_execz .LBB198_359
; %bb.356:                              ;   in Loop: Header=BB198_9 Depth=1
	v_and_b32_e32 v104, 7, v1
	v_lshrrev_b32_e32 v1, 3, v4
	s_mov_b32 s21, exec_lo
	v_cmpx_gt_u32_e32 8, v4
; %bb.357:                              ;   in Loop: Header=BB198_9 Depth=1
	v_ffbh_u32_e32 v1, v104
	v_min_u32_e32 v1, 32, v1
	v_subrev_nc_u32_e32 v4, 28, v1
	v_sub_nc_u32_e32 v1, 29, v1
	v_lshlrev_b64 v[4:5], v4, v[104:105]
	v_and_b32_e32 v104, 7, v4
; %bb.358:                              ;   in Loop: Header=BB198_9 Depth=1
	s_or_b32 exec_lo, exec_lo, s21
	v_lshlrev_b32_e32 v0, 16, v0
	v_lshlrev_b32_e32 v4, 20, v104
	v_lshl_add_u32 v1, v1, 23, 0x3c000000
	v_mov_b32_e32 v46, v105
	v_and_b32_e32 v0, 0x80000000, v0
	v_or3_b32 v47, v4, v0, v1
.LBB198_359:                            ;   in Loop: Header=BB198_9 Depth=1
	s_or_b32 exec_lo, exec_lo, s20
.LBB198_360:                            ;   in Loop: Header=BB198_9 Depth=1
	s_or_b32 exec_lo, exec_lo, s19
.LBB198_361:                            ;   in Loop: Header=BB198_9 Depth=1
	s_or_b32 exec_lo, exec_lo, s17
	flat_load_ushort v1, v[102:103] offset:1288
	v_mov_b32_e32 v58, 0
	v_mov_b32_e32 v56, 0
	;; [unrolled: 1-line block ×4, first 2 shown]
	s_waitcnt vmcnt(0) lgkmcnt(0)
	v_and_b32_e32 v0, 0xffff, v1
	v_cmp_ne_u16_sdwa s6, v1, v105 src0_sel:BYTE_0 src1_sel:DWORD
	s_and_saveexec_b32 s17, s6
	s_cbranch_execz .LBB198_369
; %bb.362:                              ;   in Loop: Header=BB198_9 Depth=1
	v_bfrev_b32_e32 v56, 1
	v_mov_b32_e32 v57, 0
	v_cmp_ne_u16_sdwa s6, v0, v9 src0_sel:BYTE_0 src1_sel:DWORD
	s_and_saveexec_b32 s19, s6
	s_cbranch_execz .LBB198_368
; %bb.363:                              ;   in Loop: Header=BB198_9 Depth=1
	v_mov_b32_e32 v56, 0x7f800001
	v_and_b32_e32 v4, 0x7f, v0
	v_mov_b32_e32 v57, 0
	s_mov_b32 s20, exec_lo
	v_cmpx_ne_u32_e32 0x7f, v4
	s_cbranch_execz .LBB198_367
; %bb.364:                              ;   in Loop: Header=BB198_9 Depth=1
	v_and_b32_e32 v104, 7, v0
	v_lshrrev_b32_e32 v1, 3, v4
	s_mov_b32 s21, exec_lo
	v_cmpx_gt_u32_e32 8, v4
; %bb.365:                              ;   in Loop: Header=BB198_9 Depth=1
	v_ffbh_u32_e32 v1, v104
	v_min_u32_e32 v1, 32, v1
	v_subrev_nc_u32_e32 v4, 28, v1
	v_sub_nc_u32_e32 v1, 29, v1
	v_lshlrev_b64 v[4:5], v4, v[104:105]
	v_and_b32_e32 v104, 7, v4
; %bb.366:                              ;   in Loop: Header=BB198_9 Depth=1
	s_or_b32 exec_lo, exec_lo, s21
	v_lshlrev_b32_e32 v4, 24, v0
	v_lshlrev_b32_e32 v5, 20, v104
	v_lshl_add_u32 v1, v1, 23, 0x3c000000
	v_and_b32_e32 v4, 0x80000000, v4
	v_or3_b32 v104, v5, v4, v1
	v_mov_b32_e32 v56, v104
	v_mov_b32_e32 v57, v105
.LBB198_367:                            ;   in Loop: Header=BB198_9 Depth=1
	s_or_b32 exec_lo, exec_lo, s20
.LBB198_368:                            ;   in Loop: Header=BB198_9 Depth=1
	s_or_b32 exec_lo, exec_lo, s19
.LBB198_369:                            ;   in Loop: Header=BB198_9 Depth=1
	s_or_b32 exec_lo, exec_lo, s17
	v_cmp_ne_u16_sdwa s6, v0, v105 src0_sel:BYTE_1 src1_sel:DWORD
	s_and_saveexec_b32 s17, s6
	s_cbranch_execz .LBB198_377
; %bb.370:                              ;   in Loop: Header=BB198_9 Depth=1
	v_mov_b32_e32 v100, v105
	v_cmp_ne_u16_sdwa s6, v0, v9 src0_sel:BYTE_1 src1_sel:DWORD
	v_mov_b32_e32 v58, v100
	v_mov_b32_e32 v59, v101
	s_and_saveexec_b32 s19, s6
	s_cbranch_execz .LBB198_376
; %bb.371:                              ;   in Loop: Header=BB198_9 Depth=1
	v_mov_b32_e32 v1, 0xffff
	v_mov_b32_e32 v96, v105
	s_mov_b32 s20, exec_lo
	v_and_b32_sdwa v1, v1, v0 dst_sel:DWORD dst_unused:UNUSED_PAD src0_sel:DWORD src1_sel:BYTE_1
	v_mov_b32_e32 v58, v96
	v_mov_b32_e32 v59, v97
	v_and_b32_e32 v4, 0x7f, v1
	v_cmpx_ne_u32_e32 0x7f, v4
	s_cbranch_execz .LBB198_375
; %bb.372:                              ;   in Loop: Header=BB198_9 Depth=1
	v_and_b32_e32 v104, 7, v1
	v_lshrrev_b32_e32 v1, 3, v4
	s_mov_b32 s21, exec_lo
	v_cmpx_gt_u32_e32 8, v4
; %bb.373:                              ;   in Loop: Header=BB198_9 Depth=1
	v_ffbh_u32_e32 v1, v104
	v_min_u32_e32 v1, 32, v1
	v_subrev_nc_u32_e32 v4, 28, v1
	v_sub_nc_u32_e32 v1, 29, v1
	v_lshlrev_b64 v[4:5], v4, v[104:105]
	v_and_b32_e32 v104, 7, v4
; %bb.374:                              ;   in Loop: Header=BB198_9 Depth=1
	s_or_b32 exec_lo, exec_lo, s21
	v_lshlrev_b32_e32 v0, 16, v0
	v_lshlrev_b32_e32 v4, 20, v104
	v_lshl_add_u32 v1, v1, 23, 0x3c000000
	v_mov_b32_e32 v58, v105
	v_and_b32_e32 v0, 0x80000000, v0
	v_or3_b32 v59, v4, v0, v1
.LBB198_375:                            ;   in Loop: Header=BB198_9 Depth=1
	s_or_b32 exec_lo, exec_lo, s20
.LBB198_376:                            ;   in Loop: Header=BB198_9 Depth=1
	s_or_b32 exec_lo, exec_lo, s19
.LBB198_377:                            ;   in Loop: Header=BB198_9 Depth=1
	s_or_b32 exec_lo, exec_lo, s17
	flat_load_ushort v1, v[102:103] offset:1292
	v_mov_b32_e32 v62, 0
	v_mov_b32_e32 v60, 0
	;; [unrolled: 1-line block ×4, first 2 shown]
	s_waitcnt vmcnt(0) lgkmcnt(0)
	v_and_b32_e32 v0, 0xffff, v1
	v_cmp_ne_u16_sdwa s6, v1, v105 src0_sel:BYTE_0 src1_sel:DWORD
	s_and_saveexec_b32 s17, s6
	s_cbranch_execz .LBB198_385
; %bb.378:                              ;   in Loop: Header=BB198_9 Depth=1
	v_bfrev_b32_e32 v60, 1
	v_mov_b32_e32 v61, 0
	v_cmp_ne_u16_sdwa s6, v0, v9 src0_sel:BYTE_0 src1_sel:DWORD
	s_and_saveexec_b32 s19, s6
	s_cbranch_execz .LBB198_384
; %bb.379:                              ;   in Loop: Header=BB198_9 Depth=1
	v_mov_b32_e32 v60, 0x7f800001
	v_and_b32_e32 v4, 0x7f, v0
	v_mov_b32_e32 v61, 0
	s_mov_b32 s20, exec_lo
	v_cmpx_ne_u32_e32 0x7f, v4
	s_cbranch_execz .LBB198_383
; %bb.380:                              ;   in Loop: Header=BB198_9 Depth=1
	v_and_b32_e32 v104, 7, v0
	v_lshrrev_b32_e32 v1, 3, v4
	s_mov_b32 s21, exec_lo
	v_cmpx_gt_u32_e32 8, v4
; %bb.381:                              ;   in Loop: Header=BB198_9 Depth=1
	v_ffbh_u32_e32 v1, v104
	v_min_u32_e32 v1, 32, v1
	v_subrev_nc_u32_e32 v4, 28, v1
	v_sub_nc_u32_e32 v1, 29, v1
	v_lshlrev_b64 v[4:5], v4, v[104:105]
	v_and_b32_e32 v104, 7, v4
; %bb.382:                              ;   in Loop: Header=BB198_9 Depth=1
	s_or_b32 exec_lo, exec_lo, s21
	v_lshlrev_b32_e32 v4, 24, v0
	v_lshlrev_b32_e32 v5, 20, v104
	v_lshl_add_u32 v1, v1, 23, 0x3c000000
	v_and_b32_e32 v4, 0x80000000, v4
	v_or3_b32 v104, v5, v4, v1
	v_mov_b32_e32 v60, v104
	v_mov_b32_e32 v61, v105
.LBB198_383:                            ;   in Loop: Header=BB198_9 Depth=1
	s_or_b32 exec_lo, exec_lo, s20
.LBB198_384:                            ;   in Loop: Header=BB198_9 Depth=1
	s_or_b32 exec_lo, exec_lo, s19
.LBB198_385:                            ;   in Loop: Header=BB198_9 Depth=1
	s_or_b32 exec_lo, exec_lo, s17
	v_cmp_ne_u16_sdwa s6, v0, v105 src0_sel:BYTE_1 src1_sel:DWORD
	s_and_saveexec_b32 s17, s6
	s_cbranch_execz .LBB198_393
; %bb.386:                              ;   in Loop: Header=BB198_9 Depth=1
	v_mov_b32_e32 v100, v105
	v_cmp_ne_u16_sdwa s6, v0, v9 src0_sel:BYTE_1 src1_sel:DWORD
	v_mov_b32_e32 v62, v100
	v_mov_b32_e32 v63, v101
	s_and_saveexec_b32 s19, s6
	s_cbranch_execz .LBB198_392
; %bb.387:                              ;   in Loop: Header=BB198_9 Depth=1
	v_mov_b32_e32 v1, 0xffff
	v_mov_b32_e32 v96, v105
	s_mov_b32 s20, exec_lo
	v_and_b32_sdwa v1, v1, v0 dst_sel:DWORD dst_unused:UNUSED_PAD src0_sel:DWORD src1_sel:BYTE_1
	v_mov_b32_e32 v62, v96
	v_mov_b32_e32 v63, v97
	v_and_b32_e32 v4, 0x7f, v1
	v_cmpx_ne_u32_e32 0x7f, v4
	s_cbranch_execz .LBB198_391
; %bb.388:                              ;   in Loop: Header=BB198_9 Depth=1
	v_and_b32_e32 v104, 7, v1
	v_lshrrev_b32_e32 v1, 3, v4
	s_mov_b32 s21, exec_lo
	v_cmpx_gt_u32_e32 8, v4
; %bb.389:                              ;   in Loop: Header=BB198_9 Depth=1
	v_ffbh_u32_e32 v1, v104
	v_min_u32_e32 v1, 32, v1
	v_subrev_nc_u32_e32 v4, 28, v1
	v_sub_nc_u32_e32 v1, 29, v1
	v_lshlrev_b64 v[4:5], v4, v[104:105]
	v_and_b32_e32 v104, 7, v4
; %bb.390:                              ;   in Loop: Header=BB198_9 Depth=1
	s_or_b32 exec_lo, exec_lo, s21
	v_lshlrev_b32_e32 v0, 16, v0
	v_lshlrev_b32_e32 v4, 20, v104
	v_lshl_add_u32 v1, v1, 23, 0x3c000000
	v_mov_b32_e32 v62, v105
	v_and_b32_e32 v0, 0x80000000, v0
	v_or3_b32 v63, v4, v0, v1
.LBB198_391:                            ;   in Loop: Header=BB198_9 Depth=1
	s_or_b32 exec_lo, exec_lo, s20
.LBB198_392:                            ;   in Loop: Header=BB198_9 Depth=1
	s_or_b32 exec_lo, exec_lo, s19
.LBB198_393:                            ;   in Loop: Header=BB198_9 Depth=1
	s_or_b32 exec_lo, exec_lo, s17
	flat_load_ushort v1, v[102:103] offset:1536
	v_mov_b32_e32 v74, 0
	v_mov_b32_e32 v72, 0
	;; [unrolled: 1-line block ×4, first 2 shown]
	s_waitcnt vmcnt(0) lgkmcnt(0)
	v_and_b32_e32 v0, 0xffff, v1
	v_cmp_ne_u16_sdwa s6, v1, v105 src0_sel:BYTE_0 src1_sel:DWORD
	s_and_saveexec_b32 s17, s6
	s_cbranch_execz .LBB198_401
; %bb.394:                              ;   in Loop: Header=BB198_9 Depth=1
	v_bfrev_b32_e32 v72, 1
	v_mov_b32_e32 v73, 0
	v_cmp_ne_u16_sdwa s6, v0, v9 src0_sel:BYTE_0 src1_sel:DWORD
	s_and_saveexec_b32 s19, s6
	s_cbranch_execz .LBB198_400
; %bb.395:                              ;   in Loop: Header=BB198_9 Depth=1
	v_mov_b32_e32 v72, 0x7f800001
	v_and_b32_e32 v4, 0x7f, v0
	v_mov_b32_e32 v73, 0
	s_mov_b32 s20, exec_lo
	v_cmpx_ne_u32_e32 0x7f, v4
	s_cbranch_execz .LBB198_399
; %bb.396:                              ;   in Loop: Header=BB198_9 Depth=1
	v_and_b32_e32 v104, 7, v0
	v_lshrrev_b32_e32 v1, 3, v4
	s_mov_b32 s21, exec_lo
	v_cmpx_gt_u32_e32 8, v4
; %bb.397:                              ;   in Loop: Header=BB198_9 Depth=1
	v_ffbh_u32_e32 v1, v104
	v_min_u32_e32 v1, 32, v1
	v_subrev_nc_u32_e32 v4, 28, v1
	v_sub_nc_u32_e32 v1, 29, v1
	v_lshlrev_b64 v[4:5], v4, v[104:105]
	v_and_b32_e32 v104, 7, v4
; %bb.398:                              ;   in Loop: Header=BB198_9 Depth=1
	s_or_b32 exec_lo, exec_lo, s21
	v_lshlrev_b32_e32 v4, 24, v0
	v_lshlrev_b32_e32 v5, 20, v104
	v_lshl_add_u32 v1, v1, 23, 0x3c000000
	v_and_b32_e32 v4, 0x80000000, v4
	v_or3_b32 v104, v5, v4, v1
	v_mov_b32_e32 v72, v104
	v_mov_b32_e32 v73, v105
.LBB198_399:                            ;   in Loop: Header=BB198_9 Depth=1
	s_or_b32 exec_lo, exec_lo, s20
.LBB198_400:                            ;   in Loop: Header=BB198_9 Depth=1
	s_or_b32 exec_lo, exec_lo, s19
.LBB198_401:                            ;   in Loop: Header=BB198_9 Depth=1
	s_or_b32 exec_lo, exec_lo, s17
	v_cmp_ne_u16_sdwa s6, v0, v105 src0_sel:BYTE_1 src1_sel:DWORD
	s_and_saveexec_b32 s17, s6
	s_cbranch_execz .LBB198_409
; %bb.402:                              ;   in Loop: Header=BB198_9 Depth=1
	v_mov_b32_e32 v100, v105
	v_cmp_ne_u16_sdwa s6, v0, v9 src0_sel:BYTE_1 src1_sel:DWORD
	v_mov_b32_e32 v74, v100
	v_mov_b32_e32 v75, v101
	s_and_saveexec_b32 s19, s6
	s_cbranch_execz .LBB198_408
; %bb.403:                              ;   in Loop: Header=BB198_9 Depth=1
	v_mov_b32_e32 v1, 0xffff
	v_mov_b32_e32 v96, v105
	s_mov_b32 s20, exec_lo
	v_and_b32_sdwa v1, v1, v0 dst_sel:DWORD dst_unused:UNUSED_PAD src0_sel:DWORD src1_sel:BYTE_1
	v_mov_b32_e32 v74, v96
	v_mov_b32_e32 v75, v97
	v_and_b32_e32 v4, 0x7f, v1
	v_cmpx_ne_u32_e32 0x7f, v4
	s_cbranch_execz .LBB198_407
; %bb.404:                              ;   in Loop: Header=BB198_9 Depth=1
	v_and_b32_e32 v104, 7, v1
	v_lshrrev_b32_e32 v1, 3, v4
	s_mov_b32 s21, exec_lo
	v_cmpx_gt_u32_e32 8, v4
; %bb.405:                              ;   in Loop: Header=BB198_9 Depth=1
	v_ffbh_u32_e32 v1, v104
	v_min_u32_e32 v1, 32, v1
	v_subrev_nc_u32_e32 v4, 28, v1
	v_sub_nc_u32_e32 v1, 29, v1
	v_lshlrev_b64 v[4:5], v4, v[104:105]
	v_and_b32_e32 v104, 7, v4
; %bb.406:                              ;   in Loop: Header=BB198_9 Depth=1
	s_or_b32 exec_lo, exec_lo, s21
	v_lshlrev_b32_e32 v0, 16, v0
	v_lshlrev_b32_e32 v4, 20, v104
	v_lshl_add_u32 v1, v1, 23, 0x3c000000
	v_mov_b32_e32 v74, v105
	v_and_b32_e32 v0, 0x80000000, v0
	v_or3_b32 v75, v4, v0, v1
.LBB198_407:                            ;   in Loop: Header=BB198_9 Depth=1
	s_or_b32 exec_lo, exec_lo, s20
.LBB198_408:                            ;   in Loop: Header=BB198_9 Depth=1
	s_or_b32 exec_lo, exec_lo, s19
.LBB198_409:                            ;   in Loop: Header=BB198_9 Depth=1
	s_or_b32 exec_lo, exec_lo, s17
	flat_load_ushort v1, v[102:103] offset:1540
	v_mov_b32_e32 v78, 0
	v_mov_b32_e32 v76, 0
	;; [unrolled: 1-line block ×4, first 2 shown]
	s_waitcnt vmcnt(0) lgkmcnt(0)
	v_and_b32_e32 v0, 0xffff, v1
	v_cmp_ne_u16_sdwa s6, v1, v105 src0_sel:BYTE_0 src1_sel:DWORD
	s_and_saveexec_b32 s17, s6
	s_cbranch_execz .LBB198_417
; %bb.410:                              ;   in Loop: Header=BB198_9 Depth=1
	v_bfrev_b32_e32 v76, 1
	v_mov_b32_e32 v77, 0
	v_cmp_ne_u16_sdwa s6, v0, v9 src0_sel:BYTE_0 src1_sel:DWORD
	s_and_saveexec_b32 s19, s6
	s_cbranch_execz .LBB198_416
; %bb.411:                              ;   in Loop: Header=BB198_9 Depth=1
	v_mov_b32_e32 v76, 0x7f800001
	v_and_b32_e32 v4, 0x7f, v0
	v_mov_b32_e32 v77, 0
	s_mov_b32 s20, exec_lo
	v_cmpx_ne_u32_e32 0x7f, v4
	s_cbranch_execz .LBB198_415
; %bb.412:                              ;   in Loop: Header=BB198_9 Depth=1
	v_and_b32_e32 v104, 7, v0
	v_lshrrev_b32_e32 v1, 3, v4
	s_mov_b32 s21, exec_lo
	v_cmpx_gt_u32_e32 8, v4
; %bb.413:                              ;   in Loop: Header=BB198_9 Depth=1
	v_ffbh_u32_e32 v1, v104
	v_min_u32_e32 v1, 32, v1
	v_subrev_nc_u32_e32 v4, 28, v1
	v_sub_nc_u32_e32 v1, 29, v1
	v_lshlrev_b64 v[4:5], v4, v[104:105]
	v_and_b32_e32 v104, 7, v4
; %bb.414:                              ;   in Loop: Header=BB198_9 Depth=1
	s_or_b32 exec_lo, exec_lo, s21
	v_lshlrev_b32_e32 v4, 24, v0
	v_lshlrev_b32_e32 v5, 20, v104
	v_lshl_add_u32 v1, v1, 23, 0x3c000000
	v_and_b32_e32 v4, 0x80000000, v4
	v_or3_b32 v104, v5, v4, v1
	v_mov_b32_e32 v76, v104
	v_mov_b32_e32 v77, v105
.LBB198_415:                            ;   in Loop: Header=BB198_9 Depth=1
	s_or_b32 exec_lo, exec_lo, s20
.LBB198_416:                            ;   in Loop: Header=BB198_9 Depth=1
	s_or_b32 exec_lo, exec_lo, s19
.LBB198_417:                            ;   in Loop: Header=BB198_9 Depth=1
	s_or_b32 exec_lo, exec_lo, s17
	v_cmp_ne_u16_sdwa s6, v0, v105 src0_sel:BYTE_1 src1_sel:DWORD
	s_and_saveexec_b32 s17, s6
	s_cbranch_execz .LBB198_425
; %bb.418:                              ;   in Loop: Header=BB198_9 Depth=1
	v_mov_b32_e32 v100, v105
	v_cmp_ne_u16_sdwa s6, v0, v9 src0_sel:BYTE_1 src1_sel:DWORD
	v_mov_b32_e32 v78, v100
	v_mov_b32_e32 v79, v101
	s_and_saveexec_b32 s19, s6
	s_cbranch_execz .LBB198_424
; %bb.419:                              ;   in Loop: Header=BB198_9 Depth=1
	v_mov_b32_e32 v1, 0xffff
	v_mov_b32_e32 v96, v105
	s_mov_b32 s20, exec_lo
	v_and_b32_sdwa v1, v1, v0 dst_sel:DWORD dst_unused:UNUSED_PAD src0_sel:DWORD src1_sel:BYTE_1
	v_mov_b32_e32 v78, v96
	v_mov_b32_e32 v79, v97
	v_and_b32_e32 v4, 0x7f, v1
	v_cmpx_ne_u32_e32 0x7f, v4
	s_cbranch_execz .LBB198_423
; %bb.420:                              ;   in Loop: Header=BB198_9 Depth=1
	v_and_b32_e32 v104, 7, v1
	v_lshrrev_b32_e32 v1, 3, v4
	s_mov_b32 s21, exec_lo
	v_cmpx_gt_u32_e32 8, v4
; %bb.421:                              ;   in Loop: Header=BB198_9 Depth=1
	v_ffbh_u32_e32 v1, v104
	v_min_u32_e32 v1, 32, v1
	v_subrev_nc_u32_e32 v4, 28, v1
	v_sub_nc_u32_e32 v1, 29, v1
	v_lshlrev_b64 v[4:5], v4, v[104:105]
	v_and_b32_e32 v104, 7, v4
; %bb.422:                              ;   in Loop: Header=BB198_9 Depth=1
	s_or_b32 exec_lo, exec_lo, s21
	v_lshlrev_b32_e32 v0, 16, v0
	v_lshlrev_b32_e32 v4, 20, v104
	v_lshl_add_u32 v1, v1, 23, 0x3c000000
	v_mov_b32_e32 v78, v105
	v_and_b32_e32 v0, 0x80000000, v0
	v_or3_b32 v79, v4, v0, v1
.LBB198_423:                            ;   in Loop: Header=BB198_9 Depth=1
	s_or_b32 exec_lo, exec_lo, s20
.LBB198_424:                            ;   in Loop: Header=BB198_9 Depth=1
	s_or_b32 exec_lo, exec_lo, s19
.LBB198_425:                            ;   in Loop: Header=BB198_9 Depth=1
	s_or_b32 exec_lo, exec_lo, s17
	flat_load_ushort v1, v[102:103] offset:1544
	v_mov_b32_e32 v90, 0
	v_mov_b32_e32 v40, 0
	;; [unrolled: 1-line block ×4, first 2 shown]
	s_waitcnt vmcnt(0) lgkmcnt(0)
	v_and_b32_e32 v0, 0xffff, v1
	v_cmp_ne_u16_sdwa s6, v1, v105 src0_sel:BYTE_0 src1_sel:DWORD
	s_and_saveexec_b32 s17, s6
	s_cbranch_execz .LBB198_433
; %bb.426:                              ;   in Loop: Header=BB198_9 Depth=1
	v_bfrev_b32_e32 v40, 1
	v_mov_b32_e32 v41, 0
	v_cmp_ne_u16_sdwa s6, v0, v9 src0_sel:BYTE_0 src1_sel:DWORD
	s_and_saveexec_b32 s19, s6
	s_cbranch_execz .LBB198_432
; %bb.427:                              ;   in Loop: Header=BB198_9 Depth=1
	v_mov_b32_e32 v40, 0x7f800001
	v_and_b32_e32 v4, 0x7f, v0
	v_mov_b32_e32 v41, 0
	s_mov_b32 s20, exec_lo
	v_cmpx_ne_u32_e32 0x7f, v4
	s_cbranch_execz .LBB198_431
; %bb.428:                              ;   in Loop: Header=BB198_9 Depth=1
	v_and_b32_e32 v104, 7, v0
	v_lshrrev_b32_e32 v1, 3, v4
	s_mov_b32 s21, exec_lo
	v_cmpx_gt_u32_e32 8, v4
; %bb.429:                              ;   in Loop: Header=BB198_9 Depth=1
	v_ffbh_u32_e32 v1, v104
	v_min_u32_e32 v1, 32, v1
	v_subrev_nc_u32_e32 v4, 28, v1
	v_sub_nc_u32_e32 v1, 29, v1
	v_lshlrev_b64 v[4:5], v4, v[104:105]
	v_and_b32_e32 v104, 7, v4
; %bb.430:                              ;   in Loop: Header=BB198_9 Depth=1
	s_or_b32 exec_lo, exec_lo, s21
	v_lshlrev_b32_e32 v4, 24, v0
	v_lshlrev_b32_e32 v5, 20, v104
	v_lshl_add_u32 v1, v1, 23, 0x3c000000
	v_and_b32_e32 v4, 0x80000000, v4
	v_or3_b32 v104, v5, v4, v1
	v_mov_b32_e32 v40, v104
	v_mov_b32_e32 v41, v105
.LBB198_431:                            ;   in Loop: Header=BB198_9 Depth=1
	s_or_b32 exec_lo, exec_lo, s20
.LBB198_432:                            ;   in Loop: Header=BB198_9 Depth=1
	s_or_b32 exec_lo, exec_lo, s19
.LBB198_433:                            ;   in Loop: Header=BB198_9 Depth=1
	s_or_b32 exec_lo, exec_lo, s17
	v_cmp_ne_u16_sdwa s6, v0, v105 src0_sel:BYTE_1 src1_sel:DWORD
	s_and_saveexec_b32 s17, s6
	s_cbranch_execz .LBB198_441
; %bb.434:                              ;   in Loop: Header=BB198_9 Depth=1
	v_mov_b32_e32 v100, v105
	v_cmp_ne_u16_sdwa s6, v0, v9 src0_sel:BYTE_1 src1_sel:DWORD
	v_mov_b32_e32 v90, v100
	v_mov_b32_e32 v91, v101
	s_and_saveexec_b32 s19, s6
	s_cbranch_execz .LBB198_440
; %bb.435:                              ;   in Loop: Header=BB198_9 Depth=1
	v_mov_b32_e32 v1, 0xffff
	v_mov_b32_e32 v96, v105
	s_mov_b32 s20, exec_lo
	v_and_b32_sdwa v1, v1, v0 dst_sel:DWORD dst_unused:UNUSED_PAD src0_sel:DWORD src1_sel:BYTE_1
	v_mov_b32_e32 v90, v96
	v_mov_b32_e32 v91, v97
	v_and_b32_e32 v4, 0x7f, v1
	v_cmpx_ne_u32_e32 0x7f, v4
	s_cbranch_execz .LBB198_439
; %bb.436:                              ;   in Loop: Header=BB198_9 Depth=1
	v_and_b32_e32 v104, 7, v1
	v_lshrrev_b32_e32 v1, 3, v4
	s_mov_b32 s21, exec_lo
	v_cmpx_gt_u32_e32 8, v4
; %bb.437:                              ;   in Loop: Header=BB198_9 Depth=1
	v_ffbh_u32_e32 v1, v104
	v_min_u32_e32 v1, 32, v1
	v_subrev_nc_u32_e32 v4, 28, v1
	v_sub_nc_u32_e32 v1, 29, v1
	v_lshlrev_b64 v[4:5], v4, v[104:105]
	v_and_b32_e32 v104, 7, v4
; %bb.438:                              ;   in Loop: Header=BB198_9 Depth=1
	s_or_b32 exec_lo, exec_lo, s21
	v_lshlrev_b32_e32 v0, 16, v0
	v_lshlrev_b32_e32 v4, 20, v104
	v_lshl_add_u32 v1, v1, 23, 0x3c000000
	v_mov_b32_e32 v90, v105
	v_and_b32_e32 v0, 0x80000000, v0
	v_or3_b32 v91, v4, v0, v1
.LBB198_439:                            ;   in Loop: Header=BB198_9 Depth=1
	s_or_b32 exec_lo, exec_lo, s20
.LBB198_440:                            ;   in Loop: Header=BB198_9 Depth=1
	s_or_b32 exec_lo, exec_lo, s19
.LBB198_441:                            ;   in Loop: Header=BB198_9 Depth=1
	s_or_b32 exec_lo, exec_lo, s17
	flat_load_ushort v1, v[102:103] offset:1548
	v_mov_b32_e32 v94, 0
	v_mov_b32_e32 v92, 0
	;; [unrolled: 1-line block ×4, first 2 shown]
	s_waitcnt vmcnt(0) lgkmcnt(0)
	v_and_b32_e32 v0, 0xffff, v1
	v_cmp_ne_u16_sdwa s6, v1, v105 src0_sel:BYTE_0 src1_sel:DWORD
	s_and_saveexec_b32 s17, s6
	s_cbranch_execz .LBB198_449
; %bb.442:                              ;   in Loop: Header=BB198_9 Depth=1
	v_bfrev_b32_e32 v92, 1
	v_mov_b32_e32 v93, 0
	v_cmp_ne_u16_sdwa s6, v0, v9 src0_sel:BYTE_0 src1_sel:DWORD
	s_and_saveexec_b32 s19, s6
	s_cbranch_execz .LBB198_448
; %bb.443:                              ;   in Loop: Header=BB198_9 Depth=1
	v_mov_b32_e32 v92, 0x7f800001
	v_and_b32_e32 v4, 0x7f, v0
	v_mov_b32_e32 v93, 0
	s_mov_b32 s20, exec_lo
	v_cmpx_ne_u32_e32 0x7f, v4
	s_cbranch_execz .LBB198_447
; %bb.444:                              ;   in Loop: Header=BB198_9 Depth=1
	v_and_b32_e32 v104, 7, v0
	v_lshrrev_b32_e32 v1, 3, v4
	s_mov_b32 s21, exec_lo
	v_cmpx_gt_u32_e32 8, v4
; %bb.445:                              ;   in Loop: Header=BB198_9 Depth=1
	v_ffbh_u32_e32 v1, v104
	v_min_u32_e32 v1, 32, v1
	v_subrev_nc_u32_e32 v4, 28, v1
	v_sub_nc_u32_e32 v1, 29, v1
	v_lshlrev_b64 v[4:5], v4, v[104:105]
	v_and_b32_e32 v104, 7, v4
; %bb.446:                              ;   in Loop: Header=BB198_9 Depth=1
	s_or_b32 exec_lo, exec_lo, s21
	v_lshlrev_b32_e32 v4, 24, v0
	v_lshlrev_b32_e32 v5, 20, v104
	v_lshl_add_u32 v1, v1, 23, 0x3c000000
	v_and_b32_e32 v4, 0x80000000, v4
	v_or3_b32 v104, v5, v4, v1
	v_mov_b32_e32 v92, v104
	v_mov_b32_e32 v93, v105
.LBB198_447:                            ;   in Loop: Header=BB198_9 Depth=1
	s_or_b32 exec_lo, exec_lo, s20
.LBB198_448:                            ;   in Loop: Header=BB198_9 Depth=1
	s_or_b32 exec_lo, exec_lo, s19
.LBB198_449:                            ;   in Loop: Header=BB198_9 Depth=1
	s_or_b32 exec_lo, exec_lo, s17
	v_cmp_ne_u16_sdwa s6, v0, v105 src0_sel:BYTE_1 src1_sel:DWORD
	s_and_saveexec_b32 s17, s6
	s_cbranch_execz .LBB198_457
; %bb.450:                              ;   in Loop: Header=BB198_9 Depth=1
	v_mov_b32_e32 v100, v105
	v_cmp_ne_u16_sdwa s6, v0, v9 src0_sel:BYTE_1 src1_sel:DWORD
	v_mov_b32_e32 v94, v100
	v_mov_b32_e32 v95, v101
	s_and_saveexec_b32 s19, s6
	s_cbranch_execz .LBB198_456
; %bb.451:                              ;   in Loop: Header=BB198_9 Depth=1
	v_mov_b32_e32 v1, 0xffff
	v_mov_b32_e32 v96, v105
	s_mov_b32 s20, exec_lo
	v_and_b32_sdwa v1, v1, v0 dst_sel:DWORD dst_unused:UNUSED_PAD src0_sel:DWORD src1_sel:BYTE_1
	v_mov_b32_e32 v94, v96
	v_mov_b32_e32 v95, v97
	v_and_b32_e32 v4, 0x7f, v1
	v_cmpx_ne_u32_e32 0x7f, v4
	s_cbranch_execz .LBB198_455
; %bb.452:                              ;   in Loop: Header=BB198_9 Depth=1
	v_and_b32_e32 v104, 7, v1
	v_lshrrev_b32_e32 v1, 3, v4
	s_mov_b32 s21, exec_lo
	v_cmpx_gt_u32_e32 8, v4
; %bb.453:                              ;   in Loop: Header=BB198_9 Depth=1
	v_ffbh_u32_e32 v1, v104
	v_min_u32_e32 v1, 32, v1
	v_subrev_nc_u32_e32 v4, 28, v1
	v_sub_nc_u32_e32 v1, 29, v1
	v_lshlrev_b64 v[4:5], v4, v[104:105]
	v_and_b32_e32 v104, 7, v4
; %bb.454:                              ;   in Loop: Header=BB198_9 Depth=1
	s_or_b32 exec_lo, exec_lo, s21
	v_lshlrev_b32_e32 v0, 16, v0
	v_lshlrev_b32_e32 v4, 20, v104
	v_lshl_add_u32 v1, v1, 23, 0x3c000000
	v_mov_b32_e32 v94, v105
	v_and_b32_e32 v0, 0x80000000, v0
	v_or3_b32 v95, v4, v0, v1
.LBB198_455:                            ;   in Loop: Header=BB198_9 Depth=1
	s_or_b32 exec_lo, exec_lo, s20
.LBB198_456:                            ;   in Loop: Header=BB198_9 Depth=1
	s_or_b32 exec_lo, exec_lo, s19
.LBB198_457:                            ;   in Loop: Header=BB198_9 Depth=1
	s_or_b32 exec_lo, exec_lo, s17
	flat_load_ushort v1, v[102:103] offset:1792
	v_mov_b32_e32 v20, 0
	v_mov_b32_e32 v122, 0
	;; [unrolled: 1-line block ×4, first 2 shown]
	s_waitcnt vmcnt(0) lgkmcnt(0)
	v_and_b32_e32 v0, 0xffff, v1
	v_cmp_ne_u16_sdwa s6, v1, v105 src0_sel:BYTE_0 src1_sel:DWORD
	s_and_saveexec_b32 s17, s6
	s_cbranch_execz .LBB198_465
; %bb.458:                              ;   in Loop: Header=BB198_9 Depth=1
	v_bfrev_b32_e32 v122, 1
	v_mov_b32_e32 v123, 0
	v_cmp_ne_u16_sdwa s6, v0, v9 src0_sel:BYTE_0 src1_sel:DWORD
	s_and_saveexec_b32 s19, s6
	s_cbranch_execz .LBB198_464
; %bb.459:                              ;   in Loop: Header=BB198_9 Depth=1
	v_mov_b32_e32 v122, 0x7f800001
	v_and_b32_e32 v4, 0x7f, v0
	v_mov_b32_e32 v123, 0
	s_mov_b32 s20, exec_lo
	v_cmpx_ne_u32_e32 0x7f, v4
	s_cbranch_execz .LBB198_463
; %bb.460:                              ;   in Loop: Header=BB198_9 Depth=1
	v_and_b32_e32 v104, 7, v0
	v_lshrrev_b32_e32 v1, 3, v4
	s_mov_b32 s21, exec_lo
	v_cmpx_gt_u32_e32 8, v4
; %bb.461:                              ;   in Loop: Header=BB198_9 Depth=1
	v_ffbh_u32_e32 v1, v104
	v_min_u32_e32 v1, 32, v1
	v_subrev_nc_u32_e32 v4, 28, v1
	v_sub_nc_u32_e32 v1, 29, v1
	v_lshlrev_b64 v[4:5], v4, v[104:105]
	v_and_b32_e32 v104, 7, v4
; %bb.462:                              ;   in Loop: Header=BB198_9 Depth=1
	s_or_b32 exec_lo, exec_lo, s21
	v_lshlrev_b32_e32 v4, 24, v0
	v_lshlrev_b32_e32 v5, 20, v104
	v_lshl_add_u32 v1, v1, 23, 0x3c000000
	v_and_b32_e32 v4, 0x80000000, v4
	v_or3_b32 v104, v5, v4, v1
	v_mov_b32_e32 v123, v105
	v_mov_b32_e32 v122, v104
.LBB198_463:                            ;   in Loop: Header=BB198_9 Depth=1
	s_or_b32 exec_lo, exec_lo, s20
.LBB198_464:                            ;   in Loop: Header=BB198_9 Depth=1
	s_or_b32 exec_lo, exec_lo, s19
.LBB198_465:                            ;   in Loop: Header=BB198_9 Depth=1
	s_or_b32 exec_lo, exec_lo, s17
	v_cmp_ne_u16_sdwa s6, v0, v105 src0_sel:BYTE_1 src1_sel:DWORD
	s_and_saveexec_b32 s17, s6
	s_cbranch_execz .LBB198_473
; %bb.466:                              ;   in Loop: Header=BB198_9 Depth=1
	v_mov_b32_e32 v100, v105
	v_cmp_ne_u16_sdwa s6, v0, v9 src0_sel:BYTE_1 src1_sel:DWORD
	v_mov_b32_e32 v20, v100
	v_mov_b32_e32 v21, v101
	s_and_saveexec_b32 s19, s6
	s_cbranch_execz .LBB198_472
; %bb.467:                              ;   in Loop: Header=BB198_9 Depth=1
	v_mov_b32_e32 v1, 0xffff
	v_mov_b32_e32 v96, v105
	s_mov_b32 s20, exec_lo
	v_and_b32_sdwa v1, v1, v0 dst_sel:DWORD dst_unused:UNUSED_PAD src0_sel:DWORD src1_sel:BYTE_1
	v_mov_b32_e32 v20, v96
	v_mov_b32_e32 v21, v97
	v_and_b32_e32 v4, 0x7f, v1
	v_cmpx_ne_u32_e32 0x7f, v4
	s_cbranch_execz .LBB198_471
; %bb.468:                              ;   in Loop: Header=BB198_9 Depth=1
	v_and_b32_e32 v104, 7, v1
	v_lshrrev_b32_e32 v1, 3, v4
	s_mov_b32 s21, exec_lo
	v_cmpx_gt_u32_e32 8, v4
; %bb.469:                              ;   in Loop: Header=BB198_9 Depth=1
	v_ffbh_u32_e32 v1, v104
	v_min_u32_e32 v1, 32, v1
	v_subrev_nc_u32_e32 v4, 28, v1
	v_sub_nc_u32_e32 v1, 29, v1
	v_lshlrev_b64 v[4:5], v4, v[104:105]
	v_and_b32_e32 v104, 7, v4
; %bb.470:                              ;   in Loop: Header=BB198_9 Depth=1
	s_or_b32 exec_lo, exec_lo, s21
	v_lshlrev_b32_e32 v0, 16, v0
	v_lshlrev_b32_e32 v4, 20, v104
	v_lshl_add_u32 v1, v1, 23, 0x3c000000
	v_mov_b32_e32 v20, v105
	v_and_b32_e32 v0, 0x80000000, v0
	v_or3_b32 v21, v4, v0, v1
.LBB198_471:                            ;   in Loop: Header=BB198_9 Depth=1
	s_or_b32 exec_lo, exec_lo, s20
.LBB198_472:                            ;   in Loop: Header=BB198_9 Depth=1
	s_or_b32 exec_lo, exec_lo, s19
.LBB198_473:                            ;   in Loop: Header=BB198_9 Depth=1
	s_or_b32 exec_lo, exec_lo, s17
	flat_load_ushort v0, v[102:103] offset:1796
	v_mov_b32_e32 v126, 0
	v_mov_b32_e32 v127, 0
	s_waitcnt vmcnt(0) lgkmcnt(0)
	v_and_b32_e32 v4, 0xffff, v0
	v_cmp_ne_u16_sdwa s6, v0, v105 src0_sel:BYTE_0 src1_sel:DWORD
	v_mov_b32_e32 v0, 0
	v_mov_b32_e32 v1, 0
	s_and_saveexec_b32 s17, s6
	s_cbranch_execz .LBB198_481
; %bb.474:                              ;   in Loop: Header=BB198_9 Depth=1
	v_bfrev_b32_e32 v126, 1
	v_mov_b32_e32 v127, 0
	v_cmp_ne_u16_sdwa s6, v4, v9 src0_sel:BYTE_0 src1_sel:DWORD
	s_and_saveexec_b32 s19, s6
	s_cbranch_execz .LBB198_480
; %bb.475:                              ;   in Loop: Header=BB198_9 Depth=1
	v_mov_b32_e32 v126, 0x7f800001
	v_and_b32_e32 v6, 0x7f, v4
	v_mov_b32_e32 v127, 0
	s_mov_b32 s20, exec_lo
	v_cmpx_ne_u32_e32 0x7f, v6
	s_cbranch_execz .LBB198_479
; %bb.476:                              ;   in Loop: Header=BB198_9 Depth=1
	v_and_b32_e32 v104, 7, v4
	v_lshrrev_b32_e32 v5, 3, v6
	s_mov_b32 s21, exec_lo
	v_cmpx_gt_u32_e32 8, v6
; %bb.477:                              ;   in Loop: Header=BB198_9 Depth=1
	v_ffbh_u32_e32 v5, v104
	v_min_u32_e32 v5, 32, v5
	v_subrev_nc_u32_e32 v6, 28, v5
	v_sub_nc_u32_e32 v5, 29, v5
	v_lshlrev_b64 v[6:7], v6, v[104:105]
	v_and_b32_e32 v104, 7, v6
; %bb.478:                              ;   in Loop: Header=BB198_9 Depth=1
	s_or_b32 exec_lo, exec_lo, s21
	v_lshlrev_b32_e32 v6, 24, v4
	v_lshlrev_b32_e32 v7, 20, v104
	v_lshl_add_u32 v5, v5, 23, 0x3c000000
	v_and_b32_e32 v6, 0x80000000, v6
	v_or3_b32 v104, v7, v6, v5
	v_mov_b32_e32 v127, v105
	v_mov_b32_e32 v126, v104
.LBB198_479:                            ;   in Loop: Header=BB198_9 Depth=1
	s_or_b32 exec_lo, exec_lo, s20
.LBB198_480:                            ;   in Loop: Header=BB198_9 Depth=1
	s_or_b32 exec_lo, exec_lo, s19
.LBB198_481:                            ;   in Loop: Header=BB198_9 Depth=1
	s_or_b32 exec_lo, exec_lo, s17
	v_cmp_ne_u16_sdwa s6, v4, v105 src0_sel:BYTE_1 src1_sel:DWORD
	s_and_saveexec_b32 s17, s6
	s_cbranch_execz .LBB198_489
; %bb.482:                              ;   in Loop: Header=BB198_9 Depth=1
	v_mov_b32_e32 v100, v105
	v_cmp_ne_u16_sdwa s6, v4, v9 src0_sel:BYTE_1 src1_sel:DWORD
	v_mov_b32_e32 v0, v100
	v_mov_b32_e32 v1, v101
	s_and_saveexec_b32 s19, s6
	s_cbranch_execz .LBB198_488
; %bb.483:                              ;   in Loop: Header=BB198_9 Depth=1
	v_mov_b32_e32 v0, 0xffff
	v_mov_b32_e32 v96, v105
	s_mov_b32 s20, exec_lo
	v_and_b32_sdwa v6, v0, v4 dst_sel:DWORD dst_unused:UNUSED_PAD src0_sel:DWORD src1_sel:BYTE_1
	v_mov_b32_e32 v0, v96
	v_mov_b32_e32 v1, v97
	v_and_b32_e32 v5, 0x7f, v6
	v_cmpx_ne_u32_e32 0x7f, v5
	s_cbranch_execz .LBB198_487
; %bb.484:                              ;   in Loop: Header=BB198_9 Depth=1
	v_and_b32_e32 v104, 7, v6
	v_lshrrev_b32_e32 v0, 3, v5
	s_mov_b32 s21, exec_lo
	v_cmpx_gt_u32_e32 8, v5
; %bb.485:                              ;   in Loop: Header=BB198_9 Depth=1
	v_ffbh_u32_e32 v0, v104
	v_min_u32_e32 v0, 32, v0
	v_subrev_nc_u32_e32 v1, 28, v0
	v_sub_nc_u32_e32 v0, 29, v0
	v_lshlrev_b64 v[5:6], v1, v[104:105]
	v_and_b32_e32 v104, 7, v5
; %bb.486:                              ;   in Loop: Header=BB198_9 Depth=1
	s_or_b32 exec_lo, exec_lo, s21
	v_lshlrev_b32_e32 v1, 16, v4
	v_lshlrev_b32_e32 v4, 20, v104
	v_lshl_add_u32 v0, v0, 23, 0x3c000000
	v_and_b32_e32 v1, 0x80000000, v1
	v_or3_b32 v1, v4, v1, v0
	v_mov_b32_e32 v0, v105
.LBB198_487:                            ;   in Loop: Header=BB198_9 Depth=1
	s_or_b32 exec_lo, exec_lo, s20
.LBB198_488:                            ;   in Loop: Header=BB198_9 Depth=1
	s_or_b32 exec_lo, exec_lo, s19
.LBB198_489:                            ;   in Loop: Header=BB198_9 Depth=1
	s_or_b32 exec_lo, exec_lo, s17
	flat_load_ushort v5, v[102:103] offset:1800
	v_mov_b32_e32 v106, 0
	v_mov_b32_e32 v124, 0
	;; [unrolled: 1-line block ×4, first 2 shown]
	s_waitcnt vmcnt(0) lgkmcnt(0)
	v_and_b32_e32 v4, 0xffff, v5
	v_cmp_ne_u16_sdwa s6, v5, v105 src0_sel:BYTE_0 src1_sel:DWORD
	s_and_saveexec_b32 s17, s6
	s_cbranch_execz .LBB198_497
; %bb.490:                              ;   in Loop: Header=BB198_9 Depth=1
	v_bfrev_b32_e32 v124, 1
	v_mov_b32_e32 v125, 0
	v_cmp_ne_u16_sdwa s6, v4, v9 src0_sel:BYTE_0 src1_sel:DWORD
	s_and_saveexec_b32 s19, s6
	s_cbranch_execz .LBB198_496
; %bb.491:                              ;   in Loop: Header=BB198_9 Depth=1
	v_mov_b32_e32 v124, 0x7f800001
	v_and_b32_e32 v6, 0x7f, v4
	v_mov_b32_e32 v125, 0
	s_mov_b32 s20, exec_lo
	v_cmpx_ne_u32_e32 0x7f, v6
	s_cbranch_execz .LBB198_495
; %bb.492:                              ;   in Loop: Header=BB198_9 Depth=1
	v_and_b32_e32 v104, 7, v4
	v_lshrrev_b32_e32 v5, 3, v6
	s_mov_b32 s21, exec_lo
	v_cmpx_gt_u32_e32 8, v6
; %bb.493:                              ;   in Loop: Header=BB198_9 Depth=1
	v_ffbh_u32_e32 v5, v104
	v_min_u32_e32 v5, 32, v5
	v_subrev_nc_u32_e32 v6, 28, v5
	v_sub_nc_u32_e32 v5, 29, v5
	v_lshlrev_b64 v[6:7], v6, v[104:105]
	v_and_b32_e32 v104, 7, v6
; %bb.494:                              ;   in Loop: Header=BB198_9 Depth=1
	s_or_b32 exec_lo, exec_lo, s21
	v_lshlrev_b32_e32 v6, 24, v4
	v_lshlrev_b32_e32 v7, 20, v104
	v_lshl_add_u32 v5, v5, 23, 0x3c000000
	v_and_b32_e32 v6, 0x80000000, v6
	v_or3_b32 v104, v7, v6, v5
	v_mov_b32_e32 v125, v105
	v_mov_b32_e32 v124, v104
.LBB198_495:                            ;   in Loop: Header=BB198_9 Depth=1
	s_or_b32 exec_lo, exec_lo, s20
.LBB198_496:                            ;   in Loop: Header=BB198_9 Depth=1
	s_or_b32 exec_lo, exec_lo, s19
.LBB198_497:                            ;   in Loop: Header=BB198_9 Depth=1
	s_or_b32 exec_lo, exec_lo, s17
	v_cmp_ne_u16_sdwa s6, v4, v105 src0_sel:BYTE_1 src1_sel:DWORD
	s_and_saveexec_b32 s17, s6
	s_cbranch_execz .LBB198_505
; %bb.498:                              ;   in Loop: Header=BB198_9 Depth=1
	v_mov_b32_e32 v100, v105
	v_mov_b32_e32 v107, v101
	v_cmp_ne_u16_sdwa s6, v4, v9 src0_sel:BYTE_1 src1_sel:DWORD
	v_mov_b32_e32 v106, v100
	s_and_saveexec_b32 s19, s6
	s_cbranch_execz .LBB198_504
; %bb.499:                              ;   in Loop: Header=BB198_9 Depth=1
	v_mov_b32_e32 v5, 0xffff
	v_mov_b32_e32 v96, v105
	;; [unrolled: 1-line block ×3, first 2 shown]
	s_mov_b32 s20, exec_lo
	v_and_b32_sdwa v5, v5, v4 dst_sel:DWORD dst_unused:UNUSED_PAD src0_sel:DWORD src1_sel:BYTE_1
	v_mov_b32_e32 v106, v96
	v_and_b32_e32 v6, 0x7f, v5
	v_cmpx_ne_u32_e32 0x7f, v6
	s_cbranch_execz .LBB198_503
; %bb.500:                              ;   in Loop: Header=BB198_9 Depth=1
	v_and_b32_e32 v104, 7, v5
	v_lshrrev_b32_e32 v5, 3, v6
	s_mov_b32 s21, exec_lo
	v_cmpx_gt_u32_e32 8, v6
; %bb.501:                              ;   in Loop: Header=BB198_9 Depth=1
	v_ffbh_u32_e32 v5, v104
	v_min_u32_e32 v5, 32, v5
	v_subrev_nc_u32_e32 v6, 28, v5
	v_sub_nc_u32_e32 v5, 29, v5
	v_lshlrev_b64 v[6:7], v6, v[104:105]
	v_and_b32_e32 v104, 7, v6
; %bb.502:                              ;   in Loop: Header=BB198_9 Depth=1
	s_or_b32 exec_lo, exec_lo, s21
	v_lshlrev_b32_e32 v4, 16, v4
	v_lshlrev_b32_e32 v6, 20, v104
	v_lshl_add_u32 v5, v5, 23, 0x3c000000
	v_mov_b32_e32 v106, v105
	v_and_b32_e32 v4, 0x80000000, v4
	v_or3_b32 v107, v6, v4, v5
.LBB198_503:                            ;   in Loop: Header=BB198_9 Depth=1
	s_or_b32 exec_lo, exec_lo, s20
.LBB198_504:                            ;   in Loop: Header=BB198_9 Depth=1
	s_or_b32 exec_lo, exec_lo, s19
.LBB198_505:                            ;   in Loop: Header=BB198_9 Depth=1
	s_or_b32 exec_lo, exec_lo, s17
	flat_load_ushort v5, v[102:103] offset:1804
	v_mov_b32_e32 v16, 0
	v_mov_b32_e32 v102, 0
	;; [unrolled: 1-line block ×4, first 2 shown]
	s_waitcnt vmcnt(0) lgkmcnt(0)
	v_and_b32_e32 v4, 0xffff, v5
	v_cmp_ne_u16_sdwa s6, v5, v105 src0_sel:BYTE_0 src1_sel:DWORD
	s_and_saveexec_b32 s17, s6
	s_cbranch_execz .LBB198_513
; %bb.506:                              ;   in Loop: Header=BB198_9 Depth=1
	v_bfrev_b32_e32 v102, 1
	v_mov_b32_e32 v103, 0
	v_cmp_ne_u16_sdwa s6, v4, v9 src0_sel:BYTE_0 src1_sel:DWORD
	s_and_saveexec_b32 s19, s6
	s_cbranch_execz .LBB198_512
; %bb.507:                              ;   in Loop: Header=BB198_9 Depth=1
	v_mov_b32_e32 v102, 0x7f800001
	v_and_b32_e32 v6, 0x7f, v4
	v_mov_b32_e32 v103, 0
	s_mov_b32 s20, exec_lo
	v_cmpx_ne_u32_e32 0x7f, v6
	s_cbranch_execz .LBB198_511
; %bb.508:                              ;   in Loop: Header=BB198_9 Depth=1
	v_and_b32_e32 v104, 7, v4
	v_lshrrev_b32_e32 v5, 3, v6
	s_mov_b32 s21, exec_lo
	v_cmpx_gt_u32_e32 8, v6
; %bb.509:                              ;   in Loop: Header=BB198_9 Depth=1
	v_ffbh_u32_e32 v5, v104
	v_min_u32_e32 v5, 32, v5
	v_subrev_nc_u32_e32 v6, 28, v5
	v_sub_nc_u32_e32 v5, 29, v5
	v_lshlrev_b64 v[6:7], v6, v[104:105]
	v_and_b32_e32 v104, 7, v6
; %bb.510:                              ;   in Loop: Header=BB198_9 Depth=1
	s_or_b32 exec_lo, exec_lo, s21
	v_lshlrev_b32_e32 v6, 24, v4
	v_lshlrev_b32_e32 v7, 20, v104
	v_lshl_add_u32 v5, v5, 23, 0x3c000000
	v_and_b32_e32 v6, 0x80000000, v6
	v_or3_b32 v104, v7, v6, v5
	v_mov_b32_e32 v102, v104
	v_mov_b32_e32 v103, v105
.LBB198_511:                            ;   in Loop: Header=BB198_9 Depth=1
	s_or_b32 exec_lo, exec_lo, s20
.LBB198_512:                            ;   in Loop: Header=BB198_9 Depth=1
	s_or_b32 exec_lo, exec_lo, s19
.LBB198_513:                            ;   in Loop: Header=BB198_9 Depth=1
	s_or_b32 exec_lo, exec_lo, s17
	v_cmp_ne_u16_sdwa s6, v4, v105 src0_sel:BYTE_1 src1_sel:DWORD
	s_and_saveexec_b32 s17, s6
	s_cbranch_execz .LBB198_521
; %bb.514:                              ;   in Loop: Header=BB198_9 Depth=1
	v_mov_b32_e32 v100, v105
	v_cmp_ne_u16_sdwa s6, v4, v9 src0_sel:BYTE_1 src1_sel:DWORD
	v_mov_b32_e32 v16, v100
	v_mov_b32_e32 v17, v101
	s_and_saveexec_b32 s19, s6
	s_cbranch_execz .LBB198_520
; %bb.515:                              ;   in Loop: Header=BB198_9 Depth=1
	v_mov_b32_e32 v5, 0xffff
	v_mov_b32_e32 v96, v105
	s_mov_b32 s20, exec_lo
	v_and_b32_sdwa v5, v5, v4 dst_sel:DWORD dst_unused:UNUSED_PAD src0_sel:DWORD src1_sel:BYTE_1
	v_mov_b32_e32 v16, v96
	v_mov_b32_e32 v17, v97
	v_and_b32_e32 v6, 0x7f, v5
	v_cmpx_ne_u32_e32 0x7f, v6
	s_cbranch_execz .LBB198_519
; %bb.516:                              ;   in Loop: Header=BB198_9 Depth=1
	v_and_b32_e32 v104, 7, v5
	v_lshrrev_b32_e32 v5, 3, v6
	s_mov_b32 s21, exec_lo
	v_cmpx_gt_u32_e32 8, v6
; %bb.517:                              ;   in Loop: Header=BB198_9 Depth=1
	v_ffbh_u32_e32 v5, v104
	v_min_u32_e32 v5, 32, v5
	v_subrev_nc_u32_e32 v6, 28, v5
	v_sub_nc_u32_e32 v5, 29, v5
	v_lshlrev_b64 v[6:7], v6, v[104:105]
	v_and_b32_e32 v104, 7, v6
; %bb.518:                              ;   in Loop: Header=BB198_9 Depth=1
	s_or_b32 exec_lo, exec_lo, s21
	v_lshlrev_b32_e32 v4, 16, v4
	v_lshlrev_b32_e32 v6, 20, v104
	v_lshl_add_u32 v5, v5, 23, 0x3c000000
	v_mov_b32_e32 v16, v105
	v_and_b32_e32 v4, 0x80000000, v4
	v_or3_b32 v17, v6, v4, v5
.LBB198_519:                            ;   in Loop: Header=BB198_9 Depth=1
	s_or_b32 exec_lo, exec_lo, s20
.LBB198_520:                            ;   in Loop: Header=BB198_9 Depth=1
	s_or_b32 exec_lo, exec_lo, s19
.LBB198_521:                            ;   in Loop: Header=BB198_9 Depth=1
	s_or_b32 exec_lo, exec_lo, s17
	buffer_load_dword v4, off, s[0:3], s32 offset:192 ; 4-byte Folded Reload
	v_add_co_u32 v12, s6, 0x800, v2
	v_add_co_ci_u32_e64 v13, null, 0, v3, s6
	v_mov_b32_e32 v10, 0
	v_mov_b32_e32 v22, 0
	;; [unrolled: 1-line block ×4, first 2 shown]
	s_waitcnt vmcnt(0)
	v_add_co_u32 v4, s6, v12, v4
	v_add_co_ci_u32_e64 v5, null, 0, v13, s6
	flat_load_ushort v5, v[4:5]
	s_waitcnt vmcnt(0) lgkmcnt(0)
	v_and_b32_e32 v4, 0xffff, v5
	v_cmp_ne_u16_sdwa s6, v5, v105 src0_sel:BYTE_0 src1_sel:DWORD
	s_and_saveexec_b32 s17, s6
	s_cbranch_execz .LBB198_529
; %bb.522:                              ;   in Loop: Header=BB198_9 Depth=1
	v_bfrev_b32_e32 v22, 1
	v_mov_b32_e32 v23, 0
	v_cmp_ne_u16_sdwa s6, v4, v9 src0_sel:BYTE_0 src1_sel:DWORD
	s_and_saveexec_b32 s19, s6
	s_cbranch_execz .LBB198_528
; %bb.523:                              ;   in Loop: Header=BB198_9 Depth=1
	v_mov_b32_e32 v22, 0x7f800001
	v_and_b32_e32 v6, 0x7f, v4
	v_mov_b32_e32 v23, 0
	s_mov_b32 s20, exec_lo
	v_cmpx_ne_u32_e32 0x7f, v6
	s_cbranch_execz .LBB198_527
; %bb.524:                              ;   in Loop: Header=BB198_9 Depth=1
	v_and_b32_e32 v104, 7, v4
	v_lshrrev_b32_e32 v5, 3, v6
	s_mov_b32 s21, exec_lo
	v_cmpx_gt_u32_e32 8, v6
; %bb.525:                              ;   in Loop: Header=BB198_9 Depth=1
	v_ffbh_u32_e32 v5, v104
	v_min_u32_e32 v5, 32, v5
	v_subrev_nc_u32_e32 v6, 28, v5
	v_sub_nc_u32_e32 v5, 29, v5
	v_lshlrev_b64 v[6:7], v6, v[104:105]
	v_and_b32_e32 v104, 7, v6
; %bb.526:                              ;   in Loop: Header=BB198_9 Depth=1
	s_or_b32 exec_lo, exec_lo, s21
	v_lshlrev_b32_e32 v6, 24, v4
	v_lshlrev_b32_e32 v7, 20, v104
	v_lshl_add_u32 v5, v5, 23, 0x3c000000
	v_and_b32_e32 v6, 0x80000000, v6
	v_or3_b32 v104, v7, v6, v5
	v_mov_b32_e32 v22, v104
	v_mov_b32_e32 v23, v105
.LBB198_527:                            ;   in Loop: Header=BB198_9 Depth=1
	s_or_b32 exec_lo, exec_lo, s20
.LBB198_528:                            ;   in Loop: Header=BB198_9 Depth=1
	s_or_b32 exec_lo, exec_lo, s19
.LBB198_529:                            ;   in Loop: Header=BB198_9 Depth=1
	s_or_b32 exec_lo, exec_lo, s17
	v_cmp_ne_u16_sdwa s6, v4, v105 src0_sel:BYTE_1 src1_sel:DWORD
	s_and_saveexec_b32 s17, s6
	s_cbranch_execz .LBB198_537
; %bb.530:                              ;   in Loop: Header=BB198_9 Depth=1
	v_mov_b32_e32 v100, v105
	v_cmp_ne_u16_sdwa s6, v4, v9 src0_sel:BYTE_1 src1_sel:DWORD
	v_mov_b32_e32 v10, v100
	v_mov_b32_e32 v11, v101
	s_and_saveexec_b32 s19, s6
	s_cbranch_execz .LBB198_536
; %bb.531:                              ;   in Loop: Header=BB198_9 Depth=1
	v_mov_b32_e32 v5, 0xffff
	v_mov_b32_e32 v96, v105
	s_mov_b32 s20, exec_lo
	v_and_b32_sdwa v5, v5, v4 dst_sel:DWORD dst_unused:UNUSED_PAD src0_sel:DWORD src1_sel:BYTE_1
	v_mov_b32_e32 v10, v96
	v_mov_b32_e32 v11, v97
	v_and_b32_e32 v6, 0x7f, v5
	v_cmpx_ne_u32_e32 0x7f, v6
	s_cbranch_execz .LBB198_535
; %bb.532:                              ;   in Loop: Header=BB198_9 Depth=1
	v_and_b32_e32 v104, 7, v5
	v_lshrrev_b32_e32 v5, 3, v6
	s_mov_b32 s21, exec_lo
	v_cmpx_gt_u32_e32 8, v6
; %bb.533:                              ;   in Loop: Header=BB198_9 Depth=1
	v_ffbh_u32_e32 v5, v104
	v_min_u32_e32 v5, 32, v5
	v_subrev_nc_u32_e32 v6, 28, v5
	v_sub_nc_u32_e32 v5, 29, v5
	v_lshlrev_b64 v[6:7], v6, v[104:105]
	v_and_b32_e32 v104, 7, v6
; %bb.534:                              ;   in Loop: Header=BB198_9 Depth=1
	s_or_b32 exec_lo, exec_lo, s21
	v_lshlrev_b32_e32 v4, 16, v4
	v_lshlrev_b32_e32 v6, 20, v104
	v_lshl_add_u32 v5, v5, 23, 0x3c000000
	v_mov_b32_e32 v10, v105
	v_and_b32_e32 v4, 0x80000000, v4
	v_or3_b32 v11, v6, v4, v5
.LBB198_535:                            ;   in Loop: Header=BB198_9 Depth=1
	s_or_b32 exec_lo, exec_lo, s20
.LBB198_536:                            ;   in Loop: Header=BB198_9 Depth=1
	s_or_b32 exec_lo, exec_lo, s19
.LBB198_537:                            ;   in Loop: Header=BB198_9 Depth=1
	s_or_b32 exec_lo, exec_lo, s17
	buffer_load_dword v4, off, s[0:3], s32 offset:196 ; 4-byte Folded Reload
	v_mov_b32_e32 v7, 0
	v_mov_b32_e32 v8, 0
	s_waitcnt vmcnt(0)
	v_add_co_u32 v4, s6, v12, v4
	v_add_co_ci_u32_e64 v5, null, 0, v13, s6
	flat_load_ushort v4, v[4:5]
	s_waitcnt vmcnt(0) lgkmcnt(0)
	v_and_b32_e32 v14, 0xffff, v4
	v_cmp_ne_u16_sdwa s6, v4, v105 src0_sel:BYTE_0 src1_sel:DWORD
	v_mov_b32_e32 v4, 0
	v_mov_b32_e32 v5, 0
	s_and_saveexec_b32 s17, s6
	s_cbranch_execz .LBB198_545
; %bb.538:                              ;   in Loop: Header=BB198_9 Depth=1
	v_bfrev_b32_e32 v4, 1
	v_mov_b32_e32 v5, 0
	v_cmp_ne_u16_sdwa s6, v14, v9 src0_sel:BYTE_0 src1_sel:DWORD
	s_and_saveexec_b32 s19, s6
	s_cbranch_execz .LBB198_544
; %bb.539:                              ;   in Loop: Header=BB198_9 Depth=1
	v_mov_b32_e32 v4, 0x7f800001
	v_and_b32_e32 v6, 0x7f, v14
	v_mov_b32_e32 v5, 0
	s_mov_b32 s20, exec_lo
	v_cmpx_ne_u32_e32 0x7f, v6
	s_cbranch_execz .LBB198_543
; %bb.540:                              ;   in Loop: Header=BB198_9 Depth=1
	v_and_b32_e32 v104, 7, v14
	v_lshrrev_b32_e32 v4, 3, v6
	s_mov_b32 s21, exec_lo
	v_cmpx_gt_u32_e32 8, v6
; %bb.541:                              ;   in Loop: Header=BB198_9 Depth=1
	v_ffbh_u32_e32 v4, v104
	v_min_u32_e32 v4, 32, v4
	v_subrev_nc_u32_e32 v5, 28, v4
	v_sub_nc_u32_e32 v4, 29, v4
	v_lshlrev_b64 v[5:6], v5, v[104:105]
	v_and_b32_e32 v104, 7, v5
; %bb.542:                              ;   in Loop: Header=BB198_9 Depth=1
	s_or_b32 exec_lo, exec_lo, s21
	v_lshlrev_b32_e32 v5, 24, v14
	v_lshlrev_b32_e32 v6, 20, v104
	v_lshl_add_u32 v4, v4, 23, 0x3c000000
	v_and_b32_e32 v5, 0x80000000, v5
	v_or3_b32 v104, v6, v5, v4
	v_mov_b32_e32 v4, v104
	v_mov_b32_e32 v5, v105
.LBB198_543:                            ;   in Loop: Header=BB198_9 Depth=1
	s_or_b32 exec_lo, exec_lo, s20
.LBB198_544:                            ;   in Loop: Header=BB198_9 Depth=1
	s_or_b32 exec_lo, exec_lo, s19
.LBB198_545:                            ;   in Loop: Header=BB198_9 Depth=1
	s_or_b32 exec_lo, exec_lo, s17
	v_cmp_ne_u16_sdwa s6, v14, v105 src0_sel:BYTE_1 src1_sel:DWORD
	s_and_saveexec_b32 s17, s6
	s_cbranch_execz .LBB198_553
; %bb.546:                              ;   in Loop: Header=BB198_9 Depth=1
	v_mov_b32_e32 v100, v105
	v_cmp_ne_u16_sdwa s6, v14, v9 src0_sel:BYTE_1 src1_sel:DWORD
	v_mov_b32_e32 v7, v100
	v_mov_b32_e32 v8, v101
	s_and_saveexec_b32 s19, s6
	s_cbranch_execz .LBB198_552
; %bb.547:                              ;   in Loop: Header=BB198_9 Depth=1
	v_mov_b32_e32 v6, 0xffff
	v_mov_b32_e32 v96, v105
	s_mov_b32 s20, exec_lo
	v_and_b32_sdwa v6, v6, v14 dst_sel:DWORD dst_unused:UNUSED_PAD src0_sel:DWORD src1_sel:BYTE_1
	v_mov_b32_e32 v7, v96
	v_mov_b32_e32 v8, v97
	v_and_b32_e32 v15, 0x7f, v6
	v_cmpx_ne_u32_e32 0x7f, v15
	s_cbranch_execz .LBB198_551
; %bb.548:                              ;   in Loop: Header=BB198_9 Depth=1
	v_and_b32_e32 v104, 7, v6
	v_lshrrev_b32_e32 v6, 3, v15
	s_mov_b32 s21, exec_lo
	v_cmpx_gt_u32_e32 8, v15
; %bb.549:                              ;   in Loop: Header=BB198_9 Depth=1
	v_ffbh_u32_e32 v6, v104
	v_min_u32_e32 v6, 32, v6
	v_subrev_nc_u32_e32 v7, 28, v6
	v_sub_nc_u32_e32 v6, 29, v6
	v_lshlrev_b64 v[7:8], v7, v[104:105]
	v_and_b32_e32 v104, 7, v7
; %bb.550:                              ;   in Loop: Header=BB198_9 Depth=1
	s_or_b32 exec_lo, exec_lo, s21
	v_lshlrev_b32_e32 v7, 16, v14
	v_lshlrev_b32_e32 v8, 20, v104
	v_lshl_add_u32 v6, v6, 23, 0x3c000000
	v_and_b32_e32 v7, 0x80000000, v7
	v_or3_b32 v8, v8, v7, v6
	v_mov_b32_e32 v7, v105
.LBB198_551:                            ;   in Loop: Header=BB198_9 Depth=1
	s_or_b32 exec_lo, exec_lo, s20
.LBB198_552:                            ;   in Loop: Header=BB198_9 Depth=1
	s_or_b32 exec_lo, exec_lo, s19
.LBB198_553:                            ;   in Loop: Header=BB198_9 Depth=1
	s_or_b32 exec_lo, exec_lo, s17
	buffer_load_dword v6, off, s[0:3], s32 offset:200 ; 4-byte Folded Reload
	v_mov_b32_e32 v18, 0
	v_mov_b32_e32 v19, 0
	s_waitcnt vmcnt(0)
	v_add_co_u32 v14, s6, v12, v6
	v_add_co_ci_u32_e64 v15, null, 0, v13, s6
	flat_load_ushort v6, v[14:15]
	v_mov_b32_e32 v14, 0
	v_mov_b32_e32 v15, 0
	s_waitcnt vmcnt(0) lgkmcnt(0)
	v_and_b32_e32 v24, 0xffff, v6
	v_cmp_ne_u16_sdwa s6, v6, v105 src0_sel:BYTE_0 src1_sel:DWORD
	s_and_saveexec_b32 s17, s6
	s_cbranch_execz .LBB198_561
; %bb.554:                              ;   in Loop: Header=BB198_9 Depth=1
	v_bfrev_b32_e32 v14, 1
	v_mov_b32_e32 v15, 0
	v_cmp_ne_u16_sdwa s6, v24, v9 src0_sel:BYTE_0 src1_sel:DWORD
	s_and_saveexec_b32 s19, s6
	s_cbranch_execz .LBB198_560
; %bb.555:                              ;   in Loop: Header=BB198_9 Depth=1
	v_mov_b32_e32 v14, 0x7f800001
	v_and_b32_e32 v25, 0x7f, v24
	v_mov_b32_e32 v15, 0
	s_mov_b32 s20, exec_lo
	v_cmpx_ne_u32_e32 0x7f, v25
	s_cbranch_execz .LBB198_559
; %bb.556:                              ;   in Loop: Header=BB198_9 Depth=1
	v_and_b32_e32 v104, 7, v24
	v_lshrrev_b32_e32 v6, 3, v25
	s_mov_b32 s21, exec_lo
	v_cmpx_gt_u32_e32 8, v25
; %bb.557:                              ;   in Loop: Header=BB198_9 Depth=1
	v_ffbh_u32_e32 v6, v104
	v_min_u32_e32 v6, 32, v6
	v_subrev_nc_u32_e32 v14, 28, v6
	v_sub_nc_u32_e32 v6, 29, v6
	v_lshlrev_b64 v[14:15], v14, v[104:105]
	v_and_b32_e32 v104, 7, v14
; %bb.558:                              ;   in Loop: Header=BB198_9 Depth=1
	s_or_b32 exec_lo, exec_lo, s21
	v_lshlrev_b32_e32 v14, 24, v24
	v_lshlrev_b32_e32 v15, 20, v104
	v_lshl_add_u32 v6, v6, 23, 0x3c000000
	v_and_b32_e32 v14, 0x80000000, v14
	v_or3_b32 v104, v15, v14, v6
	v_mov_b32_e32 v14, v104
	v_mov_b32_e32 v15, v105
.LBB198_559:                            ;   in Loop: Header=BB198_9 Depth=1
	s_or_b32 exec_lo, exec_lo, s20
.LBB198_560:                            ;   in Loop: Header=BB198_9 Depth=1
	s_or_b32 exec_lo, exec_lo, s19
.LBB198_561:                            ;   in Loop: Header=BB198_9 Depth=1
	s_or_b32 exec_lo, exec_lo, s17
	v_cmp_ne_u16_sdwa s6, v24, v105 src0_sel:BYTE_1 src1_sel:DWORD
	s_and_saveexec_b32 s17, s6
	s_cbranch_execz .LBB198_569
; %bb.562:                              ;   in Loop: Header=BB198_9 Depth=1
	v_mov_b32_e32 v100, v105
	v_cmp_ne_u16_sdwa s6, v24, v9 src0_sel:BYTE_1 src1_sel:DWORD
	v_mov_b32_e32 v18, v100
	v_mov_b32_e32 v19, v101
	s_and_saveexec_b32 s19, s6
	s_cbranch_execz .LBB198_568
; %bb.563:                              ;   in Loop: Header=BB198_9 Depth=1
	v_mov_b32_e32 v6, 0xffff
	v_mov_b32_e32 v96, v105
	s_mov_b32 s20, exec_lo
	v_and_b32_sdwa v6, v6, v24 dst_sel:DWORD dst_unused:UNUSED_PAD src0_sel:DWORD src1_sel:BYTE_1
	v_mov_b32_e32 v18, v96
	v_mov_b32_e32 v19, v97
	v_and_b32_e32 v25, 0x7f, v6
	v_cmpx_ne_u32_e32 0x7f, v25
	s_cbranch_execz .LBB198_567
; %bb.564:                              ;   in Loop: Header=BB198_9 Depth=1
	v_and_b32_e32 v104, 7, v6
	v_lshrrev_b32_e32 v6, 3, v25
	s_mov_b32 s21, exec_lo
	v_cmpx_gt_u32_e32 8, v25
; %bb.565:                              ;   in Loop: Header=BB198_9 Depth=1
	v_ffbh_u32_e32 v6, v104
	v_min_u32_e32 v6, 32, v6
	v_subrev_nc_u32_e32 v18, 28, v6
	v_sub_nc_u32_e32 v6, 29, v6
	v_lshlrev_b64 v[18:19], v18, v[104:105]
	v_and_b32_e32 v104, 7, v18
; %bb.566:                              ;   in Loop: Header=BB198_9 Depth=1
	s_or_b32 exec_lo, exec_lo, s21
	v_lshlrev_b32_e32 v18, 16, v24
	v_lshlrev_b32_e32 v19, 20, v104
	v_lshl_add_u32 v6, v6, 23, 0x3c000000
	v_and_b32_e32 v18, 0x80000000, v18
	v_or3_b32 v19, v19, v18, v6
	v_mov_b32_e32 v18, v105
.LBB198_567:                            ;   in Loop: Header=BB198_9 Depth=1
	s_or_b32 exec_lo, exec_lo, s20
.LBB198_568:                            ;   in Loop: Header=BB198_9 Depth=1
	s_or_b32 exec_lo, exec_lo, s19
.LBB198_569:                            ;   in Loop: Header=BB198_9 Depth=1
	s_or_b32 exec_lo, exec_lo, s17
	buffer_load_dword v6, off, s[0:3], s32 offset:204 ; 4-byte Folded Reload
	v_mov_b32_e32 v26, 0
	v_mov_b32_e32 v27, 0
	s_waitcnt vmcnt(0)
	v_add_co_u32 v12, s6, v12, v6
	v_add_co_ci_u32_e64 v13, null, 0, v13, s6
	flat_load_ushort v6, v[12:13]
	v_mov_b32_e32 v12, 0
	v_mov_b32_e32 v13, 0
	s_waitcnt vmcnt(0) lgkmcnt(0)
	v_and_b32_e32 v24, 0xffff, v6
	v_cmp_ne_u16_sdwa s6, v6, v105 src0_sel:BYTE_0 src1_sel:DWORD
	s_and_saveexec_b32 s17, s6
	s_cbranch_execz .LBB198_577
; %bb.570:                              ;   in Loop: Header=BB198_9 Depth=1
	v_bfrev_b32_e32 v26, 1
	v_mov_b32_e32 v27, 0
	v_cmp_ne_u16_sdwa s6, v24, v9 src0_sel:BYTE_0 src1_sel:DWORD
	s_and_saveexec_b32 s19, s6
	s_cbranch_execz .LBB198_576
; %bb.571:                              ;   in Loop: Header=BB198_9 Depth=1
	v_mov_b32_e32 v26, 0x7f800001
	v_and_b32_e32 v25, 0x7f, v24
	v_mov_b32_e32 v27, 0
	s_mov_b32 s20, exec_lo
	v_cmpx_ne_u32_e32 0x7f, v25
	s_cbranch_execz .LBB198_575
; %bb.572:                              ;   in Loop: Header=BB198_9 Depth=1
	v_and_b32_e32 v104, 7, v24
	v_lshrrev_b32_e32 v6, 3, v25
	s_mov_b32 s21, exec_lo
	v_cmpx_gt_u32_e32 8, v25
; %bb.573:                              ;   in Loop: Header=BB198_9 Depth=1
	v_ffbh_u32_e32 v6, v104
	v_min_u32_e32 v6, 32, v6
	v_subrev_nc_u32_e32 v25, 28, v6
	v_sub_nc_u32_e32 v6, 29, v6
	v_lshlrev_b64 v[25:26], v25, v[104:105]
	v_and_b32_e32 v104, 7, v25
; %bb.574:                              ;   in Loop: Header=BB198_9 Depth=1
	s_or_b32 exec_lo, exec_lo, s21
	v_lshlrev_b32_e32 v25, 24, v24
	v_lshlrev_b32_e32 v26, 20, v104
	v_lshl_add_u32 v6, v6, 23, 0x3c000000
	v_and_b32_e32 v25, 0x80000000, v25
	v_or3_b32 v104, v26, v25, v6
	v_mov_b32_e32 v26, v104
	v_mov_b32_e32 v27, v105
.LBB198_575:                            ;   in Loop: Header=BB198_9 Depth=1
	s_or_b32 exec_lo, exec_lo, s20
.LBB198_576:                            ;   in Loop: Header=BB198_9 Depth=1
	s_or_b32 exec_lo, exec_lo, s19
.LBB198_577:                            ;   in Loop: Header=BB198_9 Depth=1
	s_or_b32 exec_lo, exec_lo, s17
	v_cmp_ne_u16_sdwa s6, v24, v105 src0_sel:BYTE_1 src1_sel:DWORD
	s_and_saveexec_b32 s17, s6
	s_cbranch_execz .LBB198_585
; %bb.578:                              ;   in Loop: Header=BB198_9 Depth=1
	v_mov_b32_e32 v100, v105
	v_cmp_ne_u16_sdwa s6, v24, v9 src0_sel:BYTE_1 src1_sel:DWORD
	v_mov_b32_e32 v12, v100
	v_mov_b32_e32 v13, v101
	s_and_saveexec_b32 s19, s6
	s_cbranch_execz .LBB198_584
; %bb.579:                              ;   in Loop: Header=BB198_9 Depth=1
	v_mov_b32_e32 v6, 0xffff
	v_mov_b32_e32 v96, v105
	s_mov_b32 s20, exec_lo
	v_and_b32_sdwa v6, v6, v24 dst_sel:DWORD dst_unused:UNUSED_PAD src0_sel:DWORD src1_sel:BYTE_1
	v_mov_b32_e32 v12, v96
	v_mov_b32_e32 v13, v97
	v_and_b32_e32 v25, 0x7f, v6
	v_cmpx_ne_u32_e32 0x7f, v25
	s_cbranch_execz .LBB198_583
; %bb.580:                              ;   in Loop: Header=BB198_9 Depth=1
	v_and_b32_e32 v104, 7, v6
	v_lshrrev_b32_e32 v6, 3, v25
	s_mov_b32 s21, exec_lo
	v_cmpx_gt_u32_e32 8, v25
; %bb.581:                              ;   in Loop: Header=BB198_9 Depth=1
	v_ffbh_u32_e32 v6, v104
	v_min_u32_e32 v6, 32, v6
	v_subrev_nc_u32_e32 v12, 28, v6
	v_sub_nc_u32_e32 v6, 29, v6
	v_lshlrev_b64 v[12:13], v12, v[104:105]
	v_and_b32_e32 v104, 7, v12
; %bb.582:                              ;   in Loop: Header=BB198_9 Depth=1
	s_or_b32 exec_lo, exec_lo, s21
	v_lshlrev_b32_e32 v12, 16, v24
	v_lshlrev_b32_e32 v13, 20, v104
	v_lshl_add_u32 v6, v6, 23, 0x3c000000
	v_and_b32_e32 v12, 0x80000000, v12
	v_or3_b32 v13, v13, v12, v6
	v_mov_b32_e32 v12, v105
.LBB198_583:                            ;   in Loop: Header=BB198_9 Depth=1
	s_or_b32 exec_lo, exec_lo, s20
.LBB198_584:                            ;   in Loop: Header=BB198_9 Depth=1
	s_or_b32 exec_lo, exec_lo, s19
.LBB198_585:                            ;   in Loop: Header=BB198_9 Depth=1
	s_or_b32 exec_lo, exec_lo, s17
	buffer_load_dword v6, off, s[0:3], s32 offset:192 ; 4-byte Folded Reload
	v_add_co_u32 v36, s6, 0x900, v2
	v_add_co_ci_u32_e64 v37, null, 0, v3, s6
	v_mov_b32_e32 v30, 0
	v_mov_b32_e32 v31, 0
	s_waitcnt vmcnt(0)
	v_add_co_u32 v24, s6, v36, v6
	v_add_co_ci_u32_e64 v25, null, 0, v37, s6
	flat_load_ushort v6, v[24:25]
	v_mov_b32_e32 v24, 0
	v_mov_b32_e32 v25, 0
	s_waitcnt vmcnt(0) lgkmcnt(0)
	v_and_b32_e32 v28, 0xffff, v6
	v_cmp_ne_u16_sdwa s6, v6, v105 src0_sel:BYTE_0 src1_sel:DWORD
	s_and_saveexec_b32 s17, s6
	s_cbranch_execz .LBB198_593
; %bb.586:                              ;   in Loop: Header=BB198_9 Depth=1
	v_bfrev_b32_e32 v30, 1
	v_mov_b32_e32 v31, 0
	v_cmp_ne_u16_sdwa s6, v28, v9 src0_sel:BYTE_0 src1_sel:DWORD
	s_and_saveexec_b32 s19, s6
	s_cbranch_execz .LBB198_592
; %bb.587:                              ;   in Loop: Header=BB198_9 Depth=1
	v_mov_b32_e32 v30, 0x7f800001
	v_and_b32_e32 v29, 0x7f, v28
	v_mov_b32_e32 v31, 0
	s_mov_b32 s20, exec_lo
	v_cmpx_ne_u32_e32 0x7f, v29
	s_cbranch_execz .LBB198_591
; %bb.588:                              ;   in Loop: Header=BB198_9 Depth=1
	v_and_b32_e32 v104, 7, v28
	v_lshrrev_b32_e32 v6, 3, v29
	s_mov_b32 s21, exec_lo
	v_cmpx_gt_u32_e32 8, v29
; %bb.589:                              ;   in Loop: Header=BB198_9 Depth=1
	v_ffbh_u32_e32 v6, v104
	v_min_u32_e32 v6, 32, v6
	v_subrev_nc_u32_e32 v29, 28, v6
	v_sub_nc_u32_e32 v6, 29, v6
	v_lshlrev_b64 v[29:30], v29, v[104:105]
	v_and_b32_e32 v104, 7, v29
; %bb.590:                              ;   in Loop: Header=BB198_9 Depth=1
	s_or_b32 exec_lo, exec_lo, s21
	v_lshlrev_b32_e32 v29, 24, v28
	v_lshlrev_b32_e32 v30, 20, v104
	v_lshl_add_u32 v6, v6, 23, 0x3c000000
	v_and_b32_e32 v29, 0x80000000, v29
	v_or3_b32 v104, v30, v29, v6
	v_mov_b32_e32 v30, v104
	v_mov_b32_e32 v31, v105
.LBB198_591:                            ;   in Loop: Header=BB198_9 Depth=1
	s_or_b32 exec_lo, exec_lo, s20
.LBB198_592:                            ;   in Loop: Header=BB198_9 Depth=1
	s_or_b32 exec_lo, exec_lo, s19
.LBB198_593:                            ;   in Loop: Header=BB198_9 Depth=1
	s_or_b32 exec_lo, exec_lo, s17
	v_cmp_ne_u16_sdwa s6, v28, v105 src0_sel:BYTE_1 src1_sel:DWORD
	s_and_saveexec_b32 s17, s6
	s_cbranch_execz .LBB198_601
; %bb.594:                              ;   in Loop: Header=BB198_9 Depth=1
	v_mov_b32_e32 v100, v105
	v_cmp_ne_u16_sdwa s6, v28, v9 src0_sel:BYTE_1 src1_sel:DWORD
	v_mov_b32_e32 v24, v100
	v_mov_b32_e32 v25, v101
	s_and_saveexec_b32 s19, s6
	s_cbranch_execz .LBB198_600
; %bb.595:                              ;   in Loop: Header=BB198_9 Depth=1
	v_mov_b32_e32 v6, 0xffff
	v_mov_b32_e32 v96, v105
	s_mov_b32 s20, exec_lo
	v_and_b32_sdwa v6, v6, v28 dst_sel:DWORD dst_unused:UNUSED_PAD src0_sel:DWORD src1_sel:BYTE_1
	v_mov_b32_e32 v24, v96
	v_mov_b32_e32 v25, v97
	v_and_b32_e32 v29, 0x7f, v6
	v_cmpx_ne_u32_e32 0x7f, v29
	s_cbranch_execz .LBB198_599
; %bb.596:                              ;   in Loop: Header=BB198_9 Depth=1
	v_and_b32_e32 v104, 7, v6
	v_lshrrev_b32_e32 v6, 3, v29
	s_mov_b32 s21, exec_lo
	v_cmpx_gt_u32_e32 8, v29
; %bb.597:                              ;   in Loop: Header=BB198_9 Depth=1
	v_ffbh_u32_e32 v6, v104
	v_min_u32_e32 v6, 32, v6
	v_subrev_nc_u32_e32 v24, 28, v6
	v_sub_nc_u32_e32 v6, 29, v6
	v_lshlrev_b64 v[24:25], v24, v[104:105]
	v_and_b32_e32 v104, 7, v24
; %bb.598:                              ;   in Loop: Header=BB198_9 Depth=1
	s_or_b32 exec_lo, exec_lo, s21
	v_lshlrev_b32_e32 v24, 16, v28
	v_lshlrev_b32_e32 v25, 20, v104
	v_lshl_add_u32 v6, v6, 23, 0x3c000000
	v_and_b32_e32 v24, 0x80000000, v24
	v_or3_b32 v25, v25, v24, v6
	v_mov_b32_e32 v24, v105
.LBB198_599:                            ;   in Loop: Header=BB198_9 Depth=1
	s_or_b32 exec_lo, exec_lo, s20
.LBB198_600:                            ;   in Loop: Header=BB198_9 Depth=1
	s_or_b32 exec_lo, exec_lo, s19
.LBB198_601:                            ;   in Loop: Header=BB198_9 Depth=1
	s_or_b32 exec_lo, exec_lo, s17
	buffer_load_dword v6, off, s[0:3], s32 offset:196 ; 4-byte Folded Reload
	v_mov_b32_e32 v34, 0
	v_mov_b32_e32 v35, 0
	s_waitcnt vmcnt(0)
	v_add_co_u32 v28, s6, v36, v6
	v_add_co_ci_u32_e64 v29, null, 0, v37, s6
	flat_load_ushort v6, v[28:29]
	v_mov_b32_e32 v28, 0
	v_mov_b32_e32 v29, 0
	s_waitcnt vmcnt(0) lgkmcnt(0)
	v_and_b32_e32 v32, 0xffff, v6
	v_cmp_ne_u16_sdwa s6, v6, v105 src0_sel:BYTE_0 src1_sel:DWORD
	s_and_saveexec_b32 s17, s6
	s_cbranch_execz .LBB198_609
; %bb.602:                              ;   in Loop: Header=BB198_9 Depth=1
	v_bfrev_b32_e32 v34, 1
	v_mov_b32_e32 v35, 0
	v_cmp_ne_u16_sdwa s6, v32, v9 src0_sel:BYTE_0 src1_sel:DWORD
	s_and_saveexec_b32 s19, s6
	s_cbranch_execz .LBB198_608
; %bb.603:                              ;   in Loop: Header=BB198_9 Depth=1
	v_mov_b32_e32 v34, 0x7f800001
	v_and_b32_e32 v33, 0x7f, v32
	v_mov_b32_e32 v35, 0
	s_mov_b32 s20, exec_lo
	v_cmpx_ne_u32_e32 0x7f, v33
	s_cbranch_execz .LBB198_607
; %bb.604:                              ;   in Loop: Header=BB198_9 Depth=1
	v_and_b32_e32 v104, 7, v32
	v_lshrrev_b32_e32 v6, 3, v33
	s_mov_b32 s21, exec_lo
	v_cmpx_gt_u32_e32 8, v33
; %bb.605:                              ;   in Loop: Header=BB198_9 Depth=1
	v_ffbh_u32_e32 v6, v104
	v_min_u32_e32 v6, 32, v6
	v_subrev_nc_u32_e32 v33, 28, v6
	v_sub_nc_u32_e32 v6, 29, v6
	v_lshlrev_b64 v[33:34], v33, v[104:105]
	v_and_b32_e32 v104, 7, v33
; %bb.606:                              ;   in Loop: Header=BB198_9 Depth=1
	s_or_b32 exec_lo, exec_lo, s21
	v_lshlrev_b32_e32 v33, 24, v32
	v_lshlrev_b32_e32 v34, 20, v104
	v_lshl_add_u32 v6, v6, 23, 0x3c000000
	v_and_b32_e32 v33, 0x80000000, v33
	v_or3_b32 v104, v34, v33, v6
	v_mov_b32_e32 v34, v104
	v_mov_b32_e32 v35, v105
.LBB198_607:                            ;   in Loop: Header=BB198_9 Depth=1
	s_or_b32 exec_lo, exec_lo, s20
.LBB198_608:                            ;   in Loop: Header=BB198_9 Depth=1
	s_or_b32 exec_lo, exec_lo, s19
.LBB198_609:                            ;   in Loop: Header=BB198_9 Depth=1
	s_or_b32 exec_lo, exec_lo, s17
	v_cmp_ne_u16_sdwa s6, v32, v105 src0_sel:BYTE_1 src1_sel:DWORD
	s_and_saveexec_b32 s17, s6
	s_cbranch_execz .LBB198_617
; %bb.610:                              ;   in Loop: Header=BB198_9 Depth=1
	v_mov_b32_e32 v100, v105
	v_cmp_ne_u16_sdwa s6, v32, v9 src0_sel:BYTE_1 src1_sel:DWORD
	v_mov_b32_e32 v28, v100
	v_mov_b32_e32 v29, v101
	s_and_saveexec_b32 s19, s6
	s_cbranch_execz .LBB198_616
; %bb.611:                              ;   in Loop: Header=BB198_9 Depth=1
	v_mov_b32_e32 v6, 0xffff
	v_mov_b32_e32 v96, v105
	s_mov_b32 s20, exec_lo
	v_and_b32_sdwa v6, v6, v32 dst_sel:DWORD dst_unused:UNUSED_PAD src0_sel:DWORD src1_sel:BYTE_1
	v_mov_b32_e32 v28, v96
	v_mov_b32_e32 v29, v97
	v_and_b32_e32 v33, 0x7f, v6
	v_cmpx_ne_u32_e32 0x7f, v33
	s_cbranch_execz .LBB198_615
; %bb.612:                              ;   in Loop: Header=BB198_9 Depth=1
	v_and_b32_e32 v104, 7, v6
	v_lshrrev_b32_e32 v6, 3, v33
	s_mov_b32 s21, exec_lo
	v_cmpx_gt_u32_e32 8, v33
; %bb.613:                              ;   in Loop: Header=BB198_9 Depth=1
	v_ffbh_u32_e32 v6, v104
	v_min_u32_e32 v6, 32, v6
	v_subrev_nc_u32_e32 v28, 28, v6
	v_sub_nc_u32_e32 v6, 29, v6
	v_lshlrev_b64 v[28:29], v28, v[104:105]
	v_and_b32_e32 v104, 7, v28
; %bb.614:                              ;   in Loop: Header=BB198_9 Depth=1
	s_or_b32 exec_lo, exec_lo, s21
	v_lshlrev_b32_e32 v28, 16, v32
	v_lshlrev_b32_e32 v29, 20, v104
	v_lshl_add_u32 v6, v6, 23, 0x3c000000
	v_and_b32_e32 v28, 0x80000000, v28
	v_or3_b32 v29, v29, v28, v6
	v_mov_b32_e32 v28, v105
.LBB198_615:                            ;   in Loop: Header=BB198_9 Depth=1
	s_or_b32 exec_lo, exec_lo, s20
.LBB198_616:                            ;   in Loop: Header=BB198_9 Depth=1
	s_or_b32 exec_lo, exec_lo, s19
.LBB198_617:                            ;   in Loop: Header=BB198_9 Depth=1
	s_or_b32 exec_lo, exec_lo, s17
	buffer_load_dword v6, off, s[0:3], s32 offset:200 ; 4-byte Folded Reload
	v_mov_b32_e32 v38, 0
	v_mov_b32_e32 v39, 0
	s_waitcnt vmcnt(0)
	v_add_co_u32 v32, s6, v36, v6
	v_add_co_ci_u32_e64 v33, null, 0, v37, s6
	flat_load_ushort v6, v[32:33]
	v_mov_b32_e32 v32, 0
	v_mov_b32_e32 v33, 0
	s_waitcnt vmcnt(0) lgkmcnt(0)
	v_and_b32_e32 v48, 0xffff, v6
	v_cmp_ne_u16_sdwa s6, v6, v105 src0_sel:BYTE_0 src1_sel:DWORD
	s_and_saveexec_b32 s17, s6
	s_cbranch_execz .LBB198_625
; %bb.618:                              ;   in Loop: Header=BB198_9 Depth=1
	v_bfrev_b32_e32 v38, 1
	v_mov_b32_e32 v39, 0
	v_cmp_ne_u16_sdwa s6, v48, v9 src0_sel:BYTE_0 src1_sel:DWORD
	s_and_saveexec_b32 s19, s6
	s_cbranch_execz .LBB198_624
; %bb.619:                              ;   in Loop: Header=BB198_9 Depth=1
	v_mov_b32_e32 v38, 0x7f800001
	v_and_b32_e32 v49, 0x7f, v48
	v_mov_b32_e32 v39, 0
	s_mov_b32 s20, exec_lo
	v_cmpx_ne_u32_e32 0x7f, v49
	s_cbranch_execz .LBB198_623
; %bb.620:                              ;   in Loop: Header=BB198_9 Depth=1
	v_and_b32_e32 v104, 7, v48
	v_lshrrev_b32_e32 v6, 3, v49
	s_mov_b32 s21, exec_lo
	v_cmpx_gt_u32_e32 8, v49
; %bb.621:                              ;   in Loop: Header=BB198_9 Depth=1
	v_ffbh_u32_e32 v6, v104
	v_min_u32_e32 v6, 32, v6
	v_subrev_nc_u32_e32 v38, 28, v6
	v_sub_nc_u32_e32 v6, 29, v6
	v_lshlrev_b64 v[38:39], v38, v[104:105]
	v_and_b32_e32 v104, 7, v38
; %bb.622:                              ;   in Loop: Header=BB198_9 Depth=1
	s_or_b32 exec_lo, exec_lo, s21
	v_lshlrev_b32_e32 v38, 24, v48
	v_lshlrev_b32_e32 v39, 20, v104
	v_lshl_add_u32 v6, v6, 23, 0x3c000000
	v_and_b32_e32 v38, 0x80000000, v38
	v_or3_b32 v104, v39, v38, v6
	v_mov_b32_e32 v38, v104
	v_mov_b32_e32 v39, v105
.LBB198_623:                            ;   in Loop: Header=BB198_9 Depth=1
	s_or_b32 exec_lo, exec_lo, s20
.LBB198_624:                            ;   in Loop: Header=BB198_9 Depth=1
	s_or_b32 exec_lo, exec_lo, s19
.LBB198_625:                            ;   in Loop: Header=BB198_9 Depth=1
	s_or_b32 exec_lo, exec_lo, s17
	v_cmp_ne_u16_sdwa s6, v48, v105 src0_sel:BYTE_1 src1_sel:DWORD
	s_and_saveexec_b32 s17, s6
	s_cbranch_execz .LBB198_633
; %bb.626:                              ;   in Loop: Header=BB198_9 Depth=1
	v_mov_b32_e32 v100, v105
	v_cmp_ne_u16_sdwa s6, v48, v9 src0_sel:BYTE_1 src1_sel:DWORD
	v_mov_b32_e32 v32, v100
	v_mov_b32_e32 v33, v101
	s_and_saveexec_b32 s19, s6
	s_cbranch_execz .LBB198_632
; %bb.627:                              ;   in Loop: Header=BB198_9 Depth=1
	v_mov_b32_e32 v6, 0xffff
	v_mov_b32_e32 v96, v105
	s_mov_b32 s20, exec_lo
	v_and_b32_sdwa v6, v6, v48 dst_sel:DWORD dst_unused:UNUSED_PAD src0_sel:DWORD src1_sel:BYTE_1
	v_mov_b32_e32 v32, v96
	v_mov_b32_e32 v33, v97
	v_and_b32_e32 v49, 0x7f, v6
	v_cmpx_ne_u32_e32 0x7f, v49
	s_cbranch_execz .LBB198_631
; %bb.628:                              ;   in Loop: Header=BB198_9 Depth=1
	v_and_b32_e32 v104, 7, v6
	v_lshrrev_b32_e32 v6, 3, v49
	s_mov_b32 s21, exec_lo
	v_cmpx_gt_u32_e32 8, v49
; %bb.629:                              ;   in Loop: Header=BB198_9 Depth=1
	v_ffbh_u32_e32 v6, v104
	v_min_u32_e32 v6, 32, v6
	v_subrev_nc_u32_e32 v32, 28, v6
	v_sub_nc_u32_e32 v6, 29, v6
	v_lshlrev_b64 v[32:33], v32, v[104:105]
	v_and_b32_e32 v104, 7, v32
; %bb.630:                              ;   in Loop: Header=BB198_9 Depth=1
	s_or_b32 exec_lo, exec_lo, s21
	v_lshlrev_b32_e32 v32, 16, v48
	v_lshlrev_b32_e32 v33, 20, v104
	v_lshl_add_u32 v6, v6, 23, 0x3c000000
	v_and_b32_e32 v32, 0x80000000, v32
	v_or3_b32 v33, v33, v32, v6
	v_mov_b32_e32 v32, v105
.LBB198_631:                            ;   in Loop: Header=BB198_9 Depth=1
	s_or_b32 exec_lo, exec_lo, s20
.LBB198_632:                            ;   in Loop: Header=BB198_9 Depth=1
	s_or_b32 exec_lo, exec_lo, s19
.LBB198_633:                            ;   in Loop: Header=BB198_9 Depth=1
	s_or_b32 exec_lo, exec_lo, s17
	buffer_load_dword v6, off, s[0:3], s32 offset:204 ; 4-byte Folded Reload
	v_mov_b32_e32 v50, 0
	v_mov_b32_e32 v51, 0
	s_waitcnt vmcnt(0)
	v_add_co_u32 v36, s6, v36, v6
	v_add_co_ci_u32_e64 v37, null, 0, v37, s6
	flat_load_ushort v6, v[36:37]
	v_mov_b32_e32 v36, 0
	v_mov_b32_e32 v37, 0
	s_waitcnt vmcnt(0) lgkmcnt(0)
	v_and_b32_e32 v48, 0xffff, v6
	v_cmp_ne_u16_sdwa s6, v6, v105 src0_sel:BYTE_0 src1_sel:DWORD
	s_and_saveexec_b32 s17, s6
	s_cbranch_execz .LBB198_641
; %bb.634:                              ;   in Loop: Header=BB198_9 Depth=1
	v_bfrev_b32_e32 v50, 1
	v_mov_b32_e32 v51, 0
	v_cmp_ne_u16_sdwa s6, v48, v9 src0_sel:BYTE_0 src1_sel:DWORD
	s_and_saveexec_b32 s19, s6
	s_cbranch_execz .LBB198_640
; %bb.635:                              ;   in Loop: Header=BB198_9 Depth=1
	v_mov_b32_e32 v50, 0x7f800001
	v_and_b32_e32 v49, 0x7f, v48
	v_mov_b32_e32 v51, 0
	s_mov_b32 s20, exec_lo
	v_cmpx_ne_u32_e32 0x7f, v49
	s_cbranch_execz .LBB198_639
; %bb.636:                              ;   in Loop: Header=BB198_9 Depth=1
	v_and_b32_e32 v104, 7, v48
	v_lshrrev_b32_e32 v6, 3, v49
	s_mov_b32 s21, exec_lo
	v_cmpx_gt_u32_e32 8, v49
; %bb.637:                              ;   in Loop: Header=BB198_9 Depth=1
	v_ffbh_u32_e32 v6, v104
	v_min_u32_e32 v6, 32, v6
	v_subrev_nc_u32_e32 v49, 28, v6
	v_sub_nc_u32_e32 v6, 29, v6
	v_lshlrev_b64 v[49:50], v49, v[104:105]
	v_and_b32_e32 v104, 7, v49
; %bb.638:                              ;   in Loop: Header=BB198_9 Depth=1
	s_or_b32 exec_lo, exec_lo, s21
	v_lshlrev_b32_e32 v49, 24, v48
	v_lshlrev_b32_e32 v50, 20, v104
	v_lshl_add_u32 v6, v6, 23, 0x3c000000
	v_and_b32_e32 v49, 0x80000000, v49
	v_or3_b32 v104, v50, v49, v6
	v_mov_b32_e32 v50, v104
	v_mov_b32_e32 v51, v105
.LBB198_639:                            ;   in Loop: Header=BB198_9 Depth=1
	s_or_b32 exec_lo, exec_lo, s20
.LBB198_640:                            ;   in Loop: Header=BB198_9 Depth=1
	s_or_b32 exec_lo, exec_lo, s19
.LBB198_641:                            ;   in Loop: Header=BB198_9 Depth=1
	s_or_b32 exec_lo, exec_lo, s17
	v_cmp_ne_u16_sdwa s6, v48, v105 src0_sel:BYTE_1 src1_sel:DWORD
	s_and_saveexec_b32 s17, s6
	s_cbranch_execz .LBB198_649
; %bb.642:                              ;   in Loop: Header=BB198_9 Depth=1
	v_mov_b32_e32 v100, v105
	v_cmp_ne_u16_sdwa s6, v48, v9 src0_sel:BYTE_1 src1_sel:DWORD
	v_mov_b32_e32 v36, v100
	v_mov_b32_e32 v37, v101
	s_and_saveexec_b32 s19, s6
	s_cbranch_execz .LBB198_648
; %bb.643:                              ;   in Loop: Header=BB198_9 Depth=1
	v_mov_b32_e32 v6, 0xffff
	v_mov_b32_e32 v96, v105
	s_mov_b32 s20, exec_lo
	v_and_b32_sdwa v6, v6, v48 dst_sel:DWORD dst_unused:UNUSED_PAD src0_sel:DWORD src1_sel:BYTE_1
	v_mov_b32_e32 v36, v96
	v_mov_b32_e32 v37, v97
	v_and_b32_e32 v49, 0x7f, v6
	v_cmpx_ne_u32_e32 0x7f, v49
	s_cbranch_execz .LBB198_647
; %bb.644:                              ;   in Loop: Header=BB198_9 Depth=1
	v_and_b32_e32 v104, 7, v6
	v_lshrrev_b32_e32 v6, 3, v49
	s_mov_b32 s21, exec_lo
	v_cmpx_gt_u32_e32 8, v49
; %bb.645:                              ;   in Loop: Header=BB198_9 Depth=1
	v_ffbh_u32_e32 v6, v104
	v_min_u32_e32 v6, 32, v6
	v_subrev_nc_u32_e32 v36, 28, v6
	v_sub_nc_u32_e32 v6, 29, v6
	v_lshlrev_b64 v[36:37], v36, v[104:105]
	v_and_b32_e32 v104, 7, v36
; %bb.646:                              ;   in Loop: Header=BB198_9 Depth=1
	s_or_b32 exec_lo, exec_lo, s21
	v_lshlrev_b32_e32 v36, 16, v48
	v_lshlrev_b32_e32 v37, 20, v104
	v_lshl_add_u32 v6, v6, 23, 0x3c000000
	v_and_b32_e32 v36, 0x80000000, v36
	v_or3_b32 v37, v37, v36, v6
	v_mov_b32_e32 v36, v105
.LBB198_647:                            ;   in Loop: Header=BB198_9 Depth=1
	s_or_b32 exec_lo, exec_lo, s20
.LBB198_648:                            ;   in Loop: Header=BB198_9 Depth=1
	s_or_b32 exec_lo, exec_lo, s19
.LBB198_649:                            ;   in Loop: Header=BB198_9 Depth=1
	s_or_b32 exec_lo, exec_lo, s17
	buffer_load_dword v6, off, s[0:3], s32 offset:192 ; 4-byte Folded Reload
	v_add_co_u32 v54, s6, 0xa00, v2
	v_add_co_ci_u32_e64 v55, null, 0, v3, s6
	v_mov_b32_e32 v52, 0
	v_mov_b32_e32 v53, 0
	s_waitcnt vmcnt(0)
	v_add_co_u32 v48, s6, v54, v6
	v_add_co_ci_u32_e64 v49, null, 0, v55, s6
	flat_load_ushort v6, v[48:49]
	v_mov_b32_e32 v48, 0
	v_mov_b32_e32 v49, 0
	s_waitcnt vmcnt(0) lgkmcnt(0)
	v_and_b32_e32 v64, 0xffff, v6
	v_cmp_ne_u16_sdwa s6, v6, v105 src0_sel:BYTE_0 src1_sel:DWORD
	s_and_saveexec_b32 s17, s6
	s_cbranch_execz .LBB198_657
; %bb.650:                              ;   in Loop: Header=BB198_9 Depth=1
	v_bfrev_b32_e32 v48, 1
	v_mov_b32_e32 v49, 0
	v_cmp_ne_u16_sdwa s6, v64, v9 src0_sel:BYTE_0 src1_sel:DWORD
	s_and_saveexec_b32 s19, s6
	s_cbranch_execz .LBB198_656
; %bb.651:                              ;   in Loop: Header=BB198_9 Depth=1
	v_mov_b32_e32 v48, 0x7f800001
	v_and_b32_e32 v65, 0x7f, v64
	v_mov_b32_e32 v49, 0
	s_mov_b32 s20, exec_lo
	v_cmpx_ne_u32_e32 0x7f, v65
	s_cbranch_execz .LBB198_655
; %bb.652:                              ;   in Loop: Header=BB198_9 Depth=1
	v_and_b32_e32 v104, 7, v64
	v_lshrrev_b32_e32 v6, 3, v65
	s_mov_b32 s21, exec_lo
	v_cmpx_gt_u32_e32 8, v65
; %bb.653:                              ;   in Loop: Header=BB198_9 Depth=1
	v_ffbh_u32_e32 v6, v104
	v_min_u32_e32 v6, 32, v6
	v_subrev_nc_u32_e32 v48, 28, v6
	v_sub_nc_u32_e32 v6, 29, v6
	v_lshlrev_b64 v[48:49], v48, v[104:105]
	v_and_b32_e32 v104, 7, v48
; %bb.654:                              ;   in Loop: Header=BB198_9 Depth=1
	s_or_b32 exec_lo, exec_lo, s21
	v_lshlrev_b32_e32 v48, 24, v64
	v_lshlrev_b32_e32 v49, 20, v104
	v_lshl_add_u32 v6, v6, 23, 0x3c000000
	v_and_b32_e32 v48, 0x80000000, v48
	v_or3_b32 v104, v49, v48, v6
	v_mov_b32_e32 v48, v104
	v_mov_b32_e32 v49, v105
.LBB198_655:                            ;   in Loop: Header=BB198_9 Depth=1
	s_or_b32 exec_lo, exec_lo, s20
.LBB198_656:                            ;   in Loop: Header=BB198_9 Depth=1
	s_or_b32 exec_lo, exec_lo, s19
.LBB198_657:                            ;   in Loop: Header=BB198_9 Depth=1
	s_or_b32 exec_lo, exec_lo, s17
	v_cmp_ne_u16_sdwa s6, v64, v105 src0_sel:BYTE_1 src1_sel:DWORD
	s_and_saveexec_b32 s17, s6
	s_cbranch_execz .LBB198_665
; %bb.658:                              ;   in Loop: Header=BB198_9 Depth=1
	v_mov_b32_e32 v100, v105
	v_cmp_ne_u16_sdwa s6, v64, v9 src0_sel:BYTE_1 src1_sel:DWORD
	v_mov_b32_e32 v52, v100
	v_mov_b32_e32 v53, v101
	s_and_saveexec_b32 s19, s6
	s_cbranch_execz .LBB198_664
; %bb.659:                              ;   in Loop: Header=BB198_9 Depth=1
	v_mov_b32_e32 v6, 0xffff
	v_mov_b32_e32 v96, v105
	s_mov_b32 s20, exec_lo
	v_and_b32_sdwa v6, v6, v64 dst_sel:DWORD dst_unused:UNUSED_PAD src0_sel:DWORD src1_sel:BYTE_1
	v_mov_b32_e32 v52, v96
	v_mov_b32_e32 v53, v97
	v_and_b32_e32 v65, 0x7f, v6
	v_cmpx_ne_u32_e32 0x7f, v65
	s_cbranch_execz .LBB198_663
; %bb.660:                              ;   in Loop: Header=BB198_9 Depth=1
	v_and_b32_e32 v104, 7, v6
	v_lshrrev_b32_e32 v6, 3, v65
	s_mov_b32 s21, exec_lo
	v_cmpx_gt_u32_e32 8, v65
; %bb.661:                              ;   in Loop: Header=BB198_9 Depth=1
	v_ffbh_u32_e32 v6, v104
	v_min_u32_e32 v6, 32, v6
	v_subrev_nc_u32_e32 v52, 28, v6
	v_sub_nc_u32_e32 v6, 29, v6
	v_lshlrev_b64 v[52:53], v52, v[104:105]
	v_and_b32_e32 v104, 7, v52
; %bb.662:                              ;   in Loop: Header=BB198_9 Depth=1
	s_or_b32 exec_lo, exec_lo, s21
	v_lshlrev_b32_e32 v52, 16, v64
	v_lshlrev_b32_e32 v53, 20, v104
	v_lshl_add_u32 v6, v6, 23, 0x3c000000
	v_and_b32_e32 v52, 0x80000000, v52
	v_or3_b32 v53, v53, v52, v6
	v_mov_b32_e32 v52, v105
.LBB198_663:                            ;   in Loop: Header=BB198_9 Depth=1
	s_or_b32 exec_lo, exec_lo, s20
.LBB198_664:                            ;   in Loop: Header=BB198_9 Depth=1
	s_or_b32 exec_lo, exec_lo, s19
.LBB198_665:                            ;   in Loop: Header=BB198_9 Depth=1
	s_or_b32 exec_lo, exec_lo, s17
	buffer_load_dword v6, off, s[0:3], s32 offset:196 ; 4-byte Folded Reload
	v_mov_b32_e32 v82, 0
	v_mov_b32_e32 v83, 0
	s_waitcnt vmcnt(0)
	v_add_co_u32 v64, s6, v54, v6
	v_add_co_ci_u32_e64 v65, null, 0, v55, s6
	flat_load_ushort v6, v[64:65]
	v_mov_b32_e32 v64, 0
	v_mov_b32_e32 v65, 0
	s_waitcnt vmcnt(0) lgkmcnt(0)
	v_and_b32_e32 v66, 0xffff, v6
	v_cmp_ne_u16_sdwa s6, v6, v105 src0_sel:BYTE_0 src1_sel:DWORD
	s_and_saveexec_b32 s17, s6
	s_cbranch_execz .LBB198_673
; %bb.666:                              ;   in Loop: Header=BB198_9 Depth=1
	v_bfrev_b32_e32 v64, 1
	v_mov_b32_e32 v65, 0
	v_cmp_ne_u16_sdwa s6, v66, v9 src0_sel:BYTE_0 src1_sel:DWORD
	s_and_saveexec_b32 s19, s6
	s_cbranch_execz .LBB198_672
; %bb.667:                              ;   in Loop: Header=BB198_9 Depth=1
	v_mov_b32_e32 v64, 0x7f800001
	v_and_b32_e32 v67, 0x7f, v66
	v_mov_b32_e32 v65, 0
	s_mov_b32 s20, exec_lo
	v_cmpx_ne_u32_e32 0x7f, v67
	s_cbranch_execz .LBB198_671
; %bb.668:                              ;   in Loop: Header=BB198_9 Depth=1
	v_and_b32_e32 v104, 7, v66
	v_lshrrev_b32_e32 v6, 3, v67
	s_mov_b32 s21, exec_lo
	v_cmpx_gt_u32_e32 8, v67
; %bb.669:                              ;   in Loop: Header=BB198_9 Depth=1
	v_ffbh_u32_e32 v6, v104
	v_min_u32_e32 v6, 32, v6
	v_subrev_nc_u32_e32 v64, 28, v6
	v_sub_nc_u32_e32 v6, 29, v6
	v_lshlrev_b64 v[64:65], v64, v[104:105]
	v_and_b32_e32 v104, 7, v64
; %bb.670:                              ;   in Loop: Header=BB198_9 Depth=1
	s_or_b32 exec_lo, exec_lo, s21
	v_lshlrev_b32_e32 v64, 24, v66
	v_lshlrev_b32_e32 v65, 20, v104
	v_lshl_add_u32 v6, v6, 23, 0x3c000000
	v_and_b32_e32 v64, 0x80000000, v64
	v_or3_b32 v104, v65, v64, v6
	v_mov_b32_e32 v64, v104
	v_mov_b32_e32 v65, v105
.LBB198_671:                            ;   in Loop: Header=BB198_9 Depth=1
	s_or_b32 exec_lo, exec_lo, s20
.LBB198_672:                            ;   in Loop: Header=BB198_9 Depth=1
	s_or_b32 exec_lo, exec_lo, s19
.LBB198_673:                            ;   in Loop: Header=BB198_9 Depth=1
	s_or_b32 exec_lo, exec_lo, s17
	v_cmp_ne_u16_sdwa s6, v66, v105 src0_sel:BYTE_1 src1_sel:DWORD
	s_and_saveexec_b32 s17, s6
	s_cbranch_execz .LBB198_681
; %bb.674:                              ;   in Loop: Header=BB198_9 Depth=1
	v_mov_b32_e32 v100, v105
	v_cmp_ne_u16_sdwa s6, v66, v9 src0_sel:BYTE_1 src1_sel:DWORD
	v_mov_b32_e32 v82, v100
	v_mov_b32_e32 v83, v101
	s_and_saveexec_b32 s19, s6
	s_cbranch_execz .LBB198_680
; %bb.675:                              ;   in Loop: Header=BB198_9 Depth=1
	v_mov_b32_e32 v6, 0xffff
	v_mov_b32_e32 v96, v105
	s_mov_b32 s20, exec_lo
	v_and_b32_sdwa v6, v6, v66 dst_sel:DWORD dst_unused:UNUSED_PAD src0_sel:DWORD src1_sel:BYTE_1
	v_mov_b32_e32 v82, v96
	v_mov_b32_e32 v83, v97
	v_and_b32_e32 v67, 0x7f, v6
	v_cmpx_ne_u32_e32 0x7f, v67
	s_cbranch_execz .LBB198_679
; %bb.676:                              ;   in Loop: Header=BB198_9 Depth=1
	v_and_b32_e32 v104, 7, v6
	v_lshrrev_b32_e32 v6, 3, v67
	s_mov_b32 s21, exec_lo
	v_cmpx_gt_u32_e32 8, v67
; %bb.677:                              ;   in Loop: Header=BB198_9 Depth=1
	v_ffbh_u32_e32 v6, v104
	v_min_u32_e32 v6, 32, v6
	v_subrev_nc_u32_e32 v67, 28, v6
	v_sub_nc_u32_e32 v6, 29, v6
	v_lshlrev_b64 v[67:68], v67, v[104:105]
	v_and_b32_e32 v104, 7, v67
; %bb.678:                              ;   in Loop: Header=BB198_9 Depth=1
	s_or_b32 exec_lo, exec_lo, s21
	v_lshlrev_b32_e32 v66, 16, v66
	v_lshlrev_b32_e32 v67, 20, v104
	v_lshl_add_u32 v6, v6, 23, 0x3c000000
	v_mov_b32_e32 v82, v105
	v_and_b32_e32 v66, 0x80000000, v66
	v_or3_b32 v83, v67, v66, v6
.LBB198_679:                            ;   in Loop: Header=BB198_9 Depth=1
	s_or_b32 exec_lo, exec_lo, s20
.LBB198_680:                            ;   in Loop: Header=BB198_9 Depth=1
	s_or_b32 exec_lo, exec_lo, s19
.LBB198_681:                            ;   in Loop: Header=BB198_9 Depth=1
	s_or_b32 exec_lo, exec_lo, s17
	buffer_load_dword v6, off, s[0:3], s32 offset:200 ; 4-byte Folded Reload
	v_mov_b32_e32 v80, 0
	v_mov_b32_e32 v86, 0
	;; [unrolled: 1-line block ×4, first 2 shown]
	s_waitcnt vmcnt(0)
	v_add_co_u32 v66, s6, v54, v6
	v_add_co_ci_u32_e64 v67, null, 0, v55, s6
	flat_load_ushort v6, v[66:67]
	s_waitcnt vmcnt(0) lgkmcnt(0)
	v_and_b32_e32 v66, 0xffff, v6
	v_cmp_ne_u16_sdwa s6, v6, v105 src0_sel:BYTE_0 src1_sel:DWORD
	s_and_saveexec_b32 s17, s6
	s_cbranch_execz .LBB198_689
; %bb.682:                              ;   in Loop: Header=BB198_9 Depth=1
	v_bfrev_b32_e32 v86, 1
	v_mov_b32_e32 v87, 0
	v_cmp_ne_u16_sdwa s6, v66, v9 src0_sel:BYTE_0 src1_sel:DWORD
	s_and_saveexec_b32 s19, s6
	s_cbranch_execz .LBB198_688
; %bb.683:                              ;   in Loop: Header=BB198_9 Depth=1
	v_mov_b32_e32 v86, 0x7f800001
	v_and_b32_e32 v67, 0x7f, v66
	v_mov_b32_e32 v87, 0
	s_mov_b32 s20, exec_lo
	v_cmpx_ne_u32_e32 0x7f, v67
	s_cbranch_execz .LBB198_687
; %bb.684:                              ;   in Loop: Header=BB198_9 Depth=1
	v_and_b32_e32 v104, 7, v66
	v_lshrrev_b32_e32 v6, 3, v67
	s_mov_b32 s21, exec_lo
	v_cmpx_gt_u32_e32 8, v67
; %bb.685:                              ;   in Loop: Header=BB198_9 Depth=1
	v_ffbh_u32_e32 v6, v104
	v_min_u32_e32 v6, 32, v6
	v_subrev_nc_u32_e32 v67, 28, v6
	v_sub_nc_u32_e32 v6, 29, v6
	v_lshlrev_b64 v[67:68], v67, v[104:105]
	v_and_b32_e32 v104, 7, v67
; %bb.686:                              ;   in Loop: Header=BB198_9 Depth=1
	s_or_b32 exec_lo, exec_lo, s21
	v_lshlrev_b32_e32 v67, 24, v66
	v_lshlrev_b32_e32 v68, 20, v104
	v_lshl_add_u32 v6, v6, 23, 0x3c000000
	v_and_b32_e32 v67, 0x80000000, v67
	v_or3_b32 v104, v68, v67, v6
	v_mov_b32_e32 v86, v104
	v_mov_b32_e32 v87, v105
.LBB198_687:                            ;   in Loop: Header=BB198_9 Depth=1
	s_or_b32 exec_lo, exec_lo, s20
.LBB198_688:                            ;   in Loop: Header=BB198_9 Depth=1
	s_or_b32 exec_lo, exec_lo, s19
.LBB198_689:                            ;   in Loop: Header=BB198_9 Depth=1
	s_or_b32 exec_lo, exec_lo, s17
	v_cmp_ne_u16_sdwa s6, v66, v105 src0_sel:BYTE_1 src1_sel:DWORD
	s_and_saveexec_b32 s17, s6
	s_cbranch_execz .LBB198_697
; %bb.690:                              ;   in Loop: Header=BB198_9 Depth=1
	v_mov_b32_e32 v100, v105
	v_cmp_ne_u16_sdwa s6, v66, v9 src0_sel:BYTE_1 src1_sel:DWORD
	v_mov_b32_e32 v80, v100
	v_mov_b32_e32 v81, v101
	s_and_saveexec_b32 s19, s6
	s_cbranch_execz .LBB198_696
; %bb.691:                              ;   in Loop: Header=BB198_9 Depth=1
	v_mov_b32_e32 v6, 0xffff
	v_mov_b32_e32 v96, v105
	s_mov_b32 s20, exec_lo
	v_and_b32_sdwa v6, v6, v66 dst_sel:DWORD dst_unused:UNUSED_PAD src0_sel:DWORD src1_sel:BYTE_1
	v_mov_b32_e32 v80, v96
	v_mov_b32_e32 v81, v97
	v_and_b32_e32 v67, 0x7f, v6
	v_cmpx_ne_u32_e32 0x7f, v67
	s_cbranch_execz .LBB198_695
; %bb.692:                              ;   in Loop: Header=BB198_9 Depth=1
	v_and_b32_e32 v104, 7, v6
	v_lshrrev_b32_e32 v6, 3, v67
	s_mov_b32 s21, exec_lo
	v_cmpx_gt_u32_e32 8, v67
; %bb.693:                              ;   in Loop: Header=BB198_9 Depth=1
	v_ffbh_u32_e32 v6, v104
	v_min_u32_e32 v6, 32, v6
	v_subrev_nc_u32_e32 v67, 28, v6
	v_sub_nc_u32_e32 v6, 29, v6
	v_lshlrev_b64 v[67:68], v67, v[104:105]
	v_and_b32_e32 v104, 7, v67
; %bb.694:                              ;   in Loop: Header=BB198_9 Depth=1
	s_or_b32 exec_lo, exec_lo, s21
	v_lshlrev_b32_e32 v66, 16, v66
	v_lshlrev_b32_e32 v67, 20, v104
	v_lshl_add_u32 v6, v6, 23, 0x3c000000
	v_mov_b32_e32 v80, v105
	v_and_b32_e32 v66, 0x80000000, v66
	v_or3_b32 v81, v67, v66, v6
.LBB198_695:                            ;   in Loop: Header=BB198_9 Depth=1
	s_or_b32 exec_lo, exec_lo, s20
.LBB198_696:                            ;   in Loop: Header=BB198_9 Depth=1
	s_or_b32 exec_lo, exec_lo, s19
.LBB198_697:                            ;   in Loop: Header=BB198_9 Depth=1
	s_or_b32 exec_lo, exec_lo, s17
	buffer_load_dword v6, off, s[0:3], s32 offset:204 ; 4-byte Folded Reload
	v_mov_b32_e32 v84, 0
	v_mov_b32_e32 v98, 0
	;; [unrolled: 1-line block ×4, first 2 shown]
	s_waitcnt vmcnt(0)
	v_add_co_u32 v54, s6, v54, v6
	v_add_co_ci_u32_e64 v55, null, 0, v55, s6
	flat_load_ushort v6, v[54:55]
	s_waitcnt vmcnt(0) lgkmcnt(0)
	v_and_b32_e32 v54, 0xffff, v6
	v_cmp_ne_u16_sdwa s6, v6, v105 src0_sel:BYTE_0 src1_sel:DWORD
	s_and_saveexec_b32 s17, s6
	s_cbranch_execz .LBB198_705
; %bb.698:                              ;   in Loop: Header=BB198_9 Depth=1
	v_bfrev_b32_e32 v98, 1
	v_mov_b32_e32 v99, 0
	v_cmp_ne_u16_sdwa s6, v54, v9 src0_sel:BYTE_0 src1_sel:DWORD
	s_and_saveexec_b32 s19, s6
	s_cbranch_execz .LBB198_704
; %bb.699:                              ;   in Loop: Header=BB198_9 Depth=1
	v_mov_b32_e32 v98, 0x7f800001
	v_and_b32_e32 v55, 0x7f, v54
	v_mov_b32_e32 v99, 0
	s_mov_b32 s20, exec_lo
	v_cmpx_ne_u32_e32 0x7f, v55
	s_cbranch_execz .LBB198_703
; %bb.700:                              ;   in Loop: Header=BB198_9 Depth=1
	v_and_b32_e32 v104, 7, v54
	v_lshrrev_b32_e32 v6, 3, v55
	s_mov_b32 s21, exec_lo
	v_cmpx_gt_u32_e32 8, v55
; %bb.701:                              ;   in Loop: Header=BB198_9 Depth=1
	v_ffbh_u32_e32 v6, v104
	v_min_u32_e32 v6, 32, v6
	v_subrev_nc_u32_e32 v55, 28, v6
	v_sub_nc_u32_e32 v6, 29, v6
	v_lshlrev_b64 v[66:67], v55, v[104:105]
	v_and_b32_e32 v104, 7, v66
; %bb.702:                              ;   in Loop: Header=BB198_9 Depth=1
	s_or_b32 exec_lo, exec_lo, s21
	v_lshlrev_b32_e32 v55, 24, v54
	v_lshlrev_b32_e32 v66, 20, v104
	v_lshl_add_u32 v6, v6, 23, 0x3c000000
	v_and_b32_e32 v55, 0x80000000, v55
	v_or3_b32 v104, v66, v55, v6
	v_mov_b32_e32 v98, v104
	v_mov_b32_e32 v99, v105
.LBB198_703:                            ;   in Loop: Header=BB198_9 Depth=1
	s_or_b32 exec_lo, exec_lo, s20
.LBB198_704:                            ;   in Loop: Header=BB198_9 Depth=1
	s_or_b32 exec_lo, exec_lo, s19
.LBB198_705:                            ;   in Loop: Header=BB198_9 Depth=1
	s_or_b32 exec_lo, exec_lo, s17
	v_cmp_ne_u16_sdwa s6, v54, v105 src0_sel:BYTE_1 src1_sel:DWORD
	s_and_saveexec_b32 s17, s6
	s_cbranch_execz .LBB198_713
; %bb.706:                              ;   in Loop: Header=BB198_9 Depth=1
	v_mov_b32_e32 v100, v105
	v_cmp_ne_u16_sdwa s6, v54, v9 src0_sel:BYTE_1 src1_sel:DWORD
	v_mov_b32_e32 v84, v100
	v_mov_b32_e32 v85, v101
	s_and_saveexec_b32 s19, s6
	s_cbranch_execz .LBB198_712
; %bb.707:                              ;   in Loop: Header=BB198_9 Depth=1
	v_mov_b32_e32 v6, 0xffff
	v_mov_b32_e32 v96, v105
	s_mov_b32 s20, exec_lo
	v_and_b32_sdwa v6, v6, v54 dst_sel:DWORD dst_unused:UNUSED_PAD src0_sel:DWORD src1_sel:BYTE_1
	v_mov_b32_e32 v84, v96
	v_mov_b32_e32 v85, v97
	v_and_b32_e32 v55, 0x7f, v6
	v_cmpx_ne_u32_e32 0x7f, v55
	s_cbranch_execz .LBB198_711
; %bb.708:                              ;   in Loop: Header=BB198_9 Depth=1
	v_and_b32_e32 v104, 7, v6
	v_lshrrev_b32_e32 v6, 3, v55
	s_mov_b32 s21, exec_lo
	v_cmpx_gt_u32_e32 8, v55
; %bb.709:                              ;   in Loop: Header=BB198_9 Depth=1
	v_ffbh_u32_e32 v6, v104
	v_min_u32_e32 v6, 32, v6
	v_subrev_nc_u32_e32 v55, 28, v6
	v_sub_nc_u32_e32 v6, 29, v6
	v_lshlrev_b64 v[66:67], v55, v[104:105]
	v_and_b32_e32 v104, 7, v66
; %bb.710:                              ;   in Loop: Header=BB198_9 Depth=1
	s_or_b32 exec_lo, exec_lo, s21
	v_lshlrev_b32_e32 v54, 16, v54
	v_lshlrev_b32_e32 v55, 20, v104
	v_lshl_add_u32 v6, v6, 23, 0x3c000000
	v_mov_b32_e32 v84, v105
	v_and_b32_e32 v54, 0x80000000, v54
	v_or3_b32 v85, v55, v54, v6
.LBB198_711:                            ;   in Loop: Header=BB198_9 Depth=1
	s_or_b32 exec_lo, exec_lo, s20
.LBB198_712:                            ;   in Loop: Header=BB198_9 Depth=1
	s_or_b32 exec_lo, exec_lo, s19
.LBB198_713:                            ;   in Loop: Header=BB198_9 Depth=1
	s_or_b32 exec_lo, exec_lo, s17
	v_add_co_u32 v68, s6, 0xb00, v2
	buffer_load_dword v2, off, s[0:3], s32 offset:192 ; 4-byte Folded Reload
	v_add_co_ci_u32_e64 v69, null, 0, v3, s6
	v_mov_b32_e32 v54, 0
	v_mov_b32_e32 v55, 0
	s_waitcnt vmcnt(0)
	v_add_co_u32 v2, s6, v68, v2
	v_add_co_ci_u32_e64 v3, null, 0, v69, s6
	flat_load_ushort v2, v[2:3]
	s_waitcnt vmcnt(0) lgkmcnt(0)
	v_and_b32_e32 v66, 0xffff, v2
	v_cmp_ne_u16_sdwa s6, v2, v105 src0_sel:BYTE_0 src1_sel:DWORD
	v_mov_b32_e32 v2, 0
	v_mov_b32_e32 v3, 0
	s_and_saveexec_b32 s17, s6
	s_cbranch_execz .LBB198_721
; %bb.714:                              ;   in Loop: Header=BB198_9 Depth=1
	v_bfrev_b32_e32 v2, 1
	v_mov_b32_e32 v3, 0
	v_cmp_ne_u16_sdwa s6, v66, v9 src0_sel:BYTE_0 src1_sel:DWORD
	s_and_saveexec_b32 s19, s6
	s_cbranch_execz .LBB198_720
; %bb.715:                              ;   in Loop: Header=BB198_9 Depth=1
	v_mov_b32_e32 v2, 0x7f800001
	v_and_b32_e32 v6, 0x7f, v66
	v_mov_b32_e32 v3, 0
	s_mov_b32 s20, exec_lo
	v_cmpx_ne_u32_e32 0x7f, v6
	s_cbranch_execz .LBB198_719
; %bb.716:                              ;   in Loop: Header=BB198_9 Depth=1
	v_and_b32_e32 v104, 7, v66
	v_lshrrev_b32_e32 v2, 3, v6
	s_mov_b32 s21, exec_lo
	v_cmpx_gt_u32_e32 8, v6
; %bb.717:                              ;   in Loop: Header=BB198_9 Depth=1
	v_ffbh_u32_e32 v2, v104
	v_min_u32_e32 v2, 32, v2
	v_subrev_nc_u32_e32 v3, 28, v2
	v_sub_nc_u32_e32 v2, 29, v2
	v_lshlrev_b64 v[70:71], v3, v[104:105]
	v_and_b32_e32 v104, 7, v70
; %bb.718:                              ;   in Loop: Header=BB198_9 Depth=1
	s_or_b32 exec_lo, exec_lo, s21
	v_lshlrev_b32_e32 v3, 24, v66
	v_lshlrev_b32_e32 v6, 20, v104
	v_lshl_add_u32 v2, v2, 23, 0x3c000000
	v_and_b32_e32 v3, 0x80000000, v3
	v_or3_b32 v104, v6, v3, v2
	v_mov_b32_e32 v2, v104
	v_mov_b32_e32 v3, v105
.LBB198_719:                            ;   in Loop: Header=BB198_9 Depth=1
	s_or_b32 exec_lo, exec_lo, s20
.LBB198_720:                            ;   in Loop: Header=BB198_9 Depth=1
	s_or_b32 exec_lo, exec_lo, s19
.LBB198_721:                            ;   in Loop: Header=BB198_9 Depth=1
	s_or_b32 exec_lo, exec_lo, s17
	v_cmp_ne_u16_sdwa s6, v66, v105 src0_sel:BYTE_1 src1_sel:DWORD
	s_and_saveexec_b32 s17, s6
	s_cbranch_execz .LBB198_729
; %bb.722:                              ;   in Loop: Header=BB198_9 Depth=1
	v_mov_b32_e32 v100, v105
	v_cmp_ne_u16_sdwa s6, v66, v9 src0_sel:BYTE_1 src1_sel:DWORD
	v_mov_b32_e32 v54, v100
	v_mov_b32_e32 v55, v101
	s_and_saveexec_b32 s19, s6
	s_cbranch_execz .LBB198_728
; %bb.723:                              ;   in Loop: Header=BB198_9 Depth=1
	v_mov_b32_e32 v6, 0xffff
	v_mov_b32_e32 v96, v105
	s_mov_b32 s20, exec_lo
	v_and_b32_sdwa v6, v6, v66 dst_sel:DWORD dst_unused:UNUSED_PAD src0_sel:DWORD src1_sel:BYTE_1
	v_mov_b32_e32 v54, v96
	v_mov_b32_e32 v55, v97
	v_and_b32_e32 v67, 0x7f, v6
	v_cmpx_ne_u32_e32 0x7f, v67
	s_cbranch_execz .LBB198_727
; %bb.724:                              ;   in Loop: Header=BB198_9 Depth=1
	v_and_b32_e32 v104, 7, v6
	v_lshrrev_b32_e32 v6, 3, v67
	s_mov_b32 s21, exec_lo
	v_cmpx_gt_u32_e32 8, v67
; %bb.725:                              ;   in Loop: Header=BB198_9 Depth=1
	v_ffbh_u32_e32 v6, v104
	v_min_u32_e32 v6, 32, v6
	v_subrev_nc_u32_e32 v54, 28, v6
	v_sub_nc_u32_e32 v6, 29, v6
	v_lshlrev_b64 v[54:55], v54, v[104:105]
	v_and_b32_e32 v104, 7, v54
; %bb.726:                              ;   in Loop: Header=BB198_9 Depth=1
	s_or_b32 exec_lo, exec_lo, s21
	v_lshlrev_b32_e32 v54, 16, v66
	v_lshlrev_b32_e32 v55, 20, v104
	v_lshl_add_u32 v6, v6, 23, 0x3c000000
	v_and_b32_e32 v54, 0x80000000, v54
	v_or3_b32 v55, v55, v54, v6
	v_mov_b32_e32 v54, v105
.LBB198_727:                            ;   in Loop: Header=BB198_9 Depth=1
	s_or_b32 exec_lo, exec_lo, s20
.LBB198_728:                            ;   in Loop: Header=BB198_9 Depth=1
	s_or_b32 exec_lo, exec_lo, s19
.LBB198_729:                            ;   in Loop: Header=BB198_9 Depth=1
	s_or_b32 exec_lo, exec_lo, s17
	buffer_load_dword v6, off, s[0:3], s32 offset:196 ; 4-byte Folded Reload
	v_mov_b32_e32 v70, 0
	v_mov_b32_e32 v71, 0
	s_waitcnt vmcnt(0)
	v_add_co_u32 v66, s6, v68, v6
	v_add_co_ci_u32_e64 v67, null, 0, v69, s6
	flat_load_ushort v6, v[66:67]
	v_mov_b32_e32 v66, 0
	v_mov_b32_e32 v67, 0
	s_waitcnt vmcnt(0) lgkmcnt(0)
	v_and_b32_e32 v112, 0xffff, v6
	v_cmp_ne_u16_sdwa s6, v6, v105 src0_sel:BYTE_0 src1_sel:DWORD
	s_and_saveexec_b32 s17, s6
	s_cbranch_execz .LBB198_737
; %bb.730:                              ;   in Loop: Header=BB198_9 Depth=1
	v_bfrev_b32_e32 v66, 1
	v_mov_b32_e32 v67, 0
	v_cmp_ne_u16_sdwa s6, v112, v9 src0_sel:BYTE_0 src1_sel:DWORD
	s_and_saveexec_b32 s19, s6
	s_cbranch_execz .LBB198_736
; %bb.731:                              ;   in Loop: Header=BB198_9 Depth=1
	v_mov_b32_e32 v66, 0x7f800001
	v_and_b32_e32 v96, 0x7f, v112
	v_mov_b32_e32 v67, 0
	s_mov_b32 s20, exec_lo
	v_cmpx_ne_u32_e32 0x7f, v96
	s_cbranch_execz .LBB198_735
; %bb.732:                              ;   in Loop: Header=BB198_9 Depth=1
	v_and_b32_e32 v104, 7, v112
	v_lshrrev_b32_e32 v6, 3, v96
	s_mov_b32 s21, exec_lo
	v_cmpx_gt_u32_e32 8, v96
; %bb.733:                              ;   in Loop: Header=BB198_9 Depth=1
	v_ffbh_u32_e32 v6, v104
	v_min_u32_e32 v6, 32, v6
	v_subrev_nc_u32_e32 v66, 28, v6
	v_sub_nc_u32_e32 v6, 29, v6
	v_lshlrev_b64 v[66:67], v66, v[104:105]
	v_and_b32_e32 v104, 7, v66
; %bb.734:                              ;   in Loop: Header=BB198_9 Depth=1
	s_or_b32 exec_lo, exec_lo, s21
	v_lshlrev_b32_e32 v66, 24, v112
	v_lshlrev_b32_e32 v67, 20, v104
	v_lshl_add_u32 v6, v6, 23, 0x3c000000
	v_and_b32_e32 v66, 0x80000000, v66
	v_or3_b32 v104, v67, v66, v6
	v_mov_b32_e32 v66, v104
	v_mov_b32_e32 v67, v105
.LBB198_735:                            ;   in Loop: Header=BB198_9 Depth=1
	s_or_b32 exec_lo, exec_lo, s20
.LBB198_736:                            ;   in Loop: Header=BB198_9 Depth=1
	s_or_b32 exec_lo, exec_lo, s19
.LBB198_737:                            ;   in Loop: Header=BB198_9 Depth=1
	s_or_b32 exec_lo, exec_lo, s17
	v_cmp_ne_u16_sdwa s6, v112, v105 src0_sel:BYTE_1 src1_sel:DWORD
	s_and_saveexec_b32 s17, s6
	s_cbranch_execz .LBB198_745
; %bb.738:                              ;   in Loop: Header=BB198_9 Depth=1
	v_mov_b32_e32 v100, v105
	v_cmp_ne_u16_sdwa s6, v112, v9 src0_sel:BYTE_1 src1_sel:DWORD
	v_mov_b32_e32 v70, v100
	v_mov_b32_e32 v71, v101
	s_and_saveexec_b32 s19, s6
	s_cbranch_execz .LBB198_744
; %bb.739:                              ;   in Loop: Header=BB198_9 Depth=1
	v_mov_b32_e32 v6, 0xffff
	v_mov_b32_e32 v96, v105
	s_mov_b32 s20, exec_lo
	v_and_b32_sdwa v6, v6, v112 dst_sel:DWORD dst_unused:UNUSED_PAD src0_sel:DWORD src1_sel:BYTE_1
	v_mov_b32_e32 v70, v96
	v_mov_b32_e32 v71, v97
	v_and_b32_e32 v100, 0x7f, v6
	v_cmpx_ne_u32_e32 0x7f, v100
	s_cbranch_execz .LBB198_743
; %bb.740:                              ;   in Loop: Header=BB198_9 Depth=1
	v_and_b32_e32 v104, 7, v6
	v_lshrrev_b32_e32 v6, 3, v100
	s_mov_b32 s21, exec_lo
	v_cmpx_gt_u32_e32 8, v100
; %bb.741:                              ;   in Loop: Header=BB198_9 Depth=1
	v_ffbh_u32_e32 v6, v104
	v_min_u32_e32 v6, 32, v6
	v_subrev_nc_u32_e32 v70, 28, v6
	v_sub_nc_u32_e32 v6, 29, v6
	v_lshlrev_b64 v[70:71], v70, v[104:105]
	v_and_b32_e32 v104, 7, v70
; %bb.742:                              ;   in Loop: Header=BB198_9 Depth=1
	s_or_b32 exec_lo, exec_lo, s21
	v_lshlrev_b32_e32 v70, 16, v112
	v_lshlrev_b32_e32 v71, 20, v104
	v_lshl_add_u32 v6, v6, 23, 0x3c000000
	v_and_b32_e32 v70, 0x80000000, v70
	v_or3_b32 v71, v71, v70, v6
	v_mov_b32_e32 v70, v105
.LBB198_743:                            ;   in Loop: Header=BB198_9 Depth=1
	s_or_b32 exec_lo, exec_lo, s20
.LBB198_744:                            ;   in Loop: Header=BB198_9 Depth=1
	s_or_b32 exec_lo, exec_lo, s19
.LBB198_745:                            ;   in Loop: Header=BB198_9 Depth=1
	s_or_b32 exec_lo, exec_lo, s17
	buffer_load_dword v6, off, s[0:3], s32 offset:200 ; 4-byte Folded Reload
	v_mov_b32_e32 v110, 0
	v_mov_b32_e32 v111, 0
	s_waitcnt vmcnt(0)
	v_add_co_u32 v112, s6, v68, v6
	v_add_co_ci_u32_e64 v113, null, 0, v69, s6
	flat_load_ushort v6, v[112:113]
	v_mov_b32_e32 v112, 0
	v_mov_b32_e32 v113, 0
	s_waitcnt vmcnt(0) lgkmcnt(0)
	v_and_b32_e32 v120, 0xffff, v6
	v_cmp_ne_u16_sdwa s6, v6, v105 src0_sel:BYTE_0 src1_sel:DWORD
	s_and_saveexec_b32 s17, s6
	s_cbranch_execz .LBB198_753
; %bb.746:                              ;   in Loop: Header=BB198_9 Depth=1
	v_bfrev_b32_e32 v112, 1
	v_mov_b32_e32 v113, 0
	v_cmp_ne_u16_sdwa s6, v120, v9 src0_sel:BYTE_0 src1_sel:DWORD
	s_and_saveexec_b32 s19, s6
	s_cbranch_execz .LBB198_752
; %bb.747:                              ;   in Loop: Header=BB198_9 Depth=1
	v_mov_b32_e32 v112, 0x7f800001
	v_and_b32_e32 v96, 0x7f, v120
	v_mov_b32_e32 v113, 0
	s_mov_b32 s20, exec_lo
	v_cmpx_ne_u32_e32 0x7f, v96
	s_cbranch_execz .LBB198_751
; %bb.748:                              ;   in Loop: Header=BB198_9 Depth=1
	v_and_b32_e32 v104, 7, v120
	v_lshrrev_b32_e32 v6, 3, v96
	s_mov_b32 s21, exec_lo
	v_cmpx_gt_u32_e32 8, v96
; %bb.749:                              ;   in Loop: Header=BB198_9 Depth=1
	v_ffbh_u32_e32 v6, v104
	v_min_u32_e32 v6, 32, v6
	v_subrev_nc_u32_e32 v96, 28, v6
	v_sub_nc_u32_e32 v6, 29, v6
	v_lshlrev_b64 v[112:113], v96, v[104:105]
	v_and_b32_e32 v104, 7, v112
; %bb.750:                              ;   in Loop: Header=BB198_9 Depth=1
	s_or_b32 exec_lo, exec_lo, s21
	v_lshlrev_b32_e32 v96, 24, v120
	v_lshlrev_b32_e32 v100, 20, v104
	v_lshl_add_u32 v6, v6, 23, 0x3c000000
	v_and_b32_e32 v96, 0x80000000, v96
	v_or3_b32 v104, v100, v96, v6
	v_mov_b32_e32 v113, v105
	v_mov_b32_e32 v112, v104
.LBB198_751:                            ;   in Loop: Header=BB198_9 Depth=1
	s_or_b32 exec_lo, exec_lo, s20
.LBB198_752:                            ;   in Loop: Header=BB198_9 Depth=1
	s_or_b32 exec_lo, exec_lo, s19
.LBB198_753:                            ;   in Loop: Header=BB198_9 Depth=1
	s_or_b32 exec_lo, exec_lo, s17
	v_cmp_ne_u16_sdwa s6, v120, v105 src0_sel:BYTE_1 src1_sel:DWORD
	s_and_saveexec_b32 s17, s6
	s_cbranch_execz .LBB198_761
; %bb.754:                              ;   in Loop: Header=BB198_9 Depth=1
	v_mov_b32_e32 v100, v105
	v_mov_b32_e32 v111, v101
	v_cmp_ne_u16_sdwa s6, v120, v9 src0_sel:BYTE_1 src1_sel:DWORD
	v_mov_b32_e32 v110, v100
	s_and_saveexec_b32 s19, s6
	s_cbranch_execz .LBB198_760
; %bb.755:                              ;   in Loop: Header=BB198_9 Depth=1
	v_mov_b32_e32 v6, 0xffff
	v_mov_b32_e32 v96, v105
	;; [unrolled: 1-line block ×3, first 2 shown]
	s_mov_b32 s20, exec_lo
	v_and_b32_sdwa v6, v6, v120 dst_sel:DWORD dst_unused:UNUSED_PAD src0_sel:DWORD src1_sel:BYTE_1
	v_mov_b32_e32 v110, v96
	v_and_b32_e32 v100, 0x7f, v6
	v_cmpx_ne_u32_e32 0x7f, v100
	s_cbranch_execz .LBB198_759
; %bb.756:                              ;   in Loop: Header=BB198_9 Depth=1
	v_and_b32_e32 v104, 7, v6
	v_lshrrev_b32_e32 v6, 3, v100
	s_mov_b32 s21, exec_lo
	v_cmpx_gt_u32_e32 8, v100
; %bb.757:                              ;   in Loop: Header=BB198_9 Depth=1
	v_ffbh_u32_e32 v6, v104
	v_min_u32_e32 v6, 32, v6
	v_subrev_nc_u32_e32 v96, 28, v6
	v_sub_nc_u32_e32 v6, 29, v6
	v_lshlrev_b64 v[110:111], v96, v[104:105]
	v_and_b32_e32 v104, 7, v110
; %bb.758:                              ;   in Loop: Header=BB198_9 Depth=1
	s_or_b32 exec_lo, exec_lo, s21
	v_lshlrev_b32_e32 v96, 16, v120
	v_lshlrev_b32_e32 v100, 20, v104
	v_lshl_add_u32 v6, v6, 23, 0x3c000000
	v_mov_b32_e32 v110, v105
	v_and_b32_e32 v96, 0x80000000, v96
	v_or3_b32 v111, v100, v96, v6
.LBB198_759:                            ;   in Loop: Header=BB198_9 Depth=1
	s_or_b32 exec_lo, exec_lo, s20
.LBB198_760:                            ;   in Loop: Header=BB198_9 Depth=1
	s_or_b32 exec_lo, exec_lo, s19
.LBB198_761:                            ;   in Loop: Header=BB198_9 Depth=1
	s_or_b32 exec_lo, exec_lo, s17
	buffer_load_dword v6, off, s[0:3], s32 offset:204 ; 4-byte Folded Reload
	v_mov_b32_e32 v120, 0
	v_mov_b32_e32 v121, 0
	s_waitcnt vmcnt(0)
	v_add_co_u32 v68, s6, v68, v6
	v_add_co_ci_u32_e64 v69, null, 0, v69, s6
	flat_load_ushort v68, v[68:69]
	s_waitcnt vmcnt(0) lgkmcnt(0)
	v_and_b32_e32 v6, 0xffff, v68
	v_cmp_ne_u16_sdwa s6, v68, v105 src0_sel:BYTE_0 src1_sel:DWORD
	v_mov_b32_e32 v68, 0
	v_mov_b32_e32 v69, 0
	s_and_saveexec_b32 s17, s6
	s_cbranch_execz .LBB198_769
; %bb.762:                              ;   in Loop: Header=BB198_9 Depth=1
	v_bfrev_b32_e32 v68, 1
	v_mov_b32_e32 v69, 0
	v_cmp_ne_u16_sdwa s6, v6, v9 src0_sel:BYTE_0 src1_sel:DWORD
	s_and_saveexec_b32 s19, s6
	s_cbranch_execz .LBB198_768
; %bb.763:                              ;   in Loop: Header=BB198_9 Depth=1
	v_mov_b32_e32 v68, 0x7f800001
	v_and_b32_e32 v96, 0x7f, v6
	v_mov_b32_e32 v69, 0
	s_mov_b32 s20, exec_lo
	v_cmpx_ne_u32_e32 0x7f, v96
	s_cbranch_execz .LBB198_767
; %bb.764:                              ;   in Loop: Header=BB198_9 Depth=1
	v_and_b32_e32 v104, 7, v6
	v_lshrrev_b32_e32 v68, 3, v96
	s_mov_b32 s21, exec_lo
	v_cmpx_gt_u32_e32 8, v96
; %bb.765:                              ;   in Loop: Header=BB198_9 Depth=1
	v_ffbh_u32_e32 v68, v104
	v_min_u32_e32 v68, 32, v68
	v_subrev_nc_u32_e32 v69, 28, v68
	v_sub_nc_u32_e32 v68, 29, v68
	v_lshlrev_b64 v[114:115], v69, v[104:105]
	v_and_b32_e32 v104, 7, v114
; %bb.766:                              ;   in Loop: Header=BB198_9 Depth=1
	s_or_b32 exec_lo, exec_lo, s21
	v_lshlrev_b32_e32 v69, 24, v6
	v_lshlrev_b32_e32 v96, 20, v104
	v_lshl_add_u32 v68, v68, 23, 0x3c000000
	v_and_b32_e32 v69, 0x80000000, v69
	v_or3_b32 v104, v96, v69, v68
	v_mov_b32_e32 v68, v104
	v_mov_b32_e32 v69, v105
.LBB198_767:                            ;   in Loop: Header=BB198_9 Depth=1
	s_or_b32 exec_lo, exec_lo, s20
.LBB198_768:                            ;   in Loop: Header=BB198_9 Depth=1
	s_or_b32 exec_lo, exec_lo, s19
.LBB198_769:                            ;   in Loop: Header=BB198_9 Depth=1
	s_or_b32 exec_lo, exec_lo, s17
	v_cmp_ne_u16_sdwa s6, v6, v105 src0_sel:BYTE_1 src1_sel:DWORD
	s_and_saveexec_b32 s17, s6
	s_cbranch_execz .LBB198_777
; %bb.770:                              ;   in Loop: Header=BB198_9 Depth=1
	v_mov_b32_e32 v100, v105
	v_mov_b32_e32 v121, v101
	v_cmp_ne_u16_sdwa s6, v6, v9 src0_sel:BYTE_1 src1_sel:DWORD
	v_mov_b32_e32 v120, v100
	s_and_saveexec_b32 s19, s6
	s_cbranch_execz .LBB198_776
; %bb.771:                              ;   in Loop: Header=BB198_9 Depth=1
	v_mov_b32_e32 v96, 0xffff
	s_mov_b32 s20, exec_lo
	v_and_b32_sdwa v104, v96, v6 dst_sel:DWORD dst_unused:UNUSED_PAD src0_sel:DWORD src1_sel:BYTE_1
	v_mov_b32_e32 v96, v105
	v_mov_b32_e32 v121, v97
	v_and_b32_e32 v100, 0x7f, v104
	v_mov_b32_e32 v120, v96
	v_cmpx_ne_u32_e32 0x7f, v100
	s_cbranch_execz .LBB198_775
; %bb.772:                              ;   in Loop: Header=BB198_9 Depth=1
	v_and_b32_e32 v104, 7, v104
	v_lshrrev_b32_e32 v96, 3, v100
	s_mov_b32 s21, exec_lo
	v_cmpx_gt_u32_e32 8, v100
; %bb.773:                              ;   in Loop: Header=BB198_9 Depth=1
	v_ffbh_u32_e32 v96, v104
	v_min_u32_e32 v96, 32, v96
	v_subrev_nc_u32_e32 v100, 28, v96
	v_sub_nc_u32_e32 v96, 29, v96
	v_lshlrev_b64 v[114:115], v100, v[104:105]
	v_and_b32_e32 v104, 7, v114
; %bb.774:                              ;   in Loop: Header=BB198_9 Depth=1
	s_or_b32 exec_lo, exec_lo, s21
	v_lshlrev_b32_e32 v6, 16, v6
	v_lshlrev_b32_e32 v100, 20, v104
	v_lshl_add_u32 v96, v96, 23, 0x3c000000
	v_mov_b32_e32 v120, v105
	v_and_b32_e32 v6, 0x80000000, v6
	v_or3_b32 v121, v100, v6, v96
.LBB198_775:                            ;   in Loop: Header=BB198_9 Depth=1
	s_or_b32 exec_lo, exec_lo, s20
.LBB198_776:                            ;   in Loop: Header=BB198_9 Depth=1
	s_or_b32 exec_lo, exec_lo, s19
.LBB198_777:                            ;   in Loop: Header=BB198_9 Depth=1
	s_or_b32 exec_lo, exec_lo, s17
	v_or_b32_e32 v14, v18, v14
	v_or_b32_e32 v6, v17, v103
	;; [unrolled: 1-line block ×4, first 2 shown]
	s_clause 0x1
	buffer_load_dword v0, off, s[0:3], s32 offset:516
	buffer_load_dword v1, off, s[0:3], s32 offset:520
	v_or_b32_e32 v64, v82, v64
	v_or_b32_e32 v49, v53, v49
	;; [unrolled: 1-line block ×38, first 2 shown]
	v_mul_f32_e32 v52, v117, v52
	v_mul_f32_e32 v51, v117, v51
	;; [unrolled: 1-line block ×10, first 2 shown]
	v_or_b32_e32 v15, v19, v15
	v_or_b32_e32 v19, v21, v123
	;; [unrolled: 1-line block ×3, first 2 shown]
	v_mul_f32_e32 v26, v117, v26
	v_mul_f32_e32 v23, v117, v23
	v_mul_f32_e32 v22, v117, v22
	v_or_b32_e32 v20, v20, v122
	v_mul_f32_e32 v21, v117, v21
	v_mul_f32_e32 v19, v117, v19
	;; [unrolled: 1-line block ×5, first 2 shown]
	v_or_b32_e32 v16, v106, v124
	v_or_b32_e32 v11, v107, v125
	v_mul_f32_e32 v10, v117, v10
	v_mul_f32_e32 v6, v117, v6
	;; [unrolled: 1-line block ×5, first 2 shown]
	v_or_b32_e32 v3, v55, v3
	v_or_b32_e32 v2, v54, v2
	v_mul_f32_e32 v3, v117, v3
	v_mul_f32_e32 v2, v117, v2
	s_waitcnt vmcnt(1)
	v_or_b32_e32 v82, v42, v0
	s_waitcnt vmcnt(0)
	v_or_b32_e32 v53, v43, v1
	s_clause 0x1
	buffer_load_dword v0, off, s[0:3], s32 offset:508
	buffer_load_dword v1, off, s[0:3], s32 offset:512
	v_mul_f32_e32 v82, v117, v82
	v_mul_f32_e32 v53, v117, v53
	s_waitcnt vmcnt(1)
	v_or_b32_e32 v86, v118, v0
	s_waitcnt vmcnt(0)
	v_or_b32_e32 v83, v119, v1
	s_clause 0x3
	buffer_load_dword v0, off, s[0:3], s32 offset:492
	buffer_load_dword v1, off, s[0:3], s32 offset:496
	buffer_load_dword v98, off, s[0:3], s32 offset:500
	buffer_load_dword v99, off, s[0:3], s32 offset:504
	v_mul_f32_e32 v86, v117, v86
	v_mul_f32_e32 v83, v117, v83
	s_waitcnt vmcnt(1)
	v_or_b32_e32 v98, v98, v0
	s_waitcnt vmcnt(0)
	v_or_b32_e32 v87, v99, v1
	s_clause 0x3
	buffer_load_dword v0, off, s[0:3], s32 offset:476
	buffer_load_dword v1, off, s[0:3], s32 offset:480
	;; [unrolled: 11-line block ×19, first 2 shown]
	v_mul_f32_e32 v0, v117, v0
	v_mul_f32_e32 v1, v117, v1
	s_waitcnt vmcnt(1)
	v_or_b32_e32 v88, v90, v88
	s_waitcnt vmcnt(0)
	v_or_b32_e32 v79, v91, v89
	s_clause 0x3
	buffer_load_dword v89, off, s[0:3], s32 offset:560
	buffer_load_dword v90, off, s[0:3], s32 offset:564
	;; [unrolled: 1-line block ×4, first 2 shown]
	v_mul_f32_e32 v88, v117, v88
	v_mul_f32_e32 v79, v117, v79
	s_waitcnt vmcnt(1)
	v_mul_f32_e32 v0, v91, v0
	s_waitcnt vmcnt(0)
	v_mul_f32_e32 v1, v92, v1
	v_fmac_f32_e32 v0, v89, v88
	v_fmac_f32_e32 v1, v90, v79
	s_clause 0x3
	buffer_load_dword v88, off, s[0:3], s32 offset:576
	buffer_load_dword v89, off, s[0:3], s32 offset:580
	;; [unrolled: 1-line block ×4, first 2 shown]
	s_waitcnt vmcnt(3)
	v_fmac_f32_e32 v0, v88, v78
	s_waitcnt vmcnt(2)
	v_fmac_f32_e32 v1, v89, v77
	s_waitcnt vmcnt(1)
	v_fmac_f32_e32 v0, v90, v76
	s_waitcnt vmcnt(0)
	v_fmac_f32_e32 v1, v91, v75
	s_clause 0x3
	buffer_load_dword v75, off, s[0:3], s32 offset:592
	buffer_load_dword v76, off, s[0:3], s32 offset:596
	buffer_load_dword v77, off, s[0:3], s32 offset:600
	buffer_load_dword v78, off, s[0:3], s32 offset:604
	s_waitcnt vmcnt(3)
	v_fmac_f32_e32 v0, v75, v74
	s_waitcnt vmcnt(2)
	v_fmac_f32_e32 v1, v76, v73
	s_waitcnt vmcnt(1)
	v_fmac_f32_e32 v0, v77, v72
	s_clause 0x3
	buffer_load_dword v72, off, s[0:3], s32 offset:608
	buffer_load_dword v73, off, s[0:3], s32 offset:612
	buffer_load_dword v74, off, s[0:3], s32 offset:616
	buffer_load_dword v75, off, s[0:3], s32 offset:620
	s_waitcnt vmcnt(4)
	v_fmac_f32_e32 v1, v78, v63
	s_waitcnt vmcnt(3)
	v_fmac_f32_e32 v0, v72, v62
	s_waitcnt vmcnt(2)
	v_fmac_f32_e32 v1, v73, v61
	s_waitcnt vmcnt(1)
	v_fmac_f32_e32 v0, v74, v60
	s_waitcnt vmcnt(0)
	v_fmac_f32_e32 v1, v75, v59
	s_clause 0x3
	buffer_load_dword v59, off, s[0:3], s32 offset:624
	buffer_load_dword v60, off, s[0:3], s32 offset:628
	buffer_load_dword v61, off, s[0:3], s32 offset:632
	buffer_load_dword v62, off, s[0:3], s32 offset:636
	s_waitcnt vmcnt(3)
	v_fmac_f32_e32 v0, v59, v58
	s_waitcnt vmcnt(2)
	v_fmac_f32_e32 v1, v60, v57
	s_waitcnt vmcnt(1)
	v_fmac_f32_e32 v0, v61, v56
	s_clause 0x3
	buffer_load_dword v56, off, s[0:3], s32 offset:640
	buffer_load_dword v57, off, s[0:3], s32 offset:644
	buffer_load_dword v58, off, s[0:3], s32 offset:648
	buffer_load_dword v59, off, s[0:3], s32 offset:652
	s_waitcnt vmcnt(4)
	v_fmac_f32_e32 v1, v62, v47
	;; [unrolled: 26-line block ×3, first 2 shown]
	s_waitcnt vmcnt(3)
	v_fmac_f32_e32 v0, v40, v118
	s_waitcnt vmcnt(2)
	v_fmac_f32_e32 v1, v41, v115
	;; [unrolled: 2-line block ×4, first 2 shown]
	s_clause 0x3
	buffer_load_dword v40, off, s[0:3], s32 offset:688
	buffer_load_dword v41, off, s[0:3], s32 offset:692
	;; [unrolled: 1-line block ×4, first 2 shown]
	s_waitcnt vmcnt(3)
	v_fmac_f32_e32 v0, v40, v112
	s_clause 0x3
	buffer_load_dword v112, off, s[0:3], s32 offset:704
	buffer_load_dword v113, off, s[0:3], s32 offset:708
	;; [unrolled: 1-line block ×4, first 2 shown]
	s_waitcnt vmcnt(6)
	v_fmac_f32_e32 v1, v41, v103
	s_waitcnt vmcnt(5)
	v_fmac_f32_e32 v0, v42, v102
	;; [unrolled: 2-line block ×7, first 2 shown]
	s_clause 0x3
	buffer_load_dword v112, off, s[0:3], s32 offset:720
	buffer_load_dword v113, off, s[0:3], s32 offset:724
	;; [unrolled: 1-line block ×4, first 2 shown]
	s_waitcnt vmcnt(3)
	v_fmac_f32_e32 v0, v112, v82
	s_waitcnt vmcnt(2)
	v_fmac_f32_e32 v1, v113, v53
	;; [unrolled: 2-line block ×4, first 2 shown]
	s_clause 0x3
	buffer_load_dword v112, off, s[0:3], s32 offset:736
	buffer_load_dword v113, off, s[0:3], s32 offset:740
	;; [unrolled: 1-line block ×4, first 2 shown]
	s_waitcnt vmcnt(3)
	v_fmac_f32_e32 v0, v112, v50
	s_clause 0x3
	buffer_load_dword v50, off, s[0:3], s32 offset:752
	buffer_load_dword v51, off, s[0:3], s32 offset:756
	;; [unrolled: 1-line block ×4, first 2 shown]
	s_waitcnt vmcnt(6)
	v_fmac_f32_e32 v1, v113, v39
	s_waitcnt vmcnt(5)
	v_fmac_f32_e32 v0, v114, v38
	;; [unrolled: 2-line block ×7, first 2 shown]
	s_clause 0x3
	buffer_load_dword v50, off, s[0:3], s32 offset:772
	buffer_load_dword v51, off, s[0:3], s32 offset:776
	buffer_load_dword v52, off, s[0:3], s32 offset:780
	buffer_load_dword v53, off, s[0:3], s32 offset:784
	s_waitcnt vmcnt(3)
	v_fmac_f32_e32 v0, v50, v26
	s_waitcnt vmcnt(2)
	v_fmac_f32_e32 v1, v51, v23
	;; [unrolled: 2-line block ×4, first 2 shown]
	s_clause 0x3
	buffer_load_dword v50, off, s[0:3], s32 offset:788
	buffer_load_dword v51, off, s[0:3], s32 offset:792
	;; [unrolled: 1-line block ×4, first 2 shown]
	s_waitcnt vmcnt(3)
	v_fmac_f32_e32 v0, v50, v20
	s_waitcnt vmcnt(2)
	v_fmac_f32_e32 v1, v51, v19
	;; [unrolled: 2-line block ×4, first 2 shown]
	s_clause 0x3
	buffer_load_dword v17, off, s[0:3], s32 offset:804
	buffer_load_dword v18, off, s[0:3], s32 offset:808
	;; [unrolled: 1-line block ×4, first 2 shown]
	s_waitcnt vmcnt(3)
	v_fmac_f32_e32 v0, v17, v16
	s_waitcnt vmcnt(2)
	v_fmac_f32_e32 v1, v18, v11
	;; [unrolled: 2-line block ×3, first 2 shown]
	s_clause 0x3
	buffer_load_dword v16, off, s[0:3], s32 offset:820
	buffer_load_dword v17, off, s[0:3], s32 offset:824
	;; [unrolled: 1-line block ×4, first 2 shown]
	s_waitcnt vmcnt(4)
	v_fmac_f32_e32 v1, v20, v6
	v_mul_f32_e32 v6, v117, v8
	s_waitcnt vmcnt(3)
	v_fmac_f32_e32 v0, v16, v6
	v_mul_f32_e32 v6, v117, v7
	s_waitcnt vmcnt(1)
	v_fmac_f32_e32 v0, v18, v4
	v_fmac_f32_e32 v1, v17, v6
	v_mul_f32_e32 v4, v117, v5
	s_clause 0x3
	buffer_load_dword v5, off, s[0:3], s32 offset:836
	buffer_load_dword v6, off, s[0:3], s32 offset:840
	;; [unrolled: 1-line block ×4, first 2 shown]
	s_waitcnt vmcnt(4)
	v_fmac_f32_e32 v1, v19, v4
	v_mul_f32_e32 v4, v117, v14
	s_waitcnt vmcnt(3)
	v_fmac_f32_e32 v0, v5, v4
	v_mul_f32_e32 v4, v117, v15
	;; [unrolled: 3-line block ×4, first 2 shown]
	s_waitcnt vmcnt(0)
	v_fmac_f32_e32 v1, v8, v4
	s_clause 0x7
	buffer_load_dword v5, off, s[0:3], s32 offset:852
	buffer_load_dword v6, off, s[0:3], s32 offset:856
	;; [unrolled: 1-line block ×8, first 2 shown]
	v_mul_f32_e32 v4, v117, v24
	s_waitcnt vmcnt(7)
	v_fmac_f32_e32 v0, v5, v4
	v_mul_f32_e32 v4, v117, v25
	v_mul_f32_e32 v5, v117, v37
	s_waitcnt vmcnt(6)
	v_fmac_f32_e32 v1, v6, v4
	v_mul_f32_e32 v4, v117, v28
	;; [unrolled: 4-line block ×5, first 2 shown]
	s_waitcnt vmcnt(2)
	v_fmac_f32_e32 v1, v11, v4
	v_mul_f32_e32 v4, v117, v36
	s_waitcnt vmcnt(0)
	v_fmac_f32_e32 v1, v13, v5
	v_fmac_f32_e32 v0, v12, v4
	s_clause 0x3
	buffer_load_dword v10, off, s[0:3], s32 offset:884
	buffer_load_dword v11, off, s[0:3], s32 offset:888
	;; [unrolled: 1-line block ×4, first 2 shown]
	v_mul_f32_e32 v5, v117, v65
	v_or_b32_e32 v4, v71, v67
	v_mul_f32_e32 v4, v117, v4
	s_waitcnt vmcnt(3)
	v_fmac_f32_e32 v0, v10, v8
	s_waitcnt vmcnt(2)
	v_fmac_f32_e32 v1, v11, v6
	v_mul_f32_e32 v6, v117, v81
	v_mul_f32_e32 v8, v117, v80
	s_waitcnt vmcnt(1)
	v_fmac_f32_e32 v0, v12, v7
	s_waitcnt vmcnt(0)
	v_fmac_f32_e32 v1, v13, v5
	s_clause 0x3
	buffer_load_dword v10, off, s[0:3], s32 offset:900
	buffer_load_dword v11, off, s[0:3], s32 offset:904
	;; [unrolled: 1-line block ×4, first 2 shown]
	v_mul_f32_e32 v5, v117, v85
	v_mul_f32_e32 v7, v117, v84
	s_waitcnt vmcnt(3)
	v_fmac_f32_e32 v0, v10, v8
	s_waitcnt vmcnt(2)
	v_fmac_f32_e32 v1, v11, v6
	v_or_b32_e32 v6, v70, v66
	s_waitcnt vmcnt(1)
	v_fmac_f32_e32 v0, v12, v7
	s_waitcnt vmcnt(0)
	v_fmac_f32_e32 v1, v13, v5
	s_clause 0x3
	buffer_load_dword v10, off, s[0:3], s32 offset:916
	buffer_load_dword v11, off, s[0:3], s32 offset:920
	;; [unrolled: 1-line block ×4, first 2 shown]
	v_mul_f32_e32 v6, v117, v6
	v_mul_f32_e32 v5, v117, v100
	v_or_b32_e32 v7, v120, v68
	s_waitcnt vmcnt(3)
	v_fmac_f32_e32 v0, v10, v2
	s_waitcnt vmcnt(2)
	v_fmac_f32_e32 v1, v11, v3
	v_mul_f32_e32 v2, v117, v96
	v_or_b32_e32 v3, v121, v69
	s_waitcnt vmcnt(1)
	v_fmac_f32_e32 v0, v12, v6
	s_waitcnt vmcnt(0)
	v_fmac_f32_e32 v1, v13, v4
	s_clause 0x3
	buffer_load_dword v10, off, s[0:3], s32 offset:932
	buffer_load_dword v11, off, s[0:3], s32 offset:936
	;; [unrolled: 1-line block ×4, first 2 shown]
	v_mul_f32_e32 v3, v117, v3
	v_mul_f32_e32 v4, v117, v7
	s_waitcnt vmcnt(3)
	v_fmac_f32_e32 v0, v10, v2
	s_waitcnt vmcnt(2)
	v_fmac_f32_e32 v1, v11, v5
	;; [unrolled: 2-line block ×4, first 2 shown]
	v_add_f32_e32 v0, v0, v1
	buffer_load_dword v1, off, s[0:3], s32 offset:768 ; 4-byte Folded Reload
	s_waitcnt vmcnt(0)
	ds_bpermute_b32 v1, v1, v0
	s_mov_b32 s17, exec_lo
	buffer_load_dword v5, off, s[0:3], s32 offset:536 ; 4-byte Folded Reload
	s_and_b32 s6, s17, vcc_lo
	s_mov_b32 exec_lo, s6
	s_cbranch_execz .LBB198_8
; %bb.778:                              ;   in Loop: Header=BB198_9 Depth=1
	s_clause 0x1
	buffer_load_dword v4, off, s[0:3], s32 offset:524
	buffer_load_dword v3, off, s[0:3], s32 offset:948
	v_sub_nc_u32_e32 v2, 1, v116
	s_waitcnt lgkmcnt(0)
	v_add_f32_e32 v0, v0, v1
	s_load_dword s19, s[8:9], 0x0
	s_waitcnt vmcnt(1)
	v_add_nc_u32_e32 v2, v2, v4
	v_cmp_lt_i32_e64 s6, v4, v116
	v_cvt_f32_i32_e32 v2, v2
	s_waitcnt vmcnt(0)
	v_mul_f32_e32 v2, v3, v2
	buffer_load_dword v3, off, s[0:3], s32 offset:548 ; 4-byte Folded Reload
	v_cndmask_b32_e64 v1, 0, v2, s5
	buffer_load_dword v2, off, s[0:3], s32 offset:952 ; 4-byte Folded Reload
	s_waitcnt vmcnt(0)
	v_fmac_f32_e32 v1, v2, v0
	buffer_load_dword v2, off, s[0:3], s32 offset:528 ; 4-byte Folded Reload
	v_max_f32_e32 v0, v3, v3
	v_max_f32_e32 v0, v0, v1
	v_cndmask_b32_e64 v1, 0, v1, s6
	v_cndmask_b32_e64 v3, v3, v0, s6
	buffer_store_dword v3, off, s[0:3], s32 offset:548 ; 4-byte Folded Spill
	s_waitcnt vmcnt(0) lgkmcnt(0)
	v_add_nc_u32_e32 v2, s19, v2
	ds_write_b32 v2, v1
	s_branch .LBB198_8
.LBB198_779:
	s_or_b32 exec_lo, exec_lo, s18
	s_clause 0xe
	buffer_load_dword v9, off, s[0:3], s32 offset:956
	buffer_load_dword v11, off, s[0:3], s32 offset:972
	;; [unrolled: 1-line block ×15, first 2 shown]
	v_mov_b32_e32 v13, 32
.LBB198_780:
	s_or_b32 exec_lo, exec_lo, s7
	s_waitcnt vmcnt(1)
	v_xor_b32_e32 v0, 16, v21
	v_xor_b32_e32 v2, 8, v21
	;; [unrolled: 1-line block ×3, first 2 shown]
	v_and_b32_e32 v25, 31, v9
	s_waitcnt lgkmcnt(0)
	s_lshr_b32 s8, s15, 16
	v_cmp_lt_i32_e32 vcc_lo, v0, v13
	v_cndmask_b32_e32 v0, v21, v0, vcc_lo
	v_cmp_lt_i32_e32 vcc_lo, v2, v13
	v_lshlrev_b32_e32 v1, 2, v0
	v_cndmask_b32_e32 v2, v21, v2, vcc_lo
	v_cmp_lt_i32_e32 vcc_lo, v4, v13
	s_waitcnt vmcnt(0)
	ds_bpermute_b32 v0, v1, v3
	v_max_f32_e32 v3, v3, v3
	v_lshlrev_b32_e32 v2, 2, v2
	v_cndmask_b32_e32 v4, v21, v4, vcc_lo
	s_waitcnt lgkmcnt(0)
	v_max_f32_e32 v0, v0, v0
	v_max_f32_e32 v0, v3, v0
	ds_bpermute_b32 v3, v2, v0
	s_waitcnt lgkmcnt(0)
	v_max_f32_e32 v5, v3, v3
	v_lshlrev_b32_e32 v3, 2, v4
	v_max_f32_e32 v0, v0, v5
	v_xor_b32_e32 v5, 2, v21
	ds_bpermute_b32 v4, v3, v0
	v_cmp_lt_i32_e32 vcc_lo, v5, v13
	v_cndmask_b32_e32 v5, v21, v5, vcc_lo
	v_cmp_eq_u32_e32 vcc_lo, 0, v25
	v_lshlrev_b32_e32 v26, 2, v5
	s_waitcnt lgkmcnt(0)
	v_max_f32_e32 v4, v4, v4
	v_max_f32_e32 v0, v0, v4
	buffer_load_dword v4, off, s[0:3], s32 offset:960 ; 4-byte Folded Reload
	ds_bpermute_b32 v5, v26, v0
	s_waitcnt vmcnt(0)
	v_lshlrev_b32_e32 v4, 2, v4
	s_and_saveexec_b32 s5, vcc_lo
	s_cbranch_execz .LBB198_782
; %bb.781:
	s_waitcnt lgkmcnt(0)
	v_max_f32_e32 v5, v5, v5
	v_max_f32_e32 v0, v0, v0
	;; [unrolled: 1-line block ×3, first 2 shown]
	ds_write_b32 v4, v0 offset:768
.LBB198_782:
	s_or_b32 exec_lo, exec_lo, s5
	v_cmp_gt_u32_e64 s5, 4, v25
	v_mov_b32_e32 v0, 0xff7fffff
	s_waitcnt lgkmcnt(0)
	v_lshlrev_b32_e32 v5, 2, v25
	s_waitcnt_vscnt null, 0x0
	s_barrier
	buffer_gl0_inv
	s_and_saveexec_b32 s6, s5
; %bb.783:
	ds_read_b32 v0, v5 offset:768
; %bb.784:
	s_or_b32 exec_lo, exec_lo, s6
	s_waitcnt lgkmcnt(0)
	ds_bpermute_b32 v6, v26, v0
	v_xor_b32_e32 v8, 1, v21
	v_max_f32_e32 v0, v0, v0
	v_cmp_lt_i32_e64 s6, v8, v13
	v_mov_b32_e32 v13, 0
	v_cndmask_b32_e64 v8, v21, v8, s6
	v_lshlrev_b32_e32 v69, 2, v8
	s_waitcnt lgkmcnt(0)
	v_max_f32_e32 v6, v6, v6
	v_max_f32_e32 v0, v0, v6
	ds_bpermute_b32 v6, v69, v0
	s_waitcnt lgkmcnt(0)
	v_max_f32_e32 v6, v6, v6
	v_max_f32_e32 v0, v0, v6
	v_lshlrev_b32_e32 v6, 2, v105
	ds_bpermute_b32 v6, v6, v0
	buffer_load_dword v0, off, s[0:3], s32 offset:208 ; 4-byte Folded Reload
	s_waitcnt vmcnt(0)
	v_lshlrev_b32_e32 v0, 4, v0
	v_min_i32_e32 v0, v0, v116
	v_cmp_lt_i32_e64 s6, v9, v0
	s_and_saveexec_b32 s9, s6
	s_cbranch_execz .LBB198_788
; %bb.785:
	s_getpc_b64 s[18:19]
	s_add_u32 s18, s18, llvm.amdgcn.dynlds.offset.table@rel32@lo+4
	s_addc_u32 s19, s19, llvm.amdgcn.dynlds.offset.table@rel32@hi+12
	s_ashr_i32 s17, s16, 31
	v_mov_b32_e32 v13, 0
	s_lshl_b64 s[20:21], s[16:17], 2
	s_mov_b32 s15, 0
	s_add_u32 s18, s18, s20
	s_addc_u32 s19, s19, s21
	s_load_dword s7, s[18:19], 0x0
	s_waitcnt lgkmcnt(0)
	v_lshl_add_u32 v8, v9, 2, s7
	.p2align	6
.LBB198_786:                            ; =>This Inner Loop Header: Depth=1
	ds_read_b32 v12, v8
	v_add_nc_u32_e32 v9, 0x80, v9
	v_cmp_ge_i32_e64 s7, v9, v0
	s_or_b32 s15, s7, s15
	s_waitcnt lgkmcnt(0)
	v_sub_f32_e32 v12, v12, v6
	v_mul_f32_e32 v12, 0x3fb8aa3b, v12
	v_exp_f32_e32 v12, v12
	ds_write_b32 v8, v12
	v_add_f32_e32 v13, v13, v12
	v_add_nc_u32_e32 v8, 0x200, v8
	s_andn2_b32 exec_lo, exec_lo, s15
	s_cbranch_execnz .LBB198_786
; %bb.787:
	s_or_b32 exec_lo, exec_lo, s15
	buffer_load_dword v9, off, s[0:3], s32 offset:956 ; 4-byte Folded Reload
.LBB198_788:
	s_or_b32 exec_lo, exec_lo, s9
	ds_bpermute_b32 v1, v1, v13
	s_waitcnt lgkmcnt(0)
	v_add_f32_e32 v1, v13, v1
	ds_bpermute_b32 v2, v2, v1
	s_waitcnt lgkmcnt(0)
	v_add_f32_e32 v1, v1, v2
	ds_bpermute_b32 v2, v3, v1
	s_waitcnt lgkmcnt(0)
	v_add_f32_e32 v1, v1, v2
	ds_bpermute_b32 v2, v26, v1
	s_waitcnt lgkmcnt(0)
	v_add_f32_e32 v1, v1, v2
	ds_bpermute_b32 v2, v69, v1
	s_waitcnt lgkmcnt(0)
	v_add_f32_e32 v1, v1, v2
	s_and_saveexec_b32 s7, vcc_lo
; %bb.789:
	ds_write_b32 v4, v1 offset:784
; %bb.790:
	s_or_b32 exec_lo, exec_lo, s7
	s_waitcnt vmcnt(0) lgkmcnt(0)
	s_barrier
	buffer_gl0_inv
	s_and_saveexec_b32 s7, s5
; %bb.791:
	ds_read_b32 v1, v5 offset:784
; %bb.792:
	s_or_b32 exec_lo, exec_lo, s7
	s_waitcnt lgkmcnt(0)
	ds_bpermute_b32 v2, v26, v1
	v_lshlrev_b32_e32 v3, 2, v21
	s_waitcnt lgkmcnt(0)
	v_add_f32_e32 v1, v1, v2
	ds_bpermute_b32 v2, v69, v1
	s_waitcnt lgkmcnt(0)
	v_add_f32_e32 v1, v1, v2
	v_and_b32_e32 v2, 0xffffff80, v3
	ds_bpermute_b32 v1, v2, v1
	s_and_saveexec_b32 s5, s6
	s_cbranch_execz .LBB198_795
; %bb.793:
	s_waitcnt lgkmcnt(0)
	v_add_f32_e32 v2, 0x358637bd, v1
	s_getpc_b64 s[6:7]
	s_add_u32 s6, s6, llvm.amdgcn.dynlds.offset.table@rel32@lo+4
	s_addc_u32 s7, s7, llvm.amdgcn.dynlds.offset.table@rel32@hi+12
	s_ashr_i32 s17, s16, 31
	s_lshl_b64 s[18:19], s[16:17], 2
	v_div_scale_f32 v1, null, v2, v2, 1.0
	v_div_scale_f32 v5, vcc_lo, 1.0, v2, 1.0
	s_add_u32 s6, s6, s18
	v_rcp_f32_e32 v3, v1
	s_addc_u32 s7, s7, s19
	s_load_dword s6, s[6:7], 0x0
	v_fma_f32 v4, -v1, v3, 1.0
	v_fmac_f32_e32 v3, v4, v3
	v_mul_f32_e32 v4, v5, v3
	v_fma_f32 v6, -v1, v4, v5
	v_fmac_f32_e32 v4, v6, v3
	v_fma_f32 v1, -v1, v4, v5
	v_div_fmas_f32 v3, v1, v3, v4
	s_waitcnt lgkmcnt(0)
	v_lshl_add_u32 v1, v9, 2, s6
	s_mov_b32 s6, 0
	v_div_fixup_f32 v2, v3, v2, 1.0
	v_mov_b32_e32 v3, v9
.LBB198_794:                            ; =>This Inner Loop Header: Depth=1
	ds_read_b32 v4, v1
	v_add_nc_u32_e32 v3, 0x80, v3
	v_cmp_ge_i32_e32 vcc_lo, v3, v0
	s_or_b32 s6, vcc_lo, s6
	s_waitcnt lgkmcnt(0)
	v_mul_f32_e32 v4, v2, v4
	ds_write_b32 v1, v4
	v_add_nc_u32_e32 v1, 0x200, v1
	s_andn2_b32 exec_lo, exec_lo, s6
	s_cbranch_execnz .LBB198_794
.LBB198_795:
	s_or_b32 exec_lo, exec_lo, s5
	s_waitcnt lgkmcnt(0)
	s_barrier
	buffer_gl0_inv
	s_and_saveexec_b32 s5, s4
	s_xor_b32 s4, exec_lo, s5
; %bb.796:
	s_ashr_i32 s17, s16, 31
                                        ; implicit-def: $vgpr0
                                        ; implicit-def: $vgpr116
                                        ; kill: killed $vgpr0
                                        ; implicit-def: $vgpr20
                                        ; implicit-def: $vgpr7
                                        ; implicit-def: $vgpr10
                                        ; implicit-def: $vgpr11
                                        ; implicit-def: $vgpr0
                                        ; kill: killed $vgpr0
                                        ; implicit-def: $vgpr22_vgpr23
                                        ; implicit-def: $vgpr18
                                        ; implicit-def: $vgpr19
                                        ; implicit-def: $vgpr14
                                        ; implicit-def: $vgpr16_vgpr17
                                        ; implicit-def: $vgpr15
; %bb.797:
	s_or_saveexec_b32 s5, s4
	v_mov_b32_e32 v0, s16
	v_mov_b32_e32 v55, 0
	;; [unrolled: 1-line block ×3, first 2 shown]
	v_and_b32_e32 v70, 3, v9
	v_mov_b32_e32 v66, 0
	v_mov_b32_e32 v65, 0
	;; [unrolled: 1-line block ×23, first 2 shown]
	s_xor_b32 exec_lo, exec_lo, s5
	s_cbranch_execz .LBB198_1617
; %bb.798:
	buffer_store_dword v26, off, s[0:3], s32 offset:364 ; 4-byte Folded Spill
	buffer_store_dword v25, off, s[0:3], s32 offset:356 ; 4-byte Folded Spill
	;; [unrolled: 1-line block ×3, first 2 shown]
	buffer_load_dword v84, off, s[0:3], s32 offset:960 ; 4-byte Folded Reload
	flat_load_dword v67, v[22:23]
	s_ashr_i32 s17, s16, 31
	s_getpc_b64 s[6:7]
	s_add_u32 s6, s6, llvm.amdgcn.dynlds.offset.table@rel32@lo+4
	s_addc_u32 s7, s7, llvm.amdgcn.dynlds.offset.table@rel32@hi+12
	s_lshl_b64 s[18:19], s[16:17], 2
	v_add_co_u32 v1, vcc_lo, v20, v18
	s_add_u32 s6, s6, s18
	s_addc_u32 s7, s7, s19
	v_and_b32_e32 v3, 0x7c, v15
	s_load_dword s4, s[6:7], 0x0
	v_add_co_ci_u32_e64 v2, null, v7, v19, vcc_lo
	v_and_b32_e32 v4, 0x7c, v14
	v_add_co_u32 v1, vcc_lo, v1, v3
	v_add_co_ci_u32_e64 v2, null, 0, v2, vcc_lo
	v_and_b32_e32 v0, 12, v15
	v_lshlrev_b32_e32 v6, 4, v70
	buffer_store_dword v70, off, s[0:3], s32 offset:372 ; 4-byte Folded Spill
	buffer_store_dword v1, off, s[0:3], s32 offset:340 ; 4-byte Folded Spill
	;; [unrolled: 1-line block ×3, first 2 shown]
	v_add_co_u32 v1, vcc_lo, v4, v16
	v_add_co_ci_u32_e64 v2, null, 0, v17, vcc_lo
	v_mov_b32_e32 v7, 0
	v_add_co_u32 v15, vcc_lo, v10, v1
	v_mov_b32_e32 v68, 0x80
	v_bfrev_b32_e32 v9, 1
	v_mov_b32_e32 v44, 0xffff
	v_mov_b32_e32 v12, 0x7f800001
	;; [unrolled: 1-line block ×27, first 2 shown]
	v_add_co_ci_u32_e64 v16, null, v11, v2, vcc_lo
	s_mov_b32 s6, 0
	s_waitcnt vmcnt(1)
	v_lshlrev_b32_e32 v5, 4, v84
	s_waitcnt vmcnt(0) lgkmcnt(0)
	v_mov_b32_e32 v83, v67
	v_or3_b32 v81, v5, v0, 3
	v_lshl_or_b32 v0, v84, 6, v6
	v_add_nc_u32_e32 v82, s4, v0
	s_branch .LBB198_800
.LBB198_799:                            ;   in Loop: Header=BB198_800 Depth=1
	s_or_b32 exec_lo, exec_lo, s4
	v_mul_f32_e32 v10, v3, v42
	v_add_nc_u32_e32 v84, 4, v84
	v_add_co_u32 v15, vcc_lo, v15, 16
	v_add_co_ci_u32_e64 v16, null, 0, v16, vcc_lo
	v_fmac_f32_e32 v10, v2, v41
	v_add_nc_u32_e32 v81, 64, v81
	v_add_nc_u32_e32 v82, 0x100, v82
	buffer_load_dword v11, off, s[0:3], s32 offset:324 ; 4-byte Folded Reload
	v_fmac_f32_e32 v10, v4, v22
	v_fmac_f32_e32 v10, v5, v21
	v_add_f32_e32 v28, v28, v10
	v_mul_f32_e32 v10, v3, v40
	v_fmac_f32_e32 v10, v2, v119
	v_fmac_f32_e32 v10, v4, v118
	v_fmac_f32_e32 v10, v5, v117
	v_add_f32_e32 v29, v29, v10
	v_mul_f32_e32 v10, v3, v115
	v_fmac_f32_e32 v10, v2, v114
	;; [unrolled: 5-line block ×17, first 2 shown]
	v_fmac_f32_e32 v10, v4, v46
	v_fmac_f32_e32 v10, v5, v45
	v_add_f32_e32 v53, v53, v10
	buffer_load_dword v10, off, s[0:3], s32 offset:332 ; 4-byte Folded Reload
	s_waitcnt vmcnt(0)
	v_mul_f32_e32 v10, v3, v10
	v_fmac_f32_e32 v10, v2, v11
	buffer_load_dword v11, off, s[0:3], s32 offset:316 ; 4-byte Folded Reload
	s_waitcnt vmcnt(0)
	v_fmac_f32_e32 v10, v4, v11
	buffer_load_dword v11, off, s[0:3], s32 offset:308 ; 4-byte Folded Reload
	s_waitcnt vmcnt(0)
	v_fmac_f32_e32 v10, v5, v11
	buffer_load_dword v11, off, s[0:3], s32 offset:292 ; 4-byte Folded Reload
	v_add_f32_e32 v54, v54, v10
	buffer_load_dword v10, off, s[0:3], s32 offset:300 ; 4-byte Folded Reload
	s_waitcnt vmcnt(0)
	v_mul_f32_e32 v10, v3, v10
	v_fmac_f32_e32 v10, v2, v11
	buffer_load_dword v11, off, s[0:3], s32 offset:284 ; 4-byte Folded Reload
	s_waitcnt vmcnt(0)
	v_fmac_f32_e32 v10, v4, v11
	buffer_load_dword v11, off, s[0:3], s32 offset:276 ; 4-byte Folded Reload
	s_waitcnt vmcnt(0)
	v_fmac_f32_e32 v10, v5, v11
	buffer_load_dword v11, off, s[0:3], s32 offset:268 ; 4-byte Folded Reload
	;; [unrolled: 12-line block ×4, first 2 shown]
	v_add_f32_e32 v66, v66, v10
	buffer_load_dword v10, off, s[0:3], s32 offset:200 ; 4-byte Folded Reload
	s_waitcnt vmcnt(0)
	v_mul_f32_e32 v10, v3, v10
	v_mul_f32_e32 v3, v3, v8
	v_fmac_f32_e32 v10, v2, v11
	buffer_load_dword v11, off, s[0:3], s32 offset:196 ; 4-byte Folded Reload
	v_fmac_f32_e32 v3, v2, v6
	v_fmac_f32_e32 v3, v4, v1
	;; [unrolled: 1-line block ×3, first 2 shown]
	buffer_load_dword v0, off, s[0:3], s32 offset:208 ; 4-byte Folded Reload
	v_add_f32_e32 v27, v27, v3
	s_waitcnt vmcnt(1)
	v_fmac_f32_e32 v10, v4, v11
	buffer_load_dword v11, off, s[0:3], s32 offset:192 ; 4-byte Folded Reload
	s_waitcnt vmcnt(1)
	v_cmp_ge_i32_e32 vcc_lo, v84, v0
	s_or_b32 s6, vcc_lo, s6
	s_waitcnt vmcnt(0)
	v_fmac_f32_e32 v10, v5, v11
	v_add_f32_e32 v55, v55, v10
	s_andn2_b32 exec_lo, exec_lo, s6
	s_cbranch_execz .LBB198_1616
.LBB198_800:                            ; =>This Inner Loop Header: Depth=1
	flat_load_dword v0, v[15:16]
	s_clause 0x2
	buffer_load_dword v1, off, s[0:3], s32 offset:532
	buffer_load_dword v2, off, s[0:3], s32 offset:340
	;; [unrolled: 1-line block ×3, first 2 shown]
	v_mov_b32_e32 v19, 0
	v_mov_b32_e32 v17, 0
	;; [unrolled: 1-line block ×4, first 2 shown]
	s_waitcnt vmcnt(0) lgkmcnt(0)
	v_mad_i64_i32 v[0:1], null, v0, v1, v[2:3]
	ds_read_b128 v[2:5], v82
	flat_load_dword v13, v[0:1]
	s_waitcnt vmcnt(0) lgkmcnt(0)
	v_cmp_ne_u16_sdwa s7, v13, v7 src0_sel:BYTE_0 src1_sel:DWORD
	s_and_saveexec_b32 s4, s7
	s_cbranch_execz .LBB198_808
; %bb.801:                              ;   in Loop: Header=BB198_800 Depth=1
	v_bfrev_b32_e32 v17, 1
	v_mov_b32_e32 v18, 0
	v_cmp_ne_u16_sdwa s9, v13, v68 src0_sel:BYTE_0 src1_sel:DWORD
	s_and_saveexec_b32 s7, s9
	s_cbranch_execz .LBB198_807
; %bb.802:                              ;   in Loop: Header=BB198_800 Depth=1
	v_mov_b32_e32 v17, 0x7f800001
	v_and_b32_e32 v10, 0x7f, v13
	v_mov_b32_e32 v18, 0
	s_mov_b32 s9, exec_lo
	v_cmpx_ne_u32_e32 0x7f, v10
	s_cbranch_execz .LBB198_806
; %bb.803:                              ;   in Loop: Header=BB198_800 Depth=1
	v_and_b32_e32 v6, 7, v13
	v_lshrrev_b32_e32 v8, 3, v10
	s_mov_b32 s15, exec_lo
	v_cmpx_gt_u32_e32 8, v10
; %bb.804:                              ;   in Loop: Header=BB198_800 Depth=1
	v_ffbh_u32_e32 v8, v6
	v_min_u32_e32 v8, 32, v8
	v_subrev_nc_u32_e32 v10, 28, v8
	v_sub_nc_u32_e32 v8, 29, v8
	v_lshlrev_b64 v[10:11], v10, v[6:7]
	v_and_b32_e32 v6, 7, v10
; %bb.805:                              ;   in Loop: Header=BB198_800 Depth=1
	s_or_b32 exec_lo, exec_lo, s15
	v_lshlrev_b32_e32 v10, 24, v13
	v_lshlrev_b32_e32 v6, 20, v6
	v_lshl_add_u32 v8, v8, 23, 0x3c000000
	v_and_b32_e32 v10, 0x80000000, v10
	v_or3_b32 v6, v6, v10, v8
	v_mov_b32_e32 v18, v7
	v_mov_b32_e32 v17, v6
.LBB198_806:                            ;   in Loop: Header=BB198_800 Depth=1
	s_or_b32 exec_lo, exec_lo, s9
.LBB198_807:                            ;   in Loop: Header=BB198_800 Depth=1
	s_or_b32 exec_lo, exec_lo, s7
.LBB198_808:                            ;   in Loop: Header=BB198_800 Depth=1
	s_or_b32 exec_lo, exec_lo, s4
	v_cmp_ne_u16_sdwa s7, v13, v7 src0_sel:BYTE_1 src1_sel:DWORD
	s_and_saveexec_b32 s4, s7
	s_cbranch_execz .LBB198_816
; %bb.809:                              ;   in Loop: Header=BB198_800 Depth=1
	v_mov_b32_e32 v8, v7
	v_mov_b32_e32 v20, v9
	v_cmp_ne_u16_sdwa s9, v13, v68 src0_sel:BYTE_1 src1_sel:DWORD
	v_mov_b32_e32 v19, v8
	s_and_saveexec_b32 s7, s9
	s_cbranch_execz .LBB198_815
; %bb.810:                              ;   in Loop: Header=BB198_800 Depth=1
	v_and_b32_sdwa v6, v44, v13 dst_sel:DWORD dst_unused:UNUSED_PAD src0_sel:DWORD src1_sel:BYTE_1
	v_mov_b32_e32 v11, v7
	v_mov_b32_e32 v20, v12
	s_mov_b32 s9, exec_lo
	v_and_b32_e32 v10, 0x7f, v6
	v_mov_b32_e32 v19, v11
	v_cmpx_ne_u32_e32 0x7f, v10
	s_cbranch_execz .LBB198_814
; %bb.811:                              ;   in Loop: Header=BB198_800 Depth=1
	v_and_b32_e32 v6, 7, v6
	v_lshrrev_b32_e32 v8, 3, v10
	s_mov_b32 s15, exec_lo
	v_cmpx_gt_u32_e32 8, v10
; %bb.812:                              ;   in Loop: Header=BB198_800 Depth=1
	v_ffbh_u32_e32 v8, v6
	v_min_u32_e32 v8, 32, v8
	v_subrev_nc_u32_e32 v10, 28, v8
	v_sub_nc_u32_e32 v8, 29, v8
	v_lshlrev_b64 v[10:11], v10, v[6:7]
	v_and_b32_e32 v6, 7, v10
; %bb.813:                              ;   in Loop: Header=BB198_800 Depth=1
	s_or_b32 exec_lo, exec_lo, s15
	v_lshlrev_b32_e32 v10, 16, v13
	v_lshlrev_b32_e32 v6, 20, v6
	v_lshl_add_u32 v8, v8, 23, 0x3c000000
	v_mov_b32_e32 v19, v7
	v_and_b32_e32 v10, 0x80000000, v10
	v_or3_b32 v20, v6, v10, v8
.LBB198_814:                            ;   in Loop: Header=BB198_800 Depth=1
	s_or_b32 exec_lo, exec_lo, s9
.LBB198_815:                            ;   in Loop: Header=BB198_800 Depth=1
	s_or_b32 exec_lo, exec_lo, s7
.LBB198_816:                            ;   in Loop: Header=BB198_800 Depth=1
	s_or_b32 exec_lo, exec_lo, s4
	v_mov_b32_e32 v10, 0
	v_mov_b32_e32 v21, 0
	v_and_b32_sdwa v6, v13, v70 dst_sel:DWORD dst_unused:UNUSED_PAD src0_sel:WORD_1 src1_sel:DWORD
	v_mov_b32_e32 v11, 0
	v_mov_b32_e32 v22, 0
	s_mov_b32 s4, exec_lo
	v_cmpx_ne_u16_e32 0, v6
	s_cbranch_execz .LBB198_824
; %bb.817:                              ;   in Loop: Header=BB198_800 Depth=1
	v_bfrev_b32_e32 v21, 1
	v_mov_b32_e32 v22, 0
	s_mov_b32 s7, exec_lo
	v_cmpx_ne_u16_e32 0x80, v6
	s_cbranch_execz .LBB198_823
; %bb.818:                              ;   in Loop: Header=BB198_800 Depth=1
	v_mov_b32_e32 v21, 0x7f800001
	v_bfe_u32 v14, v13, 16, 7
	v_mov_b32_e32 v22, 0
	s_mov_b32 s9, exec_lo
	v_cmpx_ne_u32_e32 0x7f, v14
	s_cbranch_execz .LBB198_822
; %bb.819:                              ;   in Loop: Header=BB198_800 Depth=1
	v_mov_b32_e32 v6, 7
	v_lshrrev_b32_e32 v8, 3, v14
	s_mov_b32 s15, exec_lo
	v_and_b32_sdwa v6, v13, v6 dst_sel:DWORD dst_unused:UNUSED_PAD src0_sel:WORD_1 src1_sel:DWORD
	v_cmpx_gt_u32_e32 8, v14
; %bb.820:                              ;   in Loop: Header=BB198_800 Depth=1
	v_ffbh_u32_e32 v8, v6
	v_min_u32_e32 v8, 32, v8
	v_subrev_nc_u32_e32 v14, 28, v8
	v_sub_nc_u32_e32 v8, 29, v8
	v_lshlrev_b64 v[21:22], v14, v[6:7]
	v_and_b32_e32 v6, 7, v21
; %bb.821:                              ;   in Loop: Header=BB198_800 Depth=1
	s_or_b32 exec_lo, exec_lo, s15
	v_mov_b32_e32 v14, 24
	v_lshlrev_b32_e32 v6, 20, v6
	v_lshl_add_u32 v8, v8, 23, 0x3c000000
	v_lshlrev_b32_sdwa v14, v14, v13 dst_sel:DWORD dst_unused:UNUSED_PAD src0_sel:DWORD src1_sel:WORD_1
	v_and_b32_e32 v14, 0x80000000, v14
	v_or3_b32 v6, v6, v14, v8
	v_mov_b32_e32 v22, v7
	v_mov_b32_e32 v21, v6
.LBB198_822:                            ;   in Loop: Header=BB198_800 Depth=1
	s_or_b32 exec_lo, exec_lo, s9
.LBB198_823:                            ;   in Loop: Header=BB198_800 Depth=1
	s_or_b32 exec_lo, exec_lo, s7
.LBB198_824:                            ;   in Loop: Header=BB198_800 Depth=1
	s_or_b32 exec_lo, exec_lo, s4
	s_mov_b32 s4, exec_lo
	v_cmpx_lt_u32_e32 0xffffff, v13
	s_cbranch_execz .LBB198_832
; %bb.825:                              ;   in Loop: Header=BB198_800 Depth=1
	v_mov_b32_e32 v8, v7
	v_mov_b32_e32 v11, v9
	v_cmp_ne_u32_sdwa s9, v13, v68 src0_sel:BYTE_3 src1_sel:DWORD
	v_mov_b32_e32 v10, v8
	s_and_saveexec_b32 s7, s9
	s_cbranch_execz .LBB198_831
; %bb.826:                              ;   in Loop: Header=BB198_800 Depth=1
	v_mov_b32_e32 v11, v7
	v_bfe_u32 v14, v13, 24, 7
	s_mov_b32 s9, exec_lo
	v_mov_b32_e32 v10, v11
	v_mov_b32_e32 v11, v12
	v_cmpx_ne_u32_e32 0x7f, v14
	s_cbranch_execz .LBB198_830
; %bb.827:                              ;   in Loop: Header=BB198_800 Depth=1
	v_mov_b32_e32 v6, 7
	v_lshrrev_b32_e32 v8, 3, v14
	s_mov_b32 s15, exec_lo
	v_and_b32_sdwa v6, v13, v6 dst_sel:DWORD dst_unused:UNUSED_PAD src0_sel:BYTE_3 src1_sel:DWORD
	v_cmpx_gt_u32_e32 8, v14
; %bb.828:                              ;   in Loop: Header=BB198_800 Depth=1
	v_ffbh_u32_e32 v8, v6
	v_min_u32_e32 v8, 32, v8
	v_subrev_nc_u32_e32 v10, 28, v8
	v_sub_nc_u32_e32 v8, 29, v8
	v_lshlrev_b64 v[10:11], v10, v[6:7]
	v_and_b32_e32 v6, 7, v10
; %bb.829:                              ;   in Loop: Header=BB198_800 Depth=1
	s_or_b32 exec_lo, exec_lo, s15
	v_mov_b32_e32 v10, 24
	v_lshlrev_b32_e32 v6, 20, v6
	v_lshl_add_u32 v8, v8, 23, 0x3c000000
	v_lshlrev_b32_sdwa v10, v10, v13 dst_sel:DWORD dst_unused:UNUSED_PAD src0_sel:DWORD src1_sel:BYTE_3
	v_and_b32_e32 v10, 0x80000000, v10
	v_or3_b32 v11, v6, v10, v8
	v_mov_b32_e32 v10, v7
.LBB198_830:                            ;   in Loop: Header=BB198_800 Depth=1
	s_or_b32 exec_lo, exec_lo, s9
.LBB198_831:                            ;   in Loop: Header=BB198_800 Depth=1
	s_or_b32 exec_lo, exec_lo, s7
.LBB198_832:                            ;   in Loop: Header=BB198_800 Depth=1
	s_or_b32 exec_lo, exec_lo, s4
	buffer_load_dword v6, off, s[0:3], s32 offset:208 ; 4-byte Folded Reload
	v_or_b32_e32 v8, v20, v18
	v_or_b32_e32 v13, v19, v17
	;; [unrolled: 1-line block ×4, first 2 shown]
	v_add_nc_u32_e32 v101, -3, v81
	v_add_nc_u32_e32 v103, -2, v81
	;; [unrolled: 1-line block ×3, first 2 shown]
	s_waitcnt vmcnt(0)
	v_add_nc_u32_e32 v6, -1, v6
	v_cmp_eq_u32_e32 vcc_lo, v6, v84
	v_mul_f32_e32 v6, v83, v8
	buffer_store_dword v6, off, s[0:3], s32 offset:200 ; 4-byte Folded Spill
	v_mul_f32_e32 v6, v67, v13
	buffer_store_dword v6, off, s[0:3], s32 offset:204 ; 4-byte Folded Spill
	;; [unrolled: 2-line block ×4, first 2 shown]
	s_and_saveexec_b32 s7, vcc_lo
	s_cbranch_execz .LBB198_834
; %bb.833:                              ;   in Loop: Header=BB198_800 Depth=1
	buffer_load_dword v6, off, s[0:3], s32 offset:204 ; 4-byte Folded Reload
	v_cmp_lt_i32_e64 s4, v101, v116
	s_waitcnt vmcnt(0)
	v_cndmask_b32_e64 v6, 0, v6, s4
	v_cmp_lt_i32_e64 s4, v103, v116
	buffer_store_dword v6, off, s[0:3], s32 offset:204 ; 4-byte Folded Spill
	buffer_load_dword v6, off, s[0:3], s32 offset:200 ; 4-byte Folded Reload
	s_waitcnt vmcnt(0)
	v_cndmask_b32_e64 v6, 0, v6, s4
	v_cmp_lt_i32_e64 s4, v102, v116
	buffer_store_dword v6, off, s[0:3], s32 offset:200 ; 4-byte Folded Spill
	buffer_load_dword v6, off, s[0:3], s32 offset:196 ; 4-byte Folded Reload
	;; [unrolled: 5-line block ×3, first 2 shown]
	s_waitcnt vmcnt(0)
	v_cndmask_b32_e64 v6, 0, v6, s4
	buffer_store_dword v6, off, s[0:3], s32 offset:192 ; 4-byte Folded Spill
.LBB198_834:                            ;   in Loop: Header=BB198_800 Depth=1
	s_or_b32 exec_lo, exec_lo, s7
	flat_load_dword v13, v[0:1] offset:128
	v_mov_b32_e32 v19, 0
	v_mov_b32_e32 v17, 0
	;; [unrolled: 1-line block ×4, first 2 shown]
	s_waitcnt vmcnt(0) lgkmcnt(0)
	v_cmp_ne_u16_sdwa s4, v13, v7 src0_sel:BYTE_0 src1_sel:DWORD
	s_and_saveexec_b32 s7, s4
	s_cbranch_execz .LBB198_842
; %bb.835:                              ;   in Loop: Header=BB198_800 Depth=1
	v_bfrev_b32_e32 v17, 1
	v_mov_b32_e32 v18, 0
	v_cmp_ne_u16_sdwa s4, v13, v68 src0_sel:BYTE_0 src1_sel:DWORD
	s_and_saveexec_b32 s9, s4
	s_cbranch_execz .LBB198_841
; %bb.836:                              ;   in Loop: Header=BB198_800 Depth=1
	v_mov_b32_e32 v17, 0x7f800001
	v_and_b32_e32 v10, 0x7f, v13
	v_mov_b32_e32 v18, 0
	s_mov_b32 s15, exec_lo
	v_cmpx_ne_u32_e32 0x7f, v10
	s_cbranch_execz .LBB198_840
; %bb.837:                              ;   in Loop: Header=BB198_800 Depth=1
	v_and_b32_e32 v6, 7, v13
	v_lshrrev_b32_e32 v8, 3, v10
	s_mov_b32 s18, exec_lo
	v_cmpx_gt_u32_e32 8, v10
; %bb.838:                              ;   in Loop: Header=BB198_800 Depth=1
	v_ffbh_u32_e32 v8, v6
	v_min_u32_e32 v8, 32, v8
	v_subrev_nc_u32_e32 v10, 28, v8
	v_sub_nc_u32_e32 v8, 29, v8
	v_lshlrev_b64 v[10:11], v10, v[6:7]
	v_and_b32_e32 v6, 7, v10
; %bb.839:                              ;   in Loop: Header=BB198_800 Depth=1
	s_or_b32 exec_lo, exec_lo, s18
	v_lshlrev_b32_e32 v10, 24, v13
	v_lshlrev_b32_e32 v6, 20, v6
	v_lshl_add_u32 v8, v8, 23, 0x3c000000
	v_and_b32_e32 v10, 0x80000000, v10
	v_or3_b32 v6, v6, v10, v8
	v_mov_b32_e32 v18, v7
	v_mov_b32_e32 v17, v6
.LBB198_840:                            ;   in Loop: Header=BB198_800 Depth=1
	s_or_b32 exec_lo, exec_lo, s15
.LBB198_841:                            ;   in Loop: Header=BB198_800 Depth=1
	s_or_b32 exec_lo, exec_lo, s9
.LBB198_842:                            ;   in Loop: Header=BB198_800 Depth=1
	s_or_b32 exec_lo, exec_lo, s7
	v_cmp_ne_u16_sdwa s4, v13, v7 src0_sel:BYTE_1 src1_sel:DWORD
	s_and_saveexec_b32 s7, s4
	s_cbranch_execz .LBB198_850
; %bb.843:                              ;   in Loop: Header=BB198_800 Depth=1
	v_mov_b32_e32 v8, v7
	v_mov_b32_e32 v20, v9
	v_cmp_ne_u16_sdwa s4, v13, v68 src0_sel:BYTE_1 src1_sel:DWORD
	v_mov_b32_e32 v19, v8
	s_and_saveexec_b32 s9, s4
	s_cbranch_execz .LBB198_849
; %bb.844:                              ;   in Loop: Header=BB198_800 Depth=1
	v_and_b32_sdwa v6, v44, v13 dst_sel:DWORD dst_unused:UNUSED_PAD src0_sel:DWORD src1_sel:BYTE_1
	v_mov_b32_e32 v11, v7
	v_mov_b32_e32 v20, v12
	s_mov_b32 s15, exec_lo
	v_and_b32_e32 v10, 0x7f, v6
	v_mov_b32_e32 v19, v11
	v_cmpx_ne_u32_e32 0x7f, v10
	s_cbranch_execz .LBB198_848
; %bb.845:                              ;   in Loop: Header=BB198_800 Depth=1
	v_and_b32_e32 v6, 7, v6
	v_lshrrev_b32_e32 v8, 3, v10
	s_mov_b32 s18, exec_lo
	v_cmpx_gt_u32_e32 8, v10
; %bb.846:                              ;   in Loop: Header=BB198_800 Depth=1
	v_ffbh_u32_e32 v8, v6
	v_min_u32_e32 v8, 32, v8
	v_subrev_nc_u32_e32 v10, 28, v8
	v_sub_nc_u32_e32 v8, 29, v8
	v_lshlrev_b64 v[10:11], v10, v[6:7]
	v_and_b32_e32 v6, 7, v10
; %bb.847:                              ;   in Loop: Header=BB198_800 Depth=1
	s_or_b32 exec_lo, exec_lo, s18
	v_lshlrev_b32_e32 v10, 16, v13
	v_lshlrev_b32_e32 v6, 20, v6
	v_lshl_add_u32 v8, v8, 23, 0x3c000000
	v_mov_b32_e32 v19, v7
	v_and_b32_e32 v10, 0x80000000, v10
	v_or3_b32 v20, v6, v10, v8
.LBB198_848:                            ;   in Loop: Header=BB198_800 Depth=1
	s_or_b32 exec_lo, exec_lo, s15
.LBB198_849:                            ;   in Loop: Header=BB198_800 Depth=1
	s_or_b32 exec_lo, exec_lo, s9
.LBB198_850:                            ;   in Loop: Header=BB198_800 Depth=1
	s_or_b32 exec_lo, exec_lo, s7
	v_mov_b32_e32 v10, 0
	v_mov_b32_e32 v21, 0
	v_and_b32_sdwa v6, v13, v70 dst_sel:DWORD dst_unused:UNUSED_PAD src0_sel:WORD_1 src1_sel:DWORD
	v_mov_b32_e32 v11, 0
	v_mov_b32_e32 v22, 0
	s_mov_b32 s7, exec_lo
	v_cmpx_ne_u16_e32 0, v6
	s_cbranch_execz .LBB198_858
; %bb.851:                              ;   in Loop: Header=BB198_800 Depth=1
	v_bfrev_b32_e32 v21, 1
	v_mov_b32_e32 v22, 0
	s_mov_b32 s9, exec_lo
	v_cmpx_ne_u16_e32 0x80, v6
	s_cbranch_execz .LBB198_857
; %bb.852:                              ;   in Loop: Header=BB198_800 Depth=1
	v_mov_b32_e32 v21, 0x7f800001
	v_bfe_u32 v14, v13, 16, 7
	v_mov_b32_e32 v22, 0
	s_mov_b32 s15, exec_lo
	v_cmpx_ne_u32_e32 0x7f, v14
	s_cbranch_execz .LBB198_856
; %bb.853:                              ;   in Loop: Header=BB198_800 Depth=1
	v_mov_b32_e32 v6, 7
	v_lshrrev_b32_e32 v8, 3, v14
	s_mov_b32 s18, exec_lo
	v_and_b32_sdwa v6, v13, v6 dst_sel:DWORD dst_unused:UNUSED_PAD src0_sel:WORD_1 src1_sel:DWORD
	v_cmpx_gt_u32_e32 8, v14
; %bb.854:                              ;   in Loop: Header=BB198_800 Depth=1
	v_ffbh_u32_e32 v8, v6
	v_min_u32_e32 v8, 32, v8
	v_subrev_nc_u32_e32 v14, 28, v8
	v_sub_nc_u32_e32 v8, 29, v8
	v_lshlrev_b64 v[21:22], v14, v[6:7]
	v_and_b32_e32 v6, 7, v21
; %bb.855:                              ;   in Loop: Header=BB198_800 Depth=1
	s_or_b32 exec_lo, exec_lo, s18
	v_mov_b32_e32 v14, 24
	v_lshlrev_b32_e32 v6, 20, v6
	v_lshl_add_u32 v8, v8, 23, 0x3c000000
	v_lshlrev_b32_sdwa v14, v14, v13 dst_sel:DWORD dst_unused:UNUSED_PAD src0_sel:DWORD src1_sel:WORD_1
	v_and_b32_e32 v14, 0x80000000, v14
	v_or3_b32 v6, v6, v14, v8
	v_mov_b32_e32 v22, v7
	v_mov_b32_e32 v21, v6
.LBB198_856:                            ;   in Loop: Header=BB198_800 Depth=1
	s_or_b32 exec_lo, exec_lo, s15
.LBB198_857:                            ;   in Loop: Header=BB198_800 Depth=1
	s_or_b32 exec_lo, exec_lo, s9
.LBB198_858:                            ;   in Loop: Header=BB198_800 Depth=1
	s_or_b32 exec_lo, exec_lo, s7
	s_mov_b32 s7, exec_lo
	v_cmpx_lt_u32_e32 0xffffff, v13
	s_cbranch_execz .LBB198_866
; %bb.859:                              ;   in Loop: Header=BB198_800 Depth=1
	v_mov_b32_e32 v8, v7
	v_mov_b32_e32 v11, v9
	v_cmp_ne_u32_sdwa s4, v13, v68 src0_sel:BYTE_3 src1_sel:DWORD
	v_mov_b32_e32 v10, v8
	s_and_saveexec_b32 s9, s4
	s_cbranch_execz .LBB198_865
; %bb.860:                              ;   in Loop: Header=BB198_800 Depth=1
	v_mov_b32_e32 v11, v7
	v_bfe_u32 v14, v13, 24, 7
	s_mov_b32 s15, exec_lo
	v_mov_b32_e32 v10, v11
	v_mov_b32_e32 v11, v12
	v_cmpx_ne_u32_e32 0x7f, v14
	s_cbranch_execz .LBB198_864
; %bb.861:                              ;   in Loop: Header=BB198_800 Depth=1
	v_mov_b32_e32 v6, 7
	v_lshrrev_b32_e32 v8, 3, v14
	s_mov_b32 s18, exec_lo
	v_and_b32_sdwa v6, v13, v6 dst_sel:DWORD dst_unused:UNUSED_PAD src0_sel:BYTE_3 src1_sel:DWORD
	v_cmpx_gt_u32_e32 8, v14
; %bb.862:                              ;   in Loop: Header=BB198_800 Depth=1
	v_ffbh_u32_e32 v8, v6
	v_min_u32_e32 v8, 32, v8
	v_subrev_nc_u32_e32 v10, 28, v8
	v_sub_nc_u32_e32 v8, 29, v8
	v_lshlrev_b64 v[10:11], v10, v[6:7]
	v_and_b32_e32 v6, 7, v10
; %bb.863:                              ;   in Loop: Header=BB198_800 Depth=1
	s_or_b32 exec_lo, exec_lo, s18
	v_mov_b32_e32 v10, 24
	v_lshlrev_b32_e32 v6, 20, v6
	v_lshl_add_u32 v8, v8, 23, 0x3c000000
	v_lshlrev_b32_sdwa v10, v10, v13 dst_sel:DWORD dst_unused:UNUSED_PAD src0_sel:DWORD src1_sel:BYTE_3
	v_and_b32_e32 v10, 0x80000000, v10
	v_or3_b32 v11, v6, v10, v8
	v_mov_b32_e32 v10, v7
.LBB198_864:                            ;   in Loop: Header=BB198_800 Depth=1
	s_or_b32 exec_lo, exec_lo, s15
.LBB198_865:                            ;   in Loop: Header=BB198_800 Depth=1
	s_or_b32 exec_lo, exec_lo, s9
.LBB198_866:                            ;   in Loop: Header=BB198_800 Depth=1
	s_or_b32 exec_lo, exec_lo, s7
	v_or_b32_e32 v6, v20, v18
	v_or_b32_e32 v8, v19, v17
	;; [unrolled: 1-line block ×4, first 2 shown]
	v_mul_f32_e32 v6, v83, v6
	buffer_store_dword v6, off, s[0:3], s32 offset:228 ; 4-byte Folded Spill
	v_mul_f32_e32 v6, v67, v8
	buffer_store_dword v6, off, s[0:3], s32 offset:236 ; 4-byte Folded Spill
	;; [unrolled: 2-line block ×4, first 2 shown]
	s_and_saveexec_b32 s7, vcc_lo
	s_cbranch_execz .LBB198_868
; %bb.867:                              ;   in Loop: Header=BB198_800 Depth=1
	buffer_load_dword v6, off, s[0:3], s32 offset:236 ; 4-byte Folded Reload
	v_cmp_lt_i32_e64 s4, v101, v116
	s_waitcnt vmcnt(0)
	v_cndmask_b32_e64 v6, 0, v6, s4
	v_cmp_lt_i32_e64 s4, v103, v116
	buffer_store_dword v6, off, s[0:3], s32 offset:236 ; 4-byte Folded Spill
	buffer_load_dword v6, off, s[0:3], s32 offset:228 ; 4-byte Folded Reload
	s_waitcnt vmcnt(0)
	v_cndmask_b32_e64 v6, 0, v6, s4
	v_cmp_lt_i32_e64 s4, v102, v116
	buffer_store_dword v6, off, s[0:3], s32 offset:228 ; 4-byte Folded Spill
	buffer_load_dword v6, off, s[0:3], s32 offset:220 ; 4-byte Folded Reload
	;; [unrolled: 5-line block ×3, first 2 shown]
	s_waitcnt vmcnt(0)
	v_cndmask_b32_e64 v6, 0, v6, s4
	buffer_store_dword v6, off, s[0:3], s32 offset:212 ; 4-byte Folded Spill
.LBB198_868:                            ;   in Loop: Header=BB198_800 Depth=1
	s_or_b32 exec_lo, exec_lo, s7
	flat_load_dword v13, v[0:1] offset:256
	v_mov_b32_e32 v19, 0
	v_mov_b32_e32 v17, 0
	;; [unrolled: 1-line block ×4, first 2 shown]
	s_waitcnt vmcnt(0) lgkmcnt(0)
	v_cmp_ne_u16_sdwa s4, v13, v7 src0_sel:BYTE_0 src1_sel:DWORD
	s_and_saveexec_b32 s7, s4
	s_cbranch_execz .LBB198_876
; %bb.869:                              ;   in Loop: Header=BB198_800 Depth=1
	v_bfrev_b32_e32 v17, 1
	v_mov_b32_e32 v18, 0
	v_cmp_ne_u16_sdwa s4, v13, v68 src0_sel:BYTE_0 src1_sel:DWORD
	s_and_saveexec_b32 s9, s4
	s_cbranch_execz .LBB198_875
; %bb.870:                              ;   in Loop: Header=BB198_800 Depth=1
	v_mov_b32_e32 v17, 0x7f800001
	v_and_b32_e32 v10, 0x7f, v13
	v_mov_b32_e32 v18, 0
	s_mov_b32 s15, exec_lo
	v_cmpx_ne_u32_e32 0x7f, v10
	s_cbranch_execz .LBB198_874
; %bb.871:                              ;   in Loop: Header=BB198_800 Depth=1
	v_and_b32_e32 v6, 7, v13
	v_lshrrev_b32_e32 v8, 3, v10
	s_mov_b32 s18, exec_lo
	v_cmpx_gt_u32_e32 8, v10
; %bb.872:                              ;   in Loop: Header=BB198_800 Depth=1
	v_ffbh_u32_e32 v8, v6
	v_min_u32_e32 v8, 32, v8
	v_subrev_nc_u32_e32 v10, 28, v8
	v_sub_nc_u32_e32 v8, 29, v8
	v_lshlrev_b64 v[10:11], v10, v[6:7]
	v_and_b32_e32 v6, 7, v10
; %bb.873:                              ;   in Loop: Header=BB198_800 Depth=1
	s_or_b32 exec_lo, exec_lo, s18
	v_lshlrev_b32_e32 v10, 24, v13
	v_lshlrev_b32_e32 v6, 20, v6
	v_lshl_add_u32 v8, v8, 23, 0x3c000000
	v_and_b32_e32 v10, 0x80000000, v10
	v_or3_b32 v6, v6, v10, v8
	v_mov_b32_e32 v18, v7
	v_mov_b32_e32 v17, v6
.LBB198_874:                            ;   in Loop: Header=BB198_800 Depth=1
	s_or_b32 exec_lo, exec_lo, s15
.LBB198_875:                            ;   in Loop: Header=BB198_800 Depth=1
	s_or_b32 exec_lo, exec_lo, s9
.LBB198_876:                            ;   in Loop: Header=BB198_800 Depth=1
	s_or_b32 exec_lo, exec_lo, s7
	v_cmp_ne_u16_sdwa s4, v13, v7 src0_sel:BYTE_1 src1_sel:DWORD
	s_and_saveexec_b32 s7, s4
	s_cbranch_execz .LBB198_884
; %bb.877:                              ;   in Loop: Header=BB198_800 Depth=1
	v_mov_b32_e32 v8, v7
	v_mov_b32_e32 v20, v9
	v_cmp_ne_u16_sdwa s4, v13, v68 src0_sel:BYTE_1 src1_sel:DWORD
	v_mov_b32_e32 v19, v8
	s_and_saveexec_b32 s9, s4
	s_cbranch_execz .LBB198_883
; %bb.878:                              ;   in Loop: Header=BB198_800 Depth=1
	v_and_b32_sdwa v6, v44, v13 dst_sel:DWORD dst_unused:UNUSED_PAD src0_sel:DWORD src1_sel:BYTE_1
	v_mov_b32_e32 v11, v7
	v_mov_b32_e32 v20, v12
	s_mov_b32 s15, exec_lo
	v_and_b32_e32 v10, 0x7f, v6
	v_mov_b32_e32 v19, v11
	v_cmpx_ne_u32_e32 0x7f, v10
	s_cbranch_execz .LBB198_882
; %bb.879:                              ;   in Loop: Header=BB198_800 Depth=1
	v_and_b32_e32 v6, 7, v6
	v_lshrrev_b32_e32 v8, 3, v10
	s_mov_b32 s18, exec_lo
	v_cmpx_gt_u32_e32 8, v10
; %bb.880:                              ;   in Loop: Header=BB198_800 Depth=1
	v_ffbh_u32_e32 v8, v6
	v_min_u32_e32 v8, 32, v8
	v_subrev_nc_u32_e32 v10, 28, v8
	v_sub_nc_u32_e32 v8, 29, v8
	v_lshlrev_b64 v[10:11], v10, v[6:7]
	v_and_b32_e32 v6, 7, v10
; %bb.881:                              ;   in Loop: Header=BB198_800 Depth=1
	s_or_b32 exec_lo, exec_lo, s18
	v_lshlrev_b32_e32 v10, 16, v13
	v_lshlrev_b32_e32 v6, 20, v6
	v_lshl_add_u32 v8, v8, 23, 0x3c000000
	v_mov_b32_e32 v19, v7
	v_and_b32_e32 v10, 0x80000000, v10
	v_or3_b32 v20, v6, v10, v8
.LBB198_882:                            ;   in Loop: Header=BB198_800 Depth=1
	s_or_b32 exec_lo, exec_lo, s15
.LBB198_883:                            ;   in Loop: Header=BB198_800 Depth=1
	s_or_b32 exec_lo, exec_lo, s9
.LBB198_884:                            ;   in Loop: Header=BB198_800 Depth=1
	s_or_b32 exec_lo, exec_lo, s7
	v_mov_b32_e32 v10, 0
	v_mov_b32_e32 v21, 0
	v_and_b32_sdwa v6, v13, v70 dst_sel:DWORD dst_unused:UNUSED_PAD src0_sel:WORD_1 src1_sel:DWORD
	v_mov_b32_e32 v11, 0
	v_mov_b32_e32 v22, 0
	s_mov_b32 s7, exec_lo
	v_cmpx_ne_u16_e32 0, v6
	s_cbranch_execz .LBB198_892
; %bb.885:                              ;   in Loop: Header=BB198_800 Depth=1
	v_bfrev_b32_e32 v21, 1
	v_mov_b32_e32 v22, 0
	s_mov_b32 s9, exec_lo
	v_cmpx_ne_u16_e32 0x80, v6
	s_cbranch_execz .LBB198_891
; %bb.886:                              ;   in Loop: Header=BB198_800 Depth=1
	v_mov_b32_e32 v21, 0x7f800001
	v_bfe_u32 v14, v13, 16, 7
	v_mov_b32_e32 v22, 0
	s_mov_b32 s15, exec_lo
	v_cmpx_ne_u32_e32 0x7f, v14
	s_cbranch_execz .LBB198_890
; %bb.887:                              ;   in Loop: Header=BB198_800 Depth=1
	v_mov_b32_e32 v6, 7
	v_lshrrev_b32_e32 v8, 3, v14
	s_mov_b32 s18, exec_lo
	v_and_b32_sdwa v6, v13, v6 dst_sel:DWORD dst_unused:UNUSED_PAD src0_sel:WORD_1 src1_sel:DWORD
	v_cmpx_gt_u32_e32 8, v14
; %bb.888:                              ;   in Loop: Header=BB198_800 Depth=1
	v_ffbh_u32_e32 v8, v6
	v_min_u32_e32 v8, 32, v8
	v_subrev_nc_u32_e32 v14, 28, v8
	v_sub_nc_u32_e32 v8, 29, v8
	v_lshlrev_b64 v[21:22], v14, v[6:7]
	v_and_b32_e32 v6, 7, v21
; %bb.889:                              ;   in Loop: Header=BB198_800 Depth=1
	s_or_b32 exec_lo, exec_lo, s18
	v_mov_b32_e32 v14, 24
	v_lshlrev_b32_e32 v6, 20, v6
	v_lshl_add_u32 v8, v8, 23, 0x3c000000
	v_lshlrev_b32_sdwa v14, v14, v13 dst_sel:DWORD dst_unused:UNUSED_PAD src0_sel:DWORD src1_sel:WORD_1
	v_and_b32_e32 v14, 0x80000000, v14
	v_or3_b32 v6, v6, v14, v8
	v_mov_b32_e32 v22, v7
	v_mov_b32_e32 v21, v6
.LBB198_890:                            ;   in Loop: Header=BB198_800 Depth=1
	s_or_b32 exec_lo, exec_lo, s15
.LBB198_891:                            ;   in Loop: Header=BB198_800 Depth=1
	s_or_b32 exec_lo, exec_lo, s9
.LBB198_892:                            ;   in Loop: Header=BB198_800 Depth=1
	s_or_b32 exec_lo, exec_lo, s7
	s_mov_b32 s7, exec_lo
	v_cmpx_lt_u32_e32 0xffffff, v13
	s_cbranch_execz .LBB198_900
; %bb.893:                              ;   in Loop: Header=BB198_800 Depth=1
	v_mov_b32_e32 v8, v7
	v_mov_b32_e32 v11, v9
	v_cmp_ne_u32_sdwa s4, v13, v68 src0_sel:BYTE_3 src1_sel:DWORD
	v_mov_b32_e32 v10, v8
	s_and_saveexec_b32 s9, s4
	s_cbranch_execz .LBB198_899
; %bb.894:                              ;   in Loop: Header=BB198_800 Depth=1
	v_mov_b32_e32 v11, v7
	v_bfe_u32 v14, v13, 24, 7
	s_mov_b32 s15, exec_lo
	v_mov_b32_e32 v10, v11
	v_mov_b32_e32 v11, v12
	v_cmpx_ne_u32_e32 0x7f, v14
	s_cbranch_execz .LBB198_898
; %bb.895:                              ;   in Loop: Header=BB198_800 Depth=1
	v_mov_b32_e32 v6, 7
	v_lshrrev_b32_e32 v8, 3, v14
	s_mov_b32 s18, exec_lo
	v_and_b32_sdwa v6, v13, v6 dst_sel:DWORD dst_unused:UNUSED_PAD src0_sel:BYTE_3 src1_sel:DWORD
	v_cmpx_gt_u32_e32 8, v14
; %bb.896:                              ;   in Loop: Header=BB198_800 Depth=1
	v_ffbh_u32_e32 v8, v6
	v_min_u32_e32 v8, 32, v8
	v_subrev_nc_u32_e32 v10, 28, v8
	v_sub_nc_u32_e32 v8, 29, v8
	v_lshlrev_b64 v[10:11], v10, v[6:7]
	v_and_b32_e32 v6, 7, v10
; %bb.897:                              ;   in Loop: Header=BB198_800 Depth=1
	s_or_b32 exec_lo, exec_lo, s18
	v_mov_b32_e32 v10, 24
	v_lshlrev_b32_e32 v6, 20, v6
	v_lshl_add_u32 v8, v8, 23, 0x3c000000
	v_lshlrev_b32_sdwa v10, v10, v13 dst_sel:DWORD dst_unused:UNUSED_PAD src0_sel:DWORD src1_sel:BYTE_3
	v_and_b32_e32 v10, 0x80000000, v10
	v_or3_b32 v11, v6, v10, v8
	v_mov_b32_e32 v10, v7
.LBB198_898:                            ;   in Loop: Header=BB198_800 Depth=1
	s_or_b32 exec_lo, exec_lo, s15
.LBB198_899:                            ;   in Loop: Header=BB198_800 Depth=1
	s_or_b32 exec_lo, exec_lo, s9
.LBB198_900:                            ;   in Loop: Header=BB198_800 Depth=1
	s_or_b32 exec_lo, exec_lo, s7
	v_or_b32_e32 v6, v20, v18
	v_or_b32_e32 v8, v19, v17
	;; [unrolled: 1-line block ×4, first 2 shown]
	v_mul_f32_e32 v6, v83, v6
	buffer_store_dword v6, off, s[0:3], s32 offset:260 ; 4-byte Folded Spill
	v_mul_f32_e32 v6, v67, v8
	buffer_store_dword v6, off, s[0:3], s32 offset:268 ; 4-byte Folded Spill
	;; [unrolled: 2-line block ×4, first 2 shown]
	s_and_saveexec_b32 s7, vcc_lo
	s_cbranch_execz .LBB198_902
; %bb.901:                              ;   in Loop: Header=BB198_800 Depth=1
	buffer_load_dword v6, off, s[0:3], s32 offset:268 ; 4-byte Folded Reload
	v_cmp_lt_i32_e64 s4, v101, v116
	s_waitcnt vmcnt(0)
	v_cndmask_b32_e64 v6, 0, v6, s4
	v_cmp_lt_i32_e64 s4, v103, v116
	buffer_store_dword v6, off, s[0:3], s32 offset:268 ; 4-byte Folded Spill
	buffer_load_dword v6, off, s[0:3], s32 offset:260 ; 4-byte Folded Reload
	s_waitcnt vmcnt(0)
	v_cndmask_b32_e64 v6, 0, v6, s4
	v_cmp_lt_i32_e64 s4, v102, v116
	buffer_store_dword v6, off, s[0:3], s32 offset:260 ; 4-byte Folded Spill
	buffer_load_dword v6, off, s[0:3], s32 offset:252 ; 4-byte Folded Reload
	;; [unrolled: 5-line block ×3, first 2 shown]
	s_waitcnt vmcnt(0)
	v_cndmask_b32_e64 v6, 0, v6, s4
	buffer_store_dword v6, off, s[0:3], s32 offset:244 ; 4-byte Folded Spill
.LBB198_902:                            ;   in Loop: Header=BB198_800 Depth=1
	s_or_b32 exec_lo, exec_lo, s7
	flat_load_dword v13, v[0:1] offset:384
	v_mov_b32_e32 v19, 0
	v_mov_b32_e32 v17, 0
	;; [unrolled: 1-line block ×4, first 2 shown]
	s_waitcnt vmcnt(0) lgkmcnt(0)
	v_cmp_ne_u16_sdwa s4, v13, v7 src0_sel:BYTE_0 src1_sel:DWORD
	s_and_saveexec_b32 s7, s4
	s_cbranch_execz .LBB198_910
; %bb.903:                              ;   in Loop: Header=BB198_800 Depth=1
	v_bfrev_b32_e32 v17, 1
	v_mov_b32_e32 v18, 0
	v_cmp_ne_u16_sdwa s4, v13, v68 src0_sel:BYTE_0 src1_sel:DWORD
	s_and_saveexec_b32 s9, s4
	s_cbranch_execz .LBB198_909
; %bb.904:                              ;   in Loop: Header=BB198_800 Depth=1
	v_mov_b32_e32 v17, 0x7f800001
	v_and_b32_e32 v10, 0x7f, v13
	v_mov_b32_e32 v18, 0
	s_mov_b32 s15, exec_lo
	v_cmpx_ne_u32_e32 0x7f, v10
	s_cbranch_execz .LBB198_908
; %bb.905:                              ;   in Loop: Header=BB198_800 Depth=1
	v_and_b32_e32 v6, 7, v13
	v_lshrrev_b32_e32 v8, 3, v10
	s_mov_b32 s18, exec_lo
	v_cmpx_gt_u32_e32 8, v10
; %bb.906:                              ;   in Loop: Header=BB198_800 Depth=1
	v_ffbh_u32_e32 v8, v6
	v_min_u32_e32 v8, 32, v8
	v_subrev_nc_u32_e32 v10, 28, v8
	v_sub_nc_u32_e32 v8, 29, v8
	v_lshlrev_b64 v[10:11], v10, v[6:7]
	v_and_b32_e32 v6, 7, v10
; %bb.907:                              ;   in Loop: Header=BB198_800 Depth=1
	s_or_b32 exec_lo, exec_lo, s18
	v_lshlrev_b32_e32 v10, 24, v13
	v_lshlrev_b32_e32 v6, 20, v6
	v_lshl_add_u32 v8, v8, 23, 0x3c000000
	v_and_b32_e32 v10, 0x80000000, v10
	v_or3_b32 v6, v6, v10, v8
	v_mov_b32_e32 v18, v7
	v_mov_b32_e32 v17, v6
.LBB198_908:                            ;   in Loop: Header=BB198_800 Depth=1
	s_or_b32 exec_lo, exec_lo, s15
.LBB198_909:                            ;   in Loop: Header=BB198_800 Depth=1
	s_or_b32 exec_lo, exec_lo, s9
.LBB198_910:                            ;   in Loop: Header=BB198_800 Depth=1
	s_or_b32 exec_lo, exec_lo, s7
	v_cmp_ne_u16_sdwa s4, v13, v7 src0_sel:BYTE_1 src1_sel:DWORD
	s_and_saveexec_b32 s7, s4
	s_cbranch_execz .LBB198_918
; %bb.911:                              ;   in Loop: Header=BB198_800 Depth=1
	v_mov_b32_e32 v8, v7
	v_mov_b32_e32 v20, v9
	v_cmp_ne_u16_sdwa s4, v13, v68 src0_sel:BYTE_1 src1_sel:DWORD
	v_mov_b32_e32 v19, v8
	s_and_saveexec_b32 s9, s4
	s_cbranch_execz .LBB198_917
; %bb.912:                              ;   in Loop: Header=BB198_800 Depth=1
	v_and_b32_sdwa v6, v44, v13 dst_sel:DWORD dst_unused:UNUSED_PAD src0_sel:DWORD src1_sel:BYTE_1
	v_mov_b32_e32 v11, v7
	v_mov_b32_e32 v20, v12
	s_mov_b32 s15, exec_lo
	v_and_b32_e32 v10, 0x7f, v6
	v_mov_b32_e32 v19, v11
	v_cmpx_ne_u32_e32 0x7f, v10
	s_cbranch_execz .LBB198_916
; %bb.913:                              ;   in Loop: Header=BB198_800 Depth=1
	v_and_b32_e32 v6, 7, v6
	v_lshrrev_b32_e32 v8, 3, v10
	s_mov_b32 s18, exec_lo
	v_cmpx_gt_u32_e32 8, v10
; %bb.914:                              ;   in Loop: Header=BB198_800 Depth=1
	v_ffbh_u32_e32 v8, v6
	v_min_u32_e32 v8, 32, v8
	v_subrev_nc_u32_e32 v10, 28, v8
	v_sub_nc_u32_e32 v8, 29, v8
	v_lshlrev_b64 v[10:11], v10, v[6:7]
	v_and_b32_e32 v6, 7, v10
; %bb.915:                              ;   in Loop: Header=BB198_800 Depth=1
	s_or_b32 exec_lo, exec_lo, s18
	v_lshlrev_b32_e32 v10, 16, v13
	v_lshlrev_b32_e32 v6, 20, v6
	v_lshl_add_u32 v8, v8, 23, 0x3c000000
	v_mov_b32_e32 v19, v7
	v_and_b32_e32 v10, 0x80000000, v10
	v_or3_b32 v20, v6, v10, v8
.LBB198_916:                            ;   in Loop: Header=BB198_800 Depth=1
	s_or_b32 exec_lo, exec_lo, s15
.LBB198_917:                            ;   in Loop: Header=BB198_800 Depth=1
	s_or_b32 exec_lo, exec_lo, s9
.LBB198_918:                            ;   in Loop: Header=BB198_800 Depth=1
	s_or_b32 exec_lo, exec_lo, s7
	v_mov_b32_e32 v10, 0
	v_mov_b32_e32 v21, 0
	v_and_b32_sdwa v6, v13, v70 dst_sel:DWORD dst_unused:UNUSED_PAD src0_sel:WORD_1 src1_sel:DWORD
	v_mov_b32_e32 v11, 0
	v_mov_b32_e32 v22, 0
	s_mov_b32 s7, exec_lo
	v_cmpx_ne_u16_e32 0, v6
	s_cbranch_execz .LBB198_926
; %bb.919:                              ;   in Loop: Header=BB198_800 Depth=1
	v_bfrev_b32_e32 v21, 1
	v_mov_b32_e32 v22, 0
	s_mov_b32 s9, exec_lo
	v_cmpx_ne_u16_e32 0x80, v6
	s_cbranch_execz .LBB198_925
; %bb.920:                              ;   in Loop: Header=BB198_800 Depth=1
	v_mov_b32_e32 v21, 0x7f800001
	v_bfe_u32 v14, v13, 16, 7
	v_mov_b32_e32 v22, 0
	s_mov_b32 s15, exec_lo
	v_cmpx_ne_u32_e32 0x7f, v14
	s_cbranch_execz .LBB198_924
; %bb.921:                              ;   in Loop: Header=BB198_800 Depth=1
	v_mov_b32_e32 v6, 7
	v_lshrrev_b32_e32 v8, 3, v14
	s_mov_b32 s18, exec_lo
	v_and_b32_sdwa v6, v13, v6 dst_sel:DWORD dst_unused:UNUSED_PAD src0_sel:WORD_1 src1_sel:DWORD
	v_cmpx_gt_u32_e32 8, v14
; %bb.922:                              ;   in Loop: Header=BB198_800 Depth=1
	v_ffbh_u32_e32 v8, v6
	v_min_u32_e32 v8, 32, v8
	v_subrev_nc_u32_e32 v14, 28, v8
	v_sub_nc_u32_e32 v8, 29, v8
	v_lshlrev_b64 v[21:22], v14, v[6:7]
	v_and_b32_e32 v6, 7, v21
; %bb.923:                              ;   in Loop: Header=BB198_800 Depth=1
	s_or_b32 exec_lo, exec_lo, s18
	v_mov_b32_e32 v14, 24
	v_lshlrev_b32_e32 v6, 20, v6
	v_lshl_add_u32 v8, v8, 23, 0x3c000000
	v_lshlrev_b32_sdwa v14, v14, v13 dst_sel:DWORD dst_unused:UNUSED_PAD src0_sel:DWORD src1_sel:WORD_1
	v_and_b32_e32 v14, 0x80000000, v14
	v_or3_b32 v6, v6, v14, v8
	v_mov_b32_e32 v22, v7
	v_mov_b32_e32 v21, v6
.LBB198_924:                            ;   in Loop: Header=BB198_800 Depth=1
	s_or_b32 exec_lo, exec_lo, s15
.LBB198_925:                            ;   in Loop: Header=BB198_800 Depth=1
	s_or_b32 exec_lo, exec_lo, s9
.LBB198_926:                            ;   in Loop: Header=BB198_800 Depth=1
	s_or_b32 exec_lo, exec_lo, s7
	s_mov_b32 s7, exec_lo
	v_cmpx_lt_u32_e32 0xffffff, v13
	s_cbranch_execz .LBB198_934
; %bb.927:                              ;   in Loop: Header=BB198_800 Depth=1
	v_mov_b32_e32 v8, v7
	v_mov_b32_e32 v11, v9
	v_cmp_ne_u32_sdwa s4, v13, v68 src0_sel:BYTE_3 src1_sel:DWORD
	v_mov_b32_e32 v10, v8
	s_and_saveexec_b32 s9, s4
	s_cbranch_execz .LBB198_933
; %bb.928:                              ;   in Loop: Header=BB198_800 Depth=1
	v_mov_b32_e32 v11, v7
	v_bfe_u32 v14, v13, 24, 7
	s_mov_b32 s15, exec_lo
	v_mov_b32_e32 v10, v11
	v_mov_b32_e32 v11, v12
	v_cmpx_ne_u32_e32 0x7f, v14
	s_cbranch_execz .LBB198_932
; %bb.929:                              ;   in Loop: Header=BB198_800 Depth=1
	v_mov_b32_e32 v6, 7
	v_lshrrev_b32_e32 v8, 3, v14
	s_mov_b32 s18, exec_lo
	v_and_b32_sdwa v6, v13, v6 dst_sel:DWORD dst_unused:UNUSED_PAD src0_sel:BYTE_3 src1_sel:DWORD
	v_cmpx_gt_u32_e32 8, v14
; %bb.930:                              ;   in Loop: Header=BB198_800 Depth=1
	v_ffbh_u32_e32 v8, v6
	v_min_u32_e32 v8, 32, v8
	v_subrev_nc_u32_e32 v10, 28, v8
	v_sub_nc_u32_e32 v8, 29, v8
	v_lshlrev_b64 v[10:11], v10, v[6:7]
	v_and_b32_e32 v6, 7, v10
; %bb.931:                              ;   in Loop: Header=BB198_800 Depth=1
	s_or_b32 exec_lo, exec_lo, s18
	v_mov_b32_e32 v10, 24
	v_lshlrev_b32_e32 v6, 20, v6
	v_lshl_add_u32 v8, v8, 23, 0x3c000000
	v_lshlrev_b32_sdwa v10, v10, v13 dst_sel:DWORD dst_unused:UNUSED_PAD src0_sel:DWORD src1_sel:BYTE_3
	v_and_b32_e32 v10, 0x80000000, v10
	v_or3_b32 v11, v6, v10, v8
	v_mov_b32_e32 v10, v7
.LBB198_932:                            ;   in Loop: Header=BB198_800 Depth=1
	s_or_b32 exec_lo, exec_lo, s15
.LBB198_933:                            ;   in Loop: Header=BB198_800 Depth=1
	s_or_b32 exec_lo, exec_lo, s9
.LBB198_934:                            ;   in Loop: Header=BB198_800 Depth=1
	s_or_b32 exec_lo, exec_lo, s7
	v_or_b32_e32 v6, v20, v18
	v_or_b32_e32 v8, v19, v17
	;; [unrolled: 1-line block ×4, first 2 shown]
	v_mul_f32_e32 v6, v83, v6
	buffer_store_dword v6, off, s[0:3], s32 offset:300 ; 4-byte Folded Spill
	v_mul_f32_e32 v6, v67, v8
	buffer_store_dword v6, off, s[0:3], s32 offset:292 ; 4-byte Folded Spill
	;; [unrolled: 2-line block ×4, first 2 shown]
	s_and_saveexec_b32 s7, vcc_lo
	s_cbranch_execz .LBB198_936
; %bb.935:                              ;   in Loop: Header=BB198_800 Depth=1
	buffer_load_dword v6, off, s[0:3], s32 offset:292 ; 4-byte Folded Reload
	v_cmp_lt_i32_e64 s4, v101, v116
	s_waitcnt vmcnt(0)
	v_cndmask_b32_e64 v6, 0, v6, s4
	v_cmp_lt_i32_e64 s4, v103, v116
	buffer_store_dword v6, off, s[0:3], s32 offset:292 ; 4-byte Folded Spill
	buffer_load_dword v6, off, s[0:3], s32 offset:300 ; 4-byte Folded Reload
	s_waitcnt vmcnt(0)
	v_cndmask_b32_e64 v6, 0, v6, s4
	v_cmp_lt_i32_e64 s4, v102, v116
	buffer_store_dword v6, off, s[0:3], s32 offset:300 ; 4-byte Folded Spill
	buffer_load_dword v6, off, s[0:3], s32 offset:284 ; 4-byte Folded Reload
	s_waitcnt vmcnt(0)
	v_cndmask_b32_e64 v6, 0, v6, s4
	v_cmp_lt_i32_e64 s4, v81, v116
	buffer_store_dword v6, off, s[0:3], s32 offset:284 ; 4-byte Folded Spill
	buffer_load_dword v6, off, s[0:3], s32 offset:276 ; 4-byte Folded Reload
	s_waitcnt vmcnt(0)
	v_cndmask_b32_e64 v6, 0, v6, s4
	buffer_store_dword v6, off, s[0:3], s32 offset:276 ; 4-byte Folded Spill
.LBB198_936:                            ;   in Loop: Header=BB198_800 Depth=1
	s_or_b32 exec_lo, exec_lo, s7
	flat_load_dword v13, v[0:1] offset:512
	v_mov_b32_e32 v19, 0
	v_mov_b32_e32 v17, 0
	;; [unrolled: 1-line block ×4, first 2 shown]
	s_waitcnt vmcnt(0) lgkmcnt(0)
	v_cmp_ne_u16_sdwa s4, v13, v7 src0_sel:BYTE_0 src1_sel:DWORD
	s_and_saveexec_b32 s7, s4
	s_cbranch_execz .LBB198_944
; %bb.937:                              ;   in Loop: Header=BB198_800 Depth=1
	v_bfrev_b32_e32 v17, 1
	v_mov_b32_e32 v18, 0
	v_cmp_ne_u16_sdwa s4, v13, v68 src0_sel:BYTE_0 src1_sel:DWORD
	s_and_saveexec_b32 s9, s4
	s_cbranch_execz .LBB198_943
; %bb.938:                              ;   in Loop: Header=BB198_800 Depth=1
	v_mov_b32_e32 v17, 0x7f800001
	v_and_b32_e32 v10, 0x7f, v13
	v_mov_b32_e32 v18, 0
	s_mov_b32 s15, exec_lo
	v_cmpx_ne_u32_e32 0x7f, v10
	s_cbranch_execz .LBB198_942
; %bb.939:                              ;   in Loop: Header=BB198_800 Depth=1
	v_and_b32_e32 v6, 7, v13
	v_lshrrev_b32_e32 v8, 3, v10
	s_mov_b32 s18, exec_lo
	v_cmpx_gt_u32_e32 8, v10
; %bb.940:                              ;   in Loop: Header=BB198_800 Depth=1
	v_ffbh_u32_e32 v8, v6
	v_min_u32_e32 v8, 32, v8
	v_subrev_nc_u32_e32 v10, 28, v8
	v_sub_nc_u32_e32 v8, 29, v8
	v_lshlrev_b64 v[10:11], v10, v[6:7]
	v_and_b32_e32 v6, 7, v10
; %bb.941:                              ;   in Loop: Header=BB198_800 Depth=1
	s_or_b32 exec_lo, exec_lo, s18
	v_lshlrev_b32_e32 v10, 24, v13
	v_lshlrev_b32_e32 v6, 20, v6
	v_lshl_add_u32 v8, v8, 23, 0x3c000000
	v_and_b32_e32 v10, 0x80000000, v10
	v_or3_b32 v6, v6, v10, v8
	v_mov_b32_e32 v18, v7
	v_mov_b32_e32 v17, v6
.LBB198_942:                            ;   in Loop: Header=BB198_800 Depth=1
	s_or_b32 exec_lo, exec_lo, s15
.LBB198_943:                            ;   in Loop: Header=BB198_800 Depth=1
	s_or_b32 exec_lo, exec_lo, s9
.LBB198_944:                            ;   in Loop: Header=BB198_800 Depth=1
	s_or_b32 exec_lo, exec_lo, s7
	v_cmp_ne_u16_sdwa s4, v13, v7 src0_sel:BYTE_1 src1_sel:DWORD
	s_and_saveexec_b32 s7, s4
	s_cbranch_execz .LBB198_952
; %bb.945:                              ;   in Loop: Header=BB198_800 Depth=1
	v_mov_b32_e32 v8, v7
	v_mov_b32_e32 v20, v9
	v_cmp_ne_u16_sdwa s4, v13, v68 src0_sel:BYTE_1 src1_sel:DWORD
	v_mov_b32_e32 v19, v8
	s_and_saveexec_b32 s9, s4
	s_cbranch_execz .LBB198_951
; %bb.946:                              ;   in Loop: Header=BB198_800 Depth=1
	v_and_b32_sdwa v6, v44, v13 dst_sel:DWORD dst_unused:UNUSED_PAD src0_sel:DWORD src1_sel:BYTE_1
	v_mov_b32_e32 v11, v7
	v_mov_b32_e32 v20, v12
	s_mov_b32 s15, exec_lo
	v_and_b32_e32 v10, 0x7f, v6
	v_mov_b32_e32 v19, v11
	v_cmpx_ne_u32_e32 0x7f, v10
	s_cbranch_execz .LBB198_950
; %bb.947:                              ;   in Loop: Header=BB198_800 Depth=1
	v_and_b32_e32 v6, 7, v6
	v_lshrrev_b32_e32 v8, 3, v10
	s_mov_b32 s18, exec_lo
	v_cmpx_gt_u32_e32 8, v10
; %bb.948:                              ;   in Loop: Header=BB198_800 Depth=1
	v_ffbh_u32_e32 v8, v6
	v_min_u32_e32 v8, 32, v8
	v_subrev_nc_u32_e32 v10, 28, v8
	v_sub_nc_u32_e32 v8, 29, v8
	v_lshlrev_b64 v[10:11], v10, v[6:7]
	v_and_b32_e32 v6, 7, v10
; %bb.949:                              ;   in Loop: Header=BB198_800 Depth=1
	s_or_b32 exec_lo, exec_lo, s18
	v_lshlrev_b32_e32 v10, 16, v13
	v_lshlrev_b32_e32 v6, 20, v6
	v_lshl_add_u32 v8, v8, 23, 0x3c000000
	v_mov_b32_e32 v19, v7
	v_and_b32_e32 v10, 0x80000000, v10
	v_or3_b32 v20, v6, v10, v8
.LBB198_950:                            ;   in Loop: Header=BB198_800 Depth=1
	s_or_b32 exec_lo, exec_lo, s15
.LBB198_951:                            ;   in Loop: Header=BB198_800 Depth=1
	s_or_b32 exec_lo, exec_lo, s9
.LBB198_952:                            ;   in Loop: Header=BB198_800 Depth=1
	s_or_b32 exec_lo, exec_lo, s7
	v_mov_b32_e32 v10, 0
	v_mov_b32_e32 v21, 0
	v_and_b32_sdwa v6, v13, v70 dst_sel:DWORD dst_unused:UNUSED_PAD src0_sel:WORD_1 src1_sel:DWORD
	v_mov_b32_e32 v11, 0
	v_mov_b32_e32 v22, 0
	s_mov_b32 s7, exec_lo
	v_cmpx_ne_u16_e32 0, v6
	s_cbranch_execz .LBB198_960
; %bb.953:                              ;   in Loop: Header=BB198_800 Depth=1
	v_bfrev_b32_e32 v21, 1
	v_mov_b32_e32 v22, 0
	s_mov_b32 s9, exec_lo
	v_cmpx_ne_u16_e32 0x80, v6
	s_cbranch_execz .LBB198_959
; %bb.954:                              ;   in Loop: Header=BB198_800 Depth=1
	v_mov_b32_e32 v21, 0x7f800001
	v_bfe_u32 v14, v13, 16, 7
	v_mov_b32_e32 v22, 0
	s_mov_b32 s15, exec_lo
	v_cmpx_ne_u32_e32 0x7f, v14
	s_cbranch_execz .LBB198_958
; %bb.955:                              ;   in Loop: Header=BB198_800 Depth=1
	v_mov_b32_e32 v6, 7
	v_lshrrev_b32_e32 v8, 3, v14
	s_mov_b32 s18, exec_lo
	v_and_b32_sdwa v6, v13, v6 dst_sel:DWORD dst_unused:UNUSED_PAD src0_sel:WORD_1 src1_sel:DWORD
	v_cmpx_gt_u32_e32 8, v14
; %bb.956:                              ;   in Loop: Header=BB198_800 Depth=1
	v_ffbh_u32_e32 v8, v6
	v_min_u32_e32 v8, 32, v8
	v_subrev_nc_u32_e32 v14, 28, v8
	v_sub_nc_u32_e32 v8, 29, v8
	v_lshlrev_b64 v[21:22], v14, v[6:7]
	v_and_b32_e32 v6, 7, v21
; %bb.957:                              ;   in Loop: Header=BB198_800 Depth=1
	s_or_b32 exec_lo, exec_lo, s18
	v_mov_b32_e32 v14, 24
	v_lshlrev_b32_e32 v6, 20, v6
	v_lshl_add_u32 v8, v8, 23, 0x3c000000
	v_lshlrev_b32_sdwa v14, v14, v13 dst_sel:DWORD dst_unused:UNUSED_PAD src0_sel:DWORD src1_sel:WORD_1
	v_and_b32_e32 v14, 0x80000000, v14
	v_or3_b32 v6, v6, v14, v8
	v_mov_b32_e32 v22, v7
	v_mov_b32_e32 v21, v6
.LBB198_958:                            ;   in Loop: Header=BB198_800 Depth=1
	s_or_b32 exec_lo, exec_lo, s15
.LBB198_959:                            ;   in Loop: Header=BB198_800 Depth=1
	s_or_b32 exec_lo, exec_lo, s9
.LBB198_960:                            ;   in Loop: Header=BB198_800 Depth=1
	s_or_b32 exec_lo, exec_lo, s7
	s_mov_b32 s7, exec_lo
	v_cmpx_lt_u32_e32 0xffffff, v13
	s_cbranch_execz .LBB198_968
; %bb.961:                              ;   in Loop: Header=BB198_800 Depth=1
	v_mov_b32_e32 v8, v7
	v_mov_b32_e32 v11, v9
	v_cmp_ne_u32_sdwa s4, v13, v68 src0_sel:BYTE_3 src1_sel:DWORD
	v_mov_b32_e32 v10, v8
	s_and_saveexec_b32 s9, s4
	s_cbranch_execz .LBB198_967
; %bb.962:                              ;   in Loop: Header=BB198_800 Depth=1
	v_mov_b32_e32 v11, v7
	v_bfe_u32 v14, v13, 24, 7
	s_mov_b32 s15, exec_lo
	v_mov_b32_e32 v10, v11
	v_mov_b32_e32 v11, v12
	v_cmpx_ne_u32_e32 0x7f, v14
	s_cbranch_execz .LBB198_966
; %bb.963:                              ;   in Loop: Header=BB198_800 Depth=1
	v_mov_b32_e32 v6, 7
	v_lshrrev_b32_e32 v8, 3, v14
	s_mov_b32 s18, exec_lo
	v_and_b32_sdwa v6, v13, v6 dst_sel:DWORD dst_unused:UNUSED_PAD src0_sel:BYTE_3 src1_sel:DWORD
	v_cmpx_gt_u32_e32 8, v14
; %bb.964:                              ;   in Loop: Header=BB198_800 Depth=1
	v_ffbh_u32_e32 v8, v6
	v_min_u32_e32 v8, 32, v8
	v_subrev_nc_u32_e32 v10, 28, v8
	v_sub_nc_u32_e32 v8, 29, v8
	v_lshlrev_b64 v[10:11], v10, v[6:7]
	v_and_b32_e32 v6, 7, v10
; %bb.965:                              ;   in Loop: Header=BB198_800 Depth=1
	s_or_b32 exec_lo, exec_lo, s18
	v_mov_b32_e32 v10, 24
	v_lshlrev_b32_e32 v6, 20, v6
	v_lshl_add_u32 v8, v8, 23, 0x3c000000
	v_lshlrev_b32_sdwa v10, v10, v13 dst_sel:DWORD dst_unused:UNUSED_PAD src0_sel:DWORD src1_sel:BYTE_3
	v_and_b32_e32 v10, 0x80000000, v10
	v_or3_b32 v11, v6, v10, v8
	v_mov_b32_e32 v10, v7
.LBB198_966:                            ;   in Loop: Header=BB198_800 Depth=1
	s_or_b32 exec_lo, exec_lo, s15
.LBB198_967:                            ;   in Loop: Header=BB198_800 Depth=1
	s_or_b32 exec_lo, exec_lo, s9
.LBB198_968:                            ;   in Loop: Header=BB198_800 Depth=1
	s_or_b32 exec_lo, exec_lo, s7
	v_or_b32_e32 v6, v20, v18
	v_or_b32_e32 v8, v19, v17
	v_or_b32_e32 v10, v10, v21
	v_or_b32_e32 v11, v11, v22
	v_mul_f32_e32 v6, v83, v6
	buffer_store_dword v6, off, s[0:3], s32 offset:332 ; 4-byte Folded Spill
	v_mul_f32_e32 v6, v67, v8
	buffer_store_dword v6, off, s[0:3], s32 offset:324 ; 4-byte Folded Spill
	;; [unrolled: 2-line block ×4, first 2 shown]
	s_and_saveexec_b32 s7, vcc_lo
	s_cbranch_execz .LBB198_970
; %bb.969:                              ;   in Loop: Header=BB198_800 Depth=1
	buffer_load_dword v6, off, s[0:3], s32 offset:324 ; 4-byte Folded Reload
	v_cmp_lt_i32_e64 s4, v101, v116
	s_waitcnt vmcnt(0)
	v_cndmask_b32_e64 v6, 0, v6, s4
	v_cmp_lt_i32_e64 s4, v103, v116
	buffer_store_dword v6, off, s[0:3], s32 offset:324 ; 4-byte Folded Spill
	buffer_load_dword v6, off, s[0:3], s32 offset:332 ; 4-byte Folded Reload
	s_waitcnt vmcnt(0)
	v_cndmask_b32_e64 v6, 0, v6, s4
	v_cmp_lt_i32_e64 s4, v102, v116
	buffer_store_dword v6, off, s[0:3], s32 offset:332 ; 4-byte Folded Spill
	buffer_load_dword v6, off, s[0:3], s32 offset:316 ; 4-byte Folded Reload
	s_waitcnt vmcnt(0)
	v_cndmask_b32_e64 v6, 0, v6, s4
	v_cmp_lt_i32_e64 s4, v81, v116
	buffer_store_dword v6, off, s[0:3], s32 offset:316 ; 4-byte Folded Spill
	buffer_load_dword v6, off, s[0:3], s32 offset:308 ; 4-byte Folded Reload
	s_waitcnt vmcnt(0)
	v_cndmask_b32_e64 v6, 0, v6, s4
	buffer_store_dword v6, off, s[0:3], s32 offset:308 ; 4-byte Folded Spill
.LBB198_970:                            ;   in Loop: Header=BB198_800 Depth=1
	s_or_b32 exec_lo, exec_lo, s7
	flat_load_dword v13, v[0:1] offset:640
	v_mov_b32_e32 v19, 0
	v_mov_b32_e32 v17, 0
	;; [unrolled: 1-line block ×4, first 2 shown]
	s_waitcnt vmcnt(0) lgkmcnt(0)
	v_cmp_ne_u16_sdwa s4, v13, v7 src0_sel:BYTE_0 src1_sel:DWORD
	s_and_saveexec_b32 s7, s4
	s_cbranch_execz .LBB198_978
; %bb.971:                              ;   in Loop: Header=BB198_800 Depth=1
	v_bfrev_b32_e32 v17, 1
	v_mov_b32_e32 v18, 0
	v_cmp_ne_u16_sdwa s4, v13, v68 src0_sel:BYTE_0 src1_sel:DWORD
	s_and_saveexec_b32 s9, s4
	s_cbranch_execz .LBB198_977
; %bb.972:                              ;   in Loop: Header=BB198_800 Depth=1
	v_mov_b32_e32 v17, 0x7f800001
	v_and_b32_e32 v10, 0x7f, v13
	v_mov_b32_e32 v18, 0
	s_mov_b32 s15, exec_lo
	v_cmpx_ne_u32_e32 0x7f, v10
	s_cbranch_execz .LBB198_976
; %bb.973:                              ;   in Loop: Header=BB198_800 Depth=1
	v_and_b32_e32 v6, 7, v13
	v_lshrrev_b32_e32 v8, 3, v10
	s_mov_b32 s18, exec_lo
	v_cmpx_gt_u32_e32 8, v10
; %bb.974:                              ;   in Loop: Header=BB198_800 Depth=1
	v_ffbh_u32_e32 v8, v6
	v_min_u32_e32 v8, 32, v8
	v_subrev_nc_u32_e32 v10, 28, v8
	v_sub_nc_u32_e32 v8, 29, v8
	v_lshlrev_b64 v[10:11], v10, v[6:7]
	v_and_b32_e32 v6, 7, v10
; %bb.975:                              ;   in Loop: Header=BB198_800 Depth=1
	s_or_b32 exec_lo, exec_lo, s18
	v_lshlrev_b32_e32 v10, 24, v13
	v_lshlrev_b32_e32 v6, 20, v6
	v_lshl_add_u32 v8, v8, 23, 0x3c000000
	v_and_b32_e32 v10, 0x80000000, v10
	v_or3_b32 v6, v6, v10, v8
	v_mov_b32_e32 v18, v7
	v_mov_b32_e32 v17, v6
.LBB198_976:                            ;   in Loop: Header=BB198_800 Depth=1
	s_or_b32 exec_lo, exec_lo, s15
.LBB198_977:                            ;   in Loop: Header=BB198_800 Depth=1
	s_or_b32 exec_lo, exec_lo, s9
.LBB198_978:                            ;   in Loop: Header=BB198_800 Depth=1
	s_or_b32 exec_lo, exec_lo, s7
	v_cmp_ne_u16_sdwa s4, v13, v7 src0_sel:BYTE_1 src1_sel:DWORD
	s_and_saveexec_b32 s7, s4
	s_cbranch_execz .LBB198_986
; %bb.979:                              ;   in Loop: Header=BB198_800 Depth=1
	v_mov_b32_e32 v8, v7
	v_mov_b32_e32 v20, v9
	v_cmp_ne_u16_sdwa s4, v13, v68 src0_sel:BYTE_1 src1_sel:DWORD
	v_mov_b32_e32 v19, v8
	s_and_saveexec_b32 s9, s4
	s_cbranch_execz .LBB198_985
; %bb.980:                              ;   in Loop: Header=BB198_800 Depth=1
	v_and_b32_sdwa v6, v44, v13 dst_sel:DWORD dst_unused:UNUSED_PAD src0_sel:DWORD src1_sel:BYTE_1
	v_mov_b32_e32 v11, v7
	v_mov_b32_e32 v20, v12
	s_mov_b32 s15, exec_lo
	v_and_b32_e32 v10, 0x7f, v6
	v_mov_b32_e32 v19, v11
	v_cmpx_ne_u32_e32 0x7f, v10
	s_cbranch_execz .LBB198_984
; %bb.981:                              ;   in Loop: Header=BB198_800 Depth=1
	v_and_b32_e32 v6, 7, v6
	v_lshrrev_b32_e32 v8, 3, v10
	s_mov_b32 s18, exec_lo
	v_cmpx_gt_u32_e32 8, v10
; %bb.982:                              ;   in Loop: Header=BB198_800 Depth=1
	v_ffbh_u32_e32 v8, v6
	v_min_u32_e32 v8, 32, v8
	v_subrev_nc_u32_e32 v10, 28, v8
	v_sub_nc_u32_e32 v8, 29, v8
	v_lshlrev_b64 v[10:11], v10, v[6:7]
	v_and_b32_e32 v6, 7, v10
; %bb.983:                              ;   in Loop: Header=BB198_800 Depth=1
	s_or_b32 exec_lo, exec_lo, s18
	v_lshlrev_b32_e32 v10, 16, v13
	v_lshlrev_b32_e32 v6, 20, v6
	v_lshl_add_u32 v8, v8, 23, 0x3c000000
	v_mov_b32_e32 v19, v7
	v_and_b32_e32 v10, 0x80000000, v10
	v_or3_b32 v20, v6, v10, v8
.LBB198_984:                            ;   in Loop: Header=BB198_800 Depth=1
	s_or_b32 exec_lo, exec_lo, s15
.LBB198_985:                            ;   in Loop: Header=BB198_800 Depth=1
	s_or_b32 exec_lo, exec_lo, s9
.LBB198_986:                            ;   in Loop: Header=BB198_800 Depth=1
	s_or_b32 exec_lo, exec_lo, s7
	v_mov_b32_e32 v10, 0
	v_mov_b32_e32 v21, 0
	v_and_b32_sdwa v6, v13, v70 dst_sel:DWORD dst_unused:UNUSED_PAD src0_sel:WORD_1 src1_sel:DWORD
	v_mov_b32_e32 v11, 0
	v_mov_b32_e32 v22, 0
	s_mov_b32 s7, exec_lo
	v_cmpx_ne_u16_e32 0, v6
	s_cbranch_execz .LBB198_994
; %bb.987:                              ;   in Loop: Header=BB198_800 Depth=1
	v_bfrev_b32_e32 v21, 1
	v_mov_b32_e32 v22, 0
	s_mov_b32 s9, exec_lo
	v_cmpx_ne_u16_e32 0x80, v6
	s_cbranch_execz .LBB198_993
; %bb.988:                              ;   in Loop: Header=BB198_800 Depth=1
	v_mov_b32_e32 v21, 0x7f800001
	v_bfe_u32 v14, v13, 16, 7
	v_mov_b32_e32 v22, 0
	s_mov_b32 s15, exec_lo
	v_cmpx_ne_u32_e32 0x7f, v14
	s_cbranch_execz .LBB198_992
; %bb.989:                              ;   in Loop: Header=BB198_800 Depth=1
	v_mov_b32_e32 v6, 7
	v_lshrrev_b32_e32 v8, 3, v14
	s_mov_b32 s18, exec_lo
	v_and_b32_sdwa v6, v13, v6 dst_sel:DWORD dst_unused:UNUSED_PAD src0_sel:WORD_1 src1_sel:DWORD
	v_cmpx_gt_u32_e32 8, v14
; %bb.990:                              ;   in Loop: Header=BB198_800 Depth=1
	v_ffbh_u32_e32 v8, v6
	v_min_u32_e32 v8, 32, v8
	v_subrev_nc_u32_e32 v14, 28, v8
	v_sub_nc_u32_e32 v8, 29, v8
	v_lshlrev_b64 v[21:22], v14, v[6:7]
	v_and_b32_e32 v6, 7, v21
; %bb.991:                              ;   in Loop: Header=BB198_800 Depth=1
	s_or_b32 exec_lo, exec_lo, s18
	v_mov_b32_e32 v14, 24
	v_lshlrev_b32_e32 v6, 20, v6
	v_lshl_add_u32 v8, v8, 23, 0x3c000000
	v_lshlrev_b32_sdwa v14, v14, v13 dst_sel:DWORD dst_unused:UNUSED_PAD src0_sel:DWORD src1_sel:WORD_1
	v_and_b32_e32 v14, 0x80000000, v14
	v_or3_b32 v6, v6, v14, v8
	v_mov_b32_e32 v22, v7
	v_mov_b32_e32 v21, v6
.LBB198_992:                            ;   in Loop: Header=BB198_800 Depth=1
	s_or_b32 exec_lo, exec_lo, s15
.LBB198_993:                            ;   in Loop: Header=BB198_800 Depth=1
	s_or_b32 exec_lo, exec_lo, s9
.LBB198_994:                            ;   in Loop: Header=BB198_800 Depth=1
	s_or_b32 exec_lo, exec_lo, s7
	s_mov_b32 s7, exec_lo
	v_cmpx_lt_u32_e32 0xffffff, v13
	s_cbranch_execz .LBB198_1002
; %bb.995:                              ;   in Loop: Header=BB198_800 Depth=1
	v_mov_b32_e32 v8, v7
	v_mov_b32_e32 v11, v9
	v_cmp_ne_u32_sdwa s4, v13, v68 src0_sel:BYTE_3 src1_sel:DWORD
	v_mov_b32_e32 v10, v8
	s_and_saveexec_b32 s9, s4
	s_cbranch_execz .LBB198_1001
; %bb.996:                              ;   in Loop: Header=BB198_800 Depth=1
	v_mov_b32_e32 v11, v7
	v_bfe_u32 v14, v13, 24, 7
	s_mov_b32 s15, exec_lo
	v_mov_b32_e32 v10, v11
	v_mov_b32_e32 v11, v12
	v_cmpx_ne_u32_e32 0x7f, v14
	s_cbranch_execz .LBB198_1000
; %bb.997:                              ;   in Loop: Header=BB198_800 Depth=1
	v_mov_b32_e32 v6, 7
	v_lshrrev_b32_e32 v8, 3, v14
	s_mov_b32 s18, exec_lo
	v_and_b32_sdwa v6, v13, v6 dst_sel:DWORD dst_unused:UNUSED_PAD src0_sel:BYTE_3 src1_sel:DWORD
	v_cmpx_gt_u32_e32 8, v14
; %bb.998:                              ;   in Loop: Header=BB198_800 Depth=1
	v_ffbh_u32_e32 v8, v6
	v_min_u32_e32 v8, 32, v8
	v_subrev_nc_u32_e32 v10, 28, v8
	v_sub_nc_u32_e32 v8, 29, v8
	v_lshlrev_b64 v[10:11], v10, v[6:7]
	v_and_b32_e32 v6, 7, v10
; %bb.999:                              ;   in Loop: Header=BB198_800 Depth=1
	s_or_b32 exec_lo, exec_lo, s18
	v_mov_b32_e32 v10, 24
	v_lshlrev_b32_e32 v6, 20, v6
	v_lshl_add_u32 v8, v8, 23, 0x3c000000
	v_lshlrev_b32_sdwa v10, v10, v13 dst_sel:DWORD dst_unused:UNUSED_PAD src0_sel:DWORD src1_sel:BYTE_3
	v_and_b32_e32 v10, 0x80000000, v10
	v_or3_b32 v11, v6, v10, v8
	v_mov_b32_e32 v10, v7
.LBB198_1000:                           ;   in Loop: Header=BB198_800 Depth=1
	s_or_b32 exec_lo, exec_lo, s15
.LBB198_1001:                           ;   in Loop: Header=BB198_800 Depth=1
	s_or_b32 exec_lo, exec_lo, s9
.LBB198_1002:                           ;   in Loop: Header=BB198_800 Depth=1
	s_or_b32 exec_lo, exec_lo, s7
	v_or_b32_e32 v6, v20, v18
	v_or_b32_e32 v8, v19, v17
	;; [unrolled: 1-line block ×4, first 2 shown]
	v_mul_f32_e32 v47, v83, v6
	v_mul_f32_e32 v56, v67, v8
	;; [unrolled: 1-line block ×4, first 2 shown]
	s_and_saveexec_b32 s7, vcc_lo
	s_cbranch_execz .LBB198_1004
; %bb.1003:                             ;   in Loop: Header=BB198_800 Depth=1
	v_cmp_lt_i32_e64 s4, v101, v116
	v_cndmask_b32_e64 v56, 0, v56, s4
	v_cmp_lt_i32_e64 s4, v103, v116
	v_cndmask_b32_e64 v47, 0, v47, s4
	v_cmp_lt_i32_e64 s4, v102, v116
	v_cndmask_b32_e64 v46, 0, v46, s4
	v_cmp_lt_i32_e64 s4, v81, v116
	v_cndmask_b32_e64 v45, 0, v45, s4
.LBB198_1004:                           ;   in Loop: Header=BB198_800 Depth=1
	s_or_b32 exec_lo, exec_lo, s7
	flat_load_dword v13, v[0:1] offset:768
	v_mov_b32_e32 v19, 0
	v_mov_b32_e32 v17, 0
	;; [unrolled: 1-line block ×4, first 2 shown]
	s_waitcnt vmcnt(0) lgkmcnt(0)
	v_cmp_ne_u16_sdwa s4, v13, v7 src0_sel:BYTE_0 src1_sel:DWORD
	s_and_saveexec_b32 s7, s4
	s_cbranch_execz .LBB198_1012
; %bb.1005:                             ;   in Loop: Header=BB198_800 Depth=1
	v_bfrev_b32_e32 v17, 1
	v_mov_b32_e32 v18, 0
	v_cmp_ne_u16_sdwa s4, v13, v68 src0_sel:BYTE_0 src1_sel:DWORD
	s_and_saveexec_b32 s9, s4
	s_cbranch_execz .LBB198_1011
; %bb.1006:                             ;   in Loop: Header=BB198_800 Depth=1
	v_mov_b32_e32 v17, 0x7f800001
	v_and_b32_e32 v10, 0x7f, v13
	v_mov_b32_e32 v18, 0
	s_mov_b32 s15, exec_lo
	v_cmpx_ne_u32_e32 0x7f, v10
	s_cbranch_execz .LBB198_1010
; %bb.1007:                             ;   in Loop: Header=BB198_800 Depth=1
	v_and_b32_e32 v6, 7, v13
	v_lshrrev_b32_e32 v8, 3, v10
	s_mov_b32 s18, exec_lo
	v_cmpx_gt_u32_e32 8, v10
; %bb.1008:                             ;   in Loop: Header=BB198_800 Depth=1
	v_ffbh_u32_e32 v8, v6
	v_min_u32_e32 v8, 32, v8
	v_subrev_nc_u32_e32 v10, 28, v8
	v_sub_nc_u32_e32 v8, 29, v8
	v_lshlrev_b64 v[10:11], v10, v[6:7]
	v_and_b32_e32 v6, 7, v10
; %bb.1009:                             ;   in Loop: Header=BB198_800 Depth=1
	s_or_b32 exec_lo, exec_lo, s18
	v_lshlrev_b32_e32 v10, 24, v13
	v_lshlrev_b32_e32 v6, 20, v6
	v_lshl_add_u32 v8, v8, 23, 0x3c000000
	v_and_b32_e32 v10, 0x80000000, v10
	v_or3_b32 v6, v6, v10, v8
	v_mov_b32_e32 v18, v7
	v_mov_b32_e32 v17, v6
.LBB198_1010:                           ;   in Loop: Header=BB198_800 Depth=1
	s_or_b32 exec_lo, exec_lo, s15
.LBB198_1011:                           ;   in Loop: Header=BB198_800 Depth=1
	s_or_b32 exec_lo, exec_lo, s9
.LBB198_1012:                           ;   in Loop: Header=BB198_800 Depth=1
	s_or_b32 exec_lo, exec_lo, s7
	v_cmp_ne_u16_sdwa s4, v13, v7 src0_sel:BYTE_1 src1_sel:DWORD
	s_and_saveexec_b32 s7, s4
	s_cbranch_execz .LBB198_1020
; %bb.1013:                             ;   in Loop: Header=BB198_800 Depth=1
	v_mov_b32_e32 v8, v7
	v_mov_b32_e32 v20, v9
	v_cmp_ne_u16_sdwa s4, v13, v68 src0_sel:BYTE_1 src1_sel:DWORD
	v_mov_b32_e32 v19, v8
	s_and_saveexec_b32 s9, s4
	s_cbranch_execz .LBB198_1019
; %bb.1014:                             ;   in Loop: Header=BB198_800 Depth=1
	v_and_b32_sdwa v6, v44, v13 dst_sel:DWORD dst_unused:UNUSED_PAD src0_sel:DWORD src1_sel:BYTE_1
	v_mov_b32_e32 v11, v7
	v_mov_b32_e32 v20, v12
	s_mov_b32 s15, exec_lo
	v_and_b32_e32 v10, 0x7f, v6
	v_mov_b32_e32 v19, v11
	v_cmpx_ne_u32_e32 0x7f, v10
	s_cbranch_execz .LBB198_1018
; %bb.1015:                             ;   in Loop: Header=BB198_800 Depth=1
	v_and_b32_e32 v6, 7, v6
	v_lshrrev_b32_e32 v8, 3, v10
	s_mov_b32 s18, exec_lo
	v_cmpx_gt_u32_e32 8, v10
; %bb.1016:                             ;   in Loop: Header=BB198_800 Depth=1
	v_ffbh_u32_e32 v8, v6
	v_min_u32_e32 v8, 32, v8
	v_subrev_nc_u32_e32 v10, 28, v8
	v_sub_nc_u32_e32 v8, 29, v8
	v_lshlrev_b64 v[10:11], v10, v[6:7]
	v_and_b32_e32 v6, 7, v10
; %bb.1017:                             ;   in Loop: Header=BB198_800 Depth=1
	s_or_b32 exec_lo, exec_lo, s18
	v_lshlrev_b32_e32 v10, 16, v13
	v_lshlrev_b32_e32 v6, 20, v6
	v_lshl_add_u32 v8, v8, 23, 0x3c000000
	v_mov_b32_e32 v19, v7
	v_and_b32_e32 v10, 0x80000000, v10
	v_or3_b32 v20, v6, v10, v8
.LBB198_1018:                           ;   in Loop: Header=BB198_800 Depth=1
	s_or_b32 exec_lo, exec_lo, s15
.LBB198_1019:                           ;   in Loop: Header=BB198_800 Depth=1
	s_or_b32 exec_lo, exec_lo, s9
.LBB198_1020:                           ;   in Loop: Header=BB198_800 Depth=1
	s_or_b32 exec_lo, exec_lo, s7
	v_mov_b32_e32 v10, 0
	v_mov_b32_e32 v21, 0
	v_and_b32_sdwa v6, v13, v70 dst_sel:DWORD dst_unused:UNUSED_PAD src0_sel:WORD_1 src1_sel:DWORD
	v_mov_b32_e32 v11, 0
	v_mov_b32_e32 v22, 0
	s_mov_b32 s7, exec_lo
	v_cmpx_ne_u16_e32 0, v6
	s_cbranch_execz .LBB198_1028
; %bb.1021:                             ;   in Loop: Header=BB198_800 Depth=1
	v_bfrev_b32_e32 v21, 1
	v_mov_b32_e32 v22, 0
	s_mov_b32 s9, exec_lo
	v_cmpx_ne_u16_e32 0x80, v6
	s_cbranch_execz .LBB198_1027
; %bb.1022:                             ;   in Loop: Header=BB198_800 Depth=1
	v_mov_b32_e32 v21, 0x7f800001
	v_bfe_u32 v14, v13, 16, 7
	v_mov_b32_e32 v22, 0
	s_mov_b32 s15, exec_lo
	v_cmpx_ne_u32_e32 0x7f, v14
	s_cbranch_execz .LBB198_1026
; %bb.1023:                             ;   in Loop: Header=BB198_800 Depth=1
	v_mov_b32_e32 v6, 7
	v_lshrrev_b32_e32 v8, 3, v14
	s_mov_b32 s18, exec_lo
	v_and_b32_sdwa v6, v13, v6 dst_sel:DWORD dst_unused:UNUSED_PAD src0_sel:WORD_1 src1_sel:DWORD
	v_cmpx_gt_u32_e32 8, v14
; %bb.1024:                             ;   in Loop: Header=BB198_800 Depth=1
	v_ffbh_u32_e32 v8, v6
	v_min_u32_e32 v8, 32, v8
	v_subrev_nc_u32_e32 v14, 28, v8
	v_sub_nc_u32_e32 v8, 29, v8
	v_lshlrev_b64 v[21:22], v14, v[6:7]
	v_and_b32_e32 v6, 7, v21
; %bb.1025:                             ;   in Loop: Header=BB198_800 Depth=1
	s_or_b32 exec_lo, exec_lo, s18
	v_mov_b32_e32 v14, 24
	v_lshlrev_b32_e32 v6, 20, v6
	v_lshl_add_u32 v8, v8, 23, 0x3c000000
	v_lshlrev_b32_sdwa v14, v14, v13 dst_sel:DWORD dst_unused:UNUSED_PAD src0_sel:DWORD src1_sel:WORD_1
	v_and_b32_e32 v14, 0x80000000, v14
	v_or3_b32 v6, v6, v14, v8
	v_mov_b32_e32 v22, v7
	v_mov_b32_e32 v21, v6
.LBB198_1026:                           ;   in Loop: Header=BB198_800 Depth=1
	s_or_b32 exec_lo, exec_lo, s15
.LBB198_1027:                           ;   in Loop: Header=BB198_800 Depth=1
	s_or_b32 exec_lo, exec_lo, s9
.LBB198_1028:                           ;   in Loop: Header=BB198_800 Depth=1
	s_or_b32 exec_lo, exec_lo, s7
	s_mov_b32 s7, exec_lo
	v_cmpx_lt_u32_e32 0xffffff, v13
	s_cbranch_execz .LBB198_1036
; %bb.1029:                             ;   in Loop: Header=BB198_800 Depth=1
	v_mov_b32_e32 v8, v7
	v_mov_b32_e32 v11, v9
	v_cmp_ne_u32_sdwa s4, v13, v68 src0_sel:BYTE_3 src1_sel:DWORD
	v_mov_b32_e32 v10, v8
	s_and_saveexec_b32 s9, s4
	s_cbranch_execz .LBB198_1035
; %bb.1030:                             ;   in Loop: Header=BB198_800 Depth=1
	v_mov_b32_e32 v11, v7
	v_bfe_u32 v14, v13, 24, 7
	s_mov_b32 s15, exec_lo
	v_mov_b32_e32 v10, v11
	v_mov_b32_e32 v11, v12
	v_cmpx_ne_u32_e32 0x7f, v14
	s_cbranch_execz .LBB198_1034
; %bb.1031:                             ;   in Loop: Header=BB198_800 Depth=1
	v_mov_b32_e32 v6, 7
	v_lshrrev_b32_e32 v8, 3, v14
	s_mov_b32 s18, exec_lo
	v_and_b32_sdwa v6, v13, v6 dst_sel:DWORD dst_unused:UNUSED_PAD src0_sel:BYTE_3 src1_sel:DWORD
	v_cmpx_gt_u32_e32 8, v14
; %bb.1032:                             ;   in Loop: Header=BB198_800 Depth=1
	v_ffbh_u32_e32 v8, v6
	v_min_u32_e32 v8, 32, v8
	v_subrev_nc_u32_e32 v10, 28, v8
	v_sub_nc_u32_e32 v8, 29, v8
	v_lshlrev_b64 v[10:11], v10, v[6:7]
	v_and_b32_e32 v6, 7, v10
; %bb.1033:                             ;   in Loop: Header=BB198_800 Depth=1
	s_or_b32 exec_lo, exec_lo, s18
	v_mov_b32_e32 v10, 24
	v_lshlrev_b32_e32 v6, 20, v6
	v_lshl_add_u32 v8, v8, 23, 0x3c000000
	v_lshlrev_b32_sdwa v10, v10, v13 dst_sel:DWORD dst_unused:UNUSED_PAD src0_sel:DWORD src1_sel:BYTE_3
	v_and_b32_e32 v10, 0x80000000, v10
	v_or3_b32 v11, v6, v10, v8
	v_mov_b32_e32 v10, v7
.LBB198_1034:                           ;   in Loop: Header=BB198_800 Depth=1
	s_or_b32 exec_lo, exec_lo, s15
.LBB198_1035:                           ;   in Loop: Header=BB198_800 Depth=1
	s_or_b32 exec_lo, exec_lo, s9
.LBB198_1036:                           ;   in Loop: Header=BB198_800 Depth=1
	s_or_b32 exec_lo, exec_lo, s7
	v_or_b32_e32 v6, v20, v18
	v_or_b32_e32 v8, v19, v17
	;; [unrolled: 1-line block ×4, first 2 shown]
	v_mul_f32_e32 v59, v83, v6
	v_mul_f32_e32 v60, v67, v8
	;; [unrolled: 1-line block ×4, first 2 shown]
	s_and_saveexec_b32 s7, vcc_lo
	s_cbranch_execz .LBB198_1038
; %bb.1037:                             ;   in Loop: Header=BB198_800 Depth=1
	v_cmp_lt_i32_e64 s4, v101, v116
	v_cndmask_b32_e64 v60, 0, v60, s4
	v_cmp_lt_i32_e64 s4, v103, v116
	v_cndmask_b32_e64 v59, 0, v59, s4
	;; [unrolled: 2-line block ×4, first 2 shown]
.LBB198_1038:                           ;   in Loop: Header=BB198_800 Depth=1
	s_or_b32 exec_lo, exec_lo, s7
	flat_load_dword v13, v[0:1] offset:896
	v_mov_b32_e32 v19, 0
	v_mov_b32_e32 v17, 0
	;; [unrolled: 1-line block ×4, first 2 shown]
	s_waitcnt vmcnt(0) lgkmcnt(0)
	v_cmp_ne_u16_sdwa s4, v13, v7 src0_sel:BYTE_0 src1_sel:DWORD
	s_and_saveexec_b32 s7, s4
	s_cbranch_execz .LBB198_1046
; %bb.1039:                             ;   in Loop: Header=BB198_800 Depth=1
	v_bfrev_b32_e32 v17, 1
	v_mov_b32_e32 v18, 0
	v_cmp_ne_u16_sdwa s4, v13, v68 src0_sel:BYTE_0 src1_sel:DWORD
	s_and_saveexec_b32 s9, s4
	s_cbranch_execz .LBB198_1045
; %bb.1040:                             ;   in Loop: Header=BB198_800 Depth=1
	v_mov_b32_e32 v17, 0x7f800001
	v_and_b32_e32 v10, 0x7f, v13
	v_mov_b32_e32 v18, 0
	s_mov_b32 s15, exec_lo
	v_cmpx_ne_u32_e32 0x7f, v10
	s_cbranch_execz .LBB198_1044
; %bb.1041:                             ;   in Loop: Header=BB198_800 Depth=1
	v_and_b32_e32 v6, 7, v13
	v_lshrrev_b32_e32 v8, 3, v10
	s_mov_b32 s18, exec_lo
	v_cmpx_gt_u32_e32 8, v10
; %bb.1042:                             ;   in Loop: Header=BB198_800 Depth=1
	v_ffbh_u32_e32 v8, v6
	v_min_u32_e32 v8, 32, v8
	v_subrev_nc_u32_e32 v10, 28, v8
	v_sub_nc_u32_e32 v8, 29, v8
	v_lshlrev_b64 v[10:11], v10, v[6:7]
	v_and_b32_e32 v6, 7, v10
; %bb.1043:                             ;   in Loop: Header=BB198_800 Depth=1
	s_or_b32 exec_lo, exec_lo, s18
	v_lshlrev_b32_e32 v10, 24, v13
	v_lshlrev_b32_e32 v6, 20, v6
	v_lshl_add_u32 v8, v8, 23, 0x3c000000
	v_and_b32_e32 v10, 0x80000000, v10
	v_or3_b32 v6, v6, v10, v8
	v_mov_b32_e32 v18, v7
	v_mov_b32_e32 v17, v6
.LBB198_1044:                           ;   in Loop: Header=BB198_800 Depth=1
	s_or_b32 exec_lo, exec_lo, s15
.LBB198_1045:                           ;   in Loop: Header=BB198_800 Depth=1
	s_or_b32 exec_lo, exec_lo, s9
.LBB198_1046:                           ;   in Loop: Header=BB198_800 Depth=1
	s_or_b32 exec_lo, exec_lo, s7
	v_cmp_ne_u16_sdwa s4, v13, v7 src0_sel:BYTE_1 src1_sel:DWORD
	s_and_saveexec_b32 s7, s4
	s_cbranch_execz .LBB198_1054
; %bb.1047:                             ;   in Loop: Header=BB198_800 Depth=1
	v_mov_b32_e32 v8, v7
	v_mov_b32_e32 v20, v9
	v_cmp_ne_u16_sdwa s4, v13, v68 src0_sel:BYTE_1 src1_sel:DWORD
	v_mov_b32_e32 v19, v8
	s_and_saveexec_b32 s9, s4
	s_cbranch_execz .LBB198_1053
; %bb.1048:                             ;   in Loop: Header=BB198_800 Depth=1
	v_and_b32_sdwa v6, v44, v13 dst_sel:DWORD dst_unused:UNUSED_PAD src0_sel:DWORD src1_sel:BYTE_1
	v_mov_b32_e32 v11, v7
	v_mov_b32_e32 v20, v12
	s_mov_b32 s15, exec_lo
	v_and_b32_e32 v10, 0x7f, v6
	v_mov_b32_e32 v19, v11
	v_cmpx_ne_u32_e32 0x7f, v10
	s_cbranch_execz .LBB198_1052
; %bb.1049:                             ;   in Loop: Header=BB198_800 Depth=1
	v_and_b32_e32 v6, 7, v6
	v_lshrrev_b32_e32 v8, 3, v10
	s_mov_b32 s18, exec_lo
	v_cmpx_gt_u32_e32 8, v10
; %bb.1050:                             ;   in Loop: Header=BB198_800 Depth=1
	v_ffbh_u32_e32 v8, v6
	v_min_u32_e32 v8, 32, v8
	v_subrev_nc_u32_e32 v10, 28, v8
	v_sub_nc_u32_e32 v8, 29, v8
	v_lshlrev_b64 v[10:11], v10, v[6:7]
	v_and_b32_e32 v6, 7, v10
; %bb.1051:                             ;   in Loop: Header=BB198_800 Depth=1
	s_or_b32 exec_lo, exec_lo, s18
	v_lshlrev_b32_e32 v10, 16, v13
	v_lshlrev_b32_e32 v6, 20, v6
	v_lshl_add_u32 v8, v8, 23, 0x3c000000
	v_mov_b32_e32 v19, v7
	v_and_b32_e32 v10, 0x80000000, v10
	v_or3_b32 v20, v6, v10, v8
.LBB198_1052:                           ;   in Loop: Header=BB198_800 Depth=1
	s_or_b32 exec_lo, exec_lo, s15
.LBB198_1053:                           ;   in Loop: Header=BB198_800 Depth=1
	s_or_b32 exec_lo, exec_lo, s9
.LBB198_1054:                           ;   in Loop: Header=BB198_800 Depth=1
	s_or_b32 exec_lo, exec_lo, s7
	v_mov_b32_e32 v10, 0
	v_mov_b32_e32 v21, 0
	v_and_b32_sdwa v6, v13, v70 dst_sel:DWORD dst_unused:UNUSED_PAD src0_sel:WORD_1 src1_sel:DWORD
	v_mov_b32_e32 v11, 0
	v_mov_b32_e32 v22, 0
	s_mov_b32 s7, exec_lo
	v_cmpx_ne_u16_e32 0, v6
	s_cbranch_execz .LBB198_1062
; %bb.1055:                             ;   in Loop: Header=BB198_800 Depth=1
	v_bfrev_b32_e32 v21, 1
	v_mov_b32_e32 v22, 0
	s_mov_b32 s9, exec_lo
	v_cmpx_ne_u16_e32 0x80, v6
	s_cbranch_execz .LBB198_1061
; %bb.1056:                             ;   in Loop: Header=BB198_800 Depth=1
	v_mov_b32_e32 v21, 0x7f800001
	v_bfe_u32 v14, v13, 16, 7
	v_mov_b32_e32 v22, 0
	s_mov_b32 s15, exec_lo
	v_cmpx_ne_u32_e32 0x7f, v14
	s_cbranch_execz .LBB198_1060
; %bb.1057:                             ;   in Loop: Header=BB198_800 Depth=1
	v_mov_b32_e32 v6, 7
	v_lshrrev_b32_e32 v8, 3, v14
	s_mov_b32 s18, exec_lo
	v_and_b32_sdwa v6, v13, v6 dst_sel:DWORD dst_unused:UNUSED_PAD src0_sel:WORD_1 src1_sel:DWORD
	v_cmpx_gt_u32_e32 8, v14
; %bb.1058:                             ;   in Loop: Header=BB198_800 Depth=1
	v_ffbh_u32_e32 v8, v6
	v_min_u32_e32 v8, 32, v8
	v_subrev_nc_u32_e32 v14, 28, v8
	v_sub_nc_u32_e32 v8, 29, v8
	v_lshlrev_b64 v[21:22], v14, v[6:7]
	v_and_b32_e32 v6, 7, v21
; %bb.1059:                             ;   in Loop: Header=BB198_800 Depth=1
	s_or_b32 exec_lo, exec_lo, s18
	v_mov_b32_e32 v14, 24
	v_lshlrev_b32_e32 v6, 20, v6
	v_lshl_add_u32 v8, v8, 23, 0x3c000000
	v_lshlrev_b32_sdwa v14, v14, v13 dst_sel:DWORD dst_unused:UNUSED_PAD src0_sel:DWORD src1_sel:WORD_1
	v_and_b32_e32 v14, 0x80000000, v14
	v_or3_b32 v6, v6, v14, v8
	v_mov_b32_e32 v22, v7
	v_mov_b32_e32 v21, v6
.LBB198_1060:                           ;   in Loop: Header=BB198_800 Depth=1
	s_or_b32 exec_lo, exec_lo, s15
.LBB198_1061:                           ;   in Loop: Header=BB198_800 Depth=1
	s_or_b32 exec_lo, exec_lo, s9
.LBB198_1062:                           ;   in Loop: Header=BB198_800 Depth=1
	s_or_b32 exec_lo, exec_lo, s7
	s_mov_b32 s7, exec_lo
	v_cmpx_lt_u32_e32 0xffffff, v13
	s_cbranch_execz .LBB198_1070
; %bb.1063:                             ;   in Loop: Header=BB198_800 Depth=1
	v_mov_b32_e32 v8, v7
	v_mov_b32_e32 v11, v9
	v_cmp_ne_u32_sdwa s4, v13, v68 src0_sel:BYTE_3 src1_sel:DWORD
	v_mov_b32_e32 v10, v8
	s_and_saveexec_b32 s9, s4
	s_cbranch_execz .LBB198_1069
; %bb.1064:                             ;   in Loop: Header=BB198_800 Depth=1
	v_mov_b32_e32 v11, v7
	v_bfe_u32 v14, v13, 24, 7
	s_mov_b32 s15, exec_lo
	v_mov_b32_e32 v10, v11
	v_mov_b32_e32 v11, v12
	v_cmpx_ne_u32_e32 0x7f, v14
	s_cbranch_execz .LBB198_1068
; %bb.1065:                             ;   in Loop: Header=BB198_800 Depth=1
	v_mov_b32_e32 v6, 7
	v_lshrrev_b32_e32 v8, 3, v14
	s_mov_b32 s18, exec_lo
	v_and_b32_sdwa v6, v13, v6 dst_sel:DWORD dst_unused:UNUSED_PAD src0_sel:BYTE_3 src1_sel:DWORD
	v_cmpx_gt_u32_e32 8, v14
; %bb.1066:                             ;   in Loop: Header=BB198_800 Depth=1
	v_ffbh_u32_e32 v8, v6
	v_min_u32_e32 v8, 32, v8
	v_subrev_nc_u32_e32 v10, 28, v8
	v_sub_nc_u32_e32 v8, 29, v8
	v_lshlrev_b64 v[10:11], v10, v[6:7]
	v_and_b32_e32 v6, 7, v10
; %bb.1067:                             ;   in Loop: Header=BB198_800 Depth=1
	s_or_b32 exec_lo, exec_lo, s18
	v_mov_b32_e32 v10, 24
	v_lshlrev_b32_e32 v6, 20, v6
	v_lshl_add_u32 v8, v8, 23, 0x3c000000
	v_lshlrev_b32_sdwa v10, v10, v13 dst_sel:DWORD dst_unused:UNUSED_PAD src0_sel:DWORD src1_sel:BYTE_3
	v_and_b32_e32 v10, 0x80000000, v10
	v_or3_b32 v11, v6, v10, v8
	v_mov_b32_e32 v10, v7
.LBB198_1068:                           ;   in Loop: Header=BB198_800 Depth=1
	s_or_b32 exec_lo, exec_lo, s15
.LBB198_1069:                           ;   in Loop: Header=BB198_800 Depth=1
	s_or_b32 exec_lo, exec_lo, s9
.LBB198_1070:                           ;   in Loop: Header=BB198_800 Depth=1
	s_or_b32 exec_lo, exec_lo, s7
	v_or_b32_e32 v6, v20, v18
	v_or_b32_e32 v8, v19, v17
	v_or_b32_e32 v10, v10, v21
	v_or_b32_e32 v11, v11, v22
	v_mul_f32_e32 v63, v83, v6
	v_mul_f32_e32 v72, v67, v8
	;; [unrolled: 1-line block ×4, first 2 shown]
	s_and_saveexec_b32 s7, vcc_lo
	s_cbranch_execz .LBB198_1072
; %bb.1071:                             ;   in Loop: Header=BB198_800 Depth=1
	v_cmp_lt_i32_e64 s4, v101, v116
	v_cndmask_b32_e64 v72, 0, v72, s4
	v_cmp_lt_i32_e64 s4, v103, v116
	v_cndmask_b32_e64 v63, 0, v63, s4
	;; [unrolled: 2-line block ×4, first 2 shown]
.LBB198_1072:                           ;   in Loop: Header=BB198_800 Depth=1
	s_or_b32 exec_lo, exec_lo, s7
	flat_load_dword v13, v[0:1] offset:1024
	v_mov_b32_e32 v19, 0
	v_mov_b32_e32 v17, 0
	;; [unrolled: 1-line block ×4, first 2 shown]
	s_waitcnt vmcnt(0) lgkmcnt(0)
	v_cmp_ne_u16_sdwa s4, v13, v7 src0_sel:BYTE_0 src1_sel:DWORD
	s_and_saveexec_b32 s7, s4
	s_cbranch_execz .LBB198_1080
; %bb.1073:                             ;   in Loop: Header=BB198_800 Depth=1
	v_bfrev_b32_e32 v17, 1
	v_mov_b32_e32 v18, 0
	v_cmp_ne_u16_sdwa s4, v13, v68 src0_sel:BYTE_0 src1_sel:DWORD
	s_and_saveexec_b32 s9, s4
	s_cbranch_execz .LBB198_1079
; %bb.1074:                             ;   in Loop: Header=BB198_800 Depth=1
	v_mov_b32_e32 v17, 0x7f800001
	v_and_b32_e32 v10, 0x7f, v13
	v_mov_b32_e32 v18, 0
	s_mov_b32 s15, exec_lo
	v_cmpx_ne_u32_e32 0x7f, v10
	s_cbranch_execz .LBB198_1078
; %bb.1075:                             ;   in Loop: Header=BB198_800 Depth=1
	v_and_b32_e32 v6, 7, v13
	v_lshrrev_b32_e32 v8, 3, v10
	s_mov_b32 s18, exec_lo
	v_cmpx_gt_u32_e32 8, v10
; %bb.1076:                             ;   in Loop: Header=BB198_800 Depth=1
	v_ffbh_u32_e32 v8, v6
	v_min_u32_e32 v8, 32, v8
	v_subrev_nc_u32_e32 v10, 28, v8
	v_sub_nc_u32_e32 v8, 29, v8
	v_lshlrev_b64 v[10:11], v10, v[6:7]
	v_and_b32_e32 v6, 7, v10
; %bb.1077:                             ;   in Loop: Header=BB198_800 Depth=1
	s_or_b32 exec_lo, exec_lo, s18
	v_lshlrev_b32_e32 v10, 24, v13
	v_lshlrev_b32_e32 v6, 20, v6
	v_lshl_add_u32 v8, v8, 23, 0x3c000000
	v_and_b32_e32 v10, 0x80000000, v10
	v_or3_b32 v6, v6, v10, v8
	v_mov_b32_e32 v18, v7
	v_mov_b32_e32 v17, v6
.LBB198_1078:                           ;   in Loop: Header=BB198_800 Depth=1
	s_or_b32 exec_lo, exec_lo, s15
.LBB198_1079:                           ;   in Loop: Header=BB198_800 Depth=1
	s_or_b32 exec_lo, exec_lo, s9
.LBB198_1080:                           ;   in Loop: Header=BB198_800 Depth=1
	s_or_b32 exec_lo, exec_lo, s7
	v_cmp_ne_u16_sdwa s4, v13, v7 src0_sel:BYTE_1 src1_sel:DWORD
	s_and_saveexec_b32 s7, s4
	s_cbranch_execz .LBB198_1088
; %bb.1081:                             ;   in Loop: Header=BB198_800 Depth=1
	v_mov_b32_e32 v8, v7
	v_mov_b32_e32 v20, v9
	v_cmp_ne_u16_sdwa s4, v13, v68 src0_sel:BYTE_1 src1_sel:DWORD
	v_mov_b32_e32 v19, v8
	s_and_saveexec_b32 s9, s4
	s_cbranch_execz .LBB198_1087
; %bb.1082:                             ;   in Loop: Header=BB198_800 Depth=1
	v_and_b32_sdwa v6, v44, v13 dst_sel:DWORD dst_unused:UNUSED_PAD src0_sel:DWORD src1_sel:BYTE_1
	v_mov_b32_e32 v11, v7
	v_mov_b32_e32 v20, v12
	s_mov_b32 s15, exec_lo
	v_and_b32_e32 v10, 0x7f, v6
	v_mov_b32_e32 v19, v11
	v_cmpx_ne_u32_e32 0x7f, v10
	s_cbranch_execz .LBB198_1086
; %bb.1083:                             ;   in Loop: Header=BB198_800 Depth=1
	v_and_b32_e32 v6, 7, v6
	v_lshrrev_b32_e32 v8, 3, v10
	s_mov_b32 s18, exec_lo
	v_cmpx_gt_u32_e32 8, v10
; %bb.1084:                             ;   in Loop: Header=BB198_800 Depth=1
	v_ffbh_u32_e32 v8, v6
	v_min_u32_e32 v8, 32, v8
	v_subrev_nc_u32_e32 v10, 28, v8
	v_sub_nc_u32_e32 v8, 29, v8
	v_lshlrev_b64 v[10:11], v10, v[6:7]
	v_and_b32_e32 v6, 7, v10
; %bb.1085:                             ;   in Loop: Header=BB198_800 Depth=1
	s_or_b32 exec_lo, exec_lo, s18
	v_lshlrev_b32_e32 v10, 16, v13
	v_lshlrev_b32_e32 v6, 20, v6
	v_lshl_add_u32 v8, v8, 23, 0x3c000000
	v_mov_b32_e32 v19, v7
	v_and_b32_e32 v10, 0x80000000, v10
	v_or3_b32 v20, v6, v10, v8
.LBB198_1086:                           ;   in Loop: Header=BB198_800 Depth=1
	s_or_b32 exec_lo, exec_lo, s15
.LBB198_1087:                           ;   in Loop: Header=BB198_800 Depth=1
	s_or_b32 exec_lo, exec_lo, s9
.LBB198_1088:                           ;   in Loop: Header=BB198_800 Depth=1
	s_or_b32 exec_lo, exec_lo, s7
	v_mov_b32_e32 v10, 0
	v_mov_b32_e32 v21, 0
	v_and_b32_sdwa v6, v13, v70 dst_sel:DWORD dst_unused:UNUSED_PAD src0_sel:WORD_1 src1_sel:DWORD
	v_mov_b32_e32 v11, 0
	v_mov_b32_e32 v22, 0
	s_mov_b32 s7, exec_lo
	v_cmpx_ne_u16_e32 0, v6
	s_cbranch_execz .LBB198_1096
; %bb.1089:                             ;   in Loop: Header=BB198_800 Depth=1
	v_bfrev_b32_e32 v21, 1
	v_mov_b32_e32 v22, 0
	s_mov_b32 s9, exec_lo
	v_cmpx_ne_u16_e32 0x80, v6
	s_cbranch_execz .LBB198_1095
; %bb.1090:                             ;   in Loop: Header=BB198_800 Depth=1
	v_mov_b32_e32 v21, 0x7f800001
	v_bfe_u32 v14, v13, 16, 7
	v_mov_b32_e32 v22, 0
	s_mov_b32 s15, exec_lo
	v_cmpx_ne_u32_e32 0x7f, v14
	s_cbranch_execz .LBB198_1094
; %bb.1091:                             ;   in Loop: Header=BB198_800 Depth=1
	v_mov_b32_e32 v6, 7
	v_lshrrev_b32_e32 v8, 3, v14
	s_mov_b32 s18, exec_lo
	v_and_b32_sdwa v6, v13, v6 dst_sel:DWORD dst_unused:UNUSED_PAD src0_sel:WORD_1 src1_sel:DWORD
	v_cmpx_gt_u32_e32 8, v14
; %bb.1092:                             ;   in Loop: Header=BB198_800 Depth=1
	v_ffbh_u32_e32 v8, v6
	v_min_u32_e32 v8, 32, v8
	v_subrev_nc_u32_e32 v14, 28, v8
	v_sub_nc_u32_e32 v8, 29, v8
	v_lshlrev_b64 v[21:22], v14, v[6:7]
	v_and_b32_e32 v6, 7, v21
; %bb.1093:                             ;   in Loop: Header=BB198_800 Depth=1
	s_or_b32 exec_lo, exec_lo, s18
	v_mov_b32_e32 v14, 24
	v_lshlrev_b32_e32 v6, 20, v6
	v_lshl_add_u32 v8, v8, 23, 0x3c000000
	v_lshlrev_b32_sdwa v14, v14, v13 dst_sel:DWORD dst_unused:UNUSED_PAD src0_sel:DWORD src1_sel:WORD_1
	v_and_b32_e32 v14, 0x80000000, v14
	v_or3_b32 v6, v6, v14, v8
	v_mov_b32_e32 v22, v7
	v_mov_b32_e32 v21, v6
.LBB198_1094:                           ;   in Loop: Header=BB198_800 Depth=1
	s_or_b32 exec_lo, exec_lo, s15
.LBB198_1095:                           ;   in Loop: Header=BB198_800 Depth=1
	s_or_b32 exec_lo, exec_lo, s9
.LBB198_1096:                           ;   in Loop: Header=BB198_800 Depth=1
	s_or_b32 exec_lo, exec_lo, s7
	s_mov_b32 s7, exec_lo
	v_cmpx_lt_u32_e32 0xffffff, v13
	s_cbranch_execz .LBB198_1104
; %bb.1097:                             ;   in Loop: Header=BB198_800 Depth=1
	v_mov_b32_e32 v8, v7
	v_mov_b32_e32 v11, v9
	v_cmp_ne_u32_sdwa s4, v13, v68 src0_sel:BYTE_3 src1_sel:DWORD
	v_mov_b32_e32 v10, v8
	s_and_saveexec_b32 s9, s4
	s_cbranch_execz .LBB198_1103
; %bb.1098:                             ;   in Loop: Header=BB198_800 Depth=1
	v_mov_b32_e32 v11, v7
	v_bfe_u32 v14, v13, 24, 7
	s_mov_b32 s15, exec_lo
	v_mov_b32_e32 v10, v11
	v_mov_b32_e32 v11, v12
	v_cmpx_ne_u32_e32 0x7f, v14
	s_cbranch_execz .LBB198_1102
; %bb.1099:                             ;   in Loop: Header=BB198_800 Depth=1
	v_mov_b32_e32 v6, 7
	v_lshrrev_b32_e32 v8, 3, v14
	s_mov_b32 s18, exec_lo
	v_and_b32_sdwa v6, v13, v6 dst_sel:DWORD dst_unused:UNUSED_PAD src0_sel:BYTE_3 src1_sel:DWORD
	v_cmpx_gt_u32_e32 8, v14
; %bb.1100:                             ;   in Loop: Header=BB198_800 Depth=1
	v_ffbh_u32_e32 v8, v6
	v_min_u32_e32 v8, 32, v8
	v_subrev_nc_u32_e32 v10, 28, v8
	v_sub_nc_u32_e32 v8, 29, v8
	v_lshlrev_b64 v[10:11], v10, v[6:7]
	v_and_b32_e32 v6, 7, v10
; %bb.1101:                             ;   in Loop: Header=BB198_800 Depth=1
	s_or_b32 exec_lo, exec_lo, s18
	v_mov_b32_e32 v10, 24
	v_lshlrev_b32_e32 v6, 20, v6
	v_lshl_add_u32 v8, v8, 23, 0x3c000000
	v_lshlrev_b32_sdwa v10, v10, v13 dst_sel:DWORD dst_unused:UNUSED_PAD src0_sel:DWORD src1_sel:BYTE_3
	v_and_b32_e32 v10, 0x80000000, v10
	v_or3_b32 v11, v6, v10, v8
	v_mov_b32_e32 v10, v7
.LBB198_1102:                           ;   in Loop: Header=BB198_800 Depth=1
	s_or_b32 exec_lo, exec_lo, s15
.LBB198_1103:                           ;   in Loop: Header=BB198_800 Depth=1
	s_or_b32 exec_lo, exec_lo, s9
.LBB198_1104:                           ;   in Loop: Header=BB198_800 Depth=1
	s_or_b32 exec_lo, exec_lo, s7
	v_or_b32_e32 v6, v20, v18
	v_or_b32_e32 v8, v19, v17
	;; [unrolled: 1-line block ×4, first 2 shown]
	v_mul_f32_e32 v76, v83, v6
	v_mul_f32_e32 v75, v67, v8
	v_mul_f32_e32 v74, v67, v10
	v_mul_f32_e32 v73, v83, v11
	s_and_saveexec_b32 s7, vcc_lo
	s_cbranch_execz .LBB198_1106
; %bb.1105:                             ;   in Loop: Header=BB198_800 Depth=1
	v_cmp_lt_i32_e64 s4, v101, v116
	v_cndmask_b32_e64 v75, 0, v75, s4
	v_cmp_lt_i32_e64 s4, v103, v116
	v_cndmask_b32_e64 v76, 0, v76, s4
	;; [unrolled: 2-line block ×4, first 2 shown]
.LBB198_1106:                           ;   in Loop: Header=BB198_800 Depth=1
	s_or_b32 exec_lo, exec_lo, s7
	flat_load_dword v13, v[0:1] offset:1152
	v_mov_b32_e32 v19, 0
	v_mov_b32_e32 v17, 0
	;; [unrolled: 1-line block ×4, first 2 shown]
	s_waitcnt vmcnt(0) lgkmcnt(0)
	v_cmp_ne_u16_sdwa s4, v13, v7 src0_sel:BYTE_0 src1_sel:DWORD
	s_and_saveexec_b32 s7, s4
	s_cbranch_execz .LBB198_1114
; %bb.1107:                             ;   in Loop: Header=BB198_800 Depth=1
	v_bfrev_b32_e32 v17, 1
	v_mov_b32_e32 v18, 0
	v_cmp_ne_u16_sdwa s4, v13, v68 src0_sel:BYTE_0 src1_sel:DWORD
	s_and_saveexec_b32 s9, s4
	s_cbranch_execz .LBB198_1113
; %bb.1108:                             ;   in Loop: Header=BB198_800 Depth=1
	v_mov_b32_e32 v17, 0x7f800001
	v_and_b32_e32 v10, 0x7f, v13
	v_mov_b32_e32 v18, 0
	s_mov_b32 s15, exec_lo
	v_cmpx_ne_u32_e32 0x7f, v10
	s_cbranch_execz .LBB198_1112
; %bb.1109:                             ;   in Loop: Header=BB198_800 Depth=1
	v_and_b32_e32 v6, 7, v13
	v_lshrrev_b32_e32 v8, 3, v10
	s_mov_b32 s18, exec_lo
	v_cmpx_gt_u32_e32 8, v10
; %bb.1110:                             ;   in Loop: Header=BB198_800 Depth=1
	v_ffbh_u32_e32 v8, v6
	v_min_u32_e32 v8, 32, v8
	v_subrev_nc_u32_e32 v10, 28, v8
	v_sub_nc_u32_e32 v8, 29, v8
	v_lshlrev_b64 v[10:11], v10, v[6:7]
	v_and_b32_e32 v6, 7, v10
; %bb.1111:                             ;   in Loop: Header=BB198_800 Depth=1
	s_or_b32 exec_lo, exec_lo, s18
	v_lshlrev_b32_e32 v10, 24, v13
	v_lshlrev_b32_e32 v6, 20, v6
	v_lshl_add_u32 v8, v8, 23, 0x3c000000
	v_and_b32_e32 v10, 0x80000000, v10
	v_or3_b32 v6, v6, v10, v8
	v_mov_b32_e32 v18, v7
	v_mov_b32_e32 v17, v6
.LBB198_1112:                           ;   in Loop: Header=BB198_800 Depth=1
	s_or_b32 exec_lo, exec_lo, s15
.LBB198_1113:                           ;   in Loop: Header=BB198_800 Depth=1
	s_or_b32 exec_lo, exec_lo, s9
.LBB198_1114:                           ;   in Loop: Header=BB198_800 Depth=1
	s_or_b32 exec_lo, exec_lo, s7
	v_cmp_ne_u16_sdwa s4, v13, v7 src0_sel:BYTE_1 src1_sel:DWORD
	s_and_saveexec_b32 s7, s4
	s_cbranch_execz .LBB198_1122
; %bb.1115:                             ;   in Loop: Header=BB198_800 Depth=1
	v_mov_b32_e32 v8, v7
	v_mov_b32_e32 v20, v9
	v_cmp_ne_u16_sdwa s4, v13, v68 src0_sel:BYTE_1 src1_sel:DWORD
	v_mov_b32_e32 v19, v8
	s_and_saveexec_b32 s9, s4
	s_cbranch_execz .LBB198_1121
; %bb.1116:                             ;   in Loop: Header=BB198_800 Depth=1
	v_and_b32_sdwa v6, v44, v13 dst_sel:DWORD dst_unused:UNUSED_PAD src0_sel:DWORD src1_sel:BYTE_1
	v_mov_b32_e32 v11, v7
	v_mov_b32_e32 v20, v12
	s_mov_b32 s15, exec_lo
	v_and_b32_e32 v10, 0x7f, v6
	v_mov_b32_e32 v19, v11
	v_cmpx_ne_u32_e32 0x7f, v10
	s_cbranch_execz .LBB198_1120
; %bb.1117:                             ;   in Loop: Header=BB198_800 Depth=1
	v_and_b32_e32 v6, 7, v6
	v_lshrrev_b32_e32 v8, 3, v10
	s_mov_b32 s18, exec_lo
	v_cmpx_gt_u32_e32 8, v10
; %bb.1118:                             ;   in Loop: Header=BB198_800 Depth=1
	v_ffbh_u32_e32 v8, v6
	v_min_u32_e32 v8, 32, v8
	v_subrev_nc_u32_e32 v10, 28, v8
	v_sub_nc_u32_e32 v8, 29, v8
	v_lshlrev_b64 v[10:11], v10, v[6:7]
	v_and_b32_e32 v6, 7, v10
; %bb.1119:                             ;   in Loop: Header=BB198_800 Depth=1
	s_or_b32 exec_lo, exec_lo, s18
	v_lshlrev_b32_e32 v10, 16, v13
	v_lshlrev_b32_e32 v6, 20, v6
	v_lshl_add_u32 v8, v8, 23, 0x3c000000
	v_mov_b32_e32 v19, v7
	v_and_b32_e32 v10, 0x80000000, v10
	v_or3_b32 v20, v6, v10, v8
.LBB198_1120:                           ;   in Loop: Header=BB198_800 Depth=1
	s_or_b32 exec_lo, exec_lo, s15
.LBB198_1121:                           ;   in Loop: Header=BB198_800 Depth=1
	s_or_b32 exec_lo, exec_lo, s9
.LBB198_1122:                           ;   in Loop: Header=BB198_800 Depth=1
	s_or_b32 exec_lo, exec_lo, s7
	v_mov_b32_e32 v10, 0
	v_mov_b32_e32 v21, 0
	v_and_b32_sdwa v6, v13, v70 dst_sel:DWORD dst_unused:UNUSED_PAD src0_sel:WORD_1 src1_sel:DWORD
	v_mov_b32_e32 v11, 0
	v_mov_b32_e32 v22, 0
	s_mov_b32 s7, exec_lo
	v_cmpx_ne_u16_e32 0, v6
	s_cbranch_execz .LBB198_1130
; %bb.1123:                             ;   in Loop: Header=BB198_800 Depth=1
	v_bfrev_b32_e32 v21, 1
	v_mov_b32_e32 v22, 0
	s_mov_b32 s9, exec_lo
	v_cmpx_ne_u16_e32 0x80, v6
	s_cbranch_execz .LBB198_1129
; %bb.1124:                             ;   in Loop: Header=BB198_800 Depth=1
	v_mov_b32_e32 v21, 0x7f800001
	v_bfe_u32 v14, v13, 16, 7
	v_mov_b32_e32 v22, 0
	s_mov_b32 s15, exec_lo
	v_cmpx_ne_u32_e32 0x7f, v14
	s_cbranch_execz .LBB198_1128
; %bb.1125:                             ;   in Loop: Header=BB198_800 Depth=1
	v_mov_b32_e32 v6, 7
	v_lshrrev_b32_e32 v8, 3, v14
	s_mov_b32 s18, exec_lo
	v_and_b32_sdwa v6, v13, v6 dst_sel:DWORD dst_unused:UNUSED_PAD src0_sel:WORD_1 src1_sel:DWORD
	v_cmpx_gt_u32_e32 8, v14
; %bb.1126:                             ;   in Loop: Header=BB198_800 Depth=1
	v_ffbh_u32_e32 v8, v6
	v_min_u32_e32 v8, 32, v8
	v_subrev_nc_u32_e32 v14, 28, v8
	v_sub_nc_u32_e32 v8, 29, v8
	v_lshlrev_b64 v[21:22], v14, v[6:7]
	v_and_b32_e32 v6, 7, v21
; %bb.1127:                             ;   in Loop: Header=BB198_800 Depth=1
	s_or_b32 exec_lo, exec_lo, s18
	v_mov_b32_e32 v14, 24
	v_lshlrev_b32_e32 v6, 20, v6
	v_lshl_add_u32 v8, v8, 23, 0x3c000000
	v_lshlrev_b32_sdwa v14, v14, v13 dst_sel:DWORD dst_unused:UNUSED_PAD src0_sel:DWORD src1_sel:WORD_1
	v_and_b32_e32 v14, 0x80000000, v14
	v_or3_b32 v6, v6, v14, v8
	v_mov_b32_e32 v22, v7
	v_mov_b32_e32 v21, v6
.LBB198_1128:                           ;   in Loop: Header=BB198_800 Depth=1
	s_or_b32 exec_lo, exec_lo, s15
.LBB198_1129:                           ;   in Loop: Header=BB198_800 Depth=1
	s_or_b32 exec_lo, exec_lo, s9
.LBB198_1130:                           ;   in Loop: Header=BB198_800 Depth=1
	s_or_b32 exec_lo, exec_lo, s7
	s_mov_b32 s7, exec_lo
	v_cmpx_lt_u32_e32 0xffffff, v13
	s_cbranch_execz .LBB198_1138
; %bb.1131:                             ;   in Loop: Header=BB198_800 Depth=1
	v_mov_b32_e32 v8, v7
	v_mov_b32_e32 v11, v9
	v_cmp_ne_u32_sdwa s4, v13, v68 src0_sel:BYTE_3 src1_sel:DWORD
	v_mov_b32_e32 v10, v8
	s_and_saveexec_b32 s9, s4
	s_cbranch_execz .LBB198_1137
; %bb.1132:                             ;   in Loop: Header=BB198_800 Depth=1
	v_mov_b32_e32 v11, v7
	v_bfe_u32 v14, v13, 24, 7
	s_mov_b32 s15, exec_lo
	v_mov_b32_e32 v10, v11
	v_mov_b32_e32 v11, v12
	v_cmpx_ne_u32_e32 0x7f, v14
	s_cbranch_execz .LBB198_1136
; %bb.1133:                             ;   in Loop: Header=BB198_800 Depth=1
	v_mov_b32_e32 v6, 7
	v_lshrrev_b32_e32 v8, 3, v14
	s_mov_b32 s18, exec_lo
	v_and_b32_sdwa v6, v13, v6 dst_sel:DWORD dst_unused:UNUSED_PAD src0_sel:BYTE_3 src1_sel:DWORD
	v_cmpx_gt_u32_e32 8, v14
; %bb.1134:                             ;   in Loop: Header=BB198_800 Depth=1
	v_ffbh_u32_e32 v8, v6
	v_min_u32_e32 v8, 32, v8
	v_subrev_nc_u32_e32 v10, 28, v8
	v_sub_nc_u32_e32 v8, 29, v8
	v_lshlrev_b64 v[10:11], v10, v[6:7]
	v_and_b32_e32 v6, 7, v10
; %bb.1135:                             ;   in Loop: Header=BB198_800 Depth=1
	s_or_b32 exec_lo, exec_lo, s18
	v_mov_b32_e32 v10, 24
	v_lshlrev_b32_e32 v6, 20, v6
	v_lshl_add_u32 v8, v8, 23, 0x3c000000
	v_lshlrev_b32_sdwa v10, v10, v13 dst_sel:DWORD dst_unused:UNUSED_PAD src0_sel:DWORD src1_sel:BYTE_3
	v_and_b32_e32 v10, 0x80000000, v10
	v_or3_b32 v11, v6, v10, v8
	v_mov_b32_e32 v10, v7
.LBB198_1136:                           ;   in Loop: Header=BB198_800 Depth=1
	s_or_b32 exec_lo, exec_lo, s15
.LBB198_1137:                           ;   in Loop: Header=BB198_800 Depth=1
	s_or_b32 exec_lo, exec_lo, s9
.LBB198_1138:                           ;   in Loop: Header=BB198_800 Depth=1
	s_or_b32 exec_lo, exec_lo, s7
	v_or_b32_e32 v6, v20, v18
	v_or_b32_e32 v8, v19, v17
	;; [unrolled: 1-line block ×4, first 2 shown]
	v_mul_f32_e32 v88, v83, v6
	v_mul_f32_e32 v79, v67, v8
	;; [unrolled: 1-line block ×4, first 2 shown]
	s_and_saveexec_b32 s7, vcc_lo
	s_cbranch_execz .LBB198_1140
; %bb.1139:                             ;   in Loop: Header=BB198_800 Depth=1
	v_cmp_lt_i32_e64 s4, v101, v116
	v_cndmask_b32_e64 v79, 0, v79, s4
	v_cmp_lt_i32_e64 s4, v103, v116
	v_cndmask_b32_e64 v88, 0, v88, s4
	;; [unrolled: 2-line block ×4, first 2 shown]
.LBB198_1140:                           ;   in Loop: Header=BB198_800 Depth=1
	s_or_b32 exec_lo, exec_lo, s7
	flat_load_dword v13, v[0:1] offset:1280
	v_mov_b32_e32 v19, 0
	v_mov_b32_e32 v17, 0
	;; [unrolled: 1-line block ×4, first 2 shown]
	s_waitcnt vmcnt(0) lgkmcnt(0)
	v_cmp_ne_u16_sdwa s4, v13, v7 src0_sel:BYTE_0 src1_sel:DWORD
	s_and_saveexec_b32 s7, s4
	s_cbranch_execz .LBB198_1148
; %bb.1141:                             ;   in Loop: Header=BB198_800 Depth=1
	v_bfrev_b32_e32 v17, 1
	v_mov_b32_e32 v18, 0
	v_cmp_ne_u16_sdwa s4, v13, v68 src0_sel:BYTE_0 src1_sel:DWORD
	s_and_saveexec_b32 s9, s4
	s_cbranch_execz .LBB198_1147
; %bb.1142:                             ;   in Loop: Header=BB198_800 Depth=1
	v_mov_b32_e32 v17, 0x7f800001
	v_and_b32_e32 v10, 0x7f, v13
	v_mov_b32_e32 v18, 0
	s_mov_b32 s15, exec_lo
	v_cmpx_ne_u32_e32 0x7f, v10
	s_cbranch_execz .LBB198_1146
; %bb.1143:                             ;   in Loop: Header=BB198_800 Depth=1
	v_and_b32_e32 v6, 7, v13
	v_lshrrev_b32_e32 v8, 3, v10
	s_mov_b32 s18, exec_lo
	v_cmpx_gt_u32_e32 8, v10
; %bb.1144:                             ;   in Loop: Header=BB198_800 Depth=1
	v_ffbh_u32_e32 v8, v6
	v_min_u32_e32 v8, 32, v8
	v_subrev_nc_u32_e32 v10, 28, v8
	v_sub_nc_u32_e32 v8, 29, v8
	v_lshlrev_b64 v[10:11], v10, v[6:7]
	v_and_b32_e32 v6, 7, v10
; %bb.1145:                             ;   in Loop: Header=BB198_800 Depth=1
	s_or_b32 exec_lo, exec_lo, s18
	v_lshlrev_b32_e32 v10, 24, v13
	v_lshlrev_b32_e32 v6, 20, v6
	v_lshl_add_u32 v8, v8, 23, 0x3c000000
	v_and_b32_e32 v10, 0x80000000, v10
	v_or3_b32 v6, v6, v10, v8
	v_mov_b32_e32 v18, v7
	v_mov_b32_e32 v17, v6
.LBB198_1146:                           ;   in Loop: Header=BB198_800 Depth=1
	s_or_b32 exec_lo, exec_lo, s15
.LBB198_1147:                           ;   in Loop: Header=BB198_800 Depth=1
	s_or_b32 exec_lo, exec_lo, s9
.LBB198_1148:                           ;   in Loop: Header=BB198_800 Depth=1
	s_or_b32 exec_lo, exec_lo, s7
	v_cmp_ne_u16_sdwa s4, v13, v7 src0_sel:BYTE_1 src1_sel:DWORD
	s_and_saveexec_b32 s7, s4
	s_cbranch_execz .LBB198_1156
; %bb.1149:                             ;   in Loop: Header=BB198_800 Depth=1
	v_mov_b32_e32 v8, v7
	v_mov_b32_e32 v20, v9
	v_cmp_ne_u16_sdwa s4, v13, v68 src0_sel:BYTE_1 src1_sel:DWORD
	v_mov_b32_e32 v19, v8
	s_and_saveexec_b32 s9, s4
	s_cbranch_execz .LBB198_1155
; %bb.1150:                             ;   in Loop: Header=BB198_800 Depth=1
	v_and_b32_sdwa v6, v44, v13 dst_sel:DWORD dst_unused:UNUSED_PAD src0_sel:DWORD src1_sel:BYTE_1
	v_mov_b32_e32 v11, v7
	v_mov_b32_e32 v20, v12
	s_mov_b32 s15, exec_lo
	v_and_b32_e32 v10, 0x7f, v6
	v_mov_b32_e32 v19, v11
	v_cmpx_ne_u32_e32 0x7f, v10
	s_cbranch_execz .LBB198_1154
; %bb.1151:                             ;   in Loop: Header=BB198_800 Depth=1
	v_and_b32_e32 v6, 7, v6
	v_lshrrev_b32_e32 v8, 3, v10
	s_mov_b32 s18, exec_lo
	v_cmpx_gt_u32_e32 8, v10
; %bb.1152:                             ;   in Loop: Header=BB198_800 Depth=1
	v_ffbh_u32_e32 v8, v6
	v_min_u32_e32 v8, 32, v8
	v_subrev_nc_u32_e32 v10, 28, v8
	v_sub_nc_u32_e32 v8, 29, v8
	v_lshlrev_b64 v[10:11], v10, v[6:7]
	v_and_b32_e32 v6, 7, v10
; %bb.1153:                             ;   in Loop: Header=BB198_800 Depth=1
	s_or_b32 exec_lo, exec_lo, s18
	v_lshlrev_b32_e32 v10, 16, v13
	v_lshlrev_b32_e32 v6, 20, v6
	v_lshl_add_u32 v8, v8, 23, 0x3c000000
	v_mov_b32_e32 v19, v7
	v_and_b32_e32 v10, 0x80000000, v10
	v_or3_b32 v20, v6, v10, v8
.LBB198_1154:                           ;   in Loop: Header=BB198_800 Depth=1
	s_or_b32 exec_lo, exec_lo, s15
.LBB198_1155:                           ;   in Loop: Header=BB198_800 Depth=1
	s_or_b32 exec_lo, exec_lo, s9
.LBB198_1156:                           ;   in Loop: Header=BB198_800 Depth=1
	s_or_b32 exec_lo, exec_lo, s7
	v_mov_b32_e32 v10, 0
	v_mov_b32_e32 v21, 0
	v_and_b32_sdwa v6, v13, v70 dst_sel:DWORD dst_unused:UNUSED_PAD src0_sel:WORD_1 src1_sel:DWORD
	v_mov_b32_e32 v11, 0
	v_mov_b32_e32 v22, 0
	s_mov_b32 s7, exec_lo
	v_cmpx_ne_u16_e32 0, v6
	s_cbranch_execz .LBB198_1164
; %bb.1157:                             ;   in Loop: Header=BB198_800 Depth=1
	v_bfrev_b32_e32 v21, 1
	v_mov_b32_e32 v22, 0
	s_mov_b32 s9, exec_lo
	v_cmpx_ne_u16_e32 0x80, v6
	s_cbranch_execz .LBB198_1163
; %bb.1158:                             ;   in Loop: Header=BB198_800 Depth=1
	v_mov_b32_e32 v21, 0x7f800001
	v_bfe_u32 v14, v13, 16, 7
	v_mov_b32_e32 v22, 0
	s_mov_b32 s15, exec_lo
	v_cmpx_ne_u32_e32 0x7f, v14
	s_cbranch_execz .LBB198_1162
; %bb.1159:                             ;   in Loop: Header=BB198_800 Depth=1
	v_mov_b32_e32 v6, 7
	v_lshrrev_b32_e32 v8, 3, v14
	s_mov_b32 s18, exec_lo
	v_and_b32_sdwa v6, v13, v6 dst_sel:DWORD dst_unused:UNUSED_PAD src0_sel:WORD_1 src1_sel:DWORD
	v_cmpx_gt_u32_e32 8, v14
; %bb.1160:                             ;   in Loop: Header=BB198_800 Depth=1
	v_ffbh_u32_e32 v8, v6
	v_min_u32_e32 v8, 32, v8
	v_subrev_nc_u32_e32 v14, 28, v8
	v_sub_nc_u32_e32 v8, 29, v8
	v_lshlrev_b64 v[21:22], v14, v[6:7]
	v_and_b32_e32 v6, 7, v21
; %bb.1161:                             ;   in Loop: Header=BB198_800 Depth=1
	s_or_b32 exec_lo, exec_lo, s18
	v_mov_b32_e32 v14, 24
	v_lshlrev_b32_e32 v6, 20, v6
	v_lshl_add_u32 v8, v8, 23, 0x3c000000
	v_lshlrev_b32_sdwa v14, v14, v13 dst_sel:DWORD dst_unused:UNUSED_PAD src0_sel:DWORD src1_sel:WORD_1
	v_and_b32_e32 v14, 0x80000000, v14
	v_or3_b32 v6, v6, v14, v8
	v_mov_b32_e32 v22, v7
	v_mov_b32_e32 v21, v6
.LBB198_1162:                           ;   in Loop: Header=BB198_800 Depth=1
	s_or_b32 exec_lo, exec_lo, s15
.LBB198_1163:                           ;   in Loop: Header=BB198_800 Depth=1
	s_or_b32 exec_lo, exec_lo, s9
.LBB198_1164:                           ;   in Loop: Header=BB198_800 Depth=1
	s_or_b32 exec_lo, exec_lo, s7
	s_mov_b32 s7, exec_lo
	v_cmpx_lt_u32_e32 0xffffff, v13
	s_cbranch_execz .LBB198_1172
; %bb.1165:                             ;   in Loop: Header=BB198_800 Depth=1
	v_mov_b32_e32 v8, v7
	v_mov_b32_e32 v11, v9
	v_cmp_ne_u32_sdwa s4, v13, v68 src0_sel:BYTE_3 src1_sel:DWORD
	v_mov_b32_e32 v10, v8
	s_and_saveexec_b32 s9, s4
	s_cbranch_execz .LBB198_1171
; %bb.1166:                             ;   in Loop: Header=BB198_800 Depth=1
	v_mov_b32_e32 v11, v7
	v_bfe_u32 v14, v13, 24, 7
	s_mov_b32 s15, exec_lo
	v_mov_b32_e32 v10, v11
	v_mov_b32_e32 v11, v12
	v_cmpx_ne_u32_e32 0x7f, v14
	s_cbranch_execz .LBB198_1170
; %bb.1167:                             ;   in Loop: Header=BB198_800 Depth=1
	v_mov_b32_e32 v6, 7
	v_lshrrev_b32_e32 v8, 3, v14
	s_mov_b32 s18, exec_lo
	v_and_b32_sdwa v6, v13, v6 dst_sel:DWORD dst_unused:UNUSED_PAD src0_sel:BYTE_3 src1_sel:DWORD
	v_cmpx_gt_u32_e32 8, v14
; %bb.1168:                             ;   in Loop: Header=BB198_800 Depth=1
	v_ffbh_u32_e32 v8, v6
	v_min_u32_e32 v8, 32, v8
	v_subrev_nc_u32_e32 v10, 28, v8
	v_sub_nc_u32_e32 v8, 29, v8
	v_lshlrev_b64 v[10:11], v10, v[6:7]
	v_and_b32_e32 v6, 7, v10
; %bb.1169:                             ;   in Loop: Header=BB198_800 Depth=1
	s_or_b32 exec_lo, exec_lo, s18
	v_mov_b32_e32 v10, 24
	v_lshlrev_b32_e32 v6, 20, v6
	v_lshl_add_u32 v8, v8, 23, 0x3c000000
	v_lshlrev_b32_sdwa v10, v10, v13 dst_sel:DWORD dst_unused:UNUSED_PAD src0_sel:DWORD src1_sel:BYTE_3
	v_and_b32_e32 v10, 0x80000000, v10
	v_or3_b32 v11, v6, v10, v8
	v_mov_b32_e32 v10, v7
.LBB198_1170:                           ;   in Loop: Header=BB198_800 Depth=1
	s_or_b32 exec_lo, exec_lo, s15
.LBB198_1171:                           ;   in Loop: Header=BB198_800 Depth=1
	s_or_b32 exec_lo, exec_lo, s9
.LBB198_1172:                           ;   in Loop: Header=BB198_800 Depth=1
	s_or_b32 exec_lo, exec_lo, s7
	v_or_b32_e32 v6, v20, v18
	v_or_b32_e32 v8, v19, v17
	;; [unrolled: 1-line block ×4, first 2 shown]
	v_mul_f32_e32 v91, v83, v6
	v_mul_f32_e32 v92, v67, v8
	;; [unrolled: 1-line block ×4, first 2 shown]
	s_and_saveexec_b32 s7, vcc_lo
	s_cbranch_execz .LBB198_1174
; %bb.1173:                             ;   in Loop: Header=BB198_800 Depth=1
	v_cmp_lt_i32_e64 s4, v101, v116
	v_cndmask_b32_e64 v92, 0, v92, s4
	v_cmp_lt_i32_e64 s4, v103, v116
	v_cndmask_b32_e64 v91, 0, v91, s4
	;; [unrolled: 2-line block ×4, first 2 shown]
.LBB198_1174:                           ;   in Loop: Header=BB198_800 Depth=1
	s_or_b32 exec_lo, exec_lo, s7
	flat_load_dword v13, v[0:1] offset:1408
	v_mov_b32_e32 v19, 0
	v_mov_b32_e32 v17, 0
	;; [unrolled: 1-line block ×4, first 2 shown]
	s_waitcnt vmcnt(0) lgkmcnt(0)
	v_cmp_ne_u16_sdwa s4, v13, v7 src0_sel:BYTE_0 src1_sel:DWORD
	s_and_saveexec_b32 s7, s4
	s_cbranch_execz .LBB198_1182
; %bb.1175:                             ;   in Loop: Header=BB198_800 Depth=1
	v_bfrev_b32_e32 v17, 1
	v_mov_b32_e32 v18, 0
	v_cmp_ne_u16_sdwa s4, v13, v68 src0_sel:BYTE_0 src1_sel:DWORD
	s_and_saveexec_b32 s9, s4
	s_cbranch_execz .LBB198_1181
; %bb.1176:                             ;   in Loop: Header=BB198_800 Depth=1
	v_mov_b32_e32 v17, 0x7f800001
	v_and_b32_e32 v10, 0x7f, v13
	v_mov_b32_e32 v18, 0
	s_mov_b32 s15, exec_lo
	v_cmpx_ne_u32_e32 0x7f, v10
	s_cbranch_execz .LBB198_1180
; %bb.1177:                             ;   in Loop: Header=BB198_800 Depth=1
	v_and_b32_e32 v6, 7, v13
	v_lshrrev_b32_e32 v8, 3, v10
	s_mov_b32 s18, exec_lo
	v_cmpx_gt_u32_e32 8, v10
; %bb.1178:                             ;   in Loop: Header=BB198_800 Depth=1
	v_ffbh_u32_e32 v8, v6
	v_min_u32_e32 v8, 32, v8
	v_subrev_nc_u32_e32 v10, 28, v8
	v_sub_nc_u32_e32 v8, 29, v8
	v_lshlrev_b64 v[10:11], v10, v[6:7]
	v_and_b32_e32 v6, 7, v10
; %bb.1179:                             ;   in Loop: Header=BB198_800 Depth=1
	s_or_b32 exec_lo, exec_lo, s18
	v_lshlrev_b32_e32 v10, 24, v13
	v_lshlrev_b32_e32 v6, 20, v6
	v_lshl_add_u32 v8, v8, 23, 0x3c000000
	v_and_b32_e32 v10, 0x80000000, v10
	v_or3_b32 v6, v6, v10, v8
	v_mov_b32_e32 v18, v7
	v_mov_b32_e32 v17, v6
.LBB198_1180:                           ;   in Loop: Header=BB198_800 Depth=1
	s_or_b32 exec_lo, exec_lo, s15
.LBB198_1181:                           ;   in Loop: Header=BB198_800 Depth=1
	s_or_b32 exec_lo, exec_lo, s9
.LBB198_1182:                           ;   in Loop: Header=BB198_800 Depth=1
	s_or_b32 exec_lo, exec_lo, s7
	v_cmp_ne_u16_sdwa s4, v13, v7 src0_sel:BYTE_1 src1_sel:DWORD
	s_and_saveexec_b32 s7, s4
	s_cbranch_execz .LBB198_1190
; %bb.1183:                             ;   in Loop: Header=BB198_800 Depth=1
	v_mov_b32_e32 v8, v7
	v_mov_b32_e32 v20, v9
	v_cmp_ne_u16_sdwa s4, v13, v68 src0_sel:BYTE_1 src1_sel:DWORD
	v_mov_b32_e32 v19, v8
	s_and_saveexec_b32 s9, s4
	s_cbranch_execz .LBB198_1189
; %bb.1184:                             ;   in Loop: Header=BB198_800 Depth=1
	v_and_b32_sdwa v6, v44, v13 dst_sel:DWORD dst_unused:UNUSED_PAD src0_sel:DWORD src1_sel:BYTE_1
	v_mov_b32_e32 v11, v7
	v_mov_b32_e32 v20, v12
	s_mov_b32 s15, exec_lo
	v_and_b32_e32 v10, 0x7f, v6
	v_mov_b32_e32 v19, v11
	v_cmpx_ne_u32_e32 0x7f, v10
	s_cbranch_execz .LBB198_1188
; %bb.1185:                             ;   in Loop: Header=BB198_800 Depth=1
	v_and_b32_e32 v6, 7, v6
	v_lshrrev_b32_e32 v8, 3, v10
	s_mov_b32 s18, exec_lo
	v_cmpx_gt_u32_e32 8, v10
; %bb.1186:                             ;   in Loop: Header=BB198_800 Depth=1
	v_ffbh_u32_e32 v8, v6
	v_min_u32_e32 v8, 32, v8
	v_subrev_nc_u32_e32 v10, 28, v8
	v_sub_nc_u32_e32 v8, 29, v8
	v_lshlrev_b64 v[10:11], v10, v[6:7]
	v_and_b32_e32 v6, 7, v10
; %bb.1187:                             ;   in Loop: Header=BB198_800 Depth=1
	s_or_b32 exec_lo, exec_lo, s18
	v_lshlrev_b32_e32 v10, 16, v13
	v_lshlrev_b32_e32 v6, 20, v6
	v_lshl_add_u32 v8, v8, 23, 0x3c000000
	v_mov_b32_e32 v19, v7
	v_and_b32_e32 v10, 0x80000000, v10
	v_or3_b32 v20, v6, v10, v8
.LBB198_1188:                           ;   in Loop: Header=BB198_800 Depth=1
	s_or_b32 exec_lo, exec_lo, s15
.LBB198_1189:                           ;   in Loop: Header=BB198_800 Depth=1
	s_or_b32 exec_lo, exec_lo, s9
.LBB198_1190:                           ;   in Loop: Header=BB198_800 Depth=1
	s_or_b32 exec_lo, exec_lo, s7
	v_mov_b32_e32 v10, 0
	v_mov_b32_e32 v21, 0
	v_and_b32_sdwa v6, v13, v70 dst_sel:DWORD dst_unused:UNUSED_PAD src0_sel:WORD_1 src1_sel:DWORD
	v_mov_b32_e32 v11, 0
	v_mov_b32_e32 v22, 0
	s_mov_b32 s7, exec_lo
	v_cmpx_ne_u16_e32 0, v6
	s_cbranch_execz .LBB198_1198
; %bb.1191:                             ;   in Loop: Header=BB198_800 Depth=1
	v_bfrev_b32_e32 v21, 1
	v_mov_b32_e32 v22, 0
	s_mov_b32 s9, exec_lo
	v_cmpx_ne_u16_e32 0x80, v6
	s_cbranch_execz .LBB198_1197
; %bb.1192:                             ;   in Loop: Header=BB198_800 Depth=1
	v_mov_b32_e32 v21, 0x7f800001
	v_bfe_u32 v14, v13, 16, 7
	v_mov_b32_e32 v22, 0
	s_mov_b32 s15, exec_lo
	v_cmpx_ne_u32_e32 0x7f, v14
	s_cbranch_execz .LBB198_1196
; %bb.1193:                             ;   in Loop: Header=BB198_800 Depth=1
	v_mov_b32_e32 v6, 7
	v_lshrrev_b32_e32 v8, 3, v14
	s_mov_b32 s18, exec_lo
	v_and_b32_sdwa v6, v13, v6 dst_sel:DWORD dst_unused:UNUSED_PAD src0_sel:WORD_1 src1_sel:DWORD
	v_cmpx_gt_u32_e32 8, v14
; %bb.1194:                             ;   in Loop: Header=BB198_800 Depth=1
	v_ffbh_u32_e32 v8, v6
	v_min_u32_e32 v8, 32, v8
	v_subrev_nc_u32_e32 v14, 28, v8
	v_sub_nc_u32_e32 v8, 29, v8
	v_lshlrev_b64 v[21:22], v14, v[6:7]
	v_and_b32_e32 v6, 7, v21
; %bb.1195:                             ;   in Loop: Header=BB198_800 Depth=1
	s_or_b32 exec_lo, exec_lo, s18
	v_mov_b32_e32 v14, 24
	v_lshlrev_b32_e32 v6, 20, v6
	v_lshl_add_u32 v8, v8, 23, 0x3c000000
	v_lshlrev_b32_sdwa v14, v14, v13 dst_sel:DWORD dst_unused:UNUSED_PAD src0_sel:DWORD src1_sel:WORD_1
	v_and_b32_e32 v14, 0x80000000, v14
	v_or3_b32 v6, v6, v14, v8
	v_mov_b32_e32 v22, v7
	v_mov_b32_e32 v21, v6
.LBB198_1196:                           ;   in Loop: Header=BB198_800 Depth=1
	s_or_b32 exec_lo, exec_lo, s15
.LBB198_1197:                           ;   in Loop: Header=BB198_800 Depth=1
	s_or_b32 exec_lo, exec_lo, s9
.LBB198_1198:                           ;   in Loop: Header=BB198_800 Depth=1
	s_or_b32 exec_lo, exec_lo, s7
	s_mov_b32 s7, exec_lo
	v_cmpx_lt_u32_e32 0xffffff, v13
	s_cbranch_execz .LBB198_1206
; %bb.1199:                             ;   in Loop: Header=BB198_800 Depth=1
	v_mov_b32_e32 v8, v7
	v_mov_b32_e32 v11, v9
	v_cmp_ne_u32_sdwa s4, v13, v68 src0_sel:BYTE_3 src1_sel:DWORD
	v_mov_b32_e32 v10, v8
	s_and_saveexec_b32 s9, s4
	s_cbranch_execz .LBB198_1205
; %bb.1200:                             ;   in Loop: Header=BB198_800 Depth=1
	v_mov_b32_e32 v11, v7
	v_bfe_u32 v14, v13, 24, 7
	s_mov_b32 s15, exec_lo
	v_mov_b32_e32 v10, v11
	v_mov_b32_e32 v11, v12
	v_cmpx_ne_u32_e32 0x7f, v14
	s_cbranch_execz .LBB198_1204
; %bb.1201:                             ;   in Loop: Header=BB198_800 Depth=1
	v_mov_b32_e32 v6, 7
	v_lshrrev_b32_e32 v8, 3, v14
	s_mov_b32 s18, exec_lo
	v_and_b32_sdwa v6, v13, v6 dst_sel:DWORD dst_unused:UNUSED_PAD src0_sel:BYTE_3 src1_sel:DWORD
	v_cmpx_gt_u32_e32 8, v14
; %bb.1202:                             ;   in Loop: Header=BB198_800 Depth=1
	v_ffbh_u32_e32 v8, v6
	v_min_u32_e32 v8, 32, v8
	v_subrev_nc_u32_e32 v10, 28, v8
	v_sub_nc_u32_e32 v8, 29, v8
	v_lshlrev_b64 v[10:11], v10, v[6:7]
	v_and_b32_e32 v6, 7, v10
; %bb.1203:                             ;   in Loop: Header=BB198_800 Depth=1
	s_or_b32 exec_lo, exec_lo, s18
	v_mov_b32_e32 v10, 24
	v_lshlrev_b32_e32 v6, 20, v6
	v_lshl_add_u32 v8, v8, 23, 0x3c000000
	v_lshlrev_b32_sdwa v10, v10, v13 dst_sel:DWORD dst_unused:UNUSED_PAD src0_sel:DWORD src1_sel:BYTE_3
	v_and_b32_e32 v10, 0x80000000, v10
	v_or3_b32 v11, v6, v10, v8
	v_mov_b32_e32 v10, v7
.LBB198_1204:                           ;   in Loop: Header=BB198_800 Depth=1
	s_or_b32 exec_lo, exec_lo, s15
.LBB198_1205:                           ;   in Loop: Header=BB198_800 Depth=1
	s_or_b32 exec_lo, exec_lo, s9
.LBB198_1206:                           ;   in Loop: Header=BB198_800 Depth=1
	s_or_b32 exec_lo, exec_lo, s7
	v_or_b32_e32 v6, v20, v18
	v_or_b32_e32 v8, v19, v17
	;; [unrolled: 1-line block ×4, first 2 shown]
	v_mul_f32_e32 v95, v83, v6
	v_mul_f32_e32 v104, v67, v8
	v_mul_f32_e32 v94, v67, v10
	v_mul_f32_e32 v93, v83, v11
	s_and_saveexec_b32 s7, vcc_lo
	s_cbranch_execz .LBB198_1208
; %bb.1207:                             ;   in Loop: Header=BB198_800 Depth=1
	v_cmp_lt_i32_e64 s4, v101, v116
	v_cndmask_b32_e64 v104, 0, v104, s4
	v_cmp_lt_i32_e64 s4, v103, v116
	v_cndmask_b32_e64 v95, 0, v95, s4
	;; [unrolled: 2-line block ×4, first 2 shown]
.LBB198_1208:                           ;   in Loop: Header=BB198_800 Depth=1
	s_or_b32 exec_lo, exec_lo, s7
	flat_load_dword v13, v[0:1] offset:1536
	v_mov_b32_e32 v19, 0
	v_mov_b32_e32 v17, 0
	;; [unrolled: 1-line block ×4, first 2 shown]
	s_waitcnt vmcnt(0) lgkmcnt(0)
	v_cmp_ne_u16_sdwa s4, v13, v7 src0_sel:BYTE_0 src1_sel:DWORD
	s_and_saveexec_b32 s7, s4
	s_cbranch_execz .LBB198_1216
; %bb.1209:                             ;   in Loop: Header=BB198_800 Depth=1
	v_bfrev_b32_e32 v17, 1
	v_mov_b32_e32 v18, 0
	v_cmp_ne_u16_sdwa s4, v13, v68 src0_sel:BYTE_0 src1_sel:DWORD
	s_and_saveexec_b32 s9, s4
	s_cbranch_execz .LBB198_1215
; %bb.1210:                             ;   in Loop: Header=BB198_800 Depth=1
	v_mov_b32_e32 v17, 0x7f800001
	v_and_b32_e32 v10, 0x7f, v13
	v_mov_b32_e32 v18, 0
	s_mov_b32 s15, exec_lo
	v_cmpx_ne_u32_e32 0x7f, v10
	s_cbranch_execz .LBB198_1214
; %bb.1211:                             ;   in Loop: Header=BB198_800 Depth=1
	v_and_b32_e32 v6, 7, v13
	v_lshrrev_b32_e32 v8, 3, v10
	s_mov_b32 s18, exec_lo
	v_cmpx_gt_u32_e32 8, v10
; %bb.1212:                             ;   in Loop: Header=BB198_800 Depth=1
	v_ffbh_u32_e32 v8, v6
	v_min_u32_e32 v8, 32, v8
	v_subrev_nc_u32_e32 v10, 28, v8
	v_sub_nc_u32_e32 v8, 29, v8
	v_lshlrev_b64 v[10:11], v10, v[6:7]
	v_and_b32_e32 v6, 7, v10
; %bb.1213:                             ;   in Loop: Header=BB198_800 Depth=1
	s_or_b32 exec_lo, exec_lo, s18
	v_lshlrev_b32_e32 v10, 24, v13
	v_lshlrev_b32_e32 v6, 20, v6
	v_lshl_add_u32 v8, v8, 23, 0x3c000000
	v_and_b32_e32 v10, 0x80000000, v10
	v_or3_b32 v6, v6, v10, v8
	v_mov_b32_e32 v18, v7
	v_mov_b32_e32 v17, v6
.LBB198_1214:                           ;   in Loop: Header=BB198_800 Depth=1
	s_or_b32 exec_lo, exec_lo, s15
.LBB198_1215:                           ;   in Loop: Header=BB198_800 Depth=1
	s_or_b32 exec_lo, exec_lo, s9
.LBB198_1216:                           ;   in Loop: Header=BB198_800 Depth=1
	s_or_b32 exec_lo, exec_lo, s7
	v_cmp_ne_u16_sdwa s4, v13, v7 src0_sel:BYTE_1 src1_sel:DWORD
	s_and_saveexec_b32 s7, s4
	s_cbranch_execz .LBB198_1224
; %bb.1217:                             ;   in Loop: Header=BB198_800 Depth=1
	v_mov_b32_e32 v8, v7
	v_mov_b32_e32 v20, v9
	v_cmp_ne_u16_sdwa s4, v13, v68 src0_sel:BYTE_1 src1_sel:DWORD
	v_mov_b32_e32 v19, v8
	s_and_saveexec_b32 s9, s4
	s_cbranch_execz .LBB198_1223
; %bb.1218:                             ;   in Loop: Header=BB198_800 Depth=1
	v_and_b32_sdwa v6, v44, v13 dst_sel:DWORD dst_unused:UNUSED_PAD src0_sel:DWORD src1_sel:BYTE_1
	v_mov_b32_e32 v11, v7
	v_mov_b32_e32 v20, v12
	s_mov_b32 s15, exec_lo
	v_and_b32_e32 v10, 0x7f, v6
	v_mov_b32_e32 v19, v11
	v_cmpx_ne_u32_e32 0x7f, v10
	s_cbranch_execz .LBB198_1222
; %bb.1219:                             ;   in Loop: Header=BB198_800 Depth=1
	v_and_b32_e32 v6, 7, v6
	v_lshrrev_b32_e32 v8, 3, v10
	s_mov_b32 s18, exec_lo
	v_cmpx_gt_u32_e32 8, v10
; %bb.1220:                             ;   in Loop: Header=BB198_800 Depth=1
	v_ffbh_u32_e32 v8, v6
	v_min_u32_e32 v8, 32, v8
	v_subrev_nc_u32_e32 v10, 28, v8
	v_sub_nc_u32_e32 v8, 29, v8
	v_lshlrev_b64 v[10:11], v10, v[6:7]
	v_and_b32_e32 v6, 7, v10
; %bb.1221:                             ;   in Loop: Header=BB198_800 Depth=1
	s_or_b32 exec_lo, exec_lo, s18
	v_lshlrev_b32_e32 v10, 16, v13
	v_lshlrev_b32_e32 v6, 20, v6
	v_lshl_add_u32 v8, v8, 23, 0x3c000000
	v_mov_b32_e32 v19, v7
	v_and_b32_e32 v10, 0x80000000, v10
	v_or3_b32 v20, v6, v10, v8
.LBB198_1222:                           ;   in Loop: Header=BB198_800 Depth=1
	s_or_b32 exec_lo, exec_lo, s15
.LBB198_1223:                           ;   in Loop: Header=BB198_800 Depth=1
	s_or_b32 exec_lo, exec_lo, s9
.LBB198_1224:                           ;   in Loop: Header=BB198_800 Depth=1
	s_or_b32 exec_lo, exec_lo, s7
	v_mov_b32_e32 v10, 0
	v_mov_b32_e32 v21, 0
	v_and_b32_sdwa v6, v13, v70 dst_sel:DWORD dst_unused:UNUSED_PAD src0_sel:WORD_1 src1_sel:DWORD
	v_mov_b32_e32 v11, 0
	v_mov_b32_e32 v22, 0
	s_mov_b32 s7, exec_lo
	v_cmpx_ne_u16_e32 0, v6
	s_cbranch_execz .LBB198_1232
; %bb.1225:                             ;   in Loop: Header=BB198_800 Depth=1
	v_bfrev_b32_e32 v21, 1
	v_mov_b32_e32 v22, 0
	s_mov_b32 s9, exec_lo
	v_cmpx_ne_u16_e32 0x80, v6
	s_cbranch_execz .LBB198_1231
; %bb.1226:                             ;   in Loop: Header=BB198_800 Depth=1
	v_mov_b32_e32 v21, 0x7f800001
	v_bfe_u32 v14, v13, 16, 7
	v_mov_b32_e32 v22, 0
	s_mov_b32 s15, exec_lo
	v_cmpx_ne_u32_e32 0x7f, v14
	s_cbranch_execz .LBB198_1230
; %bb.1227:                             ;   in Loop: Header=BB198_800 Depth=1
	v_mov_b32_e32 v6, 7
	v_lshrrev_b32_e32 v8, 3, v14
	s_mov_b32 s18, exec_lo
	v_and_b32_sdwa v6, v13, v6 dst_sel:DWORD dst_unused:UNUSED_PAD src0_sel:WORD_1 src1_sel:DWORD
	v_cmpx_gt_u32_e32 8, v14
; %bb.1228:                             ;   in Loop: Header=BB198_800 Depth=1
	v_ffbh_u32_e32 v8, v6
	v_min_u32_e32 v8, 32, v8
	v_subrev_nc_u32_e32 v14, 28, v8
	v_sub_nc_u32_e32 v8, 29, v8
	v_lshlrev_b64 v[21:22], v14, v[6:7]
	v_and_b32_e32 v6, 7, v21
; %bb.1229:                             ;   in Loop: Header=BB198_800 Depth=1
	s_or_b32 exec_lo, exec_lo, s18
	v_mov_b32_e32 v14, 24
	v_lshlrev_b32_e32 v6, 20, v6
	v_lshl_add_u32 v8, v8, 23, 0x3c000000
	v_lshlrev_b32_sdwa v14, v14, v13 dst_sel:DWORD dst_unused:UNUSED_PAD src0_sel:DWORD src1_sel:WORD_1
	v_and_b32_e32 v14, 0x80000000, v14
	v_or3_b32 v6, v6, v14, v8
	v_mov_b32_e32 v22, v7
	v_mov_b32_e32 v21, v6
.LBB198_1230:                           ;   in Loop: Header=BB198_800 Depth=1
	s_or_b32 exec_lo, exec_lo, s15
.LBB198_1231:                           ;   in Loop: Header=BB198_800 Depth=1
	s_or_b32 exec_lo, exec_lo, s9
.LBB198_1232:                           ;   in Loop: Header=BB198_800 Depth=1
	s_or_b32 exec_lo, exec_lo, s7
	s_mov_b32 s7, exec_lo
	v_cmpx_lt_u32_e32 0xffffff, v13
	s_cbranch_execz .LBB198_1240
; %bb.1233:                             ;   in Loop: Header=BB198_800 Depth=1
	v_mov_b32_e32 v8, v7
	v_mov_b32_e32 v11, v9
	v_cmp_ne_u32_sdwa s4, v13, v68 src0_sel:BYTE_3 src1_sel:DWORD
	v_mov_b32_e32 v10, v8
	s_and_saveexec_b32 s9, s4
	s_cbranch_execz .LBB198_1239
; %bb.1234:                             ;   in Loop: Header=BB198_800 Depth=1
	v_mov_b32_e32 v11, v7
	v_bfe_u32 v14, v13, 24, 7
	s_mov_b32 s15, exec_lo
	v_mov_b32_e32 v10, v11
	v_mov_b32_e32 v11, v12
	v_cmpx_ne_u32_e32 0x7f, v14
	s_cbranch_execz .LBB198_1238
; %bb.1235:                             ;   in Loop: Header=BB198_800 Depth=1
	v_mov_b32_e32 v6, 7
	v_lshrrev_b32_e32 v8, 3, v14
	s_mov_b32 s18, exec_lo
	v_and_b32_sdwa v6, v13, v6 dst_sel:DWORD dst_unused:UNUSED_PAD src0_sel:BYTE_3 src1_sel:DWORD
	v_cmpx_gt_u32_e32 8, v14
; %bb.1236:                             ;   in Loop: Header=BB198_800 Depth=1
	v_ffbh_u32_e32 v8, v6
	v_min_u32_e32 v8, 32, v8
	v_subrev_nc_u32_e32 v10, 28, v8
	v_sub_nc_u32_e32 v8, 29, v8
	v_lshlrev_b64 v[10:11], v10, v[6:7]
	v_and_b32_e32 v6, 7, v10
; %bb.1237:                             ;   in Loop: Header=BB198_800 Depth=1
	s_or_b32 exec_lo, exec_lo, s18
	v_mov_b32_e32 v10, 24
	v_lshlrev_b32_e32 v6, 20, v6
	v_lshl_add_u32 v8, v8, 23, 0x3c000000
	v_lshlrev_b32_sdwa v10, v10, v13 dst_sel:DWORD dst_unused:UNUSED_PAD src0_sel:DWORD src1_sel:BYTE_3
	v_and_b32_e32 v10, 0x80000000, v10
	v_or3_b32 v11, v6, v10, v8
	v_mov_b32_e32 v10, v7
.LBB198_1238:                           ;   in Loop: Header=BB198_800 Depth=1
	s_or_b32 exec_lo, exec_lo, s15
.LBB198_1239:                           ;   in Loop: Header=BB198_800 Depth=1
	s_or_b32 exec_lo, exec_lo, s9
.LBB198_1240:                           ;   in Loop: Header=BB198_800 Depth=1
	s_or_b32 exec_lo, exec_lo, s7
	v_or_b32_e32 v6, v20, v18
	v_or_b32_e32 v8, v19, v17
	;; [unrolled: 1-line block ×4, first 2 shown]
	v_mul_f32_e32 v107, v83, v6
	v_mul_f32_e32 v108, v67, v8
	;; [unrolled: 1-line block ×4, first 2 shown]
	s_and_saveexec_b32 s7, vcc_lo
	s_cbranch_execz .LBB198_1242
; %bb.1241:                             ;   in Loop: Header=BB198_800 Depth=1
	v_cmp_lt_i32_e64 s4, v101, v116
	v_cndmask_b32_e64 v108, 0, v108, s4
	v_cmp_lt_i32_e64 s4, v103, v116
	v_cndmask_b32_e64 v107, 0, v107, s4
	;; [unrolled: 2-line block ×4, first 2 shown]
.LBB198_1242:                           ;   in Loop: Header=BB198_800 Depth=1
	s_or_b32 exec_lo, exec_lo, s7
	flat_load_dword v13, v[0:1] offset:1664
	v_mov_b32_e32 v19, 0
	v_mov_b32_e32 v17, 0
	;; [unrolled: 1-line block ×4, first 2 shown]
	s_waitcnt vmcnt(0) lgkmcnt(0)
	v_cmp_ne_u16_sdwa s4, v13, v7 src0_sel:BYTE_0 src1_sel:DWORD
	s_and_saveexec_b32 s7, s4
	s_cbranch_execz .LBB198_1250
; %bb.1243:                             ;   in Loop: Header=BB198_800 Depth=1
	v_bfrev_b32_e32 v17, 1
	v_mov_b32_e32 v18, 0
	v_cmp_ne_u16_sdwa s4, v13, v68 src0_sel:BYTE_0 src1_sel:DWORD
	s_and_saveexec_b32 s9, s4
	s_cbranch_execz .LBB198_1249
; %bb.1244:                             ;   in Loop: Header=BB198_800 Depth=1
	v_mov_b32_e32 v17, 0x7f800001
	v_and_b32_e32 v10, 0x7f, v13
	v_mov_b32_e32 v18, 0
	s_mov_b32 s15, exec_lo
	v_cmpx_ne_u32_e32 0x7f, v10
	s_cbranch_execz .LBB198_1248
; %bb.1245:                             ;   in Loop: Header=BB198_800 Depth=1
	v_and_b32_e32 v6, 7, v13
	v_lshrrev_b32_e32 v8, 3, v10
	s_mov_b32 s18, exec_lo
	v_cmpx_gt_u32_e32 8, v10
; %bb.1246:                             ;   in Loop: Header=BB198_800 Depth=1
	v_ffbh_u32_e32 v8, v6
	v_min_u32_e32 v8, 32, v8
	v_subrev_nc_u32_e32 v10, 28, v8
	v_sub_nc_u32_e32 v8, 29, v8
	v_lshlrev_b64 v[10:11], v10, v[6:7]
	v_and_b32_e32 v6, 7, v10
; %bb.1247:                             ;   in Loop: Header=BB198_800 Depth=1
	s_or_b32 exec_lo, exec_lo, s18
	v_lshlrev_b32_e32 v10, 24, v13
	v_lshlrev_b32_e32 v6, 20, v6
	v_lshl_add_u32 v8, v8, 23, 0x3c000000
	v_and_b32_e32 v10, 0x80000000, v10
	v_or3_b32 v6, v6, v10, v8
	v_mov_b32_e32 v18, v7
	v_mov_b32_e32 v17, v6
.LBB198_1248:                           ;   in Loop: Header=BB198_800 Depth=1
	s_or_b32 exec_lo, exec_lo, s15
.LBB198_1249:                           ;   in Loop: Header=BB198_800 Depth=1
	s_or_b32 exec_lo, exec_lo, s9
.LBB198_1250:                           ;   in Loop: Header=BB198_800 Depth=1
	s_or_b32 exec_lo, exec_lo, s7
	v_cmp_ne_u16_sdwa s4, v13, v7 src0_sel:BYTE_1 src1_sel:DWORD
	s_and_saveexec_b32 s7, s4
	s_cbranch_execz .LBB198_1258
; %bb.1251:                             ;   in Loop: Header=BB198_800 Depth=1
	v_mov_b32_e32 v8, v7
	v_mov_b32_e32 v20, v9
	v_cmp_ne_u16_sdwa s4, v13, v68 src0_sel:BYTE_1 src1_sel:DWORD
	v_mov_b32_e32 v19, v8
	s_and_saveexec_b32 s9, s4
	s_cbranch_execz .LBB198_1257
; %bb.1252:                             ;   in Loop: Header=BB198_800 Depth=1
	v_and_b32_sdwa v6, v44, v13 dst_sel:DWORD dst_unused:UNUSED_PAD src0_sel:DWORD src1_sel:BYTE_1
	v_mov_b32_e32 v11, v7
	v_mov_b32_e32 v20, v12
	s_mov_b32 s15, exec_lo
	v_and_b32_e32 v10, 0x7f, v6
	v_mov_b32_e32 v19, v11
	v_cmpx_ne_u32_e32 0x7f, v10
	s_cbranch_execz .LBB198_1256
; %bb.1253:                             ;   in Loop: Header=BB198_800 Depth=1
	v_and_b32_e32 v6, 7, v6
	v_lshrrev_b32_e32 v8, 3, v10
	s_mov_b32 s18, exec_lo
	v_cmpx_gt_u32_e32 8, v10
; %bb.1254:                             ;   in Loop: Header=BB198_800 Depth=1
	v_ffbh_u32_e32 v8, v6
	v_min_u32_e32 v8, 32, v8
	v_subrev_nc_u32_e32 v10, 28, v8
	v_sub_nc_u32_e32 v8, 29, v8
	v_lshlrev_b64 v[10:11], v10, v[6:7]
	v_and_b32_e32 v6, 7, v10
; %bb.1255:                             ;   in Loop: Header=BB198_800 Depth=1
	s_or_b32 exec_lo, exec_lo, s18
	v_lshlrev_b32_e32 v10, 16, v13
	v_lshlrev_b32_e32 v6, 20, v6
	v_lshl_add_u32 v8, v8, 23, 0x3c000000
	v_mov_b32_e32 v19, v7
	v_and_b32_e32 v10, 0x80000000, v10
	v_or3_b32 v20, v6, v10, v8
.LBB198_1256:                           ;   in Loop: Header=BB198_800 Depth=1
	s_or_b32 exec_lo, exec_lo, s15
.LBB198_1257:                           ;   in Loop: Header=BB198_800 Depth=1
	s_or_b32 exec_lo, exec_lo, s9
.LBB198_1258:                           ;   in Loop: Header=BB198_800 Depth=1
	s_or_b32 exec_lo, exec_lo, s7
	v_mov_b32_e32 v10, 0
	v_mov_b32_e32 v21, 0
	v_and_b32_sdwa v6, v13, v70 dst_sel:DWORD dst_unused:UNUSED_PAD src0_sel:WORD_1 src1_sel:DWORD
	v_mov_b32_e32 v11, 0
	v_mov_b32_e32 v22, 0
	s_mov_b32 s7, exec_lo
	v_cmpx_ne_u16_e32 0, v6
	s_cbranch_execz .LBB198_1266
; %bb.1259:                             ;   in Loop: Header=BB198_800 Depth=1
	v_bfrev_b32_e32 v21, 1
	v_mov_b32_e32 v22, 0
	s_mov_b32 s9, exec_lo
	v_cmpx_ne_u16_e32 0x80, v6
	s_cbranch_execz .LBB198_1265
; %bb.1260:                             ;   in Loop: Header=BB198_800 Depth=1
	v_mov_b32_e32 v21, 0x7f800001
	v_bfe_u32 v14, v13, 16, 7
	v_mov_b32_e32 v22, 0
	s_mov_b32 s15, exec_lo
	v_cmpx_ne_u32_e32 0x7f, v14
	s_cbranch_execz .LBB198_1264
; %bb.1261:                             ;   in Loop: Header=BB198_800 Depth=1
	v_mov_b32_e32 v6, 7
	v_lshrrev_b32_e32 v8, 3, v14
	s_mov_b32 s18, exec_lo
	v_and_b32_sdwa v6, v13, v6 dst_sel:DWORD dst_unused:UNUSED_PAD src0_sel:WORD_1 src1_sel:DWORD
	v_cmpx_gt_u32_e32 8, v14
; %bb.1262:                             ;   in Loop: Header=BB198_800 Depth=1
	v_ffbh_u32_e32 v8, v6
	v_min_u32_e32 v8, 32, v8
	v_subrev_nc_u32_e32 v14, 28, v8
	v_sub_nc_u32_e32 v8, 29, v8
	v_lshlrev_b64 v[21:22], v14, v[6:7]
	v_and_b32_e32 v6, 7, v21
; %bb.1263:                             ;   in Loop: Header=BB198_800 Depth=1
	s_or_b32 exec_lo, exec_lo, s18
	v_mov_b32_e32 v14, 24
	v_lshlrev_b32_e32 v6, 20, v6
	v_lshl_add_u32 v8, v8, 23, 0x3c000000
	v_lshlrev_b32_sdwa v14, v14, v13 dst_sel:DWORD dst_unused:UNUSED_PAD src0_sel:DWORD src1_sel:WORD_1
	v_and_b32_e32 v14, 0x80000000, v14
	v_or3_b32 v6, v6, v14, v8
	v_mov_b32_e32 v22, v7
	v_mov_b32_e32 v21, v6
.LBB198_1264:                           ;   in Loop: Header=BB198_800 Depth=1
	s_or_b32 exec_lo, exec_lo, s15
.LBB198_1265:                           ;   in Loop: Header=BB198_800 Depth=1
	s_or_b32 exec_lo, exec_lo, s9
.LBB198_1266:                           ;   in Loop: Header=BB198_800 Depth=1
	s_or_b32 exec_lo, exec_lo, s7
	s_mov_b32 s7, exec_lo
	v_cmpx_lt_u32_e32 0xffffff, v13
	s_cbranch_execz .LBB198_1274
; %bb.1267:                             ;   in Loop: Header=BB198_800 Depth=1
	v_mov_b32_e32 v8, v7
	v_mov_b32_e32 v11, v9
	v_cmp_ne_u32_sdwa s4, v13, v68 src0_sel:BYTE_3 src1_sel:DWORD
	v_mov_b32_e32 v10, v8
	s_and_saveexec_b32 s9, s4
	s_cbranch_execz .LBB198_1273
; %bb.1268:                             ;   in Loop: Header=BB198_800 Depth=1
	v_mov_b32_e32 v11, v7
	v_bfe_u32 v14, v13, 24, 7
	s_mov_b32 s15, exec_lo
	v_mov_b32_e32 v10, v11
	v_mov_b32_e32 v11, v12
	v_cmpx_ne_u32_e32 0x7f, v14
	s_cbranch_execz .LBB198_1272
; %bb.1269:                             ;   in Loop: Header=BB198_800 Depth=1
	v_mov_b32_e32 v6, 7
	v_lshrrev_b32_e32 v8, 3, v14
	s_mov_b32 s18, exec_lo
	v_and_b32_sdwa v6, v13, v6 dst_sel:DWORD dst_unused:UNUSED_PAD src0_sel:BYTE_3 src1_sel:DWORD
	v_cmpx_gt_u32_e32 8, v14
; %bb.1270:                             ;   in Loop: Header=BB198_800 Depth=1
	v_ffbh_u32_e32 v8, v6
	v_min_u32_e32 v8, 32, v8
	v_subrev_nc_u32_e32 v10, 28, v8
	v_sub_nc_u32_e32 v8, 29, v8
	v_lshlrev_b64 v[10:11], v10, v[6:7]
	v_and_b32_e32 v6, 7, v10
; %bb.1271:                             ;   in Loop: Header=BB198_800 Depth=1
	s_or_b32 exec_lo, exec_lo, s18
	v_mov_b32_e32 v10, 24
	v_lshlrev_b32_e32 v6, 20, v6
	v_lshl_add_u32 v8, v8, 23, 0x3c000000
	v_lshlrev_b32_sdwa v10, v10, v13 dst_sel:DWORD dst_unused:UNUSED_PAD src0_sel:DWORD src1_sel:BYTE_3
	v_and_b32_e32 v10, 0x80000000, v10
	v_or3_b32 v11, v6, v10, v8
	v_mov_b32_e32 v10, v7
.LBB198_1272:                           ;   in Loop: Header=BB198_800 Depth=1
	s_or_b32 exec_lo, exec_lo, s15
.LBB198_1273:                           ;   in Loop: Header=BB198_800 Depth=1
	s_or_b32 exec_lo, exec_lo, s9
.LBB198_1274:                           ;   in Loop: Header=BB198_800 Depth=1
	s_or_b32 exec_lo, exec_lo, s7
	v_or_b32_e32 v6, v20, v18
	v_or_b32_e32 v8, v19, v17
	;; [unrolled: 1-line block ×4, first 2 shown]
	v_mul_f32_e32 v120, v83, v6
	v_mul_f32_e32 v111, v67, v8
	;; [unrolled: 1-line block ×4, first 2 shown]
	s_and_saveexec_b32 s7, vcc_lo
	s_cbranch_execz .LBB198_1276
; %bb.1275:                             ;   in Loop: Header=BB198_800 Depth=1
	v_cmp_lt_i32_e64 s4, v101, v116
	v_cndmask_b32_e64 v111, 0, v111, s4
	v_cmp_lt_i32_e64 s4, v103, v116
	v_cndmask_b32_e64 v120, 0, v120, s4
	;; [unrolled: 2-line block ×4, first 2 shown]
.LBB198_1276:                           ;   in Loop: Header=BB198_800 Depth=1
	s_or_b32 exec_lo, exec_lo, s7
	flat_load_dword v13, v[0:1] offset:1792
	v_mov_b32_e32 v19, 0
	v_mov_b32_e32 v17, 0
	;; [unrolled: 1-line block ×4, first 2 shown]
	s_waitcnt vmcnt(0) lgkmcnt(0)
	v_cmp_ne_u16_sdwa s4, v13, v7 src0_sel:BYTE_0 src1_sel:DWORD
	s_and_saveexec_b32 s7, s4
	s_cbranch_execz .LBB198_1284
; %bb.1277:                             ;   in Loop: Header=BB198_800 Depth=1
	v_bfrev_b32_e32 v17, 1
	v_mov_b32_e32 v18, 0
	v_cmp_ne_u16_sdwa s4, v13, v68 src0_sel:BYTE_0 src1_sel:DWORD
	s_and_saveexec_b32 s9, s4
	s_cbranch_execz .LBB198_1283
; %bb.1278:                             ;   in Loop: Header=BB198_800 Depth=1
	v_mov_b32_e32 v17, 0x7f800001
	v_and_b32_e32 v10, 0x7f, v13
	v_mov_b32_e32 v18, 0
	s_mov_b32 s15, exec_lo
	v_cmpx_ne_u32_e32 0x7f, v10
	s_cbranch_execz .LBB198_1282
; %bb.1279:                             ;   in Loop: Header=BB198_800 Depth=1
	v_and_b32_e32 v6, 7, v13
	v_lshrrev_b32_e32 v8, 3, v10
	s_mov_b32 s18, exec_lo
	v_cmpx_gt_u32_e32 8, v10
; %bb.1280:                             ;   in Loop: Header=BB198_800 Depth=1
	v_ffbh_u32_e32 v8, v6
	v_min_u32_e32 v8, 32, v8
	v_subrev_nc_u32_e32 v10, 28, v8
	v_sub_nc_u32_e32 v8, 29, v8
	v_lshlrev_b64 v[10:11], v10, v[6:7]
	v_and_b32_e32 v6, 7, v10
; %bb.1281:                             ;   in Loop: Header=BB198_800 Depth=1
	s_or_b32 exec_lo, exec_lo, s18
	v_lshlrev_b32_e32 v10, 24, v13
	v_lshlrev_b32_e32 v6, 20, v6
	v_lshl_add_u32 v8, v8, 23, 0x3c000000
	v_and_b32_e32 v10, 0x80000000, v10
	v_or3_b32 v6, v6, v10, v8
	v_mov_b32_e32 v18, v7
	v_mov_b32_e32 v17, v6
.LBB198_1282:                           ;   in Loop: Header=BB198_800 Depth=1
	s_or_b32 exec_lo, exec_lo, s15
.LBB198_1283:                           ;   in Loop: Header=BB198_800 Depth=1
	s_or_b32 exec_lo, exec_lo, s9
.LBB198_1284:                           ;   in Loop: Header=BB198_800 Depth=1
	s_or_b32 exec_lo, exec_lo, s7
	v_cmp_ne_u16_sdwa s4, v13, v7 src0_sel:BYTE_1 src1_sel:DWORD
	s_and_saveexec_b32 s7, s4
	s_cbranch_execz .LBB198_1292
; %bb.1285:                             ;   in Loop: Header=BB198_800 Depth=1
	v_mov_b32_e32 v8, v7
	v_mov_b32_e32 v20, v9
	v_cmp_ne_u16_sdwa s4, v13, v68 src0_sel:BYTE_1 src1_sel:DWORD
	v_mov_b32_e32 v19, v8
	s_and_saveexec_b32 s9, s4
	s_cbranch_execz .LBB198_1291
; %bb.1286:                             ;   in Loop: Header=BB198_800 Depth=1
	v_and_b32_sdwa v6, v44, v13 dst_sel:DWORD dst_unused:UNUSED_PAD src0_sel:DWORD src1_sel:BYTE_1
	v_mov_b32_e32 v11, v7
	v_mov_b32_e32 v20, v12
	s_mov_b32 s15, exec_lo
	v_and_b32_e32 v10, 0x7f, v6
	v_mov_b32_e32 v19, v11
	v_cmpx_ne_u32_e32 0x7f, v10
	s_cbranch_execz .LBB198_1290
; %bb.1287:                             ;   in Loop: Header=BB198_800 Depth=1
	v_and_b32_e32 v6, 7, v6
	v_lshrrev_b32_e32 v8, 3, v10
	s_mov_b32 s18, exec_lo
	v_cmpx_gt_u32_e32 8, v10
; %bb.1288:                             ;   in Loop: Header=BB198_800 Depth=1
	v_ffbh_u32_e32 v8, v6
	v_min_u32_e32 v8, 32, v8
	v_subrev_nc_u32_e32 v10, 28, v8
	v_sub_nc_u32_e32 v8, 29, v8
	v_lshlrev_b64 v[10:11], v10, v[6:7]
	v_and_b32_e32 v6, 7, v10
; %bb.1289:                             ;   in Loop: Header=BB198_800 Depth=1
	s_or_b32 exec_lo, exec_lo, s18
	v_lshlrev_b32_e32 v10, 16, v13
	v_lshlrev_b32_e32 v6, 20, v6
	v_lshl_add_u32 v8, v8, 23, 0x3c000000
	v_mov_b32_e32 v19, v7
	v_and_b32_e32 v10, 0x80000000, v10
	v_or3_b32 v20, v6, v10, v8
.LBB198_1290:                           ;   in Loop: Header=BB198_800 Depth=1
	s_or_b32 exec_lo, exec_lo, s15
.LBB198_1291:                           ;   in Loop: Header=BB198_800 Depth=1
	s_or_b32 exec_lo, exec_lo, s9
.LBB198_1292:                           ;   in Loop: Header=BB198_800 Depth=1
	s_or_b32 exec_lo, exec_lo, s7
	v_mov_b32_e32 v10, 0
	v_mov_b32_e32 v21, 0
	v_and_b32_sdwa v6, v13, v70 dst_sel:DWORD dst_unused:UNUSED_PAD src0_sel:WORD_1 src1_sel:DWORD
	v_mov_b32_e32 v11, 0
	v_mov_b32_e32 v22, 0
	s_mov_b32 s7, exec_lo
	v_cmpx_ne_u16_e32 0, v6
	s_cbranch_execz .LBB198_1300
; %bb.1293:                             ;   in Loop: Header=BB198_800 Depth=1
	v_bfrev_b32_e32 v21, 1
	v_mov_b32_e32 v22, 0
	s_mov_b32 s9, exec_lo
	v_cmpx_ne_u16_e32 0x80, v6
	s_cbranch_execz .LBB198_1299
; %bb.1294:                             ;   in Loop: Header=BB198_800 Depth=1
	v_mov_b32_e32 v21, 0x7f800001
	v_bfe_u32 v14, v13, 16, 7
	v_mov_b32_e32 v22, 0
	s_mov_b32 s15, exec_lo
	v_cmpx_ne_u32_e32 0x7f, v14
	s_cbranch_execz .LBB198_1298
; %bb.1295:                             ;   in Loop: Header=BB198_800 Depth=1
	v_mov_b32_e32 v6, 7
	v_lshrrev_b32_e32 v8, 3, v14
	s_mov_b32 s18, exec_lo
	v_and_b32_sdwa v6, v13, v6 dst_sel:DWORD dst_unused:UNUSED_PAD src0_sel:WORD_1 src1_sel:DWORD
	v_cmpx_gt_u32_e32 8, v14
; %bb.1296:                             ;   in Loop: Header=BB198_800 Depth=1
	v_ffbh_u32_e32 v8, v6
	v_min_u32_e32 v8, 32, v8
	v_subrev_nc_u32_e32 v14, 28, v8
	v_sub_nc_u32_e32 v8, 29, v8
	v_lshlrev_b64 v[21:22], v14, v[6:7]
	v_and_b32_e32 v6, 7, v21
; %bb.1297:                             ;   in Loop: Header=BB198_800 Depth=1
	s_or_b32 exec_lo, exec_lo, s18
	v_mov_b32_e32 v14, 24
	v_lshlrev_b32_e32 v6, 20, v6
	v_lshl_add_u32 v8, v8, 23, 0x3c000000
	v_lshlrev_b32_sdwa v14, v14, v13 dst_sel:DWORD dst_unused:UNUSED_PAD src0_sel:DWORD src1_sel:WORD_1
	v_and_b32_e32 v14, 0x80000000, v14
	v_or3_b32 v6, v6, v14, v8
	v_mov_b32_e32 v22, v7
	v_mov_b32_e32 v21, v6
.LBB198_1298:                           ;   in Loop: Header=BB198_800 Depth=1
	s_or_b32 exec_lo, exec_lo, s15
.LBB198_1299:                           ;   in Loop: Header=BB198_800 Depth=1
	s_or_b32 exec_lo, exec_lo, s9
.LBB198_1300:                           ;   in Loop: Header=BB198_800 Depth=1
	s_or_b32 exec_lo, exec_lo, s7
	s_mov_b32 s7, exec_lo
	v_cmpx_lt_u32_e32 0xffffff, v13
	s_cbranch_execz .LBB198_1308
; %bb.1301:                             ;   in Loop: Header=BB198_800 Depth=1
	v_mov_b32_e32 v8, v7
	v_mov_b32_e32 v11, v9
	v_cmp_ne_u32_sdwa s4, v13, v68 src0_sel:BYTE_3 src1_sel:DWORD
	v_mov_b32_e32 v10, v8
	s_and_saveexec_b32 s9, s4
	s_cbranch_execz .LBB198_1307
; %bb.1302:                             ;   in Loop: Header=BB198_800 Depth=1
	v_mov_b32_e32 v11, v7
	v_bfe_u32 v14, v13, 24, 7
	s_mov_b32 s15, exec_lo
	v_mov_b32_e32 v10, v11
	v_mov_b32_e32 v11, v12
	v_cmpx_ne_u32_e32 0x7f, v14
	s_cbranch_execz .LBB198_1306
; %bb.1303:                             ;   in Loop: Header=BB198_800 Depth=1
	v_mov_b32_e32 v6, 7
	v_lshrrev_b32_e32 v8, 3, v14
	s_mov_b32 s18, exec_lo
	v_and_b32_sdwa v6, v13, v6 dst_sel:DWORD dst_unused:UNUSED_PAD src0_sel:BYTE_3 src1_sel:DWORD
	v_cmpx_gt_u32_e32 8, v14
; %bb.1304:                             ;   in Loop: Header=BB198_800 Depth=1
	v_ffbh_u32_e32 v8, v6
	v_min_u32_e32 v8, 32, v8
	v_subrev_nc_u32_e32 v10, 28, v8
	v_sub_nc_u32_e32 v8, 29, v8
	v_lshlrev_b64 v[10:11], v10, v[6:7]
	v_and_b32_e32 v6, 7, v10
; %bb.1305:                             ;   in Loop: Header=BB198_800 Depth=1
	s_or_b32 exec_lo, exec_lo, s18
	v_mov_b32_e32 v10, 24
	v_lshlrev_b32_e32 v6, 20, v6
	v_lshl_add_u32 v8, v8, 23, 0x3c000000
	v_lshlrev_b32_sdwa v10, v10, v13 dst_sel:DWORD dst_unused:UNUSED_PAD src0_sel:DWORD src1_sel:BYTE_3
	v_and_b32_e32 v10, 0x80000000, v10
	v_or3_b32 v11, v6, v10, v8
	v_mov_b32_e32 v10, v7
.LBB198_1306:                           ;   in Loop: Header=BB198_800 Depth=1
	s_or_b32 exec_lo, exec_lo, s15
.LBB198_1307:                           ;   in Loop: Header=BB198_800 Depth=1
	s_or_b32 exec_lo, exec_lo, s9
.LBB198_1308:                           ;   in Loop: Header=BB198_800 Depth=1
	s_or_b32 exec_lo, exec_lo, s7
	v_or_b32_e32 v6, v20, v18
	v_or_b32_e32 v8, v19, v17
	;; [unrolled: 1-line block ×4, first 2 shown]
	v_mul_f32_e32 v124, v83, v6
	v_mul_f32_e32 v123, v67, v8
	;; [unrolled: 1-line block ×4, first 2 shown]
	s_and_saveexec_b32 s7, vcc_lo
	s_cbranch_execz .LBB198_1310
; %bb.1309:                             ;   in Loop: Header=BB198_800 Depth=1
	v_cmp_lt_i32_e64 s4, v101, v116
	v_cndmask_b32_e64 v123, 0, v123, s4
	v_cmp_lt_i32_e64 s4, v103, v116
	v_cndmask_b32_e64 v124, 0, v124, s4
	;; [unrolled: 2-line block ×4, first 2 shown]
.LBB198_1310:                           ;   in Loop: Header=BB198_800 Depth=1
	s_or_b32 exec_lo, exec_lo, s7
	flat_load_dword v13, v[0:1] offset:1920
	v_mov_b32_e32 v19, 0
	v_mov_b32_e32 v17, 0
	;; [unrolled: 1-line block ×4, first 2 shown]
	s_waitcnt vmcnt(0) lgkmcnt(0)
	v_cmp_ne_u16_sdwa s4, v13, v7 src0_sel:BYTE_0 src1_sel:DWORD
	s_and_saveexec_b32 s7, s4
	s_cbranch_execz .LBB198_1318
; %bb.1311:                             ;   in Loop: Header=BB198_800 Depth=1
	v_bfrev_b32_e32 v17, 1
	v_mov_b32_e32 v18, 0
	v_cmp_ne_u16_sdwa s4, v13, v68 src0_sel:BYTE_0 src1_sel:DWORD
	s_and_saveexec_b32 s9, s4
	s_cbranch_execz .LBB198_1317
; %bb.1312:                             ;   in Loop: Header=BB198_800 Depth=1
	v_mov_b32_e32 v17, 0x7f800001
	v_and_b32_e32 v10, 0x7f, v13
	v_mov_b32_e32 v18, 0
	s_mov_b32 s15, exec_lo
	v_cmpx_ne_u32_e32 0x7f, v10
	s_cbranch_execz .LBB198_1316
; %bb.1313:                             ;   in Loop: Header=BB198_800 Depth=1
	v_and_b32_e32 v6, 7, v13
	v_lshrrev_b32_e32 v8, 3, v10
	s_mov_b32 s18, exec_lo
	v_cmpx_gt_u32_e32 8, v10
; %bb.1314:                             ;   in Loop: Header=BB198_800 Depth=1
	v_ffbh_u32_e32 v8, v6
	v_min_u32_e32 v8, 32, v8
	v_subrev_nc_u32_e32 v10, 28, v8
	v_sub_nc_u32_e32 v8, 29, v8
	v_lshlrev_b64 v[10:11], v10, v[6:7]
	v_and_b32_e32 v6, 7, v10
; %bb.1315:                             ;   in Loop: Header=BB198_800 Depth=1
	s_or_b32 exec_lo, exec_lo, s18
	v_lshlrev_b32_e32 v10, 24, v13
	v_lshlrev_b32_e32 v6, 20, v6
	v_lshl_add_u32 v8, v8, 23, 0x3c000000
	v_and_b32_e32 v10, 0x80000000, v10
	v_or3_b32 v6, v6, v10, v8
	v_mov_b32_e32 v18, v7
	v_mov_b32_e32 v17, v6
.LBB198_1316:                           ;   in Loop: Header=BB198_800 Depth=1
	s_or_b32 exec_lo, exec_lo, s15
.LBB198_1317:                           ;   in Loop: Header=BB198_800 Depth=1
	s_or_b32 exec_lo, exec_lo, s9
.LBB198_1318:                           ;   in Loop: Header=BB198_800 Depth=1
	s_or_b32 exec_lo, exec_lo, s7
	v_cmp_ne_u16_sdwa s4, v13, v7 src0_sel:BYTE_1 src1_sel:DWORD
	s_and_saveexec_b32 s7, s4
	s_cbranch_execz .LBB198_1326
; %bb.1319:                             ;   in Loop: Header=BB198_800 Depth=1
	v_mov_b32_e32 v8, v7
	v_mov_b32_e32 v20, v9
	v_cmp_ne_u16_sdwa s4, v13, v68 src0_sel:BYTE_1 src1_sel:DWORD
	v_mov_b32_e32 v19, v8
	s_and_saveexec_b32 s9, s4
	s_cbranch_execz .LBB198_1325
; %bb.1320:                             ;   in Loop: Header=BB198_800 Depth=1
	v_and_b32_sdwa v6, v44, v13 dst_sel:DWORD dst_unused:UNUSED_PAD src0_sel:DWORD src1_sel:BYTE_1
	v_mov_b32_e32 v11, v7
	v_mov_b32_e32 v20, v12
	s_mov_b32 s15, exec_lo
	v_and_b32_e32 v10, 0x7f, v6
	v_mov_b32_e32 v19, v11
	v_cmpx_ne_u32_e32 0x7f, v10
	s_cbranch_execz .LBB198_1324
; %bb.1321:                             ;   in Loop: Header=BB198_800 Depth=1
	v_and_b32_e32 v6, 7, v6
	v_lshrrev_b32_e32 v8, 3, v10
	s_mov_b32 s18, exec_lo
	v_cmpx_gt_u32_e32 8, v10
; %bb.1322:                             ;   in Loop: Header=BB198_800 Depth=1
	v_ffbh_u32_e32 v8, v6
	v_min_u32_e32 v8, 32, v8
	v_subrev_nc_u32_e32 v10, 28, v8
	v_sub_nc_u32_e32 v8, 29, v8
	v_lshlrev_b64 v[10:11], v10, v[6:7]
	v_and_b32_e32 v6, 7, v10
; %bb.1323:                             ;   in Loop: Header=BB198_800 Depth=1
	s_or_b32 exec_lo, exec_lo, s18
	v_lshlrev_b32_e32 v10, 16, v13
	v_lshlrev_b32_e32 v6, 20, v6
	v_lshl_add_u32 v8, v8, 23, 0x3c000000
	v_mov_b32_e32 v19, v7
	v_and_b32_e32 v10, 0x80000000, v10
	v_or3_b32 v20, v6, v10, v8
.LBB198_1324:                           ;   in Loop: Header=BB198_800 Depth=1
	s_or_b32 exec_lo, exec_lo, s15
.LBB198_1325:                           ;   in Loop: Header=BB198_800 Depth=1
	s_or_b32 exec_lo, exec_lo, s9
.LBB198_1326:                           ;   in Loop: Header=BB198_800 Depth=1
	s_or_b32 exec_lo, exec_lo, s7
	v_mov_b32_e32 v10, 0
	v_mov_b32_e32 v21, 0
	v_and_b32_sdwa v6, v13, v70 dst_sel:DWORD dst_unused:UNUSED_PAD src0_sel:WORD_1 src1_sel:DWORD
	v_mov_b32_e32 v11, 0
	v_mov_b32_e32 v22, 0
	s_mov_b32 s7, exec_lo
	v_cmpx_ne_u16_e32 0, v6
	s_cbranch_execz .LBB198_1334
; %bb.1327:                             ;   in Loop: Header=BB198_800 Depth=1
	v_bfrev_b32_e32 v21, 1
	v_mov_b32_e32 v22, 0
	s_mov_b32 s9, exec_lo
	v_cmpx_ne_u16_e32 0x80, v6
	s_cbranch_execz .LBB198_1333
; %bb.1328:                             ;   in Loop: Header=BB198_800 Depth=1
	v_mov_b32_e32 v21, 0x7f800001
	v_bfe_u32 v14, v13, 16, 7
	v_mov_b32_e32 v22, 0
	s_mov_b32 s15, exec_lo
	v_cmpx_ne_u32_e32 0x7f, v14
	s_cbranch_execz .LBB198_1332
; %bb.1329:                             ;   in Loop: Header=BB198_800 Depth=1
	v_mov_b32_e32 v6, 7
	v_lshrrev_b32_e32 v8, 3, v14
	s_mov_b32 s18, exec_lo
	v_and_b32_sdwa v6, v13, v6 dst_sel:DWORD dst_unused:UNUSED_PAD src0_sel:WORD_1 src1_sel:DWORD
	v_cmpx_gt_u32_e32 8, v14
; %bb.1330:                             ;   in Loop: Header=BB198_800 Depth=1
	v_ffbh_u32_e32 v8, v6
	v_min_u32_e32 v8, 32, v8
	v_subrev_nc_u32_e32 v14, 28, v8
	v_sub_nc_u32_e32 v8, 29, v8
	v_lshlrev_b64 v[21:22], v14, v[6:7]
	v_and_b32_e32 v6, 7, v21
; %bb.1331:                             ;   in Loop: Header=BB198_800 Depth=1
	s_or_b32 exec_lo, exec_lo, s18
	v_mov_b32_e32 v14, 24
	v_lshlrev_b32_e32 v6, 20, v6
	v_lshl_add_u32 v8, v8, 23, 0x3c000000
	v_lshlrev_b32_sdwa v14, v14, v13 dst_sel:DWORD dst_unused:UNUSED_PAD src0_sel:DWORD src1_sel:WORD_1
	v_and_b32_e32 v14, 0x80000000, v14
	v_or3_b32 v6, v6, v14, v8
	v_mov_b32_e32 v22, v7
	v_mov_b32_e32 v21, v6
.LBB198_1332:                           ;   in Loop: Header=BB198_800 Depth=1
	s_or_b32 exec_lo, exec_lo, s15
.LBB198_1333:                           ;   in Loop: Header=BB198_800 Depth=1
	s_or_b32 exec_lo, exec_lo, s9
.LBB198_1334:                           ;   in Loop: Header=BB198_800 Depth=1
	s_or_b32 exec_lo, exec_lo, s7
	s_mov_b32 s7, exec_lo
	v_cmpx_lt_u32_e32 0xffffff, v13
	s_cbranch_execz .LBB198_1342
; %bb.1335:                             ;   in Loop: Header=BB198_800 Depth=1
	v_mov_b32_e32 v8, v7
	v_mov_b32_e32 v11, v9
	v_cmp_ne_u32_sdwa s4, v13, v68 src0_sel:BYTE_3 src1_sel:DWORD
	v_mov_b32_e32 v10, v8
	s_and_saveexec_b32 s9, s4
	s_cbranch_execz .LBB198_1341
; %bb.1336:                             ;   in Loop: Header=BB198_800 Depth=1
	v_mov_b32_e32 v11, v7
	v_bfe_u32 v14, v13, 24, 7
	s_mov_b32 s15, exec_lo
	v_mov_b32_e32 v10, v11
	v_mov_b32_e32 v11, v12
	v_cmpx_ne_u32_e32 0x7f, v14
	s_cbranch_execz .LBB198_1340
; %bb.1337:                             ;   in Loop: Header=BB198_800 Depth=1
	v_mov_b32_e32 v6, 7
	v_lshrrev_b32_e32 v8, 3, v14
	s_mov_b32 s18, exec_lo
	v_and_b32_sdwa v6, v13, v6 dst_sel:DWORD dst_unused:UNUSED_PAD src0_sel:BYTE_3 src1_sel:DWORD
	v_cmpx_gt_u32_e32 8, v14
; %bb.1338:                             ;   in Loop: Header=BB198_800 Depth=1
	v_ffbh_u32_e32 v8, v6
	v_min_u32_e32 v8, 32, v8
	v_subrev_nc_u32_e32 v10, 28, v8
	v_sub_nc_u32_e32 v8, 29, v8
	v_lshlrev_b64 v[10:11], v10, v[6:7]
	v_and_b32_e32 v6, 7, v10
; %bb.1339:                             ;   in Loop: Header=BB198_800 Depth=1
	s_or_b32 exec_lo, exec_lo, s18
	v_mov_b32_e32 v10, 24
	v_lshlrev_b32_e32 v6, 20, v6
	v_lshl_add_u32 v8, v8, 23, 0x3c000000
	v_lshlrev_b32_sdwa v10, v10, v13 dst_sel:DWORD dst_unused:UNUSED_PAD src0_sel:DWORD src1_sel:BYTE_3
	v_and_b32_e32 v10, 0x80000000, v10
	v_or3_b32 v11, v6, v10, v8
	v_mov_b32_e32 v10, v7
.LBB198_1340:                           ;   in Loop: Header=BB198_800 Depth=1
	s_or_b32 exec_lo, exec_lo, s15
.LBB198_1341:                           ;   in Loop: Header=BB198_800 Depth=1
	s_or_b32 exec_lo, exec_lo, s9
.LBB198_1342:                           ;   in Loop: Header=BB198_800 Depth=1
	s_or_b32 exec_lo, exec_lo, s7
	v_or_b32_e32 v6, v20, v18
	v_or_b32_e32 v8, v19, v17
	;; [unrolled: 1-line block ×4, first 2 shown]
	v_mul_f32_e32 v127, v83, v6
	v_mul_f32_e32 v26, v67, v8
	;; [unrolled: 1-line block ×4, first 2 shown]
	s_and_saveexec_b32 s7, vcc_lo
	s_cbranch_execz .LBB198_1344
; %bb.1343:                             ;   in Loop: Header=BB198_800 Depth=1
	v_cmp_lt_i32_e64 s4, v101, v116
	v_cndmask_b32_e64 v26, 0, v26, s4
	v_cmp_lt_i32_e64 s4, v103, v116
	v_cndmask_b32_e64 v127, 0, v127, s4
	;; [unrolled: 2-line block ×4, first 2 shown]
.LBB198_1344:                           ;   in Loop: Header=BB198_800 Depth=1
	s_or_b32 exec_lo, exec_lo, s7
	v_add_co_u32 v0, s4, 0x800, v0
	v_add_co_ci_u32_e64 v1, null, 0, v1, s4
	v_mov_b32_e32 v19, 0
	v_mov_b32_e32 v17, 0
	;; [unrolled: 1-line block ×3, first 2 shown]
	flat_load_dword v13, v[0:1]
	v_mov_b32_e32 v18, 0
	s_waitcnt vmcnt(0) lgkmcnt(0)
	v_cmp_ne_u16_sdwa s4, v13, v7 src0_sel:BYTE_0 src1_sel:DWORD
	s_and_saveexec_b32 s7, s4
	s_cbranch_execz .LBB198_1352
; %bb.1345:                             ;   in Loop: Header=BB198_800 Depth=1
	v_bfrev_b32_e32 v17, 1
	v_mov_b32_e32 v18, 0
	v_cmp_ne_u16_sdwa s4, v13, v68 src0_sel:BYTE_0 src1_sel:DWORD
	s_and_saveexec_b32 s9, s4
	s_cbranch_execz .LBB198_1351
; %bb.1346:                             ;   in Loop: Header=BB198_800 Depth=1
	v_mov_b32_e32 v17, 0x7f800001
	v_and_b32_e32 v10, 0x7f, v13
	v_mov_b32_e32 v18, 0
	s_mov_b32 s15, exec_lo
	v_cmpx_ne_u32_e32 0x7f, v10
	s_cbranch_execz .LBB198_1350
; %bb.1347:                             ;   in Loop: Header=BB198_800 Depth=1
	v_and_b32_e32 v6, 7, v13
	v_lshrrev_b32_e32 v8, 3, v10
	s_mov_b32 s18, exec_lo
	v_cmpx_gt_u32_e32 8, v10
; %bb.1348:                             ;   in Loop: Header=BB198_800 Depth=1
	v_ffbh_u32_e32 v8, v6
	v_min_u32_e32 v8, 32, v8
	v_subrev_nc_u32_e32 v10, 28, v8
	v_sub_nc_u32_e32 v8, 29, v8
	v_lshlrev_b64 v[10:11], v10, v[6:7]
	v_and_b32_e32 v6, 7, v10
; %bb.1349:                             ;   in Loop: Header=BB198_800 Depth=1
	s_or_b32 exec_lo, exec_lo, s18
	v_lshlrev_b32_e32 v10, 24, v13
	v_lshlrev_b32_e32 v6, 20, v6
	v_lshl_add_u32 v8, v8, 23, 0x3c000000
	v_and_b32_e32 v10, 0x80000000, v10
	v_or3_b32 v6, v6, v10, v8
	v_mov_b32_e32 v18, v7
	v_mov_b32_e32 v17, v6
.LBB198_1350:                           ;   in Loop: Header=BB198_800 Depth=1
	s_or_b32 exec_lo, exec_lo, s15
.LBB198_1351:                           ;   in Loop: Header=BB198_800 Depth=1
	s_or_b32 exec_lo, exec_lo, s9
.LBB198_1352:                           ;   in Loop: Header=BB198_800 Depth=1
	s_or_b32 exec_lo, exec_lo, s7
	v_cmp_ne_u16_sdwa s4, v13, v7 src0_sel:BYTE_1 src1_sel:DWORD
	s_and_saveexec_b32 s7, s4
	s_cbranch_execz .LBB198_1360
; %bb.1353:                             ;   in Loop: Header=BB198_800 Depth=1
	v_mov_b32_e32 v8, v7
	v_mov_b32_e32 v20, v9
	v_cmp_ne_u16_sdwa s4, v13, v68 src0_sel:BYTE_1 src1_sel:DWORD
	v_mov_b32_e32 v19, v8
	s_and_saveexec_b32 s9, s4
	s_cbranch_execz .LBB198_1359
; %bb.1354:                             ;   in Loop: Header=BB198_800 Depth=1
	v_and_b32_sdwa v6, v44, v13 dst_sel:DWORD dst_unused:UNUSED_PAD src0_sel:DWORD src1_sel:BYTE_1
	v_mov_b32_e32 v11, v7
	v_mov_b32_e32 v20, v12
	s_mov_b32 s15, exec_lo
	v_and_b32_e32 v10, 0x7f, v6
	v_mov_b32_e32 v19, v11
	v_cmpx_ne_u32_e32 0x7f, v10
	s_cbranch_execz .LBB198_1358
; %bb.1355:                             ;   in Loop: Header=BB198_800 Depth=1
	v_and_b32_e32 v6, 7, v6
	v_lshrrev_b32_e32 v8, 3, v10
	s_mov_b32 s18, exec_lo
	v_cmpx_gt_u32_e32 8, v10
; %bb.1356:                             ;   in Loop: Header=BB198_800 Depth=1
	v_ffbh_u32_e32 v8, v6
	v_min_u32_e32 v8, 32, v8
	v_subrev_nc_u32_e32 v10, 28, v8
	v_sub_nc_u32_e32 v8, 29, v8
	v_lshlrev_b64 v[10:11], v10, v[6:7]
	v_and_b32_e32 v6, 7, v10
; %bb.1357:                             ;   in Loop: Header=BB198_800 Depth=1
	s_or_b32 exec_lo, exec_lo, s18
	v_lshlrev_b32_e32 v10, 16, v13
	v_lshlrev_b32_e32 v6, 20, v6
	v_lshl_add_u32 v8, v8, 23, 0x3c000000
	v_mov_b32_e32 v19, v7
	v_and_b32_e32 v10, 0x80000000, v10
	v_or3_b32 v20, v6, v10, v8
.LBB198_1358:                           ;   in Loop: Header=BB198_800 Depth=1
	s_or_b32 exec_lo, exec_lo, s15
.LBB198_1359:                           ;   in Loop: Header=BB198_800 Depth=1
	s_or_b32 exec_lo, exec_lo, s9
.LBB198_1360:                           ;   in Loop: Header=BB198_800 Depth=1
	s_or_b32 exec_lo, exec_lo, s7
	v_mov_b32_e32 v10, 0
	v_mov_b32_e32 v21, 0
	v_and_b32_sdwa v6, v13, v70 dst_sel:DWORD dst_unused:UNUSED_PAD src0_sel:WORD_1 src1_sel:DWORD
	v_mov_b32_e32 v11, 0
	v_mov_b32_e32 v22, 0
	s_mov_b32 s7, exec_lo
	v_cmpx_ne_u16_e32 0, v6
	s_cbranch_execz .LBB198_1368
; %bb.1361:                             ;   in Loop: Header=BB198_800 Depth=1
	v_bfrev_b32_e32 v21, 1
	v_mov_b32_e32 v22, 0
	s_mov_b32 s9, exec_lo
	v_cmpx_ne_u16_e32 0x80, v6
	s_cbranch_execz .LBB198_1367
; %bb.1362:                             ;   in Loop: Header=BB198_800 Depth=1
	v_mov_b32_e32 v21, 0x7f800001
	v_bfe_u32 v14, v13, 16, 7
	v_mov_b32_e32 v22, 0
	s_mov_b32 s15, exec_lo
	v_cmpx_ne_u32_e32 0x7f, v14
	s_cbranch_execz .LBB198_1366
; %bb.1363:                             ;   in Loop: Header=BB198_800 Depth=1
	v_mov_b32_e32 v6, 7
	v_lshrrev_b32_e32 v8, 3, v14
	s_mov_b32 s18, exec_lo
	v_and_b32_sdwa v6, v13, v6 dst_sel:DWORD dst_unused:UNUSED_PAD src0_sel:WORD_1 src1_sel:DWORD
	v_cmpx_gt_u32_e32 8, v14
; %bb.1364:                             ;   in Loop: Header=BB198_800 Depth=1
	v_ffbh_u32_e32 v8, v6
	v_min_u32_e32 v8, 32, v8
	v_subrev_nc_u32_e32 v14, 28, v8
	v_sub_nc_u32_e32 v8, 29, v8
	v_lshlrev_b64 v[21:22], v14, v[6:7]
	v_and_b32_e32 v6, 7, v21
; %bb.1365:                             ;   in Loop: Header=BB198_800 Depth=1
	s_or_b32 exec_lo, exec_lo, s18
	v_mov_b32_e32 v14, 24
	v_lshlrev_b32_e32 v6, 20, v6
	v_lshl_add_u32 v8, v8, 23, 0x3c000000
	v_lshlrev_b32_sdwa v14, v14, v13 dst_sel:DWORD dst_unused:UNUSED_PAD src0_sel:DWORD src1_sel:WORD_1
	v_and_b32_e32 v14, 0x80000000, v14
	v_or3_b32 v6, v6, v14, v8
	v_mov_b32_e32 v22, v7
	v_mov_b32_e32 v21, v6
.LBB198_1366:                           ;   in Loop: Header=BB198_800 Depth=1
	s_or_b32 exec_lo, exec_lo, s15
.LBB198_1367:                           ;   in Loop: Header=BB198_800 Depth=1
	s_or_b32 exec_lo, exec_lo, s9
.LBB198_1368:                           ;   in Loop: Header=BB198_800 Depth=1
	s_or_b32 exec_lo, exec_lo, s7
	s_mov_b32 s7, exec_lo
	v_cmpx_lt_u32_e32 0xffffff, v13
	s_cbranch_execz .LBB198_1376
; %bb.1369:                             ;   in Loop: Header=BB198_800 Depth=1
	v_mov_b32_e32 v8, v7
	v_mov_b32_e32 v11, v9
	v_cmp_ne_u32_sdwa s4, v13, v68 src0_sel:BYTE_3 src1_sel:DWORD
	v_mov_b32_e32 v10, v8
	s_and_saveexec_b32 s9, s4
	s_cbranch_execz .LBB198_1375
; %bb.1370:                             ;   in Loop: Header=BB198_800 Depth=1
	v_mov_b32_e32 v11, v7
	v_bfe_u32 v14, v13, 24, 7
	s_mov_b32 s15, exec_lo
	v_mov_b32_e32 v10, v11
	v_mov_b32_e32 v11, v12
	v_cmpx_ne_u32_e32 0x7f, v14
	s_cbranch_execz .LBB198_1374
; %bb.1371:                             ;   in Loop: Header=BB198_800 Depth=1
	v_mov_b32_e32 v6, 7
	v_lshrrev_b32_e32 v8, 3, v14
	s_mov_b32 s18, exec_lo
	v_and_b32_sdwa v6, v13, v6 dst_sel:DWORD dst_unused:UNUSED_PAD src0_sel:BYTE_3 src1_sel:DWORD
	v_cmpx_gt_u32_e32 8, v14
; %bb.1372:                             ;   in Loop: Header=BB198_800 Depth=1
	v_ffbh_u32_e32 v8, v6
	v_min_u32_e32 v8, 32, v8
	v_subrev_nc_u32_e32 v10, 28, v8
	v_sub_nc_u32_e32 v8, 29, v8
	v_lshlrev_b64 v[10:11], v10, v[6:7]
	v_and_b32_e32 v6, 7, v10
; %bb.1373:                             ;   in Loop: Header=BB198_800 Depth=1
	s_or_b32 exec_lo, exec_lo, s18
	v_mov_b32_e32 v10, 24
	v_lshlrev_b32_e32 v6, 20, v6
	v_lshl_add_u32 v8, v8, 23, 0x3c000000
	v_lshlrev_b32_sdwa v10, v10, v13 dst_sel:DWORD dst_unused:UNUSED_PAD src0_sel:DWORD src1_sel:BYTE_3
	v_and_b32_e32 v10, 0x80000000, v10
	v_or3_b32 v11, v6, v10, v8
	v_mov_b32_e32 v10, v7
.LBB198_1374:                           ;   in Loop: Header=BB198_800 Depth=1
	s_or_b32 exec_lo, exec_lo, s15
.LBB198_1375:                           ;   in Loop: Header=BB198_800 Depth=1
	s_or_b32 exec_lo, exec_lo, s9
.LBB198_1376:                           ;   in Loop: Header=BB198_800 Depth=1
	s_or_b32 exec_lo, exec_lo, s7
	v_or_b32_e32 v6, v20, v18
	v_or_b32_e32 v8, v19, v17
	;; [unrolled: 1-line block ×4, first 2 shown]
	v_mul_f32_e32 v14, v83, v6
	v_mul_f32_e32 v23, v67, v8
	;; [unrolled: 1-line block ×4, first 2 shown]
	s_and_saveexec_b32 s7, vcc_lo
	s_cbranch_execz .LBB198_1378
; %bb.1377:                             ;   in Loop: Header=BB198_800 Depth=1
	v_cmp_lt_i32_e64 s4, v101, v116
	v_cndmask_b32_e64 v23, 0, v23, s4
	v_cmp_lt_i32_e64 s4, v103, v116
	v_cndmask_b32_e64 v14, 0, v14, s4
	;; [unrolled: 2-line block ×4, first 2 shown]
.LBB198_1378:                           ;   in Loop: Header=BB198_800 Depth=1
	s_or_b32 exec_lo, exec_lo, s7
	flat_load_dword v25, v[0:1] offset:128
	v_mov_b32_e32 v19, 0
	v_mov_b32_e32 v17, 0
	;; [unrolled: 1-line block ×4, first 2 shown]
	s_waitcnt vmcnt(0) lgkmcnt(0)
	v_cmp_ne_u16_sdwa s4, v25, v7 src0_sel:BYTE_0 src1_sel:DWORD
	s_and_saveexec_b32 s7, s4
	s_cbranch_execz .LBB198_1386
; %bb.1379:                             ;   in Loop: Header=BB198_800 Depth=1
	v_bfrev_b32_e32 v17, 1
	v_mov_b32_e32 v18, 0
	v_cmp_ne_u16_sdwa s4, v25, v68 src0_sel:BYTE_0 src1_sel:DWORD
	s_and_saveexec_b32 s9, s4
	s_cbranch_execz .LBB198_1385
; %bb.1380:                             ;   in Loop: Header=BB198_800 Depth=1
	v_mov_b32_e32 v17, 0x7f800001
	v_and_b32_e32 v10, 0x7f, v25
	v_mov_b32_e32 v18, 0
	s_mov_b32 s15, exec_lo
	v_cmpx_ne_u32_e32 0x7f, v10
	s_cbranch_execz .LBB198_1384
; %bb.1381:                             ;   in Loop: Header=BB198_800 Depth=1
	v_and_b32_e32 v6, 7, v25
	v_lshrrev_b32_e32 v8, 3, v10
	s_mov_b32 s18, exec_lo
	v_cmpx_gt_u32_e32 8, v10
; %bb.1382:                             ;   in Loop: Header=BB198_800 Depth=1
	v_ffbh_u32_e32 v8, v6
	v_min_u32_e32 v8, 32, v8
	v_subrev_nc_u32_e32 v10, 28, v8
	v_sub_nc_u32_e32 v8, 29, v8
	v_lshlrev_b64 v[10:11], v10, v[6:7]
	v_and_b32_e32 v6, 7, v10
; %bb.1383:                             ;   in Loop: Header=BB198_800 Depth=1
	s_or_b32 exec_lo, exec_lo, s18
	v_lshlrev_b32_e32 v10, 24, v25
	v_lshlrev_b32_e32 v6, 20, v6
	v_lshl_add_u32 v8, v8, 23, 0x3c000000
	v_and_b32_e32 v10, 0x80000000, v10
	v_or3_b32 v6, v6, v10, v8
	v_mov_b32_e32 v18, v7
	v_mov_b32_e32 v17, v6
.LBB198_1384:                           ;   in Loop: Header=BB198_800 Depth=1
	s_or_b32 exec_lo, exec_lo, s15
.LBB198_1385:                           ;   in Loop: Header=BB198_800 Depth=1
	s_or_b32 exec_lo, exec_lo, s9
.LBB198_1386:                           ;   in Loop: Header=BB198_800 Depth=1
	s_or_b32 exec_lo, exec_lo, s7
	v_cmp_ne_u16_sdwa s4, v25, v7 src0_sel:BYTE_1 src1_sel:DWORD
	s_and_saveexec_b32 s7, s4
	s_cbranch_execz .LBB198_1394
; %bb.1387:                             ;   in Loop: Header=BB198_800 Depth=1
	v_mov_b32_e32 v8, v7
	v_mov_b32_e32 v20, v9
	v_cmp_ne_u16_sdwa s4, v25, v68 src0_sel:BYTE_1 src1_sel:DWORD
	v_mov_b32_e32 v19, v8
	s_and_saveexec_b32 s9, s4
	s_cbranch_execz .LBB198_1393
; %bb.1388:                             ;   in Loop: Header=BB198_800 Depth=1
	v_and_b32_sdwa v6, v44, v25 dst_sel:DWORD dst_unused:UNUSED_PAD src0_sel:DWORD src1_sel:BYTE_1
	v_mov_b32_e32 v11, v7
	v_mov_b32_e32 v20, v12
	s_mov_b32 s15, exec_lo
	v_and_b32_e32 v10, 0x7f, v6
	v_mov_b32_e32 v19, v11
	v_cmpx_ne_u32_e32 0x7f, v10
	s_cbranch_execz .LBB198_1392
; %bb.1389:                             ;   in Loop: Header=BB198_800 Depth=1
	v_and_b32_e32 v6, 7, v6
	v_lshrrev_b32_e32 v8, 3, v10
	s_mov_b32 s18, exec_lo
	v_cmpx_gt_u32_e32 8, v10
; %bb.1390:                             ;   in Loop: Header=BB198_800 Depth=1
	v_ffbh_u32_e32 v8, v6
	v_min_u32_e32 v8, 32, v8
	v_subrev_nc_u32_e32 v10, 28, v8
	v_sub_nc_u32_e32 v8, 29, v8
	v_lshlrev_b64 v[10:11], v10, v[6:7]
	v_and_b32_e32 v6, 7, v10
; %bb.1391:                             ;   in Loop: Header=BB198_800 Depth=1
	s_or_b32 exec_lo, exec_lo, s18
	v_lshlrev_b32_e32 v10, 16, v25
	v_lshlrev_b32_e32 v6, 20, v6
	v_lshl_add_u32 v8, v8, 23, 0x3c000000
	v_mov_b32_e32 v19, v7
	v_and_b32_e32 v10, 0x80000000, v10
	v_or3_b32 v20, v6, v10, v8
.LBB198_1392:                           ;   in Loop: Header=BB198_800 Depth=1
	s_or_b32 exec_lo, exec_lo, s15
.LBB198_1393:                           ;   in Loop: Header=BB198_800 Depth=1
	s_or_b32 exec_lo, exec_lo, s9
.LBB198_1394:                           ;   in Loop: Header=BB198_800 Depth=1
	s_or_b32 exec_lo, exec_lo, s7
	v_mov_b32_e32 v10, 0
	v_mov_b32_e32 v21, 0
	v_and_b32_sdwa v6, v25, v70 dst_sel:DWORD dst_unused:UNUSED_PAD src0_sel:WORD_1 src1_sel:DWORD
	v_mov_b32_e32 v11, 0
	v_mov_b32_e32 v22, 0
	s_mov_b32 s7, exec_lo
	v_cmpx_ne_u16_e32 0, v6
	s_cbranch_execz .LBB198_1402
; %bb.1395:                             ;   in Loop: Header=BB198_800 Depth=1
	v_bfrev_b32_e32 v21, 1
	v_mov_b32_e32 v22, 0
	s_mov_b32 s9, exec_lo
	v_cmpx_ne_u16_e32 0x80, v6
	s_cbranch_execz .LBB198_1401
; %bb.1396:                             ;   in Loop: Header=BB198_800 Depth=1
	v_mov_b32_e32 v21, 0x7f800001
	v_bfe_u32 v69, v25, 16, 7
	v_mov_b32_e32 v22, 0
	s_mov_b32 s15, exec_lo
	v_cmpx_ne_u32_e32 0x7f, v69
	s_cbranch_execz .LBB198_1400
; %bb.1397:                             ;   in Loop: Header=BB198_800 Depth=1
	v_mov_b32_e32 v6, 7
	v_lshrrev_b32_e32 v8, 3, v69
	s_mov_b32 s18, exec_lo
	v_and_b32_sdwa v6, v25, v6 dst_sel:DWORD dst_unused:UNUSED_PAD src0_sel:WORD_1 src1_sel:DWORD
	v_cmpx_gt_u32_e32 8, v69
; %bb.1398:                             ;   in Loop: Header=BB198_800 Depth=1
	v_ffbh_u32_e32 v8, v6
	v_min_u32_e32 v8, 32, v8
	v_subrev_nc_u32_e32 v21, 28, v8
	v_sub_nc_u32_e32 v8, 29, v8
	v_lshlrev_b64 v[21:22], v21, v[6:7]
	v_and_b32_e32 v6, 7, v21
; %bb.1399:                             ;   in Loop: Header=BB198_800 Depth=1
	s_or_b32 exec_lo, exec_lo, s18
	v_mov_b32_e32 v21, 24
	v_lshlrev_b32_e32 v6, 20, v6
	v_lshl_add_u32 v8, v8, 23, 0x3c000000
	v_lshlrev_b32_sdwa v21, v21, v25 dst_sel:DWORD dst_unused:UNUSED_PAD src0_sel:DWORD src1_sel:WORD_1
	v_and_b32_e32 v21, 0x80000000, v21
	v_or3_b32 v6, v6, v21, v8
	v_mov_b32_e32 v22, v7
	v_mov_b32_e32 v21, v6
.LBB198_1400:                           ;   in Loop: Header=BB198_800 Depth=1
	s_or_b32 exec_lo, exec_lo, s15
.LBB198_1401:                           ;   in Loop: Header=BB198_800 Depth=1
	s_or_b32 exec_lo, exec_lo, s9
.LBB198_1402:                           ;   in Loop: Header=BB198_800 Depth=1
	s_or_b32 exec_lo, exec_lo, s7
	s_mov_b32 s7, exec_lo
	v_cmpx_lt_u32_e32 0xffffff, v25
	s_cbranch_execz .LBB198_1410
; %bb.1403:                             ;   in Loop: Header=BB198_800 Depth=1
	v_mov_b32_e32 v8, v7
	v_mov_b32_e32 v11, v9
	v_cmp_ne_u32_sdwa s4, v25, v68 src0_sel:BYTE_3 src1_sel:DWORD
	v_mov_b32_e32 v10, v8
	s_and_saveexec_b32 s9, s4
	s_cbranch_execz .LBB198_1409
; %bb.1404:                             ;   in Loop: Header=BB198_800 Depth=1
	v_mov_b32_e32 v11, v7
	v_bfe_u32 v69, v25, 24, 7
	s_mov_b32 s15, exec_lo
	v_mov_b32_e32 v10, v11
	v_mov_b32_e32 v11, v12
	v_cmpx_ne_u32_e32 0x7f, v69
	s_cbranch_execz .LBB198_1408
; %bb.1405:                             ;   in Loop: Header=BB198_800 Depth=1
	v_mov_b32_e32 v6, 7
	v_lshrrev_b32_e32 v8, 3, v69
	s_mov_b32 s18, exec_lo
	v_and_b32_sdwa v6, v25, v6 dst_sel:DWORD dst_unused:UNUSED_PAD src0_sel:BYTE_3 src1_sel:DWORD
	v_cmpx_gt_u32_e32 8, v69
; %bb.1406:                             ;   in Loop: Header=BB198_800 Depth=1
	v_ffbh_u32_e32 v8, v6
	v_min_u32_e32 v8, 32, v8
	v_subrev_nc_u32_e32 v10, 28, v8
	v_sub_nc_u32_e32 v8, 29, v8
	v_lshlrev_b64 v[10:11], v10, v[6:7]
	v_and_b32_e32 v6, 7, v10
; %bb.1407:                             ;   in Loop: Header=BB198_800 Depth=1
	s_or_b32 exec_lo, exec_lo, s18
	v_mov_b32_e32 v10, 24
	v_lshlrev_b32_e32 v6, 20, v6
	v_lshl_add_u32 v8, v8, 23, 0x3c000000
	v_lshlrev_b32_sdwa v10, v10, v25 dst_sel:DWORD dst_unused:UNUSED_PAD src0_sel:DWORD src1_sel:BYTE_3
	v_and_b32_e32 v10, 0x80000000, v10
	v_or3_b32 v11, v6, v10, v8
	v_mov_b32_e32 v10, v7
.LBB198_1408:                           ;   in Loop: Header=BB198_800 Depth=1
	s_or_b32 exec_lo, exec_lo, s15
.LBB198_1409:                           ;   in Loop: Header=BB198_800 Depth=1
	s_or_b32 exec_lo, exec_lo, s9
.LBB198_1410:                           ;   in Loop: Header=BB198_800 Depth=1
	s_or_b32 exec_lo, exec_lo, s7
	v_or_b32_e32 v6, v20, v18
	v_or_b32_e32 v8, v19, v17
	v_or_b32_e32 v10, v10, v21
	v_or_b32_e32 v11, v11, v22
	v_mul_f32_e32 v71, v83, v6
	v_mul_f32_e32 v80, v67, v8
	;; [unrolled: 1-line block ×4, first 2 shown]
	s_and_saveexec_b32 s7, vcc_lo
	s_cbranch_execz .LBB198_1412
; %bb.1411:                             ;   in Loop: Header=BB198_800 Depth=1
	v_cmp_lt_i32_e64 s4, v101, v116
	v_cndmask_b32_e64 v80, 0, v80, s4
	v_cmp_lt_i32_e64 s4, v103, v116
	v_cndmask_b32_e64 v71, 0, v71, s4
	v_cmp_lt_i32_e64 s4, v102, v116
	v_cndmask_b32_e64 v69, 0, v69, s4
	v_cmp_lt_i32_e64 s4, v81, v116
	v_cndmask_b32_e64 v25, 0, v25, s4
.LBB198_1412:                           ;   in Loop: Header=BB198_800 Depth=1
	s_or_b32 exec_lo, exec_lo, s7
	flat_load_dword v85, v[0:1] offset:256
	v_mov_b32_e32 v19, 0
	v_mov_b32_e32 v17, 0
	;; [unrolled: 1-line block ×4, first 2 shown]
	s_waitcnt vmcnt(0) lgkmcnt(0)
	v_cmp_ne_u16_sdwa s4, v85, v7 src0_sel:BYTE_0 src1_sel:DWORD
	s_and_saveexec_b32 s7, s4
	s_cbranch_execz .LBB198_1420
; %bb.1413:                             ;   in Loop: Header=BB198_800 Depth=1
	v_bfrev_b32_e32 v17, 1
	v_mov_b32_e32 v18, 0
	v_cmp_ne_u16_sdwa s4, v85, v68 src0_sel:BYTE_0 src1_sel:DWORD
	s_and_saveexec_b32 s9, s4
	s_cbranch_execz .LBB198_1419
; %bb.1414:                             ;   in Loop: Header=BB198_800 Depth=1
	v_mov_b32_e32 v17, 0x7f800001
	v_and_b32_e32 v10, 0x7f, v85
	v_mov_b32_e32 v18, 0
	s_mov_b32 s15, exec_lo
	v_cmpx_ne_u32_e32 0x7f, v10
	s_cbranch_execz .LBB198_1418
; %bb.1415:                             ;   in Loop: Header=BB198_800 Depth=1
	v_and_b32_e32 v6, 7, v85
	v_lshrrev_b32_e32 v8, 3, v10
	s_mov_b32 s18, exec_lo
	v_cmpx_gt_u32_e32 8, v10
; %bb.1416:                             ;   in Loop: Header=BB198_800 Depth=1
	v_ffbh_u32_e32 v8, v6
	v_min_u32_e32 v8, 32, v8
	v_subrev_nc_u32_e32 v10, 28, v8
	v_sub_nc_u32_e32 v8, 29, v8
	v_lshlrev_b64 v[10:11], v10, v[6:7]
	v_and_b32_e32 v6, 7, v10
; %bb.1417:                             ;   in Loop: Header=BB198_800 Depth=1
	s_or_b32 exec_lo, exec_lo, s18
	v_lshlrev_b32_e32 v10, 24, v85
	v_lshlrev_b32_e32 v6, 20, v6
	v_lshl_add_u32 v8, v8, 23, 0x3c000000
	v_and_b32_e32 v10, 0x80000000, v10
	v_or3_b32 v6, v6, v10, v8
	v_mov_b32_e32 v18, v7
	v_mov_b32_e32 v17, v6
.LBB198_1418:                           ;   in Loop: Header=BB198_800 Depth=1
	s_or_b32 exec_lo, exec_lo, s15
.LBB198_1419:                           ;   in Loop: Header=BB198_800 Depth=1
	s_or_b32 exec_lo, exec_lo, s9
.LBB198_1420:                           ;   in Loop: Header=BB198_800 Depth=1
	s_or_b32 exec_lo, exec_lo, s7
	v_cmp_ne_u16_sdwa s4, v85, v7 src0_sel:BYTE_1 src1_sel:DWORD
	s_and_saveexec_b32 s7, s4
	s_cbranch_execz .LBB198_1428
; %bb.1421:                             ;   in Loop: Header=BB198_800 Depth=1
	v_mov_b32_e32 v8, v7
	v_mov_b32_e32 v20, v9
	v_cmp_ne_u16_sdwa s4, v85, v68 src0_sel:BYTE_1 src1_sel:DWORD
	v_mov_b32_e32 v19, v8
	s_and_saveexec_b32 s9, s4
	s_cbranch_execz .LBB198_1427
; %bb.1422:                             ;   in Loop: Header=BB198_800 Depth=1
	v_and_b32_sdwa v6, v44, v85 dst_sel:DWORD dst_unused:UNUSED_PAD src0_sel:DWORD src1_sel:BYTE_1
	v_mov_b32_e32 v11, v7
	v_mov_b32_e32 v20, v12
	s_mov_b32 s15, exec_lo
	v_and_b32_e32 v10, 0x7f, v6
	v_mov_b32_e32 v19, v11
	v_cmpx_ne_u32_e32 0x7f, v10
	s_cbranch_execz .LBB198_1426
; %bb.1423:                             ;   in Loop: Header=BB198_800 Depth=1
	v_and_b32_e32 v6, 7, v6
	v_lshrrev_b32_e32 v8, 3, v10
	s_mov_b32 s18, exec_lo
	v_cmpx_gt_u32_e32 8, v10
; %bb.1424:                             ;   in Loop: Header=BB198_800 Depth=1
	v_ffbh_u32_e32 v8, v6
	v_min_u32_e32 v8, 32, v8
	v_subrev_nc_u32_e32 v10, 28, v8
	v_sub_nc_u32_e32 v8, 29, v8
	v_lshlrev_b64 v[10:11], v10, v[6:7]
	v_and_b32_e32 v6, 7, v10
; %bb.1425:                             ;   in Loop: Header=BB198_800 Depth=1
	s_or_b32 exec_lo, exec_lo, s18
	v_lshlrev_b32_e32 v10, 16, v85
	v_lshlrev_b32_e32 v6, 20, v6
	v_lshl_add_u32 v8, v8, 23, 0x3c000000
	v_mov_b32_e32 v19, v7
	v_and_b32_e32 v10, 0x80000000, v10
	v_or3_b32 v20, v6, v10, v8
.LBB198_1426:                           ;   in Loop: Header=BB198_800 Depth=1
	s_or_b32 exec_lo, exec_lo, s15
.LBB198_1427:                           ;   in Loop: Header=BB198_800 Depth=1
	s_or_b32 exec_lo, exec_lo, s9
.LBB198_1428:                           ;   in Loop: Header=BB198_800 Depth=1
	s_or_b32 exec_lo, exec_lo, s7
	v_mov_b32_e32 v10, 0
	v_mov_b32_e32 v21, 0
	v_and_b32_sdwa v6, v85, v70 dst_sel:DWORD dst_unused:UNUSED_PAD src0_sel:WORD_1 src1_sel:DWORD
	v_mov_b32_e32 v11, 0
	v_mov_b32_e32 v22, 0
	s_mov_b32 s7, exec_lo
	v_cmpx_ne_u16_e32 0, v6
	s_cbranch_execz .LBB198_1436
; %bb.1429:                             ;   in Loop: Header=BB198_800 Depth=1
	v_bfrev_b32_e32 v21, 1
	v_mov_b32_e32 v22, 0
	s_mov_b32 s9, exec_lo
	v_cmpx_ne_u16_e32 0x80, v6
	s_cbranch_execz .LBB198_1435
; %bb.1430:                             ;   in Loop: Header=BB198_800 Depth=1
	v_mov_b32_e32 v21, 0x7f800001
	v_bfe_u32 v86, v85, 16, 7
	v_mov_b32_e32 v22, 0
	s_mov_b32 s15, exec_lo
	v_cmpx_ne_u32_e32 0x7f, v86
	s_cbranch_execz .LBB198_1434
; %bb.1431:                             ;   in Loop: Header=BB198_800 Depth=1
	v_mov_b32_e32 v6, 7
	v_lshrrev_b32_e32 v8, 3, v86
	s_mov_b32 s18, exec_lo
	v_and_b32_sdwa v6, v85, v6 dst_sel:DWORD dst_unused:UNUSED_PAD src0_sel:WORD_1 src1_sel:DWORD
	v_cmpx_gt_u32_e32 8, v86
; %bb.1432:                             ;   in Loop: Header=BB198_800 Depth=1
	v_ffbh_u32_e32 v8, v6
	v_min_u32_e32 v8, 32, v8
	v_subrev_nc_u32_e32 v21, 28, v8
	v_sub_nc_u32_e32 v8, 29, v8
	v_lshlrev_b64 v[21:22], v21, v[6:7]
	v_and_b32_e32 v6, 7, v21
; %bb.1433:                             ;   in Loop: Header=BB198_800 Depth=1
	s_or_b32 exec_lo, exec_lo, s18
	v_mov_b32_e32 v21, 24
	v_lshlrev_b32_e32 v6, 20, v6
	v_lshl_add_u32 v8, v8, 23, 0x3c000000
	v_lshlrev_b32_sdwa v21, v21, v85 dst_sel:DWORD dst_unused:UNUSED_PAD src0_sel:DWORD src1_sel:WORD_1
	v_and_b32_e32 v21, 0x80000000, v21
	v_or3_b32 v6, v6, v21, v8
	v_mov_b32_e32 v22, v7
	v_mov_b32_e32 v21, v6
.LBB198_1434:                           ;   in Loop: Header=BB198_800 Depth=1
	s_or_b32 exec_lo, exec_lo, s15
.LBB198_1435:                           ;   in Loop: Header=BB198_800 Depth=1
	s_or_b32 exec_lo, exec_lo, s9
.LBB198_1436:                           ;   in Loop: Header=BB198_800 Depth=1
	s_or_b32 exec_lo, exec_lo, s7
	s_mov_b32 s7, exec_lo
	v_cmpx_lt_u32_e32 0xffffff, v85
	s_cbranch_execz .LBB198_1444
; %bb.1437:                             ;   in Loop: Header=BB198_800 Depth=1
	v_mov_b32_e32 v8, v7
	v_mov_b32_e32 v11, v9
	v_cmp_ne_u32_sdwa s4, v85, v68 src0_sel:BYTE_3 src1_sel:DWORD
	v_mov_b32_e32 v10, v8
	s_and_saveexec_b32 s9, s4
	s_cbranch_execz .LBB198_1443
; %bb.1438:                             ;   in Loop: Header=BB198_800 Depth=1
	v_mov_b32_e32 v11, v7
	v_bfe_u32 v86, v85, 24, 7
	s_mov_b32 s15, exec_lo
	v_mov_b32_e32 v10, v11
	v_mov_b32_e32 v11, v12
	v_cmpx_ne_u32_e32 0x7f, v86
	s_cbranch_execz .LBB198_1442
; %bb.1439:                             ;   in Loop: Header=BB198_800 Depth=1
	v_mov_b32_e32 v6, 7
	v_lshrrev_b32_e32 v8, 3, v86
	s_mov_b32 s18, exec_lo
	v_and_b32_sdwa v6, v85, v6 dst_sel:DWORD dst_unused:UNUSED_PAD src0_sel:BYTE_3 src1_sel:DWORD
	v_cmpx_gt_u32_e32 8, v86
; %bb.1440:                             ;   in Loop: Header=BB198_800 Depth=1
	v_ffbh_u32_e32 v8, v6
	v_min_u32_e32 v8, 32, v8
	v_subrev_nc_u32_e32 v10, 28, v8
	v_sub_nc_u32_e32 v8, 29, v8
	v_lshlrev_b64 v[10:11], v10, v[6:7]
	v_and_b32_e32 v6, 7, v10
; %bb.1441:                             ;   in Loop: Header=BB198_800 Depth=1
	s_or_b32 exec_lo, exec_lo, s18
	v_mov_b32_e32 v10, 24
	v_lshlrev_b32_e32 v6, 20, v6
	v_lshl_add_u32 v8, v8, 23, 0x3c000000
	v_lshlrev_b32_sdwa v10, v10, v85 dst_sel:DWORD dst_unused:UNUSED_PAD src0_sel:DWORD src1_sel:BYTE_3
	v_and_b32_e32 v10, 0x80000000, v10
	v_or3_b32 v11, v6, v10, v8
	v_mov_b32_e32 v10, v7
.LBB198_1442:                           ;   in Loop: Header=BB198_800 Depth=1
	s_or_b32 exec_lo, exec_lo, s15
.LBB198_1443:                           ;   in Loop: Header=BB198_800 Depth=1
	s_or_b32 exec_lo, exec_lo, s9
.LBB198_1444:                           ;   in Loop: Header=BB198_800 Depth=1
	s_or_b32 exec_lo, exec_lo, s7
	v_or_b32_e32 v6, v20, v18
	v_or_b32_e32 v8, v19, v17
	;; [unrolled: 1-line block ×4, first 2 shown]
	v_mul_f32_e32 v96, v83, v6
	v_mul_f32_e32 v87, v67, v8
	;; [unrolled: 1-line block ×4, first 2 shown]
	s_and_saveexec_b32 s7, vcc_lo
	s_cbranch_execz .LBB198_1446
; %bb.1445:                             ;   in Loop: Header=BB198_800 Depth=1
	v_cmp_lt_i32_e64 s4, v101, v116
	v_cndmask_b32_e64 v87, 0, v87, s4
	v_cmp_lt_i32_e64 s4, v103, v116
	v_cndmask_b32_e64 v96, 0, v96, s4
	;; [unrolled: 2-line block ×4, first 2 shown]
.LBB198_1446:                           ;   in Loop: Header=BB198_800 Depth=1
	s_or_b32 exec_lo, exec_lo, s7
	flat_load_dword v97, v[0:1] offset:384
	v_mov_b32_e32 v19, 0
	v_mov_b32_e32 v17, 0
	v_mov_b32_e32 v20, 0
	v_mov_b32_e32 v18, 0
	s_waitcnt vmcnt(0) lgkmcnt(0)
	v_cmp_ne_u16_sdwa s4, v97, v7 src0_sel:BYTE_0 src1_sel:DWORD
	s_and_saveexec_b32 s7, s4
	s_cbranch_execz .LBB198_1454
; %bb.1447:                             ;   in Loop: Header=BB198_800 Depth=1
	v_bfrev_b32_e32 v17, 1
	v_mov_b32_e32 v18, 0
	v_cmp_ne_u16_sdwa s4, v97, v68 src0_sel:BYTE_0 src1_sel:DWORD
	s_and_saveexec_b32 s9, s4
	s_cbranch_execz .LBB198_1453
; %bb.1448:                             ;   in Loop: Header=BB198_800 Depth=1
	v_mov_b32_e32 v17, 0x7f800001
	v_and_b32_e32 v10, 0x7f, v97
	v_mov_b32_e32 v18, 0
	s_mov_b32 s15, exec_lo
	v_cmpx_ne_u32_e32 0x7f, v10
	s_cbranch_execz .LBB198_1452
; %bb.1449:                             ;   in Loop: Header=BB198_800 Depth=1
	v_and_b32_e32 v6, 7, v97
	v_lshrrev_b32_e32 v8, 3, v10
	s_mov_b32 s18, exec_lo
	v_cmpx_gt_u32_e32 8, v10
; %bb.1450:                             ;   in Loop: Header=BB198_800 Depth=1
	v_ffbh_u32_e32 v8, v6
	v_min_u32_e32 v8, 32, v8
	v_subrev_nc_u32_e32 v10, 28, v8
	v_sub_nc_u32_e32 v8, 29, v8
	v_lshlrev_b64 v[10:11], v10, v[6:7]
	v_and_b32_e32 v6, 7, v10
; %bb.1451:                             ;   in Loop: Header=BB198_800 Depth=1
	s_or_b32 exec_lo, exec_lo, s18
	v_lshlrev_b32_e32 v10, 24, v97
	v_lshlrev_b32_e32 v6, 20, v6
	v_lshl_add_u32 v8, v8, 23, 0x3c000000
	v_and_b32_e32 v10, 0x80000000, v10
	v_or3_b32 v6, v6, v10, v8
	v_mov_b32_e32 v18, v7
	v_mov_b32_e32 v17, v6
.LBB198_1452:                           ;   in Loop: Header=BB198_800 Depth=1
	s_or_b32 exec_lo, exec_lo, s15
.LBB198_1453:                           ;   in Loop: Header=BB198_800 Depth=1
	s_or_b32 exec_lo, exec_lo, s9
.LBB198_1454:                           ;   in Loop: Header=BB198_800 Depth=1
	s_or_b32 exec_lo, exec_lo, s7
	v_cmp_ne_u16_sdwa s4, v97, v7 src0_sel:BYTE_1 src1_sel:DWORD
	s_and_saveexec_b32 s7, s4
	s_cbranch_execz .LBB198_1462
; %bb.1455:                             ;   in Loop: Header=BB198_800 Depth=1
	v_mov_b32_e32 v8, v7
	v_mov_b32_e32 v20, v9
	v_cmp_ne_u16_sdwa s4, v97, v68 src0_sel:BYTE_1 src1_sel:DWORD
	v_mov_b32_e32 v19, v8
	s_and_saveexec_b32 s9, s4
	s_cbranch_execz .LBB198_1461
; %bb.1456:                             ;   in Loop: Header=BB198_800 Depth=1
	v_and_b32_sdwa v6, v44, v97 dst_sel:DWORD dst_unused:UNUSED_PAD src0_sel:DWORD src1_sel:BYTE_1
	v_mov_b32_e32 v11, v7
	v_mov_b32_e32 v20, v12
	s_mov_b32 s15, exec_lo
	v_and_b32_e32 v10, 0x7f, v6
	v_mov_b32_e32 v19, v11
	v_cmpx_ne_u32_e32 0x7f, v10
	s_cbranch_execz .LBB198_1460
; %bb.1457:                             ;   in Loop: Header=BB198_800 Depth=1
	v_and_b32_e32 v6, 7, v6
	v_lshrrev_b32_e32 v8, 3, v10
	s_mov_b32 s18, exec_lo
	v_cmpx_gt_u32_e32 8, v10
; %bb.1458:                             ;   in Loop: Header=BB198_800 Depth=1
	v_ffbh_u32_e32 v8, v6
	v_min_u32_e32 v8, 32, v8
	v_subrev_nc_u32_e32 v10, 28, v8
	v_sub_nc_u32_e32 v8, 29, v8
	v_lshlrev_b64 v[10:11], v10, v[6:7]
	v_and_b32_e32 v6, 7, v10
; %bb.1459:                             ;   in Loop: Header=BB198_800 Depth=1
	s_or_b32 exec_lo, exec_lo, s18
	v_lshlrev_b32_e32 v10, 16, v97
	v_lshlrev_b32_e32 v6, 20, v6
	v_lshl_add_u32 v8, v8, 23, 0x3c000000
	v_mov_b32_e32 v19, v7
	v_and_b32_e32 v10, 0x80000000, v10
	v_or3_b32 v20, v6, v10, v8
.LBB198_1460:                           ;   in Loop: Header=BB198_800 Depth=1
	s_or_b32 exec_lo, exec_lo, s15
.LBB198_1461:                           ;   in Loop: Header=BB198_800 Depth=1
	s_or_b32 exec_lo, exec_lo, s9
.LBB198_1462:                           ;   in Loop: Header=BB198_800 Depth=1
	s_or_b32 exec_lo, exec_lo, s7
	v_mov_b32_e32 v10, 0
	v_mov_b32_e32 v21, 0
	v_and_b32_sdwa v6, v97, v70 dst_sel:DWORD dst_unused:UNUSED_PAD src0_sel:WORD_1 src1_sel:DWORD
	v_mov_b32_e32 v11, 0
	v_mov_b32_e32 v22, 0
	s_mov_b32 s7, exec_lo
	v_cmpx_ne_u16_e32 0, v6
	s_cbranch_execz .LBB198_1470
; %bb.1463:                             ;   in Loop: Header=BB198_800 Depth=1
	v_bfrev_b32_e32 v21, 1
	v_mov_b32_e32 v22, 0
	s_mov_b32 s9, exec_lo
	v_cmpx_ne_u16_e32 0x80, v6
	s_cbranch_execz .LBB198_1469
; %bb.1464:                             ;   in Loop: Header=BB198_800 Depth=1
	v_mov_b32_e32 v21, 0x7f800001
	v_bfe_u32 v98, v97, 16, 7
	v_mov_b32_e32 v22, 0
	s_mov_b32 s15, exec_lo
	v_cmpx_ne_u32_e32 0x7f, v98
	s_cbranch_execz .LBB198_1468
; %bb.1465:                             ;   in Loop: Header=BB198_800 Depth=1
	v_mov_b32_e32 v6, 7
	v_lshrrev_b32_e32 v8, 3, v98
	s_mov_b32 s18, exec_lo
	v_and_b32_sdwa v6, v97, v6 dst_sel:DWORD dst_unused:UNUSED_PAD src0_sel:WORD_1 src1_sel:DWORD
	v_cmpx_gt_u32_e32 8, v98
; %bb.1466:                             ;   in Loop: Header=BB198_800 Depth=1
	v_ffbh_u32_e32 v8, v6
	v_min_u32_e32 v8, 32, v8
	v_subrev_nc_u32_e32 v21, 28, v8
	v_sub_nc_u32_e32 v8, 29, v8
	v_lshlrev_b64 v[21:22], v21, v[6:7]
	v_and_b32_e32 v6, 7, v21
; %bb.1467:                             ;   in Loop: Header=BB198_800 Depth=1
	s_or_b32 exec_lo, exec_lo, s18
	v_mov_b32_e32 v21, 24
	v_lshlrev_b32_e32 v6, 20, v6
	v_lshl_add_u32 v8, v8, 23, 0x3c000000
	v_lshlrev_b32_sdwa v21, v21, v97 dst_sel:DWORD dst_unused:UNUSED_PAD src0_sel:DWORD src1_sel:WORD_1
	v_and_b32_e32 v21, 0x80000000, v21
	v_or3_b32 v6, v6, v21, v8
	v_mov_b32_e32 v22, v7
	v_mov_b32_e32 v21, v6
.LBB198_1468:                           ;   in Loop: Header=BB198_800 Depth=1
	s_or_b32 exec_lo, exec_lo, s15
.LBB198_1469:                           ;   in Loop: Header=BB198_800 Depth=1
	s_or_b32 exec_lo, exec_lo, s9
.LBB198_1470:                           ;   in Loop: Header=BB198_800 Depth=1
	s_or_b32 exec_lo, exec_lo, s7
	s_mov_b32 s7, exec_lo
	v_cmpx_lt_u32_e32 0xffffff, v97
	s_cbranch_execz .LBB198_1478
; %bb.1471:                             ;   in Loop: Header=BB198_800 Depth=1
	v_mov_b32_e32 v8, v7
	v_mov_b32_e32 v11, v9
	v_cmp_ne_u32_sdwa s4, v97, v68 src0_sel:BYTE_3 src1_sel:DWORD
	v_mov_b32_e32 v10, v8
	s_and_saveexec_b32 s9, s4
	s_cbranch_execz .LBB198_1477
; %bb.1472:                             ;   in Loop: Header=BB198_800 Depth=1
	v_mov_b32_e32 v11, v7
	v_bfe_u32 v98, v97, 24, 7
	s_mov_b32 s15, exec_lo
	v_mov_b32_e32 v10, v11
	v_mov_b32_e32 v11, v12
	v_cmpx_ne_u32_e32 0x7f, v98
	s_cbranch_execz .LBB198_1476
; %bb.1473:                             ;   in Loop: Header=BB198_800 Depth=1
	v_mov_b32_e32 v6, 7
	v_lshrrev_b32_e32 v8, 3, v98
	s_mov_b32 s18, exec_lo
	v_and_b32_sdwa v6, v97, v6 dst_sel:DWORD dst_unused:UNUSED_PAD src0_sel:BYTE_3 src1_sel:DWORD
	v_cmpx_gt_u32_e32 8, v98
; %bb.1474:                             ;   in Loop: Header=BB198_800 Depth=1
	v_ffbh_u32_e32 v8, v6
	v_min_u32_e32 v8, 32, v8
	v_subrev_nc_u32_e32 v10, 28, v8
	v_sub_nc_u32_e32 v8, 29, v8
	v_lshlrev_b64 v[10:11], v10, v[6:7]
	v_and_b32_e32 v6, 7, v10
; %bb.1475:                             ;   in Loop: Header=BB198_800 Depth=1
	s_or_b32 exec_lo, exec_lo, s18
	v_mov_b32_e32 v10, 24
	v_lshlrev_b32_e32 v6, 20, v6
	v_lshl_add_u32 v8, v8, 23, 0x3c000000
	v_lshlrev_b32_sdwa v10, v10, v97 dst_sel:DWORD dst_unused:UNUSED_PAD src0_sel:DWORD src1_sel:BYTE_3
	v_and_b32_e32 v10, 0x80000000, v10
	v_or3_b32 v11, v6, v10, v8
	v_mov_b32_e32 v10, v7
.LBB198_1476:                           ;   in Loop: Header=BB198_800 Depth=1
	s_or_b32 exec_lo, exec_lo, s15
.LBB198_1477:                           ;   in Loop: Header=BB198_800 Depth=1
	s_or_b32 exec_lo, exec_lo, s9
.LBB198_1478:                           ;   in Loop: Header=BB198_800 Depth=1
	s_or_b32 exec_lo, exec_lo, s7
	v_or_b32_e32 v6, v20, v18
	v_or_b32_e32 v8, v19, v17
	;; [unrolled: 1-line block ×4, first 2 shown]
	v_mul_f32_e32 v100, v83, v6
	v_mul_f32_e32 v99, v67, v8
	;; [unrolled: 1-line block ×4, first 2 shown]
	s_and_saveexec_b32 s7, vcc_lo
	s_cbranch_execz .LBB198_1480
; %bb.1479:                             ;   in Loop: Header=BB198_800 Depth=1
	v_cmp_lt_i32_e64 s4, v101, v116
	v_cndmask_b32_e64 v99, 0, v99, s4
	v_cmp_lt_i32_e64 s4, v103, v116
	v_cndmask_b32_e64 v100, 0, v100, s4
	;; [unrolled: 2-line block ×4, first 2 shown]
.LBB198_1480:                           ;   in Loop: Header=BB198_800 Depth=1
	s_or_b32 exec_lo, exec_lo, s7
	flat_load_dword v112, v[0:1] offset:512
	v_mov_b32_e32 v19, 0
	v_mov_b32_e32 v17, 0
	;; [unrolled: 1-line block ×4, first 2 shown]
	s_waitcnt vmcnt(0) lgkmcnt(0)
	v_cmp_ne_u16_sdwa s4, v112, v7 src0_sel:BYTE_0 src1_sel:DWORD
	s_and_saveexec_b32 s7, s4
	s_cbranch_execz .LBB198_1488
; %bb.1481:                             ;   in Loop: Header=BB198_800 Depth=1
	v_bfrev_b32_e32 v17, 1
	v_mov_b32_e32 v18, 0
	v_cmp_ne_u16_sdwa s4, v112, v68 src0_sel:BYTE_0 src1_sel:DWORD
	s_and_saveexec_b32 s9, s4
	s_cbranch_execz .LBB198_1487
; %bb.1482:                             ;   in Loop: Header=BB198_800 Depth=1
	v_mov_b32_e32 v17, 0x7f800001
	v_and_b32_e32 v10, 0x7f, v112
	v_mov_b32_e32 v18, 0
	s_mov_b32 s15, exec_lo
	v_cmpx_ne_u32_e32 0x7f, v10
	s_cbranch_execz .LBB198_1486
; %bb.1483:                             ;   in Loop: Header=BB198_800 Depth=1
	v_and_b32_e32 v6, 7, v112
	v_lshrrev_b32_e32 v8, 3, v10
	s_mov_b32 s18, exec_lo
	v_cmpx_gt_u32_e32 8, v10
; %bb.1484:                             ;   in Loop: Header=BB198_800 Depth=1
	v_ffbh_u32_e32 v8, v6
	v_min_u32_e32 v8, 32, v8
	v_subrev_nc_u32_e32 v10, 28, v8
	v_sub_nc_u32_e32 v8, 29, v8
	v_lshlrev_b64 v[10:11], v10, v[6:7]
	v_and_b32_e32 v6, 7, v10
; %bb.1485:                             ;   in Loop: Header=BB198_800 Depth=1
	s_or_b32 exec_lo, exec_lo, s18
	v_lshlrev_b32_e32 v10, 24, v112
	v_lshlrev_b32_e32 v6, 20, v6
	v_lshl_add_u32 v8, v8, 23, 0x3c000000
	v_and_b32_e32 v10, 0x80000000, v10
	v_or3_b32 v6, v6, v10, v8
	v_mov_b32_e32 v18, v7
	v_mov_b32_e32 v17, v6
.LBB198_1486:                           ;   in Loop: Header=BB198_800 Depth=1
	s_or_b32 exec_lo, exec_lo, s15
.LBB198_1487:                           ;   in Loop: Header=BB198_800 Depth=1
	s_or_b32 exec_lo, exec_lo, s9
.LBB198_1488:                           ;   in Loop: Header=BB198_800 Depth=1
	s_or_b32 exec_lo, exec_lo, s7
	v_cmp_ne_u16_sdwa s4, v112, v7 src0_sel:BYTE_1 src1_sel:DWORD
	s_and_saveexec_b32 s7, s4
	s_cbranch_execz .LBB198_1496
; %bb.1489:                             ;   in Loop: Header=BB198_800 Depth=1
	v_mov_b32_e32 v8, v7
	v_mov_b32_e32 v20, v9
	v_cmp_ne_u16_sdwa s4, v112, v68 src0_sel:BYTE_1 src1_sel:DWORD
	v_mov_b32_e32 v19, v8
	s_and_saveexec_b32 s9, s4
	s_cbranch_execz .LBB198_1495
; %bb.1490:                             ;   in Loop: Header=BB198_800 Depth=1
	v_and_b32_sdwa v6, v44, v112 dst_sel:DWORD dst_unused:UNUSED_PAD src0_sel:DWORD src1_sel:BYTE_1
	v_mov_b32_e32 v11, v7
	v_mov_b32_e32 v20, v12
	s_mov_b32 s15, exec_lo
	v_and_b32_e32 v10, 0x7f, v6
	v_mov_b32_e32 v19, v11
	v_cmpx_ne_u32_e32 0x7f, v10
	s_cbranch_execz .LBB198_1494
; %bb.1491:                             ;   in Loop: Header=BB198_800 Depth=1
	v_and_b32_e32 v6, 7, v6
	v_lshrrev_b32_e32 v8, 3, v10
	s_mov_b32 s18, exec_lo
	v_cmpx_gt_u32_e32 8, v10
; %bb.1492:                             ;   in Loop: Header=BB198_800 Depth=1
	v_ffbh_u32_e32 v8, v6
	v_min_u32_e32 v8, 32, v8
	v_subrev_nc_u32_e32 v10, 28, v8
	v_sub_nc_u32_e32 v8, 29, v8
	v_lshlrev_b64 v[10:11], v10, v[6:7]
	v_and_b32_e32 v6, 7, v10
; %bb.1493:                             ;   in Loop: Header=BB198_800 Depth=1
	s_or_b32 exec_lo, exec_lo, s18
	v_lshlrev_b32_e32 v10, 16, v112
	v_lshlrev_b32_e32 v6, 20, v6
	v_lshl_add_u32 v8, v8, 23, 0x3c000000
	v_mov_b32_e32 v19, v7
	v_and_b32_e32 v10, 0x80000000, v10
	v_or3_b32 v20, v6, v10, v8
.LBB198_1494:                           ;   in Loop: Header=BB198_800 Depth=1
	s_or_b32 exec_lo, exec_lo, s15
.LBB198_1495:                           ;   in Loop: Header=BB198_800 Depth=1
	s_or_b32 exec_lo, exec_lo, s9
.LBB198_1496:                           ;   in Loop: Header=BB198_800 Depth=1
	s_or_b32 exec_lo, exec_lo, s7
	v_mov_b32_e32 v10, 0
	v_mov_b32_e32 v21, 0
	v_and_b32_sdwa v6, v112, v70 dst_sel:DWORD dst_unused:UNUSED_PAD src0_sel:WORD_1 src1_sel:DWORD
	v_mov_b32_e32 v11, 0
	v_mov_b32_e32 v22, 0
	s_mov_b32 s7, exec_lo
	v_cmpx_ne_u16_e32 0, v6
	s_cbranch_execz .LBB198_1504
; %bb.1497:                             ;   in Loop: Header=BB198_800 Depth=1
	v_bfrev_b32_e32 v21, 1
	v_mov_b32_e32 v22, 0
	s_mov_b32 s9, exec_lo
	v_cmpx_ne_u16_e32 0x80, v6
	s_cbranch_execz .LBB198_1503
; %bb.1498:                             ;   in Loop: Header=BB198_800 Depth=1
	v_mov_b32_e32 v21, 0x7f800001
	v_bfe_u32 v113, v112, 16, 7
	v_mov_b32_e32 v22, 0
	s_mov_b32 s15, exec_lo
	v_cmpx_ne_u32_e32 0x7f, v113
	s_cbranch_execz .LBB198_1502
; %bb.1499:                             ;   in Loop: Header=BB198_800 Depth=1
	v_mov_b32_e32 v6, 7
	v_lshrrev_b32_e32 v8, 3, v113
	s_mov_b32 s18, exec_lo
	v_and_b32_sdwa v6, v112, v6 dst_sel:DWORD dst_unused:UNUSED_PAD src0_sel:WORD_1 src1_sel:DWORD
	v_cmpx_gt_u32_e32 8, v113
; %bb.1500:                             ;   in Loop: Header=BB198_800 Depth=1
	v_ffbh_u32_e32 v8, v6
	v_min_u32_e32 v8, 32, v8
	v_subrev_nc_u32_e32 v21, 28, v8
	v_sub_nc_u32_e32 v8, 29, v8
	v_lshlrev_b64 v[21:22], v21, v[6:7]
	v_and_b32_e32 v6, 7, v21
; %bb.1501:                             ;   in Loop: Header=BB198_800 Depth=1
	s_or_b32 exec_lo, exec_lo, s18
	v_mov_b32_e32 v21, 24
	v_lshlrev_b32_e32 v6, 20, v6
	v_lshl_add_u32 v8, v8, 23, 0x3c000000
	v_lshlrev_b32_sdwa v21, v21, v112 dst_sel:DWORD dst_unused:UNUSED_PAD src0_sel:DWORD src1_sel:WORD_1
	v_and_b32_e32 v21, 0x80000000, v21
	v_or3_b32 v6, v6, v21, v8
	v_mov_b32_e32 v22, v7
	v_mov_b32_e32 v21, v6
.LBB198_1502:                           ;   in Loop: Header=BB198_800 Depth=1
	s_or_b32 exec_lo, exec_lo, s15
.LBB198_1503:                           ;   in Loop: Header=BB198_800 Depth=1
	s_or_b32 exec_lo, exec_lo, s9
.LBB198_1504:                           ;   in Loop: Header=BB198_800 Depth=1
	s_or_b32 exec_lo, exec_lo, s7
	s_mov_b32 s7, exec_lo
	v_cmpx_lt_u32_e32 0xffffff, v112
	s_cbranch_execz .LBB198_1512
; %bb.1505:                             ;   in Loop: Header=BB198_800 Depth=1
	v_mov_b32_e32 v8, v7
	v_mov_b32_e32 v11, v9
	v_cmp_ne_u32_sdwa s4, v112, v68 src0_sel:BYTE_3 src1_sel:DWORD
	v_mov_b32_e32 v10, v8
	s_and_saveexec_b32 s9, s4
	s_cbranch_execz .LBB198_1511
; %bb.1506:                             ;   in Loop: Header=BB198_800 Depth=1
	v_mov_b32_e32 v11, v7
	v_bfe_u32 v113, v112, 24, 7
	s_mov_b32 s15, exec_lo
	v_mov_b32_e32 v10, v11
	v_mov_b32_e32 v11, v12
	v_cmpx_ne_u32_e32 0x7f, v113
	s_cbranch_execz .LBB198_1510
; %bb.1507:                             ;   in Loop: Header=BB198_800 Depth=1
	v_mov_b32_e32 v6, 7
	v_lshrrev_b32_e32 v8, 3, v113
	s_mov_b32 s18, exec_lo
	v_and_b32_sdwa v6, v112, v6 dst_sel:DWORD dst_unused:UNUSED_PAD src0_sel:BYTE_3 src1_sel:DWORD
	v_cmpx_gt_u32_e32 8, v113
; %bb.1508:                             ;   in Loop: Header=BB198_800 Depth=1
	v_ffbh_u32_e32 v8, v6
	v_min_u32_e32 v8, 32, v8
	v_subrev_nc_u32_e32 v10, 28, v8
	v_sub_nc_u32_e32 v8, 29, v8
	v_lshlrev_b64 v[10:11], v10, v[6:7]
	v_and_b32_e32 v6, 7, v10
; %bb.1509:                             ;   in Loop: Header=BB198_800 Depth=1
	s_or_b32 exec_lo, exec_lo, s18
	v_mov_b32_e32 v10, 24
	v_lshlrev_b32_e32 v6, 20, v6
	v_lshl_add_u32 v8, v8, 23, 0x3c000000
	v_lshlrev_b32_sdwa v10, v10, v112 dst_sel:DWORD dst_unused:UNUSED_PAD src0_sel:DWORD src1_sel:BYTE_3
	v_and_b32_e32 v10, 0x80000000, v10
	v_or3_b32 v11, v6, v10, v8
	v_mov_b32_e32 v10, v7
.LBB198_1510:                           ;   in Loop: Header=BB198_800 Depth=1
	s_or_b32 exec_lo, exec_lo, s15
.LBB198_1511:                           ;   in Loop: Header=BB198_800 Depth=1
	s_or_b32 exec_lo, exec_lo, s9
.LBB198_1512:                           ;   in Loop: Header=BB198_800 Depth=1
	s_or_b32 exec_lo, exec_lo, s7
	v_or_b32_e32 v6, v20, v18
	v_or_b32_e32 v8, v19, v17
	;; [unrolled: 1-line block ×4, first 2 shown]
	v_mul_f32_e32 v115, v83, v6
	v_mul_f32_e32 v114, v67, v8
	;; [unrolled: 1-line block ×4, first 2 shown]
	s_and_saveexec_b32 s7, vcc_lo
	s_cbranch_execz .LBB198_1514
; %bb.1513:                             ;   in Loop: Header=BB198_800 Depth=1
	v_cmp_lt_i32_e64 s4, v101, v116
	v_cndmask_b32_e64 v114, 0, v114, s4
	v_cmp_lt_i32_e64 s4, v103, v116
	v_cndmask_b32_e64 v115, 0, v115, s4
	;; [unrolled: 2-line block ×4, first 2 shown]
.LBB198_1514:                           ;   in Loop: Header=BB198_800 Depth=1
	s_or_b32 exec_lo, exec_lo, s7
	flat_load_dword v117, v[0:1] offset:640
	v_mov_b32_e32 v19, 0
	v_mov_b32_e32 v17, 0
	;; [unrolled: 1-line block ×4, first 2 shown]
	s_waitcnt vmcnt(0) lgkmcnt(0)
	v_cmp_ne_u16_sdwa s4, v117, v7 src0_sel:BYTE_0 src1_sel:DWORD
	s_and_saveexec_b32 s7, s4
	s_cbranch_execz .LBB198_1522
; %bb.1515:                             ;   in Loop: Header=BB198_800 Depth=1
	v_bfrev_b32_e32 v17, 1
	v_mov_b32_e32 v18, 0
	v_cmp_ne_u16_sdwa s4, v117, v68 src0_sel:BYTE_0 src1_sel:DWORD
	s_and_saveexec_b32 s9, s4
	s_cbranch_execz .LBB198_1521
; %bb.1516:                             ;   in Loop: Header=BB198_800 Depth=1
	v_mov_b32_e32 v17, 0x7f800001
	v_and_b32_e32 v10, 0x7f, v117
	v_mov_b32_e32 v18, 0
	s_mov_b32 s15, exec_lo
	v_cmpx_ne_u32_e32 0x7f, v10
	s_cbranch_execz .LBB198_1520
; %bb.1517:                             ;   in Loop: Header=BB198_800 Depth=1
	v_and_b32_e32 v6, 7, v117
	v_lshrrev_b32_e32 v8, 3, v10
	s_mov_b32 s18, exec_lo
	v_cmpx_gt_u32_e32 8, v10
; %bb.1518:                             ;   in Loop: Header=BB198_800 Depth=1
	v_ffbh_u32_e32 v8, v6
	v_min_u32_e32 v8, 32, v8
	v_subrev_nc_u32_e32 v10, 28, v8
	v_sub_nc_u32_e32 v8, 29, v8
	v_lshlrev_b64 v[10:11], v10, v[6:7]
	v_and_b32_e32 v6, 7, v10
; %bb.1519:                             ;   in Loop: Header=BB198_800 Depth=1
	s_or_b32 exec_lo, exec_lo, s18
	v_lshlrev_b32_e32 v10, 24, v117
	v_lshlrev_b32_e32 v6, 20, v6
	v_lshl_add_u32 v8, v8, 23, 0x3c000000
	v_and_b32_e32 v10, 0x80000000, v10
	v_or3_b32 v6, v6, v10, v8
	v_mov_b32_e32 v18, v7
	v_mov_b32_e32 v17, v6
.LBB198_1520:                           ;   in Loop: Header=BB198_800 Depth=1
	s_or_b32 exec_lo, exec_lo, s15
.LBB198_1521:                           ;   in Loop: Header=BB198_800 Depth=1
	s_or_b32 exec_lo, exec_lo, s9
.LBB198_1522:                           ;   in Loop: Header=BB198_800 Depth=1
	s_or_b32 exec_lo, exec_lo, s7
	v_cmp_ne_u16_sdwa s4, v117, v7 src0_sel:BYTE_1 src1_sel:DWORD
	s_and_saveexec_b32 s7, s4
	s_cbranch_execz .LBB198_1530
; %bb.1523:                             ;   in Loop: Header=BB198_800 Depth=1
	v_mov_b32_e32 v8, v7
	v_mov_b32_e32 v20, v9
	v_cmp_ne_u16_sdwa s4, v117, v68 src0_sel:BYTE_1 src1_sel:DWORD
	v_mov_b32_e32 v19, v8
	s_and_saveexec_b32 s9, s4
	s_cbranch_execz .LBB198_1529
; %bb.1524:                             ;   in Loop: Header=BB198_800 Depth=1
	v_and_b32_sdwa v6, v44, v117 dst_sel:DWORD dst_unused:UNUSED_PAD src0_sel:DWORD src1_sel:BYTE_1
	v_mov_b32_e32 v11, v7
	v_mov_b32_e32 v20, v12
	s_mov_b32 s15, exec_lo
	v_and_b32_e32 v10, 0x7f, v6
	v_mov_b32_e32 v19, v11
	v_cmpx_ne_u32_e32 0x7f, v10
	s_cbranch_execz .LBB198_1528
; %bb.1525:                             ;   in Loop: Header=BB198_800 Depth=1
	v_and_b32_e32 v6, 7, v6
	v_lshrrev_b32_e32 v8, 3, v10
	s_mov_b32 s18, exec_lo
	v_cmpx_gt_u32_e32 8, v10
; %bb.1526:                             ;   in Loop: Header=BB198_800 Depth=1
	v_ffbh_u32_e32 v8, v6
	v_min_u32_e32 v8, 32, v8
	v_subrev_nc_u32_e32 v10, 28, v8
	v_sub_nc_u32_e32 v8, 29, v8
	v_lshlrev_b64 v[10:11], v10, v[6:7]
	v_and_b32_e32 v6, 7, v10
; %bb.1527:                             ;   in Loop: Header=BB198_800 Depth=1
	s_or_b32 exec_lo, exec_lo, s18
	v_lshlrev_b32_e32 v10, 16, v117
	v_lshlrev_b32_e32 v6, 20, v6
	v_lshl_add_u32 v8, v8, 23, 0x3c000000
	v_mov_b32_e32 v19, v7
	v_and_b32_e32 v10, 0x80000000, v10
	v_or3_b32 v20, v6, v10, v8
.LBB198_1528:                           ;   in Loop: Header=BB198_800 Depth=1
	s_or_b32 exec_lo, exec_lo, s15
.LBB198_1529:                           ;   in Loop: Header=BB198_800 Depth=1
	s_or_b32 exec_lo, exec_lo, s9
.LBB198_1530:                           ;   in Loop: Header=BB198_800 Depth=1
	s_or_b32 exec_lo, exec_lo, s7
	v_mov_b32_e32 v10, 0
	v_mov_b32_e32 v21, 0
	v_and_b32_sdwa v6, v117, v70 dst_sel:DWORD dst_unused:UNUSED_PAD src0_sel:WORD_1 src1_sel:DWORD
	v_mov_b32_e32 v11, 0
	v_mov_b32_e32 v22, 0
	s_mov_b32 s7, exec_lo
	v_cmpx_ne_u16_e32 0, v6
	s_cbranch_execz .LBB198_1538
; %bb.1531:                             ;   in Loop: Header=BB198_800 Depth=1
	v_bfrev_b32_e32 v21, 1
	v_mov_b32_e32 v22, 0
	s_mov_b32 s9, exec_lo
	v_cmpx_ne_u16_e32 0x80, v6
	s_cbranch_execz .LBB198_1537
; %bb.1532:                             ;   in Loop: Header=BB198_800 Depth=1
	v_mov_b32_e32 v21, 0x7f800001
	v_bfe_u32 v118, v117, 16, 7
	v_mov_b32_e32 v22, 0
	s_mov_b32 s15, exec_lo
	v_cmpx_ne_u32_e32 0x7f, v118
	s_cbranch_execz .LBB198_1536
; %bb.1533:                             ;   in Loop: Header=BB198_800 Depth=1
	v_mov_b32_e32 v6, 7
	v_lshrrev_b32_e32 v8, 3, v118
	s_mov_b32 s18, exec_lo
	v_and_b32_sdwa v6, v117, v6 dst_sel:DWORD dst_unused:UNUSED_PAD src0_sel:WORD_1 src1_sel:DWORD
	v_cmpx_gt_u32_e32 8, v118
; %bb.1534:                             ;   in Loop: Header=BB198_800 Depth=1
	v_ffbh_u32_e32 v8, v6
	v_min_u32_e32 v8, 32, v8
	v_subrev_nc_u32_e32 v21, 28, v8
	v_sub_nc_u32_e32 v8, 29, v8
	v_lshlrev_b64 v[21:22], v21, v[6:7]
	v_and_b32_e32 v6, 7, v21
; %bb.1535:                             ;   in Loop: Header=BB198_800 Depth=1
	s_or_b32 exec_lo, exec_lo, s18
	v_mov_b32_e32 v21, 24
	v_lshlrev_b32_e32 v6, 20, v6
	v_lshl_add_u32 v8, v8, 23, 0x3c000000
	v_lshlrev_b32_sdwa v21, v21, v117 dst_sel:DWORD dst_unused:UNUSED_PAD src0_sel:DWORD src1_sel:WORD_1
	v_and_b32_e32 v21, 0x80000000, v21
	v_or3_b32 v6, v6, v21, v8
	v_mov_b32_e32 v22, v7
	v_mov_b32_e32 v21, v6
.LBB198_1536:                           ;   in Loop: Header=BB198_800 Depth=1
	s_or_b32 exec_lo, exec_lo, s15
.LBB198_1537:                           ;   in Loop: Header=BB198_800 Depth=1
	s_or_b32 exec_lo, exec_lo, s9
.LBB198_1538:                           ;   in Loop: Header=BB198_800 Depth=1
	s_or_b32 exec_lo, exec_lo, s7
	s_mov_b32 s7, exec_lo
	v_cmpx_lt_u32_e32 0xffffff, v117
	s_cbranch_execz .LBB198_1546
; %bb.1539:                             ;   in Loop: Header=BB198_800 Depth=1
	v_mov_b32_e32 v8, v7
	v_mov_b32_e32 v11, v9
	v_cmp_ne_u32_sdwa s4, v117, v68 src0_sel:BYTE_3 src1_sel:DWORD
	v_mov_b32_e32 v10, v8
	s_and_saveexec_b32 s9, s4
	s_cbranch_execz .LBB198_1545
; %bb.1540:                             ;   in Loop: Header=BB198_800 Depth=1
	v_mov_b32_e32 v11, v7
	v_bfe_u32 v118, v117, 24, 7
	s_mov_b32 s15, exec_lo
	v_mov_b32_e32 v10, v11
	v_mov_b32_e32 v11, v12
	v_cmpx_ne_u32_e32 0x7f, v118
	s_cbranch_execz .LBB198_1544
; %bb.1541:                             ;   in Loop: Header=BB198_800 Depth=1
	v_mov_b32_e32 v6, 7
	v_lshrrev_b32_e32 v8, 3, v118
	s_mov_b32 s18, exec_lo
	v_and_b32_sdwa v6, v117, v6 dst_sel:DWORD dst_unused:UNUSED_PAD src0_sel:BYTE_3 src1_sel:DWORD
	v_cmpx_gt_u32_e32 8, v118
; %bb.1542:                             ;   in Loop: Header=BB198_800 Depth=1
	v_ffbh_u32_e32 v8, v6
	v_min_u32_e32 v8, 32, v8
	v_subrev_nc_u32_e32 v10, 28, v8
	v_sub_nc_u32_e32 v8, 29, v8
	v_lshlrev_b64 v[10:11], v10, v[6:7]
	v_and_b32_e32 v6, 7, v10
; %bb.1543:                             ;   in Loop: Header=BB198_800 Depth=1
	s_or_b32 exec_lo, exec_lo, s18
	v_mov_b32_e32 v10, 24
	v_lshlrev_b32_e32 v6, 20, v6
	v_lshl_add_u32 v8, v8, 23, 0x3c000000
	v_lshlrev_b32_sdwa v10, v10, v117 dst_sel:DWORD dst_unused:UNUSED_PAD src0_sel:DWORD src1_sel:BYTE_3
	v_and_b32_e32 v10, 0x80000000, v10
	v_or3_b32 v11, v6, v10, v8
	v_mov_b32_e32 v10, v7
.LBB198_1544:                           ;   in Loop: Header=BB198_800 Depth=1
	s_or_b32 exec_lo, exec_lo, s15
.LBB198_1545:                           ;   in Loop: Header=BB198_800 Depth=1
	s_or_b32 exec_lo, exec_lo, s9
.LBB198_1546:                           ;   in Loop: Header=BB198_800 Depth=1
	s_or_b32 exec_lo, exec_lo, s7
	v_or_b32_e32 v6, v20, v18
	v_or_b32_e32 v8, v19, v17
	;; [unrolled: 1-line block ×4, first 2 shown]
	v_mul_f32_e32 v40, v83, v6
	v_mul_f32_e32 v119, v67, v8
	;; [unrolled: 1-line block ×4, first 2 shown]
	s_and_saveexec_b32 s7, vcc_lo
	s_cbranch_execz .LBB198_1548
; %bb.1547:                             ;   in Loop: Header=BB198_800 Depth=1
	v_cmp_lt_i32_e64 s4, v101, v116
	v_cndmask_b32_e64 v119, 0, v119, s4
	v_cmp_lt_i32_e64 s4, v103, v116
	v_cndmask_b32_e64 v40, 0, v40, s4
	v_cmp_lt_i32_e64 s4, v102, v116
	v_cndmask_b32_e64 v118, 0, v118, s4
	v_cmp_lt_i32_e64 s4, v81, v116
	v_cndmask_b32_e64 v117, 0, v117, s4
.LBB198_1548:                           ;   in Loop: Header=BB198_800 Depth=1
	s_or_b32 exec_lo, exec_lo, s7
	flat_load_dword v41, v[0:1] offset:768
	v_mov_b32_e32 v19, 0
	v_mov_b32_e32 v17, 0
	;; [unrolled: 1-line block ×4, first 2 shown]
	s_waitcnt vmcnt(0) lgkmcnt(0)
	v_cmp_ne_u16_sdwa s4, v41, v7 src0_sel:BYTE_0 src1_sel:DWORD
	s_and_saveexec_b32 s7, s4
	s_cbranch_execz .LBB198_1556
; %bb.1549:                             ;   in Loop: Header=BB198_800 Depth=1
	v_bfrev_b32_e32 v17, 1
	v_mov_b32_e32 v18, 0
	v_cmp_ne_u16_sdwa s4, v41, v68 src0_sel:BYTE_0 src1_sel:DWORD
	s_and_saveexec_b32 s9, s4
	s_cbranch_execz .LBB198_1555
; %bb.1550:                             ;   in Loop: Header=BB198_800 Depth=1
	v_mov_b32_e32 v17, 0x7f800001
	v_and_b32_e32 v10, 0x7f, v41
	v_mov_b32_e32 v18, 0
	s_mov_b32 s15, exec_lo
	v_cmpx_ne_u32_e32 0x7f, v10
	s_cbranch_execz .LBB198_1554
; %bb.1551:                             ;   in Loop: Header=BB198_800 Depth=1
	v_and_b32_e32 v6, 7, v41
	v_lshrrev_b32_e32 v8, 3, v10
	s_mov_b32 s18, exec_lo
	v_cmpx_gt_u32_e32 8, v10
; %bb.1552:                             ;   in Loop: Header=BB198_800 Depth=1
	v_ffbh_u32_e32 v8, v6
	v_min_u32_e32 v8, 32, v8
	v_subrev_nc_u32_e32 v10, 28, v8
	v_sub_nc_u32_e32 v8, 29, v8
	v_lshlrev_b64 v[10:11], v10, v[6:7]
	v_and_b32_e32 v6, 7, v10
; %bb.1553:                             ;   in Loop: Header=BB198_800 Depth=1
	s_or_b32 exec_lo, exec_lo, s18
	v_lshlrev_b32_e32 v10, 24, v41
	v_lshlrev_b32_e32 v6, 20, v6
	v_lshl_add_u32 v8, v8, 23, 0x3c000000
	v_and_b32_e32 v10, 0x80000000, v10
	v_or3_b32 v6, v6, v10, v8
	v_mov_b32_e32 v18, v7
	v_mov_b32_e32 v17, v6
.LBB198_1554:                           ;   in Loop: Header=BB198_800 Depth=1
	s_or_b32 exec_lo, exec_lo, s15
.LBB198_1555:                           ;   in Loop: Header=BB198_800 Depth=1
	s_or_b32 exec_lo, exec_lo, s9
.LBB198_1556:                           ;   in Loop: Header=BB198_800 Depth=1
	s_or_b32 exec_lo, exec_lo, s7
	v_cmp_ne_u16_sdwa s4, v41, v7 src0_sel:BYTE_1 src1_sel:DWORD
	s_and_saveexec_b32 s7, s4
	s_cbranch_execz .LBB198_1564
; %bb.1557:                             ;   in Loop: Header=BB198_800 Depth=1
	v_mov_b32_e32 v8, v7
	v_mov_b32_e32 v20, v9
	v_cmp_ne_u16_sdwa s4, v41, v68 src0_sel:BYTE_1 src1_sel:DWORD
	v_mov_b32_e32 v19, v8
	s_and_saveexec_b32 s9, s4
	s_cbranch_execz .LBB198_1563
; %bb.1558:                             ;   in Loop: Header=BB198_800 Depth=1
	v_and_b32_sdwa v6, v44, v41 dst_sel:DWORD dst_unused:UNUSED_PAD src0_sel:DWORD src1_sel:BYTE_1
	v_mov_b32_e32 v11, v7
	v_mov_b32_e32 v20, v12
	s_mov_b32 s15, exec_lo
	v_and_b32_e32 v10, 0x7f, v6
	v_mov_b32_e32 v19, v11
	v_cmpx_ne_u32_e32 0x7f, v10
	s_cbranch_execz .LBB198_1562
; %bb.1559:                             ;   in Loop: Header=BB198_800 Depth=1
	v_and_b32_e32 v6, 7, v6
	v_lshrrev_b32_e32 v8, 3, v10
	s_mov_b32 s18, exec_lo
	v_cmpx_gt_u32_e32 8, v10
; %bb.1560:                             ;   in Loop: Header=BB198_800 Depth=1
	v_ffbh_u32_e32 v8, v6
	v_min_u32_e32 v8, 32, v8
	v_subrev_nc_u32_e32 v10, 28, v8
	v_sub_nc_u32_e32 v8, 29, v8
	v_lshlrev_b64 v[10:11], v10, v[6:7]
	v_and_b32_e32 v6, 7, v10
; %bb.1561:                             ;   in Loop: Header=BB198_800 Depth=1
	s_or_b32 exec_lo, exec_lo, s18
	v_lshlrev_b32_e32 v10, 16, v41
	v_lshlrev_b32_e32 v6, 20, v6
	v_lshl_add_u32 v8, v8, 23, 0x3c000000
	v_mov_b32_e32 v19, v7
	v_and_b32_e32 v10, 0x80000000, v10
	v_or3_b32 v20, v6, v10, v8
.LBB198_1562:                           ;   in Loop: Header=BB198_800 Depth=1
	s_or_b32 exec_lo, exec_lo, s15
.LBB198_1563:                           ;   in Loop: Header=BB198_800 Depth=1
	s_or_b32 exec_lo, exec_lo, s9
.LBB198_1564:                           ;   in Loop: Header=BB198_800 Depth=1
	s_or_b32 exec_lo, exec_lo, s7
	v_mov_b32_e32 v10, 0
	v_mov_b32_e32 v21, 0
	v_and_b32_sdwa v6, v41, v70 dst_sel:DWORD dst_unused:UNUSED_PAD src0_sel:WORD_1 src1_sel:DWORD
	v_mov_b32_e32 v11, 0
	v_mov_b32_e32 v22, 0
	s_mov_b32 s7, exec_lo
	v_cmpx_ne_u16_e32 0, v6
	s_cbranch_execz .LBB198_1572
; %bb.1565:                             ;   in Loop: Header=BB198_800 Depth=1
	v_bfrev_b32_e32 v21, 1
	v_mov_b32_e32 v22, 0
	s_mov_b32 s9, exec_lo
	v_cmpx_ne_u16_e32 0x80, v6
	s_cbranch_execz .LBB198_1571
; %bb.1566:                             ;   in Loop: Header=BB198_800 Depth=1
	v_mov_b32_e32 v21, 0x7f800001
	v_bfe_u32 v42, v41, 16, 7
	v_mov_b32_e32 v22, 0
	s_mov_b32 s15, exec_lo
	v_cmpx_ne_u32_e32 0x7f, v42
	s_cbranch_execz .LBB198_1570
; %bb.1567:                             ;   in Loop: Header=BB198_800 Depth=1
	v_mov_b32_e32 v6, 7
	v_lshrrev_b32_e32 v8, 3, v42
	s_mov_b32 s18, exec_lo
	v_and_b32_sdwa v6, v41, v6 dst_sel:DWORD dst_unused:UNUSED_PAD src0_sel:WORD_1 src1_sel:DWORD
	v_cmpx_gt_u32_e32 8, v42
; %bb.1568:                             ;   in Loop: Header=BB198_800 Depth=1
	v_ffbh_u32_e32 v8, v6
	v_min_u32_e32 v8, 32, v8
	v_subrev_nc_u32_e32 v21, 28, v8
	v_sub_nc_u32_e32 v8, 29, v8
	v_lshlrev_b64 v[21:22], v21, v[6:7]
	v_and_b32_e32 v6, 7, v21
; %bb.1569:                             ;   in Loop: Header=BB198_800 Depth=1
	s_or_b32 exec_lo, exec_lo, s18
	v_mov_b32_e32 v21, 24
	v_lshlrev_b32_e32 v6, 20, v6
	v_lshl_add_u32 v8, v8, 23, 0x3c000000
	v_lshlrev_b32_sdwa v21, v21, v41 dst_sel:DWORD dst_unused:UNUSED_PAD src0_sel:DWORD src1_sel:WORD_1
	v_and_b32_e32 v21, 0x80000000, v21
	v_or3_b32 v6, v6, v21, v8
	v_mov_b32_e32 v22, v7
	v_mov_b32_e32 v21, v6
.LBB198_1570:                           ;   in Loop: Header=BB198_800 Depth=1
	s_or_b32 exec_lo, exec_lo, s15
.LBB198_1571:                           ;   in Loop: Header=BB198_800 Depth=1
	s_or_b32 exec_lo, exec_lo, s9
.LBB198_1572:                           ;   in Loop: Header=BB198_800 Depth=1
	s_or_b32 exec_lo, exec_lo, s7
	s_mov_b32 s7, exec_lo
	v_cmpx_lt_u32_e32 0xffffff, v41
	s_cbranch_execz .LBB198_1580
; %bb.1573:                             ;   in Loop: Header=BB198_800 Depth=1
	v_mov_b32_e32 v8, v7
	v_mov_b32_e32 v11, v9
	v_cmp_ne_u32_sdwa s4, v41, v68 src0_sel:BYTE_3 src1_sel:DWORD
	v_mov_b32_e32 v10, v8
	s_and_saveexec_b32 s9, s4
	s_cbranch_execz .LBB198_1579
; %bb.1574:                             ;   in Loop: Header=BB198_800 Depth=1
	v_mov_b32_e32 v11, v7
	v_bfe_u32 v42, v41, 24, 7
	s_mov_b32 s15, exec_lo
	v_mov_b32_e32 v10, v11
	v_mov_b32_e32 v11, v12
	v_cmpx_ne_u32_e32 0x7f, v42
	s_cbranch_execz .LBB198_1578
; %bb.1575:                             ;   in Loop: Header=BB198_800 Depth=1
	v_mov_b32_e32 v6, 7
	v_lshrrev_b32_e32 v8, 3, v42
	s_mov_b32 s18, exec_lo
	v_and_b32_sdwa v6, v41, v6 dst_sel:DWORD dst_unused:UNUSED_PAD src0_sel:BYTE_3 src1_sel:DWORD
	v_cmpx_gt_u32_e32 8, v42
; %bb.1576:                             ;   in Loop: Header=BB198_800 Depth=1
	v_ffbh_u32_e32 v8, v6
	v_min_u32_e32 v8, 32, v8
	v_subrev_nc_u32_e32 v10, 28, v8
	v_sub_nc_u32_e32 v8, 29, v8
	v_lshlrev_b64 v[10:11], v10, v[6:7]
	v_and_b32_e32 v6, 7, v10
; %bb.1577:                             ;   in Loop: Header=BB198_800 Depth=1
	s_or_b32 exec_lo, exec_lo, s18
	v_mov_b32_e32 v10, 24
	v_lshlrev_b32_e32 v6, 20, v6
	v_lshl_add_u32 v8, v8, 23, 0x3c000000
	v_lshlrev_b32_sdwa v10, v10, v41 dst_sel:DWORD dst_unused:UNUSED_PAD src0_sel:DWORD src1_sel:BYTE_3
	v_and_b32_e32 v10, 0x80000000, v10
	v_or3_b32 v11, v6, v10, v8
	v_mov_b32_e32 v10, v7
.LBB198_1578:                           ;   in Loop: Header=BB198_800 Depth=1
	s_or_b32 exec_lo, exec_lo, s15
.LBB198_1579:                           ;   in Loop: Header=BB198_800 Depth=1
	s_or_b32 exec_lo, exec_lo, s9
.LBB198_1580:                           ;   in Loop: Header=BB198_800 Depth=1
	s_or_b32 exec_lo, exec_lo, s7
	v_or_b32_e32 v6, v20, v18
	v_or_b32_e32 v8, v19, v17
	;; [unrolled: 1-line block ×4, first 2 shown]
	v_mul_f32_e32 v42, v83, v6
	v_mul_f32_e32 v41, v67, v8
	;; [unrolled: 1-line block ×4, first 2 shown]
	s_and_saveexec_b32 s7, vcc_lo
	s_cbranch_execz .LBB198_1582
; %bb.1581:                             ;   in Loop: Header=BB198_800 Depth=1
	v_cmp_lt_i32_e64 s4, v101, v116
	v_cndmask_b32_e64 v41, 0, v41, s4
	v_cmp_lt_i32_e64 s4, v103, v116
	v_cndmask_b32_e64 v42, 0, v42, s4
	;; [unrolled: 2-line block ×4, first 2 shown]
.LBB198_1582:                           ;   in Loop: Header=BB198_800 Depth=1
	s_or_b32 exec_lo, exec_lo, s7
	flat_load_dword v43, v[0:1] offset:896
	v_mov_b32_e32 v17, 0
	v_mov_b32_e32 v0, 0
	;; [unrolled: 1-line block ×4, first 2 shown]
	s_waitcnt vmcnt(0) lgkmcnt(0)
	v_cmp_ne_u16_sdwa s4, v43, v7 src0_sel:BYTE_0 src1_sel:DWORD
	s_and_saveexec_b32 s7, s4
	s_cbranch_execz .LBB198_1590
; %bb.1583:                             ;   in Loop: Header=BB198_800 Depth=1
	v_bfrev_b32_e32 v0, 1
	v_mov_b32_e32 v1, 0
	v_cmp_ne_u16_sdwa s4, v43, v68 src0_sel:BYTE_0 src1_sel:DWORD
	s_and_saveexec_b32 s9, s4
	s_cbranch_execz .LBB198_1589
; %bb.1584:                             ;   in Loop: Header=BB198_800 Depth=1
	v_mov_b32_e32 v0, 0x7f800001
	v_and_b32_e32 v8, 0x7f, v43
	v_mov_b32_e32 v1, 0
	s_mov_b32 s15, exec_lo
	v_cmpx_ne_u32_e32 0x7f, v8
	s_cbranch_execz .LBB198_1588
; %bb.1585:                             ;   in Loop: Header=BB198_800 Depth=1
	v_and_b32_e32 v6, 7, v43
	v_lshrrev_b32_e32 v0, 3, v8
	s_mov_b32 s18, exec_lo
	v_cmpx_gt_u32_e32 8, v8
; %bb.1586:                             ;   in Loop: Header=BB198_800 Depth=1
	v_ffbh_u32_e32 v0, v6
	v_min_u32_e32 v0, 32, v0
	v_subrev_nc_u32_e32 v1, 28, v0
	v_sub_nc_u32_e32 v0, 29, v0
	v_lshlrev_b64 v[10:11], v1, v[6:7]
	v_and_b32_e32 v6, 7, v10
; %bb.1587:                             ;   in Loop: Header=BB198_800 Depth=1
	s_or_b32 exec_lo, exec_lo, s18
	v_lshlrev_b32_e32 v1, 24, v43
	v_lshlrev_b32_e32 v6, 20, v6
	v_lshl_add_u32 v0, v0, 23, 0x3c000000
	v_and_b32_e32 v1, 0x80000000, v1
	v_or3_b32 v6, v6, v1, v0
	v_mov_b32_e32 v0, v6
	v_mov_b32_e32 v1, v7
.LBB198_1588:                           ;   in Loop: Header=BB198_800 Depth=1
	s_or_b32 exec_lo, exec_lo, s15
.LBB198_1589:                           ;   in Loop: Header=BB198_800 Depth=1
	s_or_b32 exec_lo, exec_lo, s9
.LBB198_1590:                           ;   in Loop: Header=BB198_800 Depth=1
	s_or_b32 exec_lo, exec_lo, s7
	v_cmp_ne_u16_sdwa s4, v43, v7 src0_sel:BYTE_1 src1_sel:DWORD
	s_and_saveexec_b32 s7, s4
	s_cbranch_execz .LBB198_1598
; %bb.1591:                             ;   in Loop: Header=BB198_800 Depth=1
	v_mov_b32_e32 v8, v7
	v_mov_b32_e32 v18, v9
	v_cmp_ne_u16_sdwa s4, v43, v68 src0_sel:BYTE_1 src1_sel:DWORD
	v_mov_b32_e32 v17, v8
	s_and_saveexec_b32 s9, s4
	s_cbranch_execz .LBB198_1597
; %bb.1592:                             ;   in Loop: Header=BB198_800 Depth=1
	v_and_b32_sdwa v6, v44, v43 dst_sel:DWORD dst_unused:UNUSED_PAD src0_sel:DWORD src1_sel:BYTE_1
	v_mov_b32_e32 v11, v7
	v_mov_b32_e32 v18, v12
	s_mov_b32 s15, exec_lo
	v_and_b32_e32 v10, 0x7f, v6
	v_mov_b32_e32 v17, v11
	v_cmpx_ne_u32_e32 0x7f, v10
	s_cbranch_execz .LBB198_1596
; %bb.1593:                             ;   in Loop: Header=BB198_800 Depth=1
	v_and_b32_e32 v6, 7, v6
	v_lshrrev_b32_e32 v8, 3, v10
	s_mov_b32 s18, exec_lo
	v_cmpx_gt_u32_e32 8, v10
; %bb.1594:                             ;   in Loop: Header=BB198_800 Depth=1
	v_ffbh_u32_e32 v8, v6
	v_min_u32_e32 v8, 32, v8
	v_subrev_nc_u32_e32 v10, 28, v8
	v_sub_nc_u32_e32 v8, 29, v8
	v_lshlrev_b64 v[10:11], v10, v[6:7]
	v_and_b32_e32 v6, 7, v10
; %bb.1595:                             ;   in Loop: Header=BB198_800 Depth=1
	s_or_b32 exec_lo, exec_lo, s18
	v_lshlrev_b32_e32 v10, 16, v43
	v_lshlrev_b32_e32 v6, 20, v6
	v_lshl_add_u32 v8, v8, 23, 0x3c000000
	v_mov_b32_e32 v17, v7
	v_and_b32_e32 v10, 0x80000000, v10
	v_or3_b32 v18, v6, v10, v8
.LBB198_1596:                           ;   in Loop: Header=BB198_800 Depth=1
	s_or_b32 exec_lo, exec_lo, s15
.LBB198_1597:                           ;   in Loop: Header=BB198_800 Depth=1
	s_or_b32 exec_lo, exec_lo, s9
.LBB198_1598:                           ;   in Loop: Header=BB198_800 Depth=1
	s_or_b32 exec_lo, exec_lo, s7
	v_mov_b32_e32 v10, 0
	v_mov_b32_e32 v19, 0
	v_and_b32_sdwa v6, v43, v70 dst_sel:DWORD dst_unused:UNUSED_PAD src0_sel:WORD_1 src1_sel:DWORD
	v_mov_b32_e32 v11, 0
	v_mov_b32_e32 v20, 0
	s_mov_b32 s7, exec_lo
	v_cmpx_ne_u16_e32 0, v6
	s_cbranch_execz .LBB198_1606
; %bb.1599:                             ;   in Loop: Header=BB198_800 Depth=1
	v_bfrev_b32_e32 v19, 1
	v_mov_b32_e32 v20, 0
	s_mov_b32 s9, exec_lo
	v_cmpx_ne_u16_e32 0x80, v6
	s_cbranch_execz .LBB198_1605
; %bb.1600:                             ;   in Loop: Header=BB198_800 Depth=1
	v_mov_b32_e32 v19, 0x7f800001
	v_bfe_u32 v44, v43, 16, 7
	v_mov_b32_e32 v20, 0
	s_mov_b32 s15, exec_lo
	v_cmpx_ne_u32_e32 0x7f, v44
	s_cbranch_execz .LBB198_1604
; %bb.1601:                             ;   in Loop: Header=BB198_800 Depth=1
	v_mov_b32_e32 v6, 7
	v_lshrrev_b32_e32 v8, 3, v44
	s_mov_b32 s18, exec_lo
	v_and_b32_sdwa v6, v43, v6 dst_sel:DWORD dst_unused:UNUSED_PAD src0_sel:WORD_1 src1_sel:DWORD
	v_cmpx_gt_u32_e32 8, v44
; %bb.1602:                             ;   in Loop: Header=BB198_800 Depth=1
	v_ffbh_u32_e32 v8, v6
	v_min_u32_e32 v8, 32, v8
	v_subrev_nc_u32_e32 v19, 28, v8
	v_sub_nc_u32_e32 v8, 29, v8
	v_lshlrev_b64 v[19:20], v19, v[6:7]
	v_and_b32_e32 v6, 7, v19
; %bb.1603:                             ;   in Loop: Header=BB198_800 Depth=1
	s_or_b32 exec_lo, exec_lo, s18
	v_mov_b32_e32 v19, 24
	v_lshlrev_b32_e32 v6, 20, v6
	v_lshl_add_u32 v8, v8, 23, 0x3c000000
	v_lshlrev_b32_sdwa v19, v19, v43 dst_sel:DWORD dst_unused:UNUSED_PAD src0_sel:DWORD src1_sel:WORD_1
	v_and_b32_e32 v19, 0x80000000, v19
	v_or3_b32 v6, v6, v19, v8
	v_mov_b32_e32 v20, v7
	v_mov_b32_e32 v19, v6
.LBB198_1604:                           ;   in Loop: Header=BB198_800 Depth=1
	s_or_b32 exec_lo, exec_lo, s15
	v_mov_b32_e32 v44, 0xffff
.LBB198_1605:                           ;   in Loop: Header=BB198_800 Depth=1
	s_or_b32 exec_lo, exec_lo, s9
.LBB198_1606:                           ;   in Loop: Header=BB198_800 Depth=1
	s_or_b32 exec_lo, exec_lo, s7
	s_mov_b32 s7, exec_lo
	v_cmpx_lt_u32_e32 0xffffff, v43
	s_cbranch_execz .LBB198_1614
; %bb.1607:                             ;   in Loop: Header=BB198_800 Depth=1
	v_mov_b32_e32 v8, v7
	v_mov_b32_e32 v11, v9
	v_cmp_ne_u32_sdwa s4, v43, v68 src0_sel:BYTE_3 src1_sel:DWORD
	v_mov_b32_e32 v10, v8
	s_and_saveexec_b32 s9, s4
	s_cbranch_execz .LBB198_1613
; %bb.1608:                             ;   in Loop: Header=BB198_800 Depth=1
	v_mov_b32_e32 v11, v7
	v_bfe_u32 v44, v43, 24, 7
	s_mov_b32 s15, exec_lo
	v_mov_b32_e32 v10, v11
	v_mov_b32_e32 v11, v12
	v_cmpx_ne_u32_e32 0x7f, v44
	s_cbranch_execz .LBB198_1612
; %bb.1609:                             ;   in Loop: Header=BB198_800 Depth=1
	v_mov_b32_e32 v6, 7
	v_lshrrev_b32_e32 v8, 3, v44
	s_mov_b32 s18, exec_lo
	v_and_b32_sdwa v6, v43, v6 dst_sel:DWORD dst_unused:UNUSED_PAD src0_sel:BYTE_3 src1_sel:DWORD
	v_cmpx_gt_u32_e32 8, v44
; %bb.1610:                             ;   in Loop: Header=BB198_800 Depth=1
	v_ffbh_u32_e32 v8, v6
	v_min_u32_e32 v8, 32, v8
	v_subrev_nc_u32_e32 v10, 28, v8
	v_sub_nc_u32_e32 v8, 29, v8
	v_lshlrev_b64 v[10:11], v10, v[6:7]
	v_and_b32_e32 v6, 7, v10
; %bb.1611:                             ;   in Loop: Header=BB198_800 Depth=1
	s_or_b32 exec_lo, exec_lo, s18
	v_mov_b32_e32 v10, 24
	v_lshlrev_b32_e32 v6, 20, v6
	v_lshl_add_u32 v8, v8, 23, 0x3c000000
	v_lshlrev_b32_sdwa v10, v10, v43 dst_sel:DWORD dst_unused:UNUSED_PAD src0_sel:DWORD src1_sel:BYTE_3
	v_and_b32_e32 v10, 0x80000000, v10
	v_or3_b32 v11, v6, v10, v8
	v_mov_b32_e32 v10, v7
.LBB198_1612:                           ;   in Loop: Header=BB198_800 Depth=1
	s_or_b32 exec_lo, exec_lo, s15
	v_mov_b32_e32 v44, 0xffff
.LBB198_1613:                           ;   in Loop: Header=BB198_800 Depth=1
	s_or_b32 exec_lo, exec_lo, s9
.LBB198_1614:                           ;   in Loop: Header=BB198_800 Depth=1
	s_or_b32 exec_lo, exec_lo, s7
	v_or_b32_e32 v1, v18, v1
	v_or_b32_e32 v0, v17, v0
	v_or_b32_e32 v10, v10, v19
	v_or_b32_e32 v11, v11, v20
	v_mul_f32_e32 v8, v83, v1
	v_mul_f32_e32 v6, v67, v0
	;; [unrolled: 1-line block ×4, first 2 shown]
	s_and_saveexec_b32 s4, vcc_lo
	s_cbranch_execz .LBB198_799
; %bb.1615:                             ;   in Loop: Header=BB198_800 Depth=1
	v_cmp_lt_i32_e32 vcc_lo, v101, v116
	v_cndmask_b32_e32 v6, 0, v6, vcc_lo
	v_cmp_lt_i32_e32 vcc_lo, v103, v116
	v_cndmask_b32_e32 v8, 0, v8, vcc_lo
	;; [unrolled: 2-line block ×4, first 2 shown]
	s_branch .LBB198_799
.LBB198_1616:
	s_or_b32 exec_lo, exec_lo, s6
	s_clause 0x3
	buffer_load_dword v69, off, s[0:3], s32 offset:348
	buffer_load_dword v25, off, s[0:3], s32 offset:356
	;; [unrolled: 1-line block ×4, first 2 shown]
	v_mov_b32_e32 v0, s16
	v_mov_b32_e32 v1, s17
.LBB198_1617:
	s_or_b32 exec_lo, exec_lo, s5
	v_lshlrev_b64 v[0:1], 2, v[0:1]
	s_getpc_b64 s[4:5]
	s_add_u32 s4, s4, llvm.amdgcn.dynlds.offset.table@rel32@lo+4
	s_addc_u32 s5, s5, llvm.amdgcn.dynlds.offset.table@rel32@hi+12
	s_waitcnt vmcnt(0)
	s_waitcnt_vscnt null, 0x0
	s_barrier
	buffer_gl0_inv
	s_clause 0x1
	buffer_load_dword v67, off, s[0:3], s32 offset:960
	buffer_load_dword v68, off, s[0:3], s32 offset:956
	v_add_co_u32 v0, vcc_lo, s4, v0
	v_add_co_ci_u32_e64 v1, null, s5, v1, vcc_lo
	ds_bpermute_b32 v2, v26, v65
	ds_bpermute_b32 v3, v26, v64
	;; [unrolled: 1-line block ×3, first 2 shown]
	global_load_dword v24, v[0:1], off
	ds_bpermute_b32 v0, v26, v55
	ds_bpermute_b32 v1, v26, v66
	;; [unrolled: 1-line block ×21, first 2 shown]
	s_waitcnt lgkmcnt(20)
	v_add_f32_e32 v0, v55, v0
	s_waitcnt lgkmcnt(19)
	v_add_f32_e32 v1, v66, v1
	v_add_f32_e32 v2, v65, v2
	v_add_f32_e32 v3, v64, v3
	v_add_f32_e32 v4, v54, v4
	s_waitcnt lgkmcnt(18)
	v_add_f32_e32 v5, v53, v5
	s_waitcnt lgkmcnt(17)
	v_add_f32_e32 v6, v52, v6
	s_waitcnt lgkmcnt(16)
	v_add_f32_e32 v7, v51, v7
	s_waitcnt lgkmcnt(15)
	v_add_f32_e32 v8, v50, v8
	s_waitcnt lgkmcnt(14)
	v_add_f32_e32 v9, v49, v9
	s_waitcnt lgkmcnt(13)
	v_add_f32_e32 v10, v48, v10
	s_waitcnt lgkmcnt(12)
	v_add_f32_e32 v11, v39, v11
	s_waitcnt lgkmcnt(11)
	v_add_f32_e32 v12, v38, v12
	s_waitcnt lgkmcnt(10)
	v_add_f32_e32 v13, v37, v13
	s_waitcnt lgkmcnt(9)
	v_add_f32_e32 v14, v36, v14
	s_waitcnt lgkmcnt(8)
	v_add_f32_e32 v15, v35, v15
	s_waitcnt lgkmcnt(7)
	v_add_f32_e32 v16, v34, v16
	s_waitcnt lgkmcnt(6)
	v_add_f32_e32 v17, v33, v17
	s_waitcnt lgkmcnt(5)
	v_add_f32_e32 v18, v32, v18
	s_waitcnt lgkmcnt(4)
	v_add_f32_e32 v19, v31, v19
	s_waitcnt lgkmcnt(3)
	v_add_f32_e32 v20, v30, v20
	s_waitcnt lgkmcnt(2)
	v_add_f32_e32 v21, v29, v21
	s_waitcnt lgkmcnt(1)
	v_add_f32_e32 v22, v28, v22
	s_waitcnt lgkmcnt(0)
	v_add_f32_e32 v23, v27, v23
	ds_bpermute_b32 v27, v69, v0
	ds_bpermute_b32 v28, v69, v1
	;; [unrolled: 1-line block ×24, first 2 shown]
	v_lshrrev_b32_e32 v26, 2, v25
	v_and_b32_e32 v25, 28, v25
	s_waitcnt lgkmcnt(23)
	v_add_f32_e32 v0, v0, v27
	s_waitcnt lgkmcnt(22)
	v_add_f32_e32 v1, v1, v28
	;; [unrolled: 2-line block ×24, first 2 shown]
	s_mov_b32 s4, exec_lo
	s_waitcnt vmcnt(2)
	v_mul_u32_u24_e32 v67, 0x300, v67
	s_waitcnt vmcnt(1)
	v_and_b32_e32 v68, 0x3c3, v68
	s_waitcnt vmcnt(0)
	v_add_nc_u32_e32 v25, v24, v25
	v_cmpx_eq_u32_e32 64, v68
	s_cbranch_execz .LBB198_1619
; %bb.1618:
	v_add_nc_u32_e32 v27, v25, v67
	v_add_nc_u32_e32 v28, 0xfffffa00, v27
	;; [unrolled: 1-line block ×7, first 2 shown]
	ds_write_b32 v28, v0
	ds_write_b32 v29, v1
	ds_write_b32 v30, v2
	ds_write_b32 v31, v3
	v_add_nc_u32_e32 v28, 0xfffffac0, v27
	v_add_nc_u32_e32 v29, 0xfffffae0, v27
	v_add_nc_u32_e32 v30, 0xfffffb00, v27
	ds_write_b32 v32, v4
	ds_write_b32 v33, v5
	ds_write_b32 v28, v6
	ds_write_b32 v29, v7
	ds_write_b32 v30, v8
	v_add_nc_u32_e32 v28, 0xfffffb20, v27
	v_add_nc_u32_e32 v29, 0xfffffb40, v27
	v_add_nc_u32_e32 v30, 0xfffffb60, v27
	v_add_nc_u32_e32 v31, 0xfffffb80, v27
	v_add_nc_u32_e32 v32, 0xfffffba0, v27
	ds_write_b32 v28, v9
	ds_write_b32 v29, v10
	ds_write_b32 v30, v11
	ds_write_b32 v31, v12
	ds_write_b32 v32, v13
	v_add_nc_u32_e32 v28, 0xfffffbc0, v27
	v_add_nc_u32_e32 v29, 0xfffffbe0, v27
	;; [unrolled: 10-line block ×3, first 2 shown]
	v_add_nc_u32_e32 v30, 0xfffffca0, v27
	v_add_nc_u32_e32 v31, 0xfffffcc0, v27
	;; [unrolled: 1-line block ×3, first 2 shown]
	ds_write_b32 v28, v19
	ds_write_b32 v29, v20
	;; [unrolled: 1-line block ×5, first 2 shown]
.LBB198_1619:
	s_or_b32 exec_lo, exec_lo, s4
	v_lshlrev_b32_e32 v26, 2, v26
	s_mov_b32 s5, exec_lo
	v_cmp_eq_u32_e32 vcc_lo, 0, v70
	v_add3_u32 v24, v24, v67, v26
	buffer_load_dword v26, off, s[0:3], s32 offset:956 ; 4-byte Folded Reload
	s_waitcnt vmcnt(0) lgkmcnt(0)
	s_barrier
	buffer_gl0_inv
	v_cmpx_gt_u32_e32 64, v26
	s_cbranch_execz .LBB198_1646
; %bb.1620:
	s_and_saveexec_b32 s4, vcc_lo
	s_cbranch_execnz .LBB198_1678
; %bb.1621:
	s_or_b32 exec_lo, exec_lo, s4
	s_and_saveexec_b32 s4, vcc_lo
	s_cbranch_execnz .LBB198_1679
.LBB198_1622:
	s_or_b32 exec_lo, exec_lo, s4
	s_and_saveexec_b32 s4, vcc_lo
	s_cbranch_execnz .LBB198_1680
.LBB198_1623:
	s_or_b32 exec_lo, exec_lo, s4
	s_and_saveexec_b32 s4, vcc_lo
	s_cbranch_execnz .LBB198_1681
.LBB198_1624:
	s_or_b32 exec_lo, exec_lo, s4
	s_and_saveexec_b32 s4, vcc_lo
	s_cbranch_execnz .LBB198_1682
.LBB198_1625:
	s_or_b32 exec_lo, exec_lo, s4
	s_and_saveexec_b32 s4, vcc_lo
	s_cbranch_execnz .LBB198_1683
.LBB198_1626:
	s_or_b32 exec_lo, exec_lo, s4
	s_and_saveexec_b32 s4, vcc_lo
	s_cbranch_execnz .LBB198_1684
.LBB198_1627:
	s_or_b32 exec_lo, exec_lo, s4
	s_and_saveexec_b32 s4, vcc_lo
	s_cbranch_execnz .LBB198_1685
.LBB198_1628:
	s_or_b32 exec_lo, exec_lo, s4
	s_and_saveexec_b32 s4, vcc_lo
	s_cbranch_execnz .LBB198_1686
.LBB198_1629:
	s_or_b32 exec_lo, exec_lo, s4
	s_and_saveexec_b32 s4, vcc_lo
	s_cbranch_execnz .LBB198_1687
.LBB198_1630:
	s_or_b32 exec_lo, exec_lo, s4
	s_and_saveexec_b32 s4, vcc_lo
	s_cbranch_execnz .LBB198_1688
.LBB198_1631:
	s_or_b32 exec_lo, exec_lo, s4
	s_and_saveexec_b32 s4, vcc_lo
	s_cbranch_execnz .LBB198_1689
.LBB198_1632:
	s_or_b32 exec_lo, exec_lo, s4
	s_and_saveexec_b32 s4, vcc_lo
	s_cbranch_execnz .LBB198_1690
.LBB198_1633:
	s_or_b32 exec_lo, exec_lo, s4
	s_and_saveexec_b32 s4, vcc_lo
	s_cbranch_execnz .LBB198_1691
.LBB198_1634:
	s_or_b32 exec_lo, exec_lo, s4
	s_and_saveexec_b32 s4, vcc_lo
	s_cbranch_execnz .LBB198_1692
.LBB198_1635:
	s_or_b32 exec_lo, exec_lo, s4
	s_and_saveexec_b32 s4, vcc_lo
	s_cbranch_execnz .LBB198_1693
.LBB198_1636:
	s_or_b32 exec_lo, exec_lo, s4
	s_and_saveexec_b32 s4, vcc_lo
	s_cbranch_execnz .LBB198_1694
.LBB198_1637:
	s_or_b32 exec_lo, exec_lo, s4
	s_and_saveexec_b32 s4, vcc_lo
	s_cbranch_execnz .LBB198_1695
.LBB198_1638:
	s_or_b32 exec_lo, exec_lo, s4
	s_and_saveexec_b32 s4, vcc_lo
	s_cbranch_execnz .LBB198_1696
.LBB198_1639:
	s_or_b32 exec_lo, exec_lo, s4
	s_and_saveexec_b32 s4, vcc_lo
	s_cbranch_execnz .LBB198_1697
.LBB198_1640:
	s_or_b32 exec_lo, exec_lo, s4
	s_and_saveexec_b32 s4, vcc_lo
	s_cbranch_execnz .LBB198_1698
.LBB198_1641:
	s_or_b32 exec_lo, exec_lo, s4
	s_and_saveexec_b32 s4, vcc_lo
	s_cbranch_execnz .LBB198_1699
.LBB198_1642:
	s_or_b32 exec_lo, exec_lo, s4
	s_and_saveexec_b32 s4, vcc_lo
	s_cbranch_execnz .LBB198_1700
.LBB198_1643:
	s_or_b32 exec_lo, exec_lo, s4
	s_and_saveexec_b32 s4, vcc_lo
	s_cbranch_execz .LBB198_1645
.LBB198_1644:
	ds_read_b32 v26, v24 offset:736
	s_waitcnt lgkmcnt(0)
	v_add_f32_e32 v23, v26, v23
.LBB198_1645:
	s_or_b32 exec_lo, exec_lo, s4
.LBB198_1646:
	s_or_b32 exec_lo, exec_lo, s5
	buffer_load_dword v26, off, s[0:3], s32 offset:956 ; 4-byte Folded Reload
	s_mov_b32 s5, exec_lo
	s_waitcnt vmcnt(0)
	s_barrier
	buffer_gl0_inv
	v_and_b32_e32 v26, 0x3e3, v26
	v_cmpx_eq_u32_e32 32, v26
	s_cbranch_execz .LBB198_1648
; %bb.1647:
	ds_write2_b32 v25, v0, v1 offset1:8
	ds_write2_b32 v25, v2, v3 offset0:16 offset1:24
	ds_write2_b32 v25, v4, v5 offset0:32 offset1:40
	;; [unrolled: 1-line block ×11, first 2 shown]
.LBB198_1648:
	s_or_b32 exec_lo, exec_lo, s5
	buffer_load_dword v25, off, s[0:3], s32 offset:956 ; 4-byte Folded Reload
	s_mov_b32 s5, exec_lo
	s_waitcnt vmcnt(0) lgkmcnt(0)
	s_barrier
	buffer_gl0_inv
	v_cmpx_gt_u32_e32 32, v25
	s_cbranch_execz .LBB198_1675
; %bb.1649:
	s_and_saveexec_b32 s4, vcc_lo
	s_cbranch_execnz .LBB198_1701
; %bb.1650:
	s_or_b32 exec_lo, exec_lo, s4
	s_and_saveexec_b32 s4, vcc_lo
	s_cbranch_execnz .LBB198_1702
.LBB198_1651:
	s_or_b32 exec_lo, exec_lo, s4
	s_and_saveexec_b32 s4, vcc_lo
	s_cbranch_execnz .LBB198_1703
.LBB198_1652:
	s_or_b32 exec_lo, exec_lo, s4
	s_and_saveexec_b32 s4, vcc_lo
	s_cbranch_execnz .LBB198_1704
.LBB198_1653:
	s_or_b32 exec_lo, exec_lo, s4
	s_and_saveexec_b32 s4, vcc_lo
	s_cbranch_execnz .LBB198_1705
.LBB198_1654:
	s_or_b32 exec_lo, exec_lo, s4
	s_and_saveexec_b32 s4, vcc_lo
	s_cbranch_execnz .LBB198_1706
.LBB198_1655:
	s_or_b32 exec_lo, exec_lo, s4
	s_and_saveexec_b32 s4, vcc_lo
	s_cbranch_execnz .LBB198_1707
.LBB198_1656:
	s_or_b32 exec_lo, exec_lo, s4
	s_and_saveexec_b32 s4, vcc_lo
	s_cbranch_execnz .LBB198_1708
.LBB198_1657:
	s_or_b32 exec_lo, exec_lo, s4
	s_and_saveexec_b32 s4, vcc_lo
	s_cbranch_execnz .LBB198_1709
.LBB198_1658:
	s_or_b32 exec_lo, exec_lo, s4
	s_and_saveexec_b32 s4, vcc_lo
	s_cbranch_execnz .LBB198_1710
.LBB198_1659:
	s_or_b32 exec_lo, exec_lo, s4
	s_and_saveexec_b32 s4, vcc_lo
	s_cbranch_execnz .LBB198_1711
.LBB198_1660:
	s_or_b32 exec_lo, exec_lo, s4
	s_and_saveexec_b32 s4, vcc_lo
	s_cbranch_execnz .LBB198_1712
.LBB198_1661:
	s_or_b32 exec_lo, exec_lo, s4
	s_and_saveexec_b32 s4, vcc_lo
	s_cbranch_execnz .LBB198_1713
.LBB198_1662:
	s_or_b32 exec_lo, exec_lo, s4
	s_and_saveexec_b32 s4, vcc_lo
	s_cbranch_execnz .LBB198_1714
.LBB198_1663:
	s_or_b32 exec_lo, exec_lo, s4
	s_and_saveexec_b32 s4, vcc_lo
	s_cbranch_execnz .LBB198_1715
.LBB198_1664:
	s_or_b32 exec_lo, exec_lo, s4
	s_and_saveexec_b32 s4, vcc_lo
	s_cbranch_execnz .LBB198_1716
.LBB198_1665:
	s_or_b32 exec_lo, exec_lo, s4
	s_and_saveexec_b32 s4, vcc_lo
	s_cbranch_execnz .LBB198_1717
.LBB198_1666:
	s_or_b32 exec_lo, exec_lo, s4
	s_and_saveexec_b32 s4, vcc_lo
	s_cbranch_execnz .LBB198_1718
.LBB198_1667:
	s_or_b32 exec_lo, exec_lo, s4
	s_and_saveexec_b32 s4, vcc_lo
	s_cbranch_execnz .LBB198_1719
.LBB198_1668:
	s_or_b32 exec_lo, exec_lo, s4
	s_and_saveexec_b32 s4, vcc_lo
	s_cbranch_execnz .LBB198_1720
.LBB198_1669:
	s_or_b32 exec_lo, exec_lo, s4
	s_and_saveexec_b32 s4, vcc_lo
	s_cbranch_execnz .LBB198_1721
.LBB198_1670:
	s_or_b32 exec_lo, exec_lo, s4
	s_and_saveexec_b32 s4, vcc_lo
	s_cbranch_execnz .LBB198_1722
.LBB198_1671:
	s_or_b32 exec_lo, exec_lo, s4
	s_and_saveexec_b32 s4, vcc_lo
	s_cbranch_execnz .LBB198_1723
.LBB198_1672:
	s_or_b32 exec_lo, exec_lo, s4
	s_and_saveexec_b32 s4, vcc_lo
	s_cbranch_execz .LBB198_1674
.LBB198_1673:
	ds_read_b32 v24, v24 offset:736
	s_waitcnt lgkmcnt(0)
	v_add_f32_e32 v23, v24, v23
.LBB198_1674:
	s_or_b32 exec_lo, exec_lo, s4
.LBB198_1675:
	s_or_b32 exec_lo, exec_lo, s5
	s_mov_b32 s4, exec_lo
	s_barrier
	buffer_gl0_inv
	v_cmpx_eq_u32_e32 0, v26
	s_cbranch_execz .LBB198_1677
; %bb.1676:
	s_clause 0x2
	buffer_load_dword v24, off, s[0:3], s32 offset:968
	buffer_load_dword v25, off, s[0:3], s32 offset:964
	;; [unrolled: 1-line block ×3, first 2 shown]
	s_and_b32 s5, 0xffff, s8
	s_mul_i32 s6, s14, 0xc0
	s_cmp_lg_u32 s5, 0
	s_cselect_b32 s5, -1, 0
	s_cmp_lg_u32 s5, 0
	s_addc_u32 s5, s13, 0
	s_mul_i32 s7, s5, s10
	s_mul_i32 s10, s12, s5
	;; [unrolled: 1-line block ×3, first 2 shown]
	s_ashr_i32 s11, s10, 31
	s_mulk_i32 s8, 0xc0
	s_ashr_i32 s7, s6, 31
	s_ashr_i32 s9, s8, 31
	s_lshl_b64 s[6:7], s[6:7], 2
	s_lshl_b64 s[8:9], s[8:9], 2
	s_waitcnt vmcnt(2)
	v_add_co_u32 v24, vcc_lo, v24, s8
	s_waitcnt vmcnt(1)
	v_add_co_ci_u32_e64 v25, null, s9, v25, vcc_lo
	s_lshl_b64 s[8:9], s[10:11], 2
	v_add_co_u32 v24, vcc_lo, v24, s8
	v_add_co_ci_u32_e64 v25, null, s9, v25, vcc_lo
	v_add_co_u32 v24, vcc_lo, v24, s6
	v_add_co_ci_u32_e64 v25, null, s7, v25, vcc_lo
	s_waitcnt vmcnt(0)
	v_add_co_u32 v24, vcc_lo, v24, v26
	v_add_co_ci_u32_e64 v25, null, 0, v25, vcc_lo
	flat_store_dword v[24:25], v0
	flat_store_dword v[24:25], v1 offset:32
	flat_store_dword v[24:25], v2 offset:64
	;; [unrolled: 1-line block ×23, first 2 shown]
.LBB198_1677:
	s_or_b32 exec_lo, exec_lo, s4
	s_clause 0x2f
	buffer_load_dword v127, off, s[0:3], s32
	buffer_load_dword v126, off, s[0:3], s32 offset:4
	buffer_load_dword v125, off, s[0:3], s32 offset:8
	;; [unrolled: 1-line block ×47, first 2 shown]
	s_waitcnt vmcnt(0) lgkmcnt(0)
	s_setpc_b64 s[30:31]
.LBB198_1678:
	ds_read_b32 v26, v24
	s_waitcnt lgkmcnt(0)
	v_add_f32_e32 v0, v26, v0
	s_or_b32 exec_lo, exec_lo, s4
	s_and_saveexec_b32 s4, vcc_lo
	s_cbranch_execz .LBB198_1622
.LBB198_1679:
	ds_read_b32 v26, v24 offset:32
	s_waitcnt lgkmcnt(0)
	v_add_f32_e32 v1, v26, v1
	s_or_b32 exec_lo, exec_lo, s4
	s_and_saveexec_b32 s4, vcc_lo
	s_cbranch_execz .LBB198_1623
.LBB198_1680:
	ds_read_b32 v26, v24 offset:64
	s_waitcnt lgkmcnt(0)
	v_add_f32_e32 v2, v26, v2
	s_or_b32 exec_lo, exec_lo, s4
	s_and_saveexec_b32 s4, vcc_lo
	s_cbranch_execz .LBB198_1624
.LBB198_1681:
	ds_read_b32 v26, v24 offset:96
	s_waitcnt lgkmcnt(0)
	v_add_f32_e32 v3, v26, v3
	s_or_b32 exec_lo, exec_lo, s4
	s_and_saveexec_b32 s4, vcc_lo
	s_cbranch_execz .LBB198_1625
.LBB198_1682:
	ds_read_b32 v26, v24 offset:128
	s_waitcnt lgkmcnt(0)
	v_add_f32_e32 v4, v26, v4
	s_or_b32 exec_lo, exec_lo, s4
	s_and_saveexec_b32 s4, vcc_lo
	s_cbranch_execz .LBB198_1626
.LBB198_1683:
	ds_read_b32 v26, v24 offset:160
	s_waitcnt lgkmcnt(0)
	v_add_f32_e32 v5, v26, v5
	s_or_b32 exec_lo, exec_lo, s4
	s_and_saveexec_b32 s4, vcc_lo
	s_cbranch_execz .LBB198_1627
.LBB198_1684:
	ds_read_b32 v26, v24 offset:192
	s_waitcnt lgkmcnt(0)
	v_add_f32_e32 v6, v26, v6
	s_or_b32 exec_lo, exec_lo, s4
	s_and_saveexec_b32 s4, vcc_lo
	s_cbranch_execz .LBB198_1628
.LBB198_1685:
	ds_read_b32 v26, v24 offset:224
	s_waitcnt lgkmcnt(0)
	v_add_f32_e32 v7, v26, v7
	s_or_b32 exec_lo, exec_lo, s4
	s_and_saveexec_b32 s4, vcc_lo
	s_cbranch_execz .LBB198_1629
.LBB198_1686:
	ds_read_b32 v26, v24 offset:256
	s_waitcnt lgkmcnt(0)
	v_add_f32_e32 v8, v26, v8
	s_or_b32 exec_lo, exec_lo, s4
	s_and_saveexec_b32 s4, vcc_lo
	s_cbranch_execz .LBB198_1630
.LBB198_1687:
	ds_read_b32 v26, v24 offset:288
	s_waitcnt lgkmcnt(0)
	v_add_f32_e32 v9, v26, v9
	s_or_b32 exec_lo, exec_lo, s4
	s_and_saveexec_b32 s4, vcc_lo
	s_cbranch_execz .LBB198_1631
.LBB198_1688:
	ds_read_b32 v26, v24 offset:320
	s_waitcnt lgkmcnt(0)
	v_add_f32_e32 v10, v26, v10
	s_or_b32 exec_lo, exec_lo, s4
	s_and_saveexec_b32 s4, vcc_lo
	s_cbranch_execz .LBB198_1632
.LBB198_1689:
	ds_read_b32 v26, v24 offset:352
	s_waitcnt lgkmcnt(0)
	v_add_f32_e32 v11, v26, v11
	s_or_b32 exec_lo, exec_lo, s4
	s_and_saveexec_b32 s4, vcc_lo
	s_cbranch_execz .LBB198_1633
.LBB198_1690:
	ds_read_b32 v26, v24 offset:384
	s_waitcnt lgkmcnt(0)
	v_add_f32_e32 v12, v26, v12
	s_or_b32 exec_lo, exec_lo, s4
	s_and_saveexec_b32 s4, vcc_lo
	s_cbranch_execz .LBB198_1634
.LBB198_1691:
	ds_read_b32 v26, v24 offset:416
	s_waitcnt lgkmcnt(0)
	v_add_f32_e32 v13, v26, v13
	s_or_b32 exec_lo, exec_lo, s4
	s_and_saveexec_b32 s4, vcc_lo
	s_cbranch_execz .LBB198_1635
.LBB198_1692:
	ds_read_b32 v26, v24 offset:448
	s_waitcnt lgkmcnt(0)
	v_add_f32_e32 v14, v26, v14
	s_or_b32 exec_lo, exec_lo, s4
	s_and_saveexec_b32 s4, vcc_lo
	s_cbranch_execz .LBB198_1636
.LBB198_1693:
	ds_read_b32 v26, v24 offset:480
	s_waitcnt lgkmcnt(0)
	v_add_f32_e32 v15, v26, v15
	s_or_b32 exec_lo, exec_lo, s4
	s_and_saveexec_b32 s4, vcc_lo
	s_cbranch_execz .LBB198_1637
.LBB198_1694:
	ds_read_b32 v26, v24 offset:512
	s_waitcnt lgkmcnt(0)
	v_add_f32_e32 v16, v26, v16
	s_or_b32 exec_lo, exec_lo, s4
	s_and_saveexec_b32 s4, vcc_lo
	s_cbranch_execz .LBB198_1638
.LBB198_1695:
	ds_read_b32 v26, v24 offset:544
	s_waitcnt lgkmcnt(0)
	v_add_f32_e32 v17, v26, v17
	s_or_b32 exec_lo, exec_lo, s4
	s_and_saveexec_b32 s4, vcc_lo
	s_cbranch_execz .LBB198_1639
.LBB198_1696:
	ds_read_b32 v26, v24 offset:576
	s_waitcnt lgkmcnt(0)
	v_add_f32_e32 v18, v26, v18
	s_or_b32 exec_lo, exec_lo, s4
	s_and_saveexec_b32 s4, vcc_lo
	s_cbranch_execz .LBB198_1640
.LBB198_1697:
	ds_read_b32 v26, v24 offset:608
	s_waitcnt lgkmcnt(0)
	v_add_f32_e32 v19, v26, v19
	s_or_b32 exec_lo, exec_lo, s4
	s_and_saveexec_b32 s4, vcc_lo
	s_cbranch_execz .LBB198_1641
.LBB198_1698:
	ds_read_b32 v26, v24 offset:640
	s_waitcnt lgkmcnt(0)
	v_add_f32_e32 v20, v26, v20
	s_or_b32 exec_lo, exec_lo, s4
	s_and_saveexec_b32 s4, vcc_lo
	s_cbranch_execz .LBB198_1642
.LBB198_1699:
	ds_read_b32 v26, v24 offset:672
	s_waitcnt lgkmcnt(0)
	v_add_f32_e32 v21, v26, v21
	s_or_b32 exec_lo, exec_lo, s4
	s_and_saveexec_b32 s4, vcc_lo
	s_cbranch_execz .LBB198_1643
.LBB198_1700:
	ds_read_b32 v26, v24 offset:704
	s_waitcnt lgkmcnt(0)
	v_add_f32_e32 v22, v26, v22
	s_or_b32 exec_lo, exec_lo, s4
	s_and_saveexec_b32 s4, vcc_lo
	s_cbranch_execnz .LBB198_1644
	s_branch .LBB198_1645
.LBB198_1701:
	ds_read_b32 v25, v24
	s_waitcnt lgkmcnt(0)
	v_add_f32_e32 v0, v25, v0
	s_or_b32 exec_lo, exec_lo, s4
	s_and_saveexec_b32 s4, vcc_lo
	s_cbranch_execz .LBB198_1651
.LBB198_1702:
	ds_read_b32 v25, v24 offset:32
	s_waitcnt lgkmcnt(0)
	v_add_f32_e32 v1, v25, v1
	s_or_b32 exec_lo, exec_lo, s4
	s_and_saveexec_b32 s4, vcc_lo
	s_cbranch_execz .LBB198_1652
.LBB198_1703:
	ds_read_b32 v25, v24 offset:64
	s_waitcnt lgkmcnt(0)
	v_add_f32_e32 v2, v25, v2
	s_or_b32 exec_lo, exec_lo, s4
	s_and_saveexec_b32 s4, vcc_lo
	s_cbranch_execz .LBB198_1653
.LBB198_1704:
	ds_read_b32 v25, v24 offset:96
	s_waitcnt lgkmcnt(0)
	v_add_f32_e32 v3, v25, v3
	s_or_b32 exec_lo, exec_lo, s4
	s_and_saveexec_b32 s4, vcc_lo
	s_cbranch_execz .LBB198_1654
.LBB198_1705:
	ds_read_b32 v25, v24 offset:128
	s_waitcnt lgkmcnt(0)
	v_add_f32_e32 v4, v25, v4
	s_or_b32 exec_lo, exec_lo, s4
	s_and_saveexec_b32 s4, vcc_lo
	s_cbranch_execz .LBB198_1655
.LBB198_1706:
	ds_read_b32 v25, v24 offset:160
	s_waitcnt lgkmcnt(0)
	v_add_f32_e32 v5, v25, v5
	s_or_b32 exec_lo, exec_lo, s4
	s_and_saveexec_b32 s4, vcc_lo
	s_cbranch_execz .LBB198_1656
.LBB198_1707:
	ds_read_b32 v25, v24 offset:192
	s_waitcnt lgkmcnt(0)
	v_add_f32_e32 v6, v25, v6
	s_or_b32 exec_lo, exec_lo, s4
	s_and_saveexec_b32 s4, vcc_lo
	s_cbranch_execz .LBB198_1657
.LBB198_1708:
	ds_read_b32 v25, v24 offset:224
	s_waitcnt lgkmcnt(0)
	v_add_f32_e32 v7, v25, v7
	s_or_b32 exec_lo, exec_lo, s4
	s_and_saveexec_b32 s4, vcc_lo
	s_cbranch_execz .LBB198_1658
.LBB198_1709:
	ds_read_b32 v25, v24 offset:256
	s_waitcnt lgkmcnt(0)
	v_add_f32_e32 v8, v25, v8
	s_or_b32 exec_lo, exec_lo, s4
	s_and_saveexec_b32 s4, vcc_lo
	s_cbranch_execz .LBB198_1659
.LBB198_1710:
	ds_read_b32 v25, v24 offset:288
	s_waitcnt lgkmcnt(0)
	v_add_f32_e32 v9, v25, v9
	s_or_b32 exec_lo, exec_lo, s4
	s_and_saveexec_b32 s4, vcc_lo
	s_cbranch_execz .LBB198_1660
.LBB198_1711:
	ds_read_b32 v25, v24 offset:320
	s_waitcnt lgkmcnt(0)
	v_add_f32_e32 v10, v25, v10
	s_or_b32 exec_lo, exec_lo, s4
	s_and_saveexec_b32 s4, vcc_lo
	s_cbranch_execz .LBB198_1661
.LBB198_1712:
	ds_read_b32 v25, v24 offset:352
	s_waitcnt lgkmcnt(0)
	v_add_f32_e32 v11, v25, v11
	s_or_b32 exec_lo, exec_lo, s4
	s_and_saveexec_b32 s4, vcc_lo
	s_cbranch_execz .LBB198_1662
.LBB198_1713:
	ds_read_b32 v25, v24 offset:384
	s_waitcnt lgkmcnt(0)
	v_add_f32_e32 v12, v25, v12
	s_or_b32 exec_lo, exec_lo, s4
	s_and_saveexec_b32 s4, vcc_lo
	s_cbranch_execz .LBB198_1663
.LBB198_1714:
	ds_read_b32 v25, v24 offset:416
	s_waitcnt lgkmcnt(0)
	v_add_f32_e32 v13, v25, v13
	s_or_b32 exec_lo, exec_lo, s4
	s_and_saveexec_b32 s4, vcc_lo
	s_cbranch_execz .LBB198_1664
.LBB198_1715:
	ds_read_b32 v25, v24 offset:448
	s_waitcnt lgkmcnt(0)
	v_add_f32_e32 v14, v25, v14
	s_or_b32 exec_lo, exec_lo, s4
	s_and_saveexec_b32 s4, vcc_lo
	s_cbranch_execz .LBB198_1665
.LBB198_1716:
	ds_read_b32 v25, v24 offset:480
	s_waitcnt lgkmcnt(0)
	v_add_f32_e32 v15, v25, v15
	s_or_b32 exec_lo, exec_lo, s4
	s_and_saveexec_b32 s4, vcc_lo
	s_cbranch_execz .LBB198_1666
.LBB198_1717:
	ds_read_b32 v25, v24 offset:512
	s_waitcnt lgkmcnt(0)
	v_add_f32_e32 v16, v25, v16
	s_or_b32 exec_lo, exec_lo, s4
	s_and_saveexec_b32 s4, vcc_lo
	s_cbranch_execz .LBB198_1667
.LBB198_1718:
	ds_read_b32 v25, v24 offset:544
	s_waitcnt lgkmcnt(0)
	v_add_f32_e32 v17, v25, v17
	s_or_b32 exec_lo, exec_lo, s4
	s_and_saveexec_b32 s4, vcc_lo
	s_cbranch_execz .LBB198_1668
.LBB198_1719:
	ds_read_b32 v25, v24 offset:576
	s_waitcnt lgkmcnt(0)
	v_add_f32_e32 v18, v25, v18
	s_or_b32 exec_lo, exec_lo, s4
	s_and_saveexec_b32 s4, vcc_lo
	s_cbranch_execz .LBB198_1669
.LBB198_1720:
	ds_read_b32 v25, v24 offset:608
	s_waitcnt lgkmcnt(0)
	v_add_f32_e32 v19, v25, v19
	s_or_b32 exec_lo, exec_lo, s4
	s_and_saveexec_b32 s4, vcc_lo
	s_cbranch_execz .LBB198_1670
.LBB198_1721:
	ds_read_b32 v25, v24 offset:640
	s_waitcnt lgkmcnt(0)
	v_add_f32_e32 v20, v25, v20
	s_or_b32 exec_lo, exec_lo, s4
	s_and_saveexec_b32 s4, vcc_lo
	s_cbranch_execz .LBB198_1671
.LBB198_1722:
	ds_read_b32 v25, v24 offset:672
	s_waitcnt lgkmcnt(0)
	v_add_f32_e32 v21, v25, v21
	s_or_b32 exec_lo, exec_lo, s4
	s_and_saveexec_b32 s4, vcc_lo
	s_cbranch_execz .LBB198_1672
.LBB198_1723:
	ds_read_b32 v25, v24 offset:704
	s_waitcnt lgkmcnt(0)
	v_add_f32_e32 v22, v25, v22
	s_or_b32 exec_lo, exec_lo, s4
	s_and_saveexec_b32 s4, vcc_lo
	s_cbranch_execnz .LBB198_1673
	s_branch .LBB198_1674
.Lfunc_end198:
	.size	_ZN4vllm22paged_attention_kernelIfhLi192ELi16ELi128ELNS_18Fp8KVCacheDataTypeE1ELb0ELi0EEEvPfS2_PT_PKS3_PKT0_S9_ifPKiSB_iPKfiiiSD_SD_iiiii, .Lfunc_end198-_ZN4vllm22paged_attention_kernelIfhLi192ELi16ELi128ELNS_18Fp8KVCacheDataTypeE1ELb0ELi0EEEvPfS2_PT_PKS3_PKT0_S9_ifPKiSB_iPKfiiiSD_SD_iiiii
                                        ; -- End function
	.set .L_ZN4vllm22paged_attention_kernelIfhLi192ELi16ELi128ELNS_18Fp8KVCacheDataTypeE1ELb0ELi0EEEvPfS2_PT_PKS3_PKT0_S9_ifPKiSB_iPKfiiiSD_SD_iiiii.num_vgpr, 128
	.set .L_ZN4vllm22paged_attention_kernelIfhLi192ELi16ELi128ELNS_18Fp8KVCacheDataTypeE1ELb0ELi0EEEvPfS2_PT_PKS3_PKT0_S9_ifPKiSB_iPKfiiiSD_SD_iiiii.num_agpr, 0
	.set .L_ZN4vllm22paged_attention_kernelIfhLi192ELi16ELi128ELNS_18Fp8KVCacheDataTypeE1ELb0ELi0EEEvPfS2_PT_PKS3_PKT0_S9_ifPKiSB_iPKfiiiSD_SD_iiiii.numbered_sgpr, 33
	.set .L_ZN4vllm22paged_attention_kernelIfhLi192ELi16ELi128ELNS_18Fp8KVCacheDataTypeE1ELb0ELi0EEEvPfS2_PT_PKS3_PKT0_S9_ifPKiSB_iPKfiiiSD_SD_iiiii.num_named_barrier, 0
	.set .L_ZN4vllm22paged_attention_kernelIfhLi192ELi16ELi128ELNS_18Fp8KVCacheDataTypeE1ELb0ELi0EEEvPfS2_PT_PKS3_PKT0_S9_ifPKiSB_iPKfiiiSD_SD_iiiii.private_seg_size, 1028
	.set .L_ZN4vllm22paged_attention_kernelIfhLi192ELi16ELi128ELNS_18Fp8KVCacheDataTypeE1ELb0ELi0EEEvPfS2_PT_PKS3_PKT0_S9_ifPKiSB_iPKfiiiSD_SD_iiiii.uses_vcc, 1
	.set .L_ZN4vllm22paged_attention_kernelIfhLi192ELi16ELi128ELNS_18Fp8KVCacheDataTypeE1ELb0ELi0EEEvPfS2_PT_PKS3_PKT0_S9_ifPKiSB_iPKfiiiSD_SD_iiiii.uses_flat_scratch, 0
	.set .L_ZN4vllm22paged_attention_kernelIfhLi192ELi16ELi128ELNS_18Fp8KVCacheDataTypeE1ELb0ELi0EEEvPfS2_PT_PKS3_PKT0_S9_ifPKiSB_iPKfiiiSD_SD_iiiii.has_dyn_sized_stack, 0
	.set .L_ZN4vllm22paged_attention_kernelIfhLi192ELi16ELi128ELNS_18Fp8KVCacheDataTypeE1ELb0ELi0EEEvPfS2_PT_PKS3_PKT0_S9_ifPKiSB_iPKfiiiSD_SD_iiiii.has_recursion, 0
	.set .L_ZN4vllm22paged_attention_kernelIfhLi192ELi16ELi128ELNS_18Fp8KVCacheDataTypeE1ELb0ELi0EEEvPfS2_PT_PKS3_PKT0_S9_ifPKiSB_iPKfiiiSD_SD_iiiii.has_indirect_call, 0
	.section	.AMDGPU.csdata,"",@progbits
; Function info:
; codeLenInByte = 58072
; TotalNumSgprs: 35
; NumVgprs: 128
; ScratchSize: 1028
; MemoryBound: 0
	.section	.text._ZN4vllm25paged_attention_v1_kernelIfhLi192ELi16ELi128ELNS_18Fp8KVCacheDataTypeE1ELb0EEEvPT_PKS2_PKT0_S8_ifPKiSA_iPKfiiiSC_SC_iiiii,"axG",@progbits,_ZN4vllm25paged_attention_v1_kernelIfhLi192ELi16ELi128ELNS_18Fp8KVCacheDataTypeE1ELb0EEEvPT_PKS2_PKT0_S8_ifPKiSA_iPKfiiiSC_SC_iiiii,comdat
	.protected	_ZN4vllm25paged_attention_v1_kernelIfhLi192ELi16ELi128ELNS_18Fp8KVCacheDataTypeE1ELb0EEEvPT_PKS2_PKT0_S8_ifPKiSA_iPKfiiiSC_SC_iiiii ; -- Begin function _ZN4vllm25paged_attention_v1_kernelIfhLi192ELi16ELi128ELNS_18Fp8KVCacheDataTypeE1ELb0EEEvPT_PKS2_PKT0_S8_ifPKiSA_iPKfiiiSC_SC_iiiii
	.globl	_ZN4vllm25paged_attention_v1_kernelIfhLi192ELi16ELi128ELNS_18Fp8KVCacheDataTypeE1ELb0EEEvPT_PKS2_PKT0_S8_ifPKiSA_iPKfiiiSC_SC_iiiii
	.p2align	8
	.type	_ZN4vllm25paged_attention_v1_kernelIfhLi192ELi16ELi128ELNS_18Fp8KVCacheDataTypeE1ELb0EEEvPT_PKS2_PKT0_S8_ifPKiSA_iPKfiiiSC_SC_iiiii,@function
_ZN4vllm25paged_attention_v1_kernelIfhLi192ELi16ELi128ELNS_18Fp8KVCacheDataTypeE1ELb0EEEvPT_PKS2_PKT0_S8_ifPKiSA_iPKfiiiSC_SC_iiiii: ; @_ZN4vllm25paged_attention_v1_kernelIfhLi192ELi16ELi128ELNS_18Fp8KVCacheDataTypeE1ELb0EEEvPT_PKS2_PKT0_S8_ifPKiSA_iPKfiiiSC_SC_iiiii
; %bb.0:
	s_clause 0x5
	s_load_dwordx8 s[16:23], s[4:5], 0x0
	s_load_dwordx4 s[36:39], s[4:5], 0x20
	s_load_dwordx2 s[10:11], s[4:5], 0x30
	s_load_dword s13, s[4:5], 0x38
	s_load_dwordx2 s[34:35], s[4:5], 0x40
	s_load_dwordx8 s[24:31], s[4:5], 0x48
	s_add_u32 s0, s0, s9
	s_addc_u32 s1, s1, 0
	v_mov_b32_e32 v31, v0
	s_mov_b32 s14, s8
	s_add_u32 s8, s4, 0x80
	s_addc_u32 s9, s5, 0
	s_getpc_b64 s[4:5]
	s_add_u32 s4, s4, _ZN4vllm22paged_attention_kernelIfhLi192ELi16ELi128ELNS_18Fp8KVCacheDataTypeE1ELb0ELi0EEEvPfS2_PT_PKS3_PKT0_S9_ifPKiSB_iPKfiiiSD_SD_iiiii@rel32@lo+4
	s_addc_u32 s5, s5, _ZN4vllm22paged_attention_kernelIfhLi192ELi16ELi128ELNS_18Fp8KVCacheDataTypeE1ELb0ELi0EEEvPfS2_PT_PKS3_PKT0_S9_ifPKiSB_iPKfiiiSD_SD_iiiii@rel32@hi+12
	s_mov_b32 s12, s6
	s_mov_b32 s15, 22
	;; [unrolled: 1-line block ×3, first 2 shown]
	s_waitcnt lgkmcnt(0)
	v_mov_b32_e32 v0, s16
	v_mov_b32_e32 v1, s17
	;; [unrolled: 1-line block ×24, first 2 shown]
	s_mov_b32 s13, s7
	s_swappc_b64 s[30:31], s[4:5]
	s_endpgm
	.section	.rodata,"a",@progbits
	.p2align	6, 0x0
	.amdhsa_kernel _ZN4vllm25paged_attention_v1_kernelIfhLi192ELi16ELi128ELNS_18Fp8KVCacheDataTypeE1ELb0EEEvPT_PKS2_PKT0_S8_ifPKiSA_iPKfiiiSC_SC_iiiii
		.amdhsa_group_segment_fixed_size 800
		.amdhsa_private_segment_fixed_size 1028
		.amdhsa_kernarg_size 384
		.amdhsa_user_sgpr_count 6
		.amdhsa_user_sgpr_private_segment_buffer 1
		.amdhsa_user_sgpr_dispatch_ptr 0
		.amdhsa_user_sgpr_queue_ptr 0
		.amdhsa_user_sgpr_kernarg_segment_ptr 1
		.amdhsa_user_sgpr_dispatch_id 0
		.amdhsa_user_sgpr_flat_scratch_init 0
		.amdhsa_user_sgpr_private_segment_size 0
		.amdhsa_wavefront_size32 1
		.amdhsa_uses_dynamic_stack 0
		.amdhsa_system_sgpr_private_segment_wavefront_offset 1
		.amdhsa_system_sgpr_workgroup_id_x 1
		.amdhsa_system_sgpr_workgroup_id_y 1
		.amdhsa_system_sgpr_workgroup_id_z 1
		.amdhsa_system_sgpr_workgroup_info 0
		.amdhsa_system_vgpr_workitem_id 0
		.amdhsa_next_free_vgpr 128
		.amdhsa_next_free_sgpr 40
		.amdhsa_reserve_vcc 1
		.amdhsa_reserve_flat_scratch 0
		.amdhsa_float_round_mode_32 0
		.amdhsa_float_round_mode_16_64 0
		.amdhsa_float_denorm_mode_32 3
		.amdhsa_float_denorm_mode_16_64 3
		.amdhsa_dx10_clamp 1
		.amdhsa_ieee_mode 1
		.amdhsa_fp16_overflow 0
		.amdhsa_workgroup_processor_mode 1
		.amdhsa_memory_ordered 1
		.amdhsa_forward_progress 1
		.amdhsa_shared_vgpr_count 0
		.amdhsa_exception_fp_ieee_invalid_op 0
		.amdhsa_exception_fp_denorm_src 0
		.amdhsa_exception_fp_ieee_div_zero 0
		.amdhsa_exception_fp_ieee_overflow 0
		.amdhsa_exception_fp_ieee_underflow 0
		.amdhsa_exception_fp_ieee_inexact 0
		.amdhsa_exception_int_div_zero 0
	.end_amdhsa_kernel
	.section	.text._ZN4vllm25paged_attention_v1_kernelIfhLi192ELi16ELi128ELNS_18Fp8KVCacheDataTypeE1ELb0EEEvPT_PKS2_PKT0_S8_ifPKiSA_iPKfiiiSC_SC_iiiii,"axG",@progbits,_ZN4vllm25paged_attention_v1_kernelIfhLi192ELi16ELi128ELNS_18Fp8KVCacheDataTypeE1ELb0EEEvPT_PKS2_PKT0_S8_ifPKiSA_iPKfiiiSC_SC_iiiii,comdat
.Lfunc_end199:
	.size	_ZN4vllm25paged_attention_v1_kernelIfhLi192ELi16ELi128ELNS_18Fp8KVCacheDataTypeE1ELb0EEEvPT_PKS2_PKT0_S8_ifPKiSA_iPKfiiiSC_SC_iiiii, .Lfunc_end199-_ZN4vllm25paged_attention_v1_kernelIfhLi192ELi16ELi128ELNS_18Fp8KVCacheDataTypeE1ELb0EEEvPT_PKS2_PKT0_S8_ifPKiSA_iPKfiiiSC_SC_iiiii
                                        ; -- End function
	.set _ZN4vllm25paged_attention_v1_kernelIfhLi192ELi16ELi128ELNS_18Fp8KVCacheDataTypeE1ELb0EEEvPT_PKS2_PKT0_S8_ifPKiSA_iPKfiiiSC_SC_iiiii.num_vgpr, max(32, .L_ZN4vllm22paged_attention_kernelIfhLi192ELi16ELi128ELNS_18Fp8KVCacheDataTypeE1ELb0ELi0EEEvPfS2_PT_PKS3_PKT0_S9_ifPKiSB_iPKfiiiSD_SD_iiiii.num_vgpr)
	.set _ZN4vllm25paged_attention_v1_kernelIfhLi192ELi16ELi128ELNS_18Fp8KVCacheDataTypeE1ELb0EEEvPT_PKS2_PKT0_S8_ifPKiSA_iPKfiiiSC_SC_iiiii.num_agpr, max(0, .L_ZN4vllm22paged_attention_kernelIfhLi192ELi16ELi128ELNS_18Fp8KVCacheDataTypeE1ELb0ELi0EEEvPfS2_PT_PKS3_PKT0_S9_ifPKiSB_iPKfiiiSD_SD_iiiii.num_agpr)
	.set _ZN4vllm25paged_attention_v1_kernelIfhLi192ELi16ELi128ELNS_18Fp8KVCacheDataTypeE1ELb0EEEvPT_PKS2_PKT0_S8_ifPKiSA_iPKfiiiSC_SC_iiiii.numbered_sgpr, max(40, .L_ZN4vllm22paged_attention_kernelIfhLi192ELi16ELi128ELNS_18Fp8KVCacheDataTypeE1ELb0ELi0EEEvPfS2_PT_PKS3_PKT0_S9_ifPKiSB_iPKfiiiSD_SD_iiiii.numbered_sgpr)
	.set _ZN4vllm25paged_attention_v1_kernelIfhLi192ELi16ELi128ELNS_18Fp8KVCacheDataTypeE1ELb0EEEvPT_PKS2_PKT0_S8_ifPKiSA_iPKfiiiSC_SC_iiiii.num_named_barrier, max(0, .L_ZN4vllm22paged_attention_kernelIfhLi192ELi16ELi128ELNS_18Fp8KVCacheDataTypeE1ELb0ELi0EEEvPfS2_PT_PKS3_PKT0_S9_ifPKiSB_iPKfiiiSD_SD_iiiii.num_named_barrier)
	.set _ZN4vllm25paged_attention_v1_kernelIfhLi192ELi16ELi128ELNS_18Fp8KVCacheDataTypeE1ELb0EEEvPT_PKS2_PKT0_S8_ifPKiSA_iPKfiiiSC_SC_iiiii.private_seg_size, 0+max(.L_ZN4vllm22paged_attention_kernelIfhLi192ELi16ELi128ELNS_18Fp8KVCacheDataTypeE1ELb0ELi0EEEvPfS2_PT_PKS3_PKT0_S9_ifPKiSB_iPKfiiiSD_SD_iiiii.private_seg_size)
	.set _ZN4vllm25paged_attention_v1_kernelIfhLi192ELi16ELi128ELNS_18Fp8KVCacheDataTypeE1ELb0EEEvPT_PKS2_PKT0_S8_ifPKiSA_iPKfiiiSC_SC_iiiii.uses_vcc, or(1, .L_ZN4vllm22paged_attention_kernelIfhLi192ELi16ELi128ELNS_18Fp8KVCacheDataTypeE1ELb0ELi0EEEvPfS2_PT_PKS3_PKT0_S9_ifPKiSB_iPKfiiiSD_SD_iiiii.uses_vcc)
	.set _ZN4vllm25paged_attention_v1_kernelIfhLi192ELi16ELi128ELNS_18Fp8KVCacheDataTypeE1ELb0EEEvPT_PKS2_PKT0_S8_ifPKiSA_iPKfiiiSC_SC_iiiii.uses_flat_scratch, or(0, .L_ZN4vllm22paged_attention_kernelIfhLi192ELi16ELi128ELNS_18Fp8KVCacheDataTypeE1ELb0ELi0EEEvPfS2_PT_PKS3_PKT0_S9_ifPKiSB_iPKfiiiSD_SD_iiiii.uses_flat_scratch)
	.set _ZN4vllm25paged_attention_v1_kernelIfhLi192ELi16ELi128ELNS_18Fp8KVCacheDataTypeE1ELb0EEEvPT_PKS2_PKT0_S8_ifPKiSA_iPKfiiiSC_SC_iiiii.has_dyn_sized_stack, or(0, .L_ZN4vllm22paged_attention_kernelIfhLi192ELi16ELi128ELNS_18Fp8KVCacheDataTypeE1ELb0ELi0EEEvPfS2_PT_PKS3_PKT0_S9_ifPKiSB_iPKfiiiSD_SD_iiiii.has_dyn_sized_stack)
	.set _ZN4vllm25paged_attention_v1_kernelIfhLi192ELi16ELi128ELNS_18Fp8KVCacheDataTypeE1ELb0EEEvPT_PKS2_PKT0_S8_ifPKiSA_iPKfiiiSC_SC_iiiii.has_recursion, or(0, .L_ZN4vllm22paged_attention_kernelIfhLi192ELi16ELi128ELNS_18Fp8KVCacheDataTypeE1ELb0ELi0EEEvPfS2_PT_PKS3_PKT0_S9_ifPKiSB_iPKfiiiSD_SD_iiiii.has_recursion)
	.set _ZN4vllm25paged_attention_v1_kernelIfhLi192ELi16ELi128ELNS_18Fp8KVCacheDataTypeE1ELb0EEEvPT_PKS2_PKT0_S8_ifPKiSA_iPKfiiiSC_SC_iiiii.has_indirect_call, or(0, .L_ZN4vllm22paged_attention_kernelIfhLi192ELi16ELi128ELNS_18Fp8KVCacheDataTypeE1ELb0ELi0EEEvPfS2_PT_PKS3_PKT0_S9_ifPKiSB_iPKfiiiSD_SD_iiiii.has_indirect_call)
	.section	.AMDGPU.csdata,"",@progbits
; Kernel info:
; codeLenInByte = 224
; TotalNumSgprs: 42
; NumVgprs: 128
; ScratchSize: 1028
; MemoryBound: 0
; FloatMode: 240
; IeeeMode: 1
; LDSByteSize: 800 bytes/workgroup (compile time only)
; SGPRBlocks: 0
; VGPRBlocks: 15
; NumSGPRsForWavesPerEU: 42
; NumVGPRsForWavesPerEU: 128
; Occupancy: 8
; WaveLimiterHint : 1
; COMPUTE_PGM_RSRC2:SCRATCH_EN: 1
; COMPUTE_PGM_RSRC2:USER_SGPR: 6
; COMPUTE_PGM_RSRC2:TRAP_HANDLER: 0
; COMPUTE_PGM_RSRC2:TGID_X_EN: 1
; COMPUTE_PGM_RSRC2:TGID_Y_EN: 1
; COMPUTE_PGM_RSRC2:TGID_Z_EN: 1
; COMPUTE_PGM_RSRC2:TIDIG_COMP_CNT: 0
	.text
	.p2align	2                               ; -- Begin function _ZN4vllm22paged_attention_kernelIfhLi256ELi16ELi128ELNS_18Fp8KVCacheDataTypeE1ELb0ELi0EEEvPfS2_PT_PKS3_PKT0_S9_ifPKiSB_iPKfiiiSD_SD_iiiii
	.type	_ZN4vllm22paged_attention_kernelIfhLi256ELi16ELi128ELNS_18Fp8KVCacheDataTypeE1ELb0ELi0EEEvPfS2_PT_PKS3_PKT0_S9_ifPKiSB_iPKfiiiSD_SD_iiiii,@function
_ZN4vllm22paged_attention_kernelIfhLi256ELi16ELi128ELNS_18Fp8KVCacheDataTypeE1ELb0ELi0EEEvPfS2_PT_PKS3_PKT0_S9_ifPKiSB_iPKfiiiSD_SD_iiiii: ; @_ZN4vllm22paged_attention_kernelIfhLi256ELi16ELi128ELNS_18Fp8KVCacheDataTypeE1ELb0ELi0EEEvPfS2_PT_PKS3_PKT0_S9_ifPKiSB_iPKfiiiSD_SD_iiiii
; %bb.0:
	s_waitcnt vmcnt(0) expcnt(0) lgkmcnt(0)
	buffer_store_dword v40, off, s[0:3], s32 offset:188 ; 4-byte Folded Spill
	buffer_store_dword v41, off, s[0:3], s32 offset:184 ; 4-byte Folded Spill
	;; [unrolled: 1-line block ×47, first 2 shown]
	buffer_store_dword v127, off, s[0:3], s32 ; 4-byte Folded Spill
	s_mov_b32 s10, s13
	s_ashr_i32 s11, s13, 31
	buffer_store_dword v22, off, s[0:3], s32 offset:1464 ; 4-byte Folded Spill
	buffer_store_dword v23, off, s[0:3], s32 offset:1468 ; 4-byte Folded Spill
	;; [unrolled: 1-line block ×12, first 2 shown]
	s_lshl_b64 s[4:5], s[10:11], 2
	s_mov_b32 s16, s15
	v_add_co_u32 v0, vcc_lo, v12, s4
	v_add_co_ci_u32_e64 v1, null, s5, v13, vcc_lo
	s_clause 0x1
	s_load_dword s4, s[8:9], 0x10
	s_load_dword s5, s[8:9], 0x0
	flat_load_dword v0, v[0:1]
	s_waitcnt lgkmcnt(0)
	s_lshr_b32 s4, s4, 16
	s_cmp_lg_u32 s4, 0
	s_cselect_b32 s4, -1, 0
	s_cmp_lg_u32 s4, 0
	s_addc_u32 s11, s5, 0
	s_mov_b32 s5, exec_lo
	s_abs_i32 s4, s11
	s_waitcnt vmcnt(0)
	buffer_store_dword v0, off, s[0:3], s32 offset:200 ; 4-byte Folded Spill
	v_sub_nc_u32_e32 v0, 0, v8
	v_max_i32_e32 v0, v8, v0
	v_cvt_f32_u32_e32 v1, v0
	v_sub_nc_u32_e32 v6, 0, v0
	v_rcp_iflag_f32_e32 v1, v1
	v_mul_f32_e32 v1, 0x4f7ffffe, v1
	v_cvt_u32_f32_e32 v1, v1
	v_mul_lo_u32 v6, v6, v1
	v_mul_hi_u32 v6, v1, v6
	v_add_nc_u32_e32 v1, v1, v6
	v_mul_hi_u32 v1, s4, v1
	v_mul_lo_u32 v6, v1, v0
	v_add_nc_u32_e32 v7, 1, v1
	v_sub_nc_u32_e32 v6, s4, v6
	s_abs_i32 s4, s12
	v_sub_nc_u32_e32 v9, v6, v0
	v_cmp_ge_u32_e32 vcc_lo, v6, v0
	v_cndmask_b32_e32 v1, v1, v7, vcc_lo
	v_cndmask_b32_e32 v6, v6, v9, vcc_lo
	v_xor_b32_e32 v7, s11, v8
	v_add_nc_u32_e32 v8, 1, v1
	v_cmp_ge_u32_e32 vcc_lo, v6, v0
	v_ashrrev_i32_e32 v7, 31, v7
	v_cndmask_b32_e32 v0, v1, v8, vcc_lo
	v_xor_b32_e32 v0, v0, v7
	v_sub_nc_u32_e32 v6, v0, v7
	v_sub_nc_u32_e32 v0, 0, v6
	v_max_i32_e32 v7, v6, v0
	v_cvt_f32_u32_e32 v0, v7
	v_sub_nc_u32_e32 v1, 0, v7
	v_rcp_iflag_f32_e32 v0, v0
	v_mul_f32_e32 v0, 0x4f7ffffe, v0
	v_cvt_u32_f32_e32 v0, v0
	v_mul_lo_u32 v1, v1, v0
	v_mul_hi_u32 v1, v0, v1
	v_add_nc_u32_e32 v0, v0, v1
	v_mad_u64_u32 v[0:1], null, s4, v0, 0
	v_mov_b32_e32 v0, 0
	buffer_store_dword v0, off, s[0:3], s32 offset:1412 ; 4-byte Folded Spill
	v_cmpx_ne_u64_e32 0, v[15:16]
	s_cbranch_execz .LBB200_2
; %bb.1:
	s_ashr_i32 s13, s12, 31
	s_lshl_b64 s[6:7], s[12:13], 2
	v_add_co_u32 v8, vcc_lo, v15, s6
	v_add_co_ci_u32_e64 v9, null, s7, v16, vcc_lo
	flat_load_dword v0, v[8:9]
	s_waitcnt vmcnt(0) lgkmcnt(0)
	buffer_store_dword v0, off, s[0:3], s32 offset:1412 ; 4-byte Folded Spill
.LBB200_2:
	s_or_b32 exec_lo, exec_lo, s5
	v_and_b32_e32 v11, 0x3ff, v31
	v_ashrrev_i32_e32 v0, 31, v6
	v_and_b32_e32 v6, 1, v31
	s_ashr_i32 s5, s12, 31
	s_lshl_b32 s12, s12, 8
	v_lshlrev_b32_e32 v8, 2, v11
	s_mov_b32 s6, exec_lo
	buffer_store_dword v8, off, s[0:3], s32 offset:1480 ; 4-byte Folded Spill
	v_cmpx_gt_u32_e32 0x80, v11
	s_cbranch_execz .LBB200_4
; %bb.3:
	v_mul_lo_u32 v8, v17, s10
	s_ashr_i32 s13, s12, 31
	v_lshlrev_b32_e32 v10, 3, v11
	s_lshl_b64 s[18:19], s[12:13], 2
	v_ashrrev_i32_e32 v9, 31, v8
	v_lshlrev_b64 v[8:9], 2, v[8:9]
	v_add_co_u32 v2, vcc_lo, v2, v8
	v_add_co_ci_u32_e64 v3, null, v3, v9, vcc_lo
	v_lshlrev_b32_e32 v8, 2, v11
	v_add_co_u32 v2, vcc_lo, v2, s18
	v_add_co_ci_u32_e64 v3, null, s19, v3, vcc_lo
	v_and_b32_e32 v8, 0xff8, v8
	v_add_co_u32 v2, vcc_lo, v2, v10
	v_add_co_ci_u32_e64 v3, null, 0, v3, vcc_lo
	v_lshl_add_u32 v8, v6, 9, v8
	flat_load_dwordx2 v[2:3], v[2:3]
	s_waitcnt vmcnt(0) lgkmcnt(0)
	ds_write_b64 v8, v[2:3]
.LBB200_4:
	s_or_b32 exec_lo, exec_lo, s6
	buffer_load_dword v3, off, s[0:3], s32 offset:200 ; 4-byte Folded Reload
	v_mul_lo_u32 v2, v1, v7
	v_add_nc_u32_e32 v8, 1, v1
	v_xor_b32_e32 v0, s5, v0
	v_mbcnt_lo_u32_b32 v12, -1, 0
                                        ; implicit-def: $vgpr83
	v_sub_nc_u32_e32 v2, s4, v2
	v_sub_nc_u32_e32 v10, v2, v7
	v_cmp_ge_u32_e32 vcc_lo, v2, v7
	v_cndmask_b32_e32 v1, v1, v8, vcc_lo
	v_cndmask_b32_e32 v2, v2, v10, vcc_lo
	v_cmp_ge_u32_e32 vcc_lo, v2, v7
	v_mul_lo_u32 v2, v14, s10
	v_lshrrev_b32_e32 v7, 5, v11
	s_waitcnt vmcnt(0)
	v_add_nc_u32_e32 v3, 15, v3
	v_ashrrev_i32_e32 v9, 31, v3
	v_lshrrev_b32_e32 v8, 28, v9
	v_add_nc_u32_e32 v9, 1, v1
	v_add_nc_u32_e32 v3, v3, v8
	v_cndmask_b32_e32 v1, v1, v9, vcc_lo
                                        ; implicit-def: $vgpr9
	v_ashrrev_i32_e32 v8, 4, v3
	v_xor_b32_e32 v1, v1, v0
	v_ashrrev_i32_e32 v3, 31, v2
	buffer_store_dword v7, off, s[0:3], s32 offset:1420 ; 4-byte Folded Spill
	buffer_store_dword v8, off, s[0:3], s32 offset:220 ; 4-byte Folded Spill
	v_cmp_ge_i32_e64 s4, v7, v8
	v_sub_nc_u32_e32 v0, v1, v0
	s_waitcnt lgkmcnt(0)
	s_waitcnt_vscnt null, 0x0
	s_barrier
	buffer_gl0_inv
	s_and_saveexec_b32 s5, s4
	s_xor_b32 s5, exec_lo, s5
	s_cbranch_execz .LBB200_6
; %bb.5:
	v_mov_b32_e32 v83, 0
	v_mbcnt_lo_u32_b32 v12, -1, 0
	v_mov_b32_e32 v9, 32
                                        ; implicit-def: $vgpr4
                                        ; kill: killed $vgpr4
                                        ; implicit-def: $vgpr4
                                        ; kill: killed $vgpr4
                                        ; implicit-def: $vgpr4
	buffer_store_dword v4, off, s[0:3], s32 offset:876 ; 4-byte Folded Spill
	buffer_store_dword v5, off, s[0:3], s32 offset:880 ; 4-byte Folded Spill
                                        ; implicit-def: $vgpr4
                                        ; implicit-def: $vgpr5
                                        ; implicit-def: $vgpr6
.LBB200_6:
	s_or_saveexec_b32 s7, s5
	s_clause 0x1
	s_load_dword s15, s[8:9], 0x14
	s_load_dword s13, s[8:9], 0x8
	v_mul_lo_u32 v0, v0, v19
	v_lshlrev_b64 v[2:3], 2, v[2:3]
	v_mov_b32_e32 v1, 0xff7fffff
	buffer_store_dword v0, off, s[0:3], s32 offset:1448 ; 4-byte Folded Spill
	v_ashrrev_i32_e32 v0, 31, v0
	buffer_store_dword v0, off, s[0:3], s32 offset:1452 ; 4-byte Folded Spill
	v_lshrrev_b32_e32 v0, 3, v11
	buffer_store_dword v2, off, s[0:3], s32 offset:1436 ; 4-byte Folded Spill
	buffer_store_dword v3, off, s[0:3], s32 offset:1440 ; 4-byte Folded Spill
	;; [unrolled: 1-line block ×4, first 2 shown]
	s_xor_b32 exec_lo, exec_lo, s7
	s_cbranch_execz .LBB200_1036
; %bb.7:
	buffer_load_dword v1, off, s[0:3], s32 offset:1448 ; 4-byte Folded Reload
	v_bfe_u32 v0, v11, 1, 4
	s_ashr_i32 s17, s16, 31
	v_mov_b32_e32 v83, 0
	s_lshl_b64 s[8:9], s[16:17], 2
	v_bfrev_b32_e32 v51, 1
	s_getpc_b64 s[20:21]
	s_add_u32 s20, s20, llvm.amdgcn.dynlds.offset.table@rel32@lo+4
	s_addc_u32 s21, s21, llvm.amdgcn.dynlds.offset.table@rel32@hi+12
	s_add_u32 s8, s20, s8
	s_mov_b32 s18, 0
	s_addc_u32 s9, s21, s9
	s_waitcnt vmcnt(0)
	v_add_co_u32 v2, vcc_lo, v4, v1
	buffer_load_dword v1, off, s[0:3], s32 offset:1452 ; 4-byte Folded Reload
	v_lshlrev_b32_e32 v4, 4, v0
	s_waitcnt vmcnt(0)
	v_add_co_ci_u32_e64 v3, null, v5, v1, vcc_lo
	v_add_co_u32 v2, vcc_lo, v2, v4
	v_lshlrev_b32_e32 v4, 1, v6
	v_add_co_ci_u32_e64 v3, null, 0, v3, vcc_lo
	buffer_store_dword v2, off, s[0:3], s32 offset:888 ; 4-byte Folded Spill
	buffer_store_dword v3, off, s[0:3], s32 offset:892 ; 4-byte Folded Spill
	v_lshlrev_b32_e32 v2, 9, v6
	v_xor_b32_e32 v3, 1, v12
	ds_read_b128 v[7:10], v2
	v_cmp_gt_i32_e32 vcc_lo, 32, v3
	s_waitcnt lgkmcnt(0)
	buffer_store_dword v7, off, s[0:3], s32 offset:896 ; 4-byte Folded Spill
	buffer_store_dword v8, off, s[0:3], s32 offset:900 ; 4-byte Folded Spill
	;; [unrolled: 1-line block ×4, first 2 shown]
	ds_read_b128 v[7:10], v2 offset:16
	v_cndmask_b32_e32 v3, v12, v3, vcc_lo
	v_cmp_eq_u32_e32 vcc_lo, 0, v6
	s_waitcnt lgkmcnt(0)
	buffer_store_dword v7, off, s[0:3], s32 offset:912 ; 4-byte Folded Spill
	buffer_store_dword v8, off, s[0:3], s32 offset:916 ; 4-byte Folded Spill
	;; [unrolled: 1-line block ×4, first 2 shown]
	ds_read_b128 v[7:10], v2 offset:32
	v_lshlrev_b32_e32 v1, 2, v3
	s_waitcnt lgkmcnt(0)
	buffer_store_dword v7, off, s[0:3], s32 offset:928 ; 4-byte Folded Spill
	buffer_store_dword v8, off, s[0:3], s32 offset:932 ; 4-byte Folded Spill
	buffer_store_dword v9, off, s[0:3], s32 offset:936 ; 4-byte Folded Spill
	buffer_store_dword v10, off, s[0:3], s32 offset:940 ; 4-byte Folded Spill
	ds_read_b128 v[7:10], v2 offset:48
	s_waitcnt lgkmcnt(0)
	buffer_store_dword v7, off, s[0:3], s32 offset:944 ; 4-byte Folded Spill
	buffer_store_dword v8, off, s[0:3], s32 offset:948 ; 4-byte Folded Spill
	buffer_store_dword v9, off, s[0:3], s32 offset:952 ; 4-byte Folded Spill
	buffer_store_dword v10, off, s[0:3], s32 offset:956 ; 4-byte Folded Spill
	ds_read_b128 v[7:10], v2 offset:64
	;; [unrolled: 6-line block ×10, first 2 shown]
	s_waitcnt lgkmcnt(0)
	buffer_store_dword v7, off, s[0:3], s32 offset:1088 ; 4-byte Folded Spill
	buffer_store_dword v8, off, s[0:3], s32 offset:1092 ; 4-byte Folded Spill
	buffer_store_dword v9, off, s[0:3], s32 offset:1096 ; 4-byte Folded Spill
	buffer_store_dword v10, off, s[0:3], s32 offset:1100 ; 4-byte Folded Spill
	buffer_load_dword v3, off, s[0:3], s32 offset:1412 ; 4-byte Folded Reload
	buffer_store_dword v1, off, s[0:3], s32 offset:1104 ; 4-byte Folded Spill
	v_or_b32_e32 v1, 4, v4
	buffer_store_dword v12, off, s[0:3], s32 offset:1484 ; 4-byte Folded Spill
	buffer_store_dword v1, off, s[0:3], s32 offset:208 ; 4-byte Folded Spill
	v_or_b32_e32 v1, 8, v4
	buffer_store_dword v1, off, s[0:3], s32 offset:212 ; 4-byte Folded Spill
	buffer_store_dword v4, off, s[0:3], s32 offset:204 ; 4-byte Folded Spill
	v_or_b32_e32 v1, 12, v4
	buffer_store_dword v1, off, s[0:3], s32 offset:216 ; 4-byte Folded Spill
	s_waitcnt vmcnt(0)
	v_cmp_neq_f32_e64 s5, 0, v3
	ds_read_b128 v[3:6], v2 offset:208
	s_waitcnt lgkmcnt(0)
	buffer_store_dword v3, off, s[0:3], s32 offset:1108 ; 4-byte Folded Spill
	buffer_store_dword v4, off, s[0:3], s32 offset:1112 ; 4-byte Folded Spill
	buffer_store_dword v5, off, s[0:3], s32 offset:1116 ; 4-byte Folded Spill
	buffer_store_dword v6, off, s[0:3], s32 offset:1120 ; 4-byte Folded Spill
	ds_read_b128 v[3:6], v2 offset:224
	s_waitcnt lgkmcnt(0)
	buffer_store_dword v3, off, s[0:3], s32 offset:1124 ; 4-byte Folded Spill
	buffer_store_dword v4, off, s[0:3], s32 offset:1128 ; 4-byte Folded Spill
	buffer_store_dword v5, off, s[0:3], s32 offset:1132 ; 4-byte Folded Spill
	buffer_store_dword v6, off, s[0:3], s32 offset:1136 ; 4-byte Folded Spill
	;; [unrolled: 6-line block ×19, first 2 shown]
	s_clause 0x2
	buffer_load_dword v2, off, s[0:3], s32 offset:1444
	buffer_load_dword v3, off, s[0:3], s32 offset:1436
	;; [unrolled: 1-line block ×3, first 2 shown]
	s_waitcnt vmcnt(2)
	v_and_b32_e32 v2, 0x7c, v2
	s_waitcnt vmcnt(1)
	v_add_co_u32 v2, s6, v2, v3
	s_waitcnt vmcnt(0)
	v_add_co_ci_u32_e64 v3, null, 0, v4, s6
	buffer_load_dword v4, off, s[0:3], s32 offset:1432 ; 4-byte Folded Reload
	s_waitcnt vmcnt(0)
	v_add_co_u32 v4, s6, v4, v2
	buffer_load_dword v2, off, s[0:3], s32 offset:1428 ; 4-byte Folded Reload
	s_waitcnt vmcnt(0)
	v_add_co_ci_u32_e64 v5, null, v2, v3, s6
	buffer_load_dword v2, off, s[0:3], s32 offset:1420 ; 4-byte Folded Reload
	s_waitcnt vmcnt(0)
	v_lshl_or_b32 v1, v2, 4, v0
	v_lshlrev_b32_e32 v0, 2, v0
	v_mov_b32_e32 v7, v2
	buffer_store_dword v1, off, s[0:3], s32 offset:800 ; 4-byte Folded Spill
	v_lshl_or_b32 v0, v2, 6, v0
	v_mov_b32_e32 v1, 0x7f800001
	buffer_store_dword v0, off, s[0:3], s32 offset:804 ; 4-byte Folded Spill
	v_mov_b32_e32 v0, 0xff7fffff
	buffer_store_dword v0, off, s[0:3], s32 offset:884 ; 4-byte Folded Spill
	buffer_store_dword v0, off, s[0:3], s32 offset:192 ; 4-byte Folded Spill
	;; [unrolled: 1-line block ×3, first 2 shown]
	s_branch .LBB200_9
.LBB200_8:                              ;   in Loop: Header=BB200_9 Depth=1
	s_or_b32 exec_lo, exec_lo, s17
	s_clause 0x2
	buffer_load_dword v4, off, s[0:3], s32 offset:812
	buffer_load_dword v5, off, s[0:3], s32 offset:816
	;; [unrolled: 1-line block ×3, first 2 shown]
	s_waitcnt vmcnt(3)
	v_add_nc_u32_e32 v7, 4, v7
	s_waitcnt vmcnt(2)
	v_add_co_u32 v4, s6, v4, 16
	s_waitcnt vmcnt(0)
	v_add_nc_u32_e32 v0, 64, v0
	v_add_co_ci_u32_e64 v5, null, 0, v5, s6
	buffer_store_dword v0, off, s[0:3], s32 offset:800 ; 4-byte Folded Spill
	buffer_load_dword v0, off, s[0:3], s32 offset:804 ; 4-byte Folded Reload
	s_waitcnt vmcnt(0)
	v_add_nc_u32_e32 v0, 0x100, v0
	buffer_store_dword v0, off, s[0:3], s32 offset:804 ; 4-byte Folded Spill
	buffer_load_dword v0, off, s[0:3], s32 offset:220 ; 4-byte Folded Reload
	s_waitcnt vmcnt(0)
	v_cmp_ge_i32_e64 s6, v7, v0
	s_or_b32 s18, s6, s18
	s_andn2_b32 exec_lo, exec_lo, s18
	s_cbranch_execz .LBB200_1035
.LBB200_9:                              ; =>This Inner Loop Header: Depth=1
	buffer_store_dword v7, off, s[0:3], s32 offset:820 ; 4-byte Folded Spill
	buffer_store_dword v4, off, s[0:3], s32 offset:812 ; 4-byte Folded Spill
	;; [unrolled: 1-line block ×3, first 2 shown]
	v_mov_b32_e32 v28, 0
	v_mov_b32_e32 v16, 0
	;; [unrolled: 1-line block ×4, first 2 shown]
	flat_load_dword v0, v[4:5]
	s_waitcnt lgkmcnt(1)
	s_clause 0x2
	buffer_load_dword v2, off, s[0:3], s32 offset:808
	buffer_load_dword v3, off, s[0:3], s32 offset:888
	;; [unrolled: 1-line block ×3, first 2 shown]
	s_waitcnt vmcnt(0) lgkmcnt(0)
	v_mad_i64_i32 v[52:53], null, v0, v2, v[3:4]
	s_clause 0x2
	buffer_load_dword v2, off, s[0:3], s32 offset:876
	buffer_load_dword v3, off, s[0:3], s32 offset:880
	;; [unrolled: 1-line block ×3, first 2 shown]
	s_waitcnt vmcnt(1)
	flat_load_dword v70, v[2:3]
	s_waitcnt vmcnt(1)
	v_add_co_u32 v26, s6, v52, v0
	v_add_co_ci_u32_e64 v27, null, 0, v53, s6
	flat_load_ushort v0, v[26:27]
	s_waitcnt vmcnt(0) lgkmcnt(0)
	v_and_b32_e32 v2, 0xffff, v0
	v_cmp_ne_u16_sdwa s6, v0, v83 src0_sel:BYTE_0 src1_sel:DWORD
	s_and_saveexec_b32 s17, s6
	s_cbranch_execz .LBB200_17
; %bb.10:                               ;   in Loop: Header=BB200_9 Depth=1
	v_mov_b32_e32 v0, 0x80
	v_bfrev_b32_e32 v16, 1
	v_mov_b32_e32 v17, 0
	v_cmp_ne_u16_sdwa s6, v2, v0 src0_sel:BYTE_0 src1_sel:DWORD
	s_and_saveexec_b32 s19, s6
	s_cbranch_execz .LBB200_16
; %bb.11:                               ;   in Loop: Header=BB200_9 Depth=1
	v_mov_b32_e32 v16, 0x7f800001
	v_and_b32_e32 v4, 0x7f, v2
	v_mov_b32_e32 v17, 0
	s_mov_b32 s20, exec_lo
	v_cmpx_ne_u32_e32 0x7f, v4
	s_cbranch_execz .LBB200_15
; %bb.12:                               ;   in Loop: Header=BB200_9 Depth=1
	v_and_b32_e32 v82, 7, v2
	v_lshrrev_b32_e32 v3, 3, v4
	s_mov_b32 s21, exec_lo
	v_cmpx_gt_u32_e32 8, v4
; %bb.13:                               ;   in Loop: Header=BB200_9 Depth=1
	v_ffbh_u32_e32 v3, v82
	v_min_u32_e32 v3, 32, v3
	v_subrev_nc_u32_e32 v4, 28, v3
	v_sub_nc_u32_e32 v3, 29, v3
	v_lshlrev_b64 v[4:5], v4, v[82:83]
	v_and_b32_e32 v82, 7, v4
; %bb.14:                               ;   in Loop: Header=BB200_9 Depth=1
	s_or_b32 exec_lo, exec_lo, s21
	v_lshlrev_b32_e32 v4, 24, v2
	v_lshlrev_b32_e32 v0, 20, v82
	v_lshl_add_u32 v3, v3, 23, 0x3c000000
	v_and_b32_e32 v4, 0x80000000, v4
	v_or3_b32 v82, v0, v4, v3
	v_mov_b32_e32 v16, v82
	v_mov_b32_e32 v17, v83
.LBB200_15:                             ;   in Loop: Header=BB200_9 Depth=1
	s_or_b32 exec_lo, exec_lo, s20
.LBB200_16:                             ;   in Loop: Header=BB200_9 Depth=1
	s_or_b32 exec_lo, exec_lo, s19
.LBB200_17:                             ;   in Loop: Header=BB200_9 Depth=1
	s_or_b32 exec_lo, exec_lo, s17
	v_cmp_ne_u16_sdwa s6, v2, v83 src0_sel:BYTE_1 src1_sel:DWORD
	s_and_saveexec_b32 s17, s6
	s_cbranch_execz .LBB200_25
; %bb.18:                               ;   in Loop: Header=BB200_9 Depth=1
	v_mov_b32_e32 v50, v83
	v_mov_b32_e32 v0, 0x80
	;; [unrolled: 1-line block ×3, first 2 shown]
	v_cmp_ne_u16_sdwa s6, v2, v0 src0_sel:BYTE_1 src1_sel:DWORD
	v_mov_b32_e32 v29, v51
	s_and_saveexec_b32 s19, s6
	s_cbranch_execz .LBB200_24
; %bb.19:                               ;   in Loop: Header=BB200_9 Depth=1
	s_clause 0x1
	buffer_load_dword v28, off, s[0:3], s32 offset:192
	buffer_load_dword v29, off, s[0:3], s32 offset:196
	v_mov_b32_e32 v0, 0xffff
	s_waitcnt vmcnt(1)
	v_mov_b32_e32 v28, v83
	s_mov_b32 s20, exec_lo
	v_and_b32_sdwa v0, v0, v2 dst_sel:DWORD dst_unused:UNUSED_PAD src0_sel:DWORD src1_sel:BYTE_1
	v_and_b32_e32 v4, 0x7f, v0
	s_waitcnt vmcnt(0)
	v_mov_b32_e32 v1, v29
	buffer_store_dword v0, off, s[0:3], s32 offset:192 ; 4-byte Folded Spill
	buffer_store_dword v1, off, s[0:3], s32 offset:196 ; 4-byte Folded Spill
	v_cmpx_ne_u32_e32 0x7f, v4
	s_cbranch_execz .LBB200_23
; %bb.20:                               ;   in Loop: Header=BB200_9 Depth=1
	v_and_b32_e32 v82, 7, v0
	v_lshrrev_b32_e32 v3, 3, v4
	s_mov_b32 s21, exec_lo
	v_cmpx_gt_u32_e32 8, v4
; %bb.21:                               ;   in Loop: Header=BB200_9 Depth=1
	v_ffbh_u32_e32 v3, v82
	v_min_u32_e32 v3, 32, v3
	v_subrev_nc_u32_e32 v4, 28, v3
	v_sub_nc_u32_e32 v3, 29, v3
	v_lshlrev_b64 v[4:5], v4, v[82:83]
	v_and_b32_e32 v82, 7, v4
; %bb.22:                               ;   in Loop: Header=BB200_9 Depth=1
	s_or_b32 exec_lo, exec_lo, s21
	v_lshlrev_b32_e32 v2, 16, v2
	v_lshlrev_b32_e32 v0, 20, v82
	v_lshl_add_u32 v3, v3, 23, 0x3c000000
	v_mov_b32_e32 v28, v83
	v_and_b32_e32 v2, 0x80000000, v2
	v_or3_b32 v29, v0, v2, v3
.LBB200_23:                             ;   in Loop: Header=BB200_9 Depth=1
	s_or_b32 exec_lo, exec_lo, s20
.LBB200_24:                             ;   in Loop: Header=BB200_9 Depth=1
	s_or_b32 exec_lo, exec_lo, s19
.LBB200_25:                             ;   in Loop: Header=BB200_9 Depth=1
	s_or_b32 exec_lo, exec_lo, s17
	flat_load_ushort v0, v[26:27] offset:4
	s_waitcnt vmcnt(0) lgkmcnt(0)
	v_and_b32_e32 v2, 0xffff, v0
	v_cmp_ne_u16_sdwa s6, v0, v83 src0_sel:BYTE_0 src1_sel:DWORD
	v_mov_b32_e32 v0, 0
	v_mov_b32_e32 v1, 0
	buffer_store_dword v0, off, s[0:3], s32 offset:232 ; 4-byte Folded Spill
	buffer_store_dword v1, off, s[0:3], s32 offset:236 ; 4-byte Folded Spill
	v_mov_b32_e32 v0, 0
	v_mov_b32_e32 v1, 0
	buffer_store_dword v0, off, s[0:3], s32 offset:224 ; 4-byte Folded Spill
	buffer_store_dword v1, off, s[0:3], s32 offset:228 ; 4-byte Folded Spill
	s_and_saveexec_b32 s17, s6
	s_cbranch_execz .LBB200_33
; %bb.26:                               ;   in Loop: Header=BB200_9 Depth=1
	v_bfrev_b32_e32 v0, 1
	v_mov_b32_e32 v1, 0
	buffer_store_dword v0, off, s[0:3], s32 offset:224 ; 4-byte Folded Spill
	buffer_store_dword v1, off, s[0:3], s32 offset:228 ; 4-byte Folded Spill
	v_mov_b32_e32 v0, 0x80
	v_cmp_ne_u16_sdwa s6, v2, v0 src0_sel:BYTE_0 src1_sel:DWORD
	s_and_saveexec_b32 s19, s6
	s_cbranch_execz .LBB200_32
; %bb.27:                               ;   in Loop: Header=BB200_9 Depth=1
	v_mov_b32_e32 v0, 0x7f800001
	v_and_b32_e32 v4, 0x7f, v2
	v_mov_b32_e32 v1, 0
	s_mov_b32 s20, exec_lo
	buffer_store_dword v0, off, s[0:3], s32 offset:224 ; 4-byte Folded Spill
	buffer_store_dword v1, off, s[0:3], s32 offset:228 ; 4-byte Folded Spill
	v_cmpx_ne_u32_e32 0x7f, v4
	s_cbranch_execz .LBB200_31
; %bb.28:                               ;   in Loop: Header=BB200_9 Depth=1
	v_and_b32_e32 v82, 7, v2
	v_lshrrev_b32_e32 v3, 3, v4
	s_mov_b32 s21, exec_lo
	v_cmpx_gt_u32_e32 8, v4
; %bb.29:                               ;   in Loop: Header=BB200_9 Depth=1
	v_ffbh_u32_e32 v3, v82
	v_min_u32_e32 v3, 32, v3
	v_subrev_nc_u32_e32 v4, 28, v3
	v_sub_nc_u32_e32 v3, 29, v3
	v_lshlrev_b64 v[4:5], v4, v[82:83]
	v_and_b32_e32 v82, 7, v4
; %bb.30:                               ;   in Loop: Header=BB200_9 Depth=1
	s_or_b32 exec_lo, exec_lo, s21
	v_lshlrev_b32_e32 v4, 24, v2
	v_lshlrev_b32_e32 v0, 20, v82
	v_lshl_add_u32 v3, v3, 23, 0x3c000000
	v_and_b32_e32 v4, 0x80000000, v4
	v_or3_b32 v82, v0, v4, v3
	buffer_store_dword v82, off, s[0:3], s32 offset:224 ; 4-byte Folded Spill
	buffer_store_dword v83, off, s[0:3], s32 offset:228 ; 4-byte Folded Spill
.LBB200_31:                             ;   in Loop: Header=BB200_9 Depth=1
	s_or_b32 exec_lo, exec_lo, s20
.LBB200_32:                             ;   in Loop: Header=BB200_9 Depth=1
	s_or_b32 exec_lo, exec_lo, s19
.LBB200_33:                             ;   in Loop: Header=BB200_9 Depth=1
	s_or_b32 exec_lo, exec_lo, s17
	v_cmp_ne_u16_sdwa s6, v2, v83 src0_sel:BYTE_1 src1_sel:DWORD
	s_and_saveexec_b32 s17, s6
	s_cbranch_execz .LBB200_41
; %bb.34:                               ;   in Loop: Header=BB200_9 Depth=1
	v_mov_b32_e32 v0, 0x80
	v_mov_b32_e32 v50, v83
	buffer_store_dword v50, off, s[0:3], s32 offset:232 ; 4-byte Folded Spill
	buffer_store_dword v51, off, s[0:3], s32 offset:236 ; 4-byte Folded Spill
	v_cmp_ne_u16_sdwa s6, v2, v0 src0_sel:BYTE_1 src1_sel:DWORD
	s_and_saveexec_b32 s19, s6
	s_cbranch_execz .LBB200_40
; %bb.35:                               ;   in Loop: Header=BB200_9 Depth=1
	s_clause 0x1
	buffer_load_dword v5, off, s[0:3], s32 offset:192
	buffer_load_dword v6, off, s[0:3], s32 offset:196
	v_mov_b32_e32 v0, 0xffff
	s_waitcnt vmcnt(1)
	v_mov_b32_e32 v5, v83
	s_mov_b32 s20, exec_lo
	v_and_b32_sdwa v0, v0, v2 dst_sel:DWORD dst_unused:UNUSED_PAD src0_sel:DWORD src1_sel:BYTE_1
	v_and_b32_e32 v4, 0x7f, v0
	s_waitcnt vmcnt(0)
	v_mov_b32_e32 v1, v6
	buffer_store_dword v0, off, s[0:3], s32 offset:192 ; 4-byte Folded Spill
	buffer_store_dword v1, off, s[0:3], s32 offset:196 ; 4-byte Folded Spill
	;; [unrolled: 1-line block ×4, first 2 shown]
	v_cmpx_ne_u32_e32 0x7f, v4
	s_cbranch_execz .LBB200_39
; %bb.36:                               ;   in Loop: Header=BB200_9 Depth=1
	v_and_b32_e32 v82, 7, v0
	v_lshrrev_b32_e32 v3, 3, v4
	s_mov_b32 s21, exec_lo
	v_cmpx_gt_u32_e32 8, v4
; %bb.37:                               ;   in Loop: Header=BB200_9 Depth=1
	v_ffbh_u32_e32 v3, v82
	v_min_u32_e32 v3, 32, v3
	v_subrev_nc_u32_e32 v4, 28, v3
	v_sub_nc_u32_e32 v3, 29, v3
	v_lshlrev_b64 v[4:5], v4, v[82:83]
	v_and_b32_e32 v82, 7, v4
; %bb.38:                               ;   in Loop: Header=BB200_9 Depth=1
	s_or_b32 exec_lo, exec_lo, s21
	v_lshlrev_b32_e32 v2, 16, v2
	v_lshlrev_b32_e32 v0, 20, v82
	v_lshl_add_u32 v3, v3, 23, 0x3c000000
	v_and_b32_e32 v2, 0x80000000, v2
	v_or3_b32 v1, v0, v2, v3
	v_mov_b32_e32 v0, v83
	buffer_store_dword v0, off, s[0:3], s32 offset:232 ; 4-byte Folded Spill
	buffer_store_dword v1, off, s[0:3], s32 offset:236 ; 4-byte Folded Spill
.LBB200_39:                             ;   in Loop: Header=BB200_9 Depth=1
	s_or_b32 exec_lo, exec_lo, s20
.LBB200_40:                             ;   in Loop: Header=BB200_9 Depth=1
	s_or_b32 exec_lo, exec_lo, s19
.LBB200_41:                             ;   in Loop: Header=BB200_9 Depth=1
	s_or_b32 exec_lo, exec_lo, s17
	flat_load_ushort v0, v[26:27] offset:8
	s_waitcnt vmcnt(0) lgkmcnt(0)
	v_and_b32_e32 v2, 0xffff, v0
	v_cmp_ne_u16_sdwa s6, v0, v83 src0_sel:BYTE_0 src1_sel:DWORD
	v_mov_b32_e32 v0, 0
	v_mov_b32_e32 v1, 0
	buffer_store_dword v0, off, s[0:3], s32 offset:248 ; 4-byte Folded Spill
	buffer_store_dword v1, off, s[0:3], s32 offset:252 ; 4-byte Folded Spill
	v_mov_b32_e32 v0, 0
	v_mov_b32_e32 v1, 0
	buffer_store_dword v0, off, s[0:3], s32 offset:240 ; 4-byte Folded Spill
	buffer_store_dword v1, off, s[0:3], s32 offset:244 ; 4-byte Folded Spill
	s_and_saveexec_b32 s17, s6
	s_cbranch_execz .LBB200_49
; %bb.42:                               ;   in Loop: Header=BB200_9 Depth=1
	v_bfrev_b32_e32 v0, 1
	v_mov_b32_e32 v1, 0
	buffer_store_dword v0, off, s[0:3], s32 offset:240 ; 4-byte Folded Spill
	buffer_store_dword v1, off, s[0:3], s32 offset:244 ; 4-byte Folded Spill
	v_mov_b32_e32 v0, 0x80
	v_cmp_ne_u16_sdwa s6, v2, v0 src0_sel:BYTE_0 src1_sel:DWORD
	s_and_saveexec_b32 s19, s6
	s_cbranch_execz .LBB200_48
; %bb.43:                               ;   in Loop: Header=BB200_9 Depth=1
	v_mov_b32_e32 v0, 0x7f800001
	v_and_b32_e32 v4, 0x7f, v2
	v_mov_b32_e32 v1, 0
	s_mov_b32 s20, exec_lo
	buffer_store_dword v0, off, s[0:3], s32 offset:240 ; 4-byte Folded Spill
	buffer_store_dword v1, off, s[0:3], s32 offset:244 ; 4-byte Folded Spill
	v_cmpx_ne_u32_e32 0x7f, v4
	s_cbranch_execz .LBB200_47
; %bb.44:                               ;   in Loop: Header=BB200_9 Depth=1
	v_and_b32_e32 v82, 7, v2
	v_lshrrev_b32_e32 v3, 3, v4
	s_mov_b32 s21, exec_lo
	v_cmpx_gt_u32_e32 8, v4
; %bb.45:                               ;   in Loop: Header=BB200_9 Depth=1
	v_ffbh_u32_e32 v3, v82
	v_min_u32_e32 v3, 32, v3
	v_subrev_nc_u32_e32 v4, 28, v3
	v_sub_nc_u32_e32 v3, 29, v3
	v_lshlrev_b64 v[4:5], v4, v[82:83]
	v_and_b32_e32 v82, 7, v4
; %bb.46:                               ;   in Loop: Header=BB200_9 Depth=1
	s_or_b32 exec_lo, exec_lo, s21
	v_lshlrev_b32_e32 v4, 24, v2
	v_lshlrev_b32_e32 v0, 20, v82
	v_lshl_add_u32 v3, v3, 23, 0x3c000000
	v_and_b32_e32 v4, 0x80000000, v4
	v_or3_b32 v82, v0, v4, v3
	buffer_store_dword v82, off, s[0:3], s32 offset:240 ; 4-byte Folded Spill
	buffer_store_dword v83, off, s[0:3], s32 offset:244 ; 4-byte Folded Spill
.LBB200_47:                             ;   in Loop: Header=BB200_9 Depth=1
	s_or_b32 exec_lo, exec_lo, s20
.LBB200_48:                             ;   in Loop: Header=BB200_9 Depth=1
	s_or_b32 exec_lo, exec_lo, s19
.LBB200_49:                             ;   in Loop: Header=BB200_9 Depth=1
	s_or_b32 exec_lo, exec_lo, s17
	v_cmp_ne_u16_sdwa s6, v2, v83 src0_sel:BYTE_1 src1_sel:DWORD
	s_and_saveexec_b32 s17, s6
	s_cbranch_execz .LBB200_57
; %bb.50:                               ;   in Loop: Header=BB200_9 Depth=1
	v_mov_b32_e32 v0, 0x80
	v_mov_b32_e32 v50, v83
	buffer_store_dword v50, off, s[0:3], s32 offset:248 ; 4-byte Folded Spill
	buffer_store_dword v51, off, s[0:3], s32 offset:252 ; 4-byte Folded Spill
	v_cmp_ne_u16_sdwa s6, v2, v0 src0_sel:BYTE_1 src1_sel:DWORD
	s_and_saveexec_b32 s19, s6
	s_cbranch_execz .LBB200_56
; %bb.51:                               ;   in Loop: Header=BB200_9 Depth=1
	s_clause 0x1
	buffer_load_dword v5, off, s[0:3], s32 offset:192
	buffer_load_dword v6, off, s[0:3], s32 offset:196
	v_mov_b32_e32 v0, 0xffff
	s_waitcnt vmcnt(1)
	v_mov_b32_e32 v5, v83
	s_mov_b32 s20, exec_lo
	v_and_b32_sdwa v0, v0, v2 dst_sel:DWORD dst_unused:UNUSED_PAD src0_sel:DWORD src1_sel:BYTE_1
	v_and_b32_e32 v4, 0x7f, v0
	s_waitcnt vmcnt(0)
	v_mov_b32_e32 v1, v6
	buffer_store_dword v0, off, s[0:3], s32 offset:192 ; 4-byte Folded Spill
	buffer_store_dword v1, off, s[0:3], s32 offset:196 ; 4-byte Folded Spill
	;; [unrolled: 1-line block ×4, first 2 shown]
	v_cmpx_ne_u32_e32 0x7f, v4
	s_cbranch_execz .LBB200_55
; %bb.52:                               ;   in Loop: Header=BB200_9 Depth=1
	v_and_b32_e32 v82, 7, v0
	v_lshrrev_b32_e32 v3, 3, v4
	s_mov_b32 s21, exec_lo
	v_cmpx_gt_u32_e32 8, v4
; %bb.53:                               ;   in Loop: Header=BB200_9 Depth=1
	v_ffbh_u32_e32 v3, v82
	v_min_u32_e32 v3, 32, v3
	v_subrev_nc_u32_e32 v4, 28, v3
	v_sub_nc_u32_e32 v3, 29, v3
	v_lshlrev_b64 v[4:5], v4, v[82:83]
	v_and_b32_e32 v82, 7, v4
; %bb.54:                               ;   in Loop: Header=BB200_9 Depth=1
	s_or_b32 exec_lo, exec_lo, s21
	v_lshlrev_b32_e32 v2, 16, v2
	v_lshlrev_b32_e32 v0, 20, v82
	v_lshl_add_u32 v3, v3, 23, 0x3c000000
	v_and_b32_e32 v2, 0x80000000, v2
	v_or3_b32 v1, v0, v2, v3
	v_mov_b32_e32 v0, v83
	buffer_store_dword v0, off, s[0:3], s32 offset:248 ; 4-byte Folded Spill
	buffer_store_dword v1, off, s[0:3], s32 offset:252 ; 4-byte Folded Spill
.LBB200_55:                             ;   in Loop: Header=BB200_9 Depth=1
	s_or_b32 exec_lo, exec_lo, s20
.LBB200_56:                             ;   in Loop: Header=BB200_9 Depth=1
	s_or_b32 exec_lo, exec_lo, s19
.LBB200_57:                             ;   in Loop: Header=BB200_9 Depth=1
	s_or_b32 exec_lo, exec_lo, s17
	flat_load_ushort v0, v[26:27] offset:12
	s_waitcnt vmcnt(0) lgkmcnt(0)
	v_and_b32_e32 v2, 0xffff, v0
	v_cmp_ne_u16_sdwa s6, v0, v83 src0_sel:BYTE_0 src1_sel:DWORD
	v_mov_b32_e32 v0, 0
	v_mov_b32_e32 v1, 0
	buffer_store_dword v0, off, s[0:3], s32 offset:264 ; 4-byte Folded Spill
	buffer_store_dword v1, off, s[0:3], s32 offset:268 ; 4-byte Folded Spill
	v_mov_b32_e32 v0, 0
	v_mov_b32_e32 v1, 0
	buffer_store_dword v0, off, s[0:3], s32 offset:256 ; 4-byte Folded Spill
	buffer_store_dword v1, off, s[0:3], s32 offset:260 ; 4-byte Folded Spill
	s_and_saveexec_b32 s17, s6
	s_cbranch_execz .LBB200_65
; %bb.58:                               ;   in Loop: Header=BB200_9 Depth=1
	v_bfrev_b32_e32 v0, 1
	v_mov_b32_e32 v1, 0
	buffer_store_dword v0, off, s[0:3], s32 offset:256 ; 4-byte Folded Spill
	buffer_store_dword v1, off, s[0:3], s32 offset:260 ; 4-byte Folded Spill
	v_mov_b32_e32 v0, 0x80
	v_cmp_ne_u16_sdwa s6, v2, v0 src0_sel:BYTE_0 src1_sel:DWORD
	s_and_saveexec_b32 s19, s6
	s_cbranch_execz .LBB200_64
; %bb.59:                               ;   in Loop: Header=BB200_9 Depth=1
	v_mov_b32_e32 v0, 0x7f800001
	v_and_b32_e32 v4, 0x7f, v2
	v_mov_b32_e32 v1, 0
	s_mov_b32 s20, exec_lo
	buffer_store_dword v0, off, s[0:3], s32 offset:256 ; 4-byte Folded Spill
	buffer_store_dword v1, off, s[0:3], s32 offset:260 ; 4-byte Folded Spill
	v_cmpx_ne_u32_e32 0x7f, v4
	s_cbranch_execz .LBB200_63
; %bb.60:                               ;   in Loop: Header=BB200_9 Depth=1
	v_and_b32_e32 v82, 7, v2
	v_lshrrev_b32_e32 v3, 3, v4
	s_mov_b32 s21, exec_lo
	v_cmpx_gt_u32_e32 8, v4
; %bb.61:                               ;   in Loop: Header=BB200_9 Depth=1
	v_ffbh_u32_e32 v3, v82
	v_min_u32_e32 v3, 32, v3
	v_subrev_nc_u32_e32 v4, 28, v3
	v_sub_nc_u32_e32 v3, 29, v3
	v_lshlrev_b64 v[4:5], v4, v[82:83]
	v_and_b32_e32 v82, 7, v4
; %bb.62:                               ;   in Loop: Header=BB200_9 Depth=1
	s_or_b32 exec_lo, exec_lo, s21
	v_lshlrev_b32_e32 v4, 24, v2
	v_lshlrev_b32_e32 v0, 20, v82
	v_lshl_add_u32 v3, v3, 23, 0x3c000000
	v_and_b32_e32 v4, 0x80000000, v4
	v_or3_b32 v82, v0, v4, v3
	buffer_store_dword v82, off, s[0:3], s32 offset:256 ; 4-byte Folded Spill
	buffer_store_dword v83, off, s[0:3], s32 offset:260 ; 4-byte Folded Spill
.LBB200_63:                             ;   in Loop: Header=BB200_9 Depth=1
	s_or_b32 exec_lo, exec_lo, s20
.LBB200_64:                             ;   in Loop: Header=BB200_9 Depth=1
	s_or_b32 exec_lo, exec_lo, s19
.LBB200_65:                             ;   in Loop: Header=BB200_9 Depth=1
	s_or_b32 exec_lo, exec_lo, s17
	v_cmp_ne_u16_sdwa s6, v2, v83 src0_sel:BYTE_1 src1_sel:DWORD
	s_and_saveexec_b32 s17, s6
	s_cbranch_execz .LBB200_73
; %bb.66:                               ;   in Loop: Header=BB200_9 Depth=1
	v_mov_b32_e32 v0, 0x80
	v_mov_b32_e32 v50, v83
	buffer_store_dword v50, off, s[0:3], s32 offset:264 ; 4-byte Folded Spill
	buffer_store_dword v51, off, s[0:3], s32 offset:268 ; 4-byte Folded Spill
	v_cmp_ne_u16_sdwa s6, v2, v0 src0_sel:BYTE_1 src1_sel:DWORD
	s_and_saveexec_b32 s19, s6
	s_cbranch_execz .LBB200_72
; %bb.67:                               ;   in Loop: Header=BB200_9 Depth=1
	s_clause 0x1
	buffer_load_dword v5, off, s[0:3], s32 offset:192
	buffer_load_dword v6, off, s[0:3], s32 offset:196
	v_mov_b32_e32 v0, 0xffff
	s_waitcnt vmcnt(1)
	v_mov_b32_e32 v5, v83
	s_mov_b32 s20, exec_lo
	v_and_b32_sdwa v0, v0, v2 dst_sel:DWORD dst_unused:UNUSED_PAD src0_sel:DWORD src1_sel:BYTE_1
	v_and_b32_e32 v4, 0x7f, v0
	s_waitcnt vmcnt(0)
	v_mov_b32_e32 v1, v6
	buffer_store_dword v0, off, s[0:3], s32 offset:192 ; 4-byte Folded Spill
	buffer_store_dword v1, off, s[0:3], s32 offset:196 ; 4-byte Folded Spill
	buffer_store_dword v5, off, s[0:3], s32 offset:264 ; 4-byte Folded Spill
	buffer_store_dword v6, off, s[0:3], s32 offset:268 ; 4-byte Folded Spill
	v_cmpx_ne_u32_e32 0x7f, v4
	s_cbranch_execz .LBB200_71
; %bb.68:                               ;   in Loop: Header=BB200_9 Depth=1
	v_and_b32_e32 v82, 7, v0
	v_lshrrev_b32_e32 v3, 3, v4
	s_mov_b32 s21, exec_lo
	v_cmpx_gt_u32_e32 8, v4
; %bb.69:                               ;   in Loop: Header=BB200_9 Depth=1
	v_ffbh_u32_e32 v3, v82
	v_min_u32_e32 v3, 32, v3
	v_subrev_nc_u32_e32 v4, 28, v3
	v_sub_nc_u32_e32 v3, 29, v3
	v_lshlrev_b64 v[4:5], v4, v[82:83]
	v_and_b32_e32 v82, 7, v4
; %bb.70:                               ;   in Loop: Header=BB200_9 Depth=1
	s_or_b32 exec_lo, exec_lo, s21
	v_lshlrev_b32_e32 v2, 16, v2
	v_lshlrev_b32_e32 v0, 20, v82
	v_lshl_add_u32 v3, v3, 23, 0x3c000000
	v_and_b32_e32 v2, 0x80000000, v2
	v_or3_b32 v1, v0, v2, v3
	v_mov_b32_e32 v0, v83
	buffer_store_dword v0, off, s[0:3], s32 offset:264 ; 4-byte Folded Spill
	buffer_store_dword v1, off, s[0:3], s32 offset:268 ; 4-byte Folded Spill
.LBB200_71:                             ;   in Loop: Header=BB200_9 Depth=1
	s_or_b32 exec_lo, exec_lo, s20
.LBB200_72:                             ;   in Loop: Header=BB200_9 Depth=1
	s_or_b32 exec_lo, exec_lo, s19
.LBB200_73:                             ;   in Loop: Header=BB200_9 Depth=1
	s_or_b32 exec_lo, exec_lo, s17
	flat_load_ushort v0, v[26:27] offset:256
	s_waitcnt vmcnt(0) lgkmcnt(0)
	v_and_b32_e32 v2, 0xffff, v0
	v_cmp_ne_u16_sdwa s6, v0, v83 src0_sel:BYTE_0 src1_sel:DWORD
	v_mov_b32_e32 v0, 0
	v_mov_b32_e32 v1, 0
	buffer_store_dword v0, off, s[0:3], s32 offset:280 ; 4-byte Folded Spill
	buffer_store_dword v1, off, s[0:3], s32 offset:284 ; 4-byte Folded Spill
	v_mov_b32_e32 v0, 0
	v_mov_b32_e32 v1, 0
	buffer_store_dword v0, off, s[0:3], s32 offset:272 ; 4-byte Folded Spill
	buffer_store_dword v1, off, s[0:3], s32 offset:276 ; 4-byte Folded Spill
	s_and_saveexec_b32 s17, s6
	s_cbranch_execz .LBB200_81
; %bb.74:                               ;   in Loop: Header=BB200_9 Depth=1
	v_bfrev_b32_e32 v0, 1
	v_mov_b32_e32 v1, 0
	buffer_store_dword v0, off, s[0:3], s32 offset:272 ; 4-byte Folded Spill
	buffer_store_dword v1, off, s[0:3], s32 offset:276 ; 4-byte Folded Spill
	v_mov_b32_e32 v0, 0x80
	v_cmp_ne_u16_sdwa s6, v2, v0 src0_sel:BYTE_0 src1_sel:DWORD
	s_and_saveexec_b32 s19, s6
	s_cbranch_execz .LBB200_80
; %bb.75:                               ;   in Loop: Header=BB200_9 Depth=1
	v_mov_b32_e32 v0, 0x7f800001
	v_and_b32_e32 v4, 0x7f, v2
	v_mov_b32_e32 v1, 0
	s_mov_b32 s20, exec_lo
	buffer_store_dword v0, off, s[0:3], s32 offset:272 ; 4-byte Folded Spill
	buffer_store_dword v1, off, s[0:3], s32 offset:276 ; 4-byte Folded Spill
	v_cmpx_ne_u32_e32 0x7f, v4
	s_cbranch_execz .LBB200_79
; %bb.76:                               ;   in Loop: Header=BB200_9 Depth=1
	v_and_b32_e32 v82, 7, v2
	v_lshrrev_b32_e32 v3, 3, v4
	s_mov_b32 s21, exec_lo
	v_cmpx_gt_u32_e32 8, v4
; %bb.77:                               ;   in Loop: Header=BB200_9 Depth=1
	v_ffbh_u32_e32 v3, v82
	v_min_u32_e32 v3, 32, v3
	v_subrev_nc_u32_e32 v4, 28, v3
	v_sub_nc_u32_e32 v3, 29, v3
	v_lshlrev_b64 v[4:5], v4, v[82:83]
	v_and_b32_e32 v82, 7, v4
; %bb.78:                               ;   in Loop: Header=BB200_9 Depth=1
	s_or_b32 exec_lo, exec_lo, s21
	v_lshlrev_b32_e32 v4, 24, v2
	v_lshlrev_b32_e32 v0, 20, v82
	v_lshl_add_u32 v3, v3, 23, 0x3c000000
	v_and_b32_e32 v4, 0x80000000, v4
	v_or3_b32 v82, v0, v4, v3
	buffer_store_dword v82, off, s[0:3], s32 offset:272 ; 4-byte Folded Spill
	buffer_store_dword v83, off, s[0:3], s32 offset:276 ; 4-byte Folded Spill
.LBB200_79:                             ;   in Loop: Header=BB200_9 Depth=1
	s_or_b32 exec_lo, exec_lo, s20
.LBB200_80:                             ;   in Loop: Header=BB200_9 Depth=1
	s_or_b32 exec_lo, exec_lo, s19
.LBB200_81:                             ;   in Loop: Header=BB200_9 Depth=1
	s_or_b32 exec_lo, exec_lo, s17
	v_cmp_ne_u16_sdwa s6, v2, v83 src0_sel:BYTE_1 src1_sel:DWORD
	s_and_saveexec_b32 s17, s6
	s_cbranch_execz .LBB200_89
; %bb.82:                               ;   in Loop: Header=BB200_9 Depth=1
	v_mov_b32_e32 v0, 0x80
	v_mov_b32_e32 v50, v83
	buffer_store_dword v50, off, s[0:3], s32 offset:280 ; 4-byte Folded Spill
	buffer_store_dword v51, off, s[0:3], s32 offset:284 ; 4-byte Folded Spill
	v_cmp_ne_u16_sdwa s6, v2, v0 src0_sel:BYTE_1 src1_sel:DWORD
	s_and_saveexec_b32 s19, s6
	s_cbranch_execz .LBB200_88
; %bb.83:                               ;   in Loop: Header=BB200_9 Depth=1
	s_clause 0x1
	buffer_load_dword v5, off, s[0:3], s32 offset:192
	buffer_load_dword v6, off, s[0:3], s32 offset:196
	v_mov_b32_e32 v0, 0xffff
	s_waitcnt vmcnt(1)
	v_mov_b32_e32 v5, v83
	s_mov_b32 s20, exec_lo
	v_and_b32_sdwa v0, v0, v2 dst_sel:DWORD dst_unused:UNUSED_PAD src0_sel:DWORD src1_sel:BYTE_1
	v_and_b32_e32 v4, 0x7f, v0
	s_waitcnt vmcnt(0)
	v_mov_b32_e32 v1, v6
	buffer_store_dword v0, off, s[0:3], s32 offset:192 ; 4-byte Folded Spill
	buffer_store_dword v1, off, s[0:3], s32 offset:196 ; 4-byte Folded Spill
	;; [unrolled: 1-line block ×4, first 2 shown]
	v_cmpx_ne_u32_e32 0x7f, v4
	s_cbranch_execz .LBB200_87
; %bb.84:                               ;   in Loop: Header=BB200_9 Depth=1
	v_and_b32_e32 v82, 7, v0
	v_lshrrev_b32_e32 v3, 3, v4
	s_mov_b32 s21, exec_lo
	v_cmpx_gt_u32_e32 8, v4
; %bb.85:                               ;   in Loop: Header=BB200_9 Depth=1
	v_ffbh_u32_e32 v3, v82
	v_min_u32_e32 v3, 32, v3
	v_subrev_nc_u32_e32 v4, 28, v3
	v_sub_nc_u32_e32 v3, 29, v3
	v_lshlrev_b64 v[4:5], v4, v[82:83]
	v_and_b32_e32 v82, 7, v4
; %bb.86:                               ;   in Loop: Header=BB200_9 Depth=1
	s_or_b32 exec_lo, exec_lo, s21
	v_lshlrev_b32_e32 v2, 16, v2
	v_lshlrev_b32_e32 v0, 20, v82
	v_lshl_add_u32 v3, v3, 23, 0x3c000000
	v_and_b32_e32 v2, 0x80000000, v2
	v_or3_b32 v1, v0, v2, v3
	v_mov_b32_e32 v0, v83
	buffer_store_dword v0, off, s[0:3], s32 offset:280 ; 4-byte Folded Spill
	buffer_store_dword v1, off, s[0:3], s32 offset:284 ; 4-byte Folded Spill
.LBB200_87:                             ;   in Loop: Header=BB200_9 Depth=1
	s_or_b32 exec_lo, exec_lo, s20
.LBB200_88:                             ;   in Loop: Header=BB200_9 Depth=1
	s_or_b32 exec_lo, exec_lo, s19
.LBB200_89:                             ;   in Loop: Header=BB200_9 Depth=1
	s_or_b32 exec_lo, exec_lo, s17
	flat_load_ushort v0, v[26:27] offset:260
	s_waitcnt vmcnt(0) lgkmcnt(0)
	v_and_b32_e32 v2, 0xffff, v0
	v_cmp_ne_u16_sdwa s6, v0, v83 src0_sel:BYTE_0 src1_sel:DWORD
	v_mov_b32_e32 v0, 0
	v_mov_b32_e32 v1, 0
	buffer_store_dword v0, off, s[0:3], s32 offset:296 ; 4-byte Folded Spill
	buffer_store_dword v1, off, s[0:3], s32 offset:300 ; 4-byte Folded Spill
	v_mov_b32_e32 v0, 0
	v_mov_b32_e32 v1, 0
	buffer_store_dword v0, off, s[0:3], s32 offset:288 ; 4-byte Folded Spill
	buffer_store_dword v1, off, s[0:3], s32 offset:292 ; 4-byte Folded Spill
	s_and_saveexec_b32 s17, s6
	s_cbranch_execz .LBB200_97
; %bb.90:                               ;   in Loop: Header=BB200_9 Depth=1
	v_bfrev_b32_e32 v0, 1
	v_mov_b32_e32 v1, 0
	buffer_store_dword v0, off, s[0:3], s32 offset:288 ; 4-byte Folded Spill
	buffer_store_dword v1, off, s[0:3], s32 offset:292 ; 4-byte Folded Spill
	v_mov_b32_e32 v0, 0x80
	v_cmp_ne_u16_sdwa s6, v2, v0 src0_sel:BYTE_0 src1_sel:DWORD
	s_and_saveexec_b32 s19, s6
	s_cbranch_execz .LBB200_96
; %bb.91:                               ;   in Loop: Header=BB200_9 Depth=1
	v_mov_b32_e32 v0, 0x7f800001
	v_and_b32_e32 v4, 0x7f, v2
	v_mov_b32_e32 v1, 0
	s_mov_b32 s20, exec_lo
	buffer_store_dword v0, off, s[0:3], s32 offset:288 ; 4-byte Folded Spill
	buffer_store_dword v1, off, s[0:3], s32 offset:292 ; 4-byte Folded Spill
	v_cmpx_ne_u32_e32 0x7f, v4
	s_cbranch_execz .LBB200_95
; %bb.92:                               ;   in Loop: Header=BB200_9 Depth=1
	v_and_b32_e32 v82, 7, v2
	v_lshrrev_b32_e32 v3, 3, v4
	s_mov_b32 s21, exec_lo
	v_cmpx_gt_u32_e32 8, v4
; %bb.93:                               ;   in Loop: Header=BB200_9 Depth=1
	v_ffbh_u32_e32 v3, v82
	v_min_u32_e32 v3, 32, v3
	v_subrev_nc_u32_e32 v4, 28, v3
	v_sub_nc_u32_e32 v3, 29, v3
	v_lshlrev_b64 v[4:5], v4, v[82:83]
	v_and_b32_e32 v82, 7, v4
; %bb.94:                               ;   in Loop: Header=BB200_9 Depth=1
	s_or_b32 exec_lo, exec_lo, s21
	v_lshlrev_b32_e32 v4, 24, v2
	v_lshlrev_b32_e32 v0, 20, v82
	v_lshl_add_u32 v3, v3, 23, 0x3c000000
	v_and_b32_e32 v4, 0x80000000, v4
	v_or3_b32 v82, v0, v4, v3
	buffer_store_dword v82, off, s[0:3], s32 offset:288 ; 4-byte Folded Spill
	buffer_store_dword v83, off, s[0:3], s32 offset:292 ; 4-byte Folded Spill
.LBB200_95:                             ;   in Loop: Header=BB200_9 Depth=1
	s_or_b32 exec_lo, exec_lo, s20
.LBB200_96:                             ;   in Loop: Header=BB200_9 Depth=1
	s_or_b32 exec_lo, exec_lo, s19
.LBB200_97:                             ;   in Loop: Header=BB200_9 Depth=1
	s_or_b32 exec_lo, exec_lo, s17
	v_cmp_ne_u16_sdwa s6, v2, v83 src0_sel:BYTE_1 src1_sel:DWORD
	s_and_saveexec_b32 s17, s6
	s_cbranch_execz .LBB200_105
; %bb.98:                               ;   in Loop: Header=BB200_9 Depth=1
	v_mov_b32_e32 v0, 0x80
	v_mov_b32_e32 v50, v83
	buffer_store_dword v50, off, s[0:3], s32 offset:296 ; 4-byte Folded Spill
	buffer_store_dword v51, off, s[0:3], s32 offset:300 ; 4-byte Folded Spill
	v_cmp_ne_u16_sdwa s6, v2, v0 src0_sel:BYTE_1 src1_sel:DWORD
	s_and_saveexec_b32 s19, s6
	s_cbranch_execz .LBB200_104
; %bb.99:                               ;   in Loop: Header=BB200_9 Depth=1
	s_clause 0x1
	buffer_load_dword v5, off, s[0:3], s32 offset:192
	buffer_load_dword v6, off, s[0:3], s32 offset:196
	v_mov_b32_e32 v0, 0xffff
	s_waitcnt vmcnt(1)
	v_mov_b32_e32 v5, v83
	s_mov_b32 s20, exec_lo
	v_and_b32_sdwa v0, v0, v2 dst_sel:DWORD dst_unused:UNUSED_PAD src0_sel:DWORD src1_sel:BYTE_1
	v_and_b32_e32 v4, 0x7f, v0
	s_waitcnt vmcnt(0)
	v_mov_b32_e32 v1, v6
	buffer_store_dword v0, off, s[0:3], s32 offset:192 ; 4-byte Folded Spill
	buffer_store_dword v1, off, s[0:3], s32 offset:196 ; 4-byte Folded Spill
	;; [unrolled: 1-line block ×4, first 2 shown]
	v_cmpx_ne_u32_e32 0x7f, v4
	s_cbranch_execz .LBB200_103
; %bb.100:                              ;   in Loop: Header=BB200_9 Depth=1
	v_and_b32_e32 v82, 7, v0
	v_lshrrev_b32_e32 v3, 3, v4
	s_mov_b32 s21, exec_lo
	v_cmpx_gt_u32_e32 8, v4
; %bb.101:                              ;   in Loop: Header=BB200_9 Depth=1
	v_ffbh_u32_e32 v3, v82
	v_min_u32_e32 v3, 32, v3
	v_subrev_nc_u32_e32 v4, 28, v3
	v_sub_nc_u32_e32 v3, 29, v3
	v_lshlrev_b64 v[4:5], v4, v[82:83]
	v_and_b32_e32 v82, 7, v4
; %bb.102:                              ;   in Loop: Header=BB200_9 Depth=1
	s_or_b32 exec_lo, exec_lo, s21
	v_lshlrev_b32_e32 v2, 16, v2
	v_lshlrev_b32_e32 v0, 20, v82
	v_lshl_add_u32 v3, v3, 23, 0x3c000000
	v_and_b32_e32 v2, 0x80000000, v2
	v_or3_b32 v1, v0, v2, v3
	v_mov_b32_e32 v0, v83
	buffer_store_dword v0, off, s[0:3], s32 offset:296 ; 4-byte Folded Spill
	buffer_store_dword v1, off, s[0:3], s32 offset:300 ; 4-byte Folded Spill
.LBB200_103:                            ;   in Loop: Header=BB200_9 Depth=1
	s_or_b32 exec_lo, exec_lo, s20
.LBB200_104:                            ;   in Loop: Header=BB200_9 Depth=1
	s_or_b32 exec_lo, exec_lo, s19
.LBB200_105:                            ;   in Loop: Header=BB200_9 Depth=1
	s_or_b32 exec_lo, exec_lo, s17
	flat_load_ushort v0, v[26:27] offset:264
	s_waitcnt vmcnt(0) lgkmcnt(0)
	v_and_b32_e32 v2, 0xffff, v0
	v_cmp_ne_u16_sdwa s6, v0, v83 src0_sel:BYTE_0 src1_sel:DWORD
	v_mov_b32_e32 v0, 0
	v_mov_b32_e32 v1, 0
	buffer_store_dword v0, off, s[0:3], s32 offset:312 ; 4-byte Folded Spill
	buffer_store_dword v1, off, s[0:3], s32 offset:316 ; 4-byte Folded Spill
	v_mov_b32_e32 v0, 0
	v_mov_b32_e32 v1, 0
	buffer_store_dword v0, off, s[0:3], s32 offset:304 ; 4-byte Folded Spill
	buffer_store_dword v1, off, s[0:3], s32 offset:308 ; 4-byte Folded Spill
	s_and_saveexec_b32 s17, s6
	s_cbranch_execz .LBB200_113
; %bb.106:                              ;   in Loop: Header=BB200_9 Depth=1
	v_bfrev_b32_e32 v0, 1
	v_mov_b32_e32 v1, 0
	buffer_store_dword v0, off, s[0:3], s32 offset:304 ; 4-byte Folded Spill
	buffer_store_dword v1, off, s[0:3], s32 offset:308 ; 4-byte Folded Spill
	v_mov_b32_e32 v0, 0x80
	v_cmp_ne_u16_sdwa s6, v2, v0 src0_sel:BYTE_0 src1_sel:DWORD
	s_and_saveexec_b32 s19, s6
	s_cbranch_execz .LBB200_112
; %bb.107:                              ;   in Loop: Header=BB200_9 Depth=1
	v_mov_b32_e32 v0, 0x7f800001
	v_and_b32_e32 v4, 0x7f, v2
	v_mov_b32_e32 v1, 0
	s_mov_b32 s20, exec_lo
	buffer_store_dword v0, off, s[0:3], s32 offset:304 ; 4-byte Folded Spill
	buffer_store_dword v1, off, s[0:3], s32 offset:308 ; 4-byte Folded Spill
	v_cmpx_ne_u32_e32 0x7f, v4
	s_cbranch_execz .LBB200_111
; %bb.108:                              ;   in Loop: Header=BB200_9 Depth=1
	v_and_b32_e32 v82, 7, v2
	v_lshrrev_b32_e32 v3, 3, v4
	s_mov_b32 s21, exec_lo
	v_cmpx_gt_u32_e32 8, v4
; %bb.109:                              ;   in Loop: Header=BB200_9 Depth=1
	v_ffbh_u32_e32 v3, v82
	v_min_u32_e32 v3, 32, v3
	v_subrev_nc_u32_e32 v4, 28, v3
	v_sub_nc_u32_e32 v3, 29, v3
	v_lshlrev_b64 v[4:5], v4, v[82:83]
	v_and_b32_e32 v82, 7, v4
; %bb.110:                              ;   in Loop: Header=BB200_9 Depth=1
	s_or_b32 exec_lo, exec_lo, s21
	v_lshlrev_b32_e32 v4, 24, v2
	v_lshlrev_b32_e32 v0, 20, v82
	v_lshl_add_u32 v3, v3, 23, 0x3c000000
	v_and_b32_e32 v4, 0x80000000, v4
	v_or3_b32 v82, v0, v4, v3
	buffer_store_dword v82, off, s[0:3], s32 offset:304 ; 4-byte Folded Spill
	buffer_store_dword v83, off, s[0:3], s32 offset:308 ; 4-byte Folded Spill
.LBB200_111:                            ;   in Loop: Header=BB200_9 Depth=1
	s_or_b32 exec_lo, exec_lo, s20
.LBB200_112:                            ;   in Loop: Header=BB200_9 Depth=1
	s_or_b32 exec_lo, exec_lo, s19
.LBB200_113:                            ;   in Loop: Header=BB200_9 Depth=1
	s_or_b32 exec_lo, exec_lo, s17
	v_cmp_ne_u16_sdwa s6, v2, v83 src0_sel:BYTE_1 src1_sel:DWORD
	s_and_saveexec_b32 s17, s6
	s_cbranch_execz .LBB200_121
; %bb.114:                              ;   in Loop: Header=BB200_9 Depth=1
	v_mov_b32_e32 v0, 0x80
	v_mov_b32_e32 v50, v83
	buffer_store_dword v50, off, s[0:3], s32 offset:312 ; 4-byte Folded Spill
	buffer_store_dword v51, off, s[0:3], s32 offset:316 ; 4-byte Folded Spill
	v_cmp_ne_u16_sdwa s6, v2, v0 src0_sel:BYTE_1 src1_sel:DWORD
	s_and_saveexec_b32 s19, s6
	s_cbranch_execz .LBB200_120
; %bb.115:                              ;   in Loop: Header=BB200_9 Depth=1
	s_clause 0x1
	buffer_load_dword v5, off, s[0:3], s32 offset:192
	buffer_load_dword v6, off, s[0:3], s32 offset:196
	v_mov_b32_e32 v0, 0xffff
	s_waitcnt vmcnt(1)
	v_mov_b32_e32 v5, v83
	s_mov_b32 s20, exec_lo
	v_and_b32_sdwa v0, v0, v2 dst_sel:DWORD dst_unused:UNUSED_PAD src0_sel:DWORD src1_sel:BYTE_1
	v_and_b32_e32 v4, 0x7f, v0
	s_waitcnt vmcnt(0)
	v_mov_b32_e32 v1, v6
	buffer_store_dword v0, off, s[0:3], s32 offset:192 ; 4-byte Folded Spill
	buffer_store_dword v1, off, s[0:3], s32 offset:196 ; 4-byte Folded Spill
	;; [unrolled: 1-line block ×4, first 2 shown]
	v_cmpx_ne_u32_e32 0x7f, v4
	s_cbranch_execz .LBB200_119
; %bb.116:                              ;   in Loop: Header=BB200_9 Depth=1
	v_and_b32_e32 v82, 7, v0
	v_lshrrev_b32_e32 v3, 3, v4
	s_mov_b32 s21, exec_lo
	v_cmpx_gt_u32_e32 8, v4
; %bb.117:                              ;   in Loop: Header=BB200_9 Depth=1
	v_ffbh_u32_e32 v3, v82
	v_min_u32_e32 v3, 32, v3
	v_subrev_nc_u32_e32 v4, 28, v3
	v_sub_nc_u32_e32 v3, 29, v3
	v_lshlrev_b64 v[4:5], v4, v[82:83]
	v_and_b32_e32 v82, 7, v4
; %bb.118:                              ;   in Loop: Header=BB200_9 Depth=1
	s_or_b32 exec_lo, exec_lo, s21
	v_lshlrev_b32_e32 v2, 16, v2
	v_lshlrev_b32_e32 v0, 20, v82
	v_lshl_add_u32 v3, v3, 23, 0x3c000000
	v_and_b32_e32 v2, 0x80000000, v2
	v_or3_b32 v1, v0, v2, v3
	v_mov_b32_e32 v0, v83
	buffer_store_dword v0, off, s[0:3], s32 offset:312 ; 4-byte Folded Spill
	buffer_store_dword v1, off, s[0:3], s32 offset:316 ; 4-byte Folded Spill
.LBB200_119:                            ;   in Loop: Header=BB200_9 Depth=1
	s_or_b32 exec_lo, exec_lo, s20
.LBB200_120:                            ;   in Loop: Header=BB200_9 Depth=1
	s_or_b32 exec_lo, exec_lo, s19
.LBB200_121:                            ;   in Loop: Header=BB200_9 Depth=1
	s_or_b32 exec_lo, exec_lo, s17
	flat_load_ushort v0, v[26:27] offset:268
	s_waitcnt vmcnt(0) lgkmcnt(0)
	v_and_b32_e32 v2, 0xffff, v0
	v_cmp_ne_u16_sdwa s6, v0, v83 src0_sel:BYTE_0 src1_sel:DWORD
	v_mov_b32_e32 v0, 0
	v_mov_b32_e32 v1, 0
	buffer_store_dword v0, off, s[0:3], s32 offset:328 ; 4-byte Folded Spill
	buffer_store_dword v1, off, s[0:3], s32 offset:332 ; 4-byte Folded Spill
	v_mov_b32_e32 v0, 0
	v_mov_b32_e32 v1, 0
	buffer_store_dword v0, off, s[0:3], s32 offset:320 ; 4-byte Folded Spill
	buffer_store_dword v1, off, s[0:3], s32 offset:324 ; 4-byte Folded Spill
	s_and_saveexec_b32 s17, s6
	s_cbranch_execz .LBB200_129
; %bb.122:                              ;   in Loop: Header=BB200_9 Depth=1
	v_bfrev_b32_e32 v0, 1
	v_mov_b32_e32 v1, 0
	buffer_store_dword v0, off, s[0:3], s32 offset:320 ; 4-byte Folded Spill
	buffer_store_dword v1, off, s[0:3], s32 offset:324 ; 4-byte Folded Spill
	v_mov_b32_e32 v0, 0x80
	v_cmp_ne_u16_sdwa s6, v2, v0 src0_sel:BYTE_0 src1_sel:DWORD
	s_and_saveexec_b32 s19, s6
	s_cbranch_execz .LBB200_128
; %bb.123:                              ;   in Loop: Header=BB200_9 Depth=1
	v_mov_b32_e32 v0, 0x7f800001
	v_and_b32_e32 v4, 0x7f, v2
	v_mov_b32_e32 v1, 0
	s_mov_b32 s20, exec_lo
	buffer_store_dword v0, off, s[0:3], s32 offset:320 ; 4-byte Folded Spill
	buffer_store_dword v1, off, s[0:3], s32 offset:324 ; 4-byte Folded Spill
	v_cmpx_ne_u32_e32 0x7f, v4
	s_cbranch_execz .LBB200_127
; %bb.124:                              ;   in Loop: Header=BB200_9 Depth=1
	v_and_b32_e32 v82, 7, v2
	v_lshrrev_b32_e32 v3, 3, v4
	s_mov_b32 s21, exec_lo
	v_cmpx_gt_u32_e32 8, v4
; %bb.125:                              ;   in Loop: Header=BB200_9 Depth=1
	v_ffbh_u32_e32 v3, v82
	v_min_u32_e32 v3, 32, v3
	v_subrev_nc_u32_e32 v4, 28, v3
	v_sub_nc_u32_e32 v3, 29, v3
	v_lshlrev_b64 v[4:5], v4, v[82:83]
	v_and_b32_e32 v82, 7, v4
; %bb.126:                              ;   in Loop: Header=BB200_9 Depth=1
	s_or_b32 exec_lo, exec_lo, s21
	v_lshlrev_b32_e32 v4, 24, v2
	v_lshlrev_b32_e32 v0, 20, v82
	v_lshl_add_u32 v3, v3, 23, 0x3c000000
	v_and_b32_e32 v4, 0x80000000, v4
	v_or3_b32 v82, v0, v4, v3
	buffer_store_dword v82, off, s[0:3], s32 offset:320 ; 4-byte Folded Spill
	buffer_store_dword v83, off, s[0:3], s32 offset:324 ; 4-byte Folded Spill
.LBB200_127:                            ;   in Loop: Header=BB200_9 Depth=1
	s_or_b32 exec_lo, exec_lo, s20
.LBB200_128:                            ;   in Loop: Header=BB200_9 Depth=1
	s_or_b32 exec_lo, exec_lo, s19
.LBB200_129:                            ;   in Loop: Header=BB200_9 Depth=1
	s_or_b32 exec_lo, exec_lo, s17
	v_cmp_ne_u16_sdwa s6, v2, v83 src0_sel:BYTE_1 src1_sel:DWORD
	s_and_saveexec_b32 s17, s6
	s_cbranch_execz .LBB200_137
; %bb.130:                              ;   in Loop: Header=BB200_9 Depth=1
	v_mov_b32_e32 v0, 0x80
	v_mov_b32_e32 v50, v83
	buffer_store_dword v50, off, s[0:3], s32 offset:328 ; 4-byte Folded Spill
	buffer_store_dword v51, off, s[0:3], s32 offset:332 ; 4-byte Folded Spill
	v_cmp_ne_u16_sdwa s6, v2, v0 src0_sel:BYTE_1 src1_sel:DWORD
	s_and_saveexec_b32 s19, s6
	s_cbranch_execz .LBB200_136
; %bb.131:                              ;   in Loop: Header=BB200_9 Depth=1
	s_clause 0x1
	buffer_load_dword v5, off, s[0:3], s32 offset:192
	buffer_load_dword v6, off, s[0:3], s32 offset:196
	v_mov_b32_e32 v0, 0xffff
	s_waitcnt vmcnt(1)
	v_mov_b32_e32 v5, v83
	s_mov_b32 s20, exec_lo
	v_and_b32_sdwa v0, v0, v2 dst_sel:DWORD dst_unused:UNUSED_PAD src0_sel:DWORD src1_sel:BYTE_1
	v_and_b32_e32 v4, 0x7f, v0
	s_waitcnt vmcnt(0)
	v_mov_b32_e32 v1, v6
	buffer_store_dword v0, off, s[0:3], s32 offset:192 ; 4-byte Folded Spill
	buffer_store_dword v1, off, s[0:3], s32 offset:196 ; 4-byte Folded Spill
	buffer_store_dword v5, off, s[0:3], s32 offset:328 ; 4-byte Folded Spill
	buffer_store_dword v6, off, s[0:3], s32 offset:332 ; 4-byte Folded Spill
	v_cmpx_ne_u32_e32 0x7f, v4
	s_cbranch_execz .LBB200_135
; %bb.132:                              ;   in Loop: Header=BB200_9 Depth=1
	v_and_b32_e32 v82, 7, v0
	v_lshrrev_b32_e32 v3, 3, v4
	s_mov_b32 s21, exec_lo
	v_cmpx_gt_u32_e32 8, v4
; %bb.133:                              ;   in Loop: Header=BB200_9 Depth=1
	v_ffbh_u32_e32 v3, v82
	v_min_u32_e32 v3, 32, v3
	v_subrev_nc_u32_e32 v4, 28, v3
	v_sub_nc_u32_e32 v3, 29, v3
	v_lshlrev_b64 v[4:5], v4, v[82:83]
	v_and_b32_e32 v82, 7, v4
; %bb.134:                              ;   in Loop: Header=BB200_9 Depth=1
	s_or_b32 exec_lo, exec_lo, s21
	v_lshlrev_b32_e32 v2, 16, v2
	v_lshlrev_b32_e32 v0, 20, v82
	v_lshl_add_u32 v3, v3, 23, 0x3c000000
	v_and_b32_e32 v2, 0x80000000, v2
	v_or3_b32 v1, v0, v2, v3
	v_mov_b32_e32 v0, v83
	buffer_store_dword v0, off, s[0:3], s32 offset:328 ; 4-byte Folded Spill
	buffer_store_dword v1, off, s[0:3], s32 offset:332 ; 4-byte Folded Spill
.LBB200_135:                            ;   in Loop: Header=BB200_9 Depth=1
	s_or_b32 exec_lo, exec_lo, s20
.LBB200_136:                            ;   in Loop: Header=BB200_9 Depth=1
	s_or_b32 exec_lo, exec_lo, s19
.LBB200_137:                            ;   in Loop: Header=BB200_9 Depth=1
	s_or_b32 exec_lo, exec_lo, s17
	flat_load_ushort v0, v[26:27] offset:512
	s_waitcnt vmcnt(0) lgkmcnt(0)
	v_and_b32_e32 v2, 0xffff, v0
	v_cmp_ne_u16_sdwa s6, v0, v83 src0_sel:BYTE_0 src1_sel:DWORD
	v_mov_b32_e32 v0, 0
	v_mov_b32_e32 v1, 0
	buffer_store_dword v0, off, s[0:3], s32 offset:344 ; 4-byte Folded Spill
	buffer_store_dword v1, off, s[0:3], s32 offset:348 ; 4-byte Folded Spill
	v_mov_b32_e32 v0, 0
	v_mov_b32_e32 v1, 0
	buffer_store_dword v0, off, s[0:3], s32 offset:336 ; 4-byte Folded Spill
	buffer_store_dword v1, off, s[0:3], s32 offset:340 ; 4-byte Folded Spill
	s_and_saveexec_b32 s17, s6
	s_cbranch_execz .LBB200_145
; %bb.138:                              ;   in Loop: Header=BB200_9 Depth=1
	v_bfrev_b32_e32 v0, 1
	v_mov_b32_e32 v1, 0
	buffer_store_dword v0, off, s[0:3], s32 offset:336 ; 4-byte Folded Spill
	buffer_store_dword v1, off, s[0:3], s32 offset:340 ; 4-byte Folded Spill
	v_mov_b32_e32 v0, 0x80
	v_cmp_ne_u16_sdwa s6, v2, v0 src0_sel:BYTE_0 src1_sel:DWORD
	s_and_saveexec_b32 s19, s6
	s_cbranch_execz .LBB200_144
; %bb.139:                              ;   in Loop: Header=BB200_9 Depth=1
	v_mov_b32_e32 v0, 0x7f800001
	v_and_b32_e32 v4, 0x7f, v2
	v_mov_b32_e32 v1, 0
	s_mov_b32 s20, exec_lo
	buffer_store_dword v0, off, s[0:3], s32 offset:336 ; 4-byte Folded Spill
	buffer_store_dword v1, off, s[0:3], s32 offset:340 ; 4-byte Folded Spill
	v_cmpx_ne_u32_e32 0x7f, v4
	s_cbranch_execz .LBB200_143
; %bb.140:                              ;   in Loop: Header=BB200_9 Depth=1
	v_and_b32_e32 v82, 7, v2
	v_lshrrev_b32_e32 v3, 3, v4
	s_mov_b32 s21, exec_lo
	v_cmpx_gt_u32_e32 8, v4
; %bb.141:                              ;   in Loop: Header=BB200_9 Depth=1
	v_ffbh_u32_e32 v3, v82
	v_min_u32_e32 v3, 32, v3
	v_subrev_nc_u32_e32 v4, 28, v3
	v_sub_nc_u32_e32 v3, 29, v3
	v_lshlrev_b64 v[4:5], v4, v[82:83]
	v_and_b32_e32 v82, 7, v4
; %bb.142:                              ;   in Loop: Header=BB200_9 Depth=1
	s_or_b32 exec_lo, exec_lo, s21
	v_lshlrev_b32_e32 v4, 24, v2
	v_lshlrev_b32_e32 v0, 20, v82
	v_lshl_add_u32 v3, v3, 23, 0x3c000000
	v_and_b32_e32 v4, 0x80000000, v4
	v_or3_b32 v82, v0, v4, v3
	buffer_store_dword v82, off, s[0:3], s32 offset:336 ; 4-byte Folded Spill
	buffer_store_dword v83, off, s[0:3], s32 offset:340 ; 4-byte Folded Spill
.LBB200_143:                            ;   in Loop: Header=BB200_9 Depth=1
	s_or_b32 exec_lo, exec_lo, s20
.LBB200_144:                            ;   in Loop: Header=BB200_9 Depth=1
	s_or_b32 exec_lo, exec_lo, s19
.LBB200_145:                            ;   in Loop: Header=BB200_9 Depth=1
	s_or_b32 exec_lo, exec_lo, s17
	v_cmp_ne_u16_sdwa s6, v2, v83 src0_sel:BYTE_1 src1_sel:DWORD
	s_and_saveexec_b32 s17, s6
	s_cbranch_execz .LBB200_153
; %bb.146:                              ;   in Loop: Header=BB200_9 Depth=1
	v_mov_b32_e32 v0, 0x80
	v_mov_b32_e32 v50, v83
	buffer_store_dword v50, off, s[0:3], s32 offset:344 ; 4-byte Folded Spill
	buffer_store_dword v51, off, s[0:3], s32 offset:348 ; 4-byte Folded Spill
	v_cmp_ne_u16_sdwa s6, v2, v0 src0_sel:BYTE_1 src1_sel:DWORD
	s_and_saveexec_b32 s19, s6
	s_cbranch_execz .LBB200_152
; %bb.147:                              ;   in Loop: Header=BB200_9 Depth=1
	s_clause 0x1
	buffer_load_dword v5, off, s[0:3], s32 offset:192
	buffer_load_dword v6, off, s[0:3], s32 offset:196
	v_mov_b32_e32 v0, 0xffff
	s_waitcnt vmcnt(1)
	v_mov_b32_e32 v5, v83
	s_mov_b32 s20, exec_lo
	v_and_b32_sdwa v0, v0, v2 dst_sel:DWORD dst_unused:UNUSED_PAD src0_sel:DWORD src1_sel:BYTE_1
	v_and_b32_e32 v4, 0x7f, v0
	s_waitcnt vmcnt(0)
	v_mov_b32_e32 v1, v6
	buffer_store_dword v0, off, s[0:3], s32 offset:192 ; 4-byte Folded Spill
	buffer_store_dword v1, off, s[0:3], s32 offset:196 ; 4-byte Folded Spill
	;; [unrolled: 1-line block ×4, first 2 shown]
	v_cmpx_ne_u32_e32 0x7f, v4
	s_cbranch_execz .LBB200_151
; %bb.148:                              ;   in Loop: Header=BB200_9 Depth=1
	v_and_b32_e32 v82, 7, v0
	v_lshrrev_b32_e32 v3, 3, v4
	s_mov_b32 s21, exec_lo
	v_cmpx_gt_u32_e32 8, v4
; %bb.149:                              ;   in Loop: Header=BB200_9 Depth=1
	v_ffbh_u32_e32 v3, v82
	v_min_u32_e32 v3, 32, v3
	v_subrev_nc_u32_e32 v4, 28, v3
	v_sub_nc_u32_e32 v3, 29, v3
	v_lshlrev_b64 v[4:5], v4, v[82:83]
	v_and_b32_e32 v82, 7, v4
; %bb.150:                              ;   in Loop: Header=BB200_9 Depth=1
	s_or_b32 exec_lo, exec_lo, s21
	v_lshlrev_b32_e32 v2, 16, v2
	v_lshlrev_b32_e32 v0, 20, v82
	v_lshl_add_u32 v3, v3, 23, 0x3c000000
	v_and_b32_e32 v2, 0x80000000, v2
	v_or3_b32 v1, v0, v2, v3
	v_mov_b32_e32 v0, v83
	buffer_store_dword v0, off, s[0:3], s32 offset:344 ; 4-byte Folded Spill
	buffer_store_dword v1, off, s[0:3], s32 offset:348 ; 4-byte Folded Spill
.LBB200_151:                            ;   in Loop: Header=BB200_9 Depth=1
	s_or_b32 exec_lo, exec_lo, s20
.LBB200_152:                            ;   in Loop: Header=BB200_9 Depth=1
	s_or_b32 exec_lo, exec_lo, s19
.LBB200_153:                            ;   in Loop: Header=BB200_9 Depth=1
	s_or_b32 exec_lo, exec_lo, s17
	flat_load_ushort v0, v[26:27] offset:516
	s_waitcnt vmcnt(0) lgkmcnt(0)
	v_and_b32_e32 v2, 0xffff, v0
	v_cmp_ne_u16_sdwa s6, v0, v83 src0_sel:BYTE_0 src1_sel:DWORD
	v_mov_b32_e32 v0, 0
	v_mov_b32_e32 v1, 0
	buffer_store_dword v0, off, s[0:3], s32 offset:360 ; 4-byte Folded Spill
	buffer_store_dword v1, off, s[0:3], s32 offset:364 ; 4-byte Folded Spill
	v_mov_b32_e32 v0, 0
	v_mov_b32_e32 v1, 0
	buffer_store_dword v0, off, s[0:3], s32 offset:352 ; 4-byte Folded Spill
	buffer_store_dword v1, off, s[0:3], s32 offset:356 ; 4-byte Folded Spill
	s_and_saveexec_b32 s17, s6
	s_cbranch_execz .LBB200_161
; %bb.154:                              ;   in Loop: Header=BB200_9 Depth=1
	v_bfrev_b32_e32 v0, 1
	v_mov_b32_e32 v1, 0
	buffer_store_dword v0, off, s[0:3], s32 offset:352 ; 4-byte Folded Spill
	buffer_store_dword v1, off, s[0:3], s32 offset:356 ; 4-byte Folded Spill
	v_mov_b32_e32 v0, 0x80
	v_cmp_ne_u16_sdwa s6, v2, v0 src0_sel:BYTE_0 src1_sel:DWORD
	s_and_saveexec_b32 s19, s6
	s_cbranch_execz .LBB200_160
; %bb.155:                              ;   in Loop: Header=BB200_9 Depth=1
	v_mov_b32_e32 v0, 0x7f800001
	v_and_b32_e32 v4, 0x7f, v2
	v_mov_b32_e32 v1, 0
	s_mov_b32 s20, exec_lo
	buffer_store_dword v0, off, s[0:3], s32 offset:352 ; 4-byte Folded Spill
	buffer_store_dword v1, off, s[0:3], s32 offset:356 ; 4-byte Folded Spill
	v_cmpx_ne_u32_e32 0x7f, v4
	s_cbranch_execz .LBB200_159
; %bb.156:                              ;   in Loop: Header=BB200_9 Depth=1
	v_and_b32_e32 v82, 7, v2
	v_lshrrev_b32_e32 v3, 3, v4
	s_mov_b32 s21, exec_lo
	v_cmpx_gt_u32_e32 8, v4
; %bb.157:                              ;   in Loop: Header=BB200_9 Depth=1
	v_ffbh_u32_e32 v3, v82
	v_min_u32_e32 v3, 32, v3
	v_subrev_nc_u32_e32 v4, 28, v3
	v_sub_nc_u32_e32 v3, 29, v3
	v_lshlrev_b64 v[4:5], v4, v[82:83]
	v_and_b32_e32 v82, 7, v4
; %bb.158:                              ;   in Loop: Header=BB200_9 Depth=1
	s_or_b32 exec_lo, exec_lo, s21
	v_lshlrev_b32_e32 v4, 24, v2
	v_lshlrev_b32_e32 v0, 20, v82
	v_lshl_add_u32 v3, v3, 23, 0x3c000000
	v_and_b32_e32 v4, 0x80000000, v4
	v_or3_b32 v82, v0, v4, v3
	buffer_store_dword v82, off, s[0:3], s32 offset:352 ; 4-byte Folded Spill
	buffer_store_dword v83, off, s[0:3], s32 offset:356 ; 4-byte Folded Spill
.LBB200_159:                            ;   in Loop: Header=BB200_9 Depth=1
	s_or_b32 exec_lo, exec_lo, s20
.LBB200_160:                            ;   in Loop: Header=BB200_9 Depth=1
	s_or_b32 exec_lo, exec_lo, s19
.LBB200_161:                            ;   in Loop: Header=BB200_9 Depth=1
	s_or_b32 exec_lo, exec_lo, s17
	v_cmp_ne_u16_sdwa s6, v2, v83 src0_sel:BYTE_1 src1_sel:DWORD
	s_and_saveexec_b32 s17, s6
	s_cbranch_execz .LBB200_169
; %bb.162:                              ;   in Loop: Header=BB200_9 Depth=1
	v_mov_b32_e32 v0, 0x80
	v_mov_b32_e32 v50, v83
	buffer_store_dword v50, off, s[0:3], s32 offset:360 ; 4-byte Folded Spill
	buffer_store_dword v51, off, s[0:3], s32 offset:364 ; 4-byte Folded Spill
	v_cmp_ne_u16_sdwa s6, v2, v0 src0_sel:BYTE_1 src1_sel:DWORD
	s_and_saveexec_b32 s19, s6
	s_cbranch_execz .LBB200_168
; %bb.163:                              ;   in Loop: Header=BB200_9 Depth=1
	s_clause 0x1
	buffer_load_dword v5, off, s[0:3], s32 offset:192
	buffer_load_dword v6, off, s[0:3], s32 offset:196
	v_mov_b32_e32 v0, 0xffff
	s_waitcnt vmcnt(1)
	v_mov_b32_e32 v5, v83
	s_mov_b32 s20, exec_lo
	v_and_b32_sdwa v0, v0, v2 dst_sel:DWORD dst_unused:UNUSED_PAD src0_sel:DWORD src1_sel:BYTE_1
	v_and_b32_e32 v4, 0x7f, v0
	s_waitcnt vmcnt(0)
	v_mov_b32_e32 v1, v6
	buffer_store_dword v0, off, s[0:3], s32 offset:192 ; 4-byte Folded Spill
	buffer_store_dword v1, off, s[0:3], s32 offset:196 ; 4-byte Folded Spill
	;; [unrolled: 1-line block ×4, first 2 shown]
	v_cmpx_ne_u32_e32 0x7f, v4
	s_cbranch_execz .LBB200_167
; %bb.164:                              ;   in Loop: Header=BB200_9 Depth=1
	v_and_b32_e32 v82, 7, v0
	v_lshrrev_b32_e32 v3, 3, v4
	s_mov_b32 s21, exec_lo
	v_cmpx_gt_u32_e32 8, v4
; %bb.165:                              ;   in Loop: Header=BB200_9 Depth=1
	v_ffbh_u32_e32 v3, v82
	v_min_u32_e32 v3, 32, v3
	v_subrev_nc_u32_e32 v4, 28, v3
	v_sub_nc_u32_e32 v3, 29, v3
	v_lshlrev_b64 v[4:5], v4, v[82:83]
	v_and_b32_e32 v82, 7, v4
; %bb.166:                              ;   in Loop: Header=BB200_9 Depth=1
	s_or_b32 exec_lo, exec_lo, s21
	v_lshlrev_b32_e32 v2, 16, v2
	v_lshlrev_b32_e32 v0, 20, v82
	v_lshl_add_u32 v3, v3, 23, 0x3c000000
	v_and_b32_e32 v2, 0x80000000, v2
	v_or3_b32 v1, v0, v2, v3
	v_mov_b32_e32 v0, v83
	buffer_store_dword v0, off, s[0:3], s32 offset:360 ; 4-byte Folded Spill
	buffer_store_dword v1, off, s[0:3], s32 offset:364 ; 4-byte Folded Spill
.LBB200_167:                            ;   in Loop: Header=BB200_9 Depth=1
	s_or_b32 exec_lo, exec_lo, s20
.LBB200_168:                            ;   in Loop: Header=BB200_9 Depth=1
	s_or_b32 exec_lo, exec_lo, s19
.LBB200_169:                            ;   in Loop: Header=BB200_9 Depth=1
	s_or_b32 exec_lo, exec_lo, s17
	flat_load_ushort v0, v[26:27] offset:520
	s_waitcnt vmcnt(0) lgkmcnt(0)
	v_and_b32_e32 v2, 0xffff, v0
	v_cmp_ne_u16_sdwa s6, v0, v83 src0_sel:BYTE_0 src1_sel:DWORD
	v_mov_b32_e32 v0, 0
	v_mov_b32_e32 v1, 0
	buffer_store_dword v0, off, s[0:3], s32 offset:376 ; 4-byte Folded Spill
	buffer_store_dword v1, off, s[0:3], s32 offset:380 ; 4-byte Folded Spill
	v_mov_b32_e32 v0, 0
	v_mov_b32_e32 v1, 0
	buffer_store_dword v0, off, s[0:3], s32 offset:368 ; 4-byte Folded Spill
	buffer_store_dword v1, off, s[0:3], s32 offset:372 ; 4-byte Folded Spill
	s_and_saveexec_b32 s17, s6
	s_cbranch_execz .LBB200_177
; %bb.170:                              ;   in Loop: Header=BB200_9 Depth=1
	v_bfrev_b32_e32 v0, 1
	v_mov_b32_e32 v1, 0
	buffer_store_dword v0, off, s[0:3], s32 offset:368 ; 4-byte Folded Spill
	buffer_store_dword v1, off, s[0:3], s32 offset:372 ; 4-byte Folded Spill
	v_mov_b32_e32 v0, 0x80
	v_cmp_ne_u16_sdwa s6, v2, v0 src0_sel:BYTE_0 src1_sel:DWORD
	s_and_saveexec_b32 s19, s6
	s_cbranch_execz .LBB200_176
; %bb.171:                              ;   in Loop: Header=BB200_9 Depth=1
	v_mov_b32_e32 v0, 0x7f800001
	v_and_b32_e32 v4, 0x7f, v2
	v_mov_b32_e32 v1, 0
	s_mov_b32 s20, exec_lo
	buffer_store_dword v0, off, s[0:3], s32 offset:368 ; 4-byte Folded Spill
	buffer_store_dword v1, off, s[0:3], s32 offset:372 ; 4-byte Folded Spill
	v_cmpx_ne_u32_e32 0x7f, v4
	s_cbranch_execz .LBB200_175
; %bb.172:                              ;   in Loop: Header=BB200_9 Depth=1
	v_and_b32_e32 v82, 7, v2
	v_lshrrev_b32_e32 v3, 3, v4
	s_mov_b32 s21, exec_lo
	v_cmpx_gt_u32_e32 8, v4
; %bb.173:                              ;   in Loop: Header=BB200_9 Depth=1
	v_ffbh_u32_e32 v3, v82
	v_min_u32_e32 v3, 32, v3
	v_subrev_nc_u32_e32 v4, 28, v3
	v_sub_nc_u32_e32 v3, 29, v3
	v_lshlrev_b64 v[4:5], v4, v[82:83]
	v_and_b32_e32 v82, 7, v4
; %bb.174:                              ;   in Loop: Header=BB200_9 Depth=1
	s_or_b32 exec_lo, exec_lo, s21
	v_lshlrev_b32_e32 v4, 24, v2
	v_lshlrev_b32_e32 v0, 20, v82
	v_lshl_add_u32 v3, v3, 23, 0x3c000000
	v_and_b32_e32 v4, 0x80000000, v4
	v_or3_b32 v82, v0, v4, v3
	buffer_store_dword v82, off, s[0:3], s32 offset:368 ; 4-byte Folded Spill
	buffer_store_dword v83, off, s[0:3], s32 offset:372 ; 4-byte Folded Spill
.LBB200_175:                            ;   in Loop: Header=BB200_9 Depth=1
	s_or_b32 exec_lo, exec_lo, s20
.LBB200_176:                            ;   in Loop: Header=BB200_9 Depth=1
	s_or_b32 exec_lo, exec_lo, s19
.LBB200_177:                            ;   in Loop: Header=BB200_9 Depth=1
	s_or_b32 exec_lo, exec_lo, s17
	v_cmp_ne_u16_sdwa s6, v2, v83 src0_sel:BYTE_1 src1_sel:DWORD
	s_and_saveexec_b32 s17, s6
	s_cbranch_execz .LBB200_185
; %bb.178:                              ;   in Loop: Header=BB200_9 Depth=1
	v_mov_b32_e32 v0, 0x80
	v_mov_b32_e32 v50, v83
	buffer_store_dword v50, off, s[0:3], s32 offset:376 ; 4-byte Folded Spill
	buffer_store_dword v51, off, s[0:3], s32 offset:380 ; 4-byte Folded Spill
	v_cmp_ne_u16_sdwa s6, v2, v0 src0_sel:BYTE_1 src1_sel:DWORD
	s_and_saveexec_b32 s19, s6
	s_cbranch_execz .LBB200_184
; %bb.179:                              ;   in Loop: Header=BB200_9 Depth=1
	s_clause 0x1
	buffer_load_dword v5, off, s[0:3], s32 offset:192
	buffer_load_dword v6, off, s[0:3], s32 offset:196
	v_mov_b32_e32 v0, 0xffff
	s_waitcnt vmcnt(1)
	v_mov_b32_e32 v5, v83
	s_mov_b32 s20, exec_lo
	v_and_b32_sdwa v0, v0, v2 dst_sel:DWORD dst_unused:UNUSED_PAD src0_sel:DWORD src1_sel:BYTE_1
	v_and_b32_e32 v4, 0x7f, v0
	s_waitcnt vmcnt(0)
	v_mov_b32_e32 v1, v6
	buffer_store_dword v0, off, s[0:3], s32 offset:192 ; 4-byte Folded Spill
	buffer_store_dword v1, off, s[0:3], s32 offset:196 ; 4-byte Folded Spill
	;; [unrolled: 1-line block ×4, first 2 shown]
	v_cmpx_ne_u32_e32 0x7f, v4
	s_cbranch_execz .LBB200_183
; %bb.180:                              ;   in Loop: Header=BB200_9 Depth=1
	v_and_b32_e32 v82, 7, v0
	v_lshrrev_b32_e32 v3, 3, v4
	s_mov_b32 s21, exec_lo
	v_cmpx_gt_u32_e32 8, v4
; %bb.181:                              ;   in Loop: Header=BB200_9 Depth=1
	v_ffbh_u32_e32 v3, v82
	v_min_u32_e32 v3, 32, v3
	v_subrev_nc_u32_e32 v4, 28, v3
	v_sub_nc_u32_e32 v3, 29, v3
	v_lshlrev_b64 v[4:5], v4, v[82:83]
	v_and_b32_e32 v82, 7, v4
; %bb.182:                              ;   in Loop: Header=BB200_9 Depth=1
	s_or_b32 exec_lo, exec_lo, s21
	v_lshlrev_b32_e32 v2, 16, v2
	v_lshlrev_b32_e32 v0, 20, v82
	v_lshl_add_u32 v3, v3, 23, 0x3c000000
	v_and_b32_e32 v2, 0x80000000, v2
	v_or3_b32 v1, v0, v2, v3
	v_mov_b32_e32 v0, v83
	buffer_store_dword v0, off, s[0:3], s32 offset:376 ; 4-byte Folded Spill
	buffer_store_dword v1, off, s[0:3], s32 offset:380 ; 4-byte Folded Spill
.LBB200_183:                            ;   in Loop: Header=BB200_9 Depth=1
	s_or_b32 exec_lo, exec_lo, s20
.LBB200_184:                            ;   in Loop: Header=BB200_9 Depth=1
	s_or_b32 exec_lo, exec_lo, s19
.LBB200_185:                            ;   in Loop: Header=BB200_9 Depth=1
	s_or_b32 exec_lo, exec_lo, s17
	flat_load_ushort v0, v[26:27] offset:524
	s_waitcnt vmcnt(0) lgkmcnt(0)
	v_and_b32_e32 v2, 0xffff, v0
	v_cmp_ne_u16_sdwa s6, v0, v83 src0_sel:BYTE_0 src1_sel:DWORD
	v_mov_b32_e32 v0, 0
	v_mov_b32_e32 v1, 0
	buffer_store_dword v0, off, s[0:3], s32 offset:392 ; 4-byte Folded Spill
	buffer_store_dword v1, off, s[0:3], s32 offset:396 ; 4-byte Folded Spill
	v_mov_b32_e32 v0, 0
	v_mov_b32_e32 v1, 0
	buffer_store_dword v0, off, s[0:3], s32 offset:384 ; 4-byte Folded Spill
	buffer_store_dword v1, off, s[0:3], s32 offset:388 ; 4-byte Folded Spill
	s_and_saveexec_b32 s17, s6
	s_cbranch_execz .LBB200_193
; %bb.186:                              ;   in Loop: Header=BB200_9 Depth=1
	v_bfrev_b32_e32 v0, 1
	v_mov_b32_e32 v1, 0
	buffer_store_dword v0, off, s[0:3], s32 offset:384 ; 4-byte Folded Spill
	buffer_store_dword v1, off, s[0:3], s32 offset:388 ; 4-byte Folded Spill
	v_mov_b32_e32 v0, 0x80
	v_cmp_ne_u16_sdwa s6, v2, v0 src0_sel:BYTE_0 src1_sel:DWORD
	s_and_saveexec_b32 s19, s6
	s_cbranch_execz .LBB200_192
; %bb.187:                              ;   in Loop: Header=BB200_9 Depth=1
	v_mov_b32_e32 v0, 0x7f800001
	v_and_b32_e32 v4, 0x7f, v2
	v_mov_b32_e32 v1, 0
	s_mov_b32 s20, exec_lo
	buffer_store_dword v0, off, s[0:3], s32 offset:384 ; 4-byte Folded Spill
	buffer_store_dword v1, off, s[0:3], s32 offset:388 ; 4-byte Folded Spill
	v_cmpx_ne_u32_e32 0x7f, v4
	s_cbranch_execz .LBB200_191
; %bb.188:                              ;   in Loop: Header=BB200_9 Depth=1
	v_and_b32_e32 v82, 7, v2
	v_lshrrev_b32_e32 v3, 3, v4
	s_mov_b32 s21, exec_lo
	v_cmpx_gt_u32_e32 8, v4
; %bb.189:                              ;   in Loop: Header=BB200_9 Depth=1
	v_ffbh_u32_e32 v3, v82
	v_min_u32_e32 v3, 32, v3
	v_subrev_nc_u32_e32 v4, 28, v3
	v_sub_nc_u32_e32 v3, 29, v3
	v_lshlrev_b64 v[4:5], v4, v[82:83]
	v_and_b32_e32 v82, 7, v4
; %bb.190:                              ;   in Loop: Header=BB200_9 Depth=1
	s_or_b32 exec_lo, exec_lo, s21
	v_lshlrev_b32_e32 v4, 24, v2
	v_lshlrev_b32_e32 v0, 20, v82
	v_lshl_add_u32 v3, v3, 23, 0x3c000000
	v_and_b32_e32 v4, 0x80000000, v4
	v_or3_b32 v82, v0, v4, v3
	buffer_store_dword v82, off, s[0:3], s32 offset:384 ; 4-byte Folded Spill
	buffer_store_dword v83, off, s[0:3], s32 offset:388 ; 4-byte Folded Spill
.LBB200_191:                            ;   in Loop: Header=BB200_9 Depth=1
	s_or_b32 exec_lo, exec_lo, s20
.LBB200_192:                            ;   in Loop: Header=BB200_9 Depth=1
	s_or_b32 exec_lo, exec_lo, s19
.LBB200_193:                            ;   in Loop: Header=BB200_9 Depth=1
	s_or_b32 exec_lo, exec_lo, s17
	v_cmp_ne_u16_sdwa s6, v2, v83 src0_sel:BYTE_1 src1_sel:DWORD
	s_and_saveexec_b32 s17, s6
	s_cbranch_execz .LBB200_201
; %bb.194:                              ;   in Loop: Header=BB200_9 Depth=1
	v_mov_b32_e32 v0, 0x80
	v_mov_b32_e32 v50, v83
	buffer_store_dword v50, off, s[0:3], s32 offset:392 ; 4-byte Folded Spill
	buffer_store_dword v51, off, s[0:3], s32 offset:396 ; 4-byte Folded Spill
	v_cmp_ne_u16_sdwa s6, v2, v0 src0_sel:BYTE_1 src1_sel:DWORD
	s_and_saveexec_b32 s19, s6
	s_cbranch_execz .LBB200_200
; %bb.195:                              ;   in Loop: Header=BB200_9 Depth=1
	s_clause 0x1
	buffer_load_dword v5, off, s[0:3], s32 offset:192
	buffer_load_dword v6, off, s[0:3], s32 offset:196
	v_mov_b32_e32 v0, 0xffff
	s_waitcnt vmcnt(1)
	v_mov_b32_e32 v5, v83
	s_mov_b32 s20, exec_lo
	v_and_b32_sdwa v0, v0, v2 dst_sel:DWORD dst_unused:UNUSED_PAD src0_sel:DWORD src1_sel:BYTE_1
	v_and_b32_e32 v4, 0x7f, v0
	s_waitcnt vmcnt(0)
	v_mov_b32_e32 v1, v6
	buffer_store_dword v0, off, s[0:3], s32 offset:192 ; 4-byte Folded Spill
	buffer_store_dword v1, off, s[0:3], s32 offset:196 ; 4-byte Folded Spill
	;; [unrolled: 1-line block ×4, first 2 shown]
	v_cmpx_ne_u32_e32 0x7f, v4
	s_cbranch_execz .LBB200_199
; %bb.196:                              ;   in Loop: Header=BB200_9 Depth=1
	v_and_b32_e32 v82, 7, v0
	v_lshrrev_b32_e32 v3, 3, v4
	s_mov_b32 s21, exec_lo
	v_cmpx_gt_u32_e32 8, v4
; %bb.197:                              ;   in Loop: Header=BB200_9 Depth=1
	v_ffbh_u32_e32 v3, v82
	v_min_u32_e32 v3, 32, v3
	v_subrev_nc_u32_e32 v4, 28, v3
	v_sub_nc_u32_e32 v3, 29, v3
	v_lshlrev_b64 v[4:5], v4, v[82:83]
	v_and_b32_e32 v82, 7, v4
; %bb.198:                              ;   in Loop: Header=BB200_9 Depth=1
	s_or_b32 exec_lo, exec_lo, s21
	v_lshlrev_b32_e32 v2, 16, v2
	v_lshlrev_b32_e32 v0, 20, v82
	v_lshl_add_u32 v3, v3, 23, 0x3c000000
	v_and_b32_e32 v2, 0x80000000, v2
	v_or3_b32 v1, v0, v2, v3
	v_mov_b32_e32 v0, v83
	buffer_store_dword v0, off, s[0:3], s32 offset:392 ; 4-byte Folded Spill
	buffer_store_dword v1, off, s[0:3], s32 offset:396 ; 4-byte Folded Spill
.LBB200_199:                            ;   in Loop: Header=BB200_9 Depth=1
	s_or_b32 exec_lo, exec_lo, s20
.LBB200_200:                            ;   in Loop: Header=BB200_9 Depth=1
	s_or_b32 exec_lo, exec_lo, s19
.LBB200_201:                            ;   in Loop: Header=BB200_9 Depth=1
	s_or_b32 exec_lo, exec_lo, s17
	flat_load_ushort v0, v[26:27] offset:768
	s_waitcnt vmcnt(0) lgkmcnt(0)
	v_and_b32_e32 v2, 0xffff, v0
	v_cmp_ne_u16_sdwa s6, v0, v83 src0_sel:BYTE_0 src1_sel:DWORD
	v_mov_b32_e32 v0, 0
	v_mov_b32_e32 v1, 0
	buffer_store_dword v0, off, s[0:3], s32 offset:408 ; 4-byte Folded Spill
	buffer_store_dword v1, off, s[0:3], s32 offset:412 ; 4-byte Folded Spill
	v_mov_b32_e32 v0, 0
	v_mov_b32_e32 v1, 0
	buffer_store_dword v0, off, s[0:3], s32 offset:400 ; 4-byte Folded Spill
	buffer_store_dword v1, off, s[0:3], s32 offset:404 ; 4-byte Folded Spill
	s_and_saveexec_b32 s17, s6
	s_cbranch_execz .LBB200_209
; %bb.202:                              ;   in Loop: Header=BB200_9 Depth=1
	v_bfrev_b32_e32 v0, 1
	v_mov_b32_e32 v1, 0
	buffer_store_dword v0, off, s[0:3], s32 offset:400 ; 4-byte Folded Spill
	buffer_store_dword v1, off, s[0:3], s32 offset:404 ; 4-byte Folded Spill
	v_mov_b32_e32 v0, 0x80
	v_cmp_ne_u16_sdwa s6, v2, v0 src0_sel:BYTE_0 src1_sel:DWORD
	s_and_saveexec_b32 s19, s6
	s_cbranch_execz .LBB200_208
; %bb.203:                              ;   in Loop: Header=BB200_9 Depth=1
	v_mov_b32_e32 v0, 0x7f800001
	v_and_b32_e32 v4, 0x7f, v2
	v_mov_b32_e32 v1, 0
	s_mov_b32 s20, exec_lo
	buffer_store_dword v0, off, s[0:3], s32 offset:400 ; 4-byte Folded Spill
	buffer_store_dword v1, off, s[0:3], s32 offset:404 ; 4-byte Folded Spill
	v_cmpx_ne_u32_e32 0x7f, v4
	s_cbranch_execz .LBB200_207
; %bb.204:                              ;   in Loop: Header=BB200_9 Depth=1
	v_and_b32_e32 v82, 7, v2
	v_lshrrev_b32_e32 v3, 3, v4
	s_mov_b32 s21, exec_lo
	v_cmpx_gt_u32_e32 8, v4
; %bb.205:                              ;   in Loop: Header=BB200_9 Depth=1
	v_ffbh_u32_e32 v3, v82
	v_min_u32_e32 v3, 32, v3
	v_subrev_nc_u32_e32 v4, 28, v3
	v_sub_nc_u32_e32 v3, 29, v3
	v_lshlrev_b64 v[4:5], v4, v[82:83]
	v_and_b32_e32 v82, 7, v4
; %bb.206:                              ;   in Loop: Header=BB200_9 Depth=1
	s_or_b32 exec_lo, exec_lo, s21
	v_lshlrev_b32_e32 v4, 24, v2
	v_lshlrev_b32_e32 v0, 20, v82
	v_lshl_add_u32 v3, v3, 23, 0x3c000000
	v_and_b32_e32 v4, 0x80000000, v4
	v_or3_b32 v82, v0, v4, v3
	buffer_store_dword v82, off, s[0:3], s32 offset:400 ; 4-byte Folded Spill
	buffer_store_dword v83, off, s[0:3], s32 offset:404 ; 4-byte Folded Spill
.LBB200_207:                            ;   in Loop: Header=BB200_9 Depth=1
	s_or_b32 exec_lo, exec_lo, s20
.LBB200_208:                            ;   in Loop: Header=BB200_9 Depth=1
	s_or_b32 exec_lo, exec_lo, s19
.LBB200_209:                            ;   in Loop: Header=BB200_9 Depth=1
	s_or_b32 exec_lo, exec_lo, s17
	v_cmp_ne_u16_sdwa s6, v2, v83 src0_sel:BYTE_1 src1_sel:DWORD
	s_and_saveexec_b32 s17, s6
	s_cbranch_execz .LBB200_217
; %bb.210:                              ;   in Loop: Header=BB200_9 Depth=1
	v_mov_b32_e32 v0, 0x80
	v_mov_b32_e32 v50, v83
	buffer_store_dword v50, off, s[0:3], s32 offset:408 ; 4-byte Folded Spill
	buffer_store_dword v51, off, s[0:3], s32 offset:412 ; 4-byte Folded Spill
	v_cmp_ne_u16_sdwa s6, v2, v0 src0_sel:BYTE_1 src1_sel:DWORD
	s_and_saveexec_b32 s19, s6
	s_cbranch_execz .LBB200_216
; %bb.211:                              ;   in Loop: Header=BB200_9 Depth=1
	s_clause 0x1
	buffer_load_dword v5, off, s[0:3], s32 offset:192
	buffer_load_dword v6, off, s[0:3], s32 offset:196
	v_mov_b32_e32 v0, 0xffff
	s_waitcnt vmcnt(1)
	v_mov_b32_e32 v5, v83
	s_mov_b32 s20, exec_lo
	v_and_b32_sdwa v0, v0, v2 dst_sel:DWORD dst_unused:UNUSED_PAD src0_sel:DWORD src1_sel:BYTE_1
	v_and_b32_e32 v4, 0x7f, v0
	s_waitcnt vmcnt(0)
	v_mov_b32_e32 v1, v6
	buffer_store_dword v0, off, s[0:3], s32 offset:192 ; 4-byte Folded Spill
	buffer_store_dword v1, off, s[0:3], s32 offset:196 ; 4-byte Folded Spill
	;; [unrolled: 1-line block ×4, first 2 shown]
	v_cmpx_ne_u32_e32 0x7f, v4
	s_cbranch_execz .LBB200_215
; %bb.212:                              ;   in Loop: Header=BB200_9 Depth=1
	v_and_b32_e32 v82, 7, v0
	v_lshrrev_b32_e32 v3, 3, v4
	s_mov_b32 s21, exec_lo
	v_cmpx_gt_u32_e32 8, v4
; %bb.213:                              ;   in Loop: Header=BB200_9 Depth=1
	v_ffbh_u32_e32 v3, v82
	v_min_u32_e32 v3, 32, v3
	v_subrev_nc_u32_e32 v4, 28, v3
	v_sub_nc_u32_e32 v3, 29, v3
	v_lshlrev_b64 v[4:5], v4, v[82:83]
	v_and_b32_e32 v82, 7, v4
; %bb.214:                              ;   in Loop: Header=BB200_9 Depth=1
	s_or_b32 exec_lo, exec_lo, s21
	v_lshlrev_b32_e32 v2, 16, v2
	v_lshlrev_b32_e32 v0, 20, v82
	v_lshl_add_u32 v3, v3, 23, 0x3c000000
	v_and_b32_e32 v2, 0x80000000, v2
	v_or3_b32 v1, v0, v2, v3
	v_mov_b32_e32 v0, v83
	buffer_store_dword v0, off, s[0:3], s32 offset:408 ; 4-byte Folded Spill
	buffer_store_dword v1, off, s[0:3], s32 offset:412 ; 4-byte Folded Spill
.LBB200_215:                            ;   in Loop: Header=BB200_9 Depth=1
	s_or_b32 exec_lo, exec_lo, s20
.LBB200_216:                            ;   in Loop: Header=BB200_9 Depth=1
	s_or_b32 exec_lo, exec_lo, s19
.LBB200_217:                            ;   in Loop: Header=BB200_9 Depth=1
	s_or_b32 exec_lo, exec_lo, s17
	flat_load_ushort v0, v[26:27] offset:772
	s_waitcnt vmcnt(0) lgkmcnt(0)
	v_and_b32_e32 v2, 0xffff, v0
	v_cmp_ne_u16_sdwa s6, v0, v83 src0_sel:BYTE_0 src1_sel:DWORD
	v_mov_b32_e32 v0, 0
	v_mov_b32_e32 v1, 0
	buffer_store_dword v0, off, s[0:3], s32 offset:424 ; 4-byte Folded Spill
	buffer_store_dword v1, off, s[0:3], s32 offset:428 ; 4-byte Folded Spill
	v_mov_b32_e32 v0, 0
	v_mov_b32_e32 v1, 0
	buffer_store_dword v0, off, s[0:3], s32 offset:416 ; 4-byte Folded Spill
	buffer_store_dword v1, off, s[0:3], s32 offset:420 ; 4-byte Folded Spill
	s_and_saveexec_b32 s17, s6
	s_cbranch_execz .LBB200_225
; %bb.218:                              ;   in Loop: Header=BB200_9 Depth=1
	v_bfrev_b32_e32 v0, 1
	v_mov_b32_e32 v1, 0
	buffer_store_dword v0, off, s[0:3], s32 offset:416 ; 4-byte Folded Spill
	buffer_store_dword v1, off, s[0:3], s32 offset:420 ; 4-byte Folded Spill
	v_mov_b32_e32 v0, 0x80
	v_cmp_ne_u16_sdwa s6, v2, v0 src0_sel:BYTE_0 src1_sel:DWORD
	s_and_saveexec_b32 s19, s6
	s_cbranch_execz .LBB200_224
; %bb.219:                              ;   in Loop: Header=BB200_9 Depth=1
	v_mov_b32_e32 v0, 0x7f800001
	v_and_b32_e32 v4, 0x7f, v2
	v_mov_b32_e32 v1, 0
	s_mov_b32 s20, exec_lo
	buffer_store_dword v0, off, s[0:3], s32 offset:416 ; 4-byte Folded Spill
	buffer_store_dword v1, off, s[0:3], s32 offset:420 ; 4-byte Folded Spill
	v_cmpx_ne_u32_e32 0x7f, v4
	s_cbranch_execz .LBB200_223
; %bb.220:                              ;   in Loop: Header=BB200_9 Depth=1
	v_and_b32_e32 v82, 7, v2
	v_lshrrev_b32_e32 v3, 3, v4
	s_mov_b32 s21, exec_lo
	v_cmpx_gt_u32_e32 8, v4
; %bb.221:                              ;   in Loop: Header=BB200_9 Depth=1
	v_ffbh_u32_e32 v3, v82
	v_min_u32_e32 v3, 32, v3
	v_subrev_nc_u32_e32 v4, 28, v3
	v_sub_nc_u32_e32 v3, 29, v3
	v_lshlrev_b64 v[4:5], v4, v[82:83]
	v_and_b32_e32 v82, 7, v4
; %bb.222:                              ;   in Loop: Header=BB200_9 Depth=1
	s_or_b32 exec_lo, exec_lo, s21
	v_lshlrev_b32_e32 v4, 24, v2
	v_lshlrev_b32_e32 v0, 20, v82
	v_lshl_add_u32 v3, v3, 23, 0x3c000000
	v_and_b32_e32 v4, 0x80000000, v4
	v_or3_b32 v82, v0, v4, v3
	buffer_store_dword v82, off, s[0:3], s32 offset:416 ; 4-byte Folded Spill
	buffer_store_dword v83, off, s[0:3], s32 offset:420 ; 4-byte Folded Spill
.LBB200_223:                            ;   in Loop: Header=BB200_9 Depth=1
	s_or_b32 exec_lo, exec_lo, s20
.LBB200_224:                            ;   in Loop: Header=BB200_9 Depth=1
	s_or_b32 exec_lo, exec_lo, s19
.LBB200_225:                            ;   in Loop: Header=BB200_9 Depth=1
	s_or_b32 exec_lo, exec_lo, s17
	v_cmp_ne_u16_sdwa s6, v2, v83 src0_sel:BYTE_1 src1_sel:DWORD
	s_and_saveexec_b32 s17, s6
	s_cbranch_execz .LBB200_233
; %bb.226:                              ;   in Loop: Header=BB200_9 Depth=1
	v_mov_b32_e32 v0, 0x80
	v_mov_b32_e32 v50, v83
	buffer_store_dword v50, off, s[0:3], s32 offset:424 ; 4-byte Folded Spill
	buffer_store_dword v51, off, s[0:3], s32 offset:428 ; 4-byte Folded Spill
	v_cmp_ne_u16_sdwa s6, v2, v0 src0_sel:BYTE_1 src1_sel:DWORD
	s_and_saveexec_b32 s19, s6
	s_cbranch_execz .LBB200_232
; %bb.227:                              ;   in Loop: Header=BB200_9 Depth=1
	s_clause 0x1
	buffer_load_dword v5, off, s[0:3], s32 offset:192
	buffer_load_dword v6, off, s[0:3], s32 offset:196
	v_mov_b32_e32 v0, 0xffff
	s_waitcnt vmcnt(1)
	v_mov_b32_e32 v5, v83
	s_mov_b32 s20, exec_lo
	v_and_b32_sdwa v0, v0, v2 dst_sel:DWORD dst_unused:UNUSED_PAD src0_sel:DWORD src1_sel:BYTE_1
	v_and_b32_e32 v4, 0x7f, v0
	s_waitcnt vmcnt(0)
	v_mov_b32_e32 v1, v6
	buffer_store_dword v0, off, s[0:3], s32 offset:192 ; 4-byte Folded Spill
	buffer_store_dword v1, off, s[0:3], s32 offset:196 ; 4-byte Folded Spill
	;; [unrolled: 1-line block ×4, first 2 shown]
	v_cmpx_ne_u32_e32 0x7f, v4
	s_cbranch_execz .LBB200_231
; %bb.228:                              ;   in Loop: Header=BB200_9 Depth=1
	v_and_b32_e32 v82, 7, v0
	v_lshrrev_b32_e32 v3, 3, v4
	s_mov_b32 s21, exec_lo
	v_cmpx_gt_u32_e32 8, v4
; %bb.229:                              ;   in Loop: Header=BB200_9 Depth=1
	v_ffbh_u32_e32 v3, v82
	v_min_u32_e32 v3, 32, v3
	v_subrev_nc_u32_e32 v4, 28, v3
	v_sub_nc_u32_e32 v3, 29, v3
	v_lshlrev_b64 v[4:5], v4, v[82:83]
	v_and_b32_e32 v82, 7, v4
; %bb.230:                              ;   in Loop: Header=BB200_9 Depth=1
	s_or_b32 exec_lo, exec_lo, s21
	v_lshlrev_b32_e32 v2, 16, v2
	v_lshlrev_b32_e32 v0, 20, v82
	v_lshl_add_u32 v3, v3, 23, 0x3c000000
	v_and_b32_e32 v2, 0x80000000, v2
	v_or3_b32 v1, v0, v2, v3
	v_mov_b32_e32 v0, v83
	buffer_store_dword v0, off, s[0:3], s32 offset:424 ; 4-byte Folded Spill
	buffer_store_dword v1, off, s[0:3], s32 offset:428 ; 4-byte Folded Spill
.LBB200_231:                            ;   in Loop: Header=BB200_9 Depth=1
	s_or_b32 exec_lo, exec_lo, s20
.LBB200_232:                            ;   in Loop: Header=BB200_9 Depth=1
	s_or_b32 exec_lo, exec_lo, s19
.LBB200_233:                            ;   in Loop: Header=BB200_9 Depth=1
	s_or_b32 exec_lo, exec_lo, s17
	flat_load_ushort v0, v[26:27] offset:776
	s_waitcnt vmcnt(0) lgkmcnt(0)
	v_and_b32_e32 v2, 0xffff, v0
	v_cmp_ne_u16_sdwa s6, v0, v83 src0_sel:BYTE_0 src1_sel:DWORD
	v_mov_b32_e32 v0, 0
	v_mov_b32_e32 v1, 0
	buffer_store_dword v0, off, s[0:3], s32 offset:440 ; 4-byte Folded Spill
	buffer_store_dword v1, off, s[0:3], s32 offset:444 ; 4-byte Folded Spill
	v_mov_b32_e32 v0, 0
	v_mov_b32_e32 v1, 0
	buffer_store_dword v0, off, s[0:3], s32 offset:432 ; 4-byte Folded Spill
	buffer_store_dword v1, off, s[0:3], s32 offset:436 ; 4-byte Folded Spill
	s_and_saveexec_b32 s17, s6
	s_cbranch_execz .LBB200_241
; %bb.234:                              ;   in Loop: Header=BB200_9 Depth=1
	v_bfrev_b32_e32 v0, 1
	v_mov_b32_e32 v1, 0
	buffer_store_dword v0, off, s[0:3], s32 offset:432 ; 4-byte Folded Spill
	buffer_store_dword v1, off, s[0:3], s32 offset:436 ; 4-byte Folded Spill
	v_mov_b32_e32 v0, 0x80
	v_cmp_ne_u16_sdwa s6, v2, v0 src0_sel:BYTE_0 src1_sel:DWORD
	s_and_saveexec_b32 s19, s6
	s_cbranch_execz .LBB200_240
; %bb.235:                              ;   in Loop: Header=BB200_9 Depth=1
	v_mov_b32_e32 v0, 0x7f800001
	v_and_b32_e32 v4, 0x7f, v2
	v_mov_b32_e32 v1, 0
	s_mov_b32 s20, exec_lo
	buffer_store_dword v0, off, s[0:3], s32 offset:432 ; 4-byte Folded Spill
	buffer_store_dword v1, off, s[0:3], s32 offset:436 ; 4-byte Folded Spill
	v_cmpx_ne_u32_e32 0x7f, v4
	s_cbranch_execz .LBB200_239
; %bb.236:                              ;   in Loop: Header=BB200_9 Depth=1
	v_and_b32_e32 v82, 7, v2
	v_lshrrev_b32_e32 v3, 3, v4
	s_mov_b32 s21, exec_lo
	v_cmpx_gt_u32_e32 8, v4
; %bb.237:                              ;   in Loop: Header=BB200_9 Depth=1
	v_ffbh_u32_e32 v3, v82
	v_min_u32_e32 v3, 32, v3
	v_subrev_nc_u32_e32 v4, 28, v3
	v_sub_nc_u32_e32 v3, 29, v3
	v_lshlrev_b64 v[4:5], v4, v[82:83]
	v_and_b32_e32 v82, 7, v4
; %bb.238:                              ;   in Loop: Header=BB200_9 Depth=1
	s_or_b32 exec_lo, exec_lo, s21
	v_lshlrev_b32_e32 v4, 24, v2
	v_lshlrev_b32_e32 v0, 20, v82
	v_lshl_add_u32 v3, v3, 23, 0x3c000000
	v_and_b32_e32 v4, 0x80000000, v4
	v_or3_b32 v82, v0, v4, v3
	buffer_store_dword v82, off, s[0:3], s32 offset:432 ; 4-byte Folded Spill
	buffer_store_dword v83, off, s[0:3], s32 offset:436 ; 4-byte Folded Spill
.LBB200_239:                            ;   in Loop: Header=BB200_9 Depth=1
	s_or_b32 exec_lo, exec_lo, s20
.LBB200_240:                            ;   in Loop: Header=BB200_9 Depth=1
	s_or_b32 exec_lo, exec_lo, s19
.LBB200_241:                            ;   in Loop: Header=BB200_9 Depth=1
	s_or_b32 exec_lo, exec_lo, s17
	v_cmp_ne_u16_sdwa s6, v2, v83 src0_sel:BYTE_1 src1_sel:DWORD
	s_and_saveexec_b32 s17, s6
	s_cbranch_execz .LBB200_249
; %bb.242:                              ;   in Loop: Header=BB200_9 Depth=1
	v_mov_b32_e32 v0, 0x80
	v_mov_b32_e32 v50, v83
	buffer_store_dword v50, off, s[0:3], s32 offset:440 ; 4-byte Folded Spill
	buffer_store_dword v51, off, s[0:3], s32 offset:444 ; 4-byte Folded Spill
	v_cmp_ne_u16_sdwa s6, v2, v0 src0_sel:BYTE_1 src1_sel:DWORD
	s_and_saveexec_b32 s19, s6
	s_cbranch_execz .LBB200_248
; %bb.243:                              ;   in Loop: Header=BB200_9 Depth=1
	s_clause 0x1
	buffer_load_dword v5, off, s[0:3], s32 offset:192
	buffer_load_dword v6, off, s[0:3], s32 offset:196
	v_mov_b32_e32 v0, 0xffff
	s_waitcnt vmcnt(1)
	v_mov_b32_e32 v5, v83
	s_mov_b32 s20, exec_lo
	v_and_b32_sdwa v0, v0, v2 dst_sel:DWORD dst_unused:UNUSED_PAD src0_sel:DWORD src1_sel:BYTE_1
	v_and_b32_e32 v4, 0x7f, v0
	s_waitcnt vmcnt(0)
	v_mov_b32_e32 v1, v6
	buffer_store_dword v0, off, s[0:3], s32 offset:192 ; 4-byte Folded Spill
	buffer_store_dword v1, off, s[0:3], s32 offset:196 ; 4-byte Folded Spill
	;; [unrolled: 1-line block ×4, first 2 shown]
	v_cmpx_ne_u32_e32 0x7f, v4
	s_cbranch_execz .LBB200_247
; %bb.244:                              ;   in Loop: Header=BB200_9 Depth=1
	v_and_b32_e32 v82, 7, v0
	v_lshrrev_b32_e32 v3, 3, v4
	s_mov_b32 s21, exec_lo
	v_cmpx_gt_u32_e32 8, v4
; %bb.245:                              ;   in Loop: Header=BB200_9 Depth=1
	v_ffbh_u32_e32 v3, v82
	v_min_u32_e32 v3, 32, v3
	v_subrev_nc_u32_e32 v4, 28, v3
	v_sub_nc_u32_e32 v3, 29, v3
	v_lshlrev_b64 v[4:5], v4, v[82:83]
	v_and_b32_e32 v82, 7, v4
; %bb.246:                              ;   in Loop: Header=BB200_9 Depth=1
	s_or_b32 exec_lo, exec_lo, s21
	v_lshlrev_b32_e32 v2, 16, v2
	v_lshlrev_b32_e32 v0, 20, v82
	v_lshl_add_u32 v3, v3, 23, 0x3c000000
	v_and_b32_e32 v2, 0x80000000, v2
	v_or3_b32 v1, v0, v2, v3
	v_mov_b32_e32 v0, v83
	buffer_store_dword v0, off, s[0:3], s32 offset:440 ; 4-byte Folded Spill
	buffer_store_dword v1, off, s[0:3], s32 offset:444 ; 4-byte Folded Spill
.LBB200_247:                            ;   in Loop: Header=BB200_9 Depth=1
	s_or_b32 exec_lo, exec_lo, s20
.LBB200_248:                            ;   in Loop: Header=BB200_9 Depth=1
	s_or_b32 exec_lo, exec_lo, s19
.LBB200_249:                            ;   in Loop: Header=BB200_9 Depth=1
	s_or_b32 exec_lo, exec_lo, s17
	flat_load_ushort v0, v[26:27] offset:780
	s_waitcnt vmcnt(0) lgkmcnt(0)
	v_and_b32_e32 v2, 0xffff, v0
	v_cmp_ne_u16_sdwa s6, v0, v83 src0_sel:BYTE_0 src1_sel:DWORD
	v_mov_b32_e32 v0, 0
	v_mov_b32_e32 v1, 0
	buffer_store_dword v0, off, s[0:3], s32 offset:456 ; 4-byte Folded Spill
	buffer_store_dword v1, off, s[0:3], s32 offset:460 ; 4-byte Folded Spill
	v_mov_b32_e32 v0, 0
	v_mov_b32_e32 v1, 0
	buffer_store_dword v0, off, s[0:3], s32 offset:448 ; 4-byte Folded Spill
	buffer_store_dword v1, off, s[0:3], s32 offset:452 ; 4-byte Folded Spill
	s_and_saveexec_b32 s17, s6
	s_cbranch_execz .LBB200_257
; %bb.250:                              ;   in Loop: Header=BB200_9 Depth=1
	v_bfrev_b32_e32 v0, 1
	v_mov_b32_e32 v1, 0
	buffer_store_dword v0, off, s[0:3], s32 offset:448 ; 4-byte Folded Spill
	buffer_store_dword v1, off, s[0:3], s32 offset:452 ; 4-byte Folded Spill
	v_mov_b32_e32 v0, 0x80
	v_cmp_ne_u16_sdwa s6, v2, v0 src0_sel:BYTE_0 src1_sel:DWORD
	s_and_saveexec_b32 s19, s6
	s_cbranch_execz .LBB200_256
; %bb.251:                              ;   in Loop: Header=BB200_9 Depth=1
	v_mov_b32_e32 v0, 0x7f800001
	v_and_b32_e32 v4, 0x7f, v2
	v_mov_b32_e32 v1, 0
	s_mov_b32 s20, exec_lo
	buffer_store_dword v0, off, s[0:3], s32 offset:448 ; 4-byte Folded Spill
	buffer_store_dword v1, off, s[0:3], s32 offset:452 ; 4-byte Folded Spill
	v_cmpx_ne_u32_e32 0x7f, v4
	s_cbranch_execz .LBB200_255
; %bb.252:                              ;   in Loop: Header=BB200_9 Depth=1
	v_and_b32_e32 v82, 7, v2
	v_lshrrev_b32_e32 v3, 3, v4
	s_mov_b32 s21, exec_lo
	v_cmpx_gt_u32_e32 8, v4
; %bb.253:                              ;   in Loop: Header=BB200_9 Depth=1
	v_ffbh_u32_e32 v3, v82
	v_min_u32_e32 v3, 32, v3
	v_subrev_nc_u32_e32 v4, 28, v3
	v_sub_nc_u32_e32 v3, 29, v3
	v_lshlrev_b64 v[4:5], v4, v[82:83]
	v_and_b32_e32 v82, 7, v4
; %bb.254:                              ;   in Loop: Header=BB200_9 Depth=1
	s_or_b32 exec_lo, exec_lo, s21
	v_lshlrev_b32_e32 v4, 24, v2
	v_lshlrev_b32_e32 v0, 20, v82
	v_lshl_add_u32 v3, v3, 23, 0x3c000000
	v_and_b32_e32 v4, 0x80000000, v4
	v_or3_b32 v82, v0, v4, v3
	buffer_store_dword v82, off, s[0:3], s32 offset:448 ; 4-byte Folded Spill
	buffer_store_dword v83, off, s[0:3], s32 offset:452 ; 4-byte Folded Spill
.LBB200_255:                            ;   in Loop: Header=BB200_9 Depth=1
	s_or_b32 exec_lo, exec_lo, s20
.LBB200_256:                            ;   in Loop: Header=BB200_9 Depth=1
	s_or_b32 exec_lo, exec_lo, s19
.LBB200_257:                            ;   in Loop: Header=BB200_9 Depth=1
	s_or_b32 exec_lo, exec_lo, s17
	v_cmp_ne_u16_sdwa s6, v2, v83 src0_sel:BYTE_1 src1_sel:DWORD
	s_and_saveexec_b32 s17, s6
	s_cbranch_execz .LBB200_265
; %bb.258:                              ;   in Loop: Header=BB200_9 Depth=1
	v_mov_b32_e32 v0, 0x80
	v_mov_b32_e32 v50, v83
	buffer_store_dword v50, off, s[0:3], s32 offset:456 ; 4-byte Folded Spill
	buffer_store_dword v51, off, s[0:3], s32 offset:460 ; 4-byte Folded Spill
	v_cmp_ne_u16_sdwa s6, v2, v0 src0_sel:BYTE_1 src1_sel:DWORD
	s_and_saveexec_b32 s19, s6
	s_cbranch_execz .LBB200_264
; %bb.259:                              ;   in Loop: Header=BB200_9 Depth=1
	s_clause 0x1
	buffer_load_dword v5, off, s[0:3], s32 offset:192
	buffer_load_dword v6, off, s[0:3], s32 offset:196
	v_mov_b32_e32 v0, 0xffff
	s_waitcnt vmcnt(1)
	v_mov_b32_e32 v5, v83
	s_mov_b32 s20, exec_lo
	v_and_b32_sdwa v0, v0, v2 dst_sel:DWORD dst_unused:UNUSED_PAD src0_sel:DWORD src1_sel:BYTE_1
	v_and_b32_e32 v4, 0x7f, v0
	s_waitcnt vmcnt(0)
	v_mov_b32_e32 v1, v6
	buffer_store_dword v0, off, s[0:3], s32 offset:192 ; 4-byte Folded Spill
	buffer_store_dword v1, off, s[0:3], s32 offset:196 ; 4-byte Folded Spill
	;; [unrolled: 1-line block ×4, first 2 shown]
	v_cmpx_ne_u32_e32 0x7f, v4
	s_cbranch_execz .LBB200_263
; %bb.260:                              ;   in Loop: Header=BB200_9 Depth=1
	v_and_b32_e32 v82, 7, v0
	v_lshrrev_b32_e32 v3, 3, v4
	s_mov_b32 s21, exec_lo
	v_cmpx_gt_u32_e32 8, v4
; %bb.261:                              ;   in Loop: Header=BB200_9 Depth=1
	v_ffbh_u32_e32 v3, v82
	v_min_u32_e32 v3, 32, v3
	v_subrev_nc_u32_e32 v4, 28, v3
	v_sub_nc_u32_e32 v3, 29, v3
	v_lshlrev_b64 v[4:5], v4, v[82:83]
	v_and_b32_e32 v82, 7, v4
; %bb.262:                              ;   in Loop: Header=BB200_9 Depth=1
	s_or_b32 exec_lo, exec_lo, s21
	v_lshlrev_b32_e32 v2, 16, v2
	v_lshlrev_b32_e32 v0, 20, v82
	v_lshl_add_u32 v3, v3, 23, 0x3c000000
	v_and_b32_e32 v2, 0x80000000, v2
	v_or3_b32 v1, v0, v2, v3
	v_mov_b32_e32 v0, v83
	buffer_store_dword v0, off, s[0:3], s32 offset:456 ; 4-byte Folded Spill
	buffer_store_dword v1, off, s[0:3], s32 offset:460 ; 4-byte Folded Spill
.LBB200_263:                            ;   in Loop: Header=BB200_9 Depth=1
	s_or_b32 exec_lo, exec_lo, s20
.LBB200_264:                            ;   in Loop: Header=BB200_9 Depth=1
	s_or_b32 exec_lo, exec_lo, s19
.LBB200_265:                            ;   in Loop: Header=BB200_9 Depth=1
	s_or_b32 exec_lo, exec_lo, s17
	flat_load_ushort v0, v[26:27] offset:1024
	s_waitcnt vmcnt(0) lgkmcnt(0)
	v_and_b32_e32 v2, 0xffff, v0
	v_cmp_ne_u16_sdwa s6, v0, v83 src0_sel:BYTE_0 src1_sel:DWORD
	v_mov_b32_e32 v0, 0
	v_mov_b32_e32 v1, 0
	buffer_store_dword v0, off, s[0:3], s32 offset:472 ; 4-byte Folded Spill
	buffer_store_dword v1, off, s[0:3], s32 offset:476 ; 4-byte Folded Spill
	v_mov_b32_e32 v0, 0
	v_mov_b32_e32 v1, 0
	buffer_store_dword v0, off, s[0:3], s32 offset:464 ; 4-byte Folded Spill
	buffer_store_dword v1, off, s[0:3], s32 offset:468 ; 4-byte Folded Spill
	s_and_saveexec_b32 s17, s6
	s_cbranch_execz .LBB200_273
; %bb.266:                              ;   in Loop: Header=BB200_9 Depth=1
	v_bfrev_b32_e32 v0, 1
	v_mov_b32_e32 v1, 0
	buffer_store_dword v0, off, s[0:3], s32 offset:464 ; 4-byte Folded Spill
	buffer_store_dword v1, off, s[0:3], s32 offset:468 ; 4-byte Folded Spill
	v_mov_b32_e32 v0, 0x80
	v_cmp_ne_u16_sdwa s6, v2, v0 src0_sel:BYTE_0 src1_sel:DWORD
	s_and_saveexec_b32 s19, s6
	s_cbranch_execz .LBB200_272
; %bb.267:                              ;   in Loop: Header=BB200_9 Depth=1
	v_mov_b32_e32 v0, 0x7f800001
	v_and_b32_e32 v4, 0x7f, v2
	v_mov_b32_e32 v1, 0
	s_mov_b32 s20, exec_lo
	buffer_store_dword v0, off, s[0:3], s32 offset:464 ; 4-byte Folded Spill
	buffer_store_dword v1, off, s[0:3], s32 offset:468 ; 4-byte Folded Spill
	v_cmpx_ne_u32_e32 0x7f, v4
	s_cbranch_execz .LBB200_271
; %bb.268:                              ;   in Loop: Header=BB200_9 Depth=1
	v_and_b32_e32 v82, 7, v2
	v_lshrrev_b32_e32 v3, 3, v4
	s_mov_b32 s21, exec_lo
	v_cmpx_gt_u32_e32 8, v4
; %bb.269:                              ;   in Loop: Header=BB200_9 Depth=1
	v_ffbh_u32_e32 v3, v82
	v_min_u32_e32 v3, 32, v3
	v_subrev_nc_u32_e32 v4, 28, v3
	v_sub_nc_u32_e32 v3, 29, v3
	v_lshlrev_b64 v[4:5], v4, v[82:83]
	v_and_b32_e32 v82, 7, v4
; %bb.270:                              ;   in Loop: Header=BB200_9 Depth=1
	s_or_b32 exec_lo, exec_lo, s21
	v_lshlrev_b32_e32 v4, 24, v2
	v_lshlrev_b32_e32 v0, 20, v82
	v_lshl_add_u32 v3, v3, 23, 0x3c000000
	v_and_b32_e32 v4, 0x80000000, v4
	v_or3_b32 v82, v0, v4, v3
	buffer_store_dword v82, off, s[0:3], s32 offset:464 ; 4-byte Folded Spill
	buffer_store_dword v83, off, s[0:3], s32 offset:468 ; 4-byte Folded Spill
.LBB200_271:                            ;   in Loop: Header=BB200_9 Depth=1
	s_or_b32 exec_lo, exec_lo, s20
.LBB200_272:                            ;   in Loop: Header=BB200_9 Depth=1
	s_or_b32 exec_lo, exec_lo, s19
.LBB200_273:                            ;   in Loop: Header=BB200_9 Depth=1
	s_or_b32 exec_lo, exec_lo, s17
	v_cmp_ne_u16_sdwa s6, v2, v83 src0_sel:BYTE_1 src1_sel:DWORD
	s_and_saveexec_b32 s17, s6
	s_cbranch_execz .LBB200_281
; %bb.274:                              ;   in Loop: Header=BB200_9 Depth=1
	v_mov_b32_e32 v0, 0x80
	v_mov_b32_e32 v50, v83
	buffer_store_dword v50, off, s[0:3], s32 offset:472 ; 4-byte Folded Spill
	buffer_store_dword v51, off, s[0:3], s32 offset:476 ; 4-byte Folded Spill
	v_cmp_ne_u16_sdwa s6, v2, v0 src0_sel:BYTE_1 src1_sel:DWORD
	s_and_saveexec_b32 s19, s6
	s_cbranch_execz .LBB200_280
; %bb.275:                              ;   in Loop: Header=BB200_9 Depth=1
	s_clause 0x1
	buffer_load_dword v5, off, s[0:3], s32 offset:192
	buffer_load_dword v6, off, s[0:3], s32 offset:196
	v_mov_b32_e32 v0, 0xffff
	s_waitcnt vmcnt(1)
	v_mov_b32_e32 v5, v83
	s_mov_b32 s20, exec_lo
	v_and_b32_sdwa v0, v0, v2 dst_sel:DWORD dst_unused:UNUSED_PAD src0_sel:DWORD src1_sel:BYTE_1
	v_and_b32_e32 v4, 0x7f, v0
	s_waitcnt vmcnt(0)
	v_mov_b32_e32 v1, v6
	buffer_store_dword v0, off, s[0:3], s32 offset:192 ; 4-byte Folded Spill
	buffer_store_dword v1, off, s[0:3], s32 offset:196 ; 4-byte Folded Spill
	;; [unrolled: 1-line block ×4, first 2 shown]
	v_cmpx_ne_u32_e32 0x7f, v4
	s_cbranch_execz .LBB200_279
; %bb.276:                              ;   in Loop: Header=BB200_9 Depth=1
	v_and_b32_e32 v82, 7, v0
	v_lshrrev_b32_e32 v3, 3, v4
	s_mov_b32 s21, exec_lo
	v_cmpx_gt_u32_e32 8, v4
; %bb.277:                              ;   in Loop: Header=BB200_9 Depth=1
	v_ffbh_u32_e32 v3, v82
	v_min_u32_e32 v3, 32, v3
	v_subrev_nc_u32_e32 v4, 28, v3
	v_sub_nc_u32_e32 v3, 29, v3
	v_lshlrev_b64 v[4:5], v4, v[82:83]
	v_and_b32_e32 v82, 7, v4
; %bb.278:                              ;   in Loop: Header=BB200_9 Depth=1
	s_or_b32 exec_lo, exec_lo, s21
	v_lshlrev_b32_e32 v2, 16, v2
	v_lshlrev_b32_e32 v0, 20, v82
	v_lshl_add_u32 v3, v3, 23, 0x3c000000
	v_and_b32_e32 v2, 0x80000000, v2
	v_or3_b32 v1, v0, v2, v3
	v_mov_b32_e32 v0, v83
	buffer_store_dword v0, off, s[0:3], s32 offset:472 ; 4-byte Folded Spill
	buffer_store_dword v1, off, s[0:3], s32 offset:476 ; 4-byte Folded Spill
.LBB200_279:                            ;   in Loop: Header=BB200_9 Depth=1
	s_or_b32 exec_lo, exec_lo, s20
.LBB200_280:                            ;   in Loop: Header=BB200_9 Depth=1
	s_or_b32 exec_lo, exec_lo, s19
.LBB200_281:                            ;   in Loop: Header=BB200_9 Depth=1
	s_or_b32 exec_lo, exec_lo, s17
	flat_load_ushort v0, v[26:27] offset:1028
	s_waitcnt vmcnt(0) lgkmcnt(0)
	v_and_b32_e32 v2, 0xffff, v0
	v_cmp_ne_u16_sdwa s6, v0, v83 src0_sel:BYTE_0 src1_sel:DWORD
	v_mov_b32_e32 v0, 0
	v_mov_b32_e32 v1, 0
	buffer_store_dword v0, off, s[0:3], s32 offset:488 ; 4-byte Folded Spill
	buffer_store_dword v1, off, s[0:3], s32 offset:492 ; 4-byte Folded Spill
	v_mov_b32_e32 v0, 0
	v_mov_b32_e32 v1, 0
	buffer_store_dword v0, off, s[0:3], s32 offset:480 ; 4-byte Folded Spill
	buffer_store_dword v1, off, s[0:3], s32 offset:484 ; 4-byte Folded Spill
	s_and_saveexec_b32 s17, s6
	s_cbranch_execz .LBB200_289
; %bb.282:                              ;   in Loop: Header=BB200_9 Depth=1
	v_bfrev_b32_e32 v0, 1
	v_mov_b32_e32 v1, 0
	buffer_store_dword v0, off, s[0:3], s32 offset:480 ; 4-byte Folded Spill
	buffer_store_dword v1, off, s[0:3], s32 offset:484 ; 4-byte Folded Spill
	v_mov_b32_e32 v0, 0x80
	v_cmp_ne_u16_sdwa s6, v2, v0 src0_sel:BYTE_0 src1_sel:DWORD
	s_and_saveexec_b32 s19, s6
	s_cbranch_execz .LBB200_288
; %bb.283:                              ;   in Loop: Header=BB200_9 Depth=1
	v_mov_b32_e32 v0, 0x7f800001
	v_and_b32_e32 v4, 0x7f, v2
	v_mov_b32_e32 v1, 0
	s_mov_b32 s20, exec_lo
	buffer_store_dword v0, off, s[0:3], s32 offset:480 ; 4-byte Folded Spill
	buffer_store_dword v1, off, s[0:3], s32 offset:484 ; 4-byte Folded Spill
	v_cmpx_ne_u32_e32 0x7f, v4
	s_cbranch_execz .LBB200_287
; %bb.284:                              ;   in Loop: Header=BB200_9 Depth=1
	v_and_b32_e32 v82, 7, v2
	v_lshrrev_b32_e32 v3, 3, v4
	s_mov_b32 s21, exec_lo
	v_cmpx_gt_u32_e32 8, v4
; %bb.285:                              ;   in Loop: Header=BB200_9 Depth=1
	v_ffbh_u32_e32 v3, v82
	v_min_u32_e32 v3, 32, v3
	v_subrev_nc_u32_e32 v4, 28, v3
	v_sub_nc_u32_e32 v3, 29, v3
	v_lshlrev_b64 v[4:5], v4, v[82:83]
	v_and_b32_e32 v82, 7, v4
; %bb.286:                              ;   in Loop: Header=BB200_9 Depth=1
	s_or_b32 exec_lo, exec_lo, s21
	v_lshlrev_b32_e32 v4, 24, v2
	v_lshlrev_b32_e32 v0, 20, v82
	v_lshl_add_u32 v3, v3, 23, 0x3c000000
	v_and_b32_e32 v4, 0x80000000, v4
	v_or3_b32 v82, v0, v4, v3
	buffer_store_dword v82, off, s[0:3], s32 offset:480 ; 4-byte Folded Spill
	buffer_store_dword v83, off, s[0:3], s32 offset:484 ; 4-byte Folded Spill
.LBB200_287:                            ;   in Loop: Header=BB200_9 Depth=1
	s_or_b32 exec_lo, exec_lo, s20
.LBB200_288:                            ;   in Loop: Header=BB200_9 Depth=1
	s_or_b32 exec_lo, exec_lo, s19
.LBB200_289:                            ;   in Loop: Header=BB200_9 Depth=1
	s_or_b32 exec_lo, exec_lo, s17
	v_cmp_ne_u16_sdwa s6, v2, v83 src0_sel:BYTE_1 src1_sel:DWORD
	s_and_saveexec_b32 s17, s6
	s_cbranch_execz .LBB200_297
; %bb.290:                              ;   in Loop: Header=BB200_9 Depth=1
	v_mov_b32_e32 v0, 0x80
	v_mov_b32_e32 v50, v83
	buffer_store_dword v50, off, s[0:3], s32 offset:488 ; 4-byte Folded Spill
	buffer_store_dword v51, off, s[0:3], s32 offset:492 ; 4-byte Folded Spill
	v_cmp_ne_u16_sdwa s6, v2, v0 src0_sel:BYTE_1 src1_sel:DWORD
	s_and_saveexec_b32 s19, s6
	s_cbranch_execz .LBB200_296
; %bb.291:                              ;   in Loop: Header=BB200_9 Depth=1
	s_clause 0x1
	buffer_load_dword v5, off, s[0:3], s32 offset:192
	buffer_load_dword v6, off, s[0:3], s32 offset:196
	v_mov_b32_e32 v0, 0xffff
	s_waitcnt vmcnt(1)
	v_mov_b32_e32 v5, v83
	s_mov_b32 s20, exec_lo
	v_and_b32_sdwa v0, v0, v2 dst_sel:DWORD dst_unused:UNUSED_PAD src0_sel:DWORD src1_sel:BYTE_1
	v_and_b32_e32 v4, 0x7f, v0
	s_waitcnt vmcnt(0)
	v_mov_b32_e32 v1, v6
	buffer_store_dword v0, off, s[0:3], s32 offset:192 ; 4-byte Folded Spill
	buffer_store_dword v1, off, s[0:3], s32 offset:196 ; 4-byte Folded Spill
	;; [unrolled: 1-line block ×4, first 2 shown]
	v_cmpx_ne_u32_e32 0x7f, v4
	s_cbranch_execz .LBB200_295
; %bb.292:                              ;   in Loop: Header=BB200_9 Depth=1
	v_and_b32_e32 v82, 7, v0
	v_lshrrev_b32_e32 v3, 3, v4
	s_mov_b32 s21, exec_lo
	v_cmpx_gt_u32_e32 8, v4
; %bb.293:                              ;   in Loop: Header=BB200_9 Depth=1
	v_ffbh_u32_e32 v3, v82
	v_min_u32_e32 v3, 32, v3
	v_subrev_nc_u32_e32 v4, 28, v3
	v_sub_nc_u32_e32 v3, 29, v3
	v_lshlrev_b64 v[4:5], v4, v[82:83]
	v_and_b32_e32 v82, 7, v4
; %bb.294:                              ;   in Loop: Header=BB200_9 Depth=1
	s_or_b32 exec_lo, exec_lo, s21
	v_lshlrev_b32_e32 v2, 16, v2
	v_lshlrev_b32_e32 v0, 20, v82
	v_lshl_add_u32 v3, v3, 23, 0x3c000000
	v_and_b32_e32 v2, 0x80000000, v2
	v_or3_b32 v1, v0, v2, v3
	v_mov_b32_e32 v0, v83
	buffer_store_dword v0, off, s[0:3], s32 offset:488 ; 4-byte Folded Spill
	buffer_store_dword v1, off, s[0:3], s32 offset:492 ; 4-byte Folded Spill
.LBB200_295:                            ;   in Loop: Header=BB200_9 Depth=1
	s_or_b32 exec_lo, exec_lo, s20
.LBB200_296:                            ;   in Loop: Header=BB200_9 Depth=1
	s_or_b32 exec_lo, exec_lo, s19
.LBB200_297:                            ;   in Loop: Header=BB200_9 Depth=1
	s_or_b32 exec_lo, exec_lo, s17
	flat_load_ushort v0, v[26:27] offset:1032
	s_waitcnt vmcnt(0) lgkmcnt(0)
	v_and_b32_e32 v2, 0xffff, v0
	v_cmp_ne_u16_sdwa s6, v0, v83 src0_sel:BYTE_0 src1_sel:DWORD
	v_mov_b32_e32 v0, 0
	v_mov_b32_e32 v1, 0
	buffer_store_dword v0, off, s[0:3], s32 offset:504 ; 4-byte Folded Spill
	buffer_store_dword v1, off, s[0:3], s32 offset:508 ; 4-byte Folded Spill
	v_mov_b32_e32 v0, 0
	v_mov_b32_e32 v1, 0
	buffer_store_dword v0, off, s[0:3], s32 offset:496 ; 4-byte Folded Spill
	buffer_store_dword v1, off, s[0:3], s32 offset:500 ; 4-byte Folded Spill
	s_and_saveexec_b32 s17, s6
	s_cbranch_execz .LBB200_305
; %bb.298:                              ;   in Loop: Header=BB200_9 Depth=1
	v_bfrev_b32_e32 v0, 1
	v_mov_b32_e32 v1, 0
	buffer_store_dword v0, off, s[0:3], s32 offset:496 ; 4-byte Folded Spill
	buffer_store_dword v1, off, s[0:3], s32 offset:500 ; 4-byte Folded Spill
	v_mov_b32_e32 v0, 0x80
	v_cmp_ne_u16_sdwa s6, v2, v0 src0_sel:BYTE_0 src1_sel:DWORD
	s_and_saveexec_b32 s19, s6
	s_cbranch_execz .LBB200_304
; %bb.299:                              ;   in Loop: Header=BB200_9 Depth=1
	v_mov_b32_e32 v0, 0x7f800001
	v_and_b32_e32 v4, 0x7f, v2
	v_mov_b32_e32 v1, 0
	s_mov_b32 s20, exec_lo
	buffer_store_dword v0, off, s[0:3], s32 offset:496 ; 4-byte Folded Spill
	buffer_store_dword v1, off, s[0:3], s32 offset:500 ; 4-byte Folded Spill
	v_cmpx_ne_u32_e32 0x7f, v4
	s_cbranch_execz .LBB200_303
; %bb.300:                              ;   in Loop: Header=BB200_9 Depth=1
	v_and_b32_e32 v82, 7, v2
	v_lshrrev_b32_e32 v3, 3, v4
	s_mov_b32 s21, exec_lo
	v_cmpx_gt_u32_e32 8, v4
; %bb.301:                              ;   in Loop: Header=BB200_9 Depth=1
	v_ffbh_u32_e32 v3, v82
	v_min_u32_e32 v3, 32, v3
	v_subrev_nc_u32_e32 v4, 28, v3
	v_sub_nc_u32_e32 v3, 29, v3
	v_lshlrev_b64 v[4:5], v4, v[82:83]
	v_and_b32_e32 v82, 7, v4
; %bb.302:                              ;   in Loop: Header=BB200_9 Depth=1
	s_or_b32 exec_lo, exec_lo, s21
	v_lshlrev_b32_e32 v4, 24, v2
	v_lshlrev_b32_e32 v0, 20, v82
	v_lshl_add_u32 v3, v3, 23, 0x3c000000
	v_and_b32_e32 v4, 0x80000000, v4
	v_or3_b32 v82, v0, v4, v3
	buffer_store_dword v82, off, s[0:3], s32 offset:496 ; 4-byte Folded Spill
	buffer_store_dword v83, off, s[0:3], s32 offset:500 ; 4-byte Folded Spill
.LBB200_303:                            ;   in Loop: Header=BB200_9 Depth=1
	s_or_b32 exec_lo, exec_lo, s20
.LBB200_304:                            ;   in Loop: Header=BB200_9 Depth=1
	s_or_b32 exec_lo, exec_lo, s19
.LBB200_305:                            ;   in Loop: Header=BB200_9 Depth=1
	s_or_b32 exec_lo, exec_lo, s17
	v_cmp_ne_u16_sdwa s6, v2, v83 src0_sel:BYTE_1 src1_sel:DWORD
	s_and_saveexec_b32 s17, s6
	s_cbranch_execz .LBB200_313
; %bb.306:                              ;   in Loop: Header=BB200_9 Depth=1
	v_mov_b32_e32 v0, 0x80
	v_mov_b32_e32 v50, v83
	buffer_store_dword v50, off, s[0:3], s32 offset:504 ; 4-byte Folded Spill
	buffer_store_dword v51, off, s[0:3], s32 offset:508 ; 4-byte Folded Spill
	v_cmp_ne_u16_sdwa s6, v2, v0 src0_sel:BYTE_1 src1_sel:DWORD
	s_and_saveexec_b32 s19, s6
	s_cbranch_execz .LBB200_312
; %bb.307:                              ;   in Loop: Header=BB200_9 Depth=1
	s_clause 0x1
	buffer_load_dword v5, off, s[0:3], s32 offset:192
	buffer_load_dword v6, off, s[0:3], s32 offset:196
	v_mov_b32_e32 v0, 0xffff
	s_waitcnt vmcnt(1)
	v_mov_b32_e32 v5, v83
	s_mov_b32 s20, exec_lo
	v_and_b32_sdwa v0, v0, v2 dst_sel:DWORD dst_unused:UNUSED_PAD src0_sel:DWORD src1_sel:BYTE_1
	v_and_b32_e32 v4, 0x7f, v0
	s_waitcnt vmcnt(0)
	v_mov_b32_e32 v1, v6
	buffer_store_dword v0, off, s[0:3], s32 offset:192 ; 4-byte Folded Spill
	buffer_store_dword v1, off, s[0:3], s32 offset:196 ; 4-byte Folded Spill
	;; [unrolled: 1-line block ×4, first 2 shown]
	v_cmpx_ne_u32_e32 0x7f, v4
	s_cbranch_execz .LBB200_311
; %bb.308:                              ;   in Loop: Header=BB200_9 Depth=1
	v_and_b32_e32 v82, 7, v0
	v_lshrrev_b32_e32 v3, 3, v4
	s_mov_b32 s21, exec_lo
	v_cmpx_gt_u32_e32 8, v4
; %bb.309:                              ;   in Loop: Header=BB200_9 Depth=1
	v_ffbh_u32_e32 v3, v82
	v_min_u32_e32 v3, 32, v3
	v_subrev_nc_u32_e32 v4, 28, v3
	v_sub_nc_u32_e32 v3, 29, v3
	v_lshlrev_b64 v[4:5], v4, v[82:83]
	v_and_b32_e32 v82, 7, v4
; %bb.310:                              ;   in Loop: Header=BB200_9 Depth=1
	s_or_b32 exec_lo, exec_lo, s21
	v_lshlrev_b32_e32 v2, 16, v2
	v_lshlrev_b32_e32 v0, 20, v82
	v_lshl_add_u32 v3, v3, 23, 0x3c000000
	v_and_b32_e32 v2, 0x80000000, v2
	v_or3_b32 v1, v0, v2, v3
	v_mov_b32_e32 v0, v83
	buffer_store_dword v0, off, s[0:3], s32 offset:504 ; 4-byte Folded Spill
	buffer_store_dword v1, off, s[0:3], s32 offset:508 ; 4-byte Folded Spill
.LBB200_311:                            ;   in Loop: Header=BB200_9 Depth=1
	s_or_b32 exec_lo, exec_lo, s20
.LBB200_312:                            ;   in Loop: Header=BB200_9 Depth=1
	s_or_b32 exec_lo, exec_lo, s19
.LBB200_313:                            ;   in Loop: Header=BB200_9 Depth=1
	s_or_b32 exec_lo, exec_lo, s17
	flat_load_ushort v0, v[26:27] offset:1036
	s_waitcnt vmcnt(0) lgkmcnt(0)
	v_and_b32_e32 v2, 0xffff, v0
	v_cmp_ne_u16_sdwa s6, v0, v83 src0_sel:BYTE_0 src1_sel:DWORD
	v_mov_b32_e32 v0, 0
	v_mov_b32_e32 v1, 0
	buffer_store_dword v0, off, s[0:3], s32 offset:520 ; 4-byte Folded Spill
	buffer_store_dword v1, off, s[0:3], s32 offset:524 ; 4-byte Folded Spill
	v_mov_b32_e32 v0, 0
	v_mov_b32_e32 v1, 0
	buffer_store_dword v0, off, s[0:3], s32 offset:512 ; 4-byte Folded Spill
	buffer_store_dword v1, off, s[0:3], s32 offset:516 ; 4-byte Folded Spill
	s_and_saveexec_b32 s17, s6
	s_cbranch_execz .LBB200_321
; %bb.314:                              ;   in Loop: Header=BB200_9 Depth=1
	v_bfrev_b32_e32 v0, 1
	v_mov_b32_e32 v1, 0
	buffer_store_dword v0, off, s[0:3], s32 offset:512 ; 4-byte Folded Spill
	buffer_store_dword v1, off, s[0:3], s32 offset:516 ; 4-byte Folded Spill
	v_mov_b32_e32 v0, 0x80
	v_cmp_ne_u16_sdwa s6, v2, v0 src0_sel:BYTE_0 src1_sel:DWORD
	s_and_saveexec_b32 s19, s6
	s_cbranch_execz .LBB200_320
; %bb.315:                              ;   in Loop: Header=BB200_9 Depth=1
	v_mov_b32_e32 v0, 0x7f800001
	v_and_b32_e32 v4, 0x7f, v2
	v_mov_b32_e32 v1, 0
	s_mov_b32 s20, exec_lo
	buffer_store_dword v0, off, s[0:3], s32 offset:512 ; 4-byte Folded Spill
	buffer_store_dword v1, off, s[0:3], s32 offset:516 ; 4-byte Folded Spill
	v_cmpx_ne_u32_e32 0x7f, v4
	s_cbranch_execz .LBB200_319
; %bb.316:                              ;   in Loop: Header=BB200_9 Depth=1
	v_and_b32_e32 v82, 7, v2
	v_lshrrev_b32_e32 v3, 3, v4
	s_mov_b32 s21, exec_lo
	v_cmpx_gt_u32_e32 8, v4
; %bb.317:                              ;   in Loop: Header=BB200_9 Depth=1
	v_ffbh_u32_e32 v3, v82
	v_min_u32_e32 v3, 32, v3
	v_subrev_nc_u32_e32 v4, 28, v3
	v_sub_nc_u32_e32 v3, 29, v3
	v_lshlrev_b64 v[4:5], v4, v[82:83]
	v_and_b32_e32 v82, 7, v4
; %bb.318:                              ;   in Loop: Header=BB200_9 Depth=1
	s_or_b32 exec_lo, exec_lo, s21
	v_lshlrev_b32_e32 v4, 24, v2
	v_lshlrev_b32_e32 v0, 20, v82
	v_lshl_add_u32 v3, v3, 23, 0x3c000000
	v_and_b32_e32 v4, 0x80000000, v4
	v_or3_b32 v82, v0, v4, v3
	buffer_store_dword v82, off, s[0:3], s32 offset:512 ; 4-byte Folded Spill
	buffer_store_dword v83, off, s[0:3], s32 offset:516 ; 4-byte Folded Spill
.LBB200_319:                            ;   in Loop: Header=BB200_9 Depth=1
	s_or_b32 exec_lo, exec_lo, s20
.LBB200_320:                            ;   in Loop: Header=BB200_9 Depth=1
	s_or_b32 exec_lo, exec_lo, s19
.LBB200_321:                            ;   in Loop: Header=BB200_9 Depth=1
	s_or_b32 exec_lo, exec_lo, s17
	v_cmp_ne_u16_sdwa s6, v2, v83 src0_sel:BYTE_1 src1_sel:DWORD
	s_and_saveexec_b32 s17, s6
	s_cbranch_execz .LBB200_329
; %bb.322:                              ;   in Loop: Header=BB200_9 Depth=1
	v_mov_b32_e32 v0, 0x80
	v_mov_b32_e32 v50, v83
	buffer_store_dword v50, off, s[0:3], s32 offset:520 ; 4-byte Folded Spill
	buffer_store_dword v51, off, s[0:3], s32 offset:524 ; 4-byte Folded Spill
	v_cmp_ne_u16_sdwa s6, v2, v0 src0_sel:BYTE_1 src1_sel:DWORD
	s_and_saveexec_b32 s19, s6
	s_cbranch_execz .LBB200_328
; %bb.323:                              ;   in Loop: Header=BB200_9 Depth=1
	s_clause 0x1
	buffer_load_dword v5, off, s[0:3], s32 offset:192
	buffer_load_dword v6, off, s[0:3], s32 offset:196
	v_mov_b32_e32 v0, 0xffff
	s_waitcnt vmcnt(1)
	v_mov_b32_e32 v5, v83
	s_mov_b32 s20, exec_lo
	v_and_b32_sdwa v0, v0, v2 dst_sel:DWORD dst_unused:UNUSED_PAD src0_sel:DWORD src1_sel:BYTE_1
	v_and_b32_e32 v4, 0x7f, v0
	s_waitcnt vmcnt(0)
	v_mov_b32_e32 v1, v6
	buffer_store_dword v0, off, s[0:3], s32 offset:192 ; 4-byte Folded Spill
	buffer_store_dword v1, off, s[0:3], s32 offset:196 ; 4-byte Folded Spill
	;; [unrolled: 1-line block ×4, first 2 shown]
	v_cmpx_ne_u32_e32 0x7f, v4
	s_cbranch_execz .LBB200_327
; %bb.324:                              ;   in Loop: Header=BB200_9 Depth=1
	v_and_b32_e32 v82, 7, v0
	v_lshrrev_b32_e32 v3, 3, v4
	s_mov_b32 s21, exec_lo
	v_cmpx_gt_u32_e32 8, v4
; %bb.325:                              ;   in Loop: Header=BB200_9 Depth=1
	v_ffbh_u32_e32 v3, v82
	v_min_u32_e32 v3, 32, v3
	v_subrev_nc_u32_e32 v4, 28, v3
	v_sub_nc_u32_e32 v3, 29, v3
	v_lshlrev_b64 v[4:5], v4, v[82:83]
	v_and_b32_e32 v82, 7, v4
; %bb.326:                              ;   in Loop: Header=BB200_9 Depth=1
	s_or_b32 exec_lo, exec_lo, s21
	v_lshlrev_b32_e32 v2, 16, v2
	v_lshlrev_b32_e32 v0, 20, v82
	v_lshl_add_u32 v3, v3, 23, 0x3c000000
	v_and_b32_e32 v2, 0x80000000, v2
	v_or3_b32 v1, v0, v2, v3
	v_mov_b32_e32 v0, v83
	buffer_store_dword v0, off, s[0:3], s32 offset:520 ; 4-byte Folded Spill
	buffer_store_dword v1, off, s[0:3], s32 offset:524 ; 4-byte Folded Spill
.LBB200_327:                            ;   in Loop: Header=BB200_9 Depth=1
	s_or_b32 exec_lo, exec_lo, s20
.LBB200_328:                            ;   in Loop: Header=BB200_9 Depth=1
	s_or_b32 exec_lo, exec_lo, s19
.LBB200_329:                            ;   in Loop: Header=BB200_9 Depth=1
	s_or_b32 exec_lo, exec_lo, s17
	flat_load_ushort v0, v[26:27] offset:1280
	s_waitcnt vmcnt(0) lgkmcnt(0)
	v_and_b32_e32 v2, 0xffff, v0
	v_cmp_ne_u16_sdwa s6, v0, v83 src0_sel:BYTE_0 src1_sel:DWORD
	v_mov_b32_e32 v0, 0
	v_mov_b32_e32 v1, 0
	buffer_store_dword v0, off, s[0:3], s32 offset:536 ; 4-byte Folded Spill
	buffer_store_dword v1, off, s[0:3], s32 offset:540 ; 4-byte Folded Spill
	v_mov_b32_e32 v0, 0
	v_mov_b32_e32 v1, 0
	buffer_store_dword v0, off, s[0:3], s32 offset:528 ; 4-byte Folded Spill
	buffer_store_dword v1, off, s[0:3], s32 offset:532 ; 4-byte Folded Spill
	s_and_saveexec_b32 s17, s6
	s_cbranch_execz .LBB200_337
; %bb.330:                              ;   in Loop: Header=BB200_9 Depth=1
	v_bfrev_b32_e32 v0, 1
	v_mov_b32_e32 v1, 0
	buffer_store_dword v0, off, s[0:3], s32 offset:528 ; 4-byte Folded Spill
	buffer_store_dword v1, off, s[0:3], s32 offset:532 ; 4-byte Folded Spill
	v_mov_b32_e32 v0, 0x80
	v_cmp_ne_u16_sdwa s6, v2, v0 src0_sel:BYTE_0 src1_sel:DWORD
	s_and_saveexec_b32 s19, s6
	s_cbranch_execz .LBB200_336
; %bb.331:                              ;   in Loop: Header=BB200_9 Depth=1
	v_mov_b32_e32 v0, 0x7f800001
	v_and_b32_e32 v4, 0x7f, v2
	v_mov_b32_e32 v1, 0
	s_mov_b32 s20, exec_lo
	buffer_store_dword v0, off, s[0:3], s32 offset:528 ; 4-byte Folded Spill
	buffer_store_dword v1, off, s[0:3], s32 offset:532 ; 4-byte Folded Spill
	v_cmpx_ne_u32_e32 0x7f, v4
	s_cbranch_execz .LBB200_335
; %bb.332:                              ;   in Loop: Header=BB200_9 Depth=1
	v_and_b32_e32 v82, 7, v2
	v_lshrrev_b32_e32 v3, 3, v4
	s_mov_b32 s21, exec_lo
	v_cmpx_gt_u32_e32 8, v4
; %bb.333:                              ;   in Loop: Header=BB200_9 Depth=1
	v_ffbh_u32_e32 v3, v82
	v_min_u32_e32 v3, 32, v3
	v_subrev_nc_u32_e32 v4, 28, v3
	v_sub_nc_u32_e32 v3, 29, v3
	v_lshlrev_b64 v[4:5], v4, v[82:83]
	v_and_b32_e32 v82, 7, v4
; %bb.334:                              ;   in Loop: Header=BB200_9 Depth=1
	s_or_b32 exec_lo, exec_lo, s21
	v_lshlrev_b32_e32 v4, 24, v2
	v_lshlrev_b32_e32 v0, 20, v82
	v_lshl_add_u32 v3, v3, 23, 0x3c000000
	v_and_b32_e32 v4, 0x80000000, v4
	v_or3_b32 v82, v0, v4, v3
	buffer_store_dword v82, off, s[0:3], s32 offset:528 ; 4-byte Folded Spill
	buffer_store_dword v83, off, s[0:3], s32 offset:532 ; 4-byte Folded Spill
.LBB200_335:                            ;   in Loop: Header=BB200_9 Depth=1
	s_or_b32 exec_lo, exec_lo, s20
.LBB200_336:                            ;   in Loop: Header=BB200_9 Depth=1
	s_or_b32 exec_lo, exec_lo, s19
.LBB200_337:                            ;   in Loop: Header=BB200_9 Depth=1
	s_or_b32 exec_lo, exec_lo, s17
	v_cmp_ne_u16_sdwa s6, v2, v83 src0_sel:BYTE_1 src1_sel:DWORD
	s_and_saveexec_b32 s17, s6
	s_cbranch_execz .LBB200_345
; %bb.338:                              ;   in Loop: Header=BB200_9 Depth=1
	v_mov_b32_e32 v0, 0x80
	v_mov_b32_e32 v50, v83
	buffer_store_dword v50, off, s[0:3], s32 offset:536 ; 4-byte Folded Spill
	buffer_store_dword v51, off, s[0:3], s32 offset:540 ; 4-byte Folded Spill
	v_cmp_ne_u16_sdwa s6, v2, v0 src0_sel:BYTE_1 src1_sel:DWORD
	s_and_saveexec_b32 s19, s6
	s_cbranch_execz .LBB200_344
; %bb.339:                              ;   in Loop: Header=BB200_9 Depth=1
	s_clause 0x1
	buffer_load_dword v5, off, s[0:3], s32 offset:192
	buffer_load_dword v6, off, s[0:3], s32 offset:196
	v_mov_b32_e32 v0, 0xffff
	s_waitcnt vmcnt(1)
	v_mov_b32_e32 v5, v83
	s_mov_b32 s20, exec_lo
	v_and_b32_sdwa v0, v0, v2 dst_sel:DWORD dst_unused:UNUSED_PAD src0_sel:DWORD src1_sel:BYTE_1
	v_and_b32_e32 v4, 0x7f, v0
	s_waitcnt vmcnt(0)
	v_mov_b32_e32 v1, v6
	buffer_store_dword v0, off, s[0:3], s32 offset:192 ; 4-byte Folded Spill
	buffer_store_dword v1, off, s[0:3], s32 offset:196 ; 4-byte Folded Spill
	;; [unrolled: 1-line block ×4, first 2 shown]
	v_cmpx_ne_u32_e32 0x7f, v4
	s_cbranch_execz .LBB200_343
; %bb.340:                              ;   in Loop: Header=BB200_9 Depth=1
	v_and_b32_e32 v82, 7, v0
	v_lshrrev_b32_e32 v3, 3, v4
	s_mov_b32 s21, exec_lo
	v_cmpx_gt_u32_e32 8, v4
; %bb.341:                              ;   in Loop: Header=BB200_9 Depth=1
	v_ffbh_u32_e32 v3, v82
	v_min_u32_e32 v3, 32, v3
	v_subrev_nc_u32_e32 v4, 28, v3
	v_sub_nc_u32_e32 v3, 29, v3
	v_lshlrev_b64 v[4:5], v4, v[82:83]
	v_and_b32_e32 v82, 7, v4
; %bb.342:                              ;   in Loop: Header=BB200_9 Depth=1
	s_or_b32 exec_lo, exec_lo, s21
	v_lshlrev_b32_e32 v2, 16, v2
	v_lshlrev_b32_e32 v0, 20, v82
	v_lshl_add_u32 v3, v3, 23, 0x3c000000
	v_and_b32_e32 v2, 0x80000000, v2
	v_or3_b32 v1, v0, v2, v3
	v_mov_b32_e32 v0, v83
	buffer_store_dword v0, off, s[0:3], s32 offset:536 ; 4-byte Folded Spill
	buffer_store_dword v1, off, s[0:3], s32 offset:540 ; 4-byte Folded Spill
.LBB200_343:                            ;   in Loop: Header=BB200_9 Depth=1
	s_or_b32 exec_lo, exec_lo, s20
.LBB200_344:                            ;   in Loop: Header=BB200_9 Depth=1
	s_or_b32 exec_lo, exec_lo, s19
.LBB200_345:                            ;   in Loop: Header=BB200_9 Depth=1
	s_or_b32 exec_lo, exec_lo, s17
	flat_load_ushort v0, v[26:27] offset:1284
	s_waitcnt vmcnt(0) lgkmcnt(0)
	v_and_b32_e32 v2, 0xffff, v0
	v_cmp_ne_u16_sdwa s6, v0, v83 src0_sel:BYTE_0 src1_sel:DWORD
	v_mov_b32_e32 v0, 0
	v_mov_b32_e32 v1, 0
	buffer_store_dword v0, off, s[0:3], s32 offset:552 ; 4-byte Folded Spill
	buffer_store_dword v1, off, s[0:3], s32 offset:556 ; 4-byte Folded Spill
	v_mov_b32_e32 v0, 0
	v_mov_b32_e32 v1, 0
	buffer_store_dword v0, off, s[0:3], s32 offset:544 ; 4-byte Folded Spill
	buffer_store_dword v1, off, s[0:3], s32 offset:548 ; 4-byte Folded Spill
	s_and_saveexec_b32 s17, s6
	s_cbranch_execz .LBB200_353
; %bb.346:                              ;   in Loop: Header=BB200_9 Depth=1
	v_bfrev_b32_e32 v0, 1
	v_mov_b32_e32 v1, 0
	buffer_store_dword v0, off, s[0:3], s32 offset:544 ; 4-byte Folded Spill
	buffer_store_dword v1, off, s[0:3], s32 offset:548 ; 4-byte Folded Spill
	v_mov_b32_e32 v0, 0x80
	v_cmp_ne_u16_sdwa s6, v2, v0 src0_sel:BYTE_0 src1_sel:DWORD
	s_and_saveexec_b32 s19, s6
	s_cbranch_execz .LBB200_352
; %bb.347:                              ;   in Loop: Header=BB200_9 Depth=1
	v_mov_b32_e32 v0, 0x7f800001
	v_and_b32_e32 v4, 0x7f, v2
	v_mov_b32_e32 v1, 0
	s_mov_b32 s20, exec_lo
	buffer_store_dword v0, off, s[0:3], s32 offset:544 ; 4-byte Folded Spill
	buffer_store_dword v1, off, s[0:3], s32 offset:548 ; 4-byte Folded Spill
	v_cmpx_ne_u32_e32 0x7f, v4
	s_cbranch_execz .LBB200_351
; %bb.348:                              ;   in Loop: Header=BB200_9 Depth=1
	v_and_b32_e32 v82, 7, v2
	v_lshrrev_b32_e32 v3, 3, v4
	s_mov_b32 s21, exec_lo
	v_cmpx_gt_u32_e32 8, v4
; %bb.349:                              ;   in Loop: Header=BB200_9 Depth=1
	v_ffbh_u32_e32 v3, v82
	v_min_u32_e32 v3, 32, v3
	v_subrev_nc_u32_e32 v4, 28, v3
	v_sub_nc_u32_e32 v3, 29, v3
	v_lshlrev_b64 v[4:5], v4, v[82:83]
	v_and_b32_e32 v82, 7, v4
; %bb.350:                              ;   in Loop: Header=BB200_9 Depth=1
	s_or_b32 exec_lo, exec_lo, s21
	v_lshlrev_b32_e32 v4, 24, v2
	v_lshlrev_b32_e32 v0, 20, v82
	v_lshl_add_u32 v3, v3, 23, 0x3c000000
	v_and_b32_e32 v4, 0x80000000, v4
	v_or3_b32 v82, v0, v4, v3
	buffer_store_dword v82, off, s[0:3], s32 offset:544 ; 4-byte Folded Spill
	buffer_store_dword v83, off, s[0:3], s32 offset:548 ; 4-byte Folded Spill
.LBB200_351:                            ;   in Loop: Header=BB200_9 Depth=1
	s_or_b32 exec_lo, exec_lo, s20
.LBB200_352:                            ;   in Loop: Header=BB200_9 Depth=1
	s_or_b32 exec_lo, exec_lo, s19
.LBB200_353:                            ;   in Loop: Header=BB200_9 Depth=1
	s_or_b32 exec_lo, exec_lo, s17
	v_cmp_ne_u16_sdwa s6, v2, v83 src0_sel:BYTE_1 src1_sel:DWORD
	s_and_saveexec_b32 s17, s6
	s_cbranch_execz .LBB200_361
; %bb.354:                              ;   in Loop: Header=BB200_9 Depth=1
	v_mov_b32_e32 v0, 0x80
	v_mov_b32_e32 v50, v83
	buffer_store_dword v50, off, s[0:3], s32 offset:552 ; 4-byte Folded Spill
	buffer_store_dword v51, off, s[0:3], s32 offset:556 ; 4-byte Folded Spill
	v_cmp_ne_u16_sdwa s6, v2, v0 src0_sel:BYTE_1 src1_sel:DWORD
	s_and_saveexec_b32 s19, s6
	s_cbranch_execz .LBB200_360
; %bb.355:                              ;   in Loop: Header=BB200_9 Depth=1
	s_clause 0x1
	buffer_load_dword v5, off, s[0:3], s32 offset:192
	buffer_load_dword v6, off, s[0:3], s32 offset:196
	v_mov_b32_e32 v0, 0xffff
	s_waitcnt vmcnt(1)
	v_mov_b32_e32 v5, v83
	s_mov_b32 s20, exec_lo
	v_and_b32_sdwa v0, v0, v2 dst_sel:DWORD dst_unused:UNUSED_PAD src0_sel:DWORD src1_sel:BYTE_1
	v_and_b32_e32 v4, 0x7f, v0
	s_waitcnt vmcnt(0)
	v_mov_b32_e32 v1, v6
	buffer_store_dword v0, off, s[0:3], s32 offset:192 ; 4-byte Folded Spill
	buffer_store_dword v1, off, s[0:3], s32 offset:196 ; 4-byte Folded Spill
	;; [unrolled: 1-line block ×4, first 2 shown]
	v_cmpx_ne_u32_e32 0x7f, v4
	s_cbranch_execz .LBB200_359
; %bb.356:                              ;   in Loop: Header=BB200_9 Depth=1
	v_and_b32_e32 v82, 7, v0
	v_lshrrev_b32_e32 v3, 3, v4
	s_mov_b32 s21, exec_lo
	v_cmpx_gt_u32_e32 8, v4
; %bb.357:                              ;   in Loop: Header=BB200_9 Depth=1
	v_ffbh_u32_e32 v3, v82
	v_min_u32_e32 v3, 32, v3
	v_subrev_nc_u32_e32 v4, 28, v3
	v_sub_nc_u32_e32 v3, 29, v3
	v_lshlrev_b64 v[4:5], v4, v[82:83]
	v_and_b32_e32 v82, 7, v4
; %bb.358:                              ;   in Loop: Header=BB200_9 Depth=1
	s_or_b32 exec_lo, exec_lo, s21
	v_lshlrev_b32_e32 v2, 16, v2
	v_lshlrev_b32_e32 v0, 20, v82
	v_lshl_add_u32 v3, v3, 23, 0x3c000000
	v_and_b32_e32 v2, 0x80000000, v2
	v_or3_b32 v1, v0, v2, v3
	v_mov_b32_e32 v0, v83
	buffer_store_dword v0, off, s[0:3], s32 offset:552 ; 4-byte Folded Spill
	buffer_store_dword v1, off, s[0:3], s32 offset:556 ; 4-byte Folded Spill
.LBB200_359:                            ;   in Loop: Header=BB200_9 Depth=1
	s_or_b32 exec_lo, exec_lo, s20
.LBB200_360:                            ;   in Loop: Header=BB200_9 Depth=1
	s_or_b32 exec_lo, exec_lo, s19
.LBB200_361:                            ;   in Loop: Header=BB200_9 Depth=1
	s_or_b32 exec_lo, exec_lo, s17
	flat_load_ushort v0, v[26:27] offset:1288
	s_waitcnt vmcnt(0) lgkmcnt(0)
	v_and_b32_e32 v2, 0xffff, v0
	v_cmp_ne_u16_sdwa s6, v0, v83 src0_sel:BYTE_0 src1_sel:DWORD
	v_mov_b32_e32 v0, 0
	v_mov_b32_e32 v1, 0
	buffer_store_dword v0, off, s[0:3], s32 offset:568 ; 4-byte Folded Spill
	buffer_store_dword v1, off, s[0:3], s32 offset:572 ; 4-byte Folded Spill
	v_mov_b32_e32 v0, 0
	v_mov_b32_e32 v1, 0
	buffer_store_dword v0, off, s[0:3], s32 offset:560 ; 4-byte Folded Spill
	buffer_store_dword v1, off, s[0:3], s32 offset:564 ; 4-byte Folded Spill
	s_and_saveexec_b32 s17, s6
	s_cbranch_execz .LBB200_369
; %bb.362:                              ;   in Loop: Header=BB200_9 Depth=1
	v_bfrev_b32_e32 v0, 1
	v_mov_b32_e32 v1, 0
	buffer_store_dword v0, off, s[0:3], s32 offset:560 ; 4-byte Folded Spill
	buffer_store_dword v1, off, s[0:3], s32 offset:564 ; 4-byte Folded Spill
	v_mov_b32_e32 v0, 0x80
	v_cmp_ne_u16_sdwa s6, v2, v0 src0_sel:BYTE_0 src1_sel:DWORD
	s_and_saveexec_b32 s19, s6
	s_cbranch_execz .LBB200_368
; %bb.363:                              ;   in Loop: Header=BB200_9 Depth=1
	v_mov_b32_e32 v0, 0x7f800001
	v_and_b32_e32 v4, 0x7f, v2
	v_mov_b32_e32 v1, 0
	s_mov_b32 s20, exec_lo
	buffer_store_dword v0, off, s[0:3], s32 offset:560 ; 4-byte Folded Spill
	buffer_store_dword v1, off, s[0:3], s32 offset:564 ; 4-byte Folded Spill
	v_cmpx_ne_u32_e32 0x7f, v4
	s_cbranch_execz .LBB200_367
; %bb.364:                              ;   in Loop: Header=BB200_9 Depth=1
	v_and_b32_e32 v82, 7, v2
	v_lshrrev_b32_e32 v3, 3, v4
	s_mov_b32 s21, exec_lo
	v_cmpx_gt_u32_e32 8, v4
; %bb.365:                              ;   in Loop: Header=BB200_9 Depth=1
	v_ffbh_u32_e32 v3, v82
	v_min_u32_e32 v3, 32, v3
	v_subrev_nc_u32_e32 v4, 28, v3
	v_sub_nc_u32_e32 v3, 29, v3
	v_lshlrev_b64 v[4:5], v4, v[82:83]
	v_and_b32_e32 v82, 7, v4
; %bb.366:                              ;   in Loop: Header=BB200_9 Depth=1
	s_or_b32 exec_lo, exec_lo, s21
	v_lshlrev_b32_e32 v4, 24, v2
	v_lshlrev_b32_e32 v0, 20, v82
	v_lshl_add_u32 v3, v3, 23, 0x3c000000
	v_and_b32_e32 v4, 0x80000000, v4
	v_or3_b32 v82, v0, v4, v3
	buffer_store_dword v82, off, s[0:3], s32 offset:560 ; 4-byte Folded Spill
	buffer_store_dword v83, off, s[0:3], s32 offset:564 ; 4-byte Folded Spill
.LBB200_367:                            ;   in Loop: Header=BB200_9 Depth=1
	s_or_b32 exec_lo, exec_lo, s20
.LBB200_368:                            ;   in Loop: Header=BB200_9 Depth=1
	s_or_b32 exec_lo, exec_lo, s19
.LBB200_369:                            ;   in Loop: Header=BB200_9 Depth=1
	s_or_b32 exec_lo, exec_lo, s17
	v_cmp_ne_u16_sdwa s6, v2, v83 src0_sel:BYTE_1 src1_sel:DWORD
	s_and_saveexec_b32 s17, s6
	s_cbranch_execz .LBB200_377
; %bb.370:                              ;   in Loop: Header=BB200_9 Depth=1
	v_mov_b32_e32 v0, 0x80
	v_mov_b32_e32 v50, v83
	buffer_store_dword v50, off, s[0:3], s32 offset:568 ; 4-byte Folded Spill
	buffer_store_dword v51, off, s[0:3], s32 offset:572 ; 4-byte Folded Spill
	v_cmp_ne_u16_sdwa s6, v2, v0 src0_sel:BYTE_1 src1_sel:DWORD
	s_and_saveexec_b32 s19, s6
	s_cbranch_execz .LBB200_376
; %bb.371:                              ;   in Loop: Header=BB200_9 Depth=1
	s_clause 0x1
	buffer_load_dword v5, off, s[0:3], s32 offset:192
	buffer_load_dword v6, off, s[0:3], s32 offset:196
	v_mov_b32_e32 v0, 0xffff
	s_waitcnt vmcnt(1)
	v_mov_b32_e32 v5, v83
	s_mov_b32 s20, exec_lo
	v_and_b32_sdwa v0, v0, v2 dst_sel:DWORD dst_unused:UNUSED_PAD src0_sel:DWORD src1_sel:BYTE_1
	v_and_b32_e32 v4, 0x7f, v0
	s_waitcnt vmcnt(0)
	v_mov_b32_e32 v1, v6
	buffer_store_dword v0, off, s[0:3], s32 offset:192 ; 4-byte Folded Spill
	buffer_store_dword v1, off, s[0:3], s32 offset:196 ; 4-byte Folded Spill
	;; [unrolled: 1-line block ×4, first 2 shown]
	v_cmpx_ne_u32_e32 0x7f, v4
	s_cbranch_execz .LBB200_375
; %bb.372:                              ;   in Loop: Header=BB200_9 Depth=1
	v_and_b32_e32 v82, 7, v0
	v_lshrrev_b32_e32 v3, 3, v4
	s_mov_b32 s21, exec_lo
	v_cmpx_gt_u32_e32 8, v4
; %bb.373:                              ;   in Loop: Header=BB200_9 Depth=1
	v_ffbh_u32_e32 v3, v82
	v_min_u32_e32 v3, 32, v3
	v_subrev_nc_u32_e32 v4, 28, v3
	v_sub_nc_u32_e32 v3, 29, v3
	v_lshlrev_b64 v[4:5], v4, v[82:83]
	v_and_b32_e32 v82, 7, v4
; %bb.374:                              ;   in Loop: Header=BB200_9 Depth=1
	s_or_b32 exec_lo, exec_lo, s21
	v_lshlrev_b32_e32 v2, 16, v2
	v_lshlrev_b32_e32 v0, 20, v82
	v_lshl_add_u32 v3, v3, 23, 0x3c000000
	v_and_b32_e32 v2, 0x80000000, v2
	v_or3_b32 v1, v0, v2, v3
	v_mov_b32_e32 v0, v83
	buffer_store_dword v0, off, s[0:3], s32 offset:568 ; 4-byte Folded Spill
	buffer_store_dword v1, off, s[0:3], s32 offset:572 ; 4-byte Folded Spill
.LBB200_375:                            ;   in Loop: Header=BB200_9 Depth=1
	s_or_b32 exec_lo, exec_lo, s20
.LBB200_376:                            ;   in Loop: Header=BB200_9 Depth=1
	s_or_b32 exec_lo, exec_lo, s19
.LBB200_377:                            ;   in Loop: Header=BB200_9 Depth=1
	s_or_b32 exec_lo, exec_lo, s17
	flat_load_ushort v0, v[26:27] offset:1292
	s_waitcnt vmcnt(0) lgkmcnt(0)
	v_and_b32_e32 v2, 0xffff, v0
	v_cmp_ne_u16_sdwa s6, v0, v83 src0_sel:BYTE_0 src1_sel:DWORD
	v_mov_b32_e32 v0, 0
	v_mov_b32_e32 v1, 0
	buffer_store_dword v0, off, s[0:3], s32 offset:584 ; 4-byte Folded Spill
	buffer_store_dword v1, off, s[0:3], s32 offset:588 ; 4-byte Folded Spill
	v_mov_b32_e32 v0, 0
	v_mov_b32_e32 v1, 0
	buffer_store_dword v0, off, s[0:3], s32 offset:576 ; 4-byte Folded Spill
	buffer_store_dword v1, off, s[0:3], s32 offset:580 ; 4-byte Folded Spill
	s_and_saveexec_b32 s17, s6
	s_cbranch_execz .LBB200_385
; %bb.378:                              ;   in Loop: Header=BB200_9 Depth=1
	v_bfrev_b32_e32 v0, 1
	v_mov_b32_e32 v1, 0
	buffer_store_dword v0, off, s[0:3], s32 offset:576 ; 4-byte Folded Spill
	buffer_store_dword v1, off, s[0:3], s32 offset:580 ; 4-byte Folded Spill
	v_mov_b32_e32 v0, 0x80
	v_cmp_ne_u16_sdwa s6, v2, v0 src0_sel:BYTE_0 src1_sel:DWORD
	s_and_saveexec_b32 s19, s6
	s_cbranch_execz .LBB200_384
; %bb.379:                              ;   in Loop: Header=BB200_9 Depth=1
	v_mov_b32_e32 v0, 0x7f800001
	v_and_b32_e32 v4, 0x7f, v2
	v_mov_b32_e32 v1, 0
	s_mov_b32 s20, exec_lo
	buffer_store_dword v0, off, s[0:3], s32 offset:576 ; 4-byte Folded Spill
	buffer_store_dword v1, off, s[0:3], s32 offset:580 ; 4-byte Folded Spill
	v_cmpx_ne_u32_e32 0x7f, v4
	s_cbranch_execz .LBB200_383
; %bb.380:                              ;   in Loop: Header=BB200_9 Depth=1
	v_and_b32_e32 v82, 7, v2
	v_lshrrev_b32_e32 v3, 3, v4
	s_mov_b32 s21, exec_lo
	v_cmpx_gt_u32_e32 8, v4
; %bb.381:                              ;   in Loop: Header=BB200_9 Depth=1
	v_ffbh_u32_e32 v3, v82
	v_min_u32_e32 v3, 32, v3
	v_subrev_nc_u32_e32 v4, 28, v3
	v_sub_nc_u32_e32 v3, 29, v3
	v_lshlrev_b64 v[4:5], v4, v[82:83]
	v_and_b32_e32 v82, 7, v4
; %bb.382:                              ;   in Loop: Header=BB200_9 Depth=1
	s_or_b32 exec_lo, exec_lo, s21
	v_lshlrev_b32_e32 v4, 24, v2
	v_lshlrev_b32_e32 v0, 20, v82
	v_lshl_add_u32 v3, v3, 23, 0x3c000000
	v_and_b32_e32 v4, 0x80000000, v4
	v_or3_b32 v82, v0, v4, v3
	buffer_store_dword v82, off, s[0:3], s32 offset:576 ; 4-byte Folded Spill
	buffer_store_dword v83, off, s[0:3], s32 offset:580 ; 4-byte Folded Spill
.LBB200_383:                            ;   in Loop: Header=BB200_9 Depth=1
	s_or_b32 exec_lo, exec_lo, s20
.LBB200_384:                            ;   in Loop: Header=BB200_9 Depth=1
	s_or_b32 exec_lo, exec_lo, s19
.LBB200_385:                            ;   in Loop: Header=BB200_9 Depth=1
	s_or_b32 exec_lo, exec_lo, s17
	v_cmp_ne_u16_sdwa s6, v2, v83 src0_sel:BYTE_1 src1_sel:DWORD
	s_and_saveexec_b32 s17, s6
	s_cbranch_execz .LBB200_393
; %bb.386:                              ;   in Loop: Header=BB200_9 Depth=1
	v_mov_b32_e32 v0, 0x80
	v_mov_b32_e32 v50, v83
	buffer_store_dword v50, off, s[0:3], s32 offset:584 ; 4-byte Folded Spill
	buffer_store_dword v51, off, s[0:3], s32 offset:588 ; 4-byte Folded Spill
	v_cmp_ne_u16_sdwa s6, v2, v0 src0_sel:BYTE_1 src1_sel:DWORD
	s_and_saveexec_b32 s19, s6
	s_cbranch_execz .LBB200_392
; %bb.387:                              ;   in Loop: Header=BB200_9 Depth=1
	s_clause 0x1
	buffer_load_dword v5, off, s[0:3], s32 offset:192
	buffer_load_dword v6, off, s[0:3], s32 offset:196
	v_mov_b32_e32 v0, 0xffff
	s_waitcnt vmcnt(1)
	v_mov_b32_e32 v5, v83
	s_mov_b32 s20, exec_lo
	v_and_b32_sdwa v0, v0, v2 dst_sel:DWORD dst_unused:UNUSED_PAD src0_sel:DWORD src1_sel:BYTE_1
	v_and_b32_e32 v4, 0x7f, v0
	s_waitcnt vmcnt(0)
	v_mov_b32_e32 v1, v6
	buffer_store_dword v0, off, s[0:3], s32 offset:192 ; 4-byte Folded Spill
	buffer_store_dword v1, off, s[0:3], s32 offset:196 ; 4-byte Folded Spill
	;; [unrolled: 1-line block ×4, first 2 shown]
	v_cmpx_ne_u32_e32 0x7f, v4
	s_cbranch_execz .LBB200_391
; %bb.388:                              ;   in Loop: Header=BB200_9 Depth=1
	v_and_b32_e32 v82, 7, v0
	v_lshrrev_b32_e32 v3, 3, v4
	s_mov_b32 s21, exec_lo
	v_cmpx_gt_u32_e32 8, v4
; %bb.389:                              ;   in Loop: Header=BB200_9 Depth=1
	v_ffbh_u32_e32 v3, v82
	v_min_u32_e32 v3, 32, v3
	v_subrev_nc_u32_e32 v4, 28, v3
	v_sub_nc_u32_e32 v3, 29, v3
	v_lshlrev_b64 v[4:5], v4, v[82:83]
	v_and_b32_e32 v82, 7, v4
; %bb.390:                              ;   in Loop: Header=BB200_9 Depth=1
	s_or_b32 exec_lo, exec_lo, s21
	v_lshlrev_b32_e32 v2, 16, v2
	v_lshlrev_b32_e32 v0, 20, v82
	v_lshl_add_u32 v3, v3, 23, 0x3c000000
	v_and_b32_e32 v2, 0x80000000, v2
	v_or3_b32 v1, v0, v2, v3
	v_mov_b32_e32 v0, v83
	buffer_store_dword v0, off, s[0:3], s32 offset:584 ; 4-byte Folded Spill
	buffer_store_dword v1, off, s[0:3], s32 offset:588 ; 4-byte Folded Spill
.LBB200_391:                            ;   in Loop: Header=BB200_9 Depth=1
	s_or_b32 exec_lo, exec_lo, s20
.LBB200_392:                            ;   in Loop: Header=BB200_9 Depth=1
	s_or_b32 exec_lo, exec_lo, s19
.LBB200_393:                            ;   in Loop: Header=BB200_9 Depth=1
	s_or_b32 exec_lo, exec_lo, s17
	flat_load_ushort v0, v[26:27] offset:1536
	s_waitcnt vmcnt(0) lgkmcnt(0)
	v_and_b32_e32 v2, 0xffff, v0
	v_cmp_ne_u16_sdwa s6, v0, v83 src0_sel:BYTE_0 src1_sel:DWORD
	v_mov_b32_e32 v0, 0
	v_mov_b32_e32 v1, 0
	buffer_store_dword v0, off, s[0:3], s32 offset:600 ; 4-byte Folded Spill
	buffer_store_dword v1, off, s[0:3], s32 offset:604 ; 4-byte Folded Spill
	v_mov_b32_e32 v0, 0
	v_mov_b32_e32 v1, 0
	buffer_store_dword v0, off, s[0:3], s32 offset:592 ; 4-byte Folded Spill
	buffer_store_dword v1, off, s[0:3], s32 offset:596 ; 4-byte Folded Spill
	s_and_saveexec_b32 s17, s6
	s_cbranch_execz .LBB200_401
; %bb.394:                              ;   in Loop: Header=BB200_9 Depth=1
	v_bfrev_b32_e32 v0, 1
	v_mov_b32_e32 v1, 0
	buffer_store_dword v0, off, s[0:3], s32 offset:592 ; 4-byte Folded Spill
	buffer_store_dword v1, off, s[0:3], s32 offset:596 ; 4-byte Folded Spill
	v_mov_b32_e32 v0, 0x80
	v_cmp_ne_u16_sdwa s6, v2, v0 src0_sel:BYTE_0 src1_sel:DWORD
	s_and_saveexec_b32 s19, s6
	s_cbranch_execz .LBB200_400
; %bb.395:                              ;   in Loop: Header=BB200_9 Depth=1
	v_mov_b32_e32 v0, 0x7f800001
	v_and_b32_e32 v4, 0x7f, v2
	v_mov_b32_e32 v1, 0
	s_mov_b32 s20, exec_lo
	buffer_store_dword v0, off, s[0:3], s32 offset:592 ; 4-byte Folded Spill
	buffer_store_dword v1, off, s[0:3], s32 offset:596 ; 4-byte Folded Spill
	v_cmpx_ne_u32_e32 0x7f, v4
	s_cbranch_execz .LBB200_399
; %bb.396:                              ;   in Loop: Header=BB200_9 Depth=1
	v_and_b32_e32 v82, 7, v2
	v_lshrrev_b32_e32 v3, 3, v4
	s_mov_b32 s21, exec_lo
	v_cmpx_gt_u32_e32 8, v4
; %bb.397:                              ;   in Loop: Header=BB200_9 Depth=1
	v_ffbh_u32_e32 v3, v82
	v_min_u32_e32 v3, 32, v3
	v_subrev_nc_u32_e32 v4, 28, v3
	v_sub_nc_u32_e32 v3, 29, v3
	v_lshlrev_b64 v[4:5], v4, v[82:83]
	v_and_b32_e32 v82, 7, v4
; %bb.398:                              ;   in Loop: Header=BB200_9 Depth=1
	s_or_b32 exec_lo, exec_lo, s21
	v_lshlrev_b32_e32 v4, 24, v2
	v_lshlrev_b32_e32 v0, 20, v82
	v_lshl_add_u32 v3, v3, 23, 0x3c000000
	v_and_b32_e32 v4, 0x80000000, v4
	v_or3_b32 v82, v0, v4, v3
	buffer_store_dword v82, off, s[0:3], s32 offset:592 ; 4-byte Folded Spill
	buffer_store_dword v83, off, s[0:3], s32 offset:596 ; 4-byte Folded Spill
.LBB200_399:                            ;   in Loop: Header=BB200_9 Depth=1
	s_or_b32 exec_lo, exec_lo, s20
.LBB200_400:                            ;   in Loop: Header=BB200_9 Depth=1
	s_or_b32 exec_lo, exec_lo, s19
.LBB200_401:                            ;   in Loop: Header=BB200_9 Depth=1
	s_or_b32 exec_lo, exec_lo, s17
	v_cmp_ne_u16_sdwa s6, v2, v83 src0_sel:BYTE_1 src1_sel:DWORD
	s_and_saveexec_b32 s17, s6
	s_cbranch_execz .LBB200_409
; %bb.402:                              ;   in Loop: Header=BB200_9 Depth=1
	v_mov_b32_e32 v0, 0x80
	v_mov_b32_e32 v50, v83
	buffer_store_dword v50, off, s[0:3], s32 offset:600 ; 4-byte Folded Spill
	buffer_store_dword v51, off, s[0:3], s32 offset:604 ; 4-byte Folded Spill
	v_cmp_ne_u16_sdwa s6, v2, v0 src0_sel:BYTE_1 src1_sel:DWORD
	s_and_saveexec_b32 s19, s6
	s_cbranch_execz .LBB200_408
; %bb.403:                              ;   in Loop: Header=BB200_9 Depth=1
	s_clause 0x1
	buffer_load_dword v5, off, s[0:3], s32 offset:192
	buffer_load_dword v6, off, s[0:3], s32 offset:196
	v_mov_b32_e32 v0, 0xffff
	s_waitcnt vmcnt(1)
	v_mov_b32_e32 v5, v83
	s_mov_b32 s20, exec_lo
	v_and_b32_sdwa v0, v0, v2 dst_sel:DWORD dst_unused:UNUSED_PAD src0_sel:DWORD src1_sel:BYTE_1
	v_and_b32_e32 v4, 0x7f, v0
	s_waitcnt vmcnt(0)
	v_mov_b32_e32 v1, v6
	buffer_store_dword v0, off, s[0:3], s32 offset:192 ; 4-byte Folded Spill
	buffer_store_dword v1, off, s[0:3], s32 offset:196 ; 4-byte Folded Spill
	buffer_store_dword v5, off, s[0:3], s32 offset:600 ; 4-byte Folded Spill
	buffer_store_dword v6, off, s[0:3], s32 offset:604 ; 4-byte Folded Spill
	v_cmpx_ne_u32_e32 0x7f, v4
	s_cbranch_execz .LBB200_407
; %bb.404:                              ;   in Loop: Header=BB200_9 Depth=1
	v_and_b32_e32 v82, 7, v0
	v_lshrrev_b32_e32 v3, 3, v4
	s_mov_b32 s21, exec_lo
	v_cmpx_gt_u32_e32 8, v4
; %bb.405:                              ;   in Loop: Header=BB200_9 Depth=1
	v_ffbh_u32_e32 v3, v82
	v_min_u32_e32 v3, 32, v3
	v_subrev_nc_u32_e32 v4, 28, v3
	v_sub_nc_u32_e32 v3, 29, v3
	v_lshlrev_b64 v[4:5], v4, v[82:83]
	v_and_b32_e32 v82, 7, v4
; %bb.406:                              ;   in Loop: Header=BB200_9 Depth=1
	s_or_b32 exec_lo, exec_lo, s21
	v_lshlrev_b32_e32 v2, 16, v2
	v_lshlrev_b32_e32 v0, 20, v82
	v_lshl_add_u32 v3, v3, 23, 0x3c000000
	v_and_b32_e32 v2, 0x80000000, v2
	v_or3_b32 v1, v0, v2, v3
	v_mov_b32_e32 v0, v83
	buffer_store_dword v0, off, s[0:3], s32 offset:600 ; 4-byte Folded Spill
	buffer_store_dword v1, off, s[0:3], s32 offset:604 ; 4-byte Folded Spill
.LBB200_407:                            ;   in Loop: Header=BB200_9 Depth=1
	s_or_b32 exec_lo, exec_lo, s20
.LBB200_408:                            ;   in Loop: Header=BB200_9 Depth=1
	s_or_b32 exec_lo, exec_lo, s19
.LBB200_409:                            ;   in Loop: Header=BB200_9 Depth=1
	s_or_b32 exec_lo, exec_lo, s17
	flat_load_ushort v0, v[26:27] offset:1540
	s_waitcnt vmcnt(0) lgkmcnt(0)
	v_and_b32_e32 v2, 0xffff, v0
	v_cmp_ne_u16_sdwa s6, v0, v83 src0_sel:BYTE_0 src1_sel:DWORD
	v_mov_b32_e32 v0, 0
	v_mov_b32_e32 v1, 0
	buffer_store_dword v0, off, s[0:3], s32 offset:616 ; 4-byte Folded Spill
	buffer_store_dword v1, off, s[0:3], s32 offset:620 ; 4-byte Folded Spill
	v_mov_b32_e32 v0, 0
	v_mov_b32_e32 v1, 0
	buffer_store_dword v0, off, s[0:3], s32 offset:608 ; 4-byte Folded Spill
	buffer_store_dword v1, off, s[0:3], s32 offset:612 ; 4-byte Folded Spill
	s_and_saveexec_b32 s17, s6
	s_cbranch_execz .LBB200_417
; %bb.410:                              ;   in Loop: Header=BB200_9 Depth=1
	v_bfrev_b32_e32 v0, 1
	v_mov_b32_e32 v1, 0
	buffer_store_dword v0, off, s[0:3], s32 offset:608 ; 4-byte Folded Spill
	buffer_store_dword v1, off, s[0:3], s32 offset:612 ; 4-byte Folded Spill
	v_mov_b32_e32 v0, 0x80
	v_cmp_ne_u16_sdwa s6, v2, v0 src0_sel:BYTE_0 src1_sel:DWORD
	s_and_saveexec_b32 s19, s6
	s_cbranch_execz .LBB200_416
; %bb.411:                              ;   in Loop: Header=BB200_9 Depth=1
	v_mov_b32_e32 v0, 0x7f800001
	v_and_b32_e32 v4, 0x7f, v2
	v_mov_b32_e32 v1, 0
	s_mov_b32 s20, exec_lo
	buffer_store_dword v0, off, s[0:3], s32 offset:608 ; 4-byte Folded Spill
	buffer_store_dword v1, off, s[0:3], s32 offset:612 ; 4-byte Folded Spill
	v_cmpx_ne_u32_e32 0x7f, v4
	s_cbranch_execz .LBB200_415
; %bb.412:                              ;   in Loop: Header=BB200_9 Depth=1
	v_and_b32_e32 v82, 7, v2
	v_lshrrev_b32_e32 v3, 3, v4
	s_mov_b32 s21, exec_lo
	v_cmpx_gt_u32_e32 8, v4
; %bb.413:                              ;   in Loop: Header=BB200_9 Depth=1
	v_ffbh_u32_e32 v3, v82
	v_min_u32_e32 v3, 32, v3
	v_subrev_nc_u32_e32 v4, 28, v3
	v_sub_nc_u32_e32 v3, 29, v3
	v_lshlrev_b64 v[4:5], v4, v[82:83]
	v_and_b32_e32 v82, 7, v4
; %bb.414:                              ;   in Loop: Header=BB200_9 Depth=1
	s_or_b32 exec_lo, exec_lo, s21
	v_lshlrev_b32_e32 v4, 24, v2
	v_lshlrev_b32_e32 v0, 20, v82
	v_lshl_add_u32 v3, v3, 23, 0x3c000000
	v_and_b32_e32 v4, 0x80000000, v4
	v_or3_b32 v82, v0, v4, v3
	buffer_store_dword v82, off, s[0:3], s32 offset:608 ; 4-byte Folded Spill
	buffer_store_dword v83, off, s[0:3], s32 offset:612 ; 4-byte Folded Spill
.LBB200_415:                            ;   in Loop: Header=BB200_9 Depth=1
	s_or_b32 exec_lo, exec_lo, s20
.LBB200_416:                            ;   in Loop: Header=BB200_9 Depth=1
	s_or_b32 exec_lo, exec_lo, s19
.LBB200_417:                            ;   in Loop: Header=BB200_9 Depth=1
	s_or_b32 exec_lo, exec_lo, s17
	v_cmp_ne_u16_sdwa s6, v2, v83 src0_sel:BYTE_1 src1_sel:DWORD
	s_and_saveexec_b32 s17, s6
	s_cbranch_execz .LBB200_425
; %bb.418:                              ;   in Loop: Header=BB200_9 Depth=1
	v_mov_b32_e32 v0, 0x80
	v_mov_b32_e32 v50, v83
	buffer_store_dword v50, off, s[0:3], s32 offset:616 ; 4-byte Folded Spill
	buffer_store_dword v51, off, s[0:3], s32 offset:620 ; 4-byte Folded Spill
	v_cmp_ne_u16_sdwa s6, v2, v0 src0_sel:BYTE_1 src1_sel:DWORD
	s_and_saveexec_b32 s19, s6
	s_cbranch_execz .LBB200_424
; %bb.419:                              ;   in Loop: Header=BB200_9 Depth=1
	s_clause 0x1
	buffer_load_dword v5, off, s[0:3], s32 offset:192
	buffer_load_dword v6, off, s[0:3], s32 offset:196
	v_mov_b32_e32 v0, 0xffff
	s_waitcnt vmcnt(1)
	v_mov_b32_e32 v5, v83
	s_mov_b32 s20, exec_lo
	v_and_b32_sdwa v0, v0, v2 dst_sel:DWORD dst_unused:UNUSED_PAD src0_sel:DWORD src1_sel:BYTE_1
	v_and_b32_e32 v4, 0x7f, v0
	s_waitcnt vmcnt(0)
	v_mov_b32_e32 v1, v6
	buffer_store_dword v0, off, s[0:3], s32 offset:192 ; 4-byte Folded Spill
	buffer_store_dword v1, off, s[0:3], s32 offset:196 ; 4-byte Folded Spill
	;; [unrolled: 1-line block ×4, first 2 shown]
	v_cmpx_ne_u32_e32 0x7f, v4
	s_cbranch_execz .LBB200_423
; %bb.420:                              ;   in Loop: Header=BB200_9 Depth=1
	v_and_b32_e32 v82, 7, v0
	v_lshrrev_b32_e32 v3, 3, v4
	s_mov_b32 s21, exec_lo
	v_cmpx_gt_u32_e32 8, v4
; %bb.421:                              ;   in Loop: Header=BB200_9 Depth=1
	v_ffbh_u32_e32 v3, v82
	v_min_u32_e32 v3, 32, v3
	v_subrev_nc_u32_e32 v4, 28, v3
	v_sub_nc_u32_e32 v3, 29, v3
	v_lshlrev_b64 v[4:5], v4, v[82:83]
	v_and_b32_e32 v82, 7, v4
; %bb.422:                              ;   in Loop: Header=BB200_9 Depth=1
	s_or_b32 exec_lo, exec_lo, s21
	v_lshlrev_b32_e32 v2, 16, v2
	v_lshlrev_b32_e32 v0, 20, v82
	v_lshl_add_u32 v3, v3, 23, 0x3c000000
	v_and_b32_e32 v2, 0x80000000, v2
	v_or3_b32 v1, v0, v2, v3
	v_mov_b32_e32 v0, v83
	buffer_store_dword v0, off, s[0:3], s32 offset:616 ; 4-byte Folded Spill
	buffer_store_dword v1, off, s[0:3], s32 offset:620 ; 4-byte Folded Spill
.LBB200_423:                            ;   in Loop: Header=BB200_9 Depth=1
	s_or_b32 exec_lo, exec_lo, s20
.LBB200_424:                            ;   in Loop: Header=BB200_9 Depth=1
	s_or_b32 exec_lo, exec_lo, s19
.LBB200_425:                            ;   in Loop: Header=BB200_9 Depth=1
	s_or_b32 exec_lo, exec_lo, s17
	flat_load_ushort v0, v[26:27] offset:1544
	s_waitcnt vmcnt(0) lgkmcnt(0)
	v_and_b32_e32 v2, 0xffff, v0
	v_cmp_ne_u16_sdwa s6, v0, v83 src0_sel:BYTE_0 src1_sel:DWORD
	v_mov_b32_e32 v0, 0
	v_mov_b32_e32 v1, 0
	buffer_store_dword v0, off, s[0:3], s32 offset:632 ; 4-byte Folded Spill
	buffer_store_dword v1, off, s[0:3], s32 offset:636 ; 4-byte Folded Spill
	v_mov_b32_e32 v0, 0
	v_mov_b32_e32 v1, 0
	buffer_store_dword v0, off, s[0:3], s32 offset:624 ; 4-byte Folded Spill
	buffer_store_dword v1, off, s[0:3], s32 offset:628 ; 4-byte Folded Spill
	s_and_saveexec_b32 s17, s6
	s_cbranch_execz .LBB200_433
; %bb.426:                              ;   in Loop: Header=BB200_9 Depth=1
	v_bfrev_b32_e32 v0, 1
	v_mov_b32_e32 v1, 0
	buffer_store_dword v0, off, s[0:3], s32 offset:624 ; 4-byte Folded Spill
	buffer_store_dword v1, off, s[0:3], s32 offset:628 ; 4-byte Folded Spill
	v_mov_b32_e32 v0, 0x80
	v_cmp_ne_u16_sdwa s6, v2, v0 src0_sel:BYTE_0 src1_sel:DWORD
	s_and_saveexec_b32 s19, s6
	s_cbranch_execz .LBB200_432
; %bb.427:                              ;   in Loop: Header=BB200_9 Depth=1
	v_mov_b32_e32 v0, 0x7f800001
	v_and_b32_e32 v4, 0x7f, v2
	v_mov_b32_e32 v1, 0
	s_mov_b32 s20, exec_lo
	buffer_store_dword v0, off, s[0:3], s32 offset:624 ; 4-byte Folded Spill
	buffer_store_dword v1, off, s[0:3], s32 offset:628 ; 4-byte Folded Spill
	v_cmpx_ne_u32_e32 0x7f, v4
	s_cbranch_execz .LBB200_431
; %bb.428:                              ;   in Loop: Header=BB200_9 Depth=1
	v_and_b32_e32 v82, 7, v2
	v_lshrrev_b32_e32 v3, 3, v4
	s_mov_b32 s21, exec_lo
	v_cmpx_gt_u32_e32 8, v4
; %bb.429:                              ;   in Loop: Header=BB200_9 Depth=1
	v_ffbh_u32_e32 v3, v82
	v_min_u32_e32 v3, 32, v3
	v_subrev_nc_u32_e32 v4, 28, v3
	v_sub_nc_u32_e32 v3, 29, v3
	v_lshlrev_b64 v[4:5], v4, v[82:83]
	v_and_b32_e32 v82, 7, v4
; %bb.430:                              ;   in Loop: Header=BB200_9 Depth=1
	s_or_b32 exec_lo, exec_lo, s21
	v_lshlrev_b32_e32 v4, 24, v2
	v_lshlrev_b32_e32 v0, 20, v82
	v_lshl_add_u32 v3, v3, 23, 0x3c000000
	v_and_b32_e32 v4, 0x80000000, v4
	v_or3_b32 v82, v0, v4, v3
	buffer_store_dword v82, off, s[0:3], s32 offset:624 ; 4-byte Folded Spill
	buffer_store_dword v83, off, s[0:3], s32 offset:628 ; 4-byte Folded Spill
.LBB200_431:                            ;   in Loop: Header=BB200_9 Depth=1
	s_or_b32 exec_lo, exec_lo, s20
.LBB200_432:                            ;   in Loop: Header=BB200_9 Depth=1
	s_or_b32 exec_lo, exec_lo, s19
.LBB200_433:                            ;   in Loop: Header=BB200_9 Depth=1
	s_or_b32 exec_lo, exec_lo, s17
	v_cmp_ne_u16_sdwa s6, v2, v83 src0_sel:BYTE_1 src1_sel:DWORD
	s_and_saveexec_b32 s17, s6
	s_cbranch_execz .LBB200_441
; %bb.434:                              ;   in Loop: Header=BB200_9 Depth=1
	v_mov_b32_e32 v0, 0x80
	v_mov_b32_e32 v50, v83
	buffer_store_dword v50, off, s[0:3], s32 offset:632 ; 4-byte Folded Spill
	buffer_store_dword v51, off, s[0:3], s32 offset:636 ; 4-byte Folded Spill
	v_cmp_ne_u16_sdwa s6, v2, v0 src0_sel:BYTE_1 src1_sel:DWORD
	s_and_saveexec_b32 s19, s6
	s_cbranch_execz .LBB200_440
; %bb.435:                              ;   in Loop: Header=BB200_9 Depth=1
	s_clause 0x1
	buffer_load_dword v5, off, s[0:3], s32 offset:192
	buffer_load_dword v6, off, s[0:3], s32 offset:196
	v_mov_b32_e32 v0, 0xffff
	s_waitcnt vmcnt(1)
	v_mov_b32_e32 v5, v83
	s_mov_b32 s20, exec_lo
	v_and_b32_sdwa v0, v0, v2 dst_sel:DWORD dst_unused:UNUSED_PAD src0_sel:DWORD src1_sel:BYTE_1
	v_and_b32_e32 v4, 0x7f, v0
	s_waitcnt vmcnt(0)
	v_mov_b32_e32 v1, v6
	buffer_store_dword v0, off, s[0:3], s32 offset:192 ; 4-byte Folded Spill
	buffer_store_dword v1, off, s[0:3], s32 offset:196 ; 4-byte Folded Spill
	;; [unrolled: 1-line block ×4, first 2 shown]
	v_cmpx_ne_u32_e32 0x7f, v4
	s_cbranch_execz .LBB200_439
; %bb.436:                              ;   in Loop: Header=BB200_9 Depth=1
	v_and_b32_e32 v82, 7, v0
	v_lshrrev_b32_e32 v3, 3, v4
	s_mov_b32 s21, exec_lo
	v_cmpx_gt_u32_e32 8, v4
; %bb.437:                              ;   in Loop: Header=BB200_9 Depth=1
	v_ffbh_u32_e32 v3, v82
	v_min_u32_e32 v3, 32, v3
	v_subrev_nc_u32_e32 v4, 28, v3
	v_sub_nc_u32_e32 v3, 29, v3
	v_lshlrev_b64 v[4:5], v4, v[82:83]
	v_and_b32_e32 v82, 7, v4
; %bb.438:                              ;   in Loop: Header=BB200_9 Depth=1
	s_or_b32 exec_lo, exec_lo, s21
	v_lshlrev_b32_e32 v2, 16, v2
	v_lshlrev_b32_e32 v0, 20, v82
	v_lshl_add_u32 v3, v3, 23, 0x3c000000
	v_and_b32_e32 v2, 0x80000000, v2
	v_or3_b32 v1, v0, v2, v3
	v_mov_b32_e32 v0, v83
	buffer_store_dword v0, off, s[0:3], s32 offset:632 ; 4-byte Folded Spill
	buffer_store_dword v1, off, s[0:3], s32 offset:636 ; 4-byte Folded Spill
.LBB200_439:                            ;   in Loop: Header=BB200_9 Depth=1
	s_or_b32 exec_lo, exec_lo, s20
.LBB200_440:                            ;   in Loop: Header=BB200_9 Depth=1
	s_or_b32 exec_lo, exec_lo, s19
.LBB200_441:                            ;   in Loop: Header=BB200_9 Depth=1
	s_or_b32 exec_lo, exec_lo, s17
	flat_load_ushort v0, v[26:27] offset:1548
	s_waitcnt vmcnt(0) lgkmcnt(0)
	v_and_b32_e32 v2, 0xffff, v0
	v_cmp_ne_u16_sdwa s6, v0, v83 src0_sel:BYTE_0 src1_sel:DWORD
	v_mov_b32_e32 v0, 0
	v_mov_b32_e32 v1, 0
	buffer_store_dword v0, off, s[0:3], s32 offset:648 ; 4-byte Folded Spill
	buffer_store_dword v1, off, s[0:3], s32 offset:652 ; 4-byte Folded Spill
	v_mov_b32_e32 v0, 0
	v_mov_b32_e32 v1, 0
	buffer_store_dword v0, off, s[0:3], s32 offset:640 ; 4-byte Folded Spill
	buffer_store_dword v1, off, s[0:3], s32 offset:644 ; 4-byte Folded Spill
	s_and_saveexec_b32 s17, s6
	s_cbranch_execz .LBB200_449
; %bb.442:                              ;   in Loop: Header=BB200_9 Depth=1
	v_bfrev_b32_e32 v0, 1
	v_mov_b32_e32 v1, 0
	buffer_store_dword v0, off, s[0:3], s32 offset:640 ; 4-byte Folded Spill
	buffer_store_dword v1, off, s[0:3], s32 offset:644 ; 4-byte Folded Spill
	v_mov_b32_e32 v0, 0x80
	v_cmp_ne_u16_sdwa s6, v2, v0 src0_sel:BYTE_0 src1_sel:DWORD
	s_and_saveexec_b32 s19, s6
	s_cbranch_execz .LBB200_448
; %bb.443:                              ;   in Loop: Header=BB200_9 Depth=1
	v_mov_b32_e32 v0, 0x7f800001
	v_and_b32_e32 v4, 0x7f, v2
	v_mov_b32_e32 v1, 0
	s_mov_b32 s20, exec_lo
	buffer_store_dword v0, off, s[0:3], s32 offset:640 ; 4-byte Folded Spill
	buffer_store_dword v1, off, s[0:3], s32 offset:644 ; 4-byte Folded Spill
	v_cmpx_ne_u32_e32 0x7f, v4
	s_cbranch_execz .LBB200_447
; %bb.444:                              ;   in Loop: Header=BB200_9 Depth=1
	v_and_b32_e32 v82, 7, v2
	v_lshrrev_b32_e32 v3, 3, v4
	s_mov_b32 s21, exec_lo
	v_cmpx_gt_u32_e32 8, v4
; %bb.445:                              ;   in Loop: Header=BB200_9 Depth=1
	v_ffbh_u32_e32 v3, v82
	v_min_u32_e32 v3, 32, v3
	v_subrev_nc_u32_e32 v4, 28, v3
	v_sub_nc_u32_e32 v3, 29, v3
	v_lshlrev_b64 v[4:5], v4, v[82:83]
	v_and_b32_e32 v82, 7, v4
; %bb.446:                              ;   in Loop: Header=BB200_9 Depth=1
	s_or_b32 exec_lo, exec_lo, s21
	v_lshlrev_b32_e32 v4, 24, v2
	v_lshlrev_b32_e32 v0, 20, v82
	v_lshl_add_u32 v3, v3, 23, 0x3c000000
	v_and_b32_e32 v4, 0x80000000, v4
	v_or3_b32 v82, v0, v4, v3
	buffer_store_dword v82, off, s[0:3], s32 offset:640 ; 4-byte Folded Spill
	buffer_store_dword v83, off, s[0:3], s32 offset:644 ; 4-byte Folded Spill
.LBB200_447:                            ;   in Loop: Header=BB200_9 Depth=1
	s_or_b32 exec_lo, exec_lo, s20
.LBB200_448:                            ;   in Loop: Header=BB200_9 Depth=1
	s_or_b32 exec_lo, exec_lo, s19
.LBB200_449:                            ;   in Loop: Header=BB200_9 Depth=1
	s_or_b32 exec_lo, exec_lo, s17
	v_cmp_ne_u16_sdwa s6, v2, v83 src0_sel:BYTE_1 src1_sel:DWORD
	s_and_saveexec_b32 s17, s6
	s_cbranch_execz .LBB200_457
; %bb.450:                              ;   in Loop: Header=BB200_9 Depth=1
	v_mov_b32_e32 v0, 0x80
	v_mov_b32_e32 v50, v83
	buffer_store_dword v50, off, s[0:3], s32 offset:648 ; 4-byte Folded Spill
	buffer_store_dword v51, off, s[0:3], s32 offset:652 ; 4-byte Folded Spill
	v_cmp_ne_u16_sdwa s6, v2, v0 src0_sel:BYTE_1 src1_sel:DWORD
	s_and_saveexec_b32 s19, s6
	s_cbranch_execz .LBB200_456
; %bb.451:                              ;   in Loop: Header=BB200_9 Depth=1
	s_clause 0x1
	buffer_load_dword v5, off, s[0:3], s32 offset:192
	buffer_load_dword v6, off, s[0:3], s32 offset:196
	v_mov_b32_e32 v0, 0xffff
	s_waitcnt vmcnt(1)
	v_mov_b32_e32 v5, v83
	s_mov_b32 s20, exec_lo
	v_and_b32_sdwa v0, v0, v2 dst_sel:DWORD dst_unused:UNUSED_PAD src0_sel:DWORD src1_sel:BYTE_1
	v_and_b32_e32 v4, 0x7f, v0
	s_waitcnt vmcnt(0)
	v_mov_b32_e32 v1, v6
	buffer_store_dword v0, off, s[0:3], s32 offset:192 ; 4-byte Folded Spill
	buffer_store_dword v1, off, s[0:3], s32 offset:196 ; 4-byte Folded Spill
	;; [unrolled: 1-line block ×4, first 2 shown]
	v_cmpx_ne_u32_e32 0x7f, v4
	s_cbranch_execz .LBB200_455
; %bb.452:                              ;   in Loop: Header=BB200_9 Depth=1
	v_and_b32_e32 v82, 7, v0
	v_lshrrev_b32_e32 v3, 3, v4
	s_mov_b32 s21, exec_lo
	v_cmpx_gt_u32_e32 8, v4
; %bb.453:                              ;   in Loop: Header=BB200_9 Depth=1
	v_ffbh_u32_e32 v3, v82
	v_min_u32_e32 v3, 32, v3
	v_subrev_nc_u32_e32 v4, 28, v3
	v_sub_nc_u32_e32 v3, 29, v3
	v_lshlrev_b64 v[4:5], v4, v[82:83]
	v_and_b32_e32 v82, 7, v4
; %bb.454:                              ;   in Loop: Header=BB200_9 Depth=1
	s_or_b32 exec_lo, exec_lo, s21
	v_lshlrev_b32_e32 v2, 16, v2
	v_lshlrev_b32_e32 v0, 20, v82
	v_lshl_add_u32 v3, v3, 23, 0x3c000000
	v_and_b32_e32 v2, 0x80000000, v2
	v_or3_b32 v1, v0, v2, v3
	v_mov_b32_e32 v0, v83
	buffer_store_dword v0, off, s[0:3], s32 offset:648 ; 4-byte Folded Spill
	buffer_store_dword v1, off, s[0:3], s32 offset:652 ; 4-byte Folded Spill
.LBB200_455:                            ;   in Loop: Header=BB200_9 Depth=1
	s_or_b32 exec_lo, exec_lo, s20
.LBB200_456:                            ;   in Loop: Header=BB200_9 Depth=1
	s_or_b32 exec_lo, exec_lo, s19
.LBB200_457:                            ;   in Loop: Header=BB200_9 Depth=1
	s_or_b32 exec_lo, exec_lo, s17
	flat_load_ushort v0, v[26:27] offset:1792
	s_waitcnt vmcnt(0) lgkmcnt(0)
	v_and_b32_e32 v2, 0xffff, v0
	v_cmp_ne_u16_sdwa s6, v0, v83 src0_sel:BYTE_0 src1_sel:DWORD
	v_mov_b32_e32 v0, 0
	v_mov_b32_e32 v1, 0
	buffer_store_dword v0, off, s[0:3], s32 offset:664 ; 4-byte Folded Spill
	buffer_store_dword v1, off, s[0:3], s32 offset:668 ; 4-byte Folded Spill
	v_mov_b32_e32 v0, 0
	v_mov_b32_e32 v1, 0
	buffer_store_dword v0, off, s[0:3], s32 offset:656 ; 4-byte Folded Spill
	buffer_store_dword v1, off, s[0:3], s32 offset:660 ; 4-byte Folded Spill
	s_and_saveexec_b32 s17, s6
	s_cbranch_execz .LBB200_465
; %bb.458:                              ;   in Loop: Header=BB200_9 Depth=1
	v_bfrev_b32_e32 v0, 1
	v_mov_b32_e32 v1, 0
	buffer_store_dword v0, off, s[0:3], s32 offset:656 ; 4-byte Folded Spill
	buffer_store_dword v1, off, s[0:3], s32 offset:660 ; 4-byte Folded Spill
	v_mov_b32_e32 v0, 0x80
	v_cmp_ne_u16_sdwa s6, v2, v0 src0_sel:BYTE_0 src1_sel:DWORD
	s_and_saveexec_b32 s19, s6
	s_cbranch_execz .LBB200_464
; %bb.459:                              ;   in Loop: Header=BB200_9 Depth=1
	v_mov_b32_e32 v0, 0x7f800001
	v_and_b32_e32 v4, 0x7f, v2
	v_mov_b32_e32 v1, 0
	s_mov_b32 s20, exec_lo
	buffer_store_dword v0, off, s[0:3], s32 offset:656 ; 4-byte Folded Spill
	buffer_store_dword v1, off, s[0:3], s32 offset:660 ; 4-byte Folded Spill
	v_cmpx_ne_u32_e32 0x7f, v4
	s_cbranch_execz .LBB200_463
; %bb.460:                              ;   in Loop: Header=BB200_9 Depth=1
	v_and_b32_e32 v82, 7, v2
	v_lshrrev_b32_e32 v3, 3, v4
	s_mov_b32 s21, exec_lo
	v_cmpx_gt_u32_e32 8, v4
; %bb.461:                              ;   in Loop: Header=BB200_9 Depth=1
	v_ffbh_u32_e32 v3, v82
	v_min_u32_e32 v3, 32, v3
	v_subrev_nc_u32_e32 v4, 28, v3
	v_sub_nc_u32_e32 v3, 29, v3
	v_lshlrev_b64 v[4:5], v4, v[82:83]
	v_and_b32_e32 v82, 7, v4
; %bb.462:                              ;   in Loop: Header=BB200_9 Depth=1
	s_or_b32 exec_lo, exec_lo, s21
	v_lshlrev_b32_e32 v4, 24, v2
	v_lshlrev_b32_e32 v0, 20, v82
	v_lshl_add_u32 v3, v3, 23, 0x3c000000
	v_and_b32_e32 v4, 0x80000000, v4
	v_or3_b32 v82, v0, v4, v3
	buffer_store_dword v82, off, s[0:3], s32 offset:656 ; 4-byte Folded Spill
	buffer_store_dword v83, off, s[0:3], s32 offset:660 ; 4-byte Folded Spill
.LBB200_463:                            ;   in Loop: Header=BB200_9 Depth=1
	s_or_b32 exec_lo, exec_lo, s20
.LBB200_464:                            ;   in Loop: Header=BB200_9 Depth=1
	s_or_b32 exec_lo, exec_lo, s19
.LBB200_465:                            ;   in Loop: Header=BB200_9 Depth=1
	s_or_b32 exec_lo, exec_lo, s17
	v_cmp_ne_u16_sdwa s6, v2, v83 src0_sel:BYTE_1 src1_sel:DWORD
	s_and_saveexec_b32 s17, s6
	s_cbranch_execz .LBB200_473
; %bb.466:                              ;   in Loop: Header=BB200_9 Depth=1
	v_mov_b32_e32 v0, 0x80
	v_mov_b32_e32 v50, v83
	buffer_store_dword v50, off, s[0:3], s32 offset:664 ; 4-byte Folded Spill
	buffer_store_dword v51, off, s[0:3], s32 offset:668 ; 4-byte Folded Spill
	v_cmp_ne_u16_sdwa s6, v2, v0 src0_sel:BYTE_1 src1_sel:DWORD
	s_and_saveexec_b32 s19, s6
	s_cbranch_execz .LBB200_472
; %bb.467:                              ;   in Loop: Header=BB200_9 Depth=1
	s_clause 0x1
	buffer_load_dword v5, off, s[0:3], s32 offset:192
	buffer_load_dword v6, off, s[0:3], s32 offset:196
	v_mov_b32_e32 v0, 0xffff
	s_waitcnt vmcnt(1)
	v_mov_b32_e32 v5, v83
	s_mov_b32 s20, exec_lo
	v_and_b32_sdwa v0, v0, v2 dst_sel:DWORD dst_unused:UNUSED_PAD src0_sel:DWORD src1_sel:BYTE_1
	v_and_b32_e32 v4, 0x7f, v0
	s_waitcnt vmcnt(0)
	v_mov_b32_e32 v1, v6
	buffer_store_dword v0, off, s[0:3], s32 offset:192 ; 4-byte Folded Spill
	buffer_store_dword v1, off, s[0:3], s32 offset:196 ; 4-byte Folded Spill
	;; [unrolled: 1-line block ×4, first 2 shown]
	v_cmpx_ne_u32_e32 0x7f, v4
	s_cbranch_execz .LBB200_471
; %bb.468:                              ;   in Loop: Header=BB200_9 Depth=1
	v_and_b32_e32 v82, 7, v0
	v_lshrrev_b32_e32 v3, 3, v4
	s_mov_b32 s21, exec_lo
	v_cmpx_gt_u32_e32 8, v4
; %bb.469:                              ;   in Loop: Header=BB200_9 Depth=1
	v_ffbh_u32_e32 v3, v82
	v_min_u32_e32 v3, 32, v3
	v_subrev_nc_u32_e32 v4, 28, v3
	v_sub_nc_u32_e32 v3, 29, v3
	v_lshlrev_b64 v[4:5], v4, v[82:83]
	v_and_b32_e32 v82, 7, v4
; %bb.470:                              ;   in Loop: Header=BB200_9 Depth=1
	s_or_b32 exec_lo, exec_lo, s21
	v_lshlrev_b32_e32 v2, 16, v2
	v_lshlrev_b32_e32 v0, 20, v82
	v_lshl_add_u32 v3, v3, 23, 0x3c000000
	v_and_b32_e32 v2, 0x80000000, v2
	v_or3_b32 v1, v0, v2, v3
	v_mov_b32_e32 v0, v83
	buffer_store_dword v0, off, s[0:3], s32 offset:664 ; 4-byte Folded Spill
	buffer_store_dword v1, off, s[0:3], s32 offset:668 ; 4-byte Folded Spill
.LBB200_471:                            ;   in Loop: Header=BB200_9 Depth=1
	s_or_b32 exec_lo, exec_lo, s20
.LBB200_472:                            ;   in Loop: Header=BB200_9 Depth=1
	s_or_b32 exec_lo, exec_lo, s19
.LBB200_473:                            ;   in Loop: Header=BB200_9 Depth=1
	s_or_b32 exec_lo, exec_lo, s17
	flat_load_ushort v0, v[26:27] offset:1796
	s_waitcnt vmcnt(0) lgkmcnt(0)
	v_and_b32_e32 v2, 0xffff, v0
	v_cmp_ne_u16_sdwa s6, v0, v83 src0_sel:BYTE_0 src1_sel:DWORD
	v_mov_b32_e32 v0, 0
	v_mov_b32_e32 v1, 0
	buffer_store_dword v0, off, s[0:3], s32 offset:680 ; 4-byte Folded Spill
	buffer_store_dword v1, off, s[0:3], s32 offset:684 ; 4-byte Folded Spill
	v_mov_b32_e32 v0, 0
	v_mov_b32_e32 v1, 0
	buffer_store_dword v0, off, s[0:3], s32 offset:672 ; 4-byte Folded Spill
	buffer_store_dword v1, off, s[0:3], s32 offset:676 ; 4-byte Folded Spill
	s_and_saveexec_b32 s17, s6
	s_cbranch_execz .LBB200_481
; %bb.474:                              ;   in Loop: Header=BB200_9 Depth=1
	v_bfrev_b32_e32 v0, 1
	v_mov_b32_e32 v1, 0
	buffer_store_dword v0, off, s[0:3], s32 offset:672 ; 4-byte Folded Spill
	buffer_store_dword v1, off, s[0:3], s32 offset:676 ; 4-byte Folded Spill
	v_mov_b32_e32 v0, 0x80
	v_cmp_ne_u16_sdwa s6, v2, v0 src0_sel:BYTE_0 src1_sel:DWORD
	s_and_saveexec_b32 s19, s6
	s_cbranch_execz .LBB200_480
; %bb.475:                              ;   in Loop: Header=BB200_9 Depth=1
	v_mov_b32_e32 v0, 0x7f800001
	v_and_b32_e32 v4, 0x7f, v2
	v_mov_b32_e32 v1, 0
	s_mov_b32 s20, exec_lo
	buffer_store_dword v0, off, s[0:3], s32 offset:672 ; 4-byte Folded Spill
	buffer_store_dword v1, off, s[0:3], s32 offset:676 ; 4-byte Folded Spill
	v_cmpx_ne_u32_e32 0x7f, v4
	s_cbranch_execz .LBB200_479
; %bb.476:                              ;   in Loop: Header=BB200_9 Depth=1
	v_and_b32_e32 v82, 7, v2
	v_lshrrev_b32_e32 v3, 3, v4
	s_mov_b32 s21, exec_lo
	v_cmpx_gt_u32_e32 8, v4
; %bb.477:                              ;   in Loop: Header=BB200_9 Depth=1
	v_ffbh_u32_e32 v3, v82
	v_min_u32_e32 v3, 32, v3
	v_subrev_nc_u32_e32 v4, 28, v3
	v_sub_nc_u32_e32 v3, 29, v3
	v_lshlrev_b64 v[4:5], v4, v[82:83]
	v_and_b32_e32 v82, 7, v4
; %bb.478:                              ;   in Loop: Header=BB200_9 Depth=1
	s_or_b32 exec_lo, exec_lo, s21
	v_lshlrev_b32_e32 v4, 24, v2
	v_lshlrev_b32_e32 v0, 20, v82
	v_lshl_add_u32 v3, v3, 23, 0x3c000000
	v_and_b32_e32 v4, 0x80000000, v4
	v_or3_b32 v82, v0, v4, v3
	buffer_store_dword v82, off, s[0:3], s32 offset:672 ; 4-byte Folded Spill
	buffer_store_dword v83, off, s[0:3], s32 offset:676 ; 4-byte Folded Spill
.LBB200_479:                            ;   in Loop: Header=BB200_9 Depth=1
	s_or_b32 exec_lo, exec_lo, s20
.LBB200_480:                            ;   in Loop: Header=BB200_9 Depth=1
	s_or_b32 exec_lo, exec_lo, s19
.LBB200_481:                            ;   in Loop: Header=BB200_9 Depth=1
	s_or_b32 exec_lo, exec_lo, s17
	v_cmp_ne_u16_sdwa s6, v2, v83 src0_sel:BYTE_1 src1_sel:DWORD
	s_and_saveexec_b32 s17, s6
	s_cbranch_execz .LBB200_489
; %bb.482:                              ;   in Loop: Header=BB200_9 Depth=1
	v_mov_b32_e32 v0, 0x80
	v_mov_b32_e32 v50, v83
	buffer_store_dword v50, off, s[0:3], s32 offset:680 ; 4-byte Folded Spill
	buffer_store_dword v51, off, s[0:3], s32 offset:684 ; 4-byte Folded Spill
	v_cmp_ne_u16_sdwa s6, v2, v0 src0_sel:BYTE_1 src1_sel:DWORD
	s_and_saveexec_b32 s19, s6
	s_cbranch_execz .LBB200_488
; %bb.483:                              ;   in Loop: Header=BB200_9 Depth=1
	s_clause 0x1
	buffer_load_dword v5, off, s[0:3], s32 offset:192
	buffer_load_dword v6, off, s[0:3], s32 offset:196
	v_mov_b32_e32 v0, 0xffff
	s_waitcnt vmcnt(1)
	v_mov_b32_e32 v5, v83
	s_mov_b32 s20, exec_lo
	v_and_b32_sdwa v0, v0, v2 dst_sel:DWORD dst_unused:UNUSED_PAD src0_sel:DWORD src1_sel:BYTE_1
	v_and_b32_e32 v4, 0x7f, v0
	s_waitcnt vmcnt(0)
	v_mov_b32_e32 v1, v6
	buffer_store_dword v0, off, s[0:3], s32 offset:192 ; 4-byte Folded Spill
	buffer_store_dword v1, off, s[0:3], s32 offset:196 ; 4-byte Folded Spill
	;; [unrolled: 1-line block ×4, first 2 shown]
	v_cmpx_ne_u32_e32 0x7f, v4
	s_cbranch_execz .LBB200_487
; %bb.484:                              ;   in Loop: Header=BB200_9 Depth=1
	v_and_b32_e32 v82, 7, v0
	v_lshrrev_b32_e32 v3, 3, v4
	s_mov_b32 s21, exec_lo
	v_cmpx_gt_u32_e32 8, v4
; %bb.485:                              ;   in Loop: Header=BB200_9 Depth=1
	v_ffbh_u32_e32 v3, v82
	v_min_u32_e32 v3, 32, v3
	v_subrev_nc_u32_e32 v4, 28, v3
	v_sub_nc_u32_e32 v3, 29, v3
	v_lshlrev_b64 v[4:5], v4, v[82:83]
	v_and_b32_e32 v82, 7, v4
; %bb.486:                              ;   in Loop: Header=BB200_9 Depth=1
	s_or_b32 exec_lo, exec_lo, s21
	v_lshlrev_b32_e32 v2, 16, v2
	v_lshlrev_b32_e32 v0, 20, v82
	v_lshl_add_u32 v3, v3, 23, 0x3c000000
	v_and_b32_e32 v2, 0x80000000, v2
	v_or3_b32 v1, v0, v2, v3
	v_mov_b32_e32 v0, v83
	buffer_store_dword v0, off, s[0:3], s32 offset:680 ; 4-byte Folded Spill
	buffer_store_dword v1, off, s[0:3], s32 offset:684 ; 4-byte Folded Spill
.LBB200_487:                            ;   in Loop: Header=BB200_9 Depth=1
	s_or_b32 exec_lo, exec_lo, s20
.LBB200_488:                            ;   in Loop: Header=BB200_9 Depth=1
	s_or_b32 exec_lo, exec_lo, s19
.LBB200_489:                            ;   in Loop: Header=BB200_9 Depth=1
	s_or_b32 exec_lo, exec_lo, s17
	flat_load_ushort v0, v[26:27] offset:1800
	s_waitcnt vmcnt(0) lgkmcnt(0)
	v_and_b32_e32 v2, 0xffff, v0
	v_cmp_ne_u16_sdwa s6, v0, v83 src0_sel:BYTE_0 src1_sel:DWORD
	v_mov_b32_e32 v0, 0
	v_mov_b32_e32 v1, 0
	buffer_store_dword v0, off, s[0:3], s32 offset:696 ; 4-byte Folded Spill
	buffer_store_dword v1, off, s[0:3], s32 offset:700 ; 4-byte Folded Spill
	v_mov_b32_e32 v0, 0
	v_mov_b32_e32 v1, 0
	buffer_store_dword v0, off, s[0:3], s32 offset:688 ; 4-byte Folded Spill
	buffer_store_dword v1, off, s[0:3], s32 offset:692 ; 4-byte Folded Spill
	s_and_saveexec_b32 s17, s6
	s_cbranch_execz .LBB200_497
; %bb.490:                              ;   in Loop: Header=BB200_9 Depth=1
	v_bfrev_b32_e32 v0, 1
	v_mov_b32_e32 v1, 0
	buffer_store_dword v0, off, s[0:3], s32 offset:688 ; 4-byte Folded Spill
	buffer_store_dword v1, off, s[0:3], s32 offset:692 ; 4-byte Folded Spill
	v_mov_b32_e32 v0, 0x80
	v_cmp_ne_u16_sdwa s6, v2, v0 src0_sel:BYTE_0 src1_sel:DWORD
	s_and_saveexec_b32 s19, s6
	s_cbranch_execz .LBB200_496
; %bb.491:                              ;   in Loop: Header=BB200_9 Depth=1
	v_mov_b32_e32 v0, 0x7f800001
	v_and_b32_e32 v4, 0x7f, v2
	v_mov_b32_e32 v1, 0
	s_mov_b32 s20, exec_lo
	buffer_store_dword v0, off, s[0:3], s32 offset:688 ; 4-byte Folded Spill
	buffer_store_dword v1, off, s[0:3], s32 offset:692 ; 4-byte Folded Spill
	v_cmpx_ne_u32_e32 0x7f, v4
	s_cbranch_execz .LBB200_495
; %bb.492:                              ;   in Loop: Header=BB200_9 Depth=1
	v_and_b32_e32 v82, 7, v2
	v_lshrrev_b32_e32 v3, 3, v4
	s_mov_b32 s21, exec_lo
	v_cmpx_gt_u32_e32 8, v4
; %bb.493:                              ;   in Loop: Header=BB200_9 Depth=1
	v_ffbh_u32_e32 v3, v82
	v_min_u32_e32 v3, 32, v3
	v_subrev_nc_u32_e32 v4, 28, v3
	v_sub_nc_u32_e32 v3, 29, v3
	v_lshlrev_b64 v[4:5], v4, v[82:83]
	v_and_b32_e32 v82, 7, v4
; %bb.494:                              ;   in Loop: Header=BB200_9 Depth=1
	s_or_b32 exec_lo, exec_lo, s21
	v_lshlrev_b32_e32 v4, 24, v2
	v_lshlrev_b32_e32 v0, 20, v82
	v_lshl_add_u32 v3, v3, 23, 0x3c000000
	v_and_b32_e32 v4, 0x80000000, v4
	v_or3_b32 v82, v0, v4, v3
	buffer_store_dword v82, off, s[0:3], s32 offset:688 ; 4-byte Folded Spill
	buffer_store_dword v83, off, s[0:3], s32 offset:692 ; 4-byte Folded Spill
.LBB200_495:                            ;   in Loop: Header=BB200_9 Depth=1
	s_or_b32 exec_lo, exec_lo, s20
.LBB200_496:                            ;   in Loop: Header=BB200_9 Depth=1
	s_or_b32 exec_lo, exec_lo, s19
.LBB200_497:                            ;   in Loop: Header=BB200_9 Depth=1
	s_or_b32 exec_lo, exec_lo, s17
	v_cmp_ne_u16_sdwa s6, v2, v83 src0_sel:BYTE_1 src1_sel:DWORD
	s_and_saveexec_b32 s17, s6
	s_cbranch_execz .LBB200_505
; %bb.498:                              ;   in Loop: Header=BB200_9 Depth=1
	v_mov_b32_e32 v0, 0x80
	v_mov_b32_e32 v50, v83
	buffer_store_dword v50, off, s[0:3], s32 offset:696 ; 4-byte Folded Spill
	buffer_store_dword v51, off, s[0:3], s32 offset:700 ; 4-byte Folded Spill
	v_cmp_ne_u16_sdwa s6, v2, v0 src0_sel:BYTE_1 src1_sel:DWORD
	s_and_saveexec_b32 s19, s6
	s_cbranch_execz .LBB200_504
; %bb.499:                              ;   in Loop: Header=BB200_9 Depth=1
	s_clause 0x1
	buffer_load_dword v5, off, s[0:3], s32 offset:192
	buffer_load_dword v6, off, s[0:3], s32 offset:196
	v_mov_b32_e32 v0, 0xffff
	s_waitcnt vmcnt(1)
	v_mov_b32_e32 v5, v83
	s_mov_b32 s20, exec_lo
	v_and_b32_sdwa v0, v0, v2 dst_sel:DWORD dst_unused:UNUSED_PAD src0_sel:DWORD src1_sel:BYTE_1
	v_and_b32_e32 v4, 0x7f, v0
	s_waitcnt vmcnt(0)
	v_mov_b32_e32 v1, v6
	buffer_store_dword v0, off, s[0:3], s32 offset:192 ; 4-byte Folded Spill
	buffer_store_dword v1, off, s[0:3], s32 offset:196 ; 4-byte Folded Spill
	;; [unrolled: 1-line block ×4, first 2 shown]
	v_cmpx_ne_u32_e32 0x7f, v4
	s_cbranch_execz .LBB200_503
; %bb.500:                              ;   in Loop: Header=BB200_9 Depth=1
	v_and_b32_e32 v82, 7, v0
	v_lshrrev_b32_e32 v3, 3, v4
	s_mov_b32 s21, exec_lo
	v_cmpx_gt_u32_e32 8, v4
; %bb.501:                              ;   in Loop: Header=BB200_9 Depth=1
	v_ffbh_u32_e32 v3, v82
	v_min_u32_e32 v3, 32, v3
	v_subrev_nc_u32_e32 v4, 28, v3
	v_sub_nc_u32_e32 v3, 29, v3
	v_lshlrev_b64 v[4:5], v4, v[82:83]
	v_and_b32_e32 v82, 7, v4
; %bb.502:                              ;   in Loop: Header=BB200_9 Depth=1
	s_or_b32 exec_lo, exec_lo, s21
	v_lshlrev_b32_e32 v2, 16, v2
	v_lshlrev_b32_e32 v0, 20, v82
	v_lshl_add_u32 v3, v3, 23, 0x3c000000
	v_and_b32_e32 v2, 0x80000000, v2
	v_or3_b32 v1, v0, v2, v3
	v_mov_b32_e32 v0, v83
	buffer_store_dword v0, off, s[0:3], s32 offset:696 ; 4-byte Folded Spill
	buffer_store_dword v1, off, s[0:3], s32 offset:700 ; 4-byte Folded Spill
.LBB200_503:                            ;   in Loop: Header=BB200_9 Depth=1
	s_or_b32 exec_lo, exec_lo, s20
.LBB200_504:                            ;   in Loop: Header=BB200_9 Depth=1
	s_or_b32 exec_lo, exec_lo, s19
.LBB200_505:                            ;   in Loop: Header=BB200_9 Depth=1
	s_or_b32 exec_lo, exec_lo, s17
	flat_load_ushort v0, v[26:27] offset:1804
	s_waitcnt vmcnt(0) lgkmcnt(0)
	v_and_b32_e32 v2, 0xffff, v0
	v_cmp_ne_u16_sdwa s6, v0, v83 src0_sel:BYTE_0 src1_sel:DWORD
	v_mov_b32_e32 v0, 0
	v_mov_b32_e32 v1, 0
	buffer_store_dword v0, off, s[0:3], s32 offset:712 ; 4-byte Folded Spill
	buffer_store_dword v1, off, s[0:3], s32 offset:716 ; 4-byte Folded Spill
	v_mov_b32_e32 v0, 0
	v_mov_b32_e32 v1, 0
	buffer_store_dword v0, off, s[0:3], s32 offset:704 ; 4-byte Folded Spill
	buffer_store_dword v1, off, s[0:3], s32 offset:708 ; 4-byte Folded Spill
	s_and_saveexec_b32 s17, s6
	s_cbranch_execz .LBB200_513
; %bb.506:                              ;   in Loop: Header=BB200_9 Depth=1
	v_bfrev_b32_e32 v0, 1
	v_mov_b32_e32 v1, 0
	buffer_store_dword v0, off, s[0:3], s32 offset:704 ; 4-byte Folded Spill
	buffer_store_dword v1, off, s[0:3], s32 offset:708 ; 4-byte Folded Spill
	v_mov_b32_e32 v0, 0x80
	v_cmp_ne_u16_sdwa s6, v2, v0 src0_sel:BYTE_0 src1_sel:DWORD
	s_and_saveexec_b32 s19, s6
	s_cbranch_execz .LBB200_512
; %bb.507:                              ;   in Loop: Header=BB200_9 Depth=1
	v_mov_b32_e32 v0, 0x7f800001
	v_and_b32_e32 v4, 0x7f, v2
	v_mov_b32_e32 v1, 0
	s_mov_b32 s20, exec_lo
	buffer_store_dword v0, off, s[0:3], s32 offset:704 ; 4-byte Folded Spill
	buffer_store_dword v1, off, s[0:3], s32 offset:708 ; 4-byte Folded Spill
	v_cmpx_ne_u32_e32 0x7f, v4
	s_cbranch_execz .LBB200_511
; %bb.508:                              ;   in Loop: Header=BB200_9 Depth=1
	v_and_b32_e32 v82, 7, v2
	v_lshrrev_b32_e32 v3, 3, v4
	s_mov_b32 s21, exec_lo
	v_cmpx_gt_u32_e32 8, v4
; %bb.509:                              ;   in Loop: Header=BB200_9 Depth=1
	v_ffbh_u32_e32 v3, v82
	v_min_u32_e32 v3, 32, v3
	v_subrev_nc_u32_e32 v4, 28, v3
	v_sub_nc_u32_e32 v3, 29, v3
	v_lshlrev_b64 v[4:5], v4, v[82:83]
	v_and_b32_e32 v82, 7, v4
; %bb.510:                              ;   in Loop: Header=BB200_9 Depth=1
	s_or_b32 exec_lo, exec_lo, s21
	v_lshlrev_b32_e32 v4, 24, v2
	v_lshlrev_b32_e32 v0, 20, v82
	v_lshl_add_u32 v3, v3, 23, 0x3c000000
	v_and_b32_e32 v4, 0x80000000, v4
	v_or3_b32 v82, v0, v4, v3
	buffer_store_dword v82, off, s[0:3], s32 offset:704 ; 4-byte Folded Spill
	buffer_store_dword v83, off, s[0:3], s32 offset:708 ; 4-byte Folded Spill
.LBB200_511:                            ;   in Loop: Header=BB200_9 Depth=1
	s_or_b32 exec_lo, exec_lo, s20
.LBB200_512:                            ;   in Loop: Header=BB200_9 Depth=1
	s_or_b32 exec_lo, exec_lo, s19
.LBB200_513:                            ;   in Loop: Header=BB200_9 Depth=1
	s_or_b32 exec_lo, exec_lo, s17
	v_cmp_ne_u16_sdwa s6, v2, v83 src0_sel:BYTE_1 src1_sel:DWORD
	s_and_saveexec_b32 s17, s6
	s_cbranch_execz .LBB200_521
; %bb.514:                              ;   in Loop: Header=BB200_9 Depth=1
	v_mov_b32_e32 v0, 0x80
	v_mov_b32_e32 v50, v83
	buffer_store_dword v50, off, s[0:3], s32 offset:712 ; 4-byte Folded Spill
	buffer_store_dword v51, off, s[0:3], s32 offset:716 ; 4-byte Folded Spill
	v_cmp_ne_u16_sdwa s6, v2, v0 src0_sel:BYTE_1 src1_sel:DWORD
	s_and_saveexec_b32 s19, s6
	s_cbranch_execz .LBB200_520
; %bb.515:                              ;   in Loop: Header=BB200_9 Depth=1
	s_clause 0x1
	buffer_load_dword v5, off, s[0:3], s32 offset:192
	buffer_load_dword v6, off, s[0:3], s32 offset:196
	v_mov_b32_e32 v0, 0xffff
	s_waitcnt vmcnt(1)
	v_mov_b32_e32 v5, v83
	s_mov_b32 s20, exec_lo
	v_and_b32_sdwa v0, v0, v2 dst_sel:DWORD dst_unused:UNUSED_PAD src0_sel:DWORD src1_sel:BYTE_1
	v_and_b32_e32 v4, 0x7f, v0
	s_waitcnt vmcnt(0)
	v_mov_b32_e32 v1, v6
	buffer_store_dword v0, off, s[0:3], s32 offset:192 ; 4-byte Folded Spill
	buffer_store_dword v1, off, s[0:3], s32 offset:196 ; 4-byte Folded Spill
	;; [unrolled: 1-line block ×4, first 2 shown]
	v_cmpx_ne_u32_e32 0x7f, v4
	s_cbranch_execz .LBB200_519
; %bb.516:                              ;   in Loop: Header=BB200_9 Depth=1
	v_and_b32_e32 v82, 7, v0
	v_lshrrev_b32_e32 v3, 3, v4
	s_mov_b32 s21, exec_lo
	v_cmpx_gt_u32_e32 8, v4
; %bb.517:                              ;   in Loop: Header=BB200_9 Depth=1
	v_ffbh_u32_e32 v3, v82
	v_min_u32_e32 v3, 32, v3
	v_subrev_nc_u32_e32 v4, 28, v3
	v_sub_nc_u32_e32 v3, 29, v3
	v_lshlrev_b64 v[4:5], v4, v[82:83]
	v_and_b32_e32 v82, 7, v4
; %bb.518:                              ;   in Loop: Header=BB200_9 Depth=1
	s_or_b32 exec_lo, exec_lo, s21
	v_lshlrev_b32_e32 v2, 16, v2
	v_lshlrev_b32_e32 v0, 20, v82
	v_lshl_add_u32 v3, v3, 23, 0x3c000000
	v_and_b32_e32 v2, 0x80000000, v2
	v_or3_b32 v1, v0, v2, v3
	v_mov_b32_e32 v0, v83
	buffer_store_dword v0, off, s[0:3], s32 offset:712 ; 4-byte Folded Spill
	buffer_store_dword v1, off, s[0:3], s32 offset:716 ; 4-byte Folded Spill
.LBB200_519:                            ;   in Loop: Header=BB200_9 Depth=1
	s_or_b32 exec_lo, exec_lo, s20
.LBB200_520:                            ;   in Loop: Header=BB200_9 Depth=1
	s_or_b32 exec_lo, exec_lo, s19
.LBB200_521:                            ;   in Loop: Header=BB200_9 Depth=1
	s_or_b32 exec_lo, exec_lo, s17
	buffer_load_dword v0, off, s[0:3], s32 offset:204 ; 4-byte Folded Reload
	v_add_co_u32 v2, s6, 0x800, v52
	v_add_co_ci_u32_e64 v3, null, 0, v53, s6
	s_waitcnt vmcnt(0)
	v_add_co_u32 v4, s6, v2, v0
	v_add_co_ci_u32_e64 v5, null, 0, v3, s6
	flat_load_ushort v0, v[4:5]
	s_waitcnt vmcnt(0) lgkmcnt(0)
	v_and_b32_e32 v4, 0xffff, v0
	v_cmp_ne_u16_sdwa s6, v0, v83 src0_sel:BYTE_0 src1_sel:DWORD
	v_mov_b32_e32 v0, 0
	v_mov_b32_e32 v1, 0
	buffer_store_dword v0, off, s[0:3], s32 offset:728 ; 4-byte Folded Spill
	buffer_store_dword v1, off, s[0:3], s32 offset:732 ; 4-byte Folded Spill
	v_mov_b32_e32 v0, 0
	v_mov_b32_e32 v1, 0
	buffer_store_dword v0, off, s[0:3], s32 offset:720 ; 4-byte Folded Spill
	buffer_store_dword v1, off, s[0:3], s32 offset:724 ; 4-byte Folded Spill
	s_and_saveexec_b32 s17, s6
	s_cbranch_execz .LBB200_529
; %bb.522:                              ;   in Loop: Header=BB200_9 Depth=1
	v_bfrev_b32_e32 v0, 1
	v_mov_b32_e32 v1, 0
	buffer_store_dword v0, off, s[0:3], s32 offset:720 ; 4-byte Folded Spill
	buffer_store_dword v1, off, s[0:3], s32 offset:724 ; 4-byte Folded Spill
	v_mov_b32_e32 v0, 0x80
	v_cmp_ne_u16_sdwa s6, v4, v0 src0_sel:BYTE_0 src1_sel:DWORD
	s_and_saveexec_b32 s19, s6
	s_cbranch_execz .LBB200_528
; %bb.523:                              ;   in Loop: Header=BB200_9 Depth=1
	v_mov_b32_e32 v0, 0x7f800001
	v_and_b32_e32 v6, 0x7f, v4
	v_mov_b32_e32 v1, 0
	s_mov_b32 s20, exec_lo
	buffer_store_dword v0, off, s[0:3], s32 offset:720 ; 4-byte Folded Spill
	buffer_store_dword v1, off, s[0:3], s32 offset:724 ; 4-byte Folded Spill
	v_cmpx_ne_u32_e32 0x7f, v6
	s_cbranch_execz .LBB200_527
; %bb.524:                              ;   in Loop: Header=BB200_9 Depth=1
	v_and_b32_e32 v82, 7, v4
	v_lshrrev_b32_e32 v5, 3, v6
	s_mov_b32 s21, exec_lo
	v_cmpx_gt_u32_e32 8, v6
; %bb.525:                              ;   in Loop: Header=BB200_9 Depth=1
	v_ffbh_u32_e32 v5, v82
	v_min_u32_e32 v5, 32, v5
	v_subrev_nc_u32_e32 v6, 28, v5
	v_sub_nc_u32_e32 v5, 29, v5
	v_lshlrev_b64 v[6:7], v6, v[82:83]
	v_and_b32_e32 v82, 7, v6
; %bb.526:                              ;   in Loop: Header=BB200_9 Depth=1
	s_or_b32 exec_lo, exec_lo, s21
	v_lshlrev_b32_e32 v6, 24, v4
	v_lshlrev_b32_e32 v0, 20, v82
	v_lshl_add_u32 v5, v5, 23, 0x3c000000
	v_and_b32_e32 v6, 0x80000000, v6
	v_or3_b32 v82, v0, v6, v5
	buffer_store_dword v82, off, s[0:3], s32 offset:720 ; 4-byte Folded Spill
	buffer_store_dword v83, off, s[0:3], s32 offset:724 ; 4-byte Folded Spill
.LBB200_527:                            ;   in Loop: Header=BB200_9 Depth=1
	s_or_b32 exec_lo, exec_lo, s20
.LBB200_528:                            ;   in Loop: Header=BB200_9 Depth=1
	s_or_b32 exec_lo, exec_lo, s19
.LBB200_529:                            ;   in Loop: Header=BB200_9 Depth=1
	s_or_b32 exec_lo, exec_lo, s17
	v_cmp_ne_u16_sdwa s6, v4, v83 src0_sel:BYTE_1 src1_sel:DWORD
	s_and_saveexec_b32 s17, s6
	s_cbranch_execz .LBB200_537
; %bb.530:                              ;   in Loop: Header=BB200_9 Depth=1
	v_mov_b32_e32 v0, 0x80
	v_mov_b32_e32 v50, v83
	buffer_store_dword v50, off, s[0:3], s32 offset:728 ; 4-byte Folded Spill
	buffer_store_dword v51, off, s[0:3], s32 offset:732 ; 4-byte Folded Spill
	v_cmp_ne_u16_sdwa s6, v4, v0 src0_sel:BYTE_1 src1_sel:DWORD
	s_and_saveexec_b32 s19, s6
	s_cbranch_execz .LBB200_536
; %bb.531:                              ;   in Loop: Header=BB200_9 Depth=1
	s_clause 0x1
	buffer_load_dword v7, off, s[0:3], s32 offset:192
	buffer_load_dword v8, off, s[0:3], s32 offset:196
	v_mov_b32_e32 v0, 0xffff
	s_waitcnt vmcnt(1)
	v_mov_b32_e32 v7, v83
	s_mov_b32 s20, exec_lo
	v_and_b32_sdwa v0, v0, v4 dst_sel:DWORD dst_unused:UNUSED_PAD src0_sel:DWORD src1_sel:BYTE_1
	v_and_b32_e32 v6, 0x7f, v0
	s_waitcnt vmcnt(0)
	v_mov_b32_e32 v1, v8
	buffer_store_dword v0, off, s[0:3], s32 offset:192 ; 4-byte Folded Spill
	buffer_store_dword v1, off, s[0:3], s32 offset:196 ; 4-byte Folded Spill
	;; [unrolled: 1-line block ×4, first 2 shown]
	v_cmpx_ne_u32_e32 0x7f, v6
	s_cbranch_execz .LBB200_535
; %bb.532:                              ;   in Loop: Header=BB200_9 Depth=1
	v_and_b32_e32 v82, 7, v0
	v_lshrrev_b32_e32 v5, 3, v6
	s_mov_b32 s21, exec_lo
	v_cmpx_gt_u32_e32 8, v6
; %bb.533:                              ;   in Loop: Header=BB200_9 Depth=1
	v_ffbh_u32_e32 v5, v82
	v_min_u32_e32 v5, 32, v5
	v_subrev_nc_u32_e32 v6, 28, v5
	v_sub_nc_u32_e32 v5, 29, v5
	v_lshlrev_b64 v[6:7], v6, v[82:83]
	v_and_b32_e32 v82, 7, v6
; %bb.534:                              ;   in Loop: Header=BB200_9 Depth=1
	s_or_b32 exec_lo, exec_lo, s21
	v_lshlrev_b32_e32 v4, 16, v4
	v_lshlrev_b32_e32 v0, 20, v82
	v_lshl_add_u32 v5, v5, 23, 0x3c000000
	v_and_b32_e32 v4, 0x80000000, v4
	v_or3_b32 v1, v0, v4, v5
	v_mov_b32_e32 v0, v83
	buffer_store_dword v0, off, s[0:3], s32 offset:728 ; 4-byte Folded Spill
	buffer_store_dword v1, off, s[0:3], s32 offset:732 ; 4-byte Folded Spill
.LBB200_535:                            ;   in Loop: Header=BB200_9 Depth=1
	s_or_b32 exec_lo, exec_lo, s20
.LBB200_536:                            ;   in Loop: Header=BB200_9 Depth=1
	s_or_b32 exec_lo, exec_lo, s19
.LBB200_537:                            ;   in Loop: Header=BB200_9 Depth=1
	s_or_b32 exec_lo, exec_lo, s17
	buffer_load_dword v0, off, s[0:3], s32 offset:208 ; 4-byte Folded Reload
	s_waitcnt vmcnt(0)
	v_add_co_u32 v4, s6, v2, v0
	v_add_co_ci_u32_e64 v5, null, 0, v3, s6
	flat_load_ushort v0, v[4:5]
	s_waitcnt vmcnt(0) lgkmcnt(0)
	v_and_b32_e32 v4, 0xffff, v0
	v_cmp_ne_u16_sdwa s6, v0, v83 src0_sel:BYTE_0 src1_sel:DWORD
	v_mov_b32_e32 v0, 0
	v_mov_b32_e32 v1, 0
	buffer_store_dword v0, off, s[0:3], s32 offset:744 ; 4-byte Folded Spill
	buffer_store_dword v1, off, s[0:3], s32 offset:748 ; 4-byte Folded Spill
	v_mov_b32_e32 v0, 0
	v_mov_b32_e32 v1, 0
	buffer_store_dword v0, off, s[0:3], s32 offset:736 ; 4-byte Folded Spill
	buffer_store_dword v1, off, s[0:3], s32 offset:740 ; 4-byte Folded Spill
	s_and_saveexec_b32 s17, s6
	s_cbranch_execz .LBB200_545
; %bb.538:                              ;   in Loop: Header=BB200_9 Depth=1
	v_bfrev_b32_e32 v0, 1
	v_mov_b32_e32 v1, 0
	buffer_store_dword v0, off, s[0:3], s32 offset:736 ; 4-byte Folded Spill
	buffer_store_dword v1, off, s[0:3], s32 offset:740 ; 4-byte Folded Spill
	v_mov_b32_e32 v0, 0x80
	v_cmp_ne_u16_sdwa s6, v4, v0 src0_sel:BYTE_0 src1_sel:DWORD
	s_and_saveexec_b32 s19, s6
	s_cbranch_execz .LBB200_544
; %bb.539:                              ;   in Loop: Header=BB200_9 Depth=1
	v_mov_b32_e32 v0, 0x7f800001
	v_and_b32_e32 v6, 0x7f, v4
	v_mov_b32_e32 v1, 0
	s_mov_b32 s20, exec_lo
	buffer_store_dword v0, off, s[0:3], s32 offset:736 ; 4-byte Folded Spill
	buffer_store_dword v1, off, s[0:3], s32 offset:740 ; 4-byte Folded Spill
	v_cmpx_ne_u32_e32 0x7f, v6
	s_cbranch_execz .LBB200_543
; %bb.540:                              ;   in Loop: Header=BB200_9 Depth=1
	v_and_b32_e32 v82, 7, v4
	v_lshrrev_b32_e32 v5, 3, v6
	s_mov_b32 s21, exec_lo
	v_cmpx_gt_u32_e32 8, v6
; %bb.541:                              ;   in Loop: Header=BB200_9 Depth=1
	v_ffbh_u32_e32 v5, v82
	v_min_u32_e32 v5, 32, v5
	v_subrev_nc_u32_e32 v6, 28, v5
	v_sub_nc_u32_e32 v5, 29, v5
	v_lshlrev_b64 v[6:7], v6, v[82:83]
	v_and_b32_e32 v82, 7, v6
; %bb.542:                              ;   in Loop: Header=BB200_9 Depth=1
	s_or_b32 exec_lo, exec_lo, s21
	v_lshlrev_b32_e32 v6, 24, v4
	v_lshlrev_b32_e32 v0, 20, v82
	v_lshl_add_u32 v5, v5, 23, 0x3c000000
	v_and_b32_e32 v6, 0x80000000, v6
	v_or3_b32 v82, v0, v6, v5
	buffer_store_dword v82, off, s[0:3], s32 offset:736 ; 4-byte Folded Spill
	buffer_store_dword v83, off, s[0:3], s32 offset:740 ; 4-byte Folded Spill
.LBB200_543:                            ;   in Loop: Header=BB200_9 Depth=1
	s_or_b32 exec_lo, exec_lo, s20
.LBB200_544:                            ;   in Loop: Header=BB200_9 Depth=1
	s_or_b32 exec_lo, exec_lo, s19
.LBB200_545:                            ;   in Loop: Header=BB200_9 Depth=1
	s_or_b32 exec_lo, exec_lo, s17
	v_cmp_ne_u16_sdwa s6, v4, v83 src0_sel:BYTE_1 src1_sel:DWORD
	s_and_saveexec_b32 s17, s6
	s_cbranch_execz .LBB200_553
; %bb.546:                              ;   in Loop: Header=BB200_9 Depth=1
	v_mov_b32_e32 v0, 0x80
	v_mov_b32_e32 v50, v83
	buffer_store_dword v50, off, s[0:3], s32 offset:744 ; 4-byte Folded Spill
	buffer_store_dword v51, off, s[0:3], s32 offset:748 ; 4-byte Folded Spill
	v_cmp_ne_u16_sdwa s6, v4, v0 src0_sel:BYTE_1 src1_sel:DWORD
	s_and_saveexec_b32 s19, s6
	s_cbranch_execz .LBB200_552
; %bb.547:                              ;   in Loop: Header=BB200_9 Depth=1
	s_clause 0x1
	buffer_load_dword v7, off, s[0:3], s32 offset:192
	buffer_load_dword v8, off, s[0:3], s32 offset:196
	v_mov_b32_e32 v0, 0xffff
	s_waitcnt vmcnt(1)
	v_mov_b32_e32 v7, v83
	s_mov_b32 s20, exec_lo
	v_and_b32_sdwa v0, v0, v4 dst_sel:DWORD dst_unused:UNUSED_PAD src0_sel:DWORD src1_sel:BYTE_1
	v_and_b32_e32 v6, 0x7f, v0
	s_waitcnt vmcnt(0)
	v_mov_b32_e32 v1, v8
	buffer_store_dword v0, off, s[0:3], s32 offset:192 ; 4-byte Folded Spill
	buffer_store_dword v1, off, s[0:3], s32 offset:196 ; 4-byte Folded Spill
	;; [unrolled: 1-line block ×4, first 2 shown]
	v_cmpx_ne_u32_e32 0x7f, v6
	s_cbranch_execz .LBB200_551
; %bb.548:                              ;   in Loop: Header=BB200_9 Depth=1
	v_and_b32_e32 v82, 7, v0
	v_lshrrev_b32_e32 v5, 3, v6
	s_mov_b32 s21, exec_lo
	v_cmpx_gt_u32_e32 8, v6
; %bb.549:                              ;   in Loop: Header=BB200_9 Depth=1
	v_ffbh_u32_e32 v5, v82
	v_min_u32_e32 v5, 32, v5
	v_subrev_nc_u32_e32 v6, 28, v5
	v_sub_nc_u32_e32 v5, 29, v5
	v_lshlrev_b64 v[6:7], v6, v[82:83]
	v_and_b32_e32 v82, 7, v6
; %bb.550:                              ;   in Loop: Header=BB200_9 Depth=1
	s_or_b32 exec_lo, exec_lo, s21
	v_lshlrev_b32_e32 v4, 16, v4
	v_lshlrev_b32_e32 v0, 20, v82
	v_lshl_add_u32 v5, v5, 23, 0x3c000000
	v_and_b32_e32 v4, 0x80000000, v4
	v_or3_b32 v1, v0, v4, v5
	v_mov_b32_e32 v0, v83
	buffer_store_dword v0, off, s[0:3], s32 offset:744 ; 4-byte Folded Spill
	buffer_store_dword v1, off, s[0:3], s32 offset:748 ; 4-byte Folded Spill
.LBB200_551:                            ;   in Loop: Header=BB200_9 Depth=1
	s_or_b32 exec_lo, exec_lo, s20
.LBB200_552:                            ;   in Loop: Header=BB200_9 Depth=1
	s_or_b32 exec_lo, exec_lo, s19
.LBB200_553:                            ;   in Loop: Header=BB200_9 Depth=1
	s_or_b32 exec_lo, exec_lo, s17
	buffer_load_dword v0, off, s[0:3], s32 offset:212 ; 4-byte Folded Reload
	s_waitcnt vmcnt(0)
	v_add_co_u32 v4, s6, v2, v0
	v_add_co_ci_u32_e64 v5, null, 0, v3, s6
	flat_load_ushort v0, v[4:5]
	s_waitcnt vmcnt(0) lgkmcnt(0)
	v_and_b32_e32 v4, 0xffff, v0
	v_cmp_ne_u16_sdwa s6, v0, v83 src0_sel:BYTE_0 src1_sel:DWORD
	v_mov_b32_e32 v0, 0
	v_mov_b32_e32 v1, 0
	buffer_store_dword v0, off, s[0:3], s32 offset:760 ; 4-byte Folded Spill
	buffer_store_dword v1, off, s[0:3], s32 offset:764 ; 4-byte Folded Spill
	v_mov_b32_e32 v0, 0
	v_mov_b32_e32 v1, 0
	buffer_store_dword v0, off, s[0:3], s32 offset:752 ; 4-byte Folded Spill
	buffer_store_dword v1, off, s[0:3], s32 offset:756 ; 4-byte Folded Spill
	s_and_saveexec_b32 s17, s6
	s_cbranch_execz .LBB200_561
; %bb.554:                              ;   in Loop: Header=BB200_9 Depth=1
	v_bfrev_b32_e32 v0, 1
	v_mov_b32_e32 v1, 0
	buffer_store_dword v0, off, s[0:3], s32 offset:752 ; 4-byte Folded Spill
	buffer_store_dword v1, off, s[0:3], s32 offset:756 ; 4-byte Folded Spill
	v_mov_b32_e32 v0, 0x80
	v_cmp_ne_u16_sdwa s6, v4, v0 src0_sel:BYTE_0 src1_sel:DWORD
	s_and_saveexec_b32 s19, s6
	s_cbranch_execz .LBB200_560
; %bb.555:                              ;   in Loop: Header=BB200_9 Depth=1
	v_mov_b32_e32 v0, 0x7f800001
	v_and_b32_e32 v6, 0x7f, v4
	v_mov_b32_e32 v1, 0
	s_mov_b32 s20, exec_lo
	buffer_store_dword v0, off, s[0:3], s32 offset:752 ; 4-byte Folded Spill
	buffer_store_dword v1, off, s[0:3], s32 offset:756 ; 4-byte Folded Spill
	v_cmpx_ne_u32_e32 0x7f, v6
	s_cbranch_execz .LBB200_559
; %bb.556:                              ;   in Loop: Header=BB200_9 Depth=1
	v_and_b32_e32 v82, 7, v4
	v_lshrrev_b32_e32 v5, 3, v6
	s_mov_b32 s21, exec_lo
	v_cmpx_gt_u32_e32 8, v6
; %bb.557:                              ;   in Loop: Header=BB200_9 Depth=1
	v_ffbh_u32_e32 v5, v82
	v_min_u32_e32 v5, 32, v5
	v_subrev_nc_u32_e32 v6, 28, v5
	v_sub_nc_u32_e32 v5, 29, v5
	v_lshlrev_b64 v[6:7], v6, v[82:83]
	v_and_b32_e32 v82, 7, v6
; %bb.558:                              ;   in Loop: Header=BB200_9 Depth=1
	s_or_b32 exec_lo, exec_lo, s21
	v_lshlrev_b32_e32 v6, 24, v4
	v_lshlrev_b32_e32 v0, 20, v82
	v_lshl_add_u32 v5, v5, 23, 0x3c000000
	v_and_b32_e32 v6, 0x80000000, v6
	v_or3_b32 v82, v0, v6, v5
	buffer_store_dword v82, off, s[0:3], s32 offset:752 ; 4-byte Folded Spill
	buffer_store_dword v83, off, s[0:3], s32 offset:756 ; 4-byte Folded Spill
.LBB200_559:                            ;   in Loop: Header=BB200_9 Depth=1
	s_or_b32 exec_lo, exec_lo, s20
.LBB200_560:                            ;   in Loop: Header=BB200_9 Depth=1
	s_or_b32 exec_lo, exec_lo, s19
.LBB200_561:                            ;   in Loop: Header=BB200_9 Depth=1
	s_or_b32 exec_lo, exec_lo, s17
	v_cmp_ne_u16_sdwa s6, v4, v83 src0_sel:BYTE_1 src1_sel:DWORD
	s_and_saveexec_b32 s17, s6
	s_cbranch_execz .LBB200_569
; %bb.562:                              ;   in Loop: Header=BB200_9 Depth=1
	v_mov_b32_e32 v0, 0x80
	v_mov_b32_e32 v50, v83
	buffer_store_dword v50, off, s[0:3], s32 offset:760 ; 4-byte Folded Spill
	buffer_store_dword v51, off, s[0:3], s32 offset:764 ; 4-byte Folded Spill
	v_cmp_ne_u16_sdwa s6, v4, v0 src0_sel:BYTE_1 src1_sel:DWORD
	s_and_saveexec_b32 s19, s6
	s_cbranch_execz .LBB200_568
; %bb.563:                              ;   in Loop: Header=BB200_9 Depth=1
	s_clause 0x1
	buffer_load_dword v7, off, s[0:3], s32 offset:192
	buffer_load_dword v8, off, s[0:3], s32 offset:196
	v_mov_b32_e32 v0, 0xffff
	s_waitcnt vmcnt(1)
	v_mov_b32_e32 v7, v83
	s_mov_b32 s20, exec_lo
	v_and_b32_sdwa v0, v0, v4 dst_sel:DWORD dst_unused:UNUSED_PAD src0_sel:DWORD src1_sel:BYTE_1
	v_and_b32_e32 v6, 0x7f, v0
	s_waitcnt vmcnt(0)
	v_mov_b32_e32 v1, v8
	buffer_store_dword v0, off, s[0:3], s32 offset:192 ; 4-byte Folded Spill
	buffer_store_dword v1, off, s[0:3], s32 offset:196 ; 4-byte Folded Spill
	;; [unrolled: 1-line block ×4, first 2 shown]
	v_cmpx_ne_u32_e32 0x7f, v6
	s_cbranch_execz .LBB200_567
; %bb.564:                              ;   in Loop: Header=BB200_9 Depth=1
	v_and_b32_e32 v82, 7, v0
	v_lshrrev_b32_e32 v5, 3, v6
	s_mov_b32 s21, exec_lo
	v_cmpx_gt_u32_e32 8, v6
; %bb.565:                              ;   in Loop: Header=BB200_9 Depth=1
	v_ffbh_u32_e32 v5, v82
	v_min_u32_e32 v5, 32, v5
	v_subrev_nc_u32_e32 v6, 28, v5
	v_sub_nc_u32_e32 v5, 29, v5
	v_lshlrev_b64 v[6:7], v6, v[82:83]
	v_and_b32_e32 v82, 7, v6
; %bb.566:                              ;   in Loop: Header=BB200_9 Depth=1
	s_or_b32 exec_lo, exec_lo, s21
	v_lshlrev_b32_e32 v4, 16, v4
	v_lshlrev_b32_e32 v0, 20, v82
	v_lshl_add_u32 v5, v5, 23, 0x3c000000
	v_and_b32_e32 v4, 0x80000000, v4
	v_or3_b32 v1, v0, v4, v5
	v_mov_b32_e32 v0, v83
	buffer_store_dword v0, off, s[0:3], s32 offset:760 ; 4-byte Folded Spill
	buffer_store_dword v1, off, s[0:3], s32 offset:764 ; 4-byte Folded Spill
.LBB200_567:                            ;   in Loop: Header=BB200_9 Depth=1
	s_or_b32 exec_lo, exec_lo, s20
.LBB200_568:                            ;   in Loop: Header=BB200_9 Depth=1
	s_or_b32 exec_lo, exec_lo, s19
.LBB200_569:                            ;   in Loop: Header=BB200_9 Depth=1
	s_or_b32 exec_lo, exec_lo, s17
	buffer_load_dword v0, off, s[0:3], s32 offset:216 ; 4-byte Folded Reload
	s_waitcnt vmcnt(0)
	v_add_co_u32 v2, s6, v2, v0
	v_add_co_ci_u32_e64 v3, null, 0, v3, s6
	flat_load_ushort v0, v[2:3]
	s_waitcnt vmcnt(0) lgkmcnt(0)
	v_and_b32_e32 v2, 0xffff, v0
	v_cmp_ne_u16_sdwa s6, v0, v83 src0_sel:BYTE_0 src1_sel:DWORD
	v_mov_b32_e32 v0, 0
	v_mov_b32_e32 v1, 0
	buffer_store_dword v0, off, s[0:3], s32 offset:776 ; 4-byte Folded Spill
	buffer_store_dword v1, off, s[0:3], s32 offset:780 ; 4-byte Folded Spill
	v_mov_b32_e32 v0, 0
	v_mov_b32_e32 v1, 0
	buffer_store_dword v0, off, s[0:3], s32 offset:768 ; 4-byte Folded Spill
	buffer_store_dword v1, off, s[0:3], s32 offset:772 ; 4-byte Folded Spill
	s_and_saveexec_b32 s17, s6
	s_cbranch_execz .LBB200_577
; %bb.570:                              ;   in Loop: Header=BB200_9 Depth=1
	v_bfrev_b32_e32 v0, 1
	v_mov_b32_e32 v1, 0
	buffer_store_dword v0, off, s[0:3], s32 offset:768 ; 4-byte Folded Spill
	buffer_store_dword v1, off, s[0:3], s32 offset:772 ; 4-byte Folded Spill
	v_mov_b32_e32 v0, 0x80
	v_cmp_ne_u16_sdwa s6, v2, v0 src0_sel:BYTE_0 src1_sel:DWORD
	s_and_saveexec_b32 s19, s6
	s_cbranch_execz .LBB200_576
; %bb.571:                              ;   in Loop: Header=BB200_9 Depth=1
	v_mov_b32_e32 v0, 0x7f800001
	v_and_b32_e32 v4, 0x7f, v2
	v_mov_b32_e32 v1, 0
	s_mov_b32 s20, exec_lo
	buffer_store_dword v0, off, s[0:3], s32 offset:768 ; 4-byte Folded Spill
	buffer_store_dword v1, off, s[0:3], s32 offset:772 ; 4-byte Folded Spill
	v_cmpx_ne_u32_e32 0x7f, v4
	s_cbranch_execz .LBB200_575
; %bb.572:                              ;   in Loop: Header=BB200_9 Depth=1
	v_and_b32_e32 v82, 7, v2
	v_lshrrev_b32_e32 v3, 3, v4
	s_mov_b32 s21, exec_lo
	v_cmpx_gt_u32_e32 8, v4
; %bb.573:                              ;   in Loop: Header=BB200_9 Depth=1
	v_ffbh_u32_e32 v3, v82
	v_min_u32_e32 v3, 32, v3
	v_subrev_nc_u32_e32 v4, 28, v3
	v_sub_nc_u32_e32 v3, 29, v3
	v_lshlrev_b64 v[4:5], v4, v[82:83]
	v_and_b32_e32 v82, 7, v4
; %bb.574:                              ;   in Loop: Header=BB200_9 Depth=1
	s_or_b32 exec_lo, exec_lo, s21
	v_lshlrev_b32_e32 v4, 24, v2
	v_lshlrev_b32_e32 v0, 20, v82
	v_lshl_add_u32 v3, v3, 23, 0x3c000000
	v_and_b32_e32 v4, 0x80000000, v4
	v_or3_b32 v82, v0, v4, v3
	buffer_store_dword v82, off, s[0:3], s32 offset:768 ; 4-byte Folded Spill
	buffer_store_dword v83, off, s[0:3], s32 offset:772 ; 4-byte Folded Spill
.LBB200_575:                            ;   in Loop: Header=BB200_9 Depth=1
	s_or_b32 exec_lo, exec_lo, s20
.LBB200_576:                            ;   in Loop: Header=BB200_9 Depth=1
	s_or_b32 exec_lo, exec_lo, s19
.LBB200_577:                            ;   in Loop: Header=BB200_9 Depth=1
	s_or_b32 exec_lo, exec_lo, s17
	v_cmp_ne_u16_sdwa s6, v2, v83 src0_sel:BYTE_1 src1_sel:DWORD
	s_and_saveexec_b32 s17, s6
	s_cbranch_execz .LBB200_585
; %bb.578:                              ;   in Loop: Header=BB200_9 Depth=1
	v_mov_b32_e32 v0, 0x80
	v_mov_b32_e32 v50, v83
	buffer_store_dword v50, off, s[0:3], s32 offset:776 ; 4-byte Folded Spill
	buffer_store_dword v51, off, s[0:3], s32 offset:780 ; 4-byte Folded Spill
	v_cmp_ne_u16_sdwa s6, v2, v0 src0_sel:BYTE_1 src1_sel:DWORD
	s_and_saveexec_b32 s19, s6
	s_cbranch_execz .LBB200_584
; %bb.579:                              ;   in Loop: Header=BB200_9 Depth=1
	s_clause 0x1
	buffer_load_dword v5, off, s[0:3], s32 offset:192
	buffer_load_dword v6, off, s[0:3], s32 offset:196
	v_mov_b32_e32 v0, 0xffff
	s_waitcnt vmcnt(1)
	v_mov_b32_e32 v5, v83
	s_mov_b32 s20, exec_lo
	v_and_b32_sdwa v0, v0, v2 dst_sel:DWORD dst_unused:UNUSED_PAD src0_sel:DWORD src1_sel:BYTE_1
	v_and_b32_e32 v4, 0x7f, v0
	s_waitcnt vmcnt(0)
	v_mov_b32_e32 v1, v6
	buffer_store_dword v0, off, s[0:3], s32 offset:192 ; 4-byte Folded Spill
	buffer_store_dword v1, off, s[0:3], s32 offset:196 ; 4-byte Folded Spill
	;; [unrolled: 1-line block ×4, first 2 shown]
	v_cmpx_ne_u32_e32 0x7f, v4
	s_cbranch_execz .LBB200_583
; %bb.580:                              ;   in Loop: Header=BB200_9 Depth=1
	v_and_b32_e32 v82, 7, v0
	v_lshrrev_b32_e32 v3, 3, v4
	s_mov_b32 s21, exec_lo
	v_cmpx_gt_u32_e32 8, v4
; %bb.581:                              ;   in Loop: Header=BB200_9 Depth=1
	v_ffbh_u32_e32 v3, v82
	v_min_u32_e32 v3, 32, v3
	v_subrev_nc_u32_e32 v4, 28, v3
	v_sub_nc_u32_e32 v3, 29, v3
	v_lshlrev_b64 v[4:5], v4, v[82:83]
	v_and_b32_e32 v82, 7, v4
; %bb.582:                              ;   in Loop: Header=BB200_9 Depth=1
	s_or_b32 exec_lo, exec_lo, s21
	v_lshlrev_b32_e32 v2, 16, v2
	v_lshlrev_b32_e32 v0, 20, v82
	v_lshl_add_u32 v3, v3, 23, 0x3c000000
	v_and_b32_e32 v2, 0x80000000, v2
	v_or3_b32 v1, v0, v2, v3
	v_mov_b32_e32 v0, v83
	buffer_store_dword v0, off, s[0:3], s32 offset:776 ; 4-byte Folded Spill
	buffer_store_dword v1, off, s[0:3], s32 offset:780 ; 4-byte Folded Spill
.LBB200_583:                            ;   in Loop: Header=BB200_9 Depth=1
	s_or_b32 exec_lo, exec_lo, s20
.LBB200_584:                            ;   in Loop: Header=BB200_9 Depth=1
	s_or_b32 exec_lo, exec_lo, s19
.LBB200_585:                            ;   in Loop: Header=BB200_9 Depth=1
	s_or_b32 exec_lo, exec_lo, s17
	buffer_load_dword v0, off, s[0:3], s32 offset:204 ; 4-byte Folded Reload
	v_add_co_u32 v2, s6, 0x900, v52
	v_add_co_ci_u32_e64 v3, null, 0, v53, s6
	v_mov_b32_e32 v64, 0
	v_mov_b32_e32 v65, 0
	s_waitcnt vmcnt(0)
	v_add_co_u32 v4, s6, v2, v0
	v_add_co_ci_u32_e64 v5, null, 0, v3, s6
	flat_load_ushort v0, v[4:5]
	s_waitcnt vmcnt(0) lgkmcnt(0)
	v_and_b32_e32 v4, 0xffff, v0
	v_cmp_ne_u16_sdwa s6, v0, v83 src0_sel:BYTE_0 src1_sel:DWORD
	v_mov_b32_e32 v0, 0
	v_mov_b32_e32 v1, 0
	buffer_store_dword v0, off, s[0:3], s32 offset:784 ; 4-byte Folded Spill
	buffer_store_dword v1, off, s[0:3], s32 offset:788 ; 4-byte Folded Spill
	s_and_saveexec_b32 s17, s6
	s_cbranch_execz .LBB200_593
; %bb.586:                              ;   in Loop: Header=BB200_9 Depth=1
	v_bfrev_b32_e32 v0, 1
	v_mov_b32_e32 v1, 0
	buffer_store_dword v0, off, s[0:3], s32 offset:784 ; 4-byte Folded Spill
	buffer_store_dword v1, off, s[0:3], s32 offset:788 ; 4-byte Folded Spill
	v_mov_b32_e32 v0, 0x80
	v_cmp_ne_u16_sdwa s6, v4, v0 src0_sel:BYTE_0 src1_sel:DWORD
	s_and_saveexec_b32 s19, s6
	s_cbranch_execz .LBB200_592
; %bb.587:                              ;   in Loop: Header=BB200_9 Depth=1
	v_mov_b32_e32 v0, 0x7f800001
	v_and_b32_e32 v6, 0x7f, v4
	v_mov_b32_e32 v1, 0
	s_mov_b32 s20, exec_lo
	buffer_store_dword v0, off, s[0:3], s32 offset:784 ; 4-byte Folded Spill
	buffer_store_dword v1, off, s[0:3], s32 offset:788 ; 4-byte Folded Spill
	v_cmpx_ne_u32_e32 0x7f, v6
	s_cbranch_execz .LBB200_591
; %bb.588:                              ;   in Loop: Header=BB200_9 Depth=1
	v_and_b32_e32 v82, 7, v4
	v_lshrrev_b32_e32 v5, 3, v6
	s_mov_b32 s21, exec_lo
	v_cmpx_gt_u32_e32 8, v6
; %bb.589:                              ;   in Loop: Header=BB200_9 Depth=1
	v_ffbh_u32_e32 v5, v82
	v_min_u32_e32 v5, 32, v5
	v_subrev_nc_u32_e32 v6, 28, v5
	v_sub_nc_u32_e32 v5, 29, v5
	v_lshlrev_b64 v[6:7], v6, v[82:83]
	v_and_b32_e32 v82, 7, v6
; %bb.590:                              ;   in Loop: Header=BB200_9 Depth=1
	s_or_b32 exec_lo, exec_lo, s21
	v_lshlrev_b32_e32 v6, 24, v4
	v_lshlrev_b32_e32 v0, 20, v82
	v_lshl_add_u32 v5, v5, 23, 0x3c000000
	v_and_b32_e32 v6, 0x80000000, v6
	v_or3_b32 v82, v0, v6, v5
	buffer_store_dword v82, off, s[0:3], s32 offset:784 ; 4-byte Folded Spill
	buffer_store_dword v83, off, s[0:3], s32 offset:788 ; 4-byte Folded Spill
.LBB200_591:                            ;   in Loop: Header=BB200_9 Depth=1
	s_or_b32 exec_lo, exec_lo, s20
.LBB200_592:                            ;   in Loop: Header=BB200_9 Depth=1
	s_or_b32 exec_lo, exec_lo, s19
.LBB200_593:                            ;   in Loop: Header=BB200_9 Depth=1
	s_or_b32 exec_lo, exec_lo, s17
	v_cmp_ne_u16_sdwa s6, v4, v83 src0_sel:BYTE_1 src1_sel:DWORD
	s_and_saveexec_b32 s17, s6
	s_cbranch_execz .LBB200_601
; %bb.594:                              ;   in Loop: Header=BB200_9 Depth=1
	v_mov_b32_e32 v50, v83
	v_mov_b32_e32 v0, 0x80
	;; [unrolled: 1-line block ×4, first 2 shown]
	v_cmp_ne_u16_sdwa s6, v4, v0 src0_sel:BYTE_1 src1_sel:DWORD
	s_and_saveexec_b32 s19, s6
	s_cbranch_execz .LBB200_600
; %bb.595:                              ;   in Loop: Header=BB200_9 Depth=1
	s_clause 0x1
	buffer_load_dword v64, off, s[0:3], s32 offset:192
	buffer_load_dword v65, off, s[0:3], s32 offset:196
	v_mov_b32_e32 v0, 0xffff
	s_waitcnt vmcnt(1)
	v_mov_b32_e32 v64, v83
	s_mov_b32 s20, exec_lo
	v_and_b32_sdwa v0, v0, v4 dst_sel:DWORD dst_unused:UNUSED_PAD src0_sel:DWORD src1_sel:BYTE_1
	v_and_b32_e32 v6, 0x7f, v0
	s_waitcnt vmcnt(0)
	v_mov_b32_e32 v1, v65
	buffer_store_dword v0, off, s[0:3], s32 offset:192 ; 4-byte Folded Spill
	buffer_store_dword v1, off, s[0:3], s32 offset:196 ; 4-byte Folded Spill
	v_cmpx_ne_u32_e32 0x7f, v6
	s_cbranch_execz .LBB200_599
; %bb.596:                              ;   in Loop: Header=BB200_9 Depth=1
	v_and_b32_e32 v82, 7, v0
	v_lshrrev_b32_e32 v5, 3, v6
	s_mov_b32 s21, exec_lo
	v_cmpx_gt_u32_e32 8, v6
; %bb.597:                              ;   in Loop: Header=BB200_9 Depth=1
	v_ffbh_u32_e32 v5, v82
	v_min_u32_e32 v5, 32, v5
	v_subrev_nc_u32_e32 v6, 28, v5
	v_sub_nc_u32_e32 v5, 29, v5
	v_lshlrev_b64 v[6:7], v6, v[82:83]
	v_and_b32_e32 v82, 7, v6
; %bb.598:                              ;   in Loop: Header=BB200_9 Depth=1
	s_or_b32 exec_lo, exec_lo, s21
	v_lshlrev_b32_e32 v4, 16, v4
	v_lshlrev_b32_e32 v0, 20, v82
	v_lshl_add_u32 v5, v5, 23, 0x3c000000
	v_mov_b32_e32 v64, v83
	v_and_b32_e32 v4, 0x80000000, v4
	v_or3_b32 v65, v0, v4, v5
.LBB200_599:                            ;   in Loop: Header=BB200_9 Depth=1
	s_or_b32 exec_lo, exec_lo, s20
.LBB200_600:                            ;   in Loop: Header=BB200_9 Depth=1
	s_or_b32 exec_lo, exec_lo, s19
.LBB200_601:                            ;   in Loop: Header=BB200_9 Depth=1
	s_or_b32 exec_lo, exec_lo, s17
	buffer_load_dword v0, off, s[0:3], s32 offset:208 ; 4-byte Folded Reload
	v_mov_b32_e32 v68, 0
	v_mov_b32_e32 v69, 0
	s_waitcnt vmcnt(0)
	v_add_co_u32 v4, s6, v2, v0
	v_add_co_ci_u32_e64 v5, null, 0, v3, s6
	flat_load_ushort v0, v[4:5]
	s_waitcnt vmcnt(0) lgkmcnt(0)
	v_and_b32_e32 v4, 0xffff, v0
	v_cmp_ne_u16_sdwa s6, v0, v83 src0_sel:BYTE_0 src1_sel:DWORD
	v_mov_b32_e32 v0, 0
	v_mov_b32_e32 v1, 0
	buffer_store_dword v0, off, s[0:3], s32 offset:792 ; 4-byte Folded Spill
	buffer_store_dword v1, off, s[0:3], s32 offset:796 ; 4-byte Folded Spill
	s_and_saveexec_b32 s17, s6
	s_cbranch_execz .LBB200_609
; %bb.602:                              ;   in Loop: Header=BB200_9 Depth=1
	v_bfrev_b32_e32 v0, 1
	v_mov_b32_e32 v1, 0
	buffer_store_dword v0, off, s[0:3], s32 offset:792 ; 4-byte Folded Spill
	buffer_store_dword v1, off, s[0:3], s32 offset:796 ; 4-byte Folded Spill
	v_mov_b32_e32 v0, 0x80
	v_cmp_ne_u16_sdwa s6, v4, v0 src0_sel:BYTE_0 src1_sel:DWORD
	s_and_saveexec_b32 s19, s6
	s_cbranch_execz .LBB200_608
; %bb.603:                              ;   in Loop: Header=BB200_9 Depth=1
	v_mov_b32_e32 v0, 0x7f800001
	v_and_b32_e32 v6, 0x7f, v4
	v_mov_b32_e32 v1, 0
	s_mov_b32 s20, exec_lo
	buffer_store_dword v0, off, s[0:3], s32 offset:792 ; 4-byte Folded Spill
	buffer_store_dword v1, off, s[0:3], s32 offset:796 ; 4-byte Folded Spill
	v_cmpx_ne_u32_e32 0x7f, v6
	s_cbranch_execz .LBB200_607
; %bb.604:                              ;   in Loop: Header=BB200_9 Depth=1
	v_and_b32_e32 v82, 7, v4
	v_lshrrev_b32_e32 v5, 3, v6
	s_mov_b32 s21, exec_lo
	v_cmpx_gt_u32_e32 8, v6
; %bb.605:                              ;   in Loop: Header=BB200_9 Depth=1
	v_ffbh_u32_e32 v5, v82
	v_min_u32_e32 v5, 32, v5
	v_subrev_nc_u32_e32 v6, 28, v5
	v_sub_nc_u32_e32 v5, 29, v5
	v_lshlrev_b64 v[6:7], v6, v[82:83]
	v_and_b32_e32 v82, 7, v6
; %bb.606:                              ;   in Loop: Header=BB200_9 Depth=1
	s_or_b32 exec_lo, exec_lo, s21
	v_lshlrev_b32_e32 v6, 24, v4
	v_lshlrev_b32_e32 v0, 20, v82
	v_lshl_add_u32 v5, v5, 23, 0x3c000000
	v_and_b32_e32 v6, 0x80000000, v6
	v_or3_b32 v82, v0, v6, v5
	buffer_store_dword v82, off, s[0:3], s32 offset:792 ; 4-byte Folded Spill
	buffer_store_dword v83, off, s[0:3], s32 offset:796 ; 4-byte Folded Spill
.LBB200_607:                            ;   in Loop: Header=BB200_9 Depth=1
	s_or_b32 exec_lo, exec_lo, s20
.LBB200_608:                            ;   in Loop: Header=BB200_9 Depth=1
	s_or_b32 exec_lo, exec_lo, s19
.LBB200_609:                            ;   in Loop: Header=BB200_9 Depth=1
	s_or_b32 exec_lo, exec_lo, s17
	v_cmp_ne_u16_sdwa s6, v4, v83 src0_sel:BYTE_1 src1_sel:DWORD
	s_and_saveexec_b32 s17, s6
	s_cbranch_execz .LBB200_617
; %bb.610:                              ;   in Loop: Header=BB200_9 Depth=1
	v_mov_b32_e32 v50, v83
	v_mov_b32_e32 v0, 0x80
	v_mov_b32_e32 v69, v51
	v_mov_b32_e32 v68, v50
	v_cmp_ne_u16_sdwa s6, v4, v0 src0_sel:BYTE_1 src1_sel:DWORD
	s_and_saveexec_b32 s19, s6
	s_cbranch_execz .LBB200_616
; %bb.611:                              ;   in Loop: Header=BB200_9 Depth=1
	s_clause 0x1
	buffer_load_dword v68, off, s[0:3], s32 offset:192
	buffer_load_dword v69, off, s[0:3], s32 offset:196
	v_mov_b32_e32 v0, 0xffff
	s_waitcnt vmcnt(1)
	v_mov_b32_e32 v68, v83
	s_mov_b32 s20, exec_lo
	v_and_b32_sdwa v0, v0, v4 dst_sel:DWORD dst_unused:UNUSED_PAD src0_sel:DWORD src1_sel:BYTE_1
	v_and_b32_e32 v6, 0x7f, v0
	s_waitcnt vmcnt(0)
	v_mov_b32_e32 v1, v69
	buffer_store_dword v0, off, s[0:3], s32 offset:192 ; 4-byte Folded Spill
	buffer_store_dword v1, off, s[0:3], s32 offset:196 ; 4-byte Folded Spill
	v_cmpx_ne_u32_e32 0x7f, v6
	s_cbranch_execz .LBB200_615
; %bb.612:                              ;   in Loop: Header=BB200_9 Depth=1
	v_and_b32_e32 v82, 7, v0
	v_lshrrev_b32_e32 v5, 3, v6
	s_mov_b32 s21, exec_lo
	v_cmpx_gt_u32_e32 8, v6
; %bb.613:                              ;   in Loop: Header=BB200_9 Depth=1
	v_ffbh_u32_e32 v5, v82
	v_min_u32_e32 v5, 32, v5
	v_subrev_nc_u32_e32 v6, 28, v5
	v_sub_nc_u32_e32 v5, 29, v5
	v_lshlrev_b64 v[6:7], v6, v[82:83]
	v_and_b32_e32 v82, 7, v6
; %bb.614:                              ;   in Loop: Header=BB200_9 Depth=1
	s_or_b32 exec_lo, exec_lo, s21
	v_lshlrev_b32_e32 v4, 16, v4
	v_lshlrev_b32_e32 v0, 20, v82
	v_lshl_add_u32 v5, v5, 23, 0x3c000000
	v_mov_b32_e32 v68, v83
	v_and_b32_e32 v4, 0x80000000, v4
	v_or3_b32 v69, v0, v4, v5
.LBB200_615:                            ;   in Loop: Header=BB200_9 Depth=1
	s_or_b32 exec_lo, exec_lo, s20
.LBB200_616:                            ;   in Loop: Header=BB200_9 Depth=1
	s_or_b32 exec_lo, exec_lo, s19
.LBB200_617:                            ;   in Loop: Header=BB200_9 Depth=1
	s_or_b32 exec_lo, exec_lo, s17
	buffer_load_dword v0, off, s[0:3], s32 offset:212 ; 4-byte Folded Reload
	v_mov_b32_e32 v80, 0
	v_mov_b32_e32 v98, 0
	;; [unrolled: 1-line block ×4, first 2 shown]
	s_waitcnt vmcnt(0)
	v_add_co_u32 v4, s6, v2, v0
	v_add_co_ci_u32_e64 v5, null, 0, v3, s6
	flat_load_ushort v0, v[4:5]
	s_waitcnt vmcnt(0) lgkmcnt(0)
	v_and_b32_e32 v4, 0xffff, v0
	v_cmp_ne_u16_sdwa s6, v0, v83 src0_sel:BYTE_0 src1_sel:DWORD
	s_and_saveexec_b32 s17, s6
	s_cbranch_execz .LBB200_625
; %bb.618:                              ;   in Loop: Header=BB200_9 Depth=1
	v_mov_b32_e32 v0, 0x80
	v_bfrev_b32_e32 v98, 1
	v_mov_b32_e32 v99, 0
	v_cmp_ne_u16_sdwa s6, v4, v0 src0_sel:BYTE_0 src1_sel:DWORD
	s_and_saveexec_b32 s19, s6
	s_cbranch_execz .LBB200_624
; %bb.619:                              ;   in Loop: Header=BB200_9 Depth=1
	v_mov_b32_e32 v98, 0x7f800001
	v_and_b32_e32 v6, 0x7f, v4
	v_mov_b32_e32 v99, 0
	s_mov_b32 s20, exec_lo
	v_cmpx_ne_u32_e32 0x7f, v6
	s_cbranch_execz .LBB200_623
; %bb.620:                              ;   in Loop: Header=BB200_9 Depth=1
	v_and_b32_e32 v82, 7, v4
	v_lshrrev_b32_e32 v5, 3, v6
	s_mov_b32 s21, exec_lo
	v_cmpx_gt_u32_e32 8, v6
; %bb.621:                              ;   in Loop: Header=BB200_9 Depth=1
	v_ffbh_u32_e32 v5, v82
	v_min_u32_e32 v5, 32, v5
	v_subrev_nc_u32_e32 v6, 28, v5
	v_sub_nc_u32_e32 v5, 29, v5
	v_lshlrev_b64 v[6:7], v6, v[82:83]
	v_and_b32_e32 v82, 7, v6
; %bb.622:                              ;   in Loop: Header=BB200_9 Depth=1
	s_or_b32 exec_lo, exec_lo, s21
	v_lshlrev_b32_e32 v6, 24, v4
	v_lshlrev_b32_e32 v0, 20, v82
	v_lshl_add_u32 v5, v5, 23, 0x3c000000
	v_and_b32_e32 v6, 0x80000000, v6
	v_or3_b32 v82, v0, v6, v5
	v_mov_b32_e32 v99, v83
	v_mov_b32_e32 v98, v82
.LBB200_623:                            ;   in Loop: Header=BB200_9 Depth=1
	s_or_b32 exec_lo, exec_lo, s20
.LBB200_624:                            ;   in Loop: Header=BB200_9 Depth=1
	s_or_b32 exec_lo, exec_lo, s19
.LBB200_625:                            ;   in Loop: Header=BB200_9 Depth=1
	s_or_b32 exec_lo, exec_lo, s17
	v_cmp_ne_u16_sdwa s6, v4, v83 src0_sel:BYTE_1 src1_sel:DWORD
	s_and_saveexec_b32 s17, s6
	s_cbranch_execz .LBB200_633
; %bb.626:                              ;   in Loop: Header=BB200_9 Depth=1
	v_mov_b32_e32 v50, v83
	v_mov_b32_e32 v0, 0x80
	;; [unrolled: 1-line block ×4, first 2 shown]
	v_cmp_ne_u16_sdwa s6, v4, v0 src0_sel:BYTE_1 src1_sel:DWORD
	s_and_saveexec_b32 s19, s6
	s_cbranch_execz .LBB200_632
; %bb.627:                              ;   in Loop: Header=BB200_9 Depth=1
	s_clause 0x1
	buffer_load_dword v80, off, s[0:3], s32 offset:192
	buffer_load_dword v81, off, s[0:3], s32 offset:196
	v_mov_b32_e32 v0, 0xffff
	s_waitcnt vmcnt(1)
	v_mov_b32_e32 v80, v83
	s_mov_b32 s20, exec_lo
	v_and_b32_sdwa v0, v0, v4 dst_sel:DWORD dst_unused:UNUSED_PAD src0_sel:DWORD src1_sel:BYTE_1
	v_and_b32_e32 v6, 0x7f, v0
	s_waitcnt vmcnt(0)
	v_mov_b32_e32 v1, v81
	buffer_store_dword v0, off, s[0:3], s32 offset:192 ; 4-byte Folded Spill
	buffer_store_dword v1, off, s[0:3], s32 offset:196 ; 4-byte Folded Spill
	v_cmpx_ne_u32_e32 0x7f, v6
	s_cbranch_execz .LBB200_631
; %bb.628:                              ;   in Loop: Header=BB200_9 Depth=1
	v_and_b32_e32 v82, 7, v0
	v_lshrrev_b32_e32 v5, 3, v6
	s_mov_b32 s21, exec_lo
	v_cmpx_gt_u32_e32 8, v6
; %bb.629:                              ;   in Loop: Header=BB200_9 Depth=1
	v_ffbh_u32_e32 v5, v82
	v_min_u32_e32 v5, 32, v5
	v_subrev_nc_u32_e32 v6, 28, v5
	v_sub_nc_u32_e32 v5, 29, v5
	v_lshlrev_b64 v[6:7], v6, v[82:83]
	v_and_b32_e32 v82, 7, v6
; %bb.630:                              ;   in Loop: Header=BB200_9 Depth=1
	s_or_b32 exec_lo, exec_lo, s21
	v_lshlrev_b32_e32 v4, 16, v4
	v_lshlrev_b32_e32 v0, 20, v82
	v_lshl_add_u32 v5, v5, 23, 0x3c000000
	v_mov_b32_e32 v80, v83
	v_and_b32_e32 v4, 0x80000000, v4
	v_or3_b32 v81, v0, v4, v5
.LBB200_631:                            ;   in Loop: Header=BB200_9 Depth=1
	s_or_b32 exec_lo, exec_lo, s20
.LBB200_632:                            ;   in Loop: Header=BB200_9 Depth=1
	s_or_b32 exec_lo, exec_lo, s19
.LBB200_633:                            ;   in Loop: Header=BB200_9 Depth=1
	s_or_b32 exec_lo, exec_lo, s17
	buffer_load_dword v0, off, s[0:3], s32 offset:216 ; 4-byte Folded Reload
	v_mov_b32_e32 v84, 0
	v_mov_b32_e32 v102, 0
	;; [unrolled: 1-line block ×4, first 2 shown]
	s_waitcnt vmcnt(0)
	v_add_co_u32 v2, s6, v2, v0
	v_add_co_ci_u32_e64 v3, null, 0, v3, s6
	flat_load_ushort v0, v[2:3]
	s_waitcnt vmcnt(0) lgkmcnt(0)
	v_and_b32_e32 v2, 0xffff, v0
	v_cmp_ne_u16_sdwa s6, v0, v83 src0_sel:BYTE_0 src1_sel:DWORD
	s_and_saveexec_b32 s17, s6
	s_cbranch_execz .LBB200_641
; %bb.634:                              ;   in Loop: Header=BB200_9 Depth=1
	v_mov_b32_e32 v0, 0x80
	v_bfrev_b32_e32 v102, 1
	v_mov_b32_e32 v103, 0
	v_cmp_ne_u16_sdwa s6, v2, v0 src0_sel:BYTE_0 src1_sel:DWORD
	s_and_saveexec_b32 s19, s6
	s_cbranch_execz .LBB200_640
; %bb.635:                              ;   in Loop: Header=BB200_9 Depth=1
	v_mov_b32_e32 v102, 0x7f800001
	v_and_b32_e32 v4, 0x7f, v2
	v_mov_b32_e32 v103, 0
	s_mov_b32 s20, exec_lo
	v_cmpx_ne_u32_e32 0x7f, v4
	s_cbranch_execz .LBB200_639
; %bb.636:                              ;   in Loop: Header=BB200_9 Depth=1
	v_and_b32_e32 v82, 7, v2
	v_lshrrev_b32_e32 v3, 3, v4
	s_mov_b32 s21, exec_lo
	v_cmpx_gt_u32_e32 8, v4
; %bb.637:                              ;   in Loop: Header=BB200_9 Depth=1
	v_ffbh_u32_e32 v3, v82
	v_min_u32_e32 v3, 32, v3
	v_subrev_nc_u32_e32 v4, 28, v3
	v_sub_nc_u32_e32 v3, 29, v3
	v_lshlrev_b64 v[4:5], v4, v[82:83]
	v_and_b32_e32 v82, 7, v4
; %bb.638:                              ;   in Loop: Header=BB200_9 Depth=1
	s_or_b32 exec_lo, exec_lo, s21
	v_lshlrev_b32_e32 v4, 24, v2
	v_lshlrev_b32_e32 v0, 20, v82
	v_lshl_add_u32 v3, v3, 23, 0x3c000000
	v_and_b32_e32 v4, 0x80000000, v4
	v_or3_b32 v82, v0, v4, v3
	v_mov_b32_e32 v103, v83
	v_mov_b32_e32 v102, v82
.LBB200_639:                            ;   in Loop: Header=BB200_9 Depth=1
	s_or_b32 exec_lo, exec_lo, s20
.LBB200_640:                            ;   in Loop: Header=BB200_9 Depth=1
	s_or_b32 exec_lo, exec_lo, s19
.LBB200_641:                            ;   in Loop: Header=BB200_9 Depth=1
	s_or_b32 exec_lo, exec_lo, s17
	v_cmp_ne_u16_sdwa s6, v2, v83 src0_sel:BYTE_1 src1_sel:DWORD
	s_and_saveexec_b32 s17, s6
	s_cbranch_execz .LBB200_649
; %bb.642:                              ;   in Loop: Header=BB200_9 Depth=1
	v_mov_b32_e32 v50, v83
	v_mov_b32_e32 v0, 0x80
	v_mov_b32_e32 v85, v51
	v_mov_b32_e32 v84, v50
	v_cmp_ne_u16_sdwa s6, v2, v0 src0_sel:BYTE_1 src1_sel:DWORD
	s_and_saveexec_b32 s19, s6
	s_cbranch_execz .LBB200_648
; %bb.643:                              ;   in Loop: Header=BB200_9 Depth=1
	s_clause 0x1
	buffer_load_dword v84, off, s[0:3], s32 offset:192
	buffer_load_dword v85, off, s[0:3], s32 offset:196
	v_mov_b32_e32 v0, 0xffff
	s_waitcnt vmcnt(1)
	v_mov_b32_e32 v84, v83
	s_mov_b32 s20, exec_lo
	v_and_b32_sdwa v0, v0, v2 dst_sel:DWORD dst_unused:UNUSED_PAD src0_sel:DWORD src1_sel:BYTE_1
	v_and_b32_e32 v4, 0x7f, v0
	s_waitcnt vmcnt(0)
	v_mov_b32_e32 v1, v85
	buffer_store_dword v0, off, s[0:3], s32 offset:192 ; 4-byte Folded Spill
	buffer_store_dword v1, off, s[0:3], s32 offset:196 ; 4-byte Folded Spill
	v_cmpx_ne_u32_e32 0x7f, v4
	s_cbranch_execz .LBB200_647
; %bb.644:                              ;   in Loop: Header=BB200_9 Depth=1
	v_and_b32_e32 v82, 7, v0
	v_lshrrev_b32_e32 v3, 3, v4
	s_mov_b32 s21, exec_lo
	v_cmpx_gt_u32_e32 8, v4
; %bb.645:                              ;   in Loop: Header=BB200_9 Depth=1
	v_ffbh_u32_e32 v3, v82
	v_min_u32_e32 v3, 32, v3
	v_subrev_nc_u32_e32 v4, 28, v3
	v_sub_nc_u32_e32 v3, 29, v3
	v_lshlrev_b64 v[4:5], v4, v[82:83]
	v_and_b32_e32 v82, 7, v4
; %bb.646:                              ;   in Loop: Header=BB200_9 Depth=1
	s_or_b32 exec_lo, exec_lo, s21
	v_lshlrev_b32_e32 v2, 16, v2
	v_lshlrev_b32_e32 v0, 20, v82
	v_lshl_add_u32 v3, v3, 23, 0x3c000000
	v_mov_b32_e32 v84, v83
	v_and_b32_e32 v2, 0x80000000, v2
	v_or3_b32 v85, v0, v2, v3
.LBB200_647:                            ;   in Loop: Header=BB200_9 Depth=1
	s_or_b32 exec_lo, exec_lo, s20
.LBB200_648:                            ;   in Loop: Header=BB200_9 Depth=1
	s_or_b32 exec_lo, exec_lo, s19
.LBB200_649:                            ;   in Loop: Header=BB200_9 Depth=1
	s_or_b32 exec_lo, exec_lo, s17
	buffer_load_dword v0, off, s[0:3], s32 offset:204 ; 4-byte Folded Reload
	v_add_co_u32 v2, s6, 0xa00, v52
	v_add_co_ci_u32_e64 v3, null, 0, v53, s6
	v_mov_b32_e32 v96, 0
	v_mov_b32_e32 v114, 0
	;; [unrolled: 1-line block ×4, first 2 shown]
	s_waitcnt vmcnt(0)
	v_add_co_u32 v4, s6, v2, v0
	v_add_co_ci_u32_e64 v5, null, 0, v3, s6
	flat_load_ushort v0, v[4:5]
	s_waitcnt vmcnt(0) lgkmcnt(0)
	v_and_b32_e32 v4, 0xffff, v0
	v_cmp_ne_u16_sdwa s6, v0, v83 src0_sel:BYTE_0 src1_sel:DWORD
	s_and_saveexec_b32 s17, s6
	s_cbranch_execz .LBB200_657
; %bb.650:                              ;   in Loop: Header=BB200_9 Depth=1
	v_mov_b32_e32 v0, 0x80
	v_bfrev_b32_e32 v114, 1
	v_mov_b32_e32 v115, 0
	v_cmp_ne_u16_sdwa s6, v4, v0 src0_sel:BYTE_0 src1_sel:DWORD
	s_and_saveexec_b32 s19, s6
	s_cbranch_execz .LBB200_656
; %bb.651:                              ;   in Loop: Header=BB200_9 Depth=1
	v_mov_b32_e32 v114, 0x7f800001
	v_and_b32_e32 v6, 0x7f, v4
	v_mov_b32_e32 v115, 0
	s_mov_b32 s20, exec_lo
	v_cmpx_ne_u32_e32 0x7f, v6
	s_cbranch_execz .LBB200_655
; %bb.652:                              ;   in Loop: Header=BB200_9 Depth=1
	v_and_b32_e32 v82, 7, v4
	v_lshrrev_b32_e32 v5, 3, v6
	s_mov_b32 s21, exec_lo
	v_cmpx_gt_u32_e32 8, v6
; %bb.653:                              ;   in Loop: Header=BB200_9 Depth=1
	v_ffbh_u32_e32 v5, v82
	v_min_u32_e32 v5, 32, v5
	v_subrev_nc_u32_e32 v6, 28, v5
	v_sub_nc_u32_e32 v5, 29, v5
	v_lshlrev_b64 v[6:7], v6, v[82:83]
	v_and_b32_e32 v82, 7, v6
; %bb.654:                              ;   in Loop: Header=BB200_9 Depth=1
	s_or_b32 exec_lo, exec_lo, s21
	v_lshlrev_b32_e32 v6, 24, v4
	v_lshlrev_b32_e32 v0, 20, v82
	v_lshl_add_u32 v5, v5, 23, 0x3c000000
	v_and_b32_e32 v6, 0x80000000, v6
	v_or3_b32 v82, v0, v6, v5
	v_mov_b32_e32 v115, v83
	v_mov_b32_e32 v114, v82
.LBB200_655:                            ;   in Loop: Header=BB200_9 Depth=1
	s_or_b32 exec_lo, exec_lo, s20
.LBB200_656:                            ;   in Loop: Header=BB200_9 Depth=1
	s_or_b32 exec_lo, exec_lo, s19
.LBB200_657:                            ;   in Loop: Header=BB200_9 Depth=1
	s_or_b32 exec_lo, exec_lo, s17
	v_cmp_ne_u16_sdwa s6, v4, v83 src0_sel:BYTE_1 src1_sel:DWORD
	s_and_saveexec_b32 s17, s6
	s_cbranch_execz .LBB200_665
; %bb.658:                              ;   in Loop: Header=BB200_9 Depth=1
	v_mov_b32_e32 v50, v83
	v_mov_b32_e32 v0, 0x80
	;; [unrolled: 1-line block ×4, first 2 shown]
	v_cmp_ne_u16_sdwa s6, v4, v0 src0_sel:BYTE_1 src1_sel:DWORD
	s_and_saveexec_b32 s19, s6
	s_cbranch_execz .LBB200_664
; %bb.659:                              ;   in Loop: Header=BB200_9 Depth=1
	s_clause 0x1
	buffer_load_dword v96, off, s[0:3], s32 offset:192
	buffer_load_dword v97, off, s[0:3], s32 offset:196
	v_mov_b32_e32 v0, 0xffff
	s_waitcnt vmcnt(1)
	v_mov_b32_e32 v96, v83
	s_mov_b32 s20, exec_lo
	v_and_b32_sdwa v0, v0, v4 dst_sel:DWORD dst_unused:UNUSED_PAD src0_sel:DWORD src1_sel:BYTE_1
	v_and_b32_e32 v6, 0x7f, v0
	s_waitcnt vmcnt(0)
	v_mov_b32_e32 v1, v97
	buffer_store_dword v0, off, s[0:3], s32 offset:192 ; 4-byte Folded Spill
	buffer_store_dword v1, off, s[0:3], s32 offset:196 ; 4-byte Folded Spill
	v_cmpx_ne_u32_e32 0x7f, v6
	s_cbranch_execz .LBB200_663
; %bb.660:                              ;   in Loop: Header=BB200_9 Depth=1
	v_and_b32_e32 v82, 7, v0
	v_lshrrev_b32_e32 v5, 3, v6
	s_mov_b32 s21, exec_lo
	v_cmpx_gt_u32_e32 8, v6
; %bb.661:                              ;   in Loop: Header=BB200_9 Depth=1
	v_ffbh_u32_e32 v5, v82
	v_min_u32_e32 v5, 32, v5
	v_subrev_nc_u32_e32 v6, 28, v5
	v_sub_nc_u32_e32 v5, 29, v5
	v_lshlrev_b64 v[6:7], v6, v[82:83]
	v_and_b32_e32 v82, 7, v6
; %bb.662:                              ;   in Loop: Header=BB200_9 Depth=1
	s_or_b32 exec_lo, exec_lo, s21
	v_lshlrev_b32_e32 v4, 16, v4
	v_lshlrev_b32_e32 v0, 20, v82
	v_lshl_add_u32 v5, v5, 23, 0x3c000000
	v_mov_b32_e32 v96, v83
	v_and_b32_e32 v4, 0x80000000, v4
	v_or3_b32 v97, v0, v4, v5
.LBB200_663:                            ;   in Loop: Header=BB200_9 Depth=1
	s_or_b32 exec_lo, exec_lo, s20
.LBB200_664:                            ;   in Loop: Header=BB200_9 Depth=1
	s_or_b32 exec_lo, exec_lo, s19
.LBB200_665:                            ;   in Loop: Header=BB200_9 Depth=1
	s_or_b32 exec_lo, exec_lo, s17
	buffer_load_dword v0, off, s[0:3], s32 offset:208 ; 4-byte Folded Reload
	v_mov_b32_e32 v100, 0
	v_mov_b32_e32 v118, 0
	;; [unrolled: 1-line block ×4, first 2 shown]
	s_waitcnt vmcnt(0)
	v_add_co_u32 v4, s6, v2, v0
	v_add_co_ci_u32_e64 v5, null, 0, v3, s6
	flat_load_ushort v0, v[4:5]
	s_waitcnt vmcnt(0) lgkmcnt(0)
	v_and_b32_e32 v4, 0xffff, v0
	v_cmp_ne_u16_sdwa s6, v0, v83 src0_sel:BYTE_0 src1_sel:DWORD
	s_and_saveexec_b32 s17, s6
	s_cbranch_execz .LBB200_673
; %bb.666:                              ;   in Loop: Header=BB200_9 Depth=1
	v_mov_b32_e32 v0, 0x80
	v_bfrev_b32_e32 v118, 1
	v_mov_b32_e32 v119, 0
	v_cmp_ne_u16_sdwa s6, v4, v0 src0_sel:BYTE_0 src1_sel:DWORD
	s_and_saveexec_b32 s19, s6
	s_cbranch_execz .LBB200_672
; %bb.667:                              ;   in Loop: Header=BB200_9 Depth=1
	v_mov_b32_e32 v118, 0x7f800001
	v_and_b32_e32 v6, 0x7f, v4
	v_mov_b32_e32 v119, 0
	s_mov_b32 s20, exec_lo
	v_cmpx_ne_u32_e32 0x7f, v6
	s_cbranch_execz .LBB200_671
; %bb.668:                              ;   in Loop: Header=BB200_9 Depth=1
	v_and_b32_e32 v82, 7, v4
	v_lshrrev_b32_e32 v5, 3, v6
	s_mov_b32 s21, exec_lo
	v_cmpx_gt_u32_e32 8, v6
; %bb.669:                              ;   in Loop: Header=BB200_9 Depth=1
	v_ffbh_u32_e32 v5, v82
	v_min_u32_e32 v5, 32, v5
	v_subrev_nc_u32_e32 v6, 28, v5
	v_sub_nc_u32_e32 v5, 29, v5
	v_lshlrev_b64 v[6:7], v6, v[82:83]
	v_and_b32_e32 v82, 7, v6
; %bb.670:                              ;   in Loop: Header=BB200_9 Depth=1
	s_or_b32 exec_lo, exec_lo, s21
	v_lshlrev_b32_e32 v6, 24, v4
	v_lshlrev_b32_e32 v0, 20, v82
	v_lshl_add_u32 v5, v5, 23, 0x3c000000
	v_and_b32_e32 v6, 0x80000000, v6
	v_or3_b32 v82, v0, v6, v5
	v_mov_b32_e32 v119, v83
	v_mov_b32_e32 v118, v82
.LBB200_671:                            ;   in Loop: Header=BB200_9 Depth=1
	s_or_b32 exec_lo, exec_lo, s20
.LBB200_672:                            ;   in Loop: Header=BB200_9 Depth=1
	s_or_b32 exec_lo, exec_lo, s19
.LBB200_673:                            ;   in Loop: Header=BB200_9 Depth=1
	s_or_b32 exec_lo, exec_lo, s17
	v_cmp_ne_u16_sdwa s6, v4, v83 src0_sel:BYTE_1 src1_sel:DWORD
	s_and_saveexec_b32 s17, s6
	s_cbranch_execz .LBB200_681
; %bb.674:                              ;   in Loop: Header=BB200_9 Depth=1
	v_mov_b32_e32 v50, v83
	v_mov_b32_e32 v0, 0x80
	;; [unrolled: 1-line block ×4, first 2 shown]
	v_cmp_ne_u16_sdwa s6, v4, v0 src0_sel:BYTE_1 src1_sel:DWORD
	s_and_saveexec_b32 s19, s6
	s_cbranch_execz .LBB200_680
; %bb.675:                              ;   in Loop: Header=BB200_9 Depth=1
	s_clause 0x1
	buffer_load_dword v100, off, s[0:3], s32 offset:192
	buffer_load_dword v101, off, s[0:3], s32 offset:196
	v_mov_b32_e32 v0, 0xffff
	s_waitcnt vmcnt(1)
	v_mov_b32_e32 v100, v83
	s_mov_b32 s20, exec_lo
	v_and_b32_sdwa v0, v0, v4 dst_sel:DWORD dst_unused:UNUSED_PAD src0_sel:DWORD src1_sel:BYTE_1
	v_and_b32_e32 v6, 0x7f, v0
	s_waitcnt vmcnt(0)
	v_mov_b32_e32 v1, v101
	buffer_store_dword v0, off, s[0:3], s32 offset:192 ; 4-byte Folded Spill
	buffer_store_dword v1, off, s[0:3], s32 offset:196 ; 4-byte Folded Spill
	v_cmpx_ne_u32_e32 0x7f, v6
	s_cbranch_execz .LBB200_679
; %bb.676:                              ;   in Loop: Header=BB200_9 Depth=1
	v_and_b32_e32 v82, 7, v0
	v_lshrrev_b32_e32 v5, 3, v6
	s_mov_b32 s21, exec_lo
	v_cmpx_gt_u32_e32 8, v6
; %bb.677:                              ;   in Loop: Header=BB200_9 Depth=1
	v_ffbh_u32_e32 v5, v82
	v_min_u32_e32 v5, 32, v5
	v_subrev_nc_u32_e32 v6, 28, v5
	v_sub_nc_u32_e32 v5, 29, v5
	v_lshlrev_b64 v[6:7], v6, v[82:83]
	v_and_b32_e32 v82, 7, v6
; %bb.678:                              ;   in Loop: Header=BB200_9 Depth=1
	s_or_b32 exec_lo, exec_lo, s21
	v_lshlrev_b32_e32 v4, 16, v4
	v_lshlrev_b32_e32 v0, 20, v82
	v_lshl_add_u32 v5, v5, 23, 0x3c000000
	v_mov_b32_e32 v100, v83
	v_and_b32_e32 v4, 0x80000000, v4
	v_or3_b32 v101, v0, v4, v5
.LBB200_679:                            ;   in Loop: Header=BB200_9 Depth=1
	s_or_b32 exec_lo, exec_lo, s20
.LBB200_680:                            ;   in Loop: Header=BB200_9 Depth=1
	s_or_b32 exec_lo, exec_lo, s19
.LBB200_681:                            ;   in Loop: Header=BB200_9 Depth=1
	s_or_b32 exec_lo, exec_lo, s17
	buffer_load_dword v0, off, s[0:3], s32 offset:212 ; 4-byte Folded Reload
	v_mov_b32_e32 v112, 0
	v_mov_b32_e32 v42, 0
	;; [unrolled: 1-line block ×4, first 2 shown]
	s_waitcnt vmcnt(0)
	v_add_co_u32 v4, s6, v2, v0
	v_add_co_ci_u32_e64 v5, null, 0, v3, s6
	flat_load_ushort v0, v[4:5]
	s_waitcnt vmcnt(0) lgkmcnt(0)
	v_and_b32_e32 v4, 0xffff, v0
	v_cmp_ne_u16_sdwa s6, v0, v83 src0_sel:BYTE_0 src1_sel:DWORD
	s_and_saveexec_b32 s17, s6
	s_cbranch_execz .LBB200_689
; %bb.682:                              ;   in Loop: Header=BB200_9 Depth=1
	v_mov_b32_e32 v0, 0x80
	v_bfrev_b32_e32 v42, 1
	v_mov_b32_e32 v43, 0
	v_cmp_ne_u16_sdwa s6, v4, v0 src0_sel:BYTE_0 src1_sel:DWORD
	s_and_saveexec_b32 s19, s6
	s_cbranch_execz .LBB200_688
; %bb.683:                              ;   in Loop: Header=BB200_9 Depth=1
	v_mov_b32_e32 v42, 0x7f800001
	v_and_b32_e32 v6, 0x7f, v4
	v_mov_b32_e32 v43, 0
	s_mov_b32 s20, exec_lo
	v_cmpx_ne_u32_e32 0x7f, v6
	s_cbranch_execz .LBB200_687
; %bb.684:                              ;   in Loop: Header=BB200_9 Depth=1
	v_and_b32_e32 v82, 7, v4
	v_lshrrev_b32_e32 v5, 3, v6
	s_mov_b32 s21, exec_lo
	v_cmpx_gt_u32_e32 8, v6
; %bb.685:                              ;   in Loop: Header=BB200_9 Depth=1
	v_ffbh_u32_e32 v5, v82
	v_min_u32_e32 v5, 32, v5
	v_subrev_nc_u32_e32 v6, 28, v5
	v_sub_nc_u32_e32 v5, 29, v5
	v_lshlrev_b64 v[6:7], v6, v[82:83]
	v_and_b32_e32 v82, 7, v6
; %bb.686:                              ;   in Loop: Header=BB200_9 Depth=1
	s_or_b32 exec_lo, exec_lo, s21
	v_lshlrev_b32_e32 v6, 24, v4
	v_lshlrev_b32_e32 v0, 20, v82
	v_lshl_add_u32 v5, v5, 23, 0x3c000000
	v_and_b32_e32 v6, 0x80000000, v6
	v_or3_b32 v82, v0, v6, v5
	v_mov_b32_e32 v42, v82
	v_mov_b32_e32 v43, v83
.LBB200_687:                            ;   in Loop: Header=BB200_9 Depth=1
	s_or_b32 exec_lo, exec_lo, s20
.LBB200_688:                            ;   in Loop: Header=BB200_9 Depth=1
	s_or_b32 exec_lo, exec_lo, s19
.LBB200_689:                            ;   in Loop: Header=BB200_9 Depth=1
	s_or_b32 exec_lo, exec_lo, s17
	v_cmp_ne_u16_sdwa s6, v4, v83 src0_sel:BYTE_1 src1_sel:DWORD
	s_and_saveexec_b32 s17, s6
	s_cbranch_execz .LBB200_697
; %bb.690:                              ;   in Loop: Header=BB200_9 Depth=1
	v_mov_b32_e32 v50, v83
	v_mov_b32_e32 v0, 0x80
	;; [unrolled: 1-line block ×4, first 2 shown]
	v_cmp_ne_u16_sdwa s6, v4, v0 src0_sel:BYTE_1 src1_sel:DWORD
	s_and_saveexec_b32 s19, s6
	s_cbranch_execz .LBB200_696
; %bb.691:                              ;   in Loop: Header=BB200_9 Depth=1
	s_clause 0x1
	buffer_load_dword v112, off, s[0:3], s32 offset:192
	buffer_load_dword v113, off, s[0:3], s32 offset:196
	v_mov_b32_e32 v0, 0xffff
	s_waitcnt vmcnt(1)
	v_mov_b32_e32 v112, v83
	s_mov_b32 s20, exec_lo
	v_and_b32_sdwa v0, v0, v4 dst_sel:DWORD dst_unused:UNUSED_PAD src0_sel:DWORD src1_sel:BYTE_1
	v_and_b32_e32 v6, 0x7f, v0
	s_waitcnt vmcnt(0)
	v_mov_b32_e32 v1, v113
	buffer_store_dword v0, off, s[0:3], s32 offset:192 ; 4-byte Folded Spill
	buffer_store_dword v1, off, s[0:3], s32 offset:196 ; 4-byte Folded Spill
	v_cmpx_ne_u32_e32 0x7f, v6
	s_cbranch_execz .LBB200_695
; %bb.692:                              ;   in Loop: Header=BB200_9 Depth=1
	v_and_b32_e32 v82, 7, v0
	v_lshrrev_b32_e32 v5, 3, v6
	s_mov_b32 s21, exec_lo
	v_cmpx_gt_u32_e32 8, v6
; %bb.693:                              ;   in Loop: Header=BB200_9 Depth=1
	v_ffbh_u32_e32 v5, v82
	v_min_u32_e32 v5, 32, v5
	v_subrev_nc_u32_e32 v6, 28, v5
	v_sub_nc_u32_e32 v5, 29, v5
	v_lshlrev_b64 v[6:7], v6, v[82:83]
	v_and_b32_e32 v82, 7, v6
; %bb.694:                              ;   in Loop: Header=BB200_9 Depth=1
	s_or_b32 exec_lo, exec_lo, s21
	v_lshlrev_b32_e32 v4, 16, v4
	v_lshlrev_b32_e32 v0, 20, v82
	v_lshl_add_u32 v5, v5, 23, 0x3c000000
	v_mov_b32_e32 v112, v83
	v_and_b32_e32 v4, 0x80000000, v4
	v_or3_b32 v113, v0, v4, v5
.LBB200_695:                            ;   in Loop: Header=BB200_9 Depth=1
	s_or_b32 exec_lo, exec_lo, s20
.LBB200_696:                            ;   in Loop: Header=BB200_9 Depth=1
	s_or_b32 exec_lo, exec_lo, s19
.LBB200_697:                            ;   in Loop: Header=BB200_9 Depth=1
	s_or_b32 exec_lo, exec_lo, s17
	buffer_load_dword v0, off, s[0:3], s32 offset:216 ; 4-byte Folded Reload
	v_mov_b32_e32 v116, 0
	v_mov_b32_e32 v46, 0
	;; [unrolled: 1-line block ×4, first 2 shown]
	s_waitcnt vmcnt(0)
	v_add_co_u32 v2, s6, v2, v0
	v_add_co_ci_u32_e64 v3, null, 0, v3, s6
	flat_load_ushort v0, v[2:3]
	s_waitcnt vmcnt(0) lgkmcnt(0)
	v_and_b32_e32 v2, 0xffff, v0
	v_cmp_ne_u16_sdwa s6, v0, v83 src0_sel:BYTE_0 src1_sel:DWORD
	s_and_saveexec_b32 s17, s6
	s_cbranch_execz .LBB200_705
; %bb.698:                              ;   in Loop: Header=BB200_9 Depth=1
	v_mov_b32_e32 v0, 0x80
	v_bfrev_b32_e32 v46, 1
	v_mov_b32_e32 v47, 0
	v_cmp_ne_u16_sdwa s6, v2, v0 src0_sel:BYTE_0 src1_sel:DWORD
	s_and_saveexec_b32 s19, s6
	s_cbranch_execz .LBB200_704
; %bb.699:                              ;   in Loop: Header=BB200_9 Depth=1
	v_mov_b32_e32 v46, 0x7f800001
	v_and_b32_e32 v4, 0x7f, v2
	v_mov_b32_e32 v47, 0
	s_mov_b32 s20, exec_lo
	v_cmpx_ne_u32_e32 0x7f, v4
	s_cbranch_execz .LBB200_703
; %bb.700:                              ;   in Loop: Header=BB200_9 Depth=1
	v_and_b32_e32 v82, 7, v2
	v_lshrrev_b32_e32 v3, 3, v4
	s_mov_b32 s21, exec_lo
	v_cmpx_gt_u32_e32 8, v4
; %bb.701:                              ;   in Loop: Header=BB200_9 Depth=1
	v_ffbh_u32_e32 v3, v82
	v_min_u32_e32 v3, 32, v3
	v_subrev_nc_u32_e32 v4, 28, v3
	v_sub_nc_u32_e32 v3, 29, v3
	v_lshlrev_b64 v[4:5], v4, v[82:83]
	v_and_b32_e32 v82, 7, v4
; %bb.702:                              ;   in Loop: Header=BB200_9 Depth=1
	s_or_b32 exec_lo, exec_lo, s21
	v_lshlrev_b32_e32 v4, 24, v2
	v_lshlrev_b32_e32 v0, 20, v82
	v_lshl_add_u32 v3, v3, 23, 0x3c000000
	v_and_b32_e32 v4, 0x80000000, v4
	v_or3_b32 v82, v0, v4, v3
	v_mov_b32_e32 v46, v82
	v_mov_b32_e32 v47, v83
.LBB200_703:                            ;   in Loop: Header=BB200_9 Depth=1
	s_or_b32 exec_lo, exec_lo, s20
.LBB200_704:                            ;   in Loop: Header=BB200_9 Depth=1
	s_or_b32 exec_lo, exec_lo, s19
.LBB200_705:                            ;   in Loop: Header=BB200_9 Depth=1
	s_or_b32 exec_lo, exec_lo, s17
	v_cmp_ne_u16_sdwa s6, v2, v83 src0_sel:BYTE_1 src1_sel:DWORD
	s_and_saveexec_b32 s17, s6
	s_cbranch_execz .LBB200_713
; %bb.706:                              ;   in Loop: Header=BB200_9 Depth=1
	v_mov_b32_e32 v50, v83
	v_mov_b32_e32 v0, 0x80
	;; [unrolled: 1-line block ×4, first 2 shown]
	v_cmp_ne_u16_sdwa s6, v2, v0 src0_sel:BYTE_1 src1_sel:DWORD
	s_and_saveexec_b32 s19, s6
	s_cbranch_execz .LBB200_712
; %bb.707:                              ;   in Loop: Header=BB200_9 Depth=1
	s_clause 0x1
	buffer_load_dword v116, off, s[0:3], s32 offset:192
	buffer_load_dword v117, off, s[0:3], s32 offset:196
	v_mov_b32_e32 v0, 0xffff
	s_waitcnt vmcnt(1)
	v_mov_b32_e32 v116, v83
	s_mov_b32 s20, exec_lo
	v_and_b32_sdwa v0, v0, v2 dst_sel:DWORD dst_unused:UNUSED_PAD src0_sel:DWORD src1_sel:BYTE_1
	v_and_b32_e32 v4, 0x7f, v0
	s_waitcnt vmcnt(0)
	v_mov_b32_e32 v1, v117
	buffer_store_dword v0, off, s[0:3], s32 offset:192 ; 4-byte Folded Spill
	buffer_store_dword v1, off, s[0:3], s32 offset:196 ; 4-byte Folded Spill
	v_cmpx_ne_u32_e32 0x7f, v4
	s_cbranch_execz .LBB200_711
; %bb.708:                              ;   in Loop: Header=BB200_9 Depth=1
	v_and_b32_e32 v82, 7, v0
	v_lshrrev_b32_e32 v3, 3, v4
	s_mov_b32 s21, exec_lo
	v_cmpx_gt_u32_e32 8, v4
; %bb.709:                              ;   in Loop: Header=BB200_9 Depth=1
	v_ffbh_u32_e32 v3, v82
	v_min_u32_e32 v3, 32, v3
	v_subrev_nc_u32_e32 v4, 28, v3
	v_sub_nc_u32_e32 v3, 29, v3
	v_lshlrev_b64 v[4:5], v4, v[82:83]
	v_and_b32_e32 v82, 7, v4
; %bb.710:                              ;   in Loop: Header=BB200_9 Depth=1
	s_or_b32 exec_lo, exec_lo, s21
	v_lshlrev_b32_e32 v2, 16, v2
	v_lshlrev_b32_e32 v0, 20, v82
	v_lshl_add_u32 v3, v3, 23, 0x3c000000
	v_mov_b32_e32 v116, v83
	v_and_b32_e32 v2, 0x80000000, v2
	v_or3_b32 v117, v0, v2, v3
.LBB200_711:                            ;   in Loop: Header=BB200_9 Depth=1
	s_or_b32 exec_lo, exec_lo, s20
.LBB200_712:                            ;   in Loop: Header=BB200_9 Depth=1
	s_or_b32 exec_lo, exec_lo, s19
.LBB200_713:                            ;   in Loop: Header=BB200_9 Depth=1
	s_or_b32 exec_lo, exec_lo, s17
	buffer_load_dword v0, off, s[0:3], s32 offset:204 ; 4-byte Folded Reload
	v_add_co_u32 v2, s6, 0xb00, v52
	v_add_co_ci_u32_e64 v3, null, 0, v53, s6
	v_mov_b32_e32 v40, 0
	v_mov_b32_e32 v58, 0
	;; [unrolled: 1-line block ×4, first 2 shown]
	s_waitcnt vmcnt(0)
	v_add_co_u32 v4, s6, v2, v0
	v_add_co_ci_u32_e64 v5, null, 0, v3, s6
	flat_load_ushort v0, v[4:5]
	s_waitcnt vmcnt(0) lgkmcnt(0)
	v_and_b32_e32 v4, 0xffff, v0
	v_cmp_ne_u16_sdwa s6, v0, v83 src0_sel:BYTE_0 src1_sel:DWORD
	s_and_saveexec_b32 s17, s6
	s_cbranch_execz .LBB200_721
; %bb.714:                              ;   in Loop: Header=BB200_9 Depth=1
	v_mov_b32_e32 v0, 0x80
	v_bfrev_b32_e32 v58, 1
	v_mov_b32_e32 v59, 0
	v_cmp_ne_u16_sdwa s6, v4, v0 src0_sel:BYTE_0 src1_sel:DWORD
	s_and_saveexec_b32 s19, s6
	s_cbranch_execz .LBB200_720
; %bb.715:                              ;   in Loop: Header=BB200_9 Depth=1
	v_mov_b32_e32 v58, 0x7f800001
	v_and_b32_e32 v6, 0x7f, v4
	v_mov_b32_e32 v59, 0
	s_mov_b32 s20, exec_lo
	v_cmpx_ne_u32_e32 0x7f, v6
	s_cbranch_execz .LBB200_719
; %bb.716:                              ;   in Loop: Header=BB200_9 Depth=1
	v_and_b32_e32 v82, 7, v4
	v_lshrrev_b32_e32 v5, 3, v6
	s_mov_b32 s21, exec_lo
	v_cmpx_gt_u32_e32 8, v6
; %bb.717:                              ;   in Loop: Header=BB200_9 Depth=1
	v_ffbh_u32_e32 v5, v82
	v_min_u32_e32 v5, 32, v5
	v_subrev_nc_u32_e32 v6, 28, v5
	v_sub_nc_u32_e32 v5, 29, v5
	v_lshlrev_b64 v[6:7], v6, v[82:83]
	v_and_b32_e32 v82, 7, v6
; %bb.718:                              ;   in Loop: Header=BB200_9 Depth=1
	s_or_b32 exec_lo, exec_lo, s21
	v_lshlrev_b32_e32 v6, 24, v4
	v_lshlrev_b32_e32 v0, 20, v82
	v_lshl_add_u32 v5, v5, 23, 0x3c000000
	v_and_b32_e32 v6, 0x80000000, v6
	v_or3_b32 v82, v0, v6, v5
	v_mov_b32_e32 v58, v82
	v_mov_b32_e32 v59, v83
.LBB200_719:                            ;   in Loop: Header=BB200_9 Depth=1
	s_or_b32 exec_lo, exec_lo, s20
.LBB200_720:                            ;   in Loop: Header=BB200_9 Depth=1
	s_or_b32 exec_lo, exec_lo, s19
.LBB200_721:                            ;   in Loop: Header=BB200_9 Depth=1
	s_or_b32 exec_lo, exec_lo, s17
	v_cmp_ne_u16_sdwa s6, v4, v83 src0_sel:BYTE_1 src1_sel:DWORD
	s_and_saveexec_b32 s17, s6
	s_cbranch_execz .LBB200_729
; %bb.722:                              ;   in Loop: Header=BB200_9 Depth=1
	v_mov_b32_e32 v50, v83
	v_mov_b32_e32 v0, 0x80
	;; [unrolled: 1-line block ×3, first 2 shown]
	v_cmp_ne_u16_sdwa s6, v4, v0 src0_sel:BYTE_1 src1_sel:DWORD
	v_mov_b32_e32 v41, v51
	s_and_saveexec_b32 s19, s6
	s_cbranch_execz .LBB200_728
; %bb.723:                              ;   in Loop: Header=BB200_9 Depth=1
	s_clause 0x1
	buffer_load_dword v40, off, s[0:3], s32 offset:192
	buffer_load_dword v41, off, s[0:3], s32 offset:196
	v_mov_b32_e32 v0, 0xffff
	s_waitcnt vmcnt(1)
	v_mov_b32_e32 v40, v83
	s_mov_b32 s20, exec_lo
	v_and_b32_sdwa v0, v0, v4 dst_sel:DWORD dst_unused:UNUSED_PAD src0_sel:DWORD src1_sel:BYTE_1
	v_and_b32_e32 v6, 0x7f, v0
	s_waitcnt vmcnt(0)
	v_mov_b32_e32 v1, v41
	buffer_store_dword v0, off, s[0:3], s32 offset:192 ; 4-byte Folded Spill
	buffer_store_dword v1, off, s[0:3], s32 offset:196 ; 4-byte Folded Spill
	v_cmpx_ne_u32_e32 0x7f, v6
	s_cbranch_execz .LBB200_727
; %bb.724:                              ;   in Loop: Header=BB200_9 Depth=1
	v_and_b32_e32 v82, 7, v0
	v_lshrrev_b32_e32 v5, 3, v6
	s_mov_b32 s21, exec_lo
	v_cmpx_gt_u32_e32 8, v6
; %bb.725:                              ;   in Loop: Header=BB200_9 Depth=1
	v_ffbh_u32_e32 v5, v82
	v_min_u32_e32 v5, 32, v5
	v_subrev_nc_u32_e32 v6, 28, v5
	v_sub_nc_u32_e32 v5, 29, v5
	v_lshlrev_b64 v[6:7], v6, v[82:83]
	v_and_b32_e32 v82, 7, v6
; %bb.726:                              ;   in Loop: Header=BB200_9 Depth=1
	s_or_b32 exec_lo, exec_lo, s21
	v_lshlrev_b32_e32 v4, 16, v4
	v_lshlrev_b32_e32 v0, 20, v82
	v_lshl_add_u32 v5, v5, 23, 0x3c000000
	v_mov_b32_e32 v40, v83
	v_and_b32_e32 v4, 0x80000000, v4
	v_or3_b32 v41, v0, v4, v5
.LBB200_727:                            ;   in Loop: Header=BB200_9 Depth=1
	s_or_b32 exec_lo, exec_lo, s20
.LBB200_728:                            ;   in Loop: Header=BB200_9 Depth=1
	s_or_b32 exec_lo, exec_lo, s19
.LBB200_729:                            ;   in Loop: Header=BB200_9 Depth=1
	s_or_b32 exec_lo, exec_lo, s17
	buffer_load_dword v0, off, s[0:3], s32 offset:208 ; 4-byte Folded Reload
	v_mov_b32_e32 v44, 0
	v_mov_b32_e32 v62, 0
	;; [unrolled: 1-line block ×4, first 2 shown]
	s_waitcnt vmcnt(0)
	v_add_co_u32 v4, s6, v2, v0
	v_add_co_ci_u32_e64 v5, null, 0, v3, s6
	flat_load_ushort v0, v[4:5]
	s_waitcnt vmcnt(0) lgkmcnt(0)
	v_and_b32_e32 v4, 0xffff, v0
	v_cmp_ne_u16_sdwa s6, v0, v83 src0_sel:BYTE_0 src1_sel:DWORD
	s_and_saveexec_b32 s17, s6
	s_cbranch_execz .LBB200_737
; %bb.730:                              ;   in Loop: Header=BB200_9 Depth=1
	v_mov_b32_e32 v0, 0x80
	v_bfrev_b32_e32 v62, 1
	v_mov_b32_e32 v63, 0
	v_cmp_ne_u16_sdwa s6, v4, v0 src0_sel:BYTE_0 src1_sel:DWORD
	s_and_saveexec_b32 s19, s6
	s_cbranch_execz .LBB200_736
; %bb.731:                              ;   in Loop: Header=BB200_9 Depth=1
	v_mov_b32_e32 v62, 0x7f800001
	v_and_b32_e32 v6, 0x7f, v4
	v_mov_b32_e32 v63, 0
	s_mov_b32 s20, exec_lo
	v_cmpx_ne_u32_e32 0x7f, v6
	s_cbranch_execz .LBB200_735
; %bb.732:                              ;   in Loop: Header=BB200_9 Depth=1
	v_and_b32_e32 v82, 7, v4
	v_lshrrev_b32_e32 v5, 3, v6
	s_mov_b32 s21, exec_lo
	v_cmpx_gt_u32_e32 8, v6
; %bb.733:                              ;   in Loop: Header=BB200_9 Depth=1
	v_ffbh_u32_e32 v5, v82
	v_min_u32_e32 v5, 32, v5
	v_subrev_nc_u32_e32 v6, 28, v5
	v_sub_nc_u32_e32 v5, 29, v5
	v_lshlrev_b64 v[6:7], v6, v[82:83]
	v_and_b32_e32 v82, 7, v6
; %bb.734:                              ;   in Loop: Header=BB200_9 Depth=1
	s_or_b32 exec_lo, exec_lo, s21
	v_lshlrev_b32_e32 v6, 24, v4
	v_lshlrev_b32_e32 v0, 20, v82
	v_lshl_add_u32 v5, v5, 23, 0x3c000000
	v_and_b32_e32 v6, 0x80000000, v6
	v_or3_b32 v82, v0, v6, v5
	v_mov_b32_e32 v62, v82
	v_mov_b32_e32 v63, v83
.LBB200_735:                            ;   in Loop: Header=BB200_9 Depth=1
	s_or_b32 exec_lo, exec_lo, s20
.LBB200_736:                            ;   in Loop: Header=BB200_9 Depth=1
	s_or_b32 exec_lo, exec_lo, s19
.LBB200_737:                            ;   in Loop: Header=BB200_9 Depth=1
	s_or_b32 exec_lo, exec_lo, s17
	v_cmp_ne_u16_sdwa s6, v4, v83 src0_sel:BYTE_1 src1_sel:DWORD
	s_and_saveexec_b32 s17, s6
	s_cbranch_execz .LBB200_745
; %bb.738:                              ;   in Loop: Header=BB200_9 Depth=1
	v_mov_b32_e32 v50, v83
	v_mov_b32_e32 v0, 0x80
	;; [unrolled: 1-line block ×3, first 2 shown]
	v_cmp_ne_u16_sdwa s6, v4, v0 src0_sel:BYTE_1 src1_sel:DWORD
	v_mov_b32_e32 v45, v51
	s_and_saveexec_b32 s19, s6
	s_cbranch_execz .LBB200_744
; %bb.739:                              ;   in Loop: Header=BB200_9 Depth=1
	s_clause 0x1
	buffer_load_dword v44, off, s[0:3], s32 offset:192
	buffer_load_dword v45, off, s[0:3], s32 offset:196
	v_mov_b32_e32 v0, 0xffff
	s_waitcnt vmcnt(1)
	v_mov_b32_e32 v44, v83
	s_mov_b32 s20, exec_lo
	v_and_b32_sdwa v0, v0, v4 dst_sel:DWORD dst_unused:UNUSED_PAD src0_sel:DWORD src1_sel:BYTE_1
	v_and_b32_e32 v6, 0x7f, v0
	s_waitcnt vmcnt(0)
	v_mov_b32_e32 v1, v45
	buffer_store_dword v0, off, s[0:3], s32 offset:192 ; 4-byte Folded Spill
	buffer_store_dword v1, off, s[0:3], s32 offset:196 ; 4-byte Folded Spill
	v_cmpx_ne_u32_e32 0x7f, v6
	s_cbranch_execz .LBB200_743
; %bb.740:                              ;   in Loop: Header=BB200_9 Depth=1
	v_and_b32_e32 v82, 7, v0
	v_lshrrev_b32_e32 v5, 3, v6
	s_mov_b32 s21, exec_lo
	v_cmpx_gt_u32_e32 8, v6
; %bb.741:                              ;   in Loop: Header=BB200_9 Depth=1
	v_ffbh_u32_e32 v5, v82
	v_min_u32_e32 v5, 32, v5
	v_subrev_nc_u32_e32 v6, 28, v5
	v_sub_nc_u32_e32 v5, 29, v5
	v_lshlrev_b64 v[6:7], v6, v[82:83]
	v_and_b32_e32 v82, 7, v6
; %bb.742:                              ;   in Loop: Header=BB200_9 Depth=1
	s_or_b32 exec_lo, exec_lo, s21
	v_lshlrev_b32_e32 v4, 16, v4
	v_lshlrev_b32_e32 v0, 20, v82
	v_lshl_add_u32 v5, v5, 23, 0x3c000000
	v_mov_b32_e32 v44, v83
	v_and_b32_e32 v4, 0x80000000, v4
	v_or3_b32 v45, v0, v4, v5
.LBB200_743:                            ;   in Loop: Header=BB200_9 Depth=1
	s_or_b32 exec_lo, exec_lo, s20
.LBB200_744:                            ;   in Loop: Header=BB200_9 Depth=1
	s_or_b32 exec_lo, exec_lo, s19
.LBB200_745:                            ;   in Loop: Header=BB200_9 Depth=1
	s_or_b32 exec_lo, exec_lo, s17
	buffer_load_dword v0, off, s[0:3], s32 offset:212 ; 4-byte Folded Reload
	v_mov_b32_e32 v56, 0
	v_mov_b32_e32 v74, 0
	;; [unrolled: 1-line block ×4, first 2 shown]
	s_waitcnt vmcnt(0)
	v_add_co_u32 v4, s6, v2, v0
	v_add_co_ci_u32_e64 v5, null, 0, v3, s6
	flat_load_ushort v0, v[4:5]
	s_waitcnt vmcnt(0) lgkmcnt(0)
	v_and_b32_e32 v4, 0xffff, v0
	v_cmp_ne_u16_sdwa s6, v0, v83 src0_sel:BYTE_0 src1_sel:DWORD
	s_and_saveexec_b32 s17, s6
	s_cbranch_execz .LBB200_753
; %bb.746:                              ;   in Loop: Header=BB200_9 Depth=1
	v_mov_b32_e32 v0, 0x80
	v_bfrev_b32_e32 v74, 1
	v_mov_b32_e32 v75, 0
	v_cmp_ne_u16_sdwa s6, v4, v0 src0_sel:BYTE_0 src1_sel:DWORD
	s_and_saveexec_b32 s19, s6
	s_cbranch_execz .LBB200_752
; %bb.747:                              ;   in Loop: Header=BB200_9 Depth=1
	v_mov_b32_e32 v74, 0x7f800001
	v_and_b32_e32 v6, 0x7f, v4
	v_mov_b32_e32 v75, 0
	s_mov_b32 s20, exec_lo
	v_cmpx_ne_u32_e32 0x7f, v6
	s_cbranch_execz .LBB200_751
; %bb.748:                              ;   in Loop: Header=BB200_9 Depth=1
	v_and_b32_e32 v82, 7, v4
	v_lshrrev_b32_e32 v5, 3, v6
	s_mov_b32 s21, exec_lo
	v_cmpx_gt_u32_e32 8, v6
; %bb.749:                              ;   in Loop: Header=BB200_9 Depth=1
	v_ffbh_u32_e32 v5, v82
	v_min_u32_e32 v5, 32, v5
	v_subrev_nc_u32_e32 v6, 28, v5
	v_sub_nc_u32_e32 v5, 29, v5
	v_lshlrev_b64 v[6:7], v6, v[82:83]
	v_and_b32_e32 v82, 7, v6
; %bb.750:                              ;   in Loop: Header=BB200_9 Depth=1
	s_or_b32 exec_lo, exec_lo, s21
	v_lshlrev_b32_e32 v6, 24, v4
	v_lshlrev_b32_e32 v0, 20, v82
	v_lshl_add_u32 v5, v5, 23, 0x3c000000
	v_and_b32_e32 v6, 0x80000000, v6
	v_or3_b32 v82, v0, v6, v5
	v_mov_b32_e32 v74, v82
	v_mov_b32_e32 v75, v83
.LBB200_751:                            ;   in Loop: Header=BB200_9 Depth=1
	s_or_b32 exec_lo, exec_lo, s20
.LBB200_752:                            ;   in Loop: Header=BB200_9 Depth=1
	s_or_b32 exec_lo, exec_lo, s19
.LBB200_753:                            ;   in Loop: Header=BB200_9 Depth=1
	s_or_b32 exec_lo, exec_lo, s17
	v_cmp_ne_u16_sdwa s6, v4, v83 src0_sel:BYTE_1 src1_sel:DWORD
	s_and_saveexec_b32 s17, s6
	s_cbranch_execz .LBB200_761
; %bb.754:                              ;   in Loop: Header=BB200_9 Depth=1
	v_mov_b32_e32 v50, v83
	v_mov_b32_e32 v0, 0x80
	;; [unrolled: 1-line block ×4, first 2 shown]
	v_cmp_ne_u16_sdwa s6, v4, v0 src0_sel:BYTE_1 src1_sel:DWORD
	s_and_saveexec_b32 s19, s6
	s_cbranch_execz .LBB200_760
; %bb.755:                              ;   in Loop: Header=BB200_9 Depth=1
	s_clause 0x1
	buffer_load_dword v56, off, s[0:3], s32 offset:192
	buffer_load_dword v57, off, s[0:3], s32 offset:196
	v_mov_b32_e32 v0, 0xffff
	s_waitcnt vmcnt(1)
	v_mov_b32_e32 v56, v83
	s_mov_b32 s20, exec_lo
	v_and_b32_sdwa v0, v0, v4 dst_sel:DWORD dst_unused:UNUSED_PAD src0_sel:DWORD src1_sel:BYTE_1
	v_and_b32_e32 v6, 0x7f, v0
	s_waitcnt vmcnt(0)
	v_mov_b32_e32 v1, v57
	buffer_store_dword v0, off, s[0:3], s32 offset:192 ; 4-byte Folded Spill
	buffer_store_dword v1, off, s[0:3], s32 offset:196 ; 4-byte Folded Spill
	v_cmpx_ne_u32_e32 0x7f, v6
	s_cbranch_execz .LBB200_759
; %bb.756:                              ;   in Loop: Header=BB200_9 Depth=1
	v_and_b32_e32 v82, 7, v0
	v_lshrrev_b32_e32 v5, 3, v6
	s_mov_b32 s21, exec_lo
	v_cmpx_gt_u32_e32 8, v6
; %bb.757:                              ;   in Loop: Header=BB200_9 Depth=1
	v_ffbh_u32_e32 v5, v82
	v_min_u32_e32 v5, 32, v5
	v_subrev_nc_u32_e32 v6, 28, v5
	v_sub_nc_u32_e32 v5, 29, v5
	v_lshlrev_b64 v[6:7], v6, v[82:83]
	v_and_b32_e32 v82, 7, v6
; %bb.758:                              ;   in Loop: Header=BB200_9 Depth=1
	s_or_b32 exec_lo, exec_lo, s21
	v_lshlrev_b32_e32 v4, 16, v4
	v_lshlrev_b32_e32 v0, 20, v82
	v_lshl_add_u32 v5, v5, 23, 0x3c000000
	v_mov_b32_e32 v56, v83
	v_and_b32_e32 v4, 0x80000000, v4
	v_or3_b32 v57, v0, v4, v5
.LBB200_759:                            ;   in Loop: Header=BB200_9 Depth=1
	s_or_b32 exec_lo, exec_lo, s20
.LBB200_760:                            ;   in Loop: Header=BB200_9 Depth=1
	s_or_b32 exec_lo, exec_lo, s19
.LBB200_761:                            ;   in Loop: Header=BB200_9 Depth=1
	s_or_b32 exec_lo, exec_lo, s17
	buffer_load_dword v0, off, s[0:3], s32 offset:216 ; 4-byte Folded Reload
	v_mov_b32_e32 v78, 0
	v_mov_b32_e32 v60, 0
	;; [unrolled: 1-line block ×4, first 2 shown]
	s_waitcnt vmcnt(0)
	v_add_co_u32 v2, s6, v2, v0
	v_add_co_ci_u32_e64 v3, null, 0, v3, s6
	flat_load_ushort v0, v[2:3]
	s_waitcnt vmcnt(0) lgkmcnt(0)
	v_and_b32_e32 v2, 0xffff, v0
	v_cmp_ne_u16_sdwa s6, v0, v83 src0_sel:BYTE_0 src1_sel:DWORD
	s_and_saveexec_b32 s17, s6
	s_cbranch_execz .LBB200_769
; %bb.762:                              ;   in Loop: Header=BB200_9 Depth=1
	v_mov_b32_e32 v0, 0x80
	v_bfrev_b32_e32 v60, 1
	v_mov_b32_e32 v61, 0
	v_cmp_ne_u16_sdwa s6, v2, v0 src0_sel:BYTE_0 src1_sel:DWORD
	s_and_saveexec_b32 s19, s6
	s_cbranch_execz .LBB200_768
; %bb.763:                              ;   in Loop: Header=BB200_9 Depth=1
	v_mov_b32_e32 v60, 0x7f800001
	v_and_b32_e32 v4, 0x7f, v2
	v_mov_b32_e32 v61, 0
	s_mov_b32 s20, exec_lo
	v_cmpx_ne_u32_e32 0x7f, v4
	s_cbranch_execz .LBB200_767
; %bb.764:                              ;   in Loop: Header=BB200_9 Depth=1
	v_and_b32_e32 v82, 7, v2
	v_lshrrev_b32_e32 v3, 3, v4
	s_mov_b32 s21, exec_lo
	v_cmpx_gt_u32_e32 8, v4
; %bb.765:                              ;   in Loop: Header=BB200_9 Depth=1
	v_ffbh_u32_e32 v3, v82
	v_min_u32_e32 v3, 32, v3
	v_subrev_nc_u32_e32 v4, 28, v3
	v_sub_nc_u32_e32 v3, 29, v3
	v_lshlrev_b64 v[4:5], v4, v[82:83]
	v_and_b32_e32 v82, 7, v4
; %bb.766:                              ;   in Loop: Header=BB200_9 Depth=1
	s_or_b32 exec_lo, exec_lo, s21
	v_lshlrev_b32_e32 v4, 24, v2
	v_lshlrev_b32_e32 v0, 20, v82
	v_lshl_add_u32 v3, v3, 23, 0x3c000000
	v_and_b32_e32 v4, 0x80000000, v4
	v_or3_b32 v82, v0, v4, v3
	v_mov_b32_e32 v60, v82
	v_mov_b32_e32 v61, v83
.LBB200_767:                            ;   in Loop: Header=BB200_9 Depth=1
	s_or_b32 exec_lo, exec_lo, s20
.LBB200_768:                            ;   in Loop: Header=BB200_9 Depth=1
	s_or_b32 exec_lo, exec_lo, s19
.LBB200_769:                            ;   in Loop: Header=BB200_9 Depth=1
	s_or_b32 exec_lo, exec_lo, s17
	v_cmp_ne_u16_sdwa s6, v2, v83 src0_sel:BYTE_1 src1_sel:DWORD
	s_and_saveexec_b32 s17, s6
	s_cbranch_execz .LBB200_777
; %bb.770:                              ;   in Loop: Header=BB200_9 Depth=1
	v_mov_b32_e32 v50, v83
	v_mov_b32_e32 v0, 0x80
	;; [unrolled: 1-line block ×4, first 2 shown]
	v_cmp_ne_u16_sdwa s6, v2, v0 src0_sel:BYTE_1 src1_sel:DWORD
	s_and_saveexec_b32 s19, s6
	s_cbranch_execz .LBB200_776
; %bb.771:                              ;   in Loop: Header=BB200_9 Depth=1
	s_clause 0x1
	buffer_load_dword v78, off, s[0:3], s32 offset:192
	buffer_load_dword v79, off, s[0:3], s32 offset:196
	v_mov_b32_e32 v0, 0xffff
	s_waitcnt vmcnt(1)
	v_mov_b32_e32 v78, v83
	s_mov_b32 s20, exec_lo
	v_and_b32_sdwa v0, v0, v2 dst_sel:DWORD dst_unused:UNUSED_PAD src0_sel:DWORD src1_sel:BYTE_1
	v_and_b32_e32 v4, 0x7f, v0
	s_waitcnt vmcnt(0)
	v_mov_b32_e32 v1, v79
	buffer_store_dword v0, off, s[0:3], s32 offset:192 ; 4-byte Folded Spill
	buffer_store_dword v1, off, s[0:3], s32 offset:196 ; 4-byte Folded Spill
	v_cmpx_ne_u32_e32 0x7f, v4
	s_cbranch_execz .LBB200_775
; %bb.772:                              ;   in Loop: Header=BB200_9 Depth=1
	v_and_b32_e32 v82, 7, v0
	v_lshrrev_b32_e32 v3, 3, v4
	s_mov_b32 s21, exec_lo
	v_cmpx_gt_u32_e32 8, v4
; %bb.773:                              ;   in Loop: Header=BB200_9 Depth=1
	v_ffbh_u32_e32 v3, v82
	v_min_u32_e32 v3, 32, v3
	v_subrev_nc_u32_e32 v4, 28, v3
	v_sub_nc_u32_e32 v3, 29, v3
	v_lshlrev_b64 v[4:5], v4, v[82:83]
	v_and_b32_e32 v82, 7, v4
; %bb.774:                              ;   in Loop: Header=BB200_9 Depth=1
	s_or_b32 exec_lo, exec_lo, s21
	v_lshlrev_b32_e32 v2, 16, v2
	v_lshlrev_b32_e32 v0, 20, v82
	v_lshl_add_u32 v3, v3, 23, 0x3c000000
	v_mov_b32_e32 v78, v83
	v_and_b32_e32 v2, 0x80000000, v2
	v_or3_b32 v79, v0, v2, v3
.LBB200_775:                            ;   in Loop: Header=BB200_9 Depth=1
	s_or_b32 exec_lo, exec_lo, s20
.LBB200_776:                            ;   in Loop: Header=BB200_9 Depth=1
	s_or_b32 exec_lo, exec_lo, s19
.LBB200_777:                            ;   in Loop: Header=BB200_9 Depth=1
	s_or_b32 exec_lo, exec_lo, s17
	buffer_load_dword v0, off, s[0:3], s32 offset:204 ; 4-byte Folded Reload
	v_add_co_u32 v2, s6, 0xc00, v52
	v_add_co_ci_u32_e64 v3, null, 0, v53, s6
	v_mov_b32_e32 v90, 0
	v_mov_b32_e32 v72, 0
	;; [unrolled: 1-line block ×4, first 2 shown]
	s_waitcnt vmcnt(0)
	v_add_co_u32 v4, s6, v2, v0
	v_add_co_ci_u32_e64 v5, null, 0, v3, s6
	flat_load_ushort v0, v[4:5]
	s_waitcnt vmcnt(0) lgkmcnt(0)
	v_and_b32_e32 v4, 0xffff, v0
	v_cmp_ne_u16_sdwa s6, v0, v83 src0_sel:BYTE_0 src1_sel:DWORD
	s_and_saveexec_b32 s17, s6
	s_cbranch_execz .LBB200_785
; %bb.778:                              ;   in Loop: Header=BB200_9 Depth=1
	v_mov_b32_e32 v0, 0x80
	v_bfrev_b32_e32 v72, 1
	v_mov_b32_e32 v73, 0
	v_cmp_ne_u16_sdwa s6, v4, v0 src0_sel:BYTE_0 src1_sel:DWORD
	s_and_saveexec_b32 s19, s6
	s_cbranch_execz .LBB200_784
; %bb.779:                              ;   in Loop: Header=BB200_9 Depth=1
	v_mov_b32_e32 v72, 0x7f800001
	v_and_b32_e32 v6, 0x7f, v4
	v_mov_b32_e32 v73, 0
	s_mov_b32 s20, exec_lo
	v_cmpx_ne_u32_e32 0x7f, v6
	s_cbranch_execz .LBB200_783
; %bb.780:                              ;   in Loop: Header=BB200_9 Depth=1
	v_and_b32_e32 v82, 7, v4
	v_lshrrev_b32_e32 v5, 3, v6
	s_mov_b32 s21, exec_lo
	v_cmpx_gt_u32_e32 8, v6
; %bb.781:                              ;   in Loop: Header=BB200_9 Depth=1
	v_ffbh_u32_e32 v5, v82
	v_min_u32_e32 v5, 32, v5
	v_subrev_nc_u32_e32 v6, 28, v5
	v_sub_nc_u32_e32 v5, 29, v5
	v_lshlrev_b64 v[6:7], v6, v[82:83]
	v_and_b32_e32 v82, 7, v6
; %bb.782:                              ;   in Loop: Header=BB200_9 Depth=1
	s_or_b32 exec_lo, exec_lo, s21
	v_lshlrev_b32_e32 v6, 24, v4
	v_lshlrev_b32_e32 v0, 20, v82
	v_lshl_add_u32 v5, v5, 23, 0x3c000000
	v_and_b32_e32 v6, 0x80000000, v6
	v_or3_b32 v82, v0, v6, v5
	v_mov_b32_e32 v72, v82
	v_mov_b32_e32 v73, v83
.LBB200_783:                            ;   in Loop: Header=BB200_9 Depth=1
	s_or_b32 exec_lo, exec_lo, s20
.LBB200_784:                            ;   in Loop: Header=BB200_9 Depth=1
	s_or_b32 exec_lo, exec_lo, s19
.LBB200_785:                            ;   in Loop: Header=BB200_9 Depth=1
	s_or_b32 exec_lo, exec_lo, s17
	v_cmp_ne_u16_sdwa s6, v4, v83 src0_sel:BYTE_1 src1_sel:DWORD
	s_and_saveexec_b32 s17, s6
	s_cbranch_execz .LBB200_793
; %bb.786:                              ;   in Loop: Header=BB200_9 Depth=1
	v_mov_b32_e32 v50, v83
	v_mov_b32_e32 v0, 0x80
	;; [unrolled: 1-line block ×4, first 2 shown]
	v_cmp_ne_u16_sdwa s6, v4, v0 src0_sel:BYTE_1 src1_sel:DWORD
	s_and_saveexec_b32 s19, s6
	s_cbranch_execz .LBB200_792
; %bb.787:                              ;   in Loop: Header=BB200_9 Depth=1
	s_clause 0x1
	buffer_load_dword v90, off, s[0:3], s32 offset:192
	buffer_load_dword v91, off, s[0:3], s32 offset:196
	v_mov_b32_e32 v0, 0xffff
	s_waitcnt vmcnt(1)
	v_mov_b32_e32 v90, v83
	s_mov_b32 s20, exec_lo
	v_and_b32_sdwa v0, v0, v4 dst_sel:DWORD dst_unused:UNUSED_PAD src0_sel:DWORD src1_sel:BYTE_1
	v_and_b32_e32 v6, 0x7f, v0
	s_waitcnt vmcnt(0)
	v_mov_b32_e32 v1, v91
	buffer_store_dword v0, off, s[0:3], s32 offset:192 ; 4-byte Folded Spill
	buffer_store_dword v1, off, s[0:3], s32 offset:196 ; 4-byte Folded Spill
	v_cmpx_ne_u32_e32 0x7f, v6
	s_cbranch_execz .LBB200_791
; %bb.788:                              ;   in Loop: Header=BB200_9 Depth=1
	v_and_b32_e32 v82, 7, v0
	v_lshrrev_b32_e32 v5, 3, v6
	s_mov_b32 s21, exec_lo
	v_cmpx_gt_u32_e32 8, v6
; %bb.789:                              ;   in Loop: Header=BB200_9 Depth=1
	v_ffbh_u32_e32 v5, v82
	v_min_u32_e32 v5, 32, v5
	v_subrev_nc_u32_e32 v6, 28, v5
	v_sub_nc_u32_e32 v5, 29, v5
	v_lshlrev_b64 v[6:7], v6, v[82:83]
	v_and_b32_e32 v82, 7, v6
; %bb.790:                              ;   in Loop: Header=BB200_9 Depth=1
	s_or_b32 exec_lo, exec_lo, s21
	v_lshlrev_b32_e32 v4, 16, v4
	v_lshlrev_b32_e32 v0, 20, v82
	v_lshl_add_u32 v5, v5, 23, 0x3c000000
	v_mov_b32_e32 v90, v83
	v_and_b32_e32 v4, 0x80000000, v4
	v_or3_b32 v91, v0, v4, v5
.LBB200_791:                            ;   in Loop: Header=BB200_9 Depth=1
	s_or_b32 exec_lo, exec_lo, s20
.LBB200_792:                            ;   in Loop: Header=BB200_9 Depth=1
	s_or_b32 exec_lo, exec_lo, s19
.LBB200_793:                            ;   in Loop: Header=BB200_9 Depth=1
	s_or_b32 exec_lo, exec_lo, s17
	buffer_load_dword v0, off, s[0:3], s32 offset:208 ; 4-byte Folded Reload
	v_mov_b32_e32 v94, 0
	v_mov_b32_e32 v76, 0
	;; [unrolled: 1-line block ×4, first 2 shown]
	s_waitcnt vmcnt(0)
	v_add_co_u32 v4, s6, v2, v0
	v_add_co_ci_u32_e64 v5, null, 0, v3, s6
	flat_load_ushort v0, v[4:5]
	s_waitcnt vmcnt(0) lgkmcnt(0)
	v_and_b32_e32 v4, 0xffff, v0
	v_cmp_ne_u16_sdwa s6, v0, v83 src0_sel:BYTE_0 src1_sel:DWORD
	s_and_saveexec_b32 s17, s6
	s_cbranch_execz .LBB200_801
; %bb.794:                              ;   in Loop: Header=BB200_9 Depth=1
	v_mov_b32_e32 v0, 0x80
	v_bfrev_b32_e32 v76, 1
	v_mov_b32_e32 v77, 0
	v_cmp_ne_u16_sdwa s6, v4, v0 src0_sel:BYTE_0 src1_sel:DWORD
	s_and_saveexec_b32 s19, s6
	s_cbranch_execz .LBB200_800
; %bb.795:                              ;   in Loop: Header=BB200_9 Depth=1
	v_mov_b32_e32 v76, 0x7f800001
	v_and_b32_e32 v6, 0x7f, v4
	v_mov_b32_e32 v77, 0
	s_mov_b32 s20, exec_lo
	v_cmpx_ne_u32_e32 0x7f, v6
	s_cbranch_execz .LBB200_799
; %bb.796:                              ;   in Loop: Header=BB200_9 Depth=1
	v_and_b32_e32 v82, 7, v4
	v_lshrrev_b32_e32 v5, 3, v6
	s_mov_b32 s21, exec_lo
	v_cmpx_gt_u32_e32 8, v6
; %bb.797:                              ;   in Loop: Header=BB200_9 Depth=1
	v_ffbh_u32_e32 v5, v82
	v_min_u32_e32 v5, 32, v5
	v_subrev_nc_u32_e32 v6, 28, v5
	v_sub_nc_u32_e32 v5, 29, v5
	v_lshlrev_b64 v[6:7], v6, v[82:83]
	v_and_b32_e32 v82, 7, v6
; %bb.798:                              ;   in Loop: Header=BB200_9 Depth=1
	s_or_b32 exec_lo, exec_lo, s21
	v_lshlrev_b32_e32 v6, 24, v4
	v_lshlrev_b32_e32 v0, 20, v82
	v_lshl_add_u32 v5, v5, 23, 0x3c000000
	v_and_b32_e32 v6, 0x80000000, v6
	v_or3_b32 v82, v0, v6, v5
	v_mov_b32_e32 v76, v82
	v_mov_b32_e32 v77, v83
.LBB200_799:                            ;   in Loop: Header=BB200_9 Depth=1
	s_or_b32 exec_lo, exec_lo, s20
.LBB200_800:                            ;   in Loop: Header=BB200_9 Depth=1
	s_or_b32 exec_lo, exec_lo, s19
.LBB200_801:                            ;   in Loop: Header=BB200_9 Depth=1
	s_or_b32 exec_lo, exec_lo, s17
	v_cmp_ne_u16_sdwa s6, v4, v83 src0_sel:BYTE_1 src1_sel:DWORD
	s_and_saveexec_b32 s17, s6
	s_cbranch_execz .LBB200_809
; %bb.802:                              ;   in Loop: Header=BB200_9 Depth=1
	v_mov_b32_e32 v50, v83
	v_mov_b32_e32 v0, 0x80
	;; [unrolled: 1-line block ×4, first 2 shown]
	v_cmp_ne_u16_sdwa s6, v4, v0 src0_sel:BYTE_1 src1_sel:DWORD
	s_and_saveexec_b32 s19, s6
	s_cbranch_execz .LBB200_808
; %bb.803:                              ;   in Loop: Header=BB200_9 Depth=1
	s_clause 0x1
	buffer_load_dword v94, off, s[0:3], s32 offset:192
	buffer_load_dword v95, off, s[0:3], s32 offset:196
	v_mov_b32_e32 v0, 0xffff
	s_waitcnt vmcnt(1)
	v_mov_b32_e32 v94, v83
	s_mov_b32 s20, exec_lo
	v_and_b32_sdwa v0, v0, v4 dst_sel:DWORD dst_unused:UNUSED_PAD src0_sel:DWORD src1_sel:BYTE_1
	v_and_b32_e32 v6, 0x7f, v0
	s_waitcnt vmcnt(0)
	v_mov_b32_e32 v1, v95
	buffer_store_dword v0, off, s[0:3], s32 offset:192 ; 4-byte Folded Spill
	buffer_store_dword v1, off, s[0:3], s32 offset:196 ; 4-byte Folded Spill
	v_cmpx_ne_u32_e32 0x7f, v6
	s_cbranch_execz .LBB200_807
; %bb.804:                              ;   in Loop: Header=BB200_9 Depth=1
	v_and_b32_e32 v82, 7, v0
	v_lshrrev_b32_e32 v5, 3, v6
	s_mov_b32 s21, exec_lo
	v_cmpx_gt_u32_e32 8, v6
; %bb.805:                              ;   in Loop: Header=BB200_9 Depth=1
	v_ffbh_u32_e32 v5, v82
	v_min_u32_e32 v5, 32, v5
	v_subrev_nc_u32_e32 v6, 28, v5
	v_sub_nc_u32_e32 v5, 29, v5
	v_lshlrev_b64 v[6:7], v6, v[82:83]
	v_and_b32_e32 v82, 7, v6
; %bb.806:                              ;   in Loop: Header=BB200_9 Depth=1
	s_or_b32 exec_lo, exec_lo, s21
	v_lshlrev_b32_e32 v4, 16, v4
	v_lshlrev_b32_e32 v0, 20, v82
	v_lshl_add_u32 v5, v5, 23, 0x3c000000
	v_mov_b32_e32 v94, v83
	v_and_b32_e32 v4, 0x80000000, v4
	v_or3_b32 v95, v0, v4, v5
.LBB200_807:                            ;   in Loop: Header=BB200_9 Depth=1
	s_or_b32 exec_lo, exec_lo, s20
.LBB200_808:                            ;   in Loop: Header=BB200_9 Depth=1
	s_or_b32 exec_lo, exec_lo, s19
.LBB200_809:                            ;   in Loop: Header=BB200_9 Depth=1
	s_or_b32 exec_lo, exec_lo, s17
	buffer_load_dword v0, off, s[0:3], s32 offset:212 ; 4-byte Folded Reload
	v_mov_b32_e32 v106, 0
	v_mov_b32_e32 v88, 0
	;; [unrolled: 1-line block ×4, first 2 shown]
	s_waitcnt vmcnt(0)
	v_add_co_u32 v4, s6, v2, v0
	v_add_co_ci_u32_e64 v5, null, 0, v3, s6
	flat_load_ushort v0, v[4:5]
	s_waitcnt vmcnt(0) lgkmcnt(0)
	v_and_b32_e32 v4, 0xffff, v0
	v_cmp_ne_u16_sdwa s6, v0, v83 src0_sel:BYTE_0 src1_sel:DWORD
	s_and_saveexec_b32 s17, s6
	s_cbranch_execz .LBB200_817
; %bb.810:                              ;   in Loop: Header=BB200_9 Depth=1
	v_mov_b32_e32 v0, 0x80
	v_bfrev_b32_e32 v88, 1
	v_mov_b32_e32 v89, 0
	v_cmp_ne_u16_sdwa s6, v4, v0 src0_sel:BYTE_0 src1_sel:DWORD
	s_and_saveexec_b32 s19, s6
	s_cbranch_execz .LBB200_816
; %bb.811:                              ;   in Loop: Header=BB200_9 Depth=1
	v_mov_b32_e32 v88, 0x7f800001
	v_and_b32_e32 v6, 0x7f, v4
	v_mov_b32_e32 v89, 0
	s_mov_b32 s20, exec_lo
	v_cmpx_ne_u32_e32 0x7f, v6
	s_cbranch_execz .LBB200_815
; %bb.812:                              ;   in Loop: Header=BB200_9 Depth=1
	v_and_b32_e32 v82, 7, v4
	v_lshrrev_b32_e32 v5, 3, v6
	s_mov_b32 s21, exec_lo
	v_cmpx_gt_u32_e32 8, v6
; %bb.813:                              ;   in Loop: Header=BB200_9 Depth=1
	v_ffbh_u32_e32 v5, v82
	v_min_u32_e32 v5, 32, v5
	v_subrev_nc_u32_e32 v6, 28, v5
	v_sub_nc_u32_e32 v5, 29, v5
	v_lshlrev_b64 v[6:7], v6, v[82:83]
	v_and_b32_e32 v82, 7, v6
; %bb.814:                              ;   in Loop: Header=BB200_9 Depth=1
	s_or_b32 exec_lo, exec_lo, s21
	v_lshlrev_b32_e32 v6, 24, v4
	v_lshlrev_b32_e32 v0, 20, v82
	v_lshl_add_u32 v5, v5, 23, 0x3c000000
	v_and_b32_e32 v6, 0x80000000, v6
	v_or3_b32 v82, v0, v6, v5
	v_mov_b32_e32 v89, v83
	v_mov_b32_e32 v88, v82
.LBB200_815:                            ;   in Loop: Header=BB200_9 Depth=1
	s_or_b32 exec_lo, exec_lo, s20
.LBB200_816:                            ;   in Loop: Header=BB200_9 Depth=1
	s_or_b32 exec_lo, exec_lo, s19
.LBB200_817:                            ;   in Loop: Header=BB200_9 Depth=1
	s_or_b32 exec_lo, exec_lo, s17
	v_cmp_ne_u16_sdwa s6, v4, v83 src0_sel:BYTE_1 src1_sel:DWORD
	s_and_saveexec_b32 s17, s6
	s_cbranch_execz .LBB200_825
; %bb.818:                              ;   in Loop: Header=BB200_9 Depth=1
	v_mov_b32_e32 v50, v83
	v_mov_b32_e32 v0, 0x80
	v_mov_b32_e32 v107, v51
	v_mov_b32_e32 v106, v50
	v_cmp_ne_u16_sdwa s6, v4, v0 src0_sel:BYTE_1 src1_sel:DWORD
	s_and_saveexec_b32 s19, s6
	s_cbranch_execz .LBB200_824
; %bb.819:                              ;   in Loop: Header=BB200_9 Depth=1
	s_clause 0x1
	buffer_load_dword v106, off, s[0:3], s32 offset:192
	buffer_load_dword v107, off, s[0:3], s32 offset:196
	v_mov_b32_e32 v0, 0xffff
	s_waitcnt vmcnt(1)
	v_mov_b32_e32 v106, v83
	s_mov_b32 s20, exec_lo
	v_and_b32_sdwa v0, v0, v4 dst_sel:DWORD dst_unused:UNUSED_PAD src0_sel:DWORD src1_sel:BYTE_1
	v_and_b32_e32 v6, 0x7f, v0
	s_waitcnt vmcnt(0)
	v_mov_b32_e32 v1, v107
	buffer_store_dword v0, off, s[0:3], s32 offset:192 ; 4-byte Folded Spill
	buffer_store_dword v1, off, s[0:3], s32 offset:196 ; 4-byte Folded Spill
	v_cmpx_ne_u32_e32 0x7f, v6
	s_cbranch_execz .LBB200_823
; %bb.820:                              ;   in Loop: Header=BB200_9 Depth=1
	v_and_b32_e32 v82, 7, v0
	v_lshrrev_b32_e32 v5, 3, v6
	s_mov_b32 s21, exec_lo
	v_cmpx_gt_u32_e32 8, v6
; %bb.821:                              ;   in Loop: Header=BB200_9 Depth=1
	v_ffbh_u32_e32 v5, v82
	v_min_u32_e32 v5, 32, v5
	v_subrev_nc_u32_e32 v6, 28, v5
	v_sub_nc_u32_e32 v5, 29, v5
	v_lshlrev_b64 v[6:7], v6, v[82:83]
	v_and_b32_e32 v82, 7, v6
; %bb.822:                              ;   in Loop: Header=BB200_9 Depth=1
	s_or_b32 exec_lo, exec_lo, s21
	v_lshlrev_b32_e32 v4, 16, v4
	v_lshlrev_b32_e32 v0, 20, v82
	v_lshl_add_u32 v5, v5, 23, 0x3c000000
	v_mov_b32_e32 v106, v83
	v_and_b32_e32 v4, 0x80000000, v4
	v_or3_b32 v107, v0, v4, v5
.LBB200_823:                            ;   in Loop: Header=BB200_9 Depth=1
	s_or_b32 exec_lo, exec_lo, s20
.LBB200_824:                            ;   in Loop: Header=BB200_9 Depth=1
	s_or_b32 exec_lo, exec_lo, s19
.LBB200_825:                            ;   in Loop: Header=BB200_9 Depth=1
	s_or_b32 exec_lo, exec_lo, s17
	buffer_load_dword v0, off, s[0:3], s32 offset:216 ; 4-byte Folded Reload
	v_mov_b32_e32 v110, 0
	v_mov_b32_e32 v92, 0
	;; [unrolled: 1-line block ×4, first 2 shown]
	s_waitcnt vmcnt(0)
	v_add_co_u32 v2, s6, v2, v0
	v_add_co_ci_u32_e64 v3, null, 0, v3, s6
	flat_load_ushort v0, v[2:3]
	s_waitcnt vmcnt(0) lgkmcnt(0)
	v_and_b32_e32 v2, 0xffff, v0
	v_cmp_ne_u16_sdwa s6, v0, v83 src0_sel:BYTE_0 src1_sel:DWORD
	s_and_saveexec_b32 s17, s6
	s_cbranch_execz .LBB200_833
; %bb.826:                              ;   in Loop: Header=BB200_9 Depth=1
	v_mov_b32_e32 v0, 0x80
	v_bfrev_b32_e32 v92, 1
	v_mov_b32_e32 v93, 0
	v_cmp_ne_u16_sdwa s6, v2, v0 src0_sel:BYTE_0 src1_sel:DWORD
	s_and_saveexec_b32 s19, s6
	s_cbranch_execz .LBB200_832
; %bb.827:                              ;   in Loop: Header=BB200_9 Depth=1
	v_mov_b32_e32 v92, 0x7f800001
	v_and_b32_e32 v4, 0x7f, v2
	v_mov_b32_e32 v93, 0
	s_mov_b32 s20, exec_lo
	v_cmpx_ne_u32_e32 0x7f, v4
	s_cbranch_execz .LBB200_831
; %bb.828:                              ;   in Loop: Header=BB200_9 Depth=1
	v_and_b32_e32 v82, 7, v2
	v_lshrrev_b32_e32 v3, 3, v4
	s_mov_b32 s21, exec_lo
	v_cmpx_gt_u32_e32 8, v4
; %bb.829:                              ;   in Loop: Header=BB200_9 Depth=1
	v_ffbh_u32_e32 v3, v82
	v_min_u32_e32 v3, 32, v3
	v_subrev_nc_u32_e32 v4, 28, v3
	v_sub_nc_u32_e32 v3, 29, v3
	v_lshlrev_b64 v[4:5], v4, v[82:83]
	v_and_b32_e32 v82, 7, v4
; %bb.830:                              ;   in Loop: Header=BB200_9 Depth=1
	s_or_b32 exec_lo, exec_lo, s21
	v_lshlrev_b32_e32 v4, 24, v2
	v_lshlrev_b32_e32 v0, 20, v82
	v_lshl_add_u32 v3, v3, 23, 0x3c000000
	v_and_b32_e32 v4, 0x80000000, v4
	v_or3_b32 v82, v0, v4, v3
	v_mov_b32_e32 v93, v83
	v_mov_b32_e32 v92, v82
.LBB200_831:                            ;   in Loop: Header=BB200_9 Depth=1
	s_or_b32 exec_lo, exec_lo, s20
.LBB200_832:                            ;   in Loop: Header=BB200_9 Depth=1
	s_or_b32 exec_lo, exec_lo, s19
.LBB200_833:                            ;   in Loop: Header=BB200_9 Depth=1
	s_or_b32 exec_lo, exec_lo, s17
	v_cmp_ne_u16_sdwa s6, v2, v83 src0_sel:BYTE_1 src1_sel:DWORD
	s_and_saveexec_b32 s17, s6
	s_cbranch_execz .LBB200_841
; %bb.834:                              ;   in Loop: Header=BB200_9 Depth=1
	v_mov_b32_e32 v50, v83
	v_mov_b32_e32 v0, 0x80
	v_mov_b32_e32 v111, v51
	v_mov_b32_e32 v110, v50
	v_cmp_ne_u16_sdwa s6, v2, v0 src0_sel:BYTE_1 src1_sel:DWORD
	s_and_saveexec_b32 s19, s6
	s_cbranch_execz .LBB200_840
; %bb.835:                              ;   in Loop: Header=BB200_9 Depth=1
	s_clause 0x1
	buffer_load_dword v110, off, s[0:3], s32 offset:192
	buffer_load_dword v111, off, s[0:3], s32 offset:196
	v_mov_b32_e32 v0, 0xffff
	s_waitcnt vmcnt(1)
	v_mov_b32_e32 v110, v83
	s_mov_b32 s20, exec_lo
	v_and_b32_sdwa v0, v0, v2 dst_sel:DWORD dst_unused:UNUSED_PAD src0_sel:DWORD src1_sel:BYTE_1
	v_and_b32_e32 v4, 0x7f, v0
	s_waitcnt vmcnt(0)
	v_mov_b32_e32 v1, v111
	buffer_store_dword v0, off, s[0:3], s32 offset:192 ; 4-byte Folded Spill
	buffer_store_dword v1, off, s[0:3], s32 offset:196 ; 4-byte Folded Spill
	v_cmpx_ne_u32_e32 0x7f, v4
	s_cbranch_execz .LBB200_839
; %bb.836:                              ;   in Loop: Header=BB200_9 Depth=1
	v_and_b32_e32 v82, 7, v0
	v_lshrrev_b32_e32 v3, 3, v4
	s_mov_b32 s21, exec_lo
	v_cmpx_gt_u32_e32 8, v4
; %bb.837:                              ;   in Loop: Header=BB200_9 Depth=1
	v_ffbh_u32_e32 v3, v82
	v_min_u32_e32 v3, 32, v3
	v_subrev_nc_u32_e32 v4, 28, v3
	v_sub_nc_u32_e32 v3, 29, v3
	v_lshlrev_b64 v[4:5], v4, v[82:83]
	v_and_b32_e32 v82, 7, v4
; %bb.838:                              ;   in Loop: Header=BB200_9 Depth=1
	s_or_b32 exec_lo, exec_lo, s21
	v_lshlrev_b32_e32 v2, 16, v2
	v_lshlrev_b32_e32 v0, 20, v82
	v_lshl_add_u32 v3, v3, 23, 0x3c000000
	v_mov_b32_e32 v110, v83
	v_and_b32_e32 v2, 0x80000000, v2
	v_or3_b32 v111, v0, v2, v3
.LBB200_839:                            ;   in Loop: Header=BB200_9 Depth=1
	s_or_b32 exec_lo, exec_lo, s20
.LBB200_840:                            ;   in Loop: Header=BB200_9 Depth=1
	s_or_b32 exec_lo, exec_lo, s19
.LBB200_841:                            ;   in Loop: Header=BB200_9 Depth=1
	s_or_b32 exec_lo, exec_lo, s17
	buffer_load_dword v0, off, s[0:3], s32 offset:204 ; 4-byte Folded Reload
	v_add_co_u32 v2, s6, 0xd00, v52
	v_add_co_ci_u32_e64 v3, null, 0, v53, s6
	v_mov_b32_e32 v122, 0
	v_mov_b32_e32 v104, 0
	;; [unrolled: 1-line block ×4, first 2 shown]
	s_waitcnt vmcnt(0)
	v_add_co_u32 v4, s6, v2, v0
	v_add_co_ci_u32_e64 v5, null, 0, v3, s6
	flat_load_ushort v0, v[4:5]
	s_waitcnt vmcnt(0) lgkmcnt(0)
	v_and_b32_e32 v4, 0xffff, v0
	v_cmp_ne_u16_sdwa s6, v0, v83 src0_sel:BYTE_0 src1_sel:DWORD
	s_and_saveexec_b32 s17, s6
	s_cbranch_execz .LBB200_849
; %bb.842:                              ;   in Loop: Header=BB200_9 Depth=1
	v_mov_b32_e32 v0, 0x80
	v_bfrev_b32_e32 v104, 1
	v_mov_b32_e32 v105, 0
	v_cmp_ne_u16_sdwa s6, v4, v0 src0_sel:BYTE_0 src1_sel:DWORD
	s_and_saveexec_b32 s19, s6
	s_cbranch_execz .LBB200_848
; %bb.843:                              ;   in Loop: Header=BB200_9 Depth=1
	v_mov_b32_e32 v104, 0x7f800001
	v_and_b32_e32 v6, 0x7f, v4
	v_mov_b32_e32 v105, 0
	s_mov_b32 s20, exec_lo
	v_cmpx_ne_u32_e32 0x7f, v6
	s_cbranch_execz .LBB200_847
; %bb.844:                              ;   in Loop: Header=BB200_9 Depth=1
	v_and_b32_e32 v82, 7, v4
	v_lshrrev_b32_e32 v5, 3, v6
	s_mov_b32 s21, exec_lo
	v_cmpx_gt_u32_e32 8, v6
; %bb.845:                              ;   in Loop: Header=BB200_9 Depth=1
	v_ffbh_u32_e32 v5, v82
	v_min_u32_e32 v5, 32, v5
	v_subrev_nc_u32_e32 v6, 28, v5
	v_sub_nc_u32_e32 v5, 29, v5
	v_lshlrev_b64 v[6:7], v6, v[82:83]
	v_and_b32_e32 v82, 7, v6
; %bb.846:                              ;   in Loop: Header=BB200_9 Depth=1
	s_or_b32 exec_lo, exec_lo, s21
	v_lshlrev_b32_e32 v6, 24, v4
	v_lshlrev_b32_e32 v0, 20, v82
	v_lshl_add_u32 v5, v5, 23, 0x3c000000
	v_and_b32_e32 v6, 0x80000000, v6
	v_or3_b32 v82, v0, v6, v5
	v_mov_b32_e32 v105, v83
	v_mov_b32_e32 v104, v82
.LBB200_847:                            ;   in Loop: Header=BB200_9 Depth=1
	s_or_b32 exec_lo, exec_lo, s20
.LBB200_848:                            ;   in Loop: Header=BB200_9 Depth=1
	s_or_b32 exec_lo, exec_lo, s19
.LBB200_849:                            ;   in Loop: Header=BB200_9 Depth=1
	s_or_b32 exec_lo, exec_lo, s17
	v_cmp_ne_u16_sdwa s6, v4, v83 src0_sel:BYTE_1 src1_sel:DWORD
	s_and_saveexec_b32 s17, s6
	s_cbranch_execz .LBB200_857
; %bb.850:                              ;   in Loop: Header=BB200_9 Depth=1
	v_mov_b32_e32 v50, v83
	v_mov_b32_e32 v0, 0x80
	;; [unrolled: 1-line block ×4, first 2 shown]
	v_cmp_ne_u16_sdwa s6, v4, v0 src0_sel:BYTE_1 src1_sel:DWORD
	s_and_saveexec_b32 s19, s6
	s_cbranch_execz .LBB200_856
; %bb.851:                              ;   in Loop: Header=BB200_9 Depth=1
	s_clause 0x1
	buffer_load_dword v122, off, s[0:3], s32 offset:192
	buffer_load_dword v123, off, s[0:3], s32 offset:196
	v_mov_b32_e32 v0, 0xffff
	s_waitcnt vmcnt(1)
	v_mov_b32_e32 v122, v83
	s_mov_b32 s20, exec_lo
	v_and_b32_sdwa v0, v0, v4 dst_sel:DWORD dst_unused:UNUSED_PAD src0_sel:DWORD src1_sel:BYTE_1
	v_and_b32_e32 v6, 0x7f, v0
	s_waitcnt vmcnt(0)
	v_mov_b32_e32 v1, v123
	buffer_store_dword v0, off, s[0:3], s32 offset:192 ; 4-byte Folded Spill
	buffer_store_dword v1, off, s[0:3], s32 offset:196 ; 4-byte Folded Spill
	v_cmpx_ne_u32_e32 0x7f, v6
	s_cbranch_execz .LBB200_855
; %bb.852:                              ;   in Loop: Header=BB200_9 Depth=1
	v_and_b32_e32 v82, 7, v0
	v_lshrrev_b32_e32 v5, 3, v6
	s_mov_b32 s21, exec_lo
	v_cmpx_gt_u32_e32 8, v6
; %bb.853:                              ;   in Loop: Header=BB200_9 Depth=1
	v_ffbh_u32_e32 v5, v82
	v_min_u32_e32 v5, 32, v5
	v_subrev_nc_u32_e32 v6, 28, v5
	v_sub_nc_u32_e32 v5, 29, v5
	v_lshlrev_b64 v[6:7], v6, v[82:83]
	v_and_b32_e32 v82, 7, v6
; %bb.854:                              ;   in Loop: Header=BB200_9 Depth=1
	s_or_b32 exec_lo, exec_lo, s21
	v_lshlrev_b32_e32 v4, 16, v4
	v_lshlrev_b32_e32 v0, 20, v82
	v_lshl_add_u32 v5, v5, 23, 0x3c000000
	v_mov_b32_e32 v122, v83
	v_and_b32_e32 v4, 0x80000000, v4
	v_or3_b32 v123, v0, v4, v5
.LBB200_855:                            ;   in Loop: Header=BB200_9 Depth=1
	s_or_b32 exec_lo, exec_lo, s20
.LBB200_856:                            ;   in Loop: Header=BB200_9 Depth=1
	s_or_b32 exec_lo, exec_lo, s19
.LBB200_857:                            ;   in Loop: Header=BB200_9 Depth=1
	s_or_b32 exec_lo, exec_lo, s17
	buffer_load_dword v0, off, s[0:3], s32 offset:208 ; 4-byte Folded Reload
	v_mov_b32_e32 v126, 0
	v_mov_b32_e32 v108, 0
	;; [unrolled: 1-line block ×4, first 2 shown]
	s_waitcnt vmcnt(0)
	v_add_co_u32 v4, s6, v2, v0
	v_add_co_ci_u32_e64 v5, null, 0, v3, s6
	flat_load_ushort v0, v[4:5]
	s_waitcnt vmcnt(0) lgkmcnt(0)
	v_and_b32_e32 v4, 0xffff, v0
	v_cmp_ne_u16_sdwa s6, v0, v83 src0_sel:BYTE_0 src1_sel:DWORD
	s_and_saveexec_b32 s17, s6
	s_cbranch_execz .LBB200_865
; %bb.858:                              ;   in Loop: Header=BB200_9 Depth=1
	v_mov_b32_e32 v0, 0x80
	v_bfrev_b32_e32 v108, 1
	v_mov_b32_e32 v109, 0
	v_cmp_ne_u16_sdwa s6, v4, v0 src0_sel:BYTE_0 src1_sel:DWORD
	s_and_saveexec_b32 s19, s6
	s_cbranch_execz .LBB200_864
; %bb.859:                              ;   in Loop: Header=BB200_9 Depth=1
	v_mov_b32_e32 v108, 0x7f800001
	v_and_b32_e32 v6, 0x7f, v4
	v_mov_b32_e32 v109, 0
	s_mov_b32 s20, exec_lo
	v_cmpx_ne_u32_e32 0x7f, v6
	s_cbranch_execz .LBB200_863
; %bb.860:                              ;   in Loop: Header=BB200_9 Depth=1
	v_and_b32_e32 v82, 7, v4
	v_lshrrev_b32_e32 v5, 3, v6
	s_mov_b32 s21, exec_lo
	v_cmpx_gt_u32_e32 8, v6
; %bb.861:                              ;   in Loop: Header=BB200_9 Depth=1
	v_ffbh_u32_e32 v5, v82
	v_min_u32_e32 v5, 32, v5
	v_subrev_nc_u32_e32 v6, 28, v5
	v_sub_nc_u32_e32 v5, 29, v5
	v_lshlrev_b64 v[6:7], v6, v[82:83]
	v_and_b32_e32 v82, 7, v6
; %bb.862:                              ;   in Loop: Header=BB200_9 Depth=1
	s_or_b32 exec_lo, exec_lo, s21
	v_lshlrev_b32_e32 v6, 24, v4
	v_lshlrev_b32_e32 v0, 20, v82
	v_lshl_add_u32 v5, v5, 23, 0x3c000000
	v_and_b32_e32 v6, 0x80000000, v6
	v_or3_b32 v82, v0, v6, v5
	v_mov_b32_e32 v109, v83
	v_mov_b32_e32 v108, v82
.LBB200_863:                            ;   in Loop: Header=BB200_9 Depth=1
	s_or_b32 exec_lo, exec_lo, s20
.LBB200_864:                            ;   in Loop: Header=BB200_9 Depth=1
	s_or_b32 exec_lo, exec_lo, s19
.LBB200_865:                            ;   in Loop: Header=BB200_9 Depth=1
	s_or_b32 exec_lo, exec_lo, s17
	v_cmp_ne_u16_sdwa s6, v4, v83 src0_sel:BYTE_1 src1_sel:DWORD
	s_and_saveexec_b32 s17, s6
	s_cbranch_execz .LBB200_873
; %bb.866:                              ;   in Loop: Header=BB200_9 Depth=1
	v_mov_b32_e32 v50, v83
	v_mov_b32_e32 v0, 0x80
	;; [unrolled: 1-line block ×4, first 2 shown]
	v_cmp_ne_u16_sdwa s6, v4, v0 src0_sel:BYTE_1 src1_sel:DWORD
	s_and_saveexec_b32 s19, s6
	s_cbranch_execz .LBB200_872
; %bb.867:                              ;   in Loop: Header=BB200_9 Depth=1
	s_clause 0x1
	buffer_load_dword v126, off, s[0:3], s32 offset:192
	buffer_load_dword v127, off, s[0:3], s32 offset:196
	v_mov_b32_e32 v0, 0xffff
	s_waitcnt vmcnt(1)
	v_mov_b32_e32 v126, v83
	s_mov_b32 s20, exec_lo
	v_and_b32_sdwa v0, v0, v4 dst_sel:DWORD dst_unused:UNUSED_PAD src0_sel:DWORD src1_sel:BYTE_1
	v_and_b32_e32 v6, 0x7f, v0
	s_waitcnt vmcnt(0)
	v_mov_b32_e32 v1, v127
	buffer_store_dword v0, off, s[0:3], s32 offset:192 ; 4-byte Folded Spill
	buffer_store_dword v1, off, s[0:3], s32 offset:196 ; 4-byte Folded Spill
	v_cmpx_ne_u32_e32 0x7f, v6
	s_cbranch_execz .LBB200_871
; %bb.868:                              ;   in Loop: Header=BB200_9 Depth=1
	v_and_b32_e32 v82, 7, v0
	v_lshrrev_b32_e32 v5, 3, v6
	s_mov_b32 s21, exec_lo
	v_cmpx_gt_u32_e32 8, v6
; %bb.869:                              ;   in Loop: Header=BB200_9 Depth=1
	v_ffbh_u32_e32 v5, v82
	v_min_u32_e32 v5, 32, v5
	v_subrev_nc_u32_e32 v6, 28, v5
	v_sub_nc_u32_e32 v5, 29, v5
	v_lshlrev_b64 v[6:7], v6, v[82:83]
	v_and_b32_e32 v82, 7, v6
; %bb.870:                              ;   in Loop: Header=BB200_9 Depth=1
	s_or_b32 exec_lo, exec_lo, s21
	v_lshlrev_b32_e32 v4, 16, v4
	v_lshlrev_b32_e32 v0, 20, v82
	v_lshl_add_u32 v5, v5, 23, 0x3c000000
	v_mov_b32_e32 v126, v83
	v_and_b32_e32 v4, 0x80000000, v4
	v_or3_b32 v127, v0, v4, v5
.LBB200_871:                            ;   in Loop: Header=BB200_9 Depth=1
	s_or_b32 exec_lo, exec_lo, s20
.LBB200_872:                            ;   in Loop: Header=BB200_9 Depth=1
	s_or_b32 exec_lo, exec_lo, s19
.LBB200_873:                            ;   in Loop: Header=BB200_9 Depth=1
	s_or_b32 exec_lo, exec_lo, s17
	buffer_load_dword v0, off, s[0:3], s32 offset:212 ; 4-byte Folded Reload
	v_mov_b32_e32 v120, 0
	v_mov_b32_e32 v121, 0
	s_waitcnt vmcnt(0)
	v_add_co_u32 v4, s6, v2, v0
	v_add_co_ci_u32_e64 v5, null, 0, v3, s6
	flat_load_ushort v0, v[4:5]
	v_mov_b32_e32 v4, 0
	v_mov_b32_e32 v5, 0
	s_waitcnt vmcnt(0) lgkmcnt(0)
	v_and_b32_e32 v6, 0xffff, v0
	v_cmp_ne_u16_sdwa s6, v0, v83 src0_sel:BYTE_0 src1_sel:DWORD
	s_and_saveexec_b32 s17, s6
	s_cbranch_execz .LBB200_881
; %bb.874:                              ;   in Loop: Header=BB200_9 Depth=1
	v_mov_b32_e32 v0, 0x80
	v_bfrev_b32_e32 v120, 1
	v_mov_b32_e32 v121, 0
	v_cmp_ne_u16_sdwa s6, v6, v0 src0_sel:BYTE_0 src1_sel:DWORD
	s_and_saveexec_b32 s19, s6
	s_cbranch_execz .LBB200_880
; %bb.875:                              ;   in Loop: Header=BB200_9 Depth=1
	v_mov_b32_e32 v120, 0x7f800001
	v_and_b32_e32 v8, 0x7f, v6
	v_mov_b32_e32 v121, 0
	s_mov_b32 s20, exec_lo
	v_cmpx_ne_u32_e32 0x7f, v8
	s_cbranch_execz .LBB200_879
; %bb.876:                              ;   in Loop: Header=BB200_9 Depth=1
	v_and_b32_e32 v82, 7, v6
	v_lshrrev_b32_e32 v7, 3, v8
	s_mov_b32 s21, exec_lo
	v_cmpx_gt_u32_e32 8, v8
; %bb.877:                              ;   in Loop: Header=BB200_9 Depth=1
	v_ffbh_u32_e32 v7, v82
	v_min_u32_e32 v7, 32, v7
	v_subrev_nc_u32_e32 v8, 28, v7
	v_sub_nc_u32_e32 v7, 29, v7
	v_lshlrev_b64 v[8:9], v8, v[82:83]
	v_and_b32_e32 v82, 7, v8
; %bb.878:                              ;   in Loop: Header=BB200_9 Depth=1
	s_or_b32 exec_lo, exec_lo, s21
	v_lshlrev_b32_e32 v8, 24, v6
	v_lshlrev_b32_e32 v0, 20, v82
	v_lshl_add_u32 v7, v7, 23, 0x3c000000
	v_and_b32_e32 v8, 0x80000000, v8
	v_or3_b32 v82, v0, v8, v7
	v_mov_b32_e32 v121, v83
	v_mov_b32_e32 v120, v82
.LBB200_879:                            ;   in Loop: Header=BB200_9 Depth=1
	s_or_b32 exec_lo, exec_lo, s20
.LBB200_880:                            ;   in Loop: Header=BB200_9 Depth=1
	s_or_b32 exec_lo, exec_lo, s19
.LBB200_881:                            ;   in Loop: Header=BB200_9 Depth=1
	s_or_b32 exec_lo, exec_lo, s17
	v_cmp_ne_u16_sdwa s6, v6, v83 src0_sel:BYTE_1 src1_sel:DWORD
	s_and_saveexec_b32 s17, s6
	s_cbranch_execz .LBB200_889
; %bb.882:                              ;   in Loop: Header=BB200_9 Depth=1
	v_mov_b32_e32 v50, v83
	v_mov_b32_e32 v0, 0x80
	;; [unrolled: 1-line block ×3, first 2 shown]
	v_cmp_ne_u16_sdwa s6, v6, v0 src0_sel:BYTE_1 src1_sel:DWORD
	v_mov_b32_e32 v5, v51
	s_and_saveexec_b32 s19, s6
	s_cbranch_execz .LBB200_888
; %bb.883:                              ;   in Loop: Header=BB200_9 Depth=1
	s_clause 0x1
	buffer_load_dword v4, off, s[0:3], s32 offset:192
	buffer_load_dword v5, off, s[0:3], s32 offset:196
	v_mov_b32_e32 v0, 0xffff
	s_waitcnt vmcnt(1)
	v_mov_b32_e32 v4, v83
	s_mov_b32 s20, exec_lo
	v_and_b32_sdwa v0, v0, v6 dst_sel:DWORD dst_unused:UNUSED_PAD src0_sel:DWORD src1_sel:BYTE_1
	v_and_b32_e32 v7, 0x7f, v0
	s_waitcnt vmcnt(0)
	v_mov_b32_e32 v1, v5
	buffer_store_dword v0, off, s[0:3], s32 offset:192 ; 4-byte Folded Spill
	buffer_store_dword v1, off, s[0:3], s32 offset:196 ; 4-byte Folded Spill
	v_cmpx_ne_u32_e32 0x7f, v7
	s_cbranch_execz .LBB200_887
; %bb.884:                              ;   in Loop: Header=BB200_9 Depth=1
	v_and_b32_e32 v82, 7, v0
	v_lshrrev_b32_e32 v4, 3, v7
	s_mov_b32 s21, exec_lo
	v_cmpx_gt_u32_e32 8, v7
; %bb.885:                              ;   in Loop: Header=BB200_9 Depth=1
	v_ffbh_u32_e32 v4, v82
	v_min_u32_e32 v4, 32, v4
	v_subrev_nc_u32_e32 v5, 28, v4
	v_sub_nc_u32_e32 v4, 29, v4
	v_lshlrev_b64 v[7:8], v5, v[82:83]
	v_and_b32_e32 v82, 7, v7
; %bb.886:                              ;   in Loop: Header=BB200_9 Depth=1
	s_or_b32 exec_lo, exec_lo, s21
	v_lshlrev_b32_e32 v5, 16, v6
	v_lshlrev_b32_e32 v0, 20, v82
	v_lshl_add_u32 v4, v4, 23, 0x3c000000
	v_and_b32_e32 v5, 0x80000000, v5
	v_or3_b32 v5, v0, v5, v4
	v_mov_b32_e32 v4, v83
.LBB200_887:                            ;   in Loop: Header=BB200_9 Depth=1
	s_or_b32 exec_lo, exec_lo, s20
.LBB200_888:                            ;   in Loop: Header=BB200_9 Depth=1
	s_or_b32 exec_lo, exec_lo, s19
.LBB200_889:                            ;   in Loop: Header=BB200_9 Depth=1
	s_or_b32 exec_lo, exec_lo, s17
	buffer_load_dword v0, off, s[0:3], s32 offset:216 ; 4-byte Folded Reload
	v_mov_b32_e32 v10, 0
	v_mov_b32_e32 v124, 0
	;; [unrolled: 1-line block ×4, first 2 shown]
	s_waitcnt vmcnt(0)
	v_add_co_u32 v2, s6, v2, v0
	v_add_co_ci_u32_e64 v3, null, 0, v3, s6
	flat_load_ushort v0, v[2:3]
	s_waitcnt vmcnt(0) lgkmcnt(0)
	v_and_b32_e32 v2, 0xffff, v0
	v_cmp_ne_u16_sdwa s6, v0, v83 src0_sel:BYTE_0 src1_sel:DWORD
	s_and_saveexec_b32 s17, s6
	s_cbranch_execz .LBB200_897
; %bb.890:                              ;   in Loop: Header=BB200_9 Depth=1
	v_mov_b32_e32 v0, 0x80
	v_bfrev_b32_e32 v124, 1
	v_mov_b32_e32 v125, 0
	v_cmp_ne_u16_sdwa s6, v2, v0 src0_sel:BYTE_0 src1_sel:DWORD
	s_and_saveexec_b32 s19, s6
	s_cbranch_execz .LBB200_896
; %bb.891:                              ;   in Loop: Header=BB200_9 Depth=1
	v_mov_b32_e32 v124, 0x7f800001
	v_and_b32_e32 v6, 0x7f, v2
	v_mov_b32_e32 v125, 0
	s_mov_b32 s20, exec_lo
	v_cmpx_ne_u32_e32 0x7f, v6
	s_cbranch_execz .LBB200_895
; %bb.892:                              ;   in Loop: Header=BB200_9 Depth=1
	v_and_b32_e32 v82, 7, v2
	v_lshrrev_b32_e32 v3, 3, v6
	s_mov_b32 s21, exec_lo
	v_cmpx_gt_u32_e32 8, v6
; %bb.893:                              ;   in Loop: Header=BB200_9 Depth=1
	v_ffbh_u32_e32 v3, v82
	v_min_u32_e32 v3, 32, v3
	v_subrev_nc_u32_e32 v6, 28, v3
	v_sub_nc_u32_e32 v3, 29, v3
	v_lshlrev_b64 v[6:7], v6, v[82:83]
	v_and_b32_e32 v82, 7, v6
; %bb.894:                              ;   in Loop: Header=BB200_9 Depth=1
	s_or_b32 exec_lo, exec_lo, s21
	v_lshlrev_b32_e32 v6, 24, v2
	v_lshlrev_b32_e32 v0, 20, v82
	v_lshl_add_u32 v3, v3, 23, 0x3c000000
	v_and_b32_e32 v6, 0x80000000, v6
	v_or3_b32 v82, v0, v6, v3
	v_mov_b32_e32 v125, v83
	v_mov_b32_e32 v124, v82
.LBB200_895:                            ;   in Loop: Header=BB200_9 Depth=1
	s_or_b32 exec_lo, exec_lo, s20
.LBB200_896:                            ;   in Loop: Header=BB200_9 Depth=1
	s_or_b32 exec_lo, exec_lo, s19
.LBB200_897:                            ;   in Loop: Header=BB200_9 Depth=1
	s_or_b32 exec_lo, exec_lo, s17
	v_cmp_ne_u16_sdwa s6, v2, v83 src0_sel:BYTE_1 src1_sel:DWORD
	s_and_saveexec_b32 s17, s6
	s_cbranch_execz .LBB200_905
; %bb.898:                              ;   in Loop: Header=BB200_9 Depth=1
	v_mov_b32_e32 v50, v83
	v_mov_b32_e32 v0, 0x80
	;; [unrolled: 1-line block ×3, first 2 shown]
	v_cmp_ne_u16_sdwa s6, v2, v0 src0_sel:BYTE_1 src1_sel:DWORD
	v_mov_b32_e32 v11, v51
	s_and_saveexec_b32 s19, s6
	s_cbranch_execz .LBB200_904
; %bb.899:                              ;   in Loop: Header=BB200_9 Depth=1
	s_clause 0x1
	buffer_load_dword v10, off, s[0:3], s32 offset:192
	buffer_load_dword v11, off, s[0:3], s32 offset:196
	v_mov_b32_e32 v0, 0xffff
	s_waitcnt vmcnt(1)
	v_mov_b32_e32 v10, v83
	s_mov_b32 s20, exec_lo
	v_and_b32_sdwa v0, v0, v2 dst_sel:DWORD dst_unused:UNUSED_PAD src0_sel:DWORD src1_sel:BYTE_1
	v_and_b32_e32 v6, 0x7f, v0
	s_waitcnt vmcnt(0)
	v_mov_b32_e32 v1, v11
	buffer_store_dword v0, off, s[0:3], s32 offset:192 ; 4-byte Folded Spill
	buffer_store_dword v1, off, s[0:3], s32 offset:196 ; 4-byte Folded Spill
	v_cmpx_ne_u32_e32 0x7f, v6
	s_cbranch_execz .LBB200_903
; %bb.900:                              ;   in Loop: Header=BB200_9 Depth=1
	v_and_b32_e32 v82, 7, v0
	v_lshrrev_b32_e32 v3, 3, v6
	s_mov_b32 s21, exec_lo
	v_cmpx_gt_u32_e32 8, v6
; %bb.901:                              ;   in Loop: Header=BB200_9 Depth=1
	v_ffbh_u32_e32 v3, v82
	v_min_u32_e32 v3, 32, v3
	v_subrev_nc_u32_e32 v6, 28, v3
	v_sub_nc_u32_e32 v3, 29, v3
	v_lshlrev_b64 v[6:7], v6, v[82:83]
	v_and_b32_e32 v82, 7, v6
; %bb.902:                              ;   in Loop: Header=BB200_9 Depth=1
	s_or_b32 exec_lo, exec_lo, s21
	v_lshlrev_b32_e32 v2, 16, v2
	v_lshlrev_b32_e32 v0, 20, v82
	v_lshl_add_u32 v3, v3, 23, 0x3c000000
	v_mov_b32_e32 v10, v83
	v_and_b32_e32 v2, 0x80000000, v2
	v_or3_b32 v11, v0, v2, v3
.LBB200_903:                            ;   in Loop: Header=BB200_9 Depth=1
	s_or_b32 exec_lo, exec_lo, s20
.LBB200_904:                            ;   in Loop: Header=BB200_9 Depth=1
	s_or_b32 exec_lo, exec_lo, s19
.LBB200_905:                            ;   in Loop: Header=BB200_9 Depth=1
	s_or_b32 exec_lo, exec_lo, s17
	buffer_load_dword v0, off, s[0:3], s32 offset:204 ; 4-byte Folded Reload
	v_add_co_u32 v12, s6, 0xe00, v52
	v_add_co_ci_u32_e64 v13, null, 0, v53, s6
	v_mov_b32_e32 v8, 0
	v_mov_b32_e32 v35, 0
	;; [unrolled: 1-line block ×4, first 2 shown]
	s_waitcnt vmcnt(0)
	v_add_co_u32 v2, s6, v12, v0
	v_add_co_ci_u32_e64 v3, null, 0, v13, s6
	flat_load_ushort v0, v[2:3]
	s_waitcnt vmcnt(0) lgkmcnt(0)
	v_and_b32_e32 v6, 0xffff, v0
	v_cmp_ne_u16_sdwa s6, v0, v83 src0_sel:BYTE_0 src1_sel:DWORD
	s_and_saveexec_b32 s17, s6
	s_cbranch_execz .LBB200_913
; %bb.906:                              ;   in Loop: Header=BB200_9 Depth=1
	v_mov_b32_e32 v0, 0x80
	v_bfrev_b32_e32 v35, 1
	v_mov_b32_e32 v36, 0
	v_cmp_ne_u16_sdwa s6, v6, v0 src0_sel:BYTE_0 src1_sel:DWORD
	s_and_saveexec_b32 s19, s6
	s_cbranch_execz .LBB200_912
; %bb.907:                              ;   in Loop: Header=BB200_9 Depth=1
	v_mov_b32_e32 v35, 0x7f800001
	v_and_b32_e32 v7, 0x7f, v6
	v_mov_b32_e32 v36, 0
	s_mov_b32 s20, exec_lo
	v_cmpx_ne_u32_e32 0x7f, v7
	s_cbranch_execz .LBB200_911
; %bb.908:                              ;   in Loop: Header=BB200_9 Depth=1
	v_and_b32_e32 v82, 7, v6
	v_lshrrev_b32_e32 v2, 3, v7
	s_mov_b32 s21, exec_lo
	v_cmpx_gt_u32_e32 8, v7
; %bb.909:                              ;   in Loop: Header=BB200_9 Depth=1
	v_ffbh_u32_e32 v2, v82
	v_min_u32_e32 v2, 32, v2
	v_subrev_nc_u32_e32 v3, 28, v2
	v_sub_nc_u32_e32 v2, 29, v2
	v_lshlrev_b64 v[14:15], v3, v[82:83]
	v_and_b32_e32 v82, 7, v14
; %bb.910:                              ;   in Loop: Header=BB200_9 Depth=1
	s_or_b32 exec_lo, exec_lo, s21
	v_lshlrev_b32_e32 v3, 24, v6
	v_lshlrev_b32_e32 v0, 20, v82
	v_lshl_add_u32 v2, v2, 23, 0x3c000000
	v_and_b32_e32 v3, 0x80000000, v3
	v_or3_b32 v82, v0, v3, v2
	v_mov_b32_e32 v35, v82
	v_mov_b32_e32 v36, v83
.LBB200_911:                            ;   in Loop: Header=BB200_9 Depth=1
	s_or_b32 exec_lo, exec_lo, s20
.LBB200_912:                            ;   in Loop: Header=BB200_9 Depth=1
	s_or_b32 exec_lo, exec_lo, s19
.LBB200_913:                            ;   in Loop: Header=BB200_9 Depth=1
	s_or_b32 exec_lo, exec_lo, s17
	v_cmp_ne_u16_sdwa s6, v6, v83 src0_sel:BYTE_1 src1_sel:DWORD
	s_and_saveexec_b32 s17, s6
	s_cbranch_execz .LBB200_921
; %bb.914:                              ;   in Loop: Header=BB200_9 Depth=1
	v_mov_b32_e32 v50, v83
	v_mov_b32_e32 v0, 0x80
	;; [unrolled: 1-line block ×3, first 2 shown]
	v_cmp_ne_u16_sdwa s6, v6, v0 src0_sel:BYTE_1 src1_sel:DWORD
	v_mov_b32_e32 v9, v51
	s_and_saveexec_b32 s19, s6
	s_cbranch_execz .LBB200_920
; %bb.915:                              ;   in Loop: Header=BB200_9 Depth=1
	s_clause 0x1
	buffer_load_dword v7, off, s[0:3], s32 offset:192
	buffer_load_dword v8, off, s[0:3], s32 offset:196
	v_mov_b32_e32 v0, 0xffff
	s_mov_b32 s20, exec_lo
	v_and_b32_sdwa v0, v0, v6 dst_sel:DWORD dst_unused:UNUSED_PAD src0_sel:DWORD src1_sel:BYTE_1
	v_and_b32_e32 v14, 0x7f, v0
	s_waitcnt vmcnt(0)
	v_mov_b32_e32 v9, v8
	v_mov_b32_e32 v8, v83
	;; [unrolled: 1-line block ×3, first 2 shown]
	buffer_store_dword v0, off, s[0:3], s32 offset:192 ; 4-byte Folded Spill
	buffer_store_dword v1, off, s[0:3], s32 offset:196 ; 4-byte Folded Spill
	v_cmpx_ne_u32_e32 0x7f, v14
	s_cbranch_execz .LBB200_919
; %bb.916:                              ;   in Loop: Header=BB200_9 Depth=1
	v_and_b32_e32 v82, 7, v0
	v_lshrrev_b32_e32 v7, 3, v14
	s_mov_b32 s21, exec_lo
	v_cmpx_gt_u32_e32 8, v14
; %bb.917:                              ;   in Loop: Header=BB200_9 Depth=1
	v_ffbh_u32_e32 v7, v82
	v_min_u32_e32 v7, 32, v7
	v_subrev_nc_u32_e32 v8, 28, v7
	v_sub_nc_u32_e32 v7, 29, v7
	v_lshlrev_b64 v[8:9], v8, v[82:83]
	v_and_b32_e32 v82, 7, v8
; %bb.918:                              ;   in Loop: Header=BB200_9 Depth=1
	s_or_b32 exec_lo, exec_lo, s21
	v_lshlrev_b32_e32 v6, 16, v6
	v_lshlrev_b32_e32 v0, 20, v82
	v_lshl_add_u32 v7, v7, 23, 0x3c000000
	v_mov_b32_e32 v8, v83
	v_and_b32_e32 v6, 0x80000000, v6
	v_or3_b32 v9, v0, v6, v7
.LBB200_919:                            ;   in Loop: Header=BB200_9 Depth=1
	s_or_b32 exec_lo, exec_lo, s20
.LBB200_920:                            ;   in Loop: Header=BB200_9 Depth=1
	s_or_b32 exec_lo, exec_lo, s19
.LBB200_921:                            ;   in Loop: Header=BB200_9 Depth=1
	s_or_b32 exec_lo, exec_lo, s17
	buffer_load_dword v0, off, s[0:3], s32 offset:208 ; 4-byte Folded Reload
	v_mov_b32_e32 v18, 0
	v_mov_b32_e32 v86, 0
	;; [unrolled: 1-line block ×4, first 2 shown]
	s_waitcnt vmcnt(0)
	v_add_co_u32 v6, s6, v12, v0
	v_add_co_ci_u32_e64 v7, null, 0, v13, s6
	flat_load_ushort v0, v[6:7]
	s_waitcnt vmcnt(0) lgkmcnt(0)
	v_and_b32_e32 v6, 0xffff, v0
	v_cmp_ne_u16_sdwa s6, v0, v83 src0_sel:BYTE_0 src1_sel:DWORD
	s_and_saveexec_b32 s17, s6
	s_cbranch_execz .LBB200_929
; %bb.922:                              ;   in Loop: Header=BB200_9 Depth=1
	v_mov_b32_e32 v0, 0x80
	v_bfrev_b32_e32 v86, 1
	v_mov_b32_e32 v87, 0
	v_cmp_ne_u16_sdwa s6, v6, v0 src0_sel:BYTE_0 src1_sel:DWORD
	s_and_saveexec_b32 s19, s6
	s_cbranch_execz .LBB200_928
; %bb.923:                              ;   in Loop: Header=BB200_9 Depth=1
	v_mov_b32_e32 v86, 0x7f800001
	v_and_b32_e32 v14, 0x7f, v6
	v_mov_b32_e32 v87, 0
	s_mov_b32 s20, exec_lo
	v_cmpx_ne_u32_e32 0x7f, v14
	s_cbranch_execz .LBB200_927
; %bb.924:                              ;   in Loop: Header=BB200_9 Depth=1
	v_and_b32_e32 v82, 7, v6
	v_lshrrev_b32_e32 v7, 3, v14
	s_mov_b32 s21, exec_lo
	v_cmpx_gt_u32_e32 8, v14
; %bb.925:                              ;   in Loop: Header=BB200_9 Depth=1
	v_ffbh_u32_e32 v7, v82
	v_min_u32_e32 v7, 32, v7
	v_subrev_nc_u32_e32 v14, 28, v7
	v_sub_nc_u32_e32 v7, 29, v7
	v_lshlrev_b64 v[14:15], v14, v[82:83]
	v_and_b32_e32 v82, 7, v14
; %bb.926:                              ;   in Loop: Header=BB200_9 Depth=1
	s_or_b32 exec_lo, exec_lo, s21
	v_lshlrev_b32_e32 v14, 24, v6
	v_lshlrev_b32_e32 v0, 20, v82
	v_lshl_add_u32 v7, v7, 23, 0x3c000000
	v_and_b32_e32 v14, 0x80000000, v14
	v_or3_b32 v82, v0, v14, v7
	v_mov_b32_e32 v87, v83
	v_mov_b32_e32 v86, v82
.LBB200_927:                            ;   in Loop: Header=BB200_9 Depth=1
	s_or_b32 exec_lo, exec_lo, s20
.LBB200_928:                            ;   in Loop: Header=BB200_9 Depth=1
	s_or_b32 exec_lo, exec_lo, s19
.LBB200_929:                            ;   in Loop: Header=BB200_9 Depth=1
	s_or_b32 exec_lo, exec_lo, s17
	v_cmp_ne_u16_sdwa s6, v6, v83 src0_sel:BYTE_1 src1_sel:DWORD
	s_and_saveexec_b32 s17, s6
	s_cbranch_execz .LBB200_937
; %bb.930:                              ;   in Loop: Header=BB200_9 Depth=1
	v_mov_b32_e32 v50, v83
	v_mov_b32_e32 v0, 0x80
	;; [unrolled: 1-line block ×3, first 2 shown]
	v_cmp_ne_u16_sdwa s6, v6, v0 src0_sel:BYTE_1 src1_sel:DWORD
	v_mov_b32_e32 v19, v51
	s_and_saveexec_b32 s19, s6
	s_cbranch_execz .LBB200_936
; %bb.931:                              ;   in Loop: Header=BB200_9 Depth=1
	s_clause 0x1
	buffer_load_dword v18, off, s[0:3], s32 offset:192
	buffer_load_dword v19, off, s[0:3], s32 offset:196
	v_mov_b32_e32 v0, 0xffff
	v_mov_b32_e32 v2, v16
	;; [unrolled: 1-line block ×3, first 2 shown]
	s_waitcnt vmcnt(1)
	v_mov_b32_e32 v18, v83
	s_mov_b32 s20, exec_lo
	v_and_b32_sdwa v0, v0, v6 dst_sel:DWORD dst_unused:UNUSED_PAD src0_sel:DWORD src1_sel:BYTE_1
	v_and_b32_e32 v14, 0x7f, v0
	s_waitcnt vmcnt(0)
	v_mov_b32_e32 v1, v19
	buffer_store_dword v0, off, s[0:3], s32 offset:192 ; 4-byte Folded Spill
	buffer_store_dword v1, off, s[0:3], s32 offset:196 ; 4-byte Folded Spill
	v_cmpx_ne_u32_e32 0x7f, v14
	s_cbranch_execz .LBB200_935
; %bb.932:                              ;   in Loop: Header=BB200_9 Depth=1
	v_and_b32_e32 v82, 7, v0
	v_lshrrev_b32_e32 v7, 3, v14
	s_mov_b32 s21, exec_lo
	v_cmpx_gt_u32_e32 8, v14
; %bb.933:                              ;   in Loop: Header=BB200_9 Depth=1
	v_ffbh_u32_e32 v7, v82
	v_min_u32_e32 v7, 32, v7
	v_subrev_nc_u32_e32 v14, 28, v7
	v_sub_nc_u32_e32 v7, 29, v7
	v_lshlrev_b64 v[14:15], v14, v[82:83]
	v_and_b32_e32 v82, 7, v14
; %bb.934:                              ;   in Loop: Header=BB200_9 Depth=1
	s_or_b32 exec_lo, exec_lo, s21
	v_lshlrev_b32_e32 v6, 16, v6
	v_lshlrev_b32_e32 v0, 20, v82
	v_lshl_add_u32 v7, v7, 23, 0x3c000000
	v_mov_b32_e32 v18, v83
	v_and_b32_e32 v6, 0x80000000, v6
	v_or3_b32 v19, v0, v6, v7
.LBB200_935:                            ;   in Loop: Header=BB200_9 Depth=1
	s_or_b32 exec_lo, exec_lo, s20
	v_mov_b32_e32 v17, v3
	v_mov_b32_e32 v16, v2
.LBB200_936:                            ;   in Loop: Header=BB200_9 Depth=1
	s_or_b32 exec_lo, exec_lo, s19
.LBB200_937:                            ;   in Loop: Header=BB200_9 Depth=1
	s_or_b32 exec_lo, exec_lo, s17
	buffer_load_dword v0, off, s[0:3], s32 offset:212 ; 4-byte Folded Reload
	v_mov_b32_e32 v22, 0
	v_mov_b32_e32 v66, 0
	;; [unrolled: 1-line block ×4, first 2 shown]
	s_waitcnt vmcnt(0)
	v_add_co_u32 v6, s6, v12, v0
	v_add_co_ci_u32_e64 v7, null, 0, v13, s6
	flat_load_ushort v0, v[6:7]
	s_waitcnt vmcnt(0) lgkmcnt(0)
	v_and_b32_e32 v14, 0xffff, v0
	v_cmp_ne_u16_sdwa s6, v0, v83 src0_sel:BYTE_0 src1_sel:DWORD
	s_and_saveexec_b32 s17, s6
	s_cbranch_execz .LBB200_945
; %bb.938:                              ;   in Loop: Header=BB200_9 Depth=1
	v_mov_b32_e32 v0, 0x80
	v_bfrev_b32_e32 v66, 1
	v_mov_b32_e32 v67, 0
	v_cmp_ne_u16_sdwa s6, v14, v0 src0_sel:BYTE_0 src1_sel:DWORD
	s_and_saveexec_b32 s19, s6
	s_cbranch_execz .LBB200_944
; %bb.939:                              ;   in Loop: Header=BB200_9 Depth=1
	v_mov_b32_e32 v66, 0x7f800001
	v_and_b32_e32 v15, 0x7f, v14
	v_mov_b32_e32 v67, 0
	s_mov_b32 s20, exec_lo
	v_cmpx_ne_u32_e32 0x7f, v15
	s_cbranch_execz .LBB200_943
; %bb.940:                              ;   in Loop: Header=BB200_9 Depth=1
	v_and_b32_e32 v82, 7, v14
	v_lshrrev_b32_e32 v6, 3, v15
	s_mov_b32 s21, exec_lo
	v_cmpx_gt_u32_e32 8, v15
; %bb.941:                              ;   in Loop: Header=BB200_9 Depth=1
	v_ffbh_u32_e32 v6, v82
	v_min_u32_e32 v6, 32, v6
	v_subrev_nc_u32_e32 v7, 28, v6
	v_sub_nc_u32_e32 v6, 29, v6
	v_lshlrev_b64 v[20:21], v7, v[82:83]
	v_and_b32_e32 v82, 7, v20
; %bb.942:                              ;   in Loop: Header=BB200_9 Depth=1
	s_or_b32 exec_lo, exec_lo, s21
	v_lshlrev_b32_e32 v7, 24, v14
	v_lshlrev_b32_e32 v0, 20, v82
	v_lshl_add_u32 v6, v6, 23, 0x3c000000
	v_and_b32_e32 v7, 0x80000000, v7
	v_or3_b32 v82, v0, v7, v6
	v_mov_b32_e32 v66, v82
	v_mov_b32_e32 v67, v83
.LBB200_943:                            ;   in Loop: Header=BB200_9 Depth=1
	s_or_b32 exec_lo, exec_lo, s20
.LBB200_944:                            ;   in Loop: Header=BB200_9 Depth=1
	s_or_b32 exec_lo, exec_lo, s19
.LBB200_945:                            ;   in Loop: Header=BB200_9 Depth=1
	s_or_b32 exec_lo, exec_lo, s17
	v_cmp_ne_u16_sdwa s6, v14, v83 src0_sel:BYTE_1 src1_sel:DWORD
	s_and_saveexec_b32 s17, s6
	s_cbranch_execz .LBB200_953
; %bb.946:                              ;   in Loop: Header=BB200_9 Depth=1
	v_mov_b32_e32 v50, v83
	v_mov_b32_e32 v0, 0x80
	;; [unrolled: 1-line block ×3, first 2 shown]
	v_cmp_ne_u16_sdwa s6, v14, v0 src0_sel:BYTE_1 src1_sel:DWORD
	v_mov_b32_e32 v23, v51
	s_and_saveexec_b32 s19, s6
	s_cbranch_execz .LBB200_952
; %bb.947:                              ;   in Loop: Header=BB200_9 Depth=1
	s_clause 0x1
	buffer_load_dword v22, off, s[0:3], s32 offset:192
	buffer_load_dword v23, off, s[0:3], s32 offset:196
	v_mov_b32_e32 v0, 0xffff
	v_mov_b32_e32 v2, v16
	;; [unrolled: 1-line block ×3, first 2 shown]
	s_waitcnt vmcnt(1)
	v_mov_b32_e32 v22, v83
	s_mov_b32 s20, exec_lo
	v_and_b32_sdwa v0, v0, v14 dst_sel:DWORD dst_unused:UNUSED_PAD src0_sel:DWORD src1_sel:BYTE_1
	v_and_b32_e32 v20, 0x7f, v0
	s_waitcnt vmcnt(0)
	v_mov_b32_e32 v1, v23
	buffer_store_dword v0, off, s[0:3], s32 offset:192 ; 4-byte Folded Spill
	buffer_store_dword v1, off, s[0:3], s32 offset:196 ; 4-byte Folded Spill
	v_cmpx_ne_u32_e32 0x7f, v20
	s_cbranch_execz .LBB200_951
; %bb.948:                              ;   in Loop: Header=BB200_9 Depth=1
	v_and_b32_e32 v82, 7, v0
	v_lshrrev_b32_e32 v15, 3, v20
	s_mov_b32 s21, exec_lo
	v_cmpx_gt_u32_e32 8, v20
; %bb.949:                              ;   in Loop: Header=BB200_9 Depth=1
	v_ffbh_u32_e32 v15, v82
	v_min_u32_e32 v15, 32, v15
	v_subrev_nc_u32_e32 v20, 28, v15
	v_sub_nc_u32_e32 v15, 29, v15
	v_lshlrev_b64 v[20:21], v20, v[82:83]
	v_and_b32_e32 v82, 7, v20
; %bb.950:                              ;   in Loop: Header=BB200_9 Depth=1
	s_or_b32 exec_lo, exec_lo, s21
	v_lshlrev_b32_e32 v14, 16, v14
	v_lshlrev_b32_e32 v0, 20, v82
	v_lshl_add_u32 v15, v15, 23, 0x3c000000
	v_mov_b32_e32 v22, v83
	v_and_b32_e32 v14, 0x80000000, v14
	v_or3_b32 v23, v0, v14, v15
.LBB200_951:                            ;   in Loop: Header=BB200_9 Depth=1
	s_or_b32 exec_lo, exec_lo, s20
	v_mov_b32_e32 v17, v3
	v_mov_b32_e32 v16, v2
.LBB200_952:                            ;   in Loop: Header=BB200_9 Depth=1
	s_or_b32 exec_lo, exec_lo, s19
.LBB200_953:                            ;   in Loop: Header=BB200_9 Depth=1
	s_or_b32 exec_lo, exec_lo, s17
	buffer_load_dword v0, off, s[0:3], s32 offset:216 ; 4-byte Folded Reload
	v_mov_b32_e32 v14, 0
	v_mov_b32_e32 v20, 0
	v_mov_b32_e32 v15, 0
	v_mov_b32_e32 v21, 0
	s_waitcnt vmcnt(0)
	v_add_co_u32 v12, s6, v12, v0
	v_add_co_ci_u32_e64 v13, null, 0, v13, s6
	flat_load_ushort v0, v[12:13]
	s_waitcnt vmcnt(0) lgkmcnt(0)
	v_and_b32_e32 v12, 0xffff, v0
	v_cmp_ne_u16_sdwa s6, v0, v83 src0_sel:BYTE_0 src1_sel:DWORD
	s_and_saveexec_b32 s17, s6
	s_cbranch_execz .LBB200_961
; %bb.954:                              ;   in Loop: Header=BB200_9 Depth=1
	v_mov_b32_e32 v0, 0x80
	v_bfrev_b32_e32 v20, 1
	v_mov_b32_e32 v21, 0
	v_cmp_ne_u16_sdwa s6, v12, v0 src0_sel:BYTE_0 src1_sel:DWORD
	s_and_saveexec_b32 s19, s6
	s_cbranch_execz .LBB200_960
; %bb.955:                              ;   in Loop: Header=BB200_9 Depth=1
	v_mov_b32_e32 v20, 0x7f800001
	v_and_b32_e32 v24, 0x7f, v12
	v_mov_b32_e32 v21, 0
	s_mov_b32 s20, exec_lo
	v_cmpx_ne_u32_e32 0x7f, v24
	s_cbranch_execz .LBB200_959
; %bb.956:                              ;   in Loop: Header=BB200_9 Depth=1
	v_and_b32_e32 v82, 7, v12
	v_lshrrev_b32_e32 v13, 3, v24
	s_mov_b32 s21, exec_lo
	v_cmpx_gt_u32_e32 8, v24
; %bb.957:                              ;   in Loop: Header=BB200_9 Depth=1
	v_ffbh_u32_e32 v13, v82
	v_min_u32_e32 v13, 32, v13
	v_subrev_nc_u32_e32 v20, 28, v13
	v_sub_nc_u32_e32 v13, 29, v13
	v_lshlrev_b64 v[20:21], v20, v[82:83]
	v_and_b32_e32 v82, 7, v20
; %bb.958:                              ;   in Loop: Header=BB200_9 Depth=1
	s_or_b32 exec_lo, exec_lo, s21
	v_lshlrev_b32_e32 v20, 24, v12
	v_lshlrev_b32_e32 v0, 20, v82
	v_lshl_add_u32 v13, v13, 23, 0x3c000000
	v_and_b32_e32 v20, 0x80000000, v20
	v_or3_b32 v82, v0, v20, v13
	v_mov_b32_e32 v20, v82
	v_mov_b32_e32 v21, v83
.LBB200_959:                            ;   in Loop: Header=BB200_9 Depth=1
	s_or_b32 exec_lo, exec_lo, s20
.LBB200_960:                            ;   in Loop: Header=BB200_9 Depth=1
	s_or_b32 exec_lo, exec_lo, s19
.LBB200_961:                            ;   in Loop: Header=BB200_9 Depth=1
	s_or_b32 exec_lo, exec_lo, s17
	v_cmp_ne_u16_sdwa s6, v12, v83 src0_sel:BYTE_1 src1_sel:DWORD
	s_and_saveexec_b32 s17, s6
	s_cbranch_execz .LBB200_969
; %bb.962:                              ;   in Loop: Header=BB200_9 Depth=1
	v_mov_b32_e32 v50, v83
	v_mov_b32_e32 v0, 0x80
	;; [unrolled: 1-line block ×3, first 2 shown]
	v_cmp_ne_u16_sdwa s6, v12, v0 src0_sel:BYTE_1 src1_sel:DWORD
	v_mov_b32_e32 v15, v51
	s_and_saveexec_b32 s19, s6
	s_cbranch_execz .LBB200_968
; %bb.963:                              ;   in Loop: Header=BB200_9 Depth=1
	s_clause 0x1
	buffer_load_dword v13, off, s[0:3], s32 offset:192
	buffer_load_dword v14, off, s[0:3], s32 offset:196
	v_mov_b32_e32 v0, 0xffff
	s_mov_b32 s20, exec_lo
	v_and_b32_sdwa v0, v0, v12 dst_sel:DWORD dst_unused:UNUSED_PAD src0_sel:DWORD src1_sel:BYTE_1
	v_and_b32_e32 v24, 0x7f, v0
	s_waitcnt vmcnt(0)
	v_mov_b32_e32 v15, v14
	v_mov_b32_e32 v14, v83
	;; [unrolled: 1-line block ×3, first 2 shown]
	buffer_store_dword v0, off, s[0:3], s32 offset:192 ; 4-byte Folded Spill
	buffer_store_dword v1, off, s[0:3], s32 offset:196 ; 4-byte Folded Spill
	v_cmpx_ne_u32_e32 0x7f, v24
	s_cbranch_execz .LBB200_967
; %bb.964:                              ;   in Loop: Header=BB200_9 Depth=1
	v_and_b32_e32 v82, 7, v0
	v_lshrrev_b32_e32 v13, 3, v24
	s_mov_b32 s21, exec_lo
	v_cmpx_gt_u32_e32 8, v24
; %bb.965:                              ;   in Loop: Header=BB200_9 Depth=1
	v_ffbh_u32_e32 v13, v82
	v_min_u32_e32 v13, 32, v13
	v_subrev_nc_u32_e32 v14, 28, v13
	v_sub_nc_u32_e32 v13, 29, v13
	v_lshlrev_b64 v[14:15], v14, v[82:83]
	v_and_b32_e32 v82, 7, v14
; %bb.966:                              ;   in Loop: Header=BB200_9 Depth=1
	s_or_b32 exec_lo, exec_lo, s21
	v_lshlrev_b32_e32 v12, 16, v12
	v_lshlrev_b32_e32 v0, 20, v82
	v_lshl_add_u32 v13, v13, 23, 0x3c000000
	v_mov_b32_e32 v14, v83
	v_and_b32_e32 v12, 0x80000000, v12
	v_or3_b32 v15, v0, v12, v13
.LBB200_967:                            ;   in Loop: Header=BB200_9 Depth=1
	s_or_b32 exec_lo, exec_lo, s20
.LBB200_968:                            ;   in Loop: Header=BB200_9 Depth=1
	s_or_b32 exec_lo, exec_lo, s19
.LBB200_969:                            ;   in Loop: Header=BB200_9 Depth=1
	s_or_b32 exec_lo, exec_lo, s17
	buffer_load_dword v0, off, s[0:3], s32 offset:204 ; 4-byte Folded Reload
	v_add_co_u32 v26, s6, 0xf00, v52
	v_add_co_ci_u32_e64 v27, null, 0, v53, s6
	v_mov_b32_e32 v24, 0
	v_mov_b32_e32 v52, 0
	;; [unrolled: 1-line block ×4, first 2 shown]
	s_waitcnt vmcnt(0)
	v_add_co_u32 v12, s6, v26, v0
	v_add_co_ci_u32_e64 v13, null, 0, v27, s6
	flat_load_ushort v0, v[12:13]
	s_waitcnt vmcnt(0) lgkmcnt(0)
	v_and_b32_e32 v12, 0xffff, v0
	v_cmp_ne_u16_sdwa s6, v0, v83 src0_sel:BYTE_0 src1_sel:DWORD
	s_and_saveexec_b32 s17, s6
	s_cbranch_execz .LBB200_977
; %bb.970:                              ;   in Loop: Header=BB200_9 Depth=1
	v_mov_b32_e32 v0, 0x80
	v_bfrev_b32_e32 v52, 1
	v_mov_b32_e32 v53, 0
	v_cmp_ne_u16_sdwa s6, v12, v0 src0_sel:BYTE_0 src1_sel:DWORD
	s_and_saveexec_b32 s19, s6
	s_cbranch_execz .LBB200_976
; %bb.971:                              ;   in Loop: Header=BB200_9 Depth=1
	v_mov_b32_e32 v52, 0x7f800001
	v_and_b32_e32 v30, 0x7f, v12
	v_mov_b32_e32 v53, 0
	s_mov_b32 s20, exec_lo
	v_cmpx_ne_u32_e32 0x7f, v30
	s_cbranch_execz .LBB200_975
; %bb.972:                              ;   in Loop: Header=BB200_9 Depth=1
	v_and_b32_e32 v82, 7, v12
	v_lshrrev_b32_e32 v13, 3, v30
	s_mov_b32 s21, exec_lo
	v_cmpx_gt_u32_e32 8, v30
; %bb.973:                              ;   in Loop: Header=BB200_9 Depth=1
	v_ffbh_u32_e32 v13, v82
	v_min_u32_e32 v13, 32, v13
	v_subrev_nc_u32_e32 v30, 28, v13
	v_sub_nc_u32_e32 v13, 29, v13
	v_lshlrev_b64 v[30:31], v30, v[82:83]
	v_and_b32_e32 v82, 7, v30
; %bb.974:                              ;   in Loop: Header=BB200_9 Depth=1
	s_or_b32 exec_lo, exec_lo, s21
	v_lshlrev_b32_e32 v30, 24, v12
	v_lshlrev_b32_e32 v0, 20, v82
	v_lshl_add_u32 v13, v13, 23, 0x3c000000
	v_and_b32_e32 v30, 0x80000000, v30
	v_or3_b32 v82, v0, v30, v13
	v_mov_b32_e32 v52, v82
	v_mov_b32_e32 v53, v83
.LBB200_975:                            ;   in Loop: Header=BB200_9 Depth=1
	s_or_b32 exec_lo, exec_lo, s20
.LBB200_976:                            ;   in Loop: Header=BB200_9 Depth=1
	s_or_b32 exec_lo, exec_lo, s19
.LBB200_977:                            ;   in Loop: Header=BB200_9 Depth=1
	s_or_b32 exec_lo, exec_lo, s17
	v_cmp_ne_u16_sdwa s6, v12, v83 src0_sel:BYTE_1 src1_sel:DWORD
	s_and_saveexec_b32 s17, s6
	s_cbranch_execz .LBB200_985
; %bb.978:                              ;   in Loop: Header=BB200_9 Depth=1
	v_mov_b32_e32 v50, v83
	v_mov_b32_e32 v0, 0x80
	;; [unrolled: 1-line block ×3, first 2 shown]
	v_cmp_ne_u16_sdwa s6, v12, v0 src0_sel:BYTE_1 src1_sel:DWORD
	v_mov_b32_e32 v25, v51
	s_and_saveexec_b32 s19, s6
	s_cbranch_execz .LBB200_984
; %bb.979:                              ;   in Loop: Header=BB200_9 Depth=1
	s_clause 0x1
	buffer_load_dword v24, off, s[0:3], s32 offset:192
	buffer_load_dword v25, off, s[0:3], s32 offset:196
	v_mov_b32_e32 v0, 0xffff
	v_mov_b32_e32 v2, v16
	;; [unrolled: 1-line block ×3, first 2 shown]
	s_waitcnt vmcnt(1)
	v_mov_b32_e32 v24, v83
	s_mov_b32 s20, exec_lo
	v_and_b32_sdwa v0, v0, v12 dst_sel:DWORD dst_unused:UNUSED_PAD src0_sel:DWORD src1_sel:BYTE_1
	v_and_b32_e32 v30, 0x7f, v0
	s_waitcnt vmcnt(0)
	v_mov_b32_e32 v1, v25
	buffer_store_dword v0, off, s[0:3], s32 offset:192 ; 4-byte Folded Spill
	buffer_store_dword v1, off, s[0:3], s32 offset:196 ; 4-byte Folded Spill
	v_cmpx_ne_u32_e32 0x7f, v30
	s_cbranch_execz .LBB200_983
; %bb.980:                              ;   in Loop: Header=BB200_9 Depth=1
	v_and_b32_e32 v82, 7, v0
	v_lshrrev_b32_e32 v13, 3, v30
	s_mov_b32 s21, exec_lo
	v_cmpx_gt_u32_e32 8, v30
; %bb.981:                              ;   in Loop: Header=BB200_9 Depth=1
	v_ffbh_u32_e32 v13, v82
	v_min_u32_e32 v13, 32, v13
	v_subrev_nc_u32_e32 v24, 28, v13
	v_sub_nc_u32_e32 v13, 29, v13
	v_lshlrev_b64 v[24:25], v24, v[82:83]
	v_and_b32_e32 v82, 7, v24
; %bb.982:                              ;   in Loop: Header=BB200_9 Depth=1
	s_or_b32 exec_lo, exec_lo, s21
	v_lshlrev_b32_e32 v12, 16, v12
	v_lshlrev_b32_e32 v0, 20, v82
	v_lshl_add_u32 v13, v13, 23, 0x3c000000
	v_mov_b32_e32 v24, v83
	v_and_b32_e32 v12, 0x80000000, v12
	v_or3_b32 v25, v0, v12, v13
.LBB200_983:                            ;   in Loop: Header=BB200_9 Depth=1
	s_or_b32 exec_lo, exec_lo, s20
	v_mov_b32_e32 v17, v3
	v_mov_b32_e32 v16, v2
.LBB200_984:                            ;   in Loop: Header=BB200_9 Depth=1
	s_or_b32 exec_lo, exec_lo, s19
.LBB200_985:                            ;   in Loop: Header=BB200_9 Depth=1
	s_or_b32 exec_lo, exec_lo, s17
	buffer_load_dword v0, off, s[0:3], s32 offset:208 ; 4-byte Folded Reload
	v_mov_b32_e32 v48, 0
	v_mov_b32_e32 v49, 0
	s_waitcnt vmcnt(0)
	v_add_co_u32 v12, s6, v26, v0
	v_add_co_ci_u32_e64 v13, null, 0, v27, s6
	flat_load_ushort v0, v[12:13]
	v_mov_b32_e32 v12, 0
	v_mov_b32_e32 v13, 0
	s_waitcnt vmcnt(0) lgkmcnt(0)
	v_and_b32_e32 v30, 0xffff, v0
	v_cmp_ne_u16_sdwa s6, v0, v83 src0_sel:BYTE_0 src1_sel:DWORD
	s_and_saveexec_b32 s17, s6
	s_cbranch_execz .LBB200_993
; %bb.986:                              ;   in Loop: Header=BB200_9 Depth=1
	v_mov_b32_e32 v0, 0x80
	v_bfrev_b32_e32 v48, 1
	v_mov_b32_e32 v49, 0
	v_cmp_ne_u16_sdwa s6, v30, v0 src0_sel:BYTE_0 src1_sel:DWORD
	s_and_saveexec_b32 s19, s6
	s_cbranch_execz .LBB200_992
; %bb.987:                              ;   in Loop: Header=BB200_9 Depth=1
	v_mov_b32_e32 v48, 0x7f800001
	v_and_b32_e32 v32, 0x7f, v30
	v_mov_b32_e32 v49, 0
	s_mov_b32 s20, exec_lo
	v_cmpx_ne_u32_e32 0x7f, v32
	s_cbranch_execz .LBB200_991
; %bb.988:                              ;   in Loop: Header=BB200_9 Depth=1
	v_and_b32_e32 v82, 7, v30
	v_lshrrev_b32_e32 v31, 3, v32
	s_mov_b32 s21, exec_lo
	v_cmpx_gt_u32_e32 8, v32
; %bb.989:                              ;   in Loop: Header=BB200_9 Depth=1
	v_ffbh_u32_e32 v31, v82
	v_min_u32_e32 v31, 32, v31
	v_subrev_nc_u32_e32 v32, 28, v31
	v_sub_nc_u32_e32 v31, 29, v31
	v_lshlrev_b64 v[32:33], v32, v[82:83]
	v_and_b32_e32 v82, 7, v32
; %bb.990:                              ;   in Loop: Header=BB200_9 Depth=1
	s_or_b32 exec_lo, exec_lo, s21
	v_lshlrev_b32_e32 v32, 24, v30
	v_lshlrev_b32_e32 v0, 20, v82
	v_lshl_add_u32 v31, v31, 23, 0x3c000000
	v_and_b32_e32 v32, 0x80000000, v32
	v_or3_b32 v82, v0, v32, v31
	v_mov_b32_e32 v48, v82
	v_mov_b32_e32 v49, v83
.LBB200_991:                            ;   in Loop: Header=BB200_9 Depth=1
	s_or_b32 exec_lo, exec_lo, s20
.LBB200_992:                            ;   in Loop: Header=BB200_9 Depth=1
	s_or_b32 exec_lo, exec_lo, s19
.LBB200_993:                            ;   in Loop: Header=BB200_9 Depth=1
	s_or_b32 exec_lo, exec_lo, s17
	v_cmp_ne_u16_sdwa s6, v30, v83 src0_sel:BYTE_1 src1_sel:DWORD
	s_and_saveexec_b32 s17, s6
	s_cbranch_execz .LBB200_1001
; %bb.994:                              ;   in Loop: Header=BB200_9 Depth=1
	v_mov_b32_e32 v50, v83
	v_mov_b32_e32 v0, 0x80
	;; [unrolled: 1-line block ×3, first 2 shown]
	v_cmp_ne_u16_sdwa s6, v30, v0 src0_sel:BYTE_1 src1_sel:DWORD
	v_mov_b32_e32 v13, v51
	s_and_saveexec_b32 s19, s6
	s_cbranch_execz .LBB200_1000
; %bb.995:                              ;   in Loop: Header=BB200_9 Depth=1
	s_clause 0x1
	buffer_load_dword v12, off, s[0:3], s32 offset:192
	buffer_load_dword v13, off, s[0:3], s32 offset:196
	v_mov_b32_e32 v0, 0xffff
	s_waitcnt vmcnt(1)
	v_mov_b32_e32 v12, v83
	s_mov_b32 s20, exec_lo
	v_and_b32_sdwa v0, v0, v30 dst_sel:DWORD dst_unused:UNUSED_PAD src0_sel:DWORD src1_sel:BYTE_1
	v_and_b32_e32 v31, 0x7f, v0
	s_waitcnt vmcnt(0)
	v_mov_b32_e32 v1, v13
	buffer_store_dword v0, off, s[0:3], s32 offset:192 ; 4-byte Folded Spill
	buffer_store_dword v1, off, s[0:3], s32 offset:196 ; 4-byte Folded Spill
	v_cmpx_ne_u32_e32 0x7f, v31
	s_cbranch_execz .LBB200_999
; %bb.996:                              ;   in Loop: Header=BB200_9 Depth=1
	v_and_b32_e32 v82, 7, v0
	v_lshrrev_b32_e32 v12, 3, v31
	s_mov_b32 s21, exec_lo
	v_cmpx_gt_u32_e32 8, v31
; %bb.997:                              ;   in Loop: Header=BB200_9 Depth=1
	v_ffbh_u32_e32 v12, v82
	v_min_u32_e32 v12, 32, v12
	v_subrev_nc_u32_e32 v13, 28, v12
	v_sub_nc_u32_e32 v12, 29, v12
	v_lshlrev_b64 v[31:32], v13, v[82:83]
	v_and_b32_e32 v82, 7, v31
; %bb.998:                              ;   in Loop: Header=BB200_9 Depth=1
	s_or_b32 exec_lo, exec_lo, s21
	v_lshlrev_b32_e32 v13, 16, v30
	v_lshlrev_b32_e32 v0, 20, v82
	v_lshl_add_u32 v12, v12, 23, 0x3c000000
	v_and_b32_e32 v13, 0x80000000, v13
	v_or3_b32 v13, v0, v13, v12
	v_mov_b32_e32 v12, v83
.LBB200_999:                            ;   in Loop: Header=BB200_9 Depth=1
	s_or_b32 exec_lo, exec_lo, s20
.LBB200_1000:                           ;   in Loop: Header=BB200_9 Depth=1
	s_or_b32 exec_lo, exec_lo, s19
.LBB200_1001:                           ;   in Loop: Header=BB200_9 Depth=1
	s_or_b32 exec_lo, exec_lo, s17
	buffer_load_dword v0, off, s[0:3], s32 offset:212 ; 4-byte Folded Reload
	v_mov_b32_e32 v54, 0
	v_mov_b32_e32 v55, 0
	s_waitcnt vmcnt(0)
	v_add_co_u32 v30, s6, v26, v0
	v_add_co_ci_u32_e64 v31, null, 0, v27, s6
	flat_load_ushort v0, v[30:31]
	v_mov_b32_e32 v30, 0
	v_mov_b32_e32 v31, 0
	s_waitcnt vmcnt(0) lgkmcnt(0)
	v_and_b32_e32 v32, 0xffff, v0
	v_cmp_ne_u16_sdwa s6, v0, v83 src0_sel:BYTE_0 src1_sel:DWORD
	s_and_saveexec_b32 s17, s6
	s_cbranch_execz .LBB200_1009
; %bb.1002:                             ;   in Loop: Header=BB200_9 Depth=1
	v_mov_b32_e32 v0, 0x80
	v_bfrev_b32_e32 v54, 1
	v_mov_b32_e32 v55, 0
	v_cmp_ne_u16_sdwa s6, v32, v0 src0_sel:BYTE_0 src1_sel:DWORD
	s_and_saveexec_b32 s19, s6
	s_cbranch_execz .LBB200_1008
; %bb.1003:                             ;   in Loop: Header=BB200_9 Depth=1
	v_mov_b32_e32 v54, 0x7f800001
	v_and_b32_e32 v34, 0x7f, v32
	v_mov_b32_e32 v55, 0
	s_mov_b32 s20, exec_lo
	v_cmpx_ne_u32_e32 0x7f, v34
	s_cbranch_execz .LBB200_1007
; %bb.1004:                             ;   in Loop: Header=BB200_9 Depth=1
	v_and_b32_e32 v82, 7, v32
	v_lshrrev_b32_e32 v33, 3, v34
	s_mov_b32 s21, exec_lo
	v_cmpx_gt_u32_e32 8, v34
; %bb.1005:                             ;   in Loop: Header=BB200_9 Depth=1
	v_ffbh_u32_e32 v33, v82
	v_min_u32_e32 v33, 32, v33
	v_subrev_nc_u32_e32 v34, 28, v33
	v_sub_nc_u32_e32 v33, 29, v33
	v_lshlrev_b64 v[54:55], v34, v[82:83]
	v_and_b32_e32 v82, 7, v54
; %bb.1006:                             ;   in Loop: Header=BB200_9 Depth=1
	s_or_b32 exec_lo, exec_lo, s21
	v_lshlrev_b32_e32 v34, 24, v32
	v_lshlrev_b32_e32 v0, 20, v82
	v_lshl_add_u32 v33, v33, 23, 0x3c000000
	v_and_b32_e32 v34, 0x80000000, v34
	v_or3_b32 v82, v0, v34, v33
	v_mov_b32_e32 v54, v82
	v_mov_b32_e32 v55, v83
.LBB200_1007:                           ;   in Loop: Header=BB200_9 Depth=1
	s_or_b32 exec_lo, exec_lo, s20
.LBB200_1008:                           ;   in Loop: Header=BB200_9 Depth=1
	s_or_b32 exec_lo, exec_lo, s19
.LBB200_1009:                           ;   in Loop: Header=BB200_9 Depth=1
	s_or_b32 exec_lo, exec_lo, s17
	v_cmp_ne_u16_sdwa s6, v32, v83 src0_sel:BYTE_1 src1_sel:DWORD
	s_and_saveexec_b32 s17, s6
	s_cbranch_execz .LBB200_1017
; %bb.1010:                             ;   in Loop: Header=BB200_9 Depth=1
	v_mov_b32_e32 v50, v83
	v_mov_b32_e32 v0, 0x80
	;; [unrolled: 1-line block ×3, first 2 shown]
	v_cmp_ne_u16_sdwa s6, v32, v0 src0_sel:BYTE_1 src1_sel:DWORD
	v_mov_b32_e32 v31, v51
	s_and_saveexec_b32 s19, s6
	s_cbranch_execz .LBB200_1016
; %bb.1011:                             ;   in Loop: Header=BB200_9 Depth=1
	s_clause 0x1
	buffer_load_dword v30, off, s[0:3], s32 offset:192
	buffer_load_dword v31, off, s[0:3], s32 offset:196
	v_mov_b32_e32 v0, 0xffff
	v_mov_b32_e32 v2, v16
	;; [unrolled: 1-line block ×3, first 2 shown]
	s_waitcnt vmcnt(1)
	v_mov_b32_e32 v30, v83
	s_mov_b32 s20, exec_lo
	v_and_b32_sdwa v0, v0, v32 dst_sel:DWORD dst_unused:UNUSED_PAD src0_sel:DWORD src1_sel:BYTE_1
	v_and_b32_e32 v33, 0x7f, v0
	s_waitcnt vmcnt(0)
	v_mov_b32_e32 v1, v31
	buffer_store_dword v0, off, s[0:3], s32 offset:192 ; 4-byte Folded Spill
	buffer_store_dword v1, off, s[0:3], s32 offset:196 ; 4-byte Folded Spill
	v_cmpx_ne_u32_e32 0x7f, v33
	s_cbranch_execz .LBB200_1015
; %bb.1012:                             ;   in Loop: Header=BB200_9 Depth=1
	v_and_b32_e32 v82, 7, v0
	v_lshrrev_b32_e32 v30, 3, v33
	s_mov_b32 s21, exec_lo
	v_cmpx_gt_u32_e32 8, v33
; %bb.1013:                             ;   in Loop: Header=BB200_9 Depth=1
	v_ffbh_u32_e32 v30, v82
	v_min_u32_e32 v30, 32, v30
	v_subrev_nc_u32_e32 v31, 28, v30
	v_sub_nc_u32_e32 v30, 29, v30
	v_lshlrev_b64 v[33:34], v31, v[82:83]
	v_and_b32_e32 v82, 7, v33
; %bb.1014:                             ;   in Loop: Header=BB200_9 Depth=1
	s_or_b32 exec_lo, exec_lo, s21
	v_lshlrev_b32_e32 v31, 16, v32
	v_lshlrev_b32_e32 v0, 20, v82
	v_lshl_add_u32 v30, v30, 23, 0x3c000000
	v_and_b32_e32 v31, 0x80000000, v31
	v_or3_b32 v31, v0, v31, v30
	v_mov_b32_e32 v30, v83
.LBB200_1015:                           ;   in Loop: Header=BB200_9 Depth=1
	s_or_b32 exec_lo, exec_lo, s20
	v_mov_b32_e32 v17, v3
	v_mov_b32_e32 v16, v2
.LBB200_1016:                           ;   in Loop: Header=BB200_9 Depth=1
	s_or_b32 exec_lo, exec_lo, s19
.LBB200_1017:                           ;   in Loop: Header=BB200_9 Depth=1
	s_or_b32 exec_lo, exec_lo, s17
	buffer_load_dword v0, off, s[0:3], s32 offset:216 ; 4-byte Folded Reload
	v_mov_b32_e32 v32, 0
	v_mov_b32_e32 v33, 0
	s_waitcnt vmcnt(0)
	v_add_co_u32 v26, s6, v26, v0
	v_add_co_ci_u32_e64 v27, null, 0, v27, s6
	flat_load_ushort v0, v[26:27]
	v_mov_b32_e32 v26, 0
	v_mov_b32_e32 v27, 0
	s_waitcnt vmcnt(0) lgkmcnt(0)
	v_and_b32_e32 v71, 0xffff, v0
	v_cmp_ne_u16_sdwa s6, v0, v83 src0_sel:BYTE_0 src1_sel:DWORD
	s_and_saveexec_b32 s17, s6
	s_cbranch_execz .LBB200_1025
; %bb.1018:                             ;   in Loop: Header=BB200_9 Depth=1
	v_mov_b32_e32 v0, 0x80
	v_bfrev_b32_e32 v26, 1
	v_mov_b32_e32 v27, 0
	v_cmp_ne_u16_sdwa s6, v71, v0 src0_sel:BYTE_0 src1_sel:DWORD
	s_and_saveexec_b32 s19, s6
	s_cbranch_execz .LBB200_1024
; %bb.1019:                             ;   in Loop: Header=BB200_9 Depth=1
	v_mov_b32_e32 v26, 0x7f800001
	v_and_b32_e32 v34, 0x7f, v71
	v_mov_b32_e32 v27, 0
	s_mov_b32 s20, exec_lo
	v_cmpx_ne_u32_e32 0x7f, v34
	s_cbranch_execz .LBB200_1023
; %bb.1020:                             ;   in Loop: Header=BB200_9 Depth=1
	v_and_b32_e32 v82, 7, v71
	v_lshrrev_b32_e32 v26, 3, v34
	s_mov_b32 s21, exec_lo
	v_cmpx_gt_u32_e32 8, v34
; %bb.1021:                             ;   in Loop: Header=BB200_9 Depth=1
	v_ffbh_u32_e32 v26, v82
	v_min_u32_e32 v26, 32, v26
	v_subrev_nc_u32_e32 v27, 28, v26
	v_sub_nc_u32_e32 v26, 29, v26
	v_lshlrev_b64 v[38:39], v27, v[82:83]
	v_and_b32_e32 v82, 7, v38
; %bb.1022:                             ;   in Loop: Header=BB200_9 Depth=1
	s_or_b32 exec_lo, exec_lo, s21
	v_lshlrev_b32_e32 v27, 24, v71
	v_lshlrev_b32_e32 v0, 20, v82
	v_lshl_add_u32 v26, v26, 23, 0x3c000000
	v_and_b32_e32 v27, 0x80000000, v27
	v_or3_b32 v82, v0, v27, v26
	v_mov_b32_e32 v26, v82
	v_mov_b32_e32 v27, v83
.LBB200_1023:                           ;   in Loop: Header=BB200_9 Depth=1
	s_or_b32 exec_lo, exec_lo, s20
.LBB200_1024:                           ;   in Loop: Header=BB200_9 Depth=1
	s_or_b32 exec_lo, exec_lo, s19
.LBB200_1025:                           ;   in Loop: Header=BB200_9 Depth=1
	s_or_b32 exec_lo, exec_lo, s17
	v_mov_b32_e32 v2, v16
	v_mov_b32_e32 v3, v17
	v_cmp_ne_u16_sdwa s6, v71, v83 src0_sel:BYTE_1 src1_sel:DWORD
	s_and_saveexec_b32 s17, s6
	s_cbranch_execz .LBB200_1033
; %bb.1026:                             ;   in Loop: Header=BB200_9 Depth=1
	v_mov_b32_e32 v50, v83
	v_mov_b32_e32 v0, 0x80
	;; [unrolled: 1-line block ×3, first 2 shown]
	v_cmp_ne_u16_sdwa s6, v71, v0 src0_sel:BYTE_1 src1_sel:DWORD
	v_mov_b32_e32 v33, v51
	s_and_saveexec_b32 s19, s6
	s_cbranch_execz .LBB200_1032
; %bb.1027:                             ;   in Loop: Header=BB200_9 Depth=1
	s_clause 0x1
	buffer_load_dword v32, off, s[0:3], s32 offset:192
	buffer_load_dword v33, off, s[0:3], s32 offset:196
	v_mov_b32_e32 v0, 0xffff
	s_waitcnt vmcnt(1)
	v_mov_b32_e32 v32, v83
	s_mov_b32 s20, exec_lo
	v_and_b32_sdwa v0, v0, v71 dst_sel:DWORD dst_unused:UNUSED_PAD src0_sel:DWORD src1_sel:BYTE_1
	v_and_b32_e32 v34, 0x7f, v0
	s_waitcnt vmcnt(0)
	v_mov_b32_e32 v1, v33
	buffer_store_dword v0, off, s[0:3], s32 offset:192 ; 4-byte Folded Spill
	buffer_store_dword v1, off, s[0:3], s32 offset:196 ; 4-byte Folded Spill
	v_cmpx_ne_u32_e32 0x7f, v34
	s_cbranch_execz .LBB200_1031
; %bb.1028:                             ;   in Loop: Header=BB200_9 Depth=1
	v_and_b32_e32 v82, 7, v0
	v_lshrrev_b32_e32 v32, 3, v34
	s_mov_b32 s21, exec_lo
	v_cmpx_gt_u32_e32 8, v34
; %bb.1029:                             ;   in Loop: Header=BB200_9 Depth=1
	v_ffbh_u32_e32 v32, v82
	v_min_u32_e32 v32, 32, v32
	v_subrev_nc_u32_e32 v33, 28, v32
	v_sub_nc_u32_e32 v32, 29, v32
	v_lshlrev_b64 v[33:34], v33, v[82:83]
	v_and_b32_e32 v82, 7, v33
; %bb.1030:                             ;   in Loop: Header=BB200_9 Depth=1
	s_or_b32 exec_lo, exec_lo, s21
	v_lshlrev_b32_e32 v33, 16, v71
	v_lshlrev_b32_e32 v0, 20, v82
	v_lshl_add_u32 v32, v32, 23, 0x3c000000
	v_and_b32_e32 v33, 0x80000000, v33
	v_or3_b32 v33, v0, v33, v32
	v_mov_b32_e32 v32, v83
.LBB200_1031:                           ;   in Loop: Header=BB200_9 Depth=1
	s_or_b32 exec_lo, exec_lo, s20
.LBB200_1032:                           ;   in Loop: Header=BB200_9 Depth=1
	s_or_b32 exec_lo, exec_lo, s19
.LBB200_1033:                           ;   in Loop: Header=BB200_9 Depth=1
	s_or_b32 exec_lo, exec_lo, s17
	v_or_b32_e32 v0, v31, v55
	v_or_b32_e32 v81, v81, v99
	v_or_b32_e32 v80, v80, v98
	v_or_b32_e32 v85, v85, v103
	v_or_b32_e32 v84, v84, v102
	buffer_store_dword v0, off, s[0:3], s32 offset:824 ; 4-byte Folded Spill
	v_or_b32_e32 v0, v30, v54
	v_or_b32_e32 v97, v97, v115
	v_or_b32_e32 v96, v96, v114
	v_or_b32_e32 v101, v101, v119
	v_or_b32_e32 v100, v100, v118
	buffer_store_dword v0, off, s[0:3], s32 offset:828 ; 4-byte Folded Spill
	;; [unrolled: 6-line block ×10, first 2 shown]
	v_or_b32_e32 v0, v11, v125
	v_or_b32_e32 v27, v33, v27
	v_mul_f32_e32 v17, v70, v17
	buffer_store_dword v0, off, s[0:3], s32 offset:864 ; 4-byte Folded Spill
	v_or_b32_e32 v0, v10, v124
	buffer_store_dword v0, off, s[0:3], s32 offset:868 ; 4-byte Folded Spill
	v_or_b32_e32 v0, v127, v109
	buffer_store_dword v0, off, s[0:3], s32 offset:872 ; 4-byte Folded Spill
	s_clause 0x1
	buffer_load_dword v0, off, s[0:3], s32 offset:792
	buffer_load_dword v1, off, s[0:3], s32 offset:796
	s_waitcnt vmcnt(1)
	v_or_b32_e32 v68, v68, v0
	s_waitcnt vmcnt(0)
	v_or_b32_e32 v69, v69, v1
	s_clause 0x1
	buffer_load_dword v0, off, s[0:3], s32 offset:784
	buffer_load_dword v1, off, s[0:3], s32 offset:788
	s_waitcnt vmcnt(1)
	v_or_b32_e32 v64, v64, v0
	s_waitcnt vmcnt(0)
	v_or_b32_e32 v65, v65, v1
	s_clause 0x3
	buffer_load_dword v0, off, s[0:3], s32 offset:768
	buffer_load_dword v1, off, s[0:3], s32 offset:772
	buffer_load_dword v6, off, s[0:3], s32 offset:776
	buffer_load_dword v7, off, s[0:3], s32 offset:780
	s_waitcnt vmcnt(1)
	v_or_b32_e32 v18, v6, v0
	s_waitcnt vmcnt(0)
	v_or_b32_e32 v50, v7, v1
	s_clause 0x3
	buffer_load_dword v0, off, s[0:3], s32 offset:752
	buffer_load_dword v1, off, s[0:3], s32 offset:756
	;; [unrolled: 9-line block ×36, first 2 shown]
	buffer_load_dword v2, off, s[0:3], s32 offset:904
	buffer_load_dword v3, off, s[0:3], s32 offset:908
	v_mul_f32_e32 v23, v70, v23
	s_waitcnt vmcnt(1)
	v_mul_f32_e32 v26, v2, v23
	v_fmac_f32_e32 v26, v0, v17
	v_mul_f32_e32 v17, v70, v19
	v_mul_f32_e32 v19, v70, v29
	s_waitcnt vmcnt(0)
	v_mul_f32_e32 v33, v3, v17
	v_mul_f32_e32 v17, v70, v37
	v_fmac_f32_e32 v33, v1, v19
	s_clause 0x3
	buffer_load_dword v0, off, s[0:3], s32 offset:912
	buffer_load_dword v1, off, s[0:3], s32 offset:916
	;; [unrolled: 1-line block ×4, first 2 shown]
	s_waitcnt vmcnt(3)
	v_fmac_f32_e32 v26, v0, v17
	v_mul_f32_e32 v0, v70, v35
	s_waitcnt vmcnt(2)
	v_fmac_f32_e32 v33, v1, v0
	v_mul_f32_e32 v0, v70, v67
	s_waitcnt vmcnt(1)
	v_fmac_f32_e32 v26, v2, v0
	v_mul_f32_e32 v0, v70, v66
	s_waitcnt vmcnt(0)
	v_fmac_f32_e32 v33, v3, v0
	s_clause 0x3
	buffer_load_dword v1, off, s[0:3], s32 offset:928
	buffer_load_dword v2, off, s[0:3], s32 offset:932
	buffer_load_dword v3, off, s[0:3], s32 offset:936
	buffer_load_dword v4, off, s[0:3], s32 offset:940
	v_mul_f32_e32 v0, v70, v11
	s_waitcnt vmcnt(3)
	v_fmac_f32_e32 v26, v1, v0
	v_mul_f32_e32 v0, v70, v10
	s_waitcnt vmcnt(2)
	v_fmac_f32_e32 v33, v2, v0
	v_mul_f32_e32 v0, v70, v127
	s_waitcnt vmcnt(1)
	v_fmac_f32_e32 v26, v3, v0
	v_mul_f32_e32 v0, v70, v126
	s_waitcnt vmcnt(0)
	v_fmac_f32_e32 v33, v4, v0
	s_clause 0x3
	buffer_load_dword v1, off, s[0:3], s32 offset:944
	buffer_load_dword v2, off, s[0:3], s32 offset:948
	buffer_load_dword v3, off, s[0:3], s32 offset:952
	buffer_load_dword v4, off, s[0:3], s32 offset:956
	v_mul_f32_e32 v0, v70, v125
	;; [unrolled: 17-line block ×25, first 2 shown]
	s_waitcnt vmcnt(3)
	v_fmac_f32_e32 v26, v1, v0
	v_mul_f32_e32 v0, v70, v20
	s_waitcnt vmcnt(2)
	v_fmac_f32_e32 v33, v2, v0
	v_mul_f32_e32 v0, v70, v16
	s_waitcnt vmcnt(1)
	v_fmac_f32_e32 v26, v3, v0
	buffer_load_dword v0, off, s[0:3], s32 offset:872 ; 4-byte Folded Reload
	s_waitcnt vmcnt(0)
	v_mul_f32_e32 v0, v70, v0
	v_fmac_f32_e32 v33, v4, v0
	s_clause 0x3
	buffer_load_dword v1, off, s[0:3], s32 offset:1332
	buffer_load_dword v2, off, s[0:3], s32 offset:1336
	;; [unrolled: 1-line block ×4, first 2 shown]
	v_mul_f32_e32 v0, v70, v13
	s_waitcnt vmcnt(3)
	v_fmac_f32_e32 v26, v1, v0
	v_mul_f32_e32 v0, v70, v14
	s_waitcnt vmcnt(2)
	v_fmac_f32_e32 v33, v2, v0
	buffer_load_dword v0, off, s[0:3], s32 offset:868 ; 4-byte Folded Reload
	s_waitcnt vmcnt(0)
	v_mul_f32_e32 v0, v70, v0
	v_fmac_f32_e32 v26, v3, v0
	buffer_load_dword v0, off, s[0:3], s32 offset:864 ; 4-byte Folded Reload
	s_waitcnt vmcnt(0)
	v_mul_f32_e32 v0, v70, v0
	v_fmac_f32_e32 v33, v4, v0
	s_clause 0x3
	buffer_load_dword v1, off, s[0:3], s32 offset:1348
	buffer_load_dword v2, off, s[0:3], s32 offset:1352
	;; [unrolled: 1-line block ×4, first 2 shown]
	v_mul_f32_e32 v0, v70, v15
	s_waitcnt vmcnt(3)
	v_fmac_f32_e32 v26, v1, v0
	v_mul_f32_e32 v0, v70, v24
	s_waitcnt vmcnt(2)
	v_fmac_f32_e32 v33, v2, v0
	;; [unrolled: 3-line block ×3, first 2 shown]
	buffer_load_dword v0, off, s[0:3], s32 offset:860 ; 4-byte Folded Reload
	s_waitcnt vmcnt(0)
	v_mul_f32_e32 v0, v70, v0
	v_fmac_f32_e32 v33, v4, v0
	s_clause 0x3
	buffer_load_dword v1, off, s[0:3], s32 offset:1364
	buffer_load_dword v2, off, s[0:3], s32 offset:1368
	;; [unrolled: 1-line block ×4, first 2 shown]
	v_mul_f32_e32 v0, v70, v30
	s_waitcnt vmcnt(3)
	v_fmac_f32_e32 v26, v1, v0
	buffer_load_dword v0, off, s[0:3], s32 offset:856 ; 4-byte Folded Reload
	s_waitcnt vmcnt(0)
	v_mul_f32_e32 v0, v70, v0
	v_fmac_f32_e32 v33, v2, v0
	buffer_load_dword v0, off, s[0:3], s32 offset:852 ; 4-byte Folded Reload
	s_waitcnt vmcnt(0)
	v_mul_f32_e32 v0, v70, v0
	;; [unrolled: 4-line block ×3, first 2 shown]
	v_fmac_f32_e32 v33, v4, v0
	s_clause 0x4
	buffer_load_dword v0, off, s[0:3], s32 offset:844
	buffer_load_dword v1, off, s[0:3], s32 offset:1380
	;; [unrolled: 1-line block ×5, first 2 shown]
	s_waitcnt vmcnt(4)
	v_mul_f32_e32 v0, v70, v0
	s_waitcnt vmcnt(3)
	v_fmac_f32_e32 v26, v1, v0
	s_clause 0x1
	buffer_load_dword v0, off, s[0:3], s32 offset:840
	buffer_load_dword v1, off, s[0:3], s32 offset:824
	s_waitcnt vmcnt(1)
	v_mul_f32_e32 v0, v70, v0
	v_fmac_f32_e32 v33, v2, v0
	buffer_load_dword v0, off, s[0:3], s32 offset:836 ; 4-byte Folded Reload
	s_waitcnt vmcnt(1)
	v_mul_f32_e32 v2, v70, v1
	s_waitcnt vmcnt(0)
	v_mul_f32_e32 v0, v70, v0
	v_fmac_f32_e32 v26, v3, v0
	buffer_load_dword v0, off, s[0:3], s32 offset:832 ; 4-byte Folded Reload
	v_mul_f32_e32 v3, v70, v27
	s_waitcnt vmcnt(0)
	v_mul_f32_e32 v0, v70, v0
	v_fmac_f32_e32 v33, v4, v0
	s_clause 0x5
	buffer_load_dword v0, off, s[0:3], s32 offset:828
	buffer_load_dword v5, off, s[0:3], s32 offset:1396
	;; [unrolled: 1-line block ×6, first 2 shown]
	v_mul_f32_e32 v4, v70, v32
	s_waitcnt vmcnt(3)
	v_fmac_f32_e32 v33, v6, v2
	v_mul_f32_e32 v0, v70, v0
	s_waitcnt vmcnt(1)
	v_fmac_f32_e32 v33, v8, v3
	v_fmac_f32_e32 v26, v5, v0
	;; [unrolled: 1-line block ×3, first 2 shown]
	v_add_f32_e32 v0, v26, v33
	s_waitcnt vmcnt(0)
	ds_bpermute_b32 v2, v1, v0
	s_mov_b32 s17, exec_lo
	buffer_load_dword v7, off, s[0:3], s32 offset:820 ; 4-byte Folded Reload
	s_and_b32 s6, s17, vcc_lo
	s_mov_b32 exec_lo, s6
	s_cbranch_execz .LBB200_8
; %bb.1034:                             ;   in Loop: Header=BB200_9 Depth=1
	s_clause 0x3
	buffer_load_dword v4, off, s[0:3], s32 offset:200
	buffer_load_dword v6, off, s[0:3], s32 offset:800
	;; [unrolled: 1-line block ×4, first 2 shown]
	s_waitcnt lgkmcnt(0)
	v_add_f32_e32 v0, v0, v2
	s_load_dword s19, s[8:9], 0x0
	s_waitcnt vmcnt(3)
	v_sub_nc_u32_e32 v3, 1, v4
	s_waitcnt vmcnt(2)
	v_cmp_lt_i32_e64 s6, v6, v4
	v_add_nc_u32_e32 v3, v3, v6
	v_cvt_f32_i32_e32 v3, v3
	s_waitcnt vmcnt(1)
	v_mul_f32_e32 v3, v5, v3
	v_cndmask_b32_e64 v2, 0, v3, s5
	buffer_load_dword v3, off, s[0:3], s32 offset:1416 ; 4-byte Folded Reload
	s_waitcnt vmcnt(0)
	v_fmac_f32_e32 v2, v3, v0
	buffer_load_dword v3, off, s[0:3], s32 offset:804 ; 4-byte Folded Reload
	v_max_f32_e32 v0, v1, v1
	v_max_f32_e32 v0, v0, v2
	v_cndmask_b32_e64 v2, 0, v2, s6
	v_cndmask_b32_e64 v1, v1, v0, s6
	buffer_store_dword v1, off, s[0:3], s32 offset:884 ; 4-byte Folded Spill
	s_waitcnt vmcnt(0) lgkmcnt(0)
	v_add_nc_u32_e32 v3, s19, v3
	ds_write_b32 v3, v2
	s_branch .LBB200_8
.LBB200_1035:
	s_or_b32 exec_lo, exec_lo, s18
	s_clause 0x2
	buffer_load_dword v11, off, s[0:3], s32 offset:1424
	buffer_load_dword v12, off, s[0:3], s32 offset:1484
	;; [unrolled: 1-line block ×3, first 2 shown]
	v_mov_b32_e32 v9, 32
.LBB200_1036:
	s_or_b32 exec_lo, exec_lo, s7
	s_waitcnt vmcnt(1)
	v_xor_b32_e32 v0, 16, v12
	v_xor_b32_e32 v3, 8, v12
	s_waitcnt vmcnt(0)
	v_max_f32_e32 v4, v1, v1
	v_xor_b32_e32 v5, 4, v12
	v_and_b32_e32 v96, 31, v11
	v_cmp_lt_i32_e32 vcc_lo, v0, v9
	s_waitcnt lgkmcnt(0)
	s_lshr_b32 s8, s15, 16
	v_cndmask_b32_e32 v0, v12, v0, vcc_lo
	v_cmp_lt_i32_e32 vcc_lo, v3, v9
	v_lshlrev_b32_e32 v2, 2, v0
	v_cndmask_b32_e32 v3, v12, v3, vcc_lo
	v_cmp_lt_i32_e32 vcc_lo, v5, v9
	ds_bpermute_b32 v0, v2, v1
	v_lshlrev_b32_e32 v3, 2, v3
	v_cndmask_b32_e32 v5, v12, v5, vcc_lo
	s_waitcnt lgkmcnt(0)
	v_max_f32_e32 v0, v0, v0
	v_max_f32_e32 v0, v4, v0
	ds_bpermute_b32 v4, v3, v0
	s_waitcnt lgkmcnt(0)
	v_max_f32_e32 v6, v4, v4
	v_lshlrev_b32_e32 v4, 2, v5
	v_max_f32_e32 v0, v0, v6
	v_xor_b32_e32 v6, 2, v12
	ds_bpermute_b32 v5, v4, v0
	v_cmp_lt_i32_e32 vcc_lo, v6, v9
	v_cndmask_b32_e32 v6, v12, v6, vcc_lo
	v_cmp_eq_u32_e32 vcc_lo, 0, v96
	v_lshlrev_b32_e32 v67, 2, v6
	s_waitcnt lgkmcnt(0)
	v_max_f32_e32 v5, v5, v5
	v_max_f32_e32 v0, v0, v5
	buffer_load_dword v5, off, s[0:3], s32 offset:1420 ; 4-byte Folded Reload
	ds_bpermute_b32 v6, v67, v0
	s_waitcnt vmcnt(0)
	v_lshlrev_b32_e32 v5, 2, v5
	s_and_saveexec_b32 s5, vcc_lo
	s_cbranch_execz .LBB200_1038
; %bb.1037:
	s_waitcnt lgkmcnt(0)
	v_max_f32_e32 v6, v6, v6
	v_max_f32_e32 v0, v0, v0
	;; [unrolled: 1-line block ×3, first 2 shown]
	ds_write_b32 v5, v0 offset:1024
.LBB200_1038:
	s_or_b32 exec_lo, exec_lo, s5
	v_cmp_gt_u32_e64 s5, 4, v96
	v_mov_b32_e32 v0, 0xff7fffff
	s_waitcnt lgkmcnt(0)
	v_lshlrev_b32_e32 v6, 2, v96
	s_waitcnt_vscnt null, 0x0
	s_barrier
	buffer_gl0_inv
	s_and_saveexec_b32 s6, s5
; %bb.1039:
	ds_read_b32 v0, v6 offset:1024
; %bb.1040:
	s_or_b32 exec_lo, exec_lo, s6
	s_waitcnt lgkmcnt(0)
	ds_bpermute_b32 v7, v67, v0
	v_xor_b32_e32 v8, 1, v12
	v_max_f32_e32 v0, v0, v0
	v_lshlrev_b32_e32 v1, 2, v83
	v_cmp_lt_i32_e64 s6, v8, v9
	v_cndmask_b32_e64 v8, v12, v8, s6
	v_lshlrev_b32_e32 v101, 2, v8
	s_waitcnt lgkmcnt(0)
	v_max_f32_e32 v7, v7, v7
	v_max_f32_e32 v0, v0, v7
	ds_bpermute_b32 v7, v101, v0
	s_waitcnt lgkmcnt(0)
	v_max_f32_e32 v7, v7, v7
	v_max_f32_e32 v0, v0, v7
	buffer_load_dword v7, off, s[0:3], s32 offset:200 ; 4-byte Folded Reload
	ds_bpermute_b32 v1, v1, v0
	buffer_load_dword v0, off, s[0:3], s32 offset:220 ; 4-byte Folded Reload
	s_waitcnt vmcnt(0)
	v_lshlrev_b32_e32 v0, 4, v0
	v_min_i32_e32 v0, v0, v7
	v_mov_b32_e32 v7, 0
	v_cmp_lt_i32_e64 s6, v11, v0
	s_and_saveexec_b32 s9, s6
	s_cbranch_execz .LBB200_1044
; %bb.1041:
	s_getpc_b64 s[18:19]
	s_add_u32 s18, s18, llvm.amdgcn.dynlds.offset.table@rel32@lo+4
	s_addc_u32 s19, s19, llvm.amdgcn.dynlds.offset.table@rel32@hi+12
	s_ashr_i32 s17, s16, 31
	v_mov_b32_e32 v7, 0
	s_lshl_b64 s[20:21], s[16:17], 2
	v_mov_b32_e32 v9, v11
	s_add_u32 s18, s18, s20
	s_addc_u32 s19, s19, s21
	s_mov_b32 s15, 0
	s_load_dword s7, s[18:19], 0x0
	s_waitcnt lgkmcnt(0)
	v_lshl_add_u32 v8, v11, 2, s7
	.p2align	6
.LBB200_1042:                           ; =>This Inner Loop Header: Depth=1
	ds_read_b32 v10, v8
	v_add_nc_u32_e32 v9, 0x80, v9
	v_cmp_ge_i32_e64 s7, v9, v0
	s_or_b32 s15, s7, s15
	s_waitcnt lgkmcnt(0)
	v_sub_f32_e32 v10, v10, v1
	v_mul_f32_e32 v10, 0x3fb8aa3b, v10
	v_exp_f32_e32 v10, v10
	ds_write_b32 v8, v10
	v_add_f32_e32 v7, v7, v10
	v_add_nc_u32_e32 v8, 0x200, v8
	s_andn2_b32 exec_lo, exec_lo, s15
	s_cbranch_execnz .LBB200_1042
; %bb.1043:
	s_or_b32 exec_lo, exec_lo, s15
.LBB200_1044:
	s_or_b32 exec_lo, exec_lo, s9
	s_waitcnt lgkmcnt(0)
	ds_bpermute_b32 v1, v2, v7
	s_waitcnt lgkmcnt(0)
	v_add_f32_e32 v1, v7, v1
	ds_bpermute_b32 v2, v3, v1
	s_waitcnt lgkmcnt(0)
	v_add_f32_e32 v1, v1, v2
	;; [unrolled: 3-line block ×5, first 2 shown]
	s_and_saveexec_b32 s7, vcc_lo
; %bb.1045:
	ds_write_b32 v5, v1 offset:1040
; %bb.1046:
	s_or_b32 exec_lo, exec_lo, s7
	s_waitcnt lgkmcnt(0)
	s_barrier
	buffer_gl0_inv
	s_and_saveexec_b32 s7, s5
; %bb.1047:
	ds_read_b32 v1, v6 offset:1040
; %bb.1048:
	s_or_b32 exec_lo, exec_lo, s7
	s_waitcnt lgkmcnt(0)
	ds_bpermute_b32 v2, v67, v1
	v_lshlrev_b32_e32 v3, 2, v12
	s_waitcnt lgkmcnt(0)
	v_add_f32_e32 v1, v1, v2
	ds_bpermute_b32 v2, v101, v1
	s_waitcnt lgkmcnt(0)
	v_add_f32_e32 v1, v1, v2
	v_and_b32_e32 v2, 0xffffff80, v3
	ds_bpermute_b32 v1, v2, v1
	s_and_saveexec_b32 s5, s6
	s_cbranch_execz .LBB200_1051
; %bb.1049:
	s_waitcnt lgkmcnt(0)
	v_add_f32_e32 v2, 0x358637bd, v1
	s_getpc_b64 s[6:7]
	s_add_u32 s6, s6, llvm.amdgcn.dynlds.offset.table@rel32@lo+4
	s_addc_u32 s7, s7, llvm.amdgcn.dynlds.offset.table@rel32@hi+12
	s_ashr_i32 s17, s16, 31
	s_lshl_b64 s[18:19], s[16:17], 2
	v_div_scale_f32 v1, null, v2, v2, 1.0
	v_div_scale_f32 v5, vcc_lo, 1.0, v2, 1.0
	s_add_u32 s6, s6, s18
	v_rcp_f32_e32 v3, v1
	s_addc_u32 s7, s7, s19
	s_load_dword s6, s[6:7], 0x0
	v_fma_f32 v4, -v1, v3, 1.0
	v_fmac_f32_e32 v3, v4, v3
	v_mul_f32_e32 v4, v5, v3
	v_fma_f32 v6, -v1, v4, v5
	v_fmac_f32_e32 v4, v6, v3
	v_fma_f32 v1, -v1, v4, v5
	v_div_fmas_f32 v3, v1, v3, v4
	s_waitcnt lgkmcnt(0)
	v_lshl_add_u32 v1, v11, 2, s6
	s_mov_b32 s6, 0
	v_div_fixup_f32 v2, v3, v2, 1.0
	v_mov_b32_e32 v3, v11
.LBB200_1050:                           ; =>This Inner Loop Header: Depth=1
	ds_read_b32 v4, v1
	v_add_nc_u32_e32 v3, 0x80, v3
	v_cmp_ge_i32_e32 vcc_lo, v3, v0
	s_or_b32 s6, vcc_lo, s6
	s_waitcnt lgkmcnt(0)
	v_mul_f32_e32 v4, v2, v4
	ds_write_b32 v1, v4
	v_add_nc_u32_e32 v1, 0x200, v1
	s_andn2_b32 exec_lo, exec_lo, s6
	s_cbranch_execnz .LBB200_1050
.LBB200_1051:
	s_or_b32 exec_lo, exec_lo, s5
	s_waitcnt lgkmcnt(0)
	s_barrier
	buffer_gl0_inv
	s_and_saveexec_b32 s5, s4
	s_xor_b32 s4, exec_lo, s5
; %bb.1052:
                                        ; implicit-def: $vgpr0
                                        ; kill: killed $vgpr0
	s_ashr_i32 s17, s16, 31
                                        ; implicit-def: $vgpr0
                                        ; kill: killed $vgpr0
                                        ; implicit-def: $vgpr0
                                        ; kill: killed $vgpr0
	;; [unrolled: 2-line block ×6, first 2 shown]
                                        ; implicit-def: $vgpr0_vgpr1
                                        ; kill: killed $vgpr0_vgpr1
                                        ; implicit-def: $vgpr0
                                        ; kill: killed $vgpr0
                                        ; implicit-def: $vgpr0
                                        ; kill: killed $vgpr0
	;; [unrolled: 2-line block ×3, first 2 shown]
                                        ; implicit-def: $vgpr0_vgpr1
                                        ; kill: killed $vgpr0_vgpr1
                                        ; implicit-def: $vgpr0
                                        ; kill: killed $vgpr0
; %bb.1053:
	s_or_saveexec_b32 s5, s4
	v_mov_b32_e32 v0, s16
	v_mov_b32_e32 v84, 0
	;; [unrolled: 1-line block ×3, first 2 shown]
	v_and_b32_e32 v102, 3, v11
	v_mov_b32_e32 v87, 0
	v_mov_b32_e32 v86, 0
	v_mov_b32_e32 v85, 0
	v_mov_b32_e32 v83, 0
	v_mov_b32_e32 v82, 0
	v_mov_b32_e32 v81, 0
	v_mov_b32_e32 v80, 0
	v_mov_b32_e32 v71, 0
	v_mov_b32_e32 v70, 0
	v_mov_b32_e32 v69, 0
	v_mov_b32_e32 v68, 0
	v_mov_b32_e32 v65, 0
	v_mov_b32_e32 v64, 0
	v_mov_b32_e32 v55, 0
	v_mov_b32_e32 v54, 0
	v_mov_b32_e32 v53, 0
	v_mov_b32_e32 v52, 0
	v_mov_b32_e32 v51, 0
	v_mov_b32_e32 v50, 0
	v_mov_b32_e32 v49, 0
	v_mov_b32_e32 v48, 0
	v_mov_b32_e32 v39, 0
	v_mov_b32_e32 v38, 0
	v_mov_b32_e32 v37, 0
	v_mov_b32_e32 v36, 0
	v_mov_b32_e32 v35, 0
	v_mov_b32_e32 v34, 0
	v_mov_b32_e32 v33, 0
	v_mov_b32_e32 v32, 0
	v_mov_b32_e32 v31, 0
	v_mov_b32_e32 v30, 0
	s_xor_b32 exec_lo, exec_lo, s5
	s_cbranch_execz .LBB200_2145
; %bb.1054:
	buffer_store_dword v67, off, s[0:3], s32 offset:696 ; 4-byte Folded Spill
	buffer_store_dword v96, off, s[0:3], s32 offset:688 ; 4-byte Folded Spill
	;; [unrolled: 1-line block ×3, first 2 shown]
	s_clause 0x2
	buffer_load_dword v0, off, s[0:3], s32 offset:1464
	buffer_load_dword v1, off, s[0:3], s32 offset:1468
	;; [unrolled: 1-line block ×3, first 2 shown]
	s_ashr_i32 s17, s16, 31
	s_getpc_b64 s[6:7]
	s_add_u32 s6, s6, llvm.amdgcn.dynlds.offset.table@rel32@lo+4
	s_addc_u32 s7, s7, llvm.amdgcn.dynlds.offset.table@rel32@hi+12
	s_lshl_b64 s[18:19], s[16:17], 2
	v_mov_b32_e32 v9, 0
	s_add_u32 s6, s6, s18
	s_addc_u32 s7, s7, s19
	v_mov_b32_e32 v99, 0x80
	v_bfrev_b32_e32 v11, 1
	v_mov_b32_e32 v13, 0x7f800001
	v_mov_b32_e32 v101, 0xff
	;; [unrolled: 1-line block ×34, first 2 shown]
	s_waitcnt vmcnt(1)
	flat_load_dword v96, v[0:1]
	s_clause 0x1
	buffer_load_dword v1, off, s[0:3], s32 offset:1476
	buffer_load_dword v3, off, s[0:3], s32 offset:1448
	s_waitcnt vmcnt(3)
	v_and_b32_e32 v0, 12, v2
	v_and_b32_e32 v66, 0x7c, v2
	s_waitcnt vmcnt(2) lgkmcnt(0)
	v_mov_b32_e32 v114, v96
	s_waitcnt vmcnt(0)
	v_add_co_u32 v3, vcc_lo, v1, v3
	s_clause 0x1
	buffer_load_dword v1, off, s[0:3], s32 offset:1472
	buffer_load_dword v4, off, s[0:3], s32 offset:1452
	s_waitcnt vmcnt(0)
	v_add_co_ci_u32_e64 v4, null, v1, v4, vcc_lo
	v_or_b32_e32 v1, 0xf80, v2
	buffer_store_dword v3, off, s[0:3], s32 offset:672 ; 4-byte Folded Spill
	buffer_store_dword v4, off, s[0:3], s32 offset:676 ; 4-byte Folded Spill
	buffer_load_dword v115, off, s[0:3], s32 offset:1420 ; 4-byte Folded Reload
	buffer_store_dword v1, off, s[0:3], s32 offset:680 ; 4-byte Folded Spill
	buffer_load_dword v1, off, s[0:3], s32 offset:1444 ; 4-byte Folded Reload
	buffer_store_dword v102, off, s[0:3], s32 offset:712 ; 4-byte Folded Spill
	s_load_dword s4, s[6:7], 0x0
	s_clause 0x1
	buffer_load_dword v4, off, s[0:3], s32 offset:1436
	buffer_load_dword v5, off, s[0:3], s32 offset:1440
	v_lshlrev_b32_e32 v3, 4, v102
	s_mov_b32 s6, 0
	s_waitcnt vmcnt(3)
	v_lshlrev_b32_e32 v2, 4, v115
	s_waitcnt vmcnt(2)
	v_and_b32_e32 v1, 0x7c, v1
	v_or3_b32 v112, v2, v0, 3
	buffer_load_dword v0, off, s[0:3], s32 offset:1432 ; 4-byte Folded Reload
	s_waitcnt vmcnt(2)
	v_add_co_u32 v1, vcc_lo, v1, v4
	s_waitcnt vmcnt(1)
	v_add_co_ci_u32_e64 v4, null, 0, v5, vcc_lo
	v_lshl_or_b32 v2, v115, 6, v3
	s_waitcnt lgkmcnt(0)
	v_add_nc_u32_e32 v113, s4, v2
	s_waitcnt vmcnt(0)
	v_add_co_u32 v0, vcc_lo, v0, v1
	buffer_load_dword v1, off, s[0:3], s32 offset:1428 ; 4-byte Folded Reload
	s_waitcnt vmcnt(0)
	v_add_co_ci_u32_e64 v1, null, v1, v4, vcc_lo
	s_branch .LBB200_1056
.LBB200_1055:                           ;   in Loop: Header=BB200_1056 Depth=1
	s_or_b32 exec_lo, exec_lo, s4
	v_mul_f32_e32 v15, v3, v67
	v_add_nc_u32_e32 v115, 4, v115
	v_add_co_u32 v0, vcc_lo, v0, 16
	v_add_co_ci_u32_e64 v1, null, 0, v1, vcc_lo
	v_fmac_f32_e32 v15, v2, v28
	v_add_nc_u32_e32 v112, 64, v112
	v_add_nc_u32_e32 v113, 0x100, v113
	v_fmac_f32_e32 v15, v4, v23
	v_fmac_f32_e32 v15, v5, v22
	v_add_f32_e32 v31, v31, v15
	v_mul_f32_e32 v15, v3, v26
	v_fmac_f32_e32 v15, v2, v7
	v_mul_f32_e32 v7, v3, v98
	v_fmac_f32_e32 v15, v4, v25
	v_fmac_f32_e32 v7, v2, v97
	;; [unrolled: 1-line block ×4, first 2 shown]
	v_mul_f32_e32 v6, v3, v126
	v_add_f32_e32 v32, v32, v15
	v_fmac_f32_e32 v7, v5, v127
	v_fmac_f32_e32 v6, v2, v29
	v_add_f32_e32 v33, v33, v7
	buffer_load_dword v7, off, s[0:3], s32 offset:664 ; 4-byte Folded Reload
	v_fmac_f32_e32 v6, v4, v27
	v_fmac_f32_e32 v6, v5, v125
	v_add_f32_e32 v34, v34, v6
	v_mul_f32_e32 v6, v3, v124
	v_fmac_f32_e32 v6, v2, v123
	v_fmac_f32_e32 v6, v4, v122
	v_fmac_f32_e32 v6, v5, v121
	v_add_f32_e32 v35, v35, v6
	v_mul_f32_e32 v6, v3, v120
	v_fmac_f32_e32 v6, v2, v111
	;; [unrolled: 5-line block ×12, first 2 shown]
	v_fmac_f32_e32 v6, v4, v118
	s_waitcnt vmcnt(0)
	v_fmac_f32_e32 v6, v5, v7
	buffer_load_dword v7, off, s[0:3], s32 offset:648 ; 4-byte Folded Reload
	v_add_f32_e32 v54, v54, v6
	buffer_load_dword v6, off, s[0:3], s32 offset:656 ; 4-byte Folded Reload
	s_waitcnt vmcnt(0)
	v_mul_f32_e32 v6, v3, v6
	v_fmac_f32_e32 v6, v2, v7
	buffer_load_dword v7, off, s[0:3], s32 offset:640 ; 4-byte Folded Reload
	s_waitcnt vmcnt(0)
	v_fmac_f32_e32 v6, v4, v7
	buffer_load_dword v7, off, s[0:3], s32 offset:632 ; 4-byte Folded Reload
	s_waitcnt vmcnt(0)
	v_fmac_f32_e32 v6, v5, v7
	buffer_load_dword v7, off, s[0:3], s32 offset:616 ; 4-byte Folded Reload
	v_add_f32_e32 v55, v55, v6
	buffer_load_dword v6, off, s[0:3], s32 offset:624 ; 4-byte Folded Reload
	s_waitcnt vmcnt(0)
	v_mul_f32_e32 v6, v3, v6
	v_fmac_f32_e32 v6, v2, v7
	buffer_load_dword v7, off, s[0:3], s32 offset:608 ; 4-byte Folded Reload
	s_waitcnt vmcnt(0)
	v_fmac_f32_e32 v6, v4, v7
	buffer_load_dword v7, off, s[0:3], s32 offset:600 ; 4-byte Folded Reload
	;; [unrolled: 12-line block ×14, first 2 shown]
	s_waitcnt vmcnt(0)
	v_fmac_f32_e32 v6, v5, v7
	buffer_load_dword v7, off, s[0:3], s32 offset:212 ; 4-byte Folded Reload
	v_add_f32_e32 v87, v87, v6
	buffer_load_dword v6, off, s[0:3], s32 offset:208 ; 4-byte Folded Reload
	s_waitcnt vmcnt(0)
	v_mul_f32_e32 v6, v3, v6
	v_mul_f32_e32 v3, v3, v14
	v_fmac_f32_e32 v6, v2, v7
	buffer_load_dword v7, off, s[0:3], s32 offset:204 ; 4-byte Folded Reload
	v_fmac_f32_e32 v3, v2, v12
	buffer_load_dword v2, off, s[0:3], s32 offset:220 ; 4-byte Folded Reload
	v_fmac_f32_e32 v3, v4, v10
	v_fmac_f32_e32 v3, v5, v8
	v_add_f32_e32 v30, v30, v3
	s_waitcnt vmcnt(1)
	v_fmac_f32_e32 v6, v4, v7
	buffer_load_dword v7, off, s[0:3], s32 offset:192 ; 4-byte Folded Reload
	s_waitcnt vmcnt(1)
	v_cmp_ge_i32_e32 vcc_lo, v115, v2
	s_or_b32 s6, vcc_lo, s6
	s_waitcnt vmcnt(0)
	v_fmac_f32_e32 v6, v5, v7
	v_add_f32_e32 v84, v84, v6
	s_andn2_b32 exec_lo, exec_lo, s6
	s_cbranch_execz .LBB200_2144
.LBB200_1056:                           ; =>This Inner Loop Header: Depth=1
	flat_load_dword v2, v[0:1]
	s_clause 0x2
	buffer_load_dword v3, off, s[0:3], s32 offset:808
	buffer_load_dword v4, off, s[0:3], s32 offset:672
	;; [unrolled: 1-line block ×3, first 2 shown]
	v_mov_b32_e32 v20, 0
	v_mov_b32_e32 v18, 0
	;; [unrolled: 1-line block ×4, first 2 shown]
	s_waitcnt vmcnt(0) lgkmcnt(0)
	v_mad_i64_i32 v[14:15], null, v2, v3, v[4:5]
	ds_read_b128 v[2:5], v113
	v_add_co_u32 v16, vcc_lo, v14, v66
	v_add_co_ci_u32_e64 v17, null, 0, v15, vcc_lo
	flat_load_dword v6, v[16:17]
	s_waitcnt vmcnt(0) lgkmcnt(0)
	v_cmp_ne_u16_sdwa s7, v6, v9 src0_sel:BYTE_0 src1_sel:DWORD
	s_and_saveexec_b32 s4, s7
	s_cbranch_execz .LBB200_1064
; %bb.1057:                             ;   in Loop: Header=BB200_1056 Depth=1
	v_bfrev_b32_e32 v18, 1
	v_mov_b32_e32 v19, 0
	v_cmp_ne_u16_sdwa s9, v6, v99 src0_sel:BYTE_0 src1_sel:DWORD
	s_and_saveexec_b32 s7, s9
	s_cbranch_execz .LBB200_1063
; %bb.1058:                             ;   in Loop: Header=BB200_1056 Depth=1
	v_mov_b32_e32 v18, 0x7f800001
	v_and_b32_e32 v10, 0x7f, v6
	v_mov_b32_e32 v19, 0
	s_mov_b32 s9, exec_lo
	v_cmpx_ne_u32_e32 0x7f, v10
	s_cbranch_execz .LBB200_1062
; %bb.1059:                             ;   in Loop: Header=BB200_1056 Depth=1
	v_and_b32_e32 v8, 7, v6
	v_lshrrev_b32_e32 v7, 3, v10
	s_mov_b32 s15, exec_lo
	v_cmpx_gt_u32_e32 8, v10
; %bb.1060:                             ;   in Loop: Header=BB200_1056 Depth=1
	v_ffbh_u32_e32 v7, v8
	v_min_u32_e32 v7, 32, v7
	v_subrev_nc_u32_e32 v10, 28, v7
	v_sub_nc_u32_e32 v7, 29, v7
	v_lshlrev_b64 v[18:19], v10, v[8:9]
	v_and_b32_e32 v8, 7, v18
; %bb.1061:                             ;   in Loop: Header=BB200_1056 Depth=1
	s_or_b32 exec_lo, exec_lo, s15
	v_lshlrev_b32_e32 v10, 24, v6
	v_lshlrev_b32_e32 v8, 20, v8
	v_lshl_add_u32 v7, v7, 23, 0x3c000000
	v_and_b32_e32 v10, 0x80000000, v10
	v_or3_b32 v8, v8, v10, v7
	v_mov_b32_e32 v19, v9
	v_mov_b32_e32 v18, v8
.LBB200_1062:                           ;   in Loop: Header=BB200_1056 Depth=1
	s_or_b32 exec_lo, exec_lo, s9
.LBB200_1063:                           ;   in Loop: Header=BB200_1056 Depth=1
	s_or_b32 exec_lo, exec_lo, s7
.LBB200_1064:                           ;   in Loop: Header=BB200_1056 Depth=1
	s_or_b32 exec_lo, exec_lo, s4
	v_cmp_ne_u16_sdwa s7, v6, v9 src0_sel:BYTE_1 src1_sel:DWORD
	s_and_saveexec_b32 s4, s7
	s_cbranch_execz .LBB200_1072
; %bb.1065:                             ;   in Loop: Header=BB200_1056 Depth=1
	v_mov_b32_e32 v10, v9
	v_mov_b32_e32 v21, v11
	v_cmp_ne_u16_sdwa s9, v6, v99 src0_sel:BYTE_1 src1_sel:DWORD
	v_mov_b32_e32 v20, v10
	s_and_saveexec_b32 s7, s9
	s_cbranch_execz .LBB200_1071
; %bb.1066:                             ;   in Loop: Header=BB200_1056 Depth=1
	v_mov_b32_e32 v7, 0xffff
	v_mov_b32_e32 v12, v9
	;; [unrolled: 1-line block ×3, first 2 shown]
	s_mov_b32 s9, exec_lo
	v_and_b32_sdwa v7, v7, v6 dst_sel:DWORD dst_unused:UNUSED_PAD src0_sel:DWORD src1_sel:BYTE_1
	v_mov_b32_e32 v20, v12
	v_and_b32_e32 v10, 0x7f, v7
	v_cmpx_ne_u32_e32 0x7f, v10
	s_cbranch_execz .LBB200_1070
; %bb.1067:                             ;   in Loop: Header=BB200_1056 Depth=1
	v_and_b32_e32 v8, 7, v7
	v_lshrrev_b32_e32 v7, 3, v10
	s_mov_b32 s15, exec_lo
	v_cmpx_gt_u32_e32 8, v10
; %bb.1068:                             ;   in Loop: Header=BB200_1056 Depth=1
	v_ffbh_u32_e32 v7, v8
	v_min_u32_e32 v7, 32, v7
	v_subrev_nc_u32_e32 v10, 28, v7
	v_sub_nc_u32_e32 v7, 29, v7
	v_lshlrev_b64 v[20:21], v10, v[8:9]
	v_and_b32_e32 v8, 7, v20
; %bb.1069:                             ;   in Loop: Header=BB200_1056 Depth=1
	s_or_b32 exec_lo, exec_lo, s15
	v_lshlrev_b32_e32 v10, 16, v6
	v_lshlrev_b32_e32 v8, 20, v8
	v_lshl_add_u32 v7, v7, 23, 0x3c000000
	v_mov_b32_e32 v20, v9
	v_and_b32_e32 v10, 0x80000000, v10
	v_or3_b32 v21, v8, v10, v7
.LBB200_1070:                           ;   in Loop: Header=BB200_1056 Depth=1
	s_or_b32 exec_lo, exec_lo, s9
.LBB200_1071:                           ;   in Loop: Header=BB200_1056 Depth=1
	s_or_b32 exec_lo, exec_lo, s7
.LBB200_1072:                           ;   in Loop: Header=BB200_1056 Depth=1
	s_or_b32 exec_lo, exec_lo, s4
	v_mov_b32_e32 v24, 0
	v_mov_b32_e32 v22, 0
	v_and_b32_sdwa v7, v6, v101 dst_sel:DWORD dst_unused:UNUSED_PAD src0_sel:WORD_1 src1_sel:DWORD
	v_mov_b32_e32 v25, 0
	v_mov_b32_e32 v23, 0
	s_mov_b32 s4, exec_lo
	v_cmpx_ne_u16_e32 0, v7
	s_cbranch_execz .LBB200_1080
; %bb.1073:                             ;   in Loop: Header=BB200_1056 Depth=1
	v_bfrev_b32_e32 v22, 1
	v_mov_b32_e32 v23, 0
	s_mov_b32 s7, exec_lo
	v_cmpx_ne_u16_e32 0x80, v7
	s_cbranch_execz .LBB200_1079
; %bb.1074:                             ;   in Loop: Header=BB200_1056 Depth=1
	v_mov_b32_e32 v22, 0x7f800001
	v_bfe_u32 v10, v6, 16, 7
	v_mov_b32_e32 v23, 0
	s_mov_b32 s9, exec_lo
	v_cmpx_ne_u32_e32 0x7f, v10
	s_cbranch_execz .LBB200_1078
; %bb.1075:                             ;   in Loop: Header=BB200_1056 Depth=1
	v_mov_b32_e32 v7, 7
	s_mov_b32 s15, exec_lo
	v_and_b32_sdwa v8, v6, v7 dst_sel:DWORD dst_unused:UNUSED_PAD src0_sel:WORD_1 src1_sel:DWORD
	v_lshrrev_b32_e32 v7, 3, v10
	v_cmpx_gt_u32_e32 8, v10
; %bb.1076:                             ;   in Loop: Header=BB200_1056 Depth=1
	v_ffbh_u32_e32 v7, v8
	v_min_u32_e32 v7, 32, v7
	v_subrev_nc_u32_e32 v10, 28, v7
	v_sub_nc_u32_e32 v7, 29, v7
	v_lshlrev_b64 v[22:23], v10, v[8:9]
	v_and_b32_e32 v8, 7, v22
; %bb.1077:                             ;   in Loop: Header=BB200_1056 Depth=1
	s_or_b32 exec_lo, exec_lo, s15
	v_mov_b32_e32 v10, 24
	v_lshlrev_b32_e32 v8, 20, v8
	v_lshl_add_u32 v7, v7, 23, 0x3c000000
	v_lshlrev_b32_sdwa v10, v10, v6 dst_sel:DWORD dst_unused:UNUSED_PAD src0_sel:DWORD src1_sel:WORD_1
	v_and_b32_e32 v10, 0x80000000, v10
	v_or3_b32 v8, v8, v10, v7
	v_mov_b32_e32 v23, v9
	v_mov_b32_e32 v22, v8
.LBB200_1078:                           ;   in Loop: Header=BB200_1056 Depth=1
	s_or_b32 exec_lo, exec_lo, s9
.LBB200_1079:                           ;   in Loop: Header=BB200_1056 Depth=1
	s_or_b32 exec_lo, exec_lo, s7
.LBB200_1080:                           ;   in Loop: Header=BB200_1056 Depth=1
	s_or_b32 exec_lo, exec_lo, s4
	s_mov_b32 s4, exec_lo
	v_cmpx_lt_u32_e32 0xffffff, v6
	s_cbranch_execz .LBB200_1088
; %bb.1081:                             ;   in Loop: Header=BB200_1056 Depth=1
	v_mov_b32_e32 v10, v9
	v_mov_b32_e32 v25, v11
	v_cmp_ne_u32_sdwa s9, v6, v99 src0_sel:BYTE_3 src1_sel:DWORD
	v_mov_b32_e32 v24, v10
	s_and_saveexec_b32 s7, s9
	s_cbranch_execz .LBB200_1087
; %bb.1082:                             ;   in Loop: Header=BB200_1056 Depth=1
	v_mov_b32_e32 v12, v9
	v_mov_b32_e32 v25, v13
	v_bfe_u32 v10, v6, 24, 7
	s_mov_b32 s9, exec_lo
	v_mov_b32_e32 v24, v12
	v_cmpx_ne_u32_e32 0x7f, v10
	s_cbranch_execz .LBB200_1086
; %bb.1083:                             ;   in Loop: Header=BB200_1056 Depth=1
	v_mov_b32_e32 v7, 7
	s_mov_b32 s15, exec_lo
	v_and_b32_sdwa v8, v6, v7 dst_sel:DWORD dst_unused:UNUSED_PAD src0_sel:BYTE_3 src1_sel:DWORD
	v_lshrrev_b32_e32 v7, 3, v10
	v_cmpx_gt_u32_e32 8, v10
; %bb.1084:                             ;   in Loop: Header=BB200_1056 Depth=1
	v_ffbh_u32_e32 v7, v8
	v_min_u32_e32 v7, 32, v7
	v_subrev_nc_u32_e32 v10, 28, v7
	v_sub_nc_u32_e32 v7, 29, v7
	v_lshlrev_b64 v[24:25], v10, v[8:9]
	v_and_b32_e32 v8, 7, v24
; %bb.1085:                             ;   in Loop: Header=BB200_1056 Depth=1
	s_or_b32 exec_lo, exec_lo, s15
	v_mov_b32_e32 v10, 24
	v_lshlrev_b32_e32 v8, 20, v8
	v_lshl_add_u32 v7, v7, 23, 0x3c000000
	v_mov_b32_e32 v24, v9
	v_lshlrev_b32_sdwa v6, v10, v6 dst_sel:DWORD dst_unused:UNUSED_PAD src0_sel:DWORD src1_sel:BYTE_3
	v_and_b32_e32 v6, 0x80000000, v6
	v_or3_b32 v25, v8, v6, v7
.LBB200_1086:                           ;   in Loop: Header=BB200_1056 Depth=1
	s_or_b32 exec_lo, exec_lo, s9
.LBB200_1087:                           ;   in Loop: Header=BB200_1056 Depth=1
	s_or_b32 exec_lo, exec_lo, s7
.LBB200_1088:                           ;   in Loop: Header=BB200_1056 Depth=1
	s_or_b32 exec_lo, exec_lo, s4
	buffer_load_dword v6, off, s[0:3], s32 offset:220 ; 4-byte Folded Reload
	v_or_b32_e32 v7, v21, v19
	v_or_b32_e32 v8, v20, v18
	v_or_b32_e32 v10, v24, v22
	v_or_b32_e32 v12, v25, v23
	v_add_nc_u32_e32 v47, -3, v112
	v_add_nc_u32_e32 v57, -2, v112
	;; [unrolled: 1-line block ×3, first 2 shown]
	s_waitcnt vmcnt(0)
	v_add_nc_u32_e32 v6, -1, v6
	v_cmp_eq_u32_e32 vcc_lo, v6, v115
	v_mul_f32_e32 v6, v114, v7
	buffer_store_dword v6, off, s[0:3], s32 offset:208 ; 4-byte Folded Spill
	v_mul_f32_e32 v6, v96, v8
	buffer_store_dword v6, off, s[0:3], s32 offset:212 ; 4-byte Folded Spill
	;; [unrolled: 2-line block ×4, first 2 shown]
	s_and_saveexec_b32 s7, vcc_lo
	s_cbranch_execz .LBB200_1090
; %bb.1089:                             ;   in Loop: Header=BB200_1056 Depth=1
	s_clause 0x1
	buffer_load_dword v6, off, s[0:3], s32 offset:200
	buffer_load_dword v7, off, s[0:3], s32 offset:212
	s_waitcnt vmcnt(1)
	v_cmp_lt_i32_e64 s4, v47, v6
	s_waitcnt vmcnt(0)
	v_cndmask_b32_e64 v7, 0, v7, s4
	v_cmp_lt_i32_e64 s4, v57, v6
	buffer_store_dword v7, off, s[0:3], s32 offset:212 ; 4-byte Folded Spill
	buffer_load_dword v7, off, s[0:3], s32 offset:208 ; 4-byte Folded Reload
	s_waitcnt vmcnt(0)
	v_cndmask_b32_e64 v7, 0, v7, s4
	v_cmp_lt_i32_e64 s4, v56, v6
	buffer_store_dword v7, off, s[0:3], s32 offset:208 ; 4-byte Folded Spill
	buffer_load_dword v7, off, s[0:3], s32 offset:204 ; 4-byte Folded Reload
	s_waitcnt vmcnt(0)
	v_cndmask_b32_e64 v7, 0, v7, s4
	v_cmp_lt_i32_e64 s4, v112, v6
	buffer_load_dword v6, off, s[0:3], s32 offset:192 ; 4-byte Folded Reload
	buffer_store_dword v7, off, s[0:3], s32 offset:204 ; 4-byte Folded Spill
	s_waitcnt vmcnt(0)
	v_cndmask_b32_e64 v6, 0, v6, s4
	buffer_store_dword v6, off, s[0:3], s32 offset:192 ; 4-byte Folded Spill
.LBB200_1090:                           ;   in Loop: Header=BB200_1056 Depth=1
	s_or_b32 exec_lo, exec_lo, s7
	flat_load_dword v6, v[16:17] offset:128
	v_mov_b32_e32 v20, 0
	v_mov_b32_e32 v18, 0
	;; [unrolled: 1-line block ×4, first 2 shown]
	s_waitcnt vmcnt(0) lgkmcnt(0)
	v_cmp_ne_u16_sdwa s4, v6, v9 src0_sel:BYTE_0 src1_sel:DWORD
	s_and_saveexec_b32 s7, s4
	s_cbranch_execz .LBB200_1098
; %bb.1091:                             ;   in Loop: Header=BB200_1056 Depth=1
	v_bfrev_b32_e32 v18, 1
	v_mov_b32_e32 v19, 0
	v_cmp_ne_u16_sdwa s4, v6, v99 src0_sel:BYTE_0 src1_sel:DWORD
	s_and_saveexec_b32 s9, s4
	s_cbranch_execz .LBB200_1097
; %bb.1092:                             ;   in Loop: Header=BB200_1056 Depth=1
	v_mov_b32_e32 v18, 0x7f800001
	v_and_b32_e32 v10, 0x7f, v6
	v_mov_b32_e32 v19, 0
	s_mov_b32 s15, exec_lo
	v_cmpx_ne_u32_e32 0x7f, v10
	s_cbranch_execz .LBB200_1096
; %bb.1093:                             ;   in Loop: Header=BB200_1056 Depth=1
	v_and_b32_e32 v8, 7, v6
	v_lshrrev_b32_e32 v7, 3, v10
	s_mov_b32 s18, exec_lo
	v_cmpx_gt_u32_e32 8, v10
; %bb.1094:                             ;   in Loop: Header=BB200_1056 Depth=1
	v_ffbh_u32_e32 v7, v8
	v_min_u32_e32 v7, 32, v7
	v_subrev_nc_u32_e32 v10, 28, v7
	v_sub_nc_u32_e32 v7, 29, v7
	v_lshlrev_b64 v[18:19], v10, v[8:9]
	v_and_b32_e32 v8, 7, v18
; %bb.1095:                             ;   in Loop: Header=BB200_1056 Depth=1
	s_or_b32 exec_lo, exec_lo, s18
	v_lshlrev_b32_e32 v10, 24, v6
	v_lshlrev_b32_e32 v8, 20, v8
	v_lshl_add_u32 v7, v7, 23, 0x3c000000
	v_and_b32_e32 v10, 0x80000000, v10
	v_or3_b32 v8, v8, v10, v7
	v_mov_b32_e32 v19, v9
	v_mov_b32_e32 v18, v8
.LBB200_1096:                           ;   in Loop: Header=BB200_1056 Depth=1
	s_or_b32 exec_lo, exec_lo, s15
.LBB200_1097:                           ;   in Loop: Header=BB200_1056 Depth=1
	s_or_b32 exec_lo, exec_lo, s9
.LBB200_1098:                           ;   in Loop: Header=BB200_1056 Depth=1
	s_or_b32 exec_lo, exec_lo, s7
	v_cmp_ne_u16_sdwa s4, v6, v9 src0_sel:BYTE_1 src1_sel:DWORD
	s_and_saveexec_b32 s7, s4
	s_cbranch_execz .LBB200_1106
; %bb.1099:                             ;   in Loop: Header=BB200_1056 Depth=1
	v_mov_b32_e32 v10, v9
	v_mov_b32_e32 v21, v11
	v_cmp_ne_u16_sdwa s4, v6, v99 src0_sel:BYTE_1 src1_sel:DWORD
	v_mov_b32_e32 v20, v10
	s_and_saveexec_b32 s9, s4
	s_cbranch_execz .LBB200_1105
; %bb.1100:                             ;   in Loop: Header=BB200_1056 Depth=1
	v_mov_b32_e32 v7, 0xffff
	v_mov_b32_e32 v12, v9
	;; [unrolled: 1-line block ×3, first 2 shown]
	s_mov_b32 s15, exec_lo
	v_and_b32_sdwa v7, v7, v6 dst_sel:DWORD dst_unused:UNUSED_PAD src0_sel:DWORD src1_sel:BYTE_1
	v_mov_b32_e32 v20, v12
	v_and_b32_e32 v10, 0x7f, v7
	v_cmpx_ne_u32_e32 0x7f, v10
	s_cbranch_execz .LBB200_1104
; %bb.1101:                             ;   in Loop: Header=BB200_1056 Depth=1
	v_and_b32_e32 v8, 7, v7
	v_lshrrev_b32_e32 v7, 3, v10
	s_mov_b32 s18, exec_lo
	v_cmpx_gt_u32_e32 8, v10
; %bb.1102:                             ;   in Loop: Header=BB200_1056 Depth=1
	v_ffbh_u32_e32 v7, v8
	v_min_u32_e32 v7, 32, v7
	v_subrev_nc_u32_e32 v10, 28, v7
	v_sub_nc_u32_e32 v7, 29, v7
	v_lshlrev_b64 v[20:21], v10, v[8:9]
	v_and_b32_e32 v8, 7, v20
; %bb.1103:                             ;   in Loop: Header=BB200_1056 Depth=1
	s_or_b32 exec_lo, exec_lo, s18
	v_lshlrev_b32_e32 v10, 16, v6
	v_lshlrev_b32_e32 v8, 20, v8
	v_lshl_add_u32 v7, v7, 23, 0x3c000000
	v_mov_b32_e32 v20, v9
	v_and_b32_e32 v10, 0x80000000, v10
	v_or3_b32 v21, v8, v10, v7
.LBB200_1104:                           ;   in Loop: Header=BB200_1056 Depth=1
	s_or_b32 exec_lo, exec_lo, s15
.LBB200_1105:                           ;   in Loop: Header=BB200_1056 Depth=1
	s_or_b32 exec_lo, exec_lo, s9
.LBB200_1106:                           ;   in Loop: Header=BB200_1056 Depth=1
	s_or_b32 exec_lo, exec_lo, s7
	v_mov_b32_e32 v24, 0
	v_mov_b32_e32 v22, 0
	v_and_b32_sdwa v7, v6, v101 dst_sel:DWORD dst_unused:UNUSED_PAD src0_sel:WORD_1 src1_sel:DWORD
	v_mov_b32_e32 v25, 0
	v_mov_b32_e32 v23, 0
	s_mov_b32 s7, exec_lo
	v_cmpx_ne_u16_e32 0, v7
	s_cbranch_execz .LBB200_1114
; %bb.1107:                             ;   in Loop: Header=BB200_1056 Depth=1
	v_bfrev_b32_e32 v22, 1
	v_mov_b32_e32 v23, 0
	s_mov_b32 s9, exec_lo
	v_cmpx_ne_u16_e32 0x80, v7
	s_cbranch_execz .LBB200_1113
; %bb.1108:                             ;   in Loop: Header=BB200_1056 Depth=1
	v_mov_b32_e32 v22, 0x7f800001
	v_bfe_u32 v10, v6, 16, 7
	v_mov_b32_e32 v23, 0
	s_mov_b32 s15, exec_lo
	v_cmpx_ne_u32_e32 0x7f, v10
	s_cbranch_execz .LBB200_1112
; %bb.1109:                             ;   in Loop: Header=BB200_1056 Depth=1
	v_mov_b32_e32 v7, 7
	s_mov_b32 s18, exec_lo
	v_and_b32_sdwa v8, v6, v7 dst_sel:DWORD dst_unused:UNUSED_PAD src0_sel:WORD_1 src1_sel:DWORD
	v_lshrrev_b32_e32 v7, 3, v10
	v_cmpx_gt_u32_e32 8, v10
; %bb.1110:                             ;   in Loop: Header=BB200_1056 Depth=1
	v_ffbh_u32_e32 v7, v8
	v_min_u32_e32 v7, 32, v7
	v_subrev_nc_u32_e32 v10, 28, v7
	v_sub_nc_u32_e32 v7, 29, v7
	v_lshlrev_b64 v[22:23], v10, v[8:9]
	v_and_b32_e32 v8, 7, v22
; %bb.1111:                             ;   in Loop: Header=BB200_1056 Depth=1
	s_or_b32 exec_lo, exec_lo, s18
	v_mov_b32_e32 v10, 24
	v_lshlrev_b32_e32 v8, 20, v8
	v_lshl_add_u32 v7, v7, 23, 0x3c000000
	v_lshlrev_b32_sdwa v10, v10, v6 dst_sel:DWORD dst_unused:UNUSED_PAD src0_sel:DWORD src1_sel:WORD_1
	v_and_b32_e32 v10, 0x80000000, v10
	v_or3_b32 v8, v8, v10, v7
	v_mov_b32_e32 v23, v9
	v_mov_b32_e32 v22, v8
.LBB200_1112:                           ;   in Loop: Header=BB200_1056 Depth=1
	s_or_b32 exec_lo, exec_lo, s15
.LBB200_1113:                           ;   in Loop: Header=BB200_1056 Depth=1
	s_or_b32 exec_lo, exec_lo, s9
.LBB200_1114:                           ;   in Loop: Header=BB200_1056 Depth=1
	s_or_b32 exec_lo, exec_lo, s7
	s_mov_b32 s7, exec_lo
	v_cmpx_lt_u32_e32 0xffffff, v6
	s_cbranch_execz .LBB200_1122
; %bb.1115:                             ;   in Loop: Header=BB200_1056 Depth=1
	v_mov_b32_e32 v10, v9
	v_mov_b32_e32 v25, v11
	v_cmp_ne_u32_sdwa s4, v6, v99 src0_sel:BYTE_3 src1_sel:DWORD
	v_mov_b32_e32 v24, v10
	s_and_saveexec_b32 s9, s4
	s_cbranch_execz .LBB200_1121
; %bb.1116:                             ;   in Loop: Header=BB200_1056 Depth=1
	v_mov_b32_e32 v12, v9
	v_mov_b32_e32 v25, v13
	v_bfe_u32 v10, v6, 24, 7
	s_mov_b32 s15, exec_lo
	v_mov_b32_e32 v24, v12
	v_cmpx_ne_u32_e32 0x7f, v10
	s_cbranch_execz .LBB200_1120
; %bb.1117:                             ;   in Loop: Header=BB200_1056 Depth=1
	v_mov_b32_e32 v7, 7
	s_mov_b32 s18, exec_lo
	v_and_b32_sdwa v8, v6, v7 dst_sel:DWORD dst_unused:UNUSED_PAD src0_sel:BYTE_3 src1_sel:DWORD
	v_lshrrev_b32_e32 v7, 3, v10
	v_cmpx_gt_u32_e32 8, v10
; %bb.1118:                             ;   in Loop: Header=BB200_1056 Depth=1
	v_ffbh_u32_e32 v7, v8
	v_min_u32_e32 v7, 32, v7
	v_subrev_nc_u32_e32 v10, 28, v7
	v_sub_nc_u32_e32 v7, 29, v7
	v_lshlrev_b64 v[24:25], v10, v[8:9]
	v_and_b32_e32 v8, 7, v24
; %bb.1119:                             ;   in Loop: Header=BB200_1056 Depth=1
	s_or_b32 exec_lo, exec_lo, s18
	v_mov_b32_e32 v10, 24
	v_lshlrev_b32_e32 v8, 20, v8
	v_lshl_add_u32 v7, v7, 23, 0x3c000000
	v_mov_b32_e32 v24, v9
	v_lshlrev_b32_sdwa v6, v10, v6 dst_sel:DWORD dst_unused:UNUSED_PAD src0_sel:DWORD src1_sel:BYTE_3
	v_and_b32_e32 v6, 0x80000000, v6
	v_or3_b32 v25, v8, v6, v7
.LBB200_1120:                           ;   in Loop: Header=BB200_1056 Depth=1
	s_or_b32 exec_lo, exec_lo, s15
.LBB200_1121:                           ;   in Loop: Header=BB200_1056 Depth=1
	s_or_b32 exec_lo, exec_lo, s9
.LBB200_1122:                           ;   in Loop: Header=BB200_1056 Depth=1
	s_or_b32 exec_lo, exec_lo, s7
	v_or_b32_e32 v6, v21, v19
	v_or_b32_e32 v7, v20, v18
	;; [unrolled: 1-line block ×4, first 2 shown]
	v_mul_f32_e32 v6, v114, v6
	buffer_store_dword v6, off, s[0:3], s32 offset:232 ; 4-byte Folded Spill
	v_mul_f32_e32 v6, v96, v7
	buffer_store_dword v6, off, s[0:3], s32 offset:240 ; 4-byte Folded Spill
	v_mul_f32_e32 v6, v96, v8
	buffer_store_dword v6, off, s[0:3], s32 offset:224 ; 4-byte Folded Spill
	v_mul_f32_e32 v6, v114, v10
	buffer_store_dword v6, off, s[0:3], s32 offset:216 ; 4-byte Folded Spill
	s_and_saveexec_b32 s7, vcc_lo
	s_cbranch_execz .LBB200_1124
; %bb.1123:                             ;   in Loop: Header=BB200_1056 Depth=1
	s_clause 0x1
	buffer_load_dword v6, off, s[0:3], s32 offset:200
	buffer_load_dword v7, off, s[0:3], s32 offset:240
	s_waitcnt vmcnt(1)
	v_cmp_lt_i32_e64 s4, v47, v6
	s_waitcnt vmcnt(0)
	v_cndmask_b32_e64 v7, 0, v7, s4
	v_cmp_lt_i32_e64 s4, v57, v6
	buffer_store_dword v7, off, s[0:3], s32 offset:240 ; 4-byte Folded Spill
	buffer_load_dword v7, off, s[0:3], s32 offset:232 ; 4-byte Folded Reload
	s_waitcnt vmcnt(0)
	v_cndmask_b32_e64 v7, 0, v7, s4
	v_cmp_lt_i32_e64 s4, v56, v6
	buffer_store_dword v7, off, s[0:3], s32 offset:232 ; 4-byte Folded Spill
	buffer_load_dword v7, off, s[0:3], s32 offset:224 ; 4-byte Folded Reload
	s_waitcnt vmcnt(0)
	v_cndmask_b32_e64 v7, 0, v7, s4
	v_cmp_lt_i32_e64 s4, v112, v6
	buffer_load_dword v6, off, s[0:3], s32 offset:216 ; 4-byte Folded Reload
	buffer_store_dword v7, off, s[0:3], s32 offset:224 ; 4-byte Folded Spill
	s_waitcnt vmcnt(0)
	v_cndmask_b32_e64 v6, 0, v6, s4
	buffer_store_dword v6, off, s[0:3], s32 offset:216 ; 4-byte Folded Spill
.LBB200_1124:                           ;   in Loop: Header=BB200_1056 Depth=1
	s_or_b32 exec_lo, exec_lo, s7
	flat_load_dword v6, v[16:17] offset:256
	v_mov_b32_e32 v20, 0
	v_mov_b32_e32 v18, 0
	v_mov_b32_e32 v21, 0
	v_mov_b32_e32 v19, 0
	s_waitcnt vmcnt(0) lgkmcnt(0)
	v_cmp_ne_u16_sdwa s4, v6, v9 src0_sel:BYTE_0 src1_sel:DWORD
	s_and_saveexec_b32 s7, s4
	s_cbranch_execz .LBB200_1132
; %bb.1125:                             ;   in Loop: Header=BB200_1056 Depth=1
	v_bfrev_b32_e32 v18, 1
	v_mov_b32_e32 v19, 0
	v_cmp_ne_u16_sdwa s4, v6, v99 src0_sel:BYTE_0 src1_sel:DWORD
	s_and_saveexec_b32 s9, s4
	s_cbranch_execz .LBB200_1131
; %bb.1126:                             ;   in Loop: Header=BB200_1056 Depth=1
	v_mov_b32_e32 v18, 0x7f800001
	v_and_b32_e32 v10, 0x7f, v6
	v_mov_b32_e32 v19, 0
	s_mov_b32 s15, exec_lo
	v_cmpx_ne_u32_e32 0x7f, v10
	s_cbranch_execz .LBB200_1130
; %bb.1127:                             ;   in Loop: Header=BB200_1056 Depth=1
	v_and_b32_e32 v8, 7, v6
	v_lshrrev_b32_e32 v7, 3, v10
	s_mov_b32 s18, exec_lo
	v_cmpx_gt_u32_e32 8, v10
; %bb.1128:                             ;   in Loop: Header=BB200_1056 Depth=1
	v_ffbh_u32_e32 v7, v8
	v_min_u32_e32 v7, 32, v7
	v_subrev_nc_u32_e32 v10, 28, v7
	v_sub_nc_u32_e32 v7, 29, v7
	v_lshlrev_b64 v[18:19], v10, v[8:9]
	v_and_b32_e32 v8, 7, v18
; %bb.1129:                             ;   in Loop: Header=BB200_1056 Depth=1
	s_or_b32 exec_lo, exec_lo, s18
	v_lshlrev_b32_e32 v10, 24, v6
	v_lshlrev_b32_e32 v8, 20, v8
	v_lshl_add_u32 v7, v7, 23, 0x3c000000
	v_and_b32_e32 v10, 0x80000000, v10
	v_or3_b32 v8, v8, v10, v7
	v_mov_b32_e32 v19, v9
	v_mov_b32_e32 v18, v8
.LBB200_1130:                           ;   in Loop: Header=BB200_1056 Depth=1
	s_or_b32 exec_lo, exec_lo, s15
.LBB200_1131:                           ;   in Loop: Header=BB200_1056 Depth=1
	s_or_b32 exec_lo, exec_lo, s9
.LBB200_1132:                           ;   in Loop: Header=BB200_1056 Depth=1
	s_or_b32 exec_lo, exec_lo, s7
	v_cmp_ne_u16_sdwa s4, v6, v9 src0_sel:BYTE_1 src1_sel:DWORD
	s_and_saveexec_b32 s7, s4
	s_cbranch_execz .LBB200_1140
; %bb.1133:                             ;   in Loop: Header=BB200_1056 Depth=1
	v_mov_b32_e32 v10, v9
	v_mov_b32_e32 v21, v11
	v_cmp_ne_u16_sdwa s4, v6, v99 src0_sel:BYTE_1 src1_sel:DWORD
	v_mov_b32_e32 v20, v10
	s_and_saveexec_b32 s9, s4
	s_cbranch_execz .LBB200_1139
; %bb.1134:                             ;   in Loop: Header=BB200_1056 Depth=1
	v_mov_b32_e32 v7, 0xffff
	v_mov_b32_e32 v12, v9
	v_mov_b32_e32 v21, v13
	s_mov_b32 s15, exec_lo
	v_and_b32_sdwa v7, v7, v6 dst_sel:DWORD dst_unused:UNUSED_PAD src0_sel:DWORD src1_sel:BYTE_1
	v_mov_b32_e32 v20, v12
	v_and_b32_e32 v10, 0x7f, v7
	v_cmpx_ne_u32_e32 0x7f, v10
	s_cbranch_execz .LBB200_1138
; %bb.1135:                             ;   in Loop: Header=BB200_1056 Depth=1
	v_and_b32_e32 v8, 7, v7
	v_lshrrev_b32_e32 v7, 3, v10
	s_mov_b32 s18, exec_lo
	v_cmpx_gt_u32_e32 8, v10
; %bb.1136:                             ;   in Loop: Header=BB200_1056 Depth=1
	v_ffbh_u32_e32 v7, v8
	v_min_u32_e32 v7, 32, v7
	v_subrev_nc_u32_e32 v10, 28, v7
	v_sub_nc_u32_e32 v7, 29, v7
	v_lshlrev_b64 v[20:21], v10, v[8:9]
	v_and_b32_e32 v8, 7, v20
; %bb.1137:                             ;   in Loop: Header=BB200_1056 Depth=1
	s_or_b32 exec_lo, exec_lo, s18
	v_lshlrev_b32_e32 v10, 16, v6
	v_lshlrev_b32_e32 v8, 20, v8
	v_lshl_add_u32 v7, v7, 23, 0x3c000000
	v_mov_b32_e32 v20, v9
	v_and_b32_e32 v10, 0x80000000, v10
	v_or3_b32 v21, v8, v10, v7
.LBB200_1138:                           ;   in Loop: Header=BB200_1056 Depth=1
	s_or_b32 exec_lo, exec_lo, s15
.LBB200_1139:                           ;   in Loop: Header=BB200_1056 Depth=1
	s_or_b32 exec_lo, exec_lo, s9
.LBB200_1140:                           ;   in Loop: Header=BB200_1056 Depth=1
	s_or_b32 exec_lo, exec_lo, s7
	v_mov_b32_e32 v24, 0
	v_mov_b32_e32 v22, 0
	v_and_b32_sdwa v7, v6, v101 dst_sel:DWORD dst_unused:UNUSED_PAD src0_sel:WORD_1 src1_sel:DWORD
	v_mov_b32_e32 v25, 0
	v_mov_b32_e32 v23, 0
	s_mov_b32 s7, exec_lo
	v_cmpx_ne_u16_e32 0, v7
	s_cbranch_execz .LBB200_1148
; %bb.1141:                             ;   in Loop: Header=BB200_1056 Depth=1
	v_bfrev_b32_e32 v22, 1
	v_mov_b32_e32 v23, 0
	s_mov_b32 s9, exec_lo
	v_cmpx_ne_u16_e32 0x80, v7
	s_cbranch_execz .LBB200_1147
; %bb.1142:                             ;   in Loop: Header=BB200_1056 Depth=1
	v_mov_b32_e32 v22, 0x7f800001
	v_bfe_u32 v10, v6, 16, 7
	v_mov_b32_e32 v23, 0
	s_mov_b32 s15, exec_lo
	v_cmpx_ne_u32_e32 0x7f, v10
	s_cbranch_execz .LBB200_1146
; %bb.1143:                             ;   in Loop: Header=BB200_1056 Depth=1
	v_mov_b32_e32 v7, 7
	s_mov_b32 s18, exec_lo
	v_and_b32_sdwa v8, v6, v7 dst_sel:DWORD dst_unused:UNUSED_PAD src0_sel:WORD_1 src1_sel:DWORD
	v_lshrrev_b32_e32 v7, 3, v10
	v_cmpx_gt_u32_e32 8, v10
; %bb.1144:                             ;   in Loop: Header=BB200_1056 Depth=1
	v_ffbh_u32_e32 v7, v8
	v_min_u32_e32 v7, 32, v7
	v_subrev_nc_u32_e32 v10, 28, v7
	v_sub_nc_u32_e32 v7, 29, v7
	v_lshlrev_b64 v[22:23], v10, v[8:9]
	v_and_b32_e32 v8, 7, v22
; %bb.1145:                             ;   in Loop: Header=BB200_1056 Depth=1
	s_or_b32 exec_lo, exec_lo, s18
	v_mov_b32_e32 v10, 24
	v_lshlrev_b32_e32 v8, 20, v8
	v_lshl_add_u32 v7, v7, 23, 0x3c000000
	v_lshlrev_b32_sdwa v10, v10, v6 dst_sel:DWORD dst_unused:UNUSED_PAD src0_sel:DWORD src1_sel:WORD_1
	v_and_b32_e32 v10, 0x80000000, v10
	v_or3_b32 v8, v8, v10, v7
	v_mov_b32_e32 v23, v9
	v_mov_b32_e32 v22, v8
.LBB200_1146:                           ;   in Loop: Header=BB200_1056 Depth=1
	s_or_b32 exec_lo, exec_lo, s15
.LBB200_1147:                           ;   in Loop: Header=BB200_1056 Depth=1
	s_or_b32 exec_lo, exec_lo, s9
.LBB200_1148:                           ;   in Loop: Header=BB200_1056 Depth=1
	s_or_b32 exec_lo, exec_lo, s7
	s_mov_b32 s7, exec_lo
	v_cmpx_lt_u32_e32 0xffffff, v6
	s_cbranch_execz .LBB200_1156
; %bb.1149:                             ;   in Loop: Header=BB200_1056 Depth=1
	v_mov_b32_e32 v10, v9
	v_mov_b32_e32 v25, v11
	v_cmp_ne_u32_sdwa s4, v6, v99 src0_sel:BYTE_3 src1_sel:DWORD
	v_mov_b32_e32 v24, v10
	s_and_saveexec_b32 s9, s4
	s_cbranch_execz .LBB200_1155
; %bb.1150:                             ;   in Loop: Header=BB200_1056 Depth=1
	v_mov_b32_e32 v12, v9
	v_mov_b32_e32 v25, v13
	v_bfe_u32 v10, v6, 24, 7
	s_mov_b32 s15, exec_lo
	v_mov_b32_e32 v24, v12
	v_cmpx_ne_u32_e32 0x7f, v10
	s_cbranch_execz .LBB200_1154
; %bb.1151:                             ;   in Loop: Header=BB200_1056 Depth=1
	v_mov_b32_e32 v7, 7
	s_mov_b32 s18, exec_lo
	v_and_b32_sdwa v8, v6, v7 dst_sel:DWORD dst_unused:UNUSED_PAD src0_sel:BYTE_3 src1_sel:DWORD
	v_lshrrev_b32_e32 v7, 3, v10
	v_cmpx_gt_u32_e32 8, v10
; %bb.1152:                             ;   in Loop: Header=BB200_1056 Depth=1
	v_ffbh_u32_e32 v7, v8
	v_min_u32_e32 v7, 32, v7
	v_subrev_nc_u32_e32 v10, 28, v7
	v_sub_nc_u32_e32 v7, 29, v7
	v_lshlrev_b64 v[24:25], v10, v[8:9]
	v_and_b32_e32 v8, 7, v24
; %bb.1153:                             ;   in Loop: Header=BB200_1056 Depth=1
	s_or_b32 exec_lo, exec_lo, s18
	v_mov_b32_e32 v10, 24
	v_lshlrev_b32_e32 v8, 20, v8
	v_lshl_add_u32 v7, v7, 23, 0x3c000000
	v_mov_b32_e32 v24, v9
	v_lshlrev_b32_sdwa v6, v10, v6 dst_sel:DWORD dst_unused:UNUSED_PAD src0_sel:DWORD src1_sel:BYTE_3
	v_and_b32_e32 v6, 0x80000000, v6
	v_or3_b32 v25, v8, v6, v7
.LBB200_1154:                           ;   in Loop: Header=BB200_1056 Depth=1
	s_or_b32 exec_lo, exec_lo, s15
.LBB200_1155:                           ;   in Loop: Header=BB200_1056 Depth=1
	s_or_b32 exec_lo, exec_lo, s9
.LBB200_1156:                           ;   in Loop: Header=BB200_1056 Depth=1
	s_or_b32 exec_lo, exec_lo, s7
	v_or_b32_e32 v6, v21, v19
	v_or_b32_e32 v7, v20, v18
	;; [unrolled: 1-line block ×4, first 2 shown]
	v_mul_f32_e32 v6, v114, v6
	buffer_store_dword v6, off, s[0:3], s32 offset:264 ; 4-byte Folded Spill
	v_mul_f32_e32 v6, v96, v7
	buffer_store_dword v6, off, s[0:3], s32 offset:272 ; 4-byte Folded Spill
	;; [unrolled: 2-line block ×4, first 2 shown]
	s_and_saveexec_b32 s7, vcc_lo
	s_cbranch_execz .LBB200_1158
; %bb.1157:                             ;   in Loop: Header=BB200_1056 Depth=1
	s_clause 0x1
	buffer_load_dword v6, off, s[0:3], s32 offset:200
	buffer_load_dword v7, off, s[0:3], s32 offset:272
	s_waitcnt vmcnt(1)
	v_cmp_lt_i32_e64 s4, v47, v6
	s_waitcnt vmcnt(0)
	v_cndmask_b32_e64 v7, 0, v7, s4
	v_cmp_lt_i32_e64 s4, v57, v6
	buffer_store_dword v7, off, s[0:3], s32 offset:272 ; 4-byte Folded Spill
	buffer_load_dword v7, off, s[0:3], s32 offset:264 ; 4-byte Folded Reload
	s_waitcnt vmcnt(0)
	v_cndmask_b32_e64 v7, 0, v7, s4
	v_cmp_lt_i32_e64 s4, v56, v6
	buffer_store_dword v7, off, s[0:3], s32 offset:264 ; 4-byte Folded Spill
	buffer_load_dword v7, off, s[0:3], s32 offset:256 ; 4-byte Folded Reload
	s_waitcnt vmcnt(0)
	v_cndmask_b32_e64 v7, 0, v7, s4
	v_cmp_lt_i32_e64 s4, v112, v6
	buffer_load_dword v6, off, s[0:3], s32 offset:248 ; 4-byte Folded Reload
	buffer_store_dword v7, off, s[0:3], s32 offset:256 ; 4-byte Folded Spill
	s_waitcnt vmcnt(0)
	v_cndmask_b32_e64 v6, 0, v6, s4
	buffer_store_dword v6, off, s[0:3], s32 offset:248 ; 4-byte Folded Spill
.LBB200_1158:                           ;   in Loop: Header=BB200_1056 Depth=1
	s_or_b32 exec_lo, exec_lo, s7
	flat_load_dword v6, v[16:17] offset:384
	v_mov_b32_e32 v20, 0
	v_mov_b32_e32 v18, 0
	;; [unrolled: 1-line block ×4, first 2 shown]
	s_waitcnt vmcnt(0) lgkmcnt(0)
	v_cmp_ne_u16_sdwa s4, v6, v9 src0_sel:BYTE_0 src1_sel:DWORD
	s_and_saveexec_b32 s7, s4
	s_cbranch_execz .LBB200_1166
; %bb.1159:                             ;   in Loop: Header=BB200_1056 Depth=1
	v_bfrev_b32_e32 v18, 1
	v_mov_b32_e32 v19, 0
	v_cmp_ne_u16_sdwa s4, v6, v99 src0_sel:BYTE_0 src1_sel:DWORD
	s_and_saveexec_b32 s9, s4
	s_cbranch_execz .LBB200_1165
; %bb.1160:                             ;   in Loop: Header=BB200_1056 Depth=1
	v_mov_b32_e32 v18, 0x7f800001
	v_and_b32_e32 v10, 0x7f, v6
	v_mov_b32_e32 v19, 0
	s_mov_b32 s15, exec_lo
	v_cmpx_ne_u32_e32 0x7f, v10
	s_cbranch_execz .LBB200_1164
; %bb.1161:                             ;   in Loop: Header=BB200_1056 Depth=1
	v_and_b32_e32 v8, 7, v6
	v_lshrrev_b32_e32 v7, 3, v10
	s_mov_b32 s18, exec_lo
	v_cmpx_gt_u32_e32 8, v10
; %bb.1162:                             ;   in Loop: Header=BB200_1056 Depth=1
	v_ffbh_u32_e32 v7, v8
	v_min_u32_e32 v7, 32, v7
	v_subrev_nc_u32_e32 v10, 28, v7
	v_sub_nc_u32_e32 v7, 29, v7
	v_lshlrev_b64 v[18:19], v10, v[8:9]
	v_and_b32_e32 v8, 7, v18
; %bb.1163:                             ;   in Loop: Header=BB200_1056 Depth=1
	s_or_b32 exec_lo, exec_lo, s18
	v_lshlrev_b32_e32 v10, 24, v6
	v_lshlrev_b32_e32 v8, 20, v8
	v_lshl_add_u32 v7, v7, 23, 0x3c000000
	v_and_b32_e32 v10, 0x80000000, v10
	v_or3_b32 v8, v8, v10, v7
	v_mov_b32_e32 v19, v9
	v_mov_b32_e32 v18, v8
.LBB200_1164:                           ;   in Loop: Header=BB200_1056 Depth=1
	s_or_b32 exec_lo, exec_lo, s15
.LBB200_1165:                           ;   in Loop: Header=BB200_1056 Depth=1
	s_or_b32 exec_lo, exec_lo, s9
.LBB200_1166:                           ;   in Loop: Header=BB200_1056 Depth=1
	s_or_b32 exec_lo, exec_lo, s7
	v_cmp_ne_u16_sdwa s4, v6, v9 src0_sel:BYTE_1 src1_sel:DWORD
	s_and_saveexec_b32 s7, s4
	s_cbranch_execz .LBB200_1174
; %bb.1167:                             ;   in Loop: Header=BB200_1056 Depth=1
	v_mov_b32_e32 v10, v9
	v_mov_b32_e32 v21, v11
	v_cmp_ne_u16_sdwa s4, v6, v99 src0_sel:BYTE_1 src1_sel:DWORD
	v_mov_b32_e32 v20, v10
	s_and_saveexec_b32 s9, s4
	s_cbranch_execz .LBB200_1173
; %bb.1168:                             ;   in Loop: Header=BB200_1056 Depth=1
	v_mov_b32_e32 v7, 0xffff
	v_mov_b32_e32 v12, v9
	;; [unrolled: 1-line block ×3, first 2 shown]
	s_mov_b32 s15, exec_lo
	v_and_b32_sdwa v7, v7, v6 dst_sel:DWORD dst_unused:UNUSED_PAD src0_sel:DWORD src1_sel:BYTE_1
	v_mov_b32_e32 v20, v12
	v_and_b32_e32 v10, 0x7f, v7
	v_cmpx_ne_u32_e32 0x7f, v10
	s_cbranch_execz .LBB200_1172
; %bb.1169:                             ;   in Loop: Header=BB200_1056 Depth=1
	v_and_b32_e32 v8, 7, v7
	v_lshrrev_b32_e32 v7, 3, v10
	s_mov_b32 s18, exec_lo
	v_cmpx_gt_u32_e32 8, v10
; %bb.1170:                             ;   in Loop: Header=BB200_1056 Depth=1
	v_ffbh_u32_e32 v7, v8
	v_min_u32_e32 v7, 32, v7
	v_subrev_nc_u32_e32 v10, 28, v7
	v_sub_nc_u32_e32 v7, 29, v7
	v_lshlrev_b64 v[20:21], v10, v[8:9]
	v_and_b32_e32 v8, 7, v20
; %bb.1171:                             ;   in Loop: Header=BB200_1056 Depth=1
	s_or_b32 exec_lo, exec_lo, s18
	v_lshlrev_b32_e32 v10, 16, v6
	v_lshlrev_b32_e32 v8, 20, v8
	v_lshl_add_u32 v7, v7, 23, 0x3c000000
	v_mov_b32_e32 v20, v9
	v_and_b32_e32 v10, 0x80000000, v10
	v_or3_b32 v21, v8, v10, v7
.LBB200_1172:                           ;   in Loop: Header=BB200_1056 Depth=1
	s_or_b32 exec_lo, exec_lo, s15
.LBB200_1173:                           ;   in Loop: Header=BB200_1056 Depth=1
	s_or_b32 exec_lo, exec_lo, s9
.LBB200_1174:                           ;   in Loop: Header=BB200_1056 Depth=1
	s_or_b32 exec_lo, exec_lo, s7
	v_mov_b32_e32 v24, 0
	v_mov_b32_e32 v22, 0
	v_and_b32_sdwa v7, v6, v101 dst_sel:DWORD dst_unused:UNUSED_PAD src0_sel:WORD_1 src1_sel:DWORD
	v_mov_b32_e32 v25, 0
	v_mov_b32_e32 v23, 0
	s_mov_b32 s7, exec_lo
	v_cmpx_ne_u16_e32 0, v7
	s_cbranch_execz .LBB200_1182
; %bb.1175:                             ;   in Loop: Header=BB200_1056 Depth=1
	v_bfrev_b32_e32 v22, 1
	v_mov_b32_e32 v23, 0
	s_mov_b32 s9, exec_lo
	v_cmpx_ne_u16_e32 0x80, v7
	s_cbranch_execz .LBB200_1181
; %bb.1176:                             ;   in Loop: Header=BB200_1056 Depth=1
	v_mov_b32_e32 v22, 0x7f800001
	v_bfe_u32 v10, v6, 16, 7
	v_mov_b32_e32 v23, 0
	s_mov_b32 s15, exec_lo
	v_cmpx_ne_u32_e32 0x7f, v10
	s_cbranch_execz .LBB200_1180
; %bb.1177:                             ;   in Loop: Header=BB200_1056 Depth=1
	v_mov_b32_e32 v7, 7
	s_mov_b32 s18, exec_lo
	v_and_b32_sdwa v8, v6, v7 dst_sel:DWORD dst_unused:UNUSED_PAD src0_sel:WORD_1 src1_sel:DWORD
	v_lshrrev_b32_e32 v7, 3, v10
	v_cmpx_gt_u32_e32 8, v10
; %bb.1178:                             ;   in Loop: Header=BB200_1056 Depth=1
	v_ffbh_u32_e32 v7, v8
	v_min_u32_e32 v7, 32, v7
	v_subrev_nc_u32_e32 v10, 28, v7
	v_sub_nc_u32_e32 v7, 29, v7
	v_lshlrev_b64 v[22:23], v10, v[8:9]
	v_and_b32_e32 v8, 7, v22
; %bb.1179:                             ;   in Loop: Header=BB200_1056 Depth=1
	s_or_b32 exec_lo, exec_lo, s18
	v_mov_b32_e32 v10, 24
	v_lshlrev_b32_e32 v8, 20, v8
	v_lshl_add_u32 v7, v7, 23, 0x3c000000
	v_lshlrev_b32_sdwa v10, v10, v6 dst_sel:DWORD dst_unused:UNUSED_PAD src0_sel:DWORD src1_sel:WORD_1
	v_and_b32_e32 v10, 0x80000000, v10
	v_or3_b32 v8, v8, v10, v7
	v_mov_b32_e32 v23, v9
	v_mov_b32_e32 v22, v8
.LBB200_1180:                           ;   in Loop: Header=BB200_1056 Depth=1
	s_or_b32 exec_lo, exec_lo, s15
.LBB200_1181:                           ;   in Loop: Header=BB200_1056 Depth=1
	s_or_b32 exec_lo, exec_lo, s9
.LBB200_1182:                           ;   in Loop: Header=BB200_1056 Depth=1
	s_or_b32 exec_lo, exec_lo, s7
	s_mov_b32 s7, exec_lo
	v_cmpx_lt_u32_e32 0xffffff, v6
	s_cbranch_execz .LBB200_1190
; %bb.1183:                             ;   in Loop: Header=BB200_1056 Depth=1
	v_mov_b32_e32 v10, v9
	v_mov_b32_e32 v25, v11
	v_cmp_ne_u32_sdwa s4, v6, v99 src0_sel:BYTE_3 src1_sel:DWORD
	v_mov_b32_e32 v24, v10
	s_and_saveexec_b32 s9, s4
	s_cbranch_execz .LBB200_1189
; %bb.1184:                             ;   in Loop: Header=BB200_1056 Depth=1
	v_mov_b32_e32 v12, v9
	v_mov_b32_e32 v25, v13
	v_bfe_u32 v10, v6, 24, 7
	s_mov_b32 s15, exec_lo
	v_mov_b32_e32 v24, v12
	v_cmpx_ne_u32_e32 0x7f, v10
	s_cbranch_execz .LBB200_1188
; %bb.1185:                             ;   in Loop: Header=BB200_1056 Depth=1
	v_mov_b32_e32 v7, 7
	s_mov_b32 s18, exec_lo
	v_and_b32_sdwa v8, v6, v7 dst_sel:DWORD dst_unused:UNUSED_PAD src0_sel:BYTE_3 src1_sel:DWORD
	v_lshrrev_b32_e32 v7, 3, v10
	v_cmpx_gt_u32_e32 8, v10
; %bb.1186:                             ;   in Loop: Header=BB200_1056 Depth=1
	v_ffbh_u32_e32 v7, v8
	v_min_u32_e32 v7, 32, v7
	v_subrev_nc_u32_e32 v10, 28, v7
	v_sub_nc_u32_e32 v7, 29, v7
	v_lshlrev_b64 v[24:25], v10, v[8:9]
	v_and_b32_e32 v8, 7, v24
; %bb.1187:                             ;   in Loop: Header=BB200_1056 Depth=1
	s_or_b32 exec_lo, exec_lo, s18
	v_mov_b32_e32 v10, 24
	v_lshlrev_b32_e32 v8, 20, v8
	v_lshl_add_u32 v7, v7, 23, 0x3c000000
	v_mov_b32_e32 v24, v9
	v_lshlrev_b32_sdwa v6, v10, v6 dst_sel:DWORD dst_unused:UNUSED_PAD src0_sel:DWORD src1_sel:BYTE_3
	v_and_b32_e32 v6, 0x80000000, v6
	v_or3_b32 v25, v8, v6, v7
.LBB200_1188:                           ;   in Loop: Header=BB200_1056 Depth=1
	s_or_b32 exec_lo, exec_lo, s15
.LBB200_1189:                           ;   in Loop: Header=BB200_1056 Depth=1
	s_or_b32 exec_lo, exec_lo, s9
.LBB200_1190:                           ;   in Loop: Header=BB200_1056 Depth=1
	s_or_b32 exec_lo, exec_lo, s7
	v_or_b32_e32 v6, v21, v19
	v_or_b32_e32 v7, v20, v18
	;; [unrolled: 1-line block ×4, first 2 shown]
	v_mul_f32_e32 v6, v114, v6
	buffer_store_dword v6, off, s[0:3], s32 offset:304 ; 4-byte Folded Spill
	v_mul_f32_e32 v6, v96, v7
	buffer_store_dword v6, off, s[0:3], s32 offset:296 ; 4-byte Folded Spill
	;; [unrolled: 2-line block ×4, first 2 shown]
	s_and_saveexec_b32 s7, vcc_lo
	s_cbranch_execz .LBB200_1192
; %bb.1191:                             ;   in Loop: Header=BB200_1056 Depth=1
	s_clause 0x1
	buffer_load_dword v6, off, s[0:3], s32 offset:200
	buffer_load_dword v7, off, s[0:3], s32 offset:296
	s_waitcnt vmcnt(1)
	v_cmp_lt_i32_e64 s4, v47, v6
	s_waitcnt vmcnt(0)
	v_cndmask_b32_e64 v7, 0, v7, s4
	v_cmp_lt_i32_e64 s4, v57, v6
	buffer_store_dword v7, off, s[0:3], s32 offset:296 ; 4-byte Folded Spill
	buffer_load_dword v7, off, s[0:3], s32 offset:304 ; 4-byte Folded Reload
	s_waitcnt vmcnt(0)
	v_cndmask_b32_e64 v7, 0, v7, s4
	v_cmp_lt_i32_e64 s4, v56, v6
	buffer_store_dword v7, off, s[0:3], s32 offset:304 ; 4-byte Folded Spill
	buffer_load_dword v7, off, s[0:3], s32 offset:288 ; 4-byte Folded Reload
	s_waitcnt vmcnt(0)
	v_cndmask_b32_e64 v7, 0, v7, s4
	v_cmp_lt_i32_e64 s4, v112, v6
	buffer_load_dword v6, off, s[0:3], s32 offset:280 ; 4-byte Folded Reload
	buffer_store_dword v7, off, s[0:3], s32 offset:288 ; 4-byte Folded Spill
	s_waitcnt vmcnt(0)
	v_cndmask_b32_e64 v6, 0, v6, s4
	buffer_store_dword v6, off, s[0:3], s32 offset:280 ; 4-byte Folded Spill
.LBB200_1192:                           ;   in Loop: Header=BB200_1056 Depth=1
	s_or_b32 exec_lo, exec_lo, s7
	flat_load_dword v6, v[16:17] offset:512
	v_mov_b32_e32 v20, 0
	v_mov_b32_e32 v18, 0
	;; [unrolled: 1-line block ×4, first 2 shown]
	s_waitcnt vmcnt(0) lgkmcnt(0)
	v_cmp_ne_u16_sdwa s4, v6, v9 src0_sel:BYTE_0 src1_sel:DWORD
	s_and_saveexec_b32 s7, s4
	s_cbranch_execz .LBB200_1200
; %bb.1193:                             ;   in Loop: Header=BB200_1056 Depth=1
	v_bfrev_b32_e32 v18, 1
	v_mov_b32_e32 v19, 0
	v_cmp_ne_u16_sdwa s4, v6, v99 src0_sel:BYTE_0 src1_sel:DWORD
	s_and_saveexec_b32 s9, s4
	s_cbranch_execz .LBB200_1199
; %bb.1194:                             ;   in Loop: Header=BB200_1056 Depth=1
	v_mov_b32_e32 v18, 0x7f800001
	v_and_b32_e32 v10, 0x7f, v6
	v_mov_b32_e32 v19, 0
	s_mov_b32 s15, exec_lo
	v_cmpx_ne_u32_e32 0x7f, v10
	s_cbranch_execz .LBB200_1198
; %bb.1195:                             ;   in Loop: Header=BB200_1056 Depth=1
	v_and_b32_e32 v8, 7, v6
	v_lshrrev_b32_e32 v7, 3, v10
	s_mov_b32 s18, exec_lo
	v_cmpx_gt_u32_e32 8, v10
; %bb.1196:                             ;   in Loop: Header=BB200_1056 Depth=1
	v_ffbh_u32_e32 v7, v8
	v_min_u32_e32 v7, 32, v7
	v_subrev_nc_u32_e32 v10, 28, v7
	v_sub_nc_u32_e32 v7, 29, v7
	v_lshlrev_b64 v[18:19], v10, v[8:9]
	v_and_b32_e32 v8, 7, v18
; %bb.1197:                             ;   in Loop: Header=BB200_1056 Depth=1
	s_or_b32 exec_lo, exec_lo, s18
	v_lshlrev_b32_e32 v10, 24, v6
	v_lshlrev_b32_e32 v8, 20, v8
	v_lshl_add_u32 v7, v7, 23, 0x3c000000
	v_and_b32_e32 v10, 0x80000000, v10
	v_or3_b32 v8, v8, v10, v7
	v_mov_b32_e32 v19, v9
	v_mov_b32_e32 v18, v8
.LBB200_1198:                           ;   in Loop: Header=BB200_1056 Depth=1
	s_or_b32 exec_lo, exec_lo, s15
.LBB200_1199:                           ;   in Loop: Header=BB200_1056 Depth=1
	s_or_b32 exec_lo, exec_lo, s9
.LBB200_1200:                           ;   in Loop: Header=BB200_1056 Depth=1
	s_or_b32 exec_lo, exec_lo, s7
	v_cmp_ne_u16_sdwa s4, v6, v9 src0_sel:BYTE_1 src1_sel:DWORD
	s_and_saveexec_b32 s7, s4
	s_cbranch_execz .LBB200_1208
; %bb.1201:                             ;   in Loop: Header=BB200_1056 Depth=1
	v_mov_b32_e32 v10, v9
	v_mov_b32_e32 v21, v11
	v_cmp_ne_u16_sdwa s4, v6, v99 src0_sel:BYTE_1 src1_sel:DWORD
	v_mov_b32_e32 v20, v10
	s_and_saveexec_b32 s9, s4
	s_cbranch_execz .LBB200_1207
; %bb.1202:                             ;   in Loop: Header=BB200_1056 Depth=1
	v_mov_b32_e32 v7, 0xffff
	v_mov_b32_e32 v12, v9
	;; [unrolled: 1-line block ×3, first 2 shown]
	s_mov_b32 s15, exec_lo
	v_and_b32_sdwa v7, v7, v6 dst_sel:DWORD dst_unused:UNUSED_PAD src0_sel:DWORD src1_sel:BYTE_1
	v_mov_b32_e32 v20, v12
	v_and_b32_e32 v10, 0x7f, v7
	v_cmpx_ne_u32_e32 0x7f, v10
	s_cbranch_execz .LBB200_1206
; %bb.1203:                             ;   in Loop: Header=BB200_1056 Depth=1
	v_and_b32_e32 v8, 7, v7
	v_lshrrev_b32_e32 v7, 3, v10
	s_mov_b32 s18, exec_lo
	v_cmpx_gt_u32_e32 8, v10
; %bb.1204:                             ;   in Loop: Header=BB200_1056 Depth=1
	v_ffbh_u32_e32 v7, v8
	v_min_u32_e32 v7, 32, v7
	v_subrev_nc_u32_e32 v10, 28, v7
	v_sub_nc_u32_e32 v7, 29, v7
	v_lshlrev_b64 v[20:21], v10, v[8:9]
	v_and_b32_e32 v8, 7, v20
; %bb.1205:                             ;   in Loop: Header=BB200_1056 Depth=1
	s_or_b32 exec_lo, exec_lo, s18
	v_lshlrev_b32_e32 v10, 16, v6
	v_lshlrev_b32_e32 v8, 20, v8
	v_lshl_add_u32 v7, v7, 23, 0x3c000000
	v_mov_b32_e32 v20, v9
	v_and_b32_e32 v10, 0x80000000, v10
	v_or3_b32 v21, v8, v10, v7
.LBB200_1206:                           ;   in Loop: Header=BB200_1056 Depth=1
	s_or_b32 exec_lo, exec_lo, s15
.LBB200_1207:                           ;   in Loop: Header=BB200_1056 Depth=1
	s_or_b32 exec_lo, exec_lo, s9
.LBB200_1208:                           ;   in Loop: Header=BB200_1056 Depth=1
	s_or_b32 exec_lo, exec_lo, s7
	v_mov_b32_e32 v24, 0
	v_mov_b32_e32 v22, 0
	v_and_b32_sdwa v7, v6, v101 dst_sel:DWORD dst_unused:UNUSED_PAD src0_sel:WORD_1 src1_sel:DWORD
	v_mov_b32_e32 v25, 0
	v_mov_b32_e32 v23, 0
	s_mov_b32 s7, exec_lo
	v_cmpx_ne_u16_e32 0, v7
	s_cbranch_execz .LBB200_1216
; %bb.1209:                             ;   in Loop: Header=BB200_1056 Depth=1
	v_bfrev_b32_e32 v22, 1
	v_mov_b32_e32 v23, 0
	s_mov_b32 s9, exec_lo
	v_cmpx_ne_u16_e32 0x80, v7
	s_cbranch_execz .LBB200_1215
; %bb.1210:                             ;   in Loop: Header=BB200_1056 Depth=1
	v_mov_b32_e32 v22, 0x7f800001
	v_bfe_u32 v10, v6, 16, 7
	v_mov_b32_e32 v23, 0
	s_mov_b32 s15, exec_lo
	v_cmpx_ne_u32_e32 0x7f, v10
	s_cbranch_execz .LBB200_1214
; %bb.1211:                             ;   in Loop: Header=BB200_1056 Depth=1
	v_mov_b32_e32 v7, 7
	s_mov_b32 s18, exec_lo
	v_and_b32_sdwa v8, v6, v7 dst_sel:DWORD dst_unused:UNUSED_PAD src0_sel:WORD_1 src1_sel:DWORD
	v_lshrrev_b32_e32 v7, 3, v10
	v_cmpx_gt_u32_e32 8, v10
; %bb.1212:                             ;   in Loop: Header=BB200_1056 Depth=1
	v_ffbh_u32_e32 v7, v8
	v_min_u32_e32 v7, 32, v7
	v_subrev_nc_u32_e32 v10, 28, v7
	v_sub_nc_u32_e32 v7, 29, v7
	v_lshlrev_b64 v[22:23], v10, v[8:9]
	v_and_b32_e32 v8, 7, v22
; %bb.1213:                             ;   in Loop: Header=BB200_1056 Depth=1
	s_or_b32 exec_lo, exec_lo, s18
	v_mov_b32_e32 v10, 24
	v_lshlrev_b32_e32 v8, 20, v8
	v_lshl_add_u32 v7, v7, 23, 0x3c000000
	v_lshlrev_b32_sdwa v10, v10, v6 dst_sel:DWORD dst_unused:UNUSED_PAD src0_sel:DWORD src1_sel:WORD_1
	v_and_b32_e32 v10, 0x80000000, v10
	v_or3_b32 v8, v8, v10, v7
	v_mov_b32_e32 v23, v9
	v_mov_b32_e32 v22, v8
.LBB200_1214:                           ;   in Loop: Header=BB200_1056 Depth=1
	s_or_b32 exec_lo, exec_lo, s15
.LBB200_1215:                           ;   in Loop: Header=BB200_1056 Depth=1
	s_or_b32 exec_lo, exec_lo, s9
.LBB200_1216:                           ;   in Loop: Header=BB200_1056 Depth=1
	s_or_b32 exec_lo, exec_lo, s7
	s_mov_b32 s7, exec_lo
	v_cmpx_lt_u32_e32 0xffffff, v6
	s_cbranch_execz .LBB200_1224
; %bb.1217:                             ;   in Loop: Header=BB200_1056 Depth=1
	v_mov_b32_e32 v10, v9
	v_mov_b32_e32 v25, v11
	v_cmp_ne_u32_sdwa s4, v6, v99 src0_sel:BYTE_3 src1_sel:DWORD
	v_mov_b32_e32 v24, v10
	s_and_saveexec_b32 s9, s4
	s_cbranch_execz .LBB200_1223
; %bb.1218:                             ;   in Loop: Header=BB200_1056 Depth=1
	v_mov_b32_e32 v12, v9
	v_mov_b32_e32 v25, v13
	v_bfe_u32 v10, v6, 24, 7
	s_mov_b32 s15, exec_lo
	v_mov_b32_e32 v24, v12
	v_cmpx_ne_u32_e32 0x7f, v10
	s_cbranch_execz .LBB200_1222
; %bb.1219:                             ;   in Loop: Header=BB200_1056 Depth=1
	v_mov_b32_e32 v7, 7
	s_mov_b32 s18, exec_lo
	v_and_b32_sdwa v8, v6, v7 dst_sel:DWORD dst_unused:UNUSED_PAD src0_sel:BYTE_3 src1_sel:DWORD
	v_lshrrev_b32_e32 v7, 3, v10
	v_cmpx_gt_u32_e32 8, v10
; %bb.1220:                             ;   in Loop: Header=BB200_1056 Depth=1
	v_ffbh_u32_e32 v7, v8
	v_min_u32_e32 v7, 32, v7
	v_subrev_nc_u32_e32 v10, 28, v7
	v_sub_nc_u32_e32 v7, 29, v7
	v_lshlrev_b64 v[24:25], v10, v[8:9]
	v_and_b32_e32 v8, 7, v24
; %bb.1221:                             ;   in Loop: Header=BB200_1056 Depth=1
	s_or_b32 exec_lo, exec_lo, s18
	v_mov_b32_e32 v10, 24
	v_lshlrev_b32_e32 v8, 20, v8
	v_lshl_add_u32 v7, v7, 23, 0x3c000000
	v_mov_b32_e32 v24, v9
	v_lshlrev_b32_sdwa v6, v10, v6 dst_sel:DWORD dst_unused:UNUSED_PAD src0_sel:DWORD src1_sel:BYTE_3
	v_and_b32_e32 v6, 0x80000000, v6
	v_or3_b32 v25, v8, v6, v7
.LBB200_1222:                           ;   in Loop: Header=BB200_1056 Depth=1
	s_or_b32 exec_lo, exec_lo, s15
.LBB200_1223:                           ;   in Loop: Header=BB200_1056 Depth=1
	s_or_b32 exec_lo, exec_lo, s9
.LBB200_1224:                           ;   in Loop: Header=BB200_1056 Depth=1
	s_or_b32 exec_lo, exec_lo, s7
	v_or_b32_e32 v6, v21, v19
	v_or_b32_e32 v7, v20, v18
	;; [unrolled: 1-line block ×4, first 2 shown]
	v_mul_f32_e32 v6, v114, v6
	buffer_store_dword v6, off, s[0:3], s32 offset:336 ; 4-byte Folded Spill
	v_mul_f32_e32 v6, v96, v7
	buffer_store_dword v6, off, s[0:3], s32 offset:328 ; 4-byte Folded Spill
	;; [unrolled: 2-line block ×4, first 2 shown]
	s_and_saveexec_b32 s7, vcc_lo
	s_cbranch_execz .LBB200_1226
; %bb.1225:                             ;   in Loop: Header=BB200_1056 Depth=1
	s_clause 0x1
	buffer_load_dword v6, off, s[0:3], s32 offset:200
	buffer_load_dword v7, off, s[0:3], s32 offset:328
	s_waitcnt vmcnt(1)
	v_cmp_lt_i32_e64 s4, v47, v6
	s_waitcnt vmcnt(0)
	v_cndmask_b32_e64 v7, 0, v7, s4
	v_cmp_lt_i32_e64 s4, v57, v6
	buffer_store_dword v7, off, s[0:3], s32 offset:328 ; 4-byte Folded Spill
	buffer_load_dword v7, off, s[0:3], s32 offset:336 ; 4-byte Folded Reload
	s_waitcnt vmcnt(0)
	v_cndmask_b32_e64 v7, 0, v7, s4
	v_cmp_lt_i32_e64 s4, v56, v6
	buffer_store_dword v7, off, s[0:3], s32 offset:336 ; 4-byte Folded Spill
	buffer_load_dword v7, off, s[0:3], s32 offset:320 ; 4-byte Folded Reload
	s_waitcnt vmcnt(0)
	v_cndmask_b32_e64 v7, 0, v7, s4
	v_cmp_lt_i32_e64 s4, v112, v6
	buffer_load_dword v6, off, s[0:3], s32 offset:312 ; 4-byte Folded Reload
	buffer_store_dword v7, off, s[0:3], s32 offset:320 ; 4-byte Folded Spill
	s_waitcnt vmcnt(0)
	v_cndmask_b32_e64 v6, 0, v6, s4
	buffer_store_dword v6, off, s[0:3], s32 offset:312 ; 4-byte Folded Spill
.LBB200_1226:                           ;   in Loop: Header=BB200_1056 Depth=1
	s_or_b32 exec_lo, exec_lo, s7
	flat_load_dword v6, v[16:17] offset:640
	v_mov_b32_e32 v20, 0
	v_mov_b32_e32 v18, 0
	;; [unrolled: 1-line block ×4, first 2 shown]
	s_waitcnt vmcnt(0) lgkmcnt(0)
	v_cmp_ne_u16_sdwa s4, v6, v9 src0_sel:BYTE_0 src1_sel:DWORD
	s_and_saveexec_b32 s7, s4
	s_cbranch_execz .LBB200_1234
; %bb.1227:                             ;   in Loop: Header=BB200_1056 Depth=1
	v_bfrev_b32_e32 v18, 1
	v_mov_b32_e32 v19, 0
	v_cmp_ne_u16_sdwa s4, v6, v99 src0_sel:BYTE_0 src1_sel:DWORD
	s_and_saveexec_b32 s9, s4
	s_cbranch_execz .LBB200_1233
; %bb.1228:                             ;   in Loop: Header=BB200_1056 Depth=1
	v_mov_b32_e32 v18, 0x7f800001
	v_and_b32_e32 v10, 0x7f, v6
	v_mov_b32_e32 v19, 0
	s_mov_b32 s15, exec_lo
	v_cmpx_ne_u32_e32 0x7f, v10
	s_cbranch_execz .LBB200_1232
; %bb.1229:                             ;   in Loop: Header=BB200_1056 Depth=1
	v_and_b32_e32 v8, 7, v6
	v_lshrrev_b32_e32 v7, 3, v10
	s_mov_b32 s18, exec_lo
	v_cmpx_gt_u32_e32 8, v10
; %bb.1230:                             ;   in Loop: Header=BB200_1056 Depth=1
	v_ffbh_u32_e32 v7, v8
	v_min_u32_e32 v7, 32, v7
	v_subrev_nc_u32_e32 v10, 28, v7
	v_sub_nc_u32_e32 v7, 29, v7
	v_lshlrev_b64 v[18:19], v10, v[8:9]
	v_and_b32_e32 v8, 7, v18
; %bb.1231:                             ;   in Loop: Header=BB200_1056 Depth=1
	s_or_b32 exec_lo, exec_lo, s18
	v_lshlrev_b32_e32 v10, 24, v6
	v_lshlrev_b32_e32 v8, 20, v8
	v_lshl_add_u32 v7, v7, 23, 0x3c000000
	v_and_b32_e32 v10, 0x80000000, v10
	v_or3_b32 v8, v8, v10, v7
	v_mov_b32_e32 v19, v9
	v_mov_b32_e32 v18, v8
.LBB200_1232:                           ;   in Loop: Header=BB200_1056 Depth=1
	s_or_b32 exec_lo, exec_lo, s15
.LBB200_1233:                           ;   in Loop: Header=BB200_1056 Depth=1
	s_or_b32 exec_lo, exec_lo, s9
.LBB200_1234:                           ;   in Loop: Header=BB200_1056 Depth=1
	s_or_b32 exec_lo, exec_lo, s7
	v_cmp_ne_u16_sdwa s4, v6, v9 src0_sel:BYTE_1 src1_sel:DWORD
	s_and_saveexec_b32 s7, s4
	s_cbranch_execz .LBB200_1242
; %bb.1235:                             ;   in Loop: Header=BB200_1056 Depth=1
	v_mov_b32_e32 v10, v9
	v_mov_b32_e32 v21, v11
	v_cmp_ne_u16_sdwa s4, v6, v99 src0_sel:BYTE_1 src1_sel:DWORD
	v_mov_b32_e32 v20, v10
	s_and_saveexec_b32 s9, s4
	s_cbranch_execz .LBB200_1241
; %bb.1236:                             ;   in Loop: Header=BB200_1056 Depth=1
	v_mov_b32_e32 v7, 0xffff
	v_mov_b32_e32 v12, v9
	;; [unrolled: 1-line block ×3, first 2 shown]
	s_mov_b32 s15, exec_lo
	v_and_b32_sdwa v7, v7, v6 dst_sel:DWORD dst_unused:UNUSED_PAD src0_sel:DWORD src1_sel:BYTE_1
	v_mov_b32_e32 v20, v12
	v_and_b32_e32 v10, 0x7f, v7
	v_cmpx_ne_u32_e32 0x7f, v10
	s_cbranch_execz .LBB200_1240
; %bb.1237:                             ;   in Loop: Header=BB200_1056 Depth=1
	v_and_b32_e32 v8, 7, v7
	v_lshrrev_b32_e32 v7, 3, v10
	s_mov_b32 s18, exec_lo
	v_cmpx_gt_u32_e32 8, v10
; %bb.1238:                             ;   in Loop: Header=BB200_1056 Depth=1
	v_ffbh_u32_e32 v7, v8
	v_min_u32_e32 v7, 32, v7
	v_subrev_nc_u32_e32 v10, 28, v7
	v_sub_nc_u32_e32 v7, 29, v7
	v_lshlrev_b64 v[20:21], v10, v[8:9]
	v_and_b32_e32 v8, 7, v20
; %bb.1239:                             ;   in Loop: Header=BB200_1056 Depth=1
	s_or_b32 exec_lo, exec_lo, s18
	v_lshlrev_b32_e32 v10, 16, v6
	v_lshlrev_b32_e32 v8, 20, v8
	v_lshl_add_u32 v7, v7, 23, 0x3c000000
	v_mov_b32_e32 v20, v9
	v_and_b32_e32 v10, 0x80000000, v10
	v_or3_b32 v21, v8, v10, v7
.LBB200_1240:                           ;   in Loop: Header=BB200_1056 Depth=1
	s_or_b32 exec_lo, exec_lo, s15
.LBB200_1241:                           ;   in Loop: Header=BB200_1056 Depth=1
	s_or_b32 exec_lo, exec_lo, s9
.LBB200_1242:                           ;   in Loop: Header=BB200_1056 Depth=1
	s_or_b32 exec_lo, exec_lo, s7
	v_mov_b32_e32 v24, 0
	v_mov_b32_e32 v22, 0
	v_and_b32_sdwa v7, v6, v101 dst_sel:DWORD dst_unused:UNUSED_PAD src0_sel:WORD_1 src1_sel:DWORD
	v_mov_b32_e32 v25, 0
	v_mov_b32_e32 v23, 0
	s_mov_b32 s7, exec_lo
	v_cmpx_ne_u16_e32 0, v7
	s_cbranch_execz .LBB200_1250
; %bb.1243:                             ;   in Loop: Header=BB200_1056 Depth=1
	v_bfrev_b32_e32 v22, 1
	v_mov_b32_e32 v23, 0
	s_mov_b32 s9, exec_lo
	v_cmpx_ne_u16_e32 0x80, v7
	s_cbranch_execz .LBB200_1249
; %bb.1244:                             ;   in Loop: Header=BB200_1056 Depth=1
	v_mov_b32_e32 v22, 0x7f800001
	v_bfe_u32 v10, v6, 16, 7
	v_mov_b32_e32 v23, 0
	s_mov_b32 s15, exec_lo
	v_cmpx_ne_u32_e32 0x7f, v10
	s_cbranch_execz .LBB200_1248
; %bb.1245:                             ;   in Loop: Header=BB200_1056 Depth=1
	v_mov_b32_e32 v7, 7
	s_mov_b32 s18, exec_lo
	v_and_b32_sdwa v8, v6, v7 dst_sel:DWORD dst_unused:UNUSED_PAD src0_sel:WORD_1 src1_sel:DWORD
	v_lshrrev_b32_e32 v7, 3, v10
	v_cmpx_gt_u32_e32 8, v10
; %bb.1246:                             ;   in Loop: Header=BB200_1056 Depth=1
	v_ffbh_u32_e32 v7, v8
	v_min_u32_e32 v7, 32, v7
	v_subrev_nc_u32_e32 v10, 28, v7
	v_sub_nc_u32_e32 v7, 29, v7
	v_lshlrev_b64 v[22:23], v10, v[8:9]
	v_and_b32_e32 v8, 7, v22
; %bb.1247:                             ;   in Loop: Header=BB200_1056 Depth=1
	s_or_b32 exec_lo, exec_lo, s18
	v_mov_b32_e32 v10, 24
	v_lshlrev_b32_e32 v8, 20, v8
	v_lshl_add_u32 v7, v7, 23, 0x3c000000
	v_lshlrev_b32_sdwa v10, v10, v6 dst_sel:DWORD dst_unused:UNUSED_PAD src0_sel:DWORD src1_sel:WORD_1
	v_and_b32_e32 v10, 0x80000000, v10
	v_or3_b32 v8, v8, v10, v7
	v_mov_b32_e32 v23, v9
	v_mov_b32_e32 v22, v8
.LBB200_1248:                           ;   in Loop: Header=BB200_1056 Depth=1
	s_or_b32 exec_lo, exec_lo, s15
.LBB200_1249:                           ;   in Loop: Header=BB200_1056 Depth=1
	s_or_b32 exec_lo, exec_lo, s9
.LBB200_1250:                           ;   in Loop: Header=BB200_1056 Depth=1
	s_or_b32 exec_lo, exec_lo, s7
	s_mov_b32 s7, exec_lo
	v_cmpx_lt_u32_e32 0xffffff, v6
	s_cbranch_execz .LBB200_1258
; %bb.1251:                             ;   in Loop: Header=BB200_1056 Depth=1
	v_mov_b32_e32 v10, v9
	v_mov_b32_e32 v25, v11
	v_cmp_ne_u32_sdwa s4, v6, v99 src0_sel:BYTE_3 src1_sel:DWORD
	v_mov_b32_e32 v24, v10
	s_and_saveexec_b32 s9, s4
	s_cbranch_execz .LBB200_1257
; %bb.1252:                             ;   in Loop: Header=BB200_1056 Depth=1
	v_mov_b32_e32 v12, v9
	v_mov_b32_e32 v25, v13
	v_bfe_u32 v10, v6, 24, 7
	s_mov_b32 s15, exec_lo
	v_mov_b32_e32 v24, v12
	v_cmpx_ne_u32_e32 0x7f, v10
	s_cbranch_execz .LBB200_1256
; %bb.1253:                             ;   in Loop: Header=BB200_1056 Depth=1
	v_mov_b32_e32 v7, 7
	s_mov_b32 s18, exec_lo
	v_and_b32_sdwa v8, v6, v7 dst_sel:DWORD dst_unused:UNUSED_PAD src0_sel:BYTE_3 src1_sel:DWORD
	v_lshrrev_b32_e32 v7, 3, v10
	v_cmpx_gt_u32_e32 8, v10
; %bb.1254:                             ;   in Loop: Header=BB200_1056 Depth=1
	v_ffbh_u32_e32 v7, v8
	v_min_u32_e32 v7, 32, v7
	v_subrev_nc_u32_e32 v10, 28, v7
	v_sub_nc_u32_e32 v7, 29, v7
	v_lshlrev_b64 v[24:25], v10, v[8:9]
	v_and_b32_e32 v8, 7, v24
; %bb.1255:                             ;   in Loop: Header=BB200_1056 Depth=1
	s_or_b32 exec_lo, exec_lo, s18
	v_mov_b32_e32 v10, 24
	v_lshlrev_b32_e32 v8, 20, v8
	v_lshl_add_u32 v7, v7, 23, 0x3c000000
	v_mov_b32_e32 v24, v9
	v_lshlrev_b32_sdwa v6, v10, v6 dst_sel:DWORD dst_unused:UNUSED_PAD src0_sel:DWORD src1_sel:BYTE_3
	v_and_b32_e32 v6, 0x80000000, v6
	v_or3_b32 v25, v8, v6, v7
.LBB200_1256:                           ;   in Loop: Header=BB200_1056 Depth=1
	s_or_b32 exec_lo, exec_lo, s15
.LBB200_1257:                           ;   in Loop: Header=BB200_1056 Depth=1
	s_or_b32 exec_lo, exec_lo, s9
.LBB200_1258:                           ;   in Loop: Header=BB200_1056 Depth=1
	s_or_b32 exec_lo, exec_lo, s7
	v_or_b32_e32 v6, v21, v19
	v_or_b32_e32 v7, v20, v18
	;; [unrolled: 1-line block ×4, first 2 shown]
	v_mul_f32_e32 v6, v114, v6
	buffer_store_dword v6, off, s[0:3], s32 offset:360 ; 4-byte Folded Spill
	v_mul_f32_e32 v6, v96, v7
	buffer_store_dword v6, off, s[0:3], s32 offset:368 ; 4-byte Folded Spill
	;; [unrolled: 2-line block ×4, first 2 shown]
	s_and_saveexec_b32 s7, vcc_lo
	s_cbranch_execz .LBB200_1260
; %bb.1259:                             ;   in Loop: Header=BB200_1056 Depth=1
	s_clause 0x1
	buffer_load_dword v6, off, s[0:3], s32 offset:200
	buffer_load_dword v7, off, s[0:3], s32 offset:368
	s_waitcnt vmcnt(1)
	v_cmp_lt_i32_e64 s4, v47, v6
	s_waitcnt vmcnt(0)
	v_cndmask_b32_e64 v7, 0, v7, s4
	v_cmp_lt_i32_e64 s4, v57, v6
	buffer_store_dword v7, off, s[0:3], s32 offset:368 ; 4-byte Folded Spill
	buffer_load_dword v7, off, s[0:3], s32 offset:360 ; 4-byte Folded Reload
	s_waitcnt vmcnt(0)
	v_cndmask_b32_e64 v7, 0, v7, s4
	v_cmp_lt_i32_e64 s4, v56, v6
	buffer_store_dword v7, off, s[0:3], s32 offset:360 ; 4-byte Folded Spill
	buffer_load_dword v7, off, s[0:3], s32 offset:352 ; 4-byte Folded Reload
	s_waitcnt vmcnt(0)
	v_cndmask_b32_e64 v7, 0, v7, s4
	v_cmp_lt_i32_e64 s4, v112, v6
	buffer_load_dword v6, off, s[0:3], s32 offset:344 ; 4-byte Folded Reload
	buffer_store_dword v7, off, s[0:3], s32 offset:352 ; 4-byte Folded Spill
	s_waitcnt vmcnt(0)
	v_cndmask_b32_e64 v6, 0, v6, s4
	buffer_store_dword v6, off, s[0:3], s32 offset:344 ; 4-byte Folded Spill
.LBB200_1260:                           ;   in Loop: Header=BB200_1056 Depth=1
	s_or_b32 exec_lo, exec_lo, s7
	flat_load_dword v6, v[16:17] offset:768
	v_mov_b32_e32 v20, 0
	v_mov_b32_e32 v18, 0
	;; [unrolled: 1-line block ×4, first 2 shown]
	s_waitcnt vmcnt(0) lgkmcnt(0)
	v_cmp_ne_u16_sdwa s4, v6, v9 src0_sel:BYTE_0 src1_sel:DWORD
	s_and_saveexec_b32 s7, s4
	s_cbranch_execz .LBB200_1268
; %bb.1261:                             ;   in Loop: Header=BB200_1056 Depth=1
	v_bfrev_b32_e32 v18, 1
	v_mov_b32_e32 v19, 0
	v_cmp_ne_u16_sdwa s4, v6, v99 src0_sel:BYTE_0 src1_sel:DWORD
	s_and_saveexec_b32 s9, s4
	s_cbranch_execz .LBB200_1267
; %bb.1262:                             ;   in Loop: Header=BB200_1056 Depth=1
	v_mov_b32_e32 v18, 0x7f800001
	v_and_b32_e32 v10, 0x7f, v6
	v_mov_b32_e32 v19, 0
	s_mov_b32 s15, exec_lo
	v_cmpx_ne_u32_e32 0x7f, v10
	s_cbranch_execz .LBB200_1266
; %bb.1263:                             ;   in Loop: Header=BB200_1056 Depth=1
	v_and_b32_e32 v8, 7, v6
	v_lshrrev_b32_e32 v7, 3, v10
	s_mov_b32 s18, exec_lo
	v_cmpx_gt_u32_e32 8, v10
; %bb.1264:                             ;   in Loop: Header=BB200_1056 Depth=1
	v_ffbh_u32_e32 v7, v8
	v_min_u32_e32 v7, 32, v7
	v_subrev_nc_u32_e32 v10, 28, v7
	v_sub_nc_u32_e32 v7, 29, v7
	v_lshlrev_b64 v[18:19], v10, v[8:9]
	v_and_b32_e32 v8, 7, v18
; %bb.1265:                             ;   in Loop: Header=BB200_1056 Depth=1
	s_or_b32 exec_lo, exec_lo, s18
	v_lshlrev_b32_e32 v10, 24, v6
	v_lshlrev_b32_e32 v8, 20, v8
	v_lshl_add_u32 v7, v7, 23, 0x3c000000
	v_and_b32_e32 v10, 0x80000000, v10
	v_or3_b32 v8, v8, v10, v7
	v_mov_b32_e32 v19, v9
	v_mov_b32_e32 v18, v8
.LBB200_1266:                           ;   in Loop: Header=BB200_1056 Depth=1
	s_or_b32 exec_lo, exec_lo, s15
.LBB200_1267:                           ;   in Loop: Header=BB200_1056 Depth=1
	s_or_b32 exec_lo, exec_lo, s9
.LBB200_1268:                           ;   in Loop: Header=BB200_1056 Depth=1
	s_or_b32 exec_lo, exec_lo, s7
	v_cmp_ne_u16_sdwa s4, v6, v9 src0_sel:BYTE_1 src1_sel:DWORD
	s_and_saveexec_b32 s7, s4
	s_cbranch_execz .LBB200_1276
; %bb.1269:                             ;   in Loop: Header=BB200_1056 Depth=1
	v_mov_b32_e32 v10, v9
	v_mov_b32_e32 v21, v11
	v_cmp_ne_u16_sdwa s4, v6, v99 src0_sel:BYTE_1 src1_sel:DWORD
	v_mov_b32_e32 v20, v10
	s_and_saveexec_b32 s9, s4
	s_cbranch_execz .LBB200_1275
; %bb.1270:                             ;   in Loop: Header=BB200_1056 Depth=1
	v_mov_b32_e32 v7, 0xffff
	v_mov_b32_e32 v12, v9
	;; [unrolled: 1-line block ×3, first 2 shown]
	s_mov_b32 s15, exec_lo
	v_and_b32_sdwa v7, v7, v6 dst_sel:DWORD dst_unused:UNUSED_PAD src0_sel:DWORD src1_sel:BYTE_1
	v_mov_b32_e32 v20, v12
	v_and_b32_e32 v10, 0x7f, v7
	v_cmpx_ne_u32_e32 0x7f, v10
	s_cbranch_execz .LBB200_1274
; %bb.1271:                             ;   in Loop: Header=BB200_1056 Depth=1
	v_and_b32_e32 v8, 7, v7
	v_lshrrev_b32_e32 v7, 3, v10
	s_mov_b32 s18, exec_lo
	v_cmpx_gt_u32_e32 8, v10
; %bb.1272:                             ;   in Loop: Header=BB200_1056 Depth=1
	v_ffbh_u32_e32 v7, v8
	v_min_u32_e32 v7, 32, v7
	v_subrev_nc_u32_e32 v10, 28, v7
	v_sub_nc_u32_e32 v7, 29, v7
	v_lshlrev_b64 v[20:21], v10, v[8:9]
	v_and_b32_e32 v8, 7, v20
; %bb.1273:                             ;   in Loop: Header=BB200_1056 Depth=1
	s_or_b32 exec_lo, exec_lo, s18
	v_lshlrev_b32_e32 v10, 16, v6
	v_lshlrev_b32_e32 v8, 20, v8
	v_lshl_add_u32 v7, v7, 23, 0x3c000000
	v_mov_b32_e32 v20, v9
	v_and_b32_e32 v10, 0x80000000, v10
	v_or3_b32 v21, v8, v10, v7
.LBB200_1274:                           ;   in Loop: Header=BB200_1056 Depth=1
	s_or_b32 exec_lo, exec_lo, s15
.LBB200_1275:                           ;   in Loop: Header=BB200_1056 Depth=1
	s_or_b32 exec_lo, exec_lo, s9
.LBB200_1276:                           ;   in Loop: Header=BB200_1056 Depth=1
	s_or_b32 exec_lo, exec_lo, s7
	v_mov_b32_e32 v24, 0
	v_mov_b32_e32 v22, 0
	v_and_b32_sdwa v7, v6, v101 dst_sel:DWORD dst_unused:UNUSED_PAD src0_sel:WORD_1 src1_sel:DWORD
	v_mov_b32_e32 v25, 0
	v_mov_b32_e32 v23, 0
	s_mov_b32 s7, exec_lo
	v_cmpx_ne_u16_e32 0, v7
	s_cbranch_execz .LBB200_1284
; %bb.1277:                             ;   in Loop: Header=BB200_1056 Depth=1
	v_bfrev_b32_e32 v22, 1
	v_mov_b32_e32 v23, 0
	s_mov_b32 s9, exec_lo
	v_cmpx_ne_u16_e32 0x80, v7
	s_cbranch_execz .LBB200_1283
; %bb.1278:                             ;   in Loop: Header=BB200_1056 Depth=1
	v_mov_b32_e32 v22, 0x7f800001
	v_bfe_u32 v10, v6, 16, 7
	v_mov_b32_e32 v23, 0
	s_mov_b32 s15, exec_lo
	v_cmpx_ne_u32_e32 0x7f, v10
	s_cbranch_execz .LBB200_1282
; %bb.1279:                             ;   in Loop: Header=BB200_1056 Depth=1
	v_mov_b32_e32 v7, 7
	s_mov_b32 s18, exec_lo
	v_and_b32_sdwa v8, v6, v7 dst_sel:DWORD dst_unused:UNUSED_PAD src0_sel:WORD_1 src1_sel:DWORD
	v_lshrrev_b32_e32 v7, 3, v10
	v_cmpx_gt_u32_e32 8, v10
; %bb.1280:                             ;   in Loop: Header=BB200_1056 Depth=1
	v_ffbh_u32_e32 v7, v8
	v_min_u32_e32 v7, 32, v7
	v_subrev_nc_u32_e32 v10, 28, v7
	v_sub_nc_u32_e32 v7, 29, v7
	v_lshlrev_b64 v[22:23], v10, v[8:9]
	v_and_b32_e32 v8, 7, v22
; %bb.1281:                             ;   in Loop: Header=BB200_1056 Depth=1
	s_or_b32 exec_lo, exec_lo, s18
	v_mov_b32_e32 v10, 24
	v_lshlrev_b32_e32 v8, 20, v8
	v_lshl_add_u32 v7, v7, 23, 0x3c000000
	v_lshlrev_b32_sdwa v10, v10, v6 dst_sel:DWORD dst_unused:UNUSED_PAD src0_sel:DWORD src1_sel:WORD_1
	v_and_b32_e32 v10, 0x80000000, v10
	v_or3_b32 v8, v8, v10, v7
	v_mov_b32_e32 v23, v9
	v_mov_b32_e32 v22, v8
.LBB200_1282:                           ;   in Loop: Header=BB200_1056 Depth=1
	s_or_b32 exec_lo, exec_lo, s15
.LBB200_1283:                           ;   in Loop: Header=BB200_1056 Depth=1
	s_or_b32 exec_lo, exec_lo, s9
.LBB200_1284:                           ;   in Loop: Header=BB200_1056 Depth=1
	s_or_b32 exec_lo, exec_lo, s7
	s_mov_b32 s7, exec_lo
	v_cmpx_lt_u32_e32 0xffffff, v6
	s_cbranch_execz .LBB200_1292
; %bb.1285:                             ;   in Loop: Header=BB200_1056 Depth=1
	v_mov_b32_e32 v10, v9
	v_mov_b32_e32 v25, v11
	v_cmp_ne_u32_sdwa s4, v6, v99 src0_sel:BYTE_3 src1_sel:DWORD
	v_mov_b32_e32 v24, v10
	s_and_saveexec_b32 s9, s4
	s_cbranch_execz .LBB200_1291
; %bb.1286:                             ;   in Loop: Header=BB200_1056 Depth=1
	v_mov_b32_e32 v12, v9
	v_mov_b32_e32 v25, v13
	v_bfe_u32 v10, v6, 24, 7
	s_mov_b32 s15, exec_lo
	v_mov_b32_e32 v24, v12
	v_cmpx_ne_u32_e32 0x7f, v10
	s_cbranch_execz .LBB200_1290
; %bb.1287:                             ;   in Loop: Header=BB200_1056 Depth=1
	v_mov_b32_e32 v7, 7
	s_mov_b32 s18, exec_lo
	v_and_b32_sdwa v8, v6, v7 dst_sel:DWORD dst_unused:UNUSED_PAD src0_sel:BYTE_3 src1_sel:DWORD
	v_lshrrev_b32_e32 v7, 3, v10
	v_cmpx_gt_u32_e32 8, v10
; %bb.1288:                             ;   in Loop: Header=BB200_1056 Depth=1
	v_ffbh_u32_e32 v7, v8
	v_min_u32_e32 v7, 32, v7
	v_subrev_nc_u32_e32 v10, 28, v7
	v_sub_nc_u32_e32 v7, 29, v7
	v_lshlrev_b64 v[24:25], v10, v[8:9]
	v_and_b32_e32 v8, 7, v24
; %bb.1289:                             ;   in Loop: Header=BB200_1056 Depth=1
	s_or_b32 exec_lo, exec_lo, s18
	v_mov_b32_e32 v10, 24
	v_lshlrev_b32_e32 v8, 20, v8
	v_lshl_add_u32 v7, v7, 23, 0x3c000000
	v_mov_b32_e32 v24, v9
	v_lshlrev_b32_sdwa v6, v10, v6 dst_sel:DWORD dst_unused:UNUSED_PAD src0_sel:DWORD src1_sel:BYTE_3
	v_and_b32_e32 v6, 0x80000000, v6
	v_or3_b32 v25, v8, v6, v7
.LBB200_1290:                           ;   in Loop: Header=BB200_1056 Depth=1
	s_or_b32 exec_lo, exec_lo, s15
.LBB200_1291:                           ;   in Loop: Header=BB200_1056 Depth=1
	s_or_b32 exec_lo, exec_lo, s9
.LBB200_1292:                           ;   in Loop: Header=BB200_1056 Depth=1
	s_or_b32 exec_lo, exec_lo, s7
	v_or_b32_e32 v6, v21, v19
	v_or_b32_e32 v7, v20, v18
	;; [unrolled: 1-line block ×4, first 2 shown]
	v_mul_f32_e32 v6, v114, v6
	buffer_store_dword v6, off, s[0:3], s32 offset:392 ; 4-byte Folded Spill
	v_mul_f32_e32 v6, v96, v7
	buffer_store_dword v6, off, s[0:3], s32 offset:400 ; 4-byte Folded Spill
	;; [unrolled: 2-line block ×4, first 2 shown]
	s_and_saveexec_b32 s7, vcc_lo
	s_cbranch_execz .LBB200_1294
; %bb.1293:                             ;   in Loop: Header=BB200_1056 Depth=1
	s_clause 0x1
	buffer_load_dword v6, off, s[0:3], s32 offset:200
	buffer_load_dword v7, off, s[0:3], s32 offset:400
	s_waitcnt vmcnt(1)
	v_cmp_lt_i32_e64 s4, v47, v6
	s_waitcnt vmcnt(0)
	v_cndmask_b32_e64 v7, 0, v7, s4
	v_cmp_lt_i32_e64 s4, v57, v6
	buffer_store_dword v7, off, s[0:3], s32 offset:400 ; 4-byte Folded Spill
	buffer_load_dword v7, off, s[0:3], s32 offset:392 ; 4-byte Folded Reload
	s_waitcnt vmcnt(0)
	v_cndmask_b32_e64 v7, 0, v7, s4
	v_cmp_lt_i32_e64 s4, v56, v6
	buffer_store_dword v7, off, s[0:3], s32 offset:392 ; 4-byte Folded Spill
	buffer_load_dword v7, off, s[0:3], s32 offset:384 ; 4-byte Folded Reload
	s_waitcnt vmcnt(0)
	v_cndmask_b32_e64 v7, 0, v7, s4
	v_cmp_lt_i32_e64 s4, v112, v6
	buffer_load_dword v6, off, s[0:3], s32 offset:376 ; 4-byte Folded Reload
	buffer_store_dword v7, off, s[0:3], s32 offset:384 ; 4-byte Folded Spill
	s_waitcnt vmcnt(0)
	v_cndmask_b32_e64 v6, 0, v6, s4
	buffer_store_dword v6, off, s[0:3], s32 offset:376 ; 4-byte Folded Spill
.LBB200_1294:                           ;   in Loop: Header=BB200_1056 Depth=1
	s_or_b32 exec_lo, exec_lo, s7
	flat_load_dword v6, v[16:17] offset:896
	v_mov_b32_e32 v20, 0
	v_mov_b32_e32 v18, 0
	;; [unrolled: 1-line block ×4, first 2 shown]
	s_waitcnt vmcnt(0) lgkmcnt(0)
	v_cmp_ne_u16_sdwa s4, v6, v9 src0_sel:BYTE_0 src1_sel:DWORD
	s_and_saveexec_b32 s7, s4
	s_cbranch_execz .LBB200_1302
; %bb.1295:                             ;   in Loop: Header=BB200_1056 Depth=1
	v_bfrev_b32_e32 v18, 1
	v_mov_b32_e32 v19, 0
	v_cmp_ne_u16_sdwa s4, v6, v99 src0_sel:BYTE_0 src1_sel:DWORD
	s_and_saveexec_b32 s9, s4
	s_cbranch_execz .LBB200_1301
; %bb.1296:                             ;   in Loop: Header=BB200_1056 Depth=1
	v_mov_b32_e32 v18, 0x7f800001
	v_and_b32_e32 v10, 0x7f, v6
	v_mov_b32_e32 v19, 0
	s_mov_b32 s15, exec_lo
	v_cmpx_ne_u32_e32 0x7f, v10
	s_cbranch_execz .LBB200_1300
; %bb.1297:                             ;   in Loop: Header=BB200_1056 Depth=1
	v_and_b32_e32 v8, 7, v6
	v_lshrrev_b32_e32 v7, 3, v10
	s_mov_b32 s18, exec_lo
	v_cmpx_gt_u32_e32 8, v10
; %bb.1298:                             ;   in Loop: Header=BB200_1056 Depth=1
	v_ffbh_u32_e32 v7, v8
	v_min_u32_e32 v7, 32, v7
	v_subrev_nc_u32_e32 v10, 28, v7
	v_sub_nc_u32_e32 v7, 29, v7
	v_lshlrev_b64 v[18:19], v10, v[8:9]
	v_and_b32_e32 v8, 7, v18
; %bb.1299:                             ;   in Loop: Header=BB200_1056 Depth=1
	s_or_b32 exec_lo, exec_lo, s18
	v_lshlrev_b32_e32 v10, 24, v6
	v_lshlrev_b32_e32 v8, 20, v8
	v_lshl_add_u32 v7, v7, 23, 0x3c000000
	v_and_b32_e32 v10, 0x80000000, v10
	v_or3_b32 v8, v8, v10, v7
	v_mov_b32_e32 v19, v9
	v_mov_b32_e32 v18, v8
.LBB200_1300:                           ;   in Loop: Header=BB200_1056 Depth=1
	s_or_b32 exec_lo, exec_lo, s15
.LBB200_1301:                           ;   in Loop: Header=BB200_1056 Depth=1
	s_or_b32 exec_lo, exec_lo, s9
.LBB200_1302:                           ;   in Loop: Header=BB200_1056 Depth=1
	s_or_b32 exec_lo, exec_lo, s7
	v_cmp_ne_u16_sdwa s4, v6, v9 src0_sel:BYTE_1 src1_sel:DWORD
	s_and_saveexec_b32 s7, s4
	s_cbranch_execz .LBB200_1310
; %bb.1303:                             ;   in Loop: Header=BB200_1056 Depth=1
	v_mov_b32_e32 v10, v9
	v_mov_b32_e32 v21, v11
	v_cmp_ne_u16_sdwa s4, v6, v99 src0_sel:BYTE_1 src1_sel:DWORD
	v_mov_b32_e32 v20, v10
	s_and_saveexec_b32 s9, s4
	s_cbranch_execz .LBB200_1309
; %bb.1304:                             ;   in Loop: Header=BB200_1056 Depth=1
	v_mov_b32_e32 v7, 0xffff
	v_mov_b32_e32 v12, v9
	;; [unrolled: 1-line block ×3, first 2 shown]
	s_mov_b32 s15, exec_lo
	v_and_b32_sdwa v7, v7, v6 dst_sel:DWORD dst_unused:UNUSED_PAD src0_sel:DWORD src1_sel:BYTE_1
	v_mov_b32_e32 v20, v12
	v_and_b32_e32 v10, 0x7f, v7
	v_cmpx_ne_u32_e32 0x7f, v10
	s_cbranch_execz .LBB200_1308
; %bb.1305:                             ;   in Loop: Header=BB200_1056 Depth=1
	v_and_b32_e32 v8, 7, v7
	v_lshrrev_b32_e32 v7, 3, v10
	s_mov_b32 s18, exec_lo
	v_cmpx_gt_u32_e32 8, v10
; %bb.1306:                             ;   in Loop: Header=BB200_1056 Depth=1
	v_ffbh_u32_e32 v7, v8
	v_min_u32_e32 v7, 32, v7
	v_subrev_nc_u32_e32 v10, 28, v7
	v_sub_nc_u32_e32 v7, 29, v7
	v_lshlrev_b64 v[20:21], v10, v[8:9]
	v_and_b32_e32 v8, 7, v20
; %bb.1307:                             ;   in Loop: Header=BB200_1056 Depth=1
	s_or_b32 exec_lo, exec_lo, s18
	v_lshlrev_b32_e32 v10, 16, v6
	v_lshlrev_b32_e32 v8, 20, v8
	v_lshl_add_u32 v7, v7, 23, 0x3c000000
	v_mov_b32_e32 v20, v9
	v_and_b32_e32 v10, 0x80000000, v10
	v_or3_b32 v21, v8, v10, v7
.LBB200_1308:                           ;   in Loop: Header=BB200_1056 Depth=1
	s_or_b32 exec_lo, exec_lo, s15
.LBB200_1309:                           ;   in Loop: Header=BB200_1056 Depth=1
	s_or_b32 exec_lo, exec_lo, s9
.LBB200_1310:                           ;   in Loop: Header=BB200_1056 Depth=1
	s_or_b32 exec_lo, exec_lo, s7
	v_mov_b32_e32 v24, 0
	v_mov_b32_e32 v22, 0
	v_and_b32_sdwa v7, v6, v101 dst_sel:DWORD dst_unused:UNUSED_PAD src0_sel:WORD_1 src1_sel:DWORD
	v_mov_b32_e32 v25, 0
	v_mov_b32_e32 v23, 0
	s_mov_b32 s7, exec_lo
	v_cmpx_ne_u16_e32 0, v7
	s_cbranch_execz .LBB200_1318
; %bb.1311:                             ;   in Loop: Header=BB200_1056 Depth=1
	v_bfrev_b32_e32 v22, 1
	v_mov_b32_e32 v23, 0
	s_mov_b32 s9, exec_lo
	v_cmpx_ne_u16_e32 0x80, v7
	s_cbranch_execz .LBB200_1317
; %bb.1312:                             ;   in Loop: Header=BB200_1056 Depth=1
	v_mov_b32_e32 v22, 0x7f800001
	v_bfe_u32 v10, v6, 16, 7
	v_mov_b32_e32 v23, 0
	s_mov_b32 s15, exec_lo
	v_cmpx_ne_u32_e32 0x7f, v10
	s_cbranch_execz .LBB200_1316
; %bb.1313:                             ;   in Loop: Header=BB200_1056 Depth=1
	v_mov_b32_e32 v7, 7
	s_mov_b32 s18, exec_lo
	v_and_b32_sdwa v8, v6, v7 dst_sel:DWORD dst_unused:UNUSED_PAD src0_sel:WORD_1 src1_sel:DWORD
	v_lshrrev_b32_e32 v7, 3, v10
	v_cmpx_gt_u32_e32 8, v10
; %bb.1314:                             ;   in Loop: Header=BB200_1056 Depth=1
	v_ffbh_u32_e32 v7, v8
	v_min_u32_e32 v7, 32, v7
	v_subrev_nc_u32_e32 v10, 28, v7
	v_sub_nc_u32_e32 v7, 29, v7
	v_lshlrev_b64 v[22:23], v10, v[8:9]
	v_and_b32_e32 v8, 7, v22
; %bb.1315:                             ;   in Loop: Header=BB200_1056 Depth=1
	s_or_b32 exec_lo, exec_lo, s18
	v_mov_b32_e32 v10, 24
	v_lshlrev_b32_e32 v8, 20, v8
	v_lshl_add_u32 v7, v7, 23, 0x3c000000
	v_lshlrev_b32_sdwa v10, v10, v6 dst_sel:DWORD dst_unused:UNUSED_PAD src0_sel:DWORD src1_sel:WORD_1
	v_and_b32_e32 v10, 0x80000000, v10
	v_or3_b32 v8, v8, v10, v7
	v_mov_b32_e32 v23, v9
	v_mov_b32_e32 v22, v8
.LBB200_1316:                           ;   in Loop: Header=BB200_1056 Depth=1
	s_or_b32 exec_lo, exec_lo, s15
.LBB200_1317:                           ;   in Loop: Header=BB200_1056 Depth=1
	s_or_b32 exec_lo, exec_lo, s9
.LBB200_1318:                           ;   in Loop: Header=BB200_1056 Depth=1
	s_or_b32 exec_lo, exec_lo, s7
	s_mov_b32 s7, exec_lo
	v_cmpx_lt_u32_e32 0xffffff, v6
	s_cbranch_execz .LBB200_1326
; %bb.1319:                             ;   in Loop: Header=BB200_1056 Depth=1
	v_mov_b32_e32 v10, v9
	v_mov_b32_e32 v25, v11
	v_cmp_ne_u32_sdwa s4, v6, v99 src0_sel:BYTE_3 src1_sel:DWORD
	v_mov_b32_e32 v24, v10
	s_and_saveexec_b32 s9, s4
	s_cbranch_execz .LBB200_1325
; %bb.1320:                             ;   in Loop: Header=BB200_1056 Depth=1
	v_mov_b32_e32 v12, v9
	v_mov_b32_e32 v25, v13
	v_bfe_u32 v10, v6, 24, 7
	s_mov_b32 s15, exec_lo
	v_mov_b32_e32 v24, v12
	v_cmpx_ne_u32_e32 0x7f, v10
	s_cbranch_execz .LBB200_1324
; %bb.1321:                             ;   in Loop: Header=BB200_1056 Depth=1
	v_mov_b32_e32 v7, 7
	s_mov_b32 s18, exec_lo
	v_and_b32_sdwa v8, v6, v7 dst_sel:DWORD dst_unused:UNUSED_PAD src0_sel:BYTE_3 src1_sel:DWORD
	v_lshrrev_b32_e32 v7, 3, v10
	v_cmpx_gt_u32_e32 8, v10
; %bb.1322:                             ;   in Loop: Header=BB200_1056 Depth=1
	v_ffbh_u32_e32 v7, v8
	v_min_u32_e32 v7, 32, v7
	v_subrev_nc_u32_e32 v10, 28, v7
	v_sub_nc_u32_e32 v7, 29, v7
	v_lshlrev_b64 v[24:25], v10, v[8:9]
	v_and_b32_e32 v8, 7, v24
; %bb.1323:                             ;   in Loop: Header=BB200_1056 Depth=1
	s_or_b32 exec_lo, exec_lo, s18
	v_mov_b32_e32 v10, 24
	v_lshlrev_b32_e32 v8, 20, v8
	v_lshl_add_u32 v7, v7, 23, 0x3c000000
	v_mov_b32_e32 v24, v9
	v_lshlrev_b32_sdwa v6, v10, v6 dst_sel:DWORD dst_unused:UNUSED_PAD src0_sel:DWORD src1_sel:BYTE_3
	v_and_b32_e32 v6, 0x80000000, v6
	v_or3_b32 v25, v8, v6, v7
.LBB200_1324:                           ;   in Loop: Header=BB200_1056 Depth=1
	s_or_b32 exec_lo, exec_lo, s15
.LBB200_1325:                           ;   in Loop: Header=BB200_1056 Depth=1
	s_or_b32 exec_lo, exec_lo, s9
.LBB200_1326:                           ;   in Loop: Header=BB200_1056 Depth=1
	s_or_b32 exec_lo, exec_lo, s7
	v_or_b32_e32 v6, v21, v19
	v_or_b32_e32 v7, v20, v18
	;; [unrolled: 1-line block ×4, first 2 shown]
	v_mul_f32_e32 v6, v114, v6
	buffer_store_dword v6, off, s[0:3], s32 offset:424 ; 4-byte Folded Spill
	v_mul_f32_e32 v6, v96, v7
	buffer_store_dword v6, off, s[0:3], s32 offset:432 ; 4-byte Folded Spill
	;; [unrolled: 2-line block ×4, first 2 shown]
	s_and_saveexec_b32 s7, vcc_lo
	s_cbranch_execz .LBB200_1328
; %bb.1327:                             ;   in Loop: Header=BB200_1056 Depth=1
	s_clause 0x1
	buffer_load_dword v6, off, s[0:3], s32 offset:200
	buffer_load_dword v7, off, s[0:3], s32 offset:432
	s_waitcnt vmcnt(1)
	v_cmp_lt_i32_e64 s4, v47, v6
	s_waitcnt vmcnt(0)
	v_cndmask_b32_e64 v7, 0, v7, s4
	v_cmp_lt_i32_e64 s4, v57, v6
	buffer_store_dword v7, off, s[0:3], s32 offset:432 ; 4-byte Folded Spill
	buffer_load_dword v7, off, s[0:3], s32 offset:424 ; 4-byte Folded Reload
	s_waitcnt vmcnt(0)
	v_cndmask_b32_e64 v7, 0, v7, s4
	v_cmp_lt_i32_e64 s4, v56, v6
	buffer_store_dword v7, off, s[0:3], s32 offset:424 ; 4-byte Folded Spill
	buffer_load_dword v7, off, s[0:3], s32 offset:416 ; 4-byte Folded Reload
	s_waitcnt vmcnt(0)
	v_cndmask_b32_e64 v7, 0, v7, s4
	v_cmp_lt_i32_e64 s4, v112, v6
	buffer_load_dword v6, off, s[0:3], s32 offset:408 ; 4-byte Folded Reload
	buffer_store_dword v7, off, s[0:3], s32 offset:416 ; 4-byte Folded Spill
	s_waitcnt vmcnt(0)
	v_cndmask_b32_e64 v6, 0, v6, s4
	buffer_store_dword v6, off, s[0:3], s32 offset:408 ; 4-byte Folded Spill
.LBB200_1328:                           ;   in Loop: Header=BB200_1056 Depth=1
	s_or_b32 exec_lo, exec_lo, s7
	flat_load_dword v6, v[16:17] offset:1024
	v_mov_b32_e32 v20, 0
	v_mov_b32_e32 v18, 0
	;; [unrolled: 1-line block ×4, first 2 shown]
	s_waitcnt vmcnt(0) lgkmcnt(0)
	v_cmp_ne_u16_sdwa s4, v6, v9 src0_sel:BYTE_0 src1_sel:DWORD
	s_and_saveexec_b32 s7, s4
	s_cbranch_execz .LBB200_1336
; %bb.1329:                             ;   in Loop: Header=BB200_1056 Depth=1
	v_bfrev_b32_e32 v18, 1
	v_mov_b32_e32 v19, 0
	v_cmp_ne_u16_sdwa s4, v6, v99 src0_sel:BYTE_0 src1_sel:DWORD
	s_and_saveexec_b32 s9, s4
	s_cbranch_execz .LBB200_1335
; %bb.1330:                             ;   in Loop: Header=BB200_1056 Depth=1
	v_mov_b32_e32 v18, 0x7f800001
	v_and_b32_e32 v10, 0x7f, v6
	v_mov_b32_e32 v19, 0
	s_mov_b32 s15, exec_lo
	v_cmpx_ne_u32_e32 0x7f, v10
	s_cbranch_execz .LBB200_1334
; %bb.1331:                             ;   in Loop: Header=BB200_1056 Depth=1
	v_and_b32_e32 v8, 7, v6
	v_lshrrev_b32_e32 v7, 3, v10
	s_mov_b32 s18, exec_lo
	v_cmpx_gt_u32_e32 8, v10
; %bb.1332:                             ;   in Loop: Header=BB200_1056 Depth=1
	v_ffbh_u32_e32 v7, v8
	v_min_u32_e32 v7, 32, v7
	v_subrev_nc_u32_e32 v10, 28, v7
	v_sub_nc_u32_e32 v7, 29, v7
	v_lshlrev_b64 v[18:19], v10, v[8:9]
	v_and_b32_e32 v8, 7, v18
; %bb.1333:                             ;   in Loop: Header=BB200_1056 Depth=1
	s_or_b32 exec_lo, exec_lo, s18
	v_lshlrev_b32_e32 v10, 24, v6
	v_lshlrev_b32_e32 v8, 20, v8
	v_lshl_add_u32 v7, v7, 23, 0x3c000000
	v_and_b32_e32 v10, 0x80000000, v10
	v_or3_b32 v8, v8, v10, v7
	v_mov_b32_e32 v19, v9
	v_mov_b32_e32 v18, v8
.LBB200_1334:                           ;   in Loop: Header=BB200_1056 Depth=1
	s_or_b32 exec_lo, exec_lo, s15
.LBB200_1335:                           ;   in Loop: Header=BB200_1056 Depth=1
	s_or_b32 exec_lo, exec_lo, s9
.LBB200_1336:                           ;   in Loop: Header=BB200_1056 Depth=1
	s_or_b32 exec_lo, exec_lo, s7
	v_cmp_ne_u16_sdwa s4, v6, v9 src0_sel:BYTE_1 src1_sel:DWORD
	s_and_saveexec_b32 s7, s4
	s_cbranch_execz .LBB200_1344
; %bb.1337:                             ;   in Loop: Header=BB200_1056 Depth=1
	v_mov_b32_e32 v10, v9
	v_mov_b32_e32 v21, v11
	v_cmp_ne_u16_sdwa s4, v6, v99 src0_sel:BYTE_1 src1_sel:DWORD
	v_mov_b32_e32 v20, v10
	s_and_saveexec_b32 s9, s4
	s_cbranch_execz .LBB200_1343
; %bb.1338:                             ;   in Loop: Header=BB200_1056 Depth=1
	v_mov_b32_e32 v7, 0xffff
	v_mov_b32_e32 v12, v9
	;; [unrolled: 1-line block ×3, first 2 shown]
	s_mov_b32 s15, exec_lo
	v_and_b32_sdwa v7, v7, v6 dst_sel:DWORD dst_unused:UNUSED_PAD src0_sel:DWORD src1_sel:BYTE_1
	v_mov_b32_e32 v20, v12
	v_and_b32_e32 v10, 0x7f, v7
	v_cmpx_ne_u32_e32 0x7f, v10
	s_cbranch_execz .LBB200_1342
; %bb.1339:                             ;   in Loop: Header=BB200_1056 Depth=1
	v_and_b32_e32 v8, 7, v7
	v_lshrrev_b32_e32 v7, 3, v10
	s_mov_b32 s18, exec_lo
	v_cmpx_gt_u32_e32 8, v10
; %bb.1340:                             ;   in Loop: Header=BB200_1056 Depth=1
	v_ffbh_u32_e32 v7, v8
	v_min_u32_e32 v7, 32, v7
	v_subrev_nc_u32_e32 v10, 28, v7
	v_sub_nc_u32_e32 v7, 29, v7
	v_lshlrev_b64 v[20:21], v10, v[8:9]
	v_and_b32_e32 v8, 7, v20
; %bb.1341:                             ;   in Loop: Header=BB200_1056 Depth=1
	s_or_b32 exec_lo, exec_lo, s18
	v_lshlrev_b32_e32 v10, 16, v6
	v_lshlrev_b32_e32 v8, 20, v8
	v_lshl_add_u32 v7, v7, 23, 0x3c000000
	v_mov_b32_e32 v20, v9
	v_and_b32_e32 v10, 0x80000000, v10
	v_or3_b32 v21, v8, v10, v7
.LBB200_1342:                           ;   in Loop: Header=BB200_1056 Depth=1
	s_or_b32 exec_lo, exec_lo, s15
.LBB200_1343:                           ;   in Loop: Header=BB200_1056 Depth=1
	s_or_b32 exec_lo, exec_lo, s9
.LBB200_1344:                           ;   in Loop: Header=BB200_1056 Depth=1
	s_or_b32 exec_lo, exec_lo, s7
	v_mov_b32_e32 v24, 0
	v_mov_b32_e32 v22, 0
	v_and_b32_sdwa v7, v6, v101 dst_sel:DWORD dst_unused:UNUSED_PAD src0_sel:WORD_1 src1_sel:DWORD
	v_mov_b32_e32 v25, 0
	v_mov_b32_e32 v23, 0
	s_mov_b32 s7, exec_lo
	v_cmpx_ne_u16_e32 0, v7
	s_cbranch_execz .LBB200_1352
; %bb.1345:                             ;   in Loop: Header=BB200_1056 Depth=1
	v_bfrev_b32_e32 v22, 1
	v_mov_b32_e32 v23, 0
	s_mov_b32 s9, exec_lo
	v_cmpx_ne_u16_e32 0x80, v7
	s_cbranch_execz .LBB200_1351
; %bb.1346:                             ;   in Loop: Header=BB200_1056 Depth=1
	v_mov_b32_e32 v22, 0x7f800001
	v_bfe_u32 v10, v6, 16, 7
	v_mov_b32_e32 v23, 0
	s_mov_b32 s15, exec_lo
	v_cmpx_ne_u32_e32 0x7f, v10
	s_cbranch_execz .LBB200_1350
; %bb.1347:                             ;   in Loop: Header=BB200_1056 Depth=1
	v_mov_b32_e32 v7, 7
	s_mov_b32 s18, exec_lo
	v_and_b32_sdwa v8, v6, v7 dst_sel:DWORD dst_unused:UNUSED_PAD src0_sel:WORD_1 src1_sel:DWORD
	v_lshrrev_b32_e32 v7, 3, v10
	v_cmpx_gt_u32_e32 8, v10
; %bb.1348:                             ;   in Loop: Header=BB200_1056 Depth=1
	v_ffbh_u32_e32 v7, v8
	v_min_u32_e32 v7, 32, v7
	v_subrev_nc_u32_e32 v10, 28, v7
	v_sub_nc_u32_e32 v7, 29, v7
	v_lshlrev_b64 v[22:23], v10, v[8:9]
	v_and_b32_e32 v8, 7, v22
; %bb.1349:                             ;   in Loop: Header=BB200_1056 Depth=1
	s_or_b32 exec_lo, exec_lo, s18
	v_mov_b32_e32 v10, 24
	v_lshlrev_b32_e32 v8, 20, v8
	v_lshl_add_u32 v7, v7, 23, 0x3c000000
	v_lshlrev_b32_sdwa v10, v10, v6 dst_sel:DWORD dst_unused:UNUSED_PAD src0_sel:DWORD src1_sel:WORD_1
	v_and_b32_e32 v10, 0x80000000, v10
	v_or3_b32 v8, v8, v10, v7
	v_mov_b32_e32 v23, v9
	v_mov_b32_e32 v22, v8
.LBB200_1350:                           ;   in Loop: Header=BB200_1056 Depth=1
	s_or_b32 exec_lo, exec_lo, s15
.LBB200_1351:                           ;   in Loop: Header=BB200_1056 Depth=1
	s_or_b32 exec_lo, exec_lo, s9
.LBB200_1352:                           ;   in Loop: Header=BB200_1056 Depth=1
	s_or_b32 exec_lo, exec_lo, s7
	s_mov_b32 s7, exec_lo
	v_cmpx_lt_u32_e32 0xffffff, v6
	s_cbranch_execz .LBB200_1360
; %bb.1353:                             ;   in Loop: Header=BB200_1056 Depth=1
	v_mov_b32_e32 v10, v9
	v_mov_b32_e32 v25, v11
	v_cmp_ne_u32_sdwa s4, v6, v99 src0_sel:BYTE_3 src1_sel:DWORD
	v_mov_b32_e32 v24, v10
	s_and_saveexec_b32 s9, s4
	s_cbranch_execz .LBB200_1359
; %bb.1354:                             ;   in Loop: Header=BB200_1056 Depth=1
	v_mov_b32_e32 v12, v9
	v_mov_b32_e32 v25, v13
	v_bfe_u32 v10, v6, 24, 7
	s_mov_b32 s15, exec_lo
	v_mov_b32_e32 v24, v12
	v_cmpx_ne_u32_e32 0x7f, v10
	s_cbranch_execz .LBB200_1358
; %bb.1355:                             ;   in Loop: Header=BB200_1056 Depth=1
	v_mov_b32_e32 v7, 7
	s_mov_b32 s18, exec_lo
	v_and_b32_sdwa v8, v6, v7 dst_sel:DWORD dst_unused:UNUSED_PAD src0_sel:BYTE_3 src1_sel:DWORD
	v_lshrrev_b32_e32 v7, 3, v10
	v_cmpx_gt_u32_e32 8, v10
; %bb.1356:                             ;   in Loop: Header=BB200_1056 Depth=1
	v_ffbh_u32_e32 v7, v8
	v_min_u32_e32 v7, 32, v7
	v_subrev_nc_u32_e32 v10, 28, v7
	v_sub_nc_u32_e32 v7, 29, v7
	v_lshlrev_b64 v[24:25], v10, v[8:9]
	v_and_b32_e32 v8, 7, v24
; %bb.1357:                             ;   in Loop: Header=BB200_1056 Depth=1
	s_or_b32 exec_lo, exec_lo, s18
	v_mov_b32_e32 v10, 24
	v_lshlrev_b32_e32 v8, 20, v8
	v_lshl_add_u32 v7, v7, 23, 0x3c000000
	v_mov_b32_e32 v24, v9
	v_lshlrev_b32_sdwa v6, v10, v6 dst_sel:DWORD dst_unused:UNUSED_PAD src0_sel:DWORD src1_sel:BYTE_3
	v_and_b32_e32 v6, 0x80000000, v6
	v_or3_b32 v25, v8, v6, v7
.LBB200_1358:                           ;   in Loop: Header=BB200_1056 Depth=1
	s_or_b32 exec_lo, exec_lo, s15
.LBB200_1359:                           ;   in Loop: Header=BB200_1056 Depth=1
	s_or_b32 exec_lo, exec_lo, s9
.LBB200_1360:                           ;   in Loop: Header=BB200_1056 Depth=1
	s_or_b32 exec_lo, exec_lo, s7
	v_or_b32_e32 v6, v21, v19
	v_or_b32_e32 v7, v20, v18
	;; [unrolled: 1-line block ×4, first 2 shown]
	v_mul_f32_e32 v6, v114, v6
	buffer_store_dword v6, off, s[0:3], s32 offset:464 ; 4-byte Folded Spill
	v_mul_f32_e32 v6, v96, v7
	buffer_store_dword v6, off, s[0:3], s32 offset:456 ; 4-byte Folded Spill
	;; [unrolled: 2-line block ×4, first 2 shown]
	s_and_saveexec_b32 s7, vcc_lo
	s_cbranch_execz .LBB200_1362
; %bb.1361:                             ;   in Loop: Header=BB200_1056 Depth=1
	s_clause 0x1
	buffer_load_dword v6, off, s[0:3], s32 offset:200
	buffer_load_dword v7, off, s[0:3], s32 offset:456
	s_waitcnt vmcnt(1)
	v_cmp_lt_i32_e64 s4, v47, v6
	s_waitcnt vmcnt(0)
	v_cndmask_b32_e64 v7, 0, v7, s4
	v_cmp_lt_i32_e64 s4, v57, v6
	buffer_store_dword v7, off, s[0:3], s32 offset:456 ; 4-byte Folded Spill
	buffer_load_dword v7, off, s[0:3], s32 offset:464 ; 4-byte Folded Reload
	s_waitcnt vmcnt(0)
	v_cndmask_b32_e64 v7, 0, v7, s4
	v_cmp_lt_i32_e64 s4, v56, v6
	buffer_store_dword v7, off, s[0:3], s32 offset:464 ; 4-byte Folded Spill
	buffer_load_dword v7, off, s[0:3], s32 offset:448 ; 4-byte Folded Reload
	s_waitcnt vmcnt(0)
	v_cndmask_b32_e64 v7, 0, v7, s4
	v_cmp_lt_i32_e64 s4, v112, v6
	buffer_load_dword v6, off, s[0:3], s32 offset:440 ; 4-byte Folded Reload
	buffer_store_dword v7, off, s[0:3], s32 offset:448 ; 4-byte Folded Spill
	s_waitcnt vmcnt(0)
	v_cndmask_b32_e64 v6, 0, v6, s4
	buffer_store_dword v6, off, s[0:3], s32 offset:440 ; 4-byte Folded Spill
.LBB200_1362:                           ;   in Loop: Header=BB200_1056 Depth=1
	s_or_b32 exec_lo, exec_lo, s7
	flat_load_dword v6, v[16:17] offset:1152
	v_mov_b32_e32 v20, 0
	v_mov_b32_e32 v18, 0
	;; [unrolled: 1-line block ×4, first 2 shown]
	s_waitcnt vmcnt(0) lgkmcnt(0)
	v_cmp_ne_u16_sdwa s4, v6, v9 src0_sel:BYTE_0 src1_sel:DWORD
	s_and_saveexec_b32 s7, s4
	s_cbranch_execz .LBB200_1370
; %bb.1363:                             ;   in Loop: Header=BB200_1056 Depth=1
	v_bfrev_b32_e32 v18, 1
	v_mov_b32_e32 v19, 0
	v_cmp_ne_u16_sdwa s4, v6, v99 src0_sel:BYTE_0 src1_sel:DWORD
	s_and_saveexec_b32 s9, s4
	s_cbranch_execz .LBB200_1369
; %bb.1364:                             ;   in Loop: Header=BB200_1056 Depth=1
	v_mov_b32_e32 v18, 0x7f800001
	v_and_b32_e32 v10, 0x7f, v6
	v_mov_b32_e32 v19, 0
	s_mov_b32 s15, exec_lo
	v_cmpx_ne_u32_e32 0x7f, v10
	s_cbranch_execz .LBB200_1368
; %bb.1365:                             ;   in Loop: Header=BB200_1056 Depth=1
	v_and_b32_e32 v8, 7, v6
	v_lshrrev_b32_e32 v7, 3, v10
	s_mov_b32 s18, exec_lo
	v_cmpx_gt_u32_e32 8, v10
; %bb.1366:                             ;   in Loop: Header=BB200_1056 Depth=1
	v_ffbh_u32_e32 v7, v8
	v_min_u32_e32 v7, 32, v7
	v_subrev_nc_u32_e32 v10, 28, v7
	v_sub_nc_u32_e32 v7, 29, v7
	v_lshlrev_b64 v[18:19], v10, v[8:9]
	v_and_b32_e32 v8, 7, v18
; %bb.1367:                             ;   in Loop: Header=BB200_1056 Depth=1
	s_or_b32 exec_lo, exec_lo, s18
	v_lshlrev_b32_e32 v10, 24, v6
	v_lshlrev_b32_e32 v8, 20, v8
	v_lshl_add_u32 v7, v7, 23, 0x3c000000
	v_and_b32_e32 v10, 0x80000000, v10
	v_or3_b32 v8, v8, v10, v7
	v_mov_b32_e32 v19, v9
	v_mov_b32_e32 v18, v8
.LBB200_1368:                           ;   in Loop: Header=BB200_1056 Depth=1
	s_or_b32 exec_lo, exec_lo, s15
.LBB200_1369:                           ;   in Loop: Header=BB200_1056 Depth=1
	s_or_b32 exec_lo, exec_lo, s9
.LBB200_1370:                           ;   in Loop: Header=BB200_1056 Depth=1
	s_or_b32 exec_lo, exec_lo, s7
	v_cmp_ne_u16_sdwa s4, v6, v9 src0_sel:BYTE_1 src1_sel:DWORD
	s_and_saveexec_b32 s7, s4
	s_cbranch_execz .LBB200_1378
; %bb.1371:                             ;   in Loop: Header=BB200_1056 Depth=1
	v_mov_b32_e32 v10, v9
	v_mov_b32_e32 v21, v11
	v_cmp_ne_u16_sdwa s4, v6, v99 src0_sel:BYTE_1 src1_sel:DWORD
	v_mov_b32_e32 v20, v10
	s_and_saveexec_b32 s9, s4
	s_cbranch_execz .LBB200_1377
; %bb.1372:                             ;   in Loop: Header=BB200_1056 Depth=1
	v_mov_b32_e32 v7, 0xffff
	v_mov_b32_e32 v12, v9
	;; [unrolled: 1-line block ×3, first 2 shown]
	s_mov_b32 s15, exec_lo
	v_and_b32_sdwa v7, v7, v6 dst_sel:DWORD dst_unused:UNUSED_PAD src0_sel:DWORD src1_sel:BYTE_1
	v_mov_b32_e32 v20, v12
	v_and_b32_e32 v10, 0x7f, v7
	v_cmpx_ne_u32_e32 0x7f, v10
	s_cbranch_execz .LBB200_1376
; %bb.1373:                             ;   in Loop: Header=BB200_1056 Depth=1
	v_and_b32_e32 v8, 7, v7
	v_lshrrev_b32_e32 v7, 3, v10
	s_mov_b32 s18, exec_lo
	v_cmpx_gt_u32_e32 8, v10
; %bb.1374:                             ;   in Loop: Header=BB200_1056 Depth=1
	v_ffbh_u32_e32 v7, v8
	v_min_u32_e32 v7, 32, v7
	v_subrev_nc_u32_e32 v10, 28, v7
	v_sub_nc_u32_e32 v7, 29, v7
	v_lshlrev_b64 v[20:21], v10, v[8:9]
	v_and_b32_e32 v8, 7, v20
; %bb.1375:                             ;   in Loop: Header=BB200_1056 Depth=1
	s_or_b32 exec_lo, exec_lo, s18
	v_lshlrev_b32_e32 v10, 16, v6
	v_lshlrev_b32_e32 v8, 20, v8
	v_lshl_add_u32 v7, v7, 23, 0x3c000000
	v_mov_b32_e32 v20, v9
	v_and_b32_e32 v10, 0x80000000, v10
	v_or3_b32 v21, v8, v10, v7
.LBB200_1376:                           ;   in Loop: Header=BB200_1056 Depth=1
	s_or_b32 exec_lo, exec_lo, s15
.LBB200_1377:                           ;   in Loop: Header=BB200_1056 Depth=1
	s_or_b32 exec_lo, exec_lo, s9
.LBB200_1378:                           ;   in Loop: Header=BB200_1056 Depth=1
	s_or_b32 exec_lo, exec_lo, s7
	v_mov_b32_e32 v24, 0
	v_mov_b32_e32 v22, 0
	v_and_b32_sdwa v7, v6, v101 dst_sel:DWORD dst_unused:UNUSED_PAD src0_sel:WORD_1 src1_sel:DWORD
	v_mov_b32_e32 v25, 0
	v_mov_b32_e32 v23, 0
	s_mov_b32 s7, exec_lo
	v_cmpx_ne_u16_e32 0, v7
	s_cbranch_execz .LBB200_1386
; %bb.1379:                             ;   in Loop: Header=BB200_1056 Depth=1
	v_bfrev_b32_e32 v22, 1
	v_mov_b32_e32 v23, 0
	s_mov_b32 s9, exec_lo
	v_cmpx_ne_u16_e32 0x80, v7
	s_cbranch_execz .LBB200_1385
; %bb.1380:                             ;   in Loop: Header=BB200_1056 Depth=1
	v_mov_b32_e32 v22, 0x7f800001
	v_bfe_u32 v10, v6, 16, 7
	v_mov_b32_e32 v23, 0
	s_mov_b32 s15, exec_lo
	v_cmpx_ne_u32_e32 0x7f, v10
	s_cbranch_execz .LBB200_1384
; %bb.1381:                             ;   in Loop: Header=BB200_1056 Depth=1
	v_mov_b32_e32 v7, 7
	s_mov_b32 s18, exec_lo
	v_and_b32_sdwa v8, v6, v7 dst_sel:DWORD dst_unused:UNUSED_PAD src0_sel:WORD_1 src1_sel:DWORD
	v_lshrrev_b32_e32 v7, 3, v10
	v_cmpx_gt_u32_e32 8, v10
; %bb.1382:                             ;   in Loop: Header=BB200_1056 Depth=1
	v_ffbh_u32_e32 v7, v8
	v_min_u32_e32 v7, 32, v7
	v_subrev_nc_u32_e32 v10, 28, v7
	v_sub_nc_u32_e32 v7, 29, v7
	v_lshlrev_b64 v[22:23], v10, v[8:9]
	v_and_b32_e32 v8, 7, v22
; %bb.1383:                             ;   in Loop: Header=BB200_1056 Depth=1
	s_or_b32 exec_lo, exec_lo, s18
	v_mov_b32_e32 v10, 24
	v_lshlrev_b32_e32 v8, 20, v8
	v_lshl_add_u32 v7, v7, 23, 0x3c000000
	v_lshlrev_b32_sdwa v10, v10, v6 dst_sel:DWORD dst_unused:UNUSED_PAD src0_sel:DWORD src1_sel:WORD_1
	v_and_b32_e32 v10, 0x80000000, v10
	v_or3_b32 v8, v8, v10, v7
	v_mov_b32_e32 v23, v9
	v_mov_b32_e32 v22, v8
.LBB200_1384:                           ;   in Loop: Header=BB200_1056 Depth=1
	s_or_b32 exec_lo, exec_lo, s15
.LBB200_1385:                           ;   in Loop: Header=BB200_1056 Depth=1
	s_or_b32 exec_lo, exec_lo, s9
.LBB200_1386:                           ;   in Loop: Header=BB200_1056 Depth=1
	s_or_b32 exec_lo, exec_lo, s7
	s_mov_b32 s7, exec_lo
	v_cmpx_lt_u32_e32 0xffffff, v6
	s_cbranch_execz .LBB200_1394
; %bb.1387:                             ;   in Loop: Header=BB200_1056 Depth=1
	v_mov_b32_e32 v10, v9
	v_mov_b32_e32 v25, v11
	v_cmp_ne_u32_sdwa s4, v6, v99 src0_sel:BYTE_3 src1_sel:DWORD
	v_mov_b32_e32 v24, v10
	s_and_saveexec_b32 s9, s4
	s_cbranch_execz .LBB200_1393
; %bb.1388:                             ;   in Loop: Header=BB200_1056 Depth=1
	v_mov_b32_e32 v12, v9
	v_mov_b32_e32 v25, v13
	v_bfe_u32 v10, v6, 24, 7
	s_mov_b32 s15, exec_lo
	v_mov_b32_e32 v24, v12
	v_cmpx_ne_u32_e32 0x7f, v10
	s_cbranch_execz .LBB200_1392
; %bb.1389:                             ;   in Loop: Header=BB200_1056 Depth=1
	v_mov_b32_e32 v7, 7
	s_mov_b32 s18, exec_lo
	v_and_b32_sdwa v8, v6, v7 dst_sel:DWORD dst_unused:UNUSED_PAD src0_sel:BYTE_3 src1_sel:DWORD
	v_lshrrev_b32_e32 v7, 3, v10
	v_cmpx_gt_u32_e32 8, v10
; %bb.1390:                             ;   in Loop: Header=BB200_1056 Depth=1
	v_ffbh_u32_e32 v7, v8
	v_min_u32_e32 v7, 32, v7
	v_subrev_nc_u32_e32 v10, 28, v7
	v_sub_nc_u32_e32 v7, 29, v7
	v_lshlrev_b64 v[24:25], v10, v[8:9]
	v_and_b32_e32 v8, 7, v24
; %bb.1391:                             ;   in Loop: Header=BB200_1056 Depth=1
	s_or_b32 exec_lo, exec_lo, s18
	v_mov_b32_e32 v10, 24
	v_lshlrev_b32_e32 v8, 20, v8
	v_lshl_add_u32 v7, v7, 23, 0x3c000000
	v_mov_b32_e32 v24, v9
	v_lshlrev_b32_sdwa v6, v10, v6 dst_sel:DWORD dst_unused:UNUSED_PAD src0_sel:DWORD src1_sel:BYTE_3
	v_and_b32_e32 v6, 0x80000000, v6
	v_or3_b32 v25, v8, v6, v7
.LBB200_1392:                           ;   in Loop: Header=BB200_1056 Depth=1
	s_or_b32 exec_lo, exec_lo, s15
.LBB200_1393:                           ;   in Loop: Header=BB200_1056 Depth=1
	s_or_b32 exec_lo, exec_lo, s9
.LBB200_1394:                           ;   in Loop: Header=BB200_1056 Depth=1
	s_or_b32 exec_lo, exec_lo, s7
	v_or_b32_e32 v6, v21, v19
	v_or_b32_e32 v7, v20, v18
	;; [unrolled: 1-line block ×4, first 2 shown]
	v_mul_f32_e32 v6, v114, v6
	buffer_store_dword v6, off, s[0:3], s32 offset:496 ; 4-byte Folded Spill
	v_mul_f32_e32 v6, v96, v7
	buffer_store_dword v6, off, s[0:3], s32 offset:488 ; 4-byte Folded Spill
	;; [unrolled: 2-line block ×4, first 2 shown]
	s_and_saveexec_b32 s7, vcc_lo
	s_cbranch_execz .LBB200_1396
; %bb.1395:                             ;   in Loop: Header=BB200_1056 Depth=1
	s_clause 0x1
	buffer_load_dword v6, off, s[0:3], s32 offset:200
	buffer_load_dword v7, off, s[0:3], s32 offset:488
	s_waitcnt vmcnt(1)
	v_cmp_lt_i32_e64 s4, v47, v6
	s_waitcnt vmcnt(0)
	v_cndmask_b32_e64 v7, 0, v7, s4
	v_cmp_lt_i32_e64 s4, v57, v6
	buffer_store_dword v7, off, s[0:3], s32 offset:488 ; 4-byte Folded Spill
	buffer_load_dword v7, off, s[0:3], s32 offset:496 ; 4-byte Folded Reload
	s_waitcnt vmcnt(0)
	v_cndmask_b32_e64 v7, 0, v7, s4
	v_cmp_lt_i32_e64 s4, v56, v6
	buffer_store_dword v7, off, s[0:3], s32 offset:496 ; 4-byte Folded Spill
	buffer_load_dword v7, off, s[0:3], s32 offset:480 ; 4-byte Folded Reload
	s_waitcnt vmcnt(0)
	v_cndmask_b32_e64 v7, 0, v7, s4
	v_cmp_lt_i32_e64 s4, v112, v6
	buffer_load_dword v6, off, s[0:3], s32 offset:472 ; 4-byte Folded Reload
	buffer_store_dword v7, off, s[0:3], s32 offset:480 ; 4-byte Folded Spill
	s_waitcnt vmcnt(0)
	v_cndmask_b32_e64 v6, 0, v6, s4
	buffer_store_dword v6, off, s[0:3], s32 offset:472 ; 4-byte Folded Spill
.LBB200_1396:                           ;   in Loop: Header=BB200_1056 Depth=1
	s_or_b32 exec_lo, exec_lo, s7
	flat_load_dword v6, v[16:17] offset:1280
	v_mov_b32_e32 v20, 0
	v_mov_b32_e32 v18, 0
	;; [unrolled: 1-line block ×4, first 2 shown]
	s_waitcnt vmcnt(0) lgkmcnt(0)
	v_cmp_ne_u16_sdwa s4, v6, v9 src0_sel:BYTE_0 src1_sel:DWORD
	s_and_saveexec_b32 s7, s4
	s_cbranch_execz .LBB200_1404
; %bb.1397:                             ;   in Loop: Header=BB200_1056 Depth=1
	v_bfrev_b32_e32 v18, 1
	v_mov_b32_e32 v19, 0
	v_cmp_ne_u16_sdwa s4, v6, v99 src0_sel:BYTE_0 src1_sel:DWORD
	s_and_saveexec_b32 s9, s4
	s_cbranch_execz .LBB200_1403
; %bb.1398:                             ;   in Loop: Header=BB200_1056 Depth=1
	v_mov_b32_e32 v18, 0x7f800001
	v_and_b32_e32 v10, 0x7f, v6
	v_mov_b32_e32 v19, 0
	s_mov_b32 s15, exec_lo
	v_cmpx_ne_u32_e32 0x7f, v10
	s_cbranch_execz .LBB200_1402
; %bb.1399:                             ;   in Loop: Header=BB200_1056 Depth=1
	v_and_b32_e32 v8, 7, v6
	v_lshrrev_b32_e32 v7, 3, v10
	s_mov_b32 s18, exec_lo
	v_cmpx_gt_u32_e32 8, v10
; %bb.1400:                             ;   in Loop: Header=BB200_1056 Depth=1
	v_ffbh_u32_e32 v7, v8
	v_min_u32_e32 v7, 32, v7
	v_subrev_nc_u32_e32 v10, 28, v7
	v_sub_nc_u32_e32 v7, 29, v7
	v_lshlrev_b64 v[18:19], v10, v[8:9]
	v_and_b32_e32 v8, 7, v18
; %bb.1401:                             ;   in Loop: Header=BB200_1056 Depth=1
	s_or_b32 exec_lo, exec_lo, s18
	v_lshlrev_b32_e32 v10, 24, v6
	v_lshlrev_b32_e32 v8, 20, v8
	v_lshl_add_u32 v7, v7, 23, 0x3c000000
	v_and_b32_e32 v10, 0x80000000, v10
	v_or3_b32 v8, v8, v10, v7
	v_mov_b32_e32 v19, v9
	v_mov_b32_e32 v18, v8
.LBB200_1402:                           ;   in Loop: Header=BB200_1056 Depth=1
	s_or_b32 exec_lo, exec_lo, s15
.LBB200_1403:                           ;   in Loop: Header=BB200_1056 Depth=1
	s_or_b32 exec_lo, exec_lo, s9
.LBB200_1404:                           ;   in Loop: Header=BB200_1056 Depth=1
	s_or_b32 exec_lo, exec_lo, s7
	v_cmp_ne_u16_sdwa s4, v6, v9 src0_sel:BYTE_1 src1_sel:DWORD
	s_and_saveexec_b32 s7, s4
	s_cbranch_execz .LBB200_1412
; %bb.1405:                             ;   in Loop: Header=BB200_1056 Depth=1
	v_mov_b32_e32 v10, v9
	v_mov_b32_e32 v21, v11
	v_cmp_ne_u16_sdwa s4, v6, v99 src0_sel:BYTE_1 src1_sel:DWORD
	v_mov_b32_e32 v20, v10
	s_and_saveexec_b32 s9, s4
	s_cbranch_execz .LBB200_1411
; %bb.1406:                             ;   in Loop: Header=BB200_1056 Depth=1
	v_mov_b32_e32 v7, 0xffff
	v_mov_b32_e32 v12, v9
	;; [unrolled: 1-line block ×3, first 2 shown]
	s_mov_b32 s15, exec_lo
	v_and_b32_sdwa v7, v7, v6 dst_sel:DWORD dst_unused:UNUSED_PAD src0_sel:DWORD src1_sel:BYTE_1
	v_mov_b32_e32 v20, v12
	v_and_b32_e32 v10, 0x7f, v7
	v_cmpx_ne_u32_e32 0x7f, v10
	s_cbranch_execz .LBB200_1410
; %bb.1407:                             ;   in Loop: Header=BB200_1056 Depth=1
	v_and_b32_e32 v8, 7, v7
	v_lshrrev_b32_e32 v7, 3, v10
	s_mov_b32 s18, exec_lo
	v_cmpx_gt_u32_e32 8, v10
; %bb.1408:                             ;   in Loop: Header=BB200_1056 Depth=1
	v_ffbh_u32_e32 v7, v8
	v_min_u32_e32 v7, 32, v7
	v_subrev_nc_u32_e32 v10, 28, v7
	v_sub_nc_u32_e32 v7, 29, v7
	v_lshlrev_b64 v[20:21], v10, v[8:9]
	v_and_b32_e32 v8, 7, v20
; %bb.1409:                             ;   in Loop: Header=BB200_1056 Depth=1
	s_or_b32 exec_lo, exec_lo, s18
	v_lshlrev_b32_e32 v10, 16, v6
	v_lshlrev_b32_e32 v8, 20, v8
	v_lshl_add_u32 v7, v7, 23, 0x3c000000
	v_mov_b32_e32 v20, v9
	v_and_b32_e32 v10, 0x80000000, v10
	v_or3_b32 v21, v8, v10, v7
.LBB200_1410:                           ;   in Loop: Header=BB200_1056 Depth=1
	s_or_b32 exec_lo, exec_lo, s15
.LBB200_1411:                           ;   in Loop: Header=BB200_1056 Depth=1
	s_or_b32 exec_lo, exec_lo, s9
.LBB200_1412:                           ;   in Loop: Header=BB200_1056 Depth=1
	s_or_b32 exec_lo, exec_lo, s7
	v_mov_b32_e32 v24, 0
	v_mov_b32_e32 v22, 0
	v_and_b32_sdwa v7, v6, v101 dst_sel:DWORD dst_unused:UNUSED_PAD src0_sel:WORD_1 src1_sel:DWORD
	v_mov_b32_e32 v25, 0
	v_mov_b32_e32 v23, 0
	s_mov_b32 s7, exec_lo
	v_cmpx_ne_u16_e32 0, v7
	s_cbranch_execz .LBB200_1420
; %bb.1413:                             ;   in Loop: Header=BB200_1056 Depth=1
	v_bfrev_b32_e32 v22, 1
	v_mov_b32_e32 v23, 0
	s_mov_b32 s9, exec_lo
	v_cmpx_ne_u16_e32 0x80, v7
	s_cbranch_execz .LBB200_1419
; %bb.1414:                             ;   in Loop: Header=BB200_1056 Depth=1
	v_mov_b32_e32 v22, 0x7f800001
	v_bfe_u32 v10, v6, 16, 7
	v_mov_b32_e32 v23, 0
	s_mov_b32 s15, exec_lo
	v_cmpx_ne_u32_e32 0x7f, v10
	s_cbranch_execz .LBB200_1418
; %bb.1415:                             ;   in Loop: Header=BB200_1056 Depth=1
	v_mov_b32_e32 v7, 7
	s_mov_b32 s18, exec_lo
	v_and_b32_sdwa v8, v6, v7 dst_sel:DWORD dst_unused:UNUSED_PAD src0_sel:WORD_1 src1_sel:DWORD
	v_lshrrev_b32_e32 v7, 3, v10
	v_cmpx_gt_u32_e32 8, v10
; %bb.1416:                             ;   in Loop: Header=BB200_1056 Depth=1
	v_ffbh_u32_e32 v7, v8
	v_min_u32_e32 v7, 32, v7
	v_subrev_nc_u32_e32 v10, 28, v7
	v_sub_nc_u32_e32 v7, 29, v7
	v_lshlrev_b64 v[22:23], v10, v[8:9]
	v_and_b32_e32 v8, 7, v22
; %bb.1417:                             ;   in Loop: Header=BB200_1056 Depth=1
	s_or_b32 exec_lo, exec_lo, s18
	v_mov_b32_e32 v10, 24
	v_lshlrev_b32_e32 v8, 20, v8
	v_lshl_add_u32 v7, v7, 23, 0x3c000000
	v_lshlrev_b32_sdwa v10, v10, v6 dst_sel:DWORD dst_unused:UNUSED_PAD src0_sel:DWORD src1_sel:WORD_1
	v_and_b32_e32 v10, 0x80000000, v10
	v_or3_b32 v8, v8, v10, v7
	v_mov_b32_e32 v23, v9
	v_mov_b32_e32 v22, v8
.LBB200_1418:                           ;   in Loop: Header=BB200_1056 Depth=1
	s_or_b32 exec_lo, exec_lo, s15
.LBB200_1419:                           ;   in Loop: Header=BB200_1056 Depth=1
	s_or_b32 exec_lo, exec_lo, s9
.LBB200_1420:                           ;   in Loop: Header=BB200_1056 Depth=1
	s_or_b32 exec_lo, exec_lo, s7
	s_mov_b32 s7, exec_lo
	v_cmpx_lt_u32_e32 0xffffff, v6
	s_cbranch_execz .LBB200_1428
; %bb.1421:                             ;   in Loop: Header=BB200_1056 Depth=1
	v_mov_b32_e32 v10, v9
	v_mov_b32_e32 v25, v11
	v_cmp_ne_u32_sdwa s4, v6, v99 src0_sel:BYTE_3 src1_sel:DWORD
	v_mov_b32_e32 v24, v10
	s_and_saveexec_b32 s9, s4
	s_cbranch_execz .LBB200_1427
; %bb.1422:                             ;   in Loop: Header=BB200_1056 Depth=1
	v_mov_b32_e32 v12, v9
	v_mov_b32_e32 v25, v13
	v_bfe_u32 v10, v6, 24, 7
	s_mov_b32 s15, exec_lo
	v_mov_b32_e32 v24, v12
	v_cmpx_ne_u32_e32 0x7f, v10
	s_cbranch_execz .LBB200_1426
; %bb.1423:                             ;   in Loop: Header=BB200_1056 Depth=1
	v_mov_b32_e32 v7, 7
	s_mov_b32 s18, exec_lo
	v_and_b32_sdwa v8, v6, v7 dst_sel:DWORD dst_unused:UNUSED_PAD src0_sel:BYTE_3 src1_sel:DWORD
	v_lshrrev_b32_e32 v7, 3, v10
	v_cmpx_gt_u32_e32 8, v10
; %bb.1424:                             ;   in Loop: Header=BB200_1056 Depth=1
	v_ffbh_u32_e32 v7, v8
	v_min_u32_e32 v7, 32, v7
	v_subrev_nc_u32_e32 v10, 28, v7
	v_sub_nc_u32_e32 v7, 29, v7
	v_lshlrev_b64 v[24:25], v10, v[8:9]
	v_and_b32_e32 v8, 7, v24
; %bb.1425:                             ;   in Loop: Header=BB200_1056 Depth=1
	s_or_b32 exec_lo, exec_lo, s18
	v_mov_b32_e32 v10, 24
	v_lshlrev_b32_e32 v8, 20, v8
	v_lshl_add_u32 v7, v7, 23, 0x3c000000
	v_mov_b32_e32 v24, v9
	v_lshlrev_b32_sdwa v6, v10, v6 dst_sel:DWORD dst_unused:UNUSED_PAD src0_sel:DWORD src1_sel:BYTE_3
	v_and_b32_e32 v6, 0x80000000, v6
	v_or3_b32 v25, v8, v6, v7
.LBB200_1426:                           ;   in Loop: Header=BB200_1056 Depth=1
	s_or_b32 exec_lo, exec_lo, s15
.LBB200_1427:                           ;   in Loop: Header=BB200_1056 Depth=1
	s_or_b32 exec_lo, exec_lo, s9
.LBB200_1428:                           ;   in Loop: Header=BB200_1056 Depth=1
	s_or_b32 exec_lo, exec_lo, s7
	v_or_b32_e32 v6, v21, v19
	v_or_b32_e32 v7, v20, v18
	;; [unrolled: 1-line block ×4, first 2 shown]
	v_mul_f32_e32 v6, v114, v6
	buffer_store_dword v6, off, s[0:3], s32 offset:520 ; 4-byte Folded Spill
	v_mul_f32_e32 v6, v96, v7
	buffer_store_dword v6, off, s[0:3], s32 offset:528 ; 4-byte Folded Spill
	;; [unrolled: 2-line block ×4, first 2 shown]
	s_and_saveexec_b32 s7, vcc_lo
	s_cbranch_execz .LBB200_1430
; %bb.1429:                             ;   in Loop: Header=BB200_1056 Depth=1
	s_clause 0x1
	buffer_load_dword v6, off, s[0:3], s32 offset:200
	buffer_load_dword v7, off, s[0:3], s32 offset:528
	s_waitcnt vmcnt(1)
	v_cmp_lt_i32_e64 s4, v47, v6
	s_waitcnt vmcnt(0)
	v_cndmask_b32_e64 v7, 0, v7, s4
	v_cmp_lt_i32_e64 s4, v57, v6
	buffer_store_dword v7, off, s[0:3], s32 offset:528 ; 4-byte Folded Spill
	buffer_load_dword v7, off, s[0:3], s32 offset:520 ; 4-byte Folded Reload
	s_waitcnt vmcnt(0)
	v_cndmask_b32_e64 v7, 0, v7, s4
	v_cmp_lt_i32_e64 s4, v56, v6
	buffer_store_dword v7, off, s[0:3], s32 offset:520 ; 4-byte Folded Spill
	buffer_load_dword v7, off, s[0:3], s32 offset:512 ; 4-byte Folded Reload
	s_waitcnt vmcnt(0)
	v_cndmask_b32_e64 v7, 0, v7, s4
	v_cmp_lt_i32_e64 s4, v112, v6
	buffer_load_dword v6, off, s[0:3], s32 offset:504 ; 4-byte Folded Reload
	buffer_store_dword v7, off, s[0:3], s32 offset:512 ; 4-byte Folded Spill
	s_waitcnt vmcnt(0)
	v_cndmask_b32_e64 v6, 0, v6, s4
	buffer_store_dword v6, off, s[0:3], s32 offset:504 ; 4-byte Folded Spill
.LBB200_1430:                           ;   in Loop: Header=BB200_1056 Depth=1
	s_or_b32 exec_lo, exec_lo, s7
	flat_load_dword v6, v[16:17] offset:1408
	v_mov_b32_e32 v20, 0
	v_mov_b32_e32 v18, 0
	;; [unrolled: 1-line block ×4, first 2 shown]
	s_waitcnt vmcnt(0) lgkmcnt(0)
	v_cmp_ne_u16_sdwa s4, v6, v9 src0_sel:BYTE_0 src1_sel:DWORD
	s_and_saveexec_b32 s7, s4
	s_cbranch_execz .LBB200_1438
; %bb.1431:                             ;   in Loop: Header=BB200_1056 Depth=1
	v_bfrev_b32_e32 v18, 1
	v_mov_b32_e32 v19, 0
	v_cmp_ne_u16_sdwa s4, v6, v99 src0_sel:BYTE_0 src1_sel:DWORD
	s_and_saveexec_b32 s9, s4
	s_cbranch_execz .LBB200_1437
; %bb.1432:                             ;   in Loop: Header=BB200_1056 Depth=1
	v_mov_b32_e32 v18, 0x7f800001
	v_and_b32_e32 v10, 0x7f, v6
	v_mov_b32_e32 v19, 0
	s_mov_b32 s15, exec_lo
	v_cmpx_ne_u32_e32 0x7f, v10
	s_cbranch_execz .LBB200_1436
; %bb.1433:                             ;   in Loop: Header=BB200_1056 Depth=1
	v_and_b32_e32 v8, 7, v6
	v_lshrrev_b32_e32 v7, 3, v10
	s_mov_b32 s18, exec_lo
	v_cmpx_gt_u32_e32 8, v10
; %bb.1434:                             ;   in Loop: Header=BB200_1056 Depth=1
	v_ffbh_u32_e32 v7, v8
	v_min_u32_e32 v7, 32, v7
	v_subrev_nc_u32_e32 v10, 28, v7
	v_sub_nc_u32_e32 v7, 29, v7
	v_lshlrev_b64 v[18:19], v10, v[8:9]
	v_and_b32_e32 v8, 7, v18
; %bb.1435:                             ;   in Loop: Header=BB200_1056 Depth=1
	s_or_b32 exec_lo, exec_lo, s18
	v_lshlrev_b32_e32 v10, 24, v6
	v_lshlrev_b32_e32 v8, 20, v8
	v_lshl_add_u32 v7, v7, 23, 0x3c000000
	v_and_b32_e32 v10, 0x80000000, v10
	v_or3_b32 v8, v8, v10, v7
	v_mov_b32_e32 v19, v9
	v_mov_b32_e32 v18, v8
.LBB200_1436:                           ;   in Loop: Header=BB200_1056 Depth=1
	s_or_b32 exec_lo, exec_lo, s15
.LBB200_1437:                           ;   in Loop: Header=BB200_1056 Depth=1
	s_or_b32 exec_lo, exec_lo, s9
.LBB200_1438:                           ;   in Loop: Header=BB200_1056 Depth=1
	s_or_b32 exec_lo, exec_lo, s7
	v_cmp_ne_u16_sdwa s4, v6, v9 src0_sel:BYTE_1 src1_sel:DWORD
	s_and_saveexec_b32 s7, s4
	s_cbranch_execz .LBB200_1446
; %bb.1439:                             ;   in Loop: Header=BB200_1056 Depth=1
	v_mov_b32_e32 v10, v9
	v_mov_b32_e32 v21, v11
	v_cmp_ne_u16_sdwa s4, v6, v99 src0_sel:BYTE_1 src1_sel:DWORD
	v_mov_b32_e32 v20, v10
	s_and_saveexec_b32 s9, s4
	s_cbranch_execz .LBB200_1445
; %bb.1440:                             ;   in Loop: Header=BB200_1056 Depth=1
	v_mov_b32_e32 v7, 0xffff
	v_mov_b32_e32 v12, v9
	;; [unrolled: 1-line block ×3, first 2 shown]
	s_mov_b32 s15, exec_lo
	v_and_b32_sdwa v7, v7, v6 dst_sel:DWORD dst_unused:UNUSED_PAD src0_sel:DWORD src1_sel:BYTE_1
	v_mov_b32_e32 v20, v12
	v_and_b32_e32 v10, 0x7f, v7
	v_cmpx_ne_u32_e32 0x7f, v10
	s_cbranch_execz .LBB200_1444
; %bb.1441:                             ;   in Loop: Header=BB200_1056 Depth=1
	v_and_b32_e32 v8, 7, v7
	v_lshrrev_b32_e32 v7, 3, v10
	s_mov_b32 s18, exec_lo
	v_cmpx_gt_u32_e32 8, v10
; %bb.1442:                             ;   in Loop: Header=BB200_1056 Depth=1
	v_ffbh_u32_e32 v7, v8
	v_min_u32_e32 v7, 32, v7
	v_subrev_nc_u32_e32 v10, 28, v7
	v_sub_nc_u32_e32 v7, 29, v7
	v_lshlrev_b64 v[20:21], v10, v[8:9]
	v_and_b32_e32 v8, 7, v20
; %bb.1443:                             ;   in Loop: Header=BB200_1056 Depth=1
	s_or_b32 exec_lo, exec_lo, s18
	v_lshlrev_b32_e32 v10, 16, v6
	v_lshlrev_b32_e32 v8, 20, v8
	v_lshl_add_u32 v7, v7, 23, 0x3c000000
	v_mov_b32_e32 v20, v9
	v_and_b32_e32 v10, 0x80000000, v10
	v_or3_b32 v21, v8, v10, v7
.LBB200_1444:                           ;   in Loop: Header=BB200_1056 Depth=1
	s_or_b32 exec_lo, exec_lo, s15
.LBB200_1445:                           ;   in Loop: Header=BB200_1056 Depth=1
	s_or_b32 exec_lo, exec_lo, s9
.LBB200_1446:                           ;   in Loop: Header=BB200_1056 Depth=1
	s_or_b32 exec_lo, exec_lo, s7
	v_mov_b32_e32 v24, 0
	v_mov_b32_e32 v22, 0
	v_and_b32_sdwa v7, v6, v101 dst_sel:DWORD dst_unused:UNUSED_PAD src0_sel:WORD_1 src1_sel:DWORD
	v_mov_b32_e32 v25, 0
	v_mov_b32_e32 v23, 0
	s_mov_b32 s7, exec_lo
	v_cmpx_ne_u16_e32 0, v7
	s_cbranch_execz .LBB200_1454
; %bb.1447:                             ;   in Loop: Header=BB200_1056 Depth=1
	v_bfrev_b32_e32 v22, 1
	v_mov_b32_e32 v23, 0
	s_mov_b32 s9, exec_lo
	v_cmpx_ne_u16_e32 0x80, v7
	s_cbranch_execz .LBB200_1453
; %bb.1448:                             ;   in Loop: Header=BB200_1056 Depth=1
	v_mov_b32_e32 v22, 0x7f800001
	v_bfe_u32 v10, v6, 16, 7
	v_mov_b32_e32 v23, 0
	s_mov_b32 s15, exec_lo
	v_cmpx_ne_u32_e32 0x7f, v10
	s_cbranch_execz .LBB200_1452
; %bb.1449:                             ;   in Loop: Header=BB200_1056 Depth=1
	v_mov_b32_e32 v7, 7
	s_mov_b32 s18, exec_lo
	v_and_b32_sdwa v8, v6, v7 dst_sel:DWORD dst_unused:UNUSED_PAD src0_sel:WORD_1 src1_sel:DWORD
	v_lshrrev_b32_e32 v7, 3, v10
	v_cmpx_gt_u32_e32 8, v10
; %bb.1450:                             ;   in Loop: Header=BB200_1056 Depth=1
	v_ffbh_u32_e32 v7, v8
	v_min_u32_e32 v7, 32, v7
	v_subrev_nc_u32_e32 v10, 28, v7
	v_sub_nc_u32_e32 v7, 29, v7
	v_lshlrev_b64 v[22:23], v10, v[8:9]
	v_and_b32_e32 v8, 7, v22
; %bb.1451:                             ;   in Loop: Header=BB200_1056 Depth=1
	s_or_b32 exec_lo, exec_lo, s18
	v_mov_b32_e32 v10, 24
	v_lshlrev_b32_e32 v8, 20, v8
	v_lshl_add_u32 v7, v7, 23, 0x3c000000
	v_lshlrev_b32_sdwa v10, v10, v6 dst_sel:DWORD dst_unused:UNUSED_PAD src0_sel:DWORD src1_sel:WORD_1
	v_and_b32_e32 v10, 0x80000000, v10
	v_or3_b32 v8, v8, v10, v7
	v_mov_b32_e32 v23, v9
	v_mov_b32_e32 v22, v8
.LBB200_1452:                           ;   in Loop: Header=BB200_1056 Depth=1
	s_or_b32 exec_lo, exec_lo, s15
.LBB200_1453:                           ;   in Loop: Header=BB200_1056 Depth=1
	s_or_b32 exec_lo, exec_lo, s9
.LBB200_1454:                           ;   in Loop: Header=BB200_1056 Depth=1
	s_or_b32 exec_lo, exec_lo, s7
	s_mov_b32 s7, exec_lo
	v_cmpx_lt_u32_e32 0xffffff, v6
	s_cbranch_execz .LBB200_1462
; %bb.1455:                             ;   in Loop: Header=BB200_1056 Depth=1
	v_mov_b32_e32 v10, v9
	v_mov_b32_e32 v25, v11
	v_cmp_ne_u32_sdwa s4, v6, v99 src0_sel:BYTE_3 src1_sel:DWORD
	v_mov_b32_e32 v24, v10
	s_and_saveexec_b32 s9, s4
	s_cbranch_execz .LBB200_1461
; %bb.1456:                             ;   in Loop: Header=BB200_1056 Depth=1
	v_mov_b32_e32 v12, v9
	v_mov_b32_e32 v25, v13
	v_bfe_u32 v10, v6, 24, 7
	s_mov_b32 s15, exec_lo
	v_mov_b32_e32 v24, v12
	v_cmpx_ne_u32_e32 0x7f, v10
	s_cbranch_execz .LBB200_1460
; %bb.1457:                             ;   in Loop: Header=BB200_1056 Depth=1
	v_mov_b32_e32 v7, 7
	s_mov_b32 s18, exec_lo
	v_and_b32_sdwa v8, v6, v7 dst_sel:DWORD dst_unused:UNUSED_PAD src0_sel:BYTE_3 src1_sel:DWORD
	v_lshrrev_b32_e32 v7, 3, v10
	v_cmpx_gt_u32_e32 8, v10
; %bb.1458:                             ;   in Loop: Header=BB200_1056 Depth=1
	v_ffbh_u32_e32 v7, v8
	v_min_u32_e32 v7, 32, v7
	v_subrev_nc_u32_e32 v10, 28, v7
	v_sub_nc_u32_e32 v7, 29, v7
	v_lshlrev_b64 v[24:25], v10, v[8:9]
	v_and_b32_e32 v8, 7, v24
; %bb.1459:                             ;   in Loop: Header=BB200_1056 Depth=1
	s_or_b32 exec_lo, exec_lo, s18
	v_mov_b32_e32 v10, 24
	v_lshlrev_b32_e32 v8, 20, v8
	v_lshl_add_u32 v7, v7, 23, 0x3c000000
	v_mov_b32_e32 v24, v9
	v_lshlrev_b32_sdwa v6, v10, v6 dst_sel:DWORD dst_unused:UNUSED_PAD src0_sel:DWORD src1_sel:BYTE_3
	v_and_b32_e32 v6, 0x80000000, v6
	v_or3_b32 v25, v8, v6, v7
.LBB200_1460:                           ;   in Loop: Header=BB200_1056 Depth=1
	s_or_b32 exec_lo, exec_lo, s15
.LBB200_1461:                           ;   in Loop: Header=BB200_1056 Depth=1
	s_or_b32 exec_lo, exec_lo, s9
.LBB200_1462:                           ;   in Loop: Header=BB200_1056 Depth=1
	s_or_b32 exec_lo, exec_lo, s7
	v_or_b32_e32 v6, v21, v19
	v_or_b32_e32 v7, v20, v18
	;; [unrolled: 1-line block ×4, first 2 shown]
	v_mul_f32_e32 v6, v114, v6
	buffer_store_dword v6, off, s[0:3], s32 offset:552 ; 4-byte Folded Spill
	v_mul_f32_e32 v6, v96, v7
	buffer_store_dword v6, off, s[0:3], s32 offset:560 ; 4-byte Folded Spill
	;; [unrolled: 2-line block ×4, first 2 shown]
	s_and_saveexec_b32 s7, vcc_lo
	s_cbranch_execz .LBB200_1464
; %bb.1463:                             ;   in Loop: Header=BB200_1056 Depth=1
	s_clause 0x1
	buffer_load_dword v6, off, s[0:3], s32 offset:200
	buffer_load_dword v7, off, s[0:3], s32 offset:560
	s_waitcnt vmcnt(1)
	v_cmp_lt_i32_e64 s4, v47, v6
	s_waitcnt vmcnt(0)
	v_cndmask_b32_e64 v7, 0, v7, s4
	v_cmp_lt_i32_e64 s4, v57, v6
	buffer_store_dword v7, off, s[0:3], s32 offset:560 ; 4-byte Folded Spill
	buffer_load_dword v7, off, s[0:3], s32 offset:552 ; 4-byte Folded Reload
	s_waitcnt vmcnt(0)
	v_cndmask_b32_e64 v7, 0, v7, s4
	v_cmp_lt_i32_e64 s4, v56, v6
	buffer_store_dword v7, off, s[0:3], s32 offset:552 ; 4-byte Folded Spill
	buffer_load_dword v7, off, s[0:3], s32 offset:544 ; 4-byte Folded Reload
	s_waitcnt vmcnt(0)
	v_cndmask_b32_e64 v7, 0, v7, s4
	v_cmp_lt_i32_e64 s4, v112, v6
	buffer_load_dword v6, off, s[0:3], s32 offset:536 ; 4-byte Folded Reload
	buffer_store_dword v7, off, s[0:3], s32 offset:544 ; 4-byte Folded Spill
	s_waitcnt vmcnt(0)
	v_cndmask_b32_e64 v6, 0, v6, s4
	buffer_store_dword v6, off, s[0:3], s32 offset:536 ; 4-byte Folded Spill
.LBB200_1464:                           ;   in Loop: Header=BB200_1056 Depth=1
	s_or_b32 exec_lo, exec_lo, s7
	flat_load_dword v6, v[16:17] offset:1536
	v_mov_b32_e32 v20, 0
	v_mov_b32_e32 v18, 0
	;; [unrolled: 1-line block ×4, first 2 shown]
	s_waitcnt vmcnt(0) lgkmcnt(0)
	v_cmp_ne_u16_sdwa s4, v6, v9 src0_sel:BYTE_0 src1_sel:DWORD
	s_and_saveexec_b32 s7, s4
	s_cbranch_execz .LBB200_1472
; %bb.1465:                             ;   in Loop: Header=BB200_1056 Depth=1
	v_bfrev_b32_e32 v18, 1
	v_mov_b32_e32 v19, 0
	v_cmp_ne_u16_sdwa s4, v6, v99 src0_sel:BYTE_0 src1_sel:DWORD
	s_and_saveexec_b32 s9, s4
	s_cbranch_execz .LBB200_1471
; %bb.1466:                             ;   in Loop: Header=BB200_1056 Depth=1
	v_mov_b32_e32 v18, 0x7f800001
	v_and_b32_e32 v10, 0x7f, v6
	v_mov_b32_e32 v19, 0
	s_mov_b32 s15, exec_lo
	v_cmpx_ne_u32_e32 0x7f, v10
	s_cbranch_execz .LBB200_1470
; %bb.1467:                             ;   in Loop: Header=BB200_1056 Depth=1
	v_and_b32_e32 v8, 7, v6
	v_lshrrev_b32_e32 v7, 3, v10
	s_mov_b32 s18, exec_lo
	v_cmpx_gt_u32_e32 8, v10
; %bb.1468:                             ;   in Loop: Header=BB200_1056 Depth=1
	v_ffbh_u32_e32 v7, v8
	v_min_u32_e32 v7, 32, v7
	v_subrev_nc_u32_e32 v10, 28, v7
	v_sub_nc_u32_e32 v7, 29, v7
	v_lshlrev_b64 v[18:19], v10, v[8:9]
	v_and_b32_e32 v8, 7, v18
; %bb.1469:                             ;   in Loop: Header=BB200_1056 Depth=1
	s_or_b32 exec_lo, exec_lo, s18
	v_lshlrev_b32_e32 v10, 24, v6
	v_lshlrev_b32_e32 v8, 20, v8
	v_lshl_add_u32 v7, v7, 23, 0x3c000000
	v_and_b32_e32 v10, 0x80000000, v10
	v_or3_b32 v8, v8, v10, v7
	v_mov_b32_e32 v19, v9
	v_mov_b32_e32 v18, v8
.LBB200_1470:                           ;   in Loop: Header=BB200_1056 Depth=1
	s_or_b32 exec_lo, exec_lo, s15
.LBB200_1471:                           ;   in Loop: Header=BB200_1056 Depth=1
	s_or_b32 exec_lo, exec_lo, s9
.LBB200_1472:                           ;   in Loop: Header=BB200_1056 Depth=1
	s_or_b32 exec_lo, exec_lo, s7
	v_cmp_ne_u16_sdwa s4, v6, v9 src0_sel:BYTE_1 src1_sel:DWORD
	s_and_saveexec_b32 s7, s4
	s_cbranch_execz .LBB200_1480
; %bb.1473:                             ;   in Loop: Header=BB200_1056 Depth=1
	v_mov_b32_e32 v10, v9
	v_mov_b32_e32 v21, v11
	v_cmp_ne_u16_sdwa s4, v6, v99 src0_sel:BYTE_1 src1_sel:DWORD
	v_mov_b32_e32 v20, v10
	s_and_saveexec_b32 s9, s4
	s_cbranch_execz .LBB200_1479
; %bb.1474:                             ;   in Loop: Header=BB200_1056 Depth=1
	v_mov_b32_e32 v7, 0xffff
	v_mov_b32_e32 v12, v9
	;; [unrolled: 1-line block ×3, first 2 shown]
	s_mov_b32 s15, exec_lo
	v_and_b32_sdwa v7, v7, v6 dst_sel:DWORD dst_unused:UNUSED_PAD src0_sel:DWORD src1_sel:BYTE_1
	v_mov_b32_e32 v20, v12
	v_and_b32_e32 v10, 0x7f, v7
	v_cmpx_ne_u32_e32 0x7f, v10
	s_cbranch_execz .LBB200_1478
; %bb.1475:                             ;   in Loop: Header=BB200_1056 Depth=1
	v_and_b32_e32 v8, 7, v7
	v_lshrrev_b32_e32 v7, 3, v10
	s_mov_b32 s18, exec_lo
	v_cmpx_gt_u32_e32 8, v10
; %bb.1476:                             ;   in Loop: Header=BB200_1056 Depth=1
	v_ffbh_u32_e32 v7, v8
	v_min_u32_e32 v7, 32, v7
	v_subrev_nc_u32_e32 v10, 28, v7
	v_sub_nc_u32_e32 v7, 29, v7
	v_lshlrev_b64 v[20:21], v10, v[8:9]
	v_and_b32_e32 v8, 7, v20
; %bb.1477:                             ;   in Loop: Header=BB200_1056 Depth=1
	s_or_b32 exec_lo, exec_lo, s18
	v_lshlrev_b32_e32 v10, 16, v6
	v_lshlrev_b32_e32 v8, 20, v8
	v_lshl_add_u32 v7, v7, 23, 0x3c000000
	v_mov_b32_e32 v20, v9
	v_and_b32_e32 v10, 0x80000000, v10
	v_or3_b32 v21, v8, v10, v7
.LBB200_1478:                           ;   in Loop: Header=BB200_1056 Depth=1
	s_or_b32 exec_lo, exec_lo, s15
.LBB200_1479:                           ;   in Loop: Header=BB200_1056 Depth=1
	s_or_b32 exec_lo, exec_lo, s9
.LBB200_1480:                           ;   in Loop: Header=BB200_1056 Depth=1
	s_or_b32 exec_lo, exec_lo, s7
	v_mov_b32_e32 v22, 0
	v_mov_b32_e32 v24, 0
	v_and_b32_sdwa v7, v6, v101 dst_sel:DWORD dst_unused:UNUSED_PAD src0_sel:WORD_1 src1_sel:DWORD
	v_mov_b32_e32 v23, 0
	v_mov_b32_e32 v25, 0
	s_mov_b32 s7, exec_lo
	v_cmpx_ne_u16_e32 0, v7
	s_cbranch_execz .LBB200_1488
; %bb.1481:                             ;   in Loop: Header=BB200_1056 Depth=1
	v_bfrev_b32_e32 v24, 1
	v_mov_b32_e32 v25, 0
	s_mov_b32 s9, exec_lo
	v_cmpx_ne_u16_e32 0x80, v7
	s_cbranch_execz .LBB200_1487
; %bb.1482:                             ;   in Loop: Header=BB200_1056 Depth=1
	v_mov_b32_e32 v24, 0x7f800001
	v_bfe_u32 v10, v6, 16, 7
	v_mov_b32_e32 v25, 0
	s_mov_b32 s15, exec_lo
	v_cmpx_ne_u32_e32 0x7f, v10
	s_cbranch_execz .LBB200_1486
; %bb.1483:                             ;   in Loop: Header=BB200_1056 Depth=1
	v_mov_b32_e32 v7, 7
	s_mov_b32 s18, exec_lo
	v_and_b32_sdwa v8, v6, v7 dst_sel:DWORD dst_unused:UNUSED_PAD src0_sel:WORD_1 src1_sel:DWORD
	v_lshrrev_b32_e32 v7, 3, v10
	v_cmpx_gt_u32_e32 8, v10
; %bb.1484:                             ;   in Loop: Header=BB200_1056 Depth=1
	v_ffbh_u32_e32 v7, v8
	v_min_u32_e32 v7, 32, v7
	v_subrev_nc_u32_e32 v10, 28, v7
	v_sub_nc_u32_e32 v7, 29, v7
	v_lshlrev_b64 v[24:25], v10, v[8:9]
	v_and_b32_e32 v8, 7, v24
; %bb.1485:                             ;   in Loop: Header=BB200_1056 Depth=1
	s_or_b32 exec_lo, exec_lo, s18
	v_mov_b32_e32 v10, 24
	v_lshlrev_b32_e32 v8, 20, v8
	v_lshl_add_u32 v7, v7, 23, 0x3c000000
	v_lshlrev_b32_sdwa v10, v10, v6 dst_sel:DWORD dst_unused:UNUSED_PAD src0_sel:DWORD src1_sel:WORD_1
	v_and_b32_e32 v10, 0x80000000, v10
	v_or3_b32 v8, v8, v10, v7
	v_mov_b32_e32 v25, v9
	v_mov_b32_e32 v24, v8
.LBB200_1486:                           ;   in Loop: Header=BB200_1056 Depth=1
	s_or_b32 exec_lo, exec_lo, s15
.LBB200_1487:                           ;   in Loop: Header=BB200_1056 Depth=1
	s_or_b32 exec_lo, exec_lo, s9
.LBB200_1488:                           ;   in Loop: Header=BB200_1056 Depth=1
	s_or_b32 exec_lo, exec_lo, s7
	s_mov_b32 s7, exec_lo
	v_cmpx_lt_u32_e32 0xffffff, v6
	s_cbranch_execz .LBB200_1496
; %bb.1489:                             ;   in Loop: Header=BB200_1056 Depth=1
	v_mov_b32_e32 v10, v9
	v_mov_b32_e32 v23, v11
	v_cmp_ne_u32_sdwa s4, v6, v99 src0_sel:BYTE_3 src1_sel:DWORD
	v_mov_b32_e32 v22, v10
	s_and_saveexec_b32 s9, s4
	s_cbranch_execz .LBB200_1495
; %bb.1490:                             ;   in Loop: Header=BB200_1056 Depth=1
	v_mov_b32_e32 v12, v9
	v_mov_b32_e32 v23, v13
	v_bfe_u32 v10, v6, 24, 7
	s_mov_b32 s15, exec_lo
	v_mov_b32_e32 v22, v12
	v_cmpx_ne_u32_e32 0x7f, v10
	s_cbranch_execz .LBB200_1494
; %bb.1491:                             ;   in Loop: Header=BB200_1056 Depth=1
	v_mov_b32_e32 v7, 7
	s_mov_b32 s18, exec_lo
	v_and_b32_sdwa v8, v6, v7 dst_sel:DWORD dst_unused:UNUSED_PAD src0_sel:BYTE_3 src1_sel:DWORD
	v_lshrrev_b32_e32 v7, 3, v10
	v_cmpx_gt_u32_e32 8, v10
; %bb.1492:                             ;   in Loop: Header=BB200_1056 Depth=1
	v_ffbh_u32_e32 v7, v8
	v_min_u32_e32 v7, 32, v7
	v_subrev_nc_u32_e32 v10, 28, v7
	v_sub_nc_u32_e32 v7, 29, v7
	v_lshlrev_b64 v[22:23], v10, v[8:9]
	v_and_b32_e32 v8, 7, v22
; %bb.1493:                             ;   in Loop: Header=BB200_1056 Depth=1
	s_or_b32 exec_lo, exec_lo, s18
	v_mov_b32_e32 v10, 24
	v_lshlrev_b32_e32 v8, 20, v8
	v_lshl_add_u32 v7, v7, 23, 0x3c000000
	v_mov_b32_e32 v22, v9
	v_lshlrev_b32_sdwa v6, v10, v6 dst_sel:DWORD dst_unused:UNUSED_PAD src0_sel:DWORD src1_sel:BYTE_3
	v_and_b32_e32 v6, 0x80000000, v6
	v_or3_b32 v23, v8, v6, v7
.LBB200_1494:                           ;   in Loop: Header=BB200_1056 Depth=1
	s_or_b32 exec_lo, exec_lo, s15
.LBB200_1495:                           ;   in Loop: Header=BB200_1056 Depth=1
	s_or_b32 exec_lo, exec_lo, s9
.LBB200_1496:                           ;   in Loop: Header=BB200_1056 Depth=1
	s_or_b32 exec_lo, exec_lo, s7
	v_or_b32_e32 v6, v21, v19
	v_or_b32_e32 v7, v20, v18
	;; [unrolled: 1-line block ×4, first 2 shown]
	v_mul_f32_e32 v6, v114, v6
	buffer_store_dword v6, off, s[0:3], s32 offset:584 ; 4-byte Folded Spill
	v_mul_f32_e32 v6, v96, v7
	buffer_store_dword v6, off, s[0:3], s32 offset:592 ; 4-byte Folded Spill
	;; [unrolled: 2-line block ×4, first 2 shown]
	s_and_saveexec_b32 s7, vcc_lo
	s_cbranch_execz .LBB200_1498
; %bb.1497:                             ;   in Loop: Header=BB200_1056 Depth=1
	s_clause 0x1
	buffer_load_dword v6, off, s[0:3], s32 offset:200
	buffer_load_dword v7, off, s[0:3], s32 offset:592
	s_waitcnt vmcnt(1)
	v_cmp_lt_i32_e64 s4, v47, v6
	s_waitcnt vmcnt(0)
	v_cndmask_b32_e64 v7, 0, v7, s4
	v_cmp_lt_i32_e64 s4, v57, v6
	buffer_store_dword v7, off, s[0:3], s32 offset:592 ; 4-byte Folded Spill
	buffer_load_dword v7, off, s[0:3], s32 offset:584 ; 4-byte Folded Reload
	s_waitcnt vmcnt(0)
	v_cndmask_b32_e64 v7, 0, v7, s4
	v_cmp_lt_i32_e64 s4, v56, v6
	buffer_store_dword v7, off, s[0:3], s32 offset:584 ; 4-byte Folded Spill
	buffer_load_dword v7, off, s[0:3], s32 offset:576 ; 4-byte Folded Reload
	s_waitcnt vmcnt(0)
	v_cndmask_b32_e64 v7, 0, v7, s4
	v_cmp_lt_i32_e64 s4, v112, v6
	buffer_load_dword v6, off, s[0:3], s32 offset:568 ; 4-byte Folded Reload
	buffer_store_dword v7, off, s[0:3], s32 offset:576 ; 4-byte Folded Spill
	s_waitcnt vmcnt(0)
	v_cndmask_b32_e64 v6, 0, v6, s4
	buffer_store_dword v6, off, s[0:3], s32 offset:568 ; 4-byte Folded Spill
.LBB200_1498:                           ;   in Loop: Header=BB200_1056 Depth=1
	s_or_b32 exec_lo, exec_lo, s7
	flat_load_dword v6, v[16:17] offset:1664
	v_mov_b32_e32 v20, 0
	v_mov_b32_e32 v18, 0
	;; [unrolled: 1-line block ×4, first 2 shown]
	s_waitcnt vmcnt(0) lgkmcnt(0)
	v_cmp_ne_u16_sdwa s4, v6, v9 src0_sel:BYTE_0 src1_sel:DWORD
	s_and_saveexec_b32 s7, s4
	s_cbranch_execz .LBB200_1506
; %bb.1499:                             ;   in Loop: Header=BB200_1056 Depth=1
	v_bfrev_b32_e32 v18, 1
	v_mov_b32_e32 v19, 0
	v_cmp_ne_u16_sdwa s4, v6, v99 src0_sel:BYTE_0 src1_sel:DWORD
	s_and_saveexec_b32 s9, s4
	s_cbranch_execz .LBB200_1505
; %bb.1500:                             ;   in Loop: Header=BB200_1056 Depth=1
	v_mov_b32_e32 v18, 0x7f800001
	v_and_b32_e32 v10, 0x7f, v6
	v_mov_b32_e32 v19, 0
	s_mov_b32 s15, exec_lo
	v_cmpx_ne_u32_e32 0x7f, v10
	s_cbranch_execz .LBB200_1504
; %bb.1501:                             ;   in Loop: Header=BB200_1056 Depth=1
	v_and_b32_e32 v8, 7, v6
	v_lshrrev_b32_e32 v7, 3, v10
	s_mov_b32 s18, exec_lo
	v_cmpx_gt_u32_e32 8, v10
; %bb.1502:                             ;   in Loop: Header=BB200_1056 Depth=1
	v_ffbh_u32_e32 v7, v8
	v_min_u32_e32 v7, 32, v7
	v_subrev_nc_u32_e32 v10, 28, v7
	v_sub_nc_u32_e32 v7, 29, v7
	v_lshlrev_b64 v[18:19], v10, v[8:9]
	v_and_b32_e32 v8, 7, v18
; %bb.1503:                             ;   in Loop: Header=BB200_1056 Depth=1
	s_or_b32 exec_lo, exec_lo, s18
	v_lshlrev_b32_e32 v10, 24, v6
	v_lshlrev_b32_e32 v8, 20, v8
	v_lshl_add_u32 v7, v7, 23, 0x3c000000
	v_and_b32_e32 v10, 0x80000000, v10
	v_or3_b32 v8, v8, v10, v7
	v_mov_b32_e32 v19, v9
	v_mov_b32_e32 v18, v8
.LBB200_1504:                           ;   in Loop: Header=BB200_1056 Depth=1
	s_or_b32 exec_lo, exec_lo, s15
.LBB200_1505:                           ;   in Loop: Header=BB200_1056 Depth=1
	s_or_b32 exec_lo, exec_lo, s9
.LBB200_1506:                           ;   in Loop: Header=BB200_1056 Depth=1
	s_or_b32 exec_lo, exec_lo, s7
	v_cmp_ne_u16_sdwa s4, v6, v9 src0_sel:BYTE_1 src1_sel:DWORD
	s_and_saveexec_b32 s7, s4
	s_cbranch_execz .LBB200_1514
; %bb.1507:                             ;   in Loop: Header=BB200_1056 Depth=1
	v_mov_b32_e32 v10, v9
	v_mov_b32_e32 v21, v11
	v_cmp_ne_u16_sdwa s4, v6, v99 src0_sel:BYTE_1 src1_sel:DWORD
	v_mov_b32_e32 v20, v10
	s_and_saveexec_b32 s9, s4
	s_cbranch_execz .LBB200_1513
; %bb.1508:                             ;   in Loop: Header=BB200_1056 Depth=1
	v_mov_b32_e32 v7, 0xffff
	v_mov_b32_e32 v12, v9
	;; [unrolled: 1-line block ×3, first 2 shown]
	s_mov_b32 s15, exec_lo
	v_and_b32_sdwa v7, v7, v6 dst_sel:DWORD dst_unused:UNUSED_PAD src0_sel:DWORD src1_sel:BYTE_1
	v_mov_b32_e32 v20, v12
	v_and_b32_e32 v10, 0x7f, v7
	v_cmpx_ne_u32_e32 0x7f, v10
	s_cbranch_execz .LBB200_1512
; %bb.1509:                             ;   in Loop: Header=BB200_1056 Depth=1
	v_and_b32_e32 v8, 7, v7
	v_lshrrev_b32_e32 v7, 3, v10
	s_mov_b32 s18, exec_lo
	v_cmpx_gt_u32_e32 8, v10
; %bb.1510:                             ;   in Loop: Header=BB200_1056 Depth=1
	v_ffbh_u32_e32 v7, v8
	v_min_u32_e32 v7, 32, v7
	v_subrev_nc_u32_e32 v10, 28, v7
	v_sub_nc_u32_e32 v7, 29, v7
	v_lshlrev_b64 v[20:21], v10, v[8:9]
	v_and_b32_e32 v8, 7, v20
; %bb.1511:                             ;   in Loop: Header=BB200_1056 Depth=1
	s_or_b32 exec_lo, exec_lo, s18
	v_lshlrev_b32_e32 v10, 16, v6
	v_lshlrev_b32_e32 v8, 20, v8
	v_lshl_add_u32 v7, v7, 23, 0x3c000000
	v_mov_b32_e32 v20, v9
	v_and_b32_e32 v10, 0x80000000, v10
	v_or3_b32 v21, v8, v10, v7
.LBB200_1512:                           ;   in Loop: Header=BB200_1056 Depth=1
	s_or_b32 exec_lo, exec_lo, s15
.LBB200_1513:                           ;   in Loop: Header=BB200_1056 Depth=1
	s_or_b32 exec_lo, exec_lo, s9
.LBB200_1514:                           ;   in Loop: Header=BB200_1056 Depth=1
	s_or_b32 exec_lo, exec_lo, s7
	v_mov_b32_e32 v22, 0
	v_mov_b32_e32 v24, 0
	v_and_b32_sdwa v7, v6, v101 dst_sel:DWORD dst_unused:UNUSED_PAD src0_sel:WORD_1 src1_sel:DWORD
	v_mov_b32_e32 v23, 0
	v_mov_b32_e32 v25, 0
	s_mov_b32 s7, exec_lo
	v_cmpx_ne_u16_e32 0, v7
	s_cbranch_execz .LBB200_1522
; %bb.1515:                             ;   in Loop: Header=BB200_1056 Depth=1
	v_bfrev_b32_e32 v24, 1
	v_mov_b32_e32 v25, 0
	s_mov_b32 s9, exec_lo
	v_cmpx_ne_u16_e32 0x80, v7
	s_cbranch_execz .LBB200_1521
; %bb.1516:                             ;   in Loop: Header=BB200_1056 Depth=1
	v_mov_b32_e32 v24, 0x7f800001
	v_bfe_u32 v10, v6, 16, 7
	v_mov_b32_e32 v25, 0
	s_mov_b32 s15, exec_lo
	v_cmpx_ne_u32_e32 0x7f, v10
	s_cbranch_execz .LBB200_1520
; %bb.1517:                             ;   in Loop: Header=BB200_1056 Depth=1
	v_mov_b32_e32 v7, 7
	s_mov_b32 s18, exec_lo
	v_and_b32_sdwa v8, v6, v7 dst_sel:DWORD dst_unused:UNUSED_PAD src0_sel:WORD_1 src1_sel:DWORD
	v_lshrrev_b32_e32 v7, 3, v10
	v_cmpx_gt_u32_e32 8, v10
; %bb.1518:                             ;   in Loop: Header=BB200_1056 Depth=1
	v_ffbh_u32_e32 v7, v8
	v_min_u32_e32 v7, 32, v7
	v_subrev_nc_u32_e32 v10, 28, v7
	v_sub_nc_u32_e32 v7, 29, v7
	v_lshlrev_b64 v[24:25], v10, v[8:9]
	v_and_b32_e32 v8, 7, v24
; %bb.1519:                             ;   in Loop: Header=BB200_1056 Depth=1
	s_or_b32 exec_lo, exec_lo, s18
	v_mov_b32_e32 v10, 24
	v_lshlrev_b32_e32 v8, 20, v8
	v_lshl_add_u32 v7, v7, 23, 0x3c000000
	v_lshlrev_b32_sdwa v10, v10, v6 dst_sel:DWORD dst_unused:UNUSED_PAD src0_sel:DWORD src1_sel:WORD_1
	v_and_b32_e32 v10, 0x80000000, v10
	v_or3_b32 v8, v8, v10, v7
	v_mov_b32_e32 v25, v9
	v_mov_b32_e32 v24, v8
.LBB200_1520:                           ;   in Loop: Header=BB200_1056 Depth=1
	s_or_b32 exec_lo, exec_lo, s15
.LBB200_1521:                           ;   in Loop: Header=BB200_1056 Depth=1
	s_or_b32 exec_lo, exec_lo, s9
.LBB200_1522:                           ;   in Loop: Header=BB200_1056 Depth=1
	s_or_b32 exec_lo, exec_lo, s7
	s_mov_b32 s7, exec_lo
	v_cmpx_lt_u32_e32 0xffffff, v6
	s_cbranch_execz .LBB200_1530
; %bb.1523:                             ;   in Loop: Header=BB200_1056 Depth=1
	v_mov_b32_e32 v10, v9
	v_mov_b32_e32 v23, v11
	v_cmp_ne_u32_sdwa s4, v6, v99 src0_sel:BYTE_3 src1_sel:DWORD
	v_mov_b32_e32 v22, v10
	s_and_saveexec_b32 s9, s4
	s_cbranch_execz .LBB200_1529
; %bb.1524:                             ;   in Loop: Header=BB200_1056 Depth=1
	v_mov_b32_e32 v12, v9
	v_mov_b32_e32 v23, v13
	v_bfe_u32 v10, v6, 24, 7
	s_mov_b32 s15, exec_lo
	v_mov_b32_e32 v22, v12
	v_cmpx_ne_u32_e32 0x7f, v10
	s_cbranch_execz .LBB200_1528
; %bb.1525:                             ;   in Loop: Header=BB200_1056 Depth=1
	v_mov_b32_e32 v7, 7
	s_mov_b32 s18, exec_lo
	v_and_b32_sdwa v8, v6, v7 dst_sel:DWORD dst_unused:UNUSED_PAD src0_sel:BYTE_3 src1_sel:DWORD
	v_lshrrev_b32_e32 v7, 3, v10
	v_cmpx_gt_u32_e32 8, v10
; %bb.1526:                             ;   in Loop: Header=BB200_1056 Depth=1
	v_ffbh_u32_e32 v7, v8
	v_min_u32_e32 v7, 32, v7
	v_subrev_nc_u32_e32 v10, 28, v7
	v_sub_nc_u32_e32 v7, 29, v7
	v_lshlrev_b64 v[22:23], v10, v[8:9]
	v_and_b32_e32 v8, 7, v22
; %bb.1527:                             ;   in Loop: Header=BB200_1056 Depth=1
	s_or_b32 exec_lo, exec_lo, s18
	v_mov_b32_e32 v10, 24
	v_lshlrev_b32_e32 v8, 20, v8
	v_lshl_add_u32 v7, v7, 23, 0x3c000000
	v_mov_b32_e32 v22, v9
	v_lshlrev_b32_sdwa v6, v10, v6 dst_sel:DWORD dst_unused:UNUSED_PAD src0_sel:DWORD src1_sel:BYTE_3
	v_and_b32_e32 v6, 0x80000000, v6
	v_or3_b32 v23, v8, v6, v7
.LBB200_1528:                           ;   in Loop: Header=BB200_1056 Depth=1
	s_or_b32 exec_lo, exec_lo, s15
.LBB200_1529:                           ;   in Loop: Header=BB200_1056 Depth=1
	s_or_b32 exec_lo, exec_lo, s9
.LBB200_1530:                           ;   in Loop: Header=BB200_1056 Depth=1
	s_or_b32 exec_lo, exec_lo, s7
	v_or_b32_e32 v6, v21, v19
	v_or_b32_e32 v7, v20, v18
	;; [unrolled: 1-line block ×4, first 2 shown]
	v_mul_f32_e32 v6, v114, v6
	buffer_store_dword v6, off, s[0:3], s32 offset:624 ; 4-byte Folded Spill
	v_mul_f32_e32 v6, v96, v7
	buffer_store_dword v6, off, s[0:3], s32 offset:616 ; 4-byte Folded Spill
	;; [unrolled: 2-line block ×4, first 2 shown]
	s_and_saveexec_b32 s7, vcc_lo
	s_cbranch_execz .LBB200_1532
; %bb.1531:                             ;   in Loop: Header=BB200_1056 Depth=1
	s_clause 0x1
	buffer_load_dword v6, off, s[0:3], s32 offset:200
	buffer_load_dword v7, off, s[0:3], s32 offset:616
	s_waitcnt vmcnt(1)
	v_cmp_lt_i32_e64 s4, v47, v6
	s_waitcnt vmcnt(0)
	v_cndmask_b32_e64 v7, 0, v7, s4
	v_cmp_lt_i32_e64 s4, v57, v6
	buffer_store_dword v7, off, s[0:3], s32 offset:616 ; 4-byte Folded Spill
	buffer_load_dword v7, off, s[0:3], s32 offset:624 ; 4-byte Folded Reload
	s_waitcnt vmcnt(0)
	v_cndmask_b32_e64 v7, 0, v7, s4
	v_cmp_lt_i32_e64 s4, v56, v6
	buffer_store_dword v7, off, s[0:3], s32 offset:624 ; 4-byte Folded Spill
	buffer_load_dword v7, off, s[0:3], s32 offset:608 ; 4-byte Folded Reload
	s_waitcnt vmcnt(0)
	v_cndmask_b32_e64 v7, 0, v7, s4
	v_cmp_lt_i32_e64 s4, v112, v6
	buffer_load_dword v6, off, s[0:3], s32 offset:600 ; 4-byte Folded Reload
	buffer_store_dword v7, off, s[0:3], s32 offset:608 ; 4-byte Folded Spill
	s_waitcnt vmcnt(0)
	v_cndmask_b32_e64 v6, 0, v6, s4
	buffer_store_dword v6, off, s[0:3], s32 offset:600 ; 4-byte Folded Spill
.LBB200_1532:                           ;   in Loop: Header=BB200_1056 Depth=1
	s_or_b32 exec_lo, exec_lo, s7
	flat_load_dword v6, v[16:17] offset:1792
	v_mov_b32_e32 v20, 0
	v_mov_b32_e32 v18, 0
	;; [unrolled: 1-line block ×4, first 2 shown]
	s_waitcnt vmcnt(0) lgkmcnt(0)
	v_cmp_ne_u16_sdwa s4, v6, v9 src0_sel:BYTE_0 src1_sel:DWORD
	s_and_saveexec_b32 s7, s4
	s_cbranch_execz .LBB200_1540
; %bb.1533:                             ;   in Loop: Header=BB200_1056 Depth=1
	v_bfrev_b32_e32 v18, 1
	v_mov_b32_e32 v19, 0
	v_cmp_ne_u16_sdwa s4, v6, v99 src0_sel:BYTE_0 src1_sel:DWORD
	s_and_saveexec_b32 s9, s4
	s_cbranch_execz .LBB200_1539
; %bb.1534:                             ;   in Loop: Header=BB200_1056 Depth=1
	v_mov_b32_e32 v18, 0x7f800001
	v_and_b32_e32 v10, 0x7f, v6
	v_mov_b32_e32 v19, 0
	s_mov_b32 s15, exec_lo
	v_cmpx_ne_u32_e32 0x7f, v10
	s_cbranch_execz .LBB200_1538
; %bb.1535:                             ;   in Loop: Header=BB200_1056 Depth=1
	v_and_b32_e32 v8, 7, v6
	v_lshrrev_b32_e32 v7, 3, v10
	s_mov_b32 s18, exec_lo
	v_cmpx_gt_u32_e32 8, v10
; %bb.1536:                             ;   in Loop: Header=BB200_1056 Depth=1
	v_ffbh_u32_e32 v7, v8
	v_min_u32_e32 v7, 32, v7
	v_subrev_nc_u32_e32 v10, 28, v7
	v_sub_nc_u32_e32 v7, 29, v7
	v_lshlrev_b64 v[18:19], v10, v[8:9]
	v_and_b32_e32 v8, 7, v18
; %bb.1537:                             ;   in Loop: Header=BB200_1056 Depth=1
	s_or_b32 exec_lo, exec_lo, s18
	v_lshlrev_b32_e32 v10, 24, v6
	v_lshlrev_b32_e32 v8, 20, v8
	v_lshl_add_u32 v7, v7, 23, 0x3c000000
	v_and_b32_e32 v10, 0x80000000, v10
	v_or3_b32 v8, v8, v10, v7
	v_mov_b32_e32 v19, v9
	v_mov_b32_e32 v18, v8
.LBB200_1538:                           ;   in Loop: Header=BB200_1056 Depth=1
	s_or_b32 exec_lo, exec_lo, s15
.LBB200_1539:                           ;   in Loop: Header=BB200_1056 Depth=1
	s_or_b32 exec_lo, exec_lo, s9
.LBB200_1540:                           ;   in Loop: Header=BB200_1056 Depth=1
	s_or_b32 exec_lo, exec_lo, s7
	v_cmp_ne_u16_sdwa s4, v6, v9 src0_sel:BYTE_1 src1_sel:DWORD
	s_and_saveexec_b32 s7, s4
	s_cbranch_execz .LBB200_1548
; %bb.1541:                             ;   in Loop: Header=BB200_1056 Depth=1
	v_mov_b32_e32 v10, v9
	v_mov_b32_e32 v21, v11
	v_cmp_ne_u16_sdwa s4, v6, v99 src0_sel:BYTE_1 src1_sel:DWORD
	v_mov_b32_e32 v20, v10
	s_and_saveexec_b32 s9, s4
	s_cbranch_execz .LBB200_1547
; %bb.1542:                             ;   in Loop: Header=BB200_1056 Depth=1
	v_mov_b32_e32 v7, 0xffff
	v_mov_b32_e32 v12, v9
	;; [unrolled: 1-line block ×3, first 2 shown]
	s_mov_b32 s15, exec_lo
	v_and_b32_sdwa v7, v7, v6 dst_sel:DWORD dst_unused:UNUSED_PAD src0_sel:DWORD src1_sel:BYTE_1
	v_mov_b32_e32 v20, v12
	v_and_b32_e32 v10, 0x7f, v7
	v_cmpx_ne_u32_e32 0x7f, v10
	s_cbranch_execz .LBB200_1546
; %bb.1543:                             ;   in Loop: Header=BB200_1056 Depth=1
	v_and_b32_e32 v8, 7, v7
	v_lshrrev_b32_e32 v7, 3, v10
	s_mov_b32 s18, exec_lo
	v_cmpx_gt_u32_e32 8, v10
; %bb.1544:                             ;   in Loop: Header=BB200_1056 Depth=1
	v_ffbh_u32_e32 v7, v8
	v_min_u32_e32 v7, 32, v7
	v_subrev_nc_u32_e32 v10, 28, v7
	v_sub_nc_u32_e32 v7, 29, v7
	v_lshlrev_b64 v[20:21], v10, v[8:9]
	v_and_b32_e32 v8, 7, v20
; %bb.1545:                             ;   in Loop: Header=BB200_1056 Depth=1
	s_or_b32 exec_lo, exec_lo, s18
	v_lshlrev_b32_e32 v10, 16, v6
	v_lshlrev_b32_e32 v8, 20, v8
	v_lshl_add_u32 v7, v7, 23, 0x3c000000
	v_mov_b32_e32 v20, v9
	v_and_b32_e32 v10, 0x80000000, v10
	v_or3_b32 v21, v8, v10, v7
.LBB200_1546:                           ;   in Loop: Header=BB200_1056 Depth=1
	s_or_b32 exec_lo, exec_lo, s15
.LBB200_1547:                           ;   in Loop: Header=BB200_1056 Depth=1
	s_or_b32 exec_lo, exec_lo, s9
.LBB200_1548:                           ;   in Loop: Header=BB200_1056 Depth=1
	s_or_b32 exec_lo, exec_lo, s7
	v_mov_b32_e32 v22, 0
	v_mov_b32_e32 v24, 0
	v_and_b32_sdwa v7, v6, v101 dst_sel:DWORD dst_unused:UNUSED_PAD src0_sel:WORD_1 src1_sel:DWORD
	v_mov_b32_e32 v23, 0
	v_mov_b32_e32 v25, 0
	s_mov_b32 s7, exec_lo
	v_cmpx_ne_u16_e32 0, v7
	s_cbranch_execz .LBB200_1556
; %bb.1549:                             ;   in Loop: Header=BB200_1056 Depth=1
	v_bfrev_b32_e32 v24, 1
	v_mov_b32_e32 v25, 0
	s_mov_b32 s9, exec_lo
	v_cmpx_ne_u16_e32 0x80, v7
	s_cbranch_execz .LBB200_1555
; %bb.1550:                             ;   in Loop: Header=BB200_1056 Depth=1
	v_mov_b32_e32 v24, 0x7f800001
	v_bfe_u32 v10, v6, 16, 7
	v_mov_b32_e32 v25, 0
	s_mov_b32 s15, exec_lo
	v_cmpx_ne_u32_e32 0x7f, v10
	s_cbranch_execz .LBB200_1554
; %bb.1551:                             ;   in Loop: Header=BB200_1056 Depth=1
	v_mov_b32_e32 v7, 7
	s_mov_b32 s18, exec_lo
	v_and_b32_sdwa v8, v6, v7 dst_sel:DWORD dst_unused:UNUSED_PAD src0_sel:WORD_1 src1_sel:DWORD
	v_lshrrev_b32_e32 v7, 3, v10
	v_cmpx_gt_u32_e32 8, v10
; %bb.1552:                             ;   in Loop: Header=BB200_1056 Depth=1
	v_ffbh_u32_e32 v7, v8
	v_min_u32_e32 v7, 32, v7
	v_subrev_nc_u32_e32 v10, 28, v7
	v_sub_nc_u32_e32 v7, 29, v7
	v_lshlrev_b64 v[24:25], v10, v[8:9]
	v_and_b32_e32 v8, 7, v24
; %bb.1553:                             ;   in Loop: Header=BB200_1056 Depth=1
	s_or_b32 exec_lo, exec_lo, s18
	v_mov_b32_e32 v10, 24
	v_lshlrev_b32_e32 v8, 20, v8
	v_lshl_add_u32 v7, v7, 23, 0x3c000000
	v_lshlrev_b32_sdwa v10, v10, v6 dst_sel:DWORD dst_unused:UNUSED_PAD src0_sel:DWORD src1_sel:WORD_1
	v_and_b32_e32 v10, 0x80000000, v10
	v_or3_b32 v8, v8, v10, v7
	v_mov_b32_e32 v25, v9
	v_mov_b32_e32 v24, v8
.LBB200_1554:                           ;   in Loop: Header=BB200_1056 Depth=1
	s_or_b32 exec_lo, exec_lo, s15
.LBB200_1555:                           ;   in Loop: Header=BB200_1056 Depth=1
	s_or_b32 exec_lo, exec_lo, s9
.LBB200_1556:                           ;   in Loop: Header=BB200_1056 Depth=1
	s_or_b32 exec_lo, exec_lo, s7
	s_mov_b32 s7, exec_lo
	v_cmpx_lt_u32_e32 0xffffff, v6
	s_cbranch_execz .LBB200_1564
; %bb.1557:                             ;   in Loop: Header=BB200_1056 Depth=1
	v_mov_b32_e32 v10, v9
	v_mov_b32_e32 v23, v11
	v_cmp_ne_u32_sdwa s4, v6, v99 src0_sel:BYTE_3 src1_sel:DWORD
	v_mov_b32_e32 v22, v10
	s_and_saveexec_b32 s9, s4
	s_cbranch_execz .LBB200_1563
; %bb.1558:                             ;   in Loop: Header=BB200_1056 Depth=1
	v_mov_b32_e32 v12, v9
	v_mov_b32_e32 v23, v13
	v_bfe_u32 v10, v6, 24, 7
	s_mov_b32 s15, exec_lo
	v_mov_b32_e32 v22, v12
	v_cmpx_ne_u32_e32 0x7f, v10
	s_cbranch_execz .LBB200_1562
; %bb.1559:                             ;   in Loop: Header=BB200_1056 Depth=1
	v_mov_b32_e32 v7, 7
	s_mov_b32 s18, exec_lo
	v_and_b32_sdwa v8, v6, v7 dst_sel:DWORD dst_unused:UNUSED_PAD src0_sel:BYTE_3 src1_sel:DWORD
	v_lshrrev_b32_e32 v7, 3, v10
	v_cmpx_gt_u32_e32 8, v10
; %bb.1560:                             ;   in Loop: Header=BB200_1056 Depth=1
	v_ffbh_u32_e32 v7, v8
	v_min_u32_e32 v7, 32, v7
	v_subrev_nc_u32_e32 v10, 28, v7
	v_sub_nc_u32_e32 v7, 29, v7
	v_lshlrev_b64 v[22:23], v10, v[8:9]
	v_and_b32_e32 v8, 7, v22
; %bb.1561:                             ;   in Loop: Header=BB200_1056 Depth=1
	s_or_b32 exec_lo, exec_lo, s18
	v_mov_b32_e32 v10, 24
	v_lshlrev_b32_e32 v8, 20, v8
	v_lshl_add_u32 v7, v7, 23, 0x3c000000
	v_mov_b32_e32 v22, v9
	v_lshlrev_b32_sdwa v6, v10, v6 dst_sel:DWORD dst_unused:UNUSED_PAD src0_sel:DWORD src1_sel:BYTE_3
	v_and_b32_e32 v6, 0x80000000, v6
	v_or3_b32 v23, v8, v6, v7
.LBB200_1562:                           ;   in Loop: Header=BB200_1056 Depth=1
	s_or_b32 exec_lo, exec_lo, s15
.LBB200_1563:                           ;   in Loop: Header=BB200_1056 Depth=1
	s_or_b32 exec_lo, exec_lo, s9
.LBB200_1564:                           ;   in Loop: Header=BB200_1056 Depth=1
	s_or_b32 exec_lo, exec_lo, s7
	v_or_b32_e32 v6, v21, v19
	v_or_b32_e32 v7, v20, v18
	;; [unrolled: 1-line block ×4, first 2 shown]
	v_mul_f32_e32 v6, v114, v6
	buffer_store_dword v6, off, s[0:3], s32 offset:656 ; 4-byte Folded Spill
	v_mul_f32_e32 v6, v96, v7
	buffer_store_dword v6, off, s[0:3], s32 offset:648 ; 4-byte Folded Spill
	v_mul_f32_e32 v6, v96, v8
	buffer_store_dword v6, off, s[0:3], s32 offset:640 ; 4-byte Folded Spill
	v_mul_f32_e32 v6, v114, v10
	buffer_store_dword v6, off, s[0:3], s32 offset:632 ; 4-byte Folded Spill
	s_and_saveexec_b32 s7, vcc_lo
	s_cbranch_execz .LBB200_1566
; %bb.1565:                             ;   in Loop: Header=BB200_1056 Depth=1
	s_clause 0x1
	buffer_load_dword v6, off, s[0:3], s32 offset:200
	buffer_load_dword v7, off, s[0:3], s32 offset:648
	s_waitcnt vmcnt(1)
	v_cmp_lt_i32_e64 s4, v47, v6
	s_waitcnt vmcnt(0)
	v_cndmask_b32_e64 v7, 0, v7, s4
	v_cmp_lt_i32_e64 s4, v57, v6
	buffer_store_dword v7, off, s[0:3], s32 offset:648 ; 4-byte Folded Spill
	buffer_load_dword v7, off, s[0:3], s32 offset:656 ; 4-byte Folded Reload
	s_waitcnt vmcnt(0)
	v_cndmask_b32_e64 v7, 0, v7, s4
	v_cmp_lt_i32_e64 s4, v56, v6
	buffer_store_dword v7, off, s[0:3], s32 offset:656 ; 4-byte Folded Spill
	buffer_load_dword v7, off, s[0:3], s32 offset:640 ; 4-byte Folded Reload
	s_waitcnt vmcnt(0)
	v_cndmask_b32_e64 v7, 0, v7, s4
	v_cmp_lt_i32_e64 s4, v112, v6
	buffer_load_dword v6, off, s[0:3], s32 offset:632 ; 4-byte Folded Reload
	buffer_store_dword v7, off, s[0:3], s32 offset:640 ; 4-byte Folded Spill
	s_waitcnt vmcnt(0)
	v_cndmask_b32_e64 v6, 0, v6, s4
	buffer_store_dword v6, off, s[0:3], s32 offset:632 ; 4-byte Folded Spill
.LBB200_1566:                           ;   in Loop: Header=BB200_1056 Depth=1
	s_or_b32 exec_lo, exec_lo, s7
	flat_load_dword v6, v[16:17] offset:1920
	v_mov_b32_e32 v20, 0
	v_mov_b32_e32 v18, 0
	v_mov_b32_e32 v21, 0
	v_mov_b32_e32 v19, 0
	s_waitcnt vmcnt(0) lgkmcnt(0)
	v_cmp_ne_u16_sdwa s4, v6, v9 src0_sel:BYTE_0 src1_sel:DWORD
	s_and_saveexec_b32 s7, s4
	s_cbranch_execz .LBB200_1574
; %bb.1567:                             ;   in Loop: Header=BB200_1056 Depth=1
	v_bfrev_b32_e32 v18, 1
	v_mov_b32_e32 v19, 0
	v_cmp_ne_u16_sdwa s4, v6, v99 src0_sel:BYTE_0 src1_sel:DWORD
	s_and_saveexec_b32 s9, s4
	s_cbranch_execz .LBB200_1573
; %bb.1568:                             ;   in Loop: Header=BB200_1056 Depth=1
	v_mov_b32_e32 v18, 0x7f800001
	v_and_b32_e32 v10, 0x7f, v6
	v_mov_b32_e32 v19, 0
	s_mov_b32 s15, exec_lo
	v_cmpx_ne_u32_e32 0x7f, v10
	s_cbranch_execz .LBB200_1572
; %bb.1569:                             ;   in Loop: Header=BB200_1056 Depth=1
	v_and_b32_e32 v8, 7, v6
	v_lshrrev_b32_e32 v7, 3, v10
	s_mov_b32 s18, exec_lo
	v_cmpx_gt_u32_e32 8, v10
; %bb.1570:                             ;   in Loop: Header=BB200_1056 Depth=1
	v_ffbh_u32_e32 v7, v8
	v_min_u32_e32 v7, 32, v7
	v_subrev_nc_u32_e32 v10, 28, v7
	v_sub_nc_u32_e32 v7, 29, v7
	v_lshlrev_b64 v[18:19], v10, v[8:9]
	v_and_b32_e32 v8, 7, v18
; %bb.1571:                             ;   in Loop: Header=BB200_1056 Depth=1
	s_or_b32 exec_lo, exec_lo, s18
	v_lshlrev_b32_e32 v10, 24, v6
	v_lshlrev_b32_e32 v8, 20, v8
	v_lshl_add_u32 v7, v7, 23, 0x3c000000
	v_and_b32_e32 v10, 0x80000000, v10
	v_or3_b32 v8, v8, v10, v7
	v_mov_b32_e32 v19, v9
	v_mov_b32_e32 v18, v8
.LBB200_1572:                           ;   in Loop: Header=BB200_1056 Depth=1
	s_or_b32 exec_lo, exec_lo, s15
.LBB200_1573:                           ;   in Loop: Header=BB200_1056 Depth=1
	s_or_b32 exec_lo, exec_lo, s9
.LBB200_1574:                           ;   in Loop: Header=BB200_1056 Depth=1
	s_or_b32 exec_lo, exec_lo, s7
	v_cmp_ne_u16_sdwa s4, v6, v9 src0_sel:BYTE_1 src1_sel:DWORD
	s_and_saveexec_b32 s7, s4
	s_cbranch_execz .LBB200_1582
; %bb.1575:                             ;   in Loop: Header=BB200_1056 Depth=1
	v_mov_b32_e32 v10, v9
	v_mov_b32_e32 v21, v11
	v_cmp_ne_u16_sdwa s4, v6, v99 src0_sel:BYTE_1 src1_sel:DWORD
	v_mov_b32_e32 v20, v10
	s_and_saveexec_b32 s9, s4
	s_cbranch_execz .LBB200_1581
; %bb.1576:                             ;   in Loop: Header=BB200_1056 Depth=1
	v_mov_b32_e32 v7, 0xffff
	v_mov_b32_e32 v12, v9
	;; [unrolled: 1-line block ×3, first 2 shown]
	s_mov_b32 s15, exec_lo
	v_and_b32_sdwa v7, v7, v6 dst_sel:DWORD dst_unused:UNUSED_PAD src0_sel:DWORD src1_sel:BYTE_1
	v_mov_b32_e32 v20, v12
	v_and_b32_e32 v10, 0x7f, v7
	v_cmpx_ne_u32_e32 0x7f, v10
	s_cbranch_execz .LBB200_1580
; %bb.1577:                             ;   in Loop: Header=BB200_1056 Depth=1
	v_and_b32_e32 v8, 7, v7
	v_lshrrev_b32_e32 v7, 3, v10
	s_mov_b32 s18, exec_lo
	v_cmpx_gt_u32_e32 8, v10
; %bb.1578:                             ;   in Loop: Header=BB200_1056 Depth=1
	v_ffbh_u32_e32 v7, v8
	v_min_u32_e32 v7, 32, v7
	v_subrev_nc_u32_e32 v10, 28, v7
	v_sub_nc_u32_e32 v7, 29, v7
	v_lshlrev_b64 v[20:21], v10, v[8:9]
	v_and_b32_e32 v8, 7, v20
; %bb.1579:                             ;   in Loop: Header=BB200_1056 Depth=1
	s_or_b32 exec_lo, exec_lo, s18
	v_lshlrev_b32_e32 v10, 16, v6
	v_lshlrev_b32_e32 v8, 20, v8
	v_lshl_add_u32 v7, v7, 23, 0x3c000000
	v_mov_b32_e32 v20, v9
	v_and_b32_e32 v10, 0x80000000, v10
	v_or3_b32 v21, v8, v10, v7
.LBB200_1580:                           ;   in Loop: Header=BB200_1056 Depth=1
	s_or_b32 exec_lo, exec_lo, s15
.LBB200_1581:                           ;   in Loop: Header=BB200_1056 Depth=1
	s_or_b32 exec_lo, exec_lo, s9
.LBB200_1582:                           ;   in Loop: Header=BB200_1056 Depth=1
	s_or_b32 exec_lo, exec_lo, s7
	v_mov_b32_e32 v22, 0
	v_mov_b32_e32 v24, 0
	v_and_b32_sdwa v7, v6, v101 dst_sel:DWORD dst_unused:UNUSED_PAD src0_sel:WORD_1 src1_sel:DWORD
	v_mov_b32_e32 v23, 0
	v_mov_b32_e32 v25, 0
	s_mov_b32 s7, exec_lo
	v_cmpx_ne_u16_e32 0, v7
	s_cbranch_execz .LBB200_1590
; %bb.1583:                             ;   in Loop: Header=BB200_1056 Depth=1
	v_bfrev_b32_e32 v24, 1
	v_mov_b32_e32 v25, 0
	s_mov_b32 s9, exec_lo
	v_cmpx_ne_u16_e32 0x80, v7
	s_cbranch_execz .LBB200_1589
; %bb.1584:                             ;   in Loop: Header=BB200_1056 Depth=1
	v_mov_b32_e32 v24, 0x7f800001
	v_bfe_u32 v10, v6, 16, 7
	v_mov_b32_e32 v25, 0
	s_mov_b32 s15, exec_lo
	v_cmpx_ne_u32_e32 0x7f, v10
	s_cbranch_execz .LBB200_1588
; %bb.1585:                             ;   in Loop: Header=BB200_1056 Depth=1
	v_mov_b32_e32 v7, 7
	s_mov_b32 s18, exec_lo
	v_and_b32_sdwa v8, v6, v7 dst_sel:DWORD dst_unused:UNUSED_PAD src0_sel:WORD_1 src1_sel:DWORD
	v_lshrrev_b32_e32 v7, 3, v10
	v_cmpx_gt_u32_e32 8, v10
; %bb.1586:                             ;   in Loop: Header=BB200_1056 Depth=1
	v_ffbh_u32_e32 v7, v8
	v_min_u32_e32 v7, 32, v7
	v_subrev_nc_u32_e32 v10, 28, v7
	v_sub_nc_u32_e32 v7, 29, v7
	v_lshlrev_b64 v[24:25], v10, v[8:9]
	v_and_b32_e32 v8, 7, v24
; %bb.1587:                             ;   in Loop: Header=BB200_1056 Depth=1
	s_or_b32 exec_lo, exec_lo, s18
	v_mov_b32_e32 v10, 24
	v_lshlrev_b32_e32 v8, 20, v8
	v_lshl_add_u32 v7, v7, 23, 0x3c000000
	v_lshlrev_b32_sdwa v10, v10, v6 dst_sel:DWORD dst_unused:UNUSED_PAD src0_sel:DWORD src1_sel:WORD_1
	v_and_b32_e32 v10, 0x80000000, v10
	v_or3_b32 v8, v8, v10, v7
	v_mov_b32_e32 v25, v9
	v_mov_b32_e32 v24, v8
.LBB200_1588:                           ;   in Loop: Header=BB200_1056 Depth=1
	s_or_b32 exec_lo, exec_lo, s15
.LBB200_1589:                           ;   in Loop: Header=BB200_1056 Depth=1
	s_or_b32 exec_lo, exec_lo, s9
.LBB200_1590:                           ;   in Loop: Header=BB200_1056 Depth=1
	s_or_b32 exec_lo, exec_lo, s7
	s_mov_b32 s7, exec_lo
	v_cmpx_lt_u32_e32 0xffffff, v6
	s_cbranch_execz .LBB200_1598
; %bb.1591:                             ;   in Loop: Header=BB200_1056 Depth=1
	v_mov_b32_e32 v10, v9
	v_mov_b32_e32 v23, v11
	v_cmp_ne_u32_sdwa s4, v6, v99 src0_sel:BYTE_3 src1_sel:DWORD
	v_mov_b32_e32 v22, v10
	s_and_saveexec_b32 s9, s4
	s_cbranch_execz .LBB200_1597
; %bb.1592:                             ;   in Loop: Header=BB200_1056 Depth=1
	v_mov_b32_e32 v12, v9
	v_mov_b32_e32 v23, v13
	v_bfe_u32 v10, v6, 24, 7
	s_mov_b32 s15, exec_lo
	v_mov_b32_e32 v22, v12
	v_cmpx_ne_u32_e32 0x7f, v10
	s_cbranch_execz .LBB200_1596
; %bb.1593:                             ;   in Loop: Header=BB200_1056 Depth=1
	v_mov_b32_e32 v7, 7
	s_mov_b32 s18, exec_lo
	v_and_b32_sdwa v8, v6, v7 dst_sel:DWORD dst_unused:UNUSED_PAD src0_sel:BYTE_3 src1_sel:DWORD
	v_lshrrev_b32_e32 v7, 3, v10
	v_cmpx_gt_u32_e32 8, v10
; %bb.1594:                             ;   in Loop: Header=BB200_1056 Depth=1
	v_ffbh_u32_e32 v7, v8
	v_min_u32_e32 v7, 32, v7
	v_subrev_nc_u32_e32 v10, 28, v7
	v_sub_nc_u32_e32 v7, 29, v7
	v_lshlrev_b64 v[22:23], v10, v[8:9]
	v_and_b32_e32 v8, 7, v22
; %bb.1595:                             ;   in Loop: Header=BB200_1056 Depth=1
	s_or_b32 exec_lo, exec_lo, s18
	v_mov_b32_e32 v10, 24
	v_lshlrev_b32_e32 v8, 20, v8
	v_lshl_add_u32 v7, v7, 23, 0x3c000000
	v_mov_b32_e32 v22, v9
	v_lshlrev_b32_sdwa v6, v10, v6 dst_sel:DWORD dst_unused:UNUSED_PAD src0_sel:DWORD src1_sel:BYTE_3
	v_and_b32_e32 v6, 0x80000000, v6
	v_or3_b32 v23, v8, v6, v7
.LBB200_1596:                           ;   in Loop: Header=BB200_1056 Depth=1
	s_or_b32 exec_lo, exec_lo, s15
.LBB200_1597:                           ;   in Loop: Header=BB200_1056 Depth=1
	s_or_b32 exec_lo, exec_lo, s9
.LBB200_1598:                           ;   in Loop: Header=BB200_1056 Depth=1
	s_or_b32 exec_lo, exec_lo, s7
	v_or_b32_e32 v6, v21, v19
	v_or_b32_e32 v7, v20, v18
	;; [unrolled: 1-line block ×4, first 2 shown]
	v_mul_f32_e32 v119, v114, v6
	v_mul_f32_e32 v40, v96, v7
	v_mul_f32_e32 v118, v96, v8
	v_mul_f32_e32 v6, v114, v10
	buffer_store_dword v6, off, s[0:3], s32 offset:664 ; 4-byte Folded Spill
	s_and_saveexec_b32 s7, vcc_lo
	s_cbranch_execz .LBB200_1600
; %bb.1599:                             ;   in Loop: Header=BB200_1056 Depth=1
	buffer_load_dword v6, off, s[0:3], s32 offset:200 ; 4-byte Folded Reload
	s_waitcnt vmcnt(0)
	v_cmp_lt_i32_e64 s4, v47, v6
	v_cndmask_b32_e64 v40, 0, v40, s4
	v_cmp_lt_i32_e64 s4, v57, v6
	v_cndmask_b32_e64 v119, 0, v119, s4
	;; [unrolled: 2-line block ×3, first 2 shown]
	v_cmp_lt_i32_e64 s4, v112, v6
	buffer_load_dword v6, off, s[0:3], s32 offset:664 ; 4-byte Folded Reload
	s_waitcnt vmcnt(0)
	v_cndmask_b32_e64 v6, 0, v6, s4
	buffer_store_dword v6, off, s[0:3], s32 offset:664 ; 4-byte Folded Spill
.LBB200_1600:                           ;   in Loop: Header=BB200_1056 Depth=1
	s_or_b32 exec_lo, exec_lo, s7
	v_add_co_u32 v16, s4, 0x800, v16
	v_add_co_ci_u32_e64 v17, null, 0, v17, s4
	v_mov_b32_e32 v20, 0
	v_mov_b32_e32 v18, 0
	v_mov_b32_e32 v21, 0
	flat_load_dword v6, v[16:17]
	v_mov_b32_e32 v19, 0
	s_waitcnt vmcnt(0) lgkmcnt(0)
	v_cmp_ne_u16_sdwa s4, v6, v9 src0_sel:BYTE_0 src1_sel:DWORD
	s_and_saveexec_b32 s7, s4
	s_cbranch_execz .LBB200_1608
; %bb.1601:                             ;   in Loop: Header=BB200_1056 Depth=1
	v_bfrev_b32_e32 v18, 1
	v_mov_b32_e32 v19, 0
	v_cmp_ne_u16_sdwa s4, v6, v99 src0_sel:BYTE_0 src1_sel:DWORD
	s_and_saveexec_b32 s9, s4
	s_cbranch_execz .LBB200_1607
; %bb.1602:                             ;   in Loop: Header=BB200_1056 Depth=1
	v_mov_b32_e32 v18, 0x7f800001
	v_and_b32_e32 v10, 0x7f, v6
	v_mov_b32_e32 v19, 0
	s_mov_b32 s15, exec_lo
	v_cmpx_ne_u32_e32 0x7f, v10
	s_cbranch_execz .LBB200_1606
; %bb.1603:                             ;   in Loop: Header=BB200_1056 Depth=1
	v_and_b32_e32 v8, 7, v6
	v_lshrrev_b32_e32 v7, 3, v10
	s_mov_b32 s18, exec_lo
	v_cmpx_gt_u32_e32 8, v10
; %bb.1604:                             ;   in Loop: Header=BB200_1056 Depth=1
	v_ffbh_u32_e32 v7, v8
	v_min_u32_e32 v7, 32, v7
	v_subrev_nc_u32_e32 v10, 28, v7
	v_sub_nc_u32_e32 v7, 29, v7
	v_lshlrev_b64 v[18:19], v10, v[8:9]
	v_and_b32_e32 v8, 7, v18
; %bb.1605:                             ;   in Loop: Header=BB200_1056 Depth=1
	s_or_b32 exec_lo, exec_lo, s18
	v_lshlrev_b32_e32 v10, 24, v6
	v_lshlrev_b32_e32 v8, 20, v8
	v_lshl_add_u32 v7, v7, 23, 0x3c000000
	v_and_b32_e32 v10, 0x80000000, v10
	v_or3_b32 v8, v8, v10, v7
	v_mov_b32_e32 v19, v9
	v_mov_b32_e32 v18, v8
.LBB200_1606:                           ;   in Loop: Header=BB200_1056 Depth=1
	s_or_b32 exec_lo, exec_lo, s15
.LBB200_1607:                           ;   in Loop: Header=BB200_1056 Depth=1
	s_or_b32 exec_lo, exec_lo, s9
.LBB200_1608:                           ;   in Loop: Header=BB200_1056 Depth=1
	s_or_b32 exec_lo, exec_lo, s7
	v_cmp_ne_u16_sdwa s4, v6, v9 src0_sel:BYTE_1 src1_sel:DWORD
	s_and_saveexec_b32 s7, s4
	s_cbranch_execz .LBB200_1616
; %bb.1609:                             ;   in Loop: Header=BB200_1056 Depth=1
	v_mov_b32_e32 v10, v9
	v_mov_b32_e32 v21, v11
	v_cmp_ne_u16_sdwa s4, v6, v99 src0_sel:BYTE_1 src1_sel:DWORD
	v_mov_b32_e32 v20, v10
	s_and_saveexec_b32 s9, s4
	s_cbranch_execz .LBB200_1615
; %bb.1610:                             ;   in Loop: Header=BB200_1056 Depth=1
	v_mov_b32_e32 v7, 0xffff
	v_mov_b32_e32 v12, v9
	;; [unrolled: 1-line block ×3, first 2 shown]
	s_mov_b32 s15, exec_lo
	v_and_b32_sdwa v7, v7, v6 dst_sel:DWORD dst_unused:UNUSED_PAD src0_sel:DWORD src1_sel:BYTE_1
	v_mov_b32_e32 v20, v12
	v_and_b32_e32 v10, 0x7f, v7
	v_cmpx_ne_u32_e32 0x7f, v10
	s_cbranch_execz .LBB200_1614
; %bb.1611:                             ;   in Loop: Header=BB200_1056 Depth=1
	v_and_b32_e32 v8, 7, v7
	v_lshrrev_b32_e32 v7, 3, v10
	s_mov_b32 s18, exec_lo
	v_cmpx_gt_u32_e32 8, v10
; %bb.1612:                             ;   in Loop: Header=BB200_1056 Depth=1
	v_ffbh_u32_e32 v7, v8
	v_min_u32_e32 v7, 32, v7
	v_subrev_nc_u32_e32 v10, 28, v7
	v_sub_nc_u32_e32 v7, 29, v7
	v_lshlrev_b64 v[20:21], v10, v[8:9]
	v_and_b32_e32 v8, 7, v20
; %bb.1613:                             ;   in Loop: Header=BB200_1056 Depth=1
	s_or_b32 exec_lo, exec_lo, s18
	v_lshlrev_b32_e32 v10, 16, v6
	v_lshlrev_b32_e32 v8, 20, v8
	v_lshl_add_u32 v7, v7, 23, 0x3c000000
	v_mov_b32_e32 v20, v9
	v_and_b32_e32 v10, 0x80000000, v10
	v_or3_b32 v21, v8, v10, v7
.LBB200_1614:                           ;   in Loop: Header=BB200_1056 Depth=1
	s_or_b32 exec_lo, exec_lo, s15
.LBB200_1615:                           ;   in Loop: Header=BB200_1056 Depth=1
	s_or_b32 exec_lo, exec_lo, s9
.LBB200_1616:                           ;   in Loop: Header=BB200_1056 Depth=1
	s_or_b32 exec_lo, exec_lo, s7
	v_mov_b32_e32 v22, 0
	v_mov_b32_e32 v24, 0
	v_and_b32_sdwa v7, v6, v101 dst_sel:DWORD dst_unused:UNUSED_PAD src0_sel:WORD_1 src1_sel:DWORD
	v_mov_b32_e32 v23, 0
	v_mov_b32_e32 v25, 0
	s_mov_b32 s7, exec_lo
	v_cmpx_ne_u16_e32 0, v7
	s_cbranch_execz .LBB200_1624
; %bb.1617:                             ;   in Loop: Header=BB200_1056 Depth=1
	v_bfrev_b32_e32 v24, 1
	v_mov_b32_e32 v25, 0
	s_mov_b32 s9, exec_lo
	v_cmpx_ne_u16_e32 0x80, v7
	s_cbranch_execz .LBB200_1623
; %bb.1618:                             ;   in Loop: Header=BB200_1056 Depth=1
	v_mov_b32_e32 v24, 0x7f800001
	v_bfe_u32 v10, v6, 16, 7
	v_mov_b32_e32 v25, 0
	s_mov_b32 s15, exec_lo
	v_cmpx_ne_u32_e32 0x7f, v10
	s_cbranch_execz .LBB200_1622
; %bb.1619:                             ;   in Loop: Header=BB200_1056 Depth=1
	v_mov_b32_e32 v7, 7
	s_mov_b32 s18, exec_lo
	v_and_b32_sdwa v8, v6, v7 dst_sel:DWORD dst_unused:UNUSED_PAD src0_sel:WORD_1 src1_sel:DWORD
	v_lshrrev_b32_e32 v7, 3, v10
	v_cmpx_gt_u32_e32 8, v10
; %bb.1620:                             ;   in Loop: Header=BB200_1056 Depth=1
	v_ffbh_u32_e32 v7, v8
	v_min_u32_e32 v7, 32, v7
	v_subrev_nc_u32_e32 v10, 28, v7
	v_sub_nc_u32_e32 v7, 29, v7
	v_lshlrev_b64 v[24:25], v10, v[8:9]
	v_and_b32_e32 v8, 7, v24
; %bb.1621:                             ;   in Loop: Header=BB200_1056 Depth=1
	s_or_b32 exec_lo, exec_lo, s18
	v_mov_b32_e32 v10, 24
	v_lshlrev_b32_e32 v8, 20, v8
	v_lshl_add_u32 v7, v7, 23, 0x3c000000
	v_lshlrev_b32_sdwa v10, v10, v6 dst_sel:DWORD dst_unused:UNUSED_PAD src0_sel:DWORD src1_sel:WORD_1
	v_and_b32_e32 v10, 0x80000000, v10
	v_or3_b32 v8, v8, v10, v7
	v_mov_b32_e32 v25, v9
	v_mov_b32_e32 v24, v8
.LBB200_1622:                           ;   in Loop: Header=BB200_1056 Depth=1
	s_or_b32 exec_lo, exec_lo, s15
.LBB200_1623:                           ;   in Loop: Header=BB200_1056 Depth=1
	s_or_b32 exec_lo, exec_lo, s9
.LBB200_1624:                           ;   in Loop: Header=BB200_1056 Depth=1
	s_or_b32 exec_lo, exec_lo, s7
	s_mov_b32 s7, exec_lo
	v_cmpx_lt_u32_e32 0xffffff, v6
	s_cbranch_execz .LBB200_1632
; %bb.1625:                             ;   in Loop: Header=BB200_1056 Depth=1
	v_mov_b32_e32 v10, v9
	v_mov_b32_e32 v23, v11
	v_cmp_ne_u32_sdwa s4, v6, v99 src0_sel:BYTE_3 src1_sel:DWORD
	v_mov_b32_e32 v22, v10
	s_and_saveexec_b32 s9, s4
	s_cbranch_execz .LBB200_1631
; %bb.1626:                             ;   in Loop: Header=BB200_1056 Depth=1
	v_mov_b32_e32 v12, v9
	v_mov_b32_e32 v23, v13
	v_bfe_u32 v10, v6, 24, 7
	s_mov_b32 s15, exec_lo
	v_mov_b32_e32 v22, v12
	v_cmpx_ne_u32_e32 0x7f, v10
	s_cbranch_execz .LBB200_1630
; %bb.1627:                             ;   in Loop: Header=BB200_1056 Depth=1
	v_mov_b32_e32 v7, 7
	s_mov_b32 s18, exec_lo
	v_and_b32_sdwa v8, v6, v7 dst_sel:DWORD dst_unused:UNUSED_PAD src0_sel:BYTE_3 src1_sel:DWORD
	v_lshrrev_b32_e32 v7, 3, v10
	v_cmpx_gt_u32_e32 8, v10
; %bb.1628:                             ;   in Loop: Header=BB200_1056 Depth=1
	v_ffbh_u32_e32 v7, v8
	v_min_u32_e32 v7, 32, v7
	v_subrev_nc_u32_e32 v10, 28, v7
	v_sub_nc_u32_e32 v7, 29, v7
	v_lshlrev_b64 v[22:23], v10, v[8:9]
	v_and_b32_e32 v8, 7, v22
; %bb.1629:                             ;   in Loop: Header=BB200_1056 Depth=1
	s_or_b32 exec_lo, exec_lo, s18
	v_mov_b32_e32 v10, 24
	v_lshlrev_b32_e32 v8, 20, v8
	v_lshl_add_u32 v7, v7, 23, 0x3c000000
	v_mov_b32_e32 v22, v9
	v_lshlrev_b32_sdwa v6, v10, v6 dst_sel:DWORD dst_unused:UNUSED_PAD src0_sel:DWORD src1_sel:BYTE_3
	v_and_b32_e32 v6, 0x80000000, v6
	v_or3_b32 v23, v8, v6, v7
.LBB200_1630:                           ;   in Loop: Header=BB200_1056 Depth=1
	s_or_b32 exec_lo, exec_lo, s15
.LBB200_1631:                           ;   in Loop: Header=BB200_1056 Depth=1
	s_or_b32 exec_lo, exec_lo, s9
.LBB200_1632:                           ;   in Loop: Header=BB200_1056 Depth=1
	s_or_b32 exec_lo, exec_lo, s7
	v_or_b32_e32 v6, v21, v19
	v_or_b32_e32 v7, v20, v18
	v_or_b32_e32 v8, v22, v24
	v_or_b32_e32 v10, v23, v25
	v_mul_f32_e32 v43, v114, v6
	v_mul_f32_e32 v44, v96, v7
	;; [unrolled: 1-line block ×4, first 2 shown]
	s_and_saveexec_b32 s7, vcc_lo
	s_cbranch_execz .LBB200_1634
; %bb.1633:                             ;   in Loop: Header=BB200_1056 Depth=1
	buffer_load_dword v6, off, s[0:3], s32 offset:200 ; 4-byte Folded Reload
	s_waitcnt vmcnt(0)
	v_cmp_lt_i32_e64 s4, v47, v6
	v_cndmask_b32_e64 v44, 0, v44, s4
	v_cmp_lt_i32_e64 s4, v57, v6
	v_cndmask_b32_e64 v43, 0, v43, s4
	;; [unrolled: 2-line block ×4, first 2 shown]
.LBB200_1634:                           ;   in Loop: Header=BB200_1056 Depth=1
	s_or_b32 exec_lo, exec_lo, s7
	flat_load_dword v6, v[16:17] offset:128
	v_mov_b32_e32 v20, 0
	v_mov_b32_e32 v18, 0
	;; [unrolled: 1-line block ×4, first 2 shown]
	s_waitcnt vmcnt(0) lgkmcnt(0)
	v_cmp_ne_u16_sdwa s4, v6, v9 src0_sel:BYTE_0 src1_sel:DWORD
	s_and_saveexec_b32 s7, s4
	s_cbranch_execz .LBB200_1642
; %bb.1635:                             ;   in Loop: Header=BB200_1056 Depth=1
	v_bfrev_b32_e32 v18, 1
	v_mov_b32_e32 v19, 0
	v_cmp_ne_u16_sdwa s4, v6, v99 src0_sel:BYTE_0 src1_sel:DWORD
	s_and_saveexec_b32 s9, s4
	s_cbranch_execz .LBB200_1641
; %bb.1636:                             ;   in Loop: Header=BB200_1056 Depth=1
	v_mov_b32_e32 v18, 0x7f800001
	v_and_b32_e32 v10, 0x7f, v6
	v_mov_b32_e32 v19, 0
	s_mov_b32 s15, exec_lo
	v_cmpx_ne_u32_e32 0x7f, v10
	s_cbranch_execz .LBB200_1640
; %bb.1637:                             ;   in Loop: Header=BB200_1056 Depth=1
	v_and_b32_e32 v8, 7, v6
	v_lshrrev_b32_e32 v7, 3, v10
	s_mov_b32 s18, exec_lo
	v_cmpx_gt_u32_e32 8, v10
; %bb.1638:                             ;   in Loop: Header=BB200_1056 Depth=1
	v_ffbh_u32_e32 v7, v8
	v_min_u32_e32 v7, 32, v7
	v_subrev_nc_u32_e32 v10, 28, v7
	v_sub_nc_u32_e32 v7, 29, v7
	v_lshlrev_b64 v[18:19], v10, v[8:9]
	v_and_b32_e32 v8, 7, v18
; %bb.1639:                             ;   in Loop: Header=BB200_1056 Depth=1
	s_or_b32 exec_lo, exec_lo, s18
	v_lshlrev_b32_e32 v10, 24, v6
	v_lshlrev_b32_e32 v8, 20, v8
	v_lshl_add_u32 v7, v7, 23, 0x3c000000
	v_and_b32_e32 v10, 0x80000000, v10
	v_or3_b32 v8, v8, v10, v7
	v_mov_b32_e32 v19, v9
	v_mov_b32_e32 v18, v8
.LBB200_1640:                           ;   in Loop: Header=BB200_1056 Depth=1
	s_or_b32 exec_lo, exec_lo, s15
.LBB200_1641:                           ;   in Loop: Header=BB200_1056 Depth=1
	s_or_b32 exec_lo, exec_lo, s9
.LBB200_1642:                           ;   in Loop: Header=BB200_1056 Depth=1
	s_or_b32 exec_lo, exec_lo, s7
	v_cmp_ne_u16_sdwa s4, v6, v9 src0_sel:BYTE_1 src1_sel:DWORD
	s_and_saveexec_b32 s7, s4
	s_cbranch_execz .LBB200_1650
; %bb.1643:                             ;   in Loop: Header=BB200_1056 Depth=1
	v_mov_b32_e32 v10, v9
	v_mov_b32_e32 v21, v11
	v_cmp_ne_u16_sdwa s4, v6, v99 src0_sel:BYTE_1 src1_sel:DWORD
	v_mov_b32_e32 v20, v10
	s_and_saveexec_b32 s9, s4
	s_cbranch_execz .LBB200_1649
; %bb.1644:                             ;   in Loop: Header=BB200_1056 Depth=1
	v_mov_b32_e32 v7, 0xffff
	v_mov_b32_e32 v12, v9
	;; [unrolled: 1-line block ×3, first 2 shown]
	s_mov_b32 s15, exec_lo
	v_and_b32_sdwa v7, v7, v6 dst_sel:DWORD dst_unused:UNUSED_PAD src0_sel:DWORD src1_sel:BYTE_1
	v_mov_b32_e32 v20, v12
	v_and_b32_e32 v10, 0x7f, v7
	v_cmpx_ne_u32_e32 0x7f, v10
	s_cbranch_execz .LBB200_1648
; %bb.1645:                             ;   in Loop: Header=BB200_1056 Depth=1
	v_and_b32_e32 v8, 7, v7
	v_lshrrev_b32_e32 v7, 3, v10
	s_mov_b32 s18, exec_lo
	v_cmpx_gt_u32_e32 8, v10
; %bb.1646:                             ;   in Loop: Header=BB200_1056 Depth=1
	v_ffbh_u32_e32 v7, v8
	v_min_u32_e32 v7, 32, v7
	v_subrev_nc_u32_e32 v10, 28, v7
	v_sub_nc_u32_e32 v7, 29, v7
	v_lshlrev_b64 v[20:21], v10, v[8:9]
	v_and_b32_e32 v8, 7, v20
; %bb.1647:                             ;   in Loop: Header=BB200_1056 Depth=1
	s_or_b32 exec_lo, exec_lo, s18
	v_lshlrev_b32_e32 v10, 16, v6
	v_lshlrev_b32_e32 v8, 20, v8
	v_lshl_add_u32 v7, v7, 23, 0x3c000000
	v_mov_b32_e32 v20, v9
	v_and_b32_e32 v10, 0x80000000, v10
	v_or3_b32 v21, v8, v10, v7
.LBB200_1648:                           ;   in Loop: Header=BB200_1056 Depth=1
	s_or_b32 exec_lo, exec_lo, s15
.LBB200_1649:                           ;   in Loop: Header=BB200_1056 Depth=1
	s_or_b32 exec_lo, exec_lo, s9
.LBB200_1650:                           ;   in Loop: Header=BB200_1056 Depth=1
	s_or_b32 exec_lo, exec_lo, s7
	v_mov_b32_e32 v22, 0
	v_mov_b32_e32 v24, 0
	v_and_b32_sdwa v7, v6, v101 dst_sel:DWORD dst_unused:UNUSED_PAD src0_sel:WORD_1 src1_sel:DWORD
	v_mov_b32_e32 v23, 0
	v_mov_b32_e32 v25, 0
	s_mov_b32 s7, exec_lo
	v_cmpx_ne_u16_e32 0, v7
	s_cbranch_execz .LBB200_1658
; %bb.1651:                             ;   in Loop: Header=BB200_1056 Depth=1
	v_bfrev_b32_e32 v24, 1
	v_mov_b32_e32 v25, 0
	s_mov_b32 s9, exec_lo
	v_cmpx_ne_u16_e32 0x80, v7
	s_cbranch_execz .LBB200_1657
; %bb.1652:                             ;   in Loop: Header=BB200_1056 Depth=1
	v_mov_b32_e32 v24, 0x7f800001
	v_bfe_u32 v10, v6, 16, 7
	v_mov_b32_e32 v25, 0
	s_mov_b32 s15, exec_lo
	v_cmpx_ne_u32_e32 0x7f, v10
	s_cbranch_execz .LBB200_1656
; %bb.1653:                             ;   in Loop: Header=BB200_1056 Depth=1
	v_mov_b32_e32 v7, 7
	s_mov_b32 s18, exec_lo
	v_and_b32_sdwa v8, v6, v7 dst_sel:DWORD dst_unused:UNUSED_PAD src0_sel:WORD_1 src1_sel:DWORD
	v_lshrrev_b32_e32 v7, 3, v10
	v_cmpx_gt_u32_e32 8, v10
; %bb.1654:                             ;   in Loop: Header=BB200_1056 Depth=1
	v_ffbh_u32_e32 v7, v8
	v_min_u32_e32 v7, 32, v7
	v_subrev_nc_u32_e32 v10, 28, v7
	v_sub_nc_u32_e32 v7, 29, v7
	v_lshlrev_b64 v[24:25], v10, v[8:9]
	v_and_b32_e32 v8, 7, v24
; %bb.1655:                             ;   in Loop: Header=BB200_1056 Depth=1
	s_or_b32 exec_lo, exec_lo, s18
	v_mov_b32_e32 v10, 24
	v_lshlrev_b32_e32 v8, 20, v8
	v_lshl_add_u32 v7, v7, 23, 0x3c000000
	v_lshlrev_b32_sdwa v10, v10, v6 dst_sel:DWORD dst_unused:UNUSED_PAD src0_sel:DWORD src1_sel:WORD_1
	v_and_b32_e32 v10, 0x80000000, v10
	v_or3_b32 v8, v8, v10, v7
	v_mov_b32_e32 v25, v9
	v_mov_b32_e32 v24, v8
.LBB200_1656:                           ;   in Loop: Header=BB200_1056 Depth=1
	s_or_b32 exec_lo, exec_lo, s15
.LBB200_1657:                           ;   in Loop: Header=BB200_1056 Depth=1
	s_or_b32 exec_lo, exec_lo, s9
.LBB200_1658:                           ;   in Loop: Header=BB200_1056 Depth=1
	s_or_b32 exec_lo, exec_lo, s7
	s_mov_b32 s7, exec_lo
	v_cmpx_lt_u32_e32 0xffffff, v6
	s_cbranch_execz .LBB200_1666
; %bb.1659:                             ;   in Loop: Header=BB200_1056 Depth=1
	v_mov_b32_e32 v10, v9
	v_mov_b32_e32 v23, v11
	v_cmp_ne_u32_sdwa s4, v6, v99 src0_sel:BYTE_3 src1_sel:DWORD
	v_mov_b32_e32 v22, v10
	s_and_saveexec_b32 s9, s4
	s_cbranch_execz .LBB200_1665
; %bb.1660:                             ;   in Loop: Header=BB200_1056 Depth=1
	v_mov_b32_e32 v12, v9
	v_mov_b32_e32 v23, v13
	v_bfe_u32 v10, v6, 24, 7
	s_mov_b32 s15, exec_lo
	v_mov_b32_e32 v22, v12
	v_cmpx_ne_u32_e32 0x7f, v10
	s_cbranch_execz .LBB200_1664
; %bb.1661:                             ;   in Loop: Header=BB200_1056 Depth=1
	v_mov_b32_e32 v7, 7
	s_mov_b32 s18, exec_lo
	v_and_b32_sdwa v8, v6, v7 dst_sel:DWORD dst_unused:UNUSED_PAD src0_sel:BYTE_3 src1_sel:DWORD
	v_lshrrev_b32_e32 v7, 3, v10
	v_cmpx_gt_u32_e32 8, v10
; %bb.1662:                             ;   in Loop: Header=BB200_1056 Depth=1
	v_ffbh_u32_e32 v7, v8
	v_min_u32_e32 v7, 32, v7
	v_subrev_nc_u32_e32 v10, 28, v7
	v_sub_nc_u32_e32 v7, 29, v7
	v_lshlrev_b64 v[22:23], v10, v[8:9]
	v_and_b32_e32 v8, 7, v22
; %bb.1663:                             ;   in Loop: Header=BB200_1056 Depth=1
	s_or_b32 exec_lo, exec_lo, s18
	v_mov_b32_e32 v10, 24
	v_lshlrev_b32_e32 v8, 20, v8
	v_lshl_add_u32 v7, v7, 23, 0x3c000000
	v_mov_b32_e32 v22, v9
	v_lshlrev_b32_sdwa v6, v10, v6 dst_sel:DWORD dst_unused:UNUSED_PAD src0_sel:DWORD src1_sel:BYTE_3
	v_and_b32_e32 v6, 0x80000000, v6
	v_or3_b32 v23, v8, v6, v7
.LBB200_1664:                           ;   in Loop: Header=BB200_1056 Depth=1
	s_or_b32 exec_lo, exec_lo, s15
.LBB200_1665:                           ;   in Loop: Header=BB200_1056 Depth=1
	s_or_b32 exec_lo, exec_lo, s9
.LBB200_1666:                           ;   in Loop: Header=BB200_1056 Depth=1
	s_or_b32 exec_lo, exec_lo, s7
	v_or_b32_e32 v6, v21, v19
	v_or_b32_e32 v7, v20, v18
	;; [unrolled: 1-line block ×4, first 2 shown]
	v_mul_f32_e32 v58, v114, v6
	v_mul_f32_e32 v59, v96, v7
	v_mul_f32_e32 v46, v96, v8
	v_mul_f32_e32 v45, v114, v10
	s_and_saveexec_b32 s7, vcc_lo
	s_cbranch_execz .LBB200_1668
; %bb.1667:                             ;   in Loop: Header=BB200_1056 Depth=1
	buffer_load_dword v6, off, s[0:3], s32 offset:200 ; 4-byte Folded Reload
	s_waitcnt vmcnt(0)
	v_cmp_lt_i32_e64 s4, v47, v6
	v_cndmask_b32_e64 v59, 0, v59, s4
	v_cmp_lt_i32_e64 s4, v57, v6
	v_cndmask_b32_e64 v58, 0, v58, s4
	;; [unrolled: 2-line block ×4, first 2 shown]
.LBB200_1668:                           ;   in Loop: Header=BB200_1056 Depth=1
	s_or_b32 exec_lo, exec_lo, s7
	flat_load_dword v6, v[16:17] offset:256
	v_mov_b32_e32 v20, 0
	v_mov_b32_e32 v18, 0
	v_mov_b32_e32 v21, 0
	v_mov_b32_e32 v19, 0
	s_waitcnt vmcnt(0) lgkmcnt(0)
	v_cmp_ne_u16_sdwa s4, v6, v9 src0_sel:BYTE_0 src1_sel:DWORD
	s_and_saveexec_b32 s7, s4
	s_cbranch_execz .LBB200_1676
; %bb.1669:                             ;   in Loop: Header=BB200_1056 Depth=1
	v_bfrev_b32_e32 v18, 1
	v_mov_b32_e32 v19, 0
	v_cmp_ne_u16_sdwa s4, v6, v99 src0_sel:BYTE_0 src1_sel:DWORD
	s_and_saveexec_b32 s9, s4
	s_cbranch_execz .LBB200_1675
; %bb.1670:                             ;   in Loop: Header=BB200_1056 Depth=1
	v_mov_b32_e32 v18, 0x7f800001
	v_and_b32_e32 v10, 0x7f, v6
	v_mov_b32_e32 v19, 0
	s_mov_b32 s15, exec_lo
	v_cmpx_ne_u32_e32 0x7f, v10
	s_cbranch_execz .LBB200_1674
; %bb.1671:                             ;   in Loop: Header=BB200_1056 Depth=1
	v_and_b32_e32 v8, 7, v6
	v_lshrrev_b32_e32 v7, 3, v10
	s_mov_b32 s18, exec_lo
	v_cmpx_gt_u32_e32 8, v10
; %bb.1672:                             ;   in Loop: Header=BB200_1056 Depth=1
	v_ffbh_u32_e32 v7, v8
	v_min_u32_e32 v7, 32, v7
	v_subrev_nc_u32_e32 v10, 28, v7
	v_sub_nc_u32_e32 v7, 29, v7
	v_lshlrev_b64 v[18:19], v10, v[8:9]
	v_and_b32_e32 v8, 7, v18
; %bb.1673:                             ;   in Loop: Header=BB200_1056 Depth=1
	s_or_b32 exec_lo, exec_lo, s18
	v_lshlrev_b32_e32 v10, 24, v6
	v_lshlrev_b32_e32 v8, 20, v8
	v_lshl_add_u32 v7, v7, 23, 0x3c000000
	v_and_b32_e32 v10, 0x80000000, v10
	v_or3_b32 v8, v8, v10, v7
	v_mov_b32_e32 v19, v9
	v_mov_b32_e32 v18, v8
.LBB200_1674:                           ;   in Loop: Header=BB200_1056 Depth=1
	s_or_b32 exec_lo, exec_lo, s15
.LBB200_1675:                           ;   in Loop: Header=BB200_1056 Depth=1
	s_or_b32 exec_lo, exec_lo, s9
.LBB200_1676:                           ;   in Loop: Header=BB200_1056 Depth=1
	s_or_b32 exec_lo, exec_lo, s7
	v_cmp_ne_u16_sdwa s4, v6, v9 src0_sel:BYTE_1 src1_sel:DWORD
	s_and_saveexec_b32 s7, s4
	s_cbranch_execz .LBB200_1684
; %bb.1677:                             ;   in Loop: Header=BB200_1056 Depth=1
	v_mov_b32_e32 v10, v9
	v_mov_b32_e32 v21, v11
	v_cmp_ne_u16_sdwa s4, v6, v99 src0_sel:BYTE_1 src1_sel:DWORD
	v_mov_b32_e32 v20, v10
	s_and_saveexec_b32 s9, s4
	s_cbranch_execz .LBB200_1683
; %bb.1678:                             ;   in Loop: Header=BB200_1056 Depth=1
	v_mov_b32_e32 v7, 0xffff
	v_mov_b32_e32 v12, v9
	;; [unrolled: 1-line block ×3, first 2 shown]
	s_mov_b32 s15, exec_lo
	v_and_b32_sdwa v7, v7, v6 dst_sel:DWORD dst_unused:UNUSED_PAD src0_sel:DWORD src1_sel:BYTE_1
	v_mov_b32_e32 v20, v12
	v_and_b32_e32 v10, 0x7f, v7
	v_cmpx_ne_u32_e32 0x7f, v10
	s_cbranch_execz .LBB200_1682
; %bb.1679:                             ;   in Loop: Header=BB200_1056 Depth=1
	v_and_b32_e32 v8, 7, v7
	v_lshrrev_b32_e32 v7, 3, v10
	s_mov_b32 s18, exec_lo
	v_cmpx_gt_u32_e32 8, v10
; %bb.1680:                             ;   in Loop: Header=BB200_1056 Depth=1
	v_ffbh_u32_e32 v7, v8
	v_min_u32_e32 v7, 32, v7
	v_subrev_nc_u32_e32 v10, 28, v7
	v_sub_nc_u32_e32 v7, 29, v7
	v_lshlrev_b64 v[20:21], v10, v[8:9]
	v_and_b32_e32 v8, 7, v20
; %bb.1681:                             ;   in Loop: Header=BB200_1056 Depth=1
	s_or_b32 exec_lo, exec_lo, s18
	v_lshlrev_b32_e32 v10, 16, v6
	v_lshlrev_b32_e32 v8, 20, v8
	v_lshl_add_u32 v7, v7, 23, 0x3c000000
	v_mov_b32_e32 v20, v9
	v_and_b32_e32 v10, 0x80000000, v10
	v_or3_b32 v21, v8, v10, v7
.LBB200_1682:                           ;   in Loop: Header=BB200_1056 Depth=1
	s_or_b32 exec_lo, exec_lo, s15
.LBB200_1683:                           ;   in Loop: Header=BB200_1056 Depth=1
	s_or_b32 exec_lo, exec_lo, s9
.LBB200_1684:                           ;   in Loop: Header=BB200_1056 Depth=1
	s_or_b32 exec_lo, exec_lo, s7
	v_mov_b32_e32 v22, 0
	v_mov_b32_e32 v24, 0
	v_and_b32_sdwa v7, v6, v101 dst_sel:DWORD dst_unused:UNUSED_PAD src0_sel:WORD_1 src1_sel:DWORD
	v_mov_b32_e32 v23, 0
	v_mov_b32_e32 v25, 0
	s_mov_b32 s7, exec_lo
	v_cmpx_ne_u16_e32 0, v7
	s_cbranch_execz .LBB200_1692
; %bb.1685:                             ;   in Loop: Header=BB200_1056 Depth=1
	v_bfrev_b32_e32 v24, 1
	v_mov_b32_e32 v25, 0
	s_mov_b32 s9, exec_lo
	v_cmpx_ne_u16_e32 0x80, v7
	s_cbranch_execz .LBB200_1691
; %bb.1686:                             ;   in Loop: Header=BB200_1056 Depth=1
	v_mov_b32_e32 v24, 0x7f800001
	v_bfe_u32 v10, v6, 16, 7
	v_mov_b32_e32 v25, 0
	s_mov_b32 s15, exec_lo
	v_cmpx_ne_u32_e32 0x7f, v10
	s_cbranch_execz .LBB200_1690
; %bb.1687:                             ;   in Loop: Header=BB200_1056 Depth=1
	v_mov_b32_e32 v7, 7
	s_mov_b32 s18, exec_lo
	v_and_b32_sdwa v8, v6, v7 dst_sel:DWORD dst_unused:UNUSED_PAD src0_sel:WORD_1 src1_sel:DWORD
	v_lshrrev_b32_e32 v7, 3, v10
	v_cmpx_gt_u32_e32 8, v10
; %bb.1688:                             ;   in Loop: Header=BB200_1056 Depth=1
	v_ffbh_u32_e32 v7, v8
	v_min_u32_e32 v7, 32, v7
	v_subrev_nc_u32_e32 v10, 28, v7
	v_sub_nc_u32_e32 v7, 29, v7
	v_lshlrev_b64 v[24:25], v10, v[8:9]
	v_and_b32_e32 v8, 7, v24
; %bb.1689:                             ;   in Loop: Header=BB200_1056 Depth=1
	s_or_b32 exec_lo, exec_lo, s18
	v_mov_b32_e32 v10, 24
	v_lshlrev_b32_e32 v8, 20, v8
	v_lshl_add_u32 v7, v7, 23, 0x3c000000
	v_lshlrev_b32_sdwa v10, v10, v6 dst_sel:DWORD dst_unused:UNUSED_PAD src0_sel:DWORD src1_sel:WORD_1
	v_and_b32_e32 v10, 0x80000000, v10
	v_or3_b32 v8, v8, v10, v7
	v_mov_b32_e32 v25, v9
	v_mov_b32_e32 v24, v8
.LBB200_1690:                           ;   in Loop: Header=BB200_1056 Depth=1
	s_or_b32 exec_lo, exec_lo, s15
.LBB200_1691:                           ;   in Loop: Header=BB200_1056 Depth=1
	s_or_b32 exec_lo, exec_lo, s9
.LBB200_1692:                           ;   in Loop: Header=BB200_1056 Depth=1
	s_or_b32 exec_lo, exec_lo, s7
	s_mov_b32 s7, exec_lo
	v_cmpx_lt_u32_e32 0xffffff, v6
	s_cbranch_execz .LBB200_1700
; %bb.1693:                             ;   in Loop: Header=BB200_1056 Depth=1
	v_mov_b32_e32 v10, v9
	v_mov_b32_e32 v23, v11
	v_cmp_ne_u32_sdwa s4, v6, v99 src0_sel:BYTE_3 src1_sel:DWORD
	v_mov_b32_e32 v22, v10
	s_and_saveexec_b32 s9, s4
	s_cbranch_execz .LBB200_1699
; %bb.1694:                             ;   in Loop: Header=BB200_1056 Depth=1
	v_mov_b32_e32 v12, v9
	v_mov_b32_e32 v23, v13
	v_bfe_u32 v10, v6, 24, 7
	s_mov_b32 s15, exec_lo
	v_mov_b32_e32 v22, v12
	v_cmpx_ne_u32_e32 0x7f, v10
	s_cbranch_execz .LBB200_1698
; %bb.1695:                             ;   in Loop: Header=BB200_1056 Depth=1
	v_mov_b32_e32 v7, 7
	s_mov_b32 s18, exec_lo
	v_and_b32_sdwa v8, v6, v7 dst_sel:DWORD dst_unused:UNUSED_PAD src0_sel:BYTE_3 src1_sel:DWORD
	v_lshrrev_b32_e32 v7, 3, v10
	v_cmpx_gt_u32_e32 8, v10
; %bb.1696:                             ;   in Loop: Header=BB200_1056 Depth=1
	v_ffbh_u32_e32 v7, v8
	v_min_u32_e32 v7, 32, v7
	v_subrev_nc_u32_e32 v10, 28, v7
	v_sub_nc_u32_e32 v7, 29, v7
	v_lshlrev_b64 v[22:23], v10, v[8:9]
	v_and_b32_e32 v8, 7, v22
; %bb.1697:                             ;   in Loop: Header=BB200_1056 Depth=1
	s_or_b32 exec_lo, exec_lo, s18
	v_mov_b32_e32 v10, 24
	v_lshlrev_b32_e32 v8, 20, v8
	v_lshl_add_u32 v7, v7, 23, 0x3c000000
	v_mov_b32_e32 v22, v9
	v_lshlrev_b32_sdwa v6, v10, v6 dst_sel:DWORD dst_unused:UNUSED_PAD src0_sel:DWORD src1_sel:BYTE_3
	v_and_b32_e32 v6, 0x80000000, v6
	v_or3_b32 v23, v8, v6, v7
.LBB200_1698:                           ;   in Loop: Header=BB200_1056 Depth=1
	s_or_b32 exec_lo, exec_lo, s15
.LBB200_1699:                           ;   in Loop: Header=BB200_1056 Depth=1
	s_or_b32 exec_lo, exec_lo, s9
.LBB200_1700:                           ;   in Loop: Header=BB200_1056 Depth=1
	s_or_b32 exec_lo, exec_lo, s7
	v_or_b32_e32 v6, v21, v19
	v_or_b32_e32 v7, v20, v18
	v_or_b32_e32 v8, v22, v24
	v_or_b32_e32 v10, v23, v25
	v_mul_f32_e32 v63, v114, v6
	v_mul_f32_e32 v62, v96, v7
	;; [unrolled: 1-line block ×4, first 2 shown]
	s_and_saveexec_b32 s7, vcc_lo
	s_cbranch_execz .LBB200_1702
; %bb.1701:                             ;   in Loop: Header=BB200_1056 Depth=1
	buffer_load_dword v6, off, s[0:3], s32 offset:200 ; 4-byte Folded Reload
	s_waitcnt vmcnt(0)
	v_cmp_lt_i32_e64 s4, v47, v6
	v_cndmask_b32_e64 v62, 0, v62, s4
	v_cmp_lt_i32_e64 s4, v57, v6
	v_cndmask_b32_e64 v63, 0, v63, s4
	;; [unrolled: 2-line block ×4, first 2 shown]
.LBB200_1702:                           ;   in Loop: Header=BB200_1056 Depth=1
	s_or_b32 exec_lo, exec_lo, s7
	flat_load_dword v6, v[16:17] offset:384
	v_mov_b32_e32 v20, 0
	v_mov_b32_e32 v18, 0
	;; [unrolled: 1-line block ×4, first 2 shown]
	s_waitcnt vmcnt(0) lgkmcnt(0)
	v_cmp_ne_u16_sdwa s4, v6, v9 src0_sel:BYTE_0 src1_sel:DWORD
	s_and_saveexec_b32 s7, s4
	s_cbranch_execz .LBB200_1710
; %bb.1703:                             ;   in Loop: Header=BB200_1056 Depth=1
	v_bfrev_b32_e32 v18, 1
	v_mov_b32_e32 v19, 0
	v_cmp_ne_u16_sdwa s4, v6, v99 src0_sel:BYTE_0 src1_sel:DWORD
	s_and_saveexec_b32 s9, s4
	s_cbranch_execz .LBB200_1709
; %bb.1704:                             ;   in Loop: Header=BB200_1056 Depth=1
	v_mov_b32_e32 v18, 0x7f800001
	v_and_b32_e32 v10, 0x7f, v6
	v_mov_b32_e32 v19, 0
	s_mov_b32 s15, exec_lo
	v_cmpx_ne_u32_e32 0x7f, v10
	s_cbranch_execz .LBB200_1708
; %bb.1705:                             ;   in Loop: Header=BB200_1056 Depth=1
	v_and_b32_e32 v8, 7, v6
	v_lshrrev_b32_e32 v7, 3, v10
	s_mov_b32 s18, exec_lo
	v_cmpx_gt_u32_e32 8, v10
; %bb.1706:                             ;   in Loop: Header=BB200_1056 Depth=1
	v_ffbh_u32_e32 v7, v8
	v_min_u32_e32 v7, 32, v7
	v_subrev_nc_u32_e32 v10, 28, v7
	v_sub_nc_u32_e32 v7, 29, v7
	v_lshlrev_b64 v[18:19], v10, v[8:9]
	v_and_b32_e32 v8, 7, v18
; %bb.1707:                             ;   in Loop: Header=BB200_1056 Depth=1
	s_or_b32 exec_lo, exec_lo, s18
	v_lshlrev_b32_e32 v10, 24, v6
	v_lshlrev_b32_e32 v8, 20, v8
	v_lshl_add_u32 v7, v7, 23, 0x3c000000
	v_and_b32_e32 v10, 0x80000000, v10
	v_or3_b32 v8, v8, v10, v7
	v_mov_b32_e32 v19, v9
	v_mov_b32_e32 v18, v8
.LBB200_1708:                           ;   in Loop: Header=BB200_1056 Depth=1
	s_or_b32 exec_lo, exec_lo, s15
.LBB200_1709:                           ;   in Loop: Header=BB200_1056 Depth=1
	s_or_b32 exec_lo, exec_lo, s9
.LBB200_1710:                           ;   in Loop: Header=BB200_1056 Depth=1
	s_or_b32 exec_lo, exec_lo, s7
	v_cmp_ne_u16_sdwa s4, v6, v9 src0_sel:BYTE_1 src1_sel:DWORD
	s_and_saveexec_b32 s7, s4
	s_cbranch_execz .LBB200_1718
; %bb.1711:                             ;   in Loop: Header=BB200_1056 Depth=1
	v_mov_b32_e32 v10, v9
	v_mov_b32_e32 v21, v11
	v_cmp_ne_u16_sdwa s4, v6, v99 src0_sel:BYTE_1 src1_sel:DWORD
	v_mov_b32_e32 v20, v10
	s_and_saveexec_b32 s9, s4
	s_cbranch_execz .LBB200_1717
; %bb.1712:                             ;   in Loop: Header=BB200_1056 Depth=1
	v_mov_b32_e32 v7, 0xffff
	v_mov_b32_e32 v12, v9
	v_mov_b32_e32 v21, v13
	s_mov_b32 s15, exec_lo
	v_and_b32_sdwa v7, v7, v6 dst_sel:DWORD dst_unused:UNUSED_PAD src0_sel:DWORD src1_sel:BYTE_1
	v_mov_b32_e32 v20, v12
	v_and_b32_e32 v10, 0x7f, v7
	v_cmpx_ne_u32_e32 0x7f, v10
	s_cbranch_execz .LBB200_1716
; %bb.1713:                             ;   in Loop: Header=BB200_1056 Depth=1
	v_and_b32_e32 v8, 7, v7
	v_lshrrev_b32_e32 v7, 3, v10
	s_mov_b32 s18, exec_lo
	v_cmpx_gt_u32_e32 8, v10
; %bb.1714:                             ;   in Loop: Header=BB200_1056 Depth=1
	v_ffbh_u32_e32 v7, v8
	v_min_u32_e32 v7, 32, v7
	v_subrev_nc_u32_e32 v10, 28, v7
	v_sub_nc_u32_e32 v7, 29, v7
	v_lshlrev_b64 v[20:21], v10, v[8:9]
	v_and_b32_e32 v8, 7, v20
; %bb.1715:                             ;   in Loop: Header=BB200_1056 Depth=1
	s_or_b32 exec_lo, exec_lo, s18
	v_lshlrev_b32_e32 v10, 16, v6
	v_lshlrev_b32_e32 v8, 20, v8
	v_lshl_add_u32 v7, v7, 23, 0x3c000000
	v_mov_b32_e32 v20, v9
	v_and_b32_e32 v10, 0x80000000, v10
	v_or3_b32 v21, v8, v10, v7
.LBB200_1716:                           ;   in Loop: Header=BB200_1056 Depth=1
	s_or_b32 exec_lo, exec_lo, s15
.LBB200_1717:                           ;   in Loop: Header=BB200_1056 Depth=1
	s_or_b32 exec_lo, exec_lo, s9
.LBB200_1718:                           ;   in Loop: Header=BB200_1056 Depth=1
	s_or_b32 exec_lo, exec_lo, s7
	v_mov_b32_e32 v22, 0
	v_mov_b32_e32 v24, 0
	v_and_b32_sdwa v7, v6, v101 dst_sel:DWORD dst_unused:UNUSED_PAD src0_sel:WORD_1 src1_sel:DWORD
	v_mov_b32_e32 v23, 0
	v_mov_b32_e32 v25, 0
	s_mov_b32 s7, exec_lo
	v_cmpx_ne_u16_e32 0, v7
	s_cbranch_execz .LBB200_1726
; %bb.1719:                             ;   in Loop: Header=BB200_1056 Depth=1
	v_bfrev_b32_e32 v24, 1
	v_mov_b32_e32 v25, 0
	s_mov_b32 s9, exec_lo
	v_cmpx_ne_u16_e32 0x80, v7
	s_cbranch_execz .LBB200_1725
; %bb.1720:                             ;   in Loop: Header=BB200_1056 Depth=1
	v_mov_b32_e32 v24, 0x7f800001
	v_bfe_u32 v10, v6, 16, 7
	v_mov_b32_e32 v25, 0
	s_mov_b32 s15, exec_lo
	v_cmpx_ne_u32_e32 0x7f, v10
	s_cbranch_execz .LBB200_1724
; %bb.1721:                             ;   in Loop: Header=BB200_1056 Depth=1
	v_mov_b32_e32 v7, 7
	s_mov_b32 s18, exec_lo
	v_and_b32_sdwa v8, v6, v7 dst_sel:DWORD dst_unused:UNUSED_PAD src0_sel:WORD_1 src1_sel:DWORD
	v_lshrrev_b32_e32 v7, 3, v10
	v_cmpx_gt_u32_e32 8, v10
; %bb.1722:                             ;   in Loop: Header=BB200_1056 Depth=1
	v_ffbh_u32_e32 v7, v8
	v_min_u32_e32 v7, 32, v7
	v_subrev_nc_u32_e32 v10, 28, v7
	v_sub_nc_u32_e32 v7, 29, v7
	v_lshlrev_b64 v[24:25], v10, v[8:9]
	v_and_b32_e32 v8, 7, v24
; %bb.1723:                             ;   in Loop: Header=BB200_1056 Depth=1
	s_or_b32 exec_lo, exec_lo, s18
	v_mov_b32_e32 v10, 24
	v_lshlrev_b32_e32 v8, 20, v8
	v_lshl_add_u32 v7, v7, 23, 0x3c000000
	v_lshlrev_b32_sdwa v10, v10, v6 dst_sel:DWORD dst_unused:UNUSED_PAD src0_sel:DWORD src1_sel:WORD_1
	v_and_b32_e32 v10, 0x80000000, v10
	v_or3_b32 v8, v8, v10, v7
	v_mov_b32_e32 v25, v9
	v_mov_b32_e32 v24, v8
.LBB200_1724:                           ;   in Loop: Header=BB200_1056 Depth=1
	s_or_b32 exec_lo, exec_lo, s15
.LBB200_1725:                           ;   in Loop: Header=BB200_1056 Depth=1
	s_or_b32 exec_lo, exec_lo, s9
.LBB200_1726:                           ;   in Loop: Header=BB200_1056 Depth=1
	s_or_b32 exec_lo, exec_lo, s7
	s_mov_b32 s7, exec_lo
	v_cmpx_lt_u32_e32 0xffffff, v6
	s_cbranch_execz .LBB200_1734
; %bb.1727:                             ;   in Loop: Header=BB200_1056 Depth=1
	v_mov_b32_e32 v10, v9
	v_mov_b32_e32 v23, v11
	v_cmp_ne_u32_sdwa s4, v6, v99 src0_sel:BYTE_3 src1_sel:DWORD
	v_mov_b32_e32 v22, v10
	s_and_saveexec_b32 s9, s4
	s_cbranch_execz .LBB200_1733
; %bb.1728:                             ;   in Loop: Header=BB200_1056 Depth=1
	v_mov_b32_e32 v12, v9
	v_mov_b32_e32 v23, v13
	v_bfe_u32 v10, v6, 24, 7
	s_mov_b32 s15, exec_lo
	v_mov_b32_e32 v22, v12
	v_cmpx_ne_u32_e32 0x7f, v10
	s_cbranch_execz .LBB200_1732
; %bb.1729:                             ;   in Loop: Header=BB200_1056 Depth=1
	v_mov_b32_e32 v7, 7
	s_mov_b32 s18, exec_lo
	v_and_b32_sdwa v8, v6, v7 dst_sel:DWORD dst_unused:UNUSED_PAD src0_sel:BYTE_3 src1_sel:DWORD
	v_lshrrev_b32_e32 v7, 3, v10
	v_cmpx_gt_u32_e32 8, v10
; %bb.1730:                             ;   in Loop: Header=BB200_1056 Depth=1
	v_ffbh_u32_e32 v7, v8
	v_min_u32_e32 v7, 32, v7
	v_subrev_nc_u32_e32 v10, 28, v7
	v_sub_nc_u32_e32 v7, 29, v7
	v_lshlrev_b64 v[22:23], v10, v[8:9]
	v_and_b32_e32 v8, 7, v22
; %bb.1731:                             ;   in Loop: Header=BB200_1056 Depth=1
	s_or_b32 exec_lo, exec_lo, s18
	v_mov_b32_e32 v10, 24
	v_lshlrev_b32_e32 v8, 20, v8
	v_lshl_add_u32 v7, v7, 23, 0x3c000000
	v_mov_b32_e32 v22, v9
	v_lshlrev_b32_sdwa v6, v10, v6 dst_sel:DWORD dst_unused:UNUSED_PAD src0_sel:DWORD src1_sel:BYTE_3
	v_and_b32_e32 v6, 0x80000000, v6
	v_or3_b32 v23, v8, v6, v7
.LBB200_1732:                           ;   in Loop: Header=BB200_1056 Depth=1
	s_or_b32 exec_lo, exec_lo, s15
.LBB200_1733:                           ;   in Loop: Header=BB200_1056 Depth=1
	s_or_b32 exec_lo, exec_lo, s9
.LBB200_1734:                           ;   in Loop: Header=BB200_1056 Depth=1
	s_or_b32 exec_lo, exec_lo, s7
	v_or_b32_e32 v6, v21, v19
	v_or_b32_e32 v7, v20, v18
	;; [unrolled: 1-line block ×4, first 2 shown]
	v_mul_f32_e32 v75, v114, v6
	v_mul_f32_e32 v74, v96, v7
	;; [unrolled: 1-line block ×4, first 2 shown]
	s_and_saveexec_b32 s7, vcc_lo
	s_cbranch_execz .LBB200_1736
; %bb.1735:                             ;   in Loop: Header=BB200_1056 Depth=1
	buffer_load_dword v6, off, s[0:3], s32 offset:200 ; 4-byte Folded Reload
	s_waitcnt vmcnt(0)
	v_cmp_lt_i32_e64 s4, v47, v6
	v_cndmask_b32_e64 v74, 0, v74, s4
	v_cmp_lt_i32_e64 s4, v57, v6
	v_cndmask_b32_e64 v75, 0, v75, s4
	;; [unrolled: 2-line block ×4, first 2 shown]
.LBB200_1736:                           ;   in Loop: Header=BB200_1056 Depth=1
	s_or_b32 exec_lo, exec_lo, s7
	flat_load_dword v6, v[16:17] offset:512
	v_mov_b32_e32 v20, 0
	v_mov_b32_e32 v18, 0
	;; [unrolled: 1-line block ×4, first 2 shown]
	s_waitcnt vmcnt(0) lgkmcnt(0)
	v_cmp_ne_u16_sdwa s4, v6, v9 src0_sel:BYTE_0 src1_sel:DWORD
	s_and_saveexec_b32 s7, s4
	s_cbranch_execz .LBB200_1744
; %bb.1737:                             ;   in Loop: Header=BB200_1056 Depth=1
	v_bfrev_b32_e32 v18, 1
	v_mov_b32_e32 v19, 0
	v_cmp_ne_u16_sdwa s4, v6, v99 src0_sel:BYTE_0 src1_sel:DWORD
	s_and_saveexec_b32 s9, s4
	s_cbranch_execz .LBB200_1743
; %bb.1738:                             ;   in Loop: Header=BB200_1056 Depth=1
	v_mov_b32_e32 v18, 0x7f800001
	v_and_b32_e32 v10, 0x7f, v6
	v_mov_b32_e32 v19, 0
	s_mov_b32 s15, exec_lo
	v_cmpx_ne_u32_e32 0x7f, v10
	s_cbranch_execz .LBB200_1742
; %bb.1739:                             ;   in Loop: Header=BB200_1056 Depth=1
	v_and_b32_e32 v8, 7, v6
	v_lshrrev_b32_e32 v7, 3, v10
	s_mov_b32 s18, exec_lo
	v_cmpx_gt_u32_e32 8, v10
; %bb.1740:                             ;   in Loop: Header=BB200_1056 Depth=1
	v_ffbh_u32_e32 v7, v8
	v_min_u32_e32 v7, 32, v7
	v_subrev_nc_u32_e32 v10, 28, v7
	v_sub_nc_u32_e32 v7, 29, v7
	v_lshlrev_b64 v[18:19], v10, v[8:9]
	v_and_b32_e32 v8, 7, v18
; %bb.1741:                             ;   in Loop: Header=BB200_1056 Depth=1
	s_or_b32 exec_lo, exec_lo, s18
	v_lshlrev_b32_e32 v10, 24, v6
	v_lshlrev_b32_e32 v8, 20, v8
	v_lshl_add_u32 v7, v7, 23, 0x3c000000
	v_and_b32_e32 v10, 0x80000000, v10
	v_or3_b32 v8, v8, v10, v7
	v_mov_b32_e32 v19, v9
	v_mov_b32_e32 v18, v8
.LBB200_1742:                           ;   in Loop: Header=BB200_1056 Depth=1
	s_or_b32 exec_lo, exec_lo, s15
.LBB200_1743:                           ;   in Loop: Header=BB200_1056 Depth=1
	s_or_b32 exec_lo, exec_lo, s9
.LBB200_1744:                           ;   in Loop: Header=BB200_1056 Depth=1
	s_or_b32 exec_lo, exec_lo, s7
	v_cmp_ne_u16_sdwa s4, v6, v9 src0_sel:BYTE_1 src1_sel:DWORD
	s_and_saveexec_b32 s7, s4
	s_cbranch_execz .LBB200_1752
; %bb.1745:                             ;   in Loop: Header=BB200_1056 Depth=1
	v_mov_b32_e32 v10, v9
	v_mov_b32_e32 v21, v11
	v_cmp_ne_u16_sdwa s4, v6, v99 src0_sel:BYTE_1 src1_sel:DWORD
	v_mov_b32_e32 v20, v10
	s_and_saveexec_b32 s9, s4
	s_cbranch_execz .LBB200_1751
; %bb.1746:                             ;   in Loop: Header=BB200_1056 Depth=1
	v_mov_b32_e32 v7, 0xffff
	v_mov_b32_e32 v12, v9
	;; [unrolled: 1-line block ×3, first 2 shown]
	s_mov_b32 s15, exec_lo
	v_and_b32_sdwa v7, v7, v6 dst_sel:DWORD dst_unused:UNUSED_PAD src0_sel:DWORD src1_sel:BYTE_1
	v_mov_b32_e32 v20, v12
	v_and_b32_e32 v10, 0x7f, v7
	v_cmpx_ne_u32_e32 0x7f, v10
	s_cbranch_execz .LBB200_1750
; %bb.1747:                             ;   in Loop: Header=BB200_1056 Depth=1
	v_and_b32_e32 v8, 7, v7
	v_lshrrev_b32_e32 v7, 3, v10
	s_mov_b32 s18, exec_lo
	v_cmpx_gt_u32_e32 8, v10
; %bb.1748:                             ;   in Loop: Header=BB200_1056 Depth=1
	v_ffbh_u32_e32 v7, v8
	v_min_u32_e32 v7, 32, v7
	v_subrev_nc_u32_e32 v10, 28, v7
	v_sub_nc_u32_e32 v7, 29, v7
	v_lshlrev_b64 v[20:21], v10, v[8:9]
	v_and_b32_e32 v8, 7, v20
; %bb.1749:                             ;   in Loop: Header=BB200_1056 Depth=1
	s_or_b32 exec_lo, exec_lo, s18
	v_lshlrev_b32_e32 v10, 16, v6
	v_lshlrev_b32_e32 v8, 20, v8
	v_lshl_add_u32 v7, v7, 23, 0x3c000000
	v_mov_b32_e32 v20, v9
	v_and_b32_e32 v10, 0x80000000, v10
	v_or3_b32 v21, v8, v10, v7
.LBB200_1750:                           ;   in Loop: Header=BB200_1056 Depth=1
	s_or_b32 exec_lo, exec_lo, s15
.LBB200_1751:                           ;   in Loop: Header=BB200_1056 Depth=1
	s_or_b32 exec_lo, exec_lo, s9
.LBB200_1752:                           ;   in Loop: Header=BB200_1056 Depth=1
	s_or_b32 exec_lo, exec_lo, s7
	v_mov_b32_e32 v22, 0
	v_mov_b32_e32 v24, 0
	v_and_b32_sdwa v7, v6, v101 dst_sel:DWORD dst_unused:UNUSED_PAD src0_sel:WORD_1 src1_sel:DWORD
	v_mov_b32_e32 v23, 0
	v_mov_b32_e32 v25, 0
	s_mov_b32 s7, exec_lo
	v_cmpx_ne_u16_e32 0, v7
	s_cbranch_execz .LBB200_1760
; %bb.1753:                             ;   in Loop: Header=BB200_1056 Depth=1
	v_bfrev_b32_e32 v24, 1
	v_mov_b32_e32 v25, 0
	s_mov_b32 s9, exec_lo
	v_cmpx_ne_u16_e32 0x80, v7
	s_cbranch_execz .LBB200_1759
; %bb.1754:                             ;   in Loop: Header=BB200_1056 Depth=1
	v_mov_b32_e32 v24, 0x7f800001
	v_bfe_u32 v10, v6, 16, 7
	v_mov_b32_e32 v25, 0
	s_mov_b32 s15, exec_lo
	v_cmpx_ne_u32_e32 0x7f, v10
	s_cbranch_execz .LBB200_1758
; %bb.1755:                             ;   in Loop: Header=BB200_1056 Depth=1
	v_mov_b32_e32 v7, 7
	s_mov_b32 s18, exec_lo
	v_and_b32_sdwa v8, v6, v7 dst_sel:DWORD dst_unused:UNUSED_PAD src0_sel:WORD_1 src1_sel:DWORD
	v_lshrrev_b32_e32 v7, 3, v10
	v_cmpx_gt_u32_e32 8, v10
; %bb.1756:                             ;   in Loop: Header=BB200_1056 Depth=1
	v_ffbh_u32_e32 v7, v8
	v_min_u32_e32 v7, 32, v7
	v_subrev_nc_u32_e32 v10, 28, v7
	v_sub_nc_u32_e32 v7, 29, v7
	v_lshlrev_b64 v[24:25], v10, v[8:9]
	v_and_b32_e32 v8, 7, v24
; %bb.1757:                             ;   in Loop: Header=BB200_1056 Depth=1
	s_or_b32 exec_lo, exec_lo, s18
	v_mov_b32_e32 v10, 24
	v_lshlrev_b32_e32 v8, 20, v8
	v_lshl_add_u32 v7, v7, 23, 0x3c000000
	v_lshlrev_b32_sdwa v10, v10, v6 dst_sel:DWORD dst_unused:UNUSED_PAD src0_sel:DWORD src1_sel:WORD_1
	v_and_b32_e32 v10, 0x80000000, v10
	v_or3_b32 v8, v8, v10, v7
	v_mov_b32_e32 v25, v9
	v_mov_b32_e32 v24, v8
.LBB200_1758:                           ;   in Loop: Header=BB200_1056 Depth=1
	s_or_b32 exec_lo, exec_lo, s15
.LBB200_1759:                           ;   in Loop: Header=BB200_1056 Depth=1
	s_or_b32 exec_lo, exec_lo, s9
.LBB200_1760:                           ;   in Loop: Header=BB200_1056 Depth=1
	s_or_b32 exec_lo, exec_lo, s7
	s_mov_b32 s7, exec_lo
	v_cmpx_lt_u32_e32 0xffffff, v6
	s_cbranch_execz .LBB200_1768
; %bb.1761:                             ;   in Loop: Header=BB200_1056 Depth=1
	v_mov_b32_e32 v10, v9
	v_mov_b32_e32 v23, v11
	v_cmp_ne_u32_sdwa s4, v6, v99 src0_sel:BYTE_3 src1_sel:DWORD
	v_mov_b32_e32 v22, v10
	s_and_saveexec_b32 s9, s4
	s_cbranch_execz .LBB200_1767
; %bb.1762:                             ;   in Loop: Header=BB200_1056 Depth=1
	v_mov_b32_e32 v12, v9
	v_mov_b32_e32 v23, v13
	v_bfe_u32 v10, v6, 24, 7
	s_mov_b32 s15, exec_lo
	v_mov_b32_e32 v22, v12
	v_cmpx_ne_u32_e32 0x7f, v10
	s_cbranch_execz .LBB200_1766
; %bb.1763:                             ;   in Loop: Header=BB200_1056 Depth=1
	v_mov_b32_e32 v7, 7
	s_mov_b32 s18, exec_lo
	v_and_b32_sdwa v8, v6, v7 dst_sel:DWORD dst_unused:UNUSED_PAD src0_sel:BYTE_3 src1_sel:DWORD
	v_lshrrev_b32_e32 v7, 3, v10
	v_cmpx_gt_u32_e32 8, v10
; %bb.1764:                             ;   in Loop: Header=BB200_1056 Depth=1
	v_ffbh_u32_e32 v7, v8
	v_min_u32_e32 v7, 32, v7
	v_subrev_nc_u32_e32 v10, 28, v7
	v_sub_nc_u32_e32 v7, 29, v7
	v_lshlrev_b64 v[22:23], v10, v[8:9]
	v_and_b32_e32 v8, 7, v22
; %bb.1765:                             ;   in Loop: Header=BB200_1056 Depth=1
	s_or_b32 exec_lo, exec_lo, s18
	v_mov_b32_e32 v10, 24
	v_lshlrev_b32_e32 v8, 20, v8
	v_lshl_add_u32 v7, v7, 23, 0x3c000000
	v_mov_b32_e32 v22, v9
	v_lshlrev_b32_sdwa v6, v10, v6 dst_sel:DWORD dst_unused:UNUSED_PAD src0_sel:DWORD src1_sel:BYTE_3
	v_and_b32_e32 v6, 0x80000000, v6
	v_or3_b32 v23, v8, v6, v7
.LBB200_1766:                           ;   in Loop: Header=BB200_1056 Depth=1
	s_or_b32 exec_lo, exec_lo, s15
.LBB200_1767:                           ;   in Loop: Header=BB200_1056 Depth=1
	s_or_b32 exec_lo, exec_lo, s9
.LBB200_1768:                           ;   in Loop: Header=BB200_1056 Depth=1
	s_or_b32 exec_lo, exec_lo, s7
	v_or_b32_e32 v6, v21, v19
	v_or_b32_e32 v7, v20, v18
	;; [unrolled: 1-line block ×4, first 2 shown]
	v_mul_f32_e32 v79, v114, v6
	v_mul_f32_e32 v78, v96, v7
	;; [unrolled: 1-line block ×4, first 2 shown]
	s_and_saveexec_b32 s7, vcc_lo
	s_cbranch_execz .LBB200_1770
; %bb.1769:                             ;   in Loop: Header=BB200_1056 Depth=1
	buffer_load_dword v6, off, s[0:3], s32 offset:200 ; 4-byte Folded Reload
	s_waitcnt vmcnt(0)
	v_cmp_lt_i32_e64 s4, v47, v6
	v_cndmask_b32_e64 v78, 0, v78, s4
	v_cmp_lt_i32_e64 s4, v57, v6
	v_cndmask_b32_e64 v79, 0, v79, s4
	;; [unrolled: 2-line block ×4, first 2 shown]
.LBB200_1770:                           ;   in Loop: Header=BB200_1056 Depth=1
	s_or_b32 exec_lo, exec_lo, s7
	flat_load_dword v6, v[16:17] offset:640
	v_mov_b32_e32 v20, 0
	v_mov_b32_e32 v18, 0
	;; [unrolled: 1-line block ×4, first 2 shown]
	s_waitcnt vmcnt(0) lgkmcnt(0)
	v_cmp_ne_u16_sdwa s4, v6, v9 src0_sel:BYTE_0 src1_sel:DWORD
	s_and_saveexec_b32 s7, s4
	s_cbranch_execz .LBB200_1778
; %bb.1771:                             ;   in Loop: Header=BB200_1056 Depth=1
	v_bfrev_b32_e32 v18, 1
	v_mov_b32_e32 v19, 0
	v_cmp_ne_u16_sdwa s4, v6, v99 src0_sel:BYTE_0 src1_sel:DWORD
	s_and_saveexec_b32 s9, s4
	s_cbranch_execz .LBB200_1777
; %bb.1772:                             ;   in Loop: Header=BB200_1056 Depth=1
	v_mov_b32_e32 v18, 0x7f800001
	v_and_b32_e32 v10, 0x7f, v6
	v_mov_b32_e32 v19, 0
	s_mov_b32 s15, exec_lo
	v_cmpx_ne_u32_e32 0x7f, v10
	s_cbranch_execz .LBB200_1776
; %bb.1773:                             ;   in Loop: Header=BB200_1056 Depth=1
	v_and_b32_e32 v8, 7, v6
	v_lshrrev_b32_e32 v7, 3, v10
	s_mov_b32 s18, exec_lo
	v_cmpx_gt_u32_e32 8, v10
; %bb.1774:                             ;   in Loop: Header=BB200_1056 Depth=1
	v_ffbh_u32_e32 v7, v8
	v_min_u32_e32 v7, 32, v7
	v_subrev_nc_u32_e32 v10, 28, v7
	v_sub_nc_u32_e32 v7, 29, v7
	v_lshlrev_b64 v[18:19], v10, v[8:9]
	v_and_b32_e32 v8, 7, v18
; %bb.1775:                             ;   in Loop: Header=BB200_1056 Depth=1
	s_or_b32 exec_lo, exec_lo, s18
	v_lshlrev_b32_e32 v10, 24, v6
	v_lshlrev_b32_e32 v8, 20, v8
	v_lshl_add_u32 v7, v7, 23, 0x3c000000
	v_and_b32_e32 v10, 0x80000000, v10
	v_or3_b32 v8, v8, v10, v7
	v_mov_b32_e32 v19, v9
	v_mov_b32_e32 v18, v8
.LBB200_1776:                           ;   in Loop: Header=BB200_1056 Depth=1
	s_or_b32 exec_lo, exec_lo, s15
.LBB200_1777:                           ;   in Loop: Header=BB200_1056 Depth=1
	s_or_b32 exec_lo, exec_lo, s9
.LBB200_1778:                           ;   in Loop: Header=BB200_1056 Depth=1
	s_or_b32 exec_lo, exec_lo, s7
	v_cmp_ne_u16_sdwa s4, v6, v9 src0_sel:BYTE_1 src1_sel:DWORD
	s_and_saveexec_b32 s7, s4
	s_cbranch_execz .LBB200_1786
; %bb.1779:                             ;   in Loop: Header=BB200_1056 Depth=1
	v_mov_b32_e32 v10, v9
	v_mov_b32_e32 v21, v11
	v_cmp_ne_u16_sdwa s4, v6, v99 src0_sel:BYTE_1 src1_sel:DWORD
	v_mov_b32_e32 v20, v10
	s_and_saveexec_b32 s9, s4
	s_cbranch_execz .LBB200_1785
; %bb.1780:                             ;   in Loop: Header=BB200_1056 Depth=1
	v_mov_b32_e32 v7, 0xffff
	v_mov_b32_e32 v12, v9
	;; [unrolled: 1-line block ×3, first 2 shown]
	s_mov_b32 s15, exec_lo
	v_and_b32_sdwa v7, v7, v6 dst_sel:DWORD dst_unused:UNUSED_PAD src0_sel:DWORD src1_sel:BYTE_1
	v_mov_b32_e32 v20, v12
	v_and_b32_e32 v10, 0x7f, v7
	v_cmpx_ne_u32_e32 0x7f, v10
	s_cbranch_execz .LBB200_1784
; %bb.1781:                             ;   in Loop: Header=BB200_1056 Depth=1
	v_and_b32_e32 v8, 7, v7
	v_lshrrev_b32_e32 v7, 3, v10
	s_mov_b32 s18, exec_lo
	v_cmpx_gt_u32_e32 8, v10
; %bb.1782:                             ;   in Loop: Header=BB200_1056 Depth=1
	v_ffbh_u32_e32 v7, v8
	v_min_u32_e32 v7, 32, v7
	v_subrev_nc_u32_e32 v10, 28, v7
	v_sub_nc_u32_e32 v7, 29, v7
	v_lshlrev_b64 v[20:21], v10, v[8:9]
	v_and_b32_e32 v8, 7, v20
; %bb.1783:                             ;   in Loop: Header=BB200_1056 Depth=1
	s_or_b32 exec_lo, exec_lo, s18
	v_lshlrev_b32_e32 v10, 16, v6
	v_lshlrev_b32_e32 v8, 20, v8
	v_lshl_add_u32 v7, v7, 23, 0x3c000000
	v_mov_b32_e32 v20, v9
	v_and_b32_e32 v10, 0x80000000, v10
	v_or3_b32 v21, v8, v10, v7
.LBB200_1784:                           ;   in Loop: Header=BB200_1056 Depth=1
	s_or_b32 exec_lo, exec_lo, s15
.LBB200_1785:                           ;   in Loop: Header=BB200_1056 Depth=1
	s_or_b32 exec_lo, exec_lo, s9
.LBB200_1786:                           ;   in Loop: Header=BB200_1056 Depth=1
	s_or_b32 exec_lo, exec_lo, s7
	v_mov_b32_e32 v22, 0
	v_mov_b32_e32 v24, 0
	v_and_b32_sdwa v7, v6, v101 dst_sel:DWORD dst_unused:UNUSED_PAD src0_sel:WORD_1 src1_sel:DWORD
	v_mov_b32_e32 v23, 0
	v_mov_b32_e32 v25, 0
	s_mov_b32 s7, exec_lo
	v_cmpx_ne_u16_e32 0, v7
	s_cbranch_execz .LBB200_1794
; %bb.1787:                             ;   in Loop: Header=BB200_1056 Depth=1
	v_bfrev_b32_e32 v24, 1
	v_mov_b32_e32 v25, 0
	s_mov_b32 s9, exec_lo
	v_cmpx_ne_u16_e32 0x80, v7
	s_cbranch_execz .LBB200_1793
; %bb.1788:                             ;   in Loop: Header=BB200_1056 Depth=1
	v_mov_b32_e32 v24, 0x7f800001
	v_bfe_u32 v10, v6, 16, 7
	v_mov_b32_e32 v25, 0
	s_mov_b32 s15, exec_lo
	v_cmpx_ne_u32_e32 0x7f, v10
	s_cbranch_execz .LBB200_1792
; %bb.1789:                             ;   in Loop: Header=BB200_1056 Depth=1
	v_mov_b32_e32 v7, 7
	s_mov_b32 s18, exec_lo
	v_and_b32_sdwa v8, v6, v7 dst_sel:DWORD dst_unused:UNUSED_PAD src0_sel:WORD_1 src1_sel:DWORD
	v_lshrrev_b32_e32 v7, 3, v10
	v_cmpx_gt_u32_e32 8, v10
; %bb.1790:                             ;   in Loop: Header=BB200_1056 Depth=1
	v_ffbh_u32_e32 v7, v8
	v_min_u32_e32 v7, 32, v7
	v_subrev_nc_u32_e32 v10, 28, v7
	v_sub_nc_u32_e32 v7, 29, v7
	v_lshlrev_b64 v[24:25], v10, v[8:9]
	v_and_b32_e32 v8, 7, v24
; %bb.1791:                             ;   in Loop: Header=BB200_1056 Depth=1
	s_or_b32 exec_lo, exec_lo, s18
	v_mov_b32_e32 v10, 24
	v_lshlrev_b32_e32 v8, 20, v8
	v_lshl_add_u32 v7, v7, 23, 0x3c000000
	v_lshlrev_b32_sdwa v10, v10, v6 dst_sel:DWORD dst_unused:UNUSED_PAD src0_sel:DWORD src1_sel:WORD_1
	v_and_b32_e32 v10, 0x80000000, v10
	v_or3_b32 v8, v8, v10, v7
	v_mov_b32_e32 v25, v9
	v_mov_b32_e32 v24, v8
.LBB200_1792:                           ;   in Loop: Header=BB200_1056 Depth=1
	s_or_b32 exec_lo, exec_lo, s15
.LBB200_1793:                           ;   in Loop: Header=BB200_1056 Depth=1
	s_or_b32 exec_lo, exec_lo, s9
.LBB200_1794:                           ;   in Loop: Header=BB200_1056 Depth=1
	s_or_b32 exec_lo, exec_lo, s7
	s_mov_b32 s7, exec_lo
	v_cmpx_lt_u32_e32 0xffffff, v6
	s_cbranch_execz .LBB200_1802
; %bb.1795:                             ;   in Loop: Header=BB200_1056 Depth=1
	v_mov_b32_e32 v10, v9
	v_mov_b32_e32 v23, v11
	v_cmp_ne_u32_sdwa s4, v6, v99 src0_sel:BYTE_3 src1_sel:DWORD
	v_mov_b32_e32 v22, v10
	s_and_saveexec_b32 s9, s4
	s_cbranch_execz .LBB200_1801
; %bb.1796:                             ;   in Loop: Header=BB200_1056 Depth=1
	v_mov_b32_e32 v12, v9
	v_mov_b32_e32 v23, v13
	v_bfe_u32 v10, v6, 24, 7
	s_mov_b32 s15, exec_lo
	v_mov_b32_e32 v22, v12
	v_cmpx_ne_u32_e32 0x7f, v10
	s_cbranch_execz .LBB200_1800
; %bb.1797:                             ;   in Loop: Header=BB200_1056 Depth=1
	v_mov_b32_e32 v7, 7
	s_mov_b32 s18, exec_lo
	v_and_b32_sdwa v8, v6, v7 dst_sel:DWORD dst_unused:UNUSED_PAD src0_sel:BYTE_3 src1_sel:DWORD
	v_lshrrev_b32_e32 v7, 3, v10
	v_cmpx_gt_u32_e32 8, v10
; %bb.1798:                             ;   in Loop: Header=BB200_1056 Depth=1
	v_ffbh_u32_e32 v7, v8
	v_min_u32_e32 v7, 32, v7
	v_subrev_nc_u32_e32 v10, 28, v7
	v_sub_nc_u32_e32 v7, 29, v7
	v_lshlrev_b64 v[22:23], v10, v[8:9]
	v_and_b32_e32 v8, 7, v22
; %bb.1799:                             ;   in Loop: Header=BB200_1056 Depth=1
	s_or_b32 exec_lo, exec_lo, s18
	v_mov_b32_e32 v10, 24
	v_lshlrev_b32_e32 v8, 20, v8
	v_lshl_add_u32 v7, v7, 23, 0x3c000000
	v_mov_b32_e32 v22, v9
	v_lshlrev_b32_sdwa v6, v10, v6 dst_sel:DWORD dst_unused:UNUSED_PAD src0_sel:DWORD src1_sel:BYTE_3
	v_and_b32_e32 v6, 0x80000000, v6
	v_or3_b32 v23, v8, v6, v7
.LBB200_1800:                           ;   in Loop: Header=BB200_1056 Depth=1
	s_or_b32 exec_lo, exec_lo, s15
.LBB200_1801:                           ;   in Loop: Header=BB200_1056 Depth=1
	s_or_b32 exec_lo, exec_lo, s9
.LBB200_1802:                           ;   in Loop: Header=BB200_1056 Depth=1
	s_or_b32 exec_lo, exec_lo, s7
	v_or_b32_e32 v6, v21, v19
	v_or_b32_e32 v7, v20, v18
	;; [unrolled: 1-line block ×4, first 2 shown]
	v_mul_f32_e32 v102, v114, v6
	v_mul_f32_e32 v100, v96, v7
	;; [unrolled: 1-line block ×4, first 2 shown]
	s_and_saveexec_b32 s7, vcc_lo
	s_cbranch_execz .LBB200_1804
; %bb.1803:                             ;   in Loop: Header=BB200_1056 Depth=1
	buffer_load_dword v6, off, s[0:3], s32 offset:200 ; 4-byte Folded Reload
	s_waitcnt vmcnt(0)
	v_cmp_lt_i32_e64 s4, v47, v6
	v_cndmask_b32_e64 v100, 0, v100, s4
	v_cmp_lt_i32_e64 s4, v57, v6
	v_cndmask_b32_e64 v102, 0, v102, s4
	;; [unrolled: 2-line block ×4, first 2 shown]
.LBB200_1804:                           ;   in Loop: Header=BB200_1056 Depth=1
	s_or_b32 exec_lo, exec_lo, s7
	flat_load_dword v6, v[16:17] offset:768
	v_mov_b32_e32 v20, 0
	v_mov_b32_e32 v18, 0
	;; [unrolled: 1-line block ×4, first 2 shown]
	s_waitcnt vmcnt(0) lgkmcnt(0)
	v_cmp_ne_u16_sdwa s4, v6, v9 src0_sel:BYTE_0 src1_sel:DWORD
	s_and_saveexec_b32 s7, s4
	s_cbranch_execz .LBB200_1812
; %bb.1805:                             ;   in Loop: Header=BB200_1056 Depth=1
	v_bfrev_b32_e32 v18, 1
	v_mov_b32_e32 v19, 0
	v_cmp_ne_u16_sdwa s4, v6, v99 src0_sel:BYTE_0 src1_sel:DWORD
	s_and_saveexec_b32 s9, s4
	s_cbranch_execz .LBB200_1811
; %bb.1806:                             ;   in Loop: Header=BB200_1056 Depth=1
	v_mov_b32_e32 v18, 0x7f800001
	v_and_b32_e32 v10, 0x7f, v6
	v_mov_b32_e32 v19, 0
	s_mov_b32 s15, exec_lo
	v_cmpx_ne_u32_e32 0x7f, v10
	s_cbranch_execz .LBB200_1810
; %bb.1807:                             ;   in Loop: Header=BB200_1056 Depth=1
	v_and_b32_e32 v8, 7, v6
	v_lshrrev_b32_e32 v7, 3, v10
	s_mov_b32 s18, exec_lo
	v_cmpx_gt_u32_e32 8, v10
; %bb.1808:                             ;   in Loop: Header=BB200_1056 Depth=1
	v_ffbh_u32_e32 v7, v8
	v_min_u32_e32 v7, 32, v7
	v_subrev_nc_u32_e32 v10, 28, v7
	v_sub_nc_u32_e32 v7, 29, v7
	v_lshlrev_b64 v[18:19], v10, v[8:9]
	v_and_b32_e32 v8, 7, v18
; %bb.1809:                             ;   in Loop: Header=BB200_1056 Depth=1
	s_or_b32 exec_lo, exec_lo, s18
	v_lshlrev_b32_e32 v10, 24, v6
	v_lshlrev_b32_e32 v8, 20, v8
	v_lshl_add_u32 v7, v7, 23, 0x3c000000
	v_and_b32_e32 v10, 0x80000000, v10
	v_or3_b32 v8, v8, v10, v7
	v_mov_b32_e32 v19, v9
	v_mov_b32_e32 v18, v8
.LBB200_1810:                           ;   in Loop: Header=BB200_1056 Depth=1
	s_or_b32 exec_lo, exec_lo, s15
.LBB200_1811:                           ;   in Loop: Header=BB200_1056 Depth=1
	s_or_b32 exec_lo, exec_lo, s9
.LBB200_1812:                           ;   in Loop: Header=BB200_1056 Depth=1
	s_or_b32 exec_lo, exec_lo, s7
	v_cmp_ne_u16_sdwa s4, v6, v9 src0_sel:BYTE_1 src1_sel:DWORD
	s_and_saveexec_b32 s7, s4
	s_cbranch_execz .LBB200_1820
; %bb.1813:                             ;   in Loop: Header=BB200_1056 Depth=1
	v_mov_b32_e32 v10, v9
	v_mov_b32_e32 v21, v11
	v_cmp_ne_u16_sdwa s4, v6, v99 src0_sel:BYTE_1 src1_sel:DWORD
	v_mov_b32_e32 v20, v10
	s_and_saveexec_b32 s9, s4
	s_cbranch_execz .LBB200_1819
; %bb.1814:                             ;   in Loop: Header=BB200_1056 Depth=1
	v_mov_b32_e32 v7, 0xffff
	v_mov_b32_e32 v12, v9
	;; [unrolled: 1-line block ×3, first 2 shown]
	s_mov_b32 s15, exec_lo
	v_and_b32_sdwa v7, v7, v6 dst_sel:DWORD dst_unused:UNUSED_PAD src0_sel:DWORD src1_sel:BYTE_1
	v_mov_b32_e32 v20, v12
	v_and_b32_e32 v10, 0x7f, v7
	v_cmpx_ne_u32_e32 0x7f, v10
	s_cbranch_execz .LBB200_1818
; %bb.1815:                             ;   in Loop: Header=BB200_1056 Depth=1
	v_and_b32_e32 v8, 7, v7
	v_lshrrev_b32_e32 v7, 3, v10
	s_mov_b32 s18, exec_lo
	v_cmpx_gt_u32_e32 8, v10
; %bb.1816:                             ;   in Loop: Header=BB200_1056 Depth=1
	v_ffbh_u32_e32 v7, v8
	v_min_u32_e32 v7, 32, v7
	v_subrev_nc_u32_e32 v10, 28, v7
	v_sub_nc_u32_e32 v7, 29, v7
	v_lshlrev_b64 v[20:21], v10, v[8:9]
	v_and_b32_e32 v8, 7, v20
; %bb.1817:                             ;   in Loop: Header=BB200_1056 Depth=1
	s_or_b32 exec_lo, exec_lo, s18
	v_lshlrev_b32_e32 v10, 16, v6
	v_lshlrev_b32_e32 v8, 20, v8
	v_lshl_add_u32 v7, v7, 23, 0x3c000000
	v_mov_b32_e32 v20, v9
	v_and_b32_e32 v10, 0x80000000, v10
	v_or3_b32 v21, v8, v10, v7
.LBB200_1818:                           ;   in Loop: Header=BB200_1056 Depth=1
	s_or_b32 exec_lo, exec_lo, s15
.LBB200_1819:                           ;   in Loop: Header=BB200_1056 Depth=1
	s_or_b32 exec_lo, exec_lo, s9
.LBB200_1820:                           ;   in Loop: Header=BB200_1056 Depth=1
	s_or_b32 exec_lo, exec_lo, s7
	v_mov_b32_e32 v22, 0
	v_mov_b32_e32 v24, 0
	v_and_b32_sdwa v7, v6, v101 dst_sel:DWORD dst_unused:UNUSED_PAD src0_sel:WORD_1 src1_sel:DWORD
	v_mov_b32_e32 v23, 0
	v_mov_b32_e32 v25, 0
	s_mov_b32 s7, exec_lo
	v_cmpx_ne_u16_e32 0, v7
	s_cbranch_execz .LBB200_1828
; %bb.1821:                             ;   in Loop: Header=BB200_1056 Depth=1
	v_bfrev_b32_e32 v24, 1
	v_mov_b32_e32 v25, 0
	s_mov_b32 s9, exec_lo
	v_cmpx_ne_u16_e32 0x80, v7
	s_cbranch_execz .LBB200_1827
; %bb.1822:                             ;   in Loop: Header=BB200_1056 Depth=1
	v_mov_b32_e32 v24, 0x7f800001
	v_bfe_u32 v10, v6, 16, 7
	v_mov_b32_e32 v25, 0
	s_mov_b32 s15, exec_lo
	v_cmpx_ne_u32_e32 0x7f, v10
	s_cbranch_execz .LBB200_1826
; %bb.1823:                             ;   in Loop: Header=BB200_1056 Depth=1
	v_mov_b32_e32 v7, 7
	s_mov_b32 s18, exec_lo
	v_and_b32_sdwa v8, v6, v7 dst_sel:DWORD dst_unused:UNUSED_PAD src0_sel:WORD_1 src1_sel:DWORD
	v_lshrrev_b32_e32 v7, 3, v10
	v_cmpx_gt_u32_e32 8, v10
; %bb.1824:                             ;   in Loop: Header=BB200_1056 Depth=1
	v_ffbh_u32_e32 v7, v8
	v_min_u32_e32 v7, 32, v7
	v_subrev_nc_u32_e32 v10, 28, v7
	v_sub_nc_u32_e32 v7, 29, v7
	v_lshlrev_b64 v[24:25], v10, v[8:9]
	v_and_b32_e32 v8, 7, v24
; %bb.1825:                             ;   in Loop: Header=BB200_1056 Depth=1
	s_or_b32 exec_lo, exec_lo, s18
	v_mov_b32_e32 v10, 24
	v_lshlrev_b32_e32 v8, 20, v8
	v_lshl_add_u32 v7, v7, 23, 0x3c000000
	v_lshlrev_b32_sdwa v10, v10, v6 dst_sel:DWORD dst_unused:UNUSED_PAD src0_sel:DWORD src1_sel:WORD_1
	v_and_b32_e32 v10, 0x80000000, v10
	v_or3_b32 v8, v8, v10, v7
	v_mov_b32_e32 v25, v9
	v_mov_b32_e32 v24, v8
.LBB200_1826:                           ;   in Loop: Header=BB200_1056 Depth=1
	s_or_b32 exec_lo, exec_lo, s15
.LBB200_1827:                           ;   in Loop: Header=BB200_1056 Depth=1
	s_or_b32 exec_lo, exec_lo, s9
.LBB200_1828:                           ;   in Loop: Header=BB200_1056 Depth=1
	s_or_b32 exec_lo, exec_lo, s7
	s_mov_b32 s7, exec_lo
	v_cmpx_lt_u32_e32 0xffffff, v6
	s_cbranch_execz .LBB200_1836
; %bb.1829:                             ;   in Loop: Header=BB200_1056 Depth=1
	v_mov_b32_e32 v10, v9
	v_mov_b32_e32 v23, v11
	v_cmp_ne_u32_sdwa s4, v6, v99 src0_sel:BYTE_3 src1_sel:DWORD
	v_mov_b32_e32 v22, v10
	s_and_saveexec_b32 s9, s4
	s_cbranch_execz .LBB200_1835
; %bb.1830:                             ;   in Loop: Header=BB200_1056 Depth=1
	v_mov_b32_e32 v12, v9
	v_mov_b32_e32 v23, v13
	v_bfe_u32 v10, v6, 24, 7
	s_mov_b32 s15, exec_lo
	v_mov_b32_e32 v22, v12
	v_cmpx_ne_u32_e32 0x7f, v10
	s_cbranch_execz .LBB200_1834
; %bb.1831:                             ;   in Loop: Header=BB200_1056 Depth=1
	v_mov_b32_e32 v7, 7
	s_mov_b32 s18, exec_lo
	v_and_b32_sdwa v8, v6, v7 dst_sel:DWORD dst_unused:UNUSED_PAD src0_sel:BYTE_3 src1_sel:DWORD
	v_lshrrev_b32_e32 v7, 3, v10
	v_cmpx_gt_u32_e32 8, v10
; %bb.1832:                             ;   in Loop: Header=BB200_1056 Depth=1
	v_ffbh_u32_e32 v7, v8
	v_min_u32_e32 v7, 32, v7
	v_subrev_nc_u32_e32 v10, 28, v7
	v_sub_nc_u32_e32 v7, 29, v7
	v_lshlrev_b64 v[22:23], v10, v[8:9]
	v_and_b32_e32 v8, 7, v22
; %bb.1833:                             ;   in Loop: Header=BB200_1056 Depth=1
	s_or_b32 exec_lo, exec_lo, s18
	v_mov_b32_e32 v10, 24
	v_lshlrev_b32_e32 v8, 20, v8
	v_lshl_add_u32 v7, v7, 23, 0x3c000000
	v_mov_b32_e32 v22, v9
	v_lshlrev_b32_sdwa v6, v10, v6 dst_sel:DWORD dst_unused:UNUSED_PAD src0_sel:DWORD src1_sel:BYTE_3
	v_and_b32_e32 v6, 0x80000000, v6
	v_or3_b32 v23, v8, v6, v7
.LBB200_1834:                           ;   in Loop: Header=BB200_1056 Depth=1
	s_or_b32 exec_lo, exec_lo, s15
.LBB200_1835:                           ;   in Loop: Header=BB200_1056 Depth=1
	s_or_b32 exec_lo, exec_lo, s9
.LBB200_1836:                           ;   in Loop: Header=BB200_1056 Depth=1
	s_or_b32 exec_lo, exec_lo, s7
	v_or_b32_e32 v6, v21, v19
	v_or_b32_e32 v7, v20, v18
	;; [unrolled: 1-line block ×4, first 2 shown]
	v_mul_f32_e32 v92, v114, v6
	v_mul_f32_e32 v91, v96, v7
	;; [unrolled: 1-line block ×4, first 2 shown]
	s_and_saveexec_b32 s7, vcc_lo
	s_cbranch_execz .LBB200_1838
; %bb.1837:                             ;   in Loop: Header=BB200_1056 Depth=1
	buffer_load_dword v6, off, s[0:3], s32 offset:200 ; 4-byte Folded Reload
	s_waitcnt vmcnt(0)
	v_cmp_lt_i32_e64 s4, v47, v6
	v_cndmask_b32_e64 v91, 0, v91, s4
	v_cmp_lt_i32_e64 s4, v57, v6
	v_cndmask_b32_e64 v92, 0, v92, s4
	;; [unrolled: 2-line block ×4, first 2 shown]
.LBB200_1838:                           ;   in Loop: Header=BB200_1056 Depth=1
	s_or_b32 exec_lo, exec_lo, s7
	flat_load_dword v6, v[16:17] offset:896
	v_mov_b32_e32 v20, 0
	v_mov_b32_e32 v18, 0
	;; [unrolled: 1-line block ×4, first 2 shown]
	s_waitcnt vmcnt(0) lgkmcnt(0)
	v_cmp_ne_u16_sdwa s4, v6, v9 src0_sel:BYTE_0 src1_sel:DWORD
	s_and_saveexec_b32 s7, s4
	s_cbranch_execz .LBB200_1846
; %bb.1839:                             ;   in Loop: Header=BB200_1056 Depth=1
	v_bfrev_b32_e32 v18, 1
	v_mov_b32_e32 v19, 0
	v_cmp_ne_u16_sdwa s4, v6, v99 src0_sel:BYTE_0 src1_sel:DWORD
	s_and_saveexec_b32 s9, s4
	s_cbranch_execz .LBB200_1845
; %bb.1840:                             ;   in Loop: Header=BB200_1056 Depth=1
	v_mov_b32_e32 v18, 0x7f800001
	v_and_b32_e32 v10, 0x7f, v6
	v_mov_b32_e32 v19, 0
	s_mov_b32 s15, exec_lo
	v_cmpx_ne_u32_e32 0x7f, v10
	s_cbranch_execz .LBB200_1844
; %bb.1841:                             ;   in Loop: Header=BB200_1056 Depth=1
	v_and_b32_e32 v8, 7, v6
	v_lshrrev_b32_e32 v7, 3, v10
	s_mov_b32 s18, exec_lo
	v_cmpx_gt_u32_e32 8, v10
; %bb.1842:                             ;   in Loop: Header=BB200_1056 Depth=1
	v_ffbh_u32_e32 v7, v8
	v_min_u32_e32 v7, 32, v7
	v_subrev_nc_u32_e32 v10, 28, v7
	v_sub_nc_u32_e32 v7, 29, v7
	v_lshlrev_b64 v[18:19], v10, v[8:9]
	v_and_b32_e32 v8, 7, v18
; %bb.1843:                             ;   in Loop: Header=BB200_1056 Depth=1
	s_or_b32 exec_lo, exec_lo, s18
	v_lshlrev_b32_e32 v10, 24, v6
	v_lshlrev_b32_e32 v8, 20, v8
	v_lshl_add_u32 v7, v7, 23, 0x3c000000
	v_and_b32_e32 v10, 0x80000000, v10
	v_or3_b32 v8, v8, v10, v7
	v_mov_b32_e32 v19, v9
	v_mov_b32_e32 v18, v8
.LBB200_1844:                           ;   in Loop: Header=BB200_1056 Depth=1
	s_or_b32 exec_lo, exec_lo, s15
.LBB200_1845:                           ;   in Loop: Header=BB200_1056 Depth=1
	s_or_b32 exec_lo, exec_lo, s9
.LBB200_1846:                           ;   in Loop: Header=BB200_1056 Depth=1
	s_or_b32 exec_lo, exec_lo, s7
	v_cmp_ne_u16_sdwa s4, v6, v9 src0_sel:BYTE_1 src1_sel:DWORD
	s_and_saveexec_b32 s7, s4
	s_cbranch_execz .LBB200_1854
; %bb.1847:                             ;   in Loop: Header=BB200_1056 Depth=1
	v_mov_b32_e32 v10, v9
	v_mov_b32_e32 v21, v11
	v_cmp_ne_u16_sdwa s4, v6, v99 src0_sel:BYTE_1 src1_sel:DWORD
	v_mov_b32_e32 v20, v10
	s_and_saveexec_b32 s9, s4
	s_cbranch_execz .LBB200_1853
; %bb.1848:                             ;   in Loop: Header=BB200_1056 Depth=1
	v_mov_b32_e32 v7, 0xffff
	v_mov_b32_e32 v12, v9
	;; [unrolled: 1-line block ×3, first 2 shown]
	s_mov_b32 s15, exec_lo
	v_and_b32_sdwa v7, v7, v6 dst_sel:DWORD dst_unused:UNUSED_PAD src0_sel:DWORD src1_sel:BYTE_1
	v_mov_b32_e32 v20, v12
	v_and_b32_e32 v10, 0x7f, v7
	v_cmpx_ne_u32_e32 0x7f, v10
	s_cbranch_execz .LBB200_1852
; %bb.1849:                             ;   in Loop: Header=BB200_1056 Depth=1
	v_and_b32_e32 v8, 7, v7
	v_lshrrev_b32_e32 v7, 3, v10
	s_mov_b32 s18, exec_lo
	v_cmpx_gt_u32_e32 8, v10
; %bb.1850:                             ;   in Loop: Header=BB200_1056 Depth=1
	v_ffbh_u32_e32 v7, v8
	v_min_u32_e32 v7, 32, v7
	v_subrev_nc_u32_e32 v10, 28, v7
	v_sub_nc_u32_e32 v7, 29, v7
	v_lshlrev_b64 v[20:21], v10, v[8:9]
	v_and_b32_e32 v8, 7, v20
; %bb.1851:                             ;   in Loop: Header=BB200_1056 Depth=1
	s_or_b32 exec_lo, exec_lo, s18
	v_lshlrev_b32_e32 v10, 16, v6
	v_lshlrev_b32_e32 v8, 20, v8
	v_lshl_add_u32 v7, v7, 23, 0x3c000000
	v_mov_b32_e32 v20, v9
	v_and_b32_e32 v10, 0x80000000, v10
	v_or3_b32 v21, v8, v10, v7
.LBB200_1852:                           ;   in Loop: Header=BB200_1056 Depth=1
	s_or_b32 exec_lo, exec_lo, s15
.LBB200_1853:                           ;   in Loop: Header=BB200_1056 Depth=1
	s_or_b32 exec_lo, exec_lo, s9
.LBB200_1854:                           ;   in Loop: Header=BB200_1056 Depth=1
	s_or_b32 exec_lo, exec_lo, s7
	v_mov_b32_e32 v22, 0
	v_mov_b32_e32 v24, 0
	v_and_b32_sdwa v7, v6, v101 dst_sel:DWORD dst_unused:UNUSED_PAD src0_sel:WORD_1 src1_sel:DWORD
	v_mov_b32_e32 v23, 0
	v_mov_b32_e32 v25, 0
	s_mov_b32 s7, exec_lo
	v_cmpx_ne_u16_e32 0, v7
	s_cbranch_execz .LBB200_1862
; %bb.1855:                             ;   in Loop: Header=BB200_1056 Depth=1
	v_bfrev_b32_e32 v24, 1
	v_mov_b32_e32 v25, 0
	s_mov_b32 s9, exec_lo
	v_cmpx_ne_u16_e32 0x80, v7
	s_cbranch_execz .LBB200_1861
; %bb.1856:                             ;   in Loop: Header=BB200_1056 Depth=1
	v_mov_b32_e32 v24, 0x7f800001
	v_bfe_u32 v10, v6, 16, 7
	v_mov_b32_e32 v25, 0
	s_mov_b32 s15, exec_lo
	v_cmpx_ne_u32_e32 0x7f, v10
	s_cbranch_execz .LBB200_1860
; %bb.1857:                             ;   in Loop: Header=BB200_1056 Depth=1
	v_mov_b32_e32 v7, 7
	s_mov_b32 s18, exec_lo
	v_and_b32_sdwa v8, v6, v7 dst_sel:DWORD dst_unused:UNUSED_PAD src0_sel:WORD_1 src1_sel:DWORD
	v_lshrrev_b32_e32 v7, 3, v10
	v_cmpx_gt_u32_e32 8, v10
; %bb.1858:                             ;   in Loop: Header=BB200_1056 Depth=1
	v_ffbh_u32_e32 v7, v8
	v_min_u32_e32 v7, 32, v7
	v_subrev_nc_u32_e32 v10, 28, v7
	v_sub_nc_u32_e32 v7, 29, v7
	v_lshlrev_b64 v[24:25], v10, v[8:9]
	v_and_b32_e32 v8, 7, v24
; %bb.1859:                             ;   in Loop: Header=BB200_1056 Depth=1
	s_or_b32 exec_lo, exec_lo, s18
	v_mov_b32_e32 v10, 24
	v_lshlrev_b32_e32 v8, 20, v8
	v_lshl_add_u32 v7, v7, 23, 0x3c000000
	v_lshlrev_b32_sdwa v10, v10, v6 dst_sel:DWORD dst_unused:UNUSED_PAD src0_sel:DWORD src1_sel:WORD_1
	v_and_b32_e32 v10, 0x80000000, v10
	v_or3_b32 v8, v8, v10, v7
	v_mov_b32_e32 v25, v9
	v_mov_b32_e32 v24, v8
.LBB200_1860:                           ;   in Loop: Header=BB200_1056 Depth=1
	s_or_b32 exec_lo, exec_lo, s15
.LBB200_1861:                           ;   in Loop: Header=BB200_1056 Depth=1
	s_or_b32 exec_lo, exec_lo, s9
.LBB200_1862:                           ;   in Loop: Header=BB200_1056 Depth=1
	s_or_b32 exec_lo, exec_lo, s7
	s_mov_b32 s7, exec_lo
	v_cmpx_lt_u32_e32 0xffffff, v6
	s_cbranch_execz .LBB200_1870
; %bb.1863:                             ;   in Loop: Header=BB200_1056 Depth=1
	v_mov_b32_e32 v10, v9
	v_mov_b32_e32 v23, v11
	v_cmp_ne_u32_sdwa s4, v6, v99 src0_sel:BYTE_3 src1_sel:DWORD
	v_mov_b32_e32 v22, v10
	s_and_saveexec_b32 s9, s4
	s_cbranch_execz .LBB200_1869
; %bb.1864:                             ;   in Loop: Header=BB200_1056 Depth=1
	v_mov_b32_e32 v12, v9
	v_mov_b32_e32 v23, v13
	v_bfe_u32 v10, v6, 24, 7
	s_mov_b32 s15, exec_lo
	v_mov_b32_e32 v22, v12
	v_cmpx_ne_u32_e32 0x7f, v10
	s_cbranch_execz .LBB200_1868
; %bb.1865:                             ;   in Loop: Header=BB200_1056 Depth=1
	v_mov_b32_e32 v7, 7
	s_mov_b32 s18, exec_lo
	v_and_b32_sdwa v8, v6, v7 dst_sel:DWORD dst_unused:UNUSED_PAD src0_sel:BYTE_3 src1_sel:DWORD
	v_lshrrev_b32_e32 v7, 3, v10
	v_cmpx_gt_u32_e32 8, v10
; %bb.1866:                             ;   in Loop: Header=BB200_1056 Depth=1
	v_ffbh_u32_e32 v7, v8
	v_min_u32_e32 v7, 32, v7
	v_subrev_nc_u32_e32 v10, 28, v7
	v_sub_nc_u32_e32 v7, 29, v7
	v_lshlrev_b64 v[22:23], v10, v[8:9]
	v_and_b32_e32 v8, 7, v22
; %bb.1867:                             ;   in Loop: Header=BB200_1056 Depth=1
	s_or_b32 exec_lo, exec_lo, s18
	v_mov_b32_e32 v10, 24
	v_lshlrev_b32_e32 v8, 20, v8
	v_lshl_add_u32 v7, v7, 23, 0x3c000000
	v_mov_b32_e32 v22, v9
	v_lshlrev_b32_sdwa v6, v10, v6 dst_sel:DWORD dst_unused:UNUSED_PAD src0_sel:DWORD src1_sel:BYTE_3
	v_and_b32_e32 v6, 0x80000000, v6
	v_or3_b32 v23, v8, v6, v7
.LBB200_1868:                           ;   in Loop: Header=BB200_1056 Depth=1
	s_or_b32 exec_lo, exec_lo, s15
.LBB200_1869:                           ;   in Loop: Header=BB200_1056 Depth=1
	s_or_b32 exec_lo, exec_lo, s9
.LBB200_1870:                           ;   in Loop: Header=BB200_1056 Depth=1
	s_or_b32 exec_lo, exec_lo, s7
	v_or_b32_e32 v6, v21, v19
	v_or_b32_e32 v7, v20, v18
	;; [unrolled: 1-line block ×4, first 2 shown]
	v_mul_f32_e32 v104, v114, v6
	v_mul_f32_e32 v95, v96, v7
	;; [unrolled: 1-line block ×4, first 2 shown]
	s_and_saveexec_b32 s7, vcc_lo
	s_cbranch_execz .LBB200_1872
; %bb.1871:                             ;   in Loop: Header=BB200_1056 Depth=1
	buffer_load_dword v6, off, s[0:3], s32 offset:200 ; 4-byte Folded Reload
	s_waitcnt vmcnt(0)
	v_cmp_lt_i32_e64 s4, v47, v6
	v_cndmask_b32_e64 v95, 0, v95, s4
	v_cmp_lt_i32_e64 s4, v57, v6
	v_cndmask_b32_e64 v104, 0, v104, s4
	;; [unrolled: 2-line block ×4, first 2 shown]
.LBB200_1872:                           ;   in Loop: Header=BB200_1056 Depth=1
	s_or_b32 exec_lo, exec_lo, s7
	flat_load_dword v6, v[16:17] offset:1024
	v_mov_b32_e32 v20, 0
	v_mov_b32_e32 v18, 0
	;; [unrolled: 1-line block ×4, first 2 shown]
	s_waitcnt vmcnt(0) lgkmcnt(0)
	v_cmp_ne_u16_sdwa s4, v6, v9 src0_sel:BYTE_0 src1_sel:DWORD
	s_and_saveexec_b32 s7, s4
	s_cbranch_execz .LBB200_1880
; %bb.1873:                             ;   in Loop: Header=BB200_1056 Depth=1
	v_bfrev_b32_e32 v18, 1
	v_mov_b32_e32 v19, 0
	v_cmp_ne_u16_sdwa s4, v6, v99 src0_sel:BYTE_0 src1_sel:DWORD
	s_and_saveexec_b32 s9, s4
	s_cbranch_execz .LBB200_1879
; %bb.1874:                             ;   in Loop: Header=BB200_1056 Depth=1
	v_mov_b32_e32 v18, 0x7f800001
	v_and_b32_e32 v10, 0x7f, v6
	v_mov_b32_e32 v19, 0
	s_mov_b32 s15, exec_lo
	v_cmpx_ne_u32_e32 0x7f, v10
	s_cbranch_execz .LBB200_1878
; %bb.1875:                             ;   in Loop: Header=BB200_1056 Depth=1
	v_and_b32_e32 v8, 7, v6
	v_lshrrev_b32_e32 v7, 3, v10
	s_mov_b32 s18, exec_lo
	v_cmpx_gt_u32_e32 8, v10
; %bb.1876:                             ;   in Loop: Header=BB200_1056 Depth=1
	v_ffbh_u32_e32 v7, v8
	v_min_u32_e32 v7, 32, v7
	v_subrev_nc_u32_e32 v10, 28, v7
	v_sub_nc_u32_e32 v7, 29, v7
	v_lshlrev_b64 v[18:19], v10, v[8:9]
	v_and_b32_e32 v8, 7, v18
; %bb.1877:                             ;   in Loop: Header=BB200_1056 Depth=1
	s_or_b32 exec_lo, exec_lo, s18
	v_lshlrev_b32_e32 v10, 24, v6
	v_lshlrev_b32_e32 v8, 20, v8
	v_lshl_add_u32 v7, v7, 23, 0x3c000000
	v_and_b32_e32 v10, 0x80000000, v10
	v_or3_b32 v8, v8, v10, v7
	v_mov_b32_e32 v19, v9
	v_mov_b32_e32 v18, v8
.LBB200_1878:                           ;   in Loop: Header=BB200_1056 Depth=1
	s_or_b32 exec_lo, exec_lo, s15
.LBB200_1879:                           ;   in Loop: Header=BB200_1056 Depth=1
	s_or_b32 exec_lo, exec_lo, s9
.LBB200_1880:                           ;   in Loop: Header=BB200_1056 Depth=1
	s_or_b32 exec_lo, exec_lo, s7
	v_cmp_ne_u16_sdwa s4, v6, v9 src0_sel:BYTE_1 src1_sel:DWORD
	s_and_saveexec_b32 s7, s4
	s_cbranch_execz .LBB200_1888
; %bb.1881:                             ;   in Loop: Header=BB200_1056 Depth=1
	v_mov_b32_e32 v10, v9
	v_mov_b32_e32 v21, v11
	v_cmp_ne_u16_sdwa s4, v6, v99 src0_sel:BYTE_1 src1_sel:DWORD
	v_mov_b32_e32 v20, v10
	s_and_saveexec_b32 s9, s4
	s_cbranch_execz .LBB200_1887
; %bb.1882:                             ;   in Loop: Header=BB200_1056 Depth=1
	v_mov_b32_e32 v7, 0xffff
	v_mov_b32_e32 v12, v9
	;; [unrolled: 1-line block ×3, first 2 shown]
	s_mov_b32 s15, exec_lo
	v_and_b32_sdwa v7, v7, v6 dst_sel:DWORD dst_unused:UNUSED_PAD src0_sel:DWORD src1_sel:BYTE_1
	v_mov_b32_e32 v20, v12
	v_and_b32_e32 v10, 0x7f, v7
	v_cmpx_ne_u32_e32 0x7f, v10
	s_cbranch_execz .LBB200_1886
; %bb.1883:                             ;   in Loop: Header=BB200_1056 Depth=1
	v_and_b32_e32 v8, 7, v7
	v_lshrrev_b32_e32 v7, 3, v10
	s_mov_b32 s18, exec_lo
	v_cmpx_gt_u32_e32 8, v10
; %bb.1884:                             ;   in Loop: Header=BB200_1056 Depth=1
	v_ffbh_u32_e32 v7, v8
	v_min_u32_e32 v7, 32, v7
	v_subrev_nc_u32_e32 v10, 28, v7
	v_sub_nc_u32_e32 v7, 29, v7
	v_lshlrev_b64 v[20:21], v10, v[8:9]
	v_and_b32_e32 v8, 7, v20
; %bb.1885:                             ;   in Loop: Header=BB200_1056 Depth=1
	s_or_b32 exec_lo, exec_lo, s18
	v_lshlrev_b32_e32 v10, 16, v6
	v_lshlrev_b32_e32 v8, 20, v8
	v_lshl_add_u32 v7, v7, 23, 0x3c000000
	v_mov_b32_e32 v20, v9
	v_and_b32_e32 v10, 0x80000000, v10
	v_or3_b32 v21, v8, v10, v7
.LBB200_1886:                           ;   in Loop: Header=BB200_1056 Depth=1
	s_or_b32 exec_lo, exec_lo, s15
.LBB200_1887:                           ;   in Loop: Header=BB200_1056 Depth=1
	s_or_b32 exec_lo, exec_lo, s9
.LBB200_1888:                           ;   in Loop: Header=BB200_1056 Depth=1
	s_or_b32 exec_lo, exec_lo, s7
	v_mov_b32_e32 v22, 0
	v_mov_b32_e32 v24, 0
	v_and_b32_sdwa v7, v6, v101 dst_sel:DWORD dst_unused:UNUSED_PAD src0_sel:WORD_1 src1_sel:DWORD
	v_mov_b32_e32 v23, 0
	v_mov_b32_e32 v25, 0
	s_mov_b32 s7, exec_lo
	v_cmpx_ne_u16_e32 0, v7
	s_cbranch_execz .LBB200_1896
; %bb.1889:                             ;   in Loop: Header=BB200_1056 Depth=1
	v_bfrev_b32_e32 v24, 1
	v_mov_b32_e32 v25, 0
	s_mov_b32 s9, exec_lo
	v_cmpx_ne_u16_e32 0x80, v7
	s_cbranch_execz .LBB200_1895
; %bb.1890:                             ;   in Loop: Header=BB200_1056 Depth=1
	v_mov_b32_e32 v24, 0x7f800001
	v_bfe_u32 v10, v6, 16, 7
	v_mov_b32_e32 v25, 0
	s_mov_b32 s15, exec_lo
	v_cmpx_ne_u32_e32 0x7f, v10
	s_cbranch_execz .LBB200_1894
; %bb.1891:                             ;   in Loop: Header=BB200_1056 Depth=1
	v_mov_b32_e32 v7, 7
	s_mov_b32 s18, exec_lo
	v_and_b32_sdwa v8, v6, v7 dst_sel:DWORD dst_unused:UNUSED_PAD src0_sel:WORD_1 src1_sel:DWORD
	v_lshrrev_b32_e32 v7, 3, v10
	v_cmpx_gt_u32_e32 8, v10
; %bb.1892:                             ;   in Loop: Header=BB200_1056 Depth=1
	v_ffbh_u32_e32 v7, v8
	v_min_u32_e32 v7, 32, v7
	v_subrev_nc_u32_e32 v10, 28, v7
	v_sub_nc_u32_e32 v7, 29, v7
	v_lshlrev_b64 v[24:25], v10, v[8:9]
	v_and_b32_e32 v8, 7, v24
; %bb.1893:                             ;   in Loop: Header=BB200_1056 Depth=1
	s_or_b32 exec_lo, exec_lo, s18
	v_mov_b32_e32 v10, 24
	v_lshlrev_b32_e32 v8, 20, v8
	v_lshl_add_u32 v7, v7, 23, 0x3c000000
	v_lshlrev_b32_sdwa v10, v10, v6 dst_sel:DWORD dst_unused:UNUSED_PAD src0_sel:DWORD src1_sel:WORD_1
	v_and_b32_e32 v10, 0x80000000, v10
	v_or3_b32 v8, v8, v10, v7
	v_mov_b32_e32 v25, v9
	v_mov_b32_e32 v24, v8
.LBB200_1894:                           ;   in Loop: Header=BB200_1056 Depth=1
	s_or_b32 exec_lo, exec_lo, s15
.LBB200_1895:                           ;   in Loop: Header=BB200_1056 Depth=1
	s_or_b32 exec_lo, exec_lo, s9
.LBB200_1896:                           ;   in Loop: Header=BB200_1056 Depth=1
	s_or_b32 exec_lo, exec_lo, s7
	s_mov_b32 s7, exec_lo
	v_cmpx_lt_u32_e32 0xffffff, v6
	s_cbranch_execz .LBB200_1904
; %bb.1897:                             ;   in Loop: Header=BB200_1056 Depth=1
	v_mov_b32_e32 v10, v9
	v_mov_b32_e32 v23, v11
	v_cmp_ne_u32_sdwa s4, v6, v99 src0_sel:BYTE_3 src1_sel:DWORD
	v_mov_b32_e32 v22, v10
	s_and_saveexec_b32 s9, s4
	s_cbranch_execz .LBB200_1903
; %bb.1898:                             ;   in Loop: Header=BB200_1056 Depth=1
	v_mov_b32_e32 v12, v9
	v_mov_b32_e32 v23, v13
	v_bfe_u32 v10, v6, 24, 7
	s_mov_b32 s15, exec_lo
	v_mov_b32_e32 v22, v12
	v_cmpx_ne_u32_e32 0x7f, v10
	s_cbranch_execz .LBB200_1902
; %bb.1899:                             ;   in Loop: Header=BB200_1056 Depth=1
	v_mov_b32_e32 v7, 7
	s_mov_b32 s18, exec_lo
	v_and_b32_sdwa v8, v6, v7 dst_sel:DWORD dst_unused:UNUSED_PAD src0_sel:BYTE_3 src1_sel:DWORD
	v_lshrrev_b32_e32 v7, 3, v10
	v_cmpx_gt_u32_e32 8, v10
; %bb.1900:                             ;   in Loop: Header=BB200_1056 Depth=1
	v_ffbh_u32_e32 v7, v8
	v_min_u32_e32 v7, 32, v7
	v_subrev_nc_u32_e32 v10, 28, v7
	v_sub_nc_u32_e32 v7, 29, v7
	v_lshlrev_b64 v[22:23], v10, v[8:9]
	v_and_b32_e32 v8, 7, v22
; %bb.1901:                             ;   in Loop: Header=BB200_1056 Depth=1
	s_or_b32 exec_lo, exec_lo, s18
	v_mov_b32_e32 v10, 24
	v_lshlrev_b32_e32 v8, 20, v8
	v_lshl_add_u32 v7, v7, 23, 0x3c000000
	v_mov_b32_e32 v22, v9
	v_lshlrev_b32_sdwa v6, v10, v6 dst_sel:DWORD dst_unused:UNUSED_PAD src0_sel:DWORD src1_sel:BYTE_3
	v_and_b32_e32 v6, 0x80000000, v6
	v_or3_b32 v23, v8, v6, v7
.LBB200_1902:                           ;   in Loop: Header=BB200_1056 Depth=1
	s_or_b32 exec_lo, exec_lo, s15
.LBB200_1903:                           ;   in Loop: Header=BB200_1056 Depth=1
	s_or_b32 exec_lo, exec_lo, s9
.LBB200_1904:                           ;   in Loop: Header=BB200_1056 Depth=1
	s_or_b32 exec_lo, exec_lo, s7
	v_or_b32_e32 v6, v21, v19
	v_or_b32_e32 v7, v20, v18
	;; [unrolled: 1-line block ×4, first 2 shown]
	v_mul_f32_e32 v108, v114, v6
	v_mul_f32_e32 v107, v96, v7
	;; [unrolled: 1-line block ×4, first 2 shown]
	s_and_saveexec_b32 s7, vcc_lo
	s_cbranch_execz .LBB200_1906
; %bb.1905:                             ;   in Loop: Header=BB200_1056 Depth=1
	buffer_load_dword v6, off, s[0:3], s32 offset:200 ; 4-byte Folded Reload
	s_waitcnt vmcnt(0)
	v_cmp_lt_i32_e64 s4, v47, v6
	v_cndmask_b32_e64 v107, 0, v107, s4
	v_cmp_lt_i32_e64 s4, v57, v6
	v_cndmask_b32_e64 v108, 0, v108, s4
	;; [unrolled: 2-line block ×4, first 2 shown]
.LBB200_1906:                           ;   in Loop: Header=BB200_1056 Depth=1
	s_or_b32 exec_lo, exec_lo, s7
	flat_load_dword v6, v[16:17] offset:1152
	v_mov_b32_e32 v20, 0
	v_mov_b32_e32 v18, 0
	;; [unrolled: 1-line block ×4, first 2 shown]
	s_waitcnt vmcnt(0) lgkmcnt(0)
	v_cmp_ne_u16_sdwa s4, v6, v9 src0_sel:BYTE_0 src1_sel:DWORD
	s_and_saveexec_b32 s7, s4
	s_cbranch_execz .LBB200_1914
; %bb.1907:                             ;   in Loop: Header=BB200_1056 Depth=1
	v_bfrev_b32_e32 v18, 1
	v_mov_b32_e32 v19, 0
	v_cmp_ne_u16_sdwa s4, v6, v99 src0_sel:BYTE_0 src1_sel:DWORD
	s_and_saveexec_b32 s9, s4
	s_cbranch_execz .LBB200_1913
; %bb.1908:                             ;   in Loop: Header=BB200_1056 Depth=1
	v_mov_b32_e32 v18, 0x7f800001
	v_and_b32_e32 v10, 0x7f, v6
	v_mov_b32_e32 v19, 0
	s_mov_b32 s15, exec_lo
	v_cmpx_ne_u32_e32 0x7f, v10
	s_cbranch_execz .LBB200_1912
; %bb.1909:                             ;   in Loop: Header=BB200_1056 Depth=1
	v_and_b32_e32 v8, 7, v6
	v_lshrrev_b32_e32 v7, 3, v10
	s_mov_b32 s18, exec_lo
	v_cmpx_gt_u32_e32 8, v10
; %bb.1910:                             ;   in Loop: Header=BB200_1056 Depth=1
	v_ffbh_u32_e32 v7, v8
	v_min_u32_e32 v7, 32, v7
	v_subrev_nc_u32_e32 v10, 28, v7
	v_sub_nc_u32_e32 v7, 29, v7
	v_lshlrev_b64 v[18:19], v10, v[8:9]
	v_and_b32_e32 v8, 7, v18
; %bb.1911:                             ;   in Loop: Header=BB200_1056 Depth=1
	s_or_b32 exec_lo, exec_lo, s18
	v_lshlrev_b32_e32 v10, 24, v6
	v_lshlrev_b32_e32 v8, 20, v8
	v_lshl_add_u32 v7, v7, 23, 0x3c000000
	v_and_b32_e32 v10, 0x80000000, v10
	v_or3_b32 v8, v8, v10, v7
	v_mov_b32_e32 v19, v9
	v_mov_b32_e32 v18, v8
.LBB200_1912:                           ;   in Loop: Header=BB200_1056 Depth=1
	s_or_b32 exec_lo, exec_lo, s15
.LBB200_1913:                           ;   in Loop: Header=BB200_1056 Depth=1
	s_or_b32 exec_lo, exec_lo, s9
.LBB200_1914:                           ;   in Loop: Header=BB200_1056 Depth=1
	s_or_b32 exec_lo, exec_lo, s7
	v_cmp_ne_u16_sdwa s4, v6, v9 src0_sel:BYTE_1 src1_sel:DWORD
	s_and_saveexec_b32 s7, s4
	s_cbranch_execz .LBB200_1922
; %bb.1915:                             ;   in Loop: Header=BB200_1056 Depth=1
	v_mov_b32_e32 v10, v9
	v_mov_b32_e32 v21, v11
	v_cmp_ne_u16_sdwa s4, v6, v99 src0_sel:BYTE_1 src1_sel:DWORD
	v_mov_b32_e32 v20, v10
	s_and_saveexec_b32 s9, s4
	s_cbranch_execz .LBB200_1921
; %bb.1916:                             ;   in Loop: Header=BB200_1056 Depth=1
	v_mov_b32_e32 v7, 0xffff
	v_mov_b32_e32 v12, v9
	;; [unrolled: 1-line block ×3, first 2 shown]
	s_mov_b32 s15, exec_lo
	v_and_b32_sdwa v7, v7, v6 dst_sel:DWORD dst_unused:UNUSED_PAD src0_sel:DWORD src1_sel:BYTE_1
	v_mov_b32_e32 v20, v12
	v_and_b32_e32 v10, 0x7f, v7
	v_cmpx_ne_u32_e32 0x7f, v10
	s_cbranch_execz .LBB200_1920
; %bb.1917:                             ;   in Loop: Header=BB200_1056 Depth=1
	v_and_b32_e32 v8, 7, v7
	v_lshrrev_b32_e32 v7, 3, v10
	s_mov_b32 s18, exec_lo
	v_cmpx_gt_u32_e32 8, v10
; %bb.1918:                             ;   in Loop: Header=BB200_1056 Depth=1
	v_ffbh_u32_e32 v7, v8
	v_min_u32_e32 v7, 32, v7
	v_subrev_nc_u32_e32 v10, 28, v7
	v_sub_nc_u32_e32 v7, 29, v7
	v_lshlrev_b64 v[20:21], v10, v[8:9]
	v_and_b32_e32 v8, 7, v20
; %bb.1919:                             ;   in Loop: Header=BB200_1056 Depth=1
	s_or_b32 exec_lo, exec_lo, s18
	v_lshlrev_b32_e32 v10, 16, v6
	v_lshlrev_b32_e32 v8, 20, v8
	v_lshl_add_u32 v7, v7, 23, 0x3c000000
	v_mov_b32_e32 v20, v9
	v_and_b32_e32 v10, 0x80000000, v10
	v_or3_b32 v21, v8, v10, v7
.LBB200_1920:                           ;   in Loop: Header=BB200_1056 Depth=1
	s_or_b32 exec_lo, exec_lo, s15
.LBB200_1921:                           ;   in Loop: Header=BB200_1056 Depth=1
	s_or_b32 exec_lo, exec_lo, s9
.LBB200_1922:                           ;   in Loop: Header=BB200_1056 Depth=1
	s_or_b32 exec_lo, exec_lo, s7
	v_mov_b32_e32 v22, 0
	v_mov_b32_e32 v24, 0
	v_and_b32_sdwa v7, v6, v101 dst_sel:DWORD dst_unused:UNUSED_PAD src0_sel:WORD_1 src1_sel:DWORD
	v_mov_b32_e32 v23, 0
	v_mov_b32_e32 v25, 0
	s_mov_b32 s7, exec_lo
	v_cmpx_ne_u16_e32 0, v7
	s_cbranch_execz .LBB200_1930
; %bb.1923:                             ;   in Loop: Header=BB200_1056 Depth=1
	v_bfrev_b32_e32 v24, 1
	v_mov_b32_e32 v25, 0
	s_mov_b32 s9, exec_lo
	v_cmpx_ne_u16_e32 0x80, v7
	s_cbranch_execz .LBB200_1929
; %bb.1924:                             ;   in Loop: Header=BB200_1056 Depth=1
	v_mov_b32_e32 v24, 0x7f800001
	v_bfe_u32 v10, v6, 16, 7
	v_mov_b32_e32 v25, 0
	s_mov_b32 s15, exec_lo
	v_cmpx_ne_u32_e32 0x7f, v10
	s_cbranch_execz .LBB200_1928
; %bb.1925:                             ;   in Loop: Header=BB200_1056 Depth=1
	v_mov_b32_e32 v7, 7
	s_mov_b32 s18, exec_lo
	v_and_b32_sdwa v8, v6, v7 dst_sel:DWORD dst_unused:UNUSED_PAD src0_sel:WORD_1 src1_sel:DWORD
	v_lshrrev_b32_e32 v7, 3, v10
	v_cmpx_gt_u32_e32 8, v10
; %bb.1926:                             ;   in Loop: Header=BB200_1056 Depth=1
	v_ffbh_u32_e32 v7, v8
	v_min_u32_e32 v7, 32, v7
	v_subrev_nc_u32_e32 v10, 28, v7
	v_sub_nc_u32_e32 v7, 29, v7
	v_lshlrev_b64 v[24:25], v10, v[8:9]
	v_and_b32_e32 v8, 7, v24
; %bb.1927:                             ;   in Loop: Header=BB200_1056 Depth=1
	s_or_b32 exec_lo, exec_lo, s18
	v_mov_b32_e32 v10, 24
	v_lshlrev_b32_e32 v8, 20, v8
	v_lshl_add_u32 v7, v7, 23, 0x3c000000
	v_lshlrev_b32_sdwa v10, v10, v6 dst_sel:DWORD dst_unused:UNUSED_PAD src0_sel:DWORD src1_sel:WORD_1
	v_and_b32_e32 v10, 0x80000000, v10
	v_or3_b32 v8, v8, v10, v7
	v_mov_b32_e32 v25, v9
	v_mov_b32_e32 v24, v8
.LBB200_1928:                           ;   in Loop: Header=BB200_1056 Depth=1
	s_or_b32 exec_lo, exec_lo, s15
.LBB200_1929:                           ;   in Loop: Header=BB200_1056 Depth=1
	s_or_b32 exec_lo, exec_lo, s9
.LBB200_1930:                           ;   in Loop: Header=BB200_1056 Depth=1
	s_or_b32 exec_lo, exec_lo, s7
	s_mov_b32 s7, exec_lo
	v_cmpx_lt_u32_e32 0xffffff, v6
	s_cbranch_execz .LBB200_1938
; %bb.1931:                             ;   in Loop: Header=BB200_1056 Depth=1
	v_mov_b32_e32 v10, v9
	v_mov_b32_e32 v23, v11
	v_cmp_ne_u32_sdwa s4, v6, v99 src0_sel:BYTE_3 src1_sel:DWORD
	v_mov_b32_e32 v22, v10
	s_and_saveexec_b32 s9, s4
	s_cbranch_execz .LBB200_1937
; %bb.1932:                             ;   in Loop: Header=BB200_1056 Depth=1
	v_mov_b32_e32 v12, v9
	v_mov_b32_e32 v23, v13
	v_bfe_u32 v10, v6, 24, 7
	s_mov_b32 s15, exec_lo
	v_mov_b32_e32 v22, v12
	v_cmpx_ne_u32_e32 0x7f, v10
	s_cbranch_execz .LBB200_1936
; %bb.1933:                             ;   in Loop: Header=BB200_1056 Depth=1
	v_mov_b32_e32 v7, 7
	s_mov_b32 s18, exec_lo
	v_and_b32_sdwa v8, v6, v7 dst_sel:DWORD dst_unused:UNUSED_PAD src0_sel:BYTE_3 src1_sel:DWORD
	v_lshrrev_b32_e32 v7, 3, v10
	v_cmpx_gt_u32_e32 8, v10
; %bb.1934:                             ;   in Loop: Header=BB200_1056 Depth=1
	v_ffbh_u32_e32 v7, v8
	v_min_u32_e32 v7, 32, v7
	v_subrev_nc_u32_e32 v10, 28, v7
	v_sub_nc_u32_e32 v7, 29, v7
	v_lshlrev_b64 v[22:23], v10, v[8:9]
	v_and_b32_e32 v8, 7, v22
; %bb.1935:                             ;   in Loop: Header=BB200_1056 Depth=1
	s_or_b32 exec_lo, exec_lo, s18
	v_mov_b32_e32 v10, 24
	v_lshlrev_b32_e32 v8, 20, v8
	v_lshl_add_u32 v7, v7, 23, 0x3c000000
	v_mov_b32_e32 v22, v9
	v_lshlrev_b32_sdwa v6, v10, v6 dst_sel:DWORD dst_unused:UNUSED_PAD src0_sel:DWORD src1_sel:BYTE_3
	v_and_b32_e32 v6, 0x80000000, v6
	v_or3_b32 v23, v8, v6, v7
.LBB200_1936:                           ;   in Loop: Header=BB200_1056 Depth=1
	s_or_b32 exec_lo, exec_lo, s15
.LBB200_1937:                           ;   in Loop: Header=BB200_1056 Depth=1
	s_or_b32 exec_lo, exec_lo, s9
.LBB200_1938:                           ;   in Loop: Header=BB200_1056 Depth=1
	s_or_b32 exec_lo, exec_lo, s7
	v_or_b32_e32 v6, v21, v19
	v_or_b32_e32 v7, v20, v18
	;; [unrolled: 1-line block ×4, first 2 shown]
	v_mul_f32_e32 v120, v114, v6
	v_mul_f32_e32 v111, v96, v7
	;; [unrolled: 1-line block ×4, first 2 shown]
	s_and_saveexec_b32 s7, vcc_lo
	s_cbranch_execz .LBB200_1940
; %bb.1939:                             ;   in Loop: Header=BB200_1056 Depth=1
	buffer_load_dword v6, off, s[0:3], s32 offset:200 ; 4-byte Folded Reload
	s_waitcnt vmcnt(0)
	v_cmp_lt_i32_e64 s4, v47, v6
	v_cndmask_b32_e64 v111, 0, v111, s4
	v_cmp_lt_i32_e64 s4, v57, v6
	v_cndmask_b32_e64 v120, 0, v120, s4
	;; [unrolled: 2-line block ×4, first 2 shown]
.LBB200_1940:                           ;   in Loop: Header=BB200_1056 Depth=1
	s_or_b32 exec_lo, exec_lo, s7
	flat_load_dword v6, v[16:17] offset:1280
	v_mov_b32_e32 v20, 0
	v_mov_b32_e32 v18, 0
	;; [unrolled: 1-line block ×4, first 2 shown]
	s_waitcnt vmcnt(0) lgkmcnt(0)
	v_cmp_ne_u16_sdwa s4, v6, v9 src0_sel:BYTE_0 src1_sel:DWORD
	s_and_saveexec_b32 s7, s4
	s_cbranch_execz .LBB200_1948
; %bb.1941:                             ;   in Loop: Header=BB200_1056 Depth=1
	v_bfrev_b32_e32 v18, 1
	v_mov_b32_e32 v19, 0
	v_cmp_ne_u16_sdwa s4, v6, v99 src0_sel:BYTE_0 src1_sel:DWORD
	s_and_saveexec_b32 s9, s4
	s_cbranch_execz .LBB200_1947
; %bb.1942:                             ;   in Loop: Header=BB200_1056 Depth=1
	v_mov_b32_e32 v18, 0x7f800001
	v_and_b32_e32 v10, 0x7f, v6
	v_mov_b32_e32 v19, 0
	s_mov_b32 s15, exec_lo
	v_cmpx_ne_u32_e32 0x7f, v10
	s_cbranch_execz .LBB200_1946
; %bb.1943:                             ;   in Loop: Header=BB200_1056 Depth=1
	v_and_b32_e32 v8, 7, v6
	v_lshrrev_b32_e32 v7, 3, v10
	s_mov_b32 s18, exec_lo
	v_cmpx_gt_u32_e32 8, v10
; %bb.1944:                             ;   in Loop: Header=BB200_1056 Depth=1
	v_ffbh_u32_e32 v7, v8
	v_min_u32_e32 v7, 32, v7
	v_subrev_nc_u32_e32 v10, 28, v7
	v_sub_nc_u32_e32 v7, 29, v7
	v_lshlrev_b64 v[18:19], v10, v[8:9]
	v_and_b32_e32 v8, 7, v18
; %bb.1945:                             ;   in Loop: Header=BB200_1056 Depth=1
	s_or_b32 exec_lo, exec_lo, s18
	v_lshlrev_b32_e32 v10, 24, v6
	v_lshlrev_b32_e32 v8, 20, v8
	v_lshl_add_u32 v7, v7, 23, 0x3c000000
	v_and_b32_e32 v10, 0x80000000, v10
	v_or3_b32 v8, v8, v10, v7
	v_mov_b32_e32 v19, v9
	v_mov_b32_e32 v18, v8
.LBB200_1946:                           ;   in Loop: Header=BB200_1056 Depth=1
	s_or_b32 exec_lo, exec_lo, s15
.LBB200_1947:                           ;   in Loop: Header=BB200_1056 Depth=1
	s_or_b32 exec_lo, exec_lo, s9
.LBB200_1948:                           ;   in Loop: Header=BB200_1056 Depth=1
	s_or_b32 exec_lo, exec_lo, s7
	v_cmp_ne_u16_sdwa s4, v6, v9 src0_sel:BYTE_1 src1_sel:DWORD
	s_and_saveexec_b32 s7, s4
	s_cbranch_execz .LBB200_1956
; %bb.1949:                             ;   in Loop: Header=BB200_1056 Depth=1
	v_mov_b32_e32 v10, v9
	v_mov_b32_e32 v21, v11
	v_cmp_ne_u16_sdwa s4, v6, v99 src0_sel:BYTE_1 src1_sel:DWORD
	v_mov_b32_e32 v20, v10
	s_and_saveexec_b32 s9, s4
	s_cbranch_execz .LBB200_1955
; %bb.1950:                             ;   in Loop: Header=BB200_1056 Depth=1
	v_mov_b32_e32 v7, 0xffff
	v_mov_b32_e32 v12, v9
	;; [unrolled: 1-line block ×3, first 2 shown]
	s_mov_b32 s15, exec_lo
	v_and_b32_sdwa v7, v7, v6 dst_sel:DWORD dst_unused:UNUSED_PAD src0_sel:DWORD src1_sel:BYTE_1
	v_mov_b32_e32 v20, v12
	v_and_b32_e32 v10, 0x7f, v7
	v_cmpx_ne_u32_e32 0x7f, v10
	s_cbranch_execz .LBB200_1954
; %bb.1951:                             ;   in Loop: Header=BB200_1056 Depth=1
	v_and_b32_e32 v8, 7, v7
	v_lshrrev_b32_e32 v7, 3, v10
	s_mov_b32 s18, exec_lo
	v_cmpx_gt_u32_e32 8, v10
; %bb.1952:                             ;   in Loop: Header=BB200_1056 Depth=1
	v_ffbh_u32_e32 v7, v8
	v_min_u32_e32 v7, 32, v7
	v_subrev_nc_u32_e32 v10, 28, v7
	v_sub_nc_u32_e32 v7, 29, v7
	v_lshlrev_b64 v[20:21], v10, v[8:9]
	v_and_b32_e32 v8, 7, v20
; %bb.1953:                             ;   in Loop: Header=BB200_1056 Depth=1
	s_or_b32 exec_lo, exec_lo, s18
	v_lshlrev_b32_e32 v10, 16, v6
	v_lshlrev_b32_e32 v8, 20, v8
	v_lshl_add_u32 v7, v7, 23, 0x3c000000
	v_mov_b32_e32 v20, v9
	v_and_b32_e32 v10, 0x80000000, v10
	v_or3_b32 v21, v8, v10, v7
.LBB200_1954:                           ;   in Loop: Header=BB200_1056 Depth=1
	s_or_b32 exec_lo, exec_lo, s15
.LBB200_1955:                           ;   in Loop: Header=BB200_1056 Depth=1
	s_or_b32 exec_lo, exec_lo, s9
.LBB200_1956:                           ;   in Loop: Header=BB200_1056 Depth=1
	s_or_b32 exec_lo, exec_lo, s7
	v_mov_b32_e32 v22, 0
	v_mov_b32_e32 v24, 0
	v_and_b32_sdwa v7, v6, v101 dst_sel:DWORD dst_unused:UNUSED_PAD src0_sel:WORD_1 src1_sel:DWORD
	v_mov_b32_e32 v23, 0
	v_mov_b32_e32 v25, 0
	s_mov_b32 s7, exec_lo
	v_cmpx_ne_u16_e32 0, v7
	s_cbranch_execz .LBB200_1964
; %bb.1957:                             ;   in Loop: Header=BB200_1056 Depth=1
	v_bfrev_b32_e32 v24, 1
	v_mov_b32_e32 v25, 0
	s_mov_b32 s9, exec_lo
	v_cmpx_ne_u16_e32 0x80, v7
	s_cbranch_execz .LBB200_1963
; %bb.1958:                             ;   in Loop: Header=BB200_1056 Depth=1
	v_mov_b32_e32 v24, 0x7f800001
	v_bfe_u32 v10, v6, 16, 7
	v_mov_b32_e32 v25, 0
	s_mov_b32 s15, exec_lo
	v_cmpx_ne_u32_e32 0x7f, v10
	s_cbranch_execz .LBB200_1962
; %bb.1959:                             ;   in Loop: Header=BB200_1056 Depth=1
	v_mov_b32_e32 v7, 7
	s_mov_b32 s18, exec_lo
	v_and_b32_sdwa v8, v6, v7 dst_sel:DWORD dst_unused:UNUSED_PAD src0_sel:WORD_1 src1_sel:DWORD
	v_lshrrev_b32_e32 v7, 3, v10
	v_cmpx_gt_u32_e32 8, v10
; %bb.1960:                             ;   in Loop: Header=BB200_1056 Depth=1
	v_ffbh_u32_e32 v7, v8
	v_min_u32_e32 v7, 32, v7
	v_subrev_nc_u32_e32 v10, 28, v7
	v_sub_nc_u32_e32 v7, 29, v7
	v_lshlrev_b64 v[24:25], v10, v[8:9]
	v_and_b32_e32 v8, 7, v24
; %bb.1961:                             ;   in Loop: Header=BB200_1056 Depth=1
	s_or_b32 exec_lo, exec_lo, s18
	v_mov_b32_e32 v10, 24
	v_lshlrev_b32_e32 v8, 20, v8
	v_lshl_add_u32 v7, v7, 23, 0x3c000000
	v_lshlrev_b32_sdwa v10, v10, v6 dst_sel:DWORD dst_unused:UNUSED_PAD src0_sel:DWORD src1_sel:WORD_1
	v_and_b32_e32 v10, 0x80000000, v10
	v_or3_b32 v8, v8, v10, v7
	v_mov_b32_e32 v25, v9
	v_mov_b32_e32 v24, v8
.LBB200_1962:                           ;   in Loop: Header=BB200_1056 Depth=1
	s_or_b32 exec_lo, exec_lo, s15
.LBB200_1963:                           ;   in Loop: Header=BB200_1056 Depth=1
	s_or_b32 exec_lo, exec_lo, s9
.LBB200_1964:                           ;   in Loop: Header=BB200_1056 Depth=1
	s_or_b32 exec_lo, exec_lo, s7
	s_mov_b32 s7, exec_lo
	v_cmpx_lt_u32_e32 0xffffff, v6
	s_cbranch_execz .LBB200_1972
; %bb.1965:                             ;   in Loop: Header=BB200_1056 Depth=1
	v_mov_b32_e32 v10, v9
	v_mov_b32_e32 v23, v11
	v_cmp_ne_u32_sdwa s4, v6, v99 src0_sel:BYTE_3 src1_sel:DWORD
	v_mov_b32_e32 v22, v10
	s_and_saveexec_b32 s9, s4
	s_cbranch_execz .LBB200_1971
; %bb.1966:                             ;   in Loop: Header=BB200_1056 Depth=1
	v_mov_b32_e32 v12, v9
	v_mov_b32_e32 v23, v13
	v_bfe_u32 v10, v6, 24, 7
	s_mov_b32 s15, exec_lo
	v_mov_b32_e32 v22, v12
	v_cmpx_ne_u32_e32 0x7f, v10
	s_cbranch_execz .LBB200_1970
; %bb.1967:                             ;   in Loop: Header=BB200_1056 Depth=1
	v_mov_b32_e32 v7, 7
	s_mov_b32 s18, exec_lo
	v_and_b32_sdwa v8, v6, v7 dst_sel:DWORD dst_unused:UNUSED_PAD src0_sel:BYTE_3 src1_sel:DWORD
	v_lshrrev_b32_e32 v7, 3, v10
	v_cmpx_gt_u32_e32 8, v10
; %bb.1968:                             ;   in Loop: Header=BB200_1056 Depth=1
	v_ffbh_u32_e32 v7, v8
	v_min_u32_e32 v7, 32, v7
	v_subrev_nc_u32_e32 v10, 28, v7
	v_sub_nc_u32_e32 v7, 29, v7
	v_lshlrev_b64 v[22:23], v10, v[8:9]
	v_and_b32_e32 v8, 7, v22
; %bb.1969:                             ;   in Loop: Header=BB200_1056 Depth=1
	s_or_b32 exec_lo, exec_lo, s18
	v_mov_b32_e32 v10, 24
	v_lshlrev_b32_e32 v8, 20, v8
	v_lshl_add_u32 v7, v7, 23, 0x3c000000
	v_mov_b32_e32 v22, v9
	v_lshlrev_b32_sdwa v6, v10, v6 dst_sel:DWORD dst_unused:UNUSED_PAD src0_sel:DWORD src1_sel:BYTE_3
	v_and_b32_e32 v6, 0x80000000, v6
	v_or3_b32 v23, v8, v6, v7
.LBB200_1970:                           ;   in Loop: Header=BB200_1056 Depth=1
	s_or_b32 exec_lo, exec_lo, s15
.LBB200_1971:                           ;   in Loop: Header=BB200_1056 Depth=1
	s_or_b32 exec_lo, exec_lo, s9
.LBB200_1972:                           ;   in Loop: Header=BB200_1056 Depth=1
	s_or_b32 exec_lo, exec_lo, s7
	v_or_b32_e32 v6, v21, v19
	v_or_b32_e32 v7, v20, v18
	;; [unrolled: 1-line block ×4, first 2 shown]
	v_mul_f32_e32 v124, v114, v6
	v_mul_f32_e32 v123, v96, v7
	;; [unrolled: 1-line block ×4, first 2 shown]
	s_and_saveexec_b32 s7, vcc_lo
	s_cbranch_execz .LBB200_1974
; %bb.1973:                             ;   in Loop: Header=BB200_1056 Depth=1
	buffer_load_dword v6, off, s[0:3], s32 offset:200 ; 4-byte Folded Reload
	s_waitcnt vmcnt(0)
	v_cmp_lt_i32_e64 s4, v47, v6
	v_cndmask_b32_e64 v123, 0, v123, s4
	v_cmp_lt_i32_e64 s4, v57, v6
	v_cndmask_b32_e64 v124, 0, v124, s4
	;; [unrolled: 2-line block ×4, first 2 shown]
.LBB200_1974:                           ;   in Loop: Header=BB200_1056 Depth=1
	s_or_b32 exec_lo, exec_lo, s7
	flat_load_dword v6, v[16:17] offset:1408
	v_mov_b32_e32 v20, 0
	v_mov_b32_e32 v18, 0
	;; [unrolled: 1-line block ×4, first 2 shown]
	s_waitcnt vmcnt(0) lgkmcnt(0)
	v_cmp_ne_u16_sdwa s4, v6, v9 src0_sel:BYTE_0 src1_sel:DWORD
	s_and_saveexec_b32 s7, s4
	s_cbranch_execz .LBB200_1982
; %bb.1975:                             ;   in Loop: Header=BB200_1056 Depth=1
	v_bfrev_b32_e32 v18, 1
	v_mov_b32_e32 v19, 0
	v_cmp_ne_u16_sdwa s4, v6, v99 src0_sel:BYTE_0 src1_sel:DWORD
	s_and_saveexec_b32 s9, s4
	s_cbranch_execz .LBB200_1981
; %bb.1976:                             ;   in Loop: Header=BB200_1056 Depth=1
	v_mov_b32_e32 v18, 0x7f800001
	v_and_b32_e32 v10, 0x7f, v6
	v_mov_b32_e32 v19, 0
	s_mov_b32 s15, exec_lo
	v_cmpx_ne_u32_e32 0x7f, v10
	s_cbranch_execz .LBB200_1980
; %bb.1977:                             ;   in Loop: Header=BB200_1056 Depth=1
	v_and_b32_e32 v8, 7, v6
	v_lshrrev_b32_e32 v7, 3, v10
	s_mov_b32 s18, exec_lo
	v_cmpx_gt_u32_e32 8, v10
; %bb.1978:                             ;   in Loop: Header=BB200_1056 Depth=1
	v_ffbh_u32_e32 v7, v8
	v_min_u32_e32 v7, 32, v7
	v_subrev_nc_u32_e32 v10, 28, v7
	v_sub_nc_u32_e32 v7, 29, v7
	v_lshlrev_b64 v[18:19], v10, v[8:9]
	v_and_b32_e32 v8, 7, v18
; %bb.1979:                             ;   in Loop: Header=BB200_1056 Depth=1
	s_or_b32 exec_lo, exec_lo, s18
	v_lshlrev_b32_e32 v10, 24, v6
	v_lshlrev_b32_e32 v8, 20, v8
	v_lshl_add_u32 v7, v7, 23, 0x3c000000
	v_and_b32_e32 v10, 0x80000000, v10
	v_or3_b32 v8, v8, v10, v7
	v_mov_b32_e32 v19, v9
	v_mov_b32_e32 v18, v8
.LBB200_1980:                           ;   in Loop: Header=BB200_1056 Depth=1
	s_or_b32 exec_lo, exec_lo, s15
.LBB200_1981:                           ;   in Loop: Header=BB200_1056 Depth=1
	s_or_b32 exec_lo, exec_lo, s9
.LBB200_1982:                           ;   in Loop: Header=BB200_1056 Depth=1
	s_or_b32 exec_lo, exec_lo, s7
	v_cmp_ne_u16_sdwa s4, v6, v9 src0_sel:BYTE_1 src1_sel:DWORD
	s_and_saveexec_b32 s7, s4
	s_cbranch_execz .LBB200_1990
; %bb.1983:                             ;   in Loop: Header=BB200_1056 Depth=1
	v_mov_b32_e32 v10, v9
	v_mov_b32_e32 v21, v11
	v_cmp_ne_u16_sdwa s4, v6, v99 src0_sel:BYTE_1 src1_sel:DWORD
	v_mov_b32_e32 v20, v10
	s_and_saveexec_b32 s9, s4
	s_cbranch_execz .LBB200_1989
; %bb.1984:                             ;   in Loop: Header=BB200_1056 Depth=1
	v_mov_b32_e32 v7, 0xffff
	v_mov_b32_e32 v12, v9
	;; [unrolled: 1-line block ×3, first 2 shown]
	s_mov_b32 s15, exec_lo
	v_and_b32_sdwa v7, v7, v6 dst_sel:DWORD dst_unused:UNUSED_PAD src0_sel:DWORD src1_sel:BYTE_1
	v_mov_b32_e32 v20, v12
	v_and_b32_e32 v10, 0x7f, v7
	v_cmpx_ne_u32_e32 0x7f, v10
	s_cbranch_execz .LBB200_1988
; %bb.1985:                             ;   in Loop: Header=BB200_1056 Depth=1
	v_and_b32_e32 v8, 7, v7
	v_lshrrev_b32_e32 v7, 3, v10
	s_mov_b32 s18, exec_lo
	v_cmpx_gt_u32_e32 8, v10
; %bb.1986:                             ;   in Loop: Header=BB200_1056 Depth=1
	v_ffbh_u32_e32 v7, v8
	v_min_u32_e32 v7, 32, v7
	v_subrev_nc_u32_e32 v10, 28, v7
	v_sub_nc_u32_e32 v7, 29, v7
	v_lshlrev_b64 v[20:21], v10, v[8:9]
	v_and_b32_e32 v8, 7, v20
; %bb.1987:                             ;   in Loop: Header=BB200_1056 Depth=1
	s_or_b32 exec_lo, exec_lo, s18
	v_lshlrev_b32_e32 v10, 16, v6
	v_lshlrev_b32_e32 v8, 20, v8
	v_lshl_add_u32 v7, v7, 23, 0x3c000000
	v_mov_b32_e32 v20, v9
	v_and_b32_e32 v10, 0x80000000, v10
	v_or3_b32 v21, v8, v10, v7
.LBB200_1988:                           ;   in Loop: Header=BB200_1056 Depth=1
	s_or_b32 exec_lo, exec_lo, s15
.LBB200_1989:                           ;   in Loop: Header=BB200_1056 Depth=1
	s_or_b32 exec_lo, exec_lo, s9
.LBB200_1990:                           ;   in Loop: Header=BB200_1056 Depth=1
	s_or_b32 exec_lo, exec_lo, s7
	v_mov_b32_e32 v22, 0
	v_mov_b32_e32 v24, 0
	v_and_b32_sdwa v7, v6, v101 dst_sel:DWORD dst_unused:UNUSED_PAD src0_sel:WORD_1 src1_sel:DWORD
	v_mov_b32_e32 v23, 0
	v_mov_b32_e32 v25, 0
	s_mov_b32 s7, exec_lo
	v_cmpx_ne_u16_e32 0, v7
	s_cbranch_execz .LBB200_1998
; %bb.1991:                             ;   in Loop: Header=BB200_1056 Depth=1
	v_bfrev_b32_e32 v24, 1
	v_mov_b32_e32 v25, 0
	s_mov_b32 s9, exec_lo
	v_cmpx_ne_u16_e32 0x80, v7
	s_cbranch_execz .LBB200_1997
; %bb.1992:                             ;   in Loop: Header=BB200_1056 Depth=1
	v_mov_b32_e32 v24, 0x7f800001
	v_bfe_u32 v10, v6, 16, 7
	v_mov_b32_e32 v25, 0
	s_mov_b32 s15, exec_lo
	v_cmpx_ne_u32_e32 0x7f, v10
	s_cbranch_execz .LBB200_1996
; %bb.1993:                             ;   in Loop: Header=BB200_1056 Depth=1
	v_mov_b32_e32 v7, 7
	s_mov_b32 s18, exec_lo
	v_and_b32_sdwa v8, v6, v7 dst_sel:DWORD dst_unused:UNUSED_PAD src0_sel:WORD_1 src1_sel:DWORD
	v_lshrrev_b32_e32 v7, 3, v10
	v_cmpx_gt_u32_e32 8, v10
; %bb.1994:                             ;   in Loop: Header=BB200_1056 Depth=1
	v_ffbh_u32_e32 v7, v8
	v_min_u32_e32 v7, 32, v7
	v_subrev_nc_u32_e32 v10, 28, v7
	v_sub_nc_u32_e32 v7, 29, v7
	v_lshlrev_b64 v[24:25], v10, v[8:9]
	v_and_b32_e32 v8, 7, v24
; %bb.1995:                             ;   in Loop: Header=BB200_1056 Depth=1
	s_or_b32 exec_lo, exec_lo, s18
	v_mov_b32_e32 v10, 24
	v_lshlrev_b32_e32 v8, 20, v8
	v_lshl_add_u32 v7, v7, 23, 0x3c000000
	v_lshlrev_b32_sdwa v10, v10, v6 dst_sel:DWORD dst_unused:UNUSED_PAD src0_sel:DWORD src1_sel:WORD_1
	v_and_b32_e32 v10, 0x80000000, v10
	v_or3_b32 v8, v8, v10, v7
	v_mov_b32_e32 v25, v9
	v_mov_b32_e32 v24, v8
.LBB200_1996:                           ;   in Loop: Header=BB200_1056 Depth=1
	s_or_b32 exec_lo, exec_lo, s15
.LBB200_1997:                           ;   in Loop: Header=BB200_1056 Depth=1
	s_or_b32 exec_lo, exec_lo, s9
.LBB200_1998:                           ;   in Loop: Header=BB200_1056 Depth=1
	s_or_b32 exec_lo, exec_lo, s7
	s_mov_b32 s7, exec_lo
	v_cmpx_lt_u32_e32 0xffffff, v6
	s_cbranch_execz .LBB200_2006
; %bb.1999:                             ;   in Loop: Header=BB200_1056 Depth=1
	v_mov_b32_e32 v10, v9
	v_mov_b32_e32 v23, v11
	v_cmp_ne_u32_sdwa s4, v6, v99 src0_sel:BYTE_3 src1_sel:DWORD
	v_mov_b32_e32 v22, v10
	s_and_saveexec_b32 s9, s4
	s_cbranch_execz .LBB200_2005
; %bb.2000:                             ;   in Loop: Header=BB200_1056 Depth=1
	v_mov_b32_e32 v12, v9
	v_mov_b32_e32 v23, v13
	v_bfe_u32 v10, v6, 24, 7
	s_mov_b32 s15, exec_lo
	v_mov_b32_e32 v22, v12
	v_cmpx_ne_u32_e32 0x7f, v10
	s_cbranch_execz .LBB200_2004
; %bb.2001:                             ;   in Loop: Header=BB200_1056 Depth=1
	v_mov_b32_e32 v7, 7
	s_mov_b32 s18, exec_lo
	v_and_b32_sdwa v8, v6, v7 dst_sel:DWORD dst_unused:UNUSED_PAD src0_sel:BYTE_3 src1_sel:DWORD
	v_lshrrev_b32_e32 v7, 3, v10
	v_cmpx_gt_u32_e32 8, v10
; %bb.2002:                             ;   in Loop: Header=BB200_1056 Depth=1
	v_ffbh_u32_e32 v7, v8
	v_min_u32_e32 v7, 32, v7
	v_subrev_nc_u32_e32 v10, 28, v7
	v_sub_nc_u32_e32 v7, 29, v7
	v_lshlrev_b64 v[22:23], v10, v[8:9]
	v_and_b32_e32 v8, 7, v22
; %bb.2003:                             ;   in Loop: Header=BB200_1056 Depth=1
	s_or_b32 exec_lo, exec_lo, s18
	v_mov_b32_e32 v10, 24
	v_lshlrev_b32_e32 v8, 20, v8
	v_lshl_add_u32 v7, v7, 23, 0x3c000000
	v_mov_b32_e32 v22, v9
	v_lshlrev_b32_sdwa v6, v10, v6 dst_sel:DWORD dst_unused:UNUSED_PAD src0_sel:DWORD src1_sel:BYTE_3
	v_and_b32_e32 v6, 0x80000000, v6
	v_or3_b32 v23, v8, v6, v7
.LBB200_2004:                           ;   in Loop: Header=BB200_1056 Depth=1
	s_or_b32 exec_lo, exec_lo, s15
.LBB200_2005:                           ;   in Loop: Header=BB200_1056 Depth=1
	s_or_b32 exec_lo, exec_lo, s9
.LBB200_2006:                           ;   in Loop: Header=BB200_1056 Depth=1
	s_or_b32 exec_lo, exec_lo, s7
	v_or_b32_e32 v6, v21, v19
	v_or_b32_e32 v7, v20, v18
	;; [unrolled: 1-line block ×4, first 2 shown]
	v_mul_f32_e32 v126, v114, v6
	v_mul_f32_e32 v29, v96, v7
	;; [unrolled: 1-line block ×4, first 2 shown]
	s_and_saveexec_b32 s7, vcc_lo
	s_cbranch_execz .LBB200_2008
; %bb.2007:                             ;   in Loop: Header=BB200_1056 Depth=1
	buffer_load_dword v6, off, s[0:3], s32 offset:200 ; 4-byte Folded Reload
	s_waitcnt vmcnt(0)
	v_cmp_lt_i32_e64 s4, v47, v6
	v_cndmask_b32_e64 v29, 0, v29, s4
	v_cmp_lt_i32_e64 s4, v57, v6
	v_cndmask_b32_e64 v126, 0, v126, s4
	;; [unrolled: 2-line block ×4, first 2 shown]
.LBB200_2008:                           ;   in Loop: Header=BB200_1056 Depth=1
	s_or_b32 exec_lo, exec_lo, s7
	flat_load_dword v6, v[16:17] offset:1536
	v_mov_b32_e32 v20, 0
	v_mov_b32_e32 v18, 0
	v_mov_b32_e32 v21, 0
	v_mov_b32_e32 v19, 0
	s_waitcnt vmcnt(0) lgkmcnt(0)
	v_cmp_ne_u16_sdwa s4, v6, v9 src0_sel:BYTE_0 src1_sel:DWORD
	s_and_saveexec_b32 s7, s4
	s_cbranch_execz .LBB200_2016
; %bb.2009:                             ;   in Loop: Header=BB200_1056 Depth=1
	v_bfrev_b32_e32 v18, 1
	v_mov_b32_e32 v19, 0
	v_cmp_ne_u16_sdwa s4, v6, v99 src0_sel:BYTE_0 src1_sel:DWORD
	s_and_saveexec_b32 s9, s4
	s_cbranch_execz .LBB200_2015
; %bb.2010:                             ;   in Loop: Header=BB200_1056 Depth=1
	v_mov_b32_e32 v18, 0x7f800001
	v_and_b32_e32 v10, 0x7f, v6
	v_mov_b32_e32 v19, 0
	s_mov_b32 s15, exec_lo
	v_cmpx_ne_u32_e32 0x7f, v10
	s_cbranch_execz .LBB200_2014
; %bb.2011:                             ;   in Loop: Header=BB200_1056 Depth=1
	v_and_b32_e32 v8, 7, v6
	v_lshrrev_b32_e32 v7, 3, v10
	s_mov_b32 s18, exec_lo
	v_cmpx_gt_u32_e32 8, v10
; %bb.2012:                             ;   in Loop: Header=BB200_1056 Depth=1
	v_ffbh_u32_e32 v7, v8
	v_min_u32_e32 v7, 32, v7
	v_subrev_nc_u32_e32 v10, 28, v7
	v_sub_nc_u32_e32 v7, 29, v7
	v_lshlrev_b64 v[18:19], v10, v[8:9]
	v_and_b32_e32 v8, 7, v18
; %bb.2013:                             ;   in Loop: Header=BB200_1056 Depth=1
	s_or_b32 exec_lo, exec_lo, s18
	v_lshlrev_b32_e32 v10, 24, v6
	v_lshlrev_b32_e32 v8, 20, v8
	v_lshl_add_u32 v7, v7, 23, 0x3c000000
	v_and_b32_e32 v10, 0x80000000, v10
	v_or3_b32 v8, v8, v10, v7
	v_mov_b32_e32 v19, v9
	v_mov_b32_e32 v18, v8
.LBB200_2014:                           ;   in Loop: Header=BB200_1056 Depth=1
	s_or_b32 exec_lo, exec_lo, s15
.LBB200_2015:                           ;   in Loop: Header=BB200_1056 Depth=1
	s_or_b32 exec_lo, exec_lo, s9
.LBB200_2016:                           ;   in Loop: Header=BB200_1056 Depth=1
	s_or_b32 exec_lo, exec_lo, s7
	v_cmp_ne_u16_sdwa s4, v6, v9 src0_sel:BYTE_1 src1_sel:DWORD
	s_and_saveexec_b32 s7, s4
	s_cbranch_execz .LBB200_2024
; %bb.2017:                             ;   in Loop: Header=BB200_1056 Depth=1
	v_mov_b32_e32 v10, v9
	v_mov_b32_e32 v21, v11
	v_cmp_ne_u16_sdwa s4, v6, v99 src0_sel:BYTE_1 src1_sel:DWORD
	v_mov_b32_e32 v20, v10
	s_and_saveexec_b32 s9, s4
	s_cbranch_execz .LBB200_2023
; %bb.2018:                             ;   in Loop: Header=BB200_1056 Depth=1
	v_mov_b32_e32 v7, 0xffff
	v_mov_b32_e32 v12, v9
	;; [unrolled: 1-line block ×3, first 2 shown]
	s_mov_b32 s15, exec_lo
	v_and_b32_sdwa v7, v7, v6 dst_sel:DWORD dst_unused:UNUSED_PAD src0_sel:DWORD src1_sel:BYTE_1
	v_mov_b32_e32 v20, v12
	v_and_b32_e32 v10, 0x7f, v7
	v_cmpx_ne_u32_e32 0x7f, v10
	s_cbranch_execz .LBB200_2022
; %bb.2019:                             ;   in Loop: Header=BB200_1056 Depth=1
	v_and_b32_e32 v8, 7, v7
	v_lshrrev_b32_e32 v7, 3, v10
	s_mov_b32 s18, exec_lo
	v_cmpx_gt_u32_e32 8, v10
; %bb.2020:                             ;   in Loop: Header=BB200_1056 Depth=1
	v_ffbh_u32_e32 v7, v8
	v_min_u32_e32 v7, 32, v7
	v_subrev_nc_u32_e32 v10, 28, v7
	v_sub_nc_u32_e32 v7, 29, v7
	v_lshlrev_b64 v[20:21], v10, v[8:9]
	v_and_b32_e32 v8, 7, v20
; %bb.2021:                             ;   in Loop: Header=BB200_1056 Depth=1
	s_or_b32 exec_lo, exec_lo, s18
	v_lshlrev_b32_e32 v10, 16, v6
	v_lshlrev_b32_e32 v8, 20, v8
	v_lshl_add_u32 v7, v7, 23, 0x3c000000
	v_mov_b32_e32 v20, v9
	v_and_b32_e32 v10, 0x80000000, v10
	v_or3_b32 v21, v8, v10, v7
.LBB200_2022:                           ;   in Loop: Header=BB200_1056 Depth=1
	s_or_b32 exec_lo, exec_lo, s15
.LBB200_2023:                           ;   in Loop: Header=BB200_1056 Depth=1
	s_or_b32 exec_lo, exec_lo, s9
.LBB200_2024:                           ;   in Loop: Header=BB200_1056 Depth=1
	s_or_b32 exec_lo, exec_lo, s7
	v_mov_b32_e32 v22, 0
	v_mov_b32_e32 v24, 0
	v_and_b32_sdwa v7, v6, v101 dst_sel:DWORD dst_unused:UNUSED_PAD src0_sel:WORD_1 src1_sel:DWORD
	v_mov_b32_e32 v23, 0
	v_mov_b32_e32 v25, 0
	s_mov_b32 s7, exec_lo
	v_cmpx_ne_u16_e32 0, v7
	s_cbranch_execz .LBB200_2032
; %bb.2025:                             ;   in Loop: Header=BB200_1056 Depth=1
	v_bfrev_b32_e32 v24, 1
	v_mov_b32_e32 v25, 0
	s_mov_b32 s9, exec_lo
	v_cmpx_ne_u16_e32 0x80, v7
	s_cbranch_execz .LBB200_2031
; %bb.2026:                             ;   in Loop: Header=BB200_1056 Depth=1
	v_mov_b32_e32 v24, 0x7f800001
	v_bfe_u32 v10, v6, 16, 7
	v_mov_b32_e32 v25, 0
	s_mov_b32 s15, exec_lo
	v_cmpx_ne_u32_e32 0x7f, v10
	s_cbranch_execz .LBB200_2030
; %bb.2027:                             ;   in Loop: Header=BB200_1056 Depth=1
	v_mov_b32_e32 v7, 7
	s_mov_b32 s18, exec_lo
	v_and_b32_sdwa v8, v6, v7 dst_sel:DWORD dst_unused:UNUSED_PAD src0_sel:WORD_1 src1_sel:DWORD
	v_lshrrev_b32_e32 v7, 3, v10
	v_cmpx_gt_u32_e32 8, v10
; %bb.2028:                             ;   in Loop: Header=BB200_1056 Depth=1
	v_ffbh_u32_e32 v7, v8
	v_min_u32_e32 v7, 32, v7
	v_subrev_nc_u32_e32 v10, 28, v7
	v_sub_nc_u32_e32 v7, 29, v7
	v_lshlrev_b64 v[24:25], v10, v[8:9]
	v_and_b32_e32 v8, 7, v24
; %bb.2029:                             ;   in Loop: Header=BB200_1056 Depth=1
	s_or_b32 exec_lo, exec_lo, s18
	v_mov_b32_e32 v10, 24
	v_lshlrev_b32_e32 v8, 20, v8
	v_lshl_add_u32 v7, v7, 23, 0x3c000000
	v_lshlrev_b32_sdwa v10, v10, v6 dst_sel:DWORD dst_unused:UNUSED_PAD src0_sel:DWORD src1_sel:WORD_1
	v_and_b32_e32 v10, 0x80000000, v10
	v_or3_b32 v8, v8, v10, v7
	v_mov_b32_e32 v25, v9
	v_mov_b32_e32 v24, v8
.LBB200_2030:                           ;   in Loop: Header=BB200_1056 Depth=1
	s_or_b32 exec_lo, exec_lo, s15
.LBB200_2031:                           ;   in Loop: Header=BB200_1056 Depth=1
	s_or_b32 exec_lo, exec_lo, s9
.LBB200_2032:                           ;   in Loop: Header=BB200_1056 Depth=1
	s_or_b32 exec_lo, exec_lo, s7
	s_mov_b32 s7, exec_lo
	v_cmpx_lt_u32_e32 0xffffff, v6
	s_cbranch_execz .LBB200_2040
; %bb.2033:                             ;   in Loop: Header=BB200_1056 Depth=1
	v_mov_b32_e32 v10, v9
	v_mov_b32_e32 v23, v11
	v_cmp_ne_u32_sdwa s4, v6, v99 src0_sel:BYTE_3 src1_sel:DWORD
	v_mov_b32_e32 v22, v10
	s_and_saveexec_b32 s9, s4
	s_cbranch_execz .LBB200_2039
; %bb.2034:                             ;   in Loop: Header=BB200_1056 Depth=1
	v_mov_b32_e32 v12, v9
	v_mov_b32_e32 v23, v13
	v_bfe_u32 v10, v6, 24, 7
	s_mov_b32 s15, exec_lo
	v_mov_b32_e32 v22, v12
	v_cmpx_ne_u32_e32 0x7f, v10
	s_cbranch_execz .LBB200_2038
; %bb.2035:                             ;   in Loop: Header=BB200_1056 Depth=1
	v_mov_b32_e32 v7, 7
	s_mov_b32 s18, exec_lo
	v_and_b32_sdwa v8, v6, v7 dst_sel:DWORD dst_unused:UNUSED_PAD src0_sel:BYTE_3 src1_sel:DWORD
	v_lshrrev_b32_e32 v7, 3, v10
	v_cmpx_gt_u32_e32 8, v10
; %bb.2036:                             ;   in Loop: Header=BB200_1056 Depth=1
	v_ffbh_u32_e32 v7, v8
	v_min_u32_e32 v7, 32, v7
	v_subrev_nc_u32_e32 v10, 28, v7
	v_sub_nc_u32_e32 v7, 29, v7
	v_lshlrev_b64 v[22:23], v10, v[8:9]
	v_and_b32_e32 v8, 7, v22
; %bb.2037:                             ;   in Loop: Header=BB200_1056 Depth=1
	s_or_b32 exec_lo, exec_lo, s18
	v_mov_b32_e32 v10, 24
	v_lshlrev_b32_e32 v8, 20, v8
	v_lshl_add_u32 v7, v7, 23, 0x3c000000
	v_mov_b32_e32 v22, v9
	v_lshlrev_b32_sdwa v6, v10, v6 dst_sel:DWORD dst_unused:UNUSED_PAD src0_sel:DWORD src1_sel:BYTE_3
	v_and_b32_e32 v6, 0x80000000, v6
	v_or3_b32 v23, v8, v6, v7
.LBB200_2038:                           ;   in Loop: Header=BB200_1056 Depth=1
	s_or_b32 exec_lo, exec_lo, s15
.LBB200_2039:                           ;   in Loop: Header=BB200_1056 Depth=1
	s_or_b32 exec_lo, exec_lo, s9
.LBB200_2040:                           ;   in Loop: Header=BB200_1056 Depth=1
	s_or_b32 exec_lo, exec_lo, s7
	v_or_b32_e32 v6, v21, v19
	v_or_b32_e32 v7, v20, v18
	;; [unrolled: 1-line block ×4, first 2 shown]
	v_mul_f32_e32 v98, v114, v6
	v_mul_f32_e32 v97, v96, v7
	v_mul_f32_e32 v6, v96, v8
	v_mul_f32_e32 v127, v114, v10
	s_and_saveexec_b32 s7, vcc_lo
	s_cbranch_execz .LBB200_2042
; %bb.2041:                             ;   in Loop: Header=BB200_1056 Depth=1
	buffer_load_dword v7, off, s[0:3], s32 offset:200 ; 4-byte Folded Reload
	s_waitcnt vmcnt(0)
	v_cmp_lt_i32_e64 s4, v47, v7
	v_cndmask_b32_e64 v97, 0, v97, s4
	v_cmp_lt_i32_e64 s4, v57, v7
	v_cndmask_b32_e64 v98, 0, v98, s4
	;; [unrolled: 2-line block ×4, first 2 shown]
.LBB200_2042:                           ;   in Loop: Header=BB200_1056 Depth=1
	s_or_b32 exec_lo, exec_lo, s7
	flat_load_dword v7, v[16:17] offset:1664
	v_mov_b32_e32 v20, 0
	v_mov_b32_e32 v18, 0
	;; [unrolled: 1-line block ×4, first 2 shown]
	s_waitcnt vmcnt(0) lgkmcnt(0)
	v_cmp_ne_u16_sdwa s4, v7, v9 src0_sel:BYTE_0 src1_sel:DWORD
	s_and_saveexec_b32 s7, s4
	s_cbranch_execz .LBB200_2050
; %bb.2043:                             ;   in Loop: Header=BB200_1056 Depth=1
	v_bfrev_b32_e32 v18, 1
	v_mov_b32_e32 v19, 0
	v_cmp_ne_u16_sdwa s4, v7, v99 src0_sel:BYTE_0 src1_sel:DWORD
	s_and_saveexec_b32 s9, s4
	s_cbranch_execz .LBB200_2049
; %bb.2044:                             ;   in Loop: Header=BB200_1056 Depth=1
	v_mov_b32_e32 v18, 0x7f800001
	v_and_b32_e32 v12, 0x7f, v7
	v_mov_b32_e32 v19, 0
	s_mov_b32 s15, exec_lo
	v_cmpx_ne_u32_e32 0x7f, v12
	s_cbranch_execz .LBB200_2048
; %bb.2045:                             ;   in Loop: Header=BB200_1056 Depth=1
	v_and_b32_e32 v8, 7, v7
	v_lshrrev_b32_e32 v10, 3, v12
	s_mov_b32 s18, exec_lo
	v_cmpx_gt_u32_e32 8, v12
; %bb.2046:                             ;   in Loop: Header=BB200_1056 Depth=1
	v_ffbh_u32_e32 v10, v8
	v_min_u32_e32 v10, 32, v10
	v_subrev_nc_u32_e32 v12, 28, v10
	v_sub_nc_u32_e32 v10, 29, v10
	v_lshlrev_b64 v[18:19], v12, v[8:9]
	v_and_b32_e32 v8, 7, v18
; %bb.2047:                             ;   in Loop: Header=BB200_1056 Depth=1
	s_or_b32 exec_lo, exec_lo, s18
	v_lshlrev_b32_e32 v12, 24, v7
	v_lshlrev_b32_e32 v8, 20, v8
	v_lshl_add_u32 v10, v10, 23, 0x3c000000
	v_and_b32_e32 v12, 0x80000000, v12
	v_or3_b32 v8, v8, v12, v10
	v_mov_b32_e32 v19, v9
	v_mov_b32_e32 v18, v8
.LBB200_2048:                           ;   in Loop: Header=BB200_1056 Depth=1
	s_or_b32 exec_lo, exec_lo, s15
.LBB200_2049:                           ;   in Loop: Header=BB200_1056 Depth=1
	s_or_b32 exec_lo, exec_lo, s9
.LBB200_2050:                           ;   in Loop: Header=BB200_1056 Depth=1
	s_or_b32 exec_lo, exec_lo, s7
	v_cmp_ne_u16_sdwa s4, v7, v9 src0_sel:BYTE_1 src1_sel:DWORD
	s_and_saveexec_b32 s7, s4
	s_cbranch_execz .LBB200_2058
; %bb.2051:                             ;   in Loop: Header=BB200_1056 Depth=1
	v_mov_b32_e32 v10, v9
	v_mov_b32_e32 v21, v11
	v_cmp_ne_u16_sdwa s4, v7, v99 src0_sel:BYTE_1 src1_sel:DWORD
	v_mov_b32_e32 v20, v10
	s_and_saveexec_b32 s9, s4
	s_cbranch_execz .LBB200_2057
; %bb.2052:                             ;   in Loop: Header=BB200_1056 Depth=1
	v_mov_b32_e32 v8, 0xffff
	v_mov_b32_e32 v12, v9
	;; [unrolled: 1-line block ×3, first 2 shown]
	s_mov_b32 s15, exec_lo
	v_and_b32_sdwa v8, v8, v7 dst_sel:DWORD dst_unused:UNUSED_PAD src0_sel:DWORD src1_sel:BYTE_1
	v_mov_b32_e32 v20, v12
	v_and_b32_e32 v22, 0x7f, v8
	v_cmpx_ne_u32_e32 0x7f, v22
	s_cbranch_execz .LBB200_2056
; %bb.2053:                             ;   in Loop: Header=BB200_1056 Depth=1
	v_and_b32_e32 v8, 7, v8
	v_lshrrev_b32_e32 v10, 3, v22
	s_mov_b32 s18, exec_lo
	v_cmpx_gt_u32_e32 8, v22
; %bb.2054:                             ;   in Loop: Header=BB200_1056 Depth=1
	v_ffbh_u32_e32 v10, v8
	v_min_u32_e32 v10, 32, v10
	v_subrev_nc_u32_e32 v12, 28, v10
	v_sub_nc_u32_e32 v10, 29, v10
	v_lshlrev_b64 v[20:21], v12, v[8:9]
	v_and_b32_e32 v8, 7, v20
; %bb.2055:                             ;   in Loop: Header=BB200_1056 Depth=1
	s_or_b32 exec_lo, exec_lo, s18
	v_lshlrev_b32_e32 v12, 16, v7
	v_lshlrev_b32_e32 v8, 20, v8
	v_lshl_add_u32 v10, v10, 23, 0x3c000000
	v_mov_b32_e32 v20, v9
	v_and_b32_e32 v12, 0x80000000, v12
	v_or3_b32 v21, v8, v12, v10
.LBB200_2056:                           ;   in Loop: Header=BB200_1056 Depth=1
	s_or_b32 exec_lo, exec_lo, s15
.LBB200_2057:                           ;   in Loop: Header=BB200_1056 Depth=1
	s_or_b32 exec_lo, exec_lo, s9
.LBB200_2058:                           ;   in Loop: Header=BB200_1056 Depth=1
	s_or_b32 exec_lo, exec_lo, s7
	v_mov_b32_e32 v22, 0
	v_mov_b32_e32 v24, 0
	v_and_b32_sdwa v8, v7, v101 dst_sel:DWORD dst_unused:UNUSED_PAD src0_sel:WORD_1 src1_sel:DWORD
	v_mov_b32_e32 v23, 0
	v_mov_b32_e32 v25, 0
	s_mov_b32 s7, exec_lo
	v_cmpx_ne_u16_e32 0, v8
	s_cbranch_execz .LBB200_2066
; %bb.2059:                             ;   in Loop: Header=BB200_1056 Depth=1
	v_bfrev_b32_e32 v24, 1
	v_mov_b32_e32 v25, 0
	s_mov_b32 s9, exec_lo
	v_cmpx_ne_u16_e32 0x80, v8
	s_cbranch_execz .LBB200_2065
; %bb.2060:                             ;   in Loop: Header=BB200_1056 Depth=1
	v_mov_b32_e32 v24, 0x7f800001
	v_bfe_u32 v12, v7, 16, 7
	v_mov_b32_e32 v25, 0
	s_mov_b32 s15, exec_lo
	v_cmpx_ne_u32_e32 0x7f, v12
	s_cbranch_execz .LBB200_2064
; %bb.2061:                             ;   in Loop: Header=BB200_1056 Depth=1
	v_mov_b32_e32 v8, 7
	v_lshrrev_b32_e32 v10, 3, v12
	s_mov_b32 s18, exec_lo
	v_and_b32_sdwa v8, v7, v8 dst_sel:DWORD dst_unused:UNUSED_PAD src0_sel:WORD_1 src1_sel:DWORD
	v_cmpx_gt_u32_e32 8, v12
; %bb.2062:                             ;   in Loop: Header=BB200_1056 Depth=1
	v_ffbh_u32_e32 v10, v8
	v_min_u32_e32 v10, 32, v10
	v_subrev_nc_u32_e32 v12, 28, v10
	v_sub_nc_u32_e32 v10, 29, v10
	v_lshlrev_b64 v[24:25], v12, v[8:9]
	v_and_b32_e32 v8, 7, v24
; %bb.2063:                             ;   in Loop: Header=BB200_1056 Depth=1
	s_or_b32 exec_lo, exec_lo, s18
	v_mov_b32_e32 v12, 24
	v_lshlrev_b32_e32 v8, 20, v8
	v_lshl_add_u32 v10, v10, 23, 0x3c000000
	v_lshlrev_b32_sdwa v12, v12, v7 dst_sel:DWORD dst_unused:UNUSED_PAD src0_sel:DWORD src1_sel:WORD_1
	v_and_b32_e32 v12, 0x80000000, v12
	v_or3_b32 v8, v8, v12, v10
	v_mov_b32_e32 v25, v9
	v_mov_b32_e32 v24, v8
.LBB200_2064:                           ;   in Loop: Header=BB200_1056 Depth=1
	s_or_b32 exec_lo, exec_lo, s15
.LBB200_2065:                           ;   in Loop: Header=BB200_1056 Depth=1
	s_or_b32 exec_lo, exec_lo, s9
.LBB200_2066:                           ;   in Loop: Header=BB200_1056 Depth=1
	s_or_b32 exec_lo, exec_lo, s7
	s_mov_b32 s7, exec_lo
	v_cmpx_lt_u32_e32 0xffffff, v7
	s_cbranch_execz .LBB200_2074
; %bb.2067:                             ;   in Loop: Header=BB200_1056 Depth=1
	v_mov_b32_e32 v10, v9
	v_mov_b32_e32 v23, v11
	v_cmp_ne_u32_sdwa s4, v7, v99 src0_sel:BYTE_3 src1_sel:DWORD
	v_mov_b32_e32 v22, v10
	s_and_saveexec_b32 s9, s4
	s_cbranch_execz .LBB200_2073
; %bb.2068:                             ;   in Loop: Header=BB200_1056 Depth=1
	v_mov_b32_e32 v12, v9
	v_mov_b32_e32 v23, v13
	v_bfe_u32 v26, v7, 24, 7
	s_mov_b32 s15, exec_lo
	v_mov_b32_e32 v22, v12
	v_cmpx_ne_u32_e32 0x7f, v26
	s_cbranch_execz .LBB200_2072
; %bb.2069:                             ;   in Loop: Header=BB200_1056 Depth=1
	v_mov_b32_e32 v8, 7
	v_lshrrev_b32_e32 v10, 3, v26
	s_mov_b32 s18, exec_lo
	v_and_b32_sdwa v8, v7, v8 dst_sel:DWORD dst_unused:UNUSED_PAD src0_sel:BYTE_3 src1_sel:DWORD
	v_cmpx_gt_u32_e32 8, v26
; %bb.2070:                             ;   in Loop: Header=BB200_1056 Depth=1
	v_ffbh_u32_e32 v10, v8
	v_min_u32_e32 v10, 32, v10
	v_subrev_nc_u32_e32 v12, 28, v10
	v_sub_nc_u32_e32 v10, 29, v10
	v_lshlrev_b64 v[22:23], v12, v[8:9]
	v_and_b32_e32 v8, 7, v22
; %bb.2071:                             ;   in Loop: Header=BB200_1056 Depth=1
	s_or_b32 exec_lo, exec_lo, s18
	v_mov_b32_e32 v12, 24
	v_lshlrev_b32_e32 v8, 20, v8
	v_lshl_add_u32 v10, v10, 23, 0x3c000000
	v_mov_b32_e32 v22, v9
	v_lshlrev_b32_sdwa v7, v12, v7 dst_sel:DWORD dst_unused:UNUSED_PAD src0_sel:DWORD src1_sel:BYTE_3
	v_and_b32_e32 v7, 0x80000000, v7
	v_or3_b32 v23, v8, v7, v10
.LBB200_2072:                           ;   in Loop: Header=BB200_1056 Depth=1
	s_or_b32 exec_lo, exec_lo, s15
.LBB200_2073:                           ;   in Loop: Header=BB200_1056 Depth=1
	s_or_b32 exec_lo, exec_lo, s9
.LBB200_2074:                           ;   in Loop: Header=BB200_1056 Depth=1
	s_or_b32 exec_lo, exec_lo, s7
	v_or_b32_e32 v7, v21, v19
	v_or_b32_e32 v8, v20, v18
	;; [unrolled: 1-line block ×4, first 2 shown]
	v_mul_f32_e32 v26, v114, v7
	v_mul_f32_e32 v7, v96, v8
	;; [unrolled: 1-line block ×4, first 2 shown]
	s_and_saveexec_b32 s7, vcc_lo
	s_cbranch_execz .LBB200_2076
; %bb.2075:                             ;   in Loop: Header=BB200_1056 Depth=1
	buffer_load_dword v8, off, s[0:3], s32 offset:200 ; 4-byte Folded Reload
	s_waitcnt vmcnt(0)
	v_cmp_lt_i32_e64 s4, v47, v8
	v_cndmask_b32_e64 v7, 0, v7, s4
	v_cmp_lt_i32_e64 s4, v57, v8
	v_cndmask_b32_e64 v26, 0, v26, s4
	;; [unrolled: 2-line block ×4, first 2 shown]
.LBB200_2076:                           ;   in Loop: Header=BB200_1056 Depth=1
	s_or_b32 exec_lo, exec_lo, s7
	flat_load_dword v28, v[16:17] offset:1792
	v_mov_b32_e32 v18, 0
	v_mov_b32_e32 v16, 0
	;; [unrolled: 1-line block ×4, first 2 shown]
	s_waitcnt vmcnt(0) lgkmcnt(0)
	v_cmp_ne_u16_sdwa s4, v28, v9 src0_sel:BYTE_0 src1_sel:DWORD
	s_and_saveexec_b32 s7, s4
	s_cbranch_execz .LBB200_2084
; %bb.2077:                             ;   in Loop: Header=BB200_1056 Depth=1
	v_bfrev_b32_e32 v16, 1
	v_mov_b32_e32 v17, 0
	v_cmp_ne_u16_sdwa s4, v28, v99 src0_sel:BYTE_0 src1_sel:DWORD
	s_and_saveexec_b32 s9, s4
	s_cbranch_execz .LBB200_2083
; %bb.2078:                             ;   in Loop: Header=BB200_1056 Depth=1
	v_mov_b32_e32 v16, 0x7f800001
	v_and_b32_e32 v12, 0x7f, v28
	v_mov_b32_e32 v17, 0
	s_mov_b32 s15, exec_lo
	v_cmpx_ne_u32_e32 0x7f, v12
	s_cbranch_execz .LBB200_2082
; %bb.2079:                             ;   in Loop: Header=BB200_1056 Depth=1
	v_and_b32_e32 v8, 7, v28
	v_lshrrev_b32_e32 v10, 3, v12
	s_mov_b32 s18, exec_lo
	v_cmpx_gt_u32_e32 8, v12
; %bb.2080:                             ;   in Loop: Header=BB200_1056 Depth=1
	v_ffbh_u32_e32 v10, v8
	v_min_u32_e32 v10, 32, v10
	v_subrev_nc_u32_e32 v12, 28, v10
	v_sub_nc_u32_e32 v10, 29, v10
	v_lshlrev_b64 v[16:17], v12, v[8:9]
	v_and_b32_e32 v8, 7, v16
; %bb.2081:                             ;   in Loop: Header=BB200_1056 Depth=1
	s_or_b32 exec_lo, exec_lo, s18
	v_lshlrev_b32_e32 v12, 24, v28
	v_lshlrev_b32_e32 v8, 20, v8
	v_lshl_add_u32 v10, v10, 23, 0x3c000000
	v_and_b32_e32 v12, 0x80000000, v12
	v_or3_b32 v8, v8, v12, v10
	v_mov_b32_e32 v17, v9
	v_mov_b32_e32 v16, v8
.LBB200_2082:                           ;   in Loop: Header=BB200_1056 Depth=1
	s_or_b32 exec_lo, exec_lo, s15
.LBB200_2083:                           ;   in Loop: Header=BB200_1056 Depth=1
	s_or_b32 exec_lo, exec_lo, s9
.LBB200_2084:                           ;   in Loop: Header=BB200_1056 Depth=1
	s_or_b32 exec_lo, exec_lo, s7
	v_cmp_ne_u16_sdwa s4, v28, v9 src0_sel:BYTE_1 src1_sel:DWORD
	s_and_saveexec_b32 s7, s4
	s_cbranch_execz .LBB200_2092
; %bb.2085:                             ;   in Loop: Header=BB200_1056 Depth=1
	v_mov_b32_e32 v10, v9
	v_mov_b32_e32 v19, v11
	v_cmp_ne_u16_sdwa s4, v28, v99 src0_sel:BYTE_1 src1_sel:DWORD
	v_mov_b32_e32 v18, v10
	s_and_saveexec_b32 s9, s4
	s_cbranch_execz .LBB200_2091
; %bb.2086:                             ;   in Loop: Header=BB200_1056 Depth=1
	v_mov_b32_e32 v8, 0xffff
	v_mov_b32_e32 v12, v9
	;; [unrolled: 1-line block ×3, first 2 shown]
	s_mov_b32 s15, exec_lo
	v_and_b32_sdwa v8, v8, v28 dst_sel:DWORD dst_unused:UNUSED_PAD src0_sel:DWORD src1_sel:BYTE_1
	v_mov_b32_e32 v18, v12
	v_and_b32_e32 v20, 0x7f, v8
	v_cmpx_ne_u32_e32 0x7f, v20
	s_cbranch_execz .LBB200_2090
; %bb.2087:                             ;   in Loop: Header=BB200_1056 Depth=1
	v_and_b32_e32 v8, 7, v8
	v_lshrrev_b32_e32 v10, 3, v20
	s_mov_b32 s18, exec_lo
	v_cmpx_gt_u32_e32 8, v20
; %bb.2088:                             ;   in Loop: Header=BB200_1056 Depth=1
	v_ffbh_u32_e32 v10, v8
	v_min_u32_e32 v10, 32, v10
	v_subrev_nc_u32_e32 v12, 28, v10
	v_sub_nc_u32_e32 v10, 29, v10
	v_lshlrev_b64 v[18:19], v12, v[8:9]
	v_and_b32_e32 v8, 7, v18
; %bb.2089:                             ;   in Loop: Header=BB200_1056 Depth=1
	s_or_b32 exec_lo, exec_lo, s18
	v_lshlrev_b32_e32 v12, 16, v28
	v_lshlrev_b32_e32 v8, 20, v8
	v_lshl_add_u32 v10, v10, 23, 0x3c000000
	v_mov_b32_e32 v18, v9
	v_and_b32_e32 v12, 0x80000000, v12
	v_or3_b32 v19, v8, v12, v10
.LBB200_2090:                           ;   in Loop: Header=BB200_1056 Depth=1
	s_or_b32 exec_lo, exec_lo, s15
.LBB200_2091:                           ;   in Loop: Header=BB200_1056 Depth=1
	s_or_b32 exec_lo, exec_lo, s9
.LBB200_2092:                           ;   in Loop: Header=BB200_1056 Depth=1
	s_or_b32 exec_lo, exec_lo, s7
	v_mov_b32_e32 v20, 0
	v_mov_b32_e32 v22, 0
	v_and_b32_sdwa v8, v28, v101 dst_sel:DWORD dst_unused:UNUSED_PAD src0_sel:WORD_1 src1_sel:DWORD
	v_mov_b32_e32 v21, 0
	v_mov_b32_e32 v23, 0
	s_mov_b32 s7, exec_lo
	v_cmpx_ne_u16_e32 0, v8
	s_cbranch_execz .LBB200_2100
; %bb.2093:                             ;   in Loop: Header=BB200_1056 Depth=1
	v_bfrev_b32_e32 v22, 1
	v_mov_b32_e32 v23, 0
	s_mov_b32 s9, exec_lo
	v_cmpx_ne_u16_e32 0x80, v8
	s_cbranch_execz .LBB200_2099
; %bb.2094:                             ;   in Loop: Header=BB200_1056 Depth=1
	v_mov_b32_e32 v22, 0x7f800001
	v_bfe_u32 v12, v28, 16, 7
	v_mov_b32_e32 v23, 0
	s_mov_b32 s15, exec_lo
	v_cmpx_ne_u32_e32 0x7f, v12
	s_cbranch_execz .LBB200_2098
; %bb.2095:                             ;   in Loop: Header=BB200_1056 Depth=1
	v_mov_b32_e32 v8, 7
	v_lshrrev_b32_e32 v10, 3, v12
	s_mov_b32 s18, exec_lo
	v_and_b32_sdwa v8, v28, v8 dst_sel:DWORD dst_unused:UNUSED_PAD src0_sel:WORD_1 src1_sel:DWORD
	v_cmpx_gt_u32_e32 8, v12
; %bb.2096:                             ;   in Loop: Header=BB200_1056 Depth=1
	v_ffbh_u32_e32 v10, v8
	v_min_u32_e32 v10, 32, v10
	v_subrev_nc_u32_e32 v12, 28, v10
	v_sub_nc_u32_e32 v10, 29, v10
	v_lshlrev_b64 v[22:23], v12, v[8:9]
	v_and_b32_e32 v8, 7, v22
; %bb.2097:                             ;   in Loop: Header=BB200_1056 Depth=1
	s_or_b32 exec_lo, exec_lo, s18
	v_mov_b32_e32 v12, 24
	v_lshlrev_b32_e32 v8, 20, v8
	v_lshl_add_u32 v10, v10, 23, 0x3c000000
	v_lshlrev_b32_sdwa v12, v12, v28 dst_sel:DWORD dst_unused:UNUSED_PAD src0_sel:DWORD src1_sel:WORD_1
	v_and_b32_e32 v12, 0x80000000, v12
	v_or3_b32 v8, v8, v12, v10
	v_mov_b32_e32 v23, v9
	v_mov_b32_e32 v22, v8
.LBB200_2098:                           ;   in Loop: Header=BB200_1056 Depth=1
	s_or_b32 exec_lo, exec_lo, s15
.LBB200_2099:                           ;   in Loop: Header=BB200_1056 Depth=1
	s_or_b32 exec_lo, exec_lo, s9
.LBB200_2100:                           ;   in Loop: Header=BB200_1056 Depth=1
	s_or_b32 exec_lo, exec_lo, s7
	s_mov_b32 s7, exec_lo
	v_cmpx_lt_u32_e32 0xffffff, v28
	s_cbranch_execz .LBB200_2108
; %bb.2101:                             ;   in Loop: Header=BB200_1056 Depth=1
	v_mov_b32_e32 v10, v9
	v_mov_b32_e32 v21, v11
	v_cmp_ne_u32_sdwa s4, v28, v99 src0_sel:BYTE_3 src1_sel:DWORD
	v_mov_b32_e32 v20, v10
	s_and_saveexec_b32 s9, s4
	s_cbranch_execz .LBB200_2107
; %bb.2102:                             ;   in Loop: Header=BB200_1056 Depth=1
	v_mov_b32_e32 v12, v9
	v_mov_b32_e32 v21, v13
	v_bfe_u32 v67, v28, 24, 7
	s_mov_b32 s15, exec_lo
	v_mov_b32_e32 v20, v12
	v_cmpx_ne_u32_e32 0x7f, v67
	s_cbranch_execz .LBB200_2106
; %bb.2103:                             ;   in Loop: Header=BB200_1056 Depth=1
	v_mov_b32_e32 v8, 7
	v_lshrrev_b32_e32 v10, 3, v67
	s_mov_b32 s18, exec_lo
	v_and_b32_sdwa v8, v28, v8 dst_sel:DWORD dst_unused:UNUSED_PAD src0_sel:BYTE_3 src1_sel:DWORD
	v_cmpx_gt_u32_e32 8, v67
; %bb.2104:                             ;   in Loop: Header=BB200_1056 Depth=1
	v_ffbh_u32_e32 v10, v8
	v_min_u32_e32 v10, 32, v10
	v_subrev_nc_u32_e32 v12, 28, v10
	v_sub_nc_u32_e32 v10, 29, v10
	v_lshlrev_b64 v[20:21], v12, v[8:9]
	v_and_b32_e32 v8, 7, v20
; %bb.2105:                             ;   in Loop: Header=BB200_1056 Depth=1
	s_or_b32 exec_lo, exec_lo, s18
	v_mov_b32_e32 v12, 24
	v_lshlrev_b32_e32 v8, 20, v8
	v_lshl_add_u32 v10, v10, 23, 0x3c000000
	v_mov_b32_e32 v20, v9
	v_lshlrev_b32_sdwa v12, v12, v28 dst_sel:DWORD dst_unused:UNUSED_PAD src0_sel:DWORD src1_sel:BYTE_3
	v_and_b32_e32 v12, 0x80000000, v12
	v_or3_b32 v21, v8, v12, v10
.LBB200_2106:                           ;   in Loop: Header=BB200_1056 Depth=1
	s_or_b32 exec_lo, exec_lo, s15
.LBB200_2107:                           ;   in Loop: Header=BB200_1056 Depth=1
	s_or_b32 exec_lo, exec_lo, s9
.LBB200_2108:                           ;   in Loop: Header=BB200_1056 Depth=1
	s_or_b32 exec_lo, exec_lo, s7
	v_or_b32_e32 v8, v19, v17
	v_or_b32_e32 v10, v18, v16
	;; [unrolled: 1-line block ×4, first 2 shown]
	v_mul_f32_e32 v67, v114, v8
	v_mul_f32_e32 v28, v96, v10
	;; [unrolled: 1-line block ×4, first 2 shown]
	s_and_saveexec_b32 s7, vcc_lo
	s_cbranch_execz .LBB200_2110
; %bb.2109:                             ;   in Loop: Header=BB200_1056 Depth=1
	buffer_load_dword v8, off, s[0:3], s32 offset:200 ; 4-byte Folded Reload
	s_waitcnt vmcnt(0)
	v_cmp_lt_i32_e64 s4, v47, v8
	v_cndmask_b32_e64 v28, 0, v28, s4
	v_cmp_lt_i32_e64 s4, v57, v8
	v_cndmask_b32_e64 v67, 0, v67, s4
	;; [unrolled: 2-line block ×4, first 2 shown]
.LBB200_2110:                           ;   in Loop: Header=BB200_1056 Depth=1
	s_or_b32 exec_lo, exec_lo, s7
	buffer_load_dword v8, off, s[0:3], s32 offset:680 ; 4-byte Folded Reload
	v_mov_b32_e32 v16, 0
	v_mov_b32_e32 v17, 0
	s_waitcnt vmcnt(0)
	v_add_co_u32 v14, s4, v14, v8
	v_add_co_ci_u32_e64 v15, null, 0, v15, s4
	flat_load_dword v116, v[14:15]
	v_mov_b32_e32 v14, 0
	v_mov_b32_e32 v15, 0
	s_waitcnt vmcnt(0) lgkmcnt(0)
	v_cmp_ne_u16_sdwa s4, v116, v9 src0_sel:BYTE_0 src1_sel:DWORD
	s_and_saveexec_b32 s7, s4
	s_cbranch_execz .LBB200_2118
; %bb.2111:                             ;   in Loop: Header=BB200_1056 Depth=1
	v_bfrev_b32_e32 v14, 1
	v_mov_b32_e32 v15, 0
	v_cmp_ne_u16_sdwa s4, v116, v99 src0_sel:BYTE_0 src1_sel:DWORD
	s_and_saveexec_b32 s9, s4
	s_cbranch_execz .LBB200_2117
; %bb.2112:                             ;   in Loop: Header=BB200_1056 Depth=1
	v_mov_b32_e32 v14, 0x7f800001
	v_and_b32_e32 v12, 0x7f, v116
	v_mov_b32_e32 v15, 0
	s_mov_b32 s15, exec_lo
	v_cmpx_ne_u32_e32 0x7f, v12
	s_cbranch_execz .LBB200_2116
; %bb.2113:                             ;   in Loop: Header=BB200_1056 Depth=1
	v_and_b32_e32 v8, 7, v116
	v_lshrrev_b32_e32 v10, 3, v12
	s_mov_b32 s18, exec_lo
	v_cmpx_gt_u32_e32 8, v12
; %bb.2114:                             ;   in Loop: Header=BB200_1056 Depth=1
	v_ffbh_u32_e32 v10, v8
	v_min_u32_e32 v10, 32, v10
	v_subrev_nc_u32_e32 v12, 28, v10
	v_sub_nc_u32_e32 v10, 29, v10
	v_lshlrev_b64 v[14:15], v12, v[8:9]
	v_and_b32_e32 v8, 7, v14
; %bb.2115:                             ;   in Loop: Header=BB200_1056 Depth=1
	s_or_b32 exec_lo, exec_lo, s18
	v_lshlrev_b32_e32 v12, 24, v116
	v_lshlrev_b32_e32 v8, 20, v8
	v_lshl_add_u32 v10, v10, 23, 0x3c000000
	v_and_b32_e32 v12, 0x80000000, v12
	v_or3_b32 v8, v8, v12, v10
	v_mov_b32_e32 v15, v9
	v_mov_b32_e32 v14, v8
.LBB200_2116:                           ;   in Loop: Header=BB200_1056 Depth=1
	s_or_b32 exec_lo, exec_lo, s15
.LBB200_2117:                           ;   in Loop: Header=BB200_1056 Depth=1
	s_or_b32 exec_lo, exec_lo, s9
.LBB200_2118:                           ;   in Loop: Header=BB200_1056 Depth=1
	s_or_b32 exec_lo, exec_lo, s7
	v_cmp_ne_u16_sdwa s4, v116, v9 src0_sel:BYTE_1 src1_sel:DWORD
	s_and_saveexec_b32 s7, s4
	s_cbranch_execz .LBB200_2126
; %bb.2119:                             ;   in Loop: Header=BB200_1056 Depth=1
	v_mov_b32_e32 v10, v9
	v_mov_b32_e32 v17, v11
	v_cmp_ne_u16_sdwa s4, v116, v99 src0_sel:BYTE_1 src1_sel:DWORD
	v_mov_b32_e32 v16, v10
	s_and_saveexec_b32 s9, s4
	s_cbranch_execz .LBB200_2125
; %bb.2120:                             ;   in Loop: Header=BB200_1056 Depth=1
	v_mov_b32_e32 v8, 0xffff
	v_mov_b32_e32 v12, v9
	;; [unrolled: 1-line block ×3, first 2 shown]
	s_mov_b32 s15, exec_lo
	v_and_b32_sdwa v8, v8, v116 dst_sel:DWORD dst_unused:UNUSED_PAD src0_sel:DWORD src1_sel:BYTE_1
	v_mov_b32_e32 v16, v12
	v_and_b32_e32 v18, 0x7f, v8
	v_cmpx_ne_u32_e32 0x7f, v18
	s_cbranch_execz .LBB200_2124
; %bb.2121:                             ;   in Loop: Header=BB200_1056 Depth=1
	v_and_b32_e32 v8, 7, v8
	v_lshrrev_b32_e32 v10, 3, v18
	s_mov_b32 s18, exec_lo
	v_cmpx_gt_u32_e32 8, v18
; %bb.2122:                             ;   in Loop: Header=BB200_1056 Depth=1
	v_ffbh_u32_e32 v10, v8
	v_min_u32_e32 v10, 32, v10
	v_subrev_nc_u32_e32 v12, 28, v10
	v_sub_nc_u32_e32 v10, 29, v10
	v_lshlrev_b64 v[16:17], v12, v[8:9]
	v_and_b32_e32 v8, 7, v16
; %bb.2123:                             ;   in Loop: Header=BB200_1056 Depth=1
	s_or_b32 exec_lo, exec_lo, s18
	v_lshlrev_b32_e32 v12, 16, v116
	v_lshlrev_b32_e32 v8, 20, v8
	v_lshl_add_u32 v10, v10, 23, 0x3c000000
	v_mov_b32_e32 v16, v9
	v_and_b32_e32 v12, 0x80000000, v12
	v_or3_b32 v17, v8, v12, v10
.LBB200_2124:                           ;   in Loop: Header=BB200_1056 Depth=1
	s_or_b32 exec_lo, exec_lo, s15
.LBB200_2125:                           ;   in Loop: Header=BB200_1056 Depth=1
	s_or_b32 exec_lo, exec_lo, s9
.LBB200_2126:                           ;   in Loop: Header=BB200_1056 Depth=1
	s_or_b32 exec_lo, exec_lo, s7
	v_mov_b32_e32 v18, 0
	v_mov_b32_e32 v20, 0
	v_and_b32_sdwa v8, v116, v101 dst_sel:DWORD dst_unused:UNUSED_PAD src0_sel:WORD_1 src1_sel:DWORD
	v_mov_b32_e32 v19, 0
	v_mov_b32_e32 v21, 0
	s_mov_b32 s7, exec_lo
	v_cmpx_ne_u16_e32 0, v8
	s_cbranch_execz .LBB200_2134
; %bb.2127:                             ;   in Loop: Header=BB200_1056 Depth=1
	v_bfrev_b32_e32 v20, 1
	v_mov_b32_e32 v21, 0
	s_mov_b32 s9, exec_lo
	v_cmpx_ne_u16_e32 0x80, v8
	s_cbranch_execz .LBB200_2133
; %bb.2128:                             ;   in Loop: Header=BB200_1056 Depth=1
	v_mov_b32_e32 v20, 0x7f800001
	v_bfe_u32 v12, v116, 16, 7
	v_mov_b32_e32 v21, 0
	s_mov_b32 s15, exec_lo
	v_cmpx_ne_u32_e32 0x7f, v12
	s_cbranch_execz .LBB200_2132
; %bb.2129:                             ;   in Loop: Header=BB200_1056 Depth=1
	v_mov_b32_e32 v8, 7
	v_lshrrev_b32_e32 v10, 3, v12
	s_mov_b32 s18, exec_lo
	v_and_b32_sdwa v8, v116, v8 dst_sel:DWORD dst_unused:UNUSED_PAD src0_sel:WORD_1 src1_sel:DWORD
	v_cmpx_gt_u32_e32 8, v12
; %bb.2130:                             ;   in Loop: Header=BB200_1056 Depth=1
	v_ffbh_u32_e32 v10, v8
	v_min_u32_e32 v10, 32, v10
	v_subrev_nc_u32_e32 v12, 28, v10
	v_sub_nc_u32_e32 v10, 29, v10
	v_lshlrev_b64 v[20:21], v12, v[8:9]
	v_and_b32_e32 v8, 7, v20
; %bb.2131:                             ;   in Loop: Header=BB200_1056 Depth=1
	s_or_b32 exec_lo, exec_lo, s18
	v_mov_b32_e32 v12, 24
	v_lshlrev_b32_e32 v8, 20, v8
	v_lshl_add_u32 v10, v10, 23, 0x3c000000
	v_lshlrev_b32_sdwa v12, v12, v116 dst_sel:DWORD dst_unused:UNUSED_PAD src0_sel:DWORD src1_sel:WORD_1
	v_and_b32_e32 v12, 0x80000000, v12
	v_or3_b32 v8, v8, v12, v10
	v_mov_b32_e32 v21, v9
	v_mov_b32_e32 v20, v8
.LBB200_2132:                           ;   in Loop: Header=BB200_1056 Depth=1
	s_or_b32 exec_lo, exec_lo, s15
.LBB200_2133:                           ;   in Loop: Header=BB200_1056 Depth=1
	s_or_b32 exec_lo, exec_lo, s9
.LBB200_2134:                           ;   in Loop: Header=BB200_1056 Depth=1
	s_or_b32 exec_lo, exec_lo, s7
	s_mov_b32 s7, exec_lo
	v_cmpx_lt_u32_e32 0xffffff, v116
	s_cbranch_execz .LBB200_2142
; %bb.2135:                             ;   in Loop: Header=BB200_1056 Depth=1
	v_mov_b32_e32 v10, v9
	v_mov_b32_e32 v19, v11
	v_cmp_ne_u32_sdwa s4, v116, v99 src0_sel:BYTE_3 src1_sel:DWORD
	v_mov_b32_e32 v18, v10
	s_and_saveexec_b32 s9, s4
	s_cbranch_execz .LBB200_2141
; %bb.2136:                             ;   in Loop: Header=BB200_1056 Depth=1
	v_mov_b32_e32 v12, v9
	v_mov_b32_e32 v19, v13
	v_bfe_u32 v117, v116, 24, 7
	s_mov_b32 s15, exec_lo
	v_mov_b32_e32 v18, v12
	v_cmpx_ne_u32_e32 0x7f, v117
	s_cbranch_execz .LBB200_2140
; %bb.2137:                             ;   in Loop: Header=BB200_1056 Depth=1
	v_mov_b32_e32 v8, 7
	v_lshrrev_b32_e32 v10, 3, v117
	s_mov_b32 s18, exec_lo
	v_and_b32_sdwa v8, v116, v8 dst_sel:DWORD dst_unused:UNUSED_PAD src0_sel:BYTE_3 src1_sel:DWORD
	v_cmpx_gt_u32_e32 8, v117
; %bb.2138:                             ;   in Loop: Header=BB200_1056 Depth=1
	v_ffbh_u32_e32 v10, v8
	v_min_u32_e32 v10, 32, v10
	v_subrev_nc_u32_e32 v12, 28, v10
	v_sub_nc_u32_e32 v10, 29, v10
	v_lshlrev_b64 v[18:19], v12, v[8:9]
	v_and_b32_e32 v8, 7, v18
; %bb.2139:                             ;   in Loop: Header=BB200_1056 Depth=1
	s_or_b32 exec_lo, exec_lo, s18
	v_mov_b32_e32 v12, 24
	v_lshlrev_b32_e32 v8, 20, v8
	v_lshl_add_u32 v10, v10, 23, 0x3c000000
	v_mov_b32_e32 v18, v9
	v_lshlrev_b32_sdwa v12, v12, v116 dst_sel:DWORD dst_unused:UNUSED_PAD src0_sel:DWORD src1_sel:BYTE_3
	v_and_b32_e32 v12, 0x80000000, v12
	v_or3_b32 v19, v8, v12, v10
.LBB200_2140:                           ;   in Loop: Header=BB200_1056 Depth=1
	s_or_b32 exec_lo, exec_lo, s15
.LBB200_2141:                           ;   in Loop: Header=BB200_1056 Depth=1
	s_or_b32 exec_lo, exec_lo, s9
.LBB200_2142:                           ;   in Loop: Header=BB200_1056 Depth=1
	s_or_b32 exec_lo, exec_lo, s7
	v_or_b32_e32 v8, v17, v15
	v_or_b32_e32 v10, v16, v14
	;; [unrolled: 1-line block ×4, first 2 shown]
	v_mul_f32_e32 v14, v114, v8
	v_mul_f32_e32 v12, v96, v10
	;; [unrolled: 1-line block ×4, first 2 shown]
	s_and_saveexec_b32 s4, vcc_lo
	s_cbranch_execz .LBB200_1055
; %bb.2143:                             ;   in Loop: Header=BB200_1056 Depth=1
	buffer_load_dword v15, off, s[0:3], s32 offset:200 ; 4-byte Folded Reload
	s_waitcnt vmcnt(0)
	v_cmp_lt_i32_e32 vcc_lo, v47, v15
	v_cndmask_b32_e32 v12, 0, v12, vcc_lo
	v_cmp_lt_i32_e32 vcc_lo, v57, v15
	v_cndmask_b32_e32 v14, 0, v14, vcc_lo
	;; [unrolled: 2-line block ×4, first 2 shown]
	s_branch .LBB200_1055
.LBB200_2144:
	s_or_b32 exec_lo, exec_lo, s6
	s_clause 0x3
	buffer_load_dword v101, off, s[0:3], s32 offset:704
	buffer_load_dword v96, off, s[0:3], s32 offset:688
	;; [unrolled: 1-line block ×4, first 2 shown]
	v_mov_b32_e32 v0, s16
	v_mov_b32_e32 v1, s17
.LBB200_2145:
	s_or_b32 exec_lo, exec_lo, s5
	v_lshlrev_b64 v[0:1], 2, v[0:1]
	s_getpc_b64 s[4:5]
	s_add_u32 s4, s4, llvm.amdgcn.dynlds.offset.table@rel32@lo+4
	s_addc_u32 s5, s5, llvm.amdgcn.dynlds.offset.table@rel32@hi+12
	s_waitcnt vmcnt(0)
	s_waitcnt_vscnt null, 0x0
	s_barrier
	buffer_gl0_inv
	ds_bpermute_b32 v2, v67, v86
	v_add_co_u32 v0, vcc_lo, s4, v0
	v_add_co_ci_u32_e64 v1, null, s5, v1, vcc_lo
	ds_bpermute_b32 v3, v67, v85
	ds_bpermute_b32 v4, v67, v83
	ds_bpermute_b32 v5, v67, v82
	global_load_dword v66, v[0:1], off
	ds_bpermute_b32 v0, v67, v84
	ds_bpermute_b32 v1, v67, v87
	;; [unrolled: 1-line block ×28, first 2 shown]
	v_lshrrev_b32_e32 v67, 2, v96
	v_and_b32_e32 v99, 28, v96
	s_clause 0x1
	buffer_load_dword v96, off, s[0:3], s32 offset:1420
	buffer_load_dword v100, off, s[0:3], s32 offset:1424
	s_waitcnt lgkmcnt(27)
	v_add_f32_e32 v0, v84, v0
	s_waitcnt lgkmcnt(26)
	v_add_f32_e32 v1, v87, v1
	v_add_f32_e32 v2, v86, v2
	v_add_f32_e32 v3, v85, v3
	v_add_f32_e32 v4, v83, v4
	v_add_f32_e32 v5, v82, v5
	s_waitcnt lgkmcnt(25)
	v_add_f32_e32 v6, v81, v6
	s_waitcnt lgkmcnt(24)
	v_add_f32_e32 v7, v80, v7
	;; [unrolled: 2-line block ×26, first 2 shown]
	ds_bpermute_b32 v30, v101, v0
	ds_bpermute_b32 v33, v101, v1
	;; [unrolled: 1-line block ×32, first 2 shown]
	s_waitcnt lgkmcnt(31)
	v_add_f32_e32 v0, v0, v30
	s_waitcnt lgkmcnt(30)
	v_add_f32_e32 v1, v1, v33
	;; [unrolled: 2-line block ×32, first 2 shown]
	s_mov_b32 s4, exec_lo
	s_waitcnt vmcnt(2)
	v_add_nc_u32_e32 v33, v66, v99
	s_waitcnt vmcnt(1)
	v_lshlrev_b32_e32 v96, 10, v96
	s_waitcnt vmcnt(0)
	v_and_b32_e32 v100, 0x3c3, v100
	v_cmpx_eq_u32_e32 64, v100
	s_cbranch_execz .LBB200_2147
; %bb.2146:
	v_add_nc_u32_e32 v32, v33, v96
	v_add_nc_u32_e32 v34, 0xfffff800, v32
	;; [unrolled: 1-line block ×8, first 2 shown]
	ds_write_b32 v34, v0
	ds_write_b32 v35, v1
	;; [unrolled: 1-line block ×7, first 2 shown]
	v_add_nc_u32_e32 v34, 0xfffff8e0, v32
	v_add_nc_u32_e32 v35, 0xfffff900, v32
	v_add_nc_u32_e32 v36, 0xfffff920, v32
	v_add_nc_u32_e32 v37, 0xfffff940, v32
	v_add_nc_u32_e32 v38, 0xfffff960, v32
	ds_write_b32 v34, v7
	ds_write_b32 v35, v8
	ds_write_b32 v36, v9
	ds_write_b32 v37, v10
	ds_write_b32 v38, v11
	v_add_nc_u32_e32 v34, 0xfffff980, v32
	v_add_nc_u32_e32 v35, 0xfffff9a0, v32
	v_add_nc_u32_e32 v36, 0xfffff9c0, v32
	v_add_nc_u32_e32 v37, 0xfffff9e0, v32
	v_add_nc_u32_e32 v38, 0xfffffa00, v32
	ds_write_b32 v34, v12
	ds_write_b32 v35, v13
	ds_write_b32 v36, v14
	ds_write_b32 v37, v15
	ds_write_b32 v38, v16
	;; [unrolled: 10-line block ×5, first 2 shown]
.LBB200_2147:
	s_or_b32 exec_lo, exec_lo, s4
	buffer_load_dword v35, off, s[0:3], s32 offset:1424 ; 4-byte Folded Reload
	v_lshlrev_b32_e32 v32, 2, v67
	s_mov_b32 s5, exec_lo
	v_cmp_eq_u32_e32 vcc_lo, 0, v102
	s_waitcnt vmcnt(0) lgkmcnt(0)
	s_barrier
	v_add3_u32 v32, v66, v96, v32
	buffer_gl0_inv
	v_cmpx_gt_u32_e32 64, v35
	s_cbranch_execz .LBB200_2182
; %bb.2148:
	s_and_saveexec_b32 s4, vcc_lo
	s_cbranch_execnz .LBB200_2222
; %bb.2149:
	s_or_b32 exec_lo, exec_lo, s4
	s_and_saveexec_b32 s4, vcc_lo
	s_cbranch_execnz .LBB200_2223
.LBB200_2150:
	s_or_b32 exec_lo, exec_lo, s4
	s_and_saveexec_b32 s4, vcc_lo
	s_cbranch_execnz .LBB200_2224
.LBB200_2151:
	s_or_b32 exec_lo, exec_lo, s4
	s_and_saveexec_b32 s4, vcc_lo
	s_cbranch_execnz .LBB200_2225
.LBB200_2152:
	s_or_b32 exec_lo, exec_lo, s4
	s_and_saveexec_b32 s4, vcc_lo
	s_cbranch_execnz .LBB200_2226
.LBB200_2153:
	s_or_b32 exec_lo, exec_lo, s4
	s_and_saveexec_b32 s4, vcc_lo
	s_cbranch_execnz .LBB200_2227
.LBB200_2154:
	s_or_b32 exec_lo, exec_lo, s4
	s_and_saveexec_b32 s4, vcc_lo
	s_cbranch_execnz .LBB200_2228
.LBB200_2155:
	s_or_b32 exec_lo, exec_lo, s4
	s_and_saveexec_b32 s4, vcc_lo
	s_cbranch_execnz .LBB200_2229
.LBB200_2156:
	s_or_b32 exec_lo, exec_lo, s4
	s_and_saveexec_b32 s4, vcc_lo
	s_cbranch_execnz .LBB200_2230
.LBB200_2157:
	s_or_b32 exec_lo, exec_lo, s4
	s_and_saveexec_b32 s4, vcc_lo
	s_cbranch_execnz .LBB200_2231
.LBB200_2158:
	s_or_b32 exec_lo, exec_lo, s4
	s_and_saveexec_b32 s4, vcc_lo
	s_cbranch_execnz .LBB200_2232
.LBB200_2159:
	s_or_b32 exec_lo, exec_lo, s4
	s_and_saveexec_b32 s4, vcc_lo
	s_cbranch_execnz .LBB200_2233
.LBB200_2160:
	s_or_b32 exec_lo, exec_lo, s4
	s_and_saveexec_b32 s4, vcc_lo
	s_cbranch_execnz .LBB200_2234
.LBB200_2161:
	s_or_b32 exec_lo, exec_lo, s4
	s_and_saveexec_b32 s4, vcc_lo
	s_cbranch_execnz .LBB200_2235
.LBB200_2162:
	s_or_b32 exec_lo, exec_lo, s4
	s_and_saveexec_b32 s4, vcc_lo
	s_cbranch_execnz .LBB200_2236
.LBB200_2163:
	s_or_b32 exec_lo, exec_lo, s4
	s_and_saveexec_b32 s4, vcc_lo
	s_cbranch_execnz .LBB200_2237
.LBB200_2164:
	s_or_b32 exec_lo, exec_lo, s4
	s_and_saveexec_b32 s4, vcc_lo
	s_cbranch_execnz .LBB200_2238
.LBB200_2165:
	s_or_b32 exec_lo, exec_lo, s4
	s_and_saveexec_b32 s4, vcc_lo
	s_cbranch_execnz .LBB200_2239
.LBB200_2166:
	s_or_b32 exec_lo, exec_lo, s4
	s_and_saveexec_b32 s4, vcc_lo
	s_cbranch_execnz .LBB200_2240
.LBB200_2167:
	s_or_b32 exec_lo, exec_lo, s4
	s_and_saveexec_b32 s4, vcc_lo
	s_cbranch_execnz .LBB200_2241
.LBB200_2168:
	s_or_b32 exec_lo, exec_lo, s4
	s_and_saveexec_b32 s4, vcc_lo
	s_cbranch_execnz .LBB200_2242
.LBB200_2169:
	s_or_b32 exec_lo, exec_lo, s4
	s_and_saveexec_b32 s4, vcc_lo
	s_cbranch_execnz .LBB200_2243
.LBB200_2170:
	s_or_b32 exec_lo, exec_lo, s4
	s_and_saveexec_b32 s4, vcc_lo
	s_cbranch_execnz .LBB200_2244
.LBB200_2171:
	s_or_b32 exec_lo, exec_lo, s4
	s_and_saveexec_b32 s4, vcc_lo
	s_cbranch_execnz .LBB200_2245
.LBB200_2172:
	s_or_b32 exec_lo, exec_lo, s4
	s_and_saveexec_b32 s4, vcc_lo
	s_cbranch_execnz .LBB200_2246
.LBB200_2173:
	s_or_b32 exec_lo, exec_lo, s4
	s_and_saveexec_b32 s4, vcc_lo
	s_cbranch_execnz .LBB200_2247
.LBB200_2174:
	s_or_b32 exec_lo, exec_lo, s4
	s_and_saveexec_b32 s4, vcc_lo
	s_cbranch_execnz .LBB200_2248
.LBB200_2175:
	s_or_b32 exec_lo, exec_lo, s4
	s_and_saveexec_b32 s4, vcc_lo
	s_cbranch_execnz .LBB200_2249
.LBB200_2176:
	s_or_b32 exec_lo, exec_lo, s4
	s_and_saveexec_b32 s4, vcc_lo
	s_cbranch_execnz .LBB200_2250
.LBB200_2177:
	s_or_b32 exec_lo, exec_lo, s4
	s_and_saveexec_b32 s4, vcc_lo
	s_cbranch_execnz .LBB200_2251
.LBB200_2178:
	s_or_b32 exec_lo, exec_lo, s4
	s_and_saveexec_b32 s4, vcc_lo
	s_cbranch_execnz .LBB200_2252
.LBB200_2179:
	s_or_b32 exec_lo, exec_lo, s4
	s_and_saveexec_b32 s4, vcc_lo
	s_cbranch_execz .LBB200_2181
.LBB200_2180:
	ds_read_b32 v34, v32 offset:992
	s_waitcnt lgkmcnt(0)
	v_add_f32_e32 v31, v34, v31
.LBB200_2181:
	s_or_b32 exec_lo, exec_lo, s4
.LBB200_2182:
	s_or_b32 exec_lo, exec_lo, s5
	v_and_b32_e32 v34, 0x3e3, v35
	s_mov_b32 s5, exec_lo
	s_barrier
	buffer_gl0_inv
	v_cmpx_eq_u32_e32 32, v34
	s_cbranch_execz .LBB200_2184
; %bb.2183:
	ds_write2_b32 v33, v0, v1 offset1:8
	ds_write2_b32 v33, v2, v3 offset0:16 offset1:24
	ds_write2_b32 v33, v4, v5 offset0:32 offset1:40
	;; [unrolled: 1-line block ×15, first 2 shown]
.LBB200_2184:
	s_or_b32 exec_lo, exec_lo, s5
	s_mov_b32 s5, exec_lo
	s_waitcnt lgkmcnt(0)
	s_barrier
	buffer_gl0_inv
	v_cmpx_gt_u32_e32 32, v35
	s_cbranch_execz .LBB200_2219
; %bb.2185:
	s_and_saveexec_b32 s4, vcc_lo
	s_cbranch_execnz .LBB200_2253
; %bb.2186:
	s_or_b32 exec_lo, exec_lo, s4
	s_and_saveexec_b32 s4, vcc_lo
	s_cbranch_execnz .LBB200_2254
.LBB200_2187:
	s_or_b32 exec_lo, exec_lo, s4
	s_and_saveexec_b32 s4, vcc_lo
	s_cbranch_execnz .LBB200_2255
.LBB200_2188:
	s_or_b32 exec_lo, exec_lo, s4
	s_and_saveexec_b32 s4, vcc_lo
	s_cbranch_execnz .LBB200_2256
.LBB200_2189:
	s_or_b32 exec_lo, exec_lo, s4
	s_and_saveexec_b32 s4, vcc_lo
	s_cbranch_execnz .LBB200_2257
.LBB200_2190:
	s_or_b32 exec_lo, exec_lo, s4
	s_and_saveexec_b32 s4, vcc_lo
	s_cbranch_execnz .LBB200_2258
.LBB200_2191:
	s_or_b32 exec_lo, exec_lo, s4
	s_and_saveexec_b32 s4, vcc_lo
	s_cbranch_execnz .LBB200_2259
.LBB200_2192:
	s_or_b32 exec_lo, exec_lo, s4
	s_and_saveexec_b32 s4, vcc_lo
	s_cbranch_execnz .LBB200_2260
.LBB200_2193:
	s_or_b32 exec_lo, exec_lo, s4
	s_and_saveexec_b32 s4, vcc_lo
	s_cbranch_execnz .LBB200_2261
.LBB200_2194:
	s_or_b32 exec_lo, exec_lo, s4
	s_and_saveexec_b32 s4, vcc_lo
	s_cbranch_execnz .LBB200_2262
.LBB200_2195:
	s_or_b32 exec_lo, exec_lo, s4
	s_and_saveexec_b32 s4, vcc_lo
	s_cbranch_execnz .LBB200_2263
.LBB200_2196:
	s_or_b32 exec_lo, exec_lo, s4
	s_and_saveexec_b32 s4, vcc_lo
	s_cbranch_execnz .LBB200_2264
.LBB200_2197:
	s_or_b32 exec_lo, exec_lo, s4
	s_and_saveexec_b32 s4, vcc_lo
	s_cbranch_execnz .LBB200_2265
.LBB200_2198:
	s_or_b32 exec_lo, exec_lo, s4
	s_and_saveexec_b32 s4, vcc_lo
	s_cbranch_execnz .LBB200_2266
.LBB200_2199:
	s_or_b32 exec_lo, exec_lo, s4
	s_and_saveexec_b32 s4, vcc_lo
	s_cbranch_execnz .LBB200_2267
.LBB200_2200:
	s_or_b32 exec_lo, exec_lo, s4
	s_and_saveexec_b32 s4, vcc_lo
	s_cbranch_execnz .LBB200_2268
.LBB200_2201:
	s_or_b32 exec_lo, exec_lo, s4
	s_and_saveexec_b32 s4, vcc_lo
	s_cbranch_execnz .LBB200_2269
.LBB200_2202:
	s_or_b32 exec_lo, exec_lo, s4
	s_and_saveexec_b32 s4, vcc_lo
	s_cbranch_execnz .LBB200_2270
.LBB200_2203:
	s_or_b32 exec_lo, exec_lo, s4
	s_and_saveexec_b32 s4, vcc_lo
	s_cbranch_execnz .LBB200_2271
.LBB200_2204:
	s_or_b32 exec_lo, exec_lo, s4
	s_and_saveexec_b32 s4, vcc_lo
	s_cbranch_execnz .LBB200_2272
.LBB200_2205:
	s_or_b32 exec_lo, exec_lo, s4
	s_and_saveexec_b32 s4, vcc_lo
	s_cbranch_execnz .LBB200_2273
.LBB200_2206:
	s_or_b32 exec_lo, exec_lo, s4
	s_and_saveexec_b32 s4, vcc_lo
	s_cbranch_execnz .LBB200_2274
.LBB200_2207:
	s_or_b32 exec_lo, exec_lo, s4
	s_and_saveexec_b32 s4, vcc_lo
	s_cbranch_execnz .LBB200_2275
.LBB200_2208:
	s_or_b32 exec_lo, exec_lo, s4
	s_and_saveexec_b32 s4, vcc_lo
	s_cbranch_execnz .LBB200_2276
.LBB200_2209:
	s_or_b32 exec_lo, exec_lo, s4
	s_and_saveexec_b32 s4, vcc_lo
	s_cbranch_execnz .LBB200_2277
.LBB200_2210:
	s_or_b32 exec_lo, exec_lo, s4
	s_and_saveexec_b32 s4, vcc_lo
	s_cbranch_execnz .LBB200_2278
.LBB200_2211:
	s_or_b32 exec_lo, exec_lo, s4
	s_and_saveexec_b32 s4, vcc_lo
	s_cbranch_execnz .LBB200_2279
.LBB200_2212:
	s_or_b32 exec_lo, exec_lo, s4
	s_and_saveexec_b32 s4, vcc_lo
	s_cbranch_execnz .LBB200_2280
.LBB200_2213:
	s_or_b32 exec_lo, exec_lo, s4
	s_and_saveexec_b32 s4, vcc_lo
	s_cbranch_execnz .LBB200_2281
.LBB200_2214:
	s_or_b32 exec_lo, exec_lo, s4
	s_and_saveexec_b32 s4, vcc_lo
	s_cbranch_execnz .LBB200_2282
.LBB200_2215:
	s_or_b32 exec_lo, exec_lo, s4
	s_and_saveexec_b32 s4, vcc_lo
	s_cbranch_execnz .LBB200_2283
.LBB200_2216:
	s_or_b32 exec_lo, exec_lo, s4
	s_and_saveexec_b32 s4, vcc_lo
	s_cbranch_execz .LBB200_2218
.LBB200_2217:
	ds_read_b32 v32, v32 offset:992
	s_waitcnt lgkmcnt(0)
	v_add_f32_e32 v31, v32, v31
.LBB200_2218:
	s_or_b32 exec_lo, exec_lo, s4
.LBB200_2219:
	s_or_b32 exec_lo, exec_lo, s5
	s_mov_b32 s4, exec_lo
	s_barrier
	buffer_gl0_inv
	v_cmpx_eq_u32_e32 0, v34
	s_cbranch_execz .LBB200_2221
; %bb.2220:
	s_clause 0x1
	buffer_load_dword v32, off, s[0:3], s32 offset:1460
	buffer_load_dword v33, off, s[0:3], s32 offset:1456
	s_and_b32 s5, 0xffff, s8
	s_cmp_lg_u32 s5, 0
	s_cselect_b32 s5, -1, 0
	s_cmp_lg_u32 s5, 0
	s_addc_u32 s5, s13, 0
	s_lshl_b32 s6, s14, 8
	s_mul_i32 s7, s10, s5
	s_mul_i32 s8, s12, s5
	;; [unrolled: 1-line block ×3, first 2 shown]
	s_ashr_i32 s9, s8, 31
	s_lshl_b32 s10, s7, 8
	s_lshl_b64 s[8:9], s[8:9], 2
	s_ashr_i32 s11, s10, 31
	s_ashr_i32 s7, s6, 31
	s_lshl_b64 s[10:11], s[10:11], 2
	s_lshl_b64 s[6:7], s[6:7], 2
	s_waitcnt vmcnt(1)
	v_add_co_u32 v32, vcc_lo, v32, s10
	s_waitcnt vmcnt(0)
	v_add_co_ci_u32_e64 v33, null, s11, v33, vcc_lo
	v_add_co_u32 v32, vcc_lo, v32, s8
	v_add_co_ci_u32_e64 v33, null, s9, v33, vcc_lo
	v_add_co_u32 v32, vcc_lo, v32, s6
	;; [unrolled: 2-line block ×3, first 2 shown]
	v_add_co_ci_u32_e64 v33, null, 0, v33, vcc_lo
	flat_store_dword v[32:33], v0
	flat_store_dword v[32:33], v1 offset:32
	flat_store_dword v[32:33], v2 offset:64
	;; [unrolled: 1-line block ×31, first 2 shown]
.LBB200_2221:
	s_or_b32 exec_lo, exec_lo, s4
	s_clause 0x2f
	buffer_load_dword v127, off, s[0:3], s32
	buffer_load_dword v126, off, s[0:3], s32 offset:4
	buffer_load_dword v125, off, s[0:3], s32 offset:8
	;; [unrolled: 1-line block ×47, first 2 shown]
	s_waitcnt vmcnt(0) lgkmcnt(0)
	s_setpc_b64 s[30:31]
.LBB200_2222:
	ds_read_b32 v34, v32
	s_waitcnt lgkmcnt(0)
	v_add_f32_e32 v0, v34, v0
	s_or_b32 exec_lo, exec_lo, s4
	s_and_saveexec_b32 s4, vcc_lo
	s_cbranch_execz .LBB200_2150
.LBB200_2223:
	ds_read_b32 v34, v32 offset:32
	s_waitcnt lgkmcnt(0)
	v_add_f32_e32 v1, v34, v1
	s_or_b32 exec_lo, exec_lo, s4
	s_and_saveexec_b32 s4, vcc_lo
	s_cbranch_execz .LBB200_2151
.LBB200_2224:
	ds_read_b32 v34, v32 offset:64
	s_waitcnt lgkmcnt(0)
	v_add_f32_e32 v2, v34, v2
	s_or_b32 exec_lo, exec_lo, s4
	s_and_saveexec_b32 s4, vcc_lo
	s_cbranch_execz .LBB200_2152
.LBB200_2225:
	ds_read_b32 v34, v32 offset:96
	s_waitcnt lgkmcnt(0)
	v_add_f32_e32 v3, v34, v3
	s_or_b32 exec_lo, exec_lo, s4
	s_and_saveexec_b32 s4, vcc_lo
	s_cbranch_execz .LBB200_2153
.LBB200_2226:
	ds_read_b32 v34, v32 offset:128
	s_waitcnt lgkmcnt(0)
	v_add_f32_e32 v4, v34, v4
	s_or_b32 exec_lo, exec_lo, s4
	s_and_saveexec_b32 s4, vcc_lo
	s_cbranch_execz .LBB200_2154
.LBB200_2227:
	ds_read_b32 v34, v32 offset:160
	s_waitcnt lgkmcnt(0)
	v_add_f32_e32 v5, v34, v5
	s_or_b32 exec_lo, exec_lo, s4
	s_and_saveexec_b32 s4, vcc_lo
	s_cbranch_execz .LBB200_2155
.LBB200_2228:
	ds_read_b32 v34, v32 offset:192
	s_waitcnt lgkmcnt(0)
	v_add_f32_e32 v6, v34, v6
	s_or_b32 exec_lo, exec_lo, s4
	s_and_saveexec_b32 s4, vcc_lo
	s_cbranch_execz .LBB200_2156
.LBB200_2229:
	ds_read_b32 v34, v32 offset:224
	s_waitcnt lgkmcnt(0)
	v_add_f32_e32 v7, v34, v7
	s_or_b32 exec_lo, exec_lo, s4
	s_and_saveexec_b32 s4, vcc_lo
	s_cbranch_execz .LBB200_2157
.LBB200_2230:
	ds_read_b32 v34, v32 offset:256
	s_waitcnt lgkmcnt(0)
	v_add_f32_e32 v8, v34, v8
	s_or_b32 exec_lo, exec_lo, s4
	s_and_saveexec_b32 s4, vcc_lo
	s_cbranch_execz .LBB200_2158
.LBB200_2231:
	ds_read_b32 v34, v32 offset:288
	s_waitcnt lgkmcnt(0)
	v_add_f32_e32 v9, v34, v9
	s_or_b32 exec_lo, exec_lo, s4
	s_and_saveexec_b32 s4, vcc_lo
	s_cbranch_execz .LBB200_2159
.LBB200_2232:
	ds_read_b32 v34, v32 offset:320
	s_waitcnt lgkmcnt(0)
	v_add_f32_e32 v10, v34, v10
	s_or_b32 exec_lo, exec_lo, s4
	s_and_saveexec_b32 s4, vcc_lo
	s_cbranch_execz .LBB200_2160
.LBB200_2233:
	ds_read_b32 v34, v32 offset:352
	s_waitcnt lgkmcnt(0)
	v_add_f32_e32 v11, v34, v11
	s_or_b32 exec_lo, exec_lo, s4
	s_and_saveexec_b32 s4, vcc_lo
	s_cbranch_execz .LBB200_2161
.LBB200_2234:
	ds_read_b32 v34, v32 offset:384
	s_waitcnt lgkmcnt(0)
	v_add_f32_e32 v12, v34, v12
	s_or_b32 exec_lo, exec_lo, s4
	s_and_saveexec_b32 s4, vcc_lo
	s_cbranch_execz .LBB200_2162
.LBB200_2235:
	ds_read_b32 v34, v32 offset:416
	s_waitcnt lgkmcnt(0)
	v_add_f32_e32 v13, v34, v13
	s_or_b32 exec_lo, exec_lo, s4
	s_and_saveexec_b32 s4, vcc_lo
	s_cbranch_execz .LBB200_2163
.LBB200_2236:
	ds_read_b32 v34, v32 offset:448
	s_waitcnt lgkmcnt(0)
	v_add_f32_e32 v14, v34, v14
	s_or_b32 exec_lo, exec_lo, s4
	s_and_saveexec_b32 s4, vcc_lo
	s_cbranch_execz .LBB200_2164
.LBB200_2237:
	ds_read_b32 v34, v32 offset:480
	s_waitcnt lgkmcnt(0)
	v_add_f32_e32 v15, v34, v15
	s_or_b32 exec_lo, exec_lo, s4
	s_and_saveexec_b32 s4, vcc_lo
	s_cbranch_execz .LBB200_2165
.LBB200_2238:
	ds_read_b32 v34, v32 offset:512
	s_waitcnt lgkmcnt(0)
	v_add_f32_e32 v16, v34, v16
	s_or_b32 exec_lo, exec_lo, s4
	s_and_saveexec_b32 s4, vcc_lo
	s_cbranch_execz .LBB200_2166
.LBB200_2239:
	ds_read_b32 v34, v32 offset:544
	s_waitcnt lgkmcnt(0)
	v_add_f32_e32 v17, v34, v17
	s_or_b32 exec_lo, exec_lo, s4
	s_and_saveexec_b32 s4, vcc_lo
	s_cbranch_execz .LBB200_2167
.LBB200_2240:
	ds_read_b32 v34, v32 offset:576
	s_waitcnt lgkmcnt(0)
	v_add_f32_e32 v18, v34, v18
	s_or_b32 exec_lo, exec_lo, s4
	s_and_saveexec_b32 s4, vcc_lo
	s_cbranch_execz .LBB200_2168
.LBB200_2241:
	ds_read_b32 v34, v32 offset:608
	s_waitcnt lgkmcnt(0)
	v_add_f32_e32 v19, v34, v19
	s_or_b32 exec_lo, exec_lo, s4
	s_and_saveexec_b32 s4, vcc_lo
	s_cbranch_execz .LBB200_2169
.LBB200_2242:
	ds_read_b32 v34, v32 offset:640
	s_waitcnt lgkmcnt(0)
	v_add_f32_e32 v20, v34, v20
	s_or_b32 exec_lo, exec_lo, s4
	s_and_saveexec_b32 s4, vcc_lo
	s_cbranch_execz .LBB200_2170
.LBB200_2243:
	ds_read_b32 v34, v32 offset:672
	s_waitcnt lgkmcnt(0)
	v_add_f32_e32 v21, v34, v21
	s_or_b32 exec_lo, exec_lo, s4
	s_and_saveexec_b32 s4, vcc_lo
	s_cbranch_execz .LBB200_2171
.LBB200_2244:
	ds_read_b32 v34, v32 offset:704
	s_waitcnt lgkmcnt(0)
	v_add_f32_e32 v22, v34, v22
	s_or_b32 exec_lo, exec_lo, s4
	s_and_saveexec_b32 s4, vcc_lo
	s_cbranch_execz .LBB200_2172
.LBB200_2245:
	ds_read_b32 v34, v32 offset:736
	s_waitcnt lgkmcnt(0)
	v_add_f32_e32 v23, v34, v23
	s_or_b32 exec_lo, exec_lo, s4
	s_and_saveexec_b32 s4, vcc_lo
	s_cbranch_execz .LBB200_2173
.LBB200_2246:
	ds_read_b32 v34, v32 offset:768
	s_waitcnt lgkmcnt(0)
	v_add_f32_e32 v24, v34, v24
	s_or_b32 exec_lo, exec_lo, s4
	s_and_saveexec_b32 s4, vcc_lo
	s_cbranch_execz .LBB200_2174
.LBB200_2247:
	ds_read_b32 v34, v32 offset:800
	s_waitcnt lgkmcnt(0)
	v_add_f32_e32 v25, v34, v25
	s_or_b32 exec_lo, exec_lo, s4
	s_and_saveexec_b32 s4, vcc_lo
	s_cbranch_execz .LBB200_2175
.LBB200_2248:
	ds_read_b32 v34, v32 offset:832
	s_waitcnt lgkmcnt(0)
	v_add_f32_e32 v26, v34, v26
	s_or_b32 exec_lo, exec_lo, s4
	s_and_saveexec_b32 s4, vcc_lo
	s_cbranch_execz .LBB200_2176
.LBB200_2249:
	ds_read_b32 v34, v32 offset:864
	s_waitcnt lgkmcnt(0)
	v_add_f32_e32 v27, v34, v27
	s_or_b32 exec_lo, exec_lo, s4
	s_and_saveexec_b32 s4, vcc_lo
	s_cbranch_execz .LBB200_2177
.LBB200_2250:
	ds_read_b32 v34, v32 offset:896
	s_waitcnt lgkmcnt(0)
	v_add_f32_e32 v28, v34, v28
	s_or_b32 exec_lo, exec_lo, s4
	s_and_saveexec_b32 s4, vcc_lo
	s_cbranch_execz .LBB200_2178
.LBB200_2251:
	ds_read_b32 v34, v32 offset:928
	s_waitcnt lgkmcnt(0)
	v_add_f32_e32 v29, v34, v29
	s_or_b32 exec_lo, exec_lo, s4
	s_and_saveexec_b32 s4, vcc_lo
	s_cbranch_execz .LBB200_2179
.LBB200_2252:
	ds_read_b32 v34, v32 offset:960
	s_waitcnt lgkmcnt(0)
	v_add_f32_e32 v30, v34, v30
	s_or_b32 exec_lo, exec_lo, s4
	s_and_saveexec_b32 s4, vcc_lo
	s_cbranch_execnz .LBB200_2180
	s_branch .LBB200_2181
.LBB200_2253:
	ds_read_b32 v33, v32
	s_waitcnt lgkmcnt(0)
	v_add_f32_e32 v0, v33, v0
	s_or_b32 exec_lo, exec_lo, s4
	s_and_saveexec_b32 s4, vcc_lo
	s_cbranch_execz .LBB200_2187
.LBB200_2254:
	ds_read_b32 v33, v32 offset:32
	s_waitcnt lgkmcnt(0)
	v_add_f32_e32 v1, v33, v1
	s_or_b32 exec_lo, exec_lo, s4
	s_and_saveexec_b32 s4, vcc_lo
	s_cbranch_execz .LBB200_2188
.LBB200_2255:
	ds_read_b32 v33, v32 offset:64
	s_waitcnt lgkmcnt(0)
	v_add_f32_e32 v2, v33, v2
	s_or_b32 exec_lo, exec_lo, s4
	s_and_saveexec_b32 s4, vcc_lo
	s_cbranch_execz .LBB200_2189
.LBB200_2256:
	ds_read_b32 v33, v32 offset:96
	s_waitcnt lgkmcnt(0)
	v_add_f32_e32 v3, v33, v3
	s_or_b32 exec_lo, exec_lo, s4
	s_and_saveexec_b32 s4, vcc_lo
	s_cbranch_execz .LBB200_2190
.LBB200_2257:
	ds_read_b32 v33, v32 offset:128
	s_waitcnt lgkmcnt(0)
	v_add_f32_e32 v4, v33, v4
	s_or_b32 exec_lo, exec_lo, s4
	s_and_saveexec_b32 s4, vcc_lo
	s_cbranch_execz .LBB200_2191
.LBB200_2258:
	ds_read_b32 v33, v32 offset:160
	s_waitcnt lgkmcnt(0)
	v_add_f32_e32 v5, v33, v5
	s_or_b32 exec_lo, exec_lo, s4
	s_and_saveexec_b32 s4, vcc_lo
	s_cbranch_execz .LBB200_2192
.LBB200_2259:
	ds_read_b32 v33, v32 offset:192
	s_waitcnt lgkmcnt(0)
	v_add_f32_e32 v6, v33, v6
	s_or_b32 exec_lo, exec_lo, s4
	s_and_saveexec_b32 s4, vcc_lo
	s_cbranch_execz .LBB200_2193
.LBB200_2260:
	ds_read_b32 v33, v32 offset:224
	s_waitcnt lgkmcnt(0)
	v_add_f32_e32 v7, v33, v7
	s_or_b32 exec_lo, exec_lo, s4
	s_and_saveexec_b32 s4, vcc_lo
	s_cbranch_execz .LBB200_2194
.LBB200_2261:
	ds_read_b32 v33, v32 offset:256
	s_waitcnt lgkmcnt(0)
	v_add_f32_e32 v8, v33, v8
	s_or_b32 exec_lo, exec_lo, s4
	s_and_saveexec_b32 s4, vcc_lo
	s_cbranch_execz .LBB200_2195
.LBB200_2262:
	ds_read_b32 v33, v32 offset:288
	s_waitcnt lgkmcnt(0)
	v_add_f32_e32 v9, v33, v9
	s_or_b32 exec_lo, exec_lo, s4
	s_and_saveexec_b32 s4, vcc_lo
	s_cbranch_execz .LBB200_2196
.LBB200_2263:
	ds_read_b32 v33, v32 offset:320
	s_waitcnt lgkmcnt(0)
	v_add_f32_e32 v10, v33, v10
	s_or_b32 exec_lo, exec_lo, s4
	s_and_saveexec_b32 s4, vcc_lo
	s_cbranch_execz .LBB200_2197
.LBB200_2264:
	ds_read_b32 v33, v32 offset:352
	s_waitcnt lgkmcnt(0)
	v_add_f32_e32 v11, v33, v11
	s_or_b32 exec_lo, exec_lo, s4
	s_and_saveexec_b32 s4, vcc_lo
	s_cbranch_execz .LBB200_2198
.LBB200_2265:
	ds_read_b32 v33, v32 offset:384
	s_waitcnt lgkmcnt(0)
	v_add_f32_e32 v12, v33, v12
	s_or_b32 exec_lo, exec_lo, s4
	s_and_saveexec_b32 s4, vcc_lo
	s_cbranch_execz .LBB200_2199
.LBB200_2266:
	ds_read_b32 v33, v32 offset:416
	s_waitcnt lgkmcnt(0)
	v_add_f32_e32 v13, v33, v13
	s_or_b32 exec_lo, exec_lo, s4
	s_and_saveexec_b32 s4, vcc_lo
	s_cbranch_execz .LBB200_2200
.LBB200_2267:
	ds_read_b32 v33, v32 offset:448
	s_waitcnt lgkmcnt(0)
	v_add_f32_e32 v14, v33, v14
	s_or_b32 exec_lo, exec_lo, s4
	s_and_saveexec_b32 s4, vcc_lo
	s_cbranch_execz .LBB200_2201
.LBB200_2268:
	ds_read_b32 v33, v32 offset:480
	s_waitcnt lgkmcnt(0)
	v_add_f32_e32 v15, v33, v15
	s_or_b32 exec_lo, exec_lo, s4
	s_and_saveexec_b32 s4, vcc_lo
	s_cbranch_execz .LBB200_2202
.LBB200_2269:
	ds_read_b32 v33, v32 offset:512
	s_waitcnt lgkmcnt(0)
	v_add_f32_e32 v16, v33, v16
	s_or_b32 exec_lo, exec_lo, s4
	s_and_saveexec_b32 s4, vcc_lo
	s_cbranch_execz .LBB200_2203
.LBB200_2270:
	ds_read_b32 v33, v32 offset:544
	s_waitcnt lgkmcnt(0)
	v_add_f32_e32 v17, v33, v17
	s_or_b32 exec_lo, exec_lo, s4
	s_and_saveexec_b32 s4, vcc_lo
	s_cbranch_execz .LBB200_2204
.LBB200_2271:
	ds_read_b32 v33, v32 offset:576
	s_waitcnt lgkmcnt(0)
	v_add_f32_e32 v18, v33, v18
	s_or_b32 exec_lo, exec_lo, s4
	s_and_saveexec_b32 s4, vcc_lo
	s_cbranch_execz .LBB200_2205
.LBB200_2272:
	ds_read_b32 v33, v32 offset:608
	s_waitcnt lgkmcnt(0)
	v_add_f32_e32 v19, v33, v19
	s_or_b32 exec_lo, exec_lo, s4
	s_and_saveexec_b32 s4, vcc_lo
	s_cbranch_execz .LBB200_2206
.LBB200_2273:
	ds_read_b32 v33, v32 offset:640
	s_waitcnt lgkmcnt(0)
	v_add_f32_e32 v20, v33, v20
	s_or_b32 exec_lo, exec_lo, s4
	s_and_saveexec_b32 s4, vcc_lo
	s_cbranch_execz .LBB200_2207
.LBB200_2274:
	ds_read_b32 v33, v32 offset:672
	s_waitcnt lgkmcnt(0)
	v_add_f32_e32 v21, v33, v21
	s_or_b32 exec_lo, exec_lo, s4
	s_and_saveexec_b32 s4, vcc_lo
	s_cbranch_execz .LBB200_2208
.LBB200_2275:
	ds_read_b32 v33, v32 offset:704
	s_waitcnt lgkmcnt(0)
	v_add_f32_e32 v22, v33, v22
	s_or_b32 exec_lo, exec_lo, s4
	s_and_saveexec_b32 s4, vcc_lo
	s_cbranch_execz .LBB200_2209
.LBB200_2276:
	ds_read_b32 v33, v32 offset:736
	s_waitcnt lgkmcnt(0)
	v_add_f32_e32 v23, v33, v23
	s_or_b32 exec_lo, exec_lo, s4
	s_and_saveexec_b32 s4, vcc_lo
	s_cbranch_execz .LBB200_2210
.LBB200_2277:
	ds_read_b32 v33, v32 offset:768
	s_waitcnt lgkmcnt(0)
	v_add_f32_e32 v24, v33, v24
	s_or_b32 exec_lo, exec_lo, s4
	s_and_saveexec_b32 s4, vcc_lo
	s_cbranch_execz .LBB200_2211
.LBB200_2278:
	ds_read_b32 v33, v32 offset:800
	s_waitcnt lgkmcnt(0)
	v_add_f32_e32 v25, v33, v25
	s_or_b32 exec_lo, exec_lo, s4
	s_and_saveexec_b32 s4, vcc_lo
	s_cbranch_execz .LBB200_2212
.LBB200_2279:
	ds_read_b32 v33, v32 offset:832
	s_waitcnt lgkmcnt(0)
	v_add_f32_e32 v26, v33, v26
	s_or_b32 exec_lo, exec_lo, s4
	s_and_saveexec_b32 s4, vcc_lo
	s_cbranch_execz .LBB200_2213
.LBB200_2280:
	ds_read_b32 v33, v32 offset:864
	s_waitcnt lgkmcnt(0)
	v_add_f32_e32 v27, v33, v27
	s_or_b32 exec_lo, exec_lo, s4
	s_and_saveexec_b32 s4, vcc_lo
	s_cbranch_execz .LBB200_2214
.LBB200_2281:
	ds_read_b32 v33, v32 offset:896
	s_waitcnt lgkmcnt(0)
	v_add_f32_e32 v28, v33, v28
	s_or_b32 exec_lo, exec_lo, s4
	s_and_saveexec_b32 s4, vcc_lo
	s_cbranch_execz .LBB200_2215
.LBB200_2282:
	ds_read_b32 v33, v32 offset:928
	s_waitcnt lgkmcnt(0)
	v_add_f32_e32 v29, v33, v29
	s_or_b32 exec_lo, exec_lo, s4
	s_and_saveexec_b32 s4, vcc_lo
	s_cbranch_execz .LBB200_2216
.LBB200_2283:
	ds_read_b32 v33, v32 offset:960
	s_waitcnt lgkmcnt(0)
	v_add_f32_e32 v30, v33, v30
	s_or_b32 exec_lo, exec_lo, s4
	s_and_saveexec_b32 s4, vcc_lo
	s_cbranch_execnz .LBB200_2217
	s_branch .LBB200_2218
.Lfunc_end200:
	.size	_ZN4vllm22paged_attention_kernelIfhLi256ELi16ELi128ELNS_18Fp8KVCacheDataTypeE1ELb0ELi0EEEvPfS2_PT_PKS3_PKT0_S9_ifPKiSB_iPKfiiiSD_SD_iiiii, .Lfunc_end200-_ZN4vllm22paged_attention_kernelIfhLi256ELi16ELi128ELNS_18Fp8KVCacheDataTypeE1ELb0ELi0EEEvPfS2_PT_PKS3_PKT0_S9_ifPKiSB_iPKfiiiSD_SD_iiiii
                                        ; -- End function
	.set .L_ZN4vllm22paged_attention_kernelIfhLi256ELi16ELi128ELNS_18Fp8KVCacheDataTypeE1ELb0ELi0EEEvPfS2_PT_PKS3_PKT0_S9_ifPKiSB_iPKfiiiSD_SD_iiiii.num_vgpr, 128
	.set .L_ZN4vllm22paged_attention_kernelIfhLi256ELi16ELi128ELNS_18Fp8KVCacheDataTypeE1ELb0ELi0EEEvPfS2_PT_PKS3_PKT0_S9_ifPKiSB_iPKfiiiSD_SD_iiiii.num_agpr, 0
	.set .L_ZN4vllm22paged_attention_kernelIfhLi256ELi16ELi128ELNS_18Fp8KVCacheDataTypeE1ELb0ELi0EEEvPfS2_PT_PKS3_PKT0_S9_ifPKiSB_iPKfiiiSD_SD_iiiii.numbered_sgpr, 33
	.set .L_ZN4vllm22paged_attention_kernelIfhLi256ELi16ELi128ELNS_18Fp8KVCacheDataTypeE1ELb0ELi0EEEvPfS2_PT_PKS3_PKT0_S9_ifPKiSB_iPKfiiiSD_SD_iiiii.num_named_barrier, 0
	.set .L_ZN4vllm22paged_attention_kernelIfhLi256ELi16ELi128ELNS_18Fp8KVCacheDataTypeE1ELb0ELi0EEEvPfS2_PT_PKS3_PKT0_S9_ifPKiSB_iPKfiiiSD_SD_iiiii.private_seg_size, 1492
	.set .L_ZN4vllm22paged_attention_kernelIfhLi256ELi16ELi128ELNS_18Fp8KVCacheDataTypeE1ELb0ELi0EEEvPfS2_PT_PKS3_PKT0_S9_ifPKiSB_iPKfiiiSD_SD_iiiii.uses_vcc, 1
	.set .L_ZN4vllm22paged_attention_kernelIfhLi256ELi16ELi128ELNS_18Fp8KVCacheDataTypeE1ELb0ELi0EEEvPfS2_PT_PKS3_PKT0_S9_ifPKiSB_iPKfiiiSD_SD_iiiii.uses_flat_scratch, 0
	.set .L_ZN4vllm22paged_attention_kernelIfhLi256ELi16ELi128ELNS_18Fp8KVCacheDataTypeE1ELb0ELi0EEEvPfS2_PT_PKS3_PKT0_S9_ifPKiSB_iPKfiiiSD_SD_iiiii.has_dyn_sized_stack, 0
	.set .L_ZN4vllm22paged_attention_kernelIfhLi256ELi16ELi128ELNS_18Fp8KVCacheDataTypeE1ELb0ELi0EEEvPfS2_PT_PKS3_PKT0_S9_ifPKiSB_iPKfiiiSD_SD_iiiii.has_recursion, 0
	.set .L_ZN4vllm22paged_attention_kernelIfhLi256ELi16ELi128ELNS_18Fp8KVCacheDataTypeE1ELb0ELi0EEEvPfS2_PT_PKS3_PKT0_S9_ifPKiSB_iPKfiiiSD_SD_iiiii.has_indirect_call, 0
	.section	.AMDGPU.csdata,"",@progbits
; Function info:
; codeLenInByte = 84080
; TotalNumSgprs: 35
; NumVgprs: 128
; ScratchSize: 1492
; MemoryBound: 0
	.section	.text._ZN4vllm25paged_attention_v1_kernelIfhLi256ELi16ELi128ELNS_18Fp8KVCacheDataTypeE1ELb0EEEvPT_PKS2_PKT0_S8_ifPKiSA_iPKfiiiSC_SC_iiiii,"axG",@progbits,_ZN4vllm25paged_attention_v1_kernelIfhLi256ELi16ELi128ELNS_18Fp8KVCacheDataTypeE1ELb0EEEvPT_PKS2_PKT0_S8_ifPKiSA_iPKfiiiSC_SC_iiiii,comdat
	.protected	_ZN4vllm25paged_attention_v1_kernelIfhLi256ELi16ELi128ELNS_18Fp8KVCacheDataTypeE1ELb0EEEvPT_PKS2_PKT0_S8_ifPKiSA_iPKfiiiSC_SC_iiiii ; -- Begin function _ZN4vllm25paged_attention_v1_kernelIfhLi256ELi16ELi128ELNS_18Fp8KVCacheDataTypeE1ELb0EEEvPT_PKS2_PKT0_S8_ifPKiSA_iPKfiiiSC_SC_iiiii
	.globl	_ZN4vllm25paged_attention_v1_kernelIfhLi256ELi16ELi128ELNS_18Fp8KVCacheDataTypeE1ELb0EEEvPT_PKS2_PKT0_S8_ifPKiSA_iPKfiiiSC_SC_iiiii
	.p2align	8
	.type	_ZN4vllm25paged_attention_v1_kernelIfhLi256ELi16ELi128ELNS_18Fp8KVCacheDataTypeE1ELb0EEEvPT_PKS2_PKT0_S8_ifPKiSA_iPKfiiiSC_SC_iiiii,@function
_ZN4vllm25paged_attention_v1_kernelIfhLi256ELi16ELi128ELNS_18Fp8KVCacheDataTypeE1ELb0EEEvPT_PKS2_PKT0_S8_ifPKiSA_iPKfiiiSC_SC_iiiii: ; @_ZN4vllm25paged_attention_v1_kernelIfhLi256ELi16ELi128ELNS_18Fp8KVCacheDataTypeE1ELb0EEEvPT_PKS2_PKT0_S8_ifPKiSA_iPKfiiiSC_SC_iiiii
; %bb.0:
	s_clause 0x5
	s_load_dwordx8 s[16:23], s[4:5], 0x0
	s_load_dwordx4 s[36:39], s[4:5], 0x20
	s_load_dwordx2 s[10:11], s[4:5], 0x30
	s_load_dword s13, s[4:5], 0x38
	s_load_dwordx2 s[34:35], s[4:5], 0x40
	s_load_dwordx8 s[24:31], s[4:5], 0x48
	s_add_u32 s0, s0, s9
	s_addc_u32 s1, s1, 0
	v_mov_b32_e32 v31, v0
	s_mov_b32 s14, s8
	s_add_u32 s8, s4, 0x80
	s_addc_u32 s9, s5, 0
	s_getpc_b64 s[4:5]
	s_add_u32 s4, s4, _ZN4vllm22paged_attention_kernelIfhLi256ELi16ELi128ELNS_18Fp8KVCacheDataTypeE1ELb0ELi0EEEvPfS2_PT_PKS3_PKT0_S9_ifPKiSB_iPKfiiiSD_SD_iiiii@rel32@lo+4
	s_addc_u32 s5, s5, _ZN4vllm22paged_attention_kernelIfhLi256ELi16ELi128ELNS_18Fp8KVCacheDataTypeE1ELb0ELi0EEEvPfS2_PT_PKS3_PKT0_S9_ifPKiSB_iPKfiiiSD_SD_iiiii@rel32@hi+12
	s_mov_b32 s12, s6
	s_mov_b32 s15, 26
	;; [unrolled: 1-line block ×3, first 2 shown]
	s_waitcnt lgkmcnt(0)
	v_mov_b32_e32 v0, s16
	v_mov_b32_e32 v1, s17
	;; [unrolled: 1-line block ×24, first 2 shown]
	s_mov_b32 s13, s7
	s_swappc_b64 s[30:31], s[4:5]
	s_endpgm
	.section	.rodata,"a",@progbits
	.p2align	6, 0x0
	.amdhsa_kernel _ZN4vllm25paged_attention_v1_kernelIfhLi256ELi16ELi128ELNS_18Fp8KVCacheDataTypeE1ELb0EEEvPT_PKS2_PKT0_S8_ifPKiSA_iPKfiiiSC_SC_iiiii
		.amdhsa_group_segment_fixed_size 1056
		.amdhsa_private_segment_fixed_size 1492
		.amdhsa_kernarg_size 384
		.amdhsa_user_sgpr_count 6
		.amdhsa_user_sgpr_private_segment_buffer 1
		.amdhsa_user_sgpr_dispatch_ptr 0
		.amdhsa_user_sgpr_queue_ptr 0
		.amdhsa_user_sgpr_kernarg_segment_ptr 1
		.amdhsa_user_sgpr_dispatch_id 0
		.amdhsa_user_sgpr_flat_scratch_init 0
		.amdhsa_user_sgpr_private_segment_size 0
		.amdhsa_wavefront_size32 1
		.amdhsa_uses_dynamic_stack 0
		.amdhsa_system_sgpr_private_segment_wavefront_offset 1
		.amdhsa_system_sgpr_workgroup_id_x 1
		.amdhsa_system_sgpr_workgroup_id_y 1
		.amdhsa_system_sgpr_workgroup_id_z 1
		.amdhsa_system_sgpr_workgroup_info 0
		.amdhsa_system_vgpr_workitem_id 0
		.amdhsa_next_free_vgpr 128
		.amdhsa_next_free_sgpr 40
		.amdhsa_reserve_vcc 1
		.amdhsa_reserve_flat_scratch 0
		.amdhsa_float_round_mode_32 0
		.amdhsa_float_round_mode_16_64 0
		.amdhsa_float_denorm_mode_32 3
		.amdhsa_float_denorm_mode_16_64 3
		.amdhsa_dx10_clamp 1
		.amdhsa_ieee_mode 1
		.amdhsa_fp16_overflow 0
		.amdhsa_workgroup_processor_mode 1
		.amdhsa_memory_ordered 1
		.amdhsa_forward_progress 1
		.amdhsa_shared_vgpr_count 0
		.amdhsa_exception_fp_ieee_invalid_op 0
		.amdhsa_exception_fp_denorm_src 0
		.amdhsa_exception_fp_ieee_div_zero 0
		.amdhsa_exception_fp_ieee_overflow 0
		.amdhsa_exception_fp_ieee_underflow 0
		.amdhsa_exception_fp_ieee_inexact 0
		.amdhsa_exception_int_div_zero 0
	.end_amdhsa_kernel
	.section	.text._ZN4vllm25paged_attention_v1_kernelIfhLi256ELi16ELi128ELNS_18Fp8KVCacheDataTypeE1ELb0EEEvPT_PKS2_PKT0_S8_ifPKiSA_iPKfiiiSC_SC_iiiii,"axG",@progbits,_ZN4vllm25paged_attention_v1_kernelIfhLi256ELi16ELi128ELNS_18Fp8KVCacheDataTypeE1ELb0EEEvPT_PKS2_PKT0_S8_ifPKiSA_iPKfiiiSC_SC_iiiii,comdat
.Lfunc_end201:
	.size	_ZN4vllm25paged_attention_v1_kernelIfhLi256ELi16ELi128ELNS_18Fp8KVCacheDataTypeE1ELb0EEEvPT_PKS2_PKT0_S8_ifPKiSA_iPKfiiiSC_SC_iiiii, .Lfunc_end201-_ZN4vllm25paged_attention_v1_kernelIfhLi256ELi16ELi128ELNS_18Fp8KVCacheDataTypeE1ELb0EEEvPT_PKS2_PKT0_S8_ifPKiSA_iPKfiiiSC_SC_iiiii
                                        ; -- End function
	.set _ZN4vllm25paged_attention_v1_kernelIfhLi256ELi16ELi128ELNS_18Fp8KVCacheDataTypeE1ELb0EEEvPT_PKS2_PKT0_S8_ifPKiSA_iPKfiiiSC_SC_iiiii.num_vgpr, max(32, .L_ZN4vllm22paged_attention_kernelIfhLi256ELi16ELi128ELNS_18Fp8KVCacheDataTypeE1ELb0ELi0EEEvPfS2_PT_PKS3_PKT0_S9_ifPKiSB_iPKfiiiSD_SD_iiiii.num_vgpr)
	.set _ZN4vllm25paged_attention_v1_kernelIfhLi256ELi16ELi128ELNS_18Fp8KVCacheDataTypeE1ELb0EEEvPT_PKS2_PKT0_S8_ifPKiSA_iPKfiiiSC_SC_iiiii.num_agpr, max(0, .L_ZN4vllm22paged_attention_kernelIfhLi256ELi16ELi128ELNS_18Fp8KVCacheDataTypeE1ELb0ELi0EEEvPfS2_PT_PKS3_PKT0_S9_ifPKiSB_iPKfiiiSD_SD_iiiii.num_agpr)
	.set _ZN4vllm25paged_attention_v1_kernelIfhLi256ELi16ELi128ELNS_18Fp8KVCacheDataTypeE1ELb0EEEvPT_PKS2_PKT0_S8_ifPKiSA_iPKfiiiSC_SC_iiiii.numbered_sgpr, max(40, .L_ZN4vllm22paged_attention_kernelIfhLi256ELi16ELi128ELNS_18Fp8KVCacheDataTypeE1ELb0ELi0EEEvPfS2_PT_PKS3_PKT0_S9_ifPKiSB_iPKfiiiSD_SD_iiiii.numbered_sgpr)
	.set _ZN4vllm25paged_attention_v1_kernelIfhLi256ELi16ELi128ELNS_18Fp8KVCacheDataTypeE1ELb0EEEvPT_PKS2_PKT0_S8_ifPKiSA_iPKfiiiSC_SC_iiiii.num_named_barrier, max(0, .L_ZN4vllm22paged_attention_kernelIfhLi256ELi16ELi128ELNS_18Fp8KVCacheDataTypeE1ELb0ELi0EEEvPfS2_PT_PKS3_PKT0_S9_ifPKiSB_iPKfiiiSD_SD_iiiii.num_named_barrier)
	.set _ZN4vllm25paged_attention_v1_kernelIfhLi256ELi16ELi128ELNS_18Fp8KVCacheDataTypeE1ELb0EEEvPT_PKS2_PKT0_S8_ifPKiSA_iPKfiiiSC_SC_iiiii.private_seg_size, 0+max(.L_ZN4vllm22paged_attention_kernelIfhLi256ELi16ELi128ELNS_18Fp8KVCacheDataTypeE1ELb0ELi0EEEvPfS2_PT_PKS3_PKT0_S9_ifPKiSB_iPKfiiiSD_SD_iiiii.private_seg_size)
	.set _ZN4vllm25paged_attention_v1_kernelIfhLi256ELi16ELi128ELNS_18Fp8KVCacheDataTypeE1ELb0EEEvPT_PKS2_PKT0_S8_ifPKiSA_iPKfiiiSC_SC_iiiii.uses_vcc, or(1, .L_ZN4vllm22paged_attention_kernelIfhLi256ELi16ELi128ELNS_18Fp8KVCacheDataTypeE1ELb0ELi0EEEvPfS2_PT_PKS3_PKT0_S9_ifPKiSB_iPKfiiiSD_SD_iiiii.uses_vcc)
	.set _ZN4vllm25paged_attention_v1_kernelIfhLi256ELi16ELi128ELNS_18Fp8KVCacheDataTypeE1ELb0EEEvPT_PKS2_PKT0_S8_ifPKiSA_iPKfiiiSC_SC_iiiii.uses_flat_scratch, or(0, .L_ZN4vllm22paged_attention_kernelIfhLi256ELi16ELi128ELNS_18Fp8KVCacheDataTypeE1ELb0ELi0EEEvPfS2_PT_PKS3_PKT0_S9_ifPKiSB_iPKfiiiSD_SD_iiiii.uses_flat_scratch)
	.set _ZN4vllm25paged_attention_v1_kernelIfhLi256ELi16ELi128ELNS_18Fp8KVCacheDataTypeE1ELb0EEEvPT_PKS2_PKT0_S8_ifPKiSA_iPKfiiiSC_SC_iiiii.has_dyn_sized_stack, or(0, .L_ZN4vllm22paged_attention_kernelIfhLi256ELi16ELi128ELNS_18Fp8KVCacheDataTypeE1ELb0ELi0EEEvPfS2_PT_PKS3_PKT0_S9_ifPKiSB_iPKfiiiSD_SD_iiiii.has_dyn_sized_stack)
	.set _ZN4vllm25paged_attention_v1_kernelIfhLi256ELi16ELi128ELNS_18Fp8KVCacheDataTypeE1ELb0EEEvPT_PKS2_PKT0_S8_ifPKiSA_iPKfiiiSC_SC_iiiii.has_recursion, or(0, .L_ZN4vllm22paged_attention_kernelIfhLi256ELi16ELi128ELNS_18Fp8KVCacheDataTypeE1ELb0ELi0EEEvPfS2_PT_PKS3_PKT0_S9_ifPKiSB_iPKfiiiSD_SD_iiiii.has_recursion)
	.set _ZN4vllm25paged_attention_v1_kernelIfhLi256ELi16ELi128ELNS_18Fp8KVCacheDataTypeE1ELb0EEEvPT_PKS2_PKT0_S8_ifPKiSA_iPKfiiiSC_SC_iiiii.has_indirect_call, or(0, .L_ZN4vllm22paged_attention_kernelIfhLi256ELi16ELi128ELNS_18Fp8KVCacheDataTypeE1ELb0ELi0EEEvPfS2_PT_PKS3_PKT0_S9_ifPKiSB_iPKfiiiSD_SD_iiiii.has_indirect_call)
	.section	.AMDGPU.csdata,"",@progbits
; Kernel info:
; codeLenInByte = 224
; TotalNumSgprs: 42
; NumVgprs: 128
; ScratchSize: 1492
; MemoryBound: 0
; FloatMode: 240
; IeeeMode: 1
; LDSByteSize: 1056 bytes/workgroup (compile time only)
; SGPRBlocks: 0
; VGPRBlocks: 15
; NumSGPRsForWavesPerEU: 42
; NumVGPRsForWavesPerEU: 128
; Occupancy: 8
; WaveLimiterHint : 1
; COMPUTE_PGM_RSRC2:SCRATCH_EN: 1
; COMPUTE_PGM_RSRC2:USER_SGPR: 6
; COMPUTE_PGM_RSRC2:TRAP_HANDLER: 0
; COMPUTE_PGM_RSRC2:TGID_X_EN: 1
; COMPUTE_PGM_RSRC2:TGID_Y_EN: 1
; COMPUTE_PGM_RSRC2:TGID_Z_EN: 1
; COMPUTE_PGM_RSRC2:TIDIG_COMP_CNT: 0
	.section	.text._ZN4vllm25paged_attention_v1_kernelIfhLi32ELi32ELi128ELNS_18Fp8KVCacheDataTypeE1ELb1EEEvPT_PKS2_PKT0_S8_ifPKiSA_iPKfiiiSC_SC_iiiii,"axG",@progbits,_ZN4vllm25paged_attention_v1_kernelIfhLi32ELi32ELi128ELNS_18Fp8KVCacheDataTypeE1ELb1EEEvPT_PKS2_PKT0_S8_ifPKiSA_iPKfiiiSC_SC_iiiii,comdat
	.protected	_ZN4vllm25paged_attention_v1_kernelIfhLi32ELi32ELi128ELNS_18Fp8KVCacheDataTypeE1ELb1EEEvPT_PKS2_PKT0_S8_ifPKiSA_iPKfiiiSC_SC_iiiii ; -- Begin function _ZN4vllm25paged_attention_v1_kernelIfhLi32ELi32ELi128ELNS_18Fp8KVCacheDataTypeE1ELb1EEEvPT_PKS2_PKT0_S8_ifPKiSA_iPKfiiiSC_SC_iiiii
	.globl	_ZN4vllm25paged_attention_v1_kernelIfhLi32ELi32ELi128ELNS_18Fp8KVCacheDataTypeE1ELb1EEEvPT_PKS2_PKT0_S8_ifPKiSA_iPKfiiiSC_SC_iiiii
	.p2align	8
	.type	_ZN4vllm25paged_attention_v1_kernelIfhLi32ELi32ELi128ELNS_18Fp8KVCacheDataTypeE1ELb1EEEvPT_PKS2_PKT0_S8_ifPKiSA_iPKfiiiSC_SC_iiiii,@function
_ZN4vllm25paged_attention_v1_kernelIfhLi32ELi32ELi128ELNS_18Fp8KVCacheDataTypeE1ELb1EEEvPT_PKS2_PKT0_S8_ifPKiSA_iPKfiiiSC_SC_iiiii: ; @_ZN4vllm25paged_attention_v1_kernelIfhLi32ELi32ELi128ELNS_18Fp8KVCacheDataTypeE1ELb1EEEvPT_PKS2_PKT0_S8_ifPKiSA_iPKfiiiSC_SC_iiiii
; %bb.0:
	s_clause 0x2
	s_load_dword s9, s[4:5], 0x80
	s_load_dwordx2 s[0:1], s[4:5], 0x30
	s_load_dwordx2 s[2:3], s[4:5], 0x20
	s_mov_b32 s10, s7
	s_ashr_i32 s11, s7, 31
	s_mov_b32 s35, 0
	s_lshl_b64 s[12:13], s[10:11], 2
	s_waitcnt lgkmcnt(0)
	s_add_u32 s0, s0, s12
	s_addc_u32 s1, s1, s13
	s_abs_i32 s7, s2
	s_abs_i32 s13, s9
	v_cvt_f32_u32_e32 v1, s7
	s_sub_i32 s12, 0, s7
	v_rcp_iflag_f32_e32 v1, v1
	v_mul_f32_e32 v1, 0x4f7ffffe, v1
	v_cvt_u32_f32_e32 v1, v1
	v_readfirstlane_b32 s11, v1
	s_mul_i32 s12, s12, s11
	s_mul_hi_u32 s12, s11, s12
	s_add_i32 s11, s11, s12
	s_xor_b32 s12, s9, s2
	s_mul_hi_u32 s11, s13, s11
	s_ashr_i32 s12, s12, 31
	s_mul_i32 s14, s11, s7
	s_sub_i32 s13, s13, s14
	s_add_i32 s14, s11, 1
	s_sub_i32 s15, s13, s7
	s_cmp_ge_u32 s13, s7
	s_cselect_b32 s11, s14, s11
	s_cselect_b32 s13, s15, s13
	s_add_i32 s14, s11, 1
	s_cmp_ge_u32 s13, s7
	s_cselect_b32 s7, s14, s11
	s_xor_b32 s7, s7, s12
	s_sub_i32 s20, s7, s12
	s_load_dwordx2 s[12:13], s[4:5], 0x40
	s_abs_i32 s11, s20
	v_cvt_f32_u32_e32 v1, s11
	s_sub_i32 s14, 0, s11
	v_rcp_iflag_f32_e32 v1, v1
	v_mul_f32_e32 v1, 0x4f7ffffe, v1
	v_cvt_u32_f32_e32 v1, v1
	v_readfirstlane_b32 s7, v1
	s_mul_i32 s14, s14, s7
	s_mul_hi_u32 s15, s7, s14
	s_abs_i32 s14, s6
	s_add_i32 s7, s7, s15
	s_waitcnt lgkmcnt(0)
	s_cmp_eq_u64 s[12:13], 0
	s_mul_hi_u32 s15, s14, s7
	s_cbranch_scc1 .LBB202_2
; %bb.1:
	s_ashr_i32 s7, s6, 31
	s_lshl_b64 s[16:17], s[6:7], 2
	s_add_u32 s12, s12, s16
	s_addc_u32 s13, s13, s17
	s_load_dword s35, s[12:13], 0x0
.LBB202_2:
	s_load_dword s33, s[0:1], 0x0
	s_load_dwordx4 s[16:19], s[4:5], 0x48
	s_ashr_i32 s0, s6, 31
	s_ashr_i32 s1, s20, 31
	s_lshl_b32 s24, s6, 5
	s_mov_b32 s7, exec_lo
	v_cmpx_gt_u32_e32 8, v0
	s_cbranch_execz .LBB202_4
; %bb.3:
	s_load_dwordx2 s[12:13], s[4:5], 0x8
	s_waitcnt lgkmcnt(0)
	s_mul_i32 s20, s16, s10
	v_lshlrev_b32_e32 v5, 4, v0
	s_ashr_i32 s21, s20, 31
	s_lshl_b64 s[20:21], s[20:21], 2
	s_add_u32 s16, s12, s20
	s_addc_u32 s19, s13, s21
	s_ashr_i32 s25, s24, 31
	s_lshl_b64 s[12:13], s[24:25], 2
	s_add_u32 s12, s16, s12
	s_addc_u32 s13, s19, s13
	global_load_dwordx4 v[1:4], v5, s[12:13]
	s_waitcnt vmcnt(0)
	ds_write_b128 v5, v[1:4]
.LBB202_4:
	s_or_b32 exec_lo, exec_lo, s7
	s_load_dwordx4 s[20:23], s[4:5], 0x68
	s_mul_i32 s7, s15, s11
	s_xor_b32 s1, s0, s1
	s_sub_i32 s0, s14, s7
	s_add_i32 s7, s15, 1
	s_sub_i32 s12, s0, s11
	s_cmp_ge_u32 s0, s11
	s_waitcnt lgkmcnt(0)
	s_cselect_b32 s7, s7, s15
	s_cselect_b32 s0, s12, s0
	s_add_i32 s12, s7, 1
	s_cmp_ge_u32 s0, s11
	s_load_dword s0, s[4:5], 0x78
	s_cselect_b32 s7, s12, s7
	s_mov_b32 s12, -1
	s_xor_b32 s7, s7, s1
	s_barrier
	s_sub_i32 s1, s7, s1
	s_waitcnt lgkmcnt(0)
	buffer_gl0_inv
                                        ; implicit-def: $sgpr25
	s_abs_i32 s16, s23
	v_cvt_f32_u32_e32 v1, s16
	s_sub_i32 s7, 0, s16
	v_rcp_iflag_f32_e32 v1, v1
	v_mul_f32_e32 v1, 0x4f7ffffe, v1
	v_cvt_u32_f32_e32 v1, v1
	v_readfirstlane_b32 s19, v1
	s_mul_i32 s11, s7, s19
	s_add_i32 s7, s33, -1
	s_mul_hi_u32 s13, s19, s11
	s_abs_i32 s11, s7
	s_add_i32 s19, s19, s13
	s_cmp_lt_i32 s0, 0
	s_mul_hi_u32 s34, s11, s19
	s_cbranch_scc0 .LBB202_6
; %bb.5:
	s_mul_i32 s2, s20, s2
	s_mov_b32 s12, 0
	s_add_i32 s2, s1, s2
	s_mul_i32 s2, s2, s0
	s_sub_i32 s25, 1, s2
.LBB202_6:
	s_load_dwordx2 s[26:27], s[4:5], 0x28
	s_ashr_i32 s2, s7, 31
	s_andn2_b32 vcc_lo, exec_lo, s12
	s_ashr_i32 s23, s23, 31
	s_cbranch_vccnz .LBB202_8
; %bb.7:
	s_mul_i32 s7, s9, s20
	s_add_i32 s6, s7, s6
	s_mul_i32 s0, s6, s0
	s_add_i32 s25, s0, 1
.LBB202_8:
	s_clause 0x2
	s_load_dword s0, s[4:5], 0x38
	s_load_dwordx2 s[6:7], s[4:5], 0x0
	s_load_dwordx2 s[30:31], s[4:5], 0x18
	s_mul_i32 s12, s34, s16
	s_xor_b32 s2, s2, s23
	s_sub_i32 s36, s11, s12
	s_add_i32 s20, s34, 1
	s_clause 0x1
	s_load_dword s11, s[4:5], 0x88
	s_load_dwordx4 s[12:15], s[4:5], 0x58
	v_lshrrev_b32_e32 v107, 5, v0
	v_and_b32_e32 v108, 31, v0
	v_mov_b32_e32 v112, 0xff7fffff
	v_lshrrev_b32_e32 v110, 3, v0
	s_mul_i32 s18, s1, s18
	v_lshlrev_b32_e32 v109, 5, v107
	v_lshlrev_b32_e32 v111, 2, v108
	s_waitcnt lgkmcnt(0)
	s_mul_i32 s28, s0, s10
	s_sub_i32 s0, s36, s16
	s_ashr_i32 s29, s28, 31
	s_cmp_ge_u32 s36, s16
	s_cselect_b32 s20, s20, s34
	s_cselect_b32 s0, s0, s36
	s_add_i32 s34, s20, 1
	s_cmp_ge_u32 s0, s16
	s_cselect_b32 s0, s34, s20
	s_add_i32 s20, s33, 31
	s_ashr_i32 s34, s20, 31
	s_lshr_b32 s34, s34, 27
	s_add_i32 s20, s20, s34
	s_xor_b32 s34, s0, s2
	s_ashr_i32 s20, s20, 5
	s_sub_i32 s34, s34, s2
	v_cmp_gt_i32_e64 s0, s20, v107
	s_and_saveexec_b32 s36, s0
	s_cbranch_execz .LBB202_272
; %bb.9:
	s_load_dwordx2 s[38:39], s[4:5], 0x10
	s_sub_i32 s4, s34, s21
	s_ashr_i32 s1, s18, 31
	v_mov_b32_e32 v34, 0
	v_subrev_nc_u32_e32 v37, s33, v108
	v_lshlrev_b32_e32 v33, 4, v108
	v_lshl_or_b32 v39, v107, 7, v111
	v_and_b32_e32 v35, 0x7c, v110
	v_cmp_neq_f32_e64 vcc_lo, s35, 0
	v_add_nc_u32_e32 v120, 1, v37
	v_lshlrev_b32_e32 v113, 5, v107
	v_add_nc_u32_e32 v121, 0xa0, v39
	v_mov_b32_e32 v114, 0xff7fffff
	v_mov_b32_e32 v115, 0x80
	v_bfrev_b32_e32 v36, 1
	v_mov_b32_e32 v116, 0xffff
	v_mov_b32_e32 v38, 0x7f800001
	;; [unrolled: 1-line block ×5, first 2 shown]
	s_waitcnt lgkmcnt(0)
	s_add_u32 s2, s38, s18
	s_addc_u32 s1, s39, s1
	s_abs_i32 s5, s22
	s_lshl_b64 s[38:39], s[28:29], 2
	v_cvt_f32_u32_e32 v1, s5
	s_sub_i32 s37, 0, s5
	v_add_co_u32 v39, s2, s2, v33
	v_mov_b32_e32 v112, 0xff7fffff
	v_rcp_iflag_f32_e32 v1, v1
	v_mov_b32_e32 v123, v107
	v_mul_f32_e32 v1, 0x4f7ffffe, v1
	v_cvt_u32_f32_e32 v43, v1
	ds_read_b128 v[1:4], v34
	ds_read_b128 v[5:8], v34 offset:16
	ds_read_b128 v[9:12], v34 offset:32
	;; [unrolled: 1-line block ×7, first 2 shown]
	v_mul_lo_u32 v40, s37, v43
	s_mov_b32 s37, 0
	v_mul_hi_u32 v37, v43, v40
	v_add_co_ci_u32_e64 v40, null, s1, 0, s2
	s_add_u32 s1, s26, s38
	s_addc_u32 s2, s27, s39
	v_add_co_u32 v41, s1, s1, v35
	v_add_co_ci_u32_e64 v42, null, s2, 0, s1
	v_add_nc_u32_e32 v122, v43, v37
	s_mov_b32 s38, s17
	s_branch .LBB202_15
.LBB202_10:                             ;   in Loop: Header=BB202_15 Depth=1
	s_or_b32 exec_lo, exec_lo, s43
	v_lshlrev_b32_sdwa v37, v119, v124 dst_sel:DWORD dst_unused:UNUSED_PAD src0_sel:DWORD src1_sel:BYTE_3
	v_lshlrev_b32_e32 v33, 20, v33
	v_lshl_add_u32 v35, v35, 23, 0x3c000000
	v_mov_b32_e32 v105, v34
	v_and_b32_e32 v37, 0x80000000, v37
	v_or3_b32 v106, v33, v37, v35
.LBB202_11:                             ;   in Loop: Header=BB202_15 Depth=1
	s_or_b32 exec_lo, exec_lo, s42
.LBB202_12:                             ;   in Loop: Header=BB202_15 Depth=1
	s_or_b32 exec_lo, exec_lo, s41
.LBB202_13:                             ;   in Loop: Header=BB202_15 Depth=1
	s_or_b32 exec_lo, exec_lo, s40
	v_or_b32_e32 v52, v54, v52
	v_or_b32_e32 v51, v53, v51
	;; [unrolled: 1-line block ×5, first 2 shown]
	s_waitcnt lgkmcnt(0)
	v_mul_f32_e32 v52, s39, v52
	v_mul_f32_e32 v51, s39, v51
	v_or_b32_e32 v62, v64, v62
	v_or_b32_e32 v61, v63, v61
	;; [unrolled: 1-line block ×5, first 2 shown]
	v_mul_f32_e32 v47, s39, v57
	v_mul_f32_e32 v44, s39, v44
	;; [unrolled: 1-line block ×5, first 2 shown]
	v_or_b32_e32 v70, v72, v70
	v_or_b32_e32 v69, v71, v69
	v_mul_f32_e32 v62, s39, v62
	v_mul_f32_e32 v61, s39, v61
	v_or_b32_e32 v65, v67, v65
	v_mul_f32_e32 v54, s39, v54
	v_mul_f32_e32 v46, s39, v46
	;; [unrolled: 1-line block ×3, first 2 shown]
	v_fmac_f32_e32 v48, v1, v43
	v_fmac_f32_e32 v49, v2, v44
	v_or_b32_e32 v78, v80, v78
	v_or_b32_e32 v77, v79, v77
	v_mul_f32_e32 v70, s39, v70
	v_or_b32_e32 v73, v75, v73
	v_mul_f32_e32 v64, s39, v69
	;; [unrolled: 2-line block ×3, first 2 shown]
	v_mul_f32_e32 v45, s39, v45
	v_mul_f32_e32 v44, v8, v54
	v_fmac_f32_e32 v47, v3, v46
	v_fmac_f32_e32 v48, v9, v61
	;; [unrolled: 1-line block ×3, first 2 shown]
	v_or_b32_e32 v86, v88, v86
	v_or_b32_e32 v85, v87, v85
	;; [unrolled: 1-line block ×4, first 2 shown]
	v_mul_f32_e32 v78, s39, v78
	v_mul_f32_e32 v72, s39, v77
	v_or_b32_e32 v71, v76, v74
	v_mul_f32_e32 v69, s39, v73
	v_mul_f32_e32 v53, s39, v66
	v_fmac_f32_e32 v44, v4, v45
	v_fmac_f32_e32 v47, v11, v58
	;; [unrolled: 1-line block ×4, first 2 shown]
	v_or_b32_e32 v33, v96, v94
	v_or_b32_e32 v35, v95, v93
	;; [unrolled: 1-line block ×3, first 2 shown]
	v_mul_f32_e32 v86, s39, v86
	v_mul_f32_e32 v85, s39, v85
	;; [unrolled: 1-line block ×5, first 2 shown]
	v_fmac_f32_e32 v44, v12, v53
	v_fmac_f32_e32 v47, v15, v69
	;; [unrolled: 1-line block ×4, first 2 shown]
	v_or_b32_e32 v93, v99, v97
	v_mul_f32_e32 v33, s39, v33
	v_mul_f32_e32 v35, s39, v35
	v_or_b32_e32 v87, v92, v90
	v_mul_f32_e32 v80, s39, v89
	v_or_b32_e32 v51, v102, v56
	v_or_b32_e32 v43, v101, v55
	v_fmac_f32_e32 v44, v16, v63
	v_fmac_f32_e32 v47, v19, v79
	v_fmac_f32_e32 v48, v21, v85
	v_fmac_f32_e32 v49, v22, v86
	v_or_b32_e32 v37, v100, v98
	v_mul_f32_e32 v88, s39, v93
	v_mul_f32_e32 v87, s39, v87
	;; [unrolled: 1-line block ×4, first 2 shown]
	v_or_b32_e32 v51, v105, v103
	v_fmac_f32_e32 v44, v20, v77
	v_fmac_f32_e32 v47, v23, v80
	;; [unrolled: 1-line block ×4, first 2 shown]
	v_mul_f32_e32 v37, s39, v37
	v_add_nc_u32_e32 v50, v120, v113
	v_or_b32_e32 v45, v106, v104
	v_mul_f32_e32 v33, s39, v51
	v_fmac_f32_e32 v44, v24, v87
	v_fmac_f32_e32 v47, v27, v88
	v_fmac_f32_e32 v48, v29, v43
	v_fmac_f32_e32 v49, v30, v46
	v_cvt_f32_i32_e32 v35, v50
	v_mul_f32_e32 v43, s39, v45
	v_fmac_f32_e32 v44, v28, v37
	v_fmac_f32_e32 v47, v31, v33
	v_add_f32_e32 v33, v48, v49
	v_mul_f32_e32 v35, s35, v35
	v_add_nc_u32_e32 v37, v108, v113
	v_fmac_f32_e32 v44, v32, v43
	v_add_f32_e32 v33, v33, v47
	v_cndmask_b32_e32 v35, 0, v35, vcc_lo
	v_cmp_gt_i32_e64 s1, s33, v37
	v_add_f32_e32 v33, v44, v33
	v_fmac_f32_e32 v35, s3, v33
	v_max_f32_e32 v33, v112, v112
	v_max_f32_e32 v33, v33, v35
	v_cndmask_b32_e64 v35, 0, v35, s1
	v_cndmask_b32_e64 v112, v112, v33, s1
	ds_write_b32 v121, v35
.LBB202_14:                             ;   in Loop: Header=BB202_15 Depth=1
	s_or_b32 exec_lo, exec_lo, s2
	v_add_nc_u32_e32 v123, 4, v123
	v_add_co_u32 v41, s2, v41, 16
	v_add_co_ci_u32_e64 v42, null, 0, v42, s2
	v_cmp_le_i32_e64 s1, s20, v123
	v_add_nc_u32_e32 v113, 0x80, v113
	v_add_nc_u32_e32 v121, 0x200, v121
	s_or_b32 s37, s1, s37
	s_andn2_b32 exec_lo, exec_lo, s37
	s_cbranch_execz .LBB202_271
.LBB202_15:                             ; =>This Inner Loop Header: Depth=1
	v_mul_hi_u32 v33, v113, s19
	v_mul_lo_u32 v35, v33, s16
	v_add_nc_u32_e32 v37, 1, v33
	v_sub_nc_u32_e32 v35, v113, v35
	v_subrev_nc_u32_e32 v43, s16, v35
	v_cmp_le_u32_e64 s1, s16, v35
	v_cndmask_b32_e64 v33, v33, v37, s1
	v_cndmask_b32_e64 v35, v35, v43, s1
	v_add_nc_u32_e32 v37, 1, v33
	v_cmp_le_u32_e64 s1, s16, v35
	v_cndmask_b32_e64 v33, v33, v37, s1
	v_xor_b32_e32 v33, s23, v33
	v_subrev_nc_u32_e32 v33, s23, v33
	v_add_nc_u32_e32 v35, s25, v33
	v_cmp_ge_i32_e64 s2, s4, v33
	v_sub_nc_u32_e32 v37, 0, v35
	v_max_i32_e32 v37, v35, v37
	v_ashrrev_i32_e32 v35, 31, v35
	v_mul_hi_u32 v43, v37, v122
	v_mul_lo_u32 v43, v43, s5
	v_sub_nc_u32_e32 v37, v37, v43
	v_subrev_nc_u32_e32 v43, s5, v37
	v_cmp_le_u32_e64 s1, s5, v37
	v_cndmask_b32_e64 v37, v37, v43, s1
	v_subrev_nc_u32_e32 v43, s5, v37
	v_cmp_le_u32_e64 s1, s5, v37
	v_cndmask_b32_e64 v37, v37, v43, s1
	v_xor_b32_e32 v37, v37, v35
	v_sub_nc_u32_e32 v35, v37, v35
	v_cmp_ne_u32_e64 s1, 0, v35
	s_and_b32 s1, s1, s2
	s_and_saveexec_b32 s2, s1
	s_xor_b32 s1, exec_lo, s2
; %bb.16:                               ;   in Loop: Header=BB202_15 Depth=1
	ds_write_b32 v121, v114
; %bb.17:                               ;   in Loop: Header=BB202_15 Depth=1
	s_andn2_saveexec_b32 s2, s1
	s_cbranch_execz .LBB202_14
; %bb.18:                               ;   in Loop: Header=BB202_15 Depth=1
	global_load_dword v33, v[41:42], off
	s_load_dword s39, s[12:13], 0x0
	v_mov_b32_e32 v45, 0
	v_mov_b32_e32 v43, 0
	v_mov_b32_e32 v46, 0
	v_mov_b32_e32 v44, 0
	s_waitcnt vmcnt(0)
	v_mad_i64_i32 v[55:56], null, v33, s38, v[39:40]
	global_load_dword v51, v[55:56], off
	s_waitcnt vmcnt(0)
	v_cmp_ne_u16_sdwa s1, v51, v34 src0_sel:BYTE_0 src1_sel:DWORD
	s_and_saveexec_b32 s40, s1
	s_cbranch_execz .LBB202_26
; %bb.19:                               ;   in Loop: Header=BB202_15 Depth=1
	v_bfrev_b32_e32 v43, 1
	v_mov_b32_e32 v44, 0
	v_cmp_ne_u16_sdwa s1, v51, v115 src0_sel:BYTE_0 src1_sel:DWORD
	s_and_saveexec_b32 s41, s1
	s_cbranch_execz .LBB202_25
; %bb.20:                               ;   in Loop: Header=BB202_15 Depth=1
	v_mov_b32_e32 v43, 0x7f800001
	v_and_b32_e32 v37, 0x7f, v51
	v_mov_b32_e32 v44, 0
	s_mov_b32 s42, exec_lo
	v_cmpx_ne_u32_e32 0x7f, v37
	s_cbranch_execz .LBB202_24
; %bb.21:                               ;   in Loop: Header=BB202_15 Depth=1
	v_and_b32_e32 v33, 7, v51
	v_lshrrev_b32_e32 v35, 3, v37
	s_mov_b32 s43, exec_lo
	v_cmpx_gt_u32_e32 8, v37
; %bb.22:                               ;   in Loop: Header=BB202_15 Depth=1
	v_ffbh_u32_e32 v35, v33
	v_min_u32_e32 v35, 32, v35
	v_subrev_nc_u32_e32 v37, 28, v35
	v_sub_nc_u32_e32 v35, 29, v35
	v_lshlrev_b64 v[43:44], v37, v[33:34]
	v_and_b32_e32 v33, 7, v43
; %bb.23:                               ;   in Loop: Header=BB202_15 Depth=1
	s_or_b32 exec_lo, exec_lo, s43
	v_lshlrev_b32_e32 v37, 24, v51
	v_lshlrev_b32_e32 v33, 20, v33
	v_lshl_add_u32 v35, v35, 23, 0x3c000000
	v_and_b32_e32 v37, 0x80000000, v37
	v_or3_b32 v33, v33, v37, v35
	v_mov_b32_e32 v44, v34
	v_mov_b32_e32 v43, v33
.LBB202_24:                             ;   in Loop: Header=BB202_15 Depth=1
	s_or_b32 exec_lo, exec_lo, s42
.LBB202_25:                             ;   in Loop: Header=BB202_15 Depth=1
	s_or_b32 exec_lo, exec_lo, s41
.LBB202_26:                             ;   in Loop: Header=BB202_15 Depth=1
	s_or_b32 exec_lo, exec_lo, s40
	v_cmp_ne_u16_sdwa s1, v51, v34 src0_sel:BYTE_1 src1_sel:DWORD
	s_and_saveexec_b32 s40, s1
	s_cbranch_execz .LBB202_34
; %bb.27:                               ;   in Loop: Header=BB202_15 Depth=1
	v_mov_b32_e32 v35, v34
	v_mov_b32_e32 v46, v36
	v_cmp_ne_u16_sdwa s1, v51, v115 src0_sel:BYTE_1 src1_sel:DWORD
	v_mov_b32_e32 v45, v35
	s_and_saveexec_b32 s41, s1
	s_cbranch_execz .LBB202_33
; %bb.28:                               ;   in Loop: Header=BB202_15 Depth=1
	v_and_b32_sdwa v33, v116, v51 dst_sel:DWORD dst_unused:UNUSED_PAD src0_sel:DWORD src1_sel:BYTE_1
	v_mov_b32_e32 v37, v34
	v_mov_b32_e32 v46, v38
	s_mov_b32 s42, exec_lo
	v_and_b32_e32 v47, 0x7f, v33
	v_mov_b32_e32 v45, v37
	v_cmpx_ne_u32_e32 0x7f, v47
	s_cbranch_execz .LBB202_32
; %bb.29:                               ;   in Loop: Header=BB202_15 Depth=1
	v_and_b32_e32 v33, 7, v33
	v_lshrrev_b32_e32 v35, 3, v47
	s_mov_b32 s43, exec_lo
	v_cmpx_gt_u32_e32 8, v47
; %bb.30:                               ;   in Loop: Header=BB202_15 Depth=1
	v_ffbh_u32_e32 v35, v33
	v_min_u32_e32 v35, 32, v35
	v_subrev_nc_u32_e32 v37, 28, v35
	v_sub_nc_u32_e32 v35, 29, v35
	v_lshlrev_b64 v[45:46], v37, v[33:34]
	v_and_b32_e32 v33, 7, v45
; %bb.31:                               ;   in Loop: Header=BB202_15 Depth=1
	s_or_b32 exec_lo, exec_lo, s43
	v_lshlrev_b32_e32 v37, 16, v51
	v_lshlrev_b32_e32 v33, 20, v33
	v_lshl_add_u32 v35, v35, 23, 0x3c000000
	v_mov_b32_e32 v45, v34
	v_and_b32_e32 v37, 0x80000000, v37
	v_or3_b32 v46, v33, v37, v35
.LBB202_32:                             ;   in Loop: Header=BB202_15 Depth=1
	s_or_b32 exec_lo, exec_lo, s42
.LBB202_33:                             ;   in Loop: Header=BB202_15 Depth=1
	s_or_b32 exec_lo, exec_lo, s41
.LBB202_34:                             ;   in Loop: Header=BB202_15 Depth=1
	s_or_b32 exec_lo, exec_lo, s40
	v_mov_b32_e32 v49, 0
	v_mov_b32_e32 v47, 0
	v_and_b32_sdwa v33, v51, v117 dst_sel:DWORD dst_unused:UNUSED_PAD src0_sel:WORD_1 src1_sel:DWORD
	v_mov_b32_e32 v50, 0
	v_mov_b32_e32 v48, 0
	s_mov_b32 s40, exec_lo
	v_cmpx_ne_u16_e32 0, v33
	s_cbranch_execz .LBB202_42
; %bb.35:                               ;   in Loop: Header=BB202_15 Depth=1
	v_bfrev_b32_e32 v47, 1
	v_mov_b32_e32 v48, 0
	s_mov_b32 s41, exec_lo
	v_cmpx_ne_u16_e32 0x80, v33
	s_cbranch_execz .LBB202_41
; %bb.36:                               ;   in Loop: Header=BB202_15 Depth=1
	v_mov_b32_e32 v47, 0x7f800001
	v_bfe_u32 v37, v51, 16, 7
	v_mov_b32_e32 v48, 0
	s_mov_b32 s42, exec_lo
	v_cmpx_ne_u32_e32 0x7f, v37
	s_cbranch_execz .LBB202_40
; %bb.37:                               ;   in Loop: Header=BB202_15 Depth=1
	v_and_b32_sdwa v33, v51, v118 dst_sel:DWORD dst_unused:UNUSED_PAD src0_sel:WORD_1 src1_sel:DWORD
	v_lshrrev_b32_e32 v35, 3, v37
	s_mov_b32 s43, exec_lo
	v_cmpx_gt_u32_e32 8, v37
; %bb.38:                               ;   in Loop: Header=BB202_15 Depth=1
	v_ffbh_u32_e32 v35, v33
	v_min_u32_e32 v35, 32, v35
	v_subrev_nc_u32_e32 v37, 28, v35
	v_sub_nc_u32_e32 v35, 29, v35
	v_lshlrev_b64 v[47:48], v37, v[33:34]
	v_and_b32_e32 v33, 7, v47
; %bb.39:                               ;   in Loop: Header=BB202_15 Depth=1
	s_or_b32 exec_lo, exec_lo, s43
	v_lshlrev_b32_sdwa v37, v119, v51 dst_sel:DWORD dst_unused:UNUSED_PAD src0_sel:DWORD src1_sel:WORD_1
	v_lshlrev_b32_e32 v33, 20, v33
	v_lshl_add_u32 v35, v35, 23, 0x3c000000
	v_and_b32_e32 v37, 0x80000000, v37
	v_or3_b32 v33, v33, v37, v35
	v_mov_b32_e32 v48, v34
	v_mov_b32_e32 v47, v33
.LBB202_40:                             ;   in Loop: Header=BB202_15 Depth=1
	s_or_b32 exec_lo, exec_lo, s42
.LBB202_41:                             ;   in Loop: Header=BB202_15 Depth=1
	s_or_b32 exec_lo, exec_lo, s41
.LBB202_42:                             ;   in Loop: Header=BB202_15 Depth=1
	s_or_b32 exec_lo, exec_lo, s40
	s_mov_b32 s40, exec_lo
	v_cmpx_lt_u32_e32 0xffffff, v51
	s_cbranch_execz .LBB202_50
; %bb.43:                               ;   in Loop: Header=BB202_15 Depth=1
	v_mov_b32_e32 v35, v34
	v_mov_b32_e32 v50, v36
	v_cmp_ne_u32_sdwa s1, v51, v115 src0_sel:BYTE_3 src1_sel:DWORD
	v_mov_b32_e32 v49, v35
	s_and_saveexec_b32 s41, s1
	s_cbranch_execz .LBB202_49
; %bb.44:                               ;   in Loop: Header=BB202_15 Depth=1
	v_mov_b32_e32 v37, v34
	v_mov_b32_e32 v50, v38
	v_bfe_u32 v52, v51, 24, 7
	s_mov_b32 s42, exec_lo
	v_mov_b32_e32 v49, v37
	v_cmpx_ne_u32_e32 0x7f, v52
	s_cbranch_execz .LBB202_48
; %bb.45:                               ;   in Loop: Header=BB202_15 Depth=1
	v_and_b32_sdwa v33, v51, v118 dst_sel:DWORD dst_unused:UNUSED_PAD src0_sel:BYTE_3 src1_sel:DWORD
	v_lshrrev_b32_e32 v35, 3, v52
	s_mov_b32 s43, exec_lo
	v_cmpx_gt_u32_e32 8, v52
; %bb.46:                               ;   in Loop: Header=BB202_15 Depth=1
	v_ffbh_u32_e32 v35, v33
	v_min_u32_e32 v35, 32, v35
	v_subrev_nc_u32_e32 v37, 28, v35
	v_sub_nc_u32_e32 v35, 29, v35
	v_lshlrev_b64 v[49:50], v37, v[33:34]
	v_and_b32_e32 v33, 7, v49
; %bb.47:                               ;   in Loop: Header=BB202_15 Depth=1
	s_or_b32 exec_lo, exec_lo, s43
	v_lshlrev_b32_sdwa v37, v119, v51 dst_sel:DWORD dst_unused:UNUSED_PAD src0_sel:DWORD src1_sel:BYTE_3
	v_lshlrev_b32_e32 v33, 20, v33
	v_lshl_add_u32 v35, v35, 23, 0x3c000000
	v_mov_b32_e32 v49, v34
	v_and_b32_e32 v37, 0x80000000, v37
	v_or3_b32 v50, v33, v37, v35
.LBB202_48:                             ;   in Loop: Header=BB202_15 Depth=1
	s_or_b32 exec_lo, exec_lo, s42
.LBB202_49:                             ;   in Loop: Header=BB202_15 Depth=1
	s_or_b32 exec_lo, exec_lo, s41
.LBB202_50:                             ;   in Loop: Header=BB202_15 Depth=1
	s_or_b32 exec_lo, exec_lo, s40
	global_load_dword v61, v[55:56], off offset:4
	v_mov_b32_e32 v53, 0
	v_mov_b32_e32 v51, 0
	;; [unrolled: 1-line block ×4, first 2 shown]
	s_waitcnt vmcnt(0)
	v_cmp_ne_u16_sdwa s1, v61, v34 src0_sel:BYTE_0 src1_sel:DWORD
	s_and_saveexec_b32 s40, s1
	s_cbranch_execz .LBB202_58
; %bb.51:                               ;   in Loop: Header=BB202_15 Depth=1
	v_bfrev_b32_e32 v51, 1
	v_mov_b32_e32 v52, 0
	v_cmp_ne_u16_sdwa s1, v61, v115 src0_sel:BYTE_0 src1_sel:DWORD
	s_and_saveexec_b32 s41, s1
	s_cbranch_execz .LBB202_57
; %bb.52:                               ;   in Loop: Header=BB202_15 Depth=1
	v_mov_b32_e32 v51, 0x7f800001
	v_and_b32_e32 v37, 0x7f, v61
	v_mov_b32_e32 v52, 0
	s_mov_b32 s42, exec_lo
	v_cmpx_ne_u32_e32 0x7f, v37
	s_cbranch_execz .LBB202_56
; %bb.53:                               ;   in Loop: Header=BB202_15 Depth=1
	v_and_b32_e32 v33, 7, v61
	v_lshrrev_b32_e32 v35, 3, v37
	s_mov_b32 s43, exec_lo
	v_cmpx_gt_u32_e32 8, v37
; %bb.54:                               ;   in Loop: Header=BB202_15 Depth=1
	v_ffbh_u32_e32 v35, v33
	v_min_u32_e32 v35, 32, v35
	v_subrev_nc_u32_e32 v37, 28, v35
	v_sub_nc_u32_e32 v35, 29, v35
	v_lshlrev_b64 v[51:52], v37, v[33:34]
	v_and_b32_e32 v33, 7, v51
; %bb.55:                               ;   in Loop: Header=BB202_15 Depth=1
	s_or_b32 exec_lo, exec_lo, s43
	v_lshlrev_b32_e32 v37, 24, v61
	v_lshlrev_b32_e32 v33, 20, v33
	v_lshl_add_u32 v35, v35, 23, 0x3c000000
	v_and_b32_e32 v37, 0x80000000, v37
	v_or3_b32 v33, v33, v37, v35
	v_mov_b32_e32 v52, v34
	v_mov_b32_e32 v51, v33
.LBB202_56:                             ;   in Loop: Header=BB202_15 Depth=1
	s_or_b32 exec_lo, exec_lo, s42
.LBB202_57:                             ;   in Loop: Header=BB202_15 Depth=1
	s_or_b32 exec_lo, exec_lo, s41
.LBB202_58:                             ;   in Loop: Header=BB202_15 Depth=1
	s_or_b32 exec_lo, exec_lo, s40
	v_cmp_ne_u16_sdwa s1, v61, v34 src0_sel:BYTE_1 src1_sel:DWORD
	s_and_saveexec_b32 s40, s1
	s_cbranch_execz .LBB202_66
; %bb.59:                               ;   in Loop: Header=BB202_15 Depth=1
	v_mov_b32_e32 v35, v34
	v_mov_b32_e32 v54, v36
	v_cmp_ne_u16_sdwa s1, v61, v115 src0_sel:BYTE_1 src1_sel:DWORD
	v_mov_b32_e32 v53, v35
	s_and_saveexec_b32 s41, s1
	s_cbranch_execz .LBB202_65
; %bb.60:                               ;   in Loop: Header=BB202_15 Depth=1
	v_and_b32_sdwa v33, v116, v61 dst_sel:DWORD dst_unused:UNUSED_PAD src0_sel:DWORD src1_sel:BYTE_1
	v_mov_b32_e32 v37, v34
	v_mov_b32_e32 v54, v38
	s_mov_b32 s42, exec_lo
	v_and_b32_e32 v57, 0x7f, v33
	v_mov_b32_e32 v53, v37
	v_cmpx_ne_u32_e32 0x7f, v57
	s_cbranch_execz .LBB202_64
; %bb.61:                               ;   in Loop: Header=BB202_15 Depth=1
	v_and_b32_e32 v33, 7, v33
	v_lshrrev_b32_e32 v35, 3, v57
	s_mov_b32 s43, exec_lo
	v_cmpx_gt_u32_e32 8, v57
; %bb.62:                               ;   in Loop: Header=BB202_15 Depth=1
	v_ffbh_u32_e32 v35, v33
	v_min_u32_e32 v35, 32, v35
	v_subrev_nc_u32_e32 v37, 28, v35
	v_sub_nc_u32_e32 v35, 29, v35
	v_lshlrev_b64 v[53:54], v37, v[33:34]
	v_and_b32_e32 v33, 7, v53
; %bb.63:                               ;   in Loop: Header=BB202_15 Depth=1
	s_or_b32 exec_lo, exec_lo, s43
	v_lshlrev_b32_e32 v37, 16, v61
	v_lshlrev_b32_e32 v33, 20, v33
	v_lshl_add_u32 v35, v35, 23, 0x3c000000
	v_mov_b32_e32 v53, v34
	v_and_b32_e32 v37, 0x80000000, v37
	v_or3_b32 v54, v33, v37, v35
.LBB202_64:                             ;   in Loop: Header=BB202_15 Depth=1
	s_or_b32 exec_lo, exec_lo, s42
.LBB202_65:                             ;   in Loop: Header=BB202_15 Depth=1
	s_or_b32 exec_lo, exec_lo, s41
.LBB202_66:                             ;   in Loop: Header=BB202_15 Depth=1
	s_or_b32 exec_lo, exec_lo, s40
	v_mov_b32_e32 v59, 0
	v_mov_b32_e32 v57, 0
	v_and_b32_sdwa v33, v61, v117 dst_sel:DWORD dst_unused:UNUSED_PAD src0_sel:WORD_1 src1_sel:DWORD
	v_mov_b32_e32 v60, 0
	v_mov_b32_e32 v58, 0
	s_mov_b32 s40, exec_lo
	v_cmpx_ne_u16_e32 0, v33
	s_cbranch_execz .LBB202_74
; %bb.67:                               ;   in Loop: Header=BB202_15 Depth=1
	v_bfrev_b32_e32 v57, 1
	v_mov_b32_e32 v58, 0
	s_mov_b32 s41, exec_lo
	v_cmpx_ne_u16_e32 0x80, v33
	s_cbranch_execz .LBB202_73
; %bb.68:                               ;   in Loop: Header=BB202_15 Depth=1
	v_mov_b32_e32 v57, 0x7f800001
	v_bfe_u32 v37, v61, 16, 7
	v_mov_b32_e32 v58, 0
	s_mov_b32 s42, exec_lo
	v_cmpx_ne_u32_e32 0x7f, v37
	s_cbranch_execz .LBB202_72
; %bb.69:                               ;   in Loop: Header=BB202_15 Depth=1
	v_and_b32_sdwa v33, v61, v118 dst_sel:DWORD dst_unused:UNUSED_PAD src0_sel:WORD_1 src1_sel:DWORD
	v_lshrrev_b32_e32 v35, 3, v37
	s_mov_b32 s43, exec_lo
	v_cmpx_gt_u32_e32 8, v37
; %bb.70:                               ;   in Loop: Header=BB202_15 Depth=1
	v_ffbh_u32_e32 v35, v33
	v_min_u32_e32 v35, 32, v35
	v_subrev_nc_u32_e32 v37, 28, v35
	v_sub_nc_u32_e32 v35, 29, v35
	v_lshlrev_b64 v[57:58], v37, v[33:34]
	v_and_b32_e32 v33, 7, v57
; %bb.71:                               ;   in Loop: Header=BB202_15 Depth=1
	s_or_b32 exec_lo, exec_lo, s43
	v_lshlrev_b32_sdwa v37, v119, v61 dst_sel:DWORD dst_unused:UNUSED_PAD src0_sel:DWORD src1_sel:WORD_1
	v_lshlrev_b32_e32 v33, 20, v33
	v_lshl_add_u32 v35, v35, 23, 0x3c000000
	v_and_b32_e32 v37, 0x80000000, v37
	v_or3_b32 v33, v33, v37, v35
	v_mov_b32_e32 v58, v34
	v_mov_b32_e32 v57, v33
.LBB202_72:                             ;   in Loop: Header=BB202_15 Depth=1
	s_or_b32 exec_lo, exec_lo, s42
.LBB202_73:                             ;   in Loop: Header=BB202_15 Depth=1
	s_or_b32 exec_lo, exec_lo, s41
.LBB202_74:                             ;   in Loop: Header=BB202_15 Depth=1
	s_or_b32 exec_lo, exec_lo, s40
	s_mov_b32 s40, exec_lo
	v_cmpx_lt_u32_e32 0xffffff, v61
	s_cbranch_execz .LBB202_82
; %bb.75:                               ;   in Loop: Header=BB202_15 Depth=1
	v_mov_b32_e32 v35, v34
	v_mov_b32_e32 v60, v36
	v_cmp_ne_u32_sdwa s1, v61, v115 src0_sel:BYTE_3 src1_sel:DWORD
	v_mov_b32_e32 v59, v35
	s_and_saveexec_b32 s41, s1
	s_cbranch_execz .LBB202_81
; %bb.76:                               ;   in Loop: Header=BB202_15 Depth=1
	v_mov_b32_e32 v37, v34
	v_mov_b32_e32 v60, v38
	v_bfe_u32 v62, v61, 24, 7
	s_mov_b32 s42, exec_lo
	v_mov_b32_e32 v59, v37
	v_cmpx_ne_u32_e32 0x7f, v62
	s_cbranch_execz .LBB202_80
; %bb.77:                               ;   in Loop: Header=BB202_15 Depth=1
	v_and_b32_sdwa v33, v61, v118 dst_sel:DWORD dst_unused:UNUSED_PAD src0_sel:BYTE_3 src1_sel:DWORD
	v_lshrrev_b32_e32 v35, 3, v62
	s_mov_b32 s43, exec_lo
	v_cmpx_gt_u32_e32 8, v62
; %bb.78:                               ;   in Loop: Header=BB202_15 Depth=1
	v_ffbh_u32_e32 v35, v33
	v_min_u32_e32 v35, 32, v35
	v_subrev_nc_u32_e32 v37, 28, v35
	v_sub_nc_u32_e32 v35, 29, v35
	v_lshlrev_b64 v[59:60], v37, v[33:34]
	v_and_b32_e32 v33, 7, v59
; %bb.79:                               ;   in Loop: Header=BB202_15 Depth=1
	s_or_b32 exec_lo, exec_lo, s43
	v_lshlrev_b32_sdwa v37, v119, v61 dst_sel:DWORD dst_unused:UNUSED_PAD src0_sel:DWORD src1_sel:BYTE_3
	v_lshlrev_b32_e32 v33, 20, v33
	v_lshl_add_u32 v35, v35, 23, 0x3c000000
	v_mov_b32_e32 v59, v34
	v_and_b32_e32 v37, 0x80000000, v37
	v_or3_b32 v60, v33, v37, v35
.LBB202_80:                             ;   in Loop: Header=BB202_15 Depth=1
	s_or_b32 exec_lo, exec_lo, s42
.LBB202_81:                             ;   in Loop: Header=BB202_15 Depth=1
	s_or_b32 exec_lo, exec_lo, s41
.LBB202_82:                             ;   in Loop: Header=BB202_15 Depth=1
	s_or_b32 exec_lo, exec_lo, s40
	global_load_dword v69, v[55:56], off offset:8
	v_mov_b32_e32 v63, 0
	v_mov_b32_e32 v61, 0
	;; [unrolled: 1-line block ×4, first 2 shown]
	s_waitcnt vmcnt(0)
	v_cmp_ne_u16_sdwa s1, v69, v34 src0_sel:BYTE_0 src1_sel:DWORD
	s_and_saveexec_b32 s40, s1
	s_cbranch_execz .LBB202_90
; %bb.83:                               ;   in Loop: Header=BB202_15 Depth=1
	v_bfrev_b32_e32 v61, 1
	v_mov_b32_e32 v62, 0
	v_cmp_ne_u16_sdwa s1, v69, v115 src0_sel:BYTE_0 src1_sel:DWORD
	s_and_saveexec_b32 s41, s1
	s_cbranch_execz .LBB202_89
; %bb.84:                               ;   in Loop: Header=BB202_15 Depth=1
	v_mov_b32_e32 v61, 0x7f800001
	v_and_b32_e32 v37, 0x7f, v69
	v_mov_b32_e32 v62, 0
	s_mov_b32 s42, exec_lo
	v_cmpx_ne_u32_e32 0x7f, v37
	s_cbranch_execz .LBB202_88
; %bb.85:                               ;   in Loop: Header=BB202_15 Depth=1
	v_and_b32_e32 v33, 7, v69
	v_lshrrev_b32_e32 v35, 3, v37
	s_mov_b32 s43, exec_lo
	v_cmpx_gt_u32_e32 8, v37
; %bb.86:                               ;   in Loop: Header=BB202_15 Depth=1
	v_ffbh_u32_e32 v35, v33
	v_min_u32_e32 v35, 32, v35
	v_subrev_nc_u32_e32 v37, 28, v35
	v_sub_nc_u32_e32 v35, 29, v35
	v_lshlrev_b64 v[61:62], v37, v[33:34]
	v_and_b32_e32 v33, 7, v61
; %bb.87:                               ;   in Loop: Header=BB202_15 Depth=1
	s_or_b32 exec_lo, exec_lo, s43
	v_lshlrev_b32_e32 v37, 24, v69
	v_lshlrev_b32_e32 v33, 20, v33
	v_lshl_add_u32 v35, v35, 23, 0x3c000000
	v_and_b32_e32 v37, 0x80000000, v37
	v_or3_b32 v33, v33, v37, v35
	v_mov_b32_e32 v62, v34
	v_mov_b32_e32 v61, v33
.LBB202_88:                             ;   in Loop: Header=BB202_15 Depth=1
	s_or_b32 exec_lo, exec_lo, s42
.LBB202_89:                             ;   in Loop: Header=BB202_15 Depth=1
	s_or_b32 exec_lo, exec_lo, s41
.LBB202_90:                             ;   in Loop: Header=BB202_15 Depth=1
	s_or_b32 exec_lo, exec_lo, s40
	v_cmp_ne_u16_sdwa s1, v69, v34 src0_sel:BYTE_1 src1_sel:DWORD
	s_and_saveexec_b32 s40, s1
	s_cbranch_execz .LBB202_98
; %bb.91:                               ;   in Loop: Header=BB202_15 Depth=1
	v_mov_b32_e32 v35, v34
	v_mov_b32_e32 v64, v36
	v_cmp_ne_u16_sdwa s1, v69, v115 src0_sel:BYTE_1 src1_sel:DWORD
	v_mov_b32_e32 v63, v35
	s_and_saveexec_b32 s41, s1
	s_cbranch_execz .LBB202_97
; %bb.92:                               ;   in Loop: Header=BB202_15 Depth=1
	v_and_b32_sdwa v33, v116, v69 dst_sel:DWORD dst_unused:UNUSED_PAD src0_sel:DWORD src1_sel:BYTE_1
	v_mov_b32_e32 v37, v34
	v_mov_b32_e32 v64, v38
	s_mov_b32 s42, exec_lo
	v_and_b32_e32 v65, 0x7f, v33
	v_mov_b32_e32 v63, v37
	v_cmpx_ne_u32_e32 0x7f, v65
	s_cbranch_execz .LBB202_96
; %bb.93:                               ;   in Loop: Header=BB202_15 Depth=1
	v_and_b32_e32 v33, 7, v33
	v_lshrrev_b32_e32 v35, 3, v65
	s_mov_b32 s43, exec_lo
	v_cmpx_gt_u32_e32 8, v65
; %bb.94:                               ;   in Loop: Header=BB202_15 Depth=1
	v_ffbh_u32_e32 v35, v33
	v_min_u32_e32 v35, 32, v35
	v_subrev_nc_u32_e32 v37, 28, v35
	v_sub_nc_u32_e32 v35, 29, v35
	v_lshlrev_b64 v[63:64], v37, v[33:34]
	v_and_b32_e32 v33, 7, v63
; %bb.95:                               ;   in Loop: Header=BB202_15 Depth=1
	s_or_b32 exec_lo, exec_lo, s43
	v_lshlrev_b32_e32 v37, 16, v69
	v_lshlrev_b32_e32 v33, 20, v33
	v_lshl_add_u32 v35, v35, 23, 0x3c000000
	v_mov_b32_e32 v63, v34
	v_and_b32_e32 v37, 0x80000000, v37
	v_or3_b32 v64, v33, v37, v35
.LBB202_96:                             ;   in Loop: Header=BB202_15 Depth=1
	s_or_b32 exec_lo, exec_lo, s42
.LBB202_97:                             ;   in Loop: Header=BB202_15 Depth=1
	s_or_b32 exec_lo, exec_lo, s41
.LBB202_98:                             ;   in Loop: Header=BB202_15 Depth=1
	s_or_b32 exec_lo, exec_lo, s40
	v_mov_b32_e32 v67, 0
	v_mov_b32_e32 v65, 0
	v_and_b32_sdwa v33, v69, v117 dst_sel:DWORD dst_unused:UNUSED_PAD src0_sel:WORD_1 src1_sel:DWORD
	v_mov_b32_e32 v68, 0
	v_mov_b32_e32 v66, 0
	s_mov_b32 s40, exec_lo
	v_cmpx_ne_u16_e32 0, v33
	s_cbranch_execz .LBB202_106
; %bb.99:                               ;   in Loop: Header=BB202_15 Depth=1
	v_bfrev_b32_e32 v65, 1
	v_mov_b32_e32 v66, 0
	s_mov_b32 s41, exec_lo
	v_cmpx_ne_u16_e32 0x80, v33
	s_cbranch_execz .LBB202_105
; %bb.100:                              ;   in Loop: Header=BB202_15 Depth=1
	v_mov_b32_e32 v65, 0x7f800001
	v_bfe_u32 v37, v69, 16, 7
	v_mov_b32_e32 v66, 0
	s_mov_b32 s42, exec_lo
	v_cmpx_ne_u32_e32 0x7f, v37
	s_cbranch_execz .LBB202_104
; %bb.101:                              ;   in Loop: Header=BB202_15 Depth=1
	v_and_b32_sdwa v33, v69, v118 dst_sel:DWORD dst_unused:UNUSED_PAD src0_sel:WORD_1 src1_sel:DWORD
	v_lshrrev_b32_e32 v35, 3, v37
	s_mov_b32 s43, exec_lo
	v_cmpx_gt_u32_e32 8, v37
; %bb.102:                              ;   in Loop: Header=BB202_15 Depth=1
	v_ffbh_u32_e32 v35, v33
	v_min_u32_e32 v35, 32, v35
	v_subrev_nc_u32_e32 v37, 28, v35
	v_sub_nc_u32_e32 v35, 29, v35
	v_lshlrev_b64 v[65:66], v37, v[33:34]
	v_and_b32_e32 v33, 7, v65
; %bb.103:                              ;   in Loop: Header=BB202_15 Depth=1
	s_or_b32 exec_lo, exec_lo, s43
	v_lshlrev_b32_sdwa v37, v119, v69 dst_sel:DWORD dst_unused:UNUSED_PAD src0_sel:DWORD src1_sel:WORD_1
	v_lshlrev_b32_e32 v33, 20, v33
	v_lshl_add_u32 v35, v35, 23, 0x3c000000
	v_and_b32_e32 v37, 0x80000000, v37
	v_or3_b32 v33, v33, v37, v35
	v_mov_b32_e32 v66, v34
	v_mov_b32_e32 v65, v33
.LBB202_104:                            ;   in Loop: Header=BB202_15 Depth=1
	s_or_b32 exec_lo, exec_lo, s42
.LBB202_105:                            ;   in Loop: Header=BB202_15 Depth=1
	s_or_b32 exec_lo, exec_lo, s41
.LBB202_106:                            ;   in Loop: Header=BB202_15 Depth=1
	s_or_b32 exec_lo, exec_lo, s40
	s_mov_b32 s40, exec_lo
	v_cmpx_lt_u32_e32 0xffffff, v69
	s_cbranch_execz .LBB202_114
; %bb.107:                              ;   in Loop: Header=BB202_15 Depth=1
	v_mov_b32_e32 v35, v34
	v_mov_b32_e32 v68, v36
	v_cmp_ne_u32_sdwa s1, v69, v115 src0_sel:BYTE_3 src1_sel:DWORD
	v_mov_b32_e32 v67, v35
	s_and_saveexec_b32 s41, s1
	s_cbranch_execz .LBB202_113
; %bb.108:                              ;   in Loop: Header=BB202_15 Depth=1
	v_mov_b32_e32 v37, v34
	v_mov_b32_e32 v68, v38
	v_bfe_u32 v70, v69, 24, 7
	s_mov_b32 s42, exec_lo
	v_mov_b32_e32 v67, v37
	v_cmpx_ne_u32_e32 0x7f, v70
	s_cbranch_execz .LBB202_112
; %bb.109:                              ;   in Loop: Header=BB202_15 Depth=1
	v_and_b32_sdwa v33, v69, v118 dst_sel:DWORD dst_unused:UNUSED_PAD src0_sel:BYTE_3 src1_sel:DWORD
	v_lshrrev_b32_e32 v35, 3, v70
	s_mov_b32 s43, exec_lo
	v_cmpx_gt_u32_e32 8, v70
; %bb.110:                              ;   in Loop: Header=BB202_15 Depth=1
	v_ffbh_u32_e32 v35, v33
	v_min_u32_e32 v35, 32, v35
	v_subrev_nc_u32_e32 v37, 28, v35
	v_sub_nc_u32_e32 v35, 29, v35
	v_lshlrev_b64 v[67:68], v37, v[33:34]
	v_and_b32_e32 v33, 7, v67
; %bb.111:                              ;   in Loop: Header=BB202_15 Depth=1
	s_or_b32 exec_lo, exec_lo, s43
	v_lshlrev_b32_sdwa v37, v119, v69 dst_sel:DWORD dst_unused:UNUSED_PAD src0_sel:DWORD src1_sel:BYTE_3
	v_lshlrev_b32_e32 v33, 20, v33
	v_lshl_add_u32 v35, v35, 23, 0x3c000000
	v_mov_b32_e32 v67, v34
	v_and_b32_e32 v37, 0x80000000, v37
	v_or3_b32 v68, v33, v37, v35
.LBB202_112:                            ;   in Loop: Header=BB202_15 Depth=1
	s_or_b32 exec_lo, exec_lo, s42
.LBB202_113:                            ;   in Loop: Header=BB202_15 Depth=1
	s_or_b32 exec_lo, exec_lo, s41
.LBB202_114:                            ;   in Loop: Header=BB202_15 Depth=1
	s_or_b32 exec_lo, exec_lo, s40
	global_load_dword v77, v[55:56], off offset:12
	v_mov_b32_e32 v71, 0
	v_mov_b32_e32 v69, 0
	;; [unrolled: 1-line block ×4, first 2 shown]
	s_waitcnt vmcnt(0)
	v_cmp_ne_u16_sdwa s1, v77, v34 src0_sel:BYTE_0 src1_sel:DWORD
	s_and_saveexec_b32 s40, s1
	s_cbranch_execz .LBB202_122
; %bb.115:                              ;   in Loop: Header=BB202_15 Depth=1
	v_bfrev_b32_e32 v69, 1
	v_mov_b32_e32 v70, 0
	v_cmp_ne_u16_sdwa s1, v77, v115 src0_sel:BYTE_0 src1_sel:DWORD
	s_and_saveexec_b32 s41, s1
	s_cbranch_execz .LBB202_121
; %bb.116:                              ;   in Loop: Header=BB202_15 Depth=1
	v_mov_b32_e32 v69, 0x7f800001
	v_and_b32_e32 v37, 0x7f, v77
	v_mov_b32_e32 v70, 0
	s_mov_b32 s42, exec_lo
	v_cmpx_ne_u32_e32 0x7f, v37
	s_cbranch_execz .LBB202_120
; %bb.117:                              ;   in Loop: Header=BB202_15 Depth=1
	v_and_b32_e32 v33, 7, v77
	v_lshrrev_b32_e32 v35, 3, v37
	s_mov_b32 s43, exec_lo
	v_cmpx_gt_u32_e32 8, v37
; %bb.118:                              ;   in Loop: Header=BB202_15 Depth=1
	v_ffbh_u32_e32 v35, v33
	v_min_u32_e32 v35, 32, v35
	v_subrev_nc_u32_e32 v37, 28, v35
	v_sub_nc_u32_e32 v35, 29, v35
	v_lshlrev_b64 v[69:70], v37, v[33:34]
	v_and_b32_e32 v33, 7, v69
; %bb.119:                              ;   in Loop: Header=BB202_15 Depth=1
	s_or_b32 exec_lo, exec_lo, s43
	v_lshlrev_b32_e32 v37, 24, v77
	v_lshlrev_b32_e32 v33, 20, v33
	v_lshl_add_u32 v35, v35, 23, 0x3c000000
	v_and_b32_e32 v37, 0x80000000, v37
	v_or3_b32 v33, v33, v37, v35
	v_mov_b32_e32 v70, v34
	v_mov_b32_e32 v69, v33
.LBB202_120:                            ;   in Loop: Header=BB202_15 Depth=1
	s_or_b32 exec_lo, exec_lo, s42
.LBB202_121:                            ;   in Loop: Header=BB202_15 Depth=1
	s_or_b32 exec_lo, exec_lo, s41
.LBB202_122:                            ;   in Loop: Header=BB202_15 Depth=1
	s_or_b32 exec_lo, exec_lo, s40
	v_cmp_ne_u16_sdwa s1, v77, v34 src0_sel:BYTE_1 src1_sel:DWORD
	s_and_saveexec_b32 s40, s1
	s_cbranch_execz .LBB202_130
; %bb.123:                              ;   in Loop: Header=BB202_15 Depth=1
	v_mov_b32_e32 v35, v34
	v_mov_b32_e32 v72, v36
	v_cmp_ne_u16_sdwa s1, v77, v115 src0_sel:BYTE_1 src1_sel:DWORD
	v_mov_b32_e32 v71, v35
	s_and_saveexec_b32 s41, s1
	s_cbranch_execz .LBB202_129
; %bb.124:                              ;   in Loop: Header=BB202_15 Depth=1
	v_and_b32_sdwa v33, v116, v77 dst_sel:DWORD dst_unused:UNUSED_PAD src0_sel:DWORD src1_sel:BYTE_1
	v_mov_b32_e32 v37, v34
	v_mov_b32_e32 v72, v38
	s_mov_b32 s42, exec_lo
	v_and_b32_e32 v73, 0x7f, v33
	v_mov_b32_e32 v71, v37
	v_cmpx_ne_u32_e32 0x7f, v73
	s_cbranch_execz .LBB202_128
; %bb.125:                              ;   in Loop: Header=BB202_15 Depth=1
	v_and_b32_e32 v33, 7, v33
	v_lshrrev_b32_e32 v35, 3, v73
	s_mov_b32 s43, exec_lo
	v_cmpx_gt_u32_e32 8, v73
; %bb.126:                              ;   in Loop: Header=BB202_15 Depth=1
	v_ffbh_u32_e32 v35, v33
	v_min_u32_e32 v35, 32, v35
	v_subrev_nc_u32_e32 v37, 28, v35
	v_sub_nc_u32_e32 v35, 29, v35
	v_lshlrev_b64 v[71:72], v37, v[33:34]
	v_and_b32_e32 v33, 7, v71
; %bb.127:                              ;   in Loop: Header=BB202_15 Depth=1
	s_or_b32 exec_lo, exec_lo, s43
	v_lshlrev_b32_e32 v37, 16, v77
	v_lshlrev_b32_e32 v33, 20, v33
	v_lshl_add_u32 v35, v35, 23, 0x3c000000
	v_mov_b32_e32 v71, v34
	v_and_b32_e32 v37, 0x80000000, v37
	v_or3_b32 v72, v33, v37, v35
.LBB202_128:                            ;   in Loop: Header=BB202_15 Depth=1
	s_or_b32 exec_lo, exec_lo, s42
.LBB202_129:                            ;   in Loop: Header=BB202_15 Depth=1
	s_or_b32 exec_lo, exec_lo, s41
.LBB202_130:                            ;   in Loop: Header=BB202_15 Depth=1
	s_or_b32 exec_lo, exec_lo, s40
	v_mov_b32_e32 v75, 0
	v_mov_b32_e32 v73, 0
	v_and_b32_sdwa v33, v77, v117 dst_sel:DWORD dst_unused:UNUSED_PAD src0_sel:WORD_1 src1_sel:DWORD
	v_mov_b32_e32 v76, 0
	v_mov_b32_e32 v74, 0
	s_mov_b32 s40, exec_lo
	v_cmpx_ne_u16_e32 0, v33
	s_cbranch_execz .LBB202_138
; %bb.131:                              ;   in Loop: Header=BB202_15 Depth=1
	v_bfrev_b32_e32 v73, 1
	v_mov_b32_e32 v74, 0
	s_mov_b32 s41, exec_lo
	v_cmpx_ne_u16_e32 0x80, v33
	s_cbranch_execz .LBB202_137
; %bb.132:                              ;   in Loop: Header=BB202_15 Depth=1
	v_mov_b32_e32 v73, 0x7f800001
	v_bfe_u32 v37, v77, 16, 7
	v_mov_b32_e32 v74, 0
	s_mov_b32 s42, exec_lo
	v_cmpx_ne_u32_e32 0x7f, v37
	s_cbranch_execz .LBB202_136
; %bb.133:                              ;   in Loop: Header=BB202_15 Depth=1
	v_and_b32_sdwa v33, v77, v118 dst_sel:DWORD dst_unused:UNUSED_PAD src0_sel:WORD_1 src1_sel:DWORD
	v_lshrrev_b32_e32 v35, 3, v37
	s_mov_b32 s43, exec_lo
	v_cmpx_gt_u32_e32 8, v37
; %bb.134:                              ;   in Loop: Header=BB202_15 Depth=1
	v_ffbh_u32_e32 v35, v33
	v_min_u32_e32 v35, 32, v35
	v_subrev_nc_u32_e32 v37, 28, v35
	v_sub_nc_u32_e32 v35, 29, v35
	v_lshlrev_b64 v[73:74], v37, v[33:34]
	v_and_b32_e32 v33, 7, v73
; %bb.135:                              ;   in Loop: Header=BB202_15 Depth=1
	s_or_b32 exec_lo, exec_lo, s43
	v_lshlrev_b32_sdwa v37, v119, v77 dst_sel:DWORD dst_unused:UNUSED_PAD src0_sel:DWORD src1_sel:WORD_1
	v_lshlrev_b32_e32 v33, 20, v33
	v_lshl_add_u32 v35, v35, 23, 0x3c000000
	v_and_b32_e32 v37, 0x80000000, v37
	v_or3_b32 v33, v33, v37, v35
	v_mov_b32_e32 v74, v34
	v_mov_b32_e32 v73, v33
.LBB202_136:                            ;   in Loop: Header=BB202_15 Depth=1
	s_or_b32 exec_lo, exec_lo, s42
.LBB202_137:                            ;   in Loop: Header=BB202_15 Depth=1
	s_or_b32 exec_lo, exec_lo, s41
.LBB202_138:                            ;   in Loop: Header=BB202_15 Depth=1
	s_or_b32 exec_lo, exec_lo, s40
	s_mov_b32 s40, exec_lo
	v_cmpx_lt_u32_e32 0xffffff, v77
	s_cbranch_execz .LBB202_146
; %bb.139:                              ;   in Loop: Header=BB202_15 Depth=1
	v_mov_b32_e32 v35, v34
	v_mov_b32_e32 v76, v36
	v_cmp_ne_u32_sdwa s1, v77, v115 src0_sel:BYTE_3 src1_sel:DWORD
	v_mov_b32_e32 v75, v35
	s_and_saveexec_b32 s41, s1
	s_cbranch_execz .LBB202_145
; %bb.140:                              ;   in Loop: Header=BB202_15 Depth=1
	v_mov_b32_e32 v37, v34
	v_mov_b32_e32 v76, v38
	v_bfe_u32 v78, v77, 24, 7
	s_mov_b32 s42, exec_lo
	v_mov_b32_e32 v75, v37
	v_cmpx_ne_u32_e32 0x7f, v78
	s_cbranch_execz .LBB202_144
; %bb.141:                              ;   in Loop: Header=BB202_15 Depth=1
	v_and_b32_sdwa v33, v77, v118 dst_sel:DWORD dst_unused:UNUSED_PAD src0_sel:BYTE_3 src1_sel:DWORD
	v_lshrrev_b32_e32 v35, 3, v78
	s_mov_b32 s43, exec_lo
	v_cmpx_gt_u32_e32 8, v78
; %bb.142:                              ;   in Loop: Header=BB202_15 Depth=1
	v_ffbh_u32_e32 v35, v33
	v_min_u32_e32 v35, 32, v35
	v_subrev_nc_u32_e32 v37, 28, v35
	v_sub_nc_u32_e32 v35, 29, v35
	v_lshlrev_b64 v[75:76], v37, v[33:34]
	v_and_b32_e32 v33, 7, v75
; %bb.143:                              ;   in Loop: Header=BB202_15 Depth=1
	s_or_b32 exec_lo, exec_lo, s43
	v_lshlrev_b32_sdwa v37, v119, v77 dst_sel:DWORD dst_unused:UNUSED_PAD src0_sel:DWORD src1_sel:BYTE_3
	v_lshlrev_b32_e32 v33, 20, v33
	v_lshl_add_u32 v35, v35, 23, 0x3c000000
	v_mov_b32_e32 v75, v34
	v_and_b32_e32 v37, 0x80000000, v37
	v_or3_b32 v76, v33, v37, v35
.LBB202_144:                            ;   in Loop: Header=BB202_15 Depth=1
	s_or_b32 exec_lo, exec_lo, s42
.LBB202_145:                            ;   in Loop: Header=BB202_15 Depth=1
	s_or_b32 exec_lo, exec_lo, s41
.LBB202_146:                            ;   in Loop: Header=BB202_15 Depth=1
	s_or_b32 exec_lo, exec_lo, s40
	global_load_dword v85, v[55:56], off offset:512
	v_mov_b32_e32 v79, 0
	v_mov_b32_e32 v77, 0
	;; [unrolled: 1-line block ×4, first 2 shown]
	s_waitcnt vmcnt(0)
	v_cmp_ne_u16_sdwa s1, v85, v34 src0_sel:BYTE_0 src1_sel:DWORD
	s_and_saveexec_b32 s40, s1
	s_cbranch_execz .LBB202_154
; %bb.147:                              ;   in Loop: Header=BB202_15 Depth=1
	v_bfrev_b32_e32 v77, 1
	v_mov_b32_e32 v78, 0
	v_cmp_ne_u16_sdwa s1, v85, v115 src0_sel:BYTE_0 src1_sel:DWORD
	s_and_saveexec_b32 s41, s1
	s_cbranch_execz .LBB202_153
; %bb.148:                              ;   in Loop: Header=BB202_15 Depth=1
	v_mov_b32_e32 v77, 0x7f800001
	v_and_b32_e32 v37, 0x7f, v85
	v_mov_b32_e32 v78, 0
	s_mov_b32 s42, exec_lo
	v_cmpx_ne_u32_e32 0x7f, v37
	s_cbranch_execz .LBB202_152
; %bb.149:                              ;   in Loop: Header=BB202_15 Depth=1
	v_and_b32_e32 v33, 7, v85
	v_lshrrev_b32_e32 v35, 3, v37
	s_mov_b32 s43, exec_lo
	v_cmpx_gt_u32_e32 8, v37
; %bb.150:                              ;   in Loop: Header=BB202_15 Depth=1
	v_ffbh_u32_e32 v35, v33
	v_min_u32_e32 v35, 32, v35
	v_subrev_nc_u32_e32 v37, 28, v35
	v_sub_nc_u32_e32 v35, 29, v35
	v_lshlrev_b64 v[77:78], v37, v[33:34]
	v_and_b32_e32 v33, 7, v77
; %bb.151:                              ;   in Loop: Header=BB202_15 Depth=1
	s_or_b32 exec_lo, exec_lo, s43
	v_lshlrev_b32_e32 v37, 24, v85
	v_lshlrev_b32_e32 v33, 20, v33
	v_lshl_add_u32 v35, v35, 23, 0x3c000000
	v_and_b32_e32 v37, 0x80000000, v37
	v_or3_b32 v33, v33, v37, v35
	v_mov_b32_e32 v78, v34
	v_mov_b32_e32 v77, v33
.LBB202_152:                            ;   in Loop: Header=BB202_15 Depth=1
	s_or_b32 exec_lo, exec_lo, s42
.LBB202_153:                            ;   in Loop: Header=BB202_15 Depth=1
	s_or_b32 exec_lo, exec_lo, s41
.LBB202_154:                            ;   in Loop: Header=BB202_15 Depth=1
	s_or_b32 exec_lo, exec_lo, s40
	v_cmp_ne_u16_sdwa s1, v85, v34 src0_sel:BYTE_1 src1_sel:DWORD
	s_and_saveexec_b32 s40, s1
	s_cbranch_execz .LBB202_162
; %bb.155:                              ;   in Loop: Header=BB202_15 Depth=1
	v_mov_b32_e32 v35, v34
	v_mov_b32_e32 v80, v36
	v_cmp_ne_u16_sdwa s1, v85, v115 src0_sel:BYTE_1 src1_sel:DWORD
	v_mov_b32_e32 v79, v35
	s_and_saveexec_b32 s41, s1
	s_cbranch_execz .LBB202_161
; %bb.156:                              ;   in Loop: Header=BB202_15 Depth=1
	v_and_b32_sdwa v33, v116, v85 dst_sel:DWORD dst_unused:UNUSED_PAD src0_sel:DWORD src1_sel:BYTE_1
	v_mov_b32_e32 v37, v34
	v_mov_b32_e32 v80, v38
	s_mov_b32 s42, exec_lo
	v_and_b32_e32 v81, 0x7f, v33
	v_mov_b32_e32 v79, v37
	v_cmpx_ne_u32_e32 0x7f, v81
	s_cbranch_execz .LBB202_160
; %bb.157:                              ;   in Loop: Header=BB202_15 Depth=1
	v_and_b32_e32 v33, 7, v33
	v_lshrrev_b32_e32 v35, 3, v81
	s_mov_b32 s43, exec_lo
	v_cmpx_gt_u32_e32 8, v81
; %bb.158:                              ;   in Loop: Header=BB202_15 Depth=1
	v_ffbh_u32_e32 v35, v33
	v_min_u32_e32 v35, 32, v35
	v_subrev_nc_u32_e32 v37, 28, v35
	v_sub_nc_u32_e32 v35, 29, v35
	v_lshlrev_b64 v[79:80], v37, v[33:34]
	v_and_b32_e32 v33, 7, v79
; %bb.159:                              ;   in Loop: Header=BB202_15 Depth=1
	s_or_b32 exec_lo, exec_lo, s43
	v_lshlrev_b32_e32 v37, 16, v85
	v_lshlrev_b32_e32 v33, 20, v33
	v_lshl_add_u32 v35, v35, 23, 0x3c000000
	v_mov_b32_e32 v79, v34
	v_and_b32_e32 v37, 0x80000000, v37
	v_or3_b32 v80, v33, v37, v35
.LBB202_160:                            ;   in Loop: Header=BB202_15 Depth=1
	s_or_b32 exec_lo, exec_lo, s42
.LBB202_161:                            ;   in Loop: Header=BB202_15 Depth=1
	s_or_b32 exec_lo, exec_lo, s41
.LBB202_162:                            ;   in Loop: Header=BB202_15 Depth=1
	s_or_b32 exec_lo, exec_lo, s40
	v_mov_b32_e32 v83, 0
	v_mov_b32_e32 v81, 0
	v_and_b32_sdwa v33, v85, v117 dst_sel:DWORD dst_unused:UNUSED_PAD src0_sel:WORD_1 src1_sel:DWORD
	v_mov_b32_e32 v84, 0
	v_mov_b32_e32 v82, 0
	s_mov_b32 s40, exec_lo
	v_cmpx_ne_u16_e32 0, v33
	s_cbranch_execz .LBB202_170
; %bb.163:                              ;   in Loop: Header=BB202_15 Depth=1
	v_bfrev_b32_e32 v81, 1
	v_mov_b32_e32 v82, 0
	s_mov_b32 s41, exec_lo
	v_cmpx_ne_u16_e32 0x80, v33
	s_cbranch_execz .LBB202_169
; %bb.164:                              ;   in Loop: Header=BB202_15 Depth=1
	v_mov_b32_e32 v81, 0x7f800001
	v_bfe_u32 v37, v85, 16, 7
	v_mov_b32_e32 v82, 0
	s_mov_b32 s42, exec_lo
	v_cmpx_ne_u32_e32 0x7f, v37
	s_cbranch_execz .LBB202_168
; %bb.165:                              ;   in Loop: Header=BB202_15 Depth=1
	v_and_b32_sdwa v33, v85, v118 dst_sel:DWORD dst_unused:UNUSED_PAD src0_sel:WORD_1 src1_sel:DWORD
	v_lshrrev_b32_e32 v35, 3, v37
	s_mov_b32 s43, exec_lo
	v_cmpx_gt_u32_e32 8, v37
; %bb.166:                              ;   in Loop: Header=BB202_15 Depth=1
	v_ffbh_u32_e32 v35, v33
	v_min_u32_e32 v35, 32, v35
	v_subrev_nc_u32_e32 v37, 28, v35
	v_sub_nc_u32_e32 v35, 29, v35
	v_lshlrev_b64 v[81:82], v37, v[33:34]
	v_and_b32_e32 v33, 7, v81
; %bb.167:                              ;   in Loop: Header=BB202_15 Depth=1
	s_or_b32 exec_lo, exec_lo, s43
	v_lshlrev_b32_sdwa v37, v119, v85 dst_sel:DWORD dst_unused:UNUSED_PAD src0_sel:DWORD src1_sel:WORD_1
	v_lshlrev_b32_e32 v33, 20, v33
	v_lshl_add_u32 v35, v35, 23, 0x3c000000
	v_and_b32_e32 v37, 0x80000000, v37
	v_or3_b32 v33, v33, v37, v35
	v_mov_b32_e32 v82, v34
	v_mov_b32_e32 v81, v33
.LBB202_168:                            ;   in Loop: Header=BB202_15 Depth=1
	s_or_b32 exec_lo, exec_lo, s42
.LBB202_169:                            ;   in Loop: Header=BB202_15 Depth=1
	s_or_b32 exec_lo, exec_lo, s41
.LBB202_170:                            ;   in Loop: Header=BB202_15 Depth=1
	s_or_b32 exec_lo, exec_lo, s40
	s_mov_b32 s40, exec_lo
	v_cmpx_lt_u32_e32 0xffffff, v85
	s_cbranch_execz .LBB202_178
; %bb.171:                              ;   in Loop: Header=BB202_15 Depth=1
	v_mov_b32_e32 v35, v34
	v_mov_b32_e32 v84, v36
	v_cmp_ne_u32_sdwa s1, v85, v115 src0_sel:BYTE_3 src1_sel:DWORD
	v_mov_b32_e32 v83, v35
	s_and_saveexec_b32 s41, s1
	s_cbranch_execz .LBB202_177
; %bb.172:                              ;   in Loop: Header=BB202_15 Depth=1
	v_mov_b32_e32 v37, v34
	v_mov_b32_e32 v84, v38
	v_bfe_u32 v86, v85, 24, 7
	s_mov_b32 s42, exec_lo
	v_mov_b32_e32 v83, v37
	v_cmpx_ne_u32_e32 0x7f, v86
	s_cbranch_execz .LBB202_176
; %bb.173:                              ;   in Loop: Header=BB202_15 Depth=1
	v_and_b32_sdwa v33, v85, v118 dst_sel:DWORD dst_unused:UNUSED_PAD src0_sel:BYTE_3 src1_sel:DWORD
	v_lshrrev_b32_e32 v35, 3, v86
	s_mov_b32 s43, exec_lo
	v_cmpx_gt_u32_e32 8, v86
; %bb.174:                              ;   in Loop: Header=BB202_15 Depth=1
	v_ffbh_u32_e32 v35, v33
	v_min_u32_e32 v35, 32, v35
	v_subrev_nc_u32_e32 v37, 28, v35
	v_sub_nc_u32_e32 v35, 29, v35
	v_lshlrev_b64 v[83:84], v37, v[33:34]
	v_and_b32_e32 v33, 7, v83
; %bb.175:                              ;   in Loop: Header=BB202_15 Depth=1
	s_or_b32 exec_lo, exec_lo, s43
	v_lshlrev_b32_sdwa v37, v119, v85 dst_sel:DWORD dst_unused:UNUSED_PAD src0_sel:DWORD src1_sel:BYTE_3
	v_lshlrev_b32_e32 v33, 20, v33
	v_lshl_add_u32 v35, v35, 23, 0x3c000000
	v_mov_b32_e32 v83, v34
	v_and_b32_e32 v37, 0x80000000, v37
	v_or3_b32 v84, v33, v37, v35
.LBB202_176:                            ;   in Loop: Header=BB202_15 Depth=1
	s_or_b32 exec_lo, exec_lo, s42
.LBB202_177:                            ;   in Loop: Header=BB202_15 Depth=1
	s_or_b32 exec_lo, exec_lo, s41
.LBB202_178:                            ;   in Loop: Header=BB202_15 Depth=1
	s_or_b32 exec_lo, exec_lo, s40
	global_load_dword v93, v[55:56], off offset:516
	v_mov_b32_e32 v87, 0
	v_mov_b32_e32 v85, 0
	;; [unrolled: 1-line block ×4, first 2 shown]
	s_waitcnt vmcnt(0)
	v_cmp_ne_u16_sdwa s1, v93, v34 src0_sel:BYTE_0 src1_sel:DWORD
	s_and_saveexec_b32 s40, s1
	s_cbranch_execz .LBB202_186
; %bb.179:                              ;   in Loop: Header=BB202_15 Depth=1
	v_bfrev_b32_e32 v85, 1
	v_mov_b32_e32 v86, 0
	v_cmp_ne_u16_sdwa s1, v93, v115 src0_sel:BYTE_0 src1_sel:DWORD
	s_and_saveexec_b32 s41, s1
	s_cbranch_execz .LBB202_185
; %bb.180:                              ;   in Loop: Header=BB202_15 Depth=1
	v_mov_b32_e32 v85, 0x7f800001
	v_and_b32_e32 v37, 0x7f, v93
	v_mov_b32_e32 v86, 0
	s_mov_b32 s42, exec_lo
	v_cmpx_ne_u32_e32 0x7f, v37
	s_cbranch_execz .LBB202_184
; %bb.181:                              ;   in Loop: Header=BB202_15 Depth=1
	v_and_b32_e32 v33, 7, v93
	v_lshrrev_b32_e32 v35, 3, v37
	s_mov_b32 s43, exec_lo
	v_cmpx_gt_u32_e32 8, v37
; %bb.182:                              ;   in Loop: Header=BB202_15 Depth=1
	v_ffbh_u32_e32 v35, v33
	v_min_u32_e32 v35, 32, v35
	v_subrev_nc_u32_e32 v37, 28, v35
	v_sub_nc_u32_e32 v35, 29, v35
	v_lshlrev_b64 v[85:86], v37, v[33:34]
	v_and_b32_e32 v33, 7, v85
; %bb.183:                              ;   in Loop: Header=BB202_15 Depth=1
	s_or_b32 exec_lo, exec_lo, s43
	v_lshlrev_b32_e32 v37, 24, v93
	v_lshlrev_b32_e32 v33, 20, v33
	v_lshl_add_u32 v35, v35, 23, 0x3c000000
	v_and_b32_e32 v37, 0x80000000, v37
	v_or3_b32 v33, v33, v37, v35
	v_mov_b32_e32 v86, v34
	v_mov_b32_e32 v85, v33
.LBB202_184:                            ;   in Loop: Header=BB202_15 Depth=1
	s_or_b32 exec_lo, exec_lo, s42
.LBB202_185:                            ;   in Loop: Header=BB202_15 Depth=1
	s_or_b32 exec_lo, exec_lo, s41
.LBB202_186:                            ;   in Loop: Header=BB202_15 Depth=1
	s_or_b32 exec_lo, exec_lo, s40
	v_cmp_ne_u16_sdwa s1, v93, v34 src0_sel:BYTE_1 src1_sel:DWORD
	s_and_saveexec_b32 s40, s1
	s_cbranch_execz .LBB202_194
; %bb.187:                              ;   in Loop: Header=BB202_15 Depth=1
	v_mov_b32_e32 v35, v34
	v_mov_b32_e32 v88, v36
	v_cmp_ne_u16_sdwa s1, v93, v115 src0_sel:BYTE_1 src1_sel:DWORD
	v_mov_b32_e32 v87, v35
	s_and_saveexec_b32 s41, s1
	s_cbranch_execz .LBB202_193
; %bb.188:                              ;   in Loop: Header=BB202_15 Depth=1
	v_and_b32_sdwa v33, v116, v93 dst_sel:DWORD dst_unused:UNUSED_PAD src0_sel:DWORD src1_sel:BYTE_1
	v_mov_b32_e32 v37, v34
	v_mov_b32_e32 v88, v38
	s_mov_b32 s42, exec_lo
	v_and_b32_e32 v89, 0x7f, v33
	v_mov_b32_e32 v87, v37
	v_cmpx_ne_u32_e32 0x7f, v89
	s_cbranch_execz .LBB202_192
; %bb.189:                              ;   in Loop: Header=BB202_15 Depth=1
	v_and_b32_e32 v33, 7, v33
	v_lshrrev_b32_e32 v35, 3, v89
	s_mov_b32 s43, exec_lo
	v_cmpx_gt_u32_e32 8, v89
; %bb.190:                              ;   in Loop: Header=BB202_15 Depth=1
	v_ffbh_u32_e32 v35, v33
	v_min_u32_e32 v35, 32, v35
	v_subrev_nc_u32_e32 v37, 28, v35
	v_sub_nc_u32_e32 v35, 29, v35
	v_lshlrev_b64 v[87:88], v37, v[33:34]
	v_and_b32_e32 v33, 7, v87
; %bb.191:                              ;   in Loop: Header=BB202_15 Depth=1
	s_or_b32 exec_lo, exec_lo, s43
	v_lshlrev_b32_e32 v37, 16, v93
	v_lshlrev_b32_e32 v33, 20, v33
	v_lshl_add_u32 v35, v35, 23, 0x3c000000
	v_mov_b32_e32 v87, v34
	v_and_b32_e32 v37, 0x80000000, v37
	v_or3_b32 v88, v33, v37, v35
.LBB202_192:                            ;   in Loop: Header=BB202_15 Depth=1
	s_or_b32 exec_lo, exec_lo, s42
.LBB202_193:                            ;   in Loop: Header=BB202_15 Depth=1
	s_or_b32 exec_lo, exec_lo, s41
.LBB202_194:                            ;   in Loop: Header=BB202_15 Depth=1
	s_or_b32 exec_lo, exec_lo, s40
	v_mov_b32_e32 v91, 0
	v_mov_b32_e32 v89, 0
	v_and_b32_sdwa v33, v93, v117 dst_sel:DWORD dst_unused:UNUSED_PAD src0_sel:WORD_1 src1_sel:DWORD
	v_mov_b32_e32 v92, 0
	v_mov_b32_e32 v90, 0
	s_mov_b32 s40, exec_lo
	v_cmpx_ne_u16_e32 0, v33
	s_cbranch_execz .LBB202_202
; %bb.195:                              ;   in Loop: Header=BB202_15 Depth=1
	v_bfrev_b32_e32 v89, 1
	v_mov_b32_e32 v90, 0
	s_mov_b32 s41, exec_lo
	v_cmpx_ne_u16_e32 0x80, v33
	s_cbranch_execz .LBB202_201
; %bb.196:                              ;   in Loop: Header=BB202_15 Depth=1
	v_mov_b32_e32 v89, 0x7f800001
	v_bfe_u32 v37, v93, 16, 7
	v_mov_b32_e32 v90, 0
	s_mov_b32 s42, exec_lo
	v_cmpx_ne_u32_e32 0x7f, v37
	s_cbranch_execz .LBB202_200
; %bb.197:                              ;   in Loop: Header=BB202_15 Depth=1
	v_and_b32_sdwa v33, v93, v118 dst_sel:DWORD dst_unused:UNUSED_PAD src0_sel:WORD_1 src1_sel:DWORD
	v_lshrrev_b32_e32 v35, 3, v37
	s_mov_b32 s43, exec_lo
	v_cmpx_gt_u32_e32 8, v37
; %bb.198:                              ;   in Loop: Header=BB202_15 Depth=1
	v_ffbh_u32_e32 v35, v33
	v_min_u32_e32 v35, 32, v35
	v_subrev_nc_u32_e32 v37, 28, v35
	v_sub_nc_u32_e32 v35, 29, v35
	v_lshlrev_b64 v[89:90], v37, v[33:34]
	v_and_b32_e32 v33, 7, v89
; %bb.199:                              ;   in Loop: Header=BB202_15 Depth=1
	s_or_b32 exec_lo, exec_lo, s43
	v_lshlrev_b32_sdwa v37, v119, v93 dst_sel:DWORD dst_unused:UNUSED_PAD src0_sel:DWORD src1_sel:WORD_1
	v_lshlrev_b32_e32 v33, 20, v33
	v_lshl_add_u32 v35, v35, 23, 0x3c000000
	v_and_b32_e32 v37, 0x80000000, v37
	v_or3_b32 v33, v33, v37, v35
	v_mov_b32_e32 v90, v34
	v_mov_b32_e32 v89, v33
.LBB202_200:                            ;   in Loop: Header=BB202_15 Depth=1
	s_or_b32 exec_lo, exec_lo, s42
.LBB202_201:                            ;   in Loop: Header=BB202_15 Depth=1
	s_or_b32 exec_lo, exec_lo, s41
.LBB202_202:                            ;   in Loop: Header=BB202_15 Depth=1
	s_or_b32 exec_lo, exec_lo, s40
	s_mov_b32 s40, exec_lo
	v_cmpx_lt_u32_e32 0xffffff, v93
	s_cbranch_execz .LBB202_210
; %bb.203:                              ;   in Loop: Header=BB202_15 Depth=1
	v_mov_b32_e32 v35, v34
	v_mov_b32_e32 v92, v36
	v_cmp_ne_u32_sdwa s1, v93, v115 src0_sel:BYTE_3 src1_sel:DWORD
	v_mov_b32_e32 v91, v35
	s_and_saveexec_b32 s41, s1
	s_cbranch_execz .LBB202_209
; %bb.204:                              ;   in Loop: Header=BB202_15 Depth=1
	v_mov_b32_e32 v37, v34
	v_mov_b32_e32 v92, v38
	v_bfe_u32 v94, v93, 24, 7
	s_mov_b32 s42, exec_lo
	v_mov_b32_e32 v91, v37
	v_cmpx_ne_u32_e32 0x7f, v94
	s_cbranch_execz .LBB202_208
; %bb.205:                              ;   in Loop: Header=BB202_15 Depth=1
	v_and_b32_sdwa v33, v93, v118 dst_sel:DWORD dst_unused:UNUSED_PAD src0_sel:BYTE_3 src1_sel:DWORD
	v_lshrrev_b32_e32 v35, 3, v94
	s_mov_b32 s43, exec_lo
	v_cmpx_gt_u32_e32 8, v94
; %bb.206:                              ;   in Loop: Header=BB202_15 Depth=1
	v_ffbh_u32_e32 v35, v33
	v_min_u32_e32 v35, 32, v35
	v_subrev_nc_u32_e32 v37, 28, v35
	v_sub_nc_u32_e32 v35, 29, v35
	v_lshlrev_b64 v[91:92], v37, v[33:34]
	v_and_b32_e32 v33, 7, v91
; %bb.207:                              ;   in Loop: Header=BB202_15 Depth=1
	s_or_b32 exec_lo, exec_lo, s43
	v_lshlrev_b32_sdwa v37, v119, v93 dst_sel:DWORD dst_unused:UNUSED_PAD src0_sel:DWORD src1_sel:BYTE_3
	v_lshlrev_b32_e32 v33, 20, v33
	v_lshl_add_u32 v35, v35, 23, 0x3c000000
	v_mov_b32_e32 v91, v34
	v_and_b32_e32 v37, 0x80000000, v37
	v_or3_b32 v92, v33, v37, v35
.LBB202_208:                            ;   in Loop: Header=BB202_15 Depth=1
	s_or_b32 exec_lo, exec_lo, s42
.LBB202_209:                            ;   in Loop: Header=BB202_15 Depth=1
	s_or_b32 exec_lo, exec_lo, s41
.LBB202_210:                            ;   in Loop: Header=BB202_15 Depth=1
	s_or_b32 exec_lo, exec_lo, s40
	global_load_dword v101, v[55:56], off offset:520
	v_mov_b32_e32 v95, 0
	v_mov_b32_e32 v93, 0
	;; [unrolled: 1-line block ×4, first 2 shown]
	s_waitcnt vmcnt(0)
	v_cmp_ne_u16_sdwa s1, v101, v34 src0_sel:BYTE_0 src1_sel:DWORD
	s_and_saveexec_b32 s40, s1
	s_cbranch_execz .LBB202_218
; %bb.211:                              ;   in Loop: Header=BB202_15 Depth=1
	v_bfrev_b32_e32 v93, 1
	v_mov_b32_e32 v94, 0
	v_cmp_ne_u16_sdwa s1, v101, v115 src0_sel:BYTE_0 src1_sel:DWORD
	s_and_saveexec_b32 s41, s1
	s_cbranch_execz .LBB202_217
; %bb.212:                              ;   in Loop: Header=BB202_15 Depth=1
	v_mov_b32_e32 v93, 0x7f800001
	v_and_b32_e32 v37, 0x7f, v101
	v_mov_b32_e32 v94, 0
	s_mov_b32 s42, exec_lo
	v_cmpx_ne_u32_e32 0x7f, v37
	s_cbranch_execz .LBB202_216
; %bb.213:                              ;   in Loop: Header=BB202_15 Depth=1
	v_and_b32_e32 v33, 7, v101
	v_lshrrev_b32_e32 v35, 3, v37
	s_mov_b32 s43, exec_lo
	v_cmpx_gt_u32_e32 8, v37
; %bb.214:                              ;   in Loop: Header=BB202_15 Depth=1
	v_ffbh_u32_e32 v35, v33
	v_min_u32_e32 v35, 32, v35
	v_subrev_nc_u32_e32 v37, 28, v35
	v_sub_nc_u32_e32 v35, 29, v35
	v_lshlrev_b64 v[93:94], v37, v[33:34]
	v_and_b32_e32 v33, 7, v93
; %bb.215:                              ;   in Loop: Header=BB202_15 Depth=1
	s_or_b32 exec_lo, exec_lo, s43
	v_lshlrev_b32_e32 v37, 24, v101
	v_lshlrev_b32_e32 v33, 20, v33
	v_lshl_add_u32 v35, v35, 23, 0x3c000000
	v_and_b32_e32 v37, 0x80000000, v37
	v_or3_b32 v33, v33, v37, v35
	v_mov_b32_e32 v94, v34
	v_mov_b32_e32 v93, v33
.LBB202_216:                            ;   in Loop: Header=BB202_15 Depth=1
	s_or_b32 exec_lo, exec_lo, s42
.LBB202_217:                            ;   in Loop: Header=BB202_15 Depth=1
	s_or_b32 exec_lo, exec_lo, s41
.LBB202_218:                            ;   in Loop: Header=BB202_15 Depth=1
	s_or_b32 exec_lo, exec_lo, s40
	v_cmp_ne_u16_sdwa s1, v101, v34 src0_sel:BYTE_1 src1_sel:DWORD
	s_and_saveexec_b32 s40, s1
	s_cbranch_execz .LBB202_226
; %bb.219:                              ;   in Loop: Header=BB202_15 Depth=1
	v_mov_b32_e32 v35, v34
	v_mov_b32_e32 v96, v36
	v_cmp_ne_u16_sdwa s1, v101, v115 src0_sel:BYTE_1 src1_sel:DWORD
	v_mov_b32_e32 v95, v35
	s_and_saveexec_b32 s41, s1
	s_cbranch_execz .LBB202_225
; %bb.220:                              ;   in Loop: Header=BB202_15 Depth=1
	v_and_b32_sdwa v33, v116, v101 dst_sel:DWORD dst_unused:UNUSED_PAD src0_sel:DWORD src1_sel:BYTE_1
	v_mov_b32_e32 v37, v34
	v_mov_b32_e32 v96, v38
	s_mov_b32 s42, exec_lo
	v_and_b32_e32 v97, 0x7f, v33
	v_mov_b32_e32 v95, v37
	v_cmpx_ne_u32_e32 0x7f, v97
	s_cbranch_execz .LBB202_224
; %bb.221:                              ;   in Loop: Header=BB202_15 Depth=1
	v_and_b32_e32 v33, 7, v33
	v_lshrrev_b32_e32 v35, 3, v97
	s_mov_b32 s43, exec_lo
	v_cmpx_gt_u32_e32 8, v97
; %bb.222:                              ;   in Loop: Header=BB202_15 Depth=1
	v_ffbh_u32_e32 v35, v33
	v_min_u32_e32 v35, 32, v35
	v_subrev_nc_u32_e32 v37, 28, v35
	v_sub_nc_u32_e32 v35, 29, v35
	v_lshlrev_b64 v[95:96], v37, v[33:34]
	v_and_b32_e32 v33, 7, v95
; %bb.223:                              ;   in Loop: Header=BB202_15 Depth=1
	s_or_b32 exec_lo, exec_lo, s43
	v_lshlrev_b32_e32 v37, 16, v101
	v_lshlrev_b32_e32 v33, 20, v33
	v_lshl_add_u32 v35, v35, 23, 0x3c000000
	v_mov_b32_e32 v95, v34
	v_and_b32_e32 v37, 0x80000000, v37
	v_or3_b32 v96, v33, v37, v35
.LBB202_224:                            ;   in Loop: Header=BB202_15 Depth=1
	s_or_b32 exec_lo, exec_lo, s42
.LBB202_225:                            ;   in Loop: Header=BB202_15 Depth=1
	s_or_b32 exec_lo, exec_lo, s41
.LBB202_226:                            ;   in Loop: Header=BB202_15 Depth=1
	s_or_b32 exec_lo, exec_lo, s40
	v_mov_b32_e32 v99, 0
	v_mov_b32_e32 v97, 0
	v_and_b32_sdwa v33, v101, v117 dst_sel:DWORD dst_unused:UNUSED_PAD src0_sel:WORD_1 src1_sel:DWORD
	v_mov_b32_e32 v100, 0
	v_mov_b32_e32 v98, 0
	s_mov_b32 s40, exec_lo
	v_cmpx_ne_u16_e32 0, v33
	s_cbranch_execz .LBB202_234
; %bb.227:                              ;   in Loop: Header=BB202_15 Depth=1
	v_bfrev_b32_e32 v97, 1
	v_mov_b32_e32 v98, 0
	s_mov_b32 s41, exec_lo
	v_cmpx_ne_u16_e32 0x80, v33
	s_cbranch_execz .LBB202_233
; %bb.228:                              ;   in Loop: Header=BB202_15 Depth=1
	v_mov_b32_e32 v97, 0x7f800001
	v_bfe_u32 v37, v101, 16, 7
	v_mov_b32_e32 v98, 0
	s_mov_b32 s42, exec_lo
	v_cmpx_ne_u32_e32 0x7f, v37
	s_cbranch_execz .LBB202_232
; %bb.229:                              ;   in Loop: Header=BB202_15 Depth=1
	v_and_b32_sdwa v33, v101, v118 dst_sel:DWORD dst_unused:UNUSED_PAD src0_sel:WORD_1 src1_sel:DWORD
	v_lshrrev_b32_e32 v35, 3, v37
	s_mov_b32 s43, exec_lo
	v_cmpx_gt_u32_e32 8, v37
; %bb.230:                              ;   in Loop: Header=BB202_15 Depth=1
	v_ffbh_u32_e32 v35, v33
	v_min_u32_e32 v35, 32, v35
	v_subrev_nc_u32_e32 v37, 28, v35
	v_sub_nc_u32_e32 v35, 29, v35
	v_lshlrev_b64 v[97:98], v37, v[33:34]
	v_and_b32_e32 v33, 7, v97
; %bb.231:                              ;   in Loop: Header=BB202_15 Depth=1
	s_or_b32 exec_lo, exec_lo, s43
	v_lshlrev_b32_sdwa v37, v119, v101 dst_sel:DWORD dst_unused:UNUSED_PAD src0_sel:DWORD src1_sel:WORD_1
	v_lshlrev_b32_e32 v33, 20, v33
	v_lshl_add_u32 v35, v35, 23, 0x3c000000
	v_and_b32_e32 v37, 0x80000000, v37
	v_or3_b32 v33, v33, v37, v35
	v_mov_b32_e32 v98, v34
	v_mov_b32_e32 v97, v33
.LBB202_232:                            ;   in Loop: Header=BB202_15 Depth=1
	s_or_b32 exec_lo, exec_lo, s42
.LBB202_233:                            ;   in Loop: Header=BB202_15 Depth=1
	s_or_b32 exec_lo, exec_lo, s41
.LBB202_234:                            ;   in Loop: Header=BB202_15 Depth=1
	s_or_b32 exec_lo, exec_lo, s40
	s_mov_b32 s40, exec_lo
	v_cmpx_lt_u32_e32 0xffffff, v101
	s_cbranch_execz .LBB202_242
; %bb.235:                              ;   in Loop: Header=BB202_15 Depth=1
	v_mov_b32_e32 v35, v34
	v_mov_b32_e32 v100, v36
	v_cmp_ne_u32_sdwa s1, v101, v115 src0_sel:BYTE_3 src1_sel:DWORD
	v_mov_b32_e32 v99, v35
	s_and_saveexec_b32 s41, s1
	s_cbranch_execz .LBB202_241
; %bb.236:                              ;   in Loop: Header=BB202_15 Depth=1
	v_mov_b32_e32 v37, v34
	v_mov_b32_e32 v100, v38
	v_bfe_u32 v102, v101, 24, 7
	s_mov_b32 s42, exec_lo
	v_mov_b32_e32 v99, v37
	v_cmpx_ne_u32_e32 0x7f, v102
	s_cbranch_execz .LBB202_240
; %bb.237:                              ;   in Loop: Header=BB202_15 Depth=1
	v_and_b32_sdwa v33, v101, v118 dst_sel:DWORD dst_unused:UNUSED_PAD src0_sel:BYTE_3 src1_sel:DWORD
	v_lshrrev_b32_e32 v35, 3, v102
	s_mov_b32 s43, exec_lo
	v_cmpx_gt_u32_e32 8, v102
; %bb.238:                              ;   in Loop: Header=BB202_15 Depth=1
	v_ffbh_u32_e32 v35, v33
	v_min_u32_e32 v35, 32, v35
	v_subrev_nc_u32_e32 v37, 28, v35
	v_sub_nc_u32_e32 v35, 29, v35
	v_lshlrev_b64 v[99:100], v37, v[33:34]
	v_and_b32_e32 v33, 7, v99
; %bb.239:                              ;   in Loop: Header=BB202_15 Depth=1
	s_or_b32 exec_lo, exec_lo, s43
	v_lshlrev_b32_sdwa v37, v119, v101 dst_sel:DWORD dst_unused:UNUSED_PAD src0_sel:DWORD src1_sel:BYTE_3
	v_lshlrev_b32_e32 v33, 20, v33
	v_lshl_add_u32 v35, v35, 23, 0x3c000000
	v_mov_b32_e32 v99, v34
	v_and_b32_e32 v37, 0x80000000, v37
	v_or3_b32 v100, v33, v37, v35
.LBB202_240:                            ;   in Loop: Header=BB202_15 Depth=1
	s_or_b32 exec_lo, exec_lo, s42
.LBB202_241:                            ;   in Loop: Header=BB202_15 Depth=1
	s_or_b32 exec_lo, exec_lo, s41
.LBB202_242:                            ;   in Loop: Header=BB202_15 Depth=1
	s_or_b32 exec_lo, exec_lo, s40
	global_load_dword v124, v[55:56], off offset:524
	v_mov_b32_e32 v101, 0
	v_mov_b32_e32 v55, 0
	;; [unrolled: 1-line block ×4, first 2 shown]
	s_waitcnt vmcnt(0)
	v_cmp_ne_u16_sdwa s1, v124, v34 src0_sel:BYTE_0 src1_sel:DWORD
	s_and_saveexec_b32 s40, s1
	s_cbranch_execz .LBB202_250
; %bb.243:                              ;   in Loop: Header=BB202_15 Depth=1
	v_bfrev_b32_e32 v55, 1
	v_mov_b32_e32 v56, 0
	v_cmp_ne_u16_sdwa s1, v124, v115 src0_sel:BYTE_0 src1_sel:DWORD
	s_and_saveexec_b32 s41, s1
	s_cbranch_execz .LBB202_249
; %bb.244:                              ;   in Loop: Header=BB202_15 Depth=1
	v_mov_b32_e32 v55, 0x7f800001
	v_and_b32_e32 v37, 0x7f, v124
	v_mov_b32_e32 v56, 0
	s_mov_b32 s42, exec_lo
	v_cmpx_ne_u32_e32 0x7f, v37
	s_cbranch_execz .LBB202_248
; %bb.245:                              ;   in Loop: Header=BB202_15 Depth=1
	v_and_b32_e32 v33, 7, v124
	v_lshrrev_b32_e32 v35, 3, v37
	s_mov_b32 s43, exec_lo
	v_cmpx_gt_u32_e32 8, v37
; %bb.246:                              ;   in Loop: Header=BB202_15 Depth=1
	v_ffbh_u32_e32 v35, v33
	v_min_u32_e32 v35, 32, v35
	v_subrev_nc_u32_e32 v37, 28, v35
	v_sub_nc_u32_e32 v35, 29, v35
	v_lshlrev_b64 v[55:56], v37, v[33:34]
	v_and_b32_e32 v33, 7, v55
; %bb.247:                              ;   in Loop: Header=BB202_15 Depth=1
	s_or_b32 exec_lo, exec_lo, s43
	v_lshlrev_b32_e32 v37, 24, v124
	v_lshlrev_b32_e32 v33, 20, v33
	v_lshl_add_u32 v35, v35, 23, 0x3c000000
	v_and_b32_e32 v37, 0x80000000, v37
	v_or3_b32 v33, v33, v37, v35
	v_mov_b32_e32 v56, v34
	v_mov_b32_e32 v55, v33
.LBB202_248:                            ;   in Loop: Header=BB202_15 Depth=1
	s_or_b32 exec_lo, exec_lo, s42
.LBB202_249:                            ;   in Loop: Header=BB202_15 Depth=1
	s_or_b32 exec_lo, exec_lo, s41
.LBB202_250:                            ;   in Loop: Header=BB202_15 Depth=1
	s_or_b32 exec_lo, exec_lo, s40
	v_cmp_ne_u16_sdwa s1, v124, v34 src0_sel:BYTE_1 src1_sel:DWORD
	s_and_saveexec_b32 s40, s1
	s_cbranch_execz .LBB202_258
; %bb.251:                              ;   in Loop: Header=BB202_15 Depth=1
	v_mov_b32_e32 v35, v34
	v_mov_b32_e32 v102, v36
	v_cmp_ne_u16_sdwa s1, v124, v115 src0_sel:BYTE_1 src1_sel:DWORD
	v_mov_b32_e32 v101, v35
	s_and_saveexec_b32 s41, s1
	s_cbranch_execz .LBB202_257
; %bb.252:                              ;   in Loop: Header=BB202_15 Depth=1
	v_and_b32_sdwa v33, v116, v124 dst_sel:DWORD dst_unused:UNUSED_PAD src0_sel:DWORD src1_sel:BYTE_1
	v_mov_b32_e32 v37, v34
	v_mov_b32_e32 v102, v38
	s_mov_b32 s42, exec_lo
	v_and_b32_e32 v103, 0x7f, v33
	v_mov_b32_e32 v101, v37
	v_cmpx_ne_u32_e32 0x7f, v103
	s_cbranch_execz .LBB202_256
; %bb.253:                              ;   in Loop: Header=BB202_15 Depth=1
	v_and_b32_e32 v33, 7, v33
	v_lshrrev_b32_e32 v35, 3, v103
	s_mov_b32 s43, exec_lo
	v_cmpx_gt_u32_e32 8, v103
; %bb.254:                              ;   in Loop: Header=BB202_15 Depth=1
	v_ffbh_u32_e32 v35, v33
	v_min_u32_e32 v35, 32, v35
	v_subrev_nc_u32_e32 v37, 28, v35
	v_sub_nc_u32_e32 v35, 29, v35
	v_lshlrev_b64 v[101:102], v37, v[33:34]
	v_and_b32_e32 v33, 7, v101
; %bb.255:                              ;   in Loop: Header=BB202_15 Depth=1
	s_or_b32 exec_lo, exec_lo, s43
	v_lshlrev_b32_e32 v37, 16, v124
	v_lshlrev_b32_e32 v33, 20, v33
	v_lshl_add_u32 v35, v35, 23, 0x3c000000
	v_mov_b32_e32 v101, v34
	v_and_b32_e32 v37, 0x80000000, v37
	v_or3_b32 v102, v33, v37, v35
.LBB202_256:                            ;   in Loop: Header=BB202_15 Depth=1
	s_or_b32 exec_lo, exec_lo, s42
.LBB202_257:                            ;   in Loop: Header=BB202_15 Depth=1
	s_or_b32 exec_lo, exec_lo, s41
.LBB202_258:                            ;   in Loop: Header=BB202_15 Depth=1
	s_or_b32 exec_lo, exec_lo, s40
	v_mov_b32_e32 v105, 0
	v_mov_b32_e32 v103, 0
	v_and_b32_sdwa v33, v124, v117 dst_sel:DWORD dst_unused:UNUSED_PAD src0_sel:WORD_1 src1_sel:DWORD
	v_mov_b32_e32 v106, 0
	v_mov_b32_e32 v104, 0
	s_mov_b32 s40, exec_lo
	v_cmpx_ne_u16_e32 0, v33
	s_cbranch_execz .LBB202_266
; %bb.259:                              ;   in Loop: Header=BB202_15 Depth=1
	v_bfrev_b32_e32 v103, 1
	v_mov_b32_e32 v104, 0
	s_mov_b32 s41, exec_lo
	v_cmpx_ne_u16_e32 0x80, v33
	s_cbranch_execz .LBB202_265
; %bb.260:                              ;   in Loop: Header=BB202_15 Depth=1
	v_mov_b32_e32 v103, 0x7f800001
	v_bfe_u32 v37, v124, 16, 7
	v_mov_b32_e32 v104, 0
	s_mov_b32 s42, exec_lo
	v_cmpx_ne_u32_e32 0x7f, v37
	s_cbranch_execz .LBB202_264
; %bb.261:                              ;   in Loop: Header=BB202_15 Depth=1
	v_and_b32_sdwa v33, v124, v118 dst_sel:DWORD dst_unused:UNUSED_PAD src0_sel:WORD_1 src1_sel:DWORD
	v_lshrrev_b32_e32 v35, 3, v37
	s_mov_b32 s43, exec_lo
	v_cmpx_gt_u32_e32 8, v37
; %bb.262:                              ;   in Loop: Header=BB202_15 Depth=1
	v_ffbh_u32_e32 v35, v33
	v_min_u32_e32 v35, 32, v35
	v_subrev_nc_u32_e32 v37, 28, v35
	v_sub_nc_u32_e32 v35, 29, v35
	v_lshlrev_b64 v[103:104], v37, v[33:34]
	v_and_b32_e32 v33, 7, v103
; %bb.263:                              ;   in Loop: Header=BB202_15 Depth=1
	s_or_b32 exec_lo, exec_lo, s43
	v_lshlrev_b32_sdwa v37, v119, v124 dst_sel:DWORD dst_unused:UNUSED_PAD src0_sel:DWORD src1_sel:WORD_1
	v_lshlrev_b32_e32 v33, 20, v33
	v_lshl_add_u32 v35, v35, 23, 0x3c000000
	v_and_b32_e32 v37, 0x80000000, v37
	v_or3_b32 v33, v33, v37, v35
	v_mov_b32_e32 v104, v34
	v_mov_b32_e32 v103, v33
.LBB202_264:                            ;   in Loop: Header=BB202_15 Depth=1
	s_or_b32 exec_lo, exec_lo, s42
.LBB202_265:                            ;   in Loop: Header=BB202_15 Depth=1
	s_or_b32 exec_lo, exec_lo, s41
.LBB202_266:                            ;   in Loop: Header=BB202_15 Depth=1
	s_or_b32 exec_lo, exec_lo, s40
	s_mov_b32 s40, exec_lo
	v_cmpx_lt_u32_e32 0xffffff, v124
	s_cbranch_execz .LBB202_13
; %bb.267:                              ;   in Loop: Header=BB202_15 Depth=1
	v_mov_b32_e32 v35, v34
	v_mov_b32_e32 v106, v36
	v_cmp_ne_u32_sdwa s1, v124, v115 src0_sel:BYTE_3 src1_sel:DWORD
	v_mov_b32_e32 v105, v35
	s_and_saveexec_b32 s41, s1
	s_cbranch_execz .LBB202_12
; %bb.268:                              ;   in Loop: Header=BB202_15 Depth=1
	v_mov_b32_e32 v37, v34
	v_mov_b32_e32 v106, v38
	v_bfe_u32 v125, v124, 24, 7
	s_mov_b32 s42, exec_lo
	v_mov_b32_e32 v105, v37
	v_cmpx_ne_u32_e32 0x7f, v125
	s_cbranch_execz .LBB202_11
; %bb.269:                              ;   in Loop: Header=BB202_15 Depth=1
	v_and_b32_sdwa v33, v124, v118 dst_sel:DWORD dst_unused:UNUSED_PAD src0_sel:BYTE_3 src1_sel:DWORD
	v_lshrrev_b32_e32 v35, 3, v125
	s_mov_b32 s43, exec_lo
	v_cmpx_gt_u32_e32 8, v125
	s_cbranch_execz .LBB202_10
; %bb.270:                              ;   in Loop: Header=BB202_15 Depth=1
	v_ffbh_u32_e32 v35, v33
	v_min_u32_e32 v35, 32, v35
	v_subrev_nc_u32_e32 v37, 28, v35
	v_sub_nc_u32_e32 v35, 29, v35
	v_lshlrev_b64 v[105:106], v37, v[33:34]
	v_and_b32_e32 v33, 7, v105
	s_branch .LBB202_10
.LBB202_271:
	s_or_b32 exec_lo, exec_lo, s37
.LBB202_272:
	s_or_b32 exec_lo, exec_lo, s36
	s_waitcnt lgkmcnt(7)
	v_mbcnt_lo_u32_b32 v2, -1, 0
	s_waitcnt lgkmcnt(6)
	v_max_f32_e32 v5, v112, v112
	v_xor_b32_e32 v1, 16, v2
	v_xor_b32_e32 v4, 8, v2
	v_cmp_gt_i32_e32 vcc_lo, 32, v1
	v_cndmask_b32_e32 v1, v2, v1, vcc_lo
	v_cmp_gt_i32_e32 vcc_lo, 32, v4
	v_lshlrev_b32_e32 v1, 2, v1
	v_cndmask_b32_e32 v4, v2, v4, vcc_lo
	ds_bpermute_b32 v3, v1, v112
	s_waitcnt lgkmcnt(0)
	v_max_f32_e32 v6, v3, v3
	v_lshlrev_b32_e32 v3, 2, v4
	v_max_f32_e32 v4, v5, v6
	v_xor_b32_e32 v6, 4, v2
	ds_bpermute_b32 v5, v3, v4
	v_cmp_gt_i32_e32 vcc_lo, 32, v6
	v_cndmask_b32_e32 v6, v2, v6, vcc_lo
	v_lshlrev_b32_e32 v27, 2, v6
	v_xor_b32_e32 v6, 2, v2
	v_cmp_gt_i32_e32 vcc_lo, 32, v6
	s_waitcnt lgkmcnt(0)
	v_max_f32_e32 v5, v5, v5
	v_cndmask_b32_e32 v6, v2, v6, vcc_lo
	v_max_f32_e32 v4, v4, v5
	v_lshlrev_b32_e32 v26, 2, v6
	v_xor_b32_e32 v6, 1, v2
	ds_bpermute_b32 v5, v27, v4
	v_cmp_gt_i32_e32 vcc_lo, 32, v6
	v_cndmask_b32_e32 v6, v2, v6, vcc_lo
	v_cmp_eq_u32_e32 vcc_lo, 0, v108
	v_lshlrev_b32_e32 v25, 2, v6
	s_waitcnt lgkmcnt(0)
	v_max_f32_e32 v5, v5, v5
	v_max_f32_e32 v4, v4, v5
	ds_bpermute_b32 v5, v26, v4
	s_waitcnt lgkmcnt(0)
	v_max_f32_e32 v5, v5, v5
	v_max_f32_e32 v2, v4, v5
	v_lshlrev_b32_e32 v4, 2, v107
	ds_bpermute_b32 v5, v25, v2
	s_and_saveexec_b32 s1, vcc_lo
	s_cbranch_execz .LBB202_274
; %bb.273:
	s_waitcnt lgkmcnt(0)
	v_max_f32_e32 v5, v5, v5
	v_max_f32_e32 v2, v2, v2
	;; [unrolled: 1-line block ×3, first 2 shown]
	ds_write_b32 v4, v2 offset:128
.LBB202_274:
	s_or_b32 exec_lo, exec_lo, s1
	v_cmp_gt_u32_e64 s1, 4, v108
	v_mov_b32_e32 v2, 0xff7fffff
	s_waitcnt lgkmcnt(0)
	s_barrier
	buffer_gl0_inv
	s_and_saveexec_b32 s2, s1
; %bb.275:
	ds_read_b32 v2, v111 offset:128
; %bb.276:
	s_or_b32 exec_lo, exec_lo, s2
	s_waitcnt lgkmcnt(0)
	ds_bpermute_b32 v5, v26, v2
	v_max_f32_e32 v2, v2, v2
	s_lshl_b32 s2, s20, 5
	s_min_i32 s4, s2, s33
	v_cmp_gt_i32_e64 s2, s4, v0
	s_waitcnt lgkmcnt(0)
	v_max_f32_e32 v5, v5, v5
	v_max_f32_e32 v2, v2, v5
	ds_bpermute_b32 v5, v25, v2
	s_waitcnt lgkmcnt(0)
	v_max_f32_e32 v5, v5, v5
	v_max_f32_e32 v2, v2, v5
	v_mov_b32_e32 v5, 0
	ds_bpermute_b32 v6, v5, v2
	v_lshl_add_u32 v2, v0, 2, 0xa0
	s_and_saveexec_b32 s5, s2
	s_cbranch_execz .LBB202_280
; %bb.277:
	v_lshl_add_u32 v7, v0, 2, 0xa0
	v_mov_b32_e32 v5, 0
	v_mov_b32_e32 v8, v0
	s_mov_b32 s12, 0
	.p2align	6
.LBB202_278:                            ; =>This Inner Loop Header: Depth=1
	ds_read_b32 v9, v7
	v_add_nc_u32_e32 v8, 0x80, v8
	v_cmp_le_i32_e64 s3, s4, v8
	s_or_b32 s12, s3, s12
	s_waitcnt lgkmcnt(0)
	v_sub_f32_e32 v9, v9, v6
	v_mul_f32_e32 v9, 0x3fb8aa3b, v9
	v_exp_f32_e32 v9, v9
	ds_write_b32 v7, v9
	v_add_f32_e32 v5, v5, v9
	v_add_nc_u32_e32 v7, 0x200, v7
	s_andn2_b32 exec_lo, exec_lo, s12
	s_cbranch_execnz .LBB202_278
; %bb.279:
	s_or_b32 exec_lo, exec_lo, s12
.LBB202_280:
	s_or_b32 exec_lo, exec_lo, s5
	ds_bpermute_b32 v1, v1, v5
	s_waitcnt lgkmcnt(0)
	v_add_f32_e32 v1, v5, v1
	ds_bpermute_b32 v3, v3, v1
	s_waitcnt lgkmcnt(0)
	v_add_f32_e32 v1, v1, v3
	;; [unrolled: 3-line block ×5, first 2 shown]
	s_and_saveexec_b32 s3, vcc_lo
; %bb.281:
	ds_write_b32 v4, v1 offset:144
; %bb.282:
	s_or_b32 exec_lo, exec_lo, s3
	s_waitcnt lgkmcnt(0)
	s_barrier
	buffer_gl0_inv
	s_and_saveexec_b32 s3, s1
; %bb.283:
	ds_read_b32 v1, v111 offset:144
; %bb.284:
	s_or_b32 exec_lo, exec_lo, s3
	s_waitcnt lgkmcnt(0)
	ds_bpermute_b32 v3, v26, v1
	s_waitcnt lgkmcnt(0)
	v_add_f32_e32 v1, v1, v3
	ds_bpermute_b32 v3, v25, v1
	s_waitcnt lgkmcnt(0)
	v_add_f32_e32 v1, v1, v3
	v_mov_b32_e32 v3, 0
	ds_bpermute_b32 v1, v3, v1
	s_and_saveexec_b32 s1, s2
	s_cbranch_execz .LBB202_287
; %bb.285:
	s_waitcnt lgkmcnt(0)
	v_add_f32_e32 v1, 0x358637bd, v1
	s_mov_b32 s2, 0
	v_div_scale_f32 v3, null, v1, v1, 1.0
	v_div_scale_f32 v6, vcc_lo, 1.0, v1, 1.0
	v_rcp_f32_e32 v4, v3
	v_fma_f32 v5, -v3, v4, 1.0
	v_fmac_f32_e32 v4, v5, v4
	v_mul_f32_e32 v5, v6, v4
	v_fma_f32 v7, -v3, v5, v6
	v_fmac_f32_e32 v5, v7, v4
	v_fma_f32 v3, -v3, v5, v6
	v_div_fmas_f32 v3, v3, v4, v5
	v_div_fixup_f32 v1, v3, v1, 1.0
	v_mov_b32_e32 v3, v0
.LBB202_286:                            ; =>This Inner Loop Header: Depth=1
	ds_read_b32 v4, v2
	v_add_nc_u32_e32 v3, 0x80, v3
	v_cmp_le_i32_e32 vcc_lo, s4, v3
	s_or_b32 s2, vcc_lo, s2
	s_waitcnt lgkmcnt(0)
	v_mul_f32_e32 v4, v1, v4
	ds_write_b32 v2, v4
	v_add_nc_u32_e32 v2, 0x200, v2
	s_andn2_b32 exec_lo, exec_lo, s2
	s_cbranch_execnz .LBB202_286
.LBB202_287:
	s_or_b32 exec_lo, exec_lo, s1
	v_mov_b32_e32 v35, 0
	v_and_b32_e32 v28, 7, v0
	v_mov_b32_e32 v36, 0
	v_mov_b32_e32 v34, 0
	;; [unrolled: 1-line block ×7, first 2 shown]
	s_waitcnt lgkmcnt(0)
	s_barrier
	buffer_gl0_inv
	s_and_saveexec_b32 s1, s0
	s_cbranch_execz .LBB202_565
; %bb.288:
	s_sub_i32 s2, s34, s21
	s_ashr_i32 s0, s18, 31
	s_add_u32 s5, s30, s18
	s_addc_u32 s0, s31, s0
	s_abs_i32 s3, s22
	v_lshlrev_b32_e32 v2, 2, v0
	v_cvt_f32_u32_e32 v1, s3
	s_sub_i32 s4, 0, s3
	v_lshlrev_b32_e32 v4, 4, v28
	v_and_b32_e32 v3, 0x7c, v110
	v_and_b32_e32 v42, 28, v2
	v_rcp_iflag_f32_e32 v1, v1
	v_and_b32_e32 v2, 0x7c, v2
	s_lshl_b64 s[12:13], s[28:29], 2
	v_lshl_or_b32 v4, v107, 7, v4
	v_mov_b32_e32 v6, 0
	v_mov_b32_e32 v37, 0x80
	v_add_co_u32 v13, s5, s5, v2
	v_bfrev_b32_e32 v8, 1
	v_mov_b32_e32 v38, 0xffff
	v_mul_f32_e32 v1, 0x4f7ffffe, v1
	v_mov_b32_e32 v10, 0x7f800001
	v_mov_b32_e32 v39, 0xff
	;; [unrolled: 1-line block ×4, first 2 shown]
	v_cvt_u32_f32_e32 v1, v1
	v_mov_b32_e32 v29, 0
	v_mov_b32_e32 v30, 0
	;; [unrolled: 1-line block ×4, first 2 shown]
	v_mul_lo_u32 v5, s4, v1
	s_add_i32 s4, s20, -1
	s_add_u32 s12, s26, s12
	s_addc_u32 s13, s27, s13
	v_add_co_u32 v11, s12, s12, v3
	v_mov_b32_e32 v33, 0
	v_mov_b32_e32 v34, 0
	v_mul_hi_u32 v5, v1, v5
	v_add_co_ci_u32_e64 v12, null, s13, 0, s12
	v_add_co_ci_u32_e64 v14, null, s0, 0, s5
	v_add_nc_u32_e32 v43, 0xa0, v4
	v_mov_b32_e32 v36, 0
	v_mov_b32_e32 v35, 0
	v_add_nc_u32_e32 v44, v1, v5
	v_mov_b32_e32 v45, v107
	s_mov_b32 s12, s17
	s_mov_b32 s5, 0
	s_branch .LBB202_291
.LBB202_289:                            ;   in Loop: Header=BB202_291 Depth=1
	s_or_b32 exec_lo, exec_lo, s0
	v_mul_f32_e32 v16, v1, v75
	v_mul_f32_e32 v17, v1, v73
	;; [unrolled: 1-line block ×8, first 2 shown]
	v_fmac_f32_e32 v16, v2, v74
	v_fmac_f32_e32 v17, v2, v72
	;; [unrolled: 1-line block ×24, first 2 shown]
	v_add_f32_e32 v30, v30, v16
	v_add_f32_e32 v31, v31, v17
	v_add_f32_e32 v32, v32, v18
	v_add_f32_e32 v33, v33, v19
	v_add_f32_e32 v34, v34, v20
	v_add_f32_e32 v36, v36, v21
	v_add_f32_e32 v35, v35, v22
	v_add_f32_e32 v29, v29, v1
.LBB202_290:                            ;   in Loop: Header=BB202_291 Depth=1
	s_or_b32 exec_lo, exec_lo, s13
	v_add_nc_u32_e32 v45, 4, v45
	v_add_co_u32 v11, s0, v11, 16
	v_add_co_ci_u32_e64 v12, null, 0, v12, s0
	v_cmp_le_i32_e32 vcc_lo, s20, v45
	v_add_nc_u32_e32 v109, 0x80, v109
	v_add_nc_u32_e32 v43, 0x200, v43
	s_or_b32 s5, vcc_lo, s5
	s_andn2_b32 exec_lo, exec_lo, s5
	s_cbranch_execz .LBB202_564
.LBB202_291:                            ; =>This Inner Loop Header: Depth=1
	v_mul_hi_u32 v1, v109, s19
	v_mul_lo_u32 v2, v1, s16
	v_add_nc_u32_e32 v3, 1, v1
	v_sub_nc_u32_e32 v2, v109, v2
	v_subrev_nc_u32_e32 v4, s16, v2
	v_cmp_le_u32_e32 vcc_lo, s16, v2
	v_cndmask_b32_e32 v1, v1, v3, vcc_lo
	v_cndmask_b32_e32 v2, v2, v4, vcc_lo
	v_add_nc_u32_e32 v3, 1, v1
	v_cmp_le_u32_e32 vcc_lo, s16, v2
	v_cndmask_b32_e32 v1, v1, v3, vcc_lo
	v_xor_b32_e32 v1, s23, v1
	v_subrev_nc_u32_e32 v1, s23, v1
	v_add_nc_u32_e32 v2, s25, v1
	v_cmp_lt_i32_e64 s0, s2, v1
	v_sub_nc_u32_e32 v3, 0, v2
	v_max_i32_e32 v3, v2, v3
	v_ashrrev_i32_e32 v2, 31, v2
	v_mul_hi_u32 v4, v3, v44
	v_mul_lo_u32 v4, v4, s3
	v_sub_nc_u32_e32 v3, v3, v4
	v_subrev_nc_u32_e32 v4, s3, v3
	v_cmp_le_u32_e32 vcc_lo, s3, v3
	v_cndmask_b32_e32 v3, v3, v4, vcc_lo
	v_subrev_nc_u32_e32 v4, s3, v3
	v_cmp_le_u32_e32 vcc_lo, s3, v3
	v_cndmask_b32_e32 v3, v3, v4, vcc_lo
	v_xor_b32_e32 v3, v3, v2
	v_sub_nc_u32_e32 v2, v3, v2
	v_cmp_eq_u32_e32 vcc_lo, 0, v2
	s_or_b32 s0, vcc_lo, s0
	s_and_saveexec_b32 s13, s0
	s_cbranch_execz .LBB202_290
; %bb.292:                              ;   in Loop: Header=BB202_291 Depth=1
	global_load_dword v1, v[11:12], off
	s_load_dword s17, s[14:15], 0x0
	v_mov_b32_e32 v19, 0
	v_mov_b32_e32 v17, 0
	;; [unrolled: 1-line block ×4, first 2 shown]
	s_waitcnt vmcnt(0)
	v_mad_i64_i32 v[15:16], null, v1, s12, v[13:14]
	ds_read_b128 v[1:4], v43
	global_load_dword v46, v[15:16], off
	s_waitcnt vmcnt(0)
	v_cmp_ne_u16_sdwa s18, v46, v6 src0_sel:BYTE_0 src1_sel:DWORD
	s_and_saveexec_b32 s0, s18
	s_cbranch_execz .LBB202_300
; %bb.293:                              ;   in Loop: Header=BB202_291 Depth=1
	v_bfrev_b32_e32 v17, 1
	v_mov_b32_e32 v18, 0
	v_cmp_ne_u16_sdwa s21, v46, v37 src0_sel:BYTE_0 src1_sel:DWORD
	s_and_saveexec_b32 s18, s21
	s_cbranch_execz .LBB202_299
; %bb.294:                              ;   in Loop: Header=BB202_291 Depth=1
	v_mov_b32_e32 v17, 0x7f800001
	v_and_b32_e32 v9, 0x7f, v46
	v_mov_b32_e32 v18, 0
	s_mov_b32 s21, exec_lo
	v_cmpx_ne_u32_e32 0x7f, v9
	s_cbranch_execz .LBB202_298
; %bb.295:                              ;   in Loop: Header=BB202_291 Depth=1
	v_and_b32_e32 v5, 7, v46
	v_lshrrev_b32_e32 v7, 3, v9
	s_mov_b32 s22, exec_lo
	v_cmpx_gt_u32_e32 8, v9
; %bb.296:                              ;   in Loop: Header=BB202_291 Depth=1
	v_ffbh_u32_e32 v7, v5
	v_min_u32_e32 v7, 32, v7
	v_subrev_nc_u32_e32 v9, 28, v7
	v_sub_nc_u32_e32 v7, 29, v7
	v_lshlrev_b64 v[17:18], v9, v[5:6]
	v_and_b32_e32 v5, 7, v17
; %bb.297:                              ;   in Loop: Header=BB202_291 Depth=1
	s_or_b32 exec_lo, exec_lo, s22
	v_lshlrev_b32_e32 v9, 24, v46
	v_lshlrev_b32_e32 v5, 20, v5
	v_lshl_add_u32 v7, v7, 23, 0x3c000000
	v_and_b32_e32 v9, 0x80000000, v9
	v_or3_b32 v5, v5, v9, v7
	v_mov_b32_e32 v18, v6
	v_mov_b32_e32 v17, v5
.LBB202_298:                            ;   in Loop: Header=BB202_291 Depth=1
	s_or_b32 exec_lo, exec_lo, s21
.LBB202_299:                            ;   in Loop: Header=BB202_291 Depth=1
	s_or_b32 exec_lo, exec_lo, s18
.LBB202_300:                            ;   in Loop: Header=BB202_291 Depth=1
	s_or_b32 exec_lo, exec_lo, s0
	v_cmp_ne_u16_sdwa s18, v46, v6 src0_sel:BYTE_1 src1_sel:DWORD
	s_and_saveexec_b32 s0, s18
	s_cbranch_execz .LBB202_308
; %bb.301:                              ;   in Loop: Header=BB202_291 Depth=1
	v_mov_b32_e32 v7, v6
	v_mov_b32_e32 v20, v8
	v_cmp_ne_u16_sdwa s21, v46, v37 src0_sel:BYTE_1 src1_sel:DWORD
	v_mov_b32_e32 v19, v7
	s_and_saveexec_b32 s18, s21
	s_cbranch_execz .LBB202_307
; %bb.302:                              ;   in Loop: Header=BB202_291 Depth=1
	v_and_b32_sdwa v5, v38, v46 dst_sel:DWORD dst_unused:UNUSED_PAD src0_sel:DWORD src1_sel:BYTE_1
	v_mov_b32_e32 v9, v6
	v_mov_b32_e32 v20, v10
	s_mov_b32 s21, exec_lo
	v_and_b32_e32 v21, 0x7f, v5
	v_mov_b32_e32 v19, v9
	v_cmpx_ne_u32_e32 0x7f, v21
	s_cbranch_execz .LBB202_306
; %bb.303:                              ;   in Loop: Header=BB202_291 Depth=1
	v_and_b32_e32 v5, 7, v5
	v_lshrrev_b32_e32 v7, 3, v21
	s_mov_b32 s22, exec_lo
	v_cmpx_gt_u32_e32 8, v21
; %bb.304:                              ;   in Loop: Header=BB202_291 Depth=1
	v_ffbh_u32_e32 v7, v5
	v_min_u32_e32 v7, 32, v7
	v_subrev_nc_u32_e32 v9, 28, v7
	v_sub_nc_u32_e32 v7, 29, v7
	v_lshlrev_b64 v[19:20], v9, v[5:6]
	v_and_b32_e32 v5, 7, v19
; %bb.305:                              ;   in Loop: Header=BB202_291 Depth=1
	s_or_b32 exec_lo, exec_lo, s22
	v_lshlrev_b32_e32 v9, 16, v46
	v_lshlrev_b32_e32 v5, 20, v5
	v_lshl_add_u32 v7, v7, 23, 0x3c000000
	v_mov_b32_e32 v19, v6
	v_and_b32_e32 v9, 0x80000000, v9
	v_or3_b32 v20, v5, v9, v7
.LBB202_306:                            ;   in Loop: Header=BB202_291 Depth=1
	s_or_b32 exec_lo, exec_lo, s21
.LBB202_307:                            ;   in Loop: Header=BB202_291 Depth=1
	s_or_b32 exec_lo, exec_lo, s18
.LBB202_308:                            ;   in Loop: Header=BB202_291 Depth=1
	s_or_b32 exec_lo, exec_lo, s0
	v_mov_b32_e32 v23, 0
	v_mov_b32_e32 v21, 0
	v_and_b32_sdwa v5, v46, v39 dst_sel:DWORD dst_unused:UNUSED_PAD src0_sel:WORD_1 src1_sel:DWORD
	v_mov_b32_e32 v24, 0
	v_mov_b32_e32 v22, 0
	s_mov_b32 s0, exec_lo
	v_cmpx_ne_u16_e32 0, v5
	s_cbranch_execz .LBB202_316
; %bb.309:                              ;   in Loop: Header=BB202_291 Depth=1
	v_bfrev_b32_e32 v21, 1
	v_mov_b32_e32 v22, 0
	s_mov_b32 s18, exec_lo
	v_cmpx_ne_u16_e32 0x80, v5
	s_cbranch_execz .LBB202_315
; %bb.310:                              ;   in Loop: Header=BB202_291 Depth=1
	v_mov_b32_e32 v21, 0x7f800001
	v_bfe_u32 v9, v46, 16, 7
	v_mov_b32_e32 v22, 0
	s_mov_b32 s21, exec_lo
	v_cmpx_ne_u32_e32 0x7f, v9
	s_cbranch_execz .LBB202_314
; %bb.311:                              ;   in Loop: Header=BB202_291 Depth=1
	v_and_b32_sdwa v5, v46, v40 dst_sel:DWORD dst_unused:UNUSED_PAD src0_sel:WORD_1 src1_sel:DWORD
	v_lshrrev_b32_e32 v7, 3, v9
	s_mov_b32 s22, exec_lo
	v_cmpx_gt_u32_e32 8, v9
; %bb.312:                              ;   in Loop: Header=BB202_291 Depth=1
	v_ffbh_u32_e32 v7, v5
	v_min_u32_e32 v7, 32, v7
	v_subrev_nc_u32_e32 v9, 28, v7
	v_sub_nc_u32_e32 v7, 29, v7
	v_lshlrev_b64 v[21:22], v9, v[5:6]
	v_and_b32_e32 v5, 7, v21
; %bb.313:                              ;   in Loop: Header=BB202_291 Depth=1
	s_or_b32 exec_lo, exec_lo, s22
	v_lshlrev_b32_sdwa v9, v41, v46 dst_sel:DWORD dst_unused:UNUSED_PAD src0_sel:DWORD src1_sel:WORD_1
	v_lshlrev_b32_e32 v5, 20, v5
	v_lshl_add_u32 v7, v7, 23, 0x3c000000
	v_and_b32_e32 v9, 0x80000000, v9
	v_or3_b32 v5, v5, v9, v7
	v_mov_b32_e32 v22, v6
	v_mov_b32_e32 v21, v5
.LBB202_314:                            ;   in Loop: Header=BB202_291 Depth=1
	s_or_b32 exec_lo, exec_lo, s21
.LBB202_315:                            ;   in Loop: Header=BB202_291 Depth=1
	s_or_b32 exec_lo, exec_lo, s18
.LBB202_316:                            ;   in Loop: Header=BB202_291 Depth=1
	s_or_b32 exec_lo, exec_lo, s0
	s_mov_b32 s0, exec_lo
	v_cmpx_lt_u32_e32 0xffffff, v46
	s_cbranch_execz .LBB202_324
; %bb.317:                              ;   in Loop: Header=BB202_291 Depth=1
	v_mov_b32_e32 v7, v6
	v_mov_b32_e32 v24, v8
	v_cmp_ne_u32_sdwa s21, v46, v37 src0_sel:BYTE_3 src1_sel:DWORD
	v_mov_b32_e32 v23, v7
	s_and_saveexec_b32 s18, s21
	s_cbranch_execz .LBB202_323
; %bb.318:                              ;   in Loop: Header=BB202_291 Depth=1
	v_mov_b32_e32 v9, v6
	v_mov_b32_e32 v24, v10
	v_bfe_u32 v47, v46, 24, 7
	s_mov_b32 s21, exec_lo
	v_mov_b32_e32 v23, v9
	v_cmpx_ne_u32_e32 0x7f, v47
	s_cbranch_execz .LBB202_322
; %bb.319:                              ;   in Loop: Header=BB202_291 Depth=1
	v_and_b32_sdwa v5, v46, v40 dst_sel:DWORD dst_unused:UNUSED_PAD src0_sel:BYTE_3 src1_sel:DWORD
	v_lshrrev_b32_e32 v7, 3, v47
	s_mov_b32 s22, exec_lo
	v_cmpx_gt_u32_e32 8, v47
; %bb.320:                              ;   in Loop: Header=BB202_291 Depth=1
	v_ffbh_u32_e32 v7, v5
	v_min_u32_e32 v7, 32, v7
	v_subrev_nc_u32_e32 v9, 28, v7
	v_sub_nc_u32_e32 v7, 29, v7
	v_lshlrev_b64 v[23:24], v9, v[5:6]
	v_and_b32_e32 v5, 7, v23
; %bb.321:                              ;   in Loop: Header=BB202_291 Depth=1
	s_or_b32 exec_lo, exec_lo, s22
	v_lshlrev_b32_sdwa v9, v41, v46 dst_sel:DWORD dst_unused:UNUSED_PAD src0_sel:DWORD src1_sel:BYTE_3
	v_lshlrev_b32_e32 v5, 20, v5
	v_lshl_add_u32 v7, v7, 23, 0x3c000000
	v_mov_b32_e32 v23, v6
	v_and_b32_e32 v9, 0x80000000, v9
	v_or3_b32 v24, v5, v9, v7
.LBB202_322:                            ;   in Loop: Header=BB202_291 Depth=1
	s_or_b32 exec_lo, exec_lo, s21
.LBB202_323:                            ;   in Loop: Header=BB202_291 Depth=1
	s_or_b32 exec_lo, exec_lo, s18
.LBB202_324:                            ;   in Loop: Header=BB202_291 Depth=1
	s_or_b32 exec_lo, exec_lo, s0
	v_add_nc_u32_e32 v50, v42, v109
	v_or_b32_e32 v5, v20, v18
	v_or_b32_e32 v7, v19, v17
	;; [unrolled: 1-line block ×4, first 2 shown]
	v_cmp_eq_u32_e32 vcc_lo, s4, v45
	s_waitcnt lgkmcnt(0)
	v_mul_f32_e32 v48, s17, v5
	v_mul_f32_e32 v49, s17, v7
	;; [unrolled: 1-line block ×4, first 2 shown]
	v_add_nc_u32_e32 v53, 1, v50
	v_add_nc_u32_e32 v52, 2, v50
	;; [unrolled: 1-line block ×3, first 2 shown]
	s_and_saveexec_b32 s18, vcc_lo
	s_cbranch_execz .LBB202_326
; %bb.325:                              ;   in Loop: Header=BB202_291 Depth=1
	v_cmp_gt_i32_e64 s0, s33, v50
	v_cndmask_b32_e64 v49, 0, v49, s0
	v_cmp_gt_i32_e64 s0, s33, v53
	v_cndmask_b32_e64 v48, 0, v48, s0
	;; [unrolled: 2-line block ×4, first 2 shown]
.LBB202_326:                            ;   in Loop: Header=BB202_291 Depth=1
	s_or_b32 exec_lo, exec_lo, s18
	global_load_dword v54, v[15:16], off offset:128
	v_mov_b32_e32 v19, 0
	v_mov_b32_e32 v17, 0
	;; [unrolled: 1-line block ×4, first 2 shown]
	s_waitcnt vmcnt(0)
	v_cmp_ne_u16_sdwa s0, v54, v6 src0_sel:BYTE_0 src1_sel:DWORD
	s_and_saveexec_b32 s18, s0
	s_cbranch_execz .LBB202_334
; %bb.327:                              ;   in Loop: Header=BB202_291 Depth=1
	v_bfrev_b32_e32 v17, 1
	v_mov_b32_e32 v18, 0
	v_cmp_ne_u16_sdwa s0, v54, v37 src0_sel:BYTE_0 src1_sel:DWORD
	s_and_saveexec_b32 s21, s0
	s_cbranch_execz .LBB202_333
; %bb.328:                              ;   in Loop: Header=BB202_291 Depth=1
	v_mov_b32_e32 v17, 0x7f800001
	v_and_b32_e32 v9, 0x7f, v54
	v_mov_b32_e32 v18, 0
	s_mov_b32 s22, exec_lo
	v_cmpx_ne_u32_e32 0x7f, v9
	s_cbranch_execz .LBB202_332
; %bb.329:                              ;   in Loop: Header=BB202_291 Depth=1
	v_and_b32_e32 v5, 7, v54
	v_lshrrev_b32_e32 v7, 3, v9
	s_mov_b32 s26, exec_lo
	v_cmpx_gt_u32_e32 8, v9
; %bb.330:                              ;   in Loop: Header=BB202_291 Depth=1
	v_ffbh_u32_e32 v7, v5
	v_min_u32_e32 v7, 32, v7
	v_subrev_nc_u32_e32 v9, 28, v7
	v_sub_nc_u32_e32 v7, 29, v7
	v_lshlrev_b64 v[17:18], v9, v[5:6]
	v_and_b32_e32 v5, 7, v17
; %bb.331:                              ;   in Loop: Header=BB202_291 Depth=1
	s_or_b32 exec_lo, exec_lo, s26
	v_lshlrev_b32_e32 v9, 24, v54
	v_lshlrev_b32_e32 v5, 20, v5
	v_lshl_add_u32 v7, v7, 23, 0x3c000000
	v_and_b32_e32 v9, 0x80000000, v9
	v_or3_b32 v5, v5, v9, v7
	v_mov_b32_e32 v18, v6
	v_mov_b32_e32 v17, v5
.LBB202_332:                            ;   in Loop: Header=BB202_291 Depth=1
	s_or_b32 exec_lo, exec_lo, s22
.LBB202_333:                            ;   in Loop: Header=BB202_291 Depth=1
	s_or_b32 exec_lo, exec_lo, s21
.LBB202_334:                            ;   in Loop: Header=BB202_291 Depth=1
	s_or_b32 exec_lo, exec_lo, s18
	v_cmp_ne_u16_sdwa s0, v54, v6 src0_sel:BYTE_1 src1_sel:DWORD
	s_and_saveexec_b32 s18, s0
	s_cbranch_execz .LBB202_342
; %bb.335:                              ;   in Loop: Header=BB202_291 Depth=1
	v_mov_b32_e32 v7, v6
	v_mov_b32_e32 v20, v8
	v_cmp_ne_u16_sdwa s0, v54, v37 src0_sel:BYTE_1 src1_sel:DWORD
	v_mov_b32_e32 v19, v7
	s_and_saveexec_b32 s21, s0
	s_cbranch_execz .LBB202_341
; %bb.336:                              ;   in Loop: Header=BB202_291 Depth=1
	v_and_b32_sdwa v5, v38, v54 dst_sel:DWORD dst_unused:UNUSED_PAD src0_sel:DWORD src1_sel:BYTE_1
	v_mov_b32_e32 v9, v6
	v_mov_b32_e32 v20, v10
	s_mov_b32 s22, exec_lo
	v_and_b32_e32 v21, 0x7f, v5
	v_mov_b32_e32 v19, v9
	v_cmpx_ne_u32_e32 0x7f, v21
	s_cbranch_execz .LBB202_340
; %bb.337:                              ;   in Loop: Header=BB202_291 Depth=1
	v_and_b32_e32 v5, 7, v5
	v_lshrrev_b32_e32 v7, 3, v21
	s_mov_b32 s26, exec_lo
	v_cmpx_gt_u32_e32 8, v21
; %bb.338:                              ;   in Loop: Header=BB202_291 Depth=1
	v_ffbh_u32_e32 v7, v5
	v_min_u32_e32 v7, 32, v7
	v_subrev_nc_u32_e32 v9, 28, v7
	v_sub_nc_u32_e32 v7, 29, v7
	v_lshlrev_b64 v[19:20], v9, v[5:6]
	v_and_b32_e32 v5, 7, v19
; %bb.339:                              ;   in Loop: Header=BB202_291 Depth=1
	s_or_b32 exec_lo, exec_lo, s26
	v_lshlrev_b32_e32 v9, 16, v54
	v_lshlrev_b32_e32 v5, 20, v5
	v_lshl_add_u32 v7, v7, 23, 0x3c000000
	v_mov_b32_e32 v19, v6
	v_and_b32_e32 v9, 0x80000000, v9
	v_or3_b32 v20, v5, v9, v7
.LBB202_340:                            ;   in Loop: Header=BB202_291 Depth=1
	s_or_b32 exec_lo, exec_lo, s22
.LBB202_341:                            ;   in Loop: Header=BB202_291 Depth=1
	s_or_b32 exec_lo, exec_lo, s21
.LBB202_342:                            ;   in Loop: Header=BB202_291 Depth=1
	s_or_b32 exec_lo, exec_lo, s18
	v_mov_b32_e32 v23, 0
	v_mov_b32_e32 v21, 0
	v_and_b32_sdwa v5, v54, v39 dst_sel:DWORD dst_unused:UNUSED_PAD src0_sel:WORD_1 src1_sel:DWORD
	v_mov_b32_e32 v24, 0
	v_mov_b32_e32 v22, 0
	s_mov_b32 s18, exec_lo
	v_cmpx_ne_u16_e32 0, v5
	s_cbranch_execz .LBB202_350
; %bb.343:                              ;   in Loop: Header=BB202_291 Depth=1
	v_bfrev_b32_e32 v21, 1
	v_mov_b32_e32 v22, 0
	s_mov_b32 s21, exec_lo
	v_cmpx_ne_u16_e32 0x80, v5
	s_cbranch_execz .LBB202_349
; %bb.344:                              ;   in Loop: Header=BB202_291 Depth=1
	v_mov_b32_e32 v21, 0x7f800001
	v_bfe_u32 v9, v54, 16, 7
	v_mov_b32_e32 v22, 0
	s_mov_b32 s22, exec_lo
	v_cmpx_ne_u32_e32 0x7f, v9
	s_cbranch_execz .LBB202_348
; %bb.345:                              ;   in Loop: Header=BB202_291 Depth=1
	v_and_b32_sdwa v5, v54, v40 dst_sel:DWORD dst_unused:UNUSED_PAD src0_sel:WORD_1 src1_sel:DWORD
	v_lshrrev_b32_e32 v7, 3, v9
	s_mov_b32 s26, exec_lo
	v_cmpx_gt_u32_e32 8, v9
; %bb.346:                              ;   in Loop: Header=BB202_291 Depth=1
	v_ffbh_u32_e32 v7, v5
	v_min_u32_e32 v7, 32, v7
	v_subrev_nc_u32_e32 v9, 28, v7
	v_sub_nc_u32_e32 v7, 29, v7
	v_lshlrev_b64 v[21:22], v9, v[5:6]
	v_and_b32_e32 v5, 7, v21
; %bb.347:                              ;   in Loop: Header=BB202_291 Depth=1
	s_or_b32 exec_lo, exec_lo, s26
	v_lshlrev_b32_sdwa v9, v41, v54 dst_sel:DWORD dst_unused:UNUSED_PAD src0_sel:DWORD src1_sel:WORD_1
	v_lshlrev_b32_e32 v5, 20, v5
	v_lshl_add_u32 v7, v7, 23, 0x3c000000
	v_and_b32_e32 v9, 0x80000000, v9
	v_or3_b32 v5, v5, v9, v7
	v_mov_b32_e32 v22, v6
	v_mov_b32_e32 v21, v5
.LBB202_348:                            ;   in Loop: Header=BB202_291 Depth=1
	s_or_b32 exec_lo, exec_lo, s22
.LBB202_349:                            ;   in Loop: Header=BB202_291 Depth=1
	s_or_b32 exec_lo, exec_lo, s21
.LBB202_350:                            ;   in Loop: Header=BB202_291 Depth=1
	s_or_b32 exec_lo, exec_lo, s18
	s_mov_b32 s18, exec_lo
	v_cmpx_lt_u32_e32 0xffffff, v54
	s_cbranch_execz .LBB202_358
; %bb.351:                              ;   in Loop: Header=BB202_291 Depth=1
	v_mov_b32_e32 v7, v6
	v_mov_b32_e32 v24, v8
	v_cmp_ne_u32_sdwa s0, v54, v37 src0_sel:BYTE_3 src1_sel:DWORD
	v_mov_b32_e32 v23, v7
	s_and_saveexec_b32 s21, s0
	s_cbranch_execz .LBB202_357
; %bb.352:                              ;   in Loop: Header=BB202_291 Depth=1
	v_mov_b32_e32 v9, v6
	v_mov_b32_e32 v24, v10
	v_bfe_u32 v55, v54, 24, 7
	s_mov_b32 s22, exec_lo
	v_mov_b32_e32 v23, v9
	v_cmpx_ne_u32_e32 0x7f, v55
	s_cbranch_execz .LBB202_356
; %bb.353:                              ;   in Loop: Header=BB202_291 Depth=1
	v_and_b32_sdwa v5, v54, v40 dst_sel:DWORD dst_unused:UNUSED_PAD src0_sel:BYTE_3 src1_sel:DWORD
	v_lshrrev_b32_e32 v7, 3, v55
	s_mov_b32 s26, exec_lo
	v_cmpx_gt_u32_e32 8, v55
; %bb.354:                              ;   in Loop: Header=BB202_291 Depth=1
	v_ffbh_u32_e32 v7, v5
	v_min_u32_e32 v7, 32, v7
	v_subrev_nc_u32_e32 v9, 28, v7
	v_sub_nc_u32_e32 v7, 29, v7
	v_lshlrev_b64 v[23:24], v9, v[5:6]
	v_and_b32_e32 v5, 7, v23
; %bb.355:                              ;   in Loop: Header=BB202_291 Depth=1
	s_or_b32 exec_lo, exec_lo, s26
	v_lshlrev_b32_sdwa v9, v41, v54 dst_sel:DWORD dst_unused:UNUSED_PAD src0_sel:DWORD src1_sel:BYTE_3
	v_lshlrev_b32_e32 v5, 20, v5
	v_lshl_add_u32 v7, v7, 23, 0x3c000000
	v_mov_b32_e32 v23, v6
	v_and_b32_e32 v9, 0x80000000, v9
	v_or3_b32 v24, v5, v9, v7
.LBB202_356:                            ;   in Loop: Header=BB202_291 Depth=1
	s_or_b32 exec_lo, exec_lo, s22
.LBB202_357:                            ;   in Loop: Header=BB202_291 Depth=1
	s_or_b32 exec_lo, exec_lo, s21
.LBB202_358:                            ;   in Loop: Header=BB202_291 Depth=1
	s_or_b32 exec_lo, exec_lo, s18
	v_or_b32_e32 v5, v20, v18
	v_or_b32_e32 v7, v19, v17
	;; [unrolled: 1-line block ×4, first 2 shown]
	s_mov_b32 s18, s17
	v_mul_f32_e32 v56, s18, v5
	v_mul_f32_e32 v57, s17, v7
	;; [unrolled: 1-line block ×4, first 2 shown]
	s_and_saveexec_b32 s21, vcc_lo
	s_cbranch_execz .LBB202_360
; %bb.359:                              ;   in Loop: Header=BB202_291 Depth=1
	v_cmp_gt_i32_e64 s0, s33, v50
	v_cndmask_b32_e64 v57, 0, v57, s0
	v_cmp_gt_i32_e64 s0, s33, v53
	v_cndmask_b32_e64 v56, 0, v56, s0
	;; [unrolled: 2-line block ×4, first 2 shown]
.LBB202_360:                            ;   in Loop: Header=BB202_291 Depth=1
	s_or_b32 exec_lo, exec_lo, s21
	global_load_dword v58, v[15:16], off offset:256
	v_mov_b32_e32 v19, 0
	v_mov_b32_e32 v17, 0
	;; [unrolled: 1-line block ×4, first 2 shown]
	s_waitcnt vmcnt(0)
	v_cmp_ne_u16_sdwa s0, v58, v6 src0_sel:BYTE_0 src1_sel:DWORD
	s_and_saveexec_b32 s21, s0
	s_cbranch_execz .LBB202_368
; %bb.361:                              ;   in Loop: Header=BB202_291 Depth=1
	v_bfrev_b32_e32 v17, 1
	v_mov_b32_e32 v18, 0
	v_cmp_ne_u16_sdwa s0, v58, v37 src0_sel:BYTE_0 src1_sel:DWORD
	s_and_saveexec_b32 s22, s0
	s_cbranch_execz .LBB202_367
; %bb.362:                              ;   in Loop: Header=BB202_291 Depth=1
	v_mov_b32_e32 v17, 0x7f800001
	v_and_b32_e32 v9, 0x7f, v58
	v_mov_b32_e32 v18, 0
	s_mov_b32 s26, exec_lo
	v_cmpx_ne_u32_e32 0x7f, v9
	s_cbranch_execz .LBB202_366
; %bb.363:                              ;   in Loop: Header=BB202_291 Depth=1
	v_and_b32_e32 v5, 7, v58
	v_lshrrev_b32_e32 v7, 3, v9
	s_mov_b32 s27, exec_lo
	v_cmpx_gt_u32_e32 8, v9
; %bb.364:                              ;   in Loop: Header=BB202_291 Depth=1
	v_ffbh_u32_e32 v7, v5
	v_min_u32_e32 v7, 32, v7
	v_subrev_nc_u32_e32 v9, 28, v7
	v_sub_nc_u32_e32 v7, 29, v7
	v_lshlrev_b64 v[17:18], v9, v[5:6]
	v_and_b32_e32 v5, 7, v17
; %bb.365:                              ;   in Loop: Header=BB202_291 Depth=1
	s_or_b32 exec_lo, exec_lo, s27
	v_lshlrev_b32_e32 v9, 24, v58
	v_lshlrev_b32_e32 v5, 20, v5
	v_lshl_add_u32 v7, v7, 23, 0x3c000000
	v_and_b32_e32 v9, 0x80000000, v9
	v_or3_b32 v5, v5, v9, v7
	v_mov_b32_e32 v18, v6
	v_mov_b32_e32 v17, v5
.LBB202_366:                            ;   in Loop: Header=BB202_291 Depth=1
	s_or_b32 exec_lo, exec_lo, s26
.LBB202_367:                            ;   in Loop: Header=BB202_291 Depth=1
	s_or_b32 exec_lo, exec_lo, s22
.LBB202_368:                            ;   in Loop: Header=BB202_291 Depth=1
	s_or_b32 exec_lo, exec_lo, s21
	v_cmp_ne_u16_sdwa s0, v58, v6 src0_sel:BYTE_1 src1_sel:DWORD
	s_and_saveexec_b32 s21, s0
	s_cbranch_execz .LBB202_376
; %bb.369:                              ;   in Loop: Header=BB202_291 Depth=1
	v_mov_b32_e32 v7, v6
	v_mov_b32_e32 v20, v8
	v_cmp_ne_u16_sdwa s0, v58, v37 src0_sel:BYTE_1 src1_sel:DWORD
	v_mov_b32_e32 v19, v7
	s_and_saveexec_b32 s22, s0
	s_cbranch_execz .LBB202_375
; %bb.370:                              ;   in Loop: Header=BB202_291 Depth=1
	v_and_b32_sdwa v5, v38, v58 dst_sel:DWORD dst_unused:UNUSED_PAD src0_sel:DWORD src1_sel:BYTE_1
	v_mov_b32_e32 v9, v6
	v_mov_b32_e32 v20, v10
	s_mov_b32 s26, exec_lo
	v_and_b32_e32 v21, 0x7f, v5
	v_mov_b32_e32 v19, v9
	v_cmpx_ne_u32_e32 0x7f, v21
	s_cbranch_execz .LBB202_374
; %bb.371:                              ;   in Loop: Header=BB202_291 Depth=1
	v_and_b32_e32 v5, 7, v5
	v_lshrrev_b32_e32 v7, 3, v21
	s_mov_b32 s27, exec_lo
	v_cmpx_gt_u32_e32 8, v21
; %bb.372:                              ;   in Loop: Header=BB202_291 Depth=1
	v_ffbh_u32_e32 v7, v5
	v_min_u32_e32 v7, 32, v7
	v_subrev_nc_u32_e32 v9, 28, v7
	v_sub_nc_u32_e32 v7, 29, v7
	v_lshlrev_b64 v[19:20], v9, v[5:6]
	v_and_b32_e32 v5, 7, v19
; %bb.373:                              ;   in Loop: Header=BB202_291 Depth=1
	s_or_b32 exec_lo, exec_lo, s27
	v_lshlrev_b32_e32 v9, 16, v58
	v_lshlrev_b32_e32 v5, 20, v5
	v_lshl_add_u32 v7, v7, 23, 0x3c000000
	v_mov_b32_e32 v19, v6
	v_and_b32_e32 v9, 0x80000000, v9
	v_or3_b32 v20, v5, v9, v7
.LBB202_374:                            ;   in Loop: Header=BB202_291 Depth=1
	s_or_b32 exec_lo, exec_lo, s26
.LBB202_375:                            ;   in Loop: Header=BB202_291 Depth=1
	s_or_b32 exec_lo, exec_lo, s22
.LBB202_376:                            ;   in Loop: Header=BB202_291 Depth=1
	s_or_b32 exec_lo, exec_lo, s21
	v_mov_b32_e32 v23, 0
	v_mov_b32_e32 v21, 0
	v_and_b32_sdwa v5, v58, v39 dst_sel:DWORD dst_unused:UNUSED_PAD src0_sel:WORD_1 src1_sel:DWORD
	v_mov_b32_e32 v24, 0
	v_mov_b32_e32 v22, 0
	s_mov_b32 s21, exec_lo
	v_cmpx_ne_u16_e32 0, v5
	s_cbranch_execz .LBB202_384
; %bb.377:                              ;   in Loop: Header=BB202_291 Depth=1
	v_bfrev_b32_e32 v21, 1
	v_mov_b32_e32 v22, 0
	s_mov_b32 s22, exec_lo
	v_cmpx_ne_u16_e32 0x80, v5
	s_cbranch_execz .LBB202_383
; %bb.378:                              ;   in Loop: Header=BB202_291 Depth=1
	v_mov_b32_e32 v21, 0x7f800001
	v_bfe_u32 v9, v58, 16, 7
	v_mov_b32_e32 v22, 0
	s_mov_b32 s26, exec_lo
	v_cmpx_ne_u32_e32 0x7f, v9
	s_cbranch_execz .LBB202_382
; %bb.379:                              ;   in Loop: Header=BB202_291 Depth=1
	v_and_b32_sdwa v5, v58, v40 dst_sel:DWORD dst_unused:UNUSED_PAD src0_sel:WORD_1 src1_sel:DWORD
	v_lshrrev_b32_e32 v7, 3, v9
	s_mov_b32 s27, exec_lo
	v_cmpx_gt_u32_e32 8, v9
; %bb.380:                              ;   in Loop: Header=BB202_291 Depth=1
	v_ffbh_u32_e32 v7, v5
	v_min_u32_e32 v7, 32, v7
	v_subrev_nc_u32_e32 v9, 28, v7
	v_sub_nc_u32_e32 v7, 29, v7
	v_lshlrev_b64 v[21:22], v9, v[5:6]
	v_and_b32_e32 v5, 7, v21
; %bb.381:                              ;   in Loop: Header=BB202_291 Depth=1
	s_or_b32 exec_lo, exec_lo, s27
	v_lshlrev_b32_sdwa v9, v41, v58 dst_sel:DWORD dst_unused:UNUSED_PAD src0_sel:DWORD src1_sel:WORD_1
	v_lshlrev_b32_e32 v5, 20, v5
	v_lshl_add_u32 v7, v7, 23, 0x3c000000
	v_and_b32_e32 v9, 0x80000000, v9
	v_or3_b32 v5, v5, v9, v7
	v_mov_b32_e32 v22, v6
	v_mov_b32_e32 v21, v5
.LBB202_382:                            ;   in Loop: Header=BB202_291 Depth=1
	s_or_b32 exec_lo, exec_lo, s26
.LBB202_383:                            ;   in Loop: Header=BB202_291 Depth=1
	s_or_b32 exec_lo, exec_lo, s22
.LBB202_384:                            ;   in Loop: Header=BB202_291 Depth=1
	s_or_b32 exec_lo, exec_lo, s21
	s_mov_b32 s21, exec_lo
	v_cmpx_lt_u32_e32 0xffffff, v58
	s_cbranch_execz .LBB202_392
; %bb.385:                              ;   in Loop: Header=BB202_291 Depth=1
	v_mov_b32_e32 v7, v6
	v_mov_b32_e32 v24, v8
	v_cmp_ne_u32_sdwa s0, v58, v37 src0_sel:BYTE_3 src1_sel:DWORD
	v_mov_b32_e32 v23, v7
	s_and_saveexec_b32 s22, s0
	s_cbranch_execz .LBB202_391
; %bb.386:                              ;   in Loop: Header=BB202_291 Depth=1
	v_mov_b32_e32 v9, v6
	v_mov_b32_e32 v24, v10
	v_bfe_u32 v59, v58, 24, 7
	s_mov_b32 s26, exec_lo
	v_mov_b32_e32 v23, v9
	v_cmpx_ne_u32_e32 0x7f, v59
	s_cbranch_execz .LBB202_390
; %bb.387:                              ;   in Loop: Header=BB202_291 Depth=1
	v_and_b32_sdwa v5, v58, v40 dst_sel:DWORD dst_unused:UNUSED_PAD src0_sel:BYTE_3 src1_sel:DWORD
	v_lshrrev_b32_e32 v7, 3, v59
	s_mov_b32 s27, exec_lo
	v_cmpx_gt_u32_e32 8, v59
; %bb.388:                              ;   in Loop: Header=BB202_291 Depth=1
	v_ffbh_u32_e32 v7, v5
	v_min_u32_e32 v7, 32, v7
	v_subrev_nc_u32_e32 v9, 28, v7
	v_sub_nc_u32_e32 v7, 29, v7
	v_lshlrev_b64 v[23:24], v9, v[5:6]
	v_and_b32_e32 v5, 7, v23
; %bb.389:                              ;   in Loop: Header=BB202_291 Depth=1
	s_or_b32 exec_lo, exec_lo, s27
	v_lshlrev_b32_sdwa v9, v41, v58 dst_sel:DWORD dst_unused:UNUSED_PAD src0_sel:DWORD src1_sel:BYTE_3
	v_lshlrev_b32_e32 v5, 20, v5
	v_lshl_add_u32 v7, v7, 23, 0x3c000000
	v_mov_b32_e32 v23, v6
	v_and_b32_e32 v9, 0x80000000, v9
	v_or3_b32 v24, v5, v9, v7
.LBB202_390:                            ;   in Loop: Header=BB202_291 Depth=1
	s_or_b32 exec_lo, exec_lo, s26
.LBB202_391:                            ;   in Loop: Header=BB202_291 Depth=1
	s_or_b32 exec_lo, exec_lo, s22
.LBB202_392:                            ;   in Loop: Header=BB202_291 Depth=1
	s_or_b32 exec_lo, exec_lo, s21
	v_or_b32_e32 v5, v20, v18
	v_or_b32_e32 v7, v19, v17
	;; [unrolled: 1-line block ×4, first 2 shown]
	v_mul_f32_e32 v60, s18, v5
	v_mul_f32_e32 v61, s17, v7
	;; [unrolled: 1-line block ×4, first 2 shown]
	s_and_saveexec_b32 s21, vcc_lo
	s_cbranch_execz .LBB202_394
; %bb.393:                              ;   in Loop: Header=BB202_291 Depth=1
	v_cmp_gt_i32_e64 s0, s33, v50
	v_cndmask_b32_e64 v61, 0, v61, s0
	v_cmp_gt_i32_e64 s0, s33, v53
	v_cndmask_b32_e64 v60, 0, v60, s0
	;; [unrolled: 2-line block ×4, first 2 shown]
.LBB202_394:                            ;   in Loop: Header=BB202_291 Depth=1
	s_or_b32 exec_lo, exec_lo, s21
	global_load_dword v62, v[15:16], off offset:384
	v_mov_b32_e32 v19, 0
	v_mov_b32_e32 v17, 0
	;; [unrolled: 1-line block ×4, first 2 shown]
	s_waitcnt vmcnt(0)
	v_cmp_ne_u16_sdwa s0, v62, v6 src0_sel:BYTE_0 src1_sel:DWORD
	s_and_saveexec_b32 s21, s0
	s_cbranch_execz .LBB202_402
; %bb.395:                              ;   in Loop: Header=BB202_291 Depth=1
	v_bfrev_b32_e32 v17, 1
	v_mov_b32_e32 v18, 0
	v_cmp_ne_u16_sdwa s0, v62, v37 src0_sel:BYTE_0 src1_sel:DWORD
	s_and_saveexec_b32 s22, s0
	s_cbranch_execz .LBB202_401
; %bb.396:                              ;   in Loop: Header=BB202_291 Depth=1
	v_mov_b32_e32 v17, 0x7f800001
	v_and_b32_e32 v9, 0x7f, v62
	v_mov_b32_e32 v18, 0
	s_mov_b32 s26, exec_lo
	v_cmpx_ne_u32_e32 0x7f, v9
	s_cbranch_execz .LBB202_400
; %bb.397:                              ;   in Loop: Header=BB202_291 Depth=1
	v_and_b32_e32 v5, 7, v62
	v_lshrrev_b32_e32 v7, 3, v9
	s_mov_b32 s27, exec_lo
	v_cmpx_gt_u32_e32 8, v9
; %bb.398:                              ;   in Loop: Header=BB202_291 Depth=1
	v_ffbh_u32_e32 v7, v5
	v_min_u32_e32 v7, 32, v7
	v_subrev_nc_u32_e32 v9, 28, v7
	v_sub_nc_u32_e32 v7, 29, v7
	v_lshlrev_b64 v[17:18], v9, v[5:6]
	v_and_b32_e32 v5, 7, v17
; %bb.399:                              ;   in Loop: Header=BB202_291 Depth=1
	s_or_b32 exec_lo, exec_lo, s27
	v_lshlrev_b32_e32 v9, 24, v62
	v_lshlrev_b32_e32 v5, 20, v5
	v_lshl_add_u32 v7, v7, 23, 0x3c000000
	v_and_b32_e32 v9, 0x80000000, v9
	v_or3_b32 v5, v5, v9, v7
	v_mov_b32_e32 v18, v6
	v_mov_b32_e32 v17, v5
.LBB202_400:                            ;   in Loop: Header=BB202_291 Depth=1
	s_or_b32 exec_lo, exec_lo, s26
.LBB202_401:                            ;   in Loop: Header=BB202_291 Depth=1
	s_or_b32 exec_lo, exec_lo, s22
.LBB202_402:                            ;   in Loop: Header=BB202_291 Depth=1
	s_or_b32 exec_lo, exec_lo, s21
	v_cmp_ne_u16_sdwa s0, v62, v6 src0_sel:BYTE_1 src1_sel:DWORD
	s_and_saveexec_b32 s21, s0
	s_cbranch_execz .LBB202_410
; %bb.403:                              ;   in Loop: Header=BB202_291 Depth=1
	v_mov_b32_e32 v7, v6
	v_mov_b32_e32 v20, v8
	v_cmp_ne_u16_sdwa s0, v62, v37 src0_sel:BYTE_1 src1_sel:DWORD
	v_mov_b32_e32 v19, v7
	s_and_saveexec_b32 s22, s0
	s_cbranch_execz .LBB202_409
; %bb.404:                              ;   in Loop: Header=BB202_291 Depth=1
	v_and_b32_sdwa v5, v38, v62 dst_sel:DWORD dst_unused:UNUSED_PAD src0_sel:DWORD src1_sel:BYTE_1
	v_mov_b32_e32 v9, v6
	v_mov_b32_e32 v20, v10
	s_mov_b32 s26, exec_lo
	v_and_b32_e32 v21, 0x7f, v5
	v_mov_b32_e32 v19, v9
	v_cmpx_ne_u32_e32 0x7f, v21
	s_cbranch_execz .LBB202_408
; %bb.405:                              ;   in Loop: Header=BB202_291 Depth=1
	v_and_b32_e32 v5, 7, v5
	v_lshrrev_b32_e32 v7, 3, v21
	s_mov_b32 s27, exec_lo
	v_cmpx_gt_u32_e32 8, v21
; %bb.406:                              ;   in Loop: Header=BB202_291 Depth=1
	v_ffbh_u32_e32 v7, v5
	v_min_u32_e32 v7, 32, v7
	v_subrev_nc_u32_e32 v9, 28, v7
	v_sub_nc_u32_e32 v7, 29, v7
	v_lshlrev_b64 v[19:20], v9, v[5:6]
	v_and_b32_e32 v5, 7, v19
; %bb.407:                              ;   in Loop: Header=BB202_291 Depth=1
	s_or_b32 exec_lo, exec_lo, s27
	v_lshlrev_b32_e32 v9, 16, v62
	v_lshlrev_b32_e32 v5, 20, v5
	v_lshl_add_u32 v7, v7, 23, 0x3c000000
	v_mov_b32_e32 v19, v6
	v_and_b32_e32 v9, 0x80000000, v9
	v_or3_b32 v20, v5, v9, v7
.LBB202_408:                            ;   in Loop: Header=BB202_291 Depth=1
	s_or_b32 exec_lo, exec_lo, s26
.LBB202_409:                            ;   in Loop: Header=BB202_291 Depth=1
	s_or_b32 exec_lo, exec_lo, s22
.LBB202_410:                            ;   in Loop: Header=BB202_291 Depth=1
	s_or_b32 exec_lo, exec_lo, s21
	v_mov_b32_e32 v23, 0
	v_mov_b32_e32 v21, 0
	v_and_b32_sdwa v5, v62, v39 dst_sel:DWORD dst_unused:UNUSED_PAD src0_sel:WORD_1 src1_sel:DWORD
	v_mov_b32_e32 v24, 0
	v_mov_b32_e32 v22, 0
	s_mov_b32 s21, exec_lo
	v_cmpx_ne_u16_e32 0, v5
	s_cbranch_execz .LBB202_418
; %bb.411:                              ;   in Loop: Header=BB202_291 Depth=1
	v_bfrev_b32_e32 v21, 1
	v_mov_b32_e32 v22, 0
	s_mov_b32 s22, exec_lo
	v_cmpx_ne_u16_e32 0x80, v5
	s_cbranch_execz .LBB202_417
; %bb.412:                              ;   in Loop: Header=BB202_291 Depth=1
	v_mov_b32_e32 v21, 0x7f800001
	v_bfe_u32 v9, v62, 16, 7
	v_mov_b32_e32 v22, 0
	s_mov_b32 s26, exec_lo
	v_cmpx_ne_u32_e32 0x7f, v9
	s_cbranch_execz .LBB202_416
; %bb.413:                              ;   in Loop: Header=BB202_291 Depth=1
	v_and_b32_sdwa v5, v62, v40 dst_sel:DWORD dst_unused:UNUSED_PAD src0_sel:WORD_1 src1_sel:DWORD
	v_lshrrev_b32_e32 v7, 3, v9
	s_mov_b32 s27, exec_lo
	v_cmpx_gt_u32_e32 8, v9
; %bb.414:                              ;   in Loop: Header=BB202_291 Depth=1
	v_ffbh_u32_e32 v7, v5
	v_min_u32_e32 v7, 32, v7
	v_subrev_nc_u32_e32 v9, 28, v7
	v_sub_nc_u32_e32 v7, 29, v7
	v_lshlrev_b64 v[21:22], v9, v[5:6]
	v_and_b32_e32 v5, 7, v21
; %bb.415:                              ;   in Loop: Header=BB202_291 Depth=1
	s_or_b32 exec_lo, exec_lo, s27
	v_lshlrev_b32_sdwa v9, v41, v62 dst_sel:DWORD dst_unused:UNUSED_PAD src0_sel:DWORD src1_sel:WORD_1
	v_lshlrev_b32_e32 v5, 20, v5
	v_lshl_add_u32 v7, v7, 23, 0x3c000000
	v_and_b32_e32 v9, 0x80000000, v9
	v_or3_b32 v5, v5, v9, v7
	v_mov_b32_e32 v22, v6
	v_mov_b32_e32 v21, v5
.LBB202_416:                            ;   in Loop: Header=BB202_291 Depth=1
	s_or_b32 exec_lo, exec_lo, s26
.LBB202_417:                            ;   in Loop: Header=BB202_291 Depth=1
	s_or_b32 exec_lo, exec_lo, s22
.LBB202_418:                            ;   in Loop: Header=BB202_291 Depth=1
	s_or_b32 exec_lo, exec_lo, s21
	s_mov_b32 s21, exec_lo
	v_cmpx_lt_u32_e32 0xffffff, v62
	s_cbranch_execz .LBB202_426
; %bb.419:                              ;   in Loop: Header=BB202_291 Depth=1
	v_mov_b32_e32 v7, v6
	v_mov_b32_e32 v24, v8
	v_cmp_ne_u32_sdwa s0, v62, v37 src0_sel:BYTE_3 src1_sel:DWORD
	v_mov_b32_e32 v23, v7
	s_and_saveexec_b32 s22, s0
	s_cbranch_execz .LBB202_425
; %bb.420:                              ;   in Loop: Header=BB202_291 Depth=1
	v_mov_b32_e32 v9, v6
	v_mov_b32_e32 v24, v10
	v_bfe_u32 v63, v62, 24, 7
	s_mov_b32 s26, exec_lo
	v_mov_b32_e32 v23, v9
	v_cmpx_ne_u32_e32 0x7f, v63
	s_cbranch_execz .LBB202_424
; %bb.421:                              ;   in Loop: Header=BB202_291 Depth=1
	v_and_b32_sdwa v5, v62, v40 dst_sel:DWORD dst_unused:UNUSED_PAD src0_sel:BYTE_3 src1_sel:DWORD
	v_lshrrev_b32_e32 v7, 3, v63
	s_mov_b32 s27, exec_lo
	v_cmpx_gt_u32_e32 8, v63
; %bb.422:                              ;   in Loop: Header=BB202_291 Depth=1
	v_ffbh_u32_e32 v7, v5
	v_min_u32_e32 v7, 32, v7
	v_subrev_nc_u32_e32 v9, 28, v7
	v_sub_nc_u32_e32 v7, 29, v7
	v_lshlrev_b64 v[23:24], v9, v[5:6]
	v_and_b32_e32 v5, 7, v23
; %bb.423:                              ;   in Loop: Header=BB202_291 Depth=1
	s_or_b32 exec_lo, exec_lo, s27
	v_lshlrev_b32_sdwa v9, v41, v62 dst_sel:DWORD dst_unused:UNUSED_PAD src0_sel:DWORD src1_sel:BYTE_3
	v_lshlrev_b32_e32 v5, 20, v5
	v_lshl_add_u32 v7, v7, 23, 0x3c000000
	v_mov_b32_e32 v23, v6
	v_and_b32_e32 v9, 0x80000000, v9
	v_or3_b32 v24, v5, v9, v7
.LBB202_424:                            ;   in Loop: Header=BB202_291 Depth=1
	s_or_b32 exec_lo, exec_lo, s26
.LBB202_425:                            ;   in Loop: Header=BB202_291 Depth=1
	s_or_b32 exec_lo, exec_lo, s22
.LBB202_426:                            ;   in Loop: Header=BB202_291 Depth=1
	s_or_b32 exec_lo, exec_lo, s21
	v_or_b32_e32 v5, v20, v18
	v_or_b32_e32 v7, v19, v17
	;; [unrolled: 1-line block ×4, first 2 shown]
	v_mul_f32_e32 v64, s18, v5
	v_mul_f32_e32 v65, s17, v7
	;; [unrolled: 1-line block ×4, first 2 shown]
	s_and_saveexec_b32 s21, vcc_lo
	s_cbranch_execz .LBB202_428
; %bb.427:                              ;   in Loop: Header=BB202_291 Depth=1
	v_cmp_gt_i32_e64 s0, s33, v50
	v_cndmask_b32_e64 v65, 0, v65, s0
	v_cmp_gt_i32_e64 s0, s33, v53
	v_cndmask_b32_e64 v64, 0, v64, s0
	;; [unrolled: 2-line block ×4, first 2 shown]
.LBB202_428:                            ;   in Loop: Header=BB202_291 Depth=1
	s_or_b32 exec_lo, exec_lo, s21
	global_load_dword v66, v[15:16], off offset:512
	v_mov_b32_e32 v19, 0
	v_mov_b32_e32 v17, 0
	;; [unrolled: 1-line block ×4, first 2 shown]
	s_waitcnt vmcnt(0)
	v_cmp_ne_u16_sdwa s0, v66, v6 src0_sel:BYTE_0 src1_sel:DWORD
	s_and_saveexec_b32 s21, s0
	s_cbranch_execz .LBB202_436
; %bb.429:                              ;   in Loop: Header=BB202_291 Depth=1
	v_bfrev_b32_e32 v17, 1
	v_mov_b32_e32 v18, 0
	v_cmp_ne_u16_sdwa s0, v66, v37 src0_sel:BYTE_0 src1_sel:DWORD
	s_and_saveexec_b32 s22, s0
	s_cbranch_execz .LBB202_435
; %bb.430:                              ;   in Loop: Header=BB202_291 Depth=1
	v_mov_b32_e32 v17, 0x7f800001
	v_and_b32_e32 v9, 0x7f, v66
	v_mov_b32_e32 v18, 0
	s_mov_b32 s26, exec_lo
	v_cmpx_ne_u32_e32 0x7f, v9
	s_cbranch_execz .LBB202_434
; %bb.431:                              ;   in Loop: Header=BB202_291 Depth=1
	v_and_b32_e32 v5, 7, v66
	v_lshrrev_b32_e32 v7, 3, v9
	s_mov_b32 s27, exec_lo
	v_cmpx_gt_u32_e32 8, v9
; %bb.432:                              ;   in Loop: Header=BB202_291 Depth=1
	v_ffbh_u32_e32 v7, v5
	v_min_u32_e32 v7, 32, v7
	v_subrev_nc_u32_e32 v9, 28, v7
	v_sub_nc_u32_e32 v7, 29, v7
	v_lshlrev_b64 v[17:18], v9, v[5:6]
	v_and_b32_e32 v5, 7, v17
; %bb.433:                              ;   in Loop: Header=BB202_291 Depth=1
	s_or_b32 exec_lo, exec_lo, s27
	v_lshlrev_b32_e32 v9, 24, v66
	v_lshlrev_b32_e32 v5, 20, v5
	v_lshl_add_u32 v7, v7, 23, 0x3c000000
	v_and_b32_e32 v9, 0x80000000, v9
	v_or3_b32 v5, v5, v9, v7
	v_mov_b32_e32 v18, v6
	v_mov_b32_e32 v17, v5
.LBB202_434:                            ;   in Loop: Header=BB202_291 Depth=1
	s_or_b32 exec_lo, exec_lo, s26
.LBB202_435:                            ;   in Loop: Header=BB202_291 Depth=1
	s_or_b32 exec_lo, exec_lo, s22
.LBB202_436:                            ;   in Loop: Header=BB202_291 Depth=1
	s_or_b32 exec_lo, exec_lo, s21
	v_cmp_ne_u16_sdwa s0, v66, v6 src0_sel:BYTE_1 src1_sel:DWORD
	s_and_saveexec_b32 s21, s0
	s_cbranch_execz .LBB202_444
; %bb.437:                              ;   in Loop: Header=BB202_291 Depth=1
	v_mov_b32_e32 v7, v6
	v_mov_b32_e32 v20, v8
	v_cmp_ne_u16_sdwa s0, v66, v37 src0_sel:BYTE_1 src1_sel:DWORD
	v_mov_b32_e32 v19, v7
	s_and_saveexec_b32 s22, s0
	s_cbranch_execz .LBB202_443
; %bb.438:                              ;   in Loop: Header=BB202_291 Depth=1
	v_and_b32_sdwa v5, v38, v66 dst_sel:DWORD dst_unused:UNUSED_PAD src0_sel:DWORD src1_sel:BYTE_1
	v_mov_b32_e32 v9, v6
	v_mov_b32_e32 v20, v10
	s_mov_b32 s26, exec_lo
	v_and_b32_e32 v21, 0x7f, v5
	v_mov_b32_e32 v19, v9
	v_cmpx_ne_u32_e32 0x7f, v21
	s_cbranch_execz .LBB202_442
; %bb.439:                              ;   in Loop: Header=BB202_291 Depth=1
	v_and_b32_e32 v5, 7, v5
	v_lshrrev_b32_e32 v7, 3, v21
	s_mov_b32 s27, exec_lo
	v_cmpx_gt_u32_e32 8, v21
; %bb.440:                              ;   in Loop: Header=BB202_291 Depth=1
	v_ffbh_u32_e32 v7, v5
	v_min_u32_e32 v7, 32, v7
	v_subrev_nc_u32_e32 v9, 28, v7
	v_sub_nc_u32_e32 v7, 29, v7
	v_lshlrev_b64 v[19:20], v9, v[5:6]
	v_and_b32_e32 v5, 7, v19
; %bb.441:                              ;   in Loop: Header=BB202_291 Depth=1
	s_or_b32 exec_lo, exec_lo, s27
	v_lshlrev_b32_e32 v9, 16, v66
	v_lshlrev_b32_e32 v5, 20, v5
	v_lshl_add_u32 v7, v7, 23, 0x3c000000
	v_mov_b32_e32 v19, v6
	v_and_b32_e32 v9, 0x80000000, v9
	v_or3_b32 v20, v5, v9, v7
.LBB202_442:                            ;   in Loop: Header=BB202_291 Depth=1
	s_or_b32 exec_lo, exec_lo, s26
.LBB202_443:                            ;   in Loop: Header=BB202_291 Depth=1
	s_or_b32 exec_lo, exec_lo, s22
.LBB202_444:                            ;   in Loop: Header=BB202_291 Depth=1
	s_or_b32 exec_lo, exec_lo, s21
	v_mov_b32_e32 v23, 0
	v_mov_b32_e32 v21, 0
	v_and_b32_sdwa v5, v66, v39 dst_sel:DWORD dst_unused:UNUSED_PAD src0_sel:WORD_1 src1_sel:DWORD
	v_mov_b32_e32 v24, 0
	v_mov_b32_e32 v22, 0
	s_mov_b32 s21, exec_lo
	v_cmpx_ne_u16_e32 0, v5
	s_cbranch_execz .LBB202_452
; %bb.445:                              ;   in Loop: Header=BB202_291 Depth=1
	v_bfrev_b32_e32 v21, 1
	v_mov_b32_e32 v22, 0
	s_mov_b32 s22, exec_lo
	v_cmpx_ne_u16_e32 0x80, v5
	s_cbranch_execz .LBB202_451
; %bb.446:                              ;   in Loop: Header=BB202_291 Depth=1
	v_mov_b32_e32 v21, 0x7f800001
	v_bfe_u32 v9, v66, 16, 7
	v_mov_b32_e32 v22, 0
	s_mov_b32 s26, exec_lo
	v_cmpx_ne_u32_e32 0x7f, v9
	s_cbranch_execz .LBB202_450
; %bb.447:                              ;   in Loop: Header=BB202_291 Depth=1
	v_and_b32_sdwa v5, v66, v40 dst_sel:DWORD dst_unused:UNUSED_PAD src0_sel:WORD_1 src1_sel:DWORD
	v_lshrrev_b32_e32 v7, 3, v9
	s_mov_b32 s27, exec_lo
	v_cmpx_gt_u32_e32 8, v9
; %bb.448:                              ;   in Loop: Header=BB202_291 Depth=1
	v_ffbh_u32_e32 v7, v5
	v_min_u32_e32 v7, 32, v7
	v_subrev_nc_u32_e32 v9, 28, v7
	v_sub_nc_u32_e32 v7, 29, v7
	v_lshlrev_b64 v[21:22], v9, v[5:6]
	v_and_b32_e32 v5, 7, v21
; %bb.449:                              ;   in Loop: Header=BB202_291 Depth=1
	s_or_b32 exec_lo, exec_lo, s27
	v_lshlrev_b32_sdwa v9, v41, v66 dst_sel:DWORD dst_unused:UNUSED_PAD src0_sel:DWORD src1_sel:WORD_1
	v_lshlrev_b32_e32 v5, 20, v5
	v_lshl_add_u32 v7, v7, 23, 0x3c000000
	v_and_b32_e32 v9, 0x80000000, v9
	v_or3_b32 v5, v5, v9, v7
	v_mov_b32_e32 v22, v6
	v_mov_b32_e32 v21, v5
.LBB202_450:                            ;   in Loop: Header=BB202_291 Depth=1
	s_or_b32 exec_lo, exec_lo, s26
.LBB202_451:                            ;   in Loop: Header=BB202_291 Depth=1
	s_or_b32 exec_lo, exec_lo, s22
.LBB202_452:                            ;   in Loop: Header=BB202_291 Depth=1
	s_or_b32 exec_lo, exec_lo, s21
	s_mov_b32 s21, exec_lo
	v_cmpx_lt_u32_e32 0xffffff, v66
	s_cbranch_execz .LBB202_460
; %bb.453:                              ;   in Loop: Header=BB202_291 Depth=1
	v_mov_b32_e32 v7, v6
	v_mov_b32_e32 v24, v8
	v_cmp_ne_u32_sdwa s0, v66, v37 src0_sel:BYTE_3 src1_sel:DWORD
	v_mov_b32_e32 v23, v7
	s_and_saveexec_b32 s22, s0
	s_cbranch_execz .LBB202_459
; %bb.454:                              ;   in Loop: Header=BB202_291 Depth=1
	v_mov_b32_e32 v9, v6
	v_mov_b32_e32 v24, v10
	v_bfe_u32 v67, v66, 24, 7
	s_mov_b32 s26, exec_lo
	v_mov_b32_e32 v23, v9
	v_cmpx_ne_u32_e32 0x7f, v67
	s_cbranch_execz .LBB202_458
; %bb.455:                              ;   in Loop: Header=BB202_291 Depth=1
	v_and_b32_sdwa v5, v66, v40 dst_sel:DWORD dst_unused:UNUSED_PAD src0_sel:BYTE_3 src1_sel:DWORD
	v_lshrrev_b32_e32 v7, 3, v67
	s_mov_b32 s27, exec_lo
	v_cmpx_gt_u32_e32 8, v67
; %bb.456:                              ;   in Loop: Header=BB202_291 Depth=1
	v_ffbh_u32_e32 v7, v5
	v_min_u32_e32 v7, 32, v7
	v_subrev_nc_u32_e32 v9, 28, v7
	v_sub_nc_u32_e32 v7, 29, v7
	v_lshlrev_b64 v[23:24], v9, v[5:6]
	v_and_b32_e32 v5, 7, v23
; %bb.457:                              ;   in Loop: Header=BB202_291 Depth=1
	s_or_b32 exec_lo, exec_lo, s27
	v_lshlrev_b32_sdwa v9, v41, v66 dst_sel:DWORD dst_unused:UNUSED_PAD src0_sel:DWORD src1_sel:BYTE_3
	v_lshlrev_b32_e32 v5, 20, v5
	v_lshl_add_u32 v7, v7, 23, 0x3c000000
	v_mov_b32_e32 v23, v6
	v_and_b32_e32 v9, 0x80000000, v9
	v_or3_b32 v24, v5, v9, v7
.LBB202_458:                            ;   in Loop: Header=BB202_291 Depth=1
	s_or_b32 exec_lo, exec_lo, s26
.LBB202_459:                            ;   in Loop: Header=BB202_291 Depth=1
	s_or_b32 exec_lo, exec_lo, s22
.LBB202_460:                            ;   in Loop: Header=BB202_291 Depth=1
	s_or_b32 exec_lo, exec_lo, s21
	v_or_b32_e32 v5, v20, v18
	v_or_b32_e32 v7, v19, v17
	;; [unrolled: 1-line block ×4, first 2 shown]
	v_mul_f32_e32 v68, s18, v5
	v_mul_f32_e32 v69, s17, v7
	;; [unrolled: 1-line block ×4, first 2 shown]
	s_and_saveexec_b32 s21, vcc_lo
	s_cbranch_execz .LBB202_462
; %bb.461:                              ;   in Loop: Header=BB202_291 Depth=1
	v_cmp_gt_i32_e64 s0, s33, v50
	v_cndmask_b32_e64 v69, 0, v69, s0
	v_cmp_gt_i32_e64 s0, s33, v53
	v_cndmask_b32_e64 v68, 0, v68, s0
	;; [unrolled: 2-line block ×4, first 2 shown]
.LBB202_462:                            ;   in Loop: Header=BB202_291 Depth=1
	s_or_b32 exec_lo, exec_lo, s21
	global_load_dword v70, v[15:16], off offset:640
	v_mov_b32_e32 v19, 0
	v_mov_b32_e32 v17, 0
	;; [unrolled: 1-line block ×4, first 2 shown]
	s_waitcnt vmcnt(0)
	v_cmp_ne_u16_sdwa s0, v70, v6 src0_sel:BYTE_0 src1_sel:DWORD
	s_and_saveexec_b32 s21, s0
	s_cbranch_execz .LBB202_470
; %bb.463:                              ;   in Loop: Header=BB202_291 Depth=1
	v_bfrev_b32_e32 v17, 1
	v_mov_b32_e32 v18, 0
	v_cmp_ne_u16_sdwa s0, v70, v37 src0_sel:BYTE_0 src1_sel:DWORD
	s_and_saveexec_b32 s22, s0
	s_cbranch_execz .LBB202_469
; %bb.464:                              ;   in Loop: Header=BB202_291 Depth=1
	v_mov_b32_e32 v17, 0x7f800001
	v_and_b32_e32 v9, 0x7f, v70
	v_mov_b32_e32 v18, 0
	s_mov_b32 s26, exec_lo
	v_cmpx_ne_u32_e32 0x7f, v9
	s_cbranch_execz .LBB202_468
; %bb.465:                              ;   in Loop: Header=BB202_291 Depth=1
	v_and_b32_e32 v5, 7, v70
	v_lshrrev_b32_e32 v7, 3, v9
	s_mov_b32 s27, exec_lo
	v_cmpx_gt_u32_e32 8, v9
; %bb.466:                              ;   in Loop: Header=BB202_291 Depth=1
	v_ffbh_u32_e32 v7, v5
	v_min_u32_e32 v7, 32, v7
	v_subrev_nc_u32_e32 v9, 28, v7
	v_sub_nc_u32_e32 v7, 29, v7
	v_lshlrev_b64 v[17:18], v9, v[5:6]
	v_and_b32_e32 v5, 7, v17
; %bb.467:                              ;   in Loop: Header=BB202_291 Depth=1
	s_or_b32 exec_lo, exec_lo, s27
	v_lshlrev_b32_e32 v9, 24, v70
	v_lshlrev_b32_e32 v5, 20, v5
	v_lshl_add_u32 v7, v7, 23, 0x3c000000
	v_and_b32_e32 v9, 0x80000000, v9
	v_or3_b32 v5, v5, v9, v7
	v_mov_b32_e32 v18, v6
	v_mov_b32_e32 v17, v5
.LBB202_468:                            ;   in Loop: Header=BB202_291 Depth=1
	s_or_b32 exec_lo, exec_lo, s26
.LBB202_469:                            ;   in Loop: Header=BB202_291 Depth=1
	s_or_b32 exec_lo, exec_lo, s22
.LBB202_470:                            ;   in Loop: Header=BB202_291 Depth=1
	s_or_b32 exec_lo, exec_lo, s21
	v_cmp_ne_u16_sdwa s0, v70, v6 src0_sel:BYTE_1 src1_sel:DWORD
	s_and_saveexec_b32 s21, s0
	s_cbranch_execz .LBB202_478
; %bb.471:                              ;   in Loop: Header=BB202_291 Depth=1
	v_mov_b32_e32 v7, v6
	v_mov_b32_e32 v20, v8
	v_cmp_ne_u16_sdwa s0, v70, v37 src0_sel:BYTE_1 src1_sel:DWORD
	v_mov_b32_e32 v19, v7
	s_and_saveexec_b32 s22, s0
	s_cbranch_execz .LBB202_477
; %bb.472:                              ;   in Loop: Header=BB202_291 Depth=1
	v_and_b32_sdwa v5, v38, v70 dst_sel:DWORD dst_unused:UNUSED_PAD src0_sel:DWORD src1_sel:BYTE_1
	v_mov_b32_e32 v9, v6
	v_mov_b32_e32 v20, v10
	s_mov_b32 s26, exec_lo
	v_and_b32_e32 v21, 0x7f, v5
	v_mov_b32_e32 v19, v9
	v_cmpx_ne_u32_e32 0x7f, v21
	s_cbranch_execz .LBB202_476
; %bb.473:                              ;   in Loop: Header=BB202_291 Depth=1
	v_and_b32_e32 v5, 7, v5
	v_lshrrev_b32_e32 v7, 3, v21
	s_mov_b32 s27, exec_lo
	v_cmpx_gt_u32_e32 8, v21
; %bb.474:                              ;   in Loop: Header=BB202_291 Depth=1
	v_ffbh_u32_e32 v7, v5
	v_min_u32_e32 v7, 32, v7
	v_subrev_nc_u32_e32 v9, 28, v7
	v_sub_nc_u32_e32 v7, 29, v7
	v_lshlrev_b64 v[19:20], v9, v[5:6]
	v_and_b32_e32 v5, 7, v19
; %bb.475:                              ;   in Loop: Header=BB202_291 Depth=1
	s_or_b32 exec_lo, exec_lo, s27
	v_lshlrev_b32_e32 v9, 16, v70
	v_lshlrev_b32_e32 v5, 20, v5
	v_lshl_add_u32 v7, v7, 23, 0x3c000000
	v_mov_b32_e32 v19, v6
	v_and_b32_e32 v9, 0x80000000, v9
	v_or3_b32 v20, v5, v9, v7
.LBB202_476:                            ;   in Loop: Header=BB202_291 Depth=1
	s_or_b32 exec_lo, exec_lo, s26
.LBB202_477:                            ;   in Loop: Header=BB202_291 Depth=1
	s_or_b32 exec_lo, exec_lo, s22
.LBB202_478:                            ;   in Loop: Header=BB202_291 Depth=1
	s_or_b32 exec_lo, exec_lo, s21
	v_mov_b32_e32 v23, 0
	v_mov_b32_e32 v21, 0
	v_and_b32_sdwa v5, v70, v39 dst_sel:DWORD dst_unused:UNUSED_PAD src0_sel:WORD_1 src1_sel:DWORD
	v_mov_b32_e32 v24, 0
	v_mov_b32_e32 v22, 0
	s_mov_b32 s21, exec_lo
	v_cmpx_ne_u16_e32 0, v5
	s_cbranch_execz .LBB202_486
; %bb.479:                              ;   in Loop: Header=BB202_291 Depth=1
	v_bfrev_b32_e32 v21, 1
	v_mov_b32_e32 v22, 0
	s_mov_b32 s22, exec_lo
	v_cmpx_ne_u16_e32 0x80, v5
	s_cbranch_execz .LBB202_485
; %bb.480:                              ;   in Loop: Header=BB202_291 Depth=1
	v_mov_b32_e32 v21, 0x7f800001
	v_bfe_u32 v9, v70, 16, 7
	v_mov_b32_e32 v22, 0
	s_mov_b32 s26, exec_lo
	v_cmpx_ne_u32_e32 0x7f, v9
	s_cbranch_execz .LBB202_484
; %bb.481:                              ;   in Loop: Header=BB202_291 Depth=1
	v_and_b32_sdwa v5, v70, v40 dst_sel:DWORD dst_unused:UNUSED_PAD src0_sel:WORD_1 src1_sel:DWORD
	v_lshrrev_b32_e32 v7, 3, v9
	s_mov_b32 s27, exec_lo
	v_cmpx_gt_u32_e32 8, v9
; %bb.482:                              ;   in Loop: Header=BB202_291 Depth=1
	v_ffbh_u32_e32 v7, v5
	v_min_u32_e32 v7, 32, v7
	v_subrev_nc_u32_e32 v9, 28, v7
	v_sub_nc_u32_e32 v7, 29, v7
	v_lshlrev_b64 v[21:22], v9, v[5:6]
	v_and_b32_e32 v5, 7, v21
; %bb.483:                              ;   in Loop: Header=BB202_291 Depth=1
	s_or_b32 exec_lo, exec_lo, s27
	v_lshlrev_b32_sdwa v9, v41, v70 dst_sel:DWORD dst_unused:UNUSED_PAD src0_sel:DWORD src1_sel:WORD_1
	v_lshlrev_b32_e32 v5, 20, v5
	v_lshl_add_u32 v7, v7, 23, 0x3c000000
	v_and_b32_e32 v9, 0x80000000, v9
	v_or3_b32 v5, v5, v9, v7
	v_mov_b32_e32 v22, v6
	v_mov_b32_e32 v21, v5
.LBB202_484:                            ;   in Loop: Header=BB202_291 Depth=1
	s_or_b32 exec_lo, exec_lo, s26
.LBB202_485:                            ;   in Loop: Header=BB202_291 Depth=1
	s_or_b32 exec_lo, exec_lo, s22
.LBB202_486:                            ;   in Loop: Header=BB202_291 Depth=1
	s_or_b32 exec_lo, exec_lo, s21
	s_mov_b32 s21, exec_lo
	v_cmpx_lt_u32_e32 0xffffff, v70
	s_cbranch_execz .LBB202_494
; %bb.487:                              ;   in Loop: Header=BB202_291 Depth=1
	v_mov_b32_e32 v7, v6
	v_mov_b32_e32 v24, v8
	v_cmp_ne_u32_sdwa s0, v70, v37 src0_sel:BYTE_3 src1_sel:DWORD
	v_mov_b32_e32 v23, v7
	s_and_saveexec_b32 s22, s0
	s_cbranch_execz .LBB202_493
; %bb.488:                              ;   in Loop: Header=BB202_291 Depth=1
	v_mov_b32_e32 v9, v6
	v_mov_b32_e32 v24, v10
	v_bfe_u32 v71, v70, 24, 7
	s_mov_b32 s26, exec_lo
	v_mov_b32_e32 v23, v9
	v_cmpx_ne_u32_e32 0x7f, v71
	s_cbranch_execz .LBB202_492
; %bb.489:                              ;   in Loop: Header=BB202_291 Depth=1
	v_and_b32_sdwa v5, v70, v40 dst_sel:DWORD dst_unused:UNUSED_PAD src0_sel:BYTE_3 src1_sel:DWORD
	v_lshrrev_b32_e32 v7, 3, v71
	s_mov_b32 s27, exec_lo
	v_cmpx_gt_u32_e32 8, v71
; %bb.490:                              ;   in Loop: Header=BB202_291 Depth=1
	v_ffbh_u32_e32 v7, v5
	v_min_u32_e32 v7, 32, v7
	v_subrev_nc_u32_e32 v9, 28, v7
	v_sub_nc_u32_e32 v7, 29, v7
	v_lshlrev_b64 v[23:24], v9, v[5:6]
	v_and_b32_e32 v5, 7, v23
; %bb.491:                              ;   in Loop: Header=BB202_291 Depth=1
	s_or_b32 exec_lo, exec_lo, s27
	v_lshlrev_b32_sdwa v9, v41, v70 dst_sel:DWORD dst_unused:UNUSED_PAD src0_sel:DWORD src1_sel:BYTE_3
	v_lshlrev_b32_e32 v5, 20, v5
	v_lshl_add_u32 v7, v7, 23, 0x3c000000
	v_mov_b32_e32 v23, v6
	v_and_b32_e32 v9, 0x80000000, v9
	v_or3_b32 v24, v5, v9, v7
.LBB202_492:                            ;   in Loop: Header=BB202_291 Depth=1
	s_or_b32 exec_lo, exec_lo, s26
.LBB202_493:                            ;   in Loop: Header=BB202_291 Depth=1
	s_or_b32 exec_lo, exec_lo, s22
.LBB202_494:                            ;   in Loop: Header=BB202_291 Depth=1
	s_or_b32 exec_lo, exec_lo, s21
	v_or_b32_e32 v5, v20, v18
	v_or_b32_e32 v7, v19, v17
	;; [unrolled: 1-line block ×4, first 2 shown]
	v_mul_f32_e32 v72, s18, v5
	v_mul_f32_e32 v73, s17, v7
	;; [unrolled: 1-line block ×4, first 2 shown]
	s_and_saveexec_b32 s21, vcc_lo
	s_cbranch_execz .LBB202_496
; %bb.495:                              ;   in Loop: Header=BB202_291 Depth=1
	v_cmp_gt_i32_e64 s0, s33, v50
	v_cndmask_b32_e64 v73, 0, v73, s0
	v_cmp_gt_i32_e64 s0, s33, v53
	v_cndmask_b32_e64 v72, 0, v72, s0
	;; [unrolled: 2-line block ×4, first 2 shown]
.LBB202_496:                            ;   in Loop: Header=BB202_291 Depth=1
	s_or_b32 exec_lo, exec_lo, s21
	global_load_dword v74, v[15:16], off offset:768
	v_mov_b32_e32 v19, 0
	v_mov_b32_e32 v17, 0
	;; [unrolled: 1-line block ×4, first 2 shown]
	s_waitcnt vmcnt(0)
	v_cmp_ne_u16_sdwa s0, v74, v6 src0_sel:BYTE_0 src1_sel:DWORD
	s_and_saveexec_b32 s21, s0
	s_cbranch_execz .LBB202_504
; %bb.497:                              ;   in Loop: Header=BB202_291 Depth=1
	v_bfrev_b32_e32 v17, 1
	v_mov_b32_e32 v18, 0
	v_cmp_ne_u16_sdwa s0, v74, v37 src0_sel:BYTE_0 src1_sel:DWORD
	s_and_saveexec_b32 s22, s0
	s_cbranch_execz .LBB202_503
; %bb.498:                              ;   in Loop: Header=BB202_291 Depth=1
	v_mov_b32_e32 v17, 0x7f800001
	v_and_b32_e32 v9, 0x7f, v74
	v_mov_b32_e32 v18, 0
	s_mov_b32 s26, exec_lo
	v_cmpx_ne_u32_e32 0x7f, v9
	s_cbranch_execz .LBB202_502
; %bb.499:                              ;   in Loop: Header=BB202_291 Depth=1
	v_and_b32_e32 v5, 7, v74
	v_lshrrev_b32_e32 v7, 3, v9
	s_mov_b32 s27, exec_lo
	v_cmpx_gt_u32_e32 8, v9
; %bb.500:                              ;   in Loop: Header=BB202_291 Depth=1
	v_ffbh_u32_e32 v7, v5
	v_min_u32_e32 v7, 32, v7
	v_subrev_nc_u32_e32 v9, 28, v7
	v_sub_nc_u32_e32 v7, 29, v7
	v_lshlrev_b64 v[17:18], v9, v[5:6]
	v_and_b32_e32 v5, 7, v17
; %bb.501:                              ;   in Loop: Header=BB202_291 Depth=1
	s_or_b32 exec_lo, exec_lo, s27
	v_lshlrev_b32_e32 v9, 24, v74
	v_lshlrev_b32_e32 v5, 20, v5
	v_lshl_add_u32 v7, v7, 23, 0x3c000000
	v_and_b32_e32 v9, 0x80000000, v9
	v_or3_b32 v5, v5, v9, v7
	v_mov_b32_e32 v18, v6
	v_mov_b32_e32 v17, v5
.LBB202_502:                            ;   in Loop: Header=BB202_291 Depth=1
	s_or_b32 exec_lo, exec_lo, s26
.LBB202_503:                            ;   in Loop: Header=BB202_291 Depth=1
	s_or_b32 exec_lo, exec_lo, s22
.LBB202_504:                            ;   in Loop: Header=BB202_291 Depth=1
	s_or_b32 exec_lo, exec_lo, s21
	v_cmp_ne_u16_sdwa s0, v74, v6 src0_sel:BYTE_1 src1_sel:DWORD
	s_and_saveexec_b32 s21, s0
	s_cbranch_execz .LBB202_512
; %bb.505:                              ;   in Loop: Header=BB202_291 Depth=1
	v_mov_b32_e32 v7, v6
	v_mov_b32_e32 v20, v8
	v_cmp_ne_u16_sdwa s0, v74, v37 src0_sel:BYTE_1 src1_sel:DWORD
	v_mov_b32_e32 v19, v7
	s_and_saveexec_b32 s22, s0
	s_cbranch_execz .LBB202_511
; %bb.506:                              ;   in Loop: Header=BB202_291 Depth=1
	v_and_b32_sdwa v5, v38, v74 dst_sel:DWORD dst_unused:UNUSED_PAD src0_sel:DWORD src1_sel:BYTE_1
	v_mov_b32_e32 v9, v6
	v_mov_b32_e32 v20, v10
	s_mov_b32 s26, exec_lo
	v_and_b32_e32 v21, 0x7f, v5
	v_mov_b32_e32 v19, v9
	v_cmpx_ne_u32_e32 0x7f, v21
	s_cbranch_execz .LBB202_510
; %bb.507:                              ;   in Loop: Header=BB202_291 Depth=1
	v_and_b32_e32 v5, 7, v5
	v_lshrrev_b32_e32 v7, 3, v21
	s_mov_b32 s27, exec_lo
	v_cmpx_gt_u32_e32 8, v21
; %bb.508:                              ;   in Loop: Header=BB202_291 Depth=1
	v_ffbh_u32_e32 v7, v5
	v_min_u32_e32 v7, 32, v7
	v_subrev_nc_u32_e32 v9, 28, v7
	v_sub_nc_u32_e32 v7, 29, v7
	v_lshlrev_b64 v[19:20], v9, v[5:6]
	v_and_b32_e32 v5, 7, v19
; %bb.509:                              ;   in Loop: Header=BB202_291 Depth=1
	s_or_b32 exec_lo, exec_lo, s27
	v_lshlrev_b32_e32 v9, 16, v74
	v_lshlrev_b32_e32 v5, 20, v5
	v_lshl_add_u32 v7, v7, 23, 0x3c000000
	v_mov_b32_e32 v19, v6
	v_and_b32_e32 v9, 0x80000000, v9
	v_or3_b32 v20, v5, v9, v7
.LBB202_510:                            ;   in Loop: Header=BB202_291 Depth=1
	s_or_b32 exec_lo, exec_lo, s26
.LBB202_511:                            ;   in Loop: Header=BB202_291 Depth=1
	s_or_b32 exec_lo, exec_lo, s22
.LBB202_512:                            ;   in Loop: Header=BB202_291 Depth=1
	s_or_b32 exec_lo, exec_lo, s21
	v_mov_b32_e32 v23, 0
	v_mov_b32_e32 v21, 0
	v_and_b32_sdwa v5, v74, v39 dst_sel:DWORD dst_unused:UNUSED_PAD src0_sel:WORD_1 src1_sel:DWORD
	v_mov_b32_e32 v24, 0
	v_mov_b32_e32 v22, 0
	s_mov_b32 s21, exec_lo
	v_cmpx_ne_u16_e32 0, v5
	s_cbranch_execz .LBB202_520
; %bb.513:                              ;   in Loop: Header=BB202_291 Depth=1
	v_bfrev_b32_e32 v21, 1
	v_mov_b32_e32 v22, 0
	s_mov_b32 s22, exec_lo
	v_cmpx_ne_u16_e32 0x80, v5
	s_cbranch_execz .LBB202_519
; %bb.514:                              ;   in Loop: Header=BB202_291 Depth=1
	v_mov_b32_e32 v21, 0x7f800001
	v_bfe_u32 v9, v74, 16, 7
	v_mov_b32_e32 v22, 0
	s_mov_b32 s26, exec_lo
	v_cmpx_ne_u32_e32 0x7f, v9
	s_cbranch_execz .LBB202_518
; %bb.515:                              ;   in Loop: Header=BB202_291 Depth=1
	v_and_b32_sdwa v5, v74, v40 dst_sel:DWORD dst_unused:UNUSED_PAD src0_sel:WORD_1 src1_sel:DWORD
	v_lshrrev_b32_e32 v7, 3, v9
	s_mov_b32 s27, exec_lo
	v_cmpx_gt_u32_e32 8, v9
; %bb.516:                              ;   in Loop: Header=BB202_291 Depth=1
	v_ffbh_u32_e32 v7, v5
	v_min_u32_e32 v7, 32, v7
	v_subrev_nc_u32_e32 v9, 28, v7
	v_sub_nc_u32_e32 v7, 29, v7
	v_lshlrev_b64 v[21:22], v9, v[5:6]
	v_and_b32_e32 v5, 7, v21
; %bb.517:                              ;   in Loop: Header=BB202_291 Depth=1
	s_or_b32 exec_lo, exec_lo, s27
	v_lshlrev_b32_sdwa v9, v41, v74 dst_sel:DWORD dst_unused:UNUSED_PAD src0_sel:DWORD src1_sel:WORD_1
	v_lshlrev_b32_e32 v5, 20, v5
	v_lshl_add_u32 v7, v7, 23, 0x3c000000
	v_and_b32_e32 v9, 0x80000000, v9
	v_or3_b32 v5, v5, v9, v7
	v_mov_b32_e32 v22, v6
	v_mov_b32_e32 v21, v5
.LBB202_518:                            ;   in Loop: Header=BB202_291 Depth=1
	s_or_b32 exec_lo, exec_lo, s26
.LBB202_519:                            ;   in Loop: Header=BB202_291 Depth=1
	s_or_b32 exec_lo, exec_lo, s22
.LBB202_520:                            ;   in Loop: Header=BB202_291 Depth=1
	s_or_b32 exec_lo, exec_lo, s21
	s_mov_b32 s21, exec_lo
	v_cmpx_lt_u32_e32 0xffffff, v74
	s_cbranch_execz .LBB202_528
; %bb.521:                              ;   in Loop: Header=BB202_291 Depth=1
	v_mov_b32_e32 v7, v6
	v_mov_b32_e32 v24, v8
	v_cmp_ne_u32_sdwa s0, v74, v37 src0_sel:BYTE_3 src1_sel:DWORD
	v_mov_b32_e32 v23, v7
	s_and_saveexec_b32 s22, s0
	s_cbranch_execz .LBB202_527
; %bb.522:                              ;   in Loop: Header=BB202_291 Depth=1
	v_mov_b32_e32 v9, v6
	v_mov_b32_e32 v24, v10
	v_bfe_u32 v75, v74, 24, 7
	s_mov_b32 s26, exec_lo
	v_mov_b32_e32 v23, v9
	v_cmpx_ne_u32_e32 0x7f, v75
	s_cbranch_execz .LBB202_526
; %bb.523:                              ;   in Loop: Header=BB202_291 Depth=1
	v_and_b32_sdwa v5, v74, v40 dst_sel:DWORD dst_unused:UNUSED_PAD src0_sel:BYTE_3 src1_sel:DWORD
	v_lshrrev_b32_e32 v7, 3, v75
	s_mov_b32 s27, exec_lo
	v_cmpx_gt_u32_e32 8, v75
; %bb.524:                              ;   in Loop: Header=BB202_291 Depth=1
	v_ffbh_u32_e32 v7, v5
	v_min_u32_e32 v7, 32, v7
	v_subrev_nc_u32_e32 v9, 28, v7
	v_sub_nc_u32_e32 v7, 29, v7
	v_lshlrev_b64 v[23:24], v9, v[5:6]
	v_and_b32_e32 v5, 7, v23
; %bb.525:                              ;   in Loop: Header=BB202_291 Depth=1
	s_or_b32 exec_lo, exec_lo, s27
	v_lshlrev_b32_sdwa v9, v41, v74 dst_sel:DWORD dst_unused:UNUSED_PAD src0_sel:DWORD src1_sel:BYTE_3
	v_lshlrev_b32_e32 v5, 20, v5
	v_lshl_add_u32 v7, v7, 23, 0x3c000000
	v_mov_b32_e32 v23, v6
	v_and_b32_e32 v9, 0x80000000, v9
	v_or3_b32 v24, v5, v9, v7
.LBB202_526:                            ;   in Loop: Header=BB202_291 Depth=1
	s_or_b32 exec_lo, exec_lo, s26
.LBB202_527:                            ;   in Loop: Header=BB202_291 Depth=1
	s_or_b32 exec_lo, exec_lo, s22
.LBB202_528:                            ;   in Loop: Header=BB202_291 Depth=1
	s_or_b32 exec_lo, exec_lo, s21
	v_or_b32_e32 v5, v20, v18
	v_or_b32_e32 v7, v19, v17
	;; [unrolled: 1-line block ×4, first 2 shown]
	v_mul_f32_e32 v74, s18, v5
	v_mul_f32_e32 v75, s17, v7
	;; [unrolled: 1-line block ×4, first 2 shown]
	s_and_saveexec_b32 s21, vcc_lo
	s_cbranch_execz .LBB202_530
; %bb.529:                              ;   in Loop: Header=BB202_291 Depth=1
	v_cmp_gt_i32_e64 s0, s33, v50
	v_cndmask_b32_e64 v75, 0, v75, s0
	v_cmp_gt_i32_e64 s0, s33, v53
	v_cndmask_b32_e64 v74, 0, v74, s0
	v_cmp_gt_i32_e64 s0, s33, v52
	v_cndmask_b32_e64 v24, 0, v24, s0
	v_cmp_gt_i32_e64 s0, s33, v51
	v_cndmask_b32_e64 v23, 0, v23, s0
.LBB202_530:                            ;   in Loop: Header=BB202_291 Depth=1
	s_or_b32 exec_lo, exec_lo, s21
	global_load_dword v76, v[15:16], off offset:896
	v_mov_b32_e32 v17, 0
	v_mov_b32_e32 v15, 0
	;; [unrolled: 1-line block ×4, first 2 shown]
	s_waitcnt vmcnt(0)
	v_cmp_ne_u16_sdwa s0, v76, v6 src0_sel:BYTE_0 src1_sel:DWORD
	s_and_saveexec_b32 s21, s0
	s_cbranch_execz .LBB202_538
; %bb.531:                              ;   in Loop: Header=BB202_291 Depth=1
	v_bfrev_b32_e32 v15, 1
	v_mov_b32_e32 v16, 0
	v_cmp_ne_u16_sdwa s0, v76, v37 src0_sel:BYTE_0 src1_sel:DWORD
	s_and_saveexec_b32 s22, s0
	s_cbranch_execz .LBB202_537
; %bb.532:                              ;   in Loop: Header=BB202_291 Depth=1
	v_mov_b32_e32 v15, 0x7f800001
	v_and_b32_e32 v9, 0x7f, v76
	v_mov_b32_e32 v16, 0
	s_mov_b32 s26, exec_lo
	v_cmpx_ne_u32_e32 0x7f, v9
	s_cbranch_execz .LBB202_536
; %bb.533:                              ;   in Loop: Header=BB202_291 Depth=1
	v_and_b32_e32 v5, 7, v76
	v_lshrrev_b32_e32 v7, 3, v9
	s_mov_b32 s27, exec_lo
	v_cmpx_gt_u32_e32 8, v9
; %bb.534:                              ;   in Loop: Header=BB202_291 Depth=1
	v_ffbh_u32_e32 v7, v5
	v_min_u32_e32 v7, 32, v7
	v_subrev_nc_u32_e32 v9, 28, v7
	v_sub_nc_u32_e32 v7, 29, v7
	v_lshlrev_b64 v[15:16], v9, v[5:6]
	v_and_b32_e32 v5, 7, v15
; %bb.535:                              ;   in Loop: Header=BB202_291 Depth=1
	s_or_b32 exec_lo, exec_lo, s27
	v_lshlrev_b32_e32 v9, 24, v76
	v_lshlrev_b32_e32 v5, 20, v5
	v_lshl_add_u32 v7, v7, 23, 0x3c000000
	v_and_b32_e32 v9, 0x80000000, v9
	v_or3_b32 v5, v5, v9, v7
	v_mov_b32_e32 v16, v6
	v_mov_b32_e32 v15, v5
.LBB202_536:                            ;   in Loop: Header=BB202_291 Depth=1
	s_or_b32 exec_lo, exec_lo, s26
.LBB202_537:                            ;   in Loop: Header=BB202_291 Depth=1
	s_or_b32 exec_lo, exec_lo, s22
.LBB202_538:                            ;   in Loop: Header=BB202_291 Depth=1
	s_or_b32 exec_lo, exec_lo, s21
	v_cmp_ne_u16_sdwa s0, v76, v6 src0_sel:BYTE_1 src1_sel:DWORD
	s_and_saveexec_b32 s21, s0
	s_cbranch_execz .LBB202_546
; %bb.539:                              ;   in Loop: Header=BB202_291 Depth=1
	v_mov_b32_e32 v7, v6
	v_mov_b32_e32 v18, v8
	v_cmp_ne_u16_sdwa s0, v76, v37 src0_sel:BYTE_1 src1_sel:DWORD
	v_mov_b32_e32 v17, v7
	s_and_saveexec_b32 s22, s0
	s_cbranch_execz .LBB202_545
; %bb.540:                              ;   in Loop: Header=BB202_291 Depth=1
	v_and_b32_sdwa v5, v38, v76 dst_sel:DWORD dst_unused:UNUSED_PAD src0_sel:DWORD src1_sel:BYTE_1
	v_mov_b32_e32 v9, v6
	v_mov_b32_e32 v18, v10
	s_mov_b32 s26, exec_lo
	v_and_b32_e32 v19, 0x7f, v5
	v_mov_b32_e32 v17, v9
	v_cmpx_ne_u32_e32 0x7f, v19
	s_cbranch_execz .LBB202_544
; %bb.541:                              ;   in Loop: Header=BB202_291 Depth=1
	v_and_b32_e32 v5, 7, v5
	v_lshrrev_b32_e32 v7, 3, v19
	s_mov_b32 s27, exec_lo
	v_cmpx_gt_u32_e32 8, v19
; %bb.542:                              ;   in Loop: Header=BB202_291 Depth=1
	v_ffbh_u32_e32 v7, v5
	v_min_u32_e32 v7, 32, v7
	v_subrev_nc_u32_e32 v9, 28, v7
	v_sub_nc_u32_e32 v7, 29, v7
	v_lshlrev_b64 v[17:18], v9, v[5:6]
	v_and_b32_e32 v5, 7, v17
; %bb.543:                              ;   in Loop: Header=BB202_291 Depth=1
	s_or_b32 exec_lo, exec_lo, s27
	v_lshlrev_b32_e32 v9, 16, v76
	v_lshlrev_b32_e32 v5, 20, v5
	v_lshl_add_u32 v7, v7, 23, 0x3c000000
	v_mov_b32_e32 v17, v6
	v_and_b32_e32 v9, 0x80000000, v9
	v_or3_b32 v18, v5, v9, v7
.LBB202_544:                            ;   in Loop: Header=BB202_291 Depth=1
	s_or_b32 exec_lo, exec_lo, s26
.LBB202_545:                            ;   in Loop: Header=BB202_291 Depth=1
	s_or_b32 exec_lo, exec_lo, s22
.LBB202_546:                            ;   in Loop: Header=BB202_291 Depth=1
	s_or_b32 exec_lo, exec_lo, s21
	v_mov_b32_e32 v21, 0
	v_mov_b32_e32 v19, 0
	v_and_b32_sdwa v5, v76, v39 dst_sel:DWORD dst_unused:UNUSED_PAD src0_sel:WORD_1 src1_sel:DWORD
	v_mov_b32_e32 v22, 0
	v_mov_b32_e32 v20, 0
	s_mov_b32 s21, exec_lo
	v_cmpx_ne_u16_e32 0, v5
	s_cbranch_execz .LBB202_554
; %bb.547:                              ;   in Loop: Header=BB202_291 Depth=1
	v_bfrev_b32_e32 v19, 1
	v_mov_b32_e32 v20, 0
	s_mov_b32 s22, exec_lo
	v_cmpx_ne_u16_e32 0x80, v5
	s_cbranch_execz .LBB202_553
; %bb.548:                              ;   in Loop: Header=BB202_291 Depth=1
	v_mov_b32_e32 v19, 0x7f800001
	v_bfe_u32 v9, v76, 16, 7
	v_mov_b32_e32 v20, 0
	s_mov_b32 s26, exec_lo
	v_cmpx_ne_u32_e32 0x7f, v9
	s_cbranch_execz .LBB202_552
; %bb.549:                              ;   in Loop: Header=BB202_291 Depth=1
	v_and_b32_sdwa v5, v76, v40 dst_sel:DWORD dst_unused:UNUSED_PAD src0_sel:WORD_1 src1_sel:DWORD
	v_lshrrev_b32_e32 v7, 3, v9
	s_mov_b32 s27, exec_lo
	v_cmpx_gt_u32_e32 8, v9
; %bb.550:                              ;   in Loop: Header=BB202_291 Depth=1
	v_ffbh_u32_e32 v7, v5
	v_min_u32_e32 v7, 32, v7
	v_subrev_nc_u32_e32 v9, 28, v7
	v_sub_nc_u32_e32 v7, 29, v7
	v_lshlrev_b64 v[19:20], v9, v[5:6]
	v_and_b32_e32 v5, 7, v19
; %bb.551:                              ;   in Loop: Header=BB202_291 Depth=1
	s_or_b32 exec_lo, exec_lo, s27
	v_lshlrev_b32_sdwa v9, v41, v76 dst_sel:DWORD dst_unused:UNUSED_PAD src0_sel:DWORD src1_sel:WORD_1
	v_lshlrev_b32_e32 v5, 20, v5
	v_lshl_add_u32 v7, v7, 23, 0x3c000000
	v_and_b32_e32 v9, 0x80000000, v9
	v_or3_b32 v5, v5, v9, v7
	v_mov_b32_e32 v20, v6
	v_mov_b32_e32 v19, v5
.LBB202_552:                            ;   in Loop: Header=BB202_291 Depth=1
	s_or_b32 exec_lo, exec_lo, s26
.LBB202_553:                            ;   in Loop: Header=BB202_291 Depth=1
	s_or_b32 exec_lo, exec_lo, s22
.LBB202_554:                            ;   in Loop: Header=BB202_291 Depth=1
	s_or_b32 exec_lo, exec_lo, s21
	s_mov_b32 s21, exec_lo
	v_cmpx_lt_u32_e32 0xffffff, v76
	s_cbranch_execz .LBB202_562
; %bb.555:                              ;   in Loop: Header=BB202_291 Depth=1
	v_mov_b32_e32 v7, v6
	v_mov_b32_e32 v22, v8
	v_cmp_ne_u32_sdwa s0, v76, v37 src0_sel:BYTE_3 src1_sel:DWORD
	v_mov_b32_e32 v21, v7
	s_and_saveexec_b32 s22, s0
	s_cbranch_execz .LBB202_561
; %bb.556:                              ;   in Loop: Header=BB202_291 Depth=1
	v_mov_b32_e32 v9, v6
	v_mov_b32_e32 v22, v10
	v_bfe_u32 v77, v76, 24, 7
	s_mov_b32 s26, exec_lo
	v_mov_b32_e32 v21, v9
	v_cmpx_ne_u32_e32 0x7f, v77
	s_cbranch_execz .LBB202_560
; %bb.557:                              ;   in Loop: Header=BB202_291 Depth=1
	v_and_b32_sdwa v5, v76, v40 dst_sel:DWORD dst_unused:UNUSED_PAD src0_sel:BYTE_3 src1_sel:DWORD
	v_lshrrev_b32_e32 v7, 3, v77
	s_mov_b32 s27, exec_lo
	v_cmpx_gt_u32_e32 8, v77
; %bb.558:                              ;   in Loop: Header=BB202_291 Depth=1
	v_ffbh_u32_e32 v7, v5
	v_min_u32_e32 v7, 32, v7
	v_subrev_nc_u32_e32 v9, 28, v7
	v_sub_nc_u32_e32 v7, 29, v7
	v_lshlrev_b64 v[21:22], v9, v[5:6]
	v_and_b32_e32 v5, 7, v21
; %bb.559:                              ;   in Loop: Header=BB202_291 Depth=1
	s_or_b32 exec_lo, exec_lo, s27
	v_lshlrev_b32_sdwa v9, v41, v76 dst_sel:DWORD dst_unused:UNUSED_PAD src0_sel:DWORD src1_sel:BYTE_3
	v_lshlrev_b32_e32 v5, 20, v5
	v_lshl_add_u32 v7, v7, 23, 0x3c000000
	v_mov_b32_e32 v21, v6
	v_and_b32_e32 v9, 0x80000000, v9
	v_or3_b32 v22, v5, v9, v7
.LBB202_560:                            ;   in Loop: Header=BB202_291 Depth=1
	s_or_b32 exec_lo, exec_lo, s26
.LBB202_561:                            ;   in Loop: Header=BB202_291 Depth=1
	s_or_b32 exec_lo, exec_lo, s22
.LBB202_562:                            ;   in Loop: Header=BB202_291 Depth=1
	s_or_b32 exec_lo, exec_lo, s21
	v_or_b32_e32 v5, v18, v16
	v_or_b32_e32 v7, v17, v15
	;; [unrolled: 1-line block ×4, first 2 shown]
	v_mul_f32_e32 v9, s18, v5
	v_mul_f32_e32 v15, s17, v7
	;; [unrolled: 1-line block ×4, first 2 shown]
	s_and_saveexec_b32 s0, vcc_lo
	s_cbranch_execz .LBB202_289
; %bb.563:                              ;   in Loop: Header=BB202_291 Depth=1
	v_cmp_gt_i32_e32 vcc_lo, s33, v50
	v_cndmask_b32_e32 v15, 0, v15, vcc_lo
	v_cmp_gt_i32_e32 vcc_lo, s33, v53
	v_cndmask_b32_e32 v9, 0, v9, vcc_lo
	;; [unrolled: 2-line block ×4, first 2 shown]
	s_branch .LBB202_289
.LBB202_564:
	s_or_b32 exec_lo, exec_lo, s5
.LBB202_565:
	s_or_b32 exec_lo, exec_lo, s1
	ds_bpermute_b32 v1, v27, v35
	ds_bpermute_b32 v2, v27, v36
	;; [unrolled: 1-line block ×8, first 2 shown]
	v_and_b32_e32 v19, 0x3c7, v0
	s_mov_b32 s0, exec_lo
	s_waitcnt lgkmcnt(0)
	s_barrier
	buffer_gl0_inv
	v_add_f32_e32 v1, v35, v1
	v_add_f32_e32 v2, v36, v2
	;; [unrolled: 1-line block ×8, first 2 shown]
	ds_bpermute_b32 v9, v26, v1
	ds_bpermute_b32 v10, v26, v2
	;; [unrolled: 1-line block ×8, first 2 shown]
	s_waitcnt lgkmcnt(7)
	v_add_f32_e32 v1, v1, v9
	s_waitcnt lgkmcnt(6)
	v_add_f32_e32 v2, v2, v10
	;; [unrolled: 2-line block ×8, first 2 shown]
	ds_bpermute_b32 v11, v25, v1
	ds_bpermute_b32 v12, v25, v2
	;; [unrolled: 1-line block ×8, first 2 shown]
	v_lshrrev_b32_e32 v9, 3, v108
	v_lshl_add_u32 v10, v9, 2, 0xa0
	s_waitcnt lgkmcnt(7)
	v_add_f32_e32 v1, v1, v11
	s_waitcnt lgkmcnt(6)
	v_add_f32_e32 v2, v2, v12
	;; [unrolled: 2-line block ×8, first 2 shown]
	v_cmpx_eq_u32_e32 64, v19
	s_cbranch_execz .LBB202_567
; %bb.566:
	v_lshl_add_u32 v11, v107, 7, v10
	v_add_nc_u32_e32 v12, 0xffffff00, v11
	v_add_nc_u32_e32 v15, 0xffffff30, v11
	;; [unrolled: 1-line block ×8, first 2 shown]
	ds_write_b32 v12, v1
	ds_write_b32 v13, v2
	ds_write_b32 v14, v3
	ds_write_b32 v15, v4
	ds_write_b32 v16, v5
	ds_write_b32 v17, v6
	ds_write_b32 v18, v7
	ds_write_b32 v11, v8
.LBB202_567:
	s_or_b32 exec_lo, exec_lo, s0
	v_and_b32_e32 v11, 0x3e0, v0
	v_lshlrev_b32_e32 v9, 2, v9
	s_mov_b32 s1, exec_lo
	v_cmp_eq_u32_e32 vcc_lo, 0, v28
	s_waitcnt lgkmcnt(0)
	v_lshlrev_b32_e32 v11, 2, v11
	s_barrier
	buffer_gl0_inv
	v_add3_u32 v9, 0xa0, v11, v9
	v_cmpx_gt_u32_e32 64, v0
	s_cbranch_execz .LBB202_578
; %bb.568:
	s_and_saveexec_b32 s0, vcc_lo
	s_cbranch_execnz .LBB202_594
; %bb.569:
	s_or_b32 exec_lo, exec_lo, s0
	s_and_saveexec_b32 s0, vcc_lo
	s_cbranch_execnz .LBB202_595
.LBB202_570:
	s_or_b32 exec_lo, exec_lo, s0
	s_and_saveexec_b32 s0, vcc_lo
	s_cbranch_execnz .LBB202_596
.LBB202_571:
	s_or_b32 exec_lo, exec_lo, s0
	s_and_saveexec_b32 s0, vcc_lo
	s_cbranch_execnz .LBB202_597
.LBB202_572:
	s_or_b32 exec_lo, exec_lo, s0
	s_and_saveexec_b32 s0, vcc_lo
	s_cbranch_execnz .LBB202_598
.LBB202_573:
	s_or_b32 exec_lo, exec_lo, s0
	s_and_saveexec_b32 s0, vcc_lo
	s_cbranch_execnz .LBB202_599
.LBB202_574:
	s_or_b32 exec_lo, exec_lo, s0
	s_and_saveexec_b32 s0, vcc_lo
	s_cbranch_execnz .LBB202_600
.LBB202_575:
	s_or_b32 exec_lo, exec_lo, s0
	s_and_saveexec_b32 s0, vcc_lo
	s_cbranch_execz .LBB202_577
.LBB202_576:
	ds_read_b32 v11, v9 offset:112
	s_waitcnt lgkmcnt(0)
	v_add_f32_e32 v8, v8, v11
.LBB202_577:
	s_or_b32 exec_lo, exec_lo, s0
.LBB202_578:
	s_or_b32 exec_lo, exec_lo, s1
	v_and_b32_e32 v11, 0x3e7, v0
	s_mov_b32 s1, exec_lo
	s_barrier
	buffer_gl0_inv
	v_cmpx_eq_u32_e32 32, v11
	s_cbranch_execz .LBB202_580
; %bb.579:
	ds_write2_b32 v10, v1, v2 offset1:4
	ds_write2_b32 v10, v3, v4 offset0:8 offset1:12
	ds_write2_b32 v10, v5, v6 offset0:16 offset1:20
	;; [unrolled: 1-line block ×3, first 2 shown]
.LBB202_580:
	s_or_b32 exec_lo, exec_lo, s1
	s_mov_b32 s1, exec_lo
	s_waitcnt lgkmcnt(0)
	s_barrier
	buffer_gl0_inv
	v_cmpx_gt_u32_e32 32, v0
	s_cbranch_execz .LBB202_591
; %bb.581:
	s_and_saveexec_b32 s0, vcc_lo
	s_cbranch_execnz .LBB202_601
; %bb.582:
	s_or_b32 exec_lo, exec_lo, s0
	s_and_saveexec_b32 s0, vcc_lo
	s_cbranch_execnz .LBB202_602
.LBB202_583:
	s_or_b32 exec_lo, exec_lo, s0
	s_and_saveexec_b32 s0, vcc_lo
	s_cbranch_execnz .LBB202_603
.LBB202_584:
	s_or_b32 exec_lo, exec_lo, s0
	s_and_saveexec_b32 s0, vcc_lo
	s_cbranch_execnz .LBB202_604
.LBB202_585:
	s_or_b32 exec_lo, exec_lo, s0
	s_and_saveexec_b32 s0, vcc_lo
	s_cbranch_execnz .LBB202_605
.LBB202_586:
	s_or_b32 exec_lo, exec_lo, s0
	s_and_saveexec_b32 s0, vcc_lo
	s_cbranch_execnz .LBB202_606
.LBB202_587:
	s_or_b32 exec_lo, exec_lo, s0
	s_and_saveexec_b32 s0, vcc_lo
	s_cbranch_execnz .LBB202_607
.LBB202_588:
	s_or_b32 exec_lo, exec_lo, s0
	s_and_saveexec_b32 s0, vcc_lo
	s_cbranch_execz .LBB202_590
.LBB202_589:
	ds_read_b32 v9, v9 offset:112
	s_waitcnt lgkmcnt(0)
	v_add_f32_e32 v8, v8, v9
.LBB202_590:
	s_or_b32 exec_lo, exec_lo, s0
.LBB202_591:
	s_or_b32 exec_lo, exec_lo, s1
	s_barrier
	buffer_gl0_inv
	s_mov_b32 s0, exec_lo
	v_cmpx_eq_u32_e32 0, v11
	s_cbranch_execz .LBB202_593
; %bb.592:
	s_mul_i32 s0, s10, s11
	s_mul_i32 s2, s11, s24
	;; [unrolled: 1-line block ×3, first 2 shown]
	v_lshrrev_b32_e32 v0, 1, v0
	s_lshl_b32 s0, s0, 5
	s_ashr_i32 s1, s0, 31
	s_lshl_b64 s[0:1], s[0:1], 2
	s_add_u32 s4, s6, s0
	s_addc_u32 s5, s7, s1
	s_ashr_i32 s3, s2, 31
	s_lshl_b64 s[0:1], s[2:3], 2
	s_add_u32 s2, s4, s0
	s_addc_u32 s3, s5, s1
	s_lshl_b32 s0, s8, 5
	s_ashr_i32 s1, s0, 31
	s_lshl_b64 s[0:1], s[0:1], 2
	s_add_u32 s0, s2, s0
	s_addc_u32 s1, s3, s1
	global_store_dword v0, v1, s[0:1]
	global_store_dword v0, v2, s[0:1] offset:16
	global_store_dword v0, v3, s[0:1] offset:32
	;; [unrolled: 1-line block ×7, first 2 shown]
.LBB202_593:
	s_endpgm
.LBB202_594:
	ds_read_b32 v11, v9
	s_waitcnt lgkmcnt(0)
	v_add_f32_e32 v1, v1, v11
	s_or_b32 exec_lo, exec_lo, s0
	s_and_saveexec_b32 s0, vcc_lo
	s_cbranch_execz .LBB202_570
.LBB202_595:
	ds_read_b32 v11, v9 offset:16
	s_waitcnt lgkmcnt(0)
	v_add_f32_e32 v2, v2, v11
	s_or_b32 exec_lo, exec_lo, s0
	s_and_saveexec_b32 s0, vcc_lo
	s_cbranch_execz .LBB202_571
.LBB202_596:
	ds_read_b32 v11, v9 offset:32
	s_waitcnt lgkmcnt(0)
	v_add_f32_e32 v3, v3, v11
	s_or_b32 exec_lo, exec_lo, s0
	s_and_saveexec_b32 s0, vcc_lo
	s_cbranch_execz .LBB202_572
.LBB202_597:
	ds_read_b32 v11, v9 offset:48
	s_waitcnt lgkmcnt(0)
	v_add_f32_e32 v4, v4, v11
	s_or_b32 exec_lo, exec_lo, s0
	s_and_saveexec_b32 s0, vcc_lo
	s_cbranch_execz .LBB202_573
.LBB202_598:
	ds_read_b32 v11, v9 offset:64
	s_waitcnt lgkmcnt(0)
	v_add_f32_e32 v5, v5, v11
	s_or_b32 exec_lo, exec_lo, s0
	s_and_saveexec_b32 s0, vcc_lo
	s_cbranch_execz .LBB202_574
.LBB202_599:
	ds_read_b32 v11, v9 offset:80
	s_waitcnt lgkmcnt(0)
	v_add_f32_e32 v6, v6, v11
	s_or_b32 exec_lo, exec_lo, s0
	s_and_saveexec_b32 s0, vcc_lo
	s_cbranch_execz .LBB202_575
.LBB202_600:
	ds_read_b32 v11, v9 offset:96
	s_waitcnt lgkmcnt(0)
	v_add_f32_e32 v7, v7, v11
	s_or_b32 exec_lo, exec_lo, s0
	s_and_saveexec_b32 s0, vcc_lo
	s_cbranch_execnz .LBB202_576
	s_branch .LBB202_577
.LBB202_601:
	ds_read_b32 v10, v9
	s_waitcnt lgkmcnt(0)
	v_add_f32_e32 v1, v1, v10
	s_or_b32 exec_lo, exec_lo, s0
	s_and_saveexec_b32 s0, vcc_lo
	s_cbranch_execz .LBB202_583
.LBB202_602:
	ds_read_b32 v10, v9 offset:16
	s_waitcnt lgkmcnt(0)
	v_add_f32_e32 v2, v2, v10
	s_or_b32 exec_lo, exec_lo, s0
	s_and_saveexec_b32 s0, vcc_lo
	s_cbranch_execz .LBB202_584
.LBB202_603:
	ds_read_b32 v10, v9 offset:32
	s_waitcnt lgkmcnt(0)
	v_add_f32_e32 v3, v3, v10
	s_or_b32 exec_lo, exec_lo, s0
	s_and_saveexec_b32 s0, vcc_lo
	s_cbranch_execz .LBB202_585
.LBB202_604:
	ds_read_b32 v10, v9 offset:48
	s_waitcnt lgkmcnt(0)
	v_add_f32_e32 v4, v4, v10
	s_or_b32 exec_lo, exec_lo, s0
	s_and_saveexec_b32 s0, vcc_lo
	s_cbranch_execz .LBB202_586
.LBB202_605:
	ds_read_b32 v10, v9 offset:64
	s_waitcnt lgkmcnt(0)
	v_add_f32_e32 v5, v5, v10
	s_or_b32 exec_lo, exec_lo, s0
	s_and_saveexec_b32 s0, vcc_lo
	s_cbranch_execz .LBB202_587
.LBB202_606:
	ds_read_b32 v10, v9 offset:80
	s_waitcnt lgkmcnt(0)
	v_add_f32_e32 v6, v6, v10
	s_or_b32 exec_lo, exec_lo, s0
	s_and_saveexec_b32 s0, vcc_lo
	s_cbranch_execz .LBB202_588
.LBB202_607:
	ds_read_b32 v10, v9 offset:96
	s_waitcnt lgkmcnt(0)
	v_add_f32_e32 v7, v7, v10
	s_or_b32 exec_lo, exec_lo, s0
	s_and_saveexec_b32 s0, vcc_lo
	s_cbranch_execnz .LBB202_589
	s_branch .LBB202_590
	.section	.rodata,"a",@progbits
	.p2align	6, 0x0
	.amdhsa_kernel _ZN4vllm25paged_attention_v1_kernelIfhLi32ELi32ELi128ELNS_18Fp8KVCacheDataTypeE1ELb1EEEvPT_PKS2_PKT0_S8_ifPKiSA_iPKfiiiSC_SC_iiiii
		.amdhsa_group_segment_fixed_size 160
		.amdhsa_private_segment_fixed_size 0
		.amdhsa_kernarg_size 384
		.amdhsa_user_sgpr_count 6
		.amdhsa_user_sgpr_private_segment_buffer 1
		.amdhsa_user_sgpr_dispatch_ptr 0
		.amdhsa_user_sgpr_queue_ptr 0
		.amdhsa_user_sgpr_kernarg_segment_ptr 1
		.amdhsa_user_sgpr_dispatch_id 0
		.amdhsa_user_sgpr_flat_scratch_init 0
		.amdhsa_user_sgpr_private_segment_size 0
		.amdhsa_wavefront_size32 1
		.amdhsa_uses_dynamic_stack 0
		.amdhsa_system_sgpr_private_segment_wavefront_offset 0
		.amdhsa_system_sgpr_workgroup_id_x 1
		.amdhsa_system_sgpr_workgroup_id_y 1
		.amdhsa_system_sgpr_workgroup_id_z 1
		.amdhsa_system_sgpr_workgroup_info 0
		.amdhsa_system_vgpr_workitem_id 0
		.amdhsa_next_free_vgpr 126
		.amdhsa_next_free_sgpr 44
		.amdhsa_reserve_vcc 1
		.amdhsa_reserve_flat_scratch 0
		.amdhsa_float_round_mode_32 0
		.amdhsa_float_round_mode_16_64 0
		.amdhsa_float_denorm_mode_32 3
		.amdhsa_float_denorm_mode_16_64 3
		.amdhsa_dx10_clamp 1
		.amdhsa_ieee_mode 1
		.amdhsa_fp16_overflow 0
		.amdhsa_workgroup_processor_mode 1
		.amdhsa_memory_ordered 1
		.amdhsa_forward_progress 1
		.amdhsa_shared_vgpr_count 0
		.amdhsa_exception_fp_ieee_invalid_op 0
		.amdhsa_exception_fp_denorm_src 0
		.amdhsa_exception_fp_ieee_div_zero 0
		.amdhsa_exception_fp_ieee_overflow 0
		.amdhsa_exception_fp_ieee_underflow 0
		.amdhsa_exception_fp_ieee_inexact 0
		.amdhsa_exception_int_div_zero 0
	.end_amdhsa_kernel
	.section	.text._ZN4vllm25paged_attention_v1_kernelIfhLi32ELi32ELi128ELNS_18Fp8KVCacheDataTypeE1ELb1EEEvPT_PKS2_PKT0_S8_ifPKiSA_iPKfiiiSC_SC_iiiii,"axG",@progbits,_ZN4vllm25paged_attention_v1_kernelIfhLi32ELi32ELi128ELNS_18Fp8KVCacheDataTypeE1ELb1EEEvPT_PKS2_PKT0_S8_ifPKiSA_iPKfiiiSC_SC_iiiii,comdat
.Lfunc_end202:
	.size	_ZN4vllm25paged_attention_v1_kernelIfhLi32ELi32ELi128ELNS_18Fp8KVCacheDataTypeE1ELb1EEEvPT_PKS2_PKT0_S8_ifPKiSA_iPKfiiiSC_SC_iiiii, .Lfunc_end202-_ZN4vllm25paged_attention_v1_kernelIfhLi32ELi32ELi128ELNS_18Fp8KVCacheDataTypeE1ELb1EEEvPT_PKS2_PKT0_S8_ifPKiSA_iPKfiiiSC_SC_iiiii
                                        ; -- End function
	.set _ZN4vllm25paged_attention_v1_kernelIfhLi32ELi32ELi128ELNS_18Fp8KVCacheDataTypeE1ELb1EEEvPT_PKS2_PKT0_S8_ifPKiSA_iPKfiiiSC_SC_iiiii.num_vgpr, 126
	.set _ZN4vllm25paged_attention_v1_kernelIfhLi32ELi32ELi128ELNS_18Fp8KVCacheDataTypeE1ELb1EEEvPT_PKS2_PKT0_S8_ifPKiSA_iPKfiiiSC_SC_iiiii.num_agpr, 0
	.set _ZN4vllm25paged_attention_v1_kernelIfhLi32ELi32ELi128ELNS_18Fp8KVCacheDataTypeE1ELb1EEEvPT_PKS2_PKT0_S8_ifPKiSA_iPKfiiiSC_SC_iiiii.numbered_sgpr, 44
	.set _ZN4vllm25paged_attention_v1_kernelIfhLi32ELi32ELi128ELNS_18Fp8KVCacheDataTypeE1ELb1EEEvPT_PKS2_PKT0_S8_ifPKiSA_iPKfiiiSC_SC_iiiii.num_named_barrier, 0
	.set _ZN4vllm25paged_attention_v1_kernelIfhLi32ELi32ELi128ELNS_18Fp8KVCacheDataTypeE1ELb1EEEvPT_PKS2_PKT0_S8_ifPKiSA_iPKfiiiSC_SC_iiiii.private_seg_size, 0
	.set _ZN4vllm25paged_attention_v1_kernelIfhLi32ELi32ELi128ELNS_18Fp8KVCacheDataTypeE1ELb1EEEvPT_PKS2_PKT0_S8_ifPKiSA_iPKfiiiSC_SC_iiiii.uses_vcc, 1
	.set _ZN4vllm25paged_attention_v1_kernelIfhLi32ELi32ELi128ELNS_18Fp8KVCacheDataTypeE1ELb1EEEvPT_PKS2_PKT0_S8_ifPKiSA_iPKfiiiSC_SC_iiiii.uses_flat_scratch, 0
	.set _ZN4vllm25paged_attention_v1_kernelIfhLi32ELi32ELi128ELNS_18Fp8KVCacheDataTypeE1ELb1EEEvPT_PKS2_PKT0_S8_ifPKiSA_iPKfiiiSC_SC_iiiii.has_dyn_sized_stack, 0
	.set _ZN4vllm25paged_attention_v1_kernelIfhLi32ELi32ELi128ELNS_18Fp8KVCacheDataTypeE1ELb1EEEvPT_PKS2_PKT0_S8_ifPKiSA_iPKfiiiSC_SC_iiiii.has_recursion, 0
	.set _ZN4vllm25paged_attention_v1_kernelIfhLi32ELi32ELi128ELNS_18Fp8KVCacheDataTypeE1ELb1EEEvPT_PKS2_PKT0_S8_ifPKiSA_iPKfiiiSC_SC_iiiii.has_indirect_call, 0
	.section	.AMDGPU.csdata,"",@progbits
; Kernel info:
; codeLenInByte = 18480
; TotalNumSgprs: 46
; NumVgprs: 126
; ScratchSize: 0
; MemoryBound: 0
; FloatMode: 240
; IeeeMode: 1
; LDSByteSize: 160 bytes/workgroup (compile time only)
; SGPRBlocks: 0
; VGPRBlocks: 15
; NumSGPRsForWavesPerEU: 46
; NumVGPRsForWavesPerEU: 126
; Occupancy: 8
; WaveLimiterHint : 1
; COMPUTE_PGM_RSRC2:SCRATCH_EN: 0
; COMPUTE_PGM_RSRC2:USER_SGPR: 6
; COMPUTE_PGM_RSRC2:TRAP_HANDLER: 0
; COMPUTE_PGM_RSRC2:TGID_X_EN: 1
; COMPUTE_PGM_RSRC2:TGID_Y_EN: 1
; COMPUTE_PGM_RSRC2:TGID_Z_EN: 1
; COMPUTE_PGM_RSRC2:TIDIG_COMP_CNT: 0
	.section	.text._ZN4vllm25paged_attention_v1_kernelIfhLi64ELi32ELi128ELNS_18Fp8KVCacheDataTypeE1ELb1EEEvPT_PKS2_PKT0_S8_ifPKiSA_iPKfiiiSC_SC_iiiii,"axG",@progbits,_ZN4vllm25paged_attention_v1_kernelIfhLi64ELi32ELi128ELNS_18Fp8KVCacheDataTypeE1ELb1EEEvPT_PKS2_PKT0_S8_ifPKiSA_iPKfiiiSC_SC_iiiii,comdat
	.protected	_ZN4vllm25paged_attention_v1_kernelIfhLi64ELi32ELi128ELNS_18Fp8KVCacheDataTypeE1ELb1EEEvPT_PKS2_PKT0_S8_ifPKiSA_iPKfiiiSC_SC_iiiii ; -- Begin function _ZN4vllm25paged_attention_v1_kernelIfhLi64ELi32ELi128ELNS_18Fp8KVCacheDataTypeE1ELb1EEEvPT_PKS2_PKT0_S8_ifPKiSA_iPKfiiiSC_SC_iiiii
	.globl	_ZN4vllm25paged_attention_v1_kernelIfhLi64ELi32ELi128ELNS_18Fp8KVCacheDataTypeE1ELb1EEEvPT_PKS2_PKT0_S8_ifPKiSA_iPKfiiiSC_SC_iiiii
	.p2align	8
	.type	_ZN4vllm25paged_attention_v1_kernelIfhLi64ELi32ELi128ELNS_18Fp8KVCacheDataTypeE1ELb1EEEvPT_PKS2_PKT0_S8_ifPKiSA_iPKfiiiSC_SC_iiiii,@function
_ZN4vllm25paged_attention_v1_kernelIfhLi64ELi32ELi128ELNS_18Fp8KVCacheDataTypeE1ELb1EEEvPT_PKS2_PKT0_S8_ifPKiSA_iPKfiiiSC_SC_iiiii: ; @_ZN4vllm25paged_attention_v1_kernelIfhLi64ELi32ELi128ELNS_18Fp8KVCacheDataTypeE1ELb1EEEvPT_PKS2_PKT0_S8_ifPKiSA_iPKfiiiSC_SC_iiiii
; %bb.0:
	s_mov_b64 s[46:47], s[2:3]
	s_mov_b64 s[44:45], s[0:1]
	s_mov_b32 s10, s7
	s_add_u32 s44, s44, s9
	s_clause 0x2
	s_load_dword s9, s[4:5], 0x80
	s_load_dwordx2 s[0:1], s[4:5], 0x30
	s_load_dwordx2 s[2:3], s[4:5], 0x20
	s_addc_u32 s45, s45, 0
	s_ashr_i32 s11, s7, 31
	v_mov_b32_e32 v5, v0
	s_lshl_b64 s[12:13], s[10:11], 2
	s_mov_b32 s35, 0
	s_waitcnt lgkmcnt(0)
	s_add_u32 s0, s0, s12
	s_addc_u32 s1, s1, s13
	s_abs_i32 s7, s2
	s_abs_i32 s13, s9
	v_cvt_f32_u32_e32 v0, s7
	s_sub_i32 s12, 0, s7
	v_rcp_iflag_f32_e32 v0, v0
	v_mul_f32_e32 v0, 0x4f7ffffe, v0
	v_cvt_u32_f32_e32 v0, v0
	v_readfirstlane_b32 s11, v0
	s_mul_i32 s12, s12, s11
	s_mul_hi_u32 s12, s11, s12
	s_add_i32 s11, s11, s12
	s_xor_b32 s12, s9, s2
	s_mul_hi_u32 s11, s13, s11
	s_ashr_i32 s12, s12, 31
	s_mul_i32 s14, s11, s7
	s_sub_i32 s13, s13, s14
	s_add_i32 s14, s11, 1
	s_sub_i32 s15, s13, s7
	s_cmp_ge_u32 s13, s7
	s_cselect_b32 s11, s14, s11
	s_cselect_b32 s13, s15, s13
	s_add_i32 s14, s11, 1
	s_cmp_ge_u32 s13, s7
	s_cselect_b32 s7, s14, s11
	s_xor_b32 s7, s7, s12
	s_sub_i32 s20, s7, s12
	s_load_dwordx2 s[12:13], s[4:5], 0x40
	s_abs_i32 s11, s20
	v_cvt_f32_u32_e32 v0, s11
	s_sub_i32 s14, 0, s11
	v_rcp_iflag_f32_e32 v0, v0
	v_mul_f32_e32 v0, 0x4f7ffffe, v0
	v_cvt_u32_f32_e32 v0, v0
	v_readfirstlane_b32 s7, v0
	s_mul_i32 s14, s14, s7
	s_mul_hi_u32 s15, s7, s14
	s_abs_i32 s14, s6
	s_add_i32 s7, s7, s15
	s_waitcnt lgkmcnt(0)
	s_cmp_eq_u64 s[12:13], 0
	s_mul_hi_u32 s15, s14, s7
	s_cbranch_scc1 .LBB203_2
; %bb.1:
	s_ashr_i32 s7, s6, 31
	s_lshl_b64 s[16:17], s[6:7], 2
	s_add_u32 s12, s12, s16
	s_addc_u32 s13, s13, s17
	s_load_dword s35, s[12:13], 0x0
.LBB203_2:
	s_load_dword s33, s[0:1], 0x0
	s_load_dwordx4 s[16:19], s[4:5], 0x48
	s_ashr_i32 s0, s6, 31
	s_ashr_i32 s1, s20, 31
	s_lshl_b32 s24, s6, 6
	s_mov_b32 s7, exec_lo
	v_cmpx_gt_u32_e32 16, v5
	s_cbranch_execz .LBB203_4
; %bb.3:
	s_load_dwordx2 s[12:13], s[4:5], 0x8
	s_waitcnt lgkmcnt(0)
	s_mul_i32 s20, s16, s10
	v_lshlrev_b32_e32 v4, 4, v5
	s_ashr_i32 s21, s20, 31
	s_lshl_b64 s[20:21], s[20:21], 2
	s_add_u32 s16, s12, s20
	s_addc_u32 s19, s13, s21
	s_ashr_i32 s25, s24, 31
	s_lshl_b64 s[12:13], s[24:25], 2
	s_add_u32 s12, s16, s12
	s_addc_u32 s13, s19, s13
	global_load_dwordx4 v[0:3], v4, s[12:13]
	s_waitcnt vmcnt(0)
	ds_write_b128 v4, v[0:3]
.LBB203_4:
	s_or_b32 exec_lo, exec_lo, s7
	s_load_dwordx4 s[20:23], s[4:5], 0x68
	s_mul_i32 s7, s15, s11
	s_xor_b32 s1, s0, s1
	s_sub_i32 s0, s14, s7
	s_add_i32 s7, s15, 1
	s_sub_i32 s12, s0, s11
	s_cmp_ge_u32 s0, s11
	s_waitcnt lgkmcnt(0)
	s_cselect_b32 s7, s7, s15
	s_cselect_b32 s0, s12, s0
	s_add_i32 s12, s7, 1
	s_cmp_ge_u32 s0, s11
	s_load_dword s0, s[4:5], 0x78
	s_cselect_b32 s7, s12, s7
	s_mov_b32 s12, -1
	s_xor_b32 s7, s7, s1
	s_barrier
	s_sub_i32 s1, s7, s1
	s_waitcnt lgkmcnt(0)
	buffer_gl0_inv
                                        ; implicit-def: $sgpr25
	s_abs_i32 s16, s23
	v_cvt_f32_u32_e32 v0, s16
	s_sub_i32 s7, 0, s16
	v_rcp_iflag_f32_e32 v0, v0
	v_mul_f32_e32 v0, 0x4f7ffffe, v0
	v_cvt_u32_f32_e32 v0, v0
	v_readfirstlane_b32 s19, v0
	s_mul_i32 s11, s7, s19
	s_add_i32 s7, s33, -1
	s_mul_hi_u32 s13, s19, s11
	s_abs_i32 s11, s7
	s_add_i32 s19, s19, s13
	s_cmp_lt_i32 s0, 0
	s_mul_hi_u32 s34, s11, s19
	s_cbranch_scc0 .LBB203_6
; %bb.5:
	s_mul_i32 s2, s20, s2
	s_mov_b32 s12, 0
	s_add_i32 s2, s1, s2
	s_mul_i32 s2, s2, s0
	s_sub_i32 s25, 1, s2
.LBB203_6:
	s_load_dwordx2 s[26:27], s[4:5], 0x28
	s_ashr_i32 s2, s7, 31
	s_andn2_b32 vcc_lo, exec_lo, s12
	s_ashr_i32 s23, s23, 31
	s_cbranch_vccnz .LBB203_8
; %bb.7:
	s_mul_i32 s7, s9, s20
	s_add_i32 s6, s7, s6
	s_mul_i32 s0, s6, s0
	s_add_i32 s25, s0, 1
.LBB203_8:
	s_clause 0x2
	s_load_dword s0, s[4:5], 0x38
	s_load_dwordx2 s[6:7], s[4:5], 0x0
	s_load_dwordx2 s[30:31], s[4:5], 0x18
	s_mul_i32 s12, s34, s16
	s_xor_b32 s2, s2, s23
	s_sub_i32 s36, s11, s12
	s_add_i32 s20, s34, 1
	s_clause 0x1
	s_load_dword s11, s[4:5], 0x88
	s_load_dwordx4 s[12:15], s[4:5], 0x58
	v_lshrrev_b32_e32 v0, 5, v5
	v_and_b32_e32 v1, 31, v5
	v_mov_b32_e32 v94, 0xff7fffff
	v_lshrrev_b32_e32 v10, 3, v5
	s_mul_i32 s18, s1, s18
	v_lshlrev_b32_e32 v127, 5, v0
	v_lshlrev_b32_e32 v9, 2, v1
	buffer_store_dword v5, off, s[44:47], 0 offset:340 ; 4-byte Folded Spill
	buffer_store_dword v0, off, s[44:47], 0 offset:344 ; 4-byte Folded Spill
	;; [unrolled: 1-line block ×3, first 2 shown]
	s_waitcnt lgkmcnt(0)
	s_mul_i32 s28, s0, s10
	s_sub_i32 s0, s36, s16
	s_ashr_i32 s29, s28, 31
	s_cmp_ge_u32 s36, s16
	s_cselect_b32 s20, s20, s34
	s_cselect_b32 s0, s0, s36
	s_add_i32 s34, s20, 1
	s_cmp_ge_u32 s0, s16
	s_cselect_b32 s0, s34, s20
	s_add_i32 s20, s33, 31
	s_ashr_i32 s34, s20, 31
	s_lshr_b32 s34, s34, 27
	s_add_i32 s20, s20, s34
	s_xor_b32 s34, s0, s2
	s_ashr_i32 s20, s20, 5
	s_sub_i32 s34, s34, s2
	v_cmp_gt_i32_e64 s0, s20, v0
	s_and_saveexec_b32 s36, s0
	s_cbranch_execz .LBB203_528
; %bb.9:
	s_clause 0x1
	buffer_load_dword v3, off, s[44:47], 0 offset:68
	buffer_load_dword v85, off, s[44:47], 0 offset:344
	v_mov_b32_e32 v66, 0
	buffer_store_dword v9, off, s[44:47], 0 offset:352 ; 4-byte Folded Spill
	buffer_store_dword v10, off, s[44:47], 0 offset:348 ; 4-byte Folded Spill
	v_and_b32_e32 v2, 0x7c, v10
	s_load_dwordx2 s[38:39], s[4:5], 0x10
	s_sub_i32 s4, s34, s21
	s_ashr_i32 s1, s18, 31
	v_cmp_neq_f32_e64 vcc_lo, s35, 0
	v_mov_b32_e32 v87, 0x80
	v_bfrev_b32_e32 v82, 1
	v_mov_b32_e32 v62, 0x7f800001
	v_mov_b32_e32 v88, 0xff
	;; [unrolled: 1-line block ×3, first 2 shown]
	s_waitcnt lgkmcnt(0)
	s_add_u32 s2, s38, s18
	s_addc_u32 s1, s39, s1
	s_abs_i32 s5, s22
	s_lshl_b64 s[38:39], s[28:29], 2
	v_cvt_f32_u32_e32 v5, s5
	s_sub_i32 s37, 0, s5
	v_rcp_iflag_f32_e32 v5, v5
	v_mul_f32_e32 v5, 0x4f7ffffe, v5
	v_cvt_u32_f32_e32 v5, v5
	s_waitcnt vmcnt(1)
	v_lshlrev_b32_e32 v1, 4, v3
	s_waitcnt vmcnt(0)
	v_lshl_or_b32 v4, v85, 7, v9
	ds_read_b128 v[6:9], v66
	v_subrev_nc_u32_e32 v3, s33, v3
	v_lshlrev_b32_e32 v0, 5, v85
	s_waitcnt lgkmcnt(0)
	buffer_store_dword v6, off, s[44:47], 0 offset:72 ; 4-byte Folded Spill
	buffer_store_dword v7, off, s[44:47], 0 offset:76 ; 4-byte Folded Spill
	;; [unrolled: 1-line block ×4, first 2 shown]
	ds_read_b128 v[6:9], v66 offset:16
	v_add_nc_u32_e32 v3, 1, v3
	v_add_nc_u32_e32 v86, 0x120, v4
	s_waitcnt lgkmcnt(0)
	buffer_store_dword v6, off, s[44:47], 0 offset:88 ; 4-byte Folded Spill
	buffer_store_dword v7, off, s[44:47], 0 offset:92 ; 4-byte Folded Spill
	buffer_store_dword v8, off, s[44:47], 0 offset:96 ; 4-byte Folded Spill
	buffer_store_dword v9, off, s[44:47], 0 offset:100 ; 4-byte Folded Spill
	ds_read_b128 v[6:9], v66 offset:32
	s_waitcnt lgkmcnt(0)
	buffer_store_dword v6, off, s[44:47], 0 offset:104 ; 4-byte Folded Spill
	buffer_store_dword v7, off, s[44:47], 0 offset:108 ; 4-byte Folded Spill
	buffer_store_dword v8, off, s[44:47], 0 offset:112 ; 4-byte Folded Spill
	buffer_store_dword v9, off, s[44:47], 0 offset:116 ; 4-byte Folded Spill
	ds_read_b128 v[6:9], v66 offset:48
	;; [unrolled: 6-line block ×11, first 2 shown]
	v_mul_lo_u32 v6, s37, v5
	s_mov_b32 s37, 0
	s_waitcnt lgkmcnt(0)
	buffer_store_dword v7, off, s[44:47], 0 offset:264 ; 4-byte Folded Spill
	buffer_store_dword v8, off, s[44:47], 0 offset:268 ; 4-byte Folded Spill
	buffer_store_dword v9, off, s[44:47], 0 offset:272 ; 4-byte Folded Spill
	buffer_store_dword v10, off, s[44:47], 0 offset:276 ; 4-byte Folded Spill
	ds_read_b128 v[7:10], v66 offset:208
	s_waitcnt lgkmcnt(0)
	buffer_store_dword v7, off, s[44:47], 0 offset:280 ; 4-byte Folded Spill
	buffer_store_dword v8, off, s[44:47], 0 offset:284 ; 4-byte Folded Spill
	buffer_store_dword v9, off, s[44:47], 0 offset:288 ; 4-byte Folded Spill
	buffer_store_dword v10, off, s[44:47], 0 offset:292 ; 4-byte Folded Spill
	ds_read_b128 v[7:10], v66 offset:224
	s_waitcnt lgkmcnt(0)
	buffer_store_dword v7, off, s[44:47], 0 offset:296 ; 4-byte Folded Spill
	buffer_store_dword v8, off, s[44:47], 0 offset:300 ; 4-byte Folded Spill
	buffer_store_dword v9, off, s[44:47], 0 offset:304 ; 4-byte Folded Spill
	buffer_store_dword v10, off, s[44:47], 0 offset:308 ; 4-byte Folded Spill
	ds_read_b128 v[7:10], v66 offset:240
	s_waitcnt lgkmcnt(0)
	buffer_store_dword v7, off, s[44:47], 0 offset:312 ; 4-byte Folded Spill
	buffer_store_dword v8, off, s[44:47], 0 offset:316 ; 4-byte Folded Spill
	;; [unrolled: 1-line block ×5, first 2 shown]
	v_mul_hi_u32 v3, v5, v6
	v_add_co_u32 v6, s2, s2, v1
	v_add_co_ci_u32_e64 v7, null, s1, 0, s2
	s_add_u32 s1, s26, s38
	s_addc_u32 s2, s27, s39
	v_add_co_u32 v73, s1, s1, v2
	v_add_co_ci_u32_e64 v74, null, s2, 0, s1
	v_add_nc_u32_e32 v1, v5, v3
	s_mov_b32 s38, s17
	buffer_store_dword v6, off, s[44:47], 0 offset:332 ; 4-byte Folded Spill
	buffer_store_dword v7, off, s[44:47], 0 offset:336 ; 4-byte Folded Spill
	;; [unrolled: 1-line block ×3, first 2 shown]
	s_branch .LBB203_15
.LBB203_10:                             ;   in Loop: Header=BB203_15 Depth=1
	s_or_b32 exec_lo, exec_lo, s43
	v_mov_b32_e32 v67, 24
	v_lshlrev_b32_e32 v65, 20, v65
	v_lshl_add_u32 v61, v61, 23, 0x3c000000
	v_lshlrev_b32_sdwa v67, v67, v93 dst_sel:DWORD dst_unused:UNUSED_PAD src0_sel:DWORD src1_sel:BYTE_3
	v_and_b32_e32 v67, 0x80000000, v67
	v_or3_b32 v68, v65, v67, v61
	v_mov_b32_e32 v67, v66
.LBB203_11:                             ;   in Loop: Header=BB203_15 Depth=1
	s_or_b32 exec_lo, exec_lo, s42
.LBB203_12:                             ;   in Loop: Header=BB203_15 Depth=1
	s_or_b32 exec_lo, exec_lo, s41
.LBB203_13:                             ;   in Loop: Header=BB203_15 Depth=1
	s_or_b32 exec_lo, exec_lo, s40
	v_or_b32_e32 v6, v8, v6
	v_or_b32_e32 v8, v9, v11
	;; [unrolled: 1-line block ×6, first 2 shown]
	s_waitcnt lgkmcnt(0)
	v_mul_f32_e32 v5, s39, v6
	v_or_b32_e32 v6, v10, v12
	v_mul_f32_e32 v12, s39, v11
	v_mul_f32_e32 v11, s39, v2
	v_or_b32_e32 v2, v119, v117
	v_or_b32_e32 v23, v23, v21
	v_mul_f32_e32 v21, s39, v22
	v_or_b32_e32 v22, v26, v28
	v_or_b32_e32 v30, v32, v30
	;; [unrolled: 3-line block ×3, first 2 shown]
	v_or_b32_e32 v38, v40, v38
	v_or_b32_e32 v40, v41, v43
	;; [unrolled: 1-line block ×3, first 2 shown]
	v_mul_f32_e32 v33, s39, v2
	v_or_b32_e32 v2, v111, v109
	v_or_b32_e32 v48, v49, v51
	;; [unrolled: 1-line block ×5, first 2 shown]
	v_mul_f32_e32 v41, s39, v2
	v_or_b32_e32 v2, v113, v115
	v_mul_f32_e32 v17, s39, v1
	v_or_b32_e32 v1, v120, v118
	v_or_b32_e32 v24, v25, v27
	;; [unrolled: 1-line block ×3, first 2 shown]
	v_mul_f32_e32 v35, s39, v2
	v_or_b32_e32 v2, v103, v101
	v_mul_f32_e32 v26, s39, v1
	v_or_b32_e32 v1, v122, v124
	;; [unrolled: 2-line block ×5, first 2 shown]
	v_or_b32_e32 v39, v39, v37
	v_mul_f32_e32 v37, s39, v38
	v_mul_f32_e32 v49, s39, v2
	s_clause 0x1
	buffer_load_dword v2, off, s[44:47], 0 offset:56
	buffer_load_dword v3, off, s[44:47], 0 offset:60
	v_mul_f32_e32 v36, s39, v1
	v_or_b32_e32 v1, v114, v116
	v_or_b32_e32 v38, v42, v44
	v_or_b32_e32 v54, v56, v54
	v_or_b32_e32 v56, v69, v59
	v_or_b32_e32 v15, v15, v13
	v_mul_f32_e32 v34, s39, v1
	v_or_b32_e32 v1, v104, v102
	v_mul_f32_e32 v13, s39, v14
	v_or_b32_e32 v14, v18, v20
	v_or_b32_e32 v47, v47, v45
	v_mul_f32_e32 v45, s39, v46
	v_mul_f32_e32 v42, s39, v1
	v_or_b32_e32 v1, v108, v106
	v_or_b32_e32 v46, v50, v52
	;; [unrolled: 1-line block ×4, first 2 shown]
	v_mul_f32_e32 v53, s39, v54
	v_mul_f32_e32 v44, s39, v1
	v_or_b32_e32 v54, v70, v60
	v_or_b32_e32 v4, v67, v79
	;; [unrolled: 1-line block ×3, first 2 shown]
	v_mul_f32_e32 v57, s39, v58
	v_or_b32_e32 v58, v76, v84
	v_or_b32_e32 v63, v75, v83
	;; [unrolled: 1-line block ×3, first 2 shown]
	v_mul_f32_e32 v7, s39, v7
	v_mul_f32_e32 v6, s39, v6
	;; [unrolled: 1-line block ×26, first 2 shown]
	s_waitcnt vmcnt(1)
	v_or_b32_e32 v2, v95, v2
	s_waitcnt vmcnt(0)
	v_or_b32_e32 v1, v96, v3
	v_mul_f32_e32 v51, s39, v2
	v_or_b32_e32 v2, v99, v97
	v_mul_f32_e32 v50, s39, v1
	v_or_b32_e32 v1, v100, v98
	v_mul_f32_e32 v59, s39, v2
	s_clause 0x3
	buffer_load_dword v2, off, s[44:47], 0 offset:32
	buffer_load_dword v3, off, s[44:47], 0 offset:36
	;; [unrolled: 1-line block ×4, first 2 shown]
	v_mul_f32_e32 v52, s39, v1
	s_waitcnt vmcnt(1)
	v_or_b32_e32 v2, v18, v2
	s_waitcnt vmcnt(0)
	v_or_b32_e32 v1, v19, v3
	v_mul_f32_e32 v18, s39, v2
	s_clause 0x1
	buffer_load_dword v2, off, s[44:47], 0 offset:48
	buffer_load_dword v3, off, s[44:47], 0 offset:52
	v_mul_f32_e32 v19, s39, v1
	s_waitcnt vmcnt(1)
	v_or_b32_e32 v2, v89, v2
	s_waitcnt vmcnt(0)
	v_or_b32_e32 v1, v90, v3
	v_mul_f32_e32 v20, s39, v2
	s_clause 0x3
	buffer_load_dword v2, off, s[44:47], 0
	buffer_load_dword v3, off, s[44:47], 0 offset:4
	buffer_load_dword v64, off, s[44:47], 0 offset:8
	buffer_load_dword v65, off, s[44:47], 0 offset:12
	v_mul_f32_e32 v25, s39, v1
	s_waitcnt vmcnt(1)
	v_or_b32_e32 v2, v64, v2
	s_waitcnt vmcnt(0)
	v_or_b32_e32 v1, v65, v3
	v_mul_f32_e32 v64, s39, v2
	s_clause 0x3
	buffer_load_dword v2, off, s[44:47], 0 offset:16
	buffer_load_dword v3, off, s[44:47], 0 offset:20
	buffer_load_dword v69, off, s[44:47], 0 offset:24
	buffer_load_dword v70, off, s[44:47], 0 offset:28
	v_mul_f32_e32 v60, s39, v1
	s_waitcnt vmcnt(1)
	v_or_b32_e32 v2, v69, v2
	s_waitcnt vmcnt(0)
	v_or_b32_e32 v1, v70, v3
	v_or_b32_e32 v3, v77, v91
	v_mul_f32_e32 v69, s39, v2
	v_mul_f32_e32 v65, s39, v1
	s_clause 0x1
	buffer_load_dword v1, off, s[44:47], 0 offset:68
	buffer_load_dword v2, off, s[44:47], 0 offset:328
	v_mul_f32_e32 v9, s39, v3
	s_waitcnt vmcnt(1)
	v_add_nc_u32_e32 v1, v1, v0
	s_waitcnt vmcnt(0)
	v_add_nc_u32_e32 v2, v2, v0
	v_cmp_gt_i32_e64 s1, s33, v1
	v_cvt_f32_i32_e32 v2, v2
	v_or_b32_e32 v1, v78, v92
	v_mul_f32_e32 v70, s35, v2
	v_mul_f32_e32 v2, s39, v1
	v_or_b32_e32 v1, v68, v80
	s_clause 0x3
	buffer_load_dword v78, off, s[44:47], 0 offset:88
	buffer_load_dword v79, off, s[44:47], 0 offset:92
	;; [unrolled: 1-line block ×4, first 2 shown]
	v_mul_f32_e32 v3, s39, v1
	v_cndmask_b32_e32 v1, 0, v70, vcc_lo
	s_waitcnt vmcnt(3)
	v_mul_f32_e32 v18, v78, v18
	s_clause 0x3
	buffer_load_dword v75, off, s[44:47], 0 offset:72
	buffer_load_dword v76, off, s[44:47], 0 offset:76
	;; [unrolled: 1-line block ×4, first 2 shown]
	s_waitcnt vmcnt(5)
	v_mul_f32_e32 v20, v80, v20
	v_mul_f32_e32 v19, v79, v19
	s_waitcnt vmcnt(4)
	v_mul_f32_e32 v25, v81, v25
	s_waitcnt vmcnt(3)
	v_fmac_f32_e32 v18, v75, v64
	s_waitcnt vmcnt(2)
	v_fmac_f32_e32 v19, v76, v60
	;; [unrolled: 2-line block ×3, first 2 shown]
	s_clause 0x3
	buffer_load_dword v67, off, s[44:47], 0 offset:104
	buffer_load_dword v68, off, s[44:47], 0 offset:108
	buffer_load_dword v69, off, s[44:47], 0 offset:112
	buffer_load_dword v70, off, s[44:47], 0 offset:116
	s_waitcnt vmcnt(4)
	v_fmac_f32_e32 v25, v78, v65
	s_waitcnt vmcnt(3)
	v_fmac_f32_e32 v18, v67, v51
	;; [unrolled: 2-line block ×5, first 2 shown]
	s_clause 0x3
	buffer_load_dword v67, off, s[44:47], 0 offset:120
	buffer_load_dword v68, off, s[44:47], 0 offset:124
	;; [unrolled: 1-line block ×4, first 2 shown]
	s_waitcnt vmcnt(3)
	v_fmac_f32_e32 v18, v67, v43
	s_waitcnt vmcnt(2)
	v_fmac_f32_e32 v19, v68, v42
	;; [unrolled: 2-line block ×3, first 2 shown]
	s_clause 0x3
	buffer_load_dword v49, off, s[44:47], 0 offset:136
	buffer_load_dword v50, off, s[44:47], 0 offset:140
	;; [unrolled: 1-line block ×4, first 2 shown]
	s_waitcnt vmcnt(4)
	v_fmac_f32_e32 v25, v70, v44
	s_waitcnt vmcnt(3)
	v_fmac_f32_e32 v18, v49, v41
	s_clause 0x3
	buffer_load_dword v41, off, s[44:47], 0 offset:152
	buffer_load_dword v42, off, s[44:47], 0 offset:156
	;; [unrolled: 1-line block ×4, first 2 shown]
	s_waitcnt vmcnt(5)
	v_fmac_f32_e32 v20, v51, v35
	v_fmac_f32_e32 v19, v50, v36
	s_waitcnt vmcnt(4)
	v_fmac_f32_e32 v25, v52, v34
	s_waitcnt vmcnt(3)
	;; [unrolled: 2-line block ×4, first 2 shown]
	v_fmac_f32_e32 v20, v43, v33
	s_clause 0x3
	buffer_load_dword v33, off, s[44:47], 0 offset:168
	buffer_load_dword v34, off, s[44:47], 0 offset:172
	;; [unrolled: 1-line block ×4, first 2 shown]
	s_waitcnt vmcnt(4)
	v_fmac_f32_e32 v25, v44, v27
	s_waitcnt vmcnt(3)
	v_fmac_f32_e32 v18, v33, v12
	;; [unrolled: 2-line block ×5, first 2 shown]
	s_clause 0x3
	buffer_load_dword v33, off, s[44:47], 0 offset:184
	buffer_load_dword v34, off, s[44:47], 0 offset:188
	buffer_load_dword v35, off, s[44:47], 0 offset:192
	buffer_load_dword v36, off, s[44:47], 0 offset:196
	s_waitcnt vmcnt(3)
	v_fmac_f32_e32 v18, v33, v7
	s_waitcnt vmcnt(2)
	v_fmac_f32_e32 v19, v34, v5
	s_waitcnt vmcnt(1)
	v_fmac_f32_e32 v20, v35, v8
	s_waitcnt vmcnt(0)
	v_fmac_f32_e32 v25, v36, v6
	s_clause 0x3
	buffer_load_dword v5, off, s[44:47], 0 offset:200
	buffer_load_dword v6, off, s[44:47], 0 offset:204
	buffer_load_dword v7, off, s[44:47], 0 offset:208
	buffer_load_dword v8, off, s[44:47], 0 offset:212
	s_waitcnt vmcnt(3)
	v_fmac_f32_e32 v18, v5, v15
	s_waitcnt vmcnt(2)
	v_fmac_f32_e32 v19, v6, v13
	s_waitcnt vmcnt(1)
	v_fmac_f32_e32 v20, v7, v16
	s_waitcnt vmcnt(0)
	v_fmac_f32_e32 v25, v8, v14
	;; [unrolled: 13-line block ×9, first 2 shown]
	v_add_f32_e32 v2, v18, v19
	v_add_f32_e32 v2, v2, v20
	;; [unrolled: 1-line block ×3, first 2 shown]
	v_fmac_f32_e32 v1, s3, v2
	v_cndmask_b32_e64 v2, 0, v1, s1
	ds_write_b32 v86, v2
	v_max_f32_e32 v2, v94, v94
	v_max_f32_e32 v1, v2, v1
	v_cndmask_b32_e64 v94, v94, v1, s1
.LBB203_14:                             ;   in Loop: Header=BB203_15 Depth=1
	s_or_b32 exec_lo, exec_lo, s2
	v_add_nc_u32_e32 v85, 4, v85
	v_add_co_u32 v73, s2, v73, 16
	v_add_co_ci_u32_e64 v74, null, 0, v74, s2
	v_cmp_le_i32_e64 s1, s20, v85
	v_add_nc_u32_e32 v0, 0x80, v0
	v_add_nc_u32_e32 v86, 0x200, v86
	s_or_b32 s37, s1, s37
	s_andn2_b32 exec_lo, exec_lo, s37
	s_cbranch_execz .LBB203_527
.LBB203_15:                             ; =>This Inner Loop Header: Depth=1
	v_mul_hi_u32 v1, v0, s19
	v_mul_lo_u32 v2, v1, s16
	v_add_nc_u32_e32 v3, 1, v1
	v_sub_nc_u32_e32 v2, v0, v2
	v_subrev_nc_u32_e32 v4, s16, v2
	v_cmp_le_u32_e64 s1, s16, v2
	v_cndmask_b32_e64 v2, v2, v4, s1
	buffer_load_dword v4, off, s[44:47], 0 offset:64 ; 4-byte Folded Reload
	v_cndmask_b32_e64 v1, v1, v3, s1
	v_cmp_le_u32_e64 s1, s16, v2
	v_add_nc_u32_e32 v3, 1, v1
	v_cndmask_b32_e64 v1, v1, v3, s1
	v_xor_b32_e32 v1, s23, v1
	v_subrev_nc_u32_e32 v1, s23, v1
	v_add_nc_u32_e32 v2, s25, v1
	v_cmp_ge_i32_e64 s2, s4, v1
	v_sub_nc_u32_e32 v3, 0, v2
	v_max_i32_e32 v3, v2, v3
	v_ashrrev_i32_e32 v2, 31, v2
	s_waitcnt vmcnt(0)
	v_mul_hi_u32 v4, v3, v4
	v_mul_lo_u32 v4, v4, s5
	v_sub_nc_u32_e32 v3, v3, v4
	v_subrev_nc_u32_e32 v4, s5, v3
	v_cmp_le_u32_e64 s1, s5, v3
	v_cndmask_b32_e64 v3, v3, v4, s1
	v_subrev_nc_u32_e32 v4, s5, v3
	v_cmp_le_u32_e64 s1, s5, v3
	v_cndmask_b32_e64 v3, v3, v4, s1
	v_xor_b32_e32 v3, v3, v2
	v_sub_nc_u32_e32 v2, v3, v2
	v_cmp_ne_u32_e64 s1, 0, v2
	s_and_b32 s1, s1, s2
	s_and_saveexec_b32 s2, s1
	s_xor_b32 s1, exec_lo, s2
; %bb.16:                               ;   in Loop: Header=BB203_15 Depth=1
	v_mov_b32_e32 v1, 0xff7fffff
	ds_write_b32 v86, v1
; %bb.17:                               ;   in Loop: Header=BB203_15 Depth=1
	s_andn2_saveexec_b32 s2, s1
	s_cbranch_execz .LBB203_14
; %bb.18:                               ;   in Loop: Header=BB203_15 Depth=1
	global_load_dword v1, v[73:74], off
	s_clause 0x1
	buffer_load_dword v2, off, s[44:47], 0 offset:332
	buffer_load_dword v3, off, s[44:47], 0 offset:336
	s_load_dword s39, s[12:13], 0x0
	s_waitcnt vmcnt(0)
	v_mad_i64_i32 v[91:92], null, v1, s38, v[2:3]
	v_mov_b32_e32 v2, 0
	v_mov_b32_e32 v3, 0
	global_load_dword v1, v[91:92], off
	buffer_store_dword v2, off, s[44:47], 0 offset:8 ; 4-byte Folded Spill
	buffer_store_dword v3, off, s[44:47], 0 offset:12 ; 4-byte Folded Spill
	v_mov_b32_e32 v2, 0
	v_mov_b32_e32 v3, 0
	buffer_store_dword v2, off, s[44:47], 0 ; 4-byte Folded Spill
	buffer_store_dword v3, off, s[44:47], 0 offset:4 ; 4-byte Folded Spill
	s_waitcnt vmcnt(0)
	v_cmp_ne_u16_sdwa s1, v1, v66 src0_sel:BYTE_0 src1_sel:DWORD
	s_and_saveexec_b32 s40, s1
	s_cbranch_execz .LBB203_26
; %bb.19:                               ;   in Loop: Header=BB203_15 Depth=1
	v_bfrev_b32_e32 v2, 1
	v_mov_b32_e32 v3, 0
	v_cmp_ne_u16_sdwa s1, v1, v87 src0_sel:BYTE_0 src1_sel:DWORD
	buffer_store_dword v2, off, s[44:47], 0 ; 4-byte Folded Spill
	buffer_store_dword v3, off, s[44:47], 0 offset:4 ; 4-byte Folded Spill
	s_and_saveexec_b32 s41, s1
	s_cbranch_execz .LBB203_25
; %bb.20:                               ;   in Loop: Header=BB203_15 Depth=1
	v_mov_b32_e32 v4, 0x7f800001
	v_and_b32_e32 v3, 0x7f, v1
	v_mov_b32_e32 v5, 0
	s_mov_b32 s42, exec_lo
	buffer_store_dword v4, off, s[44:47], 0 ; 4-byte Folded Spill
	buffer_store_dword v5, off, s[44:47], 0 offset:4 ; 4-byte Folded Spill
	v_cmpx_ne_u32_e32 0x7f, v3
	s_cbranch_execz .LBB203_24
; %bb.21:                               ;   in Loop: Header=BB203_15 Depth=1
	v_and_b32_e32 v65, 7, v1
	v_lshrrev_b32_e32 v2, 3, v3
	s_mov_b32 s43, exec_lo
	v_cmpx_gt_u32_e32 8, v3
; %bb.22:                               ;   in Loop: Header=BB203_15 Depth=1
	v_ffbh_u32_e32 v2, v65
	v_min_u32_e32 v2, 32, v2
	v_subrev_nc_u32_e32 v3, 28, v2
	v_sub_nc_u32_e32 v2, 29, v2
	v_lshlrev_b64 v[3:4], v3, v[65:66]
	v_and_b32_e32 v65, 7, v3
; %bb.23:                               ;   in Loop: Header=BB203_15 Depth=1
	s_or_b32 exec_lo, exec_lo, s43
	v_lshlrev_b32_e32 v3, 24, v1
	v_lshlrev_b32_e32 v4, 20, v65
	v_lshl_add_u32 v2, v2, 23, 0x3c000000
	v_and_b32_e32 v3, 0x80000000, v3
	v_or3_b32 v65, v4, v3, v2
	buffer_store_dword v65, off, s[44:47], 0 ; 4-byte Folded Spill
	buffer_store_dword v66, off, s[44:47], 0 offset:4 ; 4-byte Folded Spill
.LBB203_24:                             ;   in Loop: Header=BB203_15 Depth=1
	s_or_b32 exec_lo, exec_lo, s42
.LBB203_25:                             ;   in Loop: Header=BB203_15 Depth=1
	s_or_b32 exec_lo, exec_lo, s41
.LBB203_26:                             ;   in Loop: Header=BB203_15 Depth=1
	s_or_b32 exec_lo, exec_lo, s40
	v_cmp_ne_u16_sdwa s1, v1, v66 src0_sel:BYTE_1 src1_sel:DWORD
	s_and_saveexec_b32 s40, s1
	s_cbranch_execz .LBB203_34
; %bb.27:                               ;   in Loop: Header=BB203_15 Depth=1
	v_mov_b32_e32 v81, v66
	v_cmp_ne_u16_sdwa s1, v1, v87 src0_sel:BYTE_1 src1_sel:DWORD
	buffer_store_dword v81, off, s[44:47], 0 offset:8 ; 4-byte Folded Spill
	buffer_store_dword v82, off, s[44:47], 0 offset:12 ; 4-byte Folded Spill
	s_and_saveexec_b32 s41, s1
	s_cbranch_execz .LBB203_33
; %bb.28:                               ;   in Loop: Header=BB203_15 Depth=1
	v_mov_b32_e32 v2, 0xffff
	v_mov_b32_e32 v61, v66
	s_mov_b32 s42, exec_lo
	buffer_store_dword v61, off, s[44:47], 0 offset:8 ; 4-byte Folded Spill
	buffer_store_dword v62, off, s[44:47], 0 offset:12 ; 4-byte Folded Spill
	v_and_b32_sdwa v2, v2, v1 dst_sel:DWORD dst_unused:UNUSED_PAD src0_sel:DWORD src1_sel:BYTE_1
	v_and_b32_e32 v3, 0x7f, v2
	v_cmpx_ne_u32_e32 0x7f, v3
	s_cbranch_execz .LBB203_32
; %bb.29:                               ;   in Loop: Header=BB203_15 Depth=1
	v_and_b32_e32 v65, 7, v2
	v_lshrrev_b32_e32 v2, 3, v3
	s_mov_b32 s43, exec_lo
	v_cmpx_gt_u32_e32 8, v3
; %bb.30:                               ;   in Loop: Header=BB203_15 Depth=1
	v_ffbh_u32_e32 v2, v65
	v_min_u32_e32 v2, 32, v2
	v_subrev_nc_u32_e32 v3, 28, v2
	v_sub_nc_u32_e32 v2, 29, v2
	v_lshlrev_b64 v[3:4], v3, v[65:66]
	v_and_b32_e32 v65, 7, v3
; %bb.31:                               ;   in Loop: Header=BB203_15 Depth=1
	s_or_b32 exec_lo, exec_lo, s43
	v_lshlrev_b32_e32 v3, 16, v1
	v_lshlrev_b32_e32 v4, 20, v65
	v_lshl_add_u32 v2, v2, 23, 0x3c000000
	v_and_b32_e32 v3, 0x80000000, v3
	v_or3_b32 v3, v4, v3, v2
	v_mov_b32_e32 v2, v66
	buffer_store_dword v2, off, s[44:47], 0 offset:8 ; 4-byte Folded Spill
	buffer_store_dword v3, off, s[44:47], 0 offset:12 ; 4-byte Folded Spill
.LBB203_32:                             ;   in Loop: Header=BB203_15 Depth=1
	s_or_b32 exec_lo, exec_lo, s42
.LBB203_33:                             ;   in Loop: Header=BB203_15 Depth=1
	s_or_b32 exec_lo, exec_lo, s41
.LBB203_34:                             ;   in Loop: Header=BB203_15 Depth=1
	s_or_b32 exec_lo, exec_lo, s40
	v_mov_b32_e32 v3, 0
	v_mov_b32_e32 v4, 0
	v_and_b32_sdwa v2, v1, v88 dst_sel:DWORD dst_unused:UNUSED_PAD src0_sel:WORD_1 src1_sel:DWORD
	s_mov_b32 s40, exec_lo
	buffer_store_dword v3, off, s[44:47], 0 offset:24 ; 4-byte Folded Spill
	buffer_store_dword v4, off, s[44:47], 0 offset:28 ; 4-byte Folded Spill
	v_mov_b32_e32 v3, 0
	v_mov_b32_e32 v4, 0
	buffer_store_dword v3, off, s[44:47], 0 offset:16 ; 4-byte Folded Spill
	buffer_store_dword v4, off, s[44:47], 0 offset:20 ; 4-byte Folded Spill
	v_cmpx_ne_u16_e32 0, v2
	s_cbranch_execz .LBB203_42
; %bb.35:                               ;   in Loop: Header=BB203_15 Depth=1
	v_bfrev_b32_e32 v3, 1
	v_mov_b32_e32 v4, 0
	s_mov_b32 s41, exec_lo
	buffer_store_dword v3, off, s[44:47], 0 offset:16 ; 4-byte Folded Spill
	buffer_store_dword v4, off, s[44:47], 0 offset:20 ; 4-byte Folded Spill
	v_cmpx_ne_u16_e32 0x80, v2
	s_cbranch_execz .LBB203_41
; %bb.36:                               ;   in Loop: Header=BB203_15 Depth=1
	v_mov_b32_e32 v4, 0x7f800001
	v_bfe_u32 v3, v1, 16, 7
	v_mov_b32_e32 v5, 0
	s_mov_b32 s42, exec_lo
	buffer_store_dword v4, off, s[44:47], 0 offset:16 ; 4-byte Folded Spill
	buffer_store_dword v5, off, s[44:47], 0 offset:20 ; 4-byte Folded Spill
	v_cmpx_ne_u32_e32 0x7f, v3
	s_cbranch_execz .LBB203_40
; %bb.37:                               ;   in Loop: Header=BB203_15 Depth=1
	v_mov_b32_e32 v2, 7
	s_mov_b32 s43, exec_lo
	v_and_b32_sdwa v65, v1, v2 dst_sel:DWORD dst_unused:UNUSED_PAD src0_sel:WORD_1 src1_sel:DWORD
	v_lshrrev_b32_e32 v2, 3, v3
	v_cmpx_gt_u32_e32 8, v3
; %bb.38:                               ;   in Loop: Header=BB203_15 Depth=1
	v_ffbh_u32_e32 v2, v65
	v_min_u32_e32 v2, 32, v2
	v_subrev_nc_u32_e32 v3, 28, v2
	v_sub_nc_u32_e32 v2, 29, v2
	v_lshlrev_b64 v[3:4], v3, v[65:66]
	v_and_b32_e32 v65, 7, v3
; %bb.39:                               ;   in Loop: Header=BB203_15 Depth=1
	s_or_b32 exec_lo, exec_lo, s43
	v_mov_b32_e32 v3, 24
	v_lshlrev_b32_e32 v4, 20, v65
	v_lshl_add_u32 v2, v2, 23, 0x3c000000
	v_lshlrev_b32_sdwa v3, v3, v1 dst_sel:DWORD dst_unused:UNUSED_PAD src0_sel:DWORD src1_sel:WORD_1
	v_and_b32_e32 v3, 0x80000000, v3
	v_or3_b32 v65, v4, v3, v2
	buffer_store_dword v65, off, s[44:47], 0 offset:16 ; 4-byte Folded Spill
	buffer_store_dword v66, off, s[44:47], 0 offset:20 ; 4-byte Folded Spill
.LBB203_40:                             ;   in Loop: Header=BB203_15 Depth=1
	s_or_b32 exec_lo, exec_lo, s42
.LBB203_41:                             ;   in Loop: Header=BB203_15 Depth=1
	s_or_b32 exec_lo, exec_lo, s41
.LBB203_42:                             ;   in Loop: Header=BB203_15 Depth=1
	s_or_b32 exec_lo, exec_lo, s40
	s_mov_b32 s40, exec_lo
	v_cmpx_lt_u32_e32 0xffffff, v1
	s_cbranch_execz .LBB203_50
; %bb.43:                               ;   in Loop: Header=BB203_15 Depth=1
	v_mov_b32_e32 v81, v66
	v_cmp_ne_u32_sdwa s1, v1, v87 src0_sel:BYTE_3 src1_sel:DWORD
	buffer_store_dword v81, off, s[44:47], 0 offset:24 ; 4-byte Folded Spill
	buffer_store_dword v82, off, s[44:47], 0 offset:28 ; 4-byte Folded Spill
	s_and_saveexec_b32 s41, s1
	s_cbranch_execz .LBB203_49
; %bb.44:                               ;   in Loop: Header=BB203_15 Depth=1
	v_bfe_u32 v3, v1, 24, 7
	v_mov_b32_e32 v61, v66
	s_mov_b32 s42, exec_lo
	buffer_store_dword v61, off, s[44:47], 0 offset:24 ; 4-byte Folded Spill
	buffer_store_dword v62, off, s[44:47], 0 offset:28 ; 4-byte Folded Spill
	v_cmpx_ne_u32_e32 0x7f, v3
	s_cbranch_execz .LBB203_48
; %bb.45:                               ;   in Loop: Header=BB203_15 Depth=1
	v_mov_b32_e32 v2, 7
	s_mov_b32 s43, exec_lo
	v_and_b32_sdwa v65, v1, v2 dst_sel:DWORD dst_unused:UNUSED_PAD src0_sel:BYTE_3 src1_sel:DWORD
	v_lshrrev_b32_e32 v2, 3, v3
	v_cmpx_gt_u32_e32 8, v3
; %bb.46:                               ;   in Loop: Header=BB203_15 Depth=1
	v_ffbh_u32_e32 v2, v65
	v_min_u32_e32 v2, 32, v2
	v_subrev_nc_u32_e32 v3, 28, v2
	v_sub_nc_u32_e32 v2, 29, v2
	v_lshlrev_b64 v[3:4], v3, v[65:66]
	v_and_b32_e32 v65, 7, v3
; %bb.47:                               ;   in Loop: Header=BB203_15 Depth=1
	s_or_b32 exec_lo, exec_lo, s43
	v_mov_b32_e32 v3, 24
	v_lshl_add_u32 v2, v2, 23, 0x3c000000
	v_lshlrev_b32_sdwa v1, v3, v1 dst_sel:DWORD dst_unused:UNUSED_PAD src0_sel:DWORD src1_sel:BYTE_3
	v_lshlrev_b32_e32 v3, 20, v65
	v_and_b32_e32 v1, 0x80000000, v1
	v_or3_b32 v2, v3, v1, v2
	v_mov_b32_e32 v1, v66
	buffer_store_dword v1, off, s[44:47], 0 offset:24 ; 4-byte Folded Spill
	buffer_store_dword v2, off, s[44:47], 0 offset:28 ; 4-byte Folded Spill
.LBB203_48:                             ;   in Loop: Header=BB203_15 Depth=1
	s_or_b32 exec_lo, exec_lo, s42
.LBB203_49:                             ;   in Loop: Header=BB203_15 Depth=1
	s_or_b32 exec_lo, exec_lo, s41
.LBB203_50:                             ;   in Loop: Header=BB203_15 Depth=1
	s_or_b32 exec_lo, exec_lo, s40
	global_load_dword v1, v[91:92], off offset:4
	v_mov_b32_e32 v2, 0
	v_mov_b32_e32 v3, 0
	buffer_store_dword v2, off, s[44:47], 0 offset:40 ; 4-byte Folded Spill
	buffer_store_dword v3, off, s[44:47], 0 offset:44 ; 4-byte Folded Spill
	v_mov_b32_e32 v2, 0
	v_mov_b32_e32 v3, 0
	buffer_store_dword v2, off, s[44:47], 0 offset:32 ; 4-byte Folded Spill
	buffer_store_dword v3, off, s[44:47], 0 offset:36 ; 4-byte Folded Spill
	s_waitcnt vmcnt(0)
	v_cmp_ne_u16_sdwa s1, v1, v66 src0_sel:BYTE_0 src1_sel:DWORD
	s_and_saveexec_b32 s40, s1
	s_cbranch_execz .LBB203_58
; %bb.51:                               ;   in Loop: Header=BB203_15 Depth=1
	v_bfrev_b32_e32 v2, 1
	v_mov_b32_e32 v3, 0
	v_cmp_ne_u16_sdwa s1, v1, v87 src0_sel:BYTE_0 src1_sel:DWORD
	buffer_store_dword v2, off, s[44:47], 0 offset:32 ; 4-byte Folded Spill
	buffer_store_dword v3, off, s[44:47], 0 offset:36 ; 4-byte Folded Spill
	s_and_saveexec_b32 s41, s1
	s_cbranch_execz .LBB203_57
; %bb.52:                               ;   in Loop: Header=BB203_15 Depth=1
	v_mov_b32_e32 v4, 0x7f800001
	v_and_b32_e32 v3, 0x7f, v1
	v_mov_b32_e32 v5, 0
	s_mov_b32 s42, exec_lo
	buffer_store_dword v4, off, s[44:47], 0 offset:32 ; 4-byte Folded Spill
	buffer_store_dword v5, off, s[44:47], 0 offset:36 ; 4-byte Folded Spill
	v_cmpx_ne_u32_e32 0x7f, v3
	s_cbranch_execz .LBB203_56
; %bb.53:                               ;   in Loop: Header=BB203_15 Depth=1
	v_and_b32_e32 v65, 7, v1
	v_lshrrev_b32_e32 v2, 3, v3
	s_mov_b32 s43, exec_lo
	v_cmpx_gt_u32_e32 8, v3
; %bb.54:                               ;   in Loop: Header=BB203_15 Depth=1
	v_ffbh_u32_e32 v2, v65
	v_min_u32_e32 v2, 32, v2
	v_subrev_nc_u32_e32 v3, 28, v2
	v_sub_nc_u32_e32 v2, 29, v2
	v_lshlrev_b64 v[3:4], v3, v[65:66]
	v_and_b32_e32 v65, 7, v3
; %bb.55:                               ;   in Loop: Header=BB203_15 Depth=1
	s_or_b32 exec_lo, exec_lo, s43
	v_lshlrev_b32_e32 v3, 24, v1
	v_lshlrev_b32_e32 v4, 20, v65
	v_lshl_add_u32 v2, v2, 23, 0x3c000000
	v_and_b32_e32 v3, 0x80000000, v3
	v_or3_b32 v65, v4, v3, v2
	buffer_store_dword v65, off, s[44:47], 0 offset:32 ; 4-byte Folded Spill
	buffer_store_dword v66, off, s[44:47], 0 offset:36 ; 4-byte Folded Spill
.LBB203_56:                             ;   in Loop: Header=BB203_15 Depth=1
	s_or_b32 exec_lo, exec_lo, s42
.LBB203_57:                             ;   in Loop: Header=BB203_15 Depth=1
	s_or_b32 exec_lo, exec_lo, s41
.LBB203_58:                             ;   in Loop: Header=BB203_15 Depth=1
	s_or_b32 exec_lo, exec_lo, s40
	v_cmp_ne_u16_sdwa s1, v1, v66 src0_sel:BYTE_1 src1_sel:DWORD
	s_and_saveexec_b32 s40, s1
	s_cbranch_execz .LBB203_66
; %bb.59:                               ;   in Loop: Header=BB203_15 Depth=1
	v_mov_b32_e32 v81, v66
	v_cmp_ne_u16_sdwa s1, v1, v87 src0_sel:BYTE_1 src1_sel:DWORD
	buffer_store_dword v81, off, s[44:47], 0 offset:40 ; 4-byte Folded Spill
	buffer_store_dword v82, off, s[44:47], 0 offset:44 ; 4-byte Folded Spill
	s_and_saveexec_b32 s41, s1
	s_cbranch_execz .LBB203_65
; %bb.60:                               ;   in Loop: Header=BB203_15 Depth=1
	v_mov_b32_e32 v2, 0xffff
	v_mov_b32_e32 v61, v66
	s_mov_b32 s42, exec_lo
	buffer_store_dword v61, off, s[44:47], 0 offset:40 ; 4-byte Folded Spill
	buffer_store_dword v62, off, s[44:47], 0 offset:44 ; 4-byte Folded Spill
	v_and_b32_sdwa v2, v2, v1 dst_sel:DWORD dst_unused:UNUSED_PAD src0_sel:DWORD src1_sel:BYTE_1
	v_and_b32_e32 v3, 0x7f, v2
	v_cmpx_ne_u32_e32 0x7f, v3
	s_cbranch_execz .LBB203_64
; %bb.61:                               ;   in Loop: Header=BB203_15 Depth=1
	v_and_b32_e32 v65, 7, v2
	v_lshrrev_b32_e32 v2, 3, v3
	s_mov_b32 s43, exec_lo
	v_cmpx_gt_u32_e32 8, v3
; %bb.62:                               ;   in Loop: Header=BB203_15 Depth=1
	v_ffbh_u32_e32 v2, v65
	v_min_u32_e32 v2, 32, v2
	v_subrev_nc_u32_e32 v3, 28, v2
	v_sub_nc_u32_e32 v2, 29, v2
	v_lshlrev_b64 v[3:4], v3, v[65:66]
	v_and_b32_e32 v65, 7, v3
; %bb.63:                               ;   in Loop: Header=BB203_15 Depth=1
	s_or_b32 exec_lo, exec_lo, s43
	v_lshlrev_b32_e32 v3, 16, v1
	v_lshlrev_b32_e32 v4, 20, v65
	v_lshl_add_u32 v2, v2, 23, 0x3c000000
	v_and_b32_e32 v3, 0x80000000, v3
	v_or3_b32 v3, v4, v3, v2
	v_mov_b32_e32 v2, v66
	buffer_store_dword v2, off, s[44:47], 0 offset:40 ; 4-byte Folded Spill
	buffer_store_dword v3, off, s[44:47], 0 offset:44 ; 4-byte Folded Spill
.LBB203_64:                             ;   in Loop: Header=BB203_15 Depth=1
	s_or_b32 exec_lo, exec_lo, s42
.LBB203_65:                             ;   in Loop: Header=BB203_15 Depth=1
	s_or_b32 exec_lo, exec_lo, s41
.LBB203_66:                             ;   in Loop: Header=BB203_15 Depth=1
	s_or_b32 exec_lo, exec_lo, s40
	v_mov_b32_e32 v89, 0
	v_mov_b32_e32 v3, 0
	v_and_b32_sdwa v2, v1, v88 dst_sel:DWORD dst_unused:UNUSED_PAD src0_sel:WORD_1 src1_sel:DWORD
	v_mov_b32_e32 v90, 0
	v_mov_b32_e32 v4, 0
	s_mov_b32 s40, exec_lo
	buffer_store_dword v3, off, s[44:47], 0 offset:48 ; 4-byte Folded Spill
	buffer_store_dword v4, off, s[44:47], 0 offset:52 ; 4-byte Folded Spill
	v_cmpx_ne_u16_e32 0, v2
	s_cbranch_execz .LBB203_74
; %bb.67:                               ;   in Loop: Header=BB203_15 Depth=1
	v_bfrev_b32_e32 v3, 1
	v_mov_b32_e32 v4, 0
	s_mov_b32 s41, exec_lo
	buffer_store_dword v3, off, s[44:47], 0 offset:48 ; 4-byte Folded Spill
	buffer_store_dword v4, off, s[44:47], 0 offset:52 ; 4-byte Folded Spill
	v_cmpx_ne_u16_e32 0x80, v2
	s_cbranch_execz .LBB203_73
; %bb.68:                               ;   in Loop: Header=BB203_15 Depth=1
	v_mov_b32_e32 v4, 0x7f800001
	v_bfe_u32 v3, v1, 16, 7
	v_mov_b32_e32 v5, 0
	s_mov_b32 s42, exec_lo
	buffer_store_dword v4, off, s[44:47], 0 offset:48 ; 4-byte Folded Spill
	buffer_store_dword v5, off, s[44:47], 0 offset:52 ; 4-byte Folded Spill
	v_cmpx_ne_u32_e32 0x7f, v3
	s_cbranch_execz .LBB203_72
; %bb.69:                               ;   in Loop: Header=BB203_15 Depth=1
	v_mov_b32_e32 v2, 7
	s_mov_b32 s43, exec_lo
	v_and_b32_sdwa v65, v1, v2 dst_sel:DWORD dst_unused:UNUSED_PAD src0_sel:WORD_1 src1_sel:DWORD
	v_lshrrev_b32_e32 v2, 3, v3
	v_cmpx_gt_u32_e32 8, v3
; %bb.70:                               ;   in Loop: Header=BB203_15 Depth=1
	v_ffbh_u32_e32 v2, v65
	v_min_u32_e32 v2, 32, v2
	v_subrev_nc_u32_e32 v3, 28, v2
	v_sub_nc_u32_e32 v2, 29, v2
	v_lshlrev_b64 v[3:4], v3, v[65:66]
	v_and_b32_e32 v65, 7, v3
; %bb.71:                               ;   in Loop: Header=BB203_15 Depth=1
	s_or_b32 exec_lo, exec_lo, s43
	v_mov_b32_e32 v3, 24
	v_lshlrev_b32_e32 v4, 20, v65
	v_lshl_add_u32 v2, v2, 23, 0x3c000000
	v_lshlrev_b32_sdwa v3, v3, v1 dst_sel:DWORD dst_unused:UNUSED_PAD src0_sel:DWORD src1_sel:WORD_1
	v_and_b32_e32 v3, 0x80000000, v3
	v_or3_b32 v65, v4, v3, v2
	buffer_store_dword v65, off, s[44:47], 0 offset:48 ; 4-byte Folded Spill
	buffer_store_dword v66, off, s[44:47], 0 offset:52 ; 4-byte Folded Spill
.LBB203_72:                             ;   in Loop: Header=BB203_15 Depth=1
	s_or_b32 exec_lo, exec_lo, s42
.LBB203_73:                             ;   in Loop: Header=BB203_15 Depth=1
	s_or_b32 exec_lo, exec_lo, s41
.LBB203_74:                             ;   in Loop: Header=BB203_15 Depth=1
	s_or_b32 exec_lo, exec_lo, s40
	s_mov_b32 s40, exec_lo
	v_cmpx_lt_u32_e32 0xffffff, v1
	s_cbranch_execz .LBB203_82
; %bb.75:                               ;   in Loop: Header=BB203_15 Depth=1
	v_mov_b32_e32 v81, v66
	v_mov_b32_e32 v90, v82
	v_cmp_ne_u32_sdwa s1, v1, v87 src0_sel:BYTE_3 src1_sel:DWORD
	v_mov_b32_e32 v89, v81
	s_and_saveexec_b32 s41, s1
	s_cbranch_execz .LBB203_81
; %bb.76:                               ;   in Loop: Header=BB203_15 Depth=1
	v_mov_b32_e32 v61, v66
	v_mov_b32_e32 v90, v62
	v_bfe_u32 v3, v1, 24, 7
	s_mov_b32 s42, exec_lo
	v_mov_b32_e32 v89, v61
	v_cmpx_ne_u32_e32 0x7f, v3
	s_cbranch_execz .LBB203_80
; %bb.77:                               ;   in Loop: Header=BB203_15 Depth=1
	v_mov_b32_e32 v2, 7
	s_mov_b32 s43, exec_lo
	v_and_b32_sdwa v65, v1, v2 dst_sel:DWORD dst_unused:UNUSED_PAD src0_sel:BYTE_3 src1_sel:DWORD
	v_lshrrev_b32_e32 v2, 3, v3
	v_cmpx_gt_u32_e32 8, v3
; %bb.78:                               ;   in Loop: Header=BB203_15 Depth=1
	v_ffbh_u32_e32 v2, v65
	v_min_u32_e32 v2, 32, v2
	v_subrev_nc_u32_e32 v3, 28, v2
	v_sub_nc_u32_e32 v2, 29, v2
	v_lshlrev_b64 v[3:4], v3, v[65:66]
	v_and_b32_e32 v65, 7, v3
; %bb.79:                               ;   in Loop: Header=BB203_15 Depth=1
	s_or_b32 exec_lo, exec_lo, s43
	v_mov_b32_e32 v3, 24
	v_lshl_add_u32 v2, v2, 23, 0x3c000000
	v_mov_b32_e32 v89, v66
	v_lshlrev_b32_sdwa v1, v3, v1 dst_sel:DWORD dst_unused:UNUSED_PAD src0_sel:DWORD src1_sel:BYTE_3
	v_lshlrev_b32_e32 v3, 20, v65
	v_and_b32_e32 v1, 0x80000000, v1
	v_or3_b32 v90, v3, v1, v2
.LBB203_80:                             ;   in Loop: Header=BB203_15 Depth=1
	s_or_b32 exec_lo, exec_lo, s42
.LBB203_81:                             ;   in Loop: Header=BB203_15 Depth=1
	s_or_b32 exec_lo, exec_lo, s41
.LBB203_82:                             ;   in Loop: Header=BB203_15 Depth=1
	s_or_b32 exec_lo, exec_lo, s40
	global_load_dword v1, v[91:92], off offset:8
	v_mov_b32_e32 v95, 0
	v_mov_b32_e32 v2, 0
	;; [unrolled: 1-line block ×4, first 2 shown]
	buffer_store_dword v2, off, s[44:47], 0 offset:56 ; 4-byte Folded Spill
	buffer_store_dword v3, off, s[44:47], 0 offset:60 ; 4-byte Folded Spill
	s_waitcnt vmcnt(0)
	v_cmp_ne_u16_sdwa s1, v1, v66 src0_sel:BYTE_0 src1_sel:DWORD
	s_and_saveexec_b32 s40, s1
	s_cbranch_execz .LBB203_90
; %bb.83:                               ;   in Loop: Header=BB203_15 Depth=1
	v_bfrev_b32_e32 v2, 1
	v_mov_b32_e32 v3, 0
	v_cmp_ne_u16_sdwa s1, v1, v87 src0_sel:BYTE_0 src1_sel:DWORD
	buffer_store_dword v2, off, s[44:47], 0 offset:56 ; 4-byte Folded Spill
	buffer_store_dword v3, off, s[44:47], 0 offset:60 ; 4-byte Folded Spill
	s_and_saveexec_b32 s41, s1
	s_cbranch_execz .LBB203_89
; %bb.84:                               ;   in Loop: Header=BB203_15 Depth=1
	v_mov_b32_e32 v4, 0x7f800001
	v_and_b32_e32 v3, 0x7f, v1
	v_mov_b32_e32 v5, 0
	s_mov_b32 s42, exec_lo
	buffer_store_dword v4, off, s[44:47], 0 offset:56 ; 4-byte Folded Spill
	buffer_store_dword v5, off, s[44:47], 0 offset:60 ; 4-byte Folded Spill
	v_cmpx_ne_u32_e32 0x7f, v3
	s_cbranch_execz .LBB203_88
; %bb.85:                               ;   in Loop: Header=BB203_15 Depth=1
	v_and_b32_e32 v65, 7, v1
	v_lshrrev_b32_e32 v2, 3, v3
	s_mov_b32 s43, exec_lo
	v_cmpx_gt_u32_e32 8, v3
; %bb.86:                               ;   in Loop: Header=BB203_15 Depth=1
	v_ffbh_u32_e32 v2, v65
	v_min_u32_e32 v2, 32, v2
	v_subrev_nc_u32_e32 v3, 28, v2
	v_sub_nc_u32_e32 v2, 29, v2
	v_lshlrev_b64 v[3:4], v3, v[65:66]
	v_and_b32_e32 v65, 7, v3
; %bb.87:                               ;   in Loop: Header=BB203_15 Depth=1
	s_or_b32 exec_lo, exec_lo, s43
	v_lshlrev_b32_e32 v3, 24, v1
	v_lshlrev_b32_e32 v4, 20, v65
	v_lshl_add_u32 v2, v2, 23, 0x3c000000
	v_and_b32_e32 v3, 0x80000000, v3
	v_or3_b32 v65, v4, v3, v2
	buffer_store_dword v65, off, s[44:47], 0 offset:56 ; 4-byte Folded Spill
	buffer_store_dword v66, off, s[44:47], 0 offset:60 ; 4-byte Folded Spill
.LBB203_88:                             ;   in Loop: Header=BB203_15 Depth=1
	s_or_b32 exec_lo, exec_lo, s42
.LBB203_89:                             ;   in Loop: Header=BB203_15 Depth=1
	s_or_b32 exec_lo, exec_lo, s41
.LBB203_90:                             ;   in Loop: Header=BB203_15 Depth=1
	s_or_b32 exec_lo, exec_lo, s40
	v_cmp_ne_u16_sdwa s1, v1, v66 src0_sel:BYTE_1 src1_sel:DWORD
	s_and_saveexec_b32 s40, s1
	s_cbranch_execz .LBB203_98
; %bb.91:                               ;   in Loop: Header=BB203_15 Depth=1
	v_mov_b32_e32 v81, v66
	v_mov_b32_e32 v96, v82
	v_cmp_ne_u16_sdwa s1, v1, v87 src0_sel:BYTE_1 src1_sel:DWORD
	v_mov_b32_e32 v95, v81
	s_and_saveexec_b32 s41, s1
	s_cbranch_execz .LBB203_97
; %bb.92:                               ;   in Loop: Header=BB203_15 Depth=1
	v_mov_b32_e32 v2, 0xffff
	v_mov_b32_e32 v61, v66
	;; [unrolled: 1-line block ×3, first 2 shown]
	s_mov_b32 s42, exec_lo
	v_and_b32_sdwa v2, v2, v1 dst_sel:DWORD dst_unused:UNUSED_PAD src0_sel:DWORD src1_sel:BYTE_1
	v_mov_b32_e32 v95, v61
	v_and_b32_e32 v3, 0x7f, v2
	v_cmpx_ne_u32_e32 0x7f, v3
	s_cbranch_execz .LBB203_96
; %bb.93:                               ;   in Loop: Header=BB203_15 Depth=1
	v_and_b32_e32 v65, 7, v2
	v_lshrrev_b32_e32 v2, 3, v3
	s_mov_b32 s43, exec_lo
	v_cmpx_gt_u32_e32 8, v3
; %bb.94:                               ;   in Loop: Header=BB203_15 Depth=1
	v_ffbh_u32_e32 v2, v65
	v_min_u32_e32 v2, 32, v2
	v_subrev_nc_u32_e32 v3, 28, v2
	v_sub_nc_u32_e32 v2, 29, v2
	v_lshlrev_b64 v[3:4], v3, v[65:66]
	v_and_b32_e32 v65, 7, v3
; %bb.95:                               ;   in Loop: Header=BB203_15 Depth=1
	s_or_b32 exec_lo, exec_lo, s43
	v_lshlrev_b32_e32 v3, 16, v1
	v_lshlrev_b32_e32 v4, 20, v65
	v_lshl_add_u32 v2, v2, 23, 0x3c000000
	v_mov_b32_e32 v95, v66
	v_and_b32_e32 v3, 0x80000000, v3
	v_or3_b32 v96, v4, v3, v2
.LBB203_96:                             ;   in Loop: Header=BB203_15 Depth=1
	s_or_b32 exec_lo, exec_lo, s42
.LBB203_97:                             ;   in Loop: Header=BB203_15 Depth=1
	s_or_b32 exec_lo, exec_lo, s41
.LBB203_98:                             ;   in Loop: Header=BB203_15 Depth=1
	s_or_b32 exec_lo, exec_lo, s40
	v_mov_b32_e32 v99, 0
	v_mov_b32_e32 v97, 0
	v_and_b32_sdwa v2, v1, v88 dst_sel:DWORD dst_unused:UNUSED_PAD src0_sel:WORD_1 src1_sel:DWORD
	v_mov_b32_e32 v100, 0
	v_mov_b32_e32 v98, 0
	s_mov_b32 s40, exec_lo
	v_cmpx_ne_u16_e32 0, v2
	s_cbranch_execz .LBB203_106
; %bb.99:                               ;   in Loop: Header=BB203_15 Depth=1
	v_bfrev_b32_e32 v97, 1
	v_mov_b32_e32 v98, 0
	s_mov_b32 s41, exec_lo
	v_cmpx_ne_u16_e32 0x80, v2
	s_cbranch_execz .LBB203_105
; %bb.100:                              ;   in Loop: Header=BB203_15 Depth=1
	v_mov_b32_e32 v97, 0x7f800001
	v_bfe_u32 v3, v1, 16, 7
	v_mov_b32_e32 v98, 0
	s_mov_b32 s42, exec_lo
	v_cmpx_ne_u32_e32 0x7f, v3
	s_cbranch_execz .LBB203_104
; %bb.101:                              ;   in Loop: Header=BB203_15 Depth=1
	v_mov_b32_e32 v2, 7
	s_mov_b32 s43, exec_lo
	v_and_b32_sdwa v65, v1, v2 dst_sel:DWORD dst_unused:UNUSED_PAD src0_sel:WORD_1 src1_sel:DWORD
	v_lshrrev_b32_e32 v2, 3, v3
	v_cmpx_gt_u32_e32 8, v3
; %bb.102:                              ;   in Loop: Header=BB203_15 Depth=1
	v_ffbh_u32_e32 v2, v65
	v_min_u32_e32 v2, 32, v2
	v_subrev_nc_u32_e32 v3, 28, v2
	v_sub_nc_u32_e32 v2, 29, v2
	v_lshlrev_b64 v[3:4], v3, v[65:66]
	v_and_b32_e32 v65, 7, v3
; %bb.103:                              ;   in Loop: Header=BB203_15 Depth=1
	s_or_b32 exec_lo, exec_lo, s43
	v_mov_b32_e32 v3, 24
	v_lshlrev_b32_e32 v4, 20, v65
	v_lshl_add_u32 v2, v2, 23, 0x3c000000
	v_lshlrev_b32_sdwa v3, v3, v1 dst_sel:DWORD dst_unused:UNUSED_PAD src0_sel:DWORD src1_sel:WORD_1
	v_and_b32_e32 v3, 0x80000000, v3
	v_or3_b32 v65, v4, v3, v2
	v_mov_b32_e32 v98, v66
	v_mov_b32_e32 v97, v65
.LBB203_104:                            ;   in Loop: Header=BB203_15 Depth=1
	s_or_b32 exec_lo, exec_lo, s42
.LBB203_105:                            ;   in Loop: Header=BB203_15 Depth=1
	s_or_b32 exec_lo, exec_lo, s41
.LBB203_106:                            ;   in Loop: Header=BB203_15 Depth=1
	s_or_b32 exec_lo, exec_lo, s40
	s_mov_b32 s40, exec_lo
	v_cmpx_lt_u32_e32 0xffffff, v1
	s_cbranch_execz .LBB203_114
; %bb.107:                              ;   in Loop: Header=BB203_15 Depth=1
	v_mov_b32_e32 v81, v66
	v_mov_b32_e32 v100, v82
	v_cmp_ne_u32_sdwa s1, v1, v87 src0_sel:BYTE_3 src1_sel:DWORD
	v_mov_b32_e32 v99, v81
	s_and_saveexec_b32 s41, s1
	s_cbranch_execz .LBB203_113
; %bb.108:                              ;   in Loop: Header=BB203_15 Depth=1
	v_mov_b32_e32 v61, v66
	v_mov_b32_e32 v100, v62
	v_bfe_u32 v3, v1, 24, 7
	s_mov_b32 s42, exec_lo
	v_mov_b32_e32 v99, v61
	v_cmpx_ne_u32_e32 0x7f, v3
	s_cbranch_execz .LBB203_112
; %bb.109:                              ;   in Loop: Header=BB203_15 Depth=1
	v_mov_b32_e32 v2, 7
	s_mov_b32 s43, exec_lo
	v_and_b32_sdwa v65, v1, v2 dst_sel:DWORD dst_unused:UNUSED_PAD src0_sel:BYTE_3 src1_sel:DWORD
	v_lshrrev_b32_e32 v2, 3, v3
	v_cmpx_gt_u32_e32 8, v3
; %bb.110:                              ;   in Loop: Header=BB203_15 Depth=1
	v_ffbh_u32_e32 v2, v65
	v_min_u32_e32 v2, 32, v2
	v_subrev_nc_u32_e32 v3, 28, v2
	v_sub_nc_u32_e32 v2, 29, v2
	v_lshlrev_b64 v[3:4], v3, v[65:66]
	v_and_b32_e32 v65, 7, v3
; %bb.111:                              ;   in Loop: Header=BB203_15 Depth=1
	s_or_b32 exec_lo, exec_lo, s43
	v_mov_b32_e32 v3, 24
	v_lshl_add_u32 v2, v2, 23, 0x3c000000
	v_mov_b32_e32 v99, v66
	v_lshlrev_b32_sdwa v1, v3, v1 dst_sel:DWORD dst_unused:UNUSED_PAD src0_sel:DWORD src1_sel:BYTE_3
	v_lshlrev_b32_e32 v3, 20, v65
	v_and_b32_e32 v1, 0x80000000, v1
	v_or3_b32 v100, v3, v1, v2
.LBB203_112:                            ;   in Loop: Header=BB203_15 Depth=1
	s_or_b32 exec_lo, exec_lo, s42
.LBB203_113:                            ;   in Loop: Header=BB203_15 Depth=1
	s_or_b32 exec_lo, exec_lo, s41
.LBB203_114:                            ;   in Loop: Header=BB203_15 Depth=1
	s_or_b32 exec_lo, exec_lo, s40
	global_load_dword v1, v[91:92], off offset:12
	v_mov_b32_e32 v103, 0
	v_mov_b32_e32 v101, 0
	;; [unrolled: 1-line block ×4, first 2 shown]
	s_waitcnt vmcnt(0)
	v_cmp_ne_u16_sdwa s1, v1, v66 src0_sel:BYTE_0 src1_sel:DWORD
	s_and_saveexec_b32 s40, s1
	s_cbranch_execz .LBB203_122
; %bb.115:                              ;   in Loop: Header=BB203_15 Depth=1
	v_bfrev_b32_e32 v101, 1
	v_mov_b32_e32 v102, 0
	v_cmp_ne_u16_sdwa s1, v1, v87 src0_sel:BYTE_0 src1_sel:DWORD
	s_and_saveexec_b32 s41, s1
	s_cbranch_execz .LBB203_121
; %bb.116:                              ;   in Loop: Header=BB203_15 Depth=1
	v_mov_b32_e32 v101, 0x7f800001
	v_and_b32_e32 v3, 0x7f, v1
	v_mov_b32_e32 v102, 0
	s_mov_b32 s42, exec_lo
	v_cmpx_ne_u32_e32 0x7f, v3
	s_cbranch_execz .LBB203_120
; %bb.117:                              ;   in Loop: Header=BB203_15 Depth=1
	v_and_b32_e32 v65, 7, v1
	v_lshrrev_b32_e32 v2, 3, v3
	s_mov_b32 s43, exec_lo
	v_cmpx_gt_u32_e32 8, v3
; %bb.118:                              ;   in Loop: Header=BB203_15 Depth=1
	v_ffbh_u32_e32 v2, v65
	v_min_u32_e32 v2, 32, v2
	v_subrev_nc_u32_e32 v3, 28, v2
	v_sub_nc_u32_e32 v2, 29, v2
	v_lshlrev_b64 v[3:4], v3, v[65:66]
	v_and_b32_e32 v65, 7, v3
; %bb.119:                              ;   in Loop: Header=BB203_15 Depth=1
	s_or_b32 exec_lo, exec_lo, s43
	v_lshlrev_b32_e32 v3, 24, v1
	v_lshlrev_b32_e32 v4, 20, v65
	v_lshl_add_u32 v2, v2, 23, 0x3c000000
	v_and_b32_e32 v3, 0x80000000, v3
	v_or3_b32 v65, v4, v3, v2
	v_mov_b32_e32 v102, v66
	v_mov_b32_e32 v101, v65
.LBB203_120:                            ;   in Loop: Header=BB203_15 Depth=1
	s_or_b32 exec_lo, exec_lo, s42
.LBB203_121:                            ;   in Loop: Header=BB203_15 Depth=1
	s_or_b32 exec_lo, exec_lo, s41
.LBB203_122:                            ;   in Loop: Header=BB203_15 Depth=1
	s_or_b32 exec_lo, exec_lo, s40
	v_cmp_ne_u16_sdwa s1, v1, v66 src0_sel:BYTE_1 src1_sel:DWORD
	s_and_saveexec_b32 s40, s1
	s_cbranch_execz .LBB203_130
; %bb.123:                              ;   in Loop: Header=BB203_15 Depth=1
	v_mov_b32_e32 v81, v66
	v_mov_b32_e32 v104, v82
	v_cmp_ne_u16_sdwa s1, v1, v87 src0_sel:BYTE_1 src1_sel:DWORD
	v_mov_b32_e32 v103, v81
	s_and_saveexec_b32 s41, s1
	s_cbranch_execz .LBB203_129
; %bb.124:                              ;   in Loop: Header=BB203_15 Depth=1
	v_mov_b32_e32 v2, 0xffff
	v_mov_b32_e32 v61, v66
	;; [unrolled: 1-line block ×3, first 2 shown]
	s_mov_b32 s42, exec_lo
	v_and_b32_sdwa v2, v2, v1 dst_sel:DWORD dst_unused:UNUSED_PAD src0_sel:DWORD src1_sel:BYTE_1
	v_mov_b32_e32 v103, v61
	v_and_b32_e32 v3, 0x7f, v2
	v_cmpx_ne_u32_e32 0x7f, v3
	s_cbranch_execz .LBB203_128
; %bb.125:                              ;   in Loop: Header=BB203_15 Depth=1
	v_and_b32_e32 v65, 7, v2
	v_lshrrev_b32_e32 v2, 3, v3
	s_mov_b32 s43, exec_lo
	v_cmpx_gt_u32_e32 8, v3
; %bb.126:                              ;   in Loop: Header=BB203_15 Depth=1
	v_ffbh_u32_e32 v2, v65
	v_min_u32_e32 v2, 32, v2
	v_subrev_nc_u32_e32 v3, 28, v2
	v_sub_nc_u32_e32 v2, 29, v2
	v_lshlrev_b64 v[3:4], v3, v[65:66]
	v_and_b32_e32 v65, 7, v3
; %bb.127:                              ;   in Loop: Header=BB203_15 Depth=1
	s_or_b32 exec_lo, exec_lo, s43
	v_lshlrev_b32_e32 v3, 16, v1
	v_lshlrev_b32_e32 v4, 20, v65
	v_lshl_add_u32 v2, v2, 23, 0x3c000000
	v_mov_b32_e32 v103, v66
	v_and_b32_e32 v3, 0x80000000, v3
	v_or3_b32 v104, v4, v3, v2
.LBB203_128:                            ;   in Loop: Header=BB203_15 Depth=1
	s_or_b32 exec_lo, exec_lo, s42
.LBB203_129:                            ;   in Loop: Header=BB203_15 Depth=1
	s_or_b32 exec_lo, exec_lo, s41
.LBB203_130:                            ;   in Loop: Header=BB203_15 Depth=1
	s_or_b32 exec_lo, exec_lo, s40
	v_mov_b32_e32 v107, 0
	v_mov_b32_e32 v105, 0
	v_and_b32_sdwa v2, v1, v88 dst_sel:DWORD dst_unused:UNUSED_PAD src0_sel:WORD_1 src1_sel:DWORD
	v_mov_b32_e32 v108, 0
	v_mov_b32_e32 v106, 0
	s_mov_b32 s40, exec_lo
	v_cmpx_ne_u16_e32 0, v2
	s_cbranch_execz .LBB203_138
; %bb.131:                              ;   in Loop: Header=BB203_15 Depth=1
	v_bfrev_b32_e32 v105, 1
	v_mov_b32_e32 v106, 0
	s_mov_b32 s41, exec_lo
	v_cmpx_ne_u16_e32 0x80, v2
	s_cbranch_execz .LBB203_137
; %bb.132:                              ;   in Loop: Header=BB203_15 Depth=1
	v_mov_b32_e32 v105, 0x7f800001
	v_bfe_u32 v3, v1, 16, 7
	v_mov_b32_e32 v106, 0
	s_mov_b32 s42, exec_lo
	v_cmpx_ne_u32_e32 0x7f, v3
	s_cbranch_execz .LBB203_136
; %bb.133:                              ;   in Loop: Header=BB203_15 Depth=1
	v_mov_b32_e32 v2, 7
	s_mov_b32 s43, exec_lo
	v_and_b32_sdwa v65, v1, v2 dst_sel:DWORD dst_unused:UNUSED_PAD src0_sel:WORD_1 src1_sel:DWORD
	v_lshrrev_b32_e32 v2, 3, v3
	v_cmpx_gt_u32_e32 8, v3
; %bb.134:                              ;   in Loop: Header=BB203_15 Depth=1
	v_ffbh_u32_e32 v2, v65
	v_min_u32_e32 v2, 32, v2
	v_subrev_nc_u32_e32 v3, 28, v2
	v_sub_nc_u32_e32 v2, 29, v2
	v_lshlrev_b64 v[3:4], v3, v[65:66]
	v_and_b32_e32 v65, 7, v3
; %bb.135:                              ;   in Loop: Header=BB203_15 Depth=1
	s_or_b32 exec_lo, exec_lo, s43
	v_mov_b32_e32 v3, 24
	v_lshlrev_b32_e32 v4, 20, v65
	v_lshl_add_u32 v2, v2, 23, 0x3c000000
	v_lshlrev_b32_sdwa v3, v3, v1 dst_sel:DWORD dst_unused:UNUSED_PAD src0_sel:DWORD src1_sel:WORD_1
	v_and_b32_e32 v3, 0x80000000, v3
	v_or3_b32 v65, v4, v3, v2
	v_mov_b32_e32 v106, v66
	v_mov_b32_e32 v105, v65
.LBB203_136:                            ;   in Loop: Header=BB203_15 Depth=1
	s_or_b32 exec_lo, exec_lo, s42
.LBB203_137:                            ;   in Loop: Header=BB203_15 Depth=1
	s_or_b32 exec_lo, exec_lo, s41
.LBB203_138:                            ;   in Loop: Header=BB203_15 Depth=1
	s_or_b32 exec_lo, exec_lo, s40
	s_mov_b32 s40, exec_lo
	v_cmpx_lt_u32_e32 0xffffff, v1
	s_cbranch_execz .LBB203_146
; %bb.139:                              ;   in Loop: Header=BB203_15 Depth=1
	v_mov_b32_e32 v81, v66
	v_mov_b32_e32 v108, v82
	v_cmp_ne_u32_sdwa s1, v1, v87 src0_sel:BYTE_3 src1_sel:DWORD
	v_mov_b32_e32 v107, v81
	s_and_saveexec_b32 s41, s1
	s_cbranch_execz .LBB203_145
; %bb.140:                              ;   in Loop: Header=BB203_15 Depth=1
	v_mov_b32_e32 v61, v66
	v_mov_b32_e32 v108, v62
	v_bfe_u32 v3, v1, 24, 7
	s_mov_b32 s42, exec_lo
	v_mov_b32_e32 v107, v61
	v_cmpx_ne_u32_e32 0x7f, v3
	s_cbranch_execz .LBB203_144
; %bb.141:                              ;   in Loop: Header=BB203_15 Depth=1
	v_mov_b32_e32 v2, 7
	s_mov_b32 s43, exec_lo
	v_and_b32_sdwa v65, v1, v2 dst_sel:DWORD dst_unused:UNUSED_PAD src0_sel:BYTE_3 src1_sel:DWORD
	v_lshrrev_b32_e32 v2, 3, v3
	v_cmpx_gt_u32_e32 8, v3
; %bb.142:                              ;   in Loop: Header=BB203_15 Depth=1
	v_ffbh_u32_e32 v2, v65
	v_min_u32_e32 v2, 32, v2
	v_subrev_nc_u32_e32 v3, 28, v2
	v_sub_nc_u32_e32 v2, 29, v2
	v_lshlrev_b64 v[3:4], v3, v[65:66]
	v_and_b32_e32 v65, 7, v3
; %bb.143:                              ;   in Loop: Header=BB203_15 Depth=1
	s_or_b32 exec_lo, exec_lo, s43
	v_mov_b32_e32 v3, 24
	v_lshl_add_u32 v2, v2, 23, 0x3c000000
	v_mov_b32_e32 v107, v66
	v_lshlrev_b32_sdwa v1, v3, v1 dst_sel:DWORD dst_unused:UNUSED_PAD src0_sel:DWORD src1_sel:BYTE_3
	v_lshlrev_b32_e32 v3, 20, v65
	v_and_b32_e32 v1, 0x80000000, v1
	v_or3_b32 v108, v3, v1, v2
.LBB203_144:                            ;   in Loop: Header=BB203_15 Depth=1
	s_or_b32 exec_lo, exec_lo, s42
.LBB203_145:                            ;   in Loop: Header=BB203_15 Depth=1
	s_or_b32 exec_lo, exec_lo, s41
.LBB203_146:                            ;   in Loop: Header=BB203_15 Depth=1
	s_or_b32 exec_lo, exec_lo, s40
	global_load_dword v1, v[91:92], off offset:512
	v_mov_b32_e32 v111, 0
	v_mov_b32_e32 v109, 0
	;; [unrolled: 1-line block ×4, first 2 shown]
	s_waitcnt vmcnt(0)
	v_cmp_ne_u16_sdwa s1, v1, v66 src0_sel:BYTE_0 src1_sel:DWORD
	s_and_saveexec_b32 s40, s1
	s_cbranch_execz .LBB203_154
; %bb.147:                              ;   in Loop: Header=BB203_15 Depth=1
	v_bfrev_b32_e32 v109, 1
	v_mov_b32_e32 v110, 0
	v_cmp_ne_u16_sdwa s1, v1, v87 src0_sel:BYTE_0 src1_sel:DWORD
	s_and_saveexec_b32 s41, s1
	s_cbranch_execz .LBB203_153
; %bb.148:                              ;   in Loop: Header=BB203_15 Depth=1
	v_mov_b32_e32 v109, 0x7f800001
	v_and_b32_e32 v3, 0x7f, v1
	v_mov_b32_e32 v110, 0
	s_mov_b32 s42, exec_lo
	v_cmpx_ne_u32_e32 0x7f, v3
	s_cbranch_execz .LBB203_152
; %bb.149:                              ;   in Loop: Header=BB203_15 Depth=1
	v_and_b32_e32 v65, 7, v1
	v_lshrrev_b32_e32 v2, 3, v3
	s_mov_b32 s43, exec_lo
	v_cmpx_gt_u32_e32 8, v3
; %bb.150:                              ;   in Loop: Header=BB203_15 Depth=1
	v_ffbh_u32_e32 v2, v65
	v_min_u32_e32 v2, 32, v2
	v_subrev_nc_u32_e32 v3, 28, v2
	v_sub_nc_u32_e32 v2, 29, v2
	v_lshlrev_b64 v[3:4], v3, v[65:66]
	v_and_b32_e32 v65, 7, v3
; %bb.151:                              ;   in Loop: Header=BB203_15 Depth=1
	s_or_b32 exec_lo, exec_lo, s43
	v_lshlrev_b32_e32 v3, 24, v1
	v_lshlrev_b32_e32 v4, 20, v65
	v_lshl_add_u32 v2, v2, 23, 0x3c000000
	v_and_b32_e32 v3, 0x80000000, v3
	v_or3_b32 v65, v4, v3, v2
	v_mov_b32_e32 v110, v66
	v_mov_b32_e32 v109, v65
.LBB203_152:                            ;   in Loop: Header=BB203_15 Depth=1
	s_or_b32 exec_lo, exec_lo, s42
.LBB203_153:                            ;   in Loop: Header=BB203_15 Depth=1
	s_or_b32 exec_lo, exec_lo, s41
.LBB203_154:                            ;   in Loop: Header=BB203_15 Depth=1
	s_or_b32 exec_lo, exec_lo, s40
	v_cmp_ne_u16_sdwa s1, v1, v66 src0_sel:BYTE_1 src1_sel:DWORD
	s_and_saveexec_b32 s40, s1
	s_cbranch_execz .LBB203_162
; %bb.155:                              ;   in Loop: Header=BB203_15 Depth=1
	v_mov_b32_e32 v81, v66
	v_mov_b32_e32 v112, v82
	v_cmp_ne_u16_sdwa s1, v1, v87 src0_sel:BYTE_1 src1_sel:DWORD
	v_mov_b32_e32 v111, v81
	s_and_saveexec_b32 s41, s1
	s_cbranch_execz .LBB203_161
; %bb.156:                              ;   in Loop: Header=BB203_15 Depth=1
	v_mov_b32_e32 v2, 0xffff
	v_mov_b32_e32 v61, v66
	;; [unrolled: 1-line block ×3, first 2 shown]
	s_mov_b32 s42, exec_lo
	v_and_b32_sdwa v2, v2, v1 dst_sel:DWORD dst_unused:UNUSED_PAD src0_sel:DWORD src1_sel:BYTE_1
	v_mov_b32_e32 v111, v61
	v_and_b32_e32 v3, 0x7f, v2
	v_cmpx_ne_u32_e32 0x7f, v3
	s_cbranch_execz .LBB203_160
; %bb.157:                              ;   in Loop: Header=BB203_15 Depth=1
	v_and_b32_e32 v65, 7, v2
	v_lshrrev_b32_e32 v2, 3, v3
	s_mov_b32 s43, exec_lo
	v_cmpx_gt_u32_e32 8, v3
; %bb.158:                              ;   in Loop: Header=BB203_15 Depth=1
	v_ffbh_u32_e32 v2, v65
	v_min_u32_e32 v2, 32, v2
	v_subrev_nc_u32_e32 v3, 28, v2
	v_sub_nc_u32_e32 v2, 29, v2
	v_lshlrev_b64 v[3:4], v3, v[65:66]
	v_and_b32_e32 v65, 7, v3
; %bb.159:                              ;   in Loop: Header=BB203_15 Depth=1
	s_or_b32 exec_lo, exec_lo, s43
	v_lshlrev_b32_e32 v3, 16, v1
	v_lshlrev_b32_e32 v4, 20, v65
	v_lshl_add_u32 v2, v2, 23, 0x3c000000
	v_mov_b32_e32 v111, v66
	v_and_b32_e32 v3, 0x80000000, v3
	v_or3_b32 v112, v4, v3, v2
.LBB203_160:                            ;   in Loop: Header=BB203_15 Depth=1
	s_or_b32 exec_lo, exec_lo, s42
.LBB203_161:                            ;   in Loop: Header=BB203_15 Depth=1
	s_or_b32 exec_lo, exec_lo, s41
.LBB203_162:                            ;   in Loop: Header=BB203_15 Depth=1
	s_or_b32 exec_lo, exec_lo, s40
	v_mov_b32_e32 v113, 0
	v_mov_b32_e32 v115, 0
	v_and_b32_sdwa v2, v1, v88 dst_sel:DWORD dst_unused:UNUSED_PAD src0_sel:WORD_1 src1_sel:DWORD
	v_mov_b32_e32 v114, 0
	v_mov_b32_e32 v116, 0
	s_mov_b32 s40, exec_lo
	v_cmpx_ne_u16_e32 0, v2
	s_cbranch_execz .LBB203_170
; %bb.163:                              ;   in Loop: Header=BB203_15 Depth=1
	v_bfrev_b32_e32 v115, 1
	v_mov_b32_e32 v116, 0
	s_mov_b32 s41, exec_lo
	v_cmpx_ne_u16_e32 0x80, v2
	s_cbranch_execz .LBB203_169
; %bb.164:                              ;   in Loop: Header=BB203_15 Depth=1
	v_mov_b32_e32 v115, 0x7f800001
	v_bfe_u32 v3, v1, 16, 7
	v_mov_b32_e32 v116, 0
	s_mov_b32 s42, exec_lo
	v_cmpx_ne_u32_e32 0x7f, v3
	s_cbranch_execz .LBB203_168
; %bb.165:                              ;   in Loop: Header=BB203_15 Depth=1
	v_mov_b32_e32 v2, 7
	s_mov_b32 s43, exec_lo
	v_and_b32_sdwa v65, v1, v2 dst_sel:DWORD dst_unused:UNUSED_PAD src0_sel:WORD_1 src1_sel:DWORD
	v_lshrrev_b32_e32 v2, 3, v3
	v_cmpx_gt_u32_e32 8, v3
; %bb.166:                              ;   in Loop: Header=BB203_15 Depth=1
	v_ffbh_u32_e32 v2, v65
	v_min_u32_e32 v2, 32, v2
	v_subrev_nc_u32_e32 v3, 28, v2
	v_sub_nc_u32_e32 v2, 29, v2
	v_lshlrev_b64 v[3:4], v3, v[65:66]
	v_and_b32_e32 v65, 7, v3
; %bb.167:                              ;   in Loop: Header=BB203_15 Depth=1
	s_or_b32 exec_lo, exec_lo, s43
	v_mov_b32_e32 v3, 24
	v_lshlrev_b32_e32 v4, 20, v65
	v_lshl_add_u32 v2, v2, 23, 0x3c000000
	v_lshlrev_b32_sdwa v3, v3, v1 dst_sel:DWORD dst_unused:UNUSED_PAD src0_sel:DWORD src1_sel:WORD_1
	v_and_b32_e32 v3, 0x80000000, v3
	v_or3_b32 v65, v4, v3, v2
	v_mov_b32_e32 v116, v66
	v_mov_b32_e32 v115, v65
.LBB203_168:                            ;   in Loop: Header=BB203_15 Depth=1
	s_or_b32 exec_lo, exec_lo, s42
.LBB203_169:                            ;   in Loop: Header=BB203_15 Depth=1
	s_or_b32 exec_lo, exec_lo, s41
.LBB203_170:                            ;   in Loop: Header=BB203_15 Depth=1
	s_or_b32 exec_lo, exec_lo, s40
	s_mov_b32 s40, exec_lo
	v_cmpx_lt_u32_e32 0xffffff, v1
	s_cbranch_execz .LBB203_178
; %bb.171:                              ;   in Loop: Header=BB203_15 Depth=1
	v_mov_b32_e32 v81, v66
	v_mov_b32_e32 v114, v82
	v_cmp_ne_u32_sdwa s1, v1, v87 src0_sel:BYTE_3 src1_sel:DWORD
	v_mov_b32_e32 v113, v81
	s_and_saveexec_b32 s41, s1
	s_cbranch_execz .LBB203_177
; %bb.172:                              ;   in Loop: Header=BB203_15 Depth=1
	v_mov_b32_e32 v61, v66
	v_mov_b32_e32 v114, v62
	v_bfe_u32 v3, v1, 24, 7
	s_mov_b32 s42, exec_lo
	v_mov_b32_e32 v113, v61
	v_cmpx_ne_u32_e32 0x7f, v3
	s_cbranch_execz .LBB203_176
; %bb.173:                              ;   in Loop: Header=BB203_15 Depth=1
	v_mov_b32_e32 v2, 7
	s_mov_b32 s43, exec_lo
	v_and_b32_sdwa v65, v1, v2 dst_sel:DWORD dst_unused:UNUSED_PAD src0_sel:BYTE_3 src1_sel:DWORD
	v_lshrrev_b32_e32 v2, 3, v3
	v_cmpx_gt_u32_e32 8, v3
; %bb.174:                              ;   in Loop: Header=BB203_15 Depth=1
	v_ffbh_u32_e32 v2, v65
	v_min_u32_e32 v2, 32, v2
	v_subrev_nc_u32_e32 v3, 28, v2
	v_sub_nc_u32_e32 v2, 29, v2
	v_lshlrev_b64 v[3:4], v3, v[65:66]
	v_and_b32_e32 v65, 7, v3
; %bb.175:                              ;   in Loop: Header=BB203_15 Depth=1
	s_or_b32 exec_lo, exec_lo, s43
	v_mov_b32_e32 v3, 24
	v_lshl_add_u32 v2, v2, 23, 0x3c000000
	v_mov_b32_e32 v113, v66
	v_lshlrev_b32_sdwa v1, v3, v1 dst_sel:DWORD dst_unused:UNUSED_PAD src0_sel:DWORD src1_sel:BYTE_3
	v_lshlrev_b32_e32 v3, 20, v65
	v_and_b32_e32 v1, 0x80000000, v1
	v_or3_b32 v114, v3, v1, v2
.LBB203_176:                            ;   in Loop: Header=BB203_15 Depth=1
	s_or_b32 exec_lo, exec_lo, s42
.LBB203_177:                            ;   in Loop: Header=BB203_15 Depth=1
	s_or_b32 exec_lo, exec_lo, s41
.LBB203_178:                            ;   in Loop: Header=BB203_15 Depth=1
	s_or_b32 exec_lo, exec_lo, s40
	global_load_dword v1, v[91:92], off offset:516
	v_mov_b32_e32 v119, 0
	v_mov_b32_e32 v117, 0
	;; [unrolled: 1-line block ×4, first 2 shown]
	s_waitcnt vmcnt(0)
	v_cmp_ne_u16_sdwa s1, v1, v66 src0_sel:BYTE_0 src1_sel:DWORD
	s_and_saveexec_b32 s40, s1
	s_cbranch_execz .LBB203_186
; %bb.179:                              ;   in Loop: Header=BB203_15 Depth=1
	v_bfrev_b32_e32 v117, 1
	v_mov_b32_e32 v118, 0
	v_cmp_ne_u16_sdwa s1, v1, v87 src0_sel:BYTE_0 src1_sel:DWORD
	s_and_saveexec_b32 s41, s1
	s_cbranch_execz .LBB203_185
; %bb.180:                              ;   in Loop: Header=BB203_15 Depth=1
	v_mov_b32_e32 v117, 0x7f800001
	v_and_b32_e32 v3, 0x7f, v1
	v_mov_b32_e32 v118, 0
	s_mov_b32 s42, exec_lo
	v_cmpx_ne_u32_e32 0x7f, v3
	s_cbranch_execz .LBB203_184
; %bb.181:                              ;   in Loop: Header=BB203_15 Depth=1
	v_and_b32_e32 v65, 7, v1
	v_lshrrev_b32_e32 v2, 3, v3
	s_mov_b32 s43, exec_lo
	v_cmpx_gt_u32_e32 8, v3
; %bb.182:                              ;   in Loop: Header=BB203_15 Depth=1
	v_ffbh_u32_e32 v2, v65
	v_min_u32_e32 v2, 32, v2
	v_subrev_nc_u32_e32 v3, 28, v2
	v_sub_nc_u32_e32 v2, 29, v2
	v_lshlrev_b64 v[3:4], v3, v[65:66]
	v_and_b32_e32 v65, 7, v3
; %bb.183:                              ;   in Loop: Header=BB203_15 Depth=1
	s_or_b32 exec_lo, exec_lo, s43
	v_lshlrev_b32_e32 v3, 24, v1
	v_lshlrev_b32_e32 v4, 20, v65
	v_lshl_add_u32 v2, v2, 23, 0x3c000000
	v_and_b32_e32 v3, 0x80000000, v3
	v_or3_b32 v65, v4, v3, v2
	v_mov_b32_e32 v118, v66
	v_mov_b32_e32 v117, v65
.LBB203_184:                            ;   in Loop: Header=BB203_15 Depth=1
	s_or_b32 exec_lo, exec_lo, s42
.LBB203_185:                            ;   in Loop: Header=BB203_15 Depth=1
	s_or_b32 exec_lo, exec_lo, s41
.LBB203_186:                            ;   in Loop: Header=BB203_15 Depth=1
	s_or_b32 exec_lo, exec_lo, s40
	v_cmp_ne_u16_sdwa s1, v1, v66 src0_sel:BYTE_1 src1_sel:DWORD
	s_and_saveexec_b32 s40, s1
	s_cbranch_execz .LBB203_194
; %bb.187:                              ;   in Loop: Header=BB203_15 Depth=1
	v_mov_b32_e32 v81, v66
	v_mov_b32_e32 v120, v82
	v_cmp_ne_u16_sdwa s1, v1, v87 src0_sel:BYTE_1 src1_sel:DWORD
	v_mov_b32_e32 v119, v81
	s_and_saveexec_b32 s41, s1
	s_cbranch_execz .LBB203_193
; %bb.188:                              ;   in Loop: Header=BB203_15 Depth=1
	v_mov_b32_e32 v2, 0xffff
	v_mov_b32_e32 v61, v66
	;; [unrolled: 1-line block ×3, first 2 shown]
	s_mov_b32 s42, exec_lo
	v_and_b32_sdwa v2, v2, v1 dst_sel:DWORD dst_unused:UNUSED_PAD src0_sel:DWORD src1_sel:BYTE_1
	v_mov_b32_e32 v119, v61
	v_and_b32_e32 v3, 0x7f, v2
	v_cmpx_ne_u32_e32 0x7f, v3
	s_cbranch_execz .LBB203_192
; %bb.189:                              ;   in Loop: Header=BB203_15 Depth=1
	v_and_b32_e32 v65, 7, v2
	v_lshrrev_b32_e32 v2, 3, v3
	s_mov_b32 s43, exec_lo
	v_cmpx_gt_u32_e32 8, v3
; %bb.190:                              ;   in Loop: Header=BB203_15 Depth=1
	v_ffbh_u32_e32 v2, v65
	v_min_u32_e32 v2, 32, v2
	v_subrev_nc_u32_e32 v3, 28, v2
	v_sub_nc_u32_e32 v2, 29, v2
	v_lshlrev_b64 v[3:4], v3, v[65:66]
	v_and_b32_e32 v65, 7, v3
; %bb.191:                              ;   in Loop: Header=BB203_15 Depth=1
	s_or_b32 exec_lo, exec_lo, s43
	v_lshlrev_b32_e32 v3, 16, v1
	v_lshlrev_b32_e32 v4, 20, v65
	v_lshl_add_u32 v2, v2, 23, 0x3c000000
	v_mov_b32_e32 v119, v66
	v_and_b32_e32 v3, 0x80000000, v3
	v_or3_b32 v120, v4, v3, v2
.LBB203_192:                            ;   in Loop: Header=BB203_15 Depth=1
	s_or_b32 exec_lo, exec_lo, s42
.LBB203_193:                            ;   in Loop: Header=BB203_15 Depth=1
	s_or_b32 exec_lo, exec_lo, s41
.LBB203_194:                            ;   in Loop: Header=BB203_15 Depth=1
	s_or_b32 exec_lo, exec_lo, s40
	v_mov_b32_e32 v121, 0
	v_mov_b32_e32 v123, 0
	v_and_b32_sdwa v2, v1, v88 dst_sel:DWORD dst_unused:UNUSED_PAD src0_sel:WORD_1 src1_sel:DWORD
	v_mov_b32_e32 v122, 0
	v_mov_b32_e32 v124, 0
	s_mov_b32 s40, exec_lo
	v_cmpx_ne_u16_e32 0, v2
	s_cbranch_execz .LBB203_202
; %bb.195:                              ;   in Loop: Header=BB203_15 Depth=1
	v_bfrev_b32_e32 v123, 1
	v_mov_b32_e32 v124, 0
	s_mov_b32 s41, exec_lo
	v_cmpx_ne_u16_e32 0x80, v2
	s_cbranch_execz .LBB203_201
; %bb.196:                              ;   in Loop: Header=BB203_15 Depth=1
	v_mov_b32_e32 v123, 0x7f800001
	v_bfe_u32 v3, v1, 16, 7
	v_mov_b32_e32 v124, 0
	s_mov_b32 s42, exec_lo
	v_cmpx_ne_u32_e32 0x7f, v3
	s_cbranch_execz .LBB203_200
; %bb.197:                              ;   in Loop: Header=BB203_15 Depth=1
	v_mov_b32_e32 v2, 7
	s_mov_b32 s43, exec_lo
	v_and_b32_sdwa v65, v1, v2 dst_sel:DWORD dst_unused:UNUSED_PAD src0_sel:WORD_1 src1_sel:DWORD
	v_lshrrev_b32_e32 v2, 3, v3
	v_cmpx_gt_u32_e32 8, v3
; %bb.198:                              ;   in Loop: Header=BB203_15 Depth=1
	v_ffbh_u32_e32 v2, v65
	v_min_u32_e32 v2, 32, v2
	v_subrev_nc_u32_e32 v3, 28, v2
	v_sub_nc_u32_e32 v2, 29, v2
	v_lshlrev_b64 v[3:4], v3, v[65:66]
	v_and_b32_e32 v65, 7, v3
; %bb.199:                              ;   in Loop: Header=BB203_15 Depth=1
	s_or_b32 exec_lo, exec_lo, s43
	v_mov_b32_e32 v3, 24
	v_lshlrev_b32_e32 v4, 20, v65
	v_lshl_add_u32 v2, v2, 23, 0x3c000000
	v_lshlrev_b32_sdwa v3, v3, v1 dst_sel:DWORD dst_unused:UNUSED_PAD src0_sel:DWORD src1_sel:WORD_1
	v_and_b32_e32 v3, 0x80000000, v3
	v_or3_b32 v65, v4, v3, v2
	v_mov_b32_e32 v124, v66
	v_mov_b32_e32 v123, v65
.LBB203_200:                            ;   in Loop: Header=BB203_15 Depth=1
	s_or_b32 exec_lo, exec_lo, s42
.LBB203_201:                            ;   in Loop: Header=BB203_15 Depth=1
	s_or_b32 exec_lo, exec_lo, s41
.LBB203_202:                            ;   in Loop: Header=BB203_15 Depth=1
	s_or_b32 exec_lo, exec_lo, s40
	s_mov_b32 s40, exec_lo
	v_cmpx_lt_u32_e32 0xffffff, v1
	s_cbranch_execz .LBB203_210
; %bb.203:                              ;   in Loop: Header=BB203_15 Depth=1
	v_mov_b32_e32 v81, v66
	v_mov_b32_e32 v122, v82
	v_cmp_ne_u32_sdwa s1, v1, v87 src0_sel:BYTE_3 src1_sel:DWORD
	v_mov_b32_e32 v121, v81
	s_and_saveexec_b32 s41, s1
	s_cbranch_execz .LBB203_209
; %bb.204:                              ;   in Loop: Header=BB203_15 Depth=1
	v_mov_b32_e32 v61, v66
	v_mov_b32_e32 v122, v62
	v_bfe_u32 v3, v1, 24, 7
	s_mov_b32 s42, exec_lo
	v_mov_b32_e32 v121, v61
	v_cmpx_ne_u32_e32 0x7f, v3
	s_cbranch_execz .LBB203_208
; %bb.205:                              ;   in Loop: Header=BB203_15 Depth=1
	v_mov_b32_e32 v2, 7
	s_mov_b32 s43, exec_lo
	v_and_b32_sdwa v65, v1, v2 dst_sel:DWORD dst_unused:UNUSED_PAD src0_sel:BYTE_3 src1_sel:DWORD
	v_lshrrev_b32_e32 v2, 3, v3
	v_cmpx_gt_u32_e32 8, v3
; %bb.206:                              ;   in Loop: Header=BB203_15 Depth=1
	v_ffbh_u32_e32 v2, v65
	v_min_u32_e32 v2, 32, v2
	v_subrev_nc_u32_e32 v3, 28, v2
	v_sub_nc_u32_e32 v2, 29, v2
	v_lshlrev_b64 v[3:4], v3, v[65:66]
	v_and_b32_e32 v65, 7, v3
; %bb.207:                              ;   in Loop: Header=BB203_15 Depth=1
	s_or_b32 exec_lo, exec_lo, s43
	v_mov_b32_e32 v3, 24
	v_lshl_add_u32 v2, v2, 23, 0x3c000000
	v_mov_b32_e32 v121, v66
	v_lshlrev_b32_sdwa v1, v3, v1 dst_sel:DWORD dst_unused:UNUSED_PAD src0_sel:DWORD src1_sel:BYTE_3
	v_lshlrev_b32_e32 v3, 20, v65
	v_and_b32_e32 v1, 0x80000000, v1
	v_or3_b32 v122, v3, v1, v2
.LBB203_208:                            ;   in Loop: Header=BB203_15 Depth=1
	s_or_b32 exec_lo, exec_lo, s42
.LBB203_209:                            ;   in Loop: Header=BB203_15 Depth=1
	s_or_b32 exec_lo, exec_lo, s41
.LBB203_210:                            ;   in Loop: Header=BB203_15 Depth=1
	s_or_b32 exec_lo, exec_lo, s40
	global_load_dword v5, v[91:92], off offset:520
	v_mov_b32_e32 v71, 0
	v_mov_b32_e32 v125, 0
	;; [unrolled: 1-line block ×4, first 2 shown]
	s_waitcnt vmcnt(0)
	v_cmp_ne_u16_sdwa s1, v5, v66 src0_sel:BYTE_0 src1_sel:DWORD
	s_and_saveexec_b32 s40, s1
	s_cbranch_execz .LBB203_218
; %bb.211:                              ;   in Loop: Header=BB203_15 Depth=1
	v_bfrev_b32_e32 v125, 1
	v_mov_b32_e32 v126, 0
	v_cmp_ne_u16_sdwa s1, v5, v87 src0_sel:BYTE_0 src1_sel:DWORD
	s_and_saveexec_b32 s41, s1
	s_cbranch_execz .LBB203_217
; %bb.212:                              ;   in Loop: Header=BB203_15 Depth=1
	v_mov_b32_e32 v125, 0x7f800001
	v_and_b32_e32 v2, 0x7f, v5
	v_mov_b32_e32 v126, 0
	s_mov_b32 s42, exec_lo
	v_cmpx_ne_u32_e32 0x7f, v2
	s_cbranch_execz .LBB203_216
; %bb.213:                              ;   in Loop: Header=BB203_15 Depth=1
	v_and_b32_e32 v65, 7, v5
	v_lshrrev_b32_e32 v1, 3, v2
	s_mov_b32 s43, exec_lo
	v_cmpx_gt_u32_e32 8, v2
; %bb.214:                              ;   in Loop: Header=BB203_15 Depth=1
	v_ffbh_u32_e32 v1, v65
	v_min_u32_e32 v1, 32, v1
	v_subrev_nc_u32_e32 v2, 28, v1
	v_sub_nc_u32_e32 v1, 29, v1
	v_lshlrev_b64 v[2:3], v2, v[65:66]
	v_and_b32_e32 v65, 7, v2
; %bb.215:                              ;   in Loop: Header=BB203_15 Depth=1
	s_or_b32 exec_lo, exec_lo, s43
	v_lshlrev_b32_e32 v2, 24, v5
	v_lshlrev_b32_e32 v3, 20, v65
	v_lshl_add_u32 v1, v1, 23, 0x3c000000
	v_and_b32_e32 v2, 0x80000000, v2
	v_or3_b32 v65, v3, v2, v1
	v_mov_b32_e32 v126, v66
	v_mov_b32_e32 v125, v65
.LBB203_216:                            ;   in Loop: Header=BB203_15 Depth=1
	s_or_b32 exec_lo, exec_lo, s42
.LBB203_217:                            ;   in Loop: Header=BB203_15 Depth=1
	s_or_b32 exec_lo, exec_lo, s41
.LBB203_218:                            ;   in Loop: Header=BB203_15 Depth=1
	s_or_b32 exec_lo, exec_lo, s40
	v_cmp_ne_u16_sdwa s1, v5, v66 src0_sel:BYTE_1 src1_sel:DWORD
	s_and_saveexec_b32 s40, s1
	s_cbranch_execz .LBB203_226
; %bb.219:                              ;   in Loop: Header=BB203_15 Depth=1
	v_mov_b32_e32 v81, v66
	v_cmp_ne_u16_sdwa s1, v5, v87 src0_sel:BYTE_1 src1_sel:DWORD
	v_mov_b32_e32 v71, v81
	v_mov_b32_e32 v72, v82
	s_and_saveexec_b32 s41, s1
	s_cbranch_execz .LBB203_225
; %bb.220:                              ;   in Loop: Header=BB203_15 Depth=1
	v_mov_b32_e32 v1, 0xffff
	v_mov_b32_e32 v61, v66
	;; [unrolled: 1-line block ×3, first 2 shown]
	s_mov_b32 s42, exec_lo
	v_and_b32_sdwa v1, v1, v5 dst_sel:DWORD dst_unused:UNUSED_PAD src0_sel:DWORD src1_sel:BYTE_1
	v_mov_b32_e32 v71, v61
	v_and_b32_e32 v2, 0x7f, v1
	v_cmpx_ne_u32_e32 0x7f, v2
	s_cbranch_execz .LBB203_224
; %bb.221:                              ;   in Loop: Header=BB203_15 Depth=1
	v_and_b32_e32 v65, 7, v1
	v_lshrrev_b32_e32 v1, 3, v2
	s_mov_b32 s43, exec_lo
	v_cmpx_gt_u32_e32 8, v2
; %bb.222:                              ;   in Loop: Header=BB203_15 Depth=1
	v_ffbh_u32_e32 v1, v65
	v_min_u32_e32 v1, 32, v1
	v_subrev_nc_u32_e32 v2, 28, v1
	v_sub_nc_u32_e32 v1, 29, v1
	v_lshlrev_b64 v[2:3], v2, v[65:66]
	v_and_b32_e32 v65, 7, v2
; %bb.223:                              ;   in Loop: Header=BB203_15 Depth=1
	s_or_b32 exec_lo, exec_lo, s43
	v_lshlrev_b32_e32 v2, 16, v5
	v_lshlrev_b32_e32 v3, 20, v65
	v_lshl_add_u32 v1, v1, 23, 0x3c000000
	v_mov_b32_e32 v71, v66
	v_and_b32_e32 v2, 0x80000000, v2
	v_or3_b32 v72, v3, v2, v1
.LBB203_224:                            ;   in Loop: Header=BB203_15 Depth=1
	s_or_b32 exec_lo, exec_lo, s42
.LBB203_225:                            ;   in Loop: Header=BB203_15 Depth=1
	s_or_b32 exec_lo, exec_lo, s41
.LBB203_226:                            ;   in Loop: Header=BB203_15 Depth=1
	s_or_b32 exec_lo, exec_lo, s40
	v_mov_b32_e32 v1, 0
	v_mov_b32_e32 v3, 0
	v_and_b32_sdwa v6, v5, v88 dst_sel:DWORD dst_unused:UNUSED_PAD src0_sel:WORD_1 src1_sel:DWORD
	v_mov_b32_e32 v2, 0
	v_mov_b32_e32 v4, 0
	s_mov_b32 s40, exec_lo
	v_cmpx_ne_u16_e32 0, v6
	s_cbranch_execz .LBB203_234
; %bb.227:                              ;   in Loop: Header=BB203_15 Depth=1
	v_bfrev_b32_e32 v3, 1
	v_mov_b32_e32 v4, 0
	s_mov_b32 s41, exec_lo
	v_cmpx_ne_u16_e32 0x80, v6
	s_cbranch_execz .LBB203_233
; %bb.228:                              ;   in Loop: Header=BB203_15 Depth=1
	v_mov_b32_e32 v3, 0x7f800001
	v_bfe_u32 v6, v5, 16, 7
	v_mov_b32_e32 v4, 0
	s_mov_b32 s42, exec_lo
	v_cmpx_ne_u32_e32 0x7f, v6
	s_cbranch_execz .LBB203_232
; %bb.229:                              ;   in Loop: Header=BB203_15 Depth=1
	v_mov_b32_e32 v3, 7
	s_mov_b32 s43, exec_lo
	v_and_b32_sdwa v65, v5, v3 dst_sel:DWORD dst_unused:UNUSED_PAD src0_sel:WORD_1 src1_sel:DWORD
	v_lshrrev_b32_e32 v3, 3, v6
	v_cmpx_gt_u32_e32 8, v6
; %bb.230:                              ;   in Loop: Header=BB203_15 Depth=1
	v_ffbh_u32_e32 v3, v65
	v_min_u32_e32 v3, 32, v3
	v_subrev_nc_u32_e32 v4, 28, v3
	v_sub_nc_u32_e32 v3, 29, v3
	v_lshlrev_b64 v[6:7], v4, v[65:66]
	v_and_b32_e32 v65, 7, v6
; %bb.231:                              ;   in Loop: Header=BB203_15 Depth=1
	s_or_b32 exec_lo, exec_lo, s43
	v_mov_b32_e32 v4, 24
	v_lshlrev_b32_e32 v6, 20, v65
	v_lshl_add_u32 v3, v3, 23, 0x3c000000
	v_lshlrev_b32_sdwa v4, v4, v5 dst_sel:DWORD dst_unused:UNUSED_PAD src0_sel:DWORD src1_sel:WORD_1
	v_and_b32_e32 v4, 0x80000000, v4
	v_or3_b32 v65, v6, v4, v3
	v_mov_b32_e32 v3, v65
	v_mov_b32_e32 v4, v66
.LBB203_232:                            ;   in Loop: Header=BB203_15 Depth=1
	s_or_b32 exec_lo, exec_lo, s42
.LBB203_233:                            ;   in Loop: Header=BB203_15 Depth=1
	s_or_b32 exec_lo, exec_lo, s41
.LBB203_234:                            ;   in Loop: Header=BB203_15 Depth=1
	s_or_b32 exec_lo, exec_lo, s40
	s_mov_b32 s40, exec_lo
	v_cmpx_lt_u32_e32 0xffffff, v5
	s_cbranch_execz .LBB203_242
; %bb.235:                              ;   in Loop: Header=BB203_15 Depth=1
	v_mov_b32_e32 v81, v66
	v_cmp_ne_u32_sdwa s1, v5, v87 src0_sel:BYTE_3 src1_sel:DWORD
	v_mov_b32_e32 v1, v81
	v_mov_b32_e32 v2, v82
	s_and_saveexec_b32 s41, s1
	s_cbranch_execz .LBB203_241
; %bb.236:                              ;   in Loop: Header=BB203_15 Depth=1
	v_mov_b32_e32 v61, v66
	v_bfe_u32 v6, v5, 24, 7
	s_mov_b32 s42, exec_lo
	v_mov_b32_e32 v1, v61
	v_mov_b32_e32 v2, v62
	v_cmpx_ne_u32_e32 0x7f, v6
	s_cbranch_execz .LBB203_240
; %bb.237:                              ;   in Loop: Header=BB203_15 Depth=1
	v_mov_b32_e32 v1, 7
	s_mov_b32 s43, exec_lo
	v_and_b32_sdwa v65, v5, v1 dst_sel:DWORD dst_unused:UNUSED_PAD src0_sel:BYTE_3 src1_sel:DWORD
	v_lshrrev_b32_e32 v1, 3, v6
	v_cmpx_gt_u32_e32 8, v6
; %bb.238:                              ;   in Loop: Header=BB203_15 Depth=1
	v_ffbh_u32_e32 v1, v65
	v_min_u32_e32 v1, 32, v1
	v_subrev_nc_u32_e32 v2, 28, v1
	v_sub_nc_u32_e32 v1, 29, v1
	v_lshlrev_b64 v[6:7], v2, v[65:66]
	v_and_b32_e32 v65, 7, v6
; %bb.239:                              ;   in Loop: Header=BB203_15 Depth=1
	s_or_b32 exec_lo, exec_lo, s43
	v_mov_b32_e32 v2, 24
	v_lshl_add_u32 v1, v1, 23, 0x3c000000
	v_lshlrev_b32_sdwa v2, v2, v5 dst_sel:DWORD dst_unused:UNUSED_PAD src0_sel:DWORD src1_sel:BYTE_3
	v_lshlrev_b32_e32 v5, 20, v65
	v_and_b32_e32 v2, 0x80000000, v2
	v_or3_b32 v2, v5, v2, v1
	v_mov_b32_e32 v1, v66
.LBB203_240:                            ;   in Loop: Header=BB203_15 Depth=1
	s_or_b32 exec_lo, exec_lo, s42
.LBB203_241:                            ;   in Loop: Header=BB203_15 Depth=1
	s_or_b32 exec_lo, exec_lo, s41
.LBB203_242:                            ;   in Loop: Header=BB203_15 Depth=1
	s_or_b32 exec_lo, exec_lo, s40
	global_load_dword v13, v[91:92], off offset:524
	v_mov_b32_e32 v7, 0
	v_mov_b32_e32 v5, 0
	;; [unrolled: 1-line block ×4, first 2 shown]
	s_waitcnt vmcnt(0)
	v_cmp_ne_u16_sdwa s1, v13, v66 src0_sel:BYTE_0 src1_sel:DWORD
	s_and_saveexec_b32 s40, s1
	s_cbranch_execz .LBB203_250
; %bb.243:                              ;   in Loop: Header=BB203_15 Depth=1
	v_bfrev_b32_e32 v5, 1
	v_mov_b32_e32 v6, 0
	v_cmp_ne_u16_sdwa s1, v13, v87 src0_sel:BYTE_0 src1_sel:DWORD
	s_and_saveexec_b32 s41, s1
	s_cbranch_execz .LBB203_249
; %bb.244:                              ;   in Loop: Header=BB203_15 Depth=1
	v_mov_b32_e32 v5, 0x7f800001
	v_and_b32_e32 v9, 0x7f, v13
	v_mov_b32_e32 v6, 0
	s_mov_b32 s42, exec_lo
	v_cmpx_ne_u32_e32 0x7f, v9
	s_cbranch_execz .LBB203_248
; %bb.245:                              ;   in Loop: Header=BB203_15 Depth=1
	v_and_b32_e32 v65, 7, v13
	v_lshrrev_b32_e32 v5, 3, v9
	s_mov_b32 s43, exec_lo
	v_cmpx_gt_u32_e32 8, v9
; %bb.246:                              ;   in Loop: Header=BB203_15 Depth=1
	v_ffbh_u32_e32 v5, v65
	v_min_u32_e32 v5, 32, v5
	v_subrev_nc_u32_e32 v6, 28, v5
	v_sub_nc_u32_e32 v5, 29, v5
	v_lshlrev_b64 v[9:10], v6, v[65:66]
	v_and_b32_e32 v65, 7, v9
; %bb.247:                              ;   in Loop: Header=BB203_15 Depth=1
	s_or_b32 exec_lo, exec_lo, s43
	v_lshlrev_b32_e32 v6, 24, v13
	v_lshlrev_b32_e32 v9, 20, v65
	v_lshl_add_u32 v5, v5, 23, 0x3c000000
	v_and_b32_e32 v6, 0x80000000, v6
	v_or3_b32 v65, v9, v6, v5
	v_mov_b32_e32 v5, v65
	v_mov_b32_e32 v6, v66
.LBB203_248:                            ;   in Loop: Header=BB203_15 Depth=1
	s_or_b32 exec_lo, exec_lo, s42
.LBB203_249:                            ;   in Loop: Header=BB203_15 Depth=1
	s_or_b32 exec_lo, exec_lo, s41
.LBB203_250:                            ;   in Loop: Header=BB203_15 Depth=1
	s_or_b32 exec_lo, exec_lo, s40
	v_cmp_ne_u16_sdwa s1, v13, v66 src0_sel:BYTE_1 src1_sel:DWORD
	s_and_saveexec_b32 s40, s1
	s_cbranch_execz .LBB203_258
; %bb.251:                              ;   in Loop: Header=BB203_15 Depth=1
	v_mov_b32_e32 v81, v66
	v_cmp_ne_u16_sdwa s1, v13, v87 src0_sel:BYTE_1 src1_sel:DWORD
	v_mov_b32_e32 v7, v81
	v_mov_b32_e32 v8, v82
	s_and_saveexec_b32 s41, s1
	s_cbranch_execz .LBB203_257
; %bb.252:                              ;   in Loop: Header=BB203_15 Depth=1
	v_mov_b32_e32 v7, 0xffff
	v_mov_b32_e32 v61, v66
	s_mov_b32 s42, exec_lo
	v_and_b32_sdwa v10, v7, v13 dst_sel:DWORD dst_unused:UNUSED_PAD src0_sel:DWORD src1_sel:BYTE_1
	v_mov_b32_e32 v7, v61
	v_mov_b32_e32 v8, v62
	v_and_b32_e32 v9, 0x7f, v10
	v_cmpx_ne_u32_e32 0x7f, v9
	s_cbranch_execz .LBB203_256
; %bb.253:                              ;   in Loop: Header=BB203_15 Depth=1
	v_and_b32_e32 v65, 7, v10
	v_lshrrev_b32_e32 v7, 3, v9
	s_mov_b32 s43, exec_lo
	v_cmpx_gt_u32_e32 8, v9
; %bb.254:                              ;   in Loop: Header=BB203_15 Depth=1
	v_ffbh_u32_e32 v7, v65
	v_min_u32_e32 v7, 32, v7
	v_subrev_nc_u32_e32 v8, 28, v7
	v_sub_nc_u32_e32 v7, 29, v7
	v_lshlrev_b64 v[8:9], v8, v[65:66]
	v_and_b32_e32 v65, 7, v8
; %bb.255:                              ;   in Loop: Header=BB203_15 Depth=1
	s_or_b32 exec_lo, exec_lo, s43
	v_lshlrev_b32_e32 v8, 16, v13
	v_lshlrev_b32_e32 v9, 20, v65
	v_lshl_add_u32 v7, v7, 23, 0x3c000000
	v_and_b32_e32 v8, 0x80000000, v8
	v_or3_b32 v8, v9, v8, v7
	v_mov_b32_e32 v7, v66
.LBB203_256:                            ;   in Loop: Header=BB203_15 Depth=1
	s_or_b32 exec_lo, exec_lo, s42
.LBB203_257:                            ;   in Loop: Header=BB203_15 Depth=1
	s_or_b32 exec_lo, exec_lo, s41
.LBB203_258:                            ;   in Loop: Header=BB203_15 Depth=1
	s_or_b32 exec_lo, exec_lo, s40
	v_mov_b32_e32 v9, 0
	v_mov_b32_e32 v11, 0
	v_and_b32_sdwa v14, v13, v88 dst_sel:DWORD dst_unused:UNUSED_PAD src0_sel:WORD_1 src1_sel:DWORD
	v_mov_b32_e32 v10, 0
	v_mov_b32_e32 v12, 0
	s_mov_b32 s40, exec_lo
	v_cmpx_ne_u16_e32 0, v14
	s_cbranch_execz .LBB203_266
; %bb.259:                              ;   in Loop: Header=BB203_15 Depth=1
	v_bfrev_b32_e32 v11, 1
	v_mov_b32_e32 v12, 0
	s_mov_b32 s41, exec_lo
	v_cmpx_ne_u16_e32 0x80, v14
	s_cbranch_execz .LBB203_265
; %bb.260:                              ;   in Loop: Header=BB203_15 Depth=1
	v_mov_b32_e32 v11, 0x7f800001
	v_bfe_u32 v14, v13, 16, 7
	v_mov_b32_e32 v12, 0
	s_mov_b32 s42, exec_lo
	v_cmpx_ne_u32_e32 0x7f, v14
	s_cbranch_execz .LBB203_264
; %bb.261:                              ;   in Loop: Header=BB203_15 Depth=1
	v_mov_b32_e32 v11, 7
	s_mov_b32 s43, exec_lo
	v_and_b32_sdwa v65, v13, v11 dst_sel:DWORD dst_unused:UNUSED_PAD src0_sel:WORD_1 src1_sel:DWORD
	v_lshrrev_b32_e32 v11, 3, v14
	v_cmpx_gt_u32_e32 8, v14
; %bb.262:                              ;   in Loop: Header=BB203_15 Depth=1
	v_ffbh_u32_e32 v11, v65
	v_min_u32_e32 v11, 32, v11
	v_subrev_nc_u32_e32 v12, 28, v11
	v_sub_nc_u32_e32 v11, 29, v11
	v_lshlrev_b64 v[14:15], v12, v[65:66]
	v_and_b32_e32 v65, 7, v14
; %bb.263:                              ;   in Loop: Header=BB203_15 Depth=1
	s_or_b32 exec_lo, exec_lo, s43
	v_mov_b32_e32 v12, 24
	v_lshlrev_b32_e32 v14, 20, v65
	v_lshl_add_u32 v11, v11, 23, 0x3c000000
	v_lshlrev_b32_sdwa v12, v12, v13 dst_sel:DWORD dst_unused:UNUSED_PAD src0_sel:DWORD src1_sel:WORD_1
	v_and_b32_e32 v12, 0x80000000, v12
	v_or3_b32 v65, v14, v12, v11
	v_mov_b32_e32 v11, v65
	v_mov_b32_e32 v12, v66
.LBB203_264:                            ;   in Loop: Header=BB203_15 Depth=1
	s_or_b32 exec_lo, exec_lo, s42
.LBB203_265:                            ;   in Loop: Header=BB203_15 Depth=1
	s_or_b32 exec_lo, exec_lo, s41
.LBB203_266:                            ;   in Loop: Header=BB203_15 Depth=1
	s_or_b32 exec_lo, exec_lo, s40
	s_mov_b32 s40, exec_lo
	v_cmpx_lt_u32_e32 0xffffff, v13
	s_cbranch_execz .LBB203_274
; %bb.267:                              ;   in Loop: Header=BB203_15 Depth=1
	v_mov_b32_e32 v81, v66
	v_cmp_ne_u32_sdwa s1, v13, v87 src0_sel:BYTE_3 src1_sel:DWORD
	v_mov_b32_e32 v9, v81
	v_mov_b32_e32 v10, v82
	s_and_saveexec_b32 s41, s1
	s_cbranch_execz .LBB203_273
; %bb.268:                              ;   in Loop: Header=BB203_15 Depth=1
	v_mov_b32_e32 v61, v66
	v_bfe_u32 v14, v13, 24, 7
	s_mov_b32 s42, exec_lo
	v_mov_b32_e32 v9, v61
	v_mov_b32_e32 v10, v62
	v_cmpx_ne_u32_e32 0x7f, v14
	s_cbranch_execz .LBB203_272
; %bb.269:                              ;   in Loop: Header=BB203_15 Depth=1
	v_mov_b32_e32 v9, 7
	s_mov_b32 s43, exec_lo
	v_and_b32_sdwa v65, v13, v9 dst_sel:DWORD dst_unused:UNUSED_PAD src0_sel:BYTE_3 src1_sel:DWORD
	v_lshrrev_b32_e32 v9, 3, v14
	v_cmpx_gt_u32_e32 8, v14
; %bb.270:                              ;   in Loop: Header=BB203_15 Depth=1
	v_ffbh_u32_e32 v9, v65
	v_min_u32_e32 v9, 32, v9
	v_subrev_nc_u32_e32 v10, 28, v9
	v_sub_nc_u32_e32 v9, 29, v9
	v_lshlrev_b64 v[14:15], v10, v[65:66]
	v_and_b32_e32 v65, 7, v14
; %bb.271:                              ;   in Loop: Header=BB203_15 Depth=1
	s_or_b32 exec_lo, exec_lo, s43
	v_mov_b32_e32 v10, 24
	v_lshl_add_u32 v9, v9, 23, 0x3c000000
	v_lshlrev_b32_sdwa v10, v10, v13 dst_sel:DWORD dst_unused:UNUSED_PAD src0_sel:DWORD src1_sel:BYTE_3
	v_lshlrev_b32_e32 v13, 20, v65
	v_and_b32_e32 v10, 0x80000000, v10
	v_or3_b32 v10, v13, v10, v9
	v_mov_b32_e32 v9, v66
.LBB203_272:                            ;   in Loop: Header=BB203_15 Depth=1
	s_or_b32 exec_lo, exec_lo, s42
.LBB203_273:                            ;   in Loop: Header=BB203_15 Depth=1
	s_or_b32 exec_lo, exec_lo, s41
.LBB203_274:                            ;   in Loop: Header=BB203_15 Depth=1
	s_or_b32 exec_lo, exec_lo, s40
	global_load_dword v21, v[91:92], off offset:1024
	v_mov_b32_e32 v15, 0
	v_mov_b32_e32 v13, 0
	;; [unrolled: 1-line block ×4, first 2 shown]
	s_waitcnt vmcnt(0)
	v_cmp_ne_u16_sdwa s1, v21, v66 src0_sel:BYTE_0 src1_sel:DWORD
	s_and_saveexec_b32 s40, s1
	s_cbranch_execz .LBB203_282
; %bb.275:                              ;   in Loop: Header=BB203_15 Depth=1
	v_bfrev_b32_e32 v13, 1
	v_mov_b32_e32 v14, 0
	v_cmp_ne_u16_sdwa s1, v21, v87 src0_sel:BYTE_0 src1_sel:DWORD
	s_and_saveexec_b32 s41, s1
	s_cbranch_execz .LBB203_281
; %bb.276:                              ;   in Loop: Header=BB203_15 Depth=1
	v_mov_b32_e32 v13, 0x7f800001
	v_and_b32_e32 v17, 0x7f, v21
	v_mov_b32_e32 v14, 0
	s_mov_b32 s42, exec_lo
	v_cmpx_ne_u32_e32 0x7f, v17
	s_cbranch_execz .LBB203_280
; %bb.277:                              ;   in Loop: Header=BB203_15 Depth=1
	v_and_b32_e32 v65, 7, v21
	v_lshrrev_b32_e32 v13, 3, v17
	s_mov_b32 s43, exec_lo
	v_cmpx_gt_u32_e32 8, v17
; %bb.278:                              ;   in Loop: Header=BB203_15 Depth=1
	v_ffbh_u32_e32 v13, v65
	v_min_u32_e32 v13, 32, v13
	v_subrev_nc_u32_e32 v14, 28, v13
	v_sub_nc_u32_e32 v13, 29, v13
	v_lshlrev_b64 v[17:18], v14, v[65:66]
	v_and_b32_e32 v65, 7, v17
; %bb.279:                              ;   in Loop: Header=BB203_15 Depth=1
	s_or_b32 exec_lo, exec_lo, s43
	v_lshlrev_b32_e32 v14, 24, v21
	v_lshlrev_b32_e32 v17, 20, v65
	v_lshl_add_u32 v13, v13, 23, 0x3c000000
	v_and_b32_e32 v14, 0x80000000, v14
	v_or3_b32 v65, v17, v14, v13
	v_mov_b32_e32 v13, v65
	v_mov_b32_e32 v14, v66
.LBB203_280:                            ;   in Loop: Header=BB203_15 Depth=1
	s_or_b32 exec_lo, exec_lo, s42
.LBB203_281:                            ;   in Loop: Header=BB203_15 Depth=1
	s_or_b32 exec_lo, exec_lo, s41
.LBB203_282:                            ;   in Loop: Header=BB203_15 Depth=1
	s_or_b32 exec_lo, exec_lo, s40
	v_cmp_ne_u16_sdwa s1, v21, v66 src0_sel:BYTE_1 src1_sel:DWORD
	s_and_saveexec_b32 s40, s1
	s_cbranch_execz .LBB203_290
; %bb.283:                              ;   in Loop: Header=BB203_15 Depth=1
	v_mov_b32_e32 v81, v66
	v_cmp_ne_u16_sdwa s1, v21, v87 src0_sel:BYTE_1 src1_sel:DWORD
	v_mov_b32_e32 v15, v81
	v_mov_b32_e32 v16, v82
	s_and_saveexec_b32 s41, s1
	s_cbranch_execz .LBB203_289
; %bb.284:                              ;   in Loop: Header=BB203_15 Depth=1
	v_mov_b32_e32 v15, 0xffff
	v_mov_b32_e32 v61, v66
	s_mov_b32 s42, exec_lo
	v_and_b32_sdwa v18, v15, v21 dst_sel:DWORD dst_unused:UNUSED_PAD src0_sel:DWORD src1_sel:BYTE_1
	v_mov_b32_e32 v15, v61
	v_mov_b32_e32 v16, v62
	v_and_b32_e32 v17, 0x7f, v18
	v_cmpx_ne_u32_e32 0x7f, v17
	s_cbranch_execz .LBB203_288
; %bb.285:                              ;   in Loop: Header=BB203_15 Depth=1
	v_and_b32_e32 v65, 7, v18
	v_lshrrev_b32_e32 v15, 3, v17
	s_mov_b32 s43, exec_lo
	v_cmpx_gt_u32_e32 8, v17
; %bb.286:                              ;   in Loop: Header=BB203_15 Depth=1
	v_ffbh_u32_e32 v15, v65
	v_min_u32_e32 v15, 32, v15
	v_subrev_nc_u32_e32 v16, 28, v15
	v_sub_nc_u32_e32 v15, 29, v15
	v_lshlrev_b64 v[16:17], v16, v[65:66]
	v_and_b32_e32 v65, 7, v16
; %bb.287:                              ;   in Loop: Header=BB203_15 Depth=1
	s_or_b32 exec_lo, exec_lo, s43
	v_lshlrev_b32_e32 v16, 16, v21
	v_lshlrev_b32_e32 v17, 20, v65
	v_lshl_add_u32 v15, v15, 23, 0x3c000000
	v_and_b32_e32 v16, 0x80000000, v16
	v_or3_b32 v16, v17, v16, v15
	v_mov_b32_e32 v15, v66
.LBB203_288:                            ;   in Loop: Header=BB203_15 Depth=1
	s_or_b32 exec_lo, exec_lo, s42
.LBB203_289:                            ;   in Loop: Header=BB203_15 Depth=1
	s_or_b32 exec_lo, exec_lo, s41
.LBB203_290:                            ;   in Loop: Header=BB203_15 Depth=1
	s_or_b32 exec_lo, exec_lo, s40
	v_mov_b32_e32 v17, 0
	v_mov_b32_e32 v19, 0
	v_and_b32_sdwa v22, v21, v88 dst_sel:DWORD dst_unused:UNUSED_PAD src0_sel:WORD_1 src1_sel:DWORD
	v_mov_b32_e32 v18, 0
	v_mov_b32_e32 v20, 0
	s_mov_b32 s40, exec_lo
	v_cmpx_ne_u16_e32 0, v22
	s_cbranch_execz .LBB203_298
; %bb.291:                              ;   in Loop: Header=BB203_15 Depth=1
	v_bfrev_b32_e32 v19, 1
	v_mov_b32_e32 v20, 0
	s_mov_b32 s41, exec_lo
	v_cmpx_ne_u16_e32 0x80, v22
	s_cbranch_execz .LBB203_297
; %bb.292:                              ;   in Loop: Header=BB203_15 Depth=1
	v_mov_b32_e32 v19, 0x7f800001
	v_bfe_u32 v22, v21, 16, 7
	v_mov_b32_e32 v20, 0
	s_mov_b32 s42, exec_lo
	v_cmpx_ne_u32_e32 0x7f, v22
	s_cbranch_execz .LBB203_296
; %bb.293:                              ;   in Loop: Header=BB203_15 Depth=1
	v_mov_b32_e32 v19, 7
	s_mov_b32 s43, exec_lo
	v_and_b32_sdwa v65, v21, v19 dst_sel:DWORD dst_unused:UNUSED_PAD src0_sel:WORD_1 src1_sel:DWORD
	v_lshrrev_b32_e32 v19, 3, v22
	v_cmpx_gt_u32_e32 8, v22
; %bb.294:                              ;   in Loop: Header=BB203_15 Depth=1
	v_ffbh_u32_e32 v19, v65
	v_min_u32_e32 v19, 32, v19
	v_subrev_nc_u32_e32 v20, 28, v19
	v_sub_nc_u32_e32 v19, 29, v19
	v_lshlrev_b64 v[22:23], v20, v[65:66]
	v_and_b32_e32 v65, 7, v22
; %bb.295:                              ;   in Loop: Header=BB203_15 Depth=1
	s_or_b32 exec_lo, exec_lo, s43
	v_mov_b32_e32 v20, 24
	v_lshlrev_b32_e32 v22, 20, v65
	v_lshl_add_u32 v19, v19, 23, 0x3c000000
	v_lshlrev_b32_sdwa v20, v20, v21 dst_sel:DWORD dst_unused:UNUSED_PAD src0_sel:DWORD src1_sel:WORD_1
	v_and_b32_e32 v20, 0x80000000, v20
	v_or3_b32 v65, v22, v20, v19
	v_mov_b32_e32 v19, v65
	v_mov_b32_e32 v20, v66
.LBB203_296:                            ;   in Loop: Header=BB203_15 Depth=1
	s_or_b32 exec_lo, exec_lo, s42
.LBB203_297:                            ;   in Loop: Header=BB203_15 Depth=1
	s_or_b32 exec_lo, exec_lo, s41
.LBB203_298:                            ;   in Loop: Header=BB203_15 Depth=1
	s_or_b32 exec_lo, exec_lo, s40
	s_mov_b32 s40, exec_lo
	v_cmpx_lt_u32_e32 0xffffff, v21
	s_cbranch_execz .LBB203_306
; %bb.299:                              ;   in Loop: Header=BB203_15 Depth=1
	v_mov_b32_e32 v81, v66
	v_cmp_ne_u32_sdwa s1, v21, v87 src0_sel:BYTE_3 src1_sel:DWORD
	v_mov_b32_e32 v17, v81
	v_mov_b32_e32 v18, v82
	s_and_saveexec_b32 s41, s1
	s_cbranch_execz .LBB203_305
; %bb.300:                              ;   in Loop: Header=BB203_15 Depth=1
	v_mov_b32_e32 v61, v66
	v_bfe_u32 v22, v21, 24, 7
	s_mov_b32 s42, exec_lo
	v_mov_b32_e32 v17, v61
	v_mov_b32_e32 v18, v62
	v_cmpx_ne_u32_e32 0x7f, v22
	s_cbranch_execz .LBB203_304
; %bb.301:                              ;   in Loop: Header=BB203_15 Depth=1
	v_mov_b32_e32 v17, 7
	s_mov_b32 s43, exec_lo
	v_and_b32_sdwa v65, v21, v17 dst_sel:DWORD dst_unused:UNUSED_PAD src0_sel:BYTE_3 src1_sel:DWORD
	v_lshrrev_b32_e32 v17, 3, v22
	v_cmpx_gt_u32_e32 8, v22
; %bb.302:                              ;   in Loop: Header=BB203_15 Depth=1
	v_ffbh_u32_e32 v17, v65
	v_min_u32_e32 v17, 32, v17
	v_subrev_nc_u32_e32 v18, 28, v17
	v_sub_nc_u32_e32 v17, 29, v17
	v_lshlrev_b64 v[22:23], v18, v[65:66]
	v_and_b32_e32 v65, 7, v22
; %bb.303:                              ;   in Loop: Header=BB203_15 Depth=1
	s_or_b32 exec_lo, exec_lo, s43
	v_mov_b32_e32 v18, 24
	v_lshl_add_u32 v17, v17, 23, 0x3c000000
	v_lshlrev_b32_sdwa v18, v18, v21 dst_sel:DWORD dst_unused:UNUSED_PAD src0_sel:DWORD src1_sel:BYTE_3
	v_lshlrev_b32_e32 v21, 20, v65
	v_and_b32_e32 v18, 0x80000000, v18
	v_or3_b32 v18, v21, v18, v17
	v_mov_b32_e32 v17, v66
.LBB203_304:                            ;   in Loop: Header=BB203_15 Depth=1
	s_or_b32 exec_lo, exec_lo, s42
.LBB203_305:                            ;   in Loop: Header=BB203_15 Depth=1
	s_or_b32 exec_lo, exec_lo, s41
.LBB203_306:                            ;   in Loop: Header=BB203_15 Depth=1
	s_or_b32 exec_lo, exec_lo, s40
	global_load_dword v29, v[91:92], off offset:1028
	v_mov_b32_e32 v23, 0
	v_mov_b32_e32 v21, 0
	;; [unrolled: 1-line block ×4, first 2 shown]
	s_waitcnt vmcnt(0)
	v_cmp_ne_u16_sdwa s1, v29, v66 src0_sel:BYTE_0 src1_sel:DWORD
	s_and_saveexec_b32 s40, s1
	s_cbranch_execz .LBB203_314
; %bb.307:                              ;   in Loop: Header=BB203_15 Depth=1
	v_bfrev_b32_e32 v21, 1
	v_mov_b32_e32 v22, 0
	v_cmp_ne_u16_sdwa s1, v29, v87 src0_sel:BYTE_0 src1_sel:DWORD
	s_and_saveexec_b32 s41, s1
	s_cbranch_execz .LBB203_313
; %bb.308:                              ;   in Loop: Header=BB203_15 Depth=1
	v_mov_b32_e32 v21, 0x7f800001
	v_and_b32_e32 v25, 0x7f, v29
	v_mov_b32_e32 v22, 0
	s_mov_b32 s42, exec_lo
	v_cmpx_ne_u32_e32 0x7f, v25
	s_cbranch_execz .LBB203_312
; %bb.309:                              ;   in Loop: Header=BB203_15 Depth=1
	v_and_b32_e32 v65, 7, v29
	v_lshrrev_b32_e32 v21, 3, v25
	s_mov_b32 s43, exec_lo
	v_cmpx_gt_u32_e32 8, v25
; %bb.310:                              ;   in Loop: Header=BB203_15 Depth=1
	v_ffbh_u32_e32 v21, v65
	v_min_u32_e32 v21, 32, v21
	v_subrev_nc_u32_e32 v22, 28, v21
	v_sub_nc_u32_e32 v21, 29, v21
	v_lshlrev_b64 v[25:26], v22, v[65:66]
	v_and_b32_e32 v65, 7, v25
; %bb.311:                              ;   in Loop: Header=BB203_15 Depth=1
	s_or_b32 exec_lo, exec_lo, s43
	v_lshlrev_b32_e32 v22, 24, v29
	v_lshlrev_b32_e32 v25, 20, v65
	v_lshl_add_u32 v21, v21, 23, 0x3c000000
	v_and_b32_e32 v22, 0x80000000, v22
	v_or3_b32 v65, v25, v22, v21
	v_mov_b32_e32 v21, v65
	v_mov_b32_e32 v22, v66
.LBB203_312:                            ;   in Loop: Header=BB203_15 Depth=1
	s_or_b32 exec_lo, exec_lo, s42
.LBB203_313:                            ;   in Loop: Header=BB203_15 Depth=1
	s_or_b32 exec_lo, exec_lo, s41
.LBB203_314:                            ;   in Loop: Header=BB203_15 Depth=1
	s_or_b32 exec_lo, exec_lo, s40
	v_cmp_ne_u16_sdwa s1, v29, v66 src0_sel:BYTE_1 src1_sel:DWORD
	s_and_saveexec_b32 s40, s1
	s_cbranch_execz .LBB203_322
; %bb.315:                              ;   in Loop: Header=BB203_15 Depth=1
	v_mov_b32_e32 v81, v66
	v_cmp_ne_u16_sdwa s1, v29, v87 src0_sel:BYTE_1 src1_sel:DWORD
	v_mov_b32_e32 v23, v81
	v_mov_b32_e32 v24, v82
	s_and_saveexec_b32 s41, s1
	s_cbranch_execz .LBB203_321
; %bb.316:                              ;   in Loop: Header=BB203_15 Depth=1
	v_mov_b32_e32 v23, 0xffff
	v_mov_b32_e32 v61, v66
	s_mov_b32 s42, exec_lo
	v_and_b32_sdwa v26, v23, v29 dst_sel:DWORD dst_unused:UNUSED_PAD src0_sel:DWORD src1_sel:BYTE_1
	v_mov_b32_e32 v23, v61
	v_mov_b32_e32 v24, v62
	v_and_b32_e32 v25, 0x7f, v26
	v_cmpx_ne_u32_e32 0x7f, v25
	s_cbranch_execz .LBB203_320
; %bb.317:                              ;   in Loop: Header=BB203_15 Depth=1
	v_and_b32_e32 v65, 7, v26
	v_lshrrev_b32_e32 v23, 3, v25
	s_mov_b32 s43, exec_lo
	v_cmpx_gt_u32_e32 8, v25
; %bb.318:                              ;   in Loop: Header=BB203_15 Depth=1
	v_ffbh_u32_e32 v23, v65
	v_min_u32_e32 v23, 32, v23
	v_subrev_nc_u32_e32 v24, 28, v23
	v_sub_nc_u32_e32 v23, 29, v23
	v_lshlrev_b64 v[24:25], v24, v[65:66]
	v_and_b32_e32 v65, 7, v24
; %bb.319:                              ;   in Loop: Header=BB203_15 Depth=1
	s_or_b32 exec_lo, exec_lo, s43
	v_lshlrev_b32_e32 v24, 16, v29
	v_lshlrev_b32_e32 v25, 20, v65
	v_lshl_add_u32 v23, v23, 23, 0x3c000000
	v_and_b32_e32 v24, 0x80000000, v24
	v_or3_b32 v24, v25, v24, v23
	v_mov_b32_e32 v23, v66
.LBB203_320:                            ;   in Loop: Header=BB203_15 Depth=1
	s_or_b32 exec_lo, exec_lo, s42
.LBB203_321:                            ;   in Loop: Header=BB203_15 Depth=1
	s_or_b32 exec_lo, exec_lo, s41
.LBB203_322:                            ;   in Loop: Header=BB203_15 Depth=1
	s_or_b32 exec_lo, exec_lo, s40
	v_mov_b32_e32 v25, 0
	v_mov_b32_e32 v27, 0
	v_and_b32_sdwa v30, v29, v88 dst_sel:DWORD dst_unused:UNUSED_PAD src0_sel:WORD_1 src1_sel:DWORD
	v_mov_b32_e32 v26, 0
	v_mov_b32_e32 v28, 0
	s_mov_b32 s40, exec_lo
	v_cmpx_ne_u16_e32 0, v30
	s_cbranch_execz .LBB203_330
; %bb.323:                              ;   in Loop: Header=BB203_15 Depth=1
	v_bfrev_b32_e32 v27, 1
	v_mov_b32_e32 v28, 0
	s_mov_b32 s41, exec_lo
	v_cmpx_ne_u16_e32 0x80, v30
	s_cbranch_execz .LBB203_329
; %bb.324:                              ;   in Loop: Header=BB203_15 Depth=1
	v_mov_b32_e32 v27, 0x7f800001
	v_bfe_u32 v30, v29, 16, 7
	v_mov_b32_e32 v28, 0
	s_mov_b32 s42, exec_lo
	v_cmpx_ne_u32_e32 0x7f, v30
	s_cbranch_execz .LBB203_328
; %bb.325:                              ;   in Loop: Header=BB203_15 Depth=1
	v_mov_b32_e32 v27, 7
	s_mov_b32 s43, exec_lo
	v_and_b32_sdwa v65, v29, v27 dst_sel:DWORD dst_unused:UNUSED_PAD src0_sel:WORD_1 src1_sel:DWORD
	v_lshrrev_b32_e32 v27, 3, v30
	v_cmpx_gt_u32_e32 8, v30
; %bb.326:                              ;   in Loop: Header=BB203_15 Depth=1
	v_ffbh_u32_e32 v27, v65
	v_min_u32_e32 v27, 32, v27
	v_subrev_nc_u32_e32 v28, 28, v27
	v_sub_nc_u32_e32 v27, 29, v27
	v_lshlrev_b64 v[30:31], v28, v[65:66]
	v_and_b32_e32 v65, 7, v30
; %bb.327:                              ;   in Loop: Header=BB203_15 Depth=1
	s_or_b32 exec_lo, exec_lo, s43
	v_mov_b32_e32 v28, 24
	v_lshlrev_b32_e32 v30, 20, v65
	v_lshl_add_u32 v27, v27, 23, 0x3c000000
	v_lshlrev_b32_sdwa v28, v28, v29 dst_sel:DWORD dst_unused:UNUSED_PAD src0_sel:DWORD src1_sel:WORD_1
	v_and_b32_e32 v28, 0x80000000, v28
	v_or3_b32 v65, v30, v28, v27
	v_mov_b32_e32 v27, v65
	v_mov_b32_e32 v28, v66
.LBB203_328:                            ;   in Loop: Header=BB203_15 Depth=1
	s_or_b32 exec_lo, exec_lo, s42
.LBB203_329:                            ;   in Loop: Header=BB203_15 Depth=1
	s_or_b32 exec_lo, exec_lo, s41
.LBB203_330:                            ;   in Loop: Header=BB203_15 Depth=1
	s_or_b32 exec_lo, exec_lo, s40
	s_mov_b32 s40, exec_lo
	v_cmpx_lt_u32_e32 0xffffff, v29
	s_cbranch_execz .LBB203_338
; %bb.331:                              ;   in Loop: Header=BB203_15 Depth=1
	v_mov_b32_e32 v81, v66
	v_cmp_ne_u32_sdwa s1, v29, v87 src0_sel:BYTE_3 src1_sel:DWORD
	v_mov_b32_e32 v25, v81
	v_mov_b32_e32 v26, v82
	s_and_saveexec_b32 s41, s1
	s_cbranch_execz .LBB203_337
; %bb.332:                              ;   in Loop: Header=BB203_15 Depth=1
	v_mov_b32_e32 v61, v66
	v_bfe_u32 v30, v29, 24, 7
	s_mov_b32 s42, exec_lo
	v_mov_b32_e32 v25, v61
	v_mov_b32_e32 v26, v62
	v_cmpx_ne_u32_e32 0x7f, v30
	s_cbranch_execz .LBB203_336
; %bb.333:                              ;   in Loop: Header=BB203_15 Depth=1
	v_mov_b32_e32 v25, 7
	s_mov_b32 s43, exec_lo
	v_and_b32_sdwa v65, v29, v25 dst_sel:DWORD dst_unused:UNUSED_PAD src0_sel:BYTE_3 src1_sel:DWORD
	v_lshrrev_b32_e32 v25, 3, v30
	v_cmpx_gt_u32_e32 8, v30
; %bb.334:                              ;   in Loop: Header=BB203_15 Depth=1
	v_ffbh_u32_e32 v25, v65
	v_min_u32_e32 v25, 32, v25
	v_subrev_nc_u32_e32 v26, 28, v25
	v_sub_nc_u32_e32 v25, 29, v25
	v_lshlrev_b64 v[30:31], v26, v[65:66]
	v_and_b32_e32 v65, 7, v30
; %bb.335:                              ;   in Loop: Header=BB203_15 Depth=1
	s_or_b32 exec_lo, exec_lo, s43
	v_mov_b32_e32 v26, 24
	v_lshl_add_u32 v25, v25, 23, 0x3c000000
	v_lshlrev_b32_sdwa v26, v26, v29 dst_sel:DWORD dst_unused:UNUSED_PAD src0_sel:DWORD src1_sel:BYTE_3
	v_lshlrev_b32_e32 v29, 20, v65
	v_and_b32_e32 v26, 0x80000000, v26
	v_or3_b32 v26, v29, v26, v25
	v_mov_b32_e32 v25, v66
.LBB203_336:                            ;   in Loop: Header=BB203_15 Depth=1
	s_or_b32 exec_lo, exec_lo, s42
.LBB203_337:                            ;   in Loop: Header=BB203_15 Depth=1
	s_or_b32 exec_lo, exec_lo, s41
.LBB203_338:                            ;   in Loop: Header=BB203_15 Depth=1
	s_or_b32 exec_lo, exec_lo, s40
	global_load_dword v37, v[91:92], off offset:1032
	v_mov_b32_e32 v31, 0
	v_mov_b32_e32 v29, 0
	;; [unrolled: 1-line block ×4, first 2 shown]
	s_waitcnt vmcnt(0)
	v_cmp_ne_u16_sdwa s1, v37, v66 src0_sel:BYTE_0 src1_sel:DWORD
	s_and_saveexec_b32 s40, s1
	s_cbranch_execz .LBB203_346
; %bb.339:                              ;   in Loop: Header=BB203_15 Depth=1
	v_bfrev_b32_e32 v29, 1
	v_mov_b32_e32 v30, 0
	v_cmp_ne_u16_sdwa s1, v37, v87 src0_sel:BYTE_0 src1_sel:DWORD
	s_and_saveexec_b32 s41, s1
	s_cbranch_execz .LBB203_345
; %bb.340:                              ;   in Loop: Header=BB203_15 Depth=1
	v_mov_b32_e32 v29, 0x7f800001
	v_and_b32_e32 v33, 0x7f, v37
	v_mov_b32_e32 v30, 0
	s_mov_b32 s42, exec_lo
	v_cmpx_ne_u32_e32 0x7f, v33
	s_cbranch_execz .LBB203_344
; %bb.341:                              ;   in Loop: Header=BB203_15 Depth=1
	v_and_b32_e32 v65, 7, v37
	v_lshrrev_b32_e32 v29, 3, v33
	s_mov_b32 s43, exec_lo
	v_cmpx_gt_u32_e32 8, v33
; %bb.342:                              ;   in Loop: Header=BB203_15 Depth=1
	v_ffbh_u32_e32 v29, v65
	v_min_u32_e32 v29, 32, v29
	v_subrev_nc_u32_e32 v30, 28, v29
	v_sub_nc_u32_e32 v29, 29, v29
	v_lshlrev_b64 v[33:34], v30, v[65:66]
	v_and_b32_e32 v65, 7, v33
; %bb.343:                              ;   in Loop: Header=BB203_15 Depth=1
	s_or_b32 exec_lo, exec_lo, s43
	v_lshlrev_b32_e32 v30, 24, v37
	v_lshlrev_b32_e32 v33, 20, v65
	v_lshl_add_u32 v29, v29, 23, 0x3c000000
	v_and_b32_e32 v30, 0x80000000, v30
	v_or3_b32 v65, v33, v30, v29
	v_mov_b32_e32 v29, v65
	v_mov_b32_e32 v30, v66
.LBB203_344:                            ;   in Loop: Header=BB203_15 Depth=1
	s_or_b32 exec_lo, exec_lo, s42
.LBB203_345:                            ;   in Loop: Header=BB203_15 Depth=1
	s_or_b32 exec_lo, exec_lo, s41
.LBB203_346:                            ;   in Loop: Header=BB203_15 Depth=1
	s_or_b32 exec_lo, exec_lo, s40
	v_cmp_ne_u16_sdwa s1, v37, v66 src0_sel:BYTE_1 src1_sel:DWORD
	s_and_saveexec_b32 s40, s1
	s_cbranch_execz .LBB203_354
; %bb.347:                              ;   in Loop: Header=BB203_15 Depth=1
	v_mov_b32_e32 v81, v66
	v_cmp_ne_u16_sdwa s1, v37, v87 src0_sel:BYTE_1 src1_sel:DWORD
	v_mov_b32_e32 v31, v81
	v_mov_b32_e32 v32, v82
	s_and_saveexec_b32 s41, s1
	s_cbranch_execz .LBB203_353
; %bb.348:                              ;   in Loop: Header=BB203_15 Depth=1
	v_mov_b32_e32 v31, 0xffff
	v_mov_b32_e32 v61, v66
	s_mov_b32 s42, exec_lo
	v_and_b32_sdwa v34, v31, v37 dst_sel:DWORD dst_unused:UNUSED_PAD src0_sel:DWORD src1_sel:BYTE_1
	v_mov_b32_e32 v31, v61
	v_mov_b32_e32 v32, v62
	v_and_b32_e32 v33, 0x7f, v34
	v_cmpx_ne_u32_e32 0x7f, v33
	s_cbranch_execz .LBB203_352
; %bb.349:                              ;   in Loop: Header=BB203_15 Depth=1
	v_and_b32_e32 v65, 7, v34
	v_lshrrev_b32_e32 v31, 3, v33
	s_mov_b32 s43, exec_lo
	v_cmpx_gt_u32_e32 8, v33
; %bb.350:                              ;   in Loop: Header=BB203_15 Depth=1
	v_ffbh_u32_e32 v31, v65
	v_min_u32_e32 v31, 32, v31
	v_subrev_nc_u32_e32 v32, 28, v31
	v_sub_nc_u32_e32 v31, 29, v31
	v_lshlrev_b64 v[32:33], v32, v[65:66]
	v_and_b32_e32 v65, 7, v32
; %bb.351:                              ;   in Loop: Header=BB203_15 Depth=1
	s_or_b32 exec_lo, exec_lo, s43
	v_lshlrev_b32_e32 v32, 16, v37
	v_lshlrev_b32_e32 v33, 20, v65
	v_lshl_add_u32 v31, v31, 23, 0x3c000000
	v_and_b32_e32 v32, 0x80000000, v32
	v_or3_b32 v32, v33, v32, v31
	v_mov_b32_e32 v31, v66
.LBB203_352:                            ;   in Loop: Header=BB203_15 Depth=1
	s_or_b32 exec_lo, exec_lo, s42
.LBB203_353:                            ;   in Loop: Header=BB203_15 Depth=1
	s_or_b32 exec_lo, exec_lo, s41
.LBB203_354:                            ;   in Loop: Header=BB203_15 Depth=1
	s_or_b32 exec_lo, exec_lo, s40
	v_mov_b32_e32 v33, 0
	v_mov_b32_e32 v35, 0
	v_and_b32_sdwa v38, v37, v88 dst_sel:DWORD dst_unused:UNUSED_PAD src0_sel:WORD_1 src1_sel:DWORD
	v_mov_b32_e32 v34, 0
	v_mov_b32_e32 v36, 0
	s_mov_b32 s40, exec_lo
	v_cmpx_ne_u16_e32 0, v38
	s_cbranch_execz .LBB203_362
; %bb.355:                              ;   in Loop: Header=BB203_15 Depth=1
	v_bfrev_b32_e32 v35, 1
	v_mov_b32_e32 v36, 0
	s_mov_b32 s41, exec_lo
	v_cmpx_ne_u16_e32 0x80, v38
	s_cbranch_execz .LBB203_361
; %bb.356:                              ;   in Loop: Header=BB203_15 Depth=1
	v_mov_b32_e32 v35, 0x7f800001
	v_bfe_u32 v38, v37, 16, 7
	v_mov_b32_e32 v36, 0
	s_mov_b32 s42, exec_lo
	v_cmpx_ne_u32_e32 0x7f, v38
	s_cbranch_execz .LBB203_360
; %bb.357:                              ;   in Loop: Header=BB203_15 Depth=1
	v_mov_b32_e32 v35, 7
	s_mov_b32 s43, exec_lo
	v_and_b32_sdwa v65, v37, v35 dst_sel:DWORD dst_unused:UNUSED_PAD src0_sel:WORD_1 src1_sel:DWORD
	v_lshrrev_b32_e32 v35, 3, v38
	v_cmpx_gt_u32_e32 8, v38
; %bb.358:                              ;   in Loop: Header=BB203_15 Depth=1
	v_ffbh_u32_e32 v35, v65
	v_min_u32_e32 v35, 32, v35
	v_subrev_nc_u32_e32 v36, 28, v35
	v_sub_nc_u32_e32 v35, 29, v35
	v_lshlrev_b64 v[38:39], v36, v[65:66]
	v_and_b32_e32 v65, 7, v38
; %bb.359:                              ;   in Loop: Header=BB203_15 Depth=1
	s_or_b32 exec_lo, exec_lo, s43
	v_mov_b32_e32 v36, 24
	v_lshlrev_b32_e32 v38, 20, v65
	v_lshl_add_u32 v35, v35, 23, 0x3c000000
	v_lshlrev_b32_sdwa v36, v36, v37 dst_sel:DWORD dst_unused:UNUSED_PAD src0_sel:DWORD src1_sel:WORD_1
	v_and_b32_e32 v36, 0x80000000, v36
	v_or3_b32 v65, v38, v36, v35
	v_mov_b32_e32 v35, v65
	v_mov_b32_e32 v36, v66
.LBB203_360:                            ;   in Loop: Header=BB203_15 Depth=1
	s_or_b32 exec_lo, exec_lo, s42
.LBB203_361:                            ;   in Loop: Header=BB203_15 Depth=1
	s_or_b32 exec_lo, exec_lo, s41
.LBB203_362:                            ;   in Loop: Header=BB203_15 Depth=1
	s_or_b32 exec_lo, exec_lo, s40
	s_mov_b32 s40, exec_lo
	v_cmpx_lt_u32_e32 0xffffff, v37
	s_cbranch_execz .LBB203_370
; %bb.363:                              ;   in Loop: Header=BB203_15 Depth=1
	v_mov_b32_e32 v81, v66
	v_cmp_ne_u32_sdwa s1, v37, v87 src0_sel:BYTE_3 src1_sel:DWORD
	v_mov_b32_e32 v33, v81
	v_mov_b32_e32 v34, v82
	s_and_saveexec_b32 s41, s1
	s_cbranch_execz .LBB203_369
; %bb.364:                              ;   in Loop: Header=BB203_15 Depth=1
	v_mov_b32_e32 v61, v66
	v_bfe_u32 v38, v37, 24, 7
	s_mov_b32 s42, exec_lo
	v_mov_b32_e32 v33, v61
	v_mov_b32_e32 v34, v62
	v_cmpx_ne_u32_e32 0x7f, v38
	s_cbranch_execz .LBB203_368
; %bb.365:                              ;   in Loop: Header=BB203_15 Depth=1
	v_mov_b32_e32 v33, 7
	s_mov_b32 s43, exec_lo
	v_and_b32_sdwa v65, v37, v33 dst_sel:DWORD dst_unused:UNUSED_PAD src0_sel:BYTE_3 src1_sel:DWORD
	v_lshrrev_b32_e32 v33, 3, v38
	v_cmpx_gt_u32_e32 8, v38
; %bb.366:                              ;   in Loop: Header=BB203_15 Depth=1
	v_ffbh_u32_e32 v33, v65
	v_min_u32_e32 v33, 32, v33
	v_subrev_nc_u32_e32 v34, 28, v33
	v_sub_nc_u32_e32 v33, 29, v33
	v_lshlrev_b64 v[38:39], v34, v[65:66]
	v_and_b32_e32 v65, 7, v38
; %bb.367:                              ;   in Loop: Header=BB203_15 Depth=1
	s_or_b32 exec_lo, exec_lo, s43
	v_mov_b32_e32 v34, 24
	v_lshl_add_u32 v33, v33, 23, 0x3c000000
	v_lshlrev_b32_sdwa v34, v34, v37 dst_sel:DWORD dst_unused:UNUSED_PAD src0_sel:DWORD src1_sel:BYTE_3
	v_lshlrev_b32_e32 v37, 20, v65
	v_and_b32_e32 v34, 0x80000000, v34
	v_or3_b32 v34, v37, v34, v33
	v_mov_b32_e32 v33, v66
.LBB203_368:                            ;   in Loop: Header=BB203_15 Depth=1
	s_or_b32 exec_lo, exec_lo, s42
.LBB203_369:                            ;   in Loop: Header=BB203_15 Depth=1
	s_or_b32 exec_lo, exec_lo, s41
.LBB203_370:                            ;   in Loop: Header=BB203_15 Depth=1
	s_or_b32 exec_lo, exec_lo, s40
	global_load_dword v45, v[91:92], off offset:1036
	v_mov_b32_e32 v39, 0
	v_mov_b32_e32 v37, 0
	;; [unrolled: 1-line block ×4, first 2 shown]
	s_waitcnt vmcnt(0)
	v_cmp_ne_u16_sdwa s1, v45, v66 src0_sel:BYTE_0 src1_sel:DWORD
	s_and_saveexec_b32 s40, s1
	s_cbranch_execz .LBB203_378
; %bb.371:                              ;   in Loop: Header=BB203_15 Depth=1
	v_bfrev_b32_e32 v37, 1
	v_mov_b32_e32 v38, 0
	v_cmp_ne_u16_sdwa s1, v45, v87 src0_sel:BYTE_0 src1_sel:DWORD
	s_and_saveexec_b32 s41, s1
	s_cbranch_execz .LBB203_377
; %bb.372:                              ;   in Loop: Header=BB203_15 Depth=1
	v_mov_b32_e32 v37, 0x7f800001
	v_and_b32_e32 v41, 0x7f, v45
	v_mov_b32_e32 v38, 0
	s_mov_b32 s42, exec_lo
	v_cmpx_ne_u32_e32 0x7f, v41
	s_cbranch_execz .LBB203_376
; %bb.373:                              ;   in Loop: Header=BB203_15 Depth=1
	v_and_b32_e32 v65, 7, v45
	v_lshrrev_b32_e32 v37, 3, v41
	s_mov_b32 s43, exec_lo
	v_cmpx_gt_u32_e32 8, v41
; %bb.374:                              ;   in Loop: Header=BB203_15 Depth=1
	v_ffbh_u32_e32 v37, v65
	v_min_u32_e32 v37, 32, v37
	v_subrev_nc_u32_e32 v38, 28, v37
	v_sub_nc_u32_e32 v37, 29, v37
	v_lshlrev_b64 v[41:42], v38, v[65:66]
	v_and_b32_e32 v65, 7, v41
; %bb.375:                              ;   in Loop: Header=BB203_15 Depth=1
	s_or_b32 exec_lo, exec_lo, s43
	v_lshlrev_b32_e32 v38, 24, v45
	v_lshlrev_b32_e32 v41, 20, v65
	v_lshl_add_u32 v37, v37, 23, 0x3c000000
	v_and_b32_e32 v38, 0x80000000, v38
	v_or3_b32 v65, v41, v38, v37
	v_mov_b32_e32 v37, v65
	v_mov_b32_e32 v38, v66
.LBB203_376:                            ;   in Loop: Header=BB203_15 Depth=1
	s_or_b32 exec_lo, exec_lo, s42
.LBB203_377:                            ;   in Loop: Header=BB203_15 Depth=1
	s_or_b32 exec_lo, exec_lo, s41
.LBB203_378:                            ;   in Loop: Header=BB203_15 Depth=1
	s_or_b32 exec_lo, exec_lo, s40
	v_cmp_ne_u16_sdwa s1, v45, v66 src0_sel:BYTE_1 src1_sel:DWORD
	s_and_saveexec_b32 s40, s1
	s_cbranch_execz .LBB203_386
; %bb.379:                              ;   in Loop: Header=BB203_15 Depth=1
	v_mov_b32_e32 v81, v66
	v_cmp_ne_u16_sdwa s1, v45, v87 src0_sel:BYTE_1 src1_sel:DWORD
	v_mov_b32_e32 v39, v81
	v_mov_b32_e32 v40, v82
	s_and_saveexec_b32 s41, s1
	s_cbranch_execz .LBB203_385
; %bb.380:                              ;   in Loop: Header=BB203_15 Depth=1
	v_mov_b32_e32 v39, 0xffff
	v_mov_b32_e32 v61, v66
	s_mov_b32 s42, exec_lo
	v_and_b32_sdwa v42, v39, v45 dst_sel:DWORD dst_unused:UNUSED_PAD src0_sel:DWORD src1_sel:BYTE_1
	v_mov_b32_e32 v39, v61
	v_mov_b32_e32 v40, v62
	v_and_b32_e32 v41, 0x7f, v42
	v_cmpx_ne_u32_e32 0x7f, v41
	s_cbranch_execz .LBB203_384
; %bb.381:                              ;   in Loop: Header=BB203_15 Depth=1
	v_and_b32_e32 v65, 7, v42
	v_lshrrev_b32_e32 v39, 3, v41
	s_mov_b32 s43, exec_lo
	v_cmpx_gt_u32_e32 8, v41
; %bb.382:                              ;   in Loop: Header=BB203_15 Depth=1
	v_ffbh_u32_e32 v39, v65
	v_min_u32_e32 v39, 32, v39
	v_subrev_nc_u32_e32 v40, 28, v39
	v_sub_nc_u32_e32 v39, 29, v39
	v_lshlrev_b64 v[40:41], v40, v[65:66]
	v_and_b32_e32 v65, 7, v40
; %bb.383:                              ;   in Loop: Header=BB203_15 Depth=1
	s_or_b32 exec_lo, exec_lo, s43
	v_lshlrev_b32_e32 v40, 16, v45
	v_lshlrev_b32_e32 v41, 20, v65
	v_lshl_add_u32 v39, v39, 23, 0x3c000000
	v_and_b32_e32 v40, 0x80000000, v40
	v_or3_b32 v40, v41, v40, v39
	v_mov_b32_e32 v39, v66
.LBB203_384:                            ;   in Loop: Header=BB203_15 Depth=1
	s_or_b32 exec_lo, exec_lo, s42
.LBB203_385:                            ;   in Loop: Header=BB203_15 Depth=1
	s_or_b32 exec_lo, exec_lo, s41
.LBB203_386:                            ;   in Loop: Header=BB203_15 Depth=1
	s_or_b32 exec_lo, exec_lo, s40
	v_mov_b32_e32 v41, 0
	v_mov_b32_e32 v43, 0
	v_and_b32_sdwa v46, v45, v88 dst_sel:DWORD dst_unused:UNUSED_PAD src0_sel:WORD_1 src1_sel:DWORD
	v_mov_b32_e32 v42, 0
	v_mov_b32_e32 v44, 0
	s_mov_b32 s40, exec_lo
	v_cmpx_ne_u16_e32 0, v46
	s_cbranch_execz .LBB203_394
; %bb.387:                              ;   in Loop: Header=BB203_15 Depth=1
	v_bfrev_b32_e32 v43, 1
	v_mov_b32_e32 v44, 0
	s_mov_b32 s41, exec_lo
	v_cmpx_ne_u16_e32 0x80, v46
	s_cbranch_execz .LBB203_393
; %bb.388:                              ;   in Loop: Header=BB203_15 Depth=1
	v_mov_b32_e32 v43, 0x7f800001
	v_bfe_u32 v46, v45, 16, 7
	v_mov_b32_e32 v44, 0
	s_mov_b32 s42, exec_lo
	v_cmpx_ne_u32_e32 0x7f, v46
	s_cbranch_execz .LBB203_392
; %bb.389:                              ;   in Loop: Header=BB203_15 Depth=1
	v_mov_b32_e32 v43, 7
	s_mov_b32 s43, exec_lo
	v_and_b32_sdwa v65, v45, v43 dst_sel:DWORD dst_unused:UNUSED_PAD src0_sel:WORD_1 src1_sel:DWORD
	v_lshrrev_b32_e32 v43, 3, v46
	v_cmpx_gt_u32_e32 8, v46
; %bb.390:                              ;   in Loop: Header=BB203_15 Depth=1
	v_ffbh_u32_e32 v43, v65
	v_min_u32_e32 v43, 32, v43
	v_subrev_nc_u32_e32 v44, 28, v43
	v_sub_nc_u32_e32 v43, 29, v43
	v_lshlrev_b64 v[46:47], v44, v[65:66]
	v_and_b32_e32 v65, 7, v46
; %bb.391:                              ;   in Loop: Header=BB203_15 Depth=1
	s_or_b32 exec_lo, exec_lo, s43
	v_mov_b32_e32 v44, 24
	v_lshlrev_b32_e32 v46, 20, v65
	v_lshl_add_u32 v43, v43, 23, 0x3c000000
	v_lshlrev_b32_sdwa v44, v44, v45 dst_sel:DWORD dst_unused:UNUSED_PAD src0_sel:DWORD src1_sel:WORD_1
	v_and_b32_e32 v44, 0x80000000, v44
	v_or3_b32 v65, v46, v44, v43
	v_mov_b32_e32 v43, v65
	v_mov_b32_e32 v44, v66
.LBB203_392:                            ;   in Loop: Header=BB203_15 Depth=1
	s_or_b32 exec_lo, exec_lo, s42
.LBB203_393:                            ;   in Loop: Header=BB203_15 Depth=1
	s_or_b32 exec_lo, exec_lo, s41
.LBB203_394:                            ;   in Loop: Header=BB203_15 Depth=1
	s_or_b32 exec_lo, exec_lo, s40
	s_mov_b32 s40, exec_lo
	v_cmpx_lt_u32_e32 0xffffff, v45
	s_cbranch_execz .LBB203_402
; %bb.395:                              ;   in Loop: Header=BB203_15 Depth=1
	v_mov_b32_e32 v81, v66
	v_cmp_ne_u32_sdwa s1, v45, v87 src0_sel:BYTE_3 src1_sel:DWORD
	v_mov_b32_e32 v41, v81
	v_mov_b32_e32 v42, v82
	s_and_saveexec_b32 s41, s1
	s_cbranch_execz .LBB203_401
; %bb.396:                              ;   in Loop: Header=BB203_15 Depth=1
	v_mov_b32_e32 v61, v66
	v_bfe_u32 v46, v45, 24, 7
	s_mov_b32 s42, exec_lo
	v_mov_b32_e32 v41, v61
	v_mov_b32_e32 v42, v62
	v_cmpx_ne_u32_e32 0x7f, v46
	s_cbranch_execz .LBB203_400
; %bb.397:                              ;   in Loop: Header=BB203_15 Depth=1
	v_mov_b32_e32 v41, 7
	s_mov_b32 s43, exec_lo
	v_and_b32_sdwa v65, v45, v41 dst_sel:DWORD dst_unused:UNUSED_PAD src0_sel:BYTE_3 src1_sel:DWORD
	v_lshrrev_b32_e32 v41, 3, v46
	v_cmpx_gt_u32_e32 8, v46
; %bb.398:                              ;   in Loop: Header=BB203_15 Depth=1
	v_ffbh_u32_e32 v41, v65
	v_min_u32_e32 v41, 32, v41
	v_subrev_nc_u32_e32 v42, 28, v41
	v_sub_nc_u32_e32 v41, 29, v41
	v_lshlrev_b64 v[46:47], v42, v[65:66]
	v_and_b32_e32 v65, 7, v46
; %bb.399:                              ;   in Loop: Header=BB203_15 Depth=1
	s_or_b32 exec_lo, exec_lo, s43
	v_mov_b32_e32 v42, 24
	v_lshl_add_u32 v41, v41, 23, 0x3c000000
	v_lshlrev_b32_sdwa v42, v42, v45 dst_sel:DWORD dst_unused:UNUSED_PAD src0_sel:DWORD src1_sel:BYTE_3
	v_lshlrev_b32_e32 v45, 20, v65
	v_and_b32_e32 v42, 0x80000000, v42
	v_or3_b32 v42, v45, v42, v41
	v_mov_b32_e32 v41, v66
.LBB203_400:                            ;   in Loop: Header=BB203_15 Depth=1
	s_or_b32 exec_lo, exec_lo, s42
.LBB203_401:                            ;   in Loop: Header=BB203_15 Depth=1
	s_or_b32 exec_lo, exec_lo, s41
.LBB203_402:                            ;   in Loop: Header=BB203_15 Depth=1
	s_or_b32 exec_lo, exec_lo, s40
	global_load_dword v53, v[91:92], off offset:1536
	v_mov_b32_e32 v47, 0
	v_mov_b32_e32 v45, 0
	;; [unrolled: 1-line block ×4, first 2 shown]
	s_waitcnt vmcnt(0)
	v_cmp_ne_u16_sdwa s1, v53, v66 src0_sel:BYTE_0 src1_sel:DWORD
	s_and_saveexec_b32 s40, s1
	s_cbranch_execz .LBB203_410
; %bb.403:                              ;   in Loop: Header=BB203_15 Depth=1
	v_bfrev_b32_e32 v45, 1
	v_mov_b32_e32 v46, 0
	v_cmp_ne_u16_sdwa s1, v53, v87 src0_sel:BYTE_0 src1_sel:DWORD
	s_and_saveexec_b32 s41, s1
	s_cbranch_execz .LBB203_409
; %bb.404:                              ;   in Loop: Header=BB203_15 Depth=1
	v_mov_b32_e32 v45, 0x7f800001
	v_and_b32_e32 v49, 0x7f, v53
	v_mov_b32_e32 v46, 0
	s_mov_b32 s42, exec_lo
	v_cmpx_ne_u32_e32 0x7f, v49
	s_cbranch_execz .LBB203_408
; %bb.405:                              ;   in Loop: Header=BB203_15 Depth=1
	v_and_b32_e32 v65, 7, v53
	v_lshrrev_b32_e32 v45, 3, v49
	s_mov_b32 s43, exec_lo
	v_cmpx_gt_u32_e32 8, v49
; %bb.406:                              ;   in Loop: Header=BB203_15 Depth=1
	v_ffbh_u32_e32 v45, v65
	v_min_u32_e32 v45, 32, v45
	v_subrev_nc_u32_e32 v46, 28, v45
	v_sub_nc_u32_e32 v45, 29, v45
	v_lshlrev_b64 v[49:50], v46, v[65:66]
	v_and_b32_e32 v65, 7, v49
; %bb.407:                              ;   in Loop: Header=BB203_15 Depth=1
	s_or_b32 exec_lo, exec_lo, s43
	v_lshlrev_b32_e32 v46, 24, v53
	v_lshlrev_b32_e32 v49, 20, v65
	v_lshl_add_u32 v45, v45, 23, 0x3c000000
	v_and_b32_e32 v46, 0x80000000, v46
	v_or3_b32 v65, v49, v46, v45
	v_mov_b32_e32 v45, v65
	v_mov_b32_e32 v46, v66
.LBB203_408:                            ;   in Loop: Header=BB203_15 Depth=1
	s_or_b32 exec_lo, exec_lo, s42
.LBB203_409:                            ;   in Loop: Header=BB203_15 Depth=1
	s_or_b32 exec_lo, exec_lo, s41
.LBB203_410:                            ;   in Loop: Header=BB203_15 Depth=1
	s_or_b32 exec_lo, exec_lo, s40
	v_cmp_ne_u16_sdwa s1, v53, v66 src0_sel:BYTE_1 src1_sel:DWORD
	s_and_saveexec_b32 s40, s1
	s_cbranch_execz .LBB203_418
; %bb.411:                              ;   in Loop: Header=BB203_15 Depth=1
	v_mov_b32_e32 v81, v66
	v_cmp_ne_u16_sdwa s1, v53, v87 src0_sel:BYTE_1 src1_sel:DWORD
	v_mov_b32_e32 v47, v81
	v_mov_b32_e32 v48, v82
	s_and_saveexec_b32 s41, s1
	s_cbranch_execz .LBB203_417
; %bb.412:                              ;   in Loop: Header=BB203_15 Depth=1
	v_mov_b32_e32 v47, 0xffff
	v_mov_b32_e32 v61, v66
	s_mov_b32 s42, exec_lo
	v_and_b32_sdwa v50, v47, v53 dst_sel:DWORD dst_unused:UNUSED_PAD src0_sel:DWORD src1_sel:BYTE_1
	v_mov_b32_e32 v47, v61
	v_mov_b32_e32 v48, v62
	v_and_b32_e32 v49, 0x7f, v50
	v_cmpx_ne_u32_e32 0x7f, v49
	s_cbranch_execz .LBB203_416
; %bb.413:                              ;   in Loop: Header=BB203_15 Depth=1
	v_and_b32_e32 v65, 7, v50
	v_lshrrev_b32_e32 v47, 3, v49
	s_mov_b32 s43, exec_lo
	v_cmpx_gt_u32_e32 8, v49
; %bb.414:                              ;   in Loop: Header=BB203_15 Depth=1
	v_ffbh_u32_e32 v47, v65
	v_min_u32_e32 v47, 32, v47
	v_subrev_nc_u32_e32 v48, 28, v47
	v_sub_nc_u32_e32 v47, 29, v47
	v_lshlrev_b64 v[48:49], v48, v[65:66]
	v_and_b32_e32 v65, 7, v48
; %bb.415:                              ;   in Loop: Header=BB203_15 Depth=1
	s_or_b32 exec_lo, exec_lo, s43
	v_lshlrev_b32_e32 v48, 16, v53
	v_lshlrev_b32_e32 v49, 20, v65
	v_lshl_add_u32 v47, v47, 23, 0x3c000000
	v_and_b32_e32 v48, 0x80000000, v48
	v_or3_b32 v48, v49, v48, v47
	v_mov_b32_e32 v47, v66
.LBB203_416:                            ;   in Loop: Header=BB203_15 Depth=1
	s_or_b32 exec_lo, exec_lo, s42
.LBB203_417:                            ;   in Loop: Header=BB203_15 Depth=1
	s_or_b32 exec_lo, exec_lo, s41
.LBB203_418:                            ;   in Loop: Header=BB203_15 Depth=1
	s_or_b32 exec_lo, exec_lo, s40
	v_mov_b32_e32 v49, 0
	v_mov_b32_e32 v51, 0
	v_and_b32_sdwa v54, v53, v88 dst_sel:DWORD dst_unused:UNUSED_PAD src0_sel:WORD_1 src1_sel:DWORD
	v_mov_b32_e32 v50, 0
	v_mov_b32_e32 v52, 0
	s_mov_b32 s40, exec_lo
	v_cmpx_ne_u16_e32 0, v54
	s_cbranch_execz .LBB203_426
; %bb.419:                              ;   in Loop: Header=BB203_15 Depth=1
	v_bfrev_b32_e32 v51, 1
	v_mov_b32_e32 v52, 0
	s_mov_b32 s41, exec_lo
	v_cmpx_ne_u16_e32 0x80, v54
	s_cbranch_execz .LBB203_425
; %bb.420:                              ;   in Loop: Header=BB203_15 Depth=1
	v_mov_b32_e32 v51, 0x7f800001
	v_bfe_u32 v54, v53, 16, 7
	v_mov_b32_e32 v52, 0
	s_mov_b32 s42, exec_lo
	v_cmpx_ne_u32_e32 0x7f, v54
	s_cbranch_execz .LBB203_424
; %bb.421:                              ;   in Loop: Header=BB203_15 Depth=1
	v_mov_b32_e32 v51, 7
	s_mov_b32 s43, exec_lo
	v_and_b32_sdwa v65, v53, v51 dst_sel:DWORD dst_unused:UNUSED_PAD src0_sel:WORD_1 src1_sel:DWORD
	v_lshrrev_b32_e32 v51, 3, v54
	v_cmpx_gt_u32_e32 8, v54
; %bb.422:                              ;   in Loop: Header=BB203_15 Depth=1
	v_ffbh_u32_e32 v51, v65
	v_min_u32_e32 v51, 32, v51
	v_subrev_nc_u32_e32 v52, 28, v51
	v_sub_nc_u32_e32 v51, 29, v51
	v_lshlrev_b64 v[54:55], v52, v[65:66]
	v_and_b32_e32 v65, 7, v54
; %bb.423:                              ;   in Loop: Header=BB203_15 Depth=1
	s_or_b32 exec_lo, exec_lo, s43
	v_mov_b32_e32 v52, 24
	v_lshlrev_b32_e32 v54, 20, v65
	v_lshl_add_u32 v51, v51, 23, 0x3c000000
	v_lshlrev_b32_sdwa v52, v52, v53 dst_sel:DWORD dst_unused:UNUSED_PAD src0_sel:DWORD src1_sel:WORD_1
	v_and_b32_e32 v52, 0x80000000, v52
	v_or3_b32 v65, v54, v52, v51
	v_mov_b32_e32 v51, v65
	v_mov_b32_e32 v52, v66
.LBB203_424:                            ;   in Loop: Header=BB203_15 Depth=1
	s_or_b32 exec_lo, exec_lo, s42
.LBB203_425:                            ;   in Loop: Header=BB203_15 Depth=1
	s_or_b32 exec_lo, exec_lo, s41
.LBB203_426:                            ;   in Loop: Header=BB203_15 Depth=1
	s_or_b32 exec_lo, exec_lo, s40
	s_mov_b32 s40, exec_lo
	v_cmpx_lt_u32_e32 0xffffff, v53
	s_cbranch_execz .LBB203_434
; %bb.427:                              ;   in Loop: Header=BB203_15 Depth=1
	v_mov_b32_e32 v81, v66
	v_cmp_ne_u32_sdwa s1, v53, v87 src0_sel:BYTE_3 src1_sel:DWORD
	v_mov_b32_e32 v49, v81
	v_mov_b32_e32 v50, v82
	s_and_saveexec_b32 s41, s1
	s_cbranch_execz .LBB203_433
; %bb.428:                              ;   in Loop: Header=BB203_15 Depth=1
	v_mov_b32_e32 v61, v66
	v_bfe_u32 v54, v53, 24, 7
	s_mov_b32 s42, exec_lo
	v_mov_b32_e32 v49, v61
	v_mov_b32_e32 v50, v62
	v_cmpx_ne_u32_e32 0x7f, v54
	s_cbranch_execz .LBB203_432
; %bb.429:                              ;   in Loop: Header=BB203_15 Depth=1
	v_mov_b32_e32 v49, 7
	s_mov_b32 s43, exec_lo
	v_and_b32_sdwa v65, v53, v49 dst_sel:DWORD dst_unused:UNUSED_PAD src0_sel:BYTE_3 src1_sel:DWORD
	v_lshrrev_b32_e32 v49, 3, v54
	v_cmpx_gt_u32_e32 8, v54
; %bb.430:                              ;   in Loop: Header=BB203_15 Depth=1
	v_ffbh_u32_e32 v49, v65
	v_min_u32_e32 v49, 32, v49
	v_subrev_nc_u32_e32 v50, 28, v49
	v_sub_nc_u32_e32 v49, 29, v49
	v_lshlrev_b64 v[54:55], v50, v[65:66]
	v_and_b32_e32 v65, 7, v54
; %bb.431:                              ;   in Loop: Header=BB203_15 Depth=1
	s_or_b32 exec_lo, exec_lo, s43
	v_mov_b32_e32 v50, 24
	v_lshl_add_u32 v49, v49, 23, 0x3c000000
	v_lshlrev_b32_sdwa v50, v50, v53 dst_sel:DWORD dst_unused:UNUSED_PAD src0_sel:DWORD src1_sel:BYTE_3
	v_lshlrev_b32_e32 v53, 20, v65
	v_and_b32_e32 v50, 0x80000000, v50
	v_or3_b32 v50, v53, v50, v49
	v_mov_b32_e32 v49, v66
.LBB203_432:                            ;   in Loop: Header=BB203_15 Depth=1
	s_or_b32 exec_lo, exec_lo, s42
.LBB203_433:                            ;   in Loop: Header=BB203_15 Depth=1
	s_or_b32 exec_lo, exec_lo, s41
.LBB203_434:                            ;   in Loop: Header=BB203_15 Depth=1
	s_or_b32 exec_lo, exec_lo, s40
	global_load_dword v57, v[91:92], off offset:1540
	v_mov_b32_e32 v55, 0
	v_mov_b32_e32 v53, 0
	;; [unrolled: 1-line block ×4, first 2 shown]
	s_waitcnt vmcnt(0)
	v_cmp_ne_u16_sdwa s1, v57, v66 src0_sel:BYTE_0 src1_sel:DWORD
	s_and_saveexec_b32 s40, s1
	s_cbranch_execz .LBB203_442
; %bb.435:                              ;   in Loop: Header=BB203_15 Depth=1
	v_bfrev_b32_e32 v53, 1
	v_mov_b32_e32 v54, 0
	v_cmp_ne_u16_sdwa s1, v57, v87 src0_sel:BYTE_0 src1_sel:DWORD
	s_and_saveexec_b32 s41, s1
	s_cbranch_execz .LBB203_441
; %bb.436:                              ;   in Loop: Header=BB203_15 Depth=1
	v_mov_b32_e32 v53, 0x7f800001
	v_and_b32_e32 v58, 0x7f, v57
	v_mov_b32_e32 v54, 0
	s_mov_b32 s42, exec_lo
	v_cmpx_ne_u32_e32 0x7f, v58
	s_cbranch_execz .LBB203_440
; %bb.437:                              ;   in Loop: Header=BB203_15 Depth=1
	v_and_b32_e32 v65, 7, v57
	v_lshrrev_b32_e32 v53, 3, v58
	s_mov_b32 s43, exec_lo
	v_cmpx_gt_u32_e32 8, v58
; %bb.438:                              ;   in Loop: Header=BB203_15 Depth=1
	v_ffbh_u32_e32 v53, v65
	v_min_u32_e32 v53, 32, v53
	v_subrev_nc_u32_e32 v54, 28, v53
	v_sub_nc_u32_e32 v53, 29, v53
	v_lshlrev_b64 v[58:59], v54, v[65:66]
	v_and_b32_e32 v65, 7, v58
; %bb.439:                              ;   in Loop: Header=BB203_15 Depth=1
	s_or_b32 exec_lo, exec_lo, s43
	v_lshlrev_b32_e32 v54, 24, v57
	v_lshlrev_b32_e32 v58, 20, v65
	v_lshl_add_u32 v53, v53, 23, 0x3c000000
	v_and_b32_e32 v54, 0x80000000, v54
	v_or3_b32 v65, v58, v54, v53
	v_mov_b32_e32 v53, v65
	v_mov_b32_e32 v54, v66
.LBB203_440:                            ;   in Loop: Header=BB203_15 Depth=1
	s_or_b32 exec_lo, exec_lo, s42
.LBB203_441:                            ;   in Loop: Header=BB203_15 Depth=1
	s_or_b32 exec_lo, exec_lo, s41
.LBB203_442:                            ;   in Loop: Header=BB203_15 Depth=1
	s_or_b32 exec_lo, exec_lo, s40
	v_cmp_ne_u16_sdwa s1, v57, v66 src0_sel:BYTE_1 src1_sel:DWORD
	s_and_saveexec_b32 s40, s1
	s_cbranch_execz .LBB203_450
; %bb.443:                              ;   in Loop: Header=BB203_15 Depth=1
	v_mov_b32_e32 v81, v66
	v_cmp_ne_u16_sdwa s1, v57, v87 src0_sel:BYTE_1 src1_sel:DWORD
	v_mov_b32_e32 v55, v81
	v_mov_b32_e32 v56, v82
	s_and_saveexec_b32 s41, s1
	s_cbranch_execz .LBB203_449
; %bb.444:                              ;   in Loop: Header=BB203_15 Depth=1
	v_mov_b32_e32 v55, 0xffff
	v_mov_b32_e32 v61, v66
	s_mov_b32 s42, exec_lo
	v_and_b32_sdwa v59, v55, v57 dst_sel:DWORD dst_unused:UNUSED_PAD src0_sel:DWORD src1_sel:BYTE_1
	v_mov_b32_e32 v55, v61
	v_mov_b32_e32 v56, v62
	v_and_b32_e32 v58, 0x7f, v59
	v_cmpx_ne_u32_e32 0x7f, v58
	s_cbranch_execz .LBB203_448
; %bb.445:                              ;   in Loop: Header=BB203_15 Depth=1
	v_and_b32_e32 v65, 7, v59
	v_lshrrev_b32_e32 v55, 3, v58
	s_mov_b32 s43, exec_lo
	v_cmpx_gt_u32_e32 8, v58
; %bb.446:                              ;   in Loop: Header=BB203_15 Depth=1
	v_ffbh_u32_e32 v55, v65
	v_min_u32_e32 v55, 32, v55
	v_subrev_nc_u32_e32 v56, 28, v55
	v_sub_nc_u32_e32 v55, 29, v55
	v_lshlrev_b64 v[58:59], v56, v[65:66]
	v_and_b32_e32 v65, 7, v58
; %bb.447:                              ;   in Loop: Header=BB203_15 Depth=1
	s_or_b32 exec_lo, exec_lo, s43
	v_lshlrev_b32_e32 v56, 16, v57
	v_lshlrev_b32_e32 v58, 20, v65
	v_lshl_add_u32 v55, v55, 23, 0x3c000000
	v_and_b32_e32 v56, 0x80000000, v56
	v_or3_b32 v56, v58, v56, v55
	v_mov_b32_e32 v55, v66
.LBB203_448:                            ;   in Loop: Header=BB203_15 Depth=1
	s_or_b32 exec_lo, exec_lo, s42
.LBB203_449:                            ;   in Loop: Header=BB203_15 Depth=1
	s_or_b32 exec_lo, exec_lo, s41
.LBB203_450:                            ;   in Loop: Header=BB203_15 Depth=1
	s_or_b32 exec_lo, exec_lo, s40
	v_mov_b32_e32 v69, 0
	v_mov_b32_e32 v59, 0
	v_and_b32_sdwa v58, v57, v88 dst_sel:DWORD dst_unused:UNUSED_PAD src0_sel:WORD_1 src1_sel:DWORD
	v_mov_b32_e32 v70, 0
	v_mov_b32_e32 v60, 0
	s_mov_b32 s40, exec_lo
	v_cmpx_ne_u16_e32 0, v58
	s_cbranch_execz .LBB203_458
; %bb.451:                              ;   in Loop: Header=BB203_15 Depth=1
	v_bfrev_b32_e32 v59, 1
	v_mov_b32_e32 v60, 0
	s_mov_b32 s41, exec_lo
	v_cmpx_ne_u16_e32 0x80, v58
	s_cbranch_execz .LBB203_457
; %bb.452:                              ;   in Loop: Header=BB203_15 Depth=1
	v_mov_b32_e32 v59, 0x7f800001
	v_bfe_u32 v61, v57, 16, 7
	v_mov_b32_e32 v60, 0
	s_mov_b32 s42, exec_lo
	v_cmpx_ne_u32_e32 0x7f, v61
	s_cbranch_execz .LBB203_456
; %bb.453:                              ;   in Loop: Header=BB203_15 Depth=1
	v_mov_b32_e32 v58, 7
	s_mov_b32 s43, exec_lo
	v_and_b32_sdwa v65, v57, v58 dst_sel:DWORD dst_unused:UNUSED_PAD src0_sel:WORD_1 src1_sel:DWORD
	v_lshrrev_b32_e32 v58, 3, v61
	v_cmpx_gt_u32_e32 8, v61
; %bb.454:                              ;   in Loop: Header=BB203_15 Depth=1
	v_ffbh_u32_e32 v58, v65
	v_min_u32_e32 v58, 32, v58
	v_subrev_nc_u32_e32 v59, 28, v58
	v_sub_nc_u32_e32 v58, 29, v58
	v_lshlrev_b64 v[59:60], v59, v[65:66]
	v_and_b32_e32 v65, 7, v59
; %bb.455:                              ;   in Loop: Header=BB203_15 Depth=1
	s_or_b32 exec_lo, exec_lo, s43
	v_mov_b32_e32 v59, 24
	v_lshlrev_b32_e32 v60, 20, v65
	v_lshl_add_u32 v58, v58, 23, 0x3c000000
	v_lshlrev_b32_sdwa v59, v59, v57 dst_sel:DWORD dst_unused:UNUSED_PAD src0_sel:DWORD src1_sel:WORD_1
	v_and_b32_e32 v59, 0x80000000, v59
	v_or3_b32 v65, v60, v59, v58
	v_mov_b32_e32 v59, v65
	v_mov_b32_e32 v60, v66
.LBB203_456:                            ;   in Loop: Header=BB203_15 Depth=1
	s_or_b32 exec_lo, exec_lo, s42
.LBB203_457:                            ;   in Loop: Header=BB203_15 Depth=1
	s_or_b32 exec_lo, exec_lo, s41
.LBB203_458:                            ;   in Loop: Header=BB203_15 Depth=1
	s_or_b32 exec_lo, exec_lo, s40
	s_mov_b32 s40, exec_lo
	v_cmpx_lt_u32_e32 0xffffff, v57
	s_cbranch_execz .LBB203_466
; %bb.459:                              ;   in Loop: Header=BB203_15 Depth=1
	v_mov_b32_e32 v81, v66
	v_cmp_ne_u32_sdwa s1, v57, v87 src0_sel:BYTE_3 src1_sel:DWORD
	v_mov_b32_e32 v69, v81
	v_mov_b32_e32 v70, v82
	s_and_saveexec_b32 s41, s1
	s_cbranch_execz .LBB203_465
; %bb.460:                              ;   in Loop: Header=BB203_15 Depth=1
	v_mov_b32_e32 v61, v66
	v_mov_b32_e32 v70, v62
	v_bfe_u32 v63, v57, 24, 7
	s_mov_b32 s42, exec_lo
	v_mov_b32_e32 v69, v61
	v_cmpx_ne_u32_e32 0x7f, v63
	s_cbranch_execz .LBB203_464
; %bb.461:                              ;   in Loop: Header=BB203_15 Depth=1
	v_mov_b32_e32 v58, 7
	s_mov_b32 s43, exec_lo
	v_and_b32_sdwa v65, v57, v58 dst_sel:DWORD dst_unused:UNUSED_PAD src0_sel:BYTE_3 src1_sel:DWORD
	v_lshrrev_b32_e32 v58, 3, v63
	v_cmpx_gt_u32_e32 8, v63
; %bb.462:                              ;   in Loop: Header=BB203_15 Depth=1
	v_ffbh_u32_e32 v58, v65
	v_min_u32_e32 v58, 32, v58
	v_subrev_nc_u32_e32 v61, 28, v58
	v_sub_nc_u32_e32 v58, 29, v58
	v_lshlrev_b64 v[63:64], v61, v[65:66]
	v_and_b32_e32 v65, 7, v63
; %bb.463:                              ;   in Loop: Header=BB203_15 Depth=1
	s_or_b32 exec_lo, exec_lo, s43
	v_mov_b32_e32 v61, 24
	v_lshl_add_u32 v58, v58, 23, 0x3c000000
	v_mov_b32_e32 v69, v66
	v_lshlrev_b32_sdwa v57, v61, v57 dst_sel:DWORD dst_unused:UNUSED_PAD src0_sel:DWORD src1_sel:BYTE_3
	v_lshlrev_b32_e32 v61, 20, v65
	v_and_b32_e32 v57, 0x80000000, v57
	v_or3_b32 v70, v61, v57, v58
.LBB203_464:                            ;   in Loop: Header=BB203_15 Depth=1
	s_or_b32 exec_lo, exec_lo, s42
.LBB203_465:                            ;   in Loop: Header=BB203_15 Depth=1
	s_or_b32 exec_lo, exec_lo, s41
.LBB203_466:                            ;   in Loop: Header=BB203_15 Depth=1
	s_or_b32 exec_lo, exec_lo, s40
	global_load_dword v67, v[91:92], off offset:1544
	v_mov_b32_e32 v57, 0
	v_mov_b32_e32 v63, 0
	v_mov_b32_e32 v58, 0
	v_mov_b32_e32 v64, 0
	s_waitcnt vmcnt(0)
	v_cmp_ne_u16_sdwa s1, v67, v66 src0_sel:BYTE_0 src1_sel:DWORD
	s_and_saveexec_b32 s40, s1
	s_cbranch_execz .LBB203_474
; %bb.467:                              ;   in Loop: Header=BB203_15 Depth=1
	v_bfrev_b32_e32 v63, 1
	v_mov_b32_e32 v64, 0
	v_cmp_ne_u16_sdwa s1, v67, v87 src0_sel:BYTE_0 src1_sel:DWORD
	s_and_saveexec_b32 s41, s1
	s_cbranch_execz .LBB203_473
; %bb.468:                              ;   in Loop: Header=BB203_15 Depth=1
	v_mov_b32_e32 v63, 0x7f800001
	v_and_b32_e32 v68, 0x7f, v67
	v_mov_b32_e32 v64, 0
	s_mov_b32 s42, exec_lo
	v_cmpx_ne_u32_e32 0x7f, v68
	s_cbranch_execz .LBB203_472
; %bb.469:                              ;   in Loop: Header=BB203_15 Depth=1
	v_and_b32_e32 v65, 7, v67
	v_lshrrev_b32_e32 v61, 3, v68
	s_mov_b32 s43, exec_lo
	v_cmpx_gt_u32_e32 8, v68
; %bb.470:                              ;   in Loop: Header=BB203_15 Depth=1
	v_ffbh_u32_e32 v61, v65
	v_min_u32_e32 v61, 32, v61
	v_subrev_nc_u32_e32 v63, 28, v61
	v_sub_nc_u32_e32 v61, 29, v61
	v_lshlrev_b64 v[63:64], v63, v[65:66]
	v_and_b32_e32 v65, 7, v63
; %bb.471:                              ;   in Loop: Header=BB203_15 Depth=1
	s_or_b32 exec_lo, exec_lo, s43
	v_lshlrev_b32_e32 v63, 24, v67
	v_lshlrev_b32_e32 v64, 20, v65
	v_lshl_add_u32 v61, v61, 23, 0x3c000000
	v_and_b32_e32 v63, 0x80000000, v63
	v_or3_b32 v65, v64, v63, v61
	v_mov_b32_e32 v63, v65
	v_mov_b32_e32 v64, v66
.LBB203_472:                            ;   in Loop: Header=BB203_15 Depth=1
	s_or_b32 exec_lo, exec_lo, s42
.LBB203_473:                            ;   in Loop: Header=BB203_15 Depth=1
	s_or_b32 exec_lo, exec_lo, s41
.LBB203_474:                            ;   in Loop: Header=BB203_15 Depth=1
	s_or_b32 exec_lo, exec_lo, s40
	v_cmp_ne_u16_sdwa s1, v67, v66 src0_sel:BYTE_1 src1_sel:DWORD
	s_and_saveexec_b32 s40, s1
	s_cbranch_execz .LBB203_482
; %bb.475:                              ;   in Loop: Header=BB203_15 Depth=1
	v_mov_b32_e32 v81, v66
	v_cmp_ne_u16_sdwa s1, v67, v87 src0_sel:BYTE_1 src1_sel:DWORD
	v_mov_b32_e32 v57, v81
	v_mov_b32_e32 v58, v82
	s_and_saveexec_b32 s41, s1
	s_cbranch_execz .LBB203_481
; %bb.476:                              ;   in Loop: Header=BB203_15 Depth=1
	v_mov_b32_e32 v57, 0xffff
	v_mov_b32_e32 v61, v66
	s_mov_b32 s42, exec_lo
	v_and_b32_sdwa v65, v57, v67 dst_sel:DWORD dst_unused:UNUSED_PAD src0_sel:DWORD src1_sel:BYTE_1
	v_mov_b32_e32 v57, v61
	v_mov_b32_e32 v58, v62
	v_and_b32_e32 v68, 0x7f, v65
	v_cmpx_ne_u32_e32 0x7f, v68
	s_cbranch_execz .LBB203_480
; %bb.477:                              ;   in Loop: Header=BB203_15 Depth=1
	v_and_b32_e32 v65, 7, v65
	v_lshrrev_b32_e32 v57, 3, v68
	s_mov_b32 s43, exec_lo
	v_cmpx_gt_u32_e32 8, v68
; %bb.478:                              ;   in Loop: Header=BB203_15 Depth=1
	v_ffbh_u32_e32 v57, v65
	v_min_u32_e32 v57, 32, v57
	v_subrev_nc_u32_e32 v58, 28, v57
	v_sub_nc_u32_e32 v57, 29, v57
	v_lshlrev_b64 v[75:76], v58, v[65:66]
	v_and_b32_e32 v65, 7, v75
; %bb.479:                              ;   in Loop: Header=BB203_15 Depth=1
	s_or_b32 exec_lo, exec_lo, s43
	v_lshlrev_b32_e32 v58, 16, v67
	v_lshlrev_b32_e32 v61, 20, v65
	v_lshl_add_u32 v57, v57, 23, 0x3c000000
	v_and_b32_e32 v58, 0x80000000, v58
	v_or3_b32 v58, v61, v58, v57
	v_mov_b32_e32 v57, v66
.LBB203_480:                            ;   in Loop: Header=BB203_15 Depth=1
	s_or_b32 exec_lo, exec_lo, s42
.LBB203_481:                            ;   in Loop: Header=BB203_15 Depth=1
	s_or_b32 exec_lo, exec_lo, s41
.LBB203_482:                            ;   in Loop: Header=BB203_15 Depth=1
	s_or_b32 exec_lo, exec_lo, s40
	v_mov_b32_e32 v75, 0
	v_mov_b32_e32 v83, 0
	v_and_b32_sdwa v61, v67, v88 dst_sel:DWORD dst_unused:UNUSED_PAD src0_sel:WORD_1 src1_sel:DWORD
	v_mov_b32_e32 v76, 0
	v_mov_b32_e32 v84, 0
	s_mov_b32 s40, exec_lo
	v_cmpx_ne_u16_e32 0, v61
	s_cbranch_execz .LBB203_490
; %bb.483:                              ;   in Loop: Header=BB203_15 Depth=1
	v_bfrev_b32_e32 v83, 1
	v_mov_b32_e32 v84, 0
	s_mov_b32 s41, exec_lo
	v_cmpx_ne_u16_e32 0x80, v61
	s_cbranch_execz .LBB203_489
; %bb.484:                              ;   in Loop: Header=BB203_15 Depth=1
	v_mov_b32_e32 v83, 0x7f800001
	v_bfe_u32 v68, v67, 16, 7
	v_mov_b32_e32 v84, 0
	s_mov_b32 s42, exec_lo
	v_cmpx_ne_u32_e32 0x7f, v68
	s_cbranch_execz .LBB203_488
; %bb.485:                              ;   in Loop: Header=BB203_15 Depth=1
	v_mov_b32_e32 v61, 7
	s_mov_b32 s43, exec_lo
	v_and_b32_sdwa v65, v67, v61 dst_sel:DWORD dst_unused:UNUSED_PAD src0_sel:WORD_1 src1_sel:DWORD
	v_lshrrev_b32_e32 v61, 3, v68
	v_cmpx_gt_u32_e32 8, v68
; %bb.486:                              ;   in Loop: Header=BB203_15 Depth=1
	v_ffbh_u32_e32 v61, v65
	v_min_u32_e32 v61, 32, v61
	v_subrev_nc_u32_e32 v68, 28, v61
	v_sub_nc_u32_e32 v61, 29, v61
	v_lshlrev_b64 v[77:78], v68, v[65:66]
	v_and_b32_e32 v65, 7, v77
; %bb.487:                              ;   in Loop: Header=BB203_15 Depth=1
	s_or_b32 exec_lo, exec_lo, s43
	v_mov_b32_e32 v68, 24
	v_lshlrev_b32_e32 v65, 20, v65
	v_lshl_add_u32 v61, v61, 23, 0x3c000000
	v_lshlrev_b32_sdwa v68, v68, v67 dst_sel:DWORD dst_unused:UNUSED_PAD src0_sel:DWORD src1_sel:WORD_1
	v_and_b32_e32 v68, 0x80000000, v68
	v_or3_b32 v65, v65, v68, v61
	v_mov_b32_e32 v84, v66
	v_mov_b32_e32 v83, v65
.LBB203_488:                            ;   in Loop: Header=BB203_15 Depth=1
	s_or_b32 exec_lo, exec_lo, s42
.LBB203_489:                            ;   in Loop: Header=BB203_15 Depth=1
	s_or_b32 exec_lo, exec_lo, s41
.LBB203_490:                            ;   in Loop: Header=BB203_15 Depth=1
	s_or_b32 exec_lo, exec_lo, s40
	s_mov_b32 s40, exec_lo
	v_cmpx_lt_u32_e32 0xffffff, v67
	s_cbranch_execz .LBB203_498
; %bb.491:                              ;   in Loop: Header=BB203_15 Depth=1
	v_mov_b32_e32 v81, v66
	v_cmp_ne_u32_sdwa s1, v67, v87 src0_sel:BYTE_3 src1_sel:DWORD
	v_mov_b32_e32 v75, v81
	v_mov_b32_e32 v76, v82
	s_and_saveexec_b32 s41, s1
	s_cbranch_execz .LBB203_497
; %bb.492:                              ;   in Loop: Header=BB203_15 Depth=1
	v_mov_b32_e32 v61, v66
	v_mov_b32_e32 v76, v62
	v_bfe_u32 v68, v67, 24, 7
	s_mov_b32 s42, exec_lo
	v_mov_b32_e32 v75, v61
	v_cmpx_ne_u32_e32 0x7f, v68
	s_cbranch_execz .LBB203_496
; %bb.493:                              ;   in Loop: Header=BB203_15 Depth=1
	v_mov_b32_e32 v61, 7
	s_mov_b32 s43, exec_lo
	v_and_b32_sdwa v65, v67, v61 dst_sel:DWORD dst_unused:UNUSED_PAD src0_sel:BYTE_3 src1_sel:DWORD
	v_lshrrev_b32_e32 v61, 3, v68
	v_cmpx_gt_u32_e32 8, v68
; %bb.494:                              ;   in Loop: Header=BB203_15 Depth=1
	v_ffbh_u32_e32 v61, v65
	v_min_u32_e32 v61, 32, v61
	v_subrev_nc_u32_e32 v68, 28, v61
	v_sub_nc_u32_e32 v61, 29, v61
	v_lshlrev_b64 v[75:76], v68, v[65:66]
	v_and_b32_e32 v65, 7, v75
; %bb.495:                              ;   in Loop: Header=BB203_15 Depth=1
	s_or_b32 exec_lo, exec_lo, s43
	v_mov_b32_e32 v68, 24
	v_lshlrev_b32_e32 v65, 20, v65
	v_lshl_add_u32 v61, v61, 23, 0x3c000000
	v_mov_b32_e32 v75, v66
	v_lshlrev_b32_sdwa v67, v68, v67 dst_sel:DWORD dst_unused:UNUSED_PAD src0_sel:DWORD src1_sel:BYTE_3
	v_and_b32_e32 v67, 0x80000000, v67
	v_or3_b32 v76, v65, v67, v61
.LBB203_496:                            ;   in Loop: Header=BB203_15 Depth=1
	s_or_b32 exec_lo, exec_lo, s42
.LBB203_497:                            ;   in Loop: Header=BB203_15 Depth=1
	s_or_b32 exec_lo, exec_lo, s41
.LBB203_498:                            ;   in Loop: Header=BB203_15 Depth=1
	s_or_b32 exec_lo, exec_lo, s40
	global_load_dword v93, v[91:92], off offset:1548
	v_mov_b32_e32 v77, 0
	v_mov_b32_e32 v91, 0
	;; [unrolled: 1-line block ×4, first 2 shown]
	s_waitcnt vmcnt(0)
	v_cmp_ne_u16_sdwa s1, v93, v66 src0_sel:BYTE_0 src1_sel:DWORD
	s_and_saveexec_b32 s40, s1
	s_cbranch_execz .LBB203_506
; %bb.499:                              ;   in Loop: Header=BB203_15 Depth=1
	v_bfrev_b32_e32 v91, 1
	v_mov_b32_e32 v92, 0
	v_cmp_ne_u16_sdwa s1, v93, v87 src0_sel:BYTE_0 src1_sel:DWORD
	s_and_saveexec_b32 s41, s1
	s_cbranch_execz .LBB203_505
; %bb.500:                              ;   in Loop: Header=BB203_15 Depth=1
	v_mov_b32_e32 v91, 0x7f800001
	v_and_b32_e32 v67, 0x7f, v93
	v_mov_b32_e32 v92, 0
	s_mov_b32 s42, exec_lo
	v_cmpx_ne_u32_e32 0x7f, v67
	s_cbranch_execz .LBB203_504
; %bb.501:                              ;   in Loop: Header=BB203_15 Depth=1
	v_and_b32_e32 v65, 7, v93
	v_lshrrev_b32_e32 v61, 3, v67
	s_mov_b32 s43, exec_lo
	v_cmpx_gt_u32_e32 8, v67
; %bb.502:                              ;   in Loop: Header=BB203_15 Depth=1
	v_ffbh_u32_e32 v61, v65
	v_min_u32_e32 v61, 32, v61
	v_subrev_nc_u32_e32 v67, 28, v61
	v_sub_nc_u32_e32 v61, 29, v61
	v_lshlrev_b64 v[67:68], v67, v[65:66]
	v_and_b32_e32 v65, 7, v67
; %bb.503:                              ;   in Loop: Header=BB203_15 Depth=1
	s_or_b32 exec_lo, exec_lo, s43
	v_lshlrev_b32_e32 v67, 24, v93
	v_lshlrev_b32_e32 v65, 20, v65
	v_lshl_add_u32 v61, v61, 23, 0x3c000000
	v_and_b32_e32 v67, 0x80000000, v67
	v_or3_b32 v65, v65, v67, v61
	v_mov_b32_e32 v92, v66
	v_mov_b32_e32 v91, v65
.LBB203_504:                            ;   in Loop: Header=BB203_15 Depth=1
	s_or_b32 exec_lo, exec_lo, s42
.LBB203_505:                            ;   in Loop: Header=BB203_15 Depth=1
	s_or_b32 exec_lo, exec_lo, s41
.LBB203_506:                            ;   in Loop: Header=BB203_15 Depth=1
	s_or_b32 exec_lo, exec_lo, s40
	v_cmp_ne_u16_sdwa s1, v93, v66 src0_sel:BYTE_1 src1_sel:DWORD
	s_and_saveexec_b32 s40, s1
	s_cbranch_execz .LBB203_514
; %bb.507:                              ;   in Loop: Header=BB203_15 Depth=1
	v_mov_b32_e32 v81, v66
	v_cmp_ne_u16_sdwa s1, v93, v87 src0_sel:BYTE_1 src1_sel:DWORD
	v_mov_b32_e32 v77, v81
	v_mov_b32_e32 v78, v82
	s_and_saveexec_b32 s41, s1
	s_cbranch_execz .LBB203_513
; %bb.508:                              ;   in Loop: Header=BB203_15 Depth=1
	v_mov_b32_e32 v61, 0xffff
	s_mov_b32 s42, exec_lo
	v_and_b32_sdwa v65, v61, v93 dst_sel:DWORD dst_unused:UNUSED_PAD src0_sel:DWORD src1_sel:BYTE_1
	v_mov_b32_e32 v61, v66
	v_mov_b32_e32 v78, v62
	v_and_b32_e32 v67, 0x7f, v65
	v_mov_b32_e32 v77, v61
	v_cmpx_ne_u32_e32 0x7f, v67
	s_cbranch_execz .LBB203_512
; %bb.509:                              ;   in Loop: Header=BB203_15 Depth=1
	v_and_b32_e32 v65, 7, v65
	v_lshrrev_b32_e32 v61, 3, v67
	s_mov_b32 s43, exec_lo
	v_cmpx_gt_u32_e32 8, v67
; %bb.510:                              ;   in Loop: Header=BB203_15 Depth=1
	v_ffbh_u32_e32 v61, v65
	v_min_u32_e32 v61, 32, v61
	v_subrev_nc_u32_e32 v67, 28, v61
	v_sub_nc_u32_e32 v61, 29, v61
	v_lshlrev_b64 v[67:68], v67, v[65:66]
	v_and_b32_e32 v65, 7, v67
; %bb.511:                              ;   in Loop: Header=BB203_15 Depth=1
	s_or_b32 exec_lo, exec_lo, s43
	v_lshlrev_b32_e32 v67, 16, v93
	v_lshlrev_b32_e32 v65, 20, v65
	v_lshl_add_u32 v61, v61, 23, 0x3c000000
	v_mov_b32_e32 v77, v66
	v_and_b32_e32 v67, 0x80000000, v67
	v_or3_b32 v78, v65, v67, v61
.LBB203_512:                            ;   in Loop: Header=BB203_15 Depth=1
	s_or_b32 exec_lo, exec_lo, s42
.LBB203_513:                            ;   in Loop: Header=BB203_15 Depth=1
	s_or_b32 exec_lo, exec_lo, s41
.LBB203_514:                            ;   in Loop: Header=BB203_15 Depth=1
	s_or_b32 exec_lo, exec_lo, s40
	v_mov_b32_e32 v67, 0
	v_mov_b32_e32 v79, 0
	v_and_b32_sdwa v61, v93, v88 dst_sel:DWORD dst_unused:UNUSED_PAD src0_sel:WORD_1 src1_sel:DWORD
	v_mov_b32_e32 v68, 0
	v_mov_b32_e32 v80, 0
	s_mov_b32 s40, exec_lo
	v_cmpx_ne_u16_e32 0, v61
	s_cbranch_execz .LBB203_522
; %bb.515:                              ;   in Loop: Header=BB203_15 Depth=1
	v_bfrev_b32_e32 v79, 1
	v_mov_b32_e32 v80, 0
	s_mov_b32 s41, exec_lo
	v_cmpx_ne_u16_e32 0x80, v61
	s_cbranch_execz .LBB203_521
; %bb.516:                              ;   in Loop: Header=BB203_15 Depth=1
	v_mov_b32_e32 v79, 0x7f800001
	v_bfe_u32 v81, v93, 16, 7
	v_mov_b32_e32 v80, 0
	s_mov_b32 s42, exec_lo
	v_cmpx_ne_u32_e32 0x7f, v81
	s_cbranch_execz .LBB203_520
; %bb.517:                              ;   in Loop: Header=BB203_15 Depth=1
	v_mov_b32_e32 v61, 7
	s_mov_b32 s43, exec_lo
	v_and_b32_sdwa v65, v93, v61 dst_sel:DWORD dst_unused:UNUSED_PAD src0_sel:WORD_1 src1_sel:DWORD
	v_lshrrev_b32_e32 v61, 3, v81
	v_cmpx_gt_u32_e32 8, v81
; %bb.518:                              ;   in Loop: Header=BB203_15 Depth=1
	v_ffbh_u32_e32 v61, v65
	v_min_u32_e32 v61, 32, v61
	v_subrev_nc_u32_e32 v79, 28, v61
	v_sub_nc_u32_e32 v61, 29, v61
	v_lshlrev_b64 v[79:80], v79, v[65:66]
	v_and_b32_e32 v65, 7, v79
; %bb.519:                              ;   in Loop: Header=BB203_15 Depth=1
	s_or_b32 exec_lo, exec_lo, s43
	v_mov_b32_e32 v79, 24
	v_lshlrev_b32_e32 v65, 20, v65
	v_lshl_add_u32 v61, v61, 23, 0x3c000000
	v_lshlrev_b32_sdwa v79, v79, v93 dst_sel:DWORD dst_unused:UNUSED_PAD src0_sel:DWORD src1_sel:WORD_1
	v_and_b32_e32 v79, 0x80000000, v79
	v_or3_b32 v65, v65, v79, v61
	v_mov_b32_e32 v80, v66
	v_mov_b32_e32 v79, v65
.LBB203_520:                            ;   in Loop: Header=BB203_15 Depth=1
	s_or_b32 exec_lo, exec_lo, s42
.LBB203_521:                            ;   in Loop: Header=BB203_15 Depth=1
	s_or_b32 exec_lo, exec_lo, s41
.LBB203_522:                            ;   in Loop: Header=BB203_15 Depth=1
	s_or_b32 exec_lo, exec_lo, s40
	s_mov_b32 s40, exec_lo
	v_cmpx_lt_u32_e32 0xffffff, v93
	s_cbranch_execz .LBB203_13
; %bb.523:                              ;   in Loop: Header=BB203_15 Depth=1
	v_mov_b32_e32 v81, v66
	v_cmp_ne_u32_sdwa s1, v93, v87 src0_sel:BYTE_3 src1_sel:DWORD
	v_mov_b32_e32 v67, v81
	v_mov_b32_e32 v68, v82
	s_and_saveexec_b32 s41, s1
	s_cbranch_execz .LBB203_12
; %bb.524:                              ;   in Loop: Header=BB203_15 Depth=1
	v_mov_b32_e32 v61, v66
	v_mov_b32_e32 v68, v62
	v_bfe_u32 v81, v93, 24, 7
	s_mov_b32 s42, exec_lo
	v_mov_b32_e32 v67, v61
	v_cmpx_ne_u32_e32 0x7f, v81
	s_cbranch_execz .LBB203_11
; %bb.525:                              ;   in Loop: Header=BB203_15 Depth=1
	v_mov_b32_e32 v61, 7
	s_mov_b32 s43, exec_lo
	v_and_b32_sdwa v65, v93, v61 dst_sel:DWORD dst_unused:UNUSED_PAD src0_sel:BYTE_3 src1_sel:DWORD
	v_lshrrev_b32_e32 v61, 3, v81
	v_cmpx_gt_u32_e32 8, v81
	s_cbranch_execz .LBB203_10
; %bb.526:                              ;   in Loop: Header=BB203_15 Depth=1
	v_ffbh_u32_e32 v61, v65
	v_min_u32_e32 v61, 32, v61
	v_subrev_nc_u32_e32 v67, 28, v61
	v_sub_nc_u32_e32 v61, 29, v61
	v_lshlrev_b64 v[67:68], v67, v[65:66]
	v_and_b32_e32 v65, 7, v67
	s_branch .LBB203_10
.LBB203_527:
	s_or_b32 exec_lo, exec_lo, s37
	s_clause 0x1
	buffer_load_dword v9, off, s[44:47], 0 offset:352
	buffer_load_dword v10, off, s[44:47], 0 offset:348
.LBB203_528:
	s_or_b32 exec_lo, exec_lo, s36
	v_mbcnt_lo_u32_b32 v1, -1, 0
	v_max_f32_e32 v4, v94, v94
	v_xor_b32_e32 v0, 16, v1
	v_xor_b32_e32 v3, 8, v1
	v_cmp_gt_i32_e32 vcc_lo, 32, v0
	v_cndmask_b32_e32 v0, v1, v0, vcc_lo
	v_cmp_gt_i32_e32 vcc_lo, 32, v3
	v_lshlrev_b32_e32 v0, 2, v0
	v_cndmask_b32_e32 v3, v1, v3, vcc_lo
	ds_bpermute_b32 v2, v0, v94
	s_waitcnt lgkmcnt(0)
	v_max_f32_e32 v5, v2, v2
	v_lshlrev_b32_e32 v2, 2, v3
	v_max_f32_e32 v3, v4, v5
	v_xor_b32_e32 v5, 4, v1
	ds_bpermute_b32 v4, v2, v3
	v_cmp_gt_i32_e32 vcc_lo, 32, v5
	v_cndmask_b32_e32 v5, v1, v5, vcc_lo
	v_lshlrev_b32_e32 v27, 2, v5
	v_xor_b32_e32 v5, 2, v1
	v_cmp_gt_i32_e32 vcc_lo, 32, v5
	s_waitcnt lgkmcnt(0)
	v_max_f32_e32 v4, v4, v4
	v_cndmask_b32_e32 v5, v1, v5, vcc_lo
	v_max_f32_e32 v3, v3, v4
	v_lshlrev_b32_e32 v26, 2, v5
	v_xor_b32_e32 v5, 1, v1
	ds_bpermute_b32 v4, v27, v3
	v_cmp_gt_i32_e32 vcc_lo, 32, v5
	v_cndmask_b32_e32 v5, v1, v5, vcc_lo
	v_lshlrev_b32_e32 v25, 2, v5
	s_waitcnt lgkmcnt(0)
	v_max_f32_e32 v4, v4, v4
	v_max_f32_e32 v3, v3, v4
	ds_bpermute_b32 v4, v26, v3
	s_waitcnt lgkmcnt(0)
	v_max_f32_e32 v4, v4, v4
	v_max_f32_e32 v1, v3, v4
	buffer_load_dword v3, off, s[44:47], 0 offset:68 ; 4-byte Folded Reload
	ds_bpermute_b32 v4, v25, v1
	s_waitcnt vmcnt(0)
	v_cmp_eq_u32_e32 vcc_lo, 0, v3
	buffer_load_dword v3, off, s[44:47], 0 offset:344 ; 4-byte Folded Reload
	s_waitcnt vmcnt(0)
	v_lshlrev_b32_e32 v3, 2, v3
	s_and_saveexec_b32 s1, vcc_lo
	s_cbranch_execz .LBB203_530
; %bb.529:
	s_waitcnt lgkmcnt(0)
	v_max_f32_e32 v4, v4, v4
	v_max_f32_e32 v1, v1, v1
	;; [unrolled: 1-line block ×3, first 2 shown]
	ds_write_b32 v3, v1 offset:256
.LBB203_530:
	s_or_b32 exec_lo, exec_lo, s1
	buffer_load_dword v1, off, s[44:47], 0 offset:68 ; 4-byte Folded Reload
	s_waitcnt vmcnt(0) lgkmcnt(0)
	s_waitcnt_vscnt null, 0x0
	s_barrier
	buffer_gl0_inv
	v_cmp_gt_u32_e64 s1, 4, v1
	v_mov_b32_e32 v1, 0xff7fffff
	s_and_saveexec_b32 s2, s1
; %bb.531:
	ds_read_b32 v1, v9 offset:256
; %bb.532:
	s_or_b32 exec_lo, exec_lo, s2
	s_waitcnt lgkmcnt(0)
	ds_bpermute_b32 v4, v26, v1
	v_max_f32_e32 v1, v1, v1
	s_lshl_b32 s2, s20, 5
	s_min_i32 s4, s2, s33
	s_waitcnt lgkmcnt(0)
	v_max_f32_e32 v4, v4, v4
	v_max_f32_e32 v1, v1, v4
	ds_bpermute_b32 v4, v25, v1
	s_waitcnt lgkmcnt(0)
	v_max_f32_e32 v4, v4, v4
	v_max_f32_e32 v1, v1, v4
	v_mov_b32_e32 v4, 0
	ds_bpermute_b32 v5, v4, v1
	buffer_load_dword v1, off, s[44:47], 0 offset:340 ; 4-byte Folded Reload
	s_waitcnt vmcnt(0)
	v_cmp_gt_i32_e64 s2, s4, v1
	v_lshl_add_u32 v1, v1, 2, 0x120
	s_and_saveexec_b32 s5, s2
	s_cbranch_execz .LBB203_536
; %bb.533:
	buffer_load_dword v7, off, s[44:47], 0 offset:340 ; 4-byte Folded Reload
	v_mov_b32_e32 v4, 0
	s_mov_b32 s12, 0
	s_waitcnt vmcnt(0)
	v_lshl_add_u32 v6, v7, 2, 0x120
	.p2align	6
.LBB203_534:                            ; =>This Inner Loop Header: Depth=1
	ds_read_b32 v8, v6
	v_add_nc_u32_e32 v7, 0x80, v7
	v_cmp_le_i32_e64 s3, s4, v7
	s_or_b32 s12, s3, s12
	s_waitcnt lgkmcnt(0)
	v_sub_f32_e32 v8, v8, v5
	v_mul_f32_e32 v8, 0x3fb8aa3b, v8
	v_exp_f32_e32 v8, v8
	ds_write_b32 v6, v8
	v_add_f32_e32 v4, v4, v8
	v_add_nc_u32_e32 v6, 0x200, v6
	s_andn2_b32 exec_lo, exec_lo, s12
	s_cbranch_execnz .LBB203_534
; %bb.535:
	s_or_b32 exec_lo, exec_lo, s12
.LBB203_536:
	s_or_b32 exec_lo, exec_lo, s5
	ds_bpermute_b32 v0, v0, v4
	s_waitcnt lgkmcnt(0)
	v_add_f32_e32 v0, v4, v0
	ds_bpermute_b32 v2, v2, v0
	s_waitcnt lgkmcnt(0)
	v_add_f32_e32 v0, v0, v2
	;; [unrolled: 3-line block ×5, first 2 shown]
	s_and_saveexec_b32 s3, vcc_lo
; %bb.537:
	ds_write_b32 v3, v0 offset:272
; %bb.538:
	s_or_b32 exec_lo, exec_lo, s3
	s_waitcnt lgkmcnt(0)
	s_barrier
	buffer_gl0_inv
	s_and_saveexec_b32 s3, s1
; %bb.539:
	ds_read_b32 v0, v9 offset:272
; %bb.540:
	s_or_b32 exec_lo, exec_lo, s3
	s_waitcnt lgkmcnt(0)
	ds_bpermute_b32 v2, v26, v0
	s_waitcnt lgkmcnt(0)
	v_add_f32_e32 v0, v0, v2
	ds_bpermute_b32 v2, v25, v0
	s_waitcnt lgkmcnt(0)
	v_add_f32_e32 v0, v0, v2
	v_mov_b32_e32 v2, 0
	ds_bpermute_b32 v0, v2, v0
	s_and_saveexec_b32 s1, s2
	s_cbranch_execz .LBB203_543
; %bb.541:
	s_waitcnt lgkmcnt(0)
	v_add_f32_e32 v0, 0x358637bd, v0
	s_mov_b32 s2, 0
	v_div_scale_f32 v2, null, v0, v0, 1.0
	v_div_scale_f32 v5, vcc_lo, 1.0, v0, 1.0
	v_rcp_f32_e32 v3, v2
	v_fma_f32 v4, -v2, v3, 1.0
	v_fmac_f32_e32 v3, v4, v3
	v_mul_f32_e32 v4, v5, v3
	v_fma_f32 v6, -v2, v4, v5
	v_fmac_f32_e32 v4, v6, v3
	v_fma_f32 v2, -v2, v4, v5
	v_div_fmas_f32 v2, v2, v3, v4
	v_div_fixup_f32 v0, v2, v0, 1.0
	buffer_load_dword v2, off, s[44:47], 0 offset:340 ; 4-byte Folded Reload
.LBB203_542:                            ; =>This Inner Loop Header: Depth=1
	ds_read_b32 v3, v1
	s_waitcnt vmcnt(0)
	v_add_nc_u32_e32 v2, 0x80, v2
	v_cmp_le_i32_e32 vcc_lo, s4, v2
	s_or_b32 s2, vcc_lo, s2
	s_waitcnt lgkmcnt(0)
	v_mul_f32_e32 v3, v0, v3
	ds_write_b32 v1, v3
	v_add_nc_u32_e32 v1, 0x200, v1
	s_andn2_b32 exec_lo, exec_lo, s2
	s_cbranch_execnz .LBB203_542
.LBB203_543:
	s_or_b32 exec_lo, exec_lo, s1
	s_waitcnt lgkmcnt(0)
	buffer_load_dword v0, off, s[44:47], 0 offset:340 ; 4-byte Folded Reload
	v_mov_b32_e32 v42, 0
	v_mov_b32_e32 v43, 0
	;; [unrolled: 1-line block ×15, first 2 shown]
	s_waitcnt vmcnt(0)
	s_barrier
	buffer_gl0_inv
	v_and_b32_e32 v28, 7, v0
	v_mov_b32_e32 v0, 0
	s_and_saveexec_b32 s1, s0
	s_cbranch_execz .LBB203_1093
; %bb.544:
	s_clause 0x1
	buffer_load_dword v1, off, s[44:47], 0 offset:340
	buffer_load_dword v52, off, s[44:47], 0 offset:344
	s_sub_i32 s2, s34, s21
	s_ashr_i32 s0, s18, 31
	s_add_u32 s5, s30, s18
	s_addc_u32 s0, s31, s0
	s_abs_i32 s3, s22
	v_lshlrev_b32_e32 v3, 4, v28
	v_cvt_f32_u32_e32 v0, s3
	s_sub_i32 s4, 0, s3
	v_and_b32_e32 v2, 0x7c, v10
	s_lshl_b64 s[12:13], s[28:29], 2
	v_mov_b32_e32 v6, 0
	v_rcp_iflag_f32_e32 v0, v0
	v_mov_b32_e32 v44, 0x80
	v_bfrev_b32_e32 v8, 1
	v_mov_b32_e32 v45, 0xffff
	v_mov_b32_e32 v10, 0x7f800001
	;; [unrolled: 1-line block ×7, first 2 shown]
	v_mul_f32_e32 v0, 0x4f7ffffe, v0
	v_mov_b32_e32 v31, 0
	v_mov_b32_e32 v32, 0
	;; [unrolled: 1-line block ×4, first 2 shown]
	v_cvt_u32_f32_e32 v0, v0
	v_mov_b32_e32 v35, 0
	v_mov_b32_e32 v36, 0
	;; [unrolled: 1-line block ×4, first 2 shown]
	v_mul_lo_u32 v4, s4, v0
	s_add_i32 s4, s20, -1
	s_add_u32 s12, s26, s12
	s_addc_u32 s13, s27, s13
	v_add_co_u32 v11, s12, s12, v2
	v_add_co_ci_u32_e64 v12, null, s13, 0, s12
	v_mul_hi_u32 v4, v0, v4
	v_mov_b32_e32 v39, 0
	v_mov_b32_e32 v40, 0
	;; [unrolled: 1-line block ×5, first 2 shown]
	s_mov_b32 s12, s17
	v_add_nc_u32_e32 v51, v0, v4
	v_mov_b32_e32 v0, 0
	s_waitcnt vmcnt(1)
	v_lshlrev_b32_e32 v1, 2, v1
	s_waitcnt vmcnt(0)
	v_lshl_or_b32 v3, v52, 7, v3
	v_and_b32_e32 v49, 28, v1
	v_and_b32_e32 v1, 0x7c, v1
	v_add_nc_u32_e32 v50, 0x120, v3
	v_add_co_u32 v13, s5, s5, v1
	v_add_co_ci_u32_e64 v14, null, s0, 0, s5
	s_mov_b32 s5, 0
	s_branch .LBB203_547
.LBB203_545:                            ;   in Loop: Header=BB203_547 Depth=1
	s_or_b32 exec_lo, exec_lo, s0
	v_mul_f32_e32 v16, v1, v114
	v_mul_f32_e32 v17, v1, v112
	;; [unrolled: 1-line block ×5, first 2 shown]
	v_fmac_f32_e32 v16, v2, v113
	v_fmac_f32_e32 v17, v2, v111
	;; [unrolled: 1-line block ×15, first 2 shown]
	v_add_f32_e32 v30, v30, v16
	v_add_f32_e32 v31, v31, v17
	;; [unrolled: 1-line block ×4, first 2 shown]
	v_mul_f32_e32 v16, v1, v92
	v_mul_f32_e32 v17, v1, v88
	;; [unrolled: 1-line block ×5, first 2 shown]
	v_fmac_f32_e32 v16, v2, v91
	v_fmac_f32_e32 v17, v2, v87
	;; [unrolled: 1-line block ×4, first 2 shown]
	v_add_f32_e32 v34, v34, v20
	v_fmac_f32_e32 v16, v3, v90
	v_fmac_f32_e32 v17, v3, v86
	;; [unrolled: 1-line block ×4, first 2 shown]
	v_mul_f32_e32 v20, v1, v76
	v_fmac_f32_e32 v16, v4, v89
	v_fmac_f32_e32 v17, v4, v85
	;; [unrolled: 1-line block ×5, first 2 shown]
	v_add_f32_e32 v35, v35, v16
	v_add_f32_e32 v36, v36, v17
	;; [unrolled: 1-line block ×4, first 2 shown]
	v_mul_f32_e32 v16, v1, v72
	v_mul_f32_e32 v17, v1, v68
	;; [unrolled: 1-line block ×5, first 2 shown]
	v_fmac_f32_e32 v20, v2, v75
	v_fmac_f32_e32 v16, v2, v71
	;; [unrolled: 1-line block ×20, first 2 shown]
	v_add_f32_e32 v0, v0, v21
	v_add_f32_e32 v39, v39, v20
	;; [unrolled: 1-line block ×7, first 2 shown]
.LBB203_546:                            ;   in Loop: Header=BB203_547 Depth=1
	s_or_b32 exec_lo, exec_lo, s13
	v_add_nc_u32_e32 v52, 4, v52
	v_add_co_u32 v11, s0, v11, 16
	v_add_co_ci_u32_e64 v12, null, 0, v12, s0
	v_cmp_le_i32_e32 vcc_lo, s20, v52
	v_add_nc_u32_e32 v127, 0x80, v127
	v_add_nc_u32_e32 v50, 0x200, v50
	s_or_b32 s5, vcc_lo, s5
	s_andn2_b32 exec_lo, exec_lo, s5
	s_cbranch_execz .LBB203_1092
.LBB203_547:                            ; =>This Inner Loop Header: Depth=1
	v_mul_hi_u32 v1, v127, s19
	v_mul_lo_u32 v2, v1, s16
	v_add_nc_u32_e32 v3, 1, v1
	v_sub_nc_u32_e32 v2, v127, v2
	v_subrev_nc_u32_e32 v4, s16, v2
	v_cmp_le_u32_e32 vcc_lo, s16, v2
	v_cndmask_b32_e32 v1, v1, v3, vcc_lo
	v_cndmask_b32_e32 v2, v2, v4, vcc_lo
	v_add_nc_u32_e32 v3, 1, v1
	v_cmp_le_u32_e32 vcc_lo, s16, v2
	v_cndmask_b32_e32 v1, v1, v3, vcc_lo
	v_xor_b32_e32 v1, s23, v1
	v_subrev_nc_u32_e32 v1, s23, v1
	v_add_nc_u32_e32 v2, s25, v1
	v_cmp_lt_i32_e64 s0, s2, v1
	v_sub_nc_u32_e32 v3, 0, v2
	v_max_i32_e32 v3, v2, v3
	v_ashrrev_i32_e32 v2, 31, v2
	v_mul_hi_u32 v4, v3, v51
	v_mul_lo_u32 v4, v4, s3
	v_sub_nc_u32_e32 v3, v3, v4
	v_subrev_nc_u32_e32 v4, s3, v3
	v_cmp_le_u32_e32 vcc_lo, s3, v3
	v_cndmask_b32_e32 v3, v3, v4, vcc_lo
	v_subrev_nc_u32_e32 v4, s3, v3
	v_cmp_le_u32_e32 vcc_lo, s3, v3
	v_cndmask_b32_e32 v3, v3, v4, vcc_lo
	v_xor_b32_e32 v3, v3, v2
	v_sub_nc_u32_e32 v2, v3, v2
	v_cmp_eq_u32_e32 vcc_lo, 0, v2
	s_or_b32 s0, vcc_lo, s0
	s_and_saveexec_b32 s13, s0
	s_cbranch_execz .LBB203_546
; %bb.548:                              ;   in Loop: Header=BB203_547 Depth=1
	global_load_dword v1, v[11:12], off
	s_load_dword s17, s[14:15], 0x0
	v_mov_b32_e32 v19, 0
	v_mov_b32_e32 v17, 0
	;; [unrolled: 1-line block ×4, first 2 shown]
	s_waitcnt vmcnt(0)
	v_mad_i64_i32 v[15:16], null, v1, s12, v[13:14]
	ds_read_b128 v[1:4], v50
	global_load_dword v53, v[15:16], off
	s_waitcnt vmcnt(0)
	v_cmp_ne_u16_sdwa s18, v53, v6 src0_sel:BYTE_0 src1_sel:DWORD
	s_and_saveexec_b32 s0, s18
	s_cbranch_execz .LBB203_556
; %bb.549:                              ;   in Loop: Header=BB203_547 Depth=1
	v_bfrev_b32_e32 v17, 1
	v_mov_b32_e32 v18, 0
	v_cmp_ne_u16_sdwa s21, v53, v44 src0_sel:BYTE_0 src1_sel:DWORD
	s_and_saveexec_b32 s18, s21
	s_cbranch_execz .LBB203_555
; %bb.550:                              ;   in Loop: Header=BB203_547 Depth=1
	v_mov_b32_e32 v17, 0x7f800001
	v_and_b32_e32 v9, 0x7f, v53
	v_mov_b32_e32 v18, 0
	s_mov_b32 s21, exec_lo
	v_cmpx_ne_u32_e32 0x7f, v9
	s_cbranch_execz .LBB203_554
; %bb.551:                              ;   in Loop: Header=BB203_547 Depth=1
	v_and_b32_e32 v5, 7, v53
	v_lshrrev_b32_e32 v7, 3, v9
	s_mov_b32 s22, exec_lo
	v_cmpx_gt_u32_e32 8, v9
; %bb.552:                              ;   in Loop: Header=BB203_547 Depth=1
	v_ffbh_u32_e32 v7, v5
	v_min_u32_e32 v7, 32, v7
	v_subrev_nc_u32_e32 v9, 28, v7
	v_sub_nc_u32_e32 v7, 29, v7
	v_lshlrev_b64 v[17:18], v9, v[5:6]
	v_and_b32_e32 v5, 7, v17
; %bb.553:                              ;   in Loop: Header=BB203_547 Depth=1
	s_or_b32 exec_lo, exec_lo, s22
	v_lshlrev_b32_e32 v9, 24, v53
	v_lshlrev_b32_e32 v5, 20, v5
	v_lshl_add_u32 v7, v7, 23, 0x3c000000
	v_and_b32_e32 v9, 0x80000000, v9
	v_or3_b32 v5, v5, v9, v7
	v_mov_b32_e32 v18, v6
	v_mov_b32_e32 v17, v5
.LBB203_554:                            ;   in Loop: Header=BB203_547 Depth=1
	s_or_b32 exec_lo, exec_lo, s21
.LBB203_555:                            ;   in Loop: Header=BB203_547 Depth=1
	s_or_b32 exec_lo, exec_lo, s18
.LBB203_556:                            ;   in Loop: Header=BB203_547 Depth=1
	s_or_b32 exec_lo, exec_lo, s0
	v_cmp_ne_u16_sdwa s18, v53, v6 src0_sel:BYTE_1 src1_sel:DWORD
	s_and_saveexec_b32 s0, s18
	s_cbranch_execz .LBB203_564
; %bb.557:                              ;   in Loop: Header=BB203_547 Depth=1
	v_mov_b32_e32 v7, v6
	v_mov_b32_e32 v20, v8
	v_cmp_ne_u16_sdwa s21, v53, v44 src0_sel:BYTE_1 src1_sel:DWORD
	v_mov_b32_e32 v19, v7
	s_and_saveexec_b32 s18, s21
	s_cbranch_execz .LBB203_563
; %bb.558:                              ;   in Loop: Header=BB203_547 Depth=1
	v_and_b32_sdwa v5, v45, v53 dst_sel:DWORD dst_unused:UNUSED_PAD src0_sel:DWORD src1_sel:BYTE_1
	v_mov_b32_e32 v9, v6
	v_mov_b32_e32 v20, v10
	s_mov_b32 s21, exec_lo
	v_and_b32_e32 v21, 0x7f, v5
	v_mov_b32_e32 v19, v9
	v_cmpx_ne_u32_e32 0x7f, v21
	s_cbranch_execz .LBB203_562
; %bb.559:                              ;   in Loop: Header=BB203_547 Depth=1
	v_and_b32_e32 v5, 7, v5
	v_lshrrev_b32_e32 v7, 3, v21
	s_mov_b32 s22, exec_lo
	v_cmpx_gt_u32_e32 8, v21
; %bb.560:                              ;   in Loop: Header=BB203_547 Depth=1
	v_ffbh_u32_e32 v7, v5
	v_min_u32_e32 v7, 32, v7
	v_subrev_nc_u32_e32 v9, 28, v7
	v_sub_nc_u32_e32 v7, 29, v7
	v_lshlrev_b64 v[19:20], v9, v[5:6]
	v_and_b32_e32 v5, 7, v19
; %bb.561:                              ;   in Loop: Header=BB203_547 Depth=1
	s_or_b32 exec_lo, exec_lo, s22
	v_lshlrev_b32_e32 v9, 16, v53
	v_lshlrev_b32_e32 v5, 20, v5
	v_lshl_add_u32 v7, v7, 23, 0x3c000000
	v_mov_b32_e32 v19, v6
	v_and_b32_e32 v9, 0x80000000, v9
	v_or3_b32 v20, v5, v9, v7
.LBB203_562:                            ;   in Loop: Header=BB203_547 Depth=1
	s_or_b32 exec_lo, exec_lo, s21
.LBB203_563:                            ;   in Loop: Header=BB203_547 Depth=1
	s_or_b32 exec_lo, exec_lo, s18
.LBB203_564:                            ;   in Loop: Header=BB203_547 Depth=1
	s_or_b32 exec_lo, exec_lo, s0
	v_mov_b32_e32 v23, 0
	v_mov_b32_e32 v21, 0
	v_and_b32_sdwa v5, v53, v46 dst_sel:DWORD dst_unused:UNUSED_PAD src0_sel:WORD_1 src1_sel:DWORD
	v_mov_b32_e32 v24, 0
	v_mov_b32_e32 v22, 0
	s_mov_b32 s0, exec_lo
	v_cmpx_ne_u16_e32 0, v5
	s_cbranch_execz .LBB203_572
; %bb.565:                              ;   in Loop: Header=BB203_547 Depth=1
	v_bfrev_b32_e32 v21, 1
	v_mov_b32_e32 v22, 0
	s_mov_b32 s18, exec_lo
	v_cmpx_ne_u16_e32 0x80, v5
	s_cbranch_execz .LBB203_571
; %bb.566:                              ;   in Loop: Header=BB203_547 Depth=1
	v_mov_b32_e32 v21, 0x7f800001
	v_bfe_u32 v9, v53, 16, 7
	v_mov_b32_e32 v22, 0
	s_mov_b32 s21, exec_lo
	v_cmpx_ne_u32_e32 0x7f, v9
	s_cbranch_execz .LBB203_570
; %bb.567:                              ;   in Loop: Header=BB203_547 Depth=1
	v_and_b32_sdwa v5, v53, v47 dst_sel:DWORD dst_unused:UNUSED_PAD src0_sel:WORD_1 src1_sel:DWORD
	v_lshrrev_b32_e32 v7, 3, v9
	s_mov_b32 s22, exec_lo
	v_cmpx_gt_u32_e32 8, v9
; %bb.568:                              ;   in Loop: Header=BB203_547 Depth=1
	v_ffbh_u32_e32 v7, v5
	v_min_u32_e32 v7, 32, v7
	v_subrev_nc_u32_e32 v9, 28, v7
	v_sub_nc_u32_e32 v7, 29, v7
	v_lshlrev_b64 v[21:22], v9, v[5:6]
	v_and_b32_e32 v5, 7, v21
; %bb.569:                              ;   in Loop: Header=BB203_547 Depth=1
	s_or_b32 exec_lo, exec_lo, s22
	v_lshlrev_b32_sdwa v9, v48, v53 dst_sel:DWORD dst_unused:UNUSED_PAD src0_sel:DWORD src1_sel:WORD_1
	v_lshlrev_b32_e32 v5, 20, v5
	v_lshl_add_u32 v7, v7, 23, 0x3c000000
	v_and_b32_e32 v9, 0x80000000, v9
	v_or3_b32 v5, v5, v9, v7
	v_mov_b32_e32 v22, v6
	v_mov_b32_e32 v21, v5
.LBB203_570:                            ;   in Loop: Header=BB203_547 Depth=1
	s_or_b32 exec_lo, exec_lo, s21
.LBB203_571:                            ;   in Loop: Header=BB203_547 Depth=1
	s_or_b32 exec_lo, exec_lo, s18
.LBB203_572:                            ;   in Loop: Header=BB203_547 Depth=1
	s_or_b32 exec_lo, exec_lo, s0
	s_mov_b32 s0, exec_lo
	v_cmpx_lt_u32_e32 0xffffff, v53
	s_cbranch_execz .LBB203_580
; %bb.573:                              ;   in Loop: Header=BB203_547 Depth=1
	v_mov_b32_e32 v7, v6
	v_mov_b32_e32 v24, v8
	v_cmp_ne_u32_sdwa s21, v53, v44 src0_sel:BYTE_3 src1_sel:DWORD
	v_mov_b32_e32 v23, v7
	s_and_saveexec_b32 s18, s21
	s_cbranch_execz .LBB203_579
; %bb.574:                              ;   in Loop: Header=BB203_547 Depth=1
	v_mov_b32_e32 v9, v6
	v_mov_b32_e32 v24, v10
	v_bfe_u32 v54, v53, 24, 7
	s_mov_b32 s21, exec_lo
	v_mov_b32_e32 v23, v9
	v_cmpx_ne_u32_e32 0x7f, v54
	s_cbranch_execz .LBB203_578
; %bb.575:                              ;   in Loop: Header=BB203_547 Depth=1
	v_and_b32_sdwa v5, v53, v47 dst_sel:DWORD dst_unused:UNUSED_PAD src0_sel:BYTE_3 src1_sel:DWORD
	v_lshrrev_b32_e32 v7, 3, v54
	s_mov_b32 s22, exec_lo
	v_cmpx_gt_u32_e32 8, v54
; %bb.576:                              ;   in Loop: Header=BB203_547 Depth=1
	v_ffbh_u32_e32 v7, v5
	v_min_u32_e32 v7, 32, v7
	v_subrev_nc_u32_e32 v9, 28, v7
	v_sub_nc_u32_e32 v7, 29, v7
	v_lshlrev_b64 v[23:24], v9, v[5:6]
	v_and_b32_e32 v5, 7, v23
; %bb.577:                              ;   in Loop: Header=BB203_547 Depth=1
	s_or_b32 exec_lo, exec_lo, s22
	v_lshlrev_b32_sdwa v9, v48, v53 dst_sel:DWORD dst_unused:UNUSED_PAD src0_sel:DWORD src1_sel:BYTE_3
	v_lshlrev_b32_e32 v5, 20, v5
	v_lshl_add_u32 v7, v7, 23, 0x3c000000
	v_mov_b32_e32 v23, v6
	v_and_b32_e32 v9, 0x80000000, v9
	v_or3_b32 v24, v5, v9, v7
.LBB203_578:                            ;   in Loop: Header=BB203_547 Depth=1
	s_or_b32 exec_lo, exec_lo, s21
.LBB203_579:                            ;   in Loop: Header=BB203_547 Depth=1
	s_or_b32 exec_lo, exec_lo, s18
.LBB203_580:                            ;   in Loop: Header=BB203_547 Depth=1
	s_or_b32 exec_lo, exec_lo, s0
	v_add_nc_u32_e32 v57, v49, v127
	v_or_b32_e32 v5, v20, v18
	v_or_b32_e32 v7, v19, v17
	;; [unrolled: 1-line block ×4, first 2 shown]
	v_cmp_eq_u32_e32 vcc_lo, s4, v52
	s_waitcnt lgkmcnt(0)
	v_mul_f32_e32 v55, s17, v5
	v_mul_f32_e32 v56, s17, v7
	;; [unrolled: 1-line block ×4, first 2 shown]
	v_add_nc_u32_e32 v60, 1, v57
	v_add_nc_u32_e32 v59, 2, v57
	;; [unrolled: 1-line block ×3, first 2 shown]
	s_and_saveexec_b32 s18, vcc_lo
	s_cbranch_execz .LBB203_582
; %bb.581:                              ;   in Loop: Header=BB203_547 Depth=1
	v_cmp_gt_i32_e64 s0, s33, v57
	v_cndmask_b32_e64 v56, 0, v56, s0
	v_cmp_gt_i32_e64 s0, s33, v60
	v_cndmask_b32_e64 v55, 0, v55, s0
	v_cmp_gt_i32_e64 s0, s33, v59
	v_cndmask_b32_e64 v54, 0, v54, s0
	v_cmp_gt_i32_e64 s0, s33, v58
	v_cndmask_b32_e64 v53, 0, v53, s0
.LBB203_582:                            ;   in Loop: Header=BB203_547 Depth=1
	s_or_b32 exec_lo, exec_lo, s18
	global_load_dword v61, v[15:16], off offset:128
	v_mov_b32_e32 v19, 0
	v_mov_b32_e32 v17, 0
	;; [unrolled: 1-line block ×4, first 2 shown]
	s_waitcnt vmcnt(0)
	v_cmp_ne_u16_sdwa s0, v61, v6 src0_sel:BYTE_0 src1_sel:DWORD
	s_and_saveexec_b32 s18, s0
	s_cbranch_execz .LBB203_590
; %bb.583:                              ;   in Loop: Header=BB203_547 Depth=1
	v_bfrev_b32_e32 v17, 1
	v_mov_b32_e32 v18, 0
	v_cmp_ne_u16_sdwa s0, v61, v44 src0_sel:BYTE_0 src1_sel:DWORD
	s_and_saveexec_b32 s21, s0
	s_cbranch_execz .LBB203_589
; %bb.584:                              ;   in Loop: Header=BB203_547 Depth=1
	v_mov_b32_e32 v17, 0x7f800001
	v_and_b32_e32 v9, 0x7f, v61
	v_mov_b32_e32 v18, 0
	s_mov_b32 s22, exec_lo
	v_cmpx_ne_u32_e32 0x7f, v9
	s_cbranch_execz .LBB203_588
; %bb.585:                              ;   in Loop: Header=BB203_547 Depth=1
	v_and_b32_e32 v5, 7, v61
	v_lshrrev_b32_e32 v7, 3, v9
	s_mov_b32 s26, exec_lo
	v_cmpx_gt_u32_e32 8, v9
; %bb.586:                              ;   in Loop: Header=BB203_547 Depth=1
	v_ffbh_u32_e32 v7, v5
	v_min_u32_e32 v7, 32, v7
	v_subrev_nc_u32_e32 v9, 28, v7
	v_sub_nc_u32_e32 v7, 29, v7
	v_lshlrev_b64 v[17:18], v9, v[5:6]
	v_and_b32_e32 v5, 7, v17
; %bb.587:                              ;   in Loop: Header=BB203_547 Depth=1
	s_or_b32 exec_lo, exec_lo, s26
	v_lshlrev_b32_e32 v9, 24, v61
	v_lshlrev_b32_e32 v5, 20, v5
	v_lshl_add_u32 v7, v7, 23, 0x3c000000
	v_and_b32_e32 v9, 0x80000000, v9
	v_or3_b32 v5, v5, v9, v7
	v_mov_b32_e32 v18, v6
	v_mov_b32_e32 v17, v5
.LBB203_588:                            ;   in Loop: Header=BB203_547 Depth=1
	s_or_b32 exec_lo, exec_lo, s22
.LBB203_589:                            ;   in Loop: Header=BB203_547 Depth=1
	s_or_b32 exec_lo, exec_lo, s21
.LBB203_590:                            ;   in Loop: Header=BB203_547 Depth=1
	s_or_b32 exec_lo, exec_lo, s18
	v_cmp_ne_u16_sdwa s0, v61, v6 src0_sel:BYTE_1 src1_sel:DWORD
	s_and_saveexec_b32 s18, s0
	s_cbranch_execz .LBB203_598
; %bb.591:                              ;   in Loop: Header=BB203_547 Depth=1
	v_mov_b32_e32 v7, v6
	v_mov_b32_e32 v20, v8
	v_cmp_ne_u16_sdwa s0, v61, v44 src0_sel:BYTE_1 src1_sel:DWORD
	v_mov_b32_e32 v19, v7
	s_and_saveexec_b32 s21, s0
	s_cbranch_execz .LBB203_597
; %bb.592:                              ;   in Loop: Header=BB203_547 Depth=1
	v_and_b32_sdwa v5, v45, v61 dst_sel:DWORD dst_unused:UNUSED_PAD src0_sel:DWORD src1_sel:BYTE_1
	v_mov_b32_e32 v9, v6
	v_mov_b32_e32 v20, v10
	s_mov_b32 s22, exec_lo
	v_and_b32_e32 v21, 0x7f, v5
	v_mov_b32_e32 v19, v9
	v_cmpx_ne_u32_e32 0x7f, v21
	s_cbranch_execz .LBB203_596
; %bb.593:                              ;   in Loop: Header=BB203_547 Depth=1
	v_and_b32_e32 v5, 7, v5
	v_lshrrev_b32_e32 v7, 3, v21
	s_mov_b32 s26, exec_lo
	v_cmpx_gt_u32_e32 8, v21
; %bb.594:                              ;   in Loop: Header=BB203_547 Depth=1
	v_ffbh_u32_e32 v7, v5
	v_min_u32_e32 v7, 32, v7
	v_subrev_nc_u32_e32 v9, 28, v7
	v_sub_nc_u32_e32 v7, 29, v7
	v_lshlrev_b64 v[19:20], v9, v[5:6]
	v_and_b32_e32 v5, 7, v19
; %bb.595:                              ;   in Loop: Header=BB203_547 Depth=1
	s_or_b32 exec_lo, exec_lo, s26
	v_lshlrev_b32_e32 v9, 16, v61
	v_lshlrev_b32_e32 v5, 20, v5
	v_lshl_add_u32 v7, v7, 23, 0x3c000000
	v_mov_b32_e32 v19, v6
	v_and_b32_e32 v9, 0x80000000, v9
	v_or3_b32 v20, v5, v9, v7
.LBB203_596:                            ;   in Loop: Header=BB203_547 Depth=1
	s_or_b32 exec_lo, exec_lo, s22
.LBB203_597:                            ;   in Loop: Header=BB203_547 Depth=1
	s_or_b32 exec_lo, exec_lo, s21
.LBB203_598:                            ;   in Loop: Header=BB203_547 Depth=1
	s_or_b32 exec_lo, exec_lo, s18
	v_mov_b32_e32 v23, 0
	v_mov_b32_e32 v21, 0
	v_and_b32_sdwa v5, v61, v46 dst_sel:DWORD dst_unused:UNUSED_PAD src0_sel:WORD_1 src1_sel:DWORD
	v_mov_b32_e32 v24, 0
	v_mov_b32_e32 v22, 0
	s_mov_b32 s18, exec_lo
	v_cmpx_ne_u16_e32 0, v5
	s_cbranch_execz .LBB203_606
; %bb.599:                              ;   in Loop: Header=BB203_547 Depth=1
	v_bfrev_b32_e32 v21, 1
	v_mov_b32_e32 v22, 0
	s_mov_b32 s21, exec_lo
	v_cmpx_ne_u16_e32 0x80, v5
	s_cbranch_execz .LBB203_605
; %bb.600:                              ;   in Loop: Header=BB203_547 Depth=1
	v_mov_b32_e32 v21, 0x7f800001
	v_bfe_u32 v9, v61, 16, 7
	v_mov_b32_e32 v22, 0
	s_mov_b32 s22, exec_lo
	v_cmpx_ne_u32_e32 0x7f, v9
	s_cbranch_execz .LBB203_604
; %bb.601:                              ;   in Loop: Header=BB203_547 Depth=1
	v_and_b32_sdwa v5, v61, v47 dst_sel:DWORD dst_unused:UNUSED_PAD src0_sel:WORD_1 src1_sel:DWORD
	v_lshrrev_b32_e32 v7, 3, v9
	s_mov_b32 s26, exec_lo
	v_cmpx_gt_u32_e32 8, v9
; %bb.602:                              ;   in Loop: Header=BB203_547 Depth=1
	v_ffbh_u32_e32 v7, v5
	v_min_u32_e32 v7, 32, v7
	v_subrev_nc_u32_e32 v9, 28, v7
	v_sub_nc_u32_e32 v7, 29, v7
	v_lshlrev_b64 v[21:22], v9, v[5:6]
	v_and_b32_e32 v5, 7, v21
; %bb.603:                              ;   in Loop: Header=BB203_547 Depth=1
	s_or_b32 exec_lo, exec_lo, s26
	v_lshlrev_b32_sdwa v9, v48, v61 dst_sel:DWORD dst_unused:UNUSED_PAD src0_sel:DWORD src1_sel:WORD_1
	v_lshlrev_b32_e32 v5, 20, v5
	v_lshl_add_u32 v7, v7, 23, 0x3c000000
	v_and_b32_e32 v9, 0x80000000, v9
	v_or3_b32 v5, v5, v9, v7
	v_mov_b32_e32 v22, v6
	v_mov_b32_e32 v21, v5
.LBB203_604:                            ;   in Loop: Header=BB203_547 Depth=1
	s_or_b32 exec_lo, exec_lo, s22
.LBB203_605:                            ;   in Loop: Header=BB203_547 Depth=1
	s_or_b32 exec_lo, exec_lo, s21
.LBB203_606:                            ;   in Loop: Header=BB203_547 Depth=1
	s_or_b32 exec_lo, exec_lo, s18
	s_mov_b32 s18, exec_lo
	v_cmpx_lt_u32_e32 0xffffff, v61
	s_cbranch_execz .LBB203_614
; %bb.607:                              ;   in Loop: Header=BB203_547 Depth=1
	v_mov_b32_e32 v7, v6
	v_mov_b32_e32 v24, v8
	v_cmp_ne_u32_sdwa s0, v61, v44 src0_sel:BYTE_3 src1_sel:DWORD
	v_mov_b32_e32 v23, v7
	s_and_saveexec_b32 s21, s0
	s_cbranch_execz .LBB203_613
; %bb.608:                              ;   in Loop: Header=BB203_547 Depth=1
	v_mov_b32_e32 v9, v6
	v_mov_b32_e32 v24, v10
	v_bfe_u32 v62, v61, 24, 7
	s_mov_b32 s22, exec_lo
	v_mov_b32_e32 v23, v9
	v_cmpx_ne_u32_e32 0x7f, v62
	s_cbranch_execz .LBB203_612
; %bb.609:                              ;   in Loop: Header=BB203_547 Depth=1
	v_and_b32_sdwa v5, v61, v47 dst_sel:DWORD dst_unused:UNUSED_PAD src0_sel:BYTE_3 src1_sel:DWORD
	v_lshrrev_b32_e32 v7, 3, v62
	s_mov_b32 s26, exec_lo
	v_cmpx_gt_u32_e32 8, v62
; %bb.610:                              ;   in Loop: Header=BB203_547 Depth=1
	v_ffbh_u32_e32 v7, v5
	v_min_u32_e32 v7, 32, v7
	v_subrev_nc_u32_e32 v9, 28, v7
	v_sub_nc_u32_e32 v7, 29, v7
	v_lshlrev_b64 v[23:24], v9, v[5:6]
	v_and_b32_e32 v5, 7, v23
; %bb.611:                              ;   in Loop: Header=BB203_547 Depth=1
	s_or_b32 exec_lo, exec_lo, s26
	v_lshlrev_b32_sdwa v9, v48, v61 dst_sel:DWORD dst_unused:UNUSED_PAD src0_sel:DWORD src1_sel:BYTE_3
	v_lshlrev_b32_e32 v5, 20, v5
	v_lshl_add_u32 v7, v7, 23, 0x3c000000
	v_mov_b32_e32 v23, v6
	v_and_b32_e32 v9, 0x80000000, v9
	v_or3_b32 v24, v5, v9, v7
.LBB203_612:                            ;   in Loop: Header=BB203_547 Depth=1
	s_or_b32 exec_lo, exec_lo, s22
.LBB203_613:                            ;   in Loop: Header=BB203_547 Depth=1
	s_or_b32 exec_lo, exec_lo, s21
.LBB203_614:                            ;   in Loop: Header=BB203_547 Depth=1
	s_or_b32 exec_lo, exec_lo, s18
	v_or_b32_e32 v5, v20, v18
	v_or_b32_e32 v7, v19, v17
	;; [unrolled: 1-line block ×4, first 2 shown]
	s_mov_b32 s18, s17
	v_mul_f32_e32 v63, s18, v5
	v_mul_f32_e32 v64, s17, v7
	;; [unrolled: 1-line block ×4, first 2 shown]
	s_and_saveexec_b32 s21, vcc_lo
	s_cbranch_execz .LBB203_616
; %bb.615:                              ;   in Loop: Header=BB203_547 Depth=1
	v_cmp_gt_i32_e64 s0, s33, v57
	v_cndmask_b32_e64 v64, 0, v64, s0
	v_cmp_gt_i32_e64 s0, s33, v60
	v_cndmask_b32_e64 v63, 0, v63, s0
	;; [unrolled: 2-line block ×4, first 2 shown]
.LBB203_616:                            ;   in Loop: Header=BB203_547 Depth=1
	s_or_b32 exec_lo, exec_lo, s21
	global_load_dword v65, v[15:16], off offset:256
	v_mov_b32_e32 v19, 0
	v_mov_b32_e32 v17, 0
	;; [unrolled: 1-line block ×4, first 2 shown]
	s_waitcnt vmcnt(0)
	v_cmp_ne_u16_sdwa s0, v65, v6 src0_sel:BYTE_0 src1_sel:DWORD
	s_and_saveexec_b32 s21, s0
	s_cbranch_execz .LBB203_624
; %bb.617:                              ;   in Loop: Header=BB203_547 Depth=1
	v_bfrev_b32_e32 v17, 1
	v_mov_b32_e32 v18, 0
	v_cmp_ne_u16_sdwa s0, v65, v44 src0_sel:BYTE_0 src1_sel:DWORD
	s_and_saveexec_b32 s22, s0
	s_cbranch_execz .LBB203_623
; %bb.618:                              ;   in Loop: Header=BB203_547 Depth=1
	v_mov_b32_e32 v17, 0x7f800001
	v_and_b32_e32 v9, 0x7f, v65
	v_mov_b32_e32 v18, 0
	s_mov_b32 s26, exec_lo
	v_cmpx_ne_u32_e32 0x7f, v9
	s_cbranch_execz .LBB203_622
; %bb.619:                              ;   in Loop: Header=BB203_547 Depth=1
	v_and_b32_e32 v5, 7, v65
	v_lshrrev_b32_e32 v7, 3, v9
	s_mov_b32 s27, exec_lo
	v_cmpx_gt_u32_e32 8, v9
; %bb.620:                              ;   in Loop: Header=BB203_547 Depth=1
	v_ffbh_u32_e32 v7, v5
	v_min_u32_e32 v7, 32, v7
	v_subrev_nc_u32_e32 v9, 28, v7
	v_sub_nc_u32_e32 v7, 29, v7
	v_lshlrev_b64 v[17:18], v9, v[5:6]
	v_and_b32_e32 v5, 7, v17
; %bb.621:                              ;   in Loop: Header=BB203_547 Depth=1
	s_or_b32 exec_lo, exec_lo, s27
	v_lshlrev_b32_e32 v9, 24, v65
	v_lshlrev_b32_e32 v5, 20, v5
	v_lshl_add_u32 v7, v7, 23, 0x3c000000
	v_and_b32_e32 v9, 0x80000000, v9
	v_or3_b32 v5, v5, v9, v7
	v_mov_b32_e32 v18, v6
	v_mov_b32_e32 v17, v5
.LBB203_622:                            ;   in Loop: Header=BB203_547 Depth=1
	s_or_b32 exec_lo, exec_lo, s26
.LBB203_623:                            ;   in Loop: Header=BB203_547 Depth=1
	s_or_b32 exec_lo, exec_lo, s22
.LBB203_624:                            ;   in Loop: Header=BB203_547 Depth=1
	s_or_b32 exec_lo, exec_lo, s21
	v_cmp_ne_u16_sdwa s0, v65, v6 src0_sel:BYTE_1 src1_sel:DWORD
	s_and_saveexec_b32 s21, s0
	s_cbranch_execz .LBB203_632
; %bb.625:                              ;   in Loop: Header=BB203_547 Depth=1
	v_mov_b32_e32 v7, v6
	v_mov_b32_e32 v20, v8
	v_cmp_ne_u16_sdwa s0, v65, v44 src0_sel:BYTE_1 src1_sel:DWORD
	v_mov_b32_e32 v19, v7
	s_and_saveexec_b32 s22, s0
	s_cbranch_execz .LBB203_631
; %bb.626:                              ;   in Loop: Header=BB203_547 Depth=1
	v_and_b32_sdwa v5, v45, v65 dst_sel:DWORD dst_unused:UNUSED_PAD src0_sel:DWORD src1_sel:BYTE_1
	v_mov_b32_e32 v9, v6
	v_mov_b32_e32 v20, v10
	s_mov_b32 s26, exec_lo
	v_and_b32_e32 v21, 0x7f, v5
	v_mov_b32_e32 v19, v9
	v_cmpx_ne_u32_e32 0x7f, v21
	s_cbranch_execz .LBB203_630
; %bb.627:                              ;   in Loop: Header=BB203_547 Depth=1
	v_and_b32_e32 v5, 7, v5
	v_lshrrev_b32_e32 v7, 3, v21
	s_mov_b32 s27, exec_lo
	v_cmpx_gt_u32_e32 8, v21
; %bb.628:                              ;   in Loop: Header=BB203_547 Depth=1
	v_ffbh_u32_e32 v7, v5
	v_min_u32_e32 v7, 32, v7
	v_subrev_nc_u32_e32 v9, 28, v7
	v_sub_nc_u32_e32 v7, 29, v7
	v_lshlrev_b64 v[19:20], v9, v[5:6]
	v_and_b32_e32 v5, 7, v19
; %bb.629:                              ;   in Loop: Header=BB203_547 Depth=1
	s_or_b32 exec_lo, exec_lo, s27
	v_lshlrev_b32_e32 v9, 16, v65
	v_lshlrev_b32_e32 v5, 20, v5
	v_lshl_add_u32 v7, v7, 23, 0x3c000000
	v_mov_b32_e32 v19, v6
	v_and_b32_e32 v9, 0x80000000, v9
	v_or3_b32 v20, v5, v9, v7
.LBB203_630:                            ;   in Loop: Header=BB203_547 Depth=1
	s_or_b32 exec_lo, exec_lo, s26
.LBB203_631:                            ;   in Loop: Header=BB203_547 Depth=1
	s_or_b32 exec_lo, exec_lo, s22
.LBB203_632:                            ;   in Loop: Header=BB203_547 Depth=1
	s_or_b32 exec_lo, exec_lo, s21
	v_mov_b32_e32 v23, 0
	v_mov_b32_e32 v21, 0
	v_and_b32_sdwa v5, v65, v46 dst_sel:DWORD dst_unused:UNUSED_PAD src0_sel:WORD_1 src1_sel:DWORD
	v_mov_b32_e32 v24, 0
	v_mov_b32_e32 v22, 0
	s_mov_b32 s21, exec_lo
	v_cmpx_ne_u16_e32 0, v5
	s_cbranch_execz .LBB203_640
; %bb.633:                              ;   in Loop: Header=BB203_547 Depth=1
	v_bfrev_b32_e32 v21, 1
	v_mov_b32_e32 v22, 0
	s_mov_b32 s22, exec_lo
	v_cmpx_ne_u16_e32 0x80, v5
	s_cbranch_execz .LBB203_639
; %bb.634:                              ;   in Loop: Header=BB203_547 Depth=1
	v_mov_b32_e32 v21, 0x7f800001
	v_bfe_u32 v9, v65, 16, 7
	v_mov_b32_e32 v22, 0
	s_mov_b32 s26, exec_lo
	v_cmpx_ne_u32_e32 0x7f, v9
	s_cbranch_execz .LBB203_638
; %bb.635:                              ;   in Loop: Header=BB203_547 Depth=1
	v_and_b32_sdwa v5, v65, v47 dst_sel:DWORD dst_unused:UNUSED_PAD src0_sel:WORD_1 src1_sel:DWORD
	v_lshrrev_b32_e32 v7, 3, v9
	s_mov_b32 s27, exec_lo
	v_cmpx_gt_u32_e32 8, v9
; %bb.636:                              ;   in Loop: Header=BB203_547 Depth=1
	v_ffbh_u32_e32 v7, v5
	v_min_u32_e32 v7, 32, v7
	v_subrev_nc_u32_e32 v9, 28, v7
	v_sub_nc_u32_e32 v7, 29, v7
	v_lshlrev_b64 v[21:22], v9, v[5:6]
	v_and_b32_e32 v5, 7, v21
; %bb.637:                              ;   in Loop: Header=BB203_547 Depth=1
	s_or_b32 exec_lo, exec_lo, s27
	v_lshlrev_b32_sdwa v9, v48, v65 dst_sel:DWORD dst_unused:UNUSED_PAD src0_sel:DWORD src1_sel:WORD_1
	v_lshlrev_b32_e32 v5, 20, v5
	v_lshl_add_u32 v7, v7, 23, 0x3c000000
	v_and_b32_e32 v9, 0x80000000, v9
	v_or3_b32 v5, v5, v9, v7
	v_mov_b32_e32 v22, v6
	v_mov_b32_e32 v21, v5
.LBB203_638:                            ;   in Loop: Header=BB203_547 Depth=1
	s_or_b32 exec_lo, exec_lo, s26
.LBB203_639:                            ;   in Loop: Header=BB203_547 Depth=1
	s_or_b32 exec_lo, exec_lo, s22
.LBB203_640:                            ;   in Loop: Header=BB203_547 Depth=1
	s_or_b32 exec_lo, exec_lo, s21
	s_mov_b32 s21, exec_lo
	v_cmpx_lt_u32_e32 0xffffff, v65
	s_cbranch_execz .LBB203_648
; %bb.641:                              ;   in Loop: Header=BB203_547 Depth=1
	v_mov_b32_e32 v7, v6
	v_mov_b32_e32 v24, v8
	v_cmp_ne_u32_sdwa s0, v65, v44 src0_sel:BYTE_3 src1_sel:DWORD
	v_mov_b32_e32 v23, v7
	s_and_saveexec_b32 s22, s0
	s_cbranch_execz .LBB203_647
; %bb.642:                              ;   in Loop: Header=BB203_547 Depth=1
	v_mov_b32_e32 v9, v6
	v_mov_b32_e32 v24, v10
	v_bfe_u32 v66, v65, 24, 7
	s_mov_b32 s26, exec_lo
	v_mov_b32_e32 v23, v9
	v_cmpx_ne_u32_e32 0x7f, v66
	s_cbranch_execz .LBB203_646
; %bb.643:                              ;   in Loop: Header=BB203_547 Depth=1
	v_and_b32_sdwa v5, v65, v47 dst_sel:DWORD dst_unused:UNUSED_PAD src0_sel:BYTE_3 src1_sel:DWORD
	v_lshrrev_b32_e32 v7, 3, v66
	s_mov_b32 s27, exec_lo
	v_cmpx_gt_u32_e32 8, v66
; %bb.644:                              ;   in Loop: Header=BB203_547 Depth=1
	v_ffbh_u32_e32 v7, v5
	v_min_u32_e32 v7, 32, v7
	v_subrev_nc_u32_e32 v9, 28, v7
	v_sub_nc_u32_e32 v7, 29, v7
	v_lshlrev_b64 v[23:24], v9, v[5:6]
	v_and_b32_e32 v5, 7, v23
; %bb.645:                              ;   in Loop: Header=BB203_547 Depth=1
	s_or_b32 exec_lo, exec_lo, s27
	v_lshlrev_b32_sdwa v9, v48, v65 dst_sel:DWORD dst_unused:UNUSED_PAD src0_sel:DWORD src1_sel:BYTE_3
	v_lshlrev_b32_e32 v5, 20, v5
	v_lshl_add_u32 v7, v7, 23, 0x3c000000
	v_mov_b32_e32 v23, v6
	v_and_b32_e32 v9, 0x80000000, v9
	v_or3_b32 v24, v5, v9, v7
.LBB203_646:                            ;   in Loop: Header=BB203_547 Depth=1
	s_or_b32 exec_lo, exec_lo, s26
.LBB203_647:                            ;   in Loop: Header=BB203_547 Depth=1
	s_or_b32 exec_lo, exec_lo, s22
.LBB203_648:                            ;   in Loop: Header=BB203_547 Depth=1
	s_or_b32 exec_lo, exec_lo, s21
	v_or_b32_e32 v5, v20, v18
	v_or_b32_e32 v7, v19, v17
	;; [unrolled: 1-line block ×4, first 2 shown]
	v_mul_f32_e32 v67, s18, v5
	v_mul_f32_e32 v68, s17, v7
	;; [unrolled: 1-line block ×4, first 2 shown]
	s_and_saveexec_b32 s21, vcc_lo
	s_cbranch_execz .LBB203_650
; %bb.649:                              ;   in Loop: Header=BB203_547 Depth=1
	v_cmp_gt_i32_e64 s0, s33, v57
	v_cndmask_b32_e64 v68, 0, v68, s0
	v_cmp_gt_i32_e64 s0, s33, v60
	v_cndmask_b32_e64 v67, 0, v67, s0
	;; [unrolled: 2-line block ×4, first 2 shown]
.LBB203_650:                            ;   in Loop: Header=BB203_547 Depth=1
	s_or_b32 exec_lo, exec_lo, s21
	global_load_dword v69, v[15:16], off offset:384
	v_mov_b32_e32 v19, 0
	v_mov_b32_e32 v17, 0
	;; [unrolled: 1-line block ×4, first 2 shown]
	s_waitcnt vmcnt(0)
	v_cmp_ne_u16_sdwa s0, v69, v6 src0_sel:BYTE_0 src1_sel:DWORD
	s_and_saveexec_b32 s21, s0
	s_cbranch_execz .LBB203_658
; %bb.651:                              ;   in Loop: Header=BB203_547 Depth=1
	v_bfrev_b32_e32 v17, 1
	v_mov_b32_e32 v18, 0
	v_cmp_ne_u16_sdwa s0, v69, v44 src0_sel:BYTE_0 src1_sel:DWORD
	s_and_saveexec_b32 s22, s0
	s_cbranch_execz .LBB203_657
; %bb.652:                              ;   in Loop: Header=BB203_547 Depth=1
	v_mov_b32_e32 v17, 0x7f800001
	v_and_b32_e32 v9, 0x7f, v69
	v_mov_b32_e32 v18, 0
	s_mov_b32 s26, exec_lo
	v_cmpx_ne_u32_e32 0x7f, v9
	s_cbranch_execz .LBB203_656
; %bb.653:                              ;   in Loop: Header=BB203_547 Depth=1
	v_and_b32_e32 v5, 7, v69
	v_lshrrev_b32_e32 v7, 3, v9
	s_mov_b32 s27, exec_lo
	v_cmpx_gt_u32_e32 8, v9
; %bb.654:                              ;   in Loop: Header=BB203_547 Depth=1
	v_ffbh_u32_e32 v7, v5
	v_min_u32_e32 v7, 32, v7
	v_subrev_nc_u32_e32 v9, 28, v7
	v_sub_nc_u32_e32 v7, 29, v7
	v_lshlrev_b64 v[17:18], v9, v[5:6]
	v_and_b32_e32 v5, 7, v17
; %bb.655:                              ;   in Loop: Header=BB203_547 Depth=1
	s_or_b32 exec_lo, exec_lo, s27
	v_lshlrev_b32_e32 v9, 24, v69
	v_lshlrev_b32_e32 v5, 20, v5
	v_lshl_add_u32 v7, v7, 23, 0x3c000000
	v_and_b32_e32 v9, 0x80000000, v9
	v_or3_b32 v5, v5, v9, v7
	v_mov_b32_e32 v18, v6
	v_mov_b32_e32 v17, v5
.LBB203_656:                            ;   in Loop: Header=BB203_547 Depth=1
	s_or_b32 exec_lo, exec_lo, s26
.LBB203_657:                            ;   in Loop: Header=BB203_547 Depth=1
	s_or_b32 exec_lo, exec_lo, s22
.LBB203_658:                            ;   in Loop: Header=BB203_547 Depth=1
	s_or_b32 exec_lo, exec_lo, s21
	v_cmp_ne_u16_sdwa s0, v69, v6 src0_sel:BYTE_1 src1_sel:DWORD
	s_and_saveexec_b32 s21, s0
	s_cbranch_execz .LBB203_666
; %bb.659:                              ;   in Loop: Header=BB203_547 Depth=1
	v_mov_b32_e32 v7, v6
	v_mov_b32_e32 v20, v8
	v_cmp_ne_u16_sdwa s0, v69, v44 src0_sel:BYTE_1 src1_sel:DWORD
	v_mov_b32_e32 v19, v7
	s_and_saveexec_b32 s22, s0
	s_cbranch_execz .LBB203_665
; %bb.660:                              ;   in Loop: Header=BB203_547 Depth=1
	v_and_b32_sdwa v5, v45, v69 dst_sel:DWORD dst_unused:UNUSED_PAD src0_sel:DWORD src1_sel:BYTE_1
	v_mov_b32_e32 v9, v6
	v_mov_b32_e32 v20, v10
	s_mov_b32 s26, exec_lo
	v_and_b32_e32 v21, 0x7f, v5
	v_mov_b32_e32 v19, v9
	v_cmpx_ne_u32_e32 0x7f, v21
	s_cbranch_execz .LBB203_664
; %bb.661:                              ;   in Loop: Header=BB203_547 Depth=1
	v_and_b32_e32 v5, 7, v5
	v_lshrrev_b32_e32 v7, 3, v21
	s_mov_b32 s27, exec_lo
	v_cmpx_gt_u32_e32 8, v21
; %bb.662:                              ;   in Loop: Header=BB203_547 Depth=1
	v_ffbh_u32_e32 v7, v5
	v_min_u32_e32 v7, 32, v7
	v_subrev_nc_u32_e32 v9, 28, v7
	v_sub_nc_u32_e32 v7, 29, v7
	v_lshlrev_b64 v[19:20], v9, v[5:6]
	v_and_b32_e32 v5, 7, v19
; %bb.663:                              ;   in Loop: Header=BB203_547 Depth=1
	s_or_b32 exec_lo, exec_lo, s27
	v_lshlrev_b32_e32 v9, 16, v69
	v_lshlrev_b32_e32 v5, 20, v5
	v_lshl_add_u32 v7, v7, 23, 0x3c000000
	v_mov_b32_e32 v19, v6
	v_and_b32_e32 v9, 0x80000000, v9
	v_or3_b32 v20, v5, v9, v7
.LBB203_664:                            ;   in Loop: Header=BB203_547 Depth=1
	s_or_b32 exec_lo, exec_lo, s26
.LBB203_665:                            ;   in Loop: Header=BB203_547 Depth=1
	s_or_b32 exec_lo, exec_lo, s22
.LBB203_666:                            ;   in Loop: Header=BB203_547 Depth=1
	s_or_b32 exec_lo, exec_lo, s21
	v_mov_b32_e32 v23, 0
	v_mov_b32_e32 v21, 0
	v_and_b32_sdwa v5, v69, v46 dst_sel:DWORD dst_unused:UNUSED_PAD src0_sel:WORD_1 src1_sel:DWORD
	v_mov_b32_e32 v24, 0
	v_mov_b32_e32 v22, 0
	s_mov_b32 s21, exec_lo
	v_cmpx_ne_u16_e32 0, v5
	s_cbranch_execz .LBB203_674
; %bb.667:                              ;   in Loop: Header=BB203_547 Depth=1
	v_bfrev_b32_e32 v21, 1
	v_mov_b32_e32 v22, 0
	s_mov_b32 s22, exec_lo
	v_cmpx_ne_u16_e32 0x80, v5
	s_cbranch_execz .LBB203_673
; %bb.668:                              ;   in Loop: Header=BB203_547 Depth=1
	v_mov_b32_e32 v21, 0x7f800001
	v_bfe_u32 v9, v69, 16, 7
	v_mov_b32_e32 v22, 0
	s_mov_b32 s26, exec_lo
	v_cmpx_ne_u32_e32 0x7f, v9
	s_cbranch_execz .LBB203_672
; %bb.669:                              ;   in Loop: Header=BB203_547 Depth=1
	v_and_b32_sdwa v5, v69, v47 dst_sel:DWORD dst_unused:UNUSED_PAD src0_sel:WORD_1 src1_sel:DWORD
	v_lshrrev_b32_e32 v7, 3, v9
	s_mov_b32 s27, exec_lo
	v_cmpx_gt_u32_e32 8, v9
; %bb.670:                              ;   in Loop: Header=BB203_547 Depth=1
	v_ffbh_u32_e32 v7, v5
	v_min_u32_e32 v7, 32, v7
	v_subrev_nc_u32_e32 v9, 28, v7
	v_sub_nc_u32_e32 v7, 29, v7
	v_lshlrev_b64 v[21:22], v9, v[5:6]
	v_and_b32_e32 v5, 7, v21
; %bb.671:                              ;   in Loop: Header=BB203_547 Depth=1
	s_or_b32 exec_lo, exec_lo, s27
	v_lshlrev_b32_sdwa v9, v48, v69 dst_sel:DWORD dst_unused:UNUSED_PAD src0_sel:DWORD src1_sel:WORD_1
	v_lshlrev_b32_e32 v5, 20, v5
	v_lshl_add_u32 v7, v7, 23, 0x3c000000
	v_and_b32_e32 v9, 0x80000000, v9
	v_or3_b32 v5, v5, v9, v7
	v_mov_b32_e32 v22, v6
	v_mov_b32_e32 v21, v5
.LBB203_672:                            ;   in Loop: Header=BB203_547 Depth=1
	s_or_b32 exec_lo, exec_lo, s26
.LBB203_673:                            ;   in Loop: Header=BB203_547 Depth=1
	s_or_b32 exec_lo, exec_lo, s22
.LBB203_674:                            ;   in Loop: Header=BB203_547 Depth=1
	s_or_b32 exec_lo, exec_lo, s21
	s_mov_b32 s21, exec_lo
	v_cmpx_lt_u32_e32 0xffffff, v69
	s_cbranch_execz .LBB203_682
; %bb.675:                              ;   in Loop: Header=BB203_547 Depth=1
	v_mov_b32_e32 v7, v6
	v_mov_b32_e32 v24, v8
	v_cmp_ne_u32_sdwa s0, v69, v44 src0_sel:BYTE_3 src1_sel:DWORD
	v_mov_b32_e32 v23, v7
	s_and_saveexec_b32 s22, s0
	s_cbranch_execz .LBB203_681
; %bb.676:                              ;   in Loop: Header=BB203_547 Depth=1
	v_mov_b32_e32 v9, v6
	v_mov_b32_e32 v24, v10
	v_bfe_u32 v70, v69, 24, 7
	s_mov_b32 s26, exec_lo
	v_mov_b32_e32 v23, v9
	v_cmpx_ne_u32_e32 0x7f, v70
	s_cbranch_execz .LBB203_680
; %bb.677:                              ;   in Loop: Header=BB203_547 Depth=1
	v_and_b32_sdwa v5, v69, v47 dst_sel:DWORD dst_unused:UNUSED_PAD src0_sel:BYTE_3 src1_sel:DWORD
	v_lshrrev_b32_e32 v7, 3, v70
	s_mov_b32 s27, exec_lo
	v_cmpx_gt_u32_e32 8, v70
; %bb.678:                              ;   in Loop: Header=BB203_547 Depth=1
	v_ffbh_u32_e32 v7, v5
	v_min_u32_e32 v7, 32, v7
	v_subrev_nc_u32_e32 v9, 28, v7
	v_sub_nc_u32_e32 v7, 29, v7
	v_lshlrev_b64 v[23:24], v9, v[5:6]
	v_and_b32_e32 v5, 7, v23
; %bb.679:                              ;   in Loop: Header=BB203_547 Depth=1
	s_or_b32 exec_lo, exec_lo, s27
	v_lshlrev_b32_sdwa v9, v48, v69 dst_sel:DWORD dst_unused:UNUSED_PAD src0_sel:DWORD src1_sel:BYTE_3
	v_lshlrev_b32_e32 v5, 20, v5
	v_lshl_add_u32 v7, v7, 23, 0x3c000000
	v_mov_b32_e32 v23, v6
	v_and_b32_e32 v9, 0x80000000, v9
	v_or3_b32 v24, v5, v9, v7
.LBB203_680:                            ;   in Loop: Header=BB203_547 Depth=1
	s_or_b32 exec_lo, exec_lo, s26
.LBB203_681:                            ;   in Loop: Header=BB203_547 Depth=1
	s_or_b32 exec_lo, exec_lo, s22
.LBB203_682:                            ;   in Loop: Header=BB203_547 Depth=1
	s_or_b32 exec_lo, exec_lo, s21
	v_or_b32_e32 v5, v20, v18
	v_or_b32_e32 v7, v19, v17
	;; [unrolled: 1-line block ×4, first 2 shown]
	v_mul_f32_e32 v71, s18, v5
	v_mul_f32_e32 v72, s17, v7
	;; [unrolled: 1-line block ×4, first 2 shown]
	s_and_saveexec_b32 s21, vcc_lo
	s_cbranch_execz .LBB203_684
; %bb.683:                              ;   in Loop: Header=BB203_547 Depth=1
	v_cmp_gt_i32_e64 s0, s33, v57
	v_cndmask_b32_e64 v72, 0, v72, s0
	v_cmp_gt_i32_e64 s0, s33, v60
	v_cndmask_b32_e64 v71, 0, v71, s0
	;; [unrolled: 2-line block ×4, first 2 shown]
.LBB203_684:                            ;   in Loop: Header=BB203_547 Depth=1
	s_or_b32 exec_lo, exec_lo, s21
	global_load_dword v73, v[15:16], off offset:512
	v_mov_b32_e32 v19, 0
	v_mov_b32_e32 v17, 0
	;; [unrolled: 1-line block ×4, first 2 shown]
	s_waitcnt vmcnt(0)
	v_cmp_ne_u16_sdwa s0, v73, v6 src0_sel:BYTE_0 src1_sel:DWORD
	s_and_saveexec_b32 s21, s0
	s_cbranch_execz .LBB203_692
; %bb.685:                              ;   in Loop: Header=BB203_547 Depth=1
	v_bfrev_b32_e32 v17, 1
	v_mov_b32_e32 v18, 0
	v_cmp_ne_u16_sdwa s0, v73, v44 src0_sel:BYTE_0 src1_sel:DWORD
	s_and_saveexec_b32 s22, s0
	s_cbranch_execz .LBB203_691
; %bb.686:                              ;   in Loop: Header=BB203_547 Depth=1
	v_mov_b32_e32 v17, 0x7f800001
	v_and_b32_e32 v9, 0x7f, v73
	v_mov_b32_e32 v18, 0
	s_mov_b32 s26, exec_lo
	v_cmpx_ne_u32_e32 0x7f, v9
	s_cbranch_execz .LBB203_690
; %bb.687:                              ;   in Loop: Header=BB203_547 Depth=1
	v_and_b32_e32 v5, 7, v73
	v_lshrrev_b32_e32 v7, 3, v9
	s_mov_b32 s27, exec_lo
	v_cmpx_gt_u32_e32 8, v9
; %bb.688:                              ;   in Loop: Header=BB203_547 Depth=1
	v_ffbh_u32_e32 v7, v5
	v_min_u32_e32 v7, 32, v7
	v_subrev_nc_u32_e32 v9, 28, v7
	v_sub_nc_u32_e32 v7, 29, v7
	v_lshlrev_b64 v[17:18], v9, v[5:6]
	v_and_b32_e32 v5, 7, v17
; %bb.689:                              ;   in Loop: Header=BB203_547 Depth=1
	s_or_b32 exec_lo, exec_lo, s27
	v_lshlrev_b32_e32 v9, 24, v73
	v_lshlrev_b32_e32 v5, 20, v5
	v_lshl_add_u32 v7, v7, 23, 0x3c000000
	v_and_b32_e32 v9, 0x80000000, v9
	v_or3_b32 v5, v5, v9, v7
	v_mov_b32_e32 v18, v6
	v_mov_b32_e32 v17, v5
.LBB203_690:                            ;   in Loop: Header=BB203_547 Depth=1
	s_or_b32 exec_lo, exec_lo, s26
.LBB203_691:                            ;   in Loop: Header=BB203_547 Depth=1
	s_or_b32 exec_lo, exec_lo, s22
.LBB203_692:                            ;   in Loop: Header=BB203_547 Depth=1
	s_or_b32 exec_lo, exec_lo, s21
	v_cmp_ne_u16_sdwa s0, v73, v6 src0_sel:BYTE_1 src1_sel:DWORD
	s_and_saveexec_b32 s21, s0
	s_cbranch_execz .LBB203_700
; %bb.693:                              ;   in Loop: Header=BB203_547 Depth=1
	v_mov_b32_e32 v7, v6
	v_mov_b32_e32 v20, v8
	v_cmp_ne_u16_sdwa s0, v73, v44 src0_sel:BYTE_1 src1_sel:DWORD
	v_mov_b32_e32 v19, v7
	s_and_saveexec_b32 s22, s0
	s_cbranch_execz .LBB203_699
; %bb.694:                              ;   in Loop: Header=BB203_547 Depth=1
	v_and_b32_sdwa v5, v45, v73 dst_sel:DWORD dst_unused:UNUSED_PAD src0_sel:DWORD src1_sel:BYTE_1
	v_mov_b32_e32 v9, v6
	v_mov_b32_e32 v20, v10
	s_mov_b32 s26, exec_lo
	v_and_b32_e32 v21, 0x7f, v5
	v_mov_b32_e32 v19, v9
	v_cmpx_ne_u32_e32 0x7f, v21
	s_cbranch_execz .LBB203_698
; %bb.695:                              ;   in Loop: Header=BB203_547 Depth=1
	v_and_b32_e32 v5, 7, v5
	v_lshrrev_b32_e32 v7, 3, v21
	s_mov_b32 s27, exec_lo
	v_cmpx_gt_u32_e32 8, v21
; %bb.696:                              ;   in Loop: Header=BB203_547 Depth=1
	v_ffbh_u32_e32 v7, v5
	v_min_u32_e32 v7, 32, v7
	v_subrev_nc_u32_e32 v9, 28, v7
	v_sub_nc_u32_e32 v7, 29, v7
	v_lshlrev_b64 v[19:20], v9, v[5:6]
	v_and_b32_e32 v5, 7, v19
; %bb.697:                              ;   in Loop: Header=BB203_547 Depth=1
	s_or_b32 exec_lo, exec_lo, s27
	v_lshlrev_b32_e32 v9, 16, v73
	v_lshlrev_b32_e32 v5, 20, v5
	v_lshl_add_u32 v7, v7, 23, 0x3c000000
	v_mov_b32_e32 v19, v6
	v_and_b32_e32 v9, 0x80000000, v9
	v_or3_b32 v20, v5, v9, v7
.LBB203_698:                            ;   in Loop: Header=BB203_547 Depth=1
	s_or_b32 exec_lo, exec_lo, s26
.LBB203_699:                            ;   in Loop: Header=BB203_547 Depth=1
	s_or_b32 exec_lo, exec_lo, s22
.LBB203_700:                            ;   in Loop: Header=BB203_547 Depth=1
	s_or_b32 exec_lo, exec_lo, s21
	v_mov_b32_e32 v23, 0
	v_mov_b32_e32 v21, 0
	v_and_b32_sdwa v5, v73, v46 dst_sel:DWORD dst_unused:UNUSED_PAD src0_sel:WORD_1 src1_sel:DWORD
	v_mov_b32_e32 v24, 0
	v_mov_b32_e32 v22, 0
	s_mov_b32 s21, exec_lo
	v_cmpx_ne_u16_e32 0, v5
	s_cbranch_execz .LBB203_708
; %bb.701:                              ;   in Loop: Header=BB203_547 Depth=1
	v_bfrev_b32_e32 v21, 1
	v_mov_b32_e32 v22, 0
	s_mov_b32 s22, exec_lo
	v_cmpx_ne_u16_e32 0x80, v5
	s_cbranch_execz .LBB203_707
; %bb.702:                              ;   in Loop: Header=BB203_547 Depth=1
	v_mov_b32_e32 v21, 0x7f800001
	v_bfe_u32 v9, v73, 16, 7
	v_mov_b32_e32 v22, 0
	s_mov_b32 s26, exec_lo
	v_cmpx_ne_u32_e32 0x7f, v9
	s_cbranch_execz .LBB203_706
; %bb.703:                              ;   in Loop: Header=BB203_547 Depth=1
	v_and_b32_sdwa v5, v73, v47 dst_sel:DWORD dst_unused:UNUSED_PAD src0_sel:WORD_1 src1_sel:DWORD
	v_lshrrev_b32_e32 v7, 3, v9
	s_mov_b32 s27, exec_lo
	v_cmpx_gt_u32_e32 8, v9
; %bb.704:                              ;   in Loop: Header=BB203_547 Depth=1
	v_ffbh_u32_e32 v7, v5
	v_min_u32_e32 v7, 32, v7
	v_subrev_nc_u32_e32 v9, 28, v7
	v_sub_nc_u32_e32 v7, 29, v7
	v_lshlrev_b64 v[21:22], v9, v[5:6]
	v_and_b32_e32 v5, 7, v21
; %bb.705:                              ;   in Loop: Header=BB203_547 Depth=1
	s_or_b32 exec_lo, exec_lo, s27
	v_lshlrev_b32_sdwa v9, v48, v73 dst_sel:DWORD dst_unused:UNUSED_PAD src0_sel:DWORD src1_sel:WORD_1
	v_lshlrev_b32_e32 v5, 20, v5
	v_lshl_add_u32 v7, v7, 23, 0x3c000000
	v_and_b32_e32 v9, 0x80000000, v9
	v_or3_b32 v5, v5, v9, v7
	v_mov_b32_e32 v22, v6
	v_mov_b32_e32 v21, v5
.LBB203_706:                            ;   in Loop: Header=BB203_547 Depth=1
	s_or_b32 exec_lo, exec_lo, s26
.LBB203_707:                            ;   in Loop: Header=BB203_547 Depth=1
	s_or_b32 exec_lo, exec_lo, s22
.LBB203_708:                            ;   in Loop: Header=BB203_547 Depth=1
	s_or_b32 exec_lo, exec_lo, s21
	s_mov_b32 s21, exec_lo
	v_cmpx_lt_u32_e32 0xffffff, v73
	s_cbranch_execz .LBB203_716
; %bb.709:                              ;   in Loop: Header=BB203_547 Depth=1
	v_mov_b32_e32 v7, v6
	v_mov_b32_e32 v24, v8
	v_cmp_ne_u32_sdwa s0, v73, v44 src0_sel:BYTE_3 src1_sel:DWORD
	v_mov_b32_e32 v23, v7
	s_and_saveexec_b32 s22, s0
	s_cbranch_execz .LBB203_715
; %bb.710:                              ;   in Loop: Header=BB203_547 Depth=1
	v_mov_b32_e32 v9, v6
	v_mov_b32_e32 v24, v10
	v_bfe_u32 v74, v73, 24, 7
	s_mov_b32 s26, exec_lo
	v_mov_b32_e32 v23, v9
	v_cmpx_ne_u32_e32 0x7f, v74
	s_cbranch_execz .LBB203_714
; %bb.711:                              ;   in Loop: Header=BB203_547 Depth=1
	v_and_b32_sdwa v5, v73, v47 dst_sel:DWORD dst_unused:UNUSED_PAD src0_sel:BYTE_3 src1_sel:DWORD
	v_lshrrev_b32_e32 v7, 3, v74
	s_mov_b32 s27, exec_lo
	v_cmpx_gt_u32_e32 8, v74
; %bb.712:                              ;   in Loop: Header=BB203_547 Depth=1
	v_ffbh_u32_e32 v7, v5
	v_min_u32_e32 v7, 32, v7
	v_subrev_nc_u32_e32 v9, 28, v7
	v_sub_nc_u32_e32 v7, 29, v7
	v_lshlrev_b64 v[23:24], v9, v[5:6]
	v_and_b32_e32 v5, 7, v23
; %bb.713:                              ;   in Loop: Header=BB203_547 Depth=1
	s_or_b32 exec_lo, exec_lo, s27
	v_lshlrev_b32_sdwa v9, v48, v73 dst_sel:DWORD dst_unused:UNUSED_PAD src0_sel:DWORD src1_sel:BYTE_3
	v_lshlrev_b32_e32 v5, 20, v5
	v_lshl_add_u32 v7, v7, 23, 0x3c000000
	v_mov_b32_e32 v23, v6
	v_and_b32_e32 v9, 0x80000000, v9
	v_or3_b32 v24, v5, v9, v7
.LBB203_714:                            ;   in Loop: Header=BB203_547 Depth=1
	s_or_b32 exec_lo, exec_lo, s26
.LBB203_715:                            ;   in Loop: Header=BB203_547 Depth=1
	s_or_b32 exec_lo, exec_lo, s22
.LBB203_716:                            ;   in Loop: Header=BB203_547 Depth=1
	s_or_b32 exec_lo, exec_lo, s21
	v_or_b32_e32 v5, v20, v18
	v_or_b32_e32 v7, v19, v17
	;; [unrolled: 1-line block ×4, first 2 shown]
	v_mul_f32_e32 v75, s18, v5
	v_mul_f32_e32 v76, s17, v7
	;; [unrolled: 1-line block ×4, first 2 shown]
	s_and_saveexec_b32 s21, vcc_lo
	s_cbranch_execz .LBB203_718
; %bb.717:                              ;   in Loop: Header=BB203_547 Depth=1
	v_cmp_gt_i32_e64 s0, s33, v57
	v_cndmask_b32_e64 v76, 0, v76, s0
	v_cmp_gt_i32_e64 s0, s33, v60
	v_cndmask_b32_e64 v75, 0, v75, s0
	;; [unrolled: 2-line block ×4, first 2 shown]
.LBB203_718:                            ;   in Loop: Header=BB203_547 Depth=1
	s_or_b32 exec_lo, exec_lo, s21
	global_load_dword v77, v[15:16], off offset:640
	v_mov_b32_e32 v19, 0
	v_mov_b32_e32 v17, 0
	;; [unrolled: 1-line block ×4, first 2 shown]
	s_waitcnt vmcnt(0)
	v_cmp_ne_u16_sdwa s0, v77, v6 src0_sel:BYTE_0 src1_sel:DWORD
	s_and_saveexec_b32 s21, s0
	s_cbranch_execz .LBB203_726
; %bb.719:                              ;   in Loop: Header=BB203_547 Depth=1
	v_bfrev_b32_e32 v17, 1
	v_mov_b32_e32 v18, 0
	v_cmp_ne_u16_sdwa s0, v77, v44 src0_sel:BYTE_0 src1_sel:DWORD
	s_and_saveexec_b32 s22, s0
	s_cbranch_execz .LBB203_725
; %bb.720:                              ;   in Loop: Header=BB203_547 Depth=1
	v_mov_b32_e32 v17, 0x7f800001
	v_and_b32_e32 v9, 0x7f, v77
	v_mov_b32_e32 v18, 0
	s_mov_b32 s26, exec_lo
	v_cmpx_ne_u32_e32 0x7f, v9
	s_cbranch_execz .LBB203_724
; %bb.721:                              ;   in Loop: Header=BB203_547 Depth=1
	v_and_b32_e32 v5, 7, v77
	v_lshrrev_b32_e32 v7, 3, v9
	s_mov_b32 s27, exec_lo
	v_cmpx_gt_u32_e32 8, v9
; %bb.722:                              ;   in Loop: Header=BB203_547 Depth=1
	v_ffbh_u32_e32 v7, v5
	v_min_u32_e32 v7, 32, v7
	v_subrev_nc_u32_e32 v9, 28, v7
	v_sub_nc_u32_e32 v7, 29, v7
	v_lshlrev_b64 v[17:18], v9, v[5:6]
	v_and_b32_e32 v5, 7, v17
; %bb.723:                              ;   in Loop: Header=BB203_547 Depth=1
	s_or_b32 exec_lo, exec_lo, s27
	v_lshlrev_b32_e32 v9, 24, v77
	v_lshlrev_b32_e32 v5, 20, v5
	v_lshl_add_u32 v7, v7, 23, 0x3c000000
	v_and_b32_e32 v9, 0x80000000, v9
	v_or3_b32 v5, v5, v9, v7
	v_mov_b32_e32 v18, v6
	v_mov_b32_e32 v17, v5
.LBB203_724:                            ;   in Loop: Header=BB203_547 Depth=1
	s_or_b32 exec_lo, exec_lo, s26
.LBB203_725:                            ;   in Loop: Header=BB203_547 Depth=1
	s_or_b32 exec_lo, exec_lo, s22
.LBB203_726:                            ;   in Loop: Header=BB203_547 Depth=1
	s_or_b32 exec_lo, exec_lo, s21
	v_cmp_ne_u16_sdwa s0, v77, v6 src0_sel:BYTE_1 src1_sel:DWORD
	s_and_saveexec_b32 s21, s0
	s_cbranch_execz .LBB203_734
; %bb.727:                              ;   in Loop: Header=BB203_547 Depth=1
	v_mov_b32_e32 v7, v6
	v_mov_b32_e32 v20, v8
	v_cmp_ne_u16_sdwa s0, v77, v44 src0_sel:BYTE_1 src1_sel:DWORD
	v_mov_b32_e32 v19, v7
	s_and_saveexec_b32 s22, s0
	s_cbranch_execz .LBB203_733
; %bb.728:                              ;   in Loop: Header=BB203_547 Depth=1
	v_and_b32_sdwa v5, v45, v77 dst_sel:DWORD dst_unused:UNUSED_PAD src0_sel:DWORD src1_sel:BYTE_1
	v_mov_b32_e32 v9, v6
	v_mov_b32_e32 v20, v10
	s_mov_b32 s26, exec_lo
	v_and_b32_e32 v21, 0x7f, v5
	v_mov_b32_e32 v19, v9
	v_cmpx_ne_u32_e32 0x7f, v21
	s_cbranch_execz .LBB203_732
; %bb.729:                              ;   in Loop: Header=BB203_547 Depth=1
	v_and_b32_e32 v5, 7, v5
	v_lshrrev_b32_e32 v7, 3, v21
	s_mov_b32 s27, exec_lo
	v_cmpx_gt_u32_e32 8, v21
; %bb.730:                              ;   in Loop: Header=BB203_547 Depth=1
	v_ffbh_u32_e32 v7, v5
	v_min_u32_e32 v7, 32, v7
	v_subrev_nc_u32_e32 v9, 28, v7
	v_sub_nc_u32_e32 v7, 29, v7
	v_lshlrev_b64 v[19:20], v9, v[5:6]
	v_and_b32_e32 v5, 7, v19
; %bb.731:                              ;   in Loop: Header=BB203_547 Depth=1
	s_or_b32 exec_lo, exec_lo, s27
	v_lshlrev_b32_e32 v9, 16, v77
	v_lshlrev_b32_e32 v5, 20, v5
	v_lshl_add_u32 v7, v7, 23, 0x3c000000
	v_mov_b32_e32 v19, v6
	v_and_b32_e32 v9, 0x80000000, v9
	v_or3_b32 v20, v5, v9, v7
.LBB203_732:                            ;   in Loop: Header=BB203_547 Depth=1
	s_or_b32 exec_lo, exec_lo, s26
.LBB203_733:                            ;   in Loop: Header=BB203_547 Depth=1
	s_or_b32 exec_lo, exec_lo, s22
.LBB203_734:                            ;   in Loop: Header=BB203_547 Depth=1
	s_or_b32 exec_lo, exec_lo, s21
	v_mov_b32_e32 v23, 0
	v_mov_b32_e32 v21, 0
	v_and_b32_sdwa v5, v77, v46 dst_sel:DWORD dst_unused:UNUSED_PAD src0_sel:WORD_1 src1_sel:DWORD
	v_mov_b32_e32 v24, 0
	v_mov_b32_e32 v22, 0
	s_mov_b32 s21, exec_lo
	v_cmpx_ne_u16_e32 0, v5
	s_cbranch_execz .LBB203_742
; %bb.735:                              ;   in Loop: Header=BB203_547 Depth=1
	v_bfrev_b32_e32 v21, 1
	v_mov_b32_e32 v22, 0
	s_mov_b32 s22, exec_lo
	v_cmpx_ne_u16_e32 0x80, v5
	s_cbranch_execz .LBB203_741
; %bb.736:                              ;   in Loop: Header=BB203_547 Depth=1
	v_mov_b32_e32 v21, 0x7f800001
	v_bfe_u32 v9, v77, 16, 7
	v_mov_b32_e32 v22, 0
	s_mov_b32 s26, exec_lo
	v_cmpx_ne_u32_e32 0x7f, v9
	s_cbranch_execz .LBB203_740
; %bb.737:                              ;   in Loop: Header=BB203_547 Depth=1
	v_and_b32_sdwa v5, v77, v47 dst_sel:DWORD dst_unused:UNUSED_PAD src0_sel:WORD_1 src1_sel:DWORD
	v_lshrrev_b32_e32 v7, 3, v9
	s_mov_b32 s27, exec_lo
	v_cmpx_gt_u32_e32 8, v9
; %bb.738:                              ;   in Loop: Header=BB203_547 Depth=1
	v_ffbh_u32_e32 v7, v5
	v_min_u32_e32 v7, 32, v7
	v_subrev_nc_u32_e32 v9, 28, v7
	v_sub_nc_u32_e32 v7, 29, v7
	v_lshlrev_b64 v[21:22], v9, v[5:6]
	v_and_b32_e32 v5, 7, v21
; %bb.739:                              ;   in Loop: Header=BB203_547 Depth=1
	s_or_b32 exec_lo, exec_lo, s27
	v_lshlrev_b32_sdwa v9, v48, v77 dst_sel:DWORD dst_unused:UNUSED_PAD src0_sel:DWORD src1_sel:WORD_1
	v_lshlrev_b32_e32 v5, 20, v5
	v_lshl_add_u32 v7, v7, 23, 0x3c000000
	v_and_b32_e32 v9, 0x80000000, v9
	v_or3_b32 v5, v5, v9, v7
	v_mov_b32_e32 v22, v6
	v_mov_b32_e32 v21, v5
.LBB203_740:                            ;   in Loop: Header=BB203_547 Depth=1
	s_or_b32 exec_lo, exec_lo, s26
.LBB203_741:                            ;   in Loop: Header=BB203_547 Depth=1
	s_or_b32 exec_lo, exec_lo, s22
.LBB203_742:                            ;   in Loop: Header=BB203_547 Depth=1
	s_or_b32 exec_lo, exec_lo, s21
	s_mov_b32 s21, exec_lo
	v_cmpx_lt_u32_e32 0xffffff, v77
	s_cbranch_execz .LBB203_750
; %bb.743:                              ;   in Loop: Header=BB203_547 Depth=1
	v_mov_b32_e32 v7, v6
	v_mov_b32_e32 v24, v8
	v_cmp_ne_u32_sdwa s0, v77, v44 src0_sel:BYTE_3 src1_sel:DWORD
	v_mov_b32_e32 v23, v7
	s_and_saveexec_b32 s22, s0
	s_cbranch_execz .LBB203_749
; %bb.744:                              ;   in Loop: Header=BB203_547 Depth=1
	v_mov_b32_e32 v9, v6
	v_mov_b32_e32 v24, v10
	v_bfe_u32 v78, v77, 24, 7
	s_mov_b32 s26, exec_lo
	v_mov_b32_e32 v23, v9
	v_cmpx_ne_u32_e32 0x7f, v78
	s_cbranch_execz .LBB203_748
; %bb.745:                              ;   in Loop: Header=BB203_547 Depth=1
	v_and_b32_sdwa v5, v77, v47 dst_sel:DWORD dst_unused:UNUSED_PAD src0_sel:BYTE_3 src1_sel:DWORD
	v_lshrrev_b32_e32 v7, 3, v78
	s_mov_b32 s27, exec_lo
	v_cmpx_gt_u32_e32 8, v78
; %bb.746:                              ;   in Loop: Header=BB203_547 Depth=1
	v_ffbh_u32_e32 v7, v5
	v_min_u32_e32 v7, 32, v7
	v_subrev_nc_u32_e32 v9, 28, v7
	v_sub_nc_u32_e32 v7, 29, v7
	v_lshlrev_b64 v[23:24], v9, v[5:6]
	v_and_b32_e32 v5, 7, v23
; %bb.747:                              ;   in Loop: Header=BB203_547 Depth=1
	s_or_b32 exec_lo, exec_lo, s27
	v_lshlrev_b32_sdwa v9, v48, v77 dst_sel:DWORD dst_unused:UNUSED_PAD src0_sel:DWORD src1_sel:BYTE_3
	v_lshlrev_b32_e32 v5, 20, v5
	v_lshl_add_u32 v7, v7, 23, 0x3c000000
	v_mov_b32_e32 v23, v6
	v_and_b32_e32 v9, 0x80000000, v9
	v_or3_b32 v24, v5, v9, v7
.LBB203_748:                            ;   in Loop: Header=BB203_547 Depth=1
	s_or_b32 exec_lo, exec_lo, s26
.LBB203_749:                            ;   in Loop: Header=BB203_547 Depth=1
	s_or_b32 exec_lo, exec_lo, s22
.LBB203_750:                            ;   in Loop: Header=BB203_547 Depth=1
	s_or_b32 exec_lo, exec_lo, s21
	v_or_b32_e32 v5, v20, v18
	v_or_b32_e32 v7, v19, v17
	;; [unrolled: 1-line block ×4, first 2 shown]
	v_mul_f32_e32 v79, s18, v5
	v_mul_f32_e32 v80, s17, v7
	v_mul_f32_e32 v78, s17, v9
	v_mul_f32_e32 v77, s18, v17
	s_and_saveexec_b32 s21, vcc_lo
	s_cbranch_execz .LBB203_752
; %bb.751:                              ;   in Loop: Header=BB203_547 Depth=1
	v_cmp_gt_i32_e64 s0, s33, v57
	v_cndmask_b32_e64 v80, 0, v80, s0
	v_cmp_gt_i32_e64 s0, s33, v60
	v_cndmask_b32_e64 v79, 0, v79, s0
	;; [unrolled: 2-line block ×4, first 2 shown]
.LBB203_752:                            ;   in Loop: Header=BB203_547 Depth=1
	s_or_b32 exec_lo, exec_lo, s21
	global_load_dword v81, v[15:16], off offset:768
	v_mov_b32_e32 v19, 0
	v_mov_b32_e32 v17, 0
	;; [unrolled: 1-line block ×4, first 2 shown]
	s_waitcnt vmcnt(0)
	v_cmp_ne_u16_sdwa s0, v81, v6 src0_sel:BYTE_0 src1_sel:DWORD
	s_and_saveexec_b32 s21, s0
	s_cbranch_execz .LBB203_760
; %bb.753:                              ;   in Loop: Header=BB203_547 Depth=1
	v_bfrev_b32_e32 v17, 1
	v_mov_b32_e32 v18, 0
	v_cmp_ne_u16_sdwa s0, v81, v44 src0_sel:BYTE_0 src1_sel:DWORD
	s_and_saveexec_b32 s22, s0
	s_cbranch_execz .LBB203_759
; %bb.754:                              ;   in Loop: Header=BB203_547 Depth=1
	v_mov_b32_e32 v17, 0x7f800001
	v_and_b32_e32 v9, 0x7f, v81
	v_mov_b32_e32 v18, 0
	s_mov_b32 s26, exec_lo
	v_cmpx_ne_u32_e32 0x7f, v9
	s_cbranch_execz .LBB203_758
; %bb.755:                              ;   in Loop: Header=BB203_547 Depth=1
	v_and_b32_e32 v5, 7, v81
	v_lshrrev_b32_e32 v7, 3, v9
	s_mov_b32 s27, exec_lo
	v_cmpx_gt_u32_e32 8, v9
; %bb.756:                              ;   in Loop: Header=BB203_547 Depth=1
	v_ffbh_u32_e32 v7, v5
	v_min_u32_e32 v7, 32, v7
	v_subrev_nc_u32_e32 v9, 28, v7
	v_sub_nc_u32_e32 v7, 29, v7
	v_lshlrev_b64 v[17:18], v9, v[5:6]
	v_and_b32_e32 v5, 7, v17
; %bb.757:                              ;   in Loop: Header=BB203_547 Depth=1
	s_or_b32 exec_lo, exec_lo, s27
	v_lshlrev_b32_e32 v9, 24, v81
	v_lshlrev_b32_e32 v5, 20, v5
	v_lshl_add_u32 v7, v7, 23, 0x3c000000
	v_and_b32_e32 v9, 0x80000000, v9
	v_or3_b32 v5, v5, v9, v7
	v_mov_b32_e32 v18, v6
	v_mov_b32_e32 v17, v5
.LBB203_758:                            ;   in Loop: Header=BB203_547 Depth=1
	s_or_b32 exec_lo, exec_lo, s26
.LBB203_759:                            ;   in Loop: Header=BB203_547 Depth=1
	s_or_b32 exec_lo, exec_lo, s22
.LBB203_760:                            ;   in Loop: Header=BB203_547 Depth=1
	s_or_b32 exec_lo, exec_lo, s21
	v_cmp_ne_u16_sdwa s0, v81, v6 src0_sel:BYTE_1 src1_sel:DWORD
	s_and_saveexec_b32 s21, s0
	s_cbranch_execz .LBB203_768
; %bb.761:                              ;   in Loop: Header=BB203_547 Depth=1
	v_mov_b32_e32 v7, v6
	v_mov_b32_e32 v20, v8
	v_cmp_ne_u16_sdwa s0, v81, v44 src0_sel:BYTE_1 src1_sel:DWORD
	v_mov_b32_e32 v19, v7
	s_and_saveexec_b32 s22, s0
	s_cbranch_execz .LBB203_767
; %bb.762:                              ;   in Loop: Header=BB203_547 Depth=1
	v_and_b32_sdwa v5, v45, v81 dst_sel:DWORD dst_unused:UNUSED_PAD src0_sel:DWORD src1_sel:BYTE_1
	v_mov_b32_e32 v9, v6
	v_mov_b32_e32 v20, v10
	s_mov_b32 s26, exec_lo
	v_and_b32_e32 v21, 0x7f, v5
	v_mov_b32_e32 v19, v9
	v_cmpx_ne_u32_e32 0x7f, v21
	s_cbranch_execz .LBB203_766
; %bb.763:                              ;   in Loop: Header=BB203_547 Depth=1
	v_and_b32_e32 v5, 7, v5
	v_lshrrev_b32_e32 v7, 3, v21
	s_mov_b32 s27, exec_lo
	v_cmpx_gt_u32_e32 8, v21
; %bb.764:                              ;   in Loop: Header=BB203_547 Depth=1
	v_ffbh_u32_e32 v7, v5
	v_min_u32_e32 v7, 32, v7
	v_subrev_nc_u32_e32 v9, 28, v7
	v_sub_nc_u32_e32 v7, 29, v7
	v_lshlrev_b64 v[19:20], v9, v[5:6]
	v_and_b32_e32 v5, 7, v19
; %bb.765:                              ;   in Loop: Header=BB203_547 Depth=1
	s_or_b32 exec_lo, exec_lo, s27
	v_lshlrev_b32_e32 v9, 16, v81
	v_lshlrev_b32_e32 v5, 20, v5
	v_lshl_add_u32 v7, v7, 23, 0x3c000000
	v_mov_b32_e32 v19, v6
	v_and_b32_e32 v9, 0x80000000, v9
	v_or3_b32 v20, v5, v9, v7
.LBB203_766:                            ;   in Loop: Header=BB203_547 Depth=1
	s_or_b32 exec_lo, exec_lo, s26
.LBB203_767:                            ;   in Loop: Header=BB203_547 Depth=1
	s_or_b32 exec_lo, exec_lo, s22
.LBB203_768:                            ;   in Loop: Header=BB203_547 Depth=1
	s_or_b32 exec_lo, exec_lo, s21
	v_mov_b32_e32 v23, 0
	v_mov_b32_e32 v21, 0
	v_and_b32_sdwa v5, v81, v46 dst_sel:DWORD dst_unused:UNUSED_PAD src0_sel:WORD_1 src1_sel:DWORD
	v_mov_b32_e32 v24, 0
	v_mov_b32_e32 v22, 0
	s_mov_b32 s21, exec_lo
	v_cmpx_ne_u16_e32 0, v5
	s_cbranch_execz .LBB203_776
; %bb.769:                              ;   in Loop: Header=BB203_547 Depth=1
	v_bfrev_b32_e32 v21, 1
	v_mov_b32_e32 v22, 0
	s_mov_b32 s22, exec_lo
	v_cmpx_ne_u16_e32 0x80, v5
	s_cbranch_execz .LBB203_775
; %bb.770:                              ;   in Loop: Header=BB203_547 Depth=1
	v_mov_b32_e32 v21, 0x7f800001
	v_bfe_u32 v9, v81, 16, 7
	v_mov_b32_e32 v22, 0
	s_mov_b32 s26, exec_lo
	v_cmpx_ne_u32_e32 0x7f, v9
	s_cbranch_execz .LBB203_774
; %bb.771:                              ;   in Loop: Header=BB203_547 Depth=1
	v_and_b32_sdwa v5, v81, v47 dst_sel:DWORD dst_unused:UNUSED_PAD src0_sel:WORD_1 src1_sel:DWORD
	v_lshrrev_b32_e32 v7, 3, v9
	s_mov_b32 s27, exec_lo
	v_cmpx_gt_u32_e32 8, v9
; %bb.772:                              ;   in Loop: Header=BB203_547 Depth=1
	v_ffbh_u32_e32 v7, v5
	v_min_u32_e32 v7, 32, v7
	v_subrev_nc_u32_e32 v9, 28, v7
	v_sub_nc_u32_e32 v7, 29, v7
	v_lshlrev_b64 v[21:22], v9, v[5:6]
	v_and_b32_e32 v5, 7, v21
; %bb.773:                              ;   in Loop: Header=BB203_547 Depth=1
	s_or_b32 exec_lo, exec_lo, s27
	v_lshlrev_b32_sdwa v9, v48, v81 dst_sel:DWORD dst_unused:UNUSED_PAD src0_sel:DWORD src1_sel:WORD_1
	v_lshlrev_b32_e32 v5, 20, v5
	v_lshl_add_u32 v7, v7, 23, 0x3c000000
	v_and_b32_e32 v9, 0x80000000, v9
	v_or3_b32 v5, v5, v9, v7
	v_mov_b32_e32 v22, v6
	v_mov_b32_e32 v21, v5
.LBB203_774:                            ;   in Loop: Header=BB203_547 Depth=1
	s_or_b32 exec_lo, exec_lo, s26
.LBB203_775:                            ;   in Loop: Header=BB203_547 Depth=1
	s_or_b32 exec_lo, exec_lo, s22
.LBB203_776:                            ;   in Loop: Header=BB203_547 Depth=1
	s_or_b32 exec_lo, exec_lo, s21
	s_mov_b32 s21, exec_lo
	v_cmpx_lt_u32_e32 0xffffff, v81
	s_cbranch_execz .LBB203_784
; %bb.777:                              ;   in Loop: Header=BB203_547 Depth=1
	v_mov_b32_e32 v7, v6
	v_mov_b32_e32 v24, v8
	v_cmp_ne_u32_sdwa s0, v81, v44 src0_sel:BYTE_3 src1_sel:DWORD
	v_mov_b32_e32 v23, v7
	s_and_saveexec_b32 s22, s0
	s_cbranch_execz .LBB203_783
; %bb.778:                              ;   in Loop: Header=BB203_547 Depth=1
	v_mov_b32_e32 v9, v6
	v_mov_b32_e32 v24, v10
	v_bfe_u32 v82, v81, 24, 7
	s_mov_b32 s26, exec_lo
	v_mov_b32_e32 v23, v9
	v_cmpx_ne_u32_e32 0x7f, v82
	s_cbranch_execz .LBB203_782
; %bb.779:                              ;   in Loop: Header=BB203_547 Depth=1
	v_and_b32_sdwa v5, v81, v47 dst_sel:DWORD dst_unused:UNUSED_PAD src0_sel:BYTE_3 src1_sel:DWORD
	v_lshrrev_b32_e32 v7, 3, v82
	s_mov_b32 s27, exec_lo
	v_cmpx_gt_u32_e32 8, v82
; %bb.780:                              ;   in Loop: Header=BB203_547 Depth=1
	v_ffbh_u32_e32 v7, v5
	v_min_u32_e32 v7, 32, v7
	v_subrev_nc_u32_e32 v9, 28, v7
	v_sub_nc_u32_e32 v7, 29, v7
	v_lshlrev_b64 v[23:24], v9, v[5:6]
	v_and_b32_e32 v5, 7, v23
; %bb.781:                              ;   in Loop: Header=BB203_547 Depth=1
	s_or_b32 exec_lo, exec_lo, s27
	v_lshlrev_b32_sdwa v9, v48, v81 dst_sel:DWORD dst_unused:UNUSED_PAD src0_sel:DWORD src1_sel:BYTE_3
	v_lshlrev_b32_e32 v5, 20, v5
	v_lshl_add_u32 v7, v7, 23, 0x3c000000
	v_mov_b32_e32 v23, v6
	v_and_b32_e32 v9, 0x80000000, v9
	v_or3_b32 v24, v5, v9, v7
.LBB203_782:                            ;   in Loop: Header=BB203_547 Depth=1
	s_or_b32 exec_lo, exec_lo, s26
.LBB203_783:                            ;   in Loop: Header=BB203_547 Depth=1
	s_or_b32 exec_lo, exec_lo, s22
.LBB203_784:                            ;   in Loop: Header=BB203_547 Depth=1
	s_or_b32 exec_lo, exec_lo, s21
	v_or_b32_e32 v5, v20, v18
	v_or_b32_e32 v7, v19, v17
	;; [unrolled: 1-line block ×4, first 2 shown]
	v_mul_f32_e32 v83, s18, v5
	v_mul_f32_e32 v84, s17, v7
	;; [unrolled: 1-line block ×4, first 2 shown]
	s_and_saveexec_b32 s21, vcc_lo
	s_cbranch_execz .LBB203_786
; %bb.785:                              ;   in Loop: Header=BB203_547 Depth=1
	v_cmp_gt_i32_e64 s0, s33, v57
	v_cndmask_b32_e64 v84, 0, v84, s0
	v_cmp_gt_i32_e64 s0, s33, v60
	v_cndmask_b32_e64 v83, 0, v83, s0
	v_cmp_gt_i32_e64 s0, s33, v59
	v_cndmask_b32_e64 v82, 0, v82, s0
	v_cmp_gt_i32_e64 s0, s33, v58
	v_cndmask_b32_e64 v81, 0, v81, s0
.LBB203_786:                            ;   in Loop: Header=BB203_547 Depth=1
	s_or_b32 exec_lo, exec_lo, s21
	global_load_dword v85, v[15:16], off offset:896
	v_mov_b32_e32 v19, 0
	v_mov_b32_e32 v17, 0
	;; [unrolled: 1-line block ×4, first 2 shown]
	s_waitcnt vmcnt(0)
	v_cmp_ne_u16_sdwa s0, v85, v6 src0_sel:BYTE_0 src1_sel:DWORD
	s_and_saveexec_b32 s21, s0
	s_cbranch_execz .LBB203_794
; %bb.787:                              ;   in Loop: Header=BB203_547 Depth=1
	v_bfrev_b32_e32 v17, 1
	v_mov_b32_e32 v18, 0
	v_cmp_ne_u16_sdwa s0, v85, v44 src0_sel:BYTE_0 src1_sel:DWORD
	s_and_saveexec_b32 s22, s0
	s_cbranch_execz .LBB203_793
; %bb.788:                              ;   in Loop: Header=BB203_547 Depth=1
	v_mov_b32_e32 v17, 0x7f800001
	v_and_b32_e32 v9, 0x7f, v85
	v_mov_b32_e32 v18, 0
	s_mov_b32 s26, exec_lo
	v_cmpx_ne_u32_e32 0x7f, v9
	s_cbranch_execz .LBB203_792
; %bb.789:                              ;   in Loop: Header=BB203_547 Depth=1
	v_and_b32_e32 v5, 7, v85
	v_lshrrev_b32_e32 v7, 3, v9
	s_mov_b32 s27, exec_lo
	v_cmpx_gt_u32_e32 8, v9
; %bb.790:                              ;   in Loop: Header=BB203_547 Depth=1
	v_ffbh_u32_e32 v7, v5
	v_min_u32_e32 v7, 32, v7
	v_subrev_nc_u32_e32 v9, 28, v7
	v_sub_nc_u32_e32 v7, 29, v7
	v_lshlrev_b64 v[17:18], v9, v[5:6]
	v_and_b32_e32 v5, 7, v17
; %bb.791:                              ;   in Loop: Header=BB203_547 Depth=1
	s_or_b32 exec_lo, exec_lo, s27
	v_lshlrev_b32_e32 v9, 24, v85
	v_lshlrev_b32_e32 v5, 20, v5
	v_lshl_add_u32 v7, v7, 23, 0x3c000000
	v_and_b32_e32 v9, 0x80000000, v9
	v_or3_b32 v5, v5, v9, v7
	v_mov_b32_e32 v18, v6
	v_mov_b32_e32 v17, v5
.LBB203_792:                            ;   in Loop: Header=BB203_547 Depth=1
	s_or_b32 exec_lo, exec_lo, s26
.LBB203_793:                            ;   in Loop: Header=BB203_547 Depth=1
	s_or_b32 exec_lo, exec_lo, s22
.LBB203_794:                            ;   in Loop: Header=BB203_547 Depth=1
	s_or_b32 exec_lo, exec_lo, s21
	v_cmp_ne_u16_sdwa s0, v85, v6 src0_sel:BYTE_1 src1_sel:DWORD
	s_and_saveexec_b32 s21, s0
	s_cbranch_execz .LBB203_802
; %bb.795:                              ;   in Loop: Header=BB203_547 Depth=1
	v_mov_b32_e32 v7, v6
	v_mov_b32_e32 v20, v8
	v_cmp_ne_u16_sdwa s0, v85, v44 src0_sel:BYTE_1 src1_sel:DWORD
	v_mov_b32_e32 v19, v7
	s_and_saveexec_b32 s22, s0
	s_cbranch_execz .LBB203_801
; %bb.796:                              ;   in Loop: Header=BB203_547 Depth=1
	v_and_b32_sdwa v5, v45, v85 dst_sel:DWORD dst_unused:UNUSED_PAD src0_sel:DWORD src1_sel:BYTE_1
	v_mov_b32_e32 v9, v6
	v_mov_b32_e32 v20, v10
	s_mov_b32 s26, exec_lo
	v_and_b32_e32 v21, 0x7f, v5
	v_mov_b32_e32 v19, v9
	v_cmpx_ne_u32_e32 0x7f, v21
	s_cbranch_execz .LBB203_800
; %bb.797:                              ;   in Loop: Header=BB203_547 Depth=1
	v_and_b32_e32 v5, 7, v5
	v_lshrrev_b32_e32 v7, 3, v21
	s_mov_b32 s27, exec_lo
	v_cmpx_gt_u32_e32 8, v21
; %bb.798:                              ;   in Loop: Header=BB203_547 Depth=1
	v_ffbh_u32_e32 v7, v5
	v_min_u32_e32 v7, 32, v7
	v_subrev_nc_u32_e32 v9, 28, v7
	v_sub_nc_u32_e32 v7, 29, v7
	v_lshlrev_b64 v[19:20], v9, v[5:6]
	v_and_b32_e32 v5, 7, v19
; %bb.799:                              ;   in Loop: Header=BB203_547 Depth=1
	s_or_b32 exec_lo, exec_lo, s27
	v_lshlrev_b32_e32 v9, 16, v85
	v_lshlrev_b32_e32 v5, 20, v5
	v_lshl_add_u32 v7, v7, 23, 0x3c000000
	v_mov_b32_e32 v19, v6
	v_and_b32_e32 v9, 0x80000000, v9
	v_or3_b32 v20, v5, v9, v7
.LBB203_800:                            ;   in Loop: Header=BB203_547 Depth=1
	s_or_b32 exec_lo, exec_lo, s26
.LBB203_801:                            ;   in Loop: Header=BB203_547 Depth=1
	s_or_b32 exec_lo, exec_lo, s22
.LBB203_802:                            ;   in Loop: Header=BB203_547 Depth=1
	s_or_b32 exec_lo, exec_lo, s21
	v_mov_b32_e32 v23, 0
	v_mov_b32_e32 v21, 0
	v_and_b32_sdwa v5, v85, v46 dst_sel:DWORD dst_unused:UNUSED_PAD src0_sel:WORD_1 src1_sel:DWORD
	v_mov_b32_e32 v24, 0
	v_mov_b32_e32 v22, 0
	s_mov_b32 s21, exec_lo
	v_cmpx_ne_u16_e32 0, v5
	s_cbranch_execz .LBB203_810
; %bb.803:                              ;   in Loop: Header=BB203_547 Depth=1
	v_bfrev_b32_e32 v21, 1
	v_mov_b32_e32 v22, 0
	s_mov_b32 s22, exec_lo
	v_cmpx_ne_u16_e32 0x80, v5
	s_cbranch_execz .LBB203_809
; %bb.804:                              ;   in Loop: Header=BB203_547 Depth=1
	v_mov_b32_e32 v21, 0x7f800001
	v_bfe_u32 v9, v85, 16, 7
	v_mov_b32_e32 v22, 0
	s_mov_b32 s26, exec_lo
	v_cmpx_ne_u32_e32 0x7f, v9
	s_cbranch_execz .LBB203_808
; %bb.805:                              ;   in Loop: Header=BB203_547 Depth=1
	v_and_b32_sdwa v5, v85, v47 dst_sel:DWORD dst_unused:UNUSED_PAD src0_sel:WORD_1 src1_sel:DWORD
	v_lshrrev_b32_e32 v7, 3, v9
	s_mov_b32 s27, exec_lo
	v_cmpx_gt_u32_e32 8, v9
; %bb.806:                              ;   in Loop: Header=BB203_547 Depth=1
	v_ffbh_u32_e32 v7, v5
	v_min_u32_e32 v7, 32, v7
	v_subrev_nc_u32_e32 v9, 28, v7
	v_sub_nc_u32_e32 v7, 29, v7
	v_lshlrev_b64 v[21:22], v9, v[5:6]
	v_and_b32_e32 v5, 7, v21
; %bb.807:                              ;   in Loop: Header=BB203_547 Depth=1
	s_or_b32 exec_lo, exec_lo, s27
	v_lshlrev_b32_sdwa v9, v48, v85 dst_sel:DWORD dst_unused:UNUSED_PAD src0_sel:DWORD src1_sel:WORD_1
	v_lshlrev_b32_e32 v5, 20, v5
	v_lshl_add_u32 v7, v7, 23, 0x3c000000
	v_and_b32_e32 v9, 0x80000000, v9
	v_or3_b32 v5, v5, v9, v7
	v_mov_b32_e32 v22, v6
	v_mov_b32_e32 v21, v5
.LBB203_808:                            ;   in Loop: Header=BB203_547 Depth=1
	s_or_b32 exec_lo, exec_lo, s26
.LBB203_809:                            ;   in Loop: Header=BB203_547 Depth=1
	s_or_b32 exec_lo, exec_lo, s22
.LBB203_810:                            ;   in Loop: Header=BB203_547 Depth=1
	s_or_b32 exec_lo, exec_lo, s21
	s_mov_b32 s21, exec_lo
	v_cmpx_lt_u32_e32 0xffffff, v85
	s_cbranch_execz .LBB203_818
; %bb.811:                              ;   in Loop: Header=BB203_547 Depth=1
	v_mov_b32_e32 v7, v6
	v_mov_b32_e32 v24, v8
	v_cmp_ne_u32_sdwa s0, v85, v44 src0_sel:BYTE_3 src1_sel:DWORD
	v_mov_b32_e32 v23, v7
	s_and_saveexec_b32 s22, s0
	s_cbranch_execz .LBB203_817
; %bb.812:                              ;   in Loop: Header=BB203_547 Depth=1
	v_mov_b32_e32 v9, v6
	v_mov_b32_e32 v24, v10
	v_bfe_u32 v86, v85, 24, 7
	s_mov_b32 s26, exec_lo
	v_mov_b32_e32 v23, v9
	v_cmpx_ne_u32_e32 0x7f, v86
	s_cbranch_execz .LBB203_816
; %bb.813:                              ;   in Loop: Header=BB203_547 Depth=1
	v_and_b32_sdwa v5, v85, v47 dst_sel:DWORD dst_unused:UNUSED_PAD src0_sel:BYTE_3 src1_sel:DWORD
	v_lshrrev_b32_e32 v7, 3, v86
	s_mov_b32 s27, exec_lo
	v_cmpx_gt_u32_e32 8, v86
; %bb.814:                              ;   in Loop: Header=BB203_547 Depth=1
	v_ffbh_u32_e32 v7, v5
	v_min_u32_e32 v7, 32, v7
	v_subrev_nc_u32_e32 v9, 28, v7
	v_sub_nc_u32_e32 v7, 29, v7
	v_lshlrev_b64 v[23:24], v9, v[5:6]
	v_and_b32_e32 v5, 7, v23
; %bb.815:                              ;   in Loop: Header=BB203_547 Depth=1
	s_or_b32 exec_lo, exec_lo, s27
	v_lshlrev_b32_sdwa v9, v48, v85 dst_sel:DWORD dst_unused:UNUSED_PAD src0_sel:DWORD src1_sel:BYTE_3
	v_lshlrev_b32_e32 v5, 20, v5
	v_lshl_add_u32 v7, v7, 23, 0x3c000000
	v_mov_b32_e32 v23, v6
	v_and_b32_e32 v9, 0x80000000, v9
	v_or3_b32 v24, v5, v9, v7
.LBB203_816:                            ;   in Loop: Header=BB203_547 Depth=1
	s_or_b32 exec_lo, exec_lo, s26
.LBB203_817:                            ;   in Loop: Header=BB203_547 Depth=1
	s_or_b32 exec_lo, exec_lo, s22
.LBB203_818:                            ;   in Loop: Header=BB203_547 Depth=1
	s_or_b32 exec_lo, exec_lo, s21
	v_or_b32_e32 v5, v20, v18
	v_or_b32_e32 v7, v19, v17
	;; [unrolled: 1-line block ×4, first 2 shown]
	v_mul_f32_e32 v87, s18, v5
	v_mul_f32_e32 v88, s17, v7
	v_mul_f32_e32 v86, s17, v9
	v_mul_f32_e32 v85, s18, v17
	s_and_saveexec_b32 s21, vcc_lo
	s_cbranch_execz .LBB203_820
; %bb.819:                              ;   in Loop: Header=BB203_547 Depth=1
	v_cmp_gt_i32_e64 s0, s33, v57
	v_cndmask_b32_e64 v88, 0, v88, s0
	v_cmp_gt_i32_e64 s0, s33, v60
	v_cndmask_b32_e64 v87, 0, v87, s0
	;; [unrolled: 2-line block ×4, first 2 shown]
.LBB203_820:                            ;   in Loop: Header=BB203_547 Depth=1
	s_or_b32 exec_lo, exec_lo, s21
	global_load_dword v89, v[15:16], off offset:1024
	v_mov_b32_e32 v19, 0
	v_mov_b32_e32 v17, 0
	;; [unrolled: 1-line block ×4, first 2 shown]
	s_waitcnt vmcnt(0)
	v_cmp_ne_u16_sdwa s0, v89, v6 src0_sel:BYTE_0 src1_sel:DWORD
	s_and_saveexec_b32 s21, s0
	s_cbranch_execz .LBB203_828
; %bb.821:                              ;   in Loop: Header=BB203_547 Depth=1
	v_bfrev_b32_e32 v17, 1
	v_mov_b32_e32 v18, 0
	v_cmp_ne_u16_sdwa s0, v89, v44 src0_sel:BYTE_0 src1_sel:DWORD
	s_and_saveexec_b32 s22, s0
	s_cbranch_execz .LBB203_827
; %bb.822:                              ;   in Loop: Header=BB203_547 Depth=1
	v_mov_b32_e32 v17, 0x7f800001
	v_and_b32_e32 v9, 0x7f, v89
	v_mov_b32_e32 v18, 0
	s_mov_b32 s26, exec_lo
	v_cmpx_ne_u32_e32 0x7f, v9
	s_cbranch_execz .LBB203_826
; %bb.823:                              ;   in Loop: Header=BB203_547 Depth=1
	v_and_b32_e32 v5, 7, v89
	v_lshrrev_b32_e32 v7, 3, v9
	s_mov_b32 s27, exec_lo
	v_cmpx_gt_u32_e32 8, v9
; %bb.824:                              ;   in Loop: Header=BB203_547 Depth=1
	v_ffbh_u32_e32 v7, v5
	v_min_u32_e32 v7, 32, v7
	v_subrev_nc_u32_e32 v9, 28, v7
	v_sub_nc_u32_e32 v7, 29, v7
	v_lshlrev_b64 v[17:18], v9, v[5:6]
	v_and_b32_e32 v5, 7, v17
; %bb.825:                              ;   in Loop: Header=BB203_547 Depth=1
	s_or_b32 exec_lo, exec_lo, s27
	v_lshlrev_b32_e32 v9, 24, v89
	v_lshlrev_b32_e32 v5, 20, v5
	v_lshl_add_u32 v7, v7, 23, 0x3c000000
	v_and_b32_e32 v9, 0x80000000, v9
	v_or3_b32 v5, v5, v9, v7
	v_mov_b32_e32 v18, v6
	v_mov_b32_e32 v17, v5
.LBB203_826:                            ;   in Loop: Header=BB203_547 Depth=1
	s_or_b32 exec_lo, exec_lo, s26
.LBB203_827:                            ;   in Loop: Header=BB203_547 Depth=1
	s_or_b32 exec_lo, exec_lo, s22
.LBB203_828:                            ;   in Loop: Header=BB203_547 Depth=1
	s_or_b32 exec_lo, exec_lo, s21
	v_cmp_ne_u16_sdwa s0, v89, v6 src0_sel:BYTE_1 src1_sel:DWORD
	s_and_saveexec_b32 s21, s0
	s_cbranch_execz .LBB203_836
; %bb.829:                              ;   in Loop: Header=BB203_547 Depth=1
	v_mov_b32_e32 v7, v6
	v_mov_b32_e32 v20, v8
	v_cmp_ne_u16_sdwa s0, v89, v44 src0_sel:BYTE_1 src1_sel:DWORD
	v_mov_b32_e32 v19, v7
	s_and_saveexec_b32 s22, s0
	s_cbranch_execz .LBB203_835
; %bb.830:                              ;   in Loop: Header=BB203_547 Depth=1
	v_and_b32_sdwa v5, v45, v89 dst_sel:DWORD dst_unused:UNUSED_PAD src0_sel:DWORD src1_sel:BYTE_1
	v_mov_b32_e32 v9, v6
	v_mov_b32_e32 v20, v10
	s_mov_b32 s26, exec_lo
	v_and_b32_e32 v21, 0x7f, v5
	v_mov_b32_e32 v19, v9
	v_cmpx_ne_u32_e32 0x7f, v21
	s_cbranch_execz .LBB203_834
; %bb.831:                              ;   in Loop: Header=BB203_547 Depth=1
	v_and_b32_e32 v5, 7, v5
	v_lshrrev_b32_e32 v7, 3, v21
	s_mov_b32 s27, exec_lo
	v_cmpx_gt_u32_e32 8, v21
; %bb.832:                              ;   in Loop: Header=BB203_547 Depth=1
	v_ffbh_u32_e32 v7, v5
	v_min_u32_e32 v7, 32, v7
	v_subrev_nc_u32_e32 v9, 28, v7
	v_sub_nc_u32_e32 v7, 29, v7
	v_lshlrev_b64 v[19:20], v9, v[5:6]
	v_and_b32_e32 v5, 7, v19
; %bb.833:                              ;   in Loop: Header=BB203_547 Depth=1
	s_or_b32 exec_lo, exec_lo, s27
	v_lshlrev_b32_e32 v9, 16, v89
	v_lshlrev_b32_e32 v5, 20, v5
	v_lshl_add_u32 v7, v7, 23, 0x3c000000
	v_mov_b32_e32 v19, v6
	v_and_b32_e32 v9, 0x80000000, v9
	v_or3_b32 v20, v5, v9, v7
.LBB203_834:                            ;   in Loop: Header=BB203_547 Depth=1
	s_or_b32 exec_lo, exec_lo, s26
.LBB203_835:                            ;   in Loop: Header=BB203_547 Depth=1
	s_or_b32 exec_lo, exec_lo, s22
.LBB203_836:                            ;   in Loop: Header=BB203_547 Depth=1
	s_or_b32 exec_lo, exec_lo, s21
	v_mov_b32_e32 v23, 0
	v_mov_b32_e32 v21, 0
	v_and_b32_sdwa v5, v89, v46 dst_sel:DWORD dst_unused:UNUSED_PAD src0_sel:WORD_1 src1_sel:DWORD
	v_mov_b32_e32 v24, 0
	v_mov_b32_e32 v22, 0
	s_mov_b32 s21, exec_lo
	v_cmpx_ne_u16_e32 0, v5
	s_cbranch_execz .LBB203_844
; %bb.837:                              ;   in Loop: Header=BB203_547 Depth=1
	v_bfrev_b32_e32 v21, 1
	v_mov_b32_e32 v22, 0
	s_mov_b32 s22, exec_lo
	v_cmpx_ne_u16_e32 0x80, v5
	s_cbranch_execz .LBB203_843
; %bb.838:                              ;   in Loop: Header=BB203_547 Depth=1
	v_mov_b32_e32 v21, 0x7f800001
	v_bfe_u32 v9, v89, 16, 7
	v_mov_b32_e32 v22, 0
	s_mov_b32 s26, exec_lo
	v_cmpx_ne_u32_e32 0x7f, v9
	s_cbranch_execz .LBB203_842
; %bb.839:                              ;   in Loop: Header=BB203_547 Depth=1
	v_and_b32_sdwa v5, v89, v47 dst_sel:DWORD dst_unused:UNUSED_PAD src0_sel:WORD_1 src1_sel:DWORD
	v_lshrrev_b32_e32 v7, 3, v9
	s_mov_b32 s27, exec_lo
	v_cmpx_gt_u32_e32 8, v9
; %bb.840:                              ;   in Loop: Header=BB203_547 Depth=1
	v_ffbh_u32_e32 v7, v5
	v_min_u32_e32 v7, 32, v7
	v_subrev_nc_u32_e32 v9, 28, v7
	v_sub_nc_u32_e32 v7, 29, v7
	v_lshlrev_b64 v[21:22], v9, v[5:6]
	v_and_b32_e32 v5, 7, v21
; %bb.841:                              ;   in Loop: Header=BB203_547 Depth=1
	s_or_b32 exec_lo, exec_lo, s27
	v_lshlrev_b32_sdwa v9, v48, v89 dst_sel:DWORD dst_unused:UNUSED_PAD src0_sel:DWORD src1_sel:WORD_1
	v_lshlrev_b32_e32 v5, 20, v5
	v_lshl_add_u32 v7, v7, 23, 0x3c000000
	v_and_b32_e32 v9, 0x80000000, v9
	v_or3_b32 v5, v5, v9, v7
	v_mov_b32_e32 v22, v6
	v_mov_b32_e32 v21, v5
.LBB203_842:                            ;   in Loop: Header=BB203_547 Depth=1
	s_or_b32 exec_lo, exec_lo, s26
.LBB203_843:                            ;   in Loop: Header=BB203_547 Depth=1
	s_or_b32 exec_lo, exec_lo, s22
.LBB203_844:                            ;   in Loop: Header=BB203_547 Depth=1
	s_or_b32 exec_lo, exec_lo, s21
	s_mov_b32 s21, exec_lo
	v_cmpx_lt_u32_e32 0xffffff, v89
	s_cbranch_execz .LBB203_852
; %bb.845:                              ;   in Loop: Header=BB203_547 Depth=1
	v_mov_b32_e32 v7, v6
	v_mov_b32_e32 v24, v8
	v_cmp_ne_u32_sdwa s0, v89, v44 src0_sel:BYTE_3 src1_sel:DWORD
	v_mov_b32_e32 v23, v7
	s_and_saveexec_b32 s22, s0
	s_cbranch_execz .LBB203_851
; %bb.846:                              ;   in Loop: Header=BB203_547 Depth=1
	v_mov_b32_e32 v9, v6
	v_mov_b32_e32 v24, v10
	v_bfe_u32 v90, v89, 24, 7
	s_mov_b32 s26, exec_lo
	v_mov_b32_e32 v23, v9
	v_cmpx_ne_u32_e32 0x7f, v90
	s_cbranch_execz .LBB203_850
; %bb.847:                              ;   in Loop: Header=BB203_547 Depth=1
	v_and_b32_sdwa v5, v89, v47 dst_sel:DWORD dst_unused:UNUSED_PAD src0_sel:BYTE_3 src1_sel:DWORD
	v_lshrrev_b32_e32 v7, 3, v90
	s_mov_b32 s27, exec_lo
	v_cmpx_gt_u32_e32 8, v90
; %bb.848:                              ;   in Loop: Header=BB203_547 Depth=1
	v_ffbh_u32_e32 v7, v5
	v_min_u32_e32 v7, 32, v7
	v_subrev_nc_u32_e32 v9, 28, v7
	v_sub_nc_u32_e32 v7, 29, v7
	v_lshlrev_b64 v[23:24], v9, v[5:6]
	v_and_b32_e32 v5, 7, v23
; %bb.849:                              ;   in Loop: Header=BB203_547 Depth=1
	s_or_b32 exec_lo, exec_lo, s27
	v_lshlrev_b32_sdwa v9, v48, v89 dst_sel:DWORD dst_unused:UNUSED_PAD src0_sel:DWORD src1_sel:BYTE_3
	v_lshlrev_b32_e32 v5, 20, v5
	v_lshl_add_u32 v7, v7, 23, 0x3c000000
	v_mov_b32_e32 v23, v6
	v_and_b32_e32 v9, 0x80000000, v9
	v_or3_b32 v24, v5, v9, v7
.LBB203_850:                            ;   in Loop: Header=BB203_547 Depth=1
	s_or_b32 exec_lo, exec_lo, s26
.LBB203_851:                            ;   in Loop: Header=BB203_547 Depth=1
	s_or_b32 exec_lo, exec_lo, s22
.LBB203_852:                            ;   in Loop: Header=BB203_547 Depth=1
	s_or_b32 exec_lo, exec_lo, s21
	v_or_b32_e32 v5, v20, v18
	v_or_b32_e32 v7, v19, v17
	v_or_b32_e32 v9, v23, v21
	v_or_b32_e32 v17, v24, v22
	v_mul_f32_e32 v91, s18, v5
	v_mul_f32_e32 v92, s17, v7
	;; [unrolled: 1-line block ×4, first 2 shown]
	s_and_saveexec_b32 s21, vcc_lo
	s_cbranch_execz .LBB203_854
; %bb.853:                              ;   in Loop: Header=BB203_547 Depth=1
	v_cmp_gt_i32_e64 s0, s33, v57
	v_cndmask_b32_e64 v92, 0, v92, s0
	v_cmp_gt_i32_e64 s0, s33, v60
	v_cndmask_b32_e64 v91, 0, v91, s0
	;; [unrolled: 2-line block ×4, first 2 shown]
.LBB203_854:                            ;   in Loop: Header=BB203_547 Depth=1
	s_or_b32 exec_lo, exec_lo, s21
	global_load_dword v93, v[15:16], off offset:1152
	v_mov_b32_e32 v19, 0
	v_mov_b32_e32 v17, 0
	;; [unrolled: 1-line block ×4, first 2 shown]
	s_waitcnt vmcnt(0)
	v_cmp_ne_u16_sdwa s0, v93, v6 src0_sel:BYTE_0 src1_sel:DWORD
	s_and_saveexec_b32 s21, s0
	s_cbranch_execz .LBB203_862
; %bb.855:                              ;   in Loop: Header=BB203_547 Depth=1
	v_bfrev_b32_e32 v17, 1
	v_mov_b32_e32 v18, 0
	v_cmp_ne_u16_sdwa s0, v93, v44 src0_sel:BYTE_0 src1_sel:DWORD
	s_and_saveexec_b32 s22, s0
	s_cbranch_execz .LBB203_861
; %bb.856:                              ;   in Loop: Header=BB203_547 Depth=1
	v_mov_b32_e32 v17, 0x7f800001
	v_and_b32_e32 v9, 0x7f, v93
	v_mov_b32_e32 v18, 0
	s_mov_b32 s26, exec_lo
	v_cmpx_ne_u32_e32 0x7f, v9
	s_cbranch_execz .LBB203_860
; %bb.857:                              ;   in Loop: Header=BB203_547 Depth=1
	v_and_b32_e32 v5, 7, v93
	v_lshrrev_b32_e32 v7, 3, v9
	s_mov_b32 s27, exec_lo
	v_cmpx_gt_u32_e32 8, v9
; %bb.858:                              ;   in Loop: Header=BB203_547 Depth=1
	v_ffbh_u32_e32 v7, v5
	v_min_u32_e32 v7, 32, v7
	v_subrev_nc_u32_e32 v9, 28, v7
	v_sub_nc_u32_e32 v7, 29, v7
	v_lshlrev_b64 v[17:18], v9, v[5:6]
	v_and_b32_e32 v5, 7, v17
; %bb.859:                              ;   in Loop: Header=BB203_547 Depth=1
	s_or_b32 exec_lo, exec_lo, s27
	v_lshlrev_b32_e32 v9, 24, v93
	v_lshlrev_b32_e32 v5, 20, v5
	v_lshl_add_u32 v7, v7, 23, 0x3c000000
	v_and_b32_e32 v9, 0x80000000, v9
	v_or3_b32 v5, v5, v9, v7
	v_mov_b32_e32 v18, v6
	v_mov_b32_e32 v17, v5
.LBB203_860:                            ;   in Loop: Header=BB203_547 Depth=1
	s_or_b32 exec_lo, exec_lo, s26
.LBB203_861:                            ;   in Loop: Header=BB203_547 Depth=1
	s_or_b32 exec_lo, exec_lo, s22
.LBB203_862:                            ;   in Loop: Header=BB203_547 Depth=1
	s_or_b32 exec_lo, exec_lo, s21
	v_cmp_ne_u16_sdwa s0, v93, v6 src0_sel:BYTE_1 src1_sel:DWORD
	s_and_saveexec_b32 s21, s0
	s_cbranch_execz .LBB203_870
; %bb.863:                              ;   in Loop: Header=BB203_547 Depth=1
	v_mov_b32_e32 v7, v6
	v_mov_b32_e32 v20, v8
	v_cmp_ne_u16_sdwa s0, v93, v44 src0_sel:BYTE_1 src1_sel:DWORD
	v_mov_b32_e32 v19, v7
	s_and_saveexec_b32 s22, s0
	s_cbranch_execz .LBB203_869
; %bb.864:                              ;   in Loop: Header=BB203_547 Depth=1
	v_and_b32_sdwa v5, v45, v93 dst_sel:DWORD dst_unused:UNUSED_PAD src0_sel:DWORD src1_sel:BYTE_1
	v_mov_b32_e32 v9, v6
	v_mov_b32_e32 v20, v10
	s_mov_b32 s26, exec_lo
	v_and_b32_e32 v21, 0x7f, v5
	v_mov_b32_e32 v19, v9
	v_cmpx_ne_u32_e32 0x7f, v21
	s_cbranch_execz .LBB203_868
; %bb.865:                              ;   in Loop: Header=BB203_547 Depth=1
	v_and_b32_e32 v5, 7, v5
	v_lshrrev_b32_e32 v7, 3, v21
	s_mov_b32 s27, exec_lo
	v_cmpx_gt_u32_e32 8, v21
; %bb.866:                              ;   in Loop: Header=BB203_547 Depth=1
	v_ffbh_u32_e32 v7, v5
	v_min_u32_e32 v7, 32, v7
	v_subrev_nc_u32_e32 v9, 28, v7
	v_sub_nc_u32_e32 v7, 29, v7
	v_lshlrev_b64 v[19:20], v9, v[5:6]
	v_and_b32_e32 v5, 7, v19
; %bb.867:                              ;   in Loop: Header=BB203_547 Depth=1
	s_or_b32 exec_lo, exec_lo, s27
	v_lshlrev_b32_e32 v9, 16, v93
	v_lshlrev_b32_e32 v5, 20, v5
	v_lshl_add_u32 v7, v7, 23, 0x3c000000
	v_mov_b32_e32 v19, v6
	v_and_b32_e32 v9, 0x80000000, v9
	v_or3_b32 v20, v5, v9, v7
.LBB203_868:                            ;   in Loop: Header=BB203_547 Depth=1
	s_or_b32 exec_lo, exec_lo, s26
.LBB203_869:                            ;   in Loop: Header=BB203_547 Depth=1
	s_or_b32 exec_lo, exec_lo, s22
.LBB203_870:                            ;   in Loop: Header=BB203_547 Depth=1
	s_or_b32 exec_lo, exec_lo, s21
	v_mov_b32_e32 v23, 0
	v_mov_b32_e32 v21, 0
	v_and_b32_sdwa v5, v93, v46 dst_sel:DWORD dst_unused:UNUSED_PAD src0_sel:WORD_1 src1_sel:DWORD
	v_mov_b32_e32 v24, 0
	v_mov_b32_e32 v22, 0
	s_mov_b32 s21, exec_lo
	v_cmpx_ne_u16_e32 0, v5
	s_cbranch_execz .LBB203_878
; %bb.871:                              ;   in Loop: Header=BB203_547 Depth=1
	v_bfrev_b32_e32 v21, 1
	v_mov_b32_e32 v22, 0
	s_mov_b32 s22, exec_lo
	v_cmpx_ne_u16_e32 0x80, v5
	s_cbranch_execz .LBB203_877
; %bb.872:                              ;   in Loop: Header=BB203_547 Depth=1
	v_mov_b32_e32 v21, 0x7f800001
	v_bfe_u32 v9, v93, 16, 7
	v_mov_b32_e32 v22, 0
	s_mov_b32 s26, exec_lo
	v_cmpx_ne_u32_e32 0x7f, v9
	s_cbranch_execz .LBB203_876
; %bb.873:                              ;   in Loop: Header=BB203_547 Depth=1
	v_and_b32_sdwa v5, v93, v47 dst_sel:DWORD dst_unused:UNUSED_PAD src0_sel:WORD_1 src1_sel:DWORD
	v_lshrrev_b32_e32 v7, 3, v9
	s_mov_b32 s27, exec_lo
	v_cmpx_gt_u32_e32 8, v9
; %bb.874:                              ;   in Loop: Header=BB203_547 Depth=1
	v_ffbh_u32_e32 v7, v5
	v_min_u32_e32 v7, 32, v7
	v_subrev_nc_u32_e32 v9, 28, v7
	v_sub_nc_u32_e32 v7, 29, v7
	v_lshlrev_b64 v[21:22], v9, v[5:6]
	v_and_b32_e32 v5, 7, v21
; %bb.875:                              ;   in Loop: Header=BB203_547 Depth=1
	s_or_b32 exec_lo, exec_lo, s27
	v_lshlrev_b32_sdwa v9, v48, v93 dst_sel:DWORD dst_unused:UNUSED_PAD src0_sel:DWORD src1_sel:WORD_1
	v_lshlrev_b32_e32 v5, 20, v5
	v_lshl_add_u32 v7, v7, 23, 0x3c000000
	v_and_b32_e32 v9, 0x80000000, v9
	v_or3_b32 v5, v5, v9, v7
	v_mov_b32_e32 v22, v6
	v_mov_b32_e32 v21, v5
.LBB203_876:                            ;   in Loop: Header=BB203_547 Depth=1
	s_or_b32 exec_lo, exec_lo, s26
.LBB203_877:                            ;   in Loop: Header=BB203_547 Depth=1
	s_or_b32 exec_lo, exec_lo, s22
.LBB203_878:                            ;   in Loop: Header=BB203_547 Depth=1
	s_or_b32 exec_lo, exec_lo, s21
	s_mov_b32 s21, exec_lo
	v_cmpx_lt_u32_e32 0xffffff, v93
	s_cbranch_execz .LBB203_886
; %bb.879:                              ;   in Loop: Header=BB203_547 Depth=1
	v_mov_b32_e32 v7, v6
	v_mov_b32_e32 v24, v8
	v_cmp_ne_u32_sdwa s0, v93, v44 src0_sel:BYTE_3 src1_sel:DWORD
	v_mov_b32_e32 v23, v7
	s_and_saveexec_b32 s22, s0
	s_cbranch_execz .LBB203_885
; %bb.880:                              ;   in Loop: Header=BB203_547 Depth=1
	v_mov_b32_e32 v9, v6
	v_mov_b32_e32 v24, v10
	v_bfe_u32 v94, v93, 24, 7
	s_mov_b32 s26, exec_lo
	v_mov_b32_e32 v23, v9
	v_cmpx_ne_u32_e32 0x7f, v94
	s_cbranch_execz .LBB203_884
; %bb.881:                              ;   in Loop: Header=BB203_547 Depth=1
	v_and_b32_sdwa v5, v93, v47 dst_sel:DWORD dst_unused:UNUSED_PAD src0_sel:BYTE_3 src1_sel:DWORD
	v_lshrrev_b32_e32 v7, 3, v94
	s_mov_b32 s27, exec_lo
	v_cmpx_gt_u32_e32 8, v94
; %bb.882:                              ;   in Loop: Header=BB203_547 Depth=1
	v_ffbh_u32_e32 v7, v5
	v_min_u32_e32 v7, 32, v7
	v_subrev_nc_u32_e32 v9, 28, v7
	v_sub_nc_u32_e32 v7, 29, v7
	v_lshlrev_b64 v[23:24], v9, v[5:6]
	v_and_b32_e32 v5, 7, v23
; %bb.883:                              ;   in Loop: Header=BB203_547 Depth=1
	s_or_b32 exec_lo, exec_lo, s27
	v_lshlrev_b32_sdwa v9, v48, v93 dst_sel:DWORD dst_unused:UNUSED_PAD src0_sel:DWORD src1_sel:BYTE_3
	v_lshlrev_b32_e32 v5, 20, v5
	v_lshl_add_u32 v7, v7, 23, 0x3c000000
	v_mov_b32_e32 v23, v6
	v_and_b32_e32 v9, 0x80000000, v9
	v_or3_b32 v24, v5, v9, v7
.LBB203_884:                            ;   in Loop: Header=BB203_547 Depth=1
	s_or_b32 exec_lo, exec_lo, s26
.LBB203_885:                            ;   in Loop: Header=BB203_547 Depth=1
	s_or_b32 exec_lo, exec_lo, s22
.LBB203_886:                            ;   in Loop: Header=BB203_547 Depth=1
	s_or_b32 exec_lo, exec_lo, s21
	v_or_b32_e32 v5, v20, v18
	v_or_b32_e32 v7, v19, v17
	;; [unrolled: 1-line block ×4, first 2 shown]
	v_mul_f32_e32 v95, s18, v5
	v_mul_f32_e32 v96, s17, v7
	;; [unrolled: 1-line block ×4, first 2 shown]
	s_and_saveexec_b32 s21, vcc_lo
	s_cbranch_execz .LBB203_888
; %bb.887:                              ;   in Loop: Header=BB203_547 Depth=1
	v_cmp_gt_i32_e64 s0, s33, v57
	v_cndmask_b32_e64 v96, 0, v96, s0
	v_cmp_gt_i32_e64 s0, s33, v60
	v_cndmask_b32_e64 v95, 0, v95, s0
	;; [unrolled: 2-line block ×4, first 2 shown]
.LBB203_888:                            ;   in Loop: Header=BB203_547 Depth=1
	s_or_b32 exec_lo, exec_lo, s21
	global_load_dword v97, v[15:16], off offset:1280
	v_mov_b32_e32 v19, 0
	v_mov_b32_e32 v17, 0
	;; [unrolled: 1-line block ×4, first 2 shown]
	s_waitcnt vmcnt(0)
	v_cmp_ne_u16_sdwa s0, v97, v6 src0_sel:BYTE_0 src1_sel:DWORD
	s_and_saveexec_b32 s21, s0
	s_cbranch_execz .LBB203_896
; %bb.889:                              ;   in Loop: Header=BB203_547 Depth=1
	v_bfrev_b32_e32 v17, 1
	v_mov_b32_e32 v18, 0
	v_cmp_ne_u16_sdwa s0, v97, v44 src0_sel:BYTE_0 src1_sel:DWORD
	s_and_saveexec_b32 s22, s0
	s_cbranch_execz .LBB203_895
; %bb.890:                              ;   in Loop: Header=BB203_547 Depth=1
	v_mov_b32_e32 v17, 0x7f800001
	v_and_b32_e32 v9, 0x7f, v97
	v_mov_b32_e32 v18, 0
	s_mov_b32 s26, exec_lo
	v_cmpx_ne_u32_e32 0x7f, v9
	s_cbranch_execz .LBB203_894
; %bb.891:                              ;   in Loop: Header=BB203_547 Depth=1
	v_and_b32_e32 v5, 7, v97
	v_lshrrev_b32_e32 v7, 3, v9
	s_mov_b32 s27, exec_lo
	v_cmpx_gt_u32_e32 8, v9
; %bb.892:                              ;   in Loop: Header=BB203_547 Depth=1
	v_ffbh_u32_e32 v7, v5
	v_min_u32_e32 v7, 32, v7
	v_subrev_nc_u32_e32 v9, 28, v7
	v_sub_nc_u32_e32 v7, 29, v7
	v_lshlrev_b64 v[17:18], v9, v[5:6]
	v_and_b32_e32 v5, 7, v17
; %bb.893:                              ;   in Loop: Header=BB203_547 Depth=1
	s_or_b32 exec_lo, exec_lo, s27
	v_lshlrev_b32_e32 v9, 24, v97
	v_lshlrev_b32_e32 v5, 20, v5
	v_lshl_add_u32 v7, v7, 23, 0x3c000000
	v_and_b32_e32 v9, 0x80000000, v9
	v_or3_b32 v5, v5, v9, v7
	v_mov_b32_e32 v18, v6
	v_mov_b32_e32 v17, v5
.LBB203_894:                            ;   in Loop: Header=BB203_547 Depth=1
	s_or_b32 exec_lo, exec_lo, s26
.LBB203_895:                            ;   in Loop: Header=BB203_547 Depth=1
	s_or_b32 exec_lo, exec_lo, s22
.LBB203_896:                            ;   in Loop: Header=BB203_547 Depth=1
	s_or_b32 exec_lo, exec_lo, s21
	v_cmp_ne_u16_sdwa s0, v97, v6 src0_sel:BYTE_1 src1_sel:DWORD
	s_and_saveexec_b32 s21, s0
	s_cbranch_execz .LBB203_904
; %bb.897:                              ;   in Loop: Header=BB203_547 Depth=1
	v_mov_b32_e32 v7, v6
	v_mov_b32_e32 v20, v8
	v_cmp_ne_u16_sdwa s0, v97, v44 src0_sel:BYTE_1 src1_sel:DWORD
	v_mov_b32_e32 v19, v7
	s_and_saveexec_b32 s22, s0
	s_cbranch_execz .LBB203_903
; %bb.898:                              ;   in Loop: Header=BB203_547 Depth=1
	v_and_b32_sdwa v5, v45, v97 dst_sel:DWORD dst_unused:UNUSED_PAD src0_sel:DWORD src1_sel:BYTE_1
	v_mov_b32_e32 v9, v6
	v_mov_b32_e32 v20, v10
	s_mov_b32 s26, exec_lo
	v_and_b32_e32 v21, 0x7f, v5
	v_mov_b32_e32 v19, v9
	v_cmpx_ne_u32_e32 0x7f, v21
	s_cbranch_execz .LBB203_902
; %bb.899:                              ;   in Loop: Header=BB203_547 Depth=1
	v_and_b32_e32 v5, 7, v5
	v_lshrrev_b32_e32 v7, 3, v21
	s_mov_b32 s27, exec_lo
	v_cmpx_gt_u32_e32 8, v21
; %bb.900:                              ;   in Loop: Header=BB203_547 Depth=1
	v_ffbh_u32_e32 v7, v5
	v_min_u32_e32 v7, 32, v7
	v_subrev_nc_u32_e32 v9, 28, v7
	v_sub_nc_u32_e32 v7, 29, v7
	v_lshlrev_b64 v[19:20], v9, v[5:6]
	v_and_b32_e32 v5, 7, v19
; %bb.901:                              ;   in Loop: Header=BB203_547 Depth=1
	s_or_b32 exec_lo, exec_lo, s27
	v_lshlrev_b32_e32 v9, 16, v97
	v_lshlrev_b32_e32 v5, 20, v5
	v_lshl_add_u32 v7, v7, 23, 0x3c000000
	v_mov_b32_e32 v19, v6
	v_and_b32_e32 v9, 0x80000000, v9
	v_or3_b32 v20, v5, v9, v7
.LBB203_902:                            ;   in Loop: Header=BB203_547 Depth=1
	s_or_b32 exec_lo, exec_lo, s26
.LBB203_903:                            ;   in Loop: Header=BB203_547 Depth=1
	s_or_b32 exec_lo, exec_lo, s22
.LBB203_904:                            ;   in Loop: Header=BB203_547 Depth=1
	s_or_b32 exec_lo, exec_lo, s21
	v_mov_b32_e32 v23, 0
	v_mov_b32_e32 v21, 0
	v_and_b32_sdwa v5, v97, v46 dst_sel:DWORD dst_unused:UNUSED_PAD src0_sel:WORD_1 src1_sel:DWORD
	v_mov_b32_e32 v24, 0
	v_mov_b32_e32 v22, 0
	s_mov_b32 s21, exec_lo
	v_cmpx_ne_u16_e32 0, v5
	s_cbranch_execz .LBB203_912
; %bb.905:                              ;   in Loop: Header=BB203_547 Depth=1
	v_bfrev_b32_e32 v21, 1
	v_mov_b32_e32 v22, 0
	s_mov_b32 s22, exec_lo
	v_cmpx_ne_u16_e32 0x80, v5
	s_cbranch_execz .LBB203_911
; %bb.906:                              ;   in Loop: Header=BB203_547 Depth=1
	v_mov_b32_e32 v21, 0x7f800001
	v_bfe_u32 v9, v97, 16, 7
	v_mov_b32_e32 v22, 0
	s_mov_b32 s26, exec_lo
	v_cmpx_ne_u32_e32 0x7f, v9
	s_cbranch_execz .LBB203_910
; %bb.907:                              ;   in Loop: Header=BB203_547 Depth=1
	v_and_b32_sdwa v5, v97, v47 dst_sel:DWORD dst_unused:UNUSED_PAD src0_sel:WORD_1 src1_sel:DWORD
	v_lshrrev_b32_e32 v7, 3, v9
	s_mov_b32 s27, exec_lo
	v_cmpx_gt_u32_e32 8, v9
; %bb.908:                              ;   in Loop: Header=BB203_547 Depth=1
	v_ffbh_u32_e32 v7, v5
	v_min_u32_e32 v7, 32, v7
	v_subrev_nc_u32_e32 v9, 28, v7
	v_sub_nc_u32_e32 v7, 29, v7
	v_lshlrev_b64 v[21:22], v9, v[5:6]
	v_and_b32_e32 v5, 7, v21
; %bb.909:                              ;   in Loop: Header=BB203_547 Depth=1
	s_or_b32 exec_lo, exec_lo, s27
	v_lshlrev_b32_sdwa v9, v48, v97 dst_sel:DWORD dst_unused:UNUSED_PAD src0_sel:DWORD src1_sel:WORD_1
	v_lshlrev_b32_e32 v5, 20, v5
	v_lshl_add_u32 v7, v7, 23, 0x3c000000
	v_and_b32_e32 v9, 0x80000000, v9
	v_or3_b32 v5, v5, v9, v7
	v_mov_b32_e32 v22, v6
	v_mov_b32_e32 v21, v5
.LBB203_910:                            ;   in Loop: Header=BB203_547 Depth=1
	s_or_b32 exec_lo, exec_lo, s26
.LBB203_911:                            ;   in Loop: Header=BB203_547 Depth=1
	s_or_b32 exec_lo, exec_lo, s22
.LBB203_912:                            ;   in Loop: Header=BB203_547 Depth=1
	s_or_b32 exec_lo, exec_lo, s21
	s_mov_b32 s21, exec_lo
	v_cmpx_lt_u32_e32 0xffffff, v97
	s_cbranch_execz .LBB203_920
; %bb.913:                              ;   in Loop: Header=BB203_547 Depth=1
	v_mov_b32_e32 v7, v6
	v_mov_b32_e32 v24, v8
	v_cmp_ne_u32_sdwa s0, v97, v44 src0_sel:BYTE_3 src1_sel:DWORD
	v_mov_b32_e32 v23, v7
	s_and_saveexec_b32 s22, s0
	s_cbranch_execz .LBB203_919
; %bb.914:                              ;   in Loop: Header=BB203_547 Depth=1
	v_mov_b32_e32 v9, v6
	v_mov_b32_e32 v24, v10
	v_bfe_u32 v98, v97, 24, 7
	s_mov_b32 s26, exec_lo
	v_mov_b32_e32 v23, v9
	v_cmpx_ne_u32_e32 0x7f, v98
	s_cbranch_execz .LBB203_918
; %bb.915:                              ;   in Loop: Header=BB203_547 Depth=1
	v_and_b32_sdwa v5, v97, v47 dst_sel:DWORD dst_unused:UNUSED_PAD src0_sel:BYTE_3 src1_sel:DWORD
	v_lshrrev_b32_e32 v7, 3, v98
	s_mov_b32 s27, exec_lo
	v_cmpx_gt_u32_e32 8, v98
; %bb.916:                              ;   in Loop: Header=BB203_547 Depth=1
	v_ffbh_u32_e32 v7, v5
	v_min_u32_e32 v7, 32, v7
	v_subrev_nc_u32_e32 v9, 28, v7
	v_sub_nc_u32_e32 v7, 29, v7
	v_lshlrev_b64 v[23:24], v9, v[5:6]
	v_and_b32_e32 v5, 7, v23
; %bb.917:                              ;   in Loop: Header=BB203_547 Depth=1
	s_or_b32 exec_lo, exec_lo, s27
	v_lshlrev_b32_sdwa v9, v48, v97 dst_sel:DWORD dst_unused:UNUSED_PAD src0_sel:DWORD src1_sel:BYTE_3
	v_lshlrev_b32_e32 v5, 20, v5
	v_lshl_add_u32 v7, v7, 23, 0x3c000000
	v_mov_b32_e32 v23, v6
	v_and_b32_e32 v9, 0x80000000, v9
	v_or3_b32 v24, v5, v9, v7
.LBB203_918:                            ;   in Loop: Header=BB203_547 Depth=1
	s_or_b32 exec_lo, exec_lo, s26
.LBB203_919:                            ;   in Loop: Header=BB203_547 Depth=1
	s_or_b32 exec_lo, exec_lo, s22
.LBB203_920:                            ;   in Loop: Header=BB203_547 Depth=1
	s_or_b32 exec_lo, exec_lo, s21
	v_or_b32_e32 v5, v20, v18
	v_or_b32_e32 v7, v19, v17
	;; [unrolled: 1-line block ×4, first 2 shown]
	v_mul_f32_e32 v99, s18, v5
	v_mul_f32_e32 v100, s17, v7
	;; [unrolled: 1-line block ×4, first 2 shown]
	s_and_saveexec_b32 s21, vcc_lo
	s_cbranch_execz .LBB203_922
; %bb.921:                              ;   in Loop: Header=BB203_547 Depth=1
	v_cmp_gt_i32_e64 s0, s33, v57
	v_cndmask_b32_e64 v100, 0, v100, s0
	v_cmp_gt_i32_e64 s0, s33, v60
	v_cndmask_b32_e64 v99, 0, v99, s0
	;; [unrolled: 2-line block ×4, first 2 shown]
.LBB203_922:                            ;   in Loop: Header=BB203_547 Depth=1
	s_or_b32 exec_lo, exec_lo, s21
	global_load_dword v101, v[15:16], off offset:1408
	v_mov_b32_e32 v19, 0
	v_mov_b32_e32 v17, 0
	v_mov_b32_e32 v20, 0
	v_mov_b32_e32 v18, 0
	s_waitcnt vmcnt(0)
	v_cmp_ne_u16_sdwa s0, v101, v6 src0_sel:BYTE_0 src1_sel:DWORD
	s_and_saveexec_b32 s21, s0
	s_cbranch_execz .LBB203_930
; %bb.923:                              ;   in Loop: Header=BB203_547 Depth=1
	v_bfrev_b32_e32 v17, 1
	v_mov_b32_e32 v18, 0
	v_cmp_ne_u16_sdwa s0, v101, v44 src0_sel:BYTE_0 src1_sel:DWORD
	s_and_saveexec_b32 s22, s0
	s_cbranch_execz .LBB203_929
; %bb.924:                              ;   in Loop: Header=BB203_547 Depth=1
	v_mov_b32_e32 v17, 0x7f800001
	v_and_b32_e32 v9, 0x7f, v101
	v_mov_b32_e32 v18, 0
	s_mov_b32 s26, exec_lo
	v_cmpx_ne_u32_e32 0x7f, v9
	s_cbranch_execz .LBB203_928
; %bb.925:                              ;   in Loop: Header=BB203_547 Depth=1
	v_and_b32_e32 v5, 7, v101
	v_lshrrev_b32_e32 v7, 3, v9
	s_mov_b32 s27, exec_lo
	v_cmpx_gt_u32_e32 8, v9
; %bb.926:                              ;   in Loop: Header=BB203_547 Depth=1
	v_ffbh_u32_e32 v7, v5
	v_min_u32_e32 v7, 32, v7
	v_subrev_nc_u32_e32 v9, 28, v7
	v_sub_nc_u32_e32 v7, 29, v7
	v_lshlrev_b64 v[17:18], v9, v[5:6]
	v_and_b32_e32 v5, 7, v17
; %bb.927:                              ;   in Loop: Header=BB203_547 Depth=1
	s_or_b32 exec_lo, exec_lo, s27
	v_lshlrev_b32_e32 v9, 24, v101
	v_lshlrev_b32_e32 v5, 20, v5
	v_lshl_add_u32 v7, v7, 23, 0x3c000000
	v_and_b32_e32 v9, 0x80000000, v9
	v_or3_b32 v5, v5, v9, v7
	v_mov_b32_e32 v18, v6
	v_mov_b32_e32 v17, v5
.LBB203_928:                            ;   in Loop: Header=BB203_547 Depth=1
	s_or_b32 exec_lo, exec_lo, s26
.LBB203_929:                            ;   in Loop: Header=BB203_547 Depth=1
	s_or_b32 exec_lo, exec_lo, s22
.LBB203_930:                            ;   in Loop: Header=BB203_547 Depth=1
	s_or_b32 exec_lo, exec_lo, s21
	v_cmp_ne_u16_sdwa s0, v101, v6 src0_sel:BYTE_1 src1_sel:DWORD
	s_and_saveexec_b32 s21, s0
	s_cbranch_execz .LBB203_938
; %bb.931:                              ;   in Loop: Header=BB203_547 Depth=1
	v_mov_b32_e32 v7, v6
	v_mov_b32_e32 v20, v8
	v_cmp_ne_u16_sdwa s0, v101, v44 src0_sel:BYTE_1 src1_sel:DWORD
	v_mov_b32_e32 v19, v7
	s_and_saveexec_b32 s22, s0
	s_cbranch_execz .LBB203_937
; %bb.932:                              ;   in Loop: Header=BB203_547 Depth=1
	v_and_b32_sdwa v5, v45, v101 dst_sel:DWORD dst_unused:UNUSED_PAD src0_sel:DWORD src1_sel:BYTE_1
	v_mov_b32_e32 v9, v6
	v_mov_b32_e32 v20, v10
	s_mov_b32 s26, exec_lo
	v_and_b32_e32 v21, 0x7f, v5
	v_mov_b32_e32 v19, v9
	v_cmpx_ne_u32_e32 0x7f, v21
	s_cbranch_execz .LBB203_936
; %bb.933:                              ;   in Loop: Header=BB203_547 Depth=1
	v_and_b32_e32 v5, 7, v5
	v_lshrrev_b32_e32 v7, 3, v21
	s_mov_b32 s27, exec_lo
	v_cmpx_gt_u32_e32 8, v21
; %bb.934:                              ;   in Loop: Header=BB203_547 Depth=1
	v_ffbh_u32_e32 v7, v5
	v_min_u32_e32 v7, 32, v7
	v_subrev_nc_u32_e32 v9, 28, v7
	v_sub_nc_u32_e32 v7, 29, v7
	v_lshlrev_b64 v[19:20], v9, v[5:6]
	v_and_b32_e32 v5, 7, v19
; %bb.935:                              ;   in Loop: Header=BB203_547 Depth=1
	s_or_b32 exec_lo, exec_lo, s27
	v_lshlrev_b32_e32 v9, 16, v101
	v_lshlrev_b32_e32 v5, 20, v5
	v_lshl_add_u32 v7, v7, 23, 0x3c000000
	v_mov_b32_e32 v19, v6
	v_and_b32_e32 v9, 0x80000000, v9
	v_or3_b32 v20, v5, v9, v7
.LBB203_936:                            ;   in Loop: Header=BB203_547 Depth=1
	s_or_b32 exec_lo, exec_lo, s26
.LBB203_937:                            ;   in Loop: Header=BB203_547 Depth=1
	s_or_b32 exec_lo, exec_lo, s22
.LBB203_938:                            ;   in Loop: Header=BB203_547 Depth=1
	s_or_b32 exec_lo, exec_lo, s21
	v_mov_b32_e32 v23, 0
	v_mov_b32_e32 v21, 0
	v_and_b32_sdwa v5, v101, v46 dst_sel:DWORD dst_unused:UNUSED_PAD src0_sel:WORD_1 src1_sel:DWORD
	v_mov_b32_e32 v24, 0
	v_mov_b32_e32 v22, 0
	s_mov_b32 s21, exec_lo
	v_cmpx_ne_u16_e32 0, v5
	s_cbranch_execz .LBB203_946
; %bb.939:                              ;   in Loop: Header=BB203_547 Depth=1
	v_bfrev_b32_e32 v21, 1
	v_mov_b32_e32 v22, 0
	s_mov_b32 s22, exec_lo
	v_cmpx_ne_u16_e32 0x80, v5
	s_cbranch_execz .LBB203_945
; %bb.940:                              ;   in Loop: Header=BB203_547 Depth=1
	v_mov_b32_e32 v21, 0x7f800001
	v_bfe_u32 v9, v101, 16, 7
	v_mov_b32_e32 v22, 0
	s_mov_b32 s26, exec_lo
	v_cmpx_ne_u32_e32 0x7f, v9
	s_cbranch_execz .LBB203_944
; %bb.941:                              ;   in Loop: Header=BB203_547 Depth=1
	v_and_b32_sdwa v5, v101, v47 dst_sel:DWORD dst_unused:UNUSED_PAD src0_sel:WORD_1 src1_sel:DWORD
	v_lshrrev_b32_e32 v7, 3, v9
	s_mov_b32 s27, exec_lo
	v_cmpx_gt_u32_e32 8, v9
; %bb.942:                              ;   in Loop: Header=BB203_547 Depth=1
	v_ffbh_u32_e32 v7, v5
	v_min_u32_e32 v7, 32, v7
	v_subrev_nc_u32_e32 v9, 28, v7
	v_sub_nc_u32_e32 v7, 29, v7
	v_lshlrev_b64 v[21:22], v9, v[5:6]
	v_and_b32_e32 v5, 7, v21
; %bb.943:                              ;   in Loop: Header=BB203_547 Depth=1
	s_or_b32 exec_lo, exec_lo, s27
	v_lshlrev_b32_sdwa v9, v48, v101 dst_sel:DWORD dst_unused:UNUSED_PAD src0_sel:DWORD src1_sel:WORD_1
	v_lshlrev_b32_e32 v5, 20, v5
	v_lshl_add_u32 v7, v7, 23, 0x3c000000
	v_and_b32_e32 v9, 0x80000000, v9
	v_or3_b32 v5, v5, v9, v7
	v_mov_b32_e32 v22, v6
	v_mov_b32_e32 v21, v5
.LBB203_944:                            ;   in Loop: Header=BB203_547 Depth=1
	s_or_b32 exec_lo, exec_lo, s26
.LBB203_945:                            ;   in Loop: Header=BB203_547 Depth=1
	s_or_b32 exec_lo, exec_lo, s22
.LBB203_946:                            ;   in Loop: Header=BB203_547 Depth=1
	s_or_b32 exec_lo, exec_lo, s21
	s_mov_b32 s21, exec_lo
	v_cmpx_lt_u32_e32 0xffffff, v101
	s_cbranch_execz .LBB203_954
; %bb.947:                              ;   in Loop: Header=BB203_547 Depth=1
	v_mov_b32_e32 v7, v6
	v_mov_b32_e32 v24, v8
	v_cmp_ne_u32_sdwa s0, v101, v44 src0_sel:BYTE_3 src1_sel:DWORD
	v_mov_b32_e32 v23, v7
	s_and_saveexec_b32 s22, s0
	s_cbranch_execz .LBB203_953
; %bb.948:                              ;   in Loop: Header=BB203_547 Depth=1
	v_mov_b32_e32 v9, v6
	v_mov_b32_e32 v24, v10
	v_bfe_u32 v102, v101, 24, 7
	s_mov_b32 s26, exec_lo
	v_mov_b32_e32 v23, v9
	v_cmpx_ne_u32_e32 0x7f, v102
	s_cbranch_execz .LBB203_952
; %bb.949:                              ;   in Loop: Header=BB203_547 Depth=1
	v_and_b32_sdwa v5, v101, v47 dst_sel:DWORD dst_unused:UNUSED_PAD src0_sel:BYTE_3 src1_sel:DWORD
	v_lshrrev_b32_e32 v7, 3, v102
	s_mov_b32 s27, exec_lo
	v_cmpx_gt_u32_e32 8, v102
; %bb.950:                              ;   in Loop: Header=BB203_547 Depth=1
	v_ffbh_u32_e32 v7, v5
	v_min_u32_e32 v7, 32, v7
	v_subrev_nc_u32_e32 v9, 28, v7
	v_sub_nc_u32_e32 v7, 29, v7
	v_lshlrev_b64 v[23:24], v9, v[5:6]
	v_and_b32_e32 v5, 7, v23
; %bb.951:                              ;   in Loop: Header=BB203_547 Depth=1
	s_or_b32 exec_lo, exec_lo, s27
	v_lshlrev_b32_sdwa v9, v48, v101 dst_sel:DWORD dst_unused:UNUSED_PAD src0_sel:DWORD src1_sel:BYTE_3
	v_lshlrev_b32_e32 v5, 20, v5
	v_lshl_add_u32 v7, v7, 23, 0x3c000000
	v_mov_b32_e32 v23, v6
	v_and_b32_e32 v9, 0x80000000, v9
	v_or3_b32 v24, v5, v9, v7
.LBB203_952:                            ;   in Loop: Header=BB203_547 Depth=1
	s_or_b32 exec_lo, exec_lo, s26
.LBB203_953:                            ;   in Loop: Header=BB203_547 Depth=1
	s_or_b32 exec_lo, exec_lo, s22
.LBB203_954:                            ;   in Loop: Header=BB203_547 Depth=1
	s_or_b32 exec_lo, exec_lo, s21
	v_or_b32_e32 v5, v20, v18
	v_or_b32_e32 v7, v19, v17
	;; [unrolled: 1-line block ×4, first 2 shown]
	v_mul_f32_e32 v103, s18, v5
	v_mul_f32_e32 v104, s17, v7
	;; [unrolled: 1-line block ×4, first 2 shown]
	s_and_saveexec_b32 s21, vcc_lo
	s_cbranch_execz .LBB203_956
; %bb.955:                              ;   in Loop: Header=BB203_547 Depth=1
	v_cmp_gt_i32_e64 s0, s33, v57
	v_cndmask_b32_e64 v104, 0, v104, s0
	v_cmp_gt_i32_e64 s0, s33, v60
	v_cndmask_b32_e64 v103, 0, v103, s0
	;; [unrolled: 2-line block ×4, first 2 shown]
.LBB203_956:                            ;   in Loop: Header=BB203_547 Depth=1
	s_or_b32 exec_lo, exec_lo, s21
	global_load_dword v105, v[15:16], off offset:1536
	v_mov_b32_e32 v19, 0
	v_mov_b32_e32 v17, 0
	;; [unrolled: 1-line block ×4, first 2 shown]
	s_waitcnt vmcnt(0)
	v_cmp_ne_u16_sdwa s0, v105, v6 src0_sel:BYTE_0 src1_sel:DWORD
	s_and_saveexec_b32 s21, s0
	s_cbranch_execz .LBB203_964
; %bb.957:                              ;   in Loop: Header=BB203_547 Depth=1
	v_bfrev_b32_e32 v17, 1
	v_mov_b32_e32 v18, 0
	v_cmp_ne_u16_sdwa s0, v105, v44 src0_sel:BYTE_0 src1_sel:DWORD
	s_and_saveexec_b32 s22, s0
	s_cbranch_execz .LBB203_963
; %bb.958:                              ;   in Loop: Header=BB203_547 Depth=1
	v_mov_b32_e32 v17, 0x7f800001
	v_and_b32_e32 v9, 0x7f, v105
	v_mov_b32_e32 v18, 0
	s_mov_b32 s26, exec_lo
	v_cmpx_ne_u32_e32 0x7f, v9
	s_cbranch_execz .LBB203_962
; %bb.959:                              ;   in Loop: Header=BB203_547 Depth=1
	v_and_b32_e32 v5, 7, v105
	v_lshrrev_b32_e32 v7, 3, v9
	s_mov_b32 s27, exec_lo
	v_cmpx_gt_u32_e32 8, v9
; %bb.960:                              ;   in Loop: Header=BB203_547 Depth=1
	v_ffbh_u32_e32 v7, v5
	v_min_u32_e32 v7, 32, v7
	v_subrev_nc_u32_e32 v9, 28, v7
	v_sub_nc_u32_e32 v7, 29, v7
	v_lshlrev_b64 v[17:18], v9, v[5:6]
	v_and_b32_e32 v5, 7, v17
; %bb.961:                              ;   in Loop: Header=BB203_547 Depth=1
	s_or_b32 exec_lo, exec_lo, s27
	v_lshlrev_b32_e32 v9, 24, v105
	v_lshlrev_b32_e32 v5, 20, v5
	v_lshl_add_u32 v7, v7, 23, 0x3c000000
	v_and_b32_e32 v9, 0x80000000, v9
	v_or3_b32 v5, v5, v9, v7
	v_mov_b32_e32 v18, v6
	v_mov_b32_e32 v17, v5
.LBB203_962:                            ;   in Loop: Header=BB203_547 Depth=1
	s_or_b32 exec_lo, exec_lo, s26
.LBB203_963:                            ;   in Loop: Header=BB203_547 Depth=1
	s_or_b32 exec_lo, exec_lo, s22
.LBB203_964:                            ;   in Loop: Header=BB203_547 Depth=1
	s_or_b32 exec_lo, exec_lo, s21
	v_cmp_ne_u16_sdwa s0, v105, v6 src0_sel:BYTE_1 src1_sel:DWORD
	s_and_saveexec_b32 s21, s0
	s_cbranch_execz .LBB203_972
; %bb.965:                              ;   in Loop: Header=BB203_547 Depth=1
	v_mov_b32_e32 v7, v6
	v_mov_b32_e32 v20, v8
	v_cmp_ne_u16_sdwa s0, v105, v44 src0_sel:BYTE_1 src1_sel:DWORD
	v_mov_b32_e32 v19, v7
	s_and_saveexec_b32 s22, s0
	s_cbranch_execz .LBB203_971
; %bb.966:                              ;   in Loop: Header=BB203_547 Depth=1
	v_and_b32_sdwa v5, v45, v105 dst_sel:DWORD dst_unused:UNUSED_PAD src0_sel:DWORD src1_sel:BYTE_1
	v_mov_b32_e32 v9, v6
	v_mov_b32_e32 v20, v10
	s_mov_b32 s26, exec_lo
	v_and_b32_e32 v21, 0x7f, v5
	v_mov_b32_e32 v19, v9
	v_cmpx_ne_u32_e32 0x7f, v21
	s_cbranch_execz .LBB203_970
; %bb.967:                              ;   in Loop: Header=BB203_547 Depth=1
	v_and_b32_e32 v5, 7, v5
	v_lshrrev_b32_e32 v7, 3, v21
	s_mov_b32 s27, exec_lo
	v_cmpx_gt_u32_e32 8, v21
; %bb.968:                              ;   in Loop: Header=BB203_547 Depth=1
	v_ffbh_u32_e32 v7, v5
	v_min_u32_e32 v7, 32, v7
	v_subrev_nc_u32_e32 v9, 28, v7
	v_sub_nc_u32_e32 v7, 29, v7
	v_lshlrev_b64 v[19:20], v9, v[5:6]
	v_and_b32_e32 v5, 7, v19
; %bb.969:                              ;   in Loop: Header=BB203_547 Depth=1
	s_or_b32 exec_lo, exec_lo, s27
	v_lshlrev_b32_e32 v9, 16, v105
	v_lshlrev_b32_e32 v5, 20, v5
	v_lshl_add_u32 v7, v7, 23, 0x3c000000
	v_mov_b32_e32 v19, v6
	v_and_b32_e32 v9, 0x80000000, v9
	v_or3_b32 v20, v5, v9, v7
.LBB203_970:                            ;   in Loop: Header=BB203_547 Depth=1
	s_or_b32 exec_lo, exec_lo, s26
.LBB203_971:                            ;   in Loop: Header=BB203_547 Depth=1
	s_or_b32 exec_lo, exec_lo, s22
.LBB203_972:                            ;   in Loop: Header=BB203_547 Depth=1
	s_or_b32 exec_lo, exec_lo, s21
	v_mov_b32_e32 v23, 0
	v_mov_b32_e32 v21, 0
	v_and_b32_sdwa v5, v105, v46 dst_sel:DWORD dst_unused:UNUSED_PAD src0_sel:WORD_1 src1_sel:DWORD
	v_mov_b32_e32 v24, 0
	v_mov_b32_e32 v22, 0
	s_mov_b32 s21, exec_lo
	v_cmpx_ne_u16_e32 0, v5
	s_cbranch_execz .LBB203_980
; %bb.973:                              ;   in Loop: Header=BB203_547 Depth=1
	v_bfrev_b32_e32 v21, 1
	v_mov_b32_e32 v22, 0
	s_mov_b32 s22, exec_lo
	v_cmpx_ne_u16_e32 0x80, v5
	s_cbranch_execz .LBB203_979
; %bb.974:                              ;   in Loop: Header=BB203_547 Depth=1
	v_mov_b32_e32 v21, 0x7f800001
	v_bfe_u32 v9, v105, 16, 7
	v_mov_b32_e32 v22, 0
	s_mov_b32 s26, exec_lo
	v_cmpx_ne_u32_e32 0x7f, v9
	s_cbranch_execz .LBB203_978
; %bb.975:                              ;   in Loop: Header=BB203_547 Depth=1
	v_and_b32_sdwa v5, v105, v47 dst_sel:DWORD dst_unused:UNUSED_PAD src0_sel:WORD_1 src1_sel:DWORD
	v_lshrrev_b32_e32 v7, 3, v9
	s_mov_b32 s27, exec_lo
	v_cmpx_gt_u32_e32 8, v9
; %bb.976:                              ;   in Loop: Header=BB203_547 Depth=1
	v_ffbh_u32_e32 v7, v5
	v_min_u32_e32 v7, 32, v7
	v_subrev_nc_u32_e32 v9, 28, v7
	v_sub_nc_u32_e32 v7, 29, v7
	v_lshlrev_b64 v[21:22], v9, v[5:6]
	v_and_b32_e32 v5, 7, v21
; %bb.977:                              ;   in Loop: Header=BB203_547 Depth=1
	s_or_b32 exec_lo, exec_lo, s27
	v_lshlrev_b32_sdwa v9, v48, v105 dst_sel:DWORD dst_unused:UNUSED_PAD src0_sel:DWORD src1_sel:WORD_1
	v_lshlrev_b32_e32 v5, 20, v5
	v_lshl_add_u32 v7, v7, 23, 0x3c000000
	v_and_b32_e32 v9, 0x80000000, v9
	v_or3_b32 v5, v5, v9, v7
	v_mov_b32_e32 v22, v6
	v_mov_b32_e32 v21, v5
.LBB203_978:                            ;   in Loop: Header=BB203_547 Depth=1
	s_or_b32 exec_lo, exec_lo, s26
.LBB203_979:                            ;   in Loop: Header=BB203_547 Depth=1
	s_or_b32 exec_lo, exec_lo, s22
.LBB203_980:                            ;   in Loop: Header=BB203_547 Depth=1
	s_or_b32 exec_lo, exec_lo, s21
	s_mov_b32 s21, exec_lo
	v_cmpx_lt_u32_e32 0xffffff, v105
	s_cbranch_execz .LBB203_988
; %bb.981:                              ;   in Loop: Header=BB203_547 Depth=1
	v_mov_b32_e32 v7, v6
	v_mov_b32_e32 v24, v8
	v_cmp_ne_u32_sdwa s0, v105, v44 src0_sel:BYTE_3 src1_sel:DWORD
	v_mov_b32_e32 v23, v7
	s_and_saveexec_b32 s22, s0
	s_cbranch_execz .LBB203_987
; %bb.982:                              ;   in Loop: Header=BB203_547 Depth=1
	v_mov_b32_e32 v9, v6
	v_mov_b32_e32 v24, v10
	v_bfe_u32 v106, v105, 24, 7
	s_mov_b32 s26, exec_lo
	v_mov_b32_e32 v23, v9
	v_cmpx_ne_u32_e32 0x7f, v106
	s_cbranch_execz .LBB203_986
; %bb.983:                              ;   in Loop: Header=BB203_547 Depth=1
	v_and_b32_sdwa v5, v105, v47 dst_sel:DWORD dst_unused:UNUSED_PAD src0_sel:BYTE_3 src1_sel:DWORD
	v_lshrrev_b32_e32 v7, 3, v106
	s_mov_b32 s27, exec_lo
	v_cmpx_gt_u32_e32 8, v106
; %bb.984:                              ;   in Loop: Header=BB203_547 Depth=1
	v_ffbh_u32_e32 v7, v5
	v_min_u32_e32 v7, 32, v7
	v_subrev_nc_u32_e32 v9, 28, v7
	v_sub_nc_u32_e32 v7, 29, v7
	v_lshlrev_b64 v[23:24], v9, v[5:6]
	v_and_b32_e32 v5, 7, v23
; %bb.985:                              ;   in Loop: Header=BB203_547 Depth=1
	s_or_b32 exec_lo, exec_lo, s27
	v_lshlrev_b32_sdwa v9, v48, v105 dst_sel:DWORD dst_unused:UNUSED_PAD src0_sel:DWORD src1_sel:BYTE_3
	v_lshlrev_b32_e32 v5, 20, v5
	v_lshl_add_u32 v7, v7, 23, 0x3c000000
	v_mov_b32_e32 v23, v6
	v_and_b32_e32 v9, 0x80000000, v9
	v_or3_b32 v24, v5, v9, v7
.LBB203_986:                            ;   in Loop: Header=BB203_547 Depth=1
	s_or_b32 exec_lo, exec_lo, s26
.LBB203_987:                            ;   in Loop: Header=BB203_547 Depth=1
	s_or_b32 exec_lo, exec_lo, s22
.LBB203_988:                            ;   in Loop: Header=BB203_547 Depth=1
	s_or_b32 exec_lo, exec_lo, s21
	v_or_b32_e32 v5, v20, v18
	v_or_b32_e32 v7, v19, v17
	v_or_b32_e32 v9, v23, v21
	v_or_b32_e32 v17, v24, v22
	v_mul_f32_e32 v107, s18, v5
	v_mul_f32_e32 v108, s17, v7
	;; [unrolled: 1-line block ×4, first 2 shown]
	s_and_saveexec_b32 s21, vcc_lo
	s_cbranch_execz .LBB203_990
; %bb.989:                              ;   in Loop: Header=BB203_547 Depth=1
	v_cmp_gt_i32_e64 s0, s33, v57
	v_cndmask_b32_e64 v108, 0, v108, s0
	v_cmp_gt_i32_e64 s0, s33, v60
	v_cndmask_b32_e64 v107, 0, v107, s0
	v_cmp_gt_i32_e64 s0, s33, v59
	v_cndmask_b32_e64 v106, 0, v106, s0
	v_cmp_gt_i32_e64 s0, s33, v58
	v_cndmask_b32_e64 v105, 0, v105, s0
.LBB203_990:                            ;   in Loop: Header=BB203_547 Depth=1
	s_or_b32 exec_lo, exec_lo, s21
	global_load_dword v109, v[15:16], off offset:1664
	v_mov_b32_e32 v19, 0
	v_mov_b32_e32 v17, 0
	v_mov_b32_e32 v20, 0
	v_mov_b32_e32 v18, 0
	s_waitcnt vmcnt(0)
	v_cmp_ne_u16_sdwa s0, v109, v6 src0_sel:BYTE_0 src1_sel:DWORD
	s_and_saveexec_b32 s21, s0
	s_cbranch_execz .LBB203_998
; %bb.991:                              ;   in Loop: Header=BB203_547 Depth=1
	v_bfrev_b32_e32 v17, 1
	v_mov_b32_e32 v18, 0
	v_cmp_ne_u16_sdwa s0, v109, v44 src0_sel:BYTE_0 src1_sel:DWORD
	s_and_saveexec_b32 s22, s0
	s_cbranch_execz .LBB203_997
; %bb.992:                              ;   in Loop: Header=BB203_547 Depth=1
	v_mov_b32_e32 v17, 0x7f800001
	v_and_b32_e32 v9, 0x7f, v109
	v_mov_b32_e32 v18, 0
	s_mov_b32 s26, exec_lo
	v_cmpx_ne_u32_e32 0x7f, v9
	s_cbranch_execz .LBB203_996
; %bb.993:                              ;   in Loop: Header=BB203_547 Depth=1
	v_and_b32_e32 v5, 7, v109
	v_lshrrev_b32_e32 v7, 3, v9
	s_mov_b32 s27, exec_lo
	v_cmpx_gt_u32_e32 8, v9
; %bb.994:                              ;   in Loop: Header=BB203_547 Depth=1
	v_ffbh_u32_e32 v7, v5
	v_min_u32_e32 v7, 32, v7
	v_subrev_nc_u32_e32 v9, 28, v7
	v_sub_nc_u32_e32 v7, 29, v7
	v_lshlrev_b64 v[17:18], v9, v[5:6]
	v_and_b32_e32 v5, 7, v17
; %bb.995:                              ;   in Loop: Header=BB203_547 Depth=1
	s_or_b32 exec_lo, exec_lo, s27
	v_lshlrev_b32_e32 v9, 24, v109
	v_lshlrev_b32_e32 v5, 20, v5
	v_lshl_add_u32 v7, v7, 23, 0x3c000000
	v_and_b32_e32 v9, 0x80000000, v9
	v_or3_b32 v5, v5, v9, v7
	v_mov_b32_e32 v18, v6
	v_mov_b32_e32 v17, v5
.LBB203_996:                            ;   in Loop: Header=BB203_547 Depth=1
	s_or_b32 exec_lo, exec_lo, s26
.LBB203_997:                            ;   in Loop: Header=BB203_547 Depth=1
	s_or_b32 exec_lo, exec_lo, s22
.LBB203_998:                            ;   in Loop: Header=BB203_547 Depth=1
	s_or_b32 exec_lo, exec_lo, s21
	v_cmp_ne_u16_sdwa s0, v109, v6 src0_sel:BYTE_1 src1_sel:DWORD
	s_and_saveexec_b32 s21, s0
	s_cbranch_execz .LBB203_1006
; %bb.999:                              ;   in Loop: Header=BB203_547 Depth=1
	v_mov_b32_e32 v7, v6
	v_mov_b32_e32 v20, v8
	v_cmp_ne_u16_sdwa s0, v109, v44 src0_sel:BYTE_1 src1_sel:DWORD
	v_mov_b32_e32 v19, v7
	s_and_saveexec_b32 s22, s0
	s_cbranch_execz .LBB203_1005
; %bb.1000:                             ;   in Loop: Header=BB203_547 Depth=1
	v_and_b32_sdwa v5, v45, v109 dst_sel:DWORD dst_unused:UNUSED_PAD src0_sel:DWORD src1_sel:BYTE_1
	v_mov_b32_e32 v9, v6
	v_mov_b32_e32 v20, v10
	s_mov_b32 s26, exec_lo
	v_and_b32_e32 v21, 0x7f, v5
	v_mov_b32_e32 v19, v9
	v_cmpx_ne_u32_e32 0x7f, v21
	s_cbranch_execz .LBB203_1004
; %bb.1001:                             ;   in Loop: Header=BB203_547 Depth=1
	v_and_b32_e32 v5, 7, v5
	v_lshrrev_b32_e32 v7, 3, v21
	s_mov_b32 s27, exec_lo
	v_cmpx_gt_u32_e32 8, v21
; %bb.1002:                             ;   in Loop: Header=BB203_547 Depth=1
	v_ffbh_u32_e32 v7, v5
	v_min_u32_e32 v7, 32, v7
	v_subrev_nc_u32_e32 v9, 28, v7
	v_sub_nc_u32_e32 v7, 29, v7
	v_lshlrev_b64 v[19:20], v9, v[5:6]
	v_and_b32_e32 v5, 7, v19
; %bb.1003:                             ;   in Loop: Header=BB203_547 Depth=1
	s_or_b32 exec_lo, exec_lo, s27
	v_lshlrev_b32_e32 v9, 16, v109
	v_lshlrev_b32_e32 v5, 20, v5
	v_lshl_add_u32 v7, v7, 23, 0x3c000000
	v_mov_b32_e32 v19, v6
	v_and_b32_e32 v9, 0x80000000, v9
	v_or3_b32 v20, v5, v9, v7
.LBB203_1004:                           ;   in Loop: Header=BB203_547 Depth=1
	s_or_b32 exec_lo, exec_lo, s26
.LBB203_1005:                           ;   in Loop: Header=BB203_547 Depth=1
	s_or_b32 exec_lo, exec_lo, s22
.LBB203_1006:                           ;   in Loop: Header=BB203_547 Depth=1
	s_or_b32 exec_lo, exec_lo, s21
	v_mov_b32_e32 v23, 0
	v_mov_b32_e32 v21, 0
	v_and_b32_sdwa v5, v109, v46 dst_sel:DWORD dst_unused:UNUSED_PAD src0_sel:WORD_1 src1_sel:DWORD
	v_mov_b32_e32 v24, 0
	v_mov_b32_e32 v22, 0
	s_mov_b32 s21, exec_lo
	v_cmpx_ne_u16_e32 0, v5
	s_cbranch_execz .LBB203_1014
; %bb.1007:                             ;   in Loop: Header=BB203_547 Depth=1
	v_bfrev_b32_e32 v21, 1
	v_mov_b32_e32 v22, 0
	s_mov_b32 s22, exec_lo
	v_cmpx_ne_u16_e32 0x80, v5
	s_cbranch_execz .LBB203_1013
; %bb.1008:                             ;   in Loop: Header=BB203_547 Depth=1
	v_mov_b32_e32 v21, 0x7f800001
	v_bfe_u32 v9, v109, 16, 7
	v_mov_b32_e32 v22, 0
	s_mov_b32 s26, exec_lo
	v_cmpx_ne_u32_e32 0x7f, v9
	s_cbranch_execz .LBB203_1012
; %bb.1009:                             ;   in Loop: Header=BB203_547 Depth=1
	v_and_b32_sdwa v5, v109, v47 dst_sel:DWORD dst_unused:UNUSED_PAD src0_sel:WORD_1 src1_sel:DWORD
	v_lshrrev_b32_e32 v7, 3, v9
	s_mov_b32 s27, exec_lo
	v_cmpx_gt_u32_e32 8, v9
; %bb.1010:                             ;   in Loop: Header=BB203_547 Depth=1
	v_ffbh_u32_e32 v7, v5
	v_min_u32_e32 v7, 32, v7
	v_subrev_nc_u32_e32 v9, 28, v7
	v_sub_nc_u32_e32 v7, 29, v7
	v_lshlrev_b64 v[21:22], v9, v[5:6]
	v_and_b32_e32 v5, 7, v21
; %bb.1011:                             ;   in Loop: Header=BB203_547 Depth=1
	s_or_b32 exec_lo, exec_lo, s27
	v_lshlrev_b32_sdwa v9, v48, v109 dst_sel:DWORD dst_unused:UNUSED_PAD src0_sel:DWORD src1_sel:WORD_1
	v_lshlrev_b32_e32 v5, 20, v5
	v_lshl_add_u32 v7, v7, 23, 0x3c000000
	v_and_b32_e32 v9, 0x80000000, v9
	v_or3_b32 v5, v5, v9, v7
	v_mov_b32_e32 v22, v6
	v_mov_b32_e32 v21, v5
.LBB203_1012:                           ;   in Loop: Header=BB203_547 Depth=1
	s_or_b32 exec_lo, exec_lo, s26
.LBB203_1013:                           ;   in Loop: Header=BB203_547 Depth=1
	s_or_b32 exec_lo, exec_lo, s22
.LBB203_1014:                           ;   in Loop: Header=BB203_547 Depth=1
	s_or_b32 exec_lo, exec_lo, s21
	s_mov_b32 s21, exec_lo
	v_cmpx_lt_u32_e32 0xffffff, v109
	s_cbranch_execz .LBB203_1022
; %bb.1015:                             ;   in Loop: Header=BB203_547 Depth=1
	v_mov_b32_e32 v7, v6
	v_mov_b32_e32 v24, v8
	v_cmp_ne_u32_sdwa s0, v109, v44 src0_sel:BYTE_3 src1_sel:DWORD
	v_mov_b32_e32 v23, v7
	s_and_saveexec_b32 s22, s0
	s_cbranch_execz .LBB203_1021
; %bb.1016:                             ;   in Loop: Header=BB203_547 Depth=1
	v_mov_b32_e32 v9, v6
	v_mov_b32_e32 v24, v10
	v_bfe_u32 v110, v109, 24, 7
	s_mov_b32 s26, exec_lo
	v_mov_b32_e32 v23, v9
	v_cmpx_ne_u32_e32 0x7f, v110
	s_cbranch_execz .LBB203_1020
; %bb.1017:                             ;   in Loop: Header=BB203_547 Depth=1
	v_and_b32_sdwa v5, v109, v47 dst_sel:DWORD dst_unused:UNUSED_PAD src0_sel:BYTE_3 src1_sel:DWORD
	v_lshrrev_b32_e32 v7, 3, v110
	s_mov_b32 s27, exec_lo
	v_cmpx_gt_u32_e32 8, v110
; %bb.1018:                             ;   in Loop: Header=BB203_547 Depth=1
	v_ffbh_u32_e32 v7, v5
	v_min_u32_e32 v7, 32, v7
	v_subrev_nc_u32_e32 v9, 28, v7
	v_sub_nc_u32_e32 v7, 29, v7
	v_lshlrev_b64 v[23:24], v9, v[5:6]
	v_and_b32_e32 v5, 7, v23
; %bb.1019:                             ;   in Loop: Header=BB203_547 Depth=1
	s_or_b32 exec_lo, exec_lo, s27
	v_lshlrev_b32_sdwa v9, v48, v109 dst_sel:DWORD dst_unused:UNUSED_PAD src0_sel:DWORD src1_sel:BYTE_3
	v_lshlrev_b32_e32 v5, 20, v5
	v_lshl_add_u32 v7, v7, 23, 0x3c000000
	v_mov_b32_e32 v23, v6
	v_and_b32_e32 v9, 0x80000000, v9
	v_or3_b32 v24, v5, v9, v7
.LBB203_1020:                           ;   in Loop: Header=BB203_547 Depth=1
	s_or_b32 exec_lo, exec_lo, s26
.LBB203_1021:                           ;   in Loop: Header=BB203_547 Depth=1
	s_or_b32 exec_lo, exec_lo, s22
.LBB203_1022:                           ;   in Loop: Header=BB203_547 Depth=1
	s_or_b32 exec_lo, exec_lo, s21
	v_or_b32_e32 v5, v20, v18
	v_or_b32_e32 v7, v19, v17
	;; [unrolled: 1-line block ×4, first 2 shown]
	v_mul_f32_e32 v111, s18, v5
	v_mul_f32_e32 v112, s17, v7
	;; [unrolled: 1-line block ×4, first 2 shown]
	s_and_saveexec_b32 s21, vcc_lo
	s_cbranch_execz .LBB203_1024
; %bb.1023:                             ;   in Loop: Header=BB203_547 Depth=1
	v_cmp_gt_i32_e64 s0, s33, v57
	v_cndmask_b32_e64 v112, 0, v112, s0
	v_cmp_gt_i32_e64 s0, s33, v60
	v_cndmask_b32_e64 v111, 0, v111, s0
	;; [unrolled: 2-line block ×4, first 2 shown]
.LBB203_1024:                           ;   in Loop: Header=BB203_547 Depth=1
	s_or_b32 exec_lo, exec_lo, s21
	global_load_dword v113, v[15:16], off offset:1792
	v_mov_b32_e32 v19, 0
	v_mov_b32_e32 v17, 0
	;; [unrolled: 1-line block ×4, first 2 shown]
	s_waitcnt vmcnt(0)
	v_cmp_ne_u16_sdwa s0, v113, v6 src0_sel:BYTE_0 src1_sel:DWORD
	s_and_saveexec_b32 s21, s0
	s_cbranch_execz .LBB203_1032
; %bb.1025:                             ;   in Loop: Header=BB203_547 Depth=1
	v_bfrev_b32_e32 v17, 1
	v_mov_b32_e32 v18, 0
	v_cmp_ne_u16_sdwa s0, v113, v44 src0_sel:BYTE_0 src1_sel:DWORD
	s_and_saveexec_b32 s22, s0
	s_cbranch_execz .LBB203_1031
; %bb.1026:                             ;   in Loop: Header=BB203_547 Depth=1
	v_mov_b32_e32 v17, 0x7f800001
	v_and_b32_e32 v9, 0x7f, v113
	v_mov_b32_e32 v18, 0
	s_mov_b32 s26, exec_lo
	v_cmpx_ne_u32_e32 0x7f, v9
	s_cbranch_execz .LBB203_1030
; %bb.1027:                             ;   in Loop: Header=BB203_547 Depth=1
	v_and_b32_e32 v5, 7, v113
	v_lshrrev_b32_e32 v7, 3, v9
	s_mov_b32 s27, exec_lo
	v_cmpx_gt_u32_e32 8, v9
; %bb.1028:                             ;   in Loop: Header=BB203_547 Depth=1
	v_ffbh_u32_e32 v7, v5
	v_min_u32_e32 v7, 32, v7
	v_subrev_nc_u32_e32 v9, 28, v7
	v_sub_nc_u32_e32 v7, 29, v7
	v_lshlrev_b64 v[17:18], v9, v[5:6]
	v_and_b32_e32 v5, 7, v17
; %bb.1029:                             ;   in Loop: Header=BB203_547 Depth=1
	s_or_b32 exec_lo, exec_lo, s27
	v_lshlrev_b32_e32 v9, 24, v113
	v_lshlrev_b32_e32 v5, 20, v5
	v_lshl_add_u32 v7, v7, 23, 0x3c000000
	v_and_b32_e32 v9, 0x80000000, v9
	v_or3_b32 v5, v5, v9, v7
	v_mov_b32_e32 v18, v6
	v_mov_b32_e32 v17, v5
.LBB203_1030:                           ;   in Loop: Header=BB203_547 Depth=1
	s_or_b32 exec_lo, exec_lo, s26
.LBB203_1031:                           ;   in Loop: Header=BB203_547 Depth=1
	s_or_b32 exec_lo, exec_lo, s22
.LBB203_1032:                           ;   in Loop: Header=BB203_547 Depth=1
	s_or_b32 exec_lo, exec_lo, s21
	v_cmp_ne_u16_sdwa s0, v113, v6 src0_sel:BYTE_1 src1_sel:DWORD
	s_and_saveexec_b32 s21, s0
	s_cbranch_execz .LBB203_1040
; %bb.1033:                             ;   in Loop: Header=BB203_547 Depth=1
	v_mov_b32_e32 v7, v6
	v_mov_b32_e32 v20, v8
	v_cmp_ne_u16_sdwa s0, v113, v44 src0_sel:BYTE_1 src1_sel:DWORD
	v_mov_b32_e32 v19, v7
	s_and_saveexec_b32 s22, s0
	s_cbranch_execz .LBB203_1039
; %bb.1034:                             ;   in Loop: Header=BB203_547 Depth=1
	v_and_b32_sdwa v5, v45, v113 dst_sel:DWORD dst_unused:UNUSED_PAD src0_sel:DWORD src1_sel:BYTE_1
	v_mov_b32_e32 v9, v6
	v_mov_b32_e32 v20, v10
	s_mov_b32 s26, exec_lo
	v_and_b32_e32 v21, 0x7f, v5
	v_mov_b32_e32 v19, v9
	v_cmpx_ne_u32_e32 0x7f, v21
	s_cbranch_execz .LBB203_1038
; %bb.1035:                             ;   in Loop: Header=BB203_547 Depth=1
	v_and_b32_e32 v5, 7, v5
	v_lshrrev_b32_e32 v7, 3, v21
	s_mov_b32 s27, exec_lo
	v_cmpx_gt_u32_e32 8, v21
; %bb.1036:                             ;   in Loop: Header=BB203_547 Depth=1
	v_ffbh_u32_e32 v7, v5
	v_min_u32_e32 v7, 32, v7
	v_subrev_nc_u32_e32 v9, 28, v7
	v_sub_nc_u32_e32 v7, 29, v7
	v_lshlrev_b64 v[19:20], v9, v[5:6]
	v_and_b32_e32 v5, 7, v19
; %bb.1037:                             ;   in Loop: Header=BB203_547 Depth=1
	s_or_b32 exec_lo, exec_lo, s27
	v_lshlrev_b32_e32 v9, 16, v113
	v_lshlrev_b32_e32 v5, 20, v5
	v_lshl_add_u32 v7, v7, 23, 0x3c000000
	v_mov_b32_e32 v19, v6
	v_and_b32_e32 v9, 0x80000000, v9
	v_or3_b32 v20, v5, v9, v7
.LBB203_1038:                           ;   in Loop: Header=BB203_547 Depth=1
	s_or_b32 exec_lo, exec_lo, s26
.LBB203_1039:                           ;   in Loop: Header=BB203_547 Depth=1
	s_or_b32 exec_lo, exec_lo, s22
.LBB203_1040:                           ;   in Loop: Header=BB203_547 Depth=1
	s_or_b32 exec_lo, exec_lo, s21
	v_mov_b32_e32 v23, 0
	v_mov_b32_e32 v21, 0
	v_and_b32_sdwa v5, v113, v46 dst_sel:DWORD dst_unused:UNUSED_PAD src0_sel:WORD_1 src1_sel:DWORD
	v_mov_b32_e32 v24, 0
	v_mov_b32_e32 v22, 0
	s_mov_b32 s21, exec_lo
	v_cmpx_ne_u16_e32 0, v5
	s_cbranch_execz .LBB203_1048
; %bb.1041:                             ;   in Loop: Header=BB203_547 Depth=1
	v_bfrev_b32_e32 v21, 1
	v_mov_b32_e32 v22, 0
	s_mov_b32 s22, exec_lo
	v_cmpx_ne_u16_e32 0x80, v5
	s_cbranch_execz .LBB203_1047
; %bb.1042:                             ;   in Loop: Header=BB203_547 Depth=1
	v_mov_b32_e32 v21, 0x7f800001
	v_bfe_u32 v9, v113, 16, 7
	v_mov_b32_e32 v22, 0
	s_mov_b32 s26, exec_lo
	v_cmpx_ne_u32_e32 0x7f, v9
	s_cbranch_execz .LBB203_1046
; %bb.1043:                             ;   in Loop: Header=BB203_547 Depth=1
	v_and_b32_sdwa v5, v113, v47 dst_sel:DWORD dst_unused:UNUSED_PAD src0_sel:WORD_1 src1_sel:DWORD
	v_lshrrev_b32_e32 v7, 3, v9
	s_mov_b32 s27, exec_lo
	v_cmpx_gt_u32_e32 8, v9
; %bb.1044:                             ;   in Loop: Header=BB203_547 Depth=1
	v_ffbh_u32_e32 v7, v5
	v_min_u32_e32 v7, 32, v7
	v_subrev_nc_u32_e32 v9, 28, v7
	v_sub_nc_u32_e32 v7, 29, v7
	v_lshlrev_b64 v[21:22], v9, v[5:6]
	v_and_b32_e32 v5, 7, v21
; %bb.1045:                             ;   in Loop: Header=BB203_547 Depth=1
	s_or_b32 exec_lo, exec_lo, s27
	v_lshlrev_b32_sdwa v9, v48, v113 dst_sel:DWORD dst_unused:UNUSED_PAD src0_sel:DWORD src1_sel:WORD_1
	v_lshlrev_b32_e32 v5, 20, v5
	v_lshl_add_u32 v7, v7, 23, 0x3c000000
	v_and_b32_e32 v9, 0x80000000, v9
	v_or3_b32 v5, v5, v9, v7
	v_mov_b32_e32 v22, v6
	v_mov_b32_e32 v21, v5
.LBB203_1046:                           ;   in Loop: Header=BB203_547 Depth=1
	s_or_b32 exec_lo, exec_lo, s26
.LBB203_1047:                           ;   in Loop: Header=BB203_547 Depth=1
	s_or_b32 exec_lo, exec_lo, s22
.LBB203_1048:                           ;   in Loop: Header=BB203_547 Depth=1
	s_or_b32 exec_lo, exec_lo, s21
	s_mov_b32 s21, exec_lo
	v_cmpx_lt_u32_e32 0xffffff, v113
	s_cbranch_execz .LBB203_1056
; %bb.1049:                             ;   in Loop: Header=BB203_547 Depth=1
	v_mov_b32_e32 v7, v6
	v_mov_b32_e32 v24, v8
	v_cmp_ne_u32_sdwa s0, v113, v44 src0_sel:BYTE_3 src1_sel:DWORD
	v_mov_b32_e32 v23, v7
	s_and_saveexec_b32 s22, s0
	s_cbranch_execz .LBB203_1055
; %bb.1050:                             ;   in Loop: Header=BB203_547 Depth=1
	v_mov_b32_e32 v9, v6
	v_mov_b32_e32 v24, v10
	v_bfe_u32 v114, v113, 24, 7
	s_mov_b32 s26, exec_lo
	v_mov_b32_e32 v23, v9
	v_cmpx_ne_u32_e32 0x7f, v114
	s_cbranch_execz .LBB203_1054
; %bb.1051:                             ;   in Loop: Header=BB203_547 Depth=1
	v_and_b32_sdwa v5, v113, v47 dst_sel:DWORD dst_unused:UNUSED_PAD src0_sel:BYTE_3 src1_sel:DWORD
	v_lshrrev_b32_e32 v7, 3, v114
	s_mov_b32 s27, exec_lo
	v_cmpx_gt_u32_e32 8, v114
; %bb.1052:                             ;   in Loop: Header=BB203_547 Depth=1
	v_ffbh_u32_e32 v7, v5
	v_min_u32_e32 v7, 32, v7
	v_subrev_nc_u32_e32 v9, 28, v7
	v_sub_nc_u32_e32 v7, 29, v7
	v_lshlrev_b64 v[23:24], v9, v[5:6]
	v_and_b32_e32 v5, 7, v23
; %bb.1053:                             ;   in Loop: Header=BB203_547 Depth=1
	s_or_b32 exec_lo, exec_lo, s27
	v_lshlrev_b32_sdwa v9, v48, v113 dst_sel:DWORD dst_unused:UNUSED_PAD src0_sel:DWORD src1_sel:BYTE_3
	v_lshlrev_b32_e32 v5, 20, v5
	v_lshl_add_u32 v7, v7, 23, 0x3c000000
	v_mov_b32_e32 v23, v6
	v_and_b32_e32 v9, 0x80000000, v9
	v_or3_b32 v24, v5, v9, v7
.LBB203_1054:                           ;   in Loop: Header=BB203_547 Depth=1
	s_or_b32 exec_lo, exec_lo, s26
.LBB203_1055:                           ;   in Loop: Header=BB203_547 Depth=1
	s_or_b32 exec_lo, exec_lo, s22
.LBB203_1056:                           ;   in Loop: Header=BB203_547 Depth=1
	s_or_b32 exec_lo, exec_lo, s21
	v_or_b32_e32 v5, v20, v18
	v_or_b32_e32 v7, v19, v17
	;; [unrolled: 1-line block ×4, first 2 shown]
	v_mul_f32_e32 v113, s18, v5
	v_mul_f32_e32 v114, s17, v7
	;; [unrolled: 1-line block ×4, first 2 shown]
	s_and_saveexec_b32 s21, vcc_lo
	s_cbranch_execz .LBB203_1058
; %bb.1057:                             ;   in Loop: Header=BB203_547 Depth=1
	v_cmp_gt_i32_e64 s0, s33, v57
	v_cndmask_b32_e64 v114, 0, v114, s0
	v_cmp_gt_i32_e64 s0, s33, v60
	v_cndmask_b32_e64 v113, 0, v113, s0
	;; [unrolled: 2-line block ×4, first 2 shown]
.LBB203_1058:                           ;   in Loop: Header=BB203_547 Depth=1
	s_or_b32 exec_lo, exec_lo, s21
	global_load_dword v115, v[15:16], off offset:1920
	v_mov_b32_e32 v17, 0
	v_mov_b32_e32 v15, 0
	;; [unrolled: 1-line block ×4, first 2 shown]
	s_waitcnt vmcnt(0)
	v_cmp_ne_u16_sdwa s0, v115, v6 src0_sel:BYTE_0 src1_sel:DWORD
	s_and_saveexec_b32 s21, s0
	s_cbranch_execz .LBB203_1066
; %bb.1059:                             ;   in Loop: Header=BB203_547 Depth=1
	v_bfrev_b32_e32 v15, 1
	v_mov_b32_e32 v16, 0
	v_cmp_ne_u16_sdwa s0, v115, v44 src0_sel:BYTE_0 src1_sel:DWORD
	s_and_saveexec_b32 s22, s0
	s_cbranch_execz .LBB203_1065
; %bb.1060:                             ;   in Loop: Header=BB203_547 Depth=1
	v_mov_b32_e32 v15, 0x7f800001
	v_and_b32_e32 v9, 0x7f, v115
	v_mov_b32_e32 v16, 0
	s_mov_b32 s26, exec_lo
	v_cmpx_ne_u32_e32 0x7f, v9
	s_cbranch_execz .LBB203_1064
; %bb.1061:                             ;   in Loop: Header=BB203_547 Depth=1
	v_and_b32_e32 v5, 7, v115
	v_lshrrev_b32_e32 v7, 3, v9
	s_mov_b32 s27, exec_lo
	v_cmpx_gt_u32_e32 8, v9
; %bb.1062:                             ;   in Loop: Header=BB203_547 Depth=1
	v_ffbh_u32_e32 v7, v5
	v_min_u32_e32 v7, 32, v7
	v_subrev_nc_u32_e32 v9, 28, v7
	v_sub_nc_u32_e32 v7, 29, v7
	v_lshlrev_b64 v[15:16], v9, v[5:6]
	v_and_b32_e32 v5, 7, v15
; %bb.1063:                             ;   in Loop: Header=BB203_547 Depth=1
	s_or_b32 exec_lo, exec_lo, s27
	v_lshlrev_b32_e32 v9, 24, v115
	v_lshlrev_b32_e32 v5, 20, v5
	v_lshl_add_u32 v7, v7, 23, 0x3c000000
	v_and_b32_e32 v9, 0x80000000, v9
	v_or3_b32 v5, v5, v9, v7
	v_mov_b32_e32 v16, v6
	v_mov_b32_e32 v15, v5
.LBB203_1064:                           ;   in Loop: Header=BB203_547 Depth=1
	s_or_b32 exec_lo, exec_lo, s26
.LBB203_1065:                           ;   in Loop: Header=BB203_547 Depth=1
	s_or_b32 exec_lo, exec_lo, s22
.LBB203_1066:                           ;   in Loop: Header=BB203_547 Depth=1
	s_or_b32 exec_lo, exec_lo, s21
	v_cmp_ne_u16_sdwa s0, v115, v6 src0_sel:BYTE_1 src1_sel:DWORD
	s_and_saveexec_b32 s21, s0
	s_cbranch_execz .LBB203_1074
; %bb.1067:                             ;   in Loop: Header=BB203_547 Depth=1
	v_mov_b32_e32 v7, v6
	v_mov_b32_e32 v18, v8
	v_cmp_ne_u16_sdwa s0, v115, v44 src0_sel:BYTE_1 src1_sel:DWORD
	v_mov_b32_e32 v17, v7
	s_and_saveexec_b32 s22, s0
	s_cbranch_execz .LBB203_1073
; %bb.1068:                             ;   in Loop: Header=BB203_547 Depth=1
	v_and_b32_sdwa v5, v45, v115 dst_sel:DWORD dst_unused:UNUSED_PAD src0_sel:DWORD src1_sel:BYTE_1
	v_mov_b32_e32 v9, v6
	v_mov_b32_e32 v18, v10
	s_mov_b32 s26, exec_lo
	v_and_b32_e32 v19, 0x7f, v5
	v_mov_b32_e32 v17, v9
	v_cmpx_ne_u32_e32 0x7f, v19
	s_cbranch_execz .LBB203_1072
; %bb.1069:                             ;   in Loop: Header=BB203_547 Depth=1
	v_and_b32_e32 v5, 7, v5
	v_lshrrev_b32_e32 v7, 3, v19
	s_mov_b32 s27, exec_lo
	v_cmpx_gt_u32_e32 8, v19
; %bb.1070:                             ;   in Loop: Header=BB203_547 Depth=1
	v_ffbh_u32_e32 v7, v5
	v_min_u32_e32 v7, 32, v7
	v_subrev_nc_u32_e32 v9, 28, v7
	v_sub_nc_u32_e32 v7, 29, v7
	v_lshlrev_b64 v[17:18], v9, v[5:6]
	v_and_b32_e32 v5, 7, v17
; %bb.1071:                             ;   in Loop: Header=BB203_547 Depth=1
	s_or_b32 exec_lo, exec_lo, s27
	v_lshlrev_b32_e32 v9, 16, v115
	v_lshlrev_b32_e32 v5, 20, v5
	v_lshl_add_u32 v7, v7, 23, 0x3c000000
	v_mov_b32_e32 v17, v6
	v_and_b32_e32 v9, 0x80000000, v9
	v_or3_b32 v18, v5, v9, v7
.LBB203_1072:                           ;   in Loop: Header=BB203_547 Depth=1
	s_or_b32 exec_lo, exec_lo, s26
.LBB203_1073:                           ;   in Loop: Header=BB203_547 Depth=1
	s_or_b32 exec_lo, exec_lo, s22
.LBB203_1074:                           ;   in Loop: Header=BB203_547 Depth=1
	s_or_b32 exec_lo, exec_lo, s21
	v_mov_b32_e32 v21, 0
	v_mov_b32_e32 v19, 0
	v_and_b32_sdwa v5, v115, v46 dst_sel:DWORD dst_unused:UNUSED_PAD src0_sel:WORD_1 src1_sel:DWORD
	v_mov_b32_e32 v22, 0
	v_mov_b32_e32 v20, 0
	s_mov_b32 s21, exec_lo
	v_cmpx_ne_u16_e32 0, v5
	s_cbranch_execz .LBB203_1082
; %bb.1075:                             ;   in Loop: Header=BB203_547 Depth=1
	v_bfrev_b32_e32 v19, 1
	v_mov_b32_e32 v20, 0
	s_mov_b32 s22, exec_lo
	v_cmpx_ne_u16_e32 0x80, v5
	s_cbranch_execz .LBB203_1081
; %bb.1076:                             ;   in Loop: Header=BB203_547 Depth=1
	v_mov_b32_e32 v19, 0x7f800001
	v_bfe_u32 v9, v115, 16, 7
	v_mov_b32_e32 v20, 0
	s_mov_b32 s26, exec_lo
	v_cmpx_ne_u32_e32 0x7f, v9
	s_cbranch_execz .LBB203_1080
; %bb.1077:                             ;   in Loop: Header=BB203_547 Depth=1
	v_and_b32_sdwa v5, v115, v47 dst_sel:DWORD dst_unused:UNUSED_PAD src0_sel:WORD_1 src1_sel:DWORD
	v_lshrrev_b32_e32 v7, 3, v9
	s_mov_b32 s27, exec_lo
	v_cmpx_gt_u32_e32 8, v9
; %bb.1078:                             ;   in Loop: Header=BB203_547 Depth=1
	v_ffbh_u32_e32 v7, v5
	v_min_u32_e32 v7, 32, v7
	v_subrev_nc_u32_e32 v9, 28, v7
	v_sub_nc_u32_e32 v7, 29, v7
	v_lshlrev_b64 v[19:20], v9, v[5:6]
	v_and_b32_e32 v5, 7, v19
; %bb.1079:                             ;   in Loop: Header=BB203_547 Depth=1
	s_or_b32 exec_lo, exec_lo, s27
	v_lshlrev_b32_sdwa v9, v48, v115 dst_sel:DWORD dst_unused:UNUSED_PAD src0_sel:DWORD src1_sel:WORD_1
	v_lshlrev_b32_e32 v5, 20, v5
	v_lshl_add_u32 v7, v7, 23, 0x3c000000
	v_and_b32_e32 v9, 0x80000000, v9
	v_or3_b32 v5, v5, v9, v7
	v_mov_b32_e32 v20, v6
	v_mov_b32_e32 v19, v5
.LBB203_1080:                           ;   in Loop: Header=BB203_547 Depth=1
	s_or_b32 exec_lo, exec_lo, s26
.LBB203_1081:                           ;   in Loop: Header=BB203_547 Depth=1
	s_or_b32 exec_lo, exec_lo, s22
.LBB203_1082:                           ;   in Loop: Header=BB203_547 Depth=1
	s_or_b32 exec_lo, exec_lo, s21
	s_mov_b32 s21, exec_lo
	v_cmpx_lt_u32_e32 0xffffff, v115
	s_cbranch_execz .LBB203_1090
; %bb.1083:                             ;   in Loop: Header=BB203_547 Depth=1
	v_mov_b32_e32 v7, v6
	v_mov_b32_e32 v22, v8
	v_cmp_ne_u32_sdwa s0, v115, v44 src0_sel:BYTE_3 src1_sel:DWORD
	v_mov_b32_e32 v21, v7
	s_and_saveexec_b32 s22, s0
	s_cbranch_execz .LBB203_1089
; %bb.1084:                             ;   in Loop: Header=BB203_547 Depth=1
	v_mov_b32_e32 v9, v6
	v_mov_b32_e32 v22, v10
	v_bfe_u32 v116, v115, 24, 7
	s_mov_b32 s26, exec_lo
	v_mov_b32_e32 v21, v9
	v_cmpx_ne_u32_e32 0x7f, v116
	s_cbranch_execz .LBB203_1088
; %bb.1085:                             ;   in Loop: Header=BB203_547 Depth=1
	v_and_b32_sdwa v5, v115, v47 dst_sel:DWORD dst_unused:UNUSED_PAD src0_sel:BYTE_3 src1_sel:DWORD
	v_lshrrev_b32_e32 v7, 3, v116
	s_mov_b32 s27, exec_lo
	v_cmpx_gt_u32_e32 8, v116
; %bb.1086:                             ;   in Loop: Header=BB203_547 Depth=1
	v_ffbh_u32_e32 v7, v5
	v_min_u32_e32 v7, 32, v7
	v_subrev_nc_u32_e32 v9, 28, v7
	v_sub_nc_u32_e32 v7, 29, v7
	v_lshlrev_b64 v[21:22], v9, v[5:6]
	v_and_b32_e32 v5, 7, v21
; %bb.1087:                             ;   in Loop: Header=BB203_547 Depth=1
	s_or_b32 exec_lo, exec_lo, s27
	v_lshlrev_b32_sdwa v9, v48, v115 dst_sel:DWORD dst_unused:UNUSED_PAD src0_sel:DWORD src1_sel:BYTE_3
	v_lshlrev_b32_e32 v5, 20, v5
	v_lshl_add_u32 v7, v7, 23, 0x3c000000
	v_mov_b32_e32 v21, v6
	v_and_b32_e32 v9, 0x80000000, v9
	v_or3_b32 v22, v5, v9, v7
.LBB203_1088:                           ;   in Loop: Header=BB203_547 Depth=1
	s_or_b32 exec_lo, exec_lo, s26
.LBB203_1089:                           ;   in Loop: Header=BB203_547 Depth=1
	s_or_b32 exec_lo, exec_lo, s22
.LBB203_1090:                           ;   in Loop: Header=BB203_547 Depth=1
	s_or_b32 exec_lo, exec_lo, s21
	v_or_b32_e32 v5, v18, v16
	v_or_b32_e32 v7, v17, v15
	;; [unrolled: 1-line block ×4, first 2 shown]
	v_mul_f32_e32 v9, s18, v5
	v_mul_f32_e32 v15, s17, v7
	;; [unrolled: 1-line block ×4, first 2 shown]
	s_and_saveexec_b32 s0, vcc_lo
	s_cbranch_execz .LBB203_545
; %bb.1091:                             ;   in Loop: Header=BB203_547 Depth=1
	v_cmp_gt_i32_e32 vcc_lo, s33, v57
	v_cndmask_b32_e32 v15, 0, v15, vcc_lo
	v_cmp_gt_i32_e32 vcc_lo, s33, v60
	v_cndmask_b32_e32 v9, 0, v9, vcc_lo
	;; [unrolled: 2-line block ×4, first 2 shown]
	s_branch .LBB203_545
.LBB203_1092:
	s_or_b32 exec_lo, exec_lo, s5
.LBB203_1093:
	s_or_b32 exec_lo, exec_lo, s1
	ds_bpermute_b32 v1, v27, v42
	ds_bpermute_b32 v5, v27, v39
	;; [unrolled: 1-line block ×16, first 2 shown]
	s_mov_b32 s0, exec_lo
	s_waitcnt lgkmcnt(15)
	v_add_f32_e32 v1, v42, v1
	s_waitcnt lgkmcnt(14)
	v_add_f32_e32 v5, v39, v5
	;; [unrolled: 2-line block ×5, first 2 shown]
	ds_bpermute_b32 v17, v26, v1
	ds_bpermute_b32 v12, v26, v5
	s_waitcnt lgkmcnt(12)
	v_add_f32_e32 v13, v32, v13
	s_waitcnt lgkmcnt(11)
	v_add_f32_e32 v14, v31, v14
	s_waitcnt lgkmcnt(10)
	v_add_f32_e32 v6, v38, v6
	s_waitcnt lgkmcnt(9)
	v_add_f32_e32 v2, v43, v2
	s_waitcnt lgkmcnt(8)
	v_add_f32_e32 v3, v41, v3
	s_waitcnt lgkmcnt(7)
	v_add_f32_e32 v4, v40, v4
	s_waitcnt lgkmcnt(6)
	v_add_f32_e32 v7, v37, v7
	ds_bpermute_b32 v21, v26, v6
	s_waitcnt lgkmcnt(6)
	v_add_f32_e32 v8, v36, v8
	s_waitcnt lgkmcnt(5)
	v_add_f32_e32 v9, v35, v9
	;; [unrolled: 2-line block ×4, first 2 shown]
	ds_bpermute_b32 v18, v26, v2
	ds_bpermute_b32 v19, v26, v3
	;; [unrolled: 1-line block ×6, first 2 shown]
	s_waitcnt lgkmcnt(8)
	v_add_f32_e32 v1, v1, v17
	ds_bpermute_b32 v17, v26, v13
	s_waitcnt lgkmcnt(8)
	v_add_f32_e32 v5, v5, v12
	ds_bpermute_b32 v12, v26, v14
	ds_bpermute_b32 v27, v26, v0
	;; [unrolled: 1-line block ×4, first 2 shown]
	s_waitcnt lgkmcnt(11)
	v_add_f32_e32 v6, v6, v21
	ds_bpermute_b32 v21, v26, v15
	ds_bpermute_b32 v26, v26, v16
	s_waitcnt lgkmcnt(12)
	v_add_f32_e32 v2, v2, v18
	ds_bpermute_b32 v18, v25, v1
	s_waitcnt lgkmcnt(12)
	v_add_f32_e32 v3, v3, v19
	s_waitcnt lgkmcnt(11)
	v_add_f32_e32 v4, v4, v20
	;; [unrolled: 2-line block ×6, first 2 shown]
	ds_bpermute_b32 v19, v25, v2
	s_waitcnt lgkmcnt(7)
	v_add_f32_e32 v14, v14, v12
	s_waitcnt lgkmcnt(6)
	v_add_f32_e32 v27, v0, v27
	;; [unrolled: 2-line block ×3, first 2 shown]
	ds_bpermute_b32 v12, v25, v13
	s_waitcnt lgkmcnt(5)
	v_add_f32_e32 v11, v11, v31
	ds_bpermute_b32 v20, v25, v3
	ds_bpermute_b32 v22, v25, v4
	s_waitcnt lgkmcnt(6)
	v_add_f32_e32 v15, v15, v21
	s_waitcnt lgkmcnt(5)
	v_add_f32_e32 v21, v16, v26
	ds_bpermute_b32 v26, v25, v14
	ds_bpermute_b32 v23, v25, v5
	;; [unrolled: 1-line block ×3, first 2 shown]
	s_waitcnt lgkmcnt(7)
	v_add_f32_e32 v0, v1, v18
	ds_bpermute_b32 v32, v25, v7
	ds_bpermute_b32 v24, v25, v8
	;; [unrolled: 1-line block ×8, first 2 shown]
	s_waitcnt lgkmcnt(14)
	v_add_f32_e32 v1, v2, v19
	buffer_load_dword v18, off, s[44:47], 0 offset:344 ; 4-byte Folded Reload
	s_waitcnt lgkmcnt(13)
	v_add_f32_e32 v12, v13, v12
	buffer_load_dword v13, off, s[44:47], 0 offset:68 ; 4-byte Folded Reload
	s_waitcnt lgkmcnt(12)
	v_add_f32_e32 v2, v3, v20
	s_waitcnt lgkmcnt(11)
	v_add_f32_e32 v3, v4, v22
	;; [unrolled: 2-line block ×10, first 2 shown]
	s_waitcnt vmcnt(1)
	v_lshlrev_b32_e32 v18, 8, v18
	s_waitcnt vmcnt(0)
	v_lshrrev_b32_e32 v16, 3, v13
	v_add_f32_e32 v13, v14, v26
	buffer_load_dword v26, off, s[44:47], 0 offset:340 ; 4-byte Folded Reload
	s_waitcnt lgkmcnt(1)
	v_add_f32_e32 v14, v15, v34
	s_waitcnt lgkmcnt(0)
	v_add_f32_e32 v15, v21, v25
	v_lshl_add_u32 v17, v16, 2, 0x120
	s_waitcnt vmcnt(0)
	s_barrier
	buffer_gl0_inv
	v_and_b32_e32 v19, 0x3c7, v26
	v_cmpx_eq_u32_e32 64, v19
	s_cbranch_execz .LBB203_1095
; %bb.1094:
	v_add_nc_u32_e32 v19, v17, v18
	v_add_nc_u32_e32 v20, 0xfffffe00, v19
	;; [unrolled: 1-line block ×7, first 2 shown]
	ds_write_b32 v20, v0
	ds_write_b32 v21, v1
	;; [unrolled: 1-line block ×6, first 2 shown]
	v_add_nc_u32_e32 v20, 0xfffffe60, v19
	v_add_nc_u32_e32 v21, 0xfffffe70, v19
	v_add_nc_u32_e32 v22, 0xfffffe80, v19
	v_add_nc_u32_e32 v23, 0xfffffe90, v19
	v_add_nc_u32_e32 v24, 0xfffffea0, v19
	ds_write_b32 v20, v6
	ds_write_b32 v21, v7
	;; [unrolled: 1-line block ×5, first 2 shown]
	v_add_nc_u32_e32 v20, 0xfffffeb0, v19
	v_add_nc_u32_e32 v21, 0xfffffec0, v19
	v_add_nc_u32_e32 v22, 0xfffffed0, v19
	v_add_nc_u32_e32 v23, 0xfffffee0, v19
	v_add_nc_u32_e32 v19, 0xfffffef0, v19
	ds_write_b32 v20, v11
	ds_write_b32 v21, v12
	;; [unrolled: 1-line block ×5, first 2 shown]
.LBB203_1095:
	s_or_b32 exec_lo, exec_lo, s0
	v_lshlrev_b32_e32 v16, 2, v16
	s_mov_b32 s1, exec_lo
	v_cmp_eq_u32_e32 vcc_lo, 0, v28
	s_waitcnt lgkmcnt(0)
	s_barrier
	v_add3_u32 v16, 0x120, v18, v16
	buffer_gl0_inv
	v_cmpx_gt_u32_e32 64, v26
	s_cbranch_execz .LBB203_1114
; %bb.1096:
	s_and_saveexec_b32 s0, vcc_lo
	s_cbranch_execnz .LBB203_1138
; %bb.1097:
	s_or_b32 exec_lo, exec_lo, s0
	s_and_saveexec_b32 s0, vcc_lo
	s_cbranch_execnz .LBB203_1139
.LBB203_1098:
	s_or_b32 exec_lo, exec_lo, s0
	s_and_saveexec_b32 s0, vcc_lo
	s_cbranch_execnz .LBB203_1140
.LBB203_1099:
	s_or_b32 exec_lo, exec_lo, s0
	s_and_saveexec_b32 s0, vcc_lo
	s_cbranch_execnz .LBB203_1141
.LBB203_1100:
	s_or_b32 exec_lo, exec_lo, s0
	s_and_saveexec_b32 s0, vcc_lo
	s_cbranch_execnz .LBB203_1142
.LBB203_1101:
	s_or_b32 exec_lo, exec_lo, s0
	s_and_saveexec_b32 s0, vcc_lo
	s_cbranch_execnz .LBB203_1143
.LBB203_1102:
	s_or_b32 exec_lo, exec_lo, s0
	s_and_saveexec_b32 s0, vcc_lo
	s_cbranch_execnz .LBB203_1144
.LBB203_1103:
	s_or_b32 exec_lo, exec_lo, s0
	s_and_saveexec_b32 s0, vcc_lo
	s_cbranch_execnz .LBB203_1145
.LBB203_1104:
	s_or_b32 exec_lo, exec_lo, s0
	s_and_saveexec_b32 s0, vcc_lo
	s_cbranch_execnz .LBB203_1146
.LBB203_1105:
	s_or_b32 exec_lo, exec_lo, s0
	s_and_saveexec_b32 s0, vcc_lo
	s_cbranch_execnz .LBB203_1147
.LBB203_1106:
	s_or_b32 exec_lo, exec_lo, s0
	s_and_saveexec_b32 s0, vcc_lo
	s_cbranch_execnz .LBB203_1148
.LBB203_1107:
	s_or_b32 exec_lo, exec_lo, s0
	s_and_saveexec_b32 s0, vcc_lo
	s_cbranch_execnz .LBB203_1149
.LBB203_1108:
	s_or_b32 exec_lo, exec_lo, s0
	s_and_saveexec_b32 s0, vcc_lo
	s_cbranch_execnz .LBB203_1150
.LBB203_1109:
	s_or_b32 exec_lo, exec_lo, s0
	s_and_saveexec_b32 s0, vcc_lo
	s_cbranch_execnz .LBB203_1151
.LBB203_1110:
	s_or_b32 exec_lo, exec_lo, s0
	s_and_saveexec_b32 s0, vcc_lo
	s_cbranch_execnz .LBB203_1152
.LBB203_1111:
	s_or_b32 exec_lo, exec_lo, s0
	s_and_saveexec_b32 s0, vcc_lo
	s_cbranch_execz .LBB203_1113
.LBB203_1112:
	ds_read_b32 v18, v16 offset:240
	s_waitcnt lgkmcnt(0)
	v_add_f32_e32 v15, v15, v18
.LBB203_1113:
	s_or_b32 exec_lo, exec_lo, s0
.LBB203_1114:
	s_or_b32 exec_lo, exec_lo, s1
	v_and_b32_e32 v18, 0x3e7, v26
	s_mov_b32 s1, exec_lo
	s_barrier
	buffer_gl0_inv
	v_cmpx_eq_u32_e32 32, v18
	s_cbranch_execz .LBB203_1116
; %bb.1115:
	ds_write2_b32 v17, v0, v1 offset1:4
	ds_write2_b32 v17, v2, v3 offset0:8 offset1:12
	ds_write2_b32 v17, v4, v5 offset0:16 offset1:20
	;; [unrolled: 1-line block ×7, first 2 shown]
.LBB203_1116:
	s_or_b32 exec_lo, exec_lo, s1
	s_mov_b32 s1, exec_lo
	s_waitcnt lgkmcnt(0)
	s_barrier
	buffer_gl0_inv
	v_cmpx_gt_u32_e32 32, v26
	s_cbranch_execz .LBB203_1135
; %bb.1117:
	s_and_saveexec_b32 s0, vcc_lo
	s_cbranch_execnz .LBB203_1153
; %bb.1118:
	s_or_b32 exec_lo, exec_lo, s0
	s_and_saveexec_b32 s0, vcc_lo
	s_cbranch_execnz .LBB203_1154
.LBB203_1119:
	s_or_b32 exec_lo, exec_lo, s0
	s_and_saveexec_b32 s0, vcc_lo
	s_cbranch_execnz .LBB203_1155
.LBB203_1120:
	s_or_b32 exec_lo, exec_lo, s0
	s_and_saveexec_b32 s0, vcc_lo
	s_cbranch_execnz .LBB203_1156
.LBB203_1121:
	s_or_b32 exec_lo, exec_lo, s0
	s_and_saveexec_b32 s0, vcc_lo
	s_cbranch_execnz .LBB203_1157
.LBB203_1122:
	s_or_b32 exec_lo, exec_lo, s0
	s_and_saveexec_b32 s0, vcc_lo
	s_cbranch_execnz .LBB203_1158
.LBB203_1123:
	s_or_b32 exec_lo, exec_lo, s0
	s_and_saveexec_b32 s0, vcc_lo
	s_cbranch_execnz .LBB203_1159
.LBB203_1124:
	s_or_b32 exec_lo, exec_lo, s0
	s_and_saveexec_b32 s0, vcc_lo
	s_cbranch_execnz .LBB203_1160
.LBB203_1125:
	s_or_b32 exec_lo, exec_lo, s0
	s_and_saveexec_b32 s0, vcc_lo
	s_cbranch_execnz .LBB203_1161
.LBB203_1126:
	s_or_b32 exec_lo, exec_lo, s0
	s_and_saveexec_b32 s0, vcc_lo
	s_cbranch_execnz .LBB203_1162
.LBB203_1127:
	s_or_b32 exec_lo, exec_lo, s0
	s_and_saveexec_b32 s0, vcc_lo
	s_cbranch_execnz .LBB203_1163
.LBB203_1128:
	s_or_b32 exec_lo, exec_lo, s0
	s_and_saveexec_b32 s0, vcc_lo
	s_cbranch_execnz .LBB203_1164
.LBB203_1129:
	s_or_b32 exec_lo, exec_lo, s0
	s_and_saveexec_b32 s0, vcc_lo
	s_cbranch_execnz .LBB203_1165
.LBB203_1130:
	s_or_b32 exec_lo, exec_lo, s0
	s_and_saveexec_b32 s0, vcc_lo
	s_cbranch_execnz .LBB203_1166
.LBB203_1131:
	s_or_b32 exec_lo, exec_lo, s0
	s_and_saveexec_b32 s0, vcc_lo
	s_cbranch_execnz .LBB203_1167
.LBB203_1132:
	s_or_b32 exec_lo, exec_lo, s0
	s_and_saveexec_b32 s0, vcc_lo
	s_cbranch_execz .LBB203_1134
.LBB203_1133:
	ds_read_b32 v16, v16 offset:240
	s_waitcnt lgkmcnt(0)
	v_add_f32_e32 v15, v15, v16
.LBB203_1134:
	s_or_b32 exec_lo, exec_lo, s0
.LBB203_1135:
	s_or_b32 exec_lo, exec_lo, s1
	s_barrier
	buffer_gl0_inv
	s_mov_b32 s0, exec_lo
	v_cmpx_eq_u32_e32 0, v18
	s_cbranch_execz .LBB203_1137
; %bb.1136:
	s_mul_i32 s0, s10, s11
	s_mul_i32 s2, s11, s24
	;; [unrolled: 1-line block ×3, first 2 shown]
	v_lshrrev_b32_e32 v16, 1, v26
	s_lshl_b32 s0, s0, 6
	s_ashr_i32 s1, s0, 31
	s_lshl_b64 s[0:1], s[0:1], 2
	s_add_u32 s4, s6, s0
	s_addc_u32 s5, s7, s1
	s_ashr_i32 s3, s2, 31
	s_lshl_b64 s[0:1], s[2:3], 2
	s_add_u32 s2, s4, s0
	s_addc_u32 s3, s5, s1
	s_lshl_b32 s0, s8, 6
	s_ashr_i32 s1, s0, 31
	s_lshl_b64 s[0:1], s[0:1], 2
	s_add_u32 s0, s2, s0
	s_addc_u32 s1, s3, s1
	global_store_dword v16, v0, s[0:1]
	global_store_dword v16, v1, s[0:1] offset:16
	global_store_dword v16, v2, s[0:1] offset:32
	;; [unrolled: 1-line block ×15, first 2 shown]
.LBB203_1137:
	s_endpgm
.LBB203_1138:
	ds_read_b32 v18, v16
	s_waitcnt lgkmcnt(0)
	v_add_f32_e32 v0, v0, v18
	s_or_b32 exec_lo, exec_lo, s0
	s_and_saveexec_b32 s0, vcc_lo
	s_cbranch_execz .LBB203_1098
.LBB203_1139:
	ds_read_b32 v18, v16 offset:16
	s_waitcnt lgkmcnt(0)
	v_add_f32_e32 v1, v1, v18
	s_or_b32 exec_lo, exec_lo, s0
	s_and_saveexec_b32 s0, vcc_lo
	s_cbranch_execz .LBB203_1099
.LBB203_1140:
	ds_read_b32 v18, v16 offset:32
	s_waitcnt lgkmcnt(0)
	v_add_f32_e32 v2, v2, v18
	s_or_b32 exec_lo, exec_lo, s0
	s_and_saveexec_b32 s0, vcc_lo
	s_cbranch_execz .LBB203_1100
.LBB203_1141:
	ds_read_b32 v18, v16 offset:48
	s_waitcnt lgkmcnt(0)
	v_add_f32_e32 v3, v3, v18
	s_or_b32 exec_lo, exec_lo, s0
	s_and_saveexec_b32 s0, vcc_lo
	s_cbranch_execz .LBB203_1101
.LBB203_1142:
	ds_read_b32 v18, v16 offset:64
	s_waitcnt lgkmcnt(0)
	v_add_f32_e32 v4, v4, v18
	s_or_b32 exec_lo, exec_lo, s0
	s_and_saveexec_b32 s0, vcc_lo
	s_cbranch_execz .LBB203_1102
.LBB203_1143:
	ds_read_b32 v18, v16 offset:80
	s_waitcnt lgkmcnt(0)
	v_add_f32_e32 v5, v5, v18
	s_or_b32 exec_lo, exec_lo, s0
	s_and_saveexec_b32 s0, vcc_lo
	s_cbranch_execz .LBB203_1103
.LBB203_1144:
	ds_read_b32 v18, v16 offset:96
	s_waitcnt lgkmcnt(0)
	v_add_f32_e32 v6, v6, v18
	s_or_b32 exec_lo, exec_lo, s0
	s_and_saveexec_b32 s0, vcc_lo
	s_cbranch_execz .LBB203_1104
.LBB203_1145:
	ds_read_b32 v18, v16 offset:112
	s_waitcnt lgkmcnt(0)
	v_add_f32_e32 v7, v7, v18
	s_or_b32 exec_lo, exec_lo, s0
	s_and_saveexec_b32 s0, vcc_lo
	s_cbranch_execz .LBB203_1105
.LBB203_1146:
	ds_read_b32 v18, v16 offset:128
	s_waitcnt lgkmcnt(0)
	v_add_f32_e32 v8, v8, v18
	s_or_b32 exec_lo, exec_lo, s0
	s_and_saveexec_b32 s0, vcc_lo
	s_cbranch_execz .LBB203_1106
.LBB203_1147:
	ds_read_b32 v18, v16 offset:144
	s_waitcnt lgkmcnt(0)
	v_add_f32_e32 v9, v9, v18
	s_or_b32 exec_lo, exec_lo, s0
	s_and_saveexec_b32 s0, vcc_lo
	s_cbranch_execz .LBB203_1107
.LBB203_1148:
	ds_read_b32 v18, v16 offset:160
	s_waitcnt lgkmcnt(0)
	v_add_f32_e32 v10, v10, v18
	s_or_b32 exec_lo, exec_lo, s0
	s_and_saveexec_b32 s0, vcc_lo
	s_cbranch_execz .LBB203_1108
.LBB203_1149:
	ds_read_b32 v18, v16 offset:176
	s_waitcnt lgkmcnt(0)
	v_add_f32_e32 v11, v11, v18
	s_or_b32 exec_lo, exec_lo, s0
	s_and_saveexec_b32 s0, vcc_lo
	s_cbranch_execz .LBB203_1109
.LBB203_1150:
	ds_read_b32 v18, v16 offset:192
	s_waitcnt lgkmcnt(0)
	v_add_f32_e32 v12, v12, v18
	s_or_b32 exec_lo, exec_lo, s0
	s_and_saveexec_b32 s0, vcc_lo
	s_cbranch_execz .LBB203_1110
.LBB203_1151:
	ds_read_b32 v18, v16 offset:208
	s_waitcnt lgkmcnt(0)
	v_add_f32_e32 v13, v13, v18
	s_or_b32 exec_lo, exec_lo, s0
	s_and_saveexec_b32 s0, vcc_lo
	s_cbranch_execz .LBB203_1111
.LBB203_1152:
	ds_read_b32 v18, v16 offset:224
	s_waitcnt lgkmcnt(0)
	v_add_f32_e32 v14, v14, v18
	s_or_b32 exec_lo, exec_lo, s0
	s_and_saveexec_b32 s0, vcc_lo
	s_cbranch_execnz .LBB203_1112
	s_branch .LBB203_1113
.LBB203_1153:
	ds_read_b32 v17, v16
	s_waitcnt lgkmcnt(0)
	v_add_f32_e32 v0, v0, v17
	s_or_b32 exec_lo, exec_lo, s0
	s_and_saveexec_b32 s0, vcc_lo
	s_cbranch_execz .LBB203_1119
.LBB203_1154:
	ds_read_b32 v17, v16 offset:16
	s_waitcnt lgkmcnt(0)
	v_add_f32_e32 v1, v1, v17
	s_or_b32 exec_lo, exec_lo, s0
	s_and_saveexec_b32 s0, vcc_lo
	s_cbranch_execz .LBB203_1120
.LBB203_1155:
	ds_read_b32 v17, v16 offset:32
	s_waitcnt lgkmcnt(0)
	v_add_f32_e32 v2, v2, v17
	s_or_b32 exec_lo, exec_lo, s0
	s_and_saveexec_b32 s0, vcc_lo
	s_cbranch_execz .LBB203_1121
.LBB203_1156:
	ds_read_b32 v17, v16 offset:48
	s_waitcnt lgkmcnt(0)
	v_add_f32_e32 v3, v3, v17
	s_or_b32 exec_lo, exec_lo, s0
	s_and_saveexec_b32 s0, vcc_lo
	s_cbranch_execz .LBB203_1122
.LBB203_1157:
	ds_read_b32 v17, v16 offset:64
	s_waitcnt lgkmcnt(0)
	v_add_f32_e32 v4, v4, v17
	s_or_b32 exec_lo, exec_lo, s0
	s_and_saveexec_b32 s0, vcc_lo
	s_cbranch_execz .LBB203_1123
.LBB203_1158:
	ds_read_b32 v17, v16 offset:80
	s_waitcnt lgkmcnt(0)
	v_add_f32_e32 v5, v5, v17
	s_or_b32 exec_lo, exec_lo, s0
	s_and_saveexec_b32 s0, vcc_lo
	s_cbranch_execz .LBB203_1124
.LBB203_1159:
	ds_read_b32 v17, v16 offset:96
	s_waitcnt lgkmcnt(0)
	v_add_f32_e32 v6, v6, v17
	s_or_b32 exec_lo, exec_lo, s0
	s_and_saveexec_b32 s0, vcc_lo
	s_cbranch_execz .LBB203_1125
.LBB203_1160:
	ds_read_b32 v17, v16 offset:112
	s_waitcnt lgkmcnt(0)
	v_add_f32_e32 v7, v7, v17
	s_or_b32 exec_lo, exec_lo, s0
	s_and_saveexec_b32 s0, vcc_lo
	s_cbranch_execz .LBB203_1126
.LBB203_1161:
	ds_read_b32 v17, v16 offset:128
	s_waitcnt lgkmcnt(0)
	v_add_f32_e32 v8, v8, v17
	s_or_b32 exec_lo, exec_lo, s0
	s_and_saveexec_b32 s0, vcc_lo
	s_cbranch_execz .LBB203_1127
.LBB203_1162:
	ds_read_b32 v17, v16 offset:144
	s_waitcnt lgkmcnt(0)
	v_add_f32_e32 v9, v9, v17
	s_or_b32 exec_lo, exec_lo, s0
	s_and_saveexec_b32 s0, vcc_lo
	s_cbranch_execz .LBB203_1128
.LBB203_1163:
	ds_read_b32 v17, v16 offset:160
	s_waitcnt lgkmcnt(0)
	v_add_f32_e32 v10, v10, v17
	s_or_b32 exec_lo, exec_lo, s0
	s_and_saveexec_b32 s0, vcc_lo
	s_cbranch_execz .LBB203_1129
.LBB203_1164:
	ds_read_b32 v17, v16 offset:176
	s_waitcnt lgkmcnt(0)
	v_add_f32_e32 v11, v11, v17
	s_or_b32 exec_lo, exec_lo, s0
	s_and_saveexec_b32 s0, vcc_lo
	s_cbranch_execz .LBB203_1130
.LBB203_1165:
	ds_read_b32 v17, v16 offset:192
	s_waitcnt lgkmcnt(0)
	v_add_f32_e32 v12, v12, v17
	s_or_b32 exec_lo, exec_lo, s0
	s_and_saveexec_b32 s0, vcc_lo
	s_cbranch_execz .LBB203_1131
.LBB203_1166:
	ds_read_b32 v17, v16 offset:208
	s_waitcnt lgkmcnt(0)
	v_add_f32_e32 v13, v13, v17
	s_or_b32 exec_lo, exec_lo, s0
	s_and_saveexec_b32 s0, vcc_lo
	s_cbranch_execz .LBB203_1132
.LBB203_1167:
	ds_read_b32 v17, v16 offset:224
	s_waitcnt lgkmcnt(0)
	v_add_f32_e32 v14, v14, v17
	s_or_b32 exec_lo, exec_lo, s0
	s_and_saveexec_b32 s0, vcc_lo
	s_cbranch_execnz .LBB203_1133
	s_branch .LBB203_1134
	.section	.rodata,"a",@progbits
	.p2align	6, 0x0
	.amdhsa_kernel _ZN4vllm25paged_attention_v1_kernelIfhLi64ELi32ELi128ELNS_18Fp8KVCacheDataTypeE1ELb1EEEvPT_PKS2_PKT0_S8_ifPKiSA_iPKfiiiSC_SC_iiiii
		.amdhsa_group_segment_fixed_size 288
		.amdhsa_private_segment_fixed_size 360
		.amdhsa_kernarg_size 384
		.amdhsa_user_sgpr_count 6
		.amdhsa_user_sgpr_private_segment_buffer 1
		.amdhsa_user_sgpr_dispatch_ptr 0
		.amdhsa_user_sgpr_queue_ptr 0
		.amdhsa_user_sgpr_kernarg_segment_ptr 1
		.amdhsa_user_sgpr_dispatch_id 0
		.amdhsa_user_sgpr_flat_scratch_init 0
		.amdhsa_user_sgpr_private_segment_size 0
		.amdhsa_wavefront_size32 1
		.amdhsa_uses_dynamic_stack 0
		.amdhsa_system_sgpr_private_segment_wavefront_offset 1
		.amdhsa_system_sgpr_workgroup_id_x 1
		.amdhsa_system_sgpr_workgroup_id_y 1
		.amdhsa_system_sgpr_workgroup_id_z 1
		.amdhsa_system_sgpr_workgroup_info 0
		.amdhsa_system_vgpr_workitem_id 0
		.amdhsa_next_free_vgpr 128
		.amdhsa_next_free_sgpr 48
		.amdhsa_reserve_vcc 1
		.amdhsa_reserve_flat_scratch 0
		.amdhsa_float_round_mode_32 0
		.amdhsa_float_round_mode_16_64 0
		.amdhsa_float_denorm_mode_32 3
		.amdhsa_float_denorm_mode_16_64 3
		.amdhsa_dx10_clamp 1
		.amdhsa_ieee_mode 1
		.amdhsa_fp16_overflow 0
		.amdhsa_workgroup_processor_mode 1
		.amdhsa_memory_ordered 1
		.amdhsa_forward_progress 1
		.amdhsa_shared_vgpr_count 0
		.amdhsa_exception_fp_ieee_invalid_op 0
		.amdhsa_exception_fp_denorm_src 0
		.amdhsa_exception_fp_ieee_div_zero 0
		.amdhsa_exception_fp_ieee_overflow 0
		.amdhsa_exception_fp_ieee_underflow 0
		.amdhsa_exception_fp_ieee_inexact 0
		.amdhsa_exception_int_div_zero 0
	.end_amdhsa_kernel
	.section	.text._ZN4vllm25paged_attention_v1_kernelIfhLi64ELi32ELi128ELNS_18Fp8KVCacheDataTypeE1ELb1EEEvPT_PKS2_PKT0_S8_ifPKiSA_iPKfiiiSC_SC_iiiii,"axG",@progbits,_ZN4vllm25paged_attention_v1_kernelIfhLi64ELi32ELi128ELNS_18Fp8KVCacheDataTypeE1ELb1EEEvPT_PKS2_PKT0_S8_ifPKiSA_iPKfiiiSC_SC_iiiii,comdat
.Lfunc_end203:
	.size	_ZN4vllm25paged_attention_v1_kernelIfhLi64ELi32ELi128ELNS_18Fp8KVCacheDataTypeE1ELb1EEEvPT_PKS2_PKT0_S8_ifPKiSA_iPKfiiiSC_SC_iiiii, .Lfunc_end203-_ZN4vllm25paged_attention_v1_kernelIfhLi64ELi32ELi128ELNS_18Fp8KVCacheDataTypeE1ELb1EEEvPT_PKS2_PKT0_S8_ifPKiSA_iPKfiiiSC_SC_iiiii
                                        ; -- End function
	.set _ZN4vllm25paged_attention_v1_kernelIfhLi64ELi32ELi128ELNS_18Fp8KVCacheDataTypeE1ELb1EEEvPT_PKS2_PKT0_S8_ifPKiSA_iPKfiiiSC_SC_iiiii.num_vgpr, 128
	.set _ZN4vllm25paged_attention_v1_kernelIfhLi64ELi32ELi128ELNS_18Fp8KVCacheDataTypeE1ELb1EEEvPT_PKS2_PKT0_S8_ifPKiSA_iPKfiiiSC_SC_iiiii.num_agpr, 0
	.set _ZN4vllm25paged_attention_v1_kernelIfhLi64ELi32ELi128ELNS_18Fp8KVCacheDataTypeE1ELb1EEEvPT_PKS2_PKT0_S8_ifPKiSA_iPKfiiiSC_SC_iiiii.numbered_sgpr, 48
	.set _ZN4vllm25paged_attention_v1_kernelIfhLi64ELi32ELi128ELNS_18Fp8KVCacheDataTypeE1ELb1EEEvPT_PKS2_PKT0_S8_ifPKiSA_iPKfiiiSC_SC_iiiii.num_named_barrier, 0
	.set _ZN4vllm25paged_attention_v1_kernelIfhLi64ELi32ELi128ELNS_18Fp8KVCacheDataTypeE1ELb1EEEvPT_PKS2_PKT0_S8_ifPKiSA_iPKfiiiSC_SC_iiiii.private_seg_size, 360
	.set _ZN4vllm25paged_attention_v1_kernelIfhLi64ELi32ELi128ELNS_18Fp8KVCacheDataTypeE1ELb1EEEvPT_PKS2_PKT0_S8_ifPKiSA_iPKfiiiSC_SC_iiiii.uses_vcc, 1
	.set _ZN4vllm25paged_attention_v1_kernelIfhLi64ELi32ELi128ELNS_18Fp8KVCacheDataTypeE1ELb1EEEvPT_PKS2_PKT0_S8_ifPKiSA_iPKfiiiSC_SC_iiiii.uses_flat_scratch, 0
	.set _ZN4vllm25paged_attention_v1_kernelIfhLi64ELi32ELi128ELNS_18Fp8KVCacheDataTypeE1ELb1EEEvPT_PKS2_PKT0_S8_ifPKiSA_iPKfiiiSC_SC_iiiii.has_dyn_sized_stack, 0
	.set _ZN4vllm25paged_attention_v1_kernelIfhLi64ELi32ELi128ELNS_18Fp8KVCacheDataTypeE1ELb1EEEvPT_PKS2_PKT0_S8_ifPKiSA_iPKfiiiSC_SC_iiiii.has_recursion, 0
	.set _ZN4vllm25paged_attention_v1_kernelIfhLi64ELi32ELi128ELNS_18Fp8KVCacheDataTypeE1ELb1EEEvPT_PKS2_PKT0_S8_ifPKiSA_iPKfiiiSC_SC_iiiii.has_indirect_call, 0
	.section	.AMDGPU.csdata,"",@progbits
; Kernel info:
; codeLenInByte = 36652
; TotalNumSgprs: 50
; NumVgprs: 128
; ScratchSize: 360
; MemoryBound: 0
; FloatMode: 240
; IeeeMode: 1
; LDSByteSize: 288 bytes/workgroup (compile time only)
; SGPRBlocks: 0
; VGPRBlocks: 15
; NumSGPRsForWavesPerEU: 50
; NumVGPRsForWavesPerEU: 128
; Occupancy: 8
; WaveLimiterHint : 1
; COMPUTE_PGM_RSRC2:SCRATCH_EN: 1
; COMPUTE_PGM_RSRC2:USER_SGPR: 6
; COMPUTE_PGM_RSRC2:TRAP_HANDLER: 0
; COMPUTE_PGM_RSRC2:TGID_X_EN: 1
; COMPUTE_PGM_RSRC2:TGID_Y_EN: 1
; COMPUTE_PGM_RSRC2:TGID_Z_EN: 1
; COMPUTE_PGM_RSRC2:TIDIG_COMP_CNT: 0
	.text
	.p2align	2                               ; -- Begin function _ZN4vllm22paged_attention_kernelIfhLi80ELi32ELi128ELNS_18Fp8KVCacheDataTypeE1ELb1ELi0EEEvPfS2_PT_PKS3_PKT0_S9_ifPKiSB_iPKfiiiSD_SD_iiiii
	.type	_ZN4vllm22paged_attention_kernelIfhLi80ELi32ELi128ELNS_18Fp8KVCacheDataTypeE1ELb1ELi0EEEvPfS2_PT_PKS3_PKT0_S9_ifPKiSB_iPKfiiiSD_SD_iiiii,@function
_ZN4vllm22paged_attention_kernelIfhLi80ELi32ELi128ELNS_18Fp8KVCacheDataTypeE1ELb1ELi0EEEvPfS2_PT_PKS3_PKT0_S9_ifPKiSB_iPKfiiiSD_SD_iiiii: ; @_ZN4vllm22paged_attention_kernelIfhLi80ELi32ELi128ELNS_18Fp8KVCacheDataTypeE1ELb1ELi0EEEvPfS2_PT_PKS3_PKT0_S9_ifPKiSB_iPKfiiiSD_SD_iiiii
; %bb.0:
	s_waitcnt vmcnt(0) expcnt(0) lgkmcnt(0)
	buffer_store_dword v40, off, s[0:3], s32 offset:188 ; 4-byte Folded Spill
	buffer_store_dword v41, off, s[0:3], s32 offset:184 ; 4-byte Folded Spill
	;; [unrolled: 1-line block ×47, first 2 shown]
	buffer_store_dword v127, off, s[0:3], s32 ; 4-byte Folded Spill
	s_mov_b32 s10, s13
	s_ashr_i32 s11, s13, 31
	buffer_store_dword v22, off, s[0:3], s32 offset:440 ; 4-byte Folded Spill
	buffer_store_dword v23, off, s[0:3], s32 offset:444 ; 4-byte Folded Spill
	;; [unrolled: 1-line block ×5, first 2 shown]
	s_lshl_b64 s[6:7], s[10:11], 2
	buffer_store_dword v1, off, s[0:3], s32 offset:800 ; 4-byte Folded Spill
	buffer_store_dword v0, off, s[0:3], s32 offset:804 ; 4-byte Folded Spill
	v_add_co_u32 v0, vcc_lo, v12, s6
	v_add_co_ci_u32_e64 v1, null, s7, v13, vcc_lo
	s_clause 0x1
	s_load_dword s5, s[8:9], 0x10
	s_load_dword s6, s[8:9], 0x0
	v_mov_b32_e32 v21, v6
	flat_load_dword v47, v[0:1]
	v_sub_nc_u32_e32 v0, 0, v8
	v_mov_b32_e32 v20, v7
	s_mov_b32 s4, s15
	v_max_i32_e32 v0, v8, v0
	v_cvt_f32_u32_e32 v1, v0
	v_sub_nc_u32_e32 v6, 0, v0
	v_rcp_iflag_f32_e32 v1, v1
	s_waitcnt lgkmcnt(0)
	s_lshr_b32 s5, s5, 16
	s_cmp_lg_u32 s5, 0
	s_cselect_b32 s5, -1, 0
	s_cmp_lg_u32 s5, 0
	s_addc_u32 s11, s6, 0
	v_mul_f32_e32 v1, 0x4f7ffffe, v1
	s_abs_i32 s5, s11
	s_mov_b32 s6, exec_lo
	v_cvt_u32_f32_e32 v1, v1
	v_mul_lo_u32 v6, v6, v1
	v_mul_hi_u32 v6, v1, v6
	v_add_nc_u32_e32 v1, v1, v6
	v_mul_hi_u32 v1, s5, v1
	v_mul_lo_u32 v6, v1, v0
	v_add_nc_u32_e32 v7, 1, v1
	v_sub_nc_u32_e32 v6, s5, v6
	s_abs_i32 s5, s12
	v_sub_nc_u32_e32 v12, v6, v0
	v_cmp_ge_u32_e32 vcc_lo, v6, v0
	v_cndmask_b32_e32 v1, v1, v7, vcc_lo
	v_cndmask_b32_e32 v6, v6, v12, vcc_lo
	v_xor_b32_e32 v7, s11, v8
	v_add_nc_u32_e32 v12, 1, v1
	v_cmp_ge_u32_e32 vcc_lo, v6, v0
	v_ashrrev_i32_e32 v7, 31, v7
	v_cndmask_b32_e32 v0, v1, v12, vcc_lo
	v_xor_b32_e32 v0, v0, v7
	v_sub_nc_u32_e32 v7, v0, v7
	v_sub_nc_u32_e32 v0, 0, v7
	v_max_i32_e32 v6, v7, v0
	v_cvt_f32_u32_e32 v0, v6
	v_sub_nc_u32_e32 v1, 0, v6
	v_rcp_iflag_f32_e32 v0, v0
	v_mul_f32_e32 v0, 0x4f7ffffe, v0
	v_cvt_u32_f32_e32 v0, v0
	v_mul_lo_u32 v1, v1, v0
	v_mul_hi_u32 v1, v0, v1
	v_add_nc_u32_e32 v0, v0, v1
	v_mad_u64_u32 v[0:1], null, s5, v0, 0
	v_mov_b32_e32 v0, 0
	buffer_store_dword v0, off, s[0:3], s32 offset:436 ; 4-byte Folded Spill
	v_cmpx_ne_u64_e32 0, v[15:16]
	s_cbranch_execz .LBB204_2
; %bb.1:
	s_ashr_i32 s13, s12, 31
	s_lshl_b64 s[16:17], s[12:13], 2
	v_add_co_u32 v12, vcc_lo, v15, s16
	v_add_co_ci_u32_e64 v13, null, s17, v16, vcc_lo
	flat_load_dword v0, v[12:13]
	s_waitcnt vmcnt(0) lgkmcnt(0)
	buffer_store_dword v0, off, s[0:3], s32 offset:436 ; 4-byte Folded Spill
.LBB204_2:
	s_or_b32 exec_lo, exec_lo, s6
	v_and_b32_e32 v13, 0x3ff, v31
	v_ashrrev_i32_e32 v0, 31, v7
	s_ashr_i32 s6, s12, 31
	s_mul_i32 s16, s12, 0x50
	s_mov_b32 s7, exec_lo
	v_cmpx_gt_u32_e32 20, v13
	s_cbranch_execz .LBB204_4
; %bb.3:
	v_mul_lo_u32 v15, v17, s10
	s_ashr_i32 s17, s16, 31
	v_lshlrev_b32_e32 v7, 4, v13
	s_lshl_b64 s[18:19], s[16:17], 2
	v_ashrrev_i32_e32 v16, 31, v15
	v_lshlrev_b64 v[15:16], 2, v[15:16]
	v_add_co_u32 v2, vcc_lo, v2, v15
	v_add_co_ci_u32_e64 v3, null, v3, v16, vcc_lo
	v_add_co_u32 v2, vcc_lo, v2, s18
	v_add_co_ci_u32_e64 v3, null, s19, v3, vcc_lo
	;; [unrolled: 2-line block ×3, first 2 shown]
	flat_load_dwordx4 v[15:18], v[2:3]
	s_waitcnt vmcnt(0) lgkmcnt(0)
	ds_write_b128 v7, v[15:18]
.LBB204_4:
	s_or_b32 exec_lo, exec_lo, s7
	v_sub_nc_u32_e32 v2, 0, v27
	v_mul_lo_u32 v3, v1, v6
	v_max_i32_e32 v12, v27, v2
	v_sub_nc_u32_e32 v7, s5, v3
	v_cvt_f32_u32_e32 v2, v12
	buffer_store_dword v12, off, s[0:3], s32 offset:208 ; 4-byte Folded Spill
	v_add_nc_u32_e32 v3, 1, v1
	s_mov_b32 s5, exec_lo
	v_cmp_ge_u32_e32 vcc_lo, v7, v6
	v_rcp_iflag_f32_e32 v2, v2
	v_cndmask_b32_e32 v1, v1, v3, vcc_lo
	s_waitcnt vmcnt(0)
	v_add_nc_u32_e32 v3, -1, v47
	v_add_nc_u32_e32 v16, 1, v1
	v_mul_f32_e32 v2, 0x4f7ffffe, v2
	v_cvt_u32_f32_e32 v17, v2
	v_sub_nc_u32_e32 v2, 0, v12
	v_sub_nc_u32_e32 v12, v7, v6
	v_mul_lo_u32 v2, v2, v17
	v_cndmask_b32_e32 v7, v7, v12, vcc_lo
	v_xor_b32_e32 v12, s6, v0
	v_cmp_ge_u32_e32 vcc_lo, v7, v6
	v_mul_hi_u32 v15, v17, v2
	v_sub_nc_u32_e32 v2, 0, v3
	v_cndmask_b32_e32 v0, v1, v16, vcc_lo
	v_max_i32_e32 v2, v3, v2
	v_add_nc_u32_e32 v1, v17, v15
	v_xor_b32_e32 v6, v0, v12
	buffer_store_dword v1, off, s[0:3], s32 offset:212 ; 4-byte Folded Spill
	v_mad_u64_u32 v[0:1], null, v2, v1, 0
	v_sub_nc_u32_e32 v0, v6, v12
                                        ; implicit-def: $vgpr6
	s_waitcnt lgkmcnt(0)
	s_waitcnt_vscnt null, 0x0
	s_barrier
	buffer_gl0_inv
	buffer_store_dword v6, off, s[0:3], s32 offset:196 ; 4-byte Folded Spill
	buffer_store_dword v7, off, s[0:3], s32 offset:200 ; 4-byte Folded Spill
	v_cmpx_gt_i32_e32 0, v28
	s_xor_b32 s5, exec_lo, s5
	s_cbranch_execz .LBB204_6
; %bb.5:
	v_mad_u64_u32 v[6:7], null, v24, v8, v[0:1]
                                        ; implicit-def: $vgpr24
	v_mul_lo_u32 v6, v6, v28
                                        ; implicit-def: $vgpr28
	v_sub_nc_u32_e32 v6, 1, v6
	buffer_store_dword v6, off, s[0:3], s32 offset:196 ; 4-byte Folded Spill
	buffer_store_dword v7, off, s[0:3], s32 offset:200 ; 4-byte Folded Spill
.LBB204_6:
	s_or_saveexec_b32 s5, s5
	v_ashrrev_i32_e32 v3, 31, v3
	v_ashrrev_i32_e32 v6, 31, v27
	buffer_store_dword v6, off, s[0:3], s32 offset:204 ; 4-byte Folded Spill
	s_xor_b32 exec_lo, exec_lo, s5
	s_cbranch_execz .LBB204_8
; %bb.7:
	v_mad_u64_u32 v[6:7], null, s11, v24, s[12:13]
	v_mad_u64_u32 v[6:7], null, v6, v28, 1
	buffer_store_dword v6, off, s[0:3], s32 offset:196 ; 4-byte Folded Spill
	buffer_store_dword v7, off, s[0:3], s32 offset:200 ; 4-byte Folded Spill
.LBB204_8:
	s_or_b32 exec_lo, exec_lo, s5
	buffer_load_dword v15, off, s[0:3], s32 offset:208 ; 4-byte Folded Reload
	s_clause 0x1
	s_load_dword s7, s[8:9], 0x14
	s_load_dword s12, s[8:9], 0x8
	buffer_load_dword v8, off, s[0:3], s32 offset:204 ; 4-byte Folded Reload
	v_add_nc_u32_e32 v7, 1, v1
	v_mul_lo_u32 v19, v0, v19
	v_and_b32_e32 v12, 31, v13
	s_ashr_i32 s5, s4, 31
	s_getpc_b64 s[8:9]
	s_add_u32 s8, s8, llvm.amdgcn.dynlds.offset.table@rel32@lo+4
	s_addc_u32 s9, s9, llvm.amdgcn.dynlds.offset.table@rel32@hi+12
	v_mov_b32_e32 v24, 0xff7fffff
	v_sub_nc_u32_e32 v17, 0, v26
	s_lshl_b64 s[18:19], s[4:5], 2
	buffer_store_dword v12, off, s[0:3], s32 offset:432 ; 4-byte Folded Spill
	v_lshlrev_b32_e32 v22, 2, v12
	v_ashrrev_i32_e32 v18, 31, v19
	v_lshrrev_b32_e32 v12, 3, v13
	s_add_u32 s8, s8, s18
	s_addc_u32 s9, s9, s19
	s_waitcnt vmcnt(1)
	v_mul_lo_u32 v6, v1, v15
	s_waitcnt vmcnt(0)
	v_xor_b32_e32 v8, v3, v8
	v_add_nc_u32_e32 v3, 31, v47
	v_sub_nc_u32_e32 v6, v2, v6
	v_mul_lo_u32 v2, v14, s10
	v_lshrrev_b32_e32 v14, 5, v13
	v_sub_nc_u32_e32 v16, v6, v15
	v_cmp_ge_u32_e32 vcc_lo, v6, v15
	v_lshlrev_b32_e32 v23, 5, v14
	v_cndmask_b32_e32 v1, v1, v7, vcc_lo
	v_cndmask_b32_e32 v6, v6, v16, vcc_lo
	v_ashrrev_i32_e32 v7, 31, v3
	v_add_nc_u32_e32 v16, 1, v1
	v_cmp_ge_u32_e32 vcc_lo, v6, v15
	v_lshrrev_b32_e32 v7, 27, v7
	v_cndmask_b32_e32 v1, v1, v16, vcc_lo
	v_add_nc_u32_e32 v0, v3, v7
	v_ashrrev_i32_e32 v3, 31, v2
	v_xor_b32_e32 v1, v1, v8
	v_ashrrev_i32_e32 v6, 5, v0
	v_lshlrev_b64 v[15:16], 2, v[2:3]
	buffer_store_dword v14, off, s[0:3], s32 offset:792 ; 4-byte Folded Spill
	buffer_store_dword v6, off, s[0:3], s32 offset:192 ; 4-byte Folded Spill
	v_sub_nc_u32_e32 v0, v1, v8
	v_cmp_lt_i32_e64 s4, v14, v6
	v_sub_nc_u32_e32 v0, v0, v25
	buffer_store_dword v0, off, s[0:3], s32 offset:216 ; 4-byte Folded Spill
	s_mov_b32 s13, exec_lo
	s_and_b32 s5, s13, s4
	buffer_store_dword v13, off, s[0:3], s32 offset:796 ; 4-byte Folded Spill
	s_mov_b32 exec_lo, s5
	s_cbranch_execz .LBB204_656
; %bb.9:
	buffer_store_dword v21, off, s[0:3], s32 offset:824 ; 4-byte Folded Spill
	buffer_store_dword v20, off, s[0:3], s32 offset:820 ; 4-byte Folded Spill
	;; [unrolled: 1-line block ×4, first 2 shown]
	v_add_co_u32 v1, vcc_lo, v4, v19
	s_clause 0x1
	buffer_load_dword v4, off, s[0:3], s32 offset:432
	buffer_load_dword v38, off, s[0:3], s32 offset:792
	v_add_co_ci_u32_e64 v2, null, v5, v18, vcc_lo
	buffer_load_dword v5, off, s[0:3], s32 offset:436 ; 4-byte Folded Reload
	v_max_i32_e32 v8, v26, v17
	v_mov_b32_e32 v25, 0
	s_load_dword s15, s[8:9], 0x0
	buffer_store_dword v19, off, s[0:3], s32 offset:840 ; 4-byte Folded Spill
	buffer_store_dword v18, off, s[0:3], s32 offset:848 ; 4-byte Folded Spill
	;; [unrolled: 1-line block ×5, first 2 shown]
	v_and_b32_e32 v7, 0x7c, v12
	v_cvt_f32_u32_e32 v0, v8
	v_sub_nc_u32_e32 v8, 0, v8
	v_mov_b32_e32 v18, 0x80
	v_bfrev_b32_e32 v32, 1
	v_mov_b32_e32 v37, 0xff
	v_rcp_iflag_f32_e32 v0, v0
	v_mov_b32_e32 v24, 0xff7fffff
	s_mov_b32 s17, 0
	v_mul_f32_e32 v0, 0x4f7ffffe, v0
	v_cvt_u32_f32_e32 v0, v0
	v_mul_lo_u32 v8, v8, v0
	s_waitcnt vmcnt(2)
	v_lshlrev_b32_e32 v3, 4, v4
	s_waitcnt vmcnt(1)
	v_lshl_or_b32 v26, v38, 7, v22
	v_sub_nc_u32_e32 v4, v4, v47
	v_lshlrev_b32_e32 v6, 5, v38
	s_waitcnt vmcnt(0)
	v_cmp_neq_f32_e32 vcc_lo, 0, v5
	v_add_co_u32 v1, s5, v1, v3
	v_add_co_ci_u32_e64 v2, null, 0, v2, s5
	v_add_nc_u32_e32 v4, 1, v4
	buffer_store_dword v1, off, s[0:3], s32 offset:456 ; 4-byte Folded Spill
	buffer_store_dword v2, off, s[0:3], s32 offset:460 ; 4-byte Folded Spill
	ds_read_b128 v[19:22], v25
	v_add_co_u32 v2, s5, v7, v15
	v_mul_hi_u32 v1, v0, v8
	v_mov_b32_e32 v5, 0x7f800001
	s_waitcnt lgkmcnt(0)
	buffer_store_dword v19, off, s[0:3], s32 offset:464 ; 4-byte Folded Spill
	buffer_store_dword v20, off, s[0:3], s32 offset:468 ; 4-byte Folded Spill
	;; [unrolled: 1-line block ×4, first 2 shown]
	ds_read_b128 v[19:22], v25 offset:16
	v_add_nc_u32_e32 v0, v0, v1
	s_waitcnt lgkmcnt(0)
	buffer_store_dword v19, off, s[0:3], s32 offset:480 ; 4-byte Folded Spill
	buffer_store_dword v20, off, s[0:3], s32 offset:484 ; 4-byte Folded Spill
	buffer_store_dword v21, off, s[0:3], s32 offset:488 ; 4-byte Folded Spill
	buffer_store_dword v22, off, s[0:3], s32 offset:492 ; 4-byte Folded Spill
	ds_read_b128 v[19:22], v25 offset:32
	s_waitcnt lgkmcnt(0)
	buffer_store_dword v19, off, s[0:3], s32 offset:496 ; 4-byte Folded Spill
	buffer_store_dword v20, off, s[0:3], s32 offset:500 ; 4-byte Folded Spill
	buffer_store_dword v21, off, s[0:3], s32 offset:504 ; 4-byte Folded Spill
	buffer_store_dword v22, off, s[0:3], s32 offset:508 ; 4-byte Folded Spill
	ds_read_b128 v[19:22], v25 offset:48
	;; [unrolled: 6-line block ×4, first 2 shown]
	s_waitcnt lgkmcnt(0)
	buffer_store_dword v19, off, s[0:3], s32 offset:544 ; 4-byte Folded Spill
	buffer_store_dword v20, off, s[0:3], s32 offset:548 ; 4-byte Folded Spill
	;; [unrolled: 1-line block ×10, first 2 shown]
	v_add_co_ci_u32_e64 v3, null, 0, v16, s5
	v_add_co_u32 v92, s5, v10, v2
	v_add_co_ci_u32_e64 v93, null, v11, v3, s5
	ds_read_b128 v[0:3], v25 offset:96
	s_waitcnt lgkmcnt(0)
	buffer_store_dword v0, off, s[0:3], s32 offset:564 ; 4-byte Folded Spill
	buffer_store_dword v1, off, s[0:3], s32 offset:568 ; 4-byte Folded Spill
	buffer_store_dword v2, off, s[0:3], s32 offset:572 ; 4-byte Folded Spill
	buffer_store_dword v3, off, s[0:3], s32 offset:576 ; 4-byte Folded Spill
	ds_read_b128 v[0:3], v25 offset:112
	s_waitcnt lgkmcnt(0)
	buffer_store_dword v0, off, s[0:3], s32 offset:580 ; 4-byte Folded Spill
	buffer_store_dword v1, off, s[0:3], s32 offset:584 ; 4-byte Folded Spill
	buffer_store_dword v2, off, s[0:3], s32 offset:588 ; 4-byte Folded Spill
	buffer_store_dword v3, off, s[0:3], s32 offset:592 ; 4-byte Folded Spill
	ds_read_b128 v[0:3], v25 offset:128
	s_waitcnt lgkmcnt(0)
	buffer_store_dword v0, off, s[0:3], s32 offset:596 ; 4-byte Folded Spill
	buffer_store_dword v1, off, s[0:3], s32 offset:600 ; 4-byte Folded Spill
	buffer_store_dword v2, off, s[0:3], s32 offset:604 ; 4-byte Folded Spill
	buffer_store_dword v3, off, s[0:3], s32 offset:608 ; 4-byte Folded Spill
	ds_read_b128 v[0:3], v25 offset:144
	s_waitcnt lgkmcnt(0)
	buffer_store_dword v0, off, s[0:3], s32 offset:612 ; 4-byte Folded Spill
	buffer_store_dword v1, off, s[0:3], s32 offset:616 ; 4-byte Folded Spill
	buffer_store_dword v2, off, s[0:3], s32 offset:620 ; 4-byte Folded Spill
	buffer_store_dword v3, off, s[0:3], s32 offset:624 ; 4-byte Folded Spill
	ds_read_b128 v[0:3], v25 offset:160
	s_waitcnt lgkmcnt(0)
	buffer_store_dword v0, off, s[0:3], s32 offset:628 ; 4-byte Folded Spill
	buffer_store_dword v1, off, s[0:3], s32 offset:632 ; 4-byte Folded Spill
	buffer_store_dword v2, off, s[0:3], s32 offset:636 ; 4-byte Folded Spill
	buffer_store_dword v3, off, s[0:3], s32 offset:640 ; 4-byte Folded Spill
	ds_read_b128 v[0:3], v25 offset:176
	s_waitcnt lgkmcnt(0)
	buffer_store_dword v0, off, s[0:3], s32 offset:644 ; 4-byte Folded Spill
	buffer_store_dword v1, off, s[0:3], s32 offset:648 ; 4-byte Folded Spill
	buffer_store_dword v2, off, s[0:3], s32 offset:652 ; 4-byte Folded Spill
	buffer_store_dword v3, off, s[0:3], s32 offset:656 ; 4-byte Folded Spill
	ds_read_b128 v[0:3], v25 offset:192
	s_waitcnt lgkmcnt(0)
	buffer_store_dword v0, off, s[0:3], s32 offset:660 ; 4-byte Folded Spill
	buffer_store_dword v1, off, s[0:3], s32 offset:664 ; 4-byte Folded Spill
	buffer_store_dword v2, off, s[0:3], s32 offset:668 ; 4-byte Folded Spill
	buffer_store_dword v3, off, s[0:3], s32 offset:672 ; 4-byte Folded Spill
	ds_read_b128 v[0:3], v25 offset:208
	s_waitcnt lgkmcnt(0)
	buffer_store_dword v0, off, s[0:3], s32 offset:676 ; 4-byte Folded Spill
	buffer_store_dword v1, off, s[0:3], s32 offset:680 ; 4-byte Folded Spill
	buffer_store_dword v2, off, s[0:3], s32 offset:684 ; 4-byte Folded Spill
	buffer_store_dword v3, off, s[0:3], s32 offset:688 ; 4-byte Folded Spill
	ds_read_b128 v[0:3], v25 offset:224
	s_waitcnt lgkmcnt(0)
	buffer_store_dword v0, off, s[0:3], s32 offset:692 ; 4-byte Folded Spill
	buffer_store_dword v1, off, s[0:3], s32 offset:696 ; 4-byte Folded Spill
	buffer_store_dword v2, off, s[0:3], s32 offset:700 ; 4-byte Folded Spill
	buffer_store_dword v3, off, s[0:3], s32 offset:704 ; 4-byte Folded Spill
	ds_read_b128 v[0:3], v25 offset:240
	s_waitcnt lgkmcnt(0)
	buffer_store_dword v0, off, s[0:3], s32 offset:708 ; 4-byte Folded Spill
	buffer_store_dword v1, off, s[0:3], s32 offset:712 ; 4-byte Folded Spill
	buffer_store_dword v2, off, s[0:3], s32 offset:716 ; 4-byte Folded Spill
	buffer_store_dword v3, off, s[0:3], s32 offset:720 ; 4-byte Folded Spill
	ds_read_b128 v[0:3], v25 offset:256
	s_waitcnt lgkmcnt(0)
	buffer_store_dword v0, off, s[0:3], s32 offset:724 ; 4-byte Folded Spill
	buffer_store_dword v1, off, s[0:3], s32 offset:728 ; 4-byte Folded Spill
	buffer_store_dword v2, off, s[0:3], s32 offset:732 ; 4-byte Folded Spill
	buffer_store_dword v3, off, s[0:3], s32 offset:736 ; 4-byte Folded Spill
	ds_read_b128 v[0:3], v25 offset:272
	s_waitcnt lgkmcnt(0)
	buffer_store_dword v0, off, s[0:3], s32 offset:740 ; 4-byte Folded Spill
	buffer_store_dword v1, off, s[0:3], s32 offset:744 ; 4-byte Folded Spill
	buffer_store_dword v2, off, s[0:3], s32 offset:748 ; 4-byte Folded Spill
	buffer_store_dword v3, off, s[0:3], s32 offset:752 ; 4-byte Folded Spill
	ds_read_b128 v[0:3], v25 offset:288
	s_waitcnt lgkmcnt(0)
	buffer_store_dword v0, off, s[0:3], s32 offset:756 ; 4-byte Folded Spill
	buffer_store_dword v1, off, s[0:3], s32 offset:760 ; 4-byte Folded Spill
	buffer_store_dword v2, off, s[0:3], s32 offset:764 ; 4-byte Folded Spill
	buffer_store_dword v3, off, s[0:3], s32 offset:768 ; 4-byte Folded Spill
	ds_read_b128 v[0:3], v25 offset:304
	s_waitcnt lgkmcnt(0)
	buffer_store_dword v0, off, s[0:3], s32 offset:772 ; 4-byte Folded Spill
	buffer_store_dword v1, off, s[0:3], s32 offset:776 ; 4-byte Folded Spill
	buffer_store_dword v2, off, s[0:3], s32 offset:780 ; 4-byte Folded Spill
	buffer_store_dword v3, off, s[0:3], s32 offset:784 ; 4-byte Folded Spill
	buffer_store_dword v9, off, s[0:3], s32 offset:788 ; 4-byte Folded Spill
	s_branch .LBB204_15
.LBB204_10:                             ;   in Loop: Header=BB204_15 Depth=1
	s_or_b32 exec_lo, exec_lo, s21
	v_mov_b32_e32 v31, 24
	v_lshlrev_b32_e32 v24, 20, v24
	v_lshl_add_u32 v4, v4, 23, 0x3c000000
	v_mov_b32_e32 v76, v25
	v_lshlrev_b32_sdwa v31, v31, v34 dst_sel:DWORD dst_unused:UNUSED_PAD src0_sel:DWORD src1_sel:BYTE_3
	v_and_b32_e32 v31, 0x80000000, v31
	v_or3_b32 v77, v24, v31, v4
.LBB204_11:                             ;   in Loop: Header=BB204_15 Depth=1
	s_or_b32 exec_lo, exec_lo, s20
.LBB204_12:                             ;   in Loop: Header=BB204_15 Depth=1
	s_or_b32 exec_lo, exec_lo, s19
.LBB204_13:                             ;   in Loop: Header=BB204_15 Depth=1
	s_or_b32 exec_lo, exec_lo, s18
	v_or_b32_e32 v1, v1, v3
	v_or_b32_e32 v0, v0, v2
	s_clause 0x1
	buffer_load_dword v2, off, s[0:3], s32 offset:412
	buffer_load_dword v3, off, s[0:3], s32 offset:416
	v_or_b32_e32 v55, v65, v55
	v_or_b32_e32 v65, v66, v68
	;; [unrolled: 1-line block ×35, first 2 shown]
	v_mul_f32_e32 v39, v33, v39
	v_or_b32_e32 v20, v109, v20
	v_or_b32_e32 v34, v108, v19
	;; [unrolled: 1-line block ×5, first 2 shown]
	v_mul_f32_e32 v20, v33, v20
	v_or_b32_e32 v19, v111, v105
	v_mul_f32_e32 v34, v33, v34
	v_or_b32_e32 v8, v8, v28
	v_or_b32_e32 v24, v7, v27
	;; [unrolled: 1-line block ×5, first 2 shown]
	v_mul_f32_e32 v19, v33, v19
	v_or_b32_e32 v27, v127, v121
	v_mul_f32_e32 v11, v33, v11
	v_mul_f32_e32 v13, v33, v13
	;; [unrolled: 1-line block ×4, first 2 shown]
	s_waitcnt vmcnt(1)
	v_or_b32_e32 v66, v48, v2
	s_waitcnt vmcnt(0)
	v_or_b32_e32 v49, v49, v3
	v_or_b32_e32 v48, v51, v53
	s_clause 0x3
	buffer_load_dword v2, off, s[0:3], s32 offset:380
	buffer_load_dword v3, off, s[0:3], s32 offset:384
	buffer_load_dword v52, off, s[0:3], s32 offset:388
	buffer_load_dword v53, off, s[0:3], s32 offset:392
	v_mul_f32_e32 v49, v33, v49
	v_mul_f32_e32 v48, v33, v48
	s_waitcnt vmcnt(0)
	v_or_b32_e32 v51, v53, v3
	v_or_b32_e32 v53, v52, v2
	s_clause 0x3
	buffer_load_dword v2, off, s[0:3], s32 offset:396
	buffer_load_dword v3, off, s[0:3], s32 offset:400
	buffer_load_dword v67, off, s[0:3], s32 offset:404
	buffer_load_dword v68, off, s[0:3], s32 offset:408
	v_mul_f32_e32 v51, v33, v51
	v_mul_f32_e32 v53, v33, v53
	s_waitcnt vmcnt(1)
	v_or_b32_e32 v67, v2, v67
	s_waitcnt vmcnt(0)
	v_or_b32_e32 v52, v3, v68
	s_clause 0x3
	buffer_load_dword v2, off, s[0:3], s32 offset:348
	buffer_load_dword v3, off, s[0:3], s32 offset:352
	buffer_load_dword v82, off, s[0:3], s32 offset:356
	buffer_load_dword v83, off, s[0:3], s32 offset:360
	s_waitcnt vmcnt(1)
	v_or_b32_e32 v82, v82, v2
	s_waitcnt vmcnt(0)
	v_or_b32_e32 v68, v83, v3
	s_clause 0x3
	buffer_load_dword v2, off, s[0:3], s32 offset:364
	buffer_load_dword v3, off, s[0:3], s32 offset:368
	buffer_load_dword v83, off, s[0:3], s32 offset:372
	buffer_load_dword v84, off, s[0:3], s32 offset:376
	v_mul_f32_e32 v82, v33, v82
	v_mul_f32_e32 v68, v33, v68
	s_waitcnt vmcnt(1)
	v_or_b32_e32 v83, v2, v83
	s_waitcnt vmcnt(0)
	v_or_b32_e32 v69, v3, v84
	s_clause 0x3
	buffer_load_dword v2, off, s[0:3], s32 offset:316
	buffer_load_dword v3, off, s[0:3], s32 offset:320
	buffer_load_dword v98, off, s[0:3], s32 offset:324
	buffer_load_dword v99, off, s[0:3], s32 offset:328
	s_waitcnt vmcnt(1)
	v_or_b32_e32 v98, v98, v2
	s_waitcnt vmcnt(0)
	;; [unrolled: 20-line block ×4, first 2 shown]
	v_or_b32_e32 v117, v117, v3
	s_clause 0x3
	buffer_load_dword v2, off, s[0:3], s32 offset:268
	buffer_load_dword v3, off, s[0:3], s32 offset:272
	;; [unrolled: 1-line block ×4, first 2 shown]
	s_waitcnt vmcnt(1)
	v_or_b32_e32 v41, v2, v41
	s_waitcnt vmcnt(0)
	v_or_b32_e32 v116, v3, v42
	s_clause 0x3
	buffer_load_dword v2, off, s[0:3], s32 offset:220
	buffer_load_dword v3, off, s[0:3], s32 offset:224
	;; [unrolled: 1-line block ×4, first 2 shown]
	s_waitcnt vmcnt(0)
	v_or_b32_e32 v44, v59, v3
	v_or_b32_e32 v59, v58, v2
	s_clause 0x7
	buffer_load_dword v2, off, s[0:3], s32 offset:236
	buffer_load_dword v3, off, s[0:3], s32 offset:240
	;; [unrolled: 1-line block ×8, first 2 shown]
	s_waitcnt vmcnt(5)
	v_or_b32_e32 v58, v2, v60
	s_waitcnt vmcnt(4)
	v_or_b32_e32 v42, v3, v61
	v_or_b32_e32 v2, v15, v36
	;; [unrolled: 1-line block ×5, first 2 shown]
	s_clause 0x3
	buffer_load_dword v74, off, s[0:3], s32 offset:464
	buffer_load_dword v75, off, s[0:3], s32 offset:468
	buffer_load_dword v76, off, s[0:3], s32 offset:472
	buffer_load_dword v77, off, s[0:3], s32 offset:476
	v_mul_f32_e32 v15, v33, v43
	v_mul_f32_e32 v16, v33, v59
	;; [unrolled: 1-line block ×3, first 2 shown]
	s_waitcnt vmcnt(7)
	v_mul_f32_e32 v15, v88, v15
	s_waitcnt vmcnt(3)
	v_fmac_f32_e32 v15, v74, v16
	v_mul_f32_e32 v16, v33, v117
	v_mul_f32_e32 v35, v89, v16
	;; [unrolled: 1-line block ×3, first 2 shown]
	s_waitcnt vmcnt(2)
	v_fmac_f32_e32 v35, v75, v17
	v_mul_f32_e32 v17, v33, v58
	v_mul_f32_e32 v16, v90, v16
	s_waitcnt vmcnt(1)
	v_fmac_f32_e32 v16, v76, v17
	v_mul_f32_e32 v17, v33, v116
	v_mul_f32_e32 v116, v33, v42
	s_clause 0x3
	buffer_load_dword v41, off, s[0:3], s32 offset:496
	buffer_load_dword v42, off, s[0:3], s32 offset:500
	buffer_load_dword v43, off, s[0:3], s32 offset:504
	buffer_load_dword v44, off, s[0:3], s32 offset:508
	v_mul_f32_e32 v17, v91, v17
	s_waitcnt vmcnt(4)
	v_fmac_f32_e32 v17, v77, v116
	s_waitcnt vmcnt(3)
	v_fmac_f32_e32 v15, v41, v114
	s_waitcnt vmcnt(2)
	v_fmac_f32_e32 v35, v42, v100
	v_mul_f32_e32 v100, v33, v115
	s_clause 0x3
	buffer_load_dword v114, off, s[0:3], s32 offset:512
	buffer_load_dword v115, off, s[0:3], s32 offset:516
	buffer_load_dword v116, off, s[0:3], s32 offset:520
	buffer_load_dword v117, off, s[0:3], s32 offset:524
	s_waitcnt vmcnt(5)
	v_fmac_f32_e32 v16, v43, v100
	v_mul_f32_e32 v100, v33, v101
	s_waitcnt vmcnt(4)
	v_fmac_f32_e32 v17, v44, v100
	s_waitcnt vmcnt(3)
	v_fmac_f32_e32 v15, v114, v98
	s_waitcnt vmcnt(2)
	v_fmac_f32_e32 v35, v115, v84
	v_mul_f32_e32 v84, v33, v99
	s_clause 0x3
	buffer_load_dword v98, off, s[0:3], s32 offset:528
	buffer_load_dword v99, off, s[0:3], s32 offset:532
	buffer_load_dword v100, off, s[0:3], s32 offset:536
	buffer_load_dword v101, off, s[0:3], s32 offset:540
	s_waitcnt vmcnt(5)
	v_fmac_f32_e32 v16, v116, v84
	v_mul_f32_e32 v84, v33, v85
	s_waitcnt vmcnt(4)
	v_fmac_f32_e32 v17, v117, v84
	s_waitcnt vmcnt(3)
	v_fmac_f32_e32 v15, v98, v82
	s_waitcnt vmcnt(2)
	v_fmac_f32_e32 v35, v99, v68
	v_mul_f32_e32 v68, v33, v83
	s_clause 0x3
	buffer_load_dword v82, off, s[0:3], s32 offset:544
	buffer_load_dword v83, off, s[0:3], s32 offset:548
	buffer_load_dword v84, off, s[0:3], s32 offset:552
	buffer_load_dword v85, off, s[0:3], s32 offset:556
	s_waitcnt vmcnt(5)
	v_fmac_f32_e32 v16, v100, v68
	v_mul_f32_e32 v68, v33, v69
	s_waitcnt vmcnt(4)
	v_fmac_f32_e32 v17, v101, v68
	s_waitcnt vmcnt(3)
	v_fmac_f32_e32 v15, v82, v53
	;; [unrolled: 2-line block ×3, first 2 shown]
	v_mul_f32_e32 v51, v33, v67
	s_waitcnt vmcnt(1)
	v_fmac_f32_e32 v16, v84, v51
	v_mul_f32_e32 v51, v33, v52
	s_waitcnt vmcnt(0)
	v_fmac_f32_e32 v17, v85, v51
	v_mul_f32_e32 v51, v33, v66
	s_clause 0x3
	buffer_load_dword v66, off, s[0:3], s32 offset:564
	buffer_load_dword v67, off, s[0:3], s32 offset:568
	;; [unrolled: 1-line block ×4, first 2 shown]
	s_waitcnt vmcnt(3)
	v_fmac_f32_e32 v15, v66, v51
	s_waitcnt vmcnt(2)
	v_fmac_f32_e32 v35, v67, v49
	v_mul_f32_e32 v49, v33, v50
	s_waitcnt vmcnt(0)
	v_fmac_f32_e32 v17, v69, v48
	v_mul_f32_e32 v48, v33, v64
	v_fmac_f32_e32 v16, v68, v49
	s_clause 0x3
	buffer_load_dword v49, off, s[0:3], s32 offset:580
	buffer_load_dword v50, off, s[0:3], s32 offset:584
	;; [unrolled: 1-line block ×4, first 2 shown]
	s_waitcnt vmcnt(3)
	v_fmac_f32_e32 v15, v49, v48
	v_mul_f32_e32 v48, v33, v55
	s_waitcnt vmcnt(2)
	v_fmac_f32_e32 v35, v50, v48
	v_mul_f32_e32 v48, v33, v65
	s_waitcnt vmcnt(1)
	v_fmac_f32_e32 v16, v51, v48
	v_mul_f32_e32 v48, v33, v54
	s_waitcnt vmcnt(0)
	v_fmac_f32_e32 v17, v52, v48
	s_clause 0x3
	buffer_load_dword v49, off, s[0:3], s32 offset:596
	buffer_load_dword v50, off, s[0:3], s32 offset:600
	buffer_load_dword v51, off, s[0:3], s32 offset:604
	buffer_load_dword v52, off, s[0:3], s32 offset:608
	v_mul_f32_e32 v48, v33, v80
	s_waitcnt vmcnt(3)
	v_fmac_f32_e32 v15, v49, v48
	v_mul_f32_e32 v48, v33, v71
	s_waitcnt vmcnt(2)
	v_fmac_f32_e32 v35, v50, v48
	v_mul_f32_e32 v48, v33, v81
	s_waitcnt vmcnt(1)
	v_fmac_f32_e32 v16, v51, v48
	v_mul_f32_e32 v48, v33, v70
	s_waitcnt vmcnt(0)
	v_fmac_f32_e32 v17, v52, v48
	s_clause 0x3
	buffer_load_dword v49, off, s[0:3], s32 offset:612
	buffer_load_dword v50, off, s[0:3], s32 offset:616
	buffer_load_dword v51, off, s[0:3], s32 offset:620
	buffer_load_dword v52, off, s[0:3], s32 offset:624
	v_mul_f32_e32 v48, v33, v96
	;; [unrolled: 17-line block ×4, first 2 shown]
	s_waitcnt vmcnt(3)
	v_fmac_f32_e32 v15, v49, v48
	v_mul_f32_e32 v48, v33, v119
	s_waitcnt vmcnt(0)
	v_fmac_f32_e32 v17, v52, v39
	v_mul_f32_e32 v39, v33, v56
	v_fmac_f32_e32 v35, v50, v48
	v_mul_f32_e32 v48, v33, v40
	v_fmac_f32_e32 v16, v51, v48
	s_clause 0x7
	buffer_load_dword v48, off, s[0:3], s32 offset:660
	buffer_load_dword v49, off, s[0:3], s32 offset:664
	;; [unrolled: 1-line block ×8, first 2 shown]
	s_waitcnt vmcnt(7)
	v_fmac_f32_e32 v15, v48, v39
	v_mul_f32_e32 v39, v33, v46
	s_waitcnt vmcnt(6)
	v_fmac_f32_e32 v35, v49, v39
	v_mul_f32_e32 v39, v33, v57
	;; [unrolled: 3-line block ×5, first 2 shown]
	v_fmac_f32_e32 v17, v51, v39
	s_clause 0x3
	buffer_load_dword v48, off, s[0:3], s32 offset:692
	buffer_load_dword v49, off, s[0:3], s32 offset:696
	;; [unrolled: 1-line block ×4, first 2 shown]
	v_mul_f32_e32 v39, v33, v72
	s_waitcnt vmcnt(5)
	v_fmac_f32_e32 v16, v54, v39
	s_waitcnt vmcnt(3)
	v_fmac_f32_e32 v15, v48, v34
	;; [unrolled: 2-line block ×3, first 2 shown]
	v_mul_f32_e32 v20, v33, v62
	v_fmac_f32_e32 v17, v55, v20
	s_clause 0x3
	buffer_load_dword v52, off, s[0:3], s32 offset:708
	buffer_load_dword v53, off, s[0:3], s32 offset:712
	;; [unrolled: 1-line block ×4, first 2 shown]
	v_mul_f32_e32 v20, v33, v31
	s_waitcnt vmcnt(4)
	v_fmac_f32_e32 v17, v51, v19
	v_mul_f32_e32 v19, v33, v29
	v_fmac_f32_e32 v16, v50, v20
	v_mul_f32_e32 v20, v33, v30
	s_waitcnt vmcnt(3)
	v_fmac_f32_e32 v15, v52, v20
	v_mul_f32_e32 v20, v33, v28
	s_clause 0x3
	buffer_load_dword v28, off, s[0:3], s32 offset:724
	buffer_load_dword v29, off, s[0:3], s32 offset:728
	;; [unrolled: 1-line block ×4, first 2 shown]
	s_waitcnt vmcnt(5)
	v_fmac_f32_e32 v16, v54, v19
	v_fmac_f32_e32 v35, v53, v20
	s_waitcnt vmcnt(3)
	v_fmac_f32_e32 v15, v28, v13
	s_waitcnt vmcnt(2)
	v_fmac_f32_e32 v35, v29, v11
	v_mul_f32_e32 v11, v33, v27
	v_fmac_f32_e32 v17, v55, v11
	v_mul_f32_e32 v11, v33, v12
	s_waitcnt vmcnt(0)
	v_fmac_f32_e32 v17, v31, v10
	v_fmac_f32_e32 v16, v30, v11
	s_clause 0x3
	buffer_load_dword v27, off, s[0:3], s32 offset:740
	buffer_load_dword v28, off, s[0:3], s32 offset:744
	;; [unrolled: 1-line block ×4, first 2 shown]
	v_mul_f32_e32 v11, v33, v21
	s_waitcnt vmcnt(3)
	v_fmac_f32_e32 v15, v27, v11
	v_mul_f32_e32 v11, v33, v22
	s_waitcnt vmcnt(1)
	v_fmac_f32_e32 v16, v29, v0
	v_mul_f32_e32 v0, v33, v24
	v_mov_b32_e32 v24, v9
	v_fmac_f32_e32 v35, v28, v11
	s_clause 0x7
	buffer_load_dword v10, off, s[0:3], s32 offset:756
	buffer_load_dword v11, off, s[0:3], s32 offset:760
	;; [unrolled: 1-line block ×8, first 2 shown]
	s_load_dword s18, s[8:9], 0x0
	s_waitcnt vmcnt(7)
	v_fmac_f32_e32 v15, v10, v0
	v_mul_f32_e32 v0, v33, v8
	s_waitcnt vmcnt(6)
	v_fmac_f32_e32 v35, v11, v0
	v_mul_f32_e32 v0, v33, v1
	v_mul_f32_e32 v1, v33, v36
	v_fmac_f32_e32 v17, v30, v0
	v_mul_f32_e32 v0, v33, v7
	s_waitcnt vmcnt(5)
	v_fmac_f32_e32 v16, v12, v0
	v_mul_f32_e32 v0, v33, v3
	s_waitcnt vmcnt(1)
	v_fmac_f32_e32 v16, v21, v1
	v_fmac_f32_e32 v15, v19, v0
	v_mul_f32_e32 v0, v33, v2
	buffer_load_dword v1, off, s[0:3], s32 offset:560 ; 4-byte Folded Reload
	v_mul_f32_e32 v2, v33, v14
	v_fmac_f32_e32 v35, v20, v0
	v_mul_f32_e32 v0, v33, v4
	v_fmac_f32_e32 v17, v13, v0
	v_add_f32_e32 v0, v15, v35
	s_waitcnt vmcnt(1)
	v_fmac_f32_e32 v17, v22, v2
	buffer_load_dword v2, off, s[0:3], s32 offset:436 ; 4-byte Folded Reload
	v_add_f32_e32 v0, v16, v0
	v_add_f32_e32 v0, v17, v0
	s_waitcnt vmcnt(1)
	v_add_nc_u32_e32 v1, v1, v6
	v_cvt_f32_i32_e32 v1, v1
	s_waitcnt vmcnt(0)
	v_mul_f32_e32 v1, v2, v1
	buffer_load_dword v2, off, s[0:3], s32 offset:788 ; 4-byte Folded Reload
	v_cndmask_b32_e32 v1, 0, v1, vcc_lo
	s_waitcnt vmcnt(0)
	v_fmac_f32_e32 v1, v2, v0
	buffer_load_dword v0, off, s[0:3], s32 offset:432 ; 4-byte Folded Reload
	s_waitcnt vmcnt(0)
	v_add_nc_u32_e32 v0, v0, v6
	v_cmp_lt_i32_e64 s5, v0, v47
	s_waitcnt lgkmcnt(0)
	v_add_nc_u32_e32 v0, s18, v26
	v_cndmask_b32_e64 v2, 0, v1, s5
	ds_write_b32 v0, v2
	v_max_f32_e32 v0, v24, v24
	v_max_f32_e32 v0, v0, v1
	v_cndmask_b32_e64 v24, v24, v0, s5
.LBB204_14:                             ;   in Loop: Header=BB204_15 Depth=1
	s_or_b32 exec_lo, exec_lo, s6
	buffer_load_dword v0, off, s[0:3], s32 offset:192 ; 4-byte Folded Reload
	v_add_nc_u32_e32 v38, 4, v38
	v_add_co_u32 v92, s5, v92, 16
	v_add_co_ci_u32_e64 v93, null, 0, v93, s5
	v_add_nc_u32_e32 v6, 0x80, v6
	v_add_nc_u32_e32 v26, 0x200, v26
	s_waitcnt vmcnt(0)
	v_cmp_ge_i32_e64 s5, v38, v0
	s_or_b32 s17, s5, s17
	s_andn2_b32 exec_lo, exec_lo, s17
	s_cbranch_execz .LBB204_655
.LBB204_15:                             ; =>This Inner Loop Header: Depth=1
	s_clause 0x1
	buffer_load_dword v0, off, s[0:3], s32 offset:212
	buffer_load_dword v4, off, s[0:3], s32 offset:208
	s_waitcnt vmcnt(1)
	v_mul_hi_u32 v0, v6, v0
	s_waitcnt vmcnt(0)
	v_mul_lo_u32 v1, v0, v4
	v_add_nc_u32_e32 v2, 1, v0
	v_sub_nc_u32_e32 v1, v6, v1
	v_sub_nc_u32_e32 v3, v1, v4
	v_cmp_ge_u32_e64 s5, v1, v4
	v_cndmask_b32_e64 v1, v1, v3, s5
	v_cndmask_b32_e64 v0, v0, v2, s5
	v_cmp_ge_u32_e64 s5, v1, v4
	buffer_load_dword v1, off, s[0:3], s32 offset:204 ; 4-byte Folded Reload
	v_add_nc_u32_e32 v2, 1, v0
	v_cndmask_b32_e64 v0, v0, v2, s5
	s_waitcnt vmcnt(0)
	v_xor_b32_e32 v0, v0, v1
	v_sub_nc_u32_e32 v0, v0, v1
	s_clause 0x3
	buffer_load_dword v1, off, s[0:3], s32 offset:196
	buffer_load_dword v2, off, s[0:3], s32 offset:200
	;; [unrolled: 1-line block ×4, first 2 shown]
	s_waitcnt vmcnt(3)
	v_add_nc_u32_e32 v1, v0, v1
	s_waitcnt vmcnt(2)
	v_sub_nc_u32_e32 v2, 0, v1
	v_max_i32_e32 v2, v1, v2
	v_ashrrev_i32_e32 v1, 31, v1
	s_waitcnt vmcnt(1)
	v_mul_hi_u32 v3, v2, v3
	s_waitcnt vmcnt(0)
	v_mul_lo_u32 v3, v3, v4
	v_sub_nc_u32_e32 v2, v2, v3
	v_sub_nc_u32_e32 v3, v2, v4
	v_cmp_ge_u32_e64 s5, v2, v4
	v_cndmask_b32_e64 v2, v2, v3, s5
	v_sub_nc_u32_e32 v3, v2, v4
	v_cmp_ge_u32_e64 s5, v2, v4
	v_cndmask_b32_e64 v2, v2, v3, s5
	v_xor_b32_e32 v2, v2, v1
	v_sub_nc_u32_e32 v1, v2, v1
	v_cmp_ne_u32_e64 s5, 0, v1
	buffer_load_dword v1, off, s[0:3], s32 offset:216 ; 4-byte Folded Reload
	s_waitcnt vmcnt(0)
	v_cmp_le_i32_e64 s6, v0, v1
	s_and_b32 s5, s5, s6
	s_and_saveexec_b32 s6, s5
	s_xor_b32 s5, exec_lo, s6
; %bb.16:                               ;   in Loop: Header=BB204_15 Depth=1
	v_add_nc_u32_e32 v0, s15, v26
	v_mov_b32_e32 v1, 0xff7fffff
	ds_write_b32 v0, v1
; %bb.17:                               ;   in Loop: Header=BB204_15 Depth=1
	s_andn2_saveexec_b32 s6, s5
	s_cbranch_execz .LBB204_14
; %bb.18:                               ;   in Loop: Header=BB204_15 Depth=1
	flat_load_dword v0, v[92:93]
	s_clause 0x2
	buffer_load_dword v1, off, s[0:3], s32 offset:420
	buffer_load_dword v2, off, s[0:3], s32 offset:456
	;; [unrolled: 1-line block ×3, first 2 shown]
	v_mov_b32_e32 v9, v24
	s_waitcnt vmcnt(0) lgkmcnt(0)
	v_mad_i64_i32 v[12:13], null, v0, v1, v[2:3]
	flat_load_dword v0, v[12:13]
	s_clause 0x1
	buffer_load_dword v1, off, s[0:3], s32 offset:448
	buffer_load_dword v2, off, s[0:3], s32 offset:452
	s_waitcnt vmcnt(2) lgkmcnt(0)
	v_cmp_ne_u16_sdwa s5, v0, v25 src0_sel:BYTE_0 src1_sel:DWORD
	s_waitcnt vmcnt(0)
	flat_load_dword v33, v[1:2]
	v_mov_b32_e32 v1, 0
	v_mov_b32_e32 v2, 0
	buffer_store_dword v1, off, s[0:3], s32 offset:228 ; 4-byte Folded Spill
	buffer_store_dword v2, off, s[0:3], s32 offset:232 ; 4-byte Folded Spill
	v_mov_b32_e32 v1, 0
	v_mov_b32_e32 v2, 0
	buffer_store_dword v1, off, s[0:3], s32 offset:220 ; 4-byte Folded Spill
	buffer_store_dword v2, off, s[0:3], s32 offset:224 ; 4-byte Folded Spill
	s_and_saveexec_b32 s18, s5
	s_cbranch_execz .LBB204_26
; %bb.19:                               ;   in Loop: Header=BB204_15 Depth=1
	v_bfrev_b32_e32 v1, 1
	v_mov_b32_e32 v2, 0
	v_cmp_ne_u16_sdwa s5, v0, v18 src0_sel:BYTE_0 src1_sel:DWORD
	buffer_store_dword v1, off, s[0:3], s32 offset:220 ; 4-byte Folded Spill
	buffer_store_dword v2, off, s[0:3], s32 offset:224 ; 4-byte Folded Spill
	s_and_saveexec_b32 s19, s5
	s_cbranch_execz .LBB204_25
; %bb.20:                               ;   in Loop: Header=BB204_15 Depth=1
	v_mov_b32_e32 v3, 0x7f800001
	v_and_b32_e32 v2, 0x7f, v0
	v_mov_b32_e32 v4, 0
	s_mov_b32 s20, exec_lo
	buffer_store_dword v3, off, s[0:3], s32 offset:220 ; 4-byte Folded Spill
	buffer_store_dword v4, off, s[0:3], s32 offset:224 ; 4-byte Folded Spill
	v_cmpx_ne_u32_e32 0x7f, v2
	s_cbranch_execz .LBB204_24
; %bb.21:                               ;   in Loop: Header=BB204_15 Depth=1
	v_and_b32_e32 v24, 7, v0
	v_lshrrev_b32_e32 v1, 3, v2
	s_mov_b32 s21, exec_lo
	v_cmpx_gt_u32_e32 8, v2
; %bb.22:                               ;   in Loop: Header=BB204_15 Depth=1
	v_ffbh_u32_e32 v1, v24
	v_min_u32_e32 v1, 32, v1
	v_subrev_nc_u32_e32 v2, 28, v1
	v_sub_nc_u32_e32 v1, 29, v1
	v_lshlrev_b64 v[2:3], v2, v[24:25]
	v_and_b32_e32 v24, 7, v2
; %bb.23:                               ;   in Loop: Header=BB204_15 Depth=1
	s_or_b32 exec_lo, exec_lo, s21
	v_lshlrev_b32_e32 v2, 24, v0
	v_lshlrev_b32_e32 v3, 20, v24
	v_lshl_add_u32 v1, v1, 23, 0x3c000000
	v_and_b32_e32 v2, 0x80000000, v2
	v_or3_b32 v24, v3, v2, v1
	buffer_store_dword v24, off, s[0:3], s32 offset:220 ; 4-byte Folded Spill
	buffer_store_dword v25, off, s[0:3], s32 offset:224 ; 4-byte Folded Spill
.LBB204_24:                             ;   in Loop: Header=BB204_15 Depth=1
	s_or_b32 exec_lo, exec_lo, s20
.LBB204_25:                             ;   in Loop: Header=BB204_15 Depth=1
	s_or_b32 exec_lo, exec_lo, s19
.LBB204_26:                             ;   in Loop: Header=BB204_15 Depth=1
	s_or_b32 exec_lo, exec_lo, s18
	v_cmp_ne_u16_sdwa s5, v0, v25 src0_sel:BYTE_1 src1_sel:DWORD
	s_and_saveexec_b32 s18, s5
	s_cbranch_execz .LBB204_34
; %bb.27:                               ;   in Loop: Header=BB204_15 Depth=1
	v_mov_b32_e32 v31, v25
	v_cmp_ne_u16_sdwa s5, v0, v18 src0_sel:BYTE_1 src1_sel:DWORD
	buffer_store_dword v31, off, s[0:3], s32 offset:228 ; 4-byte Folded Spill
	buffer_store_dword v32, off, s[0:3], s32 offset:232 ; 4-byte Folded Spill
	s_and_saveexec_b32 s19, s5
	s_cbranch_execz .LBB204_33
; %bb.28:                               ;   in Loop: Header=BB204_15 Depth=1
	v_mov_b32_e32 v1, 0xffff
	v_mov_b32_e32 v4, v25
	s_mov_b32 s20, exec_lo
	buffer_store_dword v4, off, s[0:3], s32 offset:228 ; 4-byte Folded Spill
	buffer_store_dword v5, off, s[0:3], s32 offset:232 ; 4-byte Folded Spill
	v_and_b32_sdwa v1, v1, v0 dst_sel:DWORD dst_unused:UNUSED_PAD src0_sel:DWORD src1_sel:BYTE_1
	v_and_b32_e32 v2, 0x7f, v1
	v_cmpx_ne_u32_e32 0x7f, v2
	s_cbranch_execz .LBB204_32
; %bb.29:                               ;   in Loop: Header=BB204_15 Depth=1
	v_and_b32_e32 v24, 7, v1
	v_lshrrev_b32_e32 v1, 3, v2
	s_mov_b32 s21, exec_lo
	v_cmpx_gt_u32_e32 8, v2
; %bb.30:                               ;   in Loop: Header=BB204_15 Depth=1
	v_ffbh_u32_e32 v1, v24
	v_min_u32_e32 v1, 32, v1
	v_subrev_nc_u32_e32 v2, 28, v1
	v_sub_nc_u32_e32 v1, 29, v1
	v_lshlrev_b64 v[2:3], v2, v[24:25]
	v_and_b32_e32 v24, 7, v2
; %bb.31:                               ;   in Loop: Header=BB204_15 Depth=1
	s_or_b32 exec_lo, exec_lo, s21
	v_lshlrev_b32_e32 v2, 16, v0
	v_lshlrev_b32_e32 v3, 20, v24
	v_lshl_add_u32 v1, v1, 23, 0x3c000000
	v_and_b32_e32 v2, 0x80000000, v2
	v_or3_b32 v2, v3, v2, v1
	v_mov_b32_e32 v1, v25
	buffer_store_dword v1, off, s[0:3], s32 offset:228 ; 4-byte Folded Spill
	buffer_store_dword v2, off, s[0:3], s32 offset:232 ; 4-byte Folded Spill
.LBB204_32:                             ;   in Loop: Header=BB204_15 Depth=1
	s_or_b32 exec_lo, exec_lo, s20
.LBB204_33:                             ;   in Loop: Header=BB204_15 Depth=1
	s_or_b32 exec_lo, exec_lo, s19
.LBB204_34:                             ;   in Loop: Header=BB204_15 Depth=1
	s_or_b32 exec_lo, exec_lo, s18
	v_mov_b32_e32 v2, 0
	v_mov_b32_e32 v3, 0
	v_and_b32_sdwa v1, v0, v37 dst_sel:DWORD dst_unused:UNUSED_PAD src0_sel:WORD_1 src1_sel:DWORD
	s_mov_b32 s18, exec_lo
	buffer_store_dword v2, off, s[0:3], s32 offset:236 ; 4-byte Folded Spill
	buffer_store_dword v3, off, s[0:3], s32 offset:240 ; 4-byte Folded Spill
	v_mov_b32_e32 v2, 0
	v_mov_b32_e32 v3, 0
	buffer_store_dword v2, off, s[0:3], s32 offset:244 ; 4-byte Folded Spill
	buffer_store_dword v3, off, s[0:3], s32 offset:248 ; 4-byte Folded Spill
	v_cmpx_ne_u16_e32 0, v1
	s_cbranch_execz .LBB204_42
; %bb.35:                               ;   in Loop: Header=BB204_15 Depth=1
	v_cmp_ne_u16_e64 s5, 0x80, v1
	v_bfrev_b32_e32 v1, 1
	v_mov_b32_e32 v2, 0
	buffer_store_dword v1, off, s[0:3], s32 offset:244 ; 4-byte Folded Spill
	buffer_store_dword v2, off, s[0:3], s32 offset:248 ; 4-byte Folded Spill
	s_and_saveexec_b32 s19, s5
	s_cbranch_execz .LBB204_41
; %bb.36:                               ;   in Loop: Header=BB204_15 Depth=1
	v_mov_b32_e32 v3, 0x7f800001
	v_bfe_u32 v2, v0, 16, 7
	v_mov_b32_e32 v4, 0
	s_mov_b32 s20, exec_lo
	buffer_store_dword v3, off, s[0:3], s32 offset:244 ; 4-byte Folded Spill
	buffer_store_dword v4, off, s[0:3], s32 offset:248 ; 4-byte Folded Spill
	v_cmpx_ne_u32_e32 0x7f, v2
	s_cbranch_execz .LBB204_40
; %bb.37:                               ;   in Loop: Header=BB204_15 Depth=1
	v_mov_b32_e32 v1, 7
	s_mov_b32 s21, exec_lo
	v_and_b32_sdwa v24, v0, v1 dst_sel:DWORD dst_unused:UNUSED_PAD src0_sel:WORD_1 src1_sel:DWORD
	v_lshrrev_b32_e32 v1, 3, v2
	v_cmpx_gt_u32_e32 8, v2
; %bb.38:                               ;   in Loop: Header=BB204_15 Depth=1
	v_ffbh_u32_e32 v1, v24
	v_min_u32_e32 v1, 32, v1
	v_subrev_nc_u32_e32 v2, 28, v1
	v_sub_nc_u32_e32 v1, 29, v1
	v_lshlrev_b64 v[2:3], v2, v[24:25]
	v_and_b32_e32 v24, 7, v2
; %bb.39:                               ;   in Loop: Header=BB204_15 Depth=1
	s_or_b32 exec_lo, exec_lo, s21
	v_mov_b32_e32 v2, 24
	v_lshlrev_b32_e32 v3, 20, v24
	v_lshl_add_u32 v1, v1, 23, 0x3c000000
	v_lshlrev_b32_sdwa v2, v2, v0 dst_sel:DWORD dst_unused:UNUSED_PAD src0_sel:DWORD src1_sel:WORD_1
	v_and_b32_e32 v2, 0x80000000, v2
	v_or3_b32 v24, v3, v2, v1
	buffer_store_dword v24, off, s[0:3], s32 offset:244 ; 4-byte Folded Spill
	buffer_store_dword v25, off, s[0:3], s32 offset:248 ; 4-byte Folded Spill
.LBB204_40:                             ;   in Loop: Header=BB204_15 Depth=1
	s_or_b32 exec_lo, exec_lo, s20
.LBB204_41:                             ;   in Loop: Header=BB204_15 Depth=1
	s_or_b32 exec_lo, exec_lo, s19
.LBB204_42:                             ;   in Loop: Header=BB204_15 Depth=1
	s_or_b32 exec_lo, exec_lo, s18
	s_mov_b32 s18, exec_lo
	v_cmpx_lt_u32_e32 0xffffff, v0
	s_cbranch_execz .LBB204_50
; %bb.43:                               ;   in Loop: Header=BB204_15 Depth=1
	v_mov_b32_e32 v31, v25
	v_cmp_ne_u32_sdwa s5, v0, v18 src0_sel:BYTE_3 src1_sel:DWORD
	buffer_store_dword v31, off, s[0:3], s32 offset:236 ; 4-byte Folded Spill
	buffer_store_dword v32, off, s[0:3], s32 offset:240 ; 4-byte Folded Spill
	s_and_saveexec_b32 s19, s5
	s_cbranch_execz .LBB204_49
; %bb.44:                               ;   in Loop: Header=BB204_15 Depth=1
	v_bfe_u32 v2, v0, 24, 7
	v_mov_b32_e32 v4, v25
	s_mov_b32 s20, exec_lo
	buffer_store_dword v4, off, s[0:3], s32 offset:236 ; 4-byte Folded Spill
	buffer_store_dword v5, off, s[0:3], s32 offset:240 ; 4-byte Folded Spill
	v_cmpx_ne_u32_e32 0x7f, v2
	s_cbranch_execz .LBB204_48
; %bb.45:                               ;   in Loop: Header=BB204_15 Depth=1
	v_mov_b32_e32 v1, 7
	s_mov_b32 s21, exec_lo
	v_and_b32_sdwa v24, v0, v1 dst_sel:DWORD dst_unused:UNUSED_PAD src0_sel:BYTE_3 src1_sel:DWORD
	v_lshrrev_b32_e32 v1, 3, v2
	v_cmpx_gt_u32_e32 8, v2
; %bb.46:                               ;   in Loop: Header=BB204_15 Depth=1
	v_ffbh_u32_e32 v1, v24
	v_min_u32_e32 v1, 32, v1
	v_subrev_nc_u32_e32 v2, 28, v1
	v_sub_nc_u32_e32 v1, 29, v1
	v_lshlrev_b64 v[2:3], v2, v[24:25]
	v_and_b32_e32 v24, 7, v2
; %bb.47:                               ;   in Loop: Header=BB204_15 Depth=1
	s_or_b32 exec_lo, exec_lo, s21
	v_mov_b32_e32 v2, 24
	v_lshl_add_u32 v1, v1, 23, 0x3c000000
	v_lshlrev_b32_sdwa v0, v2, v0 dst_sel:DWORD dst_unused:UNUSED_PAD src0_sel:DWORD src1_sel:BYTE_3
	v_lshlrev_b32_e32 v2, 20, v24
	v_and_b32_e32 v0, 0x80000000, v0
	v_or3_b32 v1, v2, v0, v1
	v_mov_b32_e32 v0, v25
	buffer_store_dword v0, off, s[0:3], s32 offset:236 ; 4-byte Folded Spill
	buffer_store_dword v1, off, s[0:3], s32 offset:240 ; 4-byte Folded Spill
.LBB204_48:                             ;   in Loop: Header=BB204_15 Depth=1
	s_or_b32 exec_lo, exec_lo, s20
.LBB204_49:                             ;   in Loop: Header=BB204_15 Depth=1
	s_or_b32 exec_lo, exec_lo, s19
.LBB204_50:                             ;   in Loop: Header=BB204_15 Depth=1
	s_or_b32 exec_lo, exec_lo, s18
	flat_load_dword v0, v[12:13] offset:4
	v_mov_b32_e32 v1, 0
	v_mov_b32_e32 v2, 0
	buffer_store_dword v1, off, s[0:3], s32 offset:260 ; 4-byte Folded Spill
	buffer_store_dword v2, off, s[0:3], s32 offset:264 ; 4-byte Folded Spill
	v_mov_b32_e32 v1, 0
	v_mov_b32_e32 v2, 0
	buffer_store_dword v1, off, s[0:3], s32 offset:252 ; 4-byte Folded Spill
	buffer_store_dword v2, off, s[0:3], s32 offset:256 ; 4-byte Folded Spill
	s_waitcnt vmcnt(0) lgkmcnt(0)
	v_cmp_ne_u16_sdwa s5, v0, v25 src0_sel:BYTE_0 src1_sel:DWORD
	s_and_saveexec_b32 s18, s5
	s_cbranch_execz .LBB204_58
; %bb.51:                               ;   in Loop: Header=BB204_15 Depth=1
	v_bfrev_b32_e32 v1, 1
	v_mov_b32_e32 v2, 0
	v_cmp_ne_u16_sdwa s5, v0, v18 src0_sel:BYTE_0 src1_sel:DWORD
	buffer_store_dword v1, off, s[0:3], s32 offset:252 ; 4-byte Folded Spill
	buffer_store_dword v2, off, s[0:3], s32 offset:256 ; 4-byte Folded Spill
	s_and_saveexec_b32 s19, s5
	s_cbranch_execz .LBB204_57
; %bb.52:                               ;   in Loop: Header=BB204_15 Depth=1
	v_mov_b32_e32 v3, 0x7f800001
	v_and_b32_e32 v2, 0x7f, v0
	v_mov_b32_e32 v4, 0
	s_mov_b32 s20, exec_lo
	buffer_store_dword v3, off, s[0:3], s32 offset:252 ; 4-byte Folded Spill
	buffer_store_dword v4, off, s[0:3], s32 offset:256 ; 4-byte Folded Spill
	v_cmpx_ne_u32_e32 0x7f, v2
	s_cbranch_execz .LBB204_56
; %bb.53:                               ;   in Loop: Header=BB204_15 Depth=1
	v_and_b32_e32 v24, 7, v0
	v_lshrrev_b32_e32 v1, 3, v2
	s_mov_b32 s21, exec_lo
	v_cmpx_gt_u32_e32 8, v2
; %bb.54:                               ;   in Loop: Header=BB204_15 Depth=1
	v_ffbh_u32_e32 v1, v24
	v_min_u32_e32 v1, 32, v1
	v_subrev_nc_u32_e32 v2, 28, v1
	v_sub_nc_u32_e32 v1, 29, v1
	v_lshlrev_b64 v[2:3], v2, v[24:25]
	v_and_b32_e32 v24, 7, v2
; %bb.55:                               ;   in Loop: Header=BB204_15 Depth=1
	s_or_b32 exec_lo, exec_lo, s21
	v_lshlrev_b32_e32 v2, 24, v0
	v_lshlrev_b32_e32 v3, 20, v24
	v_lshl_add_u32 v1, v1, 23, 0x3c000000
	v_and_b32_e32 v2, 0x80000000, v2
	v_or3_b32 v24, v3, v2, v1
	buffer_store_dword v24, off, s[0:3], s32 offset:252 ; 4-byte Folded Spill
	buffer_store_dword v25, off, s[0:3], s32 offset:256 ; 4-byte Folded Spill
.LBB204_56:                             ;   in Loop: Header=BB204_15 Depth=1
	s_or_b32 exec_lo, exec_lo, s20
.LBB204_57:                             ;   in Loop: Header=BB204_15 Depth=1
	s_or_b32 exec_lo, exec_lo, s19
.LBB204_58:                             ;   in Loop: Header=BB204_15 Depth=1
	s_or_b32 exec_lo, exec_lo, s18
	v_cmp_ne_u16_sdwa s5, v0, v25 src0_sel:BYTE_1 src1_sel:DWORD
	s_and_saveexec_b32 s18, s5
	s_cbranch_execz .LBB204_66
; %bb.59:                               ;   in Loop: Header=BB204_15 Depth=1
	v_mov_b32_e32 v31, v25
	v_cmp_ne_u16_sdwa s5, v0, v18 src0_sel:BYTE_1 src1_sel:DWORD
	buffer_store_dword v31, off, s[0:3], s32 offset:260 ; 4-byte Folded Spill
	buffer_store_dword v32, off, s[0:3], s32 offset:264 ; 4-byte Folded Spill
	s_and_saveexec_b32 s19, s5
	s_cbranch_execz .LBB204_65
; %bb.60:                               ;   in Loop: Header=BB204_15 Depth=1
	v_mov_b32_e32 v1, 0xffff
	v_mov_b32_e32 v4, v25
	s_mov_b32 s20, exec_lo
	buffer_store_dword v4, off, s[0:3], s32 offset:260 ; 4-byte Folded Spill
	buffer_store_dword v5, off, s[0:3], s32 offset:264 ; 4-byte Folded Spill
	v_and_b32_sdwa v1, v1, v0 dst_sel:DWORD dst_unused:UNUSED_PAD src0_sel:DWORD src1_sel:BYTE_1
	v_and_b32_e32 v2, 0x7f, v1
	v_cmpx_ne_u32_e32 0x7f, v2
	s_cbranch_execz .LBB204_64
; %bb.61:                               ;   in Loop: Header=BB204_15 Depth=1
	v_and_b32_e32 v24, 7, v1
	v_lshrrev_b32_e32 v1, 3, v2
	s_mov_b32 s21, exec_lo
	v_cmpx_gt_u32_e32 8, v2
; %bb.62:                               ;   in Loop: Header=BB204_15 Depth=1
	v_ffbh_u32_e32 v1, v24
	v_min_u32_e32 v1, 32, v1
	v_subrev_nc_u32_e32 v2, 28, v1
	v_sub_nc_u32_e32 v1, 29, v1
	v_lshlrev_b64 v[2:3], v2, v[24:25]
	v_and_b32_e32 v24, 7, v2
; %bb.63:                               ;   in Loop: Header=BB204_15 Depth=1
	s_or_b32 exec_lo, exec_lo, s21
	v_lshlrev_b32_e32 v2, 16, v0
	v_lshlrev_b32_e32 v3, 20, v24
	v_lshl_add_u32 v1, v1, 23, 0x3c000000
	v_and_b32_e32 v2, 0x80000000, v2
	v_or3_b32 v2, v3, v2, v1
	v_mov_b32_e32 v1, v25
	buffer_store_dword v1, off, s[0:3], s32 offset:260 ; 4-byte Folded Spill
	buffer_store_dword v2, off, s[0:3], s32 offset:264 ; 4-byte Folded Spill
.LBB204_64:                             ;   in Loop: Header=BB204_15 Depth=1
	s_or_b32 exec_lo, exec_lo, s20
.LBB204_65:                             ;   in Loop: Header=BB204_15 Depth=1
	s_or_b32 exec_lo, exec_lo, s19
.LBB204_66:                             ;   in Loop: Header=BB204_15 Depth=1
	s_or_b32 exec_lo, exec_lo, s18
	v_mov_b32_e32 v2, 0
	v_mov_b32_e32 v3, 0
	v_and_b32_sdwa v1, v0, v37 dst_sel:DWORD dst_unused:UNUSED_PAD src0_sel:WORD_1 src1_sel:DWORD
	s_mov_b32 s18, exec_lo
	buffer_store_dword v2, off, s[0:3], s32 offset:268 ; 4-byte Folded Spill
	buffer_store_dword v3, off, s[0:3], s32 offset:272 ; 4-byte Folded Spill
	v_mov_b32_e32 v2, 0
	v_mov_b32_e32 v3, 0
	buffer_store_dword v2, off, s[0:3], s32 offset:276 ; 4-byte Folded Spill
	buffer_store_dword v3, off, s[0:3], s32 offset:280 ; 4-byte Folded Spill
	v_cmpx_ne_u16_e32 0, v1
	s_cbranch_execz .LBB204_74
; %bb.67:                               ;   in Loop: Header=BB204_15 Depth=1
	v_cmp_ne_u16_e64 s5, 0x80, v1
	v_bfrev_b32_e32 v1, 1
	v_mov_b32_e32 v2, 0
	buffer_store_dword v1, off, s[0:3], s32 offset:276 ; 4-byte Folded Spill
	buffer_store_dword v2, off, s[0:3], s32 offset:280 ; 4-byte Folded Spill
	s_and_saveexec_b32 s19, s5
	s_cbranch_execz .LBB204_73
; %bb.68:                               ;   in Loop: Header=BB204_15 Depth=1
	v_mov_b32_e32 v3, 0x7f800001
	v_bfe_u32 v2, v0, 16, 7
	v_mov_b32_e32 v4, 0
	s_mov_b32 s20, exec_lo
	buffer_store_dword v3, off, s[0:3], s32 offset:276 ; 4-byte Folded Spill
	buffer_store_dword v4, off, s[0:3], s32 offset:280 ; 4-byte Folded Spill
	v_cmpx_ne_u32_e32 0x7f, v2
	s_cbranch_execz .LBB204_72
; %bb.69:                               ;   in Loop: Header=BB204_15 Depth=1
	v_mov_b32_e32 v1, 7
	s_mov_b32 s21, exec_lo
	v_and_b32_sdwa v24, v0, v1 dst_sel:DWORD dst_unused:UNUSED_PAD src0_sel:WORD_1 src1_sel:DWORD
	v_lshrrev_b32_e32 v1, 3, v2
	v_cmpx_gt_u32_e32 8, v2
; %bb.70:                               ;   in Loop: Header=BB204_15 Depth=1
	v_ffbh_u32_e32 v1, v24
	v_min_u32_e32 v1, 32, v1
	v_subrev_nc_u32_e32 v2, 28, v1
	v_sub_nc_u32_e32 v1, 29, v1
	v_lshlrev_b64 v[2:3], v2, v[24:25]
	v_and_b32_e32 v24, 7, v2
; %bb.71:                               ;   in Loop: Header=BB204_15 Depth=1
	s_or_b32 exec_lo, exec_lo, s21
	v_mov_b32_e32 v2, 24
	v_lshlrev_b32_e32 v3, 20, v24
	v_lshl_add_u32 v1, v1, 23, 0x3c000000
	v_lshlrev_b32_sdwa v2, v2, v0 dst_sel:DWORD dst_unused:UNUSED_PAD src0_sel:DWORD src1_sel:WORD_1
	v_and_b32_e32 v2, 0x80000000, v2
	v_or3_b32 v24, v3, v2, v1
	buffer_store_dword v24, off, s[0:3], s32 offset:276 ; 4-byte Folded Spill
	buffer_store_dword v25, off, s[0:3], s32 offset:280 ; 4-byte Folded Spill
.LBB204_72:                             ;   in Loop: Header=BB204_15 Depth=1
	s_or_b32 exec_lo, exec_lo, s20
.LBB204_73:                             ;   in Loop: Header=BB204_15 Depth=1
	s_or_b32 exec_lo, exec_lo, s19
.LBB204_74:                             ;   in Loop: Header=BB204_15 Depth=1
	s_or_b32 exec_lo, exec_lo, s18
	s_mov_b32 s18, exec_lo
	v_cmpx_lt_u32_e32 0xffffff, v0
	s_cbranch_execz .LBB204_82
; %bb.75:                               ;   in Loop: Header=BB204_15 Depth=1
	v_mov_b32_e32 v31, v25
	v_cmp_ne_u32_sdwa s5, v0, v18 src0_sel:BYTE_3 src1_sel:DWORD
	buffer_store_dword v31, off, s[0:3], s32 offset:268 ; 4-byte Folded Spill
	buffer_store_dword v32, off, s[0:3], s32 offset:272 ; 4-byte Folded Spill
	s_and_saveexec_b32 s19, s5
	s_cbranch_execz .LBB204_81
; %bb.76:                               ;   in Loop: Header=BB204_15 Depth=1
	v_bfe_u32 v2, v0, 24, 7
	v_mov_b32_e32 v4, v25
	s_mov_b32 s20, exec_lo
	buffer_store_dword v4, off, s[0:3], s32 offset:268 ; 4-byte Folded Spill
	buffer_store_dword v5, off, s[0:3], s32 offset:272 ; 4-byte Folded Spill
	v_cmpx_ne_u32_e32 0x7f, v2
	s_cbranch_execz .LBB204_80
; %bb.77:                               ;   in Loop: Header=BB204_15 Depth=1
	v_mov_b32_e32 v1, 7
	s_mov_b32 s21, exec_lo
	v_and_b32_sdwa v24, v0, v1 dst_sel:DWORD dst_unused:UNUSED_PAD src0_sel:BYTE_3 src1_sel:DWORD
	v_lshrrev_b32_e32 v1, 3, v2
	v_cmpx_gt_u32_e32 8, v2
; %bb.78:                               ;   in Loop: Header=BB204_15 Depth=1
	v_ffbh_u32_e32 v1, v24
	v_min_u32_e32 v1, 32, v1
	v_subrev_nc_u32_e32 v2, 28, v1
	v_sub_nc_u32_e32 v1, 29, v1
	v_lshlrev_b64 v[2:3], v2, v[24:25]
	v_and_b32_e32 v24, 7, v2
; %bb.79:                               ;   in Loop: Header=BB204_15 Depth=1
	s_or_b32 exec_lo, exec_lo, s21
	v_mov_b32_e32 v2, 24
	v_lshl_add_u32 v1, v1, 23, 0x3c000000
	v_lshlrev_b32_sdwa v0, v2, v0 dst_sel:DWORD dst_unused:UNUSED_PAD src0_sel:DWORD src1_sel:BYTE_3
	v_lshlrev_b32_e32 v2, 20, v24
	v_and_b32_e32 v0, 0x80000000, v0
	v_or3_b32 v1, v2, v0, v1
	v_mov_b32_e32 v0, v25
	buffer_store_dword v0, off, s[0:3], s32 offset:268 ; 4-byte Folded Spill
	buffer_store_dword v1, off, s[0:3], s32 offset:272 ; 4-byte Folded Spill
.LBB204_80:                             ;   in Loop: Header=BB204_15 Depth=1
	s_or_b32 exec_lo, exec_lo, s20
.LBB204_81:                             ;   in Loop: Header=BB204_15 Depth=1
	s_or_b32 exec_lo, exec_lo, s19
.LBB204_82:                             ;   in Loop: Header=BB204_15 Depth=1
	s_or_b32 exec_lo, exec_lo, s18
	flat_load_dword v0, v[12:13] offset:8
	v_mov_b32_e32 v1, 0
	v_mov_b32_e32 v2, 0
	buffer_store_dword v1, off, s[0:3], s32 offset:292 ; 4-byte Folded Spill
	buffer_store_dword v2, off, s[0:3], s32 offset:296 ; 4-byte Folded Spill
	v_mov_b32_e32 v1, 0
	v_mov_b32_e32 v2, 0
	buffer_store_dword v1, off, s[0:3], s32 offset:284 ; 4-byte Folded Spill
	buffer_store_dword v2, off, s[0:3], s32 offset:288 ; 4-byte Folded Spill
	s_waitcnt vmcnt(0) lgkmcnt(0)
	v_cmp_ne_u16_sdwa s5, v0, v25 src0_sel:BYTE_0 src1_sel:DWORD
	s_and_saveexec_b32 s18, s5
	s_cbranch_execz .LBB204_90
; %bb.83:                               ;   in Loop: Header=BB204_15 Depth=1
	v_bfrev_b32_e32 v1, 1
	v_mov_b32_e32 v2, 0
	v_cmp_ne_u16_sdwa s5, v0, v18 src0_sel:BYTE_0 src1_sel:DWORD
	buffer_store_dword v1, off, s[0:3], s32 offset:284 ; 4-byte Folded Spill
	buffer_store_dword v2, off, s[0:3], s32 offset:288 ; 4-byte Folded Spill
	s_and_saveexec_b32 s19, s5
	s_cbranch_execz .LBB204_89
; %bb.84:                               ;   in Loop: Header=BB204_15 Depth=1
	v_mov_b32_e32 v3, 0x7f800001
	v_and_b32_e32 v2, 0x7f, v0
	v_mov_b32_e32 v4, 0
	s_mov_b32 s20, exec_lo
	buffer_store_dword v3, off, s[0:3], s32 offset:284 ; 4-byte Folded Spill
	buffer_store_dword v4, off, s[0:3], s32 offset:288 ; 4-byte Folded Spill
	v_cmpx_ne_u32_e32 0x7f, v2
	s_cbranch_execz .LBB204_88
; %bb.85:                               ;   in Loop: Header=BB204_15 Depth=1
	v_and_b32_e32 v24, 7, v0
	v_lshrrev_b32_e32 v1, 3, v2
	s_mov_b32 s21, exec_lo
	v_cmpx_gt_u32_e32 8, v2
; %bb.86:                               ;   in Loop: Header=BB204_15 Depth=1
	v_ffbh_u32_e32 v1, v24
	v_min_u32_e32 v1, 32, v1
	v_subrev_nc_u32_e32 v2, 28, v1
	v_sub_nc_u32_e32 v1, 29, v1
	v_lshlrev_b64 v[2:3], v2, v[24:25]
	v_and_b32_e32 v24, 7, v2
; %bb.87:                               ;   in Loop: Header=BB204_15 Depth=1
	s_or_b32 exec_lo, exec_lo, s21
	v_lshlrev_b32_e32 v2, 24, v0
	v_lshlrev_b32_e32 v3, 20, v24
	v_lshl_add_u32 v1, v1, 23, 0x3c000000
	v_and_b32_e32 v2, 0x80000000, v2
	v_or3_b32 v24, v3, v2, v1
	buffer_store_dword v24, off, s[0:3], s32 offset:284 ; 4-byte Folded Spill
	buffer_store_dword v25, off, s[0:3], s32 offset:288 ; 4-byte Folded Spill
.LBB204_88:                             ;   in Loop: Header=BB204_15 Depth=1
	s_or_b32 exec_lo, exec_lo, s20
.LBB204_89:                             ;   in Loop: Header=BB204_15 Depth=1
	s_or_b32 exec_lo, exec_lo, s19
.LBB204_90:                             ;   in Loop: Header=BB204_15 Depth=1
	s_or_b32 exec_lo, exec_lo, s18
	v_cmp_ne_u16_sdwa s5, v0, v25 src0_sel:BYTE_1 src1_sel:DWORD
	s_and_saveexec_b32 s18, s5
	s_cbranch_execz .LBB204_98
; %bb.91:                               ;   in Loop: Header=BB204_15 Depth=1
	v_mov_b32_e32 v31, v25
	v_cmp_ne_u16_sdwa s5, v0, v18 src0_sel:BYTE_1 src1_sel:DWORD
	buffer_store_dword v31, off, s[0:3], s32 offset:292 ; 4-byte Folded Spill
	buffer_store_dword v32, off, s[0:3], s32 offset:296 ; 4-byte Folded Spill
	s_and_saveexec_b32 s19, s5
	s_cbranch_execz .LBB204_97
; %bb.92:                               ;   in Loop: Header=BB204_15 Depth=1
	v_mov_b32_e32 v1, 0xffff
	v_mov_b32_e32 v4, v25
	s_mov_b32 s20, exec_lo
	buffer_store_dword v4, off, s[0:3], s32 offset:292 ; 4-byte Folded Spill
	buffer_store_dword v5, off, s[0:3], s32 offset:296 ; 4-byte Folded Spill
	v_and_b32_sdwa v1, v1, v0 dst_sel:DWORD dst_unused:UNUSED_PAD src0_sel:DWORD src1_sel:BYTE_1
	v_and_b32_e32 v2, 0x7f, v1
	v_cmpx_ne_u32_e32 0x7f, v2
	s_cbranch_execz .LBB204_96
; %bb.93:                               ;   in Loop: Header=BB204_15 Depth=1
	v_and_b32_e32 v24, 7, v1
	v_lshrrev_b32_e32 v1, 3, v2
	s_mov_b32 s21, exec_lo
	v_cmpx_gt_u32_e32 8, v2
; %bb.94:                               ;   in Loop: Header=BB204_15 Depth=1
	v_ffbh_u32_e32 v1, v24
	v_min_u32_e32 v1, 32, v1
	v_subrev_nc_u32_e32 v2, 28, v1
	v_sub_nc_u32_e32 v1, 29, v1
	v_lshlrev_b64 v[2:3], v2, v[24:25]
	v_and_b32_e32 v24, 7, v2
; %bb.95:                               ;   in Loop: Header=BB204_15 Depth=1
	s_or_b32 exec_lo, exec_lo, s21
	v_lshlrev_b32_e32 v2, 16, v0
	v_lshlrev_b32_e32 v3, 20, v24
	v_lshl_add_u32 v1, v1, 23, 0x3c000000
	v_and_b32_e32 v2, 0x80000000, v2
	v_or3_b32 v2, v3, v2, v1
	v_mov_b32_e32 v1, v25
	buffer_store_dword v1, off, s[0:3], s32 offset:292 ; 4-byte Folded Spill
	buffer_store_dword v2, off, s[0:3], s32 offset:296 ; 4-byte Folded Spill
.LBB204_96:                             ;   in Loop: Header=BB204_15 Depth=1
	s_or_b32 exec_lo, exec_lo, s20
.LBB204_97:                             ;   in Loop: Header=BB204_15 Depth=1
	s_or_b32 exec_lo, exec_lo, s19
.LBB204_98:                             ;   in Loop: Header=BB204_15 Depth=1
	s_or_b32 exec_lo, exec_lo, s18
	v_mov_b32_e32 v2, 0
	v_mov_b32_e32 v3, 0
	v_and_b32_sdwa v1, v0, v37 dst_sel:DWORD dst_unused:UNUSED_PAD src0_sel:WORD_1 src1_sel:DWORD
	s_mov_b32 s18, exec_lo
	buffer_store_dword v2, off, s[0:3], s32 offset:300 ; 4-byte Folded Spill
	buffer_store_dword v3, off, s[0:3], s32 offset:304 ; 4-byte Folded Spill
	v_mov_b32_e32 v2, 0
	v_mov_b32_e32 v3, 0
	buffer_store_dword v2, off, s[0:3], s32 offset:308 ; 4-byte Folded Spill
	buffer_store_dword v3, off, s[0:3], s32 offset:312 ; 4-byte Folded Spill
	v_cmpx_ne_u16_e32 0, v1
	s_cbranch_execz .LBB204_106
; %bb.99:                               ;   in Loop: Header=BB204_15 Depth=1
	v_cmp_ne_u16_e64 s5, 0x80, v1
	v_bfrev_b32_e32 v1, 1
	v_mov_b32_e32 v2, 0
	buffer_store_dword v1, off, s[0:3], s32 offset:308 ; 4-byte Folded Spill
	buffer_store_dword v2, off, s[0:3], s32 offset:312 ; 4-byte Folded Spill
	s_and_saveexec_b32 s19, s5
	s_cbranch_execz .LBB204_105
; %bb.100:                              ;   in Loop: Header=BB204_15 Depth=1
	v_mov_b32_e32 v3, 0x7f800001
	v_bfe_u32 v2, v0, 16, 7
	v_mov_b32_e32 v4, 0
	s_mov_b32 s20, exec_lo
	buffer_store_dword v3, off, s[0:3], s32 offset:308 ; 4-byte Folded Spill
	buffer_store_dword v4, off, s[0:3], s32 offset:312 ; 4-byte Folded Spill
	v_cmpx_ne_u32_e32 0x7f, v2
	s_cbranch_execz .LBB204_104
; %bb.101:                              ;   in Loop: Header=BB204_15 Depth=1
	v_mov_b32_e32 v1, 7
	s_mov_b32 s21, exec_lo
	v_and_b32_sdwa v24, v0, v1 dst_sel:DWORD dst_unused:UNUSED_PAD src0_sel:WORD_1 src1_sel:DWORD
	v_lshrrev_b32_e32 v1, 3, v2
	v_cmpx_gt_u32_e32 8, v2
; %bb.102:                              ;   in Loop: Header=BB204_15 Depth=1
	v_ffbh_u32_e32 v1, v24
	v_min_u32_e32 v1, 32, v1
	v_subrev_nc_u32_e32 v2, 28, v1
	v_sub_nc_u32_e32 v1, 29, v1
	v_lshlrev_b64 v[2:3], v2, v[24:25]
	v_and_b32_e32 v24, 7, v2
; %bb.103:                              ;   in Loop: Header=BB204_15 Depth=1
	s_or_b32 exec_lo, exec_lo, s21
	v_mov_b32_e32 v2, 24
	v_lshlrev_b32_e32 v3, 20, v24
	v_lshl_add_u32 v1, v1, 23, 0x3c000000
	v_lshlrev_b32_sdwa v2, v2, v0 dst_sel:DWORD dst_unused:UNUSED_PAD src0_sel:DWORD src1_sel:WORD_1
	v_and_b32_e32 v2, 0x80000000, v2
	v_or3_b32 v24, v3, v2, v1
	buffer_store_dword v24, off, s[0:3], s32 offset:308 ; 4-byte Folded Spill
	buffer_store_dword v25, off, s[0:3], s32 offset:312 ; 4-byte Folded Spill
.LBB204_104:                            ;   in Loop: Header=BB204_15 Depth=1
	s_or_b32 exec_lo, exec_lo, s20
.LBB204_105:                            ;   in Loop: Header=BB204_15 Depth=1
	s_or_b32 exec_lo, exec_lo, s19
.LBB204_106:                            ;   in Loop: Header=BB204_15 Depth=1
	s_or_b32 exec_lo, exec_lo, s18
	s_mov_b32 s18, exec_lo
	v_cmpx_lt_u32_e32 0xffffff, v0
	s_cbranch_execz .LBB204_114
; %bb.107:                              ;   in Loop: Header=BB204_15 Depth=1
	v_mov_b32_e32 v31, v25
	v_cmp_ne_u32_sdwa s5, v0, v18 src0_sel:BYTE_3 src1_sel:DWORD
	buffer_store_dword v31, off, s[0:3], s32 offset:300 ; 4-byte Folded Spill
	buffer_store_dword v32, off, s[0:3], s32 offset:304 ; 4-byte Folded Spill
	s_and_saveexec_b32 s19, s5
	s_cbranch_execz .LBB204_113
; %bb.108:                              ;   in Loop: Header=BB204_15 Depth=1
	v_bfe_u32 v2, v0, 24, 7
	v_mov_b32_e32 v4, v25
	s_mov_b32 s20, exec_lo
	buffer_store_dword v4, off, s[0:3], s32 offset:300 ; 4-byte Folded Spill
	buffer_store_dword v5, off, s[0:3], s32 offset:304 ; 4-byte Folded Spill
	v_cmpx_ne_u32_e32 0x7f, v2
	s_cbranch_execz .LBB204_112
; %bb.109:                              ;   in Loop: Header=BB204_15 Depth=1
	v_mov_b32_e32 v1, 7
	s_mov_b32 s21, exec_lo
	v_and_b32_sdwa v24, v0, v1 dst_sel:DWORD dst_unused:UNUSED_PAD src0_sel:BYTE_3 src1_sel:DWORD
	v_lshrrev_b32_e32 v1, 3, v2
	v_cmpx_gt_u32_e32 8, v2
; %bb.110:                              ;   in Loop: Header=BB204_15 Depth=1
	v_ffbh_u32_e32 v1, v24
	v_min_u32_e32 v1, 32, v1
	v_subrev_nc_u32_e32 v2, 28, v1
	v_sub_nc_u32_e32 v1, 29, v1
	v_lshlrev_b64 v[2:3], v2, v[24:25]
	v_and_b32_e32 v24, 7, v2
; %bb.111:                              ;   in Loop: Header=BB204_15 Depth=1
	s_or_b32 exec_lo, exec_lo, s21
	v_mov_b32_e32 v2, 24
	v_lshl_add_u32 v1, v1, 23, 0x3c000000
	v_lshlrev_b32_sdwa v0, v2, v0 dst_sel:DWORD dst_unused:UNUSED_PAD src0_sel:DWORD src1_sel:BYTE_3
	v_lshlrev_b32_e32 v2, 20, v24
	v_and_b32_e32 v0, 0x80000000, v0
	v_or3_b32 v1, v2, v0, v1
	v_mov_b32_e32 v0, v25
	buffer_store_dword v0, off, s[0:3], s32 offset:300 ; 4-byte Folded Spill
	buffer_store_dword v1, off, s[0:3], s32 offset:304 ; 4-byte Folded Spill
.LBB204_112:                            ;   in Loop: Header=BB204_15 Depth=1
	s_or_b32 exec_lo, exec_lo, s20
.LBB204_113:                            ;   in Loop: Header=BB204_15 Depth=1
	s_or_b32 exec_lo, exec_lo, s19
.LBB204_114:                            ;   in Loop: Header=BB204_15 Depth=1
	s_or_b32 exec_lo, exec_lo, s18
	flat_load_dword v0, v[12:13] offset:12
	v_mov_b32_e32 v1, 0
	v_mov_b32_e32 v2, 0
	buffer_store_dword v1, off, s[0:3], s32 offset:324 ; 4-byte Folded Spill
	buffer_store_dword v2, off, s[0:3], s32 offset:328 ; 4-byte Folded Spill
	v_mov_b32_e32 v1, 0
	v_mov_b32_e32 v2, 0
	buffer_store_dword v1, off, s[0:3], s32 offset:316 ; 4-byte Folded Spill
	buffer_store_dword v2, off, s[0:3], s32 offset:320 ; 4-byte Folded Spill
	s_waitcnt vmcnt(0) lgkmcnt(0)
	v_cmp_ne_u16_sdwa s5, v0, v25 src0_sel:BYTE_0 src1_sel:DWORD
	s_and_saveexec_b32 s18, s5
	s_cbranch_execz .LBB204_122
; %bb.115:                              ;   in Loop: Header=BB204_15 Depth=1
	v_bfrev_b32_e32 v1, 1
	v_mov_b32_e32 v2, 0
	v_cmp_ne_u16_sdwa s5, v0, v18 src0_sel:BYTE_0 src1_sel:DWORD
	buffer_store_dword v1, off, s[0:3], s32 offset:316 ; 4-byte Folded Spill
	buffer_store_dword v2, off, s[0:3], s32 offset:320 ; 4-byte Folded Spill
	s_and_saveexec_b32 s19, s5
	s_cbranch_execz .LBB204_121
; %bb.116:                              ;   in Loop: Header=BB204_15 Depth=1
	v_mov_b32_e32 v3, 0x7f800001
	v_and_b32_e32 v2, 0x7f, v0
	v_mov_b32_e32 v4, 0
	s_mov_b32 s20, exec_lo
	buffer_store_dword v3, off, s[0:3], s32 offset:316 ; 4-byte Folded Spill
	buffer_store_dword v4, off, s[0:3], s32 offset:320 ; 4-byte Folded Spill
	v_cmpx_ne_u32_e32 0x7f, v2
	s_cbranch_execz .LBB204_120
; %bb.117:                              ;   in Loop: Header=BB204_15 Depth=1
	v_and_b32_e32 v24, 7, v0
	v_lshrrev_b32_e32 v1, 3, v2
	s_mov_b32 s21, exec_lo
	v_cmpx_gt_u32_e32 8, v2
; %bb.118:                              ;   in Loop: Header=BB204_15 Depth=1
	v_ffbh_u32_e32 v1, v24
	v_min_u32_e32 v1, 32, v1
	v_subrev_nc_u32_e32 v2, 28, v1
	v_sub_nc_u32_e32 v1, 29, v1
	v_lshlrev_b64 v[2:3], v2, v[24:25]
	v_and_b32_e32 v24, 7, v2
; %bb.119:                              ;   in Loop: Header=BB204_15 Depth=1
	s_or_b32 exec_lo, exec_lo, s21
	v_lshlrev_b32_e32 v2, 24, v0
	v_lshlrev_b32_e32 v3, 20, v24
	v_lshl_add_u32 v1, v1, 23, 0x3c000000
	v_and_b32_e32 v2, 0x80000000, v2
	v_or3_b32 v24, v3, v2, v1
	buffer_store_dword v24, off, s[0:3], s32 offset:316 ; 4-byte Folded Spill
	buffer_store_dword v25, off, s[0:3], s32 offset:320 ; 4-byte Folded Spill
.LBB204_120:                            ;   in Loop: Header=BB204_15 Depth=1
	s_or_b32 exec_lo, exec_lo, s20
.LBB204_121:                            ;   in Loop: Header=BB204_15 Depth=1
	s_or_b32 exec_lo, exec_lo, s19
.LBB204_122:                            ;   in Loop: Header=BB204_15 Depth=1
	s_or_b32 exec_lo, exec_lo, s18
	v_cmp_ne_u16_sdwa s5, v0, v25 src0_sel:BYTE_1 src1_sel:DWORD
	s_and_saveexec_b32 s18, s5
	s_cbranch_execz .LBB204_130
; %bb.123:                              ;   in Loop: Header=BB204_15 Depth=1
	v_mov_b32_e32 v31, v25
	v_cmp_ne_u16_sdwa s5, v0, v18 src0_sel:BYTE_1 src1_sel:DWORD
	buffer_store_dword v31, off, s[0:3], s32 offset:324 ; 4-byte Folded Spill
	buffer_store_dword v32, off, s[0:3], s32 offset:328 ; 4-byte Folded Spill
	s_and_saveexec_b32 s19, s5
	s_cbranch_execz .LBB204_129
; %bb.124:                              ;   in Loop: Header=BB204_15 Depth=1
	v_mov_b32_e32 v1, 0xffff
	v_mov_b32_e32 v4, v25
	s_mov_b32 s20, exec_lo
	buffer_store_dword v4, off, s[0:3], s32 offset:324 ; 4-byte Folded Spill
	buffer_store_dword v5, off, s[0:3], s32 offset:328 ; 4-byte Folded Spill
	v_and_b32_sdwa v1, v1, v0 dst_sel:DWORD dst_unused:UNUSED_PAD src0_sel:DWORD src1_sel:BYTE_1
	v_and_b32_e32 v2, 0x7f, v1
	v_cmpx_ne_u32_e32 0x7f, v2
	s_cbranch_execz .LBB204_128
; %bb.125:                              ;   in Loop: Header=BB204_15 Depth=1
	v_and_b32_e32 v24, 7, v1
	v_lshrrev_b32_e32 v1, 3, v2
	s_mov_b32 s21, exec_lo
	v_cmpx_gt_u32_e32 8, v2
; %bb.126:                              ;   in Loop: Header=BB204_15 Depth=1
	v_ffbh_u32_e32 v1, v24
	v_min_u32_e32 v1, 32, v1
	v_subrev_nc_u32_e32 v2, 28, v1
	v_sub_nc_u32_e32 v1, 29, v1
	v_lshlrev_b64 v[2:3], v2, v[24:25]
	v_and_b32_e32 v24, 7, v2
; %bb.127:                              ;   in Loop: Header=BB204_15 Depth=1
	s_or_b32 exec_lo, exec_lo, s21
	v_lshlrev_b32_e32 v2, 16, v0
	v_lshlrev_b32_e32 v3, 20, v24
	v_lshl_add_u32 v1, v1, 23, 0x3c000000
	v_and_b32_e32 v2, 0x80000000, v2
	v_or3_b32 v2, v3, v2, v1
	v_mov_b32_e32 v1, v25
	buffer_store_dword v1, off, s[0:3], s32 offset:324 ; 4-byte Folded Spill
	buffer_store_dword v2, off, s[0:3], s32 offset:328 ; 4-byte Folded Spill
.LBB204_128:                            ;   in Loop: Header=BB204_15 Depth=1
	s_or_b32 exec_lo, exec_lo, s20
.LBB204_129:                            ;   in Loop: Header=BB204_15 Depth=1
	s_or_b32 exec_lo, exec_lo, s19
.LBB204_130:                            ;   in Loop: Header=BB204_15 Depth=1
	s_or_b32 exec_lo, exec_lo, s18
	v_mov_b32_e32 v2, 0
	v_mov_b32_e32 v3, 0
	v_and_b32_sdwa v1, v0, v37 dst_sel:DWORD dst_unused:UNUSED_PAD src0_sel:WORD_1 src1_sel:DWORD
	s_mov_b32 s18, exec_lo
	buffer_store_dword v2, off, s[0:3], s32 offset:332 ; 4-byte Folded Spill
	buffer_store_dword v3, off, s[0:3], s32 offset:336 ; 4-byte Folded Spill
	v_mov_b32_e32 v2, 0
	v_mov_b32_e32 v3, 0
	buffer_store_dword v2, off, s[0:3], s32 offset:340 ; 4-byte Folded Spill
	buffer_store_dword v3, off, s[0:3], s32 offset:344 ; 4-byte Folded Spill
	v_cmpx_ne_u16_e32 0, v1
	s_cbranch_execz .LBB204_138
; %bb.131:                              ;   in Loop: Header=BB204_15 Depth=1
	v_cmp_ne_u16_e64 s5, 0x80, v1
	v_bfrev_b32_e32 v1, 1
	v_mov_b32_e32 v2, 0
	buffer_store_dword v1, off, s[0:3], s32 offset:340 ; 4-byte Folded Spill
	buffer_store_dword v2, off, s[0:3], s32 offset:344 ; 4-byte Folded Spill
	s_and_saveexec_b32 s19, s5
	s_cbranch_execz .LBB204_137
; %bb.132:                              ;   in Loop: Header=BB204_15 Depth=1
	v_mov_b32_e32 v3, 0x7f800001
	v_bfe_u32 v2, v0, 16, 7
	v_mov_b32_e32 v4, 0
	s_mov_b32 s20, exec_lo
	buffer_store_dword v3, off, s[0:3], s32 offset:340 ; 4-byte Folded Spill
	buffer_store_dword v4, off, s[0:3], s32 offset:344 ; 4-byte Folded Spill
	v_cmpx_ne_u32_e32 0x7f, v2
	s_cbranch_execz .LBB204_136
; %bb.133:                              ;   in Loop: Header=BB204_15 Depth=1
	v_mov_b32_e32 v1, 7
	s_mov_b32 s21, exec_lo
	v_and_b32_sdwa v24, v0, v1 dst_sel:DWORD dst_unused:UNUSED_PAD src0_sel:WORD_1 src1_sel:DWORD
	v_lshrrev_b32_e32 v1, 3, v2
	v_cmpx_gt_u32_e32 8, v2
; %bb.134:                              ;   in Loop: Header=BB204_15 Depth=1
	v_ffbh_u32_e32 v1, v24
	v_min_u32_e32 v1, 32, v1
	v_subrev_nc_u32_e32 v2, 28, v1
	v_sub_nc_u32_e32 v1, 29, v1
	v_lshlrev_b64 v[2:3], v2, v[24:25]
	v_and_b32_e32 v24, 7, v2
; %bb.135:                              ;   in Loop: Header=BB204_15 Depth=1
	s_or_b32 exec_lo, exec_lo, s21
	v_mov_b32_e32 v2, 24
	v_lshlrev_b32_e32 v3, 20, v24
	v_lshl_add_u32 v1, v1, 23, 0x3c000000
	v_lshlrev_b32_sdwa v2, v2, v0 dst_sel:DWORD dst_unused:UNUSED_PAD src0_sel:DWORD src1_sel:WORD_1
	v_and_b32_e32 v2, 0x80000000, v2
	v_or3_b32 v24, v3, v2, v1
	buffer_store_dword v24, off, s[0:3], s32 offset:340 ; 4-byte Folded Spill
	buffer_store_dword v25, off, s[0:3], s32 offset:344 ; 4-byte Folded Spill
.LBB204_136:                            ;   in Loop: Header=BB204_15 Depth=1
	s_or_b32 exec_lo, exec_lo, s20
.LBB204_137:                            ;   in Loop: Header=BB204_15 Depth=1
	s_or_b32 exec_lo, exec_lo, s19
.LBB204_138:                            ;   in Loop: Header=BB204_15 Depth=1
	s_or_b32 exec_lo, exec_lo, s18
	s_mov_b32 s18, exec_lo
	v_cmpx_lt_u32_e32 0xffffff, v0
	s_cbranch_execz .LBB204_146
; %bb.139:                              ;   in Loop: Header=BB204_15 Depth=1
	v_mov_b32_e32 v31, v25
	v_cmp_ne_u32_sdwa s5, v0, v18 src0_sel:BYTE_3 src1_sel:DWORD
	buffer_store_dword v31, off, s[0:3], s32 offset:332 ; 4-byte Folded Spill
	buffer_store_dword v32, off, s[0:3], s32 offset:336 ; 4-byte Folded Spill
	s_and_saveexec_b32 s19, s5
	s_cbranch_execz .LBB204_145
; %bb.140:                              ;   in Loop: Header=BB204_15 Depth=1
	v_bfe_u32 v2, v0, 24, 7
	v_mov_b32_e32 v4, v25
	s_mov_b32 s20, exec_lo
	buffer_store_dword v4, off, s[0:3], s32 offset:332 ; 4-byte Folded Spill
	buffer_store_dword v5, off, s[0:3], s32 offset:336 ; 4-byte Folded Spill
	v_cmpx_ne_u32_e32 0x7f, v2
	s_cbranch_execz .LBB204_144
; %bb.141:                              ;   in Loop: Header=BB204_15 Depth=1
	v_mov_b32_e32 v1, 7
	s_mov_b32 s21, exec_lo
	v_and_b32_sdwa v24, v0, v1 dst_sel:DWORD dst_unused:UNUSED_PAD src0_sel:BYTE_3 src1_sel:DWORD
	v_lshrrev_b32_e32 v1, 3, v2
	v_cmpx_gt_u32_e32 8, v2
; %bb.142:                              ;   in Loop: Header=BB204_15 Depth=1
	v_ffbh_u32_e32 v1, v24
	v_min_u32_e32 v1, 32, v1
	v_subrev_nc_u32_e32 v2, 28, v1
	v_sub_nc_u32_e32 v1, 29, v1
	v_lshlrev_b64 v[2:3], v2, v[24:25]
	v_and_b32_e32 v24, 7, v2
; %bb.143:                              ;   in Loop: Header=BB204_15 Depth=1
	s_or_b32 exec_lo, exec_lo, s21
	v_mov_b32_e32 v2, 24
	v_lshl_add_u32 v1, v1, 23, 0x3c000000
	v_lshlrev_b32_sdwa v0, v2, v0 dst_sel:DWORD dst_unused:UNUSED_PAD src0_sel:DWORD src1_sel:BYTE_3
	v_lshlrev_b32_e32 v2, 20, v24
	v_and_b32_e32 v0, 0x80000000, v0
	v_or3_b32 v1, v2, v0, v1
	v_mov_b32_e32 v0, v25
	buffer_store_dword v0, off, s[0:3], s32 offset:332 ; 4-byte Folded Spill
	buffer_store_dword v1, off, s[0:3], s32 offset:336 ; 4-byte Folded Spill
.LBB204_144:                            ;   in Loop: Header=BB204_15 Depth=1
	s_or_b32 exec_lo, exec_lo, s20
.LBB204_145:                            ;   in Loop: Header=BB204_15 Depth=1
	s_or_b32 exec_lo, exec_lo, s19
.LBB204_146:                            ;   in Loop: Header=BB204_15 Depth=1
	s_or_b32 exec_lo, exec_lo, s18
	flat_load_dword v0, v[12:13] offset:512
	v_mov_b32_e32 v1, 0
	v_mov_b32_e32 v2, 0
	buffer_store_dword v1, off, s[0:3], s32 offset:356 ; 4-byte Folded Spill
	buffer_store_dword v2, off, s[0:3], s32 offset:360 ; 4-byte Folded Spill
	v_mov_b32_e32 v1, 0
	v_mov_b32_e32 v2, 0
	buffer_store_dword v1, off, s[0:3], s32 offset:348 ; 4-byte Folded Spill
	buffer_store_dword v2, off, s[0:3], s32 offset:352 ; 4-byte Folded Spill
	s_waitcnt vmcnt(0) lgkmcnt(0)
	v_cmp_ne_u16_sdwa s5, v0, v25 src0_sel:BYTE_0 src1_sel:DWORD
	s_and_saveexec_b32 s18, s5
	s_cbranch_execz .LBB204_154
; %bb.147:                              ;   in Loop: Header=BB204_15 Depth=1
	v_bfrev_b32_e32 v1, 1
	v_mov_b32_e32 v2, 0
	v_cmp_ne_u16_sdwa s5, v0, v18 src0_sel:BYTE_0 src1_sel:DWORD
	buffer_store_dword v1, off, s[0:3], s32 offset:348 ; 4-byte Folded Spill
	buffer_store_dword v2, off, s[0:3], s32 offset:352 ; 4-byte Folded Spill
	s_and_saveexec_b32 s19, s5
	s_cbranch_execz .LBB204_153
; %bb.148:                              ;   in Loop: Header=BB204_15 Depth=1
	v_mov_b32_e32 v3, 0x7f800001
	v_and_b32_e32 v2, 0x7f, v0
	v_mov_b32_e32 v4, 0
	s_mov_b32 s20, exec_lo
	buffer_store_dword v3, off, s[0:3], s32 offset:348 ; 4-byte Folded Spill
	buffer_store_dword v4, off, s[0:3], s32 offset:352 ; 4-byte Folded Spill
	v_cmpx_ne_u32_e32 0x7f, v2
	s_cbranch_execz .LBB204_152
; %bb.149:                              ;   in Loop: Header=BB204_15 Depth=1
	v_and_b32_e32 v24, 7, v0
	v_lshrrev_b32_e32 v1, 3, v2
	s_mov_b32 s21, exec_lo
	v_cmpx_gt_u32_e32 8, v2
; %bb.150:                              ;   in Loop: Header=BB204_15 Depth=1
	v_ffbh_u32_e32 v1, v24
	v_min_u32_e32 v1, 32, v1
	v_subrev_nc_u32_e32 v2, 28, v1
	v_sub_nc_u32_e32 v1, 29, v1
	v_lshlrev_b64 v[2:3], v2, v[24:25]
	v_and_b32_e32 v24, 7, v2
; %bb.151:                              ;   in Loop: Header=BB204_15 Depth=1
	s_or_b32 exec_lo, exec_lo, s21
	v_lshlrev_b32_e32 v2, 24, v0
	v_lshlrev_b32_e32 v3, 20, v24
	v_lshl_add_u32 v1, v1, 23, 0x3c000000
	v_and_b32_e32 v2, 0x80000000, v2
	v_or3_b32 v24, v3, v2, v1
	buffer_store_dword v24, off, s[0:3], s32 offset:348 ; 4-byte Folded Spill
	buffer_store_dword v25, off, s[0:3], s32 offset:352 ; 4-byte Folded Spill
.LBB204_152:                            ;   in Loop: Header=BB204_15 Depth=1
	s_or_b32 exec_lo, exec_lo, s20
.LBB204_153:                            ;   in Loop: Header=BB204_15 Depth=1
	s_or_b32 exec_lo, exec_lo, s19
.LBB204_154:                            ;   in Loop: Header=BB204_15 Depth=1
	s_or_b32 exec_lo, exec_lo, s18
	v_cmp_ne_u16_sdwa s5, v0, v25 src0_sel:BYTE_1 src1_sel:DWORD
	s_and_saveexec_b32 s18, s5
	s_cbranch_execz .LBB204_162
; %bb.155:                              ;   in Loop: Header=BB204_15 Depth=1
	v_mov_b32_e32 v31, v25
	v_cmp_ne_u16_sdwa s5, v0, v18 src0_sel:BYTE_1 src1_sel:DWORD
	buffer_store_dword v31, off, s[0:3], s32 offset:356 ; 4-byte Folded Spill
	buffer_store_dword v32, off, s[0:3], s32 offset:360 ; 4-byte Folded Spill
	s_and_saveexec_b32 s19, s5
	s_cbranch_execz .LBB204_161
; %bb.156:                              ;   in Loop: Header=BB204_15 Depth=1
	v_mov_b32_e32 v1, 0xffff
	v_mov_b32_e32 v4, v25
	s_mov_b32 s20, exec_lo
	buffer_store_dword v4, off, s[0:3], s32 offset:356 ; 4-byte Folded Spill
	buffer_store_dword v5, off, s[0:3], s32 offset:360 ; 4-byte Folded Spill
	v_and_b32_sdwa v1, v1, v0 dst_sel:DWORD dst_unused:UNUSED_PAD src0_sel:DWORD src1_sel:BYTE_1
	v_and_b32_e32 v2, 0x7f, v1
	v_cmpx_ne_u32_e32 0x7f, v2
	s_cbranch_execz .LBB204_160
; %bb.157:                              ;   in Loop: Header=BB204_15 Depth=1
	v_and_b32_e32 v24, 7, v1
	v_lshrrev_b32_e32 v1, 3, v2
	s_mov_b32 s21, exec_lo
	v_cmpx_gt_u32_e32 8, v2
; %bb.158:                              ;   in Loop: Header=BB204_15 Depth=1
	v_ffbh_u32_e32 v1, v24
	v_min_u32_e32 v1, 32, v1
	v_subrev_nc_u32_e32 v2, 28, v1
	v_sub_nc_u32_e32 v1, 29, v1
	v_lshlrev_b64 v[2:3], v2, v[24:25]
	v_and_b32_e32 v24, 7, v2
; %bb.159:                              ;   in Loop: Header=BB204_15 Depth=1
	s_or_b32 exec_lo, exec_lo, s21
	v_lshlrev_b32_e32 v2, 16, v0
	v_lshlrev_b32_e32 v3, 20, v24
	v_lshl_add_u32 v1, v1, 23, 0x3c000000
	v_and_b32_e32 v2, 0x80000000, v2
	v_or3_b32 v2, v3, v2, v1
	v_mov_b32_e32 v1, v25
	buffer_store_dword v1, off, s[0:3], s32 offset:356 ; 4-byte Folded Spill
	buffer_store_dword v2, off, s[0:3], s32 offset:360 ; 4-byte Folded Spill
.LBB204_160:                            ;   in Loop: Header=BB204_15 Depth=1
	s_or_b32 exec_lo, exec_lo, s20
.LBB204_161:                            ;   in Loop: Header=BB204_15 Depth=1
	s_or_b32 exec_lo, exec_lo, s19
.LBB204_162:                            ;   in Loop: Header=BB204_15 Depth=1
	s_or_b32 exec_lo, exec_lo, s18
	v_mov_b32_e32 v2, 0
	v_mov_b32_e32 v3, 0
	v_and_b32_sdwa v1, v0, v37 dst_sel:DWORD dst_unused:UNUSED_PAD src0_sel:WORD_1 src1_sel:DWORD
	s_mov_b32 s18, exec_lo
	buffer_store_dword v2, off, s[0:3], s32 offset:364 ; 4-byte Folded Spill
	buffer_store_dword v3, off, s[0:3], s32 offset:368 ; 4-byte Folded Spill
	v_mov_b32_e32 v2, 0
	v_mov_b32_e32 v3, 0
	buffer_store_dword v2, off, s[0:3], s32 offset:372 ; 4-byte Folded Spill
	buffer_store_dword v3, off, s[0:3], s32 offset:376 ; 4-byte Folded Spill
	v_cmpx_ne_u16_e32 0, v1
	s_cbranch_execz .LBB204_170
; %bb.163:                              ;   in Loop: Header=BB204_15 Depth=1
	v_cmp_ne_u16_e64 s5, 0x80, v1
	v_bfrev_b32_e32 v1, 1
	v_mov_b32_e32 v2, 0
	buffer_store_dword v1, off, s[0:3], s32 offset:372 ; 4-byte Folded Spill
	buffer_store_dword v2, off, s[0:3], s32 offset:376 ; 4-byte Folded Spill
	s_and_saveexec_b32 s19, s5
	s_cbranch_execz .LBB204_169
; %bb.164:                              ;   in Loop: Header=BB204_15 Depth=1
	v_mov_b32_e32 v3, 0x7f800001
	v_bfe_u32 v2, v0, 16, 7
	v_mov_b32_e32 v4, 0
	s_mov_b32 s20, exec_lo
	buffer_store_dword v3, off, s[0:3], s32 offset:372 ; 4-byte Folded Spill
	buffer_store_dword v4, off, s[0:3], s32 offset:376 ; 4-byte Folded Spill
	v_cmpx_ne_u32_e32 0x7f, v2
	s_cbranch_execz .LBB204_168
; %bb.165:                              ;   in Loop: Header=BB204_15 Depth=1
	v_mov_b32_e32 v1, 7
	s_mov_b32 s21, exec_lo
	v_and_b32_sdwa v24, v0, v1 dst_sel:DWORD dst_unused:UNUSED_PAD src0_sel:WORD_1 src1_sel:DWORD
	v_lshrrev_b32_e32 v1, 3, v2
	v_cmpx_gt_u32_e32 8, v2
; %bb.166:                              ;   in Loop: Header=BB204_15 Depth=1
	v_ffbh_u32_e32 v1, v24
	v_min_u32_e32 v1, 32, v1
	v_subrev_nc_u32_e32 v2, 28, v1
	v_sub_nc_u32_e32 v1, 29, v1
	v_lshlrev_b64 v[2:3], v2, v[24:25]
	v_and_b32_e32 v24, 7, v2
; %bb.167:                              ;   in Loop: Header=BB204_15 Depth=1
	s_or_b32 exec_lo, exec_lo, s21
	v_mov_b32_e32 v2, 24
	v_lshlrev_b32_e32 v3, 20, v24
	v_lshl_add_u32 v1, v1, 23, 0x3c000000
	v_lshlrev_b32_sdwa v2, v2, v0 dst_sel:DWORD dst_unused:UNUSED_PAD src0_sel:DWORD src1_sel:WORD_1
	v_and_b32_e32 v2, 0x80000000, v2
	v_or3_b32 v24, v3, v2, v1
	buffer_store_dword v24, off, s[0:3], s32 offset:372 ; 4-byte Folded Spill
	buffer_store_dword v25, off, s[0:3], s32 offset:376 ; 4-byte Folded Spill
.LBB204_168:                            ;   in Loop: Header=BB204_15 Depth=1
	s_or_b32 exec_lo, exec_lo, s20
.LBB204_169:                            ;   in Loop: Header=BB204_15 Depth=1
	s_or_b32 exec_lo, exec_lo, s19
.LBB204_170:                            ;   in Loop: Header=BB204_15 Depth=1
	s_or_b32 exec_lo, exec_lo, s18
	s_mov_b32 s18, exec_lo
	v_cmpx_lt_u32_e32 0xffffff, v0
	s_cbranch_execz .LBB204_178
; %bb.171:                              ;   in Loop: Header=BB204_15 Depth=1
	v_mov_b32_e32 v31, v25
	v_cmp_ne_u32_sdwa s5, v0, v18 src0_sel:BYTE_3 src1_sel:DWORD
	buffer_store_dword v31, off, s[0:3], s32 offset:364 ; 4-byte Folded Spill
	buffer_store_dword v32, off, s[0:3], s32 offset:368 ; 4-byte Folded Spill
	s_and_saveexec_b32 s19, s5
	s_cbranch_execz .LBB204_177
; %bb.172:                              ;   in Loop: Header=BB204_15 Depth=1
	v_bfe_u32 v2, v0, 24, 7
	v_mov_b32_e32 v4, v25
	s_mov_b32 s20, exec_lo
	buffer_store_dword v4, off, s[0:3], s32 offset:364 ; 4-byte Folded Spill
	buffer_store_dword v5, off, s[0:3], s32 offset:368 ; 4-byte Folded Spill
	v_cmpx_ne_u32_e32 0x7f, v2
	s_cbranch_execz .LBB204_176
; %bb.173:                              ;   in Loop: Header=BB204_15 Depth=1
	v_mov_b32_e32 v1, 7
	s_mov_b32 s21, exec_lo
	v_and_b32_sdwa v24, v0, v1 dst_sel:DWORD dst_unused:UNUSED_PAD src0_sel:BYTE_3 src1_sel:DWORD
	v_lshrrev_b32_e32 v1, 3, v2
	v_cmpx_gt_u32_e32 8, v2
; %bb.174:                              ;   in Loop: Header=BB204_15 Depth=1
	v_ffbh_u32_e32 v1, v24
	v_min_u32_e32 v1, 32, v1
	v_subrev_nc_u32_e32 v2, 28, v1
	v_sub_nc_u32_e32 v1, 29, v1
	v_lshlrev_b64 v[2:3], v2, v[24:25]
	v_and_b32_e32 v24, 7, v2
; %bb.175:                              ;   in Loop: Header=BB204_15 Depth=1
	s_or_b32 exec_lo, exec_lo, s21
	v_mov_b32_e32 v2, 24
	v_lshl_add_u32 v1, v1, 23, 0x3c000000
	v_lshlrev_b32_sdwa v0, v2, v0 dst_sel:DWORD dst_unused:UNUSED_PAD src0_sel:DWORD src1_sel:BYTE_3
	v_lshlrev_b32_e32 v2, 20, v24
	v_and_b32_e32 v0, 0x80000000, v0
	v_or3_b32 v1, v2, v0, v1
	v_mov_b32_e32 v0, v25
	buffer_store_dword v0, off, s[0:3], s32 offset:364 ; 4-byte Folded Spill
	buffer_store_dword v1, off, s[0:3], s32 offset:368 ; 4-byte Folded Spill
.LBB204_176:                            ;   in Loop: Header=BB204_15 Depth=1
	s_or_b32 exec_lo, exec_lo, s20
.LBB204_177:                            ;   in Loop: Header=BB204_15 Depth=1
	s_or_b32 exec_lo, exec_lo, s19
.LBB204_178:                            ;   in Loop: Header=BB204_15 Depth=1
	s_or_b32 exec_lo, exec_lo, s18
	flat_load_dword v0, v[12:13] offset:516
	v_mov_b32_e32 v1, 0
	v_mov_b32_e32 v2, 0
	buffer_store_dword v1, off, s[0:3], s32 offset:388 ; 4-byte Folded Spill
	buffer_store_dword v2, off, s[0:3], s32 offset:392 ; 4-byte Folded Spill
	v_mov_b32_e32 v1, 0
	v_mov_b32_e32 v2, 0
	buffer_store_dword v1, off, s[0:3], s32 offset:380 ; 4-byte Folded Spill
	buffer_store_dword v2, off, s[0:3], s32 offset:384 ; 4-byte Folded Spill
	s_waitcnt vmcnt(0) lgkmcnt(0)
	v_cmp_ne_u16_sdwa s5, v0, v25 src0_sel:BYTE_0 src1_sel:DWORD
	s_and_saveexec_b32 s18, s5
	s_cbranch_execz .LBB204_186
; %bb.179:                              ;   in Loop: Header=BB204_15 Depth=1
	v_bfrev_b32_e32 v1, 1
	v_mov_b32_e32 v2, 0
	v_cmp_ne_u16_sdwa s5, v0, v18 src0_sel:BYTE_0 src1_sel:DWORD
	buffer_store_dword v1, off, s[0:3], s32 offset:380 ; 4-byte Folded Spill
	buffer_store_dword v2, off, s[0:3], s32 offset:384 ; 4-byte Folded Spill
	s_and_saveexec_b32 s19, s5
	s_cbranch_execz .LBB204_185
; %bb.180:                              ;   in Loop: Header=BB204_15 Depth=1
	v_mov_b32_e32 v3, 0x7f800001
	v_and_b32_e32 v2, 0x7f, v0
	v_mov_b32_e32 v4, 0
	s_mov_b32 s20, exec_lo
	buffer_store_dword v3, off, s[0:3], s32 offset:380 ; 4-byte Folded Spill
	buffer_store_dword v4, off, s[0:3], s32 offset:384 ; 4-byte Folded Spill
	v_cmpx_ne_u32_e32 0x7f, v2
	s_cbranch_execz .LBB204_184
; %bb.181:                              ;   in Loop: Header=BB204_15 Depth=1
	v_and_b32_e32 v24, 7, v0
	v_lshrrev_b32_e32 v1, 3, v2
	s_mov_b32 s21, exec_lo
	v_cmpx_gt_u32_e32 8, v2
; %bb.182:                              ;   in Loop: Header=BB204_15 Depth=1
	v_ffbh_u32_e32 v1, v24
	v_min_u32_e32 v1, 32, v1
	v_subrev_nc_u32_e32 v2, 28, v1
	v_sub_nc_u32_e32 v1, 29, v1
	v_lshlrev_b64 v[2:3], v2, v[24:25]
	v_and_b32_e32 v24, 7, v2
; %bb.183:                              ;   in Loop: Header=BB204_15 Depth=1
	s_or_b32 exec_lo, exec_lo, s21
	v_lshlrev_b32_e32 v2, 24, v0
	v_lshlrev_b32_e32 v3, 20, v24
	v_lshl_add_u32 v1, v1, 23, 0x3c000000
	v_and_b32_e32 v2, 0x80000000, v2
	v_or3_b32 v24, v3, v2, v1
	buffer_store_dword v24, off, s[0:3], s32 offset:380 ; 4-byte Folded Spill
	buffer_store_dword v25, off, s[0:3], s32 offset:384 ; 4-byte Folded Spill
.LBB204_184:                            ;   in Loop: Header=BB204_15 Depth=1
	s_or_b32 exec_lo, exec_lo, s20
.LBB204_185:                            ;   in Loop: Header=BB204_15 Depth=1
	s_or_b32 exec_lo, exec_lo, s19
.LBB204_186:                            ;   in Loop: Header=BB204_15 Depth=1
	s_or_b32 exec_lo, exec_lo, s18
	v_cmp_ne_u16_sdwa s5, v0, v25 src0_sel:BYTE_1 src1_sel:DWORD
	s_and_saveexec_b32 s18, s5
	s_cbranch_execz .LBB204_194
; %bb.187:                              ;   in Loop: Header=BB204_15 Depth=1
	v_mov_b32_e32 v31, v25
	v_cmp_ne_u16_sdwa s5, v0, v18 src0_sel:BYTE_1 src1_sel:DWORD
	buffer_store_dword v31, off, s[0:3], s32 offset:388 ; 4-byte Folded Spill
	buffer_store_dword v32, off, s[0:3], s32 offset:392 ; 4-byte Folded Spill
	s_and_saveexec_b32 s19, s5
	s_cbranch_execz .LBB204_193
; %bb.188:                              ;   in Loop: Header=BB204_15 Depth=1
	v_mov_b32_e32 v1, 0xffff
	v_mov_b32_e32 v4, v25
	s_mov_b32 s20, exec_lo
	buffer_store_dword v4, off, s[0:3], s32 offset:388 ; 4-byte Folded Spill
	buffer_store_dword v5, off, s[0:3], s32 offset:392 ; 4-byte Folded Spill
	v_and_b32_sdwa v1, v1, v0 dst_sel:DWORD dst_unused:UNUSED_PAD src0_sel:DWORD src1_sel:BYTE_1
	v_and_b32_e32 v2, 0x7f, v1
	v_cmpx_ne_u32_e32 0x7f, v2
	s_cbranch_execz .LBB204_192
; %bb.189:                              ;   in Loop: Header=BB204_15 Depth=1
	v_and_b32_e32 v24, 7, v1
	v_lshrrev_b32_e32 v1, 3, v2
	s_mov_b32 s21, exec_lo
	v_cmpx_gt_u32_e32 8, v2
; %bb.190:                              ;   in Loop: Header=BB204_15 Depth=1
	v_ffbh_u32_e32 v1, v24
	v_min_u32_e32 v1, 32, v1
	v_subrev_nc_u32_e32 v2, 28, v1
	v_sub_nc_u32_e32 v1, 29, v1
	v_lshlrev_b64 v[2:3], v2, v[24:25]
	v_and_b32_e32 v24, 7, v2
; %bb.191:                              ;   in Loop: Header=BB204_15 Depth=1
	s_or_b32 exec_lo, exec_lo, s21
	v_lshlrev_b32_e32 v2, 16, v0
	v_lshlrev_b32_e32 v3, 20, v24
	v_lshl_add_u32 v1, v1, 23, 0x3c000000
	v_and_b32_e32 v2, 0x80000000, v2
	v_or3_b32 v2, v3, v2, v1
	v_mov_b32_e32 v1, v25
	buffer_store_dword v1, off, s[0:3], s32 offset:388 ; 4-byte Folded Spill
	buffer_store_dword v2, off, s[0:3], s32 offset:392 ; 4-byte Folded Spill
.LBB204_192:                            ;   in Loop: Header=BB204_15 Depth=1
	s_or_b32 exec_lo, exec_lo, s20
.LBB204_193:                            ;   in Loop: Header=BB204_15 Depth=1
	s_or_b32 exec_lo, exec_lo, s19
.LBB204_194:                            ;   in Loop: Header=BB204_15 Depth=1
	s_or_b32 exec_lo, exec_lo, s18
	v_mov_b32_e32 v2, 0
	v_mov_b32_e32 v3, 0
	v_and_b32_sdwa v1, v0, v37 dst_sel:DWORD dst_unused:UNUSED_PAD src0_sel:WORD_1 src1_sel:DWORD
	s_mov_b32 s18, exec_lo
	buffer_store_dword v2, off, s[0:3], s32 offset:396 ; 4-byte Folded Spill
	buffer_store_dword v3, off, s[0:3], s32 offset:400 ; 4-byte Folded Spill
	v_mov_b32_e32 v2, 0
	v_mov_b32_e32 v3, 0
	buffer_store_dword v2, off, s[0:3], s32 offset:404 ; 4-byte Folded Spill
	buffer_store_dword v3, off, s[0:3], s32 offset:408 ; 4-byte Folded Spill
	v_cmpx_ne_u16_e32 0, v1
	s_cbranch_execz .LBB204_202
; %bb.195:                              ;   in Loop: Header=BB204_15 Depth=1
	v_cmp_ne_u16_e64 s5, 0x80, v1
	v_bfrev_b32_e32 v1, 1
	v_mov_b32_e32 v2, 0
	buffer_store_dword v1, off, s[0:3], s32 offset:404 ; 4-byte Folded Spill
	buffer_store_dword v2, off, s[0:3], s32 offset:408 ; 4-byte Folded Spill
	s_and_saveexec_b32 s19, s5
	s_cbranch_execz .LBB204_201
; %bb.196:                              ;   in Loop: Header=BB204_15 Depth=1
	v_mov_b32_e32 v3, 0x7f800001
	v_bfe_u32 v2, v0, 16, 7
	v_mov_b32_e32 v4, 0
	s_mov_b32 s20, exec_lo
	buffer_store_dword v3, off, s[0:3], s32 offset:404 ; 4-byte Folded Spill
	buffer_store_dword v4, off, s[0:3], s32 offset:408 ; 4-byte Folded Spill
	v_cmpx_ne_u32_e32 0x7f, v2
	s_cbranch_execz .LBB204_200
; %bb.197:                              ;   in Loop: Header=BB204_15 Depth=1
	v_mov_b32_e32 v1, 7
	s_mov_b32 s21, exec_lo
	v_and_b32_sdwa v24, v0, v1 dst_sel:DWORD dst_unused:UNUSED_PAD src0_sel:WORD_1 src1_sel:DWORD
	v_lshrrev_b32_e32 v1, 3, v2
	v_cmpx_gt_u32_e32 8, v2
; %bb.198:                              ;   in Loop: Header=BB204_15 Depth=1
	v_ffbh_u32_e32 v1, v24
	v_min_u32_e32 v1, 32, v1
	v_subrev_nc_u32_e32 v2, 28, v1
	v_sub_nc_u32_e32 v1, 29, v1
	v_lshlrev_b64 v[2:3], v2, v[24:25]
	v_and_b32_e32 v24, 7, v2
; %bb.199:                              ;   in Loop: Header=BB204_15 Depth=1
	s_or_b32 exec_lo, exec_lo, s21
	v_mov_b32_e32 v2, 24
	v_lshlrev_b32_e32 v3, 20, v24
	v_lshl_add_u32 v1, v1, 23, 0x3c000000
	v_lshlrev_b32_sdwa v2, v2, v0 dst_sel:DWORD dst_unused:UNUSED_PAD src0_sel:DWORD src1_sel:WORD_1
	v_and_b32_e32 v2, 0x80000000, v2
	v_or3_b32 v24, v3, v2, v1
	buffer_store_dword v24, off, s[0:3], s32 offset:404 ; 4-byte Folded Spill
	buffer_store_dword v25, off, s[0:3], s32 offset:408 ; 4-byte Folded Spill
.LBB204_200:                            ;   in Loop: Header=BB204_15 Depth=1
	s_or_b32 exec_lo, exec_lo, s20
.LBB204_201:                            ;   in Loop: Header=BB204_15 Depth=1
	s_or_b32 exec_lo, exec_lo, s19
.LBB204_202:                            ;   in Loop: Header=BB204_15 Depth=1
	s_or_b32 exec_lo, exec_lo, s18
	s_mov_b32 s18, exec_lo
	v_cmpx_lt_u32_e32 0xffffff, v0
	s_cbranch_execz .LBB204_210
; %bb.203:                              ;   in Loop: Header=BB204_15 Depth=1
	v_mov_b32_e32 v31, v25
	v_cmp_ne_u32_sdwa s5, v0, v18 src0_sel:BYTE_3 src1_sel:DWORD
	buffer_store_dword v31, off, s[0:3], s32 offset:396 ; 4-byte Folded Spill
	buffer_store_dword v32, off, s[0:3], s32 offset:400 ; 4-byte Folded Spill
	s_and_saveexec_b32 s19, s5
	s_cbranch_execz .LBB204_209
; %bb.204:                              ;   in Loop: Header=BB204_15 Depth=1
	v_bfe_u32 v2, v0, 24, 7
	v_mov_b32_e32 v4, v25
	s_mov_b32 s20, exec_lo
	buffer_store_dword v4, off, s[0:3], s32 offset:396 ; 4-byte Folded Spill
	buffer_store_dword v5, off, s[0:3], s32 offset:400 ; 4-byte Folded Spill
	v_cmpx_ne_u32_e32 0x7f, v2
	s_cbranch_execz .LBB204_208
; %bb.205:                              ;   in Loop: Header=BB204_15 Depth=1
	v_mov_b32_e32 v1, 7
	s_mov_b32 s21, exec_lo
	v_and_b32_sdwa v24, v0, v1 dst_sel:DWORD dst_unused:UNUSED_PAD src0_sel:BYTE_3 src1_sel:DWORD
	v_lshrrev_b32_e32 v1, 3, v2
	v_cmpx_gt_u32_e32 8, v2
; %bb.206:                              ;   in Loop: Header=BB204_15 Depth=1
	v_ffbh_u32_e32 v1, v24
	v_min_u32_e32 v1, 32, v1
	v_subrev_nc_u32_e32 v2, 28, v1
	v_sub_nc_u32_e32 v1, 29, v1
	v_lshlrev_b64 v[2:3], v2, v[24:25]
	v_and_b32_e32 v24, 7, v2
; %bb.207:                              ;   in Loop: Header=BB204_15 Depth=1
	s_or_b32 exec_lo, exec_lo, s21
	v_mov_b32_e32 v2, 24
	v_lshl_add_u32 v1, v1, 23, 0x3c000000
	v_lshlrev_b32_sdwa v0, v2, v0 dst_sel:DWORD dst_unused:UNUSED_PAD src0_sel:DWORD src1_sel:BYTE_3
	v_lshlrev_b32_e32 v2, 20, v24
	v_and_b32_e32 v0, 0x80000000, v0
	v_or3_b32 v1, v2, v0, v1
	v_mov_b32_e32 v0, v25
	buffer_store_dword v0, off, s[0:3], s32 offset:396 ; 4-byte Folded Spill
	buffer_store_dword v1, off, s[0:3], s32 offset:400 ; 4-byte Folded Spill
.LBB204_208:                            ;   in Loop: Header=BB204_15 Depth=1
	s_or_b32 exec_lo, exec_lo, s20
.LBB204_209:                            ;   in Loop: Header=BB204_15 Depth=1
	s_or_b32 exec_lo, exec_lo, s19
.LBB204_210:                            ;   in Loop: Header=BB204_15 Depth=1
	s_or_b32 exec_lo, exec_lo, s18
	flat_load_dword v0, v[12:13] offset:520
	v_mov_b32_e32 v48, 0
	v_mov_b32_e32 v1, 0
	;; [unrolled: 1-line block ×4, first 2 shown]
	buffer_store_dword v1, off, s[0:3], s32 offset:412 ; 4-byte Folded Spill
	buffer_store_dword v2, off, s[0:3], s32 offset:416 ; 4-byte Folded Spill
	s_waitcnt vmcnt(0) lgkmcnt(0)
	v_cmp_ne_u16_sdwa s5, v0, v25 src0_sel:BYTE_0 src1_sel:DWORD
	s_and_saveexec_b32 s18, s5
	s_cbranch_execz .LBB204_218
; %bb.211:                              ;   in Loop: Header=BB204_15 Depth=1
	v_bfrev_b32_e32 v1, 1
	v_mov_b32_e32 v2, 0
	v_cmp_ne_u16_sdwa s5, v0, v18 src0_sel:BYTE_0 src1_sel:DWORD
	buffer_store_dword v1, off, s[0:3], s32 offset:412 ; 4-byte Folded Spill
	buffer_store_dword v2, off, s[0:3], s32 offset:416 ; 4-byte Folded Spill
	s_and_saveexec_b32 s19, s5
	s_cbranch_execz .LBB204_217
; %bb.212:                              ;   in Loop: Header=BB204_15 Depth=1
	v_mov_b32_e32 v3, 0x7f800001
	v_and_b32_e32 v2, 0x7f, v0
	v_mov_b32_e32 v4, 0
	s_mov_b32 s20, exec_lo
	buffer_store_dword v3, off, s[0:3], s32 offset:412 ; 4-byte Folded Spill
	buffer_store_dword v4, off, s[0:3], s32 offset:416 ; 4-byte Folded Spill
	v_cmpx_ne_u32_e32 0x7f, v2
	s_cbranch_execz .LBB204_216
; %bb.213:                              ;   in Loop: Header=BB204_15 Depth=1
	v_and_b32_e32 v24, 7, v0
	v_lshrrev_b32_e32 v1, 3, v2
	s_mov_b32 s21, exec_lo
	v_cmpx_gt_u32_e32 8, v2
; %bb.214:                              ;   in Loop: Header=BB204_15 Depth=1
	v_ffbh_u32_e32 v1, v24
	v_min_u32_e32 v1, 32, v1
	v_subrev_nc_u32_e32 v2, 28, v1
	v_sub_nc_u32_e32 v1, 29, v1
	v_lshlrev_b64 v[2:3], v2, v[24:25]
	v_and_b32_e32 v24, 7, v2
; %bb.215:                              ;   in Loop: Header=BB204_15 Depth=1
	s_or_b32 exec_lo, exec_lo, s21
	v_lshlrev_b32_e32 v2, 24, v0
	v_lshlrev_b32_e32 v3, 20, v24
	v_lshl_add_u32 v1, v1, 23, 0x3c000000
	v_and_b32_e32 v2, 0x80000000, v2
	v_or3_b32 v24, v3, v2, v1
	buffer_store_dword v24, off, s[0:3], s32 offset:412 ; 4-byte Folded Spill
	buffer_store_dword v25, off, s[0:3], s32 offset:416 ; 4-byte Folded Spill
.LBB204_216:                            ;   in Loop: Header=BB204_15 Depth=1
	s_or_b32 exec_lo, exec_lo, s20
.LBB204_217:                            ;   in Loop: Header=BB204_15 Depth=1
	s_or_b32 exec_lo, exec_lo, s19
.LBB204_218:                            ;   in Loop: Header=BB204_15 Depth=1
	s_or_b32 exec_lo, exec_lo, s18
	v_cmp_ne_u16_sdwa s5, v0, v25 src0_sel:BYTE_1 src1_sel:DWORD
	s_and_saveexec_b32 s18, s5
	s_cbranch_execz .LBB204_226
; %bb.219:                              ;   in Loop: Header=BB204_15 Depth=1
	v_mov_b32_e32 v31, v25
	v_mov_b32_e32 v49, v32
	v_cmp_ne_u16_sdwa s5, v0, v18 src0_sel:BYTE_1 src1_sel:DWORD
	v_mov_b32_e32 v48, v31
	s_and_saveexec_b32 s19, s5
	s_cbranch_execz .LBB204_225
; %bb.220:                              ;   in Loop: Header=BB204_15 Depth=1
	v_mov_b32_e32 v1, 0xffff
	v_mov_b32_e32 v4, v25
	;; [unrolled: 1-line block ×3, first 2 shown]
	s_mov_b32 s20, exec_lo
	v_and_b32_sdwa v1, v1, v0 dst_sel:DWORD dst_unused:UNUSED_PAD src0_sel:DWORD src1_sel:BYTE_1
	v_mov_b32_e32 v48, v4
	v_and_b32_e32 v2, 0x7f, v1
	v_cmpx_ne_u32_e32 0x7f, v2
	s_cbranch_execz .LBB204_224
; %bb.221:                              ;   in Loop: Header=BB204_15 Depth=1
	v_and_b32_e32 v24, 7, v1
	v_lshrrev_b32_e32 v1, 3, v2
	s_mov_b32 s21, exec_lo
	v_cmpx_gt_u32_e32 8, v2
; %bb.222:                              ;   in Loop: Header=BB204_15 Depth=1
	v_ffbh_u32_e32 v1, v24
	v_min_u32_e32 v1, 32, v1
	v_subrev_nc_u32_e32 v2, 28, v1
	v_sub_nc_u32_e32 v1, 29, v1
	v_lshlrev_b64 v[2:3], v2, v[24:25]
	v_and_b32_e32 v24, 7, v2
; %bb.223:                              ;   in Loop: Header=BB204_15 Depth=1
	s_or_b32 exec_lo, exec_lo, s21
	v_lshlrev_b32_e32 v2, 16, v0
	v_lshlrev_b32_e32 v3, 20, v24
	v_lshl_add_u32 v1, v1, 23, 0x3c000000
	v_mov_b32_e32 v48, v25
	v_and_b32_e32 v2, 0x80000000, v2
	v_or3_b32 v49, v3, v2, v1
.LBB204_224:                            ;   in Loop: Header=BB204_15 Depth=1
	s_or_b32 exec_lo, exec_lo, s20
.LBB204_225:                            ;   in Loop: Header=BB204_15 Depth=1
	s_or_b32 exec_lo, exec_lo, s19
.LBB204_226:                            ;   in Loop: Header=BB204_15 Depth=1
	s_or_b32 exec_lo, exec_lo, s18
	v_mov_b32_e32 v50, 0
	v_mov_b32_e32 v52, 0
	v_and_b32_sdwa v1, v0, v37 dst_sel:DWORD dst_unused:UNUSED_PAD src0_sel:WORD_1 src1_sel:DWORD
	v_mov_b32_e32 v51, 0
	v_mov_b32_e32 v53, 0
	s_mov_b32 s18, exec_lo
	v_cmpx_ne_u16_e32 0, v1
	s_cbranch_execz .LBB204_234
; %bb.227:                              ;   in Loop: Header=BB204_15 Depth=1
	v_bfrev_b32_e32 v52, 1
	v_mov_b32_e32 v53, 0
	s_mov_b32 s19, exec_lo
	v_cmpx_ne_u16_e32 0x80, v1
	s_cbranch_execz .LBB204_233
; %bb.228:                              ;   in Loop: Header=BB204_15 Depth=1
	v_mov_b32_e32 v52, 0x7f800001
	v_bfe_u32 v2, v0, 16, 7
	v_mov_b32_e32 v53, 0
	s_mov_b32 s20, exec_lo
	v_cmpx_ne_u32_e32 0x7f, v2
	s_cbranch_execz .LBB204_232
; %bb.229:                              ;   in Loop: Header=BB204_15 Depth=1
	v_mov_b32_e32 v1, 7
	s_mov_b32 s21, exec_lo
	v_and_b32_sdwa v24, v0, v1 dst_sel:DWORD dst_unused:UNUSED_PAD src0_sel:WORD_1 src1_sel:DWORD
	v_lshrrev_b32_e32 v1, 3, v2
	v_cmpx_gt_u32_e32 8, v2
; %bb.230:                              ;   in Loop: Header=BB204_15 Depth=1
	v_ffbh_u32_e32 v1, v24
	v_min_u32_e32 v1, 32, v1
	v_subrev_nc_u32_e32 v2, 28, v1
	v_sub_nc_u32_e32 v1, 29, v1
	v_lshlrev_b64 v[2:3], v2, v[24:25]
	v_and_b32_e32 v24, 7, v2
; %bb.231:                              ;   in Loop: Header=BB204_15 Depth=1
	s_or_b32 exec_lo, exec_lo, s21
	v_mov_b32_e32 v2, 24
	v_lshlrev_b32_e32 v3, 20, v24
	v_lshl_add_u32 v1, v1, 23, 0x3c000000
	v_lshlrev_b32_sdwa v2, v2, v0 dst_sel:DWORD dst_unused:UNUSED_PAD src0_sel:DWORD src1_sel:WORD_1
	v_and_b32_e32 v2, 0x80000000, v2
	v_or3_b32 v24, v3, v2, v1
	v_mov_b32_e32 v53, v25
	v_mov_b32_e32 v52, v24
.LBB204_232:                            ;   in Loop: Header=BB204_15 Depth=1
	s_or_b32 exec_lo, exec_lo, s20
.LBB204_233:                            ;   in Loop: Header=BB204_15 Depth=1
	s_or_b32 exec_lo, exec_lo, s19
.LBB204_234:                            ;   in Loop: Header=BB204_15 Depth=1
	s_or_b32 exec_lo, exec_lo, s18
	s_mov_b32 s18, exec_lo
	v_cmpx_lt_u32_e32 0xffffff, v0
	s_cbranch_execz .LBB204_242
; %bb.235:                              ;   in Loop: Header=BB204_15 Depth=1
	v_mov_b32_e32 v31, v25
	v_mov_b32_e32 v51, v32
	v_cmp_ne_u32_sdwa s5, v0, v18 src0_sel:BYTE_3 src1_sel:DWORD
	v_mov_b32_e32 v50, v31
	s_and_saveexec_b32 s19, s5
	s_cbranch_execz .LBB204_241
; %bb.236:                              ;   in Loop: Header=BB204_15 Depth=1
	v_mov_b32_e32 v4, v25
	v_mov_b32_e32 v51, v5
	v_bfe_u32 v2, v0, 24, 7
	s_mov_b32 s20, exec_lo
	v_mov_b32_e32 v50, v4
	v_cmpx_ne_u32_e32 0x7f, v2
	s_cbranch_execz .LBB204_240
; %bb.237:                              ;   in Loop: Header=BB204_15 Depth=1
	v_mov_b32_e32 v1, 7
	s_mov_b32 s21, exec_lo
	v_and_b32_sdwa v24, v0, v1 dst_sel:DWORD dst_unused:UNUSED_PAD src0_sel:BYTE_3 src1_sel:DWORD
	v_lshrrev_b32_e32 v1, 3, v2
	v_cmpx_gt_u32_e32 8, v2
; %bb.238:                              ;   in Loop: Header=BB204_15 Depth=1
	v_ffbh_u32_e32 v1, v24
	v_min_u32_e32 v1, 32, v1
	v_subrev_nc_u32_e32 v2, 28, v1
	v_sub_nc_u32_e32 v1, 29, v1
	v_lshlrev_b64 v[2:3], v2, v[24:25]
	v_and_b32_e32 v24, 7, v2
; %bb.239:                              ;   in Loop: Header=BB204_15 Depth=1
	s_or_b32 exec_lo, exec_lo, s21
	v_mov_b32_e32 v2, 24
	v_lshl_add_u32 v1, v1, 23, 0x3c000000
	v_mov_b32_e32 v50, v25
	v_lshlrev_b32_sdwa v0, v2, v0 dst_sel:DWORD dst_unused:UNUSED_PAD src0_sel:DWORD src1_sel:BYTE_3
	v_lshlrev_b32_e32 v2, 20, v24
	v_and_b32_e32 v0, 0x80000000, v0
	v_or3_b32 v51, v2, v0, v1
.LBB204_240:                            ;   in Loop: Header=BB204_15 Depth=1
	s_or_b32 exec_lo, exec_lo, s20
.LBB204_241:                            ;   in Loop: Header=BB204_15 Depth=1
	s_or_b32 exec_lo, exec_lo, s19
.LBB204_242:                            ;   in Loop: Header=BB204_15 Depth=1
	s_or_b32 exec_lo, exec_lo, s18
	flat_load_dword v0, v[12:13] offset:524
	v_mov_b32_e32 v64, 0
	v_mov_b32_e32 v54, 0
	;; [unrolled: 1-line block ×4, first 2 shown]
	s_waitcnt vmcnt(0) lgkmcnt(0)
	v_cmp_ne_u16_sdwa s5, v0, v25 src0_sel:BYTE_0 src1_sel:DWORD
	s_and_saveexec_b32 s18, s5
	s_cbranch_execz .LBB204_250
; %bb.243:                              ;   in Loop: Header=BB204_15 Depth=1
	v_bfrev_b32_e32 v54, 1
	v_mov_b32_e32 v55, 0
	v_cmp_ne_u16_sdwa s5, v0, v18 src0_sel:BYTE_0 src1_sel:DWORD
	s_and_saveexec_b32 s19, s5
	s_cbranch_execz .LBB204_249
; %bb.244:                              ;   in Loop: Header=BB204_15 Depth=1
	v_mov_b32_e32 v54, 0x7f800001
	v_and_b32_e32 v2, 0x7f, v0
	v_mov_b32_e32 v55, 0
	s_mov_b32 s20, exec_lo
	v_cmpx_ne_u32_e32 0x7f, v2
	s_cbranch_execz .LBB204_248
; %bb.245:                              ;   in Loop: Header=BB204_15 Depth=1
	v_and_b32_e32 v24, 7, v0
	v_lshrrev_b32_e32 v1, 3, v2
	s_mov_b32 s21, exec_lo
	v_cmpx_gt_u32_e32 8, v2
; %bb.246:                              ;   in Loop: Header=BB204_15 Depth=1
	v_ffbh_u32_e32 v1, v24
	v_min_u32_e32 v1, 32, v1
	v_subrev_nc_u32_e32 v2, 28, v1
	v_sub_nc_u32_e32 v1, 29, v1
	v_lshlrev_b64 v[2:3], v2, v[24:25]
	v_and_b32_e32 v24, 7, v2
; %bb.247:                              ;   in Loop: Header=BB204_15 Depth=1
	s_or_b32 exec_lo, exec_lo, s21
	v_lshlrev_b32_e32 v2, 24, v0
	v_lshlrev_b32_e32 v3, 20, v24
	v_lshl_add_u32 v1, v1, 23, 0x3c000000
	v_and_b32_e32 v2, 0x80000000, v2
	v_or3_b32 v24, v3, v2, v1
	v_mov_b32_e32 v55, v25
	v_mov_b32_e32 v54, v24
.LBB204_248:                            ;   in Loop: Header=BB204_15 Depth=1
	s_or_b32 exec_lo, exec_lo, s20
.LBB204_249:                            ;   in Loop: Header=BB204_15 Depth=1
	s_or_b32 exec_lo, exec_lo, s19
.LBB204_250:                            ;   in Loop: Header=BB204_15 Depth=1
	s_or_b32 exec_lo, exec_lo, s18
	v_cmp_ne_u16_sdwa s5, v0, v25 src0_sel:BYTE_1 src1_sel:DWORD
	s_and_saveexec_b32 s18, s5
	s_cbranch_execz .LBB204_258
; %bb.251:                              ;   in Loop: Header=BB204_15 Depth=1
	v_mov_b32_e32 v31, v25
	v_mov_b32_e32 v65, v32
	v_cmp_ne_u16_sdwa s5, v0, v18 src0_sel:BYTE_1 src1_sel:DWORD
	v_mov_b32_e32 v64, v31
	s_and_saveexec_b32 s19, s5
	s_cbranch_execz .LBB204_257
; %bb.252:                              ;   in Loop: Header=BB204_15 Depth=1
	v_mov_b32_e32 v1, 0xffff
	v_mov_b32_e32 v4, v25
	;; [unrolled: 1-line block ×3, first 2 shown]
	s_mov_b32 s20, exec_lo
	v_and_b32_sdwa v1, v1, v0 dst_sel:DWORD dst_unused:UNUSED_PAD src0_sel:DWORD src1_sel:BYTE_1
	v_mov_b32_e32 v64, v4
	v_and_b32_e32 v2, 0x7f, v1
	v_cmpx_ne_u32_e32 0x7f, v2
	s_cbranch_execz .LBB204_256
; %bb.253:                              ;   in Loop: Header=BB204_15 Depth=1
	v_and_b32_e32 v24, 7, v1
	v_lshrrev_b32_e32 v1, 3, v2
	s_mov_b32 s21, exec_lo
	v_cmpx_gt_u32_e32 8, v2
; %bb.254:                              ;   in Loop: Header=BB204_15 Depth=1
	v_ffbh_u32_e32 v1, v24
	v_min_u32_e32 v1, 32, v1
	v_subrev_nc_u32_e32 v2, 28, v1
	v_sub_nc_u32_e32 v1, 29, v1
	v_lshlrev_b64 v[2:3], v2, v[24:25]
	v_and_b32_e32 v24, 7, v2
; %bb.255:                              ;   in Loop: Header=BB204_15 Depth=1
	s_or_b32 exec_lo, exec_lo, s21
	v_lshlrev_b32_e32 v2, 16, v0
	v_lshlrev_b32_e32 v3, 20, v24
	v_lshl_add_u32 v1, v1, 23, 0x3c000000
	v_mov_b32_e32 v64, v25
	v_and_b32_e32 v2, 0x80000000, v2
	v_or3_b32 v65, v3, v2, v1
.LBB204_256:                            ;   in Loop: Header=BB204_15 Depth=1
	s_or_b32 exec_lo, exec_lo, s20
.LBB204_257:                            ;   in Loop: Header=BB204_15 Depth=1
	s_or_b32 exec_lo, exec_lo, s19
.LBB204_258:                            ;   in Loop: Header=BB204_15 Depth=1
	s_or_b32 exec_lo, exec_lo, s18
	v_mov_b32_e32 v66, 0
	v_mov_b32_e32 v68, 0
	v_and_b32_sdwa v1, v0, v37 dst_sel:DWORD dst_unused:UNUSED_PAD src0_sel:WORD_1 src1_sel:DWORD
	v_mov_b32_e32 v67, 0
	v_mov_b32_e32 v69, 0
	s_mov_b32 s18, exec_lo
	v_cmpx_ne_u16_e32 0, v1
	s_cbranch_execz .LBB204_266
; %bb.259:                              ;   in Loop: Header=BB204_15 Depth=1
	v_bfrev_b32_e32 v68, 1
	v_mov_b32_e32 v69, 0
	s_mov_b32 s19, exec_lo
	v_cmpx_ne_u16_e32 0x80, v1
	s_cbranch_execz .LBB204_265
; %bb.260:                              ;   in Loop: Header=BB204_15 Depth=1
	v_mov_b32_e32 v68, 0x7f800001
	v_bfe_u32 v2, v0, 16, 7
	v_mov_b32_e32 v69, 0
	s_mov_b32 s20, exec_lo
	v_cmpx_ne_u32_e32 0x7f, v2
	s_cbranch_execz .LBB204_264
; %bb.261:                              ;   in Loop: Header=BB204_15 Depth=1
	v_mov_b32_e32 v1, 7
	s_mov_b32 s21, exec_lo
	v_and_b32_sdwa v24, v0, v1 dst_sel:DWORD dst_unused:UNUSED_PAD src0_sel:WORD_1 src1_sel:DWORD
	v_lshrrev_b32_e32 v1, 3, v2
	v_cmpx_gt_u32_e32 8, v2
; %bb.262:                              ;   in Loop: Header=BB204_15 Depth=1
	v_ffbh_u32_e32 v1, v24
	v_min_u32_e32 v1, 32, v1
	v_subrev_nc_u32_e32 v2, 28, v1
	v_sub_nc_u32_e32 v1, 29, v1
	v_lshlrev_b64 v[2:3], v2, v[24:25]
	v_and_b32_e32 v24, 7, v2
; %bb.263:                              ;   in Loop: Header=BB204_15 Depth=1
	s_or_b32 exec_lo, exec_lo, s21
	v_mov_b32_e32 v2, 24
	v_lshlrev_b32_e32 v3, 20, v24
	v_lshl_add_u32 v1, v1, 23, 0x3c000000
	v_lshlrev_b32_sdwa v2, v2, v0 dst_sel:DWORD dst_unused:UNUSED_PAD src0_sel:DWORD src1_sel:WORD_1
	v_and_b32_e32 v2, 0x80000000, v2
	v_or3_b32 v24, v3, v2, v1
	v_mov_b32_e32 v69, v25
	v_mov_b32_e32 v68, v24
.LBB204_264:                            ;   in Loop: Header=BB204_15 Depth=1
	s_or_b32 exec_lo, exec_lo, s20
.LBB204_265:                            ;   in Loop: Header=BB204_15 Depth=1
	s_or_b32 exec_lo, exec_lo, s19
.LBB204_266:                            ;   in Loop: Header=BB204_15 Depth=1
	s_or_b32 exec_lo, exec_lo, s18
	s_mov_b32 s18, exec_lo
	v_cmpx_lt_u32_e32 0xffffff, v0
	s_cbranch_execz .LBB204_274
; %bb.267:                              ;   in Loop: Header=BB204_15 Depth=1
	v_mov_b32_e32 v31, v25
	v_mov_b32_e32 v67, v32
	v_cmp_ne_u32_sdwa s5, v0, v18 src0_sel:BYTE_3 src1_sel:DWORD
	v_mov_b32_e32 v66, v31
	s_and_saveexec_b32 s19, s5
	s_cbranch_execz .LBB204_273
; %bb.268:                              ;   in Loop: Header=BB204_15 Depth=1
	v_mov_b32_e32 v4, v25
	v_mov_b32_e32 v67, v5
	v_bfe_u32 v2, v0, 24, 7
	s_mov_b32 s20, exec_lo
	v_mov_b32_e32 v66, v4
	v_cmpx_ne_u32_e32 0x7f, v2
	s_cbranch_execz .LBB204_272
; %bb.269:                              ;   in Loop: Header=BB204_15 Depth=1
	v_mov_b32_e32 v1, 7
	s_mov_b32 s21, exec_lo
	v_and_b32_sdwa v24, v0, v1 dst_sel:DWORD dst_unused:UNUSED_PAD src0_sel:BYTE_3 src1_sel:DWORD
	v_lshrrev_b32_e32 v1, 3, v2
	v_cmpx_gt_u32_e32 8, v2
; %bb.270:                              ;   in Loop: Header=BB204_15 Depth=1
	v_ffbh_u32_e32 v1, v24
	v_min_u32_e32 v1, 32, v1
	v_subrev_nc_u32_e32 v2, 28, v1
	v_sub_nc_u32_e32 v1, 29, v1
	v_lshlrev_b64 v[2:3], v2, v[24:25]
	v_and_b32_e32 v24, 7, v2
; %bb.271:                              ;   in Loop: Header=BB204_15 Depth=1
	s_or_b32 exec_lo, exec_lo, s21
	v_mov_b32_e32 v2, 24
	v_lshl_add_u32 v1, v1, 23, 0x3c000000
	v_mov_b32_e32 v66, v25
	v_lshlrev_b32_sdwa v0, v2, v0 dst_sel:DWORD dst_unused:UNUSED_PAD src0_sel:DWORD src1_sel:BYTE_3
	v_lshlrev_b32_e32 v2, 20, v24
	v_and_b32_e32 v0, 0x80000000, v0
	v_or3_b32 v67, v2, v0, v1
.LBB204_272:                            ;   in Loop: Header=BB204_15 Depth=1
	s_or_b32 exec_lo, exec_lo, s20
.LBB204_273:                            ;   in Loop: Header=BB204_15 Depth=1
	s_or_b32 exec_lo, exec_lo, s19
.LBB204_274:                            ;   in Loop: Header=BB204_15 Depth=1
	s_or_b32 exec_lo, exec_lo, s18
	flat_load_dword v0, v[12:13] offset:1024
	v_mov_b32_e32 v80, 0
	v_mov_b32_e32 v70, 0
	;; [unrolled: 1-line block ×4, first 2 shown]
	s_waitcnt vmcnt(0) lgkmcnt(0)
	v_cmp_ne_u16_sdwa s5, v0, v25 src0_sel:BYTE_0 src1_sel:DWORD
	s_and_saveexec_b32 s18, s5
	s_cbranch_execz .LBB204_282
; %bb.275:                              ;   in Loop: Header=BB204_15 Depth=1
	v_bfrev_b32_e32 v70, 1
	v_mov_b32_e32 v71, 0
	v_cmp_ne_u16_sdwa s5, v0, v18 src0_sel:BYTE_0 src1_sel:DWORD
	s_and_saveexec_b32 s19, s5
	s_cbranch_execz .LBB204_281
; %bb.276:                              ;   in Loop: Header=BB204_15 Depth=1
	v_mov_b32_e32 v70, 0x7f800001
	v_and_b32_e32 v2, 0x7f, v0
	v_mov_b32_e32 v71, 0
	s_mov_b32 s20, exec_lo
	v_cmpx_ne_u32_e32 0x7f, v2
	s_cbranch_execz .LBB204_280
; %bb.277:                              ;   in Loop: Header=BB204_15 Depth=1
	v_and_b32_e32 v24, 7, v0
	v_lshrrev_b32_e32 v1, 3, v2
	s_mov_b32 s21, exec_lo
	v_cmpx_gt_u32_e32 8, v2
; %bb.278:                              ;   in Loop: Header=BB204_15 Depth=1
	v_ffbh_u32_e32 v1, v24
	v_min_u32_e32 v1, 32, v1
	v_subrev_nc_u32_e32 v2, 28, v1
	v_sub_nc_u32_e32 v1, 29, v1
	v_lshlrev_b64 v[2:3], v2, v[24:25]
	v_and_b32_e32 v24, 7, v2
; %bb.279:                              ;   in Loop: Header=BB204_15 Depth=1
	s_or_b32 exec_lo, exec_lo, s21
	v_lshlrev_b32_e32 v2, 24, v0
	v_lshlrev_b32_e32 v3, 20, v24
	v_lshl_add_u32 v1, v1, 23, 0x3c000000
	v_and_b32_e32 v2, 0x80000000, v2
	v_or3_b32 v24, v3, v2, v1
	v_mov_b32_e32 v71, v25
	v_mov_b32_e32 v70, v24
.LBB204_280:                            ;   in Loop: Header=BB204_15 Depth=1
	s_or_b32 exec_lo, exec_lo, s20
.LBB204_281:                            ;   in Loop: Header=BB204_15 Depth=1
	s_or_b32 exec_lo, exec_lo, s19
.LBB204_282:                            ;   in Loop: Header=BB204_15 Depth=1
	s_or_b32 exec_lo, exec_lo, s18
	v_cmp_ne_u16_sdwa s5, v0, v25 src0_sel:BYTE_1 src1_sel:DWORD
	s_and_saveexec_b32 s18, s5
	s_cbranch_execz .LBB204_290
; %bb.283:                              ;   in Loop: Header=BB204_15 Depth=1
	v_mov_b32_e32 v31, v25
	v_mov_b32_e32 v81, v32
	v_cmp_ne_u16_sdwa s5, v0, v18 src0_sel:BYTE_1 src1_sel:DWORD
	v_mov_b32_e32 v80, v31
	s_and_saveexec_b32 s19, s5
	s_cbranch_execz .LBB204_289
; %bb.284:                              ;   in Loop: Header=BB204_15 Depth=1
	v_mov_b32_e32 v1, 0xffff
	v_mov_b32_e32 v4, v25
	;; [unrolled: 1-line block ×3, first 2 shown]
	s_mov_b32 s20, exec_lo
	v_and_b32_sdwa v1, v1, v0 dst_sel:DWORD dst_unused:UNUSED_PAD src0_sel:DWORD src1_sel:BYTE_1
	v_mov_b32_e32 v80, v4
	v_and_b32_e32 v2, 0x7f, v1
	v_cmpx_ne_u32_e32 0x7f, v2
	s_cbranch_execz .LBB204_288
; %bb.285:                              ;   in Loop: Header=BB204_15 Depth=1
	v_and_b32_e32 v24, 7, v1
	v_lshrrev_b32_e32 v1, 3, v2
	s_mov_b32 s21, exec_lo
	v_cmpx_gt_u32_e32 8, v2
; %bb.286:                              ;   in Loop: Header=BB204_15 Depth=1
	v_ffbh_u32_e32 v1, v24
	v_min_u32_e32 v1, 32, v1
	v_subrev_nc_u32_e32 v2, 28, v1
	v_sub_nc_u32_e32 v1, 29, v1
	v_lshlrev_b64 v[2:3], v2, v[24:25]
	v_and_b32_e32 v24, 7, v2
; %bb.287:                              ;   in Loop: Header=BB204_15 Depth=1
	s_or_b32 exec_lo, exec_lo, s21
	v_lshlrev_b32_e32 v2, 16, v0
	v_lshlrev_b32_e32 v3, 20, v24
	v_lshl_add_u32 v1, v1, 23, 0x3c000000
	v_mov_b32_e32 v80, v25
	v_and_b32_e32 v2, 0x80000000, v2
	v_or3_b32 v81, v3, v2, v1
.LBB204_288:                            ;   in Loop: Header=BB204_15 Depth=1
	s_or_b32 exec_lo, exec_lo, s20
.LBB204_289:                            ;   in Loop: Header=BB204_15 Depth=1
	s_or_b32 exec_lo, exec_lo, s19
.LBB204_290:                            ;   in Loop: Header=BB204_15 Depth=1
	s_or_b32 exec_lo, exec_lo, s18
	v_mov_b32_e32 v82, 0
	v_mov_b32_e32 v84, 0
	v_and_b32_sdwa v1, v0, v37 dst_sel:DWORD dst_unused:UNUSED_PAD src0_sel:WORD_1 src1_sel:DWORD
	v_mov_b32_e32 v83, 0
	v_mov_b32_e32 v85, 0
	s_mov_b32 s18, exec_lo
	v_cmpx_ne_u16_e32 0, v1
	s_cbranch_execz .LBB204_298
; %bb.291:                              ;   in Loop: Header=BB204_15 Depth=1
	v_bfrev_b32_e32 v84, 1
	v_mov_b32_e32 v85, 0
	s_mov_b32 s19, exec_lo
	v_cmpx_ne_u16_e32 0x80, v1
	s_cbranch_execz .LBB204_297
; %bb.292:                              ;   in Loop: Header=BB204_15 Depth=1
	v_mov_b32_e32 v84, 0x7f800001
	v_bfe_u32 v2, v0, 16, 7
	v_mov_b32_e32 v85, 0
	s_mov_b32 s20, exec_lo
	v_cmpx_ne_u32_e32 0x7f, v2
	s_cbranch_execz .LBB204_296
; %bb.293:                              ;   in Loop: Header=BB204_15 Depth=1
	v_mov_b32_e32 v1, 7
	s_mov_b32 s21, exec_lo
	v_and_b32_sdwa v24, v0, v1 dst_sel:DWORD dst_unused:UNUSED_PAD src0_sel:WORD_1 src1_sel:DWORD
	v_lshrrev_b32_e32 v1, 3, v2
	v_cmpx_gt_u32_e32 8, v2
; %bb.294:                              ;   in Loop: Header=BB204_15 Depth=1
	v_ffbh_u32_e32 v1, v24
	v_min_u32_e32 v1, 32, v1
	v_subrev_nc_u32_e32 v2, 28, v1
	v_sub_nc_u32_e32 v1, 29, v1
	v_lshlrev_b64 v[2:3], v2, v[24:25]
	v_and_b32_e32 v24, 7, v2
; %bb.295:                              ;   in Loop: Header=BB204_15 Depth=1
	s_or_b32 exec_lo, exec_lo, s21
	v_mov_b32_e32 v2, 24
	v_lshlrev_b32_e32 v3, 20, v24
	v_lshl_add_u32 v1, v1, 23, 0x3c000000
	v_lshlrev_b32_sdwa v2, v2, v0 dst_sel:DWORD dst_unused:UNUSED_PAD src0_sel:DWORD src1_sel:WORD_1
	v_and_b32_e32 v2, 0x80000000, v2
	v_or3_b32 v24, v3, v2, v1
	v_mov_b32_e32 v85, v25
	v_mov_b32_e32 v84, v24
.LBB204_296:                            ;   in Loop: Header=BB204_15 Depth=1
	s_or_b32 exec_lo, exec_lo, s20
.LBB204_297:                            ;   in Loop: Header=BB204_15 Depth=1
	s_or_b32 exec_lo, exec_lo, s19
.LBB204_298:                            ;   in Loop: Header=BB204_15 Depth=1
	s_or_b32 exec_lo, exec_lo, s18
	s_mov_b32 s18, exec_lo
	v_cmpx_lt_u32_e32 0xffffff, v0
	s_cbranch_execz .LBB204_306
; %bb.299:                              ;   in Loop: Header=BB204_15 Depth=1
	v_mov_b32_e32 v31, v25
	v_mov_b32_e32 v83, v32
	v_cmp_ne_u32_sdwa s5, v0, v18 src0_sel:BYTE_3 src1_sel:DWORD
	v_mov_b32_e32 v82, v31
	s_and_saveexec_b32 s19, s5
	s_cbranch_execz .LBB204_305
; %bb.300:                              ;   in Loop: Header=BB204_15 Depth=1
	v_mov_b32_e32 v4, v25
	v_mov_b32_e32 v83, v5
	v_bfe_u32 v2, v0, 24, 7
	s_mov_b32 s20, exec_lo
	v_mov_b32_e32 v82, v4
	v_cmpx_ne_u32_e32 0x7f, v2
	s_cbranch_execz .LBB204_304
; %bb.301:                              ;   in Loop: Header=BB204_15 Depth=1
	v_mov_b32_e32 v1, 7
	s_mov_b32 s21, exec_lo
	v_and_b32_sdwa v24, v0, v1 dst_sel:DWORD dst_unused:UNUSED_PAD src0_sel:BYTE_3 src1_sel:DWORD
	v_lshrrev_b32_e32 v1, 3, v2
	v_cmpx_gt_u32_e32 8, v2
; %bb.302:                              ;   in Loop: Header=BB204_15 Depth=1
	v_ffbh_u32_e32 v1, v24
	v_min_u32_e32 v1, 32, v1
	v_subrev_nc_u32_e32 v2, 28, v1
	v_sub_nc_u32_e32 v1, 29, v1
	v_lshlrev_b64 v[2:3], v2, v[24:25]
	v_and_b32_e32 v24, 7, v2
; %bb.303:                              ;   in Loop: Header=BB204_15 Depth=1
	s_or_b32 exec_lo, exec_lo, s21
	v_mov_b32_e32 v2, 24
	v_lshl_add_u32 v1, v1, 23, 0x3c000000
	v_mov_b32_e32 v82, v25
	v_lshlrev_b32_sdwa v0, v2, v0 dst_sel:DWORD dst_unused:UNUSED_PAD src0_sel:DWORD src1_sel:BYTE_3
	v_lshlrev_b32_e32 v2, 20, v24
	v_and_b32_e32 v0, 0x80000000, v0
	v_or3_b32 v83, v2, v0, v1
.LBB204_304:                            ;   in Loop: Header=BB204_15 Depth=1
	s_or_b32 exec_lo, exec_lo, s20
.LBB204_305:                            ;   in Loop: Header=BB204_15 Depth=1
	s_or_b32 exec_lo, exec_lo, s19
.LBB204_306:                            ;   in Loop: Header=BB204_15 Depth=1
	s_or_b32 exec_lo, exec_lo, s18
	flat_load_dword v0, v[12:13] offset:1028
	v_mov_b32_e32 v96, 0
	v_mov_b32_e32 v86, 0
	;; [unrolled: 1-line block ×4, first 2 shown]
	s_waitcnt vmcnt(0) lgkmcnt(0)
	v_cmp_ne_u16_sdwa s5, v0, v25 src0_sel:BYTE_0 src1_sel:DWORD
	s_and_saveexec_b32 s18, s5
	s_cbranch_execz .LBB204_314
; %bb.307:                              ;   in Loop: Header=BB204_15 Depth=1
	v_bfrev_b32_e32 v86, 1
	v_mov_b32_e32 v87, 0
	v_cmp_ne_u16_sdwa s5, v0, v18 src0_sel:BYTE_0 src1_sel:DWORD
	s_and_saveexec_b32 s19, s5
	s_cbranch_execz .LBB204_313
; %bb.308:                              ;   in Loop: Header=BB204_15 Depth=1
	v_mov_b32_e32 v86, 0x7f800001
	v_and_b32_e32 v2, 0x7f, v0
	v_mov_b32_e32 v87, 0
	s_mov_b32 s20, exec_lo
	v_cmpx_ne_u32_e32 0x7f, v2
	s_cbranch_execz .LBB204_312
; %bb.309:                              ;   in Loop: Header=BB204_15 Depth=1
	v_and_b32_e32 v24, 7, v0
	v_lshrrev_b32_e32 v1, 3, v2
	s_mov_b32 s21, exec_lo
	v_cmpx_gt_u32_e32 8, v2
; %bb.310:                              ;   in Loop: Header=BB204_15 Depth=1
	v_ffbh_u32_e32 v1, v24
	v_min_u32_e32 v1, 32, v1
	v_subrev_nc_u32_e32 v2, 28, v1
	v_sub_nc_u32_e32 v1, 29, v1
	v_lshlrev_b64 v[2:3], v2, v[24:25]
	v_and_b32_e32 v24, 7, v2
; %bb.311:                              ;   in Loop: Header=BB204_15 Depth=1
	s_or_b32 exec_lo, exec_lo, s21
	v_lshlrev_b32_e32 v2, 24, v0
	v_lshlrev_b32_e32 v3, 20, v24
	v_lshl_add_u32 v1, v1, 23, 0x3c000000
	v_and_b32_e32 v2, 0x80000000, v2
	v_or3_b32 v24, v3, v2, v1
	v_mov_b32_e32 v87, v25
	v_mov_b32_e32 v86, v24
.LBB204_312:                            ;   in Loop: Header=BB204_15 Depth=1
	s_or_b32 exec_lo, exec_lo, s20
.LBB204_313:                            ;   in Loop: Header=BB204_15 Depth=1
	s_or_b32 exec_lo, exec_lo, s19
.LBB204_314:                            ;   in Loop: Header=BB204_15 Depth=1
	s_or_b32 exec_lo, exec_lo, s18
	v_cmp_ne_u16_sdwa s5, v0, v25 src0_sel:BYTE_1 src1_sel:DWORD
	s_and_saveexec_b32 s18, s5
	s_cbranch_execz .LBB204_322
; %bb.315:                              ;   in Loop: Header=BB204_15 Depth=1
	v_mov_b32_e32 v31, v25
	v_mov_b32_e32 v97, v32
	v_cmp_ne_u16_sdwa s5, v0, v18 src0_sel:BYTE_1 src1_sel:DWORD
	v_mov_b32_e32 v96, v31
	s_and_saveexec_b32 s19, s5
	s_cbranch_execz .LBB204_321
; %bb.316:                              ;   in Loop: Header=BB204_15 Depth=1
	v_mov_b32_e32 v1, 0xffff
	v_mov_b32_e32 v4, v25
	;; [unrolled: 1-line block ×3, first 2 shown]
	s_mov_b32 s20, exec_lo
	v_and_b32_sdwa v1, v1, v0 dst_sel:DWORD dst_unused:UNUSED_PAD src0_sel:DWORD src1_sel:BYTE_1
	v_mov_b32_e32 v96, v4
	v_and_b32_e32 v2, 0x7f, v1
	v_cmpx_ne_u32_e32 0x7f, v2
	s_cbranch_execz .LBB204_320
; %bb.317:                              ;   in Loop: Header=BB204_15 Depth=1
	v_and_b32_e32 v24, 7, v1
	v_lshrrev_b32_e32 v1, 3, v2
	s_mov_b32 s21, exec_lo
	v_cmpx_gt_u32_e32 8, v2
; %bb.318:                              ;   in Loop: Header=BB204_15 Depth=1
	v_ffbh_u32_e32 v1, v24
	v_min_u32_e32 v1, 32, v1
	v_subrev_nc_u32_e32 v2, 28, v1
	v_sub_nc_u32_e32 v1, 29, v1
	v_lshlrev_b64 v[2:3], v2, v[24:25]
	v_and_b32_e32 v24, 7, v2
; %bb.319:                              ;   in Loop: Header=BB204_15 Depth=1
	s_or_b32 exec_lo, exec_lo, s21
	v_lshlrev_b32_e32 v2, 16, v0
	v_lshlrev_b32_e32 v3, 20, v24
	v_lshl_add_u32 v1, v1, 23, 0x3c000000
	v_mov_b32_e32 v96, v25
	v_and_b32_e32 v2, 0x80000000, v2
	v_or3_b32 v97, v3, v2, v1
.LBB204_320:                            ;   in Loop: Header=BB204_15 Depth=1
	s_or_b32 exec_lo, exec_lo, s20
.LBB204_321:                            ;   in Loop: Header=BB204_15 Depth=1
	s_or_b32 exec_lo, exec_lo, s19
.LBB204_322:                            ;   in Loop: Header=BB204_15 Depth=1
	s_or_b32 exec_lo, exec_lo, s18
	v_mov_b32_e32 v98, 0
	v_mov_b32_e32 v100, 0
	v_and_b32_sdwa v1, v0, v37 dst_sel:DWORD dst_unused:UNUSED_PAD src0_sel:WORD_1 src1_sel:DWORD
	v_mov_b32_e32 v99, 0
	v_mov_b32_e32 v101, 0
	s_mov_b32 s18, exec_lo
	v_cmpx_ne_u16_e32 0, v1
	s_cbranch_execz .LBB204_330
; %bb.323:                              ;   in Loop: Header=BB204_15 Depth=1
	v_bfrev_b32_e32 v100, 1
	v_mov_b32_e32 v101, 0
	s_mov_b32 s19, exec_lo
	v_cmpx_ne_u16_e32 0x80, v1
	s_cbranch_execz .LBB204_329
; %bb.324:                              ;   in Loop: Header=BB204_15 Depth=1
	v_mov_b32_e32 v100, 0x7f800001
	v_bfe_u32 v2, v0, 16, 7
	v_mov_b32_e32 v101, 0
	s_mov_b32 s20, exec_lo
	v_cmpx_ne_u32_e32 0x7f, v2
	s_cbranch_execz .LBB204_328
; %bb.325:                              ;   in Loop: Header=BB204_15 Depth=1
	v_mov_b32_e32 v1, 7
	s_mov_b32 s21, exec_lo
	v_and_b32_sdwa v24, v0, v1 dst_sel:DWORD dst_unused:UNUSED_PAD src0_sel:WORD_1 src1_sel:DWORD
	v_lshrrev_b32_e32 v1, 3, v2
	v_cmpx_gt_u32_e32 8, v2
; %bb.326:                              ;   in Loop: Header=BB204_15 Depth=1
	v_ffbh_u32_e32 v1, v24
	v_min_u32_e32 v1, 32, v1
	v_subrev_nc_u32_e32 v2, 28, v1
	v_sub_nc_u32_e32 v1, 29, v1
	v_lshlrev_b64 v[2:3], v2, v[24:25]
	v_and_b32_e32 v24, 7, v2
; %bb.327:                              ;   in Loop: Header=BB204_15 Depth=1
	s_or_b32 exec_lo, exec_lo, s21
	v_mov_b32_e32 v2, 24
	v_lshlrev_b32_e32 v3, 20, v24
	v_lshl_add_u32 v1, v1, 23, 0x3c000000
	v_lshlrev_b32_sdwa v2, v2, v0 dst_sel:DWORD dst_unused:UNUSED_PAD src0_sel:DWORD src1_sel:WORD_1
	v_and_b32_e32 v2, 0x80000000, v2
	v_or3_b32 v24, v3, v2, v1
	v_mov_b32_e32 v101, v25
	v_mov_b32_e32 v100, v24
.LBB204_328:                            ;   in Loop: Header=BB204_15 Depth=1
	s_or_b32 exec_lo, exec_lo, s20
.LBB204_329:                            ;   in Loop: Header=BB204_15 Depth=1
	s_or_b32 exec_lo, exec_lo, s19
.LBB204_330:                            ;   in Loop: Header=BB204_15 Depth=1
	s_or_b32 exec_lo, exec_lo, s18
	s_mov_b32 s18, exec_lo
	v_cmpx_lt_u32_e32 0xffffff, v0
	s_cbranch_execz .LBB204_338
; %bb.331:                              ;   in Loop: Header=BB204_15 Depth=1
	v_mov_b32_e32 v31, v25
	v_mov_b32_e32 v99, v32
	v_cmp_ne_u32_sdwa s5, v0, v18 src0_sel:BYTE_3 src1_sel:DWORD
	v_mov_b32_e32 v98, v31
	s_and_saveexec_b32 s19, s5
	s_cbranch_execz .LBB204_337
; %bb.332:                              ;   in Loop: Header=BB204_15 Depth=1
	v_mov_b32_e32 v4, v25
	v_mov_b32_e32 v99, v5
	v_bfe_u32 v2, v0, 24, 7
	s_mov_b32 s20, exec_lo
	v_mov_b32_e32 v98, v4
	v_cmpx_ne_u32_e32 0x7f, v2
	s_cbranch_execz .LBB204_336
; %bb.333:                              ;   in Loop: Header=BB204_15 Depth=1
	v_mov_b32_e32 v1, 7
	s_mov_b32 s21, exec_lo
	v_and_b32_sdwa v24, v0, v1 dst_sel:DWORD dst_unused:UNUSED_PAD src0_sel:BYTE_3 src1_sel:DWORD
	v_lshrrev_b32_e32 v1, 3, v2
	v_cmpx_gt_u32_e32 8, v2
; %bb.334:                              ;   in Loop: Header=BB204_15 Depth=1
	v_ffbh_u32_e32 v1, v24
	v_min_u32_e32 v1, 32, v1
	v_subrev_nc_u32_e32 v2, 28, v1
	v_sub_nc_u32_e32 v1, 29, v1
	v_lshlrev_b64 v[2:3], v2, v[24:25]
	v_and_b32_e32 v24, 7, v2
; %bb.335:                              ;   in Loop: Header=BB204_15 Depth=1
	s_or_b32 exec_lo, exec_lo, s21
	v_mov_b32_e32 v2, 24
	v_lshl_add_u32 v1, v1, 23, 0x3c000000
	v_mov_b32_e32 v98, v25
	v_lshlrev_b32_sdwa v0, v2, v0 dst_sel:DWORD dst_unused:UNUSED_PAD src0_sel:DWORD src1_sel:BYTE_3
	v_lshlrev_b32_e32 v2, 20, v24
	v_and_b32_e32 v0, 0x80000000, v0
	v_or3_b32 v99, v2, v0, v1
.LBB204_336:                            ;   in Loop: Header=BB204_15 Depth=1
	s_or_b32 exec_lo, exec_lo, s20
.LBB204_337:                            ;   in Loop: Header=BB204_15 Depth=1
	s_or_b32 exec_lo, exec_lo, s19
.LBB204_338:                            ;   in Loop: Header=BB204_15 Depth=1
	s_or_b32 exec_lo, exec_lo, s18
	flat_load_dword v0, v[12:13] offset:1032
	v_mov_b32_e32 v112, 0
	v_mov_b32_e32 v102, 0
	;; [unrolled: 1-line block ×4, first 2 shown]
	s_waitcnt vmcnt(0) lgkmcnt(0)
	v_cmp_ne_u16_sdwa s5, v0, v25 src0_sel:BYTE_0 src1_sel:DWORD
	s_and_saveexec_b32 s18, s5
	s_cbranch_execz .LBB204_346
; %bb.339:                              ;   in Loop: Header=BB204_15 Depth=1
	v_bfrev_b32_e32 v102, 1
	v_mov_b32_e32 v103, 0
	v_cmp_ne_u16_sdwa s5, v0, v18 src0_sel:BYTE_0 src1_sel:DWORD
	s_and_saveexec_b32 s19, s5
	s_cbranch_execz .LBB204_345
; %bb.340:                              ;   in Loop: Header=BB204_15 Depth=1
	v_mov_b32_e32 v102, 0x7f800001
	v_and_b32_e32 v2, 0x7f, v0
	v_mov_b32_e32 v103, 0
	s_mov_b32 s20, exec_lo
	v_cmpx_ne_u32_e32 0x7f, v2
	s_cbranch_execz .LBB204_344
; %bb.341:                              ;   in Loop: Header=BB204_15 Depth=1
	v_and_b32_e32 v24, 7, v0
	v_lshrrev_b32_e32 v1, 3, v2
	s_mov_b32 s21, exec_lo
	v_cmpx_gt_u32_e32 8, v2
; %bb.342:                              ;   in Loop: Header=BB204_15 Depth=1
	v_ffbh_u32_e32 v1, v24
	v_min_u32_e32 v1, 32, v1
	v_subrev_nc_u32_e32 v2, 28, v1
	v_sub_nc_u32_e32 v1, 29, v1
	v_lshlrev_b64 v[2:3], v2, v[24:25]
	v_and_b32_e32 v24, 7, v2
; %bb.343:                              ;   in Loop: Header=BB204_15 Depth=1
	s_or_b32 exec_lo, exec_lo, s21
	v_lshlrev_b32_e32 v2, 24, v0
	v_lshlrev_b32_e32 v3, 20, v24
	v_lshl_add_u32 v1, v1, 23, 0x3c000000
	v_and_b32_e32 v2, 0x80000000, v2
	v_or3_b32 v24, v3, v2, v1
	v_mov_b32_e32 v103, v25
	v_mov_b32_e32 v102, v24
.LBB204_344:                            ;   in Loop: Header=BB204_15 Depth=1
	s_or_b32 exec_lo, exec_lo, s20
.LBB204_345:                            ;   in Loop: Header=BB204_15 Depth=1
	s_or_b32 exec_lo, exec_lo, s19
.LBB204_346:                            ;   in Loop: Header=BB204_15 Depth=1
	s_or_b32 exec_lo, exec_lo, s18
	v_cmp_ne_u16_sdwa s5, v0, v25 src0_sel:BYTE_1 src1_sel:DWORD
	s_and_saveexec_b32 s18, s5
	s_cbranch_execz .LBB204_354
; %bb.347:                              ;   in Loop: Header=BB204_15 Depth=1
	v_mov_b32_e32 v31, v25
	v_mov_b32_e32 v113, v32
	v_cmp_ne_u16_sdwa s5, v0, v18 src0_sel:BYTE_1 src1_sel:DWORD
	v_mov_b32_e32 v112, v31
	s_and_saveexec_b32 s19, s5
	s_cbranch_execz .LBB204_353
; %bb.348:                              ;   in Loop: Header=BB204_15 Depth=1
	v_mov_b32_e32 v1, 0xffff
	v_mov_b32_e32 v4, v25
	;; [unrolled: 1-line block ×3, first 2 shown]
	s_mov_b32 s20, exec_lo
	v_and_b32_sdwa v1, v1, v0 dst_sel:DWORD dst_unused:UNUSED_PAD src0_sel:DWORD src1_sel:BYTE_1
	v_mov_b32_e32 v112, v4
	v_and_b32_e32 v2, 0x7f, v1
	v_cmpx_ne_u32_e32 0x7f, v2
	s_cbranch_execz .LBB204_352
; %bb.349:                              ;   in Loop: Header=BB204_15 Depth=1
	v_and_b32_e32 v24, 7, v1
	v_lshrrev_b32_e32 v1, 3, v2
	s_mov_b32 s21, exec_lo
	v_cmpx_gt_u32_e32 8, v2
; %bb.350:                              ;   in Loop: Header=BB204_15 Depth=1
	v_ffbh_u32_e32 v1, v24
	v_min_u32_e32 v1, 32, v1
	v_subrev_nc_u32_e32 v2, 28, v1
	v_sub_nc_u32_e32 v1, 29, v1
	v_lshlrev_b64 v[2:3], v2, v[24:25]
	v_and_b32_e32 v24, 7, v2
; %bb.351:                              ;   in Loop: Header=BB204_15 Depth=1
	s_or_b32 exec_lo, exec_lo, s21
	v_lshlrev_b32_e32 v2, 16, v0
	v_lshlrev_b32_e32 v3, 20, v24
	v_lshl_add_u32 v1, v1, 23, 0x3c000000
	v_mov_b32_e32 v112, v25
	v_and_b32_e32 v2, 0x80000000, v2
	v_or3_b32 v113, v3, v2, v1
.LBB204_352:                            ;   in Loop: Header=BB204_15 Depth=1
	s_or_b32 exec_lo, exec_lo, s20
.LBB204_353:                            ;   in Loop: Header=BB204_15 Depth=1
	s_or_b32 exec_lo, exec_lo, s19
.LBB204_354:                            ;   in Loop: Header=BB204_15 Depth=1
	s_or_b32 exec_lo, exec_lo, s18
	v_mov_b32_e32 v114, 0
	v_mov_b32_e32 v116, 0
	v_and_b32_sdwa v1, v0, v37 dst_sel:DWORD dst_unused:UNUSED_PAD src0_sel:WORD_1 src1_sel:DWORD
	v_mov_b32_e32 v115, 0
	v_mov_b32_e32 v117, 0
	s_mov_b32 s18, exec_lo
	v_cmpx_ne_u16_e32 0, v1
	s_cbranch_execz .LBB204_362
; %bb.355:                              ;   in Loop: Header=BB204_15 Depth=1
	v_bfrev_b32_e32 v116, 1
	v_mov_b32_e32 v117, 0
	s_mov_b32 s19, exec_lo
	v_cmpx_ne_u16_e32 0x80, v1
	s_cbranch_execz .LBB204_361
; %bb.356:                              ;   in Loop: Header=BB204_15 Depth=1
	v_mov_b32_e32 v116, 0x7f800001
	v_bfe_u32 v2, v0, 16, 7
	v_mov_b32_e32 v117, 0
	s_mov_b32 s20, exec_lo
	v_cmpx_ne_u32_e32 0x7f, v2
	s_cbranch_execz .LBB204_360
; %bb.357:                              ;   in Loop: Header=BB204_15 Depth=1
	v_mov_b32_e32 v1, 7
	s_mov_b32 s21, exec_lo
	v_and_b32_sdwa v24, v0, v1 dst_sel:DWORD dst_unused:UNUSED_PAD src0_sel:WORD_1 src1_sel:DWORD
	v_lshrrev_b32_e32 v1, 3, v2
	v_cmpx_gt_u32_e32 8, v2
; %bb.358:                              ;   in Loop: Header=BB204_15 Depth=1
	v_ffbh_u32_e32 v1, v24
	v_min_u32_e32 v1, 32, v1
	v_subrev_nc_u32_e32 v2, 28, v1
	v_sub_nc_u32_e32 v1, 29, v1
	v_lshlrev_b64 v[2:3], v2, v[24:25]
	v_and_b32_e32 v24, 7, v2
; %bb.359:                              ;   in Loop: Header=BB204_15 Depth=1
	s_or_b32 exec_lo, exec_lo, s21
	v_mov_b32_e32 v2, 24
	v_lshlrev_b32_e32 v3, 20, v24
	v_lshl_add_u32 v1, v1, 23, 0x3c000000
	v_lshlrev_b32_sdwa v2, v2, v0 dst_sel:DWORD dst_unused:UNUSED_PAD src0_sel:DWORD src1_sel:WORD_1
	v_and_b32_e32 v2, 0x80000000, v2
	v_or3_b32 v24, v3, v2, v1
	v_mov_b32_e32 v117, v25
	v_mov_b32_e32 v116, v24
.LBB204_360:                            ;   in Loop: Header=BB204_15 Depth=1
	s_or_b32 exec_lo, exec_lo, s20
.LBB204_361:                            ;   in Loop: Header=BB204_15 Depth=1
	s_or_b32 exec_lo, exec_lo, s19
.LBB204_362:                            ;   in Loop: Header=BB204_15 Depth=1
	s_or_b32 exec_lo, exec_lo, s18
	s_mov_b32 s18, exec_lo
	v_cmpx_lt_u32_e32 0xffffff, v0
	s_cbranch_execz .LBB204_370
; %bb.363:                              ;   in Loop: Header=BB204_15 Depth=1
	v_mov_b32_e32 v31, v25
	v_mov_b32_e32 v115, v32
	v_cmp_ne_u32_sdwa s5, v0, v18 src0_sel:BYTE_3 src1_sel:DWORD
	v_mov_b32_e32 v114, v31
	s_and_saveexec_b32 s19, s5
	s_cbranch_execz .LBB204_369
; %bb.364:                              ;   in Loop: Header=BB204_15 Depth=1
	v_mov_b32_e32 v4, v25
	v_mov_b32_e32 v115, v5
	v_bfe_u32 v2, v0, 24, 7
	s_mov_b32 s20, exec_lo
	v_mov_b32_e32 v114, v4
	v_cmpx_ne_u32_e32 0x7f, v2
	s_cbranch_execz .LBB204_368
; %bb.365:                              ;   in Loop: Header=BB204_15 Depth=1
	v_mov_b32_e32 v1, 7
	s_mov_b32 s21, exec_lo
	v_and_b32_sdwa v24, v0, v1 dst_sel:DWORD dst_unused:UNUSED_PAD src0_sel:BYTE_3 src1_sel:DWORD
	v_lshrrev_b32_e32 v1, 3, v2
	v_cmpx_gt_u32_e32 8, v2
; %bb.366:                              ;   in Loop: Header=BB204_15 Depth=1
	v_ffbh_u32_e32 v1, v24
	v_min_u32_e32 v1, 32, v1
	v_subrev_nc_u32_e32 v2, 28, v1
	v_sub_nc_u32_e32 v1, 29, v1
	v_lshlrev_b64 v[2:3], v2, v[24:25]
	v_and_b32_e32 v24, 7, v2
; %bb.367:                              ;   in Loop: Header=BB204_15 Depth=1
	s_or_b32 exec_lo, exec_lo, s21
	v_mov_b32_e32 v2, 24
	v_lshl_add_u32 v1, v1, 23, 0x3c000000
	v_mov_b32_e32 v114, v25
	v_lshlrev_b32_sdwa v0, v2, v0 dst_sel:DWORD dst_unused:UNUSED_PAD src0_sel:DWORD src1_sel:BYTE_3
	v_lshlrev_b32_e32 v2, 20, v24
	v_and_b32_e32 v0, 0x80000000, v0
	v_or3_b32 v115, v2, v0, v1
.LBB204_368:                            ;   in Loop: Header=BB204_15 Depth=1
	s_or_b32 exec_lo, exec_lo, s20
.LBB204_369:                            ;   in Loop: Header=BB204_15 Depth=1
	s_or_b32 exec_lo, exec_lo, s19
.LBB204_370:                            ;   in Loop: Header=BB204_15 Depth=1
	s_or_b32 exec_lo, exec_lo, s18
	flat_load_dword v0, v[12:13] offset:1036
	v_mov_b32_e32 v39, 0
	v_mov_b32_e32 v118, 0
	;; [unrolled: 1-line block ×4, first 2 shown]
	s_waitcnt vmcnt(0) lgkmcnt(0)
	v_cmp_ne_u16_sdwa s5, v0, v25 src0_sel:BYTE_0 src1_sel:DWORD
	s_and_saveexec_b32 s18, s5
	s_cbranch_execz .LBB204_378
; %bb.371:                              ;   in Loop: Header=BB204_15 Depth=1
	v_bfrev_b32_e32 v118, 1
	v_mov_b32_e32 v119, 0
	v_cmp_ne_u16_sdwa s5, v0, v18 src0_sel:BYTE_0 src1_sel:DWORD
	s_and_saveexec_b32 s19, s5
	s_cbranch_execz .LBB204_377
; %bb.372:                              ;   in Loop: Header=BB204_15 Depth=1
	v_mov_b32_e32 v118, 0x7f800001
	v_and_b32_e32 v2, 0x7f, v0
	v_mov_b32_e32 v119, 0
	s_mov_b32 s20, exec_lo
	v_cmpx_ne_u32_e32 0x7f, v2
	s_cbranch_execz .LBB204_376
; %bb.373:                              ;   in Loop: Header=BB204_15 Depth=1
	v_and_b32_e32 v24, 7, v0
	v_lshrrev_b32_e32 v1, 3, v2
	s_mov_b32 s21, exec_lo
	v_cmpx_gt_u32_e32 8, v2
; %bb.374:                              ;   in Loop: Header=BB204_15 Depth=1
	v_ffbh_u32_e32 v1, v24
	v_min_u32_e32 v1, 32, v1
	v_subrev_nc_u32_e32 v2, 28, v1
	v_sub_nc_u32_e32 v1, 29, v1
	v_lshlrev_b64 v[2:3], v2, v[24:25]
	v_and_b32_e32 v24, 7, v2
; %bb.375:                              ;   in Loop: Header=BB204_15 Depth=1
	s_or_b32 exec_lo, exec_lo, s21
	v_lshlrev_b32_e32 v2, 24, v0
	v_lshlrev_b32_e32 v3, 20, v24
	v_lshl_add_u32 v1, v1, 23, 0x3c000000
	v_and_b32_e32 v2, 0x80000000, v2
	v_or3_b32 v24, v3, v2, v1
	v_mov_b32_e32 v119, v25
	v_mov_b32_e32 v118, v24
.LBB204_376:                            ;   in Loop: Header=BB204_15 Depth=1
	s_or_b32 exec_lo, exec_lo, s20
.LBB204_377:                            ;   in Loop: Header=BB204_15 Depth=1
	s_or_b32 exec_lo, exec_lo, s19
.LBB204_378:                            ;   in Loop: Header=BB204_15 Depth=1
	s_or_b32 exec_lo, exec_lo, s18
	v_cmp_ne_u16_sdwa s5, v0, v25 src0_sel:BYTE_1 src1_sel:DWORD
	s_and_saveexec_b32 s18, s5
	s_cbranch_execz .LBB204_386
; %bb.379:                              ;   in Loop: Header=BB204_15 Depth=1
	v_mov_b32_e32 v31, v25
	v_mov_b32_e32 v40, v32
	v_cmp_ne_u16_sdwa s5, v0, v18 src0_sel:BYTE_1 src1_sel:DWORD
	v_mov_b32_e32 v39, v31
	s_and_saveexec_b32 s19, s5
	s_cbranch_execz .LBB204_385
; %bb.380:                              ;   in Loop: Header=BB204_15 Depth=1
	v_mov_b32_e32 v1, 0xffff
	v_mov_b32_e32 v4, v25
	;; [unrolled: 1-line block ×3, first 2 shown]
	s_mov_b32 s20, exec_lo
	v_and_b32_sdwa v1, v1, v0 dst_sel:DWORD dst_unused:UNUSED_PAD src0_sel:DWORD src1_sel:BYTE_1
	v_mov_b32_e32 v39, v4
	v_and_b32_e32 v2, 0x7f, v1
	v_cmpx_ne_u32_e32 0x7f, v2
	s_cbranch_execz .LBB204_384
; %bb.381:                              ;   in Loop: Header=BB204_15 Depth=1
	v_and_b32_e32 v24, 7, v1
	v_lshrrev_b32_e32 v1, 3, v2
	s_mov_b32 s21, exec_lo
	v_cmpx_gt_u32_e32 8, v2
; %bb.382:                              ;   in Loop: Header=BB204_15 Depth=1
	v_ffbh_u32_e32 v1, v24
	v_min_u32_e32 v1, 32, v1
	v_subrev_nc_u32_e32 v2, 28, v1
	v_sub_nc_u32_e32 v1, 29, v1
	v_lshlrev_b64 v[2:3], v2, v[24:25]
	v_and_b32_e32 v24, 7, v2
; %bb.383:                              ;   in Loop: Header=BB204_15 Depth=1
	s_or_b32 exec_lo, exec_lo, s21
	v_lshlrev_b32_e32 v2, 16, v0
	v_lshlrev_b32_e32 v3, 20, v24
	v_lshl_add_u32 v1, v1, 23, 0x3c000000
	v_mov_b32_e32 v39, v25
	v_and_b32_e32 v2, 0x80000000, v2
	v_or3_b32 v40, v3, v2, v1
.LBB204_384:                            ;   in Loop: Header=BB204_15 Depth=1
	s_or_b32 exec_lo, exec_lo, s20
.LBB204_385:                            ;   in Loop: Header=BB204_15 Depth=1
	s_or_b32 exec_lo, exec_lo, s19
.LBB204_386:                            ;   in Loop: Header=BB204_15 Depth=1
	s_or_b32 exec_lo, exec_lo, s18
	v_mov_b32_e32 v41, 0
	v_mov_b32_e32 v43, 0
	v_and_b32_sdwa v1, v0, v37 dst_sel:DWORD dst_unused:UNUSED_PAD src0_sel:WORD_1 src1_sel:DWORD
	v_mov_b32_e32 v42, 0
	v_mov_b32_e32 v44, 0
	s_mov_b32 s18, exec_lo
	v_cmpx_ne_u16_e32 0, v1
	s_cbranch_execz .LBB204_394
; %bb.387:                              ;   in Loop: Header=BB204_15 Depth=1
	v_bfrev_b32_e32 v43, 1
	v_mov_b32_e32 v44, 0
	s_mov_b32 s19, exec_lo
	v_cmpx_ne_u16_e32 0x80, v1
	s_cbranch_execz .LBB204_393
; %bb.388:                              ;   in Loop: Header=BB204_15 Depth=1
	v_mov_b32_e32 v43, 0x7f800001
	v_bfe_u32 v2, v0, 16, 7
	v_mov_b32_e32 v44, 0
	s_mov_b32 s20, exec_lo
	v_cmpx_ne_u32_e32 0x7f, v2
	s_cbranch_execz .LBB204_392
; %bb.389:                              ;   in Loop: Header=BB204_15 Depth=1
	v_mov_b32_e32 v1, 7
	s_mov_b32 s21, exec_lo
	v_and_b32_sdwa v24, v0, v1 dst_sel:DWORD dst_unused:UNUSED_PAD src0_sel:WORD_1 src1_sel:DWORD
	v_lshrrev_b32_e32 v1, 3, v2
	v_cmpx_gt_u32_e32 8, v2
; %bb.390:                              ;   in Loop: Header=BB204_15 Depth=1
	v_ffbh_u32_e32 v1, v24
	v_min_u32_e32 v1, 32, v1
	v_subrev_nc_u32_e32 v2, 28, v1
	v_sub_nc_u32_e32 v1, 29, v1
	v_lshlrev_b64 v[2:3], v2, v[24:25]
	v_and_b32_e32 v24, 7, v2
; %bb.391:                              ;   in Loop: Header=BB204_15 Depth=1
	s_or_b32 exec_lo, exec_lo, s21
	v_mov_b32_e32 v2, 24
	v_lshlrev_b32_e32 v3, 20, v24
	v_lshl_add_u32 v1, v1, 23, 0x3c000000
	v_lshlrev_b32_sdwa v2, v2, v0 dst_sel:DWORD dst_unused:UNUSED_PAD src0_sel:DWORD src1_sel:WORD_1
	v_and_b32_e32 v2, 0x80000000, v2
	v_or3_b32 v24, v3, v2, v1
	v_mov_b32_e32 v44, v25
	v_mov_b32_e32 v43, v24
.LBB204_392:                            ;   in Loop: Header=BB204_15 Depth=1
	s_or_b32 exec_lo, exec_lo, s20
.LBB204_393:                            ;   in Loop: Header=BB204_15 Depth=1
	s_or_b32 exec_lo, exec_lo, s19
.LBB204_394:                            ;   in Loop: Header=BB204_15 Depth=1
	s_or_b32 exec_lo, exec_lo, s18
	s_mov_b32 s18, exec_lo
	v_cmpx_lt_u32_e32 0xffffff, v0
	s_cbranch_execz .LBB204_402
; %bb.395:                              ;   in Loop: Header=BB204_15 Depth=1
	v_mov_b32_e32 v31, v25
	v_mov_b32_e32 v42, v32
	v_cmp_ne_u32_sdwa s5, v0, v18 src0_sel:BYTE_3 src1_sel:DWORD
	v_mov_b32_e32 v41, v31
	s_and_saveexec_b32 s19, s5
	s_cbranch_execz .LBB204_401
; %bb.396:                              ;   in Loop: Header=BB204_15 Depth=1
	v_mov_b32_e32 v4, v25
	v_mov_b32_e32 v42, v5
	v_bfe_u32 v2, v0, 24, 7
	s_mov_b32 s20, exec_lo
	v_mov_b32_e32 v41, v4
	v_cmpx_ne_u32_e32 0x7f, v2
	s_cbranch_execz .LBB204_400
; %bb.397:                              ;   in Loop: Header=BB204_15 Depth=1
	v_mov_b32_e32 v1, 7
	s_mov_b32 s21, exec_lo
	v_and_b32_sdwa v24, v0, v1 dst_sel:DWORD dst_unused:UNUSED_PAD src0_sel:BYTE_3 src1_sel:DWORD
	v_lshrrev_b32_e32 v1, 3, v2
	v_cmpx_gt_u32_e32 8, v2
; %bb.398:                              ;   in Loop: Header=BB204_15 Depth=1
	v_ffbh_u32_e32 v1, v24
	v_min_u32_e32 v1, 32, v1
	v_subrev_nc_u32_e32 v2, 28, v1
	v_sub_nc_u32_e32 v1, 29, v1
	v_lshlrev_b64 v[2:3], v2, v[24:25]
	v_and_b32_e32 v24, 7, v2
; %bb.399:                              ;   in Loop: Header=BB204_15 Depth=1
	s_or_b32 exec_lo, exec_lo, s21
	v_mov_b32_e32 v2, 24
	v_lshl_add_u32 v1, v1, 23, 0x3c000000
	v_mov_b32_e32 v41, v25
	v_lshlrev_b32_sdwa v0, v2, v0 dst_sel:DWORD dst_unused:UNUSED_PAD src0_sel:DWORD src1_sel:BYTE_3
	v_lshlrev_b32_e32 v2, 20, v24
	v_and_b32_e32 v0, 0x80000000, v0
	v_or3_b32 v42, v2, v0, v1
.LBB204_400:                            ;   in Loop: Header=BB204_15 Depth=1
	s_or_b32 exec_lo, exec_lo, s20
.LBB204_401:                            ;   in Loop: Header=BB204_15 Depth=1
	s_or_b32 exec_lo, exec_lo, s19
.LBB204_402:                            ;   in Loop: Header=BB204_15 Depth=1
	s_or_b32 exec_lo, exec_lo, s18
	flat_load_dword v0, v[12:13] offset:1536
	v_mov_b32_e32 v56, 0
	v_mov_b32_e32 v45, 0
	;; [unrolled: 1-line block ×4, first 2 shown]
	s_waitcnt vmcnt(0) lgkmcnt(0)
	v_cmp_ne_u16_sdwa s5, v0, v25 src0_sel:BYTE_0 src1_sel:DWORD
	s_and_saveexec_b32 s18, s5
	s_cbranch_execz .LBB204_410
; %bb.403:                              ;   in Loop: Header=BB204_15 Depth=1
	v_bfrev_b32_e32 v45, 1
	v_mov_b32_e32 v46, 0
	v_cmp_ne_u16_sdwa s5, v0, v18 src0_sel:BYTE_0 src1_sel:DWORD
	s_and_saveexec_b32 s19, s5
	s_cbranch_execz .LBB204_409
; %bb.404:                              ;   in Loop: Header=BB204_15 Depth=1
	v_mov_b32_e32 v45, 0x7f800001
	v_and_b32_e32 v2, 0x7f, v0
	v_mov_b32_e32 v46, 0
	s_mov_b32 s20, exec_lo
	v_cmpx_ne_u32_e32 0x7f, v2
	s_cbranch_execz .LBB204_408
; %bb.405:                              ;   in Loop: Header=BB204_15 Depth=1
	v_and_b32_e32 v24, 7, v0
	v_lshrrev_b32_e32 v1, 3, v2
	s_mov_b32 s21, exec_lo
	v_cmpx_gt_u32_e32 8, v2
; %bb.406:                              ;   in Loop: Header=BB204_15 Depth=1
	v_ffbh_u32_e32 v1, v24
	v_min_u32_e32 v1, 32, v1
	v_subrev_nc_u32_e32 v2, 28, v1
	v_sub_nc_u32_e32 v1, 29, v1
	v_lshlrev_b64 v[2:3], v2, v[24:25]
	v_and_b32_e32 v24, 7, v2
; %bb.407:                              ;   in Loop: Header=BB204_15 Depth=1
	s_or_b32 exec_lo, exec_lo, s21
	v_lshlrev_b32_e32 v2, 24, v0
	v_lshlrev_b32_e32 v3, 20, v24
	v_lshl_add_u32 v1, v1, 23, 0x3c000000
	v_and_b32_e32 v2, 0x80000000, v2
	v_or3_b32 v24, v3, v2, v1
	v_mov_b32_e32 v46, v25
	v_mov_b32_e32 v45, v24
.LBB204_408:                            ;   in Loop: Header=BB204_15 Depth=1
	s_or_b32 exec_lo, exec_lo, s20
.LBB204_409:                            ;   in Loop: Header=BB204_15 Depth=1
	s_or_b32 exec_lo, exec_lo, s19
.LBB204_410:                            ;   in Loop: Header=BB204_15 Depth=1
	s_or_b32 exec_lo, exec_lo, s18
	v_cmp_ne_u16_sdwa s5, v0, v25 src0_sel:BYTE_1 src1_sel:DWORD
	s_and_saveexec_b32 s18, s5
	s_cbranch_execz .LBB204_418
; %bb.411:                              ;   in Loop: Header=BB204_15 Depth=1
	v_mov_b32_e32 v31, v25
	v_mov_b32_e32 v57, v32
	v_cmp_ne_u16_sdwa s5, v0, v18 src0_sel:BYTE_1 src1_sel:DWORD
	v_mov_b32_e32 v56, v31
	s_and_saveexec_b32 s19, s5
	s_cbranch_execz .LBB204_417
; %bb.412:                              ;   in Loop: Header=BB204_15 Depth=1
	v_mov_b32_e32 v1, 0xffff
	v_mov_b32_e32 v4, v25
	;; [unrolled: 1-line block ×3, first 2 shown]
	s_mov_b32 s20, exec_lo
	v_and_b32_sdwa v1, v1, v0 dst_sel:DWORD dst_unused:UNUSED_PAD src0_sel:DWORD src1_sel:BYTE_1
	v_mov_b32_e32 v56, v4
	v_and_b32_e32 v2, 0x7f, v1
	v_cmpx_ne_u32_e32 0x7f, v2
	s_cbranch_execz .LBB204_416
; %bb.413:                              ;   in Loop: Header=BB204_15 Depth=1
	v_and_b32_e32 v24, 7, v1
	v_lshrrev_b32_e32 v1, 3, v2
	s_mov_b32 s21, exec_lo
	v_cmpx_gt_u32_e32 8, v2
; %bb.414:                              ;   in Loop: Header=BB204_15 Depth=1
	v_ffbh_u32_e32 v1, v24
	v_min_u32_e32 v1, 32, v1
	v_subrev_nc_u32_e32 v2, 28, v1
	v_sub_nc_u32_e32 v1, 29, v1
	v_lshlrev_b64 v[2:3], v2, v[24:25]
	v_and_b32_e32 v24, 7, v2
; %bb.415:                              ;   in Loop: Header=BB204_15 Depth=1
	s_or_b32 exec_lo, exec_lo, s21
	v_lshlrev_b32_e32 v2, 16, v0
	v_lshlrev_b32_e32 v3, 20, v24
	v_lshl_add_u32 v1, v1, 23, 0x3c000000
	v_mov_b32_e32 v56, v25
	v_and_b32_e32 v2, 0x80000000, v2
	v_or3_b32 v57, v3, v2, v1
.LBB204_416:                            ;   in Loop: Header=BB204_15 Depth=1
	s_or_b32 exec_lo, exec_lo, s20
.LBB204_417:                            ;   in Loop: Header=BB204_15 Depth=1
	s_or_b32 exec_lo, exec_lo, s19
.LBB204_418:                            ;   in Loop: Header=BB204_15 Depth=1
	s_or_b32 exec_lo, exec_lo, s18
	v_mov_b32_e32 v58, 0
	v_mov_b32_e32 v60, 0
	v_and_b32_sdwa v1, v0, v37 dst_sel:DWORD dst_unused:UNUSED_PAD src0_sel:WORD_1 src1_sel:DWORD
	v_mov_b32_e32 v59, 0
	v_mov_b32_e32 v61, 0
	s_mov_b32 s18, exec_lo
	v_cmpx_ne_u16_e32 0, v1
	s_cbranch_execz .LBB204_426
; %bb.419:                              ;   in Loop: Header=BB204_15 Depth=1
	v_bfrev_b32_e32 v60, 1
	v_mov_b32_e32 v61, 0
	s_mov_b32 s19, exec_lo
	v_cmpx_ne_u16_e32 0x80, v1
	s_cbranch_execz .LBB204_425
; %bb.420:                              ;   in Loop: Header=BB204_15 Depth=1
	v_mov_b32_e32 v60, 0x7f800001
	v_bfe_u32 v2, v0, 16, 7
	v_mov_b32_e32 v61, 0
	s_mov_b32 s20, exec_lo
	v_cmpx_ne_u32_e32 0x7f, v2
	s_cbranch_execz .LBB204_424
; %bb.421:                              ;   in Loop: Header=BB204_15 Depth=1
	v_mov_b32_e32 v1, 7
	s_mov_b32 s21, exec_lo
	v_and_b32_sdwa v24, v0, v1 dst_sel:DWORD dst_unused:UNUSED_PAD src0_sel:WORD_1 src1_sel:DWORD
	v_lshrrev_b32_e32 v1, 3, v2
	v_cmpx_gt_u32_e32 8, v2
; %bb.422:                              ;   in Loop: Header=BB204_15 Depth=1
	v_ffbh_u32_e32 v1, v24
	v_min_u32_e32 v1, 32, v1
	v_subrev_nc_u32_e32 v2, 28, v1
	v_sub_nc_u32_e32 v1, 29, v1
	v_lshlrev_b64 v[2:3], v2, v[24:25]
	v_and_b32_e32 v24, 7, v2
; %bb.423:                              ;   in Loop: Header=BB204_15 Depth=1
	s_or_b32 exec_lo, exec_lo, s21
	v_mov_b32_e32 v2, 24
	v_lshlrev_b32_e32 v3, 20, v24
	v_lshl_add_u32 v1, v1, 23, 0x3c000000
	v_lshlrev_b32_sdwa v2, v2, v0 dst_sel:DWORD dst_unused:UNUSED_PAD src0_sel:DWORD src1_sel:WORD_1
	v_and_b32_e32 v2, 0x80000000, v2
	v_or3_b32 v24, v3, v2, v1
	v_mov_b32_e32 v61, v25
	v_mov_b32_e32 v60, v24
.LBB204_424:                            ;   in Loop: Header=BB204_15 Depth=1
	s_or_b32 exec_lo, exec_lo, s20
.LBB204_425:                            ;   in Loop: Header=BB204_15 Depth=1
	s_or_b32 exec_lo, exec_lo, s19
.LBB204_426:                            ;   in Loop: Header=BB204_15 Depth=1
	s_or_b32 exec_lo, exec_lo, s18
	s_mov_b32 s18, exec_lo
	v_cmpx_lt_u32_e32 0xffffff, v0
	s_cbranch_execz .LBB204_434
; %bb.427:                              ;   in Loop: Header=BB204_15 Depth=1
	v_mov_b32_e32 v31, v25
	v_mov_b32_e32 v59, v32
	v_cmp_ne_u32_sdwa s5, v0, v18 src0_sel:BYTE_3 src1_sel:DWORD
	v_mov_b32_e32 v58, v31
	s_and_saveexec_b32 s19, s5
	s_cbranch_execz .LBB204_433
; %bb.428:                              ;   in Loop: Header=BB204_15 Depth=1
	v_mov_b32_e32 v4, v25
	v_mov_b32_e32 v59, v5
	v_bfe_u32 v2, v0, 24, 7
	s_mov_b32 s20, exec_lo
	v_mov_b32_e32 v58, v4
	v_cmpx_ne_u32_e32 0x7f, v2
	s_cbranch_execz .LBB204_432
; %bb.429:                              ;   in Loop: Header=BB204_15 Depth=1
	v_mov_b32_e32 v1, 7
	s_mov_b32 s21, exec_lo
	v_and_b32_sdwa v24, v0, v1 dst_sel:DWORD dst_unused:UNUSED_PAD src0_sel:BYTE_3 src1_sel:DWORD
	v_lshrrev_b32_e32 v1, 3, v2
	v_cmpx_gt_u32_e32 8, v2
; %bb.430:                              ;   in Loop: Header=BB204_15 Depth=1
	v_ffbh_u32_e32 v1, v24
	v_min_u32_e32 v1, 32, v1
	v_subrev_nc_u32_e32 v2, 28, v1
	v_sub_nc_u32_e32 v1, 29, v1
	v_lshlrev_b64 v[2:3], v2, v[24:25]
	v_and_b32_e32 v24, 7, v2
; %bb.431:                              ;   in Loop: Header=BB204_15 Depth=1
	s_or_b32 exec_lo, exec_lo, s21
	v_mov_b32_e32 v2, 24
	v_lshl_add_u32 v1, v1, 23, 0x3c000000
	v_mov_b32_e32 v58, v25
	v_lshlrev_b32_sdwa v0, v2, v0 dst_sel:DWORD dst_unused:UNUSED_PAD src0_sel:DWORD src1_sel:BYTE_3
	v_lshlrev_b32_e32 v2, 20, v24
	v_and_b32_e32 v0, 0x80000000, v0
	v_or3_b32 v59, v2, v0, v1
.LBB204_432:                            ;   in Loop: Header=BB204_15 Depth=1
	s_or_b32 exec_lo, exec_lo, s20
.LBB204_433:                            ;   in Loop: Header=BB204_15 Depth=1
	s_or_b32 exec_lo, exec_lo, s19
.LBB204_434:                            ;   in Loop: Header=BB204_15 Depth=1
	s_or_b32 exec_lo, exec_lo, s18
	flat_load_dword v0, v[12:13] offset:1540
	v_mov_b32_e32 v72, 0
	v_mov_b32_e32 v62, 0
	;; [unrolled: 1-line block ×4, first 2 shown]
	s_waitcnt vmcnt(0) lgkmcnt(0)
	v_cmp_ne_u16_sdwa s5, v0, v25 src0_sel:BYTE_0 src1_sel:DWORD
	s_and_saveexec_b32 s18, s5
	s_cbranch_execz .LBB204_442
; %bb.435:                              ;   in Loop: Header=BB204_15 Depth=1
	v_bfrev_b32_e32 v62, 1
	v_mov_b32_e32 v63, 0
	v_cmp_ne_u16_sdwa s5, v0, v18 src0_sel:BYTE_0 src1_sel:DWORD
	s_and_saveexec_b32 s19, s5
	s_cbranch_execz .LBB204_441
; %bb.436:                              ;   in Loop: Header=BB204_15 Depth=1
	v_mov_b32_e32 v62, 0x7f800001
	v_and_b32_e32 v2, 0x7f, v0
	v_mov_b32_e32 v63, 0
	s_mov_b32 s20, exec_lo
	v_cmpx_ne_u32_e32 0x7f, v2
	s_cbranch_execz .LBB204_440
; %bb.437:                              ;   in Loop: Header=BB204_15 Depth=1
	v_and_b32_e32 v24, 7, v0
	v_lshrrev_b32_e32 v1, 3, v2
	s_mov_b32 s21, exec_lo
	v_cmpx_gt_u32_e32 8, v2
; %bb.438:                              ;   in Loop: Header=BB204_15 Depth=1
	v_ffbh_u32_e32 v1, v24
	v_min_u32_e32 v1, 32, v1
	v_subrev_nc_u32_e32 v2, 28, v1
	v_sub_nc_u32_e32 v1, 29, v1
	v_lshlrev_b64 v[2:3], v2, v[24:25]
	v_and_b32_e32 v24, 7, v2
; %bb.439:                              ;   in Loop: Header=BB204_15 Depth=1
	s_or_b32 exec_lo, exec_lo, s21
	v_lshlrev_b32_e32 v2, 24, v0
	v_lshlrev_b32_e32 v3, 20, v24
	v_lshl_add_u32 v1, v1, 23, 0x3c000000
	v_and_b32_e32 v2, 0x80000000, v2
	v_or3_b32 v24, v3, v2, v1
	v_mov_b32_e32 v63, v25
	v_mov_b32_e32 v62, v24
.LBB204_440:                            ;   in Loop: Header=BB204_15 Depth=1
	s_or_b32 exec_lo, exec_lo, s20
.LBB204_441:                            ;   in Loop: Header=BB204_15 Depth=1
	s_or_b32 exec_lo, exec_lo, s19
.LBB204_442:                            ;   in Loop: Header=BB204_15 Depth=1
	s_or_b32 exec_lo, exec_lo, s18
	v_cmp_ne_u16_sdwa s5, v0, v25 src0_sel:BYTE_1 src1_sel:DWORD
	s_and_saveexec_b32 s18, s5
	s_cbranch_execz .LBB204_450
; %bb.443:                              ;   in Loop: Header=BB204_15 Depth=1
	v_mov_b32_e32 v31, v25
	v_mov_b32_e32 v73, v32
	v_cmp_ne_u16_sdwa s5, v0, v18 src0_sel:BYTE_1 src1_sel:DWORD
	v_mov_b32_e32 v72, v31
	s_and_saveexec_b32 s19, s5
	s_cbranch_execz .LBB204_449
; %bb.444:                              ;   in Loop: Header=BB204_15 Depth=1
	v_mov_b32_e32 v1, 0xffff
	v_mov_b32_e32 v4, v25
	;; [unrolled: 1-line block ×3, first 2 shown]
	s_mov_b32 s20, exec_lo
	v_and_b32_sdwa v1, v1, v0 dst_sel:DWORD dst_unused:UNUSED_PAD src0_sel:DWORD src1_sel:BYTE_1
	v_mov_b32_e32 v72, v4
	v_and_b32_e32 v2, 0x7f, v1
	v_cmpx_ne_u32_e32 0x7f, v2
	s_cbranch_execz .LBB204_448
; %bb.445:                              ;   in Loop: Header=BB204_15 Depth=1
	v_and_b32_e32 v24, 7, v1
	v_lshrrev_b32_e32 v1, 3, v2
	s_mov_b32 s21, exec_lo
	v_cmpx_gt_u32_e32 8, v2
; %bb.446:                              ;   in Loop: Header=BB204_15 Depth=1
	v_ffbh_u32_e32 v1, v24
	v_min_u32_e32 v1, 32, v1
	v_subrev_nc_u32_e32 v2, 28, v1
	v_sub_nc_u32_e32 v1, 29, v1
	v_lshlrev_b64 v[2:3], v2, v[24:25]
	v_and_b32_e32 v24, 7, v2
; %bb.447:                              ;   in Loop: Header=BB204_15 Depth=1
	s_or_b32 exec_lo, exec_lo, s21
	v_lshlrev_b32_e32 v2, 16, v0
	v_lshlrev_b32_e32 v3, 20, v24
	v_lshl_add_u32 v1, v1, 23, 0x3c000000
	v_mov_b32_e32 v72, v25
	v_and_b32_e32 v2, 0x80000000, v2
	v_or3_b32 v73, v3, v2, v1
.LBB204_448:                            ;   in Loop: Header=BB204_15 Depth=1
	s_or_b32 exec_lo, exec_lo, s20
.LBB204_449:                            ;   in Loop: Header=BB204_15 Depth=1
	s_or_b32 exec_lo, exec_lo, s19
.LBB204_450:                            ;   in Loop: Header=BB204_15 Depth=1
	s_or_b32 exec_lo, exec_lo, s18
	v_mov_b32_e32 v74, 0
	v_mov_b32_e32 v94, 0
	v_and_b32_sdwa v1, v0, v37 dst_sel:DWORD dst_unused:UNUSED_PAD src0_sel:WORD_1 src1_sel:DWORD
	v_mov_b32_e32 v75, 0
	v_mov_b32_e32 v95, 0
	s_mov_b32 s18, exec_lo
	v_cmpx_ne_u16_e32 0, v1
	s_cbranch_execz .LBB204_458
; %bb.451:                              ;   in Loop: Header=BB204_15 Depth=1
	v_bfrev_b32_e32 v94, 1
	v_mov_b32_e32 v95, 0
	s_mov_b32 s19, exec_lo
	v_cmpx_ne_u16_e32 0x80, v1
	s_cbranch_execz .LBB204_457
; %bb.452:                              ;   in Loop: Header=BB204_15 Depth=1
	v_mov_b32_e32 v94, 0x7f800001
	v_bfe_u32 v2, v0, 16, 7
	v_mov_b32_e32 v95, 0
	s_mov_b32 s20, exec_lo
	v_cmpx_ne_u32_e32 0x7f, v2
	s_cbranch_execz .LBB204_456
; %bb.453:                              ;   in Loop: Header=BB204_15 Depth=1
	v_mov_b32_e32 v1, 7
	s_mov_b32 s21, exec_lo
	v_and_b32_sdwa v24, v0, v1 dst_sel:DWORD dst_unused:UNUSED_PAD src0_sel:WORD_1 src1_sel:DWORD
	v_lshrrev_b32_e32 v1, 3, v2
	v_cmpx_gt_u32_e32 8, v2
; %bb.454:                              ;   in Loop: Header=BB204_15 Depth=1
	v_ffbh_u32_e32 v1, v24
	v_min_u32_e32 v1, 32, v1
	v_subrev_nc_u32_e32 v2, 28, v1
	v_sub_nc_u32_e32 v1, 29, v1
	v_lshlrev_b64 v[2:3], v2, v[24:25]
	v_and_b32_e32 v24, 7, v2
; %bb.455:                              ;   in Loop: Header=BB204_15 Depth=1
	s_or_b32 exec_lo, exec_lo, s21
	v_mov_b32_e32 v2, 24
	v_lshlrev_b32_e32 v3, 20, v24
	v_lshl_add_u32 v1, v1, 23, 0x3c000000
	v_lshlrev_b32_sdwa v2, v2, v0 dst_sel:DWORD dst_unused:UNUSED_PAD src0_sel:DWORD src1_sel:WORD_1
	v_and_b32_e32 v2, 0x80000000, v2
	v_or3_b32 v24, v3, v2, v1
	v_mov_b32_e32 v95, v25
	v_mov_b32_e32 v94, v24
.LBB204_456:                            ;   in Loop: Header=BB204_15 Depth=1
	s_or_b32 exec_lo, exec_lo, s20
.LBB204_457:                            ;   in Loop: Header=BB204_15 Depth=1
	s_or_b32 exec_lo, exec_lo, s19
.LBB204_458:                            ;   in Loop: Header=BB204_15 Depth=1
	s_or_b32 exec_lo, exec_lo, s18
	s_mov_b32 s18, exec_lo
	v_cmpx_lt_u32_e32 0xffffff, v0
	s_cbranch_execz .LBB204_466
; %bb.459:                              ;   in Loop: Header=BB204_15 Depth=1
	v_mov_b32_e32 v31, v25
	v_mov_b32_e32 v75, v32
	v_cmp_ne_u32_sdwa s5, v0, v18 src0_sel:BYTE_3 src1_sel:DWORD
	v_mov_b32_e32 v74, v31
	s_and_saveexec_b32 s19, s5
	s_cbranch_execz .LBB204_465
; %bb.460:                              ;   in Loop: Header=BB204_15 Depth=1
	v_mov_b32_e32 v4, v25
	v_mov_b32_e32 v75, v5
	v_bfe_u32 v2, v0, 24, 7
	s_mov_b32 s20, exec_lo
	v_mov_b32_e32 v74, v4
	v_cmpx_ne_u32_e32 0x7f, v2
	s_cbranch_execz .LBB204_464
; %bb.461:                              ;   in Loop: Header=BB204_15 Depth=1
	v_mov_b32_e32 v1, 7
	s_mov_b32 s21, exec_lo
	v_and_b32_sdwa v24, v0, v1 dst_sel:DWORD dst_unused:UNUSED_PAD src0_sel:BYTE_3 src1_sel:DWORD
	v_lshrrev_b32_e32 v1, 3, v2
	v_cmpx_gt_u32_e32 8, v2
; %bb.462:                              ;   in Loop: Header=BB204_15 Depth=1
	v_ffbh_u32_e32 v1, v24
	v_min_u32_e32 v1, 32, v1
	v_subrev_nc_u32_e32 v2, 28, v1
	v_sub_nc_u32_e32 v1, 29, v1
	v_lshlrev_b64 v[2:3], v2, v[24:25]
	v_and_b32_e32 v24, 7, v2
; %bb.463:                              ;   in Loop: Header=BB204_15 Depth=1
	s_or_b32 exec_lo, exec_lo, s21
	v_mov_b32_e32 v2, 24
	v_lshl_add_u32 v1, v1, 23, 0x3c000000
	v_mov_b32_e32 v74, v25
	v_lshlrev_b32_sdwa v0, v2, v0 dst_sel:DWORD dst_unused:UNUSED_PAD src0_sel:DWORD src1_sel:BYTE_3
	v_lshlrev_b32_e32 v2, 20, v24
	v_and_b32_e32 v0, 0x80000000, v0
	v_or3_b32 v75, v2, v0, v1
.LBB204_464:                            ;   in Loop: Header=BB204_15 Depth=1
	s_or_b32 exec_lo, exec_lo, s20
.LBB204_465:                            ;   in Loop: Header=BB204_15 Depth=1
	s_or_b32 exec_lo, exec_lo, s19
.LBB204_466:                            ;   in Loop: Header=BB204_15 Depth=1
	s_or_b32 exec_lo, exec_lo, s18
	flat_load_dword v0, v[12:13] offset:1544
	v_mov_b32_e32 v108, 0
	v_mov_b32_e32 v19, 0
	;; [unrolled: 1-line block ×4, first 2 shown]
	s_waitcnt vmcnt(0) lgkmcnt(0)
	v_cmp_ne_u16_sdwa s5, v0, v25 src0_sel:BYTE_0 src1_sel:DWORD
	s_and_saveexec_b32 s18, s5
	s_cbranch_execz .LBB204_474
; %bb.467:                              ;   in Loop: Header=BB204_15 Depth=1
	v_bfrev_b32_e32 v19, 1
	v_mov_b32_e32 v20, 0
	v_cmp_ne_u16_sdwa s5, v0, v18 src0_sel:BYTE_0 src1_sel:DWORD
	s_and_saveexec_b32 s19, s5
	s_cbranch_execz .LBB204_473
; %bb.468:                              ;   in Loop: Header=BB204_15 Depth=1
	v_mov_b32_e32 v19, 0x7f800001
	v_and_b32_e32 v2, 0x7f, v0
	v_mov_b32_e32 v20, 0
	s_mov_b32 s20, exec_lo
	v_cmpx_ne_u32_e32 0x7f, v2
	s_cbranch_execz .LBB204_472
; %bb.469:                              ;   in Loop: Header=BB204_15 Depth=1
	v_and_b32_e32 v24, 7, v0
	v_lshrrev_b32_e32 v1, 3, v2
	s_mov_b32 s21, exec_lo
	v_cmpx_gt_u32_e32 8, v2
; %bb.470:                              ;   in Loop: Header=BB204_15 Depth=1
	v_ffbh_u32_e32 v1, v24
	v_min_u32_e32 v1, 32, v1
	v_subrev_nc_u32_e32 v2, 28, v1
	v_sub_nc_u32_e32 v1, 29, v1
	v_lshlrev_b64 v[2:3], v2, v[24:25]
	v_and_b32_e32 v24, 7, v2
; %bb.471:                              ;   in Loop: Header=BB204_15 Depth=1
	s_or_b32 exec_lo, exec_lo, s21
	v_lshlrev_b32_e32 v2, 24, v0
	v_lshlrev_b32_e32 v3, 20, v24
	v_lshl_add_u32 v1, v1, 23, 0x3c000000
	v_and_b32_e32 v2, 0x80000000, v2
	v_or3_b32 v24, v3, v2, v1
	v_mov_b32_e32 v19, v24
	v_mov_b32_e32 v20, v25
.LBB204_472:                            ;   in Loop: Header=BB204_15 Depth=1
	s_or_b32 exec_lo, exec_lo, s20
.LBB204_473:                            ;   in Loop: Header=BB204_15 Depth=1
	s_or_b32 exec_lo, exec_lo, s19
.LBB204_474:                            ;   in Loop: Header=BB204_15 Depth=1
	s_or_b32 exec_lo, exec_lo, s18
	v_cmp_ne_u16_sdwa s5, v0, v25 src0_sel:BYTE_1 src1_sel:DWORD
	s_and_saveexec_b32 s18, s5
	s_cbranch_execz .LBB204_482
; %bb.475:                              ;   in Loop: Header=BB204_15 Depth=1
	v_mov_b32_e32 v31, v25
	v_mov_b32_e32 v109, v32
	v_cmp_ne_u16_sdwa s5, v0, v18 src0_sel:BYTE_1 src1_sel:DWORD
	v_mov_b32_e32 v108, v31
	s_and_saveexec_b32 s19, s5
	s_cbranch_execz .LBB204_481
; %bb.476:                              ;   in Loop: Header=BB204_15 Depth=1
	v_mov_b32_e32 v1, 0xffff
	v_mov_b32_e32 v4, v25
	;; [unrolled: 1-line block ×3, first 2 shown]
	s_mov_b32 s20, exec_lo
	v_and_b32_sdwa v1, v1, v0 dst_sel:DWORD dst_unused:UNUSED_PAD src0_sel:DWORD src1_sel:BYTE_1
	v_mov_b32_e32 v108, v4
	v_and_b32_e32 v2, 0x7f, v1
	v_cmpx_ne_u32_e32 0x7f, v2
	s_cbranch_execz .LBB204_480
; %bb.477:                              ;   in Loop: Header=BB204_15 Depth=1
	v_and_b32_e32 v24, 7, v1
	v_lshrrev_b32_e32 v1, 3, v2
	s_mov_b32 s21, exec_lo
	v_cmpx_gt_u32_e32 8, v2
; %bb.478:                              ;   in Loop: Header=BB204_15 Depth=1
	v_ffbh_u32_e32 v1, v24
	v_min_u32_e32 v1, 32, v1
	v_subrev_nc_u32_e32 v2, 28, v1
	v_sub_nc_u32_e32 v1, 29, v1
	v_lshlrev_b64 v[2:3], v2, v[24:25]
	v_and_b32_e32 v24, 7, v2
; %bb.479:                              ;   in Loop: Header=BB204_15 Depth=1
	s_or_b32 exec_lo, exec_lo, s21
	v_lshlrev_b32_e32 v2, 16, v0
	v_lshlrev_b32_e32 v3, 20, v24
	v_lshl_add_u32 v1, v1, 23, 0x3c000000
	v_mov_b32_e32 v108, v25
	v_and_b32_e32 v2, 0x80000000, v2
	v_or3_b32 v109, v3, v2, v1
.LBB204_480:                            ;   in Loop: Header=BB204_15 Depth=1
	s_or_b32 exec_lo, exec_lo, s20
.LBB204_481:                            ;   in Loop: Header=BB204_15 Depth=1
	s_or_b32 exec_lo, exec_lo, s19
.LBB204_482:                            ;   in Loop: Header=BB204_15 Depth=1
	s_or_b32 exec_lo, exec_lo, s18
	v_mov_b32_e32 v110, 0
	v_mov_b32_e32 v104, 0
	v_and_b32_sdwa v1, v0, v37 dst_sel:DWORD dst_unused:UNUSED_PAD src0_sel:WORD_1 src1_sel:DWORD
	v_mov_b32_e32 v111, 0
	v_mov_b32_e32 v105, 0
	s_mov_b32 s18, exec_lo
	v_cmpx_ne_u16_e32 0, v1
	s_cbranch_execz .LBB204_490
; %bb.483:                              ;   in Loop: Header=BB204_15 Depth=1
	v_bfrev_b32_e32 v104, 1
	v_mov_b32_e32 v105, 0
	s_mov_b32 s19, exec_lo
	v_cmpx_ne_u16_e32 0x80, v1
	s_cbranch_execz .LBB204_489
; %bb.484:                              ;   in Loop: Header=BB204_15 Depth=1
	v_mov_b32_e32 v104, 0x7f800001
	v_bfe_u32 v2, v0, 16, 7
	v_mov_b32_e32 v105, 0
	s_mov_b32 s20, exec_lo
	v_cmpx_ne_u32_e32 0x7f, v2
	s_cbranch_execz .LBB204_488
; %bb.485:                              ;   in Loop: Header=BB204_15 Depth=1
	v_mov_b32_e32 v1, 7
	s_mov_b32 s21, exec_lo
	v_and_b32_sdwa v24, v0, v1 dst_sel:DWORD dst_unused:UNUSED_PAD src0_sel:WORD_1 src1_sel:DWORD
	v_lshrrev_b32_e32 v1, 3, v2
	v_cmpx_gt_u32_e32 8, v2
; %bb.486:                              ;   in Loop: Header=BB204_15 Depth=1
	v_ffbh_u32_e32 v1, v24
	v_min_u32_e32 v1, 32, v1
	v_subrev_nc_u32_e32 v2, 28, v1
	v_sub_nc_u32_e32 v1, 29, v1
	v_lshlrev_b64 v[2:3], v2, v[24:25]
	v_and_b32_e32 v24, 7, v2
; %bb.487:                              ;   in Loop: Header=BB204_15 Depth=1
	s_or_b32 exec_lo, exec_lo, s21
	v_mov_b32_e32 v2, 24
	v_lshlrev_b32_e32 v3, 20, v24
	v_lshl_add_u32 v1, v1, 23, 0x3c000000
	v_lshlrev_b32_sdwa v2, v2, v0 dst_sel:DWORD dst_unused:UNUSED_PAD src0_sel:DWORD src1_sel:WORD_1
	v_and_b32_e32 v2, 0x80000000, v2
	v_or3_b32 v24, v3, v2, v1
	v_mov_b32_e32 v105, v25
	v_mov_b32_e32 v104, v24
.LBB204_488:                            ;   in Loop: Header=BB204_15 Depth=1
	s_or_b32 exec_lo, exec_lo, s20
.LBB204_489:                            ;   in Loop: Header=BB204_15 Depth=1
	s_or_b32 exec_lo, exec_lo, s19
.LBB204_490:                            ;   in Loop: Header=BB204_15 Depth=1
	s_or_b32 exec_lo, exec_lo, s18
	s_mov_b32 s18, exec_lo
	v_cmpx_lt_u32_e32 0xffffff, v0
	s_cbranch_execz .LBB204_498
; %bb.491:                              ;   in Loop: Header=BB204_15 Depth=1
	v_mov_b32_e32 v31, v25
	v_mov_b32_e32 v111, v32
	v_cmp_ne_u32_sdwa s5, v0, v18 src0_sel:BYTE_3 src1_sel:DWORD
	v_mov_b32_e32 v110, v31
	s_and_saveexec_b32 s19, s5
	s_cbranch_execz .LBB204_497
; %bb.492:                              ;   in Loop: Header=BB204_15 Depth=1
	v_mov_b32_e32 v4, v25
	v_mov_b32_e32 v111, v5
	v_bfe_u32 v2, v0, 24, 7
	s_mov_b32 s20, exec_lo
	v_mov_b32_e32 v110, v4
	v_cmpx_ne_u32_e32 0x7f, v2
	s_cbranch_execz .LBB204_496
; %bb.493:                              ;   in Loop: Header=BB204_15 Depth=1
	v_mov_b32_e32 v1, 7
	s_mov_b32 s21, exec_lo
	v_and_b32_sdwa v24, v0, v1 dst_sel:DWORD dst_unused:UNUSED_PAD src0_sel:BYTE_3 src1_sel:DWORD
	v_lshrrev_b32_e32 v1, 3, v2
	v_cmpx_gt_u32_e32 8, v2
; %bb.494:                              ;   in Loop: Header=BB204_15 Depth=1
	v_ffbh_u32_e32 v1, v24
	v_min_u32_e32 v1, 32, v1
	v_subrev_nc_u32_e32 v2, 28, v1
	v_sub_nc_u32_e32 v1, 29, v1
	v_lshlrev_b64 v[2:3], v2, v[24:25]
	v_and_b32_e32 v24, 7, v2
; %bb.495:                              ;   in Loop: Header=BB204_15 Depth=1
	s_or_b32 exec_lo, exec_lo, s21
	v_mov_b32_e32 v2, 24
	v_lshl_add_u32 v1, v1, 23, 0x3c000000
	v_mov_b32_e32 v110, v25
	v_lshlrev_b32_sdwa v0, v2, v0 dst_sel:DWORD dst_unused:UNUSED_PAD src0_sel:DWORD src1_sel:BYTE_3
	v_lshlrev_b32_e32 v2, 20, v24
	v_and_b32_e32 v0, 0x80000000, v0
	v_or3_b32 v111, v2, v0, v1
.LBB204_496:                            ;   in Loop: Header=BB204_15 Depth=1
	s_or_b32 exec_lo, exec_lo, s20
.LBB204_497:                            ;   in Loop: Header=BB204_15 Depth=1
	s_or_b32 exec_lo, exec_lo, s19
.LBB204_498:                            ;   in Loop: Header=BB204_15 Depth=1
	s_or_b32 exec_lo, exec_lo, s18
	flat_load_dword v0, v[12:13] offset:1548
	v_mov_b32_e32 v106, 0
	v_mov_b32_e32 v124, 0
	;; [unrolled: 1-line block ×4, first 2 shown]
	s_waitcnt vmcnt(0) lgkmcnt(0)
	v_cmp_ne_u16_sdwa s5, v0, v25 src0_sel:BYTE_0 src1_sel:DWORD
	s_and_saveexec_b32 s18, s5
	s_cbranch_execz .LBB204_506
; %bb.499:                              ;   in Loop: Header=BB204_15 Depth=1
	v_bfrev_b32_e32 v124, 1
	v_mov_b32_e32 v125, 0
	v_cmp_ne_u16_sdwa s5, v0, v18 src0_sel:BYTE_0 src1_sel:DWORD
	s_and_saveexec_b32 s19, s5
	s_cbranch_execz .LBB204_505
; %bb.500:                              ;   in Loop: Header=BB204_15 Depth=1
	v_mov_b32_e32 v124, 0x7f800001
	v_and_b32_e32 v2, 0x7f, v0
	v_mov_b32_e32 v125, 0
	s_mov_b32 s20, exec_lo
	v_cmpx_ne_u32_e32 0x7f, v2
	s_cbranch_execz .LBB204_504
; %bb.501:                              ;   in Loop: Header=BB204_15 Depth=1
	v_and_b32_e32 v24, 7, v0
	v_lshrrev_b32_e32 v1, 3, v2
	s_mov_b32 s21, exec_lo
	v_cmpx_gt_u32_e32 8, v2
; %bb.502:                              ;   in Loop: Header=BB204_15 Depth=1
	v_ffbh_u32_e32 v1, v24
	v_min_u32_e32 v1, 32, v1
	v_subrev_nc_u32_e32 v2, 28, v1
	v_sub_nc_u32_e32 v1, 29, v1
	v_lshlrev_b64 v[2:3], v2, v[24:25]
	v_and_b32_e32 v24, 7, v2
; %bb.503:                              ;   in Loop: Header=BB204_15 Depth=1
	s_or_b32 exec_lo, exec_lo, s21
	v_lshlrev_b32_e32 v2, 24, v0
	v_lshlrev_b32_e32 v3, 20, v24
	v_lshl_add_u32 v1, v1, 23, 0x3c000000
	v_and_b32_e32 v2, 0x80000000, v2
	v_or3_b32 v24, v3, v2, v1
	v_mov_b32_e32 v125, v25
	v_mov_b32_e32 v124, v24
.LBB204_504:                            ;   in Loop: Header=BB204_15 Depth=1
	s_or_b32 exec_lo, exec_lo, s20
.LBB204_505:                            ;   in Loop: Header=BB204_15 Depth=1
	s_or_b32 exec_lo, exec_lo, s19
.LBB204_506:                            ;   in Loop: Header=BB204_15 Depth=1
	s_or_b32 exec_lo, exec_lo, s18
	v_cmp_ne_u16_sdwa s5, v0, v25 src0_sel:BYTE_1 src1_sel:DWORD
	s_and_saveexec_b32 s18, s5
	s_cbranch_execz .LBB204_514
; %bb.507:                              ;   in Loop: Header=BB204_15 Depth=1
	v_mov_b32_e32 v31, v25
	v_mov_b32_e32 v107, v32
	v_cmp_ne_u16_sdwa s5, v0, v18 src0_sel:BYTE_1 src1_sel:DWORD
	v_mov_b32_e32 v106, v31
	s_and_saveexec_b32 s19, s5
	s_cbranch_execz .LBB204_513
; %bb.508:                              ;   in Loop: Header=BB204_15 Depth=1
	v_mov_b32_e32 v1, 0xffff
	v_mov_b32_e32 v4, v25
	;; [unrolled: 1-line block ×3, first 2 shown]
	s_mov_b32 s20, exec_lo
	v_and_b32_sdwa v1, v1, v0 dst_sel:DWORD dst_unused:UNUSED_PAD src0_sel:DWORD src1_sel:BYTE_1
	v_mov_b32_e32 v106, v4
	v_and_b32_e32 v2, 0x7f, v1
	v_cmpx_ne_u32_e32 0x7f, v2
	s_cbranch_execz .LBB204_512
; %bb.509:                              ;   in Loop: Header=BB204_15 Depth=1
	v_and_b32_e32 v24, 7, v1
	v_lshrrev_b32_e32 v1, 3, v2
	s_mov_b32 s21, exec_lo
	v_cmpx_gt_u32_e32 8, v2
; %bb.510:                              ;   in Loop: Header=BB204_15 Depth=1
	v_ffbh_u32_e32 v1, v24
	v_min_u32_e32 v1, 32, v1
	v_subrev_nc_u32_e32 v2, 28, v1
	v_sub_nc_u32_e32 v1, 29, v1
	v_lshlrev_b64 v[2:3], v2, v[24:25]
	v_and_b32_e32 v24, 7, v2
; %bb.511:                              ;   in Loop: Header=BB204_15 Depth=1
	s_or_b32 exec_lo, exec_lo, s21
	v_lshlrev_b32_e32 v2, 16, v0
	v_lshlrev_b32_e32 v3, 20, v24
	v_lshl_add_u32 v1, v1, 23, 0x3c000000
	v_mov_b32_e32 v106, v25
	v_and_b32_e32 v2, 0x80000000, v2
	v_or3_b32 v107, v3, v2, v1
.LBB204_512:                            ;   in Loop: Header=BB204_15 Depth=1
	s_or_b32 exec_lo, exec_lo, s20
.LBB204_513:                            ;   in Loop: Header=BB204_15 Depth=1
	s_or_b32 exec_lo, exec_lo, s19
.LBB204_514:                            ;   in Loop: Header=BB204_15 Depth=1
	s_or_b32 exec_lo, exec_lo, s18
	v_mov_b32_e32 v126, 0
	v_mov_b32_e32 v120, 0
	v_and_b32_sdwa v1, v0, v37 dst_sel:DWORD dst_unused:UNUSED_PAD src0_sel:WORD_1 src1_sel:DWORD
	v_mov_b32_e32 v127, 0
	v_mov_b32_e32 v121, 0
	s_mov_b32 s18, exec_lo
	v_cmpx_ne_u16_e32 0, v1
	s_cbranch_execz .LBB204_522
; %bb.515:                              ;   in Loop: Header=BB204_15 Depth=1
	v_bfrev_b32_e32 v120, 1
	v_mov_b32_e32 v121, 0
	s_mov_b32 s19, exec_lo
	v_cmpx_ne_u16_e32 0x80, v1
	s_cbranch_execz .LBB204_521
; %bb.516:                              ;   in Loop: Header=BB204_15 Depth=1
	v_mov_b32_e32 v120, 0x7f800001
	v_bfe_u32 v2, v0, 16, 7
	v_mov_b32_e32 v121, 0
	s_mov_b32 s20, exec_lo
	v_cmpx_ne_u32_e32 0x7f, v2
	s_cbranch_execz .LBB204_520
; %bb.517:                              ;   in Loop: Header=BB204_15 Depth=1
	v_mov_b32_e32 v1, 7
	s_mov_b32 s21, exec_lo
	v_and_b32_sdwa v24, v0, v1 dst_sel:DWORD dst_unused:UNUSED_PAD src0_sel:WORD_1 src1_sel:DWORD
	v_lshrrev_b32_e32 v1, 3, v2
	v_cmpx_gt_u32_e32 8, v2
; %bb.518:                              ;   in Loop: Header=BB204_15 Depth=1
	v_ffbh_u32_e32 v1, v24
	v_min_u32_e32 v1, 32, v1
	v_subrev_nc_u32_e32 v2, 28, v1
	v_sub_nc_u32_e32 v1, 29, v1
	v_lshlrev_b64 v[2:3], v2, v[24:25]
	v_and_b32_e32 v24, 7, v2
; %bb.519:                              ;   in Loop: Header=BB204_15 Depth=1
	s_or_b32 exec_lo, exec_lo, s21
	v_mov_b32_e32 v2, 24
	v_lshlrev_b32_e32 v3, 20, v24
	v_lshl_add_u32 v1, v1, 23, 0x3c000000
	v_lshlrev_b32_sdwa v2, v2, v0 dst_sel:DWORD dst_unused:UNUSED_PAD src0_sel:DWORD src1_sel:WORD_1
	v_and_b32_e32 v2, 0x80000000, v2
	v_or3_b32 v24, v3, v2, v1
	v_mov_b32_e32 v121, v25
	v_mov_b32_e32 v120, v24
.LBB204_520:                            ;   in Loop: Header=BB204_15 Depth=1
	s_or_b32 exec_lo, exec_lo, s20
.LBB204_521:                            ;   in Loop: Header=BB204_15 Depth=1
	s_or_b32 exec_lo, exec_lo, s19
.LBB204_522:                            ;   in Loop: Header=BB204_15 Depth=1
	s_or_b32 exec_lo, exec_lo, s18
	s_mov_b32 s18, exec_lo
	v_cmpx_lt_u32_e32 0xffffff, v0
	s_cbranch_execz .LBB204_530
; %bb.523:                              ;   in Loop: Header=BB204_15 Depth=1
	v_mov_b32_e32 v31, v25
	v_mov_b32_e32 v127, v32
	v_cmp_ne_u32_sdwa s5, v0, v18 src0_sel:BYTE_3 src1_sel:DWORD
	v_mov_b32_e32 v126, v31
	s_and_saveexec_b32 s19, s5
	s_cbranch_execz .LBB204_529
; %bb.524:                              ;   in Loop: Header=BB204_15 Depth=1
	v_mov_b32_e32 v4, v25
	v_mov_b32_e32 v127, v5
	v_bfe_u32 v2, v0, 24, 7
	s_mov_b32 s20, exec_lo
	v_mov_b32_e32 v126, v4
	v_cmpx_ne_u32_e32 0x7f, v2
	s_cbranch_execz .LBB204_528
; %bb.525:                              ;   in Loop: Header=BB204_15 Depth=1
	v_mov_b32_e32 v1, 7
	s_mov_b32 s21, exec_lo
	v_and_b32_sdwa v24, v0, v1 dst_sel:DWORD dst_unused:UNUSED_PAD src0_sel:BYTE_3 src1_sel:DWORD
	v_lshrrev_b32_e32 v1, 3, v2
	v_cmpx_gt_u32_e32 8, v2
; %bb.526:                              ;   in Loop: Header=BB204_15 Depth=1
	v_ffbh_u32_e32 v1, v24
	v_min_u32_e32 v1, 32, v1
	v_subrev_nc_u32_e32 v2, 28, v1
	v_sub_nc_u32_e32 v1, 29, v1
	v_lshlrev_b64 v[2:3], v2, v[24:25]
	v_and_b32_e32 v24, 7, v2
; %bb.527:                              ;   in Loop: Header=BB204_15 Depth=1
	s_or_b32 exec_lo, exec_lo, s21
	v_mov_b32_e32 v2, 24
	v_lshl_add_u32 v1, v1, 23, 0x3c000000
	v_mov_b32_e32 v126, v25
	v_lshlrev_b32_sdwa v0, v2, v0 dst_sel:DWORD dst_unused:UNUSED_PAD src0_sel:DWORD src1_sel:BYTE_3
	v_lshlrev_b32_e32 v2, 20, v24
	v_and_b32_e32 v0, 0x80000000, v0
	v_or3_b32 v127, v2, v0, v1
.LBB204_528:                            ;   in Loop: Header=BB204_15 Depth=1
	s_or_b32 exec_lo, exec_lo, s20
.LBB204_529:                            ;   in Loop: Header=BB204_15 Depth=1
	s_or_b32 exec_lo, exec_lo, s19
.LBB204_530:                            ;   in Loop: Header=BB204_15 Depth=1
	s_or_b32 exec_lo, exec_lo, s18
	v_add_co_u32 v76, s5, 0x800, v12
	v_add_co_ci_u32_e64 v77, null, 0, v13, s5
	v_mov_b32_e32 v10, 0
	v_mov_b32_e32 v12, 0
	;; [unrolled: 1-line block ×3, first 2 shown]
	flat_load_dword v0, v[76:77]
	v_mov_b32_e32 v13, 0
	s_waitcnt vmcnt(0) lgkmcnt(0)
	v_cmp_ne_u16_sdwa s5, v0, v25 src0_sel:BYTE_0 src1_sel:DWORD
	s_and_saveexec_b32 s18, s5
	s_cbranch_execz .LBB204_538
; %bb.531:                              ;   in Loop: Header=BB204_15 Depth=1
	v_bfrev_b32_e32 v12, 1
	v_mov_b32_e32 v13, 0
	v_cmp_ne_u16_sdwa s5, v0, v18 src0_sel:BYTE_0 src1_sel:DWORD
	s_and_saveexec_b32 s19, s5
	s_cbranch_execz .LBB204_537
; %bb.532:                              ;   in Loop: Header=BB204_15 Depth=1
	v_mov_b32_e32 v12, 0x7f800001
	v_and_b32_e32 v2, 0x7f, v0
	v_mov_b32_e32 v13, 0
	s_mov_b32 s20, exec_lo
	v_cmpx_ne_u32_e32 0x7f, v2
	s_cbranch_execz .LBB204_536
; %bb.533:                              ;   in Loop: Header=BB204_15 Depth=1
	v_and_b32_e32 v24, 7, v0
	v_lshrrev_b32_e32 v1, 3, v2
	s_mov_b32 s21, exec_lo
	v_cmpx_gt_u32_e32 8, v2
; %bb.534:                              ;   in Loop: Header=BB204_15 Depth=1
	v_ffbh_u32_e32 v1, v24
	v_min_u32_e32 v1, 32, v1
	v_subrev_nc_u32_e32 v2, 28, v1
	v_sub_nc_u32_e32 v1, 29, v1
	v_lshlrev_b64 v[2:3], v2, v[24:25]
	v_and_b32_e32 v24, 7, v2
; %bb.535:                              ;   in Loop: Header=BB204_15 Depth=1
	s_or_b32 exec_lo, exec_lo, s21
	v_lshlrev_b32_e32 v2, 24, v0
	v_lshlrev_b32_e32 v3, 20, v24
	v_lshl_add_u32 v1, v1, 23, 0x3c000000
	v_and_b32_e32 v2, 0x80000000, v2
	v_or3_b32 v24, v3, v2, v1
	v_mov_b32_e32 v12, v24
	v_mov_b32_e32 v13, v25
.LBB204_536:                            ;   in Loop: Header=BB204_15 Depth=1
	s_or_b32 exec_lo, exec_lo, s20
.LBB204_537:                            ;   in Loop: Header=BB204_15 Depth=1
	s_or_b32 exec_lo, exec_lo, s19
.LBB204_538:                            ;   in Loop: Header=BB204_15 Depth=1
	s_or_b32 exec_lo, exec_lo, s18
	v_cmp_ne_u16_sdwa s5, v0, v25 src0_sel:BYTE_1 src1_sel:DWORD
	s_and_saveexec_b32 s18, s5
	s_cbranch_execz .LBB204_546
; %bb.539:                              ;   in Loop: Header=BB204_15 Depth=1
	v_mov_b32_e32 v31, v25
	v_cmp_ne_u16_sdwa s5, v0, v18 src0_sel:BYTE_1 src1_sel:DWORD
	v_mov_b32_e32 v10, v31
	v_mov_b32_e32 v11, v32
	s_and_saveexec_b32 s19, s5
	s_cbranch_execz .LBB204_545
; %bb.540:                              ;   in Loop: Header=BB204_15 Depth=1
	v_mov_b32_e32 v1, 0xffff
	v_mov_b32_e32 v4, v25
	;; [unrolled: 1-line block ×3, first 2 shown]
	s_mov_b32 s20, exec_lo
	v_and_b32_sdwa v1, v1, v0 dst_sel:DWORD dst_unused:UNUSED_PAD src0_sel:DWORD src1_sel:BYTE_1
	v_mov_b32_e32 v10, v4
	v_and_b32_e32 v2, 0x7f, v1
	v_cmpx_ne_u32_e32 0x7f, v2
	s_cbranch_execz .LBB204_544
; %bb.541:                              ;   in Loop: Header=BB204_15 Depth=1
	v_and_b32_e32 v24, 7, v1
	v_lshrrev_b32_e32 v1, 3, v2
	s_mov_b32 s21, exec_lo
	v_cmpx_gt_u32_e32 8, v2
; %bb.542:                              ;   in Loop: Header=BB204_15 Depth=1
	v_ffbh_u32_e32 v1, v24
	v_min_u32_e32 v1, 32, v1
	v_subrev_nc_u32_e32 v2, 28, v1
	v_sub_nc_u32_e32 v1, 29, v1
	v_lshlrev_b64 v[2:3], v2, v[24:25]
	v_and_b32_e32 v24, 7, v2
; %bb.543:                              ;   in Loop: Header=BB204_15 Depth=1
	s_or_b32 exec_lo, exec_lo, s21
	v_lshlrev_b32_e32 v2, 16, v0
	v_lshlrev_b32_e32 v3, 20, v24
	v_lshl_add_u32 v1, v1, 23, 0x3c000000
	v_mov_b32_e32 v10, v25
	v_and_b32_e32 v2, 0x80000000, v2
	v_or3_b32 v11, v3, v2, v1
.LBB204_544:                            ;   in Loop: Header=BB204_15 Depth=1
	s_or_b32 exec_lo, exec_lo, s20
.LBB204_545:                            ;   in Loop: Header=BB204_15 Depth=1
	s_or_b32 exec_lo, exec_lo, s19
.LBB204_546:                            ;   in Loop: Header=BB204_15 Depth=1
	s_or_b32 exec_lo, exec_lo, s18
	v_mov_b32_e32 v122, 0
	v_mov_b32_e32 v90, 0
	v_and_b32_sdwa v1, v0, v37 dst_sel:DWORD dst_unused:UNUSED_PAD src0_sel:WORD_1 src1_sel:DWORD
	v_mov_b32_e32 v123, 0
	v_mov_b32_e32 v91, 0
	s_mov_b32 s18, exec_lo
	v_cmpx_ne_u16_e32 0, v1
	s_cbranch_execz .LBB204_554
; %bb.547:                              ;   in Loop: Header=BB204_15 Depth=1
	v_bfrev_b32_e32 v90, 1
	v_mov_b32_e32 v91, 0
	s_mov_b32 s19, exec_lo
	v_cmpx_ne_u16_e32 0x80, v1
	s_cbranch_execz .LBB204_553
; %bb.548:                              ;   in Loop: Header=BB204_15 Depth=1
	v_mov_b32_e32 v90, 0x7f800001
	v_bfe_u32 v2, v0, 16, 7
	v_mov_b32_e32 v91, 0
	s_mov_b32 s20, exec_lo
	v_cmpx_ne_u32_e32 0x7f, v2
	s_cbranch_execz .LBB204_552
; %bb.549:                              ;   in Loop: Header=BB204_15 Depth=1
	v_mov_b32_e32 v1, 7
	s_mov_b32 s21, exec_lo
	v_and_b32_sdwa v24, v0, v1 dst_sel:DWORD dst_unused:UNUSED_PAD src0_sel:WORD_1 src1_sel:DWORD
	v_lshrrev_b32_e32 v1, 3, v2
	v_cmpx_gt_u32_e32 8, v2
; %bb.550:                              ;   in Loop: Header=BB204_15 Depth=1
	v_ffbh_u32_e32 v1, v24
	v_min_u32_e32 v1, 32, v1
	v_subrev_nc_u32_e32 v2, 28, v1
	v_sub_nc_u32_e32 v1, 29, v1
	v_lshlrev_b64 v[2:3], v2, v[24:25]
	v_and_b32_e32 v24, 7, v2
; %bb.551:                              ;   in Loop: Header=BB204_15 Depth=1
	s_or_b32 exec_lo, exec_lo, s21
	v_mov_b32_e32 v2, 24
	v_lshlrev_b32_e32 v3, 20, v24
	v_lshl_add_u32 v1, v1, 23, 0x3c000000
	v_lshlrev_b32_sdwa v2, v2, v0 dst_sel:DWORD dst_unused:UNUSED_PAD src0_sel:DWORD src1_sel:WORD_1
	v_and_b32_e32 v2, 0x80000000, v2
	v_or3_b32 v24, v3, v2, v1
	v_mov_b32_e32 v91, v25
	v_mov_b32_e32 v90, v24
.LBB204_552:                            ;   in Loop: Header=BB204_15 Depth=1
	s_or_b32 exec_lo, exec_lo, s20
.LBB204_553:                            ;   in Loop: Header=BB204_15 Depth=1
	s_or_b32 exec_lo, exec_lo, s19
.LBB204_554:                            ;   in Loop: Header=BB204_15 Depth=1
	s_or_b32 exec_lo, exec_lo, s18
	s_mov_b32 s18, exec_lo
	v_cmpx_lt_u32_e32 0xffffff, v0
	s_cbranch_execz .LBB204_562
; %bb.555:                              ;   in Loop: Header=BB204_15 Depth=1
	v_mov_b32_e32 v31, v25
	v_mov_b32_e32 v123, v32
	v_cmp_ne_u32_sdwa s5, v0, v18 src0_sel:BYTE_3 src1_sel:DWORD
	v_mov_b32_e32 v122, v31
	s_and_saveexec_b32 s19, s5
	s_cbranch_execz .LBB204_561
; %bb.556:                              ;   in Loop: Header=BB204_15 Depth=1
	v_mov_b32_e32 v4, v25
	v_mov_b32_e32 v123, v5
	v_bfe_u32 v2, v0, 24, 7
	s_mov_b32 s20, exec_lo
	v_mov_b32_e32 v122, v4
	v_cmpx_ne_u32_e32 0x7f, v2
	s_cbranch_execz .LBB204_560
; %bb.557:                              ;   in Loop: Header=BB204_15 Depth=1
	v_mov_b32_e32 v1, 7
	s_mov_b32 s21, exec_lo
	v_and_b32_sdwa v24, v0, v1 dst_sel:DWORD dst_unused:UNUSED_PAD src0_sel:BYTE_3 src1_sel:DWORD
	v_lshrrev_b32_e32 v1, 3, v2
	v_cmpx_gt_u32_e32 8, v2
; %bb.558:                              ;   in Loop: Header=BB204_15 Depth=1
	v_ffbh_u32_e32 v1, v24
	v_min_u32_e32 v1, 32, v1
	v_subrev_nc_u32_e32 v2, 28, v1
	v_sub_nc_u32_e32 v1, 29, v1
	v_lshlrev_b64 v[2:3], v2, v[24:25]
	v_and_b32_e32 v24, 7, v2
; %bb.559:                              ;   in Loop: Header=BB204_15 Depth=1
	s_or_b32 exec_lo, exec_lo, s21
	v_mov_b32_e32 v2, 24
	v_lshl_add_u32 v1, v1, 23, 0x3c000000
	v_mov_b32_e32 v122, v25
	v_lshlrev_b32_sdwa v0, v2, v0 dst_sel:DWORD dst_unused:UNUSED_PAD src0_sel:DWORD src1_sel:BYTE_3
	v_lshlrev_b32_e32 v2, 20, v24
	v_and_b32_e32 v0, 0x80000000, v0
	v_or3_b32 v123, v2, v0, v1
.LBB204_560:                            ;   in Loop: Header=BB204_15 Depth=1
	s_or_b32 exec_lo, exec_lo, s20
.LBB204_561:                            ;   in Loop: Header=BB204_15 Depth=1
	s_or_b32 exec_lo, exec_lo, s19
.LBB204_562:                            ;   in Loop: Header=BB204_15 Depth=1
	s_or_b32 exec_lo, exec_lo, s18
	flat_load_dword v7, v[76:77] offset:4
	v_mov_b32_e32 v88, 0
	v_mov_b32_e32 v21, 0
	v_mov_b32_e32 v89, 0
	v_mov_b32_e32 v22, 0
	s_waitcnt vmcnt(0) lgkmcnt(0)
	v_cmp_ne_u16_sdwa s5, v7, v25 src0_sel:BYTE_0 src1_sel:DWORD
	s_and_saveexec_b32 s18, s5
	s_cbranch_execz .LBB204_570
; %bb.563:                              ;   in Loop: Header=BB204_15 Depth=1
	v_bfrev_b32_e32 v21, 1
	v_mov_b32_e32 v22, 0
	v_cmp_ne_u16_sdwa s5, v7, v18 src0_sel:BYTE_0 src1_sel:DWORD
	s_and_saveexec_b32 s19, s5
	s_cbranch_execz .LBB204_569
; %bb.564:                              ;   in Loop: Header=BB204_15 Depth=1
	v_mov_b32_e32 v21, 0x7f800001
	v_and_b32_e32 v1, 0x7f, v7
	v_mov_b32_e32 v22, 0
	s_mov_b32 s20, exec_lo
	v_cmpx_ne_u32_e32 0x7f, v1
	s_cbranch_execz .LBB204_568
; %bb.565:                              ;   in Loop: Header=BB204_15 Depth=1
	v_and_b32_e32 v24, 7, v7
	v_lshrrev_b32_e32 v0, 3, v1
	s_mov_b32 s21, exec_lo
	v_cmpx_gt_u32_e32 8, v1
; %bb.566:                              ;   in Loop: Header=BB204_15 Depth=1
	v_ffbh_u32_e32 v0, v24
	v_min_u32_e32 v0, 32, v0
	v_subrev_nc_u32_e32 v1, 28, v0
	v_sub_nc_u32_e32 v0, 29, v0
	v_lshlrev_b64 v[1:2], v1, v[24:25]
	v_and_b32_e32 v24, 7, v1
; %bb.567:                              ;   in Loop: Header=BB204_15 Depth=1
	s_or_b32 exec_lo, exec_lo, s21
	v_lshlrev_b32_e32 v1, 24, v7
	v_lshlrev_b32_e32 v2, 20, v24
	v_lshl_add_u32 v0, v0, 23, 0x3c000000
	v_and_b32_e32 v1, 0x80000000, v1
	v_or3_b32 v24, v2, v1, v0
	v_mov_b32_e32 v21, v24
	v_mov_b32_e32 v22, v25
.LBB204_568:                            ;   in Loop: Header=BB204_15 Depth=1
	s_or_b32 exec_lo, exec_lo, s20
.LBB204_569:                            ;   in Loop: Header=BB204_15 Depth=1
	s_or_b32 exec_lo, exec_lo, s19
.LBB204_570:                            ;   in Loop: Header=BB204_15 Depth=1
	s_or_b32 exec_lo, exec_lo, s18
	v_cmp_ne_u16_sdwa s5, v7, v25 src0_sel:BYTE_1 src1_sel:DWORD
	s_and_saveexec_b32 s18, s5
	s_cbranch_execz .LBB204_578
; %bb.571:                              ;   in Loop: Header=BB204_15 Depth=1
	v_mov_b32_e32 v31, v25
	v_mov_b32_e32 v89, v32
	v_cmp_ne_u16_sdwa s5, v7, v18 src0_sel:BYTE_1 src1_sel:DWORD
	v_mov_b32_e32 v88, v31
	s_and_saveexec_b32 s19, s5
	s_cbranch_execz .LBB204_577
; %bb.572:                              ;   in Loop: Header=BB204_15 Depth=1
	v_mov_b32_e32 v0, 0xffff
	v_mov_b32_e32 v4, v25
	;; [unrolled: 1-line block ×3, first 2 shown]
	s_mov_b32 s20, exec_lo
	v_and_b32_sdwa v0, v0, v7 dst_sel:DWORD dst_unused:UNUSED_PAD src0_sel:DWORD src1_sel:BYTE_1
	v_mov_b32_e32 v88, v4
	v_and_b32_e32 v1, 0x7f, v0
	v_cmpx_ne_u32_e32 0x7f, v1
	s_cbranch_execz .LBB204_576
; %bb.573:                              ;   in Loop: Header=BB204_15 Depth=1
	v_and_b32_e32 v24, 7, v0
	v_lshrrev_b32_e32 v0, 3, v1
	s_mov_b32 s21, exec_lo
	v_cmpx_gt_u32_e32 8, v1
; %bb.574:                              ;   in Loop: Header=BB204_15 Depth=1
	v_ffbh_u32_e32 v0, v24
	v_min_u32_e32 v0, 32, v0
	v_subrev_nc_u32_e32 v1, 28, v0
	v_sub_nc_u32_e32 v0, 29, v0
	v_lshlrev_b64 v[1:2], v1, v[24:25]
	v_and_b32_e32 v24, 7, v1
; %bb.575:                              ;   in Loop: Header=BB204_15 Depth=1
	s_or_b32 exec_lo, exec_lo, s21
	v_lshlrev_b32_e32 v1, 16, v7
	v_lshlrev_b32_e32 v2, 20, v24
	v_lshl_add_u32 v0, v0, 23, 0x3c000000
	v_mov_b32_e32 v88, v25
	v_and_b32_e32 v1, 0x80000000, v1
	v_or3_b32 v89, v2, v1, v0
.LBB204_576:                            ;   in Loop: Header=BB204_15 Depth=1
	s_or_b32 exec_lo, exec_lo, s20
.LBB204_577:                            ;   in Loop: Header=BB204_15 Depth=1
	s_or_b32 exec_lo, exec_lo, s19
.LBB204_578:                            ;   in Loop: Header=BB204_15 Depth=1
	s_or_b32 exec_lo, exec_lo, s18
	v_mov_b32_e32 v0, 0
	v_mov_b32_e32 v2, 0
	v_and_b32_sdwa v4, v7, v37 dst_sel:DWORD dst_unused:UNUSED_PAD src0_sel:WORD_1 src1_sel:DWORD
	v_mov_b32_e32 v1, 0
	v_mov_b32_e32 v3, 0
	s_mov_b32 s18, exec_lo
	v_cmpx_ne_u16_e32 0, v4
	s_cbranch_execz .LBB204_586
; %bb.579:                              ;   in Loop: Header=BB204_15 Depth=1
	v_bfrev_b32_e32 v2, 1
	v_mov_b32_e32 v3, 0
	s_mov_b32 s19, exec_lo
	v_cmpx_ne_u16_e32 0x80, v4
	s_cbranch_execz .LBB204_585
; %bb.580:                              ;   in Loop: Header=BB204_15 Depth=1
	v_mov_b32_e32 v2, 0x7f800001
	v_bfe_u32 v4, v7, 16, 7
	v_mov_b32_e32 v3, 0
	s_mov_b32 s20, exec_lo
	v_cmpx_ne_u32_e32 0x7f, v4
	s_cbranch_execz .LBB204_584
; %bb.581:                              ;   in Loop: Header=BB204_15 Depth=1
	v_mov_b32_e32 v2, 7
	s_mov_b32 s21, exec_lo
	v_and_b32_sdwa v24, v7, v2 dst_sel:DWORD dst_unused:UNUSED_PAD src0_sel:WORD_1 src1_sel:DWORD
	v_lshrrev_b32_e32 v2, 3, v4
	v_cmpx_gt_u32_e32 8, v4
; %bb.582:                              ;   in Loop: Header=BB204_15 Depth=1
	v_ffbh_u32_e32 v2, v24
	v_min_u32_e32 v2, 32, v2
	v_subrev_nc_u32_e32 v3, 28, v2
	v_sub_nc_u32_e32 v2, 29, v2
	v_lshlrev_b64 v[3:4], v3, v[24:25]
	v_and_b32_e32 v24, 7, v3
; %bb.583:                              ;   in Loop: Header=BB204_15 Depth=1
	s_or_b32 exec_lo, exec_lo, s21
	v_mov_b32_e32 v3, 24
	v_lshlrev_b32_e32 v4, 20, v24
	v_lshl_add_u32 v2, v2, 23, 0x3c000000
	v_lshlrev_b32_sdwa v3, v3, v7 dst_sel:DWORD dst_unused:UNUSED_PAD src0_sel:DWORD src1_sel:WORD_1
	v_and_b32_e32 v3, 0x80000000, v3
	v_or3_b32 v24, v4, v3, v2
	v_mov_b32_e32 v2, v24
	v_mov_b32_e32 v3, v25
.LBB204_584:                            ;   in Loop: Header=BB204_15 Depth=1
	s_or_b32 exec_lo, exec_lo, s20
.LBB204_585:                            ;   in Loop: Header=BB204_15 Depth=1
	s_or_b32 exec_lo, exec_lo, s19
.LBB204_586:                            ;   in Loop: Header=BB204_15 Depth=1
	s_or_b32 exec_lo, exec_lo, s18
	s_mov_b32 s18, exec_lo
	v_cmpx_lt_u32_e32 0xffffff, v7
	s_cbranch_execz .LBB204_594
; %bb.587:                              ;   in Loop: Header=BB204_15 Depth=1
	v_mov_b32_e32 v31, v25
	v_cmp_ne_u32_sdwa s5, v7, v18 src0_sel:BYTE_3 src1_sel:DWORD
	v_mov_b32_e32 v0, v31
	v_mov_b32_e32 v1, v32
	s_and_saveexec_b32 s19, s5
	s_cbranch_execz .LBB204_593
; %bb.588:                              ;   in Loop: Header=BB204_15 Depth=1
	v_mov_b32_e32 v4, v25
	v_bfe_u32 v8, v7, 24, 7
	s_mov_b32 s20, exec_lo
	v_mov_b32_e32 v0, v4
	v_mov_b32_e32 v1, v5
	v_cmpx_ne_u32_e32 0x7f, v8
	s_cbranch_execz .LBB204_592
; %bb.589:                              ;   in Loop: Header=BB204_15 Depth=1
	v_mov_b32_e32 v0, 7
	s_mov_b32 s21, exec_lo
	v_and_b32_sdwa v24, v7, v0 dst_sel:DWORD dst_unused:UNUSED_PAD src0_sel:BYTE_3 src1_sel:DWORD
	v_lshrrev_b32_e32 v0, 3, v8
	v_cmpx_gt_u32_e32 8, v8
; %bb.590:                              ;   in Loop: Header=BB204_15 Depth=1
	v_ffbh_u32_e32 v0, v24
	v_min_u32_e32 v0, 32, v0
	v_subrev_nc_u32_e32 v1, 28, v0
	v_sub_nc_u32_e32 v0, 29, v0
	v_lshlrev_b64 v[14:15], v1, v[24:25]
	v_and_b32_e32 v24, 7, v14
; %bb.591:                              ;   in Loop: Header=BB204_15 Depth=1
	s_or_b32 exec_lo, exec_lo, s21
	v_mov_b32_e32 v1, 24
	v_lshlrev_b32_e32 v4, 20, v24
	v_lshl_add_u32 v0, v0, 23, 0x3c000000
	v_lshlrev_b32_sdwa v1, v1, v7 dst_sel:DWORD dst_unused:UNUSED_PAD src0_sel:DWORD src1_sel:BYTE_3
	v_and_b32_e32 v1, 0x80000000, v1
	v_or3_b32 v1, v4, v1, v0
	v_mov_b32_e32 v0, v25
.LBB204_592:                            ;   in Loop: Header=BB204_15 Depth=1
	s_or_b32 exec_lo, exec_lo, s20
.LBB204_593:                            ;   in Loop: Header=BB204_15 Depth=1
	s_or_b32 exec_lo, exec_lo, s19
.LBB204_594:                            ;   in Loop: Header=BB204_15 Depth=1
	s_or_b32 exec_lo, exec_lo, s18
	flat_load_dword v14, v[76:77] offset:8
	v_mov_b32_e32 v7, 0
	v_mov_b32_e32 v27, 0
	v_mov_b32_e32 v8, 0
	v_mov_b32_e32 v28, 0
	s_waitcnt vmcnt(0) lgkmcnt(0)
	v_cmp_ne_u16_sdwa s5, v14, v25 src0_sel:BYTE_0 src1_sel:DWORD
	s_and_saveexec_b32 s18, s5
	s_cbranch_execz .LBB204_602
; %bb.595:                              ;   in Loop: Header=BB204_15 Depth=1
	v_bfrev_b32_e32 v27, 1
	v_mov_b32_e32 v28, 0
	v_cmp_ne_u16_sdwa s5, v14, v18 src0_sel:BYTE_0 src1_sel:DWORD
	s_and_saveexec_b32 s19, s5
	s_cbranch_execz .LBB204_601
; %bb.596:                              ;   in Loop: Header=BB204_15 Depth=1
	v_mov_b32_e32 v27, 0x7f800001
	v_and_b32_e32 v15, 0x7f, v14
	v_mov_b32_e32 v28, 0
	s_mov_b32 s20, exec_lo
	v_cmpx_ne_u32_e32 0x7f, v15
	s_cbranch_execz .LBB204_600
; %bb.597:                              ;   in Loop: Header=BB204_15 Depth=1
	v_and_b32_e32 v24, 7, v14
	v_lshrrev_b32_e32 v4, 3, v15
	s_mov_b32 s21, exec_lo
	v_cmpx_gt_u32_e32 8, v15
; %bb.598:                              ;   in Loop: Header=BB204_15 Depth=1
	v_ffbh_u32_e32 v4, v24
	v_min_u32_e32 v4, 32, v4
	v_subrev_nc_u32_e32 v15, 28, v4
	v_sub_nc_u32_e32 v4, 29, v4
	v_lshlrev_b64 v[15:16], v15, v[24:25]
	v_and_b32_e32 v24, 7, v15
; %bb.599:                              ;   in Loop: Header=BB204_15 Depth=1
	s_or_b32 exec_lo, exec_lo, s21
	v_lshlrev_b32_e32 v15, 24, v14
	v_lshlrev_b32_e32 v16, 20, v24
	v_lshl_add_u32 v4, v4, 23, 0x3c000000
	v_and_b32_e32 v15, 0x80000000, v15
	v_or3_b32 v24, v16, v15, v4
	v_mov_b32_e32 v28, v25
	v_mov_b32_e32 v27, v24
.LBB204_600:                            ;   in Loop: Header=BB204_15 Depth=1
	s_or_b32 exec_lo, exec_lo, s20
.LBB204_601:                            ;   in Loop: Header=BB204_15 Depth=1
	s_or_b32 exec_lo, exec_lo, s19
.LBB204_602:                            ;   in Loop: Header=BB204_15 Depth=1
	s_or_b32 exec_lo, exec_lo, s18
	v_cmp_ne_u16_sdwa s5, v14, v25 src0_sel:BYTE_1 src1_sel:DWORD
	s_and_saveexec_b32 s18, s5
	s_cbranch_execz .LBB204_610
; %bb.603:                              ;   in Loop: Header=BB204_15 Depth=1
	v_mov_b32_e32 v31, v25
	v_cmp_ne_u16_sdwa s5, v14, v18 src0_sel:BYTE_1 src1_sel:DWORD
	v_mov_b32_e32 v7, v31
	v_mov_b32_e32 v8, v32
	s_and_saveexec_b32 s19, s5
	s_cbranch_execz .LBB204_609
; %bb.604:                              ;   in Loop: Header=BB204_15 Depth=1
	v_mov_b32_e32 v4, 0xffff
	s_mov_b32 s20, exec_lo
	v_and_b32_sdwa v16, v4, v14 dst_sel:DWORD dst_unused:UNUSED_PAD src0_sel:DWORD src1_sel:BYTE_1
	v_mov_b32_e32 v4, v25
	v_mov_b32_e32 v8, v5
	v_and_b32_e32 v15, 0x7f, v16
	v_mov_b32_e32 v7, v4
	v_cmpx_ne_u32_e32 0x7f, v15
	s_cbranch_execz .LBB204_608
; %bb.605:                              ;   in Loop: Header=BB204_15 Depth=1
	v_and_b32_e32 v24, 7, v16
	v_lshrrev_b32_e32 v4, 3, v15
	s_mov_b32 s21, exec_lo
	v_cmpx_gt_u32_e32 8, v15
; %bb.606:                              ;   in Loop: Header=BB204_15 Depth=1
	v_ffbh_u32_e32 v4, v24
	v_min_u32_e32 v4, 32, v4
	v_subrev_nc_u32_e32 v7, 28, v4
	v_sub_nc_u32_e32 v4, 29, v4
	v_lshlrev_b64 v[7:8], v7, v[24:25]
	v_and_b32_e32 v24, 7, v7
; %bb.607:                              ;   in Loop: Header=BB204_15 Depth=1
	s_or_b32 exec_lo, exec_lo, s21
	v_lshlrev_b32_e32 v7, 16, v14
	v_lshlrev_b32_e32 v8, 20, v24
	v_lshl_add_u32 v4, v4, 23, 0x3c000000
	v_and_b32_e32 v7, 0x80000000, v7
	v_or3_b32 v8, v8, v7, v4
	v_mov_b32_e32 v7, v25
.LBB204_608:                            ;   in Loop: Header=BB204_15 Depth=1
	s_or_b32 exec_lo, exec_lo, s20
.LBB204_609:                            ;   in Loop: Header=BB204_15 Depth=1
	s_or_b32 exec_lo, exec_lo, s19
.LBB204_610:                            ;   in Loop: Header=BB204_15 Depth=1
	s_or_b32 exec_lo, exec_lo, s18
	v_mov_b32_e32 v78, 0
	v_mov_b32_e32 v29, 0
	v_and_b32_sdwa v4, v14, v37 dst_sel:DWORD dst_unused:UNUSED_PAD src0_sel:WORD_1 src1_sel:DWORD
	v_mov_b32_e32 v79, 0
	v_mov_b32_e32 v30, 0
	s_mov_b32 s18, exec_lo
	v_cmpx_ne_u16_e32 0, v4
	s_cbranch_execz .LBB204_618
; %bb.611:                              ;   in Loop: Header=BB204_15 Depth=1
	v_bfrev_b32_e32 v29, 1
	v_mov_b32_e32 v30, 0
	s_mov_b32 s19, exec_lo
	v_cmpx_ne_u16_e32 0x80, v4
	s_cbranch_execz .LBB204_617
; %bb.612:                              ;   in Loop: Header=BB204_15 Depth=1
	v_mov_b32_e32 v29, 0x7f800001
	v_bfe_u32 v15, v14, 16, 7
	v_mov_b32_e32 v30, 0
	s_mov_b32 s20, exec_lo
	v_cmpx_ne_u32_e32 0x7f, v15
	s_cbranch_execz .LBB204_616
; %bb.613:                              ;   in Loop: Header=BB204_15 Depth=1
	v_mov_b32_e32 v4, 7
	s_mov_b32 s21, exec_lo
	v_and_b32_sdwa v24, v14, v4 dst_sel:DWORD dst_unused:UNUSED_PAD src0_sel:WORD_1 src1_sel:DWORD
	v_lshrrev_b32_e32 v4, 3, v15
	v_cmpx_gt_u32_e32 8, v15
; %bb.614:                              ;   in Loop: Header=BB204_15 Depth=1
	v_ffbh_u32_e32 v4, v24
	v_min_u32_e32 v4, 32, v4
	v_subrev_nc_u32_e32 v15, 28, v4
	v_sub_nc_u32_e32 v4, 29, v4
	v_lshlrev_b64 v[15:16], v15, v[24:25]
	v_and_b32_e32 v24, 7, v15
; %bb.615:                              ;   in Loop: Header=BB204_15 Depth=1
	s_or_b32 exec_lo, exec_lo, s21
	v_mov_b32_e32 v15, 24
	v_lshlrev_b32_e32 v16, 20, v24
	v_lshl_add_u32 v4, v4, 23, 0x3c000000
	v_lshlrev_b32_sdwa v15, v15, v14 dst_sel:DWORD dst_unused:UNUSED_PAD src0_sel:DWORD src1_sel:WORD_1
	v_and_b32_e32 v15, 0x80000000, v15
	v_or3_b32 v24, v16, v15, v4
	v_mov_b32_e32 v30, v25
	v_mov_b32_e32 v29, v24
.LBB204_616:                            ;   in Loop: Header=BB204_15 Depth=1
	s_or_b32 exec_lo, exec_lo, s20
.LBB204_617:                            ;   in Loop: Header=BB204_15 Depth=1
	s_or_b32 exec_lo, exec_lo, s19
.LBB204_618:                            ;   in Loop: Header=BB204_15 Depth=1
	s_or_b32 exec_lo, exec_lo, s18
	s_mov_b32 s18, exec_lo
	v_cmpx_lt_u32_e32 0xffffff, v14
	s_cbranch_execz .LBB204_626
; %bb.619:                              ;   in Loop: Header=BB204_15 Depth=1
	v_mov_b32_e32 v31, v25
	v_mov_b32_e32 v79, v32
	v_cmp_ne_u32_sdwa s5, v14, v18 src0_sel:BYTE_3 src1_sel:DWORD
	v_mov_b32_e32 v78, v31
	s_and_saveexec_b32 s19, s5
	s_cbranch_execz .LBB204_625
; %bb.620:                              ;   in Loop: Header=BB204_15 Depth=1
	v_mov_b32_e32 v4, v25
	v_mov_b32_e32 v79, v5
	v_bfe_u32 v15, v14, 24, 7
	s_mov_b32 s20, exec_lo
	v_mov_b32_e32 v78, v4
	v_cmpx_ne_u32_e32 0x7f, v15
	s_cbranch_execz .LBB204_624
; %bb.621:                              ;   in Loop: Header=BB204_15 Depth=1
	v_mov_b32_e32 v4, 7
	s_mov_b32 s21, exec_lo
	v_and_b32_sdwa v24, v14, v4 dst_sel:DWORD dst_unused:UNUSED_PAD src0_sel:BYTE_3 src1_sel:DWORD
	v_lshrrev_b32_e32 v4, 3, v15
	v_cmpx_gt_u32_e32 8, v15
; %bb.622:                              ;   in Loop: Header=BB204_15 Depth=1
	v_ffbh_u32_e32 v4, v24
	v_min_u32_e32 v4, 32, v4
	v_subrev_nc_u32_e32 v15, 28, v4
	v_sub_nc_u32_e32 v4, 29, v4
	v_lshlrev_b64 v[15:16], v15, v[24:25]
	v_and_b32_e32 v24, 7, v15
; %bb.623:                              ;   in Loop: Header=BB204_15 Depth=1
	s_or_b32 exec_lo, exec_lo, s21
	v_mov_b32_e32 v15, 24
	v_lshl_add_u32 v4, v4, 23, 0x3c000000
	v_mov_b32_e32 v78, v25
	v_lshlrev_b32_sdwa v14, v15, v14 dst_sel:DWORD dst_unused:UNUSED_PAD src0_sel:DWORD src1_sel:BYTE_3
	v_lshlrev_b32_e32 v15, 20, v24
	v_and_b32_e32 v14, 0x80000000, v14
	v_or3_b32 v79, v15, v14, v4
.LBB204_624:                            ;   in Loop: Header=BB204_15 Depth=1
	s_or_b32 exec_lo, exec_lo, s20
.LBB204_625:                            ;   in Loop: Header=BB204_15 Depth=1
	s_or_b32 exec_lo, exec_lo, s19
.LBB204_626:                            ;   in Loop: Header=BB204_15 Depth=1
	s_or_b32 exec_lo, exec_lo, s18
	flat_load_dword v34, v[76:77] offset:12
	v_mov_b32_e32 v14, 0
	v_mov_b32_e32 v35, 0
	;; [unrolled: 1-line block ×4, first 2 shown]
	s_waitcnt vmcnt(0) lgkmcnt(0)
	v_cmp_ne_u16_sdwa s5, v34, v25 src0_sel:BYTE_0 src1_sel:DWORD
	s_and_saveexec_b32 s18, s5
	s_cbranch_execz .LBB204_634
; %bb.627:                              ;   in Loop: Header=BB204_15 Depth=1
	v_bfrev_b32_e32 v35, 1
	v_mov_b32_e32 v36, 0
	v_cmp_ne_u16_sdwa s5, v34, v18 src0_sel:BYTE_0 src1_sel:DWORD
	s_and_saveexec_b32 s19, s5
	s_cbranch_execz .LBB204_633
; %bb.628:                              ;   in Loop: Header=BB204_15 Depth=1
	v_mov_b32_e32 v35, 0x7f800001
	v_and_b32_e32 v16, 0x7f, v34
	v_mov_b32_e32 v36, 0
	s_mov_b32 s20, exec_lo
	v_cmpx_ne_u32_e32 0x7f, v16
	s_cbranch_execz .LBB204_632
; %bb.629:                              ;   in Loop: Header=BB204_15 Depth=1
	v_and_b32_e32 v24, 7, v34
	v_lshrrev_b32_e32 v4, 3, v16
	s_mov_b32 s21, exec_lo
	v_cmpx_gt_u32_e32 8, v16
; %bb.630:                              ;   in Loop: Header=BB204_15 Depth=1
	v_ffbh_u32_e32 v4, v24
	v_min_u32_e32 v4, 32, v4
	v_subrev_nc_u32_e32 v16, 28, v4
	v_sub_nc_u32_e32 v4, 29, v4
	v_lshlrev_b64 v[16:17], v16, v[24:25]
	v_and_b32_e32 v24, 7, v16
; %bb.631:                              ;   in Loop: Header=BB204_15 Depth=1
	s_or_b32 exec_lo, exec_lo, s21
	v_lshlrev_b32_e32 v16, 24, v34
	v_lshlrev_b32_e32 v17, 20, v24
	v_lshl_add_u32 v4, v4, 23, 0x3c000000
	v_and_b32_e32 v16, 0x80000000, v16
	v_or3_b32 v24, v17, v16, v4
	v_mov_b32_e32 v36, v25
	v_mov_b32_e32 v35, v24
.LBB204_632:                            ;   in Loop: Header=BB204_15 Depth=1
	s_or_b32 exec_lo, exec_lo, s20
.LBB204_633:                            ;   in Loop: Header=BB204_15 Depth=1
	s_or_b32 exec_lo, exec_lo, s19
.LBB204_634:                            ;   in Loop: Header=BB204_15 Depth=1
	s_or_b32 exec_lo, exec_lo, s18
	v_cmp_ne_u16_sdwa s5, v34, v25 src0_sel:BYTE_1 src1_sel:DWORD
	s_and_saveexec_b32 s18, s5
	s_cbranch_execz .LBB204_642
; %bb.635:                              ;   in Loop: Header=BB204_15 Depth=1
	v_mov_b32_e32 v31, v25
	v_cmp_ne_u16_sdwa s5, v34, v18 src0_sel:BYTE_1 src1_sel:DWORD
	v_mov_b32_e32 v14, v31
	v_mov_b32_e32 v15, v32
	s_and_saveexec_b32 s19, s5
	s_cbranch_execz .LBB204_641
; %bb.636:                              ;   in Loop: Header=BB204_15 Depth=1
	v_mov_b32_e32 v4, 0xffff
	s_mov_b32 s20, exec_lo
	v_and_b32_sdwa v17, v4, v34 dst_sel:DWORD dst_unused:UNUSED_PAD src0_sel:DWORD src1_sel:BYTE_1
	v_mov_b32_e32 v4, v25
	v_mov_b32_e32 v15, v5
	v_and_b32_e32 v16, 0x7f, v17
	v_mov_b32_e32 v14, v4
	v_cmpx_ne_u32_e32 0x7f, v16
	s_cbranch_execz .LBB204_640
; %bb.637:                              ;   in Loop: Header=BB204_15 Depth=1
	v_and_b32_e32 v24, 7, v17
	v_lshrrev_b32_e32 v4, 3, v16
	s_mov_b32 s21, exec_lo
	v_cmpx_gt_u32_e32 8, v16
; %bb.638:                              ;   in Loop: Header=BB204_15 Depth=1
	v_ffbh_u32_e32 v4, v24
	v_min_u32_e32 v4, 32, v4
	v_subrev_nc_u32_e32 v14, 28, v4
	v_sub_nc_u32_e32 v4, 29, v4
	v_lshlrev_b64 v[14:15], v14, v[24:25]
	v_and_b32_e32 v24, 7, v14
; %bb.639:                              ;   in Loop: Header=BB204_15 Depth=1
	s_or_b32 exec_lo, exec_lo, s21
	v_lshlrev_b32_e32 v14, 16, v34
	v_lshlrev_b32_e32 v15, 20, v24
	v_lshl_add_u32 v4, v4, 23, 0x3c000000
	v_and_b32_e32 v14, 0x80000000, v14
	v_or3_b32 v15, v15, v14, v4
	v_mov_b32_e32 v14, v25
.LBB204_640:                            ;   in Loop: Header=BB204_15 Depth=1
	s_or_b32 exec_lo, exec_lo, s20
.LBB204_641:                            ;   in Loop: Header=BB204_15 Depth=1
	s_or_b32 exec_lo, exec_lo, s19
.LBB204_642:                            ;   in Loop: Header=BB204_15 Depth=1
	s_or_b32 exec_lo, exec_lo, s18
	v_mov_b32_e32 v76, 0
	v_mov_b32_e32 v16, 0
	v_and_b32_sdwa v4, v34, v37 dst_sel:DWORD dst_unused:UNUSED_PAD src0_sel:WORD_1 src1_sel:DWORD
	v_mov_b32_e32 v77, 0
	v_mov_b32_e32 v17, 0
	s_mov_b32 s18, exec_lo
	v_cmpx_ne_u16_e32 0, v4
	s_cbranch_execz .LBB204_650
; %bb.643:                              ;   in Loop: Header=BB204_15 Depth=1
	v_bfrev_b32_e32 v16, 1
	v_mov_b32_e32 v17, 0
	s_mov_b32 s19, exec_lo
	v_cmpx_ne_u16_e32 0x80, v4
	s_cbranch_execz .LBB204_649
; %bb.644:                              ;   in Loop: Header=BB204_15 Depth=1
	v_mov_b32_e32 v16, 0x7f800001
	v_bfe_u32 v31, v34, 16, 7
	v_mov_b32_e32 v17, 0
	s_mov_b32 s20, exec_lo
	v_cmpx_ne_u32_e32 0x7f, v31
	s_cbranch_execz .LBB204_648
; %bb.645:                              ;   in Loop: Header=BB204_15 Depth=1
	v_mov_b32_e32 v4, 7
	s_mov_b32 s21, exec_lo
	v_and_b32_sdwa v24, v34, v4 dst_sel:DWORD dst_unused:UNUSED_PAD src0_sel:WORD_1 src1_sel:DWORD
	v_lshrrev_b32_e32 v4, 3, v31
	v_cmpx_gt_u32_e32 8, v31
; %bb.646:                              ;   in Loop: Header=BB204_15 Depth=1
	v_ffbh_u32_e32 v4, v24
	v_min_u32_e32 v4, 32, v4
	v_subrev_nc_u32_e32 v16, 28, v4
	v_sub_nc_u32_e32 v4, 29, v4
	v_lshlrev_b64 v[16:17], v16, v[24:25]
	v_and_b32_e32 v24, 7, v16
; %bb.647:                              ;   in Loop: Header=BB204_15 Depth=1
	s_or_b32 exec_lo, exec_lo, s21
	v_mov_b32_e32 v16, 24
	v_lshlrev_b32_e32 v17, 20, v24
	v_lshl_add_u32 v4, v4, 23, 0x3c000000
	v_lshlrev_b32_sdwa v16, v16, v34 dst_sel:DWORD dst_unused:UNUSED_PAD src0_sel:DWORD src1_sel:WORD_1
	v_and_b32_e32 v16, 0x80000000, v16
	v_or3_b32 v24, v17, v16, v4
	v_mov_b32_e32 v16, v24
	v_mov_b32_e32 v17, v25
.LBB204_648:                            ;   in Loop: Header=BB204_15 Depth=1
	s_or_b32 exec_lo, exec_lo, s20
.LBB204_649:                            ;   in Loop: Header=BB204_15 Depth=1
	s_or_b32 exec_lo, exec_lo, s19
.LBB204_650:                            ;   in Loop: Header=BB204_15 Depth=1
	s_or_b32 exec_lo, exec_lo, s18
	s_mov_b32 s18, exec_lo
	v_cmpx_lt_u32_e32 0xffffff, v34
	s_cbranch_execz .LBB204_13
; %bb.651:                              ;   in Loop: Header=BB204_15 Depth=1
	v_mov_b32_e32 v31, v25
	v_mov_b32_e32 v77, v32
	v_cmp_ne_u32_sdwa s5, v34, v18 src0_sel:BYTE_3 src1_sel:DWORD
	v_mov_b32_e32 v76, v31
	s_and_saveexec_b32 s19, s5
	s_cbranch_execz .LBB204_12
; %bb.652:                              ;   in Loop: Header=BB204_15 Depth=1
	v_mov_b32_e32 v4, v25
	v_mov_b32_e32 v77, v5
	v_bfe_u32 v31, v34, 24, 7
	s_mov_b32 s20, exec_lo
	v_mov_b32_e32 v76, v4
	v_cmpx_ne_u32_e32 0x7f, v31
	s_cbranch_execz .LBB204_11
; %bb.653:                              ;   in Loop: Header=BB204_15 Depth=1
	v_mov_b32_e32 v4, 7
	s_mov_b32 s21, exec_lo
	v_and_b32_sdwa v24, v34, v4 dst_sel:DWORD dst_unused:UNUSED_PAD src0_sel:BYTE_3 src1_sel:DWORD
	v_lshrrev_b32_e32 v4, 3, v31
	v_cmpx_gt_u32_e32 8, v31
	s_cbranch_execz .LBB204_10
; %bb.654:                              ;   in Loop: Header=BB204_15 Depth=1
	v_ffbh_u32_e32 v4, v24
	v_min_u32_e32 v4, 32, v4
	v_subrev_nc_u32_e32 v31, 28, v4
	v_sub_nc_u32_e32 v4, 29, v4
	v_lshlrev_b64 v[76:77], v31, v[24:25]
	v_and_b32_e32 v24, 7, v76
	s_branch .LBB204_10
.LBB204_655:
	s_or_b32 exec_lo, exec_lo, s17
	s_clause 0xc
	buffer_load_dword v13, off, s[0:3], s32 offset:796
	buffer_load_dword v11, off, s[0:3], s32 offset:808
	;; [unrolled: 1-line block ×13, first 2 shown]
.LBB204_656:
	s_or_b32 exec_lo, exec_lo, s13
	v_mbcnt_lo_u32_b32 v0, -1, 0
	v_max_f32_e32 v4, v24, v24
	s_waitcnt lgkmcnt(0)
	s_lshr_b32 s13, s7, 16
	v_xor_b32_e32 v1, 16, v0
	v_xor_b32_e32 v3, 8, v0
	v_cmp_gt_i32_e32 vcc_lo, 32, v1
	v_cndmask_b32_e32 v1, v0, v1, vcc_lo
	v_cmp_gt_i32_e32 vcc_lo, 32, v3
	v_lshlrev_b32_e32 v1, 2, v1
	v_cndmask_b32_e32 v3, v0, v3, vcc_lo
	ds_bpermute_b32 v2, v1, v24
	s_waitcnt lgkmcnt(0)
	v_max_f32_e32 v5, v2, v2
	v_lshlrev_b32_e32 v2, 2, v3
	v_max_f32_e32 v3, v4, v5
	v_xor_b32_e32 v5, 4, v0
	ds_bpermute_b32 v4, v2, v3
	v_cmp_gt_i32_e32 vcc_lo, 32, v5
	v_cndmask_b32_e32 v5, v0, v5, vcc_lo
	v_lshlrev_b32_e32 v27, 2, v5
	v_xor_b32_e32 v5, 2, v0
	v_cmp_gt_i32_e32 vcc_lo, 32, v5
	s_waitcnt lgkmcnt(0)
	v_max_f32_e32 v4, v4, v4
	v_cndmask_b32_e32 v5, v0, v5, vcc_lo
	v_max_f32_e32 v3, v3, v4
	v_lshlrev_b32_e32 v25, 2, v5
	v_xor_b32_e32 v5, 1, v0
	ds_bpermute_b32 v4, v27, v3
	v_cmp_gt_i32_e32 vcc_lo, 32, v5
	v_cndmask_b32_e32 v5, v0, v5, vcc_lo
	v_lshlrev_b32_e32 v24, 2, v5
	s_waitcnt lgkmcnt(0)
	v_max_f32_e32 v4, v4, v4
	v_max_f32_e32 v3, v3, v4
	ds_bpermute_b32 v4, v25, v3
	s_waitcnt lgkmcnt(0)
	v_max_f32_e32 v4, v4, v4
	v_max_f32_e32 v0, v3, v4
	buffer_load_dword v3, off, s[0:3], s32 offset:432 ; 4-byte Folded Reload
	ds_bpermute_b32 v4, v24, v0
	s_waitcnt vmcnt(0)
	v_cmp_eq_u32_e32 vcc_lo, 0, v3
	buffer_load_dword v3, off, s[0:3], s32 offset:792 ; 4-byte Folded Reload
	s_waitcnt vmcnt(0)
	v_lshlrev_b32_e32 v3, 2, v3
	s_and_saveexec_b32 s5, vcc_lo
	s_cbranch_execz .LBB204_658
; %bb.657:
	s_waitcnt lgkmcnt(0)
	v_max_f32_e32 v4, v4, v4
	v_max_f32_e32 v0, v0, v0
	;; [unrolled: 1-line block ×3, first 2 shown]
	ds_write_b32 v3, v0 offset:320
.LBB204_658:
	s_or_b32 exec_lo, exec_lo, s5
	buffer_load_dword v0, off, s[0:3], s32 offset:432 ; 4-byte Folded Reload
	s_waitcnt vmcnt(0) lgkmcnt(0)
	s_waitcnt_vscnt null, 0x0
	s_barrier
	buffer_gl0_inv
	v_cmp_gt_u32_e64 s5, 4, v0
	v_mov_b32_e32 v0, 0xff7fffff
	s_and_saveexec_b32 s6, s5
; %bb.659:
	ds_read_b32 v0, v22 offset:320
; %bb.660:
	s_or_b32 exec_lo, exec_lo, s6
	s_waitcnt lgkmcnt(0)
	ds_bpermute_b32 v4, v25, v0
	v_max_f32_e32 v0, v0, v0
	s_waitcnt lgkmcnt(0)
	v_max_f32_e32 v4, v4, v4
	v_max_f32_e32 v0, v0, v4
	ds_bpermute_b32 v4, v24, v0
	s_waitcnt lgkmcnt(0)
	v_max_f32_e32 v4, v4, v4
	v_max_f32_e32 v0, v0, v4
	v_mov_b32_e32 v4, 0
	ds_bpermute_b32 v5, v4, v0
	buffer_load_dword v0, off, s[0:3], s32 offset:192 ; 4-byte Folded Reload
	s_waitcnt vmcnt(0)
	v_lshlrev_b32_e32 v0, 5, v0
	v_min_i32_e32 v0, v0, v47
	v_cmp_lt_i32_e64 s6, v13, v0
	s_and_saveexec_b32 s15, s6
	s_cbranch_execz .LBB204_664
; %bb.661:
	s_load_dword s7, s[8:9], 0x0
	v_mov_b32_e32 v4, 0
	v_mov_b32_e32 v7, v13
	s_mov_b32 s17, 0
	s_waitcnt lgkmcnt(0)
	v_lshl_add_u32 v6, v13, 2, s7
	.p2align	6
.LBB204_662:                            ; =>This Inner Loop Header: Depth=1
	ds_read_b32 v8, v6
	v_add_nc_u32_e32 v7, 0x80, v7
	v_cmp_ge_i32_e64 s7, v7, v0
	s_or_b32 s17, s7, s17
	s_waitcnt lgkmcnt(0)
	v_sub_f32_e32 v8, v8, v5
	v_mul_f32_e32 v8, 0x3fb8aa3b, v8
	v_exp_f32_e32 v8, v8
	ds_write_b32 v6, v8
	v_add_f32_e32 v4, v4, v8
	v_add_nc_u32_e32 v6, 0x200, v6
	s_andn2_b32 exec_lo, exec_lo, s17
	s_cbranch_execnz .LBB204_662
; %bb.663:
	s_or_b32 exec_lo, exec_lo, s17
.LBB204_664:
	s_or_b32 exec_lo, exec_lo, s15
	ds_bpermute_b32 v1, v1, v4
	s_waitcnt lgkmcnt(0)
	v_add_f32_e32 v1, v4, v1
	ds_bpermute_b32 v2, v2, v1
	s_waitcnt lgkmcnt(0)
	v_add_f32_e32 v1, v1, v2
	;; [unrolled: 3-line block ×5, first 2 shown]
	s_and_saveexec_b32 s7, vcc_lo
; %bb.665:
	ds_write_b32 v3, v1 offset:336
; %bb.666:
	s_or_b32 exec_lo, exec_lo, s7
	s_waitcnt lgkmcnt(0)
	s_barrier
	buffer_gl0_inv
	s_and_saveexec_b32 s7, s5
; %bb.667:
	ds_read_b32 v1, v22 offset:336
; %bb.668:
	s_or_b32 exec_lo, exec_lo, s7
	s_waitcnt lgkmcnt(0)
	ds_bpermute_b32 v2, v25, v1
	s_waitcnt lgkmcnt(0)
	v_add_f32_e32 v1, v1, v2
	ds_bpermute_b32 v2, v24, v1
	s_waitcnt lgkmcnt(0)
	v_add_f32_e32 v1, v1, v2
	v_mov_b32_e32 v2, 0
	ds_bpermute_b32 v1, v2, v1
	s_and_saveexec_b32 s5, s6
	s_cbranch_execz .LBB204_671
; %bb.669:
	s_waitcnt lgkmcnt(0)
	v_add_f32_e32 v2, 0x358637bd, v1
	s_load_dword s6, s[8:9], 0x0
	v_div_scale_f32 v1, null, v2, v2, 1.0
	v_div_scale_f32 v5, vcc_lo, 1.0, v2, 1.0
	v_rcp_f32_e32 v3, v1
	v_fma_f32 v4, -v1, v3, 1.0
	v_fmac_f32_e32 v3, v4, v3
	v_mul_f32_e32 v4, v5, v3
	v_fma_f32 v6, -v1, v4, v5
	v_fmac_f32_e32 v4, v6, v3
	v_fma_f32 v1, -v1, v4, v5
	v_div_fmas_f32 v3, v1, v3, v4
	s_waitcnt lgkmcnt(0)
	v_lshl_add_u32 v1, v13, 2, s6
	s_mov_b32 s6, 0
	v_div_fixup_f32 v2, v3, v2, 1.0
	v_mov_b32_e32 v3, v13
.LBB204_670:                            ; =>This Inner Loop Header: Depth=1
	ds_read_b32 v4, v1
	v_add_nc_u32_e32 v3, 0x80, v3
	v_cmp_ge_i32_e32 vcc_lo, v3, v0
	s_or_b32 s6, vcc_lo, s6
	s_waitcnt lgkmcnt(0)
	v_mul_f32_e32 v4, v2, v4
	ds_write_b32 v1, v4
	v_add_nc_u32_e32 v1, 0x200, v1
	s_andn2_b32 exec_lo, exec_lo, s6
	s_cbranch_execnz .LBB204_670
.LBB204_671:
	s_or_b32 exec_lo, exec_lo, s5
	v_mov_b32_e32 v55, 0
	v_and_b32_e32 v66, 7, v13
	v_mov_b32_e32 v64, 0
	v_mov_b32_e32 v54, 0
	;; [unrolled: 1-line block ×19, first 2 shown]
	s_waitcnt lgkmcnt(0)
	s_barrier
	buffer_gl0_inv
	s_and_saveexec_b32 s5, s4
	s_cbranch_execz .LBB204_1357
; %bb.672:
	s_clause 0x1
	buffer_load_dword v0, off, s[0:3], s32 offset:796
	buffer_load_dword v82, off, s[0:3], s32 offset:792
	v_max_i32_e32 v65, v26, v17
	v_mov_b32_e32 v6, 0
	v_mov_b32_e32 v8, 0
	v_lshlrev_b32_e32 v4, 4, v66
	v_and_b32_e32 v5, 0x7c, v12
	v_cvt_f32_u32_e32 v1, v65
	buffer_store_dword v6, off, s[0:3], s32 offset:220 ; 4-byte Folded Spill
	v_mov_b32_e32 v6, 0
	buffer_store_dword v8, off, s[0:3], s32 offset:244 ; 4-byte Folded Spill
	v_mov_b32_e32 v8, 0
	v_rcp_iflag_f32_e32 v1, v1
	v_add_co_u32 v2, vcc_lo, v21, v19
	buffer_store_dword v6, off, s[0:3], s32 offset:228 ; 4-byte Folded Spill
	v_mov_b32_e32 v6, 0
	buffer_store_dword v8, off, s[0:3], s32 offset:252 ; 4-byte Folded Spill
	v_mov_b32_e32 v8, 0
	v_add_co_ci_u32_e64 v3, null, v20, v18, vcc_lo
	buffer_store_dword v6, off, s[0:3], s32 offset:236 ; 4-byte Folded Spill
	v_mul_f32_e32 v1, 0x4f7ffffe, v1
	v_sub_nc_u32_e32 v6, 0, v65
	buffer_store_dword v8, off, s[0:3], s32 offset:260 ; 4-byte Folded Spill
	v_mov_b32_e32 v8, 0
	v_mov_b32_e32 v7, 0
	v_cvt_u32_f32_e32 v1, v1
	buffer_store_dword v66, off, s[0:3], s32 offset:300 ; 4-byte Folded Spill
	v_mov_b32_e32 v66, 0x80
	buffer_store_dword v8, off, s[0:3], s32 offset:268 ; 4-byte Folded Spill
	v_bfrev_b32_e32 v9, 1
	v_mul_lo_u32 v6, v6, v1
	v_mov_b32_e32 v67, 0xffff
	v_mov_b32_e32 v12, 0x7f800001
	v_mov_b32_e32 v68, 0xff
	v_mov_b32_e32 v69, 7
	v_mov_b32_e32 v70, 24
	v_mov_b32_e32 v36, 0
	v_mov_b32_e32 v37, 0
	v_mul_hi_u32 v6, v1, v6
	v_mov_b32_e32 v38, 0
	v_mov_b32_e32 v39, 0
	;; [unrolled: 1-line block ×11, first 2 shown]
	s_mov_b32 s6, 0
	s_waitcnt vmcnt(1)
	v_lshlrev_b32_e32 v0, 2, v0
	s_waitcnt vmcnt(0)
	v_lshl_or_b32 v80, v82, 7, v4
	v_add_co_u32 v4, vcc_lo, v5, v15
	v_add_co_ci_u32_e64 v5, null, 0, v16, vcc_lo
	v_and_b32_e32 v8, 28, v0
	v_and_b32_e32 v0, 0x7c, v0
	buffer_store_dword v8, off, s[0:3], s32 offset:284 ; 4-byte Folded Spill
	v_add_co_u32 v2, vcc_lo, v2, v0
	v_add_co_ci_u32_e64 v3, null, 0, v3, vcc_lo
	v_add_co_u32 v19, vcc_lo, v10, v4
	v_add_co_ci_u32_e64 v20, null, v11, v5, vcc_lo
	v_add_nc_u32_e32 v0, v1, v6
	buffer_store_dword v2, off, s[0:3], s32 offset:292 ; 4-byte Folded Spill
	buffer_store_dword v3, off, s[0:3], s32 offset:296 ; 4-byte Folded Spill
	;; [unrolled: 1-line block ×3, first 2 shown]
	s_branch .LBB204_675
.LBB204_673:                            ;   in Loop: Header=BB204_675 Depth=1
	s_or_b32 exec_lo, exec_lo, s4
	v_mul_f32_e32 v15, v3, v81
	v_mul_f32_e32 v10, v3, v34
	;; [unrolled: 1-line block ×4, first 2 shown]
	v_fmac_f32_e32 v15, v2, v14
	v_fmac_f32_e32 v10, v2, v33
	;; [unrolled: 1-line block ×3, first 2 shown]
	v_mul_f32_e32 v14, v3, v28
	v_fmac_f32_e32 v16, v2, v123
	v_fmac_f32_e32 v15, v4, v13
	buffer_load_dword v13, off, s[0:3], s32 offset:220 ; 4-byte Folded Reload
	v_fmac_f32_e32 v10, v4, v22
	v_fmac_f32_e32 v11, v4, v30
	;; [unrolled: 1-line block ×10, first 2 shown]
	s_waitcnt vmcnt(0)
	v_add_f32_e32 v13, v13, v10
	buffer_load_dword v10, off, s[0:3], s32 offset:228 ; 4-byte Folded Reload
	buffer_store_dword v13, off, s[0:3], s32 offset:220 ; 4-byte Folded Spill
	v_mul_f32_e32 v13, v3, v104
	v_fmac_f32_e32 v13, v2, v95
	v_fmac_f32_e32 v13, v4, v94
	v_fmac_f32_e32 v13, v5, v93
	v_add_f32_e32 v37, v37, v13
	v_mul_f32_e32 v13, v3, v60
	v_fmac_f32_e32 v13, v2, v59
	v_fmac_f32_e32 v13, v4, v58
	v_fmac_f32_e32 v13, v5, v57
	v_add_f32_e32 v50, v50, v13
	v_mul_f32_e32 v13, v3, v103
	v_fmac_f32_e32 v13, v2, v102
	v_fmac_f32_e32 v13, v4, v101
	v_fmac_f32_e32 v13, v5, v100
	v_add_f32_e32 v64, v64, v13
	s_waitcnt vmcnt(0)
	v_add_f32_e32 v10, v10, v11
	v_mul_f32_e32 v11, v3, v108
	buffer_store_dword v10, off, s[0:3], s32 offset:228 ; 4-byte Folded Spill
	buffer_load_dword v10, off, s[0:3], s32 offset:236 ; 4-byte Folded Reload
	v_fmac_f32_e32 v11, v2, v107
	v_fmac_f32_e32 v11, v4, v106
	;; [unrolled: 1-line block ×3, first 2 shown]
	s_waitcnt vmcnt(0)
	v_add_f32_e32 v10, v10, v15
	v_mul_f32_e32 v15, v3, v88
	buffer_store_dword v10, off, s[0:3], s32 offset:236 ; 4-byte Folded Spill
	buffer_load_dword v10, off, s[0:3], s32 offset:244 ; 4-byte Folded Reload
	v_fmac_f32_e32 v15, v2, v79
	v_fmac_f32_e32 v15, v4, v78
	;; [unrolled: 1-line block ×3, first 2 shown]
	v_add_f32_e32 v39, v39, v15
	v_mul_f32_e32 v15, v3, v43
	v_fmac_f32_e32 v15, v2, v42
	v_fmac_f32_e32 v15, v4, v41
	;; [unrolled: 1-line block ×3, first 2 shown]
	v_add_f32_e32 v52, v52, v15
	s_waitcnt vmcnt(0)
	v_add_f32_e32 v10, v10, v14
	v_mul_f32_e32 v14, v3, v92
	buffer_store_dword v10, off, s[0:3], s32 offset:244 ; 4-byte Folded Spill
	buffer_load_dword v10, off, s[0:3], s32 offset:252 ; 4-byte Folded Reload
	v_fmac_f32_e32 v14, v2, v91
	v_fmac_f32_e32 v14, v4, v90
	v_fmac_f32_e32 v14, v5, v89
	v_add_f32_e32 v38, v38, v14
	v_mul_f32_e32 v14, v3, v56
	v_fmac_f32_e32 v14, v2, v46
	v_fmac_f32_e32 v14, v4, v45
	v_fmac_f32_e32 v14, v5, v44
	v_add_f32_e32 v51, v51, v14
	v_mul_f32_e32 v14, v3, v87
	v_fmac_f32_e32 v14, v2, v86
	v_fmac_f32_e32 v14, v4, v85
	v_fmac_f32_e32 v14, v5, v84
	v_add_f32_e32 v55, v55, v14
	s_waitcnt vmcnt(0)
	v_add_f32_e32 v10, v10, v16
	buffer_load_dword v16, off, s[0:3], s32 offset:260 ; 4-byte Folded Reload
	buffer_store_dword v10, off, s[0:3], s32 offset:252 ; 4-byte Folded Spill
	v_mul_f32_e32 v10, v3, v120
	v_fmac_f32_e32 v10, v2, v111
	v_fmac_f32_e32 v10, v4, v110
	;; [unrolled: 1-line block ×3, first 2 shown]
	s_waitcnt vmcnt(0)
	v_add_f32_e32 v16, v16, v10
	buffer_load_dword v10, off, s[0:3], s32 offset:268 ; 4-byte Folded Reload
	buffer_store_dword v16, off, s[0:3], s32 offset:260 ; 4-byte Folded Spill
	s_waitcnt vmcnt(0)
	v_add_f32_e32 v10, v10, v11
	v_mul_f32_e32 v11, v3, v72
	buffer_store_dword v10, off, s[0:3], s32 offset:268 ; 4-byte Folded Spill
	v_mul_f32_e32 v10, v3, v76
	v_fmac_f32_e32 v11, v2, v63
	v_fmac_f32_e32 v10, v2, v75
	v_fmac_f32_e32 v11, v4, v62
	v_fmac_f32_e32 v10, v4, v74
	v_fmac_f32_e32 v11, v5, v61
	v_fmac_f32_e32 v10, v5, v73
	v_add_f32_e32 v49, v49, v11
	v_mul_f32_e32 v11, v3, v115
	v_add_f32_e32 v48, v48, v10
	v_mul_f32_e32 v10, v3, v119
	v_mul_f32_e32 v3, v3, v8
	v_fmac_f32_e32 v11, v2, v114
	v_fmac_f32_e32 v10, v2, v118
	;; [unrolled: 1-line block ×9, first 2 shown]
	v_add_f32_e32 v54, v54, v11
	v_add_f32_e32 v53, v53, v10
	;; [unrolled: 1-line block ×3, first 2 shown]
.LBB204_674:                            ;   in Loop: Header=BB204_675 Depth=1
	s_or_b32 exec_lo, exec_lo, s7
	buffer_load_dword v0, off, s[0:3], s32 offset:192 ; 4-byte Folded Reload
	v_add_nc_u32_e32 v82, 4, v82
	v_add_co_u32 v19, s4, v19, 16
	v_add_nc_u32_e32 v23, 0x80, v23
	v_add_nc_u32_e32 v80, 0x200, v80
	v_add_co_ci_u32_e64 v20, null, 0, v20, s4
	s_waitcnt vmcnt(0)
	v_cmp_ge_i32_e32 vcc_lo, v82, v0
	s_or_b32 s6, vcc_lo, s6
	s_andn2_b32 exec_lo, exec_lo, s6
	s_cbranch_execz .LBB204_1356
.LBB204_675:                            ; =>This Inner Loop Header: Depth=1
	s_clause 0x1
	buffer_load_dword v0, off, s[0:3], s32 offset:212
	buffer_load_dword v4, off, s[0:3], s32 offset:208
	s_waitcnt vmcnt(1)
	v_mul_hi_u32 v0, v23, v0
	s_waitcnt vmcnt(0)
	v_mul_lo_u32 v1, v0, v4
	v_add_nc_u32_e32 v2, 1, v0
	v_sub_nc_u32_e32 v1, v23, v1
	v_sub_nc_u32_e32 v3, v1, v4
	v_cmp_ge_u32_e32 vcc_lo, v1, v4
	v_cndmask_b32_e32 v1, v1, v3, vcc_lo
	v_cndmask_b32_e32 v0, v0, v2, vcc_lo
	v_cmp_ge_u32_e32 vcc_lo, v1, v4
	buffer_load_dword v1, off, s[0:3], s32 offset:204 ; 4-byte Folded Reload
	v_add_nc_u32_e32 v2, 1, v0
	v_cndmask_b32_e32 v0, v0, v2, vcc_lo
	s_waitcnt vmcnt(0)
	v_xor_b32_e32 v0, v0, v1
	v_sub_nc_u32_e32 v0, v0, v1
	s_clause 0x2
	buffer_load_dword v1, off, s[0:3], s32 offset:196
	buffer_load_dword v2, off, s[0:3], s32 offset:200
	;; [unrolled: 1-line block ×3, first 2 shown]
	s_waitcnt vmcnt(2)
	v_add_nc_u32_e32 v1, v0, v1
	s_waitcnt vmcnt(1)
	v_sub_nc_u32_e32 v2, 0, v1
	v_max_i32_e32 v2, v1, v2
	v_ashrrev_i32_e32 v1, 31, v1
	s_waitcnt vmcnt(0)
	v_mul_hi_u32 v3, v2, v3
	v_mul_lo_u32 v3, v3, v65
	v_sub_nc_u32_e32 v2, v2, v3
	v_sub_nc_u32_e32 v3, v2, v65
	v_cmp_ge_u32_e32 vcc_lo, v2, v65
	v_cndmask_b32_e32 v2, v2, v3, vcc_lo
	v_sub_nc_u32_e32 v3, v2, v65
	v_cmp_ge_u32_e32 vcc_lo, v2, v65
	v_cndmask_b32_e32 v2, v2, v3, vcc_lo
	v_xor_b32_e32 v2, v2, v1
	v_sub_nc_u32_e32 v1, v2, v1
	v_cmp_eq_u32_e32 vcc_lo, 0, v1
	buffer_load_dword v1, off, s[0:3], s32 offset:216 ; 4-byte Folded Reload
	s_waitcnt vmcnt(0)
	v_cmp_gt_i32_e64 s4, v0, v1
	s_or_b32 s4, vcc_lo, s4
	s_and_saveexec_b32 s7, s4
	s_cbranch_execz .LBB204_674
; %bb.676:                              ;   in Loop: Header=BB204_675 Depth=1
	flat_load_dword v0, v[19:20]
	s_clause 0x2
	buffer_load_dword v1, off, s[0:3], s32 offset:420
	buffer_load_dword v2, off, s[0:3], s32 offset:292
	;; [unrolled: 1-line block ×3, first 2 shown]
	v_mov_b32_e32 v17, 0
	v_mov_b32_e32 v15, 0
	;; [unrolled: 1-line block ×4, first 2 shown]
	s_waitcnt vmcnt(0) lgkmcnt(0)
	v_mad_i64_i32 v[0:1], null, v0, v1, v[2:3]
	flat_load_dword v13, v[0:1]
	s_clause 0x1
	buffer_load_dword v2, off, s[0:3], s32 offset:440
	buffer_load_dword v3, off, s[0:3], s32 offset:444
	s_load_dword s4, s[8:9], 0x0
	s_waitcnt vmcnt(2) lgkmcnt(0)
	v_cmp_ne_u16_sdwa s15, v13, v7 src0_sel:BYTE_0 src1_sel:DWORD
	s_waitcnt vmcnt(0)
	flat_load_dword v83, v[2:3]
	v_add_nc_u32_e32 v2, s4, v80
	ds_read_b128 v[2:5], v2
	s_and_saveexec_b32 s4, s15
	s_cbranch_execz .LBB204_684
; %bb.677:                              ;   in Loop: Header=BB204_675 Depth=1
	v_bfrev_b32_e32 v15, 1
	v_mov_b32_e32 v16, 0
	v_cmp_ne_u16_sdwa s17, v13, v66 src0_sel:BYTE_0 src1_sel:DWORD
	s_and_saveexec_b32 s15, s17
	s_cbranch_execz .LBB204_683
; %bb.678:                              ;   in Loop: Header=BB204_675 Depth=1
	v_mov_b32_e32 v15, 0x7f800001
	v_and_b32_e32 v10, 0x7f, v13
	v_mov_b32_e32 v16, 0
	s_mov_b32 s17, exec_lo
	v_cmpx_ne_u32_e32 0x7f, v10
	s_cbranch_execz .LBB204_682
; %bb.679:                              ;   in Loop: Header=BB204_675 Depth=1
	v_and_b32_e32 v6, 7, v13
	v_lshrrev_b32_e32 v8, 3, v10
	s_mov_b32 s18, exec_lo
	v_cmpx_gt_u32_e32 8, v10
; %bb.680:                              ;   in Loop: Header=BB204_675 Depth=1
	v_ffbh_u32_e32 v8, v6
	v_min_u32_e32 v8, 32, v8
	v_subrev_nc_u32_e32 v10, 28, v8
	v_sub_nc_u32_e32 v8, 29, v8
	v_lshlrev_b64 v[10:11], v10, v[6:7]
	v_and_b32_e32 v6, 7, v10
; %bb.681:                              ;   in Loop: Header=BB204_675 Depth=1
	s_or_b32 exec_lo, exec_lo, s18
	v_lshlrev_b32_e32 v10, 24, v13
	v_lshlrev_b32_e32 v6, 20, v6
	v_lshl_add_u32 v8, v8, 23, 0x3c000000
	v_and_b32_e32 v10, 0x80000000, v10
	v_or3_b32 v6, v6, v10, v8
	v_mov_b32_e32 v16, v7
	v_mov_b32_e32 v15, v6
.LBB204_682:                            ;   in Loop: Header=BB204_675 Depth=1
	s_or_b32 exec_lo, exec_lo, s17
.LBB204_683:                            ;   in Loop: Header=BB204_675 Depth=1
	s_or_b32 exec_lo, exec_lo, s15
.LBB204_684:                            ;   in Loop: Header=BB204_675 Depth=1
	s_or_b32 exec_lo, exec_lo, s4
	v_cmp_ne_u16_sdwa s15, v13, v7 src0_sel:BYTE_1 src1_sel:DWORD
	s_and_saveexec_b32 s4, s15
	s_cbranch_execz .LBB204_692
; %bb.685:                              ;   in Loop: Header=BB204_675 Depth=1
	v_mov_b32_e32 v8, v7
	v_mov_b32_e32 v18, v9
	v_cmp_ne_u16_sdwa s17, v13, v66 src0_sel:BYTE_1 src1_sel:DWORD
	v_mov_b32_e32 v17, v8
	s_and_saveexec_b32 s15, s17
	s_cbranch_execz .LBB204_691
; %bb.686:                              ;   in Loop: Header=BB204_675 Depth=1
	v_and_b32_sdwa v6, v67, v13 dst_sel:DWORD dst_unused:UNUSED_PAD src0_sel:DWORD src1_sel:BYTE_1
	v_mov_b32_e32 v11, v7
	v_mov_b32_e32 v18, v12
	s_mov_b32 s17, exec_lo
	v_and_b32_e32 v10, 0x7f, v6
	v_mov_b32_e32 v17, v11
	v_cmpx_ne_u32_e32 0x7f, v10
	s_cbranch_execz .LBB204_690
; %bb.687:                              ;   in Loop: Header=BB204_675 Depth=1
	v_and_b32_e32 v6, 7, v6
	v_lshrrev_b32_e32 v8, 3, v10
	s_mov_b32 s18, exec_lo
	v_cmpx_gt_u32_e32 8, v10
; %bb.688:                              ;   in Loop: Header=BB204_675 Depth=1
	v_ffbh_u32_e32 v8, v6
	v_min_u32_e32 v8, 32, v8
	v_subrev_nc_u32_e32 v10, 28, v8
	v_sub_nc_u32_e32 v8, 29, v8
	v_lshlrev_b64 v[10:11], v10, v[6:7]
	v_and_b32_e32 v6, 7, v10
; %bb.689:                              ;   in Loop: Header=BB204_675 Depth=1
	s_or_b32 exec_lo, exec_lo, s18
	v_lshlrev_b32_e32 v10, 16, v13
	v_lshlrev_b32_e32 v6, 20, v6
	v_lshl_add_u32 v8, v8, 23, 0x3c000000
	v_mov_b32_e32 v17, v7
	v_and_b32_e32 v10, 0x80000000, v10
	v_or3_b32 v18, v6, v10, v8
.LBB204_690:                            ;   in Loop: Header=BB204_675 Depth=1
	s_or_b32 exec_lo, exec_lo, s17
.LBB204_691:                            ;   in Loop: Header=BB204_675 Depth=1
	s_or_b32 exec_lo, exec_lo, s15
.LBB204_692:                            ;   in Loop: Header=BB204_675 Depth=1
	s_or_b32 exec_lo, exec_lo, s4
	v_mov_b32_e32 v10, 0
	v_mov_b32_e32 v21, 0
	v_and_b32_sdwa v6, v13, v68 dst_sel:DWORD dst_unused:UNUSED_PAD src0_sel:WORD_1 src1_sel:DWORD
	v_mov_b32_e32 v11, 0
	v_mov_b32_e32 v22, 0
	s_mov_b32 s4, exec_lo
	v_cmpx_ne_u16_e32 0, v6
	s_cbranch_execz .LBB204_700
; %bb.693:                              ;   in Loop: Header=BB204_675 Depth=1
	v_bfrev_b32_e32 v21, 1
	v_mov_b32_e32 v22, 0
	s_mov_b32 s15, exec_lo
	v_cmpx_ne_u16_e32 0x80, v6
	s_cbranch_execz .LBB204_699
; %bb.694:                              ;   in Loop: Header=BB204_675 Depth=1
	v_mov_b32_e32 v21, 0x7f800001
	v_bfe_u32 v14, v13, 16, 7
	v_mov_b32_e32 v22, 0
	s_mov_b32 s17, exec_lo
	v_cmpx_ne_u32_e32 0x7f, v14
	s_cbranch_execz .LBB204_698
; %bb.695:                              ;   in Loop: Header=BB204_675 Depth=1
	v_and_b32_sdwa v6, v13, v69 dst_sel:DWORD dst_unused:UNUSED_PAD src0_sel:WORD_1 src1_sel:DWORD
	v_lshrrev_b32_e32 v8, 3, v14
	s_mov_b32 s18, exec_lo
	v_cmpx_gt_u32_e32 8, v14
; %bb.696:                              ;   in Loop: Header=BB204_675 Depth=1
	v_ffbh_u32_e32 v8, v6
	v_min_u32_e32 v8, 32, v8
	v_subrev_nc_u32_e32 v14, 28, v8
	v_sub_nc_u32_e32 v8, 29, v8
	v_lshlrev_b64 v[21:22], v14, v[6:7]
	v_and_b32_e32 v6, 7, v21
; %bb.697:                              ;   in Loop: Header=BB204_675 Depth=1
	s_or_b32 exec_lo, exec_lo, s18
	v_lshlrev_b32_sdwa v14, v70, v13 dst_sel:DWORD dst_unused:UNUSED_PAD src0_sel:DWORD src1_sel:WORD_1
	v_lshlrev_b32_e32 v6, 20, v6
	v_lshl_add_u32 v8, v8, 23, 0x3c000000
	v_and_b32_e32 v14, 0x80000000, v14
	v_or3_b32 v6, v6, v14, v8
	v_mov_b32_e32 v22, v7
	v_mov_b32_e32 v21, v6
.LBB204_698:                            ;   in Loop: Header=BB204_675 Depth=1
	s_or_b32 exec_lo, exec_lo, s17
.LBB204_699:                            ;   in Loop: Header=BB204_675 Depth=1
	s_or_b32 exec_lo, exec_lo, s15
.LBB204_700:                            ;   in Loop: Header=BB204_675 Depth=1
	s_or_b32 exec_lo, exec_lo, s4
	s_mov_b32 s4, exec_lo
	v_cmpx_lt_u32_e32 0xffffff, v13
	s_cbranch_execz .LBB204_708
; %bb.701:                              ;   in Loop: Header=BB204_675 Depth=1
	v_mov_b32_e32 v8, v7
	v_mov_b32_e32 v11, v9
	v_cmp_ne_u32_sdwa s17, v13, v66 src0_sel:BYTE_3 src1_sel:DWORD
	v_mov_b32_e32 v10, v8
	s_and_saveexec_b32 s15, s17
	s_cbranch_execz .LBB204_707
; %bb.702:                              ;   in Loop: Header=BB204_675 Depth=1
	v_mov_b32_e32 v11, v7
	v_bfe_u32 v14, v13, 24, 7
	s_mov_b32 s17, exec_lo
	v_mov_b32_e32 v10, v11
	v_mov_b32_e32 v11, v12
	v_cmpx_ne_u32_e32 0x7f, v14
	s_cbranch_execz .LBB204_706
; %bb.703:                              ;   in Loop: Header=BB204_675 Depth=1
	v_and_b32_sdwa v6, v13, v69 dst_sel:DWORD dst_unused:UNUSED_PAD src0_sel:BYTE_3 src1_sel:DWORD
	v_lshrrev_b32_e32 v8, 3, v14
	s_mov_b32 s18, exec_lo
	v_cmpx_gt_u32_e32 8, v14
; %bb.704:                              ;   in Loop: Header=BB204_675 Depth=1
	v_ffbh_u32_e32 v8, v6
	v_min_u32_e32 v8, 32, v8
	v_subrev_nc_u32_e32 v10, 28, v8
	v_sub_nc_u32_e32 v8, 29, v8
	v_lshlrev_b64 v[10:11], v10, v[6:7]
	v_and_b32_e32 v6, 7, v10
; %bb.705:                              ;   in Loop: Header=BB204_675 Depth=1
	s_or_b32 exec_lo, exec_lo, s18
	v_lshlrev_b32_sdwa v10, v70, v13 dst_sel:DWORD dst_unused:UNUSED_PAD src0_sel:DWORD src1_sel:BYTE_3
	v_lshlrev_b32_e32 v6, 20, v6
	v_lshl_add_u32 v8, v8, 23, 0x3c000000
	v_and_b32_e32 v10, 0x80000000, v10
	v_or3_b32 v11, v6, v10, v8
	v_mov_b32_e32 v10, v7
.LBB204_706:                            ;   in Loop: Header=BB204_675 Depth=1
	s_or_b32 exec_lo, exec_lo, s17
.LBB204_707:                            ;   in Loop: Header=BB204_675 Depth=1
	s_or_b32 exec_lo, exec_lo, s15
.LBB204_708:                            ;   in Loop: Header=BB204_675 Depth=1
	s_or_b32 exec_lo, exec_lo, s4
	buffer_load_dword v6, off, s[0:3], s32 offset:284 ; 4-byte Folded Reload
	v_or_b32_e32 v8, v18, v16
	v_or_b32_e32 v13, v17, v15
	;; [unrolled: 1-line block ×4, first 2 shown]
	s_waitcnt vmcnt(1) lgkmcnt(1)
	v_mul_f32_e32 v87, v83, v8
	v_mul_f32_e32 v86, v83, v13
	;; [unrolled: 1-line block ×4, first 2 shown]
	s_waitcnt vmcnt(0)
	v_add_nc_u32_e32 v96, v6, v23
	buffer_load_dword v6, off, s[0:3], s32 offset:192 ; 4-byte Folded Reload
	v_add_nc_u32_e32 v99, 1, v96
	v_add_nc_u32_e32 v98, 2, v96
	;; [unrolled: 1-line block ×3, first 2 shown]
	s_waitcnt vmcnt(0)
	v_add_nc_u32_e32 v6, -1, v6
	v_cmp_eq_u32_e32 vcc_lo, v6, v82
	s_and_saveexec_b32 s15, vcc_lo
	s_cbranch_execz .LBB204_710
; %bb.709:                              ;   in Loop: Header=BB204_675 Depth=1
	v_cmp_lt_i32_e64 s4, v96, v47
	v_cndmask_b32_e64 v86, 0, v86, s4
	v_cmp_lt_i32_e64 s4, v99, v47
	v_cndmask_b32_e64 v87, 0, v87, s4
	;; [unrolled: 2-line block ×4, first 2 shown]
.LBB204_710:                            ;   in Loop: Header=BB204_675 Depth=1
	s_or_b32 exec_lo, exec_lo, s15
	flat_load_dword v13, v[0:1] offset:128
	v_mov_b32_e32 v17, 0
	v_mov_b32_e32 v15, 0
	;; [unrolled: 1-line block ×4, first 2 shown]
	s_waitcnt vmcnt(0) lgkmcnt(0)
	v_cmp_ne_u16_sdwa s4, v13, v7 src0_sel:BYTE_0 src1_sel:DWORD
	s_and_saveexec_b32 s15, s4
	s_cbranch_execz .LBB204_718
; %bb.711:                              ;   in Loop: Header=BB204_675 Depth=1
	v_bfrev_b32_e32 v15, 1
	v_mov_b32_e32 v16, 0
	v_cmp_ne_u16_sdwa s4, v13, v66 src0_sel:BYTE_0 src1_sel:DWORD
	s_and_saveexec_b32 s17, s4
	s_cbranch_execz .LBB204_717
; %bb.712:                              ;   in Loop: Header=BB204_675 Depth=1
	v_mov_b32_e32 v15, 0x7f800001
	v_and_b32_e32 v10, 0x7f, v13
	v_mov_b32_e32 v16, 0
	s_mov_b32 s18, exec_lo
	v_cmpx_ne_u32_e32 0x7f, v10
	s_cbranch_execz .LBB204_716
; %bb.713:                              ;   in Loop: Header=BB204_675 Depth=1
	v_and_b32_e32 v6, 7, v13
	v_lshrrev_b32_e32 v8, 3, v10
	s_mov_b32 s19, exec_lo
	v_cmpx_gt_u32_e32 8, v10
; %bb.714:                              ;   in Loop: Header=BB204_675 Depth=1
	v_ffbh_u32_e32 v8, v6
	v_min_u32_e32 v8, 32, v8
	v_subrev_nc_u32_e32 v10, 28, v8
	v_sub_nc_u32_e32 v8, 29, v8
	v_lshlrev_b64 v[10:11], v10, v[6:7]
	v_and_b32_e32 v6, 7, v10
; %bb.715:                              ;   in Loop: Header=BB204_675 Depth=1
	s_or_b32 exec_lo, exec_lo, s19
	v_lshlrev_b32_e32 v10, 24, v13
	v_lshlrev_b32_e32 v6, 20, v6
	v_lshl_add_u32 v8, v8, 23, 0x3c000000
	v_and_b32_e32 v10, 0x80000000, v10
	v_or3_b32 v6, v6, v10, v8
	v_mov_b32_e32 v16, v7
	v_mov_b32_e32 v15, v6
.LBB204_716:                            ;   in Loop: Header=BB204_675 Depth=1
	s_or_b32 exec_lo, exec_lo, s18
.LBB204_717:                            ;   in Loop: Header=BB204_675 Depth=1
	s_or_b32 exec_lo, exec_lo, s17
.LBB204_718:                            ;   in Loop: Header=BB204_675 Depth=1
	s_or_b32 exec_lo, exec_lo, s15
	v_cmp_ne_u16_sdwa s4, v13, v7 src0_sel:BYTE_1 src1_sel:DWORD
	s_and_saveexec_b32 s15, s4
	s_cbranch_execz .LBB204_726
; %bb.719:                              ;   in Loop: Header=BB204_675 Depth=1
	v_mov_b32_e32 v8, v7
	v_mov_b32_e32 v18, v9
	v_cmp_ne_u16_sdwa s4, v13, v66 src0_sel:BYTE_1 src1_sel:DWORD
	v_mov_b32_e32 v17, v8
	s_and_saveexec_b32 s17, s4
	s_cbranch_execz .LBB204_725
; %bb.720:                              ;   in Loop: Header=BB204_675 Depth=1
	v_and_b32_sdwa v6, v67, v13 dst_sel:DWORD dst_unused:UNUSED_PAD src0_sel:DWORD src1_sel:BYTE_1
	v_mov_b32_e32 v11, v7
	v_mov_b32_e32 v18, v12
	s_mov_b32 s18, exec_lo
	v_and_b32_e32 v10, 0x7f, v6
	v_mov_b32_e32 v17, v11
	v_cmpx_ne_u32_e32 0x7f, v10
	s_cbranch_execz .LBB204_724
; %bb.721:                              ;   in Loop: Header=BB204_675 Depth=1
	v_and_b32_e32 v6, 7, v6
	v_lshrrev_b32_e32 v8, 3, v10
	s_mov_b32 s19, exec_lo
	v_cmpx_gt_u32_e32 8, v10
; %bb.722:                              ;   in Loop: Header=BB204_675 Depth=1
	v_ffbh_u32_e32 v8, v6
	v_min_u32_e32 v8, 32, v8
	v_subrev_nc_u32_e32 v10, 28, v8
	v_sub_nc_u32_e32 v8, 29, v8
	v_lshlrev_b64 v[10:11], v10, v[6:7]
	v_and_b32_e32 v6, 7, v10
; %bb.723:                              ;   in Loop: Header=BB204_675 Depth=1
	s_or_b32 exec_lo, exec_lo, s19
	v_lshlrev_b32_e32 v10, 16, v13
	v_lshlrev_b32_e32 v6, 20, v6
	v_lshl_add_u32 v8, v8, 23, 0x3c000000
	v_mov_b32_e32 v17, v7
	v_and_b32_e32 v10, 0x80000000, v10
	v_or3_b32 v18, v6, v10, v8
.LBB204_724:                            ;   in Loop: Header=BB204_675 Depth=1
	s_or_b32 exec_lo, exec_lo, s18
.LBB204_725:                            ;   in Loop: Header=BB204_675 Depth=1
	s_or_b32 exec_lo, exec_lo, s17
.LBB204_726:                            ;   in Loop: Header=BB204_675 Depth=1
	s_or_b32 exec_lo, exec_lo, s15
	v_mov_b32_e32 v10, 0
	v_mov_b32_e32 v21, 0
	v_and_b32_sdwa v6, v13, v68 dst_sel:DWORD dst_unused:UNUSED_PAD src0_sel:WORD_1 src1_sel:DWORD
	v_mov_b32_e32 v11, 0
	v_mov_b32_e32 v22, 0
	s_mov_b32 s15, exec_lo
	v_cmpx_ne_u16_e32 0, v6
	s_cbranch_execz .LBB204_734
; %bb.727:                              ;   in Loop: Header=BB204_675 Depth=1
	v_bfrev_b32_e32 v21, 1
	v_mov_b32_e32 v22, 0
	s_mov_b32 s17, exec_lo
	v_cmpx_ne_u16_e32 0x80, v6
	s_cbranch_execz .LBB204_733
; %bb.728:                              ;   in Loop: Header=BB204_675 Depth=1
	v_mov_b32_e32 v21, 0x7f800001
	v_bfe_u32 v14, v13, 16, 7
	v_mov_b32_e32 v22, 0
	s_mov_b32 s18, exec_lo
	v_cmpx_ne_u32_e32 0x7f, v14
	s_cbranch_execz .LBB204_732
; %bb.729:                              ;   in Loop: Header=BB204_675 Depth=1
	v_and_b32_sdwa v6, v13, v69 dst_sel:DWORD dst_unused:UNUSED_PAD src0_sel:WORD_1 src1_sel:DWORD
	v_lshrrev_b32_e32 v8, 3, v14
	s_mov_b32 s19, exec_lo
	v_cmpx_gt_u32_e32 8, v14
; %bb.730:                              ;   in Loop: Header=BB204_675 Depth=1
	v_ffbh_u32_e32 v8, v6
	v_min_u32_e32 v8, 32, v8
	v_subrev_nc_u32_e32 v14, 28, v8
	v_sub_nc_u32_e32 v8, 29, v8
	v_lshlrev_b64 v[21:22], v14, v[6:7]
	v_and_b32_e32 v6, 7, v21
; %bb.731:                              ;   in Loop: Header=BB204_675 Depth=1
	s_or_b32 exec_lo, exec_lo, s19
	v_lshlrev_b32_sdwa v14, v70, v13 dst_sel:DWORD dst_unused:UNUSED_PAD src0_sel:DWORD src1_sel:WORD_1
	v_lshlrev_b32_e32 v6, 20, v6
	v_lshl_add_u32 v8, v8, 23, 0x3c000000
	v_and_b32_e32 v14, 0x80000000, v14
	v_or3_b32 v6, v6, v14, v8
	v_mov_b32_e32 v22, v7
	v_mov_b32_e32 v21, v6
.LBB204_732:                            ;   in Loop: Header=BB204_675 Depth=1
	s_or_b32 exec_lo, exec_lo, s18
.LBB204_733:                            ;   in Loop: Header=BB204_675 Depth=1
	s_or_b32 exec_lo, exec_lo, s17
.LBB204_734:                            ;   in Loop: Header=BB204_675 Depth=1
	s_or_b32 exec_lo, exec_lo, s15
	s_mov_b32 s15, exec_lo
	v_cmpx_lt_u32_e32 0xffffff, v13
	s_cbranch_execz .LBB204_742
; %bb.735:                              ;   in Loop: Header=BB204_675 Depth=1
	v_mov_b32_e32 v8, v7
	v_mov_b32_e32 v11, v9
	v_cmp_ne_u32_sdwa s4, v13, v66 src0_sel:BYTE_3 src1_sel:DWORD
	v_mov_b32_e32 v10, v8
	s_and_saveexec_b32 s17, s4
	s_cbranch_execz .LBB204_741
; %bb.736:                              ;   in Loop: Header=BB204_675 Depth=1
	v_mov_b32_e32 v11, v7
	v_bfe_u32 v14, v13, 24, 7
	s_mov_b32 s18, exec_lo
	v_mov_b32_e32 v10, v11
	v_mov_b32_e32 v11, v12
	v_cmpx_ne_u32_e32 0x7f, v14
	s_cbranch_execz .LBB204_740
; %bb.737:                              ;   in Loop: Header=BB204_675 Depth=1
	v_and_b32_sdwa v6, v13, v69 dst_sel:DWORD dst_unused:UNUSED_PAD src0_sel:BYTE_3 src1_sel:DWORD
	v_lshrrev_b32_e32 v8, 3, v14
	s_mov_b32 s19, exec_lo
	v_cmpx_gt_u32_e32 8, v14
; %bb.738:                              ;   in Loop: Header=BB204_675 Depth=1
	v_ffbh_u32_e32 v8, v6
	v_min_u32_e32 v8, 32, v8
	v_subrev_nc_u32_e32 v10, 28, v8
	v_sub_nc_u32_e32 v8, 29, v8
	v_lshlrev_b64 v[10:11], v10, v[6:7]
	v_and_b32_e32 v6, 7, v10
; %bb.739:                              ;   in Loop: Header=BB204_675 Depth=1
	s_or_b32 exec_lo, exec_lo, s19
	v_lshlrev_b32_sdwa v10, v70, v13 dst_sel:DWORD dst_unused:UNUSED_PAD src0_sel:DWORD src1_sel:BYTE_3
	v_lshlrev_b32_e32 v6, 20, v6
	v_lshl_add_u32 v8, v8, 23, 0x3c000000
	v_and_b32_e32 v10, 0x80000000, v10
	v_or3_b32 v11, v6, v10, v8
	v_mov_b32_e32 v10, v7
.LBB204_740:                            ;   in Loop: Header=BB204_675 Depth=1
	s_or_b32 exec_lo, exec_lo, s18
.LBB204_741:                            ;   in Loop: Header=BB204_675 Depth=1
	s_or_b32 exec_lo, exec_lo, s17
.LBB204_742:                            ;   in Loop: Header=BB204_675 Depth=1
	s_or_b32 exec_lo, exec_lo, s15
	v_or_b32_e32 v6, v18, v16
	v_or_b32_e32 v8, v17, v15
	;; [unrolled: 1-line block ×4, first 2 shown]
	v_mul_f32_e32 v103, v83, v6
	v_mul_f32_e32 v102, v83, v8
	;; [unrolled: 1-line block ×4, first 2 shown]
	s_and_saveexec_b32 s15, vcc_lo
	s_cbranch_execz .LBB204_744
; %bb.743:                              ;   in Loop: Header=BB204_675 Depth=1
	v_cmp_lt_i32_e64 s4, v96, v47
	v_cndmask_b32_e64 v102, 0, v102, s4
	v_cmp_lt_i32_e64 s4, v99, v47
	v_cndmask_b32_e64 v103, 0, v103, s4
	;; [unrolled: 2-line block ×4, first 2 shown]
.LBB204_744:                            ;   in Loop: Header=BB204_675 Depth=1
	s_or_b32 exec_lo, exec_lo, s15
	flat_load_dword v13, v[0:1] offset:256
	v_mov_b32_e32 v17, 0
	v_mov_b32_e32 v15, 0
	;; [unrolled: 1-line block ×4, first 2 shown]
	s_waitcnt vmcnt(0) lgkmcnt(0)
	v_cmp_ne_u16_sdwa s4, v13, v7 src0_sel:BYTE_0 src1_sel:DWORD
	s_and_saveexec_b32 s15, s4
	s_cbranch_execz .LBB204_752
; %bb.745:                              ;   in Loop: Header=BB204_675 Depth=1
	v_bfrev_b32_e32 v15, 1
	v_mov_b32_e32 v16, 0
	v_cmp_ne_u16_sdwa s4, v13, v66 src0_sel:BYTE_0 src1_sel:DWORD
	s_and_saveexec_b32 s17, s4
	s_cbranch_execz .LBB204_751
; %bb.746:                              ;   in Loop: Header=BB204_675 Depth=1
	v_mov_b32_e32 v15, 0x7f800001
	v_and_b32_e32 v10, 0x7f, v13
	v_mov_b32_e32 v16, 0
	s_mov_b32 s18, exec_lo
	v_cmpx_ne_u32_e32 0x7f, v10
	s_cbranch_execz .LBB204_750
; %bb.747:                              ;   in Loop: Header=BB204_675 Depth=1
	v_and_b32_e32 v6, 7, v13
	v_lshrrev_b32_e32 v8, 3, v10
	s_mov_b32 s19, exec_lo
	v_cmpx_gt_u32_e32 8, v10
; %bb.748:                              ;   in Loop: Header=BB204_675 Depth=1
	v_ffbh_u32_e32 v8, v6
	v_min_u32_e32 v8, 32, v8
	v_subrev_nc_u32_e32 v10, 28, v8
	v_sub_nc_u32_e32 v8, 29, v8
	v_lshlrev_b64 v[10:11], v10, v[6:7]
	v_and_b32_e32 v6, 7, v10
; %bb.749:                              ;   in Loop: Header=BB204_675 Depth=1
	s_or_b32 exec_lo, exec_lo, s19
	v_lshlrev_b32_e32 v10, 24, v13
	v_lshlrev_b32_e32 v6, 20, v6
	v_lshl_add_u32 v8, v8, 23, 0x3c000000
	v_and_b32_e32 v10, 0x80000000, v10
	v_or3_b32 v6, v6, v10, v8
	v_mov_b32_e32 v16, v7
	v_mov_b32_e32 v15, v6
.LBB204_750:                            ;   in Loop: Header=BB204_675 Depth=1
	s_or_b32 exec_lo, exec_lo, s18
.LBB204_751:                            ;   in Loop: Header=BB204_675 Depth=1
	s_or_b32 exec_lo, exec_lo, s17
.LBB204_752:                            ;   in Loop: Header=BB204_675 Depth=1
	s_or_b32 exec_lo, exec_lo, s15
	v_cmp_ne_u16_sdwa s4, v13, v7 src0_sel:BYTE_1 src1_sel:DWORD
	s_and_saveexec_b32 s15, s4
	s_cbranch_execz .LBB204_760
; %bb.753:                              ;   in Loop: Header=BB204_675 Depth=1
	v_mov_b32_e32 v8, v7
	v_mov_b32_e32 v18, v9
	v_cmp_ne_u16_sdwa s4, v13, v66 src0_sel:BYTE_1 src1_sel:DWORD
	v_mov_b32_e32 v17, v8
	s_and_saveexec_b32 s17, s4
	s_cbranch_execz .LBB204_759
; %bb.754:                              ;   in Loop: Header=BB204_675 Depth=1
	v_and_b32_sdwa v6, v67, v13 dst_sel:DWORD dst_unused:UNUSED_PAD src0_sel:DWORD src1_sel:BYTE_1
	v_mov_b32_e32 v11, v7
	v_mov_b32_e32 v18, v12
	s_mov_b32 s18, exec_lo
	v_and_b32_e32 v10, 0x7f, v6
	v_mov_b32_e32 v17, v11
	v_cmpx_ne_u32_e32 0x7f, v10
	s_cbranch_execz .LBB204_758
; %bb.755:                              ;   in Loop: Header=BB204_675 Depth=1
	v_and_b32_e32 v6, 7, v6
	v_lshrrev_b32_e32 v8, 3, v10
	s_mov_b32 s19, exec_lo
	v_cmpx_gt_u32_e32 8, v10
; %bb.756:                              ;   in Loop: Header=BB204_675 Depth=1
	v_ffbh_u32_e32 v8, v6
	v_min_u32_e32 v8, 32, v8
	v_subrev_nc_u32_e32 v10, 28, v8
	v_sub_nc_u32_e32 v8, 29, v8
	v_lshlrev_b64 v[10:11], v10, v[6:7]
	v_and_b32_e32 v6, 7, v10
; %bb.757:                              ;   in Loop: Header=BB204_675 Depth=1
	s_or_b32 exec_lo, exec_lo, s19
	v_lshlrev_b32_e32 v10, 16, v13
	v_lshlrev_b32_e32 v6, 20, v6
	v_lshl_add_u32 v8, v8, 23, 0x3c000000
	v_mov_b32_e32 v17, v7
	v_and_b32_e32 v10, 0x80000000, v10
	v_or3_b32 v18, v6, v10, v8
.LBB204_758:                            ;   in Loop: Header=BB204_675 Depth=1
	s_or_b32 exec_lo, exec_lo, s18
.LBB204_759:                            ;   in Loop: Header=BB204_675 Depth=1
	s_or_b32 exec_lo, exec_lo, s17
.LBB204_760:                            ;   in Loop: Header=BB204_675 Depth=1
	s_or_b32 exec_lo, exec_lo, s15
	v_mov_b32_e32 v10, 0
	v_mov_b32_e32 v21, 0
	v_and_b32_sdwa v6, v13, v68 dst_sel:DWORD dst_unused:UNUSED_PAD src0_sel:WORD_1 src1_sel:DWORD
	v_mov_b32_e32 v11, 0
	v_mov_b32_e32 v22, 0
	s_mov_b32 s15, exec_lo
	v_cmpx_ne_u16_e32 0, v6
	s_cbranch_execz .LBB204_768
; %bb.761:                              ;   in Loop: Header=BB204_675 Depth=1
	v_bfrev_b32_e32 v21, 1
	v_mov_b32_e32 v22, 0
	s_mov_b32 s17, exec_lo
	v_cmpx_ne_u16_e32 0x80, v6
	s_cbranch_execz .LBB204_767
; %bb.762:                              ;   in Loop: Header=BB204_675 Depth=1
	v_mov_b32_e32 v21, 0x7f800001
	v_bfe_u32 v14, v13, 16, 7
	v_mov_b32_e32 v22, 0
	s_mov_b32 s18, exec_lo
	v_cmpx_ne_u32_e32 0x7f, v14
	s_cbranch_execz .LBB204_766
; %bb.763:                              ;   in Loop: Header=BB204_675 Depth=1
	v_and_b32_sdwa v6, v13, v69 dst_sel:DWORD dst_unused:UNUSED_PAD src0_sel:WORD_1 src1_sel:DWORD
	v_lshrrev_b32_e32 v8, 3, v14
	s_mov_b32 s19, exec_lo
	v_cmpx_gt_u32_e32 8, v14
; %bb.764:                              ;   in Loop: Header=BB204_675 Depth=1
	v_ffbh_u32_e32 v8, v6
	v_min_u32_e32 v8, 32, v8
	v_subrev_nc_u32_e32 v14, 28, v8
	v_sub_nc_u32_e32 v8, 29, v8
	v_lshlrev_b64 v[21:22], v14, v[6:7]
	v_and_b32_e32 v6, 7, v21
; %bb.765:                              ;   in Loop: Header=BB204_675 Depth=1
	s_or_b32 exec_lo, exec_lo, s19
	v_lshlrev_b32_sdwa v14, v70, v13 dst_sel:DWORD dst_unused:UNUSED_PAD src0_sel:DWORD src1_sel:WORD_1
	v_lshlrev_b32_e32 v6, 20, v6
	v_lshl_add_u32 v8, v8, 23, 0x3c000000
	v_and_b32_e32 v14, 0x80000000, v14
	v_or3_b32 v6, v6, v14, v8
	v_mov_b32_e32 v22, v7
	v_mov_b32_e32 v21, v6
.LBB204_766:                            ;   in Loop: Header=BB204_675 Depth=1
	s_or_b32 exec_lo, exec_lo, s18
.LBB204_767:                            ;   in Loop: Header=BB204_675 Depth=1
	s_or_b32 exec_lo, exec_lo, s17
.LBB204_768:                            ;   in Loop: Header=BB204_675 Depth=1
	s_or_b32 exec_lo, exec_lo, s15
	s_mov_b32 s15, exec_lo
	v_cmpx_lt_u32_e32 0xffffff, v13
	s_cbranch_execz .LBB204_776
; %bb.769:                              ;   in Loop: Header=BB204_675 Depth=1
	v_mov_b32_e32 v8, v7
	v_mov_b32_e32 v11, v9
	v_cmp_ne_u32_sdwa s4, v13, v66 src0_sel:BYTE_3 src1_sel:DWORD
	v_mov_b32_e32 v10, v8
	s_and_saveexec_b32 s17, s4
	s_cbranch_execz .LBB204_775
; %bb.770:                              ;   in Loop: Header=BB204_675 Depth=1
	v_mov_b32_e32 v11, v7
	v_bfe_u32 v14, v13, 24, 7
	s_mov_b32 s18, exec_lo
	v_mov_b32_e32 v10, v11
	v_mov_b32_e32 v11, v12
	v_cmpx_ne_u32_e32 0x7f, v14
	s_cbranch_execz .LBB204_774
; %bb.771:                              ;   in Loop: Header=BB204_675 Depth=1
	v_and_b32_sdwa v6, v13, v69 dst_sel:DWORD dst_unused:UNUSED_PAD src0_sel:BYTE_3 src1_sel:DWORD
	v_lshrrev_b32_e32 v8, 3, v14
	s_mov_b32 s19, exec_lo
	v_cmpx_gt_u32_e32 8, v14
; %bb.772:                              ;   in Loop: Header=BB204_675 Depth=1
	v_ffbh_u32_e32 v8, v6
	v_min_u32_e32 v8, 32, v8
	v_subrev_nc_u32_e32 v10, 28, v8
	v_sub_nc_u32_e32 v8, 29, v8
	v_lshlrev_b64 v[10:11], v10, v[6:7]
	v_and_b32_e32 v6, 7, v10
; %bb.773:                              ;   in Loop: Header=BB204_675 Depth=1
	s_or_b32 exec_lo, exec_lo, s19
	v_lshlrev_b32_sdwa v10, v70, v13 dst_sel:DWORD dst_unused:UNUSED_PAD src0_sel:DWORD src1_sel:BYTE_3
	v_lshlrev_b32_e32 v6, 20, v6
	v_lshl_add_u32 v8, v8, 23, 0x3c000000
	v_and_b32_e32 v10, 0x80000000, v10
	v_or3_b32 v11, v6, v10, v8
	v_mov_b32_e32 v10, v7
.LBB204_774:                            ;   in Loop: Header=BB204_675 Depth=1
	s_or_b32 exec_lo, exec_lo, s18
.LBB204_775:                            ;   in Loop: Header=BB204_675 Depth=1
	s_or_b32 exec_lo, exec_lo, s17
.LBB204_776:                            ;   in Loop: Header=BB204_675 Depth=1
	s_or_b32 exec_lo, exec_lo, s15
	v_or_b32_e32 v6, v18, v16
	v_or_b32_e32 v8, v17, v15
	v_or_b32_e32 v10, v10, v21
	v_or_b32_e32 v11, v11, v22
	v_mul_f32_e32 v115, v83, v6
	v_mul_f32_e32 v114, v83, v8
	;; [unrolled: 1-line block ×4, first 2 shown]
	s_and_saveexec_b32 s15, vcc_lo
	s_cbranch_execz .LBB204_778
; %bb.777:                              ;   in Loop: Header=BB204_675 Depth=1
	v_cmp_lt_i32_e64 s4, v96, v47
	v_cndmask_b32_e64 v114, 0, v114, s4
	v_cmp_lt_i32_e64 s4, v99, v47
	v_cndmask_b32_e64 v115, 0, v115, s4
	;; [unrolled: 2-line block ×4, first 2 shown]
.LBB204_778:                            ;   in Loop: Header=BB204_675 Depth=1
	s_or_b32 exec_lo, exec_lo, s15
	flat_load_dword v13, v[0:1] offset:384
	v_mov_b32_e32 v17, 0
	v_mov_b32_e32 v15, 0
	;; [unrolled: 1-line block ×4, first 2 shown]
	s_waitcnt vmcnt(0) lgkmcnt(0)
	v_cmp_ne_u16_sdwa s4, v13, v7 src0_sel:BYTE_0 src1_sel:DWORD
	s_and_saveexec_b32 s15, s4
	s_cbranch_execz .LBB204_786
; %bb.779:                              ;   in Loop: Header=BB204_675 Depth=1
	v_bfrev_b32_e32 v15, 1
	v_mov_b32_e32 v16, 0
	v_cmp_ne_u16_sdwa s4, v13, v66 src0_sel:BYTE_0 src1_sel:DWORD
	s_and_saveexec_b32 s17, s4
	s_cbranch_execz .LBB204_785
; %bb.780:                              ;   in Loop: Header=BB204_675 Depth=1
	v_mov_b32_e32 v15, 0x7f800001
	v_and_b32_e32 v10, 0x7f, v13
	v_mov_b32_e32 v16, 0
	s_mov_b32 s18, exec_lo
	v_cmpx_ne_u32_e32 0x7f, v10
	s_cbranch_execz .LBB204_784
; %bb.781:                              ;   in Loop: Header=BB204_675 Depth=1
	v_and_b32_e32 v6, 7, v13
	v_lshrrev_b32_e32 v8, 3, v10
	s_mov_b32 s19, exec_lo
	v_cmpx_gt_u32_e32 8, v10
; %bb.782:                              ;   in Loop: Header=BB204_675 Depth=1
	v_ffbh_u32_e32 v8, v6
	v_min_u32_e32 v8, 32, v8
	v_subrev_nc_u32_e32 v10, 28, v8
	v_sub_nc_u32_e32 v8, 29, v8
	v_lshlrev_b64 v[10:11], v10, v[6:7]
	v_and_b32_e32 v6, 7, v10
; %bb.783:                              ;   in Loop: Header=BB204_675 Depth=1
	s_or_b32 exec_lo, exec_lo, s19
	v_lshlrev_b32_e32 v10, 24, v13
	v_lshlrev_b32_e32 v6, 20, v6
	v_lshl_add_u32 v8, v8, 23, 0x3c000000
	v_and_b32_e32 v10, 0x80000000, v10
	v_or3_b32 v6, v6, v10, v8
	v_mov_b32_e32 v16, v7
	v_mov_b32_e32 v15, v6
.LBB204_784:                            ;   in Loop: Header=BB204_675 Depth=1
	s_or_b32 exec_lo, exec_lo, s18
.LBB204_785:                            ;   in Loop: Header=BB204_675 Depth=1
	s_or_b32 exec_lo, exec_lo, s17
.LBB204_786:                            ;   in Loop: Header=BB204_675 Depth=1
	s_or_b32 exec_lo, exec_lo, s15
	v_cmp_ne_u16_sdwa s4, v13, v7 src0_sel:BYTE_1 src1_sel:DWORD
	s_and_saveexec_b32 s15, s4
	s_cbranch_execz .LBB204_794
; %bb.787:                              ;   in Loop: Header=BB204_675 Depth=1
	v_mov_b32_e32 v8, v7
	v_mov_b32_e32 v18, v9
	v_cmp_ne_u16_sdwa s4, v13, v66 src0_sel:BYTE_1 src1_sel:DWORD
	v_mov_b32_e32 v17, v8
	s_and_saveexec_b32 s17, s4
	s_cbranch_execz .LBB204_793
; %bb.788:                              ;   in Loop: Header=BB204_675 Depth=1
	v_and_b32_sdwa v6, v67, v13 dst_sel:DWORD dst_unused:UNUSED_PAD src0_sel:DWORD src1_sel:BYTE_1
	v_mov_b32_e32 v11, v7
	v_mov_b32_e32 v18, v12
	s_mov_b32 s18, exec_lo
	v_and_b32_e32 v10, 0x7f, v6
	v_mov_b32_e32 v17, v11
	v_cmpx_ne_u32_e32 0x7f, v10
	s_cbranch_execz .LBB204_792
; %bb.789:                              ;   in Loop: Header=BB204_675 Depth=1
	v_and_b32_e32 v6, 7, v6
	v_lshrrev_b32_e32 v8, 3, v10
	s_mov_b32 s19, exec_lo
	v_cmpx_gt_u32_e32 8, v10
; %bb.790:                              ;   in Loop: Header=BB204_675 Depth=1
	v_ffbh_u32_e32 v8, v6
	v_min_u32_e32 v8, 32, v8
	v_subrev_nc_u32_e32 v10, 28, v8
	v_sub_nc_u32_e32 v8, 29, v8
	v_lshlrev_b64 v[10:11], v10, v[6:7]
	v_and_b32_e32 v6, 7, v10
; %bb.791:                              ;   in Loop: Header=BB204_675 Depth=1
	s_or_b32 exec_lo, exec_lo, s19
	v_lshlrev_b32_e32 v10, 16, v13
	v_lshlrev_b32_e32 v6, 20, v6
	v_lshl_add_u32 v8, v8, 23, 0x3c000000
	v_mov_b32_e32 v17, v7
	v_and_b32_e32 v10, 0x80000000, v10
	v_or3_b32 v18, v6, v10, v8
.LBB204_792:                            ;   in Loop: Header=BB204_675 Depth=1
	s_or_b32 exec_lo, exec_lo, s18
.LBB204_793:                            ;   in Loop: Header=BB204_675 Depth=1
	s_or_b32 exec_lo, exec_lo, s17
.LBB204_794:                            ;   in Loop: Header=BB204_675 Depth=1
	s_or_b32 exec_lo, exec_lo, s15
	v_mov_b32_e32 v10, 0
	v_mov_b32_e32 v21, 0
	v_and_b32_sdwa v6, v13, v68 dst_sel:DWORD dst_unused:UNUSED_PAD src0_sel:WORD_1 src1_sel:DWORD
	v_mov_b32_e32 v11, 0
	v_mov_b32_e32 v22, 0
	s_mov_b32 s15, exec_lo
	v_cmpx_ne_u16_e32 0, v6
	s_cbranch_execz .LBB204_802
; %bb.795:                              ;   in Loop: Header=BB204_675 Depth=1
	v_bfrev_b32_e32 v21, 1
	v_mov_b32_e32 v22, 0
	s_mov_b32 s17, exec_lo
	v_cmpx_ne_u16_e32 0x80, v6
	s_cbranch_execz .LBB204_801
; %bb.796:                              ;   in Loop: Header=BB204_675 Depth=1
	v_mov_b32_e32 v21, 0x7f800001
	v_bfe_u32 v14, v13, 16, 7
	v_mov_b32_e32 v22, 0
	s_mov_b32 s18, exec_lo
	v_cmpx_ne_u32_e32 0x7f, v14
	s_cbranch_execz .LBB204_800
; %bb.797:                              ;   in Loop: Header=BB204_675 Depth=1
	v_and_b32_sdwa v6, v13, v69 dst_sel:DWORD dst_unused:UNUSED_PAD src0_sel:WORD_1 src1_sel:DWORD
	v_lshrrev_b32_e32 v8, 3, v14
	s_mov_b32 s19, exec_lo
	v_cmpx_gt_u32_e32 8, v14
; %bb.798:                              ;   in Loop: Header=BB204_675 Depth=1
	v_ffbh_u32_e32 v8, v6
	v_min_u32_e32 v8, 32, v8
	v_subrev_nc_u32_e32 v14, 28, v8
	v_sub_nc_u32_e32 v8, 29, v8
	v_lshlrev_b64 v[21:22], v14, v[6:7]
	v_and_b32_e32 v6, 7, v21
; %bb.799:                              ;   in Loop: Header=BB204_675 Depth=1
	s_or_b32 exec_lo, exec_lo, s19
	v_lshlrev_b32_sdwa v14, v70, v13 dst_sel:DWORD dst_unused:UNUSED_PAD src0_sel:DWORD src1_sel:WORD_1
	v_lshlrev_b32_e32 v6, 20, v6
	v_lshl_add_u32 v8, v8, 23, 0x3c000000
	v_and_b32_e32 v14, 0x80000000, v14
	v_or3_b32 v6, v6, v14, v8
	v_mov_b32_e32 v22, v7
	v_mov_b32_e32 v21, v6
.LBB204_800:                            ;   in Loop: Header=BB204_675 Depth=1
	s_or_b32 exec_lo, exec_lo, s18
.LBB204_801:                            ;   in Loop: Header=BB204_675 Depth=1
	s_or_b32 exec_lo, exec_lo, s17
.LBB204_802:                            ;   in Loop: Header=BB204_675 Depth=1
	s_or_b32 exec_lo, exec_lo, s15
	s_mov_b32 s15, exec_lo
	v_cmpx_lt_u32_e32 0xffffff, v13
	s_cbranch_execz .LBB204_810
; %bb.803:                              ;   in Loop: Header=BB204_675 Depth=1
	v_mov_b32_e32 v8, v7
	v_mov_b32_e32 v11, v9
	v_cmp_ne_u32_sdwa s4, v13, v66 src0_sel:BYTE_3 src1_sel:DWORD
	v_mov_b32_e32 v10, v8
	s_and_saveexec_b32 s17, s4
	s_cbranch_execz .LBB204_809
; %bb.804:                              ;   in Loop: Header=BB204_675 Depth=1
	v_mov_b32_e32 v11, v7
	v_bfe_u32 v14, v13, 24, 7
	s_mov_b32 s18, exec_lo
	v_mov_b32_e32 v10, v11
	v_mov_b32_e32 v11, v12
	v_cmpx_ne_u32_e32 0x7f, v14
	s_cbranch_execz .LBB204_808
; %bb.805:                              ;   in Loop: Header=BB204_675 Depth=1
	v_and_b32_sdwa v6, v13, v69 dst_sel:DWORD dst_unused:UNUSED_PAD src0_sel:BYTE_3 src1_sel:DWORD
	v_lshrrev_b32_e32 v8, 3, v14
	s_mov_b32 s19, exec_lo
	v_cmpx_gt_u32_e32 8, v14
; %bb.806:                              ;   in Loop: Header=BB204_675 Depth=1
	v_ffbh_u32_e32 v8, v6
	v_min_u32_e32 v8, 32, v8
	v_subrev_nc_u32_e32 v10, 28, v8
	v_sub_nc_u32_e32 v8, 29, v8
	v_lshlrev_b64 v[10:11], v10, v[6:7]
	v_and_b32_e32 v6, 7, v10
; %bb.807:                              ;   in Loop: Header=BB204_675 Depth=1
	s_or_b32 exec_lo, exec_lo, s19
	v_lshlrev_b32_sdwa v10, v70, v13 dst_sel:DWORD dst_unused:UNUSED_PAD src0_sel:DWORD src1_sel:BYTE_3
	v_lshlrev_b32_e32 v6, 20, v6
	v_lshl_add_u32 v8, v8, 23, 0x3c000000
	v_and_b32_e32 v10, 0x80000000, v10
	v_or3_b32 v11, v6, v10, v8
	v_mov_b32_e32 v10, v7
.LBB204_808:                            ;   in Loop: Header=BB204_675 Depth=1
	s_or_b32 exec_lo, exec_lo, s18
.LBB204_809:                            ;   in Loop: Header=BB204_675 Depth=1
	s_or_b32 exec_lo, exec_lo, s17
.LBB204_810:                            ;   in Loop: Header=BB204_675 Depth=1
	s_or_b32 exec_lo, exec_lo, s15
	v_or_b32_e32 v6, v18, v16
	v_or_b32_e32 v8, v17, v15
	;; [unrolled: 1-line block ×4, first 2 shown]
	v_mul_f32_e32 v119, v83, v6
	v_mul_f32_e32 v118, v83, v8
	;; [unrolled: 1-line block ×4, first 2 shown]
	s_and_saveexec_b32 s15, vcc_lo
	s_cbranch_execz .LBB204_812
; %bb.811:                              ;   in Loop: Header=BB204_675 Depth=1
	v_cmp_lt_i32_e64 s4, v96, v47
	v_cndmask_b32_e64 v118, 0, v118, s4
	v_cmp_lt_i32_e64 s4, v99, v47
	v_cndmask_b32_e64 v119, 0, v119, s4
	;; [unrolled: 2-line block ×4, first 2 shown]
.LBB204_812:                            ;   in Loop: Header=BB204_675 Depth=1
	s_or_b32 exec_lo, exec_lo, s15
	flat_load_dword v13, v[0:1] offset:512
	v_mov_b32_e32 v17, 0
	v_mov_b32_e32 v15, 0
	v_mov_b32_e32 v18, 0
	v_mov_b32_e32 v16, 0
	s_waitcnt vmcnt(0) lgkmcnt(0)
	v_cmp_ne_u16_sdwa s4, v13, v7 src0_sel:BYTE_0 src1_sel:DWORD
	s_and_saveexec_b32 s15, s4
	s_cbranch_execz .LBB204_820
; %bb.813:                              ;   in Loop: Header=BB204_675 Depth=1
	v_bfrev_b32_e32 v15, 1
	v_mov_b32_e32 v16, 0
	v_cmp_ne_u16_sdwa s4, v13, v66 src0_sel:BYTE_0 src1_sel:DWORD
	s_and_saveexec_b32 s17, s4
	s_cbranch_execz .LBB204_819
; %bb.814:                              ;   in Loop: Header=BB204_675 Depth=1
	v_mov_b32_e32 v15, 0x7f800001
	v_and_b32_e32 v10, 0x7f, v13
	v_mov_b32_e32 v16, 0
	s_mov_b32 s18, exec_lo
	v_cmpx_ne_u32_e32 0x7f, v10
	s_cbranch_execz .LBB204_818
; %bb.815:                              ;   in Loop: Header=BB204_675 Depth=1
	v_and_b32_e32 v6, 7, v13
	v_lshrrev_b32_e32 v8, 3, v10
	s_mov_b32 s19, exec_lo
	v_cmpx_gt_u32_e32 8, v10
; %bb.816:                              ;   in Loop: Header=BB204_675 Depth=1
	v_ffbh_u32_e32 v8, v6
	v_min_u32_e32 v8, 32, v8
	v_subrev_nc_u32_e32 v10, 28, v8
	v_sub_nc_u32_e32 v8, 29, v8
	v_lshlrev_b64 v[10:11], v10, v[6:7]
	v_and_b32_e32 v6, 7, v10
; %bb.817:                              ;   in Loop: Header=BB204_675 Depth=1
	s_or_b32 exec_lo, exec_lo, s19
	v_lshlrev_b32_e32 v10, 24, v13
	v_lshlrev_b32_e32 v6, 20, v6
	v_lshl_add_u32 v8, v8, 23, 0x3c000000
	v_and_b32_e32 v10, 0x80000000, v10
	v_or3_b32 v6, v6, v10, v8
	v_mov_b32_e32 v16, v7
	v_mov_b32_e32 v15, v6
.LBB204_818:                            ;   in Loop: Header=BB204_675 Depth=1
	s_or_b32 exec_lo, exec_lo, s18
.LBB204_819:                            ;   in Loop: Header=BB204_675 Depth=1
	s_or_b32 exec_lo, exec_lo, s17
.LBB204_820:                            ;   in Loop: Header=BB204_675 Depth=1
	s_or_b32 exec_lo, exec_lo, s15
	v_cmp_ne_u16_sdwa s4, v13, v7 src0_sel:BYTE_1 src1_sel:DWORD
	s_and_saveexec_b32 s15, s4
	s_cbranch_execz .LBB204_828
; %bb.821:                              ;   in Loop: Header=BB204_675 Depth=1
	v_mov_b32_e32 v8, v7
	v_mov_b32_e32 v18, v9
	v_cmp_ne_u16_sdwa s4, v13, v66 src0_sel:BYTE_1 src1_sel:DWORD
	v_mov_b32_e32 v17, v8
	s_and_saveexec_b32 s17, s4
	s_cbranch_execz .LBB204_827
; %bb.822:                              ;   in Loop: Header=BB204_675 Depth=1
	v_and_b32_sdwa v6, v67, v13 dst_sel:DWORD dst_unused:UNUSED_PAD src0_sel:DWORD src1_sel:BYTE_1
	v_mov_b32_e32 v11, v7
	v_mov_b32_e32 v18, v12
	s_mov_b32 s18, exec_lo
	v_and_b32_e32 v10, 0x7f, v6
	v_mov_b32_e32 v17, v11
	v_cmpx_ne_u32_e32 0x7f, v10
	s_cbranch_execz .LBB204_826
; %bb.823:                              ;   in Loop: Header=BB204_675 Depth=1
	v_and_b32_e32 v6, 7, v6
	v_lshrrev_b32_e32 v8, 3, v10
	s_mov_b32 s19, exec_lo
	v_cmpx_gt_u32_e32 8, v10
; %bb.824:                              ;   in Loop: Header=BB204_675 Depth=1
	v_ffbh_u32_e32 v8, v6
	v_min_u32_e32 v8, 32, v8
	v_subrev_nc_u32_e32 v10, 28, v8
	v_sub_nc_u32_e32 v8, 29, v8
	v_lshlrev_b64 v[10:11], v10, v[6:7]
	v_and_b32_e32 v6, 7, v10
; %bb.825:                              ;   in Loop: Header=BB204_675 Depth=1
	s_or_b32 exec_lo, exec_lo, s19
	v_lshlrev_b32_e32 v10, 16, v13
	v_lshlrev_b32_e32 v6, 20, v6
	v_lshl_add_u32 v8, v8, 23, 0x3c000000
	v_mov_b32_e32 v17, v7
	v_and_b32_e32 v10, 0x80000000, v10
	v_or3_b32 v18, v6, v10, v8
.LBB204_826:                            ;   in Loop: Header=BB204_675 Depth=1
	s_or_b32 exec_lo, exec_lo, s18
.LBB204_827:                            ;   in Loop: Header=BB204_675 Depth=1
	s_or_b32 exec_lo, exec_lo, s17
.LBB204_828:                            ;   in Loop: Header=BB204_675 Depth=1
	s_or_b32 exec_lo, exec_lo, s15
	v_mov_b32_e32 v10, 0
	v_mov_b32_e32 v21, 0
	v_and_b32_sdwa v6, v13, v68 dst_sel:DWORD dst_unused:UNUSED_PAD src0_sel:WORD_1 src1_sel:DWORD
	v_mov_b32_e32 v11, 0
	v_mov_b32_e32 v22, 0
	s_mov_b32 s15, exec_lo
	v_cmpx_ne_u16_e32 0, v6
	s_cbranch_execz .LBB204_836
; %bb.829:                              ;   in Loop: Header=BB204_675 Depth=1
	v_bfrev_b32_e32 v21, 1
	v_mov_b32_e32 v22, 0
	s_mov_b32 s17, exec_lo
	v_cmpx_ne_u16_e32 0x80, v6
	s_cbranch_execz .LBB204_835
; %bb.830:                              ;   in Loop: Header=BB204_675 Depth=1
	v_mov_b32_e32 v21, 0x7f800001
	v_bfe_u32 v14, v13, 16, 7
	v_mov_b32_e32 v22, 0
	s_mov_b32 s18, exec_lo
	v_cmpx_ne_u32_e32 0x7f, v14
	s_cbranch_execz .LBB204_834
; %bb.831:                              ;   in Loop: Header=BB204_675 Depth=1
	v_and_b32_sdwa v6, v13, v69 dst_sel:DWORD dst_unused:UNUSED_PAD src0_sel:WORD_1 src1_sel:DWORD
	v_lshrrev_b32_e32 v8, 3, v14
	s_mov_b32 s19, exec_lo
	v_cmpx_gt_u32_e32 8, v14
; %bb.832:                              ;   in Loop: Header=BB204_675 Depth=1
	v_ffbh_u32_e32 v8, v6
	v_min_u32_e32 v8, 32, v8
	v_subrev_nc_u32_e32 v14, 28, v8
	v_sub_nc_u32_e32 v8, 29, v8
	v_lshlrev_b64 v[21:22], v14, v[6:7]
	v_and_b32_e32 v6, 7, v21
; %bb.833:                              ;   in Loop: Header=BB204_675 Depth=1
	s_or_b32 exec_lo, exec_lo, s19
	v_lshlrev_b32_sdwa v14, v70, v13 dst_sel:DWORD dst_unused:UNUSED_PAD src0_sel:DWORD src1_sel:WORD_1
	v_lshlrev_b32_e32 v6, 20, v6
	v_lshl_add_u32 v8, v8, 23, 0x3c000000
	v_and_b32_e32 v14, 0x80000000, v14
	v_or3_b32 v6, v6, v14, v8
	v_mov_b32_e32 v22, v7
	v_mov_b32_e32 v21, v6
.LBB204_834:                            ;   in Loop: Header=BB204_675 Depth=1
	s_or_b32 exec_lo, exec_lo, s18
.LBB204_835:                            ;   in Loop: Header=BB204_675 Depth=1
	s_or_b32 exec_lo, exec_lo, s17
.LBB204_836:                            ;   in Loop: Header=BB204_675 Depth=1
	s_or_b32 exec_lo, exec_lo, s15
	s_mov_b32 s15, exec_lo
	v_cmpx_lt_u32_e32 0xffffff, v13
	s_cbranch_execz .LBB204_844
; %bb.837:                              ;   in Loop: Header=BB204_675 Depth=1
	v_mov_b32_e32 v8, v7
	v_mov_b32_e32 v11, v9
	v_cmp_ne_u32_sdwa s4, v13, v66 src0_sel:BYTE_3 src1_sel:DWORD
	v_mov_b32_e32 v10, v8
	s_and_saveexec_b32 s17, s4
	s_cbranch_execz .LBB204_843
; %bb.838:                              ;   in Loop: Header=BB204_675 Depth=1
	v_mov_b32_e32 v11, v7
	v_bfe_u32 v14, v13, 24, 7
	s_mov_b32 s18, exec_lo
	v_mov_b32_e32 v10, v11
	v_mov_b32_e32 v11, v12
	v_cmpx_ne_u32_e32 0x7f, v14
	s_cbranch_execz .LBB204_842
; %bb.839:                              ;   in Loop: Header=BB204_675 Depth=1
	v_and_b32_sdwa v6, v13, v69 dst_sel:DWORD dst_unused:UNUSED_PAD src0_sel:BYTE_3 src1_sel:DWORD
	v_lshrrev_b32_e32 v8, 3, v14
	s_mov_b32 s19, exec_lo
	v_cmpx_gt_u32_e32 8, v14
; %bb.840:                              ;   in Loop: Header=BB204_675 Depth=1
	v_ffbh_u32_e32 v8, v6
	v_min_u32_e32 v8, 32, v8
	v_subrev_nc_u32_e32 v10, 28, v8
	v_sub_nc_u32_e32 v8, 29, v8
	v_lshlrev_b64 v[10:11], v10, v[6:7]
	v_and_b32_e32 v6, 7, v10
; %bb.841:                              ;   in Loop: Header=BB204_675 Depth=1
	s_or_b32 exec_lo, exec_lo, s19
	v_lshlrev_b32_sdwa v10, v70, v13 dst_sel:DWORD dst_unused:UNUSED_PAD src0_sel:DWORD src1_sel:BYTE_3
	v_lshlrev_b32_e32 v6, 20, v6
	v_lshl_add_u32 v8, v8, 23, 0x3c000000
	v_and_b32_e32 v10, 0x80000000, v10
	v_or3_b32 v11, v6, v10, v8
	v_mov_b32_e32 v10, v7
.LBB204_842:                            ;   in Loop: Header=BB204_675 Depth=1
	s_or_b32 exec_lo, exec_lo, s18
.LBB204_843:                            ;   in Loop: Header=BB204_675 Depth=1
	s_or_b32 exec_lo, exec_lo, s17
.LBB204_844:                            ;   in Loop: Header=BB204_675 Depth=1
	s_or_b32 exec_lo, exec_lo, s15
	v_or_b32_e32 v6, v18, v16
	v_or_b32_e32 v8, v17, v15
	;; [unrolled: 1-line block ×4, first 2 shown]
	v_mul_f32_e32 v43, v83, v6
	v_mul_f32_e32 v42, v83, v8
	;; [unrolled: 1-line block ×4, first 2 shown]
	s_and_saveexec_b32 s15, vcc_lo
	s_cbranch_execz .LBB204_846
; %bb.845:                              ;   in Loop: Header=BB204_675 Depth=1
	v_cmp_lt_i32_e64 s4, v96, v47
	v_cndmask_b32_e64 v42, 0, v42, s4
	v_cmp_lt_i32_e64 s4, v99, v47
	v_cndmask_b32_e64 v43, 0, v43, s4
	;; [unrolled: 2-line block ×4, first 2 shown]
.LBB204_846:                            ;   in Loop: Header=BB204_675 Depth=1
	s_or_b32 exec_lo, exec_lo, s15
	flat_load_dword v13, v[0:1] offset:640
	v_mov_b32_e32 v17, 0
	v_mov_b32_e32 v15, 0
	;; [unrolled: 1-line block ×4, first 2 shown]
	s_waitcnt vmcnt(0) lgkmcnt(0)
	v_cmp_ne_u16_sdwa s4, v13, v7 src0_sel:BYTE_0 src1_sel:DWORD
	s_and_saveexec_b32 s15, s4
	s_cbranch_execz .LBB204_854
; %bb.847:                              ;   in Loop: Header=BB204_675 Depth=1
	v_bfrev_b32_e32 v15, 1
	v_mov_b32_e32 v16, 0
	v_cmp_ne_u16_sdwa s4, v13, v66 src0_sel:BYTE_0 src1_sel:DWORD
	s_and_saveexec_b32 s17, s4
	s_cbranch_execz .LBB204_853
; %bb.848:                              ;   in Loop: Header=BB204_675 Depth=1
	v_mov_b32_e32 v15, 0x7f800001
	v_and_b32_e32 v10, 0x7f, v13
	v_mov_b32_e32 v16, 0
	s_mov_b32 s18, exec_lo
	v_cmpx_ne_u32_e32 0x7f, v10
	s_cbranch_execz .LBB204_852
; %bb.849:                              ;   in Loop: Header=BB204_675 Depth=1
	v_and_b32_e32 v6, 7, v13
	v_lshrrev_b32_e32 v8, 3, v10
	s_mov_b32 s19, exec_lo
	v_cmpx_gt_u32_e32 8, v10
; %bb.850:                              ;   in Loop: Header=BB204_675 Depth=1
	v_ffbh_u32_e32 v8, v6
	v_min_u32_e32 v8, 32, v8
	v_subrev_nc_u32_e32 v10, 28, v8
	v_sub_nc_u32_e32 v8, 29, v8
	v_lshlrev_b64 v[10:11], v10, v[6:7]
	v_and_b32_e32 v6, 7, v10
; %bb.851:                              ;   in Loop: Header=BB204_675 Depth=1
	s_or_b32 exec_lo, exec_lo, s19
	v_lshlrev_b32_e32 v10, 24, v13
	v_lshlrev_b32_e32 v6, 20, v6
	v_lshl_add_u32 v8, v8, 23, 0x3c000000
	v_and_b32_e32 v10, 0x80000000, v10
	v_or3_b32 v6, v6, v10, v8
	v_mov_b32_e32 v16, v7
	v_mov_b32_e32 v15, v6
.LBB204_852:                            ;   in Loop: Header=BB204_675 Depth=1
	s_or_b32 exec_lo, exec_lo, s18
.LBB204_853:                            ;   in Loop: Header=BB204_675 Depth=1
	s_or_b32 exec_lo, exec_lo, s17
.LBB204_854:                            ;   in Loop: Header=BB204_675 Depth=1
	s_or_b32 exec_lo, exec_lo, s15
	v_cmp_ne_u16_sdwa s4, v13, v7 src0_sel:BYTE_1 src1_sel:DWORD
	s_and_saveexec_b32 s15, s4
	s_cbranch_execz .LBB204_862
; %bb.855:                              ;   in Loop: Header=BB204_675 Depth=1
	v_mov_b32_e32 v8, v7
	v_mov_b32_e32 v18, v9
	v_cmp_ne_u16_sdwa s4, v13, v66 src0_sel:BYTE_1 src1_sel:DWORD
	v_mov_b32_e32 v17, v8
	s_and_saveexec_b32 s17, s4
	s_cbranch_execz .LBB204_861
; %bb.856:                              ;   in Loop: Header=BB204_675 Depth=1
	v_and_b32_sdwa v6, v67, v13 dst_sel:DWORD dst_unused:UNUSED_PAD src0_sel:DWORD src1_sel:BYTE_1
	v_mov_b32_e32 v11, v7
	v_mov_b32_e32 v18, v12
	s_mov_b32 s18, exec_lo
	v_and_b32_e32 v10, 0x7f, v6
	v_mov_b32_e32 v17, v11
	v_cmpx_ne_u32_e32 0x7f, v10
	s_cbranch_execz .LBB204_860
; %bb.857:                              ;   in Loop: Header=BB204_675 Depth=1
	v_and_b32_e32 v6, 7, v6
	v_lshrrev_b32_e32 v8, 3, v10
	s_mov_b32 s19, exec_lo
	v_cmpx_gt_u32_e32 8, v10
; %bb.858:                              ;   in Loop: Header=BB204_675 Depth=1
	v_ffbh_u32_e32 v8, v6
	v_min_u32_e32 v8, 32, v8
	v_subrev_nc_u32_e32 v10, 28, v8
	v_sub_nc_u32_e32 v8, 29, v8
	v_lshlrev_b64 v[10:11], v10, v[6:7]
	v_and_b32_e32 v6, 7, v10
; %bb.859:                              ;   in Loop: Header=BB204_675 Depth=1
	s_or_b32 exec_lo, exec_lo, s19
	v_lshlrev_b32_e32 v10, 16, v13
	v_lshlrev_b32_e32 v6, 20, v6
	v_lshl_add_u32 v8, v8, 23, 0x3c000000
	v_mov_b32_e32 v17, v7
	v_and_b32_e32 v10, 0x80000000, v10
	v_or3_b32 v18, v6, v10, v8
.LBB204_860:                            ;   in Loop: Header=BB204_675 Depth=1
	s_or_b32 exec_lo, exec_lo, s18
.LBB204_861:                            ;   in Loop: Header=BB204_675 Depth=1
	s_or_b32 exec_lo, exec_lo, s17
.LBB204_862:                            ;   in Loop: Header=BB204_675 Depth=1
	s_or_b32 exec_lo, exec_lo, s15
	v_mov_b32_e32 v10, 0
	v_mov_b32_e32 v21, 0
	v_and_b32_sdwa v6, v13, v68 dst_sel:DWORD dst_unused:UNUSED_PAD src0_sel:WORD_1 src1_sel:DWORD
	v_mov_b32_e32 v11, 0
	v_mov_b32_e32 v22, 0
	s_mov_b32 s15, exec_lo
	v_cmpx_ne_u16_e32 0, v6
	s_cbranch_execz .LBB204_870
; %bb.863:                              ;   in Loop: Header=BB204_675 Depth=1
	v_bfrev_b32_e32 v21, 1
	v_mov_b32_e32 v22, 0
	s_mov_b32 s17, exec_lo
	v_cmpx_ne_u16_e32 0x80, v6
	s_cbranch_execz .LBB204_869
; %bb.864:                              ;   in Loop: Header=BB204_675 Depth=1
	v_mov_b32_e32 v21, 0x7f800001
	v_bfe_u32 v14, v13, 16, 7
	v_mov_b32_e32 v22, 0
	s_mov_b32 s18, exec_lo
	v_cmpx_ne_u32_e32 0x7f, v14
	s_cbranch_execz .LBB204_868
; %bb.865:                              ;   in Loop: Header=BB204_675 Depth=1
	v_and_b32_sdwa v6, v13, v69 dst_sel:DWORD dst_unused:UNUSED_PAD src0_sel:WORD_1 src1_sel:DWORD
	v_lshrrev_b32_e32 v8, 3, v14
	s_mov_b32 s19, exec_lo
	v_cmpx_gt_u32_e32 8, v14
; %bb.866:                              ;   in Loop: Header=BB204_675 Depth=1
	v_ffbh_u32_e32 v8, v6
	v_min_u32_e32 v8, 32, v8
	v_subrev_nc_u32_e32 v14, 28, v8
	v_sub_nc_u32_e32 v8, 29, v8
	v_lshlrev_b64 v[21:22], v14, v[6:7]
	v_and_b32_e32 v6, 7, v21
; %bb.867:                              ;   in Loop: Header=BB204_675 Depth=1
	s_or_b32 exec_lo, exec_lo, s19
	v_lshlrev_b32_sdwa v14, v70, v13 dst_sel:DWORD dst_unused:UNUSED_PAD src0_sel:DWORD src1_sel:WORD_1
	v_lshlrev_b32_e32 v6, 20, v6
	v_lshl_add_u32 v8, v8, 23, 0x3c000000
	v_and_b32_e32 v14, 0x80000000, v14
	v_or3_b32 v6, v6, v14, v8
	v_mov_b32_e32 v22, v7
	v_mov_b32_e32 v21, v6
.LBB204_868:                            ;   in Loop: Header=BB204_675 Depth=1
	s_or_b32 exec_lo, exec_lo, s18
.LBB204_869:                            ;   in Loop: Header=BB204_675 Depth=1
	s_or_b32 exec_lo, exec_lo, s17
.LBB204_870:                            ;   in Loop: Header=BB204_675 Depth=1
	s_or_b32 exec_lo, exec_lo, s15
	s_mov_b32 s15, exec_lo
	v_cmpx_lt_u32_e32 0xffffff, v13
	s_cbranch_execz .LBB204_878
; %bb.871:                              ;   in Loop: Header=BB204_675 Depth=1
	v_mov_b32_e32 v8, v7
	v_mov_b32_e32 v11, v9
	v_cmp_ne_u32_sdwa s4, v13, v66 src0_sel:BYTE_3 src1_sel:DWORD
	v_mov_b32_e32 v10, v8
	s_and_saveexec_b32 s17, s4
	s_cbranch_execz .LBB204_877
; %bb.872:                              ;   in Loop: Header=BB204_675 Depth=1
	v_mov_b32_e32 v11, v7
	v_bfe_u32 v14, v13, 24, 7
	s_mov_b32 s18, exec_lo
	v_mov_b32_e32 v10, v11
	v_mov_b32_e32 v11, v12
	v_cmpx_ne_u32_e32 0x7f, v14
	s_cbranch_execz .LBB204_876
; %bb.873:                              ;   in Loop: Header=BB204_675 Depth=1
	v_and_b32_sdwa v6, v13, v69 dst_sel:DWORD dst_unused:UNUSED_PAD src0_sel:BYTE_3 src1_sel:DWORD
	v_lshrrev_b32_e32 v8, 3, v14
	s_mov_b32 s19, exec_lo
	v_cmpx_gt_u32_e32 8, v14
; %bb.874:                              ;   in Loop: Header=BB204_675 Depth=1
	v_ffbh_u32_e32 v8, v6
	v_min_u32_e32 v8, 32, v8
	v_subrev_nc_u32_e32 v10, 28, v8
	v_sub_nc_u32_e32 v8, 29, v8
	v_lshlrev_b64 v[10:11], v10, v[6:7]
	v_and_b32_e32 v6, 7, v10
; %bb.875:                              ;   in Loop: Header=BB204_675 Depth=1
	s_or_b32 exec_lo, exec_lo, s19
	v_lshlrev_b32_sdwa v10, v70, v13 dst_sel:DWORD dst_unused:UNUSED_PAD src0_sel:DWORD src1_sel:BYTE_3
	v_lshlrev_b32_e32 v6, 20, v6
	v_lshl_add_u32 v8, v8, 23, 0x3c000000
	v_and_b32_e32 v10, 0x80000000, v10
	v_or3_b32 v11, v6, v10, v8
	v_mov_b32_e32 v10, v7
.LBB204_876:                            ;   in Loop: Header=BB204_675 Depth=1
	s_or_b32 exec_lo, exec_lo, s18
.LBB204_877:                            ;   in Loop: Header=BB204_675 Depth=1
	s_or_b32 exec_lo, exec_lo, s17
.LBB204_878:                            ;   in Loop: Header=BB204_675 Depth=1
	s_or_b32 exec_lo, exec_lo, s15
	v_or_b32_e32 v6, v18, v16
	v_or_b32_e32 v8, v17, v15
	;; [unrolled: 1-line block ×4, first 2 shown]
	v_mul_f32_e32 v56, v83, v6
	v_mul_f32_e32 v46, v83, v8
	;; [unrolled: 1-line block ×4, first 2 shown]
	s_and_saveexec_b32 s15, vcc_lo
	s_cbranch_execz .LBB204_880
; %bb.879:                              ;   in Loop: Header=BB204_675 Depth=1
	v_cmp_lt_i32_e64 s4, v96, v47
	v_cndmask_b32_e64 v46, 0, v46, s4
	v_cmp_lt_i32_e64 s4, v99, v47
	v_cndmask_b32_e64 v56, 0, v56, s4
	;; [unrolled: 2-line block ×4, first 2 shown]
.LBB204_880:                            ;   in Loop: Header=BB204_675 Depth=1
	s_or_b32 exec_lo, exec_lo, s15
	flat_load_dword v13, v[0:1] offset:768
	v_mov_b32_e32 v17, 0
	v_mov_b32_e32 v15, 0
	;; [unrolled: 1-line block ×4, first 2 shown]
	s_waitcnt vmcnt(0) lgkmcnt(0)
	v_cmp_ne_u16_sdwa s4, v13, v7 src0_sel:BYTE_0 src1_sel:DWORD
	s_and_saveexec_b32 s15, s4
	s_cbranch_execz .LBB204_888
; %bb.881:                              ;   in Loop: Header=BB204_675 Depth=1
	v_bfrev_b32_e32 v15, 1
	v_mov_b32_e32 v16, 0
	v_cmp_ne_u16_sdwa s4, v13, v66 src0_sel:BYTE_0 src1_sel:DWORD
	s_and_saveexec_b32 s17, s4
	s_cbranch_execz .LBB204_887
; %bb.882:                              ;   in Loop: Header=BB204_675 Depth=1
	v_mov_b32_e32 v15, 0x7f800001
	v_and_b32_e32 v10, 0x7f, v13
	v_mov_b32_e32 v16, 0
	s_mov_b32 s18, exec_lo
	v_cmpx_ne_u32_e32 0x7f, v10
	s_cbranch_execz .LBB204_886
; %bb.883:                              ;   in Loop: Header=BB204_675 Depth=1
	v_and_b32_e32 v6, 7, v13
	v_lshrrev_b32_e32 v8, 3, v10
	s_mov_b32 s19, exec_lo
	v_cmpx_gt_u32_e32 8, v10
; %bb.884:                              ;   in Loop: Header=BB204_675 Depth=1
	v_ffbh_u32_e32 v8, v6
	v_min_u32_e32 v8, 32, v8
	v_subrev_nc_u32_e32 v10, 28, v8
	v_sub_nc_u32_e32 v8, 29, v8
	v_lshlrev_b64 v[10:11], v10, v[6:7]
	v_and_b32_e32 v6, 7, v10
; %bb.885:                              ;   in Loop: Header=BB204_675 Depth=1
	s_or_b32 exec_lo, exec_lo, s19
	v_lshlrev_b32_e32 v10, 24, v13
	v_lshlrev_b32_e32 v6, 20, v6
	v_lshl_add_u32 v8, v8, 23, 0x3c000000
	v_and_b32_e32 v10, 0x80000000, v10
	v_or3_b32 v6, v6, v10, v8
	v_mov_b32_e32 v16, v7
	v_mov_b32_e32 v15, v6
.LBB204_886:                            ;   in Loop: Header=BB204_675 Depth=1
	s_or_b32 exec_lo, exec_lo, s18
.LBB204_887:                            ;   in Loop: Header=BB204_675 Depth=1
	s_or_b32 exec_lo, exec_lo, s17
.LBB204_888:                            ;   in Loop: Header=BB204_675 Depth=1
	s_or_b32 exec_lo, exec_lo, s15
	v_cmp_ne_u16_sdwa s4, v13, v7 src0_sel:BYTE_1 src1_sel:DWORD
	s_and_saveexec_b32 s15, s4
	s_cbranch_execz .LBB204_896
; %bb.889:                              ;   in Loop: Header=BB204_675 Depth=1
	v_mov_b32_e32 v8, v7
	v_mov_b32_e32 v18, v9
	v_cmp_ne_u16_sdwa s4, v13, v66 src0_sel:BYTE_1 src1_sel:DWORD
	v_mov_b32_e32 v17, v8
	s_and_saveexec_b32 s17, s4
	s_cbranch_execz .LBB204_895
; %bb.890:                              ;   in Loop: Header=BB204_675 Depth=1
	v_and_b32_sdwa v6, v67, v13 dst_sel:DWORD dst_unused:UNUSED_PAD src0_sel:DWORD src1_sel:BYTE_1
	v_mov_b32_e32 v11, v7
	v_mov_b32_e32 v18, v12
	s_mov_b32 s18, exec_lo
	v_and_b32_e32 v10, 0x7f, v6
	v_mov_b32_e32 v17, v11
	v_cmpx_ne_u32_e32 0x7f, v10
	s_cbranch_execz .LBB204_894
; %bb.891:                              ;   in Loop: Header=BB204_675 Depth=1
	v_and_b32_e32 v6, 7, v6
	v_lshrrev_b32_e32 v8, 3, v10
	s_mov_b32 s19, exec_lo
	v_cmpx_gt_u32_e32 8, v10
; %bb.892:                              ;   in Loop: Header=BB204_675 Depth=1
	v_ffbh_u32_e32 v8, v6
	v_min_u32_e32 v8, 32, v8
	v_subrev_nc_u32_e32 v10, 28, v8
	v_sub_nc_u32_e32 v8, 29, v8
	v_lshlrev_b64 v[10:11], v10, v[6:7]
	v_and_b32_e32 v6, 7, v10
; %bb.893:                              ;   in Loop: Header=BB204_675 Depth=1
	s_or_b32 exec_lo, exec_lo, s19
	v_lshlrev_b32_e32 v10, 16, v13
	v_lshlrev_b32_e32 v6, 20, v6
	v_lshl_add_u32 v8, v8, 23, 0x3c000000
	v_mov_b32_e32 v17, v7
	v_and_b32_e32 v10, 0x80000000, v10
	v_or3_b32 v18, v6, v10, v8
.LBB204_894:                            ;   in Loop: Header=BB204_675 Depth=1
	s_or_b32 exec_lo, exec_lo, s18
.LBB204_895:                            ;   in Loop: Header=BB204_675 Depth=1
	s_or_b32 exec_lo, exec_lo, s17
.LBB204_896:                            ;   in Loop: Header=BB204_675 Depth=1
	s_or_b32 exec_lo, exec_lo, s15
	v_mov_b32_e32 v10, 0
	v_mov_b32_e32 v21, 0
	v_and_b32_sdwa v6, v13, v68 dst_sel:DWORD dst_unused:UNUSED_PAD src0_sel:WORD_1 src1_sel:DWORD
	v_mov_b32_e32 v11, 0
	v_mov_b32_e32 v22, 0
	s_mov_b32 s15, exec_lo
	v_cmpx_ne_u16_e32 0, v6
	s_cbranch_execz .LBB204_904
; %bb.897:                              ;   in Loop: Header=BB204_675 Depth=1
	v_bfrev_b32_e32 v21, 1
	v_mov_b32_e32 v22, 0
	s_mov_b32 s17, exec_lo
	v_cmpx_ne_u16_e32 0x80, v6
	s_cbranch_execz .LBB204_903
; %bb.898:                              ;   in Loop: Header=BB204_675 Depth=1
	v_mov_b32_e32 v21, 0x7f800001
	v_bfe_u32 v14, v13, 16, 7
	v_mov_b32_e32 v22, 0
	s_mov_b32 s18, exec_lo
	v_cmpx_ne_u32_e32 0x7f, v14
	s_cbranch_execz .LBB204_902
; %bb.899:                              ;   in Loop: Header=BB204_675 Depth=1
	v_and_b32_sdwa v6, v13, v69 dst_sel:DWORD dst_unused:UNUSED_PAD src0_sel:WORD_1 src1_sel:DWORD
	v_lshrrev_b32_e32 v8, 3, v14
	s_mov_b32 s19, exec_lo
	v_cmpx_gt_u32_e32 8, v14
; %bb.900:                              ;   in Loop: Header=BB204_675 Depth=1
	v_ffbh_u32_e32 v8, v6
	v_min_u32_e32 v8, 32, v8
	v_subrev_nc_u32_e32 v14, 28, v8
	v_sub_nc_u32_e32 v8, 29, v8
	v_lshlrev_b64 v[21:22], v14, v[6:7]
	v_and_b32_e32 v6, 7, v21
; %bb.901:                              ;   in Loop: Header=BB204_675 Depth=1
	s_or_b32 exec_lo, exec_lo, s19
	v_lshlrev_b32_sdwa v14, v70, v13 dst_sel:DWORD dst_unused:UNUSED_PAD src0_sel:DWORD src1_sel:WORD_1
	v_lshlrev_b32_e32 v6, 20, v6
	v_lshl_add_u32 v8, v8, 23, 0x3c000000
	v_and_b32_e32 v14, 0x80000000, v14
	v_or3_b32 v6, v6, v14, v8
	v_mov_b32_e32 v22, v7
	v_mov_b32_e32 v21, v6
.LBB204_902:                            ;   in Loop: Header=BB204_675 Depth=1
	s_or_b32 exec_lo, exec_lo, s18
.LBB204_903:                            ;   in Loop: Header=BB204_675 Depth=1
	s_or_b32 exec_lo, exec_lo, s17
.LBB204_904:                            ;   in Loop: Header=BB204_675 Depth=1
	s_or_b32 exec_lo, exec_lo, s15
	s_mov_b32 s15, exec_lo
	v_cmpx_lt_u32_e32 0xffffff, v13
	s_cbranch_execz .LBB204_912
; %bb.905:                              ;   in Loop: Header=BB204_675 Depth=1
	v_mov_b32_e32 v8, v7
	v_mov_b32_e32 v11, v9
	v_cmp_ne_u32_sdwa s4, v13, v66 src0_sel:BYTE_3 src1_sel:DWORD
	v_mov_b32_e32 v10, v8
	s_and_saveexec_b32 s17, s4
	s_cbranch_execz .LBB204_911
; %bb.906:                              ;   in Loop: Header=BB204_675 Depth=1
	v_mov_b32_e32 v11, v7
	v_bfe_u32 v14, v13, 24, 7
	s_mov_b32 s18, exec_lo
	v_mov_b32_e32 v10, v11
	v_mov_b32_e32 v11, v12
	v_cmpx_ne_u32_e32 0x7f, v14
	s_cbranch_execz .LBB204_910
; %bb.907:                              ;   in Loop: Header=BB204_675 Depth=1
	v_and_b32_sdwa v6, v13, v69 dst_sel:DWORD dst_unused:UNUSED_PAD src0_sel:BYTE_3 src1_sel:DWORD
	v_lshrrev_b32_e32 v8, 3, v14
	s_mov_b32 s19, exec_lo
	v_cmpx_gt_u32_e32 8, v14
; %bb.908:                              ;   in Loop: Header=BB204_675 Depth=1
	v_ffbh_u32_e32 v8, v6
	v_min_u32_e32 v8, 32, v8
	v_subrev_nc_u32_e32 v10, 28, v8
	v_sub_nc_u32_e32 v8, 29, v8
	v_lshlrev_b64 v[10:11], v10, v[6:7]
	v_and_b32_e32 v6, 7, v10
; %bb.909:                              ;   in Loop: Header=BB204_675 Depth=1
	s_or_b32 exec_lo, exec_lo, s19
	v_lshlrev_b32_sdwa v10, v70, v13 dst_sel:DWORD dst_unused:UNUSED_PAD src0_sel:DWORD src1_sel:BYTE_3
	v_lshlrev_b32_e32 v6, 20, v6
	v_lshl_add_u32 v8, v8, 23, 0x3c000000
	v_and_b32_e32 v10, 0x80000000, v10
	v_or3_b32 v11, v6, v10, v8
	v_mov_b32_e32 v10, v7
.LBB204_910:                            ;   in Loop: Header=BB204_675 Depth=1
	s_or_b32 exec_lo, exec_lo, s18
.LBB204_911:                            ;   in Loop: Header=BB204_675 Depth=1
	s_or_b32 exec_lo, exec_lo, s17
.LBB204_912:                            ;   in Loop: Header=BB204_675 Depth=1
	s_or_b32 exec_lo, exec_lo, s15
	v_or_b32_e32 v6, v18, v16
	v_or_b32_e32 v8, v17, v15
	v_or_b32_e32 v10, v10, v21
	v_or_b32_e32 v11, v11, v22
	v_mul_f32_e32 v60, v83, v6
	v_mul_f32_e32 v59, v83, v8
	;; [unrolled: 1-line block ×4, first 2 shown]
	s_and_saveexec_b32 s15, vcc_lo
	s_cbranch_execz .LBB204_914
; %bb.913:                              ;   in Loop: Header=BB204_675 Depth=1
	v_cmp_lt_i32_e64 s4, v96, v47
	v_cndmask_b32_e64 v59, 0, v59, s4
	v_cmp_lt_i32_e64 s4, v99, v47
	v_cndmask_b32_e64 v60, 0, v60, s4
	;; [unrolled: 2-line block ×4, first 2 shown]
.LBB204_914:                            ;   in Loop: Header=BB204_675 Depth=1
	s_or_b32 exec_lo, exec_lo, s15
	flat_load_dword v13, v[0:1] offset:896
	v_mov_b32_e32 v17, 0
	v_mov_b32_e32 v15, 0
	;; [unrolled: 1-line block ×4, first 2 shown]
	s_waitcnt vmcnt(0) lgkmcnt(0)
	v_cmp_ne_u16_sdwa s4, v13, v7 src0_sel:BYTE_0 src1_sel:DWORD
	s_and_saveexec_b32 s15, s4
	s_cbranch_execz .LBB204_922
; %bb.915:                              ;   in Loop: Header=BB204_675 Depth=1
	v_bfrev_b32_e32 v15, 1
	v_mov_b32_e32 v16, 0
	v_cmp_ne_u16_sdwa s4, v13, v66 src0_sel:BYTE_0 src1_sel:DWORD
	s_and_saveexec_b32 s17, s4
	s_cbranch_execz .LBB204_921
; %bb.916:                              ;   in Loop: Header=BB204_675 Depth=1
	v_mov_b32_e32 v15, 0x7f800001
	v_and_b32_e32 v10, 0x7f, v13
	v_mov_b32_e32 v16, 0
	s_mov_b32 s18, exec_lo
	v_cmpx_ne_u32_e32 0x7f, v10
	s_cbranch_execz .LBB204_920
; %bb.917:                              ;   in Loop: Header=BB204_675 Depth=1
	v_and_b32_e32 v6, 7, v13
	v_lshrrev_b32_e32 v8, 3, v10
	s_mov_b32 s19, exec_lo
	v_cmpx_gt_u32_e32 8, v10
; %bb.918:                              ;   in Loop: Header=BB204_675 Depth=1
	v_ffbh_u32_e32 v8, v6
	v_min_u32_e32 v8, 32, v8
	v_subrev_nc_u32_e32 v10, 28, v8
	v_sub_nc_u32_e32 v8, 29, v8
	v_lshlrev_b64 v[10:11], v10, v[6:7]
	v_and_b32_e32 v6, 7, v10
; %bb.919:                              ;   in Loop: Header=BB204_675 Depth=1
	s_or_b32 exec_lo, exec_lo, s19
	v_lshlrev_b32_e32 v10, 24, v13
	v_lshlrev_b32_e32 v6, 20, v6
	v_lshl_add_u32 v8, v8, 23, 0x3c000000
	v_and_b32_e32 v10, 0x80000000, v10
	v_or3_b32 v6, v6, v10, v8
	v_mov_b32_e32 v16, v7
	v_mov_b32_e32 v15, v6
.LBB204_920:                            ;   in Loop: Header=BB204_675 Depth=1
	s_or_b32 exec_lo, exec_lo, s18
.LBB204_921:                            ;   in Loop: Header=BB204_675 Depth=1
	s_or_b32 exec_lo, exec_lo, s17
.LBB204_922:                            ;   in Loop: Header=BB204_675 Depth=1
	s_or_b32 exec_lo, exec_lo, s15
	v_cmp_ne_u16_sdwa s4, v13, v7 src0_sel:BYTE_1 src1_sel:DWORD
	s_and_saveexec_b32 s15, s4
	s_cbranch_execz .LBB204_930
; %bb.923:                              ;   in Loop: Header=BB204_675 Depth=1
	v_mov_b32_e32 v8, v7
	v_mov_b32_e32 v18, v9
	v_cmp_ne_u16_sdwa s4, v13, v66 src0_sel:BYTE_1 src1_sel:DWORD
	v_mov_b32_e32 v17, v8
	s_and_saveexec_b32 s17, s4
	s_cbranch_execz .LBB204_929
; %bb.924:                              ;   in Loop: Header=BB204_675 Depth=1
	v_and_b32_sdwa v6, v67, v13 dst_sel:DWORD dst_unused:UNUSED_PAD src0_sel:DWORD src1_sel:BYTE_1
	v_mov_b32_e32 v11, v7
	v_mov_b32_e32 v18, v12
	s_mov_b32 s18, exec_lo
	v_and_b32_e32 v10, 0x7f, v6
	v_mov_b32_e32 v17, v11
	v_cmpx_ne_u32_e32 0x7f, v10
	s_cbranch_execz .LBB204_928
; %bb.925:                              ;   in Loop: Header=BB204_675 Depth=1
	v_and_b32_e32 v6, 7, v6
	v_lshrrev_b32_e32 v8, 3, v10
	s_mov_b32 s19, exec_lo
	v_cmpx_gt_u32_e32 8, v10
; %bb.926:                              ;   in Loop: Header=BB204_675 Depth=1
	v_ffbh_u32_e32 v8, v6
	v_min_u32_e32 v8, 32, v8
	v_subrev_nc_u32_e32 v10, 28, v8
	v_sub_nc_u32_e32 v8, 29, v8
	v_lshlrev_b64 v[10:11], v10, v[6:7]
	v_and_b32_e32 v6, 7, v10
; %bb.927:                              ;   in Loop: Header=BB204_675 Depth=1
	s_or_b32 exec_lo, exec_lo, s19
	v_lshlrev_b32_e32 v10, 16, v13
	v_lshlrev_b32_e32 v6, 20, v6
	v_lshl_add_u32 v8, v8, 23, 0x3c000000
	v_mov_b32_e32 v17, v7
	v_and_b32_e32 v10, 0x80000000, v10
	v_or3_b32 v18, v6, v10, v8
.LBB204_928:                            ;   in Loop: Header=BB204_675 Depth=1
	s_or_b32 exec_lo, exec_lo, s18
.LBB204_929:                            ;   in Loop: Header=BB204_675 Depth=1
	s_or_b32 exec_lo, exec_lo, s17
.LBB204_930:                            ;   in Loop: Header=BB204_675 Depth=1
	s_or_b32 exec_lo, exec_lo, s15
	v_mov_b32_e32 v10, 0
	v_mov_b32_e32 v21, 0
	v_and_b32_sdwa v6, v13, v68 dst_sel:DWORD dst_unused:UNUSED_PAD src0_sel:WORD_1 src1_sel:DWORD
	v_mov_b32_e32 v11, 0
	v_mov_b32_e32 v22, 0
	s_mov_b32 s15, exec_lo
	v_cmpx_ne_u16_e32 0, v6
	s_cbranch_execz .LBB204_938
; %bb.931:                              ;   in Loop: Header=BB204_675 Depth=1
	v_bfrev_b32_e32 v21, 1
	v_mov_b32_e32 v22, 0
	s_mov_b32 s17, exec_lo
	v_cmpx_ne_u16_e32 0x80, v6
	s_cbranch_execz .LBB204_937
; %bb.932:                              ;   in Loop: Header=BB204_675 Depth=1
	v_mov_b32_e32 v21, 0x7f800001
	v_bfe_u32 v14, v13, 16, 7
	v_mov_b32_e32 v22, 0
	s_mov_b32 s18, exec_lo
	v_cmpx_ne_u32_e32 0x7f, v14
	s_cbranch_execz .LBB204_936
; %bb.933:                              ;   in Loop: Header=BB204_675 Depth=1
	v_and_b32_sdwa v6, v13, v69 dst_sel:DWORD dst_unused:UNUSED_PAD src0_sel:WORD_1 src1_sel:DWORD
	v_lshrrev_b32_e32 v8, 3, v14
	s_mov_b32 s19, exec_lo
	v_cmpx_gt_u32_e32 8, v14
; %bb.934:                              ;   in Loop: Header=BB204_675 Depth=1
	v_ffbh_u32_e32 v8, v6
	v_min_u32_e32 v8, 32, v8
	v_subrev_nc_u32_e32 v14, 28, v8
	v_sub_nc_u32_e32 v8, 29, v8
	v_lshlrev_b64 v[21:22], v14, v[6:7]
	v_and_b32_e32 v6, 7, v21
; %bb.935:                              ;   in Loop: Header=BB204_675 Depth=1
	s_or_b32 exec_lo, exec_lo, s19
	v_lshlrev_b32_sdwa v14, v70, v13 dst_sel:DWORD dst_unused:UNUSED_PAD src0_sel:DWORD src1_sel:WORD_1
	v_lshlrev_b32_e32 v6, 20, v6
	v_lshl_add_u32 v8, v8, 23, 0x3c000000
	v_and_b32_e32 v14, 0x80000000, v14
	v_or3_b32 v6, v6, v14, v8
	v_mov_b32_e32 v22, v7
	v_mov_b32_e32 v21, v6
.LBB204_936:                            ;   in Loop: Header=BB204_675 Depth=1
	s_or_b32 exec_lo, exec_lo, s18
.LBB204_937:                            ;   in Loop: Header=BB204_675 Depth=1
	s_or_b32 exec_lo, exec_lo, s17
.LBB204_938:                            ;   in Loop: Header=BB204_675 Depth=1
	s_or_b32 exec_lo, exec_lo, s15
	s_mov_b32 s15, exec_lo
	v_cmpx_lt_u32_e32 0xffffff, v13
	s_cbranch_execz .LBB204_946
; %bb.939:                              ;   in Loop: Header=BB204_675 Depth=1
	v_mov_b32_e32 v8, v7
	v_mov_b32_e32 v11, v9
	v_cmp_ne_u32_sdwa s4, v13, v66 src0_sel:BYTE_3 src1_sel:DWORD
	v_mov_b32_e32 v10, v8
	s_and_saveexec_b32 s17, s4
	s_cbranch_execz .LBB204_945
; %bb.940:                              ;   in Loop: Header=BB204_675 Depth=1
	v_mov_b32_e32 v11, v7
	v_bfe_u32 v14, v13, 24, 7
	s_mov_b32 s18, exec_lo
	v_mov_b32_e32 v10, v11
	v_mov_b32_e32 v11, v12
	v_cmpx_ne_u32_e32 0x7f, v14
	s_cbranch_execz .LBB204_944
; %bb.941:                              ;   in Loop: Header=BB204_675 Depth=1
	v_and_b32_sdwa v6, v13, v69 dst_sel:DWORD dst_unused:UNUSED_PAD src0_sel:BYTE_3 src1_sel:DWORD
	v_lshrrev_b32_e32 v8, 3, v14
	s_mov_b32 s19, exec_lo
	v_cmpx_gt_u32_e32 8, v14
; %bb.942:                              ;   in Loop: Header=BB204_675 Depth=1
	v_ffbh_u32_e32 v8, v6
	v_min_u32_e32 v8, 32, v8
	v_subrev_nc_u32_e32 v10, 28, v8
	v_sub_nc_u32_e32 v8, 29, v8
	v_lshlrev_b64 v[10:11], v10, v[6:7]
	v_and_b32_e32 v6, 7, v10
; %bb.943:                              ;   in Loop: Header=BB204_675 Depth=1
	s_or_b32 exec_lo, exec_lo, s19
	v_lshlrev_b32_sdwa v10, v70, v13 dst_sel:DWORD dst_unused:UNUSED_PAD src0_sel:DWORD src1_sel:BYTE_3
	v_lshlrev_b32_e32 v6, 20, v6
	v_lshl_add_u32 v8, v8, 23, 0x3c000000
	v_and_b32_e32 v10, 0x80000000, v10
	v_or3_b32 v11, v6, v10, v8
	v_mov_b32_e32 v10, v7
.LBB204_944:                            ;   in Loop: Header=BB204_675 Depth=1
	s_or_b32 exec_lo, exec_lo, s18
.LBB204_945:                            ;   in Loop: Header=BB204_675 Depth=1
	s_or_b32 exec_lo, exec_lo, s17
.LBB204_946:                            ;   in Loop: Header=BB204_675 Depth=1
	s_or_b32 exec_lo, exec_lo, s15
	v_or_b32_e32 v6, v18, v16
	v_or_b32_e32 v8, v17, v15
	;; [unrolled: 1-line block ×4, first 2 shown]
	v_mul_f32_e32 v72, v83, v6
	v_mul_f32_e32 v63, v83, v8
	;; [unrolled: 1-line block ×4, first 2 shown]
	s_and_saveexec_b32 s15, vcc_lo
	s_cbranch_execz .LBB204_948
; %bb.947:                              ;   in Loop: Header=BB204_675 Depth=1
	v_cmp_lt_i32_e64 s4, v96, v47
	v_cndmask_b32_e64 v63, 0, v63, s4
	v_cmp_lt_i32_e64 s4, v99, v47
	v_cndmask_b32_e64 v72, 0, v72, s4
	;; [unrolled: 2-line block ×4, first 2 shown]
.LBB204_948:                            ;   in Loop: Header=BB204_675 Depth=1
	s_or_b32 exec_lo, exec_lo, s15
	flat_load_dword v13, v[0:1] offset:1024
	v_mov_b32_e32 v17, 0
	v_mov_b32_e32 v15, 0
	;; [unrolled: 1-line block ×4, first 2 shown]
	s_waitcnt vmcnt(0) lgkmcnt(0)
	v_cmp_ne_u16_sdwa s4, v13, v7 src0_sel:BYTE_0 src1_sel:DWORD
	s_and_saveexec_b32 s15, s4
	s_cbranch_execz .LBB204_956
; %bb.949:                              ;   in Loop: Header=BB204_675 Depth=1
	v_bfrev_b32_e32 v15, 1
	v_mov_b32_e32 v16, 0
	v_cmp_ne_u16_sdwa s4, v13, v66 src0_sel:BYTE_0 src1_sel:DWORD
	s_and_saveexec_b32 s17, s4
	s_cbranch_execz .LBB204_955
; %bb.950:                              ;   in Loop: Header=BB204_675 Depth=1
	v_mov_b32_e32 v15, 0x7f800001
	v_and_b32_e32 v10, 0x7f, v13
	v_mov_b32_e32 v16, 0
	s_mov_b32 s18, exec_lo
	v_cmpx_ne_u32_e32 0x7f, v10
	s_cbranch_execz .LBB204_954
; %bb.951:                              ;   in Loop: Header=BB204_675 Depth=1
	v_and_b32_e32 v6, 7, v13
	v_lshrrev_b32_e32 v8, 3, v10
	s_mov_b32 s19, exec_lo
	v_cmpx_gt_u32_e32 8, v10
; %bb.952:                              ;   in Loop: Header=BB204_675 Depth=1
	v_ffbh_u32_e32 v8, v6
	v_min_u32_e32 v8, 32, v8
	v_subrev_nc_u32_e32 v10, 28, v8
	v_sub_nc_u32_e32 v8, 29, v8
	v_lshlrev_b64 v[10:11], v10, v[6:7]
	v_and_b32_e32 v6, 7, v10
; %bb.953:                              ;   in Loop: Header=BB204_675 Depth=1
	s_or_b32 exec_lo, exec_lo, s19
	v_lshlrev_b32_e32 v10, 24, v13
	v_lshlrev_b32_e32 v6, 20, v6
	v_lshl_add_u32 v8, v8, 23, 0x3c000000
	v_and_b32_e32 v10, 0x80000000, v10
	v_or3_b32 v6, v6, v10, v8
	v_mov_b32_e32 v16, v7
	v_mov_b32_e32 v15, v6
.LBB204_954:                            ;   in Loop: Header=BB204_675 Depth=1
	s_or_b32 exec_lo, exec_lo, s18
.LBB204_955:                            ;   in Loop: Header=BB204_675 Depth=1
	s_or_b32 exec_lo, exec_lo, s17
.LBB204_956:                            ;   in Loop: Header=BB204_675 Depth=1
	s_or_b32 exec_lo, exec_lo, s15
	v_cmp_ne_u16_sdwa s4, v13, v7 src0_sel:BYTE_1 src1_sel:DWORD
	s_and_saveexec_b32 s15, s4
	s_cbranch_execz .LBB204_964
; %bb.957:                              ;   in Loop: Header=BB204_675 Depth=1
	v_mov_b32_e32 v8, v7
	v_mov_b32_e32 v18, v9
	v_cmp_ne_u16_sdwa s4, v13, v66 src0_sel:BYTE_1 src1_sel:DWORD
	v_mov_b32_e32 v17, v8
	s_and_saveexec_b32 s17, s4
	s_cbranch_execz .LBB204_963
; %bb.958:                              ;   in Loop: Header=BB204_675 Depth=1
	v_and_b32_sdwa v6, v67, v13 dst_sel:DWORD dst_unused:UNUSED_PAD src0_sel:DWORD src1_sel:BYTE_1
	v_mov_b32_e32 v11, v7
	v_mov_b32_e32 v18, v12
	s_mov_b32 s18, exec_lo
	v_and_b32_e32 v10, 0x7f, v6
	v_mov_b32_e32 v17, v11
	v_cmpx_ne_u32_e32 0x7f, v10
	s_cbranch_execz .LBB204_962
; %bb.959:                              ;   in Loop: Header=BB204_675 Depth=1
	v_and_b32_e32 v6, 7, v6
	v_lshrrev_b32_e32 v8, 3, v10
	s_mov_b32 s19, exec_lo
	v_cmpx_gt_u32_e32 8, v10
; %bb.960:                              ;   in Loop: Header=BB204_675 Depth=1
	v_ffbh_u32_e32 v8, v6
	v_min_u32_e32 v8, 32, v8
	v_subrev_nc_u32_e32 v10, 28, v8
	v_sub_nc_u32_e32 v8, 29, v8
	v_lshlrev_b64 v[10:11], v10, v[6:7]
	v_and_b32_e32 v6, 7, v10
; %bb.961:                              ;   in Loop: Header=BB204_675 Depth=1
	s_or_b32 exec_lo, exec_lo, s19
	v_lshlrev_b32_e32 v10, 16, v13
	v_lshlrev_b32_e32 v6, 20, v6
	v_lshl_add_u32 v8, v8, 23, 0x3c000000
	v_mov_b32_e32 v17, v7
	v_and_b32_e32 v10, 0x80000000, v10
	v_or3_b32 v18, v6, v10, v8
.LBB204_962:                            ;   in Loop: Header=BB204_675 Depth=1
	s_or_b32 exec_lo, exec_lo, s18
.LBB204_963:                            ;   in Loop: Header=BB204_675 Depth=1
	s_or_b32 exec_lo, exec_lo, s17
.LBB204_964:                            ;   in Loop: Header=BB204_675 Depth=1
	s_or_b32 exec_lo, exec_lo, s15
	v_mov_b32_e32 v10, 0
	v_mov_b32_e32 v21, 0
	v_and_b32_sdwa v6, v13, v68 dst_sel:DWORD dst_unused:UNUSED_PAD src0_sel:WORD_1 src1_sel:DWORD
	v_mov_b32_e32 v11, 0
	v_mov_b32_e32 v22, 0
	s_mov_b32 s15, exec_lo
	v_cmpx_ne_u16_e32 0, v6
	s_cbranch_execz .LBB204_972
; %bb.965:                              ;   in Loop: Header=BB204_675 Depth=1
	v_bfrev_b32_e32 v21, 1
	v_mov_b32_e32 v22, 0
	s_mov_b32 s17, exec_lo
	v_cmpx_ne_u16_e32 0x80, v6
	s_cbranch_execz .LBB204_971
; %bb.966:                              ;   in Loop: Header=BB204_675 Depth=1
	v_mov_b32_e32 v21, 0x7f800001
	v_bfe_u32 v14, v13, 16, 7
	v_mov_b32_e32 v22, 0
	s_mov_b32 s18, exec_lo
	v_cmpx_ne_u32_e32 0x7f, v14
	s_cbranch_execz .LBB204_970
; %bb.967:                              ;   in Loop: Header=BB204_675 Depth=1
	v_and_b32_sdwa v6, v13, v69 dst_sel:DWORD dst_unused:UNUSED_PAD src0_sel:WORD_1 src1_sel:DWORD
	v_lshrrev_b32_e32 v8, 3, v14
	s_mov_b32 s19, exec_lo
	v_cmpx_gt_u32_e32 8, v14
; %bb.968:                              ;   in Loop: Header=BB204_675 Depth=1
	v_ffbh_u32_e32 v8, v6
	v_min_u32_e32 v8, 32, v8
	v_subrev_nc_u32_e32 v14, 28, v8
	v_sub_nc_u32_e32 v8, 29, v8
	v_lshlrev_b64 v[21:22], v14, v[6:7]
	v_and_b32_e32 v6, 7, v21
; %bb.969:                              ;   in Loop: Header=BB204_675 Depth=1
	s_or_b32 exec_lo, exec_lo, s19
	v_lshlrev_b32_sdwa v14, v70, v13 dst_sel:DWORD dst_unused:UNUSED_PAD src0_sel:DWORD src1_sel:WORD_1
	v_lshlrev_b32_e32 v6, 20, v6
	v_lshl_add_u32 v8, v8, 23, 0x3c000000
	v_and_b32_e32 v14, 0x80000000, v14
	v_or3_b32 v6, v6, v14, v8
	v_mov_b32_e32 v22, v7
	v_mov_b32_e32 v21, v6
.LBB204_970:                            ;   in Loop: Header=BB204_675 Depth=1
	s_or_b32 exec_lo, exec_lo, s18
.LBB204_971:                            ;   in Loop: Header=BB204_675 Depth=1
	s_or_b32 exec_lo, exec_lo, s17
.LBB204_972:                            ;   in Loop: Header=BB204_675 Depth=1
	s_or_b32 exec_lo, exec_lo, s15
	s_mov_b32 s15, exec_lo
	v_cmpx_lt_u32_e32 0xffffff, v13
	s_cbranch_execz .LBB204_980
; %bb.973:                              ;   in Loop: Header=BB204_675 Depth=1
	v_mov_b32_e32 v8, v7
	v_mov_b32_e32 v11, v9
	v_cmp_ne_u32_sdwa s4, v13, v66 src0_sel:BYTE_3 src1_sel:DWORD
	v_mov_b32_e32 v10, v8
	s_and_saveexec_b32 s17, s4
	s_cbranch_execz .LBB204_979
; %bb.974:                              ;   in Loop: Header=BB204_675 Depth=1
	v_mov_b32_e32 v11, v7
	v_bfe_u32 v14, v13, 24, 7
	s_mov_b32 s18, exec_lo
	v_mov_b32_e32 v10, v11
	v_mov_b32_e32 v11, v12
	v_cmpx_ne_u32_e32 0x7f, v14
	s_cbranch_execz .LBB204_978
; %bb.975:                              ;   in Loop: Header=BB204_675 Depth=1
	v_and_b32_sdwa v6, v13, v69 dst_sel:DWORD dst_unused:UNUSED_PAD src0_sel:BYTE_3 src1_sel:DWORD
	v_lshrrev_b32_e32 v8, 3, v14
	s_mov_b32 s19, exec_lo
	v_cmpx_gt_u32_e32 8, v14
; %bb.976:                              ;   in Loop: Header=BB204_675 Depth=1
	v_ffbh_u32_e32 v8, v6
	v_min_u32_e32 v8, 32, v8
	v_subrev_nc_u32_e32 v10, 28, v8
	v_sub_nc_u32_e32 v8, 29, v8
	v_lshlrev_b64 v[10:11], v10, v[6:7]
	v_and_b32_e32 v6, 7, v10
; %bb.977:                              ;   in Loop: Header=BB204_675 Depth=1
	s_or_b32 exec_lo, exec_lo, s19
	v_lshlrev_b32_sdwa v10, v70, v13 dst_sel:DWORD dst_unused:UNUSED_PAD src0_sel:DWORD src1_sel:BYTE_3
	v_lshlrev_b32_e32 v6, 20, v6
	v_lshl_add_u32 v8, v8, 23, 0x3c000000
	v_and_b32_e32 v10, 0x80000000, v10
	v_or3_b32 v11, v6, v10, v8
	v_mov_b32_e32 v10, v7
.LBB204_978:                            ;   in Loop: Header=BB204_675 Depth=1
	s_or_b32 exec_lo, exec_lo, s18
.LBB204_979:                            ;   in Loop: Header=BB204_675 Depth=1
	s_or_b32 exec_lo, exec_lo, s17
.LBB204_980:                            ;   in Loop: Header=BB204_675 Depth=1
	s_or_b32 exec_lo, exec_lo, s15
	v_or_b32_e32 v6, v18, v16
	v_or_b32_e32 v8, v17, v15
	;; [unrolled: 1-line block ×4, first 2 shown]
	v_mul_f32_e32 v76, v83, v6
	v_mul_f32_e32 v75, v83, v8
	;; [unrolled: 1-line block ×4, first 2 shown]
	s_and_saveexec_b32 s15, vcc_lo
	s_cbranch_execz .LBB204_982
; %bb.981:                              ;   in Loop: Header=BB204_675 Depth=1
	v_cmp_lt_i32_e64 s4, v96, v47
	v_cndmask_b32_e64 v75, 0, v75, s4
	v_cmp_lt_i32_e64 s4, v99, v47
	v_cndmask_b32_e64 v76, 0, v76, s4
	;; [unrolled: 2-line block ×4, first 2 shown]
.LBB204_982:                            ;   in Loop: Header=BB204_675 Depth=1
	s_or_b32 exec_lo, exec_lo, s15
	flat_load_dword v13, v[0:1] offset:1152
	v_mov_b32_e32 v17, 0
	v_mov_b32_e32 v15, 0
	v_mov_b32_e32 v18, 0
	v_mov_b32_e32 v16, 0
	s_waitcnt vmcnt(0) lgkmcnt(0)
	v_cmp_ne_u16_sdwa s4, v13, v7 src0_sel:BYTE_0 src1_sel:DWORD
	s_and_saveexec_b32 s15, s4
	s_cbranch_execz .LBB204_990
; %bb.983:                              ;   in Loop: Header=BB204_675 Depth=1
	v_bfrev_b32_e32 v15, 1
	v_mov_b32_e32 v16, 0
	v_cmp_ne_u16_sdwa s4, v13, v66 src0_sel:BYTE_0 src1_sel:DWORD
	s_and_saveexec_b32 s17, s4
	s_cbranch_execz .LBB204_989
; %bb.984:                              ;   in Loop: Header=BB204_675 Depth=1
	v_mov_b32_e32 v15, 0x7f800001
	v_and_b32_e32 v10, 0x7f, v13
	v_mov_b32_e32 v16, 0
	s_mov_b32 s18, exec_lo
	v_cmpx_ne_u32_e32 0x7f, v10
	s_cbranch_execz .LBB204_988
; %bb.985:                              ;   in Loop: Header=BB204_675 Depth=1
	v_and_b32_e32 v6, 7, v13
	v_lshrrev_b32_e32 v8, 3, v10
	s_mov_b32 s19, exec_lo
	v_cmpx_gt_u32_e32 8, v10
; %bb.986:                              ;   in Loop: Header=BB204_675 Depth=1
	v_ffbh_u32_e32 v8, v6
	v_min_u32_e32 v8, 32, v8
	v_subrev_nc_u32_e32 v10, 28, v8
	v_sub_nc_u32_e32 v8, 29, v8
	v_lshlrev_b64 v[10:11], v10, v[6:7]
	v_and_b32_e32 v6, 7, v10
; %bb.987:                              ;   in Loop: Header=BB204_675 Depth=1
	s_or_b32 exec_lo, exec_lo, s19
	v_lshlrev_b32_e32 v10, 24, v13
	v_lshlrev_b32_e32 v6, 20, v6
	v_lshl_add_u32 v8, v8, 23, 0x3c000000
	v_and_b32_e32 v10, 0x80000000, v10
	v_or3_b32 v6, v6, v10, v8
	v_mov_b32_e32 v16, v7
	v_mov_b32_e32 v15, v6
.LBB204_988:                            ;   in Loop: Header=BB204_675 Depth=1
	s_or_b32 exec_lo, exec_lo, s18
.LBB204_989:                            ;   in Loop: Header=BB204_675 Depth=1
	s_or_b32 exec_lo, exec_lo, s17
.LBB204_990:                            ;   in Loop: Header=BB204_675 Depth=1
	s_or_b32 exec_lo, exec_lo, s15
	v_cmp_ne_u16_sdwa s4, v13, v7 src0_sel:BYTE_1 src1_sel:DWORD
	s_and_saveexec_b32 s15, s4
	s_cbranch_execz .LBB204_998
; %bb.991:                              ;   in Loop: Header=BB204_675 Depth=1
	v_mov_b32_e32 v8, v7
	v_mov_b32_e32 v18, v9
	v_cmp_ne_u16_sdwa s4, v13, v66 src0_sel:BYTE_1 src1_sel:DWORD
	v_mov_b32_e32 v17, v8
	s_and_saveexec_b32 s17, s4
	s_cbranch_execz .LBB204_997
; %bb.992:                              ;   in Loop: Header=BB204_675 Depth=1
	v_and_b32_sdwa v6, v67, v13 dst_sel:DWORD dst_unused:UNUSED_PAD src0_sel:DWORD src1_sel:BYTE_1
	v_mov_b32_e32 v11, v7
	v_mov_b32_e32 v18, v12
	s_mov_b32 s18, exec_lo
	v_and_b32_e32 v10, 0x7f, v6
	v_mov_b32_e32 v17, v11
	v_cmpx_ne_u32_e32 0x7f, v10
	s_cbranch_execz .LBB204_996
; %bb.993:                              ;   in Loop: Header=BB204_675 Depth=1
	v_and_b32_e32 v6, 7, v6
	v_lshrrev_b32_e32 v8, 3, v10
	s_mov_b32 s19, exec_lo
	v_cmpx_gt_u32_e32 8, v10
; %bb.994:                              ;   in Loop: Header=BB204_675 Depth=1
	v_ffbh_u32_e32 v8, v6
	v_min_u32_e32 v8, 32, v8
	v_subrev_nc_u32_e32 v10, 28, v8
	v_sub_nc_u32_e32 v8, 29, v8
	v_lshlrev_b64 v[10:11], v10, v[6:7]
	v_and_b32_e32 v6, 7, v10
; %bb.995:                              ;   in Loop: Header=BB204_675 Depth=1
	s_or_b32 exec_lo, exec_lo, s19
	v_lshlrev_b32_e32 v10, 16, v13
	v_lshlrev_b32_e32 v6, 20, v6
	v_lshl_add_u32 v8, v8, 23, 0x3c000000
	v_mov_b32_e32 v17, v7
	v_and_b32_e32 v10, 0x80000000, v10
	v_or3_b32 v18, v6, v10, v8
.LBB204_996:                            ;   in Loop: Header=BB204_675 Depth=1
	s_or_b32 exec_lo, exec_lo, s18
.LBB204_997:                            ;   in Loop: Header=BB204_675 Depth=1
	s_or_b32 exec_lo, exec_lo, s17
.LBB204_998:                            ;   in Loop: Header=BB204_675 Depth=1
	s_or_b32 exec_lo, exec_lo, s15
	v_mov_b32_e32 v10, 0
	v_mov_b32_e32 v21, 0
	v_and_b32_sdwa v6, v13, v68 dst_sel:DWORD dst_unused:UNUSED_PAD src0_sel:WORD_1 src1_sel:DWORD
	v_mov_b32_e32 v11, 0
	v_mov_b32_e32 v22, 0
	s_mov_b32 s15, exec_lo
	v_cmpx_ne_u16_e32 0, v6
	s_cbranch_execz .LBB204_1006
; %bb.999:                              ;   in Loop: Header=BB204_675 Depth=1
	v_bfrev_b32_e32 v21, 1
	v_mov_b32_e32 v22, 0
	s_mov_b32 s17, exec_lo
	v_cmpx_ne_u16_e32 0x80, v6
	s_cbranch_execz .LBB204_1005
; %bb.1000:                             ;   in Loop: Header=BB204_675 Depth=1
	v_mov_b32_e32 v21, 0x7f800001
	v_bfe_u32 v14, v13, 16, 7
	v_mov_b32_e32 v22, 0
	s_mov_b32 s18, exec_lo
	v_cmpx_ne_u32_e32 0x7f, v14
	s_cbranch_execz .LBB204_1004
; %bb.1001:                             ;   in Loop: Header=BB204_675 Depth=1
	v_and_b32_sdwa v6, v13, v69 dst_sel:DWORD dst_unused:UNUSED_PAD src0_sel:WORD_1 src1_sel:DWORD
	v_lshrrev_b32_e32 v8, 3, v14
	s_mov_b32 s19, exec_lo
	v_cmpx_gt_u32_e32 8, v14
; %bb.1002:                             ;   in Loop: Header=BB204_675 Depth=1
	v_ffbh_u32_e32 v8, v6
	v_min_u32_e32 v8, 32, v8
	v_subrev_nc_u32_e32 v14, 28, v8
	v_sub_nc_u32_e32 v8, 29, v8
	v_lshlrev_b64 v[21:22], v14, v[6:7]
	v_and_b32_e32 v6, 7, v21
; %bb.1003:                             ;   in Loop: Header=BB204_675 Depth=1
	s_or_b32 exec_lo, exec_lo, s19
	v_lshlrev_b32_sdwa v14, v70, v13 dst_sel:DWORD dst_unused:UNUSED_PAD src0_sel:DWORD src1_sel:WORD_1
	v_lshlrev_b32_e32 v6, 20, v6
	v_lshl_add_u32 v8, v8, 23, 0x3c000000
	v_and_b32_e32 v14, 0x80000000, v14
	v_or3_b32 v6, v6, v14, v8
	v_mov_b32_e32 v22, v7
	v_mov_b32_e32 v21, v6
.LBB204_1004:                           ;   in Loop: Header=BB204_675 Depth=1
	s_or_b32 exec_lo, exec_lo, s18
.LBB204_1005:                           ;   in Loop: Header=BB204_675 Depth=1
	s_or_b32 exec_lo, exec_lo, s17
.LBB204_1006:                           ;   in Loop: Header=BB204_675 Depth=1
	s_or_b32 exec_lo, exec_lo, s15
	s_mov_b32 s15, exec_lo
	v_cmpx_lt_u32_e32 0xffffff, v13
	s_cbranch_execz .LBB204_1014
; %bb.1007:                             ;   in Loop: Header=BB204_675 Depth=1
	v_mov_b32_e32 v8, v7
	v_mov_b32_e32 v11, v9
	v_cmp_ne_u32_sdwa s4, v13, v66 src0_sel:BYTE_3 src1_sel:DWORD
	v_mov_b32_e32 v10, v8
	s_and_saveexec_b32 s17, s4
	s_cbranch_execz .LBB204_1013
; %bb.1008:                             ;   in Loop: Header=BB204_675 Depth=1
	v_mov_b32_e32 v11, v7
	v_bfe_u32 v14, v13, 24, 7
	s_mov_b32 s18, exec_lo
	v_mov_b32_e32 v10, v11
	v_mov_b32_e32 v11, v12
	v_cmpx_ne_u32_e32 0x7f, v14
	s_cbranch_execz .LBB204_1012
; %bb.1009:                             ;   in Loop: Header=BB204_675 Depth=1
	v_and_b32_sdwa v6, v13, v69 dst_sel:DWORD dst_unused:UNUSED_PAD src0_sel:BYTE_3 src1_sel:DWORD
	v_lshrrev_b32_e32 v8, 3, v14
	s_mov_b32 s19, exec_lo
	v_cmpx_gt_u32_e32 8, v14
; %bb.1010:                             ;   in Loop: Header=BB204_675 Depth=1
	v_ffbh_u32_e32 v8, v6
	v_min_u32_e32 v8, 32, v8
	v_subrev_nc_u32_e32 v10, 28, v8
	v_sub_nc_u32_e32 v8, 29, v8
	v_lshlrev_b64 v[10:11], v10, v[6:7]
	v_and_b32_e32 v6, 7, v10
; %bb.1011:                             ;   in Loop: Header=BB204_675 Depth=1
	s_or_b32 exec_lo, exec_lo, s19
	v_lshlrev_b32_sdwa v10, v70, v13 dst_sel:DWORD dst_unused:UNUSED_PAD src0_sel:DWORD src1_sel:BYTE_3
	v_lshlrev_b32_e32 v6, 20, v6
	v_lshl_add_u32 v8, v8, 23, 0x3c000000
	v_and_b32_e32 v10, 0x80000000, v10
	v_or3_b32 v11, v6, v10, v8
	v_mov_b32_e32 v10, v7
.LBB204_1012:                           ;   in Loop: Header=BB204_675 Depth=1
	s_or_b32 exec_lo, exec_lo, s18
.LBB204_1013:                           ;   in Loop: Header=BB204_675 Depth=1
	s_or_b32 exec_lo, exec_lo, s17
.LBB204_1014:                           ;   in Loop: Header=BB204_675 Depth=1
	s_or_b32 exec_lo, exec_lo, s15
	v_or_b32_e32 v6, v18, v16
	v_or_b32_e32 v8, v17, v15
	;; [unrolled: 1-line block ×4, first 2 shown]
	v_mul_f32_e32 v88, v83, v6
	v_mul_f32_e32 v79, v83, v8
	;; [unrolled: 1-line block ×4, first 2 shown]
	s_and_saveexec_b32 s15, vcc_lo
	s_cbranch_execz .LBB204_1016
; %bb.1015:                             ;   in Loop: Header=BB204_675 Depth=1
	v_cmp_lt_i32_e64 s4, v96, v47
	v_cndmask_b32_e64 v79, 0, v79, s4
	v_cmp_lt_i32_e64 s4, v99, v47
	v_cndmask_b32_e64 v88, 0, v88, s4
	;; [unrolled: 2-line block ×4, first 2 shown]
.LBB204_1016:                           ;   in Loop: Header=BB204_675 Depth=1
	s_or_b32 exec_lo, exec_lo, s15
	flat_load_dword v13, v[0:1] offset:1280
	v_mov_b32_e32 v17, 0
	v_mov_b32_e32 v15, 0
	;; [unrolled: 1-line block ×4, first 2 shown]
	s_waitcnt vmcnt(0) lgkmcnt(0)
	v_cmp_ne_u16_sdwa s4, v13, v7 src0_sel:BYTE_0 src1_sel:DWORD
	s_and_saveexec_b32 s15, s4
	s_cbranch_execz .LBB204_1024
; %bb.1017:                             ;   in Loop: Header=BB204_675 Depth=1
	v_bfrev_b32_e32 v15, 1
	v_mov_b32_e32 v16, 0
	v_cmp_ne_u16_sdwa s4, v13, v66 src0_sel:BYTE_0 src1_sel:DWORD
	s_and_saveexec_b32 s17, s4
	s_cbranch_execz .LBB204_1023
; %bb.1018:                             ;   in Loop: Header=BB204_675 Depth=1
	v_mov_b32_e32 v15, 0x7f800001
	v_and_b32_e32 v10, 0x7f, v13
	v_mov_b32_e32 v16, 0
	s_mov_b32 s18, exec_lo
	v_cmpx_ne_u32_e32 0x7f, v10
	s_cbranch_execz .LBB204_1022
; %bb.1019:                             ;   in Loop: Header=BB204_675 Depth=1
	v_and_b32_e32 v6, 7, v13
	v_lshrrev_b32_e32 v8, 3, v10
	s_mov_b32 s19, exec_lo
	v_cmpx_gt_u32_e32 8, v10
; %bb.1020:                             ;   in Loop: Header=BB204_675 Depth=1
	v_ffbh_u32_e32 v8, v6
	v_min_u32_e32 v8, 32, v8
	v_subrev_nc_u32_e32 v10, 28, v8
	v_sub_nc_u32_e32 v8, 29, v8
	v_lshlrev_b64 v[10:11], v10, v[6:7]
	v_and_b32_e32 v6, 7, v10
; %bb.1021:                             ;   in Loop: Header=BB204_675 Depth=1
	s_or_b32 exec_lo, exec_lo, s19
	v_lshlrev_b32_e32 v10, 24, v13
	v_lshlrev_b32_e32 v6, 20, v6
	v_lshl_add_u32 v8, v8, 23, 0x3c000000
	v_and_b32_e32 v10, 0x80000000, v10
	v_or3_b32 v6, v6, v10, v8
	v_mov_b32_e32 v16, v7
	v_mov_b32_e32 v15, v6
.LBB204_1022:                           ;   in Loop: Header=BB204_675 Depth=1
	s_or_b32 exec_lo, exec_lo, s18
.LBB204_1023:                           ;   in Loop: Header=BB204_675 Depth=1
	s_or_b32 exec_lo, exec_lo, s17
.LBB204_1024:                           ;   in Loop: Header=BB204_675 Depth=1
	s_or_b32 exec_lo, exec_lo, s15
	v_cmp_ne_u16_sdwa s4, v13, v7 src0_sel:BYTE_1 src1_sel:DWORD
	s_and_saveexec_b32 s15, s4
	s_cbranch_execz .LBB204_1032
; %bb.1025:                             ;   in Loop: Header=BB204_675 Depth=1
	v_mov_b32_e32 v8, v7
	v_mov_b32_e32 v18, v9
	v_cmp_ne_u16_sdwa s4, v13, v66 src0_sel:BYTE_1 src1_sel:DWORD
	v_mov_b32_e32 v17, v8
	s_and_saveexec_b32 s17, s4
	s_cbranch_execz .LBB204_1031
; %bb.1026:                             ;   in Loop: Header=BB204_675 Depth=1
	v_and_b32_sdwa v6, v67, v13 dst_sel:DWORD dst_unused:UNUSED_PAD src0_sel:DWORD src1_sel:BYTE_1
	v_mov_b32_e32 v11, v7
	v_mov_b32_e32 v18, v12
	s_mov_b32 s18, exec_lo
	v_and_b32_e32 v10, 0x7f, v6
	v_mov_b32_e32 v17, v11
	v_cmpx_ne_u32_e32 0x7f, v10
	s_cbranch_execz .LBB204_1030
; %bb.1027:                             ;   in Loop: Header=BB204_675 Depth=1
	v_and_b32_e32 v6, 7, v6
	v_lshrrev_b32_e32 v8, 3, v10
	s_mov_b32 s19, exec_lo
	v_cmpx_gt_u32_e32 8, v10
; %bb.1028:                             ;   in Loop: Header=BB204_675 Depth=1
	v_ffbh_u32_e32 v8, v6
	v_min_u32_e32 v8, 32, v8
	v_subrev_nc_u32_e32 v10, 28, v8
	v_sub_nc_u32_e32 v8, 29, v8
	v_lshlrev_b64 v[10:11], v10, v[6:7]
	v_and_b32_e32 v6, 7, v10
; %bb.1029:                             ;   in Loop: Header=BB204_675 Depth=1
	s_or_b32 exec_lo, exec_lo, s19
	v_lshlrev_b32_e32 v10, 16, v13
	v_lshlrev_b32_e32 v6, 20, v6
	v_lshl_add_u32 v8, v8, 23, 0x3c000000
	v_mov_b32_e32 v17, v7
	v_and_b32_e32 v10, 0x80000000, v10
	v_or3_b32 v18, v6, v10, v8
.LBB204_1030:                           ;   in Loop: Header=BB204_675 Depth=1
	s_or_b32 exec_lo, exec_lo, s18
.LBB204_1031:                           ;   in Loop: Header=BB204_675 Depth=1
	s_or_b32 exec_lo, exec_lo, s17
.LBB204_1032:                           ;   in Loop: Header=BB204_675 Depth=1
	s_or_b32 exec_lo, exec_lo, s15
	v_mov_b32_e32 v10, 0
	v_mov_b32_e32 v21, 0
	v_and_b32_sdwa v6, v13, v68 dst_sel:DWORD dst_unused:UNUSED_PAD src0_sel:WORD_1 src1_sel:DWORD
	v_mov_b32_e32 v11, 0
	v_mov_b32_e32 v22, 0
	s_mov_b32 s15, exec_lo
	v_cmpx_ne_u16_e32 0, v6
	s_cbranch_execz .LBB204_1040
; %bb.1033:                             ;   in Loop: Header=BB204_675 Depth=1
	v_bfrev_b32_e32 v21, 1
	v_mov_b32_e32 v22, 0
	s_mov_b32 s17, exec_lo
	v_cmpx_ne_u16_e32 0x80, v6
	s_cbranch_execz .LBB204_1039
; %bb.1034:                             ;   in Loop: Header=BB204_675 Depth=1
	v_mov_b32_e32 v21, 0x7f800001
	v_bfe_u32 v14, v13, 16, 7
	v_mov_b32_e32 v22, 0
	s_mov_b32 s18, exec_lo
	v_cmpx_ne_u32_e32 0x7f, v14
	s_cbranch_execz .LBB204_1038
; %bb.1035:                             ;   in Loop: Header=BB204_675 Depth=1
	v_and_b32_sdwa v6, v13, v69 dst_sel:DWORD dst_unused:UNUSED_PAD src0_sel:WORD_1 src1_sel:DWORD
	v_lshrrev_b32_e32 v8, 3, v14
	s_mov_b32 s19, exec_lo
	v_cmpx_gt_u32_e32 8, v14
; %bb.1036:                             ;   in Loop: Header=BB204_675 Depth=1
	v_ffbh_u32_e32 v8, v6
	v_min_u32_e32 v8, 32, v8
	v_subrev_nc_u32_e32 v14, 28, v8
	v_sub_nc_u32_e32 v8, 29, v8
	v_lshlrev_b64 v[21:22], v14, v[6:7]
	v_and_b32_e32 v6, 7, v21
; %bb.1037:                             ;   in Loop: Header=BB204_675 Depth=1
	s_or_b32 exec_lo, exec_lo, s19
	v_lshlrev_b32_sdwa v14, v70, v13 dst_sel:DWORD dst_unused:UNUSED_PAD src0_sel:DWORD src1_sel:WORD_1
	v_lshlrev_b32_e32 v6, 20, v6
	v_lshl_add_u32 v8, v8, 23, 0x3c000000
	v_and_b32_e32 v14, 0x80000000, v14
	v_or3_b32 v6, v6, v14, v8
	v_mov_b32_e32 v22, v7
	v_mov_b32_e32 v21, v6
.LBB204_1038:                           ;   in Loop: Header=BB204_675 Depth=1
	s_or_b32 exec_lo, exec_lo, s18
.LBB204_1039:                           ;   in Loop: Header=BB204_675 Depth=1
	s_or_b32 exec_lo, exec_lo, s17
.LBB204_1040:                           ;   in Loop: Header=BB204_675 Depth=1
	s_or_b32 exec_lo, exec_lo, s15
	s_mov_b32 s15, exec_lo
	v_cmpx_lt_u32_e32 0xffffff, v13
	s_cbranch_execz .LBB204_1048
; %bb.1041:                             ;   in Loop: Header=BB204_675 Depth=1
	v_mov_b32_e32 v8, v7
	v_mov_b32_e32 v11, v9
	v_cmp_ne_u32_sdwa s4, v13, v66 src0_sel:BYTE_3 src1_sel:DWORD
	v_mov_b32_e32 v10, v8
	s_and_saveexec_b32 s17, s4
	s_cbranch_execz .LBB204_1047
; %bb.1042:                             ;   in Loop: Header=BB204_675 Depth=1
	v_mov_b32_e32 v11, v7
	v_bfe_u32 v14, v13, 24, 7
	s_mov_b32 s18, exec_lo
	v_mov_b32_e32 v10, v11
	v_mov_b32_e32 v11, v12
	v_cmpx_ne_u32_e32 0x7f, v14
	s_cbranch_execz .LBB204_1046
; %bb.1043:                             ;   in Loop: Header=BB204_675 Depth=1
	v_and_b32_sdwa v6, v13, v69 dst_sel:DWORD dst_unused:UNUSED_PAD src0_sel:BYTE_3 src1_sel:DWORD
	v_lshrrev_b32_e32 v8, 3, v14
	s_mov_b32 s19, exec_lo
	v_cmpx_gt_u32_e32 8, v14
; %bb.1044:                             ;   in Loop: Header=BB204_675 Depth=1
	v_ffbh_u32_e32 v8, v6
	v_min_u32_e32 v8, 32, v8
	v_subrev_nc_u32_e32 v10, 28, v8
	v_sub_nc_u32_e32 v8, 29, v8
	v_lshlrev_b64 v[10:11], v10, v[6:7]
	v_and_b32_e32 v6, 7, v10
; %bb.1045:                             ;   in Loop: Header=BB204_675 Depth=1
	s_or_b32 exec_lo, exec_lo, s19
	v_lshlrev_b32_sdwa v10, v70, v13 dst_sel:DWORD dst_unused:UNUSED_PAD src0_sel:DWORD src1_sel:BYTE_3
	v_lshlrev_b32_e32 v6, 20, v6
	v_lshl_add_u32 v8, v8, 23, 0x3c000000
	v_and_b32_e32 v10, 0x80000000, v10
	v_or3_b32 v11, v6, v10, v8
	v_mov_b32_e32 v10, v7
.LBB204_1046:                           ;   in Loop: Header=BB204_675 Depth=1
	s_or_b32 exec_lo, exec_lo, s18
.LBB204_1047:                           ;   in Loop: Header=BB204_675 Depth=1
	s_or_b32 exec_lo, exec_lo, s17
.LBB204_1048:                           ;   in Loop: Header=BB204_675 Depth=1
	s_or_b32 exec_lo, exec_lo, s15
	v_or_b32_e32 v6, v18, v16
	v_or_b32_e32 v8, v17, v15
	;; [unrolled: 1-line block ×4, first 2 shown]
	v_mul_f32_e32 v92, v83, v6
	v_mul_f32_e32 v91, v83, v8
	;; [unrolled: 1-line block ×4, first 2 shown]
	s_and_saveexec_b32 s15, vcc_lo
	s_cbranch_execz .LBB204_1050
; %bb.1049:                             ;   in Loop: Header=BB204_675 Depth=1
	v_cmp_lt_i32_e64 s4, v96, v47
	v_cndmask_b32_e64 v91, 0, v91, s4
	v_cmp_lt_i32_e64 s4, v99, v47
	v_cndmask_b32_e64 v92, 0, v92, s4
	;; [unrolled: 2-line block ×4, first 2 shown]
.LBB204_1050:                           ;   in Loop: Header=BB204_675 Depth=1
	s_or_b32 exec_lo, exec_lo, s15
	flat_load_dword v13, v[0:1] offset:1408
	v_mov_b32_e32 v17, 0
	v_mov_b32_e32 v15, 0
	;; [unrolled: 1-line block ×4, first 2 shown]
	s_waitcnt vmcnt(0) lgkmcnt(0)
	v_cmp_ne_u16_sdwa s4, v13, v7 src0_sel:BYTE_0 src1_sel:DWORD
	s_and_saveexec_b32 s15, s4
	s_cbranch_execz .LBB204_1058
; %bb.1051:                             ;   in Loop: Header=BB204_675 Depth=1
	v_bfrev_b32_e32 v15, 1
	v_mov_b32_e32 v16, 0
	v_cmp_ne_u16_sdwa s4, v13, v66 src0_sel:BYTE_0 src1_sel:DWORD
	s_and_saveexec_b32 s17, s4
	s_cbranch_execz .LBB204_1057
; %bb.1052:                             ;   in Loop: Header=BB204_675 Depth=1
	v_mov_b32_e32 v15, 0x7f800001
	v_and_b32_e32 v10, 0x7f, v13
	v_mov_b32_e32 v16, 0
	s_mov_b32 s18, exec_lo
	v_cmpx_ne_u32_e32 0x7f, v10
	s_cbranch_execz .LBB204_1056
; %bb.1053:                             ;   in Loop: Header=BB204_675 Depth=1
	v_and_b32_e32 v6, 7, v13
	v_lshrrev_b32_e32 v8, 3, v10
	s_mov_b32 s19, exec_lo
	v_cmpx_gt_u32_e32 8, v10
; %bb.1054:                             ;   in Loop: Header=BB204_675 Depth=1
	v_ffbh_u32_e32 v8, v6
	v_min_u32_e32 v8, 32, v8
	v_subrev_nc_u32_e32 v10, 28, v8
	v_sub_nc_u32_e32 v8, 29, v8
	v_lshlrev_b64 v[10:11], v10, v[6:7]
	v_and_b32_e32 v6, 7, v10
; %bb.1055:                             ;   in Loop: Header=BB204_675 Depth=1
	s_or_b32 exec_lo, exec_lo, s19
	v_lshlrev_b32_e32 v10, 24, v13
	v_lshlrev_b32_e32 v6, 20, v6
	v_lshl_add_u32 v8, v8, 23, 0x3c000000
	v_and_b32_e32 v10, 0x80000000, v10
	v_or3_b32 v6, v6, v10, v8
	v_mov_b32_e32 v16, v7
	v_mov_b32_e32 v15, v6
.LBB204_1056:                           ;   in Loop: Header=BB204_675 Depth=1
	s_or_b32 exec_lo, exec_lo, s18
.LBB204_1057:                           ;   in Loop: Header=BB204_675 Depth=1
	s_or_b32 exec_lo, exec_lo, s17
.LBB204_1058:                           ;   in Loop: Header=BB204_675 Depth=1
	s_or_b32 exec_lo, exec_lo, s15
	v_cmp_ne_u16_sdwa s4, v13, v7 src0_sel:BYTE_1 src1_sel:DWORD
	s_and_saveexec_b32 s15, s4
	s_cbranch_execz .LBB204_1066
; %bb.1059:                             ;   in Loop: Header=BB204_675 Depth=1
	v_mov_b32_e32 v8, v7
	v_mov_b32_e32 v18, v9
	v_cmp_ne_u16_sdwa s4, v13, v66 src0_sel:BYTE_1 src1_sel:DWORD
	v_mov_b32_e32 v17, v8
	s_and_saveexec_b32 s17, s4
	s_cbranch_execz .LBB204_1065
; %bb.1060:                             ;   in Loop: Header=BB204_675 Depth=1
	v_and_b32_sdwa v6, v67, v13 dst_sel:DWORD dst_unused:UNUSED_PAD src0_sel:DWORD src1_sel:BYTE_1
	v_mov_b32_e32 v11, v7
	v_mov_b32_e32 v18, v12
	s_mov_b32 s18, exec_lo
	v_and_b32_e32 v10, 0x7f, v6
	v_mov_b32_e32 v17, v11
	v_cmpx_ne_u32_e32 0x7f, v10
	s_cbranch_execz .LBB204_1064
; %bb.1061:                             ;   in Loop: Header=BB204_675 Depth=1
	v_and_b32_e32 v6, 7, v6
	v_lshrrev_b32_e32 v8, 3, v10
	s_mov_b32 s19, exec_lo
	v_cmpx_gt_u32_e32 8, v10
; %bb.1062:                             ;   in Loop: Header=BB204_675 Depth=1
	v_ffbh_u32_e32 v8, v6
	v_min_u32_e32 v8, 32, v8
	v_subrev_nc_u32_e32 v10, 28, v8
	v_sub_nc_u32_e32 v8, 29, v8
	v_lshlrev_b64 v[10:11], v10, v[6:7]
	v_and_b32_e32 v6, 7, v10
; %bb.1063:                             ;   in Loop: Header=BB204_675 Depth=1
	s_or_b32 exec_lo, exec_lo, s19
	v_lshlrev_b32_e32 v10, 16, v13
	v_lshlrev_b32_e32 v6, 20, v6
	v_lshl_add_u32 v8, v8, 23, 0x3c000000
	v_mov_b32_e32 v17, v7
	v_and_b32_e32 v10, 0x80000000, v10
	v_or3_b32 v18, v6, v10, v8
.LBB204_1064:                           ;   in Loop: Header=BB204_675 Depth=1
	s_or_b32 exec_lo, exec_lo, s18
.LBB204_1065:                           ;   in Loop: Header=BB204_675 Depth=1
	s_or_b32 exec_lo, exec_lo, s17
.LBB204_1066:                           ;   in Loop: Header=BB204_675 Depth=1
	s_or_b32 exec_lo, exec_lo, s15
	v_mov_b32_e32 v10, 0
	v_mov_b32_e32 v21, 0
	v_and_b32_sdwa v6, v13, v68 dst_sel:DWORD dst_unused:UNUSED_PAD src0_sel:WORD_1 src1_sel:DWORD
	v_mov_b32_e32 v11, 0
	v_mov_b32_e32 v22, 0
	s_mov_b32 s15, exec_lo
	v_cmpx_ne_u16_e32 0, v6
	s_cbranch_execz .LBB204_1074
; %bb.1067:                             ;   in Loop: Header=BB204_675 Depth=1
	v_bfrev_b32_e32 v21, 1
	v_mov_b32_e32 v22, 0
	s_mov_b32 s17, exec_lo
	v_cmpx_ne_u16_e32 0x80, v6
	s_cbranch_execz .LBB204_1073
; %bb.1068:                             ;   in Loop: Header=BB204_675 Depth=1
	v_mov_b32_e32 v21, 0x7f800001
	v_bfe_u32 v14, v13, 16, 7
	v_mov_b32_e32 v22, 0
	s_mov_b32 s18, exec_lo
	v_cmpx_ne_u32_e32 0x7f, v14
	s_cbranch_execz .LBB204_1072
; %bb.1069:                             ;   in Loop: Header=BB204_675 Depth=1
	v_and_b32_sdwa v6, v13, v69 dst_sel:DWORD dst_unused:UNUSED_PAD src0_sel:WORD_1 src1_sel:DWORD
	v_lshrrev_b32_e32 v8, 3, v14
	s_mov_b32 s19, exec_lo
	v_cmpx_gt_u32_e32 8, v14
; %bb.1070:                             ;   in Loop: Header=BB204_675 Depth=1
	v_ffbh_u32_e32 v8, v6
	v_min_u32_e32 v8, 32, v8
	v_subrev_nc_u32_e32 v14, 28, v8
	v_sub_nc_u32_e32 v8, 29, v8
	v_lshlrev_b64 v[21:22], v14, v[6:7]
	v_and_b32_e32 v6, 7, v21
; %bb.1071:                             ;   in Loop: Header=BB204_675 Depth=1
	s_or_b32 exec_lo, exec_lo, s19
	v_lshlrev_b32_sdwa v14, v70, v13 dst_sel:DWORD dst_unused:UNUSED_PAD src0_sel:DWORD src1_sel:WORD_1
	v_lshlrev_b32_e32 v6, 20, v6
	v_lshl_add_u32 v8, v8, 23, 0x3c000000
	v_and_b32_e32 v14, 0x80000000, v14
	v_or3_b32 v6, v6, v14, v8
	v_mov_b32_e32 v22, v7
	v_mov_b32_e32 v21, v6
.LBB204_1072:                           ;   in Loop: Header=BB204_675 Depth=1
	s_or_b32 exec_lo, exec_lo, s18
.LBB204_1073:                           ;   in Loop: Header=BB204_675 Depth=1
	s_or_b32 exec_lo, exec_lo, s17
.LBB204_1074:                           ;   in Loop: Header=BB204_675 Depth=1
	s_or_b32 exec_lo, exec_lo, s15
	s_mov_b32 s15, exec_lo
	v_cmpx_lt_u32_e32 0xffffff, v13
	s_cbranch_execz .LBB204_1082
; %bb.1075:                             ;   in Loop: Header=BB204_675 Depth=1
	v_mov_b32_e32 v8, v7
	v_mov_b32_e32 v11, v9
	v_cmp_ne_u32_sdwa s4, v13, v66 src0_sel:BYTE_3 src1_sel:DWORD
	v_mov_b32_e32 v10, v8
	s_and_saveexec_b32 s17, s4
	s_cbranch_execz .LBB204_1081
; %bb.1076:                             ;   in Loop: Header=BB204_675 Depth=1
	v_mov_b32_e32 v11, v7
	v_bfe_u32 v14, v13, 24, 7
	s_mov_b32 s18, exec_lo
	v_mov_b32_e32 v10, v11
	v_mov_b32_e32 v11, v12
	v_cmpx_ne_u32_e32 0x7f, v14
	s_cbranch_execz .LBB204_1080
; %bb.1077:                             ;   in Loop: Header=BB204_675 Depth=1
	v_and_b32_sdwa v6, v13, v69 dst_sel:DWORD dst_unused:UNUSED_PAD src0_sel:BYTE_3 src1_sel:DWORD
	v_lshrrev_b32_e32 v8, 3, v14
	s_mov_b32 s19, exec_lo
	v_cmpx_gt_u32_e32 8, v14
; %bb.1078:                             ;   in Loop: Header=BB204_675 Depth=1
	v_ffbh_u32_e32 v8, v6
	v_min_u32_e32 v8, 32, v8
	v_subrev_nc_u32_e32 v10, 28, v8
	v_sub_nc_u32_e32 v8, 29, v8
	v_lshlrev_b64 v[10:11], v10, v[6:7]
	v_and_b32_e32 v6, 7, v10
; %bb.1079:                             ;   in Loop: Header=BB204_675 Depth=1
	s_or_b32 exec_lo, exec_lo, s19
	v_lshlrev_b32_sdwa v10, v70, v13 dst_sel:DWORD dst_unused:UNUSED_PAD src0_sel:DWORD src1_sel:BYTE_3
	v_lshlrev_b32_e32 v6, 20, v6
	v_lshl_add_u32 v8, v8, 23, 0x3c000000
	v_and_b32_e32 v10, 0x80000000, v10
	v_or3_b32 v11, v6, v10, v8
	v_mov_b32_e32 v10, v7
.LBB204_1080:                           ;   in Loop: Header=BB204_675 Depth=1
	s_or_b32 exec_lo, exec_lo, s18
.LBB204_1081:                           ;   in Loop: Header=BB204_675 Depth=1
	s_or_b32 exec_lo, exec_lo, s17
.LBB204_1082:                           ;   in Loop: Header=BB204_675 Depth=1
	s_or_b32 exec_lo, exec_lo, s15
	v_or_b32_e32 v6, v18, v16
	v_or_b32_e32 v8, v17, v15
	v_or_b32_e32 v10, v10, v21
	v_or_b32_e32 v11, v11, v22
	v_mul_f32_e32 v104, v83, v6
	v_mul_f32_e32 v95, v83, v8
	;; [unrolled: 1-line block ×4, first 2 shown]
	s_and_saveexec_b32 s15, vcc_lo
	s_cbranch_execz .LBB204_1084
; %bb.1083:                             ;   in Loop: Header=BB204_675 Depth=1
	v_cmp_lt_i32_e64 s4, v96, v47
	v_cndmask_b32_e64 v95, 0, v95, s4
	v_cmp_lt_i32_e64 s4, v99, v47
	v_cndmask_b32_e64 v104, 0, v104, s4
	;; [unrolled: 2-line block ×4, first 2 shown]
.LBB204_1084:                           ;   in Loop: Header=BB204_675 Depth=1
	s_or_b32 exec_lo, exec_lo, s15
	flat_load_dword v13, v[0:1] offset:1536
	v_mov_b32_e32 v17, 0
	v_mov_b32_e32 v15, 0
	;; [unrolled: 1-line block ×4, first 2 shown]
	s_waitcnt vmcnt(0) lgkmcnt(0)
	v_cmp_ne_u16_sdwa s4, v13, v7 src0_sel:BYTE_0 src1_sel:DWORD
	s_and_saveexec_b32 s15, s4
	s_cbranch_execz .LBB204_1092
; %bb.1085:                             ;   in Loop: Header=BB204_675 Depth=1
	v_bfrev_b32_e32 v15, 1
	v_mov_b32_e32 v16, 0
	v_cmp_ne_u16_sdwa s4, v13, v66 src0_sel:BYTE_0 src1_sel:DWORD
	s_and_saveexec_b32 s17, s4
	s_cbranch_execz .LBB204_1091
; %bb.1086:                             ;   in Loop: Header=BB204_675 Depth=1
	v_mov_b32_e32 v15, 0x7f800001
	v_and_b32_e32 v10, 0x7f, v13
	v_mov_b32_e32 v16, 0
	s_mov_b32 s18, exec_lo
	v_cmpx_ne_u32_e32 0x7f, v10
	s_cbranch_execz .LBB204_1090
; %bb.1087:                             ;   in Loop: Header=BB204_675 Depth=1
	v_and_b32_e32 v6, 7, v13
	v_lshrrev_b32_e32 v8, 3, v10
	s_mov_b32 s19, exec_lo
	v_cmpx_gt_u32_e32 8, v10
; %bb.1088:                             ;   in Loop: Header=BB204_675 Depth=1
	v_ffbh_u32_e32 v8, v6
	v_min_u32_e32 v8, 32, v8
	v_subrev_nc_u32_e32 v10, 28, v8
	v_sub_nc_u32_e32 v8, 29, v8
	v_lshlrev_b64 v[10:11], v10, v[6:7]
	v_and_b32_e32 v6, 7, v10
; %bb.1089:                             ;   in Loop: Header=BB204_675 Depth=1
	s_or_b32 exec_lo, exec_lo, s19
	v_lshlrev_b32_e32 v10, 24, v13
	v_lshlrev_b32_e32 v6, 20, v6
	v_lshl_add_u32 v8, v8, 23, 0x3c000000
	v_and_b32_e32 v10, 0x80000000, v10
	v_or3_b32 v6, v6, v10, v8
	v_mov_b32_e32 v16, v7
	v_mov_b32_e32 v15, v6
.LBB204_1090:                           ;   in Loop: Header=BB204_675 Depth=1
	s_or_b32 exec_lo, exec_lo, s18
.LBB204_1091:                           ;   in Loop: Header=BB204_675 Depth=1
	s_or_b32 exec_lo, exec_lo, s17
.LBB204_1092:                           ;   in Loop: Header=BB204_675 Depth=1
	s_or_b32 exec_lo, exec_lo, s15
	v_cmp_ne_u16_sdwa s4, v13, v7 src0_sel:BYTE_1 src1_sel:DWORD
	s_and_saveexec_b32 s15, s4
	s_cbranch_execz .LBB204_1100
; %bb.1093:                             ;   in Loop: Header=BB204_675 Depth=1
	v_mov_b32_e32 v8, v7
	v_mov_b32_e32 v18, v9
	v_cmp_ne_u16_sdwa s4, v13, v66 src0_sel:BYTE_1 src1_sel:DWORD
	v_mov_b32_e32 v17, v8
	s_and_saveexec_b32 s17, s4
	s_cbranch_execz .LBB204_1099
; %bb.1094:                             ;   in Loop: Header=BB204_675 Depth=1
	v_and_b32_sdwa v6, v67, v13 dst_sel:DWORD dst_unused:UNUSED_PAD src0_sel:DWORD src1_sel:BYTE_1
	v_mov_b32_e32 v11, v7
	v_mov_b32_e32 v18, v12
	s_mov_b32 s18, exec_lo
	v_and_b32_e32 v10, 0x7f, v6
	v_mov_b32_e32 v17, v11
	v_cmpx_ne_u32_e32 0x7f, v10
	s_cbranch_execz .LBB204_1098
; %bb.1095:                             ;   in Loop: Header=BB204_675 Depth=1
	v_and_b32_e32 v6, 7, v6
	v_lshrrev_b32_e32 v8, 3, v10
	s_mov_b32 s19, exec_lo
	v_cmpx_gt_u32_e32 8, v10
; %bb.1096:                             ;   in Loop: Header=BB204_675 Depth=1
	v_ffbh_u32_e32 v8, v6
	v_min_u32_e32 v8, 32, v8
	v_subrev_nc_u32_e32 v10, 28, v8
	v_sub_nc_u32_e32 v8, 29, v8
	v_lshlrev_b64 v[10:11], v10, v[6:7]
	v_and_b32_e32 v6, 7, v10
; %bb.1097:                             ;   in Loop: Header=BB204_675 Depth=1
	s_or_b32 exec_lo, exec_lo, s19
	v_lshlrev_b32_e32 v10, 16, v13
	v_lshlrev_b32_e32 v6, 20, v6
	v_lshl_add_u32 v8, v8, 23, 0x3c000000
	v_mov_b32_e32 v17, v7
	v_and_b32_e32 v10, 0x80000000, v10
	v_or3_b32 v18, v6, v10, v8
.LBB204_1098:                           ;   in Loop: Header=BB204_675 Depth=1
	s_or_b32 exec_lo, exec_lo, s18
.LBB204_1099:                           ;   in Loop: Header=BB204_675 Depth=1
	s_or_b32 exec_lo, exec_lo, s17
.LBB204_1100:                           ;   in Loop: Header=BB204_675 Depth=1
	s_or_b32 exec_lo, exec_lo, s15
	v_mov_b32_e32 v10, 0
	v_mov_b32_e32 v21, 0
	v_and_b32_sdwa v6, v13, v68 dst_sel:DWORD dst_unused:UNUSED_PAD src0_sel:WORD_1 src1_sel:DWORD
	v_mov_b32_e32 v11, 0
	v_mov_b32_e32 v22, 0
	s_mov_b32 s15, exec_lo
	v_cmpx_ne_u16_e32 0, v6
	s_cbranch_execz .LBB204_1108
; %bb.1101:                             ;   in Loop: Header=BB204_675 Depth=1
	v_bfrev_b32_e32 v21, 1
	v_mov_b32_e32 v22, 0
	s_mov_b32 s17, exec_lo
	v_cmpx_ne_u16_e32 0x80, v6
	s_cbranch_execz .LBB204_1107
; %bb.1102:                             ;   in Loop: Header=BB204_675 Depth=1
	v_mov_b32_e32 v21, 0x7f800001
	v_bfe_u32 v14, v13, 16, 7
	v_mov_b32_e32 v22, 0
	s_mov_b32 s18, exec_lo
	v_cmpx_ne_u32_e32 0x7f, v14
	s_cbranch_execz .LBB204_1106
; %bb.1103:                             ;   in Loop: Header=BB204_675 Depth=1
	v_and_b32_sdwa v6, v13, v69 dst_sel:DWORD dst_unused:UNUSED_PAD src0_sel:WORD_1 src1_sel:DWORD
	v_lshrrev_b32_e32 v8, 3, v14
	s_mov_b32 s19, exec_lo
	v_cmpx_gt_u32_e32 8, v14
; %bb.1104:                             ;   in Loop: Header=BB204_675 Depth=1
	v_ffbh_u32_e32 v8, v6
	v_min_u32_e32 v8, 32, v8
	v_subrev_nc_u32_e32 v14, 28, v8
	v_sub_nc_u32_e32 v8, 29, v8
	v_lshlrev_b64 v[21:22], v14, v[6:7]
	v_and_b32_e32 v6, 7, v21
; %bb.1105:                             ;   in Loop: Header=BB204_675 Depth=1
	s_or_b32 exec_lo, exec_lo, s19
	v_lshlrev_b32_sdwa v14, v70, v13 dst_sel:DWORD dst_unused:UNUSED_PAD src0_sel:DWORD src1_sel:WORD_1
	v_lshlrev_b32_e32 v6, 20, v6
	v_lshl_add_u32 v8, v8, 23, 0x3c000000
	v_and_b32_e32 v14, 0x80000000, v14
	v_or3_b32 v6, v6, v14, v8
	v_mov_b32_e32 v22, v7
	v_mov_b32_e32 v21, v6
.LBB204_1106:                           ;   in Loop: Header=BB204_675 Depth=1
	s_or_b32 exec_lo, exec_lo, s18
.LBB204_1107:                           ;   in Loop: Header=BB204_675 Depth=1
	s_or_b32 exec_lo, exec_lo, s17
.LBB204_1108:                           ;   in Loop: Header=BB204_675 Depth=1
	s_or_b32 exec_lo, exec_lo, s15
	s_mov_b32 s15, exec_lo
	v_cmpx_lt_u32_e32 0xffffff, v13
	s_cbranch_execz .LBB204_1116
; %bb.1109:                             ;   in Loop: Header=BB204_675 Depth=1
	v_mov_b32_e32 v8, v7
	v_mov_b32_e32 v11, v9
	v_cmp_ne_u32_sdwa s4, v13, v66 src0_sel:BYTE_3 src1_sel:DWORD
	v_mov_b32_e32 v10, v8
	s_and_saveexec_b32 s17, s4
	s_cbranch_execz .LBB204_1115
; %bb.1110:                             ;   in Loop: Header=BB204_675 Depth=1
	v_mov_b32_e32 v11, v7
	v_bfe_u32 v14, v13, 24, 7
	s_mov_b32 s18, exec_lo
	v_mov_b32_e32 v10, v11
	v_mov_b32_e32 v11, v12
	v_cmpx_ne_u32_e32 0x7f, v14
	s_cbranch_execz .LBB204_1114
; %bb.1111:                             ;   in Loop: Header=BB204_675 Depth=1
	v_and_b32_sdwa v6, v13, v69 dst_sel:DWORD dst_unused:UNUSED_PAD src0_sel:BYTE_3 src1_sel:DWORD
	v_lshrrev_b32_e32 v8, 3, v14
	s_mov_b32 s19, exec_lo
	v_cmpx_gt_u32_e32 8, v14
; %bb.1112:                             ;   in Loop: Header=BB204_675 Depth=1
	v_ffbh_u32_e32 v8, v6
	v_min_u32_e32 v8, 32, v8
	v_subrev_nc_u32_e32 v10, 28, v8
	v_sub_nc_u32_e32 v8, 29, v8
	v_lshlrev_b64 v[10:11], v10, v[6:7]
	v_and_b32_e32 v6, 7, v10
; %bb.1113:                             ;   in Loop: Header=BB204_675 Depth=1
	s_or_b32 exec_lo, exec_lo, s19
	v_lshlrev_b32_sdwa v10, v70, v13 dst_sel:DWORD dst_unused:UNUSED_PAD src0_sel:DWORD src1_sel:BYTE_3
	v_lshlrev_b32_e32 v6, 20, v6
	v_lshl_add_u32 v8, v8, 23, 0x3c000000
	v_and_b32_e32 v10, 0x80000000, v10
	v_or3_b32 v11, v6, v10, v8
	v_mov_b32_e32 v10, v7
.LBB204_1114:                           ;   in Loop: Header=BB204_675 Depth=1
	s_or_b32 exec_lo, exec_lo, s18
.LBB204_1115:                           ;   in Loop: Header=BB204_675 Depth=1
	s_or_b32 exec_lo, exec_lo, s17
.LBB204_1116:                           ;   in Loop: Header=BB204_675 Depth=1
	s_or_b32 exec_lo, exec_lo, s15
	v_or_b32_e32 v6, v18, v16
	v_or_b32_e32 v8, v17, v15
	;; [unrolled: 1-line block ×4, first 2 shown]
	v_mul_f32_e32 v108, v83, v6
	v_mul_f32_e32 v107, v83, v8
	;; [unrolled: 1-line block ×4, first 2 shown]
	s_and_saveexec_b32 s15, vcc_lo
	s_cbranch_execz .LBB204_1118
; %bb.1117:                             ;   in Loop: Header=BB204_675 Depth=1
	v_cmp_lt_i32_e64 s4, v96, v47
	v_cndmask_b32_e64 v107, 0, v107, s4
	v_cmp_lt_i32_e64 s4, v99, v47
	v_cndmask_b32_e64 v108, 0, v108, s4
	;; [unrolled: 2-line block ×4, first 2 shown]
.LBB204_1118:                           ;   in Loop: Header=BB204_675 Depth=1
	s_or_b32 exec_lo, exec_lo, s15
	flat_load_dword v13, v[0:1] offset:1664
	v_mov_b32_e32 v17, 0
	v_mov_b32_e32 v15, 0
	;; [unrolled: 1-line block ×4, first 2 shown]
	s_waitcnt vmcnt(0) lgkmcnt(0)
	v_cmp_ne_u16_sdwa s4, v13, v7 src0_sel:BYTE_0 src1_sel:DWORD
	s_and_saveexec_b32 s15, s4
	s_cbranch_execz .LBB204_1126
; %bb.1119:                             ;   in Loop: Header=BB204_675 Depth=1
	v_bfrev_b32_e32 v15, 1
	v_mov_b32_e32 v16, 0
	v_cmp_ne_u16_sdwa s4, v13, v66 src0_sel:BYTE_0 src1_sel:DWORD
	s_and_saveexec_b32 s17, s4
	s_cbranch_execz .LBB204_1125
; %bb.1120:                             ;   in Loop: Header=BB204_675 Depth=1
	v_mov_b32_e32 v15, 0x7f800001
	v_and_b32_e32 v10, 0x7f, v13
	v_mov_b32_e32 v16, 0
	s_mov_b32 s18, exec_lo
	v_cmpx_ne_u32_e32 0x7f, v10
	s_cbranch_execz .LBB204_1124
; %bb.1121:                             ;   in Loop: Header=BB204_675 Depth=1
	v_and_b32_e32 v6, 7, v13
	v_lshrrev_b32_e32 v8, 3, v10
	s_mov_b32 s19, exec_lo
	v_cmpx_gt_u32_e32 8, v10
; %bb.1122:                             ;   in Loop: Header=BB204_675 Depth=1
	v_ffbh_u32_e32 v8, v6
	v_min_u32_e32 v8, 32, v8
	v_subrev_nc_u32_e32 v10, 28, v8
	v_sub_nc_u32_e32 v8, 29, v8
	v_lshlrev_b64 v[10:11], v10, v[6:7]
	v_and_b32_e32 v6, 7, v10
; %bb.1123:                             ;   in Loop: Header=BB204_675 Depth=1
	s_or_b32 exec_lo, exec_lo, s19
	v_lshlrev_b32_e32 v10, 24, v13
	v_lshlrev_b32_e32 v6, 20, v6
	v_lshl_add_u32 v8, v8, 23, 0x3c000000
	v_and_b32_e32 v10, 0x80000000, v10
	v_or3_b32 v6, v6, v10, v8
	v_mov_b32_e32 v16, v7
	v_mov_b32_e32 v15, v6
.LBB204_1124:                           ;   in Loop: Header=BB204_675 Depth=1
	s_or_b32 exec_lo, exec_lo, s18
.LBB204_1125:                           ;   in Loop: Header=BB204_675 Depth=1
	s_or_b32 exec_lo, exec_lo, s17
.LBB204_1126:                           ;   in Loop: Header=BB204_675 Depth=1
	s_or_b32 exec_lo, exec_lo, s15
	v_cmp_ne_u16_sdwa s4, v13, v7 src0_sel:BYTE_1 src1_sel:DWORD
	s_and_saveexec_b32 s15, s4
	s_cbranch_execz .LBB204_1134
; %bb.1127:                             ;   in Loop: Header=BB204_675 Depth=1
	v_mov_b32_e32 v8, v7
	v_mov_b32_e32 v18, v9
	v_cmp_ne_u16_sdwa s4, v13, v66 src0_sel:BYTE_1 src1_sel:DWORD
	v_mov_b32_e32 v17, v8
	s_and_saveexec_b32 s17, s4
	s_cbranch_execz .LBB204_1133
; %bb.1128:                             ;   in Loop: Header=BB204_675 Depth=1
	v_and_b32_sdwa v6, v67, v13 dst_sel:DWORD dst_unused:UNUSED_PAD src0_sel:DWORD src1_sel:BYTE_1
	v_mov_b32_e32 v11, v7
	v_mov_b32_e32 v18, v12
	s_mov_b32 s18, exec_lo
	v_and_b32_e32 v10, 0x7f, v6
	v_mov_b32_e32 v17, v11
	v_cmpx_ne_u32_e32 0x7f, v10
	s_cbranch_execz .LBB204_1132
; %bb.1129:                             ;   in Loop: Header=BB204_675 Depth=1
	v_and_b32_e32 v6, 7, v6
	v_lshrrev_b32_e32 v8, 3, v10
	s_mov_b32 s19, exec_lo
	v_cmpx_gt_u32_e32 8, v10
; %bb.1130:                             ;   in Loop: Header=BB204_675 Depth=1
	v_ffbh_u32_e32 v8, v6
	v_min_u32_e32 v8, 32, v8
	v_subrev_nc_u32_e32 v10, 28, v8
	v_sub_nc_u32_e32 v8, 29, v8
	v_lshlrev_b64 v[10:11], v10, v[6:7]
	v_and_b32_e32 v6, 7, v10
; %bb.1131:                             ;   in Loop: Header=BB204_675 Depth=1
	s_or_b32 exec_lo, exec_lo, s19
	v_lshlrev_b32_e32 v10, 16, v13
	v_lshlrev_b32_e32 v6, 20, v6
	v_lshl_add_u32 v8, v8, 23, 0x3c000000
	v_mov_b32_e32 v17, v7
	v_and_b32_e32 v10, 0x80000000, v10
	v_or3_b32 v18, v6, v10, v8
.LBB204_1132:                           ;   in Loop: Header=BB204_675 Depth=1
	s_or_b32 exec_lo, exec_lo, s18
.LBB204_1133:                           ;   in Loop: Header=BB204_675 Depth=1
	s_or_b32 exec_lo, exec_lo, s17
.LBB204_1134:                           ;   in Loop: Header=BB204_675 Depth=1
	s_or_b32 exec_lo, exec_lo, s15
	v_mov_b32_e32 v10, 0
	v_mov_b32_e32 v21, 0
	v_and_b32_sdwa v6, v13, v68 dst_sel:DWORD dst_unused:UNUSED_PAD src0_sel:WORD_1 src1_sel:DWORD
	v_mov_b32_e32 v11, 0
	v_mov_b32_e32 v22, 0
	s_mov_b32 s15, exec_lo
	v_cmpx_ne_u16_e32 0, v6
	s_cbranch_execz .LBB204_1142
; %bb.1135:                             ;   in Loop: Header=BB204_675 Depth=1
	v_bfrev_b32_e32 v21, 1
	v_mov_b32_e32 v22, 0
	s_mov_b32 s17, exec_lo
	v_cmpx_ne_u16_e32 0x80, v6
	s_cbranch_execz .LBB204_1141
; %bb.1136:                             ;   in Loop: Header=BB204_675 Depth=1
	v_mov_b32_e32 v21, 0x7f800001
	v_bfe_u32 v14, v13, 16, 7
	v_mov_b32_e32 v22, 0
	s_mov_b32 s18, exec_lo
	v_cmpx_ne_u32_e32 0x7f, v14
	s_cbranch_execz .LBB204_1140
; %bb.1137:                             ;   in Loop: Header=BB204_675 Depth=1
	v_and_b32_sdwa v6, v13, v69 dst_sel:DWORD dst_unused:UNUSED_PAD src0_sel:WORD_1 src1_sel:DWORD
	v_lshrrev_b32_e32 v8, 3, v14
	s_mov_b32 s19, exec_lo
	v_cmpx_gt_u32_e32 8, v14
; %bb.1138:                             ;   in Loop: Header=BB204_675 Depth=1
	v_ffbh_u32_e32 v8, v6
	v_min_u32_e32 v8, 32, v8
	v_subrev_nc_u32_e32 v14, 28, v8
	v_sub_nc_u32_e32 v8, 29, v8
	v_lshlrev_b64 v[21:22], v14, v[6:7]
	v_and_b32_e32 v6, 7, v21
; %bb.1139:                             ;   in Loop: Header=BB204_675 Depth=1
	s_or_b32 exec_lo, exec_lo, s19
	v_lshlrev_b32_sdwa v14, v70, v13 dst_sel:DWORD dst_unused:UNUSED_PAD src0_sel:DWORD src1_sel:WORD_1
	v_lshlrev_b32_e32 v6, 20, v6
	v_lshl_add_u32 v8, v8, 23, 0x3c000000
	v_and_b32_e32 v14, 0x80000000, v14
	v_or3_b32 v6, v6, v14, v8
	v_mov_b32_e32 v22, v7
	v_mov_b32_e32 v21, v6
.LBB204_1140:                           ;   in Loop: Header=BB204_675 Depth=1
	s_or_b32 exec_lo, exec_lo, s18
.LBB204_1141:                           ;   in Loop: Header=BB204_675 Depth=1
	s_or_b32 exec_lo, exec_lo, s17
.LBB204_1142:                           ;   in Loop: Header=BB204_675 Depth=1
	s_or_b32 exec_lo, exec_lo, s15
	s_mov_b32 s15, exec_lo
	v_cmpx_lt_u32_e32 0xffffff, v13
	s_cbranch_execz .LBB204_1150
; %bb.1143:                             ;   in Loop: Header=BB204_675 Depth=1
	v_mov_b32_e32 v8, v7
	v_mov_b32_e32 v11, v9
	v_cmp_ne_u32_sdwa s4, v13, v66 src0_sel:BYTE_3 src1_sel:DWORD
	v_mov_b32_e32 v10, v8
	s_and_saveexec_b32 s17, s4
	s_cbranch_execz .LBB204_1149
; %bb.1144:                             ;   in Loop: Header=BB204_675 Depth=1
	v_mov_b32_e32 v11, v7
	v_bfe_u32 v14, v13, 24, 7
	s_mov_b32 s18, exec_lo
	v_mov_b32_e32 v10, v11
	v_mov_b32_e32 v11, v12
	v_cmpx_ne_u32_e32 0x7f, v14
	s_cbranch_execz .LBB204_1148
; %bb.1145:                             ;   in Loop: Header=BB204_675 Depth=1
	v_and_b32_sdwa v6, v13, v69 dst_sel:DWORD dst_unused:UNUSED_PAD src0_sel:BYTE_3 src1_sel:DWORD
	v_lshrrev_b32_e32 v8, 3, v14
	s_mov_b32 s19, exec_lo
	v_cmpx_gt_u32_e32 8, v14
; %bb.1146:                             ;   in Loop: Header=BB204_675 Depth=1
	v_ffbh_u32_e32 v8, v6
	v_min_u32_e32 v8, 32, v8
	v_subrev_nc_u32_e32 v10, 28, v8
	v_sub_nc_u32_e32 v8, 29, v8
	v_lshlrev_b64 v[10:11], v10, v[6:7]
	v_and_b32_e32 v6, 7, v10
; %bb.1147:                             ;   in Loop: Header=BB204_675 Depth=1
	s_or_b32 exec_lo, exec_lo, s19
	v_lshlrev_b32_sdwa v10, v70, v13 dst_sel:DWORD dst_unused:UNUSED_PAD src0_sel:DWORD src1_sel:BYTE_3
	v_lshlrev_b32_e32 v6, 20, v6
	v_lshl_add_u32 v8, v8, 23, 0x3c000000
	v_and_b32_e32 v10, 0x80000000, v10
	v_or3_b32 v11, v6, v10, v8
	v_mov_b32_e32 v10, v7
.LBB204_1148:                           ;   in Loop: Header=BB204_675 Depth=1
	s_or_b32 exec_lo, exec_lo, s18
.LBB204_1149:                           ;   in Loop: Header=BB204_675 Depth=1
	s_or_b32 exec_lo, exec_lo, s17
.LBB204_1150:                           ;   in Loop: Header=BB204_675 Depth=1
	s_or_b32 exec_lo, exec_lo, s15
	v_or_b32_e32 v6, v18, v16
	v_or_b32_e32 v8, v17, v15
	;; [unrolled: 1-line block ×4, first 2 shown]
	v_mul_f32_e32 v120, v83, v6
	v_mul_f32_e32 v111, v83, v8
	;; [unrolled: 1-line block ×4, first 2 shown]
	s_and_saveexec_b32 s15, vcc_lo
	s_cbranch_execz .LBB204_1152
; %bb.1151:                             ;   in Loop: Header=BB204_675 Depth=1
	v_cmp_lt_i32_e64 s4, v96, v47
	v_cndmask_b32_e64 v111, 0, v111, s4
	v_cmp_lt_i32_e64 s4, v99, v47
	v_cndmask_b32_e64 v120, 0, v120, s4
	;; [unrolled: 2-line block ×4, first 2 shown]
.LBB204_1152:                           ;   in Loop: Header=BB204_675 Depth=1
	s_or_b32 exec_lo, exec_lo, s15
	flat_load_dword v13, v[0:1] offset:1792
	v_mov_b32_e32 v17, 0
	v_mov_b32_e32 v15, 0
	;; [unrolled: 1-line block ×4, first 2 shown]
	s_waitcnt vmcnt(0) lgkmcnt(0)
	v_cmp_ne_u16_sdwa s4, v13, v7 src0_sel:BYTE_0 src1_sel:DWORD
	s_and_saveexec_b32 s15, s4
	s_cbranch_execz .LBB204_1160
; %bb.1153:                             ;   in Loop: Header=BB204_675 Depth=1
	v_bfrev_b32_e32 v15, 1
	v_mov_b32_e32 v16, 0
	v_cmp_ne_u16_sdwa s4, v13, v66 src0_sel:BYTE_0 src1_sel:DWORD
	s_and_saveexec_b32 s17, s4
	s_cbranch_execz .LBB204_1159
; %bb.1154:                             ;   in Loop: Header=BB204_675 Depth=1
	v_mov_b32_e32 v15, 0x7f800001
	v_and_b32_e32 v10, 0x7f, v13
	v_mov_b32_e32 v16, 0
	s_mov_b32 s18, exec_lo
	v_cmpx_ne_u32_e32 0x7f, v10
	s_cbranch_execz .LBB204_1158
; %bb.1155:                             ;   in Loop: Header=BB204_675 Depth=1
	v_and_b32_e32 v6, 7, v13
	v_lshrrev_b32_e32 v8, 3, v10
	s_mov_b32 s19, exec_lo
	v_cmpx_gt_u32_e32 8, v10
; %bb.1156:                             ;   in Loop: Header=BB204_675 Depth=1
	v_ffbh_u32_e32 v8, v6
	v_min_u32_e32 v8, 32, v8
	v_subrev_nc_u32_e32 v10, 28, v8
	v_sub_nc_u32_e32 v8, 29, v8
	v_lshlrev_b64 v[10:11], v10, v[6:7]
	v_and_b32_e32 v6, 7, v10
; %bb.1157:                             ;   in Loop: Header=BB204_675 Depth=1
	s_or_b32 exec_lo, exec_lo, s19
	v_lshlrev_b32_e32 v10, 24, v13
	v_lshlrev_b32_e32 v6, 20, v6
	v_lshl_add_u32 v8, v8, 23, 0x3c000000
	v_and_b32_e32 v10, 0x80000000, v10
	v_or3_b32 v6, v6, v10, v8
	v_mov_b32_e32 v16, v7
	v_mov_b32_e32 v15, v6
.LBB204_1158:                           ;   in Loop: Header=BB204_675 Depth=1
	s_or_b32 exec_lo, exec_lo, s18
.LBB204_1159:                           ;   in Loop: Header=BB204_675 Depth=1
	s_or_b32 exec_lo, exec_lo, s17
.LBB204_1160:                           ;   in Loop: Header=BB204_675 Depth=1
	s_or_b32 exec_lo, exec_lo, s15
	v_cmp_ne_u16_sdwa s4, v13, v7 src0_sel:BYTE_1 src1_sel:DWORD
	s_and_saveexec_b32 s15, s4
	s_cbranch_execz .LBB204_1168
; %bb.1161:                             ;   in Loop: Header=BB204_675 Depth=1
	v_mov_b32_e32 v8, v7
	v_mov_b32_e32 v18, v9
	v_cmp_ne_u16_sdwa s4, v13, v66 src0_sel:BYTE_1 src1_sel:DWORD
	v_mov_b32_e32 v17, v8
	s_and_saveexec_b32 s17, s4
	s_cbranch_execz .LBB204_1167
; %bb.1162:                             ;   in Loop: Header=BB204_675 Depth=1
	v_and_b32_sdwa v6, v67, v13 dst_sel:DWORD dst_unused:UNUSED_PAD src0_sel:DWORD src1_sel:BYTE_1
	v_mov_b32_e32 v11, v7
	v_mov_b32_e32 v18, v12
	s_mov_b32 s18, exec_lo
	v_and_b32_e32 v10, 0x7f, v6
	v_mov_b32_e32 v17, v11
	v_cmpx_ne_u32_e32 0x7f, v10
	s_cbranch_execz .LBB204_1166
; %bb.1163:                             ;   in Loop: Header=BB204_675 Depth=1
	v_and_b32_e32 v6, 7, v6
	v_lshrrev_b32_e32 v8, 3, v10
	s_mov_b32 s19, exec_lo
	v_cmpx_gt_u32_e32 8, v10
; %bb.1164:                             ;   in Loop: Header=BB204_675 Depth=1
	v_ffbh_u32_e32 v8, v6
	v_min_u32_e32 v8, 32, v8
	v_subrev_nc_u32_e32 v10, 28, v8
	v_sub_nc_u32_e32 v8, 29, v8
	v_lshlrev_b64 v[10:11], v10, v[6:7]
	v_and_b32_e32 v6, 7, v10
; %bb.1165:                             ;   in Loop: Header=BB204_675 Depth=1
	s_or_b32 exec_lo, exec_lo, s19
	v_lshlrev_b32_e32 v10, 16, v13
	v_lshlrev_b32_e32 v6, 20, v6
	v_lshl_add_u32 v8, v8, 23, 0x3c000000
	v_mov_b32_e32 v17, v7
	v_and_b32_e32 v10, 0x80000000, v10
	v_or3_b32 v18, v6, v10, v8
.LBB204_1166:                           ;   in Loop: Header=BB204_675 Depth=1
	s_or_b32 exec_lo, exec_lo, s18
.LBB204_1167:                           ;   in Loop: Header=BB204_675 Depth=1
	s_or_b32 exec_lo, exec_lo, s17
.LBB204_1168:                           ;   in Loop: Header=BB204_675 Depth=1
	s_or_b32 exec_lo, exec_lo, s15
	v_mov_b32_e32 v10, 0
	v_mov_b32_e32 v21, 0
	v_and_b32_sdwa v6, v13, v68 dst_sel:DWORD dst_unused:UNUSED_PAD src0_sel:WORD_1 src1_sel:DWORD
	v_mov_b32_e32 v11, 0
	v_mov_b32_e32 v22, 0
	s_mov_b32 s15, exec_lo
	v_cmpx_ne_u16_e32 0, v6
	s_cbranch_execz .LBB204_1176
; %bb.1169:                             ;   in Loop: Header=BB204_675 Depth=1
	v_bfrev_b32_e32 v21, 1
	v_mov_b32_e32 v22, 0
	s_mov_b32 s17, exec_lo
	v_cmpx_ne_u16_e32 0x80, v6
	s_cbranch_execz .LBB204_1175
; %bb.1170:                             ;   in Loop: Header=BB204_675 Depth=1
	v_mov_b32_e32 v21, 0x7f800001
	v_bfe_u32 v14, v13, 16, 7
	v_mov_b32_e32 v22, 0
	s_mov_b32 s18, exec_lo
	v_cmpx_ne_u32_e32 0x7f, v14
	s_cbranch_execz .LBB204_1174
; %bb.1171:                             ;   in Loop: Header=BB204_675 Depth=1
	v_and_b32_sdwa v6, v13, v69 dst_sel:DWORD dst_unused:UNUSED_PAD src0_sel:WORD_1 src1_sel:DWORD
	v_lshrrev_b32_e32 v8, 3, v14
	s_mov_b32 s19, exec_lo
	v_cmpx_gt_u32_e32 8, v14
; %bb.1172:                             ;   in Loop: Header=BB204_675 Depth=1
	v_ffbh_u32_e32 v8, v6
	v_min_u32_e32 v8, 32, v8
	v_subrev_nc_u32_e32 v14, 28, v8
	v_sub_nc_u32_e32 v8, 29, v8
	v_lshlrev_b64 v[21:22], v14, v[6:7]
	v_and_b32_e32 v6, 7, v21
; %bb.1173:                             ;   in Loop: Header=BB204_675 Depth=1
	s_or_b32 exec_lo, exec_lo, s19
	v_lshlrev_b32_sdwa v14, v70, v13 dst_sel:DWORD dst_unused:UNUSED_PAD src0_sel:DWORD src1_sel:WORD_1
	v_lshlrev_b32_e32 v6, 20, v6
	v_lshl_add_u32 v8, v8, 23, 0x3c000000
	v_and_b32_e32 v14, 0x80000000, v14
	v_or3_b32 v6, v6, v14, v8
	v_mov_b32_e32 v22, v7
	v_mov_b32_e32 v21, v6
.LBB204_1174:                           ;   in Loop: Header=BB204_675 Depth=1
	s_or_b32 exec_lo, exec_lo, s18
.LBB204_1175:                           ;   in Loop: Header=BB204_675 Depth=1
	s_or_b32 exec_lo, exec_lo, s17
.LBB204_1176:                           ;   in Loop: Header=BB204_675 Depth=1
	s_or_b32 exec_lo, exec_lo, s15
	s_mov_b32 s15, exec_lo
	v_cmpx_lt_u32_e32 0xffffff, v13
	s_cbranch_execz .LBB204_1184
; %bb.1177:                             ;   in Loop: Header=BB204_675 Depth=1
	v_mov_b32_e32 v8, v7
	v_mov_b32_e32 v11, v9
	v_cmp_ne_u32_sdwa s4, v13, v66 src0_sel:BYTE_3 src1_sel:DWORD
	v_mov_b32_e32 v10, v8
	s_and_saveexec_b32 s17, s4
	s_cbranch_execz .LBB204_1183
; %bb.1178:                             ;   in Loop: Header=BB204_675 Depth=1
	v_mov_b32_e32 v11, v7
	v_bfe_u32 v14, v13, 24, 7
	s_mov_b32 s18, exec_lo
	v_mov_b32_e32 v10, v11
	v_mov_b32_e32 v11, v12
	v_cmpx_ne_u32_e32 0x7f, v14
	s_cbranch_execz .LBB204_1182
; %bb.1179:                             ;   in Loop: Header=BB204_675 Depth=1
	v_and_b32_sdwa v6, v13, v69 dst_sel:DWORD dst_unused:UNUSED_PAD src0_sel:BYTE_3 src1_sel:DWORD
	v_lshrrev_b32_e32 v8, 3, v14
	s_mov_b32 s19, exec_lo
	v_cmpx_gt_u32_e32 8, v14
; %bb.1180:                             ;   in Loop: Header=BB204_675 Depth=1
	v_ffbh_u32_e32 v8, v6
	v_min_u32_e32 v8, 32, v8
	v_subrev_nc_u32_e32 v10, 28, v8
	v_sub_nc_u32_e32 v8, 29, v8
	v_lshlrev_b64 v[10:11], v10, v[6:7]
	v_and_b32_e32 v6, 7, v10
; %bb.1181:                             ;   in Loop: Header=BB204_675 Depth=1
	s_or_b32 exec_lo, exec_lo, s19
	v_lshlrev_b32_sdwa v10, v70, v13 dst_sel:DWORD dst_unused:UNUSED_PAD src0_sel:DWORD src1_sel:BYTE_3
	v_lshlrev_b32_e32 v6, 20, v6
	v_lshl_add_u32 v8, v8, 23, 0x3c000000
	v_and_b32_e32 v10, 0x80000000, v10
	v_or3_b32 v11, v6, v10, v8
	v_mov_b32_e32 v10, v7
.LBB204_1182:                           ;   in Loop: Header=BB204_675 Depth=1
	s_or_b32 exec_lo, exec_lo, s18
.LBB204_1183:                           ;   in Loop: Header=BB204_675 Depth=1
	s_or_b32 exec_lo, exec_lo, s17
.LBB204_1184:                           ;   in Loop: Header=BB204_675 Depth=1
	s_or_b32 exec_lo, exec_lo, s15
	v_or_b32_e32 v6, v18, v16
	v_or_b32_e32 v8, v17, v15
	;; [unrolled: 1-line block ×4, first 2 shown]
	v_mul_f32_e32 v124, v83, v6
	v_mul_f32_e32 v123, v83, v8
	;; [unrolled: 1-line block ×4, first 2 shown]
	s_and_saveexec_b32 s15, vcc_lo
	s_cbranch_execz .LBB204_1186
; %bb.1185:                             ;   in Loop: Header=BB204_675 Depth=1
	v_cmp_lt_i32_e64 s4, v96, v47
	v_cndmask_b32_e64 v123, 0, v123, s4
	v_cmp_lt_i32_e64 s4, v99, v47
	v_cndmask_b32_e64 v124, 0, v124, s4
	;; [unrolled: 2-line block ×4, first 2 shown]
.LBB204_1186:                           ;   in Loop: Header=BB204_675 Depth=1
	s_or_b32 exec_lo, exec_lo, s15
	flat_load_dword v13, v[0:1] offset:1920
	v_mov_b32_e32 v17, 0
	v_mov_b32_e32 v15, 0
	;; [unrolled: 1-line block ×4, first 2 shown]
	s_waitcnt vmcnt(0) lgkmcnt(0)
	v_cmp_ne_u16_sdwa s4, v13, v7 src0_sel:BYTE_0 src1_sel:DWORD
	s_and_saveexec_b32 s15, s4
	s_cbranch_execz .LBB204_1194
; %bb.1187:                             ;   in Loop: Header=BB204_675 Depth=1
	v_bfrev_b32_e32 v15, 1
	v_mov_b32_e32 v16, 0
	v_cmp_ne_u16_sdwa s4, v13, v66 src0_sel:BYTE_0 src1_sel:DWORD
	s_and_saveexec_b32 s17, s4
	s_cbranch_execz .LBB204_1193
; %bb.1188:                             ;   in Loop: Header=BB204_675 Depth=1
	v_mov_b32_e32 v15, 0x7f800001
	v_and_b32_e32 v10, 0x7f, v13
	v_mov_b32_e32 v16, 0
	s_mov_b32 s18, exec_lo
	v_cmpx_ne_u32_e32 0x7f, v10
	s_cbranch_execz .LBB204_1192
; %bb.1189:                             ;   in Loop: Header=BB204_675 Depth=1
	v_and_b32_e32 v6, 7, v13
	v_lshrrev_b32_e32 v8, 3, v10
	s_mov_b32 s19, exec_lo
	v_cmpx_gt_u32_e32 8, v10
; %bb.1190:                             ;   in Loop: Header=BB204_675 Depth=1
	v_ffbh_u32_e32 v8, v6
	v_min_u32_e32 v8, 32, v8
	v_subrev_nc_u32_e32 v10, 28, v8
	v_sub_nc_u32_e32 v8, 29, v8
	v_lshlrev_b64 v[10:11], v10, v[6:7]
	v_and_b32_e32 v6, 7, v10
; %bb.1191:                             ;   in Loop: Header=BB204_675 Depth=1
	s_or_b32 exec_lo, exec_lo, s19
	v_lshlrev_b32_e32 v10, 24, v13
	v_lshlrev_b32_e32 v6, 20, v6
	v_lshl_add_u32 v8, v8, 23, 0x3c000000
	v_and_b32_e32 v10, 0x80000000, v10
	v_or3_b32 v6, v6, v10, v8
	v_mov_b32_e32 v16, v7
	v_mov_b32_e32 v15, v6
.LBB204_1192:                           ;   in Loop: Header=BB204_675 Depth=1
	s_or_b32 exec_lo, exec_lo, s18
.LBB204_1193:                           ;   in Loop: Header=BB204_675 Depth=1
	s_or_b32 exec_lo, exec_lo, s17
.LBB204_1194:                           ;   in Loop: Header=BB204_675 Depth=1
	s_or_b32 exec_lo, exec_lo, s15
	v_cmp_ne_u16_sdwa s4, v13, v7 src0_sel:BYTE_1 src1_sel:DWORD
	s_and_saveexec_b32 s15, s4
	s_cbranch_execz .LBB204_1202
; %bb.1195:                             ;   in Loop: Header=BB204_675 Depth=1
	v_mov_b32_e32 v8, v7
	v_mov_b32_e32 v18, v9
	v_cmp_ne_u16_sdwa s4, v13, v66 src0_sel:BYTE_1 src1_sel:DWORD
	v_mov_b32_e32 v17, v8
	s_and_saveexec_b32 s17, s4
	s_cbranch_execz .LBB204_1201
; %bb.1196:                             ;   in Loop: Header=BB204_675 Depth=1
	v_and_b32_sdwa v6, v67, v13 dst_sel:DWORD dst_unused:UNUSED_PAD src0_sel:DWORD src1_sel:BYTE_1
	v_mov_b32_e32 v11, v7
	v_mov_b32_e32 v18, v12
	s_mov_b32 s18, exec_lo
	v_and_b32_e32 v10, 0x7f, v6
	v_mov_b32_e32 v17, v11
	v_cmpx_ne_u32_e32 0x7f, v10
	s_cbranch_execz .LBB204_1200
; %bb.1197:                             ;   in Loop: Header=BB204_675 Depth=1
	v_and_b32_e32 v6, 7, v6
	v_lshrrev_b32_e32 v8, 3, v10
	s_mov_b32 s19, exec_lo
	v_cmpx_gt_u32_e32 8, v10
; %bb.1198:                             ;   in Loop: Header=BB204_675 Depth=1
	v_ffbh_u32_e32 v8, v6
	v_min_u32_e32 v8, 32, v8
	v_subrev_nc_u32_e32 v10, 28, v8
	v_sub_nc_u32_e32 v8, 29, v8
	v_lshlrev_b64 v[10:11], v10, v[6:7]
	v_and_b32_e32 v6, 7, v10
; %bb.1199:                             ;   in Loop: Header=BB204_675 Depth=1
	s_or_b32 exec_lo, exec_lo, s19
	v_lshlrev_b32_e32 v10, 16, v13
	v_lshlrev_b32_e32 v6, 20, v6
	v_lshl_add_u32 v8, v8, 23, 0x3c000000
	v_mov_b32_e32 v17, v7
	v_and_b32_e32 v10, 0x80000000, v10
	v_or3_b32 v18, v6, v10, v8
.LBB204_1200:                           ;   in Loop: Header=BB204_675 Depth=1
	s_or_b32 exec_lo, exec_lo, s18
.LBB204_1201:                           ;   in Loop: Header=BB204_675 Depth=1
	s_or_b32 exec_lo, exec_lo, s17
.LBB204_1202:                           ;   in Loop: Header=BB204_675 Depth=1
	s_or_b32 exec_lo, exec_lo, s15
	v_mov_b32_e32 v10, 0
	v_mov_b32_e32 v21, 0
	v_and_b32_sdwa v6, v13, v68 dst_sel:DWORD dst_unused:UNUSED_PAD src0_sel:WORD_1 src1_sel:DWORD
	v_mov_b32_e32 v11, 0
	v_mov_b32_e32 v22, 0
	s_mov_b32 s15, exec_lo
	v_cmpx_ne_u16_e32 0, v6
	s_cbranch_execz .LBB204_1210
; %bb.1203:                             ;   in Loop: Header=BB204_675 Depth=1
	v_bfrev_b32_e32 v21, 1
	v_mov_b32_e32 v22, 0
	s_mov_b32 s17, exec_lo
	v_cmpx_ne_u16_e32 0x80, v6
	s_cbranch_execz .LBB204_1209
; %bb.1204:                             ;   in Loop: Header=BB204_675 Depth=1
	v_mov_b32_e32 v21, 0x7f800001
	v_bfe_u32 v14, v13, 16, 7
	v_mov_b32_e32 v22, 0
	s_mov_b32 s18, exec_lo
	v_cmpx_ne_u32_e32 0x7f, v14
	s_cbranch_execz .LBB204_1208
; %bb.1205:                             ;   in Loop: Header=BB204_675 Depth=1
	v_and_b32_sdwa v6, v13, v69 dst_sel:DWORD dst_unused:UNUSED_PAD src0_sel:WORD_1 src1_sel:DWORD
	v_lshrrev_b32_e32 v8, 3, v14
	s_mov_b32 s19, exec_lo
	v_cmpx_gt_u32_e32 8, v14
; %bb.1206:                             ;   in Loop: Header=BB204_675 Depth=1
	v_ffbh_u32_e32 v8, v6
	v_min_u32_e32 v8, 32, v8
	v_subrev_nc_u32_e32 v14, 28, v8
	v_sub_nc_u32_e32 v8, 29, v8
	v_lshlrev_b64 v[21:22], v14, v[6:7]
	v_and_b32_e32 v6, 7, v21
; %bb.1207:                             ;   in Loop: Header=BB204_675 Depth=1
	s_or_b32 exec_lo, exec_lo, s19
	v_lshlrev_b32_sdwa v14, v70, v13 dst_sel:DWORD dst_unused:UNUSED_PAD src0_sel:DWORD src1_sel:WORD_1
	v_lshlrev_b32_e32 v6, 20, v6
	v_lshl_add_u32 v8, v8, 23, 0x3c000000
	v_and_b32_e32 v14, 0x80000000, v14
	v_or3_b32 v6, v6, v14, v8
	v_mov_b32_e32 v22, v7
	v_mov_b32_e32 v21, v6
.LBB204_1208:                           ;   in Loop: Header=BB204_675 Depth=1
	s_or_b32 exec_lo, exec_lo, s18
.LBB204_1209:                           ;   in Loop: Header=BB204_675 Depth=1
	s_or_b32 exec_lo, exec_lo, s17
.LBB204_1210:                           ;   in Loop: Header=BB204_675 Depth=1
	s_or_b32 exec_lo, exec_lo, s15
	s_mov_b32 s15, exec_lo
	v_cmpx_lt_u32_e32 0xffffff, v13
	s_cbranch_execz .LBB204_1218
; %bb.1211:                             ;   in Loop: Header=BB204_675 Depth=1
	v_mov_b32_e32 v8, v7
	v_mov_b32_e32 v11, v9
	v_cmp_ne_u32_sdwa s4, v13, v66 src0_sel:BYTE_3 src1_sel:DWORD
	v_mov_b32_e32 v10, v8
	s_and_saveexec_b32 s17, s4
	s_cbranch_execz .LBB204_1217
; %bb.1212:                             ;   in Loop: Header=BB204_675 Depth=1
	v_mov_b32_e32 v11, v7
	v_bfe_u32 v14, v13, 24, 7
	s_mov_b32 s18, exec_lo
	v_mov_b32_e32 v10, v11
	v_mov_b32_e32 v11, v12
	v_cmpx_ne_u32_e32 0x7f, v14
	s_cbranch_execz .LBB204_1216
; %bb.1213:                             ;   in Loop: Header=BB204_675 Depth=1
	v_and_b32_sdwa v6, v13, v69 dst_sel:DWORD dst_unused:UNUSED_PAD src0_sel:BYTE_3 src1_sel:DWORD
	v_lshrrev_b32_e32 v8, 3, v14
	s_mov_b32 s19, exec_lo
	v_cmpx_gt_u32_e32 8, v14
; %bb.1214:                             ;   in Loop: Header=BB204_675 Depth=1
	v_ffbh_u32_e32 v8, v6
	v_min_u32_e32 v8, 32, v8
	v_subrev_nc_u32_e32 v10, 28, v8
	v_sub_nc_u32_e32 v8, 29, v8
	v_lshlrev_b64 v[10:11], v10, v[6:7]
	v_and_b32_e32 v6, 7, v10
; %bb.1215:                             ;   in Loop: Header=BB204_675 Depth=1
	s_or_b32 exec_lo, exec_lo, s19
	v_lshlrev_b32_sdwa v10, v70, v13 dst_sel:DWORD dst_unused:UNUSED_PAD src0_sel:DWORD src1_sel:BYTE_3
	v_lshlrev_b32_e32 v6, 20, v6
	v_lshl_add_u32 v8, v8, 23, 0x3c000000
	v_and_b32_e32 v10, 0x80000000, v10
	v_or3_b32 v11, v6, v10, v8
	v_mov_b32_e32 v10, v7
.LBB204_1216:                           ;   in Loop: Header=BB204_675 Depth=1
	s_or_b32 exec_lo, exec_lo, s18
.LBB204_1217:                           ;   in Loop: Header=BB204_675 Depth=1
	s_or_b32 exec_lo, exec_lo, s17
.LBB204_1218:                           ;   in Loop: Header=BB204_675 Depth=1
	s_or_b32 exec_lo, exec_lo, s15
	v_or_b32_e32 v6, v18, v16
	v_or_b32_e32 v8, v17, v15
	;; [unrolled: 1-line block ×4, first 2 shown]
	v_mul_f32_e32 v28, v83, v6
	v_mul_f32_e32 v127, v83, v8
	;; [unrolled: 1-line block ×4, first 2 shown]
	s_and_saveexec_b32 s15, vcc_lo
	s_cbranch_execz .LBB204_1220
; %bb.1219:                             ;   in Loop: Header=BB204_675 Depth=1
	v_cmp_lt_i32_e64 s4, v96, v47
	v_cndmask_b32_e64 v127, 0, v127, s4
	v_cmp_lt_i32_e64 s4, v99, v47
	v_cndmask_b32_e64 v28, 0, v28, s4
	;; [unrolled: 2-line block ×4, first 2 shown]
.LBB204_1220:                           ;   in Loop: Header=BB204_675 Depth=1
	s_or_b32 exec_lo, exec_lo, s15
	v_add_co_u32 v0, s4, 0x800, v0
	v_add_co_ci_u32_e64 v1, null, 0, v1, s4
	v_mov_b32_e32 v17, 0
	v_mov_b32_e32 v15, 0
	;; [unrolled: 1-line block ×3, first 2 shown]
	flat_load_dword v13, v[0:1]
	v_mov_b32_e32 v16, 0
	s_waitcnt vmcnt(0) lgkmcnt(0)
	v_cmp_ne_u16_sdwa s4, v13, v7 src0_sel:BYTE_0 src1_sel:DWORD
	s_and_saveexec_b32 s15, s4
	s_cbranch_execz .LBB204_1228
; %bb.1221:                             ;   in Loop: Header=BB204_675 Depth=1
	v_bfrev_b32_e32 v15, 1
	v_mov_b32_e32 v16, 0
	v_cmp_ne_u16_sdwa s4, v13, v66 src0_sel:BYTE_0 src1_sel:DWORD
	s_and_saveexec_b32 s17, s4
	s_cbranch_execz .LBB204_1227
; %bb.1222:                             ;   in Loop: Header=BB204_675 Depth=1
	v_mov_b32_e32 v15, 0x7f800001
	v_and_b32_e32 v10, 0x7f, v13
	v_mov_b32_e32 v16, 0
	s_mov_b32 s18, exec_lo
	v_cmpx_ne_u32_e32 0x7f, v10
	s_cbranch_execz .LBB204_1226
; %bb.1223:                             ;   in Loop: Header=BB204_675 Depth=1
	v_and_b32_e32 v6, 7, v13
	v_lshrrev_b32_e32 v8, 3, v10
	s_mov_b32 s19, exec_lo
	v_cmpx_gt_u32_e32 8, v10
; %bb.1224:                             ;   in Loop: Header=BB204_675 Depth=1
	v_ffbh_u32_e32 v8, v6
	v_min_u32_e32 v8, 32, v8
	v_subrev_nc_u32_e32 v10, 28, v8
	v_sub_nc_u32_e32 v8, 29, v8
	v_lshlrev_b64 v[10:11], v10, v[6:7]
	v_and_b32_e32 v6, 7, v10
; %bb.1225:                             ;   in Loop: Header=BB204_675 Depth=1
	s_or_b32 exec_lo, exec_lo, s19
	v_lshlrev_b32_e32 v10, 24, v13
	v_lshlrev_b32_e32 v6, 20, v6
	v_lshl_add_u32 v8, v8, 23, 0x3c000000
	v_and_b32_e32 v10, 0x80000000, v10
	v_or3_b32 v6, v6, v10, v8
	v_mov_b32_e32 v16, v7
	v_mov_b32_e32 v15, v6
.LBB204_1226:                           ;   in Loop: Header=BB204_675 Depth=1
	s_or_b32 exec_lo, exec_lo, s18
.LBB204_1227:                           ;   in Loop: Header=BB204_675 Depth=1
	s_or_b32 exec_lo, exec_lo, s17
.LBB204_1228:                           ;   in Loop: Header=BB204_675 Depth=1
	s_or_b32 exec_lo, exec_lo, s15
	v_cmp_ne_u16_sdwa s4, v13, v7 src0_sel:BYTE_1 src1_sel:DWORD
	s_and_saveexec_b32 s15, s4
	s_cbranch_execz .LBB204_1236
; %bb.1229:                             ;   in Loop: Header=BB204_675 Depth=1
	v_mov_b32_e32 v8, v7
	v_mov_b32_e32 v18, v9
	v_cmp_ne_u16_sdwa s4, v13, v66 src0_sel:BYTE_1 src1_sel:DWORD
	v_mov_b32_e32 v17, v8
	s_and_saveexec_b32 s17, s4
	s_cbranch_execz .LBB204_1235
; %bb.1230:                             ;   in Loop: Header=BB204_675 Depth=1
	v_and_b32_sdwa v6, v67, v13 dst_sel:DWORD dst_unused:UNUSED_PAD src0_sel:DWORD src1_sel:BYTE_1
	v_mov_b32_e32 v11, v7
	v_mov_b32_e32 v18, v12
	s_mov_b32 s18, exec_lo
	v_and_b32_e32 v10, 0x7f, v6
	v_mov_b32_e32 v17, v11
	v_cmpx_ne_u32_e32 0x7f, v10
	s_cbranch_execz .LBB204_1234
; %bb.1231:                             ;   in Loop: Header=BB204_675 Depth=1
	v_and_b32_e32 v6, 7, v6
	v_lshrrev_b32_e32 v8, 3, v10
	s_mov_b32 s19, exec_lo
	v_cmpx_gt_u32_e32 8, v10
; %bb.1232:                             ;   in Loop: Header=BB204_675 Depth=1
	v_ffbh_u32_e32 v8, v6
	v_min_u32_e32 v8, 32, v8
	v_subrev_nc_u32_e32 v10, 28, v8
	v_sub_nc_u32_e32 v8, 29, v8
	v_lshlrev_b64 v[10:11], v10, v[6:7]
	v_and_b32_e32 v6, 7, v10
; %bb.1233:                             ;   in Loop: Header=BB204_675 Depth=1
	s_or_b32 exec_lo, exec_lo, s19
	v_lshlrev_b32_e32 v10, 16, v13
	v_lshlrev_b32_e32 v6, 20, v6
	v_lshl_add_u32 v8, v8, 23, 0x3c000000
	v_mov_b32_e32 v17, v7
	v_and_b32_e32 v10, 0x80000000, v10
	v_or3_b32 v18, v6, v10, v8
.LBB204_1234:                           ;   in Loop: Header=BB204_675 Depth=1
	s_or_b32 exec_lo, exec_lo, s18
.LBB204_1235:                           ;   in Loop: Header=BB204_675 Depth=1
	s_or_b32 exec_lo, exec_lo, s17
.LBB204_1236:                           ;   in Loop: Header=BB204_675 Depth=1
	s_or_b32 exec_lo, exec_lo, s15
	v_mov_b32_e32 v10, 0
	v_mov_b32_e32 v21, 0
	v_and_b32_sdwa v6, v13, v68 dst_sel:DWORD dst_unused:UNUSED_PAD src0_sel:WORD_1 src1_sel:DWORD
	v_mov_b32_e32 v11, 0
	v_mov_b32_e32 v22, 0
	s_mov_b32 s15, exec_lo
	v_cmpx_ne_u16_e32 0, v6
	s_cbranch_execz .LBB204_1244
; %bb.1237:                             ;   in Loop: Header=BB204_675 Depth=1
	v_bfrev_b32_e32 v21, 1
	v_mov_b32_e32 v22, 0
	s_mov_b32 s17, exec_lo
	v_cmpx_ne_u16_e32 0x80, v6
	s_cbranch_execz .LBB204_1243
; %bb.1238:                             ;   in Loop: Header=BB204_675 Depth=1
	v_mov_b32_e32 v21, 0x7f800001
	v_bfe_u32 v14, v13, 16, 7
	v_mov_b32_e32 v22, 0
	s_mov_b32 s18, exec_lo
	v_cmpx_ne_u32_e32 0x7f, v14
	s_cbranch_execz .LBB204_1242
; %bb.1239:                             ;   in Loop: Header=BB204_675 Depth=1
	v_and_b32_sdwa v6, v13, v69 dst_sel:DWORD dst_unused:UNUSED_PAD src0_sel:WORD_1 src1_sel:DWORD
	v_lshrrev_b32_e32 v8, 3, v14
	s_mov_b32 s19, exec_lo
	v_cmpx_gt_u32_e32 8, v14
; %bb.1240:                             ;   in Loop: Header=BB204_675 Depth=1
	v_ffbh_u32_e32 v8, v6
	v_min_u32_e32 v8, 32, v8
	v_subrev_nc_u32_e32 v14, 28, v8
	v_sub_nc_u32_e32 v8, 29, v8
	v_lshlrev_b64 v[21:22], v14, v[6:7]
	v_and_b32_e32 v6, 7, v21
; %bb.1241:                             ;   in Loop: Header=BB204_675 Depth=1
	s_or_b32 exec_lo, exec_lo, s19
	v_lshlrev_b32_sdwa v14, v70, v13 dst_sel:DWORD dst_unused:UNUSED_PAD src0_sel:DWORD src1_sel:WORD_1
	v_lshlrev_b32_e32 v6, 20, v6
	v_lshl_add_u32 v8, v8, 23, 0x3c000000
	v_and_b32_e32 v14, 0x80000000, v14
	v_or3_b32 v6, v6, v14, v8
	v_mov_b32_e32 v22, v7
	v_mov_b32_e32 v21, v6
.LBB204_1242:                           ;   in Loop: Header=BB204_675 Depth=1
	s_or_b32 exec_lo, exec_lo, s18
.LBB204_1243:                           ;   in Loop: Header=BB204_675 Depth=1
	s_or_b32 exec_lo, exec_lo, s17
.LBB204_1244:                           ;   in Loop: Header=BB204_675 Depth=1
	s_or_b32 exec_lo, exec_lo, s15
	s_mov_b32 s15, exec_lo
	v_cmpx_lt_u32_e32 0xffffff, v13
	s_cbranch_execz .LBB204_1252
; %bb.1245:                             ;   in Loop: Header=BB204_675 Depth=1
	v_mov_b32_e32 v8, v7
	v_mov_b32_e32 v11, v9
	v_cmp_ne_u32_sdwa s4, v13, v66 src0_sel:BYTE_3 src1_sel:DWORD
	v_mov_b32_e32 v10, v8
	s_and_saveexec_b32 s17, s4
	s_cbranch_execz .LBB204_1251
; %bb.1246:                             ;   in Loop: Header=BB204_675 Depth=1
	v_mov_b32_e32 v11, v7
	v_bfe_u32 v14, v13, 24, 7
	s_mov_b32 s18, exec_lo
	v_mov_b32_e32 v10, v11
	v_mov_b32_e32 v11, v12
	v_cmpx_ne_u32_e32 0x7f, v14
	s_cbranch_execz .LBB204_1250
; %bb.1247:                             ;   in Loop: Header=BB204_675 Depth=1
	v_and_b32_sdwa v6, v13, v69 dst_sel:DWORD dst_unused:UNUSED_PAD src0_sel:BYTE_3 src1_sel:DWORD
	v_lshrrev_b32_e32 v8, 3, v14
	s_mov_b32 s19, exec_lo
	v_cmpx_gt_u32_e32 8, v14
; %bb.1248:                             ;   in Loop: Header=BB204_675 Depth=1
	v_ffbh_u32_e32 v8, v6
	v_min_u32_e32 v8, 32, v8
	v_subrev_nc_u32_e32 v10, 28, v8
	v_sub_nc_u32_e32 v8, 29, v8
	v_lshlrev_b64 v[10:11], v10, v[6:7]
	v_and_b32_e32 v6, 7, v10
; %bb.1249:                             ;   in Loop: Header=BB204_675 Depth=1
	s_or_b32 exec_lo, exec_lo, s19
	v_lshlrev_b32_sdwa v10, v70, v13 dst_sel:DWORD dst_unused:UNUSED_PAD src0_sel:DWORD src1_sel:BYTE_3
	v_lshlrev_b32_e32 v6, 20, v6
	v_lshl_add_u32 v8, v8, 23, 0x3c000000
	v_and_b32_e32 v10, 0x80000000, v10
	v_or3_b32 v11, v6, v10, v8
	v_mov_b32_e32 v10, v7
.LBB204_1250:                           ;   in Loop: Header=BB204_675 Depth=1
	s_or_b32 exec_lo, exec_lo, s18
.LBB204_1251:                           ;   in Loop: Header=BB204_675 Depth=1
	s_or_b32 exec_lo, exec_lo, s17
.LBB204_1252:                           ;   in Loop: Header=BB204_675 Depth=1
	s_or_b32 exec_lo, exec_lo, s15
	v_or_b32_e32 v6, v18, v16
	v_or_b32_e32 v8, v17, v15
	;; [unrolled: 1-line block ×4, first 2 shown]
	v_mul_f32_e32 v81, v83, v6
	v_mul_f32_e32 v14, v83, v8
	v_mul_f32_e32 v13, v83, v10
	v_mul_f32_e32 v71, v83, v11
	s_and_saveexec_b32 s15, vcc_lo
	s_cbranch_execz .LBB204_1254
; %bb.1253:                             ;   in Loop: Header=BB204_675 Depth=1
	v_cmp_lt_i32_e64 s4, v96, v47
	v_cndmask_b32_e64 v14, 0, v14, s4
	v_cmp_lt_i32_e64 s4, v99, v47
	v_cndmask_b32_e64 v81, 0, v81, s4
	;; [unrolled: 2-line block ×4, first 2 shown]
.LBB204_1254:                           ;   in Loop: Header=BB204_675 Depth=1
	s_or_b32 exec_lo, exec_lo, s15
	flat_load_dword v29, v[0:1] offset:128
	v_mov_b32_e32 v17, 0
	v_mov_b32_e32 v15, 0
	;; [unrolled: 1-line block ×4, first 2 shown]
	s_waitcnt vmcnt(0) lgkmcnt(0)
	v_cmp_ne_u16_sdwa s4, v29, v7 src0_sel:BYTE_0 src1_sel:DWORD
	s_and_saveexec_b32 s15, s4
	s_cbranch_execz .LBB204_1262
; %bb.1255:                             ;   in Loop: Header=BB204_675 Depth=1
	v_bfrev_b32_e32 v15, 1
	v_mov_b32_e32 v16, 0
	v_cmp_ne_u16_sdwa s4, v29, v66 src0_sel:BYTE_0 src1_sel:DWORD
	s_and_saveexec_b32 s17, s4
	s_cbranch_execz .LBB204_1261
; %bb.1256:                             ;   in Loop: Header=BB204_675 Depth=1
	v_mov_b32_e32 v15, 0x7f800001
	v_and_b32_e32 v10, 0x7f, v29
	v_mov_b32_e32 v16, 0
	s_mov_b32 s18, exec_lo
	v_cmpx_ne_u32_e32 0x7f, v10
	s_cbranch_execz .LBB204_1260
; %bb.1257:                             ;   in Loop: Header=BB204_675 Depth=1
	v_and_b32_e32 v6, 7, v29
	v_lshrrev_b32_e32 v8, 3, v10
	s_mov_b32 s19, exec_lo
	v_cmpx_gt_u32_e32 8, v10
; %bb.1258:                             ;   in Loop: Header=BB204_675 Depth=1
	v_ffbh_u32_e32 v8, v6
	v_min_u32_e32 v8, 32, v8
	v_subrev_nc_u32_e32 v10, 28, v8
	v_sub_nc_u32_e32 v8, 29, v8
	v_lshlrev_b64 v[10:11], v10, v[6:7]
	v_and_b32_e32 v6, 7, v10
; %bb.1259:                             ;   in Loop: Header=BB204_675 Depth=1
	s_or_b32 exec_lo, exec_lo, s19
	v_lshlrev_b32_e32 v10, 24, v29
	v_lshlrev_b32_e32 v6, 20, v6
	v_lshl_add_u32 v8, v8, 23, 0x3c000000
	v_and_b32_e32 v10, 0x80000000, v10
	v_or3_b32 v6, v6, v10, v8
	v_mov_b32_e32 v16, v7
	v_mov_b32_e32 v15, v6
.LBB204_1260:                           ;   in Loop: Header=BB204_675 Depth=1
	s_or_b32 exec_lo, exec_lo, s18
.LBB204_1261:                           ;   in Loop: Header=BB204_675 Depth=1
	s_or_b32 exec_lo, exec_lo, s17
.LBB204_1262:                           ;   in Loop: Header=BB204_675 Depth=1
	s_or_b32 exec_lo, exec_lo, s15
	v_cmp_ne_u16_sdwa s4, v29, v7 src0_sel:BYTE_1 src1_sel:DWORD
	s_and_saveexec_b32 s15, s4
	s_cbranch_execz .LBB204_1270
; %bb.1263:                             ;   in Loop: Header=BB204_675 Depth=1
	v_mov_b32_e32 v8, v7
	v_mov_b32_e32 v18, v9
	v_cmp_ne_u16_sdwa s4, v29, v66 src0_sel:BYTE_1 src1_sel:DWORD
	v_mov_b32_e32 v17, v8
	s_and_saveexec_b32 s17, s4
	s_cbranch_execz .LBB204_1269
; %bb.1264:                             ;   in Loop: Header=BB204_675 Depth=1
	v_and_b32_sdwa v6, v67, v29 dst_sel:DWORD dst_unused:UNUSED_PAD src0_sel:DWORD src1_sel:BYTE_1
	v_mov_b32_e32 v11, v7
	v_mov_b32_e32 v18, v12
	s_mov_b32 s18, exec_lo
	v_and_b32_e32 v10, 0x7f, v6
	v_mov_b32_e32 v17, v11
	v_cmpx_ne_u32_e32 0x7f, v10
	s_cbranch_execz .LBB204_1268
; %bb.1265:                             ;   in Loop: Header=BB204_675 Depth=1
	v_and_b32_e32 v6, 7, v6
	v_lshrrev_b32_e32 v8, 3, v10
	s_mov_b32 s19, exec_lo
	v_cmpx_gt_u32_e32 8, v10
; %bb.1266:                             ;   in Loop: Header=BB204_675 Depth=1
	v_ffbh_u32_e32 v8, v6
	v_min_u32_e32 v8, 32, v8
	v_subrev_nc_u32_e32 v10, 28, v8
	v_sub_nc_u32_e32 v8, 29, v8
	v_lshlrev_b64 v[10:11], v10, v[6:7]
	v_and_b32_e32 v6, 7, v10
; %bb.1267:                             ;   in Loop: Header=BB204_675 Depth=1
	s_or_b32 exec_lo, exec_lo, s19
	v_lshlrev_b32_e32 v10, 16, v29
	v_lshlrev_b32_e32 v6, 20, v6
	v_lshl_add_u32 v8, v8, 23, 0x3c000000
	v_mov_b32_e32 v17, v7
	v_and_b32_e32 v10, 0x80000000, v10
	v_or3_b32 v18, v6, v10, v8
.LBB204_1268:                           ;   in Loop: Header=BB204_675 Depth=1
	s_or_b32 exec_lo, exec_lo, s18
.LBB204_1269:                           ;   in Loop: Header=BB204_675 Depth=1
	s_or_b32 exec_lo, exec_lo, s17
.LBB204_1270:                           ;   in Loop: Header=BB204_675 Depth=1
	s_or_b32 exec_lo, exec_lo, s15
	v_mov_b32_e32 v10, 0
	v_mov_b32_e32 v21, 0
	v_and_b32_sdwa v6, v29, v68 dst_sel:DWORD dst_unused:UNUSED_PAD src0_sel:WORD_1 src1_sel:DWORD
	v_mov_b32_e32 v11, 0
	v_mov_b32_e32 v22, 0
	s_mov_b32 s15, exec_lo
	v_cmpx_ne_u16_e32 0, v6
	s_cbranch_execz .LBB204_1278
; %bb.1271:                             ;   in Loop: Header=BB204_675 Depth=1
	v_bfrev_b32_e32 v21, 1
	v_mov_b32_e32 v22, 0
	s_mov_b32 s17, exec_lo
	v_cmpx_ne_u16_e32 0x80, v6
	s_cbranch_execz .LBB204_1277
; %bb.1272:                             ;   in Loop: Header=BB204_675 Depth=1
	v_mov_b32_e32 v21, 0x7f800001
	v_bfe_u32 v30, v29, 16, 7
	v_mov_b32_e32 v22, 0
	s_mov_b32 s18, exec_lo
	v_cmpx_ne_u32_e32 0x7f, v30
	s_cbranch_execz .LBB204_1276
; %bb.1273:                             ;   in Loop: Header=BB204_675 Depth=1
	v_and_b32_sdwa v6, v29, v69 dst_sel:DWORD dst_unused:UNUSED_PAD src0_sel:WORD_1 src1_sel:DWORD
	v_lshrrev_b32_e32 v8, 3, v30
	s_mov_b32 s19, exec_lo
	v_cmpx_gt_u32_e32 8, v30
; %bb.1274:                             ;   in Loop: Header=BB204_675 Depth=1
	v_ffbh_u32_e32 v8, v6
	v_min_u32_e32 v8, 32, v8
	v_subrev_nc_u32_e32 v21, 28, v8
	v_sub_nc_u32_e32 v8, 29, v8
	v_lshlrev_b64 v[21:22], v21, v[6:7]
	v_and_b32_e32 v6, 7, v21
; %bb.1275:                             ;   in Loop: Header=BB204_675 Depth=1
	s_or_b32 exec_lo, exec_lo, s19
	v_lshlrev_b32_sdwa v21, v70, v29 dst_sel:DWORD dst_unused:UNUSED_PAD src0_sel:DWORD src1_sel:WORD_1
	v_lshlrev_b32_e32 v6, 20, v6
	v_lshl_add_u32 v8, v8, 23, 0x3c000000
	v_and_b32_e32 v21, 0x80000000, v21
	v_or3_b32 v6, v6, v21, v8
	v_mov_b32_e32 v22, v7
	v_mov_b32_e32 v21, v6
.LBB204_1276:                           ;   in Loop: Header=BB204_675 Depth=1
	s_or_b32 exec_lo, exec_lo, s18
.LBB204_1277:                           ;   in Loop: Header=BB204_675 Depth=1
	s_or_b32 exec_lo, exec_lo, s17
.LBB204_1278:                           ;   in Loop: Header=BB204_675 Depth=1
	s_or_b32 exec_lo, exec_lo, s15
	s_mov_b32 s15, exec_lo
	v_cmpx_lt_u32_e32 0xffffff, v29
	s_cbranch_execz .LBB204_1286
; %bb.1279:                             ;   in Loop: Header=BB204_675 Depth=1
	v_mov_b32_e32 v8, v7
	v_mov_b32_e32 v11, v9
	v_cmp_ne_u32_sdwa s4, v29, v66 src0_sel:BYTE_3 src1_sel:DWORD
	v_mov_b32_e32 v10, v8
	s_and_saveexec_b32 s17, s4
	s_cbranch_execz .LBB204_1285
; %bb.1280:                             ;   in Loop: Header=BB204_675 Depth=1
	v_mov_b32_e32 v11, v7
	v_bfe_u32 v30, v29, 24, 7
	s_mov_b32 s18, exec_lo
	v_mov_b32_e32 v10, v11
	v_mov_b32_e32 v11, v12
	v_cmpx_ne_u32_e32 0x7f, v30
	s_cbranch_execz .LBB204_1284
; %bb.1281:                             ;   in Loop: Header=BB204_675 Depth=1
	v_and_b32_sdwa v6, v29, v69 dst_sel:DWORD dst_unused:UNUSED_PAD src0_sel:BYTE_3 src1_sel:DWORD
	v_lshrrev_b32_e32 v8, 3, v30
	s_mov_b32 s19, exec_lo
	v_cmpx_gt_u32_e32 8, v30
; %bb.1282:                             ;   in Loop: Header=BB204_675 Depth=1
	v_ffbh_u32_e32 v8, v6
	v_min_u32_e32 v8, 32, v8
	v_subrev_nc_u32_e32 v10, 28, v8
	v_sub_nc_u32_e32 v8, 29, v8
	v_lshlrev_b64 v[10:11], v10, v[6:7]
	v_and_b32_e32 v6, 7, v10
; %bb.1283:                             ;   in Loop: Header=BB204_675 Depth=1
	s_or_b32 exec_lo, exec_lo, s19
	v_lshlrev_b32_sdwa v10, v70, v29 dst_sel:DWORD dst_unused:UNUSED_PAD src0_sel:DWORD src1_sel:BYTE_3
	v_lshlrev_b32_e32 v6, 20, v6
	v_lshl_add_u32 v8, v8, 23, 0x3c000000
	v_and_b32_e32 v10, 0x80000000, v10
	v_or3_b32 v11, v6, v10, v8
	v_mov_b32_e32 v10, v7
.LBB204_1284:                           ;   in Loop: Header=BB204_675 Depth=1
	s_or_b32 exec_lo, exec_lo, s18
.LBB204_1285:                           ;   in Loop: Header=BB204_675 Depth=1
	s_or_b32 exec_lo, exec_lo, s17
.LBB204_1286:                           ;   in Loop: Header=BB204_675 Depth=1
	s_or_b32 exec_lo, exec_lo, s15
	v_or_b32_e32 v6, v18, v16
	v_or_b32_e32 v8, v17, v15
	;; [unrolled: 1-line block ×4, first 2 shown]
	v_mul_f32_e32 v32, v83, v6
	v_mul_f32_e32 v31, v83, v8
	;; [unrolled: 1-line block ×4, first 2 shown]
	s_and_saveexec_b32 s15, vcc_lo
	s_cbranch_execz .LBB204_1288
; %bb.1287:                             ;   in Loop: Header=BB204_675 Depth=1
	v_cmp_lt_i32_e64 s4, v96, v47
	v_cndmask_b32_e64 v31, 0, v31, s4
	v_cmp_lt_i32_e64 s4, v99, v47
	v_cndmask_b32_e64 v32, 0, v32, s4
	;; [unrolled: 2-line block ×4, first 2 shown]
.LBB204_1288:                           ;   in Loop: Header=BB204_675 Depth=1
	s_or_b32 exec_lo, exec_lo, s15
	flat_load_dword v33, v[0:1] offset:256
	v_mov_b32_e32 v17, 0
	v_mov_b32_e32 v15, 0
	;; [unrolled: 1-line block ×4, first 2 shown]
	s_waitcnt vmcnt(0) lgkmcnt(0)
	v_cmp_ne_u16_sdwa s4, v33, v7 src0_sel:BYTE_0 src1_sel:DWORD
	s_and_saveexec_b32 s15, s4
	s_cbranch_execz .LBB204_1296
; %bb.1289:                             ;   in Loop: Header=BB204_675 Depth=1
	v_bfrev_b32_e32 v15, 1
	v_mov_b32_e32 v16, 0
	v_cmp_ne_u16_sdwa s4, v33, v66 src0_sel:BYTE_0 src1_sel:DWORD
	s_and_saveexec_b32 s17, s4
	s_cbranch_execz .LBB204_1295
; %bb.1290:                             ;   in Loop: Header=BB204_675 Depth=1
	v_mov_b32_e32 v15, 0x7f800001
	v_and_b32_e32 v10, 0x7f, v33
	v_mov_b32_e32 v16, 0
	s_mov_b32 s18, exec_lo
	v_cmpx_ne_u32_e32 0x7f, v10
	s_cbranch_execz .LBB204_1294
; %bb.1291:                             ;   in Loop: Header=BB204_675 Depth=1
	v_and_b32_e32 v6, 7, v33
	v_lshrrev_b32_e32 v8, 3, v10
	s_mov_b32 s19, exec_lo
	v_cmpx_gt_u32_e32 8, v10
; %bb.1292:                             ;   in Loop: Header=BB204_675 Depth=1
	v_ffbh_u32_e32 v8, v6
	v_min_u32_e32 v8, 32, v8
	v_subrev_nc_u32_e32 v10, 28, v8
	v_sub_nc_u32_e32 v8, 29, v8
	v_lshlrev_b64 v[10:11], v10, v[6:7]
	v_and_b32_e32 v6, 7, v10
; %bb.1293:                             ;   in Loop: Header=BB204_675 Depth=1
	s_or_b32 exec_lo, exec_lo, s19
	v_lshlrev_b32_e32 v10, 24, v33
	v_lshlrev_b32_e32 v6, 20, v6
	v_lshl_add_u32 v8, v8, 23, 0x3c000000
	v_and_b32_e32 v10, 0x80000000, v10
	v_or3_b32 v6, v6, v10, v8
	v_mov_b32_e32 v16, v7
	v_mov_b32_e32 v15, v6
.LBB204_1294:                           ;   in Loop: Header=BB204_675 Depth=1
	s_or_b32 exec_lo, exec_lo, s18
.LBB204_1295:                           ;   in Loop: Header=BB204_675 Depth=1
	s_or_b32 exec_lo, exec_lo, s17
.LBB204_1296:                           ;   in Loop: Header=BB204_675 Depth=1
	s_or_b32 exec_lo, exec_lo, s15
	v_cmp_ne_u16_sdwa s4, v33, v7 src0_sel:BYTE_1 src1_sel:DWORD
	s_and_saveexec_b32 s15, s4
	s_cbranch_execz .LBB204_1304
; %bb.1297:                             ;   in Loop: Header=BB204_675 Depth=1
	v_mov_b32_e32 v8, v7
	v_mov_b32_e32 v18, v9
	v_cmp_ne_u16_sdwa s4, v33, v66 src0_sel:BYTE_1 src1_sel:DWORD
	v_mov_b32_e32 v17, v8
	s_and_saveexec_b32 s17, s4
	s_cbranch_execz .LBB204_1303
; %bb.1298:                             ;   in Loop: Header=BB204_675 Depth=1
	v_and_b32_sdwa v6, v67, v33 dst_sel:DWORD dst_unused:UNUSED_PAD src0_sel:DWORD src1_sel:BYTE_1
	v_mov_b32_e32 v11, v7
	v_mov_b32_e32 v18, v12
	s_mov_b32 s18, exec_lo
	v_and_b32_e32 v10, 0x7f, v6
	v_mov_b32_e32 v17, v11
	v_cmpx_ne_u32_e32 0x7f, v10
	s_cbranch_execz .LBB204_1302
; %bb.1299:                             ;   in Loop: Header=BB204_675 Depth=1
	v_and_b32_e32 v6, 7, v6
	v_lshrrev_b32_e32 v8, 3, v10
	s_mov_b32 s19, exec_lo
	v_cmpx_gt_u32_e32 8, v10
; %bb.1300:                             ;   in Loop: Header=BB204_675 Depth=1
	v_ffbh_u32_e32 v8, v6
	v_min_u32_e32 v8, 32, v8
	v_subrev_nc_u32_e32 v10, 28, v8
	v_sub_nc_u32_e32 v8, 29, v8
	v_lshlrev_b64 v[10:11], v10, v[6:7]
	v_and_b32_e32 v6, 7, v10
; %bb.1301:                             ;   in Loop: Header=BB204_675 Depth=1
	s_or_b32 exec_lo, exec_lo, s19
	v_lshlrev_b32_e32 v10, 16, v33
	v_lshlrev_b32_e32 v6, 20, v6
	v_lshl_add_u32 v8, v8, 23, 0x3c000000
	v_mov_b32_e32 v17, v7
	v_and_b32_e32 v10, 0x80000000, v10
	v_or3_b32 v18, v6, v10, v8
.LBB204_1302:                           ;   in Loop: Header=BB204_675 Depth=1
	s_or_b32 exec_lo, exec_lo, s18
.LBB204_1303:                           ;   in Loop: Header=BB204_675 Depth=1
	s_or_b32 exec_lo, exec_lo, s17
.LBB204_1304:                           ;   in Loop: Header=BB204_675 Depth=1
	s_or_b32 exec_lo, exec_lo, s15
	v_mov_b32_e32 v10, 0
	v_mov_b32_e32 v21, 0
	v_and_b32_sdwa v6, v33, v68 dst_sel:DWORD dst_unused:UNUSED_PAD src0_sel:WORD_1 src1_sel:DWORD
	v_mov_b32_e32 v11, 0
	v_mov_b32_e32 v22, 0
	s_mov_b32 s15, exec_lo
	v_cmpx_ne_u16_e32 0, v6
	s_cbranch_execz .LBB204_1312
; %bb.1305:                             ;   in Loop: Header=BB204_675 Depth=1
	v_bfrev_b32_e32 v21, 1
	v_mov_b32_e32 v22, 0
	s_mov_b32 s17, exec_lo
	v_cmpx_ne_u16_e32 0x80, v6
	s_cbranch_execz .LBB204_1311
; %bb.1306:                             ;   in Loop: Header=BB204_675 Depth=1
	v_mov_b32_e32 v21, 0x7f800001
	v_bfe_u32 v34, v33, 16, 7
	v_mov_b32_e32 v22, 0
	s_mov_b32 s18, exec_lo
	v_cmpx_ne_u32_e32 0x7f, v34
	s_cbranch_execz .LBB204_1310
; %bb.1307:                             ;   in Loop: Header=BB204_675 Depth=1
	v_and_b32_sdwa v6, v33, v69 dst_sel:DWORD dst_unused:UNUSED_PAD src0_sel:WORD_1 src1_sel:DWORD
	v_lshrrev_b32_e32 v8, 3, v34
	s_mov_b32 s19, exec_lo
	v_cmpx_gt_u32_e32 8, v34
; %bb.1308:                             ;   in Loop: Header=BB204_675 Depth=1
	v_ffbh_u32_e32 v8, v6
	v_min_u32_e32 v8, 32, v8
	v_subrev_nc_u32_e32 v21, 28, v8
	v_sub_nc_u32_e32 v8, 29, v8
	v_lshlrev_b64 v[21:22], v21, v[6:7]
	v_and_b32_e32 v6, 7, v21
; %bb.1309:                             ;   in Loop: Header=BB204_675 Depth=1
	s_or_b32 exec_lo, exec_lo, s19
	v_lshlrev_b32_sdwa v21, v70, v33 dst_sel:DWORD dst_unused:UNUSED_PAD src0_sel:DWORD src1_sel:WORD_1
	v_lshlrev_b32_e32 v6, 20, v6
	v_lshl_add_u32 v8, v8, 23, 0x3c000000
	v_and_b32_e32 v21, 0x80000000, v21
	v_or3_b32 v6, v6, v21, v8
	v_mov_b32_e32 v22, v7
	v_mov_b32_e32 v21, v6
.LBB204_1310:                           ;   in Loop: Header=BB204_675 Depth=1
	s_or_b32 exec_lo, exec_lo, s18
.LBB204_1311:                           ;   in Loop: Header=BB204_675 Depth=1
	s_or_b32 exec_lo, exec_lo, s17
.LBB204_1312:                           ;   in Loop: Header=BB204_675 Depth=1
	s_or_b32 exec_lo, exec_lo, s15
	s_mov_b32 s15, exec_lo
	v_cmpx_lt_u32_e32 0xffffff, v33
	s_cbranch_execz .LBB204_1320
; %bb.1313:                             ;   in Loop: Header=BB204_675 Depth=1
	v_mov_b32_e32 v8, v7
	v_mov_b32_e32 v11, v9
	v_cmp_ne_u32_sdwa s4, v33, v66 src0_sel:BYTE_3 src1_sel:DWORD
	v_mov_b32_e32 v10, v8
	s_and_saveexec_b32 s17, s4
	s_cbranch_execz .LBB204_1319
; %bb.1314:                             ;   in Loop: Header=BB204_675 Depth=1
	v_mov_b32_e32 v11, v7
	v_bfe_u32 v34, v33, 24, 7
	s_mov_b32 s18, exec_lo
	v_mov_b32_e32 v10, v11
	v_mov_b32_e32 v11, v12
	v_cmpx_ne_u32_e32 0x7f, v34
	s_cbranch_execz .LBB204_1318
; %bb.1315:                             ;   in Loop: Header=BB204_675 Depth=1
	v_and_b32_sdwa v6, v33, v69 dst_sel:DWORD dst_unused:UNUSED_PAD src0_sel:BYTE_3 src1_sel:DWORD
	v_lshrrev_b32_e32 v8, 3, v34
	s_mov_b32 s19, exec_lo
	v_cmpx_gt_u32_e32 8, v34
; %bb.1316:                             ;   in Loop: Header=BB204_675 Depth=1
	v_ffbh_u32_e32 v8, v6
	v_min_u32_e32 v8, 32, v8
	v_subrev_nc_u32_e32 v10, 28, v8
	v_sub_nc_u32_e32 v8, 29, v8
	v_lshlrev_b64 v[10:11], v10, v[6:7]
	v_and_b32_e32 v6, 7, v10
; %bb.1317:                             ;   in Loop: Header=BB204_675 Depth=1
	s_or_b32 exec_lo, exec_lo, s19
	v_lshlrev_b32_sdwa v10, v70, v33 dst_sel:DWORD dst_unused:UNUSED_PAD src0_sel:DWORD src1_sel:BYTE_3
	v_lshlrev_b32_e32 v6, 20, v6
	v_lshl_add_u32 v8, v8, 23, 0x3c000000
	v_and_b32_e32 v10, 0x80000000, v10
	v_or3_b32 v11, v6, v10, v8
	v_mov_b32_e32 v10, v7
.LBB204_1318:                           ;   in Loop: Header=BB204_675 Depth=1
	s_or_b32 exec_lo, exec_lo, s18
.LBB204_1319:                           ;   in Loop: Header=BB204_675 Depth=1
	s_or_b32 exec_lo, exec_lo, s17
.LBB204_1320:                           ;   in Loop: Header=BB204_675 Depth=1
	s_or_b32 exec_lo, exec_lo, s15
	v_or_b32_e32 v6, v18, v16
	v_or_b32_e32 v8, v17, v15
	;; [unrolled: 1-line block ×4, first 2 shown]
	v_mul_f32_e32 v34, v83, v6
	v_mul_f32_e32 v33, v83, v8
	v_mul_f32_e32 v22, v83, v10
	v_mul_f32_e32 v21, v83, v11
	s_and_saveexec_b32 s15, vcc_lo
	s_cbranch_execz .LBB204_1322
; %bb.1321:                             ;   in Loop: Header=BB204_675 Depth=1
	v_cmp_lt_i32_e64 s4, v96, v47
	v_cndmask_b32_e64 v33, 0, v33, s4
	v_cmp_lt_i32_e64 s4, v99, v47
	v_cndmask_b32_e64 v34, 0, v34, s4
	;; [unrolled: 2-line block ×4, first 2 shown]
.LBB204_1322:                           ;   in Loop: Header=BB204_675 Depth=1
	s_or_b32 exec_lo, exec_lo, s15
	flat_load_dword v35, v[0:1] offset:384
	v_mov_b32_e32 v15, 0
	v_mov_b32_e32 v0, 0
	;; [unrolled: 1-line block ×4, first 2 shown]
	s_waitcnt vmcnt(0) lgkmcnt(0)
	v_cmp_ne_u16_sdwa s4, v35, v7 src0_sel:BYTE_0 src1_sel:DWORD
	s_and_saveexec_b32 s15, s4
	s_cbranch_execz .LBB204_1330
; %bb.1323:                             ;   in Loop: Header=BB204_675 Depth=1
	v_bfrev_b32_e32 v0, 1
	v_mov_b32_e32 v1, 0
	v_cmp_ne_u16_sdwa s4, v35, v66 src0_sel:BYTE_0 src1_sel:DWORD
	s_and_saveexec_b32 s17, s4
	s_cbranch_execz .LBB204_1329
; %bb.1324:                             ;   in Loop: Header=BB204_675 Depth=1
	v_mov_b32_e32 v0, 0x7f800001
	v_and_b32_e32 v8, 0x7f, v35
	v_mov_b32_e32 v1, 0
	s_mov_b32 s18, exec_lo
	v_cmpx_ne_u32_e32 0x7f, v8
	s_cbranch_execz .LBB204_1328
; %bb.1325:                             ;   in Loop: Header=BB204_675 Depth=1
	v_and_b32_e32 v6, 7, v35
	v_lshrrev_b32_e32 v0, 3, v8
	s_mov_b32 s19, exec_lo
	v_cmpx_gt_u32_e32 8, v8
; %bb.1326:                             ;   in Loop: Header=BB204_675 Depth=1
	v_ffbh_u32_e32 v0, v6
	v_min_u32_e32 v0, 32, v0
	v_subrev_nc_u32_e32 v1, 28, v0
	v_sub_nc_u32_e32 v0, 29, v0
	v_lshlrev_b64 v[10:11], v1, v[6:7]
	v_and_b32_e32 v6, 7, v10
; %bb.1327:                             ;   in Loop: Header=BB204_675 Depth=1
	s_or_b32 exec_lo, exec_lo, s19
	v_lshlrev_b32_e32 v1, 24, v35
	v_lshlrev_b32_e32 v6, 20, v6
	v_lshl_add_u32 v0, v0, 23, 0x3c000000
	v_and_b32_e32 v1, 0x80000000, v1
	v_or3_b32 v6, v6, v1, v0
	v_mov_b32_e32 v0, v6
	v_mov_b32_e32 v1, v7
.LBB204_1328:                           ;   in Loop: Header=BB204_675 Depth=1
	s_or_b32 exec_lo, exec_lo, s18
.LBB204_1329:                           ;   in Loop: Header=BB204_675 Depth=1
	s_or_b32 exec_lo, exec_lo, s17
.LBB204_1330:                           ;   in Loop: Header=BB204_675 Depth=1
	s_or_b32 exec_lo, exec_lo, s15
	v_cmp_ne_u16_sdwa s4, v35, v7 src0_sel:BYTE_1 src1_sel:DWORD
	s_and_saveexec_b32 s15, s4
	s_cbranch_execz .LBB204_1338
; %bb.1331:                             ;   in Loop: Header=BB204_675 Depth=1
	v_mov_b32_e32 v8, v7
	v_mov_b32_e32 v16, v9
	v_cmp_ne_u16_sdwa s4, v35, v66 src0_sel:BYTE_1 src1_sel:DWORD
	v_mov_b32_e32 v15, v8
	s_and_saveexec_b32 s17, s4
	s_cbranch_execz .LBB204_1337
; %bb.1332:                             ;   in Loop: Header=BB204_675 Depth=1
	v_and_b32_sdwa v6, v67, v35 dst_sel:DWORD dst_unused:UNUSED_PAD src0_sel:DWORD src1_sel:BYTE_1
	v_mov_b32_e32 v11, v7
	v_mov_b32_e32 v16, v12
	s_mov_b32 s18, exec_lo
	v_and_b32_e32 v10, 0x7f, v6
	v_mov_b32_e32 v15, v11
	v_cmpx_ne_u32_e32 0x7f, v10
	s_cbranch_execz .LBB204_1336
; %bb.1333:                             ;   in Loop: Header=BB204_675 Depth=1
	v_and_b32_e32 v6, 7, v6
	v_lshrrev_b32_e32 v8, 3, v10
	s_mov_b32 s19, exec_lo
	v_cmpx_gt_u32_e32 8, v10
; %bb.1334:                             ;   in Loop: Header=BB204_675 Depth=1
	v_ffbh_u32_e32 v8, v6
	v_min_u32_e32 v8, 32, v8
	v_subrev_nc_u32_e32 v10, 28, v8
	v_sub_nc_u32_e32 v8, 29, v8
	v_lshlrev_b64 v[10:11], v10, v[6:7]
	v_and_b32_e32 v6, 7, v10
; %bb.1335:                             ;   in Loop: Header=BB204_675 Depth=1
	s_or_b32 exec_lo, exec_lo, s19
	v_lshlrev_b32_e32 v10, 16, v35
	v_lshlrev_b32_e32 v6, 20, v6
	v_lshl_add_u32 v8, v8, 23, 0x3c000000
	v_mov_b32_e32 v15, v7
	v_and_b32_e32 v10, 0x80000000, v10
	v_or3_b32 v16, v6, v10, v8
.LBB204_1336:                           ;   in Loop: Header=BB204_675 Depth=1
	s_or_b32 exec_lo, exec_lo, s18
.LBB204_1337:                           ;   in Loop: Header=BB204_675 Depth=1
	s_or_b32 exec_lo, exec_lo, s17
.LBB204_1338:                           ;   in Loop: Header=BB204_675 Depth=1
	s_or_b32 exec_lo, exec_lo, s15
	v_mov_b32_e32 v10, 0
	v_mov_b32_e32 v17, 0
	v_and_b32_sdwa v6, v35, v68 dst_sel:DWORD dst_unused:UNUSED_PAD src0_sel:WORD_1 src1_sel:DWORD
	v_mov_b32_e32 v11, 0
	v_mov_b32_e32 v18, 0
	s_mov_b32 s15, exec_lo
	v_cmpx_ne_u16_e32 0, v6
	s_cbranch_execz .LBB204_1346
; %bb.1339:                             ;   in Loop: Header=BB204_675 Depth=1
	v_bfrev_b32_e32 v17, 1
	v_mov_b32_e32 v18, 0
	s_mov_b32 s17, exec_lo
	v_cmpx_ne_u16_e32 0x80, v6
	s_cbranch_execz .LBB204_1345
; %bb.1340:                             ;   in Loop: Header=BB204_675 Depth=1
	v_mov_b32_e32 v17, 0x7f800001
	v_mov_b32_e32 v26, v36
	v_bfe_u32 v36, v35, 16, 7
	v_mov_b32_e32 v18, 0
	s_mov_b32 s18, exec_lo
	v_cmpx_ne_u32_e32 0x7f, v36
	s_cbranch_execz .LBB204_1344
; %bb.1341:                             ;   in Loop: Header=BB204_675 Depth=1
	v_and_b32_sdwa v6, v35, v69 dst_sel:DWORD dst_unused:UNUSED_PAD src0_sel:WORD_1 src1_sel:DWORD
	v_lshrrev_b32_e32 v8, 3, v36
	s_mov_b32 s19, exec_lo
	v_cmpx_gt_u32_e32 8, v36
; %bb.1342:                             ;   in Loop: Header=BB204_675 Depth=1
	v_ffbh_u32_e32 v8, v6
	v_min_u32_e32 v8, 32, v8
	v_subrev_nc_u32_e32 v17, 28, v8
	v_sub_nc_u32_e32 v8, 29, v8
	v_lshlrev_b64 v[17:18], v17, v[6:7]
	v_and_b32_e32 v6, 7, v17
; %bb.1343:                             ;   in Loop: Header=BB204_675 Depth=1
	s_or_b32 exec_lo, exec_lo, s19
	v_lshlrev_b32_sdwa v17, v70, v35 dst_sel:DWORD dst_unused:UNUSED_PAD src0_sel:DWORD src1_sel:WORD_1
	v_lshlrev_b32_e32 v6, 20, v6
	v_lshl_add_u32 v8, v8, 23, 0x3c000000
	v_and_b32_e32 v17, 0x80000000, v17
	v_or3_b32 v6, v6, v17, v8
	v_mov_b32_e32 v18, v7
	v_mov_b32_e32 v17, v6
.LBB204_1344:                           ;   in Loop: Header=BB204_675 Depth=1
	s_or_b32 exec_lo, exec_lo, s18
	v_mov_b32_e32 v36, v26
.LBB204_1345:                           ;   in Loop: Header=BB204_675 Depth=1
	s_or_b32 exec_lo, exec_lo, s17
.LBB204_1346:                           ;   in Loop: Header=BB204_675 Depth=1
	s_or_b32 exec_lo, exec_lo, s15
	s_mov_b32 s15, exec_lo
	v_cmpx_lt_u32_e32 0xffffff, v35
	s_cbranch_execz .LBB204_1354
; %bb.1347:                             ;   in Loop: Header=BB204_675 Depth=1
	v_mov_b32_e32 v8, v7
	v_mov_b32_e32 v11, v9
	v_cmp_ne_u32_sdwa s4, v35, v66 src0_sel:BYTE_3 src1_sel:DWORD
	v_mov_b32_e32 v10, v8
	s_and_saveexec_b32 s17, s4
	s_cbranch_execz .LBB204_1353
; %bb.1348:                             ;   in Loop: Header=BB204_675 Depth=1
	v_mov_b32_e32 v11, v7
	v_mov_b32_e32 v26, v36
	v_bfe_u32 v36, v35, 24, 7
	s_mov_b32 s18, exec_lo
	v_mov_b32_e32 v10, v11
	v_mov_b32_e32 v11, v12
	v_cmpx_ne_u32_e32 0x7f, v36
	s_cbranch_execz .LBB204_1352
; %bb.1349:                             ;   in Loop: Header=BB204_675 Depth=1
	v_and_b32_sdwa v6, v35, v69 dst_sel:DWORD dst_unused:UNUSED_PAD src0_sel:BYTE_3 src1_sel:DWORD
	v_lshrrev_b32_e32 v8, 3, v36
	s_mov_b32 s19, exec_lo
	v_cmpx_gt_u32_e32 8, v36
; %bb.1350:                             ;   in Loop: Header=BB204_675 Depth=1
	v_ffbh_u32_e32 v8, v6
	v_min_u32_e32 v8, 32, v8
	v_subrev_nc_u32_e32 v10, 28, v8
	v_sub_nc_u32_e32 v8, 29, v8
	v_lshlrev_b64 v[10:11], v10, v[6:7]
	v_and_b32_e32 v6, 7, v10
; %bb.1351:                             ;   in Loop: Header=BB204_675 Depth=1
	s_or_b32 exec_lo, exec_lo, s19
	v_lshlrev_b32_sdwa v10, v70, v35 dst_sel:DWORD dst_unused:UNUSED_PAD src0_sel:DWORD src1_sel:BYTE_3
	v_lshlrev_b32_e32 v6, 20, v6
	v_lshl_add_u32 v8, v8, 23, 0x3c000000
	v_and_b32_e32 v10, 0x80000000, v10
	v_or3_b32 v11, v6, v10, v8
	v_mov_b32_e32 v10, v7
.LBB204_1352:                           ;   in Loop: Header=BB204_675 Depth=1
	s_or_b32 exec_lo, exec_lo, s18
	v_mov_b32_e32 v36, v26
.LBB204_1353:                           ;   in Loop: Header=BB204_675 Depth=1
	s_or_b32 exec_lo, exec_lo, s17
.LBB204_1354:                           ;   in Loop: Header=BB204_675 Depth=1
	s_or_b32 exec_lo, exec_lo, s15
	v_or_b32_e32 v1, v16, v1
	v_or_b32_e32 v0, v15, v0
	;; [unrolled: 1-line block ×4, first 2 shown]
	v_mul_f32_e32 v8, v83, v1
	v_mul_f32_e32 v6, v83, v0
	;; [unrolled: 1-line block ×4, first 2 shown]
	s_and_saveexec_b32 s4, vcc_lo
	s_cbranch_execz .LBB204_673
; %bb.1355:                             ;   in Loop: Header=BB204_675 Depth=1
	v_cmp_lt_i32_e32 vcc_lo, v96, v47
	v_cndmask_b32_e32 v6, 0, v6, vcc_lo
	v_cmp_lt_i32_e32 vcc_lo, v99, v47
	v_cndmask_b32_e32 v8, 0, v8, vcc_lo
	v_cmp_lt_i32_e32 vcc_lo, v98, v47
	v_cndmask_b32_e32 v1, 0, v1, vcc_lo
	v_cmp_lt_i32_e32 vcc_lo, v97, v47
	v_cndmask_b32_e32 v0, 0, v0, vcc_lo
	s_branch .LBB204_673
.LBB204_1356:
	s_or_b32 exec_lo, exec_lo, s6
	s_clause 0x7
	buffer_load_dword v66, off, s[0:3], s32 offset:300
	buffer_load_dword v65, off, s[0:3], s32 offset:220
	buffer_load_dword v32, off, s[0:3], s32 offset:228
	buffer_load_dword v33, off, s[0:3], s32 offset:236
	buffer_load_dword v34, off, s[0:3], s32 offset:244
	buffer_load_dword v35, off, s[0:3], s32 offset:252
	buffer_load_dword v67, off, s[0:3], s32 offset:260
	buffer_load_dword v28, off, s[0:3], s32 offset:268
.LBB204_1357:
	s_or_b32 exec_lo, exec_lo, s5
	ds_bpermute_b32 v0, v27, v55
	ds_bpermute_b32 v2, v27, v54
	s_waitcnt vmcnt(3)
	ds_bpermute_b32 v15, v27, v34
	ds_bpermute_b32 v6, v27, v50
	;; [unrolled: 1-line block ×4, first 2 shown]
	s_waitcnt vmcnt(0)
	ds_bpermute_b32 v12, v27, v28
	s_waitcnt lgkmcnt(0)
	s_waitcnt_vscnt null, 0x0
	s_barrier
	buffer_gl0_inv
	ds_bpermute_b32 v1, v27, v64
	ds_bpermute_b32 v5, v27, v51
	;; [unrolled: 1-line block ×10, first 2 shown]
	v_add_f32_e32 v0, v55, v0
	v_add_f32_e32 v2, v54, v2
	;; [unrolled: 1-line block ×5, first 2 shown]
	ds_bpermute_b32 v20, v25, v0
	ds_bpermute_b32 v22, v25, v2
	v_add_f32_e32 v7, v49, v7
	v_add_f32_e32 v12, v28, v12
	ds_bpermute_b32 v28, v25, v6
	s_waitcnt lgkmcnt(12)
	v_add_f32_e32 v1, v64, v1
	ds_bpermute_b32 v16, v27, v33
	ds_bpermute_b32 v29, v25, v7
	;; [unrolled: 1-line block ×5, first 2 shown]
	s_waitcnt lgkmcnt(16)
	v_add_f32_e32 v5, v51, v5
	s_waitcnt lgkmcnt(15)
	v_add_f32_e32 v11, v37, v11
	v_mov_b32_e32 v37, v36
	s_waitcnt lgkmcnt(14)
	v_add_f32_e32 v3, v53, v3
	s_waitcnt lgkmcnt(13)
	v_add_f32_e32 v4, v52, v4
	ds_bpermute_b32 v27, v25, v5
	s_waitcnt lgkmcnt(13)
	v_add_f32_e32 v8, v48, v8
	s_waitcnt lgkmcnt(12)
	v_add_f32_e32 v9, v39, v9
	;; [unrolled: 2-line block ×5, first 2 shown]
	v_add_f32_e32 v13, v67, v13
	v_add_f32_e32 v14, v35, v14
	s_waitcnt lgkmcnt(6)
	v_add_f32_e32 v6, v6, v28
	ds_bpermute_b32 v20, v24, v0
	ds_bpermute_b32 v22, v24, v2
	s_waitcnt lgkmcnt(6)
	v_add_f32_e32 v7, v7, v29
	v_add_f32_e32 v16, v33, v16
	ds_bpermute_b32 v29, v24, v6
	s_waitcnt lgkmcnt(4)
	v_add_f32_e32 v1, v1, v21
	v_add_f32_e32 v18, v65, v18
	;; [unrolled: 1-line block ×3, first 2 shown]
	ds_bpermute_b32 v23, v25, v3
	ds_bpermute_b32 v26, v25, v4
	;; [unrolled: 1-line block ×10, first 2 shown]
	s_waitcnt lgkmcnt(13)
	v_add_f32_e32 v5, v5, v27
	ds_bpermute_b32 v27, v25, v18
	s_waitcnt lgkmcnt(13)
	v_add_f32_e32 v0, v0, v20
	ds_bpermute_b32 v20, v25, v15
	s_waitcnt lgkmcnt(13)
	v_add_f32_e32 v2, v2, v22
	ds_bpermute_b32 v22, v25, v17
	s_waitcnt lgkmcnt(13)
	v_add_f32_e32 v6, v6, v29
	buffer_load_dword v29, off, s[0:3], s32 offset:796 ; 4-byte Folded Reload
	ds_bpermute_b32 v28, v24, v5
	s_load_dword s4, s[8:9], 0x0
	s_waitcnt lgkmcnt(0)
	v_add_f32_e32 v3, v3, v23
	v_add_f32_e32 v4, v4, v26
	;; [unrolled: 1-line block ×3, first 2 shown]
	ds_bpermute_b32 v21, v25, v16
	ds_bpermute_b32 v25, v25, v19
	v_add_f32_e32 v8, v8, v30
	v_add_f32_e32 v9, v9, v31
	;; [unrolled: 1-line block ×9, first 2 shown]
	ds_bpermute_b32 v23, v24, v3
	v_add_f32_e32 v17, v17, v22
	ds_bpermute_b32 v26, v24, v4
	ds_bpermute_b32 v30, v24, v7
	;; [unrolled: 1-line block ×7, first 2 shown]
	s_waitcnt lgkmcnt(9)
	v_add_f32_e32 v16, v16, v21
	s_waitcnt lgkmcnt(8)
	v_add_f32_e32 v19, v19, v25
	ds_bpermute_b32 v33, v24, v11
	ds_bpermute_b32 v34, v24, v12
	ds_bpermute_b32 v35, v24, v13
	ds_bpermute_b32 v36, v24, v14
	ds_bpermute_b32 v21, v24, v16
	ds_bpermute_b32 v25, v24, v18
	ds_bpermute_b32 v24, v24, v19
	v_add_f32_e32 v5, v5, v28
	s_mov_b32 s5, exec_lo
	s_waitcnt lgkmcnt(14)
	v_add_f32_e32 v3, v3, v23
	s_waitcnt lgkmcnt(13)
	v_add_f32_e32 v4, v4, v26
	;; [unrolled: 2-line block ×4, first 2 shown]
	buffer_load_dword v20, off, s[0:3], s32 offset:432 ; 4-byte Folded Reload
	s_waitcnt lgkmcnt(9)
	v_add_f32_e32 v17, v17, v22
	buffer_load_dword v22, off, s[0:3], s32 offset:792 ; 4-byte Folded Reload
	v_add_f32_e32 v8, v8, v31
	s_waitcnt lgkmcnt(8)
	v_add_f32_e32 v9, v9, v37
	s_waitcnt lgkmcnt(7)
	;; [unrolled: 2-line block ×9, first 2 shown]
	v_add_f32_e32 v19, v19, v24
	s_waitcnt vmcnt(2)
	v_and_b32_e32 v23, 0x3c7, v29
	s_waitcnt vmcnt(1)
	v_lshrrev_b32_e32 v20, 3, v20
	s_waitcnt vmcnt(0)
	v_mul_u32_u24_e32 v22, 0x140, v22
	v_lshl_add_u32 v21, v20, 2, s4
	v_cmpx_eq_u32_e32 64, v23
	s_cbranch_execz .LBB204_1359
; %bb.1358:
	v_add_nc_u32_e32 v23, v21, v22
	v_add_nc_u32_e32 v24, 0xfffffd80, v23
	v_add_nc_u32_e32 v25, 0xfffffd90, v23
	v_add_nc_u32_e32 v26, 0xfffffda0, v23
	v_add_nc_u32_e32 v27, 0xfffffdb0, v23
	v_add_nc_u32_e32 v28, 0xfffffdc0, v23
	ds_write_b32 v24, v0
	ds_write_b32 v25, v1
	ds_write_b32 v26, v2
	ds_write_b32 v27, v3
	ds_write_b32 v28, v4
	v_add_nc_u32_e32 v24, 0xfffffdd0, v23
	v_add_nc_u32_e32 v25, 0xfffffde0, v23
	v_add_nc_u32_e32 v26, 0xfffffdf0, v23
	v_add_nc_u32_e32 v27, 0xfffffe00, v23
	v_add_nc_u32_e32 v28, 0xfffffe10, v23
	ds_write_b32 v24, v5
	ds_write_b32 v25, v6
	ds_write_b32 v26, v7
	ds_write_b32 v27, v8
	ds_write_b32 v28, v9
	v_add_nc_u32_e32 v24, 0xfffffe20, v23
	v_add_nc_u32_e32 v25, 0xfffffe30, v23
	v_add_nc_u32_e32 v26, 0xfffffe40, v23
	v_add_nc_u32_e32 v27, 0xfffffe50, v23
	v_add_nc_u32_e32 v28, 0xfffffe60, v23
	;; [unrolled: 10-line block ×3, first 2 shown]
	ds_write_b32 v24, v15
	ds_write_b32 v25, v16
	;; [unrolled: 1-line block ×5, first 2 shown]
.LBB204_1359:
	s_or_b32 exec_lo, exec_lo, s5
	v_lshlrev_b32_e32 v20, 2, v20
	s_mov_b32 s5, exec_lo
	v_cmp_eq_u32_e32 vcc_lo, 0, v66
	s_waitcnt lgkmcnt(0)
	s_barrier
	v_add3_u32 v20, s4, v22, v20
	buffer_gl0_inv
	v_cmpx_gt_u32_e32 64, v29
	s_cbranch_execz .LBB204_1382
; %bb.1360:
	s_and_saveexec_b32 s4, vcc_lo
	s_cbranch_execnz .LBB204_1410
; %bb.1361:
	s_or_b32 exec_lo, exec_lo, s4
	s_and_saveexec_b32 s4, vcc_lo
	s_cbranch_execnz .LBB204_1411
.LBB204_1362:
	s_or_b32 exec_lo, exec_lo, s4
	s_and_saveexec_b32 s4, vcc_lo
	s_cbranch_execnz .LBB204_1412
.LBB204_1363:
	s_or_b32 exec_lo, exec_lo, s4
	s_and_saveexec_b32 s4, vcc_lo
	s_cbranch_execnz .LBB204_1413
.LBB204_1364:
	s_or_b32 exec_lo, exec_lo, s4
	s_and_saveexec_b32 s4, vcc_lo
	s_cbranch_execnz .LBB204_1414
.LBB204_1365:
	s_or_b32 exec_lo, exec_lo, s4
	s_and_saveexec_b32 s4, vcc_lo
	s_cbranch_execnz .LBB204_1415
.LBB204_1366:
	s_or_b32 exec_lo, exec_lo, s4
	s_and_saveexec_b32 s4, vcc_lo
	s_cbranch_execnz .LBB204_1416
.LBB204_1367:
	s_or_b32 exec_lo, exec_lo, s4
	s_and_saveexec_b32 s4, vcc_lo
	s_cbranch_execnz .LBB204_1417
.LBB204_1368:
	s_or_b32 exec_lo, exec_lo, s4
	s_and_saveexec_b32 s4, vcc_lo
	s_cbranch_execnz .LBB204_1418
.LBB204_1369:
	s_or_b32 exec_lo, exec_lo, s4
	s_and_saveexec_b32 s4, vcc_lo
	s_cbranch_execnz .LBB204_1419
.LBB204_1370:
	s_or_b32 exec_lo, exec_lo, s4
	s_and_saveexec_b32 s4, vcc_lo
	s_cbranch_execnz .LBB204_1420
.LBB204_1371:
	s_or_b32 exec_lo, exec_lo, s4
	s_and_saveexec_b32 s4, vcc_lo
	s_cbranch_execnz .LBB204_1421
.LBB204_1372:
	s_or_b32 exec_lo, exec_lo, s4
	s_and_saveexec_b32 s4, vcc_lo
	s_cbranch_execnz .LBB204_1422
.LBB204_1373:
	s_or_b32 exec_lo, exec_lo, s4
	s_and_saveexec_b32 s4, vcc_lo
	s_cbranch_execnz .LBB204_1423
.LBB204_1374:
	s_or_b32 exec_lo, exec_lo, s4
	s_and_saveexec_b32 s4, vcc_lo
	s_cbranch_execnz .LBB204_1424
.LBB204_1375:
	s_or_b32 exec_lo, exec_lo, s4
	s_and_saveexec_b32 s4, vcc_lo
	s_cbranch_execnz .LBB204_1425
.LBB204_1376:
	s_or_b32 exec_lo, exec_lo, s4
	s_and_saveexec_b32 s4, vcc_lo
	s_cbranch_execnz .LBB204_1426
.LBB204_1377:
	s_or_b32 exec_lo, exec_lo, s4
	s_and_saveexec_b32 s4, vcc_lo
	s_cbranch_execnz .LBB204_1427
.LBB204_1378:
	s_or_b32 exec_lo, exec_lo, s4
	s_and_saveexec_b32 s4, vcc_lo
	s_cbranch_execnz .LBB204_1428
.LBB204_1379:
	s_or_b32 exec_lo, exec_lo, s4
	s_and_saveexec_b32 s4, vcc_lo
	s_cbranch_execz .LBB204_1381
.LBB204_1380:
	ds_read_b32 v22, v20 offset:304
	s_waitcnt lgkmcnt(0)
	v_add_f32_e32 v19, v22, v19
.LBB204_1381:
	s_or_b32 exec_lo, exec_lo, s4
.LBB204_1382:
	s_or_b32 exec_lo, exec_lo, s5
	v_and_b32_e32 v22, 0x3e7, v29
	s_mov_b32 s5, exec_lo
	s_barrier
	buffer_gl0_inv
	v_cmpx_eq_u32_e32 32, v22
	s_cbranch_execz .LBB204_1384
; %bb.1383:
	ds_write2_b32 v21, v0, v1 offset1:4
	ds_write2_b32 v21, v2, v3 offset0:8 offset1:12
	ds_write2_b32 v21, v4, v5 offset0:16 offset1:20
	;; [unrolled: 1-line block ×9, first 2 shown]
.LBB204_1384:
	s_or_b32 exec_lo, exec_lo, s5
	s_mov_b32 s5, exec_lo
	s_waitcnt lgkmcnt(0)
	s_barrier
	buffer_gl0_inv
	v_cmpx_gt_u32_e32 32, v29
	s_cbranch_execz .LBB204_1407
; %bb.1385:
	s_and_saveexec_b32 s4, vcc_lo
	s_cbranch_execnz .LBB204_1429
; %bb.1386:
	s_or_b32 exec_lo, exec_lo, s4
	s_and_saveexec_b32 s4, vcc_lo
	s_cbranch_execnz .LBB204_1430
.LBB204_1387:
	s_or_b32 exec_lo, exec_lo, s4
	s_and_saveexec_b32 s4, vcc_lo
	s_cbranch_execnz .LBB204_1431
.LBB204_1388:
	s_or_b32 exec_lo, exec_lo, s4
	s_and_saveexec_b32 s4, vcc_lo
	s_cbranch_execnz .LBB204_1432
.LBB204_1389:
	s_or_b32 exec_lo, exec_lo, s4
	s_and_saveexec_b32 s4, vcc_lo
	s_cbranch_execnz .LBB204_1433
.LBB204_1390:
	s_or_b32 exec_lo, exec_lo, s4
	s_and_saveexec_b32 s4, vcc_lo
	s_cbranch_execnz .LBB204_1434
.LBB204_1391:
	s_or_b32 exec_lo, exec_lo, s4
	s_and_saveexec_b32 s4, vcc_lo
	s_cbranch_execnz .LBB204_1435
.LBB204_1392:
	s_or_b32 exec_lo, exec_lo, s4
	s_and_saveexec_b32 s4, vcc_lo
	s_cbranch_execnz .LBB204_1436
.LBB204_1393:
	s_or_b32 exec_lo, exec_lo, s4
	s_and_saveexec_b32 s4, vcc_lo
	s_cbranch_execnz .LBB204_1437
.LBB204_1394:
	s_or_b32 exec_lo, exec_lo, s4
	s_and_saveexec_b32 s4, vcc_lo
	s_cbranch_execnz .LBB204_1438
.LBB204_1395:
	s_or_b32 exec_lo, exec_lo, s4
	s_and_saveexec_b32 s4, vcc_lo
	s_cbranch_execnz .LBB204_1439
.LBB204_1396:
	s_or_b32 exec_lo, exec_lo, s4
	s_and_saveexec_b32 s4, vcc_lo
	s_cbranch_execnz .LBB204_1440
.LBB204_1397:
	s_or_b32 exec_lo, exec_lo, s4
	s_and_saveexec_b32 s4, vcc_lo
	s_cbranch_execnz .LBB204_1441
.LBB204_1398:
	s_or_b32 exec_lo, exec_lo, s4
	s_and_saveexec_b32 s4, vcc_lo
	s_cbranch_execnz .LBB204_1442
.LBB204_1399:
	s_or_b32 exec_lo, exec_lo, s4
	s_and_saveexec_b32 s4, vcc_lo
	s_cbranch_execnz .LBB204_1443
.LBB204_1400:
	s_or_b32 exec_lo, exec_lo, s4
	s_and_saveexec_b32 s4, vcc_lo
	s_cbranch_execnz .LBB204_1444
.LBB204_1401:
	s_or_b32 exec_lo, exec_lo, s4
	s_and_saveexec_b32 s4, vcc_lo
	s_cbranch_execnz .LBB204_1445
.LBB204_1402:
	s_or_b32 exec_lo, exec_lo, s4
	s_and_saveexec_b32 s4, vcc_lo
	s_cbranch_execnz .LBB204_1446
.LBB204_1403:
	s_or_b32 exec_lo, exec_lo, s4
	s_and_saveexec_b32 s4, vcc_lo
	s_cbranch_execnz .LBB204_1447
.LBB204_1404:
	s_or_b32 exec_lo, exec_lo, s4
	s_and_saveexec_b32 s4, vcc_lo
	s_cbranch_execz .LBB204_1406
.LBB204_1405:
	ds_read_b32 v20, v20 offset:304
	s_waitcnt lgkmcnt(0)
	v_add_f32_e32 v19, v20, v19
.LBB204_1406:
	s_or_b32 exec_lo, exec_lo, s4
.LBB204_1407:
	s_or_b32 exec_lo, exec_lo, s5
	s_mov_b32 s4, exec_lo
	s_barrier
	buffer_gl0_inv
	v_cmpx_eq_u32_e32 0, v22
	s_cbranch_execz .LBB204_1409
; %bb.1408:
	s_clause 0x1
	buffer_load_dword v21, off, s[0:3], s32 offset:804
	buffer_load_dword v22, off, s[0:3], s32 offset:800
	s_and_b32 s5, 0xffff, s13
	s_mul_i32 s6, s14, 0x50
	s_cmp_lg_u32 s5, 0
	v_lshrrev_b32_e32 v20, 1, v29
	s_cselect_b32 s5, -1, 0
	s_cmp_lg_u32 s5, 0
	s_addc_u32 s5, s12, 0
	s_mul_i32 s7, s5, s10
	s_mul_i32 s10, s16, s5
	;; [unrolled: 1-line block ×3, first 2 shown]
	s_ashr_i32 s11, s10, 31
	s_mulk_i32 s8, 0x50
	s_ashr_i32 s7, s6, 31
	s_ashr_i32 s9, s8, 31
	s_lshl_b64 s[6:7], s[6:7], 2
	s_lshl_b64 s[8:9], s[8:9], 2
	s_waitcnt vmcnt(1)
	v_add_co_u32 v21, vcc_lo, v21, s8
	s_waitcnt vmcnt(0)
	v_add_co_ci_u32_e64 v22, null, s9, v22, vcc_lo
	s_lshl_b64 s[8:9], s[10:11], 2
	v_add_co_u32 v21, vcc_lo, v21, s8
	v_add_co_ci_u32_e64 v22, null, s9, v22, vcc_lo
	v_add_co_u32 v21, vcc_lo, v21, s6
	v_add_co_ci_u32_e64 v22, null, s7, v22, vcc_lo
	v_add_co_u32 v20, vcc_lo, v21, v20
	v_add_co_ci_u32_e64 v21, null, 0, v22, vcc_lo
	flat_store_dword v[20:21], v0
	flat_store_dword v[20:21], v1 offset:16
	flat_store_dword v[20:21], v2 offset:32
	;; [unrolled: 1-line block ×19, first 2 shown]
.LBB204_1409:
	s_or_b32 exec_lo, exec_lo, s4
	s_clause 0x2f
	buffer_load_dword v127, off, s[0:3], s32
	buffer_load_dword v126, off, s[0:3], s32 offset:4
	buffer_load_dword v125, off, s[0:3], s32 offset:8
	;; [unrolled: 1-line block ×47, first 2 shown]
	s_waitcnt vmcnt(0) lgkmcnt(0)
	s_setpc_b64 s[30:31]
.LBB204_1410:
	ds_read_b32 v22, v20
	s_waitcnt lgkmcnt(0)
	v_add_f32_e32 v0, v22, v0
	s_or_b32 exec_lo, exec_lo, s4
	s_and_saveexec_b32 s4, vcc_lo
	s_cbranch_execz .LBB204_1362
.LBB204_1411:
	ds_read_b32 v22, v20 offset:16
	s_waitcnt lgkmcnt(0)
	v_add_f32_e32 v1, v22, v1
	s_or_b32 exec_lo, exec_lo, s4
	s_and_saveexec_b32 s4, vcc_lo
	s_cbranch_execz .LBB204_1363
.LBB204_1412:
	ds_read_b32 v22, v20 offset:32
	s_waitcnt lgkmcnt(0)
	v_add_f32_e32 v2, v22, v2
	s_or_b32 exec_lo, exec_lo, s4
	s_and_saveexec_b32 s4, vcc_lo
	s_cbranch_execz .LBB204_1364
.LBB204_1413:
	ds_read_b32 v22, v20 offset:48
	s_waitcnt lgkmcnt(0)
	v_add_f32_e32 v3, v22, v3
	s_or_b32 exec_lo, exec_lo, s4
	s_and_saveexec_b32 s4, vcc_lo
	s_cbranch_execz .LBB204_1365
.LBB204_1414:
	ds_read_b32 v22, v20 offset:64
	s_waitcnt lgkmcnt(0)
	v_add_f32_e32 v4, v22, v4
	s_or_b32 exec_lo, exec_lo, s4
	s_and_saveexec_b32 s4, vcc_lo
	s_cbranch_execz .LBB204_1366
.LBB204_1415:
	ds_read_b32 v22, v20 offset:80
	s_waitcnt lgkmcnt(0)
	v_add_f32_e32 v5, v22, v5
	s_or_b32 exec_lo, exec_lo, s4
	s_and_saveexec_b32 s4, vcc_lo
	s_cbranch_execz .LBB204_1367
.LBB204_1416:
	ds_read_b32 v22, v20 offset:96
	s_waitcnt lgkmcnt(0)
	v_add_f32_e32 v6, v22, v6
	s_or_b32 exec_lo, exec_lo, s4
	s_and_saveexec_b32 s4, vcc_lo
	s_cbranch_execz .LBB204_1368
.LBB204_1417:
	ds_read_b32 v22, v20 offset:112
	s_waitcnt lgkmcnt(0)
	v_add_f32_e32 v7, v22, v7
	s_or_b32 exec_lo, exec_lo, s4
	s_and_saveexec_b32 s4, vcc_lo
	s_cbranch_execz .LBB204_1369
.LBB204_1418:
	ds_read_b32 v22, v20 offset:128
	s_waitcnt lgkmcnt(0)
	v_add_f32_e32 v8, v22, v8
	s_or_b32 exec_lo, exec_lo, s4
	s_and_saveexec_b32 s4, vcc_lo
	s_cbranch_execz .LBB204_1370
.LBB204_1419:
	ds_read_b32 v22, v20 offset:144
	s_waitcnt lgkmcnt(0)
	v_add_f32_e32 v9, v22, v9
	s_or_b32 exec_lo, exec_lo, s4
	s_and_saveexec_b32 s4, vcc_lo
	s_cbranch_execz .LBB204_1371
.LBB204_1420:
	ds_read_b32 v22, v20 offset:160
	s_waitcnt lgkmcnt(0)
	v_add_f32_e32 v10, v22, v10
	s_or_b32 exec_lo, exec_lo, s4
	s_and_saveexec_b32 s4, vcc_lo
	s_cbranch_execz .LBB204_1372
.LBB204_1421:
	ds_read_b32 v22, v20 offset:176
	s_waitcnt lgkmcnt(0)
	v_add_f32_e32 v11, v22, v11
	s_or_b32 exec_lo, exec_lo, s4
	s_and_saveexec_b32 s4, vcc_lo
	s_cbranch_execz .LBB204_1373
.LBB204_1422:
	ds_read_b32 v22, v20 offset:192
	s_waitcnt lgkmcnt(0)
	v_add_f32_e32 v12, v22, v12
	s_or_b32 exec_lo, exec_lo, s4
	s_and_saveexec_b32 s4, vcc_lo
	s_cbranch_execz .LBB204_1374
.LBB204_1423:
	ds_read_b32 v22, v20 offset:208
	s_waitcnt lgkmcnt(0)
	v_add_f32_e32 v13, v22, v13
	s_or_b32 exec_lo, exec_lo, s4
	s_and_saveexec_b32 s4, vcc_lo
	s_cbranch_execz .LBB204_1375
.LBB204_1424:
	ds_read_b32 v22, v20 offset:224
	s_waitcnt lgkmcnt(0)
	v_add_f32_e32 v14, v22, v14
	s_or_b32 exec_lo, exec_lo, s4
	s_and_saveexec_b32 s4, vcc_lo
	s_cbranch_execz .LBB204_1376
.LBB204_1425:
	ds_read_b32 v22, v20 offset:240
	s_waitcnt lgkmcnt(0)
	v_add_f32_e32 v15, v22, v15
	s_or_b32 exec_lo, exec_lo, s4
	s_and_saveexec_b32 s4, vcc_lo
	s_cbranch_execz .LBB204_1377
.LBB204_1426:
	ds_read_b32 v22, v20 offset:256
	s_waitcnt lgkmcnt(0)
	v_add_f32_e32 v16, v22, v16
	s_or_b32 exec_lo, exec_lo, s4
	s_and_saveexec_b32 s4, vcc_lo
	s_cbranch_execz .LBB204_1378
.LBB204_1427:
	ds_read_b32 v22, v20 offset:272
	s_waitcnt lgkmcnt(0)
	v_add_f32_e32 v17, v22, v17
	s_or_b32 exec_lo, exec_lo, s4
	s_and_saveexec_b32 s4, vcc_lo
	s_cbranch_execz .LBB204_1379
.LBB204_1428:
	ds_read_b32 v22, v20 offset:288
	s_waitcnt lgkmcnt(0)
	v_add_f32_e32 v18, v22, v18
	s_or_b32 exec_lo, exec_lo, s4
	s_and_saveexec_b32 s4, vcc_lo
	s_cbranch_execnz .LBB204_1380
	s_branch .LBB204_1381
.LBB204_1429:
	ds_read_b32 v21, v20
	s_waitcnt lgkmcnt(0)
	v_add_f32_e32 v0, v21, v0
	s_or_b32 exec_lo, exec_lo, s4
	s_and_saveexec_b32 s4, vcc_lo
	s_cbranch_execz .LBB204_1387
.LBB204_1430:
	ds_read_b32 v21, v20 offset:16
	s_waitcnt lgkmcnt(0)
	v_add_f32_e32 v1, v21, v1
	s_or_b32 exec_lo, exec_lo, s4
	s_and_saveexec_b32 s4, vcc_lo
	s_cbranch_execz .LBB204_1388
.LBB204_1431:
	ds_read_b32 v21, v20 offset:32
	s_waitcnt lgkmcnt(0)
	v_add_f32_e32 v2, v21, v2
	s_or_b32 exec_lo, exec_lo, s4
	s_and_saveexec_b32 s4, vcc_lo
	s_cbranch_execz .LBB204_1389
.LBB204_1432:
	ds_read_b32 v21, v20 offset:48
	s_waitcnt lgkmcnt(0)
	v_add_f32_e32 v3, v21, v3
	s_or_b32 exec_lo, exec_lo, s4
	s_and_saveexec_b32 s4, vcc_lo
	s_cbranch_execz .LBB204_1390
.LBB204_1433:
	ds_read_b32 v21, v20 offset:64
	s_waitcnt lgkmcnt(0)
	v_add_f32_e32 v4, v21, v4
	s_or_b32 exec_lo, exec_lo, s4
	s_and_saveexec_b32 s4, vcc_lo
	s_cbranch_execz .LBB204_1391
.LBB204_1434:
	ds_read_b32 v21, v20 offset:80
	s_waitcnt lgkmcnt(0)
	v_add_f32_e32 v5, v21, v5
	s_or_b32 exec_lo, exec_lo, s4
	s_and_saveexec_b32 s4, vcc_lo
	s_cbranch_execz .LBB204_1392
.LBB204_1435:
	ds_read_b32 v21, v20 offset:96
	s_waitcnt lgkmcnt(0)
	v_add_f32_e32 v6, v21, v6
	s_or_b32 exec_lo, exec_lo, s4
	s_and_saveexec_b32 s4, vcc_lo
	s_cbranch_execz .LBB204_1393
.LBB204_1436:
	ds_read_b32 v21, v20 offset:112
	s_waitcnt lgkmcnt(0)
	v_add_f32_e32 v7, v21, v7
	s_or_b32 exec_lo, exec_lo, s4
	s_and_saveexec_b32 s4, vcc_lo
	s_cbranch_execz .LBB204_1394
.LBB204_1437:
	ds_read_b32 v21, v20 offset:128
	s_waitcnt lgkmcnt(0)
	v_add_f32_e32 v8, v21, v8
	s_or_b32 exec_lo, exec_lo, s4
	s_and_saveexec_b32 s4, vcc_lo
	s_cbranch_execz .LBB204_1395
.LBB204_1438:
	ds_read_b32 v21, v20 offset:144
	s_waitcnt lgkmcnt(0)
	v_add_f32_e32 v9, v21, v9
	s_or_b32 exec_lo, exec_lo, s4
	s_and_saveexec_b32 s4, vcc_lo
	s_cbranch_execz .LBB204_1396
.LBB204_1439:
	ds_read_b32 v21, v20 offset:160
	s_waitcnt lgkmcnt(0)
	v_add_f32_e32 v10, v21, v10
	s_or_b32 exec_lo, exec_lo, s4
	s_and_saveexec_b32 s4, vcc_lo
	s_cbranch_execz .LBB204_1397
.LBB204_1440:
	ds_read_b32 v21, v20 offset:176
	s_waitcnt lgkmcnt(0)
	v_add_f32_e32 v11, v21, v11
	s_or_b32 exec_lo, exec_lo, s4
	s_and_saveexec_b32 s4, vcc_lo
	s_cbranch_execz .LBB204_1398
.LBB204_1441:
	ds_read_b32 v21, v20 offset:192
	s_waitcnt lgkmcnt(0)
	v_add_f32_e32 v12, v21, v12
	s_or_b32 exec_lo, exec_lo, s4
	s_and_saveexec_b32 s4, vcc_lo
	s_cbranch_execz .LBB204_1399
.LBB204_1442:
	ds_read_b32 v21, v20 offset:208
	s_waitcnt lgkmcnt(0)
	v_add_f32_e32 v13, v21, v13
	s_or_b32 exec_lo, exec_lo, s4
	s_and_saveexec_b32 s4, vcc_lo
	s_cbranch_execz .LBB204_1400
.LBB204_1443:
	ds_read_b32 v21, v20 offset:224
	s_waitcnt lgkmcnt(0)
	v_add_f32_e32 v14, v21, v14
	s_or_b32 exec_lo, exec_lo, s4
	s_and_saveexec_b32 s4, vcc_lo
	s_cbranch_execz .LBB204_1401
.LBB204_1444:
	ds_read_b32 v21, v20 offset:240
	s_waitcnt lgkmcnt(0)
	v_add_f32_e32 v15, v21, v15
	s_or_b32 exec_lo, exec_lo, s4
	s_and_saveexec_b32 s4, vcc_lo
	s_cbranch_execz .LBB204_1402
.LBB204_1445:
	ds_read_b32 v21, v20 offset:256
	s_waitcnt lgkmcnt(0)
	v_add_f32_e32 v16, v21, v16
	s_or_b32 exec_lo, exec_lo, s4
	s_and_saveexec_b32 s4, vcc_lo
	s_cbranch_execz .LBB204_1403
.LBB204_1446:
	ds_read_b32 v21, v20 offset:272
	s_waitcnt lgkmcnt(0)
	v_add_f32_e32 v17, v21, v17
	s_or_b32 exec_lo, exec_lo, s4
	s_and_saveexec_b32 s4, vcc_lo
	s_cbranch_execz .LBB204_1404
.LBB204_1447:
	ds_read_b32 v21, v20 offset:288
	s_waitcnt lgkmcnt(0)
	v_add_f32_e32 v18, v21, v18
	s_or_b32 exec_lo, exec_lo, s4
	s_and_saveexec_b32 s4, vcc_lo
	s_cbranch_execnz .LBB204_1405
	s_branch .LBB204_1406
.Lfunc_end204:
	.size	_ZN4vllm22paged_attention_kernelIfhLi80ELi32ELi128ELNS_18Fp8KVCacheDataTypeE1ELb1ELi0EEEvPfS2_PT_PKS3_PKT0_S9_ifPKiSB_iPKfiiiSD_SD_iiiii, .Lfunc_end204-_ZN4vllm22paged_attention_kernelIfhLi80ELi32ELi128ELNS_18Fp8KVCacheDataTypeE1ELb1ELi0EEEvPfS2_PT_PKS3_PKT0_S9_ifPKiSB_iPKfiiiSD_SD_iiiii
                                        ; -- End function
	.set .L_ZN4vllm22paged_attention_kernelIfhLi80ELi32ELi128ELNS_18Fp8KVCacheDataTypeE1ELb1ELi0EEEvPfS2_PT_PKS3_PKT0_S9_ifPKiSB_iPKfiiiSD_SD_iiiii.num_vgpr, 128
	.set .L_ZN4vllm22paged_attention_kernelIfhLi80ELi32ELi128ELNS_18Fp8KVCacheDataTypeE1ELb1ELi0EEEvPfS2_PT_PKS3_PKT0_S9_ifPKiSB_iPKfiiiSD_SD_iiiii.num_agpr, 0
	.set .L_ZN4vllm22paged_attention_kernelIfhLi80ELi32ELi128ELNS_18Fp8KVCacheDataTypeE1ELb1ELi0EEEvPfS2_PT_PKS3_PKT0_S9_ifPKiSB_iPKfiiiSD_SD_iiiii.numbered_sgpr, 33
	.set .L_ZN4vllm22paged_attention_kernelIfhLi80ELi32ELi128ELNS_18Fp8KVCacheDataTypeE1ELb1ELi0EEEvPfS2_PT_PKS3_PKT0_S9_ifPKiSB_iPKfiiiSD_SD_iiiii.num_named_barrier, 0
	.set .L_ZN4vllm22paged_attention_kernelIfhLi80ELi32ELi128ELNS_18Fp8KVCacheDataTypeE1ELb1ELi0EEEvPfS2_PT_PKS3_PKT0_S9_ifPKiSB_iPKfiiiSD_SD_iiiii.private_seg_size, 860
	.set .L_ZN4vllm22paged_attention_kernelIfhLi80ELi32ELi128ELNS_18Fp8KVCacheDataTypeE1ELb1ELi0EEEvPfS2_PT_PKS3_PKT0_S9_ifPKiSB_iPKfiiiSD_SD_iiiii.uses_vcc, 1
	.set .L_ZN4vllm22paged_attention_kernelIfhLi80ELi32ELi128ELNS_18Fp8KVCacheDataTypeE1ELb1ELi0EEEvPfS2_PT_PKS3_PKT0_S9_ifPKiSB_iPKfiiiSD_SD_iiiii.uses_flat_scratch, 0
	.set .L_ZN4vllm22paged_attention_kernelIfhLi80ELi32ELi128ELNS_18Fp8KVCacheDataTypeE1ELb1ELi0EEEvPfS2_PT_PKS3_PKT0_S9_ifPKiSB_iPKfiiiSD_SD_iiiii.has_dyn_sized_stack, 0
	.set .L_ZN4vllm22paged_attention_kernelIfhLi80ELi32ELi128ELNS_18Fp8KVCacheDataTypeE1ELb1ELi0EEEvPfS2_PT_PKS3_PKT0_S9_ifPKiSB_iPKfiiiSD_SD_iiiii.has_recursion, 0
	.set .L_ZN4vllm22paged_attention_kernelIfhLi80ELi32ELi128ELNS_18Fp8KVCacheDataTypeE1ELb1ELi0EEEvPfS2_PT_PKS3_PKT0_S9_ifPKiSB_iPKfiiiSD_SD_iiiii.has_indirect_call, 0
	.section	.AMDGPU.csdata,"",@progbits
; Function info:
; codeLenInByte = 48004
; TotalNumSgprs: 35
; NumVgprs: 128
; ScratchSize: 860
; MemoryBound: 0
	.section	.text._ZN4vllm25paged_attention_v1_kernelIfhLi80ELi32ELi128ELNS_18Fp8KVCacheDataTypeE1ELb1EEEvPT_PKS2_PKT0_S8_ifPKiSA_iPKfiiiSC_SC_iiiii,"axG",@progbits,_ZN4vllm25paged_attention_v1_kernelIfhLi80ELi32ELi128ELNS_18Fp8KVCacheDataTypeE1ELb1EEEvPT_PKS2_PKT0_S8_ifPKiSA_iPKfiiiSC_SC_iiiii,comdat
	.protected	_ZN4vllm25paged_attention_v1_kernelIfhLi80ELi32ELi128ELNS_18Fp8KVCacheDataTypeE1ELb1EEEvPT_PKS2_PKT0_S8_ifPKiSA_iPKfiiiSC_SC_iiiii ; -- Begin function _ZN4vllm25paged_attention_v1_kernelIfhLi80ELi32ELi128ELNS_18Fp8KVCacheDataTypeE1ELb1EEEvPT_PKS2_PKT0_S8_ifPKiSA_iPKfiiiSC_SC_iiiii
	.globl	_ZN4vllm25paged_attention_v1_kernelIfhLi80ELi32ELi128ELNS_18Fp8KVCacheDataTypeE1ELb1EEEvPT_PKS2_PKT0_S8_ifPKiSA_iPKfiiiSC_SC_iiiii
	.p2align	8
	.type	_ZN4vllm25paged_attention_v1_kernelIfhLi80ELi32ELi128ELNS_18Fp8KVCacheDataTypeE1ELb1EEEvPT_PKS2_PKT0_S8_ifPKiSA_iPKfiiiSC_SC_iiiii,@function
_ZN4vllm25paged_attention_v1_kernelIfhLi80ELi32ELi128ELNS_18Fp8KVCacheDataTypeE1ELb1EEEvPT_PKS2_PKT0_S8_ifPKiSA_iPKfiiiSC_SC_iiiii: ; @_ZN4vllm25paged_attention_v1_kernelIfhLi80ELi32ELi128ELNS_18Fp8KVCacheDataTypeE1ELb1EEEvPT_PKS2_PKT0_S8_ifPKiSA_iPKfiiiSC_SC_iiiii
; %bb.0:
	s_clause 0x7
	s_load_dwordx8 s[16:23], s[4:5], 0x0
	s_load_dwordx4 s[36:39], s[4:5], 0x20
	s_load_dwordx2 s[10:11], s[4:5], 0x30
	s_load_dword s13, s[4:5], 0x38
	s_load_dwordx2 s[34:35], s[4:5], 0x40
	s_load_dwordx8 s[24:31], s[4:5], 0x48
	s_load_dword s15, s[4:5], 0x78
	s_load_dwordx4 s[40:43], s[4:5], 0x68
	s_add_u32 s0, s0, s9
	s_addc_u32 s1, s1, 0
	v_mov_b32_e32 v31, v0
	s_mov_b32 s14, s8
	s_add_u32 s8, s4, 0x80
	s_addc_u32 s9, s5, 0
	s_getpc_b64 s[4:5]
	s_add_u32 s4, s4, _ZN4vllm22paged_attention_kernelIfhLi80ELi32ELi128ELNS_18Fp8KVCacheDataTypeE1ELb1ELi0EEEvPfS2_PT_PKS3_PKT0_S9_ifPKiSB_iPKfiiiSD_SD_iiiii@rel32@lo+4
	s_addc_u32 s5, s5, _ZN4vllm22paged_attention_kernelIfhLi80ELi32ELi128ELNS_18Fp8KVCacheDataTypeE1ELb1ELi0EEEvPfS2_PT_PKS3_PKT0_S9_ifPKiSB_iPKfiiiSD_SD_iiiii@rel32@hi+12
	s_mov_b32 s12, s6
	s_mov_b32 s32, 0
	s_waitcnt lgkmcnt(0)
	v_mov_b32_e32 v0, s16
	v_mov_b32_e32 v1, s17
	;; [unrolled: 1-line block ×29, first 2 shown]
	s_mov_b32 s13, s7
	s_mov_b32 s15, 31
	s_swappc_b64 s[30:31], s[4:5]
	s_endpgm
	.section	.rodata,"a",@progbits
	.p2align	6, 0x0
	.amdhsa_kernel _ZN4vllm25paged_attention_v1_kernelIfhLi80ELi32ELi128ELNS_18Fp8KVCacheDataTypeE1ELb1EEEvPT_PKS2_PKT0_S8_ifPKiSA_iPKfiiiSC_SC_iiiii
		.amdhsa_group_segment_fixed_size 352
		.amdhsa_private_segment_fixed_size 860
		.amdhsa_kernarg_size 384
		.amdhsa_user_sgpr_count 6
		.amdhsa_user_sgpr_private_segment_buffer 1
		.amdhsa_user_sgpr_dispatch_ptr 0
		.amdhsa_user_sgpr_queue_ptr 0
		.amdhsa_user_sgpr_kernarg_segment_ptr 1
		.amdhsa_user_sgpr_dispatch_id 0
		.amdhsa_user_sgpr_flat_scratch_init 0
		.amdhsa_user_sgpr_private_segment_size 0
		.amdhsa_wavefront_size32 1
		.amdhsa_uses_dynamic_stack 0
		.amdhsa_system_sgpr_private_segment_wavefront_offset 1
		.amdhsa_system_sgpr_workgroup_id_x 1
		.amdhsa_system_sgpr_workgroup_id_y 1
		.amdhsa_system_sgpr_workgroup_id_z 1
		.amdhsa_system_sgpr_workgroup_info 0
		.amdhsa_system_vgpr_workitem_id 0
		.amdhsa_next_free_vgpr 128
		.amdhsa_next_free_sgpr 44
		.amdhsa_reserve_vcc 1
		.amdhsa_reserve_flat_scratch 0
		.amdhsa_float_round_mode_32 0
		.amdhsa_float_round_mode_16_64 0
		.amdhsa_float_denorm_mode_32 3
		.amdhsa_float_denorm_mode_16_64 3
		.amdhsa_dx10_clamp 1
		.amdhsa_ieee_mode 1
		.amdhsa_fp16_overflow 0
		.amdhsa_workgroup_processor_mode 1
		.amdhsa_memory_ordered 1
		.amdhsa_forward_progress 1
		.amdhsa_shared_vgpr_count 0
		.amdhsa_exception_fp_ieee_invalid_op 0
		.amdhsa_exception_fp_denorm_src 0
		.amdhsa_exception_fp_ieee_div_zero 0
		.amdhsa_exception_fp_ieee_overflow 0
		.amdhsa_exception_fp_ieee_underflow 0
		.amdhsa_exception_fp_ieee_inexact 0
		.amdhsa_exception_int_div_zero 0
	.end_amdhsa_kernel
	.section	.text._ZN4vllm25paged_attention_v1_kernelIfhLi80ELi32ELi128ELNS_18Fp8KVCacheDataTypeE1ELb1EEEvPT_PKS2_PKT0_S8_ifPKiSA_iPKfiiiSC_SC_iiiii,"axG",@progbits,_ZN4vllm25paged_attention_v1_kernelIfhLi80ELi32ELi128ELNS_18Fp8KVCacheDataTypeE1ELb1EEEvPT_PKS2_PKT0_S8_ifPKiSA_iPKfiiiSC_SC_iiiii,comdat
.Lfunc_end205:
	.size	_ZN4vllm25paged_attention_v1_kernelIfhLi80ELi32ELi128ELNS_18Fp8KVCacheDataTypeE1ELb1EEEvPT_PKS2_PKT0_S8_ifPKiSA_iPKfiiiSC_SC_iiiii, .Lfunc_end205-_ZN4vllm25paged_attention_v1_kernelIfhLi80ELi32ELi128ELNS_18Fp8KVCacheDataTypeE1ELb1EEEvPT_PKS2_PKT0_S8_ifPKiSA_iPKfiiiSC_SC_iiiii
                                        ; -- End function
	.set _ZN4vllm25paged_attention_v1_kernelIfhLi80ELi32ELi128ELNS_18Fp8KVCacheDataTypeE1ELb1EEEvPT_PKS2_PKT0_S8_ifPKiSA_iPKfiiiSC_SC_iiiii.num_vgpr, max(32, .L_ZN4vllm22paged_attention_kernelIfhLi80ELi32ELi128ELNS_18Fp8KVCacheDataTypeE1ELb1ELi0EEEvPfS2_PT_PKS3_PKT0_S9_ifPKiSB_iPKfiiiSD_SD_iiiii.num_vgpr)
	.set _ZN4vllm25paged_attention_v1_kernelIfhLi80ELi32ELi128ELNS_18Fp8KVCacheDataTypeE1ELb1EEEvPT_PKS2_PKT0_S8_ifPKiSA_iPKfiiiSC_SC_iiiii.num_agpr, max(0, .L_ZN4vllm22paged_attention_kernelIfhLi80ELi32ELi128ELNS_18Fp8KVCacheDataTypeE1ELb1ELi0EEEvPfS2_PT_PKS3_PKT0_S9_ifPKiSB_iPKfiiiSD_SD_iiiii.num_agpr)
	.set _ZN4vllm25paged_attention_v1_kernelIfhLi80ELi32ELi128ELNS_18Fp8KVCacheDataTypeE1ELb1EEEvPT_PKS2_PKT0_S8_ifPKiSA_iPKfiiiSC_SC_iiiii.numbered_sgpr, max(44, .L_ZN4vllm22paged_attention_kernelIfhLi80ELi32ELi128ELNS_18Fp8KVCacheDataTypeE1ELb1ELi0EEEvPfS2_PT_PKS3_PKT0_S9_ifPKiSB_iPKfiiiSD_SD_iiiii.numbered_sgpr)
	.set _ZN4vllm25paged_attention_v1_kernelIfhLi80ELi32ELi128ELNS_18Fp8KVCacheDataTypeE1ELb1EEEvPT_PKS2_PKT0_S8_ifPKiSA_iPKfiiiSC_SC_iiiii.num_named_barrier, max(0, .L_ZN4vllm22paged_attention_kernelIfhLi80ELi32ELi128ELNS_18Fp8KVCacheDataTypeE1ELb1ELi0EEEvPfS2_PT_PKS3_PKT0_S9_ifPKiSB_iPKfiiiSD_SD_iiiii.num_named_barrier)
	.set _ZN4vllm25paged_attention_v1_kernelIfhLi80ELi32ELi128ELNS_18Fp8KVCacheDataTypeE1ELb1EEEvPT_PKS2_PKT0_S8_ifPKiSA_iPKfiiiSC_SC_iiiii.private_seg_size, 0+max(.L_ZN4vllm22paged_attention_kernelIfhLi80ELi32ELi128ELNS_18Fp8KVCacheDataTypeE1ELb1ELi0EEEvPfS2_PT_PKS3_PKT0_S9_ifPKiSB_iPKfiiiSD_SD_iiiii.private_seg_size)
	.set _ZN4vllm25paged_attention_v1_kernelIfhLi80ELi32ELi128ELNS_18Fp8KVCacheDataTypeE1ELb1EEEvPT_PKS2_PKT0_S8_ifPKiSA_iPKfiiiSC_SC_iiiii.uses_vcc, or(1, .L_ZN4vllm22paged_attention_kernelIfhLi80ELi32ELi128ELNS_18Fp8KVCacheDataTypeE1ELb1ELi0EEEvPfS2_PT_PKS3_PKT0_S9_ifPKiSB_iPKfiiiSD_SD_iiiii.uses_vcc)
	.set _ZN4vllm25paged_attention_v1_kernelIfhLi80ELi32ELi128ELNS_18Fp8KVCacheDataTypeE1ELb1EEEvPT_PKS2_PKT0_S8_ifPKiSA_iPKfiiiSC_SC_iiiii.uses_flat_scratch, or(0, .L_ZN4vllm22paged_attention_kernelIfhLi80ELi32ELi128ELNS_18Fp8KVCacheDataTypeE1ELb1ELi0EEEvPfS2_PT_PKS3_PKT0_S9_ifPKiSB_iPKfiiiSD_SD_iiiii.uses_flat_scratch)
	.set _ZN4vllm25paged_attention_v1_kernelIfhLi80ELi32ELi128ELNS_18Fp8KVCacheDataTypeE1ELb1EEEvPT_PKS2_PKT0_S8_ifPKiSA_iPKfiiiSC_SC_iiiii.has_dyn_sized_stack, or(0, .L_ZN4vllm22paged_attention_kernelIfhLi80ELi32ELi128ELNS_18Fp8KVCacheDataTypeE1ELb1ELi0EEEvPfS2_PT_PKS3_PKT0_S9_ifPKiSB_iPKfiiiSD_SD_iiiii.has_dyn_sized_stack)
	.set _ZN4vllm25paged_attention_v1_kernelIfhLi80ELi32ELi128ELNS_18Fp8KVCacheDataTypeE1ELb1EEEvPT_PKS2_PKT0_S8_ifPKiSA_iPKfiiiSC_SC_iiiii.has_recursion, or(0, .L_ZN4vllm22paged_attention_kernelIfhLi80ELi32ELi128ELNS_18Fp8KVCacheDataTypeE1ELb1ELi0EEEvPfS2_PT_PKS3_PKT0_S9_ifPKiSB_iPKfiiiSD_SD_iiiii.has_recursion)
	.set _ZN4vllm25paged_attention_v1_kernelIfhLi80ELi32ELi128ELNS_18Fp8KVCacheDataTypeE1ELb1EEEvPT_PKS2_PKT0_S8_ifPKiSA_iPKfiiiSC_SC_iiiii.has_indirect_call, or(0, .L_ZN4vllm22paged_attention_kernelIfhLi80ELi32ELi128ELNS_18Fp8KVCacheDataTypeE1ELb1ELi0EEEvPfS2_PT_PKS3_PKT0_S9_ifPKiSB_iPKfiiiSD_SD_iiiii.has_indirect_call)
	.section	.AMDGPU.csdata,"",@progbits
; Kernel info:
; codeLenInByte = 260
; TotalNumSgprs: 46
; NumVgprs: 128
; ScratchSize: 860
; MemoryBound: 0
; FloatMode: 240
; IeeeMode: 1
; LDSByteSize: 352 bytes/workgroup (compile time only)
; SGPRBlocks: 0
; VGPRBlocks: 15
; NumSGPRsForWavesPerEU: 46
; NumVGPRsForWavesPerEU: 128
; Occupancy: 8
; WaveLimiterHint : 1
; COMPUTE_PGM_RSRC2:SCRATCH_EN: 1
; COMPUTE_PGM_RSRC2:USER_SGPR: 6
; COMPUTE_PGM_RSRC2:TRAP_HANDLER: 0
; COMPUTE_PGM_RSRC2:TGID_X_EN: 1
; COMPUTE_PGM_RSRC2:TGID_Y_EN: 1
; COMPUTE_PGM_RSRC2:TGID_Z_EN: 1
; COMPUTE_PGM_RSRC2:TIDIG_COMP_CNT: 0
	.text
	.p2align	2                               ; -- Begin function _ZN4vllm22paged_attention_kernelIfhLi96ELi32ELi128ELNS_18Fp8KVCacheDataTypeE1ELb1ELi0EEEvPfS2_PT_PKS3_PKT0_S9_ifPKiSB_iPKfiiiSD_SD_iiiii
	.type	_ZN4vllm22paged_attention_kernelIfhLi96ELi32ELi128ELNS_18Fp8KVCacheDataTypeE1ELb1ELi0EEEvPfS2_PT_PKS3_PKT0_S9_ifPKiSB_iPKfiiiSD_SD_iiiii,@function
_ZN4vllm22paged_attention_kernelIfhLi96ELi32ELi128ELNS_18Fp8KVCacheDataTypeE1ELb1ELi0EEEvPfS2_PT_PKS3_PKT0_S9_ifPKiSB_iPKfiiiSD_SD_iiiii: ; @_ZN4vllm22paged_attention_kernelIfhLi96ELi32ELi128ELNS_18Fp8KVCacheDataTypeE1ELb1ELi0EEEvPfS2_PT_PKS3_PKT0_S9_ifPKiSB_iPKfiiiSD_SD_iiiii
; %bb.0:
	s_waitcnt vmcnt(0) expcnt(0) lgkmcnt(0)
	buffer_store_dword v40, off, s[0:3], s32 offset:188 ; 4-byte Folded Spill
	buffer_store_dword v41, off, s[0:3], s32 offset:184 ; 4-byte Folded Spill
	;; [unrolled: 1-line block ×47, first 2 shown]
	buffer_store_dword v127, off, s[0:3], s32 ; 4-byte Folded Spill
	s_mov_b32 s10, s13
	s_ashr_i32 s11, s13, 31
	buffer_store_dword v22, off, s[0:3], s32 offset:580 ; 4-byte Folded Spill
	buffer_store_dword v23, off, s[0:3], s32 offset:584 ; 4-byte Folded Spill
	;; [unrolled: 1-line block ×5, first 2 shown]
	s_lshl_b64 s[6:7], s[10:11], 2
	buffer_store_dword v1, off, s[0:3], s32 offset:1000 ; 4-byte Folded Spill
	buffer_store_dword v0, off, s[0:3], s32 offset:1004 ; 4-byte Folded Spill
	v_add_co_u32 v0, vcc_lo, v12, s6
	v_add_co_ci_u32_e64 v1, null, s7, v13, vcc_lo
	s_clause 0x1
	s_load_dword s5, s[8:9], 0x10
	s_load_dword s6, s[8:9], 0x0
	v_mov_b32_e32 v21, v6
	flat_load_dword v47, v[0:1]
	v_sub_nc_u32_e32 v0, 0, v8
	v_mov_b32_e32 v20, v7
	s_mov_b32 s4, s15
	v_max_i32_e32 v0, v8, v0
	v_cvt_f32_u32_e32 v1, v0
	v_sub_nc_u32_e32 v6, 0, v0
	v_rcp_iflag_f32_e32 v1, v1
	s_waitcnt lgkmcnt(0)
	s_lshr_b32 s5, s5, 16
	s_cmp_lg_u32 s5, 0
	s_cselect_b32 s5, -1, 0
	s_cmp_lg_u32 s5, 0
	s_addc_u32 s11, s6, 0
	v_mul_f32_e32 v1, 0x4f7ffffe, v1
	s_abs_i32 s5, s11
	s_mov_b32 s6, exec_lo
	v_cvt_u32_f32_e32 v1, v1
	v_mul_lo_u32 v6, v6, v1
	v_mul_hi_u32 v6, v1, v6
	v_add_nc_u32_e32 v1, v1, v6
	v_mul_hi_u32 v1, s5, v1
	v_mul_lo_u32 v6, v1, v0
	v_add_nc_u32_e32 v7, 1, v1
	v_sub_nc_u32_e32 v6, s5, v6
	s_abs_i32 s5, s12
	v_sub_nc_u32_e32 v12, v6, v0
	v_cmp_ge_u32_e32 vcc_lo, v6, v0
	v_cndmask_b32_e32 v1, v1, v7, vcc_lo
	v_cndmask_b32_e32 v6, v6, v12, vcc_lo
	v_xor_b32_e32 v7, s11, v8
	v_add_nc_u32_e32 v12, 1, v1
	v_cmp_ge_u32_e32 vcc_lo, v6, v0
	v_ashrrev_i32_e32 v7, 31, v7
	v_cndmask_b32_e32 v0, v1, v12, vcc_lo
	v_xor_b32_e32 v0, v0, v7
	v_sub_nc_u32_e32 v7, v0, v7
	v_sub_nc_u32_e32 v0, 0, v7
	v_max_i32_e32 v6, v7, v0
	v_cvt_f32_u32_e32 v0, v6
	v_sub_nc_u32_e32 v1, 0, v6
	v_rcp_iflag_f32_e32 v0, v0
	v_mul_f32_e32 v0, 0x4f7ffffe, v0
	v_cvt_u32_f32_e32 v0, v0
	v_mul_lo_u32 v1, v1, v0
	v_mul_hi_u32 v1, v0, v1
	v_add_nc_u32_e32 v0, v0, v1
	v_mad_u64_u32 v[0:1], null, s5, v0, 0
	v_mov_b32_e32 v0, 0
	buffer_store_dword v0, off, s[0:3], s32 offset:576 ; 4-byte Folded Spill
	v_cmpx_ne_u64_e32 0, v[15:16]
	s_cbranch_execz .LBB206_2
; %bb.1:
	s_ashr_i32 s13, s12, 31
	s_lshl_b64 s[16:17], s[12:13], 2
	v_add_co_u32 v12, vcc_lo, v15, s16
	v_add_co_ci_u32_e64 v13, null, s17, v16, vcc_lo
	flat_load_dword v0, v[12:13]
	s_waitcnt vmcnt(0) lgkmcnt(0)
	buffer_store_dword v0, off, s[0:3], s32 offset:576 ; 4-byte Folded Spill
.LBB206_2:
	s_or_b32 exec_lo, exec_lo, s6
	v_and_b32_e32 v12, 0x3ff, v31
	v_ashrrev_i32_e32 v0, 31, v7
	s_ashr_i32 s6, s12, 31
	s_mul_i32 s16, s12, 0x60
	s_mov_b32 s7, exec_lo
	buffer_store_dword v12, off, s[0:3], s32 offset:572 ; 4-byte Folded Spill
	v_cmpx_gt_u32_e32 24, v12
	s_cbranch_execz .LBB206_4
; %bb.3:
	buffer_load_dword v7, off, s[0:3], s32 offset:572 ; 4-byte Folded Reload
	v_mul_lo_u32 v12, v17, s10
	s_ashr_i32 s17, s16, 31
	s_lshl_b64 s[18:19], s[16:17], 2
	v_ashrrev_i32_e32 v13, 31, v12
	v_lshlrev_b64 v[12:13], 2, v[12:13]
	v_add_co_u32 v2, vcc_lo, v2, v12
	v_add_co_ci_u32_e64 v3, null, v3, v13, vcc_lo
	v_add_co_u32 v2, vcc_lo, v2, s18
	v_add_co_ci_u32_e64 v3, null, s19, v3, vcc_lo
	s_waitcnt vmcnt(0)
	v_lshlrev_b32_e32 v7, 4, v7
	v_add_co_u32 v2, vcc_lo, v2, v7
	v_add_co_ci_u32_e64 v3, null, 0, v3, vcc_lo
	flat_load_dwordx4 v[15:18], v[2:3]
	s_waitcnt vmcnt(0) lgkmcnt(0)
	ds_write_b128 v7, v[15:18]
.LBB206_4:
	s_or_b32 exec_lo, exec_lo, s7
	v_sub_nc_u32_e32 v2, 0, v27
	v_mul_lo_u32 v3, v1, v6
	v_max_i32_e32 v12, v27, v2
	v_sub_nc_u32_e32 v7, s5, v3
	v_cvt_f32_u32_e32 v2, v12
	buffer_store_dword v12, off, s[0:3], s32 offset:208 ; 4-byte Folded Spill
	v_add_nc_u32_e32 v3, 1, v1
	s_mov_b32 s5, exec_lo
	v_cmp_ge_u32_e32 vcc_lo, v7, v6
	v_rcp_iflag_f32_e32 v2, v2
	v_cndmask_b32_e32 v1, v1, v3, vcc_lo
	s_waitcnt vmcnt(0)
	v_add_nc_u32_e32 v3, -1, v47
	v_add_nc_u32_e32 v15, 1, v1
	v_mul_f32_e32 v2, 0x4f7ffffe, v2
	v_cvt_u32_f32_e32 v16, v2
	v_sub_nc_u32_e32 v2, 0, v12
	v_sub_nc_u32_e32 v12, v7, v6
	v_mul_lo_u32 v2, v2, v16
	v_cndmask_b32_e32 v7, v7, v12, vcc_lo
	v_xor_b32_e32 v12, s6, v0
	v_cmp_ge_u32_e32 vcc_lo, v7, v6
	v_mul_hi_u32 v13, v16, v2
	v_sub_nc_u32_e32 v2, 0, v3
	v_cndmask_b32_e32 v0, v1, v15, vcc_lo
	v_max_i32_e32 v2, v3, v2
	v_add_nc_u32_e32 v1, v16, v13
	v_xor_b32_e32 v6, v0, v12
	buffer_store_dword v1, off, s[0:3], s32 offset:212 ; 4-byte Folded Spill
	v_mad_u64_u32 v[0:1], null, v2, v1, 0
	v_sub_nc_u32_e32 v0, v6, v12
                                        ; implicit-def: $vgpr6
	s_waitcnt lgkmcnt(0)
	s_waitcnt_vscnt null, 0x0
	s_barrier
	buffer_gl0_inv
	buffer_store_dword v6, off, s[0:3], s32 offset:196 ; 4-byte Folded Spill
	buffer_store_dword v7, off, s[0:3], s32 offset:200 ; 4-byte Folded Spill
	v_cmpx_gt_i32_e32 0, v28
	s_xor_b32 s5, exec_lo, s5
	s_cbranch_execz .LBB206_6
; %bb.5:
	v_mad_u64_u32 v[6:7], null, v24, v8, v[0:1]
                                        ; implicit-def: $vgpr24
	v_mul_lo_u32 v6, v6, v28
                                        ; implicit-def: $vgpr28
	v_sub_nc_u32_e32 v6, 1, v6
	buffer_store_dword v6, off, s[0:3], s32 offset:196 ; 4-byte Folded Spill
	buffer_store_dword v7, off, s[0:3], s32 offset:200 ; 4-byte Folded Spill
.LBB206_6:
	s_or_saveexec_b32 s5, s5
	v_ashrrev_i32_e32 v3, 31, v3
	v_ashrrev_i32_e32 v6, 31, v27
	buffer_store_dword v6, off, s[0:3], s32 offset:204 ; 4-byte Folded Spill
	s_xor_b32 exec_lo, exec_lo, s5
	s_cbranch_execz .LBB206_8
; %bb.7:
	v_mad_u64_u32 v[6:7], null, s11, v24, s[12:13]
	v_mad_u64_u32 v[6:7], null, v6, v28, 1
	buffer_store_dword v6, off, s[0:3], s32 offset:196 ; 4-byte Folded Spill
	buffer_store_dword v7, off, s[0:3], s32 offset:200 ; 4-byte Folded Spill
.LBB206_8:
	s_or_b32 exec_lo, exec_lo, s5
	buffer_load_dword v15, off, s[0:3], s32 offset:208 ; 4-byte Folded Reload
	s_clause 0x1
	s_load_dword s7, s[8:9], 0x14
	s_load_dword s12, s[8:9], 0x8
	buffer_load_dword v8, off, s[0:3], s32 offset:204 ; 4-byte Folded Reload
	v_add_nc_u32_e32 v7, 1, v1
	v_mul_lo_u32 v64, v0, v19
	s_ashr_i32 s5, s4, 31
	s_getpc_b64 s[8:9]
	s_add_u32 s8, s8, llvm.amdgcn.dynlds.offset.table@rel32@lo+4
	s_addc_u32 s9, s9, llvm.amdgcn.dynlds.offset.table@rel32@hi+12
	v_sub_nc_u32_e32 v53, 0, v26
	s_lshl_b64 s[18:19], s[4:5], 2
	s_add_u32 s8, s8, s18
	s_addc_u32 s9, s9, s19
	v_ashrrev_i32_e32 v54, 31, v64
	s_waitcnt vmcnt(1)
	v_mul_lo_u32 v6, v1, v15
	v_sub_nc_u32_e32 v6, v2, v6
	v_mul_lo_u32 v2, v14, s10
	buffer_load_dword v14, off, s[0:3], s32 offset:572 ; 4-byte Folded Reload
	s_waitcnt vmcnt(1)
	v_xor_b32_e32 v8, v3, v8
	v_add_nc_u32_e32 v3, 31, v47
	v_sub_nc_u32_e32 v16, v6, v15
	v_cmp_ge_u32_e32 vcc_lo, v6, v15
	v_cndmask_b32_e32 v1, v1, v7, vcc_lo
	v_cndmask_b32_e32 v6, v6, v16, vcc_lo
	v_ashrrev_i32_e32 v7, 31, v3
	v_add_nc_u32_e32 v16, 1, v1
	v_cmp_ge_u32_e32 vcc_lo, v6, v15
	v_lshrrev_b32_e32 v7, 27, v7
	v_mov_b32_e32 v15, 0xff7fffff
	v_cndmask_b32_e32 v1, v1, v16, vcc_lo
	v_add_nc_u32_e32 v0, v3, v7
	v_ashrrev_i32_e32 v3, 31, v2
	v_xor_b32_e32 v1, v1, v8
	v_ashrrev_i32_e32 v6, 5, v0
	v_lshlrev_b64 v[32:33], 2, v[2:3]
	v_sub_nc_u32_e32 v0, v1, v8
	v_sub_nc_u32_e32 v0, v0, v25
	s_waitcnt vmcnt(0)
	v_lshrrev_b32_e32 v13, 5, v14
	v_and_b32_e32 v12, 31, v14
	v_lshrrev_b32_e32 v29, 3, v14
	v_lshlrev_b32_e32 v23, 5, v13
	buffer_store_dword v12, off, s[0:3], s32 offset:568 ; 4-byte Folded Spill
	v_lshlrev_b32_e32 v12, 2, v12
	v_cmp_lt_i32_e64 s4, v13, v6
	buffer_store_dword v13, off, s[0:3], s32 offset:996 ; 4-byte Folded Spill
	buffer_store_dword v6, off, s[0:3], s32 offset:192 ; 4-byte Folded Spill
	;; [unrolled: 1-line block ×3, first 2 shown]
	s_and_saveexec_b32 s13, s4
	s_cbranch_execz .LBB206_784
; %bb.9:
	buffer_store_dword v21, off, s[0:3], s32 offset:1024 ; 4-byte Folded Spill
	buffer_store_dword v20, off, s[0:3], s32 offset:1020 ; 4-byte Folded Spill
	;; [unrolled: 1-line block ×4, first 2 shown]
	v_add_co_u32 v1, vcc_lo, v4, v64
	s_clause 0x1
	buffer_load_dword v4, off, s[0:3], s32 offset:568
	buffer_load_dword v46, off, s[0:3], s32 offset:996
	v_add_co_ci_u32_e64 v2, null, v5, v54, vcc_lo
	buffer_load_dword v5, off, s[0:3], s32 offset:576 ; 4-byte Folded Reload
	v_max_i32_e32 v7, v26, v53
	v_mov_b32_e32 v25, 0
	s_load_dword s15, s[8:9], 0x0
	buffer_store_dword v64, off, s[0:3], s32 offset:1040 ; 4-byte Folded Spill
	buffer_store_dword v54, off, s[0:3], s32 offset:1048 ; 4-byte Folded Spill
	;; [unrolled: 1-line block ×5, first 2 shown]
	v_cvt_f32_u32_e32 v0, v7
	v_sub_nc_u32_e32 v7, 0, v7
	v_mov_b32_e32 v18, 0x80
	v_bfrev_b32_e32 v40, 1
	v_mov_b32_e32 v103, 0x7f800001
	v_rcp_iflag_f32_e32 v0, v0
	v_mov_b32_e32 v45, 0xff
	s_mov_b32 s17, 0
	v_mul_f32_e32 v0, 0x4f7ffffe, v0
	v_cvt_u32_f32_e32 v0, v0
	v_mul_lo_u32 v7, v7, v0
	s_waitcnt vmcnt(2)
	v_lshlrev_b32_e32 v3, 4, v4
	s_waitcnt vmcnt(1)
	v_lshl_or_b32 v26, v46, 7, v12
	v_sub_nc_u32_e32 v4, v4, v47
	v_lshlrev_b32_e32 v6, 5, v46
	s_waitcnt vmcnt(0)
	v_cmp_neq_f32_e32 vcc_lo, 0, v5
	v_add_co_u32 v1, s5, v1, v3
	v_add_co_ci_u32_e64 v2, null, 0, v2, s5
	v_and_b32_e32 v5, 0x7c, v29
	buffer_store_dword v1, off, s[0:3], s32 offset:596 ; 4-byte Folded Spill
	buffer_store_dword v2, off, s[0:3], s32 offset:600 ; 4-byte Folded Spill
	ds_read_b128 v[12:15], v25
	v_add_co_u32 v2, s5, v5, v32
	v_mul_hi_u32 v1, v0, v7
	v_add_nc_u32_e32 v4, 1, v4
	s_waitcnt lgkmcnt(0)
	buffer_store_dword v12, off, s[0:3], s32 offset:604 ; 4-byte Folded Spill
	buffer_store_dword v13, off, s[0:3], s32 offset:608 ; 4-byte Folded Spill
	buffer_store_dword v14, off, s[0:3], s32 offset:612 ; 4-byte Folded Spill
	buffer_store_dword v15, off, s[0:3], s32 offset:616 ; 4-byte Folded Spill
	ds_read_b128 v[12:15], v25 offset:16
	v_add_nc_u32_e32 v0, v0, v1
	s_waitcnt lgkmcnt(0)
	buffer_store_dword v12, off, s[0:3], s32 offset:620 ; 4-byte Folded Spill
	buffer_store_dword v13, off, s[0:3], s32 offset:624 ; 4-byte Folded Spill
	buffer_store_dword v14, off, s[0:3], s32 offset:628 ; 4-byte Folded Spill
	buffer_store_dword v15, off, s[0:3], s32 offset:632 ; 4-byte Folded Spill
	ds_read_b128 v[12:15], v25 offset:32
	s_waitcnt lgkmcnt(0)
	buffer_store_dword v12, off, s[0:3], s32 offset:636 ; 4-byte Folded Spill
	buffer_store_dword v13, off, s[0:3], s32 offset:640 ; 4-byte Folded Spill
	buffer_store_dword v14, off, s[0:3], s32 offset:644 ; 4-byte Folded Spill
	buffer_store_dword v15, off, s[0:3], s32 offset:648 ; 4-byte Folded Spill
	ds_read_b128 v[12:15], v25 offset:48
	;; [unrolled: 6-line block ×4, first 2 shown]
	s_waitcnt lgkmcnt(0)
	buffer_store_dword v12, off, s[0:3], s32 offset:684 ; 4-byte Folded Spill
	buffer_store_dword v13, off, s[0:3], s32 offset:688 ; 4-byte Folded Spill
	;; [unrolled: 1-line block ×10, first 2 shown]
	v_mov_b32_e32 v15, 0xff7fffff
	v_add_co_ci_u32_e64 v3, null, 0, v33, s5
	v_add_co_u32 v124, s5, v10, v2
	v_add_co_ci_u32_e64 v125, null, v11, v3, s5
	ds_read_b128 v[0:3], v25 offset:96
	s_waitcnt lgkmcnt(0)
	buffer_store_dword v0, off, s[0:3], s32 offset:704 ; 4-byte Folded Spill
	buffer_store_dword v1, off, s[0:3], s32 offset:708 ; 4-byte Folded Spill
	buffer_store_dword v2, off, s[0:3], s32 offset:712 ; 4-byte Folded Spill
	buffer_store_dword v3, off, s[0:3], s32 offset:716 ; 4-byte Folded Spill
	ds_read_b128 v[0:3], v25 offset:112
	s_waitcnt lgkmcnt(0)
	buffer_store_dword v0, off, s[0:3], s32 offset:720 ; 4-byte Folded Spill
	buffer_store_dword v1, off, s[0:3], s32 offset:724 ; 4-byte Folded Spill
	buffer_store_dword v2, off, s[0:3], s32 offset:728 ; 4-byte Folded Spill
	buffer_store_dword v3, off, s[0:3], s32 offset:732 ; 4-byte Folded Spill
	;; [unrolled: 6-line block ×18, first 2 shown]
	buffer_store_dword v9, off, s[0:3], s32 offset:992 ; 4-byte Folded Spill
	s_branch .LBB206_15
.LBB206_10:                             ;   in Loop: Header=BB206_15 Depth=1
	s_or_b32 exec_lo, exec_lo, s21
	v_mov_b32_e32 v5, 24
	v_lshlrev_b32_e32 v24, 20, v24
	v_lshl_add_u32 v4, v4, 23, 0x3c000000
	v_lshlrev_b32_sdwa v5, v5, v42 dst_sel:DWORD dst_unused:UNUSED_PAD src0_sel:DWORD src1_sel:BYTE_3
	v_and_b32_e32 v5, 0x80000000, v5
	v_or3_b32 v5, v24, v5, v4
	v_mov_b32_e32 v4, v25
.LBB206_11:                             ;   in Loop: Header=BB206_15 Depth=1
	s_or_b32 exec_lo, exec_lo, s20
.LBB206_12:                             ;   in Loop: Header=BB206_15 Depth=1
	s_or_b32 exec_lo, exec_lo, s19
.LBB206_13:                             ;   in Loop: Header=BB206_15 Depth=1
	s_or_b32 exec_lo, exec_lo, s18
	v_or_b32_e32 v33, v12, v33
	v_or_b32_e32 v12, v36, v30
	;; [unrolled: 1-line block ×8, first 2 shown]
	s_clause 0x3
	buffer_load_dword v0, off, s[0:3], s32 offset:532
	buffer_load_dword v1, off, s[0:3], s32 offset:536
	;; [unrolled: 1-line block ×4, first 2 shown]
	v_or_b32_e32 v66, v48, v66
	v_or_b32_e32 v48, v69, v55
	;; [unrolled: 1-line block ×39, first 2 shown]
	v_mul_f32_e32 v52, v41, v52
	v_mul_f32_e32 v53, v41, v53
	;; [unrolled: 1-line block ×8, first 2 shown]
	v_or_b32_e32 v99, v121, v99
	v_or_b32_e32 v98, v120, v98
	;; [unrolled: 1-line block ×5, first 2 shown]
	v_mul_f32_e32 v4, v41, v4
	v_mul_f32_e32 v5, v41, v5
	s_waitcnt vmcnt(1)
	v_or_b32_e32 v69, v2, v0
	s_waitcnt vmcnt(0)
	v_or_b32_e32 v68, v3, v1
	s_clause 0x1
	buffer_load_dword v0, off, s[0:3], s32 offset:548
	buffer_load_dword v1, off, s[0:3], s32 offset:552
	v_mul_f32_e32 v69, v41, v69
	v_mul_f32_e32 v68, v41, v68
	s_waitcnt vmcnt(1)
	v_or_b32_e32 v83, v58, v0
	s_waitcnt vmcnt(0)
	v_or_b32_e32 v71, v59, v1
	s_clause 0x3
	buffer_load_dword v0, off, s[0:3], s32 offset:500
	buffer_load_dword v1, off, s[0:3], s32 offset:504
	buffer_load_dword v2, off, s[0:3], s32 offset:508
	buffer_load_dword v3, off, s[0:3], s32 offset:512
	s_waitcnt vmcnt(1)
	v_or_b32_e32 v85, v2, v0
	s_waitcnt vmcnt(0)
	v_or_b32_e32 v84, v3, v1
	s_clause 0x3
	buffer_load_dword v0, off, s[0:3], s32 offset:516
	buffer_load_dword v1, off, s[0:3], s32 offset:520
	buffer_load_dword v2, off, s[0:3], s32 offset:524
	buffer_load_dword v3, off, s[0:3], s32 offset:528
	v_mul_f32_e32 v85, v41, v85
	v_mul_f32_e32 v84, v41, v84
	s_waitcnt vmcnt(1)
	v_or_b32_e32 v101, v0, v2
	s_waitcnt vmcnt(0)
	v_or_b32_e32 v100, v1, v3
	s_clause 0x3
	buffer_load_dword v0, off, s[0:3], s32 offset:468
	buffer_load_dword v1, off, s[0:3], s32 offset:472
	buffer_load_dword v2, off, s[0:3], s32 offset:476
	buffer_load_dword v3, off, s[0:3], s32 offset:480
	s_waitcnt vmcnt(1)
	v_or_b32_e32 v112, v2, v0
	s_waitcnt vmcnt(0)
	v_or_b32_e32 v102, v3, v1
	s_clause 0x3
	buffer_load_dword v0, off, s[0:3], s32 offset:484
	buffer_load_dword v1, off, s[0:3], s32 offset:488
	;; [unrolled: 20-line block ×9, first 2 shown]
	buffer_load_dword v90, off, s[0:3], s32 offset:268
	buffer_load_dword v91, off, s[0:3], s32 offset:272
	;; [unrolled: 1-line block ×4, first 2 shown]
	v_mul_f32_e32 v0, v41, v0
	v_mul_f32_e32 v1, v41, v1
	s_waitcnt vmcnt(3)
	v_or_b32_e32 v2, v2, v90
	s_waitcnt vmcnt(2)
	v_or_b32_e32 v3, v3, v91
	;; [unrolled: 2-line block ×3, first 2 shown]
	v_or_b32_e32 v91, v94, v92
	s_clause 0x7
	buffer_load_dword v93, off, s[0:3], s32 offset:228
	buffer_load_dword v94, off, s[0:3], s32 offset:232
	;; [unrolled: 1-line block ×8, first 2 shown]
	v_mul_f32_e32 v2, v41, v2
	v_mul_f32_e32 v90, v41, v90
	;; [unrolled: 1-line block ×4, first 2 shown]
	s_waitcnt vmcnt(3)
	v_mul_f32_e32 v0, v107, v0
	v_or_b32_e32 v93, v93, v104
	v_or_b32_e32 v92, v94, v105
	s_clause 0x3
	buffer_load_dword v104, off, s[0:3], s32 offset:604
	buffer_load_dword v105, off, s[0:3], s32 offset:608
	;; [unrolled: 1-line block ×4, first 2 shown]
	s_waitcnt vmcnt(6)
	v_mul_f32_e32 v1, v108, v1
	s_waitcnt vmcnt(5)
	v_mul_f32_e32 v2, v109, v2
	;; [unrolled: 2-line block ×3, first 2 shown]
	s_waitcnt vmcnt(3)
	v_fmac_f32_e32 v0, v104, v91
	s_waitcnt vmcnt(2)
	v_fmac_f32_e32 v1, v105, v90
	v_mul_f32_e32 v90, v41, v93
	s_waitcnt vmcnt(1)
	v_fmac_f32_e32 v2, v106, v90
	v_mul_f32_e32 v90, v41, v92
	s_waitcnt vmcnt(0)
	v_fmac_f32_e32 v3, v107, v90
	s_clause 0x3
	buffer_load_dword v90, off, s[0:3], s32 offset:636
	buffer_load_dword v91, off, s[0:3], s32 offset:640
	buffer_load_dword v92, off, s[0:3], s32 offset:644
	buffer_load_dword v93, off, s[0:3], s32 offset:648
	s_waitcnt vmcnt(3)
	v_fmac_f32_e32 v0, v90, v79
	s_waitcnt vmcnt(2)
	v_fmac_f32_e32 v1, v91, v78
	v_mul_f32_e32 v78, v41, v89
	s_waitcnt vmcnt(1)
	v_fmac_f32_e32 v2, v92, v78
	v_mul_f32_e32 v78, v41, v88
	s_clause 0x3
	buffer_load_dword v88, off, s[0:3], s32 offset:652
	buffer_load_dword v89, off, s[0:3], s32 offset:656
	buffer_load_dword v90, off, s[0:3], s32 offset:660
	buffer_load_dword v91, off, s[0:3], s32 offset:664
	s_waitcnt vmcnt(4)
	v_fmac_f32_e32 v3, v93, v78
	s_waitcnt vmcnt(3)
	v_fmac_f32_e32 v0, v88, v75
	s_waitcnt vmcnt(2)
	v_fmac_f32_e32 v1, v89, v74
	v_mul_f32_e32 v74, v41, v77
	s_waitcnt vmcnt(1)
	v_fmac_f32_e32 v2, v90, v74
	v_mul_f32_e32 v74, v41, v76
	s_waitcnt vmcnt(0)
	v_fmac_f32_e32 v3, v91, v74
	s_clause 0x3
	buffer_load_dword v74, off, s[0:3], s32 offset:668
	buffer_load_dword v75, off, s[0:3], s32 offset:672
	buffer_load_dword v76, off, s[0:3], s32 offset:676
	buffer_load_dword v77, off, s[0:3], s32 offset:680
	s_waitcnt vmcnt(3)
	v_fmac_f32_e32 v0, v74, v63
	s_waitcnt vmcnt(2)
	v_fmac_f32_e32 v1, v75, v62
	v_mul_f32_e32 v62, v41, v73
	s_waitcnt vmcnt(1)
	v_fmac_f32_e32 v2, v76, v62
	v_mul_f32_e32 v62, v41, v72
	s_clause 0x3
	buffer_load_dword v72, off, s[0:3], s32 offset:684
	buffer_load_dword v73, off, s[0:3], s32 offset:688
	buffer_load_dword v74, off, s[0:3], s32 offset:692
	buffer_load_dword v75, off, s[0:3], s32 offset:696
	s_waitcnt vmcnt(4)
	v_fmac_f32_e32 v3, v77, v62
	;; [unrolled: 30-line block ×4, first 2 shown]
	s_waitcnt vmcnt(3)
	v_fmac_f32_e32 v0, v112, v85
	s_waitcnt vmcnt(2)
	v_fmac_f32_e32 v1, v113, v84
	v_mul_f32_e32 v84, v41, v101
	s_waitcnt vmcnt(1)
	v_fmac_f32_e32 v2, v114, v84
	v_mul_f32_e32 v84, v41, v100
	s_waitcnt vmcnt(0)
	v_fmac_f32_e32 v3, v115, v84
	s_clause 0x3
	buffer_load_dword v112, off, s[0:3], s32 offset:768
	buffer_load_dword v113, off, s[0:3], s32 offset:772
	buffer_load_dword v114, off, s[0:3], s32 offset:776
	buffer_load_dword v115, off, s[0:3], s32 offset:780
	s_waitcnt vmcnt(3)
	v_fmac_f32_e32 v0, v112, v69
	s_waitcnt vmcnt(2)
	v_fmac_f32_e32 v1, v113, v68
	v_mul_f32_e32 v68, v41, v83
	s_waitcnt vmcnt(1)
	v_fmac_f32_e32 v2, v114, v68
	v_mul_f32_e32 v68, v41, v71
	s_waitcnt vmcnt(0)
	v_fmac_f32_e32 v3, v115, v68
	s_clause 0x3
	buffer_load_dword v112, off, s[0:3], s32 offset:784
	buffer_load_dword v113, off, s[0:3], s32 offset:788
	buffer_load_dword v114, off, s[0:3], s32 offset:792
	buffer_load_dword v115, off, s[0:3], s32 offset:796
	s_waitcnt vmcnt(3)
	v_fmac_f32_e32 v0, v112, v53
	s_waitcnt vmcnt(2)
	v_fmac_f32_e32 v1, v113, v52
	v_mul_f32_e32 v52, v41, v67
	s_waitcnt vmcnt(1)
	v_fmac_f32_e32 v2, v114, v52
	v_mul_f32_e32 v52, v41, v55
	s_waitcnt vmcnt(0)
	v_fmac_f32_e32 v3, v115, v52
	s_clause 0x3
	buffer_load_dword v112, off, s[0:3], s32 offset:800
	buffer_load_dword v113, off, s[0:3], s32 offset:804
	buffer_load_dword v114, off, s[0:3], s32 offset:808
	buffer_load_dword v115, off, s[0:3], s32 offset:812
	s_waitcnt vmcnt(3)
	v_fmac_f32_e32 v0, v112, v36
	s_waitcnt vmcnt(2)
	v_fmac_f32_e32 v1, v113, v35
	v_mul_f32_e32 v35, v41, v51
	s_waitcnt vmcnt(1)
	v_fmac_f32_e32 v2, v114, v35
	v_mul_f32_e32 v35, v41, v38
	s_waitcnt vmcnt(0)
	v_fmac_f32_e32 v3, v115, v35
	s_clause 0x3
	buffer_load_dword v112, off, s[0:3], s32 offset:816
	buffer_load_dword v113, off, s[0:3], s32 offset:820
	buffer_load_dword v114, off, s[0:3], s32 offset:824
	buffer_load_dword v115, off, s[0:3], s32 offset:828
	s_waitcnt vmcnt(3)
	v_fmac_f32_e32 v0, v112, v27
	s_waitcnt vmcnt(2)
	v_fmac_f32_e32 v1, v113, v22
	v_mul_f32_e32 v22, v41, v34
	s_waitcnt vmcnt(1)
	v_fmac_f32_e32 v2, v114, v22
	v_mul_f32_e32 v22, v41, v28
	s_waitcnt vmcnt(0)
	v_fmac_f32_e32 v3, v115, v22
	s_clause 0x3
	buffer_load_dword v112, off, s[0:3], s32 offset:832
	buffer_load_dword v113, off, s[0:3], s32 offset:836
	buffer_load_dword v114, off, s[0:3], s32 offset:840
	buffer_load_dword v115, off, s[0:3], s32 offset:844
	s_waitcnt vmcnt(3)
	v_fmac_f32_e32 v0, v112, v10
	v_mul_f32_e32 v10, v41, v11
	s_waitcnt vmcnt(2)
	v_fmac_f32_e32 v1, v113, v10
	v_mul_f32_e32 v10, v41, v20
	;; [unrolled: 3-line block ×4, first 2 shown]
	s_clause 0x3
	buffer_load_dword v19, off, s[0:3], s32 offset:848
	buffer_load_dword v20, off, s[0:3], s32 offset:852
	;; [unrolled: 1-line block ×4, first 2 shown]
	s_waitcnt vmcnt(3)
	v_fmac_f32_e32 v0, v19, v10
	v_mul_f32_e32 v10, v41, v17
	s_waitcnt vmcnt(1)
	v_fmac_f32_e32 v2, v21, v7
	v_mul_f32_e32 v7, v41, v8
	v_mul_f32_e32 v8, v41, v87
	v_fmac_f32_e32 v1, v20, v10
	s_waitcnt vmcnt(0)
	v_fmac_f32_e32 v3, v22, v7
	s_clause 0x3
	buffer_load_dword v19, off, s[0:3], s32 offset:864
	buffer_load_dword v20, off, s[0:3], s32 offset:868
	;; [unrolled: 1-line block ×4, first 2 shown]
	v_mul_f32_e32 v7, v41, v30
	s_waitcnt vmcnt(3)
	v_fmac_f32_e32 v0, v19, v7
	v_mul_f32_e32 v7, v41, v15
	s_waitcnt vmcnt(2)
	v_fmac_f32_e32 v1, v20, v7
	;; [unrolled: 3-line block ×3, first 2 shown]
	v_mul_f32_e32 v7, v41, v14
	s_clause 0x3
	buffer_load_dword v14, off, s[0:3], s32 offset:880
	buffer_load_dword v15, off, s[0:3], s32 offset:884
	;; [unrolled: 1-line block ×4, first 2 shown]
	s_waitcnt vmcnt(4)
	v_fmac_f32_e32 v3, v22, v7
	v_mul_f32_e32 v7, v41, v33
	s_waitcnt vmcnt(3)
	v_fmac_f32_e32 v0, v14, v7
	v_mul_f32_e32 v7, v41, v13
	v_mul_f32_e32 v14, v41, v118
	s_waitcnt vmcnt(2)
	v_fmac_f32_e32 v1, v15, v7
	v_mul_f32_e32 v7, v41, v29
	v_mul_f32_e32 v15, v41, v39
	s_waitcnt vmcnt(1)
	v_fmac_f32_e32 v2, v16, v7
	v_mul_f32_e32 v7, v41, v12
	s_clause 0x3
	buffer_load_dword v10, off, s[0:3], s32 offset:896
	buffer_load_dword v11, off, s[0:3], s32 offset:900
	;; [unrolled: 1-line block ×4, first 2 shown]
	v_mul_f32_e32 v16, v41, v80
	s_waitcnt vmcnt(4)
	v_fmac_f32_e32 v3, v17, v7
	v_mul_f32_e32 v7, v41, v50
	v_mul_f32_e32 v17, v41, v64
	s_waitcnt vmcnt(3)
	v_fmac_f32_e32 v0, v10, v7
	v_mul_f32_e32 v7, v41, v32
	s_waitcnt vmcnt(2)
	v_fmac_f32_e32 v1, v11, v7
	;; [unrolled: 3-line block ×4, first 2 shown]
	s_clause 0xb
	buffer_load_dword v10, off, s[0:3], s32 offset:912
	buffer_load_dword v11, off, s[0:3], s32 offset:916
	;; [unrolled: 1-line block ×12, first 2 shown]
	v_mul_f32_e32 v7, v41, v66
	s_waitcnt vmcnt(11)
	v_fmac_f32_e32 v0, v10, v7
	v_mul_f32_e32 v7, v41, v49
	v_mul_f32_e32 v10, v41, v98
	s_waitcnt vmcnt(10)
	v_fmac_f32_e32 v1, v11, v7
	v_mul_f32_e32 v7, v41, v54
	;; [unrolled: 4-line block ×4, first 2 shown]
	v_mul_f32_e32 v13, v41, v81
	s_waitcnt vmcnt(4)
	v_fmac_f32_e32 v3, v22, v17
	v_fmac_f32_e32 v0, v19, v7
	v_mul_f32_e32 v7, v41, v65
	v_mul_f32_e32 v19, v41, v99
	s_waitcnt vmcnt(0)
	v_fmac_f32_e32 v3, v30, v13
	v_fmac_f32_e32 v0, v27, v10
	;; [unrolled: 1-line block ×3, first 2 shown]
	v_mul_f32_e32 v7, v41, v70
	buffer_load_dword v10, off, s[0:3], s32 offset:700 ; 4-byte Folded Reload
	v_fmac_f32_e32 v1, v28, v19
	v_fmac_f32_e32 v2, v21, v7
	s_clause 0x3
	buffer_load_dword v19, off, s[0:3], s32 offset:960
	buffer_load_dword v20, off, s[0:3], s32 offset:964
	;; [unrolled: 1-line block ×4, first 2 shown]
	v_mul_f32_e32 v7, v41, v86
	v_fmac_f32_e32 v2, v29, v16
	s_clause 0x3
	buffer_load_dword v27, off, s[0:3], s32 offset:976
	buffer_load_dword v28, off, s[0:3], s32 offset:980
	;; [unrolled: 1-line block ×4, first 2 shown]
	s_load_dword s18, s[8:9], 0x0
	s_waitcnt vmcnt(8)
	v_add_nc_u32_e32 v10, v10, v6
	s_waitcnt vmcnt(7)
	v_fmac_f32_e32 v0, v19, v15
	s_waitcnt vmcnt(6)
	v_fmac_f32_e32 v1, v20, v12
	;; [unrolled: 2-line block ×4, first 2 shown]
	v_cvt_f32_i32_e32 v8, v10
	s_waitcnt vmcnt(3)
	v_fmac_f32_e32 v0, v27, v14
	s_waitcnt vmcnt(2)
	v_fmac_f32_e32 v1, v28, v11
	;; [unrolled: 2-line block ×4, first 2 shown]
	v_mov_b32_e32 v15, v9
	v_add_f32_e32 v0, v0, v1
	buffer_load_dword v1, off, s[0:3], s32 offset:576 ; 4-byte Folded Reload
	v_add_f32_e32 v0, v2, v0
	v_add_f32_e32 v0, v3, v0
	s_clause 0x1
	buffer_load_dword v3, off, s[0:3], s32 offset:992
	buffer_load_dword v2, off, s[0:3], s32 offset:568
	s_waitcnt vmcnt(2)
	v_mul_f32_e32 v1, v1, v8
	v_cndmask_b32_e32 v1, 0, v1, vcc_lo
	s_waitcnt vmcnt(1)
	v_fmac_f32_e32 v1, v3, v0
	s_waitcnt vmcnt(0)
	v_add_nc_u32_e32 v2, v2, v6
	v_max_f32_e32 v0, v15, v15
	v_cmp_lt_i32_e64 s5, v2, v47
	v_max_f32_e32 v0, v0, v1
	s_waitcnt lgkmcnt(0)
	v_add_nc_u32_e32 v2, s18, v26
	v_cndmask_b32_e64 v1, 0, v1, s5
	v_cndmask_b32_e64 v15, v15, v0, s5
	ds_write_b32 v2, v1
.LBB206_14:                             ;   in Loop: Header=BB206_15 Depth=1
	s_or_b32 exec_lo, exec_lo, s6
	buffer_load_dword v0, off, s[0:3], s32 offset:192 ; 4-byte Folded Reload
	v_add_nc_u32_e32 v46, 4, v46
	v_add_co_u32 v124, s5, v124, 16
	v_add_co_ci_u32_e64 v125, null, 0, v125, s5
	v_add_nc_u32_e32 v6, 0x80, v6
	v_add_nc_u32_e32 v26, 0x200, v26
	s_waitcnt vmcnt(0)
	v_cmp_ge_i32_e64 s5, v46, v0
	s_or_b32 s17, s5, s17
	s_andn2_b32 exec_lo, exec_lo, s17
	s_cbranch_execz .LBB206_783
.LBB206_15:                             ; =>This Inner Loop Header: Depth=1
	s_clause 0x1
	buffer_load_dword v0, off, s[0:3], s32 offset:212
	buffer_load_dword v4, off, s[0:3], s32 offset:208
	s_waitcnt vmcnt(1)
	v_mul_hi_u32 v0, v6, v0
	s_waitcnt vmcnt(0)
	v_mul_lo_u32 v1, v0, v4
	v_add_nc_u32_e32 v2, 1, v0
	v_sub_nc_u32_e32 v1, v6, v1
	v_sub_nc_u32_e32 v3, v1, v4
	v_cmp_ge_u32_e64 s5, v1, v4
	v_cndmask_b32_e64 v1, v1, v3, s5
	v_cndmask_b32_e64 v0, v0, v2, s5
	v_cmp_ge_u32_e64 s5, v1, v4
	buffer_load_dword v1, off, s[0:3], s32 offset:204 ; 4-byte Folded Reload
	v_add_nc_u32_e32 v2, 1, v0
	v_cndmask_b32_e64 v0, v0, v2, s5
	s_waitcnt vmcnt(0)
	v_xor_b32_e32 v0, v0, v1
	v_sub_nc_u32_e32 v0, v0, v1
	s_clause 0x3
	buffer_load_dword v1, off, s[0:3], s32 offset:196
	buffer_load_dword v2, off, s[0:3], s32 offset:200
	buffer_load_dword v3, off, s[0:3], s32 offset:564
	buffer_load_dword v4, off, s[0:3], s32 offset:560
	s_waitcnt vmcnt(3)
	v_add_nc_u32_e32 v1, v0, v1
	s_waitcnt vmcnt(2)
	v_sub_nc_u32_e32 v2, 0, v1
	v_max_i32_e32 v2, v1, v2
	v_ashrrev_i32_e32 v1, 31, v1
	s_waitcnt vmcnt(1)
	v_mul_hi_u32 v3, v2, v3
	s_waitcnt vmcnt(0)
	v_mul_lo_u32 v3, v3, v4
	v_sub_nc_u32_e32 v2, v2, v3
	v_sub_nc_u32_e32 v3, v2, v4
	v_cmp_ge_u32_e64 s5, v2, v4
	v_cndmask_b32_e64 v2, v2, v3, s5
	v_sub_nc_u32_e32 v3, v2, v4
	v_cmp_ge_u32_e64 s5, v2, v4
	v_cndmask_b32_e64 v2, v2, v3, s5
	v_xor_b32_e32 v2, v2, v1
	v_sub_nc_u32_e32 v1, v2, v1
	v_cmp_ne_u32_e64 s5, 0, v1
	buffer_load_dword v1, off, s[0:3], s32 offset:216 ; 4-byte Folded Reload
	s_waitcnt vmcnt(0)
	v_cmp_le_i32_e64 s6, v0, v1
	s_and_b32 s5, s5, s6
	s_and_saveexec_b32 s6, s5
	s_xor_b32 s5, exec_lo, s6
; %bb.16:                               ;   in Loop: Header=BB206_15 Depth=1
	v_add_nc_u32_e32 v0, s15, v26
	v_mov_b32_e32 v1, 0xff7fffff
	ds_write_b32 v0, v1
; %bb.17:                               ;   in Loop: Header=BB206_15 Depth=1
	s_andn2_saveexec_b32 s6, s5
	s_cbranch_execz .LBB206_14
; %bb.18:                               ;   in Loop: Header=BB206_15 Depth=1
	flat_load_dword v0, v[124:125]
	s_clause 0x2
	buffer_load_dword v1, off, s[0:3], s32 offset:556
	buffer_load_dword v2, off, s[0:3], s32 offset:596
	;; [unrolled: 1-line block ×3, first 2 shown]
	v_mov_b32_e32 v92, 0
	v_mov_b32_e32 v9, v15
	;; [unrolled: 1-line block ×3, first 2 shown]
	s_waitcnt vmcnt(0) lgkmcnt(0)
	v_mad_i64_i32 v[112:113], null, v0, v1, v[2:3]
	flat_load_dword v0, v[112:113]
	s_clause 0x1
	buffer_load_dword v1, off, s[0:3], s32 offset:588
	buffer_load_dword v2, off, s[0:3], s32 offset:592
	s_waitcnt vmcnt(2) lgkmcnt(0)
	v_cmp_ne_u16_sdwa s5, v0, v25 src0_sel:BYTE_0 src1_sel:DWORD
	s_waitcnt vmcnt(0)
	flat_load_dword v41, v[1:2]
	v_mov_b32_e32 v1, 0
	v_mov_b32_e32 v2, 0
	buffer_store_dword v1, off, s[0:3], s32 offset:220 ; 4-byte Folded Spill
	buffer_store_dword v2, off, s[0:3], s32 offset:224 ; 4-byte Folded Spill
	s_and_saveexec_b32 s18, s5
	s_cbranch_execz .LBB206_26
; %bb.19:                               ;   in Loop: Header=BB206_15 Depth=1
	v_bfrev_b32_e32 v92, 1
	v_mov_b32_e32 v93, 0
	v_cmp_ne_u16_sdwa s5, v0, v18 src0_sel:BYTE_0 src1_sel:DWORD
	s_and_saveexec_b32 s19, s5
	s_cbranch_execz .LBB206_25
; %bb.20:                               ;   in Loop: Header=BB206_15 Depth=1
	v_mov_b32_e32 v92, 0x7f800001
	v_and_b32_e32 v2, 0x7f, v0
	v_mov_b32_e32 v93, 0
	s_mov_b32 s20, exec_lo
	v_cmpx_ne_u32_e32 0x7f, v2
	s_cbranch_execz .LBB206_24
; %bb.21:                               ;   in Loop: Header=BB206_15 Depth=1
	v_and_b32_e32 v24, 7, v0
	v_lshrrev_b32_e32 v1, 3, v2
	s_mov_b32 s21, exec_lo
	v_cmpx_gt_u32_e32 8, v2
; %bb.22:                               ;   in Loop: Header=BB206_15 Depth=1
	v_ffbh_u32_e32 v1, v24
	v_min_u32_e32 v1, 32, v1
	v_subrev_nc_u32_e32 v2, 28, v1
	v_sub_nc_u32_e32 v1, 29, v1
	v_lshlrev_b64 v[2:3], v2, v[24:25]
	v_and_b32_e32 v24, 7, v2
; %bb.23:                               ;   in Loop: Header=BB206_15 Depth=1
	s_or_b32 exec_lo, exec_lo, s21
	v_lshlrev_b32_e32 v2, 24, v0
	v_lshlrev_b32_e32 v3, 20, v24
	v_lshl_add_u32 v1, v1, 23, 0x3c000000
	v_and_b32_e32 v2, 0x80000000, v2
	v_or3_b32 v24, v3, v2, v1
	v_mov_b32_e32 v93, v25
	v_mov_b32_e32 v92, v24
.LBB206_24:                             ;   in Loop: Header=BB206_15 Depth=1
	s_or_b32 exec_lo, exec_lo, s20
.LBB206_25:                             ;   in Loop: Header=BB206_15 Depth=1
	s_or_b32 exec_lo, exec_lo, s19
.LBB206_26:                             ;   in Loop: Header=BB206_15 Depth=1
	s_or_b32 exec_lo, exec_lo, s18
	v_cmp_ne_u16_sdwa s5, v0, v25 src0_sel:BYTE_1 src1_sel:DWORD
	s_and_saveexec_b32 s18, s5
	s_cbranch_execz .LBB206_34
; %bb.27:                               ;   in Loop: Header=BB206_15 Depth=1
	v_mov_b32_e32 v39, v25
	v_cmp_ne_u16_sdwa s5, v0, v18 src0_sel:BYTE_1 src1_sel:DWORD
	buffer_store_dword v39, off, s[0:3], s32 offset:220 ; 4-byte Folded Spill
	buffer_store_dword v40, off, s[0:3], s32 offset:224 ; 4-byte Folded Spill
	s_and_saveexec_b32 s19, s5
	s_cbranch_execz .LBB206_33
; %bb.28:                               ;   in Loop: Header=BB206_15 Depth=1
	v_mov_b32_e32 v1, 0xffff
	v_mov_b32_e32 v102, v25
	s_mov_b32 s20, exec_lo
	buffer_store_dword v102, off, s[0:3], s32 offset:220 ; 4-byte Folded Spill
	buffer_store_dword v103, off, s[0:3], s32 offset:224 ; 4-byte Folded Spill
	v_and_b32_sdwa v1, v1, v0 dst_sel:DWORD dst_unused:UNUSED_PAD src0_sel:DWORD src1_sel:BYTE_1
	v_and_b32_e32 v2, 0x7f, v1
	v_cmpx_ne_u32_e32 0x7f, v2
	s_cbranch_execz .LBB206_32
; %bb.29:                               ;   in Loop: Header=BB206_15 Depth=1
	v_and_b32_e32 v24, 7, v1
	v_lshrrev_b32_e32 v1, 3, v2
	s_mov_b32 s21, exec_lo
	v_cmpx_gt_u32_e32 8, v2
; %bb.30:                               ;   in Loop: Header=BB206_15 Depth=1
	v_ffbh_u32_e32 v1, v24
	v_min_u32_e32 v1, 32, v1
	v_subrev_nc_u32_e32 v2, 28, v1
	v_sub_nc_u32_e32 v1, 29, v1
	v_lshlrev_b64 v[2:3], v2, v[24:25]
	v_and_b32_e32 v24, 7, v2
; %bb.31:                               ;   in Loop: Header=BB206_15 Depth=1
	s_or_b32 exec_lo, exec_lo, s21
	v_lshlrev_b32_e32 v2, 16, v0
	v_lshlrev_b32_e32 v3, 20, v24
	v_lshl_add_u32 v1, v1, 23, 0x3c000000
	v_and_b32_e32 v2, 0x80000000, v2
	v_or3_b32 v2, v3, v2, v1
	v_mov_b32_e32 v1, v25
	buffer_store_dword v1, off, s[0:3], s32 offset:220 ; 4-byte Folded Spill
	buffer_store_dword v2, off, s[0:3], s32 offset:224 ; 4-byte Folded Spill
.LBB206_32:                             ;   in Loop: Header=BB206_15 Depth=1
	s_or_b32 exec_lo, exec_lo, s20
.LBB206_33:                             ;   in Loop: Header=BB206_15 Depth=1
	s_or_b32 exec_lo, exec_lo, s19
.LBB206_34:                             ;   in Loop: Header=BB206_15 Depth=1
	s_or_b32 exec_lo, exec_lo, s18
	v_mov_b32_e32 v2, 0
	v_mov_b32_e32 v3, 0
	v_and_b32_sdwa v1, v0, v45 dst_sel:DWORD dst_unused:UNUSED_PAD src0_sel:WORD_1 src1_sel:DWORD
	s_mov_b32 s18, exec_lo
	buffer_store_dword v2, off, s[0:3], s32 offset:228 ; 4-byte Folded Spill
	buffer_store_dword v3, off, s[0:3], s32 offset:232 ; 4-byte Folded Spill
	v_mov_b32_e32 v2, 0
	v_mov_b32_e32 v3, 0
	buffer_store_dword v2, off, s[0:3], s32 offset:236 ; 4-byte Folded Spill
	buffer_store_dword v3, off, s[0:3], s32 offset:240 ; 4-byte Folded Spill
	v_cmpx_ne_u16_e32 0, v1
	s_cbranch_execz .LBB206_42
; %bb.35:                               ;   in Loop: Header=BB206_15 Depth=1
	v_cmp_ne_u16_e64 s5, 0x80, v1
	v_bfrev_b32_e32 v1, 1
	v_mov_b32_e32 v2, 0
	buffer_store_dword v1, off, s[0:3], s32 offset:236 ; 4-byte Folded Spill
	buffer_store_dword v2, off, s[0:3], s32 offset:240 ; 4-byte Folded Spill
	s_and_saveexec_b32 s19, s5
	s_cbranch_execz .LBB206_41
; %bb.36:                               ;   in Loop: Header=BB206_15 Depth=1
	v_mov_b32_e32 v3, 0x7f800001
	v_bfe_u32 v2, v0, 16, 7
	v_mov_b32_e32 v4, 0
	s_mov_b32 s20, exec_lo
	buffer_store_dword v3, off, s[0:3], s32 offset:236 ; 4-byte Folded Spill
	buffer_store_dword v4, off, s[0:3], s32 offset:240 ; 4-byte Folded Spill
	v_cmpx_ne_u32_e32 0x7f, v2
	s_cbranch_execz .LBB206_40
; %bb.37:                               ;   in Loop: Header=BB206_15 Depth=1
	v_mov_b32_e32 v1, 7
	s_mov_b32 s21, exec_lo
	v_and_b32_sdwa v24, v0, v1 dst_sel:DWORD dst_unused:UNUSED_PAD src0_sel:WORD_1 src1_sel:DWORD
	v_lshrrev_b32_e32 v1, 3, v2
	v_cmpx_gt_u32_e32 8, v2
; %bb.38:                               ;   in Loop: Header=BB206_15 Depth=1
	v_ffbh_u32_e32 v1, v24
	v_min_u32_e32 v1, 32, v1
	v_subrev_nc_u32_e32 v2, 28, v1
	v_sub_nc_u32_e32 v1, 29, v1
	v_lshlrev_b64 v[2:3], v2, v[24:25]
	v_and_b32_e32 v24, 7, v2
; %bb.39:                               ;   in Loop: Header=BB206_15 Depth=1
	s_or_b32 exec_lo, exec_lo, s21
	v_mov_b32_e32 v2, 24
	v_lshlrev_b32_e32 v3, 20, v24
	v_lshl_add_u32 v1, v1, 23, 0x3c000000
	v_lshlrev_b32_sdwa v2, v2, v0 dst_sel:DWORD dst_unused:UNUSED_PAD src0_sel:DWORD src1_sel:WORD_1
	v_and_b32_e32 v2, 0x80000000, v2
	v_or3_b32 v24, v3, v2, v1
	buffer_store_dword v24, off, s[0:3], s32 offset:236 ; 4-byte Folded Spill
	buffer_store_dword v25, off, s[0:3], s32 offset:240 ; 4-byte Folded Spill
.LBB206_40:                             ;   in Loop: Header=BB206_15 Depth=1
	s_or_b32 exec_lo, exec_lo, s20
.LBB206_41:                             ;   in Loop: Header=BB206_15 Depth=1
	s_or_b32 exec_lo, exec_lo, s19
.LBB206_42:                             ;   in Loop: Header=BB206_15 Depth=1
	s_or_b32 exec_lo, exec_lo, s18
	s_mov_b32 s18, exec_lo
	v_cmpx_lt_u32_e32 0xffffff, v0
	s_cbranch_execz .LBB206_50
; %bb.43:                               ;   in Loop: Header=BB206_15 Depth=1
	v_mov_b32_e32 v39, v25
	v_cmp_ne_u32_sdwa s5, v0, v18 src0_sel:BYTE_3 src1_sel:DWORD
	buffer_store_dword v39, off, s[0:3], s32 offset:228 ; 4-byte Folded Spill
	buffer_store_dword v40, off, s[0:3], s32 offset:232 ; 4-byte Folded Spill
	s_and_saveexec_b32 s19, s5
	s_cbranch_execz .LBB206_49
; %bb.44:                               ;   in Loop: Header=BB206_15 Depth=1
	v_bfe_u32 v2, v0, 24, 7
	v_mov_b32_e32 v102, v25
	s_mov_b32 s20, exec_lo
	buffer_store_dword v102, off, s[0:3], s32 offset:228 ; 4-byte Folded Spill
	buffer_store_dword v103, off, s[0:3], s32 offset:232 ; 4-byte Folded Spill
	v_cmpx_ne_u32_e32 0x7f, v2
	s_cbranch_execz .LBB206_48
; %bb.45:                               ;   in Loop: Header=BB206_15 Depth=1
	v_mov_b32_e32 v1, 7
	s_mov_b32 s21, exec_lo
	v_and_b32_sdwa v24, v0, v1 dst_sel:DWORD dst_unused:UNUSED_PAD src0_sel:BYTE_3 src1_sel:DWORD
	v_lshrrev_b32_e32 v1, 3, v2
	v_cmpx_gt_u32_e32 8, v2
; %bb.46:                               ;   in Loop: Header=BB206_15 Depth=1
	v_ffbh_u32_e32 v1, v24
	v_min_u32_e32 v1, 32, v1
	v_subrev_nc_u32_e32 v2, 28, v1
	v_sub_nc_u32_e32 v1, 29, v1
	v_lshlrev_b64 v[2:3], v2, v[24:25]
	v_and_b32_e32 v24, 7, v2
; %bb.47:                               ;   in Loop: Header=BB206_15 Depth=1
	s_or_b32 exec_lo, exec_lo, s21
	v_mov_b32_e32 v2, 24
	v_lshl_add_u32 v1, v1, 23, 0x3c000000
	v_lshlrev_b32_sdwa v0, v2, v0 dst_sel:DWORD dst_unused:UNUSED_PAD src0_sel:DWORD src1_sel:BYTE_3
	v_lshlrev_b32_e32 v2, 20, v24
	v_and_b32_e32 v0, 0x80000000, v0
	v_or3_b32 v1, v2, v0, v1
	v_mov_b32_e32 v0, v25
	buffer_store_dword v0, off, s[0:3], s32 offset:228 ; 4-byte Folded Spill
	buffer_store_dword v1, off, s[0:3], s32 offset:232 ; 4-byte Folded Spill
.LBB206_48:                             ;   in Loop: Header=BB206_15 Depth=1
	s_or_b32 exec_lo, exec_lo, s20
.LBB206_49:                             ;   in Loop: Header=BB206_15 Depth=1
	s_or_b32 exec_lo, exec_lo, s19
.LBB206_50:                             ;   in Loop: Header=BB206_15 Depth=1
	s_or_b32 exec_lo, exec_lo, s18
	flat_load_dword v0, v[112:113] offset:4
	v_mov_b32_e32 v1, 0
	v_mov_b32_e32 v2, 0
	buffer_store_dword v1, off, s[0:3], s32 offset:252 ; 4-byte Folded Spill
	buffer_store_dword v2, off, s[0:3], s32 offset:256 ; 4-byte Folded Spill
	v_mov_b32_e32 v1, 0
	v_mov_b32_e32 v2, 0
	buffer_store_dword v1, off, s[0:3], s32 offset:244 ; 4-byte Folded Spill
	buffer_store_dword v2, off, s[0:3], s32 offset:248 ; 4-byte Folded Spill
	s_waitcnt vmcnt(0) lgkmcnt(0)
	v_cmp_ne_u16_sdwa s5, v0, v25 src0_sel:BYTE_0 src1_sel:DWORD
	s_and_saveexec_b32 s18, s5
	s_cbranch_execz .LBB206_58
; %bb.51:                               ;   in Loop: Header=BB206_15 Depth=1
	v_bfrev_b32_e32 v1, 1
	v_mov_b32_e32 v2, 0
	v_cmp_ne_u16_sdwa s5, v0, v18 src0_sel:BYTE_0 src1_sel:DWORD
	buffer_store_dword v1, off, s[0:3], s32 offset:244 ; 4-byte Folded Spill
	buffer_store_dword v2, off, s[0:3], s32 offset:248 ; 4-byte Folded Spill
	s_and_saveexec_b32 s19, s5
	s_cbranch_execz .LBB206_57
; %bb.52:                               ;   in Loop: Header=BB206_15 Depth=1
	v_mov_b32_e32 v3, 0x7f800001
	v_and_b32_e32 v2, 0x7f, v0
	v_mov_b32_e32 v4, 0
	s_mov_b32 s20, exec_lo
	buffer_store_dword v3, off, s[0:3], s32 offset:244 ; 4-byte Folded Spill
	buffer_store_dword v4, off, s[0:3], s32 offset:248 ; 4-byte Folded Spill
	v_cmpx_ne_u32_e32 0x7f, v2
	s_cbranch_execz .LBB206_56
; %bb.53:                               ;   in Loop: Header=BB206_15 Depth=1
	v_and_b32_e32 v24, 7, v0
	v_lshrrev_b32_e32 v1, 3, v2
	s_mov_b32 s21, exec_lo
	v_cmpx_gt_u32_e32 8, v2
; %bb.54:                               ;   in Loop: Header=BB206_15 Depth=1
	v_ffbh_u32_e32 v1, v24
	v_min_u32_e32 v1, 32, v1
	v_subrev_nc_u32_e32 v2, 28, v1
	v_sub_nc_u32_e32 v1, 29, v1
	v_lshlrev_b64 v[2:3], v2, v[24:25]
	v_and_b32_e32 v24, 7, v2
; %bb.55:                               ;   in Loop: Header=BB206_15 Depth=1
	s_or_b32 exec_lo, exec_lo, s21
	v_lshlrev_b32_e32 v2, 24, v0
	v_lshlrev_b32_e32 v3, 20, v24
	v_lshl_add_u32 v1, v1, 23, 0x3c000000
	v_and_b32_e32 v2, 0x80000000, v2
	v_or3_b32 v24, v3, v2, v1
	buffer_store_dword v24, off, s[0:3], s32 offset:244 ; 4-byte Folded Spill
	buffer_store_dword v25, off, s[0:3], s32 offset:248 ; 4-byte Folded Spill
.LBB206_56:                             ;   in Loop: Header=BB206_15 Depth=1
	s_or_b32 exec_lo, exec_lo, s20
.LBB206_57:                             ;   in Loop: Header=BB206_15 Depth=1
	s_or_b32 exec_lo, exec_lo, s19
.LBB206_58:                             ;   in Loop: Header=BB206_15 Depth=1
	s_or_b32 exec_lo, exec_lo, s18
	v_cmp_ne_u16_sdwa s5, v0, v25 src0_sel:BYTE_1 src1_sel:DWORD
	s_and_saveexec_b32 s18, s5
	s_cbranch_execz .LBB206_66
; %bb.59:                               ;   in Loop: Header=BB206_15 Depth=1
	v_mov_b32_e32 v39, v25
	v_cmp_ne_u16_sdwa s5, v0, v18 src0_sel:BYTE_1 src1_sel:DWORD
	buffer_store_dword v39, off, s[0:3], s32 offset:252 ; 4-byte Folded Spill
	buffer_store_dword v40, off, s[0:3], s32 offset:256 ; 4-byte Folded Spill
	s_and_saveexec_b32 s19, s5
	s_cbranch_execz .LBB206_65
; %bb.60:                               ;   in Loop: Header=BB206_15 Depth=1
	v_mov_b32_e32 v1, 0xffff
	v_mov_b32_e32 v102, v25
	s_mov_b32 s20, exec_lo
	buffer_store_dword v102, off, s[0:3], s32 offset:252 ; 4-byte Folded Spill
	buffer_store_dword v103, off, s[0:3], s32 offset:256 ; 4-byte Folded Spill
	v_and_b32_sdwa v1, v1, v0 dst_sel:DWORD dst_unused:UNUSED_PAD src0_sel:DWORD src1_sel:BYTE_1
	v_and_b32_e32 v2, 0x7f, v1
	v_cmpx_ne_u32_e32 0x7f, v2
	s_cbranch_execz .LBB206_64
; %bb.61:                               ;   in Loop: Header=BB206_15 Depth=1
	v_and_b32_e32 v24, 7, v1
	v_lshrrev_b32_e32 v1, 3, v2
	s_mov_b32 s21, exec_lo
	v_cmpx_gt_u32_e32 8, v2
; %bb.62:                               ;   in Loop: Header=BB206_15 Depth=1
	v_ffbh_u32_e32 v1, v24
	v_min_u32_e32 v1, 32, v1
	v_subrev_nc_u32_e32 v2, 28, v1
	v_sub_nc_u32_e32 v1, 29, v1
	v_lshlrev_b64 v[2:3], v2, v[24:25]
	v_and_b32_e32 v24, 7, v2
; %bb.63:                               ;   in Loop: Header=BB206_15 Depth=1
	s_or_b32 exec_lo, exec_lo, s21
	v_lshlrev_b32_e32 v2, 16, v0
	v_lshlrev_b32_e32 v3, 20, v24
	v_lshl_add_u32 v1, v1, 23, 0x3c000000
	v_and_b32_e32 v2, 0x80000000, v2
	v_or3_b32 v2, v3, v2, v1
	v_mov_b32_e32 v1, v25
	buffer_store_dword v1, off, s[0:3], s32 offset:252 ; 4-byte Folded Spill
	buffer_store_dword v2, off, s[0:3], s32 offset:256 ; 4-byte Folded Spill
.LBB206_64:                             ;   in Loop: Header=BB206_15 Depth=1
	s_or_b32 exec_lo, exec_lo, s20
.LBB206_65:                             ;   in Loop: Header=BB206_15 Depth=1
	s_or_b32 exec_lo, exec_lo, s19
.LBB206_66:                             ;   in Loop: Header=BB206_15 Depth=1
	s_or_b32 exec_lo, exec_lo, s18
	v_mov_b32_e32 v2, 0
	v_mov_b32_e32 v3, 0
	v_and_b32_sdwa v1, v0, v45 dst_sel:DWORD dst_unused:UNUSED_PAD src0_sel:WORD_1 src1_sel:DWORD
	s_mov_b32 s18, exec_lo
	buffer_store_dword v2, off, s[0:3], s32 offset:260 ; 4-byte Folded Spill
	buffer_store_dword v3, off, s[0:3], s32 offset:264 ; 4-byte Folded Spill
	v_mov_b32_e32 v2, 0
	v_mov_b32_e32 v3, 0
	buffer_store_dword v2, off, s[0:3], s32 offset:268 ; 4-byte Folded Spill
	buffer_store_dword v3, off, s[0:3], s32 offset:272 ; 4-byte Folded Spill
	v_cmpx_ne_u16_e32 0, v1
	s_cbranch_execz .LBB206_74
; %bb.67:                               ;   in Loop: Header=BB206_15 Depth=1
	v_cmp_ne_u16_e64 s5, 0x80, v1
	v_bfrev_b32_e32 v1, 1
	v_mov_b32_e32 v2, 0
	buffer_store_dword v1, off, s[0:3], s32 offset:268 ; 4-byte Folded Spill
	buffer_store_dword v2, off, s[0:3], s32 offset:272 ; 4-byte Folded Spill
	s_and_saveexec_b32 s19, s5
	s_cbranch_execz .LBB206_73
; %bb.68:                               ;   in Loop: Header=BB206_15 Depth=1
	v_mov_b32_e32 v3, 0x7f800001
	v_bfe_u32 v2, v0, 16, 7
	v_mov_b32_e32 v4, 0
	s_mov_b32 s20, exec_lo
	buffer_store_dword v3, off, s[0:3], s32 offset:268 ; 4-byte Folded Spill
	buffer_store_dword v4, off, s[0:3], s32 offset:272 ; 4-byte Folded Spill
	v_cmpx_ne_u32_e32 0x7f, v2
	s_cbranch_execz .LBB206_72
; %bb.69:                               ;   in Loop: Header=BB206_15 Depth=1
	v_mov_b32_e32 v1, 7
	s_mov_b32 s21, exec_lo
	v_and_b32_sdwa v24, v0, v1 dst_sel:DWORD dst_unused:UNUSED_PAD src0_sel:WORD_1 src1_sel:DWORD
	v_lshrrev_b32_e32 v1, 3, v2
	v_cmpx_gt_u32_e32 8, v2
; %bb.70:                               ;   in Loop: Header=BB206_15 Depth=1
	v_ffbh_u32_e32 v1, v24
	v_min_u32_e32 v1, 32, v1
	v_subrev_nc_u32_e32 v2, 28, v1
	v_sub_nc_u32_e32 v1, 29, v1
	v_lshlrev_b64 v[2:3], v2, v[24:25]
	v_and_b32_e32 v24, 7, v2
; %bb.71:                               ;   in Loop: Header=BB206_15 Depth=1
	s_or_b32 exec_lo, exec_lo, s21
	v_mov_b32_e32 v2, 24
	v_lshlrev_b32_e32 v3, 20, v24
	v_lshl_add_u32 v1, v1, 23, 0x3c000000
	v_lshlrev_b32_sdwa v2, v2, v0 dst_sel:DWORD dst_unused:UNUSED_PAD src0_sel:DWORD src1_sel:WORD_1
	v_and_b32_e32 v2, 0x80000000, v2
	v_or3_b32 v24, v3, v2, v1
	buffer_store_dword v24, off, s[0:3], s32 offset:268 ; 4-byte Folded Spill
	buffer_store_dword v25, off, s[0:3], s32 offset:272 ; 4-byte Folded Spill
.LBB206_72:                             ;   in Loop: Header=BB206_15 Depth=1
	s_or_b32 exec_lo, exec_lo, s20
.LBB206_73:                             ;   in Loop: Header=BB206_15 Depth=1
	s_or_b32 exec_lo, exec_lo, s19
.LBB206_74:                             ;   in Loop: Header=BB206_15 Depth=1
	s_or_b32 exec_lo, exec_lo, s18
	s_mov_b32 s18, exec_lo
	v_cmpx_lt_u32_e32 0xffffff, v0
	s_cbranch_execz .LBB206_82
; %bb.75:                               ;   in Loop: Header=BB206_15 Depth=1
	v_mov_b32_e32 v39, v25
	v_cmp_ne_u32_sdwa s5, v0, v18 src0_sel:BYTE_3 src1_sel:DWORD
	buffer_store_dword v39, off, s[0:3], s32 offset:260 ; 4-byte Folded Spill
	buffer_store_dword v40, off, s[0:3], s32 offset:264 ; 4-byte Folded Spill
	s_and_saveexec_b32 s19, s5
	s_cbranch_execz .LBB206_81
; %bb.76:                               ;   in Loop: Header=BB206_15 Depth=1
	v_bfe_u32 v2, v0, 24, 7
	v_mov_b32_e32 v102, v25
	s_mov_b32 s20, exec_lo
	buffer_store_dword v102, off, s[0:3], s32 offset:260 ; 4-byte Folded Spill
	buffer_store_dword v103, off, s[0:3], s32 offset:264 ; 4-byte Folded Spill
	v_cmpx_ne_u32_e32 0x7f, v2
	s_cbranch_execz .LBB206_80
; %bb.77:                               ;   in Loop: Header=BB206_15 Depth=1
	v_mov_b32_e32 v1, 7
	s_mov_b32 s21, exec_lo
	v_and_b32_sdwa v24, v0, v1 dst_sel:DWORD dst_unused:UNUSED_PAD src0_sel:BYTE_3 src1_sel:DWORD
	v_lshrrev_b32_e32 v1, 3, v2
	v_cmpx_gt_u32_e32 8, v2
; %bb.78:                               ;   in Loop: Header=BB206_15 Depth=1
	v_ffbh_u32_e32 v1, v24
	v_min_u32_e32 v1, 32, v1
	v_subrev_nc_u32_e32 v2, 28, v1
	v_sub_nc_u32_e32 v1, 29, v1
	v_lshlrev_b64 v[2:3], v2, v[24:25]
	v_and_b32_e32 v24, 7, v2
; %bb.79:                               ;   in Loop: Header=BB206_15 Depth=1
	s_or_b32 exec_lo, exec_lo, s21
	v_mov_b32_e32 v2, 24
	v_lshl_add_u32 v1, v1, 23, 0x3c000000
	v_lshlrev_b32_sdwa v0, v2, v0 dst_sel:DWORD dst_unused:UNUSED_PAD src0_sel:DWORD src1_sel:BYTE_3
	v_lshlrev_b32_e32 v2, 20, v24
	v_and_b32_e32 v0, 0x80000000, v0
	v_or3_b32 v1, v2, v0, v1
	v_mov_b32_e32 v0, v25
	buffer_store_dword v0, off, s[0:3], s32 offset:260 ; 4-byte Folded Spill
	buffer_store_dword v1, off, s[0:3], s32 offset:264 ; 4-byte Folded Spill
.LBB206_80:                             ;   in Loop: Header=BB206_15 Depth=1
	s_or_b32 exec_lo, exec_lo, s20
.LBB206_81:                             ;   in Loop: Header=BB206_15 Depth=1
	s_or_b32 exec_lo, exec_lo, s19
.LBB206_82:                             ;   in Loop: Header=BB206_15 Depth=1
	s_or_b32 exec_lo, exec_lo, s18
	flat_load_dword v0, v[112:113] offset:8
	v_mov_b32_e32 v1, 0
	v_mov_b32_e32 v2, 0
	buffer_store_dword v1, off, s[0:3], s32 offset:284 ; 4-byte Folded Spill
	buffer_store_dword v2, off, s[0:3], s32 offset:288 ; 4-byte Folded Spill
	v_mov_b32_e32 v1, 0
	v_mov_b32_e32 v2, 0
	buffer_store_dword v1, off, s[0:3], s32 offset:276 ; 4-byte Folded Spill
	buffer_store_dword v2, off, s[0:3], s32 offset:280 ; 4-byte Folded Spill
	s_waitcnt vmcnt(0) lgkmcnt(0)
	v_cmp_ne_u16_sdwa s5, v0, v25 src0_sel:BYTE_0 src1_sel:DWORD
	s_and_saveexec_b32 s18, s5
	s_cbranch_execz .LBB206_90
; %bb.83:                               ;   in Loop: Header=BB206_15 Depth=1
	v_bfrev_b32_e32 v1, 1
	v_mov_b32_e32 v2, 0
	v_cmp_ne_u16_sdwa s5, v0, v18 src0_sel:BYTE_0 src1_sel:DWORD
	buffer_store_dword v1, off, s[0:3], s32 offset:276 ; 4-byte Folded Spill
	buffer_store_dword v2, off, s[0:3], s32 offset:280 ; 4-byte Folded Spill
	s_and_saveexec_b32 s19, s5
	s_cbranch_execz .LBB206_89
; %bb.84:                               ;   in Loop: Header=BB206_15 Depth=1
	v_mov_b32_e32 v3, 0x7f800001
	v_and_b32_e32 v2, 0x7f, v0
	v_mov_b32_e32 v4, 0
	s_mov_b32 s20, exec_lo
	buffer_store_dword v3, off, s[0:3], s32 offset:276 ; 4-byte Folded Spill
	buffer_store_dword v4, off, s[0:3], s32 offset:280 ; 4-byte Folded Spill
	v_cmpx_ne_u32_e32 0x7f, v2
	s_cbranch_execz .LBB206_88
; %bb.85:                               ;   in Loop: Header=BB206_15 Depth=1
	v_and_b32_e32 v24, 7, v0
	v_lshrrev_b32_e32 v1, 3, v2
	s_mov_b32 s21, exec_lo
	v_cmpx_gt_u32_e32 8, v2
; %bb.86:                               ;   in Loop: Header=BB206_15 Depth=1
	v_ffbh_u32_e32 v1, v24
	v_min_u32_e32 v1, 32, v1
	v_subrev_nc_u32_e32 v2, 28, v1
	v_sub_nc_u32_e32 v1, 29, v1
	v_lshlrev_b64 v[2:3], v2, v[24:25]
	v_and_b32_e32 v24, 7, v2
; %bb.87:                               ;   in Loop: Header=BB206_15 Depth=1
	s_or_b32 exec_lo, exec_lo, s21
	v_lshlrev_b32_e32 v2, 24, v0
	v_lshlrev_b32_e32 v3, 20, v24
	v_lshl_add_u32 v1, v1, 23, 0x3c000000
	v_and_b32_e32 v2, 0x80000000, v2
	v_or3_b32 v24, v3, v2, v1
	buffer_store_dword v24, off, s[0:3], s32 offset:276 ; 4-byte Folded Spill
	buffer_store_dword v25, off, s[0:3], s32 offset:280 ; 4-byte Folded Spill
.LBB206_88:                             ;   in Loop: Header=BB206_15 Depth=1
	s_or_b32 exec_lo, exec_lo, s20
.LBB206_89:                             ;   in Loop: Header=BB206_15 Depth=1
	s_or_b32 exec_lo, exec_lo, s19
.LBB206_90:                             ;   in Loop: Header=BB206_15 Depth=1
	s_or_b32 exec_lo, exec_lo, s18
	v_cmp_ne_u16_sdwa s5, v0, v25 src0_sel:BYTE_1 src1_sel:DWORD
	s_and_saveexec_b32 s18, s5
	s_cbranch_execz .LBB206_98
; %bb.91:                               ;   in Loop: Header=BB206_15 Depth=1
	v_mov_b32_e32 v39, v25
	v_cmp_ne_u16_sdwa s5, v0, v18 src0_sel:BYTE_1 src1_sel:DWORD
	buffer_store_dword v39, off, s[0:3], s32 offset:284 ; 4-byte Folded Spill
	buffer_store_dword v40, off, s[0:3], s32 offset:288 ; 4-byte Folded Spill
	s_and_saveexec_b32 s19, s5
	s_cbranch_execz .LBB206_97
; %bb.92:                               ;   in Loop: Header=BB206_15 Depth=1
	v_mov_b32_e32 v1, 0xffff
	v_mov_b32_e32 v102, v25
	s_mov_b32 s20, exec_lo
	buffer_store_dword v102, off, s[0:3], s32 offset:284 ; 4-byte Folded Spill
	buffer_store_dword v103, off, s[0:3], s32 offset:288 ; 4-byte Folded Spill
	v_and_b32_sdwa v1, v1, v0 dst_sel:DWORD dst_unused:UNUSED_PAD src0_sel:DWORD src1_sel:BYTE_1
	v_and_b32_e32 v2, 0x7f, v1
	v_cmpx_ne_u32_e32 0x7f, v2
	s_cbranch_execz .LBB206_96
; %bb.93:                               ;   in Loop: Header=BB206_15 Depth=1
	v_and_b32_e32 v24, 7, v1
	v_lshrrev_b32_e32 v1, 3, v2
	s_mov_b32 s21, exec_lo
	v_cmpx_gt_u32_e32 8, v2
; %bb.94:                               ;   in Loop: Header=BB206_15 Depth=1
	v_ffbh_u32_e32 v1, v24
	v_min_u32_e32 v1, 32, v1
	v_subrev_nc_u32_e32 v2, 28, v1
	v_sub_nc_u32_e32 v1, 29, v1
	v_lshlrev_b64 v[2:3], v2, v[24:25]
	v_and_b32_e32 v24, 7, v2
; %bb.95:                               ;   in Loop: Header=BB206_15 Depth=1
	s_or_b32 exec_lo, exec_lo, s21
	v_lshlrev_b32_e32 v2, 16, v0
	v_lshlrev_b32_e32 v3, 20, v24
	v_lshl_add_u32 v1, v1, 23, 0x3c000000
	v_and_b32_e32 v2, 0x80000000, v2
	v_or3_b32 v2, v3, v2, v1
	v_mov_b32_e32 v1, v25
	buffer_store_dword v1, off, s[0:3], s32 offset:284 ; 4-byte Folded Spill
	buffer_store_dword v2, off, s[0:3], s32 offset:288 ; 4-byte Folded Spill
.LBB206_96:                             ;   in Loop: Header=BB206_15 Depth=1
	s_or_b32 exec_lo, exec_lo, s20
.LBB206_97:                             ;   in Loop: Header=BB206_15 Depth=1
	s_or_b32 exec_lo, exec_lo, s19
.LBB206_98:                             ;   in Loop: Header=BB206_15 Depth=1
	s_or_b32 exec_lo, exec_lo, s18
	v_mov_b32_e32 v2, 0
	v_mov_b32_e32 v3, 0
	v_and_b32_sdwa v1, v0, v45 dst_sel:DWORD dst_unused:UNUSED_PAD src0_sel:WORD_1 src1_sel:DWORD
	s_mov_b32 s18, exec_lo
	buffer_store_dword v2, off, s[0:3], s32 offset:292 ; 4-byte Folded Spill
	buffer_store_dword v3, off, s[0:3], s32 offset:296 ; 4-byte Folded Spill
	v_mov_b32_e32 v2, 0
	v_mov_b32_e32 v3, 0
	buffer_store_dword v2, off, s[0:3], s32 offset:300 ; 4-byte Folded Spill
	buffer_store_dword v3, off, s[0:3], s32 offset:304 ; 4-byte Folded Spill
	v_cmpx_ne_u16_e32 0, v1
	s_cbranch_execz .LBB206_106
; %bb.99:                               ;   in Loop: Header=BB206_15 Depth=1
	v_cmp_ne_u16_e64 s5, 0x80, v1
	v_bfrev_b32_e32 v1, 1
	v_mov_b32_e32 v2, 0
	buffer_store_dword v1, off, s[0:3], s32 offset:300 ; 4-byte Folded Spill
	buffer_store_dword v2, off, s[0:3], s32 offset:304 ; 4-byte Folded Spill
	s_and_saveexec_b32 s19, s5
	s_cbranch_execz .LBB206_105
; %bb.100:                              ;   in Loop: Header=BB206_15 Depth=1
	v_mov_b32_e32 v3, 0x7f800001
	v_bfe_u32 v2, v0, 16, 7
	v_mov_b32_e32 v4, 0
	s_mov_b32 s20, exec_lo
	buffer_store_dword v3, off, s[0:3], s32 offset:300 ; 4-byte Folded Spill
	buffer_store_dword v4, off, s[0:3], s32 offset:304 ; 4-byte Folded Spill
	v_cmpx_ne_u32_e32 0x7f, v2
	s_cbranch_execz .LBB206_104
; %bb.101:                              ;   in Loop: Header=BB206_15 Depth=1
	v_mov_b32_e32 v1, 7
	s_mov_b32 s21, exec_lo
	v_and_b32_sdwa v24, v0, v1 dst_sel:DWORD dst_unused:UNUSED_PAD src0_sel:WORD_1 src1_sel:DWORD
	v_lshrrev_b32_e32 v1, 3, v2
	v_cmpx_gt_u32_e32 8, v2
; %bb.102:                              ;   in Loop: Header=BB206_15 Depth=1
	v_ffbh_u32_e32 v1, v24
	v_min_u32_e32 v1, 32, v1
	v_subrev_nc_u32_e32 v2, 28, v1
	v_sub_nc_u32_e32 v1, 29, v1
	v_lshlrev_b64 v[2:3], v2, v[24:25]
	v_and_b32_e32 v24, 7, v2
; %bb.103:                              ;   in Loop: Header=BB206_15 Depth=1
	s_or_b32 exec_lo, exec_lo, s21
	v_mov_b32_e32 v2, 24
	v_lshlrev_b32_e32 v3, 20, v24
	v_lshl_add_u32 v1, v1, 23, 0x3c000000
	v_lshlrev_b32_sdwa v2, v2, v0 dst_sel:DWORD dst_unused:UNUSED_PAD src0_sel:DWORD src1_sel:WORD_1
	v_and_b32_e32 v2, 0x80000000, v2
	v_or3_b32 v24, v3, v2, v1
	buffer_store_dword v24, off, s[0:3], s32 offset:300 ; 4-byte Folded Spill
	buffer_store_dword v25, off, s[0:3], s32 offset:304 ; 4-byte Folded Spill
.LBB206_104:                            ;   in Loop: Header=BB206_15 Depth=1
	s_or_b32 exec_lo, exec_lo, s20
.LBB206_105:                            ;   in Loop: Header=BB206_15 Depth=1
	s_or_b32 exec_lo, exec_lo, s19
.LBB206_106:                            ;   in Loop: Header=BB206_15 Depth=1
	s_or_b32 exec_lo, exec_lo, s18
	s_mov_b32 s18, exec_lo
	v_cmpx_lt_u32_e32 0xffffff, v0
	s_cbranch_execz .LBB206_114
; %bb.107:                              ;   in Loop: Header=BB206_15 Depth=1
	v_mov_b32_e32 v39, v25
	v_cmp_ne_u32_sdwa s5, v0, v18 src0_sel:BYTE_3 src1_sel:DWORD
	buffer_store_dword v39, off, s[0:3], s32 offset:292 ; 4-byte Folded Spill
	buffer_store_dword v40, off, s[0:3], s32 offset:296 ; 4-byte Folded Spill
	s_and_saveexec_b32 s19, s5
	s_cbranch_execz .LBB206_113
; %bb.108:                              ;   in Loop: Header=BB206_15 Depth=1
	v_bfe_u32 v2, v0, 24, 7
	v_mov_b32_e32 v102, v25
	s_mov_b32 s20, exec_lo
	buffer_store_dword v102, off, s[0:3], s32 offset:292 ; 4-byte Folded Spill
	buffer_store_dword v103, off, s[0:3], s32 offset:296 ; 4-byte Folded Spill
	v_cmpx_ne_u32_e32 0x7f, v2
	s_cbranch_execz .LBB206_112
; %bb.109:                              ;   in Loop: Header=BB206_15 Depth=1
	v_mov_b32_e32 v1, 7
	s_mov_b32 s21, exec_lo
	v_and_b32_sdwa v24, v0, v1 dst_sel:DWORD dst_unused:UNUSED_PAD src0_sel:BYTE_3 src1_sel:DWORD
	v_lshrrev_b32_e32 v1, 3, v2
	v_cmpx_gt_u32_e32 8, v2
; %bb.110:                              ;   in Loop: Header=BB206_15 Depth=1
	v_ffbh_u32_e32 v1, v24
	v_min_u32_e32 v1, 32, v1
	v_subrev_nc_u32_e32 v2, 28, v1
	v_sub_nc_u32_e32 v1, 29, v1
	v_lshlrev_b64 v[2:3], v2, v[24:25]
	v_and_b32_e32 v24, 7, v2
; %bb.111:                              ;   in Loop: Header=BB206_15 Depth=1
	s_or_b32 exec_lo, exec_lo, s21
	v_mov_b32_e32 v2, 24
	v_lshl_add_u32 v1, v1, 23, 0x3c000000
	v_lshlrev_b32_sdwa v0, v2, v0 dst_sel:DWORD dst_unused:UNUSED_PAD src0_sel:DWORD src1_sel:BYTE_3
	v_lshlrev_b32_e32 v2, 20, v24
	v_and_b32_e32 v0, 0x80000000, v0
	v_or3_b32 v1, v2, v0, v1
	v_mov_b32_e32 v0, v25
	buffer_store_dword v0, off, s[0:3], s32 offset:292 ; 4-byte Folded Spill
	buffer_store_dword v1, off, s[0:3], s32 offset:296 ; 4-byte Folded Spill
.LBB206_112:                            ;   in Loop: Header=BB206_15 Depth=1
	s_or_b32 exec_lo, exec_lo, s20
.LBB206_113:                            ;   in Loop: Header=BB206_15 Depth=1
	s_or_b32 exec_lo, exec_lo, s19
.LBB206_114:                            ;   in Loop: Header=BB206_15 Depth=1
	s_or_b32 exec_lo, exec_lo, s18
	flat_load_dword v0, v[112:113] offset:12
	v_mov_b32_e32 v1, 0
	v_mov_b32_e32 v2, 0
	buffer_store_dword v1, off, s[0:3], s32 offset:316 ; 4-byte Folded Spill
	buffer_store_dword v2, off, s[0:3], s32 offset:320 ; 4-byte Folded Spill
	v_mov_b32_e32 v1, 0
	v_mov_b32_e32 v2, 0
	buffer_store_dword v1, off, s[0:3], s32 offset:308 ; 4-byte Folded Spill
	buffer_store_dword v2, off, s[0:3], s32 offset:312 ; 4-byte Folded Spill
	s_waitcnt vmcnt(0) lgkmcnt(0)
	v_cmp_ne_u16_sdwa s5, v0, v25 src0_sel:BYTE_0 src1_sel:DWORD
	s_and_saveexec_b32 s18, s5
	s_cbranch_execz .LBB206_122
; %bb.115:                              ;   in Loop: Header=BB206_15 Depth=1
	v_bfrev_b32_e32 v1, 1
	v_mov_b32_e32 v2, 0
	v_cmp_ne_u16_sdwa s5, v0, v18 src0_sel:BYTE_0 src1_sel:DWORD
	buffer_store_dword v1, off, s[0:3], s32 offset:308 ; 4-byte Folded Spill
	buffer_store_dword v2, off, s[0:3], s32 offset:312 ; 4-byte Folded Spill
	s_and_saveexec_b32 s19, s5
	s_cbranch_execz .LBB206_121
; %bb.116:                              ;   in Loop: Header=BB206_15 Depth=1
	v_mov_b32_e32 v3, 0x7f800001
	v_and_b32_e32 v2, 0x7f, v0
	v_mov_b32_e32 v4, 0
	s_mov_b32 s20, exec_lo
	buffer_store_dword v3, off, s[0:3], s32 offset:308 ; 4-byte Folded Spill
	buffer_store_dword v4, off, s[0:3], s32 offset:312 ; 4-byte Folded Spill
	v_cmpx_ne_u32_e32 0x7f, v2
	s_cbranch_execz .LBB206_120
; %bb.117:                              ;   in Loop: Header=BB206_15 Depth=1
	v_and_b32_e32 v24, 7, v0
	v_lshrrev_b32_e32 v1, 3, v2
	s_mov_b32 s21, exec_lo
	v_cmpx_gt_u32_e32 8, v2
; %bb.118:                              ;   in Loop: Header=BB206_15 Depth=1
	v_ffbh_u32_e32 v1, v24
	v_min_u32_e32 v1, 32, v1
	v_subrev_nc_u32_e32 v2, 28, v1
	v_sub_nc_u32_e32 v1, 29, v1
	v_lshlrev_b64 v[2:3], v2, v[24:25]
	v_and_b32_e32 v24, 7, v2
; %bb.119:                              ;   in Loop: Header=BB206_15 Depth=1
	s_or_b32 exec_lo, exec_lo, s21
	v_lshlrev_b32_e32 v2, 24, v0
	v_lshlrev_b32_e32 v3, 20, v24
	v_lshl_add_u32 v1, v1, 23, 0x3c000000
	v_and_b32_e32 v2, 0x80000000, v2
	v_or3_b32 v24, v3, v2, v1
	buffer_store_dword v24, off, s[0:3], s32 offset:308 ; 4-byte Folded Spill
	buffer_store_dword v25, off, s[0:3], s32 offset:312 ; 4-byte Folded Spill
.LBB206_120:                            ;   in Loop: Header=BB206_15 Depth=1
	s_or_b32 exec_lo, exec_lo, s20
.LBB206_121:                            ;   in Loop: Header=BB206_15 Depth=1
	s_or_b32 exec_lo, exec_lo, s19
.LBB206_122:                            ;   in Loop: Header=BB206_15 Depth=1
	s_or_b32 exec_lo, exec_lo, s18
	v_cmp_ne_u16_sdwa s5, v0, v25 src0_sel:BYTE_1 src1_sel:DWORD
	s_and_saveexec_b32 s18, s5
	s_cbranch_execz .LBB206_130
; %bb.123:                              ;   in Loop: Header=BB206_15 Depth=1
	v_mov_b32_e32 v39, v25
	v_cmp_ne_u16_sdwa s5, v0, v18 src0_sel:BYTE_1 src1_sel:DWORD
	buffer_store_dword v39, off, s[0:3], s32 offset:316 ; 4-byte Folded Spill
	buffer_store_dword v40, off, s[0:3], s32 offset:320 ; 4-byte Folded Spill
	s_and_saveexec_b32 s19, s5
	s_cbranch_execz .LBB206_129
; %bb.124:                              ;   in Loop: Header=BB206_15 Depth=1
	v_mov_b32_e32 v1, 0xffff
	v_mov_b32_e32 v102, v25
	s_mov_b32 s20, exec_lo
	buffer_store_dword v102, off, s[0:3], s32 offset:316 ; 4-byte Folded Spill
	buffer_store_dword v103, off, s[0:3], s32 offset:320 ; 4-byte Folded Spill
	v_and_b32_sdwa v1, v1, v0 dst_sel:DWORD dst_unused:UNUSED_PAD src0_sel:DWORD src1_sel:BYTE_1
	v_and_b32_e32 v2, 0x7f, v1
	v_cmpx_ne_u32_e32 0x7f, v2
	s_cbranch_execz .LBB206_128
; %bb.125:                              ;   in Loop: Header=BB206_15 Depth=1
	v_and_b32_e32 v24, 7, v1
	v_lshrrev_b32_e32 v1, 3, v2
	s_mov_b32 s21, exec_lo
	v_cmpx_gt_u32_e32 8, v2
; %bb.126:                              ;   in Loop: Header=BB206_15 Depth=1
	v_ffbh_u32_e32 v1, v24
	v_min_u32_e32 v1, 32, v1
	v_subrev_nc_u32_e32 v2, 28, v1
	v_sub_nc_u32_e32 v1, 29, v1
	v_lshlrev_b64 v[2:3], v2, v[24:25]
	v_and_b32_e32 v24, 7, v2
; %bb.127:                              ;   in Loop: Header=BB206_15 Depth=1
	s_or_b32 exec_lo, exec_lo, s21
	v_lshlrev_b32_e32 v2, 16, v0
	v_lshlrev_b32_e32 v3, 20, v24
	v_lshl_add_u32 v1, v1, 23, 0x3c000000
	v_and_b32_e32 v2, 0x80000000, v2
	v_or3_b32 v2, v3, v2, v1
	v_mov_b32_e32 v1, v25
	buffer_store_dword v1, off, s[0:3], s32 offset:316 ; 4-byte Folded Spill
	buffer_store_dword v2, off, s[0:3], s32 offset:320 ; 4-byte Folded Spill
.LBB206_128:                            ;   in Loop: Header=BB206_15 Depth=1
	s_or_b32 exec_lo, exec_lo, s20
.LBB206_129:                            ;   in Loop: Header=BB206_15 Depth=1
	s_or_b32 exec_lo, exec_lo, s19
.LBB206_130:                            ;   in Loop: Header=BB206_15 Depth=1
	s_or_b32 exec_lo, exec_lo, s18
	v_mov_b32_e32 v2, 0
	v_mov_b32_e32 v3, 0
	v_and_b32_sdwa v1, v0, v45 dst_sel:DWORD dst_unused:UNUSED_PAD src0_sel:WORD_1 src1_sel:DWORD
	s_mov_b32 s18, exec_lo
	buffer_store_dword v2, off, s[0:3], s32 offset:324 ; 4-byte Folded Spill
	buffer_store_dword v3, off, s[0:3], s32 offset:328 ; 4-byte Folded Spill
	v_mov_b32_e32 v2, 0
	v_mov_b32_e32 v3, 0
	buffer_store_dword v2, off, s[0:3], s32 offset:332 ; 4-byte Folded Spill
	buffer_store_dword v3, off, s[0:3], s32 offset:336 ; 4-byte Folded Spill
	v_cmpx_ne_u16_e32 0, v1
	s_cbranch_execz .LBB206_138
; %bb.131:                              ;   in Loop: Header=BB206_15 Depth=1
	v_cmp_ne_u16_e64 s5, 0x80, v1
	v_bfrev_b32_e32 v1, 1
	v_mov_b32_e32 v2, 0
	buffer_store_dword v1, off, s[0:3], s32 offset:332 ; 4-byte Folded Spill
	buffer_store_dword v2, off, s[0:3], s32 offset:336 ; 4-byte Folded Spill
	s_and_saveexec_b32 s19, s5
	s_cbranch_execz .LBB206_137
; %bb.132:                              ;   in Loop: Header=BB206_15 Depth=1
	v_mov_b32_e32 v3, 0x7f800001
	v_bfe_u32 v2, v0, 16, 7
	v_mov_b32_e32 v4, 0
	s_mov_b32 s20, exec_lo
	buffer_store_dword v3, off, s[0:3], s32 offset:332 ; 4-byte Folded Spill
	buffer_store_dword v4, off, s[0:3], s32 offset:336 ; 4-byte Folded Spill
	v_cmpx_ne_u32_e32 0x7f, v2
	s_cbranch_execz .LBB206_136
; %bb.133:                              ;   in Loop: Header=BB206_15 Depth=1
	v_mov_b32_e32 v1, 7
	s_mov_b32 s21, exec_lo
	v_and_b32_sdwa v24, v0, v1 dst_sel:DWORD dst_unused:UNUSED_PAD src0_sel:WORD_1 src1_sel:DWORD
	v_lshrrev_b32_e32 v1, 3, v2
	v_cmpx_gt_u32_e32 8, v2
; %bb.134:                              ;   in Loop: Header=BB206_15 Depth=1
	v_ffbh_u32_e32 v1, v24
	v_min_u32_e32 v1, 32, v1
	v_subrev_nc_u32_e32 v2, 28, v1
	v_sub_nc_u32_e32 v1, 29, v1
	v_lshlrev_b64 v[2:3], v2, v[24:25]
	v_and_b32_e32 v24, 7, v2
; %bb.135:                              ;   in Loop: Header=BB206_15 Depth=1
	s_or_b32 exec_lo, exec_lo, s21
	v_mov_b32_e32 v2, 24
	v_lshlrev_b32_e32 v3, 20, v24
	v_lshl_add_u32 v1, v1, 23, 0x3c000000
	v_lshlrev_b32_sdwa v2, v2, v0 dst_sel:DWORD dst_unused:UNUSED_PAD src0_sel:DWORD src1_sel:WORD_1
	v_and_b32_e32 v2, 0x80000000, v2
	v_or3_b32 v24, v3, v2, v1
	buffer_store_dword v24, off, s[0:3], s32 offset:332 ; 4-byte Folded Spill
	buffer_store_dword v25, off, s[0:3], s32 offset:336 ; 4-byte Folded Spill
.LBB206_136:                            ;   in Loop: Header=BB206_15 Depth=1
	s_or_b32 exec_lo, exec_lo, s20
.LBB206_137:                            ;   in Loop: Header=BB206_15 Depth=1
	s_or_b32 exec_lo, exec_lo, s19
.LBB206_138:                            ;   in Loop: Header=BB206_15 Depth=1
	s_or_b32 exec_lo, exec_lo, s18
	s_mov_b32 s18, exec_lo
	v_cmpx_lt_u32_e32 0xffffff, v0
	s_cbranch_execz .LBB206_146
; %bb.139:                              ;   in Loop: Header=BB206_15 Depth=1
	v_mov_b32_e32 v39, v25
	v_cmp_ne_u32_sdwa s5, v0, v18 src0_sel:BYTE_3 src1_sel:DWORD
	buffer_store_dword v39, off, s[0:3], s32 offset:324 ; 4-byte Folded Spill
	buffer_store_dword v40, off, s[0:3], s32 offset:328 ; 4-byte Folded Spill
	s_and_saveexec_b32 s19, s5
	s_cbranch_execz .LBB206_145
; %bb.140:                              ;   in Loop: Header=BB206_15 Depth=1
	v_bfe_u32 v2, v0, 24, 7
	v_mov_b32_e32 v102, v25
	s_mov_b32 s20, exec_lo
	buffer_store_dword v102, off, s[0:3], s32 offset:324 ; 4-byte Folded Spill
	buffer_store_dword v103, off, s[0:3], s32 offset:328 ; 4-byte Folded Spill
	v_cmpx_ne_u32_e32 0x7f, v2
	s_cbranch_execz .LBB206_144
; %bb.141:                              ;   in Loop: Header=BB206_15 Depth=1
	v_mov_b32_e32 v1, 7
	s_mov_b32 s21, exec_lo
	v_and_b32_sdwa v24, v0, v1 dst_sel:DWORD dst_unused:UNUSED_PAD src0_sel:BYTE_3 src1_sel:DWORD
	v_lshrrev_b32_e32 v1, 3, v2
	v_cmpx_gt_u32_e32 8, v2
; %bb.142:                              ;   in Loop: Header=BB206_15 Depth=1
	v_ffbh_u32_e32 v1, v24
	v_min_u32_e32 v1, 32, v1
	v_subrev_nc_u32_e32 v2, 28, v1
	v_sub_nc_u32_e32 v1, 29, v1
	v_lshlrev_b64 v[2:3], v2, v[24:25]
	v_and_b32_e32 v24, 7, v2
; %bb.143:                              ;   in Loop: Header=BB206_15 Depth=1
	s_or_b32 exec_lo, exec_lo, s21
	v_mov_b32_e32 v2, 24
	v_lshl_add_u32 v1, v1, 23, 0x3c000000
	v_lshlrev_b32_sdwa v0, v2, v0 dst_sel:DWORD dst_unused:UNUSED_PAD src0_sel:DWORD src1_sel:BYTE_3
	v_lshlrev_b32_e32 v2, 20, v24
	v_and_b32_e32 v0, 0x80000000, v0
	v_or3_b32 v1, v2, v0, v1
	v_mov_b32_e32 v0, v25
	buffer_store_dword v0, off, s[0:3], s32 offset:324 ; 4-byte Folded Spill
	buffer_store_dword v1, off, s[0:3], s32 offset:328 ; 4-byte Folded Spill
.LBB206_144:                            ;   in Loop: Header=BB206_15 Depth=1
	s_or_b32 exec_lo, exec_lo, s20
.LBB206_145:                            ;   in Loop: Header=BB206_15 Depth=1
	s_or_b32 exec_lo, exec_lo, s19
.LBB206_146:                            ;   in Loop: Header=BB206_15 Depth=1
	s_or_b32 exec_lo, exec_lo, s18
	flat_load_dword v0, v[112:113] offset:512
	v_mov_b32_e32 v1, 0
	v_mov_b32_e32 v2, 0
	buffer_store_dword v1, off, s[0:3], s32 offset:348 ; 4-byte Folded Spill
	buffer_store_dword v2, off, s[0:3], s32 offset:352 ; 4-byte Folded Spill
	v_mov_b32_e32 v1, 0
	v_mov_b32_e32 v2, 0
	buffer_store_dword v1, off, s[0:3], s32 offset:340 ; 4-byte Folded Spill
	buffer_store_dword v2, off, s[0:3], s32 offset:344 ; 4-byte Folded Spill
	s_waitcnt vmcnt(0) lgkmcnt(0)
	v_cmp_ne_u16_sdwa s5, v0, v25 src0_sel:BYTE_0 src1_sel:DWORD
	s_and_saveexec_b32 s18, s5
	s_cbranch_execz .LBB206_154
; %bb.147:                              ;   in Loop: Header=BB206_15 Depth=1
	v_bfrev_b32_e32 v1, 1
	v_mov_b32_e32 v2, 0
	v_cmp_ne_u16_sdwa s5, v0, v18 src0_sel:BYTE_0 src1_sel:DWORD
	buffer_store_dword v1, off, s[0:3], s32 offset:340 ; 4-byte Folded Spill
	buffer_store_dword v2, off, s[0:3], s32 offset:344 ; 4-byte Folded Spill
	s_and_saveexec_b32 s19, s5
	s_cbranch_execz .LBB206_153
; %bb.148:                              ;   in Loop: Header=BB206_15 Depth=1
	v_mov_b32_e32 v3, 0x7f800001
	v_and_b32_e32 v2, 0x7f, v0
	v_mov_b32_e32 v4, 0
	s_mov_b32 s20, exec_lo
	buffer_store_dword v3, off, s[0:3], s32 offset:340 ; 4-byte Folded Spill
	buffer_store_dword v4, off, s[0:3], s32 offset:344 ; 4-byte Folded Spill
	v_cmpx_ne_u32_e32 0x7f, v2
	s_cbranch_execz .LBB206_152
; %bb.149:                              ;   in Loop: Header=BB206_15 Depth=1
	v_and_b32_e32 v24, 7, v0
	v_lshrrev_b32_e32 v1, 3, v2
	s_mov_b32 s21, exec_lo
	v_cmpx_gt_u32_e32 8, v2
; %bb.150:                              ;   in Loop: Header=BB206_15 Depth=1
	v_ffbh_u32_e32 v1, v24
	v_min_u32_e32 v1, 32, v1
	v_subrev_nc_u32_e32 v2, 28, v1
	v_sub_nc_u32_e32 v1, 29, v1
	v_lshlrev_b64 v[2:3], v2, v[24:25]
	v_and_b32_e32 v24, 7, v2
; %bb.151:                              ;   in Loop: Header=BB206_15 Depth=1
	s_or_b32 exec_lo, exec_lo, s21
	v_lshlrev_b32_e32 v2, 24, v0
	v_lshlrev_b32_e32 v3, 20, v24
	v_lshl_add_u32 v1, v1, 23, 0x3c000000
	v_and_b32_e32 v2, 0x80000000, v2
	v_or3_b32 v24, v3, v2, v1
	buffer_store_dword v24, off, s[0:3], s32 offset:340 ; 4-byte Folded Spill
	buffer_store_dword v25, off, s[0:3], s32 offset:344 ; 4-byte Folded Spill
.LBB206_152:                            ;   in Loop: Header=BB206_15 Depth=1
	s_or_b32 exec_lo, exec_lo, s20
.LBB206_153:                            ;   in Loop: Header=BB206_15 Depth=1
	s_or_b32 exec_lo, exec_lo, s19
.LBB206_154:                            ;   in Loop: Header=BB206_15 Depth=1
	s_or_b32 exec_lo, exec_lo, s18
	v_cmp_ne_u16_sdwa s5, v0, v25 src0_sel:BYTE_1 src1_sel:DWORD
	s_and_saveexec_b32 s18, s5
	s_cbranch_execz .LBB206_162
; %bb.155:                              ;   in Loop: Header=BB206_15 Depth=1
	v_mov_b32_e32 v39, v25
	v_cmp_ne_u16_sdwa s5, v0, v18 src0_sel:BYTE_1 src1_sel:DWORD
	buffer_store_dword v39, off, s[0:3], s32 offset:348 ; 4-byte Folded Spill
	buffer_store_dword v40, off, s[0:3], s32 offset:352 ; 4-byte Folded Spill
	s_and_saveexec_b32 s19, s5
	s_cbranch_execz .LBB206_161
; %bb.156:                              ;   in Loop: Header=BB206_15 Depth=1
	v_mov_b32_e32 v1, 0xffff
	v_mov_b32_e32 v102, v25
	s_mov_b32 s20, exec_lo
	buffer_store_dword v102, off, s[0:3], s32 offset:348 ; 4-byte Folded Spill
	buffer_store_dword v103, off, s[0:3], s32 offset:352 ; 4-byte Folded Spill
	v_and_b32_sdwa v1, v1, v0 dst_sel:DWORD dst_unused:UNUSED_PAD src0_sel:DWORD src1_sel:BYTE_1
	v_and_b32_e32 v2, 0x7f, v1
	v_cmpx_ne_u32_e32 0x7f, v2
	s_cbranch_execz .LBB206_160
; %bb.157:                              ;   in Loop: Header=BB206_15 Depth=1
	v_and_b32_e32 v24, 7, v1
	v_lshrrev_b32_e32 v1, 3, v2
	s_mov_b32 s21, exec_lo
	v_cmpx_gt_u32_e32 8, v2
; %bb.158:                              ;   in Loop: Header=BB206_15 Depth=1
	v_ffbh_u32_e32 v1, v24
	v_min_u32_e32 v1, 32, v1
	v_subrev_nc_u32_e32 v2, 28, v1
	v_sub_nc_u32_e32 v1, 29, v1
	v_lshlrev_b64 v[2:3], v2, v[24:25]
	v_and_b32_e32 v24, 7, v2
; %bb.159:                              ;   in Loop: Header=BB206_15 Depth=1
	s_or_b32 exec_lo, exec_lo, s21
	v_lshlrev_b32_e32 v2, 16, v0
	v_lshlrev_b32_e32 v3, 20, v24
	v_lshl_add_u32 v1, v1, 23, 0x3c000000
	v_and_b32_e32 v2, 0x80000000, v2
	v_or3_b32 v2, v3, v2, v1
	v_mov_b32_e32 v1, v25
	buffer_store_dword v1, off, s[0:3], s32 offset:348 ; 4-byte Folded Spill
	buffer_store_dword v2, off, s[0:3], s32 offset:352 ; 4-byte Folded Spill
.LBB206_160:                            ;   in Loop: Header=BB206_15 Depth=1
	s_or_b32 exec_lo, exec_lo, s20
.LBB206_161:                            ;   in Loop: Header=BB206_15 Depth=1
	s_or_b32 exec_lo, exec_lo, s19
.LBB206_162:                            ;   in Loop: Header=BB206_15 Depth=1
	s_or_b32 exec_lo, exec_lo, s18
	v_mov_b32_e32 v2, 0
	v_mov_b32_e32 v3, 0
	v_and_b32_sdwa v1, v0, v45 dst_sel:DWORD dst_unused:UNUSED_PAD src0_sel:WORD_1 src1_sel:DWORD
	s_mov_b32 s18, exec_lo
	buffer_store_dword v2, off, s[0:3], s32 offset:356 ; 4-byte Folded Spill
	buffer_store_dword v3, off, s[0:3], s32 offset:360 ; 4-byte Folded Spill
	v_mov_b32_e32 v2, 0
	v_mov_b32_e32 v3, 0
	buffer_store_dword v2, off, s[0:3], s32 offset:364 ; 4-byte Folded Spill
	buffer_store_dword v3, off, s[0:3], s32 offset:368 ; 4-byte Folded Spill
	v_cmpx_ne_u16_e32 0, v1
	s_cbranch_execz .LBB206_170
; %bb.163:                              ;   in Loop: Header=BB206_15 Depth=1
	v_cmp_ne_u16_e64 s5, 0x80, v1
	v_bfrev_b32_e32 v1, 1
	v_mov_b32_e32 v2, 0
	buffer_store_dword v1, off, s[0:3], s32 offset:364 ; 4-byte Folded Spill
	buffer_store_dword v2, off, s[0:3], s32 offset:368 ; 4-byte Folded Spill
	s_and_saveexec_b32 s19, s5
	s_cbranch_execz .LBB206_169
; %bb.164:                              ;   in Loop: Header=BB206_15 Depth=1
	v_mov_b32_e32 v3, 0x7f800001
	v_bfe_u32 v2, v0, 16, 7
	v_mov_b32_e32 v4, 0
	s_mov_b32 s20, exec_lo
	buffer_store_dword v3, off, s[0:3], s32 offset:364 ; 4-byte Folded Spill
	buffer_store_dword v4, off, s[0:3], s32 offset:368 ; 4-byte Folded Spill
	v_cmpx_ne_u32_e32 0x7f, v2
	s_cbranch_execz .LBB206_168
; %bb.165:                              ;   in Loop: Header=BB206_15 Depth=1
	v_mov_b32_e32 v1, 7
	s_mov_b32 s21, exec_lo
	v_and_b32_sdwa v24, v0, v1 dst_sel:DWORD dst_unused:UNUSED_PAD src0_sel:WORD_1 src1_sel:DWORD
	v_lshrrev_b32_e32 v1, 3, v2
	v_cmpx_gt_u32_e32 8, v2
; %bb.166:                              ;   in Loop: Header=BB206_15 Depth=1
	v_ffbh_u32_e32 v1, v24
	v_min_u32_e32 v1, 32, v1
	v_subrev_nc_u32_e32 v2, 28, v1
	v_sub_nc_u32_e32 v1, 29, v1
	v_lshlrev_b64 v[2:3], v2, v[24:25]
	v_and_b32_e32 v24, 7, v2
; %bb.167:                              ;   in Loop: Header=BB206_15 Depth=1
	s_or_b32 exec_lo, exec_lo, s21
	v_mov_b32_e32 v2, 24
	v_lshlrev_b32_e32 v3, 20, v24
	v_lshl_add_u32 v1, v1, 23, 0x3c000000
	v_lshlrev_b32_sdwa v2, v2, v0 dst_sel:DWORD dst_unused:UNUSED_PAD src0_sel:DWORD src1_sel:WORD_1
	v_and_b32_e32 v2, 0x80000000, v2
	v_or3_b32 v24, v3, v2, v1
	buffer_store_dword v24, off, s[0:3], s32 offset:364 ; 4-byte Folded Spill
	buffer_store_dword v25, off, s[0:3], s32 offset:368 ; 4-byte Folded Spill
.LBB206_168:                            ;   in Loop: Header=BB206_15 Depth=1
	s_or_b32 exec_lo, exec_lo, s20
.LBB206_169:                            ;   in Loop: Header=BB206_15 Depth=1
	s_or_b32 exec_lo, exec_lo, s19
.LBB206_170:                            ;   in Loop: Header=BB206_15 Depth=1
	s_or_b32 exec_lo, exec_lo, s18
	s_mov_b32 s18, exec_lo
	v_cmpx_lt_u32_e32 0xffffff, v0
	s_cbranch_execz .LBB206_178
; %bb.171:                              ;   in Loop: Header=BB206_15 Depth=1
	v_mov_b32_e32 v39, v25
	v_cmp_ne_u32_sdwa s5, v0, v18 src0_sel:BYTE_3 src1_sel:DWORD
	buffer_store_dword v39, off, s[0:3], s32 offset:356 ; 4-byte Folded Spill
	buffer_store_dword v40, off, s[0:3], s32 offset:360 ; 4-byte Folded Spill
	s_and_saveexec_b32 s19, s5
	s_cbranch_execz .LBB206_177
; %bb.172:                              ;   in Loop: Header=BB206_15 Depth=1
	v_bfe_u32 v2, v0, 24, 7
	v_mov_b32_e32 v102, v25
	s_mov_b32 s20, exec_lo
	buffer_store_dword v102, off, s[0:3], s32 offset:356 ; 4-byte Folded Spill
	buffer_store_dword v103, off, s[0:3], s32 offset:360 ; 4-byte Folded Spill
	v_cmpx_ne_u32_e32 0x7f, v2
	s_cbranch_execz .LBB206_176
; %bb.173:                              ;   in Loop: Header=BB206_15 Depth=1
	v_mov_b32_e32 v1, 7
	s_mov_b32 s21, exec_lo
	v_and_b32_sdwa v24, v0, v1 dst_sel:DWORD dst_unused:UNUSED_PAD src0_sel:BYTE_3 src1_sel:DWORD
	v_lshrrev_b32_e32 v1, 3, v2
	v_cmpx_gt_u32_e32 8, v2
; %bb.174:                              ;   in Loop: Header=BB206_15 Depth=1
	v_ffbh_u32_e32 v1, v24
	v_min_u32_e32 v1, 32, v1
	v_subrev_nc_u32_e32 v2, 28, v1
	v_sub_nc_u32_e32 v1, 29, v1
	v_lshlrev_b64 v[2:3], v2, v[24:25]
	v_and_b32_e32 v24, 7, v2
; %bb.175:                              ;   in Loop: Header=BB206_15 Depth=1
	s_or_b32 exec_lo, exec_lo, s21
	v_mov_b32_e32 v2, 24
	v_lshl_add_u32 v1, v1, 23, 0x3c000000
	v_lshlrev_b32_sdwa v0, v2, v0 dst_sel:DWORD dst_unused:UNUSED_PAD src0_sel:DWORD src1_sel:BYTE_3
	v_lshlrev_b32_e32 v2, 20, v24
	v_and_b32_e32 v0, 0x80000000, v0
	v_or3_b32 v1, v2, v0, v1
	v_mov_b32_e32 v0, v25
	buffer_store_dword v0, off, s[0:3], s32 offset:356 ; 4-byte Folded Spill
	buffer_store_dword v1, off, s[0:3], s32 offset:360 ; 4-byte Folded Spill
.LBB206_176:                            ;   in Loop: Header=BB206_15 Depth=1
	s_or_b32 exec_lo, exec_lo, s20
.LBB206_177:                            ;   in Loop: Header=BB206_15 Depth=1
	s_or_b32 exec_lo, exec_lo, s19
.LBB206_178:                            ;   in Loop: Header=BB206_15 Depth=1
	s_or_b32 exec_lo, exec_lo, s18
	flat_load_dword v0, v[112:113] offset:516
	v_mov_b32_e32 v1, 0
	v_mov_b32_e32 v2, 0
	buffer_store_dword v1, off, s[0:3], s32 offset:380 ; 4-byte Folded Spill
	buffer_store_dword v2, off, s[0:3], s32 offset:384 ; 4-byte Folded Spill
	v_mov_b32_e32 v1, 0
	v_mov_b32_e32 v2, 0
	buffer_store_dword v1, off, s[0:3], s32 offset:372 ; 4-byte Folded Spill
	buffer_store_dword v2, off, s[0:3], s32 offset:376 ; 4-byte Folded Spill
	s_waitcnt vmcnt(0) lgkmcnt(0)
	v_cmp_ne_u16_sdwa s5, v0, v25 src0_sel:BYTE_0 src1_sel:DWORD
	s_and_saveexec_b32 s18, s5
	s_cbranch_execz .LBB206_186
; %bb.179:                              ;   in Loop: Header=BB206_15 Depth=1
	v_bfrev_b32_e32 v1, 1
	v_mov_b32_e32 v2, 0
	v_cmp_ne_u16_sdwa s5, v0, v18 src0_sel:BYTE_0 src1_sel:DWORD
	buffer_store_dword v1, off, s[0:3], s32 offset:372 ; 4-byte Folded Spill
	buffer_store_dword v2, off, s[0:3], s32 offset:376 ; 4-byte Folded Spill
	s_and_saveexec_b32 s19, s5
	s_cbranch_execz .LBB206_185
; %bb.180:                              ;   in Loop: Header=BB206_15 Depth=1
	v_mov_b32_e32 v3, 0x7f800001
	v_and_b32_e32 v2, 0x7f, v0
	v_mov_b32_e32 v4, 0
	s_mov_b32 s20, exec_lo
	buffer_store_dword v3, off, s[0:3], s32 offset:372 ; 4-byte Folded Spill
	buffer_store_dword v4, off, s[0:3], s32 offset:376 ; 4-byte Folded Spill
	v_cmpx_ne_u32_e32 0x7f, v2
	s_cbranch_execz .LBB206_184
; %bb.181:                              ;   in Loop: Header=BB206_15 Depth=1
	v_and_b32_e32 v24, 7, v0
	v_lshrrev_b32_e32 v1, 3, v2
	s_mov_b32 s21, exec_lo
	v_cmpx_gt_u32_e32 8, v2
; %bb.182:                              ;   in Loop: Header=BB206_15 Depth=1
	v_ffbh_u32_e32 v1, v24
	v_min_u32_e32 v1, 32, v1
	v_subrev_nc_u32_e32 v2, 28, v1
	v_sub_nc_u32_e32 v1, 29, v1
	v_lshlrev_b64 v[2:3], v2, v[24:25]
	v_and_b32_e32 v24, 7, v2
; %bb.183:                              ;   in Loop: Header=BB206_15 Depth=1
	s_or_b32 exec_lo, exec_lo, s21
	v_lshlrev_b32_e32 v2, 24, v0
	v_lshlrev_b32_e32 v3, 20, v24
	v_lshl_add_u32 v1, v1, 23, 0x3c000000
	v_and_b32_e32 v2, 0x80000000, v2
	v_or3_b32 v24, v3, v2, v1
	buffer_store_dword v24, off, s[0:3], s32 offset:372 ; 4-byte Folded Spill
	buffer_store_dword v25, off, s[0:3], s32 offset:376 ; 4-byte Folded Spill
.LBB206_184:                            ;   in Loop: Header=BB206_15 Depth=1
	s_or_b32 exec_lo, exec_lo, s20
.LBB206_185:                            ;   in Loop: Header=BB206_15 Depth=1
	s_or_b32 exec_lo, exec_lo, s19
.LBB206_186:                            ;   in Loop: Header=BB206_15 Depth=1
	s_or_b32 exec_lo, exec_lo, s18
	v_cmp_ne_u16_sdwa s5, v0, v25 src0_sel:BYTE_1 src1_sel:DWORD
	s_and_saveexec_b32 s18, s5
	s_cbranch_execz .LBB206_194
; %bb.187:                              ;   in Loop: Header=BB206_15 Depth=1
	v_mov_b32_e32 v39, v25
	v_cmp_ne_u16_sdwa s5, v0, v18 src0_sel:BYTE_1 src1_sel:DWORD
	buffer_store_dword v39, off, s[0:3], s32 offset:380 ; 4-byte Folded Spill
	buffer_store_dword v40, off, s[0:3], s32 offset:384 ; 4-byte Folded Spill
	s_and_saveexec_b32 s19, s5
	s_cbranch_execz .LBB206_193
; %bb.188:                              ;   in Loop: Header=BB206_15 Depth=1
	v_mov_b32_e32 v1, 0xffff
	v_mov_b32_e32 v102, v25
	s_mov_b32 s20, exec_lo
	buffer_store_dword v102, off, s[0:3], s32 offset:380 ; 4-byte Folded Spill
	buffer_store_dword v103, off, s[0:3], s32 offset:384 ; 4-byte Folded Spill
	v_and_b32_sdwa v1, v1, v0 dst_sel:DWORD dst_unused:UNUSED_PAD src0_sel:DWORD src1_sel:BYTE_1
	v_and_b32_e32 v2, 0x7f, v1
	v_cmpx_ne_u32_e32 0x7f, v2
	s_cbranch_execz .LBB206_192
; %bb.189:                              ;   in Loop: Header=BB206_15 Depth=1
	v_and_b32_e32 v24, 7, v1
	v_lshrrev_b32_e32 v1, 3, v2
	s_mov_b32 s21, exec_lo
	v_cmpx_gt_u32_e32 8, v2
; %bb.190:                              ;   in Loop: Header=BB206_15 Depth=1
	v_ffbh_u32_e32 v1, v24
	v_min_u32_e32 v1, 32, v1
	v_subrev_nc_u32_e32 v2, 28, v1
	v_sub_nc_u32_e32 v1, 29, v1
	v_lshlrev_b64 v[2:3], v2, v[24:25]
	v_and_b32_e32 v24, 7, v2
; %bb.191:                              ;   in Loop: Header=BB206_15 Depth=1
	s_or_b32 exec_lo, exec_lo, s21
	v_lshlrev_b32_e32 v2, 16, v0
	v_lshlrev_b32_e32 v3, 20, v24
	v_lshl_add_u32 v1, v1, 23, 0x3c000000
	v_and_b32_e32 v2, 0x80000000, v2
	v_or3_b32 v2, v3, v2, v1
	v_mov_b32_e32 v1, v25
	buffer_store_dword v1, off, s[0:3], s32 offset:380 ; 4-byte Folded Spill
	buffer_store_dword v2, off, s[0:3], s32 offset:384 ; 4-byte Folded Spill
.LBB206_192:                            ;   in Loop: Header=BB206_15 Depth=1
	s_or_b32 exec_lo, exec_lo, s20
.LBB206_193:                            ;   in Loop: Header=BB206_15 Depth=1
	s_or_b32 exec_lo, exec_lo, s19
.LBB206_194:                            ;   in Loop: Header=BB206_15 Depth=1
	s_or_b32 exec_lo, exec_lo, s18
	v_mov_b32_e32 v2, 0
	v_mov_b32_e32 v3, 0
	v_and_b32_sdwa v1, v0, v45 dst_sel:DWORD dst_unused:UNUSED_PAD src0_sel:WORD_1 src1_sel:DWORD
	s_mov_b32 s18, exec_lo
	buffer_store_dword v2, off, s[0:3], s32 offset:388 ; 4-byte Folded Spill
	buffer_store_dword v3, off, s[0:3], s32 offset:392 ; 4-byte Folded Spill
	v_mov_b32_e32 v2, 0
	v_mov_b32_e32 v3, 0
	buffer_store_dword v2, off, s[0:3], s32 offset:396 ; 4-byte Folded Spill
	buffer_store_dword v3, off, s[0:3], s32 offset:400 ; 4-byte Folded Spill
	v_cmpx_ne_u16_e32 0, v1
	s_cbranch_execz .LBB206_202
; %bb.195:                              ;   in Loop: Header=BB206_15 Depth=1
	v_cmp_ne_u16_e64 s5, 0x80, v1
	v_bfrev_b32_e32 v1, 1
	v_mov_b32_e32 v2, 0
	buffer_store_dword v1, off, s[0:3], s32 offset:396 ; 4-byte Folded Spill
	buffer_store_dword v2, off, s[0:3], s32 offset:400 ; 4-byte Folded Spill
	s_and_saveexec_b32 s19, s5
	s_cbranch_execz .LBB206_201
; %bb.196:                              ;   in Loop: Header=BB206_15 Depth=1
	v_mov_b32_e32 v3, 0x7f800001
	v_bfe_u32 v2, v0, 16, 7
	v_mov_b32_e32 v4, 0
	s_mov_b32 s20, exec_lo
	buffer_store_dword v3, off, s[0:3], s32 offset:396 ; 4-byte Folded Spill
	buffer_store_dword v4, off, s[0:3], s32 offset:400 ; 4-byte Folded Spill
	v_cmpx_ne_u32_e32 0x7f, v2
	s_cbranch_execz .LBB206_200
; %bb.197:                              ;   in Loop: Header=BB206_15 Depth=1
	v_mov_b32_e32 v1, 7
	s_mov_b32 s21, exec_lo
	v_and_b32_sdwa v24, v0, v1 dst_sel:DWORD dst_unused:UNUSED_PAD src0_sel:WORD_1 src1_sel:DWORD
	v_lshrrev_b32_e32 v1, 3, v2
	v_cmpx_gt_u32_e32 8, v2
; %bb.198:                              ;   in Loop: Header=BB206_15 Depth=1
	v_ffbh_u32_e32 v1, v24
	v_min_u32_e32 v1, 32, v1
	v_subrev_nc_u32_e32 v2, 28, v1
	v_sub_nc_u32_e32 v1, 29, v1
	v_lshlrev_b64 v[2:3], v2, v[24:25]
	v_and_b32_e32 v24, 7, v2
; %bb.199:                              ;   in Loop: Header=BB206_15 Depth=1
	s_or_b32 exec_lo, exec_lo, s21
	v_mov_b32_e32 v2, 24
	v_lshlrev_b32_e32 v3, 20, v24
	v_lshl_add_u32 v1, v1, 23, 0x3c000000
	v_lshlrev_b32_sdwa v2, v2, v0 dst_sel:DWORD dst_unused:UNUSED_PAD src0_sel:DWORD src1_sel:WORD_1
	v_and_b32_e32 v2, 0x80000000, v2
	v_or3_b32 v24, v3, v2, v1
	buffer_store_dword v24, off, s[0:3], s32 offset:396 ; 4-byte Folded Spill
	buffer_store_dword v25, off, s[0:3], s32 offset:400 ; 4-byte Folded Spill
.LBB206_200:                            ;   in Loop: Header=BB206_15 Depth=1
	s_or_b32 exec_lo, exec_lo, s20
.LBB206_201:                            ;   in Loop: Header=BB206_15 Depth=1
	s_or_b32 exec_lo, exec_lo, s19
.LBB206_202:                            ;   in Loop: Header=BB206_15 Depth=1
	s_or_b32 exec_lo, exec_lo, s18
	s_mov_b32 s18, exec_lo
	v_cmpx_lt_u32_e32 0xffffff, v0
	s_cbranch_execz .LBB206_210
; %bb.203:                              ;   in Loop: Header=BB206_15 Depth=1
	v_mov_b32_e32 v39, v25
	v_cmp_ne_u32_sdwa s5, v0, v18 src0_sel:BYTE_3 src1_sel:DWORD
	buffer_store_dword v39, off, s[0:3], s32 offset:388 ; 4-byte Folded Spill
	buffer_store_dword v40, off, s[0:3], s32 offset:392 ; 4-byte Folded Spill
	s_and_saveexec_b32 s19, s5
	s_cbranch_execz .LBB206_209
; %bb.204:                              ;   in Loop: Header=BB206_15 Depth=1
	v_bfe_u32 v2, v0, 24, 7
	v_mov_b32_e32 v102, v25
	s_mov_b32 s20, exec_lo
	buffer_store_dword v102, off, s[0:3], s32 offset:388 ; 4-byte Folded Spill
	buffer_store_dword v103, off, s[0:3], s32 offset:392 ; 4-byte Folded Spill
	v_cmpx_ne_u32_e32 0x7f, v2
	s_cbranch_execz .LBB206_208
; %bb.205:                              ;   in Loop: Header=BB206_15 Depth=1
	v_mov_b32_e32 v1, 7
	s_mov_b32 s21, exec_lo
	v_and_b32_sdwa v24, v0, v1 dst_sel:DWORD dst_unused:UNUSED_PAD src0_sel:BYTE_3 src1_sel:DWORD
	v_lshrrev_b32_e32 v1, 3, v2
	v_cmpx_gt_u32_e32 8, v2
; %bb.206:                              ;   in Loop: Header=BB206_15 Depth=1
	v_ffbh_u32_e32 v1, v24
	v_min_u32_e32 v1, 32, v1
	v_subrev_nc_u32_e32 v2, 28, v1
	v_sub_nc_u32_e32 v1, 29, v1
	v_lshlrev_b64 v[2:3], v2, v[24:25]
	v_and_b32_e32 v24, 7, v2
; %bb.207:                              ;   in Loop: Header=BB206_15 Depth=1
	s_or_b32 exec_lo, exec_lo, s21
	v_mov_b32_e32 v2, 24
	v_lshl_add_u32 v1, v1, 23, 0x3c000000
	v_lshlrev_b32_sdwa v0, v2, v0 dst_sel:DWORD dst_unused:UNUSED_PAD src0_sel:DWORD src1_sel:BYTE_3
	v_lshlrev_b32_e32 v2, 20, v24
	v_and_b32_e32 v0, 0x80000000, v0
	v_or3_b32 v1, v2, v0, v1
	v_mov_b32_e32 v0, v25
	buffer_store_dword v0, off, s[0:3], s32 offset:388 ; 4-byte Folded Spill
	buffer_store_dword v1, off, s[0:3], s32 offset:392 ; 4-byte Folded Spill
.LBB206_208:                            ;   in Loop: Header=BB206_15 Depth=1
	s_or_b32 exec_lo, exec_lo, s20
.LBB206_209:                            ;   in Loop: Header=BB206_15 Depth=1
	s_or_b32 exec_lo, exec_lo, s19
.LBB206_210:                            ;   in Loop: Header=BB206_15 Depth=1
	s_or_b32 exec_lo, exec_lo, s18
	flat_load_dword v0, v[112:113] offset:520
	v_mov_b32_e32 v1, 0
	v_mov_b32_e32 v2, 0
	buffer_store_dword v1, off, s[0:3], s32 offset:412 ; 4-byte Folded Spill
	buffer_store_dword v2, off, s[0:3], s32 offset:416 ; 4-byte Folded Spill
	v_mov_b32_e32 v1, 0
	v_mov_b32_e32 v2, 0
	buffer_store_dword v1, off, s[0:3], s32 offset:404 ; 4-byte Folded Spill
	buffer_store_dword v2, off, s[0:3], s32 offset:408 ; 4-byte Folded Spill
	s_waitcnt vmcnt(0) lgkmcnt(0)
	v_cmp_ne_u16_sdwa s5, v0, v25 src0_sel:BYTE_0 src1_sel:DWORD
	s_and_saveexec_b32 s18, s5
	s_cbranch_execz .LBB206_218
; %bb.211:                              ;   in Loop: Header=BB206_15 Depth=1
	v_bfrev_b32_e32 v1, 1
	v_mov_b32_e32 v2, 0
	v_cmp_ne_u16_sdwa s5, v0, v18 src0_sel:BYTE_0 src1_sel:DWORD
	buffer_store_dword v1, off, s[0:3], s32 offset:404 ; 4-byte Folded Spill
	buffer_store_dword v2, off, s[0:3], s32 offset:408 ; 4-byte Folded Spill
	s_and_saveexec_b32 s19, s5
	s_cbranch_execz .LBB206_217
; %bb.212:                              ;   in Loop: Header=BB206_15 Depth=1
	v_mov_b32_e32 v3, 0x7f800001
	v_and_b32_e32 v2, 0x7f, v0
	v_mov_b32_e32 v4, 0
	s_mov_b32 s20, exec_lo
	buffer_store_dword v3, off, s[0:3], s32 offset:404 ; 4-byte Folded Spill
	buffer_store_dword v4, off, s[0:3], s32 offset:408 ; 4-byte Folded Spill
	v_cmpx_ne_u32_e32 0x7f, v2
	s_cbranch_execz .LBB206_216
; %bb.213:                              ;   in Loop: Header=BB206_15 Depth=1
	v_and_b32_e32 v24, 7, v0
	v_lshrrev_b32_e32 v1, 3, v2
	s_mov_b32 s21, exec_lo
	v_cmpx_gt_u32_e32 8, v2
; %bb.214:                              ;   in Loop: Header=BB206_15 Depth=1
	v_ffbh_u32_e32 v1, v24
	v_min_u32_e32 v1, 32, v1
	v_subrev_nc_u32_e32 v2, 28, v1
	v_sub_nc_u32_e32 v1, 29, v1
	v_lshlrev_b64 v[2:3], v2, v[24:25]
	v_and_b32_e32 v24, 7, v2
; %bb.215:                              ;   in Loop: Header=BB206_15 Depth=1
	s_or_b32 exec_lo, exec_lo, s21
	v_lshlrev_b32_e32 v2, 24, v0
	v_lshlrev_b32_e32 v3, 20, v24
	v_lshl_add_u32 v1, v1, 23, 0x3c000000
	v_and_b32_e32 v2, 0x80000000, v2
	v_or3_b32 v24, v3, v2, v1
	buffer_store_dword v24, off, s[0:3], s32 offset:404 ; 4-byte Folded Spill
	buffer_store_dword v25, off, s[0:3], s32 offset:408 ; 4-byte Folded Spill
.LBB206_216:                            ;   in Loop: Header=BB206_15 Depth=1
	s_or_b32 exec_lo, exec_lo, s20
.LBB206_217:                            ;   in Loop: Header=BB206_15 Depth=1
	s_or_b32 exec_lo, exec_lo, s19
.LBB206_218:                            ;   in Loop: Header=BB206_15 Depth=1
	s_or_b32 exec_lo, exec_lo, s18
	v_cmp_ne_u16_sdwa s5, v0, v25 src0_sel:BYTE_1 src1_sel:DWORD
	s_and_saveexec_b32 s18, s5
	s_cbranch_execz .LBB206_226
; %bb.219:                              ;   in Loop: Header=BB206_15 Depth=1
	v_mov_b32_e32 v39, v25
	v_cmp_ne_u16_sdwa s5, v0, v18 src0_sel:BYTE_1 src1_sel:DWORD
	buffer_store_dword v39, off, s[0:3], s32 offset:412 ; 4-byte Folded Spill
	buffer_store_dword v40, off, s[0:3], s32 offset:416 ; 4-byte Folded Spill
	s_and_saveexec_b32 s19, s5
	s_cbranch_execz .LBB206_225
; %bb.220:                              ;   in Loop: Header=BB206_15 Depth=1
	v_mov_b32_e32 v1, 0xffff
	v_mov_b32_e32 v102, v25
	s_mov_b32 s20, exec_lo
	buffer_store_dword v102, off, s[0:3], s32 offset:412 ; 4-byte Folded Spill
	buffer_store_dword v103, off, s[0:3], s32 offset:416 ; 4-byte Folded Spill
	v_and_b32_sdwa v1, v1, v0 dst_sel:DWORD dst_unused:UNUSED_PAD src0_sel:DWORD src1_sel:BYTE_1
	v_and_b32_e32 v2, 0x7f, v1
	v_cmpx_ne_u32_e32 0x7f, v2
	s_cbranch_execz .LBB206_224
; %bb.221:                              ;   in Loop: Header=BB206_15 Depth=1
	v_and_b32_e32 v24, 7, v1
	v_lshrrev_b32_e32 v1, 3, v2
	s_mov_b32 s21, exec_lo
	v_cmpx_gt_u32_e32 8, v2
; %bb.222:                              ;   in Loop: Header=BB206_15 Depth=1
	v_ffbh_u32_e32 v1, v24
	v_min_u32_e32 v1, 32, v1
	v_subrev_nc_u32_e32 v2, 28, v1
	v_sub_nc_u32_e32 v1, 29, v1
	v_lshlrev_b64 v[2:3], v2, v[24:25]
	v_and_b32_e32 v24, 7, v2
; %bb.223:                              ;   in Loop: Header=BB206_15 Depth=1
	s_or_b32 exec_lo, exec_lo, s21
	v_lshlrev_b32_e32 v2, 16, v0
	v_lshlrev_b32_e32 v3, 20, v24
	v_lshl_add_u32 v1, v1, 23, 0x3c000000
	v_and_b32_e32 v2, 0x80000000, v2
	v_or3_b32 v2, v3, v2, v1
	v_mov_b32_e32 v1, v25
	buffer_store_dword v1, off, s[0:3], s32 offset:412 ; 4-byte Folded Spill
	buffer_store_dword v2, off, s[0:3], s32 offset:416 ; 4-byte Folded Spill
.LBB206_224:                            ;   in Loop: Header=BB206_15 Depth=1
	s_or_b32 exec_lo, exec_lo, s20
.LBB206_225:                            ;   in Loop: Header=BB206_15 Depth=1
	s_or_b32 exec_lo, exec_lo, s19
.LBB206_226:                            ;   in Loop: Header=BB206_15 Depth=1
	s_or_b32 exec_lo, exec_lo, s18
	v_mov_b32_e32 v2, 0
	v_mov_b32_e32 v3, 0
	v_and_b32_sdwa v1, v0, v45 dst_sel:DWORD dst_unused:UNUSED_PAD src0_sel:WORD_1 src1_sel:DWORD
	s_mov_b32 s18, exec_lo
	buffer_store_dword v2, off, s[0:3], s32 offset:420 ; 4-byte Folded Spill
	buffer_store_dword v3, off, s[0:3], s32 offset:424 ; 4-byte Folded Spill
	v_mov_b32_e32 v2, 0
	v_mov_b32_e32 v3, 0
	buffer_store_dword v2, off, s[0:3], s32 offset:428 ; 4-byte Folded Spill
	buffer_store_dword v3, off, s[0:3], s32 offset:432 ; 4-byte Folded Spill
	v_cmpx_ne_u16_e32 0, v1
	s_cbranch_execz .LBB206_234
; %bb.227:                              ;   in Loop: Header=BB206_15 Depth=1
	v_cmp_ne_u16_e64 s5, 0x80, v1
	v_bfrev_b32_e32 v1, 1
	v_mov_b32_e32 v2, 0
	buffer_store_dword v1, off, s[0:3], s32 offset:428 ; 4-byte Folded Spill
	buffer_store_dword v2, off, s[0:3], s32 offset:432 ; 4-byte Folded Spill
	s_and_saveexec_b32 s19, s5
	s_cbranch_execz .LBB206_233
; %bb.228:                              ;   in Loop: Header=BB206_15 Depth=1
	v_mov_b32_e32 v3, 0x7f800001
	v_bfe_u32 v2, v0, 16, 7
	v_mov_b32_e32 v4, 0
	s_mov_b32 s20, exec_lo
	buffer_store_dword v3, off, s[0:3], s32 offset:428 ; 4-byte Folded Spill
	buffer_store_dword v4, off, s[0:3], s32 offset:432 ; 4-byte Folded Spill
	v_cmpx_ne_u32_e32 0x7f, v2
	s_cbranch_execz .LBB206_232
; %bb.229:                              ;   in Loop: Header=BB206_15 Depth=1
	v_mov_b32_e32 v1, 7
	s_mov_b32 s21, exec_lo
	v_and_b32_sdwa v24, v0, v1 dst_sel:DWORD dst_unused:UNUSED_PAD src0_sel:WORD_1 src1_sel:DWORD
	v_lshrrev_b32_e32 v1, 3, v2
	v_cmpx_gt_u32_e32 8, v2
; %bb.230:                              ;   in Loop: Header=BB206_15 Depth=1
	v_ffbh_u32_e32 v1, v24
	v_min_u32_e32 v1, 32, v1
	v_subrev_nc_u32_e32 v2, 28, v1
	v_sub_nc_u32_e32 v1, 29, v1
	v_lshlrev_b64 v[2:3], v2, v[24:25]
	v_and_b32_e32 v24, 7, v2
; %bb.231:                              ;   in Loop: Header=BB206_15 Depth=1
	s_or_b32 exec_lo, exec_lo, s21
	v_mov_b32_e32 v2, 24
	v_lshlrev_b32_e32 v3, 20, v24
	v_lshl_add_u32 v1, v1, 23, 0x3c000000
	v_lshlrev_b32_sdwa v2, v2, v0 dst_sel:DWORD dst_unused:UNUSED_PAD src0_sel:DWORD src1_sel:WORD_1
	v_and_b32_e32 v2, 0x80000000, v2
	v_or3_b32 v24, v3, v2, v1
	buffer_store_dword v24, off, s[0:3], s32 offset:428 ; 4-byte Folded Spill
	buffer_store_dword v25, off, s[0:3], s32 offset:432 ; 4-byte Folded Spill
.LBB206_232:                            ;   in Loop: Header=BB206_15 Depth=1
	s_or_b32 exec_lo, exec_lo, s20
.LBB206_233:                            ;   in Loop: Header=BB206_15 Depth=1
	s_or_b32 exec_lo, exec_lo, s19
.LBB206_234:                            ;   in Loop: Header=BB206_15 Depth=1
	s_or_b32 exec_lo, exec_lo, s18
	s_mov_b32 s18, exec_lo
	v_cmpx_lt_u32_e32 0xffffff, v0
	s_cbranch_execz .LBB206_242
; %bb.235:                              ;   in Loop: Header=BB206_15 Depth=1
	v_mov_b32_e32 v39, v25
	v_cmp_ne_u32_sdwa s5, v0, v18 src0_sel:BYTE_3 src1_sel:DWORD
	buffer_store_dword v39, off, s[0:3], s32 offset:420 ; 4-byte Folded Spill
	buffer_store_dword v40, off, s[0:3], s32 offset:424 ; 4-byte Folded Spill
	s_and_saveexec_b32 s19, s5
	s_cbranch_execz .LBB206_241
; %bb.236:                              ;   in Loop: Header=BB206_15 Depth=1
	v_bfe_u32 v2, v0, 24, 7
	v_mov_b32_e32 v102, v25
	s_mov_b32 s20, exec_lo
	buffer_store_dword v102, off, s[0:3], s32 offset:420 ; 4-byte Folded Spill
	buffer_store_dword v103, off, s[0:3], s32 offset:424 ; 4-byte Folded Spill
	v_cmpx_ne_u32_e32 0x7f, v2
	s_cbranch_execz .LBB206_240
; %bb.237:                              ;   in Loop: Header=BB206_15 Depth=1
	v_mov_b32_e32 v1, 7
	s_mov_b32 s21, exec_lo
	v_and_b32_sdwa v24, v0, v1 dst_sel:DWORD dst_unused:UNUSED_PAD src0_sel:BYTE_3 src1_sel:DWORD
	v_lshrrev_b32_e32 v1, 3, v2
	v_cmpx_gt_u32_e32 8, v2
; %bb.238:                              ;   in Loop: Header=BB206_15 Depth=1
	v_ffbh_u32_e32 v1, v24
	v_min_u32_e32 v1, 32, v1
	v_subrev_nc_u32_e32 v2, 28, v1
	v_sub_nc_u32_e32 v1, 29, v1
	v_lshlrev_b64 v[2:3], v2, v[24:25]
	v_and_b32_e32 v24, 7, v2
; %bb.239:                              ;   in Loop: Header=BB206_15 Depth=1
	s_or_b32 exec_lo, exec_lo, s21
	v_mov_b32_e32 v2, 24
	v_lshl_add_u32 v1, v1, 23, 0x3c000000
	v_lshlrev_b32_sdwa v0, v2, v0 dst_sel:DWORD dst_unused:UNUSED_PAD src0_sel:DWORD src1_sel:BYTE_3
	v_lshlrev_b32_e32 v2, 20, v24
	v_and_b32_e32 v0, 0x80000000, v0
	v_or3_b32 v1, v2, v0, v1
	v_mov_b32_e32 v0, v25
	buffer_store_dword v0, off, s[0:3], s32 offset:420 ; 4-byte Folded Spill
	buffer_store_dword v1, off, s[0:3], s32 offset:424 ; 4-byte Folded Spill
.LBB206_240:                            ;   in Loop: Header=BB206_15 Depth=1
	s_or_b32 exec_lo, exec_lo, s20
.LBB206_241:                            ;   in Loop: Header=BB206_15 Depth=1
	s_or_b32 exec_lo, exec_lo, s19
.LBB206_242:                            ;   in Loop: Header=BB206_15 Depth=1
	s_or_b32 exec_lo, exec_lo, s18
	flat_load_dword v0, v[112:113] offset:524
	v_mov_b32_e32 v1, 0
	v_mov_b32_e32 v2, 0
	buffer_store_dword v1, off, s[0:3], s32 offset:444 ; 4-byte Folded Spill
	buffer_store_dword v2, off, s[0:3], s32 offset:448 ; 4-byte Folded Spill
	v_mov_b32_e32 v1, 0
	v_mov_b32_e32 v2, 0
	buffer_store_dword v1, off, s[0:3], s32 offset:436 ; 4-byte Folded Spill
	buffer_store_dword v2, off, s[0:3], s32 offset:440 ; 4-byte Folded Spill
	s_waitcnt vmcnt(0) lgkmcnt(0)
	v_cmp_ne_u16_sdwa s5, v0, v25 src0_sel:BYTE_0 src1_sel:DWORD
	s_and_saveexec_b32 s18, s5
	s_cbranch_execz .LBB206_250
; %bb.243:                              ;   in Loop: Header=BB206_15 Depth=1
	v_bfrev_b32_e32 v1, 1
	v_mov_b32_e32 v2, 0
	v_cmp_ne_u16_sdwa s5, v0, v18 src0_sel:BYTE_0 src1_sel:DWORD
	buffer_store_dword v1, off, s[0:3], s32 offset:436 ; 4-byte Folded Spill
	buffer_store_dword v2, off, s[0:3], s32 offset:440 ; 4-byte Folded Spill
	s_and_saveexec_b32 s19, s5
	s_cbranch_execz .LBB206_249
; %bb.244:                              ;   in Loop: Header=BB206_15 Depth=1
	v_mov_b32_e32 v3, 0x7f800001
	v_and_b32_e32 v2, 0x7f, v0
	v_mov_b32_e32 v4, 0
	s_mov_b32 s20, exec_lo
	buffer_store_dword v3, off, s[0:3], s32 offset:436 ; 4-byte Folded Spill
	buffer_store_dword v4, off, s[0:3], s32 offset:440 ; 4-byte Folded Spill
	v_cmpx_ne_u32_e32 0x7f, v2
	s_cbranch_execz .LBB206_248
; %bb.245:                              ;   in Loop: Header=BB206_15 Depth=1
	v_and_b32_e32 v24, 7, v0
	v_lshrrev_b32_e32 v1, 3, v2
	s_mov_b32 s21, exec_lo
	v_cmpx_gt_u32_e32 8, v2
; %bb.246:                              ;   in Loop: Header=BB206_15 Depth=1
	v_ffbh_u32_e32 v1, v24
	v_min_u32_e32 v1, 32, v1
	v_subrev_nc_u32_e32 v2, 28, v1
	v_sub_nc_u32_e32 v1, 29, v1
	v_lshlrev_b64 v[2:3], v2, v[24:25]
	v_and_b32_e32 v24, 7, v2
; %bb.247:                              ;   in Loop: Header=BB206_15 Depth=1
	s_or_b32 exec_lo, exec_lo, s21
	v_lshlrev_b32_e32 v2, 24, v0
	v_lshlrev_b32_e32 v3, 20, v24
	v_lshl_add_u32 v1, v1, 23, 0x3c000000
	v_and_b32_e32 v2, 0x80000000, v2
	v_or3_b32 v24, v3, v2, v1
	buffer_store_dword v24, off, s[0:3], s32 offset:436 ; 4-byte Folded Spill
	buffer_store_dword v25, off, s[0:3], s32 offset:440 ; 4-byte Folded Spill
.LBB206_248:                            ;   in Loop: Header=BB206_15 Depth=1
	s_or_b32 exec_lo, exec_lo, s20
.LBB206_249:                            ;   in Loop: Header=BB206_15 Depth=1
	s_or_b32 exec_lo, exec_lo, s19
.LBB206_250:                            ;   in Loop: Header=BB206_15 Depth=1
	s_or_b32 exec_lo, exec_lo, s18
	v_cmp_ne_u16_sdwa s5, v0, v25 src0_sel:BYTE_1 src1_sel:DWORD
	s_and_saveexec_b32 s18, s5
	s_cbranch_execz .LBB206_258
; %bb.251:                              ;   in Loop: Header=BB206_15 Depth=1
	v_mov_b32_e32 v39, v25
	v_cmp_ne_u16_sdwa s5, v0, v18 src0_sel:BYTE_1 src1_sel:DWORD
	buffer_store_dword v39, off, s[0:3], s32 offset:444 ; 4-byte Folded Spill
	buffer_store_dword v40, off, s[0:3], s32 offset:448 ; 4-byte Folded Spill
	s_and_saveexec_b32 s19, s5
	s_cbranch_execz .LBB206_257
; %bb.252:                              ;   in Loop: Header=BB206_15 Depth=1
	v_mov_b32_e32 v1, 0xffff
	v_mov_b32_e32 v102, v25
	s_mov_b32 s20, exec_lo
	buffer_store_dword v102, off, s[0:3], s32 offset:444 ; 4-byte Folded Spill
	buffer_store_dword v103, off, s[0:3], s32 offset:448 ; 4-byte Folded Spill
	v_and_b32_sdwa v1, v1, v0 dst_sel:DWORD dst_unused:UNUSED_PAD src0_sel:DWORD src1_sel:BYTE_1
	v_and_b32_e32 v2, 0x7f, v1
	v_cmpx_ne_u32_e32 0x7f, v2
	s_cbranch_execz .LBB206_256
; %bb.253:                              ;   in Loop: Header=BB206_15 Depth=1
	v_and_b32_e32 v24, 7, v1
	v_lshrrev_b32_e32 v1, 3, v2
	s_mov_b32 s21, exec_lo
	v_cmpx_gt_u32_e32 8, v2
; %bb.254:                              ;   in Loop: Header=BB206_15 Depth=1
	v_ffbh_u32_e32 v1, v24
	v_min_u32_e32 v1, 32, v1
	v_subrev_nc_u32_e32 v2, 28, v1
	v_sub_nc_u32_e32 v1, 29, v1
	v_lshlrev_b64 v[2:3], v2, v[24:25]
	v_and_b32_e32 v24, 7, v2
; %bb.255:                              ;   in Loop: Header=BB206_15 Depth=1
	s_or_b32 exec_lo, exec_lo, s21
	v_lshlrev_b32_e32 v2, 16, v0
	v_lshlrev_b32_e32 v3, 20, v24
	v_lshl_add_u32 v1, v1, 23, 0x3c000000
	v_and_b32_e32 v2, 0x80000000, v2
	v_or3_b32 v2, v3, v2, v1
	v_mov_b32_e32 v1, v25
	buffer_store_dword v1, off, s[0:3], s32 offset:444 ; 4-byte Folded Spill
	buffer_store_dword v2, off, s[0:3], s32 offset:448 ; 4-byte Folded Spill
.LBB206_256:                            ;   in Loop: Header=BB206_15 Depth=1
	s_or_b32 exec_lo, exec_lo, s20
.LBB206_257:                            ;   in Loop: Header=BB206_15 Depth=1
	s_or_b32 exec_lo, exec_lo, s19
.LBB206_258:                            ;   in Loop: Header=BB206_15 Depth=1
	s_or_b32 exec_lo, exec_lo, s18
	v_mov_b32_e32 v2, 0
	v_mov_b32_e32 v3, 0
	v_and_b32_sdwa v1, v0, v45 dst_sel:DWORD dst_unused:UNUSED_PAD src0_sel:WORD_1 src1_sel:DWORD
	s_mov_b32 s18, exec_lo
	buffer_store_dword v2, off, s[0:3], s32 offset:452 ; 4-byte Folded Spill
	buffer_store_dword v3, off, s[0:3], s32 offset:456 ; 4-byte Folded Spill
	v_mov_b32_e32 v2, 0
	v_mov_b32_e32 v3, 0
	buffer_store_dword v2, off, s[0:3], s32 offset:460 ; 4-byte Folded Spill
	buffer_store_dword v3, off, s[0:3], s32 offset:464 ; 4-byte Folded Spill
	v_cmpx_ne_u16_e32 0, v1
	s_cbranch_execz .LBB206_266
; %bb.259:                              ;   in Loop: Header=BB206_15 Depth=1
	v_cmp_ne_u16_e64 s5, 0x80, v1
	v_bfrev_b32_e32 v1, 1
	v_mov_b32_e32 v2, 0
	buffer_store_dword v1, off, s[0:3], s32 offset:460 ; 4-byte Folded Spill
	buffer_store_dword v2, off, s[0:3], s32 offset:464 ; 4-byte Folded Spill
	s_and_saveexec_b32 s19, s5
	s_cbranch_execz .LBB206_265
; %bb.260:                              ;   in Loop: Header=BB206_15 Depth=1
	v_mov_b32_e32 v3, 0x7f800001
	v_bfe_u32 v2, v0, 16, 7
	v_mov_b32_e32 v4, 0
	s_mov_b32 s20, exec_lo
	buffer_store_dword v3, off, s[0:3], s32 offset:460 ; 4-byte Folded Spill
	buffer_store_dword v4, off, s[0:3], s32 offset:464 ; 4-byte Folded Spill
	v_cmpx_ne_u32_e32 0x7f, v2
	s_cbranch_execz .LBB206_264
; %bb.261:                              ;   in Loop: Header=BB206_15 Depth=1
	v_mov_b32_e32 v1, 7
	s_mov_b32 s21, exec_lo
	v_and_b32_sdwa v24, v0, v1 dst_sel:DWORD dst_unused:UNUSED_PAD src0_sel:WORD_1 src1_sel:DWORD
	v_lshrrev_b32_e32 v1, 3, v2
	v_cmpx_gt_u32_e32 8, v2
; %bb.262:                              ;   in Loop: Header=BB206_15 Depth=1
	v_ffbh_u32_e32 v1, v24
	v_min_u32_e32 v1, 32, v1
	v_subrev_nc_u32_e32 v2, 28, v1
	v_sub_nc_u32_e32 v1, 29, v1
	v_lshlrev_b64 v[2:3], v2, v[24:25]
	v_and_b32_e32 v24, 7, v2
; %bb.263:                              ;   in Loop: Header=BB206_15 Depth=1
	s_or_b32 exec_lo, exec_lo, s21
	v_mov_b32_e32 v2, 24
	v_lshlrev_b32_e32 v3, 20, v24
	v_lshl_add_u32 v1, v1, 23, 0x3c000000
	v_lshlrev_b32_sdwa v2, v2, v0 dst_sel:DWORD dst_unused:UNUSED_PAD src0_sel:DWORD src1_sel:WORD_1
	v_and_b32_e32 v2, 0x80000000, v2
	v_or3_b32 v24, v3, v2, v1
	buffer_store_dword v24, off, s[0:3], s32 offset:460 ; 4-byte Folded Spill
	buffer_store_dword v25, off, s[0:3], s32 offset:464 ; 4-byte Folded Spill
.LBB206_264:                            ;   in Loop: Header=BB206_15 Depth=1
	s_or_b32 exec_lo, exec_lo, s20
.LBB206_265:                            ;   in Loop: Header=BB206_15 Depth=1
	s_or_b32 exec_lo, exec_lo, s19
.LBB206_266:                            ;   in Loop: Header=BB206_15 Depth=1
	s_or_b32 exec_lo, exec_lo, s18
	s_mov_b32 s18, exec_lo
	v_cmpx_lt_u32_e32 0xffffff, v0
	s_cbranch_execz .LBB206_274
; %bb.267:                              ;   in Loop: Header=BB206_15 Depth=1
	v_mov_b32_e32 v39, v25
	v_cmp_ne_u32_sdwa s5, v0, v18 src0_sel:BYTE_3 src1_sel:DWORD
	buffer_store_dword v39, off, s[0:3], s32 offset:452 ; 4-byte Folded Spill
	buffer_store_dword v40, off, s[0:3], s32 offset:456 ; 4-byte Folded Spill
	s_and_saveexec_b32 s19, s5
	s_cbranch_execz .LBB206_273
; %bb.268:                              ;   in Loop: Header=BB206_15 Depth=1
	v_bfe_u32 v2, v0, 24, 7
	v_mov_b32_e32 v102, v25
	s_mov_b32 s20, exec_lo
	buffer_store_dword v102, off, s[0:3], s32 offset:452 ; 4-byte Folded Spill
	buffer_store_dword v103, off, s[0:3], s32 offset:456 ; 4-byte Folded Spill
	v_cmpx_ne_u32_e32 0x7f, v2
	s_cbranch_execz .LBB206_272
; %bb.269:                              ;   in Loop: Header=BB206_15 Depth=1
	v_mov_b32_e32 v1, 7
	s_mov_b32 s21, exec_lo
	v_and_b32_sdwa v24, v0, v1 dst_sel:DWORD dst_unused:UNUSED_PAD src0_sel:BYTE_3 src1_sel:DWORD
	v_lshrrev_b32_e32 v1, 3, v2
	v_cmpx_gt_u32_e32 8, v2
; %bb.270:                              ;   in Loop: Header=BB206_15 Depth=1
	v_ffbh_u32_e32 v1, v24
	v_min_u32_e32 v1, 32, v1
	v_subrev_nc_u32_e32 v2, 28, v1
	v_sub_nc_u32_e32 v1, 29, v1
	v_lshlrev_b64 v[2:3], v2, v[24:25]
	v_and_b32_e32 v24, 7, v2
; %bb.271:                              ;   in Loop: Header=BB206_15 Depth=1
	s_or_b32 exec_lo, exec_lo, s21
	v_mov_b32_e32 v2, 24
	v_lshl_add_u32 v1, v1, 23, 0x3c000000
	v_lshlrev_b32_sdwa v0, v2, v0 dst_sel:DWORD dst_unused:UNUSED_PAD src0_sel:DWORD src1_sel:BYTE_3
	v_lshlrev_b32_e32 v2, 20, v24
	v_and_b32_e32 v0, 0x80000000, v0
	v_or3_b32 v1, v2, v0, v1
	v_mov_b32_e32 v0, v25
	buffer_store_dword v0, off, s[0:3], s32 offset:452 ; 4-byte Folded Spill
	buffer_store_dword v1, off, s[0:3], s32 offset:456 ; 4-byte Folded Spill
.LBB206_272:                            ;   in Loop: Header=BB206_15 Depth=1
	s_or_b32 exec_lo, exec_lo, s20
.LBB206_273:                            ;   in Loop: Header=BB206_15 Depth=1
	s_or_b32 exec_lo, exec_lo, s19
.LBB206_274:                            ;   in Loop: Header=BB206_15 Depth=1
	s_or_b32 exec_lo, exec_lo, s18
	flat_load_dword v0, v[112:113] offset:1024
	v_mov_b32_e32 v1, 0
	v_mov_b32_e32 v2, 0
	buffer_store_dword v1, off, s[0:3], s32 offset:476 ; 4-byte Folded Spill
	buffer_store_dword v2, off, s[0:3], s32 offset:480 ; 4-byte Folded Spill
	v_mov_b32_e32 v1, 0
	v_mov_b32_e32 v2, 0
	buffer_store_dword v1, off, s[0:3], s32 offset:468 ; 4-byte Folded Spill
	buffer_store_dword v2, off, s[0:3], s32 offset:472 ; 4-byte Folded Spill
	s_waitcnt vmcnt(0) lgkmcnt(0)
	v_cmp_ne_u16_sdwa s5, v0, v25 src0_sel:BYTE_0 src1_sel:DWORD
	s_and_saveexec_b32 s18, s5
	s_cbranch_execz .LBB206_282
; %bb.275:                              ;   in Loop: Header=BB206_15 Depth=1
	v_bfrev_b32_e32 v1, 1
	v_mov_b32_e32 v2, 0
	v_cmp_ne_u16_sdwa s5, v0, v18 src0_sel:BYTE_0 src1_sel:DWORD
	buffer_store_dword v1, off, s[0:3], s32 offset:468 ; 4-byte Folded Spill
	buffer_store_dword v2, off, s[0:3], s32 offset:472 ; 4-byte Folded Spill
	s_and_saveexec_b32 s19, s5
	s_cbranch_execz .LBB206_281
; %bb.276:                              ;   in Loop: Header=BB206_15 Depth=1
	v_mov_b32_e32 v3, 0x7f800001
	v_and_b32_e32 v2, 0x7f, v0
	v_mov_b32_e32 v4, 0
	s_mov_b32 s20, exec_lo
	buffer_store_dword v3, off, s[0:3], s32 offset:468 ; 4-byte Folded Spill
	buffer_store_dword v4, off, s[0:3], s32 offset:472 ; 4-byte Folded Spill
	v_cmpx_ne_u32_e32 0x7f, v2
	s_cbranch_execz .LBB206_280
; %bb.277:                              ;   in Loop: Header=BB206_15 Depth=1
	v_and_b32_e32 v24, 7, v0
	v_lshrrev_b32_e32 v1, 3, v2
	s_mov_b32 s21, exec_lo
	v_cmpx_gt_u32_e32 8, v2
; %bb.278:                              ;   in Loop: Header=BB206_15 Depth=1
	v_ffbh_u32_e32 v1, v24
	v_min_u32_e32 v1, 32, v1
	v_subrev_nc_u32_e32 v2, 28, v1
	v_sub_nc_u32_e32 v1, 29, v1
	v_lshlrev_b64 v[2:3], v2, v[24:25]
	v_and_b32_e32 v24, 7, v2
; %bb.279:                              ;   in Loop: Header=BB206_15 Depth=1
	s_or_b32 exec_lo, exec_lo, s21
	v_lshlrev_b32_e32 v2, 24, v0
	v_lshlrev_b32_e32 v3, 20, v24
	v_lshl_add_u32 v1, v1, 23, 0x3c000000
	v_and_b32_e32 v2, 0x80000000, v2
	v_or3_b32 v24, v3, v2, v1
	buffer_store_dword v24, off, s[0:3], s32 offset:468 ; 4-byte Folded Spill
	buffer_store_dword v25, off, s[0:3], s32 offset:472 ; 4-byte Folded Spill
.LBB206_280:                            ;   in Loop: Header=BB206_15 Depth=1
	s_or_b32 exec_lo, exec_lo, s20
.LBB206_281:                            ;   in Loop: Header=BB206_15 Depth=1
	s_or_b32 exec_lo, exec_lo, s19
.LBB206_282:                            ;   in Loop: Header=BB206_15 Depth=1
	s_or_b32 exec_lo, exec_lo, s18
	v_cmp_ne_u16_sdwa s5, v0, v25 src0_sel:BYTE_1 src1_sel:DWORD
	s_and_saveexec_b32 s18, s5
	s_cbranch_execz .LBB206_290
; %bb.283:                              ;   in Loop: Header=BB206_15 Depth=1
	v_mov_b32_e32 v39, v25
	v_cmp_ne_u16_sdwa s5, v0, v18 src0_sel:BYTE_1 src1_sel:DWORD
	buffer_store_dword v39, off, s[0:3], s32 offset:476 ; 4-byte Folded Spill
	buffer_store_dword v40, off, s[0:3], s32 offset:480 ; 4-byte Folded Spill
	s_and_saveexec_b32 s19, s5
	s_cbranch_execz .LBB206_289
; %bb.284:                              ;   in Loop: Header=BB206_15 Depth=1
	v_mov_b32_e32 v1, 0xffff
	v_mov_b32_e32 v102, v25
	s_mov_b32 s20, exec_lo
	buffer_store_dword v102, off, s[0:3], s32 offset:476 ; 4-byte Folded Spill
	buffer_store_dword v103, off, s[0:3], s32 offset:480 ; 4-byte Folded Spill
	v_and_b32_sdwa v1, v1, v0 dst_sel:DWORD dst_unused:UNUSED_PAD src0_sel:DWORD src1_sel:BYTE_1
	v_and_b32_e32 v2, 0x7f, v1
	v_cmpx_ne_u32_e32 0x7f, v2
	s_cbranch_execz .LBB206_288
; %bb.285:                              ;   in Loop: Header=BB206_15 Depth=1
	v_and_b32_e32 v24, 7, v1
	v_lshrrev_b32_e32 v1, 3, v2
	s_mov_b32 s21, exec_lo
	v_cmpx_gt_u32_e32 8, v2
; %bb.286:                              ;   in Loop: Header=BB206_15 Depth=1
	v_ffbh_u32_e32 v1, v24
	v_min_u32_e32 v1, 32, v1
	v_subrev_nc_u32_e32 v2, 28, v1
	v_sub_nc_u32_e32 v1, 29, v1
	v_lshlrev_b64 v[2:3], v2, v[24:25]
	v_and_b32_e32 v24, 7, v2
; %bb.287:                              ;   in Loop: Header=BB206_15 Depth=1
	s_or_b32 exec_lo, exec_lo, s21
	v_lshlrev_b32_e32 v2, 16, v0
	v_lshlrev_b32_e32 v3, 20, v24
	v_lshl_add_u32 v1, v1, 23, 0x3c000000
	v_and_b32_e32 v2, 0x80000000, v2
	v_or3_b32 v2, v3, v2, v1
	v_mov_b32_e32 v1, v25
	buffer_store_dword v1, off, s[0:3], s32 offset:476 ; 4-byte Folded Spill
	buffer_store_dword v2, off, s[0:3], s32 offset:480 ; 4-byte Folded Spill
.LBB206_288:                            ;   in Loop: Header=BB206_15 Depth=1
	s_or_b32 exec_lo, exec_lo, s20
.LBB206_289:                            ;   in Loop: Header=BB206_15 Depth=1
	s_or_b32 exec_lo, exec_lo, s19
.LBB206_290:                            ;   in Loop: Header=BB206_15 Depth=1
	s_or_b32 exec_lo, exec_lo, s18
	v_mov_b32_e32 v2, 0
	v_mov_b32_e32 v3, 0
	v_and_b32_sdwa v1, v0, v45 dst_sel:DWORD dst_unused:UNUSED_PAD src0_sel:WORD_1 src1_sel:DWORD
	s_mov_b32 s18, exec_lo
	buffer_store_dword v2, off, s[0:3], s32 offset:484 ; 4-byte Folded Spill
	buffer_store_dword v3, off, s[0:3], s32 offset:488 ; 4-byte Folded Spill
	v_mov_b32_e32 v2, 0
	v_mov_b32_e32 v3, 0
	buffer_store_dword v2, off, s[0:3], s32 offset:492 ; 4-byte Folded Spill
	buffer_store_dword v3, off, s[0:3], s32 offset:496 ; 4-byte Folded Spill
	v_cmpx_ne_u16_e32 0, v1
	s_cbranch_execz .LBB206_298
; %bb.291:                              ;   in Loop: Header=BB206_15 Depth=1
	v_cmp_ne_u16_e64 s5, 0x80, v1
	v_bfrev_b32_e32 v1, 1
	v_mov_b32_e32 v2, 0
	buffer_store_dword v1, off, s[0:3], s32 offset:492 ; 4-byte Folded Spill
	buffer_store_dword v2, off, s[0:3], s32 offset:496 ; 4-byte Folded Spill
	s_and_saveexec_b32 s19, s5
	s_cbranch_execz .LBB206_297
; %bb.292:                              ;   in Loop: Header=BB206_15 Depth=1
	v_mov_b32_e32 v3, 0x7f800001
	v_bfe_u32 v2, v0, 16, 7
	v_mov_b32_e32 v4, 0
	s_mov_b32 s20, exec_lo
	buffer_store_dword v3, off, s[0:3], s32 offset:492 ; 4-byte Folded Spill
	buffer_store_dword v4, off, s[0:3], s32 offset:496 ; 4-byte Folded Spill
	v_cmpx_ne_u32_e32 0x7f, v2
	s_cbranch_execz .LBB206_296
; %bb.293:                              ;   in Loop: Header=BB206_15 Depth=1
	v_mov_b32_e32 v1, 7
	s_mov_b32 s21, exec_lo
	v_and_b32_sdwa v24, v0, v1 dst_sel:DWORD dst_unused:UNUSED_PAD src0_sel:WORD_1 src1_sel:DWORD
	v_lshrrev_b32_e32 v1, 3, v2
	v_cmpx_gt_u32_e32 8, v2
; %bb.294:                              ;   in Loop: Header=BB206_15 Depth=1
	v_ffbh_u32_e32 v1, v24
	v_min_u32_e32 v1, 32, v1
	v_subrev_nc_u32_e32 v2, 28, v1
	v_sub_nc_u32_e32 v1, 29, v1
	v_lshlrev_b64 v[2:3], v2, v[24:25]
	v_and_b32_e32 v24, 7, v2
; %bb.295:                              ;   in Loop: Header=BB206_15 Depth=1
	s_or_b32 exec_lo, exec_lo, s21
	v_mov_b32_e32 v2, 24
	v_lshlrev_b32_e32 v3, 20, v24
	v_lshl_add_u32 v1, v1, 23, 0x3c000000
	v_lshlrev_b32_sdwa v2, v2, v0 dst_sel:DWORD dst_unused:UNUSED_PAD src0_sel:DWORD src1_sel:WORD_1
	v_and_b32_e32 v2, 0x80000000, v2
	v_or3_b32 v24, v3, v2, v1
	buffer_store_dword v24, off, s[0:3], s32 offset:492 ; 4-byte Folded Spill
	buffer_store_dword v25, off, s[0:3], s32 offset:496 ; 4-byte Folded Spill
.LBB206_296:                            ;   in Loop: Header=BB206_15 Depth=1
	s_or_b32 exec_lo, exec_lo, s20
.LBB206_297:                            ;   in Loop: Header=BB206_15 Depth=1
	s_or_b32 exec_lo, exec_lo, s19
.LBB206_298:                            ;   in Loop: Header=BB206_15 Depth=1
	s_or_b32 exec_lo, exec_lo, s18
	s_mov_b32 s18, exec_lo
	v_cmpx_lt_u32_e32 0xffffff, v0
	s_cbranch_execz .LBB206_306
; %bb.299:                              ;   in Loop: Header=BB206_15 Depth=1
	v_mov_b32_e32 v39, v25
	v_cmp_ne_u32_sdwa s5, v0, v18 src0_sel:BYTE_3 src1_sel:DWORD
	buffer_store_dword v39, off, s[0:3], s32 offset:484 ; 4-byte Folded Spill
	buffer_store_dword v40, off, s[0:3], s32 offset:488 ; 4-byte Folded Spill
	s_and_saveexec_b32 s19, s5
	s_cbranch_execz .LBB206_305
; %bb.300:                              ;   in Loop: Header=BB206_15 Depth=1
	v_bfe_u32 v2, v0, 24, 7
	v_mov_b32_e32 v102, v25
	s_mov_b32 s20, exec_lo
	buffer_store_dword v102, off, s[0:3], s32 offset:484 ; 4-byte Folded Spill
	buffer_store_dword v103, off, s[0:3], s32 offset:488 ; 4-byte Folded Spill
	v_cmpx_ne_u32_e32 0x7f, v2
	s_cbranch_execz .LBB206_304
; %bb.301:                              ;   in Loop: Header=BB206_15 Depth=1
	v_mov_b32_e32 v1, 7
	s_mov_b32 s21, exec_lo
	v_and_b32_sdwa v24, v0, v1 dst_sel:DWORD dst_unused:UNUSED_PAD src0_sel:BYTE_3 src1_sel:DWORD
	v_lshrrev_b32_e32 v1, 3, v2
	v_cmpx_gt_u32_e32 8, v2
; %bb.302:                              ;   in Loop: Header=BB206_15 Depth=1
	v_ffbh_u32_e32 v1, v24
	v_min_u32_e32 v1, 32, v1
	v_subrev_nc_u32_e32 v2, 28, v1
	v_sub_nc_u32_e32 v1, 29, v1
	v_lshlrev_b64 v[2:3], v2, v[24:25]
	v_and_b32_e32 v24, 7, v2
; %bb.303:                              ;   in Loop: Header=BB206_15 Depth=1
	s_or_b32 exec_lo, exec_lo, s21
	v_mov_b32_e32 v2, 24
	v_lshl_add_u32 v1, v1, 23, 0x3c000000
	v_lshlrev_b32_sdwa v0, v2, v0 dst_sel:DWORD dst_unused:UNUSED_PAD src0_sel:DWORD src1_sel:BYTE_3
	v_lshlrev_b32_e32 v2, 20, v24
	v_and_b32_e32 v0, 0x80000000, v0
	v_or3_b32 v1, v2, v0, v1
	v_mov_b32_e32 v0, v25
	buffer_store_dword v0, off, s[0:3], s32 offset:484 ; 4-byte Folded Spill
	buffer_store_dword v1, off, s[0:3], s32 offset:488 ; 4-byte Folded Spill
.LBB206_304:                            ;   in Loop: Header=BB206_15 Depth=1
	s_or_b32 exec_lo, exec_lo, s20
.LBB206_305:                            ;   in Loop: Header=BB206_15 Depth=1
	s_or_b32 exec_lo, exec_lo, s19
.LBB206_306:                            ;   in Loop: Header=BB206_15 Depth=1
	s_or_b32 exec_lo, exec_lo, s18
	flat_load_dword v0, v[112:113] offset:1028
	v_mov_b32_e32 v1, 0
	v_mov_b32_e32 v2, 0
	buffer_store_dword v1, off, s[0:3], s32 offset:508 ; 4-byte Folded Spill
	buffer_store_dword v2, off, s[0:3], s32 offset:512 ; 4-byte Folded Spill
	v_mov_b32_e32 v1, 0
	v_mov_b32_e32 v2, 0
	buffer_store_dword v1, off, s[0:3], s32 offset:500 ; 4-byte Folded Spill
	buffer_store_dword v2, off, s[0:3], s32 offset:504 ; 4-byte Folded Spill
	s_waitcnt vmcnt(0) lgkmcnt(0)
	v_cmp_ne_u16_sdwa s5, v0, v25 src0_sel:BYTE_0 src1_sel:DWORD
	s_and_saveexec_b32 s18, s5
	s_cbranch_execz .LBB206_314
; %bb.307:                              ;   in Loop: Header=BB206_15 Depth=1
	v_bfrev_b32_e32 v1, 1
	v_mov_b32_e32 v2, 0
	v_cmp_ne_u16_sdwa s5, v0, v18 src0_sel:BYTE_0 src1_sel:DWORD
	buffer_store_dword v1, off, s[0:3], s32 offset:500 ; 4-byte Folded Spill
	buffer_store_dword v2, off, s[0:3], s32 offset:504 ; 4-byte Folded Spill
	s_and_saveexec_b32 s19, s5
	s_cbranch_execz .LBB206_313
; %bb.308:                              ;   in Loop: Header=BB206_15 Depth=1
	v_mov_b32_e32 v3, 0x7f800001
	v_and_b32_e32 v2, 0x7f, v0
	v_mov_b32_e32 v4, 0
	s_mov_b32 s20, exec_lo
	buffer_store_dword v3, off, s[0:3], s32 offset:500 ; 4-byte Folded Spill
	buffer_store_dword v4, off, s[0:3], s32 offset:504 ; 4-byte Folded Spill
	v_cmpx_ne_u32_e32 0x7f, v2
	s_cbranch_execz .LBB206_312
; %bb.309:                              ;   in Loop: Header=BB206_15 Depth=1
	v_and_b32_e32 v24, 7, v0
	v_lshrrev_b32_e32 v1, 3, v2
	s_mov_b32 s21, exec_lo
	v_cmpx_gt_u32_e32 8, v2
; %bb.310:                              ;   in Loop: Header=BB206_15 Depth=1
	v_ffbh_u32_e32 v1, v24
	v_min_u32_e32 v1, 32, v1
	v_subrev_nc_u32_e32 v2, 28, v1
	v_sub_nc_u32_e32 v1, 29, v1
	v_lshlrev_b64 v[2:3], v2, v[24:25]
	v_and_b32_e32 v24, 7, v2
; %bb.311:                              ;   in Loop: Header=BB206_15 Depth=1
	s_or_b32 exec_lo, exec_lo, s21
	v_lshlrev_b32_e32 v2, 24, v0
	v_lshlrev_b32_e32 v3, 20, v24
	v_lshl_add_u32 v1, v1, 23, 0x3c000000
	v_and_b32_e32 v2, 0x80000000, v2
	v_or3_b32 v24, v3, v2, v1
	buffer_store_dword v24, off, s[0:3], s32 offset:500 ; 4-byte Folded Spill
	buffer_store_dword v25, off, s[0:3], s32 offset:504 ; 4-byte Folded Spill
.LBB206_312:                            ;   in Loop: Header=BB206_15 Depth=1
	s_or_b32 exec_lo, exec_lo, s20
.LBB206_313:                            ;   in Loop: Header=BB206_15 Depth=1
	s_or_b32 exec_lo, exec_lo, s19
.LBB206_314:                            ;   in Loop: Header=BB206_15 Depth=1
	s_or_b32 exec_lo, exec_lo, s18
	v_cmp_ne_u16_sdwa s5, v0, v25 src0_sel:BYTE_1 src1_sel:DWORD
	s_and_saveexec_b32 s18, s5
	s_cbranch_execz .LBB206_322
; %bb.315:                              ;   in Loop: Header=BB206_15 Depth=1
	v_mov_b32_e32 v39, v25
	v_cmp_ne_u16_sdwa s5, v0, v18 src0_sel:BYTE_1 src1_sel:DWORD
	buffer_store_dword v39, off, s[0:3], s32 offset:508 ; 4-byte Folded Spill
	buffer_store_dword v40, off, s[0:3], s32 offset:512 ; 4-byte Folded Spill
	s_and_saveexec_b32 s19, s5
	s_cbranch_execz .LBB206_321
; %bb.316:                              ;   in Loop: Header=BB206_15 Depth=1
	v_mov_b32_e32 v1, 0xffff
	v_mov_b32_e32 v102, v25
	s_mov_b32 s20, exec_lo
	buffer_store_dword v102, off, s[0:3], s32 offset:508 ; 4-byte Folded Spill
	buffer_store_dword v103, off, s[0:3], s32 offset:512 ; 4-byte Folded Spill
	v_and_b32_sdwa v1, v1, v0 dst_sel:DWORD dst_unused:UNUSED_PAD src0_sel:DWORD src1_sel:BYTE_1
	v_and_b32_e32 v2, 0x7f, v1
	v_cmpx_ne_u32_e32 0x7f, v2
	s_cbranch_execz .LBB206_320
; %bb.317:                              ;   in Loop: Header=BB206_15 Depth=1
	v_and_b32_e32 v24, 7, v1
	v_lshrrev_b32_e32 v1, 3, v2
	s_mov_b32 s21, exec_lo
	v_cmpx_gt_u32_e32 8, v2
; %bb.318:                              ;   in Loop: Header=BB206_15 Depth=1
	v_ffbh_u32_e32 v1, v24
	v_min_u32_e32 v1, 32, v1
	v_subrev_nc_u32_e32 v2, 28, v1
	v_sub_nc_u32_e32 v1, 29, v1
	v_lshlrev_b64 v[2:3], v2, v[24:25]
	v_and_b32_e32 v24, 7, v2
; %bb.319:                              ;   in Loop: Header=BB206_15 Depth=1
	s_or_b32 exec_lo, exec_lo, s21
	v_lshlrev_b32_e32 v2, 16, v0
	v_lshlrev_b32_e32 v3, 20, v24
	v_lshl_add_u32 v1, v1, 23, 0x3c000000
	v_and_b32_e32 v2, 0x80000000, v2
	v_or3_b32 v2, v3, v2, v1
	v_mov_b32_e32 v1, v25
	buffer_store_dword v1, off, s[0:3], s32 offset:508 ; 4-byte Folded Spill
	buffer_store_dword v2, off, s[0:3], s32 offset:512 ; 4-byte Folded Spill
.LBB206_320:                            ;   in Loop: Header=BB206_15 Depth=1
	s_or_b32 exec_lo, exec_lo, s20
.LBB206_321:                            ;   in Loop: Header=BB206_15 Depth=1
	s_or_b32 exec_lo, exec_lo, s19
.LBB206_322:                            ;   in Loop: Header=BB206_15 Depth=1
	s_or_b32 exec_lo, exec_lo, s18
	v_mov_b32_e32 v2, 0
	v_mov_b32_e32 v3, 0
	v_and_b32_sdwa v1, v0, v45 dst_sel:DWORD dst_unused:UNUSED_PAD src0_sel:WORD_1 src1_sel:DWORD
	s_mov_b32 s18, exec_lo
	buffer_store_dword v2, off, s[0:3], s32 offset:516 ; 4-byte Folded Spill
	buffer_store_dword v3, off, s[0:3], s32 offset:520 ; 4-byte Folded Spill
	v_mov_b32_e32 v2, 0
	v_mov_b32_e32 v3, 0
	buffer_store_dword v2, off, s[0:3], s32 offset:524 ; 4-byte Folded Spill
	buffer_store_dword v3, off, s[0:3], s32 offset:528 ; 4-byte Folded Spill
	v_cmpx_ne_u16_e32 0, v1
	s_cbranch_execz .LBB206_330
; %bb.323:                              ;   in Loop: Header=BB206_15 Depth=1
	v_cmp_ne_u16_e64 s5, 0x80, v1
	v_bfrev_b32_e32 v1, 1
	v_mov_b32_e32 v2, 0
	buffer_store_dword v1, off, s[0:3], s32 offset:524 ; 4-byte Folded Spill
	buffer_store_dword v2, off, s[0:3], s32 offset:528 ; 4-byte Folded Spill
	s_and_saveexec_b32 s19, s5
	s_cbranch_execz .LBB206_329
; %bb.324:                              ;   in Loop: Header=BB206_15 Depth=1
	v_mov_b32_e32 v3, 0x7f800001
	v_bfe_u32 v2, v0, 16, 7
	v_mov_b32_e32 v4, 0
	s_mov_b32 s20, exec_lo
	buffer_store_dword v3, off, s[0:3], s32 offset:524 ; 4-byte Folded Spill
	buffer_store_dword v4, off, s[0:3], s32 offset:528 ; 4-byte Folded Spill
	v_cmpx_ne_u32_e32 0x7f, v2
	s_cbranch_execz .LBB206_328
; %bb.325:                              ;   in Loop: Header=BB206_15 Depth=1
	v_mov_b32_e32 v1, 7
	s_mov_b32 s21, exec_lo
	v_and_b32_sdwa v24, v0, v1 dst_sel:DWORD dst_unused:UNUSED_PAD src0_sel:WORD_1 src1_sel:DWORD
	v_lshrrev_b32_e32 v1, 3, v2
	v_cmpx_gt_u32_e32 8, v2
; %bb.326:                              ;   in Loop: Header=BB206_15 Depth=1
	v_ffbh_u32_e32 v1, v24
	v_min_u32_e32 v1, 32, v1
	v_subrev_nc_u32_e32 v2, 28, v1
	v_sub_nc_u32_e32 v1, 29, v1
	v_lshlrev_b64 v[2:3], v2, v[24:25]
	v_and_b32_e32 v24, 7, v2
; %bb.327:                              ;   in Loop: Header=BB206_15 Depth=1
	s_or_b32 exec_lo, exec_lo, s21
	v_mov_b32_e32 v2, 24
	v_lshlrev_b32_e32 v3, 20, v24
	v_lshl_add_u32 v1, v1, 23, 0x3c000000
	v_lshlrev_b32_sdwa v2, v2, v0 dst_sel:DWORD dst_unused:UNUSED_PAD src0_sel:DWORD src1_sel:WORD_1
	v_and_b32_e32 v2, 0x80000000, v2
	v_or3_b32 v24, v3, v2, v1
	buffer_store_dword v24, off, s[0:3], s32 offset:524 ; 4-byte Folded Spill
	buffer_store_dword v25, off, s[0:3], s32 offset:528 ; 4-byte Folded Spill
.LBB206_328:                            ;   in Loop: Header=BB206_15 Depth=1
	s_or_b32 exec_lo, exec_lo, s20
.LBB206_329:                            ;   in Loop: Header=BB206_15 Depth=1
	s_or_b32 exec_lo, exec_lo, s19
.LBB206_330:                            ;   in Loop: Header=BB206_15 Depth=1
	s_or_b32 exec_lo, exec_lo, s18
	s_mov_b32 s18, exec_lo
	v_cmpx_lt_u32_e32 0xffffff, v0
	s_cbranch_execz .LBB206_338
; %bb.331:                              ;   in Loop: Header=BB206_15 Depth=1
	v_mov_b32_e32 v39, v25
	v_cmp_ne_u32_sdwa s5, v0, v18 src0_sel:BYTE_3 src1_sel:DWORD
	buffer_store_dword v39, off, s[0:3], s32 offset:516 ; 4-byte Folded Spill
	buffer_store_dword v40, off, s[0:3], s32 offset:520 ; 4-byte Folded Spill
	s_and_saveexec_b32 s19, s5
	s_cbranch_execz .LBB206_337
; %bb.332:                              ;   in Loop: Header=BB206_15 Depth=1
	v_bfe_u32 v2, v0, 24, 7
	v_mov_b32_e32 v102, v25
	s_mov_b32 s20, exec_lo
	buffer_store_dword v102, off, s[0:3], s32 offset:516 ; 4-byte Folded Spill
	buffer_store_dword v103, off, s[0:3], s32 offset:520 ; 4-byte Folded Spill
	v_cmpx_ne_u32_e32 0x7f, v2
	s_cbranch_execz .LBB206_336
; %bb.333:                              ;   in Loop: Header=BB206_15 Depth=1
	v_mov_b32_e32 v1, 7
	s_mov_b32 s21, exec_lo
	v_and_b32_sdwa v24, v0, v1 dst_sel:DWORD dst_unused:UNUSED_PAD src0_sel:BYTE_3 src1_sel:DWORD
	v_lshrrev_b32_e32 v1, 3, v2
	v_cmpx_gt_u32_e32 8, v2
; %bb.334:                              ;   in Loop: Header=BB206_15 Depth=1
	v_ffbh_u32_e32 v1, v24
	v_min_u32_e32 v1, 32, v1
	v_subrev_nc_u32_e32 v2, 28, v1
	v_sub_nc_u32_e32 v1, 29, v1
	v_lshlrev_b64 v[2:3], v2, v[24:25]
	v_and_b32_e32 v24, 7, v2
; %bb.335:                              ;   in Loop: Header=BB206_15 Depth=1
	s_or_b32 exec_lo, exec_lo, s21
	v_mov_b32_e32 v2, 24
	v_lshl_add_u32 v1, v1, 23, 0x3c000000
	v_lshlrev_b32_sdwa v0, v2, v0 dst_sel:DWORD dst_unused:UNUSED_PAD src0_sel:DWORD src1_sel:BYTE_3
	v_lshlrev_b32_e32 v2, 20, v24
	v_and_b32_e32 v0, 0x80000000, v0
	v_or3_b32 v1, v2, v0, v1
	v_mov_b32_e32 v0, v25
	buffer_store_dword v0, off, s[0:3], s32 offset:516 ; 4-byte Folded Spill
	buffer_store_dword v1, off, s[0:3], s32 offset:520 ; 4-byte Folded Spill
.LBB206_336:                            ;   in Loop: Header=BB206_15 Depth=1
	s_or_b32 exec_lo, exec_lo, s20
.LBB206_337:                            ;   in Loop: Header=BB206_15 Depth=1
	s_or_b32 exec_lo, exec_lo, s19
.LBB206_338:                            ;   in Loop: Header=BB206_15 Depth=1
	s_or_b32 exec_lo, exec_lo, s18
	flat_load_dword v0, v[112:113] offset:1032
	v_mov_b32_e32 v1, 0
	v_mov_b32_e32 v2, 0
	buffer_store_dword v1, off, s[0:3], s32 offset:540 ; 4-byte Folded Spill
	buffer_store_dword v2, off, s[0:3], s32 offset:544 ; 4-byte Folded Spill
	v_mov_b32_e32 v1, 0
	v_mov_b32_e32 v2, 0
	buffer_store_dword v1, off, s[0:3], s32 offset:532 ; 4-byte Folded Spill
	buffer_store_dword v2, off, s[0:3], s32 offset:536 ; 4-byte Folded Spill
	s_waitcnt vmcnt(0) lgkmcnt(0)
	v_cmp_ne_u16_sdwa s5, v0, v25 src0_sel:BYTE_0 src1_sel:DWORD
	s_and_saveexec_b32 s18, s5
	s_cbranch_execz .LBB206_346
; %bb.339:                              ;   in Loop: Header=BB206_15 Depth=1
	v_bfrev_b32_e32 v1, 1
	v_mov_b32_e32 v2, 0
	v_cmp_ne_u16_sdwa s5, v0, v18 src0_sel:BYTE_0 src1_sel:DWORD
	buffer_store_dword v1, off, s[0:3], s32 offset:532 ; 4-byte Folded Spill
	buffer_store_dword v2, off, s[0:3], s32 offset:536 ; 4-byte Folded Spill
	s_and_saveexec_b32 s19, s5
	s_cbranch_execz .LBB206_345
; %bb.340:                              ;   in Loop: Header=BB206_15 Depth=1
	v_mov_b32_e32 v3, 0x7f800001
	v_and_b32_e32 v2, 0x7f, v0
	v_mov_b32_e32 v4, 0
	s_mov_b32 s20, exec_lo
	buffer_store_dword v3, off, s[0:3], s32 offset:532 ; 4-byte Folded Spill
	buffer_store_dword v4, off, s[0:3], s32 offset:536 ; 4-byte Folded Spill
	v_cmpx_ne_u32_e32 0x7f, v2
	s_cbranch_execz .LBB206_344
; %bb.341:                              ;   in Loop: Header=BB206_15 Depth=1
	v_and_b32_e32 v24, 7, v0
	v_lshrrev_b32_e32 v1, 3, v2
	s_mov_b32 s21, exec_lo
	v_cmpx_gt_u32_e32 8, v2
; %bb.342:                              ;   in Loop: Header=BB206_15 Depth=1
	v_ffbh_u32_e32 v1, v24
	v_min_u32_e32 v1, 32, v1
	v_subrev_nc_u32_e32 v2, 28, v1
	v_sub_nc_u32_e32 v1, 29, v1
	v_lshlrev_b64 v[2:3], v2, v[24:25]
	v_and_b32_e32 v24, 7, v2
; %bb.343:                              ;   in Loop: Header=BB206_15 Depth=1
	s_or_b32 exec_lo, exec_lo, s21
	v_lshlrev_b32_e32 v2, 24, v0
	v_lshlrev_b32_e32 v3, 20, v24
	v_lshl_add_u32 v1, v1, 23, 0x3c000000
	v_and_b32_e32 v2, 0x80000000, v2
	v_or3_b32 v24, v3, v2, v1
	buffer_store_dword v24, off, s[0:3], s32 offset:532 ; 4-byte Folded Spill
	buffer_store_dword v25, off, s[0:3], s32 offset:536 ; 4-byte Folded Spill
.LBB206_344:                            ;   in Loop: Header=BB206_15 Depth=1
	s_or_b32 exec_lo, exec_lo, s20
.LBB206_345:                            ;   in Loop: Header=BB206_15 Depth=1
	s_or_b32 exec_lo, exec_lo, s19
.LBB206_346:                            ;   in Loop: Header=BB206_15 Depth=1
	s_or_b32 exec_lo, exec_lo, s18
	v_cmp_ne_u16_sdwa s5, v0, v25 src0_sel:BYTE_1 src1_sel:DWORD
	s_and_saveexec_b32 s18, s5
	s_cbranch_execz .LBB206_354
; %bb.347:                              ;   in Loop: Header=BB206_15 Depth=1
	v_mov_b32_e32 v39, v25
	v_cmp_ne_u16_sdwa s5, v0, v18 src0_sel:BYTE_1 src1_sel:DWORD
	buffer_store_dword v39, off, s[0:3], s32 offset:540 ; 4-byte Folded Spill
	buffer_store_dword v40, off, s[0:3], s32 offset:544 ; 4-byte Folded Spill
	s_and_saveexec_b32 s19, s5
	s_cbranch_execz .LBB206_353
; %bb.348:                              ;   in Loop: Header=BB206_15 Depth=1
	v_mov_b32_e32 v1, 0xffff
	v_mov_b32_e32 v102, v25
	s_mov_b32 s20, exec_lo
	buffer_store_dword v102, off, s[0:3], s32 offset:540 ; 4-byte Folded Spill
	buffer_store_dword v103, off, s[0:3], s32 offset:544 ; 4-byte Folded Spill
	v_and_b32_sdwa v1, v1, v0 dst_sel:DWORD dst_unused:UNUSED_PAD src0_sel:DWORD src1_sel:BYTE_1
	v_and_b32_e32 v2, 0x7f, v1
	v_cmpx_ne_u32_e32 0x7f, v2
	s_cbranch_execz .LBB206_352
; %bb.349:                              ;   in Loop: Header=BB206_15 Depth=1
	v_and_b32_e32 v24, 7, v1
	v_lshrrev_b32_e32 v1, 3, v2
	s_mov_b32 s21, exec_lo
	v_cmpx_gt_u32_e32 8, v2
; %bb.350:                              ;   in Loop: Header=BB206_15 Depth=1
	v_ffbh_u32_e32 v1, v24
	v_min_u32_e32 v1, 32, v1
	v_subrev_nc_u32_e32 v2, 28, v1
	v_sub_nc_u32_e32 v1, 29, v1
	v_lshlrev_b64 v[2:3], v2, v[24:25]
	v_and_b32_e32 v24, 7, v2
; %bb.351:                              ;   in Loop: Header=BB206_15 Depth=1
	s_or_b32 exec_lo, exec_lo, s21
	v_lshlrev_b32_e32 v2, 16, v0
	v_lshlrev_b32_e32 v3, 20, v24
	v_lshl_add_u32 v1, v1, 23, 0x3c000000
	v_and_b32_e32 v2, 0x80000000, v2
	v_or3_b32 v2, v3, v2, v1
	v_mov_b32_e32 v1, v25
	buffer_store_dword v1, off, s[0:3], s32 offset:540 ; 4-byte Folded Spill
	buffer_store_dword v2, off, s[0:3], s32 offset:544 ; 4-byte Folded Spill
.LBB206_352:                            ;   in Loop: Header=BB206_15 Depth=1
	s_or_b32 exec_lo, exec_lo, s20
.LBB206_353:                            ;   in Loop: Header=BB206_15 Depth=1
	s_or_b32 exec_lo, exec_lo, s19
.LBB206_354:                            ;   in Loop: Header=BB206_15 Depth=1
	s_or_b32 exec_lo, exec_lo, s18
	v_mov_b32_e32 v58, 0
	v_mov_b32_e32 v2, 0
	v_and_b32_sdwa v1, v0, v45 dst_sel:DWORD dst_unused:UNUSED_PAD src0_sel:WORD_1 src1_sel:DWORD
	v_mov_b32_e32 v59, 0
	v_mov_b32_e32 v3, 0
	s_mov_b32 s18, exec_lo
	buffer_store_dword v2, off, s[0:3], s32 offset:548 ; 4-byte Folded Spill
	buffer_store_dword v3, off, s[0:3], s32 offset:552 ; 4-byte Folded Spill
	v_cmpx_ne_u16_e32 0, v1
	s_cbranch_execz .LBB206_362
; %bb.355:                              ;   in Loop: Header=BB206_15 Depth=1
	v_cmp_ne_u16_e64 s5, 0x80, v1
	v_bfrev_b32_e32 v1, 1
	v_mov_b32_e32 v2, 0
	buffer_store_dword v1, off, s[0:3], s32 offset:548 ; 4-byte Folded Spill
	buffer_store_dword v2, off, s[0:3], s32 offset:552 ; 4-byte Folded Spill
	s_and_saveexec_b32 s19, s5
	s_cbranch_execz .LBB206_361
; %bb.356:                              ;   in Loop: Header=BB206_15 Depth=1
	v_mov_b32_e32 v3, 0x7f800001
	v_bfe_u32 v2, v0, 16, 7
	v_mov_b32_e32 v4, 0
	s_mov_b32 s20, exec_lo
	buffer_store_dword v3, off, s[0:3], s32 offset:548 ; 4-byte Folded Spill
	buffer_store_dword v4, off, s[0:3], s32 offset:552 ; 4-byte Folded Spill
	v_cmpx_ne_u32_e32 0x7f, v2
	s_cbranch_execz .LBB206_360
; %bb.357:                              ;   in Loop: Header=BB206_15 Depth=1
	v_mov_b32_e32 v1, 7
	s_mov_b32 s21, exec_lo
	v_and_b32_sdwa v24, v0, v1 dst_sel:DWORD dst_unused:UNUSED_PAD src0_sel:WORD_1 src1_sel:DWORD
	v_lshrrev_b32_e32 v1, 3, v2
	v_cmpx_gt_u32_e32 8, v2
; %bb.358:                              ;   in Loop: Header=BB206_15 Depth=1
	v_ffbh_u32_e32 v1, v24
	v_min_u32_e32 v1, 32, v1
	v_subrev_nc_u32_e32 v2, 28, v1
	v_sub_nc_u32_e32 v1, 29, v1
	v_lshlrev_b64 v[2:3], v2, v[24:25]
	v_and_b32_e32 v24, 7, v2
; %bb.359:                              ;   in Loop: Header=BB206_15 Depth=1
	s_or_b32 exec_lo, exec_lo, s21
	v_mov_b32_e32 v2, 24
	v_lshlrev_b32_e32 v3, 20, v24
	v_lshl_add_u32 v1, v1, 23, 0x3c000000
	v_lshlrev_b32_sdwa v2, v2, v0 dst_sel:DWORD dst_unused:UNUSED_PAD src0_sel:DWORD src1_sel:WORD_1
	v_and_b32_e32 v2, 0x80000000, v2
	v_or3_b32 v24, v3, v2, v1
	buffer_store_dword v24, off, s[0:3], s32 offset:548 ; 4-byte Folded Spill
	buffer_store_dword v25, off, s[0:3], s32 offset:552 ; 4-byte Folded Spill
.LBB206_360:                            ;   in Loop: Header=BB206_15 Depth=1
	s_or_b32 exec_lo, exec_lo, s20
.LBB206_361:                            ;   in Loop: Header=BB206_15 Depth=1
	s_or_b32 exec_lo, exec_lo, s19
.LBB206_362:                            ;   in Loop: Header=BB206_15 Depth=1
	s_or_b32 exec_lo, exec_lo, s18
	s_mov_b32 s18, exec_lo
	v_cmpx_lt_u32_e32 0xffffff, v0
	s_cbranch_execz .LBB206_370
; %bb.363:                              ;   in Loop: Header=BB206_15 Depth=1
	v_mov_b32_e32 v39, v25
	v_mov_b32_e32 v59, v40
	v_cmp_ne_u32_sdwa s5, v0, v18 src0_sel:BYTE_3 src1_sel:DWORD
	v_mov_b32_e32 v58, v39
	s_and_saveexec_b32 s19, s5
	s_cbranch_execz .LBB206_369
; %bb.364:                              ;   in Loop: Header=BB206_15 Depth=1
	v_mov_b32_e32 v102, v25
	v_bfe_u32 v2, v0, 24, 7
	s_mov_b32 s20, exec_lo
	v_mov_b32_e32 v58, v102
	v_mov_b32_e32 v59, v103
	v_cmpx_ne_u32_e32 0x7f, v2
	s_cbranch_execz .LBB206_368
; %bb.365:                              ;   in Loop: Header=BB206_15 Depth=1
	v_mov_b32_e32 v1, 7
	s_mov_b32 s21, exec_lo
	v_and_b32_sdwa v24, v0, v1 dst_sel:DWORD dst_unused:UNUSED_PAD src0_sel:BYTE_3 src1_sel:DWORD
	v_lshrrev_b32_e32 v1, 3, v2
	v_cmpx_gt_u32_e32 8, v2
; %bb.366:                              ;   in Loop: Header=BB206_15 Depth=1
	v_ffbh_u32_e32 v1, v24
	v_min_u32_e32 v1, 32, v1
	v_subrev_nc_u32_e32 v2, 28, v1
	v_sub_nc_u32_e32 v1, 29, v1
	v_lshlrev_b64 v[2:3], v2, v[24:25]
	v_and_b32_e32 v24, 7, v2
; %bb.367:                              ;   in Loop: Header=BB206_15 Depth=1
	s_or_b32 exec_lo, exec_lo, s21
	v_mov_b32_e32 v2, 24
	v_lshl_add_u32 v1, v1, 23, 0x3c000000
	v_mov_b32_e32 v58, v25
	v_lshlrev_b32_sdwa v0, v2, v0 dst_sel:DWORD dst_unused:UNUSED_PAD src0_sel:DWORD src1_sel:BYTE_3
	v_lshlrev_b32_e32 v2, 20, v24
	v_and_b32_e32 v0, 0x80000000, v0
	v_or3_b32 v59, v2, v0, v1
.LBB206_368:                            ;   in Loop: Header=BB206_15 Depth=1
	s_or_b32 exec_lo, exec_lo, s20
.LBB206_369:                            ;   in Loop: Header=BB206_15 Depth=1
	s_or_b32 exec_lo, exec_lo, s19
.LBB206_370:                            ;   in Loop: Header=BB206_15 Depth=1
	s_or_b32 exec_lo, exec_lo, s18
	flat_load_dword v0, v[112:113] offset:1036
	v_mov_b32_e32 v72, 0
	v_mov_b32_e32 v62, 0
	;; [unrolled: 1-line block ×4, first 2 shown]
	s_waitcnt vmcnt(0) lgkmcnt(0)
	v_cmp_ne_u16_sdwa s5, v0, v25 src0_sel:BYTE_0 src1_sel:DWORD
	s_and_saveexec_b32 s18, s5
	s_cbranch_execz .LBB206_378
; %bb.371:                              ;   in Loop: Header=BB206_15 Depth=1
	v_bfrev_b32_e32 v62, 1
	v_mov_b32_e32 v63, 0
	v_cmp_ne_u16_sdwa s5, v0, v18 src0_sel:BYTE_0 src1_sel:DWORD
	s_and_saveexec_b32 s19, s5
	s_cbranch_execz .LBB206_377
; %bb.372:                              ;   in Loop: Header=BB206_15 Depth=1
	v_mov_b32_e32 v62, 0x7f800001
	v_and_b32_e32 v2, 0x7f, v0
	v_mov_b32_e32 v63, 0
	s_mov_b32 s20, exec_lo
	v_cmpx_ne_u32_e32 0x7f, v2
	s_cbranch_execz .LBB206_376
; %bb.373:                              ;   in Loop: Header=BB206_15 Depth=1
	v_and_b32_e32 v24, 7, v0
	v_lshrrev_b32_e32 v1, 3, v2
	s_mov_b32 s21, exec_lo
	v_cmpx_gt_u32_e32 8, v2
; %bb.374:                              ;   in Loop: Header=BB206_15 Depth=1
	v_ffbh_u32_e32 v1, v24
	v_min_u32_e32 v1, 32, v1
	v_subrev_nc_u32_e32 v2, 28, v1
	v_sub_nc_u32_e32 v1, 29, v1
	v_lshlrev_b64 v[2:3], v2, v[24:25]
	v_and_b32_e32 v24, 7, v2
; %bb.375:                              ;   in Loop: Header=BB206_15 Depth=1
	s_or_b32 exec_lo, exec_lo, s21
	v_lshlrev_b32_e32 v2, 24, v0
	v_lshlrev_b32_e32 v3, 20, v24
	v_lshl_add_u32 v1, v1, 23, 0x3c000000
	v_and_b32_e32 v2, 0x80000000, v2
	v_or3_b32 v24, v3, v2, v1
	v_mov_b32_e32 v63, v25
	v_mov_b32_e32 v62, v24
.LBB206_376:                            ;   in Loop: Header=BB206_15 Depth=1
	s_or_b32 exec_lo, exec_lo, s20
.LBB206_377:                            ;   in Loop: Header=BB206_15 Depth=1
	s_or_b32 exec_lo, exec_lo, s19
.LBB206_378:                            ;   in Loop: Header=BB206_15 Depth=1
	s_or_b32 exec_lo, exec_lo, s18
	v_cmp_ne_u16_sdwa s5, v0, v25 src0_sel:BYTE_1 src1_sel:DWORD
	s_and_saveexec_b32 s18, s5
	s_cbranch_execz .LBB206_386
; %bb.379:                              ;   in Loop: Header=BB206_15 Depth=1
	v_mov_b32_e32 v39, v25
	v_mov_b32_e32 v73, v40
	v_cmp_ne_u16_sdwa s5, v0, v18 src0_sel:BYTE_1 src1_sel:DWORD
	v_mov_b32_e32 v72, v39
	s_and_saveexec_b32 s19, s5
	s_cbranch_execz .LBB206_385
; %bb.380:                              ;   in Loop: Header=BB206_15 Depth=1
	v_mov_b32_e32 v1, 0xffff
	v_mov_b32_e32 v102, v25
	s_mov_b32 s20, exec_lo
	v_and_b32_sdwa v1, v1, v0 dst_sel:DWORD dst_unused:UNUSED_PAD src0_sel:DWORD src1_sel:BYTE_1
	v_mov_b32_e32 v72, v102
	v_mov_b32_e32 v73, v103
	v_and_b32_e32 v2, 0x7f, v1
	v_cmpx_ne_u32_e32 0x7f, v2
	s_cbranch_execz .LBB206_384
; %bb.381:                              ;   in Loop: Header=BB206_15 Depth=1
	v_and_b32_e32 v24, 7, v1
	v_lshrrev_b32_e32 v1, 3, v2
	s_mov_b32 s21, exec_lo
	v_cmpx_gt_u32_e32 8, v2
; %bb.382:                              ;   in Loop: Header=BB206_15 Depth=1
	v_ffbh_u32_e32 v1, v24
	v_min_u32_e32 v1, 32, v1
	v_subrev_nc_u32_e32 v2, 28, v1
	v_sub_nc_u32_e32 v1, 29, v1
	v_lshlrev_b64 v[2:3], v2, v[24:25]
	v_and_b32_e32 v24, 7, v2
; %bb.383:                              ;   in Loop: Header=BB206_15 Depth=1
	s_or_b32 exec_lo, exec_lo, s21
	v_lshlrev_b32_e32 v2, 16, v0
	v_lshlrev_b32_e32 v3, 20, v24
	v_lshl_add_u32 v1, v1, 23, 0x3c000000
	v_mov_b32_e32 v72, v25
	v_and_b32_e32 v2, 0x80000000, v2
	v_or3_b32 v73, v3, v2, v1
.LBB206_384:                            ;   in Loop: Header=BB206_15 Depth=1
	s_or_b32 exec_lo, exec_lo, s20
.LBB206_385:                            ;   in Loop: Header=BB206_15 Depth=1
	s_or_b32 exec_lo, exec_lo, s19
.LBB206_386:                            ;   in Loop: Header=BB206_15 Depth=1
	s_or_b32 exec_lo, exec_lo, s18
	v_mov_b32_e32 v74, 0
	v_mov_b32_e32 v76, 0
	v_and_b32_sdwa v1, v0, v45 dst_sel:DWORD dst_unused:UNUSED_PAD src0_sel:WORD_1 src1_sel:DWORD
	v_mov_b32_e32 v75, 0
	v_mov_b32_e32 v77, 0
	s_mov_b32 s18, exec_lo
	v_cmpx_ne_u16_e32 0, v1
	s_cbranch_execz .LBB206_394
; %bb.387:                              ;   in Loop: Header=BB206_15 Depth=1
	v_bfrev_b32_e32 v76, 1
	v_mov_b32_e32 v77, 0
	s_mov_b32 s19, exec_lo
	v_cmpx_ne_u16_e32 0x80, v1
	s_cbranch_execz .LBB206_393
; %bb.388:                              ;   in Loop: Header=BB206_15 Depth=1
	v_mov_b32_e32 v76, 0x7f800001
	v_bfe_u32 v2, v0, 16, 7
	v_mov_b32_e32 v77, 0
	s_mov_b32 s20, exec_lo
	v_cmpx_ne_u32_e32 0x7f, v2
	s_cbranch_execz .LBB206_392
; %bb.389:                              ;   in Loop: Header=BB206_15 Depth=1
	v_mov_b32_e32 v1, 7
	s_mov_b32 s21, exec_lo
	v_and_b32_sdwa v24, v0, v1 dst_sel:DWORD dst_unused:UNUSED_PAD src0_sel:WORD_1 src1_sel:DWORD
	v_lshrrev_b32_e32 v1, 3, v2
	v_cmpx_gt_u32_e32 8, v2
; %bb.390:                              ;   in Loop: Header=BB206_15 Depth=1
	v_ffbh_u32_e32 v1, v24
	v_min_u32_e32 v1, 32, v1
	v_subrev_nc_u32_e32 v2, 28, v1
	v_sub_nc_u32_e32 v1, 29, v1
	v_lshlrev_b64 v[2:3], v2, v[24:25]
	v_and_b32_e32 v24, 7, v2
; %bb.391:                              ;   in Loop: Header=BB206_15 Depth=1
	s_or_b32 exec_lo, exec_lo, s21
	v_mov_b32_e32 v2, 24
	v_lshlrev_b32_e32 v3, 20, v24
	v_lshl_add_u32 v1, v1, 23, 0x3c000000
	v_lshlrev_b32_sdwa v2, v2, v0 dst_sel:DWORD dst_unused:UNUSED_PAD src0_sel:DWORD src1_sel:WORD_1
	v_and_b32_e32 v2, 0x80000000, v2
	v_or3_b32 v24, v3, v2, v1
	v_mov_b32_e32 v77, v25
	v_mov_b32_e32 v76, v24
.LBB206_392:                            ;   in Loop: Header=BB206_15 Depth=1
	s_or_b32 exec_lo, exec_lo, s20
.LBB206_393:                            ;   in Loop: Header=BB206_15 Depth=1
	s_or_b32 exec_lo, exec_lo, s19
.LBB206_394:                            ;   in Loop: Header=BB206_15 Depth=1
	s_or_b32 exec_lo, exec_lo, s18
	s_mov_b32 s18, exec_lo
	v_cmpx_lt_u32_e32 0xffffff, v0
	s_cbranch_execz .LBB206_402
; %bb.395:                              ;   in Loop: Header=BB206_15 Depth=1
	v_mov_b32_e32 v39, v25
	v_mov_b32_e32 v75, v40
	v_cmp_ne_u32_sdwa s5, v0, v18 src0_sel:BYTE_3 src1_sel:DWORD
	v_mov_b32_e32 v74, v39
	s_and_saveexec_b32 s19, s5
	s_cbranch_execz .LBB206_401
; %bb.396:                              ;   in Loop: Header=BB206_15 Depth=1
	v_mov_b32_e32 v102, v25
	v_bfe_u32 v2, v0, 24, 7
	s_mov_b32 s20, exec_lo
	v_mov_b32_e32 v74, v102
	v_mov_b32_e32 v75, v103
	v_cmpx_ne_u32_e32 0x7f, v2
	s_cbranch_execz .LBB206_400
; %bb.397:                              ;   in Loop: Header=BB206_15 Depth=1
	v_mov_b32_e32 v1, 7
	s_mov_b32 s21, exec_lo
	v_and_b32_sdwa v24, v0, v1 dst_sel:DWORD dst_unused:UNUSED_PAD src0_sel:BYTE_3 src1_sel:DWORD
	v_lshrrev_b32_e32 v1, 3, v2
	v_cmpx_gt_u32_e32 8, v2
; %bb.398:                              ;   in Loop: Header=BB206_15 Depth=1
	v_ffbh_u32_e32 v1, v24
	v_min_u32_e32 v1, 32, v1
	v_subrev_nc_u32_e32 v2, 28, v1
	v_sub_nc_u32_e32 v1, 29, v1
	v_lshlrev_b64 v[2:3], v2, v[24:25]
	v_and_b32_e32 v24, 7, v2
; %bb.399:                              ;   in Loop: Header=BB206_15 Depth=1
	s_or_b32 exec_lo, exec_lo, s21
	v_mov_b32_e32 v2, 24
	v_lshl_add_u32 v1, v1, 23, 0x3c000000
	v_mov_b32_e32 v74, v25
	v_lshlrev_b32_sdwa v0, v2, v0 dst_sel:DWORD dst_unused:UNUSED_PAD src0_sel:DWORD src1_sel:BYTE_3
	v_lshlrev_b32_e32 v2, 20, v24
	v_and_b32_e32 v0, 0x80000000, v0
	v_or3_b32 v75, v2, v0, v1
.LBB206_400:                            ;   in Loop: Header=BB206_15 Depth=1
	s_or_b32 exec_lo, exec_lo, s20
.LBB206_401:                            ;   in Loop: Header=BB206_15 Depth=1
	s_or_b32 exec_lo, exec_lo, s19
.LBB206_402:                            ;   in Loop: Header=BB206_15 Depth=1
	s_or_b32 exec_lo, exec_lo, s18
	flat_load_dword v0, v[112:113] offset:1536
	v_mov_b32_e32 v88, 0
	v_mov_b32_e32 v78, 0
	;; [unrolled: 1-line block ×4, first 2 shown]
	s_waitcnt vmcnt(0) lgkmcnt(0)
	v_cmp_ne_u16_sdwa s5, v0, v25 src0_sel:BYTE_0 src1_sel:DWORD
	s_and_saveexec_b32 s18, s5
	s_cbranch_execz .LBB206_410
; %bb.403:                              ;   in Loop: Header=BB206_15 Depth=1
	v_bfrev_b32_e32 v78, 1
	v_mov_b32_e32 v79, 0
	v_cmp_ne_u16_sdwa s5, v0, v18 src0_sel:BYTE_0 src1_sel:DWORD
	s_and_saveexec_b32 s19, s5
	s_cbranch_execz .LBB206_409
; %bb.404:                              ;   in Loop: Header=BB206_15 Depth=1
	v_mov_b32_e32 v78, 0x7f800001
	v_and_b32_e32 v2, 0x7f, v0
	v_mov_b32_e32 v79, 0
	s_mov_b32 s20, exec_lo
	v_cmpx_ne_u32_e32 0x7f, v2
	s_cbranch_execz .LBB206_408
; %bb.405:                              ;   in Loop: Header=BB206_15 Depth=1
	v_and_b32_e32 v24, 7, v0
	v_lshrrev_b32_e32 v1, 3, v2
	s_mov_b32 s21, exec_lo
	v_cmpx_gt_u32_e32 8, v2
; %bb.406:                              ;   in Loop: Header=BB206_15 Depth=1
	v_ffbh_u32_e32 v1, v24
	v_min_u32_e32 v1, 32, v1
	v_subrev_nc_u32_e32 v2, 28, v1
	v_sub_nc_u32_e32 v1, 29, v1
	v_lshlrev_b64 v[2:3], v2, v[24:25]
	v_and_b32_e32 v24, 7, v2
; %bb.407:                              ;   in Loop: Header=BB206_15 Depth=1
	s_or_b32 exec_lo, exec_lo, s21
	v_lshlrev_b32_e32 v2, 24, v0
	v_lshlrev_b32_e32 v3, 20, v24
	v_lshl_add_u32 v1, v1, 23, 0x3c000000
	v_and_b32_e32 v2, 0x80000000, v2
	v_or3_b32 v24, v3, v2, v1
	v_mov_b32_e32 v79, v25
	v_mov_b32_e32 v78, v24
.LBB206_408:                            ;   in Loop: Header=BB206_15 Depth=1
	s_or_b32 exec_lo, exec_lo, s20
.LBB206_409:                            ;   in Loop: Header=BB206_15 Depth=1
	s_or_b32 exec_lo, exec_lo, s19
.LBB206_410:                            ;   in Loop: Header=BB206_15 Depth=1
	s_or_b32 exec_lo, exec_lo, s18
	v_cmp_ne_u16_sdwa s5, v0, v25 src0_sel:BYTE_1 src1_sel:DWORD
	s_and_saveexec_b32 s18, s5
	s_cbranch_execz .LBB206_418
; %bb.411:                              ;   in Loop: Header=BB206_15 Depth=1
	v_mov_b32_e32 v39, v25
	v_mov_b32_e32 v89, v40
	v_cmp_ne_u16_sdwa s5, v0, v18 src0_sel:BYTE_1 src1_sel:DWORD
	v_mov_b32_e32 v88, v39
	s_and_saveexec_b32 s19, s5
	s_cbranch_execz .LBB206_417
; %bb.412:                              ;   in Loop: Header=BB206_15 Depth=1
	v_mov_b32_e32 v1, 0xffff
	v_mov_b32_e32 v102, v25
	s_mov_b32 s20, exec_lo
	v_and_b32_sdwa v1, v1, v0 dst_sel:DWORD dst_unused:UNUSED_PAD src0_sel:DWORD src1_sel:BYTE_1
	v_mov_b32_e32 v88, v102
	v_mov_b32_e32 v89, v103
	v_and_b32_e32 v2, 0x7f, v1
	v_cmpx_ne_u32_e32 0x7f, v2
	s_cbranch_execz .LBB206_416
; %bb.413:                              ;   in Loop: Header=BB206_15 Depth=1
	v_and_b32_e32 v24, 7, v1
	v_lshrrev_b32_e32 v1, 3, v2
	s_mov_b32 s21, exec_lo
	v_cmpx_gt_u32_e32 8, v2
; %bb.414:                              ;   in Loop: Header=BB206_15 Depth=1
	v_ffbh_u32_e32 v1, v24
	v_min_u32_e32 v1, 32, v1
	v_subrev_nc_u32_e32 v2, 28, v1
	v_sub_nc_u32_e32 v1, 29, v1
	v_lshlrev_b64 v[2:3], v2, v[24:25]
	v_and_b32_e32 v24, 7, v2
; %bb.415:                              ;   in Loop: Header=BB206_15 Depth=1
	s_or_b32 exec_lo, exec_lo, s21
	v_lshlrev_b32_e32 v2, 16, v0
	v_lshlrev_b32_e32 v3, 20, v24
	v_lshl_add_u32 v1, v1, 23, 0x3c000000
	v_mov_b32_e32 v88, v25
	v_and_b32_e32 v2, 0x80000000, v2
	v_or3_b32 v89, v3, v2, v1
.LBB206_416:                            ;   in Loop: Header=BB206_15 Depth=1
	s_or_b32 exec_lo, exec_lo, s20
.LBB206_417:                            ;   in Loop: Header=BB206_15 Depth=1
	s_or_b32 exec_lo, exec_lo, s19
.LBB206_418:                            ;   in Loop: Header=BB206_15 Depth=1
	s_or_b32 exec_lo, exec_lo, s18
	v_mov_b32_e32 v90, 0
	v_mov_b32_e32 v56, 0
	v_and_b32_sdwa v1, v0, v45 dst_sel:DWORD dst_unused:UNUSED_PAD src0_sel:WORD_1 src1_sel:DWORD
	v_mov_b32_e32 v91, 0
	v_mov_b32_e32 v57, 0
	s_mov_b32 s18, exec_lo
	v_cmpx_ne_u16_e32 0, v1
	s_cbranch_execz .LBB206_426
; %bb.419:                              ;   in Loop: Header=BB206_15 Depth=1
	v_bfrev_b32_e32 v56, 1
	v_mov_b32_e32 v57, 0
	s_mov_b32 s19, exec_lo
	v_cmpx_ne_u16_e32 0x80, v1
	s_cbranch_execz .LBB206_425
; %bb.420:                              ;   in Loop: Header=BB206_15 Depth=1
	v_mov_b32_e32 v56, 0x7f800001
	v_bfe_u32 v2, v0, 16, 7
	v_mov_b32_e32 v57, 0
	s_mov_b32 s20, exec_lo
	v_cmpx_ne_u32_e32 0x7f, v2
	s_cbranch_execz .LBB206_424
; %bb.421:                              ;   in Loop: Header=BB206_15 Depth=1
	v_mov_b32_e32 v1, 7
	s_mov_b32 s21, exec_lo
	v_and_b32_sdwa v24, v0, v1 dst_sel:DWORD dst_unused:UNUSED_PAD src0_sel:WORD_1 src1_sel:DWORD
	v_lshrrev_b32_e32 v1, 3, v2
	v_cmpx_gt_u32_e32 8, v2
; %bb.422:                              ;   in Loop: Header=BB206_15 Depth=1
	v_ffbh_u32_e32 v1, v24
	v_min_u32_e32 v1, 32, v1
	v_subrev_nc_u32_e32 v2, 28, v1
	v_sub_nc_u32_e32 v1, 29, v1
	v_lshlrev_b64 v[2:3], v2, v[24:25]
	v_and_b32_e32 v24, 7, v2
; %bb.423:                              ;   in Loop: Header=BB206_15 Depth=1
	s_or_b32 exec_lo, exec_lo, s21
	v_mov_b32_e32 v2, 24
	v_lshlrev_b32_e32 v3, 20, v24
	v_lshl_add_u32 v1, v1, 23, 0x3c000000
	v_lshlrev_b32_sdwa v2, v2, v0 dst_sel:DWORD dst_unused:UNUSED_PAD src0_sel:DWORD src1_sel:WORD_1
	v_and_b32_e32 v2, 0x80000000, v2
	v_or3_b32 v24, v3, v2, v1
	v_mov_b32_e32 v57, v25
	v_mov_b32_e32 v56, v24
.LBB206_424:                            ;   in Loop: Header=BB206_15 Depth=1
	s_or_b32 exec_lo, exec_lo, s20
.LBB206_425:                            ;   in Loop: Header=BB206_15 Depth=1
	s_or_b32 exec_lo, exec_lo, s19
.LBB206_426:                            ;   in Loop: Header=BB206_15 Depth=1
	s_or_b32 exec_lo, exec_lo, s18
	s_mov_b32 s18, exec_lo
	v_cmpx_lt_u32_e32 0xffffff, v0
	s_cbranch_execz .LBB206_434
; %bb.427:                              ;   in Loop: Header=BB206_15 Depth=1
	v_mov_b32_e32 v39, v25
	v_mov_b32_e32 v91, v40
	v_cmp_ne_u32_sdwa s5, v0, v18 src0_sel:BYTE_3 src1_sel:DWORD
	v_mov_b32_e32 v90, v39
	s_and_saveexec_b32 s19, s5
	s_cbranch_execz .LBB206_433
; %bb.428:                              ;   in Loop: Header=BB206_15 Depth=1
	v_mov_b32_e32 v102, v25
	v_bfe_u32 v2, v0, 24, 7
	s_mov_b32 s20, exec_lo
	v_mov_b32_e32 v90, v102
	v_mov_b32_e32 v91, v103
	v_cmpx_ne_u32_e32 0x7f, v2
	s_cbranch_execz .LBB206_432
; %bb.429:                              ;   in Loop: Header=BB206_15 Depth=1
	v_mov_b32_e32 v1, 7
	s_mov_b32 s21, exec_lo
	v_and_b32_sdwa v24, v0, v1 dst_sel:DWORD dst_unused:UNUSED_PAD src0_sel:BYTE_3 src1_sel:DWORD
	v_lshrrev_b32_e32 v1, 3, v2
	v_cmpx_gt_u32_e32 8, v2
; %bb.430:                              ;   in Loop: Header=BB206_15 Depth=1
	v_ffbh_u32_e32 v1, v24
	v_min_u32_e32 v1, 32, v1
	v_subrev_nc_u32_e32 v2, 28, v1
	v_sub_nc_u32_e32 v1, 29, v1
	v_lshlrev_b64 v[2:3], v2, v[24:25]
	v_and_b32_e32 v24, 7, v2
; %bb.431:                              ;   in Loop: Header=BB206_15 Depth=1
	s_or_b32 exec_lo, exec_lo, s21
	v_mov_b32_e32 v2, 24
	v_lshl_add_u32 v1, v1, 23, 0x3c000000
	v_mov_b32_e32 v90, v25
	v_lshlrev_b32_sdwa v0, v2, v0 dst_sel:DWORD dst_unused:UNUSED_PAD src0_sel:DWORD src1_sel:BYTE_3
	v_lshlrev_b32_e32 v2, 20, v24
	v_and_b32_e32 v0, 0x80000000, v0
	v_or3_b32 v91, v2, v0, v1
.LBB206_432:                            ;   in Loop: Header=BB206_15 Depth=1
	s_or_b32 exec_lo, exec_lo, s20
.LBB206_433:                            ;   in Loop: Header=BB206_15 Depth=1
	s_or_b32 exec_lo, exec_lo, s19
.LBB206_434:                            ;   in Loop: Header=BB206_15 Depth=1
	s_or_b32 exec_lo, exec_lo, s18
	flat_load_dword v0, v[112:113] offset:1540
	v_mov_b32_e32 v104, 0
	v_mov_b32_e32 v94, 0
	;; [unrolled: 1-line block ×4, first 2 shown]
	s_waitcnt vmcnt(0) lgkmcnt(0)
	v_cmp_ne_u16_sdwa s5, v0, v25 src0_sel:BYTE_0 src1_sel:DWORD
	s_and_saveexec_b32 s18, s5
	s_cbranch_execz .LBB206_442
; %bb.435:                              ;   in Loop: Header=BB206_15 Depth=1
	v_bfrev_b32_e32 v94, 1
	v_mov_b32_e32 v95, 0
	v_cmp_ne_u16_sdwa s5, v0, v18 src0_sel:BYTE_0 src1_sel:DWORD
	s_and_saveexec_b32 s19, s5
	s_cbranch_execz .LBB206_441
; %bb.436:                              ;   in Loop: Header=BB206_15 Depth=1
	v_mov_b32_e32 v94, 0x7f800001
	v_and_b32_e32 v2, 0x7f, v0
	v_mov_b32_e32 v95, 0
	s_mov_b32 s20, exec_lo
	v_cmpx_ne_u32_e32 0x7f, v2
	s_cbranch_execz .LBB206_440
; %bb.437:                              ;   in Loop: Header=BB206_15 Depth=1
	v_and_b32_e32 v24, 7, v0
	v_lshrrev_b32_e32 v1, 3, v2
	s_mov_b32 s21, exec_lo
	v_cmpx_gt_u32_e32 8, v2
; %bb.438:                              ;   in Loop: Header=BB206_15 Depth=1
	v_ffbh_u32_e32 v1, v24
	v_min_u32_e32 v1, 32, v1
	v_subrev_nc_u32_e32 v2, 28, v1
	v_sub_nc_u32_e32 v1, 29, v1
	v_lshlrev_b64 v[2:3], v2, v[24:25]
	v_and_b32_e32 v24, 7, v2
; %bb.439:                              ;   in Loop: Header=BB206_15 Depth=1
	s_or_b32 exec_lo, exec_lo, s21
	v_lshlrev_b32_e32 v2, 24, v0
	v_lshlrev_b32_e32 v3, 20, v24
	v_lshl_add_u32 v1, v1, 23, 0x3c000000
	v_and_b32_e32 v2, 0x80000000, v2
	v_or3_b32 v24, v3, v2, v1
	v_mov_b32_e32 v95, v25
	v_mov_b32_e32 v94, v24
.LBB206_440:                            ;   in Loop: Header=BB206_15 Depth=1
	s_or_b32 exec_lo, exec_lo, s20
.LBB206_441:                            ;   in Loop: Header=BB206_15 Depth=1
	s_or_b32 exec_lo, exec_lo, s19
.LBB206_442:                            ;   in Loop: Header=BB206_15 Depth=1
	s_or_b32 exec_lo, exec_lo, s18
	v_cmp_ne_u16_sdwa s5, v0, v25 src0_sel:BYTE_1 src1_sel:DWORD
	s_and_saveexec_b32 s18, s5
	s_cbranch_execz .LBB206_450
; %bb.443:                              ;   in Loop: Header=BB206_15 Depth=1
	v_mov_b32_e32 v39, v25
	v_mov_b32_e32 v105, v40
	v_cmp_ne_u16_sdwa s5, v0, v18 src0_sel:BYTE_1 src1_sel:DWORD
	v_mov_b32_e32 v104, v39
	s_and_saveexec_b32 s19, s5
	s_cbranch_execz .LBB206_449
; %bb.444:                              ;   in Loop: Header=BB206_15 Depth=1
	v_mov_b32_e32 v1, 0xffff
	v_mov_b32_e32 v102, v25
	;; [unrolled: 1-line block ×3, first 2 shown]
	s_mov_b32 s20, exec_lo
	v_and_b32_sdwa v1, v1, v0 dst_sel:DWORD dst_unused:UNUSED_PAD src0_sel:DWORD src1_sel:BYTE_1
	v_mov_b32_e32 v104, v102
	v_and_b32_e32 v2, 0x7f, v1
	v_cmpx_ne_u32_e32 0x7f, v2
	s_cbranch_execz .LBB206_448
; %bb.445:                              ;   in Loop: Header=BB206_15 Depth=1
	v_and_b32_e32 v24, 7, v1
	v_lshrrev_b32_e32 v1, 3, v2
	s_mov_b32 s21, exec_lo
	v_cmpx_gt_u32_e32 8, v2
; %bb.446:                              ;   in Loop: Header=BB206_15 Depth=1
	v_ffbh_u32_e32 v1, v24
	v_min_u32_e32 v1, 32, v1
	v_subrev_nc_u32_e32 v2, 28, v1
	v_sub_nc_u32_e32 v1, 29, v1
	v_lshlrev_b64 v[2:3], v2, v[24:25]
	v_and_b32_e32 v24, 7, v2
; %bb.447:                              ;   in Loop: Header=BB206_15 Depth=1
	s_or_b32 exec_lo, exec_lo, s21
	v_lshlrev_b32_e32 v2, 16, v0
	v_lshlrev_b32_e32 v3, 20, v24
	v_lshl_add_u32 v1, v1, 23, 0x3c000000
	v_mov_b32_e32 v104, v25
	v_and_b32_e32 v2, 0x80000000, v2
	v_or3_b32 v105, v3, v2, v1
.LBB206_448:                            ;   in Loop: Header=BB206_15 Depth=1
	s_or_b32 exec_lo, exec_lo, s20
.LBB206_449:                            ;   in Loop: Header=BB206_15 Depth=1
	s_or_b32 exec_lo, exec_lo, s19
.LBB206_450:                            ;   in Loop: Header=BB206_15 Depth=1
	s_or_b32 exec_lo, exec_lo, s18
	v_mov_b32_e32 v106, 0
	v_mov_b32_e32 v126, 0
	v_and_b32_sdwa v1, v0, v45 dst_sel:DWORD dst_unused:UNUSED_PAD src0_sel:WORD_1 src1_sel:DWORD
	v_mov_b32_e32 v107, 0
	v_mov_b32_e32 v127, 0
	s_mov_b32 s18, exec_lo
	v_cmpx_ne_u16_e32 0, v1
	s_cbranch_execz .LBB206_458
; %bb.451:                              ;   in Loop: Header=BB206_15 Depth=1
	v_bfrev_b32_e32 v126, 1
	v_mov_b32_e32 v127, 0
	s_mov_b32 s19, exec_lo
	v_cmpx_ne_u16_e32 0x80, v1
	s_cbranch_execz .LBB206_457
; %bb.452:                              ;   in Loop: Header=BB206_15 Depth=1
	v_mov_b32_e32 v126, 0x7f800001
	v_bfe_u32 v2, v0, 16, 7
	v_mov_b32_e32 v127, 0
	s_mov_b32 s20, exec_lo
	v_cmpx_ne_u32_e32 0x7f, v2
	s_cbranch_execz .LBB206_456
; %bb.453:                              ;   in Loop: Header=BB206_15 Depth=1
	v_mov_b32_e32 v1, 7
	s_mov_b32 s21, exec_lo
	v_and_b32_sdwa v24, v0, v1 dst_sel:DWORD dst_unused:UNUSED_PAD src0_sel:WORD_1 src1_sel:DWORD
	v_lshrrev_b32_e32 v1, 3, v2
	v_cmpx_gt_u32_e32 8, v2
; %bb.454:                              ;   in Loop: Header=BB206_15 Depth=1
	v_ffbh_u32_e32 v1, v24
	v_min_u32_e32 v1, 32, v1
	v_subrev_nc_u32_e32 v2, 28, v1
	v_sub_nc_u32_e32 v1, 29, v1
	v_lshlrev_b64 v[2:3], v2, v[24:25]
	v_and_b32_e32 v24, 7, v2
; %bb.455:                              ;   in Loop: Header=BB206_15 Depth=1
	s_or_b32 exec_lo, exec_lo, s21
	v_mov_b32_e32 v2, 24
	v_lshlrev_b32_e32 v3, 20, v24
	v_lshl_add_u32 v1, v1, 23, 0x3c000000
	v_lshlrev_b32_sdwa v2, v2, v0 dst_sel:DWORD dst_unused:UNUSED_PAD src0_sel:DWORD src1_sel:WORD_1
	v_and_b32_e32 v2, 0x80000000, v2
	v_or3_b32 v24, v3, v2, v1
	v_mov_b32_e32 v127, v25
	v_mov_b32_e32 v126, v24
.LBB206_456:                            ;   in Loop: Header=BB206_15 Depth=1
	s_or_b32 exec_lo, exec_lo, s20
.LBB206_457:                            ;   in Loop: Header=BB206_15 Depth=1
	s_or_b32 exec_lo, exec_lo, s19
.LBB206_458:                            ;   in Loop: Header=BB206_15 Depth=1
	s_or_b32 exec_lo, exec_lo, s18
	s_mov_b32 s18, exec_lo
	v_cmpx_lt_u32_e32 0xffffff, v0
	s_cbranch_execz .LBB206_466
; %bb.459:                              ;   in Loop: Header=BB206_15 Depth=1
	v_mov_b32_e32 v39, v25
	v_mov_b32_e32 v107, v40
	v_cmp_ne_u32_sdwa s5, v0, v18 src0_sel:BYTE_3 src1_sel:DWORD
	v_mov_b32_e32 v106, v39
	s_and_saveexec_b32 s19, s5
	s_cbranch_execz .LBB206_465
; %bb.460:                              ;   in Loop: Header=BB206_15 Depth=1
	v_mov_b32_e32 v102, v25
	v_mov_b32_e32 v107, v103
	v_bfe_u32 v2, v0, 24, 7
	s_mov_b32 s20, exec_lo
	v_mov_b32_e32 v106, v102
	v_cmpx_ne_u32_e32 0x7f, v2
	s_cbranch_execz .LBB206_464
; %bb.461:                              ;   in Loop: Header=BB206_15 Depth=1
	v_mov_b32_e32 v1, 7
	s_mov_b32 s21, exec_lo
	v_and_b32_sdwa v24, v0, v1 dst_sel:DWORD dst_unused:UNUSED_PAD src0_sel:BYTE_3 src1_sel:DWORD
	v_lshrrev_b32_e32 v1, 3, v2
	v_cmpx_gt_u32_e32 8, v2
; %bb.462:                              ;   in Loop: Header=BB206_15 Depth=1
	v_ffbh_u32_e32 v1, v24
	v_min_u32_e32 v1, 32, v1
	v_subrev_nc_u32_e32 v2, 28, v1
	v_sub_nc_u32_e32 v1, 29, v1
	v_lshlrev_b64 v[2:3], v2, v[24:25]
	v_and_b32_e32 v24, 7, v2
; %bb.463:                              ;   in Loop: Header=BB206_15 Depth=1
	s_or_b32 exec_lo, exec_lo, s21
	v_mov_b32_e32 v2, 24
	v_lshl_add_u32 v1, v1, 23, 0x3c000000
	v_mov_b32_e32 v106, v25
	v_lshlrev_b32_sdwa v0, v2, v0 dst_sel:DWORD dst_unused:UNUSED_PAD src0_sel:DWORD src1_sel:BYTE_3
	v_lshlrev_b32_e32 v2, 20, v24
	v_and_b32_e32 v0, 0x80000000, v0
	v_or3_b32 v107, v2, v0, v1
.LBB206_464:                            ;   in Loop: Header=BB206_15 Depth=1
	s_or_b32 exec_lo, exec_lo, s20
.LBB206_465:                            ;   in Loop: Header=BB206_15 Depth=1
	s_or_b32 exec_lo, exec_lo, s19
.LBB206_466:                            ;   in Loop: Header=BB206_15 Depth=1
	s_or_b32 exec_lo, exec_lo, s18
	flat_load_dword v0, v[112:113] offset:1544
	v_mov_b32_e32 v10, 0
	v_mov_b32_e32 v19, 0
	;; [unrolled: 1-line block ×4, first 2 shown]
	s_waitcnt vmcnt(0) lgkmcnt(0)
	v_cmp_ne_u16_sdwa s5, v0, v25 src0_sel:BYTE_0 src1_sel:DWORD
	s_and_saveexec_b32 s18, s5
	s_cbranch_execz .LBB206_474
; %bb.467:                              ;   in Loop: Header=BB206_15 Depth=1
	v_bfrev_b32_e32 v19, 1
	v_mov_b32_e32 v20, 0
	v_cmp_ne_u16_sdwa s5, v0, v18 src0_sel:BYTE_0 src1_sel:DWORD
	s_and_saveexec_b32 s19, s5
	s_cbranch_execz .LBB206_473
; %bb.468:                              ;   in Loop: Header=BB206_15 Depth=1
	v_mov_b32_e32 v19, 0x7f800001
	v_and_b32_e32 v2, 0x7f, v0
	v_mov_b32_e32 v20, 0
	s_mov_b32 s20, exec_lo
	v_cmpx_ne_u32_e32 0x7f, v2
	s_cbranch_execz .LBB206_472
; %bb.469:                              ;   in Loop: Header=BB206_15 Depth=1
	v_and_b32_e32 v24, 7, v0
	v_lshrrev_b32_e32 v1, 3, v2
	s_mov_b32 s21, exec_lo
	v_cmpx_gt_u32_e32 8, v2
; %bb.470:                              ;   in Loop: Header=BB206_15 Depth=1
	v_ffbh_u32_e32 v1, v24
	v_min_u32_e32 v1, 32, v1
	v_subrev_nc_u32_e32 v2, 28, v1
	v_sub_nc_u32_e32 v1, 29, v1
	v_lshlrev_b64 v[2:3], v2, v[24:25]
	v_and_b32_e32 v24, 7, v2
; %bb.471:                              ;   in Loop: Header=BB206_15 Depth=1
	s_or_b32 exec_lo, exec_lo, s21
	v_lshlrev_b32_e32 v2, 24, v0
	v_lshlrev_b32_e32 v3, 20, v24
	v_lshl_add_u32 v1, v1, 23, 0x3c000000
	v_and_b32_e32 v2, 0x80000000, v2
	v_or3_b32 v24, v3, v2, v1
	v_mov_b32_e32 v19, v24
	v_mov_b32_e32 v20, v25
.LBB206_472:                            ;   in Loop: Header=BB206_15 Depth=1
	s_or_b32 exec_lo, exec_lo, s20
.LBB206_473:                            ;   in Loop: Header=BB206_15 Depth=1
	s_or_b32 exec_lo, exec_lo, s19
.LBB206_474:                            ;   in Loop: Header=BB206_15 Depth=1
	s_or_b32 exec_lo, exec_lo, s18
	v_cmp_ne_u16_sdwa s5, v0, v25 src0_sel:BYTE_1 src1_sel:DWORD
	s_and_saveexec_b32 s18, s5
	s_cbranch_execz .LBB206_482
; %bb.475:                              ;   in Loop: Header=BB206_15 Depth=1
	v_mov_b32_e32 v39, v25
	v_cmp_ne_u16_sdwa s5, v0, v18 src0_sel:BYTE_1 src1_sel:DWORD
	v_mov_b32_e32 v10, v39
	v_mov_b32_e32 v11, v40
	s_and_saveexec_b32 s19, s5
	s_cbranch_execz .LBB206_481
; %bb.476:                              ;   in Loop: Header=BB206_15 Depth=1
	v_mov_b32_e32 v1, 0xffff
	v_mov_b32_e32 v102, v25
	s_mov_b32 s20, exec_lo
	v_and_b32_sdwa v1, v1, v0 dst_sel:DWORD dst_unused:UNUSED_PAD src0_sel:DWORD src1_sel:BYTE_1
	v_mov_b32_e32 v10, v102
	v_mov_b32_e32 v11, v103
	v_and_b32_e32 v2, 0x7f, v1
	v_cmpx_ne_u32_e32 0x7f, v2
	s_cbranch_execz .LBB206_480
; %bb.477:                              ;   in Loop: Header=BB206_15 Depth=1
	v_and_b32_e32 v24, 7, v1
	v_lshrrev_b32_e32 v1, 3, v2
	s_mov_b32 s21, exec_lo
	v_cmpx_gt_u32_e32 8, v2
; %bb.478:                              ;   in Loop: Header=BB206_15 Depth=1
	v_ffbh_u32_e32 v1, v24
	v_min_u32_e32 v1, 32, v1
	v_subrev_nc_u32_e32 v2, 28, v1
	v_sub_nc_u32_e32 v1, 29, v1
	v_lshlrev_b64 v[2:3], v2, v[24:25]
	v_and_b32_e32 v24, 7, v2
; %bb.479:                              ;   in Loop: Header=BB206_15 Depth=1
	s_or_b32 exec_lo, exec_lo, s21
	v_lshlrev_b32_e32 v2, 16, v0
	v_lshlrev_b32_e32 v3, 20, v24
	v_lshl_add_u32 v1, v1, 23, 0x3c000000
	v_mov_b32_e32 v10, v25
	v_and_b32_e32 v2, 0x80000000, v2
	v_or3_b32 v11, v3, v2, v1
.LBB206_480:                            ;   in Loop: Header=BB206_15 Depth=1
	s_or_b32 exec_lo, exec_lo, s20
.LBB206_481:                            ;   in Loop: Header=BB206_15 Depth=1
	s_or_b32 exec_lo, exec_lo, s19
.LBB206_482:                            ;   in Loop: Header=BB206_15 Depth=1
	s_or_b32 exec_lo, exec_lo, s18
	v_mov_b32_e32 v122, 0
	v_mov_b32_e32 v108, 0
	v_and_b32_sdwa v1, v0, v45 dst_sel:DWORD dst_unused:UNUSED_PAD src0_sel:WORD_1 src1_sel:DWORD
	v_mov_b32_e32 v123, 0
	v_mov_b32_e32 v109, 0
	s_mov_b32 s18, exec_lo
	v_cmpx_ne_u16_e32 0, v1
	s_cbranch_execz .LBB206_490
; %bb.483:                              ;   in Loop: Header=BB206_15 Depth=1
	v_bfrev_b32_e32 v108, 1
	v_mov_b32_e32 v109, 0
	s_mov_b32 s19, exec_lo
	v_cmpx_ne_u16_e32 0x80, v1
	s_cbranch_execz .LBB206_489
; %bb.484:                              ;   in Loop: Header=BB206_15 Depth=1
	v_mov_b32_e32 v108, 0x7f800001
	v_bfe_u32 v2, v0, 16, 7
	v_mov_b32_e32 v109, 0
	s_mov_b32 s20, exec_lo
	v_cmpx_ne_u32_e32 0x7f, v2
	s_cbranch_execz .LBB206_488
; %bb.485:                              ;   in Loop: Header=BB206_15 Depth=1
	v_mov_b32_e32 v1, 7
	s_mov_b32 s21, exec_lo
	v_and_b32_sdwa v24, v0, v1 dst_sel:DWORD dst_unused:UNUSED_PAD src0_sel:WORD_1 src1_sel:DWORD
	v_lshrrev_b32_e32 v1, 3, v2
	v_cmpx_gt_u32_e32 8, v2
; %bb.486:                              ;   in Loop: Header=BB206_15 Depth=1
	v_ffbh_u32_e32 v1, v24
	v_min_u32_e32 v1, 32, v1
	v_subrev_nc_u32_e32 v2, 28, v1
	v_sub_nc_u32_e32 v1, 29, v1
	v_lshlrev_b64 v[2:3], v2, v[24:25]
	v_and_b32_e32 v24, 7, v2
; %bb.487:                              ;   in Loop: Header=BB206_15 Depth=1
	s_or_b32 exec_lo, exec_lo, s21
	v_mov_b32_e32 v2, 24
	v_lshlrev_b32_e32 v3, 20, v24
	v_lshl_add_u32 v1, v1, 23, 0x3c000000
	v_lshlrev_b32_sdwa v2, v2, v0 dst_sel:DWORD dst_unused:UNUSED_PAD src0_sel:DWORD src1_sel:WORD_1
	v_and_b32_e32 v2, 0x80000000, v2
	v_or3_b32 v24, v3, v2, v1
	v_mov_b32_e32 v109, v25
	v_mov_b32_e32 v108, v24
.LBB206_488:                            ;   in Loop: Header=BB206_15 Depth=1
	s_or_b32 exec_lo, exec_lo, s20
.LBB206_489:                            ;   in Loop: Header=BB206_15 Depth=1
	s_or_b32 exec_lo, exec_lo, s19
.LBB206_490:                            ;   in Loop: Header=BB206_15 Depth=1
	s_or_b32 exec_lo, exec_lo, s18
	s_mov_b32 s18, exec_lo
	v_cmpx_lt_u32_e32 0xffffff, v0
	s_cbranch_execz .LBB206_498
; %bb.491:                              ;   in Loop: Header=BB206_15 Depth=1
	v_mov_b32_e32 v39, v25
	v_mov_b32_e32 v123, v40
	v_cmp_ne_u32_sdwa s5, v0, v18 src0_sel:BYTE_3 src1_sel:DWORD
	v_mov_b32_e32 v122, v39
	s_and_saveexec_b32 s19, s5
	s_cbranch_execz .LBB206_497
; %bb.492:                              ;   in Loop: Header=BB206_15 Depth=1
	v_mov_b32_e32 v102, v25
	v_mov_b32_e32 v123, v103
	v_bfe_u32 v2, v0, 24, 7
	s_mov_b32 s20, exec_lo
	v_mov_b32_e32 v122, v102
	v_cmpx_ne_u32_e32 0x7f, v2
	s_cbranch_execz .LBB206_496
; %bb.493:                              ;   in Loop: Header=BB206_15 Depth=1
	v_mov_b32_e32 v1, 7
	s_mov_b32 s21, exec_lo
	v_and_b32_sdwa v24, v0, v1 dst_sel:DWORD dst_unused:UNUSED_PAD src0_sel:BYTE_3 src1_sel:DWORD
	v_lshrrev_b32_e32 v1, 3, v2
	v_cmpx_gt_u32_e32 8, v2
; %bb.494:                              ;   in Loop: Header=BB206_15 Depth=1
	v_ffbh_u32_e32 v1, v24
	v_min_u32_e32 v1, 32, v1
	v_subrev_nc_u32_e32 v2, 28, v1
	v_sub_nc_u32_e32 v1, 29, v1
	v_lshlrev_b64 v[2:3], v2, v[24:25]
	v_and_b32_e32 v24, 7, v2
; %bb.495:                              ;   in Loop: Header=BB206_15 Depth=1
	s_or_b32 exec_lo, exec_lo, s21
	v_mov_b32_e32 v2, 24
	v_lshl_add_u32 v1, v1, 23, 0x3c000000
	v_mov_b32_e32 v122, v25
	v_lshlrev_b32_sdwa v0, v2, v0 dst_sel:DWORD dst_unused:UNUSED_PAD src0_sel:DWORD src1_sel:BYTE_3
	v_lshlrev_b32_e32 v2, 20, v24
	v_and_b32_e32 v0, 0x80000000, v0
	v_or3_b32 v123, v2, v0, v1
.LBB206_496:                            ;   in Loop: Header=BB206_15 Depth=1
	s_or_b32 exec_lo, exec_lo, s20
.LBB206_497:                            ;   in Loop: Header=BB206_15 Depth=1
	s_or_b32 exec_lo, exec_lo, s19
.LBB206_498:                            ;   in Loop: Header=BB206_15 Depth=1
	s_or_b32 exec_lo, exec_lo, s18
	flat_load_dword v4, v[112:113] offset:1548
	v_mov_b32_e32 v0, 0
	v_mov_b32_e32 v21, 0
	;; [unrolled: 1-line block ×4, first 2 shown]
	s_waitcnt vmcnt(0) lgkmcnt(0)
	v_cmp_ne_u16_sdwa s5, v4, v25 src0_sel:BYTE_0 src1_sel:DWORD
	s_and_saveexec_b32 s18, s5
	s_cbranch_execz .LBB206_506
; %bb.499:                              ;   in Loop: Header=BB206_15 Depth=1
	v_bfrev_b32_e32 v21, 1
	v_mov_b32_e32 v22, 0
	v_cmp_ne_u16_sdwa s5, v4, v18 src0_sel:BYTE_0 src1_sel:DWORD
	s_and_saveexec_b32 s19, s5
	s_cbranch_execz .LBB206_505
; %bb.500:                              ;   in Loop: Header=BB206_15 Depth=1
	v_mov_b32_e32 v21, 0x7f800001
	v_and_b32_e32 v3, 0x7f, v4
	v_mov_b32_e32 v22, 0
	s_mov_b32 s20, exec_lo
	v_cmpx_ne_u32_e32 0x7f, v3
	s_cbranch_execz .LBB206_504
; %bb.501:                              ;   in Loop: Header=BB206_15 Depth=1
	v_and_b32_e32 v24, 7, v4
	v_lshrrev_b32_e32 v2, 3, v3
	s_mov_b32 s21, exec_lo
	v_cmpx_gt_u32_e32 8, v3
; %bb.502:                              ;   in Loop: Header=BB206_15 Depth=1
	v_ffbh_u32_e32 v2, v24
	v_min_u32_e32 v2, 32, v2
	v_subrev_nc_u32_e32 v3, 28, v2
	v_sub_nc_u32_e32 v2, 29, v2
	v_lshlrev_b64 v[7:8], v3, v[24:25]
	v_and_b32_e32 v24, 7, v7
; %bb.503:                              ;   in Loop: Header=BB206_15 Depth=1
	s_or_b32 exec_lo, exec_lo, s21
	v_lshlrev_b32_e32 v3, 24, v4
	v_lshlrev_b32_e32 v5, 20, v24
	v_lshl_add_u32 v2, v2, 23, 0x3c000000
	v_and_b32_e32 v3, 0x80000000, v3
	v_or3_b32 v24, v5, v3, v2
	v_mov_b32_e32 v21, v24
	v_mov_b32_e32 v22, v25
.LBB206_504:                            ;   in Loop: Header=BB206_15 Depth=1
	s_or_b32 exec_lo, exec_lo, s20
.LBB206_505:                            ;   in Loop: Header=BB206_15 Depth=1
	s_or_b32 exec_lo, exec_lo, s19
.LBB206_506:                            ;   in Loop: Header=BB206_15 Depth=1
	s_or_b32 exec_lo, exec_lo, s18
	v_cmp_ne_u16_sdwa s5, v4, v25 src0_sel:BYTE_1 src1_sel:DWORD
	s_and_saveexec_b32 s18, s5
	s_cbranch_execz .LBB206_514
; %bb.507:                              ;   in Loop: Header=BB206_15 Depth=1
	v_mov_b32_e32 v39, v25
	v_cmp_ne_u16_sdwa s5, v4, v18 src0_sel:BYTE_1 src1_sel:DWORD
	v_mov_b32_e32 v0, v39
	v_mov_b32_e32 v1, v40
	s_and_saveexec_b32 s19, s5
	s_cbranch_execz .LBB206_513
; %bb.508:                              ;   in Loop: Header=BB206_15 Depth=1
	v_mov_b32_e32 v0, 0xffff
	v_mov_b32_e32 v102, v25
	s_mov_b32 s20, exec_lo
	v_and_b32_sdwa v3, v0, v4 dst_sel:DWORD dst_unused:UNUSED_PAD src0_sel:DWORD src1_sel:BYTE_1
	v_mov_b32_e32 v0, v102
	v_mov_b32_e32 v1, v103
	v_and_b32_e32 v2, 0x7f, v3
	v_cmpx_ne_u32_e32 0x7f, v2
	s_cbranch_execz .LBB206_512
; %bb.509:                              ;   in Loop: Header=BB206_15 Depth=1
	v_and_b32_e32 v24, 7, v3
	v_lshrrev_b32_e32 v0, 3, v2
	s_mov_b32 s21, exec_lo
	v_cmpx_gt_u32_e32 8, v2
; %bb.510:                              ;   in Loop: Header=BB206_15 Depth=1
	v_ffbh_u32_e32 v0, v24
	v_min_u32_e32 v0, 32, v0
	v_subrev_nc_u32_e32 v1, 28, v0
	v_sub_nc_u32_e32 v0, 29, v0
	v_lshlrev_b64 v[1:2], v1, v[24:25]
	v_and_b32_e32 v24, 7, v1
; %bb.511:                              ;   in Loop: Header=BB206_15 Depth=1
	s_or_b32 exec_lo, exec_lo, s21
	v_lshlrev_b32_e32 v1, 16, v4
	v_lshlrev_b32_e32 v2, 20, v24
	v_lshl_add_u32 v0, v0, 23, 0x3c000000
	v_and_b32_e32 v1, 0x80000000, v1
	v_or3_b32 v1, v2, v1, v0
	v_mov_b32_e32 v0, v25
.LBB206_512:                            ;   in Loop: Header=BB206_15 Depth=1
	s_or_b32 exec_lo, exec_lo, s20
.LBB206_513:                            ;   in Loop: Header=BB206_15 Depth=1
	s_or_b32 exec_lo, exec_lo, s19
.LBB206_514:                            ;   in Loop: Header=BB206_15 Depth=1
	s_or_b32 exec_lo, exec_lo, s18
	v_mov_b32_e32 v2, 0
	v_mov_b32_e32 v7, 0
	v_and_b32_sdwa v5, v4, v45 dst_sel:DWORD dst_unused:UNUSED_PAD src0_sel:WORD_1 src1_sel:DWORD
	v_mov_b32_e32 v3, 0
	v_mov_b32_e32 v8, 0
	s_mov_b32 s18, exec_lo
	v_cmpx_ne_u16_e32 0, v5
	s_cbranch_execz .LBB206_522
; %bb.515:                              ;   in Loop: Header=BB206_15 Depth=1
	v_bfrev_b32_e32 v7, 1
	v_mov_b32_e32 v8, 0
	s_mov_b32 s19, exec_lo
	v_cmpx_ne_u16_e32 0x80, v5
	s_cbranch_execz .LBB206_521
; %bb.516:                              ;   in Loop: Header=BB206_15 Depth=1
	v_mov_b32_e32 v7, 0x7f800001
	v_bfe_u32 v12, v4, 16, 7
	v_mov_b32_e32 v8, 0
	s_mov_b32 s20, exec_lo
	v_cmpx_ne_u32_e32 0x7f, v12
	s_cbranch_execz .LBB206_520
; %bb.517:                              ;   in Loop: Header=BB206_15 Depth=1
	v_mov_b32_e32 v5, 7
	s_mov_b32 s21, exec_lo
	v_and_b32_sdwa v24, v4, v5 dst_sel:DWORD dst_unused:UNUSED_PAD src0_sel:WORD_1 src1_sel:DWORD
	v_lshrrev_b32_e32 v5, 3, v12
	v_cmpx_gt_u32_e32 8, v12
; %bb.518:                              ;   in Loop: Header=BB206_15 Depth=1
	v_ffbh_u32_e32 v5, v24
	v_min_u32_e32 v5, 32, v5
	v_subrev_nc_u32_e32 v7, 28, v5
	v_sub_nc_u32_e32 v5, 29, v5
	v_lshlrev_b64 v[7:8], v7, v[24:25]
	v_and_b32_e32 v24, 7, v7
; %bb.519:                              ;   in Loop: Header=BB206_15 Depth=1
	s_or_b32 exec_lo, exec_lo, s21
	v_mov_b32_e32 v7, 24
	v_lshlrev_b32_e32 v8, 20, v24
	v_lshl_add_u32 v5, v5, 23, 0x3c000000
	v_lshlrev_b32_sdwa v7, v7, v4 dst_sel:DWORD dst_unused:UNUSED_PAD src0_sel:DWORD src1_sel:WORD_1
	v_and_b32_e32 v7, 0x80000000, v7
	v_or3_b32 v24, v8, v7, v5
	v_mov_b32_e32 v7, v24
	v_mov_b32_e32 v8, v25
.LBB206_520:                            ;   in Loop: Header=BB206_15 Depth=1
	s_or_b32 exec_lo, exec_lo, s20
.LBB206_521:                            ;   in Loop: Header=BB206_15 Depth=1
	s_or_b32 exec_lo, exec_lo, s19
.LBB206_522:                            ;   in Loop: Header=BB206_15 Depth=1
	s_or_b32 exec_lo, exec_lo, s18
	s_mov_b32 s18, exec_lo
	v_cmpx_lt_u32_e32 0xffffff, v4
	s_cbranch_execz .LBB206_530
; %bb.523:                              ;   in Loop: Header=BB206_15 Depth=1
	v_mov_b32_e32 v39, v25
	v_cmp_ne_u32_sdwa s5, v4, v18 src0_sel:BYTE_3 src1_sel:DWORD
	v_mov_b32_e32 v2, v39
	v_mov_b32_e32 v3, v40
	s_and_saveexec_b32 s19, s5
	s_cbranch_execz .LBB206_529
; %bb.524:                              ;   in Loop: Header=BB206_15 Depth=1
	v_mov_b32_e32 v102, v25
	v_bfe_u32 v5, v4, 24, 7
	s_mov_b32 s20, exec_lo
	v_mov_b32_e32 v2, v102
	v_mov_b32_e32 v3, v103
	v_cmpx_ne_u32_e32 0x7f, v5
	s_cbranch_execz .LBB206_528
; %bb.525:                              ;   in Loop: Header=BB206_15 Depth=1
	v_mov_b32_e32 v2, 7
	s_mov_b32 s21, exec_lo
	v_and_b32_sdwa v24, v4, v2 dst_sel:DWORD dst_unused:UNUSED_PAD src0_sel:BYTE_3 src1_sel:DWORD
	v_lshrrev_b32_e32 v2, 3, v5
	v_cmpx_gt_u32_e32 8, v5
; %bb.526:                              ;   in Loop: Header=BB206_15 Depth=1
	v_ffbh_u32_e32 v2, v24
	v_min_u32_e32 v2, 32, v2
	v_subrev_nc_u32_e32 v3, 28, v2
	v_sub_nc_u32_e32 v2, 29, v2
	v_lshlrev_b64 v[12:13], v3, v[24:25]
	v_and_b32_e32 v24, 7, v12
; %bb.527:                              ;   in Loop: Header=BB206_15 Depth=1
	s_or_b32 exec_lo, exec_lo, s21
	v_mov_b32_e32 v3, 24
	v_lshl_add_u32 v2, v2, 23, 0x3c000000
	v_lshlrev_b32_sdwa v3, v3, v4 dst_sel:DWORD dst_unused:UNUSED_PAD src0_sel:DWORD src1_sel:BYTE_3
	v_lshlrev_b32_e32 v4, 20, v24
	v_and_b32_e32 v3, 0x80000000, v3
	v_or3_b32 v3, v4, v3, v2
	v_mov_b32_e32 v2, v25
.LBB206_528:                            ;   in Loop: Header=BB206_15 Depth=1
	s_or_b32 exec_lo, exec_lo, s20
.LBB206_529:                            ;   in Loop: Header=BB206_15 Depth=1
	s_or_b32 exec_lo, exec_lo, s19
.LBB206_530:                            ;   in Loop: Header=BB206_15 Depth=1
	s_or_b32 exec_lo, exec_lo, s18
	v_add_co_u32 v4, s5, 0x800, v112
	v_add_co_ci_u32_e64 v5, null, 0, v113, s5
	v_mov_b32_e32 v14, 0
	v_mov_b32_e32 v112, 0
	;; [unrolled: 1-line block ×3, first 2 shown]
	flat_load_dword v12, v[4:5]
	v_mov_b32_e32 v113, 0
	s_waitcnt vmcnt(0) lgkmcnt(0)
	v_cmp_ne_u16_sdwa s5, v12, v25 src0_sel:BYTE_0 src1_sel:DWORD
	s_and_saveexec_b32 s18, s5
	s_cbranch_execz .LBB206_538
; %bb.531:                              ;   in Loop: Header=BB206_15 Depth=1
	v_bfrev_b32_e32 v112, 1
	v_mov_b32_e32 v113, 0
	v_cmp_ne_u16_sdwa s5, v12, v18 src0_sel:BYTE_0 src1_sel:DWORD
	s_and_saveexec_b32 s19, s5
	s_cbranch_execz .LBB206_537
; %bb.532:                              ;   in Loop: Header=BB206_15 Depth=1
	v_mov_b32_e32 v112, 0x7f800001
	v_and_b32_e32 v16, 0x7f, v12
	v_mov_b32_e32 v113, 0
	s_mov_b32 s20, exec_lo
	v_cmpx_ne_u32_e32 0x7f, v16
	s_cbranch_execz .LBB206_536
; %bb.533:                              ;   in Loop: Header=BB206_15 Depth=1
	v_and_b32_e32 v24, 7, v12
	v_lshrrev_b32_e32 v13, 3, v16
	s_mov_b32 s21, exec_lo
	v_cmpx_gt_u32_e32 8, v16
; %bb.534:                              ;   in Loop: Header=BB206_15 Depth=1
	v_ffbh_u32_e32 v13, v24
	v_min_u32_e32 v13, 32, v13
	v_subrev_nc_u32_e32 v16, 28, v13
	v_sub_nc_u32_e32 v13, 29, v13
	v_lshlrev_b64 v[16:17], v16, v[24:25]
	v_and_b32_e32 v24, 7, v16
; %bb.535:                              ;   in Loop: Header=BB206_15 Depth=1
	s_or_b32 exec_lo, exec_lo, s21
	v_lshlrev_b32_e32 v16, 24, v12
	v_lshlrev_b32_e32 v17, 20, v24
	v_lshl_add_u32 v13, v13, 23, 0x3c000000
	v_and_b32_e32 v16, 0x80000000, v16
	v_or3_b32 v24, v17, v16, v13
	v_mov_b32_e32 v113, v25
	v_mov_b32_e32 v112, v24
.LBB206_536:                            ;   in Loop: Header=BB206_15 Depth=1
	s_or_b32 exec_lo, exec_lo, s20
.LBB206_537:                            ;   in Loop: Header=BB206_15 Depth=1
	s_or_b32 exec_lo, exec_lo, s19
.LBB206_538:                            ;   in Loop: Header=BB206_15 Depth=1
	s_or_b32 exec_lo, exec_lo, s18
	v_cmp_ne_u16_sdwa s5, v12, v25 src0_sel:BYTE_1 src1_sel:DWORD
	s_and_saveexec_b32 s18, s5
	s_cbranch_execz .LBB206_546
; %bb.539:                              ;   in Loop: Header=BB206_15 Depth=1
	v_mov_b32_e32 v39, v25
	v_cmp_ne_u16_sdwa s5, v12, v18 src0_sel:BYTE_1 src1_sel:DWORD
	v_mov_b32_e32 v14, v39
	v_mov_b32_e32 v15, v40
	s_and_saveexec_b32 s19, s5
	s_cbranch_execz .LBB206_545
; %bb.540:                              ;   in Loop: Header=BB206_15 Depth=1
	v_mov_b32_e32 v13, 0xffff
	v_mov_b32_e32 v102, v25
	s_mov_b32 s20, exec_lo
	v_and_b32_sdwa v13, v13, v12 dst_sel:DWORD dst_unused:UNUSED_PAD src0_sel:DWORD src1_sel:BYTE_1
	v_mov_b32_e32 v14, v102
	v_mov_b32_e32 v15, v103
	v_and_b32_e32 v16, 0x7f, v13
	v_cmpx_ne_u32_e32 0x7f, v16
	s_cbranch_execz .LBB206_544
; %bb.541:                              ;   in Loop: Header=BB206_15 Depth=1
	v_and_b32_e32 v24, 7, v13
	v_lshrrev_b32_e32 v13, 3, v16
	s_mov_b32 s21, exec_lo
	v_cmpx_gt_u32_e32 8, v16
; %bb.542:                              ;   in Loop: Header=BB206_15 Depth=1
	v_ffbh_u32_e32 v13, v24
	v_min_u32_e32 v13, 32, v13
	v_subrev_nc_u32_e32 v14, 28, v13
	v_sub_nc_u32_e32 v13, 29, v13
	v_lshlrev_b64 v[14:15], v14, v[24:25]
	v_and_b32_e32 v24, 7, v14
; %bb.543:                              ;   in Loop: Header=BB206_15 Depth=1
	s_or_b32 exec_lo, exec_lo, s21
	v_lshlrev_b32_e32 v14, 16, v12
	v_lshlrev_b32_e32 v15, 20, v24
	v_lshl_add_u32 v13, v13, 23, 0x3c000000
	v_and_b32_e32 v14, 0x80000000, v14
	v_or3_b32 v15, v15, v14, v13
	v_mov_b32_e32 v14, v25
.LBB206_544:                            ;   in Loop: Header=BB206_15 Depth=1
	s_or_b32 exec_lo, exec_lo, s20
.LBB206_545:                            ;   in Loop: Header=BB206_15 Depth=1
	s_or_b32 exec_lo, exec_lo, s19
.LBB206_546:                            ;   in Loop: Header=BB206_15 Depth=1
	s_or_b32 exec_lo, exec_lo, s18
	v_mov_b32_e32 v16, 0
	v_mov_b32_e32 v27, 0
	v_and_b32_sdwa v13, v12, v45 dst_sel:DWORD dst_unused:UNUSED_PAD src0_sel:WORD_1 src1_sel:DWORD
	v_mov_b32_e32 v17, 0
	v_mov_b32_e32 v28, 0
	s_mov_b32 s18, exec_lo
	v_cmpx_ne_u16_e32 0, v13
	s_cbranch_execz .LBB206_554
; %bb.547:                              ;   in Loop: Header=BB206_15 Depth=1
	v_bfrev_b32_e32 v27, 1
	v_mov_b32_e32 v28, 0
	s_mov_b32 s19, exec_lo
	v_cmpx_ne_u16_e32 0x80, v13
	s_cbranch_execz .LBB206_553
; %bb.548:                              ;   in Loop: Header=BB206_15 Depth=1
	v_mov_b32_e32 v27, 0x7f800001
	v_bfe_u32 v29, v12, 16, 7
	v_mov_b32_e32 v28, 0
	s_mov_b32 s20, exec_lo
	v_cmpx_ne_u32_e32 0x7f, v29
	s_cbranch_execz .LBB206_552
; %bb.549:                              ;   in Loop: Header=BB206_15 Depth=1
	v_mov_b32_e32 v13, 7
	s_mov_b32 s21, exec_lo
	v_and_b32_sdwa v24, v12, v13 dst_sel:DWORD dst_unused:UNUSED_PAD src0_sel:WORD_1 src1_sel:DWORD
	v_lshrrev_b32_e32 v13, 3, v29
	v_cmpx_gt_u32_e32 8, v29
; %bb.550:                              ;   in Loop: Header=BB206_15 Depth=1
	v_ffbh_u32_e32 v13, v24
	v_min_u32_e32 v13, 32, v13
	v_subrev_nc_u32_e32 v27, 28, v13
	v_sub_nc_u32_e32 v13, 29, v13
	v_lshlrev_b64 v[27:28], v27, v[24:25]
	v_and_b32_e32 v24, 7, v27
; %bb.551:                              ;   in Loop: Header=BB206_15 Depth=1
	s_or_b32 exec_lo, exec_lo, s21
	v_mov_b32_e32 v27, 24
	v_lshlrev_b32_e32 v24, 20, v24
	v_lshl_add_u32 v13, v13, 23, 0x3c000000
	v_lshlrev_b32_sdwa v27, v27, v12 dst_sel:DWORD dst_unused:UNUSED_PAD src0_sel:DWORD src1_sel:WORD_1
	v_and_b32_e32 v27, 0x80000000, v27
	v_or3_b32 v24, v24, v27, v13
	v_mov_b32_e32 v28, v25
	v_mov_b32_e32 v27, v24
.LBB206_552:                            ;   in Loop: Header=BB206_15 Depth=1
	s_or_b32 exec_lo, exec_lo, s20
.LBB206_553:                            ;   in Loop: Header=BB206_15 Depth=1
	s_or_b32 exec_lo, exec_lo, s19
.LBB206_554:                            ;   in Loop: Header=BB206_15 Depth=1
	s_or_b32 exec_lo, exec_lo, s18
	s_mov_b32 s18, exec_lo
	v_cmpx_lt_u32_e32 0xffffff, v12
	s_cbranch_execz .LBB206_562
; %bb.555:                              ;   in Loop: Header=BB206_15 Depth=1
	v_mov_b32_e32 v39, v25
	v_cmp_ne_u32_sdwa s5, v12, v18 src0_sel:BYTE_3 src1_sel:DWORD
	v_mov_b32_e32 v16, v39
	v_mov_b32_e32 v17, v40
	s_and_saveexec_b32 s19, s5
	s_cbranch_execz .LBB206_561
; %bb.556:                              ;   in Loop: Header=BB206_15 Depth=1
	v_mov_b32_e32 v102, v25
	v_bfe_u32 v29, v12, 24, 7
	s_mov_b32 s20, exec_lo
	v_mov_b32_e32 v16, v102
	v_mov_b32_e32 v17, v103
	v_cmpx_ne_u32_e32 0x7f, v29
	s_cbranch_execz .LBB206_560
; %bb.557:                              ;   in Loop: Header=BB206_15 Depth=1
	v_mov_b32_e32 v13, 7
	s_mov_b32 s21, exec_lo
	v_and_b32_sdwa v24, v12, v13 dst_sel:DWORD dst_unused:UNUSED_PAD src0_sel:BYTE_3 src1_sel:DWORD
	v_lshrrev_b32_e32 v13, 3, v29
	v_cmpx_gt_u32_e32 8, v29
; %bb.558:                              ;   in Loop: Header=BB206_15 Depth=1
	v_ffbh_u32_e32 v13, v24
	v_min_u32_e32 v13, 32, v13
	v_subrev_nc_u32_e32 v16, 28, v13
	v_sub_nc_u32_e32 v13, 29, v13
	v_lshlrev_b64 v[16:17], v16, v[24:25]
	v_and_b32_e32 v24, 7, v16
; %bb.559:                              ;   in Loop: Header=BB206_15 Depth=1
	s_or_b32 exec_lo, exec_lo, s21
	v_mov_b32_e32 v16, 24
	v_lshl_add_u32 v13, v13, 23, 0x3c000000
	v_lshlrev_b32_sdwa v12, v16, v12 dst_sel:DWORD dst_unused:UNUSED_PAD src0_sel:DWORD src1_sel:BYTE_3
	v_lshlrev_b32_e32 v16, 20, v24
	v_and_b32_e32 v12, 0x80000000, v12
	v_or3_b32 v17, v16, v12, v13
	v_mov_b32_e32 v16, v25
.LBB206_560:                            ;   in Loop: Header=BB206_15 Depth=1
	s_or_b32 exec_lo, exec_lo, s20
.LBB206_561:                            ;   in Loop: Header=BB206_15 Depth=1
	s_or_b32 exec_lo, exec_lo, s19
.LBB206_562:                            ;   in Loop: Header=BB206_15 Depth=1
	s_or_b32 exec_lo, exec_lo, s18
	flat_load_dword v31, v[4:5] offset:4
	v_mov_b32_e32 v12, 0
	v_mov_b32_e32 v33, 0
	;; [unrolled: 1-line block ×4, first 2 shown]
	s_waitcnt vmcnt(0) lgkmcnt(0)
	v_cmp_ne_u16_sdwa s5, v31, v25 src0_sel:BYTE_0 src1_sel:DWORD
	s_and_saveexec_b32 s18, s5
	s_cbranch_execz .LBB206_570
; %bb.563:                              ;   in Loop: Header=BB206_15 Depth=1
	v_bfrev_b32_e32 v33, 1
	v_mov_b32_e32 v34, 0
	v_cmp_ne_u16_sdwa s5, v31, v18 src0_sel:BYTE_0 src1_sel:DWORD
	s_and_saveexec_b32 s19, s5
	s_cbranch_execz .LBB206_569
; %bb.564:                              ;   in Loop: Header=BB206_15 Depth=1
	v_mov_b32_e32 v33, 0x7f800001
	v_and_b32_e32 v30, 0x7f, v31
	v_mov_b32_e32 v34, 0
	s_mov_b32 s20, exec_lo
	v_cmpx_ne_u32_e32 0x7f, v30
	s_cbranch_execz .LBB206_568
; %bb.565:                              ;   in Loop: Header=BB206_15 Depth=1
	v_and_b32_e32 v24, 7, v31
	v_lshrrev_b32_e32 v29, 3, v30
	s_mov_b32 s21, exec_lo
	v_cmpx_gt_u32_e32 8, v30
; %bb.566:                              ;   in Loop: Header=BB206_15 Depth=1
	v_ffbh_u32_e32 v29, v24
	v_min_u32_e32 v29, 32, v29
	v_subrev_nc_u32_e32 v30, 28, v29
	v_sub_nc_u32_e32 v29, 29, v29
	v_lshlrev_b64 v[32:33], v30, v[24:25]
	v_and_b32_e32 v24, 7, v32
; %bb.567:                              ;   in Loop: Header=BB206_15 Depth=1
	s_or_b32 exec_lo, exec_lo, s21
	v_lshlrev_b32_e32 v30, 24, v31
	v_lshlrev_b32_e32 v24, 20, v24
	v_lshl_add_u32 v29, v29, 23, 0x3c000000
	v_and_b32_e32 v30, 0x80000000, v30
	v_or3_b32 v24, v24, v30, v29
	v_mov_b32_e32 v34, v25
	v_mov_b32_e32 v33, v24
.LBB206_568:                            ;   in Loop: Header=BB206_15 Depth=1
	s_or_b32 exec_lo, exec_lo, s20
.LBB206_569:                            ;   in Loop: Header=BB206_15 Depth=1
	s_or_b32 exec_lo, exec_lo, s19
.LBB206_570:                            ;   in Loop: Header=BB206_15 Depth=1
	s_or_b32 exec_lo, exec_lo, s18
	v_cmp_ne_u16_sdwa s5, v31, v25 src0_sel:BYTE_1 src1_sel:DWORD
	s_and_saveexec_b32 s18, s5
	s_cbranch_execz .LBB206_578
; %bb.571:                              ;   in Loop: Header=BB206_15 Depth=1
	v_mov_b32_e32 v39, v25
	v_cmp_ne_u16_sdwa s5, v31, v18 src0_sel:BYTE_1 src1_sel:DWORD
	v_mov_b32_e32 v12, v39
	v_mov_b32_e32 v13, v40
	s_and_saveexec_b32 s19, s5
	s_cbranch_execz .LBB206_577
; %bb.572:                              ;   in Loop: Header=BB206_15 Depth=1
	v_mov_b32_e32 v12, 0xffff
	v_mov_b32_e32 v102, v25
	s_mov_b32 s20, exec_lo
	v_and_b32_sdwa v24, v12, v31 dst_sel:DWORD dst_unused:UNUSED_PAD src0_sel:DWORD src1_sel:BYTE_1
	v_mov_b32_e32 v12, v102
	v_mov_b32_e32 v13, v103
	v_and_b32_e32 v29, 0x7f, v24
	v_cmpx_ne_u32_e32 0x7f, v29
	s_cbranch_execz .LBB206_576
; %bb.573:                              ;   in Loop: Header=BB206_15 Depth=1
	v_and_b32_e32 v24, 7, v24
	v_lshrrev_b32_e32 v12, 3, v29
	s_mov_b32 s21, exec_lo
	v_cmpx_gt_u32_e32 8, v29
; %bb.574:                              ;   in Loop: Header=BB206_15 Depth=1
	v_ffbh_u32_e32 v12, v24
	v_min_u32_e32 v12, 32, v12
	v_subrev_nc_u32_e32 v13, 28, v12
	v_sub_nc_u32_e32 v12, 29, v12
	v_lshlrev_b64 v[29:30], v13, v[24:25]
	v_and_b32_e32 v24, 7, v29
; %bb.575:                              ;   in Loop: Header=BB206_15 Depth=1
	s_or_b32 exec_lo, exec_lo, s21
	v_lshlrev_b32_e32 v13, 16, v31
	v_lshlrev_b32_e32 v24, 20, v24
	v_lshl_add_u32 v12, v12, 23, 0x3c000000
	v_and_b32_e32 v13, 0x80000000, v13
	v_or3_b32 v13, v24, v13, v12
	v_mov_b32_e32 v12, v25
.LBB206_576:                            ;   in Loop: Header=BB206_15 Depth=1
	s_or_b32 exec_lo, exec_lo, s20
.LBB206_577:                            ;   in Loop: Header=BB206_15 Depth=1
	s_or_b32 exec_lo, exec_lo, s19
.LBB206_578:                            ;   in Loop: Header=BB206_15 Depth=1
	s_or_b32 exec_lo, exec_lo, s18
	v_mov_b32_e32 v35, 0
	v_mov_b32_e32 v29, 0
	v_and_b32_sdwa v24, v31, v45 dst_sel:DWORD dst_unused:UNUSED_PAD src0_sel:WORD_1 src1_sel:DWORD
	v_mov_b32_e32 v36, 0
	v_mov_b32_e32 v30, 0
	s_mov_b32 s18, exec_lo
	v_cmpx_ne_u16_e32 0, v24
	s_cbranch_execz .LBB206_586
; %bb.579:                              ;   in Loop: Header=BB206_15 Depth=1
	v_bfrev_b32_e32 v29, 1
	v_mov_b32_e32 v30, 0
	s_mov_b32 s19, exec_lo
	v_cmpx_ne_u16_e32 0x80, v24
	s_cbranch_execz .LBB206_585
; %bb.580:                              ;   in Loop: Header=BB206_15 Depth=1
	v_mov_b32_e32 v29, 0x7f800001
	v_bfe_u32 v32, v31, 16, 7
	v_mov_b32_e32 v30, 0
	s_mov_b32 s20, exec_lo
	v_cmpx_ne_u32_e32 0x7f, v32
	s_cbranch_execz .LBB206_584
; %bb.581:                              ;   in Loop: Header=BB206_15 Depth=1
	v_mov_b32_e32 v24, 7
	v_lshrrev_b32_e32 v29, 3, v32
	s_mov_b32 s21, exec_lo
	v_and_b32_sdwa v24, v31, v24 dst_sel:DWORD dst_unused:UNUSED_PAD src0_sel:WORD_1 src1_sel:DWORD
	v_cmpx_gt_u32_e32 8, v32
; %bb.582:                              ;   in Loop: Header=BB206_15 Depth=1
	v_ffbh_u32_e32 v29, v24
	v_min_u32_e32 v29, 32, v29
	v_subrev_nc_u32_e32 v30, 28, v29
	v_sub_nc_u32_e32 v29, 29, v29
	v_lshlrev_b64 v[37:38], v30, v[24:25]
	v_and_b32_e32 v24, 7, v37
; %bb.583:                              ;   in Loop: Header=BB206_15 Depth=1
	s_or_b32 exec_lo, exec_lo, s21
	v_mov_b32_e32 v30, 24
	v_lshlrev_b32_e32 v24, 20, v24
	v_lshl_add_u32 v29, v29, 23, 0x3c000000
	v_lshlrev_b32_sdwa v30, v30, v31 dst_sel:DWORD dst_unused:UNUSED_PAD src0_sel:DWORD src1_sel:WORD_1
	v_and_b32_e32 v30, 0x80000000, v30
	v_or3_b32 v24, v24, v30, v29
	v_mov_b32_e32 v30, v25
	v_mov_b32_e32 v29, v24
.LBB206_584:                            ;   in Loop: Header=BB206_15 Depth=1
	s_or_b32 exec_lo, exec_lo, s20
.LBB206_585:                            ;   in Loop: Header=BB206_15 Depth=1
	s_or_b32 exec_lo, exec_lo, s19
.LBB206_586:                            ;   in Loop: Header=BB206_15 Depth=1
	s_or_b32 exec_lo, exec_lo, s18
	s_mov_b32 s18, exec_lo
	v_cmpx_lt_u32_e32 0xffffff, v31
	s_cbranch_execz .LBB206_594
; %bb.587:                              ;   in Loop: Header=BB206_15 Depth=1
	v_mov_b32_e32 v39, v25
	v_cmp_ne_u32_sdwa s5, v31, v18 src0_sel:BYTE_3 src1_sel:DWORD
	v_mov_b32_e32 v35, v39
	v_mov_b32_e32 v36, v40
	s_and_saveexec_b32 s19, s5
	s_cbranch_execz .LBB206_593
; %bb.588:                              ;   in Loop: Header=BB206_15 Depth=1
	v_mov_b32_e32 v102, v25
	v_bfe_u32 v37, v31, 24, 7
	s_mov_b32 s20, exec_lo
	v_mov_b32_e32 v35, v102
	v_mov_b32_e32 v36, v103
	v_cmpx_ne_u32_e32 0x7f, v37
	s_cbranch_execz .LBB206_592
; %bb.589:                              ;   in Loop: Header=BB206_15 Depth=1
	v_mov_b32_e32 v24, 7
	v_lshrrev_b32_e32 v32, 3, v37
	s_mov_b32 s21, exec_lo
	v_and_b32_sdwa v24, v31, v24 dst_sel:DWORD dst_unused:UNUSED_PAD src0_sel:BYTE_3 src1_sel:DWORD
	v_cmpx_gt_u32_e32 8, v37
; %bb.590:                              ;   in Loop: Header=BB206_15 Depth=1
	v_ffbh_u32_e32 v32, v24
	v_min_u32_e32 v32, 32, v32
	v_subrev_nc_u32_e32 v35, 28, v32
	v_sub_nc_u32_e32 v32, 29, v32
	v_lshlrev_b64 v[35:36], v35, v[24:25]
	v_and_b32_e32 v24, 7, v35
; %bb.591:                              ;   in Loop: Header=BB206_15 Depth=1
	s_or_b32 exec_lo, exec_lo, s21
	v_mov_b32_e32 v35, 24
	v_lshlrev_b32_e32 v24, 20, v24
	v_lshl_add_u32 v32, v32, 23, 0x3c000000
	v_lshlrev_b32_sdwa v31, v35, v31 dst_sel:DWORD dst_unused:UNUSED_PAD src0_sel:DWORD src1_sel:BYTE_3
	v_mov_b32_e32 v35, v25
	v_and_b32_e32 v31, 0x80000000, v31
	v_or3_b32 v36, v24, v31, v32
.LBB206_592:                            ;   in Loop: Header=BB206_15 Depth=1
	s_or_b32 exec_lo, exec_lo, s20
.LBB206_593:                            ;   in Loop: Header=BB206_15 Depth=1
	s_or_b32 exec_lo, exec_lo, s19
.LBB206_594:                            ;   in Loop: Header=BB206_15 Depth=1
	s_or_b32 exec_lo, exec_lo, s18
	flat_load_dword v48, v[4:5] offset:8
	v_mov_b32_e32 v31, 0
	v_mov_b32_e32 v50, 0
	v_mov_b32_e32 v32, 0
	v_mov_b32_e32 v51, 0
	s_waitcnt vmcnt(0) lgkmcnt(0)
	v_cmp_ne_u16_sdwa s5, v48, v25 src0_sel:BYTE_0 src1_sel:DWORD
	s_and_saveexec_b32 s18, s5
	s_cbranch_execz .LBB206_602
; %bb.595:                              ;   in Loop: Header=BB206_15 Depth=1
	v_bfrev_b32_e32 v50, 1
	v_mov_b32_e32 v51, 0
	v_cmp_ne_u16_sdwa s5, v48, v18 src0_sel:BYTE_0 src1_sel:DWORD
	s_and_saveexec_b32 s19, s5
	s_cbranch_execz .LBB206_601
; %bb.596:                              ;   in Loop: Header=BB206_15 Depth=1
	v_mov_b32_e32 v50, 0x7f800001
	v_and_b32_e32 v38, 0x7f, v48
	v_mov_b32_e32 v51, 0
	s_mov_b32 s20, exec_lo
	v_cmpx_ne_u32_e32 0x7f, v38
	s_cbranch_execz .LBB206_600
; %bb.597:                              ;   in Loop: Header=BB206_15 Depth=1
	v_and_b32_e32 v24, 7, v48
	v_lshrrev_b32_e32 v37, 3, v38
	s_mov_b32 s21, exec_lo
	v_cmpx_gt_u32_e32 8, v38
; %bb.598:                              ;   in Loop: Header=BB206_15 Depth=1
	v_ffbh_u32_e32 v37, v24
	v_min_u32_e32 v37, 32, v37
	v_subrev_nc_u32_e32 v38, 28, v37
	v_sub_nc_u32_e32 v37, 29, v37
	v_lshlrev_b64 v[38:39], v38, v[24:25]
	v_and_b32_e32 v24, 7, v38
; %bb.599:                              ;   in Loop: Header=BB206_15 Depth=1
	s_or_b32 exec_lo, exec_lo, s21
	v_lshlrev_b32_e32 v38, 24, v48
	v_lshlrev_b32_e32 v24, 20, v24
	v_lshl_add_u32 v37, v37, 23, 0x3c000000
	v_and_b32_e32 v38, 0x80000000, v38
	v_or3_b32 v24, v24, v38, v37
	v_mov_b32_e32 v51, v25
	v_mov_b32_e32 v50, v24
.LBB206_600:                            ;   in Loop: Header=BB206_15 Depth=1
	s_or_b32 exec_lo, exec_lo, s20
.LBB206_601:                            ;   in Loop: Header=BB206_15 Depth=1
	s_or_b32 exec_lo, exec_lo, s19
.LBB206_602:                            ;   in Loop: Header=BB206_15 Depth=1
	s_or_b32 exec_lo, exec_lo, s18
	v_cmp_ne_u16_sdwa s5, v48, v25 src0_sel:BYTE_1 src1_sel:DWORD
	s_and_saveexec_b32 s18, s5
	s_cbranch_execz .LBB206_610
; %bb.603:                              ;   in Loop: Header=BB206_15 Depth=1
	v_mov_b32_e32 v39, v25
	v_cmp_ne_u16_sdwa s5, v48, v18 src0_sel:BYTE_1 src1_sel:DWORD
	v_mov_b32_e32 v31, v39
	v_mov_b32_e32 v32, v40
	s_and_saveexec_b32 s19, s5
	s_cbranch_execz .LBB206_609
; %bb.604:                              ;   in Loop: Header=BB206_15 Depth=1
	v_mov_b32_e32 v24, 0xffff
	v_mov_b32_e32 v102, v25
	s_mov_b32 s20, exec_lo
	v_and_b32_sdwa v24, v24, v48 dst_sel:DWORD dst_unused:UNUSED_PAD src0_sel:DWORD src1_sel:BYTE_1
	v_mov_b32_e32 v31, v102
	v_mov_b32_e32 v32, v103
	v_and_b32_e32 v37, 0x7f, v24
	v_cmpx_ne_u32_e32 0x7f, v37
	s_cbranch_execz .LBB206_608
; %bb.605:                              ;   in Loop: Header=BB206_15 Depth=1
	v_and_b32_e32 v24, 7, v24
	v_lshrrev_b32_e32 v31, 3, v37
	s_mov_b32 s21, exec_lo
	v_cmpx_gt_u32_e32 8, v37
; %bb.606:                              ;   in Loop: Header=BB206_15 Depth=1
	v_ffbh_u32_e32 v31, v24
	v_min_u32_e32 v31, 32, v31
	v_subrev_nc_u32_e32 v32, 28, v31
	v_sub_nc_u32_e32 v31, 29, v31
	v_lshlrev_b64 v[37:38], v32, v[24:25]
	v_and_b32_e32 v24, 7, v37
; %bb.607:                              ;   in Loop: Header=BB206_15 Depth=1
	s_or_b32 exec_lo, exec_lo, s21
	v_lshlrev_b32_e32 v32, 16, v48
	v_lshlrev_b32_e32 v24, 20, v24
	v_lshl_add_u32 v31, v31, 23, 0x3c000000
	v_and_b32_e32 v32, 0x80000000, v32
	v_or3_b32 v32, v24, v32, v31
	v_mov_b32_e32 v31, v25
.LBB206_608:                            ;   in Loop: Header=BB206_15 Depth=1
	s_or_b32 exec_lo, exec_lo, s20
.LBB206_609:                            ;   in Loop: Header=BB206_15 Depth=1
	s_or_b32 exec_lo, exec_lo, s19
.LBB206_610:                            ;   in Loop: Header=BB206_15 Depth=1
	s_or_b32 exec_lo, exec_lo, s18
	v_mov_b32_e32 v52, 0
	v_mov_b32_e32 v37, 0
	v_and_b32_sdwa v24, v48, v45 dst_sel:DWORD dst_unused:UNUSED_PAD src0_sel:WORD_1 src1_sel:DWORD
	v_mov_b32_e32 v53, 0
	v_mov_b32_e32 v38, 0
	s_mov_b32 s18, exec_lo
	v_cmpx_ne_u16_e32 0, v24
	s_cbranch_execz .LBB206_618
; %bb.611:                              ;   in Loop: Header=BB206_15 Depth=1
	v_bfrev_b32_e32 v37, 1
	v_mov_b32_e32 v38, 0
	s_mov_b32 s19, exec_lo
	v_cmpx_ne_u16_e32 0x80, v24
	s_cbranch_execz .LBB206_617
; %bb.612:                              ;   in Loop: Header=BB206_15 Depth=1
	v_mov_b32_e32 v37, 0x7f800001
	v_bfe_u32 v39, v48, 16, 7
	v_mov_b32_e32 v38, 0
	s_mov_b32 s20, exec_lo
	v_cmpx_ne_u32_e32 0x7f, v39
	s_cbranch_execz .LBB206_616
; %bb.613:                              ;   in Loop: Header=BB206_15 Depth=1
	v_mov_b32_e32 v24, 7
	v_lshrrev_b32_e32 v37, 3, v39
	s_mov_b32 s21, exec_lo
	v_and_b32_sdwa v24, v48, v24 dst_sel:DWORD dst_unused:UNUSED_PAD src0_sel:WORD_1 src1_sel:DWORD
	v_cmpx_gt_u32_e32 8, v39
; %bb.614:                              ;   in Loop: Header=BB206_15 Depth=1
	v_ffbh_u32_e32 v37, v24
	v_min_u32_e32 v37, 32, v37
	v_subrev_nc_u32_e32 v38, 28, v37
	v_sub_nc_u32_e32 v37, 29, v37
	v_lshlrev_b64 v[38:39], v38, v[24:25]
	v_and_b32_e32 v24, 7, v38
; %bb.615:                              ;   in Loop: Header=BB206_15 Depth=1
	s_or_b32 exec_lo, exec_lo, s21
	v_mov_b32_e32 v38, 24
	v_lshlrev_b32_e32 v24, 20, v24
	v_lshl_add_u32 v37, v37, 23, 0x3c000000
	v_lshlrev_b32_sdwa v38, v38, v48 dst_sel:DWORD dst_unused:UNUSED_PAD src0_sel:DWORD src1_sel:WORD_1
	v_and_b32_e32 v38, 0x80000000, v38
	v_or3_b32 v24, v24, v38, v37
	v_mov_b32_e32 v38, v25
	v_mov_b32_e32 v37, v24
.LBB206_616:                            ;   in Loop: Header=BB206_15 Depth=1
	s_or_b32 exec_lo, exec_lo, s20
.LBB206_617:                            ;   in Loop: Header=BB206_15 Depth=1
	s_or_b32 exec_lo, exec_lo, s19
.LBB206_618:                            ;   in Loop: Header=BB206_15 Depth=1
	s_or_b32 exec_lo, exec_lo, s18
	s_mov_b32 s18, exec_lo
	v_cmpx_lt_u32_e32 0xffffff, v48
	s_cbranch_execz .LBB206_626
; %bb.619:                              ;   in Loop: Header=BB206_15 Depth=1
	v_mov_b32_e32 v39, v25
	v_mov_b32_e32 v53, v40
	v_cmp_ne_u32_sdwa s5, v48, v18 src0_sel:BYTE_3 src1_sel:DWORD
	v_mov_b32_e32 v52, v39
	s_and_saveexec_b32 s19, s5
	s_cbranch_execz .LBB206_625
; %bb.620:                              ;   in Loop: Header=BB206_15 Depth=1
	v_mov_b32_e32 v102, v25
	v_bfe_u32 v49, v48, 24, 7
	s_mov_b32 s20, exec_lo
	v_mov_b32_e32 v52, v102
	v_mov_b32_e32 v53, v103
	v_cmpx_ne_u32_e32 0x7f, v49
	s_cbranch_execz .LBB206_624
; %bb.621:                              ;   in Loop: Header=BB206_15 Depth=1
	v_mov_b32_e32 v24, 7
	v_lshrrev_b32_e32 v39, 3, v49
	s_mov_b32 s21, exec_lo
	v_and_b32_sdwa v24, v48, v24 dst_sel:DWORD dst_unused:UNUSED_PAD src0_sel:BYTE_3 src1_sel:DWORD
	v_cmpx_gt_u32_e32 8, v49
; %bb.622:                              ;   in Loop: Header=BB206_15 Depth=1
	v_ffbh_u32_e32 v39, v24
	v_min_u32_e32 v39, 32, v39
	v_subrev_nc_u32_e32 v49, 28, v39
	v_sub_nc_u32_e32 v39, 29, v39
	v_lshlrev_b64 v[52:53], v49, v[24:25]
	v_and_b32_e32 v24, 7, v52
; %bb.623:                              ;   in Loop: Header=BB206_15 Depth=1
	s_or_b32 exec_lo, exec_lo, s21
	v_mov_b32_e32 v49, 24
	v_lshlrev_b32_e32 v24, 20, v24
	v_lshl_add_u32 v39, v39, 23, 0x3c000000
	v_mov_b32_e32 v52, v25
	v_lshlrev_b32_sdwa v48, v49, v48 dst_sel:DWORD dst_unused:UNUSED_PAD src0_sel:DWORD src1_sel:BYTE_3
	v_and_b32_e32 v48, 0x80000000, v48
	v_or3_b32 v53, v24, v48, v39
.LBB206_624:                            ;   in Loop: Header=BB206_15 Depth=1
	s_or_b32 exec_lo, exec_lo, s20
.LBB206_625:                            ;   in Loop: Header=BB206_15 Depth=1
	s_or_b32 exec_lo, exec_lo, s19
.LBB206_626:                            ;   in Loop: Header=BB206_15 Depth=1
	s_or_b32 exec_lo, exec_lo, s18
	flat_load_dword v64, v[4:5] offset:12
	v_mov_b32_e32 v48, 0
	v_mov_b32_e32 v66, 0
	;; [unrolled: 1-line block ×4, first 2 shown]
	s_waitcnt vmcnt(0) lgkmcnt(0)
	v_cmp_ne_u16_sdwa s5, v64, v25 src0_sel:BYTE_0 src1_sel:DWORD
	s_and_saveexec_b32 s18, s5
	s_cbranch_execz .LBB206_634
; %bb.627:                              ;   in Loop: Header=BB206_15 Depth=1
	v_bfrev_b32_e32 v66, 1
	v_mov_b32_e32 v67, 0
	v_cmp_ne_u16_sdwa s5, v64, v18 src0_sel:BYTE_0 src1_sel:DWORD
	s_and_saveexec_b32 s19, s5
	s_cbranch_execz .LBB206_633
; %bb.628:                              ;   in Loop: Header=BB206_15 Depth=1
	v_mov_b32_e32 v66, 0x7f800001
	v_and_b32_e32 v54, 0x7f, v64
	v_mov_b32_e32 v67, 0
	s_mov_b32 s20, exec_lo
	v_cmpx_ne_u32_e32 0x7f, v54
	s_cbranch_execz .LBB206_632
; %bb.629:                              ;   in Loop: Header=BB206_15 Depth=1
	v_and_b32_e32 v24, 7, v64
	v_lshrrev_b32_e32 v39, 3, v54
	s_mov_b32 s21, exec_lo
	v_cmpx_gt_u32_e32 8, v54
; %bb.630:                              ;   in Loop: Header=BB206_15 Depth=1
	v_ffbh_u32_e32 v39, v24
	v_min_u32_e32 v39, 32, v39
	v_subrev_nc_u32_e32 v54, 28, v39
	v_sub_nc_u32_e32 v39, 29, v39
	v_lshlrev_b64 v[54:55], v54, v[24:25]
	v_and_b32_e32 v24, 7, v54
; %bb.631:                              ;   in Loop: Header=BB206_15 Depth=1
	s_or_b32 exec_lo, exec_lo, s21
	v_lshlrev_b32_e32 v54, 24, v64
	v_lshlrev_b32_e32 v24, 20, v24
	v_lshl_add_u32 v39, v39, 23, 0x3c000000
	v_and_b32_e32 v54, 0x80000000, v54
	v_or3_b32 v24, v24, v54, v39
	v_mov_b32_e32 v67, v25
	v_mov_b32_e32 v66, v24
.LBB206_632:                            ;   in Loop: Header=BB206_15 Depth=1
	s_or_b32 exec_lo, exec_lo, s20
.LBB206_633:                            ;   in Loop: Header=BB206_15 Depth=1
	s_or_b32 exec_lo, exec_lo, s19
.LBB206_634:                            ;   in Loop: Header=BB206_15 Depth=1
	s_or_b32 exec_lo, exec_lo, s18
	v_cmp_ne_u16_sdwa s5, v64, v25 src0_sel:BYTE_1 src1_sel:DWORD
	s_and_saveexec_b32 s18, s5
	s_cbranch_execz .LBB206_642
; %bb.635:                              ;   in Loop: Header=BB206_15 Depth=1
	v_mov_b32_e32 v39, v25
	v_mov_b32_e32 v49, v40
	v_cmp_ne_u16_sdwa s5, v64, v18 src0_sel:BYTE_1 src1_sel:DWORD
	v_mov_b32_e32 v48, v39
	s_and_saveexec_b32 s19, s5
	s_cbranch_execz .LBB206_641
; %bb.636:                              ;   in Loop: Header=BB206_15 Depth=1
	v_mov_b32_e32 v24, 0xffff
	v_mov_b32_e32 v102, v25
	s_mov_b32 s20, exec_lo
	v_and_b32_sdwa v24, v24, v64 dst_sel:DWORD dst_unused:UNUSED_PAD src0_sel:DWORD src1_sel:BYTE_1
	v_mov_b32_e32 v48, v102
	v_mov_b32_e32 v49, v103
	v_and_b32_e32 v54, 0x7f, v24
	v_cmpx_ne_u32_e32 0x7f, v54
	s_cbranch_execz .LBB206_640
; %bb.637:                              ;   in Loop: Header=BB206_15 Depth=1
	v_and_b32_e32 v24, 7, v24
	v_lshrrev_b32_e32 v39, 3, v54
	s_mov_b32 s21, exec_lo
	v_cmpx_gt_u32_e32 8, v54
; %bb.638:                              ;   in Loop: Header=BB206_15 Depth=1
	v_ffbh_u32_e32 v39, v24
	v_min_u32_e32 v39, 32, v39
	v_subrev_nc_u32_e32 v48, 28, v39
	v_sub_nc_u32_e32 v39, 29, v39
	v_lshlrev_b64 v[48:49], v48, v[24:25]
	v_and_b32_e32 v24, 7, v48
; %bb.639:                              ;   in Loop: Header=BB206_15 Depth=1
	s_or_b32 exec_lo, exec_lo, s21
	v_lshlrev_b32_e32 v48, 16, v64
	v_lshlrev_b32_e32 v24, 20, v24
	v_lshl_add_u32 v39, v39, 23, 0x3c000000
	v_and_b32_e32 v48, 0x80000000, v48
	v_or3_b32 v49, v24, v48, v39
	v_mov_b32_e32 v48, v25
.LBB206_640:                            ;   in Loop: Header=BB206_15 Depth=1
	s_or_b32 exec_lo, exec_lo, s20
.LBB206_641:                            ;   in Loop: Header=BB206_15 Depth=1
	s_or_b32 exec_lo, exec_lo, s19
.LBB206_642:                            ;   in Loop: Header=BB206_15 Depth=1
	s_or_b32 exec_lo, exec_lo, s18
	v_mov_b32_e32 v68, 0
	v_mov_b32_e32 v54, 0
	v_and_b32_sdwa v24, v64, v45 dst_sel:DWORD dst_unused:UNUSED_PAD src0_sel:WORD_1 src1_sel:DWORD
	v_mov_b32_e32 v69, 0
	v_mov_b32_e32 v55, 0
	s_mov_b32 s18, exec_lo
	v_cmpx_ne_u16_e32 0, v24
	s_cbranch_execz .LBB206_650
; %bb.643:                              ;   in Loop: Header=BB206_15 Depth=1
	v_bfrev_b32_e32 v54, 1
	v_mov_b32_e32 v55, 0
	s_mov_b32 s19, exec_lo
	v_cmpx_ne_u16_e32 0x80, v24
	s_cbranch_execz .LBB206_649
; %bb.644:                              ;   in Loop: Header=BB206_15 Depth=1
	v_mov_b32_e32 v54, 0x7f800001
	v_bfe_u32 v65, v64, 16, 7
	v_mov_b32_e32 v55, 0
	s_mov_b32 s20, exec_lo
	v_cmpx_ne_u32_e32 0x7f, v65
	s_cbranch_execz .LBB206_648
; %bb.645:                              ;   in Loop: Header=BB206_15 Depth=1
	v_mov_b32_e32 v24, 7
	v_lshrrev_b32_e32 v39, 3, v65
	s_mov_b32 s21, exec_lo
	v_and_b32_sdwa v24, v64, v24 dst_sel:DWORD dst_unused:UNUSED_PAD src0_sel:WORD_1 src1_sel:DWORD
	v_cmpx_gt_u32_e32 8, v65
; %bb.646:                              ;   in Loop: Header=BB206_15 Depth=1
	v_ffbh_u32_e32 v39, v24
	v_min_u32_e32 v39, 32, v39
	v_subrev_nc_u32_e32 v54, 28, v39
	v_sub_nc_u32_e32 v39, 29, v39
	v_lshlrev_b64 v[54:55], v54, v[24:25]
	v_and_b32_e32 v24, 7, v54
; %bb.647:                              ;   in Loop: Header=BB206_15 Depth=1
	s_or_b32 exec_lo, exec_lo, s21
	v_mov_b32_e32 v54, 24
	v_lshlrev_b32_e32 v24, 20, v24
	v_lshl_add_u32 v39, v39, 23, 0x3c000000
	v_lshlrev_b32_sdwa v54, v54, v64 dst_sel:DWORD dst_unused:UNUSED_PAD src0_sel:DWORD src1_sel:WORD_1
	v_and_b32_e32 v54, 0x80000000, v54
	v_or3_b32 v24, v24, v54, v39
	v_mov_b32_e32 v55, v25
	v_mov_b32_e32 v54, v24
.LBB206_648:                            ;   in Loop: Header=BB206_15 Depth=1
	s_or_b32 exec_lo, exec_lo, s20
.LBB206_649:                            ;   in Loop: Header=BB206_15 Depth=1
	s_or_b32 exec_lo, exec_lo, s19
.LBB206_650:                            ;   in Loop: Header=BB206_15 Depth=1
	s_or_b32 exec_lo, exec_lo, s18
	s_mov_b32 s18, exec_lo
	v_cmpx_lt_u32_e32 0xffffff, v64
	s_cbranch_execz .LBB206_658
; %bb.651:                              ;   in Loop: Header=BB206_15 Depth=1
	v_mov_b32_e32 v39, v25
	v_mov_b32_e32 v69, v40
	v_cmp_ne_u32_sdwa s5, v64, v18 src0_sel:BYTE_3 src1_sel:DWORD
	v_mov_b32_e32 v68, v39
	s_and_saveexec_b32 s19, s5
	s_cbranch_execz .LBB206_657
; %bb.652:                              ;   in Loop: Header=BB206_15 Depth=1
	v_mov_b32_e32 v102, v25
	v_bfe_u32 v65, v64, 24, 7
	s_mov_b32 s20, exec_lo
	v_mov_b32_e32 v68, v102
	v_mov_b32_e32 v69, v103
	v_cmpx_ne_u32_e32 0x7f, v65
	s_cbranch_execz .LBB206_656
; %bb.653:                              ;   in Loop: Header=BB206_15 Depth=1
	v_mov_b32_e32 v24, 7
	v_lshrrev_b32_e32 v39, 3, v65
	s_mov_b32 s21, exec_lo
	v_and_b32_sdwa v24, v64, v24 dst_sel:DWORD dst_unused:UNUSED_PAD src0_sel:BYTE_3 src1_sel:DWORD
	v_cmpx_gt_u32_e32 8, v65
; %bb.654:                              ;   in Loop: Header=BB206_15 Depth=1
	v_ffbh_u32_e32 v39, v24
	v_min_u32_e32 v39, 32, v39
	v_subrev_nc_u32_e32 v65, 28, v39
	v_sub_nc_u32_e32 v39, 29, v39
	v_lshlrev_b64 v[68:69], v65, v[24:25]
	v_and_b32_e32 v24, 7, v68
; %bb.655:                              ;   in Loop: Header=BB206_15 Depth=1
	s_or_b32 exec_lo, exec_lo, s21
	v_mov_b32_e32 v65, 24
	v_lshlrev_b32_e32 v24, 20, v24
	v_lshl_add_u32 v39, v39, 23, 0x3c000000
	v_mov_b32_e32 v68, v25
	v_lshlrev_b32_sdwa v64, v65, v64 dst_sel:DWORD dst_unused:UNUSED_PAD src0_sel:DWORD src1_sel:BYTE_3
	v_and_b32_e32 v64, 0x80000000, v64
	v_or3_b32 v69, v24, v64, v39
.LBB206_656:                            ;   in Loop: Header=BB206_15 Depth=1
	s_or_b32 exec_lo, exec_lo, s20
.LBB206_657:                            ;   in Loop: Header=BB206_15 Depth=1
	s_or_b32 exec_lo, exec_lo, s19
.LBB206_658:                            ;   in Loop: Header=BB206_15 Depth=1
	s_or_b32 exec_lo, exec_lo, s18
	flat_load_dword v80, v[4:5] offset:512
	v_mov_b32_e32 v64, 0
	v_mov_b32_e32 v82, 0
	;; [unrolled: 1-line block ×4, first 2 shown]
	s_waitcnt vmcnt(0) lgkmcnt(0)
	v_cmp_ne_u16_sdwa s5, v80, v25 src0_sel:BYTE_0 src1_sel:DWORD
	s_and_saveexec_b32 s18, s5
	s_cbranch_execz .LBB206_666
; %bb.659:                              ;   in Loop: Header=BB206_15 Depth=1
	v_bfrev_b32_e32 v82, 1
	v_mov_b32_e32 v83, 0
	v_cmp_ne_u16_sdwa s5, v80, v18 src0_sel:BYTE_0 src1_sel:DWORD
	s_and_saveexec_b32 s19, s5
	s_cbranch_execz .LBB206_665
; %bb.660:                              ;   in Loop: Header=BB206_15 Depth=1
	v_mov_b32_e32 v82, 0x7f800001
	v_and_b32_e32 v70, 0x7f, v80
	v_mov_b32_e32 v83, 0
	s_mov_b32 s20, exec_lo
	v_cmpx_ne_u32_e32 0x7f, v70
	s_cbranch_execz .LBB206_664
; %bb.661:                              ;   in Loop: Header=BB206_15 Depth=1
	v_and_b32_e32 v24, 7, v80
	v_lshrrev_b32_e32 v39, 3, v70
	s_mov_b32 s21, exec_lo
	v_cmpx_gt_u32_e32 8, v70
; %bb.662:                              ;   in Loop: Header=BB206_15 Depth=1
	v_ffbh_u32_e32 v39, v24
	v_min_u32_e32 v39, 32, v39
	v_subrev_nc_u32_e32 v70, 28, v39
	v_sub_nc_u32_e32 v39, 29, v39
	v_lshlrev_b64 v[70:71], v70, v[24:25]
	v_and_b32_e32 v24, 7, v70
; %bb.663:                              ;   in Loop: Header=BB206_15 Depth=1
	s_or_b32 exec_lo, exec_lo, s21
	v_lshlrev_b32_e32 v70, 24, v80
	v_lshlrev_b32_e32 v24, 20, v24
	v_lshl_add_u32 v39, v39, 23, 0x3c000000
	v_and_b32_e32 v70, 0x80000000, v70
	v_or3_b32 v24, v24, v70, v39
	v_mov_b32_e32 v83, v25
	v_mov_b32_e32 v82, v24
.LBB206_664:                            ;   in Loop: Header=BB206_15 Depth=1
	s_or_b32 exec_lo, exec_lo, s20
.LBB206_665:                            ;   in Loop: Header=BB206_15 Depth=1
	s_or_b32 exec_lo, exec_lo, s19
.LBB206_666:                            ;   in Loop: Header=BB206_15 Depth=1
	s_or_b32 exec_lo, exec_lo, s18
	v_cmp_ne_u16_sdwa s5, v80, v25 src0_sel:BYTE_1 src1_sel:DWORD
	s_and_saveexec_b32 s18, s5
	s_cbranch_execz .LBB206_674
; %bb.667:                              ;   in Loop: Header=BB206_15 Depth=1
	v_mov_b32_e32 v39, v25
	v_mov_b32_e32 v65, v40
	v_cmp_ne_u16_sdwa s5, v80, v18 src0_sel:BYTE_1 src1_sel:DWORD
	v_mov_b32_e32 v64, v39
	s_and_saveexec_b32 s19, s5
	s_cbranch_execz .LBB206_673
; %bb.668:                              ;   in Loop: Header=BB206_15 Depth=1
	v_mov_b32_e32 v24, 0xffff
	v_mov_b32_e32 v102, v25
	s_mov_b32 s20, exec_lo
	v_and_b32_sdwa v24, v24, v80 dst_sel:DWORD dst_unused:UNUSED_PAD src0_sel:DWORD src1_sel:BYTE_1
	v_mov_b32_e32 v64, v102
	v_mov_b32_e32 v65, v103
	v_and_b32_e32 v70, 0x7f, v24
	v_cmpx_ne_u32_e32 0x7f, v70
	s_cbranch_execz .LBB206_672
; %bb.669:                              ;   in Loop: Header=BB206_15 Depth=1
	v_and_b32_e32 v24, 7, v24
	v_lshrrev_b32_e32 v39, 3, v70
	s_mov_b32 s21, exec_lo
	v_cmpx_gt_u32_e32 8, v70
; %bb.670:                              ;   in Loop: Header=BB206_15 Depth=1
	v_ffbh_u32_e32 v39, v24
	v_min_u32_e32 v39, 32, v39
	v_subrev_nc_u32_e32 v64, 28, v39
	v_sub_nc_u32_e32 v39, 29, v39
	v_lshlrev_b64 v[64:65], v64, v[24:25]
	v_and_b32_e32 v24, 7, v64
; %bb.671:                              ;   in Loop: Header=BB206_15 Depth=1
	s_or_b32 exec_lo, exec_lo, s21
	v_lshlrev_b32_e32 v64, 16, v80
	v_lshlrev_b32_e32 v24, 20, v24
	v_lshl_add_u32 v39, v39, 23, 0x3c000000
	v_and_b32_e32 v64, 0x80000000, v64
	v_or3_b32 v65, v24, v64, v39
	v_mov_b32_e32 v64, v25
.LBB206_672:                            ;   in Loop: Header=BB206_15 Depth=1
	s_or_b32 exec_lo, exec_lo, s20
.LBB206_673:                            ;   in Loop: Header=BB206_15 Depth=1
	s_or_b32 exec_lo, exec_lo, s19
.LBB206_674:                            ;   in Loop: Header=BB206_15 Depth=1
	s_or_b32 exec_lo, exec_lo, s18
	v_mov_b32_e32 v84, 0
	v_mov_b32_e32 v70, 0
	v_and_b32_sdwa v24, v80, v45 dst_sel:DWORD dst_unused:UNUSED_PAD src0_sel:WORD_1 src1_sel:DWORD
	v_mov_b32_e32 v85, 0
	v_mov_b32_e32 v71, 0
	s_mov_b32 s18, exec_lo
	v_cmpx_ne_u16_e32 0, v24
	s_cbranch_execz .LBB206_682
; %bb.675:                              ;   in Loop: Header=BB206_15 Depth=1
	v_bfrev_b32_e32 v70, 1
	v_mov_b32_e32 v71, 0
	s_mov_b32 s19, exec_lo
	v_cmpx_ne_u16_e32 0x80, v24
	s_cbranch_execz .LBB206_681
; %bb.676:                              ;   in Loop: Header=BB206_15 Depth=1
	v_mov_b32_e32 v70, 0x7f800001
	v_bfe_u32 v81, v80, 16, 7
	v_mov_b32_e32 v71, 0
	s_mov_b32 s20, exec_lo
	v_cmpx_ne_u32_e32 0x7f, v81
	s_cbranch_execz .LBB206_680
; %bb.677:                              ;   in Loop: Header=BB206_15 Depth=1
	v_mov_b32_e32 v24, 7
	v_lshrrev_b32_e32 v39, 3, v81
	s_mov_b32 s21, exec_lo
	v_and_b32_sdwa v24, v80, v24 dst_sel:DWORD dst_unused:UNUSED_PAD src0_sel:WORD_1 src1_sel:DWORD
	v_cmpx_gt_u32_e32 8, v81
; %bb.678:                              ;   in Loop: Header=BB206_15 Depth=1
	v_ffbh_u32_e32 v39, v24
	v_min_u32_e32 v39, 32, v39
	v_subrev_nc_u32_e32 v70, 28, v39
	v_sub_nc_u32_e32 v39, 29, v39
	v_lshlrev_b64 v[70:71], v70, v[24:25]
	v_and_b32_e32 v24, 7, v70
; %bb.679:                              ;   in Loop: Header=BB206_15 Depth=1
	s_or_b32 exec_lo, exec_lo, s21
	v_mov_b32_e32 v70, 24
	v_lshlrev_b32_e32 v24, 20, v24
	v_lshl_add_u32 v39, v39, 23, 0x3c000000
	v_lshlrev_b32_sdwa v70, v70, v80 dst_sel:DWORD dst_unused:UNUSED_PAD src0_sel:DWORD src1_sel:WORD_1
	v_and_b32_e32 v70, 0x80000000, v70
	v_or3_b32 v24, v24, v70, v39
	v_mov_b32_e32 v71, v25
	v_mov_b32_e32 v70, v24
.LBB206_680:                            ;   in Loop: Header=BB206_15 Depth=1
	s_or_b32 exec_lo, exec_lo, s20
.LBB206_681:                            ;   in Loop: Header=BB206_15 Depth=1
	s_or_b32 exec_lo, exec_lo, s19
.LBB206_682:                            ;   in Loop: Header=BB206_15 Depth=1
	s_or_b32 exec_lo, exec_lo, s18
	s_mov_b32 s18, exec_lo
	v_cmpx_lt_u32_e32 0xffffff, v80
	s_cbranch_execz .LBB206_690
; %bb.683:                              ;   in Loop: Header=BB206_15 Depth=1
	v_mov_b32_e32 v39, v25
	v_mov_b32_e32 v85, v40
	v_cmp_ne_u32_sdwa s5, v80, v18 src0_sel:BYTE_3 src1_sel:DWORD
	v_mov_b32_e32 v84, v39
	s_and_saveexec_b32 s19, s5
	s_cbranch_execz .LBB206_689
; %bb.684:                              ;   in Loop: Header=BB206_15 Depth=1
	v_mov_b32_e32 v102, v25
	v_bfe_u32 v81, v80, 24, 7
	s_mov_b32 s20, exec_lo
	v_mov_b32_e32 v84, v102
	v_mov_b32_e32 v85, v103
	v_cmpx_ne_u32_e32 0x7f, v81
	s_cbranch_execz .LBB206_688
; %bb.685:                              ;   in Loop: Header=BB206_15 Depth=1
	v_mov_b32_e32 v24, 7
	v_lshrrev_b32_e32 v39, 3, v81
	s_mov_b32 s21, exec_lo
	v_and_b32_sdwa v24, v80, v24 dst_sel:DWORD dst_unused:UNUSED_PAD src0_sel:BYTE_3 src1_sel:DWORD
	v_cmpx_gt_u32_e32 8, v81
; %bb.686:                              ;   in Loop: Header=BB206_15 Depth=1
	v_ffbh_u32_e32 v39, v24
	v_min_u32_e32 v39, 32, v39
	v_subrev_nc_u32_e32 v81, 28, v39
	v_sub_nc_u32_e32 v39, 29, v39
	v_lshlrev_b64 v[84:85], v81, v[24:25]
	v_and_b32_e32 v24, 7, v84
; %bb.687:                              ;   in Loop: Header=BB206_15 Depth=1
	s_or_b32 exec_lo, exec_lo, s21
	v_mov_b32_e32 v81, 24
	v_lshlrev_b32_e32 v24, 20, v24
	v_lshl_add_u32 v39, v39, 23, 0x3c000000
	v_mov_b32_e32 v84, v25
	v_lshlrev_b32_sdwa v80, v81, v80 dst_sel:DWORD dst_unused:UNUSED_PAD src0_sel:DWORD src1_sel:BYTE_3
	v_and_b32_e32 v80, 0x80000000, v80
	v_or3_b32 v85, v24, v80, v39
.LBB206_688:                            ;   in Loop: Header=BB206_15 Depth=1
	s_or_b32 exec_lo, exec_lo, s20
.LBB206_689:                            ;   in Loop: Header=BB206_15 Depth=1
	s_or_b32 exec_lo, exec_lo, s19
.LBB206_690:                            ;   in Loop: Header=BB206_15 Depth=1
	s_or_b32 exec_lo, exec_lo, s18
	flat_load_dword v86, v[4:5] offset:516
	v_mov_b32_e32 v120, 0
	v_mov_b32_e32 v98, 0
	;; [unrolled: 1-line block ×4, first 2 shown]
	s_waitcnt vmcnt(0) lgkmcnt(0)
	v_cmp_ne_u16_sdwa s5, v86, v25 src0_sel:BYTE_0 src1_sel:DWORD
	s_and_saveexec_b32 s18, s5
	s_cbranch_execz .LBB206_698
; %bb.691:                              ;   in Loop: Header=BB206_15 Depth=1
	v_bfrev_b32_e32 v98, 1
	v_mov_b32_e32 v99, 0
	v_cmp_ne_u16_sdwa s5, v86, v18 src0_sel:BYTE_0 src1_sel:DWORD
	s_and_saveexec_b32 s19, s5
	s_cbranch_execz .LBB206_697
; %bb.692:                              ;   in Loop: Header=BB206_15 Depth=1
	v_mov_b32_e32 v98, 0x7f800001
	v_and_b32_e32 v80, 0x7f, v86
	v_mov_b32_e32 v99, 0
	s_mov_b32 s20, exec_lo
	v_cmpx_ne_u32_e32 0x7f, v80
	s_cbranch_execz .LBB206_696
; %bb.693:                              ;   in Loop: Header=BB206_15 Depth=1
	v_and_b32_e32 v24, 7, v86
	v_lshrrev_b32_e32 v39, 3, v80
	s_mov_b32 s21, exec_lo
	v_cmpx_gt_u32_e32 8, v80
; %bb.694:                              ;   in Loop: Header=BB206_15 Depth=1
	v_ffbh_u32_e32 v39, v24
	v_min_u32_e32 v39, 32, v39
	v_subrev_nc_u32_e32 v80, 28, v39
	v_sub_nc_u32_e32 v39, 29, v39
	v_lshlrev_b64 v[80:81], v80, v[24:25]
	v_and_b32_e32 v24, 7, v80
; %bb.695:                              ;   in Loop: Header=BB206_15 Depth=1
	s_or_b32 exec_lo, exec_lo, s21
	v_lshlrev_b32_e32 v80, 24, v86
	v_lshlrev_b32_e32 v24, 20, v24
	v_lshl_add_u32 v39, v39, 23, 0x3c000000
	v_and_b32_e32 v80, 0x80000000, v80
	v_or3_b32 v24, v24, v80, v39
	v_mov_b32_e32 v99, v25
	v_mov_b32_e32 v98, v24
.LBB206_696:                            ;   in Loop: Header=BB206_15 Depth=1
	s_or_b32 exec_lo, exec_lo, s20
.LBB206_697:                            ;   in Loop: Header=BB206_15 Depth=1
	s_or_b32 exec_lo, exec_lo, s19
.LBB206_698:                            ;   in Loop: Header=BB206_15 Depth=1
	s_or_b32 exec_lo, exec_lo, s18
	v_cmp_ne_u16_sdwa s5, v86, v25 src0_sel:BYTE_1 src1_sel:DWORD
	s_and_saveexec_b32 s18, s5
	s_cbranch_execz .LBB206_706
; %bb.699:                              ;   in Loop: Header=BB206_15 Depth=1
	v_mov_b32_e32 v39, v25
	v_mov_b32_e32 v121, v40
	v_cmp_ne_u16_sdwa s5, v86, v18 src0_sel:BYTE_1 src1_sel:DWORD
	v_mov_b32_e32 v120, v39
	s_and_saveexec_b32 s19, s5
	s_cbranch_execz .LBB206_705
; %bb.700:                              ;   in Loop: Header=BB206_15 Depth=1
	v_mov_b32_e32 v24, 0xffff
	v_mov_b32_e32 v102, v25
	v_mov_b32_e32 v121, v103
	s_mov_b32 s20, exec_lo
	v_and_b32_sdwa v24, v24, v86 dst_sel:DWORD dst_unused:UNUSED_PAD src0_sel:DWORD src1_sel:BYTE_1
	v_mov_b32_e32 v120, v102
	v_and_b32_e32 v80, 0x7f, v24
	v_cmpx_ne_u32_e32 0x7f, v80
	s_cbranch_execz .LBB206_704
; %bb.701:                              ;   in Loop: Header=BB206_15 Depth=1
	v_and_b32_e32 v24, 7, v24
	v_lshrrev_b32_e32 v39, 3, v80
	s_mov_b32 s21, exec_lo
	v_cmpx_gt_u32_e32 8, v80
; %bb.702:                              ;   in Loop: Header=BB206_15 Depth=1
	v_ffbh_u32_e32 v39, v24
	v_min_u32_e32 v39, 32, v39
	v_subrev_nc_u32_e32 v80, 28, v39
	v_sub_nc_u32_e32 v39, 29, v39
	v_lshlrev_b64 v[80:81], v80, v[24:25]
	v_and_b32_e32 v24, 7, v80
; %bb.703:                              ;   in Loop: Header=BB206_15 Depth=1
	s_or_b32 exec_lo, exec_lo, s21
	v_lshlrev_b32_e32 v80, 16, v86
	v_lshlrev_b32_e32 v24, 20, v24
	v_lshl_add_u32 v39, v39, 23, 0x3c000000
	v_mov_b32_e32 v120, v25
	v_and_b32_e32 v80, 0x80000000, v80
	v_or3_b32 v121, v24, v80, v39
.LBB206_704:                            ;   in Loop: Header=BB206_15 Depth=1
	s_or_b32 exec_lo, exec_lo, s20
.LBB206_705:                            ;   in Loop: Header=BB206_15 Depth=1
	s_or_b32 exec_lo, exec_lo, s19
.LBB206_706:                            ;   in Loop: Header=BB206_15 Depth=1
	s_or_b32 exec_lo, exec_lo, s18
	v_mov_b32_e32 v80, 0
	v_mov_b32_e32 v100, 0
	v_and_b32_sdwa v24, v86, v45 dst_sel:DWORD dst_unused:UNUSED_PAD src0_sel:WORD_1 src1_sel:DWORD
	v_mov_b32_e32 v81, 0
	v_mov_b32_e32 v101, 0
	s_mov_b32 s18, exec_lo
	v_cmpx_ne_u16_e32 0, v24
	s_cbranch_execz .LBB206_714
; %bb.707:                              ;   in Loop: Header=BB206_15 Depth=1
	v_bfrev_b32_e32 v100, 1
	v_mov_b32_e32 v101, 0
	s_mov_b32 s19, exec_lo
	v_cmpx_ne_u16_e32 0x80, v24
	s_cbranch_execz .LBB206_713
; %bb.708:                              ;   in Loop: Header=BB206_15 Depth=1
	v_mov_b32_e32 v100, 0x7f800001
	v_bfe_u32 v87, v86, 16, 7
	v_mov_b32_e32 v101, 0
	s_mov_b32 s20, exec_lo
	v_cmpx_ne_u32_e32 0x7f, v87
	s_cbranch_execz .LBB206_712
; %bb.709:                              ;   in Loop: Header=BB206_15 Depth=1
	v_mov_b32_e32 v24, 7
	v_lshrrev_b32_e32 v39, 3, v87
	s_mov_b32 s21, exec_lo
	v_and_b32_sdwa v24, v86, v24 dst_sel:DWORD dst_unused:UNUSED_PAD src0_sel:WORD_1 src1_sel:DWORD
	v_cmpx_gt_u32_e32 8, v87
; %bb.710:                              ;   in Loop: Header=BB206_15 Depth=1
	v_ffbh_u32_e32 v39, v24
	v_min_u32_e32 v39, 32, v39
	v_subrev_nc_u32_e32 v87, 28, v39
	v_sub_nc_u32_e32 v39, 29, v39
	v_lshlrev_b64 v[96:97], v87, v[24:25]
	v_and_b32_e32 v24, 7, v96
; %bb.711:                              ;   in Loop: Header=BB206_15 Depth=1
	s_or_b32 exec_lo, exec_lo, s21
	v_mov_b32_e32 v87, 24
	v_lshlrev_b32_e32 v24, 20, v24
	v_lshl_add_u32 v39, v39, 23, 0x3c000000
	v_lshlrev_b32_sdwa v87, v87, v86 dst_sel:DWORD dst_unused:UNUSED_PAD src0_sel:DWORD src1_sel:WORD_1
	v_and_b32_e32 v87, 0x80000000, v87
	v_or3_b32 v24, v24, v87, v39
	v_mov_b32_e32 v101, v25
	v_mov_b32_e32 v100, v24
.LBB206_712:                            ;   in Loop: Header=BB206_15 Depth=1
	s_or_b32 exec_lo, exec_lo, s20
.LBB206_713:                            ;   in Loop: Header=BB206_15 Depth=1
	s_or_b32 exec_lo, exec_lo, s19
.LBB206_714:                            ;   in Loop: Header=BB206_15 Depth=1
	s_or_b32 exec_lo, exec_lo, s18
	s_mov_b32 s18, exec_lo
	v_cmpx_lt_u32_e32 0xffffff, v86
	s_cbranch_execz .LBB206_722
; %bb.715:                              ;   in Loop: Header=BB206_15 Depth=1
	v_mov_b32_e32 v39, v25
	v_mov_b32_e32 v81, v40
	v_cmp_ne_u32_sdwa s5, v86, v18 src0_sel:BYTE_3 src1_sel:DWORD
	v_mov_b32_e32 v80, v39
	s_and_saveexec_b32 s19, s5
	s_cbranch_execz .LBB206_721
; %bb.716:                              ;   in Loop: Header=BB206_15 Depth=1
	v_mov_b32_e32 v102, v25
	v_bfe_u32 v87, v86, 24, 7
	s_mov_b32 s20, exec_lo
	v_mov_b32_e32 v80, v102
	v_mov_b32_e32 v81, v103
	v_cmpx_ne_u32_e32 0x7f, v87
	s_cbranch_execz .LBB206_720
; %bb.717:                              ;   in Loop: Header=BB206_15 Depth=1
	v_mov_b32_e32 v24, 7
	v_lshrrev_b32_e32 v39, 3, v87
	s_mov_b32 s21, exec_lo
	v_and_b32_sdwa v24, v86, v24 dst_sel:DWORD dst_unused:UNUSED_PAD src0_sel:BYTE_3 src1_sel:DWORD
	v_cmpx_gt_u32_e32 8, v87
; %bb.718:                              ;   in Loop: Header=BB206_15 Depth=1
	v_ffbh_u32_e32 v39, v24
	v_min_u32_e32 v39, 32, v39
	v_subrev_nc_u32_e32 v80, 28, v39
	v_sub_nc_u32_e32 v39, 29, v39
	v_lshlrev_b64 v[80:81], v80, v[24:25]
	v_and_b32_e32 v24, 7, v80
; %bb.719:                              ;   in Loop: Header=BB206_15 Depth=1
	s_or_b32 exec_lo, exec_lo, s21
	v_mov_b32_e32 v80, 24
	v_lshlrev_b32_e32 v24, 20, v24
	v_lshl_add_u32 v39, v39, 23, 0x3c000000
	v_lshlrev_b32_sdwa v80, v80, v86 dst_sel:DWORD dst_unused:UNUSED_PAD src0_sel:DWORD src1_sel:BYTE_3
	v_and_b32_e32 v80, 0x80000000, v80
	v_or3_b32 v81, v24, v80, v39
	v_mov_b32_e32 v80, v25
.LBB206_720:                            ;   in Loop: Header=BB206_15 Depth=1
	s_or_b32 exec_lo, exec_lo, s20
.LBB206_721:                            ;   in Loop: Header=BB206_15 Depth=1
	s_or_b32 exec_lo, exec_lo, s19
.LBB206_722:                            ;   in Loop: Header=BB206_15 Depth=1
	s_or_b32 exec_lo, exec_lo, s18
	flat_load_dword v96, v[4:5] offset:520
	v_mov_b32_e32 v86, 0
	v_mov_b32_e32 v116, 0
	;; [unrolled: 1-line block ×4, first 2 shown]
	s_waitcnt vmcnt(0) lgkmcnt(0)
	v_cmp_ne_u16_sdwa s5, v96, v25 src0_sel:BYTE_0 src1_sel:DWORD
	s_and_saveexec_b32 s18, s5
	s_cbranch_execz .LBB206_730
; %bb.723:                              ;   in Loop: Header=BB206_15 Depth=1
	v_bfrev_b32_e32 v116, 1
	v_mov_b32_e32 v117, 0
	v_cmp_ne_u16_sdwa s5, v96, v18 src0_sel:BYTE_0 src1_sel:DWORD
	s_and_saveexec_b32 s19, s5
	s_cbranch_execz .LBB206_729
; %bb.724:                              ;   in Loop: Header=BB206_15 Depth=1
	v_mov_b32_e32 v116, 0x7f800001
	v_and_b32_e32 v97, 0x7f, v96
	v_mov_b32_e32 v117, 0
	s_mov_b32 s20, exec_lo
	v_cmpx_ne_u32_e32 0x7f, v97
	s_cbranch_execz .LBB206_728
; %bb.725:                              ;   in Loop: Header=BB206_15 Depth=1
	v_and_b32_e32 v24, 7, v96
	v_lshrrev_b32_e32 v39, 3, v97
	s_mov_b32 s21, exec_lo
	v_cmpx_gt_u32_e32 8, v97
; %bb.726:                              ;   in Loop: Header=BB206_15 Depth=1
	v_ffbh_u32_e32 v39, v24
	v_min_u32_e32 v39, 32, v39
	v_subrev_nc_u32_e32 v97, 28, v39
	v_sub_nc_u32_e32 v39, 29, v39
	v_lshlrev_b64 v[114:115], v97, v[24:25]
	v_and_b32_e32 v24, 7, v114
; %bb.727:                              ;   in Loop: Header=BB206_15 Depth=1
	s_or_b32 exec_lo, exec_lo, s21
	v_lshlrev_b32_e32 v97, 24, v96
	v_lshlrev_b32_e32 v24, 20, v24
	v_lshl_add_u32 v39, v39, 23, 0x3c000000
	v_and_b32_e32 v97, 0x80000000, v97
	v_or3_b32 v24, v24, v97, v39
	v_mov_b32_e32 v117, v25
	v_mov_b32_e32 v116, v24
.LBB206_728:                            ;   in Loop: Header=BB206_15 Depth=1
	s_or_b32 exec_lo, exec_lo, s20
.LBB206_729:                            ;   in Loop: Header=BB206_15 Depth=1
	s_or_b32 exec_lo, exec_lo, s19
.LBB206_730:                            ;   in Loop: Header=BB206_15 Depth=1
	s_or_b32 exec_lo, exec_lo, s18
	v_cmp_ne_u16_sdwa s5, v96, v25 src0_sel:BYTE_1 src1_sel:DWORD
	s_and_saveexec_b32 s18, s5
	s_cbranch_execz .LBB206_738
; %bb.731:                              ;   in Loop: Header=BB206_15 Depth=1
	v_mov_b32_e32 v39, v25
	v_mov_b32_e32 v87, v40
	v_cmp_ne_u16_sdwa s5, v96, v18 src0_sel:BYTE_1 src1_sel:DWORD
	v_mov_b32_e32 v86, v39
	s_and_saveexec_b32 s19, s5
	s_cbranch_execz .LBB206_737
; %bb.732:                              ;   in Loop: Header=BB206_15 Depth=1
	v_mov_b32_e32 v24, 0xffff
	v_mov_b32_e32 v102, v25
	s_mov_b32 s20, exec_lo
	v_and_b32_sdwa v24, v24, v96 dst_sel:DWORD dst_unused:UNUSED_PAD src0_sel:DWORD src1_sel:BYTE_1
	v_mov_b32_e32 v86, v102
	v_mov_b32_e32 v87, v103
	v_and_b32_e32 v97, 0x7f, v24
	v_cmpx_ne_u32_e32 0x7f, v97
	s_cbranch_execz .LBB206_736
; %bb.733:                              ;   in Loop: Header=BB206_15 Depth=1
	v_and_b32_e32 v24, 7, v24
	v_lshrrev_b32_e32 v39, 3, v97
	s_mov_b32 s21, exec_lo
	v_cmpx_gt_u32_e32 8, v97
; %bb.734:                              ;   in Loop: Header=BB206_15 Depth=1
	v_ffbh_u32_e32 v39, v24
	v_min_u32_e32 v39, 32, v39
	v_subrev_nc_u32_e32 v86, 28, v39
	v_sub_nc_u32_e32 v39, 29, v39
	v_lshlrev_b64 v[86:87], v86, v[24:25]
	v_and_b32_e32 v24, 7, v86
; %bb.735:                              ;   in Loop: Header=BB206_15 Depth=1
	s_or_b32 exec_lo, exec_lo, s21
	v_lshlrev_b32_e32 v86, 16, v96
	v_lshlrev_b32_e32 v24, 20, v24
	v_lshl_add_u32 v39, v39, 23, 0x3c000000
	v_and_b32_e32 v86, 0x80000000, v86
	v_or3_b32 v87, v24, v86, v39
	v_mov_b32_e32 v86, v25
.LBB206_736:                            ;   in Loop: Header=BB206_15 Depth=1
	s_or_b32 exec_lo, exec_lo, s20
.LBB206_737:                            ;   in Loop: Header=BB206_15 Depth=1
	s_or_b32 exec_lo, exec_lo, s19
.LBB206_738:                            ;   in Loop: Header=BB206_15 Depth=1
	s_or_b32 exec_lo, exec_lo, s18
	v_mov_b32_e32 v114, 0
	v_mov_b32_e32 v43, 0
	v_and_b32_sdwa v24, v96, v45 dst_sel:DWORD dst_unused:UNUSED_PAD src0_sel:WORD_1 src1_sel:DWORD
	v_mov_b32_e32 v115, 0
	v_mov_b32_e32 v44, 0
	s_mov_b32 s18, exec_lo
	v_cmpx_ne_u16_e32 0, v24
	s_cbranch_execz .LBB206_746
; %bb.739:                              ;   in Loop: Header=BB206_15 Depth=1
	v_bfrev_b32_e32 v43, 1
	v_mov_b32_e32 v44, 0
	s_mov_b32 s19, exec_lo
	v_cmpx_ne_u16_e32 0x80, v24
	s_cbranch_execz .LBB206_745
; %bb.740:                              ;   in Loop: Header=BB206_15 Depth=1
	v_mov_b32_e32 v43, 0x7f800001
	v_bfe_u32 v97, v96, 16, 7
	v_mov_b32_e32 v44, 0
	s_mov_b32 s20, exec_lo
	v_cmpx_ne_u32_e32 0x7f, v97
	s_cbranch_execz .LBB206_744
; %bb.741:                              ;   in Loop: Header=BB206_15 Depth=1
	v_mov_b32_e32 v24, 7
	v_lshrrev_b32_e32 v39, 3, v97
	s_mov_b32 s21, exec_lo
	v_and_b32_sdwa v24, v96, v24 dst_sel:DWORD dst_unused:UNUSED_PAD src0_sel:WORD_1 src1_sel:DWORD
	v_cmpx_gt_u32_e32 8, v97
; %bb.742:                              ;   in Loop: Header=BB206_15 Depth=1
	v_ffbh_u32_e32 v39, v24
	v_min_u32_e32 v39, 32, v39
	v_subrev_nc_u32_e32 v97, 28, v39
	v_sub_nc_u32_e32 v39, 29, v39
	v_lshlrev_b64 v[118:119], v97, v[24:25]
	v_and_b32_e32 v24, 7, v118
; %bb.743:                              ;   in Loop: Header=BB206_15 Depth=1
	s_or_b32 exec_lo, exec_lo, s21
	v_mov_b32_e32 v97, 24
	v_lshlrev_b32_e32 v24, 20, v24
	v_lshl_add_u32 v39, v39, 23, 0x3c000000
	v_lshlrev_b32_sdwa v97, v97, v96 dst_sel:DWORD dst_unused:UNUSED_PAD src0_sel:DWORD src1_sel:WORD_1
	v_and_b32_e32 v97, 0x80000000, v97
	v_or3_b32 v24, v24, v97, v39
	v_mov_b32_e32 v44, v25
	v_mov_b32_e32 v43, v24
.LBB206_744:                            ;   in Loop: Header=BB206_15 Depth=1
	s_or_b32 exec_lo, exec_lo, s20
.LBB206_745:                            ;   in Loop: Header=BB206_15 Depth=1
	s_or_b32 exec_lo, exec_lo, s19
.LBB206_746:                            ;   in Loop: Header=BB206_15 Depth=1
	s_or_b32 exec_lo, exec_lo, s18
	s_mov_b32 s18, exec_lo
	v_cmpx_lt_u32_e32 0xffffff, v96
	s_cbranch_execz .LBB206_754
; %bb.747:                              ;   in Loop: Header=BB206_15 Depth=1
	v_mov_b32_e32 v39, v25
	v_mov_b32_e32 v115, v40
	v_cmp_ne_u32_sdwa s5, v96, v18 src0_sel:BYTE_3 src1_sel:DWORD
	v_mov_b32_e32 v114, v39
	s_and_saveexec_b32 s19, s5
	s_cbranch_execz .LBB206_753
; %bb.748:                              ;   in Loop: Header=BB206_15 Depth=1
	v_mov_b32_e32 v102, v25
	v_mov_b32_e32 v115, v103
	v_bfe_u32 v97, v96, 24, 7
	s_mov_b32 s20, exec_lo
	v_mov_b32_e32 v114, v102
	v_cmpx_ne_u32_e32 0x7f, v97
	s_cbranch_execz .LBB206_752
; %bb.749:                              ;   in Loop: Header=BB206_15 Depth=1
	v_mov_b32_e32 v24, 7
	v_lshrrev_b32_e32 v39, 3, v97
	s_mov_b32 s21, exec_lo
	v_and_b32_sdwa v24, v96, v24 dst_sel:DWORD dst_unused:UNUSED_PAD src0_sel:BYTE_3 src1_sel:DWORD
	v_cmpx_gt_u32_e32 8, v97
; %bb.750:                              ;   in Loop: Header=BB206_15 Depth=1
	v_ffbh_u32_e32 v39, v24
	v_min_u32_e32 v39, 32, v39
	v_subrev_nc_u32_e32 v97, 28, v39
	v_sub_nc_u32_e32 v39, 29, v39
	v_lshlrev_b64 v[114:115], v97, v[24:25]
	v_and_b32_e32 v24, 7, v114
; %bb.751:                              ;   in Loop: Header=BB206_15 Depth=1
	s_or_b32 exec_lo, exec_lo, s21
	v_mov_b32_e32 v97, 24
	v_lshlrev_b32_e32 v24, 20, v24
	v_lshl_add_u32 v39, v39, 23, 0x3c000000
	v_mov_b32_e32 v114, v25
	v_lshlrev_b32_sdwa v96, v97, v96 dst_sel:DWORD dst_unused:UNUSED_PAD src0_sel:DWORD src1_sel:BYTE_3
	v_and_b32_e32 v96, 0x80000000, v96
	v_or3_b32 v115, v24, v96, v39
.LBB206_752:                            ;   in Loop: Header=BB206_15 Depth=1
	s_or_b32 exec_lo, exec_lo, s20
.LBB206_753:                            ;   in Loop: Header=BB206_15 Depth=1
	s_or_b32 exec_lo, exec_lo, s19
.LBB206_754:                            ;   in Loop: Header=BB206_15 Depth=1
	s_or_b32 exec_lo, exec_lo, s18
	flat_load_dword v42, v[4:5] offset:524
	v_mov_b32_e32 v110, 0
	v_mov_b32_e32 v118, 0
	;; [unrolled: 1-line block ×4, first 2 shown]
	s_waitcnt vmcnt(0) lgkmcnt(0)
	v_cmp_ne_u16_sdwa s5, v42, v25 src0_sel:BYTE_0 src1_sel:DWORD
	s_and_saveexec_b32 s18, s5
	s_cbranch_execz .LBB206_762
; %bb.755:                              ;   in Loop: Header=BB206_15 Depth=1
	v_bfrev_b32_e32 v118, 1
	v_mov_b32_e32 v119, 0
	v_cmp_ne_u16_sdwa s5, v42, v18 src0_sel:BYTE_0 src1_sel:DWORD
	s_and_saveexec_b32 s19, s5
	s_cbranch_execz .LBB206_761
; %bb.756:                              ;   in Loop: Header=BB206_15 Depth=1
	v_mov_b32_e32 v118, 0x7f800001
	v_and_b32_e32 v5, 0x7f, v42
	v_mov_b32_e32 v119, 0
	s_mov_b32 s20, exec_lo
	v_cmpx_ne_u32_e32 0x7f, v5
	s_cbranch_execz .LBB206_760
; %bb.757:                              ;   in Loop: Header=BB206_15 Depth=1
	v_and_b32_e32 v24, 7, v42
	v_lshrrev_b32_e32 v4, 3, v5
	s_mov_b32 s21, exec_lo
	v_cmpx_gt_u32_e32 8, v5
; %bb.758:                              ;   in Loop: Header=BB206_15 Depth=1
	v_ffbh_u32_e32 v4, v24
	v_min_u32_e32 v4, 32, v4
	v_subrev_nc_u32_e32 v5, 28, v4
	v_sub_nc_u32_e32 v4, 29, v4
	v_lshlrev_b64 v[96:97], v5, v[24:25]
	v_and_b32_e32 v24, 7, v96
; %bb.759:                              ;   in Loop: Header=BB206_15 Depth=1
	s_or_b32 exec_lo, exec_lo, s21
	v_lshlrev_b32_e32 v5, 24, v42
	v_lshlrev_b32_e32 v24, 20, v24
	v_lshl_add_u32 v4, v4, 23, 0x3c000000
	v_and_b32_e32 v5, 0x80000000, v5
	v_or3_b32 v24, v24, v5, v4
	v_mov_b32_e32 v119, v25
	v_mov_b32_e32 v118, v24
.LBB206_760:                            ;   in Loop: Header=BB206_15 Depth=1
	s_or_b32 exec_lo, exec_lo, s20
.LBB206_761:                            ;   in Loop: Header=BB206_15 Depth=1
	s_or_b32 exec_lo, exec_lo, s19
.LBB206_762:                            ;   in Loop: Header=BB206_15 Depth=1
	s_or_b32 exec_lo, exec_lo, s18
	v_cmp_ne_u16_sdwa s5, v42, v25 src0_sel:BYTE_1 src1_sel:DWORD
	s_and_saveexec_b32 s18, s5
	s_cbranch_execz .LBB206_770
; %bb.763:                              ;   in Loop: Header=BB206_15 Depth=1
	v_mov_b32_e32 v39, v25
	v_mov_b32_e32 v111, v40
	v_cmp_ne_u16_sdwa s5, v42, v18 src0_sel:BYTE_1 src1_sel:DWORD
	v_mov_b32_e32 v110, v39
	s_and_saveexec_b32 s19, s5
	s_cbranch_execz .LBB206_769
; %bb.764:                              ;   in Loop: Header=BB206_15 Depth=1
	v_mov_b32_e32 v4, 0xffff
	v_mov_b32_e32 v102, v25
	;; [unrolled: 1-line block ×3, first 2 shown]
	s_mov_b32 s20, exec_lo
	v_and_b32_sdwa v4, v4, v42 dst_sel:DWORD dst_unused:UNUSED_PAD src0_sel:DWORD src1_sel:BYTE_1
	v_mov_b32_e32 v110, v102
	v_and_b32_e32 v5, 0x7f, v4
	v_cmpx_ne_u32_e32 0x7f, v5
	s_cbranch_execz .LBB206_768
; %bb.765:                              ;   in Loop: Header=BB206_15 Depth=1
	v_and_b32_e32 v24, 7, v4
	v_lshrrev_b32_e32 v4, 3, v5
	s_mov_b32 s21, exec_lo
	v_cmpx_gt_u32_e32 8, v5
; %bb.766:                              ;   in Loop: Header=BB206_15 Depth=1
	v_ffbh_u32_e32 v4, v24
	v_min_u32_e32 v4, 32, v4
	v_subrev_nc_u32_e32 v5, 28, v4
	v_sub_nc_u32_e32 v4, 29, v4
	v_lshlrev_b64 v[96:97], v5, v[24:25]
	v_and_b32_e32 v24, 7, v96
; %bb.767:                              ;   in Loop: Header=BB206_15 Depth=1
	s_or_b32 exec_lo, exec_lo, s21
	v_lshlrev_b32_e32 v5, 16, v42
	v_lshlrev_b32_e32 v24, 20, v24
	v_lshl_add_u32 v4, v4, 23, 0x3c000000
	v_mov_b32_e32 v110, v25
	v_and_b32_e32 v5, 0x80000000, v5
	v_or3_b32 v111, v24, v5, v4
.LBB206_768:                            ;   in Loop: Header=BB206_15 Depth=1
	s_or_b32 exec_lo, exec_lo, s20
.LBB206_769:                            ;   in Loop: Header=BB206_15 Depth=1
	s_or_b32 exec_lo, exec_lo, s19
.LBB206_770:                            ;   in Loop: Header=BB206_15 Depth=1
	s_or_b32 exec_lo, exec_lo, s18
	v_mov_b32_e32 v4, 0
	v_mov_b32_e32 v96, 0
	v_and_b32_sdwa v24, v42, v45 dst_sel:DWORD dst_unused:UNUSED_PAD src0_sel:WORD_1 src1_sel:DWORD
	v_mov_b32_e32 v5, 0
	v_mov_b32_e32 v97, 0
	s_mov_b32 s18, exec_lo
	v_cmpx_ne_u16_e32 0, v24
	s_cbranch_execz .LBB206_778
; %bb.771:                              ;   in Loop: Header=BB206_15 Depth=1
	v_bfrev_b32_e32 v96, 1
	v_mov_b32_e32 v97, 0
	s_mov_b32 s19, exec_lo
	v_cmpx_ne_u16_e32 0x80, v24
	s_cbranch_execz .LBB206_777
; %bb.772:                              ;   in Loop: Header=BB206_15 Depth=1
	v_mov_b32_e32 v96, 0x7f800001
	v_bfe_u32 v102, v42, 16, 7
	v_mov_b32_e32 v97, 0
	s_mov_b32 s20, exec_lo
	v_cmpx_ne_u32_e32 0x7f, v102
	s_cbranch_execz .LBB206_776
; %bb.773:                              ;   in Loop: Header=BB206_15 Depth=1
	v_mov_b32_e32 v24, 7
	v_lshrrev_b32_e32 v39, 3, v102
	s_mov_b32 s21, exec_lo
	v_and_b32_sdwa v24, v42, v24 dst_sel:DWORD dst_unused:UNUSED_PAD src0_sel:WORD_1 src1_sel:DWORD
	v_cmpx_gt_u32_e32 8, v102
; %bb.774:                              ;   in Loop: Header=BB206_15 Depth=1
	v_ffbh_u32_e32 v39, v24
	v_min_u32_e32 v39, 32, v39
	v_subrev_nc_u32_e32 v96, 28, v39
	v_sub_nc_u32_e32 v39, 29, v39
	v_lshlrev_b64 v[96:97], v96, v[24:25]
	v_and_b32_e32 v24, 7, v96
; %bb.775:                              ;   in Loop: Header=BB206_15 Depth=1
	s_or_b32 exec_lo, exec_lo, s21
	v_mov_b32_e32 v96, 24
	v_lshlrev_b32_e32 v24, 20, v24
	v_lshl_add_u32 v39, v39, 23, 0x3c000000
	v_lshlrev_b32_sdwa v96, v96, v42 dst_sel:DWORD dst_unused:UNUSED_PAD src0_sel:DWORD src1_sel:WORD_1
	v_and_b32_e32 v96, 0x80000000, v96
	v_or3_b32 v24, v24, v96, v39
	v_mov_b32_e32 v97, v25
	v_mov_b32_e32 v96, v24
.LBB206_776:                            ;   in Loop: Header=BB206_15 Depth=1
	s_or_b32 exec_lo, exec_lo, s20
.LBB206_777:                            ;   in Loop: Header=BB206_15 Depth=1
	s_or_b32 exec_lo, exec_lo, s19
.LBB206_778:                            ;   in Loop: Header=BB206_15 Depth=1
	s_or_b32 exec_lo, exec_lo, s18
	s_mov_b32 s18, exec_lo
	v_cmpx_lt_u32_e32 0xffffff, v42
	s_cbranch_execz .LBB206_13
; %bb.779:                              ;   in Loop: Header=BB206_15 Depth=1
	v_mov_b32_e32 v39, v25
	v_cmp_ne_u32_sdwa s5, v42, v18 src0_sel:BYTE_3 src1_sel:DWORD
	v_mov_b32_e32 v4, v39
	v_mov_b32_e32 v5, v40
	s_and_saveexec_b32 s19, s5
	s_cbranch_execz .LBB206_12
; %bb.780:                              ;   in Loop: Header=BB206_15 Depth=1
	v_mov_b32_e32 v102, v25
	v_bfe_u32 v39, v42, 24, 7
	s_mov_b32 s20, exec_lo
	v_mov_b32_e32 v4, v102
	v_mov_b32_e32 v5, v103
	v_cmpx_ne_u32_e32 0x7f, v39
	s_cbranch_execz .LBB206_11
; %bb.781:                              ;   in Loop: Header=BB206_15 Depth=1
	v_mov_b32_e32 v4, 7
	s_mov_b32 s21, exec_lo
	v_and_b32_sdwa v24, v42, v4 dst_sel:DWORD dst_unused:UNUSED_PAD src0_sel:BYTE_3 src1_sel:DWORD
	v_lshrrev_b32_e32 v4, 3, v39
	v_cmpx_gt_u32_e32 8, v39
	s_cbranch_execz .LBB206_10
; %bb.782:                              ;   in Loop: Header=BB206_15 Depth=1
	v_ffbh_u32_e32 v4, v24
	v_min_u32_e32 v4, 32, v4
	v_subrev_nc_u32_e32 v5, 28, v4
	v_sub_nc_u32_e32 v4, 29, v4
	v_lshlrev_b64 v[60:61], v5, v[24:25]
	v_and_b32_e32 v24, 7, v60
	s_branch .LBB206_10
.LBB206_783:
	s_or_b32 exec_lo, exec_lo, s17
	s_clause 0xb
	buffer_load_dword v11, off, s[0:3], s32 offset:1008
	buffer_load_dword v10, off, s[0:3], s32 offset:1012
	;; [unrolled: 1-line block ×12, first 2 shown]
.LBB206_784:
	s_or_b32 exec_lo, exec_lo, s13
	v_mbcnt_lo_u32_b32 v0, -1, 0
	v_max_f32_e32 v4, v15, v15
	s_waitcnt lgkmcnt(0)
	s_lshr_b32 s13, s7, 16
	v_xor_b32_e32 v1, 16, v0
	v_xor_b32_e32 v3, 8, v0
	v_cmp_gt_i32_e32 vcc_lo, 32, v1
	v_cndmask_b32_e32 v1, v0, v1, vcc_lo
	v_cmp_gt_i32_e32 vcc_lo, 32, v3
	v_lshlrev_b32_e32 v1, 2, v1
	v_cndmask_b32_e32 v3, v0, v3, vcc_lo
	ds_bpermute_b32 v2, v1, v15
	s_waitcnt lgkmcnt(0)
	v_max_f32_e32 v5, v2, v2
	v_lshlrev_b32_e32 v2, 2, v3
	v_max_f32_e32 v3, v4, v5
	v_xor_b32_e32 v5, 4, v0
	ds_bpermute_b32 v4, v2, v3
	v_cmp_gt_i32_e32 vcc_lo, 32, v5
	v_cndmask_b32_e32 v5, v0, v5, vcc_lo
	v_lshlrev_b32_e32 v34, 2, v5
	v_xor_b32_e32 v5, 2, v0
	v_cmp_gt_i32_e32 vcc_lo, 32, v5
	s_waitcnt lgkmcnt(0)
	v_max_f32_e32 v4, v4, v4
	v_cndmask_b32_e32 v5, v0, v5, vcc_lo
	v_max_f32_e32 v3, v3, v4
	v_lshlrev_b32_e32 v25, 2, v5
	v_xor_b32_e32 v5, 1, v0
	ds_bpermute_b32 v4, v34, v3
	v_cmp_gt_i32_e32 vcc_lo, 32, v5
	v_cndmask_b32_e32 v5, v0, v5, vcc_lo
	v_lshlrev_b32_e32 v24, 2, v5
	s_waitcnt lgkmcnt(0)
	v_max_f32_e32 v4, v4, v4
	v_max_f32_e32 v3, v3, v4
	ds_bpermute_b32 v4, v25, v3
	s_waitcnt lgkmcnt(0)
	v_max_f32_e32 v4, v4, v4
	v_max_f32_e32 v0, v3, v4
	buffer_load_dword v3, off, s[0:3], s32 offset:568 ; 4-byte Folded Reload
	ds_bpermute_b32 v4, v24, v0
	s_waitcnt vmcnt(0)
	v_cmp_eq_u32_e32 vcc_lo, 0, v3
	buffer_load_dword v3, off, s[0:3], s32 offset:996 ; 4-byte Folded Reload
	s_waitcnt vmcnt(0)
	v_lshlrev_b32_e32 v3, 2, v3
	s_and_saveexec_b32 s5, vcc_lo
	s_cbranch_execz .LBB206_786
; %bb.785:
	s_waitcnt lgkmcnt(0)
	v_max_f32_e32 v4, v4, v4
	v_max_f32_e32 v0, v0, v0
	v_max_f32_e32 v0, v0, v4
	ds_write_b32 v3, v0 offset:384
.LBB206_786:
	s_or_b32 exec_lo, exec_lo, s5
	buffer_load_dword v0, off, s[0:3], s32 offset:568 ; 4-byte Folded Reload
	s_waitcnt vmcnt(0) lgkmcnt(0)
	s_waitcnt_vscnt null, 0x0
	s_barrier
	buffer_gl0_inv
	v_cmp_gt_u32_e64 s5, 4, v0
	v_mov_b32_e32 v0, 0xff7fffff
	s_and_saveexec_b32 s6, s5
; %bb.787:
	ds_read_b32 v0, v12 offset:384
; %bb.788:
	s_or_b32 exec_lo, exec_lo, s6
	s_waitcnt lgkmcnt(0)
	ds_bpermute_b32 v4, v25, v0
	v_max_f32_e32 v0, v0, v0
	buffer_load_dword v6, off, s[0:3], s32 offset:572 ; 4-byte Folded Reload
	s_waitcnt lgkmcnt(0)
	v_max_f32_e32 v4, v4, v4
	v_max_f32_e32 v0, v0, v4
	ds_bpermute_b32 v4, v24, v0
	s_waitcnt lgkmcnt(0)
	v_max_f32_e32 v4, v4, v4
	v_max_f32_e32 v0, v0, v4
	v_mov_b32_e32 v4, 0
	ds_bpermute_b32 v5, v4, v0
	buffer_load_dword v0, off, s[0:3], s32 offset:192 ; 4-byte Folded Reload
	s_waitcnt vmcnt(0)
	v_lshlrev_b32_e32 v0, 5, v0
	v_min_i32_e32 v0, v0, v47
	v_cmp_lt_i32_e64 s6, v6, v0
	s_and_saveexec_b32 s15, s6
	s_cbranch_execz .LBB206_792
; %bb.789:
	buffer_load_dword v7, off, s[0:3], s32 offset:572 ; 4-byte Folded Reload
	s_load_dword s7, s[8:9], 0x0
	v_mov_b32_e32 v4, 0
	s_mov_b32 s17, 0
	s_waitcnt vmcnt(0) lgkmcnt(0)
	v_lshl_add_u32 v6, v7, 2, s7
	.p2align	6
.LBB206_790:                            ; =>This Inner Loop Header: Depth=1
	ds_read_b32 v8, v6
	v_add_nc_u32_e32 v7, 0x80, v7
	v_cmp_ge_i32_e64 s7, v7, v0
	s_or_b32 s17, s7, s17
	s_waitcnt lgkmcnt(0)
	v_sub_f32_e32 v8, v8, v5
	v_mul_f32_e32 v8, 0x3fb8aa3b, v8
	v_exp_f32_e32 v8, v8
	ds_write_b32 v6, v8
	v_add_f32_e32 v4, v4, v8
	v_add_nc_u32_e32 v6, 0x200, v6
	s_andn2_b32 exec_lo, exec_lo, s17
	s_cbranch_execnz .LBB206_790
; %bb.791:
	s_or_b32 exec_lo, exec_lo, s17
.LBB206_792:
	s_or_b32 exec_lo, exec_lo, s15
	ds_bpermute_b32 v1, v1, v4
	s_waitcnt lgkmcnt(0)
	v_add_f32_e32 v1, v4, v1
	ds_bpermute_b32 v2, v2, v1
	s_waitcnt lgkmcnt(0)
	v_add_f32_e32 v1, v1, v2
	;; [unrolled: 3-line block ×5, first 2 shown]
	s_and_saveexec_b32 s7, vcc_lo
; %bb.793:
	ds_write_b32 v3, v1 offset:400
; %bb.794:
	s_or_b32 exec_lo, exec_lo, s7
	s_waitcnt lgkmcnt(0)
	s_barrier
	buffer_gl0_inv
	s_and_saveexec_b32 s7, s5
; %bb.795:
	ds_read_b32 v1, v12 offset:400
; %bb.796:
	s_or_b32 exec_lo, exec_lo, s7
	s_waitcnt lgkmcnt(0)
	ds_bpermute_b32 v2, v25, v1
	s_waitcnt lgkmcnt(0)
	v_add_f32_e32 v1, v1, v2
	ds_bpermute_b32 v2, v24, v1
	s_waitcnt lgkmcnt(0)
	v_add_f32_e32 v1, v1, v2
	v_mov_b32_e32 v2, 0
	ds_bpermute_b32 v1, v2, v1
	s_and_saveexec_b32 s5, s6
	s_cbranch_execz .LBB206_799
; %bb.797:
	s_waitcnt lgkmcnt(0)
	v_add_f32_e32 v2, 0x358637bd, v1
	s_load_dword s6, s[8:9], 0x0
	v_div_scale_f32 v1, null, v2, v2, 1.0
	v_div_scale_f32 v5, vcc_lo, 1.0, v2, 1.0
	v_rcp_f32_e32 v3, v1
	v_fma_f32 v4, -v1, v3, 1.0
	v_fmac_f32_e32 v3, v4, v3
	v_mul_f32_e32 v4, v5, v3
	v_fma_f32 v6, -v1, v4, v5
	v_fmac_f32_e32 v4, v6, v3
	v_fma_f32 v1, -v1, v4, v5
	v_div_fmas_f32 v3, v1, v3, v4
	buffer_load_dword v4, off, s[0:3], s32 offset:572 ; 4-byte Folded Reload
	v_div_fixup_f32 v2, v3, v2, 1.0
	s_waitcnt vmcnt(0) lgkmcnt(0)
	v_lshl_add_u32 v1, v4, 2, s6
	v_mov_b32_e32 v3, v4
	s_mov_b32 s6, 0
.LBB206_798:                            ; =>This Inner Loop Header: Depth=1
	ds_read_b32 v4, v1
	v_add_nc_u32_e32 v3, 0x80, v3
	v_cmp_ge_i32_e32 vcc_lo, v3, v0
	s_or_b32 s6, vcc_lo, s6
	s_waitcnt lgkmcnt(0)
	v_mul_f32_e32 v4, v2, v4
	ds_write_b32 v1, v4
	v_add_nc_u32_e32 v1, 0x200, v1
	s_andn2_b32 exec_lo, exec_lo, s6
	s_cbranch_execnz .LBB206_798
.LBB206_799:
	s_or_b32 exec_lo, exec_lo, s5
	buffer_load_dword v0, off, s[0:3], s32 offset:572 ; 4-byte Folded Reload
	v_mov_b32_e32 v19, 0
	v_mov_b32_e32 v22, 0
	;; [unrolled: 1-line block ×24, first 2 shown]
	s_waitcnt vmcnt(0) lgkmcnt(0)
	s_barrier
	buffer_gl0_inv
	v_and_b32_e32 v55, 7, v0
	s_and_saveexec_b32 s5, s4
	s_cbranch_execz .LBB206_1621
; %bb.800:
	s_clause 0x1
	buffer_load_dword v0, off, s[0:3], s32 offset:572
	buffer_load_dword v86, off, s[0:3], s32 offset:996
	v_max_i32_e32 v69, v26, v53
	v_mov_b32_e32 v6, 0
	v_mov_b32_e32 v8, 0
	v_lshlrev_b32_e32 v4, 4, v55
	v_and_b32_e32 v5, 0x7c, v29
	v_cvt_f32_u32_e32 v1, v69
	buffer_store_dword v6, off, s[0:3], s32 offset:220 ; 4-byte Folded Spill
	v_mov_b32_e32 v6, 0
	buffer_store_dword v8, off, s[0:3], s32 offset:244 ; 4-byte Folded Spill
	v_mov_b32_e32 v8, 0
	v_rcp_iflag_f32_e32 v1, v1
	v_add_co_u32 v2, vcc_lo, v21, v64
	buffer_store_dword v6, off, s[0:3], s32 offset:228 ; 4-byte Folded Spill
	v_mov_b32_e32 v6, 0
	buffer_store_dword v8, off, s[0:3], s32 offset:252 ; 4-byte Folded Spill
	v_mov_b32_e32 v8, 0
	v_add_co_ci_u32_e64 v3, null, v20, v54, vcc_lo
	buffer_store_dword v6, off, s[0:3], s32 offset:236 ; 4-byte Folded Spill
	v_mul_f32_e32 v1, 0x4f7ffffe, v1
	v_sub_nc_u32_e32 v6, 0, v69
	buffer_store_dword v8, off, s[0:3], s32 offset:260 ; 4-byte Folded Spill
	v_mov_b32_e32 v8, 0
	buffer_store_dword v34, off, s[0:3], s32 offset:428 ; 4-byte Folded Spill
	v_cvt_u32_f32_e32 v1, v1
	buffer_store_dword v55, off, s[0:3], s32 offset:436 ; 4-byte Folded Spill
	v_mov_b32_e32 v7, 0
	buffer_store_dword v8, off, s[0:3], s32 offset:268 ; 4-byte Folded Spill
	v_mov_b32_e32 v70, 0x80
	v_mul_lo_u32 v6, v6, v1
	v_bfrev_b32_e32 v9, 1
	v_mov_b32_e32 v27, 0xffff
	v_mov_b32_e32 v12, 0x7f800001
	;; [unrolled: 1-line block ×6, first 2 shown]
	v_mul_hi_u32 v6, v1, v6
	v_mov_b32_e32 v16, 0
	v_mov_b32_e32 v15, 0
	;; [unrolled: 1-line block ×3, first 2 shown]
	s_mov_b32 s6, 0
	s_waitcnt vmcnt(1)
	v_lshlrev_b32_e32 v0, 2, v0
	s_waitcnt vmcnt(0)
	v_lshl_or_b32 v84, v86, 7, v4
	v_add_co_u32 v4, vcc_lo, v5, v32
	v_add_co_ci_u32_e64 v5, null, 0, v33, vcc_lo
	v_and_b32_e32 v8, 28, v0
	v_and_b32_e32 v0, 0x7c, v0
	buffer_store_dword v8, off, s[0:3], s32 offset:412 ; 4-byte Folded Spill
	v_add_co_u32 v2, vcc_lo, v2, v0
	v_add_co_ci_u32_e64 v3, null, 0, v3, vcc_lo
	v_add_nc_u32_e32 v0, v1, v6
	buffer_store_dword v2, off, s[0:3], s32 offset:420 ; 4-byte Folded Spill
	buffer_store_dword v3, off, s[0:3], s32 offset:424 ; 4-byte Folded Spill
	v_add_co_u32 v19, vcc_lo, v10, v4
	buffer_store_dword v0, off, s[0:3], s32 offset:356 ; 4-byte Folded Spill
	v_mov_b32_e32 v0, 0
	v_add_co_ci_u32_e64 v20, null, v11, v5, vcc_lo
	v_mov_b32_e32 v5, 0
	buffer_store_dword v0, off, s[0:3], s32 offset:276 ; 4-byte Folded Spill
	v_mov_b32_e32 v0, 0
	buffer_store_dword v0, off, s[0:3], s32 offset:284 ; 4-byte Folded Spill
	;; [unrolled: 2-line block ×10, first 2 shown]
	s_branch .LBB206_803
.LBB206_801:                            ;   in Loop: Header=BB206_803 Depth=1
	s_or_b32 exec_lo, exec_lo, s4
	buffer_load_dword v18, off, s[0:3], s32 offset:220 ; 4-byte Folded Reload
	v_mul_f32_e32 v10, v3, v81
	v_mul_f32_e32 v11, v3, v68
	;; [unrolled: 1-line block ×5, first 2 shown]
	v_fmac_f32_e32 v10, v2, v71
	v_fmac_f32_e32 v11, v2, v67
	;; [unrolled: 1-line block ×11, first 2 shown]
	buffer_load_dword v21, off, s[0:3], s32 offset:308 ; 4-byte Folded Reload
	v_fmac_f32_e32 v11, v5, v65
	v_fmac_f32_e32 v15, v5, v53
	;; [unrolled: 1-line block ×4, first 2 shown]
	s_waitcnt vmcnt(1)
	v_add_f32_e32 v18, v18, v10
	buffer_load_dword v10, off, s[0:3], s32 offset:228 ; 4-byte Folded Reload
	buffer_store_dword v18, off, s[0:3], s32 offset:220 ; 4-byte Folded Spill
	buffer_load_dword v18, off, s[0:3], s32 offset:364 ; 4-byte Folded Reload
	s_waitcnt vmcnt(1)
	v_add_f32_e32 v10, v10, v11
	v_mul_f32_e32 v11, v3, v32
	buffer_store_dword v10, off, s[0:3], s32 offset:228 ; 4-byte Folded Spill
	buffer_load_dword v10, off, s[0:3], s32 offset:236 ; 4-byte Folded Reload
	v_fmac_f32_e32 v11, v2, v31
	v_fmac_f32_e32 v11, v4, v30
	;; [unrolled: 1-line block ×3, first 2 shown]
	s_waitcnt vmcnt(0)
	v_add_f32_e32 v10, v10, v15
	v_mul_f32_e32 v15, v3, v85
	buffer_store_dword v10, off, s[0:3], s32 offset:236 ; 4-byte Folded Spill
	v_fmac_f32_e32 v15, v2, v14
	buffer_load_dword v10, off, s[0:3], s32 offset:244 ; 4-byte Folded Reload
	v_mul_f32_e32 v14, v3, v104
	v_fmac_f32_e32 v15, v4, v13
	buffer_load_dword v13, off, s[0:3], s32 offset:252 ; 4-byte Folded Reload
	v_fmac_f32_e32 v14, v2, v95
	v_fmac_f32_e32 v15, v5, v83
	;; [unrolled: 1-line block ×4, first 2 shown]
	s_waitcnt vmcnt(1)
	v_add_f32_e32 v10, v10, v16
	v_mul_f32_e32 v16, v3, v28
	s_waitcnt vmcnt(0)
	v_add_f32_e32 v13, v13, v17
	buffer_store_dword v10, off, s[0:3], s32 offset:244 ; 4-byte Folded Spill
	v_mul_f32_e32 v10, v3, v36
	buffer_load_dword v17, off, s[0:3], s32 offset:372 ; 4-byte Folded Reload
	v_fmac_f32_e32 v16, v2, v127
	buffer_store_dword v13, off, s[0:3], s32 offset:252 ; 4-byte Folded Spill
	buffer_load_dword v13, off, s[0:3], s32 offset:260 ; 4-byte Folded Reload
	v_fmac_f32_e32 v10, v2, v35
	buffer_load_dword v35, off, s[0:3], s32 offset:404 ; 4-byte Folded Reload
	v_fmac_f32_e32 v16, v4, v126
	v_fmac_f32_e32 v10, v4, v34
	;; [unrolled: 1-line block ×4, first 2 shown]
	s_waitcnt vmcnt(2)
	v_add_f32_e32 v17, v17, v14
	v_mul_f32_e32 v14, v3, v60
	s_waitcnt vmcnt(1)
	v_add_f32_e32 v13, v13, v10
	buffer_load_dword v10, off, s[0:3], s32 offset:268 ; 4-byte Folded Reload
	v_fmac_f32_e32 v14, v2, v59
	buffer_store_dword v13, off, s[0:3], s32 offset:260 ; 4-byte Folded Spill
	v_mul_f32_e32 v13, v3, v108
	v_fmac_f32_e32 v14, v4, v58
	v_fmac_f32_e32 v13, v2, v107
	;; [unrolled: 1-line block ×5, first 2 shown]
	v_add_f32_e32 v18, v18, v13
	v_mul_f32_e32 v13, v3, v72
	v_fmac_f32_e32 v13, v2, v63
	v_fmac_f32_e32 v13, v4, v62
	;; [unrolled: 1-line block ×3, first 2 shown]
	s_waitcnt vmcnt(0)
	v_add_f32_e32 v10, v10, v11
	v_mul_f32_e32 v11, v3, v120
	buffer_store_dword v10, off, s[0:3], s32 offset:268 ; 4-byte Folded Spill
	buffer_load_dword v10, off, s[0:3], s32 offset:276 ; 4-byte Folded Reload
	v_fmac_f32_e32 v11, v2, v111
	v_fmac_f32_e32 v11, v4, v110
	;; [unrolled: 1-line block ×3, first 2 shown]
	s_waitcnt vmcnt(0)
	v_add_f32_e32 v10, v10, v15
	v_mul_f32_e32 v15, v3, v92
	buffer_store_dword v10, off, s[0:3], s32 offset:276 ; 4-byte Folded Spill
	buffer_load_dword v10, off, s[0:3], s32 offset:284 ; 4-byte Folded Reload
	v_fmac_f32_e32 v15, v2, v91
	v_fmac_f32_e32 v15, v4, v90
	;; [unrolled: 1-line block ×3, first 2 shown]
	s_waitcnt vmcnt(0)
	v_add_f32_e32 v10, v10, v16
	buffer_load_dword v16, off, s[0:3], s32 offset:292 ; 4-byte Folded Reload
	buffer_store_dword v10, off, s[0:3], s32 offset:284 ; 4-byte Folded Spill
	v_mul_f32_e32 v10, v3, v124
	v_fmac_f32_e32 v10, v2, v123
	v_fmac_f32_e32 v10, v4, v122
	;; [unrolled: 1-line block ×3, first 2 shown]
	s_waitcnt vmcnt(0)
	v_add_f32_e32 v16, v16, v10
	buffer_load_dword v10, off, s[0:3], s32 offset:300 ; 4-byte Folded Reload
	buffer_store_dword v16, off, s[0:3], s32 offset:292 ; 4-byte Folded Spill
	buffer_load_dword v16, off, s[0:3], s32 offset:380 ; 4-byte Folded Reload
	s_waitcnt vmcnt(1)
	v_add_f32_e32 v10, v10, v11
	v_mul_f32_e32 v11, v3, v76
	buffer_store_dword v10, off, s[0:3], s32 offset:300 ; 4-byte Folded Spill
	v_mul_f32_e32 v10, v3, v88
	v_fmac_f32_e32 v11, v2, v75
	s_waitcnt vmcnt(0)
	v_add_f32_e32 v16, v16, v15
	v_mul_f32_e32 v15, v3, v56
	v_fmac_f32_e32 v10, v2, v79
	v_fmac_f32_e32 v11, v4, v74
	v_fmac_f32_e32 v15, v2, v46
	v_fmac_f32_e32 v10, v4, v78
	v_fmac_f32_e32 v11, v5, v73
	v_fmac_f32_e32 v15, v4, v45
	v_fmac_f32_e32 v10, v5, v77
	v_fmac_f32_e32 v15, v5, v44
	v_add_f32_e32 v21, v21, v10
	buffer_load_dword v10, off, s[0:3], s32 offset:316 ; 4-byte Folded Reload
	buffer_store_dword v21, off, s[0:3], s32 offset:308 ; 4-byte Folded Spill
	s_waitcnt vmcnt(0)
	v_add_f32_e32 v10, v10, v11
	v_mul_f32_e32 v11, v3, v119
	buffer_store_dword v10, off, s[0:3], s32 offset:316 ; 4-byte Folded Spill
	buffer_load_dword v10, off, s[0:3], s32 offset:324 ; 4-byte Folded Reload
	v_fmac_f32_e32 v11, v2, v118
	v_fmac_f32_e32 v11, v4, v117
	v_fmac_f32_e32 v11, v5, v116
	s_waitcnt vmcnt(0)
	v_add_f32_e32 v10, v10, v13
	v_mul_f32_e32 v13, v3, v115
	buffer_store_dword v10, off, s[0:3], s32 offset:324 ; 4-byte Folded Spill
	buffer_load_dword v10, off, s[0:3], s32 offset:332 ; 4-byte Folded Reload
	v_fmac_f32_e32 v13, v2, v114
	v_fmac_f32_e32 v13, v4, v113
	v_fmac_f32_e32 v13, v5, v112
	;; [unrolled: 8-line block ×3, first 2 shown]
	v_add_f32_e32 v26, v26, v14
	s_waitcnt vmcnt(0)
	v_add_f32_e32 v15, v10, v15
	v_mul_f32_e32 v10, v3, v43
	v_mul_f32_e32 v3, v3, v8
	v_fmac_f32_e32 v10, v2, v42
	v_fmac_f32_e32 v3, v2, v6
	;; [unrolled: 1-line block ×6, first 2 shown]
	s_clause 0x1
	buffer_load_dword v5, off, s[0:3], s32 offset:396
	buffer_load_dword v0, off, s[0:3], s32 offset:340
	v_add_f32_e32 v35, v35, v3
	s_waitcnt vmcnt(1)
	v_add_f32_e32 v5, v5, v10
	s_waitcnt vmcnt(0)
	v_add_f32_e32 v0, v0, v11
	buffer_store_dword v0, off, s[0:3], s32 offset:340 ; 4-byte Folded Spill
	buffer_load_dword v0, off, s[0:3], s32 offset:348 ; 4-byte Folded Reload
	s_waitcnt vmcnt(0)
	v_add_f32_e32 v0, v0, v13
	buffer_store_dword v0, off, s[0:3], s32 offset:348 ; 4-byte Folded Spill
.LBB206_802:                            ;   in Loop: Header=BB206_803 Depth=1
	s_or_b32 exec_lo, exec_lo, s7
	buffer_load_dword v0, off, s[0:3], s32 offset:192 ; 4-byte Folded Reload
	v_add_nc_u32_e32 v86, 4, v86
	v_add_co_u32 v19, s4, v19, 16
	v_add_nc_u32_e32 v23, 0x80, v23
	v_add_nc_u32_e32 v84, 0x200, v84
	v_add_co_ci_u32_e64 v20, null, 0, v20, s4
	s_waitcnt vmcnt(0)
	v_cmp_ge_i32_e32 vcc_lo, v86, v0
	s_or_b32 s6, vcc_lo, s6
	s_andn2_b32 exec_lo, exec_lo, s6
	s_cbranch_execz .LBB206_1620
.LBB206_803:                            ; =>This Inner Loop Header: Depth=1
	s_clause 0x1
	buffer_load_dword v0, off, s[0:3], s32 offset:212
	buffer_load_dword v4, off, s[0:3], s32 offset:208
	s_waitcnt vmcnt(1)
	v_mul_hi_u32 v0, v23, v0
	s_waitcnt vmcnt(0)
	v_mul_lo_u32 v1, v0, v4
	v_add_nc_u32_e32 v2, 1, v0
	v_sub_nc_u32_e32 v1, v23, v1
	v_sub_nc_u32_e32 v3, v1, v4
	v_cmp_ge_u32_e32 vcc_lo, v1, v4
	v_cndmask_b32_e32 v1, v1, v3, vcc_lo
	v_cndmask_b32_e32 v0, v0, v2, vcc_lo
	v_cmp_ge_u32_e32 vcc_lo, v1, v4
	buffer_load_dword v1, off, s[0:3], s32 offset:204 ; 4-byte Folded Reload
	v_add_nc_u32_e32 v2, 1, v0
	v_cndmask_b32_e32 v0, v0, v2, vcc_lo
	s_waitcnt vmcnt(0)
	v_xor_b32_e32 v0, v0, v1
	v_sub_nc_u32_e32 v0, v0, v1
	s_clause 0x2
	buffer_load_dword v1, off, s[0:3], s32 offset:196
	buffer_load_dword v2, off, s[0:3], s32 offset:200
	buffer_load_dword v3, off, s[0:3], s32 offset:356
	s_waitcnt vmcnt(2)
	v_add_nc_u32_e32 v1, v0, v1
	s_waitcnt vmcnt(1)
	v_sub_nc_u32_e32 v2, 0, v1
	v_max_i32_e32 v2, v1, v2
	v_ashrrev_i32_e32 v1, 31, v1
	s_waitcnt vmcnt(0)
	v_mul_hi_u32 v3, v2, v3
	v_mul_lo_u32 v3, v3, v69
	v_sub_nc_u32_e32 v2, v2, v3
	v_sub_nc_u32_e32 v3, v2, v69
	v_cmp_ge_u32_e32 vcc_lo, v2, v69
	v_cndmask_b32_e32 v2, v2, v3, vcc_lo
	v_sub_nc_u32_e32 v3, v2, v69
	v_cmp_ge_u32_e32 vcc_lo, v2, v69
	v_cndmask_b32_e32 v2, v2, v3, vcc_lo
	v_xor_b32_e32 v2, v2, v1
	v_sub_nc_u32_e32 v1, v2, v1
	v_cmp_eq_u32_e32 vcc_lo, 0, v1
	buffer_load_dword v1, off, s[0:3], s32 offset:216 ; 4-byte Folded Reload
	s_waitcnt vmcnt(0)
	v_cmp_gt_i32_e64 s4, v0, v1
	s_or_b32 s4, vcc_lo, s4
	s_and_saveexec_b32 s7, s4
	s_cbranch_execz .LBB206_802
; %bb.804:                              ;   in Loop: Header=BB206_803 Depth=1
	buffer_store_dword v35, off, s[0:3], s32 offset:404 ; 4-byte Folded Spill
	buffer_store_dword v5, off, s[0:3], s32 offset:396 ; 4-byte Folded Spill
	;; [unrolled: 1-line block ×6, first 2 shown]
	flat_load_dword v0, v[19:20]
	s_clause 0x2
	buffer_load_dword v1, off, s[0:3], s32 offset:556
	buffer_load_dword v2, off, s[0:3], s32 offset:420
	;; [unrolled: 1-line block ×3, first 2 shown]
	v_mov_b32_e32 v17, 0
	v_mov_b32_e32 v15, 0
	;; [unrolled: 1-line block ×4, first 2 shown]
	s_waitcnt vmcnt(0) lgkmcnt(0)
	v_mad_i64_i32 v[0:1], null, v0, v1, v[2:3]
	flat_load_dword v13, v[0:1]
	s_clause 0x1
	buffer_load_dword v2, off, s[0:3], s32 offset:580
	buffer_load_dword v3, off, s[0:3], s32 offset:584
	s_load_dword s4, s[8:9], 0x0
	s_waitcnt vmcnt(2) lgkmcnt(0)
	v_cmp_ne_u16_sdwa s15, v13, v7 src0_sel:BYTE_0 src1_sel:DWORD
	s_waitcnt vmcnt(0)
	flat_load_dword v87, v[2:3]
	v_add_nc_u32_e32 v2, s4, v84
	ds_read_b128 v[2:5], v2
	s_and_saveexec_b32 s4, s15
	s_cbranch_execz .LBB206_812
; %bb.805:                              ;   in Loop: Header=BB206_803 Depth=1
	v_bfrev_b32_e32 v15, 1
	v_mov_b32_e32 v16, 0
	v_cmp_ne_u16_sdwa s17, v13, v70 src0_sel:BYTE_0 src1_sel:DWORD
	s_and_saveexec_b32 s15, s17
	s_cbranch_execz .LBB206_811
; %bb.806:                              ;   in Loop: Header=BB206_803 Depth=1
	v_mov_b32_e32 v15, 0x7f800001
	v_and_b32_e32 v10, 0x7f, v13
	v_mov_b32_e32 v16, 0
	s_mov_b32 s17, exec_lo
	v_cmpx_ne_u32_e32 0x7f, v10
	s_cbranch_execz .LBB206_810
; %bb.807:                              ;   in Loop: Header=BB206_803 Depth=1
	v_and_b32_e32 v6, 7, v13
	v_lshrrev_b32_e32 v8, 3, v10
	s_mov_b32 s18, exec_lo
	v_cmpx_gt_u32_e32 8, v10
; %bb.808:                              ;   in Loop: Header=BB206_803 Depth=1
	v_ffbh_u32_e32 v8, v6
	v_min_u32_e32 v8, 32, v8
	v_subrev_nc_u32_e32 v10, 28, v8
	v_sub_nc_u32_e32 v8, 29, v8
	v_lshlrev_b64 v[10:11], v10, v[6:7]
	v_and_b32_e32 v6, 7, v10
; %bb.809:                              ;   in Loop: Header=BB206_803 Depth=1
	s_or_b32 exec_lo, exec_lo, s18
	v_lshlrev_b32_e32 v10, 24, v13
	v_lshlrev_b32_e32 v6, 20, v6
	v_lshl_add_u32 v8, v8, 23, 0x3c000000
	v_and_b32_e32 v10, 0x80000000, v10
	v_or3_b32 v6, v6, v10, v8
	v_mov_b32_e32 v16, v7
	v_mov_b32_e32 v15, v6
.LBB206_810:                            ;   in Loop: Header=BB206_803 Depth=1
	s_or_b32 exec_lo, exec_lo, s17
.LBB206_811:                            ;   in Loop: Header=BB206_803 Depth=1
	s_or_b32 exec_lo, exec_lo, s15
.LBB206_812:                            ;   in Loop: Header=BB206_803 Depth=1
	s_or_b32 exec_lo, exec_lo, s4
	v_cmp_ne_u16_sdwa s15, v13, v7 src0_sel:BYTE_1 src1_sel:DWORD
	s_and_saveexec_b32 s4, s15
	s_cbranch_execz .LBB206_820
; %bb.813:                              ;   in Loop: Header=BB206_803 Depth=1
	v_mov_b32_e32 v8, v7
	v_mov_b32_e32 v18, v9
	v_cmp_ne_u16_sdwa s17, v13, v70 src0_sel:BYTE_1 src1_sel:DWORD
	v_mov_b32_e32 v17, v8
	s_and_saveexec_b32 s15, s17
	s_cbranch_execz .LBB206_819
; %bb.814:                              ;   in Loop: Header=BB206_803 Depth=1
	v_and_b32_sdwa v6, v27, v13 dst_sel:DWORD dst_unused:UNUSED_PAD src0_sel:DWORD src1_sel:BYTE_1
	v_mov_b32_e32 v11, v7
	v_mov_b32_e32 v18, v12
	s_mov_b32 s17, exec_lo
	v_and_b32_e32 v10, 0x7f, v6
	v_mov_b32_e32 v17, v11
	v_cmpx_ne_u32_e32 0x7f, v10
	s_cbranch_execz .LBB206_818
; %bb.815:                              ;   in Loop: Header=BB206_803 Depth=1
	v_and_b32_e32 v6, 7, v6
	v_lshrrev_b32_e32 v8, 3, v10
	s_mov_b32 s18, exec_lo
	v_cmpx_gt_u32_e32 8, v10
; %bb.816:                              ;   in Loop: Header=BB206_803 Depth=1
	v_ffbh_u32_e32 v8, v6
	v_min_u32_e32 v8, 32, v8
	v_subrev_nc_u32_e32 v10, 28, v8
	v_sub_nc_u32_e32 v8, 29, v8
	v_lshlrev_b64 v[10:11], v10, v[6:7]
	v_and_b32_e32 v6, 7, v10
; %bb.817:                              ;   in Loop: Header=BB206_803 Depth=1
	s_or_b32 exec_lo, exec_lo, s18
	v_lshlrev_b32_e32 v10, 16, v13
	v_lshlrev_b32_e32 v6, 20, v6
	v_lshl_add_u32 v8, v8, 23, 0x3c000000
	v_mov_b32_e32 v17, v7
	v_and_b32_e32 v10, 0x80000000, v10
	v_or3_b32 v18, v6, v10, v8
.LBB206_818:                            ;   in Loop: Header=BB206_803 Depth=1
	s_or_b32 exec_lo, exec_lo, s17
.LBB206_819:                            ;   in Loop: Header=BB206_803 Depth=1
	s_or_b32 exec_lo, exec_lo, s15
.LBB206_820:                            ;   in Loop: Header=BB206_803 Depth=1
	s_or_b32 exec_lo, exec_lo, s4
	v_mov_b32_e32 v10, 0
	v_mov_b32_e32 v21, 0
	v_and_b32_sdwa v6, v13, v80 dst_sel:DWORD dst_unused:UNUSED_PAD src0_sel:WORD_1 src1_sel:DWORD
	v_mov_b32_e32 v11, 0
	v_mov_b32_e32 v22, 0
	s_mov_b32 s4, exec_lo
	v_cmpx_ne_u16_e32 0, v6
	s_cbranch_execz .LBB206_828
; %bb.821:                              ;   in Loop: Header=BB206_803 Depth=1
	v_bfrev_b32_e32 v21, 1
	v_mov_b32_e32 v22, 0
	s_mov_b32 s15, exec_lo
	v_cmpx_ne_u16_e32 0x80, v6
	s_cbranch_execz .LBB206_827
; %bb.822:                              ;   in Loop: Header=BB206_803 Depth=1
	v_mov_b32_e32 v21, 0x7f800001
	v_bfe_u32 v14, v13, 16, 7
	v_mov_b32_e32 v22, 0
	s_mov_b32 s17, exec_lo
	v_cmpx_ne_u32_e32 0x7f, v14
	s_cbranch_execz .LBB206_826
; %bb.823:                              ;   in Loop: Header=BB206_803 Depth=1
	v_mov_b32_e32 v6, 7
	v_lshrrev_b32_e32 v8, 3, v14
	s_mov_b32 s18, exec_lo
	v_and_b32_sdwa v6, v13, v6 dst_sel:DWORD dst_unused:UNUSED_PAD src0_sel:WORD_1 src1_sel:DWORD
	v_cmpx_gt_u32_e32 8, v14
; %bb.824:                              ;   in Loop: Header=BB206_803 Depth=1
	v_ffbh_u32_e32 v8, v6
	v_min_u32_e32 v8, 32, v8
	v_subrev_nc_u32_e32 v14, 28, v8
	v_sub_nc_u32_e32 v8, 29, v8
	v_lshlrev_b64 v[21:22], v14, v[6:7]
	v_and_b32_e32 v6, 7, v21
; %bb.825:                              ;   in Loop: Header=BB206_803 Depth=1
	s_or_b32 exec_lo, exec_lo, s18
	v_mov_b32_e32 v14, 24
	v_lshlrev_b32_e32 v6, 20, v6
	v_lshl_add_u32 v8, v8, 23, 0x3c000000
	v_lshlrev_b32_sdwa v14, v14, v13 dst_sel:DWORD dst_unused:UNUSED_PAD src0_sel:DWORD src1_sel:WORD_1
	v_and_b32_e32 v14, 0x80000000, v14
	v_or3_b32 v6, v6, v14, v8
	v_mov_b32_e32 v22, v7
	v_mov_b32_e32 v21, v6
.LBB206_826:                            ;   in Loop: Header=BB206_803 Depth=1
	s_or_b32 exec_lo, exec_lo, s17
.LBB206_827:                            ;   in Loop: Header=BB206_803 Depth=1
	s_or_b32 exec_lo, exec_lo, s15
.LBB206_828:                            ;   in Loop: Header=BB206_803 Depth=1
	s_or_b32 exec_lo, exec_lo, s4
	s_mov_b32 s4, exec_lo
	v_cmpx_lt_u32_e32 0xffffff, v13
	s_cbranch_execz .LBB206_836
; %bb.829:                              ;   in Loop: Header=BB206_803 Depth=1
	v_mov_b32_e32 v8, v7
	v_mov_b32_e32 v11, v9
	v_cmp_ne_u32_sdwa s17, v13, v70 src0_sel:BYTE_3 src1_sel:DWORD
	v_mov_b32_e32 v10, v8
	s_and_saveexec_b32 s15, s17
	s_cbranch_execz .LBB206_835
; %bb.830:                              ;   in Loop: Header=BB206_803 Depth=1
	v_mov_b32_e32 v11, v7
	v_bfe_u32 v14, v13, 24, 7
	s_mov_b32 s17, exec_lo
	v_mov_b32_e32 v10, v11
	v_mov_b32_e32 v11, v12
	v_cmpx_ne_u32_e32 0x7f, v14
	s_cbranch_execz .LBB206_834
; %bb.831:                              ;   in Loop: Header=BB206_803 Depth=1
	v_mov_b32_e32 v6, 7
	v_lshrrev_b32_e32 v8, 3, v14
	s_mov_b32 s18, exec_lo
	v_and_b32_sdwa v6, v13, v6 dst_sel:DWORD dst_unused:UNUSED_PAD src0_sel:BYTE_3 src1_sel:DWORD
	v_cmpx_gt_u32_e32 8, v14
; %bb.832:                              ;   in Loop: Header=BB206_803 Depth=1
	v_ffbh_u32_e32 v8, v6
	v_min_u32_e32 v8, 32, v8
	v_subrev_nc_u32_e32 v10, 28, v8
	v_sub_nc_u32_e32 v8, 29, v8
	v_lshlrev_b64 v[10:11], v10, v[6:7]
	v_and_b32_e32 v6, 7, v10
; %bb.833:                              ;   in Loop: Header=BB206_803 Depth=1
	s_or_b32 exec_lo, exec_lo, s18
	v_mov_b32_e32 v10, 24
	v_lshlrev_b32_e32 v6, 20, v6
	v_lshl_add_u32 v8, v8, 23, 0x3c000000
	v_lshlrev_b32_sdwa v10, v10, v13 dst_sel:DWORD dst_unused:UNUSED_PAD src0_sel:DWORD src1_sel:BYTE_3
	v_and_b32_e32 v10, 0x80000000, v10
	v_or3_b32 v11, v6, v10, v8
	v_mov_b32_e32 v10, v7
.LBB206_834:                            ;   in Loop: Header=BB206_803 Depth=1
	s_or_b32 exec_lo, exec_lo, s17
.LBB206_835:                            ;   in Loop: Header=BB206_803 Depth=1
	s_or_b32 exec_lo, exec_lo, s15
.LBB206_836:                            ;   in Loop: Header=BB206_803 Depth=1
	s_or_b32 exec_lo, exec_lo, s4
	buffer_load_dword v6, off, s[0:3], s32 offset:412 ; 4-byte Folded Reload
	v_or_b32_e32 v8, v18, v16
	v_or_b32_e32 v13, v17, v15
	;; [unrolled: 1-line block ×4, first 2 shown]
	s_waitcnt vmcnt(1) lgkmcnt(1)
	v_mul_f32_e32 v99, v87, v8
	v_mul_f32_e32 v98, v87, v13
	;; [unrolled: 1-line block ×4, first 2 shown]
	s_waitcnt vmcnt(0)
	v_add_nc_u32_e32 v100, v6, v23
	buffer_load_dword v6, off, s[0:3], s32 offset:192 ; 4-byte Folded Reload
	v_add_nc_u32_e32 v103, 1, v100
	v_add_nc_u32_e32 v102, 2, v100
	v_add_nc_u32_e32 v101, 3, v100
	s_waitcnt vmcnt(0)
	v_add_nc_u32_e32 v6, -1, v6
	v_cmp_eq_u32_e32 vcc_lo, v6, v86
	s_and_saveexec_b32 s15, vcc_lo
	s_cbranch_execz .LBB206_838
; %bb.837:                              ;   in Loop: Header=BB206_803 Depth=1
	v_cmp_lt_i32_e64 s4, v100, v47
	v_cndmask_b32_e64 v98, 0, v98, s4
	v_cmp_lt_i32_e64 s4, v103, v47
	v_cndmask_b32_e64 v99, 0, v99, s4
	;; [unrolled: 2-line block ×4, first 2 shown]
.LBB206_838:                            ;   in Loop: Header=BB206_803 Depth=1
	s_or_b32 exec_lo, exec_lo, s15
	flat_load_dword v13, v[0:1] offset:128
	v_mov_b32_e32 v17, 0
	v_mov_b32_e32 v15, 0
	;; [unrolled: 1-line block ×4, first 2 shown]
	s_waitcnt vmcnt(0) lgkmcnt(0)
	v_cmp_ne_u16_sdwa s4, v13, v7 src0_sel:BYTE_0 src1_sel:DWORD
	s_and_saveexec_b32 s15, s4
	s_cbranch_execz .LBB206_846
; %bb.839:                              ;   in Loop: Header=BB206_803 Depth=1
	v_bfrev_b32_e32 v15, 1
	v_mov_b32_e32 v16, 0
	v_cmp_ne_u16_sdwa s4, v13, v70 src0_sel:BYTE_0 src1_sel:DWORD
	s_and_saveexec_b32 s17, s4
	s_cbranch_execz .LBB206_845
; %bb.840:                              ;   in Loop: Header=BB206_803 Depth=1
	v_mov_b32_e32 v15, 0x7f800001
	v_and_b32_e32 v10, 0x7f, v13
	v_mov_b32_e32 v16, 0
	s_mov_b32 s18, exec_lo
	v_cmpx_ne_u32_e32 0x7f, v10
	s_cbranch_execz .LBB206_844
; %bb.841:                              ;   in Loop: Header=BB206_803 Depth=1
	v_and_b32_e32 v6, 7, v13
	v_lshrrev_b32_e32 v8, 3, v10
	s_mov_b32 s19, exec_lo
	v_cmpx_gt_u32_e32 8, v10
; %bb.842:                              ;   in Loop: Header=BB206_803 Depth=1
	v_ffbh_u32_e32 v8, v6
	v_min_u32_e32 v8, 32, v8
	v_subrev_nc_u32_e32 v10, 28, v8
	v_sub_nc_u32_e32 v8, 29, v8
	v_lshlrev_b64 v[10:11], v10, v[6:7]
	v_and_b32_e32 v6, 7, v10
; %bb.843:                              ;   in Loop: Header=BB206_803 Depth=1
	s_or_b32 exec_lo, exec_lo, s19
	v_lshlrev_b32_e32 v10, 24, v13
	v_lshlrev_b32_e32 v6, 20, v6
	v_lshl_add_u32 v8, v8, 23, 0x3c000000
	v_and_b32_e32 v10, 0x80000000, v10
	v_or3_b32 v6, v6, v10, v8
	v_mov_b32_e32 v16, v7
	v_mov_b32_e32 v15, v6
.LBB206_844:                            ;   in Loop: Header=BB206_803 Depth=1
	s_or_b32 exec_lo, exec_lo, s18
.LBB206_845:                            ;   in Loop: Header=BB206_803 Depth=1
	s_or_b32 exec_lo, exec_lo, s17
.LBB206_846:                            ;   in Loop: Header=BB206_803 Depth=1
	s_or_b32 exec_lo, exec_lo, s15
	v_cmp_ne_u16_sdwa s4, v13, v7 src0_sel:BYTE_1 src1_sel:DWORD
	s_and_saveexec_b32 s15, s4
	s_cbranch_execz .LBB206_854
; %bb.847:                              ;   in Loop: Header=BB206_803 Depth=1
	v_mov_b32_e32 v8, v7
	v_mov_b32_e32 v18, v9
	v_cmp_ne_u16_sdwa s4, v13, v70 src0_sel:BYTE_1 src1_sel:DWORD
	v_mov_b32_e32 v17, v8
	s_and_saveexec_b32 s17, s4
	s_cbranch_execz .LBB206_853
; %bb.848:                              ;   in Loop: Header=BB206_803 Depth=1
	v_and_b32_sdwa v6, v27, v13 dst_sel:DWORD dst_unused:UNUSED_PAD src0_sel:DWORD src1_sel:BYTE_1
	v_mov_b32_e32 v11, v7
	v_mov_b32_e32 v18, v12
	s_mov_b32 s18, exec_lo
	v_and_b32_e32 v10, 0x7f, v6
	v_mov_b32_e32 v17, v11
	v_cmpx_ne_u32_e32 0x7f, v10
	s_cbranch_execz .LBB206_852
; %bb.849:                              ;   in Loop: Header=BB206_803 Depth=1
	v_and_b32_e32 v6, 7, v6
	v_lshrrev_b32_e32 v8, 3, v10
	s_mov_b32 s19, exec_lo
	v_cmpx_gt_u32_e32 8, v10
; %bb.850:                              ;   in Loop: Header=BB206_803 Depth=1
	v_ffbh_u32_e32 v8, v6
	v_min_u32_e32 v8, 32, v8
	v_subrev_nc_u32_e32 v10, 28, v8
	v_sub_nc_u32_e32 v8, 29, v8
	v_lshlrev_b64 v[10:11], v10, v[6:7]
	v_and_b32_e32 v6, 7, v10
; %bb.851:                              ;   in Loop: Header=BB206_803 Depth=1
	s_or_b32 exec_lo, exec_lo, s19
	v_lshlrev_b32_e32 v10, 16, v13
	v_lshlrev_b32_e32 v6, 20, v6
	v_lshl_add_u32 v8, v8, 23, 0x3c000000
	v_mov_b32_e32 v17, v7
	v_and_b32_e32 v10, 0x80000000, v10
	v_or3_b32 v18, v6, v10, v8
.LBB206_852:                            ;   in Loop: Header=BB206_803 Depth=1
	s_or_b32 exec_lo, exec_lo, s18
.LBB206_853:                            ;   in Loop: Header=BB206_803 Depth=1
	s_or_b32 exec_lo, exec_lo, s17
.LBB206_854:                            ;   in Loop: Header=BB206_803 Depth=1
	s_or_b32 exec_lo, exec_lo, s15
	v_mov_b32_e32 v10, 0
	v_mov_b32_e32 v21, 0
	v_and_b32_sdwa v6, v13, v80 dst_sel:DWORD dst_unused:UNUSED_PAD src0_sel:WORD_1 src1_sel:DWORD
	v_mov_b32_e32 v11, 0
	v_mov_b32_e32 v22, 0
	s_mov_b32 s15, exec_lo
	v_cmpx_ne_u16_e32 0, v6
	s_cbranch_execz .LBB206_862
; %bb.855:                              ;   in Loop: Header=BB206_803 Depth=1
	v_bfrev_b32_e32 v21, 1
	v_mov_b32_e32 v22, 0
	s_mov_b32 s17, exec_lo
	v_cmpx_ne_u16_e32 0x80, v6
	s_cbranch_execz .LBB206_861
; %bb.856:                              ;   in Loop: Header=BB206_803 Depth=1
	v_mov_b32_e32 v21, 0x7f800001
	v_bfe_u32 v14, v13, 16, 7
	v_mov_b32_e32 v22, 0
	s_mov_b32 s18, exec_lo
	v_cmpx_ne_u32_e32 0x7f, v14
	s_cbranch_execz .LBB206_860
; %bb.857:                              ;   in Loop: Header=BB206_803 Depth=1
	v_mov_b32_e32 v6, 7
	v_lshrrev_b32_e32 v8, 3, v14
	s_mov_b32 s19, exec_lo
	v_and_b32_sdwa v6, v13, v6 dst_sel:DWORD dst_unused:UNUSED_PAD src0_sel:WORD_1 src1_sel:DWORD
	v_cmpx_gt_u32_e32 8, v14
; %bb.858:                              ;   in Loop: Header=BB206_803 Depth=1
	v_ffbh_u32_e32 v8, v6
	v_min_u32_e32 v8, 32, v8
	v_subrev_nc_u32_e32 v14, 28, v8
	v_sub_nc_u32_e32 v8, 29, v8
	v_lshlrev_b64 v[21:22], v14, v[6:7]
	v_and_b32_e32 v6, 7, v21
; %bb.859:                              ;   in Loop: Header=BB206_803 Depth=1
	s_or_b32 exec_lo, exec_lo, s19
	v_mov_b32_e32 v14, 24
	v_lshlrev_b32_e32 v6, 20, v6
	v_lshl_add_u32 v8, v8, 23, 0x3c000000
	v_lshlrev_b32_sdwa v14, v14, v13 dst_sel:DWORD dst_unused:UNUSED_PAD src0_sel:DWORD src1_sel:WORD_1
	v_and_b32_e32 v14, 0x80000000, v14
	v_or3_b32 v6, v6, v14, v8
	v_mov_b32_e32 v22, v7
	v_mov_b32_e32 v21, v6
.LBB206_860:                            ;   in Loop: Header=BB206_803 Depth=1
	s_or_b32 exec_lo, exec_lo, s18
.LBB206_861:                            ;   in Loop: Header=BB206_803 Depth=1
	s_or_b32 exec_lo, exec_lo, s17
.LBB206_862:                            ;   in Loop: Header=BB206_803 Depth=1
	s_or_b32 exec_lo, exec_lo, s15
	s_mov_b32 s15, exec_lo
	v_cmpx_lt_u32_e32 0xffffff, v13
	s_cbranch_execz .LBB206_870
; %bb.863:                              ;   in Loop: Header=BB206_803 Depth=1
	v_mov_b32_e32 v8, v7
	v_mov_b32_e32 v11, v9
	v_cmp_ne_u32_sdwa s4, v13, v70 src0_sel:BYTE_3 src1_sel:DWORD
	v_mov_b32_e32 v10, v8
	s_and_saveexec_b32 s17, s4
	s_cbranch_execz .LBB206_869
; %bb.864:                              ;   in Loop: Header=BB206_803 Depth=1
	v_mov_b32_e32 v11, v7
	v_bfe_u32 v14, v13, 24, 7
	s_mov_b32 s18, exec_lo
	v_mov_b32_e32 v10, v11
	v_mov_b32_e32 v11, v12
	v_cmpx_ne_u32_e32 0x7f, v14
	s_cbranch_execz .LBB206_868
; %bb.865:                              ;   in Loop: Header=BB206_803 Depth=1
	v_mov_b32_e32 v6, 7
	v_lshrrev_b32_e32 v8, 3, v14
	s_mov_b32 s19, exec_lo
	v_and_b32_sdwa v6, v13, v6 dst_sel:DWORD dst_unused:UNUSED_PAD src0_sel:BYTE_3 src1_sel:DWORD
	v_cmpx_gt_u32_e32 8, v14
; %bb.866:                              ;   in Loop: Header=BB206_803 Depth=1
	v_ffbh_u32_e32 v8, v6
	v_min_u32_e32 v8, 32, v8
	v_subrev_nc_u32_e32 v10, 28, v8
	v_sub_nc_u32_e32 v8, 29, v8
	v_lshlrev_b64 v[10:11], v10, v[6:7]
	v_and_b32_e32 v6, 7, v10
; %bb.867:                              ;   in Loop: Header=BB206_803 Depth=1
	s_or_b32 exec_lo, exec_lo, s19
	v_mov_b32_e32 v10, 24
	v_lshlrev_b32_e32 v6, 20, v6
	v_lshl_add_u32 v8, v8, 23, 0x3c000000
	v_lshlrev_b32_sdwa v10, v10, v13 dst_sel:DWORD dst_unused:UNUSED_PAD src0_sel:DWORD src1_sel:BYTE_3
	v_and_b32_e32 v10, 0x80000000, v10
	v_or3_b32 v11, v6, v10, v8
	v_mov_b32_e32 v10, v7
.LBB206_868:                            ;   in Loop: Header=BB206_803 Depth=1
	s_or_b32 exec_lo, exec_lo, s18
.LBB206_869:                            ;   in Loop: Header=BB206_803 Depth=1
	s_or_b32 exec_lo, exec_lo, s17
.LBB206_870:                            ;   in Loop: Header=BB206_803 Depth=1
	s_or_b32 exec_lo, exec_lo, s15
	v_or_b32_e32 v6, v18, v16
	v_or_b32_e32 v8, v17, v15
	;; [unrolled: 1-line block ×4, first 2 shown]
	v_mul_f32_e32 v115, v87, v6
	v_mul_f32_e32 v114, v87, v8
	;; [unrolled: 1-line block ×4, first 2 shown]
	s_and_saveexec_b32 s15, vcc_lo
	s_cbranch_execz .LBB206_872
; %bb.871:                              ;   in Loop: Header=BB206_803 Depth=1
	v_cmp_lt_i32_e64 s4, v100, v47
	v_cndmask_b32_e64 v114, 0, v114, s4
	v_cmp_lt_i32_e64 s4, v103, v47
	v_cndmask_b32_e64 v115, 0, v115, s4
	;; [unrolled: 2-line block ×4, first 2 shown]
.LBB206_872:                            ;   in Loop: Header=BB206_803 Depth=1
	s_or_b32 exec_lo, exec_lo, s15
	flat_load_dword v13, v[0:1] offset:256
	v_mov_b32_e32 v17, 0
	v_mov_b32_e32 v15, 0
	;; [unrolled: 1-line block ×4, first 2 shown]
	s_waitcnt vmcnt(0) lgkmcnt(0)
	v_cmp_ne_u16_sdwa s4, v13, v7 src0_sel:BYTE_0 src1_sel:DWORD
	s_and_saveexec_b32 s15, s4
	s_cbranch_execz .LBB206_880
; %bb.873:                              ;   in Loop: Header=BB206_803 Depth=1
	v_bfrev_b32_e32 v15, 1
	v_mov_b32_e32 v16, 0
	v_cmp_ne_u16_sdwa s4, v13, v70 src0_sel:BYTE_0 src1_sel:DWORD
	s_and_saveexec_b32 s17, s4
	s_cbranch_execz .LBB206_879
; %bb.874:                              ;   in Loop: Header=BB206_803 Depth=1
	v_mov_b32_e32 v15, 0x7f800001
	v_and_b32_e32 v10, 0x7f, v13
	v_mov_b32_e32 v16, 0
	s_mov_b32 s18, exec_lo
	v_cmpx_ne_u32_e32 0x7f, v10
	s_cbranch_execz .LBB206_878
; %bb.875:                              ;   in Loop: Header=BB206_803 Depth=1
	v_and_b32_e32 v6, 7, v13
	v_lshrrev_b32_e32 v8, 3, v10
	s_mov_b32 s19, exec_lo
	v_cmpx_gt_u32_e32 8, v10
; %bb.876:                              ;   in Loop: Header=BB206_803 Depth=1
	v_ffbh_u32_e32 v8, v6
	v_min_u32_e32 v8, 32, v8
	v_subrev_nc_u32_e32 v10, 28, v8
	v_sub_nc_u32_e32 v8, 29, v8
	v_lshlrev_b64 v[10:11], v10, v[6:7]
	v_and_b32_e32 v6, 7, v10
; %bb.877:                              ;   in Loop: Header=BB206_803 Depth=1
	s_or_b32 exec_lo, exec_lo, s19
	v_lshlrev_b32_e32 v10, 24, v13
	v_lshlrev_b32_e32 v6, 20, v6
	v_lshl_add_u32 v8, v8, 23, 0x3c000000
	v_and_b32_e32 v10, 0x80000000, v10
	v_or3_b32 v6, v6, v10, v8
	v_mov_b32_e32 v16, v7
	v_mov_b32_e32 v15, v6
.LBB206_878:                            ;   in Loop: Header=BB206_803 Depth=1
	s_or_b32 exec_lo, exec_lo, s18
.LBB206_879:                            ;   in Loop: Header=BB206_803 Depth=1
	s_or_b32 exec_lo, exec_lo, s17
.LBB206_880:                            ;   in Loop: Header=BB206_803 Depth=1
	s_or_b32 exec_lo, exec_lo, s15
	v_cmp_ne_u16_sdwa s4, v13, v7 src0_sel:BYTE_1 src1_sel:DWORD
	s_and_saveexec_b32 s15, s4
	s_cbranch_execz .LBB206_888
; %bb.881:                              ;   in Loop: Header=BB206_803 Depth=1
	v_mov_b32_e32 v8, v7
	v_mov_b32_e32 v18, v9
	v_cmp_ne_u16_sdwa s4, v13, v70 src0_sel:BYTE_1 src1_sel:DWORD
	v_mov_b32_e32 v17, v8
	s_and_saveexec_b32 s17, s4
	s_cbranch_execz .LBB206_887
; %bb.882:                              ;   in Loop: Header=BB206_803 Depth=1
	v_and_b32_sdwa v6, v27, v13 dst_sel:DWORD dst_unused:UNUSED_PAD src0_sel:DWORD src1_sel:BYTE_1
	v_mov_b32_e32 v11, v7
	v_mov_b32_e32 v18, v12
	s_mov_b32 s18, exec_lo
	v_and_b32_e32 v10, 0x7f, v6
	v_mov_b32_e32 v17, v11
	v_cmpx_ne_u32_e32 0x7f, v10
	s_cbranch_execz .LBB206_886
; %bb.883:                              ;   in Loop: Header=BB206_803 Depth=1
	v_and_b32_e32 v6, 7, v6
	v_lshrrev_b32_e32 v8, 3, v10
	s_mov_b32 s19, exec_lo
	v_cmpx_gt_u32_e32 8, v10
; %bb.884:                              ;   in Loop: Header=BB206_803 Depth=1
	v_ffbh_u32_e32 v8, v6
	v_min_u32_e32 v8, 32, v8
	v_subrev_nc_u32_e32 v10, 28, v8
	v_sub_nc_u32_e32 v8, 29, v8
	v_lshlrev_b64 v[10:11], v10, v[6:7]
	v_and_b32_e32 v6, 7, v10
; %bb.885:                              ;   in Loop: Header=BB206_803 Depth=1
	s_or_b32 exec_lo, exec_lo, s19
	v_lshlrev_b32_e32 v10, 16, v13
	v_lshlrev_b32_e32 v6, 20, v6
	v_lshl_add_u32 v8, v8, 23, 0x3c000000
	v_mov_b32_e32 v17, v7
	v_and_b32_e32 v10, 0x80000000, v10
	v_or3_b32 v18, v6, v10, v8
.LBB206_886:                            ;   in Loop: Header=BB206_803 Depth=1
	s_or_b32 exec_lo, exec_lo, s18
.LBB206_887:                            ;   in Loop: Header=BB206_803 Depth=1
	s_or_b32 exec_lo, exec_lo, s17
.LBB206_888:                            ;   in Loop: Header=BB206_803 Depth=1
	s_or_b32 exec_lo, exec_lo, s15
	v_mov_b32_e32 v10, 0
	v_mov_b32_e32 v21, 0
	v_and_b32_sdwa v6, v13, v80 dst_sel:DWORD dst_unused:UNUSED_PAD src0_sel:WORD_1 src1_sel:DWORD
	v_mov_b32_e32 v11, 0
	v_mov_b32_e32 v22, 0
	s_mov_b32 s15, exec_lo
	v_cmpx_ne_u16_e32 0, v6
	s_cbranch_execz .LBB206_896
; %bb.889:                              ;   in Loop: Header=BB206_803 Depth=1
	v_bfrev_b32_e32 v21, 1
	v_mov_b32_e32 v22, 0
	s_mov_b32 s17, exec_lo
	v_cmpx_ne_u16_e32 0x80, v6
	s_cbranch_execz .LBB206_895
; %bb.890:                              ;   in Loop: Header=BB206_803 Depth=1
	v_mov_b32_e32 v21, 0x7f800001
	v_bfe_u32 v14, v13, 16, 7
	v_mov_b32_e32 v22, 0
	s_mov_b32 s18, exec_lo
	v_cmpx_ne_u32_e32 0x7f, v14
	s_cbranch_execz .LBB206_894
; %bb.891:                              ;   in Loop: Header=BB206_803 Depth=1
	v_mov_b32_e32 v6, 7
	v_lshrrev_b32_e32 v8, 3, v14
	s_mov_b32 s19, exec_lo
	v_and_b32_sdwa v6, v13, v6 dst_sel:DWORD dst_unused:UNUSED_PAD src0_sel:WORD_1 src1_sel:DWORD
	v_cmpx_gt_u32_e32 8, v14
; %bb.892:                              ;   in Loop: Header=BB206_803 Depth=1
	v_ffbh_u32_e32 v8, v6
	v_min_u32_e32 v8, 32, v8
	v_subrev_nc_u32_e32 v14, 28, v8
	v_sub_nc_u32_e32 v8, 29, v8
	v_lshlrev_b64 v[21:22], v14, v[6:7]
	v_and_b32_e32 v6, 7, v21
; %bb.893:                              ;   in Loop: Header=BB206_803 Depth=1
	s_or_b32 exec_lo, exec_lo, s19
	v_mov_b32_e32 v14, 24
	v_lshlrev_b32_e32 v6, 20, v6
	v_lshl_add_u32 v8, v8, 23, 0x3c000000
	v_lshlrev_b32_sdwa v14, v14, v13 dst_sel:DWORD dst_unused:UNUSED_PAD src0_sel:DWORD src1_sel:WORD_1
	v_and_b32_e32 v14, 0x80000000, v14
	v_or3_b32 v6, v6, v14, v8
	v_mov_b32_e32 v22, v7
	v_mov_b32_e32 v21, v6
.LBB206_894:                            ;   in Loop: Header=BB206_803 Depth=1
	s_or_b32 exec_lo, exec_lo, s18
.LBB206_895:                            ;   in Loop: Header=BB206_803 Depth=1
	s_or_b32 exec_lo, exec_lo, s17
.LBB206_896:                            ;   in Loop: Header=BB206_803 Depth=1
	s_or_b32 exec_lo, exec_lo, s15
	s_mov_b32 s15, exec_lo
	v_cmpx_lt_u32_e32 0xffffff, v13
	s_cbranch_execz .LBB206_904
; %bb.897:                              ;   in Loop: Header=BB206_803 Depth=1
	v_mov_b32_e32 v8, v7
	v_mov_b32_e32 v11, v9
	v_cmp_ne_u32_sdwa s4, v13, v70 src0_sel:BYTE_3 src1_sel:DWORD
	v_mov_b32_e32 v10, v8
	s_and_saveexec_b32 s17, s4
	s_cbranch_execz .LBB206_903
; %bb.898:                              ;   in Loop: Header=BB206_803 Depth=1
	v_mov_b32_e32 v11, v7
	v_bfe_u32 v14, v13, 24, 7
	s_mov_b32 s18, exec_lo
	v_mov_b32_e32 v10, v11
	v_mov_b32_e32 v11, v12
	v_cmpx_ne_u32_e32 0x7f, v14
	s_cbranch_execz .LBB206_902
; %bb.899:                              ;   in Loop: Header=BB206_803 Depth=1
	v_mov_b32_e32 v6, 7
	v_lshrrev_b32_e32 v8, 3, v14
	s_mov_b32 s19, exec_lo
	v_and_b32_sdwa v6, v13, v6 dst_sel:DWORD dst_unused:UNUSED_PAD src0_sel:BYTE_3 src1_sel:DWORD
	v_cmpx_gt_u32_e32 8, v14
; %bb.900:                              ;   in Loop: Header=BB206_803 Depth=1
	v_ffbh_u32_e32 v8, v6
	v_min_u32_e32 v8, 32, v8
	v_subrev_nc_u32_e32 v10, 28, v8
	v_sub_nc_u32_e32 v8, 29, v8
	v_lshlrev_b64 v[10:11], v10, v[6:7]
	v_and_b32_e32 v6, 7, v10
; %bb.901:                              ;   in Loop: Header=BB206_803 Depth=1
	s_or_b32 exec_lo, exec_lo, s19
	v_mov_b32_e32 v10, 24
	v_lshlrev_b32_e32 v6, 20, v6
	v_lshl_add_u32 v8, v8, 23, 0x3c000000
	v_lshlrev_b32_sdwa v10, v10, v13 dst_sel:DWORD dst_unused:UNUSED_PAD src0_sel:DWORD src1_sel:BYTE_3
	v_and_b32_e32 v10, 0x80000000, v10
	v_or3_b32 v11, v6, v10, v8
	v_mov_b32_e32 v10, v7
.LBB206_902:                            ;   in Loop: Header=BB206_803 Depth=1
	s_or_b32 exec_lo, exec_lo, s18
.LBB206_903:                            ;   in Loop: Header=BB206_803 Depth=1
	s_or_b32 exec_lo, exec_lo, s17
.LBB206_904:                            ;   in Loop: Header=BB206_803 Depth=1
	s_or_b32 exec_lo, exec_lo, s15
	v_or_b32_e32 v6, v18, v16
	v_or_b32_e32 v8, v17, v15
	;; [unrolled: 1-line block ×4, first 2 shown]
	v_mul_f32_e32 v119, v87, v6
	v_mul_f32_e32 v118, v87, v8
	;; [unrolled: 1-line block ×4, first 2 shown]
	s_and_saveexec_b32 s15, vcc_lo
	s_cbranch_execz .LBB206_906
; %bb.905:                              ;   in Loop: Header=BB206_803 Depth=1
	v_cmp_lt_i32_e64 s4, v100, v47
	v_cndmask_b32_e64 v118, 0, v118, s4
	v_cmp_lt_i32_e64 s4, v103, v47
	v_cndmask_b32_e64 v119, 0, v119, s4
	;; [unrolled: 2-line block ×4, first 2 shown]
.LBB206_906:                            ;   in Loop: Header=BB206_803 Depth=1
	s_or_b32 exec_lo, exec_lo, s15
	flat_load_dword v13, v[0:1] offset:384
	v_mov_b32_e32 v17, 0
	v_mov_b32_e32 v15, 0
	;; [unrolled: 1-line block ×4, first 2 shown]
	s_waitcnt vmcnt(0) lgkmcnt(0)
	v_cmp_ne_u16_sdwa s4, v13, v7 src0_sel:BYTE_0 src1_sel:DWORD
	s_and_saveexec_b32 s15, s4
	s_cbranch_execz .LBB206_914
; %bb.907:                              ;   in Loop: Header=BB206_803 Depth=1
	v_bfrev_b32_e32 v15, 1
	v_mov_b32_e32 v16, 0
	v_cmp_ne_u16_sdwa s4, v13, v70 src0_sel:BYTE_0 src1_sel:DWORD
	s_and_saveexec_b32 s17, s4
	s_cbranch_execz .LBB206_913
; %bb.908:                              ;   in Loop: Header=BB206_803 Depth=1
	v_mov_b32_e32 v15, 0x7f800001
	v_and_b32_e32 v10, 0x7f, v13
	v_mov_b32_e32 v16, 0
	s_mov_b32 s18, exec_lo
	v_cmpx_ne_u32_e32 0x7f, v10
	s_cbranch_execz .LBB206_912
; %bb.909:                              ;   in Loop: Header=BB206_803 Depth=1
	v_and_b32_e32 v6, 7, v13
	v_lshrrev_b32_e32 v8, 3, v10
	s_mov_b32 s19, exec_lo
	v_cmpx_gt_u32_e32 8, v10
; %bb.910:                              ;   in Loop: Header=BB206_803 Depth=1
	v_ffbh_u32_e32 v8, v6
	v_min_u32_e32 v8, 32, v8
	v_subrev_nc_u32_e32 v10, 28, v8
	v_sub_nc_u32_e32 v8, 29, v8
	v_lshlrev_b64 v[10:11], v10, v[6:7]
	v_and_b32_e32 v6, 7, v10
; %bb.911:                              ;   in Loop: Header=BB206_803 Depth=1
	s_or_b32 exec_lo, exec_lo, s19
	v_lshlrev_b32_e32 v10, 24, v13
	v_lshlrev_b32_e32 v6, 20, v6
	v_lshl_add_u32 v8, v8, 23, 0x3c000000
	v_and_b32_e32 v10, 0x80000000, v10
	v_or3_b32 v6, v6, v10, v8
	v_mov_b32_e32 v16, v7
	v_mov_b32_e32 v15, v6
.LBB206_912:                            ;   in Loop: Header=BB206_803 Depth=1
	s_or_b32 exec_lo, exec_lo, s18
.LBB206_913:                            ;   in Loop: Header=BB206_803 Depth=1
	s_or_b32 exec_lo, exec_lo, s17
.LBB206_914:                            ;   in Loop: Header=BB206_803 Depth=1
	s_or_b32 exec_lo, exec_lo, s15
	v_cmp_ne_u16_sdwa s4, v13, v7 src0_sel:BYTE_1 src1_sel:DWORD
	s_and_saveexec_b32 s15, s4
	s_cbranch_execz .LBB206_922
; %bb.915:                              ;   in Loop: Header=BB206_803 Depth=1
	v_mov_b32_e32 v8, v7
	v_mov_b32_e32 v18, v9
	v_cmp_ne_u16_sdwa s4, v13, v70 src0_sel:BYTE_1 src1_sel:DWORD
	v_mov_b32_e32 v17, v8
	s_and_saveexec_b32 s17, s4
	s_cbranch_execz .LBB206_921
; %bb.916:                              ;   in Loop: Header=BB206_803 Depth=1
	v_and_b32_sdwa v6, v27, v13 dst_sel:DWORD dst_unused:UNUSED_PAD src0_sel:DWORD src1_sel:BYTE_1
	v_mov_b32_e32 v11, v7
	v_mov_b32_e32 v18, v12
	s_mov_b32 s18, exec_lo
	v_and_b32_e32 v10, 0x7f, v6
	v_mov_b32_e32 v17, v11
	v_cmpx_ne_u32_e32 0x7f, v10
	s_cbranch_execz .LBB206_920
; %bb.917:                              ;   in Loop: Header=BB206_803 Depth=1
	v_and_b32_e32 v6, 7, v6
	v_lshrrev_b32_e32 v8, 3, v10
	s_mov_b32 s19, exec_lo
	v_cmpx_gt_u32_e32 8, v10
; %bb.918:                              ;   in Loop: Header=BB206_803 Depth=1
	v_ffbh_u32_e32 v8, v6
	v_min_u32_e32 v8, 32, v8
	v_subrev_nc_u32_e32 v10, 28, v8
	v_sub_nc_u32_e32 v8, 29, v8
	v_lshlrev_b64 v[10:11], v10, v[6:7]
	v_and_b32_e32 v6, 7, v10
; %bb.919:                              ;   in Loop: Header=BB206_803 Depth=1
	s_or_b32 exec_lo, exec_lo, s19
	v_lshlrev_b32_e32 v10, 16, v13
	v_lshlrev_b32_e32 v6, 20, v6
	v_lshl_add_u32 v8, v8, 23, 0x3c000000
	v_mov_b32_e32 v17, v7
	v_and_b32_e32 v10, 0x80000000, v10
	v_or3_b32 v18, v6, v10, v8
.LBB206_920:                            ;   in Loop: Header=BB206_803 Depth=1
	s_or_b32 exec_lo, exec_lo, s18
.LBB206_921:                            ;   in Loop: Header=BB206_803 Depth=1
	s_or_b32 exec_lo, exec_lo, s17
.LBB206_922:                            ;   in Loop: Header=BB206_803 Depth=1
	s_or_b32 exec_lo, exec_lo, s15
	v_mov_b32_e32 v10, 0
	v_mov_b32_e32 v21, 0
	v_and_b32_sdwa v6, v13, v80 dst_sel:DWORD dst_unused:UNUSED_PAD src0_sel:WORD_1 src1_sel:DWORD
	v_mov_b32_e32 v11, 0
	v_mov_b32_e32 v22, 0
	s_mov_b32 s15, exec_lo
	v_cmpx_ne_u16_e32 0, v6
	s_cbranch_execz .LBB206_930
; %bb.923:                              ;   in Loop: Header=BB206_803 Depth=1
	v_bfrev_b32_e32 v21, 1
	v_mov_b32_e32 v22, 0
	s_mov_b32 s17, exec_lo
	v_cmpx_ne_u16_e32 0x80, v6
	s_cbranch_execz .LBB206_929
; %bb.924:                              ;   in Loop: Header=BB206_803 Depth=1
	v_mov_b32_e32 v21, 0x7f800001
	v_bfe_u32 v14, v13, 16, 7
	v_mov_b32_e32 v22, 0
	s_mov_b32 s18, exec_lo
	v_cmpx_ne_u32_e32 0x7f, v14
	s_cbranch_execz .LBB206_928
; %bb.925:                              ;   in Loop: Header=BB206_803 Depth=1
	v_mov_b32_e32 v6, 7
	v_lshrrev_b32_e32 v8, 3, v14
	s_mov_b32 s19, exec_lo
	v_and_b32_sdwa v6, v13, v6 dst_sel:DWORD dst_unused:UNUSED_PAD src0_sel:WORD_1 src1_sel:DWORD
	v_cmpx_gt_u32_e32 8, v14
; %bb.926:                              ;   in Loop: Header=BB206_803 Depth=1
	v_ffbh_u32_e32 v8, v6
	v_min_u32_e32 v8, 32, v8
	v_subrev_nc_u32_e32 v14, 28, v8
	v_sub_nc_u32_e32 v8, 29, v8
	v_lshlrev_b64 v[21:22], v14, v[6:7]
	v_and_b32_e32 v6, 7, v21
; %bb.927:                              ;   in Loop: Header=BB206_803 Depth=1
	s_or_b32 exec_lo, exec_lo, s19
	v_mov_b32_e32 v14, 24
	v_lshlrev_b32_e32 v6, 20, v6
	v_lshl_add_u32 v8, v8, 23, 0x3c000000
	v_lshlrev_b32_sdwa v14, v14, v13 dst_sel:DWORD dst_unused:UNUSED_PAD src0_sel:DWORD src1_sel:WORD_1
	v_and_b32_e32 v14, 0x80000000, v14
	v_or3_b32 v6, v6, v14, v8
	v_mov_b32_e32 v22, v7
	v_mov_b32_e32 v21, v6
.LBB206_928:                            ;   in Loop: Header=BB206_803 Depth=1
	s_or_b32 exec_lo, exec_lo, s18
.LBB206_929:                            ;   in Loop: Header=BB206_803 Depth=1
	s_or_b32 exec_lo, exec_lo, s17
.LBB206_930:                            ;   in Loop: Header=BB206_803 Depth=1
	s_or_b32 exec_lo, exec_lo, s15
	s_mov_b32 s15, exec_lo
	v_cmpx_lt_u32_e32 0xffffff, v13
	s_cbranch_execz .LBB206_938
; %bb.931:                              ;   in Loop: Header=BB206_803 Depth=1
	v_mov_b32_e32 v8, v7
	v_mov_b32_e32 v11, v9
	v_cmp_ne_u32_sdwa s4, v13, v70 src0_sel:BYTE_3 src1_sel:DWORD
	v_mov_b32_e32 v10, v8
	s_and_saveexec_b32 s17, s4
	s_cbranch_execz .LBB206_937
; %bb.932:                              ;   in Loop: Header=BB206_803 Depth=1
	v_mov_b32_e32 v11, v7
	v_bfe_u32 v14, v13, 24, 7
	s_mov_b32 s18, exec_lo
	v_mov_b32_e32 v10, v11
	v_mov_b32_e32 v11, v12
	v_cmpx_ne_u32_e32 0x7f, v14
	s_cbranch_execz .LBB206_936
; %bb.933:                              ;   in Loop: Header=BB206_803 Depth=1
	v_mov_b32_e32 v6, 7
	v_lshrrev_b32_e32 v8, 3, v14
	s_mov_b32 s19, exec_lo
	v_and_b32_sdwa v6, v13, v6 dst_sel:DWORD dst_unused:UNUSED_PAD src0_sel:BYTE_3 src1_sel:DWORD
	v_cmpx_gt_u32_e32 8, v14
; %bb.934:                              ;   in Loop: Header=BB206_803 Depth=1
	v_ffbh_u32_e32 v8, v6
	v_min_u32_e32 v8, 32, v8
	v_subrev_nc_u32_e32 v10, 28, v8
	v_sub_nc_u32_e32 v8, 29, v8
	v_lshlrev_b64 v[10:11], v10, v[6:7]
	v_and_b32_e32 v6, 7, v10
; %bb.935:                              ;   in Loop: Header=BB206_803 Depth=1
	s_or_b32 exec_lo, exec_lo, s19
	v_mov_b32_e32 v10, 24
	v_lshlrev_b32_e32 v6, 20, v6
	v_lshl_add_u32 v8, v8, 23, 0x3c000000
	v_lshlrev_b32_sdwa v10, v10, v13 dst_sel:DWORD dst_unused:UNUSED_PAD src0_sel:DWORD src1_sel:BYTE_3
	v_and_b32_e32 v10, 0x80000000, v10
	v_or3_b32 v11, v6, v10, v8
	v_mov_b32_e32 v10, v7
.LBB206_936:                            ;   in Loop: Header=BB206_803 Depth=1
	s_or_b32 exec_lo, exec_lo, s18
.LBB206_937:                            ;   in Loop: Header=BB206_803 Depth=1
	s_or_b32 exec_lo, exec_lo, s17
.LBB206_938:                            ;   in Loop: Header=BB206_803 Depth=1
	s_or_b32 exec_lo, exec_lo, s15
	v_or_b32_e32 v6, v18, v16
	v_or_b32_e32 v8, v17, v15
	;; [unrolled: 1-line block ×4, first 2 shown]
	v_mul_f32_e32 v43, v87, v6
	v_mul_f32_e32 v42, v87, v8
	;; [unrolled: 1-line block ×4, first 2 shown]
	s_and_saveexec_b32 s15, vcc_lo
	s_cbranch_execz .LBB206_940
; %bb.939:                              ;   in Loop: Header=BB206_803 Depth=1
	v_cmp_lt_i32_e64 s4, v100, v47
	v_cndmask_b32_e64 v42, 0, v42, s4
	v_cmp_lt_i32_e64 s4, v103, v47
	v_cndmask_b32_e64 v43, 0, v43, s4
	;; [unrolled: 2-line block ×4, first 2 shown]
.LBB206_940:                            ;   in Loop: Header=BB206_803 Depth=1
	s_or_b32 exec_lo, exec_lo, s15
	flat_load_dword v13, v[0:1] offset:512
	v_mov_b32_e32 v17, 0
	v_mov_b32_e32 v15, 0
	;; [unrolled: 1-line block ×4, first 2 shown]
	s_waitcnt vmcnt(0) lgkmcnt(0)
	v_cmp_ne_u16_sdwa s4, v13, v7 src0_sel:BYTE_0 src1_sel:DWORD
	s_and_saveexec_b32 s15, s4
	s_cbranch_execz .LBB206_948
; %bb.941:                              ;   in Loop: Header=BB206_803 Depth=1
	v_bfrev_b32_e32 v15, 1
	v_mov_b32_e32 v16, 0
	v_cmp_ne_u16_sdwa s4, v13, v70 src0_sel:BYTE_0 src1_sel:DWORD
	s_and_saveexec_b32 s17, s4
	s_cbranch_execz .LBB206_947
; %bb.942:                              ;   in Loop: Header=BB206_803 Depth=1
	v_mov_b32_e32 v15, 0x7f800001
	v_and_b32_e32 v10, 0x7f, v13
	v_mov_b32_e32 v16, 0
	s_mov_b32 s18, exec_lo
	v_cmpx_ne_u32_e32 0x7f, v10
	s_cbranch_execz .LBB206_946
; %bb.943:                              ;   in Loop: Header=BB206_803 Depth=1
	v_and_b32_e32 v6, 7, v13
	v_lshrrev_b32_e32 v8, 3, v10
	s_mov_b32 s19, exec_lo
	v_cmpx_gt_u32_e32 8, v10
; %bb.944:                              ;   in Loop: Header=BB206_803 Depth=1
	v_ffbh_u32_e32 v8, v6
	v_min_u32_e32 v8, 32, v8
	v_subrev_nc_u32_e32 v10, 28, v8
	v_sub_nc_u32_e32 v8, 29, v8
	v_lshlrev_b64 v[10:11], v10, v[6:7]
	v_and_b32_e32 v6, 7, v10
; %bb.945:                              ;   in Loop: Header=BB206_803 Depth=1
	s_or_b32 exec_lo, exec_lo, s19
	v_lshlrev_b32_e32 v10, 24, v13
	v_lshlrev_b32_e32 v6, 20, v6
	v_lshl_add_u32 v8, v8, 23, 0x3c000000
	v_and_b32_e32 v10, 0x80000000, v10
	v_or3_b32 v6, v6, v10, v8
	v_mov_b32_e32 v16, v7
	v_mov_b32_e32 v15, v6
.LBB206_946:                            ;   in Loop: Header=BB206_803 Depth=1
	s_or_b32 exec_lo, exec_lo, s18
.LBB206_947:                            ;   in Loop: Header=BB206_803 Depth=1
	s_or_b32 exec_lo, exec_lo, s17
.LBB206_948:                            ;   in Loop: Header=BB206_803 Depth=1
	s_or_b32 exec_lo, exec_lo, s15
	v_cmp_ne_u16_sdwa s4, v13, v7 src0_sel:BYTE_1 src1_sel:DWORD
	s_and_saveexec_b32 s15, s4
	s_cbranch_execz .LBB206_956
; %bb.949:                              ;   in Loop: Header=BB206_803 Depth=1
	v_mov_b32_e32 v8, v7
	v_mov_b32_e32 v18, v9
	v_cmp_ne_u16_sdwa s4, v13, v70 src0_sel:BYTE_1 src1_sel:DWORD
	v_mov_b32_e32 v17, v8
	s_and_saveexec_b32 s17, s4
	s_cbranch_execz .LBB206_955
; %bb.950:                              ;   in Loop: Header=BB206_803 Depth=1
	v_and_b32_sdwa v6, v27, v13 dst_sel:DWORD dst_unused:UNUSED_PAD src0_sel:DWORD src1_sel:BYTE_1
	v_mov_b32_e32 v11, v7
	v_mov_b32_e32 v18, v12
	s_mov_b32 s18, exec_lo
	v_and_b32_e32 v10, 0x7f, v6
	v_mov_b32_e32 v17, v11
	v_cmpx_ne_u32_e32 0x7f, v10
	s_cbranch_execz .LBB206_954
; %bb.951:                              ;   in Loop: Header=BB206_803 Depth=1
	v_and_b32_e32 v6, 7, v6
	v_lshrrev_b32_e32 v8, 3, v10
	s_mov_b32 s19, exec_lo
	v_cmpx_gt_u32_e32 8, v10
; %bb.952:                              ;   in Loop: Header=BB206_803 Depth=1
	v_ffbh_u32_e32 v8, v6
	v_min_u32_e32 v8, 32, v8
	v_subrev_nc_u32_e32 v10, 28, v8
	v_sub_nc_u32_e32 v8, 29, v8
	v_lshlrev_b64 v[10:11], v10, v[6:7]
	v_and_b32_e32 v6, 7, v10
; %bb.953:                              ;   in Loop: Header=BB206_803 Depth=1
	s_or_b32 exec_lo, exec_lo, s19
	v_lshlrev_b32_e32 v10, 16, v13
	v_lshlrev_b32_e32 v6, 20, v6
	v_lshl_add_u32 v8, v8, 23, 0x3c000000
	v_mov_b32_e32 v17, v7
	v_and_b32_e32 v10, 0x80000000, v10
	v_or3_b32 v18, v6, v10, v8
.LBB206_954:                            ;   in Loop: Header=BB206_803 Depth=1
	s_or_b32 exec_lo, exec_lo, s18
.LBB206_955:                            ;   in Loop: Header=BB206_803 Depth=1
	s_or_b32 exec_lo, exec_lo, s17
.LBB206_956:                            ;   in Loop: Header=BB206_803 Depth=1
	s_or_b32 exec_lo, exec_lo, s15
	v_mov_b32_e32 v10, 0
	v_mov_b32_e32 v21, 0
	v_and_b32_sdwa v6, v13, v80 dst_sel:DWORD dst_unused:UNUSED_PAD src0_sel:WORD_1 src1_sel:DWORD
	v_mov_b32_e32 v11, 0
	v_mov_b32_e32 v22, 0
	s_mov_b32 s15, exec_lo
	v_cmpx_ne_u16_e32 0, v6
	s_cbranch_execz .LBB206_964
; %bb.957:                              ;   in Loop: Header=BB206_803 Depth=1
	v_bfrev_b32_e32 v21, 1
	v_mov_b32_e32 v22, 0
	s_mov_b32 s17, exec_lo
	v_cmpx_ne_u16_e32 0x80, v6
	s_cbranch_execz .LBB206_963
; %bb.958:                              ;   in Loop: Header=BB206_803 Depth=1
	v_mov_b32_e32 v21, 0x7f800001
	v_bfe_u32 v14, v13, 16, 7
	v_mov_b32_e32 v22, 0
	s_mov_b32 s18, exec_lo
	v_cmpx_ne_u32_e32 0x7f, v14
	s_cbranch_execz .LBB206_962
; %bb.959:                              ;   in Loop: Header=BB206_803 Depth=1
	v_mov_b32_e32 v6, 7
	v_lshrrev_b32_e32 v8, 3, v14
	s_mov_b32 s19, exec_lo
	v_and_b32_sdwa v6, v13, v6 dst_sel:DWORD dst_unused:UNUSED_PAD src0_sel:WORD_1 src1_sel:DWORD
	v_cmpx_gt_u32_e32 8, v14
; %bb.960:                              ;   in Loop: Header=BB206_803 Depth=1
	v_ffbh_u32_e32 v8, v6
	v_min_u32_e32 v8, 32, v8
	v_subrev_nc_u32_e32 v14, 28, v8
	v_sub_nc_u32_e32 v8, 29, v8
	v_lshlrev_b64 v[21:22], v14, v[6:7]
	v_and_b32_e32 v6, 7, v21
; %bb.961:                              ;   in Loop: Header=BB206_803 Depth=1
	s_or_b32 exec_lo, exec_lo, s19
	v_mov_b32_e32 v14, 24
	v_lshlrev_b32_e32 v6, 20, v6
	v_lshl_add_u32 v8, v8, 23, 0x3c000000
	v_lshlrev_b32_sdwa v14, v14, v13 dst_sel:DWORD dst_unused:UNUSED_PAD src0_sel:DWORD src1_sel:WORD_1
	v_and_b32_e32 v14, 0x80000000, v14
	v_or3_b32 v6, v6, v14, v8
	v_mov_b32_e32 v22, v7
	v_mov_b32_e32 v21, v6
.LBB206_962:                            ;   in Loop: Header=BB206_803 Depth=1
	s_or_b32 exec_lo, exec_lo, s18
.LBB206_963:                            ;   in Loop: Header=BB206_803 Depth=1
	s_or_b32 exec_lo, exec_lo, s17
.LBB206_964:                            ;   in Loop: Header=BB206_803 Depth=1
	s_or_b32 exec_lo, exec_lo, s15
	s_mov_b32 s15, exec_lo
	v_cmpx_lt_u32_e32 0xffffff, v13
	s_cbranch_execz .LBB206_972
; %bb.965:                              ;   in Loop: Header=BB206_803 Depth=1
	v_mov_b32_e32 v8, v7
	v_mov_b32_e32 v11, v9
	v_cmp_ne_u32_sdwa s4, v13, v70 src0_sel:BYTE_3 src1_sel:DWORD
	v_mov_b32_e32 v10, v8
	s_and_saveexec_b32 s17, s4
	s_cbranch_execz .LBB206_971
; %bb.966:                              ;   in Loop: Header=BB206_803 Depth=1
	v_mov_b32_e32 v11, v7
	v_bfe_u32 v14, v13, 24, 7
	s_mov_b32 s18, exec_lo
	v_mov_b32_e32 v10, v11
	v_mov_b32_e32 v11, v12
	v_cmpx_ne_u32_e32 0x7f, v14
	s_cbranch_execz .LBB206_970
; %bb.967:                              ;   in Loop: Header=BB206_803 Depth=1
	v_mov_b32_e32 v6, 7
	v_lshrrev_b32_e32 v8, 3, v14
	s_mov_b32 s19, exec_lo
	v_and_b32_sdwa v6, v13, v6 dst_sel:DWORD dst_unused:UNUSED_PAD src0_sel:BYTE_3 src1_sel:DWORD
	v_cmpx_gt_u32_e32 8, v14
; %bb.968:                              ;   in Loop: Header=BB206_803 Depth=1
	v_ffbh_u32_e32 v8, v6
	v_min_u32_e32 v8, 32, v8
	v_subrev_nc_u32_e32 v10, 28, v8
	v_sub_nc_u32_e32 v8, 29, v8
	v_lshlrev_b64 v[10:11], v10, v[6:7]
	v_and_b32_e32 v6, 7, v10
; %bb.969:                              ;   in Loop: Header=BB206_803 Depth=1
	s_or_b32 exec_lo, exec_lo, s19
	v_mov_b32_e32 v10, 24
	v_lshlrev_b32_e32 v6, 20, v6
	v_lshl_add_u32 v8, v8, 23, 0x3c000000
	v_lshlrev_b32_sdwa v10, v10, v13 dst_sel:DWORD dst_unused:UNUSED_PAD src0_sel:DWORD src1_sel:BYTE_3
	v_and_b32_e32 v10, 0x80000000, v10
	v_or3_b32 v11, v6, v10, v8
	v_mov_b32_e32 v10, v7
.LBB206_970:                            ;   in Loop: Header=BB206_803 Depth=1
	s_or_b32 exec_lo, exec_lo, s18
.LBB206_971:                            ;   in Loop: Header=BB206_803 Depth=1
	s_or_b32 exec_lo, exec_lo, s17
.LBB206_972:                            ;   in Loop: Header=BB206_803 Depth=1
	s_or_b32 exec_lo, exec_lo, s15
	v_or_b32_e32 v6, v18, v16
	v_or_b32_e32 v8, v17, v15
	;; [unrolled: 1-line block ×4, first 2 shown]
	v_mul_f32_e32 v56, v87, v6
	v_mul_f32_e32 v46, v87, v8
	;; [unrolled: 1-line block ×4, first 2 shown]
	s_and_saveexec_b32 s15, vcc_lo
	s_cbranch_execz .LBB206_974
; %bb.973:                              ;   in Loop: Header=BB206_803 Depth=1
	v_cmp_lt_i32_e64 s4, v100, v47
	v_cndmask_b32_e64 v46, 0, v46, s4
	v_cmp_lt_i32_e64 s4, v103, v47
	v_cndmask_b32_e64 v56, 0, v56, s4
	;; [unrolled: 2-line block ×4, first 2 shown]
.LBB206_974:                            ;   in Loop: Header=BB206_803 Depth=1
	s_or_b32 exec_lo, exec_lo, s15
	flat_load_dword v13, v[0:1] offset:640
	v_mov_b32_e32 v17, 0
	v_mov_b32_e32 v15, 0
	;; [unrolled: 1-line block ×4, first 2 shown]
	s_waitcnt vmcnt(0) lgkmcnt(0)
	v_cmp_ne_u16_sdwa s4, v13, v7 src0_sel:BYTE_0 src1_sel:DWORD
	s_and_saveexec_b32 s15, s4
	s_cbranch_execz .LBB206_982
; %bb.975:                              ;   in Loop: Header=BB206_803 Depth=1
	v_bfrev_b32_e32 v15, 1
	v_mov_b32_e32 v16, 0
	v_cmp_ne_u16_sdwa s4, v13, v70 src0_sel:BYTE_0 src1_sel:DWORD
	s_and_saveexec_b32 s17, s4
	s_cbranch_execz .LBB206_981
; %bb.976:                              ;   in Loop: Header=BB206_803 Depth=1
	v_mov_b32_e32 v15, 0x7f800001
	v_and_b32_e32 v10, 0x7f, v13
	v_mov_b32_e32 v16, 0
	s_mov_b32 s18, exec_lo
	v_cmpx_ne_u32_e32 0x7f, v10
	s_cbranch_execz .LBB206_980
; %bb.977:                              ;   in Loop: Header=BB206_803 Depth=1
	v_and_b32_e32 v6, 7, v13
	v_lshrrev_b32_e32 v8, 3, v10
	s_mov_b32 s19, exec_lo
	v_cmpx_gt_u32_e32 8, v10
; %bb.978:                              ;   in Loop: Header=BB206_803 Depth=1
	v_ffbh_u32_e32 v8, v6
	v_min_u32_e32 v8, 32, v8
	v_subrev_nc_u32_e32 v10, 28, v8
	v_sub_nc_u32_e32 v8, 29, v8
	v_lshlrev_b64 v[10:11], v10, v[6:7]
	v_and_b32_e32 v6, 7, v10
; %bb.979:                              ;   in Loop: Header=BB206_803 Depth=1
	s_or_b32 exec_lo, exec_lo, s19
	v_lshlrev_b32_e32 v10, 24, v13
	v_lshlrev_b32_e32 v6, 20, v6
	v_lshl_add_u32 v8, v8, 23, 0x3c000000
	v_and_b32_e32 v10, 0x80000000, v10
	v_or3_b32 v6, v6, v10, v8
	v_mov_b32_e32 v16, v7
	v_mov_b32_e32 v15, v6
.LBB206_980:                            ;   in Loop: Header=BB206_803 Depth=1
	s_or_b32 exec_lo, exec_lo, s18
.LBB206_981:                            ;   in Loop: Header=BB206_803 Depth=1
	s_or_b32 exec_lo, exec_lo, s17
.LBB206_982:                            ;   in Loop: Header=BB206_803 Depth=1
	s_or_b32 exec_lo, exec_lo, s15
	v_cmp_ne_u16_sdwa s4, v13, v7 src0_sel:BYTE_1 src1_sel:DWORD
	s_and_saveexec_b32 s15, s4
	s_cbranch_execz .LBB206_990
; %bb.983:                              ;   in Loop: Header=BB206_803 Depth=1
	v_mov_b32_e32 v8, v7
	v_mov_b32_e32 v18, v9
	v_cmp_ne_u16_sdwa s4, v13, v70 src0_sel:BYTE_1 src1_sel:DWORD
	v_mov_b32_e32 v17, v8
	s_and_saveexec_b32 s17, s4
	s_cbranch_execz .LBB206_989
; %bb.984:                              ;   in Loop: Header=BB206_803 Depth=1
	v_and_b32_sdwa v6, v27, v13 dst_sel:DWORD dst_unused:UNUSED_PAD src0_sel:DWORD src1_sel:BYTE_1
	v_mov_b32_e32 v11, v7
	v_mov_b32_e32 v18, v12
	s_mov_b32 s18, exec_lo
	v_and_b32_e32 v10, 0x7f, v6
	v_mov_b32_e32 v17, v11
	v_cmpx_ne_u32_e32 0x7f, v10
	s_cbranch_execz .LBB206_988
; %bb.985:                              ;   in Loop: Header=BB206_803 Depth=1
	v_and_b32_e32 v6, 7, v6
	v_lshrrev_b32_e32 v8, 3, v10
	s_mov_b32 s19, exec_lo
	v_cmpx_gt_u32_e32 8, v10
; %bb.986:                              ;   in Loop: Header=BB206_803 Depth=1
	v_ffbh_u32_e32 v8, v6
	v_min_u32_e32 v8, 32, v8
	v_subrev_nc_u32_e32 v10, 28, v8
	v_sub_nc_u32_e32 v8, 29, v8
	v_lshlrev_b64 v[10:11], v10, v[6:7]
	v_and_b32_e32 v6, 7, v10
; %bb.987:                              ;   in Loop: Header=BB206_803 Depth=1
	s_or_b32 exec_lo, exec_lo, s19
	v_lshlrev_b32_e32 v10, 16, v13
	v_lshlrev_b32_e32 v6, 20, v6
	v_lshl_add_u32 v8, v8, 23, 0x3c000000
	v_mov_b32_e32 v17, v7
	v_and_b32_e32 v10, 0x80000000, v10
	v_or3_b32 v18, v6, v10, v8
.LBB206_988:                            ;   in Loop: Header=BB206_803 Depth=1
	s_or_b32 exec_lo, exec_lo, s18
.LBB206_989:                            ;   in Loop: Header=BB206_803 Depth=1
	s_or_b32 exec_lo, exec_lo, s17
.LBB206_990:                            ;   in Loop: Header=BB206_803 Depth=1
	s_or_b32 exec_lo, exec_lo, s15
	v_mov_b32_e32 v10, 0
	v_mov_b32_e32 v21, 0
	v_and_b32_sdwa v6, v13, v80 dst_sel:DWORD dst_unused:UNUSED_PAD src0_sel:WORD_1 src1_sel:DWORD
	v_mov_b32_e32 v11, 0
	v_mov_b32_e32 v22, 0
	s_mov_b32 s15, exec_lo
	v_cmpx_ne_u16_e32 0, v6
	s_cbranch_execz .LBB206_998
; %bb.991:                              ;   in Loop: Header=BB206_803 Depth=1
	v_bfrev_b32_e32 v21, 1
	v_mov_b32_e32 v22, 0
	s_mov_b32 s17, exec_lo
	v_cmpx_ne_u16_e32 0x80, v6
	s_cbranch_execz .LBB206_997
; %bb.992:                              ;   in Loop: Header=BB206_803 Depth=1
	v_mov_b32_e32 v21, 0x7f800001
	v_bfe_u32 v14, v13, 16, 7
	v_mov_b32_e32 v22, 0
	s_mov_b32 s18, exec_lo
	v_cmpx_ne_u32_e32 0x7f, v14
	s_cbranch_execz .LBB206_996
; %bb.993:                              ;   in Loop: Header=BB206_803 Depth=1
	v_mov_b32_e32 v6, 7
	v_lshrrev_b32_e32 v8, 3, v14
	s_mov_b32 s19, exec_lo
	v_and_b32_sdwa v6, v13, v6 dst_sel:DWORD dst_unused:UNUSED_PAD src0_sel:WORD_1 src1_sel:DWORD
	v_cmpx_gt_u32_e32 8, v14
; %bb.994:                              ;   in Loop: Header=BB206_803 Depth=1
	v_ffbh_u32_e32 v8, v6
	v_min_u32_e32 v8, 32, v8
	v_subrev_nc_u32_e32 v14, 28, v8
	v_sub_nc_u32_e32 v8, 29, v8
	v_lshlrev_b64 v[21:22], v14, v[6:7]
	v_and_b32_e32 v6, 7, v21
; %bb.995:                              ;   in Loop: Header=BB206_803 Depth=1
	s_or_b32 exec_lo, exec_lo, s19
	v_mov_b32_e32 v14, 24
	v_lshlrev_b32_e32 v6, 20, v6
	v_lshl_add_u32 v8, v8, 23, 0x3c000000
	v_lshlrev_b32_sdwa v14, v14, v13 dst_sel:DWORD dst_unused:UNUSED_PAD src0_sel:DWORD src1_sel:WORD_1
	v_and_b32_e32 v14, 0x80000000, v14
	v_or3_b32 v6, v6, v14, v8
	v_mov_b32_e32 v22, v7
	v_mov_b32_e32 v21, v6
.LBB206_996:                            ;   in Loop: Header=BB206_803 Depth=1
	s_or_b32 exec_lo, exec_lo, s18
.LBB206_997:                            ;   in Loop: Header=BB206_803 Depth=1
	s_or_b32 exec_lo, exec_lo, s17
.LBB206_998:                            ;   in Loop: Header=BB206_803 Depth=1
	s_or_b32 exec_lo, exec_lo, s15
	s_mov_b32 s15, exec_lo
	v_cmpx_lt_u32_e32 0xffffff, v13
	s_cbranch_execz .LBB206_1006
; %bb.999:                              ;   in Loop: Header=BB206_803 Depth=1
	v_mov_b32_e32 v8, v7
	v_mov_b32_e32 v11, v9
	v_cmp_ne_u32_sdwa s4, v13, v70 src0_sel:BYTE_3 src1_sel:DWORD
	v_mov_b32_e32 v10, v8
	s_and_saveexec_b32 s17, s4
	s_cbranch_execz .LBB206_1005
; %bb.1000:                             ;   in Loop: Header=BB206_803 Depth=1
	v_mov_b32_e32 v11, v7
	v_bfe_u32 v14, v13, 24, 7
	s_mov_b32 s18, exec_lo
	v_mov_b32_e32 v10, v11
	v_mov_b32_e32 v11, v12
	v_cmpx_ne_u32_e32 0x7f, v14
	s_cbranch_execz .LBB206_1004
; %bb.1001:                             ;   in Loop: Header=BB206_803 Depth=1
	v_mov_b32_e32 v6, 7
	v_lshrrev_b32_e32 v8, 3, v14
	s_mov_b32 s19, exec_lo
	v_and_b32_sdwa v6, v13, v6 dst_sel:DWORD dst_unused:UNUSED_PAD src0_sel:BYTE_3 src1_sel:DWORD
	v_cmpx_gt_u32_e32 8, v14
; %bb.1002:                             ;   in Loop: Header=BB206_803 Depth=1
	v_ffbh_u32_e32 v8, v6
	v_min_u32_e32 v8, 32, v8
	v_subrev_nc_u32_e32 v10, 28, v8
	v_sub_nc_u32_e32 v8, 29, v8
	v_lshlrev_b64 v[10:11], v10, v[6:7]
	v_and_b32_e32 v6, 7, v10
; %bb.1003:                             ;   in Loop: Header=BB206_803 Depth=1
	s_or_b32 exec_lo, exec_lo, s19
	v_mov_b32_e32 v10, 24
	v_lshlrev_b32_e32 v6, 20, v6
	v_lshl_add_u32 v8, v8, 23, 0x3c000000
	v_lshlrev_b32_sdwa v10, v10, v13 dst_sel:DWORD dst_unused:UNUSED_PAD src0_sel:DWORD src1_sel:BYTE_3
	v_and_b32_e32 v10, 0x80000000, v10
	v_or3_b32 v11, v6, v10, v8
	v_mov_b32_e32 v10, v7
.LBB206_1004:                           ;   in Loop: Header=BB206_803 Depth=1
	s_or_b32 exec_lo, exec_lo, s18
.LBB206_1005:                           ;   in Loop: Header=BB206_803 Depth=1
	s_or_b32 exec_lo, exec_lo, s17
.LBB206_1006:                           ;   in Loop: Header=BB206_803 Depth=1
	s_or_b32 exec_lo, exec_lo, s15
	v_or_b32_e32 v6, v18, v16
	v_or_b32_e32 v8, v17, v15
	;; [unrolled: 1-line block ×4, first 2 shown]
	v_mul_f32_e32 v60, v87, v6
	v_mul_f32_e32 v59, v87, v8
	;; [unrolled: 1-line block ×4, first 2 shown]
	s_and_saveexec_b32 s15, vcc_lo
	s_cbranch_execz .LBB206_1008
; %bb.1007:                             ;   in Loop: Header=BB206_803 Depth=1
	v_cmp_lt_i32_e64 s4, v100, v47
	v_cndmask_b32_e64 v59, 0, v59, s4
	v_cmp_lt_i32_e64 s4, v103, v47
	v_cndmask_b32_e64 v60, 0, v60, s4
	;; [unrolled: 2-line block ×4, first 2 shown]
.LBB206_1008:                           ;   in Loop: Header=BB206_803 Depth=1
	s_or_b32 exec_lo, exec_lo, s15
	flat_load_dword v13, v[0:1] offset:768
	v_mov_b32_e32 v17, 0
	v_mov_b32_e32 v15, 0
	;; [unrolled: 1-line block ×4, first 2 shown]
	s_waitcnt vmcnt(0) lgkmcnt(0)
	v_cmp_ne_u16_sdwa s4, v13, v7 src0_sel:BYTE_0 src1_sel:DWORD
	s_and_saveexec_b32 s15, s4
	s_cbranch_execz .LBB206_1016
; %bb.1009:                             ;   in Loop: Header=BB206_803 Depth=1
	v_bfrev_b32_e32 v15, 1
	v_mov_b32_e32 v16, 0
	v_cmp_ne_u16_sdwa s4, v13, v70 src0_sel:BYTE_0 src1_sel:DWORD
	s_and_saveexec_b32 s17, s4
	s_cbranch_execz .LBB206_1015
; %bb.1010:                             ;   in Loop: Header=BB206_803 Depth=1
	v_mov_b32_e32 v15, 0x7f800001
	v_and_b32_e32 v10, 0x7f, v13
	v_mov_b32_e32 v16, 0
	s_mov_b32 s18, exec_lo
	v_cmpx_ne_u32_e32 0x7f, v10
	s_cbranch_execz .LBB206_1014
; %bb.1011:                             ;   in Loop: Header=BB206_803 Depth=1
	v_and_b32_e32 v6, 7, v13
	v_lshrrev_b32_e32 v8, 3, v10
	s_mov_b32 s19, exec_lo
	v_cmpx_gt_u32_e32 8, v10
; %bb.1012:                             ;   in Loop: Header=BB206_803 Depth=1
	v_ffbh_u32_e32 v8, v6
	v_min_u32_e32 v8, 32, v8
	v_subrev_nc_u32_e32 v10, 28, v8
	v_sub_nc_u32_e32 v8, 29, v8
	v_lshlrev_b64 v[10:11], v10, v[6:7]
	v_and_b32_e32 v6, 7, v10
; %bb.1013:                             ;   in Loop: Header=BB206_803 Depth=1
	s_or_b32 exec_lo, exec_lo, s19
	v_lshlrev_b32_e32 v10, 24, v13
	v_lshlrev_b32_e32 v6, 20, v6
	v_lshl_add_u32 v8, v8, 23, 0x3c000000
	v_and_b32_e32 v10, 0x80000000, v10
	v_or3_b32 v6, v6, v10, v8
	v_mov_b32_e32 v16, v7
	v_mov_b32_e32 v15, v6
.LBB206_1014:                           ;   in Loop: Header=BB206_803 Depth=1
	s_or_b32 exec_lo, exec_lo, s18
.LBB206_1015:                           ;   in Loop: Header=BB206_803 Depth=1
	s_or_b32 exec_lo, exec_lo, s17
.LBB206_1016:                           ;   in Loop: Header=BB206_803 Depth=1
	s_or_b32 exec_lo, exec_lo, s15
	v_cmp_ne_u16_sdwa s4, v13, v7 src0_sel:BYTE_1 src1_sel:DWORD
	s_and_saveexec_b32 s15, s4
	s_cbranch_execz .LBB206_1024
; %bb.1017:                             ;   in Loop: Header=BB206_803 Depth=1
	v_mov_b32_e32 v8, v7
	v_mov_b32_e32 v18, v9
	v_cmp_ne_u16_sdwa s4, v13, v70 src0_sel:BYTE_1 src1_sel:DWORD
	v_mov_b32_e32 v17, v8
	s_and_saveexec_b32 s17, s4
	s_cbranch_execz .LBB206_1023
; %bb.1018:                             ;   in Loop: Header=BB206_803 Depth=1
	v_and_b32_sdwa v6, v27, v13 dst_sel:DWORD dst_unused:UNUSED_PAD src0_sel:DWORD src1_sel:BYTE_1
	v_mov_b32_e32 v11, v7
	v_mov_b32_e32 v18, v12
	s_mov_b32 s18, exec_lo
	v_and_b32_e32 v10, 0x7f, v6
	v_mov_b32_e32 v17, v11
	v_cmpx_ne_u32_e32 0x7f, v10
	s_cbranch_execz .LBB206_1022
; %bb.1019:                             ;   in Loop: Header=BB206_803 Depth=1
	v_and_b32_e32 v6, 7, v6
	v_lshrrev_b32_e32 v8, 3, v10
	s_mov_b32 s19, exec_lo
	v_cmpx_gt_u32_e32 8, v10
; %bb.1020:                             ;   in Loop: Header=BB206_803 Depth=1
	v_ffbh_u32_e32 v8, v6
	v_min_u32_e32 v8, 32, v8
	v_subrev_nc_u32_e32 v10, 28, v8
	v_sub_nc_u32_e32 v8, 29, v8
	v_lshlrev_b64 v[10:11], v10, v[6:7]
	v_and_b32_e32 v6, 7, v10
; %bb.1021:                             ;   in Loop: Header=BB206_803 Depth=1
	s_or_b32 exec_lo, exec_lo, s19
	v_lshlrev_b32_e32 v10, 16, v13
	v_lshlrev_b32_e32 v6, 20, v6
	v_lshl_add_u32 v8, v8, 23, 0x3c000000
	v_mov_b32_e32 v17, v7
	v_and_b32_e32 v10, 0x80000000, v10
	v_or3_b32 v18, v6, v10, v8
.LBB206_1022:                           ;   in Loop: Header=BB206_803 Depth=1
	s_or_b32 exec_lo, exec_lo, s18
.LBB206_1023:                           ;   in Loop: Header=BB206_803 Depth=1
	s_or_b32 exec_lo, exec_lo, s17
.LBB206_1024:                           ;   in Loop: Header=BB206_803 Depth=1
	s_or_b32 exec_lo, exec_lo, s15
	v_mov_b32_e32 v10, 0
	v_mov_b32_e32 v21, 0
	v_and_b32_sdwa v6, v13, v80 dst_sel:DWORD dst_unused:UNUSED_PAD src0_sel:WORD_1 src1_sel:DWORD
	v_mov_b32_e32 v11, 0
	v_mov_b32_e32 v22, 0
	s_mov_b32 s15, exec_lo
	v_cmpx_ne_u16_e32 0, v6
	s_cbranch_execz .LBB206_1032
; %bb.1025:                             ;   in Loop: Header=BB206_803 Depth=1
	v_bfrev_b32_e32 v21, 1
	v_mov_b32_e32 v22, 0
	s_mov_b32 s17, exec_lo
	v_cmpx_ne_u16_e32 0x80, v6
	s_cbranch_execz .LBB206_1031
; %bb.1026:                             ;   in Loop: Header=BB206_803 Depth=1
	v_mov_b32_e32 v21, 0x7f800001
	v_bfe_u32 v14, v13, 16, 7
	v_mov_b32_e32 v22, 0
	s_mov_b32 s18, exec_lo
	v_cmpx_ne_u32_e32 0x7f, v14
	s_cbranch_execz .LBB206_1030
; %bb.1027:                             ;   in Loop: Header=BB206_803 Depth=1
	v_mov_b32_e32 v6, 7
	v_lshrrev_b32_e32 v8, 3, v14
	s_mov_b32 s19, exec_lo
	v_and_b32_sdwa v6, v13, v6 dst_sel:DWORD dst_unused:UNUSED_PAD src0_sel:WORD_1 src1_sel:DWORD
	v_cmpx_gt_u32_e32 8, v14
; %bb.1028:                             ;   in Loop: Header=BB206_803 Depth=1
	v_ffbh_u32_e32 v8, v6
	v_min_u32_e32 v8, 32, v8
	v_subrev_nc_u32_e32 v14, 28, v8
	v_sub_nc_u32_e32 v8, 29, v8
	v_lshlrev_b64 v[21:22], v14, v[6:7]
	v_and_b32_e32 v6, 7, v21
; %bb.1029:                             ;   in Loop: Header=BB206_803 Depth=1
	s_or_b32 exec_lo, exec_lo, s19
	v_mov_b32_e32 v14, 24
	v_lshlrev_b32_e32 v6, 20, v6
	v_lshl_add_u32 v8, v8, 23, 0x3c000000
	v_lshlrev_b32_sdwa v14, v14, v13 dst_sel:DWORD dst_unused:UNUSED_PAD src0_sel:DWORD src1_sel:WORD_1
	v_and_b32_e32 v14, 0x80000000, v14
	v_or3_b32 v6, v6, v14, v8
	v_mov_b32_e32 v22, v7
	v_mov_b32_e32 v21, v6
.LBB206_1030:                           ;   in Loop: Header=BB206_803 Depth=1
	s_or_b32 exec_lo, exec_lo, s18
.LBB206_1031:                           ;   in Loop: Header=BB206_803 Depth=1
	s_or_b32 exec_lo, exec_lo, s17
.LBB206_1032:                           ;   in Loop: Header=BB206_803 Depth=1
	s_or_b32 exec_lo, exec_lo, s15
	s_mov_b32 s15, exec_lo
	v_cmpx_lt_u32_e32 0xffffff, v13
	s_cbranch_execz .LBB206_1040
; %bb.1033:                             ;   in Loop: Header=BB206_803 Depth=1
	v_mov_b32_e32 v8, v7
	v_mov_b32_e32 v11, v9
	v_cmp_ne_u32_sdwa s4, v13, v70 src0_sel:BYTE_3 src1_sel:DWORD
	v_mov_b32_e32 v10, v8
	s_and_saveexec_b32 s17, s4
	s_cbranch_execz .LBB206_1039
; %bb.1034:                             ;   in Loop: Header=BB206_803 Depth=1
	v_mov_b32_e32 v11, v7
	v_bfe_u32 v14, v13, 24, 7
	s_mov_b32 s18, exec_lo
	v_mov_b32_e32 v10, v11
	v_mov_b32_e32 v11, v12
	v_cmpx_ne_u32_e32 0x7f, v14
	s_cbranch_execz .LBB206_1038
; %bb.1035:                             ;   in Loop: Header=BB206_803 Depth=1
	v_mov_b32_e32 v6, 7
	v_lshrrev_b32_e32 v8, 3, v14
	s_mov_b32 s19, exec_lo
	v_and_b32_sdwa v6, v13, v6 dst_sel:DWORD dst_unused:UNUSED_PAD src0_sel:BYTE_3 src1_sel:DWORD
	v_cmpx_gt_u32_e32 8, v14
; %bb.1036:                             ;   in Loop: Header=BB206_803 Depth=1
	v_ffbh_u32_e32 v8, v6
	v_min_u32_e32 v8, 32, v8
	v_subrev_nc_u32_e32 v10, 28, v8
	v_sub_nc_u32_e32 v8, 29, v8
	v_lshlrev_b64 v[10:11], v10, v[6:7]
	v_and_b32_e32 v6, 7, v10
; %bb.1037:                             ;   in Loop: Header=BB206_803 Depth=1
	s_or_b32 exec_lo, exec_lo, s19
	v_mov_b32_e32 v10, 24
	v_lshlrev_b32_e32 v6, 20, v6
	v_lshl_add_u32 v8, v8, 23, 0x3c000000
	v_lshlrev_b32_sdwa v10, v10, v13 dst_sel:DWORD dst_unused:UNUSED_PAD src0_sel:DWORD src1_sel:BYTE_3
	v_and_b32_e32 v10, 0x80000000, v10
	v_or3_b32 v11, v6, v10, v8
	v_mov_b32_e32 v10, v7
.LBB206_1038:                           ;   in Loop: Header=BB206_803 Depth=1
	s_or_b32 exec_lo, exec_lo, s18
.LBB206_1039:                           ;   in Loop: Header=BB206_803 Depth=1
	s_or_b32 exec_lo, exec_lo, s17
.LBB206_1040:                           ;   in Loop: Header=BB206_803 Depth=1
	s_or_b32 exec_lo, exec_lo, s15
	v_or_b32_e32 v6, v18, v16
	v_or_b32_e32 v8, v17, v15
	;; [unrolled: 1-line block ×4, first 2 shown]
	v_mul_f32_e32 v72, v87, v6
	v_mul_f32_e32 v63, v87, v8
	;; [unrolled: 1-line block ×4, first 2 shown]
	s_and_saveexec_b32 s15, vcc_lo
	s_cbranch_execz .LBB206_1042
; %bb.1041:                             ;   in Loop: Header=BB206_803 Depth=1
	v_cmp_lt_i32_e64 s4, v100, v47
	v_cndmask_b32_e64 v63, 0, v63, s4
	v_cmp_lt_i32_e64 s4, v103, v47
	v_cndmask_b32_e64 v72, 0, v72, s4
	;; [unrolled: 2-line block ×4, first 2 shown]
.LBB206_1042:                           ;   in Loop: Header=BB206_803 Depth=1
	s_or_b32 exec_lo, exec_lo, s15
	flat_load_dword v13, v[0:1] offset:896
	v_mov_b32_e32 v17, 0
	v_mov_b32_e32 v15, 0
	;; [unrolled: 1-line block ×4, first 2 shown]
	s_waitcnt vmcnt(0) lgkmcnt(0)
	v_cmp_ne_u16_sdwa s4, v13, v7 src0_sel:BYTE_0 src1_sel:DWORD
	s_and_saveexec_b32 s15, s4
	s_cbranch_execz .LBB206_1050
; %bb.1043:                             ;   in Loop: Header=BB206_803 Depth=1
	v_bfrev_b32_e32 v15, 1
	v_mov_b32_e32 v16, 0
	v_cmp_ne_u16_sdwa s4, v13, v70 src0_sel:BYTE_0 src1_sel:DWORD
	s_and_saveexec_b32 s17, s4
	s_cbranch_execz .LBB206_1049
; %bb.1044:                             ;   in Loop: Header=BB206_803 Depth=1
	v_mov_b32_e32 v15, 0x7f800001
	v_and_b32_e32 v10, 0x7f, v13
	v_mov_b32_e32 v16, 0
	s_mov_b32 s18, exec_lo
	v_cmpx_ne_u32_e32 0x7f, v10
	s_cbranch_execz .LBB206_1048
; %bb.1045:                             ;   in Loop: Header=BB206_803 Depth=1
	v_and_b32_e32 v6, 7, v13
	v_lshrrev_b32_e32 v8, 3, v10
	s_mov_b32 s19, exec_lo
	v_cmpx_gt_u32_e32 8, v10
; %bb.1046:                             ;   in Loop: Header=BB206_803 Depth=1
	v_ffbh_u32_e32 v8, v6
	v_min_u32_e32 v8, 32, v8
	v_subrev_nc_u32_e32 v10, 28, v8
	v_sub_nc_u32_e32 v8, 29, v8
	v_lshlrev_b64 v[10:11], v10, v[6:7]
	v_and_b32_e32 v6, 7, v10
; %bb.1047:                             ;   in Loop: Header=BB206_803 Depth=1
	s_or_b32 exec_lo, exec_lo, s19
	v_lshlrev_b32_e32 v10, 24, v13
	v_lshlrev_b32_e32 v6, 20, v6
	v_lshl_add_u32 v8, v8, 23, 0x3c000000
	v_and_b32_e32 v10, 0x80000000, v10
	v_or3_b32 v6, v6, v10, v8
	v_mov_b32_e32 v16, v7
	v_mov_b32_e32 v15, v6
.LBB206_1048:                           ;   in Loop: Header=BB206_803 Depth=1
	s_or_b32 exec_lo, exec_lo, s18
.LBB206_1049:                           ;   in Loop: Header=BB206_803 Depth=1
	s_or_b32 exec_lo, exec_lo, s17
.LBB206_1050:                           ;   in Loop: Header=BB206_803 Depth=1
	s_or_b32 exec_lo, exec_lo, s15
	v_cmp_ne_u16_sdwa s4, v13, v7 src0_sel:BYTE_1 src1_sel:DWORD
	s_and_saveexec_b32 s15, s4
	s_cbranch_execz .LBB206_1058
; %bb.1051:                             ;   in Loop: Header=BB206_803 Depth=1
	v_mov_b32_e32 v8, v7
	v_mov_b32_e32 v18, v9
	v_cmp_ne_u16_sdwa s4, v13, v70 src0_sel:BYTE_1 src1_sel:DWORD
	v_mov_b32_e32 v17, v8
	s_and_saveexec_b32 s17, s4
	s_cbranch_execz .LBB206_1057
; %bb.1052:                             ;   in Loop: Header=BB206_803 Depth=1
	v_and_b32_sdwa v6, v27, v13 dst_sel:DWORD dst_unused:UNUSED_PAD src0_sel:DWORD src1_sel:BYTE_1
	v_mov_b32_e32 v11, v7
	v_mov_b32_e32 v18, v12
	s_mov_b32 s18, exec_lo
	v_and_b32_e32 v10, 0x7f, v6
	v_mov_b32_e32 v17, v11
	v_cmpx_ne_u32_e32 0x7f, v10
	s_cbranch_execz .LBB206_1056
; %bb.1053:                             ;   in Loop: Header=BB206_803 Depth=1
	v_and_b32_e32 v6, 7, v6
	v_lshrrev_b32_e32 v8, 3, v10
	s_mov_b32 s19, exec_lo
	v_cmpx_gt_u32_e32 8, v10
; %bb.1054:                             ;   in Loop: Header=BB206_803 Depth=1
	v_ffbh_u32_e32 v8, v6
	v_min_u32_e32 v8, 32, v8
	v_subrev_nc_u32_e32 v10, 28, v8
	v_sub_nc_u32_e32 v8, 29, v8
	v_lshlrev_b64 v[10:11], v10, v[6:7]
	v_and_b32_e32 v6, 7, v10
; %bb.1055:                             ;   in Loop: Header=BB206_803 Depth=1
	s_or_b32 exec_lo, exec_lo, s19
	v_lshlrev_b32_e32 v10, 16, v13
	v_lshlrev_b32_e32 v6, 20, v6
	v_lshl_add_u32 v8, v8, 23, 0x3c000000
	v_mov_b32_e32 v17, v7
	v_and_b32_e32 v10, 0x80000000, v10
	v_or3_b32 v18, v6, v10, v8
.LBB206_1056:                           ;   in Loop: Header=BB206_803 Depth=1
	s_or_b32 exec_lo, exec_lo, s18
.LBB206_1057:                           ;   in Loop: Header=BB206_803 Depth=1
	s_or_b32 exec_lo, exec_lo, s17
.LBB206_1058:                           ;   in Loop: Header=BB206_803 Depth=1
	s_or_b32 exec_lo, exec_lo, s15
	v_mov_b32_e32 v10, 0
	v_mov_b32_e32 v21, 0
	v_and_b32_sdwa v6, v13, v80 dst_sel:DWORD dst_unused:UNUSED_PAD src0_sel:WORD_1 src1_sel:DWORD
	v_mov_b32_e32 v11, 0
	v_mov_b32_e32 v22, 0
	s_mov_b32 s15, exec_lo
	v_cmpx_ne_u16_e32 0, v6
	s_cbranch_execz .LBB206_1066
; %bb.1059:                             ;   in Loop: Header=BB206_803 Depth=1
	v_bfrev_b32_e32 v21, 1
	v_mov_b32_e32 v22, 0
	s_mov_b32 s17, exec_lo
	v_cmpx_ne_u16_e32 0x80, v6
	s_cbranch_execz .LBB206_1065
; %bb.1060:                             ;   in Loop: Header=BB206_803 Depth=1
	v_mov_b32_e32 v21, 0x7f800001
	v_bfe_u32 v14, v13, 16, 7
	v_mov_b32_e32 v22, 0
	s_mov_b32 s18, exec_lo
	v_cmpx_ne_u32_e32 0x7f, v14
	s_cbranch_execz .LBB206_1064
; %bb.1061:                             ;   in Loop: Header=BB206_803 Depth=1
	v_mov_b32_e32 v6, 7
	v_lshrrev_b32_e32 v8, 3, v14
	s_mov_b32 s19, exec_lo
	v_and_b32_sdwa v6, v13, v6 dst_sel:DWORD dst_unused:UNUSED_PAD src0_sel:WORD_1 src1_sel:DWORD
	v_cmpx_gt_u32_e32 8, v14
; %bb.1062:                             ;   in Loop: Header=BB206_803 Depth=1
	v_ffbh_u32_e32 v8, v6
	v_min_u32_e32 v8, 32, v8
	v_subrev_nc_u32_e32 v14, 28, v8
	v_sub_nc_u32_e32 v8, 29, v8
	v_lshlrev_b64 v[21:22], v14, v[6:7]
	v_and_b32_e32 v6, 7, v21
; %bb.1063:                             ;   in Loop: Header=BB206_803 Depth=1
	s_or_b32 exec_lo, exec_lo, s19
	v_mov_b32_e32 v14, 24
	v_lshlrev_b32_e32 v6, 20, v6
	v_lshl_add_u32 v8, v8, 23, 0x3c000000
	v_lshlrev_b32_sdwa v14, v14, v13 dst_sel:DWORD dst_unused:UNUSED_PAD src0_sel:DWORD src1_sel:WORD_1
	v_and_b32_e32 v14, 0x80000000, v14
	v_or3_b32 v6, v6, v14, v8
	v_mov_b32_e32 v22, v7
	v_mov_b32_e32 v21, v6
.LBB206_1064:                           ;   in Loop: Header=BB206_803 Depth=1
	s_or_b32 exec_lo, exec_lo, s18
.LBB206_1065:                           ;   in Loop: Header=BB206_803 Depth=1
	s_or_b32 exec_lo, exec_lo, s17
.LBB206_1066:                           ;   in Loop: Header=BB206_803 Depth=1
	s_or_b32 exec_lo, exec_lo, s15
	s_mov_b32 s15, exec_lo
	v_cmpx_lt_u32_e32 0xffffff, v13
	s_cbranch_execz .LBB206_1074
; %bb.1067:                             ;   in Loop: Header=BB206_803 Depth=1
	v_mov_b32_e32 v8, v7
	v_mov_b32_e32 v11, v9
	v_cmp_ne_u32_sdwa s4, v13, v70 src0_sel:BYTE_3 src1_sel:DWORD
	v_mov_b32_e32 v10, v8
	s_and_saveexec_b32 s17, s4
	s_cbranch_execz .LBB206_1073
; %bb.1068:                             ;   in Loop: Header=BB206_803 Depth=1
	v_mov_b32_e32 v11, v7
	v_bfe_u32 v14, v13, 24, 7
	s_mov_b32 s18, exec_lo
	v_mov_b32_e32 v10, v11
	v_mov_b32_e32 v11, v12
	v_cmpx_ne_u32_e32 0x7f, v14
	s_cbranch_execz .LBB206_1072
; %bb.1069:                             ;   in Loop: Header=BB206_803 Depth=1
	v_mov_b32_e32 v6, 7
	v_lshrrev_b32_e32 v8, 3, v14
	s_mov_b32 s19, exec_lo
	v_and_b32_sdwa v6, v13, v6 dst_sel:DWORD dst_unused:UNUSED_PAD src0_sel:BYTE_3 src1_sel:DWORD
	v_cmpx_gt_u32_e32 8, v14
; %bb.1070:                             ;   in Loop: Header=BB206_803 Depth=1
	v_ffbh_u32_e32 v8, v6
	v_min_u32_e32 v8, 32, v8
	v_subrev_nc_u32_e32 v10, 28, v8
	v_sub_nc_u32_e32 v8, 29, v8
	v_lshlrev_b64 v[10:11], v10, v[6:7]
	v_and_b32_e32 v6, 7, v10
; %bb.1071:                             ;   in Loop: Header=BB206_803 Depth=1
	s_or_b32 exec_lo, exec_lo, s19
	v_mov_b32_e32 v10, 24
	v_lshlrev_b32_e32 v6, 20, v6
	v_lshl_add_u32 v8, v8, 23, 0x3c000000
	v_lshlrev_b32_sdwa v10, v10, v13 dst_sel:DWORD dst_unused:UNUSED_PAD src0_sel:DWORD src1_sel:BYTE_3
	v_and_b32_e32 v10, 0x80000000, v10
	v_or3_b32 v11, v6, v10, v8
	v_mov_b32_e32 v10, v7
.LBB206_1072:                           ;   in Loop: Header=BB206_803 Depth=1
	s_or_b32 exec_lo, exec_lo, s18
.LBB206_1073:                           ;   in Loop: Header=BB206_803 Depth=1
	s_or_b32 exec_lo, exec_lo, s17
.LBB206_1074:                           ;   in Loop: Header=BB206_803 Depth=1
	s_or_b32 exec_lo, exec_lo, s15
	v_or_b32_e32 v6, v18, v16
	v_or_b32_e32 v8, v17, v15
	;; [unrolled: 1-line block ×4, first 2 shown]
	v_mul_f32_e32 v76, v87, v6
	v_mul_f32_e32 v75, v87, v8
	;; [unrolled: 1-line block ×4, first 2 shown]
	s_and_saveexec_b32 s15, vcc_lo
	s_cbranch_execz .LBB206_1076
; %bb.1075:                             ;   in Loop: Header=BB206_803 Depth=1
	v_cmp_lt_i32_e64 s4, v100, v47
	v_cndmask_b32_e64 v75, 0, v75, s4
	v_cmp_lt_i32_e64 s4, v103, v47
	v_cndmask_b32_e64 v76, 0, v76, s4
	;; [unrolled: 2-line block ×4, first 2 shown]
.LBB206_1076:                           ;   in Loop: Header=BB206_803 Depth=1
	s_or_b32 exec_lo, exec_lo, s15
	flat_load_dword v13, v[0:1] offset:1024
	v_mov_b32_e32 v17, 0
	v_mov_b32_e32 v15, 0
	;; [unrolled: 1-line block ×4, first 2 shown]
	s_waitcnt vmcnt(0) lgkmcnt(0)
	v_cmp_ne_u16_sdwa s4, v13, v7 src0_sel:BYTE_0 src1_sel:DWORD
	s_and_saveexec_b32 s15, s4
	s_cbranch_execz .LBB206_1084
; %bb.1077:                             ;   in Loop: Header=BB206_803 Depth=1
	v_bfrev_b32_e32 v15, 1
	v_mov_b32_e32 v16, 0
	v_cmp_ne_u16_sdwa s4, v13, v70 src0_sel:BYTE_0 src1_sel:DWORD
	s_and_saveexec_b32 s17, s4
	s_cbranch_execz .LBB206_1083
; %bb.1078:                             ;   in Loop: Header=BB206_803 Depth=1
	v_mov_b32_e32 v15, 0x7f800001
	v_and_b32_e32 v10, 0x7f, v13
	v_mov_b32_e32 v16, 0
	s_mov_b32 s18, exec_lo
	v_cmpx_ne_u32_e32 0x7f, v10
	s_cbranch_execz .LBB206_1082
; %bb.1079:                             ;   in Loop: Header=BB206_803 Depth=1
	v_and_b32_e32 v6, 7, v13
	v_lshrrev_b32_e32 v8, 3, v10
	s_mov_b32 s19, exec_lo
	v_cmpx_gt_u32_e32 8, v10
; %bb.1080:                             ;   in Loop: Header=BB206_803 Depth=1
	v_ffbh_u32_e32 v8, v6
	v_min_u32_e32 v8, 32, v8
	v_subrev_nc_u32_e32 v10, 28, v8
	v_sub_nc_u32_e32 v8, 29, v8
	v_lshlrev_b64 v[10:11], v10, v[6:7]
	v_and_b32_e32 v6, 7, v10
; %bb.1081:                             ;   in Loop: Header=BB206_803 Depth=1
	s_or_b32 exec_lo, exec_lo, s19
	v_lshlrev_b32_e32 v10, 24, v13
	v_lshlrev_b32_e32 v6, 20, v6
	v_lshl_add_u32 v8, v8, 23, 0x3c000000
	v_and_b32_e32 v10, 0x80000000, v10
	v_or3_b32 v6, v6, v10, v8
	v_mov_b32_e32 v16, v7
	v_mov_b32_e32 v15, v6
.LBB206_1082:                           ;   in Loop: Header=BB206_803 Depth=1
	s_or_b32 exec_lo, exec_lo, s18
.LBB206_1083:                           ;   in Loop: Header=BB206_803 Depth=1
	s_or_b32 exec_lo, exec_lo, s17
.LBB206_1084:                           ;   in Loop: Header=BB206_803 Depth=1
	s_or_b32 exec_lo, exec_lo, s15
	v_cmp_ne_u16_sdwa s4, v13, v7 src0_sel:BYTE_1 src1_sel:DWORD
	s_and_saveexec_b32 s15, s4
	s_cbranch_execz .LBB206_1092
; %bb.1085:                             ;   in Loop: Header=BB206_803 Depth=1
	v_mov_b32_e32 v8, v7
	v_mov_b32_e32 v18, v9
	v_cmp_ne_u16_sdwa s4, v13, v70 src0_sel:BYTE_1 src1_sel:DWORD
	v_mov_b32_e32 v17, v8
	s_and_saveexec_b32 s17, s4
	s_cbranch_execz .LBB206_1091
; %bb.1086:                             ;   in Loop: Header=BB206_803 Depth=1
	v_and_b32_sdwa v6, v27, v13 dst_sel:DWORD dst_unused:UNUSED_PAD src0_sel:DWORD src1_sel:BYTE_1
	v_mov_b32_e32 v11, v7
	v_mov_b32_e32 v18, v12
	s_mov_b32 s18, exec_lo
	v_and_b32_e32 v10, 0x7f, v6
	v_mov_b32_e32 v17, v11
	v_cmpx_ne_u32_e32 0x7f, v10
	s_cbranch_execz .LBB206_1090
; %bb.1087:                             ;   in Loop: Header=BB206_803 Depth=1
	v_and_b32_e32 v6, 7, v6
	v_lshrrev_b32_e32 v8, 3, v10
	s_mov_b32 s19, exec_lo
	v_cmpx_gt_u32_e32 8, v10
; %bb.1088:                             ;   in Loop: Header=BB206_803 Depth=1
	v_ffbh_u32_e32 v8, v6
	v_min_u32_e32 v8, 32, v8
	v_subrev_nc_u32_e32 v10, 28, v8
	v_sub_nc_u32_e32 v8, 29, v8
	v_lshlrev_b64 v[10:11], v10, v[6:7]
	v_and_b32_e32 v6, 7, v10
; %bb.1089:                             ;   in Loop: Header=BB206_803 Depth=1
	s_or_b32 exec_lo, exec_lo, s19
	v_lshlrev_b32_e32 v10, 16, v13
	v_lshlrev_b32_e32 v6, 20, v6
	v_lshl_add_u32 v8, v8, 23, 0x3c000000
	v_mov_b32_e32 v17, v7
	v_and_b32_e32 v10, 0x80000000, v10
	v_or3_b32 v18, v6, v10, v8
.LBB206_1090:                           ;   in Loop: Header=BB206_803 Depth=1
	s_or_b32 exec_lo, exec_lo, s18
.LBB206_1091:                           ;   in Loop: Header=BB206_803 Depth=1
	s_or_b32 exec_lo, exec_lo, s17
.LBB206_1092:                           ;   in Loop: Header=BB206_803 Depth=1
	s_or_b32 exec_lo, exec_lo, s15
	v_mov_b32_e32 v10, 0
	v_mov_b32_e32 v21, 0
	v_and_b32_sdwa v6, v13, v80 dst_sel:DWORD dst_unused:UNUSED_PAD src0_sel:WORD_1 src1_sel:DWORD
	v_mov_b32_e32 v11, 0
	v_mov_b32_e32 v22, 0
	s_mov_b32 s15, exec_lo
	v_cmpx_ne_u16_e32 0, v6
	s_cbranch_execz .LBB206_1100
; %bb.1093:                             ;   in Loop: Header=BB206_803 Depth=1
	v_bfrev_b32_e32 v21, 1
	v_mov_b32_e32 v22, 0
	s_mov_b32 s17, exec_lo
	v_cmpx_ne_u16_e32 0x80, v6
	s_cbranch_execz .LBB206_1099
; %bb.1094:                             ;   in Loop: Header=BB206_803 Depth=1
	v_mov_b32_e32 v21, 0x7f800001
	v_bfe_u32 v14, v13, 16, 7
	v_mov_b32_e32 v22, 0
	s_mov_b32 s18, exec_lo
	v_cmpx_ne_u32_e32 0x7f, v14
	s_cbranch_execz .LBB206_1098
; %bb.1095:                             ;   in Loop: Header=BB206_803 Depth=1
	v_mov_b32_e32 v6, 7
	v_lshrrev_b32_e32 v8, 3, v14
	s_mov_b32 s19, exec_lo
	v_and_b32_sdwa v6, v13, v6 dst_sel:DWORD dst_unused:UNUSED_PAD src0_sel:WORD_1 src1_sel:DWORD
	v_cmpx_gt_u32_e32 8, v14
; %bb.1096:                             ;   in Loop: Header=BB206_803 Depth=1
	v_ffbh_u32_e32 v8, v6
	v_min_u32_e32 v8, 32, v8
	v_subrev_nc_u32_e32 v14, 28, v8
	v_sub_nc_u32_e32 v8, 29, v8
	v_lshlrev_b64 v[21:22], v14, v[6:7]
	v_and_b32_e32 v6, 7, v21
; %bb.1097:                             ;   in Loop: Header=BB206_803 Depth=1
	s_or_b32 exec_lo, exec_lo, s19
	v_mov_b32_e32 v14, 24
	v_lshlrev_b32_e32 v6, 20, v6
	v_lshl_add_u32 v8, v8, 23, 0x3c000000
	v_lshlrev_b32_sdwa v14, v14, v13 dst_sel:DWORD dst_unused:UNUSED_PAD src0_sel:DWORD src1_sel:WORD_1
	v_and_b32_e32 v14, 0x80000000, v14
	v_or3_b32 v6, v6, v14, v8
	v_mov_b32_e32 v22, v7
	v_mov_b32_e32 v21, v6
.LBB206_1098:                           ;   in Loop: Header=BB206_803 Depth=1
	s_or_b32 exec_lo, exec_lo, s18
.LBB206_1099:                           ;   in Loop: Header=BB206_803 Depth=1
	s_or_b32 exec_lo, exec_lo, s17
.LBB206_1100:                           ;   in Loop: Header=BB206_803 Depth=1
	s_or_b32 exec_lo, exec_lo, s15
	s_mov_b32 s15, exec_lo
	v_cmpx_lt_u32_e32 0xffffff, v13
	s_cbranch_execz .LBB206_1108
; %bb.1101:                             ;   in Loop: Header=BB206_803 Depth=1
	v_mov_b32_e32 v8, v7
	v_mov_b32_e32 v11, v9
	v_cmp_ne_u32_sdwa s4, v13, v70 src0_sel:BYTE_3 src1_sel:DWORD
	v_mov_b32_e32 v10, v8
	s_and_saveexec_b32 s17, s4
	s_cbranch_execz .LBB206_1107
; %bb.1102:                             ;   in Loop: Header=BB206_803 Depth=1
	v_mov_b32_e32 v11, v7
	v_bfe_u32 v14, v13, 24, 7
	s_mov_b32 s18, exec_lo
	v_mov_b32_e32 v10, v11
	v_mov_b32_e32 v11, v12
	v_cmpx_ne_u32_e32 0x7f, v14
	s_cbranch_execz .LBB206_1106
; %bb.1103:                             ;   in Loop: Header=BB206_803 Depth=1
	v_mov_b32_e32 v6, 7
	v_lshrrev_b32_e32 v8, 3, v14
	s_mov_b32 s19, exec_lo
	v_and_b32_sdwa v6, v13, v6 dst_sel:DWORD dst_unused:UNUSED_PAD src0_sel:BYTE_3 src1_sel:DWORD
	v_cmpx_gt_u32_e32 8, v14
; %bb.1104:                             ;   in Loop: Header=BB206_803 Depth=1
	v_ffbh_u32_e32 v8, v6
	v_min_u32_e32 v8, 32, v8
	v_subrev_nc_u32_e32 v10, 28, v8
	v_sub_nc_u32_e32 v8, 29, v8
	v_lshlrev_b64 v[10:11], v10, v[6:7]
	v_and_b32_e32 v6, 7, v10
; %bb.1105:                             ;   in Loop: Header=BB206_803 Depth=1
	s_or_b32 exec_lo, exec_lo, s19
	v_mov_b32_e32 v10, 24
	v_lshlrev_b32_e32 v6, 20, v6
	v_lshl_add_u32 v8, v8, 23, 0x3c000000
	v_lshlrev_b32_sdwa v10, v10, v13 dst_sel:DWORD dst_unused:UNUSED_PAD src0_sel:DWORD src1_sel:BYTE_3
	v_and_b32_e32 v10, 0x80000000, v10
	v_or3_b32 v11, v6, v10, v8
	v_mov_b32_e32 v10, v7
.LBB206_1106:                           ;   in Loop: Header=BB206_803 Depth=1
	s_or_b32 exec_lo, exec_lo, s18
.LBB206_1107:                           ;   in Loop: Header=BB206_803 Depth=1
	s_or_b32 exec_lo, exec_lo, s17
.LBB206_1108:                           ;   in Loop: Header=BB206_803 Depth=1
	s_or_b32 exec_lo, exec_lo, s15
	v_or_b32_e32 v6, v18, v16
	v_or_b32_e32 v8, v17, v15
	;; [unrolled: 1-line block ×4, first 2 shown]
	v_mul_f32_e32 v88, v87, v6
	v_mul_f32_e32 v79, v87, v8
	;; [unrolled: 1-line block ×4, first 2 shown]
	s_and_saveexec_b32 s15, vcc_lo
	s_cbranch_execz .LBB206_1110
; %bb.1109:                             ;   in Loop: Header=BB206_803 Depth=1
	v_cmp_lt_i32_e64 s4, v100, v47
	v_cndmask_b32_e64 v79, 0, v79, s4
	v_cmp_lt_i32_e64 s4, v103, v47
	v_cndmask_b32_e64 v88, 0, v88, s4
	;; [unrolled: 2-line block ×4, first 2 shown]
.LBB206_1110:                           ;   in Loop: Header=BB206_803 Depth=1
	s_or_b32 exec_lo, exec_lo, s15
	flat_load_dword v13, v[0:1] offset:1152
	v_mov_b32_e32 v17, 0
	v_mov_b32_e32 v15, 0
	;; [unrolled: 1-line block ×4, first 2 shown]
	s_waitcnt vmcnt(0) lgkmcnt(0)
	v_cmp_ne_u16_sdwa s4, v13, v7 src0_sel:BYTE_0 src1_sel:DWORD
	s_and_saveexec_b32 s15, s4
	s_cbranch_execz .LBB206_1118
; %bb.1111:                             ;   in Loop: Header=BB206_803 Depth=1
	v_bfrev_b32_e32 v15, 1
	v_mov_b32_e32 v16, 0
	v_cmp_ne_u16_sdwa s4, v13, v70 src0_sel:BYTE_0 src1_sel:DWORD
	s_and_saveexec_b32 s17, s4
	s_cbranch_execz .LBB206_1117
; %bb.1112:                             ;   in Loop: Header=BB206_803 Depth=1
	v_mov_b32_e32 v15, 0x7f800001
	v_and_b32_e32 v10, 0x7f, v13
	v_mov_b32_e32 v16, 0
	s_mov_b32 s18, exec_lo
	v_cmpx_ne_u32_e32 0x7f, v10
	s_cbranch_execz .LBB206_1116
; %bb.1113:                             ;   in Loop: Header=BB206_803 Depth=1
	v_and_b32_e32 v6, 7, v13
	v_lshrrev_b32_e32 v8, 3, v10
	s_mov_b32 s19, exec_lo
	v_cmpx_gt_u32_e32 8, v10
; %bb.1114:                             ;   in Loop: Header=BB206_803 Depth=1
	v_ffbh_u32_e32 v8, v6
	v_min_u32_e32 v8, 32, v8
	v_subrev_nc_u32_e32 v10, 28, v8
	v_sub_nc_u32_e32 v8, 29, v8
	v_lshlrev_b64 v[10:11], v10, v[6:7]
	v_and_b32_e32 v6, 7, v10
; %bb.1115:                             ;   in Loop: Header=BB206_803 Depth=1
	s_or_b32 exec_lo, exec_lo, s19
	v_lshlrev_b32_e32 v10, 24, v13
	v_lshlrev_b32_e32 v6, 20, v6
	v_lshl_add_u32 v8, v8, 23, 0x3c000000
	v_and_b32_e32 v10, 0x80000000, v10
	v_or3_b32 v6, v6, v10, v8
	v_mov_b32_e32 v16, v7
	v_mov_b32_e32 v15, v6
.LBB206_1116:                           ;   in Loop: Header=BB206_803 Depth=1
	s_or_b32 exec_lo, exec_lo, s18
.LBB206_1117:                           ;   in Loop: Header=BB206_803 Depth=1
	s_or_b32 exec_lo, exec_lo, s17
.LBB206_1118:                           ;   in Loop: Header=BB206_803 Depth=1
	s_or_b32 exec_lo, exec_lo, s15
	v_cmp_ne_u16_sdwa s4, v13, v7 src0_sel:BYTE_1 src1_sel:DWORD
	s_and_saveexec_b32 s15, s4
	s_cbranch_execz .LBB206_1126
; %bb.1119:                             ;   in Loop: Header=BB206_803 Depth=1
	v_mov_b32_e32 v8, v7
	v_mov_b32_e32 v18, v9
	v_cmp_ne_u16_sdwa s4, v13, v70 src0_sel:BYTE_1 src1_sel:DWORD
	v_mov_b32_e32 v17, v8
	s_and_saveexec_b32 s17, s4
	s_cbranch_execz .LBB206_1125
; %bb.1120:                             ;   in Loop: Header=BB206_803 Depth=1
	v_and_b32_sdwa v6, v27, v13 dst_sel:DWORD dst_unused:UNUSED_PAD src0_sel:DWORD src1_sel:BYTE_1
	v_mov_b32_e32 v11, v7
	v_mov_b32_e32 v18, v12
	s_mov_b32 s18, exec_lo
	v_and_b32_e32 v10, 0x7f, v6
	v_mov_b32_e32 v17, v11
	v_cmpx_ne_u32_e32 0x7f, v10
	s_cbranch_execz .LBB206_1124
; %bb.1121:                             ;   in Loop: Header=BB206_803 Depth=1
	v_and_b32_e32 v6, 7, v6
	v_lshrrev_b32_e32 v8, 3, v10
	s_mov_b32 s19, exec_lo
	v_cmpx_gt_u32_e32 8, v10
; %bb.1122:                             ;   in Loop: Header=BB206_803 Depth=1
	v_ffbh_u32_e32 v8, v6
	v_min_u32_e32 v8, 32, v8
	v_subrev_nc_u32_e32 v10, 28, v8
	v_sub_nc_u32_e32 v8, 29, v8
	v_lshlrev_b64 v[10:11], v10, v[6:7]
	v_and_b32_e32 v6, 7, v10
; %bb.1123:                             ;   in Loop: Header=BB206_803 Depth=1
	s_or_b32 exec_lo, exec_lo, s19
	v_lshlrev_b32_e32 v10, 16, v13
	v_lshlrev_b32_e32 v6, 20, v6
	v_lshl_add_u32 v8, v8, 23, 0x3c000000
	v_mov_b32_e32 v17, v7
	v_and_b32_e32 v10, 0x80000000, v10
	v_or3_b32 v18, v6, v10, v8
.LBB206_1124:                           ;   in Loop: Header=BB206_803 Depth=1
	s_or_b32 exec_lo, exec_lo, s18
.LBB206_1125:                           ;   in Loop: Header=BB206_803 Depth=1
	s_or_b32 exec_lo, exec_lo, s17
.LBB206_1126:                           ;   in Loop: Header=BB206_803 Depth=1
	s_or_b32 exec_lo, exec_lo, s15
	v_mov_b32_e32 v10, 0
	v_mov_b32_e32 v21, 0
	v_and_b32_sdwa v6, v13, v80 dst_sel:DWORD dst_unused:UNUSED_PAD src0_sel:WORD_1 src1_sel:DWORD
	v_mov_b32_e32 v11, 0
	v_mov_b32_e32 v22, 0
	s_mov_b32 s15, exec_lo
	v_cmpx_ne_u16_e32 0, v6
	s_cbranch_execz .LBB206_1134
; %bb.1127:                             ;   in Loop: Header=BB206_803 Depth=1
	v_bfrev_b32_e32 v21, 1
	v_mov_b32_e32 v22, 0
	s_mov_b32 s17, exec_lo
	v_cmpx_ne_u16_e32 0x80, v6
	s_cbranch_execz .LBB206_1133
; %bb.1128:                             ;   in Loop: Header=BB206_803 Depth=1
	v_mov_b32_e32 v21, 0x7f800001
	v_bfe_u32 v14, v13, 16, 7
	v_mov_b32_e32 v22, 0
	s_mov_b32 s18, exec_lo
	v_cmpx_ne_u32_e32 0x7f, v14
	s_cbranch_execz .LBB206_1132
; %bb.1129:                             ;   in Loop: Header=BB206_803 Depth=1
	v_mov_b32_e32 v6, 7
	v_lshrrev_b32_e32 v8, 3, v14
	s_mov_b32 s19, exec_lo
	v_and_b32_sdwa v6, v13, v6 dst_sel:DWORD dst_unused:UNUSED_PAD src0_sel:WORD_1 src1_sel:DWORD
	v_cmpx_gt_u32_e32 8, v14
; %bb.1130:                             ;   in Loop: Header=BB206_803 Depth=1
	v_ffbh_u32_e32 v8, v6
	v_min_u32_e32 v8, 32, v8
	v_subrev_nc_u32_e32 v14, 28, v8
	v_sub_nc_u32_e32 v8, 29, v8
	v_lshlrev_b64 v[21:22], v14, v[6:7]
	v_and_b32_e32 v6, 7, v21
; %bb.1131:                             ;   in Loop: Header=BB206_803 Depth=1
	s_or_b32 exec_lo, exec_lo, s19
	v_mov_b32_e32 v14, 24
	v_lshlrev_b32_e32 v6, 20, v6
	v_lshl_add_u32 v8, v8, 23, 0x3c000000
	v_lshlrev_b32_sdwa v14, v14, v13 dst_sel:DWORD dst_unused:UNUSED_PAD src0_sel:DWORD src1_sel:WORD_1
	v_and_b32_e32 v14, 0x80000000, v14
	v_or3_b32 v6, v6, v14, v8
	v_mov_b32_e32 v22, v7
	v_mov_b32_e32 v21, v6
.LBB206_1132:                           ;   in Loop: Header=BB206_803 Depth=1
	s_or_b32 exec_lo, exec_lo, s18
.LBB206_1133:                           ;   in Loop: Header=BB206_803 Depth=1
	s_or_b32 exec_lo, exec_lo, s17
.LBB206_1134:                           ;   in Loop: Header=BB206_803 Depth=1
	s_or_b32 exec_lo, exec_lo, s15
	s_mov_b32 s15, exec_lo
	v_cmpx_lt_u32_e32 0xffffff, v13
	s_cbranch_execz .LBB206_1142
; %bb.1135:                             ;   in Loop: Header=BB206_803 Depth=1
	v_mov_b32_e32 v8, v7
	v_mov_b32_e32 v11, v9
	v_cmp_ne_u32_sdwa s4, v13, v70 src0_sel:BYTE_3 src1_sel:DWORD
	v_mov_b32_e32 v10, v8
	s_and_saveexec_b32 s17, s4
	s_cbranch_execz .LBB206_1141
; %bb.1136:                             ;   in Loop: Header=BB206_803 Depth=1
	v_mov_b32_e32 v11, v7
	v_bfe_u32 v14, v13, 24, 7
	s_mov_b32 s18, exec_lo
	v_mov_b32_e32 v10, v11
	v_mov_b32_e32 v11, v12
	v_cmpx_ne_u32_e32 0x7f, v14
	s_cbranch_execz .LBB206_1140
; %bb.1137:                             ;   in Loop: Header=BB206_803 Depth=1
	v_mov_b32_e32 v6, 7
	v_lshrrev_b32_e32 v8, 3, v14
	s_mov_b32 s19, exec_lo
	v_and_b32_sdwa v6, v13, v6 dst_sel:DWORD dst_unused:UNUSED_PAD src0_sel:BYTE_3 src1_sel:DWORD
	v_cmpx_gt_u32_e32 8, v14
; %bb.1138:                             ;   in Loop: Header=BB206_803 Depth=1
	v_ffbh_u32_e32 v8, v6
	v_min_u32_e32 v8, 32, v8
	v_subrev_nc_u32_e32 v10, 28, v8
	v_sub_nc_u32_e32 v8, 29, v8
	v_lshlrev_b64 v[10:11], v10, v[6:7]
	v_and_b32_e32 v6, 7, v10
; %bb.1139:                             ;   in Loop: Header=BB206_803 Depth=1
	s_or_b32 exec_lo, exec_lo, s19
	v_mov_b32_e32 v10, 24
	v_lshlrev_b32_e32 v6, 20, v6
	v_lshl_add_u32 v8, v8, 23, 0x3c000000
	v_lshlrev_b32_sdwa v10, v10, v13 dst_sel:DWORD dst_unused:UNUSED_PAD src0_sel:DWORD src1_sel:BYTE_3
	v_and_b32_e32 v10, 0x80000000, v10
	v_or3_b32 v11, v6, v10, v8
	v_mov_b32_e32 v10, v7
.LBB206_1140:                           ;   in Loop: Header=BB206_803 Depth=1
	s_or_b32 exec_lo, exec_lo, s18
.LBB206_1141:                           ;   in Loop: Header=BB206_803 Depth=1
	s_or_b32 exec_lo, exec_lo, s17
.LBB206_1142:                           ;   in Loop: Header=BB206_803 Depth=1
	s_or_b32 exec_lo, exec_lo, s15
	v_or_b32_e32 v6, v18, v16
	v_or_b32_e32 v8, v17, v15
	;; [unrolled: 1-line block ×4, first 2 shown]
	v_mul_f32_e32 v92, v87, v6
	v_mul_f32_e32 v91, v87, v8
	;; [unrolled: 1-line block ×4, first 2 shown]
	s_and_saveexec_b32 s15, vcc_lo
	s_cbranch_execz .LBB206_1144
; %bb.1143:                             ;   in Loop: Header=BB206_803 Depth=1
	v_cmp_lt_i32_e64 s4, v100, v47
	v_cndmask_b32_e64 v91, 0, v91, s4
	v_cmp_lt_i32_e64 s4, v103, v47
	v_cndmask_b32_e64 v92, 0, v92, s4
	;; [unrolled: 2-line block ×4, first 2 shown]
.LBB206_1144:                           ;   in Loop: Header=BB206_803 Depth=1
	s_or_b32 exec_lo, exec_lo, s15
	flat_load_dword v13, v[0:1] offset:1280
	v_mov_b32_e32 v17, 0
	v_mov_b32_e32 v15, 0
	;; [unrolled: 1-line block ×4, first 2 shown]
	s_waitcnt vmcnt(0) lgkmcnt(0)
	v_cmp_ne_u16_sdwa s4, v13, v7 src0_sel:BYTE_0 src1_sel:DWORD
	s_and_saveexec_b32 s15, s4
	s_cbranch_execz .LBB206_1152
; %bb.1145:                             ;   in Loop: Header=BB206_803 Depth=1
	v_bfrev_b32_e32 v15, 1
	v_mov_b32_e32 v16, 0
	v_cmp_ne_u16_sdwa s4, v13, v70 src0_sel:BYTE_0 src1_sel:DWORD
	s_and_saveexec_b32 s17, s4
	s_cbranch_execz .LBB206_1151
; %bb.1146:                             ;   in Loop: Header=BB206_803 Depth=1
	v_mov_b32_e32 v15, 0x7f800001
	v_and_b32_e32 v10, 0x7f, v13
	v_mov_b32_e32 v16, 0
	s_mov_b32 s18, exec_lo
	v_cmpx_ne_u32_e32 0x7f, v10
	s_cbranch_execz .LBB206_1150
; %bb.1147:                             ;   in Loop: Header=BB206_803 Depth=1
	v_and_b32_e32 v6, 7, v13
	v_lshrrev_b32_e32 v8, 3, v10
	s_mov_b32 s19, exec_lo
	v_cmpx_gt_u32_e32 8, v10
; %bb.1148:                             ;   in Loop: Header=BB206_803 Depth=1
	v_ffbh_u32_e32 v8, v6
	v_min_u32_e32 v8, 32, v8
	v_subrev_nc_u32_e32 v10, 28, v8
	v_sub_nc_u32_e32 v8, 29, v8
	v_lshlrev_b64 v[10:11], v10, v[6:7]
	v_and_b32_e32 v6, 7, v10
; %bb.1149:                             ;   in Loop: Header=BB206_803 Depth=1
	s_or_b32 exec_lo, exec_lo, s19
	v_lshlrev_b32_e32 v10, 24, v13
	v_lshlrev_b32_e32 v6, 20, v6
	v_lshl_add_u32 v8, v8, 23, 0x3c000000
	v_and_b32_e32 v10, 0x80000000, v10
	v_or3_b32 v6, v6, v10, v8
	v_mov_b32_e32 v16, v7
	v_mov_b32_e32 v15, v6
.LBB206_1150:                           ;   in Loop: Header=BB206_803 Depth=1
	s_or_b32 exec_lo, exec_lo, s18
.LBB206_1151:                           ;   in Loop: Header=BB206_803 Depth=1
	s_or_b32 exec_lo, exec_lo, s17
.LBB206_1152:                           ;   in Loop: Header=BB206_803 Depth=1
	s_or_b32 exec_lo, exec_lo, s15
	v_cmp_ne_u16_sdwa s4, v13, v7 src0_sel:BYTE_1 src1_sel:DWORD
	s_and_saveexec_b32 s15, s4
	s_cbranch_execz .LBB206_1160
; %bb.1153:                             ;   in Loop: Header=BB206_803 Depth=1
	v_mov_b32_e32 v8, v7
	v_mov_b32_e32 v18, v9
	v_cmp_ne_u16_sdwa s4, v13, v70 src0_sel:BYTE_1 src1_sel:DWORD
	v_mov_b32_e32 v17, v8
	s_and_saveexec_b32 s17, s4
	s_cbranch_execz .LBB206_1159
; %bb.1154:                             ;   in Loop: Header=BB206_803 Depth=1
	v_and_b32_sdwa v6, v27, v13 dst_sel:DWORD dst_unused:UNUSED_PAD src0_sel:DWORD src1_sel:BYTE_1
	v_mov_b32_e32 v11, v7
	v_mov_b32_e32 v18, v12
	s_mov_b32 s18, exec_lo
	v_and_b32_e32 v10, 0x7f, v6
	v_mov_b32_e32 v17, v11
	v_cmpx_ne_u32_e32 0x7f, v10
	s_cbranch_execz .LBB206_1158
; %bb.1155:                             ;   in Loop: Header=BB206_803 Depth=1
	v_and_b32_e32 v6, 7, v6
	v_lshrrev_b32_e32 v8, 3, v10
	s_mov_b32 s19, exec_lo
	v_cmpx_gt_u32_e32 8, v10
; %bb.1156:                             ;   in Loop: Header=BB206_803 Depth=1
	v_ffbh_u32_e32 v8, v6
	v_min_u32_e32 v8, 32, v8
	v_subrev_nc_u32_e32 v10, 28, v8
	v_sub_nc_u32_e32 v8, 29, v8
	v_lshlrev_b64 v[10:11], v10, v[6:7]
	v_and_b32_e32 v6, 7, v10
; %bb.1157:                             ;   in Loop: Header=BB206_803 Depth=1
	s_or_b32 exec_lo, exec_lo, s19
	v_lshlrev_b32_e32 v10, 16, v13
	v_lshlrev_b32_e32 v6, 20, v6
	v_lshl_add_u32 v8, v8, 23, 0x3c000000
	v_mov_b32_e32 v17, v7
	v_and_b32_e32 v10, 0x80000000, v10
	v_or3_b32 v18, v6, v10, v8
.LBB206_1158:                           ;   in Loop: Header=BB206_803 Depth=1
	s_or_b32 exec_lo, exec_lo, s18
.LBB206_1159:                           ;   in Loop: Header=BB206_803 Depth=1
	s_or_b32 exec_lo, exec_lo, s17
.LBB206_1160:                           ;   in Loop: Header=BB206_803 Depth=1
	s_or_b32 exec_lo, exec_lo, s15
	v_mov_b32_e32 v10, 0
	v_mov_b32_e32 v21, 0
	v_and_b32_sdwa v6, v13, v80 dst_sel:DWORD dst_unused:UNUSED_PAD src0_sel:WORD_1 src1_sel:DWORD
	v_mov_b32_e32 v11, 0
	v_mov_b32_e32 v22, 0
	s_mov_b32 s15, exec_lo
	v_cmpx_ne_u16_e32 0, v6
	s_cbranch_execz .LBB206_1168
; %bb.1161:                             ;   in Loop: Header=BB206_803 Depth=1
	v_bfrev_b32_e32 v21, 1
	v_mov_b32_e32 v22, 0
	s_mov_b32 s17, exec_lo
	v_cmpx_ne_u16_e32 0x80, v6
	s_cbranch_execz .LBB206_1167
; %bb.1162:                             ;   in Loop: Header=BB206_803 Depth=1
	v_mov_b32_e32 v21, 0x7f800001
	v_bfe_u32 v14, v13, 16, 7
	v_mov_b32_e32 v22, 0
	s_mov_b32 s18, exec_lo
	v_cmpx_ne_u32_e32 0x7f, v14
	s_cbranch_execz .LBB206_1166
; %bb.1163:                             ;   in Loop: Header=BB206_803 Depth=1
	v_mov_b32_e32 v6, 7
	v_lshrrev_b32_e32 v8, 3, v14
	s_mov_b32 s19, exec_lo
	v_and_b32_sdwa v6, v13, v6 dst_sel:DWORD dst_unused:UNUSED_PAD src0_sel:WORD_1 src1_sel:DWORD
	v_cmpx_gt_u32_e32 8, v14
; %bb.1164:                             ;   in Loop: Header=BB206_803 Depth=1
	v_ffbh_u32_e32 v8, v6
	v_min_u32_e32 v8, 32, v8
	v_subrev_nc_u32_e32 v14, 28, v8
	v_sub_nc_u32_e32 v8, 29, v8
	v_lshlrev_b64 v[21:22], v14, v[6:7]
	v_and_b32_e32 v6, 7, v21
; %bb.1165:                             ;   in Loop: Header=BB206_803 Depth=1
	s_or_b32 exec_lo, exec_lo, s19
	v_mov_b32_e32 v14, 24
	v_lshlrev_b32_e32 v6, 20, v6
	v_lshl_add_u32 v8, v8, 23, 0x3c000000
	v_lshlrev_b32_sdwa v14, v14, v13 dst_sel:DWORD dst_unused:UNUSED_PAD src0_sel:DWORD src1_sel:WORD_1
	v_and_b32_e32 v14, 0x80000000, v14
	v_or3_b32 v6, v6, v14, v8
	v_mov_b32_e32 v22, v7
	v_mov_b32_e32 v21, v6
.LBB206_1166:                           ;   in Loop: Header=BB206_803 Depth=1
	s_or_b32 exec_lo, exec_lo, s18
.LBB206_1167:                           ;   in Loop: Header=BB206_803 Depth=1
	s_or_b32 exec_lo, exec_lo, s17
.LBB206_1168:                           ;   in Loop: Header=BB206_803 Depth=1
	s_or_b32 exec_lo, exec_lo, s15
	s_mov_b32 s15, exec_lo
	v_cmpx_lt_u32_e32 0xffffff, v13
	s_cbranch_execz .LBB206_1176
; %bb.1169:                             ;   in Loop: Header=BB206_803 Depth=1
	v_mov_b32_e32 v8, v7
	v_mov_b32_e32 v11, v9
	v_cmp_ne_u32_sdwa s4, v13, v70 src0_sel:BYTE_3 src1_sel:DWORD
	v_mov_b32_e32 v10, v8
	s_and_saveexec_b32 s17, s4
	s_cbranch_execz .LBB206_1175
; %bb.1170:                             ;   in Loop: Header=BB206_803 Depth=1
	v_mov_b32_e32 v11, v7
	v_bfe_u32 v14, v13, 24, 7
	s_mov_b32 s18, exec_lo
	v_mov_b32_e32 v10, v11
	v_mov_b32_e32 v11, v12
	v_cmpx_ne_u32_e32 0x7f, v14
	s_cbranch_execz .LBB206_1174
; %bb.1171:                             ;   in Loop: Header=BB206_803 Depth=1
	v_mov_b32_e32 v6, 7
	v_lshrrev_b32_e32 v8, 3, v14
	s_mov_b32 s19, exec_lo
	v_and_b32_sdwa v6, v13, v6 dst_sel:DWORD dst_unused:UNUSED_PAD src0_sel:BYTE_3 src1_sel:DWORD
	v_cmpx_gt_u32_e32 8, v14
; %bb.1172:                             ;   in Loop: Header=BB206_803 Depth=1
	v_ffbh_u32_e32 v8, v6
	v_min_u32_e32 v8, 32, v8
	v_subrev_nc_u32_e32 v10, 28, v8
	v_sub_nc_u32_e32 v8, 29, v8
	v_lshlrev_b64 v[10:11], v10, v[6:7]
	v_and_b32_e32 v6, 7, v10
; %bb.1173:                             ;   in Loop: Header=BB206_803 Depth=1
	s_or_b32 exec_lo, exec_lo, s19
	v_mov_b32_e32 v10, 24
	v_lshlrev_b32_e32 v6, 20, v6
	v_lshl_add_u32 v8, v8, 23, 0x3c000000
	v_lshlrev_b32_sdwa v10, v10, v13 dst_sel:DWORD dst_unused:UNUSED_PAD src0_sel:DWORD src1_sel:BYTE_3
	v_and_b32_e32 v10, 0x80000000, v10
	v_or3_b32 v11, v6, v10, v8
	v_mov_b32_e32 v10, v7
.LBB206_1174:                           ;   in Loop: Header=BB206_803 Depth=1
	s_or_b32 exec_lo, exec_lo, s18
.LBB206_1175:                           ;   in Loop: Header=BB206_803 Depth=1
	s_or_b32 exec_lo, exec_lo, s17
.LBB206_1176:                           ;   in Loop: Header=BB206_803 Depth=1
	s_or_b32 exec_lo, exec_lo, s15
	v_or_b32_e32 v6, v18, v16
	v_or_b32_e32 v8, v17, v15
	;; [unrolled: 1-line block ×4, first 2 shown]
	v_mul_f32_e32 v104, v87, v6
	v_mul_f32_e32 v95, v87, v8
	;; [unrolled: 1-line block ×4, first 2 shown]
	s_and_saveexec_b32 s15, vcc_lo
	s_cbranch_execz .LBB206_1178
; %bb.1177:                             ;   in Loop: Header=BB206_803 Depth=1
	v_cmp_lt_i32_e64 s4, v100, v47
	v_cndmask_b32_e64 v95, 0, v95, s4
	v_cmp_lt_i32_e64 s4, v103, v47
	v_cndmask_b32_e64 v104, 0, v104, s4
	;; [unrolled: 2-line block ×4, first 2 shown]
.LBB206_1178:                           ;   in Loop: Header=BB206_803 Depth=1
	s_or_b32 exec_lo, exec_lo, s15
	flat_load_dword v13, v[0:1] offset:1408
	v_mov_b32_e32 v17, 0
	v_mov_b32_e32 v15, 0
	;; [unrolled: 1-line block ×4, first 2 shown]
	s_waitcnt vmcnt(0) lgkmcnt(0)
	v_cmp_ne_u16_sdwa s4, v13, v7 src0_sel:BYTE_0 src1_sel:DWORD
	s_and_saveexec_b32 s15, s4
	s_cbranch_execz .LBB206_1186
; %bb.1179:                             ;   in Loop: Header=BB206_803 Depth=1
	v_bfrev_b32_e32 v15, 1
	v_mov_b32_e32 v16, 0
	v_cmp_ne_u16_sdwa s4, v13, v70 src0_sel:BYTE_0 src1_sel:DWORD
	s_and_saveexec_b32 s17, s4
	s_cbranch_execz .LBB206_1185
; %bb.1180:                             ;   in Loop: Header=BB206_803 Depth=1
	v_mov_b32_e32 v15, 0x7f800001
	v_and_b32_e32 v10, 0x7f, v13
	v_mov_b32_e32 v16, 0
	s_mov_b32 s18, exec_lo
	v_cmpx_ne_u32_e32 0x7f, v10
	s_cbranch_execz .LBB206_1184
; %bb.1181:                             ;   in Loop: Header=BB206_803 Depth=1
	v_and_b32_e32 v6, 7, v13
	v_lshrrev_b32_e32 v8, 3, v10
	s_mov_b32 s19, exec_lo
	v_cmpx_gt_u32_e32 8, v10
; %bb.1182:                             ;   in Loop: Header=BB206_803 Depth=1
	v_ffbh_u32_e32 v8, v6
	v_min_u32_e32 v8, 32, v8
	v_subrev_nc_u32_e32 v10, 28, v8
	v_sub_nc_u32_e32 v8, 29, v8
	v_lshlrev_b64 v[10:11], v10, v[6:7]
	v_and_b32_e32 v6, 7, v10
; %bb.1183:                             ;   in Loop: Header=BB206_803 Depth=1
	s_or_b32 exec_lo, exec_lo, s19
	v_lshlrev_b32_e32 v10, 24, v13
	v_lshlrev_b32_e32 v6, 20, v6
	v_lshl_add_u32 v8, v8, 23, 0x3c000000
	v_and_b32_e32 v10, 0x80000000, v10
	v_or3_b32 v6, v6, v10, v8
	v_mov_b32_e32 v16, v7
	v_mov_b32_e32 v15, v6
.LBB206_1184:                           ;   in Loop: Header=BB206_803 Depth=1
	s_or_b32 exec_lo, exec_lo, s18
.LBB206_1185:                           ;   in Loop: Header=BB206_803 Depth=1
	s_or_b32 exec_lo, exec_lo, s17
.LBB206_1186:                           ;   in Loop: Header=BB206_803 Depth=1
	s_or_b32 exec_lo, exec_lo, s15
	v_cmp_ne_u16_sdwa s4, v13, v7 src0_sel:BYTE_1 src1_sel:DWORD
	s_and_saveexec_b32 s15, s4
	s_cbranch_execz .LBB206_1194
; %bb.1187:                             ;   in Loop: Header=BB206_803 Depth=1
	v_mov_b32_e32 v8, v7
	v_mov_b32_e32 v18, v9
	v_cmp_ne_u16_sdwa s4, v13, v70 src0_sel:BYTE_1 src1_sel:DWORD
	v_mov_b32_e32 v17, v8
	s_and_saveexec_b32 s17, s4
	s_cbranch_execz .LBB206_1193
; %bb.1188:                             ;   in Loop: Header=BB206_803 Depth=1
	v_and_b32_sdwa v6, v27, v13 dst_sel:DWORD dst_unused:UNUSED_PAD src0_sel:DWORD src1_sel:BYTE_1
	v_mov_b32_e32 v11, v7
	v_mov_b32_e32 v18, v12
	s_mov_b32 s18, exec_lo
	v_and_b32_e32 v10, 0x7f, v6
	v_mov_b32_e32 v17, v11
	v_cmpx_ne_u32_e32 0x7f, v10
	s_cbranch_execz .LBB206_1192
; %bb.1189:                             ;   in Loop: Header=BB206_803 Depth=1
	v_and_b32_e32 v6, 7, v6
	v_lshrrev_b32_e32 v8, 3, v10
	s_mov_b32 s19, exec_lo
	v_cmpx_gt_u32_e32 8, v10
; %bb.1190:                             ;   in Loop: Header=BB206_803 Depth=1
	v_ffbh_u32_e32 v8, v6
	v_min_u32_e32 v8, 32, v8
	v_subrev_nc_u32_e32 v10, 28, v8
	v_sub_nc_u32_e32 v8, 29, v8
	v_lshlrev_b64 v[10:11], v10, v[6:7]
	v_and_b32_e32 v6, 7, v10
; %bb.1191:                             ;   in Loop: Header=BB206_803 Depth=1
	s_or_b32 exec_lo, exec_lo, s19
	v_lshlrev_b32_e32 v10, 16, v13
	v_lshlrev_b32_e32 v6, 20, v6
	v_lshl_add_u32 v8, v8, 23, 0x3c000000
	v_mov_b32_e32 v17, v7
	v_and_b32_e32 v10, 0x80000000, v10
	v_or3_b32 v18, v6, v10, v8
.LBB206_1192:                           ;   in Loop: Header=BB206_803 Depth=1
	s_or_b32 exec_lo, exec_lo, s18
.LBB206_1193:                           ;   in Loop: Header=BB206_803 Depth=1
	s_or_b32 exec_lo, exec_lo, s17
.LBB206_1194:                           ;   in Loop: Header=BB206_803 Depth=1
	s_or_b32 exec_lo, exec_lo, s15
	v_mov_b32_e32 v10, 0
	v_mov_b32_e32 v21, 0
	v_and_b32_sdwa v6, v13, v80 dst_sel:DWORD dst_unused:UNUSED_PAD src0_sel:WORD_1 src1_sel:DWORD
	v_mov_b32_e32 v11, 0
	v_mov_b32_e32 v22, 0
	s_mov_b32 s15, exec_lo
	v_cmpx_ne_u16_e32 0, v6
	s_cbranch_execz .LBB206_1202
; %bb.1195:                             ;   in Loop: Header=BB206_803 Depth=1
	v_bfrev_b32_e32 v21, 1
	v_mov_b32_e32 v22, 0
	s_mov_b32 s17, exec_lo
	v_cmpx_ne_u16_e32 0x80, v6
	s_cbranch_execz .LBB206_1201
; %bb.1196:                             ;   in Loop: Header=BB206_803 Depth=1
	v_mov_b32_e32 v21, 0x7f800001
	v_bfe_u32 v14, v13, 16, 7
	v_mov_b32_e32 v22, 0
	s_mov_b32 s18, exec_lo
	v_cmpx_ne_u32_e32 0x7f, v14
	s_cbranch_execz .LBB206_1200
; %bb.1197:                             ;   in Loop: Header=BB206_803 Depth=1
	v_mov_b32_e32 v6, 7
	v_lshrrev_b32_e32 v8, 3, v14
	s_mov_b32 s19, exec_lo
	v_and_b32_sdwa v6, v13, v6 dst_sel:DWORD dst_unused:UNUSED_PAD src0_sel:WORD_1 src1_sel:DWORD
	v_cmpx_gt_u32_e32 8, v14
; %bb.1198:                             ;   in Loop: Header=BB206_803 Depth=1
	v_ffbh_u32_e32 v8, v6
	v_min_u32_e32 v8, 32, v8
	v_subrev_nc_u32_e32 v14, 28, v8
	v_sub_nc_u32_e32 v8, 29, v8
	v_lshlrev_b64 v[21:22], v14, v[6:7]
	v_and_b32_e32 v6, 7, v21
; %bb.1199:                             ;   in Loop: Header=BB206_803 Depth=1
	s_or_b32 exec_lo, exec_lo, s19
	v_mov_b32_e32 v14, 24
	v_lshlrev_b32_e32 v6, 20, v6
	v_lshl_add_u32 v8, v8, 23, 0x3c000000
	v_lshlrev_b32_sdwa v14, v14, v13 dst_sel:DWORD dst_unused:UNUSED_PAD src0_sel:DWORD src1_sel:WORD_1
	v_and_b32_e32 v14, 0x80000000, v14
	v_or3_b32 v6, v6, v14, v8
	v_mov_b32_e32 v22, v7
	v_mov_b32_e32 v21, v6
.LBB206_1200:                           ;   in Loop: Header=BB206_803 Depth=1
	s_or_b32 exec_lo, exec_lo, s18
.LBB206_1201:                           ;   in Loop: Header=BB206_803 Depth=1
	s_or_b32 exec_lo, exec_lo, s17
.LBB206_1202:                           ;   in Loop: Header=BB206_803 Depth=1
	s_or_b32 exec_lo, exec_lo, s15
	s_mov_b32 s15, exec_lo
	v_cmpx_lt_u32_e32 0xffffff, v13
	s_cbranch_execz .LBB206_1210
; %bb.1203:                             ;   in Loop: Header=BB206_803 Depth=1
	v_mov_b32_e32 v8, v7
	v_mov_b32_e32 v11, v9
	v_cmp_ne_u32_sdwa s4, v13, v70 src0_sel:BYTE_3 src1_sel:DWORD
	v_mov_b32_e32 v10, v8
	s_and_saveexec_b32 s17, s4
	s_cbranch_execz .LBB206_1209
; %bb.1204:                             ;   in Loop: Header=BB206_803 Depth=1
	v_mov_b32_e32 v11, v7
	v_bfe_u32 v14, v13, 24, 7
	s_mov_b32 s18, exec_lo
	v_mov_b32_e32 v10, v11
	v_mov_b32_e32 v11, v12
	v_cmpx_ne_u32_e32 0x7f, v14
	s_cbranch_execz .LBB206_1208
; %bb.1205:                             ;   in Loop: Header=BB206_803 Depth=1
	v_mov_b32_e32 v6, 7
	v_lshrrev_b32_e32 v8, 3, v14
	s_mov_b32 s19, exec_lo
	v_and_b32_sdwa v6, v13, v6 dst_sel:DWORD dst_unused:UNUSED_PAD src0_sel:BYTE_3 src1_sel:DWORD
	v_cmpx_gt_u32_e32 8, v14
; %bb.1206:                             ;   in Loop: Header=BB206_803 Depth=1
	v_ffbh_u32_e32 v8, v6
	v_min_u32_e32 v8, 32, v8
	v_subrev_nc_u32_e32 v10, 28, v8
	v_sub_nc_u32_e32 v8, 29, v8
	v_lshlrev_b64 v[10:11], v10, v[6:7]
	v_and_b32_e32 v6, 7, v10
; %bb.1207:                             ;   in Loop: Header=BB206_803 Depth=1
	s_or_b32 exec_lo, exec_lo, s19
	v_mov_b32_e32 v10, 24
	v_lshlrev_b32_e32 v6, 20, v6
	v_lshl_add_u32 v8, v8, 23, 0x3c000000
	v_lshlrev_b32_sdwa v10, v10, v13 dst_sel:DWORD dst_unused:UNUSED_PAD src0_sel:DWORD src1_sel:BYTE_3
	v_and_b32_e32 v10, 0x80000000, v10
	v_or3_b32 v11, v6, v10, v8
	v_mov_b32_e32 v10, v7
.LBB206_1208:                           ;   in Loop: Header=BB206_803 Depth=1
	s_or_b32 exec_lo, exec_lo, s18
.LBB206_1209:                           ;   in Loop: Header=BB206_803 Depth=1
	s_or_b32 exec_lo, exec_lo, s17
.LBB206_1210:                           ;   in Loop: Header=BB206_803 Depth=1
	s_or_b32 exec_lo, exec_lo, s15
	v_or_b32_e32 v6, v18, v16
	v_or_b32_e32 v8, v17, v15
	;; [unrolled: 1-line block ×4, first 2 shown]
	v_mul_f32_e32 v108, v87, v6
	v_mul_f32_e32 v107, v87, v8
	;; [unrolled: 1-line block ×4, first 2 shown]
	s_and_saveexec_b32 s15, vcc_lo
	s_cbranch_execz .LBB206_1212
; %bb.1211:                             ;   in Loop: Header=BB206_803 Depth=1
	v_cmp_lt_i32_e64 s4, v100, v47
	v_cndmask_b32_e64 v107, 0, v107, s4
	v_cmp_lt_i32_e64 s4, v103, v47
	v_cndmask_b32_e64 v108, 0, v108, s4
	;; [unrolled: 2-line block ×4, first 2 shown]
.LBB206_1212:                           ;   in Loop: Header=BB206_803 Depth=1
	s_or_b32 exec_lo, exec_lo, s15
	flat_load_dword v13, v[0:1] offset:1536
	v_mov_b32_e32 v17, 0
	v_mov_b32_e32 v15, 0
	;; [unrolled: 1-line block ×4, first 2 shown]
	s_waitcnt vmcnt(0) lgkmcnt(0)
	v_cmp_ne_u16_sdwa s4, v13, v7 src0_sel:BYTE_0 src1_sel:DWORD
	s_and_saveexec_b32 s15, s4
	s_cbranch_execz .LBB206_1220
; %bb.1213:                             ;   in Loop: Header=BB206_803 Depth=1
	v_bfrev_b32_e32 v15, 1
	v_mov_b32_e32 v16, 0
	v_cmp_ne_u16_sdwa s4, v13, v70 src0_sel:BYTE_0 src1_sel:DWORD
	s_and_saveexec_b32 s17, s4
	s_cbranch_execz .LBB206_1219
; %bb.1214:                             ;   in Loop: Header=BB206_803 Depth=1
	v_mov_b32_e32 v15, 0x7f800001
	v_and_b32_e32 v10, 0x7f, v13
	v_mov_b32_e32 v16, 0
	s_mov_b32 s18, exec_lo
	v_cmpx_ne_u32_e32 0x7f, v10
	s_cbranch_execz .LBB206_1218
; %bb.1215:                             ;   in Loop: Header=BB206_803 Depth=1
	v_and_b32_e32 v6, 7, v13
	v_lshrrev_b32_e32 v8, 3, v10
	s_mov_b32 s19, exec_lo
	v_cmpx_gt_u32_e32 8, v10
; %bb.1216:                             ;   in Loop: Header=BB206_803 Depth=1
	v_ffbh_u32_e32 v8, v6
	v_min_u32_e32 v8, 32, v8
	v_subrev_nc_u32_e32 v10, 28, v8
	v_sub_nc_u32_e32 v8, 29, v8
	v_lshlrev_b64 v[10:11], v10, v[6:7]
	v_and_b32_e32 v6, 7, v10
; %bb.1217:                             ;   in Loop: Header=BB206_803 Depth=1
	s_or_b32 exec_lo, exec_lo, s19
	v_lshlrev_b32_e32 v10, 24, v13
	v_lshlrev_b32_e32 v6, 20, v6
	v_lshl_add_u32 v8, v8, 23, 0x3c000000
	v_and_b32_e32 v10, 0x80000000, v10
	v_or3_b32 v6, v6, v10, v8
	v_mov_b32_e32 v16, v7
	v_mov_b32_e32 v15, v6
.LBB206_1218:                           ;   in Loop: Header=BB206_803 Depth=1
	s_or_b32 exec_lo, exec_lo, s18
.LBB206_1219:                           ;   in Loop: Header=BB206_803 Depth=1
	s_or_b32 exec_lo, exec_lo, s17
.LBB206_1220:                           ;   in Loop: Header=BB206_803 Depth=1
	s_or_b32 exec_lo, exec_lo, s15
	v_cmp_ne_u16_sdwa s4, v13, v7 src0_sel:BYTE_1 src1_sel:DWORD
	s_and_saveexec_b32 s15, s4
	s_cbranch_execz .LBB206_1228
; %bb.1221:                             ;   in Loop: Header=BB206_803 Depth=1
	v_mov_b32_e32 v8, v7
	v_mov_b32_e32 v18, v9
	v_cmp_ne_u16_sdwa s4, v13, v70 src0_sel:BYTE_1 src1_sel:DWORD
	v_mov_b32_e32 v17, v8
	s_and_saveexec_b32 s17, s4
	s_cbranch_execz .LBB206_1227
; %bb.1222:                             ;   in Loop: Header=BB206_803 Depth=1
	v_and_b32_sdwa v6, v27, v13 dst_sel:DWORD dst_unused:UNUSED_PAD src0_sel:DWORD src1_sel:BYTE_1
	v_mov_b32_e32 v11, v7
	v_mov_b32_e32 v18, v12
	s_mov_b32 s18, exec_lo
	v_and_b32_e32 v10, 0x7f, v6
	v_mov_b32_e32 v17, v11
	v_cmpx_ne_u32_e32 0x7f, v10
	s_cbranch_execz .LBB206_1226
; %bb.1223:                             ;   in Loop: Header=BB206_803 Depth=1
	v_and_b32_e32 v6, 7, v6
	v_lshrrev_b32_e32 v8, 3, v10
	s_mov_b32 s19, exec_lo
	v_cmpx_gt_u32_e32 8, v10
; %bb.1224:                             ;   in Loop: Header=BB206_803 Depth=1
	v_ffbh_u32_e32 v8, v6
	v_min_u32_e32 v8, 32, v8
	v_subrev_nc_u32_e32 v10, 28, v8
	v_sub_nc_u32_e32 v8, 29, v8
	v_lshlrev_b64 v[10:11], v10, v[6:7]
	v_and_b32_e32 v6, 7, v10
; %bb.1225:                             ;   in Loop: Header=BB206_803 Depth=1
	s_or_b32 exec_lo, exec_lo, s19
	v_lshlrev_b32_e32 v10, 16, v13
	v_lshlrev_b32_e32 v6, 20, v6
	v_lshl_add_u32 v8, v8, 23, 0x3c000000
	v_mov_b32_e32 v17, v7
	v_and_b32_e32 v10, 0x80000000, v10
	v_or3_b32 v18, v6, v10, v8
.LBB206_1226:                           ;   in Loop: Header=BB206_803 Depth=1
	s_or_b32 exec_lo, exec_lo, s18
.LBB206_1227:                           ;   in Loop: Header=BB206_803 Depth=1
	s_or_b32 exec_lo, exec_lo, s17
.LBB206_1228:                           ;   in Loop: Header=BB206_803 Depth=1
	s_or_b32 exec_lo, exec_lo, s15
	v_mov_b32_e32 v10, 0
	v_mov_b32_e32 v21, 0
	v_and_b32_sdwa v6, v13, v80 dst_sel:DWORD dst_unused:UNUSED_PAD src0_sel:WORD_1 src1_sel:DWORD
	v_mov_b32_e32 v11, 0
	v_mov_b32_e32 v22, 0
	s_mov_b32 s15, exec_lo
	v_cmpx_ne_u16_e32 0, v6
	s_cbranch_execz .LBB206_1236
; %bb.1229:                             ;   in Loop: Header=BB206_803 Depth=1
	v_bfrev_b32_e32 v21, 1
	v_mov_b32_e32 v22, 0
	s_mov_b32 s17, exec_lo
	v_cmpx_ne_u16_e32 0x80, v6
	s_cbranch_execz .LBB206_1235
; %bb.1230:                             ;   in Loop: Header=BB206_803 Depth=1
	v_mov_b32_e32 v21, 0x7f800001
	v_bfe_u32 v14, v13, 16, 7
	v_mov_b32_e32 v22, 0
	s_mov_b32 s18, exec_lo
	v_cmpx_ne_u32_e32 0x7f, v14
	s_cbranch_execz .LBB206_1234
; %bb.1231:                             ;   in Loop: Header=BB206_803 Depth=1
	v_mov_b32_e32 v6, 7
	v_lshrrev_b32_e32 v8, 3, v14
	s_mov_b32 s19, exec_lo
	v_and_b32_sdwa v6, v13, v6 dst_sel:DWORD dst_unused:UNUSED_PAD src0_sel:WORD_1 src1_sel:DWORD
	v_cmpx_gt_u32_e32 8, v14
; %bb.1232:                             ;   in Loop: Header=BB206_803 Depth=1
	v_ffbh_u32_e32 v8, v6
	v_min_u32_e32 v8, 32, v8
	v_subrev_nc_u32_e32 v14, 28, v8
	v_sub_nc_u32_e32 v8, 29, v8
	v_lshlrev_b64 v[21:22], v14, v[6:7]
	v_and_b32_e32 v6, 7, v21
; %bb.1233:                             ;   in Loop: Header=BB206_803 Depth=1
	s_or_b32 exec_lo, exec_lo, s19
	v_mov_b32_e32 v14, 24
	v_lshlrev_b32_e32 v6, 20, v6
	v_lshl_add_u32 v8, v8, 23, 0x3c000000
	v_lshlrev_b32_sdwa v14, v14, v13 dst_sel:DWORD dst_unused:UNUSED_PAD src0_sel:DWORD src1_sel:WORD_1
	v_and_b32_e32 v14, 0x80000000, v14
	v_or3_b32 v6, v6, v14, v8
	v_mov_b32_e32 v22, v7
	v_mov_b32_e32 v21, v6
.LBB206_1234:                           ;   in Loop: Header=BB206_803 Depth=1
	s_or_b32 exec_lo, exec_lo, s18
.LBB206_1235:                           ;   in Loop: Header=BB206_803 Depth=1
	s_or_b32 exec_lo, exec_lo, s17
.LBB206_1236:                           ;   in Loop: Header=BB206_803 Depth=1
	s_or_b32 exec_lo, exec_lo, s15
	s_mov_b32 s15, exec_lo
	v_cmpx_lt_u32_e32 0xffffff, v13
	s_cbranch_execz .LBB206_1244
; %bb.1237:                             ;   in Loop: Header=BB206_803 Depth=1
	v_mov_b32_e32 v8, v7
	v_mov_b32_e32 v11, v9
	v_cmp_ne_u32_sdwa s4, v13, v70 src0_sel:BYTE_3 src1_sel:DWORD
	v_mov_b32_e32 v10, v8
	s_and_saveexec_b32 s17, s4
	s_cbranch_execz .LBB206_1243
; %bb.1238:                             ;   in Loop: Header=BB206_803 Depth=1
	v_mov_b32_e32 v11, v7
	v_bfe_u32 v14, v13, 24, 7
	s_mov_b32 s18, exec_lo
	v_mov_b32_e32 v10, v11
	v_mov_b32_e32 v11, v12
	v_cmpx_ne_u32_e32 0x7f, v14
	s_cbranch_execz .LBB206_1242
; %bb.1239:                             ;   in Loop: Header=BB206_803 Depth=1
	v_mov_b32_e32 v6, 7
	v_lshrrev_b32_e32 v8, 3, v14
	s_mov_b32 s19, exec_lo
	v_and_b32_sdwa v6, v13, v6 dst_sel:DWORD dst_unused:UNUSED_PAD src0_sel:BYTE_3 src1_sel:DWORD
	v_cmpx_gt_u32_e32 8, v14
; %bb.1240:                             ;   in Loop: Header=BB206_803 Depth=1
	v_ffbh_u32_e32 v8, v6
	v_min_u32_e32 v8, 32, v8
	v_subrev_nc_u32_e32 v10, 28, v8
	v_sub_nc_u32_e32 v8, 29, v8
	v_lshlrev_b64 v[10:11], v10, v[6:7]
	v_and_b32_e32 v6, 7, v10
; %bb.1241:                             ;   in Loop: Header=BB206_803 Depth=1
	s_or_b32 exec_lo, exec_lo, s19
	v_mov_b32_e32 v10, 24
	v_lshlrev_b32_e32 v6, 20, v6
	v_lshl_add_u32 v8, v8, 23, 0x3c000000
	v_lshlrev_b32_sdwa v10, v10, v13 dst_sel:DWORD dst_unused:UNUSED_PAD src0_sel:DWORD src1_sel:BYTE_3
	v_and_b32_e32 v10, 0x80000000, v10
	v_or3_b32 v11, v6, v10, v8
	v_mov_b32_e32 v10, v7
.LBB206_1242:                           ;   in Loop: Header=BB206_803 Depth=1
	s_or_b32 exec_lo, exec_lo, s18
.LBB206_1243:                           ;   in Loop: Header=BB206_803 Depth=1
	s_or_b32 exec_lo, exec_lo, s17
.LBB206_1244:                           ;   in Loop: Header=BB206_803 Depth=1
	s_or_b32 exec_lo, exec_lo, s15
	v_or_b32_e32 v6, v18, v16
	v_or_b32_e32 v8, v17, v15
	v_or_b32_e32 v10, v10, v21
	v_or_b32_e32 v11, v11, v22
	v_mul_f32_e32 v120, v87, v6
	v_mul_f32_e32 v111, v87, v8
	;; [unrolled: 1-line block ×4, first 2 shown]
	s_and_saveexec_b32 s15, vcc_lo
	s_cbranch_execz .LBB206_1246
; %bb.1245:                             ;   in Loop: Header=BB206_803 Depth=1
	v_cmp_lt_i32_e64 s4, v100, v47
	v_cndmask_b32_e64 v111, 0, v111, s4
	v_cmp_lt_i32_e64 s4, v103, v47
	v_cndmask_b32_e64 v120, 0, v120, s4
	v_cmp_lt_i32_e64 s4, v102, v47
	v_cndmask_b32_e64 v110, 0, v110, s4
	v_cmp_lt_i32_e64 s4, v101, v47
	v_cndmask_b32_e64 v109, 0, v109, s4
.LBB206_1246:                           ;   in Loop: Header=BB206_803 Depth=1
	s_or_b32 exec_lo, exec_lo, s15
	flat_load_dword v13, v[0:1] offset:1664
	v_mov_b32_e32 v17, 0
	v_mov_b32_e32 v15, 0
	;; [unrolled: 1-line block ×4, first 2 shown]
	s_waitcnt vmcnt(0) lgkmcnt(0)
	v_cmp_ne_u16_sdwa s4, v13, v7 src0_sel:BYTE_0 src1_sel:DWORD
	s_and_saveexec_b32 s15, s4
	s_cbranch_execz .LBB206_1254
; %bb.1247:                             ;   in Loop: Header=BB206_803 Depth=1
	v_bfrev_b32_e32 v15, 1
	v_mov_b32_e32 v16, 0
	v_cmp_ne_u16_sdwa s4, v13, v70 src0_sel:BYTE_0 src1_sel:DWORD
	s_and_saveexec_b32 s17, s4
	s_cbranch_execz .LBB206_1253
; %bb.1248:                             ;   in Loop: Header=BB206_803 Depth=1
	v_mov_b32_e32 v15, 0x7f800001
	v_and_b32_e32 v10, 0x7f, v13
	v_mov_b32_e32 v16, 0
	s_mov_b32 s18, exec_lo
	v_cmpx_ne_u32_e32 0x7f, v10
	s_cbranch_execz .LBB206_1252
; %bb.1249:                             ;   in Loop: Header=BB206_803 Depth=1
	v_and_b32_e32 v6, 7, v13
	v_lshrrev_b32_e32 v8, 3, v10
	s_mov_b32 s19, exec_lo
	v_cmpx_gt_u32_e32 8, v10
; %bb.1250:                             ;   in Loop: Header=BB206_803 Depth=1
	v_ffbh_u32_e32 v8, v6
	v_min_u32_e32 v8, 32, v8
	v_subrev_nc_u32_e32 v10, 28, v8
	v_sub_nc_u32_e32 v8, 29, v8
	v_lshlrev_b64 v[10:11], v10, v[6:7]
	v_and_b32_e32 v6, 7, v10
; %bb.1251:                             ;   in Loop: Header=BB206_803 Depth=1
	s_or_b32 exec_lo, exec_lo, s19
	v_lshlrev_b32_e32 v10, 24, v13
	v_lshlrev_b32_e32 v6, 20, v6
	v_lshl_add_u32 v8, v8, 23, 0x3c000000
	v_and_b32_e32 v10, 0x80000000, v10
	v_or3_b32 v6, v6, v10, v8
	v_mov_b32_e32 v16, v7
	v_mov_b32_e32 v15, v6
.LBB206_1252:                           ;   in Loop: Header=BB206_803 Depth=1
	s_or_b32 exec_lo, exec_lo, s18
.LBB206_1253:                           ;   in Loop: Header=BB206_803 Depth=1
	s_or_b32 exec_lo, exec_lo, s17
.LBB206_1254:                           ;   in Loop: Header=BB206_803 Depth=1
	s_or_b32 exec_lo, exec_lo, s15
	v_cmp_ne_u16_sdwa s4, v13, v7 src0_sel:BYTE_1 src1_sel:DWORD
	s_and_saveexec_b32 s15, s4
	s_cbranch_execz .LBB206_1262
; %bb.1255:                             ;   in Loop: Header=BB206_803 Depth=1
	v_mov_b32_e32 v8, v7
	v_mov_b32_e32 v18, v9
	v_cmp_ne_u16_sdwa s4, v13, v70 src0_sel:BYTE_1 src1_sel:DWORD
	v_mov_b32_e32 v17, v8
	s_and_saveexec_b32 s17, s4
	s_cbranch_execz .LBB206_1261
; %bb.1256:                             ;   in Loop: Header=BB206_803 Depth=1
	v_and_b32_sdwa v6, v27, v13 dst_sel:DWORD dst_unused:UNUSED_PAD src0_sel:DWORD src1_sel:BYTE_1
	v_mov_b32_e32 v11, v7
	v_mov_b32_e32 v18, v12
	s_mov_b32 s18, exec_lo
	v_and_b32_e32 v10, 0x7f, v6
	v_mov_b32_e32 v17, v11
	v_cmpx_ne_u32_e32 0x7f, v10
	s_cbranch_execz .LBB206_1260
; %bb.1257:                             ;   in Loop: Header=BB206_803 Depth=1
	v_and_b32_e32 v6, 7, v6
	v_lshrrev_b32_e32 v8, 3, v10
	s_mov_b32 s19, exec_lo
	v_cmpx_gt_u32_e32 8, v10
; %bb.1258:                             ;   in Loop: Header=BB206_803 Depth=1
	v_ffbh_u32_e32 v8, v6
	v_min_u32_e32 v8, 32, v8
	v_subrev_nc_u32_e32 v10, 28, v8
	v_sub_nc_u32_e32 v8, 29, v8
	v_lshlrev_b64 v[10:11], v10, v[6:7]
	v_and_b32_e32 v6, 7, v10
; %bb.1259:                             ;   in Loop: Header=BB206_803 Depth=1
	s_or_b32 exec_lo, exec_lo, s19
	v_lshlrev_b32_e32 v10, 16, v13
	v_lshlrev_b32_e32 v6, 20, v6
	v_lshl_add_u32 v8, v8, 23, 0x3c000000
	v_mov_b32_e32 v17, v7
	v_and_b32_e32 v10, 0x80000000, v10
	v_or3_b32 v18, v6, v10, v8
.LBB206_1260:                           ;   in Loop: Header=BB206_803 Depth=1
	s_or_b32 exec_lo, exec_lo, s18
.LBB206_1261:                           ;   in Loop: Header=BB206_803 Depth=1
	s_or_b32 exec_lo, exec_lo, s17
.LBB206_1262:                           ;   in Loop: Header=BB206_803 Depth=1
	s_or_b32 exec_lo, exec_lo, s15
	v_mov_b32_e32 v10, 0
	v_mov_b32_e32 v21, 0
	v_and_b32_sdwa v6, v13, v80 dst_sel:DWORD dst_unused:UNUSED_PAD src0_sel:WORD_1 src1_sel:DWORD
	v_mov_b32_e32 v11, 0
	v_mov_b32_e32 v22, 0
	s_mov_b32 s15, exec_lo
	v_cmpx_ne_u16_e32 0, v6
	s_cbranch_execz .LBB206_1270
; %bb.1263:                             ;   in Loop: Header=BB206_803 Depth=1
	v_bfrev_b32_e32 v21, 1
	v_mov_b32_e32 v22, 0
	s_mov_b32 s17, exec_lo
	v_cmpx_ne_u16_e32 0x80, v6
	s_cbranch_execz .LBB206_1269
; %bb.1264:                             ;   in Loop: Header=BB206_803 Depth=1
	v_mov_b32_e32 v21, 0x7f800001
	v_bfe_u32 v14, v13, 16, 7
	v_mov_b32_e32 v22, 0
	s_mov_b32 s18, exec_lo
	v_cmpx_ne_u32_e32 0x7f, v14
	s_cbranch_execz .LBB206_1268
; %bb.1265:                             ;   in Loop: Header=BB206_803 Depth=1
	v_mov_b32_e32 v6, 7
	v_lshrrev_b32_e32 v8, 3, v14
	s_mov_b32 s19, exec_lo
	v_and_b32_sdwa v6, v13, v6 dst_sel:DWORD dst_unused:UNUSED_PAD src0_sel:WORD_1 src1_sel:DWORD
	v_cmpx_gt_u32_e32 8, v14
; %bb.1266:                             ;   in Loop: Header=BB206_803 Depth=1
	v_ffbh_u32_e32 v8, v6
	v_min_u32_e32 v8, 32, v8
	v_subrev_nc_u32_e32 v14, 28, v8
	v_sub_nc_u32_e32 v8, 29, v8
	v_lshlrev_b64 v[21:22], v14, v[6:7]
	v_and_b32_e32 v6, 7, v21
; %bb.1267:                             ;   in Loop: Header=BB206_803 Depth=1
	s_or_b32 exec_lo, exec_lo, s19
	v_mov_b32_e32 v14, 24
	v_lshlrev_b32_e32 v6, 20, v6
	v_lshl_add_u32 v8, v8, 23, 0x3c000000
	v_lshlrev_b32_sdwa v14, v14, v13 dst_sel:DWORD dst_unused:UNUSED_PAD src0_sel:DWORD src1_sel:WORD_1
	v_and_b32_e32 v14, 0x80000000, v14
	v_or3_b32 v6, v6, v14, v8
	v_mov_b32_e32 v22, v7
	v_mov_b32_e32 v21, v6
.LBB206_1268:                           ;   in Loop: Header=BB206_803 Depth=1
	s_or_b32 exec_lo, exec_lo, s18
.LBB206_1269:                           ;   in Loop: Header=BB206_803 Depth=1
	s_or_b32 exec_lo, exec_lo, s17
.LBB206_1270:                           ;   in Loop: Header=BB206_803 Depth=1
	s_or_b32 exec_lo, exec_lo, s15
	s_mov_b32 s15, exec_lo
	v_cmpx_lt_u32_e32 0xffffff, v13
	s_cbranch_execz .LBB206_1278
; %bb.1271:                             ;   in Loop: Header=BB206_803 Depth=1
	v_mov_b32_e32 v8, v7
	v_mov_b32_e32 v11, v9
	v_cmp_ne_u32_sdwa s4, v13, v70 src0_sel:BYTE_3 src1_sel:DWORD
	v_mov_b32_e32 v10, v8
	s_and_saveexec_b32 s17, s4
	s_cbranch_execz .LBB206_1277
; %bb.1272:                             ;   in Loop: Header=BB206_803 Depth=1
	v_mov_b32_e32 v11, v7
	v_bfe_u32 v14, v13, 24, 7
	s_mov_b32 s18, exec_lo
	v_mov_b32_e32 v10, v11
	v_mov_b32_e32 v11, v12
	v_cmpx_ne_u32_e32 0x7f, v14
	s_cbranch_execz .LBB206_1276
; %bb.1273:                             ;   in Loop: Header=BB206_803 Depth=1
	v_mov_b32_e32 v6, 7
	v_lshrrev_b32_e32 v8, 3, v14
	s_mov_b32 s19, exec_lo
	v_and_b32_sdwa v6, v13, v6 dst_sel:DWORD dst_unused:UNUSED_PAD src0_sel:BYTE_3 src1_sel:DWORD
	v_cmpx_gt_u32_e32 8, v14
; %bb.1274:                             ;   in Loop: Header=BB206_803 Depth=1
	v_ffbh_u32_e32 v8, v6
	v_min_u32_e32 v8, 32, v8
	v_subrev_nc_u32_e32 v10, 28, v8
	v_sub_nc_u32_e32 v8, 29, v8
	v_lshlrev_b64 v[10:11], v10, v[6:7]
	v_and_b32_e32 v6, 7, v10
; %bb.1275:                             ;   in Loop: Header=BB206_803 Depth=1
	s_or_b32 exec_lo, exec_lo, s19
	v_mov_b32_e32 v10, 24
	v_lshlrev_b32_e32 v6, 20, v6
	v_lshl_add_u32 v8, v8, 23, 0x3c000000
	v_lshlrev_b32_sdwa v10, v10, v13 dst_sel:DWORD dst_unused:UNUSED_PAD src0_sel:DWORD src1_sel:BYTE_3
	v_and_b32_e32 v10, 0x80000000, v10
	v_or3_b32 v11, v6, v10, v8
	v_mov_b32_e32 v10, v7
.LBB206_1276:                           ;   in Loop: Header=BB206_803 Depth=1
	s_or_b32 exec_lo, exec_lo, s18
.LBB206_1277:                           ;   in Loop: Header=BB206_803 Depth=1
	s_or_b32 exec_lo, exec_lo, s17
.LBB206_1278:                           ;   in Loop: Header=BB206_803 Depth=1
	s_or_b32 exec_lo, exec_lo, s15
	v_or_b32_e32 v6, v18, v16
	v_or_b32_e32 v8, v17, v15
	;; [unrolled: 1-line block ×4, first 2 shown]
	v_mul_f32_e32 v124, v87, v6
	v_mul_f32_e32 v123, v87, v8
	;; [unrolled: 1-line block ×4, first 2 shown]
	s_and_saveexec_b32 s15, vcc_lo
	s_cbranch_execz .LBB206_1280
; %bb.1279:                             ;   in Loop: Header=BB206_803 Depth=1
	v_cmp_lt_i32_e64 s4, v100, v47
	v_cndmask_b32_e64 v123, 0, v123, s4
	v_cmp_lt_i32_e64 s4, v103, v47
	v_cndmask_b32_e64 v124, 0, v124, s4
	v_cmp_lt_i32_e64 s4, v102, v47
	v_cndmask_b32_e64 v122, 0, v122, s4
	v_cmp_lt_i32_e64 s4, v101, v47
	v_cndmask_b32_e64 v121, 0, v121, s4
.LBB206_1280:                           ;   in Loop: Header=BB206_803 Depth=1
	s_or_b32 exec_lo, exec_lo, s15
	flat_load_dword v13, v[0:1] offset:1792
	v_mov_b32_e32 v17, 0
	v_mov_b32_e32 v15, 0
	;; [unrolled: 1-line block ×4, first 2 shown]
	s_waitcnt vmcnt(0) lgkmcnt(0)
	v_cmp_ne_u16_sdwa s4, v13, v7 src0_sel:BYTE_0 src1_sel:DWORD
	s_and_saveexec_b32 s15, s4
	s_cbranch_execz .LBB206_1288
; %bb.1281:                             ;   in Loop: Header=BB206_803 Depth=1
	v_bfrev_b32_e32 v15, 1
	v_mov_b32_e32 v16, 0
	v_cmp_ne_u16_sdwa s4, v13, v70 src0_sel:BYTE_0 src1_sel:DWORD
	s_and_saveexec_b32 s17, s4
	s_cbranch_execz .LBB206_1287
; %bb.1282:                             ;   in Loop: Header=BB206_803 Depth=1
	v_mov_b32_e32 v15, 0x7f800001
	v_and_b32_e32 v10, 0x7f, v13
	v_mov_b32_e32 v16, 0
	s_mov_b32 s18, exec_lo
	v_cmpx_ne_u32_e32 0x7f, v10
	s_cbranch_execz .LBB206_1286
; %bb.1283:                             ;   in Loop: Header=BB206_803 Depth=1
	v_and_b32_e32 v6, 7, v13
	v_lshrrev_b32_e32 v8, 3, v10
	s_mov_b32 s19, exec_lo
	v_cmpx_gt_u32_e32 8, v10
; %bb.1284:                             ;   in Loop: Header=BB206_803 Depth=1
	v_ffbh_u32_e32 v8, v6
	v_min_u32_e32 v8, 32, v8
	v_subrev_nc_u32_e32 v10, 28, v8
	v_sub_nc_u32_e32 v8, 29, v8
	v_lshlrev_b64 v[10:11], v10, v[6:7]
	v_and_b32_e32 v6, 7, v10
; %bb.1285:                             ;   in Loop: Header=BB206_803 Depth=1
	s_or_b32 exec_lo, exec_lo, s19
	v_lshlrev_b32_e32 v10, 24, v13
	v_lshlrev_b32_e32 v6, 20, v6
	v_lshl_add_u32 v8, v8, 23, 0x3c000000
	v_and_b32_e32 v10, 0x80000000, v10
	v_or3_b32 v6, v6, v10, v8
	v_mov_b32_e32 v16, v7
	v_mov_b32_e32 v15, v6
.LBB206_1286:                           ;   in Loop: Header=BB206_803 Depth=1
	s_or_b32 exec_lo, exec_lo, s18
.LBB206_1287:                           ;   in Loop: Header=BB206_803 Depth=1
	s_or_b32 exec_lo, exec_lo, s17
.LBB206_1288:                           ;   in Loop: Header=BB206_803 Depth=1
	s_or_b32 exec_lo, exec_lo, s15
	v_cmp_ne_u16_sdwa s4, v13, v7 src0_sel:BYTE_1 src1_sel:DWORD
	s_and_saveexec_b32 s15, s4
	s_cbranch_execz .LBB206_1296
; %bb.1289:                             ;   in Loop: Header=BB206_803 Depth=1
	v_mov_b32_e32 v8, v7
	v_mov_b32_e32 v18, v9
	v_cmp_ne_u16_sdwa s4, v13, v70 src0_sel:BYTE_1 src1_sel:DWORD
	v_mov_b32_e32 v17, v8
	s_and_saveexec_b32 s17, s4
	s_cbranch_execz .LBB206_1295
; %bb.1290:                             ;   in Loop: Header=BB206_803 Depth=1
	v_and_b32_sdwa v6, v27, v13 dst_sel:DWORD dst_unused:UNUSED_PAD src0_sel:DWORD src1_sel:BYTE_1
	v_mov_b32_e32 v11, v7
	v_mov_b32_e32 v18, v12
	s_mov_b32 s18, exec_lo
	v_and_b32_e32 v10, 0x7f, v6
	v_mov_b32_e32 v17, v11
	v_cmpx_ne_u32_e32 0x7f, v10
	s_cbranch_execz .LBB206_1294
; %bb.1291:                             ;   in Loop: Header=BB206_803 Depth=1
	v_and_b32_e32 v6, 7, v6
	v_lshrrev_b32_e32 v8, 3, v10
	s_mov_b32 s19, exec_lo
	v_cmpx_gt_u32_e32 8, v10
; %bb.1292:                             ;   in Loop: Header=BB206_803 Depth=1
	v_ffbh_u32_e32 v8, v6
	v_min_u32_e32 v8, 32, v8
	v_subrev_nc_u32_e32 v10, 28, v8
	v_sub_nc_u32_e32 v8, 29, v8
	v_lshlrev_b64 v[10:11], v10, v[6:7]
	v_and_b32_e32 v6, 7, v10
; %bb.1293:                             ;   in Loop: Header=BB206_803 Depth=1
	s_or_b32 exec_lo, exec_lo, s19
	v_lshlrev_b32_e32 v10, 16, v13
	v_lshlrev_b32_e32 v6, 20, v6
	v_lshl_add_u32 v8, v8, 23, 0x3c000000
	v_mov_b32_e32 v17, v7
	v_and_b32_e32 v10, 0x80000000, v10
	v_or3_b32 v18, v6, v10, v8
.LBB206_1294:                           ;   in Loop: Header=BB206_803 Depth=1
	s_or_b32 exec_lo, exec_lo, s18
.LBB206_1295:                           ;   in Loop: Header=BB206_803 Depth=1
	s_or_b32 exec_lo, exec_lo, s17
.LBB206_1296:                           ;   in Loop: Header=BB206_803 Depth=1
	s_or_b32 exec_lo, exec_lo, s15
	v_mov_b32_e32 v10, 0
	v_mov_b32_e32 v21, 0
	v_and_b32_sdwa v6, v13, v80 dst_sel:DWORD dst_unused:UNUSED_PAD src0_sel:WORD_1 src1_sel:DWORD
	v_mov_b32_e32 v11, 0
	v_mov_b32_e32 v22, 0
	s_mov_b32 s15, exec_lo
	v_cmpx_ne_u16_e32 0, v6
	s_cbranch_execz .LBB206_1304
; %bb.1297:                             ;   in Loop: Header=BB206_803 Depth=1
	v_bfrev_b32_e32 v21, 1
	v_mov_b32_e32 v22, 0
	s_mov_b32 s17, exec_lo
	v_cmpx_ne_u16_e32 0x80, v6
	s_cbranch_execz .LBB206_1303
; %bb.1298:                             ;   in Loop: Header=BB206_803 Depth=1
	v_mov_b32_e32 v21, 0x7f800001
	v_bfe_u32 v14, v13, 16, 7
	v_mov_b32_e32 v22, 0
	s_mov_b32 s18, exec_lo
	v_cmpx_ne_u32_e32 0x7f, v14
	s_cbranch_execz .LBB206_1302
; %bb.1299:                             ;   in Loop: Header=BB206_803 Depth=1
	v_mov_b32_e32 v6, 7
	v_lshrrev_b32_e32 v8, 3, v14
	s_mov_b32 s19, exec_lo
	v_and_b32_sdwa v6, v13, v6 dst_sel:DWORD dst_unused:UNUSED_PAD src0_sel:WORD_1 src1_sel:DWORD
	v_cmpx_gt_u32_e32 8, v14
; %bb.1300:                             ;   in Loop: Header=BB206_803 Depth=1
	v_ffbh_u32_e32 v8, v6
	v_min_u32_e32 v8, 32, v8
	v_subrev_nc_u32_e32 v14, 28, v8
	v_sub_nc_u32_e32 v8, 29, v8
	v_lshlrev_b64 v[21:22], v14, v[6:7]
	v_and_b32_e32 v6, 7, v21
; %bb.1301:                             ;   in Loop: Header=BB206_803 Depth=1
	s_or_b32 exec_lo, exec_lo, s19
	v_mov_b32_e32 v14, 24
	v_lshlrev_b32_e32 v6, 20, v6
	v_lshl_add_u32 v8, v8, 23, 0x3c000000
	v_lshlrev_b32_sdwa v14, v14, v13 dst_sel:DWORD dst_unused:UNUSED_PAD src0_sel:DWORD src1_sel:WORD_1
	v_and_b32_e32 v14, 0x80000000, v14
	v_or3_b32 v6, v6, v14, v8
	v_mov_b32_e32 v22, v7
	v_mov_b32_e32 v21, v6
.LBB206_1302:                           ;   in Loop: Header=BB206_803 Depth=1
	s_or_b32 exec_lo, exec_lo, s18
.LBB206_1303:                           ;   in Loop: Header=BB206_803 Depth=1
	s_or_b32 exec_lo, exec_lo, s17
.LBB206_1304:                           ;   in Loop: Header=BB206_803 Depth=1
	s_or_b32 exec_lo, exec_lo, s15
	s_mov_b32 s15, exec_lo
	v_cmpx_lt_u32_e32 0xffffff, v13
	s_cbranch_execz .LBB206_1312
; %bb.1305:                             ;   in Loop: Header=BB206_803 Depth=1
	v_mov_b32_e32 v8, v7
	v_mov_b32_e32 v11, v9
	v_cmp_ne_u32_sdwa s4, v13, v70 src0_sel:BYTE_3 src1_sel:DWORD
	v_mov_b32_e32 v10, v8
	s_and_saveexec_b32 s17, s4
	s_cbranch_execz .LBB206_1311
; %bb.1306:                             ;   in Loop: Header=BB206_803 Depth=1
	v_mov_b32_e32 v11, v7
	v_bfe_u32 v14, v13, 24, 7
	s_mov_b32 s18, exec_lo
	v_mov_b32_e32 v10, v11
	v_mov_b32_e32 v11, v12
	v_cmpx_ne_u32_e32 0x7f, v14
	s_cbranch_execz .LBB206_1310
; %bb.1307:                             ;   in Loop: Header=BB206_803 Depth=1
	v_mov_b32_e32 v6, 7
	v_lshrrev_b32_e32 v8, 3, v14
	s_mov_b32 s19, exec_lo
	v_and_b32_sdwa v6, v13, v6 dst_sel:DWORD dst_unused:UNUSED_PAD src0_sel:BYTE_3 src1_sel:DWORD
	v_cmpx_gt_u32_e32 8, v14
; %bb.1308:                             ;   in Loop: Header=BB206_803 Depth=1
	v_ffbh_u32_e32 v8, v6
	v_min_u32_e32 v8, 32, v8
	v_subrev_nc_u32_e32 v10, 28, v8
	v_sub_nc_u32_e32 v8, 29, v8
	v_lshlrev_b64 v[10:11], v10, v[6:7]
	v_and_b32_e32 v6, 7, v10
; %bb.1309:                             ;   in Loop: Header=BB206_803 Depth=1
	s_or_b32 exec_lo, exec_lo, s19
	v_mov_b32_e32 v10, 24
	v_lshlrev_b32_e32 v6, 20, v6
	v_lshl_add_u32 v8, v8, 23, 0x3c000000
	v_lshlrev_b32_sdwa v10, v10, v13 dst_sel:DWORD dst_unused:UNUSED_PAD src0_sel:DWORD src1_sel:BYTE_3
	v_and_b32_e32 v10, 0x80000000, v10
	v_or3_b32 v11, v6, v10, v8
	v_mov_b32_e32 v10, v7
.LBB206_1310:                           ;   in Loop: Header=BB206_803 Depth=1
	s_or_b32 exec_lo, exec_lo, s18
.LBB206_1311:                           ;   in Loop: Header=BB206_803 Depth=1
	s_or_b32 exec_lo, exec_lo, s17
.LBB206_1312:                           ;   in Loop: Header=BB206_803 Depth=1
	s_or_b32 exec_lo, exec_lo, s15
	v_or_b32_e32 v6, v18, v16
	v_or_b32_e32 v8, v17, v15
	;; [unrolled: 1-line block ×4, first 2 shown]
	v_mul_f32_e32 v28, v87, v6
	v_mul_f32_e32 v127, v87, v8
	;; [unrolled: 1-line block ×4, first 2 shown]
	s_and_saveexec_b32 s15, vcc_lo
	s_cbranch_execz .LBB206_1314
; %bb.1313:                             ;   in Loop: Header=BB206_803 Depth=1
	v_cmp_lt_i32_e64 s4, v100, v47
	v_cndmask_b32_e64 v127, 0, v127, s4
	v_cmp_lt_i32_e64 s4, v103, v47
	v_cndmask_b32_e64 v28, 0, v28, s4
	;; [unrolled: 2-line block ×4, first 2 shown]
.LBB206_1314:                           ;   in Loop: Header=BB206_803 Depth=1
	s_or_b32 exec_lo, exec_lo, s15
	flat_load_dword v13, v[0:1] offset:1920
	v_mov_b32_e32 v17, 0
	v_mov_b32_e32 v15, 0
	;; [unrolled: 1-line block ×4, first 2 shown]
	s_waitcnt vmcnt(0) lgkmcnt(0)
	v_cmp_ne_u16_sdwa s4, v13, v7 src0_sel:BYTE_0 src1_sel:DWORD
	s_and_saveexec_b32 s15, s4
	s_cbranch_execz .LBB206_1322
; %bb.1315:                             ;   in Loop: Header=BB206_803 Depth=1
	v_bfrev_b32_e32 v15, 1
	v_mov_b32_e32 v16, 0
	v_cmp_ne_u16_sdwa s4, v13, v70 src0_sel:BYTE_0 src1_sel:DWORD
	s_and_saveexec_b32 s17, s4
	s_cbranch_execz .LBB206_1321
; %bb.1316:                             ;   in Loop: Header=BB206_803 Depth=1
	v_mov_b32_e32 v15, 0x7f800001
	v_and_b32_e32 v10, 0x7f, v13
	v_mov_b32_e32 v16, 0
	s_mov_b32 s18, exec_lo
	v_cmpx_ne_u32_e32 0x7f, v10
	s_cbranch_execz .LBB206_1320
; %bb.1317:                             ;   in Loop: Header=BB206_803 Depth=1
	v_and_b32_e32 v6, 7, v13
	v_lshrrev_b32_e32 v8, 3, v10
	s_mov_b32 s19, exec_lo
	v_cmpx_gt_u32_e32 8, v10
; %bb.1318:                             ;   in Loop: Header=BB206_803 Depth=1
	v_ffbh_u32_e32 v8, v6
	v_min_u32_e32 v8, 32, v8
	v_subrev_nc_u32_e32 v10, 28, v8
	v_sub_nc_u32_e32 v8, 29, v8
	v_lshlrev_b64 v[10:11], v10, v[6:7]
	v_and_b32_e32 v6, 7, v10
; %bb.1319:                             ;   in Loop: Header=BB206_803 Depth=1
	s_or_b32 exec_lo, exec_lo, s19
	v_lshlrev_b32_e32 v10, 24, v13
	v_lshlrev_b32_e32 v6, 20, v6
	v_lshl_add_u32 v8, v8, 23, 0x3c000000
	v_and_b32_e32 v10, 0x80000000, v10
	v_or3_b32 v6, v6, v10, v8
	v_mov_b32_e32 v16, v7
	v_mov_b32_e32 v15, v6
.LBB206_1320:                           ;   in Loop: Header=BB206_803 Depth=1
	s_or_b32 exec_lo, exec_lo, s18
.LBB206_1321:                           ;   in Loop: Header=BB206_803 Depth=1
	s_or_b32 exec_lo, exec_lo, s17
.LBB206_1322:                           ;   in Loop: Header=BB206_803 Depth=1
	s_or_b32 exec_lo, exec_lo, s15
	v_cmp_ne_u16_sdwa s4, v13, v7 src0_sel:BYTE_1 src1_sel:DWORD
	s_and_saveexec_b32 s15, s4
	s_cbranch_execz .LBB206_1330
; %bb.1323:                             ;   in Loop: Header=BB206_803 Depth=1
	v_mov_b32_e32 v8, v7
	v_mov_b32_e32 v18, v9
	v_cmp_ne_u16_sdwa s4, v13, v70 src0_sel:BYTE_1 src1_sel:DWORD
	v_mov_b32_e32 v17, v8
	s_and_saveexec_b32 s17, s4
	s_cbranch_execz .LBB206_1329
; %bb.1324:                             ;   in Loop: Header=BB206_803 Depth=1
	v_and_b32_sdwa v6, v27, v13 dst_sel:DWORD dst_unused:UNUSED_PAD src0_sel:DWORD src1_sel:BYTE_1
	v_mov_b32_e32 v11, v7
	v_mov_b32_e32 v18, v12
	s_mov_b32 s18, exec_lo
	v_and_b32_e32 v10, 0x7f, v6
	v_mov_b32_e32 v17, v11
	v_cmpx_ne_u32_e32 0x7f, v10
	s_cbranch_execz .LBB206_1328
; %bb.1325:                             ;   in Loop: Header=BB206_803 Depth=1
	v_and_b32_e32 v6, 7, v6
	v_lshrrev_b32_e32 v8, 3, v10
	s_mov_b32 s19, exec_lo
	v_cmpx_gt_u32_e32 8, v10
; %bb.1326:                             ;   in Loop: Header=BB206_803 Depth=1
	v_ffbh_u32_e32 v8, v6
	v_min_u32_e32 v8, 32, v8
	v_subrev_nc_u32_e32 v10, 28, v8
	v_sub_nc_u32_e32 v8, 29, v8
	v_lshlrev_b64 v[10:11], v10, v[6:7]
	v_and_b32_e32 v6, 7, v10
; %bb.1327:                             ;   in Loop: Header=BB206_803 Depth=1
	s_or_b32 exec_lo, exec_lo, s19
	v_lshlrev_b32_e32 v10, 16, v13
	v_lshlrev_b32_e32 v6, 20, v6
	v_lshl_add_u32 v8, v8, 23, 0x3c000000
	v_mov_b32_e32 v17, v7
	v_and_b32_e32 v10, 0x80000000, v10
	v_or3_b32 v18, v6, v10, v8
.LBB206_1328:                           ;   in Loop: Header=BB206_803 Depth=1
	s_or_b32 exec_lo, exec_lo, s18
.LBB206_1329:                           ;   in Loop: Header=BB206_803 Depth=1
	s_or_b32 exec_lo, exec_lo, s17
.LBB206_1330:                           ;   in Loop: Header=BB206_803 Depth=1
	s_or_b32 exec_lo, exec_lo, s15
	v_mov_b32_e32 v10, 0
	v_mov_b32_e32 v21, 0
	v_and_b32_sdwa v6, v13, v80 dst_sel:DWORD dst_unused:UNUSED_PAD src0_sel:WORD_1 src1_sel:DWORD
	v_mov_b32_e32 v11, 0
	v_mov_b32_e32 v22, 0
	s_mov_b32 s15, exec_lo
	v_cmpx_ne_u16_e32 0, v6
	s_cbranch_execz .LBB206_1338
; %bb.1331:                             ;   in Loop: Header=BB206_803 Depth=1
	v_bfrev_b32_e32 v21, 1
	v_mov_b32_e32 v22, 0
	s_mov_b32 s17, exec_lo
	v_cmpx_ne_u16_e32 0x80, v6
	s_cbranch_execz .LBB206_1337
; %bb.1332:                             ;   in Loop: Header=BB206_803 Depth=1
	v_mov_b32_e32 v21, 0x7f800001
	v_bfe_u32 v14, v13, 16, 7
	v_mov_b32_e32 v22, 0
	s_mov_b32 s18, exec_lo
	v_cmpx_ne_u32_e32 0x7f, v14
	s_cbranch_execz .LBB206_1336
; %bb.1333:                             ;   in Loop: Header=BB206_803 Depth=1
	v_mov_b32_e32 v6, 7
	v_lshrrev_b32_e32 v8, 3, v14
	s_mov_b32 s19, exec_lo
	v_and_b32_sdwa v6, v13, v6 dst_sel:DWORD dst_unused:UNUSED_PAD src0_sel:WORD_1 src1_sel:DWORD
	v_cmpx_gt_u32_e32 8, v14
; %bb.1334:                             ;   in Loop: Header=BB206_803 Depth=1
	v_ffbh_u32_e32 v8, v6
	v_min_u32_e32 v8, 32, v8
	v_subrev_nc_u32_e32 v14, 28, v8
	v_sub_nc_u32_e32 v8, 29, v8
	v_lshlrev_b64 v[21:22], v14, v[6:7]
	v_and_b32_e32 v6, 7, v21
; %bb.1335:                             ;   in Loop: Header=BB206_803 Depth=1
	s_or_b32 exec_lo, exec_lo, s19
	v_mov_b32_e32 v14, 24
	v_lshlrev_b32_e32 v6, 20, v6
	v_lshl_add_u32 v8, v8, 23, 0x3c000000
	v_lshlrev_b32_sdwa v14, v14, v13 dst_sel:DWORD dst_unused:UNUSED_PAD src0_sel:DWORD src1_sel:WORD_1
	v_and_b32_e32 v14, 0x80000000, v14
	v_or3_b32 v6, v6, v14, v8
	v_mov_b32_e32 v22, v7
	v_mov_b32_e32 v21, v6
.LBB206_1336:                           ;   in Loop: Header=BB206_803 Depth=1
	s_or_b32 exec_lo, exec_lo, s18
.LBB206_1337:                           ;   in Loop: Header=BB206_803 Depth=1
	s_or_b32 exec_lo, exec_lo, s17
.LBB206_1338:                           ;   in Loop: Header=BB206_803 Depth=1
	s_or_b32 exec_lo, exec_lo, s15
	s_mov_b32 s15, exec_lo
	v_cmpx_lt_u32_e32 0xffffff, v13
	s_cbranch_execz .LBB206_1346
; %bb.1339:                             ;   in Loop: Header=BB206_803 Depth=1
	v_mov_b32_e32 v8, v7
	v_mov_b32_e32 v11, v9
	v_cmp_ne_u32_sdwa s4, v13, v70 src0_sel:BYTE_3 src1_sel:DWORD
	v_mov_b32_e32 v10, v8
	s_and_saveexec_b32 s17, s4
	s_cbranch_execz .LBB206_1345
; %bb.1340:                             ;   in Loop: Header=BB206_803 Depth=1
	v_mov_b32_e32 v11, v7
	v_bfe_u32 v14, v13, 24, 7
	s_mov_b32 s18, exec_lo
	v_mov_b32_e32 v10, v11
	v_mov_b32_e32 v11, v12
	v_cmpx_ne_u32_e32 0x7f, v14
	s_cbranch_execz .LBB206_1344
; %bb.1341:                             ;   in Loop: Header=BB206_803 Depth=1
	v_mov_b32_e32 v6, 7
	v_lshrrev_b32_e32 v8, 3, v14
	s_mov_b32 s19, exec_lo
	v_and_b32_sdwa v6, v13, v6 dst_sel:DWORD dst_unused:UNUSED_PAD src0_sel:BYTE_3 src1_sel:DWORD
	v_cmpx_gt_u32_e32 8, v14
; %bb.1342:                             ;   in Loop: Header=BB206_803 Depth=1
	v_ffbh_u32_e32 v8, v6
	v_min_u32_e32 v8, 32, v8
	v_subrev_nc_u32_e32 v10, 28, v8
	v_sub_nc_u32_e32 v8, 29, v8
	v_lshlrev_b64 v[10:11], v10, v[6:7]
	v_and_b32_e32 v6, 7, v10
; %bb.1343:                             ;   in Loop: Header=BB206_803 Depth=1
	s_or_b32 exec_lo, exec_lo, s19
	v_mov_b32_e32 v10, 24
	v_lshlrev_b32_e32 v6, 20, v6
	v_lshl_add_u32 v8, v8, 23, 0x3c000000
	v_lshlrev_b32_sdwa v10, v10, v13 dst_sel:DWORD dst_unused:UNUSED_PAD src0_sel:DWORD src1_sel:BYTE_3
	v_and_b32_e32 v10, 0x80000000, v10
	v_or3_b32 v11, v6, v10, v8
	v_mov_b32_e32 v10, v7
.LBB206_1344:                           ;   in Loop: Header=BB206_803 Depth=1
	s_or_b32 exec_lo, exec_lo, s18
.LBB206_1345:                           ;   in Loop: Header=BB206_803 Depth=1
	s_or_b32 exec_lo, exec_lo, s17
.LBB206_1346:                           ;   in Loop: Header=BB206_803 Depth=1
	s_or_b32 exec_lo, exec_lo, s15
	v_or_b32_e32 v6, v18, v16
	v_or_b32_e32 v8, v17, v15
	;; [unrolled: 1-line block ×4, first 2 shown]
	v_mul_f32_e32 v85, v87, v6
	v_mul_f32_e32 v14, v87, v8
	;; [unrolled: 1-line block ×4, first 2 shown]
	s_and_saveexec_b32 s15, vcc_lo
	s_cbranch_execz .LBB206_1348
; %bb.1347:                             ;   in Loop: Header=BB206_803 Depth=1
	v_cmp_lt_i32_e64 s4, v100, v47
	v_cndmask_b32_e64 v14, 0, v14, s4
	v_cmp_lt_i32_e64 s4, v103, v47
	v_cndmask_b32_e64 v85, 0, v85, s4
	;; [unrolled: 2-line block ×4, first 2 shown]
.LBB206_1348:                           ;   in Loop: Header=BB206_803 Depth=1
	s_or_b32 exec_lo, exec_lo, s15
	v_add_co_u32 v0, s4, 0x800, v0
	v_add_co_ci_u32_e64 v1, null, 0, v1, s4
	v_mov_b32_e32 v17, 0
	v_mov_b32_e32 v15, 0
	;; [unrolled: 1-line block ×3, first 2 shown]
	flat_load_dword v29, v[0:1]
	v_mov_b32_e32 v16, 0
	s_waitcnt vmcnt(0) lgkmcnt(0)
	v_cmp_ne_u16_sdwa s4, v29, v7 src0_sel:BYTE_0 src1_sel:DWORD
	s_and_saveexec_b32 s15, s4
	s_cbranch_execz .LBB206_1356
; %bb.1349:                             ;   in Loop: Header=BB206_803 Depth=1
	v_bfrev_b32_e32 v15, 1
	v_mov_b32_e32 v16, 0
	v_cmp_ne_u16_sdwa s4, v29, v70 src0_sel:BYTE_0 src1_sel:DWORD
	s_and_saveexec_b32 s17, s4
	s_cbranch_execz .LBB206_1355
; %bb.1350:                             ;   in Loop: Header=BB206_803 Depth=1
	v_mov_b32_e32 v15, 0x7f800001
	v_and_b32_e32 v10, 0x7f, v29
	v_mov_b32_e32 v16, 0
	s_mov_b32 s18, exec_lo
	v_cmpx_ne_u32_e32 0x7f, v10
	s_cbranch_execz .LBB206_1354
; %bb.1351:                             ;   in Loop: Header=BB206_803 Depth=1
	v_and_b32_e32 v6, 7, v29
	v_lshrrev_b32_e32 v8, 3, v10
	s_mov_b32 s19, exec_lo
	v_cmpx_gt_u32_e32 8, v10
; %bb.1352:                             ;   in Loop: Header=BB206_803 Depth=1
	v_ffbh_u32_e32 v8, v6
	v_min_u32_e32 v8, 32, v8
	v_subrev_nc_u32_e32 v10, 28, v8
	v_sub_nc_u32_e32 v8, 29, v8
	v_lshlrev_b64 v[10:11], v10, v[6:7]
	v_and_b32_e32 v6, 7, v10
; %bb.1353:                             ;   in Loop: Header=BB206_803 Depth=1
	s_or_b32 exec_lo, exec_lo, s19
	v_lshlrev_b32_e32 v10, 24, v29
	v_lshlrev_b32_e32 v6, 20, v6
	v_lshl_add_u32 v8, v8, 23, 0x3c000000
	v_and_b32_e32 v10, 0x80000000, v10
	v_or3_b32 v6, v6, v10, v8
	v_mov_b32_e32 v16, v7
	v_mov_b32_e32 v15, v6
.LBB206_1354:                           ;   in Loop: Header=BB206_803 Depth=1
	s_or_b32 exec_lo, exec_lo, s18
.LBB206_1355:                           ;   in Loop: Header=BB206_803 Depth=1
	s_or_b32 exec_lo, exec_lo, s17
.LBB206_1356:                           ;   in Loop: Header=BB206_803 Depth=1
	s_or_b32 exec_lo, exec_lo, s15
	v_cmp_ne_u16_sdwa s4, v29, v7 src0_sel:BYTE_1 src1_sel:DWORD
	s_and_saveexec_b32 s15, s4
	s_cbranch_execz .LBB206_1364
; %bb.1357:                             ;   in Loop: Header=BB206_803 Depth=1
	v_mov_b32_e32 v8, v7
	v_mov_b32_e32 v18, v9
	v_cmp_ne_u16_sdwa s4, v29, v70 src0_sel:BYTE_1 src1_sel:DWORD
	v_mov_b32_e32 v17, v8
	s_and_saveexec_b32 s17, s4
	s_cbranch_execz .LBB206_1363
; %bb.1358:                             ;   in Loop: Header=BB206_803 Depth=1
	v_and_b32_sdwa v6, v27, v29 dst_sel:DWORD dst_unused:UNUSED_PAD src0_sel:DWORD src1_sel:BYTE_1
	v_mov_b32_e32 v11, v7
	v_mov_b32_e32 v18, v12
	s_mov_b32 s18, exec_lo
	v_and_b32_e32 v10, 0x7f, v6
	v_mov_b32_e32 v17, v11
	v_cmpx_ne_u32_e32 0x7f, v10
	s_cbranch_execz .LBB206_1362
; %bb.1359:                             ;   in Loop: Header=BB206_803 Depth=1
	v_and_b32_e32 v6, 7, v6
	v_lshrrev_b32_e32 v8, 3, v10
	s_mov_b32 s19, exec_lo
	v_cmpx_gt_u32_e32 8, v10
; %bb.1360:                             ;   in Loop: Header=BB206_803 Depth=1
	v_ffbh_u32_e32 v8, v6
	v_min_u32_e32 v8, 32, v8
	v_subrev_nc_u32_e32 v10, 28, v8
	v_sub_nc_u32_e32 v8, 29, v8
	v_lshlrev_b64 v[10:11], v10, v[6:7]
	v_and_b32_e32 v6, 7, v10
; %bb.1361:                             ;   in Loop: Header=BB206_803 Depth=1
	s_or_b32 exec_lo, exec_lo, s19
	v_lshlrev_b32_e32 v10, 16, v29
	v_lshlrev_b32_e32 v6, 20, v6
	v_lshl_add_u32 v8, v8, 23, 0x3c000000
	v_mov_b32_e32 v17, v7
	v_and_b32_e32 v10, 0x80000000, v10
	v_or3_b32 v18, v6, v10, v8
.LBB206_1362:                           ;   in Loop: Header=BB206_803 Depth=1
	s_or_b32 exec_lo, exec_lo, s18
.LBB206_1363:                           ;   in Loop: Header=BB206_803 Depth=1
	s_or_b32 exec_lo, exec_lo, s17
.LBB206_1364:                           ;   in Loop: Header=BB206_803 Depth=1
	s_or_b32 exec_lo, exec_lo, s15
	v_mov_b32_e32 v10, 0
	v_mov_b32_e32 v21, 0
	v_and_b32_sdwa v6, v29, v80 dst_sel:DWORD dst_unused:UNUSED_PAD src0_sel:WORD_1 src1_sel:DWORD
	v_mov_b32_e32 v11, 0
	v_mov_b32_e32 v22, 0
	s_mov_b32 s15, exec_lo
	v_cmpx_ne_u16_e32 0, v6
	s_cbranch_execz .LBB206_1372
; %bb.1365:                             ;   in Loop: Header=BB206_803 Depth=1
	v_bfrev_b32_e32 v21, 1
	v_mov_b32_e32 v22, 0
	s_mov_b32 s17, exec_lo
	v_cmpx_ne_u16_e32 0x80, v6
	s_cbranch_execz .LBB206_1371
; %bb.1366:                             ;   in Loop: Header=BB206_803 Depth=1
	v_mov_b32_e32 v21, 0x7f800001
	v_bfe_u32 v27, v29, 16, 7
	v_mov_b32_e32 v22, 0
	s_mov_b32 s18, exec_lo
	v_cmpx_ne_u32_e32 0x7f, v27
	s_cbranch_execz .LBB206_1370
; %bb.1367:                             ;   in Loop: Header=BB206_803 Depth=1
	v_mov_b32_e32 v6, 7
	v_lshrrev_b32_e32 v8, 3, v27
	s_mov_b32 s19, exec_lo
	v_and_b32_sdwa v6, v29, v6 dst_sel:DWORD dst_unused:UNUSED_PAD src0_sel:WORD_1 src1_sel:DWORD
	v_cmpx_gt_u32_e32 8, v27
; %bb.1368:                             ;   in Loop: Header=BB206_803 Depth=1
	v_ffbh_u32_e32 v8, v6
	v_min_u32_e32 v8, 32, v8
	v_subrev_nc_u32_e32 v21, 28, v8
	v_sub_nc_u32_e32 v8, 29, v8
	v_lshlrev_b64 v[21:22], v21, v[6:7]
	v_and_b32_e32 v6, 7, v21
; %bb.1369:                             ;   in Loop: Header=BB206_803 Depth=1
	s_or_b32 exec_lo, exec_lo, s19
	v_mov_b32_e32 v21, 24
	v_lshlrev_b32_e32 v6, 20, v6
	v_lshl_add_u32 v8, v8, 23, 0x3c000000
	v_lshlrev_b32_sdwa v21, v21, v29 dst_sel:DWORD dst_unused:UNUSED_PAD src0_sel:DWORD src1_sel:WORD_1
	v_and_b32_e32 v21, 0x80000000, v21
	v_or3_b32 v6, v6, v21, v8
	v_mov_b32_e32 v22, v7
	v_mov_b32_e32 v21, v6
.LBB206_1370:                           ;   in Loop: Header=BB206_803 Depth=1
	s_or_b32 exec_lo, exec_lo, s18
	v_mov_b32_e32 v27, 0xffff
.LBB206_1371:                           ;   in Loop: Header=BB206_803 Depth=1
	s_or_b32 exec_lo, exec_lo, s17
.LBB206_1372:                           ;   in Loop: Header=BB206_803 Depth=1
	s_or_b32 exec_lo, exec_lo, s15
	s_mov_b32 s15, exec_lo
	v_cmpx_lt_u32_e32 0xffffff, v29
	s_cbranch_execz .LBB206_1380
; %bb.1373:                             ;   in Loop: Header=BB206_803 Depth=1
	v_mov_b32_e32 v8, v7
	v_mov_b32_e32 v11, v9
	v_cmp_ne_u32_sdwa s4, v29, v70 src0_sel:BYTE_3 src1_sel:DWORD
	v_mov_b32_e32 v10, v8
	s_and_saveexec_b32 s17, s4
	s_cbranch_execz .LBB206_1379
; %bb.1374:                             ;   in Loop: Header=BB206_803 Depth=1
	v_mov_b32_e32 v11, v7
	v_bfe_u32 v30, v29, 24, 7
	s_mov_b32 s18, exec_lo
	v_mov_b32_e32 v10, v11
	v_mov_b32_e32 v11, v12
	v_cmpx_ne_u32_e32 0x7f, v30
	s_cbranch_execz .LBB206_1378
; %bb.1375:                             ;   in Loop: Header=BB206_803 Depth=1
	v_mov_b32_e32 v6, 7
	v_lshrrev_b32_e32 v8, 3, v30
	s_mov_b32 s19, exec_lo
	v_and_b32_sdwa v6, v29, v6 dst_sel:DWORD dst_unused:UNUSED_PAD src0_sel:BYTE_3 src1_sel:DWORD
	v_cmpx_gt_u32_e32 8, v30
; %bb.1376:                             ;   in Loop: Header=BB206_803 Depth=1
	v_ffbh_u32_e32 v8, v6
	v_min_u32_e32 v8, 32, v8
	v_subrev_nc_u32_e32 v10, 28, v8
	v_sub_nc_u32_e32 v8, 29, v8
	v_lshlrev_b64 v[10:11], v10, v[6:7]
	v_and_b32_e32 v6, 7, v10
; %bb.1377:                             ;   in Loop: Header=BB206_803 Depth=1
	s_or_b32 exec_lo, exec_lo, s19
	v_mov_b32_e32 v10, 24
	v_lshlrev_b32_e32 v6, 20, v6
	v_lshl_add_u32 v8, v8, 23, 0x3c000000
	v_lshlrev_b32_sdwa v10, v10, v29 dst_sel:DWORD dst_unused:UNUSED_PAD src0_sel:DWORD src1_sel:BYTE_3
	v_and_b32_e32 v10, 0x80000000, v10
	v_or3_b32 v11, v6, v10, v8
	v_mov_b32_e32 v10, v7
.LBB206_1378:                           ;   in Loop: Header=BB206_803 Depth=1
	s_or_b32 exec_lo, exec_lo, s18
.LBB206_1379:                           ;   in Loop: Header=BB206_803 Depth=1
	s_or_b32 exec_lo, exec_lo, s17
.LBB206_1380:                           ;   in Loop: Header=BB206_803 Depth=1
	s_or_b32 exec_lo, exec_lo, s15
	v_or_b32_e32 v6, v18, v16
	v_or_b32_e32 v8, v17, v15
	;; [unrolled: 1-line block ×4, first 2 shown]
	v_mul_f32_e32 v32, v87, v6
	v_mul_f32_e32 v31, v87, v8
	;; [unrolled: 1-line block ×4, first 2 shown]
	s_and_saveexec_b32 s15, vcc_lo
	s_cbranch_execz .LBB206_1382
; %bb.1381:                             ;   in Loop: Header=BB206_803 Depth=1
	v_cmp_lt_i32_e64 s4, v100, v47
	v_cndmask_b32_e64 v31, 0, v31, s4
	v_cmp_lt_i32_e64 s4, v103, v47
	v_cndmask_b32_e64 v32, 0, v32, s4
	;; [unrolled: 2-line block ×4, first 2 shown]
.LBB206_1382:                           ;   in Loop: Header=BB206_803 Depth=1
	s_or_b32 exec_lo, exec_lo, s15
	flat_load_dword v33, v[0:1] offset:128
	v_mov_b32_e32 v17, 0
	v_mov_b32_e32 v15, 0
	;; [unrolled: 1-line block ×4, first 2 shown]
	s_waitcnt vmcnt(0) lgkmcnt(0)
	v_cmp_ne_u16_sdwa s4, v33, v7 src0_sel:BYTE_0 src1_sel:DWORD
	s_and_saveexec_b32 s15, s4
	s_cbranch_execz .LBB206_1390
; %bb.1383:                             ;   in Loop: Header=BB206_803 Depth=1
	v_bfrev_b32_e32 v15, 1
	v_mov_b32_e32 v16, 0
	v_cmp_ne_u16_sdwa s4, v33, v70 src0_sel:BYTE_0 src1_sel:DWORD
	s_and_saveexec_b32 s17, s4
	s_cbranch_execz .LBB206_1389
; %bb.1384:                             ;   in Loop: Header=BB206_803 Depth=1
	v_mov_b32_e32 v15, 0x7f800001
	v_and_b32_e32 v10, 0x7f, v33
	v_mov_b32_e32 v16, 0
	s_mov_b32 s18, exec_lo
	v_cmpx_ne_u32_e32 0x7f, v10
	s_cbranch_execz .LBB206_1388
; %bb.1385:                             ;   in Loop: Header=BB206_803 Depth=1
	v_and_b32_e32 v6, 7, v33
	v_lshrrev_b32_e32 v8, 3, v10
	s_mov_b32 s19, exec_lo
	v_cmpx_gt_u32_e32 8, v10
; %bb.1386:                             ;   in Loop: Header=BB206_803 Depth=1
	v_ffbh_u32_e32 v8, v6
	v_min_u32_e32 v8, 32, v8
	v_subrev_nc_u32_e32 v10, 28, v8
	v_sub_nc_u32_e32 v8, 29, v8
	v_lshlrev_b64 v[10:11], v10, v[6:7]
	v_and_b32_e32 v6, 7, v10
; %bb.1387:                             ;   in Loop: Header=BB206_803 Depth=1
	s_or_b32 exec_lo, exec_lo, s19
	v_lshlrev_b32_e32 v10, 24, v33
	v_lshlrev_b32_e32 v6, 20, v6
	v_lshl_add_u32 v8, v8, 23, 0x3c000000
	v_and_b32_e32 v10, 0x80000000, v10
	v_or3_b32 v6, v6, v10, v8
	v_mov_b32_e32 v16, v7
	v_mov_b32_e32 v15, v6
.LBB206_1388:                           ;   in Loop: Header=BB206_803 Depth=1
	s_or_b32 exec_lo, exec_lo, s18
.LBB206_1389:                           ;   in Loop: Header=BB206_803 Depth=1
	s_or_b32 exec_lo, exec_lo, s17
.LBB206_1390:                           ;   in Loop: Header=BB206_803 Depth=1
	s_or_b32 exec_lo, exec_lo, s15
	v_cmp_ne_u16_sdwa s4, v33, v7 src0_sel:BYTE_1 src1_sel:DWORD
	s_and_saveexec_b32 s15, s4
	s_cbranch_execz .LBB206_1398
; %bb.1391:                             ;   in Loop: Header=BB206_803 Depth=1
	v_mov_b32_e32 v8, v7
	v_mov_b32_e32 v18, v9
	v_cmp_ne_u16_sdwa s4, v33, v70 src0_sel:BYTE_1 src1_sel:DWORD
	v_mov_b32_e32 v17, v8
	s_and_saveexec_b32 s17, s4
	s_cbranch_execz .LBB206_1397
; %bb.1392:                             ;   in Loop: Header=BB206_803 Depth=1
	v_and_b32_sdwa v6, v27, v33 dst_sel:DWORD dst_unused:UNUSED_PAD src0_sel:DWORD src1_sel:BYTE_1
	v_mov_b32_e32 v11, v7
	v_mov_b32_e32 v18, v12
	s_mov_b32 s18, exec_lo
	v_and_b32_e32 v10, 0x7f, v6
	v_mov_b32_e32 v17, v11
	v_cmpx_ne_u32_e32 0x7f, v10
	s_cbranch_execz .LBB206_1396
; %bb.1393:                             ;   in Loop: Header=BB206_803 Depth=1
	v_and_b32_e32 v6, 7, v6
	v_lshrrev_b32_e32 v8, 3, v10
	s_mov_b32 s19, exec_lo
	v_cmpx_gt_u32_e32 8, v10
; %bb.1394:                             ;   in Loop: Header=BB206_803 Depth=1
	v_ffbh_u32_e32 v8, v6
	v_min_u32_e32 v8, 32, v8
	v_subrev_nc_u32_e32 v10, 28, v8
	v_sub_nc_u32_e32 v8, 29, v8
	v_lshlrev_b64 v[10:11], v10, v[6:7]
	v_and_b32_e32 v6, 7, v10
; %bb.1395:                             ;   in Loop: Header=BB206_803 Depth=1
	s_or_b32 exec_lo, exec_lo, s19
	v_lshlrev_b32_e32 v10, 16, v33
	v_lshlrev_b32_e32 v6, 20, v6
	v_lshl_add_u32 v8, v8, 23, 0x3c000000
	v_mov_b32_e32 v17, v7
	v_and_b32_e32 v10, 0x80000000, v10
	v_or3_b32 v18, v6, v10, v8
.LBB206_1396:                           ;   in Loop: Header=BB206_803 Depth=1
	s_or_b32 exec_lo, exec_lo, s18
.LBB206_1397:                           ;   in Loop: Header=BB206_803 Depth=1
	s_or_b32 exec_lo, exec_lo, s17
.LBB206_1398:                           ;   in Loop: Header=BB206_803 Depth=1
	s_or_b32 exec_lo, exec_lo, s15
	v_mov_b32_e32 v10, 0
	v_mov_b32_e32 v21, 0
	v_and_b32_sdwa v6, v33, v80 dst_sel:DWORD dst_unused:UNUSED_PAD src0_sel:WORD_1 src1_sel:DWORD
	v_mov_b32_e32 v11, 0
	v_mov_b32_e32 v22, 0
	s_mov_b32 s15, exec_lo
	v_cmpx_ne_u16_e32 0, v6
	s_cbranch_execz .LBB206_1406
; %bb.1399:                             ;   in Loop: Header=BB206_803 Depth=1
	v_bfrev_b32_e32 v21, 1
	v_mov_b32_e32 v22, 0
	s_mov_b32 s17, exec_lo
	v_cmpx_ne_u16_e32 0x80, v6
	s_cbranch_execz .LBB206_1405
; %bb.1400:                             ;   in Loop: Header=BB206_803 Depth=1
	v_mov_b32_e32 v21, 0x7f800001
	v_bfe_u32 v27, v33, 16, 7
	v_mov_b32_e32 v22, 0
	s_mov_b32 s18, exec_lo
	v_cmpx_ne_u32_e32 0x7f, v27
	s_cbranch_execz .LBB206_1404
; %bb.1401:                             ;   in Loop: Header=BB206_803 Depth=1
	v_mov_b32_e32 v6, 7
	v_lshrrev_b32_e32 v8, 3, v27
	s_mov_b32 s19, exec_lo
	v_and_b32_sdwa v6, v33, v6 dst_sel:DWORD dst_unused:UNUSED_PAD src0_sel:WORD_1 src1_sel:DWORD
	v_cmpx_gt_u32_e32 8, v27
; %bb.1402:                             ;   in Loop: Header=BB206_803 Depth=1
	v_ffbh_u32_e32 v8, v6
	v_min_u32_e32 v8, 32, v8
	v_subrev_nc_u32_e32 v21, 28, v8
	v_sub_nc_u32_e32 v8, 29, v8
	v_lshlrev_b64 v[21:22], v21, v[6:7]
	v_and_b32_e32 v6, 7, v21
; %bb.1403:                             ;   in Loop: Header=BB206_803 Depth=1
	s_or_b32 exec_lo, exec_lo, s19
	v_mov_b32_e32 v21, 24
	v_lshlrev_b32_e32 v6, 20, v6
	v_lshl_add_u32 v8, v8, 23, 0x3c000000
	v_lshlrev_b32_sdwa v21, v21, v33 dst_sel:DWORD dst_unused:UNUSED_PAD src0_sel:DWORD src1_sel:WORD_1
	v_and_b32_e32 v21, 0x80000000, v21
	v_or3_b32 v6, v6, v21, v8
	v_mov_b32_e32 v22, v7
	v_mov_b32_e32 v21, v6
.LBB206_1404:                           ;   in Loop: Header=BB206_803 Depth=1
	s_or_b32 exec_lo, exec_lo, s18
	v_mov_b32_e32 v27, 0xffff
.LBB206_1405:                           ;   in Loop: Header=BB206_803 Depth=1
	s_or_b32 exec_lo, exec_lo, s17
.LBB206_1406:                           ;   in Loop: Header=BB206_803 Depth=1
	s_or_b32 exec_lo, exec_lo, s15
	s_mov_b32 s15, exec_lo
	v_cmpx_lt_u32_e32 0xffffff, v33
	s_cbranch_execz .LBB206_1414
; %bb.1407:                             ;   in Loop: Header=BB206_803 Depth=1
	v_mov_b32_e32 v8, v7
	v_mov_b32_e32 v11, v9
	v_cmp_ne_u32_sdwa s4, v33, v70 src0_sel:BYTE_3 src1_sel:DWORD
	v_mov_b32_e32 v10, v8
	s_and_saveexec_b32 s17, s4
	s_cbranch_execz .LBB206_1413
; %bb.1408:                             ;   in Loop: Header=BB206_803 Depth=1
	v_mov_b32_e32 v11, v7
	v_bfe_u32 v34, v33, 24, 7
	s_mov_b32 s18, exec_lo
	v_mov_b32_e32 v10, v11
	v_mov_b32_e32 v11, v12
	v_cmpx_ne_u32_e32 0x7f, v34
	s_cbranch_execz .LBB206_1412
; %bb.1409:                             ;   in Loop: Header=BB206_803 Depth=1
	v_mov_b32_e32 v6, 7
	v_lshrrev_b32_e32 v8, 3, v34
	s_mov_b32 s19, exec_lo
	v_and_b32_sdwa v6, v33, v6 dst_sel:DWORD dst_unused:UNUSED_PAD src0_sel:BYTE_3 src1_sel:DWORD
	v_cmpx_gt_u32_e32 8, v34
; %bb.1410:                             ;   in Loop: Header=BB206_803 Depth=1
	v_ffbh_u32_e32 v8, v6
	v_min_u32_e32 v8, 32, v8
	v_subrev_nc_u32_e32 v10, 28, v8
	v_sub_nc_u32_e32 v8, 29, v8
	v_lshlrev_b64 v[10:11], v10, v[6:7]
	v_and_b32_e32 v6, 7, v10
; %bb.1411:                             ;   in Loop: Header=BB206_803 Depth=1
	s_or_b32 exec_lo, exec_lo, s19
	v_mov_b32_e32 v10, 24
	v_lshlrev_b32_e32 v6, 20, v6
	v_lshl_add_u32 v8, v8, 23, 0x3c000000
	v_lshlrev_b32_sdwa v10, v10, v33 dst_sel:DWORD dst_unused:UNUSED_PAD src0_sel:DWORD src1_sel:BYTE_3
	v_and_b32_e32 v10, 0x80000000, v10
	v_or3_b32 v11, v6, v10, v8
	v_mov_b32_e32 v10, v7
.LBB206_1412:                           ;   in Loop: Header=BB206_803 Depth=1
	s_or_b32 exec_lo, exec_lo, s18
.LBB206_1413:                           ;   in Loop: Header=BB206_803 Depth=1
	s_or_b32 exec_lo, exec_lo, s17
.LBB206_1414:                           ;   in Loop: Header=BB206_803 Depth=1
	s_or_b32 exec_lo, exec_lo, s15
	v_or_b32_e32 v6, v18, v16
	v_or_b32_e32 v8, v17, v15
	;; [unrolled: 1-line block ×4, first 2 shown]
	v_mul_f32_e32 v36, v87, v6
	v_mul_f32_e32 v35, v87, v8
	;; [unrolled: 1-line block ×4, first 2 shown]
	s_and_saveexec_b32 s15, vcc_lo
	s_cbranch_execz .LBB206_1416
; %bb.1415:                             ;   in Loop: Header=BB206_803 Depth=1
	v_cmp_lt_i32_e64 s4, v100, v47
	v_cndmask_b32_e64 v35, 0, v35, s4
	v_cmp_lt_i32_e64 s4, v103, v47
	v_cndmask_b32_e64 v36, 0, v36, s4
	;; [unrolled: 2-line block ×4, first 2 shown]
.LBB206_1416:                           ;   in Loop: Header=BB206_803 Depth=1
	s_or_b32 exec_lo, exec_lo, s15
	flat_load_dword v37, v[0:1] offset:256
	v_mov_b32_e32 v17, 0
	v_mov_b32_e32 v15, 0
	;; [unrolled: 1-line block ×4, first 2 shown]
	s_waitcnt vmcnt(0) lgkmcnt(0)
	v_cmp_ne_u16_sdwa s4, v37, v7 src0_sel:BYTE_0 src1_sel:DWORD
	s_and_saveexec_b32 s15, s4
	s_cbranch_execz .LBB206_1424
; %bb.1417:                             ;   in Loop: Header=BB206_803 Depth=1
	v_bfrev_b32_e32 v15, 1
	v_mov_b32_e32 v16, 0
	v_cmp_ne_u16_sdwa s4, v37, v70 src0_sel:BYTE_0 src1_sel:DWORD
	s_and_saveexec_b32 s17, s4
	s_cbranch_execz .LBB206_1423
; %bb.1418:                             ;   in Loop: Header=BB206_803 Depth=1
	v_mov_b32_e32 v15, 0x7f800001
	v_and_b32_e32 v10, 0x7f, v37
	v_mov_b32_e32 v16, 0
	s_mov_b32 s18, exec_lo
	v_cmpx_ne_u32_e32 0x7f, v10
	s_cbranch_execz .LBB206_1422
; %bb.1419:                             ;   in Loop: Header=BB206_803 Depth=1
	v_and_b32_e32 v6, 7, v37
	v_lshrrev_b32_e32 v8, 3, v10
	s_mov_b32 s19, exec_lo
	v_cmpx_gt_u32_e32 8, v10
; %bb.1420:                             ;   in Loop: Header=BB206_803 Depth=1
	v_ffbh_u32_e32 v8, v6
	v_min_u32_e32 v8, 32, v8
	v_subrev_nc_u32_e32 v10, 28, v8
	v_sub_nc_u32_e32 v8, 29, v8
	v_lshlrev_b64 v[10:11], v10, v[6:7]
	v_and_b32_e32 v6, 7, v10
; %bb.1421:                             ;   in Loop: Header=BB206_803 Depth=1
	s_or_b32 exec_lo, exec_lo, s19
	v_lshlrev_b32_e32 v10, 24, v37
	v_lshlrev_b32_e32 v6, 20, v6
	v_lshl_add_u32 v8, v8, 23, 0x3c000000
	v_and_b32_e32 v10, 0x80000000, v10
	v_or3_b32 v6, v6, v10, v8
	v_mov_b32_e32 v16, v7
	v_mov_b32_e32 v15, v6
.LBB206_1422:                           ;   in Loop: Header=BB206_803 Depth=1
	s_or_b32 exec_lo, exec_lo, s18
.LBB206_1423:                           ;   in Loop: Header=BB206_803 Depth=1
	s_or_b32 exec_lo, exec_lo, s17
.LBB206_1424:                           ;   in Loop: Header=BB206_803 Depth=1
	s_or_b32 exec_lo, exec_lo, s15
	v_cmp_ne_u16_sdwa s4, v37, v7 src0_sel:BYTE_1 src1_sel:DWORD
	s_and_saveexec_b32 s15, s4
	s_cbranch_execz .LBB206_1432
; %bb.1425:                             ;   in Loop: Header=BB206_803 Depth=1
	v_mov_b32_e32 v8, v7
	v_mov_b32_e32 v18, v9
	v_cmp_ne_u16_sdwa s4, v37, v70 src0_sel:BYTE_1 src1_sel:DWORD
	v_mov_b32_e32 v17, v8
	s_and_saveexec_b32 s17, s4
	s_cbranch_execz .LBB206_1431
; %bb.1426:                             ;   in Loop: Header=BB206_803 Depth=1
	v_and_b32_sdwa v6, v27, v37 dst_sel:DWORD dst_unused:UNUSED_PAD src0_sel:DWORD src1_sel:BYTE_1
	v_mov_b32_e32 v11, v7
	v_mov_b32_e32 v18, v12
	s_mov_b32 s18, exec_lo
	v_and_b32_e32 v10, 0x7f, v6
	v_mov_b32_e32 v17, v11
	v_cmpx_ne_u32_e32 0x7f, v10
	s_cbranch_execz .LBB206_1430
; %bb.1427:                             ;   in Loop: Header=BB206_803 Depth=1
	v_and_b32_e32 v6, 7, v6
	v_lshrrev_b32_e32 v8, 3, v10
	s_mov_b32 s19, exec_lo
	v_cmpx_gt_u32_e32 8, v10
; %bb.1428:                             ;   in Loop: Header=BB206_803 Depth=1
	v_ffbh_u32_e32 v8, v6
	v_min_u32_e32 v8, 32, v8
	v_subrev_nc_u32_e32 v10, 28, v8
	v_sub_nc_u32_e32 v8, 29, v8
	v_lshlrev_b64 v[10:11], v10, v[6:7]
	v_and_b32_e32 v6, 7, v10
; %bb.1429:                             ;   in Loop: Header=BB206_803 Depth=1
	s_or_b32 exec_lo, exec_lo, s19
	v_lshlrev_b32_e32 v10, 16, v37
	v_lshlrev_b32_e32 v6, 20, v6
	v_lshl_add_u32 v8, v8, 23, 0x3c000000
	v_mov_b32_e32 v17, v7
	v_and_b32_e32 v10, 0x80000000, v10
	v_or3_b32 v18, v6, v10, v8
.LBB206_1430:                           ;   in Loop: Header=BB206_803 Depth=1
	s_or_b32 exec_lo, exec_lo, s18
.LBB206_1431:                           ;   in Loop: Header=BB206_803 Depth=1
	s_or_b32 exec_lo, exec_lo, s17
.LBB206_1432:                           ;   in Loop: Header=BB206_803 Depth=1
	s_or_b32 exec_lo, exec_lo, s15
	v_mov_b32_e32 v10, 0
	v_mov_b32_e32 v21, 0
	v_and_b32_sdwa v6, v37, v80 dst_sel:DWORD dst_unused:UNUSED_PAD src0_sel:WORD_1 src1_sel:DWORD
	v_mov_b32_e32 v11, 0
	v_mov_b32_e32 v22, 0
	s_mov_b32 s15, exec_lo
	v_cmpx_ne_u16_e32 0, v6
	s_cbranch_execz .LBB206_1440
; %bb.1433:                             ;   in Loop: Header=BB206_803 Depth=1
	v_bfrev_b32_e32 v21, 1
	v_mov_b32_e32 v22, 0
	s_mov_b32 s17, exec_lo
	v_cmpx_ne_u16_e32 0x80, v6
	s_cbranch_execz .LBB206_1439
; %bb.1434:                             ;   in Loop: Header=BB206_803 Depth=1
	v_mov_b32_e32 v21, 0x7f800001
	v_bfe_u32 v27, v37, 16, 7
	v_mov_b32_e32 v22, 0
	s_mov_b32 s18, exec_lo
	v_cmpx_ne_u32_e32 0x7f, v27
	s_cbranch_execz .LBB206_1438
; %bb.1435:                             ;   in Loop: Header=BB206_803 Depth=1
	v_mov_b32_e32 v6, 7
	v_lshrrev_b32_e32 v8, 3, v27
	s_mov_b32 s19, exec_lo
	v_and_b32_sdwa v6, v37, v6 dst_sel:DWORD dst_unused:UNUSED_PAD src0_sel:WORD_1 src1_sel:DWORD
	v_cmpx_gt_u32_e32 8, v27
; %bb.1436:                             ;   in Loop: Header=BB206_803 Depth=1
	v_ffbh_u32_e32 v8, v6
	v_min_u32_e32 v8, 32, v8
	v_subrev_nc_u32_e32 v21, 28, v8
	v_sub_nc_u32_e32 v8, 29, v8
	v_lshlrev_b64 v[21:22], v21, v[6:7]
	v_and_b32_e32 v6, 7, v21
; %bb.1437:                             ;   in Loop: Header=BB206_803 Depth=1
	s_or_b32 exec_lo, exec_lo, s19
	v_mov_b32_e32 v21, 24
	v_lshlrev_b32_e32 v6, 20, v6
	v_lshl_add_u32 v8, v8, 23, 0x3c000000
	v_lshlrev_b32_sdwa v21, v21, v37 dst_sel:DWORD dst_unused:UNUSED_PAD src0_sel:DWORD src1_sel:WORD_1
	v_and_b32_e32 v21, 0x80000000, v21
	v_or3_b32 v6, v6, v21, v8
	v_mov_b32_e32 v22, v7
	v_mov_b32_e32 v21, v6
.LBB206_1438:                           ;   in Loop: Header=BB206_803 Depth=1
	s_or_b32 exec_lo, exec_lo, s18
	v_mov_b32_e32 v27, 0xffff
.LBB206_1439:                           ;   in Loop: Header=BB206_803 Depth=1
	s_or_b32 exec_lo, exec_lo, s17
.LBB206_1440:                           ;   in Loop: Header=BB206_803 Depth=1
	s_or_b32 exec_lo, exec_lo, s15
	s_mov_b32 s15, exec_lo
	v_cmpx_lt_u32_e32 0xffffff, v37
	s_cbranch_execz .LBB206_1448
; %bb.1441:                             ;   in Loop: Header=BB206_803 Depth=1
	v_mov_b32_e32 v8, v7
	v_mov_b32_e32 v11, v9
	v_cmp_ne_u32_sdwa s4, v37, v70 src0_sel:BYTE_3 src1_sel:DWORD
	v_mov_b32_e32 v10, v8
	s_and_saveexec_b32 s17, s4
	s_cbranch_execz .LBB206_1447
; %bb.1442:                             ;   in Loop: Header=BB206_803 Depth=1
	v_mov_b32_e32 v11, v7
	v_bfe_u32 v38, v37, 24, 7
	s_mov_b32 s18, exec_lo
	v_mov_b32_e32 v10, v11
	v_mov_b32_e32 v11, v12
	v_cmpx_ne_u32_e32 0x7f, v38
	s_cbranch_execz .LBB206_1446
; %bb.1443:                             ;   in Loop: Header=BB206_803 Depth=1
	v_mov_b32_e32 v6, 7
	v_lshrrev_b32_e32 v8, 3, v38
	s_mov_b32 s19, exec_lo
	v_and_b32_sdwa v6, v37, v6 dst_sel:DWORD dst_unused:UNUSED_PAD src0_sel:BYTE_3 src1_sel:DWORD
	v_cmpx_gt_u32_e32 8, v38
; %bb.1444:                             ;   in Loop: Header=BB206_803 Depth=1
	v_ffbh_u32_e32 v8, v6
	v_min_u32_e32 v8, 32, v8
	v_subrev_nc_u32_e32 v10, 28, v8
	v_sub_nc_u32_e32 v8, 29, v8
	v_lshlrev_b64 v[10:11], v10, v[6:7]
	v_and_b32_e32 v6, 7, v10
; %bb.1445:                             ;   in Loop: Header=BB206_803 Depth=1
	s_or_b32 exec_lo, exec_lo, s19
	v_mov_b32_e32 v10, 24
	v_lshlrev_b32_e32 v6, 20, v6
	v_lshl_add_u32 v8, v8, 23, 0x3c000000
	v_lshlrev_b32_sdwa v10, v10, v37 dst_sel:DWORD dst_unused:UNUSED_PAD src0_sel:DWORD src1_sel:BYTE_3
	v_and_b32_e32 v10, 0x80000000, v10
	v_or3_b32 v11, v6, v10, v8
	v_mov_b32_e32 v10, v7
.LBB206_1446:                           ;   in Loop: Header=BB206_803 Depth=1
	s_or_b32 exec_lo, exec_lo, s18
.LBB206_1447:                           ;   in Loop: Header=BB206_803 Depth=1
	s_or_b32 exec_lo, exec_lo, s17
.LBB206_1448:                           ;   in Loop: Header=BB206_803 Depth=1
	s_or_b32 exec_lo, exec_lo, s15
	v_or_b32_e32 v6, v18, v16
	v_or_b32_e32 v8, v17, v15
	;; [unrolled: 1-line block ×4, first 2 shown]
	v_mul_f32_e32 v48, v87, v6
	v_mul_f32_e32 v39, v87, v8
	;; [unrolled: 1-line block ×4, first 2 shown]
	s_and_saveexec_b32 s15, vcc_lo
	s_cbranch_execz .LBB206_1450
; %bb.1449:                             ;   in Loop: Header=BB206_803 Depth=1
	v_cmp_lt_i32_e64 s4, v100, v47
	v_cndmask_b32_e64 v39, 0, v39, s4
	v_cmp_lt_i32_e64 s4, v103, v47
	v_cndmask_b32_e64 v48, 0, v48, s4
	;; [unrolled: 2-line block ×4, first 2 shown]
.LBB206_1450:                           ;   in Loop: Header=BB206_803 Depth=1
	s_or_b32 exec_lo, exec_lo, s15
	flat_load_dword v49, v[0:1] offset:384
	v_mov_b32_e32 v17, 0
	v_mov_b32_e32 v15, 0
	;; [unrolled: 1-line block ×4, first 2 shown]
	s_waitcnt vmcnt(0) lgkmcnt(0)
	v_cmp_ne_u16_sdwa s4, v49, v7 src0_sel:BYTE_0 src1_sel:DWORD
	s_and_saveexec_b32 s15, s4
	s_cbranch_execz .LBB206_1458
; %bb.1451:                             ;   in Loop: Header=BB206_803 Depth=1
	v_bfrev_b32_e32 v15, 1
	v_mov_b32_e32 v16, 0
	v_cmp_ne_u16_sdwa s4, v49, v70 src0_sel:BYTE_0 src1_sel:DWORD
	s_and_saveexec_b32 s17, s4
	s_cbranch_execz .LBB206_1457
; %bb.1452:                             ;   in Loop: Header=BB206_803 Depth=1
	v_mov_b32_e32 v15, 0x7f800001
	v_and_b32_e32 v10, 0x7f, v49
	v_mov_b32_e32 v16, 0
	s_mov_b32 s18, exec_lo
	v_cmpx_ne_u32_e32 0x7f, v10
	s_cbranch_execz .LBB206_1456
; %bb.1453:                             ;   in Loop: Header=BB206_803 Depth=1
	v_and_b32_e32 v6, 7, v49
	v_lshrrev_b32_e32 v8, 3, v10
	s_mov_b32 s19, exec_lo
	v_cmpx_gt_u32_e32 8, v10
; %bb.1454:                             ;   in Loop: Header=BB206_803 Depth=1
	v_ffbh_u32_e32 v8, v6
	v_min_u32_e32 v8, 32, v8
	v_subrev_nc_u32_e32 v10, 28, v8
	v_sub_nc_u32_e32 v8, 29, v8
	v_lshlrev_b64 v[10:11], v10, v[6:7]
	v_and_b32_e32 v6, 7, v10
; %bb.1455:                             ;   in Loop: Header=BB206_803 Depth=1
	s_or_b32 exec_lo, exec_lo, s19
	v_lshlrev_b32_e32 v10, 24, v49
	v_lshlrev_b32_e32 v6, 20, v6
	v_lshl_add_u32 v8, v8, 23, 0x3c000000
	v_and_b32_e32 v10, 0x80000000, v10
	v_or3_b32 v6, v6, v10, v8
	v_mov_b32_e32 v16, v7
	v_mov_b32_e32 v15, v6
.LBB206_1456:                           ;   in Loop: Header=BB206_803 Depth=1
	s_or_b32 exec_lo, exec_lo, s18
.LBB206_1457:                           ;   in Loop: Header=BB206_803 Depth=1
	s_or_b32 exec_lo, exec_lo, s17
.LBB206_1458:                           ;   in Loop: Header=BB206_803 Depth=1
	s_or_b32 exec_lo, exec_lo, s15
	v_cmp_ne_u16_sdwa s4, v49, v7 src0_sel:BYTE_1 src1_sel:DWORD
	s_and_saveexec_b32 s15, s4
	s_cbranch_execz .LBB206_1466
; %bb.1459:                             ;   in Loop: Header=BB206_803 Depth=1
	v_mov_b32_e32 v8, v7
	v_mov_b32_e32 v18, v9
	v_cmp_ne_u16_sdwa s4, v49, v70 src0_sel:BYTE_1 src1_sel:DWORD
	v_mov_b32_e32 v17, v8
	s_and_saveexec_b32 s17, s4
	s_cbranch_execz .LBB206_1465
; %bb.1460:                             ;   in Loop: Header=BB206_803 Depth=1
	v_and_b32_sdwa v6, v27, v49 dst_sel:DWORD dst_unused:UNUSED_PAD src0_sel:DWORD src1_sel:BYTE_1
	v_mov_b32_e32 v11, v7
	v_mov_b32_e32 v18, v12
	s_mov_b32 s18, exec_lo
	v_and_b32_e32 v10, 0x7f, v6
	v_mov_b32_e32 v17, v11
	v_cmpx_ne_u32_e32 0x7f, v10
	s_cbranch_execz .LBB206_1464
; %bb.1461:                             ;   in Loop: Header=BB206_803 Depth=1
	v_and_b32_e32 v6, 7, v6
	v_lshrrev_b32_e32 v8, 3, v10
	s_mov_b32 s19, exec_lo
	v_cmpx_gt_u32_e32 8, v10
; %bb.1462:                             ;   in Loop: Header=BB206_803 Depth=1
	v_ffbh_u32_e32 v8, v6
	v_min_u32_e32 v8, 32, v8
	v_subrev_nc_u32_e32 v10, 28, v8
	v_sub_nc_u32_e32 v8, 29, v8
	v_lshlrev_b64 v[10:11], v10, v[6:7]
	v_and_b32_e32 v6, 7, v10
; %bb.1463:                             ;   in Loop: Header=BB206_803 Depth=1
	s_or_b32 exec_lo, exec_lo, s19
	v_lshlrev_b32_e32 v10, 16, v49
	v_lshlrev_b32_e32 v6, 20, v6
	v_lshl_add_u32 v8, v8, 23, 0x3c000000
	v_mov_b32_e32 v17, v7
	v_and_b32_e32 v10, 0x80000000, v10
	v_or3_b32 v18, v6, v10, v8
.LBB206_1464:                           ;   in Loop: Header=BB206_803 Depth=1
	s_or_b32 exec_lo, exec_lo, s18
.LBB206_1465:                           ;   in Loop: Header=BB206_803 Depth=1
	s_or_b32 exec_lo, exec_lo, s17
.LBB206_1466:                           ;   in Loop: Header=BB206_803 Depth=1
	s_or_b32 exec_lo, exec_lo, s15
	v_mov_b32_e32 v10, 0
	v_mov_b32_e32 v21, 0
	v_and_b32_sdwa v6, v49, v80 dst_sel:DWORD dst_unused:UNUSED_PAD src0_sel:WORD_1 src1_sel:DWORD
	v_mov_b32_e32 v11, 0
	v_mov_b32_e32 v22, 0
	s_mov_b32 s15, exec_lo
	v_cmpx_ne_u16_e32 0, v6
	s_cbranch_execz .LBB206_1474
; %bb.1467:                             ;   in Loop: Header=BB206_803 Depth=1
	v_bfrev_b32_e32 v21, 1
	v_mov_b32_e32 v22, 0
	s_mov_b32 s17, exec_lo
	v_cmpx_ne_u16_e32 0x80, v6
	s_cbranch_execz .LBB206_1473
; %bb.1468:                             ;   in Loop: Header=BB206_803 Depth=1
	v_mov_b32_e32 v21, 0x7f800001
	v_bfe_u32 v27, v49, 16, 7
	v_mov_b32_e32 v22, 0
	s_mov_b32 s18, exec_lo
	v_cmpx_ne_u32_e32 0x7f, v27
	s_cbranch_execz .LBB206_1472
; %bb.1469:                             ;   in Loop: Header=BB206_803 Depth=1
	v_mov_b32_e32 v6, 7
	v_lshrrev_b32_e32 v8, 3, v27
	s_mov_b32 s19, exec_lo
	v_and_b32_sdwa v6, v49, v6 dst_sel:DWORD dst_unused:UNUSED_PAD src0_sel:WORD_1 src1_sel:DWORD
	v_cmpx_gt_u32_e32 8, v27
; %bb.1470:                             ;   in Loop: Header=BB206_803 Depth=1
	v_ffbh_u32_e32 v8, v6
	v_min_u32_e32 v8, 32, v8
	v_subrev_nc_u32_e32 v21, 28, v8
	v_sub_nc_u32_e32 v8, 29, v8
	v_lshlrev_b64 v[21:22], v21, v[6:7]
	v_and_b32_e32 v6, 7, v21
; %bb.1471:                             ;   in Loop: Header=BB206_803 Depth=1
	s_or_b32 exec_lo, exec_lo, s19
	v_mov_b32_e32 v21, 24
	v_lshlrev_b32_e32 v6, 20, v6
	v_lshl_add_u32 v8, v8, 23, 0x3c000000
	v_lshlrev_b32_sdwa v21, v21, v49 dst_sel:DWORD dst_unused:UNUSED_PAD src0_sel:DWORD src1_sel:WORD_1
	v_and_b32_e32 v21, 0x80000000, v21
	v_or3_b32 v6, v6, v21, v8
	v_mov_b32_e32 v22, v7
	v_mov_b32_e32 v21, v6
.LBB206_1472:                           ;   in Loop: Header=BB206_803 Depth=1
	s_or_b32 exec_lo, exec_lo, s18
	v_mov_b32_e32 v27, 0xffff
.LBB206_1473:                           ;   in Loop: Header=BB206_803 Depth=1
	s_or_b32 exec_lo, exec_lo, s17
.LBB206_1474:                           ;   in Loop: Header=BB206_803 Depth=1
	s_or_b32 exec_lo, exec_lo, s15
	s_mov_b32 s15, exec_lo
	v_cmpx_lt_u32_e32 0xffffff, v49
	s_cbranch_execz .LBB206_1482
; %bb.1475:                             ;   in Loop: Header=BB206_803 Depth=1
	v_mov_b32_e32 v8, v7
	v_mov_b32_e32 v11, v9
	v_cmp_ne_u32_sdwa s4, v49, v70 src0_sel:BYTE_3 src1_sel:DWORD
	v_mov_b32_e32 v10, v8
	s_and_saveexec_b32 s17, s4
	s_cbranch_execz .LBB206_1481
; %bb.1476:                             ;   in Loop: Header=BB206_803 Depth=1
	v_mov_b32_e32 v11, v7
	v_bfe_u32 v50, v49, 24, 7
	s_mov_b32 s18, exec_lo
	v_mov_b32_e32 v10, v11
	v_mov_b32_e32 v11, v12
	v_cmpx_ne_u32_e32 0x7f, v50
	s_cbranch_execz .LBB206_1480
; %bb.1477:                             ;   in Loop: Header=BB206_803 Depth=1
	v_mov_b32_e32 v6, 7
	v_lshrrev_b32_e32 v8, 3, v50
	s_mov_b32 s19, exec_lo
	v_and_b32_sdwa v6, v49, v6 dst_sel:DWORD dst_unused:UNUSED_PAD src0_sel:BYTE_3 src1_sel:DWORD
	v_cmpx_gt_u32_e32 8, v50
; %bb.1478:                             ;   in Loop: Header=BB206_803 Depth=1
	v_ffbh_u32_e32 v8, v6
	v_min_u32_e32 v8, 32, v8
	v_subrev_nc_u32_e32 v10, 28, v8
	v_sub_nc_u32_e32 v8, 29, v8
	v_lshlrev_b64 v[10:11], v10, v[6:7]
	v_and_b32_e32 v6, 7, v10
; %bb.1479:                             ;   in Loop: Header=BB206_803 Depth=1
	s_or_b32 exec_lo, exec_lo, s19
	v_mov_b32_e32 v10, 24
	v_lshlrev_b32_e32 v6, 20, v6
	v_lshl_add_u32 v8, v8, 23, 0x3c000000
	v_lshlrev_b32_sdwa v10, v10, v49 dst_sel:DWORD dst_unused:UNUSED_PAD src0_sel:DWORD src1_sel:BYTE_3
	v_and_b32_e32 v10, 0x80000000, v10
	v_or3_b32 v11, v6, v10, v8
	v_mov_b32_e32 v10, v7
.LBB206_1480:                           ;   in Loop: Header=BB206_803 Depth=1
	s_or_b32 exec_lo, exec_lo, s18
.LBB206_1481:                           ;   in Loop: Header=BB206_803 Depth=1
	s_or_b32 exec_lo, exec_lo, s17
.LBB206_1482:                           ;   in Loop: Header=BB206_803 Depth=1
	s_or_b32 exec_lo, exec_lo, s15
	v_or_b32_e32 v6, v18, v16
	v_or_b32_e32 v8, v17, v15
	;; [unrolled: 1-line block ×4, first 2 shown]
	v_mul_f32_e32 v52, v87, v6
	v_mul_f32_e32 v51, v87, v8
	;; [unrolled: 1-line block ×4, first 2 shown]
	s_and_saveexec_b32 s15, vcc_lo
	s_cbranch_execz .LBB206_1484
; %bb.1483:                             ;   in Loop: Header=BB206_803 Depth=1
	v_cmp_lt_i32_e64 s4, v100, v47
	v_cndmask_b32_e64 v51, 0, v51, s4
	v_cmp_lt_i32_e64 s4, v103, v47
	v_cndmask_b32_e64 v52, 0, v52, s4
	;; [unrolled: 2-line block ×4, first 2 shown]
.LBB206_1484:                           ;   in Loop: Header=BB206_803 Depth=1
	s_or_b32 exec_lo, exec_lo, s15
	flat_load_dword v53, v[0:1] offset:512
	v_mov_b32_e32 v17, 0
	v_mov_b32_e32 v15, 0
	;; [unrolled: 1-line block ×4, first 2 shown]
	s_waitcnt vmcnt(0) lgkmcnt(0)
	v_cmp_ne_u16_sdwa s4, v53, v7 src0_sel:BYTE_0 src1_sel:DWORD
	s_and_saveexec_b32 s15, s4
	s_cbranch_execz .LBB206_1492
; %bb.1485:                             ;   in Loop: Header=BB206_803 Depth=1
	v_bfrev_b32_e32 v15, 1
	v_mov_b32_e32 v16, 0
	v_cmp_ne_u16_sdwa s4, v53, v70 src0_sel:BYTE_0 src1_sel:DWORD
	s_and_saveexec_b32 s17, s4
	s_cbranch_execz .LBB206_1491
; %bb.1486:                             ;   in Loop: Header=BB206_803 Depth=1
	v_mov_b32_e32 v15, 0x7f800001
	v_and_b32_e32 v10, 0x7f, v53
	v_mov_b32_e32 v16, 0
	s_mov_b32 s18, exec_lo
	v_cmpx_ne_u32_e32 0x7f, v10
	s_cbranch_execz .LBB206_1490
; %bb.1487:                             ;   in Loop: Header=BB206_803 Depth=1
	v_and_b32_e32 v6, 7, v53
	v_lshrrev_b32_e32 v8, 3, v10
	s_mov_b32 s19, exec_lo
	v_cmpx_gt_u32_e32 8, v10
; %bb.1488:                             ;   in Loop: Header=BB206_803 Depth=1
	v_ffbh_u32_e32 v8, v6
	v_min_u32_e32 v8, 32, v8
	v_subrev_nc_u32_e32 v10, 28, v8
	v_sub_nc_u32_e32 v8, 29, v8
	v_lshlrev_b64 v[10:11], v10, v[6:7]
	v_and_b32_e32 v6, 7, v10
; %bb.1489:                             ;   in Loop: Header=BB206_803 Depth=1
	s_or_b32 exec_lo, exec_lo, s19
	v_lshlrev_b32_e32 v10, 24, v53
	v_lshlrev_b32_e32 v6, 20, v6
	v_lshl_add_u32 v8, v8, 23, 0x3c000000
	v_and_b32_e32 v10, 0x80000000, v10
	v_or3_b32 v6, v6, v10, v8
	v_mov_b32_e32 v16, v7
	v_mov_b32_e32 v15, v6
.LBB206_1490:                           ;   in Loop: Header=BB206_803 Depth=1
	s_or_b32 exec_lo, exec_lo, s18
.LBB206_1491:                           ;   in Loop: Header=BB206_803 Depth=1
	s_or_b32 exec_lo, exec_lo, s17
.LBB206_1492:                           ;   in Loop: Header=BB206_803 Depth=1
	s_or_b32 exec_lo, exec_lo, s15
	v_cmp_ne_u16_sdwa s4, v53, v7 src0_sel:BYTE_1 src1_sel:DWORD
	s_and_saveexec_b32 s15, s4
	s_cbranch_execz .LBB206_1500
; %bb.1493:                             ;   in Loop: Header=BB206_803 Depth=1
	v_mov_b32_e32 v8, v7
	v_mov_b32_e32 v18, v9
	v_cmp_ne_u16_sdwa s4, v53, v70 src0_sel:BYTE_1 src1_sel:DWORD
	v_mov_b32_e32 v17, v8
	s_and_saveexec_b32 s17, s4
	s_cbranch_execz .LBB206_1499
; %bb.1494:                             ;   in Loop: Header=BB206_803 Depth=1
	v_and_b32_sdwa v6, v27, v53 dst_sel:DWORD dst_unused:UNUSED_PAD src0_sel:DWORD src1_sel:BYTE_1
	v_mov_b32_e32 v11, v7
	v_mov_b32_e32 v18, v12
	s_mov_b32 s18, exec_lo
	v_and_b32_e32 v10, 0x7f, v6
	v_mov_b32_e32 v17, v11
	v_cmpx_ne_u32_e32 0x7f, v10
	s_cbranch_execz .LBB206_1498
; %bb.1495:                             ;   in Loop: Header=BB206_803 Depth=1
	v_and_b32_e32 v6, 7, v6
	v_lshrrev_b32_e32 v8, 3, v10
	s_mov_b32 s19, exec_lo
	v_cmpx_gt_u32_e32 8, v10
; %bb.1496:                             ;   in Loop: Header=BB206_803 Depth=1
	v_ffbh_u32_e32 v8, v6
	v_min_u32_e32 v8, 32, v8
	v_subrev_nc_u32_e32 v10, 28, v8
	v_sub_nc_u32_e32 v8, 29, v8
	v_lshlrev_b64 v[10:11], v10, v[6:7]
	v_and_b32_e32 v6, 7, v10
; %bb.1497:                             ;   in Loop: Header=BB206_803 Depth=1
	s_or_b32 exec_lo, exec_lo, s19
	v_lshlrev_b32_e32 v10, 16, v53
	v_lshlrev_b32_e32 v6, 20, v6
	v_lshl_add_u32 v8, v8, 23, 0x3c000000
	v_mov_b32_e32 v17, v7
	v_and_b32_e32 v10, 0x80000000, v10
	v_or3_b32 v18, v6, v10, v8
.LBB206_1498:                           ;   in Loop: Header=BB206_803 Depth=1
	s_or_b32 exec_lo, exec_lo, s18
.LBB206_1499:                           ;   in Loop: Header=BB206_803 Depth=1
	s_or_b32 exec_lo, exec_lo, s17
.LBB206_1500:                           ;   in Loop: Header=BB206_803 Depth=1
	s_or_b32 exec_lo, exec_lo, s15
	v_mov_b32_e32 v10, 0
	v_mov_b32_e32 v21, 0
	v_and_b32_sdwa v6, v53, v80 dst_sel:DWORD dst_unused:UNUSED_PAD src0_sel:WORD_1 src1_sel:DWORD
	v_mov_b32_e32 v11, 0
	v_mov_b32_e32 v22, 0
	s_mov_b32 s15, exec_lo
	v_cmpx_ne_u16_e32 0, v6
	s_cbranch_execz .LBB206_1508
; %bb.1501:                             ;   in Loop: Header=BB206_803 Depth=1
	v_bfrev_b32_e32 v21, 1
	v_mov_b32_e32 v22, 0
	s_mov_b32 s17, exec_lo
	v_cmpx_ne_u16_e32 0x80, v6
	s_cbranch_execz .LBB206_1507
; %bb.1502:                             ;   in Loop: Header=BB206_803 Depth=1
	v_mov_b32_e32 v21, 0x7f800001
	v_bfe_u32 v27, v53, 16, 7
	v_mov_b32_e32 v22, 0
	s_mov_b32 s18, exec_lo
	v_cmpx_ne_u32_e32 0x7f, v27
	s_cbranch_execz .LBB206_1506
; %bb.1503:                             ;   in Loop: Header=BB206_803 Depth=1
	v_mov_b32_e32 v6, 7
	v_lshrrev_b32_e32 v8, 3, v27
	s_mov_b32 s19, exec_lo
	v_and_b32_sdwa v6, v53, v6 dst_sel:DWORD dst_unused:UNUSED_PAD src0_sel:WORD_1 src1_sel:DWORD
	v_cmpx_gt_u32_e32 8, v27
; %bb.1504:                             ;   in Loop: Header=BB206_803 Depth=1
	v_ffbh_u32_e32 v8, v6
	v_min_u32_e32 v8, 32, v8
	v_subrev_nc_u32_e32 v21, 28, v8
	v_sub_nc_u32_e32 v8, 29, v8
	v_lshlrev_b64 v[21:22], v21, v[6:7]
	v_and_b32_e32 v6, 7, v21
; %bb.1505:                             ;   in Loop: Header=BB206_803 Depth=1
	s_or_b32 exec_lo, exec_lo, s19
	v_mov_b32_e32 v21, 24
	v_lshlrev_b32_e32 v6, 20, v6
	v_lshl_add_u32 v8, v8, 23, 0x3c000000
	v_lshlrev_b32_sdwa v21, v21, v53 dst_sel:DWORD dst_unused:UNUSED_PAD src0_sel:DWORD src1_sel:WORD_1
	v_and_b32_e32 v21, 0x80000000, v21
	v_or3_b32 v6, v6, v21, v8
	v_mov_b32_e32 v22, v7
	v_mov_b32_e32 v21, v6
.LBB206_1506:                           ;   in Loop: Header=BB206_803 Depth=1
	s_or_b32 exec_lo, exec_lo, s18
	v_mov_b32_e32 v27, 0xffff
.LBB206_1507:                           ;   in Loop: Header=BB206_803 Depth=1
	s_or_b32 exec_lo, exec_lo, s17
.LBB206_1508:                           ;   in Loop: Header=BB206_803 Depth=1
	s_or_b32 exec_lo, exec_lo, s15
	s_mov_b32 s15, exec_lo
	v_cmpx_lt_u32_e32 0xffffff, v53
	s_cbranch_execz .LBB206_1516
; %bb.1509:                             ;   in Loop: Header=BB206_803 Depth=1
	v_mov_b32_e32 v8, v7
	v_mov_b32_e32 v11, v9
	v_cmp_ne_u32_sdwa s4, v53, v70 src0_sel:BYTE_3 src1_sel:DWORD
	v_mov_b32_e32 v10, v8
	s_and_saveexec_b32 s17, s4
	s_cbranch_execz .LBB206_1515
; %bb.1510:                             ;   in Loop: Header=BB206_803 Depth=1
	v_mov_b32_e32 v11, v7
	v_bfe_u32 v54, v53, 24, 7
	s_mov_b32 s18, exec_lo
	v_mov_b32_e32 v10, v11
	v_mov_b32_e32 v11, v12
	v_cmpx_ne_u32_e32 0x7f, v54
	s_cbranch_execz .LBB206_1514
; %bb.1511:                             ;   in Loop: Header=BB206_803 Depth=1
	v_mov_b32_e32 v6, 7
	v_lshrrev_b32_e32 v8, 3, v54
	s_mov_b32 s19, exec_lo
	v_and_b32_sdwa v6, v53, v6 dst_sel:DWORD dst_unused:UNUSED_PAD src0_sel:BYTE_3 src1_sel:DWORD
	v_cmpx_gt_u32_e32 8, v54
; %bb.1512:                             ;   in Loop: Header=BB206_803 Depth=1
	v_ffbh_u32_e32 v8, v6
	v_min_u32_e32 v8, 32, v8
	v_subrev_nc_u32_e32 v10, 28, v8
	v_sub_nc_u32_e32 v8, 29, v8
	v_lshlrev_b64 v[10:11], v10, v[6:7]
	v_and_b32_e32 v6, 7, v10
; %bb.1513:                             ;   in Loop: Header=BB206_803 Depth=1
	s_or_b32 exec_lo, exec_lo, s19
	v_mov_b32_e32 v10, 24
	v_lshlrev_b32_e32 v6, 20, v6
	v_lshl_add_u32 v8, v8, 23, 0x3c000000
	v_lshlrev_b32_sdwa v10, v10, v53 dst_sel:DWORD dst_unused:UNUSED_PAD src0_sel:DWORD src1_sel:BYTE_3
	v_and_b32_e32 v10, 0x80000000, v10
	v_or3_b32 v11, v6, v10, v8
	v_mov_b32_e32 v10, v7
.LBB206_1514:                           ;   in Loop: Header=BB206_803 Depth=1
	s_or_b32 exec_lo, exec_lo, s18
.LBB206_1515:                           ;   in Loop: Header=BB206_803 Depth=1
	s_or_b32 exec_lo, exec_lo, s17
.LBB206_1516:                           ;   in Loop: Header=BB206_803 Depth=1
	s_or_b32 exec_lo, exec_lo, s15
	v_or_b32_e32 v6, v18, v16
	v_or_b32_e32 v8, v17, v15
	;; [unrolled: 1-line block ×4, first 2 shown]
	v_mul_f32_e32 v64, v87, v6
	v_mul_f32_e32 v55, v87, v8
	;; [unrolled: 1-line block ×4, first 2 shown]
	s_and_saveexec_b32 s15, vcc_lo
	s_cbranch_execz .LBB206_1518
; %bb.1517:                             ;   in Loop: Header=BB206_803 Depth=1
	v_cmp_lt_i32_e64 s4, v100, v47
	v_cndmask_b32_e64 v55, 0, v55, s4
	v_cmp_lt_i32_e64 s4, v103, v47
	v_cndmask_b32_e64 v64, 0, v64, s4
	;; [unrolled: 2-line block ×4, first 2 shown]
.LBB206_1518:                           ;   in Loop: Header=BB206_803 Depth=1
	s_or_b32 exec_lo, exec_lo, s15
	flat_load_dword v65, v[0:1] offset:640
	v_mov_b32_e32 v17, 0
	v_mov_b32_e32 v15, 0
	;; [unrolled: 1-line block ×4, first 2 shown]
	s_waitcnt vmcnt(0) lgkmcnt(0)
	v_cmp_ne_u16_sdwa s4, v65, v7 src0_sel:BYTE_0 src1_sel:DWORD
	s_and_saveexec_b32 s15, s4
	s_cbranch_execz .LBB206_1526
; %bb.1519:                             ;   in Loop: Header=BB206_803 Depth=1
	v_bfrev_b32_e32 v15, 1
	v_mov_b32_e32 v16, 0
	v_cmp_ne_u16_sdwa s4, v65, v70 src0_sel:BYTE_0 src1_sel:DWORD
	s_and_saveexec_b32 s17, s4
	s_cbranch_execz .LBB206_1525
; %bb.1520:                             ;   in Loop: Header=BB206_803 Depth=1
	v_mov_b32_e32 v15, 0x7f800001
	v_and_b32_e32 v10, 0x7f, v65
	v_mov_b32_e32 v16, 0
	s_mov_b32 s18, exec_lo
	v_cmpx_ne_u32_e32 0x7f, v10
	s_cbranch_execz .LBB206_1524
; %bb.1521:                             ;   in Loop: Header=BB206_803 Depth=1
	v_and_b32_e32 v6, 7, v65
	v_lshrrev_b32_e32 v8, 3, v10
	s_mov_b32 s19, exec_lo
	v_cmpx_gt_u32_e32 8, v10
; %bb.1522:                             ;   in Loop: Header=BB206_803 Depth=1
	v_ffbh_u32_e32 v8, v6
	v_min_u32_e32 v8, 32, v8
	v_subrev_nc_u32_e32 v10, 28, v8
	v_sub_nc_u32_e32 v8, 29, v8
	v_lshlrev_b64 v[10:11], v10, v[6:7]
	v_and_b32_e32 v6, 7, v10
; %bb.1523:                             ;   in Loop: Header=BB206_803 Depth=1
	s_or_b32 exec_lo, exec_lo, s19
	v_lshlrev_b32_e32 v10, 24, v65
	v_lshlrev_b32_e32 v6, 20, v6
	v_lshl_add_u32 v8, v8, 23, 0x3c000000
	v_and_b32_e32 v10, 0x80000000, v10
	v_or3_b32 v6, v6, v10, v8
	v_mov_b32_e32 v16, v7
	v_mov_b32_e32 v15, v6
.LBB206_1524:                           ;   in Loop: Header=BB206_803 Depth=1
	s_or_b32 exec_lo, exec_lo, s18
.LBB206_1525:                           ;   in Loop: Header=BB206_803 Depth=1
	s_or_b32 exec_lo, exec_lo, s17
.LBB206_1526:                           ;   in Loop: Header=BB206_803 Depth=1
	s_or_b32 exec_lo, exec_lo, s15
	v_cmp_ne_u16_sdwa s4, v65, v7 src0_sel:BYTE_1 src1_sel:DWORD
	s_and_saveexec_b32 s15, s4
	s_cbranch_execz .LBB206_1534
; %bb.1527:                             ;   in Loop: Header=BB206_803 Depth=1
	v_mov_b32_e32 v8, v7
	v_mov_b32_e32 v18, v9
	v_cmp_ne_u16_sdwa s4, v65, v70 src0_sel:BYTE_1 src1_sel:DWORD
	v_mov_b32_e32 v17, v8
	s_and_saveexec_b32 s17, s4
	s_cbranch_execz .LBB206_1533
; %bb.1528:                             ;   in Loop: Header=BB206_803 Depth=1
	v_and_b32_sdwa v6, v27, v65 dst_sel:DWORD dst_unused:UNUSED_PAD src0_sel:DWORD src1_sel:BYTE_1
	v_mov_b32_e32 v11, v7
	v_mov_b32_e32 v18, v12
	s_mov_b32 s18, exec_lo
	v_and_b32_e32 v10, 0x7f, v6
	v_mov_b32_e32 v17, v11
	v_cmpx_ne_u32_e32 0x7f, v10
	s_cbranch_execz .LBB206_1532
; %bb.1529:                             ;   in Loop: Header=BB206_803 Depth=1
	v_and_b32_e32 v6, 7, v6
	v_lshrrev_b32_e32 v8, 3, v10
	s_mov_b32 s19, exec_lo
	v_cmpx_gt_u32_e32 8, v10
; %bb.1530:                             ;   in Loop: Header=BB206_803 Depth=1
	v_ffbh_u32_e32 v8, v6
	v_min_u32_e32 v8, 32, v8
	v_subrev_nc_u32_e32 v10, 28, v8
	v_sub_nc_u32_e32 v8, 29, v8
	v_lshlrev_b64 v[10:11], v10, v[6:7]
	v_and_b32_e32 v6, 7, v10
; %bb.1531:                             ;   in Loop: Header=BB206_803 Depth=1
	s_or_b32 exec_lo, exec_lo, s19
	v_lshlrev_b32_e32 v10, 16, v65
	v_lshlrev_b32_e32 v6, 20, v6
	v_lshl_add_u32 v8, v8, 23, 0x3c000000
	v_mov_b32_e32 v17, v7
	v_and_b32_e32 v10, 0x80000000, v10
	v_or3_b32 v18, v6, v10, v8
.LBB206_1532:                           ;   in Loop: Header=BB206_803 Depth=1
	s_or_b32 exec_lo, exec_lo, s18
.LBB206_1533:                           ;   in Loop: Header=BB206_803 Depth=1
	s_or_b32 exec_lo, exec_lo, s17
.LBB206_1534:                           ;   in Loop: Header=BB206_803 Depth=1
	s_or_b32 exec_lo, exec_lo, s15
	v_mov_b32_e32 v10, 0
	v_mov_b32_e32 v21, 0
	v_and_b32_sdwa v6, v65, v80 dst_sel:DWORD dst_unused:UNUSED_PAD src0_sel:WORD_1 src1_sel:DWORD
	v_mov_b32_e32 v11, 0
	v_mov_b32_e32 v22, 0
	s_mov_b32 s15, exec_lo
	v_cmpx_ne_u16_e32 0, v6
	s_cbranch_execz .LBB206_1542
; %bb.1535:                             ;   in Loop: Header=BB206_803 Depth=1
	v_bfrev_b32_e32 v21, 1
	v_mov_b32_e32 v22, 0
	s_mov_b32 s17, exec_lo
	v_cmpx_ne_u16_e32 0x80, v6
	s_cbranch_execz .LBB206_1541
; %bb.1536:                             ;   in Loop: Header=BB206_803 Depth=1
	v_mov_b32_e32 v21, 0x7f800001
	v_bfe_u32 v27, v65, 16, 7
	v_mov_b32_e32 v22, 0
	s_mov_b32 s18, exec_lo
	v_cmpx_ne_u32_e32 0x7f, v27
	s_cbranch_execz .LBB206_1540
; %bb.1537:                             ;   in Loop: Header=BB206_803 Depth=1
	v_mov_b32_e32 v6, 7
	v_lshrrev_b32_e32 v8, 3, v27
	s_mov_b32 s19, exec_lo
	v_and_b32_sdwa v6, v65, v6 dst_sel:DWORD dst_unused:UNUSED_PAD src0_sel:WORD_1 src1_sel:DWORD
	v_cmpx_gt_u32_e32 8, v27
; %bb.1538:                             ;   in Loop: Header=BB206_803 Depth=1
	v_ffbh_u32_e32 v8, v6
	v_min_u32_e32 v8, 32, v8
	v_subrev_nc_u32_e32 v21, 28, v8
	v_sub_nc_u32_e32 v8, 29, v8
	v_lshlrev_b64 v[21:22], v21, v[6:7]
	v_and_b32_e32 v6, 7, v21
; %bb.1539:                             ;   in Loop: Header=BB206_803 Depth=1
	s_or_b32 exec_lo, exec_lo, s19
	v_mov_b32_e32 v21, 24
	v_lshlrev_b32_e32 v6, 20, v6
	v_lshl_add_u32 v8, v8, 23, 0x3c000000
	v_lshlrev_b32_sdwa v21, v21, v65 dst_sel:DWORD dst_unused:UNUSED_PAD src0_sel:DWORD src1_sel:WORD_1
	v_and_b32_e32 v21, 0x80000000, v21
	v_or3_b32 v6, v6, v21, v8
	v_mov_b32_e32 v22, v7
	v_mov_b32_e32 v21, v6
.LBB206_1540:                           ;   in Loop: Header=BB206_803 Depth=1
	s_or_b32 exec_lo, exec_lo, s18
	v_mov_b32_e32 v27, 0xffff
.LBB206_1541:                           ;   in Loop: Header=BB206_803 Depth=1
	s_or_b32 exec_lo, exec_lo, s17
.LBB206_1542:                           ;   in Loop: Header=BB206_803 Depth=1
	s_or_b32 exec_lo, exec_lo, s15
	s_mov_b32 s15, exec_lo
	v_cmpx_lt_u32_e32 0xffffff, v65
	s_cbranch_execz .LBB206_1550
; %bb.1543:                             ;   in Loop: Header=BB206_803 Depth=1
	v_mov_b32_e32 v8, v7
	v_mov_b32_e32 v11, v9
	v_cmp_ne_u32_sdwa s4, v65, v70 src0_sel:BYTE_3 src1_sel:DWORD
	v_mov_b32_e32 v10, v8
	s_and_saveexec_b32 s17, s4
	s_cbranch_execz .LBB206_1549
; %bb.1544:                             ;   in Loop: Header=BB206_803 Depth=1
	v_mov_b32_e32 v11, v7
	v_bfe_u32 v66, v65, 24, 7
	s_mov_b32 s18, exec_lo
	v_mov_b32_e32 v10, v11
	v_mov_b32_e32 v11, v12
	v_cmpx_ne_u32_e32 0x7f, v66
	s_cbranch_execz .LBB206_1548
; %bb.1545:                             ;   in Loop: Header=BB206_803 Depth=1
	v_mov_b32_e32 v6, 7
	v_lshrrev_b32_e32 v8, 3, v66
	s_mov_b32 s19, exec_lo
	v_and_b32_sdwa v6, v65, v6 dst_sel:DWORD dst_unused:UNUSED_PAD src0_sel:BYTE_3 src1_sel:DWORD
	v_cmpx_gt_u32_e32 8, v66
; %bb.1546:                             ;   in Loop: Header=BB206_803 Depth=1
	v_ffbh_u32_e32 v8, v6
	v_min_u32_e32 v8, 32, v8
	v_subrev_nc_u32_e32 v10, 28, v8
	v_sub_nc_u32_e32 v8, 29, v8
	v_lshlrev_b64 v[10:11], v10, v[6:7]
	v_and_b32_e32 v6, 7, v10
; %bb.1547:                             ;   in Loop: Header=BB206_803 Depth=1
	s_or_b32 exec_lo, exec_lo, s19
	v_mov_b32_e32 v10, 24
	v_lshlrev_b32_e32 v6, 20, v6
	v_lshl_add_u32 v8, v8, 23, 0x3c000000
	v_lshlrev_b32_sdwa v10, v10, v65 dst_sel:DWORD dst_unused:UNUSED_PAD src0_sel:DWORD src1_sel:BYTE_3
	v_and_b32_e32 v10, 0x80000000, v10
	v_or3_b32 v11, v6, v10, v8
	v_mov_b32_e32 v10, v7
.LBB206_1548:                           ;   in Loop: Header=BB206_803 Depth=1
	s_or_b32 exec_lo, exec_lo, s18
.LBB206_1549:                           ;   in Loop: Header=BB206_803 Depth=1
	s_or_b32 exec_lo, exec_lo, s17
.LBB206_1550:                           ;   in Loop: Header=BB206_803 Depth=1
	s_or_b32 exec_lo, exec_lo, s15
	v_or_b32_e32 v6, v18, v16
	v_or_b32_e32 v8, v17, v15
	v_or_b32_e32 v10, v10, v21
	v_or_b32_e32 v11, v11, v22
	v_mul_f32_e32 v68, v87, v6
	v_mul_f32_e32 v67, v87, v8
	;; [unrolled: 1-line block ×4, first 2 shown]
	s_and_saveexec_b32 s15, vcc_lo
	s_cbranch_execz .LBB206_1552
; %bb.1551:                             ;   in Loop: Header=BB206_803 Depth=1
	v_cmp_lt_i32_e64 s4, v100, v47
	v_cndmask_b32_e64 v67, 0, v67, s4
	v_cmp_lt_i32_e64 s4, v103, v47
	v_cndmask_b32_e64 v68, 0, v68, s4
	;; [unrolled: 2-line block ×4, first 2 shown]
.LBB206_1552:                           ;   in Loop: Header=BB206_803 Depth=1
	s_or_b32 exec_lo, exec_lo, s15
	flat_load_dword v71, v[0:1] offset:768
	v_mov_b32_e32 v17, 0
	v_mov_b32_e32 v15, 0
	;; [unrolled: 1-line block ×4, first 2 shown]
	s_waitcnt vmcnt(0) lgkmcnt(0)
	v_cmp_ne_u16_sdwa s4, v71, v7 src0_sel:BYTE_0 src1_sel:DWORD
	s_and_saveexec_b32 s15, s4
	s_cbranch_execz .LBB206_1560
; %bb.1553:                             ;   in Loop: Header=BB206_803 Depth=1
	v_bfrev_b32_e32 v15, 1
	v_mov_b32_e32 v16, 0
	v_cmp_ne_u16_sdwa s4, v71, v70 src0_sel:BYTE_0 src1_sel:DWORD
	s_and_saveexec_b32 s17, s4
	s_cbranch_execz .LBB206_1559
; %bb.1554:                             ;   in Loop: Header=BB206_803 Depth=1
	v_mov_b32_e32 v15, 0x7f800001
	v_and_b32_e32 v10, 0x7f, v71
	v_mov_b32_e32 v16, 0
	s_mov_b32 s18, exec_lo
	v_cmpx_ne_u32_e32 0x7f, v10
	s_cbranch_execz .LBB206_1558
; %bb.1555:                             ;   in Loop: Header=BB206_803 Depth=1
	v_and_b32_e32 v6, 7, v71
	v_lshrrev_b32_e32 v8, 3, v10
	s_mov_b32 s19, exec_lo
	v_cmpx_gt_u32_e32 8, v10
; %bb.1556:                             ;   in Loop: Header=BB206_803 Depth=1
	v_ffbh_u32_e32 v8, v6
	v_min_u32_e32 v8, 32, v8
	v_subrev_nc_u32_e32 v10, 28, v8
	v_sub_nc_u32_e32 v8, 29, v8
	v_lshlrev_b64 v[10:11], v10, v[6:7]
	v_and_b32_e32 v6, 7, v10
; %bb.1557:                             ;   in Loop: Header=BB206_803 Depth=1
	s_or_b32 exec_lo, exec_lo, s19
	v_lshlrev_b32_e32 v10, 24, v71
	v_lshlrev_b32_e32 v6, 20, v6
	v_lshl_add_u32 v8, v8, 23, 0x3c000000
	v_and_b32_e32 v10, 0x80000000, v10
	v_or3_b32 v6, v6, v10, v8
	v_mov_b32_e32 v16, v7
	v_mov_b32_e32 v15, v6
.LBB206_1558:                           ;   in Loop: Header=BB206_803 Depth=1
	s_or_b32 exec_lo, exec_lo, s18
.LBB206_1559:                           ;   in Loop: Header=BB206_803 Depth=1
	s_or_b32 exec_lo, exec_lo, s17
.LBB206_1560:                           ;   in Loop: Header=BB206_803 Depth=1
	s_or_b32 exec_lo, exec_lo, s15
	v_cmp_ne_u16_sdwa s4, v71, v7 src0_sel:BYTE_1 src1_sel:DWORD
	s_and_saveexec_b32 s15, s4
	s_cbranch_execz .LBB206_1568
; %bb.1561:                             ;   in Loop: Header=BB206_803 Depth=1
	v_mov_b32_e32 v8, v7
	v_mov_b32_e32 v18, v9
	v_cmp_ne_u16_sdwa s4, v71, v70 src0_sel:BYTE_1 src1_sel:DWORD
	v_mov_b32_e32 v17, v8
	s_and_saveexec_b32 s17, s4
	s_cbranch_execz .LBB206_1567
; %bb.1562:                             ;   in Loop: Header=BB206_803 Depth=1
	v_and_b32_sdwa v6, v27, v71 dst_sel:DWORD dst_unused:UNUSED_PAD src0_sel:DWORD src1_sel:BYTE_1
	v_mov_b32_e32 v11, v7
	v_mov_b32_e32 v18, v12
	s_mov_b32 s18, exec_lo
	v_and_b32_e32 v10, 0x7f, v6
	v_mov_b32_e32 v17, v11
	v_cmpx_ne_u32_e32 0x7f, v10
	s_cbranch_execz .LBB206_1566
; %bb.1563:                             ;   in Loop: Header=BB206_803 Depth=1
	v_and_b32_e32 v6, 7, v6
	v_lshrrev_b32_e32 v8, 3, v10
	s_mov_b32 s19, exec_lo
	v_cmpx_gt_u32_e32 8, v10
; %bb.1564:                             ;   in Loop: Header=BB206_803 Depth=1
	v_ffbh_u32_e32 v8, v6
	v_min_u32_e32 v8, 32, v8
	v_subrev_nc_u32_e32 v10, 28, v8
	v_sub_nc_u32_e32 v8, 29, v8
	v_lshlrev_b64 v[10:11], v10, v[6:7]
	v_and_b32_e32 v6, 7, v10
; %bb.1565:                             ;   in Loop: Header=BB206_803 Depth=1
	s_or_b32 exec_lo, exec_lo, s19
	v_lshlrev_b32_e32 v10, 16, v71
	v_lshlrev_b32_e32 v6, 20, v6
	v_lshl_add_u32 v8, v8, 23, 0x3c000000
	v_mov_b32_e32 v17, v7
	v_and_b32_e32 v10, 0x80000000, v10
	v_or3_b32 v18, v6, v10, v8
.LBB206_1566:                           ;   in Loop: Header=BB206_803 Depth=1
	s_or_b32 exec_lo, exec_lo, s18
.LBB206_1567:                           ;   in Loop: Header=BB206_803 Depth=1
	s_or_b32 exec_lo, exec_lo, s17
.LBB206_1568:                           ;   in Loop: Header=BB206_803 Depth=1
	s_or_b32 exec_lo, exec_lo, s15
	v_mov_b32_e32 v10, 0
	v_mov_b32_e32 v21, 0
	v_and_b32_sdwa v6, v71, v80 dst_sel:DWORD dst_unused:UNUSED_PAD src0_sel:WORD_1 src1_sel:DWORD
	v_mov_b32_e32 v11, 0
	v_mov_b32_e32 v22, 0
	s_mov_b32 s15, exec_lo
	v_cmpx_ne_u16_e32 0, v6
	s_cbranch_execz .LBB206_1576
; %bb.1569:                             ;   in Loop: Header=BB206_803 Depth=1
	v_bfrev_b32_e32 v21, 1
	v_mov_b32_e32 v22, 0
	s_mov_b32 s17, exec_lo
	v_cmpx_ne_u16_e32 0x80, v6
	s_cbranch_execz .LBB206_1575
; %bb.1570:                             ;   in Loop: Header=BB206_803 Depth=1
	v_mov_b32_e32 v21, 0x7f800001
	v_bfe_u32 v27, v71, 16, 7
	v_mov_b32_e32 v22, 0
	s_mov_b32 s18, exec_lo
	v_cmpx_ne_u32_e32 0x7f, v27
	s_cbranch_execz .LBB206_1574
; %bb.1571:                             ;   in Loop: Header=BB206_803 Depth=1
	v_mov_b32_e32 v6, 7
	v_lshrrev_b32_e32 v8, 3, v27
	s_mov_b32 s19, exec_lo
	v_and_b32_sdwa v6, v71, v6 dst_sel:DWORD dst_unused:UNUSED_PAD src0_sel:WORD_1 src1_sel:DWORD
	v_cmpx_gt_u32_e32 8, v27
; %bb.1572:                             ;   in Loop: Header=BB206_803 Depth=1
	v_ffbh_u32_e32 v8, v6
	v_min_u32_e32 v8, 32, v8
	v_subrev_nc_u32_e32 v21, 28, v8
	v_sub_nc_u32_e32 v8, 29, v8
	v_lshlrev_b64 v[21:22], v21, v[6:7]
	v_and_b32_e32 v6, 7, v21
; %bb.1573:                             ;   in Loop: Header=BB206_803 Depth=1
	s_or_b32 exec_lo, exec_lo, s19
	v_mov_b32_e32 v21, 24
	v_lshlrev_b32_e32 v6, 20, v6
	v_lshl_add_u32 v8, v8, 23, 0x3c000000
	v_lshlrev_b32_sdwa v21, v21, v71 dst_sel:DWORD dst_unused:UNUSED_PAD src0_sel:DWORD src1_sel:WORD_1
	v_and_b32_e32 v21, 0x80000000, v21
	v_or3_b32 v6, v6, v21, v8
	v_mov_b32_e32 v22, v7
	v_mov_b32_e32 v21, v6
.LBB206_1574:                           ;   in Loop: Header=BB206_803 Depth=1
	s_or_b32 exec_lo, exec_lo, s18
	v_mov_b32_e32 v27, 0xffff
.LBB206_1575:                           ;   in Loop: Header=BB206_803 Depth=1
	s_or_b32 exec_lo, exec_lo, s17
.LBB206_1576:                           ;   in Loop: Header=BB206_803 Depth=1
	s_or_b32 exec_lo, exec_lo, s15
	s_mov_b32 s15, exec_lo
	v_cmpx_lt_u32_e32 0xffffff, v71
	s_cbranch_execz .LBB206_1584
; %bb.1577:                             ;   in Loop: Header=BB206_803 Depth=1
	v_mov_b32_e32 v8, v7
	v_mov_b32_e32 v11, v9
	v_cmp_ne_u32_sdwa s4, v71, v70 src0_sel:BYTE_3 src1_sel:DWORD
	v_mov_b32_e32 v10, v8
	s_and_saveexec_b32 s17, s4
	s_cbranch_execz .LBB206_1583
; %bb.1578:                             ;   in Loop: Header=BB206_803 Depth=1
	v_mov_b32_e32 v11, v7
	v_bfe_u32 v81, v71, 24, 7
	s_mov_b32 s18, exec_lo
	v_mov_b32_e32 v10, v11
	v_mov_b32_e32 v11, v12
	v_cmpx_ne_u32_e32 0x7f, v81
	s_cbranch_execz .LBB206_1582
; %bb.1579:                             ;   in Loop: Header=BB206_803 Depth=1
	v_mov_b32_e32 v6, 7
	v_lshrrev_b32_e32 v8, 3, v81
	s_mov_b32 s19, exec_lo
	v_and_b32_sdwa v6, v71, v6 dst_sel:DWORD dst_unused:UNUSED_PAD src0_sel:BYTE_3 src1_sel:DWORD
	v_cmpx_gt_u32_e32 8, v81
; %bb.1580:                             ;   in Loop: Header=BB206_803 Depth=1
	v_ffbh_u32_e32 v8, v6
	v_min_u32_e32 v8, 32, v8
	v_subrev_nc_u32_e32 v10, 28, v8
	v_sub_nc_u32_e32 v8, 29, v8
	v_lshlrev_b64 v[10:11], v10, v[6:7]
	v_and_b32_e32 v6, 7, v10
; %bb.1581:                             ;   in Loop: Header=BB206_803 Depth=1
	s_or_b32 exec_lo, exec_lo, s19
	v_mov_b32_e32 v10, 24
	v_lshlrev_b32_e32 v6, 20, v6
	v_lshl_add_u32 v8, v8, 23, 0x3c000000
	v_lshlrev_b32_sdwa v10, v10, v71 dst_sel:DWORD dst_unused:UNUSED_PAD src0_sel:DWORD src1_sel:BYTE_3
	v_and_b32_e32 v10, 0x80000000, v10
	v_or3_b32 v11, v6, v10, v8
	v_mov_b32_e32 v10, v7
.LBB206_1582:                           ;   in Loop: Header=BB206_803 Depth=1
	s_or_b32 exec_lo, exec_lo, s18
.LBB206_1583:                           ;   in Loop: Header=BB206_803 Depth=1
	s_or_b32 exec_lo, exec_lo, s17
.LBB206_1584:                           ;   in Loop: Header=BB206_803 Depth=1
	s_or_b32 exec_lo, exec_lo, s15
	v_or_b32_e32 v6, v18, v16
	v_or_b32_e32 v8, v17, v15
	;; [unrolled: 1-line block ×4, first 2 shown]
	v_mul_f32_e32 v81, v87, v6
	v_mul_f32_e32 v71, v87, v8
	;; [unrolled: 1-line block ×4, first 2 shown]
	s_and_saveexec_b32 s15, vcc_lo
	s_cbranch_execz .LBB206_1586
; %bb.1585:                             ;   in Loop: Header=BB206_803 Depth=1
	v_cmp_lt_i32_e64 s4, v100, v47
	v_cndmask_b32_e64 v71, 0, v71, s4
	v_cmp_lt_i32_e64 s4, v103, v47
	v_cndmask_b32_e64 v81, 0, v81, s4
	;; [unrolled: 2-line block ×4, first 2 shown]
.LBB206_1586:                           ;   in Loop: Header=BB206_803 Depth=1
	s_or_b32 exec_lo, exec_lo, s15
	flat_load_dword v82, v[0:1] offset:896
	v_mov_b32_e32 v15, 0
	v_mov_b32_e32 v0, 0
	;; [unrolled: 1-line block ×4, first 2 shown]
	s_waitcnt vmcnt(0) lgkmcnt(0)
	v_cmp_ne_u16_sdwa s4, v82, v7 src0_sel:BYTE_0 src1_sel:DWORD
	s_and_saveexec_b32 s15, s4
	s_cbranch_execz .LBB206_1594
; %bb.1587:                             ;   in Loop: Header=BB206_803 Depth=1
	v_bfrev_b32_e32 v0, 1
	v_mov_b32_e32 v1, 0
	v_cmp_ne_u16_sdwa s4, v82, v70 src0_sel:BYTE_0 src1_sel:DWORD
	s_and_saveexec_b32 s17, s4
	s_cbranch_execz .LBB206_1593
; %bb.1588:                             ;   in Loop: Header=BB206_803 Depth=1
	v_mov_b32_e32 v0, 0x7f800001
	v_and_b32_e32 v8, 0x7f, v82
	v_mov_b32_e32 v1, 0
	s_mov_b32 s18, exec_lo
	v_cmpx_ne_u32_e32 0x7f, v8
	s_cbranch_execz .LBB206_1592
; %bb.1589:                             ;   in Loop: Header=BB206_803 Depth=1
	v_and_b32_e32 v6, 7, v82
	v_lshrrev_b32_e32 v0, 3, v8
	s_mov_b32 s19, exec_lo
	v_cmpx_gt_u32_e32 8, v8
; %bb.1590:                             ;   in Loop: Header=BB206_803 Depth=1
	v_ffbh_u32_e32 v0, v6
	v_min_u32_e32 v0, 32, v0
	v_subrev_nc_u32_e32 v1, 28, v0
	v_sub_nc_u32_e32 v0, 29, v0
	v_lshlrev_b64 v[10:11], v1, v[6:7]
	v_and_b32_e32 v6, 7, v10
; %bb.1591:                             ;   in Loop: Header=BB206_803 Depth=1
	s_or_b32 exec_lo, exec_lo, s19
	v_lshlrev_b32_e32 v1, 24, v82
	v_lshlrev_b32_e32 v6, 20, v6
	v_lshl_add_u32 v0, v0, 23, 0x3c000000
	v_and_b32_e32 v1, 0x80000000, v1
	v_or3_b32 v6, v6, v1, v0
	v_mov_b32_e32 v0, v6
	v_mov_b32_e32 v1, v7
.LBB206_1592:                           ;   in Loop: Header=BB206_803 Depth=1
	s_or_b32 exec_lo, exec_lo, s18
.LBB206_1593:                           ;   in Loop: Header=BB206_803 Depth=1
	s_or_b32 exec_lo, exec_lo, s17
.LBB206_1594:                           ;   in Loop: Header=BB206_803 Depth=1
	s_or_b32 exec_lo, exec_lo, s15
	v_cmp_ne_u16_sdwa s4, v82, v7 src0_sel:BYTE_1 src1_sel:DWORD
	s_and_saveexec_b32 s15, s4
	s_cbranch_execz .LBB206_1602
; %bb.1595:                             ;   in Loop: Header=BB206_803 Depth=1
	v_mov_b32_e32 v8, v7
	v_mov_b32_e32 v16, v9
	v_cmp_ne_u16_sdwa s4, v82, v70 src0_sel:BYTE_1 src1_sel:DWORD
	v_mov_b32_e32 v15, v8
	s_and_saveexec_b32 s17, s4
	s_cbranch_execz .LBB206_1601
; %bb.1596:                             ;   in Loop: Header=BB206_803 Depth=1
	v_and_b32_sdwa v6, v27, v82 dst_sel:DWORD dst_unused:UNUSED_PAD src0_sel:DWORD src1_sel:BYTE_1
	v_mov_b32_e32 v11, v7
	v_mov_b32_e32 v16, v12
	s_mov_b32 s18, exec_lo
	v_and_b32_e32 v10, 0x7f, v6
	v_mov_b32_e32 v15, v11
	v_cmpx_ne_u32_e32 0x7f, v10
	s_cbranch_execz .LBB206_1600
; %bb.1597:                             ;   in Loop: Header=BB206_803 Depth=1
	v_and_b32_e32 v6, 7, v6
	v_lshrrev_b32_e32 v8, 3, v10
	s_mov_b32 s19, exec_lo
	v_cmpx_gt_u32_e32 8, v10
; %bb.1598:                             ;   in Loop: Header=BB206_803 Depth=1
	v_ffbh_u32_e32 v8, v6
	v_min_u32_e32 v8, 32, v8
	v_subrev_nc_u32_e32 v10, 28, v8
	v_sub_nc_u32_e32 v8, 29, v8
	v_lshlrev_b64 v[10:11], v10, v[6:7]
	v_and_b32_e32 v6, 7, v10
; %bb.1599:                             ;   in Loop: Header=BB206_803 Depth=1
	s_or_b32 exec_lo, exec_lo, s19
	v_lshlrev_b32_e32 v10, 16, v82
	v_lshlrev_b32_e32 v6, 20, v6
	v_lshl_add_u32 v8, v8, 23, 0x3c000000
	v_mov_b32_e32 v15, v7
	v_and_b32_e32 v10, 0x80000000, v10
	v_or3_b32 v16, v6, v10, v8
.LBB206_1600:                           ;   in Loop: Header=BB206_803 Depth=1
	s_or_b32 exec_lo, exec_lo, s18
.LBB206_1601:                           ;   in Loop: Header=BB206_803 Depth=1
	s_or_b32 exec_lo, exec_lo, s17
.LBB206_1602:                           ;   in Loop: Header=BB206_803 Depth=1
	s_or_b32 exec_lo, exec_lo, s15
	v_mov_b32_e32 v10, 0
	v_mov_b32_e32 v17, 0
	v_and_b32_sdwa v6, v82, v80 dst_sel:DWORD dst_unused:UNUSED_PAD src0_sel:WORD_1 src1_sel:DWORD
	v_mov_b32_e32 v11, 0
	v_mov_b32_e32 v18, 0
	s_mov_b32 s15, exec_lo
	v_cmpx_ne_u16_e32 0, v6
	s_cbranch_execz .LBB206_1610
; %bb.1603:                             ;   in Loop: Header=BB206_803 Depth=1
	v_bfrev_b32_e32 v17, 1
	v_mov_b32_e32 v18, 0
	s_mov_b32 s17, exec_lo
	v_cmpx_ne_u16_e32 0x80, v6
	s_cbranch_execz .LBB206_1609
; %bb.1604:                             ;   in Loop: Header=BB206_803 Depth=1
	v_mov_b32_e32 v17, 0x7f800001
	v_bfe_u32 v27, v82, 16, 7
	v_mov_b32_e32 v18, 0
	s_mov_b32 s18, exec_lo
	v_cmpx_ne_u32_e32 0x7f, v27
	s_cbranch_execz .LBB206_1608
; %bb.1605:                             ;   in Loop: Header=BB206_803 Depth=1
	v_mov_b32_e32 v6, 7
	v_lshrrev_b32_e32 v8, 3, v27
	s_mov_b32 s19, exec_lo
	v_and_b32_sdwa v6, v82, v6 dst_sel:DWORD dst_unused:UNUSED_PAD src0_sel:WORD_1 src1_sel:DWORD
	v_cmpx_gt_u32_e32 8, v27
; %bb.1606:                             ;   in Loop: Header=BB206_803 Depth=1
	v_ffbh_u32_e32 v8, v6
	v_min_u32_e32 v8, 32, v8
	v_subrev_nc_u32_e32 v17, 28, v8
	v_sub_nc_u32_e32 v8, 29, v8
	v_lshlrev_b64 v[17:18], v17, v[6:7]
	v_and_b32_e32 v6, 7, v17
; %bb.1607:                             ;   in Loop: Header=BB206_803 Depth=1
	s_or_b32 exec_lo, exec_lo, s19
	v_mov_b32_e32 v17, 24
	v_lshlrev_b32_e32 v6, 20, v6
	v_lshl_add_u32 v8, v8, 23, 0x3c000000
	v_lshlrev_b32_sdwa v17, v17, v82 dst_sel:DWORD dst_unused:UNUSED_PAD src0_sel:DWORD src1_sel:WORD_1
	v_and_b32_e32 v17, 0x80000000, v17
	v_or3_b32 v6, v6, v17, v8
	v_mov_b32_e32 v18, v7
	v_mov_b32_e32 v17, v6
.LBB206_1608:                           ;   in Loop: Header=BB206_803 Depth=1
	s_or_b32 exec_lo, exec_lo, s18
	v_mov_b32_e32 v27, 0xffff
.LBB206_1609:                           ;   in Loop: Header=BB206_803 Depth=1
	s_or_b32 exec_lo, exec_lo, s17
.LBB206_1610:                           ;   in Loop: Header=BB206_803 Depth=1
	s_or_b32 exec_lo, exec_lo, s15
	s_mov_b32 s15, exec_lo
	v_cmpx_lt_u32_e32 0xffffff, v82
	s_cbranch_execz .LBB206_1618
; %bb.1611:                             ;   in Loop: Header=BB206_803 Depth=1
	v_mov_b32_e32 v8, v7
	v_mov_b32_e32 v11, v9
	v_cmp_ne_u32_sdwa s4, v82, v70 src0_sel:BYTE_3 src1_sel:DWORD
	v_mov_b32_e32 v10, v8
	s_and_saveexec_b32 s17, s4
	s_cbranch_execz .LBB206_1617
; %bb.1612:                             ;   in Loop: Header=BB206_803 Depth=1
	v_mov_b32_e32 v11, v7
	v_bfe_u32 v27, v82, 24, 7
	s_mov_b32 s18, exec_lo
	v_mov_b32_e32 v10, v11
	v_mov_b32_e32 v11, v12
	v_cmpx_ne_u32_e32 0x7f, v27
	s_cbranch_execz .LBB206_1616
; %bb.1613:                             ;   in Loop: Header=BB206_803 Depth=1
	v_mov_b32_e32 v6, 7
	v_lshrrev_b32_e32 v8, 3, v27
	s_mov_b32 s19, exec_lo
	v_and_b32_sdwa v6, v82, v6 dst_sel:DWORD dst_unused:UNUSED_PAD src0_sel:BYTE_3 src1_sel:DWORD
	v_cmpx_gt_u32_e32 8, v27
; %bb.1614:                             ;   in Loop: Header=BB206_803 Depth=1
	v_ffbh_u32_e32 v8, v6
	v_min_u32_e32 v8, 32, v8
	v_subrev_nc_u32_e32 v10, 28, v8
	v_sub_nc_u32_e32 v8, 29, v8
	v_lshlrev_b64 v[10:11], v10, v[6:7]
	v_and_b32_e32 v6, 7, v10
; %bb.1615:                             ;   in Loop: Header=BB206_803 Depth=1
	s_or_b32 exec_lo, exec_lo, s19
	v_mov_b32_e32 v10, 24
	v_lshlrev_b32_e32 v6, 20, v6
	v_lshl_add_u32 v8, v8, 23, 0x3c000000
	v_lshlrev_b32_sdwa v10, v10, v82 dst_sel:DWORD dst_unused:UNUSED_PAD src0_sel:DWORD src1_sel:BYTE_3
	v_and_b32_e32 v10, 0x80000000, v10
	v_or3_b32 v11, v6, v10, v8
	v_mov_b32_e32 v10, v7
.LBB206_1616:                           ;   in Loop: Header=BB206_803 Depth=1
	s_or_b32 exec_lo, exec_lo, s18
	v_mov_b32_e32 v27, 0xffff
.LBB206_1617:                           ;   in Loop: Header=BB206_803 Depth=1
	s_or_b32 exec_lo, exec_lo, s17
.LBB206_1618:                           ;   in Loop: Header=BB206_803 Depth=1
	s_or_b32 exec_lo, exec_lo, s15
	v_or_b32_e32 v1, v16, v1
	v_or_b32_e32 v0, v15, v0
	;; [unrolled: 1-line block ×4, first 2 shown]
	v_mul_f32_e32 v8, v87, v1
	v_mul_f32_e32 v6, v87, v0
	;; [unrolled: 1-line block ×4, first 2 shown]
	s_and_saveexec_b32 s4, vcc_lo
	s_cbranch_execz .LBB206_801
; %bb.1619:                             ;   in Loop: Header=BB206_803 Depth=1
	v_cmp_lt_i32_e32 vcc_lo, v100, v47
	v_cndmask_b32_e32 v6, 0, v6, vcc_lo
	v_cmp_lt_i32_e32 vcc_lo, v103, v47
	v_cndmask_b32_e32 v8, 0, v8, vcc_lo
	;; [unrolled: 2-line block ×4, first 2 shown]
	s_branch .LBB206_801
.LBB206_1620:
	s_or_b32 exec_lo, exec_lo, s6
	s_clause 0x12
	buffer_load_dword v34, off, s[0:3], s32 offset:428
	buffer_load_dword v55, off, s[0:3], s32 offset:436
	;; [unrolled: 1-line block ×19, first 2 shown]
	v_mov_b32_e32 v19, v26
.LBB206_1621:
	s_or_b32 exec_lo, exec_lo, s5
	s_waitcnt vmcnt(3)
	ds_bpermute_b32 v6, v34, v12
	ds_bpermute_b32 v0, v34, v19
	s_waitcnt vmcnt(0)
	ds_bpermute_b32 v1, v34, v22
	ds_bpermute_b32 v2, v34, v14
	;; [unrolled: 1-line block ×4, first 2 shown]
	v_mov_b32_e32 v10, v5
	ds_bpermute_b32 v5, v34, v13
	ds_bpermute_b32 v7, v34, v28
	;; [unrolled: 1-line block ×3, first 2 shown]
	v_mov_b32_e32 v53, v16
	v_mov_b32_e32 v33, v17
	ds_bpermute_b32 v17, v34, v17
	v_mov_b32_e32 v32, v18
	ds_bpermute_b32 v18, v34, v18
	ds_bpermute_b32 v20, v34, v30
	;; [unrolled: 1-line block ×6, first 2 shown]
	s_waitcnt lgkmcnt(15)
	v_add_f32_e32 v6, v12, v6
	s_waitcnt lgkmcnt(14)
	v_add_f32_e32 v0, v19, v0
	;; [unrolled: 2-line block ×6, first 2 shown]
	ds_bpermute_b32 v16, v25, v6
	s_waitcnt lgkmcnt(10)
	v_add_f32_e32 v5, v13, v5
	ds_bpermute_b32 v19, v34, v31
	s_waitcnt lgkmcnt(10)
	v_add_f32_e32 v7, v28, v7
	ds_bpermute_b32 v11, v25, v1
	ds_bpermute_b32 v12, v25, v2
	ds_bpermute_b32 v13, v25, v3
	ds_bpermute_b32 v14, v25, v4
	ds_bpermute_b32 v15, v25, v5
	ds_bpermute_b32 v28, v25, v7
	s_waitcnt lgkmcnt(14)
	v_add_f32_e32 v17, v33, v17
	s_waitcnt lgkmcnt(13)
	v_add_f32_e32 v18, v32, v18
	;; [unrolled: 2-line block ×3, first 2 shown]
	ds_bpermute_b32 v22, v34, v51
	s_waitcnt lgkmcnt(12)
	v_add_f32_e32 v8, v27, v8
	ds_bpermute_b32 v27, v34, v48
	v_add_f32_e32 v9, v53, v9
	ds_bpermute_b32 v33, v25, v20
	ds_bpermute_b32 v10, v25, v0
	;; [unrolled: 1-line block ×3, first 2 shown]
	s_waitcnt lgkmcnt(12)
	v_add_f32_e32 v6, v6, v16
	ds_bpermute_b32 v30, v25, v9
	s_waitcnt lgkmcnt(12)
	v_add_f32_e32 v19, v31, v19
	ds_bpermute_b32 v31, v25, v17
	s_waitcnt lgkmcnt(12)
	v_add_f32_e32 v1, v1, v11
	s_waitcnt lgkmcnt(11)
	v_add_f32_e32 v2, v2, v12
	s_waitcnt lgkmcnt(10)
	v_add_f32_e32 v3, v3, v13
	s_waitcnt lgkmcnt(9)
	v_add_f32_e32 v4, v4, v14
	s_waitcnt lgkmcnt(8)
	v_add_f32_e32 v5, v5, v15
	ds_bpermute_b32 v16, v24, v6
	s_waitcnt lgkmcnt(8)
	v_add_f32_e32 v7, v7, v28
	ds_bpermute_b32 v28, v25, v18
	ds_bpermute_b32 v32, v25, v19
	;; [unrolled: 1-line block ×7, first 2 shown]
	s_waitcnt lgkmcnt(11)
	v_add_f32_e32 v0, v0, v10
	s_waitcnt lgkmcnt(10)
	v_add_f32_e32 v8, v8, v29
	s_waitcnt lgkmcnt(0)
	s_waitcnt_vscnt null, 0x0
	v_add_f32_e32 v9, v9, v30
	s_barrier
	ds_bpermute_b32 v10, v24, v0
	s_waitcnt lgkmcnt(0)
	buffer_gl0_inv
	ds_bpermute_b32 v29, v24, v7
	s_load_dword s4, s[8:9], 0x0
	s_mov_b32 s5, exec_lo
	v_add_f32_e32 v6, v6, v16
	v_add_f32_e32 v16, v17, v31
	;; [unrolled: 1-line block ×12, first 2 shown]
	ds_bpermute_b32 v11, v34, v39
	ds_bpermute_b32 v12, v34, v38
	ds_bpermute_b32 v13, v34, v37
	ds_bpermute_b32 v14, v34, v36
	ds_bpermute_b32 v15, v34, v35
	v_add_f32_e32 v22, v50, v23
	v_add_f32_e32 v23, v49, v26
	;; [unrolled: 1-line block ×3, first 2 shown]
	ds_bpermute_b32 v28, v25, v21
	ds_bpermute_b32 v27, v25, v20
	;; [unrolled: 1-line block ×5, first 2 shown]
	v_add_f32_e32 v0, v0, v10
	ds_bpermute_b32 v10, v24, v8
	ds_bpermute_b32 v48, v24, v18
	;; [unrolled: 1-line block ×3, first 2 shown]
	s_waitcnt lgkmcnt(0)
	v_add_f32_e32 v7, v7, v29
	v_add_f32_e32 v11, v39, v11
	;; [unrolled: 1-line block ×6, first 2 shown]
	ds_bpermute_b32 v33, v25, v11
	ds_bpermute_b32 v34, v25, v12
	;; [unrolled: 1-line block ×3, first 2 shown]
	v_add_f32_e32 v21, v21, v28
	ds_bpermute_b32 v36, v25, v14
	ds_bpermute_b32 v25, v25, v15
	v_add_f32_e32 v22, v22, v30
	v_add_f32_e32 v26, v26, v32
	ds_bpermute_b32 v28, v24, v21
	ds_bpermute_b32 v38, v24, v16
	v_add_f32_e32 v8, v8, v10
	ds_bpermute_b32 v30, v24, v22
	ds_bpermute_b32 v32, v24, v26
	v_add_f32_e32 v20, v20, v27
	v_add_f32_e32 v23, v23, v31
	ds_bpermute_b32 v37, v24, v9
	ds_bpermute_b32 v39, v24, v17
	ds_bpermute_b32 v27, v24, v20
	ds_bpermute_b32 v31, v24, v23
	s_waitcnt lgkmcnt(12)
	v_add_f32_e32 v33, v11, v33
	s_waitcnt lgkmcnt(11)
	v_add_f32_e32 v34, v12, v34
	v_add_f32_e32 v12, v18, v48
	s_waitcnt lgkmcnt(10)
	v_add_f32_e32 v35, v13, v35
	s_waitcnt lgkmcnt(9)
	;; [unrolled: 2-line block ×3, first 2 shown]
	v_add_f32_e32 v25, v15, v25
	ds_bpermute_b32 v50, v24, v33
	ds_bpermute_b32 v51, v24, v34
	s_waitcnt lgkmcnt(9)
	v_add_f32_e32 v15, v21, v28
	buffer_load_dword v21, off, s[0:3], s32 offset:568 ; 4-byte Folded Reload
	s_waitcnt lgkmcnt(8)
	v_add_f32_e32 v10, v16, v38
	s_waitcnt lgkmcnt(7)
	v_add_f32_e32 v16, v22, v30
	;; [unrolled: 2-line block ×3, first 2 shown]
	s_clause 0x1
	buffer_load_dword v22, off, s[0:3], s32 offset:572
	buffer_load_dword v26, off, s[0:3], s32 offset:996
	ds_bpermute_b32 v52, v24, v35
	ds_bpermute_b32 v53, v24, v36
	;; [unrolled: 1-line block ×3, first 2 shown]
	s_waitcnt lgkmcnt(8)
	v_add_f32_e32 v9, v9, v37
	s_waitcnt lgkmcnt(7)
	v_add_f32_e32 v11, v17, v39
	v_add_f32_e32 v13, v19, v49
	s_waitcnt lgkmcnt(6)
	v_add_f32_e32 v14, v20, v27
	s_waitcnt lgkmcnt(5)
	;; [unrolled: 2-line block ×5, first 2 shown]
	v_add_f32_e32 v23, v25, v54
	s_waitcnt vmcnt(2)
	v_lshrrev_b32_e32 v24, 3, v21
	v_add_f32_e32 v21, v35, v52
	s_waitcnt vmcnt(1)
	v_and_b32_e32 v27, 0x3c7, v22
	v_add_f32_e32 v22, v36, v53
	v_lshl_add_u32 v25, v24, 2, s4
	s_waitcnt vmcnt(0)
	v_mul_u32_u24_e32 v26, 0x180, v26
	v_cmpx_eq_u32_e32 64, v27
	s_cbranch_execz .LBB206_1623
; %bb.1622:
	v_add_nc_u32_e32 v27, v25, v26
	v_add_nc_u32_e32 v28, 0xfffffd00, v27
	;; [unrolled: 1-line block ×7, first 2 shown]
	ds_write_b32 v28, v0
	ds_write_b32 v29, v1
	;; [unrolled: 1-line block ×4, first 2 shown]
	v_add_nc_u32_e32 v28, 0xfffffd60, v27
	v_add_nc_u32_e32 v29, 0xfffffd70, v27
	v_add_nc_u32_e32 v30, 0xfffffd80, v27
	ds_write_b32 v32, v4
	ds_write_b32 v33, v5
	ds_write_b32 v28, v6
	ds_write_b32 v29, v7
	ds_write_b32 v30, v8
	v_add_nc_u32_e32 v28, 0xfffffd90, v27
	v_add_nc_u32_e32 v29, 0xfffffda0, v27
	v_add_nc_u32_e32 v30, 0xfffffdb0, v27
	v_add_nc_u32_e32 v31, 0xfffffdc0, v27
	v_add_nc_u32_e32 v32, 0xfffffdd0, v27
	ds_write_b32 v28, v9
	ds_write_b32 v29, v10
	ds_write_b32 v30, v11
	ds_write_b32 v31, v12
	ds_write_b32 v32, v13
	v_add_nc_u32_e32 v28, 0xfffffde0, v27
	v_add_nc_u32_e32 v29, 0xfffffdf0, v27
	v_add_nc_u32_e32 v30, 0xfffffe00, v27
	v_add_nc_u32_e32 v31, 0xfffffe10, v27
	v_add_nc_u32_e32 v32, 0xfffffe20, v27
	ds_write_b32 v28, v14
	ds_write_b32 v29, v15
	ds_write_b32 v30, v16
	ds_write_b32 v31, v17
	ds_write_b32 v32, v18
	v_add_nc_u32_e32 v28, 0xfffffe30, v27
	v_add_nc_u32_e32 v29, 0xfffffe40, v27
	v_add_nc_u32_e32 v30, 0xfffffe50, v27
	v_add_nc_u32_e32 v31, 0xfffffe60, v27
	;; [unrolled: 1-line block ×3, first 2 shown]
	ds_write_b32 v28, v19
	ds_write_b32 v29, v20
	;; [unrolled: 1-line block ×5, first 2 shown]
.LBB206_1623:
	s_or_b32 exec_lo, exec_lo, s5
	v_lshlrev_b32_e32 v24, 2, v24
	s_mov_b32 s5, exec_lo
	v_cmp_eq_u32_e32 vcc_lo, 0, v55
	v_add3_u32 v24, s4, v26, v24
	buffer_load_dword v26, off, s[0:3], s32 offset:572 ; 4-byte Folded Reload
	s_waitcnt vmcnt(0) lgkmcnt(0)
	s_barrier
	buffer_gl0_inv
	v_cmpx_gt_u32_e32 64, v26
	s_cbranch_execz .LBB206_1650
; %bb.1624:
	s_and_saveexec_b32 s4, vcc_lo
	s_cbranch_execnz .LBB206_1682
; %bb.1625:
	s_or_b32 exec_lo, exec_lo, s4
	s_and_saveexec_b32 s4, vcc_lo
	s_cbranch_execnz .LBB206_1683
.LBB206_1626:
	s_or_b32 exec_lo, exec_lo, s4
	s_and_saveexec_b32 s4, vcc_lo
	s_cbranch_execnz .LBB206_1684
.LBB206_1627:
	s_or_b32 exec_lo, exec_lo, s4
	s_and_saveexec_b32 s4, vcc_lo
	s_cbranch_execnz .LBB206_1685
.LBB206_1628:
	s_or_b32 exec_lo, exec_lo, s4
	s_and_saveexec_b32 s4, vcc_lo
	s_cbranch_execnz .LBB206_1686
.LBB206_1629:
	s_or_b32 exec_lo, exec_lo, s4
	s_and_saveexec_b32 s4, vcc_lo
	s_cbranch_execnz .LBB206_1687
.LBB206_1630:
	s_or_b32 exec_lo, exec_lo, s4
	s_and_saveexec_b32 s4, vcc_lo
	s_cbranch_execnz .LBB206_1688
.LBB206_1631:
	s_or_b32 exec_lo, exec_lo, s4
	s_and_saveexec_b32 s4, vcc_lo
	s_cbranch_execnz .LBB206_1689
.LBB206_1632:
	s_or_b32 exec_lo, exec_lo, s4
	s_and_saveexec_b32 s4, vcc_lo
	s_cbranch_execnz .LBB206_1690
.LBB206_1633:
	s_or_b32 exec_lo, exec_lo, s4
	s_and_saveexec_b32 s4, vcc_lo
	s_cbranch_execnz .LBB206_1691
.LBB206_1634:
	s_or_b32 exec_lo, exec_lo, s4
	s_and_saveexec_b32 s4, vcc_lo
	s_cbranch_execnz .LBB206_1692
.LBB206_1635:
	s_or_b32 exec_lo, exec_lo, s4
	s_and_saveexec_b32 s4, vcc_lo
	s_cbranch_execnz .LBB206_1693
.LBB206_1636:
	s_or_b32 exec_lo, exec_lo, s4
	s_and_saveexec_b32 s4, vcc_lo
	s_cbranch_execnz .LBB206_1694
.LBB206_1637:
	s_or_b32 exec_lo, exec_lo, s4
	s_and_saveexec_b32 s4, vcc_lo
	s_cbranch_execnz .LBB206_1695
.LBB206_1638:
	s_or_b32 exec_lo, exec_lo, s4
	s_and_saveexec_b32 s4, vcc_lo
	s_cbranch_execnz .LBB206_1696
.LBB206_1639:
	s_or_b32 exec_lo, exec_lo, s4
	s_and_saveexec_b32 s4, vcc_lo
	s_cbranch_execnz .LBB206_1697
.LBB206_1640:
	s_or_b32 exec_lo, exec_lo, s4
	s_and_saveexec_b32 s4, vcc_lo
	s_cbranch_execnz .LBB206_1698
.LBB206_1641:
	s_or_b32 exec_lo, exec_lo, s4
	s_and_saveexec_b32 s4, vcc_lo
	s_cbranch_execnz .LBB206_1699
.LBB206_1642:
	s_or_b32 exec_lo, exec_lo, s4
	s_and_saveexec_b32 s4, vcc_lo
	s_cbranch_execnz .LBB206_1700
.LBB206_1643:
	s_or_b32 exec_lo, exec_lo, s4
	s_and_saveexec_b32 s4, vcc_lo
	s_cbranch_execnz .LBB206_1701
.LBB206_1644:
	s_or_b32 exec_lo, exec_lo, s4
	s_and_saveexec_b32 s4, vcc_lo
	s_cbranch_execnz .LBB206_1702
.LBB206_1645:
	s_or_b32 exec_lo, exec_lo, s4
	s_and_saveexec_b32 s4, vcc_lo
	s_cbranch_execnz .LBB206_1703
.LBB206_1646:
	s_or_b32 exec_lo, exec_lo, s4
	s_and_saveexec_b32 s4, vcc_lo
	s_cbranch_execnz .LBB206_1704
.LBB206_1647:
	s_or_b32 exec_lo, exec_lo, s4
	s_and_saveexec_b32 s4, vcc_lo
	s_cbranch_execz .LBB206_1649
.LBB206_1648:
	ds_read_b32 v26, v24 offset:368
	s_waitcnt lgkmcnt(0)
	v_add_f32_e32 v23, v26, v23
.LBB206_1649:
	s_or_b32 exec_lo, exec_lo, s4
.LBB206_1650:
	s_or_b32 exec_lo, exec_lo, s5
	buffer_load_dword v26, off, s[0:3], s32 offset:572 ; 4-byte Folded Reload
	s_mov_b32 s5, exec_lo
	s_waitcnt vmcnt(0)
	s_barrier
	buffer_gl0_inv
	v_and_b32_e32 v26, 0x3e7, v26
	v_cmpx_eq_u32_e32 32, v26
	s_cbranch_execz .LBB206_1652
; %bb.1651:
	ds_write2_b32 v25, v0, v1 offset1:4
	ds_write2_b32 v25, v2, v3 offset0:8 offset1:12
	ds_write2_b32 v25, v4, v5 offset0:16 offset1:20
	ds_write2_b32 v25, v6, v7 offset0:24 offset1:28
	ds_write2_b32 v25, v8, v9 offset0:32 offset1:36
	ds_write2_b32 v25, v10, v11 offset0:40 offset1:44
	ds_write2_b32 v25, v12, v13 offset0:48 offset1:52
	ds_write2_b32 v25, v14, v15 offset0:56 offset1:60
	ds_write2_b32 v25, v16, v17 offset0:64 offset1:68
	ds_write2_b32 v25, v18, v19 offset0:72 offset1:76
	ds_write2_b32 v25, v20, v21 offset0:80 offset1:84
	ds_write2_b32 v25, v22, v23 offset0:88 offset1:92
.LBB206_1652:
	s_or_b32 exec_lo, exec_lo, s5
	buffer_load_dword v25, off, s[0:3], s32 offset:572 ; 4-byte Folded Reload
	s_mov_b32 s5, exec_lo
	s_waitcnt vmcnt(0) lgkmcnt(0)
	s_barrier
	buffer_gl0_inv
	v_cmpx_gt_u32_e32 32, v25
	s_cbranch_execz .LBB206_1679
; %bb.1653:
	s_and_saveexec_b32 s4, vcc_lo
	s_cbranch_execnz .LBB206_1705
; %bb.1654:
	s_or_b32 exec_lo, exec_lo, s4
	s_and_saveexec_b32 s4, vcc_lo
	s_cbranch_execnz .LBB206_1706
.LBB206_1655:
	s_or_b32 exec_lo, exec_lo, s4
	s_and_saveexec_b32 s4, vcc_lo
	s_cbranch_execnz .LBB206_1707
.LBB206_1656:
	s_or_b32 exec_lo, exec_lo, s4
	s_and_saveexec_b32 s4, vcc_lo
	s_cbranch_execnz .LBB206_1708
.LBB206_1657:
	s_or_b32 exec_lo, exec_lo, s4
	s_and_saveexec_b32 s4, vcc_lo
	s_cbranch_execnz .LBB206_1709
.LBB206_1658:
	s_or_b32 exec_lo, exec_lo, s4
	s_and_saveexec_b32 s4, vcc_lo
	s_cbranch_execnz .LBB206_1710
.LBB206_1659:
	s_or_b32 exec_lo, exec_lo, s4
	s_and_saveexec_b32 s4, vcc_lo
	s_cbranch_execnz .LBB206_1711
.LBB206_1660:
	s_or_b32 exec_lo, exec_lo, s4
	s_and_saveexec_b32 s4, vcc_lo
	s_cbranch_execnz .LBB206_1712
.LBB206_1661:
	s_or_b32 exec_lo, exec_lo, s4
	s_and_saveexec_b32 s4, vcc_lo
	s_cbranch_execnz .LBB206_1713
.LBB206_1662:
	s_or_b32 exec_lo, exec_lo, s4
	s_and_saveexec_b32 s4, vcc_lo
	s_cbranch_execnz .LBB206_1714
.LBB206_1663:
	s_or_b32 exec_lo, exec_lo, s4
	s_and_saveexec_b32 s4, vcc_lo
	s_cbranch_execnz .LBB206_1715
.LBB206_1664:
	s_or_b32 exec_lo, exec_lo, s4
	s_and_saveexec_b32 s4, vcc_lo
	s_cbranch_execnz .LBB206_1716
.LBB206_1665:
	s_or_b32 exec_lo, exec_lo, s4
	s_and_saveexec_b32 s4, vcc_lo
	s_cbranch_execnz .LBB206_1717
.LBB206_1666:
	s_or_b32 exec_lo, exec_lo, s4
	s_and_saveexec_b32 s4, vcc_lo
	s_cbranch_execnz .LBB206_1718
.LBB206_1667:
	s_or_b32 exec_lo, exec_lo, s4
	s_and_saveexec_b32 s4, vcc_lo
	s_cbranch_execnz .LBB206_1719
.LBB206_1668:
	s_or_b32 exec_lo, exec_lo, s4
	s_and_saveexec_b32 s4, vcc_lo
	s_cbranch_execnz .LBB206_1720
.LBB206_1669:
	s_or_b32 exec_lo, exec_lo, s4
	s_and_saveexec_b32 s4, vcc_lo
	s_cbranch_execnz .LBB206_1721
.LBB206_1670:
	s_or_b32 exec_lo, exec_lo, s4
	s_and_saveexec_b32 s4, vcc_lo
	s_cbranch_execnz .LBB206_1722
.LBB206_1671:
	s_or_b32 exec_lo, exec_lo, s4
	s_and_saveexec_b32 s4, vcc_lo
	s_cbranch_execnz .LBB206_1723
.LBB206_1672:
	s_or_b32 exec_lo, exec_lo, s4
	s_and_saveexec_b32 s4, vcc_lo
	s_cbranch_execnz .LBB206_1724
.LBB206_1673:
	s_or_b32 exec_lo, exec_lo, s4
	s_and_saveexec_b32 s4, vcc_lo
	s_cbranch_execnz .LBB206_1725
.LBB206_1674:
	s_or_b32 exec_lo, exec_lo, s4
	s_and_saveexec_b32 s4, vcc_lo
	s_cbranch_execnz .LBB206_1726
.LBB206_1675:
	s_or_b32 exec_lo, exec_lo, s4
	s_and_saveexec_b32 s4, vcc_lo
	s_cbranch_execnz .LBB206_1727
.LBB206_1676:
	s_or_b32 exec_lo, exec_lo, s4
	s_and_saveexec_b32 s4, vcc_lo
	s_cbranch_execz .LBB206_1678
.LBB206_1677:
	ds_read_b32 v24, v24 offset:368
	s_waitcnt lgkmcnt(0)
	v_add_f32_e32 v23, v24, v23
.LBB206_1678:
	s_or_b32 exec_lo, exec_lo, s4
.LBB206_1679:
	s_or_b32 exec_lo, exec_lo, s5
	s_mov_b32 s4, exec_lo
	s_barrier
	buffer_gl0_inv
	v_cmpx_eq_u32_e32 0, v26
	s_cbranch_execz .LBB206_1681
; %bb.1680:
	s_clause 0x2
	buffer_load_dword v25, off, s[0:3], s32 offset:1004
	buffer_load_dword v24, off, s[0:3], s32 offset:572
	;; [unrolled: 1-line block ×3, first 2 shown]
	s_and_b32 s5, 0xffff, s13
	s_mul_i32 s6, s14, 0x60
	s_cmp_lg_u32 s5, 0
	s_cselect_b32 s5, -1, 0
	s_cmp_lg_u32 s5, 0
	s_addc_u32 s5, s12, 0
	s_mul_i32 s7, s5, s10
	s_mul_i32 s10, s16, s5
	;; [unrolled: 1-line block ×3, first 2 shown]
	s_ashr_i32 s11, s10, 31
	s_mulk_i32 s8, 0x60
	s_ashr_i32 s7, s6, 31
	s_ashr_i32 s9, s8, 31
	s_lshl_b64 s[6:7], s[6:7], 2
	s_lshl_b64 s[8:9], s[8:9], 2
	s_waitcnt vmcnt(2)
	v_add_co_u32 v25, vcc_lo, v25, s8
	s_waitcnt vmcnt(0)
	v_add_co_ci_u32_e64 v26, null, s9, v26, vcc_lo
	s_lshl_b64 s[8:9], s[10:11], 2
	v_lshrrev_b32_e32 v24, 1, v24
	v_add_co_u32 v25, vcc_lo, v25, s8
	v_add_co_ci_u32_e64 v26, null, s9, v26, vcc_lo
	v_add_co_u32 v25, vcc_lo, v25, s6
	v_add_co_ci_u32_e64 v26, null, s7, v26, vcc_lo
	;; [unrolled: 2-line block ×3, first 2 shown]
	flat_store_dword v[24:25], v0
	flat_store_dword v[24:25], v1 offset:16
	flat_store_dword v[24:25], v2 offset:32
	;; [unrolled: 1-line block ×23, first 2 shown]
.LBB206_1681:
	s_or_b32 exec_lo, exec_lo, s4
	s_clause 0x2f
	buffer_load_dword v127, off, s[0:3], s32
	buffer_load_dword v126, off, s[0:3], s32 offset:4
	buffer_load_dword v125, off, s[0:3], s32 offset:8
	;; [unrolled: 1-line block ×47, first 2 shown]
	s_waitcnt vmcnt(0) lgkmcnt(0)
	s_setpc_b64 s[30:31]
.LBB206_1682:
	ds_read_b32 v26, v24
	s_waitcnt lgkmcnt(0)
	v_add_f32_e32 v0, v26, v0
	s_or_b32 exec_lo, exec_lo, s4
	s_and_saveexec_b32 s4, vcc_lo
	s_cbranch_execz .LBB206_1626
.LBB206_1683:
	ds_read_b32 v26, v24 offset:16
	s_waitcnt lgkmcnt(0)
	v_add_f32_e32 v1, v26, v1
	s_or_b32 exec_lo, exec_lo, s4
	s_and_saveexec_b32 s4, vcc_lo
	s_cbranch_execz .LBB206_1627
.LBB206_1684:
	ds_read_b32 v26, v24 offset:32
	s_waitcnt lgkmcnt(0)
	v_add_f32_e32 v2, v26, v2
	s_or_b32 exec_lo, exec_lo, s4
	s_and_saveexec_b32 s4, vcc_lo
	s_cbranch_execz .LBB206_1628
.LBB206_1685:
	ds_read_b32 v26, v24 offset:48
	s_waitcnt lgkmcnt(0)
	v_add_f32_e32 v3, v26, v3
	s_or_b32 exec_lo, exec_lo, s4
	s_and_saveexec_b32 s4, vcc_lo
	s_cbranch_execz .LBB206_1629
.LBB206_1686:
	ds_read_b32 v26, v24 offset:64
	s_waitcnt lgkmcnt(0)
	v_add_f32_e32 v4, v26, v4
	s_or_b32 exec_lo, exec_lo, s4
	s_and_saveexec_b32 s4, vcc_lo
	s_cbranch_execz .LBB206_1630
.LBB206_1687:
	ds_read_b32 v26, v24 offset:80
	s_waitcnt lgkmcnt(0)
	v_add_f32_e32 v5, v26, v5
	s_or_b32 exec_lo, exec_lo, s4
	s_and_saveexec_b32 s4, vcc_lo
	s_cbranch_execz .LBB206_1631
.LBB206_1688:
	ds_read_b32 v26, v24 offset:96
	s_waitcnt lgkmcnt(0)
	v_add_f32_e32 v6, v26, v6
	s_or_b32 exec_lo, exec_lo, s4
	s_and_saveexec_b32 s4, vcc_lo
	s_cbranch_execz .LBB206_1632
.LBB206_1689:
	ds_read_b32 v26, v24 offset:112
	s_waitcnt lgkmcnt(0)
	v_add_f32_e32 v7, v26, v7
	s_or_b32 exec_lo, exec_lo, s4
	s_and_saveexec_b32 s4, vcc_lo
	s_cbranch_execz .LBB206_1633
.LBB206_1690:
	ds_read_b32 v26, v24 offset:128
	s_waitcnt lgkmcnt(0)
	v_add_f32_e32 v8, v26, v8
	s_or_b32 exec_lo, exec_lo, s4
	s_and_saveexec_b32 s4, vcc_lo
	s_cbranch_execz .LBB206_1634
.LBB206_1691:
	ds_read_b32 v26, v24 offset:144
	s_waitcnt lgkmcnt(0)
	v_add_f32_e32 v9, v26, v9
	s_or_b32 exec_lo, exec_lo, s4
	s_and_saveexec_b32 s4, vcc_lo
	s_cbranch_execz .LBB206_1635
.LBB206_1692:
	ds_read_b32 v26, v24 offset:160
	s_waitcnt lgkmcnt(0)
	v_add_f32_e32 v10, v26, v10
	s_or_b32 exec_lo, exec_lo, s4
	s_and_saveexec_b32 s4, vcc_lo
	s_cbranch_execz .LBB206_1636
.LBB206_1693:
	ds_read_b32 v26, v24 offset:176
	s_waitcnt lgkmcnt(0)
	v_add_f32_e32 v11, v26, v11
	s_or_b32 exec_lo, exec_lo, s4
	s_and_saveexec_b32 s4, vcc_lo
	s_cbranch_execz .LBB206_1637
.LBB206_1694:
	ds_read_b32 v26, v24 offset:192
	s_waitcnt lgkmcnt(0)
	v_add_f32_e32 v12, v26, v12
	s_or_b32 exec_lo, exec_lo, s4
	s_and_saveexec_b32 s4, vcc_lo
	s_cbranch_execz .LBB206_1638
.LBB206_1695:
	ds_read_b32 v26, v24 offset:208
	s_waitcnt lgkmcnt(0)
	v_add_f32_e32 v13, v26, v13
	s_or_b32 exec_lo, exec_lo, s4
	s_and_saveexec_b32 s4, vcc_lo
	s_cbranch_execz .LBB206_1639
.LBB206_1696:
	ds_read_b32 v26, v24 offset:224
	s_waitcnt lgkmcnt(0)
	v_add_f32_e32 v14, v26, v14
	s_or_b32 exec_lo, exec_lo, s4
	s_and_saveexec_b32 s4, vcc_lo
	s_cbranch_execz .LBB206_1640
.LBB206_1697:
	ds_read_b32 v26, v24 offset:240
	s_waitcnt lgkmcnt(0)
	v_add_f32_e32 v15, v26, v15
	s_or_b32 exec_lo, exec_lo, s4
	s_and_saveexec_b32 s4, vcc_lo
	s_cbranch_execz .LBB206_1641
.LBB206_1698:
	ds_read_b32 v26, v24 offset:256
	s_waitcnt lgkmcnt(0)
	v_add_f32_e32 v16, v26, v16
	s_or_b32 exec_lo, exec_lo, s4
	s_and_saveexec_b32 s4, vcc_lo
	s_cbranch_execz .LBB206_1642
.LBB206_1699:
	ds_read_b32 v26, v24 offset:272
	s_waitcnt lgkmcnt(0)
	v_add_f32_e32 v17, v26, v17
	s_or_b32 exec_lo, exec_lo, s4
	s_and_saveexec_b32 s4, vcc_lo
	s_cbranch_execz .LBB206_1643
.LBB206_1700:
	ds_read_b32 v26, v24 offset:288
	s_waitcnt lgkmcnt(0)
	v_add_f32_e32 v18, v26, v18
	s_or_b32 exec_lo, exec_lo, s4
	s_and_saveexec_b32 s4, vcc_lo
	s_cbranch_execz .LBB206_1644
.LBB206_1701:
	ds_read_b32 v26, v24 offset:304
	s_waitcnt lgkmcnt(0)
	v_add_f32_e32 v19, v26, v19
	s_or_b32 exec_lo, exec_lo, s4
	s_and_saveexec_b32 s4, vcc_lo
	s_cbranch_execz .LBB206_1645
.LBB206_1702:
	ds_read_b32 v26, v24 offset:320
	s_waitcnt lgkmcnt(0)
	v_add_f32_e32 v20, v26, v20
	s_or_b32 exec_lo, exec_lo, s4
	s_and_saveexec_b32 s4, vcc_lo
	s_cbranch_execz .LBB206_1646
.LBB206_1703:
	ds_read_b32 v26, v24 offset:336
	s_waitcnt lgkmcnt(0)
	v_add_f32_e32 v21, v26, v21
	s_or_b32 exec_lo, exec_lo, s4
	s_and_saveexec_b32 s4, vcc_lo
	s_cbranch_execz .LBB206_1647
.LBB206_1704:
	ds_read_b32 v26, v24 offset:352
	s_waitcnt lgkmcnt(0)
	v_add_f32_e32 v22, v26, v22
	s_or_b32 exec_lo, exec_lo, s4
	s_and_saveexec_b32 s4, vcc_lo
	s_cbranch_execnz .LBB206_1648
	s_branch .LBB206_1649
.LBB206_1705:
	ds_read_b32 v25, v24
	s_waitcnt lgkmcnt(0)
	v_add_f32_e32 v0, v25, v0
	s_or_b32 exec_lo, exec_lo, s4
	s_and_saveexec_b32 s4, vcc_lo
	s_cbranch_execz .LBB206_1655
.LBB206_1706:
	ds_read_b32 v25, v24 offset:16
	s_waitcnt lgkmcnt(0)
	v_add_f32_e32 v1, v25, v1
	s_or_b32 exec_lo, exec_lo, s4
	s_and_saveexec_b32 s4, vcc_lo
	s_cbranch_execz .LBB206_1656
.LBB206_1707:
	ds_read_b32 v25, v24 offset:32
	s_waitcnt lgkmcnt(0)
	v_add_f32_e32 v2, v25, v2
	s_or_b32 exec_lo, exec_lo, s4
	s_and_saveexec_b32 s4, vcc_lo
	s_cbranch_execz .LBB206_1657
.LBB206_1708:
	ds_read_b32 v25, v24 offset:48
	s_waitcnt lgkmcnt(0)
	v_add_f32_e32 v3, v25, v3
	s_or_b32 exec_lo, exec_lo, s4
	s_and_saveexec_b32 s4, vcc_lo
	s_cbranch_execz .LBB206_1658
.LBB206_1709:
	ds_read_b32 v25, v24 offset:64
	s_waitcnt lgkmcnt(0)
	v_add_f32_e32 v4, v25, v4
	s_or_b32 exec_lo, exec_lo, s4
	s_and_saveexec_b32 s4, vcc_lo
	s_cbranch_execz .LBB206_1659
.LBB206_1710:
	ds_read_b32 v25, v24 offset:80
	s_waitcnt lgkmcnt(0)
	v_add_f32_e32 v5, v25, v5
	s_or_b32 exec_lo, exec_lo, s4
	s_and_saveexec_b32 s4, vcc_lo
	s_cbranch_execz .LBB206_1660
.LBB206_1711:
	ds_read_b32 v25, v24 offset:96
	s_waitcnt lgkmcnt(0)
	v_add_f32_e32 v6, v25, v6
	s_or_b32 exec_lo, exec_lo, s4
	s_and_saveexec_b32 s4, vcc_lo
	s_cbranch_execz .LBB206_1661
.LBB206_1712:
	ds_read_b32 v25, v24 offset:112
	s_waitcnt lgkmcnt(0)
	v_add_f32_e32 v7, v25, v7
	s_or_b32 exec_lo, exec_lo, s4
	s_and_saveexec_b32 s4, vcc_lo
	s_cbranch_execz .LBB206_1662
.LBB206_1713:
	ds_read_b32 v25, v24 offset:128
	s_waitcnt lgkmcnt(0)
	v_add_f32_e32 v8, v25, v8
	s_or_b32 exec_lo, exec_lo, s4
	s_and_saveexec_b32 s4, vcc_lo
	s_cbranch_execz .LBB206_1663
.LBB206_1714:
	ds_read_b32 v25, v24 offset:144
	s_waitcnt lgkmcnt(0)
	v_add_f32_e32 v9, v25, v9
	s_or_b32 exec_lo, exec_lo, s4
	s_and_saveexec_b32 s4, vcc_lo
	s_cbranch_execz .LBB206_1664
.LBB206_1715:
	ds_read_b32 v25, v24 offset:160
	s_waitcnt lgkmcnt(0)
	v_add_f32_e32 v10, v25, v10
	s_or_b32 exec_lo, exec_lo, s4
	s_and_saveexec_b32 s4, vcc_lo
	s_cbranch_execz .LBB206_1665
.LBB206_1716:
	ds_read_b32 v25, v24 offset:176
	s_waitcnt lgkmcnt(0)
	v_add_f32_e32 v11, v25, v11
	s_or_b32 exec_lo, exec_lo, s4
	s_and_saveexec_b32 s4, vcc_lo
	s_cbranch_execz .LBB206_1666
.LBB206_1717:
	ds_read_b32 v25, v24 offset:192
	s_waitcnt lgkmcnt(0)
	v_add_f32_e32 v12, v25, v12
	s_or_b32 exec_lo, exec_lo, s4
	s_and_saveexec_b32 s4, vcc_lo
	s_cbranch_execz .LBB206_1667
.LBB206_1718:
	ds_read_b32 v25, v24 offset:208
	s_waitcnt lgkmcnt(0)
	v_add_f32_e32 v13, v25, v13
	s_or_b32 exec_lo, exec_lo, s4
	s_and_saveexec_b32 s4, vcc_lo
	s_cbranch_execz .LBB206_1668
.LBB206_1719:
	ds_read_b32 v25, v24 offset:224
	s_waitcnt lgkmcnt(0)
	v_add_f32_e32 v14, v25, v14
	s_or_b32 exec_lo, exec_lo, s4
	s_and_saveexec_b32 s4, vcc_lo
	s_cbranch_execz .LBB206_1669
.LBB206_1720:
	ds_read_b32 v25, v24 offset:240
	s_waitcnt lgkmcnt(0)
	v_add_f32_e32 v15, v25, v15
	s_or_b32 exec_lo, exec_lo, s4
	s_and_saveexec_b32 s4, vcc_lo
	s_cbranch_execz .LBB206_1670
.LBB206_1721:
	ds_read_b32 v25, v24 offset:256
	s_waitcnt lgkmcnt(0)
	v_add_f32_e32 v16, v25, v16
	s_or_b32 exec_lo, exec_lo, s4
	s_and_saveexec_b32 s4, vcc_lo
	s_cbranch_execz .LBB206_1671
.LBB206_1722:
	ds_read_b32 v25, v24 offset:272
	s_waitcnt lgkmcnt(0)
	v_add_f32_e32 v17, v25, v17
	s_or_b32 exec_lo, exec_lo, s4
	s_and_saveexec_b32 s4, vcc_lo
	s_cbranch_execz .LBB206_1672
.LBB206_1723:
	ds_read_b32 v25, v24 offset:288
	s_waitcnt lgkmcnt(0)
	v_add_f32_e32 v18, v25, v18
	s_or_b32 exec_lo, exec_lo, s4
	s_and_saveexec_b32 s4, vcc_lo
	s_cbranch_execz .LBB206_1673
.LBB206_1724:
	ds_read_b32 v25, v24 offset:304
	s_waitcnt lgkmcnt(0)
	v_add_f32_e32 v19, v25, v19
	s_or_b32 exec_lo, exec_lo, s4
	s_and_saveexec_b32 s4, vcc_lo
	s_cbranch_execz .LBB206_1674
.LBB206_1725:
	ds_read_b32 v25, v24 offset:320
	s_waitcnt lgkmcnt(0)
	v_add_f32_e32 v20, v25, v20
	s_or_b32 exec_lo, exec_lo, s4
	s_and_saveexec_b32 s4, vcc_lo
	s_cbranch_execz .LBB206_1675
.LBB206_1726:
	ds_read_b32 v25, v24 offset:336
	s_waitcnt lgkmcnt(0)
	v_add_f32_e32 v21, v25, v21
	s_or_b32 exec_lo, exec_lo, s4
	s_and_saveexec_b32 s4, vcc_lo
	s_cbranch_execz .LBB206_1676
.LBB206_1727:
	ds_read_b32 v25, v24 offset:352
	s_waitcnt lgkmcnt(0)
	v_add_f32_e32 v22, v25, v22
	s_or_b32 exec_lo, exec_lo, s4
	s_and_saveexec_b32 s4, vcc_lo
	s_cbranch_execnz .LBB206_1677
	s_branch .LBB206_1678
.Lfunc_end206:
	.size	_ZN4vllm22paged_attention_kernelIfhLi96ELi32ELi128ELNS_18Fp8KVCacheDataTypeE1ELb1ELi0EEEvPfS2_PT_PKS3_PKT0_S9_ifPKiSB_iPKfiiiSD_SD_iiiii, .Lfunc_end206-_ZN4vllm22paged_attention_kernelIfhLi96ELi32ELi128ELNS_18Fp8KVCacheDataTypeE1ELb1ELi0EEEvPfS2_PT_PKS3_PKT0_S9_ifPKiSB_iPKfiiiSD_SD_iiiii
                                        ; -- End function
	.set .L_ZN4vllm22paged_attention_kernelIfhLi96ELi32ELi128ELNS_18Fp8KVCacheDataTypeE1ELb1ELi0EEEvPfS2_PT_PKS3_PKT0_S9_ifPKiSB_iPKfiiiSD_SD_iiiii.num_vgpr, 128
	.set .L_ZN4vllm22paged_attention_kernelIfhLi96ELi32ELi128ELNS_18Fp8KVCacheDataTypeE1ELb1ELi0EEEvPfS2_PT_PKS3_PKT0_S9_ifPKiSB_iPKfiiiSD_SD_iiiii.num_agpr, 0
	.set .L_ZN4vllm22paged_attention_kernelIfhLi96ELi32ELi128ELNS_18Fp8KVCacheDataTypeE1ELb1ELi0EEEvPfS2_PT_PKS3_PKT0_S9_ifPKiSB_iPKfiiiSD_SD_iiiii.numbered_sgpr, 33
	.set .L_ZN4vllm22paged_attention_kernelIfhLi96ELi32ELi128ELNS_18Fp8KVCacheDataTypeE1ELb1ELi0EEEvPfS2_PT_PKS3_PKT0_S9_ifPKiSB_iPKfiiiSD_SD_iiiii.num_named_barrier, 0
	.set .L_ZN4vllm22paged_attention_kernelIfhLi96ELi32ELi128ELNS_18Fp8KVCacheDataTypeE1ELb1ELi0EEEvPfS2_PT_PKS3_PKT0_S9_ifPKiSB_iPKfiiiSD_SD_iiiii.private_seg_size, 1060
	.set .L_ZN4vllm22paged_attention_kernelIfhLi96ELi32ELi128ELNS_18Fp8KVCacheDataTypeE1ELb1ELi0EEEvPfS2_PT_PKS3_PKT0_S9_ifPKiSB_iPKfiiiSD_SD_iiiii.uses_vcc, 1
	.set .L_ZN4vllm22paged_attention_kernelIfhLi96ELi32ELi128ELNS_18Fp8KVCacheDataTypeE1ELb1ELi0EEEvPfS2_PT_PKS3_PKT0_S9_ifPKiSB_iPKfiiiSD_SD_iiiii.uses_flat_scratch, 0
	.set .L_ZN4vllm22paged_attention_kernelIfhLi96ELi32ELi128ELNS_18Fp8KVCacheDataTypeE1ELb1ELi0EEEvPfS2_PT_PKS3_PKT0_S9_ifPKiSB_iPKfiiiSD_SD_iiiii.has_dyn_sized_stack, 0
	.set .L_ZN4vllm22paged_attention_kernelIfhLi96ELi32ELi128ELNS_18Fp8KVCacheDataTypeE1ELb1ELi0EEEvPfS2_PT_PKS3_PKT0_S9_ifPKiSB_iPKfiiiSD_SD_iiiii.has_recursion, 0
	.set .L_ZN4vllm22paged_attention_kernelIfhLi96ELi32ELi128ELNS_18Fp8KVCacheDataTypeE1ELb1ELi0EEEvPfS2_PT_PKS3_PKT0_S9_ifPKiSB_iPKfiiiSD_SD_iiiii.has_indirect_call, 0
	.section	.AMDGPU.csdata,"",@progbits
; Function info:
; codeLenInByte = 58492
; TotalNumSgprs: 35
; NumVgprs: 128
; ScratchSize: 1060
; MemoryBound: 0
	.section	.text._ZN4vllm25paged_attention_v1_kernelIfhLi96ELi32ELi128ELNS_18Fp8KVCacheDataTypeE1ELb1EEEvPT_PKS2_PKT0_S8_ifPKiSA_iPKfiiiSC_SC_iiiii,"axG",@progbits,_ZN4vllm25paged_attention_v1_kernelIfhLi96ELi32ELi128ELNS_18Fp8KVCacheDataTypeE1ELb1EEEvPT_PKS2_PKT0_S8_ifPKiSA_iPKfiiiSC_SC_iiiii,comdat
	.protected	_ZN4vllm25paged_attention_v1_kernelIfhLi96ELi32ELi128ELNS_18Fp8KVCacheDataTypeE1ELb1EEEvPT_PKS2_PKT0_S8_ifPKiSA_iPKfiiiSC_SC_iiiii ; -- Begin function _ZN4vllm25paged_attention_v1_kernelIfhLi96ELi32ELi128ELNS_18Fp8KVCacheDataTypeE1ELb1EEEvPT_PKS2_PKT0_S8_ifPKiSA_iPKfiiiSC_SC_iiiii
	.globl	_ZN4vllm25paged_attention_v1_kernelIfhLi96ELi32ELi128ELNS_18Fp8KVCacheDataTypeE1ELb1EEEvPT_PKS2_PKT0_S8_ifPKiSA_iPKfiiiSC_SC_iiiii
	.p2align	8
	.type	_ZN4vllm25paged_attention_v1_kernelIfhLi96ELi32ELi128ELNS_18Fp8KVCacheDataTypeE1ELb1EEEvPT_PKS2_PKT0_S8_ifPKiSA_iPKfiiiSC_SC_iiiii,@function
_ZN4vllm25paged_attention_v1_kernelIfhLi96ELi32ELi128ELNS_18Fp8KVCacheDataTypeE1ELb1EEEvPT_PKS2_PKT0_S8_ifPKiSA_iPKfiiiSC_SC_iiiii: ; @_ZN4vllm25paged_attention_v1_kernelIfhLi96ELi32ELi128ELNS_18Fp8KVCacheDataTypeE1ELb1EEEvPT_PKS2_PKT0_S8_ifPKiSA_iPKfiiiSC_SC_iiiii
; %bb.0:
	s_clause 0x7
	s_load_dwordx8 s[16:23], s[4:5], 0x0
	s_load_dwordx4 s[36:39], s[4:5], 0x20
	s_load_dwordx2 s[10:11], s[4:5], 0x30
	s_load_dword s13, s[4:5], 0x38
	s_load_dwordx2 s[34:35], s[4:5], 0x40
	s_load_dwordx8 s[24:31], s[4:5], 0x48
	s_load_dword s15, s[4:5], 0x78
	s_load_dwordx4 s[40:43], s[4:5], 0x68
	s_add_u32 s0, s0, s9
	s_addc_u32 s1, s1, 0
	v_mov_b32_e32 v31, v0
	s_mov_b32 s14, s8
	s_add_u32 s8, s4, 0x80
	s_addc_u32 s9, s5, 0
	s_getpc_b64 s[4:5]
	s_add_u32 s4, s4, _ZN4vllm22paged_attention_kernelIfhLi96ELi32ELi128ELNS_18Fp8KVCacheDataTypeE1ELb1ELi0EEEvPfS2_PT_PKS3_PKT0_S9_ifPKiSB_iPKfiiiSD_SD_iiiii@rel32@lo+4
	s_addc_u32 s5, s5, _ZN4vllm22paged_attention_kernelIfhLi96ELi32ELi128ELNS_18Fp8KVCacheDataTypeE1ELb1ELi0EEEvPfS2_PT_PKS3_PKT0_S9_ifPKiSB_iPKfiiiSD_SD_iiiii@rel32@hi+12
	s_mov_b32 s12, s6
	s_mov_b32 s32, 0
	s_waitcnt lgkmcnt(0)
	v_mov_b32_e32 v0, s16
	v_mov_b32_e32 v1, s17
	v_mov_b32_e32 v2, s18
	v_mov_b32_e32 v3, s19
	v_mov_b32_e32 v4, s20
	v_mov_b32_e32 v5, s21
	v_mov_b32_e32 v6, s22
	v_mov_b32_e32 v7, s23
	v_mov_b32_e32 v8, s36
	v_mov_b32_e32 v9, s37
	v_mov_b32_e32 v10, s38
	v_mov_b32_e32 v11, s39
	v_mov_b32_e32 v12, s10
	v_mov_b32_e32 v13, s11
	v_mov_b32_e32 v14, s13
	v_mov_b32_e32 v15, s34
	v_mov_b32_e32 v16, s35
	v_mov_b32_e32 v17, s24
	v_mov_b32_e32 v18, s25
	v_mov_b32_e32 v19, s26
	v_mov_b32_e32 v20, s28
	v_mov_b32_e32 v21, s29
	v_mov_b32_e32 v22, s30
	v_mov_b32_e32 v23, s31
	v_mov_b32_e32 v24, s40
	v_mov_b32_e32 v25, s41
	v_mov_b32_e32 v26, s42
	v_mov_b32_e32 v27, s43
	v_mov_b32_e32 v28, s15
	s_mov_b32 s13, s7
	s_mov_b32 s15, 33
	s_swappc_b64 s[30:31], s[4:5]
	s_endpgm
	.section	.rodata,"a",@progbits
	.p2align	6, 0x0
	.amdhsa_kernel _ZN4vllm25paged_attention_v1_kernelIfhLi96ELi32ELi128ELNS_18Fp8KVCacheDataTypeE1ELb1EEEvPT_PKS2_PKT0_S8_ifPKiSA_iPKfiiiSC_SC_iiiii
		.amdhsa_group_segment_fixed_size 416
		.amdhsa_private_segment_fixed_size 1060
		.amdhsa_kernarg_size 384
		.amdhsa_user_sgpr_count 6
		.amdhsa_user_sgpr_private_segment_buffer 1
		.amdhsa_user_sgpr_dispatch_ptr 0
		.amdhsa_user_sgpr_queue_ptr 0
		.amdhsa_user_sgpr_kernarg_segment_ptr 1
		.amdhsa_user_sgpr_dispatch_id 0
		.amdhsa_user_sgpr_flat_scratch_init 0
		.amdhsa_user_sgpr_private_segment_size 0
		.amdhsa_wavefront_size32 1
		.amdhsa_uses_dynamic_stack 0
		.amdhsa_system_sgpr_private_segment_wavefront_offset 1
		.amdhsa_system_sgpr_workgroup_id_x 1
		.amdhsa_system_sgpr_workgroup_id_y 1
		.amdhsa_system_sgpr_workgroup_id_z 1
		.amdhsa_system_sgpr_workgroup_info 0
		.amdhsa_system_vgpr_workitem_id 0
		.amdhsa_next_free_vgpr 128
		.amdhsa_next_free_sgpr 44
		.amdhsa_reserve_vcc 1
		.amdhsa_reserve_flat_scratch 0
		.amdhsa_float_round_mode_32 0
		.amdhsa_float_round_mode_16_64 0
		.amdhsa_float_denorm_mode_32 3
		.amdhsa_float_denorm_mode_16_64 3
		.amdhsa_dx10_clamp 1
		.amdhsa_ieee_mode 1
		.amdhsa_fp16_overflow 0
		.amdhsa_workgroup_processor_mode 1
		.amdhsa_memory_ordered 1
		.amdhsa_forward_progress 1
		.amdhsa_shared_vgpr_count 0
		.amdhsa_exception_fp_ieee_invalid_op 0
		.amdhsa_exception_fp_denorm_src 0
		.amdhsa_exception_fp_ieee_div_zero 0
		.amdhsa_exception_fp_ieee_overflow 0
		.amdhsa_exception_fp_ieee_underflow 0
		.amdhsa_exception_fp_ieee_inexact 0
		.amdhsa_exception_int_div_zero 0
	.end_amdhsa_kernel
	.section	.text._ZN4vllm25paged_attention_v1_kernelIfhLi96ELi32ELi128ELNS_18Fp8KVCacheDataTypeE1ELb1EEEvPT_PKS2_PKT0_S8_ifPKiSA_iPKfiiiSC_SC_iiiii,"axG",@progbits,_ZN4vllm25paged_attention_v1_kernelIfhLi96ELi32ELi128ELNS_18Fp8KVCacheDataTypeE1ELb1EEEvPT_PKS2_PKT0_S8_ifPKiSA_iPKfiiiSC_SC_iiiii,comdat
.Lfunc_end207:
	.size	_ZN4vllm25paged_attention_v1_kernelIfhLi96ELi32ELi128ELNS_18Fp8KVCacheDataTypeE1ELb1EEEvPT_PKS2_PKT0_S8_ifPKiSA_iPKfiiiSC_SC_iiiii, .Lfunc_end207-_ZN4vllm25paged_attention_v1_kernelIfhLi96ELi32ELi128ELNS_18Fp8KVCacheDataTypeE1ELb1EEEvPT_PKS2_PKT0_S8_ifPKiSA_iPKfiiiSC_SC_iiiii
                                        ; -- End function
	.set _ZN4vllm25paged_attention_v1_kernelIfhLi96ELi32ELi128ELNS_18Fp8KVCacheDataTypeE1ELb1EEEvPT_PKS2_PKT0_S8_ifPKiSA_iPKfiiiSC_SC_iiiii.num_vgpr, max(32, .L_ZN4vllm22paged_attention_kernelIfhLi96ELi32ELi128ELNS_18Fp8KVCacheDataTypeE1ELb1ELi0EEEvPfS2_PT_PKS3_PKT0_S9_ifPKiSB_iPKfiiiSD_SD_iiiii.num_vgpr)
	.set _ZN4vllm25paged_attention_v1_kernelIfhLi96ELi32ELi128ELNS_18Fp8KVCacheDataTypeE1ELb1EEEvPT_PKS2_PKT0_S8_ifPKiSA_iPKfiiiSC_SC_iiiii.num_agpr, max(0, .L_ZN4vllm22paged_attention_kernelIfhLi96ELi32ELi128ELNS_18Fp8KVCacheDataTypeE1ELb1ELi0EEEvPfS2_PT_PKS3_PKT0_S9_ifPKiSB_iPKfiiiSD_SD_iiiii.num_agpr)
	.set _ZN4vllm25paged_attention_v1_kernelIfhLi96ELi32ELi128ELNS_18Fp8KVCacheDataTypeE1ELb1EEEvPT_PKS2_PKT0_S8_ifPKiSA_iPKfiiiSC_SC_iiiii.numbered_sgpr, max(44, .L_ZN4vllm22paged_attention_kernelIfhLi96ELi32ELi128ELNS_18Fp8KVCacheDataTypeE1ELb1ELi0EEEvPfS2_PT_PKS3_PKT0_S9_ifPKiSB_iPKfiiiSD_SD_iiiii.numbered_sgpr)
	.set _ZN4vllm25paged_attention_v1_kernelIfhLi96ELi32ELi128ELNS_18Fp8KVCacheDataTypeE1ELb1EEEvPT_PKS2_PKT0_S8_ifPKiSA_iPKfiiiSC_SC_iiiii.num_named_barrier, max(0, .L_ZN4vllm22paged_attention_kernelIfhLi96ELi32ELi128ELNS_18Fp8KVCacheDataTypeE1ELb1ELi0EEEvPfS2_PT_PKS3_PKT0_S9_ifPKiSB_iPKfiiiSD_SD_iiiii.num_named_barrier)
	.set _ZN4vllm25paged_attention_v1_kernelIfhLi96ELi32ELi128ELNS_18Fp8KVCacheDataTypeE1ELb1EEEvPT_PKS2_PKT0_S8_ifPKiSA_iPKfiiiSC_SC_iiiii.private_seg_size, 0+max(.L_ZN4vllm22paged_attention_kernelIfhLi96ELi32ELi128ELNS_18Fp8KVCacheDataTypeE1ELb1ELi0EEEvPfS2_PT_PKS3_PKT0_S9_ifPKiSB_iPKfiiiSD_SD_iiiii.private_seg_size)
	.set _ZN4vllm25paged_attention_v1_kernelIfhLi96ELi32ELi128ELNS_18Fp8KVCacheDataTypeE1ELb1EEEvPT_PKS2_PKT0_S8_ifPKiSA_iPKfiiiSC_SC_iiiii.uses_vcc, or(1, .L_ZN4vllm22paged_attention_kernelIfhLi96ELi32ELi128ELNS_18Fp8KVCacheDataTypeE1ELb1ELi0EEEvPfS2_PT_PKS3_PKT0_S9_ifPKiSB_iPKfiiiSD_SD_iiiii.uses_vcc)
	.set _ZN4vllm25paged_attention_v1_kernelIfhLi96ELi32ELi128ELNS_18Fp8KVCacheDataTypeE1ELb1EEEvPT_PKS2_PKT0_S8_ifPKiSA_iPKfiiiSC_SC_iiiii.uses_flat_scratch, or(0, .L_ZN4vllm22paged_attention_kernelIfhLi96ELi32ELi128ELNS_18Fp8KVCacheDataTypeE1ELb1ELi0EEEvPfS2_PT_PKS3_PKT0_S9_ifPKiSB_iPKfiiiSD_SD_iiiii.uses_flat_scratch)
	.set _ZN4vllm25paged_attention_v1_kernelIfhLi96ELi32ELi128ELNS_18Fp8KVCacheDataTypeE1ELb1EEEvPT_PKS2_PKT0_S8_ifPKiSA_iPKfiiiSC_SC_iiiii.has_dyn_sized_stack, or(0, .L_ZN4vllm22paged_attention_kernelIfhLi96ELi32ELi128ELNS_18Fp8KVCacheDataTypeE1ELb1ELi0EEEvPfS2_PT_PKS3_PKT0_S9_ifPKiSB_iPKfiiiSD_SD_iiiii.has_dyn_sized_stack)
	.set _ZN4vllm25paged_attention_v1_kernelIfhLi96ELi32ELi128ELNS_18Fp8KVCacheDataTypeE1ELb1EEEvPT_PKS2_PKT0_S8_ifPKiSA_iPKfiiiSC_SC_iiiii.has_recursion, or(0, .L_ZN4vllm22paged_attention_kernelIfhLi96ELi32ELi128ELNS_18Fp8KVCacheDataTypeE1ELb1ELi0EEEvPfS2_PT_PKS3_PKT0_S9_ifPKiSB_iPKfiiiSD_SD_iiiii.has_recursion)
	.set _ZN4vllm25paged_attention_v1_kernelIfhLi96ELi32ELi128ELNS_18Fp8KVCacheDataTypeE1ELb1EEEvPT_PKS2_PKT0_S8_ifPKiSA_iPKfiiiSC_SC_iiiii.has_indirect_call, or(0, .L_ZN4vllm22paged_attention_kernelIfhLi96ELi32ELi128ELNS_18Fp8KVCacheDataTypeE1ELb1ELi0EEEvPfS2_PT_PKS3_PKT0_S9_ifPKiSB_iPKfiiiSD_SD_iiiii.has_indirect_call)
	.section	.AMDGPU.csdata,"",@progbits
; Kernel info:
; codeLenInByte = 260
; TotalNumSgprs: 46
; NumVgprs: 128
; ScratchSize: 1060
; MemoryBound: 0
; FloatMode: 240
; IeeeMode: 1
; LDSByteSize: 416 bytes/workgroup (compile time only)
; SGPRBlocks: 0
; VGPRBlocks: 15
; NumSGPRsForWavesPerEU: 46
; NumVGPRsForWavesPerEU: 128
; Occupancy: 8
; WaveLimiterHint : 1
; COMPUTE_PGM_RSRC2:SCRATCH_EN: 1
; COMPUTE_PGM_RSRC2:USER_SGPR: 6
; COMPUTE_PGM_RSRC2:TRAP_HANDLER: 0
; COMPUTE_PGM_RSRC2:TGID_X_EN: 1
; COMPUTE_PGM_RSRC2:TGID_Y_EN: 1
; COMPUTE_PGM_RSRC2:TGID_Z_EN: 1
; COMPUTE_PGM_RSRC2:TIDIG_COMP_CNT: 0
	.text
	.p2align	2                               ; -- Begin function _ZN4vllm22paged_attention_kernelIfhLi112ELi32ELi128ELNS_18Fp8KVCacheDataTypeE1ELb1ELi0EEEvPfS2_PT_PKS3_PKT0_S9_ifPKiSB_iPKfiiiSD_SD_iiiii
	.type	_ZN4vllm22paged_attention_kernelIfhLi112ELi32ELi128ELNS_18Fp8KVCacheDataTypeE1ELb1ELi0EEEvPfS2_PT_PKS3_PKT0_S9_ifPKiSB_iPKfiiiSD_SD_iiiii,@function
_ZN4vllm22paged_attention_kernelIfhLi112ELi32ELi128ELNS_18Fp8KVCacheDataTypeE1ELb1ELi0EEEvPfS2_PT_PKS3_PKT0_S9_ifPKiSB_iPKfiiiSD_SD_iiiii: ; @_ZN4vllm22paged_attention_kernelIfhLi112ELi32ELi128ELNS_18Fp8KVCacheDataTypeE1ELb1ELi0EEEvPfS2_PT_PKS3_PKT0_S9_ifPKiSB_iPKfiiiSD_SD_iiiii
; %bb.0:
	s_waitcnt vmcnt(0) expcnt(0) lgkmcnt(0)
	buffer_store_dword v40, off, s[0:3], s32 offset:188 ; 4-byte Folded Spill
	buffer_store_dword v41, off, s[0:3], s32 offset:184 ; 4-byte Folded Spill
	;; [unrolled: 1-line block ×47, first 2 shown]
	buffer_store_dword v127, off, s[0:3], s32 ; 4-byte Folded Spill
	s_mov_b32 s10, s13
	s_ashr_i32 s11, s13, 31
	buffer_store_dword v22, off, s[0:3], s32 offset:708 ; 4-byte Folded Spill
	buffer_store_dword v23, off, s[0:3], s32 offset:712 ; 4-byte Folded Spill
	;; [unrolled: 1-line block ×8, first 2 shown]
	s_lshl_b64 s[6:7], s[10:11], 2
	buffer_store_dword v1, off, s[0:3], s32 offset:1212 ; 4-byte Folded Spill
	buffer_store_dword v0, off, s[0:3], s32 offset:1216 ; 4-byte Folded Spill
	v_add_co_u32 v0, vcc_lo, v12, s6
	v_add_co_ci_u32_e64 v1, null, s7, v13, vcc_lo
	s_clause 0x1
	s_load_dword s5, s[8:9], 0x10
	s_load_dword s6, s[8:9], 0x0
	v_mov_b32_e32 v32, v6
	flat_load_dword v47, v[0:1]
	v_sub_nc_u32_e32 v0, 0, v8
	v_mov_b32_e32 v30, v7
	s_mov_b32 s4, s15
	v_max_i32_e32 v0, v8, v0
	v_cvt_f32_u32_e32 v1, v0
	v_sub_nc_u32_e32 v6, 0, v0
	v_rcp_iflag_f32_e32 v1, v1
	s_waitcnt lgkmcnt(0)
	s_lshr_b32 s5, s5, 16
	s_cmp_lg_u32 s5, 0
	s_cselect_b32 s5, -1, 0
	s_cmp_lg_u32 s5, 0
	s_addc_u32 s11, s6, 0
	v_mul_f32_e32 v1, 0x4f7ffffe, v1
	s_abs_i32 s5, s11
	s_mov_b32 s6, exec_lo
	v_cvt_u32_f32_e32 v1, v1
	v_mul_lo_u32 v6, v6, v1
	v_mul_hi_u32 v6, v1, v6
	v_add_nc_u32_e32 v1, v1, v6
	v_mul_hi_u32 v1, s5, v1
	v_mul_lo_u32 v6, v1, v0
	v_add_nc_u32_e32 v7, 1, v1
	v_sub_nc_u32_e32 v6, s5, v6
	s_abs_i32 s5, s12
	v_sub_nc_u32_e32 v9, v6, v0
	v_cmp_ge_u32_e32 vcc_lo, v6, v0
	v_cndmask_b32_e32 v1, v1, v7, vcc_lo
	v_cndmask_b32_e32 v6, v6, v9, vcc_lo
	v_xor_b32_e32 v7, s11, v8
	v_add_nc_u32_e32 v9, 1, v1
	v_cmp_ge_u32_e32 vcc_lo, v6, v0
	v_ashrrev_i32_e32 v7, 31, v7
	v_cndmask_b32_e32 v0, v1, v9, vcc_lo
	v_xor_b32_e32 v0, v0, v7
	v_sub_nc_u32_e32 v7, v0, v7
	v_sub_nc_u32_e32 v0, 0, v7
	v_max_i32_e32 v6, v7, v0
	v_cvt_f32_u32_e32 v0, v6
	v_sub_nc_u32_e32 v1, 0, v6
	v_rcp_iflag_f32_e32 v0, v0
	v_mul_f32_e32 v0, 0x4f7ffffe, v0
	v_cvt_u32_f32_e32 v0, v0
	v_mul_lo_u32 v1, v1, v0
	v_mul_hi_u32 v1, v0, v1
	v_add_nc_u32_e32 v0, v0, v1
	v_mad_u64_u32 v[0:1], null, s5, v0, 0
	v_mov_b32_e32 v0, 0
	buffer_store_dword v0, off, s[0:3], s32 offset:704 ; 4-byte Folded Spill
	v_cmpx_ne_u64_e32 0, v[15:16]
	s_cbranch_execz .LBB208_2
; %bb.1:
	s_ashr_i32 s13, s12, 31
	s_lshl_b64 s[16:17], s[12:13], 2
	v_add_co_u32 v9, vcc_lo, v15, s16
	v_add_co_ci_u32_e64 v10, null, s17, v16, vcc_lo
	flat_load_dword v0, v[9:10]
	s_waitcnt vmcnt(0) lgkmcnt(0)
	buffer_store_dword v0, off, s[0:3], s32 offset:704 ; 4-byte Folded Spill
.LBB208_2:
	s_or_b32 exec_lo, exec_lo, s6
	v_and_b32_e32 v9, 0x3ff, v31
	v_ashrrev_i32_e32 v0, 31, v7
	s_ashr_i32 s6, s12, 31
	s_mul_i32 s16, s12, 0x70
	s_mov_b32 s7, exec_lo
	buffer_store_dword v9, off, s[0:3], s32 offset:700 ; 4-byte Folded Spill
	v_cmpx_gt_u32_e32 28, v9
	s_cbranch_execz .LBB208_4
; %bb.3:
	buffer_load_dword v7, off, s[0:3], s32 offset:700 ; 4-byte Folded Reload
	v_mul_lo_u32 v9, v17, s10
	s_ashr_i32 s17, s16, 31
	s_lshl_b64 s[18:19], s[16:17], 2
	v_ashrrev_i32_e32 v10, 31, v9
	v_lshlrev_b64 v[9:10], 2, v[9:10]
	v_add_co_u32 v2, vcc_lo, v2, v9
	v_add_co_ci_u32_e64 v3, null, v3, v10, vcc_lo
	v_add_co_u32 v2, vcc_lo, v2, s18
	v_add_co_ci_u32_e64 v3, null, s19, v3, vcc_lo
	s_waitcnt vmcnt(0)
	v_lshlrev_b32_e32 v7, 4, v7
	v_add_co_u32 v2, vcc_lo, v2, v7
	v_add_co_ci_u32_e64 v3, null, 0, v3, vcc_lo
	flat_load_dwordx4 v[9:12], v[2:3]
	s_waitcnt vmcnt(0) lgkmcnt(0)
	ds_write_b128 v7, v[9:12]
.LBB208_4:
	s_or_b32 exec_lo, exec_lo, s7
	v_sub_nc_u32_e32 v2, 0, v27
	v_mul_lo_u32 v3, v1, v6
	v_xor_b32_e32 v12, s6, v0
	v_max_i32_e32 v10, v27, v2
	v_sub_nc_u32_e32 v7, s5, v3
	v_cvt_f32_u32_e32 v2, v10
	buffer_store_dword v10, off, s[0:3], s32 offset:204 ; 4-byte Folded Spill
	v_add_nc_u32_e32 v3, 1, v1
	s_mov_b32 s5, exec_lo
	v_cmp_ge_u32_e32 vcc_lo, v7, v6
	v_rcp_iflag_f32_e32 v2, v2
	v_cndmask_b32_e32 v1, v1, v3, vcc_lo
	s_waitcnt vmcnt(0)
	v_add_nc_u32_e32 v3, -1, v47
	v_mul_f32_e32 v2, 0x4f7ffffe, v2
	v_cvt_u32_f32_e32 v9, v2
	v_sub_nc_u32_e32 v2, 0, v10
	v_sub_nc_u32_e32 v10, v7, v6
	v_mul_lo_u32 v2, v2, v9
	v_cndmask_b32_e32 v7, v7, v10, vcc_lo
	v_add_nc_u32_e32 v10, 1, v1
	v_cmp_ge_u32_e32 vcc_lo, v7, v6
	v_mul_hi_u32 v11, v9, v2
	v_sub_nc_u32_e32 v2, 0, v3
	v_cndmask_b32_e32 v0, v1, v10, vcc_lo
	v_max_i32_e32 v2, v3, v2
	v_add_nc_u32_e32 v1, v9, v11
	v_xor_b32_e32 v6, v0, v12
	buffer_store_dword v1, off, s[0:3], s32 offset:220 ; 4-byte Folded Spill
	v_mad_u64_u32 v[0:1], null, v2, v1, 0
	v_sub_nc_u32_e32 v0, v6, v12
                                        ; implicit-def: $vgpr6
	s_waitcnt lgkmcnt(0)
	s_waitcnt_vscnt null, 0x0
	s_barrier
	buffer_gl0_inv
	buffer_store_dword v6, off, s[0:3], s32 offset:208 ; 4-byte Folded Spill
	buffer_store_dword v7, off, s[0:3], s32 offset:212 ; 4-byte Folded Spill
	v_cmpx_gt_i32_e32 0, v28
	s_xor_b32 s5, exec_lo, s5
	s_cbranch_execz .LBB208_6
; %bb.5:
	v_mad_u64_u32 v[6:7], null, v24, v8, v[0:1]
                                        ; implicit-def: $vgpr24
	v_mul_lo_u32 v6, v6, v28
                                        ; implicit-def: $vgpr28
	v_sub_nc_u32_e32 v6, 1, v6
	buffer_store_dword v6, off, s[0:3], s32 offset:208 ; 4-byte Folded Spill
	buffer_store_dword v7, off, s[0:3], s32 offset:212 ; 4-byte Folded Spill
.LBB208_6:
	s_or_saveexec_b32 s5, s5
	v_ashrrev_i32_e32 v3, 31, v3
	v_ashrrev_i32_e32 v6, 31, v27
	buffer_store_dword v6, off, s[0:3], s32 offset:216 ; 4-byte Folded Spill
	s_xor_b32 exec_lo, exec_lo, s5
	s_cbranch_execz .LBB208_8
; %bb.7:
	v_mad_u64_u32 v[6:7], null, s11, v24, s[12:13]
	v_mad_u64_u32 v[6:7], null, v6, v28, 1
	buffer_store_dword v6, off, s[0:3], s32 offset:208 ; 4-byte Folded Spill
	buffer_store_dword v7, off, s[0:3], s32 offset:212 ; 4-byte Folded Spill
.LBB208_8:
	s_or_b32 exec_lo, exec_lo, s5
	buffer_load_dword v13, off, s[0:3], s32 offset:204 ; 4-byte Folded Reload
	s_clause 0x1
	s_load_dword s7, s[8:9], 0x14
	s_load_dword s12, s[8:9], 0x8
	s_clause 0x1
	buffer_load_dword v8, off, s[0:3], s32 offset:216
	buffer_load_dword v10, off, s[0:3], s32 offset:700
	v_add_nc_u32_e32 v7, 1, v1
	v_mul_lo_u32 v16, v0, v19
	s_ashr_i32 s5, s4, 31
	s_getpc_b64 s[8:9]
	s_add_u32 s8, s8, llvm.amdgcn.dynlds.offset.table@rel32@lo+4
	s_addc_u32 s9, s9, llvm.amdgcn.dynlds.offset.table@rel32@hi+12
	v_sub_nc_u32_e32 v31, 0, v26
	s_lshl_b64 s[18:19], s[4:5], 2
	s_add_u32 s8, s8, s18
	s_addc_u32 s9, s9, s19
	s_waitcnt vmcnt(2)
	v_mul_lo_u32 v6, v1, v13
	s_waitcnt vmcnt(1)
	v_xor_b32_e32 v8, v3, v8
	v_add_nc_u32_e32 v3, 31, v47
	s_waitcnt vmcnt(0)
	v_lshrrev_b32_e32 v11, 5, v10
	v_and_b32_e32 v12, 31, v10
	v_sub_nc_u32_e32 v6, v2, v6
	v_mul_lo_u32 v2, v14, s10
	v_mov_b32_e32 v14, 0xff7fffff
	buffer_store_dword v12, off, s[0:3], s32 offset:696 ; 4-byte Folded Spill
	v_sub_nc_u32_e32 v9, v6, v13
	v_cmp_ge_u32_e32 vcc_lo, v6, v13
	v_cndmask_b32_e32 v1, v1, v7, vcc_lo
	v_cndmask_b32_e32 v6, v6, v9, vcc_lo
	v_ashrrev_i32_e32 v7, 31, v3
	v_add_nc_u32_e32 v9, 1, v1
	v_cmp_ge_u32_e32 vcc_lo, v6, v13
	v_lshrrev_b32_e32 v7, 27, v7
	v_lshlrev_b32_e32 v13, 2, v12
	v_ashrrev_i32_e32 v12, 31, v16
	v_cndmask_b32_e32 v1, v1, v9, vcc_lo
	v_add_nc_u32_e32 v0, v3, v7
	v_lshlrev_b32_e32 v3, 5, v11
	v_lshrrev_b32_e32 v9, 3, v10
	v_xor_b32_e32 v1, v1, v8
	v_ashrrev_i32_e32 v6, 5, v0
	buffer_store_dword v3, off, s[0:3], s32 offset:1220 ; 4-byte Folded Spill
	v_ashrrev_i32_e32 v3, 31, v2
	v_sub_nc_u32_e32 v0, v1, v8
	v_cmp_lt_i32_e64 s4, v11, v6
	v_lshlrev_b64 v[1:2], 2, v[2:3]
	buffer_store_dword v1, off, s[0:3], s32 offset:1204 ; 4-byte Folded Spill
	buffer_store_dword v2, off, s[0:3], s32 offset:1208 ; 4-byte Folded Spill
	;; [unrolled: 1-line block ×4, first 2 shown]
	v_sub_nc_u32_e32 v0, v0, v25
	buffer_store_dword v0, off, s[0:3], s32 offset:224 ; 4-byte Folded Spill
	s_and_saveexec_b32 s13, s4
	s_cbranch_execz .LBB208_912
; %bb.9:
	buffer_store_dword v32, off, s[0:3], s32 offset:1232 ; 4-byte Folded Spill
	buffer_store_dword v30, off, s[0:3], s32 offset:1228 ; 4-byte Folded Spill
	;; [unrolled: 1-line block ×4, first 2 shown]
	v_add_co_u32 v1, vcc_lo, v4, v16
	s_clause 0x1
	buffer_load_dword v4, off, s[0:3], s32 offset:696
	buffer_load_dword v6, off, s[0:3], s32 offset:1192
	v_add_co_ci_u32_e64 v2, null, v5, v12, vcc_lo
	buffer_load_dword v5, off, s[0:3], s32 offset:704 ; 4-byte Folded Reload
	v_max_i32_e32 v7, v26, v31
	v_mov_b32_e32 v25, 0
	s_load_dword s15, s[8:9], 0x0
	buffer_store_dword v16, off, s[0:3], s32 offset:1240 ; 4-byte Folded Spill
	buffer_store_dword v12, off, s[0:3], s32 offset:1248 ; 4-byte Folded Spill
	;; [unrolled: 1-line block ×5, first 2 shown]
	v_cvt_f32_u32_e32 v0, v7
	v_sub_nc_u32_e32 v7, 0, v7
	v_bfrev_b32_e32 v111, 1
	v_mov_b32_e32 v107, 0x7f800001
	s_mov_b32 s17, 0
	v_rcp_iflag_f32_e32 v0, v0
	v_mul_f32_e32 v0, 0x4f7ffffe, v0
	v_cvt_u32_f32_e32 v0, v0
	v_mul_lo_u32 v7, v7, v0
	s_waitcnt vmcnt(2)
	v_lshlrev_b32_e32 v3, 4, v4
	s_waitcnt vmcnt(1)
	v_lshl_or_b32 v11, v6, 7, v13
	v_sub_nc_u32_e32 v4, v4, v47
	v_lshlrev_b32_e32 v10, 5, v6
	s_waitcnt vmcnt(0)
	v_cmp_neq_f32_e32 vcc_lo, 0, v5
	v_add_co_u32 v1, s5, v1, v3
	v_add_co_ci_u32_e64 v2, null, 0, v2, s5
	v_add_nc_u32_e32 v4, 1, v4
	buffer_store_dword v1, off, s[0:3], s32 offset:728 ; 4-byte Folded Spill
	buffer_store_dword v2, off, s[0:3], s32 offset:732 ; 4-byte Folded Spill
	ds_read_b128 v[12:15], v25
	v_and_b32_e32 v5, 0x7c, v9
	v_mul_hi_u32 v1, v0, v7
	s_waitcnt lgkmcnt(0)
	buffer_store_dword v12, off, s[0:3], s32 offset:736 ; 4-byte Folded Spill
	buffer_store_dword v13, off, s[0:3], s32 offset:740 ; 4-byte Folded Spill
	;; [unrolled: 1-line block ×4, first 2 shown]
	ds_read_b128 v[12:15], v25 offset:16
	v_add_nc_u32_e32 v0, v0, v1
	s_waitcnt lgkmcnt(0)
	buffer_store_dword v12, off, s[0:3], s32 offset:752 ; 4-byte Folded Spill
	buffer_store_dword v13, off, s[0:3], s32 offset:756 ; 4-byte Folded Spill
	buffer_store_dword v14, off, s[0:3], s32 offset:760 ; 4-byte Folded Spill
	buffer_store_dword v15, off, s[0:3], s32 offset:764 ; 4-byte Folded Spill
	ds_read_b128 v[12:15], v25 offset:32
	s_waitcnt lgkmcnt(0)
	buffer_store_dword v12, off, s[0:3], s32 offset:772 ; 4-byte Folded Spill
	buffer_store_dword v13, off, s[0:3], s32 offset:776 ; 4-byte Folded Spill
	buffer_store_dword v14, off, s[0:3], s32 offset:780 ; 4-byte Folded Spill
	buffer_store_dword v15, off, s[0:3], s32 offset:784 ; 4-byte Folded Spill
	ds_read_b128 v[12:15], v25 offset:48
	;; [unrolled: 6-line block ×4, first 2 shown]
	s_waitcnt lgkmcnt(0)
	buffer_store_dword v12, off, s[0:3], s32 offset:820 ; 4-byte Folded Spill
	buffer_store_dword v13, off, s[0:3], s32 offset:824 ; 4-byte Folded Spill
	;; [unrolled: 1-line block ×4, first 2 shown]
	s_clause 0x1
	buffer_load_dword v2, off, s[0:3], s32 offset:1204
	buffer_load_dword v3, off, s[0:3], s32 offset:1208
	buffer_store_dword v4, off, s[0:3], s32 offset:836 ; 4-byte Folded Spill
	buffer_load_dword v4, off, s[0:3], s32 offset:1200 ; 4-byte Folded Reload
	v_mov_b32_e32 v14, 0xff7fffff
	s_waitcnt vmcnt(2)
	v_add_co_u32 v2, s5, v5, v2
	s_waitcnt vmcnt(1)
	v_add_co_ci_u32_e64 v3, null, 0, v3, s5
	s_waitcnt vmcnt(0)
	v_add_co_u32 v4, s5, v4, v2
	buffer_load_dword v2, off, s[0:3], s32 offset:1196 ; 4-byte Folded Reload
	s_waitcnt vmcnt(0)
	v_add_co_ci_u32_e64 v5, null, v2, v3, s5
	buffer_store_dword v4, off, s[0:3], s32 offset:196 ; 4-byte Folded Spill
	buffer_store_dword v5, off, s[0:3], s32 offset:200 ; 4-byte Folded Spill
	buffer_store_dword v0, off, s[0:3], s32 offset:680 ; 4-byte Folded Spill
	ds_read_b128 v[0:3], v25 offset:96
	s_waitcnt lgkmcnt(0)
	buffer_store_dword v0, off, s[0:3], s32 offset:840 ; 4-byte Folded Spill
	buffer_store_dword v1, off, s[0:3], s32 offset:844 ; 4-byte Folded Spill
	buffer_store_dword v2, off, s[0:3], s32 offset:848 ; 4-byte Folded Spill
	buffer_store_dword v3, off, s[0:3], s32 offset:852 ; 4-byte Folded Spill
	ds_read_b128 v[0:3], v25 offset:112
	s_waitcnt lgkmcnt(0)
	buffer_store_dword v0, off, s[0:3], s32 offset:856 ; 4-byte Folded Spill
	;; [unrolled: 6-line block ×22, first 2 shown]
	buffer_store_dword v1, off, s[0:3], s32 offset:1180 ; 4-byte Folded Spill
	buffer_store_dword v2, off, s[0:3], s32 offset:1184 ; 4-byte Folded Spill
	;; [unrolled: 1-line block ×4, first 2 shown]
	s_branch .LBB208_15
.LBB208_10:                             ;   in Loop: Header=BB208_15 Depth=1
	s_or_b32 exec_lo, exec_lo, s21
	v_mov_b32_e32 v4, 24
	v_lshlrev_b32_e32 v24, 20, v24
	v_lshl_add_u32 v106, v106, 23, 0x3c000000
	v_mov_b32_e32 v120, v25
	v_lshlrev_b32_sdwa v5, v4, v5 dst_sel:DWORD dst_unused:UNUSED_PAD src0_sel:DWORD src1_sel:BYTE_3
	v_and_b32_e32 v5, 0x80000000, v5
	v_or3_b32 v121, v24, v5, v106
.LBB208_11:                             ;   in Loop: Header=BB208_15 Depth=1
	s_or_b32 exec_lo, exec_lo, s20
.LBB208_12:                             ;   in Loop: Header=BB208_15 Depth=1
	s_or_b32 exec_lo, exec_lo, s19
.LBB208_13:                             ;   in Loop: Header=BB208_15 Depth=1
	s_or_b32 exec_lo, exec_lo, s18
	v_or_b32_e32 v21, v21, v30
	v_or_b32_e32 v30, v20, v29
	v_or_b32_e32 v20, v32, v17
	v_or_b32_e32 v23, v23, v125
	v_or_b32_e32 v32, v22, v124
	s_clause 0x3
	buffer_load_dword v124, off, s[0:3], s32 offset:664
	buffer_load_dword v125, off, s[0:3], s32 offset:668
	;; [unrolled: 1-line block ×4, first 2 shown]
	v_or_b32_e32 v39, v100, v39
	v_or_b32_e32 v100, v102, v82
	;; [unrolled: 1-line block ×51, first 2 shown]
	v_mul_f32_e32 v1, v8, v1
	v_mul_f32_e32 v0, v8, v0
	s_waitcnt vmcnt(1)
	v_or_b32_e32 v54, v4, v124
	s_waitcnt vmcnt(0)
	v_or_b32_e32 v48, v5, v125
	s_clause 0x3
	buffer_load_dword v4, off, s[0:3], s32 offset:648
	buffer_load_dword v5, off, s[0:3], s32 offset:652
	buffer_load_dword v12, off, s[0:3], s32 offset:656
	buffer_load_dword v13, off, s[0:3], s32 offset:660
	s_waitcnt vmcnt(1)
	v_or_b32_e32 v49, v4, v12
	s_waitcnt vmcnt(0)
	v_or_b32_e32 v38, v5, v13
	s_clause 0x3
	buffer_load_dword v124, off, s[0:3], s32 offset:632
	buffer_load_dword v125, off, s[0:3], s32 offset:636
	buffer_load_dword v4, off, s[0:3], s32 offset:608
	buffer_load_dword v5, off, s[0:3], s32 offset:612
	;; [unrolled: 9-line block ×25, first 2 shown]
	v_mul_f32_e32 v2, v8, v13
	s_waitcnt vmcnt(1)
	v_or_b32_e32 v127, v4, v16
	s_waitcnt vmcnt(0)
	v_or_b32_e32 v126, v5, v17
	s_clause 0x1
	buffer_load_dword v4, off, s[0:3], s32 offset:456
	buffer_load_dword v5, off, s[0:3], s32 offset:460
	s_waitcnt vmcnt(1)
	v_or_b32_e32 v124, v6, v4
	s_waitcnt vmcnt(0)
	v_or_b32_e32 v47, v7, v5
	s_clause 0x3
	buffer_load_dword v4, off, s[0:3], s32 offset:232
	buffer_load_dword v5, off, s[0:3], s32 offset:236
	;; [unrolled: 1-line block ×4, first 2 shown]
	v_mul_f32_e32 v3, v8, v124
	s_waitcnt vmcnt(1)
	v_or_b32_e32 v9, v4, v6
	s_waitcnt vmcnt(0)
	v_or_b32_e32 v125, v5, v7
	s_clause 0x7
	buffer_load_dword v4, off, s[0:3], s32 offset:752
	buffer_load_dword v5, off, s[0:3], s32 offset:756
	;; [unrolled: 1-line block ×8, first 2 shown]
	s_waitcnt vmcnt(7)
	v_mul_f32_e32 v2, v4, v2
	v_mul_f32_e32 v4, v8, v47
	s_waitcnt vmcnt(3)
	v_fmac_f32_e32 v2, v16, v3
	v_mul_f32_e32 v3, v8, v12
	v_mul_f32_e32 v13, v5, v3
	v_mul_f32_e32 v3, v8, v127
	v_mul_f32_e32 v5, v8, v34
	s_waitcnt vmcnt(2)
	v_fmac_f32_e32 v13, v17, v4
	v_mul_f32_e32 v4, v8, v9
	v_mul_f32_e32 v3, v6, v3
	;; [unrolled: 6-line block ×3, first 2 shown]
	v_mul_f32_e32 v4, v8, v93
	s_waitcnt vmcnt(0)
	v_fmac_f32_e32 v12, v19, v9
	s_clause 0x3
	buffer_load_dword v16, off, s[0:3], s32 offset:772
	buffer_load_dword v17, off, s[0:3], s32 offset:776
	buffer_load_dword v18, off, s[0:3], s32 offset:780
	buffer_load_dword v19, off, s[0:3], s32 offset:784
	v_mul_f32_e32 v9, v8, v92
	s_waitcnt vmcnt(3)
	v_fmac_f32_e32 v2, v16, v6
	v_mul_f32_e32 v6, v8, v109
	s_waitcnt vmcnt(2)
	v_fmac_f32_e32 v13, v17, v6
	v_mul_f32_e32 v6, v8, v123
	s_waitcnt vmcnt(1)
	v_fmac_f32_e32 v3, v18, v6
	v_mul_f32_e32 v6, v8, v122
	s_waitcnt vmcnt(0)
	v_fmac_f32_e32 v12, v19, v6
	s_clause 0x3
	buffer_load_dword v16, off, s[0:3], s32 offset:788
	buffer_load_dword v17, off, s[0:3], s32 offset:792
	buffer_load_dword v18, off, s[0:3], s32 offset:796
	buffer_load_dword v19, off, s[0:3], s32 offset:800
	v_mul_f32_e32 v6, v8, v105
	s_waitcnt vmcnt(3)
	v_fmac_f32_e32 v2, v16, v6
	v_mul_f32_e32 v6, v8, v104
	s_waitcnt vmcnt(2)
	v_fmac_f32_e32 v13, v17, v6
	v_mul_f32_e32 v6, v8, v108
	s_waitcnt vmcnt(1)
	v_fmac_f32_e32 v3, v18, v6
	;; [unrolled: 17-line block ×15, first 2 shown]
	v_mul_f32_e32 v6, v8, v15
	s_clause 0x3
	buffer_load_dword v14, off, s[0:3], s32 offset:1016
	buffer_load_dword v15, off, s[0:3], s32 offset:1020
	;; [unrolled: 1-line block ×4, first 2 shown]
	s_waitcnt vmcnt(4)
	v_fmac_f32_e32 v12, v19, v6
	v_mul_f32_e32 v6, v8, v53
	s_waitcnt vmcnt(3)
	v_fmac_f32_e32 v2, v14, v6
	v_mul_f32_e32 v6, v8, v28
	s_waitcnt vmcnt(2)
	v_fmac_f32_e32 v13, v15, v6
	v_mul_f32_e32 v6, v8, v35
	s_waitcnt vmcnt(1)
	v_fmac_f32_e32 v3, v16, v6
	v_mul_f32_e32 v6, v8, v27
	s_waitcnt vmcnt(0)
	v_fmac_f32_e32 v12, v17, v6
	s_clause 0x3
	buffer_load_dword v14, off, s[0:3], s32 offset:1032
	buffer_load_dword v15, off, s[0:3], s32 offset:1036
	buffer_load_dword v16, off, s[0:3], s32 offset:1040
	buffer_load_dword v17, off, s[0:3], s32 offset:1044
	v_mul_f32_e32 v6, v8, v69
	s_waitcnt vmcnt(3)
	v_fmac_f32_e32 v2, v14, v6
	v_mul_f32_e32 v6, v8, v51
	s_waitcnt vmcnt(2)
	v_fmac_f32_e32 v13, v15, v6
	v_mul_f32_e32 v6, v8, v52
	s_waitcnt vmcnt(1)
	v_fmac_f32_e32 v3, v16, v6
	v_mul_f32_e32 v6, v8, v50
	s_waitcnt vmcnt(0)
	v_fmac_f32_e32 v12, v17, v6
	s_clause 0x3
	buffer_load_dword v14, off, s[0:3], s32 offset:1048
	buffer_load_dword v15, off, s[0:3], s32 offset:1052
	buffer_load_dword v16, off, s[0:3], s32 offset:1056
	buffer_load_dword v17, off, s[0:3], s32 offset:1060
	v_mul_f32_e32 v6, v8, v85
	s_waitcnt vmcnt(3)
	v_fmac_f32_e32 v2, v14, v6
	v_mul_f32_e32 v6, v8, v67
	s_waitcnt vmcnt(2)
	v_fmac_f32_e32 v13, v15, v6
	v_mul_f32_e32 v6, v8, v68
	s_waitcnt vmcnt(1)
	v_fmac_f32_e32 v3, v16, v6
	v_mul_f32_e32 v6, v8, v66
	;; [unrolled: 17-line block ×7, first 2 shown]
	s_waitcnt vmcnt(0)
	v_fmac_f32_e32 v12, v17, v6
	s_clause 0x3
	buffer_load_dword v14, off, s[0:3], s32 offset:1144
	buffer_load_dword v15, off, s[0:3], s32 offset:1148
	buffer_load_dword v16, off, s[0:3], s32 offset:1152
	buffer_load_dword v17, off, s[0:3], s32 offset:1156
	v_mul_f32_e32 v6, v8, v75
	s_waitcnt vmcnt(3)
	v_fmac_f32_e32 v2, v14, v6
	s_waitcnt vmcnt(2)
	v_fmac_f32_e32 v13, v15, v1
	v_mul_f32_e32 v1, v8, v74
	s_waitcnt vmcnt(0)
	v_fmac_f32_e32 v12, v17, v0
	v_mul_f32_e32 v0, v8, v24
	v_mul_f32_e32 v6, v8, v33
	v_fmac_f32_e32 v3, v16, v1
	s_clause 0x3
	buffer_load_dword v14, off, s[0:3], s32 offset:1160
	buffer_load_dword v15, off, s[0:3], s32 offset:1164
	;; [unrolled: 1-line block ×4, first 2 shown]
	v_mul_f32_e32 v1, v8, v10
	s_waitcnt vmcnt(3)
	v_fmac_f32_e32 v2, v14, v0
	v_mul_f32_e32 v0, v8, v26
	s_waitcnt vmcnt(1)
	v_fmac_f32_e32 v3, v16, v1
	v_fmac_f32_e32 v13, v15, v0
	v_mul_f32_e32 v0, v8, v11
	s_waitcnt vmcnt(0)
	v_fmac_f32_e32 v12, v17, v0
	s_clause 0x5
	buffer_load_dword v14, off, s[0:3], s32 offset:1176
	buffer_load_dword v15, off, s[0:3], s32 offset:1180
	;; [unrolled: 1-line block ×6, first 2 shown]
	s_load_dword s18, s[8:9], 0x0
	s_clause 0x1
	buffer_load_dword v47, off, s[0:3], s32 offset:768
	buffer_load_dword v11, off, s[0:3], s32 offset:688
	s_waitcnt vmcnt(7)
	v_fmac_f32_e32 v2, v14, v6
	s_waitcnt vmcnt(6)
	v_fmac_f32_e32 v13, v15, v5
	;; [unrolled: 2-line block ×4, first 2 shown]
	s_waitcnt vmcnt(2)
	v_add_nc_u32_e32 v1, v1, v10
	v_add_f32_e32 v0, v2, v13
	buffer_load_dword v2, off, s[0:3], s32 offset:704 ; 4-byte Folded Reload
	v_cvt_f32_i32_e32 v1, v1
	v_add_f32_e32 v0, v3, v0
	s_clause 0x1
	buffer_load_dword v3, off, s[0:3], s32 offset:724
	buffer_load_dword v14, off, s[0:3], s32 offset:692
	v_add_f32_e32 v0, v12, v0
	s_waitcnt vmcnt(2)
	v_mul_f32_e32 v1, v2, v1
	buffer_load_dword v2, off, s[0:3], s32 offset:696 ; 4-byte Folded Reload
	v_cndmask_b32_e32 v1, 0, v1, vcc_lo
	s_waitcnt vmcnt(2)
	v_fmac_f32_e32 v1, v3, v0
	s_waitcnt vmcnt(1)
	v_max_f32_e32 v0, v14, v14
	v_max_f32_e32 v0, v0, v1
	s_waitcnt vmcnt(0)
	v_add_nc_u32_e32 v2, v2, v10
	v_cmp_lt_i32_e64 s5, v2, v47
	s_waitcnt lgkmcnt(0)
	v_add_nc_u32_e32 v2, s18, v11
	v_cndmask_b32_e64 v1, 0, v1, s5
	v_cndmask_b32_e64 v14, v14, v0, s5
	ds_write_b32 v2, v1
.LBB208_14:                             ;   in Loop: Header=BB208_15 Depth=1
	s_or_b32 exec_lo, exec_lo, s6
	s_clause 0x2
	buffer_load_dword v6, off, s[0:3], s32 offset:228
	buffer_load_dword v0, off, s[0:3], s32 offset:196
	;; [unrolled: 1-line block ×3, first 2 shown]
	v_add_nc_u32_e32 v10, 0x80, v10
	v_add_nc_u32_e32 v11, 0x200, v11
	s_waitcnt vmcnt(1)
	v_add_co_u32 v0, s5, v0, 16
	s_waitcnt vmcnt(0)
	v_add_co_ci_u32_e64 v1, null, 0, v1, s5
	v_add_nc_u32_e32 v6, 4, v6
	buffer_store_dword v0, off, s[0:3], s32 offset:196 ; 4-byte Folded Spill
	buffer_store_dword v1, off, s[0:3], s32 offset:200 ; 4-byte Folded Spill
	buffer_load_dword v0, off, s[0:3], s32 offset:192 ; 4-byte Folded Reload
	s_waitcnt vmcnt(0)
	v_cmp_ge_i32_e64 s5, v6, v0
	s_or_b32 s17, s5, s17
	s_andn2_b32 exec_lo, exec_lo, s17
	s_cbranch_execz .LBB208_911
.LBB208_15:                             ; =>This Inner Loop Header: Depth=1
	s_clause 0x1
	buffer_load_dword v0, off, s[0:3], s32 offset:220
	buffer_load_dword v4, off, s[0:3], s32 offset:204
	buffer_store_dword v6, off, s[0:3], s32 offset:228 ; 4-byte Folded Spill
	s_waitcnt vmcnt(1)
	v_mul_hi_u32 v0, v10, v0
	s_waitcnt vmcnt(0)
	v_mul_lo_u32 v1, v0, v4
	v_add_nc_u32_e32 v2, 1, v0
	v_sub_nc_u32_e32 v1, v10, v1
	v_sub_nc_u32_e32 v3, v1, v4
	v_cmp_ge_u32_e64 s5, v1, v4
	v_cndmask_b32_e64 v1, v1, v3, s5
	v_cndmask_b32_e64 v0, v0, v2, s5
	v_cmp_ge_u32_e64 s5, v1, v4
	buffer_load_dword v1, off, s[0:3], s32 offset:216 ; 4-byte Folded Reload
	v_add_nc_u32_e32 v2, 1, v0
	v_cndmask_b32_e64 v0, v0, v2, s5
	s_waitcnt vmcnt(0)
	v_xor_b32_e32 v0, v0, v1
	v_sub_nc_u32_e32 v0, v0, v1
	s_clause 0x3
	buffer_load_dword v1, off, s[0:3], s32 offset:208
	buffer_load_dword v2, off, s[0:3], s32 offset:212
	;; [unrolled: 1-line block ×4, first 2 shown]
	s_waitcnt vmcnt(3)
	v_add_nc_u32_e32 v1, v0, v1
	s_waitcnt vmcnt(2)
	v_sub_nc_u32_e32 v2, 0, v1
	v_max_i32_e32 v2, v1, v2
	v_ashrrev_i32_e32 v1, 31, v1
	s_waitcnt vmcnt(1)
	v_mul_hi_u32 v3, v2, v3
	s_waitcnt vmcnt(0)
	v_mul_lo_u32 v3, v3, v4
	v_sub_nc_u32_e32 v2, v2, v3
	v_sub_nc_u32_e32 v3, v2, v4
	v_cmp_ge_u32_e64 s5, v2, v4
	v_cndmask_b32_e64 v2, v2, v3, s5
	v_sub_nc_u32_e32 v3, v2, v4
	v_cmp_ge_u32_e64 s5, v2, v4
	v_cndmask_b32_e64 v2, v2, v3, s5
	v_xor_b32_e32 v2, v2, v1
	v_sub_nc_u32_e32 v1, v2, v1
	v_cmp_ne_u32_e64 s5, 0, v1
	buffer_load_dword v1, off, s[0:3], s32 offset:224 ; 4-byte Folded Reload
	s_waitcnt vmcnt(0)
	v_cmp_le_i32_e64 s6, v0, v1
	s_and_b32 s5, s5, s6
	s_and_saveexec_b32 s6, s5
	s_xor_b32 s5, exec_lo, s6
; %bb.16:                               ;   in Loop: Header=BB208_15 Depth=1
	v_add_nc_u32_e32 v0, s15, v11
	v_mov_b32_e32 v1, 0xff7fffff
	ds_write_b32 v0, v1
; %bb.17:                               ;   in Loop: Header=BB208_15 Depth=1
	s_andn2_saveexec_b32 s6, s5
	s_cbranch_execz .LBB208_14
; %bb.18:                               ;   in Loop: Header=BB208_15 Depth=1
	buffer_store_dword v14, off, s[0:3], s32 offset:692 ; 4-byte Folded Spill
	buffer_store_dword v11, off, s[0:3], s32 offset:688 ; 4-byte Folded Spill
	;; [unrolled: 1-line block ×3, first 2 shown]
	s_clause 0x1
	buffer_load_dword v0, off, s[0:3], s32 offset:196
	buffer_load_dword v1, off, s[0:3], s32 offset:200
	v_mov_b32_e32 v126, 0
	v_mov_b32_e32 v127, 0
	s_waitcnt vmcnt(0)
	flat_load_dword v0, v[0:1]
	s_clause 0x2
	buffer_load_dword v1, off, s[0:3], s32 offset:672
	buffer_load_dword v2, off, s[0:3], s32 offset:728
	;; [unrolled: 1-line block ×3, first 2 shown]
	s_waitcnt vmcnt(0) lgkmcnt(0)
	v_mad_i64_i32 v[108:109], null, v0, v1, v[2:3]
	flat_load_dword v0, v[108:109]
	s_clause 0x1
	buffer_load_dword v1, off, s[0:3], s32 offset:716
	buffer_load_dword v2, off, s[0:3], s32 offset:720
	s_waitcnt vmcnt(2) lgkmcnt(0)
	v_cmp_ne_u16_sdwa s5, v0, v25 src0_sel:BYTE_0 src1_sel:DWORD
	s_waitcnt vmcnt(0)
	flat_load_dword v8, v[1:2]
	v_mov_b32_e32 v1, 0
	v_mov_b32_e32 v2, 0
	buffer_store_dword v1, off, s[0:3], s32 offset:456 ; 4-byte Folded Spill
	buffer_store_dword v2, off, s[0:3], s32 offset:460 ; 4-byte Folded Spill
	s_mov_b32 s18, exec_lo
	v_mov_b32_e32 v6, 0xff
	s_and_b32 s5, s18, s5
	s_mov_b32 exec_lo, s5
	s_cbranch_execz .LBB208_26
; %bb.19:                               ;   in Loop: Header=BB208_15 Depth=1
	v_bfrev_b32_e32 v1, 1
	v_mov_b32_e32 v2, 0
	buffer_store_dword v1, off, s[0:3], s32 offset:456 ; 4-byte Folded Spill
	buffer_store_dword v2, off, s[0:3], s32 offset:460 ; 4-byte Folded Spill
	v_mov_b32_e32 v1, 0x80
	v_cmp_ne_u16_sdwa s5, v0, v1 src0_sel:BYTE_0 src1_sel:DWORD
	s_and_saveexec_b32 s19, s5
	s_cbranch_execz .LBB208_25
; %bb.20:                               ;   in Loop: Header=BB208_15 Depth=1
	v_mov_b32_e32 v3, 0x7f800001
	v_and_b32_e32 v2, 0x7f, v0
	v_mov_b32_e32 v4, 0
	s_mov_b32 s20, exec_lo
	buffer_store_dword v3, off, s[0:3], s32 offset:456 ; 4-byte Folded Spill
	buffer_store_dword v4, off, s[0:3], s32 offset:460 ; 4-byte Folded Spill
	v_cmpx_ne_u32_e32 0x7f, v2
	s_cbranch_execz .LBB208_24
; %bb.21:                               ;   in Loop: Header=BB208_15 Depth=1
	v_and_b32_e32 v24, 7, v0
	v_lshrrev_b32_e32 v1, 3, v2
	s_mov_b32 s21, exec_lo
	v_cmpx_gt_u32_e32 8, v2
; %bb.22:                               ;   in Loop: Header=BB208_15 Depth=1
	v_ffbh_u32_e32 v1, v24
	v_min_u32_e32 v1, 32, v1
	v_subrev_nc_u32_e32 v2, 28, v1
	v_sub_nc_u32_e32 v1, 29, v1
	v_lshlrev_b64 v[2:3], v2, v[24:25]
	v_and_b32_e32 v24, 7, v2
; %bb.23:                               ;   in Loop: Header=BB208_15 Depth=1
	s_or_b32 exec_lo, exec_lo, s21
	v_lshlrev_b32_e32 v2, 24, v0
	v_lshlrev_b32_e32 v3, 20, v24
	v_lshl_add_u32 v1, v1, 23, 0x3c000000
	v_and_b32_e32 v2, 0x80000000, v2
	v_or3_b32 v24, v3, v2, v1
	buffer_store_dword v24, off, s[0:3], s32 offset:456 ; 4-byte Folded Spill
	buffer_store_dword v25, off, s[0:3], s32 offset:460 ; 4-byte Folded Spill
.LBB208_24:                             ;   in Loop: Header=BB208_15 Depth=1
	s_or_b32 exec_lo, exec_lo, s20
.LBB208_25:                             ;   in Loop: Header=BB208_15 Depth=1
	s_or_b32 exec_lo, exec_lo, s19
.LBB208_26:                             ;   in Loop: Header=BB208_15 Depth=1
	s_or_b32 exec_lo, exec_lo, s18
	v_cmp_ne_u16_sdwa s5, v0, v25 src0_sel:BYTE_1 src1_sel:DWORD
	s_and_saveexec_b32 s18, s5
	s_cbranch_execz .LBB208_34
; %bb.27:                               ;   in Loop: Header=BB208_15 Depth=1
	v_mov_b32_e32 v110, v25
	v_mov_b32_e32 v1, 0x80
	;; [unrolled: 1-line block ×4, first 2 shown]
	v_cmp_ne_u16_sdwa s5, v0, v1 src0_sel:BYTE_1 src1_sel:DWORD
	s_and_saveexec_b32 s19, s5
	s_cbranch_execz .LBB208_33
; %bb.28:                               ;   in Loop: Header=BB208_15 Depth=1
	v_mov_b32_e32 v1, 0xffff
	v_mov_b32_e32 v106, v25
	;; [unrolled: 1-line block ×3, first 2 shown]
	s_mov_b32 s20, exec_lo
	v_and_b32_sdwa v1, v1, v0 dst_sel:DWORD dst_unused:UNUSED_PAD src0_sel:DWORD src1_sel:BYTE_1
	v_mov_b32_e32 v126, v106
	v_and_b32_e32 v2, 0x7f, v1
	v_cmpx_ne_u32_e32 0x7f, v2
	s_cbranch_execz .LBB208_32
; %bb.29:                               ;   in Loop: Header=BB208_15 Depth=1
	v_and_b32_e32 v24, 7, v1
	v_lshrrev_b32_e32 v1, 3, v2
	s_mov_b32 s21, exec_lo
	v_cmpx_gt_u32_e32 8, v2
; %bb.30:                               ;   in Loop: Header=BB208_15 Depth=1
	v_ffbh_u32_e32 v1, v24
	v_min_u32_e32 v1, 32, v1
	v_subrev_nc_u32_e32 v2, 28, v1
	v_sub_nc_u32_e32 v1, 29, v1
	v_lshlrev_b64 v[2:3], v2, v[24:25]
	v_and_b32_e32 v24, 7, v2
; %bb.31:                               ;   in Loop: Header=BB208_15 Depth=1
	s_or_b32 exec_lo, exec_lo, s21
	v_lshlrev_b32_e32 v2, 16, v0
	v_lshlrev_b32_e32 v3, 20, v24
	v_lshl_add_u32 v1, v1, 23, 0x3c000000
	v_mov_b32_e32 v126, v25
	v_and_b32_e32 v2, 0x80000000, v2
	v_or3_b32 v127, v3, v2, v1
.LBB208_32:                             ;   in Loop: Header=BB208_15 Depth=1
	s_or_b32 exec_lo, exec_lo, s20
.LBB208_33:                             ;   in Loop: Header=BB208_15 Depth=1
	s_or_b32 exec_lo, exec_lo, s19
.LBB208_34:                             ;   in Loop: Header=BB208_15 Depth=1
	s_or_b32 exec_lo, exec_lo, s18
	v_mov_b32_e32 v2, 0
	v_mov_b32_e32 v3, 0
	v_and_b32_sdwa v1, v0, v6 dst_sel:DWORD dst_unused:UNUSED_PAD src0_sel:WORD_1 src1_sel:DWORD
	s_mov_b32 s18, exec_lo
	buffer_store_dword v2, off, s[0:3], s32 offset:232 ; 4-byte Folded Spill
	buffer_store_dword v3, off, s[0:3], s32 offset:236 ; 4-byte Folded Spill
	v_mov_b32_e32 v2, 0
	v_mov_b32_e32 v3, 0
	buffer_store_dword v2, off, s[0:3], s32 offset:240 ; 4-byte Folded Spill
	buffer_store_dword v3, off, s[0:3], s32 offset:244 ; 4-byte Folded Spill
	v_cmpx_ne_u16_e32 0, v1
	s_cbranch_execz .LBB208_42
; %bb.35:                               ;   in Loop: Header=BB208_15 Depth=1
	v_cmp_ne_u16_e64 s5, 0x80, v1
	v_bfrev_b32_e32 v1, 1
	v_mov_b32_e32 v2, 0
	buffer_store_dword v1, off, s[0:3], s32 offset:240 ; 4-byte Folded Spill
	buffer_store_dword v2, off, s[0:3], s32 offset:244 ; 4-byte Folded Spill
	s_and_saveexec_b32 s19, s5
	s_cbranch_execz .LBB208_41
; %bb.36:                               ;   in Loop: Header=BB208_15 Depth=1
	v_mov_b32_e32 v3, 0x7f800001
	v_bfe_u32 v2, v0, 16, 7
	v_mov_b32_e32 v4, 0
	s_mov_b32 s20, exec_lo
	buffer_store_dword v3, off, s[0:3], s32 offset:240 ; 4-byte Folded Spill
	buffer_store_dword v4, off, s[0:3], s32 offset:244 ; 4-byte Folded Spill
	v_cmpx_ne_u32_e32 0x7f, v2
	s_cbranch_execz .LBB208_40
; %bb.37:                               ;   in Loop: Header=BB208_15 Depth=1
	v_mov_b32_e32 v1, 7
	s_mov_b32 s21, exec_lo
	v_and_b32_sdwa v24, v0, v1 dst_sel:DWORD dst_unused:UNUSED_PAD src0_sel:WORD_1 src1_sel:DWORD
	v_lshrrev_b32_e32 v1, 3, v2
	v_cmpx_gt_u32_e32 8, v2
; %bb.38:                               ;   in Loop: Header=BB208_15 Depth=1
	v_ffbh_u32_e32 v1, v24
	v_min_u32_e32 v1, 32, v1
	v_subrev_nc_u32_e32 v2, 28, v1
	v_sub_nc_u32_e32 v1, 29, v1
	v_lshlrev_b64 v[2:3], v2, v[24:25]
	v_and_b32_e32 v24, 7, v2
; %bb.39:                               ;   in Loop: Header=BB208_15 Depth=1
	s_or_b32 exec_lo, exec_lo, s21
	v_mov_b32_e32 v2, 24
	v_lshlrev_b32_e32 v3, 20, v24
	v_lshl_add_u32 v1, v1, 23, 0x3c000000
	v_lshlrev_b32_sdwa v2, v2, v0 dst_sel:DWORD dst_unused:UNUSED_PAD src0_sel:DWORD src1_sel:WORD_1
	v_and_b32_e32 v2, 0x80000000, v2
	v_or3_b32 v24, v3, v2, v1
	buffer_store_dword v24, off, s[0:3], s32 offset:240 ; 4-byte Folded Spill
	buffer_store_dword v25, off, s[0:3], s32 offset:244 ; 4-byte Folded Spill
.LBB208_40:                             ;   in Loop: Header=BB208_15 Depth=1
	s_or_b32 exec_lo, exec_lo, s20
.LBB208_41:                             ;   in Loop: Header=BB208_15 Depth=1
	s_or_b32 exec_lo, exec_lo, s19
.LBB208_42:                             ;   in Loop: Header=BB208_15 Depth=1
	s_or_b32 exec_lo, exec_lo, s18
	s_mov_b32 s18, exec_lo
	v_cmpx_lt_u32_e32 0xffffff, v0
	s_cbranch_execz .LBB208_50
; %bb.43:                               ;   in Loop: Header=BB208_15 Depth=1
	v_mov_b32_e32 v1, 0x80
	v_mov_b32_e32 v110, v25
	buffer_store_dword v110, off, s[0:3], s32 offset:232 ; 4-byte Folded Spill
	buffer_store_dword v111, off, s[0:3], s32 offset:236 ; 4-byte Folded Spill
	v_cmp_ne_u32_sdwa s5, v0, v1 src0_sel:BYTE_3 src1_sel:DWORD
	s_and_saveexec_b32 s19, s5
	s_cbranch_execz .LBB208_49
; %bb.44:                               ;   in Loop: Header=BB208_15 Depth=1
	v_bfe_u32 v2, v0, 24, 7
	v_mov_b32_e32 v106, v25
	s_mov_b32 s20, exec_lo
	buffer_store_dword v106, off, s[0:3], s32 offset:232 ; 4-byte Folded Spill
	buffer_store_dword v107, off, s[0:3], s32 offset:236 ; 4-byte Folded Spill
	v_cmpx_ne_u32_e32 0x7f, v2
	s_cbranch_execz .LBB208_48
; %bb.45:                               ;   in Loop: Header=BB208_15 Depth=1
	v_mov_b32_e32 v1, 7
	s_mov_b32 s21, exec_lo
	v_and_b32_sdwa v24, v0, v1 dst_sel:DWORD dst_unused:UNUSED_PAD src0_sel:BYTE_3 src1_sel:DWORD
	v_lshrrev_b32_e32 v1, 3, v2
	v_cmpx_gt_u32_e32 8, v2
; %bb.46:                               ;   in Loop: Header=BB208_15 Depth=1
	v_ffbh_u32_e32 v1, v24
	v_min_u32_e32 v1, 32, v1
	v_subrev_nc_u32_e32 v2, 28, v1
	v_sub_nc_u32_e32 v1, 29, v1
	v_lshlrev_b64 v[2:3], v2, v[24:25]
	v_and_b32_e32 v24, 7, v2
; %bb.47:                               ;   in Loop: Header=BB208_15 Depth=1
	s_or_b32 exec_lo, exec_lo, s21
	v_mov_b32_e32 v2, 24
	v_lshl_add_u32 v1, v1, 23, 0x3c000000
	v_lshlrev_b32_sdwa v0, v2, v0 dst_sel:DWORD dst_unused:UNUSED_PAD src0_sel:DWORD src1_sel:BYTE_3
	v_lshlrev_b32_e32 v2, 20, v24
	v_and_b32_e32 v0, 0x80000000, v0
	v_or3_b32 v1, v2, v0, v1
	v_mov_b32_e32 v0, v25
	buffer_store_dword v0, off, s[0:3], s32 offset:232 ; 4-byte Folded Spill
	buffer_store_dword v1, off, s[0:3], s32 offset:236 ; 4-byte Folded Spill
.LBB208_48:                             ;   in Loop: Header=BB208_15 Depth=1
	s_or_b32 exec_lo, exec_lo, s20
.LBB208_49:                             ;   in Loop: Header=BB208_15 Depth=1
	s_or_b32 exec_lo, exec_lo, s19
.LBB208_50:                             ;   in Loop: Header=BB208_15 Depth=1
	s_or_b32 exec_lo, exec_lo, s18
	flat_load_dword v0, v[108:109] offset:4
	v_mov_b32_e32 v1, 0
	v_mov_b32_e32 v2, 0
	buffer_store_dword v1, off, s[0:3], s32 offset:256 ; 4-byte Folded Spill
	buffer_store_dword v2, off, s[0:3], s32 offset:260 ; 4-byte Folded Spill
	v_mov_b32_e32 v1, 0
	v_mov_b32_e32 v2, 0
	buffer_store_dword v1, off, s[0:3], s32 offset:248 ; 4-byte Folded Spill
	buffer_store_dword v2, off, s[0:3], s32 offset:252 ; 4-byte Folded Spill
	s_waitcnt vmcnt(0) lgkmcnt(0)
	v_cmp_ne_u16_sdwa s5, v0, v25 src0_sel:BYTE_0 src1_sel:DWORD
	s_and_saveexec_b32 s18, s5
	s_cbranch_execz .LBB208_58
; %bb.51:                               ;   in Loop: Header=BB208_15 Depth=1
	v_bfrev_b32_e32 v1, 1
	v_mov_b32_e32 v2, 0
	buffer_store_dword v1, off, s[0:3], s32 offset:248 ; 4-byte Folded Spill
	buffer_store_dword v2, off, s[0:3], s32 offset:252 ; 4-byte Folded Spill
	v_mov_b32_e32 v1, 0x80
	v_cmp_ne_u16_sdwa s5, v0, v1 src0_sel:BYTE_0 src1_sel:DWORD
	s_and_saveexec_b32 s19, s5
	s_cbranch_execz .LBB208_57
; %bb.52:                               ;   in Loop: Header=BB208_15 Depth=1
	v_mov_b32_e32 v3, 0x7f800001
	v_and_b32_e32 v2, 0x7f, v0
	v_mov_b32_e32 v4, 0
	s_mov_b32 s20, exec_lo
	buffer_store_dword v3, off, s[0:3], s32 offset:248 ; 4-byte Folded Spill
	buffer_store_dword v4, off, s[0:3], s32 offset:252 ; 4-byte Folded Spill
	v_cmpx_ne_u32_e32 0x7f, v2
	s_cbranch_execz .LBB208_56
; %bb.53:                               ;   in Loop: Header=BB208_15 Depth=1
	v_and_b32_e32 v24, 7, v0
	v_lshrrev_b32_e32 v1, 3, v2
	s_mov_b32 s21, exec_lo
	v_cmpx_gt_u32_e32 8, v2
; %bb.54:                               ;   in Loop: Header=BB208_15 Depth=1
	v_ffbh_u32_e32 v1, v24
	v_min_u32_e32 v1, 32, v1
	v_subrev_nc_u32_e32 v2, 28, v1
	v_sub_nc_u32_e32 v1, 29, v1
	v_lshlrev_b64 v[2:3], v2, v[24:25]
	v_and_b32_e32 v24, 7, v2
; %bb.55:                               ;   in Loop: Header=BB208_15 Depth=1
	s_or_b32 exec_lo, exec_lo, s21
	v_lshlrev_b32_e32 v2, 24, v0
	v_lshlrev_b32_e32 v3, 20, v24
	v_lshl_add_u32 v1, v1, 23, 0x3c000000
	v_and_b32_e32 v2, 0x80000000, v2
	v_or3_b32 v24, v3, v2, v1
	buffer_store_dword v24, off, s[0:3], s32 offset:248 ; 4-byte Folded Spill
	buffer_store_dword v25, off, s[0:3], s32 offset:252 ; 4-byte Folded Spill
.LBB208_56:                             ;   in Loop: Header=BB208_15 Depth=1
	s_or_b32 exec_lo, exec_lo, s20
.LBB208_57:                             ;   in Loop: Header=BB208_15 Depth=1
	s_or_b32 exec_lo, exec_lo, s19
.LBB208_58:                             ;   in Loop: Header=BB208_15 Depth=1
	s_or_b32 exec_lo, exec_lo, s18
	v_cmp_ne_u16_sdwa s5, v0, v25 src0_sel:BYTE_1 src1_sel:DWORD
	s_and_saveexec_b32 s18, s5
	s_cbranch_execz .LBB208_66
; %bb.59:                               ;   in Loop: Header=BB208_15 Depth=1
	v_mov_b32_e32 v1, 0x80
	v_mov_b32_e32 v110, v25
	buffer_store_dword v110, off, s[0:3], s32 offset:256 ; 4-byte Folded Spill
	buffer_store_dword v111, off, s[0:3], s32 offset:260 ; 4-byte Folded Spill
	v_cmp_ne_u16_sdwa s5, v0, v1 src0_sel:BYTE_1 src1_sel:DWORD
	s_and_saveexec_b32 s19, s5
	s_cbranch_execz .LBB208_65
; %bb.60:                               ;   in Loop: Header=BB208_15 Depth=1
	v_mov_b32_e32 v1, 0xffff
	v_mov_b32_e32 v106, v25
	s_mov_b32 s20, exec_lo
	buffer_store_dword v106, off, s[0:3], s32 offset:256 ; 4-byte Folded Spill
	buffer_store_dword v107, off, s[0:3], s32 offset:260 ; 4-byte Folded Spill
	v_and_b32_sdwa v1, v1, v0 dst_sel:DWORD dst_unused:UNUSED_PAD src0_sel:DWORD src1_sel:BYTE_1
	v_and_b32_e32 v2, 0x7f, v1
	v_cmpx_ne_u32_e32 0x7f, v2
	s_cbranch_execz .LBB208_64
; %bb.61:                               ;   in Loop: Header=BB208_15 Depth=1
	v_and_b32_e32 v24, 7, v1
	v_lshrrev_b32_e32 v1, 3, v2
	s_mov_b32 s21, exec_lo
	v_cmpx_gt_u32_e32 8, v2
; %bb.62:                               ;   in Loop: Header=BB208_15 Depth=1
	v_ffbh_u32_e32 v1, v24
	v_min_u32_e32 v1, 32, v1
	v_subrev_nc_u32_e32 v2, 28, v1
	v_sub_nc_u32_e32 v1, 29, v1
	v_lshlrev_b64 v[2:3], v2, v[24:25]
	v_and_b32_e32 v24, 7, v2
; %bb.63:                               ;   in Loop: Header=BB208_15 Depth=1
	s_or_b32 exec_lo, exec_lo, s21
	v_lshlrev_b32_e32 v2, 16, v0
	v_lshlrev_b32_e32 v3, 20, v24
	v_lshl_add_u32 v1, v1, 23, 0x3c000000
	v_and_b32_e32 v2, 0x80000000, v2
	v_or3_b32 v2, v3, v2, v1
	v_mov_b32_e32 v1, v25
	buffer_store_dword v1, off, s[0:3], s32 offset:256 ; 4-byte Folded Spill
	buffer_store_dword v2, off, s[0:3], s32 offset:260 ; 4-byte Folded Spill
.LBB208_64:                             ;   in Loop: Header=BB208_15 Depth=1
	s_or_b32 exec_lo, exec_lo, s20
.LBB208_65:                             ;   in Loop: Header=BB208_15 Depth=1
	s_or_b32 exec_lo, exec_lo, s19
.LBB208_66:                             ;   in Loop: Header=BB208_15 Depth=1
	s_or_b32 exec_lo, exec_lo, s18
	v_mov_b32_e32 v2, 0
	v_mov_b32_e32 v3, 0
	v_and_b32_sdwa v1, v0, v6 dst_sel:DWORD dst_unused:UNUSED_PAD src0_sel:WORD_1 src1_sel:DWORD
	s_mov_b32 s18, exec_lo
	buffer_store_dword v2, off, s[0:3], s32 offset:264 ; 4-byte Folded Spill
	buffer_store_dword v3, off, s[0:3], s32 offset:268 ; 4-byte Folded Spill
	v_mov_b32_e32 v2, 0
	v_mov_b32_e32 v3, 0
	buffer_store_dword v2, off, s[0:3], s32 offset:272 ; 4-byte Folded Spill
	buffer_store_dword v3, off, s[0:3], s32 offset:276 ; 4-byte Folded Spill
	v_cmpx_ne_u16_e32 0, v1
	s_cbranch_execz .LBB208_74
; %bb.67:                               ;   in Loop: Header=BB208_15 Depth=1
	v_cmp_ne_u16_e64 s5, 0x80, v1
	v_bfrev_b32_e32 v1, 1
	v_mov_b32_e32 v2, 0
	buffer_store_dword v1, off, s[0:3], s32 offset:272 ; 4-byte Folded Spill
	buffer_store_dword v2, off, s[0:3], s32 offset:276 ; 4-byte Folded Spill
	s_and_saveexec_b32 s19, s5
	s_cbranch_execz .LBB208_73
; %bb.68:                               ;   in Loop: Header=BB208_15 Depth=1
	v_mov_b32_e32 v3, 0x7f800001
	v_bfe_u32 v2, v0, 16, 7
	v_mov_b32_e32 v4, 0
	s_mov_b32 s20, exec_lo
	buffer_store_dword v3, off, s[0:3], s32 offset:272 ; 4-byte Folded Spill
	buffer_store_dword v4, off, s[0:3], s32 offset:276 ; 4-byte Folded Spill
	v_cmpx_ne_u32_e32 0x7f, v2
	s_cbranch_execz .LBB208_72
; %bb.69:                               ;   in Loop: Header=BB208_15 Depth=1
	v_mov_b32_e32 v1, 7
	s_mov_b32 s21, exec_lo
	v_and_b32_sdwa v24, v0, v1 dst_sel:DWORD dst_unused:UNUSED_PAD src0_sel:WORD_1 src1_sel:DWORD
	v_lshrrev_b32_e32 v1, 3, v2
	v_cmpx_gt_u32_e32 8, v2
; %bb.70:                               ;   in Loop: Header=BB208_15 Depth=1
	v_ffbh_u32_e32 v1, v24
	v_min_u32_e32 v1, 32, v1
	v_subrev_nc_u32_e32 v2, 28, v1
	v_sub_nc_u32_e32 v1, 29, v1
	v_lshlrev_b64 v[2:3], v2, v[24:25]
	v_and_b32_e32 v24, 7, v2
; %bb.71:                               ;   in Loop: Header=BB208_15 Depth=1
	s_or_b32 exec_lo, exec_lo, s21
	v_mov_b32_e32 v2, 24
	v_lshlrev_b32_e32 v3, 20, v24
	v_lshl_add_u32 v1, v1, 23, 0x3c000000
	v_lshlrev_b32_sdwa v2, v2, v0 dst_sel:DWORD dst_unused:UNUSED_PAD src0_sel:DWORD src1_sel:WORD_1
	v_and_b32_e32 v2, 0x80000000, v2
	v_or3_b32 v24, v3, v2, v1
	buffer_store_dword v24, off, s[0:3], s32 offset:272 ; 4-byte Folded Spill
	buffer_store_dword v25, off, s[0:3], s32 offset:276 ; 4-byte Folded Spill
.LBB208_72:                             ;   in Loop: Header=BB208_15 Depth=1
	s_or_b32 exec_lo, exec_lo, s20
.LBB208_73:                             ;   in Loop: Header=BB208_15 Depth=1
	s_or_b32 exec_lo, exec_lo, s19
.LBB208_74:                             ;   in Loop: Header=BB208_15 Depth=1
	s_or_b32 exec_lo, exec_lo, s18
	s_mov_b32 s18, exec_lo
	v_cmpx_lt_u32_e32 0xffffff, v0
	s_cbranch_execz .LBB208_82
; %bb.75:                               ;   in Loop: Header=BB208_15 Depth=1
	v_mov_b32_e32 v1, 0x80
	v_mov_b32_e32 v110, v25
	buffer_store_dword v110, off, s[0:3], s32 offset:264 ; 4-byte Folded Spill
	buffer_store_dword v111, off, s[0:3], s32 offset:268 ; 4-byte Folded Spill
	v_cmp_ne_u32_sdwa s5, v0, v1 src0_sel:BYTE_3 src1_sel:DWORD
	s_and_saveexec_b32 s19, s5
	s_cbranch_execz .LBB208_81
; %bb.76:                               ;   in Loop: Header=BB208_15 Depth=1
	v_bfe_u32 v2, v0, 24, 7
	v_mov_b32_e32 v106, v25
	s_mov_b32 s20, exec_lo
	buffer_store_dword v106, off, s[0:3], s32 offset:264 ; 4-byte Folded Spill
	buffer_store_dword v107, off, s[0:3], s32 offset:268 ; 4-byte Folded Spill
	v_cmpx_ne_u32_e32 0x7f, v2
	s_cbranch_execz .LBB208_80
; %bb.77:                               ;   in Loop: Header=BB208_15 Depth=1
	v_mov_b32_e32 v1, 7
	s_mov_b32 s21, exec_lo
	v_and_b32_sdwa v24, v0, v1 dst_sel:DWORD dst_unused:UNUSED_PAD src0_sel:BYTE_3 src1_sel:DWORD
	v_lshrrev_b32_e32 v1, 3, v2
	v_cmpx_gt_u32_e32 8, v2
; %bb.78:                               ;   in Loop: Header=BB208_15 Depth=1
	v_ffbh_u32_e32 v1, v24
	v_min_u32_e32 v1, 32, v1
	v_subrev_nc_u32_e32 v2, 28, v1
	v_sub_nc_u32_e32 v1, 29, v1
	v_lshlrev_b64 v[2:3], v2, v[24:25]
	v_and_b32_e32 v24, 7, v2
; %bb.79:                               ;   in Loop: Header=BB208_15 Depth=1
	s_or_b32 exec_lo, exec_lo, s21
	v_mov_b32_e32 v2, 24
	v_lshl_add_u32 v1, v1, 23, 0x3c000000
	v_lshlrev_b32_sdwa v0, v2, v0 dst_sel:DWORD dst_unused:UNUSED_PAD src0_sel:DWORD src1_sel:BYTE_3
	v_lshlrev_b32_e32 v2, 20, v24
	v_and_b32_e32 v0, 0x80000000, v0
	v_or3_b32 v1, v2, v0, v1
	v_mov_b32_e32 v0, v25
	buffer_store_dword v0, off, s[0:3], s32 offset:264 ; 4-byte Folded Spill
	buffer_store_dword v1, off, s[0:3], s32 offset:268 ; 4-byte Folded Spill
.LBB208_80:                             ;   in Loop: Header=BB208_15 Depth=1
	s_or_b32 exec_lo, exec_lo, s20
.LBB208_81:                             ;   in Loop: Header=BB208_15 Depth=1
	s_or_b32 exec_lo, exec_lo, s19
.LBB208_82:                             ;   in Loop: Header=BB208_15 Depth=1
	s_or_b32 exec_lo, exec_lo, s18
	flat_load_dword v0, v[108:109] offset:8
	v_mov_b32_e32 v1, 0
	v_mov_b32_e32 v2, 0
	buffer_store_dword v1, off, s[0:3], s32 offset:288 ; 4-byte Folded Spill
	buffer_store_dword v2, off, s[0:3], s32 offset:292 ; 4-byte Folded Spill
	v_mov_b32_e32 v1, 0
	v_mov_b32_e32 v2, 0
	buffer_store_dword v1, off, s[0:3], s32 offset:280 ; 4-byte Folded Spill
	buffer_store_dword v2, off, s[0:3], s32 offset:284 ; 4-byte Folded Spill
	s_waitcnt vmcnt(0) lgkmcnt(0)
	v_cmp_ne_u16_sdwa s5, v0, v25 src0_sel:BYTE_0 src1_sel:DWORD
	s_and_saveexec_b32 s18, s5
	s_cbranch_execz .LBB208_90
; %bb.83:                               ;   in Loop: Header=BB208_15 Depth=1
	v_bfrev_b32_e32 v1, 1
	v_mov_b32_e32 v2, 0
	buffer_store_dword v1, off, s[0:3], s32 offset:280 ; 4-byte Folded Spill
	buffer_store_dword v2, off, s[0:3], s32 offset:284 ; 4-byte Folded Spill
	v_mov_b32_e32 v1, 0x80
	v_cmp_ne_u16_sdwa s5, v0, v1 src0_sel:BYTE_0 src1_sel:DWORD
	s_and_saveexec_b32 s19, s5
	s_cbranch_execz .LBB208_89
; %bb.84:                               ;   in Loop: Header=BB208_15 Depth=1
	v_mov_b32_e32 v3, 0x7f800001
	v_and_b32_e32 v2, 0x7f, v0
	v_mov_b32_e32 v4, 0
	s_mov_b32 s20, exec_lo
	buffer_store_dword v3, off, s[0:3], s32 offset:280 ; 4-byte Folded Spill
	buffer_store_dword v4, off, s[0:3], s32 offset:284 ; 4-byte Folded Spill
	v_cmpx_ne_u32_e32 0x7f, v2
	s_cbranch_execz .LBB208_88
; %bb.85:                               ;   in Loop: Header=BB208_15 Depth=1
	v_and_b32_e32 v24, 7, v0
	v_lshrrev_b32_e32 v1, 3, v2
	s_mov_b32 s21, exec_lo
	v_cmpx_gt_u32_e32 8, v2
; %bb.86:                               ;   in Loop: Header=BB208_15 Depth=1
	v_ffbh_u32_e32 v1, v24
	v_min_u32_e32 v1, 32, v1
	v_subrev_nc_u32_e32 v2, 28, v1
	v_sub_nc_u32_e32 v1, 29, v1
	v_lshlrev_b64 v[2:3], v2, v[24:25]
	v_and_b32_e32 v24, 7, v2
; %bb.87:                               ;   in Loop: Header=BB208_15 Depth=1
	s_or_b32 exec_lo, exec_lo, s21
	v_lshlrev_b32_e32 v2, 24, v0
	v_lshlrev_b32_e32 v3, 20, v24
	v_lshl_add_u32 v1, v1, 23, 0x3c000000
	v_and_b32_e32 v2, 0x80000000, v2
	v_or3_b32 v24, v3, v2, v1
	buffer_store_dword v24, off, s[0:3], s32 offset:280 ; 4-byte Folded Spill
	buffer_store_dword v25, off, s[0:3], s32 offset:284 ; 4-byte Folded Spill
.LBB208_88:                             ;   in Loop: Header=BB208_15 Depth=1
	s_or_b32 exec_lo, exec_lo, s20
.LBB208_89:                             ;   in Loop: Header=BB208_15 Depth=1
	s_or_b32 exec_lo, exec_lo, s19
.LBB208_90:                             ;   in Loop: Header=BB208_15 Depth=1
	s_or_b32 exec_lo, exec_lo, s18
	v_cmp_ne_u16_sdwa s5, v0, v25 src0_sel:BYTE_1 src1_sel:DWORD
	s_and_saveexec_b32 s18, s5
	s_cbranch_execz .LBB208_98
; %bb.91:                               ;   in Loop: Header=BB208_15 Depth=1
	v_mov_b32_e32 v1, 0x80
	v_mov_b32_e32 v110, v25
	buffer_store_dword v110, off, s[0:3], s32 offset:288 ; 4-byte Folded Spill
	buffer_store_dword v111, off, s[0:3], s32 offset:292 ; 4-byte Folded Spill
	v_cmp_ne_u16_sdwa s5, v0, v1 src0_sel:BYTE_1 src1_sel:DWORD
	s_and_saveexec_b32 s19, s5
	s_cbranch_execz .LBB208_97
; %bb.92:                               ;   in Loop: Header=BB208_15 Depth=1
	v_mov_b32_e32 v1, 0xffff
	v_mov_b32_e32 v106, v25
	s_mov_b32 s20, exec_lo
	buffer_store_dword v106, off, s[0:3], s32 offset:288 ; 4-byte Folded Spill
	buffer_store_dword v107, off, s[0:3], s32 offset:292 ; 4-byte Folded Spill
	v_and_b32_sdwa v1, v1, v0 dst_sel:DWORD dst_unused:UNUSED_PAD src0_sel:DWORD src1_sel:BYTE_1
	v_and_b32_e32 v2, 0x7f, v1
	v_cmpx_ne_u32_e32 0x7f, v2
	s_cbranch_execz .LBB208_96
; %bb.93:                               ;   in Loop: Header=BB208_15 Depth=1
	v_and_b32_e32 v24, 7, v1
	v_lshrrev_b32_e32 v1, 3, v2
	s_mov_b32 s21, exec_lo
	v_cmpx_gt_u32_e32 8, v2
; %bb.94:                               ;   in Loop: Header=BB208_15 Depth=1
	v_ffbh_u32_e32 v1, v24
	v_min_u32_e32 v1, 32, v1
	v_subrev_nc_u32_e32 v2, 28, v1
	v_sub_nc_u32_e32 v1, 29, v1
	v_lshlrev_b64 v[2:3], v2, v[24:25]
	v_and_b32_e32 v24, 7, v2
; %bb.95:                               ;   in Loop: Header=BB208_15 Depth=1
	s_or_b32 exec_lo, exec_lo, s21
	v_lshlrev_b32_e32 v2, 16, v0
	v_lshlrev_b32_e32 v3, 20, v24
	v_lshl_add_u32 v1, v1, 23, 0x3c000000
	v_and_b32_e32 v2, 0x80000000, v2
	v_or3_b32 v2, v3, v2, v1
	v_mov_b32_e32 v1, v25
	buffer_store_dword v1, off, s[0:3], s32 offset:288 ; 4-byte Folded Spill
	buffer_store_dword v2, off, s[0:3], s32 offset:292 ; 4-byte Folded Spill
.LBB208_96:                             ;   in Loop: Header=BB208_15 Depth=1
	s_or_b32 exec_lo, exec_lo, s20
.LBB208_97:                             ;   in Loop: Header=BB208_15 Depth=1
	s_or_b32 exec_lo, exec_lo, s19
.LBB208_98:                             ;   in Loop: Header=BB208_15 Depth=1
	s_or_b32 exec_lo, exec_lo, s18
	v_mov_b32_e32 v2, 0
	v_mov_b32_e32 v3, 0
	v_and_b32_sdwa v1, v0, v6 dst_sel:DWORD dst_unused:UNUSED_PAD src0_sel:WORD_1 src1_sel:DWORD
	s_mov_b32 s18, exec_lo
	buffer_store_dword v2, off, s[0:3], s32 offset:296 ; 4-byte Folded Spill
	buffer_store_dword v3, off, s[0:3], s32 offset:300 ; 4-byte Folded Spill
	v_mov_b32_e32 v2, 0
	v_mov_b32_e32 v3, 0
	buffer_store_dword v2, off, s[0:3], s32 offset:304 ; 4-byte Folded Spill
	buffer_store_dword v3, off, s[0:3], s32 offset:308 ; 4-byte Folded Spill
	v_cmpx_ne_u16_e32 0, v1
	s_cbranch_execz .LBB208_106
; %bb.99:                               ;   in Loop: Header=BB208_15 Depth=1
	v_cmp_ne_u16_e64 s5, 0x80, v1
	v_bfrev_b32_e32 v1, 1
	v_mov_b32_e32 v2, 0
	buffer_store_dword v1, off, s[0:3], s32 offset:304 ; 4-byte Folded Spill
	buffer_store_dword v2, off, s[0:3], s32 offset:308 ; 4-byte Folded Spill
	s_and_saveexec_b32 s19, s5
	s_cbranch_execz .LBB208_105
; %bb.100:                              ;   in Loop: Header=BB208_15 Depth=1
	v_mov_b32_e32 v3, 0x7f800001
	v_bfe_u32 v2, v0, 16, 7
	v_mov_b32_e32 v4, 0
	s_mov_b32 s20, exec_lo
	buffer_store_dword v3, off, s[0:3], s32 offset:304 ; 4-byte Folded Spill
	buffer_store_dword v4, off, s[0:3], s32 offset:308 ; 4-byte Folded Spill
	v_cmpx_ne_u32_e32 0x7f, v2
	s_cbranch_execz .LBB208_104
; %bb.101:                              ;   in Loop: Header=BB208_15 Depth=1
	v_mov_b32_e32 v1, 7
	s_mov_b32 s21, exec_lo
	v_and_b32_sdwa v24, v0, v1 dst_sel:DWORD dst_unused:UNUSED_PAD src0_sel:WORD_1 src1_sel:DWORD
	v_lshrrev_b32_e32 v1, 3, v2
	v_cmpx_gt_u32_e32 8, v2
; %bb.102:                              ;   in Loop: Header=BB208_15 Depth=1
	v_ffbh_u32_e32 v1, v24
	v_min_u32_e32 v1, 32, v1
	v_subrev_nc_u32_e32 v2, 28, v1
	v_sub_nc_u32_e32 v1, 29, v1
	v_lshlrev_b64 v[2:3], v2, v[24:25]
	v_and_b32_e32 v24, 7, v2
; %bb.103:                              ;   in Loop: Header=BB208_15 Depth=1
	s_or_b32 exec_lo, exec_lo, s21
	v_mov_b32_e32 v2, 24
	v_lshlrev_b32_e32 v3, 20, v24
	v_lshl_add_u32 v1, v1, 23, 0x3c000000
	v_lshlrev_b32_sdwa v2, v2, v0 dst_sel:DWORD dst_unused:UNUSED_PAD src0_sel:DWORD src1_sel:WORD_1
	v_and_b32_e32 v2, 0x80000000, v2
	v_or3_b32 v24, v3, v2, v1
	buffer_store_dword v24, off, s[0:3], s32 offset:304 ; 4-byte Folded Spill
	buffer_store_dword v25, off, s[0:3], s32 offset:308 ; 4-byte Folded Spill
.LBB208_104:                            ;   in Loop: Header=BB208_15 Depth=1
	s_or_b32 exec_lo, exec_lo, s20
.LBB208_105:                            ;   in Loop: Header=BB208_15 Depth=1
	s_or_b32 exec_lo, exec_lo, s19
.LBB208_106:                            ;   in Loop: Header=BB208_15 Depth=1
	s_or_b32 exec_lo, exec_lo, s18
	s_mov_b32 s18, exec_lo
	v_cmpx_lt_u32_e32 0xffffff, v0
	s_cbranch_execz .LBB208_114
; %bb.107:                              ;   in Loop: Header=BB208_15 Depth=1
	v_mov_b32_e32 v1, 0x80
	v_mov_b32_e32 v110, v25
	buffer_store_dword v110, off, s[0:3], s32 offset:296 ; 4-byte Folded Spill
	buffer_store_dword v111, off, s[0:3], s32 offset:300 ; 4-byte Folded Spill
	v_cmp_ne_u32_sdwa s5, v0, v1 src0_sel:BYTE_3 src1_sel:DWORD
	s_and_saveexec_b32 s19, s5
	s_cbranch_execz .LBB208_113
; %bb.108:                              ;   in Loop: Header=BB208_15 Depth=1
	v_bfe_u32 v2, v0, 24, 7
	v_mov_b32_e32 v106, v25
	s_mov_b32 s20, exec_lo
	buffer_store_dword v106, off, s[0:3], s32 offset:296 ; 4-byte Folded Spill
	buffer_store_dword v107, off, s[0:3], s32 offset:300 ; 4-byte Folded Spill
	v_cmpx_ne_u32_e32 0x7f, v2
	s_cbranch_execz .LBB208_112
; %bb.109:                              ;   in Loop: Header=BB208_15 Depth=1
	v_mov_b32_e32 v1, 7
	s_mov_b32 s21, exec_lo
	v_and_b32_sdwa v24, v0, v1 dst_sel:DWORD dst_unused:UNUSED_PAD src0_sel:BYTE_3 src1_sel:DWORD
	v_lshrrev_b32_e32 v1, 3, v2
	v_cmpx_gt_u32_e32 8, v2
; %bb.110:                              ;   in Loop: Header=BB208_15 Depth=1
	v_ffbh_u32_e32 v1, v24
	v_min_u32_e32 v1, 32, v1
	v_subrev_nc_u32_e32 v2, 28, v1
	v_sub_nc_u32_e32 v1, 29, v1
	v_lshlrev_b64 v[2:3], v2, v[24:25]
	v_and_b32_e32 v24, 7, v2
; %bb.111:                              ;   in Loop: Header=BB208_15 Depth=1
	s_or_b32 exec_lo, exec_lo, s21
	v_mov_b32_e32 v2, 24
	v_lshl_add_u32 v1, v1, 23, 0x3c000000
	v_lshlrev_b32_sdwa v0, v2, v0 dst_sel:DWORD dst_unused:UNUSED_PAD src0_sel:DWORD src1_sel:BYTE_3
	v_lshlrev_b32_e32 v2, 20, v24
	v_and_b32_e32 v0, 0x80000000, v0
	v_or3_b32 v1, v2, v0, v1
	v_mov_b32_e32 v0, v25
	buffer_store_dword v0, off, s[0:3], s32 offset:296 ; 4-byte Folded Spill
	buffer_store_dword v1, off, s[0:3], s32 offset:300 ; 4-byte Folded Spill
.LBB208_112:                            ;   in Loop: Header=BB208_15 Depth=1
	s_or_b32 exec_lo, exec_lo, s20
.LBB208_113:                            ;   in Loop: Header=BB208_15 Depth=1
	s_or_b32 exec_lo, exec_lo, s19
.LBB208_114:                            ;   in Loop: Header=BB208_15 Depth=1
	s_or_b32 exec_lo, exec_lo, s18
	flat_load_dword v0, v[108:109] offset:12
	v_mov_b32_e32 v1, 0
	v_mov_b32_e32 v2, 0
	buffer_store_dword v1, off, s[0:3], s32 offset:320 ; 4-byte Folded Spill
	buffer_store_dword v2, off, s[0:3], s32 offset:324 ; 4-byte Folded Spill
	v_mov_b32_e32 v1, 0
	v_mov_b32_e32 v2, 0
	buffer_store_dword v1, off, s[0:3], s32 offset:312 ; 4-byte Folded Spill
	buffer_store_dword v2, off, s[0:3], s32 offset:316 ; 4-byte Folded Spill
	s_waitcnt vmcnt(0) lgkmcnt(0)
	v_cmp_ne_u16_sdwa s5, v0, v25 src0_sel:BYTE_0 src1_sel:DWORD
	s_and_saveexec_b32 s18, s5
	s_cbranch_execz .LBB208_122
; %bb.115:                              ;   in Loop: Header=BB208_15 Depth=1
	v_bfrev_b32_e32 v1, 1
	v_mov_b32_e32 v2, 0
	buffer_store_dword v1, off, s[0:3], s32 offset:312 ; 4-byte Folded Spill
	buffer_store_dword v2, off, s[0:3], s32 offset:316 ; 4-byte Folded Spill
	v_mov_b32_e32 v1, 0x80
	v_cmp_ne_u16_sdwa s5, v0, v1 src0_sel:BYTE_0 src1_sel:DWORD
	s_and_saveexec_b32 s19, s5
	s_cbranch_execz .LBB208_121
; %bb.116:                              ;   in Loop: Header=BB208_15 Depth=1
	v_mov_b32_e32 v3, 0x7f800001
	v_and_b32_e32 v2, 0x7f, v0
	v_mov_b32_e32 v4, 0
	s_mov_b32 s20, exec_lo
	buffer_store_dword v3, off, s[0:3], s32 offset:312 ; 4-byte Folded Spill
	buffer_store_dword v4, off, s[0:3], s32 offset:316 ; 4-byte Folded Spill
	v_cmpx_ne_u32_e32 0x7f, v2
	s_cbranch_execz .LBB208_120
; %bb.117:                              ;   in Loop: Header=BB208_15 Depth=1
	v_and_b32_e32 v24, 7, v0
	v_lshrrev_b32_e32 v1, 3, v2
	s_mov_b32 s21, exec_lo
	v_cmpx_gt_u32_e32 8, v2
; %bb.118:                              ;   in Loop: Header=BB208_15 Depth=1
	v_ffbh_u32_e32 v1, v24
	v_min_u32_e32 v1, 32, v1
	v_subrev_nc_u32_e32 v2, 28, v1
	v_sub_nc_u32_e32 v1, 29, v1
	v_lshlrev_b64 v[2:3], v2, v[24:25]
	v_and_b32_e32 v24, 7, v2
; %bb.119:                              ;   in Loop: Header=BB208_15 Depth=1
	s_or_b32 exec_lo, exec_lo, s21
	v_lshlrev_b32_e32 v2, 24, v0
	v_lshlrev_b32_e32 v3, 20, v24
	v_lshl_add_u32 v1, v1, 23, 0x3c000000
	v_and_b32_e32 v2, 0x80000000, v2
	v_or3_b32 v24, v3, v2, v1
	buffer_store_dword v24, off, s[0:3], s32 offset:312 ; 4-byte Folded Spill
	buffer_store_dword v25, off, s[0:3], s32 offset:316 ; 4-byte Folded Spill
.LBB208_120:                            ;   in Loop: Header=BB208_15 Depth=1
	s_or_b32 exec_lo, exec_lo, s20
.LBB208_121:                            ;   in Loop: Header=BB208_15 Depth=1
	s_or_b32 exec_lo, exec_lo, s19
.LBB208_122:                            ;   in Loop: Header=BB208_15 Depth=1
	s_or_b32 exec_lo, exec_lo, s18
	v_cmp_ne_u16_sdwa s5, v0, v25 src0_sel:BYTE_1 src1_sel:DWORD
	s_and_saveexec_b32 s18, s5
	s_cbranch_execz .LBB208_130
; %bb.123:                              ;   in Loop: Header=BB208_15 Depth=1
	v_mov_b32_e32 v1, 0x80
	v_mov_b32_e32 v110, v25
	buffer_store_dword v110, off, s[0:3], s32 offset:320 ; 4-byte Folded Spill
	buffer_store_dword v111, off, s[0:3], s32 offset:324 ; 4-byte Folded Spill
	v_cmp_ne_u16_sdwa s5, v0, v1 src0_sel:BYTE_1 src1_sel:DWORD
	s_and_saveexec_b32 s19, s5
	s_cbranch_execz .LBB208_129
; %bb.124:                              ;   in Loop: Header=BB208_15 Depth=1
	v_mov_b32_e32 v1, 0xffff
	v_mov_b32_e32 v106, v25
	s_mov_b32 s20, exec_lo
	buffer_store_dword v106, off, s[0:3], s32 offset:320 ; 4-byte Folded Spill
	buffer_store_dword v107, off, s[0:3], s32 offset:324 ; 4-byte Folded Spill
	v_and_b32_sdwa v1, v1, v0 dst_sel:DWORD dst_unused:UNUSED_PAD src0_sel:DWORD src1_sel:BYTE_1
	v_and_b32_e32 v2, 0x7f, v1
	v_cmpx_ne_u32_e32 0x7f, v2
	s_cbranch_execz .LBB208_128
; %bb.125:                              ;   in Loop: Header=BB208_15 Depth=1
	v_and_b32_e32 v24, 7, v1
	v_lshrrev_b32_e32 v1, 3, v2
	s_mov_b32 s21, exec_lo
	v_cmpx_gt_u32_e32 8, v2
; %bb.126:                              ;   in Loop: Header=BB208_15 Depth=1
	v_ffbh_u32_e32 v1, v24
	v_min_u32_e32 v1, 32, v1
	v_subrev_nc_u32_e32 v2, 28, v1
	v_sub_nc_u32_e32 v1, 29, v1
	v_lshlrev_b64 v[2:3], v2, v[24:25]
	v_and_b32_e32 v24, 7, v2
; %bb.127:                              ;   in Loop: Header=BB208_15 Depth=1
	s_or_b32 exec_lo, exec_lo, s21
	v_lshlrev_b32_e32 v2, 16, v0
	v_lshlrev_b32_e32 v3, 20, v24
	v_lshl_add_u32 v1, v1, 23, 0x3c000000
	v_and_b32_e32 v2, 0x80000000, v2
	v_or3_b32 v2, v3, v2, v1
	v_mov_b32_e32 v1, v25
	buffer_store_dword v1, off, s[0:3], s32 offset:320 ; 4-byte Folded Spill
	buffer_store_dword v2, off, s[0:3], s32 offset:324 ; 4-byte Folded Spill
.LBB208_128:                            ;   in Loop: Header=BB208_15 Depth=1
	s_or_b32 exec_lo, exec_lo, s20
.LBB208_129:                            ;   in Loop: Header=BB208_15 Depth=1
	s_or_b32 exec_lo, exec_lo, s19
.LBB208_130:                            ;   in Loop: Header=BB208_15 Depth=1
	s_or_b32 exec_lo, exec_lo, s18
	v_mov_b32_e32 v2, 0
	v_mov_b32_e32 v3, 0
	v_and_b32_sdwa v1, v0, v6 dst_sel:DWORD dst_unused:UNUSED_PAD src0_sel:WORD_1 src1_sel:DWORD
	s_mov_b32 s18, exec_lo
	buffer_store_dword v2, off, s[0:3], s32 offset:328 ; 4-byte Folded Spill
	buffer_store_dword v3, off, s[0:3], s32 offset:332 ; 4-byte Folded Spill
	v_mov_b32_e32 v2, 0
	v_mov_b32_e32 v3, 0
	buffer_store_dword v2, off, s[0:3], s32 offset:336 ; 4-byte Folded Spill
	buffer_store_dword v3, off, s[0:3], s32 offset:340 ; 4-byte Folded Spill
	v_cmpx_ne_u16_e32 0, v1
	s_cbranch_execz .LBB208_138
; %bb.131:                              ;   in Loop: Header=BB208_15 Depth=1
	v_cmp_ne_u16_e64 s5, 0x80, v1
	v_bfrev_b32_e32 v1, 1
	v_mov_b32_e32 v2, 0
	buffer_store_dword v1, off, s[0:3], s32 offset:336 ; 4-byte Folded Spill
	buffer_store_dword v2, off, s[0:3], s32 offset:340 ; 4-byte Folded Spill
	s_and_saveexec_b32 s19, s5
	s_cbranch_execz .LBB208_137
; %bb.132:                              ;   in Loop: Header=BB208_15 Depth=1
	v_mov_b32_e32 v3, 0x7f800001
	v_bfe_u32 v2, v0, 16, 7
	v_mov_b32_e32 v4, 0
	s_mov_b32 s20, exec_lo
	buffer_store_dword v3, off, s[0:3], s32 offset:336 ; 4-byte Folded Spill
	buffer_store_dword v4, off, s[0:3], s32 offset:340 ; 4-byte Folded Spill
	v_cmpx_ne_u32_e32 0x7f, v2
	s_cbranch_execz .LBB208_136
; %bb.133:                              ;   in Loop: Header=BB208_15 Depth=1
	v_mov_b32_e32 v1, 7
	s_mov_b32 s21, exec_lo
	v_and_b32_sdwa v24, v0, v1 dst_sel:DWORD dst_unused:UNUSED_PAD src0_sel:WORD_1 src1_sel:DWORD
	v_lshrrev_b32_e32 v1, 3, v2
	v_cmpx_gt_u32_e32 8, v2
; %bb.134:                              ;   in Loop: Header=BB208_15 Depth=1
	v_ffbh_u32_e32 v1, v24
	v_min_u32_e32 v1, 32, v1
	v_subrev_nc_u32_e32 v2, 28, v1
	v_sub_nc_u32_e32 v1, 29, v1
	v_lshlrev_b64 v[2:3], v2, v[24:25]
	v_and_b32_e32 v24, 7, v2
; %bb.135:                              ;   in Loop: Header=BB208_15 Depth=1
	s_or_b32 exec_lo, exec_lo, s21
	v_mov_b32_e32 v2, 24
	v_lshlrev_b32_e32 v3, 20, v24
	v_lshl_add_u32 v1, v1, 23, 0x3c000000
	v_lshlrev_b32_sdwa v2, v2, v0 dst_sel:DWORD dst_unused:UNUSED_PAD src0_sel:DWORD src1_sel:WORD_1
	v_and_b32_e32 v2, 0x80000000, v2
	v_or3_b32 v24, v3, v2, v1
	buffer_store_dword v24, off, s[0:3], s32 offset:336 ; 4-byte Folded Spill
	buffer_store_dword v25, off, s[0:3], s32 offset:340 ; 4-byte Folded Spill
.LBB208_136:                            ;   in Loop: Header=BB208_15 Depth=1
	s_or_b32 exec_lo, exec_lo, s20
.LBB208_137:                            ;   in Loop: Header=BB208_15 Depth=1
	s_or_b32 exec_lo, exec_lo, s19
.LBB208_138:                            ;   in Loop: Header=BB208_15 Depth=1
	s_or_b32 exec_lo, exec_lo, s18
	s_mov_b32 s18, exec_lo
	v_cmpx_lt_u32_e32 0xffffff, v0
	s_cbranch_execz .LBB208_146
; %bb.139:                              ;   in Loop: Header=BB208_15 Depth=1
	v_mov_b32_e32 v1, 0x80
	v_mov_b32_e32 v110, v25
	buffer_store_dword v110, off, s[0:3], s32 offset:328 ; 4-byte Folded Spill
	buffer_store_dword v111, off, s[0:3], s32 offset:332 ; 4-byte Folded Spill
	v_cmp_ne_u32_sdwa s5, v0, v1 src0_sel:BYTE_3 src1_sel:DWORD
	s_and_saveexec_b32 s19, s5
	s_cbranch_execz .LBB208_145
; %bb.140:                              ;   in Loop: Header=BB208_15 Depth=1
	v_bfe_u32 v2, v0, 24, 7
	v_mov_b32_e32 v106, v25
	s_mov_b32 s20, exec_lo
	buffer_store_dword v106, off, s[0:3], s32 offset:328 ; 4-byte Folded Spill
	buffer_store_dword v107, off, s[0:3], s32 offset:332 ; 4-byte Folded Spill
	v_cmpx_ne_u32_e32 0x7f, v2
	s_cbranch_execz .LBB208_144
; %bb.141:                              ;   in Loop: Header=BB208_15 Depth=1
	v_mov_b32_e32 v1, 7
	s_mov_b32 s21, exec_lo
	v_and_b32_sdwa v24, v0, v1 dst_sel:DWORD dst_unused:UNUSED_PAD src0_sel:BYTE_3 src1_sel:DWORD
	v_lshrrev_b32_e32 v1, 3, v2
	v_cmpx_gt_u32_e32 8, v2
; %bb.142:                              ;   in Loop: Header=BB208_15 Depth=1
	v_ffbh_u32_e32 v1, v24
	v_min_u32_e32 v1, 32, v1
	v_subrev_nc_u32_e32 v2, 28, v1
	v_sub_nc_u32_e32 v1, 29, v1
	v_lshlrev_b64 v[2:3], v2, v[24:25]
	v_and_b32_e32 v24, 7, v2
; %bb.143:                              ;   in Loop: Header=BB208_15 Depth=1
	s_or_b32 exec_lo, exec_lo, s21
	v_mov_b32_e32 v2, 24
	v_lshl_add_u32 v1, v1, 23, 0x3c000000
	v_lshlrev_b32_sdwa v0, v2, v0 dst_sel:DWORD dst_unused:UNUSED_PAD src0_sel:DWORD src1_sel:BYTE_3
	v_lshlrev_b32_e32 v2, 20, v24
	v_and_b32_e32 v0, 0x80000000, v0
	v_or3_b32 v1, v2, v0, v1
	v_mov_b32_e32 v0, v25
	buffer_store_dword v0, off, s[0:3], s32 offset:328 ; 4-byte Folded Spill
	buffer_store_dword v1, off, s[0:3], s32 offset:332 ; 4-byte Folded Spill
.LBB208_144:                            ;   in Loop: Header=BB208_15 Depth=1
	s_or_b32 exec_lo, exec_lo, s20
.LBB208_145:                            ;   in Loop: Header=BB208_15 Depth=1
	s_or_b32 exec_lo, exec_lo, s19
.LBB208_146:                            ;   in Loop: Header=BB208_15 Depth=1
	s_or_b32 exec_lo, exec_lo, s18
	flat_load_dword v0, v[108:109] offset:512
	v_mov_b32_e32 v1, 0
	v_mov_b32_e32 v2, 0
	buffer_store_dword v1, off, s[0:3], s32 offset:352 ; 4-byte Folded Spill
	buffer_store_dword v2, off, s[0:3], s32 offset:356 ; 4-byte Folded Spill
	v_mov_b32_e32 v1, 0
	v_mov_b32_e32 v2, 0
	buffer_store_dword v1, off, s[0:3], s32 offset:344 ; 4-byte Folded Spill
	buffer_store_dword v2, off, s[0:3], s32 offset:348 ; 4-byte Folded Spill
	s_waitcnt vmcnt(0) lgkmcnt(0)
	v_cmp_ne_u16_sdwa s5, v0, v25 src0_sel:BYTE_0 src1_sel:DWORD
	s_and_saveexec_b32 s18, s5
	s_cbranch_execz .LBB208_154
; %bb.147:                              ;   in Loop: Header=BB208_15 Depth=1
	v_bfrev_b32_e32 v1, 1
	v_mov_b32_e32 v2, 0
	buffer_store_dword v1, off, s[0:3], s32 offset:344 ; 4-byte Folded Spill
	buffer_store_dword v2, off, s[0:3], s32 offset:348 ; 4-byte Folded Spill
	v_mov_b32_e32 v1, 0x80
	v_cmp_ne_u16_sdwa s5, v0, v1 src0_sel:BYTE_0 src1_sel:DWORD
	s_and_saveexec_b32 s19, s5
	s_cbranch_execz .LBB208_153
; %bb.148:                              ;   in Loop: Header=BB208_15 Depth=1
	v_mov_b32_e32 v3, 0x7f800001
	v_and_b32_e32 v2, 0x7f, v0
	v_mov_b32_e32 v4, 0
	s_mov_b32 s20, exec_lo
	buffer_store_dword v3, off, s[0:3], s32 offset:344 ; 4-byte Folded Spill
	buffer_store_dword v4, off, s[0:3], s32 offset:348 ; 4-byte Folded Spill
	v_cmpx_ne_u32_e32 0x7f, v2
	s_cbranch_execz .LBB208_152
; %bb.149:                              ;   in Loop: Header=BB208_15 Depth=1
	v_and_b32_e32 v24, 7, v0
	v_lshrrev_b32_e32 v1, 3, v2
	s_mov_b32 s21, exec_lo
	v_cmpx_gt_u32_e32 8, v2
; %bb.150:                              ;   in Loop: Header=BB208_15 Depth=1
	v_ffbh_u32_e32 v1, v24
	v_min_u32_e32 v1, 32, v1
	v_subrev_nc_u32_e32 v2, 28, v1
	v_sub_nc_u32_e32 v1, 29, v1
	v_lshlrev_b64 v[2:3], v2, v[24:25]
	v_and_b32_e32 v24, 7, v2
; %bb.151:                              ;   in Loop: Header=BB208_15 Depth=1
	s_or_b32 exec_lo, exec_lo, s21
	v_lshlrev_b32_e32 v2, 24, v0
	v_lshlrev_b32_e32 v3, 20, v24
	v_lshl_add_u32 v1, v1, 23, 0x3c000000
	v_and_b32_e32 v2, 0x80000000, v2
	v_or3_b32 v24, v3, v2, v1
	buffer_store_dword v24, off, s[0:3], s32 offset:344 ; 4-byte Folded Spill
	buffer_store_dword v25, off, s[0:3], s32 offset:348 ; 4-byte Folded Spill
.LBB208_152:                            ;   in Loop: Header=BB208_15 Depth=1
	s_or_b32 exec_lo, exec_lo, s20
.LBB208_153:                            ;   in Loop: Header=BB208_15 Depth=1
	s_or_b32 exec_lo, exec_lo, s19
.LBB208_154:                            ;   in Loop: Header=BB208_15 Depth=1
	s_or_b32 exec_lo, exec_lo, s18
	v_cmp_ne_u16_sdwa s5, v0, v25 src0_sel:BYTE_1 src1_sel:DWORD
	s_and_saveexec_b32 s18, s5
	s_cbranch_execz .LBB208_162
; %bb.155:                              ;   in Loop: Header=BB208_15 Depth=1
	v_mov_b32_e32 v1, 0x80
	v_mov_b32_e32 v110, v25
	buffer_store_dword v110, off, s[0:3], s32 offset:352 ; 4-byte Folded Spill
	buffer_store_dword v111, off, s[0:3], s32 offset:356 ; 4-byte Folded Spill
	v_cmp_ne_u16_sdwa s5, v0, v1 src0_sel:BYTE_1 src1_sel:DWORD
	s_and_saveexec_b32 s19, s5
	s_cbranch_execz .LBB208_161
; %bb.156:                              ;   in Loop: Header=BB208_15 Depth=1
	v_mov_b32_e32 v1, 0xffff
	v_mov_b32_e32 v106, v25
	s_mov_b32 s20, exec_lo
	buffer_store_dword v106, off, s[0:3], s32 offset:352 ; 4-byte Folded Spill
	buffer_store_dword v107, off, s[0:3], s32 offset:356 ; 4-byte Folded Spill
	v_and_b32_sdwa v1, v1, v0 dst_sel:DWORD dst_unused:UNUSED_PAD src0_sel:DWORD src1_sel:BYTE_1
	v_and_b32_e32 v2, 0x7f, v1
	v_cmpx_ne_u32_e32 0x7f, v2
	s_cbranch_execz .LBB208_160
; %bb.157:                              ;   in Loop: Header=BB208_15 Depth=1
	v_and_b32_e32 v24, 7, v1
	v_lshrrev_b32_e32 v1, 3, v2
	s_mov_b32 s21, exec_lo
	v_cmpx_gt_u32_e32 8, v2
; %bb.158:                              ;   in Loop: Header=BB208_15 Depth=1
	v_ffbh_u32_e32 v1, v24
	v_min_u32_e32 v1, 32, v1
	v_subrev_nc_u32_e32 v2, 28, v1
	v_sub_nc_u32_e32 v1, 29, v1
	v_lshlrev_b64 v[2:3], v2, v[24:25]
	v_and_b32_e32 v24, 7, v2
; %bb.159:                              ;   in Loop: Header=BB208_15 Depth=1
	s_or_b32 exec_lo, exec_lo, s21
	v_lshlrev_b32_e32 v2, 16, v0
	v_lshlrev_b32_e32 v3, 20, v24
	v_lshl_add_u32 v1, v1, 23, 0x3c000000
	v_and_b32_e32 v2, 0x80000000, v2
	v_or3_b32 v2, v3, v2, v1
	v_mov_b32_e32 v1, v25
	buffer_store_dword v1, off, s[0:3], s32 offset:352 ; 4-byte Folded Spill
	buffer_store_dword v2, off, s[0:3], s32 offset:356 ; 4-byte Folded Spill
.LBB208_160:                            ;   in Loop: Header=BB208_15 Depth=1
	s_or_b32 exec_lo, exec_lo, s20
.LBB208_161:                            ;   in Loop: Header=BB208_15 Depth=1
	s_or_b32 exec_lo, exec_lo, s19
.LBB208_162:                            ;   in Loop: Header=BB208_15 Depth=1
	s_or_b32 exec_lo, exec_lo, s18
	v_mov_b32_e32 v2, 0
	v_mov_b32_e32 v3, 0
	v_and_b32_sdwa v1, v0, v6 dst_sel:DWORD dst_unused:UNUSED_PAD src0_sel:WORD_1 src1_sel:DWORD
	s_mov_b32 s18, exec_lo
	buffer_store_dword v2, off, s[0:3], s32 offset:360 ; 4-byte Folded Spill
	buffer_store_dword v3, off, s[0:3], s32 offset:364 ; 4-byte Folded Spill
	v_mov_b32_e32 v2, 0
	v_mov_b32_e32 v3, 0
	buffer_store_dword v2, off, s[0:3], s32 offset:368 ; 4-byte Folded Spill
	buffer_store_dword v3, off, s[0:3], s32 offset:372 ; 4-byte Folded Spill
	v_cmpx_ne_u16_e32 0, v1
	s_cbranch_execz .LBB208_170
; %bb.163:                              ;   in Loop: Header=BB208_15 Depth=1
	v_cmp_ne_u16_e64 s5, 0x80, v1
	v_bfrev_b32_e32 v1, 1
	v_mov_b32_e32 v2, 0
	buffer_store_dword v1, off, s[0:3], s32 offset:368 ; 4-byte Folded Spill
	buffer_store_dword v2, off, s[0:3], s32 offset:372 ; 4-byte Folded Spill
	s_and_saveexec_b32 s19, s5
	s_cbranch_execz .LBB208_169
; %bb.164:                              ;   in Loop: Header=BB208_15 Depth=1
	v_mov_b32_e32 v3, 0x7f800001
	v_bfe_u32 v2, v0, 16, 7
	v_mov_b32_e32 v4, 0
	s_mov_b32 s20, exec_lo
	buffer_store_dword v3, off, s[0:3], s32 offset:368 ; 4-byte Folded Spill
	buffer_store_dword v4, off, s[0:3], s32 offset:372 ; 4-byte Folded Spill
	v_cmpx_ne_u32_e32 0x7f, v2
	s_cbranch_execz .LBB208_168
; %bb.165:                              ;   in Loop: Header=BB208_15 Depth=1
	v_mov_b32_e32 v1, 7
	s_mov_b32 s21, exec_lo
	v_and_b32_sdwa v24, v0, v1 dst_sel:DWORD dst_unused:UNUSED_PAD src0_sel:WORD_1 src1_sel:DWORD
	v_lshrrev_b32_e32 v1, 3, v2
	v_cmpx_gt_u32_e32 8, v2
; %bb.166:                              ;   in Loop: Header=BB208_15 Depth=1
	v_ffbh_u32_e32 v1, v24
	v_min_u32_e32 v1, 32, v1
	v_subrev_nc_u32_e32 v2, 28, v1
	v_sub_nc_u32_e32 v1, 29, v1
	v_lshlrev_b64 v[2:3], v2, v[24:25]
	v_and_b32_e32 v24, 7, v2
; %bb.167:                              ;   in Loop: Header=BB208_15 Depth=1
	s_or_b32 exec_lo, exec_lo, s21
	v_mov_b32_e32 v2, 24
	v_lshlrev_b32_e32 v3, 20, v24
	v_lshl_add_u32 v1, v1, 23, 0x3c000000
	v_lshlrev_b32_sdwa v2, v2, v0 dst_sel:DWORD dst_unused:UNUSED_PAD src0_sel:DWORD src1_sel:WORD_1
	v_and_b32_e32 v2, 0x80000000, v2
	v_or3_b32 v24, v3, v2, v1
	buffer_store_dword v24, off, s[0:3], s32 offset:368 ; 4-byte Folded Spill
	buffer_store_dword v25, off, s[0:3], s32 offset:372 ; 4-byte Folded Spill
.LBB208_168:                            ;   in Loop: Header=BB208_15 Depth=1
	s_or_b32 exec_lo, exec_lo, s20
.LBB208_169:                            ;   in Loop: Header=BB208_15 Depth=1
	s_or_b32 exec_lo, exec_lo, s19
.LBB208_170:                            ;   in Loop: Header=BB208_15 Depth=1
	s_or_b32 exec_lo, exec_lo, s18
	s_mov_b32 s18, exec_lo
	v_cmpx_lt_u32_e32 0xffffff, v0
	s_cbranch_execz .LBB208_178
; %bb.171:                              ;   in Loop: Header=BB208_15 Depth=1
	v_mov_b32_e32 v1, 0x80
	v_mov_b32_e32 v110, v25
	buffer_store_dword v110, off, s[0:3], s32 offset:360 ; 4-byte Folded Spill
	buffer_store_dword v111, off, s[0:3], s32 offset:364 ; 4-byte Folded Spill
	v_cmp_ne_u32_sdwa s5, v0, v1 src0_sel:BYTE_3 src1_sel:DWORD
	s_and_saveexec_b32 s19, s5
	s_cbranch_execz .LBB208_177
; %bb.172:                              ;   in Loop: Header=BB208_15 Depth=1
	v_bfe_u32 v2, v0, 24, 7
	v_mov_b32_e32 v106, v25
	s_mov_b32 s20, exec_lo
	buffer_store_dword v106, off, s[0:3], s32 offset:360 ; 4-byte Folded Spill
	buffer_store_dword v107, off, s[0:3], s32 offset:364 ; 4-byte Folded Spill
	v_cmpx_ne_u32_e32 0x7f, v2
	s_cbranch_execz .LBB208_176
; %bb.173:                              ;   in Loop: Header=BB208_15 Depth=1
	v_mov_b32_e32 v1, 7
	s_mov_b32 s21, exec_lo
	v_and_b32_sdwa v24, v0, v1 dst_sel:DWORD dst_unused:UNUSED_PAD src0_sel:BYTE_3 src1_sel:DWORD
	v_lshrrev_b32_e32 v1, 3, v2
	v_cmpx_gt_u32_e32 8, v2
; %bb.174:                              ;   in Loop: Header=BB208_15 Depth=1
	v_ffbh_u32_e32 v1, v24
	v_min_u32_e32 v1, 32, v1
	v_subrev_nc_u32_e32 v2, 28, v1
	v_sub_nc_u32_e32 v1, 29, v1
	v_lshlrev_b64 v[2:3], v2, v[24:25]
	v_and_b32_e32 v24, 7, v2
; %bb.175:                              ;   in Loop: Header=BB208_15 Depth=1
	s_or_b32 exec_lo, exec_lo, s21
	v_mov_b32_e32 v2, 24
	v_lshl_add_u32 v1, v1, 23, 0x3c000000
	v_lshlrev_b32_sdwa v0, v2, v0 dst_sel:DWORD dst_unused:UNUSED_PAD src0_sel:DWORD src1_sel:BYTE_3
	v_lshlrev_b32_e32 v2, 20, v24
	v_and_b32_e32 v0, 0x80000000, v0
	v_or3_b32 v1, v2, v0, v1
	v_mov_b32_e32 v0, v25
	buffer_store_dword v0, off, s[0:3], s32 offset:360 ; 4-byte Folded Spill
	buffer_store_dword v1, off, s[0:3], s32 offset:364 ; 4-byte Folded Spill
.LBB208_176:                            ;   in Loop: Header=BB208_15 Depth=1
	s_or_b32 exec_lo, exec_lo, s20
.LBB208_177:                            ;   in Loop: Header=BB208_15 Depth=1
	s_or_b32 exec_lo, exec_lo, s19
.LBB208_178:                            ;   in Loop: Header=BB208_15 Depth=1
	s_or_b32 exec_lo, exec_lo, s18
	flat_load_dword v0, v[108:109] offset:516
	v_mov_b32_e32 v1, 0
	v_mov_b32_e32 v2, 0
	buffer_store_dword v1, off, s[0:3], s32 offset:384 ; 4-byte Folded Spill
	buffer_store_dword v2, off, s[0:3], s32 offset:388 ; 4-byte Folded Spill
	v_mov_b32_e32 v1, 0
	v_mov_b32_e32 v2, 0
	buffer_store_dword v1, off, s[0:3], s32 offset:376 ; 4-byte Folded Spill
	buffer_store_dword v2, off, s[0:3], s32 offset:380 ; 4-byte Folded Spill
	s_waitcnt vmcnt(0) lgkmcnt(0)
	v_cmp_ne_u16_sdwa s5, v0, v25 src0_sel:BYTE_0 src1_sel:DWORD
	s_and_saveexec_b32 s18, s5
	s_cbranch_execz .LBB208_186
; %bb.179:                              ;   in Loop: Header=BB208_15 Depth=1
	v_bfrev_b32_e32 v1, 1
	v_mov_b32_e32 v2, 0
	buffer_store_dword v1, off, s[0:3], s32 offset:376 ; 4-byte Folded Spill
	buffer_store_dword v2, off, s[0:3], s32 offset:380 ; 4-byte Folded Spill
	v_mov_b32_e32 v1, 0x80
	v_cmp_ne_u16_sdwa s5, v0, v1 src0_sel:BYTE_0 src1_sel:DWORD
	s_and_saveexec_b32 s19, s5
	s_cbranch_execz .LBB208_185
; %bb.180:                              ;   in Loop: Header=BB208_15 Depth=1
	v_mov_b32_e32 v3, 0x7f800001
	v_and_b32_e32 v2, 0x7f, v0
	v_mov_b32_e32 v4, 0
	s_mov_b32 s20, exec_lo
	buffer_store_dword v3, off, s[0:3], s32 offset:376 ; 4-byte Folded Spill
	buffer_store_dword v4, off, s[0:3], s32 offset:380 ; 4-byte Folded Spill
	v_cmpx_ne_u32_e32 0x7f, v2
	s_cbranch_execz .LBB208_184
; %bb.181:                              ;   in Loop: Header=BB208_15 Depth=1
	v_and_b32_e32 v24, 7, v0
	v_lshrrev_b32_e32 v1, 3, v2
	s_mov_b32 s21, exec_lo
	v_cmpx_gt_u32_e32 8, v2
; %bb.182:                              ;   in Loop: Header=BB208_15 Depth=1
	v_ffbh_u32_e32 v1, v24
	v_min_u32_e32 v1, 32, v1
	v_subrev_nc_u32_e32 v2, 28, v1
	v_sub_nc_u32_e32 v1, 29, v1
	v_lshlrev_b64 v[2:3], v2, v[24:25]
	v_and_b32_e32 v24, 7, v2
; %bb.183:                              ;   in Loop: Header=BB208_15 Depth=1
	s_or_b32 exec_lo, exec_lo, s21
	v_lshlrev_b32_e32 v2, 24, v0
	v_lshlrev_b32_e32 v3, 20, v24
	v_lshl_add_u32 v1, v1, 23, 0x3c000000
	v_and_b32_e32 v2, 0x80000000, v2
	v_or3_b32 v24, v3, v2, v1
	buffer_store_dword v24, off, s[0:3], s32 offset:376 ; 4-byte Folded Spill
	buffer_store_dword v25, off, s[0:3], s32 offset:380 ; 4-byte Folded Spill
.LBB208_184:                            ;   in Loop: Header=BB208_15 Depth=1
	s_or_b32 exec_lo, exec_lo, s20
.LBB208_185:                            ;   in Loop: Header=BB208_15 Depth=1
	s_or_b32 exec_lo, exec_lo, s19
.LBB208_186:                            ;   in Loop: Header=BB208_15 Depth=1
	s_or_b32 exec_lo, exec_lo, s18
	v_cmp_ne_u16_sdwa s5, v0, v25 src0_sel:BYTE_1 src1_sel:DWORD
	s_and_saveexec_b32 s18, s5
	s_cbranch_execz .LBB208_194
; %bb.187:                              ;   in Loop: Header=BB208_15 Depth=1
	v_mov_b32_e32 v1, 0x80
	v_mov_b32_e32 v110, v25
	buffer_store_dword v110, off, s[0:3], s32 offset:384 ; 4-byte Folded Spill
	buffer_store_dword v111, off, s[0:3], s32 offset:388 ; 4-byte Folded Spill
	v_cmp_ne_u16_sdwa s5, v0, v1 src0_sel:BYTE_1 src1_sel:DWORD
	s_and_saveexec_b32 s19, s5
	s_cbranch_execz .LBB208_193
; %bb.188:                              ;   in Loop: Header=BB208_15 Depth=1
	v_mov_b32_e32 v1, 0xffff
	v_mov_b32_e32 v106, v25
	s_mov_b32 s20, exec_lo
	buffer_store_dword v106, off, s[0:3], s32 offset:384 ; 4-byte Folded Spill
	buffer_store_dword v107, off, s[0:3], s32 offset:388 ; 4-byte Folded Spill
	v_and_b32_sdwa v1, v1, v0 dst_sel:DWORD dst_unused:UNUSED_PAD src0_sel:DWORD src1_sel:BYTE_1
	v_and_b32_e32 v2, 0x7f, v1
	v_cmpx_ne_u32_e32 0x7f, v2
	s_cbranch_execz .LBB208_192
; %bb.189:                              ;   in Loop: Header=BB208_15 Depth=1
	v_and_b32_e32 v24, 7, v1
	v_lshrrev_b32_e32 v1, 3, v2
	s_mov_b32 s21, exec_lo
	v_cmpx_gt_u32_e32 8, v2
; %bb.190:                              ;   in Loop: Header=BB208_15 Depth=1
	v_ffbh_u32_e32 v1, v24
	v_min_u32_e32 v1, 32, v1
	v_subrev_nc_u32_e32 v2, 28, v1
	v_sub_nc_u32_e32 v1, 29, v1
	v_lshlrev_b64 v[2:3], v2, v[24:25]
	v_and_b32_e32 v24, 7, v2
; %bb.191:                              ;   in Loop: Header=BB208_15 Depth=1
	s_or_b32 exec_lo, exec_lo, s21
	v_lshlrev_b32_e32 v2, 16, v0
	v_lshlrev_b32_e32 v3, 20, v24
	v_lshl_add_u32 v1, v1, 23, 0x3c000000
	v_and_b32_e32 v2, 0x80000000, v2
	v_or3_b32 v2, v3, v2, v1
	v_mov_b32_e32 v1, v25
	buffer_store_dword v1, off, s[0:3], s32 offset:384 ; 4-byte Folded Spill
	buffer_store_dword v2, off, s[0:3], s32 offset:388 ; 4-byte Folded Spill
.LBB208_192:                            ;   in Loop: Header=BB208_15 Depth=1
	s_or_b32 exec_lo, exec_lo, s20
.LBB208_193:                            ;   in Loop: Header=BB208_15 Depth=1
	s_or_b32 exec_lo, exec_lo, s19
.LBB208_194:                            ;   in Loop: Header=BB208_15 Depth=1
	s_or_b32 exec_lo, exec_lo, s18
	v_mov_b32_e32 v2, 0
	v_mov_b32_e32 v3, 0
	v_and_b32_sdwa v1, v0, v6 dst_sel:DWORD dst_unused:UNUSED_PAD src0_sel:WORD_1 src1_sel:DWORD
	s_mov_b32 s18, exec_lo
	buffer_store_dword v2, off, s[0:3], s32 offset:392 ; 4-byte Folded Spill
	buffer_store_dword v3, off, s[0:3], s32 offset:396 ; 4-byte Folded Spill
	v_mov_b32_e32 v2, 0
	v_mov_b32_e32 v3, 0
	buffer_store_dword v2, off, s[0:3], s32 offset:400 ; 4-byte Folded Spill
	buffer_store_dword v3, off, s[0:3], s32 offset:404 ; 4-byte Folded Spill
	v_cmpx_ne_u16_e32 0, v1
	s_cbranch_execz .LBB208_202
; %bb.195:                              ;   in Loop: Header=BB208_15 Depth=1
	v_cmp_ne_u16_e64 s5, 0x80, v1
	v_bfrev_b32_e32 v1, 1
	v_mov_b32_e32 v2, 0
	buffer_store_dword v1, off, s[0:3], s32 offset:400 ; 4-byte Folded Spill
	buffer_store_dword v2, off, s[0:3], s32 offset:404 ; 4-byte Folded Spill
	s_and_saveexec_b32 s19, s5
	s_cbranch_execz .LBB208_201
; %bb.196:                              ;   in Loop: Header=BB208_15 Depth=1
	v_mov_b32_e32 v3, 0x7f800001
	v_bfe_u32 v2, v0, 16, 7
	v_mov_b32_e32 v4, 0
	s_mov_b32 s20, exec_lo
	buffer_store_dword v3, off, s[0:3], s32 offset:400 ; 4-byte Folded Spill
	buffer_store_dword v4, off, s[0:3], s32 offset:404 ; 4-byte Folded Spill
	v_cmpx_ne_u32_e32 0x7f, v2
	s_cbranch_execz .LBB208_200
; %bb.197:                              ;   in Loop: Header=BB208_15 Depth=1
	v_mov_b32_e32 v1, 7
	s_mov_b32 s21, exec_lo
	v_and_b32_sdwa v24, v0, v1 dst_sel:DWORD dst_unused:UNUSED_PAD src0_sel:WORD_1 src1_sel:DWORD
	v_lshrrev_b32_e32 v1, 3, v2
	v_cmpx_gt_u32_e32 8, v2
; %bb.198:                              ;   in Loop: Header=BB208_15 Depth=1
	v_ffbh_u32_e32 v1, v24
	v_min_u32_e32 v1, 32, v1
	v_subrev_nc_u32_e32 v2, 28, v1
	v_sub_nc_u32_e32 v1, 29, v1
	v_lshlrev_b64 v[2:3], v2, v[24:25]
	v_and_b32_e32 v24, 7, v2
; %bb.199:                              ;   in Loop: Header=BB208_15 Depth=1
	s_or_b32 exec_lo, exec_lo, s21
	v_mov_b32_e32 v2, 24
	v_lshlrev_b32_e32 v3, 20, v24
	v_lshl_add_u32 v1, v1, 23, 0x3c000000
	v_lshlrev_b32_sdwa v2, v2, v0 dst_sel:DWORD dst_unused:UNUSED_PAD src0_sel:DWORD src1_sel:WORD_1
	v_and_b32_e32 v2, 0x80000000, v2
	v_or3_b32 v24, v3, v2, v1
	buffer_store_dword v24, off, s[0:3], s32 offset:400 ; 4-byte Folded Spill
	buffer_store_dword v25, off, s[0:3], s32 offset:404 ; 4-byte Folded Spill
.LBB208_200:                            ;   in Loop: Header=BB208_15 Depth=1
	s_or_b32 exec_lo, exec_lo, s20
.LBB208_201:                            ;   in Loop: Header=BB208_15 Depth=1
	s_or_b32 exec_lo, exec_lo, s19
.LBB208_202:                            ;   in Loop: Header=BB208_15 Depth=1
	s_or_b32 exec_lo, exec_lo, s18
	s_mov_b32 s18, exec_lo
	v_cmpx_lt_u32_e32 0xffffff, v0
	s_cbranch_execz .LBB208_210
; %bb.203:                              ;   in Loop: Header=BB208_15 Depth=1
	v_mov_b32_e32 v1, 0x80
	v_mov_b32_e32 v110, v25
	buffer_store_dword v110, off, s[0:3], s32 offset:392 ; 4-byte Folded Spill
	buffer_store_dword v111, off, s[0:3], s32 offset:396 ; 4-byte Folded Spill
	v_cmp_ne_u32_sdwa s5, v0, v1 src0_sel:BYTE_3 src1_sel:DWORD
	s_and_saveexec_b32 s19, s5
	s_cbranch_execz .LBB208_209
; %bb.204:                              ;   in Loop: Header=BB208_15 Depth=1
	v_bfe_u32 v2, v0, 24, 7
	v_mov_b32_e32 v106, v25
	s_mov_b32 s20, exec_lo
	buffer_store_dword v106, off, s[0:3], s32 offset:392 ; 4-byte Folded Spill
	buffer_store_dword v107, off, s[0:3], s32 offset:396 ; 4-byte Folded Spill
	v_cmpx_ne_u32_e32 0x7f, v2
	s_cbranch_execz .LBB208_208
; %bb.205:                              ;   in Loop: Header=BB208_15 Depth=1
	v_mov_b32_e32 v1, 7
	s_mov_b32 s21, exec_lo
	v_and_b32_sdwa v24, v0, v1 dst_sel:DWORD dst_unused:UNUSED_PAD src0_sel:BYTE_3 src1_sel:DWORD
	v_lshrrev_b32_e32 v1, 3, v2
	v_cmpx_gt_u32_e32 8, v2
; %bb.206:                              ;   in Loop: Header=BB208_15 Depth=1
	v_ffbh_u32_e32 v1, v24
	v_min_u32_e32 v1, 32, v1
	v_subrev_nc_u32_e32 v2, 28, v1
	v_sub_nc_u32_e32 v1, 29, v1
	v_lshlrev_b64 v[2:3], v2, v[24:25]
	v_and_b32_e32 v24, 7, v2
; %bb.207:                              ;   in Loop: Header=BB208_15 Depth=1
	s_or_b32 exec_lo, exec_lo, s21
	v_mov_b32_e32 v2, 24
	v_lshl_add_u32 v1, v1, 23, 0x3c000000
	v_lshlrev_b32_sdwa v0, v2, v0 dst_sel:DWORD dst_unused:UNUSED_PAD src0_sel:DWORD src1_sel:BYTE_3
	v_lshlrev_b32_e32 v2, 20, v24
	v_and_b32_e32 v0, 0x80000000, v0
	v_or3_b32 v1, v2, v0, v1
	v_mov_b32_e32 v0, v25
	buffer_store_dword v0, off, s[0:3], s32 offset:392 ; 4-byte Folded Spill
	buffer_store_dword v1, off, s[0:3], s32 offset:396 ; 4-byte Folded Spill
.LBB208_208:                            ;   in Loop: Header=BB208_15 Depth=1
	s_or_b32 exec_lo, exec_lo, s20
.LBB208_209:                            ;   in Loop: Header=BB208_15 Depth=1
	s_or_b32 exec_lo, exec_lo, s19
.LBB208_210:                            ;   in Loop: Header=BB208_15 Depth=1
	s_or_b32 exec_lo, exec_lo, s18
	flat_load_dword v0, v[108:109] offset:520
	v_mov_b32_e32 v1, 0
	v_mov_b32_e32 v2, 0
	buffer_store_dword v1, off, s[0:3], s32 offset:416 ; 4-byte Folded Spill
	buffer_store_dword v2, off, s[0:3], s32 offset:420 ; 4-byte Folded Spill
	v_mov_b32_e32 v1, 0
	v_mov_b32_e32 v2, 0
	buffer_store_dword v1, off, s[0:3], s32 offset:408 ; 4-byte Folded Spill
	buffer_store_dword v2, off, s[0:3], s32 offset:412 ; 4-byte Folded Spill
	s_waitcnt vmcnt(0) lgkmcnt(0)
	v_cmp_ne_u16_sdwa s5, v0, v25 src0_sel:BYTE_0 src1_sel:DWORD
	s_and_saveexec_b32 s18, s5
	s_cbranch_execz .LBB208_218
; %bb.211:                              ;   in Loop: Header=BB208_15 Depth=1
	v_bfrev_b32_e32 v1, 1
	v_mov_b32_e32 v2, 0
	buffer_store_dword v1, off, s[0:3], s32 offset:408 ; 4-byte Folded Spill
	buffer_store_dword v2, off, s[0:3], s32 offset:412 ; 4-byte Folded Spill
	v_mov_b32_e32 v1, 0x80
	v_cmp_ne_u16_sdwa s5, v0, v1 src0_sel:BYTE_0 src1_sel:DWORD
	s_and_saveexec_b32 s19, s5
	s_cbranch_execz .LBB208_217
; %bb.212:                              ;   in Loop: Header=BB208_15 Depth=1
	v_mov_b32_e32 v3, 0x7f800001
	v_and_b32_e32 v2, 0x7f, v0
	v_mov_b32_e32 v4, 0
	s_mov_b32 s20, exec_lo
	buffer_store_dword v3, off, s[0:3], s32 offset:408 ; 4-byte Folded Spill
	buffer_store_dword v4, off, s[0:3], s32 offset:412 ; 4-byte Folded Spill
	v_cmpx_ne_u32_e32 0x7f, v2
	s_cbranch_execz .LBB208_216
; %bb.213:                              ;   in Loop: Header=BB208_15 Depth=1
	v_and_b32_e32 v24, 7, v0
	v_lshrrev_b32_e32 v1, 3, v2
	s_mov_b32 s21, exec_lo
	v_cmpx_gt_u32_e32 8, v2
; %bb.214:                              ;   in Loop: Header=BB208_15 Depth=1
	v_ffbh_u32_e32 v1, v24
	v_min_u32_e32 v1, 32, v1
	v_subrev_nc_u32_e32 v2, 28, v1
	v_sub_nc_u32_e32 v1, 29, v1
	v_lshlrev_b64 v[2:3], v2, v[24:25]
	v_and_b32_e32 v24, 7, v2
; %bb.215:                              ;   in Loop: Header=BB208_15 Depth=1
	s_or_b32 exec_lo, exec_lo, s21
	v_lshlrev_b32_e32 v2, 24, v0
	v_lshlrev_b32_e32 v3, 20, v24
	v_lshl_add_u32 v1, v1, 23, 0x3c000000
	v_and_b32_e32 v2, 0x80000000, v2
	v_or3_b32 v24, v3, v2, v1
	buffer_store_dword v24, off, s[0:3], s32 offset:408 ; 4-byte Folded Spill
	buffer_store_dword v25, off, s[0:3], s32 offset:412 ; 4-byte Folded Spill
.LBB208_216:                            ;   in Loop: Header=BB208_15 Depth=1
	s_or_b32 exec_lo, exec_lo, s20
.LBB208_217:                            ;   in Loop: Header=BB208_15 Depth=1
	s_or_b32 exec_lo, exec_lo, s19
.LBB208_218:                            ;   in Loop: Header=BB208_15 Depth=1
	s_or_b32 exec_lo, exec_lo, s18
	v_cmp_ne_u16_sdwa s5, v0, v25 src0_sel:BYTE_1 src1_sel:DWORD
	s_and_saveexec_b32 s18, s5
	s_cbranch_execz .LBB208_226
; %bb.219:                              ;   in Loop: Header=BB208_15 Depth=1
	v_mov_b32_e32 v1, 0x80
	v_mov_b32_e32 v110, v25
	buffer_store_dword v110, off, s[0:3], s32 offset:416 ; 4-byte Folded Spill
	buffer_store_dword v111, off, s[0:3], s32 offset:420 ; 4-byte Folded Spill
	v_cmp_ne_u16_sdwa s5, v0, v1 src0_sel:BYTE_1 src1_sel:DWORD
	s_and_saveexec_b32 s19, s5
	s_cbranch_execz .LBB208_225
; %bb.220:                              ;   in Loop: Header=BB208_15 Depth=1
	v_mov_b32_e32 v1, 0xffff
	v_mov_b32_e32 v106, v25
	s_mov_b32 s20, exec_lo
	buffer_store_dword v106, off, s[0:3], s32 offset:416 ; 4-byte Folded Spill
	buffer_store_dword v107, off, s[0:3], s32 offset:420 ; 4-byte Folded Spill
	v_and_b32_sdwa v1, v1, v0 dst_sel:DWORD dst_unused:UNUSED_PAD src0_sel:DWORD src1_sel:BYTE_1
	v_and_b32_e32 v2, 0x7f, v1
	v_cmpx_ne_u32_e32 0x7f, v2
	s_cbranch_execz .LBB208_224
; %bb.221:                              ;   in Loop: Header=BB208_15 Depth=1
	v_and_b32_e32 v24, 7, v1
	v_lshrrev_b32_e32 v1, 3, v2
	s_mov_b32 s21, exec_lo
	v_cmpx_gt_u32_e32 8, v2
; %bb.222:                              ;   in Loop: Header=BB208_15 Depth=1
	v_ffbh_u32_e32 v1, v24
	v_min_u32_e32 v1, 32, v1
	v_subrev_nc_u32_e32 v2, 28, v1
	v_sub_nc_u32_e32 v1, 29, v1
	v_lshlrev_b64 v[2:3], v2, v[24:25]
	v_and_b32_e32 v24, 7, v2
; %bb.223:                              ;   in Loop: Header=BB208_15 Depth=1
	s_or_b32 exec_lo, exec_lo, s21
	v_lshlrev_b32_e32 v2, 16, v0
	v_lshlrev_b32_e32 v3, 20, v24
	v_lshl_add_u32 v1, v1, 23, 0x3c000000
	v_and_b32_e32 v2, 0x80000000, v2
	v_or3_b32 v2, v3, v2, v1
	v_mov_b32_e32 v1, v25
	buffer_store_dword v1, off, s[0:3], s32 offset:416 ; 4-byte Folded Spill
	buffer_store_dword v2, off, s[0:3], s32 offset:420 ; 4-byte Folded Spill
.LBB208_224:                            ;   in Loop: Header=BB208_15 Depth=1
	s_or_b32 exec_lo, exec_lo, s20
.LBB208_225:                            ;   in Loop: Header=BB208_15 Depth=1
	s_or_b32 exec_lo, exec_lo, s19
.LBB208_226:                            ;   in Loop: Header=BB208_15 Depth=1
	s_or_b32 exec_lo, exec_lo, s18
	v_mov_b32_e32 v2, 0
	v_mov_b32_e32 v3, 0
	v_and_b32_sdwa v1, v0, v6 dst_sel:DWORD dst_unused:UNUSED_PAD src0_sel:WORD_1 src1_sel:DWORD
	s_mov_b32 s18, exec_lo
	buffer_store_dword v2, off, s[0:3], s32 offset:424 ; 4-byte Folded Spill
	buffer_store_dword v3, off, s[0:3], s32 offset:428 ; 4-byte Folded Spill
	v_mov_b32_e32 v2, 0
	v_mov_b32_e32 v3, 0
	buffer_store_dword v2, off, s[0:3], s32 offset:432 ; 4-byte Folded Spill
	buffer_store_dword v3, off, s[0:3], s32 offset:436 ; 4-byte Folded Spill
	v_cmpx_ne_u16_e32 0, v1
	s_cbranch_execz .LBB208_234
; %bb.227:                              ;   in Loop: Header=BB208_15 Depth=1
	v_cmp_ne_u16_e64 s5, 0x80, v1
	v_bfrev_b32_e32 v1, 1
	v_mov_b32_e32 v2, 0
	buffer_store_dword v1, off, s[0:3], s32 offset:432 ; 4-byte Folded Spill
	buffer_store_dword v2, off, s[0:3], s32 offset:436 ; 4-byte Folded Spill
	s_and_saveexec_b32 s19, s5
	s_cbranch_execz .LBB208_233
; %bb.228:                              ;   in Loop: Header=BB208_15 Depth=1
	v_mov_b32_e32 v3, 0x7f800001
	v_bfe_u32 v2, v0, 16, 7
	v_mov_b32_e32 v4, 0
	s_mov_b32 s20, exec_lo
	buffer_store_dword v3, off, s[0:3], s32 offset:432 ; 4-byte Folded Spill
	buffer_store_dword v4, off, s[0:3], s32 offset:436 ; 4-byte Folded Spill
	v_cmpx_ne_u32_e32 0x7f, v2
	s_cbranch_execz .LBB208_232
; %bb.229:                              ;   in Loop: Header=BB208_15 Depth=1
	v_mov_b32_e32 v1, 7
	s_mov_b32 s21, exec_lo
	v_and_b32_sdwa v24, v0, v1 dst_sel:DWORD dst_unused:UNUSED_PAD src0_sel:WORD_1 src1_sel:DWORD
	v_lshrrev_b32_e32 v1, 3, v2
	v_cmpx_gt_u32_e32 8, v2
; %bb.230:                              ;   in Loop: Header=BB208_15 Depth=1
	v_ffbh_u32_e32 v1, v24
	v_min_u32_e32 v1, 32, v1
	v_subrev_nc_u32_e32 v2, 28, v1
	v_sub_nc_u32_e32 v1, 29, v1
	v_lshlrev_b64 v[2:3], v2, v[24:25]
	v_and_b32_e32 v24, 7, v2
; %bb.231:                              ;   in Loop: Header=BB208_15 Depth=1
	s_or_b32 exec_lo, exec_lo, s21
	v_mov_b32_e32 v2, 24
	v_lshlrev_b32_e32 v3, 20, v24
	v_lshl_add_u32 v1, v1, 23, 0x3c000000
	v_lshlrev_b32_sdwa v2, v2, v0 dst_sel:DWORD dst_unused:UNUSED_PAD src0_sel:DWORD src1_sel:WORD_1
	v_and_b32_e32 v2, 0x80000000, v2
	v_or3_b32 v24, v3, v2, v1
	buffer_store_dword v24, off, s[0:3], s32 offset:432 ; 4-byte Folded Spill
	buffer_store_dword v25, off, s[0:3], s32 offset:436 ; 4-byte Folded Spill
.LBB208_232:                            ;   in Loop: Header=BB208_15 Depth=1
	s_or_b32 exec_lo, exec_lo, s20
.LBB208_233:                            ;   in Loop: Header=BB208_15 Depth=1
	s_or_b32 exec_lo, exec_lo, s19
.LBB208_234:                            ;   in Loop: Header=BB208_15 Depth=1
	s_or_b32 exec_lo, exec_lo, s18
	s_mov_b32 s18, exec_lo
	v_cmpx_lt_u32_e32 0xffffff, v0
	s_cbranch_execz .LBB208_242
; %bb.235:                              ;   in Loop: Header=BB208_15 Depth=1
	v_mov_b32_e32 v1, 0x80
	v_mov_b32_e32 v110, v25
	buffer_store_dword v110, off, s[0:3], s32 offset:424 ; 4-byte Folded Spill
	buffer_store_dword v111, off, s[0:3], s32 offset:428 ; 4-byte Folded Spill
	v_cmp_ne_u32_sdwa s5, v0, v1 src0_sel:BYTE_3 src1_sel:DWORD
	s_and_saveexec_b32 s19, s5
	s_cbranch_execz .LBB208_241
; %bb.236:                              ;   in Loop: Header=BB208_15 Depth=1
	v_bfe_u32 v2, v0, 24, 7
	v_mov_b32_e32 v106, v25
	s_mov_b32 s20, exec_lo
	buffer_store_dword v106, off, s[0:3], s32 offset:424 ; 4-byte Folded Spill
	buffer_store_dword v107, off, s[0:3], s32 offset:428 ; 4-byte Folded Spill
	v_cmpx_ne_u32_e32 0x7f, v2
	s_cbranch_execz .LBB208_240
; %bb.237:                              ;   in Loop: Header=BB208_15 Depth=1
	v_mov_b32_e32 v1, 7
	s_mov_b32 s21, exec_lo
	v_and_b32_sdwa v24, v0, v1 dst_sel:DWORD dst_unused:UNUSED_PAD src0_sel:BYTE_3 src1_sel:DWORD
	v_lshrrev_b32_e32 v1, 3, v2
	v_cmpx_gt_u32_e32 8, v2
; %bb.238:                              ;   in Loop: Header=BB208_15 Depth=1
	v_ffbh_u32_e32 v1, v24
	v_min_u32_e32 v1, 32, v1
	v_subrev_nc_u32_e32 v2, 28, v1
	v_sub_nc_u32_e32 v1, 29, v1
	v_lshlrev_b64 v[2:3], v2, v[24:25]
	v_and_b32_e32 v24, 7, v2
; %bb.239:                              ;   in Loop: Header=BB208_15 Depth=1
	s_or_b32 exec_lo, exec_lo, s21
	v_mov_b32_e32 v2, 24
	v_lshl_add_u32 v1, v1, 23, 0x3c000000
	v_lshlrev_b32_sdwa v0, v2, v0 dst_sel:DWORD dst_unused:UNUSED_PAD src0_sel:DWORD src1_sel:BYTE_3
	v_lshlrev_b32_e32 v2, 20, v24
	v_and_b32_e32 v0, 0x80000000, v0
	v_or3_b32 v1, v2, v0, v1
	v_mov_b32_e32 v0, v25
	buffer_store_dword v0, off, s[0:3], s32 offset:424 ; 4-byte Folded Spill
	buffer_store_dword v1, off, s[0:3], s32 offset:428 ; 4-byte Folded Spill
.LBB208_240:                            ;   in Loop: Header=BB208_15 Depth=1
	s_or_b32 exec_lo, exec_lo, s20
.LBB208_241:                            ;   in Loop: Header=BB208_15 Depth=1
	s_or_b32 exec_lo, exec_lo, s19
.LBB208_242:                            ;   in Loop: Header=BB208_15 Depth=1
	s_or_b32 exec_lo, exec_lo, s18
	flat_load_dword v0, v[108:109] offset:524
	v_mov_b32_e32 v1, 0
	v_mov_b32_e32 v2, 0
	buffer_store_dword v1, off, s[0:3], s32 offset:448 ; 4-byte Folded Spill
	buffer_store_dword v2, off, s[0:3], s32 offset:452 ; 4-byte Folded Spill
	v_mov_b32_e32 v1, 0
	v_mov_b32_e32 v2, 0
	buffer_store_dword v1, off, s[0:3], s32 offset:440 ; 4-byte Folded Spill
	buffer_store_dword v2, off, s[0:3], s32 offset:444 ; 4-byte Folded Spill
	s_waitcnt vmcnt(0) lgkmcnt(0)
	v_cmp_ne_u16_sdwa s5, v0, v25 src0_sel:BYTE_0 src1_sel:DWORD
	s_and_saveexec_b32 s18, s5
	s_cbranch_execz .LBB208_250
; %bb.243:                              ;   in Loop: Header=BB208_15 Depth=1
	v_bfrev_b32_e32 v1, 1
	v_mov_b32_e32 v2, 0
	buffer_store_dword v1, off, s[0:3], s32 offset:440 ; 4-byte Folded Spill
	buffer_store_dword v2, off, s[0:3], s32 offset:444 ; 4-byte Folded Spill
	v_mov_b32_e32 v1, 0x80
	v_cmp_ne_u16_sdwa s5, v0, v1 src0_sel:BYTE_0 src1_sel:DWORD
	s_and_saveexec_b32 s19, s5
	s_cbranch_execz .LBB208_249
; %bb.244:                              ;   in Loop: Header=BB208_15 Depth=1
	v_mov_b32_e32 v3, 0x7f800001
	v_and_b32_e32 v2, 0x7f, v0
	v_mov_b32_e32 v4, 0
	s_mov_b32 s20, exec_lo
	buffer_store_dword v3, off, s[0:3], s32 offset:440 ; 4-byte Folded Spill
	buffer_store_dword v4, off, s[0:3], s32 offset:444 ; 4-byte Folded Spill
	v_cmpx_ne_u32_e32 0x7f, v2
	s_cbranch_execz .LBB208_248
; %bb.245:                              ;   in Loop: Header=BB208_15 Depth=1
	v_and_b32_e32 v24, 7, v0
	v_lshrrev_b32_e32 v1, 3, v2
	s_mov_b32 s21, exec_lo
	v_cmpx_gt_u32_e32 8, v2
; %bb.246:                              ;   in Loop: Header=BB208_15 Depth=1
	v_ffbh_u32_e32 v1, v24
	v_min_u32_e32 v1, 32, v1
	v_subrev_nc_u32_e32 v2, 28, v1
	v_sub_nc_u32_e32 v1, 29, v1
	v_lshlrev_b64 v[2:3], v2, v[24:25]
	v_and_b32_e32 v24, 7, v2
; %bb.247:                              ;   in Loop: Header=BB208_15 Depth=1
	s_or_b32 exec_lo, exec_lo, s21
	v_lshlrev_b32_e32 v2, 24, v0
	v_lshlrev_b32_e32 v3, 20, v24
	v_lshl_add_u32 v1, v1, 23, 0x3c000000
	v_and_b32_e32 v2, 0x80000000, v2
	v_or3_b32 v24, v3, v2, v1
	buffer_store_dword v24, off, s[0:3], s32 offset:440 ; 4-byte Folded Spill
	buffer_store_dword v25, off, s[0:3], s32 offset:444 ; 4-byte Folded Spill
.LBB208_248:                            ;   in Loop: Header=BB208_15 Depth=1
	s_or_b32 exec_lo, exec_lo, s20
.LBB208_249:                            ;   in Loop: Header=BB208_15 Depth=1
	s_or_b32 exec_lo, exec_lo, s19
.LBB208_250:                            ;   in Loop: Header=BB208_15 Depth=1
	s_or_b32 exec_lo, exec_lo, s18
	v_cmp_ne_u16_sdwa s5, v0, v25 src0_sel:BYTE_1 src1_sel:DWORD
	s_and_saveexec_b32 s18, s5
	s_cbranch_execz .LBB208_258
; %bb.251:                              ;   in Loop: Header=BB208_15 Depth=1
	v_mov_b32_e32 v1, 0x80
	v_mov_b32_e32 v110, v25
	buffer_store_dword v110, off, s[0:3], s32 offset:448 ; 4-byte Folded Spill
	buffer_store_dword v111, off, s[0:3], s32 offset:452 ; 4-byte Folded Spill
	v_cmp_ne_u16_sdwa s5, v0, v1 src0_sel:BYTE_1 src1_sel:DWORD
	s_and_saveexec_b32 s19, s5
	s_cbranch_execz .LBB208_257
; %bb.252:                              ;   in Loop: Header=BB208_15 Depth=1
	v_mov_b32_e32 v1, 0xffff
	v_mov_b32_e32 v106, v25
	s_mov_b32 s20, exec_lo
	buffer_store_dword v106, off, s[0:3], s32 offset:448 ; 4-byte Folded Spill
	buffer_store_dword v107, off, s[0:3], s32 offset:452 ; 4-byte Folded Spill
	v_and_b32_sdwa v1, v1, v0 dst_sel:DWORD dst_unused:UNUSED_PAD src0_sel:DWORD src1_sel:BYTE_1
	v_and_b32_e32 v2, 0x7f, v1
	v_cmpx_ne_u32_e32 0x7f, v2
	s_cbranch_execz .LBB208_256
; %bb.253:                              ;   in Loop: Header=BB208_15 Depth=1
	v_and_b32_e32 v24, 7, v1
	v_lshrrev_b32_e32 v1, 3, v2
	s_mov_b32 s21, exec_lo
	v_cmpx_gt_u32_e32 8, v2
; %bb.254:                              ;   in Loop: Header=BB208_15 Depth=1
	v_ffbh_u32_e32 v1, v24
	v_min_u32_e32 v1, 32, v1
	v_subrev_nc_u32_e32 v2, 28, v1
	v_sub_nc_u32_e32 v1, 29, v1
	v_lshlrev_b64 v[2:3], v2, v[24:25]
	v_and_b32_e32 v24, 7, v2
; %bb.255:                              ;   in Loop: Header=BB208_15 Depth=1
	s_or_b32 exec_lo, exec_lo, s21
	v_lshlrev_b32_e32 v2, 16, v0
	v_lshlrev_b32_e32 v3, 20, v24
	v_lshl_add_u32 v1, v1, 23, 0x3c000000
	v_and_b32_e32 v2, 0x80000000, v2
	v_or3_b32 v2, v3, v2, v1
	v_mov_b32_e32 v1, v25
	buffer_store_dword v1, off, s[0:3], s32 offset:448 ; 4-byte Folded Spill
	buffer_store_dword v2, off, s[0:3], s32 offset:452 ; 4-byte Folded Spill
.LBB208_256:                            ;   in Loop: Header=BB208_15 Depth=1
	s_or_b32 exec_lo, exec_lo, s20
.LBB208_257:                            ;   in Loop: Header=BB208_15 Depth=1
	s_or_b32 exec_lo, exec_lo, s19
.LBB208_258:                            ;   in Loop: Header=BB208_15 Depth=1
	s_or_b32 exec_lo, exec_lo, s18
	v_mov_b32_e32 v2, 0
	v_mov_b32_e32 v3, 0
	v_and_b32_sdwa v1, v0, v6 dst_sel:DWORD dst_unused:UNUSED_PAD src0_sel:WORD_1 src1_sel:DWORD
	s_mov_b32 s18, exec_lo
	buffer_store_dword v2, off, s[0:3], s32 offset:472 ; 4-byte Folded Spill
	buffer_store_dword v3, off, s[0:3], s32 offset:476 ; 4-byte Folded Spill
	v_mov_b32_e32 v2, 0
	v_mov_b32_e32 v3, 0
	buffer_store_dword v2, off, s[0:3], s32 offset:464 ; 4-byte Folded Spill
	buffer_store_dword v3, off, s[0:3], s32 offset:468 ; 4-byte Folded Spill
	v_cmpx_ne_u16_e32 0, v1
	s_cbranch_execz .LBB208_266
; %bb.259:                              ;   in Loop: Header=BB208_15 Depth=1
	v_cmp_ne_u16_e64 s5, 0x80, v1
	v_bfrev_b32_e32 v1, 1
	v_mov_b32_e32 v2, 0
	buffer_store_dword v1, off, s[0:3], s32 offset:464 ; 4-byte Folded Spill
	buffer_store_dword v2, off, s[0:3], s32 offset:468 ; 4-byte Folded Spill
	s_and_saveexec_b32 s19, s5
	s_cbranch_execz .LBB208_265
; %bb.260:                              ;   in Loop: Header=BB208_15 Depth=1
	v_mov_b32_e32 v3, 0x7f800001
	v_bfe_u32 v2, v0, 16, 7
	v_mov_b32_e32 v4, 0
	s_mov_b32 s20, exec_lo
	buffer_store_dword v3, off, s[0:3], s32 offset:464 ; 4-byte Folded Spill
	buffer_store_dword v4, off, s[0:3], s32 offset:468 ; 4-byte Folded Spill
	v_cmpx_ne_u32_e32 0x7f, v2
	s_cbranch_execz .LBB208_264
; %bb.261:                              ;   in Loop: Header=BB208_15 Depth=1
	v_mov_b32_e32 v1, 7
	s_mov_b32 s21, exec_lo
	v_and_b32_sdwa v24, v0, v1 dst_sel:DWORD dst_unused:UNUSED_PAD src0_sel:WORD_1 src1_sel:DWORD
	v_lshrrev_b32_e32 v1, 3, v2
	v_cmpx_gt_u32_e32 8, v2
; %bb.262:                              ;   in Loop: Header=BB208_15 Depth=1
	v_ffbh_u32_e32 v1, v24
	v_min_u32_e32 v1, 32, v1
	v_subrev_nc_u32_e32 v2, 28, v1
	v_sub_nc_u32_e32 v1, 29, v1
	v_lshlrev_b64 v[2:3], v2, v[24:25]
	v_and_b32_e32 v24, 7, v2
; %bb.263:                              ;   in Loop: Header=BB208_15 Depth=1
	s_or_b32 exec_lo, exec_lo, s21
	v_mov_b32_e32 v2, 24
	v_lshlrev_b32_e32 v3, 20, v24
	v_lshl_add_u32 v1, v1, 23, 0x3c000000
	v_lshlrev_b32_sdwa v2, v2, v0 dst_sel:DWORD dst_unused:UNUSED_PAD src0_sel:DWORD src1_sel:WORD_1
	v_and_b32_e32 v2, 0x80000000, v2
	v_or3_b32 v24, v3, v2, v1
	buffer_store_dword v24, off, s[0:3], s32 offset:464 ; 4-byte Folded Spill
	buffer_store_dword v25, off, s[0:3], s32 offset:468 ; 4-byte Folded Spill
.LBB208_264:                            ;   in Loop: Header=BB208_15 Depth=1
	s_or_b32 exec_lo, exec_lo, s20
.LBB208_265:                            ;   in Loop: Header=BB208_15 Depth=1
	s_or_b32 exec_lo, exec_lo, s19
.LBB208_266:                            ;   in Loop: Header=BB208_15 Depth=1
	s_or_b32 exec_lo, exec_lo, s18
	s_mov_b32 s18, exec_lo
	v_cmpx_lt_u32_e32 0xffffff, v0
	s_cbranch_execz .LBB208_274
; %bb.267:                              ;   in Loop: Header=BB208_15 Depth=1
	v_mov_b32_e32 v1, 0x80
	v_mov_b32_e32 v110, v25
	buffer_store_dword v110, off, s[0:3], s32 offset:472 ; 4-byte Folded Spill
	buffer_store_dword v111, off, s[0:3], s32 offset:476 ; 4-byte Folded Spill
	v_cmp_ne_u32_sdwa s5, v0, v1 src0_sel:BYTE_3 src1_sel:DWORD
	s_and_saveexec_b32 s19, s5
	s_cbranch_execz .LBB208_273
; %bb.268:                              ;   in Loop: Header=BB208_15 Depth=1
	v_bfe_u32 v2, v0, 24, 7
	v_mov_b32_e32 v106, v25
	s_mov_b32 s20, exec_lo
	buffer_store_dword v106, off, s[0:3], s32 offset:472 ; 4-byte Folded Spill
	buffer_store_dword v107, off, s[0:3], s32 offset:476 ; 4-byte Folded Spill
	v_cmpx_ne_u32_e32 0x7f, v2
	s_cbranch_execz .LBB208_272
; %bb.269:                              ;   in Loop: Header=BB208_15 Depth=1
	v_mov_b32_e32 v1, 7
	s_mov_b32 s21, exec_lo
	v_and_b32_sdwa v24, v0, v1 dst_sel:DWORD dst_unused:UNUSED_PAD src0_sel:BYTE_3 src1_sel:DWORD
	v_lshrrev_b32_e32 v1, 3, v2
	v_cmpx_gt_u32_e32 8, v2
; %bb.270:                              ;   in Loop: Header=BB208_15 Depth=1
	v_ffbh_u32_e32 v1, v24
	v_min_u32_e32 v1, 32, v1
	v_subrev_nc_u32_e32 v2, 28, v1
	v_sub_nc_u32_e32 v1, 29, v1
	v_lshlrev_b64 v[2:3], v2, v[24:25]
	v_and_b32_e32 v24, 7, v2
; %bb.271:                              ;   in Loop: Header=BB208_15 Depth=1
	s_or_b32 exec_lo, exec_lo, s21
	v_mov_b32_e32 v2, 24
	v_lshl_add_u32 v1, v1, 23, 0x3c000000
	v_lshlrev_b32_sdwa v0, v2, v0 dst_sel:DWORD dst_unused:UNUSED_PAD src0_sel:DWORD src1_sel:BYTE_3
	v_lshlrev_b32_e32 v2, 20, v24
	v_and_b32_e32 v0, 0x80000000, v0
	v_or3_b32 v1, v2, v0, v1
	v_mov_b32_e32 v0, v25
	buffer_store_dword v0, off, s[0:3], s32 offset:472 ; 4-byte Folded Spill
	buffer_store_dword v1, off, s[0:3], s32 offset:476 ; 4-byte Folded Spill
.LBB208_272:                            ;   in Loop: Header=BB208_15 Depth=1
	s_or_b32 exec_lo, exec_lo, s20
.LBB208_273:                            ;   in Loop: Header=BB208_15 Depth=1
	s_or_b32 exec_lo, exec_lo, s19
.LBB208_274:                            ;   in Loop: Header=BB208_15 Depth=1
	s_or_b32 exec_lo, exec_lo, s18
	flat_load_dword v0, v[108:109] offset:1024
	v_mov_b32_e32 v1, 0
	v_mov_b32_e32 v2, 0
	buffer_store_dword v1, off, s[0:3], s32 offset:480 ; 4-byte Folded Spill
	buffer_store_dword v2, off, s[0:3], s32 offset:484 ; 4-byte Folded Spill
	v_mov_b32_e32 v1, 0
	v_mov_b32_e32 v2, 0
	buffer_store_dword v1, off, s[0:3], s32 offset:504 ; 4-byte Folded Spill
	buffer_store_dword v2, off, s[0:3], s32 offset:508 ; 4-byte Folded Spill
	s_waitcnt vmcnt(0) lgkmcnt(0)
	v_cmp_ne_u16_sdwa s5, v0, v25 src0_sel:BYTE_0 src1_sel:DWORD
	s_and_saveexec_b32 s18, s5
	s_cbranch_execz .LBB208_282
; %bb.275:                              ;   in Loop: Header=BB208_15 Depth=1
	v_bfrev_b32_e32 v1, 1
	v_mov_b32_e32 v2, 0
	buffer_store_dword v1, off, s[0:3], s32 offset:504 ; 4-byte Folded Spill
	buffer_store_dword v2, off, s[0:3], s32 offset:508 ; 4-byte Folded Spill
	v_mov_b32_e32 v1, 0x80
	v_cmp_ne_u16_sdwa s5, v0, v1 src0_sel:BYTE_0 src1_sel:DWORD
	s_and_saveexec_b32 s19, s5
	s_cbranch_execz .LBB208_281
; %bb.276:                              ;   in Loop: Header=BB208_15 Depth=1
	v_mov_b32_e32 v3, 0x7f800001
	v_and_b32_e32 v2, 0x7f, v0
	v_mov_b32_e32 v4, 0
	s_mov_b32 s20, exec_lo
	buffer_store_dword v3, off, s[0:3], s32 offset:504 ; 4-byte Folded Spill
	buffer_store_dword v4, off, s[0:3], s32 offset:508 ; 4-byte Folded Spill
	v_cmpx_ne_u32_e32 0x7f, v2
	s_cbranch_execz .LBB208_280
; %bb.277:                              ;   in Loop: Header=BB208_15 Depth=1
	v_and_b32_e32 v24, 7, v0
	v_lshrrev_b32_e32 v1, 3, v2
	s_mov_b32 s21, exec_lo
	v_cmpx_gt_u32_e32 8, v2
; %bb.278:                              ;   in Loop: Header=BB208_15 Depth=1
	v_ffbh_u32_e32 v1, v24
	v_min_u32_e32 v1, 32, v1
	v_subrev_nc_u32_e32 v2, 28, v1
	v_sub_nc_u32_e32 v1, 29, v1
	v_lshlrev_b64 v[2:3], v2, v[24:25]
	v_and_b32_e32 v24, 7, v2
; %bb.279:                              ;   in Loop: Header=BB208_15 Depth=1
	s_or_b32 exec_lo, exec_lo, s21
	v_lshlrev_b32_e32 v2, 24, v0
	v_lshlrev_b32_e32 v3, 20, v24
	v_lshl_add_u32 v1, v1, 23, 0x3c000000
	v_and_b32_e32 v2, 0x80000000, v2
	v_or3_b32 v24, v3, v2, v1
	buffer_store_dword v24, off, s[0:3], s32 offset:504 ; 4-byte Folded Spill
	buffer_store_dword v25, off, s[0:3], s32 offset:508 ; 4-byte Folded Spill
.LBB208_280:                            ;   in Loop: Header=BB208_15 Depth=1
	s_or_b32 exec_lo, exec_lo, s20
.LBB208_281:                            ;   in Loop: Header=BB208_15 Depth=1
	s_or_b32 exec_lo, exec_lo, s19
.LBB208_282:                            ;   in Loop: Header=BB208_15 Depth=1
	s_or_b32 exec_lo, exec_lo, s18
	v_cmp_ne_u16_sdwa s5, v0, v25 src0_sel:BYTE_1 src1_sel:DWORD
	s_and_saveexec_b32 s18, s5
	s_cbranch_execz .LBB208_290
; %bb.283:                              ;   in Loop: Header=BB208_15 Depth=1
	v_mov_b32_e32 v1, 0x80
	v_mov_b32_e32 v110, v25
	buffer_store_dword v110, off, s[0:3], s32 offset:480 ; 4-byte Folded Spill
	buffer_store_dword v111, off, s[0:3], s32 offset:484 ; 4-byte Folded Spill
	v_cmp_ne_u16_sdwa s5, v0, v1 src0_sel:BYTE_1 src1_sel:DWORD
	s_and_saveexec_b32 s19, s5
	s_cbranch_execz .LBB208_289
; %bb.284:                              ;   in Loop: Header=BB208_15 Depth=1
	v_mov_b32_e32 v1, 0xffff
	v_mov_b32_e32 v106, v25
	s_mov_b32 s20, exec_lo
	buffer_store_dword v106, off, s[0:3], s32 offset:480 ; 4-byte Folded Spill
	buffer_store_dword v107, off, s[0:3], s32 offset:484 ; 4-byte Folded Spill
	v_and_b32_sdwa v1, v1, v0 dst_sel:DWORD dst_unused:UNUSED_PAD src0_sel:DWORD src1_sel:BYTE_1
	v_and_b32_e32 v2, 0x7f, v1
	v_cmpx_ne_u32_e32 0x7f, v2
	s_cbranch_execz .LBB208_288
; %bb.285:                              ;   in Loop: Header=BB208_15 Depth=1
	v_and_b32_e32 v24, 7, v1
	v_lshrrev_b32_e32 v1, 3, v2
	s_mov_b32 s21, exec_lo
	v_cmpx_gt_u32_e32 8, v2
; %bb.286:                              ;   in Loop: Header=BB208_15 Depth=1
	v_ffbh_u32_e32 v1, v24
	v_min_u32_e32 v1, 32, v1
	v_subrev_nc_u32_e32 v2, 28, v1
	v_sub_nc_u32_e32 v1, 29, v1
	v_lshlrev_b64 v[2:3], v2, v[24:25]
	v_and_b32_e32 v24, 7, v2
; %bb.287:                              ;   in Loop: Header=BB208_15 Depth=1
	s_or_b32 exec_lo, exec_lo, s21
	v_lshlrev_b32_e32 v2, 16, v0
	v_lshlrev_b32_e32 v3, 20, v24
	v_lshl_add_u32 v1, v1, 23, 0x3c000000
	v_and_b32_e32 v2, 0x80000000, v2
	v_or3_b32 v2, v3, v2, v1
	v_mov_b32_e32 v1, v25
	buffer_store_dword v1, off, s[0:3], s32 offset:480 ; 4-byte Folded Spill
	buffer_store_dword v2, off, s[0:3], s32 offset:484 ; 4-byte Folded Spill
.LBB208_288:                            ;   in Loop: Header=BB208_15 Depth=1
	s_or_b32 exec_lo, exec_lo, s20
.LBB208_289:                            ;   in Loop: Header=BB208_15 Depth=1
	s_or_b32 exec_lo, exec_lo, s19
.LBB208_290:                            ;   in Loop: Header=BB208_15 Depth=1
	s_or_b32 exec_lo, exec_lo, s18
	v_mov_b32_e32 v2, 0
	v_mov_b32_e32 v3, 0
	v_and_b32_sdwa v1, v0, v6 dst_sel:DWORD dst_unused:UNUSED_PAD src0_sel:WORD_1 src1_sel:DWORD
	s_mov_b32 s18, exec_lo
	buffer_store_dword v2, off, s[0:3], s32 offset:488 ; 4-byte Folded Spill
	buffer_store_dword v3, off, s[0:3], s32 offset:492 ; 4-byte Folded Spill
	v_mov_b32_e32 v2, 0
	v_mov_b32_e32 v3, 0
	buffer_store_dword v2, off, s[0:3], s32 offset:496 ; 4-byte Folded Spill
	buffer_store_dword v3, off, s[0:3], s32 offset:500 ; 4-byte Folded Spill
	v_cmpx_ne_u16_e32 0, v1
	s_cbranch_execz .LBB208_298
; %bb.291:                              ;   in Loop: Header=BB208_15 Depth=1
	v_cmp_ne_u16_e64 s5, 0x80, v1
	v_bfrev_b32_e32 v1, 1
	v_mov_b32_e32 v2, 0
	buffer_store_dword v1, off, s[0:3], s32 offset:496 ; 4-byte Folded Spill
	buffer_store_dword v2, off, s[0:3], s32 offset:500 ; 4-byte Folded Spill
	s_and_saveexec_b32 s19, s5
	s_cbranch_execz .LBB208_297
; %bb.292:                              ;   in Loop: Header=BB208_15 Depth=1
	v_mov_b32_e32 v3, 0x7f800001
	v_bfe_u32 v2, v0, 16, 7
	v_mov_b32_e32 v4, 0
	s_mov_b32 s20, exec_lo
	buffer_store_dword v3, off, s[0:3], s32 offset:496 ; 4-byte Folded Spill
	buffer_store_dword v4, off, s[0:3], s32 offset:500 ; 4-byte Folded Spill
	v_cmpx_ne_u32_e32 0x7f, v2
	s_cbranch_execz .LBB208_296
; %bb.293:                              ;   in Loop: Header=BB208_15 Depth=1
	v_mov_b32_e32 v1, 7
	s_mov_b32 s21, exec_lo
	v_and_b32_sdwa v24, v0, v1 dst_sel:DWORD dst_unused:UNUSED_PAD src0_sel:WORD_1 src1_sel:DWORD
	v_lshrrev_b32_e32 v1, 3, v2
	v_cmpx_gt_u32_e32 8, v2
; %bb.294:                              ;   in Loop: Header=BB208_15 Depth=1
	v_ffbh_u32_e32 v1, v24
	v_min_u32_e32 v1, 32, v1
	v_subrev_nc_u32_e32 v2, 28, v1
	v_sub_nc_u32_e32 v1, 29, v1
	v_lshlrev_b64 v[2:3], v2, v[24:25]
	v_and_b32_e32 v24, 7, v2
; %bb.295:                              ;   in Loop: Header=BB208_15 Depth=1
	s_or_b32 exec_lo, exec_lo, s21
	v_mov_b32_e32 v2, 24
	v_lshlrev_b32_e32 v3, 20, v24
	v_lshl_add_u32 v1, v1, 23, 0x3c000000
	v_lshlrev_b32_sdwa v2, v2, v0 dst_sel:DWORD dst_unused:UNUSED_PAD src0_sel:DWORD src1_sel:WORD_1
	v_and_b32_e32 v2, 0x80000000, v2
	v_or3_b32 v24, v3, v2, v1
	buffer_store_dword v24, off, s[0:3], s32 offset:496 ; 4-byte Folded Spill
	buffer_store_dword v25, off, s[0:3], s32 offset:500 ; 4-byte Folded Spill
.LBB208_296:                            ;   in Loop: Header=BB208_15 Depth=1
	s_or_b32 exec_lo, exec_lo, s20
.LBB208_297:                            ;   in Loop: Header=BB208_15 Depth=1
	s_or_b32 exec_lo, exec_lo, s19
.LBB208_298:                            ;   in Loop: Header=BB208_15 Depth=1
	s_or_b32 exec_lo, exec_lo, s18
	s_mov_b32 s18, exec_lo
	v_cmpx_lt_u32_e32 0xffffff, v0
	s_cbranch_execz .LBB208_306
; %bb.299:                              ;   in Loop: Header=BB208_15 Depth=1
	v_mov_b32_e32 v1, 0x80
	v_mov_b32_e32 v110, v25
	buffer_store_dword v110, off, s[0:3], s32 offset:488 ; 4-byte Folded Spill
	buffer_store_dword v111, off, s[0:3], s32 offset:492 ; 4-byte Folded Spill
	v_cmp_ne_u32_sdwa s5, v0, v1 src0_sel:BYTE_3 src1_sel:DWORD
	s_and_saveexec_b32 s19, s5
	s_cbranch_execz .LBB208_305
; %bb.300:                              ;   in Loop: Header=BB208_15 Depth=1
	v_bfe_u32 v2, v0, 24, 7
	v_mov_b32_e32 v106, v25
	s_mov_b32 s20, exec_lo
	buffer_store_dword v106, off, s[0:3], s32 offset:488 ; 4-byte Folded Spill
	buffer_store_dword v107, off, s[0:3], s32 offset:492 ; 4-byte Folded Spill
	v_cmpx_ne_u32_e32 0x7f, v2
	s_cbranch_execz .LBB208_304
; %bb.301:                              ;   in Loop: Header=BB208_15 Depth=1
	v_mov_b32_e32 v1, 7
	s_mov_b32 s21, exec_lo
	v_and_b32_sdwa v24, v0, v1 dst_sel:DWORD dst_unused:UNUSED_PAD src0_sel:BYTE_3 src1_sel:DWORD
	v_lshrrev_b32_e32 v1, 3, v2
	v_cmpx_gt_u32_e32 8, v2
; %bb.302:                              ;   in Loop: Header=BB208_15 Depth=1
	v_ffbh_u32_e32 v1, v24
	v_min_u32_e32 v1, 32, v1
	v_subrev_nc_u32_e32 v2, 28, v1
	v_sub_nc_u32_e32 v1, 29, v1
	v_lshlrev_b64 v[2:3], v2, v[24:25]
	v_and_b32_e32 v24, 7, v2
; %bb.303:                              ;   in Loop: Header=BB208_15 Depth=1
	s_or_b32 exec_lo, exec_lo, s21
	v_mov_b32_e32 v2, 24
	v_lshl_add_u32 v1, v1, 23, 0x3c000000
	v_lshlrev_b32_sdwa v0, v2, v0 dst_sel:DWORD dst_unused:UNUSED_PAD src0_sel:DWORD src1_sel:BYTE_3
	v_lshlrev_b32_e32 v2, 20, v24
	v_and_b32_e32 v0, 0x80000000, v0
	v_or3_b32 v1, v2, v0, v1
	v_mov_b32_e32 v0, v25
	buffer_store_dword v0, off, s[0:3], s32 offset:488 ; 4-byte Folded Spill
	buffer_store_dword v1, off, s[0:3], s32 offset:492 ; 4-byte Folded Spill
.LBB208_304:                            ;   in Loop: Header=BB208_15 Depth=1
	s_or_b32 exec_lo, exec_lo, s20
.LBB208_305:                            ;   in Loop: Header=BB208_15 Depth=1
	s_or_b32 exec_lo, exec_lo, s19
.LBB208_306:                            ;   in Loop: Header=BB208_15 Depth=1
	s_or_b32 exec_lo, exec_lo, s18
	flat_load_dword v0, v[108:109] offset:1028
	v_mov_b32_e32 v1, 0
	v_mov_b32_e32 v2, 0
	buffer_store_dword v1, off, s[0:3], s32 offset:512 ; 4-byte Folded Spill
	buffer_store_dword v2, off, s[0:3], s32 offset:516 ; 4-byte Folded Spill
	v_mov_b32_e32 v1, 0
	v_mov_b32_e32 v2, 0
	buffer_store_dword v1, off, s[0:3], s32 offset:536 ; 4-byte Folded Spill
	buffer_store_dword v2, off, s[0:3], s32 offset:540 ; 4-byte Folded Spill
	s_waitcnt vmcnt(0) lgkmcnt(0)
	v_cmp_ne_u16_sdwa s5, v0, v25 src0_sel:BYTE_0 src1_sel:DWORD
	s_and_saveexec_b32 s18, s5
	s_cbranch_execz .LBB208_314
; %bb.307:                              ;   in Loop: Header=BB208_15 Depth=1
	v_bfrev_b32_e32 v1, 1
	v_mov_b32_e32 v2, 0
	buffer_store_dword v1, off, s[0:3], s32 offset:536 ; 4-byte Folded Spill
	buffer_store_dword v2, off, s[0:3], s32 offset:540 ; 4-byte Folded Spill
	v_mov_b32_e32 v1, 0x80
	v_cmp_ne_u16_sdwa s5, v0, v1 src0_sel:BYTE_0 src1_sel:DWORD
	s_and_saveexec_b32 s19, s5
	s_cbranch_execz .LBB208_313
; %bb.308:                              ;   in Loop: Header=BB208_15 Depth=1
	v_mov_b32_e32 v3, 0x7f800001
	v_and_b32_e32 v2, 0x7f, v0
	v_mov_b32_e32 v4, 0
	s_mov_b32 s20, exec_lo
	buffer_store_dword v3, off, s[0:3], s32 offset:536 ; 4-byte Folded Spill
	buffer_store_dword v4, off, s[0:3], s32 offset:540 ; 4-byte Folded Spill
	v_cmpx_ne_u32_e32 0x7f, v2
	s_cbranch_execz .LBB208_312
; %bb.309:                              ;   in Loop: Header=BB208_15 Depth=1
	v_and_b32_e32 v24, 7, v0
	v_lshrrev_b32_e32 v1, 3, v2
	s_mov_b32 s21, exec_lo
	v_cmpx_gt_u32_e32 8, v2
; %bb.310:                              ;   in Loop: Header=BB208_15 Depth=1
	v_ffbh_u32_e32 v1, v24
	v_min_u32_e32 v1, 32, v1
	v_subrev_nc_u32_e32 v2, 28, v1
	v_sub_nc_u32_e32 v1, 29, v1
	v_lshlrev_b64 v[2:3], v2, v[24:25]
	v_and_b32_e32 v24, 7, v2
; %bb.311:                              ;   in Loop: Header=BB208_15 Depth=1
	s_or_b32 exec_lo, exec_lo, s21
	v_lshlrev_b32_e32 v2, 24, v0
	v_lshlrev_b32_e32 v3, 20, v24
	v_lshl_add_u32 v1, v1, 23, 0x3c000000
	v_and_b32_e32 v2, 0x80000000, v2
	v_or3_b32 v24, v3, v2, v1
	buffer_store_dword v24, off, s[0:3], s32 offset:536 ; 4-byte Folded Spill
	buffer_store_dword v25, off, s[0:3], s32 offset:540 ; 4-byte Folded Spill
.LBB208_312:                            ;   in Loop: Header=BB208_15 Depth=1
	s_or_b32 exec_lo, exec_lo, s20
.LBB208_313:                            ;   in Loop: Header=BB208_15 Depth=1
	s_or_b32 exec_lo, exec_lo, s19
.LBB208_314:                            ;   in Loop: Header=BB208_15 Depth=1
	s_or_b32 exec_lo, exec_lo, s18
	v_cmp_ne_u16_sdwa s5, v0, v25 src0_sel:BYTE_1 src1_sel:DWORD
	s_and_saveexec_b32 s18, s5
	s_cbranch_execz .LBB208_322
; %bb.315:                              ;   in Loop: Header=BB208_15 Depth=1
	v_mov_b32_e32 v1, 0x80
	v_mov_b32_e32 v110, v25
	buffer_store_dword v110, off, s[0:3], s32 offset:512 ; 4-byte Folded Spill
	buffer_store_dword v111, off, s[0:3], s32 offset:516 ; 4-byte Folded Spill
	v_cmp_ne_u16_sdwa s5, v0, v1 src0_sel:BYTE_1 src1_sel:DWORD
	s_and_saveexec_b32 s19, s5
	s_cbranch_execz .LBB208_321
; %bb.316:                              ;   in Loop: Header=BB208_15 Depth=1
	v_mov_b32_e32 v1, 0xffff
	v_mov_b32_e32 v106, v25
	s_mov_b32 s20, exec_lo
	buffer_store_dword v106, off, s[0:3], s32 offset:512 ; 4-byte Folded Spill
	buffer_store_dword v107, off, s[0:3], s32 offset:516 ; 4-byte Folded Spill
	v_and_b32_sdwa v1, v1, v0 dst_sel:DWORD dst_unused:UNUSED_PAD src0_sel:DWORD src1_sel:BYTE_1
	v_and_b32_e32 v2, 0x7f, v1
	v_cmpx_ne_u32_e32 0x7f, v2
	s_cbranch_execz .LBB208_320
; %bb.317:                              ;   in Loop: Header=BB208_15 Depth=1
	v_and_b32_e32 v24, 7, v1
	v_lshrrev_b32_e32 v1, 3, v2
	s_mov_b32 s21, exec_lo
	v_cmpx_gt_u32_e32 8, v2
; %bb.318:                              ;   in Loop: Header=BB208_15 Depth=1
	v_ffbh_u32_e32 v1, v24
	v_min_u32_e32 v1, 32, v1
	v_subrev_nc_u32_e32 v2, 28, v1
	v_sub_nc_u32_e32 v1, 29, v1
	v_lshlrev_b64 v[2:3], v2, v[24:25]
	v_and_b32_e32 v24, 7, v2
; %bb.319:                              ;   in Loop: Header=BB208_15 Depth=1
	s_or_b32 exec_lo, exec_lo, s21
	v_lshlrev_b32_e32 v2, 16, v0
	v_lshlrev_b32_e32 v3, 20, v24
	v_lshl_add_u32 v1, v1, 23, 0x3c000000
	v_and_b32_e32 v2, 0x80000000, v2
	v_or3_b32 v2, v3, v2, v1
	v_mov_b32_e32 v1, v25
	buffer_store_dword v1, off, s[0:3], s32 offset:512 ; 4-byte Folded Spill
	buffer_store_dword v2, off, s[0:3], s32 offset:516 ; 4-byte Folded Spill
.LBB208_320:                            ;   in Loop: Header=BB208_15 Depth=1
	s_or_b32 exec_lo, exec_lo, s20
.LBB208_321:                            ;   in Loop: Header=BB208_15 Depth=1
	s_or_b32 exec_lo, exec_lo, s19
.LBB208_322:                            ;   in Loop: Header=BB208_15 Depth=1
	s_or_b32 exec_lo, exec_lo, s18
	v_mov_b32_e32 v2, 0
	v_mov_b32_e32 v3, 0
	v_and_b32_sdwa v1, v0, v6 dst_sel:DWORD dst_unused:UNUSED_PAD src0_sel:WORD_1 src1_sel:DWORD
	s_mov_b32 s18, exec_lo
	buffer_store_dword v2, off, s[0:3], s32 offset:520 ; 4-byte Folded Spill
	buffer_store_dword v3, off, s[0:3], s32 offset:524 ; 4-byte Folded Spill
	v_mov_b32_e32 v2, 0
	v_mov_b32_e32 v3, 0
	buffer_store_dword v2, off, s[0:3], s32 offset:528 ; 4-byte Folded Spill
	buffer_store_dword v3, off, s[0:3], s32 offset:532 ; 4-byte Folded Spill
	v_cmpx_ne_u16_e32 0, v1
	s_cbranch_execz .LBB208_330
; %bb.323:                              ;   in Loop: Header=BB208_15 Depth=1
	v_cmp_ne_u16_e64 s5, 0x80, v1
	v_bfrev_b32_e32 v1, 1
	v_mov_b32_e32 v2, 0
	buffer_store_dword v1, off, s[0:3], s32 offset:528 ; 4-byte Folded Spill
	buffer_store_dword v2, off, s[0:3], s32 offset:532 ; 4-byte Folded Spill
	s_and_saveexec_b32 s19, s5
	s_cbranch_execz .LBB208_329
; %bb.324:                              ;   in Loop: Header=BB208_15 Depth=1
	v_mov_b32_e32 v3, 0x7f800001
	v_bfe_u32 v2, v0, 16, 7
	v_mov_b32_e32 v4, 0
	s_mov_b32 s20, exec_lo
	buffer_store_dword v3, off, s[0:3], s32 offset:528 ; 4-byte Folded Spill
	buffer_store_dword v4, off, s[0:3], s32 offset:532 ; 4-byte Folded Spill
	v_cmpx_ne_u32_e32 0x7f, v2
	s_cbranch_execz .LBB208_328
; %bb.325:                              ;   in Loop: Header=BB208_15 Depth=1
	v_mov_b32_e32 v1, 7
	s_mov_b32 s21, exec_lo
	v_and_b32_sdwa v24, v0, v1 dst_sel:DWORD dst_unused:UNUSED_PAD src0_sel:WORD_1 src1_sel:DWORD
	v_lshrrev_b32_e32 v1, 3, v2
	v_cmpx_gt_u32_e32 8, v2
; %bb.326:                              ;   in Loop: Header=BB208_15 Depth=1
	v_ffbh_u32_e32 v1, v24
	v_min_u32_e32 v1, 32, v1
	v_subrev_nc_u32_e32 v2, 28, v1
	v_sub_nc_u32_e32 v1, 29, v1
	v_lshlrev_b64 v[2:3], v2, v[24:25]
	v_and_b32_e32 v24, 7, v2
; %bb.327:                              ;   in Loop: Header=BB208_15 Depth=1
	s_or_b32 exec_lo, exec_lo, s21
	v_mov_b32_e32 v2, 24
	v_lshlrev_b32_e32 v3, 20, v24
	v_lshl_add_u32 v1, v1, 23, 0x3c000000
	v_lshlrev_b32_sdwa v2, v2, v0 dst_sel:DWORD dst_unused:UNUSED_PAD src0_sel:DWORD src1_sel:WORD_1
	v_and_b32_e32 v2, 0x80000000, v2
	v_or3_b32 v24, v3, v2, v1
	buffer_store_dword v24, off, s[0:3], s32 offset:528 ; 4-byte Folded Spill
	buffer_store_dword v25, off, s[0:3], s32 offset:532 ; 4-byte Folded Spill
.LBB208_328:                            ;   in Loop: Header=BB208_15 Depth=1
	s_or_b32 exec_lo, exec_lo, s20
.LBB208_329:                            ;   in Loop: Header=BB208_15 Depth=1
	s_or_b32 exec_lo, exec_lo, s19
.LBB208_330:                            ;   in Loop: Header=BB208_15 Depth=1
	s_or_b32 exec_lo, exec_lo, s18
	s_mov_b32 s18, exec_lo
	v_cmpx_lt_u32_e32 0xffffff, v0
	s_cbranch_execz .LBB208_338
; %bb.331:                              ;   in Loop: Header=BB208_15 Depth=1
	v_mov_b32_e32 v1, 0x80
	v_mov_b32_e32 v110, v25
	buffer_store_dword v110, off, s[0:3], s32 offset:520 ; 4-byte Folded Spill
	buffer_store_dword v111, off, s[0:3], s32 offset:524 ; 4-byte Folded Spill
	v_cmp_ne_u32_sdwa s5, v0, v1 src0_sel:BYTE_3 src1_sel:DWORD
	s_and_saveexec_b32 s19, s5
	s_cbranch_execz .LBB208_337
; %bb.332:                              ;   in Loop: Header=BB208_15 Depth=1
	v_bfe_u32 v2, v0, 24, 7
	v_mov_b32_e32 v106, v25
	s_mov_b32 s20, exec_lo
	buffer_store_dword v106, off, s[0:3], s32 offset:520 ; 4-byte Folded Spill
	buffer_store_dword v107, off, s[0:3], s32 offset:524 ; 4-byte Folded Spill
	v_cmpx_ne_u32_e32 0x7f, v2
	s_cbranch_execz .LBB208_336
; %bb.333:                              ;   in Loop: Header=BB208_15 Depth=1
	v_mov_b32_e32 v1, 7
	s_mov_b32 s21, exec_lo
	v_and_b32_sdwa v24, v0, v1 dst_sel:DWORD dst_unused:UNUSED_PAD src0_sel:BYTE_3 src1_sel:DWORD
	v_lshrrev_b32_e32 v1, 3, v2
	v_cmpx_gt_u32_e32 8, v2
; %bb.334:                              ;   in Loop: Header=BB208_15 Depth=1
	v_ffbh_u32_e32 v1, v24
	v_min_u32_e32 v1, 32, v1
	v_subrev_nc_u32_e32 v2, 28, v1
	v_sub_nc_u32_e32 v1, 29, v1
	v_lshlrev_b64 v[2:3], v2, v[24:25]
	v_and_b32_e32 v24, 7, v2
; %bb.335:                              ;   in Loop: Header=BB208_15 Depth=1
	s_or_b32 exec_lo, exec_lo, s21
	v_mov_b32_e32 v2, 24
	v_lshl_add_u32 v1, v1, 23, 0x3c000000
	v_lshlrev_b32_sdwa v0, v2, v0 dst_sel:DWORD dst_unused:UNUSED_PAD src0_sel:DWORD src1_sel:BYTE_3
	v_lshlrev_b32_e32 v2, 20, v24
	v_and_b32_e32 v0, 0x80000000, v0
	v_or3_b32 v1, v2, v0, v1
	v_mov_b32_e32 v0, v25
	buffer_store_dword v0, off, s[0:3], s32 offset:520 ; 4-byte Folded Spill
	buffer_store_dword v1, off, s[0:3], s32 offset:524 ; 4-byte Folded Spill
.LBB208_336:                            ;   in Loop: Header=BB208_15 Depth=1
	s_or_b32 exec_lo, exec_lo, s20
.LBB208_337:                            ;   in Loop: Header=BB208_15 Depth=1
	s_or_b32 exec_lo, exec_lo, s19
.LBB208_338:                            ;   in Loop: Header=BB208_15 Depth=1
	s_or_b32 exec_lo, exec_lo, s18
	flat_load_dword v0, v[108:109] offset:1032
	v_mov_b32_e32 v1, 0
	v_mov_b32_e32 v2, 0
	buffer_store_dword v1, off, s[0:3], s32 offset:544 ; 4-byte Folded Spill
	buffer_store_dword v2, off, s[0:3], s32 offset:548 ; 4-byte Folded Spill
	v_mov_b32_e32 v1, 0
	v_mov_b32_e32 v2, 0
	buffer_store_dword v1, off, s[0:3], s32 offset:568 ; 4-byte Folded Spill
	buffer_store_dword v2, off, s[0:3], s32 offset:572 ; 4-byte Folded Spill
	s_waitcnt vmcnt(0) lgkmcnt(0)
	v_cmp_ne_u16_sdwa s5, v0, v25 src0_sel:BYTE_0 src1_sel:DWORD
	s_and_saveexec_b32 s18, s5
	s_cbranch_execz .LBB208_346
; %bb.339:                              ;   in Loop: Header=BB208_15 Depth=1
	v_bfrev_b32_e32 v1, 1
	v_mov_b32_e32 v2, 0
	buffer_store_dword v1, off, s[0:3], s32 offset:568 ; 4-byte Folded Spill
	buffer_store_dword v2, off, s[0:3], s32 offset:572 ; 4-byte Folded Spill
	v_mov_b32_e32 v1, 0x80
	v_cmp_ne_u16_sdwa s5, v0, v1 src0_sel:BYTE_0 src1_sel:DWORD
	s_and_saveexec_b32 s19, s5
	s_cbranch_execz .LBB208_345
; %bb.340:                              ;   in Loop: Header=BB208_15 Depth=1
	v_mov_b32_e32 v3, 0x7f800001
	v_and_b32_e32 v2, 0x7f, v0
	v_mov_b32_e32 v4, 0
	s_mov_b32 s20, exec_lo
	buffer_store_dword v3, off, s[0:3], s32 offset:568 ; 4-byte Folded Spill
	buffer_store_dword v4, off, s[0:3], s32 offset:572 ; 4-byte Folded Spill
	v_cmpx_ne_u32_e32 0x7f, v2
	s_cbranch_execz .LBB208_344
; %bb.341:                              ;   in Loop: Header=BB208_15 Depth=1
	v_and_b32_e32 v24, 7, v0
	v_lshrrev_b32_e32 v1, 3, v2
	s_mov_b32 s21, exec_lo
	v_cmpx_gt_u32_e32 8, v2
; %bb.342:                              ;   in Loop: Header=BB208_15 Depth=1
	v_ffbh_u32_e32 v1, v24
	v_min_u32_e32 v1, 32, v1
	v_subrev_nc_u32_e32 v2, 28, v1
	v_sub_nc_u32_e32 v1, 29, v1
	v_lshlrev_b64 v[2:3], v2, v[24:25]
	v_and_b32_e32 v24, 7, v2
; %bb.343:                              ;   in Loop: Header=BB208_15 Depth=1
	s_or_b32 exec_lo, exec_lo, s21
	v_lshlrev_b32_e32 v2, 24, v0
	v_lshlrev_b32_e32 v3, 20, v24
	v_lshl_add_u32 v1, v1, 23, 0x3c000000
	v_and_b32_e32 v2, 0x80000000, v2
	v_or3_b32 v24, v3, v2, v1
	buffer_store_dword v24, off, s[0:3], s32 offset:568 ; 4-byte Folded Spill
	buffer_store_dword v25, off, s[0:3], s32 offset:572 ; 4-byte Folded Spill
.LBB208_344:                            ;   in Loop: Header=BB208_15 Depth=1
	s_or_b32 exec_lo, exec_lo, s20
.LBB208_345:                            ;   in Loop: Header=BB208_15 Depth=1
	s_or_b32 exec_lo, exec_lo, s19
.LBB208_346:                            ;   in Loop: Header=BB208_15 Depth=1
	s_or_b32 exec_lo, exec_lo, s18
	v_cmp_ne_u16_sdwa s5, v0, v25 src0_sel:BYTE_1 src1_sel:DWORD
	s_and_saveexec_b32 s18, s5
	s_cbranch_execz .LBB208_354
; %bb.347:                              ;   in Loop: Header=BB208_15 Depth=1
	v_mov_b32_e32 v1, 0x80
	v_mov_b32_e32 v110, v25
	buffer_store_dword v110, off, s[0:3], s32 offset:544 ; 4-byte Folded Spill
	buffer_store_dword v111, off, s[0:3], s32 offset:548 ; 4-byte Folded Spill
	v_cmp_ne_u16_sdwa s5, v0, v1 src0_sel:BYTE_1 src1_sel:DWORD
	s_and_saveexec_b32 s19, s5
	s_cbranch_execz .LBB208_353
; %bb.348:                              ;   in Loop: Header=BB208_15 Depth=1
	v_mov_b32_e32 v1, 0xffff
	v_mov_b32_e32 v106, v25
	s_mov_b32 s20, exec_lo
	buffer_store_dword v106, off, s[0:3], s32 offset:544 ; 4-byte Folded Spill
	buffer_store_dword v107, off, s[0:3], s32 offset:548 ; 4-byte Folded Spill
	v_and_b32_sdwa v1, v1, v0 dst_sel:DWORD dst_unused:UNUSED_PAD src0_sel:DWORD src1_sel:BYTE_1
	v_and_b32_e32 v2, 0x7f, v1
	v_cmpx_ne_u32_e32 0x7f, v2
	s_cbranch_execz .LBB208_352
; %bb.349:                              ;   in Loop: Header=BB208_15 Depth=1
	v_and_b32_e32 v24, 7, v1
	v_lshrrev_b32_e32 v1, 3, v2
	s_mov_b32 s21, exec_lo
	v_cmpx_gt_u32_e32 8, v2
; %bb.350:                              ;   in Loop: Header=BB208_15 Depth=1
	v_ffbh_u32_e32 v1, v24
	v_min_u32_e32 v1, 32, v1
	v_subrev_nc_u32_e32 v2, 28, v1
	v_sub_nc_u32_e32 v1, 29, v1
	v_lshlrev_b64 v[2:3], v2, v[24:25]
	v_and_b32_e32 v24, 7, v2
; %bb.351:                              ;   in Loop: Header=BB208_15 Depth=1
	s_or_b32 exec_lo, exec_lo, s21
	v_lshlrev_b32_e32 v2, 16, v0
	v_lshlrev_b32_e32 v3, 20, v24
	v_lshl_add_u32 v1, v1, 23, 0x3c000000
	v_and_b32_e32 v2, 0x80000000, v2
	v_or3_b32 v2, v3, v2, v1
	v_mov_b32_e32 v1, v25
	buffer_store_dword v1, off, s[0:3], s32 offset:544 ; 4-byte Folded Spill
	buffer_store_dword v2, off, s[0:3], s32 offset:548 ; 4-byte Folded Spill
.LBB208_352:                            ;   in Loop: Header=BB208_15 Depth=1
	s_or_b32 exec_lo, exec_lo, s20
.LBB208_353:                            ;   in Loop: Header=BB208_15 Depth=1
	s_or_b32 exec_lo, exec_lo, s19
.LBB208_354:                            ;   in Loop: Header=BB208_15 Depth=1
	s_or_b32 exec_lo, exec_lo, s18
	v_mov_b32_e32 v2, 0
	v_mov_b32_e32 v3, 0
	v_and_b32_sdwa v1, v0, v6 dst_sel:DWORD dst_unused:UNUSED_PAD src0_sel:WORD_1 src1_sel:DWORD
	s_mov_b32 s18, exec_lo
	buffer_store_dword v2, off, s[0:3], s32 offset:552 ; 4-byte Folded Spill
	buffer_store_dword v3, off, s[0:3], s32 offset:556 ; 4-byte Folded Spill
	v_mov_b32_e32 v2, 0
	v_mov_b32_e32 v3, 0
	buffer_store_dword v2, off, s[0:3], s32 offset:560 ; 4-byte Folded Spill
	buffer_store_dword v3, off, s[0:3], s32 offset:564 ; 4-byte Folded Spill
	v_cmpx_ne_u16_e32 0, v1
	s_cbranch_execz .LBB208_362
; %bb.355:                              ;   in Loop: Header=BB208_15 Depth=1
	v_cmp_ne_u16_e64 s5, 0x80, v1
	v_bfrev_b32_e32 v1, 1
	v_mov_b32_e32 v2, 0
	buffer_store_dword v1, off, s[0:3], s32 offset:560 ; 4-byte Folded Spill
	buffer_store_dword v2, off, s[0:3], s32 offset:564 ; 4-byte Folded Spill
	s_and_saveexec_b32 s19, s5
	s_cbranch_execz .LBB208_361
; %bb.356:                              ;   in Loop: Header=BB208_15 Depth=1
	v_mov_b32_e32 v3, 0x7f800001
	v_bfe_u32 v2, v0, 16, 7
	v_mov_b32_e32 v4, 0
	s_mov_b32 s20, exec_lo
	buffer_store_dword v3, off, s[0:3], s32 offset:560 ; 4-byte Folded Spill
	buffer_store_dword v4, off, s[0:3], s32 offset:564 ; 4-byte Folded Spill
	v_cmpx_ne_u32_e32 0x7f, v2
	s_cbranch_execz .LBB208_360
; %bb.357:                              ;   in Loop: Header=BB208_15 Depth=1
	v_mov_b32_e32 v1, 7
	s_mov_b32 s21, exec_lo
	v_and_b32_sdwa v24, v0, v1 dst_sel:DWORD dst_unused:UNUSED_PAD src0_sel:WORD_1 src1_sel:DWORD
	v_lshrrev_b32_e32 v1, 3, v2
	v_cmpx_gt_u32_e32 8, v2
; %bb.358:                              ;   in Loop: Header=BB208_15 Depth=1
	v_ffbh_u32_e32 v1, v24
	v_min_u32_e32 v1, 32, v1
	v_subrev_nc_u32_e32 v2, 28, v1
	v_sub_nc_u32_e32 v1, 29, v1
	v_lshlrev_b64 v[2:3], v2, v[24:25]
	v_and_b32_e32 v24, 7, v2
; %bb.359:                              ;   in Loop: Header=BB208_15 Depth=1
	s_or_b32 exec_lo, exec_lo, s21
	v_mov_b32_e32 v2, 24
	v_lshlrev_b32_e32 v3, 20, v24
	v_lshl_add_u32 v1, v1, 23, 0x3c000000
	v_lshlrev_b32_sdwa v2, v2, v0 dst_sel:DWORD dst_unused:UNUSED_PAD src0_sel:DWORD src1_sel:WORD_1
	v_and_b32_e32 v2, 0x80000000, v2
	v_or3_b32 v24, v3, v2, v1
	buffer_store_dword v24, off, s[0:3], s32 offset:560 ; 4-byte Folded Spill
	buffer_store_dword v25, off, s[0:3], s32 offset:564 ; 4-byte Folded Spill
.LBB208_360:                            ;   in Loop: Header=BB208_15 Depth=1
	s_or_b32 exec_lo, exec_lo, s20
.LBB208_361:                            ;   in Loop: Header=BB208_15 Depth=1
	s_or_b32 exec_lo, exec_lo, s19
.LBB208_362:                            ;   in Loop: Header=BB208_15 Depth=1
	s_or_b32 exec_lo, exec_lo, s18
	s_mov_b32 s18, exec_lo
	v_cmpx_lt_u32_e32 0xffffff, v0
	s_cbranch_execz .LBB208_370
; %bb.363:                              ;   in Loop: Header=BB208_15 Depth=1
	v_mov_b32_e32 v1, 0x80
	v_mov_b32_e32 v110, v25
	buffer_store_dword v110, off, s[0:3], s32 offset:552 ; 4-byte Folded Spill
	buffer_store_dword v111, off, s[0:3], s32 offset:556 ; 4-byte Folded Spill
	v_cmp_ne_u32_sdwa s5, v0, v1 src0_sel:BYTE_3 src1_sel:DWORD
	s_and_saveexec_b32 s19, s5
	s_cbranch_execz .LBB208_369
; %bb.364:                              ;   in Loop: Header=BB208_15 Depth=1
	v_bfe_u32 v2, v0, 24, 7
	v_mov_b32_e32 v106, v25
	s_mov_b32 s20, exec_lo
	buffer_store_dword v106, off, s[0:3], s32 offset:552 ; 4-byte Folded Spill
	buffer_store_dword v107, off, s[0:3], s32 offset:556 ; 4-byte Folded Spill
	v_cmpx_ne_u32_e32 0x7f, v2
	s_cbranch_execz .LBB208_368
; %bb.365:                              ;   in Loop: Header=BB208_15 Depth=1
	v_mov_b32_e32 v1, 7
	s_mov_b32 s21, exec_lo
	v_and_b32_sdwa v24, v0, v1 dst_sel:DWORD dst_unused:UNUSED_PAD src0_sel:BYTE_3 src1_sel:DWORD
	v_lshrrev_b32_e32 v1, 3, v2
	v_cmpx_gt_u32_e32 8, v2
; %bb.366:                              ;   in Loop: Header=BB208_15 Depth=1
	v_ffbh_u32_e32 v1, v24
	v_min_u32_e32 v1, 32, v1
	v_subrev_nc_u32_e32 v2, 28, v1
	v_sub_nc_u32_e32 v1, 29, v1
	v_lshlrev_b64 v[2:3], v2, v[24:25]
	v_and_b32_e32 v24, 7, v2
; %bb.367:                              ;   in Loop: Header=BB208_15 Depth=1
	s_or_b32 exec_lo, exec_lo, s21
	v_mov_b32_e32 v2, 24
	v_lshl_add_u32 v1, v1, 23, 0x3c000000
	v_lshlrev_b32_sdwa v0, v2, v0 dst_sel:DWORD dst_unused:UNUSED_PAD src0_sel:DWORD src1_sel:BYTE_3
	v_lshlrev_b32_e32 v2, 20, v24
	v_and_b32_e32 v0, 0x80000000, v0
	v_or3_b32 v1, v2, v0, v1
	v_mov_b32_e32 v0, v25
	buffer_store_dword v0, off, s[0:3], s32 offset:552 ; 4-byte Folded Spill
	buffer_store_dword v1, off, s[0:3], s32 offset:556 ; 4-byte Folded Spill
.LBB208_368:                            ;   in Loop: Header=BB208_15 Depth=1
	s_or_b32 exec_lo, exec_lo, s20
.LBB208_369:                            ;   in Loop: Header=BB208_15 Depth=1
	s_or_b32 exec_lo, exec_lo, s19
.LBB208_370:                            ;   in Loop: Header=BB208_15 Depth=1
	s_or_b32 exec_lo, exec_lo, s18
	flat_load_dword v0, v[108:109] offset:1036
	v_mov_b32_e32 v1, 0
	v_mov_b32_e32 v2, 0
	buffer_store_dword v1, off, s[0:3], s32 offset:576 ; 4-byte Folded Spill
	buffer_store_dword v2, off, s[0:3], s32 offset:580 ; 4-byte Folded Spill
	v_mov_b32_e32 v1, 0
	v_mov_b32_e32 v2, 0
	buffer_store_dword v1, off, s[0:3], s32 offset:600 ; 4-byte Folded Spill
	buffer_store_dword v2, off, s[0:3], s32 offset:604 ; 4-byte Folded Spill
	s_waitcnt vmcnt(0) lgkmcnt(0)
	v_cmp_ne_u16_sdwa s5, v0, v25 src0_sel:BYTE_0 src1_sel:DWORD
	s_and_saveexec_b32 s18, s5
	s_cbranch_execz .LBB208_378
; %bb.371:                              ;   in Loop: Header=BB208_15 Depth=1
	v_bfrev_b32_e32 v1, 1
	v_mov_b32_e32 v2, 0
	buffer_store_dword v1, off, s[0:3], s32 offset:600 ; 4-byte Folded Spill
	buffer_store_dword v2, off, s[0:3], s32 offset:604 ; 4-byte Folded Spill
	v_mov_b32_e32 v1, 0x80
	v_cmp_ne_u16_sdwa s5, v0, v1 src0_sel:BYTE_0 src1_sel:DWORD
	s_and_saveexec_b32 s19, s5
	s_cbranch_execz .LBB208_377
; %bb.372:                              ;   in Loop: Header=BB208_15 Depth=1
	v_mov_b32_e32 v3, 0x7f800001
	v_and_b32_e32 v2, 0x7f, v0
	v_mov_b32_e32 v4, 0
	s_mov_b32 s20, exec_lo
	buffer_store_dword v3, off, s[0:3], s32 offset:600 ; 4-byte Folded Spill
	buffer_store_dword v4, off, s[0:3], s32 offset:604 ; 4-byte Folded Spill
	v_cmpx_ne_u32_e32 0x7f, v2
	s_cbranch_execz .LBB208_376
; %bb.373:                              ;   in Loop: Header=BB208_15 Depth=1
	v_and_b32_e32 v24, 7, v0
	v_lshrrev_b32_e32 v1, 3, v2
	s_mov_b32 s21, exec_lo
	v_cmpx_gt_u32_e32 8, v2
; %bb.374:                              ;   in Loop: Header=BB208_15 Depth=1
	v_ffbh_u32_e32 v1, v24
	v_min_u32_e32 v1, 32, v1
	v_subrev_nc_u32_e32 v2, 28, v1
	v_sub_nc_u32_e32 v1, 29, v1
	v_lshlrev_b64 v[2:3], v2, v[24:25]
	v_and_b32_e32 v24, 7, v2
; %bb.375:                              ;   in Loop: Header=BB208_15 Depth=1
	s_or_b32 exec_lo, exec_lo, s21
	v_lshlrev_b32_e32 v2, 24, v0
	v_lshlrev_b32_e32 v3, 20, v24
	v_lshl_add_u32 v1, v1, 23, 0x3c000000
	v_and_b32_e32 v2, 0x80000000, v2
	v_or3_b32 v24, v3, v2, v1
	buffer_store_dword v24, off, s[0:3], s32 offset:600 ; 4-byte Folded Spill
	buffer_store_dword v25, off, s[0:3], s32 offset:604 ; 4-byte Folded Spill
.LBB208_376:                            ;   in Loop: Header=BB208_15 Depth=1
	s_or_b32 exec_lo, exec_lo, s20
.LBB208_377:                            ;   in Loop: Header=BB208_15 Depth=1
	s_or_b32 exec_lo, exec_lo, s19
.LBB208_378:                            ;   in Loop: Header=BB208_15 Depth=1
	s_or_b32 exec_lo, exec_lo, s18
	v_cmp_ne_u16_sdwa s5, v0, v25 src0_sel:BYTE_1 src1_sel:DWORD
	s_and_saveexec_b32 s18, s5
	s_cbranch_execz .LBB208_386
; %bb.379:                              ;   in Loop: Header=BB208_15 Depth=1
	v_mov_b32_e32 v1, 0x80
	v_mov_b32_e32 v110, v25
	buffer_store_dword v110, off, s[0:3], s32 offset:576 ; 4-byte Folded Spill
	buffer_store_dword v111, off, s[0:3], s32 offset:580 ; 4-byte Folded Spill
	v_cmp_ne_u16_sdwa s5, v0, v1 src0_sel:BYTE_1 src1_sel:DWORD
	s_and_saveexec_b32 s19, s5
	s_cbranch_execz .LBB208_385
; %bb.380:                              ;   in Loop: Header=BB208_15 Depth=1
	v_mov_b32_e32 v1, 0xffff
	v_mov_b32_e32 v106, v25
	s_mov_b32 s20, exec_lo
	buffer_store_dword v106, off, s[0:3], s32 offset:576 ; 4-byte Folded Spill
	buffer_store_dword v107, off, s[0:3], s32 offset:580 ; 4-byte Folded Spill
	v_and_b32_sdwa v1, v1, v0 dst_sel:DWORD dst_unused:UNUSED_PAD src0_sel:DWORD src1_sel:BYTE_1
	v_and_b32_e32 v2, 0x7f, v1
	v_cmpx_ne_u32_e32 0x7f, v2
	s_cbranch_execz .LBB208_384
; %bb.381:                              ;   in Loop: Header=BB208_15 Depth=1
	v_and_b32_e32 v24, 7, v1
	v_lshrrev_b32_e32 v1, 3, v2
	s_mov_b32 s21, exec_lo
	v_cmpx_gt_u32_e32 8, v2
; %bb.382:                              ;   in Loop: Header=BB208_15 Depth=1
	v_ffbh_u32_e32 v1, v24
	v_min_u32_e32 v1, 32, v1
	v_subrev_nc_u32_e32 v2, 28, v1
	v_sub_nc_u32_e32 v1, 29, v1
	v_lshlrev_b64 v[2:3], v2, v[24:25]
	v_and_b32_e32 v24, 7, v2
; %bb.383:                              ;   in Loop: Header=BB208_15 Depth=1
	s_or_b32 exec_lo, exec_lo, s21
	v_lshlrev_b32_e32 v2, 16, v0
	v_lshlrev_b32_e32 v3, 20, v24
	v_lshl_add_u32 v1, v1, 23, 0x3c000000
	v_and_b32_e32 v2, 0x80000000, v2
	v_or3_b32 v2, v3, v2, v1
	v_mov_b32_e32 v1, v25
	buffer_store_dword v1, off, s[0:3], s32 offset:576 ; 4-byte Folded Spill
	buffer_store_dword v2, off, s[0:3], s32 offset:580 ; 4-byte Folded Spill
.LBB208_384:                            ;   in Loop: Header=BB208_15 Depth=1
	s_or_b32 exec_lo, exec_lo, s20
.LBB208_385:                            ;   in Loop: Header=BB208_15 Depth=1
	s_or_b32 exec_lo, exec_lo, s19
.LBB208_386:                            ;   in Loop: Header=BB208_15 Depth=1
	s_or_b32 exec_lo, exec_lo, s18
	v_mov_b32_e32 v2, 0
	v_mov_b32_e32 v3, 0
	v_and_b32_sdwa v1, v0, v6 dst_sel:DWORD dst_unused:UNUSED_PAD src0_sel:WORD_1 src1_sel:DWORD
	s_mov_b32 s18, exec_lo
	buffer_store_dword v2, off, s[0:3], s32 offset:584 ; 4-byte Folded Spill
	buffer_store_dword v3, off, s[0:3], s32 offset:588 ; 4-byte Folded Spill
	v_mov_b32_e32 v2, 0
	v_mov_b32_e32 v3, 0
	buffer_store_dword v2, off, s[0:3], s32 offset:592 ; 4-byte Folded Spill
	buffer_store_dword v3, off, s[0:3], s32 offset:596 ; 4-byte Folded Spill
	v_cmpx_ne_u16_e32 0, v1
	s_cbranch_execz .LBB208_394
; %bb.387:                              ;   in Loop: Header=BB208_15 Depth=1
	v_cmp_ne_u16_e64 s5, 0x80, v1
	v_bfrev_b32_e32 v1, 1
	v_mov_b32_e32 v2, 0
	buffer_store_dword v1, off, s[0:3], s32 offset:592 ; 4-byte Folded Spill
	buffer_store_dword v2, off, s[0:3], s32 offset:596 ; 4-byte Folded Spill
	s_and_saveexec_b32 s19, s5
	s_cbranch_execz .LBB208_393
; %bb.388:                              ;   in Loop: Header=BB208_15 Depth=1
	v_mov_b32_e32 v3, 0x7f800001
	v_bfe_u32 v2, v0, 16, 7
	v_mov_b32_e32 v4, 0
	s_mov_b32 s20, exec_lo
	buffer_store_dword v3, off, s[0:3], s32 offset:592 ; 4-byte Folded Spill
	buffer_store_dword v4, off, s[0:3], s32 offset:596 ; 4-byte Folded Spill
	v_cmpx_ne_u32_e32 0x7f, v2
	s_cbranch_execz .LBB208_392
; %bb.389:                              ;   in Loop: Header=BB208_15 Depth=1
	v_mov_b32_e32 v1, 7
	s_mov_b32 s21, exec_lo
	v_and_b32_sdwa v24, v0, v1 dst_sel:DWORD dst_unused:UNUSED_PAD src0_sel:WORD_1 src1_sel:DWORD
	v_lshrrev_b32_e32 v1, 3, v2
	v_cmpx_gt_u32_e32 8, v2
; %bb.390:                              ;   in Loop: Header=BB208_15 Depth=1
	v_ffbh_u32_e32 v1, v24
	v_min_u32_e32 v1, 32, v1
	v_subrev_nc_u32_e32 v2, 28, v1
	v_sub_nc_u32_e32 v1, 29, v1
	v_lshlrev_b64 v[2:3], v2, v[24:25]
	v_and_b32_e32 v24, 7, v2
; %bb.391:                              ;   in Loop: Header=BB208_15 Depth=1
	s_or_b32 exec_lo, exec_lo, s21
	v_mov_b32_e32 v2, 24
	v_lshlrev_b32_e32 v3, 20, v24
	v_lshl_add_u32 v1, v1, 23, 0x3c000000
	v_lshlrev_b32_sdwa v2, v2, v0 dst_sel:DWORD dst_unused:UNUSED_PAD src0_sel:DWORD src1_sel:WORD_1
	v_and_b32_e32 v2, 0x80000000, v2
	v_or3_b32 v24, v3, v2, v1
	buffer_store_dword v24, off, s[0:3], s32 offset:592 ; 4-byte Folded Spill
	buffer_store_dword v25, off, s[0:3], s32 offset:596 ; 4-byte Folded Spill
.LBB208_392:                            ;   in Loop: Header=BB208_15 Depth=1
	s_or_b32 exec_lo, exec_lo, s20
.LBB208_393:                            ;   in Loop: Header=BB208_15 Depth=1
	s_or_b32 exec_lo, exec_lo, s19
.LBB208_394:                            ;   in Loop: Header=BB208_15 Depth=1
	s_or_b32 exec_lo, exec_lo, s18
	s_mov_b32 s18, exec_lo
	v_cmpx_lt_u32_e32 0xffffff, v0
	s_cbranch_execz .LBB208_402
; %bb.395:                              ;   in Loop: Header=BB208_15 Depth=1
	v_mov_b32_e32 v1, 0x80
	v_mov_b32_e32 v110, v25
	buffer_store_dword v110, off, s[0:3], s32 offset:584 ; 4-byte Folded Spill
	buffer_store_dword v111, off, s[0:3], s32 offset:588 ; 4-byte Folded Spill
	v_cmp_ne_u32_sdwa s5, v0, v1 src0_sel:BYTE_3 src1_sel:DWORD
	s_and_saveexec_b32 s19, s5
	s_cbranch_execz .LBB208_401
; %bb.396:                              ;   in Loop: Header=BB208_15 Depth=1
	v_bfe_u32 v2, v0, 24, 7
	v_mov_b32_e32 v106, v25
	s_mov_b32 s20, exec_lo
	buffer_store_dword v106, off, s[0:3], s32 offset:584 ; 4-byte Folded Spill
	buffer_store_dword v107, off, s[0:3], s32 offset:588 ; 4-byte Folded Spill
	v_cmpx_ne_u32_e32 0x7f, v2
	s_cbranch_execz .LBB208_400
; %bb.397:                              ;   in Loop: Header=BB208_15 Depth=1
	v_mov_b32_e32 v1, 7
	s_mov_b32 s21, exec_lo
	v_and_b32_sdwa v24, v0, v1 dst_sel:DWORD dst_unused:UNUSED_PAD src0_sel:BYTE_3 src1_sel:DWORD
	v_lshrrev_b32_e32 v1, 3, v2
	v_cmpx_gt_u32_e32 8, v2
; %bb.398:                              ;   in Loop: Header=BB208_15 Depth=1
	v_ffbh_u32_e32 v1, v24
	v_min_u32_e32 v1, 32, v1
	v_subrev_nc_u32_e32 v2, 28, v1
	v_sub_nc_u32_e32 v1, 29, v1
	v_lshlrev_b64 v[2:3], v2, v[24:25]
	v_and_b32_e32 v24, 7, v2
; %bb.399:                              ;   in Loop: Header=BB208_15 Depth=1
	s_or_b32 exec_lo, exec_lo, s21
	v_mov_b32_e32 v2, 24
	v_lshl_add_u32 v1, v1, 23, 0x3c000000
	v_lshlrev_b32_sdwa v0, v2, v0 dst_sel:DWORD dst_unused:UNUSED_PAD src0_sel:DWORD src1_sel:BYTE_3
	v_lshlrev_b32_e32 v2, 20, v24
	v_and_b32_e32 v0, 0x80000000, v0
	v_or3_b32 v1, v2, v0, v1
	v_mov_b32_e32 v0, v25
	buffer_store_dword v0, off, s[0:3], s32 offset:584 ; 4-byte Folded Spill
	buffer_store_dword v1, off, s[0:3], s32 offset:588 ; 4-byte Folded Spill
.LBB208_400:                            ;   in Loop: Header=BB208_15 Depth=1
	s_or_b32 exec_lo, exec_lo, s20
.LBB208_401:                            ;   in Loop: Header=BB208_15 Depth=1
	s_or_b32 exec_lo, exec_lo, s19
.LBB208_402:                            ;   in Loop: Header=BB208_15 Depth=1
	s_or_b32 exec_lo, exec_lo, s18
	flat_load_dword v0, v[108:109] offset:1536
	v_mov_b32_e32 v1, 0
	v_mov_b32_e32 v2, 0
	buffer_store_dword v1, off, s[0:3], s32 offset:608 ; 4-byte Folded Spill
	buffer_store_dword v2, off, s[0:3], s32 offset:612 ; 4-byte Folded Spill
	v_mov_b32_e32 v1, 0
	v_mov_b32_e32 v2, 0
	buffer_store_dword v1, off, s[0:3], s32 offset:632 ; 4-byte Folded Spill
	buffer_store_dword v2, off, s[0:3], s32 offset:636 ; 4-byte Folded Spill
	s_waitcnt vmcnt(0) lgkmcnt(0)
	v_cmp_ne_u16_sdwa s5, v0, v25 src0_sel:BYTE_0 src1_sel:DWORD
	s_and_saveexec_b32 s18, s5
	s_cbranch_execz .LBB208_410
; %bb.403:                              ;   in Loop: Header=BB208_15 Depth=1
	v_bfrev_b32_e32 v1, 1
	v_mov_b32_e32 v2, 0
	buffer_store_dword v1, off, s[0:3], s32 offset:632 ; 4-byte Folded Spill
	buffer_store_dword v2, off, s[0:3], s32 offset:636 ; 4-byte Folded Spill
	v_mov_b32_e32 v1, 0x80
	v_cmp_ne_u16_sdwa s5, v0, v1 src0_sel:BYTE_0 src1_sel:DWORD
	s_and_saveexec_b32 s19, s5
	s_cbranch_execz .LBB208_409
; %bb.404:                              ;   in Loop: Header=BB208_15 Depth=1
	v_mov_b32_e32 v3, 0x7f800001
	v_and_b32_e32 v2, 0x7f, v0
	v_mov_b32_e32 v4, 0
	s_mov_b32 s20, exec_lo
	buffer_store_dword v3, off, s[0:3], s32 offset:632 ; 4-byte Folded Spill
	buffer_store_dword v4, off, s[0:3], s32 offset:636 ; 4-byte Folded Spill
	v_cmpx_ne_u32_e32 0x7f, v2
	s_cbranch_execz .LBB208_408
; %bb.405:                              ;   in Loop: Header=BB208_15 Depth=1
	v_and_b32_e32 v24, 7, v0
	v_lshrrev_b32_e32 v1, 3, v2
	s_mov_b32 s21, exec_lo
	v_cmpx_gt_u32_e32 8, v2
; %bb.406:                              ;   in Loop: Header=BB208_15 Depth=1
	v_ffbh_u32_e32 v1, v24
	v_min_u32_e32 v1, 32, v1
	v_subrev_nc_u32_e32 v2, 28, v1
	v_sub_nc_u32_e32 v1, 29, v1
	v_lshlrev_b64 v[2:3], v2, v[24:25]
	v_and_b32_e32 v24, 7, v2
; %bb.407:                              ;   in Loop: Header=BB208_15 Depth=1
	s_or_b32 exec_lo, exec_lo, s21
	v_lshlrev_b32_e32 v2, 24, v0
	v_lshlrev_b32_e32 v3, 20, v24
	v_lshl_add_u32 v1, v1, 23, 0x3c000000
	v_and_b32_e32 v2, 0x80000000, v2
	v_or3_b32 v24, v3, v2, v1
	buffer_store_dword v24, off, s[0:3], s32 offset:632 ; 4-byte Folded Spill
	buffer_store_dword v25, off, s[0:3], s32 offset:636 ; 4-byte Folded Spill
.LBB208_408:                            ;   in Loop: Header=BB208_15 Depth=1
	s_or_b32 exec_lo, exec_lo, s20
.LBB208_409:                            ;   in Loop: Header=BB208_15 Depth=1
	s_or_b32 exec_lo, exec_lo, s19
.LBB208_410:                            ;   in Loop: Header=BB208_15 Depth=1
	s_or_b32 exec_lo, exec_lo, s18
	v_cmp_ne_u16_sdwa s5, v0, v25 src0_sel:BYTE_1 src1_sel:DWORD
	s_and_saveexec_b32 s18, s5
	s_cbranch_execz .LBB208_418
; %bb.411:                              ;   in Loop: Header=BB208_15 Depth=1
	v_mov_b32_e32 v1, 0x80
	v_mov_b32_e32 v110, v25
	buffer_store_dword v110, off, s[0:3], s32 offset:608 ; 4-byte Folded Spill
	buffer_store_dword v111, off, s[0:3], s32 offset:612 ; 4-byte Folded Spill
	v_cmp_ne_u16_sdwa s5, v0, v1 src0_sel:BYTE_1 src1_sel:DWORD
	s_and_saveexec_b32 s19, s5
	s_cbranch_execz .LBB208_417
; %bb.412:                              ;   in Loop: Header=BB208_15 Depth=1
	v_mov_b32_e32 v1, 0xffff
	v_mov_b32_e32 v106, v25
	s_mov_b32 s20, exec_lo
	buffer_store_dword v106, off, s[0:3], s32 offset:608 ; 4-byte Folded Spill
	buffer_store_dword v107, off, s[0:3], s32 offset:612 ; 4-byte Folded Spill
	v_and_b32_sdwa v1, v1, v0 dst_sel:DWORD dst_unused:UNUSED_PAD src0_sel:DWORD src1_sel:BYTE_1
	v_and_b32_e32 v2, 0x7f, v1
	v_cmpx_ne_u32_e32 0x7f, v2
	s_cbranch_execz .LBB208_416
; %bb.413:                              ;   in Loop: Header=BB208_15 Depth=1
	v_and_b32_e32 v24, 7, v1
	v_lshrrev_b32_e32 v1, 3, v2
	s_mov_b32 s21, exec_lo
	v_cmpx_gt_u32_e32 8, v2
; %bb.414:                              ;   in Loop: Header=BB208_15 Depth=1
	v_ffbh_u32_e32 v1, v24
	v_min_u32_e32 v1, 32, v1
	v_subrev_nc_u32_e32 v2, 28, v1
	v_sub_nc_u32_e32 v1, 29, v1
	v_lshlrev_b64 v[2:3], v2, v[24:25]
	v_and_b32_e32 v24, 7, v2
; %bb.415:                              ;   in Loop: Header=BB208_15 Depth=1
	s_or_b32 exec_lo, exec_lo, s21
	v_lshlrev_b32_e32 v2, 16, v0
	v_lshlrev_b32_e32 v3, 20, v24
	v_lshl_add_u32 v1, v1, 23, 0x3c000000
	v_and_b32_e32 v2, 0x80000000, v2
	v_or3_b32 v2, v3, v2, v1
	v_mov_b32_e32 v1, v25
	buffer_store_dword v1, off, s[0:3], s32 offset:608 ; 4-byte Folded Spill
	buffer_store_dword v2, off, s[0:3], s32 offset:612 ; 4-byte Folded Spill
.LBB208_416:                            ;   in Loop: Header=BB208_15 Depth=1
	s_or_b32 exec_lo, exec_lo, s20
.LBB208_417:                            ;   in Loop: Header=BB208_15 Depth=1
	s_or_b32 exec_lo, exec_lo, s19
.LBB208_418:                            ;   in Loop: Header=BB208_15 Depth=1
	s_or_b32 exec_lo, exec_lo, s18
	v_mov_b32_e32 v2, 0
	v_mov_b32_e32 v3, 0
	v_and_b32_sdwa v1, v0, v6 dst_sel:DWORD dst_unused:UNUSED_PAD src0_sel:WORD_1 src1_sel:DWORD
	s_mov_b32 s18, exec_lo
	buffer_store_dword v2, off, s[0:3], s32 offset:616 ; 4-byte Folded Spill
	buffer_store_dword v3, off, s[0:3], s32 offset:620 ; 4-byte Folded Spill
	v_mov_b32_e32 v2, 0
	v_mov_b32_e32 v3, 0
	buffer_store_dword v2, off, s[0:3], s32 offset:624 ; 4-byte Folded Spill
	buffer_store_dword v3, off, s[0:3], s32 offset:628 ; 4-byte Folded Spill
	v_cmpx_ne_u16_e32 0, v1
	s_cbranch_execz .LBB208_426
; %bb.419:                              ;   in Loop: Header=BB208_15 Depth=1
	v_cmp_ne_u16_e64 s5, 0x80, v1
	v_bfrev_b32_e32 v1, 1
	v_mov_b32_e32 v2, 0
	buffer_store_dword v1, off, s[0:3], s32 offset:624 ; 4-byte Folded Spill
	buffer_store_dword v2, off, s[0:3], s32 offset:628 ; 4-byte Folded Spill
	s_and_saveexec_b32 s19, s5
	s_cbranch_execz .LBB208_425
; %bb.420:                              ;   in Loop: Header=BB208_15 Depth=1
	v_mov_b32_e32 v3, 0x7f800001
	v_bfe_u32 v2, v0, 16, 7
	v_mov_b32_e32 v4, 0
	s_mov_b32 s20, exec_lo
	buffer_store_dword v3, off, s[0:3], s32 offset:624 ; 4-byte Folded Spill
	buffer_store_dword v4, off, s[0:3], s32 offset:628 ; 4-byte Folded Spill
	v_cmpx_ne_u32_e32 0x7f, v2
	s_cbranch_execz .LBB208_424
; %bb.421:                              ;   in Loop: Header=BB208_15 Depth=1
	v_mov_b32_e32 v1, 7
	s_mov_b32 s21, exec_lo
	v_and_b32_sdwa v24, v0, v1 dst_sel:DWORD dst_unused:UNUSED_PAD src0_sel:WORD_1 src1_sel:DWORD
	v_lshrrev_b32_e32 v1, 3, v2
	v_cmpx_gt_u32_e32 8, v2
; %bb.422:                              ;   in Loop: Header=BB208_15 Depth=1
	v_ffbh_u32_e32 v1, v24
	v_min_u32_e32 v1, 32, v1
	v_subrev_nc_u32_e32 v2, 28, v1
	v_sub_nc_u32_e32 v1, 29, v1
	v_lshlrev_b64 v[2:3], v2, v[24:25]
	v_and_b32_e32 v24, 7, v2
; %bb.423:                              ;   in Loop: Header=BB208_15 Depth=1
	s_or_b32 exec_lo, exec_lo, s21
	v_mov_b32_e32 v2, 24
	v_lshlrev_b32_e32 v3, 20, v24
	v_lshl_add_u32 v1, v1, 23, 0x3c000000
	v_lshlrev_b32_sdwa v2, v2, v0 dst_sel:DWORD dst_unused:UNUSED_PAD src0_sel:DWORD src1_sel:WORD_1
	v_and_b32_e32 v2, 0x80000000, v2
	v_or3_b32 v24, v3, v2, v1
	buffer_store_dword v24, off, s[0:3], s32 offset:624 ; 4-byte Folded Spill
	buffer_store_dword v25, off, s[0:3], s32 offset:628 ; 4-byte Folded Spill
.LBB208_424:                            ;   in Loop: Header=BB208_15 Depth=1
	s_or_b32 exec_lo, exec_lo, s20
.LBB208_425:                            ;   in Loop: Header=BB208_15 Depth=1
	s_or_b32 exec_lo, exec_lo, s19
.LBB208_426:                            ;   in Loop: Header=BB208_15 Depth=1
	s_or_b32 exec_lo, exec_lo, s18
	s_mov_b32 s18, exec_lo
	v_cmpx_lt_u32_e32 0xffffff, v0
	s_cbranch_execz .LBB208_434
; %bb.427:                              ;   in Loop: Header=BB208_15 Depth=1
	v_mov_b32_e32 v1, 0x80
	v_mov_b32_e32 v110, v25
	buffer_store_dword v110, off, s[0:3], s32 offset:616 ; 4-byte Folded Spill
	buffer_store_dword v111, off, s[0:3], s32 offset:620 ; 4-byte Folded Spill
	v_cmp_ne_u32_sdwa s5, v0, v1 src0_sel:BYTE_3 src1_sel:DWORD
	s_and_saveexec_b32 s19, s5
	s_cbranch_execz .LBB208_433
; %bb.428:                              ;   in Loop: Header=BB208_15 Depth=1
	v_bfe_u32 v2, v0, 24, 7
	v_mov_b32_e32 v106, v25
	s_mov_b32 s20, exec_lo
	buffer_store_dword v106, off, s[0:3], s32 offset:616 ; 4-byte Folded Spill
	buffer_store_dword v107, off, s[0:3], s32 offset:620 ; 4-byte Folded Spill
	v_cmpx_ne_u32_e32 0x7f, v2
	s_cbranch_execz .LBB208_432
; %bb.429:                              ;   in Loop: Header=BB208_15 Depth=1
	v_mov_b32_e32 v1, 7
	s_mov_b32 s21, exec_lo
	v_and_b32_sdwa v24, v0, v1 dst_sel:DWORD dst_unused:UNUSED_PAD src0_sel:BYTE_3 src1_sel:DWORD
	v_lshrrev_b32_e32 v1, 3, v2
	v_cmpx_gt_u32_e32 8, v2
; %bb.430:                              ;   in Loop: Header=BB208_15 Depth=1
	v_ffbh_u32_e32 v1, v24
	v_min_u32_e32 v1, 32, v1
	v_subrev_nc_u32_e32 v2, 28, v1
	v_sub_nc_u32_e32 v1, 29, v1
	v_lshlrev_b64 v[2:3], v2, v[24:25]
	v_and_b32_e32 v24, 7, v2
; %bb.431:                              ;   in Loop: Header=BB208_15 Depth=1
	s_or_b32 exec_lo, exec_lo, s21
	v_mov_b32_e32 v2, 24
	v_lshl_add_u32 v1, v1, 23, 0x3c000000
	v_lshlrev_b32_sdwa v0, v2, v0 dst_sel:DWORD dst_unused:UNUSED_PAD src0_sel:DWORD src1_sel:BYTE_3
	v_lshlrev_b32_e32 v2, 20, v24
	v_and_b32_e32 v0, 0x80000000, v0
	v_or3_b32 v1, v2, v0, v1
	v_mov_b32_e32 v0, v25
	buffer_store_dword v0, off, s[0:3], s32 offset:616 ; 4-byte Folded Spill
	buffer_store_dword v1, off, s[0:3], s32 offset:620 ; 4-byte Folded Spill
.LBB208_432:                            ;   in Loop: Header=BB208_15 Depth=1
	s_or_b32 exec_lo, exec_lo, s20
.LBB208_433:                            ;   in Loop: Header=BB208_15 Depth=1
	s_or_b32 exec_lo, exec_lo, s19
.LBB208_434:                            ;   in Loop: Header=BB208_15 Depth=1
	s_or_b32 exec_lo, exec_lo, s18
	flat_load_dword v0, v[108:109] offset:1540
	v_mov_b32_e32 v1, 0
	v_mov_b32_e32 v2, 0
	buffer_store_dword v1, off, s[0:3], s32 offset:640 ; 4-byte Folded Spill
	buffer_store_dword v2, off, s[0:3], s32 offset:644 ; 4-byte Folded Spill
	v_mov_b32_e32 v1, 0
	v_mov_b32_e32 v2, 0
	buffer_store_dword v1, off, s[0:3], s32 offset:664 ; 4-byte Folded Spill
	buffer_store_dword v2, off, s[0:3], s32 offset:668 ; 4-byte Folded Spill
	s_waitcnt vmcnt(0) lgkmcnt(0)
	v_cmp_ne_u16_sdwa s5, v0, v25 src0_sel:BYTE_0 src1_sel:DWORD
	s_and_saveexec_b32 s18, s5
	s_cbranch_execz .LBB208_442
; %bb.435:                              ;   in Loop: Header=BB208_15 Depth=1
	v_bfrev_b32_e32 v1, 1
	v_mov_b32_e32 v2, 0
	buffer_store_dword v1, off, s[0:3], s32 offset:664 ; 4-byte Folded Spill
	buffer_store_dword v2, off, s[0:3], s32 offset:668 ; 4-byte Folded Spill
	v_mov_b32_e32 v1, 0x80
	v_cmp_ne_u16_sdwa s5, v0, v1 src0_sel:BYTE_0 src1_sel:DWORD
	s_and_saveexec_b32 s19, s5
	s_cbranch_execz .LBB208_441
; %bb.436:                              ;   in Loop: Header=BB208_15 Depth=1
	v_mov_b32_e32 v3, 0x7f800001
	v_and_b32_e32 v2, 0x7f, v0
	v_mov_b32_e32 v4, 0
	s_mov_b32 s20, exec_lo
	buffer_store_dword v3, off, s[0:3], s32 offset:664 ; 4-byte Folded Spill
	buffer_store_dword v4, off, s[0:3], s32 offset:668 ; 4-byte Folded Spill
	v_cmpx_ne_u32_e32 0x7f, v2
	s_cbranch_execz .LBB208_440
; %bb.437:                              ;   in Loop: Header=BB208_15 Depth=1
	v_and_b32_e32 v24, 7, v0
	v_lshrrev_b32_e32 v1, 3, v2
	s_mov_b32 s21, exec_lo
	v_cmpx_gt_u32_e32 8, v2
; %bb.438:                              ;   in Loop: Header=BB208_15 Depth=1
	v_ffbh_u32_e32 v1, v24
	v_min_u32_e32 v1, 32, v1
	v_subrev_nc_u32_e32 v2, 28, v1
	v_sub_nc_u32_e32 v1, 29, v1
	v_lshlrev_b64 v[2:3], v2, v[24:25]
	v_and_b32_e32 v24, 7, v2
; %bb.439:                              ;   in Loop: Header=BB208_15 Depth=1
	s_or_b32 exec_lo, exec_lo, s21
	v_lshlrev_b32_e32 v2, 24, v0
	v_lshlrev_b32_e32 v3, 20, v24
	v_lshl_add_u32 v1, v1, 23, 0x3c000000
	v_and_b32_e32 v2, 0x80000000, v2
	v_or3_b32 v24, v3, v2, v1
	buffer_store_dword v24, off, s[0:3], s32 offset:664 ; 4-byte Folded Spill
	buffer_store_dword v25, off, s[0:3], s32 offset:668 ; 4-byte Folded Spill
.LBB208_440:                            ;   in Loop: Header=BB208_15 Depth=1
	s_or_b32 exec_lo, exec_lo, s20
.LBB208_441:                            ;   in Loop: Header=BB208_15 Depth=1
	s_or_b32 exec_lo, exec_lo, s19
.LBB208_442:                            ;   in Loop: Header=BB208_15 Depth=1
	s_or_b32 exec_lo, exec_lo, s18
	v_cmp_ne_u16_sdwa s5, v0, v25 src0_sel:BYTE_1 src1_sel:DWORD
	s_and_saveexec_b32 s18, s5
	s_cbranch_execz .LBB208_450
; %bb.443:                              ;   in Loop: Header=BB208_15 Depth=1
	v_mov_b32_e32 v1, 0x80
	v_mov_b32_e32 v110, v25
	buffer_store_dword v110, off, s[0:3], s32 offset:640 ; 4-byte Folded Spill
	buffer_store_dword v111, off, s[0:3], s32 offset:644 ; 4-byte Folded Spill
	v_cmp_ne_u16_sdwa s5, v0, v1 src0_sel:BYTE_1 src1_sel:DWORD
	s_and_saveexec_b32 s19, s5
	s_cbranch_execz .LBB208_449
; %bb.444:                              ;   in Loop: Header=BB208_15 Depth=1
	v_mov_b32_e32 v1, 0xffff
	v_mov_b32_e32 v106, v25
	s_mov_b32 s20, exec_lo
	buffer_store_dword v106, off, s[0:3], s32 offset:640 ; 4-byte Folded Spill
	buffer_store_dword v107, off, s[0:3], s32 offset:644 ; 4-byte Folded Spill
	v_and_b32_sdwa v1, v1, v0 dst_sel:DWORD dst_unused:UNUSED_PAD src0_sel:DWORD src1_sel:BYTE_1
	v_and_b32_e32 v2, 0x7f, v1
	v_cmpx_ne_u32_e32 0x7f, v2
	s_cbranch_execz .LBB208_448
; %bb.445:                              ;   in Loop: Header=BB208_15 Depth=1
	v_and_b32_e32 v24, 7, v1
	v_lshrrev_b32_e32 v1, 3, v2
	s_mov_b32 s21, exec_lo
	v_cmpx_gt_u32_e32 8, v2
; %bb.446:                              ;   in Loop: Header=BB208_15 Depth=1
	v_ffbh_u32_e32 v1, v24
	v_min_u32_e32 v1, 32, v1
	v_subrev_nc_u32_e32 v2, 28, v1
	v_sub_nc_u32_e32 v1, 29, v1
	v_lshlrev_b64 v[2:3], v2, v[24:25]
	v_and_b32_e32 v24, 7, v2
; %bb.447:                              ;   in Loop: Header=BB208_15 Depth=1
	s_or_b32 exec_lo, exec_lo, s21
	v_lshlrev_b32_e32 v2, 16, v0
	v_lshlrev_b32_e32 v3, 20, v24
	v_lshl_add_u32 v1, v1, 23, 0x3c000000
	v_and_b32_e32 v2, 0x80000000, v2
	v_or3_b32 v2, v3, v2, v1
	v_mov_b32_e32 v1, v25
	buffer_store_dword v1, off, s[0:3], s32 offset:640 ; 4-byte Folded Spill
	buffer_store_dword v2, off, s[0:3], s32 offset:644 ; 4-byte Folded Spill
.LBB208_448:                            ;   in Loop: Header=BB208_15 Depth=1
	s_or_b32 exec_lo, exec_lo, s20
.LBB208_449:                            ;   in Loop: Header=BB208_15 Depth=1
	s_or_b32 exec_lo, exec_lo, s19
.LBB208_450:                            ;   in Loop: Header=BB208_15 Depth=1
	s_or_b32 exec_lo, exec_lo, s18
	v_mov_b32_e32 v2, 0
	v_mov_b32_e32 v3, 0
	v_and_b32_sdwa v1, v0, v6 dst_sel:DWORD dst_unused:UNUSED_PAD src0_sel:WORD_1 src1_sel:DWORD
	s_mov_b32 s18, exec_lo
	buffer_store_dword v2, off, s[0:3], s32 offset:648 ; 4-byte Folded Spill
	buffer_store_dword v3, off, s[0:3], s32 offset:652 ; 4-byte Folded Spill
	v_mov_b32_e32 v2, 0
	v_mov_b32_e32 v3, 0
	buffer_store_dword v2, off, s[0:3], s32 offset:656 ; 4-byte Folded Spill
	buffer_store_dword v3, off, s[0:3], s32 offset:660 ; 4-byte Folded Spill
	v_cmpx_ne_u16_e32 0, v1
	s_cbranch_execz .LBB208_458
; %bb.451:                              ;   in Loop: Header=BB208_15 Depth=1
	v_cmp_ne_u16_e64 s5, 0x80, v1
	v_bfrev_b32_e32 v1, 1
	v_mov_b32_e32 v2, 0
	buffer_store_dword v1, off, s[0:3], s32 offset:656 ; 4-byte Folded Spill
	buffer_store_dword v2, off, s[0:3], s32 offset:660 ; 4-byte Folded Spill
	s_and_saveexec_b32 s19, s5
	s_cbranch_execz .LBB208_457
; %bb.452:                              ;   in Loop: Header=BB208_15 Depth=1
	v_mov_b32_e32 v3, 0x7f800001
	v_bfe_u32 v2, v0, 16, 7
	v_mov_b32_e32 v4, 0
	s_mov_b32 s20, exec_lo
	buffer_store_dword v3, off, s[0:3], s32 offset:656 ; 4-byte Folded Spill
	buffer_store_dword v4, off, s[0:3], s32 offset:660 ; 4-byte Folded Spill
	v_cmpx_ne_u32_e32 0x7f, v2
	s_cbranch_execz .LBB208_456
; %bb.453:                              ;   in Loop: Header=BB208_15 Depth=1
	v_mov_b32_e32 v1, 7
	s_mov_b32 s21, exec_lo
	v_and_b32_sdwa v24, v0, v1 dst_sel:DWORD dst_unused:UNUSED_PAD src0_sel:WORD_1 src1_sel:DWORD
	v_lshrrev_b32_e32 v1, 3, v2
	v_cmpx_gt_u32_e32 8, v2
; %bb.454:                              ;   in Loop: Header=BB208_15 Depth=1
	v_ffbh_u32_e32 v1, v24
	v_min_u32_e32 v1, 32, v1
	v_subrev_nc_u32_e32 v2, 28, v1
	v_sub_nc_u32_e32 v1, 29, v1
	v_lshlrev_b64 v[2:3], v2, v[24:25]
	v_and_b32_e32 v24, 7, v2
; %bb.455:                              ;   in Loop: Header=BB208_15 Depth=1
	s_or_b32 exec_lo, exec_lo, s21
	v_mov_b32_e32 v2, 24
	v_lshlrev_b32_e32 v3, 20, v24
	v_lshl_add_u32 v1, v1, 23, 0x3c000000
	v_lshlrev_b32_sdwa v2, v2, v0 dst_sel:DWORD dst_unused:UNUSED_PAD src0_sel:DWORD src1_sel:WORD_1
	v_and_b32_e32 v2, 0x80000000, v2
	v_or3_b32 v24, v3, v2, v1
	buffer_store_dword v24, off, s[0:3], s32 offset:656 ; 4-byte Folded Spill
	buffer_store_dword v25, off, s[0:3], s32 offset:660 ; 4-byte Folded Spill
.LBB208_456:                            ;   in Loop: Header=BB208_15 Depth=1
	s_or_b32 exec_lo, exec_lo, s20
.LBB208_457:                            ;   in Loop: Header=BB208_15 Depth=1
	s_or_b32 exec_lo, exec_lo, s19
.LBB208_458:                            ;   in Loop: Header=BB208_15 Depth=1
	s_or_b32 exec_lo, exec_lo, s18
	s_mov_b32 s18, exec_lo
	v_cmpx_lt_u32_e32 0xffffff, v0
	s_cbranch_execz .LBB208_466
; %bb.459:                              ;   in Loop: Header=BB208_15 Depth=1
	v_mov_b32_e32 v1, 0x80
	v_mov_b32_e32 v110, v25
	buffer_store_dword v110, off, s[0:3], s32 offset:648 ; 4-byte Folded Spill
	buffer_store_dword v111, off, s[0:3], s32 offset:652 ; 4-byte Folded Spill
	v_cmp_ne_u32_sdwa s5, v0, v1 src0_sel:BYTE_3 src1_sel:DWORD
	s_and_saveexec_b32 s19, s5
	s_cbranch_execz .LBB208_465
; %bb.460:                              ;   in Loop: Header=BB208_15 Depth=1
	v_bfe_u32 v2, v0, 24, 7
	v_mov_b32_e32 v106, v25
	s_mov_b32 s20, exec_lo
	buffer_store_dword v106, off, s[0:3], s32 offset:648 ; 4-byte Folded Spill
	buffer_store_dword v107, off, s[0:3], s32 offset:652 ; 4-byte Folded Spill
	v_cmpx_ne_u32_e32 0x7f, v2
	s_cbranch_execz .LBB208_464
; %bb.461:                              ;   in Loop: Header=BB208_15 Depth=1
	v_mov_b32_e32 v1, 7
	s_mov_b32 s21, exec_lo
	v_and_b32_sdwa v24, v0, v1 dst_sel:DWORD dst_unused:UNUSED_PAD src0_sel:BYTE_3 src1_sel:DWORD
	v_lshrrev_b32_e32 v1, 3, v2
	v_cmpx_gt_u32_e32 8, v2
; %bb.462:                              ;   in Loop: Header=BB208_15 Depth=1
	v_ffbh_u32_e32 v1, v24
	v_min_u32_e32 v1, 32, v1
	v_subrev_nc_u32_e32 v2, 28, v1
	v_sub_nc_u32_e32 v1, 29, v1
	v_lshlrev_b64 v[2:3], v2, v[24:25]
	v_and_b32_e32 v24, 7, v2
; %bb.463:                              ;   in Loop: Header=BB208_15 Depth=1
	s_or_b32 exec_lo, exec_lo, s21
	v_mov_b32_e32 v2, 24
	v_lshl_add_u32 v1, v1, 23, 0x3c000000
	v_lshlrev_b32_sdwa v0, v2, v0 dst_sel:DWORD dst_unused:UNUSED_PAD src0_sel:DWORD src1_sel:BYTE_3
	v_lshlrev_b32_e32 v2, 20, v24
	v_and_b32_e32 v0, 0x80000000, v0
	v_or3_b32 v1, v2, v0, v1
	v_mov_b32_e32 v0, v25
	buffer_store_dword v0, off, s[0:3], s32 offset:648 ; 4-byte Folded Spill
	buffer_store_dword v1, off, s[0:3], s32 offset:652 ; 4-byte Folded Spill
.LBB208_464:                            ;   in Loop: Header=BB208_15 Depth=1
	s_or_b32 exec_lo, exec_lo, s20
.LBB208_465:                            ;   in Loop: Header=BB208_15 Depth=1
	s_or_b32 exec_lo, exec_lo, s19
.LBB208_466:                            ;   in Loop: Header=BB208_15 Depth=1
	s_or_b32 exec_lo, exec_lo, s18
	flat_load_dword v0, v[108:109] offset:1544
	v_mov_b32_e32 v22, 0
	v_mov_b32_e32 v124, 0
	;; [unrolled: 1-line block ×4, first 2 shown]
	s_waitcnt vmcnt(0) lgkmcnt(0)
	v_cmp_ne_u16_sdwa s5, v0, v25 src0_sel:BYTE_0 src1_sel:DWORD
	s_and_saveexec_b32 s18, s5
	s_cbranch_execz .LBB208_474
; %bb.467:                              ;   in Loop: Header=BB208_15 Depth=1
	v_mov_b32_e32 v1, 0x80
	v_bfrev_b32_e32 v124, 1
	v_mov_b32_e32 v125, 0
	v_cmp_ne_u16_sdwa s5, v0, v1 src0_sel:BYTE_0 src1_sel:DWORD
	s_and_saveexec_b32 s19, s5
	s_cbranch_execz .LBB208_473
; %bb.468:                              ;   in Loop: Header=BB208_15 Depth=1
	v_mov_b32_e32 v124, 0x7f800001
	v_and_b32_e32 v2, 0x7f, v0
	v_mov_b32_e32 v125, 0
	s_mov_b32 s20, exec_lo
	v_cmpx_ne_u32_e32 0x7f, v2
	s_cbranch_execz .LBB208_472
; %bb.469:                              ;   in Loop: Header=BB208_15 Depth=1
	v_and_b32_e32 v24, 7, v0
	v_lshrrev_b32_e32 v1, 3, v2
	s_mov_b32 s21, exec_lo
	v_cmpx_gt_u32_e32 8, v2
; %bb.470:                              ;   in Loop: Header=BB208_15 Depth=1
	v_ffbh_u32_e32 v1, v24
	v_min_u32_e32 v1, 32, v1
	v_subrev_nc_u32_e32 v2, 28, v1
	v_sub_nc_u32_e32 v1, 29, v1
	v_lshlrev_b64 v[2:3], v2, v[24:25]
	v_and_b32_e32 v24, 7, v2
; %bb.471:                              ;   in Loop: Header=BB208_15 Depth=1
	s_or_b32 exec_lo, exec_lo, s21
	v_lshlrev_b32_e32 v2, 24, v0
	v_lshlrev_b32_e32 v3, 20, v24
	v_lshl_add_u32 v1, v1, 23, 0x3c000000
	v_and_b32_e32 v2, 0x80000000, v2
	v_or3_b32 v24, v3, v2, v1
	v_mov_b32_e32 v125, v25
	v_mov_b32_e32 v124, v24
.LBB208_472:                            ;   in Loop: Header=BB208_15 Depth=1
	s_or_b32 exec_lo, exec_lo, s20
.LBB208_473:                            ;   in Loop: Header=BB208_15 Depth=1
	s_or_b32 exec_lo, exec_lo, s19
.LBB208_474:                            ;   in Loop: Header=BB208_15 Depth=1
	s_or_b32 exec_lo, exec_lo, s18
	v_cmp_ne_u16_sdwa s5, v0, v25 src0_sel:BYTE_1 src1_sel:DWORD
	s_and_saveexec_b32 s18, s5
	s_cbranch_execz .LBB208_482
; %bb.475:                              ;   in Loop: Header=BB208_15 Depth=1
	v_mov_b32_e32 v110, v25
	v_mov_b32_e32 v1, 0x80
	;; [unrolled: 1-line block ×3, first 2 shown]
	v_cmp_ne_u16_sdwa s5, v0, v1 src0_sel:BYTE_1 src1_sel:DWORD
	v_mov_b32_e32 v23, v111
	s_and_saveexec_b32 s19, s5
	s_cbranch_execz .LBB208_481
; %bb.476:                              ;   in Loop: Header=BB208_15 Depth=1
	v_mov_b32_e32 v1, 0xffff
	v_mov_b32_e32 v106, v25
	s_mov_b32 s20, exec_lo
	v_and_b32_sdwa v1, v1, v0 dst_sel:DWORD dst_unused:UNUSED_PAD src0_sel:DWORD src1_sel:BYTE_1
	v_mov_b32_e32 v22, v106
	v_mov_b32_e32 v23, v107
	v_and_b32_e32 v2, 0x7f, v1
	v_cmpx_ne_u32_e32 0x7f, v2
	s_cbranch_execz .LBB208_480
; %bb.477:                              ;   in Loop: Header=BB208_15 Depth=1
	v_and_b32_e32 v24, 7, v1
	v_lshrrev_b32_e32 v1, 3, v2
	s_mov_b32 s21, exec_lo
	v_cmpx_gt_u32_e32 8, v2
; %bb.478:                              ;   in Loop: Header=BB208_15 Depth=1
	v_ffbh_u32_e32 v1, v24
	v_min_u32_e32 v1, 32, v1
	v_subrev_nc_u32_e32 v2, 28, v1
	v_sub_nc_u32_e32 v1, 29, v1
	v_lshlrev_b64 v[2:3], v2, v[24:25]
	v_and_b32_e32 v24, 7, v2
; %bb.479:                              ;   in Loop: Header=BB208_15 Depth=1
	s_or_b32 exec_lo, exec_lo, s21
	v_lshlrev_b32_e32 v2, 16, v0
	v_lshlrev_b32_e32 v3, 20, v24
	v_lshl_add_u32 v1, v1, 23, 0x3c000000
	v_mov_b32_e32 v22, v25
	v_and_b32_e32 v2, 0x80000000, v2
	v_or3_b32 v23, v3, v2, v1
.LBB208_480:                            ;   in Loop: Header=BB208_15 Depth=1
	s_or_b32 exec_lo, exec_lo, s20
.LBB208_481:                            ;   in Loop: Header=BB208_15 Depth=1
	s_or_b32 exec_lo, exec_lo, s19
.LBB208_482:                            ;   in Loop: Header=BB208_15 Depth=1
	s_or_b32 exec_lo, exec_lo, s18
	v_mov_b32_e32 v18, 0
	v_mov_b32_e32 v12, 0
	v_and_b32_sdwa v1, v0, v6 dst_sel:DWORD dst_unused:UNUSED_PAD src0_sel:WORD_1 src1_sel:DWORD
	v_mov_b32_e32 v19, 0
	v_mov_b32_e32 v13, 0
	s_mov_b32 s18, exec_lo
	v_cmpx_ne_u16_e32 0, v1
	s_cbranch_execz .LBB208_490
; %bb.483:                              ;   in Loop: Header=BB208_15 Depth=1
	v_bfrev_b32_e32 v12, 1
	v_mov_b32_e32 v13, 0
	s_mov_b32 s19, exec_lo
	v_cmpx_ne_u16_e32 0x80, v1
	s_cbranch_execz .LBB208_489
; %bb.484:                              ;   in Loop: Header=BB208_15 Depth=1
	v_mov_b32_e32 v12, 0x7f800001
	v_bfe_u32 v2, v0, 16, 7
	v_mov_b32_e32 v13, 0
	s_mov_b32 s20, exec_lo
	v_cmpx_ne_u32_e32 0x7f, v2
	s_cbranch_execz .LBB208_488
; %bb.485:                              ;   in Loop: Header=BB208_15 Depth=1
	v_mov_b32_e32 v1, 7
	s_mov_b32 s21, exec_lo
	v_and_b32_sdwa v24, v0, v1 dst_sel:DWORD dst_unused:UNUSED_PAD src0_sel:WORD_1 src1_sel:DWORD
	v_lshrrev_b32_e32 v1, 3, v2
	v_cmpx_gt_u32_e32 8, v2
; %bb.486:                              ;   in Loop: Header=BB208_15 Depth=1
	v_ffbh_u32_e32 v1, v24
	v_min_u32_e32 v1, 32, v1
	v_subrev_nc_u32_e32 v2, 28, v1
	v_sub_nc_u32_e32 v1, 29, v1
	v_lshlrev_b64 v[2:3], v2, v[24:25]
	v_and_b32_e32 v24, 7, v2
; %bb.487:                              ;   in Loop: Header=BB208_15 Depth=1
	s_or_b32 exec_lo, exec_lo, s21
	v_mov_b32_e32 v2, 24
	v_lshlrev_b32_e32 v3, 20, v24
	v_lshl_add_u32 v1, v1, 23, 0x3c000000
	v_lshlrev_b32_sdwa v2, v2, v0 dst_sel:DWORD dst_unused:UNUSED_PAD src0_sel:DWORD src1_sel:WORD_1
	v_and_b32_e32 v2, 0x80000000, v2
	v_or3_b32 v24, v3, v2, v1
	v_mov_b32_e32 v12, v24
	v_mov_b32_e32 v13, v25
.LBB208_488:                            ;   in Loop: Header=BB208_15 Depth=1
	s_or_b32 exec_lo, exec_lo, s20
.LBB208_489:                            ;   in Loop: Header=BB208_15 Depth=1
	s_or_b32 exec_lo, exec_lo, s19
.LBB208_490:                            ;   in Loop: Header=BB208_15 Depth=1
	s_or_b32 exec_lo, exec_lo, s18
	s_mov_b32 s18, exec_lo
	v_cmpx_lt_u32_e32 0xffffff, v0
	s_cbranch_execz .LBB208_498
; %bb.491:                              ;   in Loop: Header=BB208_15 Depth=1
	v_mov_b32_e32 v110, v25
	v_mov_b32_e32 v1, 0x80
	;; [unrolled: 1-line block ×3, first 2 shown]
	v_cmp_ne_u32_sdwa s5, v0, v1 src0_sel:BYTE_3 src1_sel:DWORD
	v_mov_b32_e32 v19, v111
	s_and_saveexec_b32 s19, s5
	s_cbranch_execz .LBB208_497
; %bb.492:                              ;   in Loop: Header=BB208_15 Depth=1
	v_mov_b32_e32 v106, v25
	v_bfe_u32 v2, v0, 24, 7
	s_mov_b32 s20, exec_lo
	v_mov_b32_e32 v18, v106
	v_mov_b32_e32 v19, v107
	v_cmpx_ne_u32_e32 0x7f, v2
	s_cbranch_execz .LBB208_496
; %bb.493:                              ;   in Loop: Header=BB208_15 Depth=1
	v_mov_b32_e32 v1, 7
	s_mov_b32 s21, exec_lo
	v_and_b32_sdwa v24, v0, v1 dst_sel:DWORD dst_unused:UNUSED_PAD src0_sel:BYTE_3 src1_sel:DWORD
	v_lshrrev_b32_e32 v1, 3, v2
	v_cmpx_gt_u32_e32 8, v2
; %bb.494:                              ;   in Loop: Header=BB208_15 Depth=1
	v_ffbh_u32_e32 v1, v24
	v_min_u32_e32 v1, 32, v1
	v_subrev_nc_u32_e32 v2, 28, v1
	v_sub_nc_u32_e32 v1, 29, v1
	v_lshlrev_b64 v[2:3], v2, v[24:25]
	v_and_b32_e32 v24, 7, v2
; %bb.495:                              ;   in Loop: Header=BB208_15 Depth=1
	s_or_b32 exec_lo, exec_lo, s21
	v_mov_b32_e32 v2, 24
	v_lshl_add_u32 v1, v1, 23, 0x3c000000
	v_mov_b32_e32 v18, v25
	v_lshlrev_b32_sdwa v0, v2, v0 dst_sel:DWORD dst_unused:UNUSED_PAD src0_sel:DWORD src1_sel:BYTE_3
	v_lshlrev_b32_e32 v2, 20, v24
	v_and_b32_e32 v0, 0x80000000, v0
	v_or3_b32 v19, v2, v0, v1
.LBB208_496:                            ;   in Loop: Header=BB208_15 Depth=1
	s_or_b32 exec_lo, exec_lo, s20
.LBB208_497:                            ;   in Loop: Header=BB208_15 Depth=1
	s_or_b32 exec_lo, exec_lo, s19
.LBB208_498:                            ;   in Loop: Header=BB208_15 Depth=1
	s_or_b32 exec_lo, exec_lo, s18
	flat_load_dword v0, v[108:109] offset:1548
	v_mov_b32_e32 v20, 0
	v_mov_b32_e32 v29, 0
	v_mov_b32_e32 v21, 0
	v_mov_b32_e32 v30, 0
	s_waitcnt vmcnt(0) lgkmcnt(0)
	v_cmp_ne_u16_sdwa s5, v0, v25 src0_sel:BYTE_0 src1_sel:DWORD
	s_and_saveexec_b32 s18, s5
	s_cbranch_execz .LBB208_506
; %bb.499:                              ;   in Loop: Header=BB208_15 Depth=1
	v_mov_b32_e32 v1, 0x80
	v_bfrev_b32_e32 v29, 1
	v_mov_b32_e32 v30, 0
	v_cmp_ne_u16_sdwa s5, v0, v1 src0_sel:BYTE_0 src1_sel:DWORD
	s_and_saveexec_b32 s19, s5
	s_cbranch_execz .LBB208_505
; %bb.500:                              ;   in Loop: Header=BB208_15 Depth=1
	v_mov_b32_e32 v29, 0x7f800001
	v_and_b32_e32 v2, 0x7f, v0
	v_mov_b32_e32 v30, 0
	s_mov_b32 s20, exec_lo
	v_cmpx_ne_u32_e32 0x7f, v2
	s_cbranch_execz .LBB208_504
; %bb.501:                              ;   in Loop: Header=BB208_15 Depth=1
	v_and_b32_e32 v24, 7, v0
	v_lshrrev_b32_e32 v1, 3, v2
	s_mov_b32 s21, exec_lo
	v_cmpx_gt_u32_e32 8, v2
; %bb.502:                              ;   in Loop: Header=BB208_15 Depth=1
	v_ffbh_u32_e32 v1, v24
	v_min_u32_e32 v1, 32, v1
	v_subrev_nc_u32_e32 v2, 28, v1
	v_sub_nc_u32_e32 v1, 29, v1
	v_lshlrev_b64 v[2:3], v2, v[24:25]
	v_and_b32_e32 v24, 7, v2
; %bb.503:                              ;   in Loop: Header=BB208_15 Depth=1
	s_or_b32 exec_lo, exec_lo, s21
	v_lshlrev_b32_e32 v2, 24, v0
	v_lshlrev_b32_e32 v3, 20, v24
	v_lshl_add_u32 v1, v1, 23, 0x3c000000
	v_and_b32_e32 v2, 0x80000000, v2
	v_or3_b32 v24, v3, v2, v1
	v_mov_b32_e32 v30, v25
	v_mov_b32_e32 v29, v24
.LBB208_504:                            ;   in Loop: Header=BB208_15 Depth=1
	s_or_b32 exec_lo, exec_lo, s20
.LBB208_505:                            ;   in Loop: Header=BB208_15 Depth=1
	s_or_b32 exec_lo, exec_lo, s19
.LBB208_506:                            ;   in Loop: Header=BB208_15 Depth=1
	s_or_b32 exec_lo, exec_lo, s18
	v_cmp_ne_u16_sdwa s5, v0, v25 src0_sel:BYTE_1 src1_sel:DWORD
	s_and_saveexec_b32 s18, s5
	s_cbranch_execz .LBB208_514
; %bb.507:                              ;   in Loop: Header=BB208_15 Depth=1
	v_mov_b32_e32 v110, v25
	v_mov_b32_e32 v1, 0x80
	;; [unrolled: 1-line block ×3, first 2 shown]
	v_cmp_ne_u16_sdwa s5, v0, v1 src0_sel:BYTE_1 src1_sel:DWORD
	v_mov_b32_e32 v21, v111
	s_and_saveexec_b32 s19, s5
	s_cbranch_execz .LBB208_513
; %bb.508:                              ;   in Loop: Header=BB208_15 Depth=1
	v_mov_b32_e32 v1, 0xffff
	v_mov_b32_e32 v106, v25
	s_mov_b32 s20, exec_lo
	v_and_b32_sdwa v1, v1, v0 dst_sel:DWORD dst_unused:UNUSED_PAD src0_sel:DWORD src1_sel:BYTE_1
	v_mov_b32_e32 v20, v106
	v_mov_b32_e32 v21, v107
	v_and_b32_e32 v2, 0x7f, v1
	v_cmpx_ne_u32_e32 0x7f, v2
	s_cbranch_execz .LBB208_512
; %bb.509:                              ;   in Loop: Header=BB208_15 Depth=1
	v_and_b32_e32 v24, 7, v1
	v_lshrrev_b32_e32 v1, 3, v2
	s_mov_b32 s21, exec_lo
	v_cmpx_gt_u32_e32 8, v2
; %bb.510:                              ;   in Loop: Header=BB208_15 Depth=1
	v_ffbh_u32_e32 v1, v24
	v_min_u32_e32 v1, 32, v1
	v_subrev_nc_u32_e32 v2, 28, v1
	v_sub_nc_u32_e32 v1, 29, v1
	v_lshlrev_b64 v[2:3], v2, v[24:25]
	v_and_b32_e32 v24, 7, v2
; %bb.511:                              ;   in Loop: Header=BB208_15 Depth=1
	s_or_b32 exec_lo, exec_lo, s21
	v_lshlrev_b32_e32 v2, 16, v0
	v_lshlrev_b32_e32 v3, 20, v24
	v_lshl_add_u32 v1, v1, 23, 0x3c000000
	v_mov_b32_e32 v20, v25
	v_and_b32_e32 v2, 0x80000000, v2
	v_or3_b32 v21, v3, v2, v1
.LBB208_512:                            ;   in Loop: Header=BB208_15 Depth=1
	s_or_b32 exec_lo, exec_lo, s20
.LBB208_513:                            ;   in Loop: Header=BB208_15 Depth=1
	s_or_b32 exec_lo, exec_lo, s19
.LBB208_514:                            ;   in Loop: Header=BB208_15 Depth=1
	s_or_b32 exec_lo, exec_lo, s18
	v_mov_b32_e32 v31, 0
	v_mov_b32_e32 v16, 0
	v_and_b32_sdwa v1, v0, v6 dst_sel:DWORD dst_unused:UNUSED_PAD src0_sel:WORD_1 src1_sel:DWORD
	v_mov_b32_e32 v32, 0
	v_mov_b32_e32 v17, 0
	s_mov_b32 s18, exec_lo
	v_cmpx_ne_u16_e32 0, v1
	s_cbranch_execz .LBB208_522
; %bb.515:                              ;   in Loop: Header=BB208_15 Depth=1
	v_bfrev_b32_e32 v16, 1
	v_mov_b32_e32 v17, 0
	s_mov_b32 s19, exec_lo
	v_cmpx_ne_u16_e32 0x80, v1
	s_cbranch_execz .LBB208_521
; %bb.516:                              ;   in Loop: Header=BB208_15 Depth=1
	v_mov_b32_e32 v16, 0x7f800001
	v_bfe_u32 v2, v0, 16, 7
	v_mov_b32_e32 v17, 0
	s_mov_b32 s20, exec_lo
	v_cmpx_ne_u32_e32 0x7f, v2
	s_cbranch_execz .LBB208_520
; %bb.517:                              ;   in Loop: Header=BB208_15 Depth=1
	v_mov_b32_e32 v1, 7
	s_mov_b32 s21, exec_lo
	v_and_b32_sdwa v24, v0, v1 dst_sel:DWORD dst_unused:UNUSED_PAD src0_sel:WORD_1 src1_sel:DWORD
	v_lshrrev_b32_e32 v1, 3, v2
	v_cmpx_gt_u32_e32 8, v2
; %bb.518:                              ;   in Loop: Header=BB208_15 Depth=1
	v_ffbh_u32_e32 v1, v24
	v_min_u32_e32 v1, 32, v1
	v_subrev_nc_u32_e32 v2, 28, v1
	v_sub_nc_u32_e32 v1, 29, v1
	v_lshlrev_b64 v[2:3], v2, v[24:25]
	v_and_b32_e32 v24, 7, v2
; %bb.519:                              ;   in Loop: Header=BB208_15 Depth=1
	s_or_b32 exec_lo, exec_lo, s21
	v_mov_b32_e32 v2, 24
	v_lshlrev_b32_e32 v3, 20, v24
	v_lshl_add_u32 v1, v1, 23, 0x3c000000
	v_lshlrev_b32_sdwa v2, v2, v0 dst_sel:DWORD dst_unused:UNUSED_PAD src0_sel:DWORD src1_sel:WORD_1
	v_and_b32_e32 v2, 0x80000000, v2
	v_or3_b32 v24, v3, v2, v1
	v_mov_b32_e32 v16, v24
	v_mov_b32_e32 v17, v25
.LBB208_520:                            ;   in Loop: Header=BB208_15 Depth=1
	s_or_b32 exec_lo, exec_lo, s20
.LBB208_521:                            ;   in Loop: Header=BB208_15 Depth=1
	s_or_b32 exec_lo, exec_lo, s19
.LBB208_522:                            ;   in Loop: Header=BB208_15 Depth=1
	s_or_b32 exec_lo, exec_lo, s18
	s_mov_b32 s18, exec_lo
	v_cmpx_lt_u32_e32 0xffffff, v0
	s_cbranch_execz .LBB208_530
; %bb.523:                              ;   in Loop: Header=BB208_15 Depth=1
	v_mov_b32_e32 v110, v25
	v_mov_b32_e32 v1, 0x80
	;; [unrolled: 1-line block ×3, first 2 shown]
	v_cmp_ne_u32_sdwa s5, v0, v1 src0_sel:BYTE_3 src1_sel:DWORD
	v_mov_b32_e32 v32, v111
	s_and_saveexec_b32 s19, s5
	s_cbranch_execz .LBB208_529
; %bb.524:                              ;   in Loop: Header=BB208_15 Depth=1
	v_mov_b32_e32 v106, v25
	v_bfe_u32 v2, v0, 24, 7
	s_mov_b32 s20, exec_lo
	v_mov_b32_e32 v31, v106
	v_mov_b32_e32 v32, v107
	v_cmpx_ne_u32_e32 0x7f, v2
	s_cbranch_execz .LBB208_528
; %bb.525:                              ;   in Loop: Header=BB208_15 Depth=1
	v_mov_b32_e32 v1, 7
	s_mov_b32 s21, exec_lo
	v_and_b32_sdwa v24, v0, v1 dst_sel:DWORD dst_unused:UNUSED_PAD src0_sel:BYTE_3 src1_sel:DWORD
	v_lshrrev_b32_e32 v1, 3, v2
	v_cmpx_gt_u32_e32 8, v2
; %bb.526:                              ;   in Loop: Header=BB208_15 Depth=1
	v_ffbh_u32_e32 v1, v24
	v_min_u32_e32 v1, 32, v1
	v_subrev_nc_u32_e32 v2, 28, v1
	v_sub_nc_u32_e32 v1, 29, v1
	v_lshlrev_b64 v[2:3], v2, v[24:25]
	v_and_b32_e32 v24, 7, v2
; %bb.527:                              ;   in Loop: Header=BB208_15 Depth=1
	s_or_b32 exec_lo, exec_lo, s21
	v_mov_b32_e32 v2, 24
	v_lshl_add_u32 v1, v1, 23, 0x3c000000
	v_mov_b32_e32 v31, v25
	v_lshlrev_b32_sdwa v0, v2, v0 dst_sel:DWORD dst_unused:UNUSED_PAD src0_sel:DWORD src1_sel:BYTE_3
	v_lshlrev_b32_e32 v2, 20, v24
	v_and_b32_e32 v0, 0x80000000, v0
	v_or3_b32 v32, v2, v0, v1
.LBB208_528:                            ;   in Loop: Header=BB208_15 Depth=1
	s_or_b32 exec_lo, exec_lo, s20
.LBB208_529:                            ;   in Loop: Header=BB208_15 Depth=1
	s_or_b32 exec_lo, exec_lo, s19
.LBB208_530:                            ;   in Loop: Header=BB208_15 Depth=1
	s_or_b32 exec_lo, exec_lo, s18
	v_add_co_u32 v33, s5, 0x800, v108
	v_add_co_ci_u32_e64 v34, null, 0, v109, s5
	v_mov_b32_e32 v37, 0
	v_mov_b32_e32 v108, 0
	;; [unrolled: 1-line block ×3, first 2 shown]
	flat_load_dword v0, v[33:34]
	v_mov_b32_e32 v109, 0
	s_waitcnt vmcnt(0) lgkmcnt(0)
	v_cmp_ne_u16_sdwa s5, v0, v25 src0_sel:BYTE_0 src1_sel:DWORD
	s_and_saveexec_b32 s18, s5
	s_cbranch_execz .LBB208_538
; %bb.531:                              ;   in Loop: Header=BB208_15 Depth=1
	v_mov_b32_e32 v1, 0x80
	v_bfrev_b32_e32 v108, 1
	v_mov_b32_e32 v109, 0
	v_cmp_ne_u16_sdwa s5, v0, v1 src0_sel:BYTE_0 src1_sel:DWORD
	s_and_saveexec_b32 s19, s5
	s_cbranch_execz .LBB208_537
; %bb.532:                              ;   in Loop: Header=BB208_15 Depth=1
	v_mov_b32_e32 v108, 0x7f800001
	v_and_b32_e32 v2, 0x7f, v0
	v_mov_b32_e32 v109, 0
	s_mov_b32 s20, exec_lo
	v_cmpx_ne_u32_e32 0x7f, v2
	s_cbranch_execz .LBB208_536
; %bb.533:                              ;   in Loop: Header=BB208_15 Depth=1
	v_and_b32_e32 v24, 7, v0
	v_lshrrev_b32_e32 v1, 3, v2
	s_mov_b32 s21, exec_lo
	v_cmpx_gt_u32_e32 8, v2
; %bb.534:                              ;   in Loop: Header=BB208_15 Depth=1
	v_ffbh_u32_e32 v1, v24
	v_min_u32_e32 v1, 32, v1
	v_subrev_nc_u32_e32 v2, 28, v1
	v_sub_nc_u32_e32 v1, 29, v1
	v_lshlrev_b64 v[2:3], v2, v[24:25]
	v_and_b32_e32 v24, 7, v2
; %bb.535:                              ;   in Loop: Header=BB208_15 Depth=1
	s_or_b32 exec_lo, exec_lo, s21
	v_lshlrev_b32_e32 v2, 24, v0
	v_lshlrev_b32_e32 v3, 20, v24
	v_lshl_add_u32 v1, v1, 23, 0x3c000000
	v_and_b32_e32 v2, 0x80000000, v2
	v_or3_b32 v24, v3, v2, v1
	v_mov_b32_e32 v109, v25
	v_mov_b32_e32 v108, v24
.LBB208_536:                            ;   in Loop: Header=BB208_15 Depth=1
	s_or_b32 exec_lo, exec_lo, s20
.LBB208_537:                            ;   in Loop: Header=BB208_15 Depth=1
	s_or_b32 exec_lo, exec_lo, s19
.LBB208_538:                            ;   in Loop: Header=BB208_15 Depth=1
	s_or_b32 exec_lo, exec_lo, s18
	v_cmp_ne_u16_sdwa s5, v0, v25 src0_sel:BYTE_1 src1_sel:DWORD
	s_and_saveexec_b32 s18, s5
	s_cbranch_execz .LBB208_546
; %bb.539:                              ;   in Loop: Header=BB208_15 Depth=1
	v_mov_b32_e32 v110, v25
	v_mov_b32_e32 v1, 0x80
	;; [unrolled: 1-line block ×3, first 2 shown]
	v_cmp_ne_u16_sdwa s5, v0, v1 src0_sel:BYTE_1 src1_sel:DWORD
	v_mov_b32_e32 v38, v111
	s_and_saveexec_b32 s19, s5
	s_cbranch_execz .LBB208_545
; %bb.540:                              ;   in Loop: Header=BB208_15 Depth=1
	v_mov_b32_e32 v1, 0xffff
	v_mov_b32_e32 v106, v25
	s_mov_b32 s20, exec_lo
	v_and_b32_sdwa v1, v1, v0 dst_sel:DWORD dst_unused:UNUSED_PAD src0_sel:DWORD src1_sel:BYTE_1
	v_mov_b32_e32 v37, v106
	v_mov_b32_e32 v38, v107
	v_and_b32_e32 v2, 0x7f, v1
	v_cmpx_ne_u32_e32 0x7f, v2
	s_cbranch_execz .LBB208_544
; %bb.541:                              ;   in Loop: Header=BB208_15 Depth=1
	v_and_b32_e32 v24, 7, v1
	v_lshrrev_b32_e32 v1, 3, v2
	s_mov_b32 s21, exec_lo
	v_cmpx_gt_u32_e32 8, v2
; %bb.542:                              ;   in Loop: Header=BB208_15 Depth=1
	v_ffbh_u32_e32 v1, v24
	v_min_u32_e32 v1, 32, v1
	v_subrev_nc_u32_e32 v2, 28, v1
	v_sub_nc_u32_e32 v1, 29, v1
	v_lshlrev_b64 v[2:3], v2, v[24:25]
	v_and_b32_e32 v24, 7, v2
; %bb.543:                              ;   in Loop: Header=BB208_15 Depth=1
	s_or_b32 exec_lo, exec_lo, s21
	v_lshlrev_b32_e32 v2, 16, v0
	v_lshlrev_b32_e32 v3, 20, v24
	v_lshl_add_u32 v1, v1, 23, 0x3c000000
	v_mov_b32_e32 v37, v25
	v_and_b32_e32 v2, 0x80000000, v2
	v_or3_b32 v38, v3, v2, v1
.LBB208_544:                            ;   in Loop: Header=BB208_15 Depth=1
	s_or_b32 exec_lo, exec_lo, s20
.LBB208_545:                            ;   in Loop: Header=BB208_15 Depth=1
	s_or_b32 exec_lo, exec_lo, s19
.LBB208_546:                            ;   in Loop: Header=BB208_15 Depth=1
	s_or_b32 exec_lo, exec_lo, s18
	v_mov_b32_e32 v14, 0
	v_mov_b32_e32 v48, 0
	v_and_b32_sdwa v1, v0, v6 dst_sel:DWORD dst_unused:UNUSED_PAD src0_sel:WORD_1 src1_sel:DWORD
	v_mov_b32_e32 v15, 0
	v_mov_b32_e32 v49, 0
	s_mov_b32 s18, exec_lo
	v_cmpx_ne_u16_e32 0, v1
	s_cbranch_execz .LBB208_554
; %bb.547:                              ;   in Loop: Header=BB208_15 Depth=1
	v_bfrev_b32_e32 v48, 1
	v_mov_b32_e32 v49, 0
	s_mov_b32 s19, exec_lo
	v_cmpx_ne_u16_e32 0x80, v1
	s_cbranch_execz .LBB208_553
; %bb.548:                              ;   in Loop: Header=BB208_15 Depth=1
	v_mov_b32_e32 v48, 0x7f800001
	v_bfe_u32 v2, v0, 16, 7
	v_mov_b32_e32 v49, 0
	s_mov_b32 s20, exec_lo
	v_cmpx_ne_u32_e32 0x7f, v2
	s_cbranch_execz .LBB208_552
; %bb.549:                              ;   in Loop: Header=BB208_15 Depth=1
	v_mov_b32_e32 v1, 7
	s_mov_b32 s21, exec_lo
	v_and_b32_sdwa v24, v0, v1 dst_sel:DWORD dst_unused:UNUSED_PAD src0_sel:WORD_1 src1_sel:DWORD
	v_lshrrev_b32_e32 v1, 3, v2
	v_cmpx_gt_u32_e32 8, v2
; %bb.550:                              ;   in Loop: Header=BB208_15 Depth=1
	v_ffbh_u32_e32 v1, v24
	v_min_u32_e32 v1, 32, v1
	v_subrev_nc_u32_e32 v2, 28, v1
	v_sub_nc_u32_e32 v1, 29, v1
	v_lshlrev_b64 v[2:3], v2, v[24:25]
	v_and_b32_e32 v24, 7, v2
; %bb.551:                              ;   in Loop: Header=BB208_15 Depth=1
	s_or_b32 exec_lo, exec_lo, s21
	v_mov_b32_e32 v2, 24
	v_lshlrev_b32_e32 v3, 20, v24
	v_lshl_add_u32 v1, v1, 23, 0x3c000000
	v_lshlrev_b32_sdwa v2, v2, v0 dst_sel:DWORD dst_unused:UNUSED_PAD src0_sel:DWORD src1_sel:WORD_1
	v_and_b32_e32 v2, 0x80000000, v2
	v_or3_b32 v24, v3, v2, v1
	v_mov_b32_e32 v49, v25
	v_mov_b32_e32 v48, v24
.LBB208_552:                            ;   in Loop: Header=BB208_15 Depth=1
	s_or_b32 exec_lo, exec_lo, s20
.LBB208_553:                            ;   in Loop: Header=BB208_15 Depth=1
	s_or_b32 exec_lo, exec_lo, s19
.LBB208_554:                            ;   in Loop: Header=BB208_15 Depth=1
	s_or_b32 exec_lo, exec_lo, s18
	s_mov_b32 s18, exec_lo
	v_cmpx_lt_u32_e32 0xffffff, v0
	s_cbranch_execz .LBB208_562
; %bb.555:                              ;   in Loop: Header=BB208_15 Depth=1
	v_mov_b32_e32 v110, v25
	v_mov_b32_e32 v1, 0x80
	;; [unrolled: 1-line block ×3, first 2 shown]
	v_cmp_ne_u32_sdwa s5, v0, v1 src0_sel:BYTE_3 src1_sel:DWORD
	v_mov_b32_e32 v15, v111
	s_and_saveexec_b32 s19, s5
	s_cbranch_execz .LBB208_561
; %bb.556:                              ;   in Loop: Header=BB208_15 Depth=1
	v_mov_b32_e32 v106, v25
	v_bfe_u32 v2, v0, 24, 7
	s_mov_b32 s20, exec_lo
	v_mov_b32_e32 v14, v106
	v_mov_b32_e32 v15, v107
	v_cmpx_ne_u32_e32 0x7f, v2
	s_cbranch_execz .LBB208_560
; %bb.557:                              ;   in Loop: Header=BB208_15 Depth=1
	v_mov_b32_e32 v1, 7
	s_mov_b32 s21, exec_lo
	v_and_b32_sdwa v24, v0, v1 dst_sel:DWORD dst_unused:UNUSED_PAD src0_sel:BYTE_3 src1_sel:DWORD
	v_lshrrev_b32_e32 v1, 3, v2
	v_cmpx_gt_u32_e32 8, v2
; %bb.558:                              ;   in Loop: Header=BB208_15 Depth=1
	v_ffbh_u32_e32 v1, v24
	v_min_u32_e32 v1, 32, v1
	v_subrev_nc_u32_e32 v2, 28, v1
	v_sub_nc_u32_e32 v1, 29, v1
	v_lshlrev_b64 v[2:3], v2, v[24:25]
	v_and_b32_e32 v24, 7, v2
; %bb.559:                              ;   in Loop: Header=BB208_15 Depth=1
	s_or_b32 exec_lo, exec_lo, s21
	v_mov_b32_e32 v2, 24
	v_lshl_add_u32 v1, v1, 23, 0x3c000000
	v_mov_b32_e32 v14, v25
	v_lshlrev_b32_sdwa v0, v2, v0 dst_sel:DWORD dst_unused:UNUSED_PAD src0_sel:DWORD src1_sel:BYTE_3
	v_lshlrev_b32_e32 v2, 20, v24
	v_and_b32_e32 v0, 0x80000000, v0
	v_or3_b32 v15, v2, v0, v1
.LBB208_560:                            ;   in Loop: Header=BB208_15 Depth=1
	s_or_b32 exec_lo, exec_lo, s20
.LBB208_561:                            ;   in Loop: Header=BB208_15 Depth=1
	s_or_b32 exec_lo, exec_lo, s19
.LBB208_562:                            ;   in Loop: Header=BB208_15 Depth=1
	s_or_b32 exec_lo, exec_lo, s18
	flat_load_dword v0, v[33:34] offset:4
	v_mov_b32_e32 v54, 0
	v_mov_b32_e32 v27, 0
	;; [unrolled: 1-line block ×4, first 2 shown]
	s_waitcnt vmcnt(0) lgkmcnt(0)
	v_cmp_ne_u16_sdwa s5, v0, v25 src0_sel:BYTE_0 src1_sel:DWORD
	s_and_saveexec_b32 s18, s5
	s_cbranch_execz .LBB208_570
; %bb.563:                              ;   in Loop: Header=BB208_15 Depth=1
	v_mov_b32_e32 v1, 0x80
	v_bfrev_b32_e32 v27, 1
	v_mov_b32_e32 v28, 0
	v_cmp_ne_u16_sdwa s5, v0, v1 src0_sel:BYTE_0 src1_sel:DWORD
	s_and_saveexec_b32 s19, s5
	s_cbranch_execz .LBB208_569
; %bb.564:                              ;   in Loop: Header=BB208_15 Depth=1
	v_mov_b32_e32 v27, 0x7f800001
	v_and_b32_e32 v2, 0x7f, v0
	v_mov_b32_e32 v28, 0
	s_mov_b32 s20, exec_lo
	v_cmpx_ne_u32_e32 0x7f, v2
	s_cbranch_execz .LBB208_568
; %bb.565:                              ;   in Loop: Header=BB208_15 Depth=1
	v_and_b32_e32 v24, 7, v0
	v_lshrrev_b32_e32 v1, 3, v2
	s_mov_b32 s21, exec_lo
	v_cmpx_gt_u32_e32 8, v2
; %bb.566:                              ;   in Loop: Header=BB208_15 Depth=1
	v_ffbh_u32_e32 v1, v24
	v_min_u32_e32 v1, 32, v1
	v_subrev_nc_u32_e32 v2, 28, v1
	v_sub_nc_u32_e32 v1, 29, v1
	v_lshlrev_b64 v[2:3], v2, v[24:25]
	v_and_b32_e32 v24, 7, v2
; %bb.567:                              ;   in Loop: Header=BB208_15 Depth=1
	s_or_b32 exec_lo, exec_lo, s21
	v_lshlrev_b32_e32 v2, 24, v0
	v_lshlrev_b32_e32 v3, 20, v24
	v_lshl_add_u32 v1, v1, 23, 0x3c000000
	v_and_b32_e32 v2, 0x80000000, v2
	v_or3_b32 v24, v3, v2, v1
	v_mov_b32_e32 v28, v25
	v_mov_b32_e32 v27, v24
.LBB208_568:                            ;   in Loop: Header=BB208_15 Depth=1
	s_or_b32 exec_lo, exec_lo, s20
.LBB208_569:                            ;   in Loop: Header=BB208_15 Depth=1
	s_or_b32 exec_lo, exec_lo, s19
.LBB208_570:                            ;   in Loop: Header=BB208_15 Depth=1
	s_or_b32 exec_lo, exec_lo, s18
	v_cmp_ne_u16_sdwa s5, v0, v25 src0_sel:BYTE_1 src1_sel:DWORD
	s_and_saveexec_b32 s18, s5
	s_cbranch_execz .LBB208_578
; %bb.571:                              ;   in Loop: Header=BB208_15 Depth=1
	v_mov_b32_e32 v110, v25
	v_mov_b32_e32 v1, 0x80
	;; [unrolled: 1-line block ×3, first 2 shown]
	v_cmp_ne_u16_sdwa s5, v0, v1 src0_sel:BYTE_1 src1_sel:DWORD
	v_mov_b32_e32 v55, v111
	s_and_saveexec_b32 s19, s5
	s_cbranch_execz .LBB208_577
; %bb.572:                              ;   in Loop: Header=BB208_15 Depth=1
	v_mov_b32_e32 v1, 0xffff
	v_mov_b32_e32 v106, v25
	s_mov_b32 s20, exec_lo
	v_and_b32_sdwa v1, v1, v0 dst_sel:DWORD dst_unused:UNUSED_PAD src0_sel:DWORD src1_sel:BYTE_1
	v_mov_b32_e32 v54, v106
	v_mov_b32_e32 v55, v107
	v_and_b32_e32 v2, 0x7f, v1
	v_cmpx_ne_u32_e32 0x7f, v2
	s_cbranch_execz .LBB208_576
; %bb.573:                              ;   in Loop: Header=BB208_15 Depth=1
	v_and_b32_e32 v24, 7, v1
	v_lshrrev_b32_e32 v1, 3, v2
	s_mov_b32 s21, exec_lo
	v_cmpx_gt_u32_e32 8, v2
; %bb.574:                              ;   in Loop: Header=BB208_15 Depth=1
	v_ffbh_u32_e32 v1, v24
	v_min_u32_e32 v1, 32, v1
	v_subrev_nc_u32_e32 v2, 28, v1
	v_sub_nc_u32_e32 v1, 29, v1
	v_lshlrev_b64 v[2:3], v2, v[24:25]
	v_and_b32_e32 v24, 7, v2
; %bb.575:                              ;   in Loop: Header=BB208_15 Depth=1
	s_or_b32 exec_lo, exec_lo, s21
	v_lshlrev_b32_e32 v2, 16, v0
	v_lshlrev_b32_e32 v3, 20, v24
	v_lshl_add_u32 v1, v1, 23, 0x3c000000
	v_mov_b32_e32 v54, v25
	v_and_b32_e32 v2, 0x80000000, v2
	v_or3_b32 v55, v3, v2, v1
.LBB208_576:                            ;   in Loop: Header=BB208_15 Depth=1
	s_or_b32 exec_lo, exec_lo, s20
.LBB208_577:                            ;   in Loop: Header=BB208_15 Depth=1
	s_or_b32 exec_lo, exec_lo, s19
.LBB208_578:                            ;   in Loop: Header=BB208_15 Depth=1
	s_or_b32 exec_lo, exec_lo, s18
	v_mov_b32_e32 v64, 0
	v_mov_b32_e32 v35, 0
	v_and_b32_sdwa v1, v0, v6 dst_sel:DWORD dst_unused:UNUSED_PAD src0_sel:WORD_1 src1_sel:DWORD
	v_mov_b32_e32 v65, 0
	v_mov_b32_e32 v36, 0
	s_mov_b32 s18, exec_lo
	v_cmpx_ne_u16_e32 0, v1
	s_cbranch_execz .LBB208_586
; %bb.579:                              ;   in Loop: Header=BB208_15 Depth=1
	v_bfrev_b32_e32 v35, 1
	v_mov_b32_e32 v36, 0
	s_mov_b32 s19, exec_lo
	v_cmpx_ne_u16_e32 0x80, v1
	s_cbranch_execz .LBB208_585
; %bb.580:                              ;   in Loop: Header=BB208_15 Depth=1
	v_mov_b32_e32 v35, 0x7f800001
	v_bfe_u32 v2, v0, 16, 7
	v_mov_b32_e32 v36, 0
	s_mov_b32 s20, exec_lo
	v_cmpx_ne_u32_e32 0x7f, v2
	s_cbranch_execz .LBB208_584
; %bb.581:                              ;   in Loop: Header=BB208_15 Depth=1
	v_mov_b32_e32 v1, 7
	s_mov_b32 s21, exec_lo
	v_and_b32_sdwa v24, v0, v1 dst_sel:DWORD dst_unused:UNUSED_PAD src0_sel:WORD_1 src1_sel:DWORD
	v_lshrrev_b32_e32 v1, 3, v2
	v_cmpx_gt_u32_e32 8, v2
; %bb.582:                              ;   in Loop: Header=BB208_15 Depth=1
	v_ffbh_u32_e32 v1, v24
	v_min_u32_e32 v1, 32, v1
	v_subrev_nc_u32_e32 v2, 28, v1
	v_sub_nc_u32_e32 v1, 29, v1
	v_lshlrev_b64 v[2:3], v2, v[24:25]
	v_and_b32_e32 v24, 7, v2
; %bb.583:                              ;   in Loop: Header=BB208_15 Depth=1
	s_or_b32 exec_lo, exec_lo, s21
	v_mov_b32_e32 v2, 24
	v_lshlrev_b32_e32 v3, 20, v24
	v_lshl_add_u32 v1, v1, 23, 0x3c000000
	v_lshlrev_b32_sdwa v2, v2, v0 dst_sel:DWORD dst_unused:UNUSED_PAD src0_sel:DWORD src1_sel:WORD_1
	v_and_b32_e32 v2, 0x80000000, v2
	v_or3_b32 v24, v3, v2, v1
	v_mov_b32_e32 v36, v25
	v_mov_b32_e32 v35, v24
.LBB208_584:                            ;   in Loop: Header=BB208_15 Depth=1
	s_or_b32 exec_lo, exec_lo, s20
.LBB208_585:                            ;   in Loop: Header=BB208_15 Depth=1
	s_or_b32 exec_lo, exec_lo, s19
.LBB208_586:                            ;   in Loop: Header=BB208_15 Depth=1
	s_or_b32 exec_lo, exec_lo, s18
	s_mov_b32 s18, exec_lo
	v_cmpx_lt_u32_e32 0xffffff, v0
	s_cbranch_execz .LBB208_594
; %bb.587:                              ;   in Loop: Header=BB208_15 Depth=1
	v_mov_b32_e32 v110, v25
	v_mov_b32_e32 v1, 0x80
	;; [unrolled: 1-line block ×3, first 2 shown]
	v_cmp_ne_u32_sdwa s5, v0, v1 src0_sel:BYTE_3 src1_sel:DWORD
	v_mov_b32_e32 v65, v111
	s_and_saveexec_b32 s19, s5
	s_cbranch_execz .LBB208_593
; %bb.588:                              ;   in Loop: Header=BB208_15 Depth=1
	v_mov_b32_e32 v106, v25
	v_bfe_u32 v2, v0, 24, 7
	s_mov_b32 s20, exec_lo
	v_mov_b32_e32 v64, v106
	v_mov_b32_e32 v65, v107
	v_cmpx_ne_u32_e32 0x7f, v2
	s_cbranch_execz .LBB208_592
; %bb.589:                              ;   in Loop: Header=BB208_15 Depth=1
	v_mov_b32_e32 v1, 7
	s_mov_b32 s21, exec_lo
	v_and_b32_sdwa v24, v0, v1 dst_sel:DWORD dst_unused:UNUSED_PAD src0_sel:BYTE_3 src1_sel:DWORD
	v_lshrrev_b32_e32 v1, 3, v2
	v_cmpx_gt_u32_e32 8, v2
; %bb.590:                              ;   in Loop: Header=BB208_15 Depth=1
	v_ffbh_u32_e32 v1, v24
	v_min_u32_e32 v1, 32, v1
	v_subrev_nc_u32_e32 v2, 28, v1
	v_sub_nc_u32_e32 v1, 29, v1
	v_lshlrev_b64 v[2:3], v2, v[24:25]
	v_and_b32_e32 v24, 7, v2
; %bb.591:                              ;   in Loop: Header=BB208_15 Depth=1
	s_or_b32 exec_lo, exec_lo, s21
	v_mov_b32_e32 v2, 24
	v_lshl_add_u32 v1, v1, 23, 0x3c000000
	v_mov_b32_e32 v64, v25
	v_lshlrev_b32_sdwa v0, v2, v0 dst_sel:DWORD dst_unused:UNUSED_PAD src0_sel:DWORD src1_sel:BYTE_3
	v_lshlrev_b32_e32 v2, 20, v24
	v_and_b32_e32 v0, 0x80000000, v0
	v_or3_b32 v65, v2, v0, v1
.LBB208_592:                            ;   in Loop: Header=BB208_15 Depth=1
	s_or_b32 exec_lo, exec_lo, s20
.LBB208_593:                            ;   in Loop: Header=BB208_15 Depth=1
	s_or_b32 exec_lo, exec_lo, s19
.LBB208_594:                            ;   in Loop: Header=BB208_15 Depth=1
	s_or_b32 exec_lo, exec_lo, s18
	flat_load_dword v0, v[33:34] offset:8
	v_mov_b32_e32 v50, 0
	v_mov_b32_e32 v70, 0
	v_mov_b32_e32 v51, 0
	v_mov_b32_e32 v71, 0
	s_waitcnt vmcnt(0) lgkmcnt(0)
	v_cmp_ne_u16_sdwa s5, v0, v25 src0_sel:BYTE_0 src1_sel:DWORD
	s_and_saveexec_b32 s18, s5
	s_cbranch_execz .LBB208_602
; %bb.595:                              ;   in Loop: Header=BB208_15 Depth=1
	v_mov_b32_e32 v1, 0x80
	v_bfrev_b32_e32 v70, 1
	v_mov_b32_e32 v71, 0
	v_cmp_ne_u16_sdwa s5, v0, v1 src0_sel:BYTE_0 src1_sel:DWORD
	s_and_saveexec_b32 s19, s5
	s_cbranch_execz .LBB208_601
; %bb.596:                              ;   in Loop: Header=BB208_15 Depth=1
	v_mov_b32_e32 v70, 0x7f800001
	v_and_b32_e32 v2, 0x7f, v0
	v_mov_b32_e32 v71, 0
	s_mov_b32 s20, exec_lo
	v_cmpx_ne_u32_e32 0x7f, v2
	s_cbranch_execz .LBB208_600
; %bb.597:                              ;   in Loop: Header=BB208_15 Depth=1
	v_and_b32_e32 v24, 7, v0
	v_lshrrev_b32_e32 v1, 3, v2
	s_mov_b32 s21, exec_lo
	v_cmpx_gt_u32_e32 8, v2
; %bb.598:                              ;   in Loop: Header=BB208_15 Depth=1
	v_ffbh_u32_e32 v1, v24
	v_min_u32_e32 v1, 32, v1
	v_subrev_nc_u32_e32 v2, 28, v1
	v_sub_nc_u32_e32 v1, 29, v1
	v_lshlrev_b64 v[2:3], v2, v[24:25]
	v_and_b32_e32 v24, 7, v2
; %bb.599:                              ;   in Loop: Header=BB208_15 Depth=1
	s_or_b32 exec_lo, exec_lo, s21
	v_lshlrev_b32_e32 v2, 24, v0
	v_lshlrev_b32_e32 v3, 20, v24
	v_lshl_add_u32 v1, v1, 23, 0x3c000000
	v_and_b32_e32 v2, 0x80000000, v2
	v_or3_b32 v24, v3, v2, v1
	v_mov_b32_e32 v71, v25
	v_mov_b32_e32 v70, v24
.LBB208_600:                            ;   in Loop: Header=BB208_15 Depth=1
	s_or_b32 exec_lo, exec_lo, s20
.LBB208_601:                            ;   in Loop: Header=BB208_15 Depth=1
	s_or_b32 exec_lo, exec_lo, s19
.LBB208_602:                            ;   in Loop: Header=BB208_15 Depth=1
	s_or_b32 exec_lo, exec_lo, s18
	v_cmp_ne_u16_sdwa s5, v0, v25 src0_sel:BYTE_1 src1_sel:DWORD
	s_and_saveexec_b32 s18, s5
	s_cbranch_execz .LBB208_610
; %bb.603:                              ;   in Loop: Header=BB208_15 Depth=1
	v_mov_b32_e32 v110, v25
	v_mov_b32_e32 v1, 0x80
	;; [unrolled: 1-line block ×3, first 2 shown]
	v_cmp_ne_u16_sdwa s5, v0, v1 src0_sel:BYTE_1 src1_sel:DWORD
	v_mov_b32_e32 v51, v111
	s_and_saveexec_b32 s19, s5
	s_cbranch_execz .LBB208_609
; %bb.604:                              ;   in Loop: Header=BB208_15 Depth=1
	v_mov_b32_e32 v1, 0xffff
	v_mov_b32_e32 v106, v25
	s_mov_b32 s20, exec_lo
	v_and_b32_sdwa v1, v1, v0 dst_sel:DWORD dst_unused:UNUSED_PAD src0_sel:DWORD src1_sel:BYTE_1
	v_mov_b32_e32 v50, v106
	v_mov_b32_e32 v51, v107
	v_and_b32_e32 v2, 0x7f, v1
	v_cmpx_ne_u32_e32 0x7f, v2
	s_cbranch_execz .LBB208_608
; %bb.605:                              ;   in Loop: Header=BB208_15 Depth=1
	v_and_b32_e32 v24, 7, v1
	v_lshrrev_b32_e32 v1, 3, v2
	s_mov_b32 s21, exec_lo
	v_cmpx_gt_u32_e32 8, v2
; %bb.606:                              ;   in Loop: Header=BB208_15 Depth=1
	v_ffbh_u32_e32 v1, v24
	v_min_u32_e32 v1, 32, v1
	v_subrev_nc_u32_e32 v2, 28, v1
	v_sub_nc_u32_e32 v1, 29, v1
	v_lshlrev_b64 v[2:3], v2, v[24:25]
	v_and_b32_e32 v24, 7, v2
; %bb.607:                              ;   in Loop: Header=BB208_15 Depth=1
	s_or_b32 exec_lo, exec_lo, s21
	v_lshlrev_b32_e32 v2, 16, v0
	v_lshlrev_b32_e32 v3, 20, v24
	v_lshl_add_u32 v1, v1, 23, 0x3c000000
	v_mov_b32_e32 v50, v25
	v_and_b32_e32 v2, 0x80000000, v2
	v_or3_b32 v51, v3, v2, v1
.LBB208_608:                            ;   in Loop: Header=BB208_15 Depth=1
	s_or_b32 exec_lo, exec_lo, s20
.LBB208_609:                            ;   in Loop: Header=BB208_15 Depth=1
	s_or_b32 exec_lo, exec_lo, s19
.LBB208_610:                            ;   in Loop: Header=BB208_15 Depth=1
	s_or_b32 exec_lo, exec_lo, s18
	v_mov_b32_e32 v52, 0
	v_mov_b32_e32 v80, 0
	v_and_b32_sdwa v1, v0, v6 dst_sel:DWORD dst_unused:UNUSED_PAD src0_sel:WORD_1 src1_sel:DWORD
	v_mov_b32_e32 v53, 0
	v_mov_b32_e32 v81, 0
	s_mov_b32 s18, exec_lo
	v_cmpx_ne_u16_e32 0, v1
	s_cbranch_execz .LBB208_618
; %bb.611:                              ;   in Loop: Header=BB208_15 Depth=1
	v_bfrev_b32_e32 v80, 1
	v_mov_b32_e32 v81, 0
	s_mov_b32 s19, exec_lo
	v_cmpx_ne_u16_e32 0x80, v1
	s_cbranch_execz .LBB208_617
; %bb.612:                              ;   in Loop: Header=BB208_15 Depth=1
	v_mov_b32_e32 v80, 0x7f800001
	v_bfe_u32 v2, v0, 16, 7
	v_mov_b32_e32 v81, 0
	s_mov_b32 s20, exec_lo
	v_cmpx_ne_u32_e32 0x7f, v2
	s_cbranch_execz .LBB208_616
; %bb.613:                              ;   in Loop: Header=BB208_15 Depth=1
	v_mov_b32_e32 v1, 7
	s_mov_b32 s21, exec_lo
	v_and_b32_sdwa v24, v0, v1 dst_sel:DWORD dst_unused:UNUSED_PAD src0_sel:WORD_1 src1_sel:DWORD
	v_lshrrev_b32_e32 v1, 3, v2
	v_cmpx_gt_u32_e32 8, v2
; %bb.614:                              ;   in Loop: Header=BB208_15 Depth=1
	v_ffbh_u32_e32 v1, v24
	v_min_u32_e32 v1, 32, v1
	v_subrev_nc_u32_e32 v2, 28, v1
	v_sub_nc_u32_e32 v1, 29, v1
	v_lshlrev_b64 v[2:3], v2, v[24:25]
	v_and_b32_e32 v24, 7, v2
; %bb.615:                              ;   in Loop: Header=BB208_15 Depth=1
	s_or_b32 exec_lo, exec_lo, s21
	v_mov_b32_e32 v2, 24
	v_lshlrev_b32_e32 v3, 20, v24
	v_lshl_add_u32 v1, v1, 23, 0x3c000000
	v_lshlrev_b32_sdwa v2, v2, v0 dst_sel:DWORD dst_unused:UNUSED_PAD src0_sel:DWORD src1_sel:WORD_1
	v_and_b32_e32 v2, 0x80000000, v2
	v_or3_b32 v24, v3, v2, v1
	v_mov_b32_e32 v81, v25
	v_mov_b32_e32 v80, v24
.LBB208_616:                            ;   in Loop: Header=BB208_15 Depth=1
	s_or_b32 exec_lo, exec_lo, s20
.LBB208_617:                            ;   in Loop: Header=BB208_15 Depth=1
	s_or_b32 exec_lo, exec_lo, s19
.LBB208_618:                            ;   in Loop: Header=BB208_15 Depth=1
	s_or_b32 exec_lo, exec_lo, s18
	s_mov_b32 s18, exec_lo
	v_cmpx_lt_u32_e32 0xffffff, v0
	s_cbranch_execz .LBB208_626
; %bb.619:                              ;   in Loop: Header=BB208_15 Depth=1
	v_mov_b32_e32 v110, v25
	v_mov_b32_e32 v1, 0x80
	;; [unrolled: 1-line block ×3, first 2 shown]
	v_cmp_ne_u32_sdwa s5, v0, v1 src0_sel:BYTE_3 src1_sel:DWORD
	v_mov_b32_e32 v53, v111
	s_and_saveexec_b32 s19, s5
	s_cbranch_execz .LBB208_625
; %bb.620:                              ;   in Loop: Header=BB208_15 Depth=1
	v_mov_b32_e32 v106, v25
	v_bfe_u32 v2, v0, 24, 7
	s_mov_b32 s20, exec_lo
	v_mov_b32_e32 v52, v106
	v_mov_b32_e32 v53, v107
	v_cmpx_ne_u32_e32 0x7f, v2
	s_cbranch_execz .LBB208_624
; %bb.621:                              ;   in Loop: Header=BB208_15 Depth=1
	v_mov_b32_e32 v1, 7
	s_mov_b32 s21, exec_lo
	v_and_b32_sdwa v24, v0, v1 dst_sel:DWORD dst_unused:UNUSED_PAD src0_sel:BYTE_3 src1_sel:DWORD
	v_lshrrev_b32_e32 v1, 3, v2
	v_cmpx_gt_u32_e32 8, v2
; %bb.622:                              ;   in Loop: Header=BB208_15 Depth=1
	v_ffbh_u32_e32 v1, v24
	v_min_u32_e32 v1, 32, v1
	v_subrev_nc_u32_e32 v2, 28, v1
	v_sub_nc_u32_e32 v1, 29, v1
	v_lshlrev_b64 v[2:3], v2, v[24:25]
	v_and_b32_e32 v24, 7, v2
; %bb.623:                              ;   in Loop: Header=BB208_15 Depth=1
	s_or_b32 exec_lo, exec_lo, s21
	v_mov_b32_e32 v2, 24
	v_lshl_add_u32 v1, v1, 23, 0x3c000000
	v_mov_b32_e32 v52, v25
	v_lshlrev_b32_sdwa v0, v2, v0 dst_sel:DWORD dst_unused:UNUSED_PAD src0_sel:DWORD src1_sel:BYTE_3
	v_lshlrev_b32_e32 v2, 20, v24
	v_and_b32_e32 v0, 0x80000000, v0
	v_or3_b32 v53, v2, v0, v1
.LBB208_624:                            ;   in Loop: Header=BB208_15 Depth=1
	s_or_b32 exec_lo, exec_lo, s20
.LBB208_625:                            ;   in Loop: Header=BB208_15 Depth=1
	s_or_b32 exec_lo, exec_lo, s19
.LBB208_626:                            ;   in Loop: Header=BB208_15 Depth=1
	s_or_b32 exec_lo, exec_lo, s18
	flat_load_dword v0, v[33:34] offset:12
	v_mov_b32_e32 v86, 0
	v_mov_b32_e32 v66, 0
	;; [unrolled: 1-line block ×4, first 2 shown]
	s_waitcnt vmcnt(0) lgkmcnt(0)
	v_cmp_ne_u16_sdwa s5, v0, v25 src0_sel:BYTE_0 src1_sel:DWORD
	s_and_saveexec_b32 s18, s5
	s_cbranch_execz .LBB208_634
; %bb.627:                              ;   in Loop: Header=BB208_15 Depth=1
	v_mov_b32_e32 v1, 0x80
	v_bfrev_b32_e32 v66, 1
	v_mov_b32_e32 v67, 0
	v_cmp_ne_u16_sdwa s5, v0, v1 src0_sel:BYTE_0 src1_sel:DWORD
	s_and_saveexec_b32 s19, s5
	s_cbranch_execz .LBB208_633
; %bb.628:                              ;   in Loop: Header=BB208_15 Depth=1
	v_mov_b32_e32 v66, 0x7f800001
	v_and_b32_e32 v2, 0x7f, v0
	v_mov_b32_e32 v67, 0
	s_mov_b32 s20, exec_lo
	v_cmpx_ne_u32_e32 0x7f, v2
	s_cbranch_execz .LBB208_632
; %bb.629:                              ;   in Loop: Header=BB208_15 Depth=1
	v_and_b32_e32 v24, 7, v0
	v_lshrrev_b32_e32 v1, 3, v2
	s_mov_b32 s21, exec_lo
	v_cmpx_gt_u32_e32 8, v2
; %bb.630:                              ;   in Loop: Header=BB208_15 Depth=1
	v_ffbh_u32_e32 v1, v24
	v_min_u32_e32 v1, 32, v1
	v_subrev_nc_u32_e32 v2, 28, v1
	v_sub_nc_u32_e32 v1, 29, v1
	v_lshlrev_b64 v[2:3], v2, v[24:25]
	v_and_b32_e32 v24, 7, v2
; %bb.631:                              ;   in Loop: Header=BB208_15 Depth=1
	s_or_b32 exec_lo, exec_lo, s21
	v_lshlrev_b32_e32 v2, 24, v0
	v_lshlrev_b32_e32 v3, 20, v24
	v_lshl_add_u32 v1, v1, 23, 0x3c000000
	v_and_b32_e32 v2, 0x80000000, v2
	v_or3_b32 v24, v3, v2, v1
	v_mov_b32_e32 v67, v25
	v_mov_b32_e32 v66, v24
.LBB208_632:                            ;   in Loop: Header=BB208_15 Depth=1
	s_or_b32 exec_lo, exec_lo, s20
.LBB208_633:                            ;   in Loop: Header=BB208_15 Depth=1
	s_or_b32 exec_lo, exec_lo, s19
.LBB208_634:                            ;   in Loop: Header=BB208_15 Depth=1
	s_or_b32 exec_lo, exec_lo, s18
	v_cmp_ne_u16_sdwa s5, v0, v25 src0_sel:BYTE_1 src1_sel:DWORD
	s_and_saveexec_b32 s18, s5
	s_cbranch_execz .LBB208_642
; %bb.635:                              ;   in Loop: Header=BB208_15 Depth=1
	v_mov_b32_e32 v110, v25
	v_mov_b32_e32 v1, 0x80
	;; [unrolled: 1-line block ×3, first 2 shown]
	v_cmp_ne_u16_sdwa s5, v0, v1 src0_sel:BYTE_1 src1_sel:DWORD
	v_mov_b32_e32 v87, v111
	s_and_saveexec_b32 s19, s5
	s_cbranch_execz .LBB208_641
; %bb.636:                              ;   in Loop: Header=BB208_15 Depth=1
	v_mov_b32_e32 v1, 0xffff
	v_mov_b32_e32 v106, v25
	s_mov_b32 s20, exec_lo
	v_and_b32_sdwa v1, v1, v0 dst_sel:DWORD dst_unused:UNUSED_PAD src0_sel:DWORD src1_sel:BYTE_1
	v_mov_b32_e32 v86, v106
	v_mov_b32_e32 v87, v107
	v_and_b32_e32 v2, 0x7f, v1
	v_cmpx_ne_u32_e32 0x7f, v2
	s_cbranch_execz .LBB208_640
; %bb.637:                              ;   in Loop: Header=BB208_15 Depth=1
	v_and_b32_e32 v24, 7, v1
	v_lshrrev_b32_e32 v1, 3, v2
	s_mov_b32 s21, exec_lo
	v_cmpx_gt_u32_e32 8, v2
; %bb.638:                              ;   in Loop: Header=BB208_15 Depth=1
	v_ffbh_u32_e32 v1, v24
	v_min_u32_e32 v1, 32, v1
	v_subrev_nc_u32_e32 v2, 28, v1
	v_sub_nc_u32_e32 v1, 29, v1
	v_lshlrev_b64 v[2:3], v2, v[24:25]
	v_and_b32_e32 v24, 7, v2
; %bb.639:                              ;   in Loop: Header=BB208_15 Depth=1
	s_or_b32 exec_lo, exec_lo, s21
	v_lshlrev_b32_e32 v2, 16, v0
	v_lshlrev_b32_e32 v3, 20, v24
	v_lshl_add_u32 v1, v1, 23, 0x3c000000
	v_mov_b32_e32 v86, v25
	v_and_b32_e32 v2, 0x80000000, v2
	v_or3_b32 v87, v3, v2, v1
.LBB208_640:                            ;   in Loop: Header=BB208_15 Depth=1
	s_or_b32 exec_lo, exec_lo, s20
.LBB208_641:                            ;   in Loop: Header=BB208_15 Depth=1
	s_or_b32 exec_lo, exec_lo, s19
.LBB208_642:                            ;   in Loop: Header=BB208_15 Depth=1
	s_or_b32 exec_lo, exec_lo, s18
	v_mov_b32_e32 v68, 0
	v_mov_b32_e32 v96, 0
	v_and_b32_sdwa v1, v0, v6 dst_sel:DWORD dst_unused:UNUSED_PAD src0_sel:WORD_1 src1_sel:DWORD
	v_mov_b32_e32 v69, 0
	v_mov_b32_e32 v97, 0
	s_mov_b32 s18, exec_lo
	v_cmpx_ne_u16_e32 0, v1
	s_cbranch_execz .LBB208_650
; %bb.643:                              ;   in Loop: Header=BB208_15 Depth=1
	v_bfrev_b32_e32 v96, 1
	v_mov_b32_e32 v97, 0
	s_mov_b32 s19, exec_lo
	v_cmpx_ne_u16_e32 0x80, v1
	s_cbranch_execz .LBB208_649
; %bb.644:                              ;   in Loop: Header=BB208_15 Depth=1
	v_mov_b32_e32 v96, 0x7f800001
	v_bfe_u32 v2, v0, 16, 7
	v_mov_b32_e32 v97, 0
	s_mov_b32 s20, exec_lo
	v_cmpx_ne_u32_e32 0x7f, v2
	s_cbranch_execz .LBB208_648
; %bb.645:                              ;   in Loop: Header=BB208_15 Depth=1
	v_mov_b32_e32 v1, 7
	s_mov_b32 s21, exec_lo
	v_and_b32_sdwa v24, v0, v1 dst_sel:DWORD dst_unused:UNUSED_PAD src0_sel:WORD_1 src1_sel:DWORD
	v_lshrrev_b32_e32 v1, 3, v2
	v_cmpx_gt_u32_e32 8, v2
; %bb.646:                              ;   in Loop: Header=BB208_15 Depth=1
	v_ffbh_u32_e32 v1, v24
	v_min_u32_e32 v1, 32, v1
	v_subrev_nc_u32_e32 v2, 28, v1
	v_sub_nc_u32_e32 v1, 29, v1
	v_lshlrev_b64 v[2:3], v2, v[24:25]
	v_and_b32_e32 v24, 7, v2
; %bb.647:                              ;   in Loop: Header=BB208_15 Depth=1
	s_or_b32 exec_lo, exec_lo, s21
	v_mov_b32_e32 v2, 24
	v_lshlrev_b32_e32 v3, 20, v24
	v_lshl_add_u32 v1, v1, 23, 0x3c000000
	v_lshlrev_b32_sdwa v2, v2, v0 dst_sel:DWORD dst_unused:UNUSED_PAD src0_sel:DWORD src1_sel:WORD_1
	v_and_b32_e32 v2, 0x80000000, v2
	v_or3_b32 v24, v3, v2, v1
	v_mov_b32_e32 v97, v25
	v_mov_b32_e32 v96, v24
.LBB208_648:                            ;   in Loop: Header=BB208_15 Depth=1
	s_or_b32 exec_lo, exec_lo, s20
.LBB208_649:                            ;   in Loop: Header=BB208_15 Depth=1
	s_or_b32 exec_lo, exec_lo, s19
.LBB208_650:                            ;   in Loop: Header=BB208_15 Depth=1
	s_or_b32 exec_lo, exec_lo, s18
	s_mov_b32 s18, exec_lo
	v_cmpx_lt_u32_e32 0xffffff, v0
	s_cbranch_execz .LBB208_658
; %bb.651:                              ;   in Loop: Header=BB208_15 Depth=1
	v_mov_b32_e32 v110, v25
	v_mov_b32_e32 v1, 0x80
	;; [unrolled: 1-line block ×3, first 2 shown]
	v_cmp_ne_u32_sdwa s5, v0, v1 src0_sel:BYTE_3 src1_sel:DWORD
	v_mov_b32_e32 v69, v111
	s_and_saveexec_b32 s19, s5
	s_cbranch_execz .LBB208_657
; %bb.652:                              ;   in Loop: Header=BB208_15 Depth=1
	v_mov_b32_e32 v106, v25
	v_bfe_u32 v2, v0, 24, 7
	s_mov_b32 s20, exec_lo
	v_mov_b32_e32 v68, v106
	v_mov_b32_e32 v69, v107
	v_cmpx_ne_u32_e32 0x7f, v2
	s_cbranch_execz .LBB208_656
; %bb.653:                              ;   in Loop: Header=BB208_15 Depth=1
	v_mov_b32_e32 v1, 7
	s_mov_b32 s21, exec_lo
	v_and_b32_sdwa v24, v0, v1 dst_sel:DWORD dst_unused:UNUSED_PAD src0_sel:BYTE_3 src1_sel:DWORD
	v_lshrrev_b32_e32 v1, 3, v2
	v_cmpx_gt_u32_e32 8, v2
; %bb.654:                              ;   in Loop: Header=BB208_15 Depth=1
	v_ffbh_u32_e32 v1, v24
	v_min_u32_e32 v1, 32, v1
	v_subrev_nc_u32_e32 v2, 28, v1
	v_sub_nc_u32_e32 v1, 29, v1
	v_lshlrev_b64 v[2:3], v2, v[24:25]
	v_and_b32_e32 v24, 7, v2
; %bb.655:                              ;   in Loop: Header=BB208_15 Depth=1
	s_or_b32 exec_lo, exec_lo, s21
	v_mov_b32_e32 v2, 24
	v_lshl_add_u32 v1, v1, 23, 0x3c000000
	v_mov_b32_e32 v68, v25
	v_lshlrev_b32_sdwa v0, v2, v0 dst_sel:DWORD dst_unused:UNUSED_PAD src0_sel:DWORD src1_sel:BYTE_3
	v_lshlrev_b32_e32 v2, 20, v24
	v_and_b32_e32 v0, 0x80000000, v0
	v_or3_b32 v69, v2, v0, v1
.LBB208_656:                            ;   in Loop: Header=BB208_15 Depth=1
	s_or_b32 exec_lo, exec_lo, s20
.LBB208_657:                            ;   in Loop: Header=BB208_15 Depth=1
	s_or_b32 exec_lo, exec_lo, s19
.LBB208_658:                            ;   in Loop: Header=BB208_15 Depth=1
	s_or_b32 exec_lo, exec_lo, s18
	flat_load_dword v0, v[33:34] offset:512
	v_mov_b32_e32 v102, 0
	v_mov_b32_e32 v82, 0
	;; [unrolled: 1-line block ×4, first 2 shown]
	s_waitcnt vmcnt(0) lgkmcnt(0)
	v_cmp_ne_u16_sdwa s5, v0, v25 src0_sel:BYTE_0 src1_sel:DWORD
	s_and_saveexec_b32 s18, s5
	s_cbranch_execz .LBB208_666
; %bb.659:                              ;   in Loop: Header=BB208_15 Depth=1
	v_mov_b32_e32 v1, 0x80
	v_bfrev_b32_e32 v82, 1
	v_mov_b32_e32 v83, 0
	v_cmp_ne_u16_sdwa s5, v0, v1 src0_sel:BYTE_0 src1_sel:DWORD
	s_and_saveexec_b32 s19, s5
	s_cbranch_execz .LBB208_665
; %bb.660:                              ;   in Loop: Header=BB208_15 Depth=1
	v_mov_b32_e32 v82, 0x7f800001
	v_and_b32_e32 v2, 0x7f, v0
	v_mov_b32_e32 v83, 0
	s_mov_b32 s20, exec_lo
	v_cmpx_ne_u32_e32 0x7f, v2
	s_cbranch_execz .LBB208_664
; %bb.661:                              ;   in Loop: Header=BB208_15 Depth=1
	v_and_b32_e32 v24, 7, v0
	v_lshrrev_b32_e32 v1, 3, v2
	s_mov_b32 s21, exec_lo
	v_cmpx_gt_u32_e32 8, v2
; %bb.662:                              ;   in Loop: Header=BB208_15 Depth=1
	v_ffbh_u32_e32 v1, v24
	v_min_u32_e32 v1, 32, v1
	v_subrev_nc_u32_e32 v2, 28, v1
	v_sub_nc_u32_e32 v1, 29, v1
	v_lshlrev_b64 v[2:3], v2, v[24:25]
	v_and_b32_e32 v24, 7, v2
; %bb.663:                              ;   in Loop: Header=BB208_15 Depth=1
	s_or_b32 exec_lo, exec_lo, s21
	v_lshlrev_b32_e32 v2, 24, v0
	v_lshlrev_b32_e32 v3, 20, v24
	v_lshl_add_u32 v1, v1, 23, 0x3c000000
	v_and_b32_e32 v2, 0x80000000, v2
	v_or3_b32 v24, v3, v2, v1
	v_mov_b32_e32 v83, v25
	v_mov_b32_e32 v82, v24
.LBB208_664:                            ;   in Loop: Header=BB208_15 Depth=1
	s_or_b32 exec_lo, exec_lo, s20
.LBB208_665:                            ;   in Loop: Header=BB208_15 Depth=1
	s_or_b32 exec_lo, exec_lo, s19
.LBB208_666:                            ;   in Loop: Header=BB208_15 Depth=1
	s_or_b32 exec_lo, exec_lo, s18
	v_cmp_ne_u16_sdwa s5, v0, v25 src0_sel:BYTE_1 src1_sel:DWORD
	s_and_saveexec_b32 s18, s5
	s_cbranch_execz .LBB208_674
; %bb.667:                              ;   in Loop: Header=BB208_15 Depth=1
	v_mov_b32_e32 v110, v25
	v_mov_b32_e32 v1, 0x80
	;; [unrolled: 1-line block ×3, first 2 shown]
	v_cmp_ne_u16_sdwa s5, v0, v1 src0_sel:BYTE_1 src1_sel:DWORD
	v_mov_b32_e32 v103, v111
	s_and_saveexec_b32 s19, s5
	s_cbranch_execz .LBB208_673
; %bb.668:                              ;   in Loop: Header=BB208_15 Depth=1
	v_mov_b32_e32 v1, 0xffff
	v_mov_b32_e32 v106, v25
	s_mov_b32 s20, exec_lo
	v_and_b32_sdwa v1, v1, v0 dst_sel:DWORD dst_unused:UNUSED_PAD src0_sel:DWORD src1_sel:BYTE_1
	v_mov_b32_e32 v102, v106
	v_mov_b32_e32 v103, v107
	v_and_b32_e32 v2, 0x7f, v1
	v_cmpx_ne_u32_e32 0x7f, v2
	s_cbranch_execz .LBB208_672
; %bb.669:                              ;   in Loop: Header=BB208_15 Depth=1
	v_and_b32_e32 v24, 7, v1
	v_lshrrev_b32_e32 v1, 3, v2
	s_mov_b32 s21, exec_lo
	v_cmpx_gt_u32_e32 8, v2
; %bb.670:                              ;   in Loop: Header=BB208_15 Depth=1
	v_ffbh_u32_e32 v1, v24
	v_min_u32_e32 v1, 32, v1
	v_subrev_nc_u32_e32 v2, 28, v1
	v_sub_nc_u32_e32 v1, 29, v1
	v_lshlrev_b64 v[2:3], v2, v[24:25]
	v_and_b32_e32 v24, 7, v2
; %bb.671:                              ;   in Loop: Header=BB208_15 Depth=1
	s_or_b32 exec_lo, exec_lo, s21
	v_lshlrev_b32_e32 v2, 16, v0
	v_lshlrev_b32_e32 v3, 20, v24
	v_lshl_add_u32 v1, v1, 23, 0x3c000000
	v_mov_b32_e32 v102, v25
	v_and_b32_e32 v2, 0x80000000, v2
	v_or3_b32 v103, v3, v2, v1
.LBB208_672:                            ;   in Loop: Header=BB208_15 Depth=1
	s_or_b32 exec_lo, exec_lo, s20
.LBB208_673:                            ;   in Loop: Header=BB208_15 Depth=1
	s_or_b32 exec_lo, exec_lo, s19
.LBB208_674:                            ;   in Loop: Header=BB208_15 Depth=1
	s_or_b32 exec_lo, exec_lo, s18
	v_mov_b32_e32 v84, 0
	v_mov_b32_e32 v112, 0
	v_and_b32_sdwa v1, v0, v6 dst_sel:DWORD dst_unused:UNUSED_PAD src0_sel:WORD_1 src1_sel:DWORD
	v_mov_b32_e32 v85, 0
	v_mov_b32_e32 v113, 0
	s_mov_b32 s18, exec_lo
	v_cmpx_ne_u16_e32 0, v1
	s_cbranch_execz .LBB208_682
; %bb.675:                              ;   in Loop: Header=BB208_15 Depth=1
	v_bfrev_b32_e32 v112, 1
	v_mov_b32_e32 v113, 0
	s_mov_b32 s19, exec_lo
	v_cmpx_ne_u16_e32 0x80, v1
	s_cbranch_execz .LBB208_681
; %bb.676:                              ;   in Loop: Header=BB208_15 Depth=1
	v_mov_b32_e32 v112, 0x7f800001
	v_bfe_u32 v2, v0, 16, 7
	v_mov_b32_e32 v113, 0
	s_mov_b32 s20, exec_lo
	v_cmpx_ne_u32_e32 0x7f, v2
	s_cbranch_execz .LBB208_680
; %bb.677:                              ;   in Loop: Header=BB208_15 Depth=1
	v_mov_b32_e32 v1, 7
	s_mov_b32 s21, exec_lo
	v_and_b32_sdwa v24, v0, v1 dst_sel:DWORD dst_unused:UNUSED_PAD src0_sel:WORD_1 src1_sel:DWORD
	v_lshrrev_b32_e32 v1, 3, v2
	v_cmpx_gt_u32_e32 8, v2
; %bb.678:                              ;   in Loop: Header=BB208_15 Depth=1
	v_ffbh_u32_e32 v1, v24
	v_min_u32_e32 v1, 32, v1
	v_subrev_nc_u32_e32 v2, 28, v1
	v_sub_nc_u32_e32 v1, 29, v1
	v_lshlrev_b64 v[2:3], v2, v[24:25]
	v_and_b32_e32 v24, 7, v2
; %bb.679:                              ;   in Loop: Header=BB208_15 Depth=1
	s_or_b32 exec_lo, exec_lo, s21
	v_mov_b32_e32 v2, 24
	v_lshlrev_b32_e32 v3, 20, v24
	v_lshl_add_u32 v1, v1, 23, 0x3c000000
	v_lshlrev_b32_sdwa v2, v2, v0 dst_sel:DWORD dst_unused:UNUSED_PAD src0_sel:DWORD src1_sel:WORD_1
	v_and_b32_e32 v2, 0x80000000, v2
	v_or3_b32 v24, v3, v2, v1
	v_mov_b32_e32 v113, v25
	v_mov_b32_e32 v112, v24
.LBB208_680:                            ;   in Loop: Header=BB208_15 Depth=1
	s_or_b32 exec_lo, exec_lo, s20
.LBB208_681:                            ;   in Loop: Header=BB208_15 Depth=1
	s_or_b32 exec_lo, exec_lo, s19
.LBB208_682:                            ;   in Loop: Header=BB208_15 Depth=1
	s_or_b32 exec_lo, exec_lo, s18
	s_mov_b32 s18, exec_lo
	v_cmpx_lt_u32_e32 0xffffff, v0
	s_cbranch_execz .LBB208_690
; %bb.683:                              ;   in Loop: Header=BB208_15 Depth=1
	v_mov_b32_e32 v110, v25
	v_mov_b32_e32 v1, 0x80
	;; [unrolled: 1-line block ×3, first 2 shown]
	v_cmp_ne_u32_sdwa s5, v0, v1 src0_sel:BYTE_3 src1_sel:DWORD
	v_mov_b32_e32 v85, v111
	s_and_saveexec_b32 s19, s5
	s_cbranch_execz .LBB208_689
; %bb.684:                              ;   in Loop: Header=BB208_15 Depth=1
	v_mov_b32_e32 v106, v25
	v_bfe_u32 v2, v0, 24, 7
	s_mov_b32 s20, exec_lo
	v_mov_b32_e32 v84, v106
	v_mov_b32_e32 v85, v107
	v_cmpx_ne_u32_e32 0x7f, v2
	s_cbranch_execz .LBB208_688
; %bb.685:                              ;   in Loop: Header=BB208_15 Depth=1
	v_mov_b32_e32 v1, 7
	s_mov_b32 s21, exec_lo
	v_and_b32_sdwa v24, v0, v1 dst_sel:DWORD dst_unused:UNUSED_PAD src0_sel:BYTE_3 src1_sel:DWORD
	v_lshrrev_b32_e32 v1, 3, v2
	v_cmpx_gt_u32_e32 8, v2
; %bb.686:                              ;   in Loop: Header=BB208_15 Depth=1
	v_ffbh_u32_e32 v1, v24
	v_min_u32_e32 v1, 32, v1
	v_subrev_nc_u32_e32 v2, 28, v1
	v_sub_nc_u32_e32 v1, 29, v1
	v_lshlrev_b64 v[2:3], v2, v[24:25]
	v_and_b32_e32 v24, 7, v2
; %bb.687:                              ;   in Loop: Header=BB208_15 Depth=1
	s_or_b32 exec_lo, exec_lo, s21
	v_mov_b32_e32 v2, 24
	v_lshl_add_u32 v1, v1, 23, 0x3c000000
	v_mov_b32_e32 v84, v25
	v_lshlrev_b32_sdwa v0, v2, v0 dst_sel:DWORD dst_unused:UNUSED_PAD src0_sel:DWORD src1_sel:BYTE_3
	v_lshlrev_b32_e32 v2, 20, v24
	v_and_b32_e32 v0, 0x80000000, v0
	v_or3_b32 v85, v2, v0, v1
.LBB208_688:                            ;   in Loop: Header=BB208_15 Depth=1
	s_or_b32 exec_lo, exec_lo, s20
.LBB208_689:                            ;   in Loop: Header=BB208_15 Depth=1
	s_or_b32 exec_lo, exec_lo, s19
.LBB208_690:                            ;   in Loop: Header=BB208_15 Depth=1
	s_or_b32 exec_lo, exec_lo, s18
	flat_load_dword v0, v[33:34] offset:516
	v_mov_b32_e32 v118, 0
	v_mov_b32_e32 v98, 0
	;; [unrolled: 1-line block ×4, first 2 shown]
	s_waitcnt vmcnt(0) lgkmcnt(0)
	v_cmp_ne_u16_sdwa s5, v0, v25 src0_sel:BYTE_0 src1_sel:DWORD
	s_and_saveexec_b32 s18, s5
	s_cbranch_execz .LBB208_698
; %bb.691:                              ;   in Loop: Header=BB208_15 Depth=1
	v_mov_b32_e32 v1, 0x80
	v_bfrev_b32_e32 v98, 1
	v_mov_b32_e32 v99, 0
	v_cmp_ne_u16_sdwa s5, v0, v1 src0_sel:BYTE_0 src1_sel:DWORD
	s_and_saveexec_b32 s19, s5
	s_cbranch_execz .LBB208_697
; %bb.692:                              ;   in Loop: Header=BB208_15 Depth=1
	v_mov_b32_e32 v98, 0x7f800001
	v_and_b32_e32 v2, 0x7f, v0
	v_mov_b32_e32 v99, 0
	s_mov_b32 s20, exec_lo
	v_cmpx_ne_u32_e32 0x7f, v2
	s_cbranch_execz .LBB208_696
; %bb.693:                              ;   in Loop: Header=BB208_15 Depth=1
	v_and_b32_e32 v24, 7, v0
	v_lshrrev_b32_e32 v1, 3, v2
	s_mov_b32 s21, exec_lo
	v_cmpx_gt_u32_e32 8, v2
; %bb.694:                              ;   in Loop: Header=BB208_15 Depth=1
	v_ffbh_u32_e32 v1, v24
	v_min_u32_e32 v1, 32, v1
	v_subrev_nc_u32_e32 v2, 28, v1
	v_sub_nc_u32_e32 v1, 29, v1
	v_lshlrev_b64 v[2:3], v2, v[24:25]
	v_and_b32_e32 v24, 7, v2
; %bb.695:                              ;   in Loop: Header=BB208_15 Depth=1
	s_or_b32 exec_lo, exec_lo, s21
	v_lshlrev_b32_e32 v2, 24, v0
	v_lshlrev_b32_e32 v3, 20, v24
	v_lshl_add_u32 v1, v1, 23, 0x3c000000
	v_and_b32_e32 v2, 0x80000000, v2
	v_or3_b32 v24, v3, v2, v1
	v_mov_b32_e32 v99, v25
	v_mov_b32_e32 v98, v24
.LBB208_696:                            ;   in Loop: Header=BB208_15 Depth=1
	s_or_b32 exec_lo, exec_lo, s20
.LBB208_697:                            ;   in Loop: Header=BB208_15 Depth=1
	s_or_b32 exec_lo, exec_lo, s19
.LBB208_698:                            ;   in Loop: Header=BB208_15 Depth=1
	s_or_b32 exec_lo, exec_lo, s18
	v_cmp_ne_u16_sdwa s5, v0, v25 src0_sel:BYTE_1 src1_sel:DWORD
	s_and_saveexec_b32 s18, s5
	s_cbranch_execz .LBB208_706
; %bb.699:                              ;   in Loop: Header=BB208_15 Depth=1
	v_mov_b32_e32 v110, v25
	v_mov_b32_e32 v1, 0x80
	;; [unrolled: 1-line block ×4, first 2 shown]
	v_cmp_ne_u16_sdwa s5, v0, v1 src0_sel:BYTE_1 src1_sel:DWORD
	s_and_saveexec_b32 s19, s5
	s_cbranch_execz .LBB208_705
; %bb.700:                              ;   in Loop: Header=BB208_15 Depth=1
	v_mov_b32_e32 v1, 0xffff
	v_mov_b32_e32 v106, v25
	;; [unrolled: 1-line block ×3, first 2 shown]
	s_mov_b32 s20, exec_lo
	v_and_b32_sdwa v1, v1, v0 dst_sel:DWORD dst_unused:UNUSED_PAD src0_sel:DWORD src1_sel:BYTE_1
	v_mov_b32_e32 v118, v106
	v_and_b32_e32 v2, 0x7f, v1
	v_cmpx_ne_u32_e32 0x7f, v2
	s_cbranch_execz .LBB208_704
; %bb.701:                              ;   in Loop: Header=BB208_15 Depth=1
	v_and_b32_e32 v24, 7, v1
	v_lshrrev_b32_e32 v1, 3, v2
	s_mov_b32 s21, exec_lo
	v_cmpx_gt_u32_e32 8, v2
; %bb.702:                              ;   in Loop: Header=BB208_15 Depth=1
	v_ffbh_u32_e32 v1, v24
	v_min_u32_e32 v1, 32, v1
	v_subrev_nc_u32_e32 v2, 28, v1
	v_sub_nc_u32_e32 v1, 29, v1
	v_lshlrev_b64 v[2:3], v2, v[24:25]
	v_and_b32_e32 v24, 7, v2
; %bb.703:                              ;   in Loop: Header=BB208_15 Depth=1
	s_or_b32 exec_lo, exec_lo, s21
	v_lshlrev_b32_e32 v2, 16, v0
	v_lshlrev_b32_e32 v3, 20, v24
	v_lshl_add_u32 v1, v1, 23, 0x3c000000
	v_mov_b32_e32 v118, v25
	v_and_b32_e32 v2, 0x80000000, v2
	v_or3_b32 v119, v3, v2, v1
.LBB208_704:                            ;   in Loop: Header=BB208_15 Depth=1
	s_or_b32 exec_lo, exec_lo, s20
.LBB208_705:                            ;   in Loop: Header=BB208_15 Depth=1
	s_or_b32 exec_lo, exec_lo, s19
.LBB208_706:                            ;   in Loop: Header=BB208_15 Depth=1
	s_or_b32 exec_lo, exec_lo, s18
	v_mov_b32_e32 v100, 0
	v_mov_b32_e32 v39, 0
	v_and_b32_sdwa v1, v0, v6 dst_sel:DWORD dst_unused:UNUSED_PAD src0_sel:WORD_1 src1_sel:DWORD
	v_mov_b32_e32 v101, 0
	v_mov_b32_e32 v40, 0
	s_mov_b32 s18, exec_lo
	v_cmpx_ne_u16_e32 0, v1
	s_cbranch_execz .LBB208_714
; %bb.707:                              ;   in Loop: Header=BB208_15 Depth=1
	v_bfrev_b32_e32 v39, 1
	v_mov_b32_e32 v40, 0
	s_mov_b32 s19, exec_lo
	v_cmpx_ne_u16_e32 0x80, v1
	s_cbranch_execz .LBB208_713
; %bb.708:                              ;   in Loop: Header=BB208_15 Depth=1
	v_mov_b32_e32 v39, 0x7f800001
	v_bfe_u32 v2, v0, 16, 7
	v_mov_b32_e32 v40, 0
	s_mov_b32 s20, exec_lo
	v_cmpx_ne_u32_e32 0x7f, v2
	s_cbranch_execz .LBB208_712
; %bb.709:                              ;   in Loop: Header=BB208_15 Depth=1
	v_mov_b32_e32 v1, 7
	s_mov_b32 s21, exec_lo
	v_and_b32_sdwa v24, v0, v1 dst_sel:DWORD dst_unused:UNUSED_PAD src0_sel:WORD_1 src1_sel:DWORD
	v_lshrrev_b32_e32 v1, 3, v2
	v_cmpx_gt_u32_e32 8, v2
; %bb.710:                              ;   in Loop: Header=BB208_15 Depth=1
	v_ffbh_u32_e32 v1, v24
	v_min_u32_e32 v1, 32, v1
	v_subrev_nc_u32_e32 v2, 28, v1
	v_sub_nc_u32_e32 v1, 29, v1
	v_lshlrev_b64 v[2:3], v2, v[24:25]
	v_and_b32_e32 v24, 7, v2
; %bb.711:                              ;   in Loop: Header=BB208_15 Depth=1
	s_or_b32 exec_lo, exec_lo, s21
	v_mov_b32_e32 v2, 24
	v_lshlrev_b32_e32 v3, 20, v24
	v_lshl_add_u32 v1, v1, 23, 0x3c000000
	v_lshlrev_b32_sdwa v2, v2, v0 dst_sel:DWORD dst_unused:UNUSED_PAD src0_sel:DWORD src1_sel:WORD_1
	v_and_b32_e32 v2, 0x80000000, v2
	v_or3_b32 v24, v3, v2, v1
	v_mov_b32_e32 v40, v25
	v_mov_b32_e32 v39, v24
.LBB208_712:                            ;   in Loop: Header=BB208_15 Depth=1
	s_or_b32 exec_lo, exec_lo, s20
.LBB208_713:                            ;   in Loop: Header=BB208_15 Depth=1
	s_or_b32 exec_lo, exec_lo, s19
.LBB208_714:                            ;   in Loop: Header=BB208_15 Depth=1
	s_or_b32 exec_lo, exec_lo, s18
	s_mov_b32 s18, exec_lo
	v_cmpx_lt_u32_e32 0xffffff, v0
	s_cbranch_execz .LBB208_722
; %bb.715:                              ;   in Loop: Header=BB208_15 Depth=1
	v_mov_b32_e32 v110, v25
	v_mov_b32_e32 v1, 0x80
	v_mov_b32_e32 v100, v110
	v_cmp_ne_u32_sdwa s5, v0, v1 src0_sel:BYTE_3 src1_sel:DWORD
	v_mov_b32_e32 v101, v111
	s_and_saveexec_b32 s19, s5
	s_cbranch_execz .LBB208_721
; %bb.716:                              ;   in Loop: Header=BB208_15 Depth=1
	v_mov_b32_e32 v106, v25
	v_bfe_u32 v2, v0, 24, 7
	s_mov_b32 s20, exec_lo
	v_mov_b32_e32 v100, v106
	v_mov_b32_e32 v101, v107
	v_cmpx_ne_u32_e32 0x7f, v2
	s_cbranch_execz .LBB208_720
; %bb.717:                              ;   in Loop: Header=BB208_15 Depth=1
	v_mov_b32_e32 v1, 7
	s_mov_b32 s21, exec_lo
	v_and_b32_sdwa v24, v0, v1 dst_sel:DWORD dst_unused:UNUSED_PAD src0_sel:BYTE_3 src1_sel:DWORD
	v_lshrrev_b32_e32 v1, 3, v2
	v_cmpx_gt_u32_e32 8, v2
; %bb.718:                              ;   in Loop: Header=BB208_15 Depth=1
	v_ffbh_u32_e32 v1, v24
	v_min_u32_e32 v1, 32, v1
	v_subrev_nc_u32_e32 v2, 28, v1
	v_sub_nc_u32_e32 v1, 29, v1
	v_lshlrev_b64 v[2:3], v2, v[24:25]
	v_and_b32_e32 v24, 7, v2
; %bb.719:                              ;   in Loop: Header=BB208_15 Depth=1
	s_or_b32 exec_lo, exec_lo, s21
	v_mov_b32_e32 v2, 24
	v_lshl_add_u32 v1, v1, 23, 0x3c000000
	v_mov_b32_e32 v100, v25
	v_lshlrev_b32_sdwa v0, v2, v0 dst_sel:DWORD dst_unused:UNUSED_PAD src0_sel:DWORD src1_sel:BYTE_3
	v_lshlrev_b32_e32 v2, 20, v24
	v_and_b32_e32 v0, 0x80000000, v0
	v_or3_b32 v101, v2, v0, v1
.LBB208_720:                            ;   in Loop: Header=BB208_15 Depth=1
	s_or_b32 exec_lo, exec_lo, s20
.LBB208_721:                            ;   in Loop: Header=BB208_15 Depth=1
	s_or_b32 exec_lo, exec_lo, s19
.LBB208_722:                            ;   in Loop: Header=BB208_15 Depth=1
	s_or_b32 exec_lo, exec_lo, s18
	flat_load_dword v0, v[33:34] offset:520
	v_mov_b32_e32 v45, 0
	v_mov_b32_e32 v114, 0
	;; [unrolled: 1-line block ×4, first 2 shown]
	s_waitcnt vmcnt(0) lgkmcnt(0)
	v_cmp_ne_u16_sdwa s5, v0, v25 src0_sel:BYTE_0 src1_sel:DWORD
	s_and_saveexec_b32 s18, s5
	s_cbranch_execz .LBB208_730
; %bb.723:                              ;   in Loop: Header=BB208_15 Depth=1
	v_mov_b32_e32 v1, 0x80
	v_bfrev_b32_e32 v114, 1
	v_mov_b32_e32 v115, 0
	v_cmp_ne_u16_sdwa s5, v0, v1 src0_sel:BYTE_0 src1_sel:DWORD
	s_and_saveexec_b32 s19, s5
	s_cbranch_execz .LBB208_729
; %bb.724:                              ;   in Loop: Header=BB208_15 Depth=1
	v_mov_b32_e32 v114, 0x7f800001
	v_and_b32_e32 v2, 0x7f, v0
	v_mov_b32_e32 v115, 0
	s_mov_b32 s20, exec_lo
	v_cmpx_ne_u32_e32 0x7f, v2
	s_cbranch_execz .LBB208_728
; %bb.725:                              ;   in Loop: Header=BB208_15 Depth=1
	v_and_b32_e32 v24, 7, v0
	v_lshrrev_b32_e32 v1, 3, v2
	s_mov_b32 s21, exec_lo
	v_cmpx_gt_u32_e32 8, v2
; %bb.726:                              ;   in Loop: Header=BB208_15 Depth=1
	v_ffbh_u32_e32 v1, v24
	v_min_u32_e32 v1, 32, v1
	v_subrev_nc_u32_e32 v2, 28, v1
	v_sub_nc_u32_e32 v1, 29, v1
	v_lshlrev_b64 v[2:3], v2, v[24:25]
	v_and_b32_e32 v24, 7, v2
; %bb.727:                              ;   in Loop: Header=BB208_15 Depth=1
	s_or_b32 exec_lo, exec_lo, s21
	v_lshlrev_b32_e32 v2, 24, v0
	v_lshlrev_b32_e32 v3, 20, v24
	v_lshl_add_u32 v1, v1, 23, 0x3c000000
	v_and_b32_e32 v2, 0x80000000, v2
	v_or3_b32 v24, v3, v2, v1
	v_mov_b32_e32 v115, v25
	v_mov_b32_e32 v114, v24
.LBB208_728:                            ;   in Loop: Header=BB208_15 Depth=1
	s_or_b32 exec_lo, exec_lo, s20
.LBB208_729:                            ;   in Loop: Header=BB208_15 Depth=1
	s_or_b32 exec_lo, exec_lo, s19
.LBB208_730:                            ;   in Loop: Header=BB208_15 Depth=1
	s_or_b32 exec_lo, exec_lo, s18
	v_cmp_ne_u16_sdwa s5, v0, v25 src0_sel:BYTE_1 src1_sel:DWORD
	s_and_saveexec_b32 s18, s5
	s_cbranch_execz .LBB208_738
; %bb.731:                              ;   in Loop: Header=BB208_15 Depth=1
	v_mov_b32_e32 v110, v25
	v_mov_b32_e32 v1, 0x80
	;; [unrolled: 1-line block ×3, first 2 shown]
	v_cmp_ne_u16_sdwa s5, v0, v1 src0_sel:BYTE_1 src1_sel:DWORD
	v_mov_b32_e32 v46, v111
	s_and_saveexec_b32 s19, s5
	s_cbranch_execz .LBB208_737
; %bb.732:                              ;   in Loop: Header=BB208_15 Depth=1
	v_mov_b32_e32 v1, 0xffff
	v_mov_b32_e32 v106, v25
	s_mov_b32 s20, exec_lo
	v_and_b32_sdwa v1, v1, v0 dst_sel:DWORD dst_unused:UNUSED_PAD src0_sel:DWORD src1_sel:BYTE_1
	v_mov_b32_e32 v45, v106
	v_mov_b32_e32 v46, v107
	v_and_b32_e32 v2, 0x7f, v1
	v_cmpx_ne_u32_e32 0x7f, v2
	s_cbranch_execz .LBB208_736
; %bb.733:                              ;   in Loop: Header=BB208_15 Depth=1
	v_and_b32_e32 v24, 7, v1
	v_lshrrev_b32_e32 v1, 3, v2
	s_mov_b32 s21, exec_lo
	v_cmpx_gt_u32_e32 8, v2
; %bb.734:                              ;   in Loop: Header=BB208_15 Depth=1
	v_ffbh_u32_e32 v1, v24
	v_min_u32_e32 v1, 32, v1
	v_subrev_nc_u32_e32 v2, 28, v1
	v_sub_nc_u32_e32 v1, 29, v1
	v_lshlrev_b64 v[2:3], v2, v[24:25]
	v_and_b32_e32 v24, 7, v2
; %bb.735:                              ;   in Loop: Header=BB208_15 Depth=1
	s_or_b32 exec_lo, exec_lo, s21
	v_lshlrev_b32_e32 v2, 16, v0
	v_lshlrev_b32_e32 v3, 20, v24
	v_lshl_add_u32 v1, v1, 23, 0x3c000000
	v_mov_b32_e32 v45, v25
	v_and_b32_e32 v2, 0x80000000, v2
	v_or3_b32 v46, v3, v2, v1
.LBB208_736:                            ;   in Loop: Header=BB208_15 Depth=1
	s_or_b32 exec_lo, exec_lo, s20
.LBB208_737:                            ;   in Loop: Header=BB208_15 Depth=1
	s_or_b32 exec_lo, exec_lo, s19
.LBB208_738:                            ;   in Loop: Header=BB208_15 Depth=1
	s_or_b32 exec_lo, exec_lo, s18
	v_mov_b32_e32 v116, 0
	v_mov_b32_e32 v56, 0
	v_and_b32_sdwa v1, v0, v6 dst_sel:DWORD dst_unused:UNUSED_PAD src0_sel:WORD_1 src1_sel:DWORD
	v_mov_b32_e32 v117, 0
	v_mov_b32_e32 v57, 0
	s_mov_b32 s18, exec_lo
	v_cmpx_ne_u16_e32 0, v1
	s_cbranch_execz .LBB208_746
; %bb.739:                              ;   in Loop: Header=BB208_15 Depth=1
	v_bfrev_b32_e32 v56, 1
	v_mov_b32_e32 v57, 0
	s_mov_b32 s19, exec_lo
	v_cmpx_ne_u16_e32 0x80, v1
	s_cbranch_execz .LBB208_745
; %bb.740:                              ;   in Loop: Header=BB208_15 Depth=1
	v_mov_b32_e32 v56, 0x7f800001
	v_bfe_u32 v2, v0, 16, 7
	v_mov_b32_e32 v57, 0
	s_mov_b32 s20, exec_lo
	v_cmpx_ne_u32_e32 0x7f, v2
	s_cbranch_execz .LBB208_744
; %bb.741:                              ;   in Loop: Header=BB208_15 Depth=1
	v_mov_b32_e32 v1, 7
	s_mov_b32 s21, exec_lo
	v_and_b32_sdwa v24, v0, v1 dst_sel:DWORD dst_unused:UNUSED_PAD src0_sel:WORD_1 src1_sel:DWORD
	v_lshrrev_b32_e32 v1, 3, v2
	v_cmpx_gt_u32_e32 8, v2
; %bb.742:                              ;   in Loop: Header=BB208_15 Depth=1
	v_ffbh_u32_e32 v1, v24
	v_min_u32_e32 v1, 32, v1
	v_subrev_nc_u32_e32 v2, 28, v1
	v_sub_nc_u32_e32 v1, 29, v1
	v_lshlrev_b64 v[2:3], v2, v[24:25]
	v_and_b32_e32 v24, 7, v2
; %bb.743:                              ;   in Loop: Header=BB208_15 Depth=1
	s_or_b32 exec_lo, exec_lo, s21
	v_mov_b32_e32 v2, 24
	v_lshlrev_b32_e32 v3, 20, v24
	v_lshl_add_u32 v1, v1, 23, 0x3c000000
	v_lshlrev_b32_sdwa v2, v2, v0 dst_sel:DWORD dst_unused:UNUSED_PAD src0_sel:DWORD src1_sel:WORD_1
	v_and_b32_e32 v2, 0x80000000, v2
	v_or3_b32 v24, v3, v2, v1
	v_mov_b32_e32 v57, v25
	v_mov_b32_e32 v56, v24
.LBB208_744:                            ;   in Loop: Header=BB208_15 Depth=1
	s_or_b32 exec_lo, exec_lo, s20
.LBB208_745:                            ;   in Loop: Header=BB208_15 Depth=1
	s_or_b32 exec_lo, exec_lo, s19
.LBB208_746:                            ;   in Loop: Header=BB208_15 Depth=1
	s_or_b32 exec_lo, exec_lo, s18
	s_mov_b32 s18, exec_lo
	v_cmpx_lt_u32_e32 0xffffff, v0
	s_cbranch_execz .LBB208_754
; %bb.747:                              ;   in Loop: Header=BB208_15 Depth=1
	v_mov_b32_e32 v110, v25
	v_mov_b32_e32 v1, 0x80
	;; [unrolled: 1-line block ×4, first 2 shown]
	v_cmp_ne_u32_sdwa s5, v0, v1 src0_sel:BYTE_3 src1_sel:DWORD
	s_and_saveexec_b32 s19, s5
	s_cbranch_execz .LBB208_753
; %bb.748:                              ;   in Loop: Header=BB208_15 Depth=1
	v_mov_b32_e32 v106, v25
	v_mov_b32_e32 v117, v107
	v_bfe_u32 v2, v0, 24, 7
	s_mov_b32 s20, exec_lo
	v_mov_b32_e32 v116, v106
	v_cmpx_ne_u32_e32 0x7f, v2
	s_cbranch_execz .LBB208_752
; %bb.749:                              ;   in Loop: Header=BB208_15 Depth=1
	v_mov_b32_e32 v1, 7
	s_mov_b32 s21, exec_lo
	v_and_b32_sdwa v24, v0, v1 dst_sel:DWORD dst_unused:UNUSED_PAD src0_sel:BYTE_3 src1_sel:DWORD
	v_lshrrev_b32_e32 v1, 3, v2
	v_cmpx_gt_u32_e32 8, v2
; %bb.750:                              ;   in Loop: Header=BB208_15 Depth=1
	v_ffbh_u32_e32 v1, v24
	v_min_u32_e32 v1, 32, v1
	v_subrev_nc_u32_e32 v2, 28, v1
	v_sub_nc_u32_e32 v1, 29, v1
	v_lshlrev_b64 v[2:3], v2, v[24:25]
	v_and_b32_e32 v24, 7, v2
; %bb.751:                              ;   in Loop: Header=BB208_15 Depth=1
	s_or_b32 exec_lo, exec_lo, s21
	v_mov_b32_e32 v2, 24
	v_lshl_add_u32 v1, v1, 23, 0x3c000000
	v_mov_b32_e32 v116, v25
	v_lshlrev_b32_sdwa v0, v2, v0 dst_sel:DWORD dst_unused:UNUSED_PAD src0_sel:DWORD src1_sel:BYTE_3
	v_lshlrev_b32_e32 v2, 20, v24
	v_and_b32_e32 v0, 0x80000000, v0
	v_or3_b32 v117, v2, v0, v1
.LBB208_752:                            ;   in Loop: Header=BB208_15 Depth=1
	s_or_b32 exec_lo, exec_lo, s20
.LBB208_753:                            ;   in Loop: Header=BB208_15 Depth=1
	s_or_b32 exec_lo, exec_lo, s19
.LBB208_754:                            ;   in Loop: Header=BB208_15 Depth=1
	s_or_b32 exec_lo, exec_lo, s18
	flat_load_dword v0, v[33:34] offset:524
	v_mov_b32_e32 v62, 0
	v_mov_b32_e32 v41, 0
	;; [unrolled: 1-line block ×4, first 2 shown]
	s_waitcnt vmcnt(0) lgkmcnt(0)
	v_cmp_ne_u16_sdwa s5, v0, v25 src0_sel:BYTE_0 src1_sel:DWORD
	s_and_saveexec_b32 s18, s5
	s_cbranch_execz .LBB208_762
; %bb.755:                              ;   in Loop: Header=BB208_15 Depth=1
	v_mov_b32_e32 v1, 0x80
	v_bfrev_b32_e32 v41, 1
	v_mov_b32_e32 v42, 0
	v_cmp_ne_u16_sdwa s5, v0, v1 src0_sel:BYTE_0 src1_sel:DWORD
	s_and_saveexec_b32 s19, s5
	s_cbranch_execz .LBB208_761
; %bb.756:                              ;   in Loop: Header=BB208_15 Depth=1
	v_mov_b32_e32 v41, 0x7f800001
	v_and_b32_e32 v2, 0x7f, v0
	v_mov_b32_e32 v42, 0
	s_mov_b32 s20, exec_lo
	v_cmpx_ne_u32_e32 0x7f, v2
	s_cbranch_execz .LBB208_760
; %bb.757:                              ;   in Loop: Header=BB208_15 Depth=1
	v_and_b32_e32 v24, 7, v0
	v_lshrrev_b32_e32 v1, 3, v2
	s_mov_b32 s21, exec_lo
	v_cmpx_gt_u32_e32 8, v2
; %bb.758:                              ;   in Loop: Header=BB208_15 Depth=1
	v_ffbh_u32_e32 v1, v24
	v_min_u32_e32 v1, 32, v1
	v_subrev_nc_u32_e32 v2, 28, v1
	v_sub_nc_u32_e32 v1, 29, v1
	v_lshlrev_b64 v[2:3], v2, v[24:25]
	v_and_b32_e32 v24, 7, v2
; %bb.759:                              ;   in Loop: Header=BB208_15 Depth=1
	s_or_b32 exec_lo, exec_lo, s21
	v_lshlrev_b32_e32 v2, 24, v0
	v_lshlrev_b32_e32 v3, 20, v24
	v_lshl_add_u32 v1, v1, 23, 0x3c000000
	v_and_b32_e32 v2, 0x80000000, v2
	v_or3_b32 v24, v3, v2, v1
	v_mov_b32_e32 v42, v25
	v_mov_b32_e32 v41, v24
.LBB208_760:                            ;   in Loop: Header=BB208_15 Depth=1
	s_or_b32 exec_lo, exec_lo, s20
.LBB208_761:                            ;   in Loop: Header=BB208_15 Depth=1
	s_or_b32 exec_lo, exec_lo, s19
.LBB208_762:                            ;   in Loop: Header=BB208_15 Depth=1
	s_or_b32 exec_lo, exec_lo, s18
	v_cmp_ne_u16_sdwa s5, v0, v25 src0_sel:BYTE_1 src1_sel:DWORD
	s_and_saveexec_b32 s18, s5
	s_cbranch_execz .LBB208_770
; %bb.763:                              ;   in Loop: Header=BB208_15 Depth=1
	v_mov_b32_e32 v110, v25
	v_mov_b32_e32 v1, 0x80
	;; [unrolled: 1-line block ×3, first 2 shown]
	v_cmp_ne_u16_sdwa s5, v0, v1 src0_sel:BYTE_1 src1_sel:DWORD
	v_mov_b32_e32 v63, v111
	s_and_saveexec_b32 s19, s5
	s_cbranch_execz .LBB208_769
; %bb.764:                              ;   in Loop: Header=BB208_15 Depth=1
	v_mov_b32_e32 v1, 0xffff
	v_mov_b32_e32 v106, v25
	s_mov_b32 s20, exec_lo
	v_and_b32_sdwa v1, v1, v0 dst_sel:DWORD dst_unused:UNUSED_PAD src0_sel:DWORD src1_sel:BYTE_1
	v_mov_b32_e32 v62, v106
	v_mov_b32_e32 v63, v107
	v_and_b32_e32 v2, 0x7f, v1
	v_cmpx_ne_u32_e32 0x7f, v2
	s_cbranch_execz .LBB208_768
; %bb.765:                              ;   in Loop: Header=BB208_15 Depth=1
	v_and_b32_e32 v24, 7, v1
	v_lshrrev_b32_e32 v1, 3, v2
	s_mov_b32 s21, exec_lo
	v_cmpx_gt_u32_e32 8, v2
; %bb.766:                              ;   in Loop: Header=BB208_15 Depth=1
	v_ffbh_u32_e32 v1, v24
	v_min_u32_e32 v1, 32, v1
	v_subrev_nc_u32_e32 v2, 28, v1
	v_sub_nc_u32_e32 v1, 29, v1
	v_lshlrev_b64 v[2:3], v2, v[24:25]
	v_and_b32_e32 v24, 7, v2
; %bb.767:                              ;   in Loop: Header=BB208_15 Depth=1
	s_or_b32 exec_lo, exec_lo, s21
	v_lshlrev_b32_e32 v2, 16, v0
	v_lshlrev_b32_e32 v3, 20, v24
	v_lshl_add_u32 v1, v1, 23, 0x3c000000
	v_mov_b32_e32 v62, v25
	v_and_b32_e32 v2, 0x80000000, v2
	v_or3_b32 v63, v3, v2, v1
.LBB208_768:                            ;   in Loop: Header=BB208_15 Depth=1
	s_or_b32 exec_lo, exec_lo, s20
.LBB208_769:                            ;   in Loop: Header=BB208_15 Depth=1
	s_or_b32 exec_lo, exec_lo, s19
.LBB208_770:                            ;   in Loop: Header=BB208_15 Depth=1
	s_or_b32 exec_lo, exec_lo, s18
	v_mov_b32_e32 v43, 0
	v_mov_b32_e32 v72, 0
	v_and_b32_sdwa v1, v0, v6 dst_sel:DWORD dst_unused:UNUSED_PAD src0_sel:WORD_1 src1_sel:DWORD
	v_mov_b32_e32 v44, 0
	v_mov_b32_e32 v73, 0
	s_mov_b32 s18, exec_lo
	v_cmpx_ne_u16_e32 0, v1
	s_cbranch_execz .LBB208_778
; %bb.771:                              ;   in Loop: Header=BB208_15 Depth=1
	v_bfrev_b32_e32 v72, 1
	v_mov_b32_e32 v73, 0
	s_mov_b32 s19, exec_lo
	v_cmpx_ne_u16_e32 0x80, v1
	s_cbranch_execz .LBB208_777
; %bb.772:                              ;   in Loop: Header=BB208_15 Depth=1
	v_mov_b32_e32 v72, 0x7f800001
	v_bfe_u32 v2, v0, 16, 7
	v_mov_b32_e32 v73, 0
	s_mov_b32 s20, exec_lo
	v_cmpx_ne_u32_e32 0x7f, v2
	s_cbranch_execz .LBB208_776
; %bb.773:                              ;   in Loop: Header=BB208_15 Depth=1
	v_mov_b32_e32 v1, 7
	s_mov_b32 s21, exec_lo
	v_and_b32_sdwa v24, v0, v1 dst_sel:DWORD dst_unused:UNUSED_PAD src0_sel:WORD_1 src1_sel:DWORD
	v_lshrrev_b32_e32 v1, 3, v2
	v_cmpx_gt_u32_e32 8, v2
; %bb.774:                              ;   in Loop: Header=BB208_15 Depth=1
	v_ffbh_u32_e32 v1, v24
	v_min_u32_e32 v1, 32, v1
	v_subrev_nc_u32_e32 v2, 28, v1
	v_sub_nc_u32_e32 v1, 29, v1
	v_lshlrev_b64 v[2:3], v2, v[24:25]
	v_and_b32_e32 v24, 7, v2
; %bb.775:                              ;   in Loop: Header=BB208_15 Depth=1
	s_or_b32 exec_lo, exec_lo, s21
	v_mov_b32_e32 v2, 24
	v_lshlrev_b32_e32 v3, 20, v24
	v_lshl_add_u32 v1, v1, 23, 0x3c000000
	v_lshlrev_b32_sdwa v2, v2, v0 dst_sel:DWORD dst_unused:UNUSED_PAD src0_sel:DWORD src1_sel:WORD_1
	v_and_b32_e32 v2, 0x80000000, v2
	v_or3_b32 v24, v3, v2, v1
	v_mov_b32_e32 v73, v25
	v_mov_b32_e32 v72, v24
.LBB208_776:                            ;   in Loop: Header=BB208_15 Depth=1
	s_or_b32 exec_lo, exec_lo, s20
.LBB208_777:                            ;   in Loop: Header=BB208_15 Depth=1
	s_or_b32 exec_lo, exec_lo, s19
.LBB208_778:                            ;   in Loop: Header=BB208_15 Depth=1
	s_or_b32 exec_lo, exec_lo, s18
	s_mov_b32 s18, exec_lo
	v_cmpx_lt_u32_e32 0xffffff, v0
	s_cbranch_execz .LBB208_786
; %bb.779:                              ;   in Loop: Header=BB208_15 Depth=1
	v_mov_b32_e32 v110, v25
	v_mov_b32_e32 v1, 0x80
	;; [unrolled: 1-line block ×3, first 2 shown]
	v_cmp_ne_u32_sdwa s5, v0, v1 src0_sel:BYTE_3 src1_sel:DWORD
	v_mov_b32_e32 v44, v111
	s_and_saveexec_b32 s19, s5
	s_cbranch_execz .LBB208_785
; %bb.780:                              ;   in Loop: Header=BB208_15 Depth=1
	v_mov_b32_e32 v106, v25
	v_bfe_u32 v2, v0, 24, 7
	s_mov_b32 s20, exec_lo
	v_mov_b32_e32 v43, v106
	v_mov_b32_e32 v44, v107
	v_cmpx_ne_u32_e32 0x7f, v2
	s_cbranch_execz .LBB208_784
; %bb.781:                              ;   in Loop: Header=BB208_15 Depth=1
	v_mov_b32_e32 v1, 7
	s_mov_b32 s21, exec_lo
	v_and_b32_sdwa v24, v0, v1 dst_sel:DWORD dst_unused:UNUSED_PAD src0_sel:BYTE_3 src1_sel:DWORD
	v_lshrrev_b32_e32 v1, 3, v2
	v_cmpx_gt_u32_e32 8, v2
; %bb.782:                              ;   in Loop: Header=BB208_15 Depth=1
	v_ffbh_u32_e32 v1, v24
	v_min_u32_e32 v1, 32, v1
	v_subrev_nc_u32_e32 v2, 28, v1
	v_sub_nc_u32_e32 v1, 29, v1
	v_lshlrev_b64 v[2:3], v2, v[24:25]
	v_and_b32_e32 v24, 7, v2
; %bb.783:                              ;   in Loop: Header=BB208_15 Depth=1
	s_or_b32 exec_lo, exec_lo, s21
	v_mov_b32_e32 v2, 24
	v_lshl_add_u32 v1, v1, 23, 0x3c000000
	v_mov_b32_e32 v43, v25
	v_lshlrev_b32_sdwa v0, v2, v0 dst_sel:DWORD dst_unused:UNUSED_PAD src0_sel:DWORD src1_sel:BYTE_3
	v_lshlrev_b32_e32 v2, 20, v24
	v_and_b32_e32 v0, 0x80000000, v0
	v_or3_b32 v44, v2, v0, v1
.LBB208_784:                            ;   in Loop: Header=BB208_15 Depth=1
	s_or_b32 exec_lo, exec_lo, s20
.LBB208_785:                            ;   in Loop: Header=BB208_15 Depth=1
	s_or_b32 exec_lo, exec_lo, s19
.LBB208_786:                            ;   in Loop: Header=BB208_15 Depth=1
	s_or_b32 exec_lo, exec_lo, s18
	flat_load_dword v0, v[33:34] offset:1024
	v_mov_b32_e32 v78, 0
	v_mov_b32_e32 v58, 0
	v_mov_b32_e32 v79, 0
	v_mov_b32_e32 v59, 0
	s_waitcnt vmcnt(0) lgkmcnt(0)
	v_cmp_ne_u16_sdwa s5, v0, v25 src0_sel:BYTE_0 src1_sel:DWORD
	s_and_saveexec_b32 s18, s5
	s_cbranch_execz .LBB208_794
; %bb.787:                              ;   in Loop: Header=BB208_15 Depth=1
	v_mov_b32_e32 v1, 0x80
	v_bfrev_b32_e32 v58, 1
	v_mov_b32_e32 v59, 0
	v_cmp_ne_u16_sdwa s5, v0, v1 src0_sel:BYTE_0 src1_sel:DWORD
	s_and_saveexec_b32 s19, s5
	s_cbranch_execz .LBB208_793
; %bb.788:                              ;   in Loop: Header=BB208_15 Depth=1
	v_mov_b32_e32 v58, 0x7f800001
	v_and_b32_e32 v2, 0x7f, v0
	v_mov_b32_e32 v59, 0
	s_mov_b32 s20, exec_lo
	v_cmpx_ne_u32_e32 0x7f, v2
	s_cbranch_execz .LBB208_792
; %bb.789:                              ;   in Loop: Header=BB208_15 Depth=1
	v_and_b32_e32 v24, 7, v0
	v_lshrrev_b32_e32 v1, 3, v2
	s_mov_b32 s21, exec_lo
	v_cmpx_gt_u32_e32 8, v2
; %bb.790:                              ;   in Loop: Header=BB208_15 Depth=1
	v_ffbh_u32_e32 v1, v24
	v_min_u32_e32 v1, 32, v1
	v_subrev_nc_u32_e32 v2, 28, v1
	v_sub_nc_u32_e32 v1, 29, v1
	v_lshlrev_b64 v[2:3], v2, v[24:25]
	v_and_b32_e32 v24, 7, v2
; %bb.791:                              ;   in Loop: Header=BB208_15 Depth=1
	s_or_b32 exec_lo, exec_lo, s21
	v_lshlrev_b32_e32 v2, 24, v0
	v_lshlrev_b32_e32 v3, 20, v24
	v_lshl_add_u32 v1, v1, 23, 0x3c000000
	v_and_b32_e32 v2, 0x80000000, v2
	v_or3_b32 v24, v3, v2, v1
	v_mov_b32_e32 v59, v25
	v_mov_b32_e32 v58, v24
.LBB208_792:                            ;   in Loop: Header=BB208_15 Depth=1
	s_or_b32 exec_lo, exec_lo, s20
.LBB208_793:                            ;   in Loop: Header=BB208_15 Depth=1
	s_or_b32 exec_lo, exec_lo, s19
.LBB208_794:                            ;   in Loop: Header=BB208_15 Depth=1
	s_or_b32 exec_lo, exec_lo, s18
	v_cmp_ne_u16_sdwa s5, v0, v25 src0_sel:BYTE_1 src1_sel:DWORD
	s_and_saveexec_b32 s18, s5
	s_cbranch_execz .LBB208_802
; %bb.795:                              ;   in Loop: Header=BB208_15 Depth=1
	v_mov_b32_e32 v110, v25
	v_mov_b32_e32 v1, 0x80
	;; [unrolled: 1-line block ×3, first 2 shown]
	v_cmp_ne_u16_sdwa s5, v0, v1 src0_sel:BYTE_1 src1_sel:DWORD
	v_mov_b32_e32 v79, v111
	s_and_saveexec_b32 s19, s5
	s_cbranch_execz .LBB208_801
; %bb.796:                              ;   in Loop: Header=BB208_15 Depth=1
	v_mov_b32_e32 v1, 0xffff
	v_mov_b32_e32 v106, v25
	s_mov_b32 s20, exec_lo
	v_and_b32_sdwa v1, v1, v0 dst_sel:DWORD dst_unused:UNUSED_PAD src0_sel:DWORD src1_sel:BYTE_1
	v_mov_b32_e32 v78, v106
	v_mov_b32_e32 v79, v107
	v_and_b32_e32 v2, 0x7f, v1
	v_cmpx_ne_u32_e32 0x7f, v2
	s_cbranch_execz .LBB208_800
; %bb.797:                              ;   in Loop: Header=BB208_15 Depth=1
	v_and_b32_e32 v24, 7, v1
	v_lshrrev_b32_e32 v1, 3, v2
	s_mov_b32 s21, exec_lo
	v_cmpx_gt_u32_e32 8, v2
; %bb.798:                              ;   in Loop: Header=BB208_15 Depth=1
	v_ffbh_u32_e32 v1, v24
	v_min_u32_e32 v1, 32, v1
	v_subrev_nc_u32_e32 v2, 28, v1
	v_sub_nc_u32_e32 v1, 29, v1
	v_lshlrev_b64 v[2:3], v2, v[24:25]
	v_and_b32_e32 v24, 7, v2
; %bb.799:                              ;   in Loop: Header=BB208_15 Depth=1
	s_or_b32 exec_lo, exec_lo, s21
	v_lshlrev_b32_e32 v2, 16, v0
	v_lshlrev_b32_e32 v3, 20, v24
	v_lshl_add_u32 v1, v1, 23, 0x3c000000
	v_mov_b32_e32 v78, v25
	v_and_b32_e32 v2, 0x80000000, v2
	v_or3_b32 v79, v3, v2, v1
.LBB208_800:                            ;   in Loop: Header=BB208_15 Depth=1
	s_or_b32 exec_lo, exec_lo, s20
.LBB208_801:                            ;   in Loop: Header=BB208_15 Depth=1
	s_or_b32 exec_lo, exec_lo, s19
.LBB208_802:                            ;   in Loop: Header=BB208_15 Depth=1
	s_or_b32 exec_lo, exec_lo, s18
	v_mov_b32_e32 v60, 0
	v_mov_b32_e32 v88, 0
	v_and_b32_sdwa v1, v0, v6 dst_sel:DWORD dst_unused:UNUSED_PAD src0_sel:WORD_1 src1_sel:DWORD
	v_mov_b32_e32 v61, 0
	v_mov_b32_e32 v89, 0
	s_mov_b32 s18, exec_lo
	v_cmpx_ne_u16_e32 0, v1
	s_cbranch_execz .LBB208_810
; %bb.803:                              ;   in Loop: Header=BB208_15 Depth=1
	v_bfrev_b32_e32 v88, 1
	v_mov_b32_e32 v89, 0
	s_mov_b32 s19, exec_lo
	v_cmpx_ne_u16_e32 0x80, v1
	s_cbranch_execz .LBB208_809
; %bb.804:                              ;   in Loop: Header=BB208_15 Depth=1
	v_mov_b32_e32 v88, 0x7f800001
	v_bfe_u32 v2, v0, 16, 7
	v_mov_b32_e32 v89, 0
	s_mov_b32 s20, exec_lo
	v_cmpx_ne_u32_e32 0x7f, v2
	s_cbranch_execz .LBB208_808
; %bb.805:                              ;   in Loop: Header=BB208_15 Depth=1
	v_mov_b32_e32 v1, 7
	s_mov_b32 s21, exec_lo
	v_and_b32_sdwa v24, v0, v1 dst_sel:DWORD dst_unused:UNUSED_PAD src0_sel:WORD_1 src1_sel:DWORD
	v_lshrrev_b32_e32 v1, 3, v2
	v_cmpx_gt_u32_e32 8, v2
; %bb.806:                              ;   in Loop: Header=BB208_15 Depth=1
	v_ffbh_u32_e32 v1, v24
	v_min_u32_e32 v1, 32, v1
	v_subrev_nc_u32_e32 v2, 28, v1
	v_sub_nc_u32_e32 v1, 29, v1
	v_lshlrev_b64 v[2:3], v2, v[24:25]
	v_and_b32_e32 v24, 7, v2
; %bb.807:                              ;   in Loop: Header=BB208_15 Depth=1
	s_or_b32 exec_lo, exec_lo, s21
	v_mov_b32_e32 v2, 24
	v_lshlrev_b32_e32 v3, 20, v24
	v_lshl_add_u32 v1, v1, 23, 0x3c000000
	v_lshlrev_b32_sdwa v2, v2, v0 dst_sel:DWORD dst_unused:UNUSED_PAD src0_sel:DWORD src1_sel:WORD_1
	v_and_b32_e32 v2, 0x80000000, v2
	v_or3_b32 v24, v3, v2, v1
	v_mov_b32_e32 v89, v25
	v_mov_b32_e32 v88, v24
.LBB208_808:                            ;   in Loop: Header=BB208_15 Depth=1
	s_or_b32 exec_lo, exec_lo, s20
.LBB208_809:                            ;   in Loop: Header=BB208_15 Depth=1
	s_or_b32 exec_lo, exec_lo, s19
.LBB208_810:                            ;   in Loop: Header=BB208_15 Depth=1
	s_or_b32 exec_lo, exec_lo, s18
	s_mov_b32 s18, exec_lo
	v_cmpx_lt_u32_e32 0xffffff, v0
	s_cbranch_execz .LBB208_818
; %bb.811:                              ;   in Loop: Header=BB208_15 Depth=1
	v_mov_b32_e32 v110, v25
	v_mov_b32_e32 v1, 0x80
	;; [unrolled: 1-line block ×3, first 2 shown]
	v_cmp_ne_u32_sdwa s5, v0, v1 src0_sel:BYTE_3 src1_sel:DWORD
	v_mov_b32_e32 v61, v111
	s_and_saveexec_b32 s19, s5
	s_cbranch_execz .LBB208_817
; %bb.812:                              ;   in Loop: Header=BB208_15 Depth=1
	v_mov_b32_e32 v106, v25
	v_bfe_u32 v2, v0, 24, 7
	s_mov_b32 s20, exec_lo
	v_mov_b32_e32 v60, v106
	v_mov_b32_e32 v61, v107
	v_cmpx_ne_u32_e32 0x7f, v2
	s_cbranch_execz .LBB208_816
; %bb.813:                              ;   in Loop: Header=BB208_15 Depth=1
	v_mov_b32_e32 v1, 7
	s_mov_b32 s21, exec_lo
	v_and_b32_sdwa v24, v0, v1 dst_sel:DWORD dst_unused:UNUSED_PAD src0_sel:BYTE_3 src1_sel:DWORD
	v_lshrrev_b32_e32 v1, 3, v2
	v_cmpx_gt_u32_e32 8, v2
; %bb.814:                              ;   in Loop: Header=BB208_15 Depth=1
	v_ffbh_u32_e32 v1, v24
	v_min_u32_e32 v1, 32, v1
	v_subrev_nc_u32_e32 v2, 28, v1
	v_sub_nc_u32_e32 v1, 29, v1
	v_lshlrev_b64 v[2:3], v2, v[24:25]
	v_and_b32_e32 v24, 7, v2
; %bb.815:                              ;   in Loop: Header=BB208_15 Depth=1
	s_or_b32 exec_lo, exec_lo, s21
	v_mov_b32_e32 v2, 24
	v_lshl_add_u32 v1, v1, 23, 0x3c000000
	v_mov_b32_e32 v60, v25
	v_lshlrev_b32_sdwa v0, v2, v0 dst_sel:DWORD dst_unused:UNUSED_PAD src0_sel:DWORD src1_sel:BYTE_3
	v_lshlrev_b32_e32 v2, 20, v24
	v_and_b32_e32 v0, 0x80000000, v0
	v_or3_b32 v61, v2, v0, v1
.LBB208_816:                            ;   in Loop: Header=BB208_15 Depth=1
	s_or_b32 exec_lo, exec_lo, s20
.LBB208_817:                            ;   in Loop: Header=BB208_15 Depth=1
	s_or_b32 exec_lo, exec_lo, s19
.LBB208_818:                            ;   in Loop: Header=BB208_15 Depth=1
	s_or_b32 exec_lo, exec_lo, s18
	flat_load_dword v2, v[33:34] offset:1028
	v_mov_b32_e32 v0, 0
	v_mov_b32_e32 v74, 0
	;; [unrolled: 1-line block ×4, first 2 shown]
	s_waitcnt vmcnt(0) lgkmcnt(0)
	v_cmp_ne_u16_sdwa s5, v2, v25 src0_sel:BYTE_0 src1_sel:DWORD
	s_and_saveexec_b32 s18, s5
	s_cbranch_execz .LBB208_826
; %bb.819:                              ;   in Loop: Header=BB208_15 Depth=1
	v_mov_b32_e32 v3, 0x80
	v_bfrev_b32_e32 v74, 1
	v_mov_b32_e32 v75, 0
	v_cmp_ne_u16_sdwa s5, v2, v3 src0_sel:BYTE_0 src1_sel:DWORD
	s_and_saveexec_b32 s19, s5
	s_cbranch_execz .LBB208_825
; %bb.820:                              ;   in Loop: Header=BB208_15 Depth=1
	v_mov_b32_e32 v74, 0x7f800001
	v_and_b32_e32 v5, 0x7f, v2
	v_mov_b32_e32 v75, 0
	s_mov_b32 s20, exec_lo
	v_cmpx_ne_u32_e32 0x7f, v5
	s_cbranch_execz .LBB208_824
; %bb.821:                              ;   in Loop: Header=BB208_15 Depth=1
	v_and_b32_e32 v24, 7, v2
	v_lshrrev_b32_e32 v3, 3, v5
	s_mov_b32 s21, exec_lo
	v_cmpx_gt_u32_e32 8, v5
	s_cbranch_execz .LBB208_823
; %bb.822:                              ;   in Loop: Header=BB208_15 Depth=1
	v_ffbh_u32_e32 v3, v24
	v_mov_b32_e32 v6, 0xff
	v_min_u32_e32 v3, 32, v3
	v_subrev_nc_u32_e32 v5, 28, v3
	v_sub_nc_u32_e32 v3, 29, v3
	v_lshlrev_b64 v[10:11], v5, v[24:25]
	v_and_b32_e32 v24, 7, v10
.LBB208_823:                            ;   in Loop: Header=BB208_15 Depth=1
	s_or_b32 exec_lo, exec_lo, s21
	v_lshlrev_b32_e32 v5, 24, v2
	v_lshlrev_b32_e32 v10, 20, v24
	v_lshl_add_u32 v3, v3, 23, 0x3c000000
	v_and_b32_e32 v5, 0x80000000, v5
	v_or3_b32 v24, v10, v5, v3
	v_mov_b32_e32 v75, v25
	v_mov_b32_e32 v74, v24
.LBB208_824:                            ;   in Loop: Header=BB208_15 Depth=1
	s_or_b32 exec_lo, exec_lo, s20
.LBB208_825:                            ;   in Loop: Header=BB208_15 Depth=1
	s_or_b32 exec_lo, exec_lo, s19
.LBB208_826:                            ;   in Loop: Header=BB208_15 Depth=1
	s_or_b32 exec_lo, exec_lo, s18
	v_cmp_ne_u16_sdwa s5, v2, v25 src0_sel:BYTE_1 src1_sel:DWORD
	s_and_saveexec_b32 s18, s5
	s_cbranch_execz .LBB208_834
; %bb.827:                              ;   in Loop: Header=BB208_15 Depth=1
	v_mov_b32_e32 v110, v25
	v_mov_b32_e32 v0, 0x80
	v_cmp_ne_u16_sdwa s5, v2, v0 src0_sel:BYTE_1 src1_sel:DWORD
	v_mov_b32_e32 v0, v110
	v_mov_b32_e32 v1, v111
	s_and_saveexec_b32 s19, s5
	s_cbranch_execz .LBB208_833
; %bb.828:                              ;   in Loop: Header=BB208_15 Depth=1
	v_mov_b32_e32 v0, 0xffff
	v_mov_b32_e32 v106, v25
	s_mov_b32 s20, exec_lo
	v_and_b32_sdwa v5, v0, v2 dst_sel:DWORD dst_unused:UNUSED_PAD src0_sel:DWORD src1_sel:BYTE_1
	v_mov_b32_e32 v0, v106
	v_mov_b32_e32 v1, v107
	v_and_b32_e32 v3, 0x7f, v5
	v_cmpx_ne_u32_e32 0x7f, v3
	s_cbranch_execz .LBB208_832
; %bb.829:                              ;   in Loop: Header=BB208_15 Depth=1
	v_and_b32_e32 v24, 7, v5
	v_lshrrev_b32_e32 v0, 3, v3
	s_mov_b32 s21, exec_lo
	v_cmpx_gt_u32_e32 8, v3
	s_cbranch_execz .LBB208_831
; %bb.830:                              ;   in Loop: Header=BB208_15 Depth=1
	v_ffbh_u32_e32 v0, v24
	v_mov_b32_e32 v6, 0xff
	v_min_u32_e32 v0, 32, v0
	v_subrev_nc_u32_e32 v1, 28, v0
	v_sub_nc_u32_e32 v0, 29, v0
	v_lshlrev_b64 v[10:11], v1, v[24:25]
	v_and_b32_e32 v24, 7, v10
.LBB208_831:                            ;   in Loop: Header=BB208_15 Depth=1
	s_or_b32 exec_lo, exec_lo, s21
	v_lshlrev_b32_e32 v1, 16, v2
	v_lshlrev_b32_e32 v3, 20, v24
	v_lshl_add_u32 v0, v0, 23, 0x3c000000
	v_and_b32_e32 v1, 0x80000000, v1
	v_or3_b32 v1, v3, v1, v0
	v_mov_b32_e32 v0, v25
.LBB208_832:                            ;   in Loop: Header=BB208_15 Depth=1
	s_or_b32 exec_lo, exec_lo, s20
.LBB208_833:                            ;   in Loop: Header=BB208_15 Depth=1
	s_or_b32 exec_lo, exec_lo, s19
.LBB208_834:                            ;   in Loop: Header=BB208_15 Depth=1
	s_or_b32 exec_lo, exec_lo, s18
	v_mov_b32_e32 v76, 0
	v_mov_b32_e32 v104, 0
	v_and_b32_sdwa v3, v2, v6 dst_sel:DWORD dst_unused:UNUSED_PAD src0_sel:WORD_1 src1_sel:DWORD
	v_mov_b32_e32 v77, 0
	v_mov_b32_e32 v105, 0
	s_mov_b32 s18, exec_lo
	v_cmpx_ne_u16_e32 0, v3
	s_cbranch_execz .LBB208_842
; %bb.835:                              ;   in Loop: Header=BB208_15 Depth=1
	v_bfrev_b32_e32 v104, 1
	v_mov_b32_e32 v105, 0
	s_mov_b32 s19, exec_lo
	v_cmpx_ne_u16_e32 0x80, v3
	s_cbranch_execz .LBB208_841
; %bb.836:                              ;   in Loop: Header=BB208_15 Depth=1
	v_mov_b32_e32 v104, 0x7f800001
	v_bfe_u32 v5, v2, 16, 7
	v_mov_b32_e32 v105, 0
	s_mov_b32 s20, exec_lo
	v_cmpx_ne_u32_e32 0x7f, v5
	s_cbranch_execz .LBB208_840
; %bb.837:                              ;   in Loop: Header=BB208_15 Depth=1
	v_mov_b32_e32 v3, 7
	s_mov_b32 s21, exec_lo
	v_and_b32_sdwa v24, v2, v3 dst_sel:DWORD dst_unused:UNUSED_PAD src0_sel:WORD_1 src1_sel:DWORD
	v_lshrrev_b32_e32 v3, 3, v5
	v_cmpx_gt_u32_e32 8, v5
	s_cbranch_execz .LBB208_839
; %bb.838:                              ;   in Loop: Header=BB208_15 Depth=1
	v_ffbh_u32_e32 v3, v24
	v_mov_b32_e32 v6, 0xff
	v_min_u32_e32 v3, 32, v3
	v_subrev_nc_u32_e32 v5, 28, v3
	v_sub_nc_u32_e32 v3, 29, v3
	v_lshlrev_b64 v[10:11], v5, v[24:25]
	v_and_b32_e32 v24, 7, v10
.LBB208_839:                            ;   in Loop: Header=BB208_15 Depth=1
	s_or_b32 exec_lo, exec_lo, s21
	v_mov_b32_e32 v4, 24
	v_lshlrev_b32_e32 v10, 20, v24
	v_lshl_add_u32 v3, v3, 23, 0x3c000000
	v_lshlrev_b32_sdwa v5, v4, v2 dst_sel:DWORD dst_unused:UNUSED_PAD src0_sel:DWORD src1_sel:WORD_1
	v_and_b32_e32 v5, 0x80000000, v5
	v_or3_b32 v24, v10, v5, v3
	v_mov_b32_e32 v105, v25
	v_mov_b32_e32 v104, v24
.LBB208_840:                            ;   in Loop: Header=BB208_15 Depth=1
	s_or_b32 exec_lo, exec_lo, s20
.LBB208_841:                            ;   in Loop: Header=BB208_15 Depth=1
	s_or_b32 exec_lo, exec_lo, s19
.LBB208_842:                            ;   in Loop: Header=BB208_15 Depth=1
	s_or_b32 exec_lo, exec_lo, s18
	s_mov_b32 s18, exec_lo
	v_cmpx_lt_u32_e32 0xffffff, v2
	s_cbranch_execz .LBB208_850
; %bb.843:                              ;   in Loop: Header=BB208_15 Depth=1
	v_mov_b32_e32 v110, v25
	v_mov_b32_e32 v3, 0x80
	;; [unrolled: 1-line block ×3, first 2 shown]
	v_cmp_ne_u32_sdwa s5, v2, v3 src0_sel:BYTE_3 src1_sel:DWORD
	v_mov_b32_e32 v77, v111
	s_and_saveexec_b32 s19, s5
	s_cbranch_execz .LBB208_849
; %bb.844:                              ;   in Loop: Header=BB208_15 Depth=1
	v_mov_b32_e32 v106, v25
	v_bfe_u32 v5, v2, 24, 7
	s_mov_b32 s20, exec_lo
	v_mov_b32_e32 v76, v106
	v_mov_b32_e32 v77, v107
	v_cmpx_ne_u32_e32 0x7f, v5
	s_cbranch_execz .LBB208_848
; %bb.845:                              ;   in Loop: Header=BB208_15 Depth=1
	v_mov_b32_e32 v3, 7
	s_mov_b32 s21, exec_lo
	v_and_b32_sdwa v24, v2, v3 dst_sel:DWORD dst_unused:UNUSED_PAD src0_sel:BYTE_3 src1_sel:DWORD
	v_lshrrev_b32_e32 v3, 3, v5
	v_cmpx_gt_u32_e32 8, v5
	s_cbranch_execz .LBB208_847
; %bb.846:                              ;   in Loop: Header=BB208_15 Depth=1
	v_ffbh_u32_e32 v3, v24
	v_mov_b32_e32 v6, 0xff
	v_min_u32_e32 v3, 32, v3
	v_subrev_nc_u32_e32 v5, 28, v3
	v_sub_nc_u32_e32 v3, 29, v3
	v_lshlrev_b64 v[10:11], v5, v[24:25]
	v_and_b32_e32 v24, 7, v10
.LBB208_847:                            ;   in Loop: Header=BB208_15 Depth=1
	s_or_b32 exec_lo, exec_lo, s21
	v_mov_b32_e32 v4, 24
	v_lshlrev_b32_e32 v5, 20, v24
	v_lshl_add_u32 v3, v3, 23, 0x3c000000
	v_mov_b32_e32 v76, v25
	v_lshlrev_b32_sdwa v2, v4, v2 dst_sel:DWORD dst_unused:UNUSED_PAD src0_sel:DWORD src1_sel:BYTE_3
	v_and_b32_e32 v2, 0x80000000, v2
	v_or3_b32 v77, v5, v2, v3
.LBB208_848:                            ;   in Loop: Header=BB208_15 Depth=1
	s_or_b32 exec_lo, exec_lo, s20
.LBB208_849:                            ;   in Loop: Header=BB208_15 Depth=1
	s_or_b32 exec_lo, exec_lo, s19
.LBB208_850:                            ;   in Loop: Header=BB208_15 Depth=1
	s_or_b32 exec_lo, exec_lo, s18
	flat_load_dword v2, v[33:34] offset:1032
	v_mov_b32_e32 v94, 0
	v_mov_b32_e32 v90, 0
	;; [unrolled: 1-line block ×4, first 2 shown]
	s_waitcnt vmcnt(0) lgkmcnt(0)
	v_cmp_ne_u16_sdwa s5, v2, v25 src0_sel:BYTE_0 src1_sel:DWORD
	s_and_saveexec_b32 s18, s5
	s_cbranch_execz .LBB208_858
; %bb.851:                              ;   in Loop: Header=BB208_15 Depth=1
	v_mov_b32_e32 v3, 0x80
	v_bfrev_b32_e32 v90, 1
	v_mov_b32_e32 v91, 0
	v_cmp_ne_u16_sdwa s5, v2, v3 src0_sel:BYTE_0 src1_sel:DWORD
	s_and_saveexec_b32 s19, s5
	s_cbranch_execz .LBB208_857
; %bb.852:                              ;   in Loop: Header=BB208_15 Depth=1
	v_mov_b32_e32 v90, 0x7f800001
	v_and_b32_e32 v5, 0x7f, v2
	v_mov_b32_e32 v91, 0
	s_mov_b32 s20, exec_lo
	v_cmpx_ne_u32_e32 0x7f, v5
	s_cbranch_execz .LBB208_856
; %bb.853:                              ;   in Loop: Header=BB208_15 Depth=1
	v_and_b32_e32 v24, 7, v2
	v_lshrrev_b32_e32 v3, 3, v5
	s_mov_b32 s21, exec_lo
	v_cmpx_gt_u32_e32 8, v5
	s_cbranch_execz .LBB208_855
; %bb.854:                              ;   in Loop: Header=BB208_15 Depth=1
	v_ffbh_u32_e32 v3, v24
	v_mov_b32_e32 v6, 0xff
	v_min_u32_e32 v3, 32, v3
	v_subrev_nc_u32_e32 v5, 28, v3
	v_sub_nc_u32_e32 v3, 29, v3
	v_lshlrev_b64 v[10:11], v5, v[24:25]
	v_and_b32_e32 v24, 7, v10
.LBB208_855:                            ;   in Loop: Header=BB208_15 Depth=1
	s_or_b32 exec_lo, exec_lo, s21
	v_lshlrev_b32_e32 v5, 24, v2
	v_lshlrev_b32_e32 v10, 20, v24
	v_lshl_add_u32 v3, v3, 23, 0x3c000000
	v_and_b32_e32 v5, 0x80000000, v5
	v_or3_b32 v24, v10, v5, v3
	v_mov_b32_e32 v91, v25
	v_mov_b32_e32 v90, v24
.LBB208_856:                            ;   in Loop: Header=BB208_15 Depth=1
	s_or_b32 exec_lo, exec_lo, s20
.LBB208_857:                            ;   in Loop: Header=BB208_15 Depth=1
	s_or_b32 exec_lo, exec_lo, s19
.LBB208_858:                            ;   in Loop: Header=BB208_15 Depth=1
	s_or_b32 exec_lo, exec_lo, s18
	v_cmp_ne_u16_sdwa s5, v2, v25 src0_sel:BYTE_1 src1_sel:DWORD
	s_and_saveexec_b32 s18, s5
	s_cbranch_execz .LBB208_866
; %bb.859:                              ;   in Loop: Header=BB208_15 Depth=1
	v_mov_b32_e32 v110, v25
	v_mov_b32_e32 v3, 0x80
	;; [unrolled: 1-line block ×3, first 2 shown]
	v_cmp_ne_u16_sdwa s5, v2, v3 src0_sel:BYTE_1 src1_sel:DWORD
	v_mov_b32_e32 v95, v111
	s_and_saveexec_b32 s19, s5
	s_cbranch_execz .LBB208_865
; %bb.860:                              ;   in Loop: Header=BB208_15 Depth=1
	v_mov_b32_e32 v3, 0xffff
	v_mov_b32_e32 v106, v25
	s_mov_b32 s20, exec_lo
	v_and_b32_sdwa v3, v3, v2 dst_sel:DWORD dst_unused:UNUSED_PAD src0_sel:DWORD src1_sel:BYTE_1
	v_mov_b32_e32 v94, v106
	v_mov_b32_e32 v95, v107
	v_and_b32_e32 v5, 0x7f, v3
	v_cmpx_ne_u32_e32 0x7f, v5
	s_cbranch_execz .LBB208_864
; %bb.861:                              ;   in Loop: Header=BB208_15 Depth=1
	v_and_b32_e32 v24, 7, v3
	v_lshrrev_b32_e32 v3, 3, v5
	s_mov_b32 s21, exec_lo
	v_cmpx_gt_u32_e32 8, v5
	s_cbranch_execz .LBB208_863
; %bb.862:                              ;   in Loop: Header=BB208_15 Depth=1
	v_ffbh_u32_e32 v3, v24
	v_mov_b32_e32 v6, 0xff
	v_min_u32_e32 v3, 32, v3
	v_subrev_nc_u32_e32 v5, 28, v3
	v_sub_nc_u32_e32 v3, 29, v3
	v_lshlrev_b64 v[10:11], v5, v[24:25]
	v_and_b32_e32 v24, 7, v10
.LBB208_863:                            ;   in Loop: Header=BB208_15 Depth=1
	s_or_b32 exec_lo, exec_lo, s21
	v_lshlrev_b32_e32 v5, 16, v2
	v_lshlrev_b32_e32 v10, 20, v24
	v_lshl_add_u32 v3, v3, 23, 0x3c000000
	v_mov_b32_e32 v94, v25
	v_and_b32_e32 v5, 0x80000000, v5
	v_or3_b32 v95, v10, v5, v3
.LBB208_864:                            ;   in Loop: Header=BB208_15 Depth=1
	s_or_b32 exec_lo, exec_lo, s20
.LBB208_865:                            ;   in Loop: Header=BB208_15 Depth=1
	s_or_b32 exec_lo, exec_lo, s19
.LBB208_866:                            ;   in Loop: Header=BB208_15 Depth=1
	s_or_b32 exec_lo, exec_lo, s18
	v_mov_b32_e32 v10, 0
	v_mov_b32_e32 v122, 0
	v_mov_b32_e32 v9, 0xff
	v_and_b32_sdwa v3, v2, v6 dst_sel:DWORD dst_unused:UNUSED_PAD src0_sel:WORD_1 src1_sel:DWORD
	v_mov_b32_e32 v11, 0
	v_mov_b32_e32 v123, 0
	s_mov_b32 s18, exec_lo
	v_cmpx_ne_u16_e32 0, v3
	s_cbranch_execz .LBB208_874
; %bb.867:                              ;   in Loop: Header=BB208_15 Depth=1
	v_bfrev_b32_e32 v122, 1
	v_mov_b32_e32 v123, 0
	s_mov_b32 s19, exec_lo
	v_cmpx_ne_u16_e32 0x80, v3
	s_cbranch_execz .LBB208_873
; %bb.868:                              ;   in Loop: Header=BB208_15 Depth=1
	v_mov_b32_e32 v122, 0x7f800001
	v_bfe_u32 v5, v2, 16, 7
	v_mov_b32_e32 v123, 0
	s_mov_b32 s20, exec_lo
	v_cmpx_ne_u32_e32 0x7f, v5
	s_cbranch_execz .LBB208_872
; %bb.869:                              ;   in Loop: Header=BB208_15 Depth=1
	v_mov_b32_e32 v3, 7
	s_mov_b32 s21, exec_lo
	v_and_b32_sdwa v24, v2, v3 dst_sel:DWORD dst_unused:UNUSED_PAD src0_sel:WORD_1 src1_sel:DWORD
	v_lshrrev_b32_e32 v3, 3, v5
	v_cmpx_gt_u32_e32 8, v5
; %bb.870:                              ;   in Loop: Header=BB208_15 Depth=1
	v_ffbh_u32_e32 v3, v24
	v_min_u32_e32 v3, 32, v3
	v_subrev_nc_u32_e32 v5, 28, v3
	v_sub_nc_u32_e32 v3, 29, v3
	v_lshlrev_b64 v[92:93], v5, v[24:25]
	v_and_b32_e32 v24, 7, v92
; %bb.871:                              ;   in Loop: Header=BB208_15 Depth=1
	s_or_b32 exec_lo, exec_lo, s21
	v_mov_b32_e32 v4, 24
	v_lshlrev_b32_e32 v24, 20, v24
	v_lshl_add_u32 v3, v3, 23, 0x3c000000
	v_lshlrev_b32_sdwa v5, v4, v2 dst_sel:DWORD dst_unused:UNUSED_PAD src0_sel:DWORD src1_sel:WORD_1
	v_and_b32_e32 v5, 0x80000000, v5
	v_or3_b32 v24, v24, v5, v3
	v_mov_b32_e32 v123, v25
	v_mov_b32_e32 v122, v24
.LBB208_872:                            ;   in Loop: Header=BB208_15 Depth=1
	s_or_b32 exec_lo, exec_lo, s20
.LBB208_873:                            ;   in Loop: Header=BB208_15 Depth=1
	s_or_b32 exec_lo, exec_lo, s19
.LBB208_874:                            ;   in Loop: Header=BB208_15 Depth=1
	s_or_b32 exec_lo, exec_lo, s18
	s_mov_b32 s18, exec_lo
	v_cmpx_lt_u32_e32 0xffffff, v2
	s_cbranch_execz .LBB208_882
; %bb.875:                              ;   in Loop: Header=BB208_15 Depth=1
	v_mov_b32_e32 v110, v25
	v_mov_b32_e32 v3, 0x80
	;; [unrolled: 1-line block ×3, first 2 shown]
	v_cmp_ne_u32_sdwa s5, v2, v3 src0_sel:BYTE_3 src1_sel:DWORD
	v_mov_b32_e32 v11, v111
	s_and_saveexec_b32 s19, s5
	s_cbranch_execz .LBB208_881
; %bb.876:                              ;   in Loop: Header=BB208_15 Depth=1
	v_mov_b32_e32 v106, v25
	v_bfe_u32 v5, v2, 24, 7
	s_mov_b32 s20, exec_lo
	v_mov_b32_e32 v10, v106
	v_mov_b32_e32 v11, v107
	v_cmpx_ne_u32_e32 0x7f, v5
	s_cbranch_execz .LBB208_880
; %bb.877:                              ;   in Loop: Header=BB208_15 Depth=1
	v_mov_b32_e32 v3, 7
	s_mov_b32 s21, exec_lo
	v_and_b32_sdwa v24, v2, v3 dst_sel:DWORD dst_unused:UNUSED_PAD src0_sel:BYTE_3 src1_sel:DWORD
	v_lshrrev_b32_e32 v3, 3, v5
	v_cmpx_gt_u32_e32 8, v5
; %bb.878:                              ;   in Loop: Header=BB208_15 Depth=1
	v_ffbh_u32_e32 v3, v24
	v_min_u32_e32 v3, 32, v3
	v_subrev_nc_u32_e32 v5, 28, v3
	v_sub_nc_u32_e32 v3, 29, v3
	v_lshlrev_b64 v[10:11], v5, v[24:25]
	v_and_b32_e32 v24, 7, v10
; %bb.879:                              ;   in Loop: Header=BB208_15 Depth=1
	s_or_b32 exec_lo, exec_lo, s21
	v_mov_b32_e32 v4, 24
	v_lshlrev_b32_e32 v5, 20, v24
	v_lshl_add_u32 v3, v3, 23, 0x3c000000
	v_mov_b32_e32 v10, v25
	v_lshlrev_b32_sdwa v2, v4, v2 dst_sel:DWORD dst_unused:UNUSED_PAD src0_sel:DWORD src1_sel:BYTE_3
	v_and_b32_e32 v2, 0x80000000, v2
	v_or3_b32 v11, v5, v2, v3
.LBB208_880:                            ;   in Loop: Header=BB208_15 Depth=1
	s_or_b32 exec_lo, exec_lo, s20
.LBB208_881:                            ;   in Loop: Header=BB208_15 Depth=1
	s_or_b32 exec_lo, exec_lo, s19
.LBB208_882:                            ;   in Loop: Header=BB208_15 Depth=1
	s_or_b32 exec_lo, exec_lo, s18
	flat_load_dword v5, v[33:34] offset:1036
	v_mov_b32_e32 v92, 0
	v_mov_b32_e32 v33, 0
	;; [unrolled: 1-line block ×4, first 2 shown]
	s_waitcnt vmcnt(0) lgkmcnt(0)
	v_cmp_ne_u16_sdwa s5, v5, v25 src0_sel:BYTE_0 src1_sel:DWORD
	s_and_saveexec_b32 s18, s5
	s_cbranch_execz .LBB208_890
; %bb.883:                              ;   in Loop: Header=BB208_15 Depth=1
	v_mov_b32_e32 v2, 0x80
	v_bfrev_b32_e32 v33, 1
	v_mov_b32_e32 v34, 0
	v_cmp_ne_u16_sdwa s5, v5, v2 src0_sel:BYTE_0 src1_sel:DWORD
	s_and_saveexec_b32 s19, s5
	s_cbranch_execz .LBB208_889
; %bb.884:                              ;   in Loop: Header=BB208_15 Depth=1
	v_mov_b32_e32 v33, 0x7f800001
	v_and_b32_e32 v3, 0x7f, v5
	v_mov_b32_e32 v34, 0
	s_mov_b32 s20, exec_lo
	v_cmpx_ne_u32_e32 0x7f, v3
	s_cbranch_execz .LBB208_888
; %bb.885:                              ;   in Loop: Header=BB208_15 Depth=1
	v_and_b32_e32 v24, 7, v5
	v_lshrrev_b32_e32 v2, 3, v3
	s_mov_b32 s21, exec_lo
	v_cmpx_gt_u32_e32 8, v3
; %bb.886:                              ;   in Loop: Header=BB208_15 Depth=1
	v_ffbh_u32_e32 v2, v24
	v_min_u32_e32 v2, 32, v2
	v_subrev_nc_u32_e32 v3, 28, v2
	v_sub_nc_u32_e32 v2, 29, v2
	v_lshlrev_b64 v[33:34], v3, v[24:25]
	v_and_b32_e32 v24, 7, v33
; %bb.887:                              ;   in Loop: Header=BB208_15 Depth=1
	s_or_b32 exec_lo, exec_lo, s21
	v_lshlrev_b32_e32 v3, 24, v5
	v_lshlrev_b32_e32 v24, 20, v24
	v_lshl_add_u32 v2, v2, 23, 0x3c000000
	v_and_b32_e32 v3, 0x80000000, v3
	v_or3_b32 v24, v24, v3, v2
	v_mov_b32_e32 v34, v25
	v_mov_b32_e32 v33, v24
.LBB208_888:                            ;   in Loop: Header=BB208_15 Depth=1
	s_or_b32 exec_lo, exec_lo, s20
.LBB208_889:                            ;   in Loop: Header=BB208_15 Depth=1
	s_or_b32 exec_lo, exec_lo, s19
.LBB208_890:                            ;   in Loop: Header=BB208_15 Depth=1
	s_or_b32 exec_lo, exec_lo, s18
	v_cmp_ne_u16_sdwa s5, v5, v25 src0_sel:BYTE_1 src1_sel:DWORD
	s_and_saveexec_b32 s18, s5
	s_cbranch_execz .LBB208_898
; %bb.891:                              ;   in Loop: Header=BB208_15 Depth=1
	v_mov_b32_e32 v110, v25
	v_mov_b32_e32 v2, 0x80
	;; [unrolled: 1-line block ×3, first 2 shown]
	v_cmp_ne_u16_sdwa s5, v5, v2 src0_sel:BYTE_1 src1_sel:DWORD
	v_mov_b32_e32 v93, v111
	s_and_saveexec_b32 s19, s5
	s_cbranch_execz .LBB208_897
; %bb.892:                              ;   in Loop: Header=BB208_15 Depth=1
	v_mov_b32_e32 v2, 0xffff
	v_mov_b32_e32 v106, v25
	s_mov_b32 s20, exec_lo
	v_and_b32_sdwa v2, v2, v5 dst_sel:DWORD dst_unused:UNUSED_PAD src0_sel:DWORD src1_sel:BYTE_1
	v_mov_b32_e32 v92, v106
	v_mov_b32_e32 v93, v107
	v_and_b32_e32 v3, 0x7f, v2
	v_cmpx_ne_u32_e32 0x7f, v3
	s_cbranch_execz .LBB208_896
; %bb.893:                              ;   in Loop: Header=BB208_15 Depth=1
	v_and_b32_e32 v24, 7, v2
	v_lshrrev_b32_e32 v2, 3, v3
	s_mov_b32 s21, exec_lo
	v_cmpx_gt_u32_e32 8, v3
; %bb.894:                              ;   in Loop: Header=BB208_15 Depth=1
	v_ffbh_u32_e32 v2, v24
	v_min_u32_e32 v2, 32, v2
	v_subrev_nc_u32_e32 v3, 28, v2
	v_sub_nc_u32_e32 v2, 29, v2
	v_lshlrev_b64 v[92:93], v3, v[24:25]
	v_and_b32_e32 v24, 7, v92
; %bb.895:                              ;   in Loop: Header=BB208_15 Depth=1
	s_or_b32 exec_lo, exec_lo, s21
	v_lshlrev_b32_e32 v3, 16, v5
	v_lshlrev_b32_e32 v24, 20, v24
	v_lshl_add_u32 v2, v2, 23, 0x3c000000
	v_mov_b32_e32 v92, v25
	v_and_b32_e32 v3, 0x80000000, v3
	v_or3_b32 v93, v24, v3, v2
.LBB208_896:                            ;   in Loop: Header=BB208_15 Depth=1
	s_or_b32 exec_lo, exec_lo, s20
.LBB208_897:                            ;   in Loop: Header=BB208_15 Depth=1
	s_or_b32 exec_lo, exec_lo, s19
.LBB208_898:                            ;   in Loop: Header=BB208_15 Depth=1
	s_or_b32 exec_lo, exec_lo, s18
	v_mov_b32_e32 v120, 0
	v_mov_b32_e32 v2, 0
	v_and_b32_sdwa v24, v5, v9 dst_sel:DWORD dst_unused:UNUSED_PAD src0_sel:WORD_1 src1_sel:DWORD
	v_mov_b32_e32 v121, 0
	v_mov_b32_e32 v3, 0
	s_mov_b32 s18, exec_lo
	v_cmpx_ne_u16_e32 0, v24
	s_cbranch_execz .LBB208_906
; %bb.899:                              ;   in Loop: Header=BB208_15 Depth=1
	v_bfrev_b32_e32 v2, 1
	v_mov_b32_e32 v3, 0
	s_mov_b32 s19, exec_lo
	v_cmpx_ne_u16_e32 0x80, v24
	s_cbranch_execz .LBB208_905
; %bb.900:                              ;   in Loop: Header=BB208_15 Depth=1
	v_mov_b32_e32 v2, 0x7f800001
	v_bfe_u32 v106, v5, 16, 7
	v_mov_b32_e32 v3, 0
	s_mov_b32 s20, exec_lo
	v_cmpx_ne_u32_e32 0x7f, v106
	s_cbranch_execz .LBB208_904
; %bb.901:                              ;   in Loop: Header=BB208_15 Depth=1
	v_mov_b32_e32 v2, 7
	s_mov_b32 s21, exec_lo
	v_and_b32_sdwa v24, v5, v2 dst_sel:DWORD dst_unused:UNUSED_PAD src0_sel:WORD_1 src1_sel:DWORD
	v_lshrrev_b32_e32 v2, 3, v106
	v_cmpx_gt_u32_e32 8, v106
	s_cbranch_execz .LBB208_903
; %bb.902:                              ;   in Loop: Header=BB208_15 Depth=1
	v_ffbh_u32_e32 v2, v24
	v_mov_b32_e32 v6, v126
	v_mov_b32_e32 v7, v127
	v_min_u32_e32 v2, 32, v2
	v_subrev_nc_u32_e32 v3, 28, v2
	v_sub_nc_u32_e32 v2, 29, v2
	v_lshlrev_b64 v[126:127], v3, v[24:25]
	v_and_b32_e32 v24, 7, v126
	v_mov_b32_e32 v127, v7
	v_mov_b32_e32 v126, v6
.LBB208_903:                            ;   in Loop: Header=BB208_15 Depth=1
	s_or_b32 exec_lo, exec_lo, s21
	v_mov_b32_e32 v3, 24
	v_lshlrev_b32_e32 v24, 20, v24
	v_lshl_add_u32 v2, v2, 23, 0x3c000000
	v_lshlrev_b32_sdwa v3, v3, v5 dst_sel:DWORD dst_unused:UNUSED_PAD src0_sel:DWORD src1_sel:WORD_1
	v_and_b32_e32 v3, 0x80000000, v3
	v_or3_b32 v24, v24, v3, v2
	v_mov_b32_e32 v2, v24
	v_mov_b32_e32 v3, v25
.LBB208_904:                            ;   in Loop: Header=BB208_15 Depth=1
	s_or_b32 exec_lo, exec_lo, s20
.LBB208_905:                            ;   in Loop: Header=BB208_15 Depth=1
	s_or_b32 exec_lo, exec_lo, s19
.LBB208_906:                            ;   in Loop: Header=BB208_15 Depth=1
	s_or_b32 exec_lo, exec_lo, s18
	v_mov_b32_e32 v6, v126
	v_mov_b32_e32 v7, v127
	s_mov_b32 s18, exec_lo
	v_cmpx_lt_u32_e32 0xffffff, v5
	s_cbranch_execz .LBB208_13
; %bb.907:                              ;   in Loop: Header=BB208_15 Depth=1
	v_mov_b32_e32 v110, v25
	v_mov_b32_e32 v4, 0x80
	;; [unrolled: 1-line block ×4, first 2 shown]
	v_cmp_ne_u32_sdwa s5, v5, v4 src0_sel:BYTE_3 src1_sel:DWORD
	s_and_saveexec_b32 s19, s5
	s_cbranch_execz .LBB208_12
; %bb.908:                              ;   in Loop: Header=BB208_15 Depth=1
	v_mov_b32_e32 v106, v25
	v_mov_b32_e32 v121, v107
	v_bfe_u32 v110, v5, 24, 7
	s_mov_b32 s20, exec_lo
	v_mov_b32_e32 v120, v106
	v_cmpx_ne_u32_e32 0x7f, v110
	s_cbranch_execz .LBB208_11
; %bb.909:                              ;   in Loop: Header=BB208_15 Depth=1
	v_mov_b32_e32 v4, 7
	v_lshrrev_b32_e32 v106, 3, v110
	s_mov_b32 s21, exec_lo
	v_and_b32_sdwa v24, v5, v4 dst_sel:DWORD dst_unused:UNUSED_PAD src0_sel:BYTE_3 src1_sel:DWORD
	v_cmpx_gt_u32_e32 8, v110
	s_cbranch_execz .LBB208_10
; %bb.910:                              ;   in Loop: Header=BB208_15 Depth=1
	v_ffbh_u32_e32 v106, v24
	v_min_u32_e32 v106, 32, v106
	v_subrev_nc_u32_e32 v110, 28, v106
	v_sub_nc_u32_e32 v106, 29, v106
	v_lshlrev_b64 v[120:121], v110, v[24:25]
	v_and_b32_e32 v24, 7, v120
	s_branch .LBB208_10
.LBB208_911:
	s_or_b32 exec_lo, exec_lo, s17
	s_clause 0x7
	buffer_load_dword v26, off, s[0:3], s32 offset:1224
	buffer_load_dword v30, off, s[0:3], s32 offset:1228
	;; [unrolled: 1-line block ×8, first 2 shown]
.LBB208_912:
	s_or_b32 exec_lo, exec_lo, s13
	v_mbcnt_lo_u32_b32 v0, -1, 0
	v_max_f32_e32 v4, v14, v14
	s_waitcnt lgkmcnt(0)
	s_lshr_b32 s13, s7, 16
	v_xor_b32_e32 v1, 16, v0
	v_xor_b32_e32 v3, 8, v0
	v_cmp_gt_i32_e32 vcc_lo, 32, v1
	v_cndmask_b32_e32 v1, v0, v1, vcc_lo
	v_cmp_gt_i32_e32 vcc_lo, 32, v3
	v_lshlrev_b32_e32 v1, 2, v1
	v_cndmask_b32_e32 v3, v0, v3, vcc_lo
	ds_bpermute_b32 v2, v1, v14
	s_waitcnt lgkmcnt(0)
	v_max_f32_e32 v5, v2, v2
	v_lshlrev_b32_e32 v2, 2, v3
	v_max_f32_e32 v3, v4, v5
	v_xor_b32_e32 v5, 4, v0
	ds_bpermute_b32 v4, v2, v3
	v_cmp_gt_i32_e32 vcc_lo, 32, v5
	v_cndmask_b32_e32 v5, v0, v5, vcc_lo
	v_lshlrev_b32_e32 v25, 2, v5
	v_xor_b32_e32 v5, 2, v0
	v_cmp_gt_i32_e32 vcc_lo, 32, v5
	s_waitcnt lgkmcnt(0)
	v_max_f32_e32 v4, v4, v4
	v_cndmask_b32_e32 v5, v0, v5, vcc_lo
	v_max_f32_e32 v3, v3, v4
	v_lshlrev_b32_e32 v24, 2, v5
	v_xor_b32_e32 v5, 1, v0
	ds_bpermute_b32 v4, v25, v3
	v_cmp_gt_i32_e32 vcc_lo, 32, v5
	v_cndmask_b32_e32 v5, v0, v5, vcc_lo
	v_lshlrev_b32_e32 v23, 2, v5
	s_waitcnt lgkmcnt(0)
	v_max_f32_e32 v4, v4, v4
	v_max_f32_e32 v3, v3, v4
	ds_bpermute_b32 v4, v24, v3
	s_waitcnt lgkmcnt(0)
	v_max_f32_e32 v4, v4, v4
	v_max_f32_e32 v0, v3, v4
	buffer_load_dword v3, off, s[0:3], s32 offset:696 ; 4-byte Folded Reload
	ds_bpermute_b32 v4, v23, v0
	s_waitcnt vmcnt(0)
	v_cmp_eq_u32_e32 vcc_lo, 0, v3
	buffer_load_dword v3, off, s[0:3], s32 offset:1192 ; 4-byte Folded Reload
	s_waitcnt vmcnt(0)
	v_lshlrev_b32_e32 v3, 2, v3
	s_and_saveexec_b32 s5, vcc_lo
	s_cbranch_execz .LBB208_914
; %bb.913:
	s_waitcnt lgkmcnt(0)
	v_max_f32_e32 v4, v4, v4
	v_max_f32_e32 v0, v0, v0
	;; [unrolled: 1-line block ×3, first 2 shown]
	ds_write_b32 v3, v0 offset:448
.LBB208_914:
	s_or_b32 exec_lo, exec_lo, s5
	buffer_load_dword v0, off, s[0:3], s32 offset:696 ; 4-byte Folded Reload
	s_waitcnt vmcnt(0) lgkmcnt(0)
	s_waitcnt_vscnt null, 0x0
	s_barrier
	buffer_gl0_inv
	v_cmp_gt_u32_e64 s5, 4, v0
	v_mov_b32_e32 v0, 0xff7fffff
	s_and_saveexec_b32 s6, s5
; %bb.915:
	ds_read_b32 v0, v13 offset:448
; %bb.916:
	s_or_b32 exec_lo, exec_lo, s6
	s_waitcnt lgkmcnt(0)
	ds_bpermute_b32 v4, v24, v0
	v_max_f32_e32 v0, v0, v0
	buffer_load_dword v6, off, s[0:3], s32 offset:700 ; 4-byte Folded Reload
	s_waitcnt lgkmcnt(0)
	v_max_f32_e32 v4, v4, v4
	v_max_f32_e32 v0, v0, v4
	ds_bpermute_b32 v4, v23, v0
	s_waitcnt lgkmcnt(0)
	v_max_f32_e32 v4, v4, v4
	v_max_f32_e32 v0, v0, v4
	v_mov_b32_e32 v4, 0
	ds_bpermute_b32 v5, v4, v0
	buffer_load_dword v0, off, s[0:3], s32 offset:192 ; 4-byte Folded Reload
	s_waitcnt vmcnt(0)
	v_lshlrev_b32_e32 v0, 5, v0
	v_min_i32_e32 v0, v0, v47
	v_cmp_lt_i32_e64 s6, v6, v0
	s_and_saveexec_b32 s15, s6
	s_cbranch_execz .LBB208_920
; %bb.917:
	buffer_load_dword v7, off, s[0:3], s32 offset:700 ; 4-byte Folded Reload
	s_load_dword s7, s[8:9], 0x0
	v_mov_b32_e32 v4, 0
	s_mov_b32 s17, 0
	s_waitcnt vmcnt(0) lgkmcnt(0)
	v_lshl_add_u32 v6, v7, 2, s7
	.p2align	6
.LBB208_918:                            ; =>This Inner Loop Header: Depth=1
	ds_read_b32 v8, v6
	v_add_nc_u32_e32 v7, 0x80, v7
	v_cmp_ge_i32_e64 s7, v7, v0
	s_or_b32 s17, s7, s17
	s_waitcnt lgkmcnt(0)
	v_sub_f32_e32 v8, v8, v5
	v_mul_f32_e32 v8, 0x3fb8aa3b, v8
	v_exp_f32_e32 v8, v8
	ds_write_b32 v6, v8
	v_add_f32_e32 v4, v4, v8
	v_add_nc_u32_e32 v6, 0x200, v6
	s_andn2_b32 exec_lo, exec_lo, s17
	s_cbranch_execnz .LBB208_918
; %bb.919:
	s_or_b32 exec_lo, exec_lo, s17
.LBB208_920:
	s_or_b32 exec_lo, exec_lo, s15
	ds_bpermute_b32 v1, v1, v4
	s_waitcnt lgkmcnt(0)
	v_add_f32_e32 v1, v4, v1
	ds_bpermute_b32 v2, v2, v1
	s_waitcnt lgkmcnt(0)
	v_add_f32_e32 v1, v1, v2
	;; [unrolled: 3-line block ×5, first 2 shown]
	s_and_saveexec_b32 s7, vcc_lo
; %bb.921:
	ds_write_b32 v3, v1 offset:464
; %bb.922:
	s_or_b32 exec_lo, exec_lo, s7
	s_waitcnt lgkmcnt(0)
	s_barrier
	buffer_gl0_inv
	s_and_saveexec_b32 s7, s5
; %bb.923:
	ds_read_b32 v1, v13 offset:464
; %bb.924:
	s_or_b32 exec_lo, exec_lo, s7
	s_waitcnt lgkmcnt(0)
	ds_bpermute_b32 v2, v24, v1
	s_waitcnt lgkmcnt(0)
	v_add_f32_e32 v1, v1, v2
	ds_bpermute_b32 v2, v23, v1
	s_waitcnt lgkmcnt(0)
	v_add_f32_e32 v1, v1, v2
	v_mov_b32_e32 v2, 0
	ds_bpermute_b32 v1, v2, v1
	s_and_saveexec_b32 s5, s6
	s_cbranch_execz .LBB208_927
; %bb.925:
	s_waitcnt lgkmcnt(0)
	v_add_f32_e32 v2, 0x358637bd, v1
	s_load_dword s6, s[8:9], 0x0
	v_div_scale_f32 v1, null, v2, v2, 1.0
	v_div_scale_f32 v5, vcc_lo, 1.0, v2, 1.0
	v_rcp_f32_e32 v3, v1
	v_fma_f32 v4, -v1, v3, 1.0
	v_fmac_f32_e32 v3, v4, v3
	v_mul_f32_e32 v4, v5, v3
	v_fma_f32 v6, -v1, v4, v5
	v_fmac_f32_e32 v4, v6, v3
	v_fma_f32 v1, -v1, v4, v5
	v_div_fmas_f32 v3, v1, v3, v4
	buffer_load_dword v4, off, s[0:3], s32 offset:700 ; 4-byte Folded Reload
	v_div_fixup_f32 v2, v3, v2, 1.0
	s_waitcnt vmcnt(0) lgkmcnt(0)
	v_lshl_add_u32 v1, v4, 2, s6
	v_mov_b32_e32 v3, v4
	s_mov_b32 s6, 0
.LBB208_926:                            ; =>This Inner Loop Header: Depth=1
	ds_read_b32 v4, v1
	v_add_nc_u32_e32 v3, 0x80, v3
	v_cmp_ge_i32_e32 vcc_lo, v3, v0
	s_or_b32 s6, vcc_lo, s6
	s_waitcnt lgkmcnt(0)
	v_mul_f32_e32 v4, v2, v4
	ds_write_b32 v1, v4
	v_add_nc_u32_e32 v1, 0x200, v1
	s_andn2_b32 exec_lo, exec_lo, s6
	s_cbranch_execnz .LBB208_926
.LBB208_927:
	s_or_b32 exec_lo, exec_lo, s5
	buffer_load_dword v0, off, s[0:3], s32 offset:700 ; 4-byte Folded Reload
	v_mov_b32_e32 v22, 0
	v_mov_b32_e32 v29, 0
	;; [unrolled: 1-line block ×28, first 2 shown]
	s_waitcnt vmcnt(0) lgkmcnt(0)
	s_barrier
	buffer_gl0_inv
	v_and_b32_e32 v55, 7, v0
	s_and_saveexec_b32 s5, s4
	s_cbranch_execz .LBB208_1885
; %bb.928:
	s_clause 0x1
	buffer_load_dword v0, off, s[0:3], s32 offset:700
	buffer_load_dword v97, off, s[0:3], s32 offset:1192
	v_mov_b32_e32 v8, 0
	v_mov_b32_e32 v6, 0
	buffer_store_dword v25, off, s[0:3], s32 offset:592 ; 4-byte Folded Spill
	buffer_store_dword v55, off, s[0:3], s32 offset:584 ; 4-byte Folded Spill
	v_lshlrev_b32_e32 v4, 4, v55
	buffer_store_dword v8, off, s[0:3], s32 offset:368 ; 4-byte Folded Spill
	v_mov_b32_e32 v8, 0
	buffer_store_dword v6, off, s[0:3], s32 offset:344 ; 4-byte Folded Spill
	v_mov_b32_e32 v6, 0
	v_and_b32_e32 v5, 0x7c, v9
	v_add_co_u32 v2, vcc_lo, v32, v16
	buffer_store_dword v8, off, s[0:3], s32 offset:376 ; 4-byte Folded Spill
	v_mov_b32_e32 v8, 0
	buffer_store_dword v6, off, s[0:3], s32 offset:352 ; 4-byte Folded Spill
	v_mov_b32_e32 v6, 0
	v_add_co_ci_u32_e64 v3, null, v30, v12, vcc_lo
	buffer_store_dword v8, off, s[0:3], s32 offset:384 ; 4-byte Folded Spill
	v_mov_b32_e32 v8, 0
	buffer_store_dword v6, off, s[0:3], s32 offset:360 ; 4-byte Folded Spill
	v_max_i32_e32 v80, v26, v31
	v_mov_b32_e32 v7, 0
	v_mov_b32_e32 v81, 0x80
	buffer_store_dword v8, off, s[0:3], s32 offset:392 ; 4-byte Folded Spill
	v_bfrev_b32_e32 v9, 1
	v_cvt_f32_u32_e32 v1, v80
	v_sub_nc_u32_e32 v6, 0, v80
	v_mov_b32_e32 v12, 0x7f800001
	v_mov_b32_e32 v83, 0xff
	;; [unrolled: 1-line block ×3, first 2 shown]
	v_rcp_iflag_f32_e32 v1, v1
	v_mov_b32_e32 v18, 0
	v_mov_b32_e32 v19, 0
	;; [unrolled: 1-line block ×4, first 2 shown]
	s_mov_b32 s6, 0
	v_mul_f32_e32 v1, 0x4f7ffffe, v1
	v_cvt_u32_f32_e32 v1, v1
	v_mul_lo_u32 v6, v6, v1
	v_mul_hi_u32 v6, v1, v6
	s_waitcnt vmcnt(1)
	v_lshlrev_b32_e32 v0, 2, v0
	s_waitcnt vmcnt(0)
	v_lshl_or_b32 v87, v97, 7, v4
	v_and_b32_e32 v8, 28, v0
	v_and_b32_e32 v0, 0x7c, v0
	buffer_store_dword v8, off, s[0:3], s32 offset:568 ; 4-byte Folded Spill
	s_clause 0x1
	buffer_load_dword v10, off, s[0:3], s32 offset:1204
	buffer_load_dword v11, off, s[0:3], s32 offset:1208
	s_waitcnt vmcnt(1)
	v_add_co_u32 v4, vcc_lo, v5, v10
	s_waitcnt vmcnt(0)
	v_add_co_ci_u32_e64 v5, null, 0, v11, vcc_lo
	v_add_co_u32 v2, vcc_lo, v2, v0
	v_add_co_ci_u32_e64 v3, null, 0, v3, vcc_lo
	buffer_store_dword v2, off, s[0:3], s32 offset:576 ; 4-byte Folded Spill
	buffer_store_dword v3, off, s[0:3], s32 offset:580 ; 4-byte Folded Spill
	s_clause 0x1
	buffer_load_dword v0, off, s[0:3], s32 offset:1200
	buffer_load_dword v2, off, s[0:3], s32 offset:1220
	s_waitcnt vmcnt(1)
	v_add_co_u32 v15, vcc_lo, v0, v4
	buffer_load_dword v0, off, s[0:3], s32 offset:1196 ; 4-byte Folded Reload
	s_waitcnt vmcnt(0)
	v_add_co_ci_u32_e64 v16, null, v0, v5, vcc_lo
	v_add_nc_u32_e32 v0, v1, v6
	v_mov_b32_e32 v5, 0
	buffer_store_dword v0, off, s[0:3], s32 offset:520 ; 4-byte Folded Spill
	v_mov_b32_e32 v0, 0
	buffer_store_dword v0, off, s[0:3], s32 offset:400 ; 4-byte Folded Spill
	;; [unrolled: 2-line block ×16, first 2 shown]
	s_branch .LBB208_931
.LBB208_929:                            ;   in Loop: Header=BB208_931 Depth=1
	s_or_b32 exec_lo, exec_lo, s4
	v_mul_f32_e32 v10, v3, v43
	v_mul_f32_e32 v11, v3, v84
	;; [unrolled: 1-line block ×5, first 2 shown]
	v_fmac_f32_e32 v10, v2, v85
	v_fmac_f32_e32 v11, v2, v82
	;; [unrolled: 1-line block ×11, first 2 shown]
	buffer_load_dword v21, off, s[0:3], s32 offset:344 ; 4-byte Folded Reload
	v_fmac_f32_e32 v11, v5, v41
	v_fmac_f32_e32 v17, v5, v117
	;; [unrolled: 1-line block ×4, first 2 shown]
	v_mul_f32_e32 v20, v3, v69
	v_mul_f32_e32 v13, v3, v13
	v_fmac_f32_e32 v20, v2, v68
	v_fmac_f32_e32 v13, v2, v86
	;; [unrolled: 1-line block ×6, first 2 shown]
	s_waitcnt vmcnt(0)
	v_add_f32_e32 v21, v21, v10
	buffer_load_dword v10, off, s[0:3], s32 offset:352 ; 4-byte Folded Reload
	buffer_store_dword v21, off, s[0:3], s32 offset:344 ; 4-byte Folded Spill
	buffer_load_dword v21, off, s[0:3], s32 offset:464 ; 4-byte Folded Reload
	s_waitcnt vmcnt(1)
	v_add_f32_e32 v10, v10, v11
	v_mul_f32_e32 v11, v3, v53
	buffer_store_dword v10, off, s[0:3], s32 offset:352 ; 4-byte Folded Spill
	buffer_load_dword v10, off, s[0:3], s32 offset:360 ; 4-byte Folded Reload
	v_fmac_f32_e32 v11, v2, v52
	v_fmac_f32_e32 v11, v4, v51
	;; [unrolled: 1-line block ×3, first 2 shown]
	s_waitcnt vmcnt(0)
	v_add_f32_e32 v10, v10, v17
	buffer_load_dword v17, off, s[0:3], s32 offset:368 ; 4-byte Folded Reload
	buffer_store_dword v10, off, s[0:3], s32 offset:360 ; 4-byte Folded Spill
	v_mul_f32_e32 v10, v3, v65
	v_fmac_f32_e32 v10, v2, v64
	v_fmac_f32_e32 v10, v4, v55
	;; [unrolled: 1-line block ×3, first 2 shown]
	s_waitcnt vmcnt(0)
	v_add_f32_e32 v17, v17, v18
	v_mul_f32_e32 v18, v3, v29
	buffer_store_dword v17, off, s[0:3], s32 offset:368 ; 4-byte Folded Spill
	buffer_load_dword v17, off, s[0:3], s32 offset:376 ; 4-byte Folded Reload
	v_fmac_f32_e32 v18, v2, v28
	v_fmac_f32_e32 v18, v4, v96
	;; [unrolled: 1-line block ×3, first 2 shown]
	buffer_load_dword v14, off, s[0:3], s32 offset:408 ; 4-byte Folded Reload
	s_waitcnt vmcnt(1)
	v_add_f32_e32 v17, v17, v19
	buffer_load_dword v19, off, s[0:3], s32 offset:536 ; 4-byte Folded Reload
	buffer_store_dword v17, off, s[0:3], s32 offset:376 ; 4-byte Folded Spill
	buffer_load_dword v17, off, s[0:3], s32 offset:384 ; 4-byte Folded Reload
	s_waitcnt vmcnt(0)
	v_add_f32_e32 v17, v17, v20
	buffer_load_dword v20, off, s[0:3], s32 offset:544 ; 4-byte Folded Reload
	buffer_store_dword v17, off, s[0:3], s32 offset:384 ; 4-byte Folded Spill
	;; [unrolled: 5-line block ×3, first 2 shown]
	v_mul_f32_e32 v17, v3, v33
	v_fmac_f32_e32 v17, v2, v32
	v_fmac_f32_e32 v17, v4, v31
	;; [unrolled: 1-line block ×3, first 2 shown]
	s_waitcnt vmcnt(0)
	v_add_f32_e32 v10, v10, v11
	v_mul_f32_e32 v11, v3, v37
	buffer_store_dword v10, off, s[0:3], s32 offset:400 ; 4-byte Folded Spill
	v_mul_f32_e32 v10, v3, v49
	v_fmac_f32_e32 v11, v2, v36
	v_fmac_f32_e32 v10, v2, v48
	;; [unrolled: 1-line block ×6, first 2 shown]
	v_add_f32_e32 v14, v14, v10
	buffer_load_dword v10, off, s[0:3], s32 offset:416 ; 4-byte Folded Reload
	buffer_store_dword v14, off, s[0:3], s32 offset:408 ; 4-byte Folded Spill
	v_mul_f32_e32 v14, v3, v106
	v_fmac_f32_e32 v14, v2, v105
	v_fmac_f32_e32 v14, v4, v104
	;; [unrolled: 1-line block ×3, first 2 shown]
	v_add_f32_e32 v20, v20, v14
	v_mul_f32_e32 v14, v3, v62
	v_fmac_f32_e32 v14, v2, v61
	v_fmac_f32_e32 v14, v4, v60
	;; [unrolled: 1-line block ×3, first 2 shown]
	s_waitcnt vmcnt(0)
	v_add_f32_e32 v10, v10, v11
	v_mul_f32_e32 v11, v3, v122
	buffer_store_dword v10, off, s[0:3], s32 offset:416 ; 4-byte Folded Spill
	buffer_load_dword v10, off, s[0:3], s32 offset:424 ; 4-byte Folded Reload
	v_fmac_f32_e32 v11, v2, v121
	v_fmac_f32_e32 v11, v4, v120
	;; [unrolled: 1-line block ×3, first 2 shown]
	s_waitcnt vmcnt(0)
	v_add_f32_e32 v10, v10, v17
	v_mul_f32_e32 v17, v3, v94
	buffer_store_dword v10, off, s[0:3], s32 offset:424 ; 4-byte Folded Spill
	buffer_load_dword v10, off, s[0:3], s32 offset:432 ; 4-byte Folded Reload
	v_fmac_f32_e32 v17, v2, v93
	v_fmac_f32_e32 v17, v4, v92
	;; [unrolled: 1-line block ×3, first 2 shown]
	s_waitcnt vmcnt(0)
	v_add_f32_e32 v10, v10, v18
	buffer_load_dword v18, off, s[0:3], s32 offset:448 ; 4-byte Folded Reload
	buffer_store_dword v10, off, s[0:3], s32 offset:432 ; 4-byte Folded Spill
	buffer_load_dword v10, off, s[0:3], s32 offset:440 ; 4-byte Folded Reload
	s_waitcnt vmcnt(0)
	v_add_f32_e32 v10, v10, v13
	v_mul_f32_e32 v13, v3, v110
	buffer_store_dword v10, off, s[0:3], s32 offset:440 ; 4-byte Folded Spill
	v_mul_f32_e32 v10, v3, v126
	v_fmac_f32_e32 v13, v2, v109
	v_fmac_f32_e32 v10, v2, v125
	;; [unrolled: 1-line block ×6, first 2 shown]
	v_add_f32_e32 v19, v19, v13
	v_mul_f32_e32 v13, v3, v74
	v_add_f32_e32 v18, v18, v10
	buffer_load_dword v10, off, s[0:3], s32 offset:456 ; 4-byte Folded Reload
	v_fmac_f32_e32 v13, v2, v73
	buffer_store_dword v18, off, s[0:3], s32 offset:448 ; 4-byte Folded Spill
	buffer_load_dword v18, off, s[0:3], s32 offset:528 ; 4-byte Folded Reload
	v_fmac_f32_e32 v13, v4, v72
	v_fmac_f32_e32 v13, v5, v63
	s_waitcnt vmcnt(1)
	v_add_f32_e32 v10, v10, v17
	v_mul_f32_e32 v17, v3, v58
	buffer_store_dword v10, off, s[0:3], s32 offset:456 ; 4-byte Folded Spill
	v_mul_f32_e32 v10, v3, v90
	s_waitcnt vmcnt(0)
	v_add_f32_e32 v18, v18, v11
	v_mul_f32_e32 v11, v3, v78
	v_fmac_f32_e32 v17, v2, v57
	v_fmac_f32_e32 v10, v2, v89
	;; [unrolled: 1-line block ×9, first 2 shown]
	v_add_f32_e32 v21, v21, v10
	buffer_load_dword v10, off, s[0:3], s32 offset:472 ; 4-byte Folded Reload
	buffer_store_dword v21, off, s[0:3], s32 offset:464 ; 4-byte Folded Spill
	s_waitcnt vmcnt(0)
	v_add_f32_e32 v10, v10, v11
	buffer_load_dword v11, off, s[0:3], s32 offset:304 ; 4-byte Folded Reload
	buffer_store_dword v10, off, s[0:3], s32 offset:472 ; 4-byte Folded Spill
	buffer_load_dword v10, off, s[0:3], s32 offset:480 ; 4-byte Folded Reload
	s_waitcnt vmcnt(0)
	v_add_f32_e32 v10, v10, v13
	buffer_load_dword v13, off, s[0:3], s32 offset:272 ; 4-byte Folded Reload
	v_mul_f32_e32 v11, v3, v11
	buffer_store_dword v10, off, s[0:3], s32 offset:480 ; 4-byte Folded Spill
	buffer_load_dword v10, off, s[0:3], s32 offset:488 ; 4-byte Folded Reload
	s_waitcnt vmcnt(0)
	v_add_f32_e32 v10, v10, v14
	buffer_load_dword v14, off, s[0:3], s32 offset:240 ; 4-byte Folded Reload
	v_mul_f32_e32 v13, v3, v13
	buffer_store_dword v10, off, s[0:3], s32 offset:488 ; 4-byte Folded Spill
	buffer_load_dword v10, off, s[0:3], s32 offset:552 ; 4-byte Folded Reload
	s_waitcnt vmcnt(1)
	v_mul_f32_e32 v14, v3, v14
	s_waitcnt vmcnt(0)
	v_add_f32_e32 v17, v10, v17
	buffer_load_dword v10, off, s[0:3], s32 offset:336 ; 4-byte Folded Reload
	s_waitcnt vmcnt(0)
	v_mul_f32_e32 v10, v3, v10
	v_mul_f32_e32 v3, v3, v8
	buffer_load_dword v8, off, s[0:3], s32 offset:328 ; 4-byte Folded Reload
	v_fmac_f32_e32 v3, v2, v6
	v_fmac_f32_e32 v3, v4, v1
	buffer_load_dword v1, off, s[0:3], s32 offset:312 ; 4-byte Folded Reload
	v_fmac_f32_e32 v3, v5, v0
	buffer_load_dword v0, off, s[0:3], s32 offset:496 ; 4-byte Folded Reload
	v_add_f32_e32 v45, v45, v3
	s_waitcnt vmcnt(2)
	v_fmac_f32_e32 v10, v2, v8
	buffer_load_dword v8, off, s[0:3], s32 offset:296 ; 4-byte Folded Reload
	s_waitcnt vmcnt(0)
	v_fmac_f32_e32 v11, v2, v8
	buffer_load_dword v8, off, s[0:3], s32 offset:264 ; 4-byte Folded Reload
	;; [unrolled: 3-line block ×5, first 2 shown]
	v_fmac_f32_e32 v10, v5, v1
	buffer_load_dword v1, off, s[0:3], s32 offset:280 ; 4-byte Folded Reload
	s_waitcnt vmcnt(1)
	v_fmac_f32_e32 v11, v4, v2
	buffer_load_dword v2, off, s[0:3], s32 offset:256 ; 4-byte Folded Reload
	s_waitcnt vmcnt(1)
	v_fmac_f32_e32 v11, v5, v1
	buffer_load_dword v1, off, s[0:3], s32 offset:248 ; 4-byte Folded Reload
	v_add_f32_e32 v0, v0, v11
	buffer_store_dword v0, off, s[0:3], s32 offset:496 ; 4-byte Folded Spill
	buffer_load_dword v0, off, s[0:3], s32 offset:512 ; 4-byte Folded Reload
	s_waitcnt vmcnt(2)
	v_fmac_f32_e32 v13, v4, v2
	buffer_load_dword v2, off, s[0:3], s32 offset:228 ; 4-byte Folded Reload
	s_waitcnt vmcnt(2)
	v_fmac_f32_e32 v13, v5, v1
	buffer_load_dword v1, off, s[0:3], s32 offset:196 ; 4-byte Folded Reload
	s_waitcnt vmcnt(2)
	v_add_f32_e32 v0, v0, v13
	buffer_store_dword v0, off, s[0:3], s32 offset:512 ; 4-byte Folded Spill
	buffer_load_dword v0, off, s[0:3], s32 offset:504 ; 4-byte Folded Reload
	s_waitcnt vmcnt(2)
	v_fmac_f32_e32 v14, v4, v2
	s_waitcnt vmcnt(1)
	v_fmac_f32_e32 v14, v5, v1
	buffer_load_dword v5, off, s[0:3], s32 offset:560 ; 4-byte Folded Reload
	s_waitcnt vmcnt(1)
	v_add_f32_e32 v0, v0, v14
	buffer_store_dword v0, off, s[0:3], s32 offset:504 ; 4-byte Folded Spill
	s_waitcnt vmcnt(0)
	v_add_f32_e32 v5, v5, v10
.LBB208_930:                            ;   in Loop: Header=BB208_931 Depth=1
	s_or_b32 exec_lo, exec_lo, s7
	buffer_load_dword v0, off, s[0:3], s32 offset:192 ; 4-byte Folded Reload
	v_add_nc_u32_e32 v97, 4, v97
	v_mov_b32_e32 v2, v46
	v_add_co_u32 v15, s4, v15, 16
	v_add_nc_u32_e32 v87, 0x200, v87
	v_add_co_ci_u32_e64 v16, null, 0, v16, s4
	v_add_nc_u32_e32 v2, 0x80, v2
	s_waitcnt vmcnt(0)
	v_cmp_ge_i32_e32 vcc_lo, v97, v0
	s_or_b32 s6, vcc_lo, s6
	s_andn2_b32 exec_lo, exec_lo, s6
	s_cbranch_execz .LBB208_1884
.LBB208_931:                            ; =>This Inner Loop Header: Depth=1
	s_clause 0x1
	buffer_load_dword v0, off, s[0:3], s32 offset:220
	buffer_load_dword v4, off, s[0:3], s32 offset:204
	v_mov_b32_e32 v46, v2
	s_waitcnt vmcnt(1)
	v_mul_hi_u32 v0, v2, v0
	s_waitcnt vmcnt(0)
	v_mul_lo_u32 v1, v0, v4
	v_sub_nc_u32_e32 v1, v2, v1
	v_add_nc_u32_e32 v2, 1, v0
	v_sub_nc_u32_e32 v3, v1, v4
	v_cmp_ge_u32_e32 vcc_lo, v1, v4
	v_cndmask_b32_e32 v1, v1, v3, vcc_lo
	v_cndmask_b32_e32 v0, v0, v2, vcc_lo
	v_cmp_ge_u32_e32 vcc_lo, v1, v4
	buffer_load_dword v1, off, s[0:3], s32 offset:216 ; 4-byte Folded Reload
	v_add_nc_u32_e32 v2, 1, v0
	v_cndmask_b32_e32 v0, v0, v2, vcc_lo
	s_waitcnt vmcnt(0)
	v_xor_b32_e32 v0, v0, v1
	v_sub_nc_u32_e32 v0, v0, v1
	s_clause 0x2
	buffer_load_dword v1, off, s[0:3], s32 offset:208
	buffer_load_dword v2, off, s[0:3], s32 offset:212
	;; [unrolled: 1-line block ×3, first 2 shown]
	s_waitcnt vmcnt(2)
	v_add_nc_u32_e32 v1, v0, v1
	s_waitcnt vmcnt(1)
	v_sub_nc_u32_e32 v2, 0, v1
	v_max_i32_e32 v2, v1, v2
	v_ashrrev_i32_e32 v1, 31, v1
	s_waitcnt vmcnt(0)
	v_mul_hi_u32 v3, v2, v3
	v_mul_lo_u32 v3, v3, v80
	v_sub_nc_u32_e32 v2, v2, v3
	v_sub_nc_u32_e32 v3, v2, v80
	v_cmp_ge_u32_e32 vcc_lo, v2, v80
	v_cndmask_b32_e32 v2, v2, v3, vcc_lo
	v_sub_nc_u32_e32 v3, v2, v80
	v_cmp_ge_u32_e32 vcc_lo, v2, v80
	v_cndmask_b32_e32 v2, v2, v3, vcc_lo
	v_xor_b32_e32 v2, v2, v1
	v_sub_nc_u32_e32 v1, v2, v1
	v_cmp_eq_u32_e32 vcc_lo, 0, v1
	buffer_load_dword v1, off, s[0:3], s32 offset:224 ; 4-byte Folded Reload
	s_waitcnt vmcnt(0)
	v_cmp_gt_i32_e64 s4, v0, v1
	s_or_b32 s4, vcc_lo, s4
	s_and_saveexec_b32 s7, s4
	s_cbranch_execz .LBB208_930
; %bb.932:                              ;   in Loop: Header=BB208_931 Depth=1
	buffer_store_dword v5, off, s[0:3], s32 offset:560 ; 4-byte Folded Spill
	buffer_store_dword v17, off, s[0:3], s32 offset:552 ; 4-byte Folded Spill
	;; [unrolled: 1-line block ×5, first 2 shown]
	flat_load_dword v0, v[15:16]
	s_clause 0x2
	buffer_load_dword v1, off, s[0:3], s32 offset:672
	buffer_load_dword v2, off, s[0:3], s32 offset:576
	;; [unrolled: 1-line block ×3, first 2 shown]
	v_mov_b32_e32 v19, 0
	v_mov_b32_e32 v17, 0
	;; [unrolled: 1-line block ×4, first 2 shown]
	s_waitcnt vmcnt(0) lgkmcnt(0)
	v_mad_i64_i32 v[0:1], null, v0, v1, v[2:3]
	flat_load_dword v13, v[0:1]
	s_clause 0x1
	buffer_load_dword v2, off, s[0:3], s32 offset:708
	buffer_load_dword v3, off, s[0:3], s32 offset:712
	s_load_dword s4, s[8:9], 0x0
	s_waitcnt vmcnt(2) lgkmcnt(0)
	v_cmp_ne_u16_sdwa s15, v13, v7 src0_sel:BYTE_0 src1_sel:DWORD
	s_waitcnt vmcnt(0)
	flat_load_dword v98, v[2:3]
	v_add_nc_u32_e32 v2, s4, v87
	ds_read_b128 v[2:5], v2
	s_and_saveexec_b32 s4, s15
	s_cbranch_execz .LBB208_940
; %bb.933:                              ;   in Loop: Header=BB208_931 Depth=1
	v_bfrev_b32_e32 v17, 1
	v_mov_b32_e32 v18, 0
	v_cmp_ne_u16_sdwa s17, v13, v81 src0_sel:BYTE_0 src1_sel:DWORD
	s_and_saveexec_b32 s15, s17
	s_cbranch_execz .LBB208_939
; %bb.934:                              ;   in Loop: Header=BB208_931 Depth=1
	v_mov_b32_e32 v17, 0x7f800001
	v_and_b32_e32 v10, 0x7f, v13
	v_mov_b32_e32 v18, 0
	s_mov_b32 s17, exec_lo
	v_cmpx_ne_u32_e32 0x7f, v10
	s_cbranch_execz .LBB208_938
; %bb.935:                              ;   in Loop: Header=BB208_931 Depth=1
	v_and_b32_e32 v6, 7, v13
	v_lshrrev_b32_e32 v8, 3, v10
	s_mov_b32 s18, exec_lo
	v_cmpx_gt_u32_e32 8, v10
; %bb.936:                              ;   in Loop: Header=BB208_931 Depth=1
	v_ffbh_u32_e32 v8, v6
	v_min_u32_e32 v8, 32, v8
	v_subrev_nc_u32_e32 v10, 28, v8
	v_sub_nc_u32_e32 v8, 29, v8
	v_lshlrev_b64 v[10:11], v10, v[6:7]
	v_and_b32_e32 v6, 7, v10
; %bb.937:                              ;   in Loop: Header=BB208_931 Depth=1
	s_or_b32 exec_lo, exec_lo, s18
	v_lshlrev_b32_e32 v10, 24, v13
	v_lshlrev_b32_e32 v6, 20, v6
	v_lshl_add_u32 v8, v8, 23, 0x3c000000
	v_and_b32_e32 v10, 0x80000000, v10
	v_or3_b32 v6, v6, v10, v8
	v_mov_b32_e32 v18, v7
	v_mov_b32_e32 v17, v6
.LBB208_938:                            ;   in Loop: Header=BB208_931 Depth=1
	s_or_b32 exec_lo, exec_lo, s17
.LBB208_939:                            ;   in Loop: Header=BB208_931 Depth=1
	s_or_b32 exec_lo, exec_lo, s15
.LBB208_940:                            ;   in Loop: Header=BB208_931 Depth=1
	s_or_b32 exec_lo, exec_lo, s4
	v_cmp_ne_u16_sdwa s15, v13, v7 src0_sel:BYTE_1 src1_sel:DWORD
	s_and_saveexec_b32 s4, s15
	s_cbranch_execz .LBB208_948
; %bb.941:                              ;   in Loop: Header=BB208_931 Depth=1
	v_mov_b32_e32 v8, v7
	v_mov_b32_e32 v20, v9
	v_cmp_ne_u16_sdwa s17, v13, v81 src0_sel:BYTE_1 src1_sel:DWORD
	v_mov_b32_e32 v19, v8
	s_and_saveexec_b32 s15, s17
	s_cbranch_execz .LBB208_947
; %bb.942:                              ;   in Loop: Header=BB208_931 Depth=1
	v_mov_b32_e32 v6, 0xffff
	v_mov_b32_e32 v11, v7
	;; [unrolled: 1-line block ×3, first 2 shown]
	s_mov_b32 s17, exec_lo
	v_and_b32_sdwa v6, v6, v13 dst_sel:DWORD dst_unused:UNUSED_PAD src0_sel:DWORD src1_sel:BYTE_1
	v_mov_b32_e32 v19, v11
	v_and_b32_e32 v10, 0x7f, v6
	v_cmpx_ne_u32_e32 0x7f, v10
	s_cbranch_execz .LBB208_946
; %bb.943:                              ;   in Loop: Header=BB208_931 Depth=1
	v_and_b32_e32 v6, 7, v6
	v_lshrrev_b32_e32 v8, 3, v10
	s_mov_b32 s18, exec_lo
	v_cmpx_gt_u32_e32 8, v10
; %bb.944:                              ;   in Loop: Header=BB208_931 Depth=1
	v_ffbh_u32_e32 v8, v6
	v_min_u32_e32 v8, 32, v8
	v_subrev_nc_u32_e32 v10, 28, v8
	v_sub_nc_u32_e32 v8, 29, v8
	v_lshlrev_b64 v[10:11], v10, v[6:7]
	v_and_b32_e32 v6, 7, v10
; %bb.945:                              ;   in Loop: Header=BB208_931 Depth=1
	s_or_b32 exec_lo, exec_lo, s18
	v_lshlrev_b32_e32 v10, 16, v13
	v_lshlrev_b32_e32 v6, 20, v6
	v_lshl_add_u32 v8, v8, 23, 0x3c000000
	v_mov_b32_e32 v19, v7
	v_and_b32_e32 v10, 0x80000000, v10
	v_or3_b32 v20, v6, v10, v8
.LBB208_946:                            ;   in Loop: Header=BB208_931 Depth=1
	s_or_b32 exec_lo, exec_lo, s17
.LBB208_947:                            ;   in Loop: Header=BB208_931 Depth=1
	s_or_b32 exec_lo, exec_lo, s15
.LBB208_948:                            ;   in Loop: Header=BB208_931 Depth=1
	s_or_b32 exec_lo, exec_lo, s4
	v_mov_b32_e32 v10, 0
	v_mov_b32_e32 v21, 0
	v_and_b32_sdwa v6, v13, v83 dst_sel:DWORD dst_unused:UNUSED_PAD src0_sel:WORD_1 src1_sel:DWORD
	v_mov_b32_e32 v11, 0
	v_mov_b32_e32 v22, 0
	s_mov_b32 s4, exec_lo
	v_cmpx_ne_u16_e32 0, v6
	s_cbranch_execz .LBB208_956
; %bb.949:                              ;   in Loop: Header=BB208_931 Depth=1
	v_bfrev_b32_e32 v21, 1
	v_mov_b32_e32 v22, 0
	s_mov_b32 s15, exec_lo
	v_cmpx_ne_u16_e32 0x80, v6
	s_cbranch_execz .LBB208_955
; %bb.950:                              ;   in Loop: Header=BB208_931 Depth=1
	v_mov_b32_e32 v21, 0x7f800001
	v_bfe_u32 v14, v13, 16, 7
	v_mov_b32_e32 v22, 0
	s_mov_b32 s17, exec_lo
	v_cmpx_ne_u32_e32 0x7f, v14
	s_cbranch_execz .LBB208_954
; %bb.951:                              ;   in Loop: Header=BB208_931 Depth=1
	v_mov_b32_e32 v6, 7
	v_lshrrev_b32_e32 v8, 3, v14
	s_mov_b32 s18, exec_lo
	v_and_b32_sdwa v6, v13, v6 dst_sel:DWORD dst_unused:UNUSED_PAD src0_sel:WORD_1 src1_sel:DWORD
	v_cmpx_gt_u32_e32 8, v14
; %bb.952:                              ;   in Loop: Header=BB208_931 Depth=1
	v_ffbh_u32_e32 v8, v6
	v_min_u32_e32 v8, 32, v8
	v_subrev_nc_u32_e32 v14, 28, v8
	v_sub_nc_u32_e32 v8, 29, v8
	v_lshlrev_b64 v[21:22], v14, v[6:7]
	v_and_b32_e32 v6, 7, v21
; %bb.953:                              ;   in Loop: Header=BB208_931 Depth=1
	s_or_b32 exec_lo, exec_lo, s18
	v_mov_b32_e32 v14, 24
	v_lshlrev_b32_e32 v6, 20, v6
	v_lshl_add_u32 v8, v8, 23, 0x3c000000
	v_lshlrev_b32_sdwa v14, v14, v13 dst_sel:DWORD dst_unused:UNUSED_PAD src0_sel:DWORD src1_sel:WORD_1
	v_and_b32_e32 v14, 0x80000000, v14
	v_or3_b32 v6, v6, v14, v8
	v_mov_b32_e32 v22, v7
	v_mov_b32_e32 v21, v6
.LBB208_954:                            ;   in Loop: Header=BB208_931 Depth=1
	s_or_b32 exec_lo, exec_lo, s17
.LBB208_955:                            ;   in Loop: Header=BB208_931 Depth=1
	s_or_b32 exec_lo, exec_lo, s15
.LBB208_956:                            ;   in Loop: Header=BB208_931 Depth=1
	s_or_b32 exec_lo, exec_lo, s4
	s_mov_b32 s4, exec_lo
	v_cmpx_lt_u32_e32 0xffffff, v13
	s_cbranch_execz .LBB208_964
; %bb.957:                              ;   in Loop: Header=BB208_931 Depth=1
	v_mov_b32_e32 v8, v7
	v_mov_b32_e32 v11, v9
	v_cmp_ne_u32_sdwa s17, v13, v81 src0_sel:BYTE_3 src1_sel:DWORD
	v_mov_b32_e32 v10, v8
	s_and_saveexec_b32 s15, s17
	s_cbranch_execz .LBB208_963
; %bb.958:                              ;   in Loop: Header=BB208_931 Depth=1
	v_mov_b32_e32 v11, v7
	v_bfe_u32 v14, v13, 24, 7
	s_mov_b32 s17, exec_lo
	v_mov_b32_e32 v10, v11
	v_mov_b32_e32 v11, v12
	v_cmpx_ne_u32_e32 0x7f, v14
	s_cbranch_execz .LBB208_962
; %bb.959:                              ;   in Loop: Header=BB208_931 Depth=1
	v_mov_b32_e32 v6, 7
	v_lshrrev_b32_e32 v8, 3, v14
	s_mov_b32 s18, exec_lo
	v_and_b32_sdwa v6, v13, v6 dst_sel:DWORD dst_unused:UNUSED_PAD src0_sel:BYTE_3 src1_sel:DWORD
	v_cmpx_gt_u32_e32 8, v14
; %bb.960:                              ;   in Loop: Header=BB208_931 Depth=1
	v_ffbh_u32_e32 v8, v6
	v_min_u32_e32 v8, 32, v8
	v_subrev_nc_u32_e32 v10, 28, v8
	v_sub_nc_u32_e32 v8, 29, v8
	v_lshlrev_b64 v[10:11], v10, v[6:7]
	v_and_b32_e32 v6, 7, v10
; %bb.961:                              ;   in Loop: Header=BB208_931 Depth=1
	s_or_b32 exec_lo, exec_lo, s18
	v_mov_b32_e32 v10, 24
	v_lshlrev_b32_e32 v6, 20, v6
	v_lshl_add_u32 v8, v8, 23, 0x3c000000
	v_lshlrev_b32_sdwa v10, v10, v13 dst_sel:DWORD dst_unused:UNUSED_PAD src0_sel:DWORD src1_sel:BYTE_3
	v_and_b32_e32 v10, 0x80000000, v10
	v_or3_b32 v11, v6, v10, v8
	v_mov_b32_e32 v10, v7
.LBB208_962:                            ;   in Loop: Header=BB208_931 Depth=1
	s_or_b32 exec_lo, exec_lo, s17
.LBB208_963:                            ;   in Loop: Header=BB208_931 Depth=1
	s_or_b32 exec_lo, exec_lo, s15
.LBB208_964:                            ;   in Loop: Header=BB208_931 Depth=1
	s_or_b32 exec_lo, exec_lo, s4
	buffer_load_dword v6, off, s[0:3], s32 offset:568 ; 4-byte Folded Reload
	v_or_b32_e32 v8, v20, v18
	v_or_b32_e32 v13, v19, v17
	;; [unrolled: 1-line block ×4, first 2 shown]
	s_waitcnt vmcnt(0)
	v_add_nc_u32_e32 v103, v6, v46
	buffer_load_dword v6, off, s[0:3], s32 offset:192 ; 4-byte Folded Reload
	v_add_nc_u32_e32 v114, 1, v103
	v_add_nc_u32_e32 v113, 2, v103
	;; [unrolled: 1-line block ×3, first 2 shown]
	s_waitcnt vmcnt(0)
	v_add_nc_u32_e32 v6, -1, v6
	v_cmp_eq_u32_e32 vcc_lo, v6, v97
	s_waitcnt lgkmcnt(1)
	v_mul_f32_e32 v6, v98, v8
	buffer_store_dword v6, off, s[0:3], s32 offset:240 ; 4-byte Folded Spill
	v_mul_f32_e32 v6, v98, v13
	buffer_store_dword v6, off, s[0:3], s32 offset:232 ; 4-byte Folded Spill
	v_mul_f32_e32 v6, v98, v10
	buffer_store_dword v6, off, s[0:3], s32 offset:228 ; 4-byte Folded Spill
	v_mul_f32_e32 v6, v98, v11
	buffer_store_dword v6, off, s[0:3], s32 offset:196 ; 4-byte Folded Spill
	s_and_saveexec_b32 s15, vcc_lo
	s_cbranch_execz .LBB208_966
; %bb.965:                              ;   in Loop: Header=BB208_931 Depth=1
	buffer_load_dword v6, off, s[0:3], s32 offset:232 ; 4-byte Folded Reload
	v_cmp_lt_i32_e64 s4, v103, v47
	s_waitcnt vmcnt(0)
	v_cndmask_b32_e64 v6, 0, v6, s4
	v_cmp_lt_i32_e64 s4, v114, v47
	buffer_store_dword v6, off, s[0:3], s32 offset:232 ; 4-byte Folded Spill
	buffer_load_dword v6, off, s[0:3], s32 offset:240 ; 4-byte Folded Reload
	s_waitcnt vmcnt(0)
	v_cndmask_b32_e64 v6, 0, v6, s4
	v_cmp_lt_i32_e64 s4, v113, v47
	buffer_store_dword v6, off, s[0:3], s32 offset:240 ; 4-byte Folded Spill
	buffer_load_dword v6, off, s[0:3], s32 offset:228 ; 4-byte Folded Reload
	;; [unrolled: 5-line block ×3, first 2 shown]
	s_waitcnt vmcnt(0)
	v_cndmask_b32_e64 v6, 0, v6, s4
	buffer_store_dword v6, off, s[0:3], s32 offset:196 ; 4-byte Folded Spill
.LBB208_966:                            ;   in Loop: Header=BB208_931 Depth=1
	s_or_b32 exec_lo, exec_lo, s15
	flat_load_dword v13, v[0:1] offset:128
	v_mov_b32_e32 v19, 0
	v_mov_b32_e32 v17, 0
	;; [unrolled: 1-line block ×4, first 2 shown]
	s_waitcnt vmcnt(0) lgkmcnt(0)
	v_cmp_ne_u16_sdwa s4, v13, v7 src0_sel:BYTE_0 src1_sel:DWORD
	s_and_saveexec_b32 s15, s4
	s_cbranch_execz .LBB208_974
; %bb.967:                              ;   in Loop: Header=BB208_931 Depth=1
	v_bfrev_b32_e32 v17, 1
	v_mov_b32_e32 v18, 0
	v_cmp_ne_u16_sdwa s4, v13, v81 src0_sel:BYTE_0 src1_sel:DWORD
	s_and_saveexec_b32 s17, s4
	s_cbranch_execz .LBB208_973
; %bb.968:                              ;   in Loop: Header=BB208_931 Depth=1
	v_mov_b32_e32 v17, 0x7f800001
	v_and_b32_e32 v10, 0x7f, v13
	v_mov_b32_e32 v18, 0
	s_mov_b32 s18, exec_lo
	v_cmpx_ne_u32_e32 0x7f, v10
	s_cbranch_execz .LBB208_972
; %bb.969:                              ;   in Loop: Header=BB208_931 Depth=1
	v_and_b32_e32 v6, 7, v13
	v_lshrrev_b32_e32 v8, 3, v10
	s_mov_b32 s19, exec_lo
	v_cmpx_gt_u32_e32 8, v10
; %bb.970:                              ;   in Loop: Header=BB208_931 Depth=1
	v_ffbh_u32_e32 v8, v6
	v_min_u32_e32 v8, 32, v8
	v_subrev_nc_u32_e32 v10, 28, v8
	v_sub_nc_u32_e32 v8, 29, v8
	v_lshlrev_b64 v[10:11], v10, v[6:7]
	v_and_b32_e32 v6, 7, v10
; %bb.971:                              ;   in Loop: Header=BB208_931 Depth=1
	s_or_b32 exec_lo, exec_lo, s19
	v_lshlrev_b32_e32 v10, 24, v13
	v_lshlrev_b32_e32 v6, 20, v6
	v_lshl_add_u32 v8, v8, 23, 0x3c000000
	v_and_b32_e32 v10, 0x80000000, v10
	v_or3_b32 v6, v6, v10, v8
	v_mov_b32_e32 v18, v7
	v_mov_b32_e32 v17, v6
.LBB208_972:                            ;   in Loop: Header=BB208_931 Depth=1
	s_or_b32 exec_lo, exec_lo, s18
.LBB208_973:                            ;   in Loop: Header=BB208_931 Depth=1
	s_or_b32 exec_lo, exec_lo, s17
.LBB208_974:                            ;   in Loop: Header=BB208_931 Depth=1
	s_or_b32 exec_lo, exec_lo, s15
	v_cmp_ne_u16_sdwa s4, v13, v7 src0_sel:BYTE_1 src1_sel:DWORD
	s_and_saveexec_b32 s15, s4
	s_cbranch_execz .LBB208_982
; %bb.975:                              ;   in Loop: Header=BB208_931 Depth=1
	v_mov_b32_e32 v8, v7
	v_mov_b32_e32 v20, v9
	v_cmp_ne_u16_sdwa s4, v13, v81 src0_sel:BYTE_1 src1_sel:DWORD
	v_mov_b32_e32 v19, v8
	s_and_saveexec_b32 s17, s4
	s_cbranch_execz .LBB208_981
; %bb.976:                              ;   in Loop: Header=BB208_931 Depth=1
	v_mov_b32_e32 v6, 0xffff
	v_mov_b32_e32 v11, v7
	;; [unrolled: 1-line block ×3, first 2 shown]
	s_mov_b32 s18, exec_lo
	v_and_b32_sdwa v6, v6, v13 dst_sel:DWORD dst_unused:UNUSED_PAD src0_sel:DWORD src1_sel:BYTE_1
	v_mov_b32_e32 v19, v11
	v_and_b32_e32 v10, 0x7f, v6
	v_cmpx_ne_u32_e32 0x7f, v10
	s_cbranch_execz .LBB208_980
; %bb.977:                              ;   in Loop: Header=BB208_931 Depth=1
	v_and_b32_e32 v6, 7, v6
	v_lshrrev_b32_e32 v8, 3, v10
	s_mov_b32 s19, exec_lo
	v_cmpx_gt_u32_e32 8, v10
; %bb.978:                              ;   in Loop: Header=BB208_931 Depth=1
	v_ffbh_u32_e32 v8, v6
	v_min_u32_e32 v8, 32, v8
	v_subrev_nc_u32_e32 v10, 28, v8
	v_sub_nc_u32_e32 v8, 29, v8
	v_lshlrev_b64 v[10:11], v10, v[6:7]
	v_and_b32_e32 v6, 7, v10
; %bb.979:                              ;   in Loop: Header=BB208_931 Depth=1
	s_or_b32 exec_lo, exec_lo, s19
	v_lshlrev_b32_e32 v10, 16, v13
	v_lshlrev_b32_e32 v6, 20, v6
	v_lshl_add_u32 v8, v8, 23, 0x3c000000
	v_mov_b32_e32 v19, v7
	v_and_b32_e32 v10, 0x80000000, v10
	v_or3_b32 v20, v6, v10, v8
.LBB208_980:                            ;   in Loop: Header=BB208_931 Depth=1
	s_or_b32 exec_lo, exec_lo, s18
.LBB208_981:                            ;   in Loop: Header=BB208_931 Depth=1
	s_or_b32 exec_lo, exec_lo, s17
.LBB208_982:                            ;   in Loop: Header=BB208_931 Depth=1
	s_or_b32 exec_lo, exec_lo, s15
	v_mov_b32_e32 v10, 0
	v_mov_b32_e32 v21, 0
	v_and_b32_sdwa v6, v13, v83 dst_sel:DWORD dst_unused:UNUSED_PAD src0_sel:WORD_1 src1_sel:DWORD
	v_mov_b32_e32 v11, 0
	v_mov_b32_e32 v22, 0
	s_mov_b32 s15, exec_lo
	v_cmpx_ne_u16_e32 0, v6
	s_cbranch_execz .LBB208_990
; %bb.983:                              ;   in Loop: Header=BB208_931 Depth=1
	v_bfrev_b32_e32 v21, 1
	v_mov_b32_e32 v22, 0
	s_mov_b32 s17, exec_lo
	v_cmpx_ne_u16_e32 0x80, v6
	s_cbranch_execz .LBB208_989
; %bb.984:                              ;   in Loop: Header=BB208_931 Depth=1
	v_mov_b32_e32 v21, 0x7f800001
	v_bfe_u32 v14, v13, 16, 7
	v_mov_b32_e32 v22, 0
	s_mov_b32 s18, exec_lo
	v_cmpx_ne_u32_e32 0x7f, v14
	s_cbranch_execz .LBB208_988
; %bb.985:                              ;   in Loop: Header=BB208_931 Depth=1
	v_mov_b32_e32 v6, 7
	v_lshrrev_b32_e32 v8, 3, v14
	s_mov_b32 s19, exec_lo
	v_and_b32_sdwa v6, v13, v6 dst_sel:DWORD dst_unused:UNUSED_PAD src0_sel:WORD_1 src1_sel:DWORD
	v_cmpx_gt_u32_e32 8, v14
; %bb.986:                              ;   in Loop: Header=BB208_931 Depth=1
	v_ffbh_u32_e32 v8, v6
	v_min_u32_e32 v8, 32, v8
	v_subrev_nc_u32_e32 v14, 28, v8
	v_sub_nc_u32_e32 v8, 29, v8
	v_lshlrev_b64 v[21:22], v14, v[6:7]
	v_and_b32_e32 v6, 7, v21
; %bb.987:                              ;   in Loop: Header=BB208_931 Depth=1
	s_or_b32 exec_lo, exec_lo, s19
	v_mov_b32_e32 v14, 24
	v_lshlrev_b32_e32 v6, 20, v6
	v_lshl_add_u32 v8, v8, 23, 0x3c000000
	v_lshlrev_b32_sdwa v14, v14, v13 dst_sel:DWORD dst_unused:UNUSED_PAD src0_sel:DWORD src1_sel:WORD_1
	v_and_b32_e32 v14, 0x80000000, v14
	v_or3_b32 v6, v6, v14, v8
	v_mov_b32_e32 v22, v7
	v_mov_b32_e32 v21, v6
.LBB208_988:                            ;   in Loop: Header=BB208_931 Depth=1
	s_or_b32 exec_lo, exec_lo, s18
.LBB208_989:                            ;   in Loop: Header=BB208_931 Depth=1
	s_or_b32 exec_lo, exec_lo, s17
.LBB208_990:                            ;   in Loop: Header=BB208_931 Depth=1
	s_or_b32 exec_lo, exec_lo, s15
	s_mov_b32 s15, exec_lo
	v_cmpx_lt_u32_e32 0xffffff, v13
	s_cbranch_execz .LBB208_998
; %bb.991:                              ;   in Loop: Header=BB208_931 Depth=1
	v_mov_b32_e32 v8, v7
	v_mov_b32_e32 v11, v9
	v_cmp_ne_u32_sdwa s4, v13, v81 src0_sel:BYTE_3 src1_sel:DWORD
	v_mov_b32_e32 v10, v8
	s_and_saveexec_b32 s17, s4
	s_cbranch_execz .LBB208_997
; %bb.992:                              ;   in Loop: Header=BB208_931 Depth=1
	v_mov_b32_e32 v11, v7
	v_bfe_u32 v14, v13, 24, 7
	s_mov_b32 s18, exec_lo
	v_mov_b32_e32 v10, v11
	v_mov_b32_e32 v11, v12
	v_cmpx_ne_u32_e32 0x7f, v14
	s_cbranch_execz .LBB208_996
; %bb.993:                              ;   in Loop: Header=BB208_931 Depth=1
	v_mov_b32_e32 v6, 7
	v_lshrrev_b32_e32 v8, 3, v14
	s_mov_b32 s19, exec_lo
	v_and_b32_sdwa v6, v13, v6 dst_sel:DWORD dst_unused:UNUSED_PAD src0_sel:BYTE_3 src1_sel:DWORD
	v_cmpx_gt_u32_e32 8, v14
; %bb.994:                              ;   in Loop: Header=BB208_931 Depth=1
	v_ffbh_u32_e32 v8, v6
	v_min_u32_e32 v8, 32, v8
	v_subrev_nc_u32_e32 v10, 28, v8
	v_sub_nc_u32_e32 v8, 29, v8
	v_lshlrev_b64 v[10:11], v10, v[6:7]
	v_and_b32_e32 v6, 7, v10
; %bb.995:                              ;   in Loop: Header=BB208_931 Depth=1
	s_or_b32 exec_lo, exec_lo, s19
	v_mov_b32_e32 v10, 24
	v_lshlrev_b32_e32 v6, 20, v6
	v_lshl_add_u32 v8, v8, 23, 0x3c000000
	v_lshlrev_b32_sdwa v10, v10, v13 dst_sel:DWORD dst_unused:UNUSED_PAD src0_sel:DWORD src1_sel:BYTE_3
	v_and_b32_e32 v10, 0x80000000, v10
	v_or3_b32 v11, v6, v10, v8
	v_mov_b32_e32 v10, v7
.LBB208_996:                            ;   in Loop: Header=BB208_931 Depth=1
	s_or_b32 exec_lo, exec_lo, s18
.LBB208_997:                            ;   in Loop: Header=BB208_931 Depth=1
	s_or_b32 exec_lo, exec_lo, s17
.LBB208_998:                            ;   in Loop: Header=BB208_931 Depth=1
	s_or_b32 exec_lo, exec_lo, s15
	v_or_b32_e32 v6, v20, v18
	v_or_b32_e32 v8, v19, v17
	;; [unrolled: 1-line block ×4, first 2 shown]
	v_mul_f32_e32 v6, v98, v6
	buffer_store_dword v6, off, s[0:3], s32 offset:272 ; 4-byte Folded Spill
	v_mul_f32_e32 v6, v98, v8
	buffer_store_dword v6, off, s[0:3], s32 offset:264 ; 4-byte Folded Spill
	;; [unrolled: 2-line block ×4, first 2 shown]
	s_and_saveexec_b32 s15, vcc_lo
	s_cbranch_execz .LBB208_1000
; %bb.999:                              ;   in Loop: Header=BB208_931 Depth=1
	buffer_load_dword v6, off, s[0:3], s32 offset:264 ; 4-byte Folded Reload
	v_cmp_lt_i32_e64 s4, v103, v47
	s_waitcnt vmcnt(0)
	v_cndmask_b32_e64 v6, 0, v6, s4
	v_cmp_lt_i32_e64 s4, v114, v47
	buffer_store_dword v6, off, s[0:3], s32 offset:264 ; 4-byte Folded Spill
	buffer_load_dword v6, off, s[0:3], s32 offset:272 ; 4-byte Folded Reload
	s_waitcnt vmcnt(0)
	v_cndmask_b32_e64 v6, 0, v6, s4
	v_cmp_lt_i32_e64 s4, v113, v47
	buffer_store_dword v6, off, s[0:3], s32 offset:272 ; 4-byte Folded Spill
	buffer_load_dword v6, off, s[0:3], s32 offset:256 ; 4-byte Folded Reload
	s_waitcnt vmcnt(0)
	v_cndmask_b32_e64 v6, 0, v6, s4
	v_cmp_lt_i32_e64 s4, v112, v47
	buffer_store_dword v6, off, s[0:3], s32 offset:256 ; 4-byte Folded Spill
	buffer_load_dword v6, off, s[0:3], s32 offset:248 ; 4-byte Folded Reload
	s_waitcnt vmcnt(0)
	v_cndmask_b32_e64 v6, 0, v6, s4
	buffer_store_dword v6, off, s[0:3], s32 offset:248 ; 4-byte Folded Spill
.LBB208_1000:                           ;   in Loop: Header=BB208_931 Depth=1
	s_or_b32 exec_lo, exec_lo, s15
	flat_load_dword v13, v[0:1] offset:256
	v_mov_b32_e32 v19, 0
	v_mov_b32_e32 v17, 0
	;; [unrolled: 1-line block ×4, first 2 shown]
	s_waitcnt vmcnt(0) lgkmcnt(0)
	v_cmp_ne_u16_sdwa s4, v13, v7 src0_sel:BYTE_0 src1_sel:DWORD
	s_and_saveexec_b32 s15, s4
	s_cbranch_execz .LBB208_1008
; %bb.1001:                             ;   in Loop: Header=BB208_931 Depth=1
	v_bfrev_b32_e32 v17, 1
	v_mov_b32_e32 v18, 0
	v_cmp_ne_u16_sdwa s4, v13, v81 src0_sel:BYTE_0 src1_sel:DWORD
	s_and_saveexec_b32 s17, s4
	s_cbranch_execz .LBB208_1007
; %bb.1002:                             ;   in Loop: Header=BB208_931 Depth=1
	v_mov_b32_e32 v17, 0x7f800001
	v_and_b32_e32 v10, 0x7f, v13
	v_mov_b32_e32 v18, 0
	s_mov_b32 s18, exec_lo
	v_cmpx_ne_u32_e32 0x7f, v10
	s_cbranch_execz .LBB208_1006
; %bb.1003:                             ;   in Loop: Header=BB208_931 Depth=1
	v_and_b32_e32 v6, 7, v13
	v_lshrrev_b32_e32 v8, 3, v10
	s_mov_b32 s19, exec_lo
	v_cmpx_gt_u32_e32 8, v10
; %bb.1004:                             ;   in Loop: Header=BB208_931 Depth=1
	v_ffbh_u32_e32 v8, v6
	v_min_u32_e32 v8, 32, v8
	v_subrev_nc_u32_e32 v10, 28, v8
	v_sub_nc_u32_e32 v8, 29, v8
	v_lshlrev_b64 v[10:11], v10, v[6:7]
	v_and_b32_e32 v6, 7, v10
; %bb.1005:                             ;   in Loop: Header=BB208_931 Depth=1
	s_or_b32 exec_lo, exec_lo, s19
	v_lshlrev_b32_e32 v10, 24, v13
	v_lshlrev_b32_e32 v6, 20, v6
	v_lshl_add_u32 v8, v8, 23, 0x3c000000
	v_and_b32_e32 v10, 0x80000000, v10
	v_or3_b32 v6, v6, v10, v8
	v_mov_b32_e32 v18, v7
	v_mov_b32_e32 v17, v6
.LBB208_1006:                           ;   in Loop: Header=BB208_931 Depth=1
	s_or_b32 exec_lo, exec_lo, s18
.LBB208_1007:                           ;   in Loop: Header=BB208_931 Depth=1
	s_or_b32 exec_lo, exec_lo, s17
.LBB208_1008:                           ;   in Loop: Header=BB208_931 Depth=1
	s_or_b32 exec_lo, exec_lo, s15
	v_cmp_ne_u16_sdwa s4, v13, v7 src0_sel:BYTE_1 src1_sel:DWORD
	s_and_saveexec_b32 s15, s4
	s_cbranch_execz .LBB208_1016
; %bb.1009:                             ;   in Loop: Header=BB208_931 Depth=1
	v_mov_b32_e32 v8, v7
	v_mov_b32_e32 v20, v9
	v_cmp_ne_u16_sdwa s4, v13, v81 src0_sel:BYTE_1 src1_sel:DWORD
	v_mov_b32_e32 v19, v8
	s_and_saveexec_b32 s17, s4
	s_cbranch_execz .LBB208_1015
; %bb.1010:                             ;   in Loop: Header=BB208_931 Depth=1
	v_mov_b32_e32 v6, 0xffff
	v_mov_b32_e32 v11, v7
	;; [unrolled: 1-line block ×3, first 2 shown]
	s_mov_b32 s18, exec_lo
	v_and_b32_sdwa v6, v6, v13 dst_sel:DWORD dst_unused:UNUSED_PAD src0_sel:DWORD src1_sel:BYTE_1
	v_mov_b32_e32 v19, v11
	v_and_b32_e32 v10, 0x7f, v6
	v_cmpx_ne_u32_e32 0x7f, v10
	s_cbranch_execz .LBB208_1014
; %bb.1011:                             ;   in Loop: Header=BB208_931 Depth=1
	v_and_b32_e32 v6, 7, v6
	v_lshrrev_b32_e32 v8, 3, v10
	s_mov_b32 s19, exec_lo
	v_cmpx_gt_u32_e32 8, v10
; %bb.1012:                             ;   in Loop: Header=BB208_931 Depth=1
	v_ffbh_u32_e32 v8, v6
	v_min_u32_e32 v8, 32, v8
	v_subrev_nc_u32_e32 v10, 28, v8
	v_sub_nc_u32_e32 v8, 29, v8
	v_lshlrev_b64 v[10:11], v10, v[6:7]
	v_and_b32_e32 v6, 7, v10
; %bb.1013:                             ;   in Loop: Header=BB208_931 Depth=1
	s_or_b32 exec_lo, exec_lo, s19
	v_lshlrev_b32_e32 v10, 16, v13
	v_lshlrev_b32_e32 v6, 20, v6
	v_lshl_add_u32 v8, v8, 23, 0x3c000000
	v_mov_b32_e32 v19, v7
	v_and_b32_e32 v10, 0x80000000, v10
	v_or3_b32 v20, v6, v10, v8
.LBB208_1014:                           ;   in Loop: Header=BB208_931 Depth=1
	s_or_b32 exec_lo, exec_lo, s18
.LBB208_1015:                           ;   in Loop: Header=BB208_931 Depth=1
	s_or_b32 exec_lo, exec_lo, s17
.LBB208_1016:                           ;   in Loop: Header=BB208_931 Depth=1
	s_or_b32 exec_lo, exec_lo, s15
	v_mov_b32_e32 v10, 0
	v_mov_b32_e32 v21, 0
	v_and_b32_sdwa v6, v13, v83 dst_sel:DWORD dst_unused:UNUSED_PAD src0_sel:WORD_1 src1_sel:DWORD
	v_mov_b32_e32 v11, 0
	v_mov_b32_e32 v22, 0
	s_mov_b32 s15, exec_lo
	v_cmpx_ne_u16_e32 0, v6
	s_cbranch_execz .LBB208_1024
; %bb.1017:                             ;   in Loop: Header=BB208_931 Depth=1
	v_bfrev_b32_e32 v21, 1
	v_mov_b32_e32 v22, 0
	s_mov_b32 s17, exec_lo
	v_cmpx_ne_u16_e32 0x80, v6
	s_cbranch_execz .LBB208_1023
; %bb.1018:                             ;   in Loop: Header=BB208_931 Depth=1
	v_mov_b32_e32 v21, 0x7f800001
	v_bfe_u32 v14, v13, 16, 7
	v_mov_b32_e32 v22, 0
	s_mov_b32 s18, exec_lo
	v_cmpx_ne_u32_e32 0x7f, v14
	s_cbranch_execz .LBB208_1022
; %bb.1019:                             ;   in Loop: Header=BB208_931 Depth=1
	v_mov_b32_e32 v6, 7
	v_lshrrev_b32_e32 v8, 3, v14
	s_mov_b32 s19, exec_lo
	v_and_b32_sdwa v6, v13, v6 dst_sel:DWORD dst_unused:UNUSED_PAD src0_sel:WORD_1 src1_sel:DWORD
	v_cmpx_gt_u32_e32 8, v14
; %bb.1020:                             ;   in Loop: Header=BB208_931 Depth=1
	v_ffbh_u32_e32 v8, v6
	v_min_u32_e32 v8, 32, v8
	v_subrev_nc_u32_e32 v14, 28, v8
	v_sub_nc_u32_e32 v8, 29, v8
	v_lshlrev_b64 v[21:22], v14, v[6:7]
	v_and_b32_e32 v6, 7, v21
; %bb.1021:                             ;   in Loop: Header=BB208_931 Depth=1
	s_or_b32 exec_lo, exec_lo, s19
	v_mov_b32_e32 v14, 24
	v_lshlrev_b32_e32 v6, 20, v6
	v_lshl_add_u32 v8, v8, 23, 0x3c000000
	v_lshlrev_b32_sdwa v14, v14, v13 dst_sel:DWORD dst_unused:UNUSED_PAD src0_sel:DWORD src1_sel:WORD_1
	v_and_b32_e32 v14, 0x80000000, v14
	v_or3_b32 v6, v6, v14, v8
	v_mov_b32_e32 v22, v7
	v_mov_b32_e32 v21, v6
.LBB208_1022:                           ;   in Loop: Header=BB208_931 Depth=1
	s_or_b32 exec_lo, exec_lo, s18
.LBB208_1023:                           ;   in Loop: Header=BB208_931 Depth=1
	s_or_b32 exec_lo, exec_lo, s17
.LBB208_1024:                           ;   in Loop: Header=BB208_931 Depth=1
	s_or_b32 exec_lo, exec_lo, s15
	s_mov_b32 s15, exec_lo
	v_cmpx_lt_u32_e32 0xffffff, v13
	s_cbranch_execz .LBB208_1032
; %bb.1025:                             ;   in Loop: Header=BB208_931 Depth=1
	v_mov_b32_e32 v8, v7
	v_mov_b32_e32 v11, v9
	v_cmp_ne_u32_sdwa s4, v13, v81 src0_sel:BYTE_3 src1_sel:DWORD
	v_mov_b32_e32 v10, v8
	s_and_saveexec_b32 s17, s4
	s_cbranch_execz .LBB208_1031
; %bb.1026:                             ;   in Loop: Header=BB208_931 Depth=1
	v_mov_b32_e32 v11, v7
	v_bfe_u32 v14, v13, 24, 7
	s_mov_b32 s18, exec_lo
	v_mov_b32_e32 v10, v11
	v_mov_b32_e32 v11, v12
	v_cmpx_ne_u32_e32 0x7f, v14
	s_cbranch_execz .LBB208_1030
; %bb.1027:                             ;   in Loop: Header=BB208_931 Depth=1
	v_mov_b32_e32 v6, 7
	v_lshrrev_b32_e32 v8, 3, v14
	s_mov_b32 s19, exec_lo
	v_and_b32_sdwa v6, v13, v6 dst_sel:DWORD dst_unused:UNUSED_PAD src0_sel:BYTE_3 src1_sel:DWORD
	v_cmpx_gt_u32_e32 8, v14
; %bb.1028:                             ;   in Loop: Header=BB208_931 Depth=1
	v_ffbh_u32_e32 v8, v6
	v_min_u32_e32 v8, 32, v8
	v_subrev_nc_u32_e32 v10, 28, v8
	v_sub_nc_u32_e32 v8, 29, v8
	v_lshlrev_b64 v[10:11], v10, v[6:7]
	v_and_b32_e32 v6, 7, v10
; %bb.1029:                             ;   in Loop: Header=BB208_931 Depth=1
	s_or_b32 exec_lo, exec_lo, s19
	v_mov_b32_e32 v10, 24
	v_lshlrev_b32_e32 v6, 20, v6
	v_lshl_add_u32 v8, v8, 23, 0x3c000000
	v_lshlrev_b32_sdwa v10, v10, v13 dst_sel:DWORD dst_unused:UNUSED_PAD src0_sel:DWORD src1_sel:BYTE_3
	v_and_b32_e32 v10, 0x80000000, v10
	v_or3_b32 v11, v6, v10, v8
	v_mov_b32_e32 v10, v7
.LBB208_1030:                           ;   in Loop: Header=BB208_931 Depth=1
	s_or_b32 exec_lo, exec_lo, s18
.LBB208_1031:                           ;   in Loop: Header=BB208_931 Depth=1
	s_or_b32 exec_lo, exec_lo, s17
.LBB208_1032:                           ;   in Loop: Header=BB208_931 Depth=1
	s_or_b32 exec_lo, exec_lo, s15
	v_or_b32_e32 v6, v20, v18
	v_or_b32_e32 v8, v19, v17
	;; [unrolled: 1-line block ×4, first 2 shown]
	v_mul_f32_e32 v6, v98, v6
	buffer_store_dword v6, off, s[0:3], s32 offset:304 ; 4-byte Folded Spill
	v_mul_f32_e32 v6, v98, v8
	buffer_store_dword v6, off, s[0:3], s32 offset:296 ; 4-byte Folded Spill
	;; [unrolled: 2-line block ×4, first 2 shown]
	s_and_saveexec_b32 s15, vcc_lo
	s_cbranch_execz .LBB208_1034
; %bb.1033:                             ;   in Loop: Header=BB208_931 Depth=1
	buffer_load_dword v6, off, s[0:3], s32 offset:296 ; 4-byte Folded Reload
	v_cmp_lt_i32_e64 s4, v103, v47
	s_waitcnt vmcnt(0)
	v_cndmask_b32_e64 v6, 0, v6, s4
	v_cmp_lt_i32_e64 s4, v114, v47
	buffer_store_dword v6, off, s[0:3], s32 offset:296 ; 4-byte Folded Spill
	buffer_load_dword v6, off, s[0:3], s32 offset:304 ; 4-byte Folded Reload
	s_waitcnt vmcnt(0)
	v_cndmask_b32_e64 v6, 0, v6, s4
	v_cmp_lt_i32_e64 s4, v113, v47
	buffer_store_dword v6, off, s[0:3], s32 offset:304 ; 4-byte Folded Spill
	buffer_load_dword v6, off, s[0:3], s32 offset:288 ; 4-byte Folded Reload
	;; [unrolled: 5-line block ×3, first 2 shown]
	s_waitcnt vmcnt(0)
	v_cndmask_b32_e64 v6, 0, v6, s4
	buffer_store_dword v6, off, s[0:3], s32 offset:280 ; 4-byte Folded Spill
.LBB208_1034:                           ;   in Loop: Header=BB208_931 Depth=1
	s_or_b32 exec_lo, exec_lo, s15
	flat_load_dword v13, v[0:1] offset:384
	v_mov_b32_e32 v19, 0
	v_mov_b32_e32 v17, 0
	;; [unrolled: 1-line block ×4, first 2 shown]
	s_waitcnt vmcnt(0) lgkmcnt(0)
	v_cmp_ne_u16_sdwa s4, v13, v7 src0_sel:BYTE_0 src1_sel:DWORD
	s_and_saveexec_b32 s15, s4
	s_cbranch_execz .LBB208_1042
; %bb.1035:                             ;   in Loop: Header=BB208_931 Depth=1
	v_bfrev_b32_e32 v17, 1
	v_mov_b32_e32 v18, 0
	v_cmp_ne_u16_sdwa s4, v13, v81 src0_sel:BYTE_0 src1_sel:DWORD
	s_and_saveexec_b32 s17, s4
	s_cbranch_execz .LBB208_1041
; %bb.1036:                             ;   in Loop: Header=BB208_931 Depth=1
	v_mov_b32_e32 v17, 0x7f800001
	v_and_b32_e32 v10, 0x7f, v13
	v_mov_b32_e32 v18, 0
	s_mov_b32 s18, exec_lo
	v_cmpx_ne_u32_e32 0x7f, v10
	s_cbranch_execz .LBB208_1040
; %bb.1037:                             ;   in Loop: Header=BB208_931 Depth=1
	v_and_b32_e32 v6, 7, v13
	v_lshrrev_b32_e32 v8, 3, v10
	s_mov_b32 s19, exec_lo
	v_cmpx_gt_u32_e32 8, v10
; %bb.1038:                             ;   in Loop: Header=BB208_931 Depth=1
	v_ffbh_u32_e32 v8, v6
	v_min_u32_e32 v8, 32, v8
	v_subrev_nc_u32_e32 v10, 28, v8
	v_sub_nc_u32_e32 v8, 29, v8
	v_lshlrev_b64 v[10:11], v10, v[6:7]
	v_and_b32_e32 v6, 7, v10
; %bb.1039:                             ;   in Loop: Header=BB208_931 Depth=1
	s_or_b32 exec_lo, exec_lo, s19
	v_lshlrev_b32_e32 v10, 24, v13
	v_lshlrev_b32_e32 v6, 20, v6
	v_lshl_add_u32 v8, v8, 23, 0x3c000000
	v_and_b32_e32 v10, 0x80000000, v10
	v_or3_b32 v6, v6, v10, v8
	v_mov_b32_e32 v18, v7
	v_mov_b32_e32 v17, v6
.LBB208_1040:                           ;   in Loop: Header=BB208_931 Depth=1
	s_or_b32 exec_lo, exec_lo, s18
.LBB208_1041:                           ;   in Loop: Header=BB208_931 Depth=1
	s_or_b32 exec_lo, exec_lo, s17
.LBB208_1042:                           ;   in Loop: Header=BB208_931 Depth=1
	s_or_b32 exec_lo, exec_lo, s15
	v_cmp_ne_u16_sdwa s4, v13, v7 src0_sel:BYTE_1 src1_sel:DWORD
	s_and_saveexec_b32 s15, s4
	s_cbranch_execz .LBB208_1050
; %bb.1043:                             ;   in Loop: Header=BB208_931 Depth=1
	v_mov_b32_e32 v8, v7
	v_mov_b32_e32 v20, v9
	v_cmp_ne_u16_sdwa s4, v13, v81 src0_sel:BYTE_1 src1_sel:DWORD
	v_mov_b32_e32 v19, v8
	s_and_saveexec_b32 s17, s4
	s_cbranch_execz .LBB208_1049
; %bb.1044:                             ;   in Loop: Header=BB208_931 Depth=1
	v_mov_b32_e32 v6, 0xffff
	v_mov_b32_e32 v11, v7
	;; [unrolled: 1-line block ×3, first 2 shown]
	s_mov_b32 s18, exec_lo
	v_and_b32_sdwa v6, v6, v13 dst_sel:DWORD dst_unused:UNUSED_PAD src0_sel:DWORD src1_sel:BYTE_1
	v_mov_b32_e32 v19, v11
	v_and_b32_e32 v10, 0x7f, v6
	v_cmpx_ne_u32_e32 0x7f, v10
	s_cbranch_execz .LBB208_1048
; %bb.1045:                             ;   in Loop: Header=BB208_931 Depth=1
	v_and_b32_e32 v6, 7, v6
	v_lshrrev_b32_e32 v8, 3, v10
	s_mov_b32 s19, exec_lo
	v_cmpx_gt_u32_e32 8, v10
; %bb.1046:                             ;   in Loop: Header=BB208_931 Depth=1
	v_ffbh_u32_e32 v8, v6
	v_min_u32_e32 v8, 32, v8
	v_subrev_nc_u32_e32 v10, 28, v8
	v_sub_nc_u32_e32 v8, 29, v8
	v_lshlrev_b64 v[10:11], v10, v[6:7]
	v_and_b32_e32 v6, 7, v10
; %bb.1047:                             ;   in Loop: Header=BB208_931 Depth=1
	s_or_b32 exec_lo, exec_lo, s19
	v_lshlrev_b32_e32 v10, 16, v13
	v_lshlrev_b32_e32 v6, 20, v6
	v_lshl_add_u32 v8, v8, 23, 0x3c000000
	v_mov_b32_e32 v19, v7
	v_and_b32_e32 v10, 0x80000000, v10
	v_or3_b32 v20, v6, v10, v8
.LBB208_1048:                           ;   in Loop: Header=BB208_931 Depth=1
	s_or_b32 exec_lo, exec_lo, s18
.LBB208_1049:                           ;   in Loop: Header=BB208_931 Depth=1
	s_or_b32 exec_lo, exec_lo, s17
.LBB208_1050:                           ;   in Loop: Header=BB208_931 Depth=1
	s_or_b32 exec_lo, exec_lo, s15
	v_mov_b32_e32 v10, 0
	v_mov_b32_e32 v21, 0
	v_and_b32_sdwa v6, v13, v83 dst_sel:DWORD dst_unused:UNUSED_PAD src0_sel:WORD_1 src1_sel:DWORD
	v_mov_b32_e32 v11, 0
	v_mov_b32_e32 v22, 0
	s_mov_b32 s15, exec_lo
	v_cmpx_ne_u16_e32 0, v6
	s_cbranch_execz .LBB208_1058
; %bb.1051:                             ;   in Loop: Header=BB208_931 Depth=1
	v_bfrev_b32_e32 v21, 1
	v_mov_b32_e32 v22, 0
	s_mov_b32 s17, exec_lo
	v_cmpx_ne_u16_e32 0x80, v6
	s_cbranch_execz .LBB208_1057
; %bb.1052:                             ;   in Loop: Header=BB208_931 Depth=1
	v_mov_b32_e32 v21, 0x7f800001
	v_bfe_u32 v14, v13, 16, 7
	v_mov_b32_e32 v22, 0
	s_mov_b32 s18, exec_lo
	v_cmpx_ne_u32_e32 0x7f, v14
	s_cbranch_execz .LBB208_1056
; %bb.1053:                             ;   in Loop: Header=BB208_931 Depth=1
	v_mov_b32_e32 v6, 7
	v_lshrrev_b32_e32 v8, 3, v14
	s_mov_b32 s19, exec_lo
	v_and_b32_sdwa v6, v13, v6 dst_sel:DWORD dst_unused:UNUSED_PAD src0_sel:WORD_1 src1_sel:DWORD
	v_cmpx_gt_u32_e32 8, v14
; %bb.1054:                             ;   in Loop: Header=BB208_931 Depth=1
	v_ffbh_u32_e32 v8, v6
	v_min_u32_e32 v8, 32, v8
	v_subrev_nc_u32_e32 v14, 28, v8
	v_sub_nc_u32_e32 v8, 29, v8
	v_lshlrev_b64 v[21:22], v14, v[6:7]
	v_and_b32_e32 v6, 7, v21
; %bb.1055:                             ;   in Loop: Header=BB208_931 Depth=1
	s_or_b32 exec_lo, exec_lo, s19
	v_mov_b32_e32 v14, 24
	v_lshlrev_b32_e32 v6, 20, v6
	v_lshl_add_u32 v8, v8, 23, 0x3c000000
	v_lshlrev_b32_sdwa v14, v14, v13 dst_sel:DWORD dst_unused:UNUSED_PAD src0_sel:DWORD src1_sel:WORD_1
	v_and_b32_e32 v14, 0x80000000, v14
	v_or3_b32 v6, v6, v14, v8
	v_mov_b32_e32 v22, v7
	v_mov_b32_e32 v21, v6
.LBB208_1056:                           ;   in Loop: Header=BB208_931 Depth=1
	s_or_b32 exec_lo, exec_lo, s18
.LBB208_1057:                           ;   in Loop: Header=BB208_931 Depth=1
	s_or_b32 exec_lo, exec_lo, s17
.LBB208_1058:                           ;   in Loop: Header=BB208_931 Depth=1
	s_or_b32 exec_lo, exec_lo, s15
	s_mov_b32 s15, exec_lo
	v_cmpx_lt_u32_e32 0xffffff, v13
	s_cbranch_execz .LBB208_1066
; %bb.1059:                             ;   in Loop: Header=BB208_931 Depth=1
	v_mov_b32_e32 v8, v7
	v_mov_b32_e32 v11, v9
	v_cmp_ne_u32_sdwa s4, v13, v81 src0_sel:BYTE_3 src1_sel:DWORD
	v_mov_b32_e32 v10, v8
	s_and_saveexec_b32 s17, s4
	s_cbranch_execz .LBB208_1065
; %bb.1060:                             ;   in Loop: Header=BB208_931 Depth=1
	v_mov_b32_e32 v11, v7
	v_bfe_u32 v14, v13, 24, 7
	s_mov_b32 s18, exec_lo
	v_mov_b32_e32 v10, v11
	v_mov_b32_e32 v11, v12
	v_cmpx_ne_u32_e32 0x7f, v14
	s_cbranch_execz .LBB208_1064
; %bb.1061:                             ;   in Loop: Header=BB208_931 Depth=1
	v_mov_b32_e32 v6, 7
	v_lshrrev_b32_e32 v8, 3, v14
	s_mov_b32 s19, exec_lo
	v_and_b32_sdwa v6, v13, v6 dst_sel:DWORD dst_unused:UNUSED_PAD src0_sel:BYTE_3 src1_sel:DWORD
	v_cmpx_gt_u32_e32 8, v14
; %bb.1062:                             ;   in Loop: Header=BB208_931 Depth=1
	v_ffbh_u32_e32 v8, v6
	v_min_u32_e32 v8, 32, v8
	v_subrev_nc_u32_e32 v10, 28, v8
	v_sub_nc_u32_e32 v8, 29, v8
	v_lshlrev_b64 v[10:11], v10, v[6:7]
	v_and_b32_e32 v6, 7, v10
; %bb.1063:                             ;   in Loop: Header=BB208_931 Depth=1
	s_or_b32 exec_lo, exec_lo, s19
	v_mov_b32_e32 v10, 24
	v_lshlrev_b32_e32 v6, 20, v6
	v_lshl_add_u32 v8, v8, 23, 0x3c000000
	v_lshlrev_b32_sdwa v10, v10, v13 dst_sel:DWORD dst_unused:UNUSED_PAD src0_sel:DWORD src1_sel:BYTE_3
	v_and_b32_e32 v10, 0x80000000, v10
	v_or3_b32 v11, v6, v10, v8
	v_mov_b32_e32 v10, v7
.LBB208_1064:                           ;   in Loop: Header=BB208_931 Depth=1
	s_or_b32 exec_lo, exec_lo, s18
.LBB208_1065:                           ;   in Loop: Header=BB208_931 Depth=1
	s_or_b32 exec_lo, exec_lo, s17
.LBB208_1066:                           ;   in Loop: Header=BB208_931 Depth=1
	s_or_b32 exec_lo, exec_lo, s15
	v_or_b32_e32 v6, v20, v18
	v_or_b32_e32 v8, v19, v17
	;; [unrolled: 1-line block ×4, first 2 shown]
	v_mul_f32_e32 v6, v98, v6
	buffer_store_dword v6, off, s[0:3], s32 offset:336 ; 4-byte Folded Spill
	v_mul_f32_e32 v6, v98, v8
	buffer_store_dword v6, off, s[0:3], s32 offset:328 ; 4-byte Folded Spill
	;; [unrolled: 2-line block ×4, first 2 shown]
	s_and_saveexec_b32 s15, vcc_lo
	s_cbranch_execz .LBB208_1068
; %bb.1067:                             ;   in Loop: Header=BB208_931 Depth=1
	buffer_load_dword v6, off, s[0:3], s32 offset:328 ; 4-byte Folded Reload
	v_cmp_lt_i32_e64 s4, v103, v47
	s_waitcnt vmcnt(0)
	v_cndmask_b32_e64 v6, 0, v6, s4
	v_cmp_lt_i32_e64 s4, v114, v47
	buffer_store_dword v6, off, s[0:3], s32 offset:328 ; 4-byte Folded Spill
	buffer_load_dword v6, off, s[0:3], s32 offset:336 ; 4-byte Folded Reload
	s_waitcnt vmcnt(0)
	v_cndmask_b32_e64 v6, 0, v6, s4
	v_cmp_lt_i32_e64 s4, v113, v47
	buffer_store_dword v6, off, s[0:3], s32 offset:336 ; 4-byte Folded Spill
	buffer_load_dword v6, off, s[0:3], s32 offset:320 ; 4-byte Folded Reload
	;; [unrolled: 5-line block ×3, first 2 shown]
	s_waitcnt vmcnt(0)
	v_cndmask_b32_e64 v6, 0, v6, s4
	buffer_store_dword v6, off, s[0:3], s32 offset:312 ; 4-byte Folded Spill
.LBB208_1068:                           ;   in Loop: Header=BB208_931 Depth=1
	s_or_b32 exec_lo, exec_lo, s15
	flat_load_dword v13, v[0:1] offset:512
	v_mov_b32_e32 v19, 0
	v_mov_b32_e32 v17, 0
	;; [unrolled: 1-line block ×4, first 2 shown]
	s_waitcnt vmcnt(0) lgkmcnt(0)
	v_cmp_ne_u16_sdwa s4, v13, v7 src0_sel:BYTE_0 src1_sel:DWORD
	s_and_saveexec_b32 s15, s4
	s_cbranch_execz .LBB208_1076
; %bb.1069:                             ;   in Loop: Header=BB208_931 Depth=1
	v_bfrev_b32_e32 v17, 1
	v_mov_b32_e32 v18, 0
	v_cmp_ne_u16_sdwa s4, v13, v81 src0_sel:BYTE_0 src1_sel:DWORD
	s_and_saveexec_b32 s17, s4
	s_cbranch_execz .LBB208_1075
; %bb.1070:                             ;   in Loop: Header=BB208_931 Depth=1
	v_mov_b32_e32 v17, 0x7f800001
	v_and_b32_e32 v10, 0x7f, v13
	v_mov_b32_e32 v18, 0
	s_mov_b32 s18, exec_lo
	v_cmpx_ne_u32_e32 0x7f, v10
	s_cbranch_execz .LBB208_1074
; %bb.1071:                             ;   in Loop: Header=BB208_931 Depth=1
	v_and_b32_e32 v6, 7, v13
	v_lshrrev_b32_e32 v8, 3, v10
	s_mov_b32 s19, exec_lo
	v_cmpx_gt_u32_e32 8, v10
; %bb.1072:                             ;   in Loop: Header=BB208_931 Depth=1
	v_ffbh_u32_e32 v8, v6
	v_min_u32_e32 v8, 32, v8
	v_subrev_nc_u32_e32 v10, 28, v8
	v_sub_nc_u32_e32 v8, 29, v8
	v_lshlrev_b64 v[10:11], v10, v[6:7]
	v_and_b32_e32 v6, 7, v10
; %bb.1073:                             ;   in Loop: Header=BB208_931 Depth=1
	s_or_b32 exec_lo, exec_lo, s19
	v_lshlrev_b32_e32 v10, 24, v13
	v_lshlrev_b32_e32 v6, 20, v6
	v_lshl_add_u32 v8, v8, 23, 0x3c000000
	v_and_b32_e32 v10, 0x80000000, v10
	v_or3_b32 v6, v6, v10, v8
	v_mov_b32_e32 v18, v7
	v_mov_b32_e32 v17, v6
.LBB208_1074:                           ;   in Loop: Header=BB208_931 Depth=1
	s_or_b32 exec_lo, exec_lo, s18
.LBB208_1075:                           ;   in Loop: Header=BB208_931 Depth=1
	s_or_b32 exec_lo, exec_lo, s17
.LBB208_1076:                           ;   in Loop: Header=BB208_931 Depth=1
	s_or_b32 exec_lo, exec_lo, s15
	v_cmp_ne_u16_sdwa s4, v13, v7 src0_sel:BYTE_1 src1_sel:DWORD
	s_and_saveexec_b32 s15, s4
	s_cbranch_execz .LBB208_1084
; %bb.1077:                             ;   in Loop: Header=BB208_931 Depth=1
	v_mov_b32_e32 v8, v7
	v_mov_b32_e32 v20, v9
	v_cmp_ne_u16_sdwa s4, v13, v81 src0_sel:BYTE_1 src1_sel:DWORD
	v_mov_b32_e32 v19, v8
	s_and_saveexec_b32 s17, s4
	s_cbranch_execz .LBB208_1083
; %bb.1078:                             ;   in Loop: Header=BB208_931 Depth=1
	v_mov_b32_e32 v6, 0xffff
	v_mov_b32_e32 v11, v7
	v_mov_b32_e32 v20, v12
	s_mov_b32 s18, exec_lo
	v_and_b32_sdwa v6, v6, v13 dst_sel:DWORD dst_unused:UNUSED_PAD src0_sel:DWORD src1_sel:BYTE_1
	v_mov_b32_e32 v19, v11
	v_and_b32_e32 v10, 0x7f, v6
	v_cmpx_ne_u32_e32 0x7f, v10
	s_cbranch_execz .LBB208_1082
; %bb.1079:                             ;   in Loop: Header=BB208_931 Depth=1
	v_and_b32_e32 v6, 7, v6
	v_lshrrev_b32_e32 v8, 3, v10
	s_mov_b32 s19, exec_lo
	v_cmpx_gt_u32_e32 8, v10
; %bb.1080:                             ;   in Loop: Header=BB208_931 Depth=1
	v_ffbh_u32_e32 v8, v6
	v_min_u32_e32 v8, 32, v8
	v_subrev_nc_u32_e32 v10, 28, v8
	v_sub_nc_u32_e32 v8, 29, v8
	v_lshlrev_b64 v[10:11], v10, v[6:7]
	v_and_b32_e32 v6, 7, v10
; %bb.1081:                             ;   in Loop: Header=BB208_931 Depth=1
	s_or_b32 exec_lo, exec_lo, s19
	v_lshlrev_b32_e32 v10, 16, v13
	v_lshlrev_b32_e32 v6, 20, v6
	v_lshl_add_u32 v8, v8, 23, 0x3c000000
	v_mov_b32_e32 v19, v7
	v_and_b32_e32 v10, 0x80000000, v10
	v_or3_b32 v20, v6, v10, v8
.LBB208_1082:                           ;   in Loop: Header=BB208_931 Depth=1
	s_or_b32 exec_lo, exec_lo, s18
.LBB208_1083:                           ;   in Loop: Header=BB208_931 Depth=1
	s_or_b32 exec_lo, exec_lo, s17
.LBB208_1084:                           ;   in Loop: Header=BB208_931 Depth=1
	s_or_b32 exec_lo, exec_lo, s15
	v_mov_b32_e32 v10, 0
	v_mov_b32_e32 v21, 0
	v_and_b32_sdwa v6, v13, v83 dst_sel:DWORD dst_unused:UNUSED_PAD src0_sel:WORD_1 src1_sel:DWORD
	v_mov_b32_e32 v11, 0
	v_mov_b32_e32 v22, 0
	s_mov_b32 s15, exec_lo
	v_cmpx_ne_u16_e32 0, v6
	s_cbranch_execz .LBB208_1092
; %bb.1085:                             ;   in Loop: Header=BB208_931 Depth=1
	v_bfrev_b32_e32 v21, 1
	v_mov_b32_e32 v22, 0
	s_mov_b32 s17, exec_lo
	v_cmpx_ne_u16_e32 0x80, v6
	s_cbranch_execz .LBB208_1091
; %bb.1086:                             ;   in Loop: Header=BB208_931 Depth=1
	v_mov_b32_e32 v21, 0x7f800001
	v_bfe_u32 v14, v13, 16, 7
	v_mov_b32_e32 v22, 0
	s_mov_b32 s18, exec_lo
	v_cmpx_ne_u32_e32 0x7f, v14
	s_cbranch_execz .LBB208_1090
; %bb.1087:                             ;   in Loop: Header=BB208_931 Depth=1
	v_mov_b32_e32 v6, 7
	v_lshrrev_b32_e32 v8, 3, v14
	s_mov_b32 s19, exec_lo
	v_and_b32_sdwa v6, v13, v6 dst_sel:DWORD dst_unused:UNUSED_PAD src0_sel:WORD_1 src1_sel:DWORD
	v_cmpx_gt_u32_e32 8, v14
; %bb.1088:                             ;   in Loop: Header=BB208_931 Depth=1
	v_ffbh_u32_e32 v8, v6
	v_min_u32_e32 v8, 32, v8
	v_subrev_nc_u32_e32 v14, 28, v8
	v_sub_nc_u32_e32 v8, 29, v8
	v_lshlrev_b64 v[21:22], v14, v[6:7]
	v_and_b32_e32 v6, 7, v21
; %bb.1089:                             ;   in Loop: Header=BB208_931 Depth=1
	s_or_b32 exec_lo, exec_lo, s19
	v_mov_b32_e32 v14, 24
	v_lshlrev_b32_e32 v6, 20, v6
	v_lshl_add_u32 v8, v8, 23, 0x3c000000
	v_lshlrev_b32_sdwa v14, v14, v13 dst_sel:DWORD dst_unused:UNUSED_PAD src0_sel:DWORD src1_sel:WORD_1
	v_and_b32_e32 v14, 0x80000000, v14
	v_or3_b32 v6, v6, v14, v8
	v_mov_b32_e32 v22, v7
	v_mov_b32_e32 v21, v6
.LBB208_1090:                           ;   in Loop: Header=BB208_931 Depth=1
	s_or_b32 exec_lo, exec_lo, s18
.LBB208_1091:                           ;   in Loop: Header=BB208_931 Depth=1
	s_or_b32 exec_lo, exec_lo, s17
.LBB208_1092:                           ;   in Loop: Header=BB208_931 Depth=1
	s_or_b32 exec_lo, exec_lo, s15
	s_mov_b32 s15, exec_lo
	v_cmpx_lt_u32_e32 0xffffff, v13
	s_cbranch_execz .LBB208_1100
; %bb.1093:                             ;   in Loop: Header=BB208_931 Depth=1
	v_mov_b32_e32 v8, v7
	v_mov_b32_e32 v11, v9
	v_cmp_ne_u32_sdwa s4, v13, v81 src0_sel:BYTE_3 src1_sel:DWORD
	v_mov_b32_e32 v10, v8
	s_and_saveexec_b32 s17, s4
	s_cbranch_execz .LBB208_1099
; %bb.1094:                             ;   in Loop: Header=BB208_931 Depth=1
	v_mov_b32_e32 v11, v7
	v_bfe_u32 v14, v13, 24, 7
	s_mov_b32 s18, exec_lo
	v_mov_b32_e32 v10, v11
	v_mov_b32_e32 v11, v12
	v_cmpx_ne_u32_e32 0x7f, v14
	s_cbranch_execz .LBB208_1098
; %bb.1095:                             ;   in Loop: Header=BB208_931 Depth=1
	v_mov_b32_e32 v6, 7
	v_lshrrev_b32_e32 v8, 3, v14
	s_mov_b32 s19, exec_lo
	v_and_b32_sdwa v6, v13, v6 dst_sel:DWORD dst_unused:UNUSED_PAD src0_sel:BYTE_3 src1_sel:DWORD
	v_cmpx_gt_u32_e32 8, v14
; %bb.1096:                             ;   in Loop: Header=BB208_931 Depth=1
	v_ffbh_u32_e32 v8, v6
	v_min_u32_e32 v8, 32, v8
	v_subrev_nc_u32_e32 v10, 28, v8
	v_sub_nc_u32_e32 v8, 29, v8
	v_lshlrev_b64 v[10:11], v10, v[6:7]
	v_and_b32_e32 v6, 7, v10
; %bb.1097:                             ;   in Loop: Header=BB208_931 Depth=1
	s_or_b32 exec_lo, exec_lo, s19
	v_mov_b32_e32 v10, 24
	v_lshlrev_b32_e32 v6, 20, v6
	v_lshl_add_u32 v8, v8, 23, 0x3c000000
	v_lshlrev_b32_sdwa v10, v10, v13 dst_sel:DWORD dst_unused:UNUSED_PAD src0_sel:DWORD src1_sel:BYTE_3
	v_and_b32_e32 v10, 0x80000000, v10
	v_or3_b32 v11, v6, v10, v8
	v_mov_b32_e32 v10, v7
.LBB208_1098:                           ;   in Loop: Header=BB208_931 Depth=1
	s_or_b32 exec_lo, exec_lo, s18
.LBB208_1099:                           ;   in Loop: Header=BB208_931 Depth=1
	s_or_b32 exec_lo, exec_lo, s17
.LBB208_1100:                           ;   in Loop: Header=BB208_931 Depth=1
	s_or_b32 exec_lo, exec_lo, s15
	v_or_b32_e32 v6, v20, v18
	v_or_b32_e32 v8, v19, v17
	;; [unrolled: 1-line block ×4, first 2 shown]
	v_mul_f32_e32 v58, v98, v6
	v_mul_f32_e32 v57, v98, v8
	v_mul_f32_e32 v56, v98, v10
	v_mul_f32_e32 v26, v98, v11
	s_and_saveexec_b32 s15, vcc_lo
	s_cbranch_execz .LBB208_1102
; %bb.1101:                             ;   in Loop: Header=BB208_931 Depth=1
	v_cmp_lt_i32_e64 s4, v103, v47
	v_cndmask_b32_e64 v57, 0, v57, s4
	v_cmp_lt_i32_e64 s4, v114, v47
	v_cndmask_b32_e64 v58, 0, v58, s4
	v_cmp_lt_i32_e64 s4, v113, v47
	v_cndmask_b32_e64 v56, 0, v56, s4
	v_cmp_lt_i32_e64 s4, v112, v47
	v_cndmask_b32_e64 v26, 0, v26, s4
.LBB208_1102:                           ;   in Loop: Header=BB208_931 Depth=1
	s_or_b32 exec_lo, exec_lo, s15
	flat_load_dword v13, v[0:1] offset:640
	v_mov_b32_e32 v19, 0
	v_mov_b32_e32 v17, 0
	;; [unrolled: 1-line block ×4, first 2 shown]
	s_waitcnt vmcnt(0) lgkmcnt(0)
	v_cmp_ne_u16_sdwa s4, v13, v7 src0_sel:BYTE_0 src1_sel:DWORD
	s_and_saveexec_b32 s15, s4
	s_cbranch_execz .LBB208_1110
; %bb.1103:                             ;   in Loop: Header=BB208_931 Depth=1
	v_bfrev_b32_e32 v17, 1
	v_mov_b32_e32 v18, 0
	v_cmp_ne_u16_sdwa s4, v13, v81 src0_sel:BYTE_0 src1_sel:DWORD
	s_and_saveexec_b32 s17, s4
	s_cbranch_execz .LBB208_1109
; %bb.1104:                             ;   in Loop: Header=BB208_931 Depth=1
	v_mov_b32_e32 v17, 0x7f800001
	v_and_b32_e32 v10, 0x7f, v13
	v_mov_b32_e32 v18, 0
	s_mov_b32 s18, exec_lo
	v_cmpx_ne_u32_e32 0x7f, v10
	s_cbranch_execz .LBB208_1108
; %bb.1105:                             ;   in Loop: Header=BB208_931 Depth=1
	v_and_b32_e32 v6, 7, v13
	v_lshrrev_b32_e32 v8, 3, v10
	s_mov_b32 s19, exec_lo
	v_cmpx_gt_u32_e32 8, v10
; %bb.1106:                             ;   in Loop: Header=BB208_931 Depth=1
	v_ffbh_u32_e32 v8, v6
	v_min_u32_e32 v8, 32, v8
	v_subrev_nc_u32_e32 v10, 28, v8
	v_sub_nc_u32_e32 v8, 29, v8
	v_lshlrev_b64 v[10:11], v10, v[6:7]
	v_and_b32_e32 v6, 7, v10
; %bb.1107:                             ;   in Loop: Header=BB208_931 Depth=1
	s_or_b32 exec_lo, exec_lo, s19
	v_lshlrev_b32_e32 v10, 24, v13
	v_lshlrev_b32_e32 v6, 20, v6
	v_lshl_add_u32 v8, v8, 23, 0x3c000000
	v_and_b32_e32 v10, 0x80000000, v10
	v_or3_b32 v6, v6, v10, v8
	v_mov_b32_e32 v18, v7
	v_mov_b32_e32 v17, v6
.LBB208_1108:                           ;   in Loop: Header=BB208_931 Depth=1
	s_or_b32 exec_lo, exec_lo, s18
.LBB208_1109:                           ;   in Loop: Header=BB208_931 Depth=1
	s_or_b32 exec_lo, exec_lo, s17
.LBB208_1110:                           ;   in Loop: Header=BB208_931 Depth=1
	s_or_b32 exec_lo, exec_lo, s15
	v_cmp_ne_u16_sdwa s4, v13, v7 src0_sel:BYTE_1 src1_sel:DWORD
	s_and_saveexec_b32 s15, s4
	s_cbranch_execz .LBB208_1118
; %bb.1111:                             ;   in Loop: Header=BB208_931 Depth=1
	v_mov_b32_e32 v8, v7
	v_mov_b32_e32 v20, v9
	v_cmp_ne_u16_sdwa s4, v13, v81 src0_sel:BYTE_1 src1_sel:DWORD
	v_mov_b32_e32 v19, v8
	s_and_saveexec_b32 s17, s4
	s_cbranch_execz .LBB208_1117
; %bb.1112:                             ;   in Loop: Header=BB208_931 Depth=1
	v_mov_b32_e32 v6, 0xffff
	v_mov_b32_e32 v11, v7
	;; [unrolled: 1-line block ×3, first 2 shown]
	s_mov_b32 s18, exec_lo
	v_and_b32_sdwa v6, v6, v13 dst_sel:DWORD dst_unused:UNUSED_PAD src0_sel:DWORD src1_sel:BYTE_1
	v_mov_b32_e32 v19, v11
	v_and_b32_e32 v10, 0x7f, v6
	v_cmpx_ne_u32_e32 0x7f, v10
	s_cbranch_execz .LBB208_1116
; %bb.1113:                             ;   in Loop: Header=BB208_931 Depth=1
	v_and_b32_e32 v6, 7, v6
	v_lshrrev_b32_e32 v8, 3, v10
	s_mov_b32 s19, exec_lo
	v_cmpx_gt_u32_e32 8, v10
; %bb.1114:                             ;   in Loop: Header=BB208_931 Depth=1
	v_ffbh_u32_e32 v8, v6
	v_min_u32_e32 v8, 32, v8
	v_subrev_nc_u32_e32 v10, 28, v8
	v_sub_nc_u32_e32 v8, 29, v8
	v_lshlrev_b64 v[10:11], v10, v[6:7]
	v_and_b32_e32 v6, 7, v10
; %bb.1115:                             ;   in Loop: Header=BB208_931 Depth=1
	s_or_b32 exec_lo, exec_lo, s19
	v_lshlrev_b32_e32 v10, 16, v13
	v_lshlrev_b32_e32 v6, 20, v6
	v_lshl_add_u32 v8, v8, 23, 0x3c000000
	v_mov_b32_e32 v19, v7
	v_and_b32_e32 v10, 0x80000000, v10
	v_or3_b32 v20, v6, v10, v8
.LBB208_1116:                           ;   in Loop: Header=BB208_931 Depth=1
	s_or_b32 exec_lo, exec_lo, s18
.LBB208_1117:                           ;   in Loop: Header=BB208_931 Depth=1
	s_or_b32 exec_lo, exec_lo, s17
.LBB208_1118:                           ;   in Loop: Header=BB208_931 Depth=1
	s_or_b32 exec_lo, exec_lo, s15
	v_mov_b32_e32 v10, 0
	v_mov_b32_e32 v21, 0
	v_and_b32_sdwa v6, v13, v83 dst_sel:DWORD dst_unused:UNUSED_PAD src0_sel:WORD_1 src1_sel:DWORD
	v_mov_b32_e32 v11, 0
	v_mov_b32_e32 v22, 0
	s_mov_b32 s15, exec_lo
	v_cmpx_ne_u16_e32 0, v6
	s_cbranch_execz .LBB208_1126
; %bb.1119:                             ;   in Loop: Header=BB208_931 Depth=1
	v_bfrev_b32_e32 v21, 1
	v_mov_b32_e32 v22, 0
	s_mov_b32 s17, exec_lo
	v_cmpx_ne_u16_e32 0x80, v6
	s_cbranch_execz .LBB208_1125
; %bb.1120:                             ;   in Loop: Header=BB208_931 Depth=1
	v_mov_b32_e32 v21, 0x7f800001
	v_bfe_u32 v14, v13, 16, 7
	v_mov_b32_e32 v22, 0
	s_mov_b32 s18, exec_lo
	v_cmpx_ne_u32_e32 0x7f, v14
	s_cbranch_execz .LBB208_1124
; %bb.1121:                             ;   in Loop: Header=BB208_931 Depth=1
	v_mov_b32_e32 v6, 7
	v_lshrrev_b32_e32 v8, 3, v14
	s_mov_b32 s19, exec_lo
	v_and_b32_sdwa v6, v13, v6 dst_sel:DWORD dst_unused:UNUSED_PAD src0_sel:WORD_1 src1_sel:DWORD
	v_cmpx_gt_u32_e32 8, v14
; %bb.1122:                             ;   in Loop: Header=BB208_931 Depth=1
	v_ffbh_u32_e32 v8, v6
	v_min_u32_e32 v8, 32, v8
	v_subrev_nc_u32_e32 v14, 28, v8
	v_sub_nc_u32_e32 v8, 29, v8
	v_lshlrev_b64 v[21:22], v14, v[6:7]
	v_and_b32_e32 v6, 7, v21
; %bb.1123:                             ;   in Loop: Header=BB208_931 Depth=1
	s_or_b32 exec_lo, exec_lo, s19
	v_mov_b32_e32 v14, 24
	v_lshlrev_b32_e32 v6, 20, v6
	v_lshl_add_u32 v8, v8, 23, 0x3c000000
	v_lshlrev_b32_sdwa v14, v14, v13 dst_sel:DWORD dst_unused:UNUSED_PAD src0_sel:DWORD src1_sel:WORD_1
	v_and_b32_e32 v14, 0x80000000, v14
	v_or3_b32 v6, v6, v14, v8
	v_mov_b32_e32 v22, v7
	v_mov_b32_e32 v21, v6
.LBB208_1124:                           ;   in Loop: Header=BB208_931 Depth=1
	s_or_b32 exec_lo, exec_lo, s18
.LBB208_1125:                           ;   in Loop: Header=BB208_931 Depth=1
	s_or_b32 exec_lo, exec_lo, s17
.LBB208_1126:                           ;   in Loop: Header=BB208_931 Depth=1
	s_or_b32 exec_lo, exec_lo, s15
	s_mov_b32 s15, exec_lo
	v_cmpx_lt_u32_e32 0xffffff, v13
	s_cbranch_execz .LBB208_1134
; %bb.1127:                             ;   in Loop: Header=BB208_931 Depth=1
	v_mov_b32_e32 v8, v7
	v_mov_b32_e32 v11, v9
	v_cmp_ne_u32_sdwa s4, v13, v81 src0_sel:BYTE_3 src1_sel:DWORD
	v_mov_b32_e32 v10, v8
	s_and_saveexec_b32 s17, s4
	s_cbranch_execz .LBB208_1133
; %bb.1128:                             ;   in Loop: Header=BB208_931 Depth=1
	v_mov_b32_e32 v11, v7
	v_bfe_u32 v14, v13, 24, 7
	s_mov_b32 s18, exec_lo
	v_mov_b32_e32 v10, v11
	v_mov_b32_e32 v11, v12
	v_cmpx_ne_u32_e32 0x7f, v14
	s_cbranch_execz .LBB208_1132
; %bb.1129:                             ;   in Loop: Header=BB208_931 Depth=1
	v_mov_b32_e32 v6, 7
	v_lshrrev_b32_e32 v8, 3, v14
	s_mov_b32 s19, exec_lo
	v_and_b32_sdwa v6, v13, v6 dst_sel:DWORD dst_unused:UNUSED_PAD src0_sel:BYTE_3 src1_sel:DWORD
	v_cmpx_gt_u32_e32 8, v14
; %bb.1130:                             ;   in Loop: Header=BB208_931 Depth=1
	v_ffbh_u32_e32 v8, v6
	v_min_u32_e32 v8, 32, v8
	v_subrev_nc_u32_e32 v10, 28, v8
	v_sub_nc_u32_e32 v8, 29, v8
	v_lshlrev_b64 v[10:11], v10, v[6:7]
	v_and_b32_e32 v6, 7, v10
; %bb.1131:                             ;   in Loop: Header=BB208_931 Depth=1
	s_or_b32 exec_lo, exec_lo, s19
	v_mov_b32_e32 v10, 24
	v_lshlrev_b32_e32 v6, 20, v6
	v_lshl_add_u32 v8, v8, 23, 0x3c000000
	v_lshlrev_b32_sdwa v10, v10, v13 dst_sel:DWORD dst_unused:UNUSED_PAD src0_sel:DWORD src1_sel:BYTE_3
	v_and_b32_e32 v10, 0x80000000, v10
	v_or3_b32 v11, v6, v10, v8
	v_mov_b32_e32 v10, v7
.LBB208_1132:                           ;   in Loop: Header=BB208_931 Depth=1
	s_or_b32 exec_lo, exec_lo, s18
.LBB208_1133:                           ;   in Loop: Header=BB208_931 Depth=1
	s_or_b32 exec_lo, exec_lo, s17
.LBB208_1134:                           ;   in Loop: Header=BB208_931 Depth=1
	s_or_b32 exec_lo, exec_lo, s15
	v_or_b32_e32 v6, v20, v18
	v_or_b32_e32 v8, v19, v17
	;; [unrolled: 1-line block ×4, first 2 shown]
	v_mul_f32_e32 v62, v98, v6
	v_mul_f32_e32 v61, v98, v8
	;; [unrolled: 1-line block ×4, first 2 shown]
	s_and_saveexec_b32 s15, vcc_lo
	s_cbranch_execz .LBB208_1136
; %bb.1135:                             ;   in Loop: Header=BB208_931 Depth=1
	v_cmp_lt_i32_e64 s4, v103, v47
	v_cndmask_b32_e64 v61, 0, v61, s4
	v_cmp_lt_i32_e64 s4, v114, v47
	v_cndmask_b32_e64 v62, 0, v62, s4
	;; [unrolled: 2-line block ×4, first 2 shown]
.LBB208_1136:                           ;   in Loop: Header=BB208_931 Depth=1
	s_or_b32 exec_lo, exec_lo, s15
	flat_load_dword v13, v[0:1] offset:768
	v_mov_b32_e32 v19, 0
	v_mov_b32_e32 v17, 0
	;; [unrolled: 1-line block ×4, first 2 shown]
	s_waitcnt vmcnt(0) lgkmcnt(0)
	v_cmp_ne_u16_sdwa s4, v13, v7 src0_sel:BYTE_0 src1_sel:DWORD
	s_and_saveexec_b32 s15, s4
	s_cbranch_execz .LBB208_1144
; %bb.1137:                             ;   in Loop: Header=BB208_931 Depth=1
	v_bfrev_b32_e32 v17, 1
	v_mov_b32_e32 v18, 0
	v_cmp_ne_u16_sdwa s4, v13, v81 src0_sel:BYTE_0 src1_sel:DWORD
	s_and_saveexec_b32 s17, s4
	s_cbranch_execz .LBB208_1143
; %bb.1138:                             ;   in Loop: Header=BB208_931 Depth=1
	v_mov_b32_e32 v17, 0x7f800001
	v_and_b32_e32 v10, 0x7f, v13
	v_mov_b32_e32 v18, 0
	s_mov_b32 s18, exec_lo
	v_cmpx_ne_u32_e32 0x7f, v10
	s_cbranch_execz .LBB208_1142
; %bb.1139:                             ;   in Loop: Header=BB208_931 Depth=1
	v_and_b32_e32 v6, 7, v13
	v_lshrrev_b32_e32 v8, 3, v10
	s_mov_b32 s19, exec_lo
	v_cmpx_gt_u32_e32 8, v10
; %bb.1140:                             ;   in Loop: Header=BB208_931 Depth=1
	v_ffbh_u32_e32 v8, v6
	v_min_u32_e32 v8, 32, v8
	v_subrev_nc_u32_e32 v10, 28, v8
	v_sub_nc_u32_e32 v8, 29, v8
	v_lshlrev_b64 v[10:11], v10, v[6:7]
	v_and_b32_e32 v6, 7, v10
; %bb.1141:                             ;   in Loop: Header=BB208_931 Depth=1
	s_or_b32 exec_lo, exec_lo, s19
	v_lshlrev_b32_e32 v10, 24, v13
	v_lshlrev_b32_e32 v6, 20, v6
	v_lshl_add_u32 v8, v8, 23, 0x3c000000
	v_and_b32_e32 v10, 0x80000000, v10
	v_or3_b32 v6, v6, v10, v8
	v_mov_b32_e32 v18, v7
	v_mov_b32_e32 v17, v6
.LBB208_1142:                           ;   in Loop: Header=BB208_931 Depth=1
	s_or_b32 exec_lo, exec_lo, s18
.LBB208_1143:                           ;   in Loop: Header=BB208_931 Depth=1
	s_or_b32 exec_lo, exec_lo, s17
.LBB208_1144:                           ;   in Loop: Header=BB208_931 Depth=1
	s_or_b32 exec_lo, exec_lo, s15
	v_cmp_ne_u16_sdwa s4, v13, v7 src0_sel:BYTE_1 src1_sel:DWORD
	s_and_saveexec_b32 s15, s4
	s_cbranch_execz .LBB208_1152
; %bb.1145:                             ;   in Loop: Header=BB208_931 Depth=1
	v_mov_b32_e32 v8, v7
	v_mov_b32_e32 v20, v9
	v_cmp_ne_u16_sdwa s4, v13, v81 src0_sel:BYTE_1 src1_sel:DWORD
	v_mov_b32_e32 v19, v8
	s_and_saveexec_b32 s17, s4
	s_cbranch_execz .LBB208_1151
; %bb.1146:                             ;   in Loop: Header=BB208_931 Depth=1
	v_mov_b32_e32 v6, 0xffff
	v_mov_b32_e32 v11, v7
	;; [unrolled: 1-line block ×3, first 2 shown]
	s_mov_b32 s18, exec_lo
	v_and_b32_sdwa v6, v6, v13 dst_sel:DWORD dst_unused:UNUSED_PAD src0_sel:DWORD src1_sel:BYTE_1
	v_mov_b32_e32 v19, v11
	v_and_b32_e32 v10, 0x7f, v6
	v_cmpx_ne_u32_e32 0x7f, v10
	s_cbranch_execz .LBB208_1150
; %bb.1147:                             ;   in Loop: Header=BB208_931 Depth=1
	v_and_b32_e32 v6, 7, v6
	v_lshrrev_b32_e32 v8, 3, v10
	s_mov_b32 s19, exec_lo
	v_cmpx_gt_u32_e32 8, v10
; %bb.1148:                             ;   in Loop: Header=BB208_931 Depth=1
	v_ffbh_u32_e32 v8, v6
	v_min_u32_e32 v8, 32, v8
	v_subrev_nc_u32_e32 v10, 28, v8
	v_sub_nc_u32_e32 v8, 29, v8
	v_lshlrev_b64 v[10:11], v10, v[6:7]
	v_and_b32_e32 v6, 7, v10
; %bb.1149:                             ;   in Loop: Header=BB208_931 Depth=1
	s_or_b32 exec_lo, exec_lo, s19
	v_lshlrev_b32_e32 v10, 16, v13
	v_lshlrev_b32_e32 v6, 20, v6
	v_lshl_add_u32 v8, v8, 23, 0x3c000000
	v_mov_b32_e32 v19, v7
	v_and_b32_e32 v10, 0x80000000, v10
	v_or3_b32 v20, v6, v10, v8
.LBB208_1150:                           ;   in Loop: Header=BB208_931 Depth=1
	s_or_b32 exec_lo, exec_lo, s18
.LBB208_1151:                           ;   in Loop: Header=BB208_931 Depth=1
	s_or_b32 exec_lo, exec_lo, s17
.LBB208_1152:                           ;   in Loop: Header=BB208_931 Depth=1
	s_or_b32 exec_lo, exec_lo, s15
	v_mov_b32_e32 v10, 0
	v_mov_b32_e32 v21, 0
	v_and_b32_sdwa v6, v13, v83 dst_sel:DWORD dst_unused:UNUSED_PAD src0_sel:WORD_1 src1_sel:DWORD
	v_mov_b32_e32 v11, 0
	v_mov_b32_e32 v22, 0
	s_mov_b32 s15, exec_lo
	v_cmpx_ne_u16_e32 0, v6
	s_cbranch_execz .LBB208_1160
; %bb.1153:                             ;   in Loop: Header=BB208_931 Depth=1
	v_bfrev_b32_e32 v21, 1
	v_mov_b32_e32 v22, 0
	s_mov_b32 s17, exec_lo
	v_cmpx_ne_u16_e32 0x80, v6
	s_cbranch_execz .LBB208_1159
; %bb.1154:                             ;   in Loop: Header=BB208_931 Depth=1
	v_mov_b32_e32 v21, 0x7f800001
	v_bfe_u32 v14, v13, 16, 7
	v_mov_b32_e32 v22, 0
	s_mov_b32 s18, exec_lo
	v_cmpx_ne_u32_e32 0x7f, v14
	s_cbranch_execz .LBB208_1158
; %bb.1155:                             ;   in Loop: Header=BB208_931 Depth=1
	v_mov_b32_e32 v6, 7
	v_lshrrev_b32_e32 v8, 3, v14
	s_mov_b32 s19, exec_lo
	v_and_b32_sdwa v6, v13, v6 dst_sel:DWORD dst_unused:UNUSED_PAD src0_sel:WORD_1 src1_sel:DWORD
	v_cmpx_gt_u32_e32 8, v14
; %bb.1156:                             ;   in Loop: Header=BB208_931 Depth=1
	v_ffbh_u32_e32 v8, v6
	v_min_u32_e32 v8, 32, v8
	v_subrev_nc_u32_e32 v14, 28, v8
	v_sub_nc_u32_e32 v8, 29, v8
	v_lshlrev_b64 v[21:22], v14, v[6:7]
	v_and_b32_e32 v6, 7, v21
; %bb.1157:                             ;   in Loop: Header=BB208_931 Depth=1
	s_or_b32 exec_lo, exec_lo, s19
	v_mov_b32_e32 v14, 24
	v_lshlrev_b32_e32 v6, 20, v6
	v_lshl_add_u32 v8, v8, 23, 0x3c000000
	v_lshlrev_b32_sdwa v14, v14, v13 dst_sel:DWORD dst_unused:UNUSED_PAD src0_sel:DWORD src1_sel:WORD_1
	v_and_b32_e32 v14, 0x80000000, v14
	v_or3_b32 v6, v6, v14, v8
	v_mov_b32_e32 v22, v7
	v_mov_b32_e32 v21, v6
.LBB208_1158:                           ;   in Loop: Header=BB208_931 Depth=1
	s_or_b32 exec_lo, exec_lo, s18
.LBB208_1159:                           ;   in Loop: Header=BB208_931 Depth=1
	s_or_b32 exec_lo, exec_lo, s17
.LBB208_1160:                           ;   in Loop: Header=BB208_931 Depth=1
	s_or_b32 exec_lo, exec_lo, s15
	s_mov_b32 s15, exec_lo
	v_cmpx_lt_u32_e32 0xffffff, v13
	s_cbranch_execz .LBB208_1168
; %bb.1161:                             ;   in Loop: Header=BB208_931 Depth=1
	v_mov_b32_e32 v8, v7
	v_mov_b32_e32 v11, v9
	v_cmp_ne_u32_sdwa s4, v13, v81 src0_sel:BYTE_3 src1_sel:DWORD
	v_mov_b32_e32 v10, v8
	s_and_saveexec_b32 s17, s4
	s_cbranch_execz .LBB208_1167
; %bb.1162:                             ;   in Loop: Header=BB208_931 Depth=1
	v_mov_b32_e32 v11, v7
	v_bfe_u32 v14, v13, 24, 7
	s_mov_b32 s18, exec_lo
	v_mov_b32_e32 v10, v11
	v_mov_b32_e32 v11, v12
	v_cmpx_ne_u32_e32 0x7f, v14
	s_cbranch_execz .LBB208_1166
; %bb.1163:                             ;   in Loop: Header=BB208_931 Depth=1
	v_mov_b32_e32 v6, 7
	v_lshrrev_b32_e32 v8, 3, v14
	s_mov_b32 s19, exec_lo
	v_and_b32_sdwa v6, v13, v6 dst_sel:DWORD dst_unused:UNUSED_PAD src0_sel:BYTE_3 src1_sel:DWORD
	v_cmpx_gt_u32_e32 8, v14
; %bb.1164:                             ;   in Loop: Header=BB208_931 Depth=1
	v_ffbh_u32_e32 v8, v6
	v_min_u32_e32 v8, 32, v8
	v_subrev_nc_u32_e32 v10, 28, v8
	v_sub_nc_u32_e32 v8, 29, v8
	v_lshlrev_b64 v[10:11], v10, v[6:7]
	v_and_b32_e32 v6, 7, v10
; %bb.1165:                             ;   in Loop: Header=BB208_931 Depth=1
	s_or_b32 exec_lo, exec_lo, s19
	v_mov_b32_e32 v10, 24
	v_lshlrev_b32_e32 v6, 20, v6
	v_lshl_add_u32 v8, v8, 23, 0x3c000000
	v_lshlrev_b32_sdwa v10, v10, v13 dst_sel:DWORD dst_unused:UNUSED_PAD src0_sel:DWORD src1_sel:BYTE_3
	v_and_b32_e32 v10, 0x80000000, v10
	v_or3_b32 v11, v6, v10, v8
	v_mov_b32_e32 v10, v7
.LBB208_1166:                           ;   in Loop: Header=BB208_931 Depth=1
	s_or_b32 exec_lo, exec_lo, s18
.LBB208_1167:                           ;   in Loop: Header=BB208_931 Depth=1
	s_or_b32 exec_lo, exec_lo, s17
.LBB208_1168:                           ;   in Loop: Header=BB208_931 Depth=1
	s_or_b32 exec_lo, exec_lo, s15
	v_or_b32_e32 v6, v20, v18
	v_or_b32_e32 v8, v19, v17
	;; [unrolled: 1-line block ×4, first 2 shown]
	v_mul_f32_e32 v74, v98, v6
	v_mul_f32_e32 v73, v98, v8
	;; [unrolled: 1-line block ×4, first 2 shown]
	s_and_saveexec_b32 s15, vcc_lo
	s_cbranch_execz .LBB208_1170
; %bb.1169:                             ;   in Loop: Header=BB208_931 Depth=1
	v_cmp_lt_i32_e64 s4, v103, v47
	v_cndmask_b32_e64 v73, 0, v73, s4
	v_cmp_lt_i32_e64 s4, v114, v47
	v_cndmask_b32_e64 v74, 0, v74, s4
	;; [unrolled: 2-line block ×4, first 2 shown]
.LBB208_1170:                           ;   in Loop: Header=BB208_931 Depth=1
	s_or_b32 exec_lo, exec_lo, s15
	flat_load_dword v13, v[0:1] offset:896
	v_mov_b32_e32 v19, 0
	v_mov_b32_e32 v17, 0
	;; [unrolled: 1-line block ×4, first 2 shown]
	s_waitcnt vmcnt(0) lgkmcnt(0)
	v_cmp_ne_u16_sdwa s4, v13, v7 src0_sel:BYTE_0 src1_sel:DWORD
	s_and_saveexec_b32 s15, s4
	s_cbranch_execz .LBB208_1178
; %bb.1171:                             ;   in Loop: Header=BB208_931 Depth=1
	v_bfrev_b32_e32 v17, 1
	v_mov_b32_e32 v18, 0
	v_cmp_ne_u16_sdwa s4, v13, v81 src0_sel:BYTE_0 src1_sel:DWORD
	s_and_saveexec_b32 s17, s4
	s_cbranch_execz .LBB208_1177
; %bb.1172:                             ;   in Loop: Header=BB208_931 Depth=1
	v_mov_b32_e32 v17, 0x7f800001
	v_and_b32_e32 v10, 0x7f, v13
	v_mov_b32_e32 v18, 0
	s_mov_b32 s18, exec_lo
	v_cmpx_ne_u32_e32 0x7f, v10
	s_cbranch_execz .LBB208_1176
; %bb.1173:                             ;   in Loop: Header=BB208_931 Depth=1
	v_and_b32_e32 v6, 7, v13
	v_lshrrev_b32_e32 v8, 3, v10
	s_mov_b32 s19, exec_lo
	v_cmpx_gt_u32_e32 8, v10
; %bb.1174:                             ;   in Loop: Header=BB208_931 Depth=1
	v_ffbh_u32_e32 v8, v6
	v_min_u32_e32 v8, 32, v8
	v_subrev_nc_u32_e32 v10, 28, v8
	v_sub_nc_u32_e32 v8, 29, v8
	v_lshlrev_b64 v[10:11], v10, v[6:7]
	v_and_b32_e32 v6, 7, v10
; %bb.1175:                             ;   in Loop: Header=BB208_931 Depth=1
	s_or_b32 exec_lo, exec_lo, s19
	v_lshlrev_b32_e32 v10, 24, v13
	v_lshlrev_b32_e32 v6, 20, v6
	v_lshl_add_u32 v8, v8, 23, 0x3c000000
	v_and_b32_e32 v10, 0x80000000, v10
	v_or3_b32 v6, v6, v10, v8
	v_mov_b32_e32 v18, v7
	v_mov_b32_e32 v17, v6
.LBB208_1176:                           ;   in Loop: Header=BB208_931 Depth=1
	s_or_b32 exec_lo, exec_lo, s18
.LBB208_1177:                           ;   in Loop: Header=BB208_931 Depth=1
	s_or_b32 exec_lo, exec_lo, s17
.LBB208_1178:                           ;   in Loop: Header=BB208_931 Depth=1
	s_or_b32 exec_lo, exec_lo, s15
	v_cmp_ne_u16_sdwa s4, v13, v7 src0_sel:BYTE_1 src1_sel:DWORD
	s_and_saveexec_b32 s15, s4
	s_cbranch_execz .LBB208_1186
; %bb.1179:                             ;   in Loop: Header=BB208_931 Depth=1
	v_mov_b32_e32 v8, v7
	v_mov_b32_e32 v20, v9
	v_cmp_ne_u16_sdwa s4, v13, v81 src0_sel:BYTE_1 src1_sel:DWORD
	v_mov_b32_e32 v19, v8
	s_and_saveexec_b32 s17, s4
	s_cbranch_execz .LBB208_1185
; %bb.1180:                             ;   in Loop: Header=BB208_931 Depth=1
	v_mov_b32_e32 v6, 0xffff
	v_mov_b32_e32 v11, v7
	;; [unrolled: 1-line block ×3, first 2 shown]
	s_mov_b32 s18, exec_lo
	v_and_b32_sdwa v6, v6, v13 dst_sel:DWORD dst_unused:UNUSED_PAD src0_sel:DWORD src1_sel:BYTE_1
	v_mov_b32_e32 v19, v11
	v_and_b32_e32 v10, 0x7f, v6
	v_cmpx_ne_u32_e32 0x7f, v10
	s_cbranch_execz .LBB208_1184
; %bb.1181:                             ;   in Loop: Header=BB208_931 Depth=1
	v_and_b32_e32 v6, 7, v6
	v_lshrrev_b32_e32 v8, 3, v10
	s_mov_b32 s19, exec_lo
	v_cmpx_gt_u32_e32 8, v10
; %bb.1182:                             ;   in Loop: Header=BB208_931 Depth=1
	v_ffbh_u32_e32 v8, v6
	v_min_u32_e32 v8, 32, v8
	v_subrev_nc_u32_e32 v10, 28, v8
	v_sub_nc_u32_e32 v8, 29, v8
	v_lshlrev_b64 v[10:11], v10, v[6:7]
	v_and_b32_e32 v6, 7, v10
; %bb.1183:                             ;   in Loop: Header=BB208_931 Depth=1
	s_or_b32 exec_lo, exec_lo, s19
	v_lshlrev_b32_e32 v10, 16, v13
	v_lshlrev_b32_e32 v6, 20, v6
	v_lshl_add_u32 v8, v8, 23, 0x3c000000
	v_mov_b32_e32 v19, v7
	v_and_b32_e32 v10, 0x80000000, v10
	v_or3_b32 v20, v6, v10, v8
.LBB208_1184:                           ;   in Loop: Header=BB208_931 Depth=1
	s_or_b32 exec_lo, exec_lo, s18
.LBB208_1185:                           ;   in Loop: Header=BB208_931 Depth=1
	s_or_b32 exec_lo, exec_lo, s17
.LBB208_1186:                           ;   in Loop: Header=BB208_931 Depth=1
	s_or_b32 exec_lo, exec_lo, s15
	v_mov_b32_e32 v10, 0
	v_mov_b32_e32 v21, 0
	v_and_b32_sdwa v6, v13, v83 dst_sel:DWORD dst_unused:UNUSED_PAD src0_sel:WORD_1 src1_sel:DWORD
	v_mov_b32_e32 v11, 0
	v_mov_b32_e32 v22, 0
	s_mov_b32 s15, exec_lo
	v_cmpx_ne_u16_e32 0, v6
	s_cbranch_execz .LBB208_1194
; %bb.1187:                             ;   in Loop: Header=BB208_931 Depth=1
	v_bfrev_b32_e32 v21, 1
	v_mov_b32_e32 v22, 0
	s_mov_b32 s17, exec_lo
	v_cmpx_ne_u16_e32 0x80, v6
	s_cbranch_execz .LBB208_1193
; %bb.1188:                             ;   in Loop: Header=BB208_931 Depth=1
	v_mov_b32_e32 v21, 0x7f800001
	v_bfe_u32 v14, v13, 16, 7
	v_mov_b32_e32 v22, 0
	s_mov_b32 s18, exec_lo
	v_cmpx_ne_u32_e32 0x7f, v14
	s_cbranch_execz .LBB208_1192
; %bb.1189:                             ;   in Loop: Header=BB208_931 Depth=1
	v_mov_b32_e32 v6, 7
	v_lshrrev_b32_e32 v8, 3, v14
	s_mov_b32 s19, exec_lo
	v_and_b32_sdwa v6, v13, v6 dst_sel:DWORD dst_unused:UNUSED_PAD src0_sel:WORD_1 src1_sel:DWORD
	v_cmpx_gt_u32_e32 8, v14
; %bb.1190:                             ;   in Loop: Header=BB208_931 Depth=1
	v_ffbh_u32_e32 v8, v6
	v_min_u32_e32 v8, 32, v8
	v_subrev_nc_u32_e32 v14, 28, v8
	v_sub_nc_u32_e32 v8, 29, v8
	v_lshlrev_b64 v[21:22], v14, v[6:7]
	v_and_b32_e32 v6, 7, v21
; %bb.1191:                             ;   in Loop: Header=BB208_931 Depth=1
	s_or_b32 exec_lo, exec_lo, s19
	v_mov_b32_e32 v14, 24
	v_lshlrev_b32_e32 v6, 20, v6
	v_lshl_add_u32 v8, v8, 23, 0x3c000000
	v_lshlrev_b32_sdwa v14, v14, v13 dst_sel:DWORD dst_unused:UNUSED_PAD src0_sel:DWORD src1_sel:WORD_1
	v_and_b32_e32 v14, 0x80000000, v14
	v_or3_b32 v6, v6, v14, v8
	v_mov_b32_e32 v22, v7
	v_mov_b32_e32 v21, v6
.LBB208_1192:                           ;   in Loop: Header=BB208_931 Depth=1
	s_or_b32 exec_lo, exec_lo, s18
.LBB208_1193:                           ;   in Loop: Header=BB208_931 Depth=1
	s_or_b32 exec_lo, exec_lo, s17
.LBB208_1194:                           ;   in Loop: Header=BB208_931 Depth=1
	s_or_b32 exec_lo, exec_lo, s15
	s_mov_b32 s15, exec_lo
	v_cmpx_lt_u32_e32 0xffffff, v13
	s_cbranch_execz .LBB208_1202
; %bb.1195:                             ;   in Loop: Header=BB208_931 Depth=1
	v_mov_b32_e32 v8, v7
	v_mov_b32_e32 v11, v9
	v_cmp_ne_u32_sdwa s4, v13, v81 src0_sel:BYTE_3 src1_sel:DWORD
	v_mov_b32_e32 v10, v8
	s_and_saveexec_b32 s17, s4
	s_cbranch_execz .LBB208_1201
; %bb.1196:                             ;   in Loop: Header=BB208_931 Depth=1
	v_mov_b32_e32 v11, v7
	v_bfe_u32 v14, v13, 24, 7
	s_mov_b32 s18, exec_lo
	v_mov_b32_e32 v10, v11
	v_mov_b32_e32 v11, v12
	v_cmpx_ne_u32_e32 0x7f, v14
	s_cbranch_execz .LBB208_1200
; %bb.1197:                             ;   in Loop: Header=BB208_931 Depth=1
	v_mov_b32_e32 v6, 7
	v_lshrrev_b32_e32 v8, 3, v14
	s_mov_b32 s19, exec_lo
	v_and_b32_sdwa v6, v13, v6 dst_sel:DWORD dst_unused:UNUSED_PAD src0_sel:BYTE_3 src1_sel:DWORD
	v_cmpx_gt_u32_e32 8, v14
; %bb.1198:                             ;   in Loop: Header=BB208_931 Depth=1
	v_ffbh_u32_e32 v8, v6
	v_min_u32_e32 v8, 32, v8
	v_subrev_nc_u32_e32 v10, 28, v8
	v_sub_nc_u32_e32 v8, 29, v8
	v_lshlrev_b64 v[10:11], v10, v[6:7]
	v_and_b32_e32 v6, 7, v10
; %bb.1199:                             ;   in Loop: Header=BB208_931 Depth=1
	s_or_b32 exec_lo, exec_lo, s19
	v_mov_b32_e32 v10, 24
	v_lshlrev_b32_e32 v6, 20, v6
	v_lshl_add_u32 v8, v8, 23, 0x3c000000
	v_lshlrev_b32_sdwa v10, v10, v13 dst_sel:DWORD dst_unused:UNUSED_PAD src0_sel:DWORD src1_sel:BYTE_3
	v_and_b32_e32 v10, 0x80000000, v10
	v_or3_b32 v11, v6, v10, v8
	v_mov_b32_e32 v10, v7
.LBB208_1200:                           ;   in Loop: Header=BB208_931 Depth=1
	s_or_b32 exec_lo, exec_lo, s18
.LBB208_1201:                           ;   in Loop: Header=BB208_931 Depth=1
	s_or_b32 exec_lo, exec_lo, s17
.LBB208_1202:                           ;   in Loop: Header=BB208_931 Depth=1
	s_or_b32 exec_lo, exec_lo, s15
	v_or_b32_e32 v6, v20, v18
	v_or_b32_e32 v8, v19, v17
	;; [unrolled: 1-line block ×4, first 2 shown]
	v_mul_f32_e32 v78, v98, v6
	v_mul_f32_e32 v77, v98, v8
	;; [unrolled: 1-line block ×4, first 2 shown]
	s_and_saveexec_b32 s15, vcc_lo
	s_cbranch_execz .LBB208_1204
; %bb.1203:                             ;   in Loop: Header=BB208_931 Depth=1
	v_cmp_lt_i32_e64 s4, v103, v47
	v_cndmask_b32_e64 v77, 0, v77, s4
	v_cmp_lt_i32_e64 s4, v114, v47
	v_cndmask_b32_e64 v78, 0, v78, s4
	;; [unrolled: 2-line block ×4, first 2 shown]
.LBB208_1204:                           ;   in Loop: Header=BB208_931 Depth=1
	s_or_b32 exec_lo, exec_lo, s15
	flat_load_dword v13, v[0:1] offset:1024
	v_mov_b32_e32 v19, 0
	v_mov_b32_e32 v17, 0
	;; [unrolled: 1-line block ×4, first 2 shown]
	s_waitcnt vmcnt(0) lgkmcnt(0)
	v_cmp_ne_u16_sdwa s4, v13, v7 src0_sel:BYTE_0 src1_sel:DWORD
	s_and_saveexec_b32 s15, s4
	s_cbranch_execz .LBB208_1212
; %bb.1205:                             ;   in Loop: Header=BB208_931 Depth=1
	v_bfrev_b32_e32 v17, 1
	v_mov_b32_e32 v18, 0
	v_cmp_ne_u16_sdwa s4, v13, v81 src0_sel:BYTE_0 src1_sel:DWORD
	s_and_saveexec_b32 s17, s4
	s_cbranch_execz .LBB208_1211
; %bb.1206:                             ;   in Loop: Header=BB208_931 Depth=1
	v_mov_b32_e32 v17, 0x7f800001
	v_and_b32_e32 v10, 0x7f, v13
	v_mov_b32_e32 v18, 0
	s_mov_b32 s18, exec_lo
	v_cmpx_ne_u32_e32 0x7f, v10
	s_cbranch_execz .LBB208_1210
; %bb.1207:                             ;   in Loop: Header=BB208_931 Depth=1
	v_and_b32_e32 v6, 7, v13
	v_lshrrev_b32_e32 v8, 3, v10
	s_mov_b32 s19, exec_lo
	v_cmpx_gt_u32_e32 8, v10
; %bb.1208:                             ;   in Loop: Header=BB208_931 Depth=1
	v_ffbh_u32_e32 v8, v6
	v_min_u32_e32 v8, 32, v8
	v_subrev_nc_u32_e32 v10, 28, v8
	v_sub_nc_u32_e32 v8, 29, v8
	v_lshlrev_b64 v[10:11], v10, v[6:7]
	v_and_b32_e32 v6, 7, v10
; %bb.1209:                             ;   in Loop: Header=BB208_931 Depth=1
	s_or_b32 exec_lo, exec_lo, s19
	v_lshlrev_b32_e32 v10, 24, v13
	v_lshlrev_b32_e32 v6, 20, v6
	v_lshl_add_u32 v8, v8, 23, 0x3c000000
	v_and_b32_e32 v10, 0x80000000, v10
	v_or3_b32 v6, v6, v10, v8
	v_mov_b32_e32 v18, v7
	v_mov_b32_e32 v17, v6
.LBB208_1210:                           ;   in Loop: Header=BB208_931 Depth=1
	s_or_b32 exec_lo, exec_lo, s18
.LBB208_1211:                           ;   in Loop: Header=BB208_931 Depth=1
	s_or_b32 exec_lo, exec_lo, s17
.LBB208_1212:                           ;   in Loop: Header=BB208_931 Depth=1
	s_or_b32 exec_lo, exec_lo, s15
	v_cmp_ne_u16_sdwa s4, v13, v7 src0_sel:BYTE_1 src1_sel:DWORD
	s_and_saveexec_b32 s15, s4
	s_cbranch_execz .LBB208_1220
; %bb.1213:                             ;   in Loop: Header=BB208_931 Depth=1
	v_mov_b32_e32 v8, v7
	v_mov_b32_e32 v20, v9
	v_cmp_ne_u16_sdwa s4, v13, v81 src0_sel:BYTE_1 src1_sel:DWORD
	v_mov_b32_e32 v19, v8
	s_and_saveexec_b32 s17, s4
	s_cbranch_execz .LBB208_1219
; %bb.1214:                             ;   in Loop: Header=BB208_931 Depth=1
	v_mov_b32_e32 v6, 0xffff
	v_mov_b32_e32 v11, v7
	;; [unrolled: 1-line block ×3, first 2 shown]
	s_mov_b32 s18, exec_lo
	v_and_b32_sdwa v6, v6, v13 dst_sel:DWORD dst_unused:UNUSED_PAD src0_sel:DWORD src1_sel:BYTE_1
	v_mov_b32_e32 v19, v11
	v_and_b32_e32 v10, 0x7f, v6
	v_cmpx_ne_u32_e32 0x7f, v10
	s_cbranch_execz .LBB208_1218
; %bb.1215:                             ;   in Loop: Header=BB208_931 Depth=1
	v_and_b32_e32 v6, 7, v6
	v_lshrrev_b32_e32 v8, 3, v10
	s_mov_b32 s19, exec_lo
	v_cmpx_gt_u32_e32 8, v10
; %bb.1216:                             ;   in Loop: Header=BB208_931 Depth=1
	v_ffbh_u32_e32 v8, v6
	v_min_u32_e32 v8, 32, v8
	v_subrev_nc_u32_e32 v10, 28, v8
	v_sub_nc_u32_e32 v8, 29, v8
	v_lshlrev_b64 v[10:11], v10, v[6:7]
	v_and_b32_e32 v6, 7, v10
; %bb.1217:                             ;   in Loop: Header=BB208_931 Depth=1
	s_or_b32 exec_lo, exec_lo, s19
	v_lshlrev_b32_e32 v10, 16, v13
	v_lshlrev_b32_e32 v6, 20, v6
	v_lshl_add_u32 v8, v8, 23, 0x3c000000
	v_mov_b32_e32 v19, v7
	v_and_b32_e32 v10, 0x80000000, v10
	v_or3_b32 v20, v6, v10, v8
.LBB208_1218:                           ;   in Loop: Header=BB208_931 Depth=1
	s_or_b32 exec_lo, exec_lo, s18
.LBB208_1219:                           ;   in Loop: Header=BB208_931 Depth=1
	s_or_b32 exec_lo, exec_lo, s17
.LBB208_1220:                           ;   in Loop: Header=BB208_931 Depth=1
	s_or_b32 exec_lo, exec_lo, s15
	v_mov_b32_e32 v10, 0
	v_mov_b32_e32 v21, 0
	v_and_b32_sdwa v6, v13, v83 dst_sel:DWORD dst_unused:UNUSED_PAD src0_sel:WORD_1 src1_sel:DWORD
	v_mov_b32_e32 v11, 0
	v_mov_b32_e32 v22, 0
	s_mov_b32 s15, exec_lo
	v_cmpx_ne_u16_e32 0, v6
	s_cbranch_execz .LBB208_1228
; %bb.1221:                             ;   in Loop: Header=BB208_931 Depth=1
	v_bfrev_b32_e32 v21, 1
	v_mov_b32_e32 v22, 0
	s_mov_b32 s17, exec_lo
	v_cmpx_ne_u16_e32 0x80, v6
	s_cbranch_execz .LBB208_1227
; %bb.1222:                             ;   in Loop: Header=BB208_931 Depth=1
	v_mov_b32_e32 v21, 0x7f800001
	v_bfe_u32 v14, v13, 16, 7
	v_mov_b32_e32 v22, 0
	s_mov_b32 s18, exec_lo
	v_cmpx_ne_u32_e32 0x7f, v14
	s_cbranch_execz .LBB208_1226
; %bb.1223:                             ;   in Loop: Header=BB208_931 Depth=1
	v_mov_b32_e32 v6, 7
	v_lshrrev_b32_e32 v8, 3, v14
	s_mov_b32 s19, exec_lo
	v_and_b32_sdwa v6, v13, v6 dst_sel:DWORD dst_unused:UNUSED_PAD src0_sel:WORD_1 src1_sel:DWORD
	v_cmpx_gt_u32_e32 8, v14
; %bb.1224:                             ;   in Loop: Header=BB208_931 Depth=1
	v_ffbh_u32_e32 v8, v6
	v_min_u32_e32 v8, 32, v8
	v_subrev_nc_u32_e32 v14, 28, v8
	v_sub_nc_u32_e32 v8, 29, v8
	v_lshlrev_b64 v[21:22], v14, v[6:7]
	v_and_b32_e32 v6, 7, v21
; %bb.1225:                             ;   in Loop: Header=BB208_931 Depth=1
	s_or_b32 exec_lo, exec_lo, s19
	v_mov_b32_e32 v14, 24
	v_lshlrev_b32_e32 v6, 20, v6
	v_lshl_add_u32 v8, v8, 23, 0x3c000000
	v_lshlrev_b32_sdwa v14, v14, v13 dst_sel:DWORD dst_unused:UNUSED_PAD src0_sel:DWORD src1_sel:WORD_1
	v_and_b32_e32 v14, 0x80000000, v14
	v_or3_b32 v6, v6, v14, v8
	v_mov_b32_e32 v22, v7
	v_mov_b32_e32 v21, v6
.LBB208_1226:                           ;   in Loop: Header=BB208_931 Depth=1
	s_or_b32 exec_lo, exec_lo, s18
.LBB208_1227:                           ;   in Loop: Header=BB208_931 Depth=1
	s_or_b32 exec_lo, exec_lo, s17
.LBB208_1228:                           ;   in Loop: Header=BB208_931 Depth=1
	s_or_b32 exec_lo, exec_lo, s15
	s_mov_b32 s15, exec_lo
	v_cmpx_lt_u32_e32 0xffffff, v13
	s_cbranch_execz .LBB208_1236
; %bb.1229:                             ;   in Loop: Header=BB208_931 Depth=1
	v_mov_b32_e32 v8, v7
	v_mov_b32_e32 v11, v9
	v_cmp_ne_u32_sdwa s4, v13, v81 src0_sel:BYTE_3 src1_sel:DWORD
	v_mov_b32_e32 v10, v8
	s_and_saveexec_b32 s17, s4
	s_cbranch_execz .LBB208_1235
; %bb.1230:                             ;   in Loop: Header=BB208_931 Depth=1
	v_mov_b32_e32 v11, v7
	v_bfe_u32 v14, v13, 24, 7
	s_mov_b32 s18, exec_lo
	v_mov_b32_e32 v10, v11
	v_mov_b32_e32 v11, v12
	v_cmpx_ne_u32_e32 0x7f, v14
	s_cbranch_execz .LBB208_1234
; %bb.1231:                             ;   in Loop: Header=BB208_931 Depth=1
	v_mov_b32_e32 v6, 7
	v_lshrrev_b32_e32 v8, 3, v14
	s_mov_b32 s19, exec_lo
	v_and_b32_sdwa v6, v13, v6 dst_sel:DWORD dst_unused:UNUSED_PAD src0_sel:BYTE_3 src1_sel:DWORD
	v_cmpx_gt_u32_e32 8, v14
; %bb.1232:                             ;   in Loop: Header=BB208_931 Depth=1
	v_ffbh_u32_e32 v8, v6
	v_min_u32_e32 v8, 32, v8
	v_subrev_nc_u32_e32 v10, 28, v8
	v_sub_nc_u32_e32 v8, 29, v8
	v_lshlrev_b64 v[10:11], v10, v[6:7]
	v_and_b32_e32 v6, 7, v10
; %bb.1233:                             ;   in Loop: Header=BB208_931 Depth=1
	s_or_b32 exec_lo, exec_lo, s19
	v_mov_b32_e32 v10, 24
	v_lshlrev_b32_e32 v6, 20, v6
	v_lshl_add_u32 v8, v8, 23, 0x3c000000
	v_lshlrev_b32_sdwa v10, v10, v13 dst_sel:DWORD dst_unused:UNUSED_PAD src0_sel:DWORD src1_sel:BYTE_3
	v_and_b32_e32 v10, 0x80000000, v10
	v_or3_b32 v11, v6, v10, v8
	v_mov_b32_e32 v10, v7
.LBB208_1234:                           ;   in Loop: Header=BB208_931 Depth=1
	s_or_b32 exec_lo, exec_lo, s18
.LBB208_1235:                           ;   in Loop: Header=BB208_931 Depth=1
	s_or_b32 exec_lo, exec_lo, s17
.LBB208_1236:                           ;   in Loop: Header=BB208_931 Depth=1
	s_or_b32 exec_lo, exec_lo, s15
	v_or_b32_e32 v6, v20, v18
	v_or_b32_e32 v8, v19, v17
	;; [unrolled: 1-line block ×4, first 2 shown]
	v_mul_f32_e32 v90, v98, v6
	v_mul_f32_e32 v89, v98, v8
	;; [unrolled: 1-line block ×4, first 2 shown]
	s_and_saveexec_b32 s15, vcc_lo
	s_cbranch_execz .LBB208_1238
; %bb.1237:                             ;   in Loop: Header=BB208_931 Depth=1
	v_cmp_lt_i32_e64 s4, v103, v47
	v_cndmask_b32_e64 v89, 0, v89, s4
	v_cmp_lt_i32_e64 s4, v114, v47
	v_cndmask_b32_e64 v90, 0, v90, s4
	;; [unrolled: 2-line block ×4, first 2 shown]
.LBB208_1238:                           ;   in Loop: Header=BB208_931 Depth=1
	s_or_b32 exec_lo, exec_lo, s15
	flat_load_dword v13, v[0:1] offset:1152
	v_mov_b32_e32 v19, 0
	v_mov_b32_e32 v17, 0
	;; [unrolled: 1-line block ×4, first 2 shown]
	s_waitcnt vmcnt(0) lgkmcnt(0)
	v_cmp_ne_u16_sdwa s4, v13, v7 src0_sel:BYTE_0 src1_sel:DWORD
	s_and_saveexec_b32 s15, s4
	s_cbranch_execz .LBB208_1246
; %bb.1239:                             ;   in Loop: Header=BB208_931 Depth=1
	v_bfrev_b32_e32 v17, 1
	v_mov_b32_e32 v18, 0
	v_cmp_ne_u16_sdwa s4, v13, v81 src0_sel:BYTE_0 src1_sel:DWORD
	s_and_saveexec_b32 s17, s4
	s_cbranch_execz .LBB208_1245
; %bb.1240:                             ;   in Loop: Header=BB208_931 Depth=1
	v_mov_b32_e32 v17, 0x7f800001
	v_and_b32_e32 v10, 0x7f, v13
	v_mov_b32_e32 v18, 0
	s_mov_b32 s18, exec_lo
	v_cmpx_ne_u32_e32 0x7f, v10
	s_cbranch_execz .LBB208_1244
; %bb.1241:                             ;   in Loop: Header=BB208_931 Depth=1
	v_and_b32_e32 v6, 7, v13
	v_lshrrev_b32_e32 v8, 3, v10
	s_mov_b32 s19, exec_lo
	v_cmpx_gt_u32_e32 8, v10
; %bb.1242:                             ;   in Loop: Header=BB208_931 Depth=1
	v_ffbh_u32_e32 v8, v6
	v_min_u32_e32 v8, 32, v8
	v_subrev_nc_u32_e32 v10, 28, v8
	v_sub_nc_u32_e32 v8, 29, v8
	v_lshlrev_b64 v[10:11], v10, v[6:7]
	v_and_b32_e32 v6, 7, v10
; %bb.1243:                             ;   in Loop: Header=BB208_931 Depth=1
	s_or_b32 exec_lo, exec_lo, s19
	v_lshlrev_b32_e32 v10, 24, v13
	v_lshlrev_b32_e32 v6, 20, v6
	v_lshl_add_u32 v8, v8, 23, 0x3c000000
	v_and_b32_e32 v10, 0x80000000, v10
	v_or3_b32 v6, v6, v10, v8
	v_mov_b32_e32 v18, v7
	v_mov_b32_e32 v17, v6
.LBB208_1244:                           ;   in Loop: Header=BB208_931 Depth=1
	s_or_b32 exec_lo, exec_lo, s18
.LBB208_1245:                           ;   in Loop: Header=BB208_931 Depth=1
	s_or_b32 exec_lo, exec_lo, s17
.LBB208_1246:                           ;   in Loop: Header=BB208_931 Depth=1
	s_or_b32 exec_lo, exec_lo, s15
	v_cmp_ne_u16_sdwa s4, v13, v7 src0_sel:BYTE_1 src1_sel:DWORD
	s_and_saveexec_b32 s15, s4
	s_cbranch_execz .LBB208_1254
; %bb.1247:                             ;   in Loop: Header=BB208_931 Depth=1
	v_mov_b32_e32 v8, v7
	v_mov_b32_e32 v20, v9
	v_cmp_ne_u16_sdwa s4, v13, v81 src0_sel:BYTE_1 src1_sel:DWORD
	v_mov_b32_e32 v19, v8
	s_and_saveexec_b32 s17, s4
	s_cbranch_execz .LBB208_1253
; %bb.1248:                             ;   in Loop: Header=BB208_931 Depth=1
	v_mov_b32_e32 v6, 0xffff
	v_mov_b32_e32 v11, v7
	;; [unrolled: 1-line block ×3, first 2 shown]
	s_mov_b32 s18, exec_lo
	v_and_b32_sdwa v6, v6, v13 dst_sel:DWORD dst_unused:UNUSED_PAD src0_sel:DWORD src1_sel:BYTE_1
	v_mov_b32_e32 v19, v11
	v_and_b32_e32 v10, 0x7f, v6
	v_cmpx_ne_u32_e32 0x7f, v10
	s_cbranch_execz .LBB208_1252
; %bb.1249:                             ;   in Loop: Header=BB208_931 Depth=1
	v_and_b32_e32 v6, 7, v6
	v_lshrrev_b32_e32 v8, 3, v10
	s_mov_b32 s19, exec_lo
	v_cmpx_gt_u32_e32 8, v10
; %bb.1250:                             ;   in Loop: Header=BB208_931 Depth=1
	v_ffbh_u32_e32 v8, v6
	v_min_u32_e32 v8, 32, v8
	v_subrev_nc_u32_e32 v10, 28, v8
	v_sub_nc_u32_e32 v8, 29, v8
	v_lshlrev_b64 v[10:11], v10, v[6:7]
	v_and_b32_e32 v6, 7, v10
; %bb.1251:                             ;   in Loop: Header=BB208_931 Depth=1
	s_or_b32 exec_lo, exec_lo, s19
	v_lshlrev_b32_e32 v10, 16, v13
	v_lshlrev_b32_e32 v6, 20, v6
	v_lshl_add_u32 v8, v8, 23, 0x3c000000
	v_mov_b32_e32 v19, v7
	v_and_b32_e32 v10, 0x80000000, v10
	v_or3_b32 v20, v6, v10, v8
.LBB208_1252:                           ;   in Loop: Header=BB208_931 Depth=1
	s_or_b32 exec_lo, exec_lo, s18
.LBB208_1253:                           ;   in Loop: Header=BB208_931 Depth=1
	s_or_b32 exec_lo, exec_lo, s17
.LBB208_1254:                           ;   in Loop: Header=BB208_931 Depth=1
	s_or_b32 exec_lo, exec_lo, s15
	v_mov_b32_e32 v10, 0
	v_mov_b32_e32 v21, 0
	v_and_b32_sdwa v6, v13, v83 dst_sel:DWORD dst_unused:UNUSED_PAD src0_sel:WORD_1 src1_sel:DWORD
	v_mov_b32_e32 v11, 0
	v_mov_b32_e32 v22, 0
	s_mov_b32 s15, exec_lo
	v_cmpx_ne_u16_e32 0, v6
	s_cbranch_execz .LBB208_1262
; %bb.1255:                             ;   in Loop: Header=BB208_931 Depth=1
	v_bfrev_b32_e32 v21, 1
	v_mov_b32_e32 v22, 0
	s_mov_b32 s17, exec_lo
	v_cmpx_ne_u16_e32 0x80, v6
	s_cbranch_execz .LBB208_1261
; %bb.1256:                             ;   in Loop: Header=BB208_931 Depth=1
	v_mov_b32_e32 v21, 0x7f800001
	v_bfe_u32 v14, v13, 16, 7
	v_mov_b32_e32 v22, 0
	s_mov_b32 s18, exec_lo
	v_cmpx_ne_u32_e32 0x7f, v14
	s_cbranch_execz .LBB208_1260
; %bb.1257:                             ;   in Loop: Header=BB208_931 Depth=1
	v_mov_b32_e32 v6, 7
	v_lshrrev_b32_e32 v8, 3, v14
	s_mov_b32 s19, exec_lo
	v_and_b32_sdwa v6, v13, v6 dst_sel:DWORD dst_unused:UNUSED_PAD src0_sel:WORD_1 src1_sel:DWORD
	v_cmpx_gt_u32_e32 8, v14
; %bb.1258:                             ;   in Loop: Header=BB208_931 Depth=1
	v_ffbh_u32_e32 v8, v6
	v_min_u32_e32 v8, 32, v8
	v_subrev_nc_u32_e32 v14, 28, v8
	v_sub_nc_u32_e32 v8, 29, v8
	v_lshlrev_b64 v[21:22], v14, v[6:7]
	v_and_b32_e32 v6, 7, v21
; %bb.1259:                             ;   in Loop: Header=BB208_931 Depth=1
	s_or_b32 exec_lo, exec_lo, s19
	v_mov_b32_e32 v14, 24
	v_lshlrev_b32_e32 v6, 20, v6
	v_lshl_add_u32 v8, v8, 23, 0x3c000000
	v_lshlrev_b32_sdwa v14, v14, v13 dst_sel:DWORD dst_unused:UNUSED_PAD src0_sel:DWORD src1_sel:WORD_1
	v_and_b32_e32 v14, 0x80000000, v14
	v_or3_b32 v6, v6, v14, v8
	v_mov_b32_e32 v22, v7
	v_mov_b32_e32 v21, v6
.LBB208_1260:                           ;   in Loop: Header=BB208_931 Depth=1
	s_or_b32 exec_lo, exec_lo, s18
.LBB208_1261:                           ;   in Loop: Header=BB208_931 Depth=1
	s_or_b32 exec_lo, exec_lo, s17
.LBB208_1262:                           ;   in Loop: Header=BB208_931 Depth=1
	s_or_b32 exec_lo, exec_lo, s15
	s_mov_b32 s15, exec_lo
	v_cmpx_lt_u32_e32 0xffffff, v13
	s_cbranch_execz .LBB208_1270
; %bb.1263:                             ;   in Loop: Header=BB208_931 Depth=1
	v_mov_b32_e32 v8, v7
	v_mov_b32_e32 v11, v9
	v_cmp_ne_u32_sdwa s4, v13, v81 src0_sel:BYTE_3 src1_sel:DWORD
	v_mov_b32_e32 v10, v8
	s_and_saveexec_b32 s17, s4
	s_cbranch_execz .LBB208_1269
; %bb.1264:                             ;   in Loop: Header=BB208_931 Depth=1
	v_mov_b32_e32 v11, v7
	v_bfe_u32 v14, v13, 24, 7
	s_mov_b32 s18, exec_lo
	v_mov_b32_e32 v10, v11
	v_mov_b32_e32 v11, v12
	v_cmpx_ne_u32_e32 0x7f, v14
	s_cbranch_execz .LBB208_1268
; %bb.1265:                             ;   in Loop: Header=BB208_931 Depth=1
	v_mov_b32_e32 v6, 7
	v_lshrrev_b32_e32 v8, 3, v14
	s_mov_b32 s19, exec_lo
	v_and_b32_sdwa v6, v13, v6 dst_sel:DWORD dst_unused:UNUSED_PAD src0_sel:BYTE_3 src1_sel:DWORD
	v_cmpx_gt_u32_e32 8, v14
; %bb.1266:                             ;   in Loop: Header=BB208_931 Depth=1
	v_ffbh_u32_e32 v8, v6
	v_min_u32_e32 v8, 32, v8
	v_subrev_nc_u32_e32 v10, 28, v8
	v_sub_nc_u32_e32 v8, 29, v8
	v_lshlrev_b64 v[10:11], v10, v[6:7]
	v_and_b32_e32 v6, 7, v10
; %bb.1267:                             ;   in Loop: Header=BB208_931 Depth=1
	s_or_b32 exec_lo, exec_lo, s19
	v_mov_b32_e32 v10, 24
	v_lshlrev_b32_e32 v6, 20, v6
	v_lshl_add_u32 v8, v8, 23, 0x3c000000
	v_lshlrev_b32_sdwa v10, v10, v13 dst_sel:DWORD dst_unused:UNUSED_PAD src0_sel:DWORD src1_sel:BYTE_3
	v_and_b32_e32 v10, 0x80000000, v10
	v_or3_b32 v11, v6, v10, v8
	v_mov_b32_e32 v10, v7
.LBB208_1268:                           ;   in Loop: Header=BB208_931 Depth=1
	s_or_b32 exec_lo, exec_lo, s18
.LBB208_1269:                           ;   in Loop: Header=BB208_931 Depth=1
	s_or_b32 exec_lo, exec_lo, s17
.LBB208_1270:                           ;   in Loop: Header=BB208_931 Depth=1
	s_or_b32 exec_lo, exec_lo, s15
	v_or_b32_e32 v6, v20, v18
	v_or_b32_e32 v8, v19, v17
	;; [unrolled: 1-line block ×4, first 2 shown]
	v_mul_f32_e32 v94, v98, v6
	v_mul_f32_e32 v93, v98, v8
	;; [unrolled: 1-line block ×4, first 2 shown]
	s_and_saveexec_b32 s15, vcc_lo
	s_cbranch_execz .LBB208_1272
; %bb.1271:                             ;   in Loop: Header=BB208_931 Depth=1
	v_cmp_lt_i32_e64 s4, v103, v47
	v_cndmask_b32_e64 v93, 0, v93, s4
	v_cmp_lt_i32_e64 s4, v114, v47
	v_cndmask_b32_e64 v94, 0, v94, s4
	;; [unrolled: 2-line block ×4, first 2 shown]
.LBB208_1272:                           ;   in Loop: Header=BB208_931 Depth=1
	s_or_b32 exec_lo, exec_lo, s15
	flat_load_dword v13, v[0:1] offset:1280
	v_mov_b32_e32 v19, 0
	v_mov_b32_e32 v17, 0
	;; [unrolled: 1-line block ×4, first 2 shown]
	s_waitcnt vmcnt(0) lgkmcnt(0)
	v_cmp_ne_u16_sdwa s4, v13, v7 src0_sel:BYTE_0 src1_sel:DWORD
	s_and_saveexec_b32 s15, s4
	s_cbranch_execz .LBB208_1280
; %bb.1273:                             ;   in Loop: Header=BB208_931 Depth=1
	v_bfrev_b32_e32 v17, 1
	v_mov_b32_e32 v18, 0
	v_cmp_ne_u16_sdwa s4, v13, v81 src0_sel:BYTE_0 src1_sel:DWORD
	s_and_saveexec_b32 s17, s4
	s_cbranch_execz .LBB208_1279
; %bb.1274:                             ;   in Loop: Header=BB208_931 Depth=1
	v_mov_b32_e32 v17, 0x7f800001
	v_and_b32_e32 v10, 0x7f, v13
	v_mov_b32_e32 v18, 0
	s_mov_b32 s18, exec_lo
	v_cmpx_ne_u32_e32 0x7f, v10
	s_cbranch_execz .LBB208_1278
; %bb.1275:                             ;   in Loop: Header=BB208_931 Depth=1
	v_and_b32_e32 v6, 7, v13
	v_lshrrev_b32_e32 v8, 3, v10
	s_mov_b32 s19, exec_lo
	v_cmpx_gt_u32_e32 8, v10
; %bb.1276:                             ;   in Loop: Header=BB208_931 Depth=1
	v_ffbh_u32_e32 v8, v6
	v_min_u32_e32 v8, 32, v8
	v_subrev_nc_u32_e32 v10, 28, v8
	v_sub_nc_u32_e32 v8, 29, v8
	v_lshlrev_b64 v[10:11], v10, v[6:7]
	v_and_b32_e32 v6, 7, v10
; %bb.1277:                             ;   in Loop: Header=BB208_931 Depth=1
	s_or_b32 exec_lo, exec_lo, s19
	v_lshlrev_b32_e32 v10, 24, v13
	v_lshlrev_b32_e32 v6, 20, v6
	v_lshl_add_u32 v8, v8, 23, 0x3c000000
	v_and_b32_e32 v10, 0x80000000, v10
	v_or3_b32 v6, v6, v10, v8
	v_mov_b32_e32 v18, v7
	v_mov_b32_e32 v17, v6
.LBB208_1278:                           ;   in Loop: Header=BB208_931 Depth=1
	s_or_b32 exec_lo, exec_lo, s18
.LBB208_1279:                           ;   in Loop: Header=BB208_931 Depth=1
	s_or_b32 exec_lo, exec_lo, s17
.LBB208_1280:                           ;   in Loop: Header=BB208_931 Depth=1
	s_or_b32 exec_lo, exec_lo, s15
	v_cmp_ne_u16_sdwa s4, v13, v7 src0_sel:BYTE_1 src1_sel:DWORD
	s_and_saveexec_b32 s15, s4
	s_cbranch_execz .LBB208_1288
; %bb.1281:                             ;   in Loop: Header=BB208_931 Depth=1
	v_mov_b32_e32 v8, v7
	v_mov_b32_e32 v20, v9
	v_cmp_ne_u16_sdwa s4, v13, v81 src0_sel:BYTE_1 src1_sel:DWORD
	v_mov_b32_e32 v19, v8
	s_and_saveexec_b32 s17, s4
	s_cbranch_execz .LBB208_1287
; %bb.1282:                             ;   in Loop: Header=BB208_931 Depth=1
	v_mov_b32_e32 v6, 0xffff
	v_mov_b32_e32 v11, v7
	;; [unrolled: 1-line block ×3, first 2 shown]
	s_mov_b32 s18, exec_lo
	v_and_b32_sdwa v6, v6, v13 dst_sel:DWORD dst_unused:UNUSED_PAD src0_sel:DWORD src1_sel:BYTE_1
	v_mov_b32_e32 v19, v11
	v_and_b32_e32 v10, 0x7f, v6
	v_cmpx_ne_u32_e32 0x7f, v10
	s_cbranch_execz .LBB208_1286
; %bb.1283:                             ;   in Loop: Header=BB208_931 Depth=1
	v_and_b32_e32 v6, 7, v6
	v_lshrrev_b32_e32 v8, 3, v10
	s_mov_b32 s19, exec_lo
	v_cmpx_gt_u32_e32 8, v10
; %bb.1284:                             ;   in Loop: Header=BB208_931 Depth=1
	v_ffbh_u32_e32 v8, v6
	v_min_u32_e32 v8, 32, v8
	v_subrev_nc_u32_e32 v10, 28, v8
	v_sub_nc_u32_e32 v8, 29, v8
	v_lshlrev_b64 v[10:11], v10, v[6:7]
	v_and_b32_e32 v6, 7, v10
; %bb.1285:                             ;   in Loop: Header=BB208_931 Depth=1
	s_or_b32 exec_lo, exec_lo, s19
	v_lshlrev_b32_e32 v10, 16, v13
	v_lshlrev_b32_e32 v6, 20, v6
	v_lshl_add_u32 v8, v8, 23, 0x3c000000
	v_mov_b32_e32 v19, v7
	v_and_b32_e32 v10, 0x80000000, v10
	v_or3_b32 v20, v6, v10, v8
.LBB208_1286:                           ;   in Loop: Header=BB208_931 Depth=1
	s_or_b32 exec_lo, exec_lo, s18
.LBB208_1287:                           ;   in Loop: Header=BB208_931 Depth=1
	s_or_b32 exec_lo, exec_lo, s17
.LBB208_1288:                           ;   in Loop: Header=BB208_931 Depth=1
	s_or_b32 exec_lo, exec_lo, s15
	v_mov_b32_e32 v10, 0
	v_mov_b32_e32 v21, 0
	v_and_b32_sdwa v6, v13, v83 dst_sel:DWORD dst_unused:UNUSED_PAD src0_sel:WORD_1 src1_sel:DWORD
	v_mov_b32_e32 v11, 0
	v_mov_b32_e32 v22, 0
	s_mov_b32 s15, exec_lo
	v_cmpx_ne_u16_e32 0, v6
	s_cbranch_execz .LBB208_1296
; %bb.1289:                             ;   in Loop: Header=BB208_931 Depth=1
	v_bfrev_b32_e32 v21, 1
	v_mov_b32_e32 v22, 0
	s_mov_b32 s17, exec_lo
	v_cmpx_ne_u16_e32 0x80, v6
	s_cbranch_execz .LBB208_1295
; %bb.1290:                             ;   in Loop: Header=BB208_931 Depth=1
	v_mov_b32_e32 v21, 0x7f800001
	v_bfe_u32 v14, v13, 16, 7
	v_mov_b32_e32 v22, 0
	s_mov_b32 s18, exec_lo
	v_cmpx_ne_u32_e32 0x7f, v14
	s_cbranch_execz .LBB208_1294
; %bb.1291:                             ;   in Loop: Header=BB208_931 Depth=1
	v_mov_b32_e32 v6, 7
	v_lshrrev_b32_e32 v8, 3, v14
	s_mov_b32 s19, exec_lo
	v_and_b32_sdwa v6, v13, v6 dst_sel:DWORD dst_unused:UNUSED_PAD src0_sel:WORD_1 src1_sel:DWORD
	v_cmpx_gt_u32_e32 8, v14
; %bb.1292:                             ;   in Loop: Header=BB208_931 Depth=1
	v_ffbh_u32_e32 v8, v6
	v_min_u32_e32 v8, 32, v8
	v_subrev_nc_u32_e32 v14, 28, v8
	v_sub_nc_u32_e32 v8, 29, v8
	v_lshlrev_b64 v[21:22], v14, v[6:7]
	v_and_b32_e32 v6, 7, v21
; %bb.1293:                             ;   in Loop: Header=BB208_931 Depth=1
	s_or_b32 exec_lo, exec_lo, s19
	v_mov_b32_e32 v14, 24
	v_lshlrev_b32_e32 v6, 20, v6
	v_lshl_add_u32 v8, v8, 23, 0x3c000000
	v_lshlrev_b32_sdwa v14, v14, v13 dst_sel:DWORD dst_unused:UNUSED_PAD src0_sel:DWORD src1_sel:WORD_1
	v_and_b32_e32 v14, 0x80000000, v14
	v_or3_b32 v6, v6, v14, v8
	v_mov_b32_e32 v22, v7
	v_mov_b32_e32 v21, v6
.LBB208_1294:                           ;   in Loop: Header=BB208_931 Depth=1
	s_or_b32 exec_lo, exec_lo, s18
.LBB208_1295:                           ;   in Loop: Header=BB208_931 Depth=1
	s_or_b32 exec_lo, exec_lo, s17
.LBB208_1296:                           ;   in Loop: Header=BB208_931 Depth=1
	s_or_b32 exec_lo, exec_lo, s15
	s_mov_b32 s15, exec_lo
	v_cmpx_lt_u32_e32 0xffffff, v13
	s_cbranch_execz .LBB208_1304
; %bb.1297:                             ;   in Loop: Header=BB208_931 Depth=1
	v_mov_b32_e32 v8, v7
	v_mov_b32_e32 v11, v9
	v_cmp_ne_u32_sdwa s4, v13, v81 src0_sel:BYTE_3 src1_sel:DWORD
	v_mov_b32_e32 v10, v8
	s_and_saveexec_b32 s17, s4
	s_cbranch_execz .LBB208_1303
; %bb.1298:                             ;   in Loop: Header=BB208_931 Depth=1
	v_mov_b32_e32 v11, v7
	v_bfe_u32 v14, v13, 24, 7
	s_mov_b32 s18, exec_lo
	v_mov_b32_e32 v10, v11
	v_mov_b32_e32 v11, v12
	v_cmpx_ne_u32_e32 0x7f, v14
	s_cbranch_execz .LBB208_1302
; %bb.1299:                             ;   in Loop: Header=BB208_931 Depth=1
	v_mov_b32_e32 v6, 7
	v_lshrrev_b32_e32 v8, 3, v14
	s_mov_b32 s19, exec_lo
	v_and_b32_sdwa v6, v13, v6 dst_sel:DWORD dst_unused:UNUSED_PAD src0_sel:BYTE_3 src1_sel:DWORD
	v_cmpx_gt_u32_e32 8, v14
; %bb.1300:                             ;   in Loop: Header=BB208_931 Depth=1
	v_ffbh_u32_e32 v8, v6
	v_min_u32_e32 v8, 32, v8
	v_subrev_nc_u32_e32 v10, 28, v8
	v_sub_nc_u32_e32 v8, 29, v8
	v_lshlrev_b64 v[10:11], v10, v[6:7]
	v_and_b32_e32 v6, 7, v10
; %bb.1301:                             ;   in Loop: Header=BB208_931 Depth=1
	s_or_b32 exec_lo, exec_lo, s19
	v_mov_b32_e32 v10, 24
	v_lshlrev_b32_e32 v6, 20, v6
	v_lshl_add_u32 v8, v8, 23, 0x3c000000
	v_lshlrev_b32_sdwa v10, v10, v13 dst_sel:DWORD dst_unused:UNUSED_PAD src0_sel:DWORD src1_sel:BYTE_3
	v_and_b32_e32 v10, 0x80000000, v10
	v_or3_b32 v11, v6, v10, v8
	v_mov_b32_e32 v10, v7
.LBB208_1302:                           ;   in Loop: Header=BB208_931 Depth=1
	s_or_b32 exec_lo, exec_lo, s18
.LBB208_1303:                           ;   in Loop: Header=BB208_931 Depth=1
	s_or_b32 exec_lo, exec_lo, s17
.LBB208_1304:                           ;   in Loop: Header=BB208_931 Depth=1
	s_or_b32 exec_lo, exec_lo, s15
	v_or_b32_e32 v6, v20, v18
	v_or_b32_e32 v8, v19, v17
	;; [unrolled: 1-line block ×4, first 2 shown]
	v_mul_f32_e32 v106, v98, v6
	v_mul_f32_e32 v105, v98, v8
	;; [unrolled: 1-line block ×4, first 2 shown]
	s_and_saveexec_b32 s15, vcc_lo
	s_cbranch_execz .LBB208_1306
; %bb.1305:                             ;   in Loop: Header=BB208_931 Depth=1
	v_cmp_lt_i32_e64 s4, v103, v47
	v_cndmask_b32_e64 v105, 0, v105, s4
	v_cmp_lt_i32_e64 s4, v114, v47
	v_cndmask_b32_e64 v106, 0, v106, s4
	;; [unrolled: 2-line block ×4, first 2 shown]
.LBB208_1306:                           ;   in Loop: Header=BB208_931 Depth=1
	s_or_b32 exec_lo, exec_lo, s15
	flat_load_dword v13, v[0:1] offset:1408
	v_mov_b32_e32 v19, 0
	v_mov_b32_e32 v17, 0
	;; [unrolled: 1-line block ×4, first 2 shown]
	s_waitcnt vmcnt(0) lgkmcnt(0)
	v_cmp_ne_u16_sdwa s4, v13, v7 src0_sel:BYTE_0 src1_sel:DWORD
	s_and_saveexec_b32 s15, s4
	s_cbranch_execz .LBB208_1314
; %bb.1307:                             ;   in Loop: Header=BB208_931 Depth=1
	v_bfrev_b32_e32 v17, 1
	v_mov_b32_e32 v18, 0
	v_cmp_ne_u16_sdwa s4, v13, v81 src0_sel:BYTE_0 src1_sel:DWORD
	s_and_saveexec_b32 s17, s4
	s_cbranch_execz .LBB208_1313
; %bb.1308:                             ;   in Loop: Header=BB208_931 Depth=1
	v_mov_b32_e32 v17, 0x7f800001
	v_and_b32_e32 v10, 0x7f, v13
	v_mov_b32_e32 v18, 0
	s_mov_b32 s18, exec_lo
	v_cmpx_ne_u32_e32 0x7f, v10
	s_cbranch_execz .LBB208_1312
; %bb.1309:                             ;   in Loop: Header=BB208_931 Depth=1
	v_and_b32_e32 v6, 7, v13
	v_lshrrev_b32_e32 v8, 3, v10
	s_mov_b32 s19, exec_lo
	v_cmpx_gt_u32_e32 8, v10
; %bb.1310:                             ;   in Loop: Header=BB208_931 Depth=1
	v_ffbh_u32_e32 v8, v6
	v_min_u32_e32 v8, 32, v8
	v_subrev_nc_u32_e32 v10, 28, v8
	v_sub_nc_u32_e32 v8, 29, v8
	v_lshlrev_b64 v[10:11], v10, v[6:7]
	v_and_b32_e32 v6, 7, v10
; %bb.1311:                             ;   in Loop: Header=BB208_931 Depth=1
	s_or_b32 exec_lo, exec_lo, s19
	v_lshlrev_b32_e32 v10, 24, v13
	v_lshlrev_b32_e32 v6, 20, v6
	v_lshl_add_u32 v8, v8, 23, 0x3c000000
	v_and_b32_e32 v10, 0x80000000, v10
	v_or3_b32 v6, v6, v10, v8
	v_mov_b32_e32 v18, v7
	v_mov_b32_e32 v17, v6
.LBB208_1312:                           ;   in Loop: Header=BB208_931 Depth=1
	s_or_b32 exec_lo, exec_lo, s18
.LBB208_1313:                           ;   in Loop: Header=BB208_931 Depth=1
	s_or_b32 exec_lo, exec_lo, s17
.LBB208_1314:                           ;   in Loop: Header=BB208_931 Depth=1
	s_or_b32 exec_lo, exec_lo, s15
	v_cmp_ne_u16_sdwa s4, v13, v7 src0_sel:BYTE_1 src1_sel:DWORD
	s_and_saveexec_b32 s15, s4
	s_cbranch_execz .LBB208_1322
; %bb.1315:                             ;   in Loop: Header=BB208_931 Depth=1
	v_mov_b32_e32 v8, v7
	v_mov_b32_e32 v20, v9
	v_cmp_ne_u16_sdwa s4, v13, v81 src0_sel:BYTE_1 src1_sel:DWORD
	v_mov_b32_e32 v19, v8
	s_and_saveexec_b32 s17, s4
	s_cbranch_execz .LBB208_1321
; %bb.1316:                             ;   in Loop: Header=BB208_931 Depth=1
	v_mov_b32_e32 v6, 0xffff
	v_mov_b32_e32 v11, v7
	;; [unrolled: 1-line block ×3, first 2 shown]
	s_mov_b32 s18, exec_lo
	v_and_b32_sdwa v6, v6, v13 dst_sel:DWORD dst_unused:UNUSED_PAD src0_sel:DWORD src1_sel:BYTE_1
	v_mov_b32_e32 v19, v11
	v_and_b32_e32 v10, 0x7f, v6
	v_cmpx_ne_u32_e32 0x7f, v10
	s_cbranch_execz .LBB208_1320
; %bb.1317:                             ;   in Loop: Header=BB208_931 Depth=1
	v_and_b32_e32 v6, 7, v6
	v_lshrrev_b32_e32 v8, 3, v10
	s_mov_b32 s19, exec_lo
	v_cmpx_gt_u32_e32 8, v10
; %bb.1318:                             ;   in Loop: Header=BB208_931 Depth=1
	v_ffbh_u32_e32 v8, v6
	v_min_u32_e32 v8, 32, v8
	v_subrev_nc_u32_e32 v10, 28, v8
	v_sub_nc_u32_e32 v8, 29, v8
	v_lshlrev_b64 v[10:11], v10, v[6:7]
	v_and_b32_e32 v6, 7, v10
; %bb.1319:                             ;   in Loop: Header=BB208_931 Depth=1
	s_or_b32 exec_lo, exec_lo, s19
	v_lshlrev_b32_e32 v10, 16, v13
	v_lshlrev_b32_e32 v6, 20, v6
	v_lshl_add_u32 v8, v8, 23, 0x3c000000
	v_mov_b32_e32 v19, v7
	v_and_b32_e32 v10, 0x80000000, v10
	v_or3_b32 v20, v6, v10, v8
.LBB208_1320:                           ;   in Loop: Header=BB208_931 Depth=1
	s_or_b32 exec_lo, exec_lo, s18
.LBB208_1321:                           ;   in Loop: Header=BB208_931 Depth=1
	s_or_b32 exec_lo, exec_lo, s17
.LBB208_1322:                           ;   in Loop: Header=BB208_931 Depth=1
	s_or_b32 exec_lo, exec_lo, s15
	v_mov_b32_e32 v10, 0
	v_mov_b32_e32 v21, 0
	v_and_b32_sdwa v6, v13, v83 dst_sel:DWORD dst_unused:UNUSED_PAD src0_sel:WORD_1 src1_sel:DWORD
	v_mov_b32_e32 v11, 0
	v_mov_b32_e32 v22, 0
	s_mov_b32 s15, exec_lo
	v_cmpx_ne_u16_e32 0, v6
	s_cbranch_execz .LBB208_1330
; %bb.1323:                             ;   in Loop: Header=BB208_931 Depth=1
	v_bfrev_b32_e32 v21, 1
	v_mov_b32_e32 v22, 0
	s_mov_b32 s17, exec_lo
	v_cmpx_ne_u16_e32 0x80, v6
	s_cbranch_execz .LBB208_1329
; %bb.1324:                             ;   in Loop: Header=BB208_931 Depth=1
	v_mov_b32_e32 v21, 0x7f800001
	v_bfe_u32 v14, v13, 16, 7
	v_mov_b32_e32 v22, 0
	s_mov_b32 s18, exec_lo
	v_cmpx_ne_u32_e32 0x7f, v14
	s_cbranch_execz .LBB208_1328
; %bb.1325:                             ;   in Loop: Header=BB208_931 Depth=1
	v_mov_b32_e32 v6, 7
	v_lshrrev_b32_e32 v8, 3, v14
	s_mov_b32 s19, exec_lo
	v_and_b32_sdwa v6, v13, v6 dst_sel:DWORD dst_unused:UNUSED_PAD src0_sel:WORD_1 src1_sel:DWORD
	v_cmpx_gt_u32_e32 8, v14
; %bb.1326:                             ;   in Loop: Header=BB208_931 Depth=1
	v_ffbh_u32_e32 v8, v6
	v_min_u32_e32 v8, 32, v8
	v_subrev_nc_u32_e32 v14, 28, v8
	v_sub_nc_u32_e32 v8, 29, v8
	v_lshlrev_b64 v[21:22], v14, v[6:7]
	v_and_b32_e32 v6, 7, v21
; %bb.1327:                             ;   in Loop: Header=BB208_931 Depth=1
	s_or_b32 exec_lo, exec_lo, s19
	v_mov_b32_e32 v14, 24
	v_lshlrev_b32_e32 v6, 20, v6
	v_lshl_add_u32 v8, v8, 23, 0x3c000000
	v_lshlrev_b32_sdwa v14, v14, v13 dst_sel:DWORD dst_unused:UNUSED_PAD src0_sel:DWORD src1_sel:WORD_1
	v_and_b32_e32 v14, 0x80000000, v14
	v_or3_b32 v6, v6, v14, v8
	v_mov_b32_e32 v22, v7
	v_mov_b32_e32 v21, v6
.LBB208_1328:                           ;   in Loop: Header=BB208_931 Depth=1
	s_or_b32 exec_lo, exec_lo, s18
.LBB208_1329:                           ;   in Loop: Header=BB208_931 Depth=1
	s_or_b32 exec_lo, exec_lo, s17
.LBB208_1330:                           ;   in Loop: Header=BB208_931 Depth=1
	s_or_b32 exec_lo, exec_lo, s15
	s_mov_b32 s15, exec_lo
	v_cmpx_lt_u32_e32 0xffffff, v13
	s_cbranch_execz .LBB208_1338
; %bb.1331:                             ;   in Loop: Header=BB208_931 Depth=1
	v_mov_b32_e32 v8, v7
	v_mov_b32_e32 v11, v9
	v_cmp_ne_u32_sdwa s4, v13, v81 src0_sel:BYTE_3 src1_sel:DWORD
	v_mov_b32_e32 v10, v8
	s_and_saveexec_b32 s17, s4
	s_cbranch_execz .LBB208_1337
; %bb.1332:                             ;   in Loop: Header=BB208_931 Depth=1
	v_mov_b32_e32 v11, v7
	v_bfe_u32 v14, v13, 24, 7
	s_mov_b32 s18, exec_lo
	v_mov_b32_e32 v10, v11
	v_mov_b32_e32 v11, v12
	v_cmpx_ne_u32_e32 0x7f, v14
	s_cbranch_execz .LBB208_1336
; %bb.1333:                             ;   in Loop: Header=BB208_931 Depth=1
	v_mov_b32_e32 v6, 7
	v_lshrrev_b32_e32 v8, 3, v14
	s_mov_b32 s19, exec_lo
	v_and_b32_sdwa v6, v13, v6 dst_sel:DWORD dst_unused:UNUSED_PAD src0_sel:BYTE_3 src1_sel:DWORD
	v_cmpx_gt_u32_e32 8, v14
; %bb.1334:                             ;   in Loop: Header=BB208_931 Depth=1
	v_ffbh_u32_e32 v8, v6
	v_min_u32_e32 v8, 32, v8
	v_subrev_nc_u32_e32 v10, 28, v8
	v_sub_nc_u32_e32 v8, 29, v8
	v_lshlrev_b64 v[10:11], v10, v[6:7]
	v_and_b32_e32 v6, 7, v10
; %bb.1335:                             ;   in Loop: Header=BB208_931 Depth=1
	s_or_b32 exec_lo, exec_lo, s19
	v_mov_b32_e32 v10, 24
	v_lshlrev_b32_e32 v6, 20, v6
	v_lshl_add_u32 v8, v8, 23, 0x3c000000
	v_lshlrev_b32_sdwa v10, v10, v13 dst_sel:DWORD dst_unused:UNUSED_PAD src0_sel:DWORD src1_sel:BYTE_3
	v_and_b32_e32 v10, 0x80000000, v10
	v_or3_b32 v11, v6, v10, v8
	v_mov_b32_e32 v10, v7
.LBB208_1336:                           ;   in Loop: Header=BB208_931 Depth=1
	s_or_b32 exec_lo, exec_lo, s18
.LBB208_1337:                           ;   in Loop: Header=BB208_931 Depth=1
	s_or_b32 exec_lo, exec_lo, s17
.LBB208_1338:                           ;   in Loop: Header=BB208_931 Depth=1
	s_or_b32 exec_lo, exec_lo, s15
	v_or_b32_e32 v6, v20, v18
	v_or_b32_e32 v8, v19, v17
	;; [unrolled: 1-line block ×4, first 2 shown]
	v_mul_f32_e32 v110, v98, v6
	v_mul_f32_e32 v109, v98, v8
	;; [unrolled: 1-line block ×4, first 2 shown]
	s_and_saveexec_b32 s15, vcc_lo
	s_cbranch_execz .LBB208_1340
; %bb.1339:                             ;   in Loop: Header=BB208_931 Depth=1
	v_cmp_lt_i32_e64 s4, v103, v47
	v_cndmask_b32_e64 v109, 0, v109, s4
	v_cmp_lt_i32_e64 s4, v114, v47
	v_cndmask_b32_e64 v110, 0, v110, s4
	;; [unrolled: 2-line block ×4, first 2 shown]
.LBB208_1340:                           ;   in Loop: Header=BB208_931 Depth=1
	s_or_b32 exec_lo, exec_lo, s15
	flat_load_dword v13, v[0:1] offset:1536
	v_mov_b32_e32 v19, 0
	v_mov_b32_e32 v17, 0
	;; [unrolled: 1-line block ×4, first 2 shown]
	s_waitcnt vmcnt(0) lgkmcnt(0)
	v_cmp_ne_u16_sdwa s4, v13, v7 src0_sel:BYTE_0 src1_sel:DWORD
	s_and_saveexec_b32 s15, s4
	s_cbranch_execz .LBB208_1348
; %bb.1341:                             ;   in Loop: Header=BB208_931 Depth=1
	v_bfrev_b32_e32 v17, 1
	v_mov_b32_e32 v18, 0
	v_cmp_ne_u16_sdwa s4, v13, v81 src0_sel:BYTE_0 src1_sel:DWORD
	s_and_saveexec_b32 s17, s4
	s_cbranch_execz .LBB208_1347
; %bb.1342:                             ;   in Loop: Header=BB208_931 Depth=1
	v_mov_b32_e32 v17, 0x7f800001
	v_and_b32_e32 v10, 0x7f, v13
	v_mov_b32_e32 v18, 0
	s_mov_b32 s18, exec_lo
	v_cmpx_ne_u32_e32 0x7f, v10
	s_cbranch_execz .LBB208_1346
; %bb.1343:                             ;   in Loop: Header=BB208_931 Depth=1
	v_and_b32_e32 v6, 7, v13
	v_lshrrev_b32_e32 v8, 3, v10
	s_mov_b32 s19, exec_lo
	v_cmpx_gt_u32_e32 8, v10
; %bb.1344:                             ;   in Loop: Header=BB208_931 Depth=1
	v_ffbh_u32_e32 v8, v6
	v_min_u32_e32 v8, 32, v8
	v_subrev_nc_u32_e32 v10, 28, v8
	v_sub_nc_u32_e32 v8, 29, v8
	v_lshlrev_b64 v[10:11], v10, v[6:7]
	v_and_b32_e32 v6, 7, v10
; %bb.1345:                             ;   in Loop: Header=BB208_931 Depth=1
	s_or_b32 exec_lo, exec_lo, s19
	v_lshlrev_b32_e32 v10, 24, v13
	v_lshlrev_b32_e32 v6, 20, v6
	v_lshl_add_u32 v8, v8, 23, 0x3c000000
	v_and_b32_e32 v10, 0x80000000, v10
	v_or3_b32 v6, v6, v10, v8
	v_mov_b32_e32 v18, v7
	v_mov_b32_e32 v17, v6
.LBB208_1346:                           ;   in Loop: Header=BB208_931 Depth=1
	s_or_b32 exec_lo, exec_lo, s18
.LBB208_1347:                           ;   in Loop: Header=BB208_931 Depth=1
	s_or_b32 exec_lo, exec_lo, s17
.LBB208_1348:                           ;   in Loop: Header=BB208_931 Depth=1
	s_or_b32 exec_lo, exec_lo, s15
	v_cmp_ne_u16_sdwa s4, v13, v7 src0_sel:BYTE_1 src1_sel:DWORD
	s_and_saveexec_b32 s15, s4
	s_cbranch_execz .LBB208_1356
; %bb.1349:                             ;   in Loop: Header=BB208_931 Depth=1
	v_mov_b32_e32 v8, v7
	v_mov_b32_e32 v20, v9
	v_cmp_ne_u16_sdwa s4, v13, v81 src0_sel:BYTE_1 src1_sel:DWORD
	v_mov_b32_e32 v19, v8
	s_and_saveexec_b32 s17, s4
	s_cbranch_execz .LBB208_1355
; %bb.1350:                             ;   in Loop: Header=BB208_931 Depth=1
	v_mov_b32_e32 v6, 0xffff
	v_mov_b32_e32 v11, v7
	v_mov_b32_e32 v20, v12
	s_mov_b32 s18, exec_lo
	v_and_b32_sdwa v6, v6, v13 dst_sel:DWORD dst_unused:UNUSED_PAD src0_sel:DWORD src1_sel:BYTE_1
	v_mov_b32_e32 v19, v11
	v_and_b32_e32 v10, 0x7f, v6
	v_cmpx_ne_u32_e32 0x7f, v10
	s_cbranch_execz .LBB208_1354
; %bb.1351:                             ;   in Loop: Header=BB208_931 Depth=1
	v_and_b32_e32 v6, 7, v6
	v_lshrrev_b32_e32 v8, 3, v10
	s_mov_b32 s19, exec_lo
	v_cmpx_gt_u32_e32 8, v10
; %bb.1352:                             ;   in Loop: Header=BB208_931 Depth=1
	v_ffbh_u32_e32 v8, v6
	v_min_u32_e32 v8, 32, v8
	v_subrev_nc_u32_e32 v10, 28, v8
	v_sub_nc_u32_e32 v8, 29, v8
	v_lshlrev_b64 v[10:11], v10, v[6:7]
	v_and_b32_e32 v6, 7, v10
; %bb.1353:                             ;   in Loop: Header=BB208_931 Depth=1
	s_or_b32 exec_lo, exec_lo, s19
	v_lshlrev_b32_e32 v10, 16, v13
	v_lshlrev_b32_e32 v6, 20, v6
	v_lshl_add_u32 v8, v8, 23, 0x3c000000
	v_mov_b32_e32 v19, v7
	v_and_b32_e32 v10, 0x80000000, v10
	v_or3_b32 v20, v6, v10, v8
.LBB208_1354:                           ;   in Loop: Header=BB208_931 Depth=1
	s_or_b32 exec_lo, exec_lo, s18
.LBB208_1355:                           ;   in Loop: Header=BB208_931 Depth=1
	s_or_b32 exec_lo, exec_lo, s17
.LBB208_1356:                           ;   in Loop: Header=BB208_931 Depth=1
	s_or_b32 exec_lo, exec_lo, s15
	v_mov_b32_e32 v10, 0
	v_mov_b32_e32 v21, 0
	v_and_b32_sdwa v6, v13, v83 dst_sel:DWORD dst_unused:UNUSED_PAD src0_sel:WORD_1 src1_sel:DWORD
	v_mov_b32_e32 v11, 0
	v_mov_b32_e32 v22, 0
	s_mov_b32 s15, exec_lo
	v_cmpx_ne_u16_e32 0, v6
	s_cbranch_execz .LBB208_1364
; %bb.1357:                             ;   in Loop: Header=BB208_931 Depth=1
	v_bfrev_b32_e32 v21, 1
	v_mov_b32_e32 v22, 0
	s_mov_b32 s17, exec_lo
	v_cmpx_ne_u16_e32 0x80, v6
	s_cbranch_execz .LBB208_1363
; %bb.1358:                             ;   in Loop: Header=BB208_931 Depth=1
	v_mov_b32_e32 v21, 0x7f800001
	v_bfe_u32 v14, v13, 16, 7
	v_mov_b32_e32 v22, 0
	s_mov_b32 s18, exec_lo
	v_cmpx_ne_u32_e32 0x7f, v14
	s_cbranch_execz .LBB208_1362
; %bb.1359:                             ;   in Loop: Header=BB208_931 Depth=1
	v_mov_b32_e32 v6, 7
	v_lshrrev_b32_e32 v8, 3, v14
	s_mov_b32 s19, exec_lo
	v_and_b32_sdwa v6, v13, v6 dst_sel:DWORD dst_unused:UNUSED_PAD src0_sel:WORD_1 src1_sel:DWORD
	v_cmpx_gt_u32_e32 8, v14
; %bb.1360:                             ;   in Loop: Header=BB208_931 Depth=1
	v_ffbh_u32_e32 v8, v6
	v_min_u32_e32 v8, 32, v8
	v_subrev_nc_u32_e32 v14, 28, v8
	v_sub_nc_u32_e32 v8, 29, v8
	v_lshlrev_b64 v[21:22], v14, v[6:7]
	v_and_b32_e32 v6, 7, v21
; %bb.1361:                             ;   in Loop: Header=BB208_931 Depth=1
	s_or_b32 exec_lo, exec_lo, s19
	v_mov_b32_e32 v14, 24
	v_lshlrev_b32_e32 v6, 20, v6
	v_lshl_add_u32 v8, v8, 23, 0x3c000000
	v_lshlrev_b32_sdwa v14, v14, v13 dst_sel:DWORD dst_unused:UNUSED_PAD src0_sel:DWORD src1_sel:WORD_1
	v_and_b32_e32 v14, 0x80000000, v14
	v_or3_b32 v6, v6, v14, v8
	v_mov_b32_e32 v22, v7
	v_mov_b32_e32 v21, v6
.LBB208_1362:                           ;   in Loop: Header=BB208_931 Depth=1
	s_or_b32 exec_lo, exec_lo, s18
.LBB208_1363:                           ;   in Loop: Header=BB208_931 Depth=1
	s_or_b32 exec_lo, exec_lo, s17
.LBB208_1364:                           ;   in Loop: Header=BB208_931 Depth=1
	s_or_b32 exec_lo, exec_lo, s15
	s_mov_b32 s15, exec_lo
	v_cmpx_lt_u32_e32 0xffffff, v13
	s_cbranch_execz .LBB208_1372
; %bb.1365:                             ;   in Loop: Header=BB208_931 Depth=1
	v_mov_b32_e32 v8, v7
	v_mov_b32_e32 v11, v9
	v_cmp_ne_u32_sdwa s4, v13, v81 src0_sel:BYTE_3 src1_sel:DWORD
	v_mov_b32_e32 v10, v8
	s_and_saveexec_b32 s17, s4
	s_cbranch_execz .LBB208_1371
; %bb.1366:                             ;   in Loop: Header=BB208_931 Depth=1
	v_mov_b32_e32 v11, v7
	v_bfe_u32 v14, v13, 24, 7
	s_mov_b32 s18, exec_lo
	v_mov_b32_e32 v10, v11
	v_mov_b32_e32 v11, v12
	v_cmpx_ne_u32_e32 0x7f, v14
	s_cbranch_execz .LBB208_1370
; %bb.1367:                             ;   in Loop: Header=BB208_931 Depth=1
	v_mov_b32_e32 v6, 7
	v_lshrrev_b32_e32 v8, 3, v14
	s_mov_b32 s19, exec_lo
	v_and_b32_sdwa v6, v13, v6 dst_sel:DWORD dst_unused:UNUSED_PAD src0_sel:BYTE_3 src1_sel:DWORD
	v_cmpx_gt_u32_e32 8, v14
; %bb.1368:                             ;   in Loop: Header=BB208_931 Depth=1
	v_ffbh_u32_e32 v8, v6
	v_min_u32_e32 v8, 32, v8
	v_subrev_nc_u32_e32 v10, 28, v8
	v_sub_nc_u32_e32 v8, 29, v8
	v_lshlrev_b64 v[10:11], v10, v[6:7]
	v_and_b32_e32 v6, 7, v10
; %bb.1369:                             ;   in Loop: Header=BB208_931 Depth=1
	s_or_b32 exec_lo, exec_lo, s19
	v_mov_b32_e32 v10, 24
	v_lshlrev_b32_e32 v6, 20, v6
	v_lshl_add_u32 v8, v8, 23, 0x3c000000
	v_lshlrev_b32_sdwa v10, v10, v13 dst_sel:DWORD dst_unused:UNUSED_PAD src0_sel:DWORD src1_sel:BYTE_3
	v_and_b32_e32 v10, 0x80000000, v10
	v_or3_b32 v11, v6, v10, v8
	v_mov_b32_e32 v10, v7
.LBB208_1370:                           ;   in Loop: Header=BB208_931 Depth=1
	s_or_b32 exec_lo, exec_lo, s18
.LBB208_1371:                           ;   in Loop: Header=BB208_931 Depth=1
	s_or_b32 exec_lo, exec_lo, s17
.LBB208_1372:                           ;   in Loop: Header=BB208_931 Depth=1
	s_or_b32 exec_lo, exec_lo, s15
	v_or_b32_e32 v6, v20, v18
	v_or_b32_e32 v8, v19, v17
	;; [unrolled: 1-line block ×4, first 2 shown]
	v_mul_f32_e32 v122, v98, v6
	v_mul_f32_e32 v121, v98, v8
	;; [unrolled: 1-line block ×4, first 2 shown]
	s_and_saveexec_b32 s15, vcc_lo
	s_cbranch_execz .LBB208_1374
; %bb.1373:                             ;   in Loop: Header=BB208_931 Depth=1
	v_cmp_lt_i32_e64 s4, v103, v47
	v_cndmask_b32_e64 v121, 0, v121, s4
	v_cmp_lt_i32_e64 s4, v114, v47
	v_cndmask_b32_e64 v122, 0, v122, s4
	;; [unrolled: 2-line block ×4, first 2 shown]
.LBB208_1374:                           ;   in Loop: Header=BB208_931 Depth=1
	s_or_b32 exec_lo, exec_lo, s15
	flat_load_dword v13, v[0:1] offset:1664
	v_mov_b32_e32 v19, 0
	v_mov_b32_e32 v17, 0
	;; [unrolled: 1-line block ×4, first 2 shown]
	s_waitcnt vmcnt(0) lgkmcnt(0)
	v_cmp_ne_u16_sdwa s4, v13, v7 src0_sel:BYTE_0 src1_sel:DWORD
	s_and_saveexec_b32 s15, s4
	s_cbranch_execz .LBB208_1382
; %bb.1375:                             ;   in Loop: Header=BB208_931 Depth=1
	v_bfrev_b32_e32 v17, 1
	v_mov_b32_e32 v18, 0
	v_cmp_ne_u16_sdwa s4, v13, v81 src0_sel:BYTE_0 src1_sel:DWORD
	s_and_saveexec_b32 s17, s4
	s_cbranch_execz .LBB208_1381
; %bb.1376:                             ;   in Loop: Header=BB208_931 Depth=1
	v_mov_b32_e32 v17, 0x7f800001
	v_and_b32_e32 v10, 0x7f, v13
	v_mov_b32_e32 v18, 0
	s_mov_b32 s18, exec_lo
	v_cmpx_ne_u32_e32 0x7f, v10
	s_cbranch_execz .LBB208_1380
; %bb.1377:                             ;   in Loop: Header=BB208_931 Depth=1
	v_and_b32_e32 v6, 7, v13
	v_lshrrev_b32_e32 v8, 3, v10
	s_mov_b32 s19, exec_lo
	v_cmpx_gt_u32_e32 8, v10
; %bb.1378:                             ;   in Loop: Header=BB208_931 Depth=1
	v_ffbh_u32_e32 v8, v6
	v_min_u32_e32 v8, 32, v8
	v_subrev_nc_u32_e32 v10, 28, v8
	v_sub_nc_u32_e32 v8, 29, v8
	v_lshlrev_b64 v[10:11], v10, v[6:7]
	v_and_b32_e32 v6, 7, v10
; %bb.1379:                             ;   in Loop: Header=BB208_931 Depth=1
	s_or_b32 exec_lo, exec_lo, s19
	v_lshlrev_b32_e32 v10, 24, v13
	v_lshlrev_b32_e32 v6, 20, v6
	v_lshl_add_u32 v8, v8, 23, 0x3c000000
	v_and_b32_e32 v10, 0x80000000, v10
	v_or3_b32 v6, v6, v10, v8
	v_mov_b32_e32 v18, v7
	v_mov_b32_e32 v17, v6
.LBB208_1380:                           ;   in Loop: Header=BB208_931 Depth=1
	s_or_b32 exec_lo, exec_lo, s18
.LBB208_1381:                           ;   in Loop: Header=BB208_931 Depth=1
	s_or_b32 exec_lo, exec_lo, s17
.LBB208_1382:                           ;   in Loop: Header=BB208_931 Depth=1
	s_or_b32 exec_lo, exec_lo, s15
	v_cmp_ne_u16_sdwa s4, v13, v7 src0_sel:BYTE_1 src1_sel:DWORD
	s_and_saveexec_b32 s15, s4
	s_cbranch_execz .LBB208_1390
; %bb.1383:                             ;   in Loop: Header=BB208_931 Depth=1
	v_mov_b32_e32 v8, v7
	v_mov_b32_e32 v20, v9
	v_cmp_ne_u16_sdwa s4, v13, v81 src0_sel:BYTE_1 src1_sel:DWORD
	v_mov_b32_e32 v19, v8
	s_and_saveexec_b32 s17, s4
	s_cbranch_execz .LBB208_1389
; %bb.1384:                             ;   in Loop: Header=BB208_931 Depth=1
	v_mov_b32_e32 v6, 0xffff
	v_mov_b32_e32 v11, v7
	;; [unrolled: 1-line block ×3, first 2 shown]
	s_mov_b32 s18, exec_lo
	v_and_b32_sdwa v6, v6, v13 dst_sel:DWORD dst_unused:UNUSED_PAD src0_sel:DWORD src1_sel:BYTE_1
	v_mov_b32_e32 v19, v11
	v_and_b32_e32 v10, 0x7f, v6
	v_cmpx_ne_u32_e32 0x7f, v10
	s_cbranch_execz .LBB208_1388
; %bb.1385:                             ;   in Loop: Header=BB208_931 Depth=1
	v_and_b32_e32 v6, 7, v6
	v_lshrrev_b32_e32 v8, 3, v10
	s_mov_b32 s19, exec_lo
	v_cmpx_gt_u32_e32 8, v10
; %bb.1386:                             ;   in Loop: Header=BB208_931 Depth=1
	v_ffbh_u32_e32 v8, v6
	v_min_u32_e32 v8, 32, v8
	v_subrev_nc_u32_e32 v10, 28, v8
	v_sub_nc_u32_e32 v8, 29, v8
	v_lshlrev_b64 v[10:11], v10, v[6:7]
	v_and_b32_e32 v6, 7, v10
; %bb.1387:                             ;   in Loop: Header=BB208_931 Depth=1
	s_or_b32 exec_lo, exec_lo, s19
	v_lshlrev_b32_e32 v10, 16, v13
	v_lshlrev_b32_e32 v6, 20, v6
	v_lshl_add_u32 v8, v8, 23, 0x3c000000
	v_mov_b32_e32 v19, v7
	v_and_b32_e32 v10, 0x80000000, v10
	v_or3_b32 v20, v6, v10, v8
.LBB208_1388:                           ;   in Loop: Header=BB208_931 Depth=1
	s_or_b32 exec_lo, exec_lo, s18
.LBB208_1389:                           ;   in Loop: Header=BB208_931 Depth=1
	s_or_b32 exec_lo, exec_lo, s17
.LBB208_1390:                           ;   in Loop: Header=BB208_931 Depth=1
	s_or_b32 exec_lo, exec_lo, s15
	v_mov_b32_e32 v10, 0
	v_mov_b32_e32 v21, 0
	v_and_b32_sdwa v6, v13, v83 dst_sel:DWORD dst_unused:UNUSED_PAD src0_sel:WORD_1 src1_sel:DWORD
	v_mov_b32_e32 v11, 0
	v_mov_b32_e32 v22, 0
	s_mov_b32 s15, exec_lo
	v_cmpx_ne_u16_e32 0, v6
	s_cbranch_execz .LBB208_1398
; %bb.1391:                             ;   in Loop: Header=BB208_931 Depth=1
	v_bfrev_b32_e32 v21, 1
	v_mov_b32_e32 v22, 0
	s_mov_b32 s17, exec_lo
	v_cmpx_ne_u16_e32 0x80, v6
	s_cbranch_execz .LBB208_1397
; %bb.1392:                             ;   in Loop: Header=BB208_931 Depth=1
	v_mov_b32_e32 v21, 0x7f800001
	v_bfe_u32 v14, v13, 16, 7
	v_mov_b32_e32 v22, 0
	s_mov_b32 s18, exec_lo
	v_cmpx_ne_u32_e32 0x7f, v14
	s_cbranch_execz .LBB208_1396
; %bb.1393:                             ;   in Loop: Header=BB208_931 Depth=1
	v_mov_b32_e32 v6, 7
	v_lshrrev_b32_e32 v8, 3, v14
	s_mov_b32 s19, exec_lo
	v_and_b32_sdwa v6, v13, v6 dst_sel:DWORD dst_unused:UNUSED_PAD src0_sel:WORD_1 src1_sel:DWORD
	v_cmpx_gt_u32_e32 8, v14
; %bb.1394:                             ;   in Loop: Header=BB208_931 Depth=1
	v_ffbh_u32_e32 v8, v6
	v_min_u32_e32 v8, 32, v8
	v_subrev_nc_u32_e32 v14, 28, v8
	v_sub_nc_u32_e32 v8, 29, v8
	v_lshlrev_b64 v[21:22], v14, v[6:7]
	v_and_b32_e32 v6, 7, v21
; %bb.1395:                             ;   in Loop: Header=BB208_931 Depth=1
	s_or_b32 exec_lo, exec_lo, s19
	v_mov_b32_e32 v14, 24
	v_lshlrev_b32_e32 v6, 20, v6
	v_lshl_add_u32 v8, v8, 23, 0x3c000000
	v_lshlrev_b32_sdwa v14, v14, v13 dst_sel:DWORD dst_unused:UNUSED_PAD src0_sel:DWORD src1_sel:WORD_1
	v_and_b32_e32 v14, 0x80000000, v14
	v_or3_b32 v6, v6, v14, v8
	v_mov_b32_e32 v22, v7
	v_mov_b32_e32 v21, v6
.LBB208_1396:                           ;   in Loop: Header=BB208_931 Depth=1
	s_or_b32 exec_lo, exec_lo, s18
.LBB208_1397:                           ;   in Loop: Header=BB208_931 Depth=1
	s_or_b32 exec_lo, exec_lo, s17
.LBB208_1398:                           ;   in Loop: Header=BB208_931 Depth=1
	s_or_b32 exec_lo, exec_lo, s15
	s_mov_b32 s15, exec_lo
	v_cmpx_lt_u32_e32 0xffffff, v13
	s_cbranch_execz .LBB208_1406
; %bb.1399:                             ;   in Loop: Header=BB208_931 Depth=1
	v_mov_b32_e32 v8, v7
	v_mov_b32_e32 v11, v9
	v_cmp_ne_u32_sdwa s4, v13, v81 src0_sel:BYTE_3 src1_sel:DWORD
	v_mov_b32_e32 v10, v8
	s_and_saveexec_b32 s17, s4
	s_cbranch_execz .LBB208_1405
; %bb.1400:                             ;   in Loop: Header=BB208_931 Depth=1
	v_mov_b32_e32 v11, v7
	v_bfe_u32 v14, v13, 24, 7
	s_mov_b32 s18, exec_lo
	v_mov_b32_e32 v10, v11
	v_mov_b32_e32 v11, v12
	v_cmpx_ne_u32_e32 0x7f, v14
	s_cbranch_execz .LBB208_1404
; %bb.1401:                             ;   in Loop: Header=BB208_931 Depth=1
	v_mov_b32_e32 v6, 7
	v_lshrrev_b32_e32 v8, 3, v14
	s_mov_b32 s19, exec_lo
	v_and_b32_sdwa v6, v13, v6 dst_sel:DWORD dst_unused:UNUSED_PAD src0_sel:BYTE_3 src1_sel:DWORD
	v_cmpx_gt_u32_e32 8, v14
; %bb.1402:                             ;   in Loop: Header=BB208_931 Depth=1
	v_ffbh_u32_e32 v8, v6
	v_min_u32_e32 v8, 32, v8
	v_subrev_nc_u32_e32 v10, 28, v8
	v_sub_nc_u32_e32 v8, 29, v8
	v_lshlrev_b64 v[10:11], v10, v[6:7]
	v_and_b32_e32 v6, 7, v10
; %bb.1403:                             ;   in Loop: Header=BB208_931 Depth=1
	s_or_b32 exec_lo, exec_lo, s19
	v_mov_b32_e32 v10, 24
	v_lshlrev_b32_e32 v6, 20, v6
	v_lshl_add_u32 v8, v8, 23, 0x3c000000
	v_lshlrev_b32_sdwa v10, v10, v13 dst_sel:DWORD dst_unused:UNUSED_PAD src0_sel:DWORD src1_sel:BYTE_3
	v_and_b32_e32 v10, 0x80000000, v10
	v_or3_b32 v11, v6, v10, v8
	v_mov_b32_e32 v10, v7
.LBB208_1404:                           ;   in Loop: Header=BB208_931 Depth=1
	s_or_b32 exec_lo, exec_lo, s18
.LBB208_1405:                           ;   in Loop: Header=BB208_931 Depth=1
	s_or_b32 exec_lo, exec_lo, s17
.LBB208_1406:                           ;   in Loop: Header=BB208_931 Depth=1
	s_or_b32 exec_lo, exec_lo, s15
	v_or_b32_e32 v6, v20, v18
	v_or_b32_e32 v8, v19, v17
	;; [unrolled: 1-line block ×4, first 2 shown]
	v_mul_f32_e32 v126, v98, v6
	v_mul_f32_e32 v125, v98, v8
	;; [unrolled: 1-line block ×4, first 2 shown]
	s_and_saveexec_b32 s15, vcc_lo
	s_cbranch_execz .LBB208_1408
; %bb.1407:                             ;   in Loop: Header=BB208_931 Depth=1
	v_cmp_lt_i32_e64 s4, v103, v47
	v_cndmask_b32_e64 v125, 0, v125, s4
	v_cmp_lt_i32_e64 s4, v114, v47
	v_cndmask_b32_e64 v126, 0, v126, s4
	;; [unrolled: 2-line block ×4, first 2 shown]
.LBB208_1408:                           ;   in Loop: Header=BB208_931 Depth=1
	s_or_b32 exec_lo, exec_lo, s15
	flat_load_dword v13, v[0:1] offset:1792
	v_mov_b32_e32 v19, 0
	v_mov_b32_e32 v17, 0
	;; [unrolled: 1-line block ×4, first 2 shown]
	s_waitcnt vmcnt(0) lgkmcnt(0)
	v_cmp_ne_u16_sdwa s4, v13, v7 src0_sel:BYTE_0 src1_sel:DWORD
	s_and_saveexec_b32 s15, s4
	s_cbranch_execz .LBB208_1416
; %bb.1409:                             ;   in Loop: Header=BB208_931 Depth=1
	v_bfrev_b32_e32 v17, 1
	v_mov_b32_e32 v18, 0
	v_cmp_ne_u16_sdwa s4, v13, v81 src0_sel:BYTE_0 src1_sel:DWORD
	s_and_saveexec_b32 s17, s4
	s_cbranch_execz .LBB208_1415
; %bb.1410:                             ;   in Loop: Header=BB208_931 Depth=1
	v_mov_b32_e32 v17, 0x7f800001
	v_and_b32_e32 v10, 0x7f, v13
	v_mov_b32_e32 v18, 0
	s_mov_b32 s18, exec_lo
	v_cmpx_ne_u32_e32 0x7f, v10
	s_cbranch_execz .LBB208_1414
; %bb.1411:                             ;   in Loop: Header=BB208_931 Depth=1
	v_and_b32_e32 v6, 7, v13
	v_lshrrev_b32_e32 v8, 3, v10
	s_mov_b32 s19, exec_lo
	v_cmpx_gt_u32_e32 8, v10
; %bb.1412:                             ;   in Loop: Header=BB208_931 Depth=1
	v_ffbh_u32_e32 v8, v6
	v_min_u32_e32 v8, 32, v8
	v_subrev_nc_u32_e32 v10, 28, v8
	v_sub_nc_u32_e32 v8, 29, v8
	v_lshlrev_b64 v[10:11], v10, v[6:7]
	v_and_b32_e32 v6, 7, v10
; %bb.1413:                             ;   in Loop: Header=BB208_931 Depth=1
	s_or_b32 exec_lo, exec_lo, s19
	v_lshlrev_b32_e32 v10, 24, v13
	v_lshlrev_b32_e32 v6, 20, v6
	v_lshl_add_u32 v8, v8, 23, 0x3c000000
	v_and_b32_e32 v10, 0x80000000, v10
	v_or3_b32 v6, v6, v10, v8
	v_mov_b32_e32 v18, v7
	v_mov_b32_e32 v17, v6
.LBB208_1414:                           ;   in Loop: Header=BB208_931 Depth=1
	s_or_b32 exec_lo, exec_lo, s18
.LBB208_1415:                           ;   in Loop: Header=BB208_931 Depth=1
	s_or_b32 exec_lo, exec_lo, s17
.LBB208_1416:                           ;   in Loop: Header=BB208_931 Depth=1
	s_or_b32 exec_lo, exec_lo, s15
	v_cmp_ne_u16_sdwa s4, v13, v7 src0_sel:BYTE_1 src1_sel:DWORD
	s_and_saveexec_b32 s15, s4
	s_cbranch_execz .LBB208_1424
; %bb.1417:                             ;   in Loop: Header=BB208_931 Depth=1
	v_mov_b32_e32 v8, v7
	v_mov_b32_e32 v20, v9
	v_cmp_ne_u16_sdwa s4, v13, v81 src0_sel:BYTE_1 src1_sel:DWORD
	v_mov_b32_e32 v19, v8
	s_and_saveexec_b32 s17, s4
	s_cbranch_execz .LBB208_1423
; %bb.1418:                             ;   in Loop: Header=BB208_931 Depth=1
	v_mov_b32_e32 v6, 0xffff
	v_mov_b32_e32 v11, v7
	v_mov_b32_e32 v20, v12
	s_mov_b32 s18, exec_lo
	v_and_b32_sdwa v6, v6, v13 dst_sel:DWORD dst_unused:UNUSED_PAD src0_sel:DWORD src1_sel:BYTE_1
	v_mov_b32_e32 v19, v11
	v_and_b32_e32 v10, 0x7f, v6
	v_cmpx_ne_u32_e32 0x7f, v10
	s_cbranch_execz .LBB208_1422
; %bb.1419:                             ;   in Loop: Header=BB208_931 Depth=1
	v_and_b32_e32 v6, 7, v6
	v_lshrrev_b32_e32 v8, 3, v10
	s_mov_b32 s19, exec_lo
	v_cmpx_gt_u32_e32 8, v10
; %bb.1420:                             ;   in Loop: Header=BB208_931 Depth=1
	v_ffbh_u32_e32 v8, v6
	v_min_u32_e32 v8, 32, v8
	v_subrev_nc_u32_e32 v10, 28, v8
	v_sub_nc_u32_e32 v8, 29, v8
	v_lshlrev_b64 v[10:11], v10, v[6:7]
	v_and_b32_e32 v6, 7, v10
; %bb.1421:                             ;   in Loop: Header=BB208_931 Depth=1
	s_or_b32 exec_lo, exec_lo, s19
	v_lshlrev_b32_e32 v10, 16, v13
	v_lshlrev_b32_e32 v6, 20, v6
	v_lshl_add_u32 v8, v8, 23, 0x3c000000
	v_mov_b32_e32 v19, v7
	v_and_b32_e32 v10, 0x80000000, v10
	v_or3_b32 v20, v6, v10, v8
.LBB208_1422:                           ;   in Loop: Header=BB208_931 Depth=1
	s_or_b32 exec_lo, exec_lo, s18
.LBB208_1423:                           ;   in Loop: Header=BB208_931 Depth=1
	s_or_b32 exec_lo, exec_lo, s17
.LBB208_1424:                           ;   in Loop: Header=BB208_931 Depth=1
	s_or_b32 exec_lo, exec_lo, s15
	v_mov_b32_e32 v10, 0
	v_mov_b32_e32 v21, 0
	v_and_b32_sdwa v6, v13, v83 dst_sel:DWORD dst_unused:UNUSED_PAD src0_sel:WORD_1 src1_sel:DWORD
	v_mov_b32_e32 v11, 0
	v_mov_b32_e32 v22, 0
	s_mov_b32 s15, exec_lo
	v_cmpx_ne_u16_e32 0, v6
	s_cbranch_execz .LBB208_1432
; %bb.1425:                             ;   in Loop: Header=BB208_931 Depth=1
	v_bfrev_b32_e32 v21, 1
	v_mov_b32_e32 v22, 0
	s_mov_b32 s17, exec_lo
	v_cmpx_ne_u16_e32 0x80, v6
	s_cbranch_execz .LBB208_1431
; %bb.1426:                             ;   in Loop: Header=BB208_931 Depth=1
	v_mov_b32_e32 v21, 0x7f800001
	v_bfe_u32 v14, v13, 16, 7
	v_mov_b32_e32 v22, 0
	s_mov_b32 s18, exec_lo
	v_cmpx_ne_u32_e32 0x7f, v14
	s_cbranch_execz .LBB208_1430
; %bb.1427:                             ;   in Loop: Header=BB208_931 Depth=1
	v_mov_b32_e32 v6, 7
	v_lshrrev_b32_e32 v8, 3, v14
	s_mov_b32 s19, exec_lo
	v_and_b32_sdwa v6, v13, v6 dst_sel:DWORD dst_unused:UNUSED_PAD src0_sel:WORD_1 src1_sel:DWORD
	v_cmpx_gt_u32_e32 8, v14
; %bb.1428:                             ;   in Loop: Header=BB208_931 Depth=1
	v_ffbh_u32_e32 v8, v6
	v_min_u32_e32 v8, 32, v8
	v_subrev_nc_u32_e32 v14, 28, v8
	v_sub_nc_u32_e32 v8, 29, v8
	v_lshlrev_b64 v[21:22], v14, v[6:7]
	v_and_b32_e32 v6, 7, v21
; %bb.1429:                             ;   in Loop: Header=BB208_931 Depth=1
	s_or_b32 exec_lo, exec_lo, s19
	v_mov_b32_e32 v14, 24
	v_lshlrev_b32_e32 v6, 20, v6
	v_lshl_add_u32 v8, v8, 23, 0x3c000000
	v_lshlrev_b32_sdwa v14, v14, v13 dst_sel:DWORD dst_unused:UNUSED_PAD src0_sel:DWORD src1_sel:WORD_1
	v_and_b32_e32 v14, 0x80000000, v14
	v_or3_b32 v6, v6, v14, v8
	v_mov_b32_e32 v22, v7
	v_mov_b32_e32 v21, v6
.LBB208_1430:                           ;   in Loop: Header=BB208_931 Depth=1
	s_or_b32 exec_lo, exec_lo, s18
.LBB208_1431:                           ;   in Loop: Header=BB208_931 Depth=1
	s_or_b32 exec_lo, exec_lo, s17
.LBB208_1432:                           ;   in Loop: Header=BB208_931 Depth=1
	s_or_b32 exec_lo, exec_lo, s15
	s_mov_b32 s15, exec_lo
	v_cmpx_lt_u32_e32 0xffffff, v13
	s_cbranch_execz .LBB208_1440
; %bb.1433:                             ;   in Loop: Header=BB208_931 Depth=1
	v_mov_b32_e32 v8, v7
	v_mov_b32_e32 v11, v9
	v_cmp_ne_u32_sdwa s4, v13, v81 src0_sel:BYTE_3 src1_sel:DWORD
	v_mov_b32_e32 v10, v8
	s_and_saveexec_b32 s17, s4
	s_cbranch_execz .LBB208_1439
; %bb.1434:                             ;   in Loop: Header=BB208_931 Depth=1
	v_mov_b32_e32 v11, v7
	v_bfe_u32 v14, v13, 24, 7
	s_mov_b32 s18, exec_lo
	v_mov_b32_e32 v10, v11
	v_mov_b32_e32 v11, v12
	v_cmpx_ne_u32_e32 0x7f, v14
	s_cbranch_execz .LBB208_1438
; %bb.1435:                             ;   in Loop: Header=BB208_931 Depth=1
	v_mov_b32_e32 v6, 7
	v_lshrrev_b32_e32 v8, 3, v14
	s_mov_b32 s19, exec_lo
	v_and_b32_sdwa v6, v13, v6 dst_sel:DWORD dst_unused:UNUSED_PAD src0_sel:BYTE_3 src1_sel:DWORD
	v_cmpx_gt_u32_e32 8, v14
; %bb.1436:                             ;   in Loop: Header=BB208_931 Depth=1
	v_ffbh_u32_e32 v8, v6
	v_min_u32_e32 v8, 32, v8
	v_subrev_nc_u32_e32 v10, 28, v8
	v_sub_nc_u32_e32 v8, 29, v8
	v_lshlrev_b64 v[10:11], v10, v[6:7]
	v_and_b32_e32 v6, 7, v10
; %bb.1437:                             ;   in Loop: Header=BB208_931 Depth=1
	s_or_b32 exec_lo, exec_lo, s19
	v_mov_b32_e32 v10, 24
	v_lshlrev_b32_e32 v6, 20, v6
	v_lshl_add_u32 v8, v8, 23, 0x3c000000
	v_lshlrev_b32_sdwa v10, v10, v13 dst_sel:DWORD dst_unused:UNUSED_PAD src0_sel:DWORD src1_sel:BYTE_3
	v_and_b32_e32 v10, 0x80000000, v10
	v_or3_b32 v11, v6, v10, v8
	v_mov_b32_e32 v10, v7
.LBB208_1438:                           ;   in Loop: Header=BB208_931 Depth=1
	s_or_b32 exec_lo, exec_lo, s18
.LBB208_1439:                           ;   in Loop: Header=BB208_931 Depth=1
	s_or_b32 exec_lo, exec_lo, s17
.LBB208_1440:                           ;   in Loop: Header=BB208_931 Depth=1
	s_or_b32 exec_lo, exec_lo, s15
	v_or_b32_e32 v6, v20, v18
	v_or_b32_e32 v8, v19, v17
	v_or_b32_e32 v10, v10, v21
	v_or_b32_e32 v11, v11, v22
	v_mul_f32_e32 v13, v98, v6
	v_mul_f32_e32 v86, v98, v8
	v_mul_f32_e32 v27, v98, v10
	v_mul_f32_e32 v127, v98, v11
	s_and_saveexec_b32 s15, vcc_lo
	s_cbranch_execz .LBB208_1442
; %bb.1441:                             ;   in Loop: Header=BB208_931 Depth=1
	v_cmp_lt_i32_e64 s4, v103, v47
	v_cndmask_b32_e64 v86, 0, v86, s4
	v_cmp_lt_i32_e64 s4, v114, v47
	v_cndmask_b32_e64 v13, 0, v13, s4
	;; [unrolled: 2-line block ×4, first 2 shown]
.LBB208_1442:                           ;   in Loop: Header=BB208_931 Depth=1
	s_or_b32 exec_lo, exec_lo, s15
	flat_load_dword v14, v[0:1] offset:1920
	v_mov_b32_e32 v19, 0
	v_mov_b32_e32 v17, 0
	;; [unrolled: 1-line block ×4, first 2 shown]
	s_waitcnt vmcnt(0) lgkmcnt(0)
	v_cmp_ne_u16_sdwa s4, v14, v7 src0_sel:BYTE_0 src1_sel:DWORD
	s_and_saveexec_b32 s15, s4
	s_cbranch_execz .LBB208_1450
; %bb.1443:                             ;   in Loop: Header=BB208_931 Depth=1
	v_bfrev_b32_e32 v17, 1
	v_mov_b32_e32 v18, 0
	v_cmp_ne_u16_sdwa s4, v14, v81 src0_sel:BYTE_0 src1_sel:DWORD
	s_and_saveexec_b32 s17, s4
	s_cbranch_execz .LBB208_1449
; %bb.1444:                             ;   in Loop: Header=BB208_931 Depth=1
	v_mov_b32_e32 v17, 0x7f800001
	v_and_b32_e32 v10, 0x7f, v14
	v_mov_b32_e32 v18, 0
	s_mov_b32 s18, exec_lo
	v_cmpx_ne_u32_e32 0x7f, v10
	s_cbranch_execz .LBB208_1448
; %bb.1445:                             ;   in Loop: Header=BB208_931 Depth=1
	v_and_b32_e32 v6, 7, v14
	v_lshrrev_b32_e32 v8, 3, v10
	s_mov_b32 s19, exec_lo
	v_cmpx_gt_u32_e32 8, v10
; %bb.1446:                             ;   in Loop: Header=BB208_931 Depth=1
	v_ffbh_u32_e32 v8, v6
	v_min_u32_e32 v8, 32, v8
	v_subrev_nc_u32_e32 v10, 28, v8
	v_sub_nc_u32_e32 v8, 29, v8
	v_lshlrev_b64 v[10:11], v10, v[6:7]
	v_and_b32_e32 v6, 7, v10
; %bb.1447:                             ;   in Loop: Header=BB208_931 Depth=1
	s_or_b32 exec_lo, exec_lo, s19
	v_lshlrev_b32_e32 v10, 24, v14
	v_lshlrev_b32_e32 v6, 20, v6
	v_lshl_add_u32 v8, v8, 23, 0x3c000000
	v_and_b32_e32 v10, 0x80000000, v10
	v_or3_b32 v6, v6, v10, v8
	v_mov_b32_e32 v18, v7
	v_mov_b32_e32 v17, v6
.LBB208_1448:                           ;   in Loop: Header=BB208_931 Depth=1
	s_or_b32 exec_lo, exec_lo, s18
.LBB208_1449:                           ;   in Loop: Header=BB208_931 Depth=1
	s_or_b32 exec_lo, exec_lo, s17
.LBB208_1450:                           ;   in Loop: Header=BB208_931 Depth=1
	s_or_b32 exec_lo, exec_lo, s15
	v_cmp_ne_u16_sdwa s4, v14, v7 src0_sel:BYTE_1 src1_sel:DWORD
	s_and_saveexec_b32 s15, s4
	s_cbranch_execz .LBB208_1458
; %bb.1451:                             ;   in Loop: Header=BB208_931 Depth=1
	v_mov_b32_e32 v8, v7
	v_mov_b32_e32 v20, v9
	v_cmp_ne_u16_sdwa s4, v14, v81 src0_sel:BYTE_1 src1_sel:DWORD
	v_mov_b32_e32 v19, v8
	s_and_saveexec_b32 s17, s4
	s_cbranch_execz .LBB208_1457
; %bb.1452:                             ;   in Loop: Header=BB208_931 Depth=1
	v_mov_b32_e32 v6, 0xffff
	v_mov_b32_e32 v11, v7
	;; [unrolled: 1-line block ×3, first 2 shown]
	s_mov_b32 s18, exec_lo
	v_and_b32_sdwa v6, v6, v14 dst_sel:DWORD dst_unused:UNUSED_PAD src0_sel:DWORD src1_sel:BYTE_1
	v_mov_b32_e32 v19, v11
	v_and_b32_e32 v10, 0x7f, v6
	v_cmpx_ne_u32_e32 0x7f, v10
	s_cbranch_execz .LBB208_1456
; %bb.1453:                             ;   in Loop: Header=BB208_931 Depth=1
	v_and_b32_e32 v6, 7, v6
	v_lshrrev_b32_e32 v8, 3, v10
	s_mov_b32 s19, exec_lo
	v_cmpx_gt_u32_e32 8, v10
; %bb.1454:                             ;   in Loop: Header=BB208_931 Depth=1
	v_ffbh_u32_e32 v8, v6
	v_min_u32_e32 v8, 32, v8
	v_subrev_nc_u32_e32 v10, 28, v8
	v_sub_nc_u32_e32 v8, 29, v8
	v_lshlrev_b64 v[10:11], v10, v[6:7]
	v_and_b32_e32 v6, 7, v10
; %bb.1455:                             ;   in Loop: Header=BB208_931 Depth=1
	s_or_b32 exec_lo, exec_lo, s19
	v_lshlrev_b32_e32 v10, 16, v14
	v_lshlrev_b32_e32 v6, 20, v6
	v_lshl_add_u32 v8, v8, 23, 0x3c000000
	v_mov_b32_e32 v19, v7
	v_and_b32_e32 v10, 0x80000000, v10
	v_or3_b32 v20, v6, v10, v8
.LBB208_1456:                           ;   in Loop: Header=BB208_931 Depth=1
	s_or_b32 exec_lo, exec_lo, s18
.LBB208_1457:                           ;   in Loop: Header=BB208_931 Depth=1
	s_or_b32 exec_lo, exec_lo, s17
.LBB208_1458:                           ;   in Loop: Header=BB208_931 Depth=1
	s_or_b32 exec_lo, exec_lo, s15
	v_mov_b32_e32 v10, 0
	v_mov_b32_e32 v21, 0
	v_and_b32_sdwa v6, v14, v83 dst_sel:DWORD dst_unused:UNUSED_PAD src0_sel:WORD_1 src1_sel:DWORD
	v_mov_b32_e32 v11, 0
	v_mov_b32_e32 v22, 0
	s_mov_b32 s15, exec_lo
	v_cmpx_ne_u16_e32 0, v6
	s_cbranch_execz .LBB208_1466
; %bb.1459:                             ;   in Loop: Header=BB208_931 Depth=1
	v_bfrev_b32_e32 v21, 1
	v_mov_b32_e32 v22, 0
	s_mov_b32 s17, exec_lo
	v_cmpx_ne_u16_e32 0x80, v6
	s_cbranch_execz .LBB208_1465
; %bb.1460:                             ;   in Loop: Header=BB208_931 Depth=1
	v_mov_b32_e32 v21, 0x7f800001
	v_bfe_u32 v28, v14, 16, 7
	v_mov_b32_e32 v22, 0
	s_mov_b32 s18, exec_lo
	v_cmpx_ne_u32_e32 0x7f, v28
	s_cbranch_execz .LBB208_1464
; %bb.1461:                             ;   in Loop: Header=BB208_931 Depth=1
	v_mov_b32_e32 v6, 7
	v_lshrrev_b32_e32 v8, 3, v28
	s_mov_b32 s19, exec_lo
	v_and_b32_sdwa v6, v14, v6 dst_sel:DWORD dst_unused:UNUSED_PAD src0_sel:WORD_1 src1_sel:DWORD
	v_cmpx_gt_u32_e32 8, v28
; %bb.1462:                             ;   in Loop: Header=BB208_931 Depth=1
	v_ffbh_u32_e32 v8, v6
	v_min_u32_e32 v8, 32, v8
	v_subrev_nc_u32_e32 v21, 28, v8
	v_sub_nc_u32_e32 v8, 29, v8
	v_lshlrev_b64 v[21:22], v21, v[6:7]
	v_and_b32_e32 v6, 7, v21
; %bb.1463:                             ;   in Loop: Header=BB208_931 Depth=1
	s_or_b32 exec_lo, exec_lo, s19
	v_mov_b32_e32 v21, 24
	v_lshlrev_b32_e32 v6, 20, v6
	v_lshl_add_u32 v8, v8, 23, 0x3c000000
	v_lshlrev_b32_sdwa v21, v21, v14 dst_sel:DWORD dst_unused:UNUSED_PAD src0_sel:DWORD src1_sel:WORD_1
	v_and_b32_e32 v21, 0x80000000, v21
	v_or3_b32 v6, v6, v21, v8
	v_mov_b32_e32 v22, v7
	v_mov_b32_e32 v21, v6
.LBB208_1464:                           ;   in Loop: Header=BB208_931 Depth=1
	s_or_b32 exec_lo, exec_lo, s18
.LBB208_1465:                           ;   in Loop: Header=BB208_931 Depth=1
	s_or_b32 exec_lo, exec_lo, s17
.LBB208_1466:                           ;   in Loop: Header=BB208_931 Depth=1
	s_or_b32 exec_lo, exec_lo, s15
	s_mov_b32 s15, exec_lo
	v_cmpx_lt_u32_e32 0xffffff, v14
	s_cbranch_execz .LBB208_1474
; %bb.1467:                             ;   in Loop: Header=BB208_931 Depth=1
	v_mov_b32_e32 v8, v7
	v_mov_b32_e32 v11, v9
	v_cmp_ne_u32_sdwa s4, v14, v81 src0_sel:BYTE_3 src1_sel:DWORD
	v_mov_b32_e32 v10, v8
	s_and_saveexec_b32 s17, s4
	s_cbranch_execz .LBB208_1473
; %bb.1468:                             ;   in Loop: Header=BB208_931 Depth=1
	v_mov_b32_e32 v11, v7
	v_bfe_u32 v28, v14, 24, 7
	s_mov_b32 s18, exec_lo
	v_mov_b32_e32 v10, v11
	v_mov_b32_e32 v11, v12
	v_cmpx_ne_u32_e32 0x7f, v28
	s_cbranch_execz .LBB208_1472
; %bb.1469:                             ;   in Loop: Header=BB208_931 Depth=1
	v_mov_b32_e32 v6, 7
	v_lshrrev_b32_e32 v8, 3, v28
	s_mov_b32 s19, exec_lo
	v_and_b32_sdwa v6, v14, v6 dst_sel:DWORD dst_unused:UNUSED_PAD src0_sel:BYTE_3 src1_sel:DWORD
	v_cmpx_gt_u32_e32 8, v28
; %bb.1470:                             ;   in Loop: Header=BB208_931 Depth=1
	v_ffbh_u32_e32 v8, v6
	v_min_u32_e32 v8, 32, v8
	v_subrev_nc_u32_e32 v10, 28, v8
	v_sub_nc_u32_e32 v8, 29, v8
	v_lshlrev_b64 v[10:11], v10, v[6:7]
	v_and_b32_e32 v6, 7, v10
; %bb.1471:                             ;   in Loop: Header=BB208_931 Depth=1
	s_or_b32 exec_lo, exec_lo, s19
	v_mov_b32_e32 v10, 24
	v_lshlrev_b32_e32 v6, 20, v6
	v_lshl_add_u32 v8, v8, 23, 0x3c000000
	v_lshlrev_b32_sdwa v10, v10, v14 dst_sel:DWORD dst_unused:UNUSED_PAD src0_sel:DWORD src1_sel:BYTE_3
	v_and_b32_e32 v10, 0x80000000, v10
	v_or3_b32 v11, v6, v10, v8
	v_mov_b32_e32 v10, v7
.LBB208_1472:                           ;   in Loop: Header=BB208_931 Depth=1
	s_or_b32 exec_lo, exec_lo, s18
.LBB208_1473:                           ;   in Loop: Header=BB208_931 Depth=1
	s_or_b32 exec_lo, exec_lo, s17
.LBB208_1474:                           ;   in Loop: Header=BB208_931 Depth=1
	s_or_b32 exec_lo, exec_lo, s15
	v_or_b32_e32 v6, v20, v18
	v_or_b32_e32 v8, v19, v17
	;; [unrolled: 1-line block ×4, first 2 shown]
	v_mul_f32_e32 v29, v98, v6
	v_mul_f32_e32 v28, v98, v8
	;; [unrolled: 1-line block ×4, first 2 shown]
	s_and_saveexec_b32 s15, vcc_lo
	s_cbranch_execz .LBB208_1476
; %bb.1475:                             ;   in Loop: Header=BB208_931 Depth=1
	v_cmp_lt_i32_e64 s4, v103, v47
	v_cndmask_b32_e64 v28, 0, v28, s4
	v_cmp_lt_i32_e64 s4, v114, v47
	v_cndmask_b32_e64 v29, 0, v29, s4
	;; [unrolled: 2-line block ×4, first 2 shown]
.LBB208_1476:                           ;   in Loop: Header=BB208_931 Depth=1
	s_or_b32 exec_lo, exec_lo, s15
	v_add_co_u32 v0, s4, 0x800, v0
	v_add_co_ci_u32_e64 v1, null, 0, v1, s4
	v_mov_b32_e32 v19, 0
	v_mov_b32_e32 v17, 0
	;; [unrolled: 1-line block ×3, first 2 shown]
	flat_load_dword v30, v[0:1]
	v_mov_b32_e32 v18, 0
	s_waitcnt vmcnt(0) lgkmcnt(0)
	v_cmp_ne_u16_sdwa s4, v30, v7 src0_sel:BYTE_0 src1_sel:DWORD
	s_and_saveexec_b32 s15, s4
	s_cbranch_execz .LBB208_1484
; %bb.1477:                             ;   in Loop: Header=BB208_931 Depth=1
	v_bfrev_b32_e32 v17, 1
	v_mov_b32_e32 v18, 0
	v_cmp_ne_u16_sdwa s4, v30, v81 src0_sel:BYTE_0 src1_sel:DWORD
	s_and_saveexec_b32 s17, s4
	s_cbranch_execz .LBB208_1483
; %bb.1478:                             ;   in Loop: Header=BB208_931 Depth=1
	v_mov_b32_e32 v17, 0x7f800001
	v_and_b32_e32 v10, 0x7f, v30
	v_mov_b32_e32 v18, 0
	s_mov_b32 s18, exec_lo
	v_cmpx_ne_u32_e32 0x7f, v10
	s_cbranch_execz .LBB208_1482
; %bb.1479:                             ;   in Loop: Header=BB208_931 Depth=1
	v_and_b32_e32 v6, 7, v30
	v_lshrrev_b32_e32 v8, 3, v10
	s_mov_b32 s19, exec_lo
	v_cmpx_gt_u32_e32 8, v10
; %bb.1480:                             ;   in Loop: Header=BB208_931 Depth=1
	v_ffbh_u32_e32 v8, v6
	v_min_u32_e32 v8, 32, v8
	v_subrev_nc_u32_e32 v10, 28, v8
	v_sub_nc_u32_e32 v8, 29, v8
	v_lshlrev_b64 v[10:11], v10, v[6:7]
	v_and_b32_e32 v6, 7, v10
; %bb.1481:                             ;   in Loop: Header=BB208_931 Depth=1
	s_or_b32 exec_lo, exec_lo, s19
	v_lshlrev_b32_e32 v10, 24, v30
	v_lshlrev_b32_e32 v6, 20, v6
	v_lshl_add_u32 v8, v8, 23, 0x3c000000
	v_and_b32_e32 v10, 0x80000000, v10
	v_or3_b32 v6, v6, v10, v8
	v_mov_b32_e32 v18, v7
	v_mov_b32_e32 v17, v6
.LBB208_1482:                           ;   in Loop: Header=BB208_931 Depth=1
	s_or_b32 exec_lo, exec_lo, s18
.LBB208_1483:                           ;   in Loop: Header=BB208_931 Depth=1
	s_or_b32 exec_lo, exec_lo, s17
.LBB208_1484:                           ;   in Loop: Header=BB208_931 Depth=1
	s_or_b32 exec_lo, exec_lo, s15
	v_cmp_ne_u16_sdwa s4, v30, v7 src0_sel:BYTE_1 src1_sel:DWORD
	s_and_saveexec_b32 s15, s4
	s_cbranch_execz .LBB208_1492
; %bb.1485:                             ;   in Loop: Header=BB208_931 Depth=1
	v_mov_b32_e32 v8, v7
	v_mov_b32_e32 v20, v9
	v_cmp_ne_u16_sdwa s4, v30, v81 src0_sel:BYTE_1 src1_sel:DWORD
	v_mov_b32_e32 v19, v8
	s_and_saveexec_b32 s17, s4
	s_cbranch_execz .LBB208_1491
; %bb.1486:                             ;   in Loop: Header=BB208_931 Depth=1
	v_mov_b32_e32 v6, 0xffff
	v_mov_b32_e32 v11, v7
	;; [unrolled: 1-line block ×3, first 2 shown]
	s_mov_b32 s18, exec_lo
	v_and_b32_sdwa v6, v6, v30 dst_sel:DWORD dst_unused:UNUSED_PAD src0_sel:DWORD src1_sel:BYTE_1
	v_mov_b32_e32 v19, v11
	v_and_b32_e32 v10, 0x7f, v6
	v_cmpx_ne_u32_e32 0x7f, v10
	s_cbranch_execz .LBB208_1490
; %bb.1487:                             ;   in Loop: Header=BB208_931 Depth=1
	v_and_b32_e32 v6, 7, v6
	v_lshrrev_b32_e32 v8, 3, v10
	s_mov_b32 s19, exec_lo
	v_cmpx_gt_u32_e32 8, v10
; %bb.1488:                             ;   in Loop: Header=BB208_931 Depth=1
	v_ffbh_u32_e32 v8, v6
	v_min_u32_e32 v8, 32, v8
	v_subrev_nc_u32_e32 v10, 28, v8
	v_sub_nc_u32_e32 v8, 29, v8
	v_lshlrev_b64 v[10:11], v10, v[6:7]
	v_and_b32_e32 v6, 7, v10
; %bb.1489:                             ;   in Loop: Header=BB208_931 Depth=1
	s_or_b32 exec_lo, exec_lo, s19
	v_lshlrev_b32_e32 v10, 16, v30
	v_lshlrev_b32_e32 v6, 20, v6
	v_lshl_add_u32 v8, v8, 23, 0x3c000000
	v_mov_b32_e32 v19, v7
	v_and_b32_e32 v10, 0x80000000, v10
	v_or3_b32 v20, v6, v10, v8
.LBB208_1490:                           ;   in Loop: Header=BB208_931 Depth=1
	s_or_b32 exec_lo, exec_lo, s18
.LBB208_1491:                           ;   in Loop: Header=BB208_931 Depth=1
	s_or_b32 exec_lo, exec_lo, s17
.LBB208_1492:                           ;   in Loop: Header=BB208_931 Depth=1
	s_or_b32 exec_lo, exec_lo, s15
	v_mov_b32_e32 v10, 0
	v_mov_b32_e32 v21, 0
	v_and_b32_sdwa v6, v30, v83 dst_sel:DWORD dst_unused:UNUSED_PAD src0_sel:WORD_1 src1_sel:DWORD
	v_mov_b32_e32 v11, 0
	v_mov_b32_e32 v22, 0
	s_mov_b32 s15, exec_lo
	v_cmpx_ne_u16_e32 0, v6
	s_cbranch_execz .LBB208_1500
; %bb.1493:                             ;   in Loop: Header=BB208_931 Depth=1
	v_bfrev_b32_e32 v21, 1
	v_mov_b32_e32 v22, 0
	s_mov_b32 s17, exec_lo
	v_cmpx_ne_u16_e32 0x80, v6
	s_cbranch_execz .LBB208_1499
; %bb.1494:                             ;   in Loop: Header=BB208_931 Depth=1
	v_mov_b32_e32 v21, 0x7f800001
	v_bfe_u32 v31, v30, 16, 7
	v_mov_b32_e32 v22, 0
	s_mov_b32 s18, exec_lo
	v_cmpx_ne_u32_e32 0x7f, v31
	s_cbranch_execz .LBB208_1498
; %bb.1495:                             ;   in Loop: Header=BB208_931 Depth=1
	v_mov_b32_e32 v6, 7
	v_lshrrev_b32_e32 v8, 3, v31
	s_mov_b32 s19, exec_lo
	v_and_b32_sdwa v6, v30, v6 dst_sel:DWORD dst_unused:UNUSED_PAD src0_sel:WORD_1 src1_sel:DWORD
	v_cmpx_gt_u32_e32 8, v31
; %bb.1496:                             ;   in Loop: Header=BB208_931 Depth=1
	v_ffbh_u32_e32 v8, v6
	v_min_u32_e32 v8, 32, v8
	v_subrev_nc_u32_e32 v21, 28, v8
	v_sub_nc_u32_e32 v8, 29, v8
	v_lshlrev_b64 v[21:22], v21, v[6:7]
	v_and_b32_e32 v6, 7, v21
; %bb.1497:                             ;   in Loop: Header=BB208_931 Depth=1
	s_or_b32 exec_lo, exec_lo, s19
	v_mov_b32_e32 v21, 24
	v_lshlrev_b32_e32 v6, 20, v6
	v_lshl_add_u32 v8, v8, 23, 0x3c000000
	v_lshlrev_b32_sdwa v21, v21, v30 dst_sel:DWORD dst_unused:UNUSED_PAD src0_sel:DWORD src1_sel:WORD_1
	v_and_b32_e32 v21, 0x80000000, v21
	v_or3_b32 v6, v6, v21, v8
	v_mov_b32_e32 v22, v7
	v_mov_b32_e32 v21, v6
.LBB208_1498:                           ;   in Loop: Header=BB208_931 Depth=1
	s_or_b32 exec_lo, exec_lo, s18
.LBB208_1499:                           ;   in Loop: Header=BB208_931 Depth=1
	s_or_b32 exec_lo, exec_lo, s17
.LBB208_1500:                           ;   in Loop: Header=BB208_931 Depth=1
	s_or_b32 exec_lo, exec_lo, s15
	s_mov_b32 s15, exec_lo
	v_cmpx_lt_u32_e32 0xffffff, v30
	s_cbranch_execz .LBB208_1508
; %bb.1501:                             ;   in Loop: Header=BB208_931 Depth=1
	v_mov_b32_e32 v8, v7
	v_mov_b32_e32 v11, v9
	v_cmp_ne_u32_sdwa s4, v30, v81 src0_sel:BYTE_3 src1_sel:DWORD
	v_mov_b32_e32 v10, v8
	s_and_saveexec_b32 s17, s4
	s_cbranch_execz .LBB208_1507
; %bb.1502:                             ;   in Loop: Header=BB208_931 Depth=1
	v_mov_b32_e32 v11, v7
	v_bfe_u32 v31, v30, 24, 7
	s_mov_b32 s18, exec_lo
	v_mov_b32_e32 v10, v11
	v_mov_b32_e32 v11, v12
	v_cmpx_ne_u32_e32 0x7f, v31
	s_cbranch_execz .LBB208_1506
; %bb.1503:                             ;   in Loop: Header=BB208_931 Depth=1
	v_mov_b32_e32 v6, 7
	v_lshrrev_b32_e32 v8, 3, v31
	s_mov_b32 s19, exec_lo
	v_and_b32_sdwa v6, v30, v6 dst_sel:DWORD dst_unused:UNUSED_PAD src0_sel:BYTE_3 src1_sel:DWORD
	v_cmpx_gt_u32_e32 8, v31
; %bb.1504:                             ;   in Loop: Header=BB208_931 Depth=1
	v_ffbh_u32_e32 v8, v6
	v_min_u32_e32 v8, 32, v8
	v_subrev_nc_u32_e32 v10, 28, v8
	v_sub_nc_u32_e32 v8, 29, v8
	v_lshlrev_b64 v[10:11], v10, v[6:7]
	v_and_b32_e32 v6, 7, v10
; %bb.1505:                             ;   in Loop: Header=BB208_931 Depth=1
	s_or_b32 exec_lo, exec_lo, s19
	v_mov_b32_e32 v10, 24
	v_lshlrev_b32_e32 v6, 20, v6
	v_lshl_add_u32 v8, v8, 23, 0x3c000000
	v_lshlrev_b32_sdwa v10, v10, v30 dst_sel:DWORD dst_unused:UNUSED_PAD src0_sel:DWORD src1_sel:BYTE_3
	v_and_b32_e32 v10, 0x80000000, v10
	v_or3_b32 v11, v6, v10, v8
	v_mov_b32_e32 v10, v7
.LBB208_1506:                           ;   in Loop: Header=BB208_931 Depth=1
	s_or_b32 exec_lo, exec_lo, s18
.LBB208_1507:                           ;   in Loop: Header=BB208_931 Depth=1
	s_or_b32 exec_lo, exec_lo, s17
.LBB208_1508:                           ;   in Loop: Header=BB208_931 Depth=1
	s_or_b32 exec_lo, exec_lo, s15
	v_or_b32_e32 v6, v20, v18
	v_or_b32_e32 v8, v19, v17
	;; [unrolled: 1-line block ×4, first 2 shown]
	v_mul_f32_e32 v33, v98, v6
	v_mul_f32_e32 v32, v98, v8
	;; [unrolled: 1-line block ×4, first 2 shown]
	s_and_saveexec_b32 s15, vcc_lo
	s_cbranch_execz .LBB208_1510
; %bb.1509:                             ;   in Loop: Header=BB208_931 Depth=1
	v_cmp_lt_i32_e64 s4, v103, v47
	v_cndmask_b32_e64 v32, 0, v32, s4
	v_cmp_lt_i32_e64 s4, v114, v47
	v_cndmask_b32_e64 v33, 0, v33, s4
	;; [unrolled: 2-line block ×4, first 2 shown]
.LBB208_1510:                           ;   in Loop: Header=BB208_931 Depth=1
	s_or_b32 exec_lo, exec_lo, s15
	flat_load_dword v34, v[0:1] offset:128
	v_mov_b32_e32 v19, 0
	v_mov_b32_e32 v17, 0
	;; [unrolled: 1-line block ×4, first 2 shown]
	s_waitcnt vmcnt(0) lgkmcnt(0)
	v_cmp_ne_u16_sdwa s4, v34, v7 src0_sel:BYTE_0 src1_sel:DWORD
	s_and_saveexec_b32 s15, s4
	s_cbranch_execz .LBB208_1518
; %bb.1511:                             ;   in Loop: Header=BB208_931 Depth=1
	v_bfrev_b32_e32 v17, 1
	v_mov_b32_e32 v18, 0
	v_cmp_ne_u16_sdwa s4, v34, v81 src0_sel:BYTE_0 src1_sel:DWORD
	s_and_saveexec_b32 s17, s4
	s_cbranch_execz .LBB208_1517
; %bb.1512:                             ;   in Loop: Header=BB208_931 Depth=1
	v_mov_b32_e32 v17, 0x7f800001
	v_and_b32_e32 v10, 0x7f, v34
	v_mov_b32_e32 v18, 0
	s_mov_b32 s18, exec_lo
	v_cmpx_ne_u32_e32 0x7f, v10
	s_cbranch_execz .LBB208_1516
; %bb.1513:                             ;   in Loop: Header=BB208_931 Depth=1
	v_and_b32_e32 v6, 7, v34
	v_lshrrev_b32_e32 v8, 3, v10
	s_mov_b32 s19, exec_lo
	v_cmpx_gt_u32_e32 8, v10
; %bb.1514:                             ;   in Loop: Header=BB208_931 Depth=1
	v_ffbh_u32_e32 v8, v6
	v_min_u32_e32 v8, 32, v8
	v_subrev_nc_u32_e32 v10, 28, v8
	v_sub_nc_u32_e32 v8, 29, v8
	v_lshlrev_b64 v[10:11], v10, v[6:7]
	v_and_b32_e32 v6, 7, v10
; %bb.1515:                             ;   in Loop: Header=BB208_931 Depth=1
	s_or_b32 exec_lo, exec_lo, s19
	v_lshlrev_b32_e32 v10, 24, v34
	v_lshlrev_b32_e32 v6, 20, v6
	v_lshl_add_u32 v8, v8, 23, 0x3c000000
	v_and_b32_e32 v10, 0x80000000, v10
	v_or3_b32 v6, v6, v10, v8
	v_mov_b32_e32 v18, v7
	v_mov_b32_e32 v17, v6
.LBB208_1516:                           ;   in Loop: Header=BB208_931 Depth=1
	s_or_b32 exec_lo, exec_lo, s18
.LBB208_1517:                           ;   in Loop: Header=BB208_931 Depth=1
	s_or_b32 exec_lo, exec_lo, s17
.LBB208_1518:                           ;   in Loop: Header=BB208_931 Depth=1
	s_or_b32 exec_lo, exec_lo, s15
	v_cmp_ne_u16_sdwa s4, v34, v7 src0_sel:BYTE_1 src1_sel:DWORD
	s_and_saveexec_b32 s15, s4
	s_cbranch_execz .LBB208_1526
; %bb.1519:                             ;   in Loop: Header=BB208_931 Depth=1
	v_mov_b32_e32 v8, v7
	v_mov_b32_e32 v20, v9
	v_cmp_ne_u16_sdwa s4, v34, v81 src0_sel:BYTE_1 src1_sel:DWORD
	v_mov_b32_e32 v19, v8
	s_and_saveexec_b32 s17, s4
	s_cbranch_execz .LBB208_1525
; %bb.1520:                             ;   in Loop: Header=BB208_931 Depth=1
	v_mov_b32_e32 v6, 0xffff
	v_mov_b32_e32 v11, v7
	;; [unrolled: 1-line block ×3, first 2 shown]
	s_mov_b32 s18, exec_lo
	v_and_b32_sdwa v6, v6, v34 dst_sel:DWORD dst_unused:UNUSED_PAD src0_sel:DWORD src1_sel:BYTE_1
	v_mov_b32_e32 v19, v11
	v_and_b32_e32 v10, 0x7f, v6
	v_cmpx_ne_u32_e32 0x7f, v10
	s_cbranch_execz .LBB208_1524
; %bb.1521:                             ;   in Loop: Header=BB208_931 Depth=1
	v_and_b32_e32 v6, 7, v6
	v_lshrrev_b32_e32 v8, 3, v10
	s_mov_b32 s19, exec_lo
	v_cmpx_gt_u32_e32 8, v10
; %bb.1522:                             ;   in Loop: Header=BB208_931 Depth=1
	v_ffbh_u32_e32 v8, v6
	v_min_u32_e32 v8, 32, v8
	v_subrev_nc_u32_e32 v10, 28, v8
	v_sub_nc_u32_e32 v8, 29, v8
	v_lshlrev_b64 v[10:11], v10, v[6:7]
	v_and_b32_e32 v6, 7, v10
; %bb.1523:                             ;   in Loop: Header=BB208_931 Depth=1
	s_or_b32 exec_lo, exec_lo, s19
	v_lshlrev_b32_e32 v10, 16, v34
	v_lshlrev_b32_e32 v6, 20, v6
	v_lshl_add_u32 v8, v8, 23, 0x3c000000
	v_mov_b32_e32 v19, v7
	v_and_b32_e32 v10, 0x80000000, v10
	v_or3_b32 v20, v6, v10, v8
.LBB208_1524:                           ;   in Loop: Header=BB208_931 Depth=1
	s_or_b32 exec_lo, exec_lo, s18
.LBB208_1525:                           ;   in Loop: Header=BB208_931 Depth=1
	s_or_b32 exec_lo, exec_lo, s17
.LBB208_1526:                           ;   in Loop: Header=BB208_931 Depth=1
	s_or_b32 exec_lo, exec_lo, s15
	v_mov_b32_e32 v10, 0
	v_mov_b32_e32 v21, 0
	v_and_b32_sdwa v6, v34, v83 dst_sel:DWORD dst_unused:UNUSED_PAD src0_sel:WORD_1 src1_sel:DWORD
	v_mov_b32_e32 v11, 0
	v_mov_b32_e32 v22, 0
	s_mov_b32 s15, exec_lo
	v_cmpx_ne_u16_e32 0, v6
	s_cbranch_execz .LBB208_1534
; %bb.1527:                             ;   in Loop: Header=BB208_931 Depth=1
	v_bfrev_b32_e32 v21, 1
	v_mov_b32_e32 v22, 0
	s_mov_b32 s17, exec_lo
	v_cmpx_ne_u16_e32 0x80, v6
	s_cbranch_execz .LBB208_1533
; %bb.1528:                             ;   in Loop: Header=BB208_931 Depth=1
	v_mov_b32_e32 v21, 0x7f800001
	v_bfe_u32 v35, v34, 16, 7
	v_mov_b32_e32 v22, 0
	s_mov_b32 s18, exec_lo
	v_cmpx_ne_u32_e32 0x7f, v35
	s_cbranch_execz .LBB208_1532
; %bb.1529:                             ;   in Loop: Header=BB208_931 Depth=1
	v_mov_b32_e32 v6, 7
	v_lshrrev_b32_e32 v8, 3, v35
	s_mov_b32 s19, exec_lo
	v_and_b32_sdwa v6, v34, v6 dst_sel:DWORD dst_unused:UNUSED_PAD src0_sel:WORD_1 src1_sel:DWORD
	v_cmpx_gt_u32_e32 8, v35
; %bb.1530:                             ;   in Loop: Header=BB208_931 Depth=1
	v_ffbh_u32_e32 v8, v6
	v_min_u32_e32 v8, 32, v8
	v_subrev_nc_u32_e32 v21, 28, v8
	v_sub_nc_u32_e32 v8, 29, v8
	v_lshlrev_b64 v[21:22], v21, v[6:7]
	v_and_b32_e32 v6, 7, v21
; %bb.1531:                             ;   in Loop: Header=BB208_931 Depth=1
	s_or_b32 exec_lo, exec_lo, s19
	v_mov_b32_e32 v21, 24
	v_lshlrev_b32_e32 v6, 20, v6
	v_lshl_add_u32 v8, v8, 23, 0x3c000000
	v_lshlrev_b32_sdwa v21, v21, v34 dst_sel:DWORD dst_unused:UNUSED_PAD src0_sel:DWORD src1_sel:WORD_1
	v_and_b32_e32 v21, 0x80000000, v21
	v_or3_b32 v6, v6, v21, v8
	v_mov_b32_e32 v22, v7
	v_mov_b32_e32 v21, v6
.LBB208_1532:                           ;   in Loop: Header=BB208_931 Depth=1
	s_or_b32 exec_lo, exec_lo, s18
.LBB208_1533:                           ;   in Loop: Header=BB208_931 Depth=1
	s_or_b32 exec_lo, exec_lo, s17
.LBB208_1534:                           ;   in Loop: Header=BB208_931 Depth=1
	s_or_b32 exec_lo, exec_lo, s15
	s_mov_b32 s15, exec_lo
	v_cmpx_lt_u32_e32 0xffffff, v34
	s_cbranch_execz .LBB208_1542
; %bb.1535:                             ;   in Loop: Header=BB208_931 Depth=1
	v_mov_b32_e32 v8, v7
	v_mov_b32_e32 v11, v9
	v_cmp_ne_u32_sdwa s4, v34, v81 src0_sel:BYTE_3 src1_sel:DWORD
	v_mov_b32_e32 v10, v8
	s_and_saveexec_b32 s17, s4
	s_cbranch_execz .LBB208_1541
; %bb.1536:                             ;   in Loop: Header=BB208_931 Depth=1
	v_mov_b32_e32 v11, v7
	v_bfe_u32 v35, v34, 24, 7
	s_mov_b32 s18, exec_lo
	v_mov_b32_e32 v10, v11
	v_mov_b32_e32 v11, v12
	v_cmpx_ne_u32_e32 0x7f, v35
	s_cbranch_execz .LBB208_1540
; %bb.1537:                             ;   in Loop: Header=BB208_931 Depth=1
	v_mov_b32_e32 v6, 7
	v_lshrrev_b32_e32 v8, 3, v35
	s_mov_b32 s19, exec_lo
	v_and_b32_sdwa v6, v34, v6 dst_sel:DWORD dst_unused:UNUSED_PAD src0_sel:BYTE_3 src1_sel:DWORD
	v_cmpx_gt_u32_e32 8, v35
; %bb.1538:                             ;   in Loop: Header=BB208_931 Depth=1
	v_ffbh_u32_e32 v8, v6
	v_min_u32_e32 v8, 32, v8
	v_subrev_nc_u32_e32 v10, 28, v8
	v_sub_nc_u32_e32 v8, 29, v8
	v_lshlrev_b64 v[10:11], v10, v[6:7]
	v_and_b32_e32 v6, 7, v10
; %bb.1539:                             ;   in Loop: Header=BB208_931 Depth=1
	s_or_b32 exec_lo, exec_lo, s19
	v_mov_b32_e32 v10, 24
	v_lshlrev_b32_e32 v6, 20, v6
	v_lshl_add_u32 v8, v8, 23, 0x3c000000
	v_lshlrev_b32_sdwa v10, v10, v34 dst_sel:DWORD dst_unused:UNUSED_PAD src0_sel:DWORD src1_sel:BYTE_3
	v_and_b32_e32 v10, 0x80000000, v10
	v_or3_b32 v11, v6, v10, v8
	v_mov_b32_e32 v10, v7
.LBB208_1540:                           ;   in Loop: Header=BB208_931 Depth=1
	s_or_b32 exec_lo, exec_lo, s18
.LBB208_1541:                           ;   in Loop: Header=BB208_931 Depth=1
	s_or_b32 exec_lo, exec_lo, s17
.LBB208_1542:                           ;   in Loop: Header=BB208_931 Depth=1
	s_or_b32 exec_lo, exec_lo, s15
	v_or_b32_e32 v6, v20, v18
	v_or_b32_e32 v8, v19, v17
	;; [unrolled: 1-line block ×4, first 2 shown]
	v_mul_f32_e32 v37, v98, v6
	v_mul_f32_e32 v36, v98, v8
	;; [unrolled: 1-line block ×4, first 2 shown]
	s_and_saveexec_b32 s15, vcc_lo
	s_cbranch_execz .LBB208_1544
; %bb.1543:                             ;   in Loop: Header=BB208_931 Depth=1
	v_cmp_lt_i32_e64 s4, v103, v47
	v_cndmask_b32_e64 v36, 0, v36, s4
	v_cmp_lt_i32_e64 s4, v114, v47
	v_cndmask_b32_e64 v37, 0, v37, s4
	;; [unrolled: 2-line block ×4, first 2 shown]
.LBB208_1544:                           ;   in Loop: Header=BB208_931 Depth=1
	s_or_b32 exec_lo, exec_lo, s15
	flat_load_dword v38, v[0:1] offset:256
	v_mov_b32_e32 v19, 0
	v_mov_b32_e32 v17, 0
	;; [unrolled: 1-line block ×4, first 2 shown]
	s_waitcnt vmcnt(0) lgkmcnt(0)
	v_cmp_ne_u16_sdwa s4, v38, v7 src0_sel:BYTE_0 src1_sel:DWORD
	s_and_saveexec_b32 s15, s4
	s_cbranch_execz .LBB208_1552
; %bb.1545:                             ;   in Loop: Header=BB208_931 Depth=1
	v_bfrev_b32_e32 v17, 1
	v_mov_b32_e32 v18, 0
	v_cmp_ne_u16_sdwa s4, v38, v81 src0_sel:BYTE_0 src1_sel:DWORD
	s_and_saveexec_b32 s17, s4
	s_cbranch_execz .LBB208_1551
; %bb.1546:                             ;   in Loop: Header=BB208_931 Depth=1
	v_mov_b32_e32 v17, 0x7f800001
	v_and_b32_e32 v10, 0x7f, v38
	v_mov_b32_e32 v18, 0
	s_mov_b32 s18, exec_lo
	v_cmpx_ne_u32_e32 0x7f, v10
	s_cbranch_execz .LBB208_1550
; %bb.1547:                             ;   in Loop: Header=BB208_931 Depth=1
	v_and_b32_e32 v6, 7, v38
	v_lshrrev_b32_e32 v8, 3, v10
	s_mov_b32 s19, exec_lo
	v_cmpx_gt_u32_e32 8, v10
; %bb.1548:                             ;   in Loop: Header=BB208_931 Depth=1
	v_ffbh_u32_e32 v8, v6
	v_min_u32_e32 v8, 32, v8
	v_subrev_nc_u32_e32 v10, 28, v8
	v_sub_nc_u32_e32 v8, 29, v8
	v_lshlrev_b64 v[10:11], v10, v[6:7]
	v_and_b32_e32 v6, 7, v10
; %bb.1549:                             ;   in Loop: Header=BB208_931 Depth=1
	s_or_b32 exec_lo, exec_lo, s19
	v_lshlrev_b32_e32 v10, 24, v38
	v_lshlrev_b32_e32 v6, 20, v6
	v_lshl_add_u32 v8, v8, 23, 0x3c000000
	v_and_b32_e32 v10, 0x80000000, v10
	v_or3_b32 v6, v6, v10, v8
	v_mov_b32_e32 v18, v7
	v_mov_b32_e32 v17, v6
.LBB208_1550:                           ;   in Loop: Header=BB208_931 Depth=1
	s_or_b32 exec_lo, exec_lo, s18
.LBB208_1551:                           ;   in Loop: Header=BB208_931 Depth=1
	s_or_b32 exec_lo, exec_lo, s17
.LBB208_1552:                           ;   in Loop: Header=BB208_931 Depth=1
	s_or_b32 exec_lo, exec_lo, s15
	v_cmp_ne_u16_sdwa s4, v38, v7 src0_sel:BYTE_1 src1_sel:DWORD
	s_and_saveexec_b32 s15, s4
	s_cbranch_execz .LBB208_1560
; %bb.1553:                             ;   in Loop: Header=BB208_931 Depth=1
	v_mov_b32_e32 v8, v7
	v_mov_b32_e32 v20, v9
	v_cmp_ne_u16_sdwa s4, v38, v81 src0_sel:BYTE_1 src1_sel:DWORD
	v_mov_b32_e32 v19, v8
	s_and_saveexec_b32 s17, s4
	s_cbranch_execz .LBB208_1559
; %bb.1554:                             ;   in Loop: Header=BB208_931 Depth=1
	v_mov_b32_e32 v6, 0xffff
	v_mov_b32_e32 v11, v7
	v_mov_b32_e32 v20, v12
	s_mov_b32 s18, exec_lo
	v_and_b32_sdwa v6, v6, v38 dst_sel:DWORD dst_unused:UNUSED_PAD src0_sel:DWORD src1_sel:BYTE_1
	v_mov_b32_e32 v19, v11
	v_and_b32_e32 v10, 0x7f, v6
	v_cmpx_ne_u32_e32 0x7f, v10
	s_cbranch_execz .LBB208_1558
; %bb.1555:                             ;   in Loop: Header=BB208_931 Depth=1
	v_and_b32_e32 v6, 7, v6
	v_lshrrev_b32_e32 v8, 3, v10
	s_mov_b32 s19, exec_lo
	v_cmpx_gt_u32_e32 8, v10
; %bb.1556:                             ;   in Loop: Header=BB208_931 Depth=1
	v_ffbh_u32_e32 v8, v6
	v_min_u32_e32 v8, 32, v8
	v_subrev_nc_u32_e32 v10, 28, v8
	v_sub_nc_u32_e32 v8, 29, v8
	v_lshlrev_b64 v[10:11], v10, v[6:7]
	v_and_b32_e32 v6, 7, v10
; %bb.1557:                             ;   in Loop: Header=BB208_931 Depth=1
	s_or_b32 exec_lo, exec_lo, s19
	v_lshlrev_b32_e32 v10, 16, v38
	v_lshlrev_b32_e32 v6, 20, v6
	v_lshl_add_u32 v8, v8, 23, 0x3c000000
	v_mov_b32_e32 v19, v7
	v_and_b32_e32 v10, 0x80000000, v10
	v_or3_b32 v20, v6, v10, v8
.LBB208_1558:                           ;   in Loop: Header=BB208_931 Depth=1
	s_or_b32 exec_lo, exec_lo, s18
.LBB208_1559:                           ;   in Loop: Header=BB208_931 Depth=1
	s_or_b32 exec_lo, exec_lo, s17
.LBB208_1560:                           ;   in Loop: Header=BB208_931 Depth=1
	s_or_b32 exec_lo, exec_lo, s15
	v_mov_b32_e32 v10, 0
	v_mov_b32_e32 v21, 0
	v_and_b32_sdwa v6, v38, v83 dst_sel:DWORD dst_unused:UNUSED_PAD src0_sel:WORD_1 src1_sel:DWORD
	v_mov_b32_e32 v11, 0
	v_mov_b32_e32 v22, 0
	s_mov_b32 s15, exec_lo
	v_cmpx_ne_u16_e32 0, v6
	s_cbranch_execz .LBB208_1568
; %bb.1561:                             ;   in Loop: Header=BB208_931 Depth=1
	v_bfrev_b32_e32 v21, 1
	v_mov_b32_e32 v22, 0
	s_mov_b32 s17, exec_lo
	v_cmpx_ne_u16_e32 0x80, v6
	s_cbranch_execz .LBB208_1567
; %bb.1562:                             ;   in Loop: Header=BB208_931 Depth=1
	v_mov_b32_e32 v21, 0x7f800001
	v_bfe_u32 v39, v38, 16, 7
	v_mov_b32_e32 v22, 0
	s_mov_b32 s18, exec_lo
	v_cmpx_ne_u32_e32 0x7f, v39
	s_cbranch_execz .LBB208_1566
; %bb.1563:                             ;   in Loop: Header=BB208_931 Depth=1
	v_mov_b32_e32 v6, 7
	v_lshrrev_b32_e32 v8, 3, v39
	s_mov_b32 s19, exec_lo
	v_and_b32_sdwa v6, v38, v6 dst_sel:DWORD dst_unused:UNUSED_PAD src0_sel:WORD_1 src1_sel:DWORD
	v_cmpx_gt_u32_e32 8, v39
; %bb.1564:                             ;   in Loop: Header=BB208_931 Depth=1
	v_ffbh_u32_e32 v8, v6
	v_min_u32_e32 v8, 32, v8
	v_subrev_nc_u32_e32 v21, 28, v8
	v_sub_nc_u32_e32 v8, 29, v8
	v_lshlrev_b64 v[21:22], v21, v[6:7]
	v_and_b32_e32 v6, 7, v21
; %bb.1565:                             ;   in Loop: Header=BB208_931 Depth=1
	s_or_b32 exec_lo, exec_lo, s19
	v_mov_b32_e32 v21, 24
	v_lshlrev_b32_e32 v6, 20, v6
	v_lshl_add_u32 v8, v8, 23, 0x3c000000
	v_lshlrev_b32_sdwa v21, v21, v38 dst_sel:DWORD dst_unused:UNUSED_PAD src0_sel:DWORD src1_sel:WORD_1
	v_and_b32_e32 v21, 0x80000000, v21
	v_or3_b32 v6, v6, v21, v8
	v_mov_b32_e32 v22, v7
	v_mov_b32_e32 v21, v6
.LBB208_1566:                           ;   in Loop: Header=BB208_931 Depth=1
	s_or_b32 exec_lo, exec_lo, s18
.LBB208_1567:                           ;   in Loop: Header=BB208_931 Depth=1
	s_or_b32 exec_lo, exec_lo, s17
.LBB208_1568:                           ;   in Loop: Header=BB208_931 Depth=1
	s_or_b32 exec_lo, exec_lo, s15
	s_mov_b32 s15, exec_lo
	v_cmpx_lt_u32_e32 0xffffff, v38
	s_cbranch_execz .LBB208_1576
; %bb.1569:                             ;   in Loop: Header=BB208_931 Depth=1
	v_mov_b32_e32 v8, v7
	v_mov_b32_e32 v11, v9
	v_cmp_ne_u32_sdwa s4, v38, v81 src0_sel:BYTE_3 src1_sel:DWORD
	v_mov_b32_e32 v10, v8
	s_and_saveexec_b32 s17, s4
	s_cbranch_execz .LBB208_1575
; %bb.1570:                             ;   in Loop: Header=BB208_931 Depth=1
	v_mov_b32_e32 v11, v7
	v_bfe_u32 v39, v38, 24, 7
	s_mov_b32 s18, exec_lo
	v_mov_b32_e32 v10, v11
	v_mov_b32_e32 v11, v12
	v_cmpx_ne_u32_e32 0x7f, v39
	s_cbranch_execz .LBB208_1574
; %bb.1571:                             ;   in Loop: Header=BB208_931 Depth=1
	v_mov_b32_e32 v6, 7
	v_lshrrev_b32_e32 v8, 3, v39
	s_mov_b32 s19, exec_lo
	v_and_b32_sdwa v6, v38, v6 dst_sel:DWORD dst_unused:UNUSED_PAD src0_sel:BYTE_3 src1_sel:DWORD
	v_cmpx_gt_u32_e32 8, v39
; %bb.1572:                             ;   in Loop: Header=BB208_931 Depth=1
	v_ffbh_u32_e32 v8, v6
	v_min_u32_e32 v8, 32, v8
	v_subrev_nc_u32_e32 v10, 28, v8
	v_sub_nc_u32_e32 v8, 29, v8
	v_lshlrev_b64 v[10:11], v10, v[6:7]
	v_and_b32_e32 v6, 7, v10
; %bb.1573:                             ;   in Loop: Header=BB208_931 Depth=1
	s_or_b32 exec_lo, exec_lo, s19
	v_mov_b32_e32 v10, 24
	v_lshlrev_b32_e32 v6, 20, v6
	v_lshl_add_u32 v8, v8, 23, 0x3c000000
	v_lshlrev_b32_sdwa v10, v10, v38 dst_sel:DWORD dst_unused:UNUSED_PAD src0_sel:DWORD src1_sel:BYTE_3
	v_and_b32_e32 v10, 0x80000000, v10
	v_or3_b32 v11, v6, v10, v8
	v_mov_b32_e32 v10, v7
.LBB208_1574:                           ;   in Loop: Header=BB208_931 Depth=1
	s_or_b32 exec_lo, exec_lo, s18
.LBB208_1575:                           ;   in Loop: Header=BB208_931 Depth=1
	s_or_b32 exec_lo, exec_lo, s17
.LBB208_1576:                           ;   in Loop: Header=BB208_931 Depth=1
	s_or_b32 exec_lo, exec_lo, s15
	v_or_b32_e32 v6, v20, v18
	v_or_b32_e32 v8, v19, v17
	;; [unrolled: 1-line block ×4, first 2 shown]
	v_mul_f32_e32 v49, v98, v6
	v_mul_f32_e32 v48, v98, v8
	;; [unrolled: 1-line block ×4, first 2 shown]
	s_and_saveexec_b32 s15, vcc_lo
	s_cbranch_execz .LBB208_1578
; %bb.1577:                             ;   in Loop: Header=BB208_931 Depth=1
	v_cmp_lt_i32_e64 s4, v103, v47
	v_cndmask_b32_e64 v48, 0, v48, s4
	v_cmp_lt_i32_e64 s4, v114, v47
	v_cndmask_b32_e64 v49, 0, v49, s4
	;; [unrolled: 2-line block ×4, first 2 shown]
.LBB208_1578:                           ;   in Loop: Header=BB208_931 Depth=1
	s_or_b32 exec_lo, exec_lo, s15
	flat_load_dword v50, v[0:1] offset:384
	v_mov_b32_e32 v19, 0
	v_mov_b32_e32 v17, 0
	;; [unrolled: 1-line block ×4, first 2 shown]
	s_waitcnt vmcnt(0) lgkmcnt(0)
	v_cmp_ne_u16_sdwa s4, v50, v7 src0_sel:BYTE_0 src1_sel:DWORD
	s_and_saveexec_b32 s15, s4
	s_cbranch_execz .LBB208_1586
; %bb.1579:                             ;   in Loop: Header=BB208_931 Depth=1
	v_bfrev_b32_e32 v17, 1
	v_mov_b32_e32 v18, 0
	v_cmp_ne_u16_sdwa s4, v50, v81 src0_sel:BYTE_0 src1_sel:DWORD
	s_and_saveexec_b32 s17, s4
	s_cbranch_execz .LBB208_1585
; %bb.1580:                             ;   in Loop: Header=BB208_931 Depth=1
	v_mov_b32_e32 v17, 0x7f800001
	v_and_b32_e32 v10, 0x7f, v50
	v_mov_b32_e32 v18, 0
	s_mov_b32 s18, exec_lo
	v_cmpx_ne_u32_e32 0x7f, v10
	s_cbranch_execz .LBB208_1584
; %bb.1581:                             ;   in Loop: Header=BB208_931 Depth=1
	v_and_b32_e32 v6, 7, v50
	v_lshrrev_b32_e32 v8, 3, v10
	s_mov_b32 s19, exec_lo
	v_cmpx_gt_u32_e32 8, v10
; %bb.1582:                             ;   in Loop: Header=BB208_931 Depth=1
	v_ffbh_u32_e32 v8, v6
	v_min_u32_e32 v8, 32, v8
	v_subrev_nc_u32_e32 v10, 28, v8
	v_sub_nc_u32_e32 v8, 29, v8
	v_lshlrev_b64 v[10:11], v10, v[6:7]
	v_and_b32_e32 v6, 7, v10
; %bb.1583:                             ;   in Loop: Header=BB208_931 Depth=1
	s_or_b32 exec_lo, exec_lo, s19
	v_lshlrev_b32_e32 v10, 24, v50
	v_lshlrev_b32_e32 v6, 20, v6
	v_lshl_add_u32 v8, v8, 23, 0x3c000000
	v_and_b32_e32 v10, 0x80000000, v10
	v_or3_b32 v6, v6, v10, v8
	v_mov_b32_e32 v18, v7
	v_mov_b32_e32 v17, v6
.LBB208_1584:                           ;   in Loop: Header=BB208_931 Depth=1
	s_or_b32 exec_lo, exec_lo, s18
.LBB208_1585:                           ;   in Loop: Header=BB208_931 Depth=1
	s_or_b32 exec_lo, exec_lo, s17
.LBB208_1586:                           ;   in Loop: Header=BB208_931 Depth=1
	s_or_b32 exec_lo, exec_lo, s15
	v_cmp_ne_u16_sdwa s4, v50, v7 src0_sel:BYTE_1 src1_sel:DWORD
	s_and_saveexec_b32 s15, s4
	s_cbranch_execz .LBB208_1594
; %bb.1587:                             ;   in Loop: Header=BB208_931 Depth=1
	v_mov_b32_e32 v8, v7
	v_mov_b32_e32 v20, v9
	v_cmp_ne_u16_sdwa s4, v50, v81 src0_sel:BYTE_1 src1_sel:DWORD
	v_mov_b32_e32 v19, v8
	s_and_saveexec_b32 s17, s4
	s_cbranch_execz .LBB208_1593
; %bb.1588:                             ;   in Loop: Header=BB208_931 Depth=1
	v_mov_b32_e32 v6, 0xffff
	v_mov_b32_e32 v11, v7
	;; [unrolled: 1-line block ×3, first 2 shown]
	s_mov_b32 s18, exec_lo
	v_and_b32_sdwa v6, v6, v50 dst_sel:DWORD dst_unused:UNUSED_PAD src0_sel:DWORD src1_sel:BYTE_1
	v_mov_b32_e32 v19, v11
	v_and_b32_e32 v10, 0x7f, v6
	v_cmpx_ne_u32_e32 0x7f, v10
	s_cbranch_execz .LBB208_1592
; %bb.1589:                             ;   in Loop: Header=BB208_931 Depth=1
	v_and_b32_e32 v6, 7, v6
	v_lshrrev_b32_e32 v8, 3, v10
	s_mov_b32 s19, exec_lo
	v_cmpx_gt_u32_e32 8, v10
; %bb.1590:                             ;   in Loop: Header=BB208_931 Depth=1
	v_ffbh_u32_e32 v8, v6
	v_min_u32_e32 v8, 32, v8
	v_subrev_nc_u32_e32 v10, 28, v8
	v_sub_nc_u32_e32 v8, 29, v8
	v_lshlrev_b64 v[10:11], v10, v[6:7]
	v_and_b32_e32 v6, 7, v10
; %bb.1591:                             ;   in Loop: Header=BB208_931 Depth=1
	s_or_b32 exec_lo, exec_lo, s19
	v_lshlrev_b32_e32 v10, 16, v50
	v_lshlrev_b32_e32 v6, 20, v6
	v_lshl_add_u32 v8, v8, 23, 0x3c000000
	v_mov_b32_e32 v19, v7
	v_and_b32_e32 v10, 0x80000000, v10
	v_or3_b32 v20, v6, v10, v8
.LBB208_1592:                           ;   in Loop: Header=BB208_931 Depth=1
	s_or_b32 exec_lo, exec_lo, s18
.LBB208_1593:                           ;   in Loop: Header=BB208_931 Depth=1
	s_or_b32 exec_lo, exec_lo, s17
.LBB208_1594:                           ;   in Loop: Header=BB208_931 Depth=1
	s_or_b32 exec_lo, exec_lo, s15
	v_mov_b32_e32 v10, 0
	v_mov_b32_e32 v21, 0
	v_and_b32_sdwa v6, v50, v83 dst_sel:DWORD dst_unused:UNUSED_PAD src0_sel:WORD_1 src1_sel:DWORD
	v_mov_b32_e32 v11, 0
	v_mov_b32_e32 v22, 0
	s_mov_b32 s15, exec_lo
	v_cmpx_ne_u16_e32 0, v6
	s_cbranch_execz .LBB208_1602
; %bb.1595:                             ;   in Loop: Header=BB208_931 Depth=1
	v_bfrev_b32_e32 v21, 1
	v_mov_b32_e32 v22, 0
	s_mov_b32 s17, exec_lo
	v_cmpx_ne_u16_e32 0x80, v6
	s_cbranch_execz .LBB208_1601
; %bb.1596:                             ;   in Loop: Header=BB208_931 Depth=1
	v_mov_b32_e32 v21, 0x7f800001
	v_bfe_u32 v51, v50, 16, 7
	v_mov_b32_e32 v22, 0
	s_mov_b32 s18, exec_lo
	v_cmpx_ne_u32_e32 0x7f, v51
	s_cbranch_execz .LBB208_1600
; %bb.1597:                             ;   in Loop: Header=BB208_931 Depth=1
	v_mov_b32_e32 v6, 7
	v_lshrrev_b32_e32 v8, 3, v51
	s_mov_b32 s19, exec_lo
	v_and_b32_sdwa v6, v50, v6 dst_sel:DWORD dst_unused:UNUSED_PAD src0_sel:WORD_1 src1_sel:DWORD
	v_cmpx_gt_u32_e32 8, v51
; %bb.1598:                             ;   in Loop: Header=BB208_931 Depth=1
	v_ffbh_u32_e32 v8, v6
	v_min_u32_e32 v8, 32, v8
	v_subrev_nc_u32_e32 v21, 28, v8
	v_sub_nc_u32_e32 v8, 29, v8
	v_lshlrev_b64 v[21:22], v21, v[6:7]
	v_and_b32_e32 v6, 7, v21
; %bb.1599:                             ;   in Loop: Header=BB208_931 Depth=1
	s_or_b32 exec_lo, exec_lo, s19
	v_mov_b32_e32 v21, 24
	v_lshlrev_b32_e32 v6, 20, v6
	v_lshl_add_u32 v8, v8, 23, 0x3c000000
	v_lshlrev_b32_sdwa v21, v21, v50 dst_sel:DWORD dst_unused:UNUSED_PAD src0_sel:DWORD src1_sel:WORD_1
	v_and_b32_e32 v21, 0x80000000, v21
	v_or3_b32 v6, v6, v21, v8
	v_mov_b32_e32 v22, v7
	v_mov_b32_e32 v21, v6
.LBB208_1600:                           ;   in Loop: Header=BB208_931 Depth=1
	s_or_b32 exec_lo, exec_lo, s18
.LBB208_1601:                           ;   in Loop: Header=BB208_931 Depth=1
	s_or_b32 exec_lo, exec_lo, s17
.LBB208_1602:                           ;   in Loop: Header=BB208_931 Depth=1
	s_or_b32 exec_lo, exec_lo, s15
	s_mov_b32 s15, exec_lo
	v_cmpx_lt_u32_e32 0xffffff, v50
	s_cbranch_execz .LBB208_1610
; %bb.1603:                             ;   in Loop: Header=BB208_931 Depth=1
	v_mov_b32_e32 v8, v7
	v_mov_b32_e32 v11, v9
	v_cmp_ne_u32_sdwa s4, v50, v81 src0_sel:BYTE_3 src1_sel:DWORD
	v_mov_b32_e32 v10, v8
	s_and_saveexec_b32 s17, s4
	s_cbranch_execz .LBB208_1609
; %bb.1604:                             ;   in Loop: Header=BB208_931 Depth=1
	v_mov_b32_e32 v11, v7
	v_bfe_u32 v51, v50, 24, 7
	s_mov_b32 s18, exec_lo
	v_mov_b32_e32 v10, v11
	v_mov_b32_e32 v11, v12
	v_cmpx_ne_u32_e32 0x7f, v51
	s_cbranch_execz .LBB208_1608
; %bb.1605:                             ;   in Loop: Header=BB208_931 Depth=1
	v_mov_b32_e32 v6, 7
	v_lshrrev_b32_e32 v8, 3, v51
	s_mov_b32 s19, exec_lo
	v_and_b32_sdwa v6, v50, v6 dst_sel:DWORD dst_unused:UNUSED_PAD src0_sel:BYTE_3 src1_sel:DWORD
	v_cmpx_gt_u32_e32 8, v51
; %bb.1606:                             ;   in Loop: Header=BB208_931 Depth=1
	v_ffbh_u32_e32 v8, v6
	v_min_u32_e32 v8, 32, v8
	v_subrev_nc_u32_e32 v10, 28, v8
	v_sub_nc_u32_e32 v8, 29, v8
	v_lshlrev_b64 v[10:11], v10, v[6:7]
	v_and_b32_e32 v6, 7, v10
; %bb.1607:                             ;   in Loop: Header=BB208_931 Depth=1
	s_or_b32 exec_lo, exec_lo, s19
	v_mov_b32_e32 v10, 24
	v_lshlrev_b32_e32 v6, 20, v6
	v_lshl_add_u32 v8, v8, 23, 0x3c000000
	v_lshlrev_b32_sdwa v10, v10, v50 dst_sel:DWORD dst_unused:UNUSED_PAD src0_sel:DWORD src1_sel:BYTE_3
	v_and_b32_e32 v10, 0x80000000, v10
	v_or3_b32 v11, v6, v10, v8
	v_mov_b32_e32 v10, v7
.LBB208_1608:                           ;   in Loop: Header=BB208_931 Depth=1
	s_or_b32 exec_lo, exec_lo, s18
.LBB208_1609:                           ;   in Loop: Header=BB208_931 Depth=1
	s_or_b32 exec_lo, exec_lo, s17
.LBB208_1610:                           ;   in Loop: Header=BB208_931 Depth=1
	s_or_b32 exec_lo, exec_lo, s15
	v_or_b32_e32 v6, v20, v18
	v_or_b32_e32 v8, v19, v17
	;; [unrolled: 1-line block ×4, first 2 shown]
	v_mul_f32_e32 v53, v98, v6
	v_mul_f32_e32 v52, v98, v8
	;; [unrolled: 1-line block ×4, first 2 shown]
	s_and_saveexec_b32 s15, vcc_lo
	s_cbranch_execz .LBB208_1612
; %bb.1611:                             ;   in Loop: Header=BB208_931 Depth=1
	v_cmp_lt_i32_e64 s4, v103, v47
	v_cndmask_b32_e64 v52, 0, v52, s4
	v_cmp_lt_i32_e64 s4, v114, v47
	v_cndmask_b32_e64 v53, 0, v53, s4
	;; [unrolled: 2-line block ×4, first 2 shown]
.LBB208_1612:                           ;   in Loop: Header=BB208_931 Depth=1
	s_or_b32 exec_lo, exec_lo, s15
	flat_load_dword v54, v[0:1] offset:512
	v_mov_b32_e32 v19, 0
	v_mov_b32_e32 v17, 0
	;; [unrolled: 1-line block ×4, first 2 shown]
	s_waitcnt vmcnt(0) lgkmcnt(0)
	v_cmp_ne_u16_sdwa s4, v54, v7 src0_sel:BYTE_0 src1_sel:DWORD
	s_and_saveexec_b32 s15, s4
	s_cbranch_execz .LBB208_1620
; %bb.1613:                             ;   in Loop: Header=BB208_931 Depth=1
	v_bfrev_b32_e32 v17, 1
	v_mov_b32_e32 v18, 0
	v_cmp_ne_u16_sdwa s4, v54, v81 src0_sel:BYTE_0 src1_sel:DWORD
	s_and_saveexec_b32 s17, s4
	s_cbranch_execz .LBB208_1619
; %bb.1614:                             ;   in Loop: Header=BB208_931 Depth=1
	v_mov_b32_e32 v17, 0x7f800001
	v_and_b32_e32 v10, 0x7f, v54
	v_mov_b32_e32 v18, 0
	s_mov_b32 s18, exec_lo
	v_cmpx_ne_u32_e32 0x7f, v10
	s_cbranch_execz .LBB208_1618
; %bb.1615:                             ;   in Loop: Header=BB208_931 Depth=1
	v_and_b32_e32 v6, 7, v54
	v_lshrrev_b32_e32 v8, 3, v10
	s_mov_b32 s19, exec_lo
	v_cmpx_gt_u32_e32 8, v10
; %bb.1616:                             ;   in Loop: Header=BB208_931 Depth=1
	v_ffbh_u32_e32 v8, v6
	v_min_u32_e32 v8, 32, v8
	v_subrev_nc_u32_e32 v10, 28, v8
	v_sub_nc_u32_e32 v8, 29, v8
	v_lshlrev_b64 v[10:11], v10, v[6:7]
	v_and_b32_e32 v6, 7, v10
; %bb.1617:                             ;   in Loop: Header=BB208_931 Depth=1
	s_or_b32 exec_lo, exec_lo, s19
	v_lshlrev_b32_e32 v10, 24, v54
	v_lshlrev_b32_e32 v6, 20, v6
	v_lshl_add_u32 v8, v8, 23, 0x3c000000
	v_and_b32_e32 v10, 0x80000000, v10
	v_or3_b32 v6, v6, v10, v8
	v_mov_b32_e32 v18, v7
	v_mov_b32_e32 v17, v6
.LBB208_1618:                           ;   in Loop: Header=BB208_931 Depth=1
	s_or_b32 exec_lo, exec_lo, s18
.LBB208_1619:                           ;   in Loop: Header=BB208_931 Depth=1
	s_or_b32 exec_lo, exec_lo, s17
.LBB208_1620:                           ;   in Loop: Header=BB208_931 Depth=1
	s_or_b32 exec_lo, exec_lo, s15
	v_cmp_ne_u16_sdwa s4, v54, v7 src0_sel:BYTE_1 src1_sel:DWORD
	s_and_saveexec_b32 s15, s4
	s_cbranch_execz .LBB208_1628
; %bb.1621:                             ;   in Loop: Header=BB208_931 Depth=1
	v_mov_b32_e32 v8, v7
	v_mov_b32_e32 v20, v9
	v_cmp_ne_u16_sdwa s4, v54, v81 src0_sel:BYTE_1 src1_sel:DWORD
	v_mov_b32_e32 v19, v8
	s_and_saveexec_b32 s17, s4
	s_cbranch_execz .LBB208_1627
; %bb.1622:                             ;   in Loop: Header=BB208_931 Depth=1
	v_mov_b32_e32 v6, 0xffff
	v_mov_b32_e32 v11, v7
	;; [unrolled: 1-line block ×3, first 2 shown]
	s_mov_b32 s18, exec_lo
	v_and_b32_sdwa v6, v6, v54 dst_sel:DWORD dst_unused:UNUSED_PAD src0_sel:DWORD src1_sel:BYTE_1
	v_mov_b32_e32 v19, v11
	v_and_b32_e32 v10, 0x7f, v6
	v_cmpx_ne_u32_e32 0x7f, v10
	s_cbranch_execz .LBB208_1626
; %bb.1623:                             ;   in Loop: Header=BB208_931 Depth=1
	v_and_b32_e32 v6, 7, v6
	v_lshrrev_b32_e32 v8, 3, v10
	s_mov_b32 s19, exec_lo
	v_cmpx_gt_u32_e32 8, v10
; %bb.1624:                             ;   in Loop: Header=BB208_931 Depth=1
	v_ffbh_u32_e32 v8, v6
	v_min_u32_e32 v8, 32, v8
	v_subrev_nc_u32_e32 v10, 28, v8
	v_sub_nc_u32_e32 v8, 29, v8
	v_lshlrev_b64 v[10:11], v10, v[6:7]
	v_and_b32_e32 v6, 7, v10
; %bb.1625:                             ;   in Loop: Header=BB208_931 Depth=1
	s_or_b32 exec_lo, exec_lo, s19
	v_lshlrev_b32_e32 v10, 16, v54
	v_lshlrev_b32_e32 v6, 20, v6
	v_lshl_add_u32 v8, v8, 23, 0x3c000000
	v_mov_b32_e32 v19, v7
	v_and_b32_e32 v10, 0x80000000, v10
	v_or3_b32 v20, v6, v10, v8
.LBB208_1626:                           ;   in Loop: Header=BB208_931 Depth=1
	s_or_b32 exec_lo, exec_lo, s18
.LBB208_1627:                           ;   in Loop: Header=BB208_931 Depth=1
	s_or_b32 exec_lo, exec_lo, s17
.LBB208_1628:                           ;   in Loop: Header=BB208_931 Depth=1
	s_or_b32 exec_lo, exec_lo, s15
	v_mov_b32_e32 v10, 0
	v_mov_b32_e32 v21, 0
	v_and_b32_sdwa v6, v54, v83 dst_sel:DWORD dst_unused:UNUSED_PAD src0_sel:WORD_1 src1_sel:DWORD
	v_mov_b32_e32 v11, 0
	v_mov_b32_e32 v22, 0
	s_mov_b32 s15, exec_lo
	v_cmpx_ne_u16_e32 0, v6
	s_cbranch_execz .LBB208_1636
; %bb.1629:                             ;   in Loop: Header=BB208_931 Depth=1
	v_bfrev_b32_e32 v21, 1
	v_mov_b32_e32 v22, 0
	s_mov_b32 s17, exec_lo
	v_cmpx_ne_u16_e32 0x80, v6
	s_cbranch_execz .LBB208_1635
; %bb.1630:                             ;   in Loop: Header=BB208_931 Depth=1
	v_mov_b32_e32 v21, 0x7f800001
	v_bfe_u32 v55, v54, 16, 7
	v_mov_b32_e32 v22, 0
	s_mov_b32 s18, exec_lo
	v_cmpx_ne_u32_e32 0x7f, v55
	s_cbranch_execz .LBB208_1634
; %bb.1631:                             ;   in Loop: Header=BB208_931 Depth=1
	v_mov_b32_e32 v6, 7
	v_lshrrev_b32_e32 v8, 3, v55
	s_mov_b32 s19, exec_lo
	v_and_b32_sdwa v6, v54, v6 dst_sel:DWORD dst_unused:UNUSED_PAD src0_sel:WORD_1 src1_sel:DWORD
	v_cmpx_gt_u32_e32 8, v55
; %bb.1632:                             ;   in Loop: Header=BB208_931 Depth=1
	v_ffbh_u32_e32 v8, v6
	v_min_u32_e32 v8, 32, v8
	v_subrev_nc_u32_e32 v21, 28, v8
	v_sub_nc_u32_e32 v8, 29, v8
	v_lshlrev_b64 v[21:22], v21, v[6:7]
	v_and_b32_e32 v6, 7, v21
; %bb.1633:                             ;   in Loop: Header=BB208_931 Depth=1
	s_or_b32 exec_lo, exec_lo, s19
	v_mov_b32_e32 v21, 24
	v_lshlrev_b32_e32 v6, 20, v6
	v_lshl_add_u32 v8, v8, 23, 0x3c000000
	v_lshlrev_b32_sdwa v21, v21, v54 dst_sel:DWORD dst_unused:UNUSED_PAD src0_sel:DWORD src1_sel:WORD_1
	v_and_b32_e32 v21, 0x80000000, v21
	v_or3_b32 v6, v6, v21, v8
	v_mov_b32_e32 v22, v7
	v_mov_b32_e32 v21, v6
.LBB208_1634:                           ;   in Loop: Header=BB208_931 Depth=1
	s_or_b32 exec_lo, exec_lo, s18
.LBB208_1635:                           ;   in Loop: Header=BB208_931 Depth=1
	s_or_b32 exec_lo, exec_lo, s17
.LBB208_1636:                           ;   in Loop: Header=BB208_931 Depth=1
	s_or_b32 exec_lo, exec_lo, s15
	s_mov_b32 s15, exec_lo
	v_cmpx_lt_u32_e32 0xffffff, v54
	s_cbranch_execz .LBB208_1644
; %bb.1637:                             ;   in Loop: Header=BB208_931 Depth=1
	v_mov_b32_e32 v8, v7
	v_mov_b32_e32 v11, v9
	v_cmp_ne_u32_sdwa s4, v54, v81 src0_sel:BYTE_3 src1_sel:DWORD
	v_mov_b32_e32 v10, v8
	s_and_saveexec_b32 s17, s4
	s_cbranch_execz .LBB208_1643
; %bb.1638:                             ;   in Loop: Header=BB208_931 Depth=1
	v_mov_b32_e32 v11, v7
	v_bfe_u32 v55, v54, 24, 7
	s_mov_b32 s18, exec_lo
	v_mov_b32_e32 v10, v11
	v_mov_b32_e32 v11, v12
	v_cmpx_ne_u32_e32 0x7f, v55
	s_cbranch_execz .LBB208_1642
; %bb.1639:                             ;   in Loop: Header=BB208_931 Depth=1
	v_mov_b32_e32 v6, 7
	v_lshrrev_b32_e32 v8, 3, v55
	s_mov_b32 s19, exec_lo
	v_and_b32_sdwa v6, v54, v6 dst_sel:DWORD dst_unused:UNUSED_PAD src0_sel:BYTE_3 src1_sel:DWORD
	v_cmpx_gt_u32_e32 8, v55
; %bb.1640:                             ;   in Loop: Header=BB208_931 Depth=1
	v_ffbh_u32_e32 v8, v6
	v_min_u32_e32 v8, 32, v8
	v_subrev_nc_u32_e32 v10, 28, v8
	v_sub_nc_u32_e32 v8, 29, v8
	v_lshlrev_b64 v[10:11], v10, v[6:7]
	v_and_b32_e32 v6, 7, v10
; %bb.1641:                             ;   in Loop: Header=BB208_931 Depth=1
	s_or_b32 exec_lo, exec_lo, s19
	v_mov_b32_e32 v10, 24
	v_lshlrev_b32_e32 v6, 20, v6
	v_lshl_add_u32 v8, v8, 23, 0x3c000000
	v_lshlrev_b32_sdwa v10, v10, v54 dst_sel:DWORD dst_unused:UNUSED_PAD src0_sel:DWORD src1_sel:BYTE_3
	v_and_b32_e32 v10, 0x80000000, v10
	v_or3_b32 v11, v6, v10, v8
	v_mov_b32_e32 v10, v7
.LBB208_1642:                           ;   in Loop: Header=BB208_931 Depth=1
	s_or_b32 exec_lo, exec_lo, s18
.LBB208_1643:                           ;   in Loop: Header=BB208_931 Depth=1
	s_or_b32 exec_lo, exec_lo, s17
.LBB208_1644:                           ;   in Loop: Header=BB208_931 Depth=1
	s_or_b32 exec_lo, exec_lo, s15
	v_or_b32_e32 v6, v20, v18
	v_or_b32_e32 v8, v19, v17
	;; [unrolled: 1-line block ×4, first 2 shown]
	v_mul_f32_e32 v65, v98, v6
	v_mul_f32_e32 v64, v98, v8
	;; [unrolled: 1-line block ×4, first 2 shown]
	s_and_saveexec_b32 s15, vcc_lo
	s_cbranch_execz .LBB208_1646
; %bb.1645:                             ;   in Loop: Header=BB208_931 Depth=1
	v_cmp_lt_i32_e64 s4, v103, v47
	v_cndmask_b32_e64 v64, 0, v64, s4
	v_cmp_lt_i32_e64 s4, v114, v47
	v_cndmask_b32_e64 v65, 0, v65, s4
	;; [unrolled: 2-line block ×4, first 2 shown]
.LBB208_1646:                           ;   in Loop: Header=BB208_931 Depth=1
	s_or_b32 exec_lo, exec_lo, s15
	flat_load_dword v66, v[0:1] offset:640
	v_mov_b32_e32 v19, 0
	v_mov_b32_e32 v17, 0
	;; [unrolled: 1-line block ×4, first 2 shown]
	s_waitcnt vmcnt(0) lgkmcnt(0)
	v_cmp_ne_u16_sdwa s4, v66, v7 src0_sel:BYTE_0 src1_sel:DWORD
	s_and_saveexec_b32 s15, s4
	s_cbranch_execz .LBB208_1654
; %bb.1647:                             ;   in Loop: Header=BB208_931 Depth=1
	v_bfrev_b32_e32 v17, 1
	v_mov_b32_e32 v18, 0
	v_cmp_ne_u16_sdwa s4, v66, v81 src0_sel:BYTE_0 src1_sel:DWORD
	s_and_saveexec_b32 s17, s4
	s_cbranch_execz .LBB208_1653
; %bb.1648:                             ;   in Loop: Header=BB208_931 Depth=1
	v_mov_b32_e32 v17, 0x7f800001
	v_and_b32_e32 v10, 0x7f, v66
	v_mov_b32_e32 v18, 0
	s_mov_b32 s18, exec_lo
	v_cmpx_ne_u32_e32 0x7f, v10
	s_cbranch_execz .LBB208_1652
; %bb.1649:                             ;   in Loop: Header=BB208_931 Depth=1
	v_and_b32_e32 v6, 7, v66
	v_lshrrev_b32_e32 v8, 3, v10
	s_mov_b32 s19, exec_lo
	v_cmpx_gt_u32_e32 8, v10
; %bb.1650:                             ;   in Loop: Header=BB208_931 Depth=1
	v_ffbh_u32_e32 v8, v6
	v_min_u32_e32 v8, 32, v8
	v_subrev_nc_u32_e32 v10, 28, v8
	v_sub_nc_u32_e32 v8, 29, v8
	v_lshlrev_b64 v[10:11], v10, v[6:7]
	v_and_b32_e32 v6, 7, v10
; %bb.1651:                             ;   in Loop: Header=BB208_931 Depth=1
	s_or_b32 exec_lo, exec_lo, s19
	v_lshlrev_b32_e32 v10, 24, v66
	v_lshlrev_b32_e32 v6, 20, v6
	v_lshl_add_u32 v8, v8, 23, 0x3c000000
	v_and_b32_e32 v10, 0x80000000, v10
	v_or3_b32 v6, v6, v10, v8
	v_mov_b32_e32 v18, v7
	v_mov_b32_e32 v17, v6
.LBB208_1652:                           ;   in Loop: Header=BB208_931 Depth=1
	s_or_b32 exec_lo, exec_lo, s18
.LBB208_1653:                           ;   in Loop: Header=BB208_931 Depth=1
	s_or_b32 exec_lo, exec_lo, s17
.LBB208_1654:                           ;   in Loop: Header=BB208_931 Depth=1
	s_or_b32 exec_lo, exec_lo, s15
	v_cmp_ne_u16_sdwa s4, v66, v7 src0_sel:BYTE_1 src1_sel:DWORD
	s_and_saveexec_b32 s15, s4
	s_cbranch_execz .LBB208_1662
; %bb.1655:                             ;   in Loop: Header=BB208_931 Depth=1
	v_mov_b32_e32 v8, v7
	v_mov_b32_e32 v20, v9
	v_cmp_ne_u16_sdwa s4, v66, v81 src0_sel:BYTE_1 src1_sel:DWORD
	v_mov_b32_e32 v19, v8
	s_and_saveexec_b32 s17, s4
	s_cbranch_execz .LBB208_1661
; %bb.1656:                             ;   in Loop: Header=BB208_931 Depth=1
	v_mov_b32_e32 v6, 0xffff
	v_mov_b32_e32 v11, v7
	;; [unrolled: 1-line block ×3, first 2 shown]
	s_mov_b32 s18, exec_lo
	v_and_b32_sdwa v6, v6, v66 dst_sel:DWORD dst_unused:UNUSED_PAD src0_sel:DWORD src1_sel:BYTE_1
	v_mov_b32_e32 v19, v11
	v_and_b32_e32 v10, 0x7f, v6
	v_cmpx_ne_u32_e32 0x7f, v10
	s_cbranch_execz .LBB208_1660
; %bb.1657:                             ;   in Loop: Header=BB208_931 Depth=1
	v_and_b32_e32 v6, 7, v6
	v_lshrrev_b32_e32 v8, 3, v10
	s_mov_b32 s19, exec_lo
	v_cmpx_gt_u32_e32 8, v10
; %bb.1658:                             ;   in Loop: Header=BB208_931 Depth=1
	v_ffbh_u32_e32 v8, v6
	v_min_u32_e32 v8, 32, v8
	v_subrev_nc_u32_e32 v10, 28, v8
	v_sub_nc_u32_e32 v8, 29, v8
	v_lshlrev_b64 v[10:11], v10, v[6:7]
	v_and_b32_e32 v6, 7, v10
; %bb.1659:                             ;   in Loop: Header=BB208_931 Depth=1
	s_or_b32 exec_lo, exec_lo, s19
	v_lshlrev_b32_e32 v10, 16, v66
	v_lshlrev_b32_e32 v6, 20, v6
	v_lshl_add_u32 v8, v8, 23, 0x3c000000
	v_mov_b32_e32 v19, v7
	v_and_b32_e32 v10, 0x80000000, v10
	v_or3_b32 v20, v6, v10, v8
.LBB208_1660:                           ;   in Loop: Header=BB208_931 Depth=1
	s_or_b32 exec_lo, exec_lo, s18
.LBB208_1661:                           ;   in Loop: Header=BB208_931 Depth=1
	s_or_b32 exec_lo, exec_lo, s17
.LBB208_1662:                           ;   in Loop: Header=BB208_931 Depth=1
	s_or_b32 exec_lo, exec_lo, s15
	v_mov_b32_e32 v10, 0
	v_mov_b32_e32 v21, 0
	v_and_b32_sdwa v6, v66, v83 dst_sel:DWORD dst_unused:UNUSED_PAD src0_sel:WORD_1 src1_sel:DWORD
	v_mov_b32_e32 v11, 0
	v_mov_b32_e32 v22, 0
	s_mov_b32 s15, exec_lo
	v_cmpx_ne_u16_e32 0, v6
	s_cbranch_execz .LBB208_1670
; %bb.1663:                             ;   in Loop: Header=BB208_931 Depth=1
	v_bfrev_b32_e32 v21, 1
	v_mov_b32_e32 v22, 0
	s_mov_b32 s17, exec_lo
	v_cmpx_ne_u16_e32 0x80, v6
	s_cbranch_execz .LBB208_1669
; %bb.1664:                             ;   in Loop: Header=BB208_931 Depth=1
	v_mov_b32_e32 v21, 0x7f800001
	v_bfe_u32 v67, v66, 16, 7
	v_mov_b32_e32 v22, 0
	s_mov_b32 s18, exec_lo
	v_cmpx_ne_u32_e32 0x7f, v67
	s_cbranch_execz .LBB208_1668
; %bb.1665:                             ;   in Loop: Header=BB208_931 Depth=1
	v_mov_b32_e32 v6, 7
	v_lshrrev_b32_e32 v8, 3, v67
	s_mov_b32 s19, exec_lo
	v_and_b32_sdwa v6, v66, v6 dst_sel:DWORD dst_unused:UNUSED_PAD src0_sel:WORD_1 src1_sel:DWORD
	v_cmpx_gt_u32_e32 8, v67
; %bb.1666:                             ;   in Loop: Header=BB208_931 Depth=1
	v_ffbh_u32_e32 v8, v6
	v_min_u32_e32 v8, 32, v8
	v_subrev_nc_u32_e32 v21, 28, v8
	v_sub_nc_u32_e32 v8, 29, v8
	v_lshlrev_b64 v[21:22], v21, v[6:7]
	v_and_b32_e32 v6, 7, v21
; %bb.1667:                             ;   in Loop: Header=BB208_931 Depth=1
	s_or_b32 exec_lo, exec_lo, s19
	v_mov_b32_e32 v21, 24
	v_lshlrev_b32_e32 v6, 20, v6
	v_lshl_add_u32 v8, v8, 23, 0x3c000000
	v_lshlrev_b32_sdwa v21, v21, v66 dst_sel:DWORD dst_unused:UNUSED_PAD src0_sel:DWORD src1_sel:WORD_1
	v_and_b32_e32 v21, 0x80000000, v21
	v_or3_b32 v6, v6, v21, v8
	v_mov_b32_e32 v22, v7
	v_mov_b32_e32 v21, v6
.LBB208_1668:                           ;   in Loop: Header=BB208_931 Depth=1
	s_or_b32 exec_lo, exec_lo, s18
.LBB208_1669:                           ;   in Loop: Header=BB208_931 Depth=1
	s_or_b32 exec_lo, exec_lo, s17
.LBB208_1670:                           ;   in Loop: Header=BB208_931 Depth=1
	s_or_b32 exec_lo, exec_lo, s15
	s_mov_b32 s15, exec_lo
	v_cmpx_lt_u32_e32 0xffffff, v66
	s_cbranch_execz .LBB208_1678
; %bb.1671:                             ;   in Loop: Header=BB208_931 Depth=1
	v_mov_b32_e32 v8, v7
	v_mov_b32_e32 v11, v9
	v_cmp_ne_u32_sdwa s4, v66, v81 src0_sel:BYTE_3 src1_sel:DWORD
	v_mov_b32_e32 v10, v8
	s_and_saveexec_b32 s17, s4
	s_cbranch_execz .LBB208_1677
; %bb.1672:                             ;   in Loop: Header=BB208_931 Depth=1
	v_mov_b32_e32 v11, v7
	v_bfe_u32 v67, v66, 24, 7
	s_mov_b32 s18, exec_lo
	v_mov_b32_e32 v10, v11
	v_mov_b32_e32 v11, v12
	v_cmpx_ne_u32_e32 0x7f, v67
	s_cbranch_execz .LBB208_1676
; %bb.1673:                             ;   in Loop: Header=BB208_931 Depth=1
	v_mov_b32_e32 v6, 7
	v_lshrrev_b32_e32 v8, 3, v67
	s_mov_b32 s19, exec_lo
	v_and_b32_sdwa v6, v66, v6 dst_sel:DWORD dst_unused:UNUSED_PAD src0_sel:BYTE_3 src1_sel:DWORD
	v_cmpx_gt_u32_e32 8, v67
; %bb.1674:                             ;   in Loop: Header=BB208_931 Depth=1
	v_ffbh_u32_e32 v8, v6
	v_min_u32_e32 v8, 32, v8
	v_subrev_nc_u32_e32 v10, 28, v8
	v_sub_nc_u32_e32 v8, 29, v8
	v_lshlrev_b64 v[10:11], v10, v[6:7]
	v_and_b32_e32 v6, 7, v10
; %bb.1675:                             ;   in Loop: Header=BB208_931 Depth=1
	s_or_b32 exec_lo, exec_lo, s19
	v_mov_b32_e32 v10, 24
	v_lshlrev_b32_e32 v6, 20, v6
	v_lshl_add_u32 v8, v8, 23, 0x3c000000
	v_lshlrev_b32_sdwa v10, v10, v66 dst_sel:DWORD dst_unused:UNUSED_PAD src0_sel:DWORD src1_sel:BYTE_3
	v_and_b32_e32 v10, 0x80000000, v10
	v_or3_b32 v11, v6, v10, v8
	v_mov_b32_e32 v10, v7
.LBB208_1676:                           ;   in Loop: Header=BB208_931 Depth=1
	s_or_b32 exec_lo, exec_lo, s18
.LBB208_1677:                           ;   in Loop: Header=BB208_931 Depth=1
	s_or_b32 exec_lo, exec_lo, s17
.LBB208_1678:                           ;   in Loop: Header=BB208_931 Depth=1
	s_or_b32 exec_lo, exec_lo, s15
	v_or_b32_e32 v6, v20, v18
	v_or_b32_e32 v8, v19, v17
	;; [unrolled: 1-line block ×4, first 2 shown]
	v_mul_f32_e32 v69, v98, v6
	v_mul_f32_e32 v68, v98, v8
	;; [unrolled: 1-line block ×4, first 2 shown]
	s_and_saveexec_b32 s15, vcc_lo
	s_cbranch_execz .LBB208_1680
; %bb.1679:                             ;   in Loop: Header=BB208_931 Depth=1
	v_cmp_lt_i32_e64 s4, v103, v47
	v_cndmask_b32_e64 v68, 0, v68, s4
	v_cmp_lt_i32_e64 s4, v114, v47
	v_cndmask_b32_e64 v69, 0, v69, s4
	;; [unrolled: 2-line block ×4, first 2 shown]
.LBB208_1680:                           ;   in Loop: Header=BB208_931 Depth=1
	s_or_b32 exec_lo, exec_lo, s15
	flat_load_dword v70, v[0:1] offset:768
	v_mov_b32_e32 v19, 0
	v_mov_b32_e32 v17, 0
	;; [unrolled: 1-line block ×4, first 2 shown]
	s_waitcnt vmcnt(0) lgkmcnt(0)
	v_cmp_ne_u16_sdwa s4, v70, v7 src0_sel:BYTE_0 src1_sel:DWORD
	s_and_saveexec_b32 s15, s4
	s_cbranch_execz .LBB208_1688
; %bb.1681:                             ;   in Loop: Header=BB208_931 Depth=1
	v_bfrev_b32_e32 v17, 1
	v_mov_b32_e32 v18, 0
	v_cmp_ne_u16_sdwa s4, v70, v81 src0_sel:BYTE_0 src1_sel:DWORD
	s_and_saveexec_b32 s17, s4
	s_cbranch_execz .LBB208_1687
; %bb.1682:                             ;   in Loop: Header=BB208_931 Depth=1
	v_mov_b32_e32 v17, 0x7f800001
	v_and_b32_e32 v10, 0x7f, v70
	v_mov_b32_e32 v18, 0
	s_mov_b32 s18, exec_lo
	v_cmpx_ne_u32_e32 0x7f, v10
	s_cbranch_execz .LBB208_1686
; %bb.1683:                             ;   in Loop: Header=BB208_931 Depth=1
	v_and_b32_e32 v6, 7, v70
	v_lshrrev_b32_e32 v8, 3, v10
	s_mov_b32 s19, exec_lo
	v_cmpx_gt_u32_e32 8, v10
; %bb.1684:                             ;   in Loop: Header=BB208_931 Depth=1
	v_ffbh_u32_e32 v8, v6
	v_min_u32_e32 v8, 32, v8
	v_subrev_nc_u32_e32 v10, 28, v8
	v_sub_nc_u32_e32 v8, 29, v8
	v_lshlrev_b64 v[10:11], v10, v[6:7]
	v_and_b32_e32 v6, 7, v10
; %bb.1685:                             ;   in Loop: Header=BB208_931 Depth=1
	s_or_b32 exec_lo, exec_lo, s19
	v_lshlrev_b32_e32 v10, 24, v70
	v_lshlrev_b32_e32 v6, 20, v6
	v_lshl_add_u32 v8, v8, 23, 0x3c000000
	v_and_b32_e32 v10, 0x80000000, v10
	v_or3_b32 v6, v6, v10, v8
	v_mov_b32_e32 v18, v7
	v_mov_b32_e32 v17, v6
.LBB208_1686:                           ;   in Loop: Header=BB208_931 Depth=1
	s_or_b32 exec_lo, exec_lo, s18
.LBB208_1687:                           ;   in Loop: Header=BB208_931 Depth=1
	s_or_b32 exec_lo, exec_lo, s17
.LBB208_1688:                           ;   in Loop: Header=BB208_931 Depth=1
	s_or_b32 exec_lo, exec_lo, s15
	v_cmp_ne_u16_sdwa s4, v70, v7 src0_sel:BYTE_1 src1_sel:DWORD
	s_and_saveexec_b32 s15, s4
	s_cbranch_execz .LBB208_1696
; %bb.1689:                             ;   in Loop: Header=BB208_931 Depth=1
	v_mov_b32_e32 v8, v7
	v_mov_b32_e32 v20, v9
	v_cmp_ne_u16_sdwa s4, v70, v81 src0_sel:BYTE_1 src1_sel:DWORD
	v_mov_b32_e32 v19, v8
	s_and_saveexec_b32 s17, s4
	s_cbranch_execz .LBB208_1695
; %bb.1690:                             ;   in Loop: Header=BB208_931 Depth=1
	v_mov_b32_e32 v6, 0xffff
	v_mov_b32_e32 v11, v7
	;; [unrolled: 1-line block ×3, first 2 shown]
	s_mov_b32 s18, exec_lo
	v_and_b32_sdwa v6, v6, v70 dst_sel:DWORD dst_unused:UNUSED_PAD src0_sel:DWORD src1_sel:BYTE_1
	v_mov_b32_e32 v19, v11
	v_and_b32_e32 v10, 0x7f, v6
	v_cmpx_ne_u32_e32 0x7f, v10
	s_cbranch_execz .LBB208_1694
; %bb.1691:                             ;   in Loop: Header=BB208_931 Depth=1
	v_and_b32_e32 v6, 7, v6
	v_lshrrev_b32_e32 v8, 3, v10
	s_mov_b32 s19, exec_lo
	v_cmpx_gt_u32_e32 8, v10
; %bb.1692:                             ;   in Loop: Header=BB208_931 Depth=1
	v_ffbh_u32_e32 v8, v6
	v_min_u32_e32 v8, 32, v8
	v_subrev_nc_u32_e32 v10, 28, v8
	v_sub_nc_u32_e32 v8, 29, v8
	v_lshlrev_b64 v[10:11], v10, v[6:7]
	v_and_b32_e32 v6, 7, v10
; %bb.1693:                             ;   in Loop: Header=BB208_931 Depth=1
	s_or_b32 exec_lo, exec_lo, s19
	v_lshlrev_b32_e32 v10, 16, v70
	v_lshlrev_b32_e32 v6, 20, v6
	v_lshl_add_u32 v8, v8, 23, 0x3c000000
	v_mov_b32_e32 v19, v7
	v_and_b32_e32 v10, 0x80000000, v10
	v_or3_b32 v20, v6, v10, v8
.LBB208_1694:                           ;   in Loop: Header=BB208_931 Depth=1
	s_or_b32 exec_lo, exec_lo, s18
.LBB208_1695:                           ;   in Loop: Header=BB208_931 Depth=1
	s_or_b32 exec_lo, exec_lo, s17
.LBB208_1696:                           ;   in Loop: Header=BB208_931 Depth=1
	s_or_b32 exec_lo, exec_lo, s15
	v_mov_b32_e32 v10, 0
	v_mov_b32_e32 v21, 0
	v_and_b32_sdwa v6, v70, v83 dst_sel:DWORD dst_unused:UNUSED_PAD src0_sel:WORD_1 src1_sel:DWORD
	v_mov_b32_e32 v11, 0
	v_mov_b32_e32 v22, 0
	s_mov_b32 s15, exec_lo
	v_cmpx_ne_u16_e32 0, v6
	s_cbranch_execz .LBB208_1704
; %bb.1697:                             ;   in Loop: Header=BB208_931 Depth=1
	v_bfrev_b32_e32 v21, 1
	v_mov_b32_e32 v22, 0
	s_mov_b32 s17, exec_lo
	v_cmpx_ne_u16_e32 0x80, v6
	s_cbranch_execz .LBB208_1703
; %bb.1698:                             ;   in Loop: Header=BB208_931 Depth=1
	v_mov_b32_e32 v21, 0x7f800001
	v_bfe_u32 v71, v70, 16, 7
	v_mov_b32_e32 v22, 0
	s_mov_b32 s18, exec_lo
	v_cmpx_ne_u32_e32 0x7f, v71
	s_cbranch_execz .LBB208_1702
; %bb.1699:                             ;   in Loop: Header=BB208_931 Depth=1
	v_mov_b32_e32 v6, 7
	v_lshrrev_b32_e32 v8, 3, v71
	s_mov_b32 s19, exec_lo
	v_and_b32_sdwa v6, v70, v6 dst_sel:DWORD dst_unused:UNUSED_PAD src0_sel:WORD_1 src1_sel:DWORD
	v_cmpx_gt_u32_e32 8, v71
; %bb.1700:                             ;   in Loop: Header=BB208_931 Depth=1
	v_ffbh_u32_e32 v8, v6
	v_min_u32_e32 v8, 32, v8
	v_subrev_nc_u32_e32 v21, 28, v8
	v_sub_nc_u32_e32 v8, 29, v8
	v_lshlrev_b64 v[21:22], v21, v[6:7]
	v_and_b32_e32 v6, 7, v21
; %bb.1701:                             ;   in Loop: Header=BB208_931 Depth=1
	s_or_b32 exec_lo, exec_lo, s19
	v_mov_b32_e32 v21, 24
	v_lshlrev_b32_e32 v6, 20, v6
	v_lshl_add_u32 v8, v8, 23, 0x3c000000
	v_lshlrev_b32_sdwa v21, v21, v70 dst_sel:DWORD dst_unused:UNUSED_PAD src0_sel:DWORD src1_sel:WORD_1
	v_and_b32_e32 v21, 0x80000000, v21
	v_or3_b32 v6, v6, v21, v8
	v_mov_b32_e32 v22, v7
	v_mov_b32_e32 v21, v6
.LBB208_1702:                           ;   in Loop: Header=BB208_931 Depth=1
	s_or_b32 exec_lo, exec_lo, s18
.LBB208_1703:                           ;   in Loop: Header=BB208_931 Depth=1
	s_or_b32 exec_lo, exec_lo, s17
.LBB208_1704:                           ;   in Loop: Header=BB208_931 Depth=1
	s_or_b32 exec_lo, exec_lo, s15
	s_mov_b32 s15, exec_lo
	v_cmpx_lt_u32_e32 0xffffff, v70
	s_cbranch_execz .LBB208_1712
; %bb.1705:                             ;   in Loop: Header=BB208_931 Depth=1
	v_mov_b32_e32 v8, v7
	v_mov_b32_e32 v11, v9
	v_cmp_ne_u32_sdwa s4, v70, v81 src0_sel:BYTE_3 src1_sel:DWORD
	v_mov_b32_e32 v10, v8
	s_and_saveexec_b32 s17, s4
	s_cbranch_execz .LBB208_1711
; %bb.1706:                             ;   in Loop: Header=BB208_931 Depth=1
	v_mov_b32_e32 v11, v7
	v_bfe_u32 v71, v70, 24, 7
	s_mov_b32 s18, exec_lo
	v_mov_b32_e32 v10, v11
	v_mov_b32_e32 v11, v12
	v_cmpx_ne_u32_e32 0x7f, v71
	s_cbranch_execz .LBB208_1710
; %bb.1707:                             ;   in Loop: Header=BB208_931 Depth=1
	v_mov_b32_e32 v6, 7
	v_lshrrev_b32_e32 v8, 3, v71
	s_mov_b32 s19, exec_lo
	v_and_b32_sdwa v6, v70, v6 dst_sel:DWORD dst_unused:UNUSED_PAD src0_sel:BYTE_3 src1_sel:DWORD
	v_cmpx_gt_u32_e32 8, v71
; %bb.1708:                             ;   in Loop: Header=BB208_931 Depth=1
	v_ffbh_u32_e32 v8, v6
	v_min_u32_e32 v8, 32, v8
	v_subrev_nc_u32_e32 v10, 28, v8
	v_sub_nc_u32_e32 v8, 29, v8
	v_lshlrev_b64 v[10:11], v10, v[6:7]
	v_and_b32_e32 v6, 7, v10
; %bb.1709:                             ;   in Loop: Header=BB208_931 Depth=1
	s_or_b32 exec_lo, exec_lo, s19
	v_mov_b32_e32 v10, 24
	v_lshlrev_b32_e32 v6, 20, v6
	v_lshl_add_u32 v8, v8, 23, 0x3c000000
	v_lshlrev_b32_sdwa v10, v10, v70 dst_sel:DWORD dst_unused:UNUSED_PAD src0_sel:DWORD src1_sel:BYTE_3
	v_and_b32_e32 v10, 0x80000000, v10
	v_or3_b32 v11, v6, v10, v8
	v_mov_b32_e32 v10, v7
.LBB208_1710:                           ;   in Loop: Header=BB208_931 Depth=1
	s_or_b32 exec_lo, exec_lo, s18
.LBB208_1711:                           ;   in Loop: Header=BB208_931 Depth=1
	s_or_b32 exec_lo, exec_lo, s17
.LBB208_1712:                           ;   in Loop: Header=BB208_931 Depth=1
	s_or_b32 exec_lo, exec_lo, s15
	v_or_b32_e32 v6, v20, v18
	v_or_b32_e32 v8, v19, v17
	;; [unrolled: 1-line block ×4, first 2 shown]
	v_mul_f32_e32 v100, v98, v6
	v_mul_f32_e32 v99, v98, v8
	v_mul_f32_e32 v71, v98, v10
	v_mul_f32_e32 v70, v98, v11
	s_and_saveexec_b32 s15, vcc_lo
	s_cbranch_execz .LBB208_1714
; %bb.1713:                             ;   in Loop: Header=BB208_931 Depth=1
	v_cmp_lt_i32_e64 s4, v103, v47
	v_cndmask_b32_e64 v99, 0, v99, s4
	v_cmp_lt_i32_e64 s4, v114, v47
	v_cndmask_b32_e64 v100, 0, v100, s4
	;; [unrolled: 2-line block ×4, first 2 shown]
.LBB208_1714:                           ;   in Loop: Header=BB208_931 Depth=1
	s_or_b32 exec_lo, exec_lo, s15
	flat_load_dword v82, v[0:1] offset:896
	v_mov_b32_e32 v19, 0
	v_mov_b32_e32 v17, 0
	;; [unrolled: 1-line block ×4, first 2 shown]
	s_waitcnt vmcnt(0) lgkmcnt(0)
	v_cmp_ne_u16_sdwa s4, v82, v7 src0_sel:BYTE_0 src1_sel:DWORD
	s_and_saveexec_b32 s15, s4
	s_cbranch_execz .LBB208_1722
; %bb.1715:                             ;   in Loop: Header=BB208_931 Depth=1
	v_bfrev_b32_e32 v17, 1
	v_mov_b32_e32 v18, 0
	v_cmp_ne_u16_sdwa s4, v82, v81 src0_sel:BYTE_0 src1_sel:DWORD
	s_and_saveexec_b32 s17, s4
	s_cbranch_execz .LBB208_1721
; %bb.1716:                             ;   in Loop: Header=BB208_931 Depth=1
	v_mov_b32_e32 v17, 0x7f800001
	v_and_b32_e32 v10, 0x7f, v82
	v_mov_b32_e32 v18, 0
	s_mov_b32 s18, exec_lo
	v_cmpx_ne_u32_e32 0x7f, v10
	s_cbranch_execz .LBB208_1720
; %bb.1717:                             ;   in Loop: Header=BB208_931 Depth=1
	v_and_b32_e32 v6, 7, v82
	v_lshrrev_b32_e32 v8, 3, v10
	s_mov_b32 s19, exec_lo
	v_cmpx_gt_u32_e32 8, v10
; %bb.1718:                             ;   in Loop: Header=BB208_931 Depth=1
	v_ffbh_u32_e32 v8, v6
	v_min_u32_e32 v8, 32, v8
	v_subrev_nc_u32_e32 v10, 28, v8
	v_sub_nc_u32_e32 v8, 29, v8
	v_lshlrev_b64 v[10:11], v10, v[6:7]
	v_and_b32_e32 v6, 7, v10
; %bb.1719:                             ;   in Loop: Header=BB208_931 Depth=1
	s_or_b32 exec_lo, exec_lo, s19
	v_lshlrev_b32_e32 v10, 24, v82
	v_lshlrev_b32_e32 v6, 20, v6
	v_lshl_add_u32 v8, v8, 23, 0x3c000000
	v_and_b32_e32 v10, 0x80000000, v10
	v_or3_b32 v6, v6, v10, v8
	v_mov_b32_e32 v18, v7
	v_mov_b32_e32 v17, v6
.LBB208_1720:                           ;   in Loop: Header=BB208_931 Depth=1
	s_or_b32 exec_lo, exec_lo, s18
.LBB208_1721:                           ;   in Loop: Header=BB208_931 Depth=1
	s_or_b32 exec_lo, exec_lo, s17
.LBB208_1722:                           ;   in Loop: Header=BB208_931 Depth=1
	s_or_b32 exec_lo, exec_lo, s15
	v_cmp_ne_u16_sdwa s4, v82, v7 src0_sel:BYTE_1 src1_sel:DWORD
	s_and_saveexec_b32 s15, s4
	s_cbranch_execz .LBB208_1730
; %bb.1723:                             ;   in Loop: Header=BB208_931 Depth=1
	v_mov_b32_e32 v8, v7
	v_mov_b32_e32 v20, v9
	v_cmp_ne_u16_sdwa s4, v82, v81 src0_sel:BYTE_1 src1_sel:DWORD
	v_mov_b32_e32 v19, v8
	s_and_saveexec_b32 s17, s4
	s_cbranch_execz .LBB208_1729
; %bb.1724:                             ;   in Loop: Header=BB208_931 Depth=1
	v_mov_b32_e32 v6, 0xffff
	v_mov_b32_e32 v11, v7
	;; [unrolled: 1-line block ×3, first 2 shown]
	s_mov_b32 s18, exec_lo
	v_and_b32_sdwa v6, v6, v82 dst_sel:DWORD dst_unused:UNUSED_PAD src0_sel:DWORD src1_sel:BYTE_1
	v_mov_b32_e32 v19, v11
	v_and_b32_e32 v10, 0x7f, v6
	v_cmpx_ne_u32_e32 0x7f, v10
	s_cbranch_execz .LBB208_1728
; %bb.1725:                             ;   in Loop: Header=BB208_931 Depth=1
	v_and_b32_e32 v6, 7, v6
	v_lshrrev_b32_e32 v8, 3, v10
	s_mov_b32 s19, exec_lo
	v_cmpx_gt_u32_e32 8, v10
; %bb.1726:                             ;   in Loop: Header=BB208_931 Depth=1
	v_ffbh_u32_e32 v8, v6
	v_min_u32_e32 v8, 32, v8
	v_subrev_nc_u32_e32 v10, 28, v8
	v_sub_nc_u32_e32 v8, 29, v8
	v_lshlrev_b64 v[10:11], v10, v[6:7]
	v_and_b32_e32 v6, 7, v10
; %bb.1727:                             ;   in Loop: Header=BB208_931 Depth=1
	s_or_b32 exec_lo, exec_lo, s19
	v_lshlrev_b32_e32 v10, 16, v82
	v_lshlrev_b32_e32 v6, 20, v6
	v_lshl_add_u32 v8, v8, 23, 0x3c000000
	v_mov_b32_e32 v19, v7
	v_and_b32_e32 v10, 0x80000000, v10
	v_or3_b32 v20, v6, v10, v8
.LBB208_1728:                           ;   in Loop: Header=BB208_931 Depth=1
	s_or_b32 exec_lo, exec_lo, s18
.LBB208_1729:                           ;   in Loop: Header=BB208_931 Depth=1
	s_or_b32 exec_lo, exec_lo, s17
.LBB208_1730:                           ;   in Loop: Header=BB208_931 Depth=1
	s_or_b32 exec_lo, exec_lo, s15
	v_mov_b32_e32 v10, 0
	v_mov_b32_e32 v21, 0
	v_and_b32_sdwa v6, v82, v83 dst_sel:DWORD dst_unused:UNUSED_PAD src0_sel:WORD_1 src1_sel:DWORD
	v_mov_b32_e32 v11, 0
	v_mov_b32_e32 v22, 0
	s_mov_b32 s15, exec_lo
	v_cmpx_ne_u16_e32 0, v6
	s_cbranch_execz .LBB208_1738
; %bb.1731:                             ;   in Loop: Header=BB208_931 Depth=1
	v_bfrev_b32_e32 v21, 1
	v_mov_b32_e32 v22, 0
	s_mov_b32 s17, exec_lo
	v_cmpx_ne_u16_e32 0x80, v6
	s_cbranch_execz .LBB208_1737
; %bb.1732:                             ;   in Loop: Header=BB208_931 Depth=1
	v_mov_b32_e32 v21, 0x7f800001
	v_bfe_u32 v84, v82, 16, 7
	v_mov_b32_e32 v22, 0
	s_mov_b32 s18, exec_lo
	v_cmpx_ne_u32_e32 0x7f, v84
	s_cbranch_execz .LBB208_1736
; %bb.1733:                             ;   in Loop: Header=BB208_931 Depth=1
	v_mov_b32_e32 v6, 7
	v_lshrrev_b32_e32 v8, 3, v84
	s_mov_b32 s19, exec_lo
	v_and_b32_sdwa v6, v82, v6 dst_sel:DWORD dst_unused:UNUSED_PAD src0_sel:WORD_1 src1_sel:DWORD
	v_cmpx_gt_u32_e32 8, v84
; %bb.1734:                             ;   in Loop: Header=BB208_931 Depth=1
	v_ffbh_u32_e32 v8, v6
	v_min_u32_e32 v8, 32, v8
	v_subrev_nc_u32_e32 v21, 28, v8
	v_sub_nc_u32_e32 v8, 29, v8
	v_lshlrev_b64 v[21:22], v21, v[6:7]
	v_and_b32_e32 v6, 7, v21
; %bb.1735:                             ;   in Loop: Header=BB208_931 Depth=1
	s_or_b32 exec_lo, exec_lo, s19
	v_mov_b32_e32 v21, 24
	v_lshlrev_b32_e32 v6, 20, v6
	v_lshl_add_u32 v8, v8, 23, 0x3c000000
	v_lshlrev_b32_sdwa v21, v21, v82 dst_sel:DWORD dst_unused:UNUSED_PAD src0_sel:DWORD src1_sel:WORD_1
	v_and_b32_e32 v21, 0x80000000, v21
	v_or3_b32 v6, v6, v21, v8
	v_mov_b32_e32 v22, v7
	v_mov_b32_e32 v21, v6
.LBB208_1736:                           ;   in Loop: Header=BB208_931 Depth=1
	s_or_b32 exec_lo, exec_lo, s18
.LBB208_1737:                           ;   in Loop: Header=BB208_931 Depth=1
	s_or_b32 exec_lo, exec_lo, s17
.LBB208_1738:                           ;   in Loop: Header=BB208_931 Depth=1
	s_or_b32 exec_lo, exec_lo, s15
	s_mov_b32 s15, exec_lo
	v_cmpx_lt_u32_e32 0xffffff, v82
	s_cbranch_execz .LBB208_1746
; %bb.1739:                             ;   in Loop: Header=BB208_931 Depth=1
	v_mov_b32_e32 v8, v7
	v_mov_b32_e32 v11, v9
	v_cmp_ne_u32_sdwa s4, v82, v81 src0_sel:BYTE_3 src1_sel:DWORD
	v_mov_b32_e32 v10, v8
	s_and_saveexec_b32 s17, s4
	s_cbranch_execz .LBB208_1745
; %bb.1740:                             ;   in Loop: Header=BB208_931 Depth=1
	v_mov_b32_e32 v11, v7
	v_bfe_u32 v84, v82, 24, 7
	s_mov_b32 s18, exec_lo
	v_mov_b32_e32 v10, v11
	v_mov_b32_e32 v11, v12
	v_cmpx_ne_u32_e32 0x7f, v84
	s_cbranch_execz .LBB208_1744
; %bb.1741:                             ;   in Loop: Header=BB208_931 Depth=1
	v_mov_b32_e32 v6, 7
	v_lshrrev_b32_e32 v8, 3, v84
	s_mov_b32 s19, exec_lo
	v_and_b32_sdwa v6, v82, v6 dst_sel:DWORD dst_unused:UNUSED_PAD src0_sel:BYTE_3 src1_sel:DWORD
	v_cmpx_gt_u32_e32 8, v84
; %bb.1742:                             ;   in Loop: Header=BB208_931 Depth=1
	v_ffbh_u32_e32 v8, v6
	v_min_u32_e32 v8, 32, v8
	v_subrev_nc_u32_e32 v10, 28, v8
	v_sub_nc_u32_e32 v8, 29, v8
	v_lshlrev_b64 v[10:11], v10, v[6:7]
	v_and_b32_e32 v6, 7, v10
; %bb.1743:                             ;   in Loop: Header=BB208_931 Depth=1
	s_or_b32 exec_lo, exec_lo, s19
	v_mov_b32_e32 v10, 24
	v_lshlrev_b32_e32 v6, 20, v6
	v_lshl_add_u32 v8, v8, 23, 0x3c000000
	v_lshlrev_b32_sdwa v10, v10, v82 dst_sel:DWORD dst_unused:UNUSED_PAD src0_sel:DWORD src1_sel:BYTE_3
	v_and_b32_e32 v10, 0x80000000, v10
	v_or3_b32 v11, v6, v10, v8
	v_mov_b32_e32 v10, v7
.LBB208_1744:                           ;   in Loop: Header=BB208_931 Depth=1
	s_or_b32 exec_lo, exec_lo, s18
.LBB208_1745:                           ;   in Loop: Header=BB208_931 Depth=1
	s_or_b32 exec_lo, exec_lo, s17
.LBB208_1746:                           ;   in Loop: Header=BB208_931 Depth=1
	s_or_b32 exec_lo, exec_lo, s15
	v_or_b32_e32 v6, v20, v18
	v_or_b32_e32 v8, v19, v17
	;; [unrolled: 1-line block ×4, first 2 shown]
	v_mul_f32_e32 v116, v98, v6
	v_mul_f32_e32 v115, v98, v8
	;; [unrolled: 1-line block ×4, first 2 shown]
	s_and_saveexec_b32 s15, vcc_lo
	s_cbranch_execz .LBB208_1748
; %bb.1747:                             ;   in Loop: Header=BB208_931 Depth=1
	v_cmp_lt_i32_e64 s4, v103, v47
	v_cndmask_b32_e64 v115, 0, v115, s4
	v_cmp_lt_i32_e64 s4, v114, v47
	v_cndmask_b32_e64 v116, 0, v116, s4
	;; [unrolled: 2-line block ×4, first 2 shown]
.LBB208_1748:                           ;   in Loop: Header=BB208_931 Depth=1
	s_or_b32 exec_lo, exec_lo, s15
	flat_load_dword v82, v[0:1] offset:1024
	v_mov_b32_e32 v19, 0
	v_mov_b32_e32 v17, 0
	;; [unrolled: 1-line block ×4, first 2 shown]
	s_waitcnt vmcnt(0) lgkmcnt(0)
	v_cmp_ne_u16_sdwa s4, v82, v7 src0_sel:BYTE_0 src1_sel:DWORD
	s_and_saveexec_b32 s15, s4
	s_cbranch_execz .LBB208_1756
; %bb.1749:                             ;   in Loop: Header=BB208_931 Depth=1
	v_bfrev_b32_e32 v17, 1
	v_mov_b32_e32 v18, 0
	v_cmp_ne_u16_sdwa s4, v82, v81 src0_sel:BYTE_0 src1_sel:DWORD
	s_and_saveexec_b32 s17, s4
	s_cbranch_execz .LBB208_1755
; %bb.1750:                             ;   in Loop: Header=BB208_931 Depth=1
	v_mov_b32_e32 v17, 0x7f800001
	v_and_b32_e32 v10, 0x7f, v82
	v_mov_b32_e32 v18, 0
	s_mov_b32 s18, exec_lo
	v_cmpx_ne_u32_e32 0x7f, v10
	s_cbranch_execz .LBB208_1754
; %bb.1751:                             ;   in Loop: Header=BB208_931 Depth=1
	v_and_b32_e32 v6, 7, v82
	v_lshrrev_b32_e32 v8, 3, v10
	s_mov_b32 s19, exec_lo
	v_cmpx_gt_u32_e32 8, v10
; %bb.1752:                             ;   in Loop: Header=BB208_931 Depth=1
	v_ffbh_u32_e32 v8, v6
	v_min_u32_e32 v8, 32, v8
	v_subrev_nc_u32_e32 v10, 28, v8
	v_sub_nc_u32_e32 v8, 29, v8
	v_lshlrev_b64 v[10:11], v10, v[6:7]
	v_and_b32_e32 v6, 7, v10
; %bb.1753:                             ;   in Loop: Header=BB208_931 Depth=1
	s_or_b32 exec_lo, exec_lo, s19
	v_lshlrev_b32_e32 v10, 24, v82
	v_lshlrev_b32_e32 v6, 20, v6
	v_lshl_add_u32 v8, v8, 23, 0x3c000000
	v_and_b32_e32 v10, 0x80000000, v10
	v_or3_b32 v6, v6, v10, v8
	v_mov_b32_e32 v18, v7
	v_mov_b32_e32 v17, v6
.LBB208_1754:                           ;   in Loop: Header=BB208_931 Depth=1
	s_or_b32 exec_lo, exec_lo, s18
.LBB208_1755:                           ;   in Loop: Header=BB208_931 Depth=1
	s_or_b32 exec_lo, exec_lo, s17
.LBB208_1756:                           ;   in Loop: Header=BB208_931 Depth=1
	s_or_b32 exec_lo, exec_lo, s15
	v_cmp_ne_u16_sdwa s4, v82, v7 src0_sel:BYTE_1 src1_sel:DWORD
	s_and_saveexec_b32 s15, s4
	s_cbranch_execz .LBB208_1764
; %bb.1757:                             ;   in Loop: Header=BB208_931 Depth=1
	v_mov_b32_e32 v8, v7
	v_mov_b32_e32 v20, v9
	v_cmp_ne_u16_sdwa s4, v82, v81 src0_sel:BYTE_1 src1_sel:DWORD
	v_mov_b32_e32 v19, v8
	s_and_saveexec_b32 s17, s4
	s_cbranch_execz .LBB208_1763
; %bb.1758:                             ;   in Loop: Header=BB208_931 Depth=1
	v_mov_b32_e32 v6, 0xffff
	v_mov_b32_e32 v11, v7
	;; [unrolled: 1-line block ×3, first 2 shown]
	s_mov_b32 s18, exec_lo
	v_and_b32_sdwa v6, v6, v82 dst_sel:DWORD dst_unused:UNUSED_PAD src0_sel:DWORD src1_sel:BYTE_1
	v_mov_b32_e32 v19, v11
	v_and_b32_e32 v10, 0x7f, v6
	v_cmpx_ne_u32_e32 0x7f, v10
	s_cbranch_execz .LBB208_1762
; %bb.1759:                             ;   in Loop: Header=BB208_931 Depth=1
	v_and_b32_e32 v6, 7, v6
	v_lshrrev_b32_e32 v8, 3, v10
	s_mov_b32 s19, exec_lo
	v_cmpx_gt_u32_e32 8, v10
; %bb.1760:                             ;   in Loop: Header=BB208_931 Depth=1
	v_ffbh_u32_e32 v8, v6
	v_min_u32_e32 v8, 32, v8
	v_subrev_nc_u32_e32 v10, 28, v8
	v_sub_nc_u32_e32 v8, 29, v8
	v_lshlrev_b64 v[10:11], v10, v[6:7]
	v_and_b32_e32 v6, 7, v10
; %bb.1761:                             ;   in Loop: Header=BB208_931 Depth=1
	s_or_b32 exec_lo, exec_lo, s19
	v_lshlrev_b32_e32 v10, 16, v82
	v_lshlrev_b32_e32 v6, 20, v6
	v_lshl_add_u32 v8, v8, 23, 0x3c000000
	v_mov_b32_e32 v19, v7
	v_and_b32_e32 v10, 0x80000000, v10
	v_or3_b32 v20, v6, v10, v8
.LBB208_1762:                           ;   in Loop: Header=BB208_931 Depth=1
	s_or_b32 exec_lo, exec_lo, s18
.LBB208_1763:                           ;   in Loop: Header=BB208_931 Depth=1
	s_or_b32 exec_lo, exec_lo, s17
.LBB208_1764:                           ;   in Loop: Header=BB208_931 Depth=1
	s_or_b32 exec_lo, exec_lo, s15
	v_mov_b32_e32 v10, 0
	v_mov_b32_e32 v21, 0
	v_and_b32_sdwa v6, v82, v83 dst_sel:DWORD dst_unused:UNUSED_PAD src0_sel:WORD_1 src1_sel:DWORD
	v_mov_b32_e32 v11, 0
	v_mov_b32_e32 v22, 0
	s_mov_b32 s15, exec_lo
	v_cmpx_ne_u16_e32 0, v6
	s_cbranch_execz .LBB208_1772
; %bb.1765:                             ;   in Loop: Header=BB208_931 Depth=1
	v_bfrev_b32_e32 v21, 1
	v_mov_b32_e32 v22, 0
	s_mov_b32 s17, exec_lo
	v_cmpx_ne_u16_e32 0x80, v6
	s_cbranch_execz .LBB208_1771
; %bb.1766:                             ;   in Loop: Header=BB208_931 Depth=1
	v_mov_b32_e32 v21, 0x7f800001
	v_bfe_u32 v84, v82, 16, 7
	v_mov_b32_e32 v22, 0
	s_mov_b32 s18, exec_lo
	v_cmpx_ne_u32_e32 0x7f, v84
	s_cbranch_execz .LBB208_1770
; %bb.1767:                             ;   in Loop: Header=BB208_931 Depth=1
	v_mov_b32_e32 v6, 7
	v_lshrrev_b32_e32 v8, 3, v84
	s_mov_b32 s19, exec_lo
	v_and_b32_sdwa v6, v82, v6 dst_sel:DWORD dst_unused:UNUSED_PAD src0_sel:WORD_1 src1_sel:DWORD
	v_cmpx_gt_u32_e32 8, v84
; %bb.1768:                             ;   in Loop: Header=BB208_931 Depth=1
	v_ffbh_u32_e32 v8, v6
	v_min_u32_e32 v8, 32, v8
	v_subrev_nc_u32_e32 v21, 28, v8
	v_sub_nc_u32_e32 v8, 29, v8
	v_lshlrev_b64 v[21:22], v21, v[6:7]
	v_and_b32_e32 v6, 7, v21
; %bb.1769:                             ;   in Loop: Header=BB208_931 Depth=1
	s_or_b32 exec_lo, exec_lo, s19
	v_mov_b32_e32 v21, 24
	v_lshlrev_b32_e32 v6, 20, v6
	v_lshl_add_u32 v8, v8, 23, 0x3c000000
	v_lshlrev_b32_sdwa v21, v21, v82 dst_sel:DWORD dst_unused:UNUSED_PAD src0_sel:DWORD src1_sel:WORD_1
	v_and_b32_e32 v21, 0x80000000, v21
	v_or3_b32 v6, v6, v21, v8
	v_mov_b32_e32 v22, v7
	v_mov_b32_e32 v21, v6
.LBB208_1770:                           ;   in Loop: Header=BB208_931 Depth=1
	s_or_b32 exec_lo, exec_lo, s18
.LBB208_1771:                           ;   in Loop: Header=BB208_931 Depth=1
	s_or_b32 exec_lo, exec_lo, s17
.LBB208_1772:                           ;   in Loop: Header=BB208_931 Depth=1
	s_or_b32 exec_lo, exec_lo, s15
	s_mov_b32 s15, exec_lo
	v_cmpx_lt_u32_e32 0xffffff, v82
	s_cbranch_execz .LBB208_1780
; %bb.1773:                             ;   in Loop: Header=BB208_931 Depth=1
	v_mov_b32_e32 v8, v7
	v_mov_b32_e32 v11, v9
	v_cmp_ne_u32_sdwa s4, v82, v81 src0_sel:BYTE_3 src1_sel:DWORD
	v_mov_b32_e32 v10, v8
	s_and_saveexec_b32 s17, s4
	s_cbranch_execz .LBB208_1779
; %bb.1774:                             ;   in Loop: Header=BB208_931 Depth=1
	v_mov_b32_e32 v11, v7
	v_bfe_u32 v84, v82, 24, 7
	s_mov_b32 s18, exec_lo
	v_mov_b32_e32 v10, v11
	v_mov_b32_e32 v11, v12
	v_cmpx_ne_u32_e32 0x7f, v84
	s_cbranch_execz .LBB208_1778
; %bb.1775:                             ;   in Loop: Header=BB208_931 Depth=1
	v_mov_b32_e32 v6, 7
	v_lshrrev_b32_e32 v8, 3, v84
	s_mov_b32 s19, exec_lo
	v_and_b32_sdwa v6, v82, v6 dst_sel:DWORD dst_unused:UNUSED_PAD src0_sel:BYTE_3 src1_sel:DWORD
	v_cmpx_gt_u32_e32 8, v84
; %bb.1776:                             ;   in Loop: Header=BB208_931 Depth=1
	v_ffbh_u32_e32 v8, v6
	v_min_u32_e32 v8, 32, v8
	v_subrev_nc_u32_e32 v10, 28, v8
	v_sub_nc_u32_e32 v8, 29, v8
	v_lshlrev_b64 v[10:11], v10, v[6:7]
	v_and_b32_e32 v6, 7, v10
; %bb.1777:                             ;   in Loop: Header=BB208_931 Depth=1
	s_or_b32 exec_lo, exec_lo, s19
	v_mov_b32_e32 v10, 24
	v_lshlrev_b32_e32 v6, 20, v6
	v_lshl_add_u32 v8, v8, 23, 0x3c000000
	v_lshlrev_b32_sdwa v10, v10, v82 dst_sel:DWORD dst_unused:UNUSED_PAD src0_sel:DWORD src1_sel:BYTE_3
	v_and_b32_e32 v10, 0x80000000, v10
	v_or3_b32 v11, v6, v10, v8
	v_mov_b32_e32 v10, v7
.LBB208_1778:                           ;   in Loop: Header=BB208_931 Depth=1
	s_or_b32 exec_lo, exec_lo, s18
.LBB208_1779:                           ;   in Loop: Header=BB208_931 Depth=1
	s_or_b32 exec_lo, exec_lo, s17
.LBB208_1780:                           ;   in Loop: Header=BB208_931 Depth=1
	s_or_b32 exec_lo, exec_lo, s15
	v_or_b32_e32 v6, v20, v18
	v_or_b32_e32 v8, v19, v17
	;; [unrolled: 1-line block ×4, first 2 shown]
	v_mul_f32_e32 v40, v98, v6
	v_mul_f32_e32 v119, v98, v8
	;; [unrolled: 1-line block ×4, first 2 shown]
	s_and_saveexec_b32 s15, vcc_lo
	s_cbranch_execz .LBB208_1782
; %bb.1781:                             ;   in Loop: Header=BB208_931 Depth=1
	v_cmp_lt_i32_e64 s4, v103, v47
	v_cndmask_b32_e64 v119, 0, v119, s4
	v_cmp_lt_i32_e64 s4, v114, v47
	v_cndmask_b32_e64 v40, 0, v40, s4
	;; [unrolled: 2-line block ×4, first 2 shown]
.LBB208_1782:                           ;   in Loop: Header=BB208_931 Depth=1
	s_or_b32 exec_lo, exec_lo, s15
	flat_load_dword v82, v[0:1] offset:1152
	v_mov_b32_e32 v19, 0
	v_mov_b32_e32 v17, 0
	;; [unrolled: 1-line block ×4, first 2 shown]
	s_waitcnt vmcnt(0) lgkmcnt(0)
	v_cmp_ne_u16_sdwa s4, v82, v7 src0_sel:BYTE_0 src1_sel:DWORD
	s_and_saveexec_b32 s15, s4
	s_cbranch_execz .LBB208_1790
; %bb.1783:                             ;   in Loop: Header=BB208_931 Depth=1
	v_bfrev_b32_e32 v17, 1
	v_mov_b32_e32 v18, 0
	v_cmp_ne_u16_sdwa s4, v82, v81 src0_sel:BYTE_0 src1_sel:DWORD
	s_and_saveexec_b32 s17, s4
	s_cbranch_execz .LBB208_1789
; %bb.1784:                             ;   in Loop: Header=BB208_931 Depth=1
	v_mov_b32_e32 v17, 0x7f800001
	v_and_b32_e32 v10, 0x7f, v82
	v_mov_b32_e32 v18, 0
	s_mov_b32 s18, exec_lo
	v_cmpx_ne_u32_e32 0x7f, v10
	s_cbranch_execz .LBB208_1788
; %bb.1785:                             ;   in Loop: Header=BB208_931 Depth=1
	v_and_b32_e32 v6, 7, v82
	v_lshrrev_b32_e32 v8, 3, v10
	s_mov_b32 s19, exec_lo
	v_cmpx_gt_u32_e32 8, v10
; %bb.1786:                             ;   in Loop: Header=BB208_931 Depth=1
	v_ffbh_u32_e32 v8, v6
	v_min_u32_e32 v8, 32, v8
	v_subrev_nc_u32_e32 v10, 28, v8
	v_sub_nc_u32_e32 v8, 29, v8
	v_lshlrev_b64 v[10:11], v10, v[6:7]
	v_and_b32_e32 v6, 7, v10
; %bb.1787:                             ;   in Loop: Header=BB208_931 Depth=1
	s_or_b32 exec_lo, exec_lo, s19
	v_lshlrev_b32_e32 v10, 24, v82
	v_lshlrev_b32_e32 v6, 20, v6
	v_lshl_add_u32 v8, v8, 23, 0x3c000000
	v_and_b32_e32 v10, 0x80000000, v10
	v_or3_b32 v6, v6, v10, v8
	v_mov_b32_e32 v18, v7
	v_mov_b32_e32 v17, v6
.LBB208_1788:                           ;   in Loop: Header=BB208_931 Depth=1
	s_or_b32 exec_lo, exec_lo, s18
.LBB208_1789:                           ;   in Loop: Header=BB208_931 Depth=1
	s_or_b32 exec_lo, exec_lo, s17
.LBB208_1790:                           ;   in Loop: Header=BB208_931 Depth=1
	s_or_b32 exec_lo, exec_lo, s15
	v_cmp_ne_u16_sdwa s4, v82, v7 src0_sel:BYTE_1 src1_sel:DWORD
	s_and_saveexec_b32 s15, s4
	s_cbranch_execz .LBB208_1798
; %bb.1791:                             ;   in Loop: Header=BB208_931 Depth=1
	v_mov_b32_e32 v8, v7
	v_mov_b32_e32 v20, v9
	v_cmp_ne_u16_sdwa s4, v82, v81 src0_sel:BYTE_1 src1_sel:DWORD
	v_mov_b32_e32 v19, v8
	s_and_saveexec_b32 s17, s4
	s_cbranch_execz .LBB208_1797
; %bb.1792:                             ;   in Loop: Header=BB208_931 Depth=1
	v_mov_b32_e32 v6, 0xffff
	v_mov_b32_e32 v11, v7
	;; [unrolled: 1-line block ×3, first 2 shown]
	s_mov_b32 s18, exec_lo
	v_and_b32_sdwa v6, v6, v82 dst_sel:DWORD dst_unused:UNUSED_PAD src0_sel:DWORD src1_sel:BYTE_1
	v_mov_b32_e32 v19, v11
	v_and_b32_e32 v10, 0x7f, v6
	v_cmpx_ne_u32_e32 0x7f, v10
	s_cbranch_execz .LBB208_1796
; %bb.1793:                             ;   in Loop: Header=BB208_931 Depth=1
	v_and_b32_e32 v6, 7, v6
	v_lshrrev_b32_e32 v8, 3, v10
	s_mov_b32 s19, exec_lo
	v_cmpx_gt_u32_e32 8, v10
; %bb.1794:                             ;   in Loop: Header=BB208_931 Depth=1
	v_ffbh_u32_e32 v8, v6
	v_min_u32_e32 v8, 32, v8
	v_subrev_nc_u32_e32 v10, 28, v8
	v_sub_nc_u32_e32 v8, 29, v8
	v_lshlrev_b64 v[10:11], v10, v[6:7]
	v_and_b32_e32 v6, 7, v10
; %bb.1795:                             ;   in Loop: Header=BB208_931 Depth=1
	s_or_b32 exec_lo, exec_lo, s19
	v_lshlrev_b32_e32 v10, 16, v82
	v_lshlrev_b32_e32 v6, 20, v6
	v_lshl_add_u32 v8, v8, 23, 0x3c000000
	v_mov_b32_e32 v19, v7
	v_and_b32_e32 v10, 0x80000000, v10
	v_or3_b32 v20, v6, v10, v8
.LBB208_1796:                           ;   in Loop: Header=BB208_931 Depth=1
	s_or_b32 exec_lo, exec_lo, s18
.LBB208_1797:                           ;   in Loop: Header=BB208_931 Depth=1
	s_or_b32 exec_lo, exec_lo, s17
.LBB208_1798:                           ;   in Loop: Header=BB208_931 Depth=1
	s_or_b32 exec_lo, exec_lo, s15
	v_mov_b32_e32 v10, 0
	v_mov_b32_e32 v21, 0
	v_and_b32_sdwa v6, v82, v83 dst_sel:DWORD dst_unused:UNUSED_PAD src0_sel:WORD_1 src1_sel:DWORD
	v_mov_b32_e32 v11, 0
	v_mov_b32_e32 v22, 0
	s_mov_b32 s15, exec_lo
	v_cmpx_ne_u16_e32 0, v6
	s_cbranch_execz .LBB208_1806
; %bb.1799:                             ;   in Loop: Header=BB208_931 Depth=1
	v_bfrev_b32_e32 v21, 1
	v_mov_b32_e32 v22, 0
	s_mov_b32 s17, exec_lo
	v_cmpx_ne_u16_e32 0x80, v6
	s_cbranch_execz .LBB208_1805
; %bb.1800:                             ;   in Loop: Header=BB208_931 Depth=1
	v_mov_b32_e32 v21, 0x7f800001
	v_bfe_u32 v84, v82, 16, 7
	v_mov_b32_e32 v22, 0
	s_mov_b32 s18, exec_lo
	v_cmpx_ne_u32_e32 0x7f, v84
	s_cbranch_execz .LBB208_1804
; %bb.1801:                             ;   in Loop: Header=BB208_931 Depth=1
	v_mov_b32_e32 v6, 7
	v_lshrrev_b32_e32 v8, 3, v84
	s_mov_b32 s19, exec_lo
	v_and_b32_sdwa v6, v82, v6 dst_sel:DWORD dst_unused:UNUSED_PAD src0_sel:WORD_1 src1_sel:DWORD
	v_cmpx_gt_u32_e32 8, v84
; %bb.1802:                             ;   in Loop: Header=BB208_931 Depth=1
	v_ffbh_u32_e32 v8, v6
	v_min_u32_e32 v8, 32, v8
	v_subrev_nc_u32_e32 v21, 28, v8
	v_sub_nc_u32_e32 v8, 29, v8
	v_lshlrev_b64 v[21:22], v21, v[6:7]
	v_and_b32_e32 v6, 7, v21
; %bb.1803:                             ;   in Loop: Header=BB208_931 Depth=1
	s_or_b32 exec_lo, exec_lo, s19
	v_mov_b32_e32 v21, 24
	v_lshlrev_b32_e32 v6, 20, v6
	v_lshl_add_u32 v8, v8, 23, 0x3c000000
	v_lshlrev_b32_sdwa v21, v21, v82 dst_sel:DWORD dst_unused:UNUSED_PAD src0_sel:DWORD src1_sel:WORD_1
	v_and_b32_e32 v21, 0x80000000, v21
	v_or3_b32 v6, v6, v21, v8
	v_mov_b32_e32 v22, v7
	v_mov_b32_e32 v21, v6
.LBB208_1804:                           ;   in Loop: Header=BB208_931 Depth=1
	s_or_b32 exec_lo, exec_lo, s18
.LBB208_1805:                           ;   in Loop: Header=BB208_931 Depth=1
	s_or_b32 exec_lo, exec_lo, s17
.LBB208_1806:                           ;   in Loop: Header=BB208_931 Depth=1
	s_or_b32 exec_lo, exec_lo, s15
	s_mov_b32 s15, exec_lo
	v_cmpx_lt_u32_e32 0xffffff, v82
	s_cbranch_execz .LBB208_1814
; %bb.1807:                             ;   in Loop: Header=BB208_931 Depth=1
	v_mov_b32_e32 v8, v7
	v_mov_b32_e32 v11, v9
	v_cmp_ne_u32_sdwa s4, v82, v81 src0_sel:BYTE_3 src1_sel:DWORD
	v_mov_b32_e32 v10, v8
	s_and_saveexec_b32 s17, s4
	s_cbranch_execz .LBB208_1813
; %bb.1808:                             ;   in Loop: Header=BB208_931 Depth=1
	v_mov_b32_e32 v11, v7
	v_bfe_u32 v84, v82, 24, 7
	s_mov_b32 s18, exec_lo
	v_mov_b32_e32 v10, v11
	v_mov_b32_e32 v11, v12
	v_cmpx_ne_u32_e32 0x7f, v84
	s_cbranch_execz .LBB208_1812
; %bb.1809:                             ;   in Loop: Header=BB208_931 Depth=1
	v_mov_b32_e32 v6, 7
	v_lshrrev_b32_e32 v8, 3, v84
	s_mov_b32 s19, exec_lo
	v_and_b32_sdwa v6, v82, v6 dst_sel:DWORD dst_unused:UNUSED_PAD src0_sel:BYTE_3 src1_sel:DWORD
	v_cmpx_gt_u32_e32 8, v84
; %bb.1810:                             ;   in Loop: Header=BB208_931 Depth=1
	v_ffbh_u32_e32 v8, v6
	v_min_u32_e32 v8, 32, v8
	v_subrev_nc_u32_e32 v10, 28, v8
	v_sub_nc_u32_e32 v8, 29, v8
	v_lshlrev_b64 v[10:11], v10, v[6:7]
	v_and_b32_e32 v6, 7, v10
; %bb.1811:                             ;   in Loop: Header=BB208_931 Depth=1
	s_or_b32 exec_lo, exec_lo, s19
	v_mov_b32_e32 v10, 24
	v_lshlrev_b32_e32 v6, 20, v6
	v_lshl_add_u32 v8, v8, 23, 0x3c000000
	v_lshlrev_b32_sdwa v10, v10, v82 dst_sel:DWORD dst_unused:UNUSED_PAD src0_sel:DWORD src1_sel:BYTE_3
	v_and_b32_e32 v10, 0x80000000, v10
	v_or3_b32 v11, v6, v10, v8
	v_mov_b32_e32 v10, v7
.LBB208_1812:                           ;   in Loop: Header=BB208_931 Depth=1
	s_or_b32 exec_lo, exec_lo, s18
.LBB208_1813:                           ;   in Loop: Header=BB208_931 Depth=1
	s_or_b32 exec_lo, exec_lo, s17
.LBB208_1814:                           ;   in Loop: Header=BB208_931 Depth=1
	s_or_b32 exec_lo, exec_lo, s15
	v_or_b32_e32 v6, v20, v18
	v_or_b32_e32 v8, v19, v17
	;; [unrolled: 1-line block ×4, first 2 shown]
	v_mul_f32_e32 v84, v98, v6
	v_mul_f32_e32 v82, v98, v8
	;; [unrolled: 1-line block ×4, first 2 shown]
	s_and_saveexec_b32 s15, vcc_lo
	s_cbranch_execz .LBB208_1816
; %bb.1815:                             ;   in Loop: Header=BB208_931 Depth=1
	v_cmp_lt_i32_e64 s4, v103, v47
	v_cndmask_b32_e64 v82, 0, v82, s4
	v_cmp_lt_i32_e64 s4, v114, v47
	v_cndmask_b32_e64 v84, 0, v84, s4
	;; [unrolled: 2-line block ×4, first 2 shown]
.LBB208_1816:                           ;   in Loop: Header=BB208_931 Depth=1
	s_or_b32 exec_lo, exec_lo, s15
	flat_load_dword v85, v[0:1] offset:1280
	v_mov_b32_e32 v19, 0
	v_mov_b32_e32 v17, 0
	v_mov_b32_e32 v20, 0
	v_mov_b32_e32 v18, 0
	s_waitcnt vmcnt(0) lgkmcnt(0)
	v_cmp_ne_u16_sdwa s4, v85, v7 src0_sel:BYTE_0 src1_sel:DWORD
	s_and_saveexec_b32 s15, s4
	s_cbranch_execz .LBB208_1824
; %bb.1817:                             ;   in Loop: Header=BB208_931 Depth=1
	v_bfrev_b32_e32 v17, 1
	v_mov_b32_e32 v18, 0
	v_cmp_ne_u16_sdwa s4, v85, v81 src0_sel:BYTE_0 src1_sel:DWORD
	s_and_saveexec_b32 s17, s4
	s_cbranch_execz .LBB208_1823
; %bb.1818:                             ;   in Loop: Header=BB208_931 Depth=1
	v_mov_b32_e32 v17, 0x7f800001
	v_and_b32_e32 v10, 0x7f, v85
	v_mov_b32_e32 v18, 0
	s_mov_b32 s18, exec_lo
	v_cmpx_ne_u32_e32 0x7f, v10
	s_cbranch_execz .LBB208_1822
; %bb.1819:                             ;   in Loop: Header=BB208_931 Depth=1
	v_and_b32_e32 v6, 7, v85
	v_lshrrev_b32_e32 v8, 3, v10
	s_mov_b32 s19, exec_lo
	v_cmpx_gt_u32_e32 8, v10
; %bb.1820:                             ;   in Loop: Header=BB208_931 Depth=1
	v_ffbh_u32_e32 v8, v6
	v_min_u32_e32 v8, 32, v8
	v_subrev_nc_u32_e32 v10, 28, v8
	v_sub_nc_u32_e32 v8, 29, v8
	v_lshlrev_b64 v[10:11], v10, v[6:7]
	v_and_b32_e32 v6, 7, v10
; %bb.1821:                             ;   in Loop: Header=BB208_931 Depth=1
	s_or_b32 exec_lo, exec_lo, s19
	v_lshlrev_b32_e32 v10, 24, v85
	v_lshlrev_b32_e32 v6, 20, v6
	v_lshl_add_u32 v8, v8, 23, 0x3c000000
	v_and_b32_e32 v10, 0x80000000, v10
	v_or3_b32 v6, v6, v10, v8
	v_mov_b32_e32 v18, v7
	v_mov_b32_e32 v17, v6
.LBB208_1822:                           ;   in Loop: Header=BB208_931 Depth=1
	s_or_b32 exec_lo, exec_lo, s18
.LBB208_1823:                           ;   in Loop: Header=BB208_931 Depth=1
	s_or_b32 exec_lo, exec_lo, s17
.LBB208_1824:                           ;   in Loop: Header=BB208_931 Depth=1
	s_or_b32 exec_lo, exec_lo, s15
	v_cmp_ne_u16_sdwa s4, v85, v7 src0_sel:BYTE_1 src1_sel:DWORD
	s_and_saveexec_b32 s15, s4
	s_cbranch_execz .LBB208_1832
; %bb.1825:                             ;   in Loop: Header=BB208_931 Depth=1
	v_mov_b32_e32 v8, v7
	v_mov_b32_e32 v20, v9
	v_cmp_ne_u16_sdwa s4, v85, v81 src0_sel:BYTE_1 src1_sel:DWORD
	v_mov_b32_e32 v19, v8
	s_and_saveexec_b32 s17, s4
	s_cbranch_execz .LBB208_1831
; %bb.1826:                             ;   in Loop: Header=BB208_931 Depth=1
	v_mov_b32_e32 v6, 0xffff
	v_mov_b32_e32 v11, v7
	;; [unrolled: 1-line block ×3, first 2 shown]
	s_mov_b32 s18, exec_lo
	v_and_b32_sdwa v6, v6, v85 dst_sel:DWORD dst_unused:UNUSED_PAD src0_sel:DWORD src1_sel:BYTE_1
	v_mov_b32_e32 v19, v11
	v_and_b32_e32 v10, 0x7f, v6
	v_cmpx_ne_u32_e32 0x7f, v10
	s_cbranch_execz .LBB208_1830
; %bb.1827:                             ;   in Loop: Header=BB208_931 Depth=1
	v_and_b32_e32 v6, 7, v6
	v_lshrrev_b32_e32 v8, 3, v10
	s_mov_b32 s19, exec_lo
	v_cmpx_gt_u32_e32 8, v10
; %bb.1828:                             ;   in Loop: Header=BB208_931 Depth=1
	v_ffbh_u32_e32 v8, v6
	v_min_u32_e32 v8, 32, v8
	v_subrev_nc_u32_e32 v10, 28, v8
	v_sub_nc_u32_e32 v8, 29, v8
	v_lshlrev_b64 v[10:11], v10, v[6:7]
	v_and_b32_e32 v6, 7, v10
; %bb.1829:                             ;   in Loop: Header=BB208_931 Depth=1
	s_or_b32 exec_lo, exec_lo, s19
	v_lshlrev_b32_e32 v10, 16, v85
	v_lshlrev_b32_e32 v6, 20, v6
	v_lshl_add_u32 v8, v8, 23, 0x3c000000
	v_mov_b32_e32 v19, v7
	v_and_b32_e32 v10, 0x80000000, v10
	v_or3_b32 v20, v6, v10, v8
.LBB208_1830:                           ;   in Loop: Header=BB208_931 Depth=1
	s_or_b32 exec_lo, exec_lo, s18
.LBB208_1831:                           ;   in Loop: Header=BB208_931 Depth=1
	s_or_b32 exec_lo, exec_lo, s17
.LBB208_1832:                           ;   in Loop: Header=BB208_931 Depth=1
	s_or_b32 exec_lo, exec_lo, s15
	v_mov_b32_e32 v10, 0
	v_mov_b32_e32 v21, 0
	v_and_b32_sdwa v6, v85, v83 dst_sel:DWORD dst_unused:UNUSED_PAD src0_sel:WORD_1 src1_sel:DWORD
	v_mov_b32_e32 v11, 0
	v_mov_b32_e32 v22, 0
	s_mov_b32 s15, exec_lo
	v_cmpx_ne_u16_e32 0, v6
	s_cbranch_execz .LBB208_1840
; %bb.1833:                             ;   in Loop: Header=BB208_931 Depth=1
	v_bfrev_b32_e32 v21, 1
	v_mov_b32_e32 v22, 0
	s_mov_b32 s17, exec_lo
	v_cmpx_ne_u16_e32 0x80, v6
	s_cbranch_execz .LBB208_1839
; %bb.1834:                             ;   in Loop: Header=BB208_931 Depth=1
	v_mov_b32_e32 v21, 0x7f800001
	v_bfe_u32 v43, v85, 16, 7
	v_mov_b32_e32 v22, 0
	s_mov_b32 s18, exec_lo
	v_cmpx_ne_u32_e32 0x7f, v43
	s_cbranch_execz .LBB208_1838
; %bb.1835:                             ;   in Loop: Header=BB208_931 Depth=1
	v_mov_b32_e32 v6, 7
	v_lshrrev_b32_e32 v8, 3, v43
	s_mov_b32 s19, exec_lo
	v_and_b32_sdwa v6, v85, v6 dst_sel:DWORD dst_unused:UNUSED_PAD src0_sel:WORD_1 src1_sel:DWORD
	v_cmpx_gt_u32_e32 8, v43
; %bb.1836:                             ;   in Loop: Header=BB208_931 Depth=1
	v_ffbh_u32_e32 v8, v6
	v_min_u32_e32 v8, 32, v8
	v_subrev_nc_u32_e32 v21, 28, v8
	v_sub_nc_u32_e32 v8, 29, v8
	v_lshlrev_b64 v[21:22], v21, v[6:7]
	v_and_b32_e32 v6, 7, v21
; %bb.1837:                             ;   in Loop: Header=BB208_931 Depth=1
	s_or_b32 exec_lo, exec_lo, s19
	v_mov_b32_e32 v21, 24
	v_lshlrev_b32_e32 v6, 20, v6
	v_lshl_add_u32 v8, v8, 23, 0x3c000000
	v_lshlrev_b32_sdwa v21, v21, v85 dst_sel:DWORD dst_unused:UNUSED_PAD src0_sel:DWORD src1_sel:WORD_1
	v_and_b32_e32 v21, 0x80000000, v21
	v_or3_b32 v6, v6, v21, v8
	v_mov_b32_e32 v22, v7
	v_mov_b32_e32 v21, v6
.LBB208_1838:                           ;   in Loop: Header=BB208_931 Depth=1
	s_or_b32 exec_lo, exec_lo, s18
.LBB208_1839:                           ;   in Loop: Header=BB208_931 Depth=1
	s_or_b32 exec_lo, exec_lo, s17
.LBB208_1840:                           ;   in Loop: Header=BB208_931 Depth=1
	s_or_b32 exec_lo, exec_lo, s15
	s_mov_b32 s15, exec_lo
	v_cmpx_lt_u32_e32 0xffffff, v85
	s_cbranch_execz .LBB208_1848
; %bb.1841:                             ;   in Loop: Header=BB208_931 Depth=1
	v_mov_b32_e32 v8, v7
	v_mov_b32_e32 v11, v9
	v_cmp_ne_u32_sdwa s4, v85, v81 src0_sel:BYTE_3 src1_sel:DWORD
	v_mov_b32_e32 v10, v8
	s_and_saveexec_b32 s17, s4
	s_cbranch_execz .LBB208_1847
; %bb.1842:                             ;   in Loop: Header=BB208_931 Depth=1
	v_mov_b32_e32 v11, v7
	v_bfe_u32 v43, v85, 24, 7
	s_mov_b32 s18, exec_lo
	v_mov_b32_e32 v10, v11
	v_mov_b32_e32 v11, v12
	v_cmpx_ne_u32_e32 0x7f, v43
	s_cbranch_execz .LBB208_1846
; %bb.1843:                             ;   in Loop: Header=BB208_931 Depth=1
	v_mov_b32_e32 v6, 7
	v_lshrrev_b32_e32 v8, 3, v43
	s_mov_b32 s19, exec_lo
	v_and_b32_sdwa v6, v85, v6 dst_sel:DWORD dst_unused:UNUSED_PAD src0_sel:BYTE_3 src1_sel:DWORD
	v_cmpx_gt_u32_e32 8, v43
; %bb.1844:                             ;   in Loop: Header=BB208_931 Depth=1
	v_ffbh_u32_e32 v8, v6
	v_min_u32_e32 v8, 32, v8
	v_subrev_nc_u32_e32 v10, 28, v8
	v_sub_nc_u32_e32 v8, 29, v8
	v_lshlrev_b64 v[10:11], v10, v[6:7]
	v_and_b32_e32 v6, 7, v10
; %bb.1845:                             ;   in Loop: Header=BB208_931 Depth=1
	s_or_b32 exec_lo, exec_lo, s19
	v_mov_b32_e32 v10, 24
	v_lshlrev_b32_e32 v6, 20, v6
	v_lshl_add_u32 v8, v8, 23, 0x3c000000
	v_lshlrev_b32_sdwa v10, v10, v85 dst_sel:DWORD dst_unused:UNUSED_PAD src0_sel:DWORD src1_sel:BYTE_3
	v_and_b32_e32 v10, 0x80000000, v10
	v_or3_b32 v11, v6, v10, v8
	v_mov_b32_e32 v10, v7
.LBB208_1846:                           ;   in Loop: Header=BB208_931 Depth=1
	s_or_b32 exec_lo, exec_lo, s18
.LBB208_1847:                           ;   in Loop: Header=BB208_931 Depth=1
	s_or_b32 exec_lo, exec_lo, s17
.LBB208_1848:                           ;   in Loop: Header=BB208_931 Depth=1
	s_or_b32 exec_lo, exec_lo, s15
	v_or_b32_e32 v6, v20, v18
	v_or_b32_e32 v8, v19, v17
	;; [unrolled: 1-line block ×4, first 2 shown]
	v_mul_f32_e32 v43, v98, v6
	v_mul_f32_e32 v85, v98, v8
	;; [unrolled: 1-line block ×4, first 2 shown]
	s_and_saveexec_b32 s15, vcc_lo
	s_cbranch_execz .LBB208_1850
; %bb.1849:                             ;   in Loop: Header=BB208_931 Depth=1
	v_cmp_lt_i32_e64 s4, v103, v47
	v_cndmask_b32_e64 v85, 0, v85, s4
	v_cmp_lt_i32_e64 s4, v114, v47
	v_cndmask_b32_e64 v43, 0, v43, s4
	;; [unrolled: 2-line block ×4, first 2 shown]
.LBB208_1850:                           ;   in Loop: Header=BB208_931 Depth=1
	s_or_b32 exec_lo, exec_lo, s15
	flat_load_dword v44, v[0:1] offset:1408
	v_mov_b32_e32 v17, 0
	v_mov_b32_e32 v0, 0
	;; [unrolled: 1-line block ×4, first 2 shown]
	s_waitcnt vmcnt(0) lgkmcnt(0)
	v_cmp_ne_u16_sdwa s4, v44, v7 src0_sel:BYTE_0 src1_sel:DWORD
	s_and_saveexec_b32 s15, s4
	s_cbranch_execz .LBB208_1858
; %bb.1851:                             ;   in Loop: Header=BB208_931 Depth=1
	v_bfrev_b32_e32 v0, 1
	v_mov_b32_e32 v1, 0
	v_cmp_ne_u16_sdwa s4, v44, v81 src0_sel:BYTE_0 src1_sel:DWORD
	s_and_saveexec_b32 s17, s4
	s_cbranch_execz .LBB208_1857
; %bb.1852:                             ;   in Loop: Header=BB208_931 Depth=1
	v_mov_b32_e32 v0, 0x7f800001
	v_and_b32_e32 v8, 0x7f, v44
	v_mov_b32_e32 v1, 0
	s_mov_b32 s18, exec_lo
	v_cmpx_ne_u32_e32 0x7f, v8
	s_cbranch_execz .LBB208_1856
; %bb.1853:                             ;   in Loop: Header=BB208_931 Depth=1
	v_and_b32_e32 v6, 7, v44
	v_lshrrev_b32_e32 v0, 3, v8
	s_mov_b32 s19, exec_lo
	v_cmpx_gt_u32_e32 8, v8
; %bb.1854:                             ;   in Loop: Header=BB208_931 Depth=1
	v_ffbh_u32_e32 v0, v6
	v_min_u32_e32 v0, 32, v0
	v_subrev_nc_u32_e32 v1, 28, v0
	v_sub_nc_u32_e32 v0, 29, v0
	v_lshlrev_b64 v[10:11], v1, v[6:7]
	v_and_b32_e32 v6, 7, v10
; %bb.1855:                             ;   in Loop: Header=BB208_931 Depth=1
	s_or_b32 exec_lo, exec_lo, s19
	v_lshlrev_b32_e32 v1, 24, v44
	v_lshlrev_b32_e32 v6, 20, v6
	v_lshl_add_u32 v0, v0, 23, 0x3c000000
	v_and_b32_e32 v1, 0x80000000, v1
	v_or3_b32 v6, v6, v1, v0
	v_mov_b32_e32 v0, v6
	v_mov_b32_e32 v1, v7
.LBB208_1856:                           ;   in Loop: Header=BB208_931 Depth=1
	s_or_b32 exec_lo, exec_lo, s18
.LBB208_1857:                           ;   in Loop: Header=BB208_931 Depth=1
	s_or_b32 exec_lo, exec_lo, s17
.LBB208_1858:                           ;   in Loop: Header=BB208_931 Depth=1
	s_or_b32 exec_lo, exec_lo, s15
	v_cmp_ne_u16_sdwa s4, v44, v7 src0_sel:BYTE_1 src1_sel:DWORD
	s_and_saveexec_b32 s15, s4
	s_cbranch_execz .LBB208_1866
; %bb.1859:                             ;   in Loop: Header=BB208_931 Depth=1
	v_mov_b32_e32 v8, v7
	v_mov_b32_e32 v18, v9
	v_cmp_ne_u16_sdwa s4, v44, v81 src0_sel:BYTE_1 src1_sel:DWORD
	v_mov_b32_e32 v17, v8
	s_and_saveexec_b32 s17, s4
	s_cbranch_execz .LBB208_1865
; %bb.1860:                             ;   in Loop: Header=BB208_931 Depth=1
	v_mov_b32_e32 v6, 0xffff
	v_mov_b32_e32 v11, v7
	;; [unrolled: 1-line block ×3, first 2 shown]
	s_mov_b32 s18, exec_lo
	v_and_b32_sdwa v6, v6, v44 dst_sel:DWORD dst_unused:UNUSED_PAD src0_sel:DWORD src1_sel:BYTE_1
	v_mov_b32_e32 v17, v11
	v_and_b32_e32 v10, 0x7f, v6
	v_cmpx_ne_u32_e32 0x7f, v10
	s_cbranch_execz .LBB208_1864
; %bb.1861:                             ;   in Loop: Header=BB208_931 Depth=1
	v_and_b32_e32 v6, 7, v6
	v_lshrrev_b32_e32 v8, 3, v10
	s_mov_b32 s19, exec_lo
	v_cmpx_gt_u32_e32 8, v10
; %bb.1862:                             ;   in Loop: Header=BB208_931 Depth=1
	v_ffbh_u32_e32 v8, v6
	v_min_u32_e32 v8, 32, v8
	v_subrev_nc_u32_e32 v10, 28, v8
	v_sub_nc_u32_e32 v8, 29, v8
	v_lshlrev_b64 v[10:11], v10, v[6:7]
	v_and_b32_e32 v6, 7, v10
; %bb.1863:                             ;   in Loop: Header=BB208_931 Depth=1
	s_or_b32 exec_lo, exec_lo, s19
	v_lshlrev_b32_e32 v10, 16, v44
	v_lshlrev_b32_e32 v6, 20, v6
	v_lshl_add_u32 v8, v8, 23, 0x3c000000
	v_mov_b32_e32 v17, v7
	v_and_b32_e32 v10, 0x80000000, v10
	v_or3_b32 v18, v6, v10, v8
.LBB208_1864:                           ;   in Loop: Header=BB208_931 Depth=1
	s_or_b32 exec_lo, exec_lo, s18
.LBB208_1865:                           ;   in Loop: Header=BB208_931 Depth=1
	s_or_b32 exec_lo, exec_lo, s17
.LBB208_1866:                           ;   in Loop: Header=BB208_931 Depth=1
	s_or_b32 exec_lo, exec_lo, s15
	v_mov_b32_e32 v10, 0
	v_mov_b32_e32 v19, 0
	v_and_b32_sdwa v6, v44, v83 dst_sel:DWORD dst_unused:UNUSED_PAD src0_sel:WORD_1 src1_sel:DWORD
	v_mov_b32_e32 v11, 0
	v_mov_b32_e32 v20, 0
	s_mov_b32 s15, exec_lo
	v_cmpx_ne_u16_e32 0, v6
	s_cbranch_execz .LBB208_1874
; %bb.1867:                             ;   in Loop: Header=BB208_931 Depth=1
	v_bfrev_b32_e32 v19, 1
	v_mov_b32_e32 v20, 0
	s_mov_b32 s17, exec_lo
	v_cmpx_ne_u16_e32 0x80, v6
	s_cbranch_execz .LBB208_1873
; %bb.1868:                             ;   in Loop: Header=BB208_931 Depth=1
	v_mov_b32_e32 v19, 0x7f800001
	v_mov_b32_e32 v25, v45
	v_bfe_u32 v45, v44, 16, 7
	v_mov_b32_e32 v20, 0
	s_mov_b32 s18, exec_lo
	v_cmpx_ne_u32_e32 0x7f, v45
	s_cbranch_execz .LBB208_1872
; %bb.1869:                             ;   in Loop: Header=BB208_931 Depth=1
	v_mov_b32_e32 v6, 7
	v_lshrrev_b32_e32 v8, 3, v45
	s_mov_b32 s19, exec_lo
	v_and_b32_sdwa v6, v44, v6 dst_sel:DWORD dst_unused:UNUSED_PAD src0_sel:WORD_1 src1_sel:DWORD
	v_cmpx_gt_u32_e32 8, v45
; %bb.1870:                             ;   in Loop: Header=BB208_931 Depth=1
	v_ffbh_u32_e32 v8, v6
	v_min_u32_e32 v8, 32, v8
	v_subrev_nc_u32_e32 v19, 28, v8
	v_sub_nc_u32_e32 v8, 29, v8
	v_lshlrev_b64 v[19:20], v19, v[6:7]
	v_and_b32_e32 v6, 7, v19
; %bb.1871:                             ;   in Loop: Header=BB208_931 Depth=1
	s_or_b32 exec_lo, exec_lo, s19
	v_mov_b32_e32 v19, 24
	v_lshlrev_b32_e32 v6, 20, v6
	v_lshl_add_u32 v8, v8, 23, 0x3c000000
	v_lshlrev_b32_sdwa v19, v19, v44 dst_sel:DWORD dst_unused:UNUSED_PAD src0_sel:DWORD src1_sel:WORD_1
	v_and_b32_e32 v19, 0x80000000, v19
	v_or3_b32 v6, v6, v19, v8
	v_mov_b32_e32 v20, v7
	v_mov_b32_e32 v19, v6
.LBB208_1872:                           ;   in Loop: Header=BB208_931 Depth=1
	s_or_b32 exec_lo, exec_lo, s18
	v_mov_b32_e32 v45, v25
.LBB208_1873:                           ;   in Loop: Header=BB208_931 Depth=1
	s_or_b32 exec_lo, exec_lo, s17
.LBB208_1874:                           ;   in Loop: Header=BB208_931 Depth=1
	s_or_b32 exec_lo, exec_lo, s15
	s_mov_b32 s15, exec_lo
	v_cmpx_lt_u32_e32 0xffffff, v44
	s_cbranch_execz .LBB208_1882
; %bb.1875:                             ;   in Loop: Header=BB208_931 Depth=1
	v_mov_b32_e32 v8, v7
	v_mov_b32_e32 v11, v9
	v_cmp_ne_u32_sdwa s4, v44, v81 src0_sel:BYTE_3 src1_sel:DWORD
	v_mov_b32_e32 v10, v8
	s_and_saveexec_b32 s17, s4
	s_cbranch_execz .LBB208_1881
; %bb.1876:                             ;   in Loop: Header=BB208_931 Depth=1
	v_mov_b32_e32 v11, v7
	v_mov_b32_e32 v25, v45
	v_bfe_u32 v45, v44, 24, 7
	s_mov_b32 s18, exec_lo
	v_mov_b32_e32 v10, v11
	v_mov_b32_e32 v11, v12
	v_cmpx_ne_u32_e32 0x7f, v45
	s_cbranch_execz .LBB208_1880
; %bb.1877:                             ;   in Loop: Header=BB208_931 Depth=1
	v_mov_b32_e32 v6, 7
	v_lshrrev_b32_e32 v8, 3, v45
	s_mov_b32 s19, exec_lo
	v_and_b32_sdwa v6, v44, v6 dst_sel:DWORD dst_unused:UNUSED_PAD src0_sel:BYTE_3 src1_sel:DWORD
	v_cmpx_gt_u32_e32 8, v45
; %bb.1878:                             ;   in Loop: Header=BB208_931 Depth=1
	v_ffbh_u32_e32 v8, v6
	v_min_u32_e32 v8, 32, v8
	v_subrev_nc_u32_e32 v10, 28, v8
	v_sub_nc_u32_e32 v8, 29, v8
	v_lshlrev_b64 v[10:11], v10, v[6:7]
	v_and_b32_e32 v6, 7, v10
; %bb.1879:                             ;   in Loop: Header=BB208_931 Depth=1
	s_or_b32 exec_lo, exec_lo, s19
	v_mov_b32_e32 v10, 24
	v_lshlrev_b32_e32 v6, 20, v6
	v_lshl_add_u32 v8, v8, 23, 0x3c000000
	v_lshlrev_b32_sdwa v10, v10, v44 dst_sel:DWORD dst_unused:UNUSED_PAD src0_sel:DWORD src1_sel:BYTE_3
	v_and_b32_e32 v10, 0x80000000, v10
	v_or3_b32 v11, v6, v10, v8
	v_mov_b32_e32 v10, v7
.LBB208_1880:                           ;   in Loop: Header=BB208_931 Depth=1
	s_or_b32 exec_lo, exec_lo, s18
	v_mov_b32_e32 v45, v25
.LBB208_1881:                           ;   in Loop: Header=BB208_931 Depth=1
	s_or_b32 exec_lo, exec_lo, s17
.LBB208_1882:                           ;   in Loop: Header=BB208_931 Depth=1
	s_or_b32 exec_lo, exec_lo, s15
	v_or_b32_e32 v1, v18, v1
	v_or_b32_e32 v0, v17, v0
	;; [unrolled: 1-line block ×4, first 2 shown]
	v_mul_f32_e32 v8, v98, v1
	v_mul_f32_e32 v6, v98, v0
	;; [unrolled: 1-line block ×4, first 2 shown]
	s_and_saveexec_b32 s4, vcc_lo
	s_cbranch_execz .LBB208_929
; %bb.1883:                             ;   in Loop: Header=BB208_931 Depth=1
	v_cmp_lt_i32_e32 vcc_lo, v103, v47
	v_cndmask_b32_e32 v6, 0, v6, vcc_lo
	v_cmp_lt_i32_e32 vcc_lo, v114, v47
	v_cndmask_b32_e32 v8, 0, v8, vcc_lo
	;; [unrolled: 2-line block ×4, first 2 shown]
	s_branch .LBB208_929
.LBB208_1884:
	s_or_b32 exec_lo, exec_lo, s6
	s_clause 0x17
	buffer_load_dword v55, off, s[0:3], s32 offset:584
	buffer_load_dword v25, off, s[0:3], s32 offset:592
	buffer_load_dword v37, off, s[0:3], s32 offset:344
	buffer_load_dword v38, off, s[0:3], s32 offset:352
	buffer_load_dword v39, off, s[0:3], s32 offset:360
	buffer_load_dword v48, off, s[0:3], s32 offset:368
	buffer_load_dword v49, off, s[0:3], s32 offset:376
	buffer_load_dword v50, off, s[0:3], s32 offset:384
	buffer_load_dword v51, off, s[0:3], s32 offset:392
	buffer_load_dword v52, off, s[0:3], s32 offset:400
	buffer_load_dword v53, off, s[0:3], s32 offset:408
	buffer_load_dword v34, off, s[0:3], s32 offset:416
	buffer_load_dword v35, off, s[0:3], s32 offset:424
	buffer_load_dword v36, off, s[0:3], s32 offset:432
	buffer_load_dword v54, off, s[0:3], s32 offset:440
	buffer_load_dword v64, off, s[0:3], s32 offset:448
	buffer_load_dword v27, off, s[0:3], s32 offset:456
	buffer_load_dword v28, off, s[0:3], s32 offset:464
	buffer_load_dword v13, off, s[0:3], s32 offset:472
	buffer_load_dword v14, off, s[0:3], s32 offset:480
	buffer_load_dword v15, off, s[0:3], s32 offset:488
	buffer_load_dword v21, off, s[0:3], s32 offset:496
	buffer_load_dword v22, off, s[0:3], s32 offset:504
	buffer_load_dword v29, off, s[0:3], s32 offset:512
.LBB208_1885:
	s_or_b32 exec_lo, exec_lo, s5
	s_waitcnt vmcnt(2)
	ds_bpermute_b32 v2, v25, v21
	ds_bpermute_b32 v3, v25, v5
	v_mov_b32_e32 v16, v5
	ds_bpermute_b32 v5, v25, v15
	ds_bpermute_b32 v4, v25, v17
	;; [unrolled: 1-line block ×5, first 2 shown]
	s_waitcnt vmcnt(1)
	ds_bpermute_b32 v0, v25, v22
	v_mov_b32_e32 v26, v20
	ds_bpermute_b32 v11, v25, v19
	ds_bpermute_b32 v12, v25, v18
	;; [unrolled: 1-line block ×4, first 2 shown]
	s_waitcnt vmcnt(0)
	ds_bpermute_b32 v1, v25, v29
	ds_bpermute_b32 v30, v25, v54
	;; [unrolled: 1-line block ×5, first 2 shown]
	s_waitcnt lgkmcnt(0)
	s_waitcnt_vscnt null, 0x0
	v_add_f32_e32 v2, v21, v2
	v_add_f32_e32 v3, v16, v3
	v_mov_b32_e32 v21, v18
	v_add_f32_e32 v5, v15, v5
	v_add_f32_e32 v4, v17, v4
	ds_bpermute_b32 v15, v24, v2
	v_add_f32_e32 v6, v14, v6
	v_add_f32_e32 v7, v13, v7
	;; [unrolled: 1-line block ×4, first 2 shown]
	ds_bpermute_b32 v16, v24, v3
	ds_bpermute_b32 v17, v24, v4
	;; [unrolled: 1-line block ×3, first 2 shown]
	v_mov_b32_e32 v22, v19
	ds_bpermute_b32 v19, v24, v6
	ds_bpermute_b32 v20, v24, v7
	;; [unrolled: 1-line block ×3, first 2 shown]
	v_add_f32_e32 v8, v28, v8
	v_add_f32_e32 v9, v27, v9
	;; [unrolled: 1-line block ×4, first 2 shown]
	ds_bpermute_b32 v27, v25, v64
	v_add_f32_e32 v1, v29, v1
	ds_bpermute_b32 v21, v24, v8
	ds_bpermute_b32 v22, v24, v9
	s_waitcnt lgkmcnt(9)
	v_add_f32_e32 v2, v2, v15
	ds_bpermute_b32 v28, v24, v11
	ds_bpermute_b32 v29, v24, v12
	;; [unrolled: 1-line block ×5, first 2 shown]
	s_waitcnt lgkmcnt(13)
	v_add_f32_e32 v3, v3, v16
	s_waitcnt lgkmcnt(12)
	v_add_f32_e32 v4, v4, v17
	;; [unrolled: 2-line block ×6, first 2 shown]
	ds_bpermute_b32 v16, v23, v3
	ds_bpermute_b32 v17, v23, v4
	;; [unrolled: 1-line block ×5, first 2 shown]
	s_barrier
	s_waitcnt lgkmcnt(11)
	v_add_f32_e32 v8, v8, v21
	s_waitcnt lgkmcnt(10)
	v_add_f32_e32 v9, v9, v22
	s_waitcnt lgkmcnt(0)
	buffer_gl0_inv
	v_add_f32_e32 v11, v11, v28
	v_add_f32_e32 v12, v12, v29
	ds_bpermute_b32 v29, v25, v53
	v_add_f32_e32 v0, v0, v13
	v_add_f32_e32 v2, v2, v15
	ds_bpermute_b32 v15, v23, v10
	v_add_f32_e32 v1, v1, v14
	s_load_dword s4, s[8:9], 0x0
	ds_bpermute_b32 v13, v23, v0
	s_mov_b32 s5, exec_lo
	v_add_f32_e32 v3, v3, v16
	v_add_f32_e32 v4, v4, v17
	;; [unrolled: 1-line block ×10, first 2 shown]
	ds_bpermute_b32 v34, v25, v39
	ds_bpermute_b32 v21, v24, v16
	;; [unrolled: 1-line block ×4, first 2 shown]
	s_waitcnt lgkmcnt(0)
	v_add_f32_e32 v10, v10, v15
	ds_bpermute_b32 v15, v25, v48
	ds_bpermute_b32 v27, v24, v19
	;; [unrolled: 1-line block ×11, first 2 shown]
	v_add_f32_e32 v0, v0, v13
	ds_bpermute_b32 v13, v23, v8
	v_add_f32_e32 v34, v39, v34
	v_add_f32_e32 v16, v16, v21
	;; [unrolled: 1-line block ×5, first 2 shown]
	s_waitcnt lgkmcnt(11)
	v_add_f32_e32 v15, v48, v15
	s_waitcnt lgkmcnt(10)
	v_add_f32_e32 v19, v19, v27
	;; [unrolled: 2-line block ×10, first 2 shown]
	ds_bpermute_b32 v37, v24, v15
	ds_bpermute_b32 v38, v24, v34
	;; [unrolled: 1-line block ×10, first 2 shown]
	s_waitcnt lgkmcnt(11)
	v_add_f32_e32 v1, v1, v14
	ds_bpermute_b32 v14, v23, v9
	s_waitcnt lgkmcnt(11)
	v_add_f32_e32 v8, v8, v13
	ds_bpermute_b32 v13, v23, v11
	ds_bpermute_b32 v49, v23, v16
	;; [unrolled: 1-line block ×6, first 2 shown]
	s_waitcnt lgkmcnt(16)
	v_add_f32_e32 v37, v15, v37
	s_waitcnt lgkmcnt(15)
	v_add_f32_e32 v34, v34, v38
	;; [unrolled: 2-line block ×8, first 2 shown]
	ds_bpermute_b32 v30, v23, v22
	s_waitcnt lgkmcnt(8)
	v_add_f32_e32 v38, v25, v24
	ds_bpermute_b32 v24, v23, v37
	ds_bpermute_b32 v25, v23, v34
	s_waitcnt lgkmcnt(9)
	v_add_f32_e32 v9, v9, v14
	ds_bpermute_b32 v14, v23, v12
	ds_bpermute_b32 v31, v23, v26
	v_add_f32_e32 v36, v36, v48
	ds_bpermute_b32 v29, v23, v21
	ds_bpermute_b32 v32, v23, v27
	;; [unrolled: 1-line block ×6, first 2 shown]
	s_waitcnt lgkmcnt(16)
	v_add_f32_e32 v11, v11, v13
	s_waitcnt lgkmcnt(15)
	v_add_f32_e32 v13, v16, v49
	;; [unrolled: 2-line block ×5, first 2 shown]
	buffer_load_dword v30, off, s[0:3], s32 offset:1192 ; 4-byte Folded Reload
	s_waitcnt lgkmcnt(9)
	v_add_f32_e32 v23, v37, v24
	s_waitcnt lgkmcnt(8)
	v_add_f32_e32 v24, v34, v25
	buffer_load_dword v25, off, s[0:3], s32 offset:696 ; 4-byte Folded Reload
	s_waitcnt lgkmcnt(7)
	v_add_f32_e32 v12, v12, v14
	v_add_f32_e32 v14, v17, v50
	;; [unrolled: 1-line block ×3, first 2 shown]
	s_waitcnt lgkmcnt(6)
	v_add_f32_e32 v20, v26, v31
	buffer_load_dword v26, off, s[0:3], s32 offset:700 ; 4-byte Folded Reload
	s_waitcnt lgkmcnt(3)
	v_add_f32_e32 v22, v28, v33
	v_add_f32_e32 v18, v21, v29
	;; [unrolled: 1-line block ×3, first 2 shown]
	s_waitcnt lgkmcnt(0)
	v_add_f32_e32 v27, v38, v54
	s_waitcnt vmcnt(2)
	v_mul_u32_u24_e32 v30, 0x1c0, v30
	s_waitcnt vmcnt(1)
	v_lshrrev_b32_e32 v28, 3, v25
	v_add_f32_e32 v25, v35, v39
	s_waitcnt vmcnt(0)
	v_and_b32_e32 v31, 0x3c7, v26
	v_add_f32_e32 v26, v36, v48
	v_lshl_add_u32 v29, v28, 2, s4
	v_cmpx_eq_u32_e32 64, v31
	s_cbranch_execz .LBB208_1887
; %bb.1886:
	v_add_nc_u32_e32 v31, v29, v30
	v_add_nc_u32_e32 v32, 0xfffffc80, v31
	v_add_nc_u32_e32 v33, 0xfffffc90, v31
	v_add_nc_u32_e32 v35, 0xfffffcb0, v31
	v_add_nc_u32_e32 v34, 0xfffffca0, v31
	v_add_nc_u32_e32 v36, 0xfffffcc0, v31
	v_add_nc_u32_e32 v37, 0xfffffcd0, v31
	v_add_nc_u32_e32 v38, 0xfffffce0, v31
	ds_write_b32 v32, v0
	ds_write_b32 v33, v1
	;; [unrolled: 1-line block ×3, first 2 shown]
	v_add_nc_u32_e32 v32, 0xfffffcf0, v31
	ds_write_b32 v35, v3
	ds_write_b32 v36, v4
	ds_write_b32 v37, v5
	ds_write_b32 v38, v6
	ds_write_b32 v32, v7
	v_add_nc_u32_e32 v32, 0xfffffd00, v31
	v_add_nc_u32_e32 v33, 0xfffffd10, v31
	v_add_nc_u32_e32 v34, 0xfffffd20, v31
	v_add_nc_u32_e32 v35, 0xfffffd30, v31
	v_add_nc_u32_e32 v36, 0xfffffd40, v31
	ds_write_b32 v32, v8
	ds_write_b32 v33, v9
	ds_write_b32 v34, v10
	ds_write_b32 v35, v11
	ds_write_b32 v36, v12
	v_add_nc_u32_e32 v32, 0xfffffd50, v31
	v_add_nc_u32_e32 v33, 0xfffffd60, v31
	v_add_nc_u32_e32 v34, 0xfffffd70, v31
	v_add_nc_u32_e32 v35, 0xfffffd80, v31
	;; [unrolled: 10-line block ×4, first 2 shown]
	v_add_nc_u32_e32 v31, 0xfffffe30, v31
	ds_write_b32 v32, v23
	ds_write_b32 v33, v24
	;; [unrolled: 1-line block ×5, first 2 shown]
.LBB208_1887:
	s_or_b32 exec_lo, exec_lo, s5
	v_lshlrev_b32_e32 v28, 2, v28
	s_mov_b32 s5, exec_lo
	v_cmp_eq_u32_e32 vcc_lo, 0, v55
	v_add3_u32 v28, s4, v30, v28
	buffer_load_dword v30, off, s[0:3], s32 offset:700 ; 4-byte Folded Reload
	s_waitcnt vmcnt(0) lgkmcnt(0)
	s_barrier
	buffer_gl0_inv
	v_cmpx_gt_u32_e32 64, v30
	s_cbranch_execz .LBB208_1918
; %bb.1888:
	s_and_saveexec_b32 s4, vcc_lo
	s_cbranch_execnz .LBB208_1954
; %bb.1889:
	s_or_b32 exec_lo, exec_lo, s4
	s_and_saveexec_b32 s4, vcc_lo
	s_cbranch_execnz .LBB208_1955
.LBB208_1890:
	s_or_b32 exec_lo, exec_lo, s4
	s_and_saveexec_b32 s4, vcc_lo
	s_cbranch_execnz .LBB208_1956
.LBB208_1891:
	s_or_b32 exec_lo, exec_lo, s4
	s_and_saveexec_b32 s4, vcc_lo
	s_cbranch_execnz .LBB208_1957
.LBB208_1892:
	s_or_b32 exec_lo, exec_lo, s4
	s_and_saveexec_b32 s4, vcc_lo
	s_cbranch_execnz .LBB208_1958
.LBB208_1893:
	s_or_b32 exec_lo, exec_lo, s4
	s_and_saveexec_b32 s4, vcc_lo
	s_cbranch_execnz .LBB208_1959
.LBB208_1894:
	s_or_b32 exec_lo, exec_lo, s4
	s_and_saveexec_b32 s4, vcc_lo
	s_cbranch_execnz .LBB208_1960
.LBB208_1895:
	s_or_b32 exec_lo, exec_lo, s4
	s_and_saveexec_b32 s4, vcc_lo
	s_cbranch_execnz .LBB208_1961
.LBB208_1896:
	s_or_b32 exec_lo, exec_lo, s4
	s_and_saveexec_b32 s4, vcc_lo
	s_cbranch_execnz .LBB208_1962
.LBB208_1897:
	s_or_b32 exec_lo, exec_lo, s4
	s_and_saveexec_b32 s4, vcc_lo
	s_cbranch_execnz .LBB208_1963
.LBB208_1898:
	s_or_b32 exec_lo, exec_lo, s4
	s_and_saveexec_b32 s4, vcc_lo
	s_cbranch_execnz .LBB208_1964
.LBB208_1899:
	s_or_b32 exec_lo, exec_lo, s4
	s_and_saveexec_b32 s4, vcc_lo
	s_cbranch_execnz .LBB208_1965
.LBB208_1900:
	s_or_b32 exec_lo, exec_lo, s4
	s_and_saveexec_b32 s4, vcc_lo
	s_cbranch_execnz .LBB208_1966
.LBB208_1901:
	s_or_b32 exec_lo, exec_lo, s4
	s_and_saveexec_b32 s4, vcc_lo
	s_cbranch_execnz .LBB208_1967
.LBB208_1902:
	s_or_b32 exec_lo, exec_lo, s4
	s_and_saveexec_b32 s4, vcc_lo
	s_cbranch_execnz .LBB208_1968
.LBB208_1903:
	s_or_b32 exec_lo, exec_lo, s4
	s_and_saveexec_b32 s4, vcc_lo
	s_cbranch_execnz .LBB208_1969
.LBB208_1904:
	s_or_b32 exec_lo, exec_lo, s4
	s_and_saveexec_b32 s4, vcc_lo
	s_cbranch_execnz .LBB208_1970
.LBB208_1905:
	s_or_b32 exec_lo, exec_lo, s4
	s_and_saveexec_b32 s4, vcc_lo
	s_cbranch_execnz .LBB208_1971
.LBB208_1906:
	s_or_b32 exec_lo, exec_lo, s4
	s_and_saveexec_b32 s4, vcc_lo
	s_cbranch_execnz .LBB208_1972
.LBB208_1907:
	s_or_b32 exec_lo, exec_lo, s4
	s_and_saveexec_b32 s4, vcc_lo
	s_cbranch_execnz .LBB208_1973
.LBB208_1908:
	s_or_b32 exec_lo, exec_lo, s4
	s_and_saveexec_b32 s4, vcc_lo
	s_cbranch_execnz .LBB208_1974
.LBB208_1909:
	s_or_b32 exec_lo, exec_lo, s4
	s_and_saveexec_b32 s4, vcc_lo
	s_cbranch_execnz .LBB208_1975
.LBB208_1910:
	s_or_b32 exec_lo, exec_lo, s4
	s_and_saveexec_b32 s4, vcc_lo
	s_cbranch_execnz .LBB208_1976
.LBB208_1911:
	s_or_b32 exec_lo, exec_lo, s4
	s_and_saveexec_b32 s4, vcc_lo
	s_cbranch_execnz .LBB208_1977
.LBB208_1912:
	s_or_b32 exec_lo, exec_lo, s4
	s_and_saveexec_b32 s4, vcc_lo
	s_cbranch_execnz .LBB208_1978
.LBB208_1913:
	s_or_b32 exec_lo, exec_lo, s4
	s_and_saveexec_b32 s4, vcc_lo
	s_cbranch_execnz .LBB208_1979
.LBB208_1914:
	s_or_b32 exec_lo, exec_lo, s4
	s_and_saveexec_b32 s4, vcc_lo
	s_cbranch_execnz .LBB208_1980
.LBB208_1915:
	s_or_b32 exec_lo, exec_lo, s4
	s_and_saveexec_b32 s4, vcc_lo
	s_cbranch_execz .LBB208_1917
.LBB208_1916:
	ds_read_b32 v30, v28 offset:432
	s_waitcnt lgkmcnt(0)
	v_add_f32_e32 v27, v30, v27
.LBB208_1917:
	s_or_b32 exec_lo, exec_lo, s4
.LBB208_1918:
	s_or_b32 exec_lo, exec_lo, s5
	buffer_load_dword v30, off, s[0:3], s32 offset:700 ; 4-byte Folded Reload
	s_mov_b32 s5, exec_lo
	s_waitcnt vmcnt(0)
	s_barrier
	buffer_gl0_inv
	v_and_b32_e32 v30, 0x3e7, v30
	v_cmpx_eq_u32_e32 32, v30
	s_cbranch_execz .LBB208_1920
; %bb.1919:
	ds_write2_b32 v29, v0, v1 offset1:4
	ds_write2_b32 v29, v2, v3 offset0:8 offset1:12
	ds_write2_b32 v29, v4, v5 offset0:16 offset1:20
	;; [unrolled: 1-line block ×13, first 2 shown]
.LBB208_1920:
	s_or_b32 exec_lo, exec_lo, s5
	buffer_load_dword v29, off, s[0:3], s32 offset:700 ; 4-byte Folded Reload
	s_mov_b32 s5, exec_lo
	s_waitcnt vmcnt(0) lgkmcnt(0)
	s_barrier
	buffer_gl0_inv
	v_cmpx_gt_u32_e32 32, v29
	s_cbranch_execz .LBB208_1951
; %bb.1921:
	s_and_saveexec_b32 s4, vcc_lo
	s_cbranch_execnz .LBB208_1981
; %bb.1922:
	s_or_b32 exec_lo, exec_lo, s4
	s_and_saveexec_b32 s4, vcc_lo
	s_cbranch_execnz .LBB208_1982
.LBB208_1923:
	s_or_b32 exec_lo, exec_lo, s4
	s_and_saveexec_b32 s4, vcc_lo
	s_cbranch_execnz .LBB208_1983
.LBB208_1924:
	s_or_b32 exec_lo, exec_lo, s4
	s_and_saveexec_b32 s4, vcc_lo
	s_cbranch_execnz .LBB208_1984
.LBB208_1925:
	s_or_b32 exec_lo, exec_lo, s4
	s_and_saveexec_b32 s4, vcc_lo
	s_cbranch_execnz .LBB208_1985
.LBB208_1926:
	s_or_b32 exec_lo, exec_lo, s4
	s_and_saveexec_b32 s4, vcc_lo
	s_cbranch_execnz .LBB208_1986
.LBB208_1927:
	s_or_b32 exec_lo, exec_lo, s4
	s_and_saveexec_b32 s4, vcc_lo
	s_cbranch_execnz .LBB208_1987
.LBB208_1928:
	s_or_b32 exec_lo, exec_lo, s4
	s_and_saveexec_b32 s4, vcc_lo
	s_cbranch_execnz .LBB208_1988
.LBB208_1929:
	s_or_b32 exec_lo, exec_lo, s4
	s_and_saveexec_b32 s4, vcc_lo
	s_cbranch_execnz .LBB208_1989
.LBB208_1930:
	s_or_b32 exec_lo, exec_lo, s4
	s_and_saveexec_b32 s4, vcc_lo
	s_cbranch_execnz .LBB208_1990
.LBB208_1931:
	s_or_b32 exec_lo, exec_lo, s4
	s_and_saveexec_b32 s4, vcc_lo
	s_cbranch_execnz .LBB208_1991
.LBB208_1932:
	s_or_b32 exec_lo, exec_lo, s4
	s_and_saveexec_b32 s4, vcc_lo
	s_cbranch_execnz .LBB208_1992
.LBB208_1933:
	s_or_b32 exec_lo, exec_lo, s4
	s_and_saveexec_b32 s4, vcc_lo
	s_cbranch_execnz .LBB208_1993
.LBB208_1934:
	s_or_b32 exec_lo, exec_lo, s4
	s_and_saveexec_b32 s4, vcc_lo
	s_cbranch_execnz .LBB208_1994
.LBB208_1935:
	s_or_b32 exec_lo, exec_lo, s4
	s_and_saveexec_b32 s4, vcc_lo
	s_cbranch_execnz .LBB208_1995
.LBB208_1936:
	s_or_b32 exec_lo, exec_lo, s4
	s_and_saveexec_b32 s4, vcc_lo
	s_cbranch_execnz .LBB208_1996
.LBB208_1937:
	s_or_b32 exec_lo, exec_lo, s4
	s_and_saveexec_b32 s4, vcc_lo
	s_cbranch_execnz .LBB208_1997
.LBB208_1938:
	s_or_b32 exec_lo, exec_lo, s4
	s_and_saveexec_b32 s4, vcc_lo
	s_cbranch_execnz .LBB208_1998
.LBB208_1939:
	s_or_b32 exec_lo, exec_lo, s4
	s_and_saveexec_b32 s4, vcc_lo
	s_cbranch_execnz .LBB208_1999
.LBB208_1940:
	s_or_b32 exec_lo, exec_lo, s4
	s_and_saveexec_b32 s4, vcc_lo
	s_cbranch_execnz .LBB208_2000
.LBB208_1941:
	s_or_b32 exec_lo, exec_lo, s4
	s_and_saveexec_b32 s4, vcc_lo
	s_cbranch_execnz .LBB208_2001
.LBB208_1942:
	s_or_b32 exec_lo, exec_lo, s4
	s_and_saveexec_b32 s4, vcc_lo
	s_cbranch_execnz .LBB208_2002
.LBB208_1943:
	s_or_b32 exec_lo, exec_lo, s4
	s_and_saveexec_b32 s4, vcc_lo
	s_cbranch_execnz .LBB208_2003
.LBB208_1944:
	s_or_b32 exec_lo, exec_lo, s4
	s_and_saveexec_b32 s4, vcc_lo
	s_cbranch_execnz .LBB208_2004
.LBB208_1945:
	s_or_b32 exec_lo, exec_lo, s4
	s_and_saveexec_b32 s4, vcc_lo
	s_cbranch_execnz .LBB208_2005
.LBB208_1946:
	s_or_b32 exec_lo, exec_lo, s4
	s_and_saveexec_b32 s4, vcc_lo
	s_cbranch_execnz .LBB208_2006
.LBB208_1947:
	s_or_b32 exec_lo, exec_lo, s4
	s_and_saveexec_b32 s4, vcc_lo
	s_cbranch_execnz .LBB208_2007
.LBB208_1948:
	s_or_b32 exec_lo, exec_lo, s4
	s_and_saveexec_b32 s4, vcc_lo
	s_cbranch_execz .LBB208_1950
.LBB208_1949:
	ds_read_b32 v28, v28 offset:432
	s_waitcnt lgkmcnt(0)
	v_add_f32_e32 v27, v28, v27
.LBB208_1950:
	s_or_b32 exec_lo, exec_lo, s4
.LBB208_1951:
	s_or_b32 exec_lo, exec_lo, s5
	s_mov_b32 s4, exec_lo
	s_barrier
	buffer_gl0_inv
	v_cmpx_eq_u32_e32 0, v30
	s_cbranch_execz .LBB208_1953
; %bb.1952:
	s_clause 0x2
	buffer_load_dword v29, off, s[0:3], s32 offset:1216
	buffer_load_dword v28, off, s[0:3], s32 offset:700
	;; [unrolled: 1-line block ×3, first 2 shown]
	s_and_b32 s5, 0xffff, s13
	s_mul_i32 s6, s14, 0x70
	s_cmp_lg_u32 s5, 0
	s_cselect_b32 s5, -1, 0
	s_cmp_lg_u32 s5, 0
	s_addc_u32 s5, s12, 0
	s_mul_i32 s7, s5, s10
	s_mul_i32 s10, s16, s5
	;; [unrolled: 1-line block ×3, first 2 shown]
	s_ashr_i32 s11, s10, 31
	s_mulk_i32 s8, 0x70
	s_ashr_i32 s7, s6, 31
	s_ashr_i32 s9, s8, 31
	s_lshl_b64 s[6:7], s[6:7], 2
	s_lshl_b64 s[8:9], s[8:9], 2
	s_waitcnt vmcnt(2)
	v_add_co_u32 v29, vcc_lo, v29, s8
	s_waitcnt vmcnt(0)
	v_add_co_ci_u32_e64 v30, null, s9, v30, vcc_lo
	s_lshl_b64 s[8:9], s[10:11], 2
	v_lshrrev_b32_e32 v28, 1, v28
	v_add_co_u32 v29, vcc_lo, v29, s8
	v_add_co_ci_u32_e64 v30, null, s9, v30, vcc_lo
	v_add_co_u32 v29, vcc_lo, v29, s6
	v_add_co_ci_u32_e64 v30, null, s7, v30, vcc_lo
	;; [unrolled: 2-line block ×3, first 2 shown]
	flat_store_dword v[28:29], v0
	flat_store_dword v[28:29], v1 offset:16
	flat_store_dword v[28:29], v2 offset:32
	;; [unrolled: 1-line block ×27, first 2 shown]
.LBB208_1953:
	s_or_b32 exec_lo, exec_lo, s4
	s_clause 0x2f
	buffer_load_dword v127, off, s[0:3], s32
	buffer_load_dword v126, off, s[0:3], s32 offset:4
	buffer_load_dword v125, off, s[0:3], s32 offset:8
	;; [unrolled: 1-line block ×47, first 2 shown]
	s_waitcnt vmcnt(0) lgkmcnt(0)
	s_setpc_b64 s[30:31]
.LBB208_1954:
	ds_read_b32 v30, v28
	s_waitcnt lgkmcnt(0)
	v_add_f32_e32 v0, v30, v0
	s_or_b32 exec_lo, exec_lo, s4
	s_and_saveexec_b32 s4, vcc_lo
	s_cbranch_execz .LBB208_1890
.LBB208_1955:
	ds_read_b32 v30, v28 offset:16
	s_waitcnt lgkmcnt(0)
	v_add_f32_e32 v1, v30, v1
	s_or_b32 exec_lo, exec_lo, s4
	s_and_saveexec_b32 s4, vcc_lo
	s_cbranch_execz .LBB208_1891
.LBB208_1956:
	ds_read_b32 v30, v28 offset:32
	s_waitcnt lgkmcnt(0)
	v_add_f32_e32 v2, v30, v2
	s_or_b32 exec_lo, exec_lo, s4
	s_and_saveexec_b32 s4, vcc_lo
	s_cbranch_execz .LBB208_1892
.LBB208_1957:
	ds_read_b32 v30, v28 offset:48
	s_waitcnt lgkmcnt(0)
	v_add_f32_e32 v3, v30, v3
	s_or_b32 exec_lo, exec_lo, s4
	s_and_saveexec_b32 s4, vcc_lo
	s_cbranch_execz .LBB208_1893
.LBB208_1958:
	ds_read_b32 v30, v28 offset:64
	s_waitcnt lgkmcnt(0)
	v_add_f32_e32 v4, v30, v4
	s_or_b32 exec_lo, exec_lo, s4
	s_and_saveexec_b32 s4, vcc_lo
	s_cbranch_execz .LBB208_1894
.LBB208_1959:
	ds_read_b32 v30, v28 offset:80
	s_waitcnt lgkmcnt(0)
	v_add_f32_e32 v5, v30, v5
	s_or_b32 exec_lo, exec_lo, s4
	s_and_saveexec_b32 s4, vcc_lo
	s_cbranch_execz .LBB208_1895
.LBB208_1960:
	ds_read_b32 v30, v28 offset:96
	s_waitcnt lgkmcnt(0)
	v_add_f32_e32 v6, v30, v6
	s_or_b32 exec_lo, exec_lo, s4
	s_and_saveexec_b32 s4, vcc_lo
	s_cbranch_execz .LBB208_1896
.LBB208_1961:
	ds_read_b32 v30, v28 offset:112
	s_waitcnt lgkmcnt(0)
	v_add_f32_e32 v7, v30, v7
	s_or_b32 exec_lo, exec_lo, s4
	s_and_saveexec_b32 s4, vcc_lo
	s_cbranch_execz .LBB208_1897
.LBB208_1962:
	ds_read_b32 v30, v28 offset:128
	s_waitcnt lgkmcnt(0)
	v_add_f32_e32 v8, v30, v8
	s_or_b32 exec_lo, exec_lo, s4
	s_and_saveexec_b32 s4, vcc_lo
	s_cbranch_execz .LBB208_1898
.LBB208_1963:
	ds_read_b32 v30, v28 offset:144
	s_waitcnt lgkmcnt(0)
	v_add_f32_e32 v9, v30, v9
	s_or_b32 exec_lo, exec_lo, s4
	s_and_saveexec_b32 s4, vcc_lo
	s_cbranch_execz .LBB208_1899
.LBB208_1964:
	ds_read_b32 v30, v28 offset:160
	s_waitcnt lgkmcnt(0)
	v_add_f32_e32 v10, v30, v10
	s_or_b32 exec_lo, exec_lo, s4
	s_and_saveexec_b32 s4, vcc_lo
	s_cbranch_execz .LBB208_1900
.LBB208_1965:
	ds_read_b32 v30, v28 offset:176
	s_waitcnt lgkmcnt(0)
	v_add_f32_e32 v11, v30, v11
	s_or_b32 exec_lo, exec_lo, s4
	s_and_saveexec_b32 s4, vcc_lo
	s_cbranch_execz .LBB208_1901
.LBB208_1966:
	ds_read_b32 v30, v28 offset:192
	s_waitcnt lgkmcnt(0)
	v_add_f32_e32 v12, v30, v12
	s_or_b32 exec_lo, exec_lo, s4
	s_and_saveexec_b32 s4, vcc_lo
	s_cbranch_execz .LBB208_1902
.LBB208_1967:
	ds_read_b32 v30, v28 offset:208
	s_waitcnt lgkmcnt(0)
	v_add_f32_e32 v13, v30, v13
	s_or_b32 exec_lo, exec_lo, s4
	s_and_saveexec_b32 s4, vcc_lo
	s_cbranch_execz .LBB208_1903
.LBB208_1968:
	ds_read_b32 v30, v28 offset:224
	s_waitcnt lgkmcnt(0)
	v_add_f32_e32 v14, v30, v14
	s_or_b32 exec_lo, exec_lo, s4
	s_and_saveexec_b32 s4, vcc_lo
	s_cbranch_execz .LBB208_1904
.LBB208_1969:
	ds_read_b32 v30, v28 offset:240
	s_waitcnt lgkmcnt(0)
	v_add_f32_e32 v15, v30, v15
	s_or_b32 exec_lo, exec_lo, s4
	s_and_saveexec_b32 s4, vcc_lo
	s_cbranch_execz .LBB208_1905
.LBB208_1970:
	ds_read_b32 v30, v28 offset:256
	s_waitcnt lgkmcnt(0)
	v_add_f32_e32 v16, v30, v16
	s_or_b32 exec_lo, exec_lo, s4
	s_and_saveexec_b32 s4, vcc_lo
	s_cbranch_execz .LBB208_1906
.LBB208_1971:
	ds_read_b32 v30, v28 offset:272
	s_waitcnt lgkmcnt(0)
	v_add_f32_e32 v17, v30, v17
	s_or_b32 exec_lo, exec_lo, s4
	s_and_saveexec_b32 s4, vcc_lo
	s_cbranch_execz .LBB208_1907
.LBB208_1972:
	ds_read_b32 v30, v28 offset:288
	s_waitcnt lgkmcnt(0)
	v_add_f32_e32 v18, v30, v18
	s_or_b32 exec_lo, exec_lo, s4
	s_and_saveexec_b32 s4, vcc_lo
	s_cbranch_execz .LBB208_1908
.LBB208_1973:
	ds_read_b32 v30, v28 offset:304
	s_waitcnt lgkmcnt(0)
	v_add_f32_e32 v19, v30, v19
	s_or_b32 exec_lo, exec_lo, s4
	s_and_saveexec_b32 s4, vcc_lo
	s_cbranch_execz .LBB208_1909
.LBB208_1974:
	ds_read_b32 v30, v28 offset:320
	s_waitcnt lgkmcnt(0)
	v_add_f32_e32 v20, v30, v20
	s_or_b32 exec_lo, exec_lo, s4
	s_and_saveexec_b32 s4, vcc_lo
	s_cbranch_execz .LBB208_1910
.LBB208_1975:
	ds_read_b32 v30, v28 offset:336
	s_waitcnt lgkmcnt(0)
	v_add_f32_e32 v21, v30, v21
	s_or_b32 exec_lo, exec_lo, s4
	s_and_saveexec_b32 s4, vcc_lo
	s_cbranch_execz .LBB208_1911
.LBB208_1976:
	ds_read_b32 v30, v28 offset:352
	s_waitcnt lgkmcnt(0)
	v_add_f32_e32 v22, v30, v22
	s_or_b32 exec_lo, exec_lo, s4
	s_and_saveexec_b32 s4, vcc_lo
	s_cbranch_execz .LBB208_1912
.LBB208_1977:
	ds_read_b32 v30, v28 offset:368
	s_waitcnt lgkmcnt(0)
	v_add_f32_e32 v23, v30, v23
	s_or_b32 exec_lo, exec_lo, s4
	s_and_saveexec_b32 s4, vcc_lo
	s_cbranch_execz .LBB208_1913
.LBB208_1978:
	ds_read_b32 v30, v28 offset:384
	s_waitcnt lgkmcnt(0)
	v_add_f32_e32 v24, v30, v24
	s_or_b32 exec_lo, exec_lo, s4
	s_and_saveexec_b32 s4, vcc_lo
	s_cbranch_execz .LBB208_1914
.LBB208_1979:
	ds_read_b32 v30, v28 offset:400
	s_waitcnt lgkmcnt(0)
	v_add_f32_e32 v25, v30, v25
	s_or_b32 exec_lo, exec_lo, s4
	s_and_saveexec_b32 s4, vcc_lo
	s_cbranch_execz .LBB208_1915
.LBB208_1980:
	ds_read_b32 v30, v28 offset:416
	s_waitcnt lgkmcnt(0)
	v_add_f32_e32 v26, v30, v26
	s_or_b32 exec_lo, exec_lo, s4
	s_and_saveexec_b32 s4, vcc_lo
	s_cbranch_execnz .LBB208_1916
	s_branch .LBB208_1917
.LBB208_1981:
	ds_read_b32 v29, v28
	s_waitcnt lgkmcnt(0)
	v_add_f32_e32 v0, v29, v0
	s_or_b32 exec_lo, exec_lo, s4
	s_and_saveexec_b32 s4, vcc_lo
	s_cbranch_execz .LBB208_1923
.LBB208_1982:
	ds_read_b32 v29, v28 offset:16
	s_waitcnt lgkmcnt(0)
	v_add_f32_e32 v1, v29, v1
	s_or_b32 exec_lo, exec_lo, s4
	s_and_saveexec_b32 s4, vcc_lo
	s_cbranch_execz .LBB208_1924
.LBB208_1983:
	ds_read_b32 v29, v28 offset:32
	s_waitcnt lgkmcnt(0)
	v_add_f32_e32 v2, v29, v2
	s_or_b32 exec_lo, exec_lo, s4
	s_and_saveexec_b32 s4, vcc_lo
	s_cbranch_execz .LBB208_1925
.LBB208_1984:
	ds_read_b32 v29, v28 offset:48
	s_waitcnt lgkmcnt(0)
	v_add_f32_e32 v3, v29, v3
	s_or_b32 exec_lo, exec_lo, s4
	s_and_saveexec_b32 s4, vcc_lo
	s_cbranch_execz .LBB208_1926
.LBB208_1985:
	ds_read_b32 v29, v28 offset:64
	s_waitcnt lgkmcnt(0)
	v_add_f32_e32 v4, v29, v4
	s_or_b32 exec_lo, exec_lo, s4
	s_and_saveexec_b32 s4, vcc_lo
	s_cbranch_execz .LBB208_1927
.LBB208_1986:
	ds_read_b32 v29, v28 offset:80
	s_waitcnt lgkmcnt(0)
	v_add_f32_e32 v5, v29, v5
	s_or_b32 exec_lo, exec_lo, s4
	s_and_saveexec_b32 s4, vcc_lo
	s_cbranch_execz .LBB208_1928
.LBB208_1987:
	ds_read_b32 v29, v28 offset:96
	s_waitcnt lgkmcnt(0)
	v_add_f32_e32 v6, v29, v6
	s_or_b32 exec_lo, exec_lo, s4
	s_and_saveexec_b32 s4, vcc_lo
	s_cbranch_execz .LBB208_1929
.LBB208_1988:
	ds_read_b32 v29, v28 offset:112
	s_waitcnt lgkmcnt(0)
	v_add_f32_e32 v7, v29, v7
	s_or_b32 exec_lo, exec_lo, s4
	s_and_saveexec_b32 s4, vcc_lo
	s_cbranch_execz .LBB208_1930
.LBB208_1989:
	ds_read_b32 v29, v28 offset:128
	s_waitcnt lgkmcnt(0)
	v_add_f32_e32 v8, v29, v8
	s_or_b32 exec_lo, exec_lo, s4
	s_and_saveexec_b32 s4, vcc_lo
	s_cbranch_execz .LBB208_1931
.LBB208_1990:
	ds_read_b32 v29, v28 offset:144
	s_waitcnt lgkmcnt(0)
	v_add_f32_e32 v9, v29, v9
	s_or_b32 exec_lo, exec_lo, s4
	s_and_saveexec_b32 s4, vcc_lo
	s_cbranch_execz .LBB208_1932
.LBB208_1991:
	ds_read_b32 v29, v28 offset:160
	s_waitcnt lgkmcnt(0)
	v_add_f32_e32 v10, v29, v10
	s_or_b32 exec_lo, exec_lo, s4
	s_and_saveexec_b32 s4, vcc_lo
	s_cbranch_execz .LBB208_1933
.LBB208_1992:
	ds_read_b32 v29, v28 offset:176
	s_waitcnt lgkmcnt(0)
	v_add_f32_e32 v11, v29, v11
	s_or_b32 exec_lo, exec_lo, s4
	s_and_saveexec_b32 s4, vcc_lo
	s_cbranch_execz .LBB208_1934
.LBB208_1993:
	ds_read_b32 v29, v28 offset:192
	s_waitcnt lgkmcnt(0)
	v_add_f32_e32 v12, v29, v12
	s_or_b32 exec_lo, exec_lo, s4
	s_and_saveexec_b32 s4, vcc_lo
	s_cbranch_execz .LBB208_1935
.LBB208_1994:
	ds_read_b32 v29, v28 offset:208
	s_waitcnt lgkmcnt(0)
	v_add_f32_e32 v13, v29, v13
	s_or_b32 exec_lo, exec_lo, s4
	s_and_saveexec_b32 s4, vcc_lo
	s_cbranch_execz .LBB208_1936
.LBB208_1995:
	ds_read_b32 v29, v28 offset:224
	s_waitcnt lgkmcnt(0)
	v_add_f32_e32 v14, v29, v14
	s_or_b32 exec_lo, exec_lo, s4
	s_and_saveexec_b32 s4, vcc_lo
	s_cbranch_execz .LBB208_1937
.LBB208_1996:
	ds_read_b32 v29, v28 offset:240
	s_waitcnt lgkmcnt(0)
	v_add_f32_e32 v15, v29, v15
	s_or_b32 exec_lo, exec_lo, s4
	s_and_saveexec_b32 s4, vcc_lo
	s_cbranch_execz .LBB208_1938
.LBB208_1997:
	ds_read_b32 v29, v28 offset:256
	s_waitcnt lgkmcnt(0)
	v_add_f32_e32 v16, v29, v16
	s_or_b32 exec_lo, exec_lo, s4
	s_and_saveexec_b32 s4, vcc_lo
	s_cbranch_execz .LBB208_1939
.LBB208_1998:
	ds_read_b32 v29, v28 offset:272
	s_waitcnt lgkmcnt(0)
	v_add_f32_e32 v17, v29, v17
	s_or_b32 exec_lo, exec_lo, s4
	s_and_saveexec_b32 s4, vcc_lo
	s_cbranch_execz .LBB208_1940
.LBB208_1999:
	ds_read_b32 v29, v28 offset:288
	s_waitcnt lgkmcnt(0)
	v_add_f32_e32 v18, v29, v18
	s_or_b32 exec_lo, exec_lo, s4
	s_and_saveexec_b32 s4, vcc_lo
	s_cbranch_execz .LBB208_1941
.LBB208_2000:
	ds_read_b32 v29, v28 offset:304
	s_waitcnt lgkmcnt(0)
	v_add_f32_e32 v19, v29, v19
	s_or_b32 exec_lo, exec_lo, s4
	s_and_saveexec_b32 s4, vcc_lo
	s_cbranch_execz .LBB208_1942
.LBB208_2001:
	ds_read_b32 v29, v28 offset:320
	s_waitcnt lgkmcnt(0)
	v_add_f32_e32 v20, v29, v20
	s_or_b32 exec_lo, exec_lo, s4
	s_and_saveexec_b32 s4, vcc_lo
	s_cbranch_execz .LBB208_1943
.LBB208_2002:
	ds_read_b32 v29, v28 offset:336
	s_waitcnt lgkmcnt(0)
	v_add_f32_e32 v21, v29, v21
	s_or_b32 exec_lo, exec_lo, s4
	s_and_saveexec_b32 s4, vcc_lo
	s_cbranch_execz .LBB208_1944
.LBB208_2003:
	ds_read_b32 v29, v28 offset:352
	s_waitcnt lgkmcnt(0)
	v_add_f32_e32 v22, v29, v22
	s_or_b32 exec_lo, exec_lo, s4
	s_and_saveexec_b32 s4, vcc_lo
	s_cbranch_execz .LBB208_1945
.LBB208_2004:
	ds_read_b32 v29, v28 offset:368
	s_waitcnt lgkmcnt(0)
	v_add_f32_e32 v23, v29, v23
	s_or_b32 exec_lo, exec_lo, s4
	s_and_saveexec_b32 s4, vcc_lo
	s_cbranch_execz .LBB208_1946
.LBB208_2005:
	ds_read_b32 v29, v28 offset:384
	s_waitcnt lgkmcnt(0)
	v_add_f32_e32 v24, v29, v24
	s_or_b32 exec_lo, exec_lo, s4
	s_and_saveexec_b32 s4, vcc_lo
	s_cbranch_execz .LBB208_1947
.LBB208_2006:
	ds_read_b32 v29, v28 offset:400
	s_waitcnt lgkmcnt(0)
	v_add_f32_e32 v25, v29, v25
	s_or_b32 exec_lo, exec_lo, s4
	s_and_saveexec_b32 s4, vcc_lo
	s_cbranch_execz .LBB208_1948
.LBB208_2007:
	ds_read_b32 v29, v28 offset:416
	s_waitcnt lgkmcnt(0)
	v_add_f32_e32 v26, v29, v26
	s_or_b32 exec_lo, exec_lo, s4
	s_and_saveexec_b32 s4, vcc_lo
	s_cbranch_execnz .LBB208_1949
	s_branch .LBB208_1950
.Lfunc_end208:
	.size	_ZN4vllm22paged_attention_kernelIfhLi112ELi32ELi128ELNS_18Fp8KVCacheDataTypeE1ELb1ELi0EEEvPfS2_PT_PKS3_PKT0_S9_ifPKiSB_iPKfiiiSD_SD_iiiii, .Lfunc_end208-_ZN4vllm22paged_attention_kernelIfhLi112ELi32ELi128ELNS_18Fp8KVCacheDataTypeE1ELb1ELi0EEEvPfS2_PT_PKS3_PKT0_S9_ifPKiSB_iPKfiiiSD_SD_iiiii
                                        ; -- End function
	.set .L_ZN4vllm22paged_attention_kernelIfhLi112ELi32ELi128ELNS_18Fp8KVCacheDataTypeE1ELb1ELi0EEEvPfS2_PT_PKS3_PKT0_S9_ifPKiSB_iPKfiiiSD_SD_iiiii.num_vgpr, 128
	.set .L_ZN4vllm22paged_attention_kernelIfhLi112ELi32ELi128ELNS_18Fp8KVCacheDataTypeE1ELb1ELi0EEEvPfS2_PT_PKS3_PKT0_S9_ifPKiSB_iPKfiiiSD_SD_iiiii.num_agpr, 0
	.set .L_ZN4vllm22paged_attention_kernelIfhLi112ELi32ELi128ELNS_18Fp8KVCacheDataTypeE1ELb1ELi0EEEvPfS2_PT_PKS3_PKT0_S9_ifPKiSB_iPKfiiiSD_SD_iiiii.numbered_sgpr, 33
	.set .L_ZN4vllm22paged_attention_kernelIfhLi112ELi32ELi128ELNS_18Fp8KVCacheDataTypeE1ELb1ELi0EEEvPfS2_PT_PKS3_PKT0_S9_ifPKiSB_iPKfiiiSD_SD_iiiii.num_named_barrier, 0
	.set .L_ZN4vllm22paged_attention_kernelIfhLi112ELi32ELi128ELNS_18Fp8KVCacheDataTypeE1ELb1ELi0EEEvPfS2_PT_PKS3_PKT0_S9_ifPKiSB_iPKfiiiSD_SD_iiiii.private_seg_size, 1260
	.set .L_ZN4vllm22paged_attention_kernelIfhLi112ELi32ELi128ELNS_18Fp8KVCacheDataTypeE1ELb1ELi0EEEvPfS2_PT_PKS3_PKT0_S9_ifPKiSB_iPKfiiiSD_SD_iiiii.uses_vcc, 1
	.set .L_ZN4vllm22paged_attention_kernelIfhLi112ELi32ELi128ELNS_18Fp8KVCacheDataTypeE1ELb1ELi0EEEvPfS2_PT_PKS3_PKT0_S9_ifPKiSB_iPKfiiiSD_SD_iiiii.uses_flat_scratch, 0
	.set .L_ZN4vllm22paged_attention_kernelIfhLi112ELi32ELi128ELNS_18Fp8KVCacheDataTypeE1ELb1ELi0EEEvPfS2_PT_PKS3_PKT0_S9_ifPKiSB_iPKfiiiSD_SD_iiiii.has_dyn_sized_stack, 0
	.set .L_ZN4vllm22paged_attention_kernelIfhLi112ELi32ELi128ELNS_18Fp8KVCacheDataTypeE1ELb1ELi0EEEvPfS2_PT_PKS3_PKT0_S9_ifPKiSB_iPKfiiiSD_SD_iiiii.has_recursion, 0
	.set .L_ZN4vllm22paged_attention_kernelIfhLi112ELi32ELi128ELNS_18Fp8KVCacheDataTypeE1ELb1ELi0EEEvPfS2_PT_PKS3_PKT0_S9_ifPKiSB_iPKfiiiSD_SD_iiiii.has_indirect_call, 0
	.section	.AMDGPU.csdata,"",@progbits
; Function info:
; codeLenInByte = 69684
; TotalNumSgprs: 35
; NumVgprs: 128
; ScratchSize: 1260
; MemoryBound: 0
	.section	.text._ZN4vllm25paged_attention_v1_kernelIfhLi112ELi32ELi128ELNS_18Fp8KVCacheDataTypeE1ELb1EEEvPT_PKS2_PKT0_S8_ifPKiSA_iPKfiiiSC_SC_iiiii,"axG",@progbits,_ZN4vllm25paged_attention_v1_kernelIfhLi112ELi32ELi128ELNS_18Fp8KVCacheDataTypeE1ELb1EEEvPT_PKS2_PKT0_S8_ifPKiSA_iPKfiiiSC_SC_iiiii,comdat
	.protected	_ZN4vllm25paged_attention_v1_kernelIfhLi112ELi32ELi128ELNS_18Fp8KVCacheDataTypeE1ELb1EEEvPT_PKS2_PKT0_S8_ifPKiSA_iPKfiiiSC_SC_iiiii ; -- Begin function _ZN4vllm25paged_attention_v1_kernelIfhLi112ELi32ELi128ELNS_18Fp8KVCacheDataTypeE1ELb1EEEvPT_PKS2_PKT0_S8_ifPKiSA_iPKfiiiSC_SC_iiiii
	.globl	_ZN4vllm25paged_attention_v1_kernelIfhLi112ELi32ELi128ELNS_18Fp8KVCacheDataTypeE1ELb1EEEvPT_PKS2_PKT0_S8_ifPKiSA_iPKfiiiSC_SC_iiiii
	.p2align	8
	.type	_ZN4vllm25paged_attention_v1_kernelIfhLi112ELi32ELi128ELNS_18Fp8KVCacheDataTypeE1ELb1EEEvPT_PKS2_PKT0_S8_ifPKiSA_iPKfiiiSC_SC_iiiii,@function
_ZN4vllm25paged_attention_v1_kernelIfhLi112ELi32ELi128ELNS_18Fp8KVCacheDataTypeE1ELb1EEEvPT_PKS2_PKT0_S8_ifPKiSA_iPKfiiiSC_SC_iiiii: ; @_ZN4vllm25paged_attention_v1_kernelIfhLi112ELi32ELi128ELNS_18Fp8KVCacheDataTypeE1ELb1EEEvPT_PKS2_PKT0_S8_ifPKiSA_iPKfiiiSC_SC_iiiii
; %bb.0:
	s_clause 0x7
	s_load_dwordx8 s[16:23], s[4:5], 0x0
	s_load_dwordx4 s[36:39], s[4:5], 0x20
	s_load_dwordx2 s[10:11], s[4:5], 0x30
	s_load_dword s13, s[4:5], 0x38
	s_load_dwordx2 s[34:35], s[4:5], 0x40
	s_load_dwordx8 s[24:31], s[4:5], 0x48
	s_load_dword s15, s[4:5], 0x78
	s_load_dwordx4 s[40:43], s[4:5], 0x68
	s_add_u32 s0, s0, s9
	s_addc_u32 s1, s1, 0
	v_mov_b32_e32 v31, v0
	s_mov_b32 s14, s8
	s_add_u32 s8, s4, 0x80
	s_addc_u32 s9, s5, 0
	s_getpc_b64 s[4:5]
	s_add_u32 s4, s4, _ZN4vllm22paged_attention_kernelIfhLi112ELi32ELi128ELNS_18Fp8KVCacheDataTypeE1ELb1ELi0EEEvPfS2_PT_PKS3_PKT0_S9_ifPKiSB_iPKfiiiSD_SD_iiiii@rel32@lo+4
	s_addc_u32 s5, s5, _ZN4vllm22paged_attention_kernelIfhLi112ELi32ELi128ELNS_18Fp8KVCacheDataTypeE1ELb1ELi0EEEvPfS2_PT_PKS3_PKT0_S9_ifPKiSB_iPKfiiiSD_SD_iiiii@rel32@hi+12
	s_mov_b32 s12, s6
	s_mov_b32 s32, 0
	s_waitcnt lgkmcnt(0)
	v_mov_b32_e32 v0, s16
	v_mov_b32_e32 v1, s17
	;; [unrolled: 1-line block ×29, first 2 shown]
	s_mov_b32 s13, s7
	s_mov_b32 s15, 17
	s_swappc_b64 s[30:31], s[4:5]
	s_endpgm
	.section	.rodata,"a",@progbits
	.p2align	6, 0x0
	.amdhsa_kernel _ZN4vllm25paged_attention_v1_kernelIfhLi112ELi32ELi128ELNS_18Fp8KVCacheDataTypeE1ELb1EEEvPT_PKS2_PKT0_S8_ifPKiSA_iPKfiiiSC_SC_iiiii
		.amdhsa_group_segment_fixed_size 480
		.amdhsa_private_segment_fixed_size 1260
		.amdhsa_kernarg_size 384
		.amdhsa_user_sgpr_count 6
		.amdhsa_user_sgpr_private_segment_buffer 1
		.amdhsa_user_sgpr_dispatch_ptr 0
		.amdhsa_user_sgpr_queue_ptr 0
		.amdhsa_user_sgpr_kernarg_segment_ptr 1
		.amdhsa_user_sgpr_dispatch_id 0
		.amdhsa_user_sgpr_flat_scratch_init 0
		.amdhsa_user_sgpr_private_segment_size 0
		.amdhsa_wavefront_size32 1
		.amdhsa_uses_dynamic_stack 0
		.amdhsa_system_sgpr_private_segment_wavefront_offset 1
		.amdhsa_system_sgpr_workgroup_id_x 1
		.amdhsa_system_sgpr_workgroup_id_y 1
		.amdhsa_system_sgpr_workgroup_id_z 1
		.amdhsa_system_sgpr_workgroup_info 0
		.amdhsa_system_vgpr_workitem_id 0
		.amdhsa_next_free_vgpr 128
		.amdhsa_next_free_sgpr 44
		.amdhsa_reserve_vcc 1
		.amdhsa_reserve_flat_scratch 0
		.amdhsa_float_round_mode_32 0
		.amdhsa_float_round_mode_16_64 0
		.amdhsa_float_denorm_mode_32 3
		.amdhsa_float_denorm_mode_16_64 3
		.amdhsa_dx10_clamp 1
		.amdhsa_ieee_mode 1
		.amdhsa_fp16_overflow 0
		.amdhsa_workgroup_processor_mode 1
		.amdhsa_memory_ordered 1
		.amdhsa_forward_progress 1
		.amdhsa_shared_vgpr_count 0
		.amdhsa_exception_fp_ieee_invalid_op 0
		.amdhsa_exception_fp_denorm_src 0
		.amdhsa_exception_fp_ieee_div_zero 0
		.amdhsa_exception_fp_ieee_overflow 0
		.amdhsa_exception_fp_ieee_underflow 0
		.amdhsa_exception_fp_ieee_inexact 0
		.amdhsa_exception_int_div_zero 0
	.end_amdhsa_kernel
	.section	.text._ZN4vllm25paged_attention_v1_kernelIfhLi112ELi32ELi128ELNS_18Fp8KVCacheDataTypeE1ELb1EEEvPT_PKS2_PKT0_S8_ifPKiSA_iPKfiiiSC_SC_iiiii,"axG",@progbits,_ZN4vllm25paged_attention_v1_kernelIfhLi112ELi32ELi128ELNS_18Fp8KVCacheDataTypeE1ELb1EEEvPT_PKS2_PKT0_S8_ifPKiSA_iPKfiiiSC_SC_iiiii,comdat
.Lfunc_end209:
	.size	_ZN4vllm25paged_attention_v1_kernelIfhLi112ELi32ELi128ELNS_18Fp8KVCacheDataTypeE1ELb1EEEvPT_PKS2_PKT0_S8_ifPKiSA_iPKfiiiSC_SC_iiiii, .Lfunc_end209-_ZN4vllm25paged_attention_v1_kernelIfhLi112ELi32ELi128ELNS_18Fp8KVCacheDataTypeE1ELb1EEEvPT_PKS2_PKT0_S8_ifPKiSA_iPKfiiiSC_SC_iiiii
                                        ; -- End function
	.set _ZN4vllm25paged_attention_v1_kernelIfhLi112ELi32ELi128ELNS_18Fp8KVCacheDataTypeE1ELb1EEEvPT_PKS2_PKT0_S8_ifPKiSA_iPKfiiiSC_SC_iiiii.num_vgpr, max(32, .L_ZN4vllm22paged_attention_kernelIfhLi112ELi32ELi128ELNS_18Fp8KVCacheDataTypeE1ELb1ELi0EEEvPfS2_PT_PKS3_PKT0_S9_ifPKiSB_iPKfiiiSD_SD_iiiii.num_vgpr)
	.set _ZN4vllm25paged_attention_v1_kernelIfhLi112ELi32ELi128ELNS_18Fp8KVCacheDataTypeE1ELb1EEEvPT_PKS2_PKT0_S8_ifPKiSA_iPKfiiiSC_SC_iiiii.num_agpr, max(0, .L_ZN4vllm22paged_attention_kernelIfhLi112ELi32ELi128ELNS_18Fp8KVCacheDataTypeE1ELb1ELi0EEEvPfS2_PT_PKS3_PKT0_S9_ifPKiSB_iPKfiiiSD_SD_iiiii.num_agpr)
	.set _ZN4vllm25paged_attention_v1_kernelIfhLi112ELi32ELi128ELNS_18Fp8KVCacheDataTypeE1ELb1EEEvPT_PKS2_PKT0_S8_ifPKiSA_iPKfiiiSC_SC_iiiii.numbered_sgpr, max(44, .L_ZN4vllm22paged_attention_kernelIfhLi112ELi32ELi128ELNS_18Fp8KVCacheDataTypeE1ELb1ELi0EEEvPfS2_PT_PKS3_PKT0_S9_ifPKiSB_iPKfiiiSD_SD_iiiii.numbered_sgpr)
	.set _ZN4vllm25paged_attention_v1_kernelIfhLi112ELi32ELi128ELNS_18Fp8KVCacheDataTypeE1ELb1EEEvPT_PKS2_PKT0_S8_ifPKiSA_iPKfiiiSC_SC_iiiii.num_named_barrier, max(0, .L_ZN4vllm22paged_attention_kernelIfhLi112ELi32ELi128ELNS_18Fp8KVCacheDataTypeE1ELb1ELi0EEEvPfS2_PT_PKS3_PKT0_S9_ifPKiSB_iPKfiiiSD_SD_iiiii.num_named_barrier)
	.set _ZN4vllm25paged_attention_v1_kernelIfhLi112ELi32ELi128ELNS_18Fp8KVCacheDataTypeE1ELb1EEEvPT_PKS2_PKT0_S8_ifPKiSA_iPKfiiiSC_SC_iiiii.private_seg_size, 0+max(.L_ZN4vllm22paged_attention_kernelIfhLi112ELi32ELi128ELNS_18Fp8KVCacheDataTypeE1ELb1ELi0EEEvPfS2_PT_PKS3_PKT0_S9_ifPKiSB_iPKfiiiSD_SD_iiiii.private_seg_size)
	.set _ZN4vllm25paged_attention_v1_kernelIfhLi112ELi32ELi128ELNS_18Fp8KVCacheDataTypeE1ELb1EEEvPT_PKS2_PKT0_S8_ifPKiSA_iPKfiiiSC_SC_iiiii.uses_vcc, or(1, .L_ZN4vllm22paged_attention_kernelIfhLi112ELi32ELi128ELNS_18Fp8KVCacheDataTypeE1ELb1ELi0EEEvPfS2_PT_PKS3_PKT0_S9_ifPKiSB_iPKfiiiSD_SD_iiiii.uses_vcc)
	.set _ZN4vllm25paged_attention_v1_kernelIfhLi112ELi32ELi128ELNS_18Fp8KVCacheDataTypeE1ELb1EEEvPT_PKS2_PKT0_S8_ifPKiSA_iPKfiiiSC_SC_iiiii.uses_flat_scratch, or(0, .L_ZN4vllm22paged_attention_kernelIfhLi112ELi32ELi128ELNS_18Fp8KVCacheDataTypeE1ELb1ELi0EEEvPfS2_PT_PKS3_PKT0_S9_ifPKiSB_iPKfiiiSD_SD_iiiii.uses_flat_scratch)
	.set _ZN4vllm25paged_attention_v1_kernelIfhLi112ELi32ELi128ELNS_18Fp8KVCacheDataTypeE1ELb1EEEvPT_PKS2_PKT0_S8_ifPKiSA_iPKfiiiSC_SC_iiiii.has_dyn_sized_stack, or(0, .L_ZN4vllm22paged_attention_kernelIfhLi112ELi32ELi128ELNS_18Fp8KVCacheDataTypeE1ELb1ELi0EEEvPfS2_PT_PKS3_PKT0_S9_ifPKiSB_iPKfiiiSD_SD_iiiii.has_dyn_sized_stack)
	.set _ZN4vllm25paged_attention_v1_kernelIfhLi112ELi32ELi128ELNS_18Fp8KVCacheDataTypeE1ELb1EEEvPT_PKS2_PKT0_S8_ifPKiSA_iPKfiiiSC_SC_iiiii.has_recursion, or(0, .L_ZN4vllm22paged_attention_kernelIfhLi112ELi32ELi128ELNS_18Fp8KVCacheDataTypeE1ELb1ELi0EEEvPfS2_PT_PKS3_PKT0_S9_ifPKiSB_iPKfiiiSD_SD_iiiii.has_recursion)
	.set _ZN4vllm25paged_attention_v1_kernelIfhLi112ELi32ELi128ELNS_18Fp8KVCacheDataTypeE1ELb1EEEvPT_PKS2_PKT0_S8_ifPKiSA_iPKfiiiSC_SC_iiiii.has_indirect_call, or(0, .L_ZN4vllm22paged_attention_kernelIfhLi112ELi32ELi128ELNS_18Fp8KVCacheDataTypeE1ELb1ELi0EEEvPfS2_PT_PKS3_PKT0_S9_ifPKiSB_iPKfiiiSD_SD_iiiii.has_indirect_call)
	.section	.AMDGPU.csdata,"",@progbits
; Kernel info:
; codeLenInByte = 260
; TotalNumSgprs: 46
; NumVgprs: 128
; ScratchSize: 1260
; MemoryBound: 0
; FloatMode: 240
; IeeeMode: 1
; LDSByteSize: 480 bytes/workgroup (compile time only)
; SGPRBlocks: 0
; VGPRBlocks: 15
; NumSGPRsForWavesPerEU: 46
; NumVGPRsForWavesPerEU: 128
; Occupancy: 8
; WaveLimiterHint : 1
; COMPUTE_PGM_RSRC2:SCRATCH_EN: 1
; COMPUTE_PGM_RSRC2:USER_SGPR: 6
; COMPUTE_PGM_RSRC2:TRAP_HANDLER: 0
; COMPUTE_PGM_RSRC2:TGID_X_EN: 1
; COMPUTE_PGM_RSRC2:TGID_Y_EN: 1
; COMPUTE_PGM_RSRC2:TGID_Z_EN: 1
; COMPUTE_PGM_RSRC2:TIDIG_COMP_CNT: 0
	.text
	.p2align	2                               ; -- Begin function _ZN4vllm22paged_attention_kernelIfhLi120ELi32ELi128ELNS_18Fp8KVCacheDataTypeE1ELb1ELi0EEEvPfS2_PT_PKS3_PKT0_S9_ifPKiSB_iPKfiiiSD_SD_iiiii
	.type	_ZN4vllm22paged_attention_kernelIfhLi120ELi32ELi128ELNS_18Fp8KVCacheDataTypeE1ELb1ELi0EEEvPfS2_PT_PKS3_PKT0_S9_ifPKiSB_iPKfiiiSD_SD_iiiii,@function
_ZN4vllm22paged_attention_kernelIfhLi120ELi32ELi128ELNS_18Fp8KVCacheDataTypeE1ELb1ELi0EEEvPfS2_PT_PKS3_PKT0_S9_ifPKiSB_iPKfiiiSD_SD_iiiii: ; @_ZN4vllm22paged_attention_kernelIfhLi120ELi32ELi128ELNS_18Fp8KVCacheDataTypeE1ELb1ELi0EEEvPfS2_PT_PKS3_PKT0_S9_ifPKiSB_iPKfiiiSD_SD_iiiii
; %bb.0:
	s_waitcnt vmcnt(0) expcnt(0) lgkmcnt(0)
	buffer_store_dword v40, off, s[0:3], s32 offset:188 ; 4-byte Folded Spill
	buffer_store_dword v41, off, s[0:3], s32 offset:184 ; 4-byte Folded Spill
	;; [unrolled: 1-line block ×47, first 2 shown]
	buffer_store_dword v127, off, s[0:3], s32 ; 4-byte Folded Spill
	s_mov_b32 s10, s13
	s_ashr_i32 s11, s13, 31
	buffer_store_dword v22, off, s[0:3], s32 offset:812 ; 4-byte Folded Spill
	buffer_store_dword v23, off, s[0:3], s32 offset:816 ; 4-byte Folded Spill
	;; [unrolled: 1-line block ×8, first 2 shown]
	s_lshl_b64 s[6:7], s[10:11], 2
	buffer_store_dword v1, off, s[0:3], s32 offset:1344 ; 4-byte Folded Spill
	buffer_store_dword v0, off, s[0:3], s32 offset:1348 ; 4-byte Folded Spill
	v_add_co_u32 v0, vcc_lo, v12, s6
	v_add_co_ci_u32_e64 v1, null, s7, v13, vcc_lo
	s_clause 0x1
	s_load_dword s5, s[8:9], 0x10
	s_load_dword s6, s[8:9], 0x0
	v_mov_b32_e32 v34, v6
	flat_load_dword v0, v[0:1]
	v_mov_b32_e32 v33, v7
	s_mov_b32 s4, s15
	s_waitcnt lgkmcnt(0)
	s_lshr_b32 s5, s5, 16
	s_cmp_lg_u32 s5, 0
	s_cselect_b32 s5, -1, 0
	s_cmp_lg_u32 s5, 0
	s_addc_u32 s11, s6, 0
	s_mov_b32 s6, exec_lo
	s_abs_i32 s5, s11
	s_waitcnt vmcnt(0)
	buffer_store_dword v0, off, s[0:3], s32 offset:192 ; 4-byte Folded Spill
	v_sub_nc_u32_e32 v0, 0, v8
	v_max_i32_e32 v0, v8, v0
	v_cvt_f32_u32_e32 v1, v0
	v_sub_nc_u32_e32 v6, 0, v0
	v_rcp_iflag_f32_e32 v1, v1
	v_mul_f32_e32 v1, 0x4f7ffffe, v1
	v_cvt_u32_f32_e32 v1, v1
	v_mul_lo_u32 v6, v6, v1
	v_mul_hi_u32 v6, v1, v6
	v_add_nc_u32_e32 v1, v1, v6
	v_mul_hi_u32 v1, s5, v1
	v_mul_lo_u32 v6, v1, v0
	v_add_nc_u32_e32 v7, 1, v1
	v_sub_nc_u32_e32 v6, s5, v6
	s_abs_i32 s5, s12
	v_sub_nc_u32_e32 v9, v6, v0
	v_cmp_ge_u32_e32 vcc_lo, v6, v0
	v_cndmask_b32_e32 v1, v1, v7, vcc_lo
	v_cndmask_b32_e32 v6, v6, v9, vcc_lo
	v_xor_b32_e32 v7, s11, v8
	v_add_nc_u32_e32 v9, 1, v1
	v_cmp_ge_u32_e32 vcc_lo, v6, v0
	v_ashrrev_i32_e32 v7, 31, v7
	v_cndmask_b32_e32 v0, v1, v9, vcc_lo
	v_xor_b32_e32 v0, v0, v7
	v_sub_nc_u32_e32 v7, v0, v7
	v_sub_nc_u32_e32 v0, 0, v7
	v_max_i32_e32 v6, v7, v0
	v_cvt_f32_u32_e32 v0, v6
	v_sub_nc_u32_e32 v1, 0, v6
	v_rcp_iflag_f32_e32 v0, v0
	v_mul_f32_e32 v0, 0x4f7ffffe, v0
	v_cvt_u32_f32_e32 v0, v0
	v_mul_lo_u32 v1, v1, v0
	v_mul_hi_u32 v1, v0, v1
	v_add_nc_u32_e32 v0, v0, v1
	v_mad_u64_u32 v[0:1], null, s5, v0, 0
	v_mov_b32_e32 v0, 0
	buffer_store_dword v0, off, s[0:3], s32 offset:808 ; 4-byte Folded Spill
	v_cmpx_ne_u64_e32 0, v[15:16]
	s_cbranch_execz .LBB210_2
; %bb.1:
	s_ashr_i32 s13, s12, 31
	s_lshl_b64 s[16:17], s[12:13], 2
	v_add_co_u32 v9, vcc_lo, v15, s16
	v_add_co_ci_u32_e64 v10, null, s17, v16, vcc_lo
	flat_load_dword v0, v[9:10]
	s_waitcnt vmcnt(0) lgkmcnt(0)
	buffer_store_dword v0, off, s[0:3], s32 offset:808 ; 4-byte Folded Spill
.LBB210_2:
	s_or_b32 exec_lo, exec_lo, s6
	v_and_b32_e32 v9, 0x3ff, v31
	v_ashrrev_i32_e32 v0, 31, v7
	s_ashr_i32 s6, s12, 31
	s_mul_i32 s16, s12, 0x78
	s_mov_b32 s7, exec_lo
	buffer_store_dword v9, off, s[0:3], s32 offset:804 ; 4-byte Folded Spill
	v_cmpx_gt_u32_e32 30, v9
	s_cbranch_execz .LBB210_4
; %bb.3:
	buffer_load_dword v7, off, s[0:3], s32 offset:804 ; 4-byte Folded Reload
	v_mul_lo_u32 v9, v17, s10
	s_ashr_i32 s17, s16, 31
	s_lshl_b64 s[18:19], s[16:17], 2
	v_ashrrev_i32_e32 v10, 31, v9
	v_lshlrev_b64 v[9:10], 2, v[9:10]
	v_add_co_u32 v2, vcc_lo, v2, v9
	v_add_co_ci_u32_e64 v3, null, v3, v10, vcc_lo
	v_add_co_u32 v2, vcc_lo, v2, s18
	v_add_co_ci_u32_e64 v3, null, s19, v3, vcc_lo
	s_waitcnt vmcnt(0)
	v_lshlrev_b32_e32 v7, 4, v7
	v_add_co_u32 v2, vcc_lo, v2, v7
	v_add_co_ci_u32_e64 v3, null, 0, v3, vcc_lo
	flat_load_dwordx4 v[9:12], v[2:3]
	s_waitcnt vmcnt(0) lgkmcnt(0)
	ds_write_b128 v7, v[9:12]
.LBB210_4:
	s_or_b32 exec_lo, exec_lo, s7
	v_mul_lo_u32 v3, v1, v6
	v_sub_nc_u32_e32 v2, 0, v27
	v_xor_b32_e32 v12, s6, v0
	v_max_i32_e32 v10, v27, v2
	v_sub_nc_u32_e32 v7, s5, v3
	v_add_nc_u32_e32 v3, 1, v1
	s_mov_b32 s5, exec_lo
	v_cvt_f32_u32_e32 v2, v10
	buffer_store_dword v10, off, s[0:3], s32 offset:208 ; 4-byte Folded Spill
	v_cmp_ge_u32_e32 vcc_lo, v7, v6
	v_rcp_iflag_f32_e32 v2, v2
	v_cndmask_b32_e32 v1, v1, v3, vcc_lo
	buffer_load_dword v3, off, s[0:3], s32 offset:192 ; 4-byte Folded Reload
	v_mul_f32_e32 v2, 0x4f7ffffe, v2
	v_cvt_u32_f32_e32 v9, v2
	v_sub_nc_u32_e32 v2, 0, v10
	v_sub_nc_u32_e32 v10, v7, v6
	v_mul_lo_u32 v2, v2, v9
	v_cndmask_b32_e32 v7, v7, v10, vcc_lo
	v_add_nc_u32_e32 v10, 1, v1
	v_cmp_ge_u32_e32 vcc_lo, v7, v6
	v_mul_hi_u32 v11, v9, v2
	v_cndmask_b32_e32 v0, v1, v10, vcc_lo
	v_xor_b32_e32 v6, v0, v12
	v_add_nc_u32_e32 v1, v9, v11
	buffer_store_dword v1, off, s[0:3], s32 offset:224 ; 4-byte Folded Spill
	s_waitcnt vmcnt(0) lgkmcnt(0)
	s_waitcnt_vscnt null, 0x0
	s_barrier
	buffer_gl0_inv
	v_add_nc_u32_e32 v3, -1, v3
	v_sub_nc_u32_e32 v2, 0, v3
	v_max_i32_e32 v2, v3, v2
	v_mad_u64_u32 v[0:1], null, v2, v1, 0
	v_sub_nc_u32_e32 v0, v6, v12
                                        ; implicit-def: $vgpr6
	buffer_store_dword v6, off, s[0:3], s32 offset:212 ; 4-byte Folded Spill
	buffer_store_dword v7, off, s[0:3], s32 offset:216 ; 4-byte Folded Spill
	v_cmpx_gt_i32_e32 0, v28
	s_xor_b32 s5, exec_lo, s5
	s_cbranch_execz .LBB210_6
; %bb.5:
	v_mad_u64_u32 v[6:7], null, v24, v8, v[0:1]
                                        ; implicit-def: $vgpr24
	v_mul_lo_u32 v6, v6, v28
                                        ; implicit-def: $vgpr28
	v_sub_nc_u32_e32 v6, 1, v6
	buffer_store_dword v6, off, s[0:3], s32 offset:212 ; 4-byte Folded Spill
	buffer_store_dword v7, off, s[0:3], s32 offset:216 ; 4-byte Folded Spill
.LBB210_6:
	s_or_saveexec_b32 s5, s5
	v_ashrrev_i32_e32 v3, 31, v3
	v_ashrrev_i32_e32 v6, 31, v27
	buffer_store_dword v6, off, s[0:3], s32 offset:220 ; 4-byte Folded Spill
	s_xor_b32 exec_lo, exec_lo, s5
	s_cbranch_execz .LBB210_8
; %bb.7:
	v_mad_u64_u32 v[6:7], null, s11, v24, s[12:13]
	v_mad_u64_u32 v[6:7], null, v6, v28, 1
	buffer_store_dword v6, off, s[0:3], s32 offset:212 ; 4-byte Folded Spill
	buffer_store_dword v7, off, s[0:3], s32 offset:216 ; 4-byte Folded Spill
.LBB210_8:
	s_or_b32 exec_lo, exec_lo, s5
	buffer_load_dword v13, off, s[0:3], s32 offset:208 ; 4-byte Folded Reload
	s_clause 0x1
	s_load_dword s7, s[8:9], 0x14
	s_load_dword s12, s[8:9], 0x8
	buffer_load_dword v8, off, s[0:3], s32 offset:220 ; 4-byte Folded Reload
	v_add_nc_u32_e32 v7, 1, v1
	s_ashr_i32 s5, s4, 31
	s_getpc_b64 s[8:9]
	s_add_u32 s8, s8, llvm.amdgcn.dynlds.offset.table@rel32@lo+4
	s_addc_u32 s9, s9, llvm.amdgcn.dynlds.offset.table@rel32@hi+12
	v_mov_b32_e32 v17, 0xff7fffff
	v_sub_nc_u32_e32 v15, 0, v26
	s_lshl_b64 s[18:19], s[4:5], 2
	buffer_load_dword v10, off, s[0:3], s32 offset:804 ; 4-byte Folded Reload
	s_add_u32 s8, s8, s18
	s_addc_u32 s9, s9, s19
	s_waitcnt vmcnt(2)
	v_mul_lo_u32 v6, v1, v13
	s_waitcnt vmcnt(1)
	v_xor_b32_e32 v8, v3, v8
	buffer_load_dword v3, off, s[0:3], s32 offset:192 ; 4-byte Folded Reload
	v_sub_nc_u32_e32 v6, v2, v6
	v_mul_lo_u32 v2, v14, s10
	s_waitcnt vmcnt(1)
	v_lshrrev_b32_e32 v11, 5, v10
	v_and_b32_e32 v12, 31, v10
	v_sub_nc_u32_e32 v9, v6, v13
	v_cmp_ge_u32_e32 vcc_lo, v6, v13
	buffer_store_dword v12, off, s[0:3], s32 offset:800 ; 4-byte Folded Spill
	v_lshlrev_b32_e32 v16, 2, v12
	v_cndmask_b32_e32 v1, v1, v7, vcc_lo
	v_cndmask_b32_e32 v6, v6, v9, vcc_lo
	v_add_nc_u32_e32 v9, 1, v1
	v_cmp_ge_u32_e32 vcc_lo, v6, v13
	v_mul_lo_u32 v13, v0, v19
	v_cndmask_b32_e32 v1, v1, v9, vcc_lo
	v_lshrrev_b32_e32 v9, 3, v10
	v_ashrrev_i32_e32 v12, 31, v13
	v_xor_b32_e32 v1, v1, v8
	s_waitcnt vmcnt(0)
	v_add_nc_u32_e32 v3, 31, v3
	v_ashrrev_i32_e32 v7, 31, v3
	v_lshrrev_b32_e32 v7, 27, v7
	v_add_nc_u32_e32 v0, v3, v7
	v_lshlrev_b32_e32 v3, 5, v11
	v_ashrrev_i32_e32 v6, 5, v0
	buffer_store_dword v3, off, s[0:3], s32 offset:1352 ; 4-byte Folded Spill
	v_ashrrev_i32_e32 v3, 31, v2
	v_sub_nc_u32_e32 v0, v1, v8
	v_cmp_lt_i32_e64 s4, v11, v6
	v_lshlrev_b64 v[1:2], 2, v[2:3]
	v_sub_nc_u32_e32 v0, v0, v25
	buffer_store_dword v1, off, s[0:3], s32 offset:1336 ; 4-byte Folded Spill
	buffer_store_dword v2, off, s[0:3], s32 offset:1340 ; 4-byte Folded Spill
	;; [unrolled: 1-line block ×5, first 2 shown]
	s_and_saveexec_b32 s13, s4
	s_cbranch_execz .LBB210_976
; %bb.9:
	v_add_co_u32 v1, vcc_lo, v4, v13
	buffer_store_dword v34, off, s[0:3], s32 offset:1364 ; 4-byte Folded Spill
	buffer_store_dword v33, off, s[0:3], s32 offset:1360 ; 4-byte Folded Spill
	;; [unrolled: 1-line block ×4, first 2 shown]
	v_add_co_ci_u32_e64 v2, null, v5, v12, vcc_lo
	s_clause 0x2
	buffer_load_dword v4, off, s[0:3], s32 offset:800
	buffer_load_dword v5, off, s[0:3], s32 offset:808
	;; [unrolled: 1-line block ×3, first 2 shown]
	v_max_i32_e32 v6, v26, v15
	v_mov_b32_e32 v29, 0
	s_load_dword s15, s[8:9], 0x0
	buffer_store_dword v13, off, s[0:3], s32 offset:1372 ; 4-byte Folded Spill
	buffer_store_dword v12, off, s[0:3], s32 offset:1380 ; 4-byte Folded Spill
	;; [unrolled: 1-line block ×5, first 2 shown]
	v_cvt_f32_u32_e32 v0, v6
	v_sub_nc_u32_e32 v6, 0, v6
	v_bfrev_b32_e32 v19, 1
	v_mov_b32_e32 v43, 0x7f800001
	v_mov_b32_e32 v17, 0xff7fffff
	v_rcp_iflag_f32_e32 v0, v0
	s_mov_b32 s17, 0
	v_mul_f32_e32 v0, 0x4f7ffffe, v0
	v_cvt_u32_f32_e32 v0, v0
	v_mul_lo_u32 v6, v6, v0
	s_waitcnt vmcnt(1)
	v_cmp_neq_f32_e32 vcc_lo, 0, v5
	buffer_load_dword v5, off, s[0:3], s32 offset:192 ; 4-byte Folded Reload
	v_lshlrev_b32_e32 v3, 4, v4
	s_waitcnt vmcnt(1)
	v_lshlrev_b32_e32 v12, 5, v7
	v_lshl_or_b32 v15, v7, 7, v16
	v_add_co_u32 v1, s5, v1, v3
	v_add_co_ci_u32_e64 v2, null, 0, v2, s5
	buffer_store_dword v1, off, s[0:3], s32 offset:832 ; 4-byte Folded Spill
	buffer_store_dword v2, off, s[0:3], s32 offset:836 ; 4-byte Folded Spill
	v_mul_hi_u32 v1, v0, v6
	v_add_nc_u32_e32 v0, v0, v1
	s_waitcnt vmcnt(0)
	v_sub_nc_u32_e32 v4, v4, v5
	v_and_b32_e32 v5, 0x7c, v9
	ds_read_b128 v[8:11], v29
	s_waitcnt lgkmcnt(0)
	buffer_store_dword v8, off, s[0:3], s32 offset:840 ; 4-byte Folded Spill
	buffer_store_dword v9, off, s[0:3], s32 offset:844 ; 4-byte Folded Spill
	;; [unrolled: 1-line block ×4, first 2 shown]
	ds_read_b128 v[8:11], v29 offset:16
	v_add_nc_u32_e32 v4, 1, v4
	s_waitcnt lgkmcnt(0)
	buffer_store_dword v8, off, s[0:3], s32 offset:856 ; 4-byte Folded Spill
	buffer_store_dword v9, off, s[0:3], s32 offset:860 ; 4-byte Folded Spill
	buffer_store_dword v10, off, s[0:3], s32 offset:864 ; 4-byte Folded Spill
	buffer_store_dword v11, off, s[0:3], s32 offset:868 ; 4-byte Folded Spill
	ds_read_b128 v[8:11], v29 offset:32
	s_waitcnt lgkmcnt(0)
	buffer_store_dword v8, off, s[0:3], s32 offset:872 ; 4-byte Folded Spill
	buffer_store_dword v9, off, s[0:3], s32 offset:876 ; 4-byte Folded Spill
	buffer_store_dword v10, off, s[0:3], s32 offset:880 ; 4-byte Folded Spill
	buffer_store_dword v11, off, s[0:3], s32 offset:884 ; 4-byte Folded Spill
	ds_read_b128 v[8:11], v29 offset:48
	;; [unrolled: 6-line block ×4, first 2 shown]
	s_waitcnt lgkmcnt(0)
	buffer_store_dword v8, off, s[0:3], s32 offset:920 ; 4-byte Folded Spill
	buffer_store_dword v9, off, s[0:3], s32 offset:924 ; 4-byte Folded Spill
	;; [unrolled: 1-line block ×4, first 2 shown]
	s_clause 0x1
	buffer_load_dword v2, off, s[0:3], s32 offset:1336
	buffer_load_dword v3, off, s[0:3], s32 offset:1340
	buffer_store_dword v4, off, s[0:3], s32 offset:936 ; 4-byte Folded Spill
	buffer_load_dword v4, off, s[0:3], s32 offset:1332 ; 4-byte Folded Reload
	s_waitcnt vmcnt(2)
	v_add_co_u32 v2, s5, v5, v2
	s_waitcnt vmcnt(1)
	v_add_co_ci_u32_e64 v3, null, 0, v3, s5
	s_waitcnt vmcnt(0)
	v_add_co_u32 v4, s5, v4, v2
	buffer_load_dword v2, off, s[0:3], s32 offset:1328 ; 4-byte Folded Reload
	s_waitcnt vmcnt(0)
	v_add_co_ci_u32_e64 v5, null, v2, v3, s5
	buffer_store_dword v4, off, s[0:3], s32 offset:200 ; 4-byte Folded Spill
	buffer_store_dword v5, off, s[0:3], s32 offset:204 ; 4-byte Folded Spill
	buffer_store_dword v0, off, s[0:3], s32 offset:748 ; 4-byte Folded Spill
	ds_read_b128 v[0:3], v29 offset:96
	s_waitcnt lgkmcnt(0)
	buffer_store_dword v0, off, s[0:3], s32 offset:940 ; 4-byte Folded Spill
	buffer_store_dword v1, off, s[0:3], s32 offset:944 ; 4-byte Folded Spill
	buffer_store_dword v2, off, s[0:3], s32 offset:948 ; 4-byte Folded Spill
	buffer_store_dword v3, off, s[0:3], s32 offset:952 ; 4-byte Folded Spill
	ds_read_b128 v[0:3], v29 offset:112
	s_waitcnt lgkmcnt(0)
	buffer_store_dword v0, off, s[0:3], s32 offset:956 ; 4-byte Folded Spill
	;; [unrolled: 6-line block ×24, first 2 shown]
	buffer_store_dword v1, off, s[0:3], s32 offset:1312 ; 4-byte Folded Spill
	buffer_store_dword v2, off, s[0:3], s32 offset:1316 ; 4-byte Folded Spill
	;; [unrolled: 1-line block ×3, first 2 shown]
	s_branch .LBB210_15
.LBB210_10:                             ;   in Loop: Header=BB210_15 Depth=1
	s_or_b32 exec_lo, exec_lo, s21
	v_mov_b32_e32 v3, 24
	v_lshlrev_b32_e32 v16, 20, v28
	v_lshl_add_u32 v2, v2, 23, 0x3c000000
	v_lshlrev_b32_sdwa v3, v3, v37 dst_sel:DWORD dst_unused:UNUSED_PAD src0_sel:DWORD src1_sel:BYTE_3
	v_and_b32_e32 v3, 0x80000000, v3
	v_or3_b32 v3, v16, v3, v2
	v_mov_b32_e32 v2, v29
.LBB210_11:                             ;   in Loop: Header=BB210_15 Depth=1
	s_or_b32 exec_lo, exec_lo, s20
.LBB210_12:                             ;   in Loop: Header=BB210_15 Depth=1
	s_or_b32 exec_lo, exec_lo, s19
.LBB210_13:                             ;   in Loop: Header=BB210_15 Depth=1
	s_or_b32 exec_lo, exec_lo, s18
	v_or_b32_e32 v0, v0, v56
	v_or_b32_e32 v12, v125, v121
	;; [unrolled: 1-line block ×5, first 2 shown]
	buffer_store_dword v0, off, s[0:3], s32 offset:772 ; 4-byte Folded Spill
	v_or_b32_e32 v0, v21, v105
	buffer_store_dword v12, off, s[0:3], s32 offset:768 ; 4-byte Folded Spill
	v_or_b32_e32 v12, v124, v120
	;; [unrolled: 2-line block ×5, first 2 shown]
	v_or_b32_e32 v64, v64, v32
	v_or_b32_e32 v32, v71, v51
	buffer_store_dword v0, off, s[0:3], s32 offset:780 ; 4-byte Folded Spill
	v_or_b32_e32 v0, v110, v4
	v_or_b32_e32 v51, v30, v54
	v_or_b32_e32 v53, v53, v81
	v_or_b32_e32 v66, v86, v66
	v_or_b32_e32 v96, v68, v96
	buffer_store_dword v0, off, s[0:3], s32 offset:788 ; 4-byte Folded Spill
	v_or_b32_e32 v0, v109, v89
	v_or_b32_e32 v68, v103, v83
	v_or_b32_e32 v69, v69, v97
	;; [unrolled: 6-line block ×3, first 2 shown]
	v_or_b32_e32 v101, v38, v100
	v_or_b32_e32 v38, v115, v59
	buffer_store_dword v0, off, s[0:3], s32 offset:792 ; 4-byte Folded Spill
	s_clause 0x1
	buffer_load_dword v0, off, s[0:3], s32 offset:732
	buffer_load_dword v1, off, s[0:3], s32 offset:736
	v_or_b32_e32 v85, v85, v113
	v_or_b32_e32 v100, v114, v58
	;; [unrolled: 1-line block ×28, first 2 shown]
	v_mul_f32_e32 v13, v36, v13
	s_waitcnt vmcnt(1)
	v_or_b32_e32 v65, v48, v0
	s_waitcnt vmcnt(0)
	v_or_b32_e32 v49, v49, v1
	s_clause 0x3
	buffer_load_dword v0, off, s[0:3], s32 offset:700
	buffer_load_dword v1, off, s[0:3], s32 offset:704
	;; [unrolled: 1-line block ×4, first 2 shown]
	v_or_b32_e32 v48, v31, v55
	s_waitcnt vmcnt(1)
	v_or_b32_e32 v70, v4, v0
	s_waitcnt vmcnt(0)
	v_or_b32_e32 v55, v5, v1
	s_clause 0x3
	buffer_load_dword v0, off, s[0:3], s32 offset:716
	buffer_load_dword v1, off, s[0:3], s32 offset:720
	buffer_load_dword v4, off, s[0:3], s32 offset:724
	buffer_load_dword v5, off, s[0:3], s32 offset:728
	s_waitcnt vmcnt(1)
	v_or_b32_e32 v67, v0, v4
	s_waitcnt vmcnt(0)
	v_or_b32_e32 v54, v1, v5
	s_clause 0x3
	buffer_load_dword v0, off, s[0:3], s32 offset:668
	buffer_load_dword v1, off, s[0:3], s32 offset:672
	buffer_load_dword v4, off, s[0:3], s32 offset:676
	buffer_load_dword v5, off, s[0:3], s32 offset:680
	;; [unrolled: 9-line block ×29, first 2 shown]
	v_mul_f32_e32 v15, v36, v15
	s_waitcnt vmcnt(1)
	v_or_b32_e32 v9, v0, v4
	s_waitcnt vmcnt(0)
	v_or_b32_e32 v25, v1, v5
	s_clause 0x3
	buffer_load_dword v0, off, s[0:3], s32 offset:236
	buffer_load_dword v1, off, s[0:3], s32 offset:240
	;; [unrolled: 1-line block ×4, first 2 shown]
	s_waitcnt vmcnt(1)
	v_or_b32_e32 v17, v0, v4
	s_waitcnt vmcnt(0)
	v_or_b32_e32 v8, v1, v5
	s_clause 0x7
	buffer_load_dword v4, off, s[0:3], s32 offset:856
	buffer_load_dword v5, off, s[0:3], s32 offset:860
	;; [unrolled: 1-line block ×8, first 2 shown]
	s_waitcnt vmcnt(7)
	v_mul_f32_e32 v15, v4, v15
	s_waitcnt vmcnt(3)
	v_fmac_f32_e32 v15, v0, v13
	v_mul_f32_e32 v13, v36, v23
	v_mul_f32_e32 v0, v36, v73
	v_mul_f32_e32 v23, v5, v13
	s_waitcnt vmcnt(2)
	v_fmac_f32_e32 v23, v1, v0
	v_mul_f32_e32 v0, v36, v9
	v_mul_f32_e32 v1, v36, v17
	;; [unrolled: 1-line block ×4, first 2 shown]
	s_waitcnt vmcnt(1)
	v_fmac_f32_e32 v26, v2, v1
	v_mul_f32_e32 v1, v36, v25
	v_mul_f32_e32 v27, v7, v1
	s_waitcnt vmcnt(0)
	v_fmac_f32_e32 v27, v3, v0
	s_clause 0x3
	buffer_load_dword v1, off, s[0:3], s32 offset:872
	buffer_load_dword v2, off, s[0:3], s32 offset:876
	buffer_load_dword v3, off, s[0:3], s32 offset:880
	buffer_load_dword v4, off, s[0:3], s32 offset:884
	v_mul_f32_e32 v0, v36, v31
	s_waitcnt vmcnt(3)
	v_fmac_f32_e32 v15, v1, v0
	v_mul_f32_e32 v0, v36, v24
	s_waitcnt vmcnt(2)
	v_fmac_f32_e32 v23, v2, v0
	v_mul_f32_e32 v0, v36, v12
	s_waitcnt vmcnt(1)
	v_fmac_f32_e32 v26, v3, v0
	v_mul_f32_e32 v0, v36, v30
	s_waitcnt vmcnt(0)
	v_fmac_f32_e32 v27, v4, v0
	s_clause 0x3
	buffer_load_dword v1, off, s[0:3], s32 offset:888
	buffer_load_dword v2, off, s[0:3], s32 offset:892
	buffer_load_dword v3, off, s[0:3], s32 offset:896
	buffer_load_dword v4, off, s[0:3], s32 offset:900
	v_mul_f32_e32 v0, v36, v123
	s_waitcnt vmcnt(3)
	v_fmac_f32_e32 v15, v1, v0
	v_mul_f32_e32 v0, v36, v122
	s_waitcnt vmcnt(2)
	v_fmac_f32_e32 v23, v2, v0
	v_mul_f32_e32 v0, v36, v125
	s_waitcnt vmcnt(1)
	v_fmac_f32_e32 v26, v3, v0
	;; [unrolled: 17-line block ×24, first 2 shown]
	v_mul_f32_e32 v0, v36, v16
	s_waitcnt vmcnt(0)
	v_fmac_f32_e32 v27, v4, v0
	s_clause 0x3
	buffer_load_dword v1, off, s[0:3], s32 offset:1260
	buffer_load_dword v2, off, s[0:3], s32 offset:1264
	;; [unrolled: 1-line block ×4, first 2 shown]
	v_mul_f32_e32 v0, v36, v57
	s_waitcnt vmcnt(3)
	v_fmac_f32_e32 v15, v1, v0
	buffer_load_dword v0, off, s[0:3], s32 offset:796 ; 4-byte Folded Reload
	s_waitcnt vmcnt(0)
	v_mul_f32_e32 v0, v36, v0
	v_fmac_f32_e32 v23, v2, v0
	v_mul_f32_e32 v0, v36, v56
	v_fmac_f32_e32 v26, v3, v0
	buffer_load_dword v0, off, s[0:3], s32 offset:792 ; 4-byte Folded Reload
	s_waitcnt vmcnt(0)
	v_mul_f32_e32 v0, v36, v0
	v_fmac_f32_e32 v27, v4, v0
	s_clause 0x3
	buffer_load_dword v1, off, s[0:3], s32 offset:1276
	buffer_load_dword v2, off, s[0:3], s32 offset:1280
	;; [unrolled: 1-line block ×4, first 2 shown]
	v_mul_f32_e32 v0, v36, v21
	s_waitcnt vmcnt(3)
	v_fmac_f32_e32 v15, v1, v0
	buffer_load_dword v0, off, s[0:3], s32 offset:784 ; 4-byte Folded Reload
	s_waitcnt vmcnt(0)
	v_mul_f32_e32 v0, v36, v0
	v_fmac_f32_e32 v23, v2, v0
	buffer_load_dword v0, off, s[0:3], s32 offset:788 ; 4-byte Folded Reload
	s_waitcnt vmcnt(0)
	v_mul_f32_e32 v0, v36, v0
	;; [unrolled: 4-line block ×3, first 2 shown]
	v_fmac_f32_e32 v27, v4, v0
	s_clause 0x4
	buffer_load_dword v0, off, s[0:3], s32 offset:776
	buffer_load_dword v1, off, s[0:3], s32 offset:1292
	;; [unrolled: 1-line block ×5, first 2 shown]
	s_waitcnt vmcnt(4)
	v_mul_f32_e32 v0, v36, v0
	s_waitcnt vmcnt(3)
	v_fmac_f32_e32 v15, v1, v0
	buffer_load_dword v0, off, s[0:3], s32 offset:768 ; 4-byte Folded Reload
	v_mul_f32_e32 v1, v36, v35
	s_waitcnt vmcnt(0)
	v_mul_f32_e32 v0, v36, v0
	v_fmac_f32_e32 v23, v2, v0
	s_clause 0x4
	buffer_load_dword v0, off, s[0:3], s32 offset:772
	buffer_load_dword v5, off, s[0:3], s32 offset:1308
	;; [unrolled: 1-line block ×5, first 2 shown]
	v_mul_f32_e32 v2, v36, v34
	s_waitcnt vmcnt(4)
	v_mul_f32_e32 v0, v36, v0
	v_fmac_f32_e32 v26, v3, v0
	v_mul_f32_e32 v0, v36, v22
	s_waitcnt vmcnt(1)
	v_fmac_f32_e32 v26, v7, v1
	v_fmac_f32_e32 v15, v5, v0
	v_mul_f32_e32 v0, v36, v14
	v_fmac_f32_e32 v23, v6, v0
	s_clause 0x2
	buffer_load_dword v0, off, s[0:3], s32 offset:764
	buffer_load_dword v12, off, s[0:3], s32 offset:752
	;; [unrolled: 1-line block ×3, first 2 shown]
	s_load_dword s18, s[8:9], 0x0
	buffer_load_dword v17, off, s[0:3], s32 offset:760 ; 4-byte Folded Reload
	s_waitcnt vmcnt(3)
	v_mul_f32_e32 v0, v36, v0
	s_waitcnt vmcnt(1)
	v_add_nc_u32_e32 v1, v1, v12
	v_fmac_f32_e32 v27, v4, v0
	v_cvt_f32_i32_e32 v1, v1
	v_add_f32_e32 v0, v15, v23
	buffer_load_dword v15, off, s[0:3], s32 offset:756 ; 4-byte Folded Reload
	v_fmac_f32_e32 v27, v8, v2
	buffer_load_dword v2, off, s[0:3], s32 offset:808 ; 4-byte Folded Reload
	v_add_f32_e32 v0, v26, v0
	v_add_f32_e32 v0, v27, v0
	s_waitcnt vmcnt(0)
	v_mul_f32_e32 v1, v2, v1
	buffer_load_dword v2, off, s[0:3], s32 offset:828 ; 4-byte Folded Reload
	v_cndmask_b32_e32 v1, 0, v1, vcc_lo
	s_waitcnt vmcnt(0)
	v_fmac_f32_e32 v1, v2, v0
	s_clause 0x1
	buffer_load_dword v0, off, s[0:3], s32 offset:800
	buffer_load_dword v2, off, s[0:3], s32 offset:192
	s_waitcnt vmcnt(1)
	v_add_nc_u32_e32 v0, v0, v12
	s_waitcnt vmcnt(0)
	v_cmp_lt_i32_e64 s5, v0, v2
	s_waitcnt lgkmcnt(0)
	v_add_nc_u32_e32 v0, s18, v15
	v_cndmask_b32_e64 v2, 0, v1, s5
	ds_write_b32 v0, v2
	v_max_f32_e32 v0, v17, v17
	v_max_f32_e32 v0, v0, v1
	v_cndmask_b32_e64 v17, v17, v0, s5
.LBB210_14:                             ;   in Loop: Header=BB210_15 Depth=1
	s_or_b32 exec_lo, exec_lo, s6
	s_clause 0x2
	buffer_load_dword v7, off, s[0:3], s32 offset:232
	buffer_load_dword v0, off, s[0:3], s32 offset:200
	;; [unrolled: 1-line block ×3, first 2 shown]
	v_add_nc_u32_e32 v12, 0x80, v12
	v_add_nc_u32_e32 v15, 0x200, v15
	s_waitcnt vmcnt(1)
	v_add_co_u32 v0, s5, v0, 16
	s_waitcnt vmcnt(0)
	v_add_co_ci_u32_e64 v1, null, 0, v1, s5
	v_add_nc_u32_e32 v7, 4, v7
	buffer_store_dword v0, off, s[0:3], s32 offset:200 ; 4-byte Folded Spill
	buffer_store_dword v1, off, s[0:3], s32 offset:204 ; 4-byte Folded Spill
	buffer_load_dword v0, off, s[0:3], s32 offset:196 ; 4-byte Folded Reload
	s_waitcnt vmcnt(0)
	v_cmp_ge_i32_e64 s5, v7, v0
	s_or_b32 s17, s5, s17
	s_andn2_b32 exec_lo, exec_lo, s17
	s_cbranch_execz .LBB210_975
.LBB210_15:                             ; =>This Inner Loop Header: Depth=1
	s_clause 0x1
	buffer_load_dword v0, off, s[0:3], s32 offset:224
	buffer_load_dword v4, off, s[0:3], s32 offset:208
	buffer_store_dword v7, off, s[0:3], s32 offset:232 ; 4-byte Folded Spill
	s_waitcnt vmcnt(1)
	v_mul_hi_u32 v0, v12, v0
	s_waitcnt vmcnt(0)
	v_mul_lo_u32 v1, v0, v4
	v_add_nc_u32_e32 v2, 1, v0
	v_sub_nc_u32_e32 v1, v12, v1
	v_sub_nc_u32_e32 v3, v1, v4
	v_cmp_ge_u32_e64 s5, v1, v4
	v_cndmask_b32_e64 v1, v1, v3, s5
	v_cndmask_b32_e64 v0, v0, v2, s5
	v_cmp_ge_u32_e64 s5, v1, v4
	buffer_load_dword v1, off, s[0:3], s32 offset:220 ; 4-byte Folded Reload
	v_add_nc_u32_e32 v2, 1, v0
	v_cndmask_b32_e64 v0, v0, v2, s5
	s_waitcnt vmcnt(0)
	v_xor_b32_e32 v0, v0, v1
	v_sub_nc_u32_e32 v0, v0, v1
	s_clause 0x3
	buffer_load_dword v1, off, s[0:3], s32 offset:212
	buffer_load_dword v2, off, s[0:3], s32 offset:216
	;; [unrolled: 1-line block ×4, first 2 shown]
	s_waitcnt vmcnt(3)
	v_add_nc_u32_e32 v1, v0, v1
	s_waitcnt vmcnt(2)
	v_sub_nc_u32_e32 v2, 0, v1
	v_max_i32_e32 v2, v1, v2
	v_ashrrev_i32_e32 v1, 31, v1
	s_waitcnt vmcnt(1)
	v_mul_hi_u32 v3, v2, v3
	s_waitcnt vmcnt(0)
	v_mul_lo_u32 v3, v3, v4
	v_sub_nc_u32_e32 v2, v2, v3
	v_sub_nc_u32_e32 v3, v2, v4
	v_cmp_ge_u32_e64 s5, v2, v4
	v_cndmask_b32_e64 v2, v2, v3, s5
	v_sub_nc_u32_e32 v3, v2, v4
	v_cmp_ge_u32_e64 s5, v2, v4
	v_cndmask_b32_e64 v2, v2, v3, s5
	v_xor_b32_e32 v2, v2, v1
	v_sub_nc_u32_e32 v1, v2, v1
	v_cmp_ne_u32_e64 s5, 0, v1
	buffer_load_dword v1, off, s[0:3], s32 offset:228 ; 4-byte Folded Reload
	s_waitcnt vmcnt(0)
	v_cmp_le_i32_e64 s6, v0, v1
	s_and_b32 s5, s5, s6
	s_and_saveexec_b32 s6, s5
	s_xor_b32 s5, exec_lo, s6
; %bb.16:                               ;   in Loop: Header=BB210_15 Depth=1
	v_add_nc_u32_e32 v0, s15, v15
	v_mov_b32_e32 v1, 0xff7fffff
	ds_write_b32 v0, v1
; %bb.17:                               ;   in Loop: Header=BB210_15 Depth=1
	s_andn2_saveexec_b32 s6, s5
	s_cbranch_execz .LBB210_14
; %bb.18:                               ;   in Loop: Header=BB210_15 Depth=1
	s_clause 0x1
	buffer_load_dword v0, off, s[0:3], s32 offset:200
	buffer_load_dword v1, off, s[0:3], s32 offset:204
	v_mov_b32_e32 v72, 0
	v_mov_b32_e32 v13, 0
	;; [unrolled: 1-line block ×4, first 2 shown]
	s_waitcnt vmcnt(0)
	flat_load_dword v0, v[0:1]
	s_clause 0x2
	buffer_load_dword v1, off, s[0:3], s32 offset:740
	buffer_load_dword v2, off, s[0:3], s32 offset:832
	;; [unrolled: 1-line block ×3, first 2 shown]
	s_waitcnt vmcnt(0) lgkmcnt(0)
	v_mad_i64_i32 v[22:23], null, v0, v1, v[2:3]
	flat_load_dword v0, v[22:23]
	s_clause 0x1
	buffer_load_dword v1, off, s[0:3], s32 offset:820
	buffer_load_dword v2, off, s[0:3], s32 offset:824
	s_waitcnt vmcnt(2) lgkmcnt(0)
	v_cmp_ne_u16_sdwa s5, v0, v29 src0_sel:BYTE_0 src1_sel:DWORD
	s_waitcnt vmcnt(0)
	flat_load_dword v36, v[1:2]
	s_and_saveexec_b32 s18, s5
	s_cbranch_execz .LBB210_26
; %bb.19:                               ;   in Loop: Header=BB210_15 Depth=1
	v_mov_b32_e32 v1, 0x80
	v_bfrev_b32_e32 v13, 1
	v_mov_b32_e32 v14, 0
	v_cmp_ne_u16_sdwa s5, v0, v1 src0_sel:BYTE_0 src1_sel:DWORD
	s_and_saveexec_b32 s19, s5
	s_cbranch_execz .LBB210_25
; %bb.20:                               ;   in Loop: Header=BB210_15 Depth=1
	v_mov_b32_e32 v13, 0x7f800001
	v_and_b32_e32 v2, 0x7f, v0
	v_mov_b32_e32 v14, 0
	s_mov_b32 s20, exec_lo
	v_cmpx_ne_u32_e32 0x7f, v2
	s_cbranch_execz .LBB210_24
; %bb.21:                               ;   in Loop: Header=BB210_15 Depth=1
	v_and_b32_e32 v28, 7, v0
	v_lshrrev_b32_e32 v1, 3, v2
	s_mov_b32 s21, exec_lo
	v_cmpx_gt_u32_e32 8, v2
; %bb.22:                               ;   in Loop: Header=BB210_15 Depth=1
	v_ffbh_u32_e32 v1, v28
	v_min_u32_e32 v1, 32, v1
	v_subrev_nc_u32_e32 v2, 28, v1
	v_sub_nc_u32_e32 v1, 29, v1
	v_lshlrev_b64 v[2:3], v2, v[28:29]
	v_and_b32_e32 v28, 7, v2
; %bb.23:                               ;   in Loop: Header=BB210_15 Depth=1
	s_or_b32 exec_lo, exec_lo, s21
	v_lshlrev_b32_e32 v2, 24, v0
	v_lshlrev_b32_e32 v3, 20, v28
	v_lshl_add_u32 v1, v1, 23, 0x3c000000
	v_and_b32_e32 v2, 0x80000000, v2
	v_or3_b32 v28, v3, v2, v1
	v_mov_b32_e32 v13, v28
	v_mov_b32_e32 v14, v29
.LBB210_24:                             ;   in Loop: Header=BB210_15 Depth=1
	s_or_b32 exec_lo, exec_lo, s20
.LBB210_25:                             ;   in Loop: Header=BB210_15 Depth=1
	s_or_b32 exec_lo, exec_lo, s19
.LBB210_26:                             ;   in Loop: Header=BB210_15 Depth=1
	s_or_b32 exec_lo, exec_lo, s18
	v_cmp_ne_u16_sdwa s5, v0, v29 src0_sel:BYTE_1 src1_sel:DWORD
	s_and_saveexec_b32 s18, s5
	s_cbranch_execz .LBB210_34
; %bb.27:                               ;   in Loop: Header=BB210_15 Depth=1
	v_mov_b32_e32 v18, v29
	v_mov_b32_e32 v1, 0x80
	;; [unrolled: 1-line block ×4, first 2 shown]
	v_cmp_ne_u16_sdwa s5, v0, v1 src0_sel:BYTE_1 src1_sel:DWORD
	s_and_saveexec_b32 s19, s5
	s_cbranch_execz .LBB210_33
; %bb.28:                               ;   in Loop: Header=BB210_15 Depth=1
	v_mov_b32_e32 v1, 0xffff
	v_mov_b32_e32 v42, v29
	;; [unrolled: 1-line block ×3, first 2 shown]
	s_mov_b32 s20, exec_lo
	v_and_b32_sdwa v1, v1, v0 dst_sel:DWORD dst_unused:UNUSED_PAD src0_sel:DWORD src1_sel:BYTE_1
	v_mov_b32_e32 v72, v42
	v_and_b32_e32 v2, 0x7f, v1
	v_cmpx_ne_u32_e32 0x7f, v2
	s_cbranch_execz .LBB210_32
; %bb.29:                               ;   in Loop: Header=BB210_15 Depth=1
	v_and_b32_e32 v28, 7, v1
	v_lshrrev_b32_e32 v1, 3, v2
	s_mov_b32 s21, exec_lo
	v_cmpx_gt_u32_e32 8, v2
; %bb.30:                               ;   in Loop: Header=BB210_15 Depth=1
	v_ffbh_u32_e32 v1, v28
	v_min_u32_e32 v1, 32, v1
	v_subrev_nc_u32_e32 v2, 28, v1
	v_sub_nc_u32_e32 v1, 29, v1
	v_lshlrev_b64 v[2:3], v2, v[28:29]
	v_and_b32_e32 v28, 7, v2
; %bb.31:                               ;   in Loop: Header=BB210_15 Depth=1
	s_or_b32 exec_lo, exec_lo, s21
	v_lshlrev_b32_e32 v2, 16, v0
	v_lshlrev_b32_e32 v3, 20, v28
	v_lshl_add_u32 v1, v1, 23, 0x3c000000
	v_mov_b32_e32 v72, v29
	v_and_b32_e32 v2, 0x80000000, v2
	v_or3_b32 v73, v3, v2, v1
.LBB210_32:                             ;   in Loop: Header=BB210_15 Depth=1
	s_or_b32 exec_lo, exec_lo, s20
.LBB210_33:                             ;   in Loop: Header=BB210_15 Depth=1
	s_or_b32 exec_lo, exec_lo, s19
.LBB210_34:                             ;   in Loop: Header=BB210_15 Depth=1
	s_or_b32 exec_lo, exec_lo, s18
	v_mov_b32_e32 v2, 0
	v_mov_b32_e32 v3, 0
	;; [unrolled: 1-line block ×3, first 2 shown]
	s_mov_b32 s18, exec_lo
	buffer_store_dword v2, off, s[0:3], s32 offset:236 ; 4-byte Folded Spill
	buffer_store_dword v3, off, s[0:3], s32 offset:240 ; 4-byte Folded Spill
	v_mov_b32_e32 v2, 0
	v_and_b32_sdwa v1, v0, v1 dst_sel:DWORD dst_unused:UNUSED_PAD src0_sel:WORD_1 src1_sel:DWORD
	v_mov_b32_e32 v3, 0
	buffer_store_dword v2, off, s[0:3], s32 offset:244 ; 4-byte Folded Spill
	buffer_store_dword v3, off, s[0:3], s32 offset:248 ; 4-byte Folded Spill
	v_cmpx_ne_u16_e32 0, v1
	s_cbranch_execz .LBB210_42
; %bb.35:                               ;   in Loop: Header=BB210_15 Depth=1
	v_cmp_ne_u16_e64 s5, 0x80, v1
	v_bfrev_b32_e32 v1, 1
	v_mov_b32_e32 v2, 0
	buffer_store_dword v1, off, s[0:3], s32 offset:244 ; 4-byte Folded Spill
	buffer_store_dword v2, off, s[0:3], s32 offset:248 ; 4-byte Folded Spill
	s_and_saveexec_b32 s19, s5
	s_cbranch_execz .LBB210_41
; %bb.36:                               ;   in Loop: Header=BB210_15 Depth=1
	v_mov_b32_e32 v3, 0x7f800001
	v_bfe_u32 v2, v0, 16, 7
	v_mov_b32_e32 v4, 0
	s_mov_b32 s20, exec_lo
	buffer_store_dword v3, off, s[0:3], s32 offset:244 ; 4-byte Folded Spill
	buffer_store_dword v4, off, s[0:3], s32 offset:248 ; 4-byte Folded Spill
	v_cmpx_ne_u32_e32 0x7f, v2
	s_cbranch_execz .LBB210_40
; %bb.37:                               ;   in Loop: Header=BB210_15 Depth=1
	v_mov_b32_e32 v1, 7
	s_mov_b32 s21, exec_lo
	v_and_b32_sdwa v28, v0, v1 dst_sel:DWORD dst_unused:UNUSED_PAD src0_sel:WORD_1 src1_sel:DWORD
	v_lshrrev_b32_e32 v1, 3, v2
	v_cmpx_gt_u32_e32 8, v2
; %bb.38:                               ;   in Loop: Header=BB210_15 Depth=1
	v_ffbh_u32_e32 v1, v28
	v_min_u32_e32 v1, 32, v1
	v_subrev_nc_u32_e32 v2, 28, v1
	v_sub_nc_u32_e32 v1, 29, v1
	v_lshlrev_b64 v[2:3], v2, v[28:29]
	v_and_b32_e32 v28, 7, v2
; %bb.39:                               ;   in Loop: Header=BB210_15 Depth=1
	s_or_b32 exec_lo, exec_lo, s21
	v_mov_b32_e32 v2, 24
	v_lshlrev_b32_e32 v3, 20, v28
	v_lshl_add_u32 v1, v1, 23, 0x3c000000
	v_lshlrev_b32_sdwa v2, v2, v0 dst_sel:DWORD dst_unused:UNUSED_PAD src0_sel:DWORD src1_sel:WORD_1
	v_and_b32_e32 v2, 0x80000000, v2
	v_or3_b32 v28, v3, v2, v1
	buffer_store_dword v28, off, s[0:3], s32 offset:244 ; 4-byte Folded Spill
	buffer_store_dword v29, off, s[0:3], s32 offset:248 ; 4-byte Folded Spill
.LBB210_40:                             ;   in Loop: Header=BB210_15 Depth=1
	s_or_b32 exec_lo, exec_lo, s20
.LBB210_41:                             ;   in Loop: Header=BB210_15 Depth=1
	s_or_b32 exec_lo, exec_lo, s19
.LBB210_42:                             ;   in Loop: Header=BB210_15 Depth=1
	s_or_b32 exec_lo, exec_lo, s18
	s_mov_b32 s18, exec_lo
	v_cmpx_lt_u32_e32 0xffffff, v0
	s_cbranch_execz .LBB210_50
; %bb.43:                               ;   in Loop: Header=BB210_15 Depth=1
	v_mov_b32_e32 v1, 0x80
	v_mov_b32_e32 v18, v29
	buffer_store_dword v18, off, s[0:3], s32 offset:236 ; 4-byte Folded Spill
	buffer_store_dword v19, off, s[0:3], s32 offset:240 ; 4-byte Folded Spill
	v_cmp_ne_u32_sdwa s5, v0, v1 src0_sel:BYTE_3 src1_sel:DWORD
	s_and_saveexec_b32 s19, s5
	s_cbranch_execz .LBB210_49
; %bb.44:                               ;   in Loop: Header=BB210_15 Depth=1
	v_bfe_u32 v2, v0, 24, 7
	v_mov_b32_e32 v42, v29
	s_mov_b32 s20, exec_lo
	buffer_store_dword v42, off, s[0:3], s32 offset:236 ; 4-byte Folded Spill
	buffer_store_dword v43, off, s[0:3], s32 offset:240 ; 4-byte Folded Spill
	v_cmpx_ne_u32_e32 0x7f, v2
	s_cbranch_execz .LBB210_48
; %bb.45:                               ;   in Loop: Header=BB210_15 Depth=1
	v_mov_b32_e32 v1, 7
	s_mov_b32 s21, exec_lo
	v_and_b32_sdwa v28, v0, v1 dst_sel:DWORD dst_unused:UNUSED_PAD src0_sel:BYTE_3 src1_sel:DWORD
	v_lshrrev_b32_e32 v1, 3, v2
	v_cmpx_gt_u32_e32 8, v2
; %bb.46:                               ;   in Loop: Header=BB210_15 Depth=1
	v_ffbh_u32_e32 v1, v28
	v_min_u32_e32 v1, 32, v1
	v_subrev_nc_u32_e32 v2, 28, v1
	v_sub_nc_u32_e32 v1, 29, v1
	v_lshlrev_b64 v[2:3], v2, v[28:29]
	v_and_b32_e32 v28, 7, v2
; %bb.47:                               ;   in Loop: Header=BB210_15 Depth=1
	s_or_b32 exec_lo, exec_lo, s21
	v_mov_b32_e32 v2, 24
	v_lshl_add_u32 v1, v1, 23, 0x3c000000
	v_lshlrev_b32_sdwa v0, v2, v0 dst_sel:DWORD dst_unused:UNUSED_PAD src0_sel:DWORD src1_sel:BYTE_3
	v_lshlrev_b32_e32 v2, 20, v28
	v_and_b32_e32 v0, 0x80000000, v0
	v_or3_b32 v1, v2, v0, v1
	v_mov_b32_e32 v0, v29
	buffer_store_dword v0, off, s[0:3], s32 offset:236 ; 4-byte Folded Spill
	buffer_store_dword v1, off, s[0:3], s32 offset:240 ; 4-byte Folded Spill
.LBB210_48:                             ;   in Loop: Header=BB210_15 Depth=1
	s_or_b32 exec_lo, exec_lo, s20
.LBB210_49:                             ;   in Loop: Header=BB210_15 Depth=1
	s_or_b32 exec_lo, exec_lo, s19
.LBB210_50:                             ;   in Loop: Header=BB210_15 Depth=1
	s_or_b32 exec_lo, exec_lo, s18
	flat_load_dword v0, v[22:23] offset:4
	v_mov_b32_e32 v1, 0
	v_mov_b32_e32 v2, 0
	buffer_store_dword v1, off, s[0:3], s32 offset:260 ; 4-byte Folded Spill
	buffer_store_dword v2, off, s[0:3], s32 offset:264 ; 4-byte Folded Spill
	v_mov_b32_e32 v1, 0
	v_mov_b32_e32 v2, 0
	buffer_store_dword v1, off, s[0:3], s32 offset:252 ; 4-byte Folded Spill
	buffer_store_dword v2, off, s[0:3], s32 offset:256 ; 4-byte Folded Spill
	s_waitcnt vmcnt(0) lgkmcnt(0)
	v_cmp_ne_u16_sdwa s5, v0, v29 src0_sel:BYTE_0 src1_sel:DWORD
	s_and_saveexec_b32 s18, s5
	s_cbranch_execz .LBB210_58
; %bb.51:                               ;   in Loop: Header=BB210_15 Depth=1
	v_bfrev_b32_e32 v1, 1
	v_mov_b32_e32 v2, 0
	buffer_store_dword v1, off, s[0:3], s32 offset:252 ; 4-byte Folded Spill
	buffer_store_dword v2, off, s[0:3], s32 offset:256 ; 4-byte Folded Spill
	v_mov_b32_e32 v1, 0x80
	v_cmp_ne_u16_sdwa s5, v0, v1 src0_sel:BYTE_0 src1_sel:DWORD
	s_and_saveexec_b32 s19, s5
	s_cbranch_execz .LBB210_57
; %bb.52:                               ;   in Loop: Header=BB210_15 Depth=1
	v_mov_b32_e32 v3, 0x7f800001
	v_and_b32_e32 v2, 0x7f, v0
	v_mov_b32_e32 v4, 0
	s_mov_b32 s20, exec_lo
	buffer_store_dword v3, off, s[0:3], s32 offset:252 ; 4-byte Folded Spill
	buffer_store_dword v4, off, s[0:3], s32 offset:256 ; 4-byte Folded Spill
	v_cmpx_ne_u32_e32 0x7f, v2
	s_cbranch_execz .LBB210_56
; %bb.53:                               ;   in Loop: Header=BB210_15 Depth=1
	v_and_b32_e32 v28, 7, v0
	v_lshrrev_b32_e32 v1, 3, v2
	s_mov_b32 s21, exec_lo
	v_cmpx_gt_u32_e32 8, v2
; %bb.54:                               ;   in Loop: Header=BB210_15 Depth=1
	v_ffbh_u32_e32 v1, v28
	v_min_u32_e32 v1, 32, v1
	v_subrev_nc_u32_e32 v2, 28, v1
	v_sub_nc_u32_e32 v1, 29, v1
	v_lshlrev_b64 v[2:3], v2, v[28:29]
	v_and_b32_e32 v28, 7, v2
; %bb.55:                               ;   in Loop: Header=BB210_15 Depth=1
	s_or_b32 exec_lo, exec_lo, s21
	v_lshlrev_b32_e32 v2, 24, v0
	v_lshlrev_b32_e32 v3, 20, v28
	v_lshl_add_u32 v1, v1, 23, 0x3c000000
	v_and_b32_e32 v2, 0x80000000, v2
	v_or3_b32 v28, v3, v2, v1
	buffer_store_dword v28, off, s[0:3], s32 offset:252 ; 4-byte Folded Spill
	buffer_store_dword v29, off, s[0:3], s32 offset:256 ; 4-byte Folded Spill
.LBB210_56:                             ;   in Loop: Header=BB210_15 Depth=1
	s_or_b32 exec_lo, exec_lo, s20
.LBB210_57:                             ;   in Loop: Header=BB210_15 Depth=1
	s_or_b32 exec_lo, exec_lo, s19
.LBB210_58:                             ;   in Loop: Header=BB210_15 Depth=1
	s_or_b32 exec_lo, exec_lo, s18
	v_cmp_ne_u16_sdwa s5, v0, v29 src0_sel:BYTE_1 src1_sel:DWORD
	s_and_saveexec_b32 s18, s5
	s_cbranch_execz .LBB210_66
; %bb.59:                               ;   in Loop: Header=BB210_15 Depth=1
	v_mov_b32_e32 v1, 0x80
	v_mov_b32_e32 v18, v29
	buffer_store_dword v18, off, s[0:3], s32 offset:260 ; 4-byte Folded Spill
	buffer_store_dword v19, off, s[0:3], s32 offset:264 ; 4-byte Folded Spill
	v_cmp_ne_u16_sdwa s5, v0, v1 src0_sel:BYTE_1 src1_sel:DWORD
	s_and_saveexec_b32 s19, s5
	s_cbranch_execz .LBB210_65
; %bb.60:                               ;   in Loop: Header=BB210_15 Depth=1
	v_mov_b32_e32 v1, 0xffff
	v_mov_b32_e32 v42, v29
	s_mov_b32 s20, exec_lo
	buffer_store_dword v42, off, s[0:3], s32 offset:260 ; 4-byte Folded Spill
	buffer_store_dword v43, off, s[0:3], s32 offset:264 ; 4-byte Folded Spill
	v_and_b32_sdwa v1, v1, v0 dst_sel:DWORD dst_unused:UNUSED_PAD src0_sel:DWORD src1_sel:BYTE_1
	v_and_b32_e32 v2, 0x7f, v1
	v_cmpx_ne_u32_e32 0x7f, v2
	s_cbranch_execz .LBB210_64
; %bb.61:                               ;   in Loop: Header=BB210_15 Depth=1
	v_and_b32_e32 v28, 7, v1
	v_lshrrev_b32_e32 v1, 3, v2
	s_mov_b32 s21, exec_lo
	v_cmpx_gt_u32_e32 8, v2
; %bb.62:                               ;   in Loop: Header=BB210_15 Depth=1
	v_ffbh_u32_e32 v1, v28
	v_min_u32_e32 v1, 32, v1
	v_subrev_nc_u32_e32 v2, 28, v1
	v_sub_nc_u32_e32 v1, 29, v1
	v_lshlrev_b64 v[2:3], v2, v[28:29]
	v_and_b32_e32 v28, 7, v2
; %bb.63:                               ;   in Loop: Header=BB210_15 Depth=1
	s_or_b32 exec_lo, exec_lo, s21
	v_lshlrev_b32_e32 v2, 16, v0
	v_lshlrev_b32_e32 v3, 20, v28
	v_lshl_add_u32 v1, v1, 23, 0x3c000000
	v_and_b32_e32 v2, 0x80000000, v2
	v_or3_b32 v2, v3, v2, v1
	v_mov_b32_e32 v1, v29
	buffer_store_dword v1, off, s[0:3], s32 offset:260 ; 4-byte Folded Spill
	buffer_store_dword v2, off, s[0:3], s32 offset:264 ; 4-byte Folded Spill
.LBB210_64:                             ;   in Loop: Header=BB210_15 Depth=1
	s_or_b32 exec_lo, exec_lo, s20
.LBB210_65:                             ;   in Loop: Header=BB210_15 Depth=1
	s_or_b32 exec_lo, exec_lo, s19
.LBB210_66:                             ;   in Loop: Header=BB210_15 Depth=1
	s_or_b32 exec_lo, exec_lo, s18
	v_mov_b32_e32 v2, 0
	v_mov_b32_e32 v3, 0
	;; [unrolled: 1-line block ×3, first 2 shown]
	s_mov_b32 s18, exec_lo
	buffer_store_dword v2, off, s[0:3], s32 offset:268 ; 4-byte Folded Spill
	buffer_store_dword v3, off, s[0:3], s32 offset:272 ; 4-byte Folded Spill
	v_mov_b32_e32 v2, 0
	v_and_b32_sdwa v1, v0, v1 dst_sel:DWORD dst_unused:UNUSED_PAD src0_sel:WORD_1 src1_sel:DWORD
	v_mov_b32_e32 v3, 0
	buffer_store_dword v2, off, s[0:3], s32 offset:276 ; 4-byte Folded Spill
	buffer_store_dword v3, off, s[0:3], s32 offset:280 ; 4-byte Folded Spill
	v_cmpx_ne_u16_e32 0, v1
	s_cbranch_execz .LBB210_74
; %bb.67:                               ;   in Loop: Header=BB210_15 Depth=1
	v_cmp_ne_u16_e64 s5, 0x80, v1
	v_bfrev_b32_e32 v1, 1
	v_mov_b32_e32 v2, 0
	buffer_store_dword v1, off, s[0:3], s32 offset:276 ; 4-byte Folded Spill
	buffer_store_dword v2, off, s[0:3], s32 offset:280 ; 4-byte Folded Spill
	s_and_saveexec_b32 s19, s5
	s_cbranch_execz .LBB210_73
; %bb.68:                               ;   in Loop: Header=BB210_15 Depth=1
	v_mov_b32_e32 v3, 0x7f800001
	v_bfe_u32 v2, v0, 16, 7
	v_mov_b32_e32 v4, 0
	s_mov_b32 s20, exec_lo
	buffer_store_dword v3, off, s[0:3], s32 offset:276 ; 4-byte Folded Spill
	buffer_store_dword v4, off, s[0:3], s32 offset:280 ; 4-byte Folded Spill
	v_cmpx_ne_u32_e32 0x7f, v2
	s_cbranch_execz .LBB210_72
; %bb.69:                               ;   in Loop: Header=BB210_15 Depth=1
	v_mov_b32_e32 v1, 7
	s_mov_b32 s21, exec_lo
	v_and_b32_sdwa v28, v0, v1 dst_sel:DWORD dst_unused:UNUSED_PAD src0_sel:WORD_1 src1_sel:DWORD
	v_lshrrev_b32_e32 v1, 3, v2
	v_cmpx_gt_u32_e32 8, v2
; %bb.70:                               ;   in Loop: Header=BB210_15 Depth=1
	v_ffbh_u32_e32 v1, v28
	v_min_u32_e32 v1, 32, v1
	v_subrev_nc_u32_e32 v2, 28, v1
	v_sub_nc_u32_e32 v1, 29, v1
	v_lshlrev_b64 v[2:3], v2, v[28:29]
	v_and_b32_e32 v28, 7, v2
; %bb.71:                               ;   in Loop: Header=BB210_15 Depth=1
	s_or_b32 exec_lo, exec_lo, s21
	v_mov_b32_e32 v2, 24
	v_lshlrev_b32_e32 v3, 20, v28
	v_lshl_add_u32 v1, v1, 23, 0x3c000000
	v_lshlrev_b32_sdwa v2, v2, v0 dst_sel:DWORD dst_unused:UNUSED_PAD src0_sel:DWORD src1_sel:WORD_1
	v_and_b32_e32 v2, 0x80000000, v2
	v_or3_b32 v28, v3, v2, v1
	buffer_store_dword v28, off, s[0:3], s32 offset:276 ; 4-byte Folded Spill
	buffer_store_dword v29, off, s[0:3], s32 offset:280 ; 4-byte Folded Spill
.LBB210_72:                             ;   in Loop: Header=BB210_15 Depth=1
	s_or_b32 exec_lo, exec_lo, s20
.LBB210_73:                             ;   in Loop: Header=BB210_15 Depth=1
	s_or_b32 exec_lo, exec_lo, s19
.LBB210_74:                             ;   in Loop: Header=BB210_15 Depth=1
	s_or_b32 exec_lo, exec_lo, s18
	s_mov_b32 s18, exec_lo
	v_cmpx_lt_u32_e32 0xffffff, v0
	s_cbranch_execz .LBB210_82
; %bb.75:                               ;   in Loop: Header=BB210_15 Depth=1
	v_mov_b32_e32 v1, 0x80
	v_mov_b32_e32 v18, v29
	buffer_store_dword v18, off, s[0:3], s32 offset:268 ; 4-byte Folded Spill
	buffer_store_dword v19, off, s[0:3], s32 offset:272 ; 4-byte Folded Spill
	v_cmp_ne_u32_sdwa s5, v0, v1 src0_sel:BYTE_3 src1_sel:DWORD
	s_and_saveexec_b32 s19, s5
	s_cbranch_execz .LBB210_81
; %bb.76:                               ;   in Loop: Header=BB210_15 Depth=1
	v_bfe_u32 v2, v0, 24, 7
	v_mov_b32_e32 v42, v29
	s_mov_b32 s20, exec_lo
	buffer_store_dword v42, off, s[0:3], s32 offset:268 ; 4-byte Folded Spill
	buffer_store_dword v43, off, s[0:3], s32 offset:272 ; 4-byte Folded Spill
	v_cmpx_ne_u32_e32 0x7f, v2
	s_cbranch_execz .LBB210_80
; %bb.77:                               ;   in Loop: Header=BB210_15 Depth=1
	v_mov_b32_e32 v1, 7
	s_mov_b32 s21, exec_lo
	v_and_b32_sdwa v28, v0, v1 dst_sel:DWORD dst_unused:UNUSED_PAD src0_sel:BYTE_3 src1_sel:DWORD
	v_lshrrev_b32_e32 v1, 3, v2
	v_cmpx_gt_u32_e32 8, v2
; %bb.78:                               ;   in Loop: Header=BB210_15 Depth=1
	v_ffbh_u32_e32 v1, v28
	v_min_u32_e32 v1, 32, v1
	v_subrev_nc_u32_e32 v2, 28, v1
	v_sub_nc_u32_e32 v1, 29, v1
	v_lshlrev_b64 v[2:3], v2, v[28:29]
	v_and_b32_e32 v28, 7, v2
; %bb.79:                               ;   in Loop: Header=BB210_15 Depth=1
	s_or_b32 exec_lo, exec_lo, s21
	v_mov_b32_e32 v2, 24
	v_lshl_add_u32 v1, v1, 23, 0x3c000000
	v_lshlrev_b32_sdwa v0, v2, v0 dst_sel:DWORD dst_unused:UNUSED_PAD src0_sel:DWORD src1_sel:BYTE_3
	v_lshlrev_b32_e32 v2, 20, v28
	v_and_b32_e32 v0, 0x80000000, v0
	v_or3_b32 v1, v2, v0, v1
	v_mov_b32_e32 v0, v29
	buffer_store_dword v0, off, s[0:3], s32 offset:268 ; 4-byte Folded Spill
	buffer_store_dword v1, off, s[0:3], s32 offset:272 ; 4-byte Folded Spill
.LBB210_80:                             ;   in Loop: Header=BB210_15 Depth=1
	s_or_b32 exec_lo, exec_lo, s20
.LBB210_81:                             ;   in Loop: Header=BB210_15 Depth=1
	s_or_b32 exec_lo, exec_lo, s19
.LBB210_82:                             ;   in Loop: Header=BB210_15 Depth=1
	s_or_b32 exec_lo, exec_lo, s18
	flat_load_dword v0, v[22:23] offset:8
	v_mov_b32_e32 v1, 0
	v_mov_b32_e32 v2, 0
	buffer_store_dword v1, off, s[0:3], s32 offset:292 ; 4-byte Folded Spill
	buffer_store_dword v2, off, s[0:3], s32 offset:296 ; 4-byte Folded Spill
	v_mov_b32_e32 v1, 0
	v_mov_b32_e32 v2, 0
	buffer_store_dword v1, off, s[0:3], s32 offset:284 ; 4-byte Folded Spill
	buffer_store_dword v2, off, s[0:3], s32 offset:288 ; 4-byte Folded Spill
	s_waitcnt vmcnt(0) lgkmcnt(0)
	v_cmp_ne_u16_sdwa s5, v0, v29 src0_sel:BYTE_0 src1_sel:DWORD
	s_and_saveexec_b32 s18, s5
	s_cbranch_execz .LBB210_90
; %bb.83:                               ;   in Loop: Header=BB210_15 Depth=1
	v_bfrev_b32_e32 v1, 1
	v_mov_b32_e32 v2, 0
	buffer_store_dword v1, off, s[0:3], s32 offset:284 ; 4-byte Folded Spill
	buffer_store_dword v2, off, s[0:3], s32 offset:288 ; 4-byte Folded Spill
	v_mov_b32_e32 v1, 0x80
	v_cmp_ne_u16_sdwa s5, v0, v1 src0_sel:BYTE_0 src1_sel:DWORD
	s_and_saveexec_b32 s19, s5
	s_cbranch_execz .LBB210_89
; %bb.84:                               ;   in Loop: Header=BB210_15 Depth=1
	v_mov_b32_e32 v3, 0x7f800001
	v_and_b32_e32 v2, 0x7f, v0
	v_mov_b32_e32 v4, 0
	s_mov_b32 s20, exec_lo
	buffer_store_dword v3, off, s[0:3], s32 offset:284 ; 4-byte Folded Spill
	buffer_store_dword v4, off, s[0:3], s32 offset:288 ; 4-byte Folded Spill
	v_cmpx_ne_u32_e32 0x7f, v2
	s_cbranch_execz .LBB210_88
; %bb.85:                               ;   in Loop: Header=BB210_15 Depth=1
	v_and_b32_e32 v28, 7, v0
	v_lshrrev_b32_e32 v1, 3, v2
	s_mov_b32 s21, exec_lo
	v_cmpx_gt_u32_e32 8, v2
; %bb.86:                               ;   in Loop: Header=BB210_15 Depth=1
	v_ffbh_u32_e32 v1, v28
	v_min_u32_e32 v1, 32, v1
	v_subrev_nc_u32_e32 v2, 28, v1
	v_sub_nc_u32_e32 v1, 29, v1
	v_lshlrev_b64 v[2:3], v2, v[28:29]
	v_and_b32_e32 v28, 7, v2
; %bb.87:                               ;   in Loop: Header=BB210_15 Depth=1
	s_or_b32 exec_lo, exec_lo, s21
	v_lshlrev_b32_e32 v2, 24, v0
	v_lshlrev_b32_e32 v3, 20, v28
	v_lshl_add_u32 v1, v1, 23, 0x3c000000
	v_and_b32_e32 v2, 0x80000000, v2
	v_or3_b32 v28, v3, v2, v1
	buffer_store_dword v28, off, s[0:3], s32 offset:284 ; 4-byte Folded Spill
	buffer_store_dword v29, off, s[0:3], s32 offset:288 ; 4-byte Folded Spill
.LBB210_88:                             ;   in Loop: Header=BB210_15 Depth=1
	s_or_b32 exec_lo, exec_lo, s20
.LBB210_89:                             ;   in Loop: Header=BB210_15 Depth=1
	s_or_b32 exec_lo, exec_lo, s19
.LBB210_90:                             ;   in Loop: Header=BB210_15 Depth=1
	s_or_b32 exec_lo, exec_lo, s18
	v_cmp_ne_u16_sdwa s5, v0, v29 src0_sel:BYTE_1 src1_sel:DWORD
	s_and_saveexec_b32 s18, s5
	s_cbranch_execz .LBB210_98
; %bb.91:                               ;   in Loop: Header=BB210_15 Depth=1
	v_mov_b32_e32 v1, 0x80
	v_mov_b32_e32 v18, v29
	buffer_store_dword v18, off, s[0:3], s32 offset:292 ; 4-byte Folded Spill
	buffer_store_dword v19, off, s[0:3], s32 offset:296 ; 4-byte Folded Spill
	v_cmp_ne_u16_sdwa s5, v0, v1 src0_sel:BYTE_1 src1_sel:DWORD
	s_and_saveexec_b32 s19, s5
	s_cbranch_execz .LBB210_97
; %bb.92:                               ;   in Loop: Header=BB210_15 Depth=1
	v_mov_b32_e32 v1, 0xffff
	v_mov_b32_e32 v42, v29
	s_mov_b32 s20, exec_lo
	buffer_store_dword v42, off, s[0:3], s32 offset:292 ; 4-byte Folded Spill
	buffer_store_dword v43, off, s[0:3], s32 offset:296 ; 4-byte Folded Spill
	v_and_b32_sdwa v1, v1, v0 dst_sel:DWORD dst_unused:UNUSED_PAD src0_sel:DWORD src1_sel:BYTE_1
	v_and_b32_e32 v2, 0x7f, v1
	v_cmpx_ne_u32_e32 0x7f, v2
	s_cbranch_execz .LBB210_96
; %bb.93:                               ;   in Loop: Header=BB210_15 Depth=1
	v_and_b32_e32 v28, 7, v1
	v_lshrrev_b32_e32 v1, 3, v2
	s_mov_b32 s21, exec_lo
	v_cmpx_gt_u32_e32 8, v2
; %bb.94:                               ;   in Loop: Header=BB210_15 Depth=1
	v_ffbh_u32_e32 v1, v28
	v_min_u32_e32 v1, 32, v1
	v_subrev_nc_u32_e32 v2, 28, v1
	v_sub_nc_u32_e32 v1, 29, v1
	v_lshlrev_b64 v[2:3], v2, v[28:29]
	v_and_b32_e32 v28, 7, v2
; %bb.95:                               ;   in Loop: Header=BB210_15 Depth=1
	s_or_b32 exec_lo, exec_lo, s21
	v_lshlrev_b32_e32 v2, 16, v0
	v_lshlrev_b32_e32 v3, 20, v28
	v_lshl_add_u32 v1, v1, 23, 0x3c000000
	v_and_b32_e32 v2, 0x80000000, v2
	v_or3_b32 v2, v3, v2, v1
	v_mov_b32_e32 v1, v29
	buffer_store_dword v1, off, s[0:3], s32 offset:292 ; 4-byte Folded Spill
	buffer_store_dword v2, off, s[0:3], s32 offset:296 ; 4-byte Folded Spill
.LBB210_96:                             ;   in Loop: Header=BB210_15 Depth=1
	s_or_b32 exec_lo, exec_lo, s20
.LBB210_97:                             ;   in Loop: Header=BB210_15 Depth=1
	s_or_b32 exec_lo, exec_lo, s19
.LBB210_98:                             ;   in Loop: Header=BB210_15 Depth=1
	s_or_b32 exec_lo, exec_lo, s18
	v_mov_b32_e32 v2, 0
	v_mov_b32_e32 v3, 0
	;; [unrolled: 1-line block ×3, first 2 shown]
	s_mov_b32 s18, exec_lo
	buffer_store_dword v2, off, s[0:3], s32 offset:300 ; 4-byte Folded Spill
	buffer_store_dword v3, off, s[0:3], s32 offset:304 ; 4-byte Folded Spill
	v_mov_b32_e32 v2, 0
	v_and_b32_sdwa v1, v0, v1 dst_sel:DWORD dst_unused:UNUSED_PAD src0_sel:WORD_1 src1_sel:DWORD
	v_mov_b32_e32 v3, 0
	buffer_store_dword v2, off, s[0:3], s32 offset:308 ; 4-byte Folded Spill
	buffer_store_dword v3, off, s[0:3], s32 offset:312 ; 4-byte Folded Spill
	v_cmpx_ne_u16_e32 0, v1
	s_cbranch_execz .LBB210_106
; %bb.99:                               ;   in Loop: Header=BB210_15 Depth=1
	v_cmp_ne_u16_e64 s5, 0x80, v1
	v_bfrev_b32_e32 v1, 1
	v_mov_b32_e32 v2, 0
	buffer_store_dword v1, off, s[0:3], s32 offset:308 ; 4-byte Folded Spill
	buffer_store_dword v2, off, s[0:3], s32 offset:312 ; 4-byte Folded Spill
	s_and_saveexec_b32 s19, s5
	s_cbranch_execz .LBB210_105
; %bb.100:                              ;   in Loop: Header=BB210_15 Depth=1
	v_mov_b32_e32 v3, 0x7f800001
	v_bfe_u32 v2, v0, 16, 7
	v_mov_b32_e32 v4, 0
	s_mov_b32 s20, exec_lo
	buffer_store_dword v3, off, s[0:3], s32 offset:308 ; 4-byte Folded Spill
	buffer_store_dword v4, off, s[0:3], s32 offset:312 ; 4-byte Folded Spill
	v_cmpx_ne_u32_e32 0x7f, v2
	s_cbranch_execz .LBB210_104
; %bb.101:                              ;   in Loop: Header=BB210_15 Depth=1
	v_mov_b32_e32 v1, 7
	s_mov_b32 s21, exec_lo
	v_and_b32_sdwa v28, v0, v1 dst_sel:DWORD dst_unused:UNUSED_PAD src0_sel:WORD_1 src1_sel:DWORD
	v_lshrrev_b32_e32 v1, 3, v2
	v_cmpx_gt_u32_e32 8, v2
; %bb.102:                              ;   in Loop: Header=BB210_15 Depth=1
	v_ffbh_u32_e32 v1, v28
	v_min_u32_e32 v1, 32, v1
	v_subrev_nc_u32_e32 v2, 28, v1
	v_sub_nc_u32_e32 v1, 29, v1
	v_lshlrev_b64 v[2:3], v2, v[28:29]
	v_and_b32_e32 v28, 7, v2
; %bb.103:                              ;   in Loop: Header=BB210_15 Depth=1
	s_or_b32 exec_lo, exec_lo, s21
	v_mov_b32_e32 v2, 24
	v_lshlrev_b32_e32 v3, 20, v28
	v_lshl_add_u32 v1, v1, 23, 0x3c000000
	v_lshlrev_b32_sdwa v2, v2, v0 dst_sel:DWORD dst_unused:UNUSED_PAD src0_sel:DWORD src1_sel:WORD_1
	v_and_b32_e32 v2, 0x80000000, v2
	v_or3_b32 v28, v3, v2, v1
	buffer_store_dword v28, off, s[0:3], s32 offset:308 ; 4-byte Folded Spill
	buffer_store_dword v29, off, s[0:3], s32 offset:312 ; 4-byte Folded Spill
.LBB210_104:                            ;   in Loop: Header=BB210_15 Depth=1
	s_or_b32 exec_lo, exec_lo, s20
.LBB210_105:                            ;   in Loop: Header=BB210_15 Depth=1
	s_or_b32 exec_lo, exec_lo, s19
.LBB210_106:                            ;   in Loop: Header=BB210_15 Depth=1
	s_or_b32 exec_lo, exec_lo, s18
	s_mov_b32 s18, exec_lo
	v_cmpx_lt_u32_e32 0xffffff, v0
	s_cbranch_execz .LBB210_114
; %bb.107:                              ;   in Loop: Header=BB210_15 Depth=1
	v_mov_b32_e32 v1, 0x80
	v_mov_b32_e32 v18, v29
	buffer_store_dword v18, off, s[0:3], s32 offset:300 ; 4-byte Folded Spill
	buffer_store_dword v19, off, s[0:3], s32 offset:304 ; 4-byte Folded Spill
	v_cmp_ne_u32_sdwa s5, v0, v1 src0_sel:BYTE_3 src1_sel:DWORD
	s_and_saveexec_b32 s19, s5
	s_cbranch_execz .LBB210_113
; %bb.108:                              ;   in Loop: Header=BB210_15 Depth=1
	v_bfe_u32 v2, v0, 24, 7
	v_mov_b32_e32 v42, v29
	s_mov_b32 s20, exec_lo
	buffer_store_dword v42, off, s[0:3], s32 offset:300 ; 4-byte Folded Spill
	buffer_store_dword v43, off, s[0:3], s32 offset:304 ; 4-byte Folded Spill
	v_cmpx_ne_u32_e32 0x7f, v2
	s_cbranch_execz .LBB210_112
; %bb.109:                              ;   in Loop: Header=BB210_15 Depth=1
	v_mov_b32_e32 v1, 7
	s_mov_b32 s21, exec_lo
	v_and_b32_sdwa v28, v0, v1 dst_sel:DWORD dst_unused:UNUSED_PAD src0_sel:BYTE_3 src1_sel:DWORD
	v_lshrrev_b32_e32 v1, 3, v2
	v_cmpx_gt_u32_e32 8, v2
; %bb.110:                              ;   in Loop: Header=BB210_15 Depth=1
	v_ffbh_u32_e32 v1, v28
	v_min_u32_e32 v1, 32, v1
	v_subrev_nc_u32_e32 v2, 28, v1
	v_sub_nc_u32_e32 v1, 29, v1
	v_lshlrev_b64 v[2:3], v2, v[28:29]
	v_and_b32_e32 v28, 7, v2
; %bb.111:                              ;   in Loop: Header=BB210_15 Depth=1
	s_or_b32 exec_lo, exec_lo, s21
	v_mov_b32_e32 v2, 24
	v_lshl_add_u32 v1, v1, 23, 0x3c000000
	v_lshlrev_b32_sdwa v0, v2, v0 dst_sel:DWORD dst_unused:UNUSED_PAD src0_sel:DWORD src1_sel:BYTE_3
	v_lshlrev_b32_e32 v2, 20, v28
	v_and_b32_e32 v0, 0x80000000, v0
	v_or3_b32 v1, v2, v0, v1
	v_mov_b32_e32 v0, v29
	buffer_store_dword v0, off, s[0:3], s32 offset:300 ; 4-byte Folded Spill
	buffer_store_dword v1, off, s[0:3], s32 offset:304 ; 4-byte Folded Spill
.LBB210_112:                            ;   in Loop: Header=BB210_15 Depth=1
	s_or_b32 exec_lo, exec_lo, s20
.LBB210_113:                            ;   in Loop: Header=BB210_15 Depth=1
	s_or_b32 exec_lo, exec_lo, s19
.LBB210_114:                            ;   in Loop: Header=BB210_15 Depth=1
	s_or_b32 exec_lo, exec_lo, s18
	flat_load_dword v0, v[22:23] offset:12
	v_mov_b32_e32 v1, 0
	v_mov_b32_e32 v2, 0
	buffer_store_dword v1, off, s[0:3], s32 offset:324 ; 4-byte Folded Spill
	buffer_store_dword v2, off, s[0:3], s32 offset:328 ; 4-byte Folded Spill
	v_mov_b32_e32 v1, 0
	v_mov_b32_e32 v2, 0
	buffer_store_dword v1, off, s[0:3], s32 offset:316 ; 4-byte Folded Spill
	buffer_store_dword v2, off, s[0:3], s32 offset:320 ; 4-byte Folded Spill
	s_waitcnt vmcnt(0) lgkmcnt(0)
	v_cmp_ne_u16_sdwa s5, v0, v29 src0_sel:BYTE_0 src1_sel:DWORD
	s_and_saveexec_b32 s18, s5
	s_cbranch_execz .LBB210_122
; %bb.115:                              ;   in Loop: Header=BB210_15 Depth=1
	v_bfrev_b32_e32 v1, 1
	v_mov_b32_e32 v2, 0
	buffer_store_dword v1, off, s[0:3], s32 offset:316 ; 4-byte Folded Spill
	buffer_store_dword v2, off, s[0:3], s32 offset:320 ; 4-byte Folded Spill
	v_mov_b32_e32 v1, 0x80
	v_cmp_ne_u16_sdwa s5, v0, v1 src0_sel:BYTE_0 src1_sel:DWORD
	s_and_saveexec_b32 s19, s5
	s_cbranch_execz .LBB210_121
; %bb.116:                              ;   in Loop: Header=BB210_15 Depth=1
	v_mov_b32_e32 v3, 0x7f800001
	v_and_b32_e32 v2, 0x7f, v0
	v_mov_b32_e32 v4, 0
	s_mov_b32 s20, exec_lo
	buffer_store_dword v3, off, s[0:3], s32 offset:316 ; 4-byte Folded Spill
	buffer_store_dword v4, off, s[0:3], s32 offset:320 ; 4-byte Folded Spill
	v_cmpx_ne_u32_e32 0x7f, v2
	s_cbranch_execz .LBB210_120
; %bb.117:                              ;   in Loop: Header=BB210_15 Depth=1
	v_and_b32_e32 v28, 7, v0
	v_lshrrev_b32_e32 v1, 3, v2
	s_mov_b32 s21, exec_lo
	v_cmpx_gt_u32_e32 8, v2
; %bb.118:                              ;   in Loop: Header=BB210_15 Depth=1
	v_ffbh_u32_e32 v1, v28
	v_min_u32_e32 v1, 32, v1
	v_subrev_nc_u32_e32 v2, 28, v1
	v_sub_nc_u32_e32 v1, 29, v1
	v_lshlrev_b64 v[2:3], v2, v[28:29]
	v_and_b32_e32 v28, 7, v2
; %bb.119:                              ;   in Loop: Header=BB210_15 Depth=1
	s_or_b32 exec_lo, exec_lo, s21
	v_lshlrev_b32_e32 v2, 24, v0
	v_lshlrev_b32_e32 v3, 20, v28
	v_lshl_add_u32 v1, v1, 23, 0x3c000000
	v_and_b32_e32 v2, 0x80000000, v2
	v_or3_b32 v28, v3, v2, v1
	buffer_store_dword v28, off, s[0:3], s32 offset:316 ; 4-byte Folded Spill
	buffer_store_dword v29, off, s[0:3], s32 offset:320 ; 4-byte Folded Spill
.LBB210_120:                            ;   in Loop: Header=BB210_15 Depth=1
	s_or_b32 exec_lo, exec_lo, s20
.LBB210_121:                            ;   in Loop: Header=BB210_15 Depth=1
	s_or_b32 exec_lo, exec_lo, s19
.LBB210_122:                            ;   in Loop: Header=BB210_15 Depth=1
	s_or_b32 exec_lo, exec_lo, s18
	v_cmp_ne_u16_sdwa s5, v0, v29 src0_sel:BYTE_1 src1_sel:DWORD
	s_and_saveexec_b32 s18, s5
	s_cbranch_execz .LBB210_130
; %bb.123:                              ;   in Loop: Header=BB210_15 Depth=1
	v_mov_b32_e32 v1, 0x80
	v_mov_b32_e32 v18, v29
	buffer_store_dword v18, off, s[0:3], s32 offset:324 ; 4-byte Folded Spill
	buffer_store_dword v19, off, s[0:3], s32 offset:328 ; 4-byte Folded Spill
	v_cmp_ne_u16_sdwa s5, v0, v1 src0_sel:BYTE_1 src1_sel:DWORD
	s_and_saveexec_b32 s19, s5
	s_cbranch_execz .LBB210_129
; %bb.124:                              ;   in Loop: Header=BB210_15 Depth=1
	v_mov_b32_e32 v1, 0xffff
	v_mov_b32_e32 v42, v29
	s_mov_b32 s20, exec_lo
	buffer_store_dword v42, off, s[0:3], s32 offset:324 ; 4-byte Folded Spill
	buffer_store_dword v43, off, s[0:3], s32 offset:328 ; 4-byte Folded Spill
	v_and_b32_sdwa v1, v1, v0 dst_sel:DWORD dst_unused:UNUSED_PAD src0_sel:DWORD src1_sel:BYTE_1
	v_and_b32_e32 v2, 0x7f, v1
	v_cmpx_ne_u32_e32 0x7f, v2
	s_cbranch_execz .LBB210_128
; %bb.125:                              ;   in Loop: Header=BB210_15 Depth=1
	v_and_b32_e32 v28, 7, v1
	v_lshrrev_b32_e32 v1, 3, v2
	s_mov_b32 s21, exec_lo
	v_cmpx_gt_u32_e32 8, v2
; %bb.126:                              ;   in Loop: Header=BB210_15 Depth=1
	v_ffbh_u32_e32 v1, v28
	v_min_u32_e32 v1, 32, v1
	v_subrev_nc_u32_e32 v2, 28, v1
	v_sub_nc_u32_e32 v1, 29, v1
	v_lshlrev_b64 v[2:3], v2, v[28:29]
	v_and_b32_e32 v28, 7, v2
; %bb.127:                              ;   in Loop: Header=BB210_15 Depth=1
	s_or_b32 exec_lo, exec_lo, s21
	v_lshlrev_b32_e32 v2, 16, v0
	v_lshlrev_b32_e32 v3, 20, v28
	v_lshl_add_u32 v1, v1, 23, 0x3c000000
	v_and_b32_e32 v2, 0x80000000, v2
	v_or3_b32 v2, v3, v2, v1
	v_mov_b32_e32 v1, v29
	buffer_store_dword v1, off, s[0:3], s32 offset:324 ; 4-byte Folded Spill
	buffer_store_dword v2, off, s[0:3], s32 offset:328 ; 4-byte Folded Spill
.LBB210_128:                            ;   in Loop: Header=BB210_15 Depth=1
	s_or_b32 exec_lo, exec_lo, s20
.LBB210_129:                            ;   in Loop: Header=BB210_15 Depth=1
	s_or_b32 exec_lo, exec_lo, s19
.LBB210_130:                            ;   in Loop: Header=BB210_15 Depth=1
	s_or_b32 exec_lo, exec_lo, s18
	v_mov_b32_e32 v2, 0
	v_mov_b32_e32 v3, 0
	;; [unrolled: 1-line block ×3, first 2 shown]
	s_mov_b32 s18, exec_lo
	buffer_store_dword v2, off, s[0:3], s32 offset:332 ; 4-byte Folded Spill
	buffer_store_dword v3, off, s[0:3], s32 offset:336 ; 4-byte Folded Spill
	v_mov_b32_e32 v2, 0
	v_and_b32_sdwa v1, v0, v1 dst_sel:DWORD dst_unused:UNUSED_PAD src0_sel:WORD_1 src1_sel:DWORD
	v_mov_b32_e32 v3, 0
	buffer_store_dword v2, off, s[0:3], s32 offset:340 ; 4-byte Folded Spill
	buffer_store_dword v3, off, s[0:3], s32 offset:344 ; 4-byte Folded Spill
	v_cmpx_ne_u16_e32 0, v1
	s_cbranch_execz .LBB210_138
; %bb.131:                              ;   in Loop: Header=BB210_15 Depth=1
	v_cmp_ne_u16_e64 s5, 0x80, v1
	v_bfrev_b32_e32 v1, 1
	v_mov_b32_e32 v2, 0
	buffer_store_dword v1, off, s[0:3], s32 offset:340 ; 4-byte Folded Spill
	buffer_store_dword v2, off, s[0:3], s32 offset:344 ; 4-byte Folded Spill
	s_and_saveexec_b32 s19, s5
	s_cbranch_execz .LBB210_137
; %bb.132:                              ;   in Loop: Header=BB210_15 Depth=1
	v_mov_b32_e32 v3, 0x7f800001
	v_bfe_u32 v2, v0, 16, 7
	v_mov_b32_e32 v4, 0
	s_mov_b32 s20, exec_lo
	buffer_store_dword v3, off, s[0:3], s32 offset:340 ; 4-byte Folded Spill
	buffer_store_dword v4, off, s[0:3], s32 offset:344 ; 4-byte Folded Spill
	v_cmpx_ne_u32_e32 0x7f, v2
	s_cbranch_execz .LBB210_136
; %bb.133:                              ;   in Loop: Header=BB210_15 Depth=1
	v_mov_b32_e32 v1, 7
	s_mov_b32 s21, exec_lo
	v_and_b32_sdwa v28, v0, v1 dst_sel:DWORD dst_unused:UNUSED_PAD src0_sel:WORD_1 src1_sel:DWORD
	v_lshrrev_b32_e32 v1, 3, v2
	v_cmpx_gt_u32_e32 8, v2
; %bb.134:                              ;   in Loop: Header=BB210_15 Depth=1
	v_ffbh_u32_e32 v1, v28
	v_min_u32_e32 v1, 32, v1
	v_subrev_nc_u32_e32 v2, 28, v1
	v_sub_nc_u32_e32 v1, 29, v1
	v_lshlrev_b64 v[2:3], v2, v[28:29]
	v_and_b32_e32 v28, 7, v2
; %bb.135:                              ;   in Loop: Header=BB210_15 Depth=1
	s_or_b32 exec_lo, exec_lo, s21
	v_mov_b32_e32 v2, 24
	v_lshlrev_b32_e32 v3, 20, v28
	v_lshl_add_u32 v1, v1, 23, 0x3c000000
	v_lshlrev_b32_sdwa v2, v2, v0 dst_sel:DWORD dst_unused:UNUSED_PAD src0_sel:DWORD src1_sel:WORD_1
	v_and_b32_e32 v2, 0x80000000, v2
	v_or3_b32 v28, v3, v2, v1
	buffer_store_dword v28, off, s[0:3], s32 offset:340 ; 4-byte Folded Spill
	buffer_store_dword v29, off, s[0:3], s32 offset:344 ; 4-byte Folded Spill
.LBB210_136:                            ;   in Loop: Header=BB210_15 Depth=1
	s_or_b32 exec_lo, exec_lo, s20
.LBB210_137:                            ;   in Loop: Header=BB210_15 Depth=1
	s_or_b32 exec_lo, exec_lo, s19
.LBB210_138:                            ;   in Loop: Header=BB210_15 Depth=1
	s_or_b32 exec_lo, exec_lo, s18
	s_mov_b32 s18, exec_lo
	v_cmpx_lt_u32_e32 0xffffff, v0
	s_cbranch_execz .LBB210_146
; %bb.139:                              ;   in Loop: Header=BB210_15 Depth=1
	v_mov_b32_e32 v1, 0x80
	v_mov_b32_e32 v18, v29
	buffer_store_dword v18, off, s[0:3], s32 offset:332 ; 4-byte Folded Spill
	buffer_store_dword v19, off, s[0:3], s32 offset:336 ; 4-byte Folded Spill
	v_cmp_ne_u32_sdwa s5, v0, v1 src0_sel:BYTE_3 src1_sel:DWORD
	s_and_saveexec_b32 s19, s5
	s_cbranch_execz .LBB210_145
; %bb.140:                              ;   in Loop: Header=BB210_15 Depth=1
	v_bfe_u32 v2, v0, 24, 7
	v_mov_b32_e32 v42, v29
	s_mov_b32 s20, exec_lo
	buffer_store_dword v42, off, s[0:3], s32 offset:332 ; 4-byte Folded Spill
	buffer_store_dword v43, off, s[0:3], s32 offset:336 ; 4-byte Folded Spill
	v_cmpx_ne_u32_e32 0x7f, v2
	s_cbranch_execz .LBB210_144
; %bb.141:                              ;   in Loop: Header=BB210_15 Depth=1
	v_mov_b32_e32 v1, 7
	s_mov_b32 s21, exec_lo
	v_and_b32_sdwa v28, v0, v1 dst_sel:DWORD dst_unused:UNUSED_PAD src0_sel:BYTE_3 src1_sel:DWORD
	v_lshrrev_b32_e32 v1, 3, v2
	v_cmpx_gt_u32_e32 8, v2
; %bb.142:                              ;   in Loop: Header=BB210_15 Depth=1
	v_ffbh_u32_e32 v1, v28
	v_min_u32_e32 v1, 32, v1
	v_subrev_nc_u32_e32 v2, 28, v1
	v_sub_nc_u32_e32 v1, 29, v1
	v_lshlrev_b64 v[2:3], v2, v[28:29]
	v_and_b32_e32 v28, 7, v2
; %bb.143:                              ;   in Loop: Header=BB210_15 Depth=1
	s_or_b32 exec_lo, exec_lo, s21
	v_mov_b32_e32 v2, 24
	v_lshl_add_u32 v1, v1, 23, 0x3c000000
	v_lshlrev_b32_sdwa v0, v2, v0 dst_sel:DWORD dst_unused:UNUSED_PAD src0_sel:DWORD src1_sel:BYTE_3
	v_lshlrev_b32_e32 v2, 20, v28
	v_and_b32_e32 v0, 0x80000000, v0
	v_or3_b32 v1, v2, v0, v1
	v_mov_b32_e32 v0, v29
	buffer_store_dword v0, off, s[0:3], s32 offset:332 ; 4-byte Folded Spill
	buffer_store_dword v1, off, s[0:3], s32 offset:336 ; 4-byte Folded Spill
.LBB210_144:                            ;   in Loop: Header=BB210_15 Depth=1
	s_or_b32 exec_lo, exec_lo, s20
.LBB210_145:                            ;   in Loop: Header=BB210_15 Depth=1
	s_or_b32 exec_lo, exec_lo, s19
.LBB210_146:                            ;   in Loop: Header=BB210_15 Depth=1
	s_or_b32 exec_lo, exec_lo, s18
	flat_load_dword v0, v[22:23] offset:512
	v_mov_b32_e32 v1, 0
	v_mov_b32_e32 v2, 0
	buffer_store_dword v1, off, s[0:3], s32 offset:356 ; 4-byte Folded Spill
	buffer_store_dword v2, off, s[0:3], s32 offset:360 ; 4-byte Folded Spill
	v_mov_b32_e32 v1, 0
	v_mov_b32_e32 v2, 0
	buffer_store_dword v1, off, s[0:3], s32 offset:348 ; 4-byte Folded Spill
	buffer_store_dword v2, off, s[0:3], s32 offset:352 ; 4-byte Folded Spill
	s_waitcnt vmcnt(0) lgkmcnt(0)
	v_cmp_ne_u16_sdwa s5, v0, v29 src0_sel:BYTE_0 src1_sel:DWORD
	s_and_saveexec_b32 s18, s5
	s_cbranch_execz .LBB210_154
; %bb.147:                              ;   in Loop: Header=BB210_15 Depth=1
	v_bfrev_b32_e32 v1, 1
	v_mov_b32_e32 v2, 0
	buffer_store_dword v1, off, s[0:3], s32 offset:348 ; 4-byte Folded Spill
	buffer_store_dword v2, off, s[0:3], s32 offset:352 ; 4-byte Folded Spill
	v_mov_b32_e32 v1, 0x80
	v_cmp_ne_u16_sdwa s5, v0, v1 src0_sel:BYTE_0 src1_sel:DWORD
	s_and_saveexec_b32 s19, s5
	s_cbranch_execz .LBB210_153
; %bb.148:                              ;   in Loop: Header=BB210_15 Depth=1
	v_mov_b32_e32 v3, 0x7f800001
	v_and_b32_e32 v2, 0x7f, v0
	v_mov_b32_e32 v4, 0
	s_mov_b32 s20, exec_lo
	buffer_store_dword v3, off, s[0:3], s32 offset:348 ; 4-byte Folded Spill
	buffer_store_dword v4, off, s[0:3], s32 offset:352 ; 4-byte Folded Spill
	v_cmpx_ne_u32_e32 0x7f, v2
	s_cbranch_execz .LBB210_152
; %bb.149:                              ;   in Loop: Header=BB210_15 Depth=1
	v_and_b32_e32 v28, 7, v0
	v_lshrrev_b32_e32 v1, 3, v2
	s_mov_b32 s21, exec_lo
	v_cmpx_gt_u32_e32 8, v2
; %bb.150:                              ;   in Loop: Header=BB210_15 Depth=1
	v_ffbh_u32_e32 v1, v28
	v_min_u32_e32 v1, 32, v1
	v_subrev_nc_u32_e32 v2, 28, v1
	v_sub_nc_u32_e32 v1, 29, v1
	v_lshlrev_b64 v[2:3], v2, v[28:29]
	v_and_b32_e32 v28, 7, v2
; %bb.151:                              ;   in Loop: Header=BB210_15 Depth=1
	s_or_b32 exec_lo, exec_lo, s21
	v_lshlrev_b32_e32 v2, 24, v0
	v_lshlrev_b32_e32 v3, 20, v28
	v_lshl_add_u32 v1, v1, 23, 0x3c000000
	v_and_b32_e32 v2, 0x80000000, v2
	v_or3_b32 v28, v3, v2, v1
	buffer_store_dword v28, off, s[0:3], s32 offset:348 ; 4-byte Folded Spill
	buffer_store_dword v29, off, s[0:3], s32 offset:352 ; 4-byte Folded Spill
.LBB210_152:                            ;   in Loop: Header=BB210_15 Depth=1
	s_or_b32 exec_lo, exec_lo, s20
.LBB210_153:                            ;   in Loop: Header=BB210_15 Depth=1
	s_or_b32 exec_lo, exec_lo, s19
.LBB210_154:                            ;   in Loop: Header=BB210_15 Depth=1
	s_or_b32 exec_lo, exec_lo, s18
	v_cmp_ne_u16_sdwa s5, v0, v29 src0_sel:BYTE_1 src1_sel:DWORD
	s_and_saveexec_b32 s18, s5
	s_cbranch_execz .LBB210_162
; %bb.155:                              ;   in Loop: Header=BB210_15 Depth=1
	v_mov_b32_e32 v1, 0x80
	v_mov_b32_e32 v18, v29
	buffer_store_dword v18, off, s[0:3], s32 offset:356 ; 4-byte Folded Spill
	buffer_store_dword v19, off, s[0:3], s32 offset:360 ; 4-byte Folded Spill
	v_cmp_ne_u16_sdwa s5, v0, v1 src0_sel:BYTE_1 src1_sel:DWORD
	s_and_saveexec_b32 s19, s5
	s_cbranch_execz .LBB210_161
; %bb.156:                              ;   in Loop: Header=BB210_15 Depth=1
	v_mov_b32_e32 v1, 0xffff
	v_mov_b32_e32 v42, v29
	s_mov_b32 s20, exec_lo
	buffer_store_dword v42, off, s[0:3], s32 offset:356 ; 4-byte Folded Spill
	buffer_store_dword v43, off, s[0:3], s32 offset:360 ; 4-byte Folded Spill
	v_and_b32_sdwa v1, v1, v0 dst_sel:DWORD dst_unused:UNUSED_PAD src0_sel:DWORD src1_sel:BYTE_1
	v_and_b32_e32 v2, 0x7f, v1
	v_cmpx_ne_u32_e32 0x7f, v2
	s_cbranch_execz .LBB210_160
; %bb.157:                              ;   in Loop: Header=BB210_15 Depth=1
	v_and_b32_e32 v28, 7, v1
	v_lshrrev_b32_e32 v1, 3, v2
	s_mov_b32 s21, exec_lo
	v_cmpx_gt_u32_e32 8, v2
; %bb.158:                              ;   in Loop: Header=BB210_15 Depth=1
	v_ffbh_u32_e32 v1, v28
	v_min_u32_e32 v1, 32, v1
	v_subrev_nc_u32_e32 v2, 28, v1
	v_sub_nc_u32_e32 v1, 29, v1
	v_lshlrev_b64 v[2:3], v2, v[28:29]
	v_and_b32_e32 v28, 7, v2
; %bb.159:                              ;   in Loop: Header=BB210_15 Depth=1
	s_or_b32 exec_lo, exec_lo, s21
	v_lshlrev_b32_e32 v2, 16, v0
	v_lshlrev_b32_e32 v3, 20, v28
	v_lshl_add_u32 v1, v1, 23, 0x3c000000
	v_and_b32_e32 v2, 0x80000000, v2
	v_or3_b32 v2, v3, v2, v1
	v_mov_b32_e32 v1, v29
	buffer_store_dword v1, off, s[0:3], s32 offset:356 ; 4-byte Folded Spill
	buffer_store_dword v2, off, s[0:3], s32 offset:360 ; 4-byte Folded Spill
.LBB210_160:                            ;   in Loop: Header=BB210_15 Depth=1
	s_or_b32 exec_lo, exec_lo, s20
.LBB210_161:                            ;   in Loop: Header=BB210_15 Depth=1
	s_or_b32 exec_lo, exec_lo, s19
.LBB210_162:                            ;   in Loop: Header=BB210_15 Depth=1
	s_or_b32 exec_lo, exec_lo, s18
	v_mov_b32_e32 v2, 0
	v_mov_b32_e32 v3, 0
	;; [unrolled: 1-line block ×3, first 2 shown]
	s_mov_b32 s18, exec_lo
	buffer_store_dword v2, off, s[0:3], s32 offset:364 ; 4-byte Folded Spill
	buffer_store_dword v3, off, s[0:3], s32 offset:368 ; 4-byte Folded Spill
	v_mov_b32_e32 v2, 0
	v_and_b32_sdwa v1, v0, v1 dst_sel:DWORD dst_unused:UNUSED_PAD src0_sel:WORD_1 src1_sel:DWORD
	v_mov_b32_e32 v3, 0
	buffer_store_dword v2, off, s[0:3], s32 offset:372 ; 4-byte Folded Spill
	buffer_store_dword v3, off, s[0:3], s32 offset:376 ; 4-byte Folded Spill
	v_cmpx_ne_u16_e32 0, v1
	s_cbranch_execz .LBB210_170
; %bb.163:                              ;   in Loop: Header=BB210_15 Depth=1
	v_cmp_ne_u16_e64 s5, 0x80, v1
	v_bfrev_b32_e32 v1, 1
	v_mov_b32_e32 v2, 0
	buffer_store_dword v1, off, s[0:3], s32 offset:372 ; 4-byte Folded Spill
	buffer_store_dword v2, off, s[0:3], s32 offset:376 ; 4-byte Folded Spill
	s_and_saveexec_b32 s19, s5
	s_cbranch_execz .LBB210_169
; %bb.164:                              ;   in Loop: Header=BB210_15 Depth=1
	v_mov_b32_e32 v3, 0x7f800001
	v_bfe_u32 v2, v0, 16, 7
	v_mov_b32_e32 v4, 0
	s_mov_b32 s20, exec_lo
	buffer_store_dword v3, off, s[0:3], s32 offset:372 ; 4-byte Folded Spill
	buffer_store_dword v4, off, s[0:3], s32 offset:376 ; 4-byte Folded Spill
	v_cmpx_ne_u32_e32 0x7f, v2
	s_cbranch_execz .LBB210_168
; %bb.165:                              ;   in Loop: Header=BB210_15 Depth=1
	v_mov_b32_e32 v1, 7
	s_mov_b32 s21, exec_lo
	v_and_b32_sdwa v28, v0, v1 dst_sel:DWORD dst_unused:UNUSED_PAD src0_sel:WORD_1 src1_sel:DWORD
	v_lshrrev_b32_e32 v1, 3, v2
	v_cmpx_gt_u32_e32 8, v2
; %bb.166:                              ;   in Loop: Header=BB210_15 Depth=1
	v_ffbh_u32_e32 v1, v28
	v_min_u32_e32 v1, 32, v1
	v_subrev_nc_u32_e32 v2, 28, v1
	v_sub_nc_u32_e32 v1, 29, v1
	v_lshlrev_b64 v[2:3], v2, v[28:29]
	v_and_b32_e32 v28, 7, v2
; %bb.167:                              ;   in Loop: Header=BB210_15 Depth=1
	s_or_b32 exec_lo, exec_lo, s21
	v_mov_b32_e32 v2, 24
	v_lshlrev_b32_e32 v3, 20, v28
	v_lshl_add_u32 v1, v1, 23, 0x3c000000
	v_lshlrev_b32_sdwa v2, v2, v0 dst_sel:DWORD dst_unused:UNUSED_PAD src0_sel:DWORD src1_sel:WORD_1
	v_and_b32_e32 v2, 0x80000000, v2
	v_or3_b32 v28, v3, v2, v1
	buffer_store_dword v28, off, s[0:3], s32 offset:372 ; 4-byte Folded Spill
	buffer_store_dword v29, off, s[0:3], s32 offset:376 ; 4-byte Folded Spill
.LBB210_168:                            ;   in Loop: Header=BB210_15 Depth=1
	s_or_b32 exec_lo, exec_lo, s20
.LBB210_169:                            ;   in Loop: Header=BB210_15 Depth=1
	s_or_b32 exec_lo, exec_lo, s19
.LBB210_170:                            ;   in Loop: Header=BB210_15 Depth=1
	s_or_b32 exec_lo, exec_lo, s18
	s_mov_b32 s18, exec_lo
	v_cmpx_lt_u32_e32 0xffffff, v0
	s_cbranch_execz .LBB210_178
; %bb.171:                              ;   in Loop: Header=BB210_15 Depth=1
	v_mov_b32_e32 v1, 0x80
	v_mov_b32_e32 v18, v29
	buffer_store_dword v18, off, s[0:3], s32 offset:364 ; 4-byte Folded Spill
	buffer_store_dword v19, off, s[0:3], s32 offset:368 ; 4-byte Folded Spill
	v_cmp_ne_u32_sdwa s5, v0, v1 src0_sel:BYTE_3 src1_sel:DWORD
	s_and_saveexec_b32 s19, s5
	s_cbranch_execz .LBB210_177
; %bb.172:                              ;   in Loop: Header=BB210_15 Depth=1
	v_bfe_u32 v2, v0, 24, 7
	v_mov_b32_e32 v42, v29
	s_mov_b32 s20, exec_lo
	buffer_store_dword v42, off, s[0:3], s32 offset:364 ; 4-byte Folded Spill
	buffer_store_dword v43, off, s[0:3], s32 offset:368 ; 4-byte Folded Spill
	v_cmpx_ne_u32_e32 0x7f, v2
	s_cbranch_execz .LBB210_176
; %bb.173:                              ;   in Loop: Header=BB210_15 Depth=1
	v_mov_b32_e32 v1, 7
	s_mov_b32 s21, exec_lo
	v_and_b32_sdwa v28, v0, v1 dst_sel:DWORD dst_unused:UNUSED_PAD src0_sel:BYTE_3 src1_sel:DWORD
	v_lshrrev_b32_e32 v1, 3, v2
	v_cmpx_gt_u32_e32 8, v2
; %bb.174:                              ;   in Loop: Header=BB210_15 Depth=1
	v_ffbh_u32_e32 v1, v28
	v_min_u32_e32 v1, 32, v1
	v_subrev_nc_u32_e32 v2, 28, v1
	v_sub_nc_u32_e32 v1, 29, v1
	v_lshlrev_b64 v[2:3], v2, v[28:29]
	v_and_b32_e32 v28, 7, v2
; %bb.175:                              ;   in Loop: Header=BB210_15 Depth=1
	s_or_b32 exec_lo, exec_lo, s21
	v_mov_b32_e32 v2, 24
	v_lshl_add_u32 v1, v1, 23, 0x3c000000
	v_lshlrev_b32_sdwa v0, v2, v0 dst_sel:DWORD dst_unused:UNUSED_PAD src0_sel:DWORD src1_sel:BYTE_3
	v_lshlrev_b32_e32 v2, 20, v28
	v_and_b32_e32 v0, 0x80000000, v0
	v_or3_b32 v1, v2, v0, v1
	v_mov_b32_e32 v0, v29
	buffer_store_dword v0, off, s[0:3], s32 offset:364 ; 4-byte Folded Spill
	buffer_store_dword v1, off, s[0:3], s32 offset:368 ; 4-byte Folded Spill
.LBB210_176:                            ;   in Loop: Header=BB210_15 Depth=1
	s_or_b32 exec_lo, exec_lo, s20
.LBB210_177:                            ;   in Loop: Header=BB210_15 Depth=1
	s_or_b32 exec_lo, exec_lo, s19
.LBB210_178:                            ;   in Loop: Header=BB210_15 Depth=1
	s_or_b32 exec_lo, exec_lo, s18
	flat_load_dword v0, v[22:23] offset:516
	v_mov_b32_e32 v1, 0
	v_mov_b32_e32 v2, 0
	buffer_store_dword v1, off, s[0:3], s32 offset:388 ; 4-byte Folded Spill
	buffer_store_dword v2, off, s[0:3], s32 offset:392 ; 4-byte Folded Spill
	v_mov_b32_e32 v1, 0
	v_mov_b32_e32 v2, 0
	buffer_store_dword v1, off, s[0:3], s32 offset:380 ; 4-byte Folded Spill
	buffer_store_dword v2, off, s[0:3], s32 offset:384 ; 4-byte Folded Spill
	s_waitcnt vmcnt(0) lgkmcnt(0)
	v_cmp_ne_u16_sdwa s5, v0, v29 src0_sel:BYTE_0 src1_sel:DWORD
	s_and_saveexec_b32 s18, s5
	s_cbranch_execz .LBB210_186
; %bb.179:                              ;   in Loop: Header=BB210_15 Depth=1
	v_bfrev_b32_e32 v1, 1
	v_mov_b32_e32 v2, 0
	buffer_store_dword v1, off, s[0:3], s32 offset:380 ; 4-byte Folded Spill
	buffer_store_dword v2, off, s[0:3], s32 offset:384 ; 4-byte Folded Spill
	v_mov_b32_e32 v1, 0x80
	v_cmp_ne_u16_sdwa s5, v0, v1 src0_sel:BYTE_0 src1_sel:DWORD
	s_and_saveexec_b32 s19, s5
	s_cbranch_execz .LBB210_185
; %bb.180:                              ;   in Loop: Header=BB210_15 Depth=1
	v_mov_b32_e32 v3, 0x7f800001
	v_and_b32_e32 v2, 0x7f, v0
	v_mov_b32_e32 v4, 0
	s_mov_b32 s20, exec_lo
	buffer_store_dword v3, off, s[0:3], s32 offset:380 ; 4-byte Folded Spill
	buffer_store_dword v4, off, s[0:3], s32 offset:384 ; 4-byte Folded Spill
	v_cmpx_ne_u32_e32 0x7f, v2
	s_cbranch_execz .LBB210_184
; %bb.181:                              ;   in Loop: Header=BB210_15 Depth=1
	v_and_b32_e32 v28, 7, v0
	v_lshrrev_b32_e32 v1, 3, v2
	s_mov_b32 s21, exec_lo
	v_cmpx_gt_u32_e32 8, v2
; %bb.182:                              ;   in Loop: Header=BB210_15 Depth=1
	v_ffbh_u32_e32 v1, v28
	v_min_u32_e32 v1, 32, v1
	v_subrev_nc_u32_e32 v2, 28, v1
	v_sub_nc_u32_e32 v1, 29, v1
	v_lshlrev_b64 v[2:3], v2, v[28:29]
	v_and_b32_e32 v28, 7, v2
; %bb.183:                              ;   in Loop: Header=BB210_15 Depth=1
	s_or_b32 exec_lo, exec_lo, s21
	v_lshlrev_b32_e32 v2, 24, v0
	v_lshlrev_b32_e32 v3, 20, v28
	v_lshl_add_u32 v1, v1, 23, 0x3c000000
	v_and_b32_e32 v2, 0x80000000, v2
	v_or3_b32 v28, v3, v2, v1
	buffer_store_dword v28, off, s[0:3], s32 offset:380 ; 4-byte Folded Spill
	buffer_store_dword v29, off, s[0:3], s32 offset:384 ; 4-byte Folded Spill
.LBB210_184:                            ;   in Loop: Header=BB210_15 Depth=1
	s_or_b32 exec_lo, exec_lo, s20
.LBB210_185:                            ;   in Loop: Header=BB210_15 Depth=1
	s_or_b32 exec_lo, exec_lo, s19
.LBB210_186:                            ;   in Loop: Header=BB210_15 Depth=1
	s_or_b32 exec_lo, exec_lo, s18
	v_cmp_ne_u16_sdwa s5, v0, v29 src0_sel:BYTE_1 src1_sel:DWORD
	s_and_saveexec_b32 s18, s5
	s_cbranch_execz .LBB210_194
; %bb.187:                              ;   in Loop: Header=BB210_15 Depth=1
	v_mov_b32_e32 v1, 0x80
	v_mov_b32_e32 v18, v29
	buffer_store_dword v18, off, s[0:3], s32 offset:388 ; 4-byte Folded Spill
	buffer_store_dword v19, off, s[0:3], s32 offset:392 ; 4-byte Folded Spill
	v_cmp_ne_u16_sdwa s5, v0, v1 src0_sel:BYTE_1 src1_sel:DWORD
	s_and_saveexec_b32 s19, s5
	s_cbranch_execz .LBB210_193
; %bb.188:                              ;   in Loop: Header=BB210_15 Depth=1
	v_mov_b32_e32 v1, 0xffff
	v_mov_b32_e32 v42, v29
	s_mov_b32 s20, exec_lo
	buffer_store_dword v42, off, s[0:3], s32 offset:388 ; 4-byte Folded Spill
	buffer_store_dword v43, off, s[0:3], s32 offset:392 ; 4-byte Folded Spill
	v_and_b32_sdwa v1, v1, v0 dst_sel:DWORD dst_unused:UNUSED_PAD src0_sel:DWORD src1_sel:BYTE_1
	v_and_b32_e32 v2, 0x7f, v1
	v_cmpx_ne_u32_e32 0x7f, v2
	s_cbranch_execz .LBB210_192
; %bb.189:                              ;   in Loop: Header=BB210_15 Depth=1
	v_and_b32_e32 v28, 7, v1
	v_lshrrev_b32_e32 v1, 3, v2
	s_mov_b32 s21, exec_lo
	v_cmpx_gt_u32_e32 8, v2
; %bb.190:                              ;   in Loop: Header=BB210_15 Depth=1
	v_ffbh_u32_e32 v1, v28
	v_min_u32_e32 v1, 32, v1
	v_subrev_nc_u32_e32 v2, 28, v1
	v_sub_nc_u32_e32 v1, 29, v1
	v_lshlrev_b64 v[2:3], v2, v[28:29]
	v_and_b32_e32 v28, 7, v2
; %bb.191:                              ;   in Loop: Header=BB210_15 Depth=1
	s_or_b32 exec_lo, exec_lo, s21
	v_lshlrev_b32_e32 v2, 16, v0
	v_lshlrev_b32_e32 v3, 20, v28
	v_lshl_add_u32 v1, v1, 23, 0x3c000000
	v_and_b32_e32 v2, 0x80000000, v2
	v_or3_b32 v2, v3, v2, v1
	v_mov_b32_e32 v1, v29
	buffer_store_dword v1, off, s[0:3], s32 offset:388 ; 4-byte Folded Spill
	buffer_store_dword v2, off, s[0:3], s32 offset:392 ; 4-byte Folded Spill
.LBB210_192:                            ;   in Loop: Header=BB210_15 Depth=1
	s_or_b32 exec_lo, exec_lo, s20
.LBB210_193:                            ;   in Loop: Header=BB210_15 Depth=1
	s_or_b32 exec_lo, exec_lo, s19
.LBB210_194:                            ;   in Loop: Header=BB210_15 Depth=1
	s_or_b32 exec_lo, exec_lo, s18
	v_mov_b32_e32 v2, 0
	v_mov_b32_e32 v3, 0
	;; [unrolled: 1-line block ×3, first 2 shown]
	s_mov_b32 s18, exec_lo
	buffer_store_dword v2, off, s[0:3], s32 offset:396 ; 4-byte Folded Spill
	buffer_store_dword v3, off, s[0:3], s32 offset:400 ; 4-byte Folded Spill
	v_mov_b32_e32 v2, 0
	v_and_b32_sdwa v1, v0, v1 dst_sel:DWORD dst_unused:UNUSED_PAD src0_sel:WORD_1 src1_sel:DWORD
	v_mov_b32_e32 v3, 0
	buffer_store_dword v2, off, s[0:3], s32 offset:404 ; 4-byte Folded Spill
	buffer_store_dword v3, off, s[0:3], s32 offset:408 ; 4-byte Folded Spill
	v_cmpx_ne_u16_e32 0, v1
	s_cbranch_execz .LBB210_202
; %bb.195:                              ;   in Loop: Header=BB210_15 Depth=1
	v_cmp_ne_u16_e64 s5, 0x80, v1
	v_bfrev_b32_e32 v1, 1
	v_mov_b32_e32 v2, 0
	buffer_store_dword v1, off, s[0:3], s32 offset:404 ; 4-byte Folded Spill
	buffer_store_dword v2, off, s[0:3], s32 offset:408 ; 4-byte Folded Spill
	s_and_saveexec_b32 s19, s5
	s_cbranch_execz .LBB210_201
; %bb.196:                              ;   in Loop: Header=BB210_15 Depth=1
	v_mov_b32_e32 v3, 0x7f800001
	v_bfe_u32 v2, v0, 16, 7
	v_mov_b32_e32 v4, 0
	s_mov_b32 s20, exec_lo
	buffer_store_dword v3, off, s[0:3], s32 offset:404 ; 4-byte Folded Spill
	buffer_store_dword v4, off, s[0:3], s32 offset:408 ; 4-byte Folded Spill
	v_cmpx_ne_u32_e32 0x7f, v2
	s_cbranch_execz .LBB210_200
; %bb.197:                              ;   in Loop: Header=BB210_15 Depth=1
	v_mov_b32_e32 v1, 7
	s_mov_b32 s21, exec_lo
	v_and_b32_sdwa v28, v0, v1 dst_sel:DWORD dst_unused:UNUSED_PAD src0_sel:WORD_1 src1_sel:DWORD
	v_lshrrev_b32_e32 v1, 3, v2
	v_cmpx_gt_u32_e32 8, v2
; %bb.198:                              ;   in Loop: Header=BB210_15 Depth=1
	v_ffbh_u32_e32 v1, v28
	v_min_u32_e32 v1, 32, v1
	v_subrev_nc_u32_e32 v2, 28, v1
	v_sub_nc_u32_e32 v1, 29, v1
	v_lshlrev_b64 v[2:3], v2, v[28:29]
	v_and_b32_e32 v28, 7, v2
; %bb.199:                              ;   in Loop: Header=BB210_15 Depth=1
	s_or_b32 exec_lo, exec_lo, s21
	v_mov_b32_e32 v2, 24
	v_lshlrev_b32_e32 v3, 20, v28
	v_lshl_add_u32 v1, v1, 23, 0x3c000000
	v_lshlrev_b32_sdwa v2, v2, v0 dst_sel:DWORD dst_unused:UNUSED_PAD src0_sel:DWORD src1_sel:WORD_1
	v_and_b32_e32 v2, 0x80000000, v2
	v_or3_b32 v28, v3, v2, v1
	buffer_store_dword v28, off, s[0:3], s32 offset:404 ; 4-byte Folded Spill
	buffer_store_dword v29, off, s[0:3], s32 offset:408 ; 4-byte Folded Spill
.LBB210_200:                            ;   in Loop: Header=BB210_15 Depth=1
	s_or_b32 exec_lo, exec_lo, s20
.LBB210_201:                            ;   in Loop: Header=BB210_15 Depth=1
	s_or_b32 exec_lo, exec_lo, s19
.LBB210_202:                            ;   in Loop: Header=BB210_15 Depth=1
	s_or_b32 exec_lo, exec_lo, s18
	s_mov_b32 s18, exec_lo
	v_cmpx_lt_u32_e32 0xffffff, v0
	s_cbranch_execz .LBB210_210
; %bb.203:                              ;   in Loop: Header=BB210_15 Depth=1
	v_mov_b32_e32 v1, 0x80
	v_mov_b32_e32 v18, v29
	buffer_store_dword v18, off, s[0:3], s32 offset:396 ; 4-byte Folded Spill
	buffer_store_dword v19, off, s[0:3], s32 offset:400 ; 4-byte Folded Spill
	v_cmp_ne_u32_sdwa s5, v0, v1 src0_sel:BYTE_3 src1_sel:DWORD
	s_and_saveexec_b32 s19, s5
	s_cbranch_execz .LBB210_209
; %bb.204:                              ;   in Loop: Header=BB210_15 Depth=1
	v_bfe_u32 v2, v0, 24, 7
	v_mov_b32_e32 v42, v29
	s_mov_b32 s20, exec_lo
	buffer_store_dword v42, off, s[0:3], s32 offset:396 ; 4-byte Folded Spill
	buffer_store_dword v43, off, s[0:3], s32 offset:400 ; 4-byte Folded Spill
	v_cmpx_ne_u32_e32 0x7f, v2
	s_cbranch_execz .LBB210_208
; %bb.205:                              ;   in Loop: Header=BB210_15 Depth=1
	v_mov_b32_e32 v1, 7
	s_mov_b32 s21, exec_lo
	v_and_b32_sdwa v28, v0, v1 dst_sel:DWORD dst_unused:UNUSED_PAD src0_sel:BYTE_3 src1_sel:DWORD
	v_lshrrev_b32_e32 v1, 3, v2
	v_cmpx_gt_u32_e32 8, v2
; %bb.206:                              ;   in Loop: Header=BB210_15 Depth=1
	v_ffbh_u32_e32 v1, v28
	v_min_u32_e32 v1, 32, v1
	v_subrev_nc_u32_e32 v2, 28, v1
	v_sub_nc_u32_e32 v1, 29, v1
	v_lshlrev_b64 v[2:3], v2, v[28:29]
	v_and_b32_e32 v28, 7, v2
; %bb.207:                              ;   in Loop: Header=BB210_15 Depth=1
	s_or_b32 exec_lo, exec_lo, s21
	v_mov_b32_e32 v2, 24
	v_lshl_add_u32 v1, v1, 23, 0x3c000000
	v_lshlrev_b32_sdwa v0, v2, v0 dst_sel:DWORD dst_unused:UNUSED_PAD src0_sel:DWORD src1_sel:BYTE_3
	v_lshlrev_b32_e32 v2, 20, v28
	v_and_b32_e32 v0, 0x80000000, v0
	v_or3_b32 v1, v2, v0, v1
	v_mov_b32_e32 v0, v29
	buffer_store_dword v0, off, s[0:3], s32 offset:396 ; 4-byte Folded Spill
	buffer_store_dword v1, off, s[0:3], s32 offset:400 ; 4-byte Folded Spill
.LBB210_208:                            ;   in Loop: Header=BB210_15 Depth=1
	s_or_b32 exec_lo, exec_lo, s20
.LBB210_209:                            ;   in Loop: Header=BB210_15 Depth=1
	s_or_b32 exec_lo, exec_lo, s19
.LBB210_210:                            ;   in Loop: Header=BB210_15 Depth=1
	s_or_b32 exec_lo, exec_lo, s18
	flat_load_dword v0, v[22:23] offset:520
	v_mov_b32_e32 v1, 0
	v_mov_b32_e32 v2, 0
	buffer_store_dword v1, off, s[0:3], s32 offset:420 ; 4-byte Folded Spill
	buffer_store_dword v2, off, s[0:3], s32 offset:424 ; 4-byte Folded Spill
	v_mov_b32_e32 v1, 0
	v_mov_b32_e32 v2, 0
	buffer_store_dword v1, off, s[0:3], s32 offset:412 ; 4-byte Folded Spill
	buffer_store_dword v2, off, s[0:3], s32 offset:416 ; 4-byte Folded Spill
	s_waitcnt vmcnt(0) lgkmcnt(0)
	v_cmp_ne_u16_sdwa s5, v0, v29 src0_sel:BYTE_0 src1_sel:DWORD
	s_and_saveexec_b32 s18, s5
	s_cbranch_execz .LBB210_218
; %bb.211:                              ;   in Loop: Header=BB210_15 Depth=1
	v_bfrev_b32_e32 v1, 1
	v_mov_b32_e32 v2, 0
	buffer_store_dword v1, off, s[0:3], s32 offset:412 ; 4-byte Folded Spill
	buffer_store_dword v2, off, s[0:3], s32 offset:416 ; 4-byte Folded Spill
	v_mov_b32_e32 v1, 0x80
	v_cmp_ne_u16_sdwa s5, v0, v1 src0_sel:BYTE_0 src1_sel:DWORD
	s_and_saveexec_b32 s19, s5
	s_cbranch_execz .LBB210_217
; %bb.212:                              ;   in Loop: Header=BB210_15 Depth=1
	v_mov_b32_e32 v3, 0x7f800001
	v_and_b32_e32 v2, 0x7f, v0
	v_mov_b32_e32 v4, 0
	s_mov_b32 s20, exec_lo
	buffer_store_dword v3, off, s[0:3], s32 offset:412 ; 4-byte Folded Spill
	buffer_store_dword v4, off, s[0:3], s32 offset:416 ; 4-byte Folded Spill
	v_cmpx_ne_u32_e32 0x7f, v2
	s_cbranch_execz .LBB210_216
; %bb.213:                              ;   in Loop: Header=BB210_15 Depth=1
	v_and_b32_e32 v28, 7, v0
	v_lshrrev_b32_e32 v1, 3, v2
	s_mov_b32 s21, exec_lo
	v_cmpx_gt_u32_e32 8, v2
; %bb.214:                              ;   in Loop: Header=BB210_15 Depth=1
	v_ffbh_u32_e32 v1, v28
	v_min_u32_e32 v1, 32, v1
	v_subrev_nc_u32_e32 v2, 28, v1
	v_sub_nc_u32_e32 v1, 29, v1
	v_lshlrev_b64 v[2:3], v2, v[28:29]
	v_and_b32_e32 v28, 7, v2
; %bb.215:                              ;   in Loop: Header=BB210_15 Depth=1
	s_or_b32 exec_lo, exec_lo, s21
	v_lshlrev_b32_e32 v2, 24, v0
	v_lshlrev_b32_e32 v3, 20, v28
	v_lshl_add_u32 v1, v1, 23, 0x3c000000
	v_and_b32_e32 v2, 0x80000000, v2
	v_or3_b32 v28, v3, v2, v1
	buffer_store_dword v28, off, s[0:3], s32 offset:412 ; 4-byte Folded Spill
	buffer_store_dword v29, off, s[0:3], s32 offset:416 ; 4-byte Folded Spill
.LBB210_216:                            ;   in Loop: Header=BB210_15 Depth=1
	s_or_b32 exec_lo, exec_lo, s20
.LBB210_217:                            ;   in Loop: Header=BB210_15 Depth=1
	s_or_b32 exec_lo, exec_lo, s19
.LBB210_218:                            ;   in Loop: Header=BB210_15 Depth=1
	s_or_b32 exec_lo, exec_lo, s18
	v_cmp_ne_u16_sdwa s5, v0, v29 src0_sel:BYTE_1 src1_sel:DWORD
	s_and_saveexec_b32 s18, s5
	s_cbranch_execz .LBB210_226
; %bb.219:                              ;   in Loop: Header=BB210_15 Depth=1
	v_mov_b32_e32 v1, 0x80
	v_mov_b32_e32 v18, v29
	buffer_store_dword v18, off, s[0:3], s32 offset:420 ; 4-byte Folded Spill
	buffer_store_dword v19, off, s[0:3], s32 offset:424 ; 4-byte Folded Spill
	v_cmp_ne_u16_sdwa s5, v0, v1 src0_sel:BYTE_1 src1_sel:DWORD
	s_and_saveexec_b32 s19, s5
	s_cbranch_execz .LBB210_225
; %bb.220:                              ;   in Loop: Header=BB210_15 Depth=1
	v_mov_b32_e32 v1, 0xffff
	v_mov_b32_e32 v42, v29
	s_mov_b32 s20, exec_lo
	buffer_store_dword v42, off, s[0:3], s32 offset:420 ; 4-byte Folded Spill
	buffer_store_dword v43, off, s[0:3], s32 offset:424 ; 4-byte Folded Spill
	v_and_b32_sdwa v1, v1, v0 dst_sel:DWORD dst_unused:UNUSED_PAD src0_sel:DWORD src1_sel:BYTE_1
	v_and_b32_e32 v2, 0x7f, v1
	v_cmpx_ne_u32_e32 0x7f, v2
	s_cbranch_execz .LBB210_224
; %bb.221:                              ;   in Loop: Header=BB210_15 Depth=1
	v_and_b32_e32 v28, 7, v1
	v_lshrrev_b32_e32 v1, 3, v2
	s_mov_b32 s21, exec_lo
	v_cmpx_gt_u32_e32 8, v2
; %bb.222:                              ;   in Loop: Header=BB210_15 Depth=1
	v_ffbh_u32_e32 v1, v28
	v_min_u32_e32 v1, 32, v1
	v_subrev_nc_u32_e32 v2, 28, v1
	v_sub_nc_u32_e32 v1, 29, v1
	v_lshlrev_b64 v[2:3], v2, v[28:29]
	v_and_b32_e32 v28, 7, v2
; %bb.223:                              ;   in Loop: Header=BB210_15 Depth=1
	s_or_b32 exec_lo, exec_lo, s21
	v_lshlrev_b32_e32 v2, 16, v0
	v_lshlrev_b32_e32 v3, 20, v28
	v_lshl_add_u32 v1, v1, 23, 0x3c000000
	v_and_b32_e32 v2, 0x80000000, v2
	v_or3_b32 v2, v3, v2, v1
	v_mov_b32_e32 v1, v29
	buffer_store_dword v1, off, s[0:3], s32 offset:420 ; 4-byte Folded Spill
	buffer_store_dword v2, off, s[0:3], s32 offset:424 ; 4-byte Folded Spill
.LBB210_224:                            ;   in Loop: Header=BB210_15 Depth=1
	s_or_b32 exec_lo, exec_lo, s20
.LBB210_225:                            ;   in Loop: Header=BB210_15 Depth=1
	s_or_b32 exec_lo, exec_lo, s19
.LBB210_226:                            ;   in Loop: Header=BB210_15 Depth=1
	s_or_b32 exec_lo, exec_lo, s18
	v_mov_b32_e32 v2, 0
	v_mov_b32_e32 v3, 0
	v_mov_b32_e32 v1, 0xff
	s_mov_b32 s18, exec_lo
	buffer_store_dword v2, off, s[0:3], s32 offset:428 ; 4-byte Folded Spill
	buffer_store_dword v3, off, s[0:3], s32 offset:432 ; 4-byte Folded Spill
	v_mov_b32_e32 v2, 0
	v_and_b32_sdwa v1, v0, v1 dst_sel:DWORD dst_unused:UNUSED_PAD src0_sel:WORD_1 src1_sel:DWORD
	v_mov_b32_e32 v3, 0
	buffer_store_dword v2, off, s[0:3], s32 offset:436 ; 4-byte Folded Spill
	buffer_store_dword v3, off, s[0:3], s32 offset:440 ; 4-byte Folded Spill
	v_cmpx_ne_u16_e32 0, v1
	s_cbranch_execz .LBB210_234
; %bb.227:                              ;   in Loop: Header=BB210_15 Depth=1
	v_cmp_ne_u16_e64 s5, 0x80, v1
	v_bfrev_b32_e32 v1, 1
	v_mov_b32_e32 v2, 0
	buffer_store_dword v1, off, s[0:3], s32 offset:436 ; 4-byte Folded Spill
	buffer_store_dword v2, off, s[0:3], s32 offset:440 ; 4-byte Folded Spill
	s_and_saveexec_b32 s19, s5
	s_cbranch_execz .LBB210_233
; %bb.228:                              ;   in Loop: Header=BB210_15 Depth=1
	v_mov_b32_e32 v3, 0x7f800001
	v_bfe_u32 v2, v0, 16, 7
	v_mov_b32_e32 v4, 0
	s_mov_b32 s20, exec_lo
	buffer_store_dword v3, off, s[0:3], s32 offset:436 ; 4-byte Folded Spill
	buffer_store_dword v4, off, s[0:3], s32 offset:440 ; 4-byte Folded Spill
	v_cmpx_ne_u32_e32 0x7f, v2
	s_cbranch_execz .LBB210_232
; %bb.229:                              ;   in Loop: Header=BB210_15 Depth=1
	v_mov_b32_e32 v1, 7
	s_mov_b32 s21, exec_lo
	v_and_b32_sdwa v28, v0, v1 dst_sel:DWORD dst_unused:UNUSED_PAD src0_sel:WORD_1 src1_sel:DWORD
	v_lshrrev_b32_e32 v1, 3, v2
	v_cmpx_gt_u32_e32 8, v2
; %bb.230:                              ;   in Loop: Header=BB210_15 Depth=1
	v_ffbh_u32_e32 v1, v28
	v_min_u32_e32 v1, 32, v1
	v_subrev_nc_u32_e32 v2, 28, v1
	v_sub_nc_u32_e32 v1, 29, v1
	v_lshlrev_b64 v[2:3], v2, v[28:29]
	v_and_b32_e32 v28, 7, v2
; %bb.231:                              ;   in Loop: Header=BB210_15 Depth=1
	s_or_b32 exec_lo, exec_lo, s21
	v_mov_b32_e32 v2, 24
	v_lshlrev_b32_e32 v3, 20, v28
	v_lshl_add_u32 v1, v1, 23, 0x3c000000
	v_lshlrev_b32_sdwa v2, v2, v0 dst_sel:DWORD dst_unused:UNUSED_PAD src0_sel:DWORD src1_sel:WORD_1
	v_and_b32_e32 v2, 0x80000000, v2
	v_or3_b32 v28, v3, v2, v1
	buffer_store_dword v28, off, s[0:3], s32 offset:436 ; 4-byte Folded Spill
	buffer_store_dword v29, off, s[0:3], s32 offset:440 ; 4-byte Folded Spill
.LBB210_232:                            ;   in Loop: Header=BB210_15 Depth=1
	s_or_b32 exec_lo, exec_lo, s20
.LBB210_233:                            ;   in Loop: Header=BB210_15 Depth=1
	s_or_b32 exec_lo, exec_lo, s19
.LBB210_234:                            ;   in Loop: Header=BB210_15 Depth=1
	s_or_b32 exec_lo, exec_lo, s18
	s_mov_b32 s18, exec_lo
	v_cmpx_lt_u32_e32 0xffffff, v0
	s_cbranch_execz .LBB210_242
; %bb.235:                              ;   in Loop: Header=BB210_15 Depth=1
	v_mov_b32_e32 v1, 0x80
	v_mov_b32_e32 v18, v29
	buffer_store_dword v18, off, s[0:3], s32 offset:428 ; 4-byte Folded Spill
	buffer_store_dword v19, off, s[0:3], s32 offset:432 ; 4-byte Folded Spill
	v_cmp_ne_u32_sdwa s5, v0, v1 src0_sel:BYTE_3 src1_sel:DWORD
	s_and_saveexec_b32 s19, s5
	s_cbranch_execz .LBB210_241
; %bb.236:                              ;   in Loop: Header=BB210_15 Depth=1
	v_bfe_u32 v2, v0, 24, 7
	v_mov_b32_e32 v42, v29
	s_mov_b32 s20, exec_lo
	buffer_store_dword v42, off, s[0:3], s32 offset:428 ; 4-byte Folded Spill
	buffer_store_dword v43, off, s[0:3], s32 offset:432 ; 4-byte Folded Spill
	v_cmpx_ne_u32_e32 0x7f, v2
	s_cbranch_execz .LBB210_240
; %bb.237:                              ;   in Loop: Header=BB210_15 Depth=1
	v_mov_b32_e32 v1, 7
	s_mov_b32 s21, exec_lo
	v_and_b32_sdwa v28, v0, v1 dst_sel:DWORD dst_unused:UNUSED_PAD src0_sel:BYTE_3 src1_sel:DWORD
	v_lshrrev_b32_e32 v1, 3, v2
	v_cmpx_gt_u32_e32 8, v2
; %bb.238:                              ;   in Loop: Header=BB210_15 Depth=1
	v_ffbh_u32_e32 v1, v28
	v_min_u32_e32 v1, 32, v1
	v_subrev_nc_u32_e32 v2, 28, v1
	v_sub_nc_u32_e32 v1, 29, v1
	v_lshlrev_b64 v[2:3], v2, v[28:29]
	v_and_b32_e32 v28, 7, v2
; %bb.239:                              ;   in Loop: Header=BB210_15 Depth=1
	s_or_b32 exec_lo, exec_lo, s21
	v_mov_b32_e32 v2, 24
	v_lshl_add_u32 v1, v1, 23, 0x3c000000
	v_lshlrev_b32_sdwa v0, v2, v0 dst_sel:DWORD dst_unused:UNUSED_PAD src0_sel:DWORD src1_sel:BYTE_3
	v_lshlrev_b32_e32 v2, 20, v28
	v_and_b32_e32 v0, 0x80000000, v0
	v_or3_b32 v1, v2, v0, v1
	v_mov_b32_e32 v0, v29
	buffer_store_dword v0, off, s[0:3], s32 offset:428 ; 4-byte Folded Spill
	buffer_store_dword v1, off, s[0:3], s32 offset:432 ; 4-byte Folded Spill
.LBB210_240:                            ;   in Loop: Header=BB210_15 Depth=1
	s_or_b32 exec_lo, exec_lo, s20
.LBB210_241:                            ;   in Loop: Header=BB210_15 Depth=1
	s_or_b32 exec_lo, exec_lo, s19
.LBB210_242:                            ;   in Loop: Header=BB210_15 Depth=1
	s_or_b32 exec_lo, exec_lo, s18
	flat_load_dword v0, v[22:23] offset:524
	v_mov_b32_e32 v1, 0
	v_mov_b32_e32 v2, 0
	buffer_store_dword v1, off, s[0:3], s32 offset:452 ; 4-byte Folded Spill
	buffer_store_dword v2, off, s[0:3], s32 offset:456 ; 4-byte Folded Spill
	v_mov_b32_e32 v1, 0
	v_mov_b32_e32 v2, 0
	buffer_store_dword v1, off, s[0:3], s32 offset:444 ; 4-byte Folded Spill
	buffer_store_dword v2, off, s[0:3], s32 offset:448 ; 4-byte Folded Spill
	s_waitcnt vmcnt(0) lgkmcnt(0)
	v_cmp_ne_u16_sdwa s5, v0, v29 src0_sel:BYTE_0 src1_sel:DWORD
	s_and_saveexec_b32 s18, s5
	s_cbranch_execz .LBB210_250
; %bb.243:                              ;   in Loop: Header=BB210_15 Depth=1
	v_bfrev_b32_e32 v1, 1
	v_mov_b32_e32 v2, 0
	buffer_store_dword v1, off, s[0:3], s32 offset:444 ; 4-byte Folded Spill
	buffer_store_dword v2, off, s[0:3], s32 offset:448 ; 4-byte Folded Spill
	v_mov_b32_e32 v1, 0x80
	v_cmp_ne_u16_sdwa s5, v0, v1 src0_sel:BYTE_0 src1_sel:DWORD
	s_and_saveexec_b32 s19, s5
	s_cbranch_execz .LBB210_249
; %bb.244:                              ;   in Loop: Header=BB210_15 Depth=1
	v_mov_b32_e32 v3, 0x7f800001
	v_and_b32_e32 v2, 0x7f, v0
	v_mov_b32_e32 v4, 0
	s_mov_b32 s20, exec_lo
	buffer_store_dword v3, off, s[0:3], s32 offset:444 ; 4-byte Folded Spill
	buffer_store_dword v4, off, s[0:3], s32 offset:448 ; 4-byte Folded Spill
	v_cmpx_ne_u32_e32 0x7f, v2
	s_cbranch_execz .LBB210_248
; %bb.245:                              ;   in Loop: Header=BB210_15 Depth=1
	v_and_b32_e32 v28, 7, v0
	v_lshrrev_b32_e32 v1, 3, v2
	s_mov_b32 s21, exec_lo
	v_cmpx_gt_u32_e32 8, v2
; %bb.246:                              ;   in Loop: Header=BB210_15 Depth=1
	v_ffbh_u32_e32 v1, v28
	v_min_u32_e32 v1, 32, v1
	v_subrev_nc_u32_e32 v2, 28, v1
	v_sub_nc_u32_e32 v1, 29, v1
	v_lshlrev_b64 v[2:3], v2, v[28:29]
	v_and_b32_e32 v28, 7, v2
; %bb.247:                              ;   in Loop: Header=BB210_15 Depth=1
	s_or_b32 exec_lo, exec_lo, s21
	v_lshlrev_b32_e32 v2, 24, v0
	v_lshlrev_b32_e32 v3, 20, v28
	v_lshl_add_u32 v1, v1, 23, 0x3c000000
	v_and_b32_e32 v2, 0x80000000, v2
	v_or3_b32 v28, v3, v2, v1
	buffer_store_dword v28, off, s[0:3], s32 offset:444 ; 4-byte Folded Spill
	buffer_store_dword v29, off, s[0:3], s32 offset:448 ; 4-byte Folded Spill
.LBB210_248:                            ;   in Loop: Header=BB210_15 Depth=1
	s_or_b32 exec_lo, exec_lo, s20
.LBB210_249:                            ;   in Loop: Header=BB210_15 Depth=1
	s_or_b32 exec_lo, exec_lo, s19
.LBB210_250:                            ;   in Loop: Header=BB210_15 Depth=1
	s_or_b32 exec_lo, exec_lo, s18
	v_cmp_ne_u16_sdwa s5, v0, v29 src0_sel:BYTE_1 src1_sel:DWORD
	s_and_saveexec_b32 s18, s5
	s_cbranch_execz .LBB210_258
; %bb.251:                              ;   in Loop: Header=BB210_15 Depth=1
	v_mov_b32_e32 v1, 0x80
	v_mov_b32_e32 v18, v29
	buffer_store_dword v18, off, s[0:3], s32 offset:452 ; 4-byte Folded Spill
	buffer_store_dword v19, off, s[0:3], s32 offset:456 ; 4-byte Folded Spill
	v_cmp_ne_u16_sdwa s5, v0, v1 src0_sel:BYTE_1 src1_sel:DWORD
	s_and_saveexec_b32 s19, s5
	s_cbranch_execz .LBB210_257
; %bb.252:                              ;   in Loop: Header=BB210_15 Depth=1
	v_mov_b32_e32 v1, 0xffff
	v_mov_b32_e32 v42, v29
	s_mov_b32 s20, exec_lo
	buffer_store_dword v42, off, s[0:3], s32 offset:452 ; 4-byte Folded Spill
	buffer_store_dword v43, off, s[0:3], s32 offset:456 ; 4-byte Folded Spill
	v_and_b32_sdwa v1, v1, v0 dst_sel:DWORD dst_unused:UNUSED_PAD src0_sel:DWORD src1_sel:BYTE_1
	v_and_b32_e32 v2, 0x7f, v1
	v_cmpx_ne_u32_e32 0x7f, v2
	s_cbranch_execz .LBB210_256
; %bb.253:                              ;   in Loop: Header=BB210_15 Depth=1
	v_and_b32_e32 v28, 7, v1
	v_lshrrev_b32_e32 v1, 3, v2
	s_mov_b32 s21, exec_lo
	v_cmpx_gt_u32_e32 8, v2
; %bb.254:                              ;   in Loop: Header=BB210_15 Depth=1
	v_ffbh_u32_e32 v1, v28
	v_min_u32_e32 v1, 32, v1
	v_subrev_nc_u32_e32 v2, 28, v1
	v_sub_nc_u32_e32 v1, 29, v1
	v_lshlrev_b64 v[2:3], v2, v[28:29]
	v_and_b32_e32 v28, 7, v2
; %bb.255:                              ;   in Loop: Header=BB210_15 Depth=1
	s_or_b32 exec_lo, exec_lo, s21
	v_lshlrev_b32_e32 v2, 16, v0
	v_lshlrev_b32_e32 v3, 20, v28
	v_lshl_add_u32 v1, v1, 23, 0x3c000000
	v_and_b32_e32 v2, 0x80000000, v2
	v_or3_b32 v2, v3, v2, v1
	v_mov_b32_e32 v1, v29
	buffer_store_dword v1, off, s[0:3], s32 offset:452 ; 4-byte Folded Spill
	buffer_store_dword v2, off, s[0:3], s32 offset:456 ; 4-byte Folded Spill
.LBB210_256:                            ;   in Loop: Header=BB210_15 Depth=1
	s_or_b32 exec_lo, exec_lo, s20
.LBB210_257:                            ;   in Loop: Header=BB210_15 Depth=1
	s_or_b32 exec_lo, exec_lo, s19
.LBB210_258:                            ;   in Loop: Header=BB210_15 Depth=1
	s_or_b32 exec_lo, exec_lo, s18
	v_mov_b32_e32 v2, 0
	v_mov_b32_e32 v3, 0
	;; [unrolled: 1-line block ×3, first 2 shown]
	s_mov_b32 s18, exec_lo
	buffer_store_dword v2, off, s[0:3], s32 offset:460 ; 4-byte Folded Spill
	buffer_store_dword v3, off, s[0:3], s32 offset:464 ; 4-byte Folded Spill
	v_mov_b32_e32 v2, 0
	v_and_b32_sdwa v1, v0, v1 dst_sel:DWORD dst_unused:UNUSED_PAD src0_sel:WORD_1 src1_sel:DWORD
	v_mov_b32_e32 v3, 0
	buffer_store_dword v2, off, s[0:3], s32 offset:468 ; 4-byte Folded Spill
	buffer_store_dword v3, off, s[0:3], s32 offset:472 ; 4-byte Folded Spill
	v_cmpx_ne_u16_e32 0, v1
	s_cbranch_execz .LBB210_266
; %bb.259:                              ;   in Loop: Header=BB210_15 Depth=1
	v_cmp_ne_u16_e64 s5, 0x80, v1
	v_bfrev_b32_e32 v1, 1
	v_mov_b32_e32 v2, 0
	buffer_store_dword v1, off, s[0:3], s32 offset:468 ; 4-byte Folded Spill
	buffer_store_dword v2, off, s[0:3], s32 offset:472 ; 4-byte Folded Spill
	s_and_saveexec_b32 s19, s5
	s_cbranch_execz .LBB210_265
; %bb.260:                              ;   in Loop: Header=BB210_15 Depth=1
	v_mov_b32_e32 v3, 0x7f800001
	v_bfe_u32 v2, v0, 16, 7
	v_mov_b32_e32 v4, 0
	s_mov_b32 s20, exec_lo
	buffer_store_dword v3, off, s[0:3], s32 offset:468 ; 4-byte Folded Spill
	buffer_store_dword v4, off, s[0:3], s32 offset:472 ; 4-byte Folded Spill
	v_cmpx_ne_u32_e32 0x7f, v2
	s_cbranch_execz .LBB210_264
; %bb.261:                              ;   in Loop: Header=BB210_15 Depth=1
	v_mov_b32_e32 v1, 7
	s_mov_b32 s21, exec_lo
	v_and_b32_sdwa v28, v0, v1 dst_sel:DWORD dst_unused:UNUSED_PAD src0_sel:WORD_1 src1_sel:DWORD
	v_lshrrev_b32_e32 v1, 3, v2
	v_cmpx_gt_u32_e32 8, v2
; %bb.262:                              ;   in Loop: Header=BB210_15 Depth=1
	v_ffbh_u32_e32 v1, v28
	v_min_u32_e32 v1, 32, v1
	v_subrev_nc_u32_e32 v2, 28, v1
	v_sub_nc_u32_e32 v1, 29, v1
	v_lshlrev_b64 v[2:3], v2, v[28:29]
	v_and_b32_e32 v28, 7, v2
; %bb.263:                              ;   in Loop: Header=BB210_15 Depth=1
	s_or_b32 exec_lo, exec_lo, s21
	v_mov_b32_e32 v2, 24
	v_lshlrev_b32_e32 v3, 20, v28
	v_lshl_add_u32 v1, v1, 23, 0x3c000000
	v_lshlrev_b32_sdwa v2, v2, v0 dst_sel:DWORD dst_unused:UNUSED_PAD src0_sel:DWORD src1_sel:WORD_1
	v_and_b32_e32 v2, 0x80000000, v2
	v_or3_b32 v28, v3, v2, v1
	buffer_store_dword v28, off, s[0:3], s32 offset:468 ; 4-byte Folded Spill
	buffer_store_dword v29, off, s[0:3], s32 offset:472 ; 4-byte Folded Spill
.LBB210_264:                            ;   in Loop: Header=BB210_15 Depth=1
	s_or_b32 exec_lo, exec_lo, s20
.LBB210_265:                            ;   in Loop: Header=BB210_15 Depth=1
	s_or_b32 exec_lo, exec_lo, s19
.LBB210_266:                            ;   in Loop: Header=BB210_15 Depth=1
	s_or_b32 exec_lo, exec_lo, s18
	s_mov_b32 s18, exec_lo
	v_cmpx_lt_u32_e32 0xffffff, v0
	s_cbranch_execz .LBB210_274
; %bb.267:                              ;   in Loop: Header=BB210_15 Depth=1
	v_mov_b32_e32 v1, 0x80
	v_mov_b32_e32 v18, v29
	buffer_store_dword v18, off, s[0:3], s32 offset:460 ; 4-byte Folded Spill
	buffer_store_dword v19, off, s[0:3], s32 offset:464 ; 4-byte Folded Spill
	v_cmp_ne_u32_sdwa s5, v0, v1 src0_sel:BYTE_3 src1_sel:DWORD
	s_and_saveexec_b32 s19, s5
	s_cbranch_execz .LBB210_273
; %bb.268:                              ;   in Loop: Header=BB210_15 Depth=1
	v_bfe_u32 v2, v0, 24, 7
	v_mov_b32_e32 v42, v29
	s_mov_b32 s20, exec_lo
	buffer_store_dword v42, off, s[0:3], s32 offset:460 ; 4-byte Folded Spill
	buffer_store_dword v43, off, s[0:3], s32 offset:464 ; 4-byte Folded Spill
	v_cmpx_ne_u32_e32 0x7f, v2
	s_cbranch_execz .LBB210_272
; %bb.269:                              ;   in Loop: Header=BB210_15 Depth=1
	v_mov_b32_e32 v1, 7
	s_mov_b32 s21, exec_lo
	v_and_b32_sdwa v28, v0, v1 dst_sel:DWORD dst_unused:UNUSED_PAD src0_sel:BYTE_3 src1_sel:DWORD
	v_lshrrev_b32_e32 v1, 3, v2
	v_cmpx_gt_u32_e32 8, v2
; %bb.270:                              ;   in Loop: Header=BB210_15 Depth=1
	v_ffbh_u32_e32 v1, v28
	v_min_u32_e32 v1, 32, v1
	v_subrev_nc_u32_e32 v2, 28, v1
	v_sub_nc_u32_e32 v1, 29, v1
	v_lshlrev_b64 v[2:3], v2, v[28:29]
	v_and_b32_e32 v28, 7, v2
; %bb.271:                              ;   in Loop: Header=BB210_15 Depth=1
	s_or_b32 exec_lo, exec_lo, s21
	v_mov_b32_e32 v2, 24
	v_lshl_add_u32 v1, v1, 23, 0x3c000000
	v_lshlrev_b32_sdwa v0, v2, v0 dst_sel:DWORD dst_unused:UNUSED_PAD src0_sel:DWORD src1_sel:BYTE_3
	v_lshlrev_b32_e32 v2, 20, v28
	v_and_b32_e32 v0, 0x80000000, v0
	v_or3_b32 v1, v2, v0, v1
	v_mov_b32_e32 v0, v29
	buffer_store_dword v0, off, s[0:3], s32 offset:460 ; 4-byte Folded Spill
	buffer_store_dword v1, off, s[0:3], s32 offset:464 ; 4-byte Folded Spill
.LBB210_272:                            ;   in Loop: Header=BB210_15 Depth=1
	s_or_b32 exec_lo, exec_lo, s20
.LBB210_273:                            ;   in Loop: Header=BB210_15 Depth=1
	s_or_b32 exec_lo, exec_lo, s19
.LBB210_274:                            ;   in Loop: Header=BB210_15 Depth=1
	s_or_b32 exec_lo, exec_lo, s18
	flat_load_dword v0, v[22:23] offset:1024
	v_mov_b32_e32 v1, 0
	v_mov_b32_e32 v2, 0
	buffer_store_dword v1, off, s[0:3], s32 offset:484 ; 4-byte Folded Spill
	buffer_store_dword v2, off, s[0:3], s32 offset:488 ; 4-byte Folded Spill
	v_mov_b32_e32 v1, 0
	v_mov_b32_e32 v2, 0
	buffer_store_dword v1, off, s[0:3], s32 offset:476 ; 4-byte Folded Spill
	buffer_store_dword v2, off, s[0:3], s32 offset:480 ; 4-byte Folded Spill
	s_waitcnt vmcnt(0) lgkmcnt(0)
	v_cmp_ne_u16_sdwa s5, v0, v29 src0_sel:BYTE_0 src1_sel:DWORD
	s_and_saveexec_b32 s18, s5
	s_cbranch_execz .LBB210_282
; %bb.275:                              ;   in Loop: Header=BB210_15 Depth=1
	v_bfrev_b32_e32 v1, 1
	v_mov_b32_e32 v2, 0
	buffer_store_dword v1, off, s[0:3], s32 offset:476 ; 4-byte Folded Spill
	buffer_store_dword v2, off, s[0:3], s32 offset:480 ; 4-byte Folded Spill
	v_mov_b32_e32 v1, 0x80
	v_cmp_ne_u16_sdwa s5, v0, v1 src0_sel:BYTE_0 src1_sel:DWORD
	s_and_saveexec_b32 s19, s5
	s_cbranch_execz .LBB210_281
; %bb.276:                              ;   in Loop: Header=BB210_15 Depth=1
	v_mov_b32_e32 v3, 0x7f800001
	v_and_b32_e32 v2, 0x7f, v0
	v_mov_b32_e32 v4, 0
	s_mov_b32 s20, exec_lo
	buffer_store_dword v3, off, s[0:3], s32 offset:476 ; 4-byte Folded Spill
	buffer_store_dword v4, off, s[0:3], s32 offset:480 ; 4-byte Folded Spill
	v_cmpx_ne_u32_e32 0x7f, v2
	s_cbranch_execz .LBB210_280
; %bb.277:                              ;   in Loop: Header=BB210_15 Depth=1
	v_and_b32_e32 v28, 7, v0
	v_lshrrev_b32_e32 v1, 3, v2
	s_mov_b32 s21, exec_lo
	v_cmpx_gt_u32_e32 8, v2
; %bb.278:                              ;   in Loop: Header=BB210_15 Depth=1
	v_ffbh_u32_e32 v1, v28
	v_min_u32_e32 v1, 32, v1
	v_subrev_nc_u32_e32 v2, 28, v1
	v_sub_nc_u32_e32 v1, 29, v1
	v_lshlrev_b64 v[2:3], v2, v[28:29]
	v_and_b32_e32 v28, 7, v2
; %bb.279:                              ;   in Loop: Header=BB210_15 Depth=1
	s_or_b32 exec_lo, exec_lo, s21
	v_lshlrev_b32_e32 v2, 24, v0
	v_lshlrev_b32_e32 v3, 20, v28
	v_lshl_add_u32 v1, v1, 23, 0x3c000000
	v_and_b32_e32 v2, 0x80000000, v2
	v_or3_b32 v28, v3, v2, v1
	buffer_store_dword v28, off, s[0:3], s32 offset:476 ; 4-byte Folded Spill
	buffer_store_dword v29, off, s[0:3], s32 offset:480 ; 4-byte Folded Spill
.LBB210_280:                            ;   in Loop: Header=BB210_15 Depth=1
	s_or_b32 exec_lo, exec_lo, s20
.LBB210_281:                            ;   in Loop: Header=BB210_15 Depth=1
	s_or_b32 exec_lo, exec_lo, s19
.LBB210_282:                            ;   in Loop: Header=BB210_15 Depth=1
	s_or_b32 exec_lo, exec_lo, s18
	v_cmp_ne_u16_sdwa s5, v0, v29 src0_sel:BYTE_1 src1_sel:DWORD
	s_and_saveexec_b32 s18, s5
	s_cbranch_execz .LBB210_290
; %bb.283:                              ;   in Loop: Header=BB210_15 Depth=1
	v_mov_b32_e32 v1, 0x80
	v_mov_b32_e32 v18, v29
	buffer_store_dword v18, off, s[0:3], s32 offset:484 ; 4-byte Folded Spill
	buffer_store_dword v19, off, s[0:3], s32 offset:488 ; 4-byte Folded Spill
	v_cmp_ne_u16_sdwa s5, v0, v1 src0_sel:BYTE_1 src1_sel:DWORD
	s_and_saveexec_b32 s19, s5
	s_cbranch_execz .LBB210_289
; %bb.284:                              ;   in Loop: Header=BB210_15 Depth=1
	v_mov_b32_e32 v1, 0xffff
	v_mov_b32_e32 v42, v29
	s_mov_b32 s20, exec_lo
	buffer_store_dword v42, off, s[0:3], s32 offset:484 ; 4-byte Folded Spill
	buffer_store_dword v43, off, s[0:3], s32 offset:488 ; 4-byte Folded Spill
	v_and_b32_sdwa v1, v1, v0 dst_sel:DWORD dst_unused:UNUSED_PAD src0_sel:DWORD src1_sel:BYTE_1
	v_and_b32_e32 v2, 0x7f, v1
	v_cmpx_ne_u32_e32 0x7f, v2
	s_cbranch_execz .LBB210_288
; %bb.285:                              ;   in Loop: Header=BB210_15 Depth=1
	v_and_b32_e32 v28, 7, v1
	v_lshrrev_b32_e32 v1, 3, v2
	s_mov_b32 s21, exec_lo
	v_cmpx_gt_u32_e32 8, v2
; %bb.286:                              ;   in Loop: Header=BB210_15 Depth=1
	v_ffbh_u32_e32 v1, v28
	v_min_u32_e32 v1, 32, v1
	v_subrev_nc_u32_e32 v2, 28, v1
	v_sub_nc_u32_e32 v1, 29, v1
	v_lshlrev_b64 v[2:3], v2, v[28:29]
	v_and_b32_e32 v28, 7, v2
; %bb.287:                              ;   in Loop: Header=BB210_15 Depth=1
	s_or_b32 exec_lo, exec_lo, s21
	v_lshlrev_b32_e32 v2, 16, v0
	v_lshlrev_b32_e32 v3, 20, v28
	v_lshl_add_u32 v1, v1, 23, 0x3c000000
	v_and_b32_e32 v2, 0x80000000, v2
	v_or3_b32 v2, v3, v2, v1
	v_mov_b32_e32 v1, v29
	buffer_store_dword v1, off, s[0:3], s32 offset:484 ; 4-byte Folded Spill
	buffer_store_dword v2, off, s[0:3], s32 offset:488 ; 4-byte Folded Spill
.LBB210_288:                            ;   in Loop: Header=BB210_15 Depth=1
	s_or_b32 exec_lo, exec_lo, s20
.LBB210_289:                            ;   in Loop: Header=BB210_15 Depth=1
	s_or_b32 exec_lo, exec_lo, s19
.LBB210_290:                            ;   in Loop: Header=BB210_15 Depth=1
	s_or_b32 exec_lo, exec_lo, s18
	v_mov_b32_e32 v2, 0
	v_mov_b32_e32 v3, 0
	;; [unrolled: 1-line block ×3, first 2 shown]
	s_mov_b32 s18, exec_lo
	buffer_store_dword v2, off, s[0:3], s32 offset:492 ; 4-byte Folded Spill
	buffer_store_dword v3, off, s[0:3], s32 offset:496 ; 4-byte Folded Spill
	v_mov_b32_e32 v2, 0
	v_and_b32_sdwa v1, v0, v1 dst_sel:DWORD dst_unused:UNUSED_PAD src0_sel:WORD_1 src1_sel:DWORD
	v_mov_b32_e32 v3, 0
	buffer_store_dword v2, off, s[0:3], s32 offset:500 ; 4-byte Folded Spill
	buffer_store_dword v3, off, s[0:3], s32 offset:504 ; 4-byte Folded Spill
	v_cmpx_ne_u16_e32 0, v1
	s_cbranch_execz .LBB210_298
; %bb.291:                              ;   in Loop: Header=BB210_15 Depth=1
	v_cmp_ne_u16_e64 s5, 0x80, v1
	v_bfrev_b32_e32 v1, 1
	v_mov_b32_e32 v2, 0
	buffer_store_dword v1, off, s[0:3], s32 offset:500 ; 4-byte Folded Spill
	buffer_store_dword v2, off, s[0:3], s32 offset:504 ; 4-byte Folded Spill
	s_and_saveexec_b32 s19, s5
	s_cbranch_execz .LBB210_297
; %bb.292:                              ;   in Loop: Header=BB210_15 Depth=1
	v_mov_b32_e32 v3, 0x7f800001
	v_bfe_u32 v2, v0, 16, 7
	v_mov_b32_e32 v4, 0
	s_mov_b32 s20, exec_lo
	buffer_store_dword v3, off, s[0:3], s32 offset:500 ; 4-byte Folded Spill
	buffer_store_dword v4, off, s[0:3], s32 offset:504 ; 4-byte Folded Spill
	v_cmpx_ne_u32_e32 0x7f, v2
	s_cbranch_execz .LBB210_296
; %bb.293:                              ;   in Loop: Header=BB210_15 Depth=1
	v_mov_b32_e32 v1, 7
	s_mov_b32 s21, exec_lo
	v_and_b32_sdwa v28, v0, v1 dst_sel:DWORD dst_unused:UNUSED_PAD src0_sel:WORD_1 src1_sel:DWORD
	v_lshrrev_b32_e32 v1, 3, v2
	v_cmpx_gt_u32_e32 8, v2
; %bb.294:                              ;   in Loop: Header=BB210_15 Depth=1
	v_ffbh_u32_e32 v1, v28
	v_min_u32_e32 v1, 32, v1
	v_subrev_nc_u32_e32 v2, 28, v1
	v_sub_nc_u32_e32 v1, 29, v1
	v_lshlrev_b64 v[2:3], v2, v[28:29]
	v_and_b32_e32 v28, 7, v2
; %bb.295:                              ;   in Loop: Header=BB210_15 Depth=1
	s_or_b32 exec_lo, exec_lo, s21
	v_mov_b32_e32 v2, 24
	v_lshlrev_b32_e32 v3, 20, v28
	v_lshl_add_u32 v1, v1, 23, 0x3c000000
	v_lshlrev_b32_sdwa v2, v2, v0 dst_sel:DWORD dst_unused:UNUSED_PAD src0_sel:DWORD src1_sel:WORD_1
	v_and_b32_e32 v2, 0x80000000, v2
	v_or3_b32 v28, v3, v2, v1
	buffer_store_dword v28, off, s[0:3], s32 offset:500 ; 4-byte Folded Spill
	buffer_store_dword v29, off, s[0:3], s32 offset:504 ; 4-byte Folded Spill
.LBB210_296:                            ;   in Loop: Header=BB210_15 Depth=1
	s_or_b32 exec_lo, exec_lo, s20
.LBB210_297:                            ;   in Loop: Header=BB210_15 Depth=1
	s_or_b32 exec_lo, exec_lo, s19
.LBB210_298:                            ;   in Loop: Header=BB210_15 Depth=1
	s_or_b32 exec_lo, exec_lo, s18
	s_mov_b32 s18, exec_lo
	v_cmpx_lt_u32_e32 0xffffff, v0
	s_cbranch_execz .LBB210_306
; %bb.299:                              ;   in Loop: Header=BB210_15 Depth=1
	v_mov_b32_e32 v1, 0x80
	v_mov_b32_e32 v18, v29
	buffer_store_dword v18, off, s[0:3], s32 offset:492 ; 4-byte Folded Spill
	buffer_store_dword v19, off, s[0:3], s32 offset:496 ; 4-byte Folded Spill
	v_cmp_ne_u32_sdwa s5, v0, v1 src0_sel:BYTE_3 src1_sel:DWORD
	s_and_saveexec_b32 s19, s5
	s_cbranch_execz .LBB210_305
; %bb.300:                              ;   in Loop: Header=BB210_15 Depth=1
	v_bfe_u32 v2, v0, 24, 7
	v_mov_b32_e32 v42, v29
	s_mov_b32 s20, exec_lo
	buffer_store_dword v42, off, s[0:3], s32 offset:492 ; 4-byte Folded Spill
	buffer_store_dword v43, off, s[0:3], s32 offset:496 ; 4-byte Folded Spill
	v_cmpx_ne_u32_e32 0x7f, v2
	s_cbranch_execz .LBB210_304
; %bb.301:                              ;   in Loop: Header=BB210_15 Depth=1
	v_mov_b32_e32 v1, 7
	s_mov_b32 s21, exec_lo
	v_and_b32_sdwa v28, v0, v1 dst_sel:DWORD dst_unused:UNUSED_PAD src0_sel:BYTE_3 src1_sel:DWORD
	v_lshrrev_b32_e32 v1, 3, v2
	v_cmpx_gt_u32_e32 8, v2
; %bb.302:                              ;   in Loop: Header=BB210_15 Depth=1
	v_ffbh_u32_e32 v1, v28
	v_min_u32_e32 v1, 32, v1
	v_subrev_nc_u32_e32 v2, 28, v1
	v_sub_nc_u32_e32 v1, 29, v1
	v_lshlrev_b64 v[2:3], v2, v[28:29]
	v_and_b32_e32 v28, 7, v2
; %bb.303:                              ;   in Loop: Header=BB210_15 Depth=1
	s_or_b32 exec_lo, exec_lo, s21
	v_mov_b32_e32 v2, 24
	v_lshl_add_u32 v1, v1, 23, 0x3c000000
	v_lshlrev_b32_sdwa v0, v2, v0 dst_sel:DWORD dst_unused:UNUSED_PAD src0_sel:DWORD src1_sel:BYTE_3
	v_lshlrev_b32_e32 v2, 20, v28
	v_and_b32_e32 v0, 0x80000000, v0
	v_or3_b32 v1, v2, v0, v1
	v_mov_b32_e32 v0, v29
	buffer_store_dword v0, off, s[0:3], s32 offset:492 ; 4-byte Folded Spill
	buffer_store_dword v1, off, s[0:3], s32 offset:496 ; 4-byte Folded Spill
.LBB210_304:                            ;   in Loop: Header=BB210_15 Depth=1
	s_or_b32 exec_lo, exec_lo, s20
.LBB210_305:                            ;   in Loop: Header=BB210_15 Depth=1
	s_or_b32 exec_lo, exec_lo, s19
.LBB210_306:                            ;   in Loop: Header=BB210_15 Depth=1
	s_or_b32 exec_lo, exec_lo, s18
	flat_load_dword v0, v[22:23] offset:1028
	v_mov_b32_e32 v1, 0
	v_mov_b32_e32 v2, 0
	buffer_store_dword v1, off, s[0:3], s32 offset:516 ; 4-byte Folded Spill
	buffer_store_dword v2, off, s[0:3], s32 offset:520 ; 4-byte Folded Spill
	v_mov_b32_e32 v1, 0
	v_mov_b32_e32 v2, 0
	buffer_store_dword v1, off, s[0:3], s32 offset:508 ; 4-byte Folded Spill
	buffer_store_dword v2, off, s[0:3], s32 offset:512 ; 4-byte Folded Spill
	s_waitcnt vmcnt(0) lgkmcnt(0)
	v_cmp_ne_u16_sdwa s5, v0, v29 src0_sel:BYTE_0 src1_sel:DWORD
	s_and_saveexec_b32 s18, s5
	s_cbranch_execz .LBB210_314
; %bb.307:                              ;   in Loop: Header=BB210_15 Depth=1
	v_bfrev_b32_e32 v1, 1
	v_mov_b32_e32 v2, 0
	buffer_store_dword v1, off, s[0:3], s32 offset:508 ; 4-byte Folded Spill
	buffer_store_dword v2, off, s[0:3], s32 offset:512 ; 4-byte Folded Spill
	v_mov_b32_e32 v1, 0x80
	v_cmp_ne_u16_sdwa s5, v0, v1 src0_sel:BYTE_0 src1_sel:DWORD
	s_and_saveexec_b32 s19, s5
	s_cbranch_execz .LBB210_313
; %bb.308:                              ;   in Loop: Header=BB210_15 Depth=1
	v_mov_b32_e32 v3, 0x7f800001
	v_and_b32_e32 v2, 0x7f, v0
	v_mov_b32_e32 v4, 0
	s_mov_b32 s20, exec_lo
	buffer_store_dword v3, off, s[0:3], s32 offset:508 ; 4-byte Folded Spill
	buffer_store_dword v4, off, s[0:3], s32 offset:512 ; 4-byte Folded Spill
	v_cmpx_ne_u32_e32 0x7f, v2
	s_cbranch_execz .LBB210_312
; %bb.309:                              ;   in Loop: Header=BB210_15 Depth=1
	v_and_b32_e32 v28, 7, v0
	v_lshrrev_b32_e32 v1, 3, v2
	s_mov_b32 s21, exec_lo
	v_cmpx_gt_u32_e32 8, v2
; %bb.310:                              ;   in Loop: Header=BB210_15 Depth=1
	v_ffbh_u32_e32 v1, v28
	v_min_u32_e32 v1, 32, v1
	v_subrev_nc_u32_e32 v2, 28, v1
	v_sub_nc_u32_e32 v1, 29, v1
	v_lshlrev_b64 v[2:3], v2, v[28:29]
	v_and_b32_e32 v28, 7, v2
; %bb.311:                              ;   in Loop: Header=BB210_15 Depth=1
	s_or_b32 exec_lo, exec_lo, s21
	v_lshlrev_b32_e32 v2, 24, v0
	v_lshlrev_b32_e32 v3, 20, v28
	v_lshl_add_u32 v1, v1, 23, 0x3c000000
	v_and_b32_e32 v2, 0x80000000, v2
	v_or3_b32 v28, v3, v2, v1
	buffer_store_dword v28, off, s[0:3], s32 offset:508 ; 4-byte Folded Spill
	buffer_store_dword v29, off, s[0:3], s32 offset:512 ; 4-byte Folded Spill
.LBB210_312:                            ;   in Loop: Header=BB210_15 Depth=1
	s_or_b32 exec_lo, exec_lo, s20
.LBB210_313:                            ;   in Loop: Header=BB210_15 Depth=1
	s_or_b32 exec_lo, exec_lo, s19
.LBB210_314:                            ;   in Loop: Header=BB210_15 Depth=1
	s_or_b32 exec_lo, exec_lo, s18
	v_cmp_ne_u16_sdwa s5, v0, v29 src0_sel:BYTE_1 src1_sel:DWORD
	s_and_saveexec_b32 s18, s5
	s_cbranch_execz .LBB210_322
; %bb.315:                              ;   in Loop: Header=BB210_15 Depth=1
	v_mov_b32_e32 v1, 0x80
	v_mov_b32_e32 v18, v29
	buffer_store_dword v18, off, s[0:3], s32 offset:516 ; 4-byte Folded Spill
	buffer_store_dword v19, off, s[0:3], s32 offset:520 ; 4-byte Folded Spill
	v_cmp_ne_u16_sdwa s5, v0, v1 src0_sel:BYTE_1 src1_sel:DWORD
	s_and_saveexec_b32 s19, s5
	s_cbranch_execz .LBB210_321
; %bb.316:                              ;   in Loop: Header=BB210_15 Depth=1
	v_mov_b32_e32 v1, 0xffff
	v_mov_b32_e32 v42, v29
	s_mov_b32 s20, exec_lo
	buffer_store_dword v42, off, s[0:3], s32 offset:516 ; 4-byte Folded Spill
	buffer_store_dword v43, off, s[0:3], s32 offset:520 ; 4-byte Folded Spill
	v_and_b32_sdwa v1, v1, v0 dst_sel:DWORD dst_unused:UNUSED_PAD src0_sel:DWORD src1_sel:BYTE_1
	v_and_b32_e32 v2, 0x7f, v1
	v_cmpx_ne_u32_e32 0x7f, v2
	s_cbranch_execz .LBB210_320
; %bb.317:                              ;   in Loop: Header=BB210_15 Depth=1
	v_and_b32_e32 v28, 7, v1
	v_lshrrev_b32_e32 v1, 3, v2
	s_mov_b32 s21, exec_lo
	v_cmpx_gt_u32_e32 8, v2
; %bb.318:                              ;   in Loop: Header=BB210_15 Depth=1
	v_ffbh_u32_e32 v1, v28
	v_min_u32_e32 v1, 32, v1
	v_subrev_nc_u32_e32 v2, 28, v1
	v_sub_nc_u32_e32 v1, 29, v1
	v_lshlrev_b64 v[2:3], v2, v[28:29]
	v_and_b32_e32 v28, 7, v2
; %bb.319:                              ;   in Loop: Header=BB210_15 Depth=1
	s_or_b32 exec_lo, exec_lo, s21
	v_lshlrev_b32_e32 v2, 16, v0
	v_lshlrev_b32_e32 v3, 20, v28
	v_lshl_add_u32 v1, v1, 23, 0x3c000000
	v_and_b32_e32 v2, 0x80000000, v2
	v_or3_b32 v2, v3, v2, v1
	v_mov_b32_e32 v1, v29
	buffer_store_dword v1, off, s[0:3], s32 offset:516 ; 4-byte Folded Spill
	buffer_store_dword v2, off, s[0:3], s32 offset:520 ; 4-byte Folded Spill
.LBB210_320:                            ;   in Loop: Header=BB210_15 Depth=1
	s_or_b32 exec_lo, exec_lo, s20
.LBB210_321:                            ;   in Loop: Header=BB210_15 Depth=1
	s_or_b32 exec_lo, exec_lo, s19
.LBB210_322:                            ;   in Loop: Header=BB210_15 Depth=1
	s_or_b32 exec_lo, exec_lo, s18
	v_mov_b32_e32 v2, 0
	v_mov_b32_e32 v3, 0
	;; [unrolled: 1-line block ×3, first 2 shown]
	s_mov_b32 s18, exec_lo
	buffer_store_dword v2, off, s[0:3], s32 offset:524 ; 4-byte Folded Spill
	buffer_store_dword v3, off, s[0:3], s32 offset:528 ; 4-byte Folded Spill
	v_mov_b32_e32 v2, 0
	v_and_b32_sdwa v1, v0, v1 dst_sel:DWORD dst_unused:UNUSED_PAD src0_sel:WORD_1 src1_sel:DWORD
	v_mov_b32_e32 v3, 0
	buffer_store_dword v2, off, s[0:3], s32 offset:532 ; 4-byte Folded Spill
	buffer_store_dword v3, off, s[0:3], s32 offset:536 ; 4-byte Folded Spill
	v_cmpx_ne_u16_e32 0, v1
	s_cbranch_execz .LBB210_330
; %bb.323:                              ;   in Loop: Header=BB210_15 Depth=1
	v_cmp_ne_u16_e64 s5, 0x80, v1
	v_bfrev_b32_e32 v1, 1
	v_mov_b32_e32 v2, 0
	buffer_store_dword v1, off, s[0:3], s32 offset:532 ; 4-byte Folded Spill
	buffer_store_dword v2, off, s[0:3], s32 offset:536 ; 4-byte Folded Spill
	s_and_saveexec_b32 s19, s5
	s_cbranch_execz .LBB210_329
; %bb.324:                              ;   in Loop: Header=BB210_15 Depth=1
	v_mov_b32_e32 v3, 0x7f800001
	v_bfe_u32 v2, v0, 16, 7
	v_mov_b32_e32 v4, 0
	s_mov_b32 s20, exec_lo
	buffer_store_dword v3, off, s[0:3], s32 offset:532 ; 4-byte Folded Spill
	buffer_store_dword v4, off, s[0:3], s32 offset:536 ; 4-byte Folded Spill
	v_cmpx_ne_u32_e32 0x7f, v2
	s_cbranch_execz .LBB210_328
; %bb.325:                              ;   in Loop: Header=BB210_15 Depth=1
	v_mov_b32_e32 v1, 7
	s_mov_b32 s21, exec_lo
	v_and_b32_sdwa v28, v0, v1 dst_sel:DWORD dst_unused:UNUSED_PAD src0_sel:WORD_1 src1_sel:DWORD
	v_lshrrev_b32_e32 v1, 3, v2
	v_cmpx_gt_u32_e32 8, v2
; %bb.326:                              ;   in Loop: Header=BB210_15 Depth=1
	v_ffbh_u32_e32 v1, v28
	v_min_u32_e32 v1, 32, v1
	v_subrev_nc_u32_e32 v2, 28, v1
	v_sub_nc_u32_e32 v1, 29, v1
	v_lshlrev_b64 v[2:3], v2, v[28:29]
	v_and_b32_e32 v28, 7, v2
; %bb.327:                              ;   in Loop: Header=BB210_15 Depth=1
	s_or_b32 exec_lo, exec_lo, s21
	v_mov_b32_e32 v2, 24
	v_lshlrev_b32_e32 v3, 20, v28
	v_lshl_add_u32 v1, v1, 23, 0x3c000000
	v_lshlrev_b32_sdwa v2, v2, v0 dst_sel:DWORD dst_unused:UNUSED_PAD src0_sel:DWORD src1_sel:WORD_1
	v_and_b32_e32 v2, 0x80000000, v2
	v_or3_b32 v28, v3, v2, v1
	buffer_store_dword v28, off, s[0:3], s32 offset:532 ; 4-byte Folded Spill
	buffer_store_dword v29, off, s[0:3], s32 offset:536 ; 4-byte Folded Spill
.LBB210_328:                            ;   in Loop: Header=BB210_15 Depth=1
	s_or_b32 exec_lo, exec_lo, s20
.LBB210_329:                            ;   in Loop: Header=BB210_15 Depth=1
	s_or_b32 exec_lo, exec_lo, s19
.LBB210_330:                            ;   in Loop: Header=BB210_15 Depth=1
	s_or_b32 exec_lo, exec_lo, s18
	s_mov_b32 s18, exec_lo
	v_cmpx_lt_u32_e32 0xffffff, v0
	s_cbranch_execz .LBB210_338
; %bb.331:                              ;   in Loop: Header=BB210_15 Depth=1
	v_mov_b32_e32 v1, 0x80
	v_mov_b32_e32 v18, v29
	buffer_store_dword v18, off, s[0:3], s32 offset:524 ; 4-byte Folded Spill
	buffer_store_dword v19, off, s[0:3], s32 offset:528 ; 4-byte Folded Spill
	v_cmp_ne_u32_sdwa s5, v0, v1 src0_sel:BYTE_3 src1_sel:DWORD
	s_and_saveexec_b32 s19, s5
	s_cbranch_execz .LBB210_337
; %bb.332:                              ;   in Loop: Header=BB210_15 Depth=1
	v_bfe_u32 v2, v0, 24, 7
	v_mov_b32_e32 v42, v29
	s_mov_b32 s20, exec_lo
	buffer_store_dword v42, off, s[0:3], s32 offset:524 ; 4-byte Folded Spill
	buffer_store_dword v43, off, s[0:3], s32 offset:528 ; 4-byte Folded Spill
	v_cmpx_ne_u32_e32 0x7f, v2
	s_cbranch_execz .LBB210_336
; %bb.333:                              ;   in Loop: Header=BB210_15 Depth=1
	v_mov_b32_e32 v1, 7
	s_mov_b32 s21, exec_lo
	v_and_b32_sdwa v28, v0, v1 dst_sel:DWORD dst_unused:UNUSED_PAD src0_sel:BYTE_3 src1_sel:DWORD
	v_lshrrev_b32_e32 v1, 3, v2
	v_cmpx_gt_u32_e32 8, v2
; %bb.334:                              ;   in Loop: Header=BB210_15 Depth=1
	v_ffbh_u32_e32 v1, v28
	v_min_u32_e32 v1, 32, v1
	v_subrev_nc_u32_e32 v2, 28, v1
	v_sub_nc_u32_e32 v1, 29, v1
	v_lshlrev_b64 v[2:3], v2, v[28:29]
	v_and_b32_e32 v28, 7, v2
; %bb.335:                              ;   in Loop: Header=BB210_15 Depth=1
	s_or_b32 exec_lo, exec_lo, s21
	v_mov_b32_e32 v2, 24
	v_lshl_add_u32 v1, v1, 23, 0x3c000000
	v_lshlrev_b32_sdwa v0, v2, v0 dst_sel:DWORD dst_unused:UNUSED_PAD src0_sel:DWORD src1_sel:BYTE_3
	v_lshlrev_b32_e32 v2, 20, v28
	v_and_b32_e32 v0, 0x80000000, v0
	v_or3_b32 v1, v2, v0, v1
	v_mov_b32_e32 v0, v29
	buffer_store_dword v0, off, s[0:3], s32 offset:524 ; 4-byte Folded Spill
	buffer_store_dword v1, off, s[0:3], s32 offset:528 ; 4-byte Folded Spill
.LBB210_336:                            ;   in Loop: Header=BB210_15 Depth=1
	s_or_b32 exec_lo, exec_lo, s20
.LBB210_337:                            ;   in Loop: Header=BB210_15 Depth=1
	s_or_b32 exec_lo, exec_lo, s19
.LBB210_338:                            ;   in Loop: Header=BB210_15 Depth=1
	s_or_b32 exec_lo, exec_lo, s18
	flat_load_dword v0, v[22:23] offset:1032
	v_mov_b32_e32 v1, 0
	v_mov_b32_e32 v2, 0
	buffer_store_dword v1, off, s[0:3], s32 offset:548 ; 4-byte Folded Spill
	buffer_store_dword v2, off, s[0:3], s32 offset:552 ; 4-byte Folded Spill
	v_mov_b32_e32 v1, 0
	v_mov_b32_e32 v2, 0
	buffer_store_dword v1, off, s[0:3], s32 offset:540 ; 4-byte Folded Spill
	buffer_store_dword v2, off, s[0:3], s32 offset:544 ; 4-byte Folded Spill
	s_waitcnt vmcnt(0) lgkmcnt(0)
	v_cmp_ne_u16_sdwa s5, v0, v29 src0_sel:BYTE_0 src1_sel:DWORD
	s_and_saveexec_b32 s18, s5
	s_cbranch_execz .LBB210_346
; %bb.339:                              ;   in Loop: Header=BB210_15 Depth=1
	v_bfrev_b32_e32 v1, 1
	v_mov_b32_e32 v2, 0
	buffer_store_dword v1, off, s[0:3], s32 offset:540 ; 4-byte Folded Spill
	buffer_store_dword v2, off, s[0:3], s32 offset:544 ; 4-byte Folded Spill
	v_mov_b32_e32 v1, 0x80
	v_cmp_ne_u16_sdwa s5, v0, v1 src0_sel:BYTE_0 src1_sel:DWORD
	s_and_saveexec_b32 s19, s5
	s_cbranch_execz .LBB210_345
; %bb.340:                              ;   in Loop: Header=BB210_15 Depth=1
	v_mov_b32_e32 v3, 0x7f800001
	v_and_b32_e32 v2, 0x7f, v0
	v_mov_b32_e32 v4, 0
	s_mov_b32 s20, exec_lo
	buffer_store_dword v3, off, s[0:3], s32 offset:540 ; 4-byte Folded Spill
	buffer_store_dword v4, off, s[0:3], s32 offset:544 ; 4-byte Folded Spill
	v_cmpx_ne_u32_e32 0x7f, v2
	s_cbranch_execz .LBB210_344
; %bb.341:                              ;   in Loop: Header=BB210_15 Depth=1
	v_and_b32_e32 v28, 7, v0
	v_lshrrev_b32_e32 v1, 3, v2
	s_mov_b32 s21, exec_lo
	v_cmpx_gt_u32_e32 8, v2
; %bb.342:                              ;   in Loop: Header=BB210_15 Depth=1
	v_ffbh_u32_e32 v1, v28
	v_min_u32_e32 v1, 32, v1
	v_subrev_nc_u32_e32 v2, 28, v1
	v_sub_nc_u32_e32 v1, 29, v1
	v_lshlrev_b64 v[2:3], v2, v[28:29]
	v_and_b32_e32 v28, 7, v2
; %bb.343:                              ;   in Loop: Header=BB210_15 Depth=1
	s_or_b32 exec_lo, exec_lo, s21
	v_lshlrev_b32_e32 v2, 24, v0
	v_lshlrev_b32_e32 v3, 20, v28
	v_lshl_add_u32 v1, v1, 23, 0x3c000000
	v_and_b32_e32 v2, 0x80000000, v2
	v_or3_b32 v28, v3, v2, v1
	buffer_store_dword v28, off, s[0:3], s32 offset:540 ; 4-byte Folded Spill
	buffer_store_dword v29, off, s[0:3], s32 offset:544 ; 4-byte Folded Spill
.LBB210_344:                            ;   in Loop: Header=BB210_15 Depth=1
	s_or_b32 exec_lo, exec_lo, s20
.LBB210_345:                            ;   in Loop: Header=BB210_15 Depth=1
	s_or_b32 exec_lo, exec_lo, s19
.LBB210_346:                            ;   in Loop: Header=BB210_15 Depth=1
	s_or_b32 exec_lo, exec_lo, s18
	v_cmp_ne_u16_sdwa s5, v0, v29 src0_sel:BYTE_1 src1_sel:DWORD
	s_and_saveexec_b32 s18, s5
	s_cbranch_execz .LBB210_354
; %bb.347:                              ;   in Loop: Header=BB210_15 Depth=1
	v_mov_b32_e32 v1, 0x80
	v_mov_b32_e32 v18, v29
	buffer_store_dword v18, off, s[0:3], s32 offset:548 ; 4-byte Folded Spill
	buffer_store_dword v19, off, s[0:3], s32 offset:552 ; 4-byte Folded Spill
	v_cmp_ne_u16_sdwa s5, v0, v1 src0_sel:BYTE_1 src1_sel:DWORD
	s_and_saveexec_b32 s19, s5
	s_cbranch_execz .LBB210_353
; %bb.348:                              ;   in Loop: Header=BB210_15 Depth=1
	v_mov_b32_e32 v1, 0xffff
	v_mov_b32_e32 v42, v29
	s_mov_b32 s20, exec_lo
	buffer_store_dword v42, off, s[0:3], s32 offset:548 ; 4-byte Folded Spill
	buffer_store_dword v43, off, s[0:3], s32 offset:552 ; 4-byte Folded Spill
	v_and_b32_sdwa v1, v1, v0 dst_sel:DWORD dst_unused:UNUSED_PAD src0_sel:DWORD src1_sel:BYTE_1
	v_and_b32_e32 v2, 0x7f, v1
	v_cmpx_ne_u32_e32 0x7f, v2
	s_cbranch_execz .LBB210_352
; %bb.349:                              ;   in Loop: Header=BB210_15 Depth=1
	v_and_b32_e32 v28, 7, v1
	v_lshrrev_b32_e32 v1, 3, v2
	s_mov_b32 s21, exec_lo
	v_cmpx_gt_u32_e32 8, v2
; %bb.350:                              ;   in Loop: Header=BB210_15 Depth=1
	v_ffbh_u32_e32 v1, v28
	v_min_u32_e32 v1, 32, v1
	v_subrev_nc_u32_e32 v2, 28, v1
	v_sub_nc_u32_e32 v1, 29, v1
	v_lshlrev_b64 v[2:3], v2, v[28:29]
	v_and_b32_e32 v28, 7, v2
; %bb.351:                              ;   in Loop: Header=BB210_15 Depth=1
	s_or_b32 exec_lo, exec_lo, s21
	v_lshlrev_b32_e32 v2, 16, v0
	v_lshlrev_b32_e32 v3, 20, v28
	v_lshl_add_u32 v1, v1, 23, 0x3c000000
	v_and_b32_e32 v2, 0x80000000, v2
	v_or3_b32 v2, v3, v2, v1
	v_mov_b32_e32 v1, v29
	buffer_store_dword v1, off, s[0:3], s32 offset:548 ; 4-byte Folded Spill
	buffer_store_dword v2, off, s[0:3], s32 offset:552 ; 4-byte Folded Spill
.LBB210_352:                            ;   in Loop: Header=BB210_15 Depth=1
	s_or_b32 exec_lo, exec_lo, s20
.LBB210_353:                            ;   in Loop: Header=BB210_15 Depth=1
	s_or_b32 exec_lo, exec_lo, s19
.LBB210_354:                            ;   in Loop: Header=BB210_15 Depth=1
	s_or_b32 exec_lo, exec_lo, s18
	v_mov_b32_e32 v2, 0
	v_mov_b32_e32 v3, 0
	;; [unrolled: 1-line block ×3, first 2 shown]
	s_mov_b32 s18, exec_lo
	buffer_store_dword v2, off, s[0:3], s32 offset:556 ; 4-byte Folded Spill
	buffer_store_dword v3, off, s[0:3], s32 offset:560 ; 4-byte Folded Spill
	v_mov_b32_e32 v2, 0
	v_and_b32_sdwa v1, v0, v1 dst_sel:DWORD dst_unused:UNUSED_PAD src0_sel:WORD_1 src1_sel:DWORD
	v_mov_b32_e32 v3, 0
	buffer_store_dword v2, off, s[0:3], s32 offset:564 ; 4-byte Folded Spill
	buffer_store_dword v3, off, s[0:3], s32 offset:568 ; 4-byte Folded Spill
	v_cmpx_ne_u16_e32 0, v1
	s_cbranch_execz .LBB210_362
; %bb.355:                              ;   in Loop: Header=BB210_15 Depth=1
	v_cmp_ne_u16_e64 s5, 0x80, v1
	v_bfrev_b32_e32 v1, 1
	v_mov_b32_e32 v2, 0
	buffer_store_dword v1, off, s[0:3], s32 offset:564 ; 4-byte Folded Spill
	buffer_store_dword v2, off, s[0:3], s32 offset:568 ; 4-byte Folded Spill
	s_and_saveexec_b32 s19, s5
	s_cbranch_execz .LBB210_361
; %bb.356:                              ;   in Loop: Header=BB210_15 Depth=1
	v_mov_b32_e32 v3, 0x7f800001
	v_bfe_u32 v2, v0, 16, 7
	v_mov_b32_e32 v4, 0
	s_mov_b32 s20, exec_lo
	buffer_store_dword v3, off, s[0:3], s32 offset:564 ; 4-byte Folded Spill
	buffer_store_dword v4, off, s[0:3], s32 offset:568 ; 4-byte Folded Spill
	v_cmpx_ne_u32_e32 0x7f, v2
	s_cbranch_execz .LBB210_360
; %bb.357:                              ;   in Loop: Header=BB210_15 Depth=1
	v_mov_b32_e32 v1, 7
	s_mov_b32 s21, exec_lo
	v_and_b32_sdwa v28, v0, v1 dst_sel:DWORD dst_unused:UNUSED_PAD src0_sel:WORD_1 src1_sel:DWORD
	v_lshrrev_b32_e32 v1, 3, v2
	v_cmpx_gt_u32_e32 8, v2
; %bb.358:                              ;   in Loop: Header=BB210_15 Depth=1
	v_ffbh_u32_e32 v1, v28
	v_min_u32_e32 v1, 32, v1
	v_subrev_nc_u32_e32 v2, 28, v1
	v_sub_nc_u32_e32 v1, 29, v1
	v_lshlrev_b64 v[2:3], v2, v[28:29]
	v_and_b32_e32 v28, 7, v2
; %bb.359:                              ;   in Loop: Header=BB210_15 Depth=1
	s_or_b32 exec_lo, exec_lo, s21
	v_mov_b32_e32 v2, 24
	v_lshlrev_b32_e32 v3, 20, v28
	v_lshl_add_u32 v1, v1, 23, 0x3c000000
	v_lshlrev_b32_sdwa v2, v2, v0 dst_sel:DWORD dst_unused:UNUSED_PAD src0_sel:DWORD src1_sel:WORD_1
	v_and_b32_e32 v2, 0x80000000, v2
	v_or3_b32 v28, v3, v2, v1
	buffer_store_dword v28, off, s[0:3], s32 offset:564 ; 4-byte Folded Spill
	buffer_store_dword v29, off, s[0:3], s32 offset:568 ; 4-byte Folded Spill
.LBB210_360:                            ;   in Loop: Header=BB210_15 Depth=1
	s_or_b32 exec_lo, exec_lo, s20
.LBB210_361:                            ;   in Loop: Header=BB210_15 Depth=1
	s_or_b32 exec_lo, exec_lo, s19
.LBB210_362:                            ;   in Loop: Header=BB210_15 Depth=1
	s_or_b32 exec_lo, exec_lo, s18
	s_mov_b32 s18, exec_lo
	v_cmpx_lt_u32_e32 0xffffff, v0
	s_cbranch_execz .LBB210_370
; %bb.363:                              ;   in Loop: Header=BB210_15 Depth=1
	v_mov_b32_e32 v1, 0x80
	v_mov_b32_e32 v18, v29
	buffer_store_dword v18, off, s[0:3], s32 offset:556 ; 4-byte Folded Spill
	buffer_store_dword v19, off, s[0:3], s32 offset:560 ; 4-byte Folded Spill
	v_cmp_ne_u32_sdwa s5, v0, v1 src0_sel:BYTE_3 src1_sel:DWORD
	s_and_saveexec_b32 s19, s5
	s_cbranch_execz .LBB210_369
; %bb.364:                              ;   in Loop: Header=BB210_15 Depth=1
	v_bfe_u32 v2, v0, 24, 7
	v_mov_b32_e32 v42, v29
	s_mov_b32 s20, exec_lo
	buffer_store_dword v42, off, s[0:3], s32 offset:556 ; 4-byte Folded Spill
	buffer_store_dword v43, off, s[0:3], s32 offset:560 ; 4-byte Folded Spill
	v_cmpx_ne_u32_e32 0x7f, v2
	s_cbranch_execz .LBB210_368
; %bb.365:                              ;   in Loop: Header=BB210_15 Depth=1
	v_mov_b32_e32 v1, 7
	s_mov_b32 s21, exec_lo
	v_and_b32_sdwa v28, v0, v1 dst_sel:DWORD dst_unused:UNUSED_PAD src0_sel:BYTE_3 src1_sel:DWORD
	v_lshrrev_b32_e32 v1, 3, v2
	v_cmpx_gt_u32_e32 8, v2
; %bb.366:                              ;   in Loop: Header=BB210_15 Depth=1
	v_ffbh_u32_e32 v1, v28
	v_min_u32_e32 v1, 32, v1
	v_subrev_nc_u32_e32 v2, 28, v1
	v_sub_nc_u32_e32 v1, 29, v1
	v_lshlrev_b64 v[2:3], v2, v[28:29]
	v_and_b32_e32 v28, 7, v2
; %bb.367:                              ;   in Loop: Header=BB210_15 Depth=1
	s_or_b32 exec_lo, exec_lo, s21
	v_mov_b32_e32 v2, 24
	v_lshl_add_u32 v1, v1, 23, 0x3c000000
	v_lshlrev_b32_sdwa v0, v2, v0 dst_sel:DWORD dst_unused:UNUSED_PAD src0_sel:DWORD src1_sel:BYTE_3
	v_lshlrev_b32_e32 v2, 20, v28
	v_and_b32_e32 v0, 0x80000000, v0
	v_or3_b32 v1, v2, v0, v1
	v_mov_b32_e32 v0, v29
	buffer_store_dword v0, off, s[0:3], s32 offset:556 ; 4-byte Folded Spill
	buffer_store_dword v1, off, s[0:3], s32 offset:560 ; 4-byte Folded Spill
.LBB210_368:                            ;   in Loop: Header=BB210_15 Depth=1
	s_or_b32 exec_lo, exec_lo, s20
.LBB210_369:                            ;   in Loop: Header=BB210_15 Depth=1
	s_or_b32 exec_lo, exec_lo, s19
.LBB210_370:                            ;   in Loop: Header=BB210_15 Depth=1
	s_or_b32 exec_lo, exec_lo, s18
	flat_load_dword v0, v[22:23] offset:1036
	v_mov_b32_e32 v1, 0
	v_mov_b32_e32 v2, 0
	buffer_store_dword v1, off, s[0:3], s32 offset:580 ; 4-byte Folded Spill
	buffer_store_dword v2, off, s[0:3], s32 offset:584 ; 4-byte Folded Spill
	v_mov_b32_e32 v1, 0
	v_mov_b32_e32 v2, 0
	buffer_store_dword v1, off, s[0:3], s32 offset:572 ; 4-byte Folded Spill
	buffer_store_dword v2, off, s[0:3], s32 offset:576 ; 4-byte Folded Spill
	s_waitcnt vmcnt(0) lgkmcnt(0)
	v_cmp_ne_u16_sdwa s5, v0, v29 src0_sel:BYTE_0 src1_sel:DWORD
	s_and_saveexec_b32 s18, s5
	s_cbranch_execz .LBB210_378
; %bb.371:                              ;   in Loop: Header=BB210_15 Depth=1
	v_bfrev_b32_e32 v1, 1
	v_mov_b32_e32 v2, 0
	buffer_store_dword v1, off, s[0:3], s32 offset:572 ; 4-byte Folded Spill
	buffer_store_dword v2, off, s[0:3], s32 offset:576 ; 4-byte Folded Spill
	v_mov_b32_e32 v1, 0x80
	v_cmp_ne_u16_sdwa s5, v0, v1 src0_sel:BYTE_0 src1_sel:DWORD
	s_and_saveexec_b32 s19, s5
	s_cbranch_execz .LBB210_377
; %bb.372:                              ;   in Loop: Header=BB210_15 Depth=1
	v_mov_b32_e32 v3, 0x7f800001
	v_and_b32_e32 v2, 0x7f, v0
	v_mov_b32_e32 v4, 0
	s_mov_b32 s20, exec_lo
	buffer_store_dword v3, off, s[0:3], s32 offset:572 ; 4-byte Folded Spill
	buffer_store_dword v4, off, s[0:3], s32 offset:576 ; 4-byte Folded Spill
	v_cmpx_ne_u32_e32 0x7f, v2
	s_cbranch_execz .LBB210_376
; %bb.373:                              ;   in Loop: Header=BB210_15 Depth=1
	v_and_b32_e32 v28, 7, v0
	v_lshrrev_b32_e32 v1, 3, v2
	s_mov_b32 s21, exec_lo
	v_cmpx_gt_u32_e32 8, v2
; %bb.374:                              ;   in Loop: Header=BB210_15 Depth=1
	v_ffbh_u32_e32 v1, v28
	v_min_u32_e32 v1, 32, v1
	v_subrev_nc_u32_e32 v2, 28, v1
	v_sub_nc_u32_e32 v1, 29, v1
	v_lshlrev_b64 v[2:3], v2, v[28:29]
	v_and_b32_e32 v28, 7, v2
; %bb.375:                              ;   in Loop: Header=BB210_15 Depth=1
	s_or_b32 exec_lo, exec_lo, s21
	v_lshlrev_b32_e32 v2, 24, v0
	v_lshlrev_b32_e32 v3, 20, v28
	v_lshl_add_u32 v1, v1, 23, 0x3c000000
	v_and_b32_e32 v2, 0x80000000, v2
	v_or3_b32 v28, v3, v2, v1
	buffer_store_dword v28, off, s[0:3], s32 offset:572 ; 4-byte Folded Spill
	buffer_store_dword v29, off, s[0:3], s32 offset:576 ; 4-byte Folded Spill
.LBB210_376:                            ;   in Loop: Header=BB210_15 Depth=1
	s_or_b32 exec_lo, exec_lo, s20
.LBB210_377:                            ;   in Loop: Header=BB210_15 Depth=1
	s_or_b32 exec_lo, exec_lo, s19
.LBB210_378:                            ;   in Loop: Header=BB210_15 Depth=1
	s_or_b32 exec_lo, exec_lo, s18
	v_cmp_ne_u16_sdwa s5, v0, v29 src0_sel:BYTE_1 src1_sel:DWORD
	s_and_saveexec_b32 s18, s5
	s_cbranch_execz .LBB210_386
; %bb.379:                              ;   in Loop: Header=BB210_15 Depth=1
	v_mov_b32_e32 v1, 0x80
	v_mov_b32_e32 v18, v29
	buffer_store_dword v18, off, s[0:3], s32 offset:580 ; 4-byte Folded Spill
	buffer_store_dword v19, off, s[0:3], s32 offset:584 ; 4-byte Folded Spill
	v_cmp_ne_u16_sdwa s5, v0, v1 src0_sel:BYTE_1 src1_sel:DWORD
	s_and_saveexec_b32 s19, s5
	s_cbranch_execz .LBB210_385
; %bb.380:                              ;   in Loop: Header=BB210_15 Depth=1
	v_mov_b32_e32 v1, 0xffff
	v_mov_b32_e32 v42, v29
	s_mov_b32 s20, exec_lo
	buffer_store_dword v42, off, s[0:3], s32 offset:580 ; 4-byte Folded Spill
	buffer_store_dword v43, off, s[0:3], s32 offset:584 ; 4-byte Folded Spill
	v_and_b32_sdwa v1, v1, v0 dst_sel:DWORD dst_unused:UNUSED_PAD src0_sel:DWORD src1_sel:BYTE_1
	v_and_b32_e32 v2, 0x7f, v1
	v_cmpx_ne_u32_e32 0x7f, v2
	s_cbranch_execz .LBB210_384
; %bb.381:                              ;   in Loop: Header=BB210_15 Depth=1
	v_and_b32_e32 v28, 7, v1
	v_lshrrev_b32_e32 v1, 3, v2
	s_mov_b32 s21, exec_lo
	v_cmpx_gt_u32_e32 8, v2
; %bb.382:                              ;   in Loop: Header=BB210_15 Depth=1
	v_ffbh_u32_e32 v1, v28
	v_min_u32_e32 v1, 32, v1
	v_subrev_nc_u32_e32 v2, 28, v1
	v_sub_nc_u32_e32 v1, 29, v1
	v_lshlrev_b64 v[2:3], v2, v[28:29]
	v_and_b32_e32 v28, 7, v2
; %bb.383:                              ;   in Loop: Header=BB210_15 Depth=1
	s_or_b32 exec_lo, exec_lo, s21
	v_lshlrev_b32_e32 v2, 16, v0
	v_lshlrev_b32_e32 v3, 20, v28
	v_lshl_add_u32 v1, v1, 23, 0x3c000000
	v_and_b32_e32 v2, 0x80000000, v2
	v_or3_b32 v2, v3, v2, v1
	v_mov_b32_e32 v1, v29
	buffer_store_dword v1, off, s[0:3], s32 offset:580 ; 4-byte Folded Spill
	buffer_store_dword v2, off, s[0:3], s32 offset:584 ; 4-byte Folded Spill
.LBB210_384:                            ;   in Loop: Header=BB210_15 Depth=1
	s_or_b32 exec_lo, exec_lo, s20
.LBB210_385:                            ;   in Loop: Header=BB210_15 Depth=1
	s_or_b32 exec_lo, exec_lo, s19
.LBB210_386:                            ;   in Loop: Header=BB210_15 Depth=1
	s_or_b32 exec_lo, exec_lo, s18
	v_mov_b32_e32 v2, 0
	v_mov_b32_e32 v3, 0
	;; [unrolled: 1-line block ×3, first 2 shown]
	s_mov_b32 s18, exec_lo
	buffer_store_dword v2, off, s[0:3], s32 offset:588 ; 4-byte Folded Spill
	buffer_store_dword v3, off, s[0:3], s32 offset:592 ; 4-byte Folded Spill
	v_mov_b32_e32 v2, 0
	v_and_b32_sdwa v1, v0, v1 dst_sel:DWORD dst_unused:UNUSED_PAD src0_sel:WORD_1 src1_sel:DWORD
	v_mov_b32_e32 v3, 0
	buffer_store_dword v2, off, s[0:3], s32 offset:596 ; 4-byte Folded Spill
	buffer_store_dword v3, off, s[0:3], s32 offset:600 ; 4-byte Folded Spill
	v_cmpx_ne_u16_e32 0, v1
	s_cbranch_execz .LBB210_394
; %bb.387:                              ;   in Loop: Header=BB210_15 Depth=1
	v_cmp_ne_u16_e64 s5, 0x80, v1
	v_bfrev_b32_e32 v1, 1
	v_mov_b32_e32 v2, 0
	buffer_store_dword v1, off, s[0:3], s32 offset:596 ; 4-byte Folded Spill
	buffer_store_dword v2, off, s[0:3], s32 offset:600 ; 4-byte Folded Spill
	s_and_saveexec_b32 s19, s5
	s_cbranch_execz .LBB210_393
; %bb.388:                              ;   in Loop: Header=BB210_15 Depth=1
	v_mov_b32_e32 v3, 0x7f800001
	v_bfe_u32 v2, v0, 16, 7
	v_mov_b32_e32 v4, 0
	s_mov_b32 s20, exec_lo
	buffer_store_dword v3, off, s[0:3], s32 offset:596 ; 4-byte Folded Spill
	buffer_store_dword v4, off, s[0:3], s32 offset:600 ; 4-byte Folded Spill
	v_cmpx_ne_u32_e32 0x7f, v2
	s_cbranch_execz .LBB210_392
; %bb.389:                              ;   in Loop: Header=BB210_15 Depth=1
	v_mov_b32_e32 v1, 7
	s_mov_b32 s21, exec_lo
	v_and_b32_sdwa v28, v0, v1 dst_sel:DWORD dst_unused:UNUSED_PAD src0_sel:WORD_1 src1_sel:DWORD
	v_lshrrev_b32_e32 v1, 3, v2
	v_cmpx_gt_u32_e32 8, v2
; %bb.390:                              ;   in Loop: Header=BB210_15 Depth=1
	v_ffbh_u32_e32 v1, v28
	v_min_u32_e32 v1, 32, v1
	v_subrev_nc_u32_e32 v2, 28, v1
	v_sub_nc_u32_e32 v1, 29, v1
	v_lshlrev_b64 v[2:3], v2, v[28:29]
	v_and_b32_e32 v28, 7, v2
; %bb.391:                              ;   in Loop: Header=BB210_15 Depth=1
	s_or_b32 exec_lo, exec_lo, s21
	v_mov_b32_e32 v2, 24
	v_lshlrev_b32_e32 v3, 20, v28
	v_lshl_add_u32 v1, v1, 23, 0x3c000000
	v_lshlrev_b32_sdwa v2, v2, v0 dst_sel:DWORD dst_unused:UNUSED_PAD src0_sel:DWORD src1_sel:WORD_1
	v_and_b32_e32 v2, 0x80000000, v2
	v_or3_b32 v28, v3, v2, v1
	buffer_store_dword v28, off, s[0:3], s32 offset:596 ; 4-byte Folded Spill
	buffer_store_dword v29, off, s[0:3], s32 offset:600 ; 4-byte Folded Spill
.LBB210_392:                            ;   in Loop: Header=BB210_15 Depth=1
	s_or_b32 exec_lo, exec_lo, s20
.LBB210_393:                            ;   in Loop: Header=BB210_15 Depth=1
	s_or_b32 exec_lo, exec_lo, s19
.LBB210_394:                            ;   in Loop: Header=BB210_15 Depth=1
	s_or_b32 exec_lo, exec_lo, s18
	s_mov_b32 s18, exec_lo
	v_cmpx_lt_u32_e32 0xffffff, v0
	s_cbranch_execz .LBB210_402
; %bb.395:                              ;   in Loop: Header=BB210_15 Depth=1
	v_mov_b32_e32 v1, 0x80
	v_mov_b32_e32 v18, v29
	buffer_store_dword v18, off, s[0:3], s32 offset:588 ; 4-byte Folded Spill
	buffer_store_dword v19, off, s[0:3], s32 offset:592 ; 4-byte Folded Spill
	v_cmp_ne_u32_sdwa s5, v0, v1 src0_sel:BYTE_3 src1_sel:DWORD
	s_and_saveexec_b32 s19, s5
	s_cbranch_execz .LBB210_401
; %bb.396:                              ;   in Loop: Header=BB210_15 Depth=1
	v_bfe_u32 v2, v0, 24, 7
	v_mov_b32_e32 v42, v29
	s_mov_b32 s20, exec_lo
	buffer_store_dword v42, off, s[0:3], s32 offset:588 ; 4-byte Folded Spill
	buffer_store_dword v43, off, s[0:3], s32 offset:592 ; 4-byte Folded Spill
	v_cmpx_ne_u32_e32 0x7f, v2
	s_cbranch_execz .LBB210_400
; %bb.397:                              ;   in Loop: Header=BB210_15 Depth=1
	v_mov_b32_e32 v1, 7
	s_mov_b32 s21, exec_lo
	v_and_b32_sdwa v28, v0, v1 dst_sel:DWORD dst_unused:UNUSED_PAD src0_sel:BYTE_3 src1_sel:DWORD
	v_lshrrev_b32_e32 v1, 3, v2
	v_cmpx_gt_u32_e32 8, v2
; %bb.398:                              ;   in Loop: Header=BB210_15 Depth=1
	v_ffbh_u32_e32 v1, v28
	v_min_u32_e32 v1, 32, v1
	v_subrev_nc_u32_e32 v2, 28, v1
	v_sub_nc_u32_e32 v1, 29, v1
	v_lshlrev_b64 v[2:3], v2, v[28:29]
	v_and_b32_e32 v28, 7, v2
; %bb.399:                              ;   in Loop: Header=BB210_15 Depth=1
	s_or_b32 exec_lo, exec_lo, s21
	v_mov_b32_e32 v2, 24
	v_lshl_add_u32 v1, v1, 23, 0x3c000000
	v_lshlrev_b32_sdwa v0, v2, v0 dst_sel:DWORD dst_unused:UNUSED_PAD src0_sel:DWORD src1_sel:BYTE_3
	v_lshlrev_b32_e32 v2, 20, v28
	v_and_b32_e32 v0, 0x80000000, v0
	v_or3_b32 v1, v2, v0, v1
	v_mov_b32_e32 v0, v29
	buffer_store_dword v0, off, s[0:3], s32 offset:588 ; 4-byte Folded Spill
	buffer_store_dword v1, off, s[0:3], s32 offset:592 ; 4-byte Folded Spill
.LBB210_400:                            ;   in Loop: Header=BB210_15 Depth=1
	s_or_b32 exec_lo, exec_lo, s20
.LBB210_401:                            ;   in Loop: Header=BB210_15 Depth=1
	s_or_b32 exec_lo, exec_lo, s19
.LBB210_402:                            ;   in Loop: Header=BB210_15 Depth=1
	s_or_b32 exec_lo, exec_lo, s18
	flat_load_dword v0, v[22:23] offset:1536
	v_mov_b32_e32 v1, 0
	v_mov_b32_e32 v2, 0
	buffer_store_dword v1, off, s[0:3], s32 offset:612 ; 4-byte Folded Spill
	buffer_store_dword v2, off, s[0:3], s32 offset:616 ; 4-byte Folded Spill
	v_mov_b32_e32 v1, 0
	v_mov_b32_e32 v2, 0
	buffer_store_dword v1, off, s[0:3], s32 offset:604 ; 4-byte Folded Spill
	buffer_store_dword v2, off, s[0:3], s32 offset:608 ; 4-byte Folded Spill
	s_waitcnt vmcnt(0) lgkmcnt(0)
	v_cmp_ne_u16_sdwa s5, v0, v29 src0_sel:BYTE_0 src1_sel:DWORD
	s_and_saveexec_b32 s18, s5
	s_cbranch_execz .LBB210_410
; %bb.403:                              ;   in Loop: Header=BB210_15 Depth=1
	v_bfrev_b32_e32 v1, 1
	v_mov_b32_e32 v2, 0
	buffer_store_dword v1, off, s[0:3], s32 offset:604 ; 4-byte Folded Spill
	buffer_store_dword v2, off, s[0:3], s32 offset:608 ; 4-byte Folded Spill
	v_mov_b32_e32 v1, 0x80
	v_cmp_ne_u16_sdwa s5, v0, v1 src0_sel:BYTE_0 src1_sel:DWORD
	s_and_saveexec_b32 s19, s5
	s_cbranch_execz .LBB210_409
; %bb.404:                              ;   in Loop: Header=BB210_15 Depth=1
	v_mov_b32_e32 v3, 0x7f800001
	v_and_b32_e32 v2, 0x7f, v0
	v_mov_b32_e32 v4, 0
	s_mov_b32 s20, exec_lo
	buffer_store_dword v3, off, s[0:3], s32 offset:604 ; 4-byte Folded Spill
	buffer_store_dword v4, off, s[0:3], s32 offset:608 ; 4-byte Folded Spill
	v_cmpx_ne_u32_e32 0x7f, v2
	s_cbranch_execz .LBB210_408
; %bb.405:                              ;   in Loop: Header=BB210_15 Depth=1
	v_and_b32_e32 v28, 7, v0
	v_lshrrev_b32_e32 v1, 3, v2
	s_mov_b32 s21, exec_lo
	v_cmpx_gt_u32_e32 8, v2
; %bb.406:                              ;   in Loop: Header=BB210_15 Depth=1
	v_ffbh_u32_e32 v1, v28
	v_min_u32_e32 v1, 32, v1
	v_subrev_nc_u32_e32 v2, 28, v1
	v_sub_nc_u32_e32 v1, 29, v1
	v_lshlrev_b64 v[2:3], v2, v[28:29]
	v_and_b32_e32 v28, 7, v2
; %bb.407:                              ;   in Loop: Header=BB210_15 Depth=1
	s_or_b32 exec_lo, exec_lo, s21
	v_lshlrev_b32_e32 v2, 24, v0
	v_lshlrev_b32_e32 v3, 20, v28
	v_lshl_add_u32 v1, v1, 23, 0x3c000000
	v_and_b32_e32 v2, 0x80000000, v2
	v_or3_b32 v28, v3, v2, v1
	buffer_store_dword v28, off, s[0:3], s32 offset:604 ; 4-byte Folded Spill
	buffer_store_dword v29, off, s[0:3], s32 offset:608 ; 4-byte Folded Spill
.LBB210_408:                            ;   in Loop: Header=BB210_15 Depth=1
	s_or_b32 exec_lo, exec_lo, s20
.LBB210_409:                            ;   in Loop: Header=BB210_15 Depth=1
	s_or_b32 exec_lo, exec_lo, s19
.LBB210_410:                            ;   in Loop: Header=BB210_15 Depth=1
	s_or_b32 exec_lo, exec_lo, s18
	v_cmp_ne_u16_sdwa s5, v0, v29 src0_sel:BYTE_1 src1_sel:DWORD
	s_and_saveexec_b32 s18, s5
	s_cbranch_execz .LBB210_418
; %bb.411:                              ;   in Loop: Header=BB210_15 Depth=1
	v_mov_b32_e32 v1, 0x80
	v_mov_b32_e32 v18, v29
	buffer_store_dword v18, off, s[0:3], s32 offset:612 ; 4-byte Folded Spill
	buffer_store_dword v19, off, s[0:3], s32 offset:616 ; 4-byte Folded Spill
	v_cmp_ne_u16_sdwa s5, v0, v1 src0_sel:BYTE_1 src1_sel:DWORD
	s_and_saveexec_b32 s19, s5
	s_cbranch_execz .LBB210_417
; %bb.412:                              ;   in Loop: Header=BB210_15 Depth=1
	v_mov_b32_e32 v1, 0xffff
	v_mov_b32_e32 v42, v29
	s_mov_b32 s20, exec_lo
	buffer_store_dword v42, off, s[0:3], s32 offset:612 ; 4-byte Folded Spill
	buffer_store_dword v43, off, s[0:3], s32 offset:616 ; 4-byte Folded Spill
	v_and_b32_sdwa v1, v1, v0 dst_sel:DWORD dst_unused:UNUSED_PAD src0_sel:DWORD src1_sel:BYTE_1
	v_and_b32_e32 v2, 0x7f, v1
	v_cmpx_ne_u32_e32 0x7f, v2
	s_cbranch_execz .LBB210_416
; %bb.413:                              ;   in Loop: Header=BB210_15 Depth=1
	v_and_b32_e32 v28, 7, v1
	v_lshrrev_b32_e32 v1, 3, v2
	s_mov_b32 s21, exec_lo
	v_cmpx_gt_u32_e32 8, v2
; %bb.414:                              ;   in Loop: Header=BB210_15 Depth=1
	v_ffbh_u32_e32 v1, v28
	v_min_u32_e32 v1, 32, v1
	v_subrev_nc_u32_e32 v2, 28, v1
	v_sub_nc_u32_e32 v1, 29, v1
	v_lshlrev_b64 v[2:3], v2, v[28:29]
	v_and_b32_e32 v28, 7, v2
; %bb.415:                              ;   in Loop: Header=BB210_15 Depth=1
	s_or_b32 exec_lo, exec_lo, s21
	v_lshlrev_b32_e32 v2, 16, v0
	v_lshlrev_b32_e32 v3, 20, v28
	v_lshl_add_u32 v1, v1, 23, 0x3c000000
	v_and_b32_e32 v2, 0x80000000, v2
	v_or3_b32 v2, v3, v2, v1
	v_mov_b32_e32 v1, v29
	buffer_store_dword v1, off, s[0:3], s32 offset:612 ; 4-byte Folded Spill
	buffer_store_dword v2, off, s[0:3], s32 offset:616 ; 4-byte Folded Spill
.LBB210_416:                            ;   in Loop: Header=BB210_15 Depth=1
	s_or_b32 exec_lo, exec_lo, s20
.LBB210_417:                            ;   in Loop: Header=BB210_15 Depth=1
	s_or_b32 exec_lo, exec_lo, s19
.LBB210_418:                            ;   in Loop: Header=BB210_15 Depth=1
	s_or_b32 exec_lo, exec_lo, s18
	v_mov_b32_e32 v2, 0
	v_mov_b32_e32 v3, 0
	;; [unrolled: 1-line block ×3, first 2 shown]
	s_mov_b32 s18, exec_lo
	buffer_store_dword v2, off, s[0:3], s32 offset:620 ; 4-byte Folded Spill
	buffer_store_dword v3, off, s[0:3], s32 offset:624 ; 4-byte Folded Spill
	v_mov_b32_e32 v2, 0
	v_and_b32_sdwa v1, v0, v1 dst_sel:DWORD dst_unused:UNUSED_PAD src0_sel:WORD_1 src1_sel:DWORD
	v_mov_b32_e32 v3, 0
	buffer_store_dword v2, off, s[0:3], s32 offset:628 ; 4-byte Folded Spill
	buffer_store_dword v3, off, s[0:3], s32 offset:632 ; 4-byte Folded Spill
	v_cmpx_ne_u16_e32 0, v1
	s_cbranch_execz .LBB210_426
; %bb.419:                              ;   in Loop: Header=BB210_15 Depth=1
	v_cmp_ne_u16_e64 s5, 0x80, v1
	v_bfrev_b32_e32 v1, 1
	v_mov_b32_e32 v2, 0
	buffer_store_dword v1, off, s[0:3], s32 offset:628 ; 4-byte Folded Spill
	buffer_store_dword v2, off, s[0:3], s32 offset:632 ; 4-byte Folded Spill
	s_and_saveexec_b32 s19, s5
	s_cbranch_execz .LBB210_425
; %bb.420:                              ;   in Loop: Header=BB210_15 Depth=1
	v_mov_b32_e32 v3, 0x7f800001
	v_bfe_u32 v2, v0, 16, 7
	v_mov_b32_e32 v4, 0
	s_mov_b32 s20, exec_lo
	buffer_store_dword v3, off, s[0:3], s32 offset:628 ; 4-byte Folded Spill
	buffer_store_dword v4, off, s[0:3], s32 offset:632 ; 4-byte Folded Spill
	v_cmpx_ne_u32_e32 0x7f, v2
	s_cbranch_execz .LBB210_424
; %bb.421:                              ;   in Loop: Header=BB210_15 Depth=1
	v_mov_b32_e32 v1, 7
	s_mov_b32 s21, exec_lo
	v_and_b32_sdwa v28, v0, v1 dst_sel:DWORD dst_unused:UNUSED_PAD src0_sel:WORD_1 src1_sel:DWORD
	v_lshrrev_b32_e32 v1, 3, v2
	v_cmpx_gt_u32_e32 8, v2
; %bb.422:                              ;   in Loop: Header=BB210_15 Depth=1
	v_ffbh_u32_e32 v1, v28
	v_min_u32_e32 v1, 32, v1
	v_subrev_nc_u32_e32 v2, 28, v1
	v_sub_nc_u32_e32 v1, 29, v1
	v_lshlrev_b64 v[2:3], v2, v[28:29]
	v_and_b32_e32 v28, 7, v2
; %bb.423:                              ;   in Loop: Header=BB210_15 Depth=1
	s_or_b32 exec_lo, exec_lo, s21
	v_mov_b32_e32 v2, 24
	v_lshlrev_b32_e32 v3, 20, v28
	v_lshl_add_u32 v1, v1, 23, 0x3c000000
	v_lshlrev_b32_sdwa v2, v2, v0 dst_sel:DWORD dst_unused:UNUSED_PAD src0_sel:DWORD src1_sel:WORD_1
	v_and_b32_e32 v2, 0x80000000, v2
	v_or3_b32 v28, v3, v2, v1
	buffer_store_dword v28, off, s[0:3], s32 offset:628 ; 4-byte Folded Spill
	buffer_store_dword v29, off, s[0:3], s32 offset:632 ; 4-byte Folded Spill
.LBB210_424:                            ;   in Loop: Header=BB210_15 Depth=1
	s_or_b32 exec_lo, exec_lo, s20
.LBB210_425:                            ;   in Loop: Header=BB210_15 Depth=1
	s_or_b32 exec_lo, exec_lo, s19
.LBB210_426:                            ;   in Loop: Header=BB210_15 Depth=1
	s_or_b32 exec_lo, exec_lo, s18
	s_mov_b32 s18, exec_lo
	v_cmpx_lt_u32_e32 0xffffff, v0
	s_cbranch_execz .LBB210_434
; %bb.427:                              ;   in Loop: Header=BB210_15 Depth=1
	v_mov_b32_e32 v1, 0x80
	v_mov_b32_e32 v18, v29
	buffer_store_dword v18, off, s[0:3], s32 offset:620 ; 4-byte Folded Spill
	buffer_store_dword v19, off, s[0:3], s32 offset:624 ; 4-byte Folded Spill
	v_cmp_ne_u32_sdwa s5, v0, v1 src0_sel:BYTE_3 src1_sel:DWORD
	s_and_saveexec_b32 s19, s5
	s_cbranch_execz .LBB210_433
; %bb.428:                              ;   in Loop: Header=BB210_15 Depth=1
	v_bfe_u32 v2, v0, 24, 7
	v_mov_b32_e32 v42, v29
	s_mov_b32 s20, exec_lo
	buffer_store_dword v42, off, s[0:3], s32 offset:620 ; 4-byte Folded Spill
	buffer_store_dword v43, off, s[0:3], s32 offset:624 ; 4-byte Folded Spill
	v_cmpx_ne_u32_e32 0x7f, v2
	s_cbranch_execz .LBB210_432
; %bb.429:                              ;   in Loop: Header=BB210_15 Depth=1
	v_mov_b32_e32 v1, 7
	s_mov_b32 s21, exec_lo
	v_and_b32_sdwa v28, v0, v1 dst_sel:DWORD dst_unused:UNUSED_PAD src0_sel:BYTE_3 src1_sel:DWORD
	v_lshrrev_b32_e32 v1, 3, v2
	v_cmpx_gt_u32_e32 8, v2
; %bb.430:                              ;   in Loop: Header=BB210_15 Depth=1
	v_ffbh_u32_e32 v1, v28
	v_min_u32_e32 v1, 32, v1
	v_subrev_nc_u32_e32 v2, 28, v1
	v_sub_nc_u32_e32 v1, 29, v1
	v_lshlrev_b64 v[2:3], v2, v[28:29]
	v_and_b32_e32 v28, 7, v2
; %bb.431:                              ;   in Loop: Header=BB210_15 Depth=1
	s_or_b32 exec_lo, exec_lo, s21
	v_mov_b32_e32 v2, 24
	v_lshl_add_u32 v1, v1, 23, 0x3c000000
	v_lshlrev_b32_sdwa v0, v2, v0 dst_sel:DWORD dst_unused:UNUSED_PAD src0_sel:DWORD src1_sel:BYTE_3
	v_lshlrev_b32_e32 v2, 20, v28
	v_and_b32_e32 v0, 0x80000000, v0
	v_or3_b32 v1, v2, v0, v1
	v_mov_b32_e32 v0, v29
	buffer_store_dword v0, off, s[0:3], s32 offset:620 ; 4-byte Folded Spill
	buffer_store_dword v1, off, s[0:3], s32 offset:624 ; 4-byte Folded Spill
.LBB210_432:                            ;   in Loop: Header=BB210_15 Depth=1
	s_or_b32 exec_lo, exec_lo, s20
.LBB210_433:                            ;   in Loop: Header=BB210_15 Depth=1
	s_or_b32 exec_lo, exec_lo, s19
.LBB210_434:                            ;   in Loop: Header=BB210_15 Depth=1
	s_or_b32 exec_lo, exec_lo, s18
	flat_load_dword v0, v[22:23] offset:1540
	v_mov_b32_e32 v1, 0
	v_mov_b32_e32 v2, 0
	buffer_store_dword v1, off, s[0:3], s32 offset:644 ; 4-byte Folded Spill
	buffer_store_dword v2, off, s[0:3], s32 offset:648 ; 4-byte Folded Spill
	v_mov_b32_e32 v1, 0
	v_mov_b32_e32 v2, 0
	buffer_store_dword v1, off, s[0:3], s32 offset:636 ; 4-byte Folded Spill
	buffer_store_dword v2, off, s[0:3], s32 offset:640 ; 4-byte Folded Spill
	s_waitcnt vmcnt(0) lgkmcnt(0)
	v_cmp_ne_u16_sdwa s5, v0, v29 src0_sel:BYTE_0 src1_sel:DWORD
	s_and_saveexec_b32 s18, s5
	s_cbranch_execz .LBB210_442
; %bb.435:                              ;   in Loop: Header=BB210_15 Depth=1
	v_bfrev_b32_e32 v1, 1
	v_mov_b32_e32 v2, 0
	buffer_store_dword v1, off, s[0:3], s32 offset:636 ; 4-byte Folded Spill
	buffer_store_dword v2, off, s[0:3], s32 offset:640 ; 4-byte Folded Spill
	v_mov_b32_e32 v1, 0x80
	v_cmp_ne_u16_sdwa s5, v0, v1 src0_sel:BYTE_0 src1_sel:DWORD
	s_and_saveexec_b32 s19, s5
	s_cbranch_execz .LBB210_441
; %bb.436:                              ;   in Loop: Header=BB210_15 Depth=1
	v_mov_b32_e32 v3, 0x7f800001
	v_and_b32_e32 v2, 0x7f, v0
	v_mov_b32_e32 v4, 0
	s_mov_b32 s20, exec_lo
	buffer_store_dword v3, off, s[0:3], s32 offset:636 ; 4-byte Folded Spill
	buffer_store_dword v4, off, s[0:3], s32 offset:640 ; 4-byte Folded Spill
	v_cmpx_ne_u32_e32 0x7f, v2
	s_cbranch_execz .LBB210_440
; %bb.437:                              ;   in Loop: Header=BB210_15 Depth=1
	v_and_b32_e32 v28, 7, v0
	v_lshrrev_b32_e32 v1, 3, v2
	s_mov_b32 s21, exec_lo
	v_cmpx_gt_u32_e32 8, v2
; %bb.438:                              ;   in Loop: Header=BB210_15 Depth=1
	v_ffbh_u32_e32 v1, v28
	v_min_u32_e32 v1, 32, v1
	v_subrev_nc_u32_e32 v2, 28, v1
	v_sub_nc_u32_e32 v1, 29, v1
	v_lshlrev_b64 v[2:3], v2, v[28:29]
	v_and_b32_e32 v28, 7, v2
; %bb.439:                              ;   in Loop: Header=BB210_15 Depth=1
	s_or_b32 exec_lo, exec_lo, s21
	v_lshlrev_b32_e32 v2, 24, v0
	v_lshlrev_b32_e32 v3, 20, v28
	v_lshl_add_u32 v1, v1, 23, 0x3c000000
	v_and_b32_e32 v2, 0x80000000, v2
	v_or3_b32 v28, v3, v2, v1
	buffer_store_dword v28, off, s[0:3], s32 offset:636 ; 4-byte Folded Spill
	buffer_store_dword v29, off, s[0:3], s32 offset:640 ; 4-byte Folded Spill
.LBB210_440:                            ;   in Loop: Header=BB210_15 Depth=1
	s_or_b32 exec_lo, exec_lo, s20
.LBB210_441:                            ;   in Loop: Header=BB210_15 Depth=1
	s_or_b32 exec_lo, exec_lo, s19
.LBB210_442:                            ;   in Loop: Header=BB210_15 Depth=1
	s_or_b32 exec_lo, exec_lo, s18
	v_cmp_ne_u16_sdwa s5, v0, v29 src0_sel:BYTE_1 src1_sel:DWORD
	s_and_saveexec_b32 s18, s5
	s_cbranch_execz .LBB210_450
; %bb.443:                              ;   in Loop: Header=BB210_15 Depth=1
	v_mov_b32_e32 v1, 0x80
	v_mov_b32_e32 v18, v29
	buffer_store_dword v18, off, s[0:3], s32 offset:644 ; 4-byte Folded Spill
	buffer_store_dword v19, off, s[0:3], s32 offset:648 ; 4-byte Folded Spill
	v_cmp_ne_u16_sdwa s5, v0, v1 src0_sel:BYTE_1 src1_sel:DWORD
	s_and_saveexec_b32 s19, s5
	s_cbranch_execz .LBB210_449
; %bb.444:                              ;   in Loop: Header=BB210_15 Depth=1
	v_mov_b32_e32 v1, 0xffff
	v_mov_b32_e32 v42, v29
	s_mov_b32 s20, exec_lo
	buffer_store_dword v42, off, s[0:3], s32 offset:644 ; 4-byte Folded Spill
	buffer_store_dword v43, off, s[0:3], s32 offset:648 ; 4-byte Folded Spill
	v_and_b32_sdwa v1, v1, v0 dst_sel:DWORD dst_unused:UNUSED_PAD src0_sel:DWORD src1_sel:BYTE_1
	v_and_b32_e32 v2, 0x7f, v1
	v_cmpx_ne_u32_e32 0x7f, v2
	s_cbranch_execz .LBB210_448
; %bb.445:                              ;   in Loop: Header=BB210_15 Depth=1
	v_and_b32_e32 v28, 7, v1
	v_lshrrev_b32_e32 v1, 3, v2
	s_mov_b32 s21, exec_lo
	v_cmpx_gt_u32_e32 8, v2
; %bb.446:                              ;   in Loop: Header=BB210_15 Depth=1
	v_ffbh_u32_e32 v1, v28
	v_min_u32_e32 v1, 32, v1
	v_subrev_nc_u32_e32 v2, 28, v1
	v_sub_nc_u32_e32 v1, 29, v1
	v_lshlrev_b64 v[2:3], v2, v[28:29]
	v_and_b32_e32 v28, 7, v2
; %bb.447:                              ;   in Loop: Header=BB210_15 Depth=1
	s_or_b32 exec_lo, exec_lo, s21
	v_lshlrev_b32_e32 v2, 16, v0
	v_lshlrev_b32_e32 v3, 20, v28
	v_lshl_add_u32 v1, v1, 23, 0x3c000000
	v_and_b32_e32 v2, 0x80000000, v2
	v_or3_b32 v2, v3, v2, v1
	v_mov_b32_e32 v1, v29
	buffer_store_dword v1, off, s[0:3], s32 offset:644 ; 4-byte Folded Spill
	buffer_store_dword v2, off, s[0:3], s32 offset:648 ; 4-byte Folded Spill
.LBB210_448:                            ;   in Loop: Header=BB210_15 Depth=1
	s_or_b32 exec_lo, exec_lo, s20
.LBB210_449:                            ;   in Loop: Header=BB210_15 Depth=1
	s_or_b32 exec_lo, exec_lo, s19
.LBB210_450:                            ;   in Loop: Header=BB210_15 Depth=1
	s_or_b32 exec_lo, exec_lo, s18
	v_mov_b32_e32 v2, 0
	v_mov_b32_e32 v3, 0
	;; [unrolled: 1-line block ×3, first 2 shown]
	s_mov_b32 s18, exec_lo
	buffer_store_dword v2, off, s[0:3], s32 offset:652 ; 4-byte Folded Spill
	buffer_store_dword v3, off, s[0:3], s32 offset:656 ; 4-byte Folded Spill
	v_mov_b32_e32 v2, 0
	v_and_b32_sdwa v1, v0, v1 dst_sel:DWORD dst_unused:UNUSED_PAD src0_sel:WORD_1 src1_sel:DWORD
	v_mov_b32_e32 v3, 0
	buffer_store_dword v2, off, s[0:3], s32 offset:660 ; 4-byte Folded Spill
	buffer_store_dword v3, off, s[0:3], s32 offset:664 ; 4-byte Folded Spill
	v_cmpx_ne_u16_e32 0, v1
	s_cbranch_execz .LBB210_458
; %bb.451:                              ;   in Loop: Header=BB210_15 Depth=1
	v_cmp_ne_u16_e64 s5, 0x80, v1
	v_bfrev_b32_e32 v1, 1
	v_mov_b32_e32 v2, 0
	buffer_store_dword v1, off, s[0:3], s32 offset:660 ; 4-byte Folded Spill
	buffer_store_dword v2, off, s[0:3], s32 offset:664 ; 4-byte Folded Spill
	s_and_saveexec_b32 s19, s5
	s_cbranch_execz .LBB210_457
; %bb.452:                              ;   in Loop: Header=BB210_15 Depth=1
	v_mov_b32_e32 v3, 0x7f800001
	v_bfe_u32 v2, v0, 16, 7
	v_mov_b32_e32 v4, 0
	s_mov_b32 s20, exec_lo
	buffer_store_dword v3, off, s[0:3], s32 offset:660 ; 4-byte Folded Spill
	buffer_store_dword v4, off, s[0:3], s32 offset:664 ; 4-byte Folded Spill
	v_cmpx_ne_u32_e32 0x7f, v2
	s_cbranch_execz .LBB210_456
; %bb.453:                              ;   in Loop: Header=BB210_15 Depth=1
	v_mov_b32_e32 v1, 7
	s_mov_b32 s21, exec_lo
	v_and_b32_sdwa v28, v0, v1 dst_sel:DWORD dst_unused:UNUSED_PAD src0_sel:WORD_1 src1_sel:DWORD
	v_lshrrev_b32_e32 v1, 3, v2
	v_cmpx_gt_u32_e32 8, v2
; %bb.454:                              ;   in Loop: Header=BB210_15 Depth=1
	v_ffbh_u32_e32 v1, v28
	v_min_u32_e32 v1, 32, v1
	v_subrev_nc_u32_e32 v2, 28, v1
	v_sub_nc_u32_e32 v1, 29, v1
	v_lshlrev_b64 v[2:3], v2, v[28:29]
	v_and_b32_e32 v28, 7, v2
; %bb.455:                              ;   in Loop: Header=BB210_15 Depth=1
	s_or_b32 exec_lo, exec_lo, s21
	v_mov_b32_e32 v2, 24
	v_lshlrev_b32_e32 v3, 20, v28
	v_lshl_add_u32 v1, v1, 23, 0x3c000000
	v_lshlrev_b32_sdwa v2, v2, v0 dst_sel:DWORD dst_unused:UNUSED_PAD src0_sel:DWORD src1_sel:WORD_1
	v_and_b32_e32 v2, 0x80000000, v2
	v_or3_b32 v28, v3, v2, v1
	buffer_store_dword v28, off, s[0:3], s32 offset:660 ; 4-byte Folded Spill
	buffer_store_dword v29, off, s[0:3], s32 offset:664 ; 4-byte Folded Spill
.LBB210_456:                            ;   in Loop: Header=BB210_15 Depth=1
	s_or_b32 exec_lo, exec_lo, s20
.LBB210_457:                            ;   in Loop: Header=BB210_15 Depth=1
	s_or_b32 exec_lo, exec_lo, s19
.LBB210_458:                            ;   in Loop: Header=BB210_15 Depth=1
	s_or_b32 exec_lo, exec_lo, s18
	s_mov_b32 s18, exec_lo
	v_cmpx_lt_u32_e32 0xffffff, v0
	s_cbranch_execz .LBB210_466
; %bb.459:                              ;   in Loop: Header=BB210_15 Depth=1
	v_mov_b32_e32 v1, 0x80
	v_mov_b32_e32 v18, v29
	buffer_store_dword v18, off, s[0:3], s32 offset:652 ; 4-byte Folded Spill
	buffer_store_dword v19, off, s[0:3], s32 offset:656 ; 4-byte Folded Spill
	v_cmp_ne_u32_sdwa s5, v0, v1 src0_sel:BYTE_3 src1_sel:DWORD
	s_and_saveexec_b32 s19, s5
	s_cbranch_execz .LBB210_465
; %bb.460:                              ;   in Loop: Header=BB210_15 Depth=1
	v_bfe_u32 v2, v0, 24, 7
	v_mov_b32_e32 v42, v29
	s_mov_b32 s20, exec_lo
	buffer_store_dword v42, off, s[0:3], s32 offset:652 ; 4-byte Folded Spill
	buffer_store_dword v43, off, s[0:3], s32 offset:656 ; 4-byte Folded Spill
	v_cmpx_ne_u32_e32 0x7f, v2
	s_cbranch_execz .LBB210_464
; %bb.461:                              ;   in Loop: Header=BB210_15 Depth=1
	v_mov_b32_e32 v1, 7
	s_mov_b32 s21, exec_lo
	v_and_b32_sdwa v28, v0, v1 dst_sel:DWORD dst_unused:UNUSED_PAD src0_sel:BYTE_3 src1_sel:DWORD
	v_lshrrev_b32_e32 v1, 3, v2
	v_cmpx_gt_u32_e32 8, v2
; %bb.462:                              ;   in Loop: Header=BB210_15 Depth=1
	v_ffbh_u32_e32 v1, v28
	v_min_u32_e32 v1, 32, v1
	v_subrev_nc_u32_e32 v2, 28, v1
	v_sub_nc_u32_e32 v1, 29, v1
	v_lshlrev_b64 v[2:3], v2, v[28:29]
	v_and_b32_e32 v28, 7, v2
; %bb.463:                              ;   in Loop: Header=BB210_15 Depth=1
	s_or_b32 exec_lo, exec_lo, s21
	v_mov_b32_e32 v2, 24
	v_lshl_add_u32 v1, v1, 23, 0x3c000000
	v_lshlrev_b32_sdwa v0, v2, v0 dst_sel:DWORD dst_unused:UNUSED_PAD src0_sel:DWORD src1_sel:BYTE_3
	v_lshlrev_b32_e32 v2, 20, v28
	v_and_b32_e32 v0, 0x80000000, v0
	v_or3_b32 v1, v2, v0, v1
	v_mov_b32_e32 v0, v29
	buffer_store_dword v0, off, s[0:3], s32 offset:652 ; 4-byte Folded Spill
	buffer_store_dword v1, off, s[0:3], s32 offset:656 ; 4-byte Folded Spill
.LBB210_464:                            ;   in Loop: Header=BB210_15 Depth=1
	s_or_b32 exec_lo, exec_lo, s20
.LBB210_465:                            ;   in Loop: Header=BB210_15 Depth=1
	s_or_b32 exec_lo, exec_lo, s19
.LBB210_466:                            ;   in Loop: Header=BB210_15 Depth=1
	s_or_b32 exec_lo, exec_lo, s18
	flat_load_dword v0, v[22:23] offset:1544
	v_mov_b32_e32 v1, 0
	v_mov_b32_e32 v2, 0
	buffer_store_dword v1, off, s[0:3], s32 offset:676 ; 4-byte Folded Spill
	buffer_store_dword v2, off, s[0:3], s32 offset:680 ; 4-byte Folded Spill
	v_mov_b32_e32 v1, 0
	v_mov_b32_e32 v2, 0
	buffer_store_dword v1, off, s[0:3], s32 offset:668 ; 4-byte Folded Spill
	buffer_store_dword v2, off, s[0:3], s32 offset:672 ; 4-byte Folded Spill
	s_waitcnt vmcnt(0) lgkmcnt(0)
	v_cmp_ne_u16_sdwa s5, v0, v29 src0_sel:BYTE_0 src1_sel:DWORD
	s_and_saveexec_b32 s18, s5
	s_cbranch_execz .LBB210_474
; %bb.467:                              ;   in Loop: Header=BB210_15 Depth=1
	v_bfrev_b32_e32 v1, 1
	v_mov_b32_e32 v2, 0
	buffer_store_dword v1, off, s[0:3], s32 offset:668 ; 4-byte Folded Spill
	buffer_store_dword v2, off, s[0:3], s32 offset:672 ; 4-byte Folded Spill
	v_mov_b32_e32 v1, 0x80
	v_cmp_ne_u16_sdwa s5, v0, v1 src0_sel:BYTE_0 src1_sel:DWORD
	s_and_saveexec_b32 s19, s5
	s_cbranch_execz .LBB210_473
; %bb.468:                              ;   in Loop: Header=BB210_15 Depth=1
	v_mov_b32_e32 v3, 0x7f800001
	v_and_b32_e32 v2, 0x7f, v0
	v_mov_b32_e32 v4, 0
	s_mov_b32 s20, exec_lo
	buffer_store_dword v3, off, s[0:3], s32 offset:668 ; 4-byte Folded Spill
	buffer_store_dword v4, off, s[0:3], s32 offset:672 ; 4-byte Folded Spill
	v_cmpx_ne_u32_e32 0x7f, v2
	s_cbranch_execz .LBB210_472
; %bb.469:                              ;   in Loop: Header=BB210_15 Depth=1
	v_and_b32_e32 v28, 7, v0
	v_lshrrev_b32_e32 v1, 3, v2
	s_mov_b32 s21, exec_lo
	v_cmpx_gt_u32_e32 8, v2
; %bb.470:                              ;   in Loop: Header=BB210_15 Depth=1
	v_ffbh_u32_e32 v1, v28
	v_min_u32_e32 v1, 32, v1
	v_subrev_nc_u32_e32 v2, 28, v1
	v_sub_nc_u32_e32 v1, 29, v1
	v_lshlrev_b64 v[2:3], v2, v[28:29]
	v_and_b32_e32 v28, 7, v2
; %bb.471:                              ;   in Loop: Header=BB210_15 Depth=1
	s_or_b32 exec_lo, exec_lo, s21
	v_lshlrev_b32_e32 v2, 24, v0
	v_lshlrev_b32_e32 v3, 20, v28
	v_lshl_add_u32 v1, v1, 23, 0x3c000000
	v_and_b32_e32 v2, 0x80000000, v2
	v_or3_b32 v28, v3, v2, v1
	buffer_store_dword v28, off, s[0:3], s32 offset:668 ; 4-byte Folded Spill
	buffer_store_dword v29, off, s[0:3], s32 offset:672 ; 4-byte Folded Spill
.LBB210_472:                            ;   in Loop: Header=BB210_15 Depth=1
	s_or_b32 exec_lo, exec_lo, s20
.LBB210_473:                            ;   in Loop: Header=BB210_15 Depth=1
	s_or_b32 exec_lo, exec_lo, s19
.LBB210_474:                            ;   in Loop: Header=BB210_15 Depth=1
	s_or_b32 exec_lo, exec_lo, s18
	v_cmp_ne_u16_sdwa s5, v0, v29 src0_sel:BYTE_1 src1_sel:DWORD
	s_and_saveexec_b32 s18, s5
	s_cbranch_execz .LBB210_482
; %bb.475:                              ;   in Loop: Header=BB210_15 Depth=1
	v_mov_b32_e32 v1, 0x80
	v_mov_b32_e32 v18, v29
	buffer_store_dword v18, off, s[0:3], s32 offset:676 ; 4-byte Folded Spill
	buffer_store_dword v19, off, s[0:3], s32 offset:680 ; 4-byte Folded Spill
	v_cmp_ne_u16_sdwa s5, v0, v1 src0_sel:BYTE_1 src1_sel:DWORD
	s_and_saveexec_b32 s19, s5
	s_cbranch_execz .LBB210_481
; %bb.476:                              ;   in Loop: Header=BB210_15 Depth=1
	v_mov_b32_e32 v1, 0xffff
	v_mov_b32_e32 v42, v29
	s_mov_b32 s20, exec_lo
	buffer_store_dword v42, off, s[0:3], s32 offset:676 ; 4-byte Folded Spill
	buffer_store_dword v43, off, s[0:3], s32 offset:680 ; 4-byte Folded Spill
	v_and_b32_sdwa v1, v1, v0 dst_sel:DWORD dst_unused:UNUSED_PAD src0_sel:DWORD src1_sel:BYTE_1
	v_and_b32_e32 v2, 0x7f, v1
	v_cmpx_ne_u32_e32 0x7f, v2
	s_cbranch_execz .LBB210_480
; %bb.477:                              ;   in Loop: Header=BB210_15 Depth=1
	v_and_b32_e32 v28, 7, v1
	v_lshrrev_b32_e32 v1, 3, v2
	s_mov_b32 s21, exec_lo
	v_cmpx_gt_u32_e32 8, v2
; %bb.478:                              ;   in Loop: Header=BB210_15 Depth=1
	v_ffbh_u32_e32 v1, v28
	v_min_u32_e32 v1, 32, v1
	v_subrev_nc_u32_e32 v2, 28, v1
	v_sub_nc_u32_e32 v1, 29, v1
	v_lshlrev_b64 v[2:3], v2, v[28:29]
	v_and_b32_e32 v28, 7, v2
; %bb.479:                              ;   in Loop: Header=BB210_15 Depth=1
	s_or_b32 exec_lo, exec_lo, s21
	v_lshlrev_b32_e32 v2, 16, v0
	v_lshlrev_b32_e32 v3, 20, v28
	v_lshl_add_u32 v1, v1, 23, 0x3c000000
	v_and_b32_e32 v2, 0x80000000, v2
	v_or3_b32 v2, v3, v2, v1
	v_mov_b32_e32 v1, v29
	buffer_store_dword v1, off, s[0:3], s32 offset:676 ; 4-byte Folded Spill
	buffer_store_dword v2, off, s[0:3], s32 offset:680 ; 4-byte Folded Spill
.LBB210_480:                            ;   in Loop: Header=BB210_15 Depth=1
	s_or_b32 exec_lo, exec_lo, s20
.LBB210_481:                            ;   in Loop: Header=BB210_15 Depth=1
	s_or_b32 exec_lo, exec_lo, s19
.LBB210_482:                            ;   in Loop: Header=BB210_15 Depth=1
	s_or_b32 exec_lo, exec_lo, s18
	v_mov_b32_e32 v2, 0
	v_mov_b32_e32 v3, 0
	;; [unrolled: 1-line block ×3, first 2 shown]
	s_mov_b32 s18, exec_lo
	buffer_store_dword v2, off, s[0:3], s32 offset:684 ; 4-byte Folded Spill
	buffer_store_dword v3, off, s[0:3], s32 offset:688 ; 4-byte Folded Spill
	v_mov_b32_e32 v2, 0
	v_and_b32_sdwa v1, v0, v1 dst_sel:DWORD dst_unused:UNUSED_PAD src0_sel:WORD_1 src1_sel:DWORD
	v_mov_b32_e32 v3, 0
	buffer_store_dword v2, off, s[0:3], s32 offset:692 ; 4-byte Folded Spill
	buffer_store_dword v3, off, s[0:3], s32 offset:696 ; 4-byte Folded Spill
	v_cmpx_ne_u16_e32 0, v1
	s_cbranch_execz .LBB210_490
; %bb.483:                              ;   in Loop: Header=BB210_15 Depth=1
	v_cmp_ne_u16_e64 s5, 0x80, v1
	v_bfrev_b32_e32 v1, 1
	v_mov_b32_e32 v2, 0
	buffer_store_dword v1, off, s[0:3], s32 offset:692 ; 4-byte Folded Spill
	buffer_store_dword v2, off, s[0:3], s32 offset:696 ; 4-byte Folded Spill
	s_and_saveexec_b32 s19, s5
	s_cbranch_execz .LBB210_489
; %bb.484:                              ;   in Loop: Header=BB210_15 Depth=1
	v_mov_b32_e32 v3, 0x7f800001
	v_bfe_u32 v2, v0, 16, 7
	v_mov_b32_e32 v4, 0
	s_mov_b32 s20, exec_lo
	buffer_store_dword v3, off, s[0:3], s32 offset:692 ; 4-byte Folded Spill
	buffer_store_dword v4, off, s[0:3], s32 offset:696 ; 4-byte Folded Spill
	v_cmpx_ne_u32_e32 0x7f, v2
	s_cbranch_execz .LBB210_488
; %bb.485:                              ;   in Loop: Header=BB210_15 Depth=1
	v_mov_b32_e32 v1, 7
	s_mov_b32 s21, exec_lo
	v_and_b32_sdwa v28, v0, v1 dst_sel:DWORD dst_unused:UNUSED_PAD src0_sel:WORD_1 src1_sel:DWORD
	v_lshrrev_b32_e32 v1, 3, v2
	v_cmpx_gt_u32_e32 8, v2
; %bb.486:                              ;   in Loop: Header=BB210_15 Depth=1
	v_ffbh_u32_e32 v1, v28
	v_min_u32_e32 v1, 32, v1
	v_subrev_nc_u32_e32 v2, 28, v1
	v_sub_nc_u32_e32 v1, 29, v1
	v_lshlrev_b64 v[2:3], v2, v[28:29]
	v_and_b32_e32 v28, 7, v2
; %bb.487:                              ;   in Loop: Header=BB210_15 Depth=1
	s_or_b32 exec_lo, exec_lo, s21
	v_mov_b32_e32 v2, 24
	v_lshlrev_b32_e32 v3, 20, v28
	v_lshl_add_u32 v1, v1, 23, 0x3c000000
	v_lshlrev_b32_sdwa v2, v2, v0 dst_sel:DWORD dst_unused:UNUSED_PAD src0_sel:DWORD src1_sel:WORD_1
	v_and_b32_e32 v2, 0x80000000, v2
	v_or3_b32 v28, v3, v2, v1
	buffer_store_dword v28, off, s[0:3], s32 offset:692 ; 4-byte Folded Spill
	buffer_store_dword v29, off, s[0:3], s32 offset:696 ; 4-byte Folded Spill
.LBB210_488:                            ;   in Loop: Header=BB210_15 Depth=1
	s_or_b32 exec_lo, exec_lo, s20
.LBB210_489:                            ;   in Loop: Header=BB210_15 Depth=1
	s_or_b32 exec_lo, exec_lo, s19
.LBB210_490:                            ;   in Loop: Header=BB210_15 Depth=1
	s_or_b32 exec_lo, exec_lo, s18
	s_mov_b32 s18, exec_lo
	v_cmpx_lt_u32_e32 0xffffff, v0
	s_cbranch_execz .LBB210_498
; %bb.491:                              ;   in Loop: Header=BB210_15 Depth=1
	v_mov_b32_e32 v1, 0x80
	v_mov_b32_e32 v18, v29
	buffer_store_dword v18, off, s[0:3], s32 offset:684 ; 4-byte Folded Spill
	buffer_store_dword v19, off, s[0:3], s32 offset:688 ; 4-byte Folded Spill
	v_cmp_ne_u32_sdwa s5, v0, v1 src0_sel:BYTE_3 src1_sel:DWORD
	s_and_saveexec_b32 s19, s5
	s_cbranch_execz .LBB210_497
; %bb.492:                              ;   in Loop: Header=BB210_15 Depth=1
	v_bfe_u32 v2, v0, 24, 7
	v_mov_b32_e32 v42, v29
	s_mov_b32 s20, exec_lo
	buffer_store_dword v42, off, s[0:3], s32 offset:684 ; 4-byte Folded Spill
	buffer_store_dword v43, off, s[0:3], s32 offset:688 ; 4-byte Folded Spill
	v_cmpx_ne_u32_e32 0x7f, v2
	s_cbranch_execz .LBB210_496
; %bb.493:                              ;   in Loop: Header=BB210_15 Depth=1
	v_mov_b32_e32 v1, 7
	s_mov_b32 s21, exec_lo
	v_and_b32_sdwa v28, v0, v1 dst_sel:DWORD dst_unused:UNUSED_PAD src0_sel:BYTE_3 src1_sel:DWORD
	v_lshrrev_b32_e32 v1, 3, v2
	v_cmpx_gt_u32_e32 8, v2
; %bb.494:                              ;   in Loop: Header=BB210_15 Depth=1
	v_ffbh_u32_e32 v1, v28
	v_min_u32_e32 v1, 32, v1
	v_subrev_nc_u32_e32 v2, 28, v1
	v_sub_nc_u32_e32 v1, 29, v1
	v_lshlrev_b64 v[2:3], v2, v[28:29]
	v_and_b32_e32 v28, 7, v2
; %bb.495:                              ;   in Loop: Header=BB210_15 Depth=1
	s_or_b32 exec_lo, exec_lo, s21
	v_mov_b32_e32 v2, 24
	v_lshl_add_u32 v1, v1, 23, 0x3c000000
	v_lshlrev_b32_sdwa v0, v2, v0 dst_sel:DWORD dst_unused:UNUSED_PAD src0_sel:DWORD src1_sel:BYTE_3
	v_lshlrev_b32_e32 v2, 20, v28
	v_and_b32_e32 v0, 0x80000000, v0
	v_or3_b32 v1, v2, v0, v1
	v_mov_b32_e32 v0, v29
	buffer_store_dword v0, off, s[0:3], s32 offset:684 ; 4-byte Folded Spill
	buffer_store_dword v1, off, s[0:3], s32 offset:688 ; 4-byte Folded Spill
.LBB210_496:                            ;   in Loop: Header=BB210_15 Depth=1
	s_or_b32 exec_lo, exec_lo, s20
.LBB210_497:                            ;   in Loop: Header=BB210_15 Depth=1
	s_or_b32 exec_lo, exec_lo, s19
.LBB210_498:                            ;   in Loop: Header=BB210_15 Depth=1
	s_or_b32 exec_lo, exec_lo, s18
	flat_load_dword v0, v[22:23] offset:1548
	v_mov_b32_e32 v1, 0
	v_mov_b32_e32 v2, 0
	buffer_store_dword v1, off, s[0:3], s32 offset:708 ; 4-byte Folded Spill
	buffer_store_dword v2, off, s[0:3], s32 offset:712 ; 4-byte Folded Spill
	v_mov_b32_e32 v1, 0
	v_mov_b32_e32 v2, 0
	buffer_store_dword v1, off, s[0:3], s32 offset:700 ; 4-byte Folded Spill
	buffer_store_dword v2, off, s[0:3], s32 offset:704 ; 4-byte Folded Spill
	s_waitcnt vmcnt(0) lgkmcnt(0)
	v_cmp_ne_u16_sdwa s5, v0, v29 src0_sel:BYTE_0 src1_sel:DWORD
	s_and_saveexec_b32 s18, s5
	s_cbranch_execz .LBB210_506
; %bb.499:                              ;   in Loop: Header=BB210_15 Depth=1
	v_bfrev_b32_e32 v1, 1
	v_mov_b32_e32 v2, 0
	buffer_store_dword v1, off, s[0:3], s32 offset:700 ; 4-byte Folded Spill
	buffer_store_dword v2, off, s[0:3], s32 offset:704 ; 4-byte Folded Spill
	v_mov_b32_e32 v1, 0x80
	v_cmp_ne_u16_sdwa s5, v0, v1 src0_sel:BYTE_0 src1_sel:DWORD
	s_and_saveexec_b32 s19, s5
	s_cbranch_execz .LBB210_505
; %bb.500:                              ;   in Loop: Header=BB210_15 Depth=1
	v_mov_b32_e32 v3, 0x7f800001
	v_and_b32_e32 v2, 0x7f, v0
	v_mov_b32_e32 v4, 0
	s_mov_b32 s20, exec_lo
	buffer_store_dword v3, off, s[0:3], s32 offset:700 ; 4-byte Folded Spill
	buffer_store_dword v4, off, s[0:3], s32 offset:704 ; 4-byte Folded Spill
	v_cmpx_ne_u32_e32 0x7f, v2
	s_cbranch_execz .LBB210_504
; %bb.501:                              ;   in Loop: Header=BB210_15 Depth=1
	v_and_b32_e32 v28, 7, v0
	v_lshrrev_b32_e32 v1, 3, v2
	s_mov_b32 s21, exec_lo
	v_cmpx_gt_u32_e32 8, v2
; %bb.502:                              ;   in Loop: Header=BB210_15 Depth=1
	v_ffbh_u32_e32 v1, v28
	v_min_u32_e32 v1, 32, v1
	v_subrev_nc_u32_e32 v2, 28, v1
	v_sub_nc_u32_e32 v1, 29, v1
	v_lshlrev_b64 v[2:3], v2, v[28:29]
	v_and_b32_e32 v28, 7, v2
; %bb.503:                              ;   in Loop: Header=BB210_15 Depth=1
	s_or_b32 exec_lo, exec_lo, s21
	v_lshlrev_b32_e32 v2, 24, v0
	v_lshlrev_b32_e32 v3, 20, v28
	v_lshl_add_u32 v1, v1, 23, 0x3c000000
	v_and_b32_e32 v2, 0x80000000, v2
	v_or3_b32 v28, v3, v2, v1
	buffer_store_dword v28, off, s[0:3], s32 offset:700 ; 4-byte Folded Spill
	buffer_store_dword v29, off, s[0:3], s32 offset:704 ; 4-byte Folded Spill
.LBB210_504:                            ;   in Loop: Header=BB210_15 Depth=1
	s_or_b32 exec_lo, exec_lo, s20
.LBB210_505:                            ;   in Loop: Header=BB210_15 Depth=1
	s_or_b32 exec_lo, exec_lo, s19
.LBB210_506:                            ;   in Loop: Header=BB210_15 Depth=1
	s_or_b32 exec_lo, exec_lo, s18
	v_cmp_ne_u16_sdwa s5, v0, v29 src0_sel:BYTE_1 src1_sel:DWORD
	s_and_saveexec_b32 s18, s5
	s_cbranch_execz .LBB210_514
; %bb.507:                              ;   in Loop: Header=BB210_15 Depth=1
	v_mov_b32_e32 v1, 0x80
	v_mov_b32_e32 v18, v29
	buffer_store_dword v18, off, s[0:3], s32 offset:708 ; 4-byte Folded Spill
	buffer_store_dword v19, off, s[0:3], s32 offset:712 ; 4-byte Folded Spill
	v_cmp_ne_u16_sdwa s5, v0, v1 src0_sel:BYTE_1 src1_sel:DWORD
	s_and_saveexec_b32 s19, s5
	s_cbranch_execz .LBB210_513
; %bb.508:                              ;   in Loop: Header=BB210_15 Depth=1
	v_mov_b32_e32 v1, 0xffff
	v_mov_b32_e32 v42, v29
	s_mov_b32 s20, exec_lo
	buffer_store_dword v42, off, s[0:3], s32 offset:708 ; 4-byte Folded Spill
	buffer_store_dword v43, off, s[0:3], s32 offset:712 ; 4-byte Folded Spill
	v_and_b32_sdwa v1, v1, v0 dst_sel:DWORD dst_unused:UNUSED_PAD src0_sel:DWORD src1_sel:BYTE_1
	v_and_b32_e32 v2, 0x7f, v1
	v_cmpx_ne_u32_e32 0x7f, v2
	s_cbranch_execz .LBB210_512
; %bb.509:                              ;   in Loop: Header=BB210_15 Depth=1
	v_and_b32_e32 v28, 7, v1
	v_lshrrev_b32_e32 v1, 3, v2
	s_mov_b32 s21, exec_lo
	v_cmpx_gt_u32_e32 8, v2
; %bb.510:                              ;   in Loop: Header=BB210_15 Depth=1
	v_ffbh_u32_e32 v1, v28
	v_min_u32_e32 v1, 32, v1
	v_subrev_nc_u32_e32 v2, 28, v1
	v_sub_nc_u32_e32 v1, 29, v1
	v_lshlrev_b64 v[2:3], v2, v[28:29]
	v_and_b32_e32 v28, 7, v2
; %bb.511:                              ;   in Loop: Header=BB210_15 Depth=1
	s_or_b32 exec_lo, exec_lo, s21
	v_lshlrev_b32_e32 v2, 16, v0
	v_lshlrev_b32_e32 v3, 20, v28
	v_lshl_add_u32 v1, v1, 23, 0x3c000000
	v_and_b32_e32 v2, 0x80000000, v2
	v_or3_b32 v2, v3, v2, v1
	v_mov_b32_e32 v1, v29
	buffer_store_dword v1, off, s[0:3], s32 offset:708 ; 4-byte Folded Spill
	buffer_store_dword v2, off, s[0:3], s32 offset:712 ; 4-byte Folded Spill
.LBB210_512:                            ;   in Loop: Header=BB210_15 Depth=1
	s_or_b32 exec_lo, exec_lo, s20
.LBB210_513:                            ;   in Loop: Header=BB210_15 Depth=1
	s_or_b32 exec_lo, exec_lo, s19
.LBB210_514:                            ;   in Loop: Header=BB210_15 Depth=1
	s_or_b32 exec_lo, exec_lo, s18
	v_mov_b32_e32 v2, 0
	v_mov_b32_e32 v3, 0
	;; [unrolled: 1-line block ×3, first 2 shown]
	s_mov_b32 s18, exec_lo
	buffer_store_dword v2, off, s[0:3], s32 offset:716 ; 4-byte Folded Spill
	buffer_store_dword v3, off, s[0:3], s32 offset:720 ; 4-byte Folded Spill
	v_mov_b32_e32 v2, 0
	v_and_b32_sdwa v1, v0, v1 dst_sel:DWORD dst_unused:UNUSED_PAD src0_sel:WORD_1 src1_sel:DWORD
	v_mov_b32_e32 v3, 0
	buffer_store_dword v2, off, s[0:3], s32 offset:724 ; 4-byte Folded Spill
	buffer_store_dword v3, off, s[0:3], s32 offset:728 ; 4-byte Folded Spill
	v_cmpx_ne_u16_e32 0, v1
	s_cbranch_execz .LBB210_522
; %bb.515:                              ;   in Loop: Header=BB210_15 Depth=1
	v_cmp_ne_u16_e64 s5, 0x80, v1
	v_bfrev_b32_e32 v1, 1
	v_mov_b32_e32 v2, 0
	buffer_store_dword v1, off, s[0:3], s32 offset:724 ; 4-byte Folded Spill
	buffer_store_dword v2, off, s[0:3], s32 offset:728 ; 4-byte Folded Spill
	s_and_saveexec_b32 s19, s5
	s_cbranch_execz .LBB210_521
; %bb.516:                              ;   in Loop: Header=BB210_15 Depth=1
	v_mov_b32_e32 v3, 0x7f800001
	v_bfe_u32 v2, v0, 16, 7
	v_mov_b32_e32 v4, 0
	s_mov_b32 s20, exec_lo
	buffer_store_dword v3, off, s[0:3], s32 offset:724 ; 4-byte Folded Spill
	buffer_store_dword v4, off, s[0:3], s32 offset:728 ; 4-byte Folded Spill
	v_cmpx_ne_u32_e32 0x7f, v2
	s_cbranch_execz .LBB210_520
; %bb.517:                              ;   in Loop: Header=BB210_15 Depth=1
	v_mov_b32_e32 v1, 7
	s_mov_b32 s21, exec_lo
	v_and_b32_sdwa v28, v0, v1 dst_sel:DWORD dst_unused:UNUSED_PAD src0_sel:WORD_1 src1_sel:DWORD
	v_lshrrev_b32_e32 v1, 3, v2
	v_cmpx_gt_u32_e32 8, v2
; %bb.518:                              ;   in Loop: Header=BB210_15 Depth=1
	v_ffbh_u32_e32 v1, v28
	v_min_u32_e32 v1, 32, v1
	v_subrev_nc_u32_e32 v2, 28, v1
	v_sub_nc_u32_e32 v1, 29, v1
	v_lshlrev_b64 v[2:3], v2, v[28:29]
	v_and_b32_e32 v28, 7, v2
; %bb.519:                              ;   in Loop: Header=BB210_15 Depth=1
	s_or_b32 exec_lo, exec_lo, s21
	v_mov_b32_e32 v2, 24
	v_lshlrev_b32_e32 v3, 20, v28
	v_lshl_add_u32 v1, v1, 23, 0x3c000000
	v_lshlrev_b32_sdwa v2, v2, v0 dst_sel:DWORD dst_unused:UNUSED_PAD src0_sel:DWORD src1_sel:WORD_1
	v_and_b32_e32 v2, 0x80000000, v2
	v_or3_b32 v28, v3, v2, v1
	buffer_store_dword v28, off, s[0:3], s32 offset:724 ; 4-byte Folded Spill
	buffer_store_dword v29, off, s[0:3], s32 offset:728 ; 4-byte Folded Spill
.LBB210_520:                            ;   in Loop: Header=BB210_15 Depth=1
	s_or_b32 exec_lo, exec_lo, s20
.LBB210_521:                            ;   in Loop: Header=BB210_15 Depth=1
	s_or_b32 exec_lo, exec_lo, s19
.LBB210_522:                            ;   in Loop: Header=BB210_15 Depth=1
	s_or_b32 exec_lo, exec_lo, s18
	s_mov_b32 s18, exec_lo
	v_cmpx_lt_u32_e32 0xffffff, v0
	s_cbranch_execz .LBB210_530
; %bb.523:                              ;   in Loop: Header=BB210_15 Depth=1
	v_mov_b32_e32 v1, 0x80
	v_mov_b32_e32 v18, v29
	buffer_store_dword v18, off, s[0:3], s32 offset:716 ; 4-byte Folded Spill
	buffer_store_dword v19, off, s[0:3], s32 offset:720 ; 4-byte Folded Spill
	v_cmp_ne_u32_sdwa s5, v0, v1 src0_sel:BYTE_3 src1_sel:DWORD
	s_and_saveexec_b32 s19, s5
	s_cbranch_execz .LBB210_529
; %bb.524:                              ;   in Loop: Header=BB210_15 Depth=1
	v_bfe_u32 v2, v0, 24, 7
	v_mov_b32_e32 v42, v29
	s_mov_b32 s20, exec_lo
	buffer_store_dword v42, off, s[0:3], s32 offset:716 ; 4-byte Folded Spill
	buffer_store_dword v43, off, s[0:3], s32 offset:720 ; 4-byte Folded Spill
	v_cmpx_ne_u32_e32 0x7f, v2
	s_cbranch_execz .LBB210_528
; %bb.525:                              ;   in Loop: Header=BB210_15 Depth=1
	v_mov_b32_e32 v1, 7
	s_mov_b32 s21, exec_lo
	v_and_b32_sdwa v28, v0, v1 dst_sel:DWORD dst_unused:UNUSED_PAD src0_sel:BYTE_3 src1_sel:DWORD
	v_lshrrev_b32_e32 v1, 3, v2
	v_cmpx_gt_u32_e32 8, v2
; %bb.526:                              ;   in Loop: Header=BB210_15 Depth=1
	v_ffbh_u32_e32 v1, v28
	v_min_u32_e32 v1, 32, v1
	v_subrev_nc_u32_e32 v2, 28, v1
	v_sub_nc_u32_e32 v1, 29, v1
	v_lshlrev_b64 v[2:3], v2, v[28:29]
	v_and_b32_e32 v28, 7, v2
; %bb.527:                              ;   in Loop: Header=BB210_15 Depth=1
	s_or_b32 exec_lo, exec_lo, s21
	v_mov_b32_e32 v2, 24
	v_lshl_add_u32 v1, v1, 23, 0x3c000000
	v_lshlrev_b32_sdwa v0, v2, v0 dst_sel:DWORD dst_unused:UNUSED_PAD src0_sel:DWORD src1_sel:BYTE_3
	v_lshlrev_b32_e32 v2, 20, v28
	v_and_b32_e32 v0, 0x80000000, v0
	v_or3_b32 v1, v2, v0, v1
	v_mov_b32_e32 v0, v29
	buffer_store_dword v0, off, s[0:3], s32 offset:716 ; 4-byte Folded Spill
	buffer_store_dword v1, off, s[0:3], s32 offset:720 ; 4-byte Folded Spill
.LBB210_528:                            ;   in Loop: Header=BB210_15 Depth=1
	s_or_b32 exec_lo, exec_lo, s20
.LBB210_529:                            ;   in Loop: Header=BB210_15 Depth=1
	s_or_b32 exec_lo, exec_lo, s19
.LBB210_530:                            ;   in Loop: Header=BB210_15 Depth=1
	s_or_b32 exec_lo, exec_lo, s18
	v_add_co_u32 v34, s5, 0x800, v22
	v_add_co_ci_u32_e64 v35, null, 0, v23, s5
	v_mov_b32_e32 v48, 0
	v_mov_b32_e32 v1, 0
	v_mov_b32_e32 v49, 0
	flat_load_dword v0, v[34:35]
	v_mov_b32_e32 v2, 0
	buffer_store_dword v1, off, s[0:3], s32 offset:732 ; 4-byte Folded Spill
	buffer_store_dword v2, off, s[0:3], s32 offset:736 ; 4-byte Folded Spill
	s_waitcnt vmcnt(0) lgkmcnt(0)
	v_cmp_ne_u16_sdwa s5, v0, v29 src0_sel:BYTE_0 src1_sel:DWORD
	s_and_saveexec_b32 s18, s5
	s_cbranch_execz .LBB210_538
; %bb.531:                              ;   in Loop: Header=BB210_15 Depth=1
	v_bfrev_b32_e32 v1, 1
	v_mov_b32_e32 v2, 0
	buffer_store_dword v1, off, s[0:3], s32 offset:732 ; 4-byte Folded Spill
	buffer_store_dword v2, off, s[0:3], s32 offset:736 ; 4-byte Folded Spill
	v_mov_b32_e32 v1, 0x80
	v_cmp_ne_u16_sdwa s5, v0, v1 src0_sel:BYTE_0 src1_sel:DWORD
	s_and_saveexec_b32 s19, s5
	s_cbranch_execz .LBB210_537
; %bb.532:                              ;   in Loop: Header=BB210_15 Depth=1
	v_mov_b32_e32 v3, 0x7f800001
	v_and_b32_e32 v2, 0x7f, v0
	v_mov_b32_e32 v4, 0
	s_mov_b32 s20, exec_lo
	buffer_store_dword v3, off, s[0:3], s32 offset:732 ; 4-byte Folded Spill
	buffer_store_dword v4, off, s[0:3], s32 offset:736 ; 4-byte Folded Spill
	v_cmpx_ne_u32_e32 0x7f, v2
	s_cbranch_execz .LBB210_536
; %bb.533:                              ;   in Loop: Header=BB210_15 Depth=1
	v_and_b32_e32 v28, 7, v0
	v_lshrrev_b32_e32 v1, 3, v2
	s_mov_b32 s21, exec_lo
	v_cmpx_gt_u32_e32 8, v2
; %bb.534:                              ;   in Loop: Header=BB210_15 Depth=1
	v_ffbh_u32_e32 v1, v28
	v_min_u32_e32 v1, 32, v1
	v_subrev_nc_u32_e32 v2, 28, v1
	v_sub_nc_u32_e32 v1, 29, v1
	v_lshlrev_b64 v[2:3], v2, v[28:29]
	v_and_b32_e32 v28, 7, v2
; %bb.535:                              ;   in Loop: Header=BB210_15 Depth=1
	s_or_b32 exec_lo, exec_lo, s21
	v_lshlrev_b32_e32 v2, 24, v0
	v_lshlrev_b32_e32 v3, 20, v28
	v_lshl_add_u32 v1, v1, 23, 0x3c000000
	v_and_b32_e32 v2, 0x80000000, v2
	v_or3_b32 v28, v3, v2, v1
	buffer_store_dword v28, off, s[0:3], s32 offset:732 ; 4-byte Folded Spill
	buffer_store_dword v29, off, s[0:3], s32 offset:736 ; 4-byte Folded Spill
.LBB210_536:                            ;   in Loop: Header=BB210_15 Depth=1
	s_or_b32 exec_lo, exec_lo, s20
.LBB210_537:                            ;   in Loop: Header=BB210_15 Depth=1
	s_or_b32 exec_lo, exec_lo, s19
.LBB210_538:                            ;   in Loop: Header=BB210_15 Depth=1
	s_or_b32 exec_lo, exec_lo, s18
	v_cmp_ne_u16_sdwa s5, v0, v29 src0_sel:BYTE_1 src1_sel:DWORD
	s_and_saveexec_b32 s18, s5
	s_cbranch_execz .LBB210_546
; %bb.539:                              ;   in Loop: Header=BB210_15 Depth=1
	v_mov_b32_e32 v18, v29
	v_mov_b32_e32 v1, 0x80
	;; [unrolled: 1-line block ×4, first 2 shown]
	v_cmp_ne_u16_sdwa s5, v0, v1 src0_sel:BYTE_1 src1_sel:DWORD
	s_and_saveexec_b32 s19, s5
	s_cbranch_execz .LBB210_545
; %bb.540:                              ;   in Loop: Header=BB210_15 Depth=1
	v_mov_b32_e32 v1, 0xffff
	v_mov_b32_e32 v42, v29
	;; [unrolled: 1-line block ×3, first 2 shown]
	s_mov_b32 s20, exec_lo
	v_and_b32_sdwa v1, v1, v0 dst_sel:DWORD dst_unused:UNUSED_PAD src0_sel:DWORD src1_sel:BYTE_1
	v_mov_b32_e32 v48, v42
	v_and_b32_e32 v2, 0x7f, v1
	v_cmpx_ne_u32_e32 0x7f, v2
	s_cbranch_execz .LBB210_544
; %bb.541:                              ;   in Loop: Header=BB210_15 Depth=1
	v_and_b32_e32 v28, 7, v1
	v_lshrrev_b32_e32 v1, 3, v2
	s_mov_b32 s21, exec_lo
	v_cmpx_gt_u32_e32 8, v2
; %bb.542:                              ;   in Loop: Header=BB210_15 Depth=1
	v_ffbh_u32_e32 v1, v28
	v_min_u32_e32 v1, 32, v1
	v_subrev_nc_u32_e32 v2, 28, v1
	v_sub_nc_u32_e32 v1, 29, v1
	v_lshlrev_b64 v[2:3], v2, v[28:29]
	v_and_b32_e32 v28, 7, v2
; %bb.543:                              ;   in Loop: Header=BB210_15 Depth=1
	s_or_b32 exec_lo, exec_lo, s21
	v_lshlrev_b32_e32 v2, 16, v0
	v_lshlrev_b32_e32 v3, 20, v28
	v_lshl_add_u32 v1, v1, 23, 0x3c000000
	v_mov_b32_e32 v48, v29
	v_and_b32_e32 v2, 0x80000000, v2
	v_or3_b32 v49, v3, v2, v1
.LBB210_544:                            ;   in Loop: Header=BB210_15 Depth=1
	s_or_b32 exec_lo, exec_lo, s20
.LBB210_545:                            ;   in Loop: Header=BB210_15 Depth=1
	s_or_b32 exec_lo, exec_lo, s19
.LBB210_546:                            ;   in Loop: Header=BB210_15 Depth=1
	s_or_b32 exec_lo, exec_lo, s18
	v_mov_b32_e32 v1, 0xff
	v_mov_b32_e32 v30, 0
	;; [unrolled: 1-line block ×5, first 2 shown]
	v_and_b32_sdwa v1, v0, v1 dst_sel:DWORD dst_unused:UNUSED_PAD src0_sel:WORD_1 src1_sel:DWORD
	s_mov_b32 s18, exec_lo
	v_cmpx_ne_u16_e32 0, v1
	s_cbranch_execz .LBB210_554
; %bb.547:                              ;   in Loop: Header=BB210_15 Depth=1
	v_bfrev_b32_e32 v54, 1
	v_mov_b32_e32 v55, 0
	s_mov_b32 s19, exec_lo
	v_cmpx_ne_u16_e32 0x80, v1
	s_cbranch_execz .LBB210_553
; %bb.548:                              ;   in Loop: Header=BB210_15 Depth=1
	v_mov_b32_e32 v54, 0x7f800001
	v_bfe_u32 v2, v0, 16, 7
	v_mov_b32_e32 v55, 0
	s_mov_b32 s20, exec_lo
	v_cmpx_ne_u32_e32 0x7f, v2
	s_cbranch_execz .LBB210_552
; %bb.549:                              ;   in Loop: Header=BB210_15 Depth=1
	v_mov_b32_e32 v1, 7
	s_mov_b32 s21, exec_lo
	v_and_b32_sdwa v28, v0, v1 dst_sel:DWORD dst_unused:UNUSED_PAD src0_sel:WORD_1 src1_sel:DWORD
	v_lshrrev_b32_e32 v1, 3, v2
	v_cmpx_gt_u32_e32 8, v2
; %bb.550:                              ;   in Loop: Header=BB210_15 Depth=1
	v_ffbh_u32_e32 v1, v28
	v_min_u32_e32 v1, 32, v1
	v_subrev_nc_u32_e32 v2, 28, v1
	v_sub_nc_u32_e32 v1, 29, v1
	v_lshlrev_b64 v[2:3], v2, v[28:29]
	v_and_b32_e32 v28, 7, v2
; %bb.551:                              ;   in Loop: Header=BB210_15 Depth=1
	s_or_b32 exec_lo, exec_lo, s21
	v_mov_b32_e32 v2, 24
	v_lshlrev_b32_e32 v3, 20, v28
	v_lshl_add_u32 v1, v1, 23, 0x3c000000
	v_lshlrev_b32_sdwa v2, v2, v0 dst_sel:DWORD dst_unused:UNUSED_PAD src0_sel:DWORD src1_sel:WORD_1
	v_and_b32_e32 v2, 0x80000000, v2
	v_or3_b32 v28, v3, v2, v1
	v_mov_b32_e32 v55, v29
	v_mov_b32_e32 v54, v28
.LBB210_552:                            ;   in Loop: Header=BB210_15 Depth=1
	s_or_b32 exec_lo, exec_lo, s20
.LBB210_553:                            ;   in Loop: Header=BB210_15 Depth=1
	s_or_b32 exec_lo, exec_lo, s19
.LBB210_554:                            ;   in Loop: Header=BB210_15 Depth=1
	s_or_b32 exec_lo, exec_lo, s18
	s_mov_b32 s18, exec_lo
	v_cmpx_lt_u32_e32 0xffffff, v0
	s_cbranch_execz .LBB210_562
; %bb.555:                              ;   in Loop: Header=BB210_15 Depth=1
	v_mov_b32_e32 v18, v29
	v_mov_b32_e32 v1, 0x80
	v_mov_b32_e32 v31, v19
	v_mov_b32_e32 v30, v18
	v_cmp_ne_u32_sdwa s5, v0, v1 src0_sel:BYTE_3 src1_sel:DWORD
	s_and_saveexec_b32 s19, s5
	s_cbranch_execz .LBB210_561
; %bb.556:                              ;   in Loop: Header=BB210_15 Depth=1
	v_mov_b32_e32 v42, v29
	v_bfe_u32 v2, v0, 24, 7
	s_mov_b32 s20, exec_lo
	v_mov_b32_e32 v30, v42
	v_mov_b32_e32 v31, v43
	v_cmpx_ne_u32_e32 0x7f, v2
	s_cbranch_execz .LBB210_560
; %bb.557:                              ;   in Loop: Header=BB210_15 Depth=1
	v_mov_b32_e32 v1, 7
	s_mov_b32 s21, exec_lo
	v_and_b32_sdwa v28, v0, v1 dst_sel:DWORD dst_unused:UNUSED_PAD src0_sel:BYTE_3 src1_sel:DWORD
	v_lshrrev_b32_e32 v1, 3, v2
	v_cmpx_gt_u32_e32 8, v2
; %bb.558:                              ;   in Loop: Header=BB210_15 Depth=1
	v_ffbh_u32_e32 v1, v28
	v_min_u32_e32 v1, 32, v1
	v_subrev_nc_u32_e32 v2, 28, v1
	v_sub_nc_u32_e32 v1, 29, v1
	v_lshlrev_b64 v[2:3], v2, v[28:29]
	v_and_b32_e32 v28, 7, v2
; %bb.559:                              ;   in Loop: Header=BB210_15 Depth=1
	s_or_b32 exec_lo, exec_lo, s21
	v_mov_b32_e32 v2, 24
	v_lshl_add_u32 v1, v1, 23, 0x3c000000
	v_mov_b32_e32 v30, v29
	v_lshlrev_b32_sdwa v0, v2, v0 dst_sel:DWORD dst_unused:UNUSED_PAD src0_sel:DWORD src1_sel:BYTE_3
	v_lshlrev_b32_e32 v2, 20, v28
	v_and_b32_e32 v0, 0x80000000, v0
	v_or3_b32 v31, v2, v0, v1
.LBB210_560:                            ;   in Loop: Header=BB210_15 Depth=1
	s_or_b32 exec_lo, exec_lo, s20
.LBB210_561:                            ;   in Loop: Header=BB210_15 Depth=1
	s_or_b32 exec_lo, exec_lo, s19
.LBB210_562:                            ;   in Loop: Header=BB210_15 Depth=1
	s_or_b32 exec_lo, exec_lo, s18
	flat_load_dword v0, v[34:35] offset:4
	v_mov_b32_e32 v64, 0
	v_mov_b32_e32 v32, 0
	;; [unrolled: 1-line block ×4, first 2 shown]
	s_waitcnt vmcnt(0) lgkmcnt(0)
	v_cmp_ne_u16_sdwa s5, v0, v29 src0_sel:BYTE_0 src1_sel:DWORD
	s_and_saveexec_b32 s18, s5
	s_cbranch_execz .LBB210_570
; %bb.563:                              ;   in Loop: Header=BB210_15 Depth=1
	v_mov_b32_e32 v1, 0x80
	v_bfrev_b32_e32 v32, 1
	v_mov_b32_e32 v33, 0
	v_cmp_ne_u16_sdwa s5, v0, v1 src0_sel:BYTE_0 src1_sel:DWORD
	s_and_saveexec_b32 s19, s5
	s_cbranch_execz .LBB210_569
; %bb.564:                              ;   in Loop: Header=BB210_15 Depth=1
	v_mov_b32_e32 v32, 0x7f800001
	v_and_b32_e32 v2, 0x7f, v0
	v_mov_b32_e32 v33, 0
	s_mov_b32 s20, exec_lo
	v_cmpx_ne_u32_e32 0x7f, v2
	s_cbranch_execz .LBB210_568
; %bb.565:                              ;   in Loop: Header=BB210_15 Depth=1
	v_and_b32_e32 v28, 7, v0
	v_lshrrev_b32_e32 v1, 3, v2
	s_mov_b32 s21, exec_lo
	v_cmpx_gt_u32_e32 8, v2
; %bb.566:                              ;   in Loop: Header=BB210_15 Depth=1
	v_ffbh_u32_e32 v1, v28
	v_min_u32_e32 v1, 32, v1
	v_subrev_nc_u32_e32 v2, 28, v1
	v_sub_nc_u32_e32 v1, 29, v1
	v_lshlrev_b64 v[2:3], v2, v[28:29]
	v_and_b32_e32 v28, 7, v2
; %bb.567:                              ;   in Loop: Header=BB210_15 Depth=1
	s_or_b32 exec_lo, exec_lo, s21
	v_lshlrev_b32_e32 v2, 24, v0
	v_lshlrev_b32_e32 v3, 20, v28
	v_lshl_add_u32 v1, v1, 23, 0x3c000000
	v_and_b32_e32 v2, 0x80000000, v2
	v_or3_b32 v28, v3, v2, v1
	v_mov_b32_e32 v33, v29
	v_mov_b32_e32 v32, v28
.LBB210_568:                            ;   in Loop: Header=BB210_15 Depth=1
	s_or_b32 exec_lo, exec_lo, s20
.LBB210_569:                            ;   in Loop: Header=BB210_15 Depth=1
	s_or_b32 exec_lo, exec_lo, s19
.LBB210_570:                            ;   in Loop: Header=BB210_15 Depth=1
	s_or_b32 exec_lo, exec_lo, s18
	v_cmp_ne_u16_sdwa s5, v0, v29 src0_sel:BYTE_1 src1_sel:DWORD
	s_and_saveexec_b32 s18, s5
	s_cbranch_execz .LBB210_578
; %bb.571:                              ;   in Loop: Header=BB210_15 Depth=1
	v_mov_b32_e32 v18, v29
	v_mov_b32_e32 v1, 0x80
	;; [unrolled: 1-line block ×4, first 2 shown]
	v_cmp_ne_u16_sdwa s5, v0, v1 src0_sel:BYTE_1 src1_sel:DWORD
	s_and_saveexec_b32 s19, s5
	s_cbranch_execz .LBB210_577
; %bb.572:                              ;   in Loop: Header=BB210_15 Depth=1
	v_mov_b32_e32 v1, 0xffff
	v_mov_b32_e32 v42, v29
	;; [unrolled: 1-line block ×3, first 2 shown]
	s_mov_b32 s20, exec_lo
	v_and_b32_sdwa v1, v1, v0 dst_sel:DWORD dst_unused:UNUSED_PAD src0_sel:DWORD src1_sel:BYTE_1
	v_mov_b32_e32 v64, v42
	v_and_b32_e32 v2, 0x7f, v1
	v_cmpx_ne_u32_e32 0x7f, v2
	s_cbranch_execz .LBB210_576
; %bb.573:                              ;   in Loop: Header=BB210_15 Depth=1
	v_and_b32_e32 v28, 7, v1
	v_lshrrev_b32_e32 v1, 3, v2
	s_mov_b32 s21, exec_lo
	v_cmpx_gt_u32_e32 8, v2
; %bb.574:                              ;   in Loop: Header=BB210_15 Depth=1
	v_ffbh_u32_e32 v1, v28
	v_min_u32_e32 v1, 32, v1
	v_subrev_nc_u32_e32 v2, 28, v1
	v_sub_nc_u32_e32 v1, 29, v1
	v_lshlrev_b64 v[2:3], v2, v[28:29]
	v_and_b32_e32 v28, 7, v2
; %bb.575:                              ;   in Loop: Header=BB210_15 Depth=1
	s_or_b32 exec_lo, exec_lo, s21
	v_lshlrev_b32_e32 v2, 16, v0
	v_lshlrev_b32_e32 v3, 20, v28
	v_lshl_add_u32 v1, v1, 23, 0x3c000000
	v_mov_b32_e32 v64, v29
	v_and_b32_e32 v2, 0x80000000, v2
	v_or3_b32 v65, v3, v2, v1
.LBB210_576:                            ;   in Loop: Header=BB210_15 Depth=1
	s_or_b32 exec_lo, exec_lo, s20
.LBB210_577:                            ;   in Loop: Header=BB210_15 Depth=1
	s_or_b32 exec_lo, exec_lo, s19
.LBB210_578:                            ;   in Loop: Header=BB210_15 Depth=1
	s_or_b32 exec_lo, exec_lo, s18
	v_mov_b32_e32 v1, 0xff
	v_mov_b32_e32 v70, 0
	;; [unrolled: 1-line block ×5, first 2 shown]
	v_and_b32_sdwa v1, v0, v1 dst_sel:DWORD dst_unused:UNUSED_PAD src0_sel:WORD_1 src1_sel:DWORD
	s_mov_b32 s18, exec_lo
	v_cmpx_ne_u16_e32 0, v1
	s_cbranch_execz .LBB210_586
; %bb.579:                              ;   in Loop: Header=BB210_15 Depth=1
	v_bfrev_b32_e32 v50, 1
	v_mov_b32_e32 v51, 0
	s_mov_b32 s19, exec_lo
	v_cmpx_ne_u16_e32 0x80, v1
	s_cbranch_execz .LBB210_585
; %bb.580:                              ;   in Loop: Header=BB210_15 Depth=1
	v_mov_b32_e32 v50, 0x7f800001
	v_bfe_u32 v2, v0, 16, 7
	v_mov_b32_e32 v51, 0
	s_mov_b32 s20, exec_lo
	v_cmpx_ne_u32_e32 0x7f, v2
	s_cbranch_execz .LBB210_584
; %bb.581:                              ;   in Loop: Header=BB210_15 Depth=1
	v_mov_b32_e32 v1, 7
	s_mov_b32 s21, exec_lo
	v_and_b32_sdwa v28, v0, v1 dst_sel:DWORD dst_unused:UNUSED_PAD src0_sel:WORD_1 src1_sel:DWORD
	v_lshrrev_b32_e32 v1, 3, v2
	v_cmpx_gt_u32_e32 8, v2
; %bb.582:                              ;   in Loop: Header=BB210_15 Depth=1
	v_ffbh_u32_e32 v1, v28
	v_min_u32_e32 v1, 32, v1
	v_subrev_nc_u32_e32 v2, 28, v1
	v_sub_nc_u32_e32 v1, 29, v1
	v_lshlrev_b64 v[2:3], v2, v[28:29]
	v_and_b32_e32 v28, 7, v2
; %bb.583:                              ;   in Loop: Header=BB210_15 Depth=1
	s_or_b32 exec_lo, exec_lo, s21
	v_mov_b32_e32 v2, 24
	v_lshlrev_b32_e32 v3, 20, v28
	v_lshl_add_u32 v1, v1, 23, 0x3c000000
	v_lshlrev_b32_sdwa v2, v2, v0 dst_sel:DWORD dst_unused:UNUSED_PAD src0_sel:DWORD src1_sel:WORD_1
	v_and_b32_e32 v2, 0x80000000, v2
	v_or3_b32 v28, v3, v2, v1
	v_mov_b32_e32 v51, v29
	v_mov_b32_e32 v50, v28
.LBB210_584:                            ;   in Loop: Header=BB210_15 Depth=1
	s_or_b32 exec_lo, exec_lo, s20
.LBB210_585:                            ;   in Loop: Header=BB210_15 Depth=1
	s_or_b32 exec_lo, exec_lo, s19
.LBB210_586:                            ;   in Loop: Header=BB210_15 Depth=1
	s_or_b32 exec_lo, exec_lo, s18
	s_mov_b32 s18, exec_lo
	v_cmpx_lt_u32_e32 0xffffff, v0
	s_cbranch_execz .LBB210_594
; %bb.587:                              ;   in Loop: Header=BB210_15 Depth=1
	v_mov_b32_e32 v18, v29
	v_mov_b32_e32 v1, 0x80
	;; [unrolled: 1-line block ×4, first 2 shown]
	v_cmp_ne_u32_sdwa s5, v0, v1 src0_sel:BYTE_3 src1_sel:DWORD
	s_and_saveexec_b32 s19, s5
	s_cbranch_execz .LBB210_593
; %bb.588:                              ;   in Loop: Header=BB210_15 Depth=1
	v_mov_b32_e32 v42, v29
	v_mov_b32_e32 v71, v43
	v_bfe_u32 v2, v0, 24, 7
	s_mov_b32 s20, exec_lo
	v_mov_b32_e32 v70, v42
	v_cmpx_ne_u32_e32 0x7f, v2
	s_cbranch_execz .LBB210_592
; %bb.589:                              ;   in Loop: Header=BB210_15 Depth=1
	v_mov_b32_e32 v1, 7
	s_mov_b32 s21, exec_lo
	v_and_b32_sdwa v28, v0, v1 dst_sel:DWORD dst_unused:UNUSED_PAD src0_sel:BYTE_3 src1_sel:DWORD
	v_lshrrev_b32_e32 v1, 3, v2
	v_cmpx_gt_u32_e32 8, v2
; %bb.590:                              ;   in Loop: Header=BB210_15 Depth=1
	v_ffbh_u32_e32 v1, v28
	v_min_u32_e32 v1, 32, v1
	v_subrev_nc_u32_e32 v2, 28, v1
	v_sub_nc_u32_e32 v1, 29, v1
	v_lshlrev_b64 v[2:3], v2, v[28:29]
	v_and_b32_e32 v28, 7, v2
; %bb.591:                              ;   in Loop: Header=BB210_15 Depth=1
	s_or_b32 exec_lo, exec_lo, s21
	v_mov_b32_e32 v2, 24
	v_lshl_add_u32 v1, v1, 23, 0x3c000000
	v_mov_b32_e32 v70, v29
	v_lshlrev_b32_sdwa v0, v2, v0 dst_sel:DWORD dst_unused:UNUSED_PAD src0_sel:DWORD src1_sel:BYTE_3
	v_lshlrev_b32_e32 v2, 20, v28
	v_and_b32_e32 v0, 0x80000000, v0
	v_or3_b32 v71, v2, v0, v1
.LBB210_592:                            ;   in Loop: Header=BB210_15 Depth=1
	s_or_b32 exec_lo, exec_lo, s20
.LBB210_593:                            ;   in Loop: Header=BB210_15 Depth=1
	s_or_b32 exec_lo, exec_lo, s19
.LBB210_594:                            ;   in Loop: Header=BB210_15 Depth=1
	s_or_b32 exec_lo, exec_lo, s18
	flat_load_dword v0, v[34:35] offset:8
	v_mov_b32_e32 v52, 0
	v_mov_b32_e32 v80, 0
	;; [unrolled: 1-line block ×4, first 2 shown]
	s_waitcnt vmcnt(0) lgkmcnt(0)
	v_cmp_ne_u16_sdwa s5, v0, v29 src0_sel:BYTE_0 src1_sel:DWORD
	s_and_saveexec_b32 s18, s5
	s_cbranch_execz .LBB210_602
; %bb.595:                              ;   in Loop: Header=BB210_15 Depth=1
	v_mov_b32_e32 v1, 0x80
	v_bfrev_b32_e32 v80, 1
	v_mov_b32_e32 v81, 0
	v_cmp_ne_u16_sdwa s5, v0, v1 src0_sel:BYTE_0 src1_sel:DWORD
	s_and_saveexec_b32 s19, s5
	s_cbranch_execz .LBB210_601
; %bb.596:                              ;   in Loop: Header=BB210_15 Depth=1
	v_mov_b32_e32 v80, 0x7f800001
	v_and_b32_e32 v2, 0x7f, v0
	v_mov_b32_e32 v81, 0
	s_mov_b32 s20, exec_lo
	v_cmpx_ne_u32_e32 0x7f, v2
	s_cbranch_execz .LBB210_600
; %bb.597:                              ;   in Loop: Header=BB210_15 Depth=1
	v_and_b32_e32 v28, 7, v0
	v_lshrrev_b32_e32 v1, 3, v2
	s_mov_b32 s21, exec_lo
	v_cmpx_gt_u32_e32 8, v2
; %bb.598:                              ;   in Loop: Header=BB210_15 Depth=1
	v_ffbh_u32_e32 v1, v28
	v_min_u32_e32 v1, 32, v1
	v_subrev_nc_u32_e32 v2, 28, v1
	v_sub_nc_u32_e32 v1, 29, v1
	v_lshlrev_b64 v[2:3], v2, v[28:29]
	v_and_b32_e32 v28, 7, v2
; %bb.599:                              ;   in Loop: Header=BB210_15 Depth=1
	s_or_b32 exec_lo, exec_lo, s21
	v_lshlrev_b32_e32 v2, 24, v0
	v_lshlrev_b32_e32 v3, 20, v28
	v_lshl_add_u32 v1, v1, 23, 0x3c000000
	v_and_b32_e32 v2, 0x80000000, v2
	v_or3_b32 v28, v3, v2, v1
	v_mov_b32_e32 v81, v29
	v_mov_b32_e32 v80, v28
.LBB210_600:                            ;   in Loop: Header=BB210_15 Depth=1
	s_or_b32 exec_lo, exec_lo, s20
.LBB210_601:                            ;   in Loop: Header=BB210_15 Depth=1
	s_or_b32 exec_lo, exec_lo, s19
.LBB210_602:                            ;   in Loop: Header=BB210_15 Depth=1
	s_or_b32 exec_lo, exec_lo, s18
	v_cmp_ne_u16_sdwa s5, v0, v29 src0_sel:BYTE_1 src1_sel:DWORD
	s_and_saveexec_b32 s18, s5
	s_cbranch_execz .LBB210_610
; %bb.603:                              ;   in Loop: Header=BB210_15 Depth=1
	v_mov_b32_e32 v18, v29
	v_mov_b32_e32 v1, 0x80
	;; [unrolled: 1-line block ×4, first 2 shown]
	v_cmp_ne_u16_sdwa s5, v0, v1 src0_sel:BYTE_1 src1_sel:DWORD
	s_and_saveexec_b32 s19, s5
	s_cbranch_execz .LBB210_609
; %bb.604:                              ;   in Loop: Header=BB210_15 Depth=1
	v_mov_b32_e32 v1, 0xffff
	v_mov_b32_e32 v42, v29
	;; [unrolled: 1-line block ×3, first 2 shown]
	s_mov_b32 s20, exec_lo
	v_and_b32_sdwa v1, v1, v0 dst_sel:DWORD dst_unused:UNUSED_PAD src0_sel:DWORD src1_sel:BYTE_1
	v_mov_b32_e32 v52, v42
	v_and_b32_e32 v2, 0x7f, v1
	v_cmpx_ne_u32_e32 0x7f, v2
	s_cbranch_execz .LBB210_608
; %bb.605:                              ;   in Loop: Header=BB210_15 Depth=1
	v_and_b32_e32 v28, 7, v1
	v_lshrrev_b32_e32 v1, 3, v2
	s_mov_b32 s21, exec_lo
	v_cmpx_gt_u32_e32 8, v2
; %bb.606:                              ;   in Loop: Header=BB210_15 Depth=1
	v_ffbh_u32_e32 v1, v28
	v_min_u32_e32 v1, 32, v1
	v_subrev_nc_u32_e32 v2, 28, v1
	v_sub_nc_u32_e32 v1, 29, v1
	v_lshlrev_b64 v[2:3], v2, v[28:29]
	v_and_b32_e32 v28, 7, v2
; %bb.607:                              ;   in Loop: Header=BB210_15 Depth=1
	s_or_b32 exec_lo, exec_lo, s21
	v_lshlrev_b32_e32 v2, 16, v0
	v_lshlrev_b32_e32 v3, 20, v28
	v_lshl_add_u32 v1, v1, 23, 0x3c000000
	v_mov_b32_e32 v52, v29
	v_and_b32_e32 v2, 0x80000000, v2
	v_or3_b32 v53, v3, v2, v1
.LBB210_608:                            ;   in Loop: Header=BB210_15 Depth=1
	s_or_b32 exec_lo, exec_lo, s20
.LBB210_609:                            ;   in Loop: Header=BB210_15 Depth=1
	s_or_b32 exec_lo, exec_lo, s19
.LBB210_610:                            ;   in Loop: Header=BB210_15 Depth=1
	s_or_b32 exec_lo, exec_lo, s18
	v_mov_b32_e32 v1, 0xff
	v_mov_b32_e32 v86, 0
	;; [unrolled: 1-line block ×5, first 2 shown]
	v_and_b32_sdwa v1, v0, v1 dst_sel:DWORD dst_unused:UNUSED_PAD src0_sel:WORD_1 src1_sel:DWORD
	s_mov_b32 s18, exec_lo
	v_cmpx_ne_u16_e32 0, v1
	s_cbranch_execz .LBB210_618
; %bb.611:                              ;   in Loop: Header=BB210_15 Depth=1
	v_bfrev_b32_e32 v66, 1
	v_mov_b32_e32 v67, 0
	s_mov_b32 s19, exec_lo
	v_cmpx_ne_u16_e32 0x80, v1
	s_cbranch_execz .LBB210_617
; %bb.612:                              ;   in Loop: Header=BB210_15 Depth=1
	v_mov_b32_e32 v66, 0x7f800001
	v_bfe_u32 v2, v0, 16, 7
	v_mov_b32_e32 v67, 0
	s_mov_b32 s20, exec_lo
	v_cmpx_ne_u32_e32 0x7f, v2
	s_cbranch_execz .LBB210_616
; %bb.613:                              ;   in Loop: Header=BB210_15 Depth=1
	v_mov_b32_e32 v1, 7
	s_mov_b32 s21, exec_lo
	v_and_b32_sdwa v28, v0, v1 dst_sel:DWORD dst_unused:UNUSED_PAD src0_sel:WORD_1 src1_sel:DWORD
	v_lshrrev_b32_e32 v1, 3, v2
	v_cmpx_gt_u32_e32 8, v2
; %bb.614:                              ;   in Loop: Header=BB210_15 Depth=1
	v_ffbh_u32_e32 v1, v28
	v_min_u32_e32 v1, 32, v1
	v_subrev_nc_u32_e32 v2, 28, v1
	v_sub_nc_u32_e32 v1, 29, v1
	v_lshlrev_b64 v[2:3], v2, v[28:29]
	v_and_b32_e32 v28, 7, v2
; %bb.615:                              ;   in Loop: Header=BB210_15 Depth=1
	s_or_b32 exec_lo, exec_lo, s21
	v_mov_b32_e32 v2, 24
	v_lshlrev_b32_e32 v3, 20, v28
	v_lshl_add_u32 v1, v1, 23, 0x3c000000
	v_lshlrev_b32_sdwa v2, v2, v0 dst_sel:DWORD dst_unused:UNUSED_PAD src0_sel:DWORD src1_sel:WORD_1
	v_and_b32_e32 v2, 0x80000000, v2
	v_or3_b32 v28, v3, v2, v1
	v_mov_b32_e32 v67, v29
	v_mov_b32_e32 v66, v28
.LBB210_616:                            ;   in Loop: Header=BB210_15 Depth=1
	s_or_b32 exec_lo, exec_lo, s20
.LBB210_617:                            ;   in Loop: Header=BB210_15 Depth=1
	s_or_b32 exec_lo, exec_lo, s19
.LBB210_618:                            ;   in Loop: Header=BB210_15 Depth=1
	s_or_b32 exec_lo, exec_lo, s18
	s_mov_b32 s18, exec_lo
	v_cmpx_lt_u32_e32 0xffffff, v0
	s_cbranch_execz .LBB210_626
; %bb.619:                              ;   in Loop: Header=BB210_15 Depth=1
	v_mov_b32_e32 v18, v29
	v_mov_b32_e32 v1, 0x80
	v_mov_b32_e32 v87, v19
	v_mov_b32_e32 v86, v18
	v_cmp_ne_u32_sdwa s5, v0, v1 src0_sel:BYTE_3 src1_sel:DWORD
	s_and_saveexec_b32 s19, s5
	s_cbranch_execz .LBB210_625
; %bb.620:                              ;   in Loop: Header=BB210_15 Depth=1
	v_mov_b32_e32 v42, v29
	v_mov_b32_e32 v87, v43
	v_bfe_u32 v2, v0, 24, 7
	s_mov_b32 s20, exec_lo
	v_mov_b32_e32 v86, v42
	v_cmpx_ne_u32_e32 0x7f, v2
	s_cbranch_execz .LBB210_624
; %bb.621:                              ;   in Loop: Header=BB210_15 Depth=1
	v_mov_b32_e32 v1, 7
	s_mov_b32 s21, exec_lo
	v_and_b32_sdwa v28, v0, v1 dst_sel:DWORD dst_unused:UNUSED_PAD src0_sel:BYTE_3 src1_sel:DWORD
	v_lshrrev_b32_e32 v1, 3, v2
	v_cmpx_gt_u32_e32 8, v2
; %bb.622:                              ;   in Loop: Header=BB210_15 Depth=1
	v_ffbh_u32_e32 v1, v28
	v_min_u32_e32 v1, 32, v1
	v_subrev_nc_u32_e32 v2, 28, v1
	v_sub_nc_u32_e32 v1, 29, v1
	v_lshlrev_b64 v[2:3], v2, v[28:29]
	v_and_b32_e32 v28, 7, v2
; %bb.623:                              ;   in Loop: Header=BB210_15 Depth=1
	s_or_b32 exec_lo, exec_lo, s21
	v_mov_b32_e32 v2, 24
	v_lshl_add_u32 v1, v1, 23, 0x3c000000
	v_mov_b32_e32 v86, v29
	v_lshlrev_b32_sdwa v0, v2, v0 dst_sel:DWORD dst_unused:UNUSED_PAD src0_sel:DWORD src1_sel:BYTE_3
	v_lshlrev_b32_e32 v2, 20, v28
	v_and_b32_e32 v0, 0x80000000, v0
	v_or3_b32 v87, v2, v0, v1
.LBB210_624:                            ;   in Loop: Header=BB210_15 Depth=1
	s_or_b32 exec_lo, exec_lo, s20
.LBB210_625:                            ;   in Loop: Header=BB210_15 Depth=1
	s_or_b32 exec_lo, exec_lo, s19
.LBB210_626:                            ;   in Loop: Header=BB210_15 Depth=1
	s_or_b32 exec_lo, exec_lo, s18
	flat_load_dword v0, v[34:35] offset:12
	v_mov_b32_e32 v68, 0
	v_mov_b32_e32 v96, 0
	;; [unrolled: 1-line block ×4, first 2 shown]
	s_waitcnt vmcnt(0) lgkmcnt(0)
	v_cmp_ne_u16_sdwa s5, v0, v29 src0_sel:BYTE_0 src1_sel:DWORD
	s_and_saveexec_b32 s18, s5
	s_cbranch_execz .LBB210_634
; %bb.627:                              ;   in Loop: Header=BB210_15 Depth=1
	v_mov_b32_e32 v1, 0x80
	v_bfrev_b32_e32 v96, 1
	v_mov_b32_e32 v97, 0
	v_cmp_ne_u16_sdwa s5, v0, v1 src0_sel:BYTE_0 src1_sel:DWORD
	s_and_saveexec_b32 s19, s5
	s_cbranch_execz .LBB210_633
; %bb.628:                              ;   in Loop: Header=BB210_15 Depth=1
	v_mov_b32_e32 v96, 0x7f800001
	v_and_b32_e32 v2, 0x7f, v0
	v_mov_b32_e32 v97, 0
	s_mov_b32 s20, exec_lo
	v_cmpx_ne_u32_e32 0x7f, v2
	s_cbranch_execz .LBB210_632
; %bb.629:                              ;   in Loop: Header=BB210_15 Depth=1
	v_and_b32_e32 v28, 7, v0
	v_lshrrev_b32_e32 v1, 3, v2
	s_mov_b32 s21, exec_lo
	v_cmpx_gt_u32_e32 8, v2
; %bb.630:                              ;   in Loop: Header=BB210_15 Depth=1
	v_ffbh_u32_e32 v1, v28
	v_min_u32_e32 v1, 32, v1
	v_subrev_nc_u32_e32 v2, 28, v1
	v_sub_nc_u32_e32 v1, 29, v1
	v_lshlrev_b64 v[2:3], v2, v[28:29]
	v_and_b32_e32 v28, 7, v2
; %bb.631:                              ;   in Loop: Header=BB210_15 Depth=1
	s_or_b32 exec_lo, exec_lo, s21
	v_lshlrev_b32_e32 v2, 24, v0
	v_lshlrev_b32_e32 v3, 20, v28
	v_lshl_add_u32 v1, v1, 23, 0x3c000000
	v_and_b32_e32 v2, 0x80000000, v2
	v_or3_b32 v28, v3, v2, v1
	v_mov_b32_e32 v97, v29
	v_mov_b32_e32 v96, v28
.LBB210_632:                            ;   in Loop: Header=BB210_15 Depth=1
	s_or_b32 exec_lo, exec_lo, s20
.LBB210_633:                            ;   in Loop: Header=BB210_15 Depth=1
	s_or_b32 exec_lo, exec_lo, s19
.LBB210_634:                            ;   in Loop: Header=BB210_15 Depth=1
	s_or_b32 exec_lo, exec_lo, s18
	v_cmp_ne_u16_sdwa s5, v0, v29 src0_sel:BYTE_1 src1_sel:DWORD
	s_and_saveexec_b32 s18, s5
	s_cbranch_execz .LBB210_642
; %bb.635:                              ;   in Loop: Header=BB210_15 Depth=1
	v_mov_b32_e32 v18, v29
	v_mov_b32_e32 v1, 0x80
	;; [unrolled: 1-line block ×4, first 2 shown]
	v_cmp_ne_u16_sdwa s5, v0, v1 src0_sel:BYTE_1 src1_sel:DWORD
	s_and_saveexec_b32 s19, s5
	s_cbranch_execz .LBB210_641
; %bb.636:                              ;   in Loop: Header=BB210_15 Depth=1
	v_mov_b32_e32 v1, 0xffff
	v_mov_b32_e32 v42, v29
	;; [unrolled: 1-line block ×3, first 2 shown]
	s_mov_b32 s20, exec_lo
	v_and_b32_sdwa v1, v1, v0 dst_sel:DWORD dst_unused:UNUSED_PAD src0_sel:DWORD src1_sel:BYTE_1
	v_mov_b32_e32 v68, v42
	v_and_b32_e32 v2, 0x7f, v1
	v_cmpx_ne_u32_e32 0x7f, v2
	s_cbranch_execz .LBB210_640
; %bb.637:                              ;   in Loop: Header=BB210_15 Depth=1
	v_and_b32_e32 v28, 7, v1
	v_lshrrev_b32_e32 v1, 3, v2
	s_mov_b32 s21, exec_lo
	v_cmpx_gt_u32_e32 8, v2
; %bb.638:                              ;   in Loop: Header=BB210_15 Depth=1
	v_ffbh_u32_e32 v1, v28
	v_min_u32_e32 v1, 32, v1
	v_subrev_nc_u32_e32 v2, 28, v1
	v_sub_nc_u32_e32 v1, 29, v1
	v_lshlrev_b64 v[2:3], v2, v[28:29]
	v_and_b32_e32 v28, 7, v2
; %bb.639:                              ;   in Loop: Header=BB210_15 Depth=1
	s_or_b32 exec_lo, exec_lo, s21
	v_lshlrev_b32_e32 v2, 16, v0
	v_lshlrev_b32_e32 v3, 20, v28
	v_lshl_add_u32 v1, v1, 23, 0x3c000000
	v_mov_b32_e32 v68, v29
	v_and_b32_e32 v2, 0x80000000, v2
	v_or3_b32 v69, v3, v2, v1
.LBB210_640:                            ;   in Loop: Header=BB210_15 Depth=1
	s_or_b32 exec_lo, exec_lo, s20
.LBB210_641:                            ;   in Loop: Header=BB210_15 Depth=1
	s_or_b32 exec_lo, exec_lo, s19
.LBB210_642:                            ;   in Loop: Header=BB210_15 Depth=1
	s_or_b32 exec_lo, exec_lo, s18
	v_mov_b32_e32 v1, 0xff
	v_mov_b32_e32 v102, 0
	;; [unrolled: 1-line block ×5, first 2 shown]
	v_and_b32_sdwa v1, v0, v1 dst_sel:DWORD dst_unused:UNUSED_PAD src0_sel:WORD_1 src1_sel:DWORD
	s_mov_b32 s18, exec_lo
	v_cmpx_ne_u16_e32 0, v1
	s_cbranch_execz .LBB210_650
; %bb.643:                              ;   in Loop: Header=BB210_15 Depth=1
	v_bfrev_b32_e32 v82, 1
	v_mov_b32_e32 v83, 0
	s_mov_b32 s19, exec_lo
	v_cmpx_ne_u16_e32 0x80, v1
	s_cbranch_execz .LBB210_649
; %bb.644:                              ;   in Loop: Header=BB210_15 Depth=1
	v_mov_b32_e32 v82, 0x7f800001
	v_bfe_u32 v2, v0, 16, 7
	v_mov_b32_e32 v83, 0
	s_mov_b32 s20, exec_lo
	v_cmpx_ne_u32_e32 0x7f, v2
	s_cbranch_execz .LBB210_648
; %bb.645:                              ;   in Loop: Header=BB210_15 Depth=1
	v_mov_b32_e32 v1, 7
	s_mov_b32 s21, exec_lo
	v_and_b32_sdwa v28, v0, v1 dst_sel:DWORD dst_unused:UNUSED_PAD src0_sel:WORD_1 src1_sel:DWORD
	v_lshrrev_b32_e32 v1, 3, v2
	v_cmpx_gt_u32_e32 8, v2
; %bb.646:                              ;   in Loop: Header=BB210_15 Depth=1
	v_ffbh_u32_e32 v1, v28
	v_min_u32_e32 v1, 32, v1
	v_subrev_nc_u32_e32 v2, 28, v1
	v_sub_nc_u32_e32 v1, 29, v1
	v_lshlrev_b64 v[2:3], v2, v[28:29]
	v_and_b32_e32 v28, 7, v2
; %bb.647:                              ;   in Loop: Header=BB210_15 Depth=1
	s_or_b32 exec_lo, exec_lo, s21
	v_mov_b32_e32 v2, 24
	v_lshlrev_b32_e32 v3, 20, v28
	v_lshl_add_u32 v1, v1, 23, 0x3c000000
	v_lshlrev_b32_sdwa v2, v2, v0 dst_sel:DWORD dst_unused:UNUSED_PAD src0_sel:DWORD src1_sel:WORD_1
	v_and_b32_e32 v2, 0x80000000, v2
	v_or3_b32 v28, v3, v2, v1
	v_mov_b32_e32 v83, v29
	v_mov_b32_e32 v82, v28
.LBB210_648:                            ;   in Loop: Header=BB210_15 Depth=1
	s_or_b32 exec_lo, exec_lo, s20
.LBB210_649:                            ;   in Loop: Header=BB210_15 Depth=1
	s_or_b32 exec_lo, exec_lo, s19
.LBB210_650:                            ;   in Loop: Header=BB210_15 Depth=1
	s_or_b32 exec_lo, exec_lo, s18
	s_mov_b32 s18, exec_lo
	v_cmpx_lt_u32_e32 0xffffff, v0
	s_cbranch_execz .LBB210_658
; %bb.651:                              ;   in Loop: Header=BB210_15 Depth=1
	v_mov_b32_e32 v18, v29
	v_mov_b32_e32 v1, 0x80
	;; [unrolled: 1-line block ×4, first 2 shown]
	v_cmp_ne_u32_sdwa s5, v0, v1 src0_sel:BYTE_3 src1_sel:DWORD
	s_and_saveexec_b32 s19, s5
	s_cbranch_execz .LBB210_657
; %bb.652:                              ;   in Loop: Header=BB210_15 Depth=1
	v_mov_b32_e32 v42, v29
	v_mov_b32_e32 v103, v43
	v_bfe_u32 v2, v0, 24, 7
	s_mov_b32 s20, exec_lo
	v_mov_b32_e32 v102, v42
	v_cmpx_ne_u32_e32 0x7f, v2
	s_cbranch_execz .LBB210_656
; %bb.653:                              ;   in Loop: Header=BB210_15 Depth=1
	v_mov_b32_e32 v1, 7
	s_mov_b32 s21, exec_lo
	v_and_b32_sdwa v28, v0, v1 dst_sel:DWORD dst_unused:UNUSED_PAD src0_sel:BYTE_3 src1_sel:DWORD
	v_lshrrev_b32_e32 v1, 3, v2
	v_cmpx_gt_u32_e32 8, v2
; %bb.654:                              ;   in Loop: Header=BB210_15 Depth=1
	v_ffbh_u32_e32 v1, v28
	v_min_u32_e32 v1, 32, v1
	v_subrev_nc_u32_e32 v2, 28, v1
	v_sub_nc_u32_e32 v1, 29, v1
	v_lshlrev_b64 v[2:3], v2, v[28:29]
	v_and_b32_e32 v28, 7, v2
; %bb.655:                              ;   in Loop: Header=BB210_15 Depth=1
	s_or_b32 exec_lo, exec_lo, s21
	v_mov_b32_e32 v2, 24
	v_lshl_add_u32 v1, v1, 23, 0x3c000000
	v_mov_b32_e32 v102, v29
	v_lshlrev_b32_sdwa v0, v2, v0 dst_sel:DWORD dst_unused:UNUSED_PAD src0_sel:DWORD src1_sel:BYTE_3
	v_lshlrev_b32_e32 v2, 20, v28
	v_and_b32_e32 v0, 0x80000000, v0
	v_or3_b32 v103, v2, v0, v1
.LBB210_656:                            ;   in Loop: Header=BB210_15 Depth=1
	s_or_b32 exec_lo, exec_lo, s20
.LBB210_657:                            ;   in Loop: Header=BB210_15 Depth=1
	s_or_b32 exec_lo, exec_lo, s19
.LBB210_658:                            ;   in Loop: Header=BB210_15 Depth=1
	s_or_b32 exec_lo, exec_lo, s18
	flat_load_dword v0, v[34:35] offset:512
	v_mov_b32_e32 v84, 0
	v_mov_b32_e32 v112, 0
	v_mov_b32_e32 v85, 0
	v_mov_b32_e32 v113, 0
	s_waitcnt vmcnt(0) lgkmcnt(0)
	v_cmp_ne_u16_sdwa s5, v0, v29 src0_sel:BYTE_0 src1_sel:DWORD
	s_and_saveexec_b32 s18, s5
	s_cbranch_execz .LBB210_666
; %bb.659:                              ;   in Loop: Header=BB210_15 Depth=1
	v_mov_b32_e32 v1, 0x80
	v_bfrev_b32_e32 v112, 1
	v_mov_b32_e32 v113, 0
	v_cmp_ne_u16_sdwa s5, v0, v1 src0_sel:BYTE_0 src1_sel:DWORD
	s_and_saveexec_b32 s19, s5
	s_cbranch_execz .LBB210_665
; %bb.660:                              ;   in Loop: Header=BB210_15 Depth=1
	v_mov_b32_e32 v112, 0x7f800001
	v_and_b32_e32 v2, 0x7f, v0
	v_mov_b32_e32 v113, 0
	s_mov_b32 s20, exec_lo
	v_cmpx_ne_u32_e32 0x7f, v2
	s_cbranch_execz .LBB210_664
; %bb.661:                              ;   in Loop: Header=BB210_15 Depth=1
	v_and_b32_e32 v28, 7, v0
	v_lshrrev_b32_e32 v1, 3, v2
	s_mov_b32 s21, exec_lo
	v_cmpx_gt_u32_e32 8, v2
; %bb.662:                              ;   in Loop: Header=BB210_15 Depth=1
	v_ffbh_u32_e32 v1, v28
	v_min_u32_e32 v1, 32, v1
	v_subrev_nc_u32_e32 v2, 28, v1
	v_sub_nc_u32_e32 v1, 29, v1
	v_lshlrev_b64 v[2:3], v2, v[28:29]
	v_and_b32_e32 v28, 7, v2
; %bb.663:                              ;   in Loop: Header=BB210_15 Depth=1
	s_or_b32 exec_lo, exec_lo, s21
	v_lshlrev_b32_e32 v2, 24, v0
	v_lshlrev_b32_e32 v3, 20, v28
	v_lshl_add_u32 v1, v1, 23, 0x3c000000
	v_and_b32_e32 v2, 0x80000000, v2
	v_or3_b32 v28, v3, v2, v1
	v_mov_b32_e32 v113, v29
	v_mov_b32_e32 v112, v28
.LBB210_664:                            ;   in Loop: Header=BB210_15 Depth=1
	s_or_b32 exec_lo, exec_lo, s20
.LBB210_665:                            ;   in Loop: Header=BB210_15 Depth=1
	s_or_b32 exec_lo, exec_lo, s19
.LBB210_666:                            ;   in Loop: Header=BB210_15 Depth=1
	s_or_b32 exec_lo, exec_lo, s18
	v_cmp_ne_u16_sdwa s5, v0, v29 src0_sel:BYTE_1 src1_sel:DWORD
	s_and_saveexec_b32 s18, s5
	s_cbranch_execz .LBB210_674
; %bb.667:                              ;   in Loop: Header=BB210_15 Depth=1
	v_mov_b32_e32 v18, v29
	v_mov_b32_e32 v1, 0x80
	;; [unrolled: 1-line block ×4, first 2 shown]
	v_cmp_ne_u16_sdwa s5, v0, v1 src0_sel:BYTE_1 src1_sel:DWORD
	s_and_saveexec_b32 s19, s5
	s_cbranch_execz .LBB210_673
; %bb.668:                              ;   in Loop: Header=BB210_15 Depth=1
	v_mov_b32_e32 v1, 0xffff
	v_mov_b32_e32 v42, v29
	;; [unrolled: 1-line block ×3, first 2 shown]
	s_mov_b32 s20, exec_lo
	v_and_b32_sdwa v1, v1, v0 dst_sel:DWORD dst_unused:UNUSED_PAD src0_sel:DWORD src1_sel:BYTE_1
	v_mov_b32_e32 v84, v42
	v_and_b32_e32 v2, 0x7f, v1
	v_cmpx_ne_u32_e32 0x7f, v2
	s_cbranch_execz .LBB210_672
; %bb.669:                              ;   in Loop: Header=BB210_15 Depth=1
	v_and_b32_e32 v28, 7, v1
	v_lshrrev_b32_e32 v1, 3, v2
	s_mov_b32 s21, exec_lo
	v_cmpx_gt_u32_e32 8, v2
; %bb.670:                              ;   in Loop: Header=BB210_15 Depth=1
	v_ffbh_u32_e32 v1, v28
	v_min_u32_e32 v1, 32, v1
	v_subrev_nc_u32_e32 v2, 28, v1
	v_sub_nc_u32_e32 v1, 29, v1
	v_lshlrev_b64 v[2:3], v2, v[28:29]
	v_and_b32_e32 v28, 7, v2
; %bb.671:                              ;   in Loop: Header=BB210_15 Depth=1
	s_or_b32 exec_lo, exec_lo, s21
	v_lshlrev_b32_e32 v2, 16, v0
	v_lshlrev_b32_e32 v3, 20, v28
	v_lshl_add_u32 v1, v1, 23, 0x3c000000
	v_mov_b32_e32 v84, v29
	v_and_b32_e32 v2, 0x80000000, v2
	v_or3_b32 v85, v3, v2, v1
.LBB210_672:                            ;   in Loop: Header=BB210_15 Depth=1
	s_or_b32 exec_lo, exec_lo, s20
.LBB210_673:                            ;   in Loop: Header=BB210_15 Depth=1
	s_or_b32 exec_lo, exec_lo, s19
.LBB210_674:                            ;   in Loop: Header=BB210_15 Depth=1
	s_or_b32 exec_lo, exec_lo, s18
	v_mov_b32_e32 v1, 0xff
	v_mov_b32_e32 v118, 0
	;; [unrolled: 1-line block ×5, first 2 shown]
	v_and_b32_sdwa v1, v0, v1 dst_sel:DWORD dst_unused:UNUSED_PAD src0_sel:WORD_1 src1_sel:DWORD
	s_mov_b32 s18, exec_lo
	v_cmpx_ne_u16_e32 0, v1
	s_cbranch_execz .LBB210_682
; %bb.675:                              ;   in Loop: Header=BB210_15 Depth=1
	v_bfrev_b32_e32 v98, 1
	v_mov_b32_e32 v99, 0
	s_mov_b32 s19, exec_lo
	v_cmpx_ne_u16_e32 0x80, v1
	s_cbranch_execz .LBB210_681
; %bb.676:                              ;   in Loop: Header=BB210_15 Depth=1
	v_mov_b32_e32 v98, 0x7f800001
	v_bfe_u32 v2, v0, 16, 7
	v_mov_b32_e32 v99, 0
	s_mov_b32 s20, exec_lo
	v_cmpx_ne_u32_e32 0x7f, v2
	s_cbranch_execz .LBB210_680
; %bb.677:                              ;   in Loop: Header=BB210_15 Depth=1
	v_mov_b32_e32 v1, 7
	s_mov_b32 s21, exec_lo
	v_and_b32_sdwa v28, v0, v1 dst_sel:DWORD dst_unused:UNUSED_PAD src0_sel:WORD_1 src1_sel:DWORD
	v_lshrrev_b32_e32 v1, 3, v2
	v_cmpx_gt_u32_e32 8, v2
; %bb.678:                              ;   in Loop: Header=BB210_15 Depth=1
	v_ffbh_u32_e32 v1, v28
	v_min_u32_e32 v1, 32, v1
	v_subrev_nc_u32_e32 v2, 28, v1
	v_sub_nc_u32_e32 v1, 29, v1
	v_lshlrev_b64 v[2:3], v2, v[28:29]
	v_and_b32_e32 v28, 7, v2
; %bb.679:                              ;   in Loop: Header=BB210_15 Depth=1
	s_or_b32 exec_lo, exec_lo, s21
	v_mov_b32_e32 v2, 24
	v_lshlrev_b32_e32 v3, 20, v28
	v_lshl_add_u32 v1, v1, 23, 0x3c000000
	v_lshlrev_b32_sdwa v2, v2, v0 dst_sel:DWORD dst_unused:UNUSED_PAD src0_sel:DWORD src1_sel:WORD_1
	v_and_b32_e32 v2, 0x80000000, v2
	v_or3_b32 v28, v3, v2, v1
	v_mov_b32_e32 v99, v29
	v_mov_b32_e32 v98, v28
.LBB210_680:                            ;   in Loop: Header=BB210_15 Depth=1
	s_or_b32 exec_lo, exec_lo, s20
.LBB210_681:                            ;   in Loop: Header=BB210_15 Depth=1
	s_or_b32 exec_lo, exec_lo, s19
.LBB210_682:                            ;   in Loop: Header=BB210_15 Depth=1
	s_or_b32 exec_lo, exec_lo, s18
	s_mov_b32 s18, exec_lo
	v_cmpx_lt_u32_e32 0xffffff, v0
	s_cbranch_execz .LBB210_690
; %bb.683:                              ;   in Loop: Header=BB210_15 Depth=1
	v_mov_b32_e32 v18, v29
	v_mov_b32_e32 v1, 0x80
	;; [unrolled: 1-line block ×4, first 2 shown]
	v_cmp_ne_u32_sdwa s5, v0, v1 src0_sel:BYTE_3 src1_sel:DWORD
	s_and_saveexec_b32 s19, s5
	s_cbranch_execz .LBB210_689
; %bb.684:                              ;   in Loop: Header=BB210_15 Depth=1
	v_mov_b32_e32 v42, v29
	v_mov_b32_e32 v119, v43
	v_bfe_u32 v2, v0, 24, 7
	s_mov_b32 s20, exec_lo
	v_mov_b32_e32 v118, v42
	v_cmpx_ne_u32_e32 0x7f, v2
	s_cbranch_execz .LBB210_688
; %bb.685:                              ;   in Loop: Header=BB210_15 Depth=1
	v_mov_b32_e32 v1, 7
	s_mov_b32 s21, exec_lo
	v_and_b32_sdwa v28, v0, v1 dst_sel:DWORD dst_unused:UNUSED_PAD src0_sel:BYTE_3 src1_sel:DWORD
	v_lshrrev_b32_e32 v1, 3, v2
	v_cmpx_gt_u32_e32 8, v2
; %bb.686:                              ;   in Loop: Header=BB210_15 Depth=1
	v_ffbh_u32_e32 v1, v28
	v_min_u32_e32 v1, 32, v1
	v_subrev_nc_u32_e32 v2, 28, v1
	v_sub_nc_u32_e32 v1, 29, v1
	v_lshlrev_b64 v[2:3], v2, v[28:29]
	v_and_b32_e32 v28, 7, v2
; %bb.687:                              ;   in Loop: Header=BB210_15 Depth=1
	s_or_b32 exec_lo, exec_lo, s21
	v_mov_b32_e32 v2, 24
	v_lshl_add_u32 v1, v1, 23, 0x3c000000
	v_mov_b32_e32 v118, v29
	v_lshlrev_b32_sdwa v0, v2, v0 dst_sel:DWORD dst_unused:UNUSED_PAD src0_sel:DWORD src1_sel:BYTE_3
	v_lshlrev_b32_e32 v2, 20, v28
	v_and_b32_e32 v0, 0x80000000, v0
	v_or3_b32 v119, v2, v0, v1
.LBB210_688:                            ;   in Loop: Header=BB210_15 Depth=1
	s_or_b32 exec_lo, exec_lo, s20
.LBB210_689:                            ;   in Loop: Header=BB210_15 Depth=1
	s_or_b32 exec_lo, exec_lo, s19
.LBB210_690:                            ;   in Loop: Header=BB210_15 Depth=1
	s_or_b32 exec_lo, exec_lo, s18
	flat_load_dword v0, v[34:35] offset:516
	v_mov_b32_e32 v38, 0
	v_mov_b32_e32 v100, 0
	;; [unrolled: 1-line block ×4, first 2 shown]
	s_waitcnt vmcnt(0) lgkmcnt(0)
	v_cmp_ne_u16_sdwa s5, v0, v29 src0_sel:BYTE_0 src1_sel:DWORD
	s_and_saveexec_b32 s18, s5
	s_cbranch_execz .LBB210_698
; %bb.691:                              ;   in Loop: Header=BB210_15 Depth=1
	v_mov_b32_e32 v1, 0x80
	v_bfrev_b32_e32 v100, 1
	v_mov_b32_e32 v101, 0
	v_cmp_ne_u16_sdwa s5, v0, v1 src0_sel:BYTE_0 src1_sel:DWORD
	s_and_saveexec_b32 s19, s5
	s_cbranch_execz .LBB210_697
; %bb.692:                              ;   in Loop: Header=BB210_15 Depth=1
	v_mov_b32_e32 v100, 0x7f800001
	v_and_b32_e32 v2, 0x7f, v0
	v_mov_b32_e32 v101, 0
	s_mov_b32 s20, exec_lo
	v_cmpx_ne_u32_e32 0x7f, v2
	s_cbranch_execz .LBB210_696
; %bb.693:                              ;   in Loop: Header=BB210_15 Depth=1
	v_and_b32_e32 v28, 7, v0
	v_lshrrev_b32_e32 v1, 3, v2
	s_mov_b32 s21, exec_lo
	v_cmpx_gt_u32_e32 8, v2
; %bb.694:                              ;   in Loop: Header=BB210_15 Depth=1
	v_ffbh_u32_e32 v1, v28
	v_min_u32_e32 v1, 32, v1
	v_subrev_nc_u32_e32 v2, 28, v1
	v_sub_nc_u32_e32 v1, 29, v1
	v_lshlrev_b64 v[2:3], v2, v[28:29]
	v_and_b32_e32 v28, 7, v2
; %bb.695:                              ;   in Loop: Header=BB210_15 Depth=1
	s_or_b32 exec_lo, exec_lo, s21
	v_lshlrev_b32_e32 v2, 24, v0
	v_lshlrev_b32_e32 v3, 20, v28
	v_lshl_add_u32 v1, v1, 23, 0x3c000000
	v_and_b32_e32 v2, 0x80000000, v2
	v_or3_b32 v28, v3, v2, v1
	v_mov_b32_e32 v101, v29
	v_mov_b32_e32 v100, v28
.LBB210_696:                            ;   in Loop: Header=BB210_15 Depth=1
	s_or_b32 exec_lo, exec_lo, s20
.LBB210_697:                            ;   in Loop: Header=BB210_15 Depth=1
	s_or_b32 exec_lo, exec_lo, s19
.LBB210_698:                            ;   in Loop: Header=BB210_15 Depth=1
	s_or_b32 exec_lo, exec_lo, s18
	v_cmp_ne_u16_sdwa s5, v0, v29 src0_sel:BYTE_1 src1_sel:DWORD
	s_and_saveexec_b32 s18, s5
	s_cbranch_execz .LBB210_706
; %bb.699:                              ;   in Loop: Header=BB210_15 Depth=1
	v_mov_b32_e32 v18, v29
	v_mov_b32_e32 v1, 0x80
	;; [unrolled: 1-line block ×4, first 2 shown]
	v_cmp_ne_u16_sdwa s5, v0, v1 src0_sel:BYTE_1 src1_sel:DWORD
	s_and_saveexec_b32 s19, s5
	s_cbranch_execz .LBB210_705
; %bb.700:                              ;   in Loop: Header=BB210_15 Depth=1
	v_mov_b32_e32 v1, 0xffff
	v_mov_b32_e32 v42, v29
	s_mov_b32 s20, exec_lo
	v_and_b32_sdwa v1, v1, v0 dst_sel:DWORD dst_unused:UNUSED_PAD src0_sel:DWORD src1_sel:BYTE_1
	v_mov_b32_e32 v38, v42
	v_mov_b32_e32 v39, v43
	v_and_b32_e32 v2, 0x7f, v1
	v_cmpx_ne_u32_e32 0x7f, v2
	s_cbranch_execz .LBB210_704
; %bb.701:                              ;   in Loop: Header=BB210_15 Depth=1
	v_and_b32_e32 v28, 7, v1
	v_lshrrev_b32_e32 v1, 3, v2
	s_mov_b32 s21, exec_lo
	v_cmpx_gt_u32_e32 8, v2
; %bb.702:                              ;   in Loop: Header=BB210_15 Depth=1
	v_ffbh_u32_e32 v1, v28
	v_min_u32_e32 v1, 32, v1
	v_subrev_nc_u32_e32 v2, 28, v1
	v_sub_nc_u32_e32 v1, 29, v1
	v_lshlrev_b64 v[2:3], v2, v[28:29]
	v_and_b32_e32 v28, 7, v2
; %bb.703:                              ;   in Loop: Header=BB210_15 Depth=1
	s_or_b32 exec_lo, exec_lo, s21
	v_lshlrev_b32_e32 v2, 16, v0
	v_lshlrev_b32_e32 v3, 20, v28
	v_lshl_add_u32 v1, v1, 23, 0x3c000000
	v_mov_b32_e32 v38, v29
	v_and_b32_e32 v2, 0x80000000, v2
	v_or3_b32 v39, v3, v2, v1
.LBB210_704:                            ;   in Loop: Header=BB210_15 Depth=1
	s_or_b32 exec_lo, exec_lo, s20
.LBB210_705:                            ;   in Loop: Header=BB210_15 Depth=1
	s_or_b32 exec_lo, exec_lo, s19
.LBB210_706:                            ;   in Loop: Header=BB210_15 Depth=1
	s_or_b32 exec_lo, exec_lo, s18
	v_mov_b32_e32 v1, 0xff
	v_mov_b32_e32 v114, 0
	v_mov_b32_e32 v58, 0
	v_mov_b32_e32 v115, 0
	v_mov_b32_e32 v59, 0
	v_and_b32_sdwa v1, v0, v1 dst_sel:DWORD dst_unused:UNUSED_PAD src0_sel:WORD_1 src1_sel:DWORD
	s_mov_b32 s18, exec_lo
	v_cmpx_ne_u16_e32 0, v1
	s_cbranch_execz .LBB210_714
; %bb.707:                              ;   in Loop: Header=BB210_15 Depth=1
	v_bfrev_b32_e32 v58, 1
	v_mov_b32_e32 v59, 0
	s_mov_b32 s19, exec_lo
	v_cmpx_ne_u16_e32 0x80, v1
	s_cbranch_execz .LBB210_713
; %bb.708:                              ;   in Loop: Header=BB210_15 Depth=1
	v_mov_b32_e32 v58, 0x7f800001
	v_bfe_u32 v2, v0, 16, 7
	v_mov_b32_e32 v59, 0
	s_mov_b32 s20, exec_lo
	v_cmpx_ne_u32_e32 0x7f, v2
	s_cbranch_execz .LBB210_712
; %bb.709:                              ;   in Loop: Header=BB210_15 Depth=1
	v_mov_b32_e32 v1, 7
	s_mov_b32 s21, exec_lo
	v_and_b32_sdwa v28, v0, v1 dst_sel:DWORD dst_unused:UNUSED_PAD src0_sel:WORD_1 src1_sel:DWORD
	v_lshrrev_b32_e32 v1, 3, v2
	v_cmpx_gt_u32_e32 8, v2
; %bb.710:                              ;   in Loop: Header=BB210_15 Depth=1
	v_ffbh_u32_e32 v1, v28
	v_min_u32_e32 v1, 32, v1
	v_subrev_nc_u32_e32 v2, 28, v1
	v_sub_nc_u32_e32 v1, 29, v1
	v_lshlrev_b64 v[2:3], v2, v[28:29]
	v_and_b32_e32 v28, 7, v2
; %bb.711:                              ;   in Loop: Header=BB210_15 Depth=1
	s_or_b32 exec_lo, exec_lo, s21
	v_mov_b32_e32 v2, 24
	v_lshlrev_b32_e32 v3, 20, v28
	v_lshl_add_u32 v1, v1, 23, 0x3c000000
	v_lshlrev_b32_sdwa v2, v2, v0 dst_sel:DWORD dst_unused:UNUSED_PAD src0_sel:DWORD src1_sel:WORD_1
	v_and_b32_e32 v2, 0x80000000, v2
	v_or3_b32 v28, v3, v2, v1
	v_mov_b32_e32 v59, v29
	v_mov_b32_e32 v58, v28
.LBB210_712:                            ;   in Loop: Header=BB210_15 Depth=1
	s_or_b32 exec_lo, exec_lo, s20
.LBB210_713:                            ;   in Loop: Header=BB210_15 Depth=1
	s_or_b32 exec_lo, exec_lo, s19
.LBB210_714:                            ;   in Loop: Header=BB210_15 Depth=1
	s_or_b32 exec_lo, exec_lo, s18
	s_mov_b32 s18, exec_lo
	v_cmpx_lt_u32_e32 0xffffff, v0
	s_cbranch_execz .LBB210_722
; %bb.715:                              ;   in Loop: Header=BB210_15 Depth=1
	v_mov_b32_e32 v18, v29
	v_mov_b32_e32 v1, 0x80
	;; [unrolled: 1-line block ×4, first 2 shown]
	v_cmp_ne_u32_sdwa s5, v0, v1 src0_sel:BYTE_3 src1_sel:DWORD
	s_and_saveexec_b32 s19, s5
	s_cbranch_execz .LBB210_721
; %bb.716:                              ;   in Loop: Header=BB210_15 Depth=1
	v_mov_b32_e32 v42, v29
	v_mov_b32_e32 v115, v43
	v_bfe_u32 v2, v0, 24, 7
	s_mov_b32 s20, exec_lo
	v_mov_b32_e32 v114, v42
	v_cmpx_ne_u32_e32 0x7f, v2
	s_cbranch_execz .LBB210_720
; %bb.717:                              ;   in Loop: Header=BB210_15 Depth=1
	v_mov_b32_e32 v1, 7
	s_mov_b32 s21, exec_lo
	v_and_b32_sdwa v28, v0, v1 dst_sel:DWORD dst_unused:UNUSED_PAD src0_sel:BYTE_3 src1_sel:DWORD
	v_lshrrev_b32_e32 v1, 3, v2
	v_cmpx_gt_u32_e32 8, v2
; %bb.718:                              ;   in Loop: Header=BB210_15 Depth=1
	v_ffbh_u32_e32 v1, v28
	v_min_u32_e32 v1, 32, v1
	v_subrev_nc_u32_e32 v2, 28, v1
	v_sub_nc_u32_e32 v1, 29, v1
	v_lshlrev_b64 v[2:3], v2, v[28:29]
	v_and_b32_e32 v28, 7, v2
; %bb.719:                              ;   in Loop: Header=BB210_15 Depth=1
	s_or_b32 exec_lo, exec_lo, s21
	v_mov_b32_e32 v2, 24
	v_lshl_add_u32 v1, v1, 23, 0x3c000000
	v_mov_b32_e32 v114, v29
	v_lshlrev_b32_sdwa v0, v2, v0 dst_sel:DWORD dst_unused:UNUSED_PAD src0_sel:DWORD src1_sel:BYTE_3
	v_lshlrev_b32_e32 v2, 20, v28
	v_and_b32_e32 v0, 0x80000000, v0
	v_or3_b32 v115, v2, v0, v1
.LBB210_720:                            ;   in Loop: Header=BB210_15 Depth=1
	s_or_b32 exec_lo, exec_lo, s20
.LBB210_721:                            ;   in Loop: Header=BB210_15 Depth=1
	s_or_b32 exec_lo, exec_lo, s19
.LBB210_722:                            ;   in Loop: Header=BB210_15 Depth=1
	s_or_b32 exec_lo, exec_lo, s18
	flat_load_dword v0, v[34:35] offset:520
	v_mov_b32_e32 v44, 0
	v_mov_b32_e32 v116, 0
	;; [unrolled: 1-line block ×4, first 2 shown]
	s_waitcnt vmcnt(0) lgkmcnt(0)
	v_cmp_ne_u16_sdwa s5, v0, v29 src0_sel:BYTE_0 src1_sel:DWORD
	s_and_saveexec_b32 s18, s5
	s_cbranch_execz .LBB210_730
; %bb.723:                              ;   in Loop: Header=BB210_15 Depth=1
	v_mov_b32_e32 v1, 0x80
	v_bfrev_b32_e32 v116, 1
	v_mov_b32_e32 v117, 0
	v_cmp_ne_u16_sdwa s5, v0, v1 src0_sel:BYTE_0 src1_sel:DWORD
	s_and_saveexec_b32 s19, s5
	s_cbranch_execz .LBB210_729
; %bb.724:                              ;   in Loop: Header=BB210_15 Depth=1
	v_mov_b32_e32 v116, 0x7f800001
	v_and_b32_e32 v2, 0x7f, v0
	v_mov_b32_e32 v117, 0
	s_mov_b32 s20, exec_lo
	v_cmpx_ne_u32_e32 0x7f, v2
	s_cbranch_execz .LBB210_728
; %bb.725:                              ;   in Loop: Header=BB210_15 Depth=1
	v_and_b32_e32 v28, 7, v0
	v_lshrrev_b32_e32 v1, 3, v2
	s_mov_b32 s21, exec_lo
	v_cmpx_gt_u32_e32 8, v2
; %bb.726:                              ;   in Loop: Header=BB210_15 Depth=1
	v_ffbh_u32_e32 v1, v28
	v_min_u32_e32 v1, 32, v1
	v_subrev_nc_u32_e32 v2, 28, v1
	v_sub_nc_u32_e32 v1, 29, v1
	v_lshlrev_b64 v[2:3], v2, v[28:29]
	v_and_b32_e32 v28, 7, v2
; %bb.727:                              ;   in Loop: Header=BB210_15 Depth=1
	s_or_b32 exec_lo, exec_lo, s21
	v_lshlrev_b32_e32 v2, 24, v0
	v_lshlrev_b32_e32 v3, 20, v28
	v_lshl_add_u32 v1, v1, 23, 0x3c000000
	v_and_b32_e32 v2, 0x80000000, v2
	v_or3_b32 v28, v3, v2, v1
	v_mov_b32_e32 v117, v29
	v_mov_b32_e32 v116, v28
.LBB210_728:                            ;   in Loop: Header=BB210_15 Depth=1
	s_or_b32 exec_lo, exec_lo, s20
.LBB210_729:                            ;   in Loop: Header=BB210_15 Depth=1
	s_or_b32 exec_lo, exec_lo, s19
.LBB210_730:                            ;   in Loop: Header=BB210_15 Depth=1
	s_or_b32 exec_lo, exec_lo, s18
	v_cmp_ne_u16_sdwa s5, v0, v29 src0_sel:BYTE_1 src1_sel:DWORD
	s_and_saveexec_b32 s18, s5
	s_cbranch_execz .LBB210_738
; %bb.731:                              ;   in Loop: Header=BB210_15 Depth=1
	v_mov_b32_e32 v18, v29
	v_mov_b32_e32 v1, 0x80
	;; [unrolled: 1-line block ×4, first 2 shown]
	v_cmp_ne_u16_sdwa s5, v0, v1 src0_sel:BYTE_1 src1_sel:DWORD
	s_and_saveexec_b32 s19, s5
	s_cbranch_execz .LBB210_737
; %bb.732:                              ;   in Loop: Header=BB210_15 Depth=1
	v_mov_b32_e32 v1, 0xffff
	v_mov_b32_e32 v42, v29
	;; [unrolled: 1-line block ×3, first 2 shown]
	s_mov_b32 s20, exec_lo
	v_and_b32_sdwa v1, v1, v0 dst_sel:DWORD dst_unused:UNUSED_PAD src0_sel:DWORD src1_sel:BYTE_1
	v_mov_b32_e32 v44, v42
	v_and_b32_e32 v2, 0x7f, v1
	v_cmpx_ne_u32_e32 0x7f, v2
	s_cbranch_execz .LBB210_736
; %bb.733:                              ;   in Loop: Header=BB210_15 Depth=1
	v_and_b32_e32 v28, 7, v1
	v_lshrrev_b32_e32 v1, 3, v2
	s_mov_b32 s21, exec_lo
	v_cmpx_gt_u32_e32 8, v2
; %bb.734:                              ;   in Loop: Header=BB210_15 Depth=1
	v_ffbh_u32_e32 v1, v28
	v_min_u32_e32 v1, 32, v1
	v_subrev_nc_u32_e32 v2, 28, v1
	v_sub_nc_u32_e32 v1, 29, v1
	v_lshlrev_b64 v[2:3], v2, v[28:29]
	v_and_b32_e32 v28, 7, v2
; %bb.735:                              ;   in Loop: Header=BB210_15 Depth=1
	s_or_b32 exec_lo, exec_lo, s21
	v_lshlrev_b32_e32 v2, 16, v0
	v_lshlrev_b32_e32 v3, 20, v28
	v_lshl_add_u32 v1, v1, 23, 0x3c000000
	v_mov_b32_e32 v44, v29
	v_and_b32_e32 v2, 0x80000000, v2
	v_or3_b32 v45, v3, v2, v1
.LBB210_736:                            ;   in Loop: Header=BB210_15 Depth=1
	s_or_b32 exec_lo, exec_lo, s20
.LBB210_737:                            ;   in Loop: Header=BB210_15 Depth=1
	s_or_b32 exec_lo, exec_lo, s19
.LBB210_738:                            ;   in Loop: Header=BB210_15 Depth=1
	s_or_b32 exec_lo, exec_lo, s18
	v_mov_b32_e32 v1, 0xff
	v_mov_b32_e32 v40, 0
	;; [unrolled: 1-line block ×5, first 2 shown]
	v_and_b32_sdwa v1, v0, v1 dst_sel:DWORD dst_unused:UNUSED_PAD src0_sel:WORD_1 src1_sel:DWORD
	s_mov_b32 s18, exec_lo
	v_cmpx_ne_u16_e32 0, v1
	s_cbranch_execz .LBB210_746
; %bb.739:                              ;   in Loop: Header=BB210_15 Depth=1
	v_bfrev_b32_e32 v10, 1
	v_mov_b32_e32 v11, 0
	s_mov_b32 s19, exec_lo
	v_cmpx_ne_u16_e32 0x80, v1
	s_cbranch_execz .LBB210_745
; %bb.740:                              ;   in Loop: Header=BB210_15 Depth=1
	v_mov_b32_e32 v10, 0x7f800001
	v_bfe_u32 v2, v0, 16, 7
	v_mov_b32_e32 v11, 0
	s_mov_b32 s20, exec_lo
	v_cmpx_ne_u32_e32 0x7f, v2
	s_cbranch_execz .LBB210_744
; %bb.741:                              ;   in Loop: Header=BB210_15 Depth=1
	v_mov_b32_e32 v1, 7
	s_mov_b32 s21, exec_lo
	v_and_b32_sdwa v28, v0, v1 dst_sel:DWORD dst_unused:UNUSED_PAD src0_sel:WORD_1 src1_sel:DWORD
	v_lshrrev_b32_e32 v1, 3, v2
	v_cmpx_gt_u32_e32 8, v2
; %bb.742:                              ;   in Loop: Header=BB210_15 Depth=1
	v_ffbh_u32_e32 v1, v28
	v_min_u32_e32 v1, 32, v1
	v_subrev_nc_u32_e32 v2, 28, v1
	v_sub_nc_u32_e32 v1, 29, v1
	v_lshlrev_b64 v[2:3], v2, v[28:29]
	v_and_b32_e32 v28, 7, v2
; %bb.743:                              ;   in Loop: Header=BB210_15 Depth=1
	s_or_b32 exec_lo, exec_lo, s21
	v_mov_b32_e32 v2, 24
	v_lshlrev_b32_e32 v3, 20, v28
	v_lshl_add_u32 v1, v1, 23, 0x3c000000
	v_lshlrev_b32_sdwa v2, v2, v0 dst_sel:DWORD dst_unused:UNUSED_PAD src0_sel:DWORD src1_sel:WORD_1
	v_and_b32_e32 v2, 0x80000000, v2
	v_or3_b32 v28, v3, v2, v1
	v_mov_b32_e32 v10, v28
	v_mov_b32_e32 v11, v29
.LBB210_744:                            ;   in Loop: Header=BB210_15 Depth=1
	s_or_b32 exec_lo, exec_lo, s20
.LBB210_745:                            ;   in Loop: Header=BB210_15 Depth=1
	s_or_b32 exec_lo, exec_lo, s19
.LBB210_746:                            ;   in Loop: Header=BB210_15 Depth=1
	s_or_b32 exec_lo, exec_lo, s18
	s_mov_b32 s18, exec_lo
	v_cmpx_lt_u32_e32 0xffffff, v0
	s_cbranch_execz .LBB210_754
; %bb.747:                              ;   in Loop: Header=BB210_15 Depth=1
	v_mov_b32_e32 v18, v29
	v_mov_b32_e32 v1, 0x80
	;; [unrolled: 1-line block ×4, first 2 shown]
	v_cmp_ne_u32_sdwa s5, v0, v1 src0_sel:BYTE_3 src1_sel:DWORD
	s_and_saveexec_b32 s19, s5
	s_cbranch_execz .LBB210_753
; %bb.748:                              ;   in Loop: Header=BB210_15 Depth=1
	v_mov_b32_e32 v42, v29
	v_bfe_u32 v2, v0, 24, 7
	s_mov_b32 s20, exec_lo
	v_mov_b32_e32 v40, v42
	v_mov_b32_e32 v41, v43
	v_cmpx_ne_u32_e32 0x7f, v2
	s_cbranch_execz .LBB210_752
; %bb.749:                              ;   in Loop: Header=BB210_15 Depth=1
	v_mov_b32_e32 v1, 7
	s_mov_b32 s21, exec_lo
	v_and_b32_sdwa v28, v0, v1 dst_sel:DWORD dst_unused:UNUSED_PAD src0_sel:BYTE_3 src1_sel:DWORD
	v_lshrrev_b32_e32 v1, 3, v2
	v_cmpx_gt_u32_e32 8, v2
; %bb.750:                              ;   in Loop: Header=BB210_15 Depth=1
	v_ffbh_u32_e32 v1, v28
	v_min_u32_e32 v1, 32, v1
	v_subrev_nc_u32_e32 v2, 28, v1
	v_sub_nc_u32_e32 v1, 29, v1
	v_lshlrev_b64 v[2:3], v2, v[28:29]
	v_and_b32_e32 v28, 7, v2
; %bb.751:                              ;   in Loop: Header=BB210_15 Depth=1
	s_or_b32 exec_lo, exec_lo, s21
	v_mov_b32_e32 v2, 24
	v_lshl_add_u32 v1, v1, 23, 0x3c000000
	v_mov_b32_e32 v40, v29
	v_lshlrev_b32_sdwa v0, v2, v0 dst_sel:DWORD dst_unused:UNUSED_PAD src0_sel:DWORD src1_sel:BYTE_3
	v_lshlrev_b32_e32 v2, 20, v28
	v_and_b32_e32 v0, 0x80000000, v0
	v_or3_b32 v41, v2, v0, v1
.LBB210_752:                            ;   in Loop: Header=BB210_15 Depth=1
	s_or_b32 exec_lo, exec_lo, s20
.LBB210_753:                            ;   in Loop: Header=BB210_15 Depth=1
	s_or_b32 exec_lo, exec_lo, s19
.LBB210_754:                            ;   in Loop: Header=BB210_15 Depth=1
	s_or_b32 exec_lo, exec_lo, s18
	flat_load_dword v0, v[34:35] offset:524
	v_mov_b32_e32 v60, 0
	v_mov_b32_e32 v24, 0
	v_mov_b32_e32 v61, 0
	v_mov_b32_e32 v25, 0
	s_waitcnt vmcnt(0) lgkmcnt(0)
	v_cmp_ne_u16_sdwa s5, v0, v29 src0_sel:BYTE_0 src1_sel:DWORD
	s_and_saveexec_b32 s18, s5
	s_cbranch_execz .LBB210_762
; %bb.755:                              ;   in Loop: Header=BB210_15 Depth=1
	v_mov_b32_e32 v1, 0x80
	v_bfrev_b32_e32 v24, 1
	v_mov_b32_e32 v25, 0
	v_cmp_ne_u16_sdwa s5, v0, v1 src0_sel:BYTE_0 src1_sel:DWORD
	s_and_saveexec_b32 s19, s5
	s_cbranch_execz .LBB210_761
; %bb.756:                              ;   in Loop: Header=BB210_15 Depth=1
	v_mov_b32_e32 v24, 0x7f800001
	v_and_b32_e32 v2, 0x7f, v0
	v_mov_b32_e32 v25, 0
	s_mov_b32 s20, exec_lo
	v_cmpx_ne_u32_e32 0x7f, v2
	s_cbranch_execz .LBB210_760
; %bb.757:                              ;   in Loop: Header=BB210_15 Depth=1
	v_and_b32_e32 v28, 7, v0
	v_lshrrev_b32_e32 v1, 3, v2
	s_mov_b32 s21, exec_lo
	v_cmpx_gt_u32_e32 8, v2
; %bb.758:                              ;   in Loop: Header=BB210_15 Depth=1
	v_ffbh_u32_e32 v1, v28
	v_min_u32_e32 v1, 32, v1
	v_subrev_nc_u32_e32 v2, 28, v1
	v_sub_nc_u32_e32 v1, 29, v1
	v_lshlrev_b64 v[2:3], v2, v[28:29]
	v_and_b32_e32 v28, 7, v2
; %bb.759:                              ;   in Loop: Header=BB210_15 Depth=1
	s_or_b32 exec_lo, exec_lo, s21
	v_lshlrev_b32_e32 v2, 24, v0
	v_lshlrev_b32_e32 v3, 20, v28
	v_lshl_add_u32 v1, v1, 23, 0x3c000000
	v_and_b32_e32 v2, 0x80000000, v2
	v_or3_b32 v28, v3, v2, v1
	v_mov_b32_e32 v24, v28
	v_mov_b32_e32 v25, v29
.LBB210_760:                            ;   in Loop: Header=BB210_15 Depth=1
	s_or_b32 exec_lo, exec_lo, s20
.LBB210_761:                            ;   in Loop: Header=BB210_15 Depth=1
	s_or_b32 exec_lo, exec_lo, s19
.LBB210_762:                            ;   in Loop: Header=BB210_15 Depth=1
	s_or_b32 exec_lo, exec_lo, s18
	v_cmp_ne_u16_sdwa s5, v0, v29 src0_sel:BYTE_1 src1_sel:DWORD
	s_and_saveexec_b32 s18, s5
	s_cbranch_execz .LBB210_770
; %bb.763:                              ;   in Loop: Header=BB210_15 Depth=1
	v_mov_b32_e32 v18, v29
	v_mov_b32_e32 v1, 0x80
	;; [unrolled: 1-line block ×4, first 2 shown]
	v_cmp_ne_u16_sdwa s5, v0, v1 src0_sel:BYTE_1 src1_sel:DWORD
	s_and_saveexec_b32 s19, s5
	s_cbranch_execz .LBB210_769
; %bb.764:                              ;   in Loop: Header=BB210_15 Depth=1
	v_mov_b32_e32 v1, 0xffff
	v_mov_b32_e32 v42, v29
	;; [unrolled: 1-line block ×3, first 2 shown]
	s_mov_b32 s20, exec_lo
	v_and_b32_sdwa v1, v1, v0 dst_sel:DWORD dst_unused:UNUSED_PAD src0_sel:DWORD src1_sel:BYTE_1
	v_mov_b32_e32 v60, v42
	v_and_b32_e32 v2, 0x7f, v1
	v_cmpx_ne_u32_e32 0x7f, v2
	s_cbranch_execz .LBB210_768
; %bb.765:                              ;   in Loop: Header=BB210_15 Depth=1
	v_and_b32_e32 v28, 7, v1
	v_lshrrev_b32_e32 v1, 3, v2
	s_mov_b32 s21, exec_lo
	v_cmpx_gt_u32_e32 8, v2
; %bb.766:                              ;   in Loop: Header=BB210_15 Depth=1
	v_ffbh_u32_e32 v1, v28
	v_min_u32_e32 v1, 32, v1
	v_subrev_nc_u32_e32 v2, 28, v1
	v_sub_nc_u32_e32 v1, 29, v1
	v_lshlrev_b64 v[2:3], v2, v[28:29]
	v_and_b32_e32 v28, 7, v2
; %bb.767:                              ;   in Loop: Header=BB210_15 Depth=1
	s_or_b32 exec_lo, exec_lo, s21
	v_lshlrev_b32_e32 v2, 16, v0
	v_lshlrev_b32_e32 v3, 20, v28
	v_lshl_add_u32 v1, v1, 23, 0x3c000000
	v_mov_b32_e32 v60, v29
	v_and_b32_e32 v2, 0x80000000, v2
	v_or3_b32 v61, v3, v2, v1
.LBB210_768:                            ;   in Loop: Header=BB210_15 Depth=1
	s_or_b32 exec_lo, exec_lo, s20
.LBB210_769:                            ;   in Loop: Header=BB210_15 Depth=1
	s_or_b32 exec_lo, exec_lo, s19
.LBB210_770:                            ;   in Loop: Header=BB210_15 Depth=1
	s_or_b32 exec_lo, exec_lo, s18
	v_mov_b32_e32 v1, 0xff
	v_mov_b32_e32 v46, 0
	;; [unrolled: 1-line block ×5, first 2 shown]
	v_and_b32_sdwa v1, v0, v1 dst_sel:DWORD dst_unused:UNUSED_PAD src0_sel:WORD_1 src1_sel:DWORD
	s_mov_b32 s18, exec_lo
	v_cmpx_ne_u16_e32 0, v1
	s_cbranch_execz .LBB210_778
; %bb.771:                              ;   in Loop: Header=BB210_15 Depth=1
	v_bfrev_b32_e32 v74, 1
	v_mov_b32_e32 v75, 0
	s_mov_b32 s19, exec_lo
	v_cmpx_ne_u16_e32 0x80, v1
	s_cbranch_execz .LBB210_777
; %bb.772:                              ;   in Loop: Header=BB210_15 Depth=1
	v_mov_b32_e32 v74, 0x7f800001
	v_bfe_u32 v2, v0, 16, 7
	v_mov_b32_e32 v75, 0
	s_mov_b32 s20, exec_lo
	v_cmpx_ne_u32_e32 0x7f, v2
	s_cbranch_execz .LBB210_776
; %bb.773:                              ;   in Loop: Header=BB210_15 Depth=1
	v_mov_b32_e32 v1, 7
	s_mov_b32 s21, exec_lo
	v_and_b32_sdwa v28, v0, v1 dst_sel:DWORD dst_unused:UNUSED_PAD src0_sel:WORD_1 src1_sel:DWORD
	v_lshrrev_b32_e32 v1, 3, v2
	v_cmpx_gt_u32_e32 8, v2
; %bb.774:                              ;   in Loop: Header=BB210_15 Depth=1
	v_ffbh_u32_e32 v1, v28
	v_min_u32_e32 v1, 32, v1
	v_subrev_nc_u32_e32 v2, 28, v1
	v_sub_nc_u32_e32 v1, 29, v1
	v_lshlrev_b64 v[2:3], v2, v[28:29]
	v_and_b32_e32 v28, 7, v2
; %bb.775:                              ;   in Loop: Header=BB210_15 Depth=1
	s_or_b32 exec_lo, exec_lo, s21
	v_mov_b32_e32 v2, 24
	v_lshlrev_b32_e32 v3, 20, v28
	v_lshl_add_u32 v1, v1, 23, 0x3c000000
	v_lshlrev_b32_sdwa v2, v2, v0 dst_sel:DWORD dst_unused:UNUSED_PAD src0_sel:DWORD src1_sel:WORD_1
	v_and_b32_e32 v2, 0x80000000, v2
	v_or3_b32 v28, v3, v2, v1
	v_mov_b32_e32 v75, v29
	v_mov_b32_e32 v74, v28
.LBB210_776:                            ;   in Loop: Header=BB210_15 Depth=1
	s_or_b32 exec_lo, exec_lo, s20
.LBB210_777:                            ;   in Loop: Header=BB210_15 Depth=1
	s_or_b32 exec_lo, exec_lo, s19
.LBB210_778:                            ;   in Loop: Header=BB210_15 Depth=1
	s_or_b32 exec_lo, exec_lo, s18
	s_mov_b32 s18, exec_lo
	v_cmpx_lt_u32_e32 0xffffff, v0
	s_cbranch_execz .LBB210_786
; %bb.779:                              ;   in Loop: Header=BB210_15 Depth=1
	v_mov_b32_e32 v18, v29
	v_mov_b32_e32 v1, 0x80
	;; [unrolled: 1-line block ×4, first 2 shown]
	v_cmp_ne_u32_sdwa s5, v0, v1 src0_sel:BYTE_3 src1_sel:DWORD
	s_and_saveexec_b32 s19, s5
	s_cbranch_execz .LBB210_785
; %bb.780:                              ;   in Loop: Header=BB210_15 Depth=1
	v_mov_b32_e32 v42, v29
	v_mov_b32_e32 v47, v43
	v_bfe_u32 v2, v0, 24, 7
	s_mov_b32 s20, exec_lo
	v_mov_b32_e32 v46, v42
	v_cmpx_ne_u32_e32 0x7f, v2
	s_cbranch_execz .LBB210_784
; %bb.781:                              ;   in Loop: Header=BB210_15 Depth=1
	v_mov_b32_e32 v1, 7
	s_mov_b32 s21, exec_lo
	v_and_b32_sdwa v28, v0, v1 dst_sel:DWORD dst_unused:UNUSED_PAD src0_sel:BYTE_3 src1_sel:DWORD
	v_lshrrev_b32_e32 v1, 3, v2
	v_cmpx_gt_u32_e32 8, v2
; %bb.782:                              ;   in Loop: Header=BB210_15 Depth=1
	v_ffbh_u32_e32 v1, v28
	v_min_u32_e32 v1, 32, v1
	v_subrev_nc_u32_e32 v2, 28, v1
	v_sub_nc_u32_e32 v1, 29, v1
	v_lshlrev_b64 v[2:3], v2, v[28:29]
	v_and_b32_e32 v28, 7, v2
; %bb.783:                              ;   in Loop: Header=BB210_15 Depth=1
	s_or_b32 exec_lo, exec_lo, s21
	v_mov_b32_e32 v2, 24
	v_lshl_add_u32 v1, v1, 23, 0x3c000000
	v_mov_b32_e32 v46, v29
	v_lshlrev_b32_sdwa v0, v2, v0 dst_sel:DWORD dst_unused:UNUSED_PAD src0_sel:DWORD src1_sel:BYTE_3
	v_lshlrev_b32_e32 v2, 20, v28
	v_and_b32_e32 v0, 0x80000000, v0
	v_or3_b32 v47, v2, v0, v1
.LBB210_784:                            ;   in Loop: Header=BB210_15 Depth=1
	s_or_b32 exec_lo, exec_lo, s20
.LBB210_785:                            ;   in Loop: Header=BB210_15 Depth=1
	s_or_b32 exec_lo, exec_lo, s19
.LBB210_786:                            ;   in Loop: Header=BB210_15 Depth=1
	s_or_b32 exec_lo, exec_lo, s18
	flat_load_dword v0, v[34:35] offset:1024
	v_mov_b32_e32 v76, 0
	v_mov_b32_e32 v8, 0
	;; [unrolled: 1-line block ×4, first 2 shown]
	s_waitcnt vmcnt(0) lgkmcnt(0)
	v_cmp_ne_u16_sdwa s5, v0, v29 src0_sel:BYTE_0 src1_sel:DWORD
	s_and_saveexec_b32 s18, s5
	s_cbranch_execz .LBB210_794
; %bb.787:                              ;   in Loop: Header=BB210_15 Depth=1
	v_mov_b32_e32 v1, 0x80
	v_bfrev_b32_e32 v8, 1
	v_mov_b32_e32 v9, 0
	v_cmp_ne_u16_sdwa s5, v0, v1 src0_sel:BYTE_0 src1_sel:DWORD
	s_and_saveexec_b32 s19, s5
	s_cbranch_execz .LBB210_793
; %bb.788:                              ;   in Loop: Header=BB210_15 Depth=1
	v_mov_b32_e32 v8, 0x7f800001
	v_and_b32_e32 v2, 0x7f, v0
	v_mov_b32_e32 v9, 0
	s_mov_b32 s20, exec_lo
	v_cmpx_ne_u32_e32 0x7f, v2
	s_cbranch_execz .LBB210_792
; %bb.789:                              ;   in Loop: Header=BB210_15 Depth=1
	v_and_b32_e32 v28, 7, v0
	v_lshrrev_b32_e32 v1, 3, v2
	s_mov_b32 s21, exec_lo
	v_cmpx_gt_u32_e32 8, v2
; %bb.790:                              ;   in Loop: Header=BB210_15 Depth=1
	v_ffbh_u32_e32 v1, v28
	v_min_u32_e32 v1, 32, v1
	v_subrev_nc_u32_e32 v2, 28, v1
	v_sub_nc_u32_e32 v1, 29, v1
	v_lshlrev_b64 v[2:3], v2, v[28:29]
	v_and_b32_e32 v28, 7, v2
; %bb.791:                              ;   in Loop: Header=BB210_15 Depth=1
	s_or_b32 exec_lo, exec_lo, s21
	v_lshlrev_b32_e32 v2, 24, v0
	v_lshlrev_b32_e32 v3, 20, v28
	v_lshl_add_u32 v1, v1, 23, 0x3c000000
	v_and_b32_e32 v2, 0x80000000, v2
	v_or3_b32 v28, v3, v2, v1
	v_mov_b32_e32 v8, v28
	v_mov_b32_e32 v9, v29
.LBB210_792:                            ;   in Loop: Header=BB210_15 Depth=1
	s_or_b32 exec_lo, exec_lo, s20
.LBB210_793:                            ;   in Loop: Header=BB210_15 Depth=1
	s_or_b32 exec_lo, exec_lo, s19
.LBB210_794:                            ;   in Loop: Header=BB210_15 Depth=1
	s_or_b32 exec_lo, exec_lo, s18
	v_cmp_ne_u16_sdwa s5, v0, v29 src0_sel:BYTE_1 src1_sel:DWORD
	s_and_saveexec_b32 s18, s5
	s_cbranch_execz .LBB210_802
; %bb.795:                              ;   in Loop: Header=BB210_15 Depth=1
	v_mov_b32_e32 v18, v29
	v_mov_b32_e32 v1, 0x80
	v_mov_b32_e32 v77, v19
	v_mov_b32_e32 v76, v18
	v_cmp_ne_u16_sdwa s5, v0, v1 src0_sel:BYTE_1 src1_sel:DWORD
	s_and_saveexec_b32 s19, s5
	s_cbranch_execz .LBB210_801
; %bb.796:                              ;   in Loop: Header=BB210_15 Depth=1
	v_mov_b32_e32 v1, 0xffff
	v_mov_b32_e32 v42, v29
	;; [unrolled: 1-line block ×3, first 2 shown]
	s_mov_b32 s20, exec_lo
	v_and_b32_sdwa v1, v1, v0 dst_sel:DWORD dst_unused:UNUSED_PAD src0_sel:DWORD src1_sel:BYTE_1
	v_mov_b32_e32 v76, v42
	v_and_b32_e32 v2, 0x7f, v1
	v_cmpx_ne_u32_e32 0x7f, v2
	s_cbranch_execz .LBB210_800
; %bb.797:                              ;   in Loop: Header=BB210_15 Depth=1
	v_and_b32_e32 v28, 7, v1
	v_lshrrev_b32_e32 v1, 3, v2
	s_mov_b32 s21, exec_lo
	v_cmpx_gt_u32_e32 8, v2
; %bb.798:                              ;   in Loop: Header=BB210_15 Depth=1
	v_ffbh_u32_e32 v1, v28
	v_min_u32_e32 v1, 32, v1
	v_subrev_nc_u32_e32 v2, 28, v1
	v_sub_nc_u32_e32 v1, 29, v1
	v_lshlrev_b64 v[2:3], v2, v[28:29]
	v_and_b32_e32 v28, 7, v2
; %bb.799:                              ;   in Loop: Header=BB210_15 Depth=1
	s_or_b32 exec_lo, exec_lo, s21
	v_lshlrev_b32_e32 v2, 16, v0
	v_lshlrev_b32_e32 v3, 20, v28
	v_lshl_add_u32 v1, v1, 23, 0x3c000000
	v_mov_b32_e32 v76, v29
	v_and_b32_e32 v2, 0x80000000, v2
	v_or3_b32 v77, v3, v2, v1
.LBB210_800:                            ;   in Loop: Header=BB210_15 Depth=1
	s_or_b32 exec_lo, exec_lo, s20
.LBB210_801:                            ;   in Loop: Header=BB210_15 Depth=1
	s_or_b32 exec_lo, exec_lo, s19
.LBB210_802:                            ;   in Loop: Header=BB210_15 Depth=1
	s_or_b32 exec_lo, exec_lo, s18
	v_mov_b32_e32 v1, 0xff
	v_mov_b32_e32 v62, 0
	;; [unrolled: 1-line block ×5, first 2 shown]
	v_and_b32_sdwa v1, v0, v1 dst_sel:DWORD dst_unused:UNUSED_PAD src0_sel:WORD_1 src1_sel:DWORD
	s_mov_b32 s18, exec_lo
	v_cmpx_ne_u16_e32 0, v1
	s_cbranch_execz .LBB210_810
; %bb.803:                              ;   in Loop: Header=BB210_15 Depth=1
	v_bfrev_b32_e32 v90, 1
	v_mov_b32_e32 v91, 0
	s_mov_b32 s19, exec_lo
	v_cmpx_ne_u16_e32 0x80, v1
	s_cbranch_execz .LBB210_809
; %bb.804:                              ;   in Loop: Header=BB210_15 Depth=1
	v_mov_b32_e32 v90, 0x7f800001
	v_bfe_u32 v2, v0, 16, 7
	v_mov_b32_e32 v91, 0
	s_mov_b32 s20, exec_lo
	v_cmpx_ne_u32_e32 0x7f, v2
	s_cbranch_execz .LBB210_808
; %bb.805:                              ;   in Loop: Header=BB210_15 Depth=1
	v_mov_b32_e32 v1, 7
	s_mov_b32 s21, exec_lo
	v_and_b32_sdwa v28, v0, v1 dst_sel:DWORD dst_unused:UNUSED_PAD src0_sel:WORD_1 src1_sel:DWORD
	v_lshrrev_b32_e32 v1, 3, v2
	v_cmpx_gt_u32_e32 8, v2
; %bb.806:                              ;   in Loop: Header=BB210_15 Depth=1
	v_ffbh_u32_e32 v1, v28
	v_min_u32_e32 v1, 32, v1
	v_subrev_nc_u32_e32 v2, 28, v1
	v_sub_nc_u32_e32 v1, 29, v1
	v_lshlrev_b64 v[2:3], v2, v[28:29]
	v_and_b32_e32 v28, 7, v2
; %bb.807:                              ;   in Loop: Header=BB210_15 Depth=1
	s_or_b32 exec_lo, exec_lo, s21
	v_mov_b32_e32 v2, 24
	v_lshlrev_b32_e32 v3, 20, v28
	v_lshl_add_u32 v1, v1, 23, 0x3c000000
	v_lshlrev_b32_sdwa v2, v2, v0 dst_sel:DWORD dst_unused:UNUSED_PAD src0_sel:DWORD src1_sel:WORD_1
	v_and_b32_e32 v2, 0x80000000, v2
	v_or3_b32 v28, v3, v2, v1
	v_mov_b32_e32 v91, v29
	v_mov_b32_e32 v90, v28
.LBB210_808:                            ;   in Loop: Header=BB210_15 Depth=1
	s_or_b32 exec_lo, exec_lo, s20
.LBB210_809:                            ;   in Loop: Header=BB210_15 Depth=1
	s_or_b32 exec_lo, exec_lo, s19
.LBB210_810:                            ;   in Loop: Header=BB210_15 Depth=1
	s_or_b32 exec_lo, exec_lo, s18
	s_mov_b32 s18, exec_lo
	v_cmpx_lt_u32_e32 0xffffff, v0
	s_cbranch_execz .LBB210_818
; %bb.811:                              ;   in Loop: Header=BB210_15 Depth=1
	v_mov_b32_e32 v18, v29
	v_mov_b32_e32 v1, 0x80
	;; [unrolled: 1-line block ×4, first 2 shown]
	v_cmp_ne_u32_sdwa s5, v0, v1 src0_sel:BYTE_3 src1_sel:DWORD
	s_and_saveexec_b32 s19, s5
	s_cbranch_execz .LBB210_817
; %bb.812:                              ;   in Loop: Header=BB210_15 Depth=1
	v_mov_b32_e32 v42, v29
	v_mov_b32_e32 v63, v43
	v_bfe_u32 v2, v0, 24, 7
	s_mov_b32 s20, exec_lo
	v_mov_b32_e32 v62, v42
	v_cmpx_ne_u32_e32 0x7f, v2
	s_cbranch_execz .LBB210_816
; %bb.813:                              ;   in Loop: Header=BB210_15 Depth=1
	v_mov_b32_e32 v1, 7
	s_mov_b32 s21, exec_lo
	v_and_b32_sdwa v28, v0, v1 dst_sel:DWORD dst_unused:UNUSED_PAD src0_sel:BYTE_3 src1_sel:DWORD
	v_lshrrev_b32_e32 v1, 3, v2
	v_cmpx_gt_u32_e32 8, v2
; %bb.814:                              ;   in Loop: Header=BB210_15 Depth=1
	v_ffbh_u32_e32 v1, v28
	v_min_u32_e32 v1, 32, v1
	v_subrev_nc_u32_e32 v2, 28, v1
	v_sub_nc_u32_e32 v1, 29, v1
	v_lshlrev_b64 v[2:3], v2, v[28:29]
	v_and_b32_e32 v28, 7, v2
; %bb.815:                              ;   in Loop: Header=BB210_15 Depth=1
	s_or_b32 exec_lo, exec_lo, s21
	v_mov_b32_e32 v2, 24
	v_lshl_add_u32 v1, v1, 23, 0x3c000000
	v_mov_b32_e32 v62, v29
	v_lshlrev_b32_sdwa v0, v2, v0 dst_sel:DWORD dst_unused:UNUSED_PAD src0_sel:DWORD src1_sel:BYTE_3
	v_lshlrev_b32_e32 v2, 20, v28
	v_and_b32_e32 v0, 0x80000000, v0
	v_or3_b32 v63, v2, v0, v1
.LBB210_816:                            ;   in Loop: Header=BB210_15 Depth=1
	s_or_b32 exec_lo, exec_lo, s20
.LBB210_817:                            ;   in Loop: Header=BB210_15 Depth=1
	s_or_b32 exec_lo, exec_lo, s19
.LBB210_818:                            ;   in Loop: Header=BB210_15 Depth=1
	s_or_b32 exec_lo, exec_lo, s18
	flat_load_dword v0, v[34:35] offset:1028
	v_mov_b32_e32 v92, 0
	v_mov_b32_e32 v6, 0
	;; [unrolled: 1-line block ×4, first 2 shown]
	s_waitcnt vmcnt(0) lgkmcnt(0)
	v_cmp_ne_u16_sdwa s5, v0, v29 src0_sel:BYTE_0 src1_sel:DWORD
	s_and_saveexec_b32 s18, s5
	s_cbranch_execz .LBB210_826
; %bb.819:                              ;   in Loop: Header=BB210_15 Depth=1
	v_mov_b32_e32 v1, 0x80
	v_bfrev_b32_e32 v6, 1
	v_mov_b32_e32 v7, 0
	v_cmp_ne_u16_sdwa s5, v0, v1 src0_sel:BYTE_0 src1_sel:DWORD
	s_and_saveexec_b32 s19, s5
	s_cbranch_execz .LBB210_825
; %bb.820:                              ;   in Loop: Header=BB210_15 Depth=1
	v_mov_b32_e32 v6, 0x7f800001
	v_and_b32_e32 v2, 0x7f, v0
	v_mov_b32_e32 v7, 0
	s_mov_b32 s20, exec_lo
	v_cmpx_ne_u32_e32 0x7f, v2
	s_cbranch_execz .LBB210_824
; %bb.821:                              ;   in Loop: Header=BB210_15 Depth=1
	v_and_b32_e32 v28, 7, v0
	v_lshrrev_b32_e32 v1, 3, v2
	s_mov_b32 s21, exec_lo
	v_cmpx_gt_u32_e32 8, v2
; %bb.822:                              ;   in Loop: Header=BB210_15 Depth=1
	v_ffbh_u32_e32 v1, v28
	v_min_u32_e32 v1, 32, v1
	v_subrev_nc_u32_e32 v2, 28, v1
	v_sub_nc_u32_e32 v1, 29, v1
	v_lshlrev_b64 v[2:3], v2, v[28:29]
	v_and_b32_e32 v28, 7, v2
; %bb.823:                              ;   in Loop: Header=BB210_15 Depth=1
	s_or_b32 exec_lo, exec_lo, s21
	v_lshlrev_b32_e32 v2, 24, v0
	v_lshlrev_b32_e32 v3, 20, v28
	v_lshl_add_u32 v1, v1, 23, 0x3c000000
	v_and_b32_e32 v2, 0x80000000, v2
	v_or3_b32 v28, v3, v2, v1
	v_mov_b32_e32 v6, v28
	v_mov_b32_e32 v7, v29
.LBB210_824:                            ;   in Loop: Header=BB210_15 Depth=1
	s_or_b32 exec_lo, exec_lo, s20
.LBB210_825:                            ;   in Loop: Header=BB210_15 Depth=1
	s_or_b32 exec_lo, exec_lo, s19
.LBB210_826:                            ;   in Loop: Header=BB210_15 Depth=1
	s_or_b32 exec_lo, exec_lo, s18
	v_cmp_ne_u16_sdwa s5, v0, v29 src0_sel:BYTE_1 src1_sel:DWORD
	s_and_saveexec_b32 s18, s5
	s_cbranch_execz .LBB210_834
; %bb.827:                              ;   in Loop: Header=BB210_15 Depth=1
	v_mov_b32_e32 v18, v29
	v_mov_b32_e32 v1, 0x80
	;; [unrolled: 1-line block ×4, first 2 shown]
	v_cmp_ne_u16_sdwa s5, v0, v1 src0_sel:BYTE_1 src1_sel:DWORD
	s_and_saveexec_b32 s19, s5
	s_cbranch_execz .LBB210_833
; %bb.828:                              ;   in Loop: Header=BB210_15 Depth=1
	v_mov_b32_e32 v1, 0xffff
	v_mov_b32_e32 v42, v29
	;; [unrolled: 1-line block ×3, first 2 shown]
	s_mov_b32 s20, exec_lo
	v_and_b32_sdwa v1, v1, v0 dst_sel:DWORD dst_unused:UNUSED_PAD src0_sel:DWORD src1_sel:BYTE_1
	v_mov_b32_e32 v92, v42
	v_and_b32_e32 v2, 0x7f, v1
	v_cmpx_ne_u32_e32 0x7f, v2
	s_cbranch_execz .LBB210_832
; %bb.829:                              ;   in Loop: Header=BB210_15 Depth=1
	v_and_b32_e32 v28, 7, v1
	v_lshrrev_b32_e32 v1, 3, v2
	s_mov_b32 s21, exec_lo
	v_cmpx_gt_u32_e32 8, v2
; %bb.830:                              ;   in Loop: Header=BB210_15 Depth=1
	v_ffbh_u32_e32 v1, v28
	v_min_u32_e32 v1, 32, v1
	v_subrev_nc_u32_e32 v2, 28, v1
	v_sub_nc_u32_e32 v1, 29, v1
	v_lshlrev_b64 v[2:3], v2, v[28:29]
	v_and_b32_e32 v28, 7, v2
; %bb.831:                              ;   in Loop: Header=BB210_15 Depth=1
	s_or_b32 exec_lo, exec_lo, s21
	v_lshlrev_b32_e32 v2, 16, v0
	v_lshlrev_b32_e32 v3, 20, v28
	v_lshl_add_u32 v1, v1, 23, 0x3c000000
	v_mov_b32_e32 v92, v29
	v_and_b32_e32 v2, 0x80000000, v2
	v_or3_b32 v93, v3, v2, v1
.LBB210_832:                            ;   in Loop: Header=BB210_15 Depth=1
	s_or_b32 exec_lo, exec_lo, s20
.LBB210_833:                            ;   in Loop: Header=BB210_15 Depth=1
	s_or_b32 exec_lo, exec_lo, s19
.LBB210_834:                            ;   in Loop: Header=BB210_15 Depth=1
	s_or_b32 exec_lo, exec_lo, s18
	v_mov_b32_e32 v1, 0xff
	v_mov_b32_e32 v78, 0
	;; [unrolled: 1-line block ×5, first 2 shown]
	v_and_b32_sdwa v1, v0, v1 dst_sel:DWORD dst_unused:UNUSED_PAD src0_sel:WORD_1 src1_sel:DWORD
	s_mov_b32 s18, exec_lo
	v_cmpx_ne_u16_e32 0, v1
	s_cbranch_execz .LBB210_842
; %bb.835:                              ;   in Loop: Header=BB210_15 Depth=1
	v_bfrev_b32_e32 v106, 1
	v_mov_b32_e32 v107, 0
	s_mov_b32 s19, exec_lo
	v_cmpx_ne_u16_e32 0x80, v1
	s_cbranch_execz .LBB210_841
; %bb.836:                              ;   in Loop: Header=BB210_15 Depth=1
	v_mov_b32_e32 v106, 0x7f800001
	v_bfe_u32 v2, v0, 16, 7
	v_mov_b32_e32 v107, 0
	s_mov_b32 s20, exec_lo
	v_cmpx_ne_u32_e32 0x7f, v2
	s_cbranch_execz .LBB210_840
; %bb.837:                              ;   in Loop: Header=BB210_15 Depth=1
	v_mov_b32_e32 v1, 7
	s_mov_b32 s21, exec_lo
	v_and_b32_sdwa v28, v0, v1 dst_sel:DWORD dst_unused:UNUSED_PAD src0_sel:WORD_1 src1_sel:DWORD
	v_lshrrev_b32_e32 v1, 3, v2
	v_cmpx_gt_u32_e32 8, v2
; %bb.838:                              ;   in Loop: Header=BB210_15 Depth=1
	v_ffbh_u32_e32 v1, v28
	v_min_u32_e32 v1, 32, v1
	v_subrev_nc_u32_e32 v2, 28, v1
	v_sub_nc_u32_e32 v1, 29, v1
	v_lshlrev_b64 v[2:3], v2, v[28:29]
	v_and_b32_e32 v28, 7, v2
; %bb.839:                              ;   in Loop: Header=BB210_15 Depth=1
	s_or_b32 exec_lo, exec_lo, s21
	v_mov_b32_e32 v2, 24
	v_lshlrev_b32_e32 v3, 20, v28
	v_lshl_add_u32 v1, v1, 23, 0x3c000000
	v_lshlrev_b32_sdwa v2, v2, v0 dst_sel:DWORD dst_unused:UNUSED_PAD src0_sel:DWORD src1_sel:WORD_1
	v_and_b32_e32 v2, 0x80000000, v2
	v_or3_b32 v28, v3, v2, v1
	v_mov_b32_e32 v107, v29
	v_mov_b32_e32 v106, v28
.LBB210_840:                            ;   in Loop: Header=BB210_15 Depth=1
	s_or_b32 exec_lo, exec_lo, s20
.LBB210_841:                            ;   in Loop: Header=BB210_15 Depth=1
	s_or_b32 exec_lo, exec_lo, s19
.LBB210_842:                            ;   in Loop: Header=BB210_15 Depth=1
	s_or_b32 exec_lo, exec_lo, s18
	s_mov_b32 s18, exec_lo
	v_cmpx_lt_u32_e32 0xffffff, v0
	s_cbranch_execz .LBB210_850
; %bb.843:                              ;   in Loop: Header=BB210_15 Depth=1
	v_mov_b32_e32 v18, v29
	v_mov_b32_e32 v1, 0x80
	;; [unrolled: 1-line block ×4, first 2 shown]
	v_cmp_ne_u32_sdwa s5, v0, v1 src0_sel:BYTE_3 src1_sel:DWORD
	s_and_saveexec_b32 s19, s5
	s_cbranch_execz .LBB210_849
; %bb.844:                              ;   in Loop: Header=BB210_15 Depth=1
	v_mov_b32_e32 v42, v29
	v_mov_b32_e32 v79, v43
	v_bfe_u32 v2, v0, 24, 7
	s_mov_b32 s20, exec_lo
	v_mov_b32_e32 v78, v42
	v_cmpx_ne_u32_e32 0x7f, v2
	s_cbranch_execz .LBB210_848
; %bb.845:                              ;   in Loop: Header=BB210_15 Depth=1
	v_mov_b32_e32 v1, 7
	s_mov_b32 s21, exec_lo
	v_and_b32_sdwa v28, v0, v1 dst_sel:DWORD dst_unused:UNUSED_PAD src0_sel:BYTE_3 src1_sel:DWORD
	v_lshrrev_b32_e32 v1, 3, v2
	v_cmpx_gt_u32_e32 8, v2
; %bb.846:                              ;   in Loop: Header=BB210_15 Depth=1
	v_ffbh_u32_e32 v1, v28
	v_min_u32_e32 v1, 32, v1
	v_subrev_nc_u32_e32 v2, 28, v1
	v_sub_nc_u32_e32 v1, 29, v1
	v_lshlrev_b64 v[2:3], v2, v[28:29]
	v_and_b32_e32 v28, 7, v2
; %bb.847:                              ;   in Loop: Header=BB210_15 Depth=1
	s_or_b32 exec_lo, exec_lo, s21
	v_mov_b32_e32 v2, 24
	v_lshl_add_u32 v1, v1, 23, 0x3c000000
	v_mov_b32_e32 v78, v29
	v_lshlrev_b32_sdwa v0, v2, v0 dst_sel:DWORD dst_unused:UNUSED_PAD src0_sel:DWORD src1_sel:BYTE_3
	v_lshlrev_b32_e32 v2, 20, v28
	v_and_b32_e32 v0, 0x80000000, v0
	v_or3_b32 v79, v2, v0, v1
.LBB210_848:                            ;   in Loop: Header=BB210_15 Depth=1
	s_or_b32 exec_lo, exec_lo, s20
.LBB210_849:                            ;   in Loop: Header=BB210_15 Depth=1
	s_or_b32 exec_lo, exec_lo, s19
.LBB210_850:                            ;   in Loop: Header=BB210_15 Depth=1
	s_or_b32 exec_lo, exec_lo, s18
	flat_load_dword v0, v[34:35] offset:1032
	v_mov_b32_e32 v108, 0
	v_mov_b32_e32 v88, 0
	;; [unrolled: 1-line block ×4, first 2 shown]
	s_waitcnt vmcnt(0) lgkmcnt(0)
	v_cmp_ne_u16_sdwa s5, v0, v29 src0_sel:BYTE_0 src1_sel:DWORD
	s_and_saveexec_b32 s18, s5
	s_cbranch_execz .LBB210_858
; %bb.851:                              ;   in Loop: Header=BB210_15 Depth=1
	v_mov_b32_e32 v1, 0x80
	v_bfrev_b32_e32 v88, 1
	v_mov_b32_e32 v89, 0
	v_cmp_ne_u16_sdwa s5, v0, v1 src0_sel:BYTE_0 src1_sel:DWORD
	s_and_saveexec_b32 s19, s5
	s_cbranch_execz .LBB210_857
; %bb.852:                              ;   in Loop: Header=BB210_15 Depth=1
	v_mov_b32_e32 v88, 0x7f800001
	v_and_b32_e32 v2, 0x7f, v0
	v_mov_b32_e32 v89, 0
	s_mov_b32 s20, exec_lo
	v_cmpx_ne_u32_e32 0x7f, v2
	s_cbranch_execz .LBB210_856
; %bb.853:                              ;   in Loop: Header=BB210_15 Depth=1
	v_and_b32_e32 v28, 7, v0
	v_lshrrev_b32_e32 v1, 3, v2
	s_mov_b32 s21, exec_lo
	v_cmpx_gt_u32_e32 8, v2
; %bb.854:                              ;   in Loop: Header=BB210_15 Depth=1
	v_ffbh_u32_e32 v1, v28
	v_min_u32_e32 v1, 32, v1
	v_subrev_nc_u32_e32 v2, 28, v1
	v_sub_nc_u32_e32 v1, 29, v1
	v_lshlrev_b64 v[2:3], v2, v[28:29]
	v_and_b32_e32 v28, 7, v2
; %bb.855:                              ;   in Loop: Header=BB210_15 Depth=1
	s_or_b32 exec_lo, exec_lo, s21
	v_lshlrev_b32_e32 v2, 24, v0
	v_lshlrev_b32_e32 v3, 20, v28
	v_lshl_add_u32 v1, v1, 23, 0x3c000000
	v_and_b32_e32 v2, 0x80000000, v2
	v_or3_b32 v28, v3, v2, v1
	v_mov_b32_e32 v89, v29
	v_mov_b32_e32 v88, v28
.LBB210_856:                            ;   in Loop: Header=BB210_15 Depth=1
	s_or_b32 exec_lo, exec_lo, s20
.LBB210_857:                            ;   in Loop: Header=BB210_15 Depth=1
	s_or_b32 exec_lo, exec_lo, s19
.LBB210_858:                            ;   in Loop: Header=BB210_15 Depth=1
	s_or_b32 exec_lo, exec_lo, s18
	v_cmp_ne_u16_sdwa s5, v0, v29 src0_sel:BYTE_1 src1_sel:DWORD
	s_and_saveexec_b32 s18, s5
	s_cbranch_execz .LBB210_866
; %bb.859:                              ;   in Loop: Header=BB210_15 Depth=1
	v_mov_b32_e32 v18, v29
	v_mov_b32_e32 v1, 0x80
	;; [unrolled: 1-line block ×4, first 2 shown]
	v_cmp_ne_u16_sdwa s5, v0, v1 src0_sel:BYTE_1 src1_sel:DWORD
	s_and_saveexec_b32 s19, s5
	s_cbranch_execz .LBB210_865
; %bb.860:                              ;   in Loop: Header=BB210_15 Depth=1
	v_mov_b32_e32 v1, 0xffff
	v_mov_b32_e32 v42, v29
	;; [unrolled: 1-line block ×3, first 2 shown]
	s_mov_b32 s20, exec_lo
	v_and_b32_sdwa v1, v1, v0 dst_sel:DWORD dst_unused:UNUSED_PAD src0_sel:DWORD src1_sel:BYTE_1
	v_mov_b32_e32 v108, v42
	v_and_b32_e32 v2, 0x7f, v1
	v_cmpx_ne_u32_e32 0x7f, v2
	s_cbranch_execz .LBB210_864
; %bb.861:                              ;   in Loop: Header=BB210_15 Depth=1
	v_and_b32_e32 v28, 7, v1
	v_lshrrev_b32_e32 v1, 3, v2
	s_mov_b32 s21, exec_lo
	v_cmpx_gt_u32_e32 8, v2
; %bb.862:                              ;   in Loop: Header=BB210_15 Depth=1
	v_ffbh_u32_e32 v1, v28
	v_min_u32_e32 v1, 32, v1
	v_subrev_nc_u32_e32 v2, 28, v1
	v_sub_nc_u32_e32 v1, 29, v1
	v_lshlrev_b64 v[2:3], v2, v[28:29]
	v_and_b32_e32 v28, 7, v2
; %bb.863:                              ;   in Loop: Header=BB210_15 Depth=1
	s_or_b32 exec_lo, exec_lo, s21
	v_lshlrev_b32_e32 v2, 16, v0
	v_lshlrev_b32_e32 v3, 20, v28
	v_lshl_add_u32 v1, v1, 23, 0x3c000000
	v_mov_b32_e32 v108, v29
	v_and_b32_e32 v2, 0x80000000, v2
	v_or3_b32 v109, v3, v2, v1
.LBB210_864:                            ;   in Loop: Header=BB210_15 Depth=1
	s_or_b32 exec_lo, exec_lo, s20
.LBB210_865:                            ;   in Loop: Header=BB210_15 Depth=1
	s_or_b32 exec_lo, exec_lo, s19
.LBB210_866:                            ;   in Loop: Header=BB210_15 Depth=1
	s_or_b32 exec_lo, exec_lo, s18
	v_mov_b32_e32 v1, 0xff
	v_mov_b32_e32 v94, 0
	v_mov_b32_e32 v122, 0
	v_mov_b32_e32 v95, 0
	v_mov_b32_e32 v123, 0
	v_and_b32_sdwa v1, v0, v1 dst_sel:DWORD dst_unused:UNUSED_PAD src0_sel:WORD_1 src1_sel:DWORD
	s_mov_b32 s18, exec_lo
	v_cmpx_ne_u16_e32 0, v1
	s_cbranch_execz .LBB210_874
; %bb.867:                              ;   in Loop: Header=BB210_15 Depth=1
	v_bfrev_b32_e32 v122, 1
	v_mov_b32_e32 v123, 0
	s_mov_b32 s19, exec_lo
	v_cmpx_ne_u16_e32 0x80, v1
	s_cbranch_execz .LBB210_873
; %bb.868:                              ;   in Loop: Header=BB210_15 Depth=1
	v_mov_b32_e32 v122, 0x7f800001
	v_bfe_u32 v2, v0, 16, 7
	v_mov_b32_e32 v123, 0
	s_mov_b32 s20, exec_lo
	v_cmpx_ne_u32_e32 0x7f, v2
	s_cbranch_execz .LBB210_872
; %bb.869:                              ;   in Loop: Header=BB210_15 Depth=1
	v_mov_b32_e32 v1, 7
	s_mov_b32 s21, exec_lo
	v_and_b32_sdwa v28, v0, v1 dst_sel:DWORD dst_unused:UNUSED_PAD src0_sel:WORD_1 src1_sel:DWORD
	v_lshrrev_b32_e32 v1, 3, v2
	v_cmpx_gt_u32_e32 8, v2
; %bb.870:                              ;   in Loop: Header=BB210_15 Depth=1
	v_ffbh_u32_e32 v1, v28
	v_min_u32_e32 v1, 32, v1
	v_subrev_nc_u32_e32 v2, 28, v1
	v_sub_nc_u32_e32 v1, 29, v1
	v_lshlrev_b64 v[2:3], v2, v[28:29]
	v_and_b32_e32 v28, 7, v2
; %bb.871:                              ;   in Loop: Header=BB210_15 Depth=1
	s_or_b32 exec_lo, exec_lo, s21
	v_mov_b32_e32 v2, 24
	v_lshlrev_b32_e32 v3, 20, v28
	v_lshl_add_u32 v1, v1, 23, 0x3c000000
	v_lshlrev_b32_sdwa v2, v2, v0 dst_sel:DWORD dst_unused:UNUSED_PAD src0_sel:DWORD src1_sel:WORD_1
	v_and_b32_e32 v2, 0x80000000, v2
	v_or3_b32 v28, v3, v2, v1
	v_mov_b32_e32 v123, v29
	v_mov_b32_e32 v122, v28
.LBB210_872:                            ;   in Loop: Header=BB210_15 Depth=1
	s_or_b32 exec_lo, exec_lo, s20
.LBB210_873:                            ;   in Loop: Header=BB210_15 Depth=1
	s_or_b32 exec_lo, exec_lo, s19
.LBB210_874:                            ;   in Loop: Header=BB210_15 Depth=1
	s_or_b32 exec_lo, exec_lo, s18
	s_mov_b32 s18, exec_lo
	v_cmpx_lt_u32_e32 0xffffff, v0
	s_cbranch_execz .LBB210_882
; %bb.875:                              ;   in Loop: Header=BB210_15 Depth=1
	v_mov_b32_e32 v18, v29
	v_mov_b32_e32 v1, 0x80
	;; [unrolled: 1-line block ×4, first 2 shown]
	v_cmp_ne_u32_sdwa s5, v0, v1 src0_sel:BYTE_3 src1_sel:DWORD
	s_and_saveexec_b32 s19, s5
	s_cbranch_execz .LBB210_881
; %bb.876:                              ;   in Loop: Header=BB210_15 Depth=1
	v_mov_b32_e32 v42, v29
	v_mov_b32_e32 v95, v43
	v_bfe_u32 v2, v0, 24, 7
	s_mov_b32 s20, exec_lo
	v_mov_b32_e32 v94, v42
	v_cmpx_ne_u32_e32 0x7f, v2
	s_cbranch_execz .LBB210_880
; %bb.877:                              ;   in Loop: Header=BB210_15 Depth=1
	v_mov_b32_e32 v1, 7
	s_mov_b32 s21, exec_lo
	v_and_b32_sdwa v28, v0, v1 dst_sel:DWORD dst_unused:UNUSED_PAD src0_sel:BYTE_3 src1_sel:DWORD
	v_lshrrev_b32_e32 v1, 3, v2
	v_cmpx_gt_u32_e32 8, v2
; %bb.878:                              ;   in Loop: Header=BB210_15 Depth=1
	v_ffbh_u32_e32 v1, v28
	v_min_u32_e32 v1, 32, v1
	v_subrev_nc_u32_e32 v2, 28, v1
	v_sub_nc_u32_e32 v1, 29, v1
	v_lshlrev_b64 v[2:3], v2, v[28:29]
	v_and_b32_e32 v28, 7, v2
; %bb.879:                              ;   in Loop: Header=BB210_15 Depth=1
	s_or_b32 exec_lo, exec_lo, s21
	v_mov_b32_e32 v2, 24
	v_lshl_add_u32 v1, v1, 23, 0x3c000000
	v_mov_b32_e32 v94, v29
	v_lshlrev_b32_sdwa v0, v2, v0 dst_sel:DWORD dst_unused:UNUSED_PAD src0_sel:DWORD src1_sel:BYTE_3
	v_lshlrev_b32_e32 v2, 20, v28
	v_and_b32_e32 v0, 0x80000000, v0
	v_or3_b32 v95, v2, v0, v1
.LBB210_880:                            ;   in Loop: Header=BB210_15 Depth=1
	s_or_b32 exec_lo, exec_lo, s20
.LBB210_881:                            ;   in Loop: Header=BB210_15 Depth=1
	s_or_b32 exec_lo, exec_lo, s19
.LBB210_882:                            ;   in Loop: Header=BB210_15 Depth=1
	s_or_b32 exec_lo, exec_lo, s18
	flat_load_dword v0, v[34:35] offset:1036
	v_mov_b32_e32 v20, 0
	v_mov_b32_e32 v104, 0
	;; [unrolled: 1-line block ×4, first 2 shown]
	s_waitcnt vmcnt(0) lgkmcnt(0)
	v_cmp_ne_u16_sdwa s5, v0, v29 src0_sel:BYTE_0 src1_sel:DWORD
	s_and_saveexec_b32 s18, s5
	s_cbranch_execz .LBB210_890
; %bb.883:                              ;   in Loop: Header=BB210_15 Depth=1
	v_mov_b32_e32 v1, 0x80
	v_bfrev_b32_e32 v104, 1
	v_mov_b32_e32 v105, 0
	v_cmp_ne_u16_sdwa s5, v0, v1 src0_sel:BYTE_0 src1_sel:DWORD
	s_and_saveexec_b32 s19, s5
	s_cbranch_execz .LBB210_889
; %bb.884:                              ;   in Loop: Header=BB210_15 Depth=1
	v_mov_b32_e32 v104, 0x7f800001
	v_and_b32_e32 v2, 0x7f, v0
	v_mov_b32_e32 v105, 0
	s_mov_b32 s20, exec_lo
	v_cmpx_ne_u32_e32 0x7f, v2
	s_cbranch_execz .LBB210_888
; %bb.885:                              ;   in Loop: Header=BB210_15 Depth=1
	v_and_b32_e32 v28, 7, v0
	v_lshrrev_b32_e32 v1, 3, v2
	s_mov_b32 s21, exec_lo
	v_cmpx_gt_u32_e32 8, v2
; %bb.886:                              ;   in Loop: Header=BB210_15 Depth=1
	v_ffbh_u32_e32 v1, v28
	v_min_u32_e32 v1, 32, v1
	v_subrev_nc_u32_e32 v2, 28, v1
	v_sub_nc_u32_e32 v1, 29, v1
	v_lshlrev_b64 v[2:3], v2, v[28:29]
	v_and_b32_e32 v28, 7, v2
; %bb.887:                              ;   in Loop: Header=BB210_15 Depth=1
	s_or_b32 exec_lo, exec_lo, s21
	v_lshlrev_b32_e32 v2, 24, v0
	v_lshlrev_b32_e32 v3, 20, v28
	v_lshl_add_u32 v1, v1, 23, 0x3c000000
	v_and_b32_e32 v2, 0x80000000, v2
	v_or3_b32 v28, v3, v2, v1
	v_mov_b32_e32 v105, v29
	v_mov_b32_e32 v104, v28
.LBB210_888:                            ;   in Loop: Header=BB210_15 Depth=1
	s_or_b32 exec_lo, exec_lo, s20
.LBB210_889:                            ;   in Loop: Header=BB210_15 Depth=1
	s_or_b32 exec_lo, exec_lo, s19
.LBB210_890:                            ;   in Loop: Header=BB210_15 Depth=1
	s_or_b32 exec_lo, exec_lo, s18
	v_cmp_ne_u16_sdwa s5, v0, v29 src0_sel:BYTE_1 src1_sel:DWORD
	s_and_saveexec_b32 s18, s5
	s_cbranch_execz .LBB210_898
; %bb.891:                              ;   in Loop: Header=BB210_15 Depth=1
	v_mov_b32_e32 v18, v29
	v_mov_b32_e32 v1, 0x80
	;; [unrolled: 1-line block ×4, first 2 shown]
	v_cmp_ne_u16_sdwa s5, v0, v1 src0_sel:BYTE_1 src1_sel:DWORD
	s_and_saveexec_b32 s19, s5
	s_cbranch_execz .LBB210_897
; %bb.892:                              ;   in Loop: Header=BB210_15 Depth=1
	v_mov_b32_e32 v1, 0xffff
	v_mov_b32_e32 v42, v29
	s_mov_b32 s20, exec_lo
	v_and_b32_sdwa v1, v1, v0 dst_sel:DWORD dst_unused:UNUSED_PAD src0_sel:DWORD src1_sel:BYTE_1
	v_mov_b32_e32 v20, v42
	v_mov_b32_e32 v21, v43
	v_and_b32_e32 v2, 0x7f, v1
	v_cmpx_ne_u32_e32 0x7f, v2
	s_cbranch_execz .LBB210_896
; %bb.893:                              ;   in Loop: Header=BB210_15 Depth=1
	v_and_b32_e32 v28, 7, v1
	v_lshrrev_b32_e32 v1, 3, v2
	s_mov_b32 s21, exec_lo
	v_cmpx_gt_u32_e32 8, v2
; %bb.894:                              ;   in Loop: Header=BB210_15 Depth=1
	v_ffbh_u32_e32 v1, v28
	v_min_u32_e32 v1, 32, v1
	v_subrev_nc_u32_e32 v2, 28, v1
	v_sub_nc_u32_e32 v1, 29, v1
	v_lshlrev_b64 v[2:3], v2, v[28:29]
	v_and_b32_e32 v28, 7, v2
; %bb.895:                              ;   in Loop: Header=BB210_15 Depth=1
	s_or_b32 exec_lo, exec_lo, s21
	v_lshlrev_b32_e32 v2, 16, v0
	v_lshlrev_b32_e32 v3, 20, v28
	v_lshl_add_u32 v1, v1, 23, 0x3c000000
	v_mov_b32_e32 v20, v29
	v_and_b32_e32 v2, 0x80000000, v2
	v_or3_b32 v21, v3, v2, v1
.LBB210_896:                            ;   in Loop: Header=BB210_15 Depth=1
	s_or_b32 exec_lo, exec_lo, s20
.LBB210_897:                            ;   in Loop: Header=BB210_15 Depth=1
	s_or_b32 exec_lo, exec_lo, s19
.LBB210_898:                            ;   in Loop: Header=BB210_15 Depth=1
	s_or_b32 exec_lo, exec_lo, s18
	v_mov_b32_e32 v1, 0xff
	v_mov_b32_e32 v110, 0
	;; [unrolled: 1-line block ×5, first 2 shown]
	v_and_b32_sdwa v1, v0, v1 dst_sel:DWORD dst_unused:UNUSED_PAD src0_sel:WORD_1 src1_sel:DWORD
	s_mov_b32 s18, exec_lo
	v_cmpx_ne_u16_e32 0, v1
	s_cbranch_execz .LBB210_906
; %bb.899:                              ;   in Loop: Header=BB210_15 Depth=1
	v_bfrev_b32_e32 v4, 1
	v_mov_b32_e32 v5, 0
	s_mov_b32 s19, exec_lo
	v_cmpx_ne_u16_e32 0x80, v1
	s_cbranch_execz .LBB210_905
; %bb.900:                              ;   in Loop: Header=BB210_15 Depth=1
	v_mov_b32_e32 v4, 0x7f800001
	v_bfe_u32 v2, v0, 16, 7
	v_mov_b32_e32 v5, 0
	s_mov_b32 s20, exec_lo
	v_cmpx_ne_u32_e32 0x7f, v2
	s_cbranch_execz .LBB210_904
; %bb.901:                              ;   in Loop: Header=BB210_15 Depth=1
	v_mov_b32_e32 v1, 7
	s_mov_b32 s21, exec_lo
	v_and_b32_sdwa v28, v0, v1 dst_sel:DWORD dst_unused:UNUSED_PAD src0_sel:WORD_1 src1_sel:DWORD
	v_lshrrev_b32_e32 v1, 3, v2
	v_cmpx_gt_u32_e32 8, v2
; %bb.902:                              ;   in Loop: Header=BB210_15 Depth=1
	v_ffbh_u32_e32 v1, v28
	v_min_u32_e32 v1, 32, v1
	v_subrev_nc_u32_e32 v2, 28, v1
	v_sub_nc_u32_e32 v1, 29, v1
	v_lshlrev_b64 v[2:3], v2, v[28:29]
	v_and_b32_e32 v28, 7, v2
; %bb.903:                              ;   in Loop: Header=BB210_15 Depth=1
	s_or_b32 exec_lo, exec_lo, s21
	v_mov_b32_e32 v2, 24
	v_lshlrev_b32_e32 v3, 20, v28
	v_lshl_add_u32 v1, v1, 23, 0x3c000000
	v_lshlrev_b32_sdwa v2, v2, v0 dst_sel:DWORD dst_unused:UNUSED_PAD src0_sel:DWORD src1_sel:WORD_1
	v_and_b32_e32 v2, 0x80000000, v2
	v_or3_b32 v28, v3, v2, v1
	v_mov_b32_e32 v4, v28
	v_mov_b32_e32 v5, v29
.LBB210_904:                            ;   in Loop: Header=BB210_15 Depth=1
	s_or_b32 exec_lo, exec_lo, s20
.LBB210_905:                            ;   in Loop: Header=BB210_15 Depth=1
	s_or_b32 exec_lo, exec_lo, s19
.LBB210_906:                            ;   in Loop: Header=BB210_15 Depth=1
	s_or_b32 exec_lo, exec_lo, s18
	s_mov_b32 s18, exec_lo
	v_cmpx_lt_u32_e32 0xffffff, v0
	s_cbranch_execz .LBB210_914
; %bb.907:                              ;   in Loop: Header=BB210_15 Depth=1
	v_mov_b32_e32 v18, v29
	v_mov_b32_e32 v1, 0x80
	;; [unrolled: 1-line block ×4, first 2 shown]
	v_cmp_ne_u32_sdwa s5, v0, v1 src0_sel:BYTE_3 src1_sel:DWORD
	s_and_saveexec_b32 s19, s5
	s_cbranch_execz .LBB210_913
; %bb.908:                              ;   in Loop: Header=BB210_15 Depth=1
	v_mov_b32_e32 v42, v29
	v_mov_b32_e32 v111, v43
	v_bfe_u32 v2, v0, 24, 7
	s_mov_b32 s20, exec_lo
	v_mov_b32_e32 v110, v42
	v_cmpx_ne_u32_e32 0x7f, v2
	s_cbranch_execz .LBB210_912
; %bb.909:                              ;   in Loop: Header=BB210_15 Depth=1
	v_mov_b32_e32 v1, 7
	s_mov_b32 s21, exec_lo
	v_and_b32_sdwa v28, v0, v1 dst_sel:DWORD dst_unused:UNUSED_PAD src0_sel:BYTE_3 src1_sel:DWORD
	v_lshrrev_b32_e32 v1, 3, v2
	v_cmpx_gt_u32_e32 8, v2
; %bb.910:                              ;   in Loop: Header=BB210_15 Depth=1
	v_ffbh_u32_e32 v1, v28
	v_min_u32_e32 v1, 32, v1
	v_subrev_nc_u32_e32 v2, 28, v1
	v_sub_nc_u32_e32 v1, 29, v1
	v_lshlrev_b64 v[2:3], v2, v[28:29]
	v_and_b32_e32 v28, 7, v2
; %bb.911:                              ;   in Loop: Header=BB210_15 Depth=1
	s_or_b32 exec_lo, exec_lo, s21
	v_mov_b32_e32 v2, 24
	v_lshl_add_u32 v1, v1, 23, 0x3c000000
	v_mov_b32_e32 v110, v29
	v_lshlrev_b32_sdwa v0, v2, v0 dst_sel:DWORD dst_unused:UNUSED_PAD src0_sel:DWORD src1_sel:BYTE_3
	v_lshlrev_b32_e32 v2, 20, v28
	v_and_b32_e32 v0, 0x80000000, v0
	v_or3_b32 v111, v2, v0, v1
.LBB210_912:                            ;   in Loop: Header=BB210_15 Depth=1
	s_or_b32 exec_lo, exec_lo, s20
.LBB210_913:                            ;   in Loop: Header=BB210_15 Depth=1
	s_or_b32 exec_lo, exec_lo, s19
.LBB210_914:                            ;   in Loop: Header=BB210_15 Depth=1
	s_or_b32 exec_lo, exec_lo, s18
	flat_load_dword v2, v[34:35] offset:1536
	v_mov_b32_e32 v124, 0
	v_mov_b32_e32 v120, 0
	;; [unrolled: 1-line block ×4, first 2 shown]
	s_waitcnt vmcnt(0) lgkmcnt(0)
	v_cmp_ne_u16_sdwa s5, v2, v29 src0_sel:BYTE_0 src1_sel:DWORD
	s_and_saveexec_b32 s18, s5
	s_cbranch_execz .LBB210_922
; %bb.915:                              ;   in Loop: Header=BB210_15 Depth=1
	v_mov_b32_e32 v0, 0x80
	v_bfrev_b32_e32 v120, 1
	v_mov_b32_e32 v121, 0
	v_cmp_ne_u16_sdwa s5, v2, v0 src0_sel:BYTE_0 src1_sel:DWORD
	s_and_saveexec_b32 s19, s5
	s_cbranch_execz .LBB210_921
; %bb.916:                              ;   in Loop: Header=BB210_15 Depth=1
	v_mov_b32_e32 v120, 0x7f800001
	v_and_b32_e32 v1, 0x7f, v2
	v_mov_b32_e32 v121, 0
	s_mov_b32 s20, exec_lo
	v_cmpx_ne_u32_e32 0x7f, v1
	s_cbranch_execz .LBB210_920
; %bb.917:                              ;   in Loop: Header=BB210_15 Depth=1
	v_and_b32_e32 v28, 7, v2
	v_lshrrev_b32_e32 v0, 3, v1
	s_mov_b32 s21, exec_lo
	v_cmpx_gt_u32_e32 8, v1
; %bb.918:                              ;   in Loop: Header=BB210_15 Depth=1
	v_ffbh_u32_e32 v0, v28
	v_min_u32_e32 v0, 32, v0
	v_subrev_nc_u32_e32 v1, 28, v0
	v_sub_nc_u32_e32 v0, 29, v0
	v_lshlrev_b64 v[26:27], v1, v[28:29]
	v_and_b32_e32 v28, 7, v26
; %bb.919:                              ;   in Loop: Header=BB210_15 Depth=1
	s_or_b32 exec_lo, exec_lo, s21
	v_lshlrev_b32_e32 v1, 24, v2
	v_lshlrev_b32_e32 v3, 20, v28
	v_lshl_add_u32 v0, v0, 23, 0x3c000000
	v_and_b32_e32 v1, 0x80000000, v1
	v_or3_b32 v28, v3, v1, v0
	v_mov_b32_e32 v121, v29
	v_mov_b32_e32 v120, v28
.LBB210_920:                            ;   in Loop: Header=BB210_15 Depth=1
	s_or_b32 exec_lo, exec_lo, s20
.LBB210_921:                            ;   in Loop: Header=BB210_15 Depth=1
	s_or_b32 exec_lo, exec_lo, s19
.LBB210_922:                            ;   in Loop: Header=BB210_15 Depth=1
	s_or_b32 exec_lo, exec_lo, s18
	v_cmp_ne_u16_sdwa s5, v2, v29 src0_sel:BYTE_1 src1_sel:DWORD
	s_and_saveexec_b32 s18, s5
	s_cbranch_execz .LBB210_930
; %bb.923:                              ;   in Loop: Header=BB210_15 Depth=1
	v_mov_b32_e32 v18, v29
	v_mov_b32_e32 v0, 0x80
	;; [unrolled: 1-line block ×4, first 2 shown]
	v_cmp_ne_u16_sdwa s5, v2, v0 src0_sel:BYTE_1 src1_sel:DWORD
	s_and_saveexec_b32 s19, s5
	s_cbranch_execz .LBB210_929
; %bb.924:                              ;   in Loop: Header=BB210_15 Depth=1
	v_mov_b32_e32 v0, 0xffff
	v_mov_b32_e32 v42, v29
	;; [unrolled: 1-line block ×3, first 2 shown]
	s_mov_b32 s20, exec_lo
	v_and_b32_sdwa v0, v0, v2 dst_sel:DWORD dst_unused:UNUSED_PAD src0_sel:DWORD src1_sel:BYTE_1
	v_mov_b32_e32 v124, v42
	v_and_b32_e32 v1, 0x7f, v0
	v_cmpx_ne_u32_e32 0x7f, v1
	s_cbranch_execz .LBB210_928
; %bb.925:                              ;   in Loop: Header=BB210_15 Depth=1
	v_and_b32_e32 v28, 7, v0
	v_lshrrev_b32_e32 v0, 3, v1
	s_mov_b32 s21, exec_lo
	v_cmpx_gt_u32_e32 8, v1
; %bb.926:                              ;   in Loop: Header=BB210_15 Depth=1
	v_ffbh_u32_e32 v0, v28
	v_min_u32_e32 v0, 32, v0
	v_subrev_nc_u32_e32 v1, 28, v0
	v_sub_nc_u32_e32 v0, 29, v0
	v_lshlrev_b64 v[26:27], v1, v[28:29]
	v_and_b32_e32 v28, 7, v26
; %bb.927:                              ;   in Loop: Header=BB210_15 Depth=1
	s_or_b32 exec_lo, exec_lo, s21
	v_lshlrev_b32_e32 v1, 16, v2
	v_lshlrev_b32_e32 v3, 20, v28
	v_lshl_add_u32 v0, v0, 23, 0x3c000000
	v_mov_b32_e32 v124, v29
	v_and_b32_e32 v1, 0x80000000, v1
	v_or3_b32 v125, v3, v1, v0
.LBB210_928:                            ;   in Loop: Header=BB210_15 Depth=1
	s_or_b32 exec_lo, exec_lo, s20
.LBB210_929:                            ;   in Loop: Header=BB210_15 Depth=1
	s_or_b32 exec_lo, exec_lo, s19
.LBB210_930:                            ;   in Loop: Header=BB210_15 Depth=1
	s_or_b32 exec_lo, exec_lo, s18
	v_mov_b32_e32 v0, 0xff
	v_mov_b32_e32 v56, 0
	;; [unrolled: 1-line block ×3, first 2 shown]
	s_mov_b32 s18, exec_lo
	v_and_b32_sdwa v3, v2, v0 dst_sel:DWORD dst_unused:UNUSED_PAD src0_sel:WORD_1 src1_sel:DWORD
	v_mov_b32_e32 v0, 0
	v_mov_b32_e32 v1, 0
	v_cmpx_ne_u16_e32 0, v3
	s_cbranch_execz .LBB210_938
; %bb.931:                              ;   in Loop: Header=BB210_15 Depth=1
	v_bfrev_b32_e32 v56, 1
	v_mov_b32_e32 v57, 0
	s_mov_b32 s19, exec_lo
	v_cmpx_ne_u16_e32 0x80, v3
	s_cbranch_execz .LBB210_937
; %bb.932:                              ;   in Loop: Header=BB210_15 Depth=1
	v_mov_b32_e32 v56, 0x7f800001
	v_bfe_u32 v16, v2, 16, 7
	v_mov_b32_e32 v57, 0
	s_mov_b32 s20, exec_lo
	v_cmpx_ne_u32_e32 0x7f, v16
	s_cbranch_execz .LBB210_936
; %bb.933:                              ;   in Loop: Header=BB210_15 Depth=1
	v_mov_b32_e32 v3, 7
	s_mov_b32 s21, exec_lo
	v_and_b32_sdwa v28, v2, v3 dst_sel:DWORD dst_unused:UNUSED_PAD src0_sel:WORD_1 src1_sel:DWORD
	v_lshrrev_b32_e32 v3, 3, v16
	v_cmpx_gt_u32_e32 8, v16
; %bb.934:                              ;   in Loop: Header=BB210_15 Depth=1
	v_ffbh_u32_e32 v3, v28
	v_min_u32_e32 v3, 32, v3
	v_subrev_nc_u32_e32 v16, 28, v3
	v_sub_nc_u32_e32 v3, 29, v3
	v_lshlrev_b64 v[26:27], v16, v[28:29]
	v_and_b32_e32 v28, 7, v26
; %bb.935:                              ;   in Loop: Header=BB210_15 Depth=1
	s_or_b32 exec_lo, exec_lo, s21
	v_mov_b32_e32 v16, 24
	v_lshlrev_b32_e32 v18, 20, v28
	v_lshl_add_u32 v3, v3, 23, 0x3c000000
	v_lshlrev_b32_sdwa v16, v16, v2 dst_sel:DWORD dst_unused:UNUSED_PAD src0_sel:DWORD src1_sel:WORD_1
	v_and_b32_e32 v16, 0x80000000, v16
	v_or3_b32 v28, v18, v16, v3
	v_mov_b32_e32 v57, v29
	v_mov_b32_e32 v56, v28
.LBB210_936:                            ;   in Loop: Header=BB210_15 Depth=1
	s_or_b32 exec_lo, exec_lo, s20
.LBB210_937:                            ;   in Loop: Header=BB210_15 Depth=1
	s_or_b32 exec_lo, exec_lo, s19
.LBB210_938:                            ;   in Loop: Header=BB210_15 Depth=1
	s_or_b32 exec_lo, exec_lo, s18
	s_mov_b32 s18, exec_lo
	v_cmpx_lt_u32_e32 0xffffff, v2
	s_cbranch_execz .LBB210_946
; %bb.939:                              ;   in Loop: Header=BB210_15 Depth=1
	v_mov_b32_e32 v18, v29
	v_mov_b32_e32 v0, 0x80
	v_cmp_ne_u32_sdwa s5, v2, v0 src0_sel:BYTE_3 src1_sel:DWORD
	v_mov_b32_e32 v0, v18
	v_mov_b32_e32 v1, v19
	s_and_saveexec_b32 s19, s5
	s_cbranch_execz .LBB210_945
; %bb.940:                              ;   in Loop: Header=BB210_15 Depth=1
	v_mov_b32_e32 v42, v29
	v_bfe_u32 v3, v2, 24, 7
	s_mov_b32 s20, exec_lo
	v_mov_b32_e32 v0, v42
	v_mov_b32_e32 v1, v43
	v_cmpx_ne_u32_e32 0x7f, v3
	s_cbranch_execz .LBB210_944
; %bb.941:                              ;   in Loop: Header=BB210_15 Depth=1
	v_mov_b32_e32 v0, 7
	s_mov_b32 s21, exec_lo
	v_and_b32_sdwa v28, v2, v0 dst_sel:DWORD dst_unused:UNUSED_PAD src0_sel:BYTE_3 src1_sel:DWORD
	v_lshrrev_b32_e32 v0, 3, v3
	v_cmpx_gt_u32_e32 8, v3
; %bb.942:                              ;   in Loop: Header=BB210_15 Depth=1
	v_ffbh_u32_e32 v0, v28
	v_min_u32_e32 v0, 32, v0
	v_subrev_nc_u32_e32 v1, 28, v0
	v_sub_nc_u32_e32 v0, 29, v0
	v_lshlrev_b64 v[26:27], v1, v[28:29]
	v_and_b32_e32 v28, 7, v26
; %bb.943:                              ;   in Loop: Header=BB210_15 Depth=1
	s_or_b32 exec_lo, exec_lo, s21
	v_mov_b32_e32 v1, 24
	v_lshl_add_u32 v0, v0, 23, 0x3c000000
	v_lshlrev_b32_sdwa v1, v1, v2 dst_sel:DWORD dst_unused:UNUSED_PAD src0_sel:DWORD src1_sel:BYTE_3
	v_lshlrev_b32_e32 v2, 20, v28
	v_and_b32_e32 v1, 0x80000000, v1
	v_or3_b32 v1, v2, v1, v0
	v_mov_b32_e32 v0, v29
.LBB210_944:                            ;   in Loop: Header=BB210_15 Depth=1
	s_or_b32 exec_lo, exec_lo, s20
.LBB210_945:                            ;   in Loop: Header=BB210_15 Depth=1
	s_or_b32 exec_lo, exec_lo, s19
.LBB210_946:                            ;   in Loop: Header=BB210_15 Depth=1
	s_or_b32 exec_lo, exec_lo, s18
	flat_load_dword v37, v[34:35] offset:1540
	v_mov_b32_e32 v126, 0
	v_mov_b32_e32 v34, 0
	;; [unrolled: 1-line block ×4, first 2 shown]
	s_waitcnt vmcnt(0) lgkmcnt(0)
	v_cmp_ne_u16_sdwa s5, v37, v29 src0_sel:BYTE_0 src1_sel:DWORD
	s_and_saveexec_b32 s18, s5
	s_cbranch_execz .LBB210_954
; %bb.947:                              ;   in Loop: Header=BB210_15 Depth=1
	v_mov_b32_e32 v2, 0x80
	v_bfrev_b32_e32 v34, 1
	v_mov_b32_e32 v35, 0
	v_cmp_ne_u16_sdwa s5, v37, v2 src0_sel:BYTE_0 src1_sel:DWORD
	s_and_saveexec_b32 s19, s5
	s_cbranch_execz .LBB210_953
; %bb.948:                              ;   in Loop: Header=BB210_15 Depth=1
	v_mov_b32_e32 v34, 0x7f800001
	v_and_b32_e32 v3, 0x7f, v37
	v_mov_b32_e32 v35, 0
	s_mov_b32 s20, exec_lo
	v_cmpx_ne_u32_e32 0x7f, v3
	s_cbranch_execz .LBB210_952
; %bb.949:                              ;   in Loop: Header=BB210_15 Depth=1
	v_and_b32_e32 v28, 7, v37
	v_lshrrev_b32_e32 v2, 3, v3
	s_mov_b32 s21, exec_lo
	v_cmpx_gt_u32_e32 8, v3
; %bb.950:                              ;   in Loop: Header=BB210_15 Depth=1
	v_ffbh_u32_e32 v2, v28
	v_min_u32_e32 v2, 32, v2
	v_subrev_nc_u32_e32 v3, 28, v2
	v_sub_nc_u32_e32 v2, 29, v2
	v_lshlrev_b64 v[26:27], v3, v[28:29]
	v_and_b32_e32 v28, 7, v26
; %bb.951:                              ;   in Loop: Header=BB210_15 Depth=1
	s_or_b32 exec_lo, exec_lo, s21
	v_lshlrev_b32_e32 v3, 24, v37
	v_lshlrev_b32_e32 v16, 20, v28
	v_lshl_add_u32 v2, v2, 23, 0x3c000000
	v_and_b32_e32 v3, 0x80000000, v3
	v_or3_b32 v28, v16, v3, v2
	v_mov_b32_e32 v35, v29
	v_mov_b32_e32 v34, v28
.LBB210_952:                            ;   in Loop: Header=BB210_15 Depth=1
	s_or_b32 exec_lo, exec_lo, s20
.LBB210_953:                            ;   in Loop: Header=BB210_15 Depth=1
	s_or_b32 exec_lo, exec_lo, s19
.LBB210_954:                            ;   in Loop: Header=BB210_15 Depth=1
	s_or_b32 exec_lo, exec_lo, s18
	v_cmp_ne_u16_sdwa s5, v37, v29 src0_sel:BYTE_1 src1_sel:DWORD
	s_and_saveexec_b32 s18, s5
	s_cbranch_execz .LBB210_962
; %bb.955:                              ;   in Loop: Header=BB210_15 Depth=1
	v_mov_b32_e32 v18, v29
	v_mov_b32_e32 v2, 0x80
	;; [unrolled: 1-line block ×4, first 2 shown]
	v_cmp_ne_u16_sdwa s5, v37, v2 src0_sel:BYTE_1 src1_sel:DWORD
	s_and_saveexec_b32 s19, s5
	s_cbranch_execz .LBB210_961
; %bb.956:                              ;   in Loop: Header=BB210_15 Depth=1
	v_mov_b32_e32 v2, 0xffff
	v_mov_b32_e32 v42, v29
	;; [unrolled: 1-line block ×3, first 2 shown]
	s_mov_b32 s20, exec_lo
	v_and_b32_sdwa v2, v2, v37 dst_sel:DWORD dst_unused:UNUSED_PAD src0_sel:DWORD src1_sel:BYTE_1
	v_mov_b32_e32 v126, v42
	v_and_b32_e32 v3, 0x7f, v2
	v_cmpx_ne_u32_e32 0x7f, v3
	s_cbranch_execz .LBB210_960
; %bb.957:                              ;   in Loop: Header=BB210_15 Depth=1
	v_and_b32_e32 v28, 7, v2
	v_lshrrev_b32_e32 v2, 3, v3
	s_mov_b32 s21, exec_lo
	v_cmpx_gt_u32_e32 8, v3
; %bb.958:                              ;   in Loop: Header=BB210_15 Depth=1
	v_ffbh_u32_e32 v2, v28
	v_min_u32_e32 v2, 32, v2
	v_subrev_nc_u32_e32 v3, 28, v2
	v_sub_nc_u32_e32 v2, 29, v2
	v_lshlrev_b64 v[26:27], v3, v[28:29]
	v_and_b32_e32 v28, 7, v26
; %bb.959:                              ;   in Loop: Header=BB210_15 Depth=1
	s_or_b32 exec_lo, exec_lo, s21
	v_lshlrev_b32_e32 v3, 16, v37
	v_lshlrev_b32_e32 v16, 20, v28
	v_lshl_add_u32 v2, v2, 23, 0x3c000000
	v_mov_b32_e32 v126, v29
	v_and_b32_e32 v3, 0x80000000, v3
	v_or3_b32 v127, v16, v3, v2
.LBB210_960:                            ;   in Loop: Header=BB210_15 Depth=1
	s_or_b32 exec_lo, exec_lo, s20
.LBB210_961:                            ;   in Loop: Header=BB210_15 Depth=1
	s_or_b32 exec_lo, exec_lo, s19
.LBB210_962:                            ;   in Loop: Header=BB210_15 Depth=1
	s_or_b32 exec_lo, exec_lo, s18
	v_mov_b32_e32 v2, 0xff
	v_mov_b32_e32 v26, 0
	;; [unrolled: 1-line block ×3, first 2 shown]
	s_mov_b32 s18, exec_lo
	v_and_b32_sdwa v16, v37, v2 dst_sel:DWORD dst_unused:UNUSED_PAD src0_sel:WORD_1 src1_sel:DWORD
	v_mov_b32_e32 v2, 0
	v_mov_b32_e32 v3, 0
	v_cmpx_ne_u16_e32 0, v16
	s_cbranch_execz .LBB210_970
; %bb.963:                              ;   in Loop: Header=BB210_15 Depth=1
	v_bfrev_b32_e32 v26, 1
	v_mov_b32_e32 v27, 0
	s_mov_b32 s19, exec_lo
	v_cmpx_ne_u16_e32 0x80, v16
	s_cbranch_execz .LBB210_969
; %bb.964:                              ;   in Loop: Header=BB210_15 Depth=1
	v_mov_b32_e32 v26, 0x7f800001
	v_bfe_u32 v18, v37, 16, 7
	v_mov_b32_e32 v27, 0
	s_mov_b32 s20, exec_lo
	v_cmpx_ne_u32_e32 0x7f, v18
	s_cbranch_execz .LBB210_968
; %bb.965:                              ;   in Loop: Header=BB210_15 Depth=1
	v_mov_b32_e32 v16, 7
	s_mov_b32 s21, exec_lo
	v_and_b32_sdwa v28, v37, v16 dst_sel:DWORD dst_unused:UNUSED_PAD src0_sel:WORD_1 src1_sel:DWORD
	v_lshrrev_b32_e32 v16, 3, v18
	v_cmpx_gt_u32_e32 8, v18
; %bb.966:                              ;   in Loop: Header=BB210_15 Depth=1
	v_ffbh_u32_e32 v16, v28
	v_min_u32_e32 v16, 32, v16
	v_subrev_nc_u32_e32 v18, 28, v16
	v_sub_nc_u32_e32 v16, 29, v16
	v_lshlrev_b64 v[26:27], v18, v[28:29]
	v_and_b32_e32 v28, 7, v26
; %bb.967:                              ;   in Loop: Header=BB210_15 Depth=1
	s_or_b32 exec_lo, exec_lo, s21
	v_mov_b32_e32 v18, 24
	v_lshlrev_b32_e32 v22, 20, v28
	v_lshl_add_u32 v16, v16, 23, 0x3c000000
	v_lshlrev_b32_sdwa v18, v18, v37 dst_sel:DWORD dst_unused:UNUSED_PAD src0_sel:DWORD src1_sel:WORD_1
	v_and_b32_e32 v18, 0x80000000, v18
	v_or3_b32 v28, v22, v18, v16
	v_mov_b32_e32 v26, v28
	v_mov_b32_e32 v27, v29
.LBB210_968:                            ;   in Loop: Header=BB210_15 Depth=1
	s_or_b32 exec_lo, exec_lo, s20
.LBB210_969:                            ;   in Loop: Header=BB210_15 Depth=1
	s_or_b32 exec_lo, exec_lo, s19
.LBB210_970:                            ;   in Loop: Header=BB210_15 Depth=1
	s_or_b32 exec_lo, exec_lo, s18
	s_mov_b32 s18, exec_lo
	buffer_store_dword v17, off, s[0:3], s32 offset:760 ; 4-byte Folded Spill
	buffer_store_dword v15, off, s[0:3], s32 offset:756 ; 4-byte Folded Spill
	;; [unrolled: 1-line block ×3, first 2 shown]
	v_cmpx_lt_u32_e32 0xffffff, v37
	s_cbranch_execz .LBB210_13
; %bb.971:                              ;   in Loop: Header=BB210_15 Depth=1
	v_mov_b32_e32 v18, v29
	v_mov_b32_e32 v2, 0x80
	v_cmp_ne_u32_sdwa s5, v37, v2 src0_sel:BYTE_3 src1_sel:DWORD
	v_mov_b32_e32 v2, v18
	v_mov_b32_e32 v3, v19
	s_and_saveexec_b32 s19, s5
	s_cbranch_execz .LBB210_12
; %bb.972:                              ;   in Loop: Header=BB210_15 Depth=1
	v_mov_b32_e32 v42, v29
	v_bfe_u32 v18, v37, 24, 7
	s_mov_b32 s20, exec_lo
	v_mov_b32_e32 v2, v42
	v_mov_b32_e32 v3, v43
	v_cmpx_ne_u32_e32 0x7f, v18
	s_cbranch_execz .LBB210_11
; %bb.973:                              ;   in Loop: Header=BB210_15 Depth=1
	v_mov_b32_e32 v2, 7
	s_mov_b32 s21, exec_lo
	v_and_b32_sdwa v28, v37, v2 dst_sel:DWORD dst_unused:UNUSED_PAD src0_sel:BYTE_3 src1_sel:DWORD
	v_lshrrev_b32_e32 v2, 3, v18
	v_cmpx_gt_u32_e32 8, v18
	s_cbranch_execz .LBB210_10
; %bb.974:                              ;   in Loop: Header=BB210_15 Depth=1
	v_ffbh_u32_e32 v2, v28
	v_min_u32_e32 v2, 32, v2
	v_subrev_nc_u32_e32 v3, 28, v2
	v_sub_nc_u32_e32 v2, 29, v2
	v_lshlrev_b64 v[22:23], v3, v[28:29]
	v_and_b32_e32 v28, 7, v22
	s_branch .LBB210_10
.LBB210_975:
	s_or_b32 exec_lo, exec_lo, s17
	s_clause 0x7
	buffer_load_dword v26, off, s[0:3], s32 offset:1356
	buffer_load_dword v33, off, s[0:3], s32 offset:1360
	;; [unrolled: 1-line block ×8, first 2 shown]
.LBB210_976:
	s_or_b32 exec_lo, exec_lo, s13
	v_mbcnt_lo_u32_b32 v0, -1, 0
	v_max_f32_e32 v4, v17, v17
	s_waitcnt lgkmcnt(0)
	s_lshr_b32 s13, s7, 16
	v_xor_b32_e32 v1, 16, v0
	v_xor_b32_e32 v3, 8, v0
	v_cmp_gt_i32_e32 vcc_lo, 32, v1
	v_cndmask_b32_e32 v1, v0, v1, vcc_lo
	v_cmp_gt_i32_e32 vcc_lo, 32, v3
	v_lshlrev_b32_e32 v1, 2, v1
	v_cndmask_b32_e32 v3, v0, v3, vcc_lo
	ds_bpermute_b32 v2, v1, v17
	s_waitcnt lgkmcnt(0)
	v_max_f32_e32 v5, v2, v2
	v_lshlrev_b32_e32 v2, 2, v3
	v_max_f32_e32 v3, v4, v5
	v_xor_b32_e32 v5, 4, v0
	ds_bpermute_b32 v4, v2, v3
	v_cmp_gt_i32_e32 vcc_lo, 32, v5
	v_cndmask_b32_e32 v5, v0, v5, vcc_lo
	v_lshlrev_b32_e32 v66, 2, v5
	v_xor_b32_e32 v5, 2, v0
	v_cmp_gt_i32_e32 vcc_lo, 32, v5
	s_waitcnt lgkmcnt(0)
	v_max_f32_e32 v4, v4, v4
	v_cndmask_b32_e32 v5, v0, v5, vcc_lo
	v_max_f32_e32 v3, v3, v4
	v_lshlrev_b32_e32 v25, 2, v5
	v_xor_b32_e32 v5, 1, v0
	ds_bpermute_b32 v4, v66, v3
	v_cmp_gt_i32_e32 vcc_lo, 32, v5
	v_cndmask_b32_e32 v5, v0, v5, vcc_lo
	v_lshlrev_b32_e32 v14, 2, v5
	s_waitcnt lgkmcnt(0)
	v_max_f32_e32 v4, v4, v4
	v_max_f32_e32 v3, v3, v4
	ds_bpermute_b32 v4, v25, v3
	s_waitcnt lgkmcnt(0)
	v_max_f32_e32 v4, v4, v4
	v_max_f32_e32 v0, v3, v4
	buffer_load_dword v3, off, s[0:3], s32 offset:800 ; 4-byte Folded Reload
	ds_bpermute_b32 v4, v14, v0
	s_waitcnt vmcnt(0)
	v_cmp_eq_u32_e32 vcc_lo, 0, v3
	buffer_load_dword v3, off, s[0:3], s32 offset:1324 ; 4-byte Folded Reload
	s_waitcnt vmcnt(0)
	v_lshlrev_b32_e32 v3, 2, v3
	s_and_saveexec_b32 s5, vcc_lo
	s_cbranch_execz .LBB210_978
; %bb.977:
	s_waitcnt lgkmcnt(0)
	v_max_f32_e32 v4, v4, v4
	v_max_f32_e32 v0, v0, v0
	;; [unrolled: 1-line block ×3, first 2 shown]
	ds_write_b32 v3, v0 offset:480
.LBB210_978:
	s_or_b32 exec_lo, exec_lo, s5
	buffer_load_dword v0, off, s[0:3], s32 offset:800 ; 4-byte Folded Reload
	s_waitcnt vmcnt(0) lgkmcnt(0)
	s_waitcnt_vscnt null, 0x0
	s_barrier
	buffer_gl0_inv
	v_cmp_gt_u32_e64 s5, 4, v0
	v_mov_b32_e32 v0, 0xff7fffff
	s_and_saveexec_b32 s6, s5
; %bb.979:
	ds_read_b32 v0, v16 offset:480
; %bb.980:
	s_or_b32 exec_lo, exec_lo, s6
	s_waitcnt lgkmcnt(0)
	ds_bpermute_b32 v4, v25, v0
	v_max_f32_e32 v0, v0, v0
	buffer_load_dword v6, off, s[0:3], s32 offset:192 ; 4-byte Folded Reload
	s_waitcnt lgkmcnt(0)
	v_max_f32_e32 v4, v4, v4
	v_max_f32_e32 v0, v0, v4
	ds_bpermute_b32 v4, v14, v0
	s_waitcnt lgkmcnt(0)
	v_max_f32_e32 v4, v4, v4
	v_max_f32_e32 v0, v0, v4
	v_mov_b32_e32 v4, 0
	ds_bpermute_b32 v5, v4, v0
	buffer_load_dword v0, off, s[0:3], s32 offset:196 ; 4-byte Folded Reload
	s_waitcnt vmcnt(0)
	v_lshlrev_b32_e32 v0, 5, v0
	v_min_i32_e32 v0, v0, v6
	buffer_load_dword v6, off, s[0:3], s32 offset:804 ; 4-byte Folded Reload
	s_waitcnt vmcnt(0)
	v_cmp_lt_i32_e64 s6, v6, v0
	s_and_saveexec_b32 s15, s6
	s_cbranch_execz .LBB210_984
; %bb.981:
	buffer_load_dword v7, off, s[0:3], s32 offset:804 ; 4-byte Folded Reload
	s_load_dword s7, s[8:9], 0x0
	v_mov_b32_e32 v4, 0
	s_mov_b32 s17, 0
	s_waitcnt vmcnt(0) lgkmcnt(0)
	v_lshl_add_u32 v6, v7, 2, s7
	.p2align	6
.LBB210_982:                            ; =>This Inner Loop Header: Depth=1
	ds_read_b32 v8, v6
	v_add_nc_u32_e32 v7, 0x80, v7
	v_cmp_ge_i32_e64 s7, v7, v0
	s_or_b32 s17, s7, s17
	s_waitcnt lgkmcnt(0)
	v_sub_f32_e32 v8, v8, v5
	v_mul_f32_e32 v8, 0x3fb8aa3b, v8
	v_exp_f32_e32 v8, v8
	ds_write_b32 v6, v8
	v_add_f32_e32 v4, v4, v8
	v_add_nc_u32_e32 v6, 0x200, v6
	s_andn2_b32 exec_lo, exec_lo, s17
	s_cbranch_execnz .LBB210_982
; %bb.983:
	s_or_b32 exec_lo, exec_lo, s17
.LBB210_984:
	s_or_b32 exec_lo, exec_lo, s15
	ds_bpermute_b32 v1, v1, v4
	s_waitcnt lgkmcnt(0)
	v_add_f32_e32 v1, v4, v1
	ds_bpermute_b32 v2, v2, v1
	s_waitcnt lgkmcnt(0)
	v_add_f32_e32 v1, v1, v2
	;; [unrolled: 3-line block ×5, first 2 shown]
	s_and_saveexec_b32 s7, vcc_lo
; %bb.985:
	ds_write_b32 v3, v1 offset:496
; %bb.986:
	s_or_b32 exec_lo, exec_lo, s7
	s_waitcnt lgkmcnt(0)
	s_barrier
	buffer_gl0_inv
	s_and_saveexec_b32 s7, s5
; %bb.987:
	ds_read_b32 v1, v16 offset:496
; %bb.988:
	s_or_b32 exec_lo, exec_lo, s7
	s_waitcnt lgkmcnt(0)
	ds_bpermute_b32 v2, v25, v1
	s_waitcnt lgkmcnt(0)
	v_add_f32_e32 v1, v1, v2
	ds_bpermute_b32 v2, v14, v1
	s_waitcnt lgkmcnt(0)
	v_add_f32_e32 v1, v1, v2
	v_mov_b32_e32 v2, 0
	ds_bpermute_b32 v1, v2, v1
	s_and_saveexec_b32 s5, s6
	s_cbranch_execz .LBB210_991
; %bb.989:
	s_waitcnt lgkmcnt(0)
	v_add_f32_e32 v2, 0x358637bd, v1
	s_load_dword s6, s[8:9], 0x0
	v_div_scale_f32 v1, null, v2, v2, 1.0
	v_div_scale_f32 v5, vcc_lo, 1.0, v2, 1.0
	v_rcp_f32_e32 v3, v1
	v_fma_f32 v4, -v1, v3, 1.0
	v_fmac_f32_e32 v3, v4, v3
	v_mul_f32_e32 v4, v5, v3
	v_fma_f32 v6, -v1, v4, v5
	v_fmac_f32_e32 v4, v6, v3
	v_fma_f32 v1, -v1, v4, v5
	v_div_fmas_f32 v3, v1, v3, v4
	buffer_load_dword v4, off, s[0:3], s32 offset:804 ; 4-byte Folded Reload
	v_div_fixup_f32 v2, v3, v2, 1.0
	s_waitcnt vmcnt(0) lgkmcnt(0)
	v_lshl_add_u32 v1, v4, 2, s6
	v_mov_b32_e32 v3, v4
	s_mov_b32 s6, 0
.LBB210_990:                            ; =>This Inner Loop Header: Depth=1
	ds_read_b32 v4, v1
	v_add_nc_u32_e32 v3, 0x80, v3
	v_cmp_ge_i32_e32 vcc_lo, v3, v0
	s_or_b32 s6, vcc_lo, s6
	s_waitcnt lgkmcnt(0)
	v_mul_f32_e32 v4, v2, v4
	ds_write_b32 v1, v4
	v_add_nc_u32_e32 v1, 0x200, v1
	s_andn2_b32 exec_lo, exec_lo, s6
	s_cbranch_execnz .LBB210_990
.LBB210_991:
	s_or_b32 exec_lo, exec_lo, s5
	buffer_load_dword v0, off, s[0:3], s32 offset:804 ; 4-byte Folded Reload
	v_mov_b32_e32 v28, 0
	v_mov_b32_e32 v29, 0
	v_mov_b32_e32 v27, 0
	v_mov_b32_e32 v5, 0
	v_mov_b32_e32 v22, 0
	v_mov_b32_e32 v21, 0
	v_mov_b32_e32 v18, 0
	v_mov_b32_e32 v20, 0
	v_mov_b32_e32 v17, 0
	v_mov_b32_e32 v16, 0
	v_mov_b32_e32 v32, 0
	v_mov_b32_e32 v31, 0
	v_mov_b32_e32 v30, 0
	v_mov_b32_e32 v23, 0
	v_mov_b32_e32 v19, 0
	v_mov_b32_e32 v65, 0
	v_mov_b32_e32 v64, 0
	v_mov_b32_e32 v38, 0
	v_mov_b32_e32 v37, 0
	v_mov_b32_e32 v36, 0
	v_mov_b32_e32 v55, 0
	v_mov_b32_e32 v54, 0
	v_mov_b32_e32 v53, 0
	v_mov_b32_e32 v52, 0
	v_mov_b32_e32 v51, 0
	v_mov_b32_e32 v50, 0
	v_mov_b32_e32 v49, 0
	v_mov_b32_e32 v48, 0
	v_mov_b32_e32 v39, 0
	v_mov_b32_e32 v63, 0
	s_waitcnt vmcnt(0) lgkmcnt(0)
	s_barrier
	buffer_gl0_inv
	v_and_b32_e32 v67, 7, v0
	s_and_saveexec_b32 s5, s4
	s_cbranch_execz .LBB210_2017
; %bb.992:
	s_clause 0x1
	buffer_load_dword v0, off, s[0:3], s32 offset:804
	buffer_load_dword v99, off, s[0:3], s32 offset:1324
	v_mov_b32_e32 v8, 0
	v_mov_b32_e32 v6, 0
	buffer_store_dword v66, off, s[0:3], s32 offset:676 ; 4-byte Folded Spill
	buffer_store_dword v67, off, s[0:3], s32 offset:668 ; 4-byte Folded Spill
	v_lshlrev_b32_e32 v4, 4, v67
	buffer_store_dword v8, off, s[0:3], s32 offset:436 ; 4-byte Folded Spill
	v_mov_b32_e32 v8, 0
	buffer_store_dword v6, off, s[0:3], s32 offset:412 ; 4-byte Folded Spill
	v_mov_b32_e32 v6, 0
	v_and_b32_e32 v5, 0x7c, v9
	v_add_co_u32 v2, vcc_lo, v34, v13
	buffer_store_dword v8, off, s[0:3], s32 offset:444 ; 4-byte Folded Spill
	v_mov_b32_e32 v8, 0
	buffer_store_dword v6, off, s[0:3], s32 offset:420 ; 4-byte Folded Spill
	v_mov_b32_e32 v6, 0
	v_add_co_ci_u32_e64 v3, null, v33, v12, vcc_lo
	buffer_store_dword v8, off, s[0:3], s32 offset:452 ; 4-byte Folded Spill
	v_mov_b32_e32 v8, 0
	buffer_store_dword v6, off, s[0:3], s32 offset:428 ; 4-byte Folded Spill
	v_max_i32_e32 v82, v26, v15
	v_mov_b32_e32 v7, 0
	v_mov_b32_e32 v83, 0x80
	buffer_store_dword v8, off, s[0:3], s32 offset:460 ; 4-byte Folded Spill
	v_bfrev_b32_e32 v9, 1
	v_cvt_f32_u32_e32 v1, v82
	v_sub_nc_u32_e32 v6, 0, v82
	v_mov_b32_e32 v12, 0x7f800001
	v_mov_b32_e32 v85, 0xff
	;; [unrolled: 1-line block ×3, first 2 shown]
	v_rcp_iflag_f32_e32 v1, v1
	v_mov_b32_e32 v19, 0
	v_mov_b32_e32 v23, 0
	;; [unrolled: 1-line block ×3, first 2 shown]
	s_mov_b32 s6, 0
	v_mul_f32_e32 v1, 0x4f7ffffe, v1
	v_cvt_u32_f32_e32 v1, v1
	v_mul_lo_u32 v6, v6, v1
	v_mul_hi_u32 v6, v1, v6
	s_waitcnt vmcnt(1)
	v_lshlrev_b32_e32 v0, 2, v0
	s_waitcnt vmcnt(0)
	v_lshl_or_b32 v97, v99, 7, v4
	v_and_b32_e32 v8, 28, v0
	v_and_b32_e32 v0, 0x7c, v0
	buffer_store_dword v8, off, s[0:3], s32 offset:652 ; 4-byte Folded Spill
	s_clause 0x1
	buffer_load_dword v10, off, s[0:3], s32 offset:1336
	buffer_load_dword v11, off, s[0:3], s32 offset:1340
	s_waitcnt vmcnt(1)
	v_add_co_u32 v4, vcc_lo, v5, v10
	s_waitcnt vmcnt(0)
	v_add_co_ci_u32_e64 v5, null, 0, v11, vcc_lo
	v_add_co_u32 v2, vcc_lo, v2, v0
	v_add_co_ci_u32_e64 v3, null, 0, v3, vcc_lo
	buffer_store_dword v2, off, s[0:3], s32 offset:660 ; 4-byte Folded Spill
	buffer_store_dword v3, off, s[0:3], s32 offset:664 ; 4-byte Folded Spill
	s_clause 0x1
	buffer_load_dword v0, off, s[0:3], s32 offset:1332
	buffer_load_dword v2, off, s[0:3], s32 offset:1352
	s_waitcnt vmcnt(1)
	v_add_co_u32 v15, vcc_lo, v0, v4
	buffer_load_dword v0, off, s[0:3], s32 offset:1328 ; 4-byte Folded Reload
	s_waitcnt vmcnt(0)
	v_add_co_ci_u32_e64 v16, null, v0, v5, vcc_lo
	v_add_nc_u32_e32 v0, v1, v6
	v_mov_b32_e32 v5, 0
	buffer_store_dword v0, off, s[0:3], s32 offset:612 ; 4-byte Folded Spill
	v_mov_b32_e32 v0, 0
	buffer_store_dword v0, off, s[0:3], s32 offset:468 ; 4-byte Folded Spill
	;; [unrolled: 2-line block ×19, first 2 shown]
	s_branch .LBB210_995
.LBB210_993:                            ;   in Loop: Header=BB210_995 Depth=1
	s_or_b32 exec_lo, exec_lo, s4
	buffer_load_dword v19, off, s[0:3], s32 offset:412 ; 4-byte Folded Reload
	v_mul_f32_e32 v10, v3, v61
	v_mul_f32_e32 v11, v3, v86
	;; [unrolled: 1-line block ×5, first 2 shown]
	v_fmac_f32_e32 v10, v2, v87
	v_fmac_f32_e32 v11, v2, v84
	;; [unrolled: 1-line block ×15, first 2 shown]
	buffer_load_dword v20, off, s[0:3], s32 offset:396 ; 4-byte Folded Reload
	s_waitcnt vmcnt(1)
	v_add_f32_e32 v19, v19, v10
	buffer_load_dword v10, off, s[0:3], s32 offset:420 ; 4-byte Folded Reload
	buffer_store_dword v19, off, s[0:3], s32 offset:412 ; 4-byte Folded Spill
	buffer_load_dword v19, off, s[0:3], s32 offset:452 ; 4-byte Folded Reload
	s_waitcnt vmcnt(1)
	v_add_f32_e32 v10, v10, v11
	v_mul_f32_e32 v11, v3, v102
	buffer_store_dword v10, off, s[0:3], s32 offset:420 ; 4-byte Folded Spill
	buffer_load_dword v10, off, s[0:3], s32 offset:428 ; 4-byte Folded Reload
	v_fmac_f32_e32 v11, v2, v101
	v_fmac_f32_e32 v11, v4, v81
	v_fmac_f32_e32 v11, v5, v80
	s_waitcnt vmcnt(0)
	v_add_f32_e32 v10, v10, v13
	v_mul_f32_e32 v13, v3, v71
	buffer_store_dword v10, off, s[0:3], s32 offset:428 ; 4-byte Folded Spill
	buffer_load_dword v10, off, s[0:3], s32 offset:436 ; 4-byte Folded Reload
	v_fmac_f32_e32 v13, v2, v70
	v_fmac_f32_e32 v13, v4, v69
	v_fmac_f32_e32 v13, v5, v68
	;; [unrolled: 8-line block ×3, first 2 shown]
	s_waitcnt vmcnt(0)
	v_add_f32_e32 v10, v10, v18
	v_mul_f32_e32 v18, v3, v55
	buffer_store_dword v10, off, s[0:3], s32 offset:444 ; 4-byte Folded Spill
	v_mul_f32_e32 v10, v3, v118
	v_fmac_f32_e32 v18, v2, v54
	v_fmac_f32_e32 v10, v2, v117
	;; [unrolled: 1-line block ×6, first 2 shown]
	v_add_f32_e32 v19, v19, v10
	buffer_load_dword v10, off, s[0:3], s32 offset:460 ; 4-byte Folded Reload
	buffer_store_dword v19, off, s[0:3], s32 offset:452 ; 4-byte Folded Spill
	buffer_load_dword v19, off, s[0:3], s32 offset:492 ; 4-byte Folded Reload
	s_waitcnt vmcnt(1)
	v_add_f32_e32 v10, v10, v11
	v_mul_f32_e32 v11, v3, v39
	buffer_store_dword v10, off, s[0:3], s32 offset:460 ; 4-byte Folded Spill
	buffer_load_dword v10, off, s[0:3], s32 offset:468 ; 4-byte Folded Reload
	v_fmac_f32_e32 v11, v2, v38
	v_fmac_f32_e32 v11, v4, v37
	v_fmac_f32_e32 v11, v5, v36
	s_waitcnt vmcnt(0)
	v_add_f32_e32 v10, v10, v13
	v_mul_f32_e32 v13, v3, v35
	buffer_store_dword v10, off, s[0:3], s32 offset:468 ; 4-byte Folded Spill
	buffer_load_dword v10, off, s[0:3], s32 offset:476 ; 4-byte Folded Reload
	v_fmac_f32_e32 v13, v2, v34
	v_fmac_f32_e32 v13, v4, v33
	v_fmac_f32_e32 v13, v5, v32
	s_waitcnt vmcnt(0)
	v_add_f32_e32 v10, v10, v17
	v_mul_f32_e32 v17, v3, v31
	buffer_store_dword v10, off, s[0:3], s32 offset:476 ; 4-byte Folded Spill
	buffer_load_dword v10, off, s[0:3], s32 offset:484 ; 4-byte Folded Reload
	v_fmac_f32_e32 v17, v2, v30
	v_fmac_f32_e32 v17, v4, v29
	v_fmac_f32_e32 v17, v5, v28
	s_waitcnt vmcnt(0)
	v_add_f32_e32 v10, v10, v18
	v_mul_f32_e32 v18, v3, v98
	buffer_store_dword v10, off, s[0:3], s32 offset:484 ; 4-byte Folded Spill
	v_mul_f32_e32 v10, v3, v51
	v_fmac_f32_e32 v18, v2, v24
	v_fmac_f32_e32 v10, v2, v50
	;; [unrolled: 1-line block ×3, first 2 shown]
	buffer_load_dword v23, off, s[0:3], s32 offset:628 ; 4-byte Folded Reload
	v_fmac_f32_e32 v10, v4, v49
	v_fmac_f32_e32 v18, v5, v96
	;; [unrolled: 1-line block ×3, first 2 shown]
	v_add_f32_e32 v19, v19, v10
	buffer_load_dword v10, off, s[0:3], s32 offset:500 ; 4-byte Folded Reload
	buffer_store_dword v19, off, s[0:3], s32 offset:492 ; 4-byte Folded Spill
	buffer_load_dword v19, off, s[0:3], s32 offset:620 ; 4-byte Folded Reload
	s_waitcnt vmcnt(1)
	v_add_f32_e32 v10, v10, v11
	v_mul_f32_e32 v11, v3, v124
	buffer_store_dword v10, off, s[0:3], s32 offset:500 ; 4-byte Folded Spill
	buffer_load_dword v10, off, s[0:3], s32 offset:508 ; 4-byte Folded Reload
	v_fmac_f32_e32 v11, v2, v123
	s_waitcnt vmcnt(1)
	v_add_f32_e32 v19, v19, v18
	v_mul_f32_e32 v18, v3, v104
	v_fmac_f32_e32 v11, v4, v122
	v_fmac_f32_e32 v18, v2, v95
	;; [unrolled: 1-line block ×5, first 2 shown]
	s_waitcnt vmcnt(0)
	v_add_f32_e32 v10, v10, v13
	v_mul_f32_e32 v13, v3, v120
	buffer_store_dword v10, off, s[0:3], s32 offset:508 ; 4-byte Folded Spill
	buffer_load_dword v10, off, s[0:3], s32 offset:516 ; 4-byte Folded Reload
	v_fmac_f32_e32 v13, v2, v111
	v_fmac_f32_e32 v13, v4, v110
	;; [unrolled: 1-line block ×3, first 2 shown]
	s_waitcnt vmcnt(0)
	v_add_f32_e32 v10, v10, v17
	v_mul_f32_e32 v17, v3, v108
	buffer_store_dword v10, off, s[0:3], s32 offset:516 ; 4-byte Folded Spill
	v_mul_f32_e32 v10, v3, v27
	v_fmac_f32_e32 v17, v2, v107
	v_fmac_f32_e32 v10, v2, v127
	;; [unrolled: 1-line block ×6, first 2 shown]
	v_add_f32_e32 v23, v23, v10
	buffer_load_dword v10, off, s[0:3], s32 offset:524 ; 4-byte Folded Reload
	s_waitcnt vmcnt(0)
	v_add_f32_e32 v10, v10, v11
	v_mul_f32_e32 v11, v3, v88
	buffer_store_dword v10, off, s[0:3], s32 offset:524 ; 4-byte Folded Spill
	buffer_load_dword v10, off, s[0:3], s32 offset:532 ; 4-byte Folded Reload
	v_fmac_f32_e32 v11, v2, v79
	v_fmac_f32_e32 v11, v4, v78
	;; [unrolled: 1-line block ×3, first 2 shown]
	s_waitcnt vmcnt(0)
	v_add_f32_e32 v10, v10, v13
	v_mul_f32_e32 v13, v3, v76
	buffer_store_dword v10, off, s[0:3], s32 offset:532 ; 4-byte Folded Spill
	buffer_load_dword v10, off, s[0:3], s32 offset:540 ; 4-byte Folded Reload
	v_fmac_f32_e32 v13, v2, v75
	v_fmac_f32_e32 v13, v4, v74
	;; [unrolled: 1-line block ×3, first 2 shown]
	s_waitcnt vmcnt(0)
	v_add_f32_e32 v10, v10, v17
	buffer_load_dword v17, off, s[0:3], s32 offset:404 ; 4-byte Folded Reload
	buffer_store_dword v10, off, s[0:3], s32 offset:540 ; 4-byte Folded Spill
	buffer_load_dword v10, off, s[0:3], s32 offset:548 ; 4-byte Folded Reload
	s_waitcnt vmcnt(1)
	v_mul_f32_e32 v17, v3, v17
	s_waitcnt vmcnt(0)
	v_add_f32_e32 v10, v10, v18
	buffer_load_dword v18, off, s[0:3], s32 offset:372 ; 4-byte Folded Reload
	v_fmac_f32_e32 v17, v2, v20
	buffer_load_dword v20, off, s[0:3], s32 offset:364 ; 4-byte Folded Reload
	buffer_store_dword v10, off, s[0:3], s32 offset:548 ; 4-byte Folded Spill
	v_mul_f32_e32 v10, v3, v92
	v_fmac_f32_e32 v10, v2, v91
	v_fmac_f32_e32 v10, v4, v90
	;; [unrolled: 1-line block ×3, first 2 shown]
	s_waitcnt vmcnt(1)
	v_mul_f32_e32 v18, v3, v18
	s_waitcnt vmcnt(0)
	v_fmac_f32_e32 v18, v2, v20
	buffer_load_dword v20, off, s[0:3], s32 offset:388 ; 4-byte Folded Reload
	s_waitcnt vmcnt(0)
	v_fmac_f32_e32 v17, v4, v20
	buffer_load_dword v20, off, s[0:3], s32 offset:356 ; 4-byte Folded Reload
	;; [unrolled: 3-line block ×5, first 2 shown]
	s_waitcnt vmcnt(0)
	v_add_f32_e32 v20, v20, v10
	buffer_load_dword v10, off, s[0:3], s32 offset:564 ; 4-byte Folded Reload
	buffer_store_dword v20, off, s[0:3], s32 offset:556 ; 4-byte Folded Spill
	buffer_load_dword v20, off, s[0:3], s32 offset:636 ; 4-byte Folded Reload
	s_waitcnt vmcnt(1)
	v_add_f32_e32 v10, v10, v13
	buffer_load_dword v13, off, s[0:3], s32 offset:276 ; 4-byte Folded Reload
	buffer_store_dword v10, off, s[0:3], s32 offset:564 ; 4-byte Folded Spill
	buffer_load_dword v10, off, s[0:3], s32 offset:572 ; 4-byte Folded Reload
	s_waitcnt vmcnt(0)
	v_add_f32_e32 v10, v10, v17
	buffer_load_dword v17, off, s[0:3], s32 offset:244 ; 4-byte Folded Reload
	v_mul_f32_e32 v13, v3, v13
	buffer_store_dword v10, off, s[0:3], s32 offset:572 ; 4-byte Folded Spill
	buffer_load_dword v10, off, s[0:3], s32 offset:580 ; 4-byte Folded Reload
	s_waitcnt vmcnt(1)
	v_mul_f32_e32 v17, v3, v17
	s_waitcnt vmcnt(0)
	v_add_f32_e32 v10, v10, v18
	buffer_store_dword v10, off, s[0:3], s32 offset:580 ; 4-byte Folded Spill
	buffer_load_dword v10, off, s[0:3], s32 offset:340 ; 4-byte Folded Reload
	v_add_f32_e32 v20, v20, v11
	buffer_load_dword v11, off, s[0:3], s32 offset:308 ; 4-byte Folded Reload
	s_waitcnt vmcnt(1)
	v_mul_f32_e32 v10, v3, v10
	s_waitcnt vmcnt(0)
	v_mul_f32_e32 v11, v3, v11
	v_mul_f32_e32 v3, v3, v8
	buffer_load_dword v8, off, s[0:3], s32 offset:332 ; 4-byte Folded Reload
	v_fmac_f32_e32 v3, v2, v6
	v_fmac_f32_e32 v3, v4, v1
	buffer_load_dword v1, off, s[0:3], s32 offset:316 ; 4-byte Folded Reload
	v_fmac_f32_e32 v3, v5, v0
	buffer_load_dword v0, off, s[0:3], s32 offset:588 ; 4-byte Folded Reload
	v_add_f32_e32 v63, v63, v3
	s_waitcnt vmcnt(2)
	v_fmac_f32_e32 v10, v2, v8
	buffer_load_dword v8, off, s[0:3], s32 offset:300 ; 4-byte Folded Reload
	s_waitcnt vmcnt(0)
	v_fmac_f32_e32 v11, v2, v8
	buffer_load_dword v8, off, s[0:3], s32 offset:268 ; 4-byte Folded Reload
	;; [unrolled: 3-line block ×5, first 2 shown]
	v_fmac_f32_e32 v10, v5, v1
	buffer_load_dword v1, off, s[0:3], s32 offset:284 ; 4-byte Folded Reload
	s_waitcnt vmcnt(1)
	v_fmac_f32_e32 v11, v4, v2
	buffer_load_dword v2, off, s[0:3], s32 offset:260 ; 4-byte Folded Reload
	s_waitcnt vmcnt(1)
	v_fmac_f32_e32 v11, v5, v1
	buffer_load_dword v1, off, s[0:3], s32 offset:252 ; 4-byte Folded Reload
	v_add_f32_e32 v0, v0, v11
	buffer_store_dword v0, off, s[0:3], s32 offset:588 ; 4-byte Folded Spill
	buffer_load_dword v0, off, s[0:3], s32 offset:604 ; 4-byte Folded Reload
	s_waitcnt vmcnt(2)
	v_fmac_f32_e32 v13, v4, v2
	buffer_load_dword v2, off, s[0:3], s32 offset:232 ; 4-byte Folded Reload
	s_waitcnt vmcnt(2)
	v_fmac_f32_e32 v13, v5, v1
	buffer_load_dword v1, off, s[0:3], s32 offset:200 ; 4-byte Folded Reload
	s_waitcnt vmcnt(2)
	v_add_f32_e32 v0, v0, v13
	buffer_store_dword v0, off, s[0:3], s32 offset:604 ; 4-byte Folded Spill
	buffer_load_dword v0, off, s[0:3], s32 offset:596 ; 4-byte Folded Reload
	s_waitcnt vmcnt(2)
	v_fmac_f32_e32 v17, v4, v2
	s_waitcnt vmcnt(1)
	v_fmac_f32_e32 v17, v5, v1
	buffer_load_dword v5, off, s[0:3], s32 offset:644 ; 4-byte Folded Reload
	s_waitcnt vmcnt(1)
	v_add_f32_e32 v0, v0, v17
	buffer_store_dword v0, off, s[0:3], s32 offset:596 ; 4-byte Folded Spill
	s_waitcnt vmcnt(0)
	v_add_f32_e32 v5, v5, v10
.LBB210_994:                            ;   in Loop: Header=BB210_995 Depth=1
	s_or_b32 exec_lo, exec_lo, s7
	buffer_load_dword v0, off, s[0:3], s32 offset:196 ; 4-byte Folded Reload
	v_add_nc_u32_e32 v99, 4, v99
	v_mov_b32_e32 v2, v72
	v_add_co_u32 v15, s4, v15, 16
	v_add_nc_u32_e32 v97, 0x200, v97
	v_add_co_ci_u32_e64 v16, null, 0, v16, s4
	v_add_nc_u32_e32 v2, 0x80, v2
	s_waitcnt vmcnt(0)
	v_cmp_ge_i32_e32 vcc_lo, v99, v0
	s_or_b32 s6, vcc_lo, s6
	s_andn2_b32 exec_lo, exec_lo, s6
	s_cbranch_execz .LBB210_2016
.LBB210_995:                            ; =>This Inner Loop Header: Depth=1
	s_clause 0x1
	buffer_load_dword v0, off, s[0:3], s32 offset:224
	buffer_load_dword v4, off, s[0:3], s32 offset:208
	v_mov_b32_e32 v72, v2
	s_waitcnt vmcnt(1)
	v_mul_hi_u32 v0, v2, v0
	s_waitcnt vmcnt(0)
	v_mul_lo_u32 v1, v0, v4
	v_sub_nc_u32_e32 v1, v2, v1
	v_add_nc_u32_e32 v2, 1, v0
	v_sub_nc_u32_e32 v3, v1, v4
	v_cmp_ge_u32_e32 vcc_lo, v1, v4
	v_cndmask_b32_e32 v1, v1, v3, vcc_lo
	v_cndmask_b32_e32 v0, v0, v2, vcc_lo
	v_cmp_ge_u32_e32 vcc_lo, v1, v4
	buffer_load_dword v1, off, s[0:3], s32 offset:220 ; 4-byte Folded Reload
	v_add_nc_u32_e32 v2, 1, v0
	v_cndmask_b32_e32 v0, v0, v2, vcc_lo
	s_waitcnt vmcnt(0)
	v_xor_b32_e32 v0, v0, v1
	v_sub_nc_u32_e32 v0, v0, v1
	s_clause 0x2
	buffer_load_dword v1, off, s[0:3], s32 offset:212
	buffer_load_dword v2, off, s[0:3], s32 offset:216
	;; [unrolled: 1-line block ×3, first 2 shown]
	s_waitcnt vmcnt(2)
	v_add_nc_u32_e32 v1, v0, v1
	s_waitcnt vmcnt(1)
	v_sub_nc_u32_e32 v2, 0, v1
	v_max_i32_e32 v2, v1, v2
	v_ashrrev_i32_e32 v1, 31, v1
	s_waitcnt vmcnt(0)
	v_mul_hi_u32 v3, v2, v3
	v_mul_lo_u32 v3, v3, v82
	v_sub_nc_u32_e32 v2, v2, v3
	v_sub_nc_u32_e32 v3, v2, v82
	v_cmp_ge_u32_e32 vcc_lo, v2, v82
	v_cndmask_b32_e32 v2, v2, v3, vcc_lo
	v_sub_nc_u32_e32 v3, v2, v82
	v_cmp_ge_u32_e32 vcc_lo, v2, v82
	v_cndmask_b32_e32 v2, v2, v3, vcc_lo
	v_xor_b32_e32 v2, v2, v1
	v_sub_nc_u32_e32 v1, v2, v1
	v_cmp_eq_u32_e32 vcc_lo, 0, v1
	buffer_load_dword v1, off, s[0:3], s32 offset:228 ; 4-byte Folded Reload
	s_waitcnt vmcnt(0)
	v_cmp_gt_i32_e64 s4, v0, v1
	s_or_b32 s4, vcc_lo, s4
	s_and_saveexec_b32 s7, s4
	s_cbranch_execz .LBB210_994
; %bb.996:                              ;   in Loop: Header=BB210_995 Depth=1
	buffer_store_dword v5, off, s[0:3], s32 offset:644 ; 4-byte Folded Spill
	buffer_store_dword v20, off, s[0:3], s32 offset:636 ; 4-byte Folded Spill
	;; [unrolled: 1-line block ×4, first 2 shown]
	flat_load_dword v0, v[15:16]
	s_clause 0x2
	buffer_load_dword v1, off, s[0:3], s32 offset:740
	buffer_load_dword v2, off, s[0:3], s32 offset:660
	;; [unrolled: 1-line block ×3, first 2 shown]
	v_mov_b32_e32 v19, 0
	v_mov_b32_e32 v17, 0
	;; [unrolled: 1-line block ×4, first 2 shown]
	s_waitcnt vmcnt(0) lgkmcnt(0)
	v_mad_i64_i32 v[0:1], null, v0, v1, v[2:3]
	flat_load_dword v23, v[0:1]
	s_clause 0x1
	buffer_load_dword v2, off, s[0:3], s32 offset:812
	buffer_load_dword v3, off, s[0:3], s32 offset:816
	s_load_dword s4, s[8:9], 0x0
	s_waitcnt vmcnt(2) lgkmcnt(0)
	v_cmp_ne_u16_sdwa s15, v23, v7 src0_sel:BYTE_0 src1_sel:DWORD
	s_waitcnt vmcnt(0)
	flat_load_dword v100, v[2:3]
	v_add_nc_u32_e32 v2, s4, v97
	ds_read_b128 v[2:5], v2
	s_and_saveexec_b32 s4, s15
	s_cbranch_execz .LBB210_1004
; %bb.997:                              ;   in Loop: Header=BB210_995 Depth=1
	v_bfrev_b32_e32 v17, 1
	v_mov_b32_e32 v18, 0
	v_cmp_ne_u16_sdwa s17, v23, v83 src0_sel:BYTE_0 src1_sel:DWORD
	s_and_saveexec_b32 s15, s17
	s_cbranch_execz .LBB210_1003
; %bb.998:                              ;   in Loop: Header=BB210_995 Depth=1
	v_mov_b32_e32 v17, 0x7f800001
	v_and_b32_e32 v10, 0x7f, v23
	v_mov_b32_e32 v18, 0
	s_mov_b32 s17, exec_lo
	v_cmpx_ne_u32_e32 0x7f, v10
	s_cbranch_execz .LBB210_1002
; %bb.999:                              ;   in Loop: Header=BB210_995 Depth=1
	v_and_b32_e32 v6, 7, v23
	v_lshrrev_b32_e32 v8, 3, v10
	s_mov_b32 s18, exec_lo
	v_cmpx_gt_u32_e32 8, v10
; %bb.1000:                             ;   in Loop: Header=BB210_995 Depth=1
	v_ffbh_u32_e32 v8, v6
	v_min_u32_e32 v8, 32, v8
	v_subrev_nc_u32_e32 v10, 28, v8
	v_sub_nc_u32_e32 v8, 29, v8
	v_lshlrev_b64 v[10:11], v10, v[6:7]
	v_and_b32_e32 v6, 7, v10
; %bb.1001:                             ;   in Loop: Header=BB210_995 Depth=1
	s_or_b32 exec_lo, exec_lo, s18
	v_lshlrev_b32_e32 v10, 24, v23
	v_lshlrev_b32_e32 v6, 20, v6
	v_lshl_add_u32 v8, v8, 23, 0x3c000000
	v_and_b32_e32 v10, 0x80000000, v10
	v_or3_b32 v6, v6, v10, v8
	v_mov_b32_e32 v18, v7
	v_mov_b32_e32 v17, v6
.LBB210_1002:                           ;   in Loop: Header=BB210_995 Depth=1
	s_or_b32 exec_lo, exec_lo, s17
.LBB210_1003:                           ;   in Loop: Header=BB210_995 Depth=1
	s_or_b32 exec_lo, exec_lo, s15
.LBB210_1004:                           ;   in Loop: Header=BB210_995 Depth=1
	s_or_b32 exec_lo, exec_lo, s4
	v_cmp_ne_u16_sdwa s15, v23, v7 src0_sel:BYTE_1 src1_sel:DWORD
	s_and_saveexec_b32 s4, s15
	s_cbranch_execz .LBB210_1012
; %bb.1005:                             ;   in Loop: Header=BB210_995 Depth=1
	v_mov_b32_e32 v8, v7
	v_mov_b32_e32 v20, v9
	v_cmp_ne_u16_sdwa s17, v23, v83 src0_sel:BYTE_1 src1_sel:DWORD
	v_mov_b32_e32 v19, v8
	s_and_saveexec_b32 s15, s17
	s_cbranch_execz .LBB210_1011
; %bb.1006:                             ;   in Loop: Header=BB210_995 Depth=1
	v_mov_b32_e32 v6, 0xffff
	v_mov_b32_e32 v11, v7
	;; [unrolled: 1-line block ×3, first 2 shown]
	s_mov_b32 s17, exec_lo
	v_and_b32_sdwa v6, v6, v23 dst_sel:DWORD dst_unused:UNUSED_PAD src0_sel:DWORD src1_sel:BYTE_1
	v_mov_b32_e32 v19, v11
	v_and_b32_e32 v10, 0x7f, v6
	v_cmpx_ne_u32_e32 0x7f, v10
	s_cbranch_execz .LBB210_1010
; %bb.1007:                             ;   in Loop: Header=BB210_995 Depth=1
	v_and_b32_e32 v6, 7, v6
	v_lshrrev_b32_e32 v8, 3, v10
	s_mov_b32 s18, exec_lo
	v_cmpx_gt_u32_e32 8, v10
; %bb.1008:                             ;   in Loop: Header=BB210_995 Depth=1
	v_ffbh_u32_e32 v8, v6
	v_min_u32_e32 v8, 32, v8
	v_subrev_nc_u32_e32 v10, 28, v8
	v_sub_nc_u32_e32 v8, 29, v8
	v_lshlrev_b64 v[10:11], v10, v[6:7]
	v_and_b32_e32 v6, 7, v10
; %bb.1009:                             ;   in Loop: Header=BB210_995 Depth=1
	s_or_b32 exec_lo, exec_lo, s18
	v_lshlrev_b32_e32 v10, 16, v23
	v_lshlrev_b32_e32 v6, 20, v6
	v_lshl_add_u32 v8, v8, 23, 0x3c000000
	v_mov_b32_e32 v19, v7
	v_and_b32_e32 v10, 0x80000000, v10
	v_or3_b32 v20, v6, v10, v8
.LBB210_1010:                           ;   in Loop: Header=BB210_995 Depth=1
	s_or_b32 exec_lo, exec_lo, s17
.LBB210_1011:                           ;   in Loop: Header=BB210_995 Depth=1
	s_or_b32 exec_lo, exec_lo, s15
.LBB210_1012:                           ;   in Loop: Header=BB210_995 Depth=1
	s_or_b32 exec_lo, exec_lo, s4
	v_mov_b32_e32 v10, 0
	v_mov_b32_e32 v21, 0
	v_and_b32_sdwa v6, v23, v85 dst_sel:DWORD dst_unused:UNUSED_PAD src0_sel:WORD_1 src1_sel:DWORD
	v_mov_b32_e32 v11, 0
	v_mov_b32_e32 v22, 0
	s_mov_b32 s4, exec_lo
	v_cmpx_ne_u16_e32 0, v6
	s_cbranch_execz .LBB210_1020
; %bb.1013:                             ;   in Loop: Header=BB210_995 Depth=1
	v_bfrev_b32_e32 v21, 1
	v_mov_b32_e32 v22, 0
	s_mov_b32 s15, exec_lo
	v_cmpx_ne_u16_e32 0x80, v6
	s_cbranch_execz .LBB210_1019
; %bb.1014:                             ;   in Loop: Header=BB210_995 Depth=1
	v_mov_b32_e32 v21, 0x7f800001
	v_bfe_u32 v24, v23, 16, 7
	v_mov_b32_e32 v22, 0
	s_mov_b32 s17, exec_lo
	v_cmpx_ne_u32_e32 0x7f, v24
	s_cbranch_execz .LBB210_1018
; %bb.1015:                             ;   in Loop: Header=BB210_995 Depth=1
	v_mov_b32_e32 v6, 7
	v_lshrrev_b32_e32 v8, 3, v24
	s_mov_b32 s18, exec_lo
	v_and_b32_sdwa v6, v23, v6 dst_sel:DWORD dst_unused:UNUSED_PAD src0_sel:WORD_1 src1_sel:DWORD
	v_cmpx_gt_u32_e32 8, v24
; %bb.1016:                             ;   in Loop: Header=BB210_995 Depth=1
	v_ffbh_u32_e32 v8, v6
	v_min_u32_e32 v8, 32, v8
	v_subrev_nc_u32_e32 v13, 28, v8
	v_sub_nc_u32_e32 v8, 29, v8
	v_lshlrev_b64 v[21:22], v13, v[6:7]
	v_and_b32_e32 v6, 7, v21
; %bb.1017:                             ;   in Loop: Header=BB210_995 Depth=1
	s_or_b32 exec_lo, exec_lo, s18
	v_mov_b32_e32 v13, 24
	v_lshlrev_b32_e32 v6, 20, v6
	v_lshl_add_u32 v8, v8, 23, 0x3c000000
	v_lshlrev_b32_sdwa v13, v13, v23 dst_sel:DWORD dst_unused:UNUSED_PAD src0_sel:DWORD src1_sel:WORD_1
	v_and_b32_e32 v13, 0x80000000, v13
	v_or3_b32 v6, v6, v13, v8
	v_mov_b32_e32 v22, v7
	v_mov_b32_e32 v21, v6
.LBB210_1018:                           ;   in Loop: Header=BB210_995 Depth=1
	s_or_b32 exec_lo, exec_lo, s17
.LBB210_1019:                           ;   in Loop: Header=BB210_995 Depth=1
	s_or_b32 exec_lo, exec_lo, s15
.LBB210_1020:                           ;   in Loop: Header=BB210_995 Depth=1
	s_or_b32 exec_lo, exec_lo, s4
	s_mov_b32 s4, exec_lo
	v_cmpx_lt_u32_e32 0xffffff, v23
	s_cbranch_execz .LBB210_1028
; %bb.1021:                             ;   in Loop: Header=BB210_995 Depth=1
	v_mov_b32_e32 v8, v7
	v_mov_b32_e32 v11, v9
	v_cmp_ne_u32_sdwa s17, v23, v83 src0_sel:BYTE_3 src1_sel:DWORD
	v_mov_b32_e32 v10, v8
	s_and_saveexec_b32 s15, s17
	s_cbranch_execz .LBB210_1027
; %bb.1022:                             ;   in Loop: Header=BB210_995 Depth=1
	v_mov_b32_e32 v11, v7
	v_bfe_u32 v24, v23, 24, 7
	s_mov_b32 s17, exec_lo
	v_mov_b32_e32 v10, v11
	v_mov_b32_e32 v11, v12
	v_cmpx_ne_u32_e32 0x7f, v24
	s_cbranch_execz .LBB210_1026
; %bb.1023:                             ;   in Loop: Header=BB210_995 Depth=1
	v_mov_b32_e32 v6, 7
	v_lshrrev_b32_e32 v8, 3, v24
	s_mov_b32 s18, exec_lo
	v_and_b32_sdwa v6, v23, v6 dst_sel:DWORD dst_unused:UNUSED_PAD src0_sel:BYTE_3 src1_sel:DWORD
	v_cmpx_gt_u32_e32 8, v24
; %bb.1024:                             ;   in Loop: Header=BB210_995 Depth=1
	v_ffbh_u32_e32 v8, v6
	v_min_u32_e32 v8, 32, v8
	v_subrev_nc_u32_e32 v10, 28, v8
	v_sub_nc_u32_e32 v8, 29, v8
	v_lshlrev_b64 v[10:11], v10, v[6:7]
	v_and_b32_e32 v6, 7, v10
; %bb.1025:                             ;   in Loop: Header=BB210_995 Depth=1
	s_or_b32 exec_lo, exec_lo, s18
	v_mov_b32_e32 v10, 24
	v_lshlrev_b32_e32 v6, 20, v6
	v_lshl_add_u32 v8, v8, 23, 0x3c000000
	v_lshlrev_b32_sdwa v10, v10, v23 dst_sel:DWORD dst_unused:UNUSED_PAD src0_sel:DWORD src1_sel:BYTE_3
	v_and_b32_e32 v10, 0x80000000, v10
	v_or3_b32 v11, v6, v10, v8
	v_mov_b32_e32 v10, v7
.LBB210_1026:                           ;   in Loop: Header=BB210_995 Depth=1
	s_or_b32 exec_lo, exec_lo, s17
.LBB210_1027:                           ;   in Loop: Header=BB210_995 Depth=1
	s_or_b32 exec_lo, exec_lo, s15
.LBB210_1028:                           ;   in Loop: Header=BB210_995 Depth=1
	s_or_b32 exec_lo, exec_lo, s4
	buffer_load_dword v6, off, s[0:3], s32 offset:652 ; 4-byte Folded Reload
	v_or_b32_e32 v8, v20, v18
	v_or_b32_e32 v13, v19, v17
	;; [unrolled: 1-line block ×4, first 2 shown]
	s_waitcnt vmcnt(0)
	v_add_nc_u32_e32 v113, v6, v72
	buffer_load_dword v6, off, s[0:3], s32 offset:196 ; 4-byte Folded Reload
	v_add_nc_u32_e32 v116, 1, v113
	v_add_nc_u32_e32 v115, 2, v113
	;; [unrolled: 1-line block ×3, first 2 shown]
	s_waitcnt vmcnt(0)
	v_add_nc_u32_e32 v6, -1, v6
	v_cmp_eq_u32_e32 vcc_lo, v6, v99
	s_waitcnt lgkmcnt(1)
	v_mul_f32_e32 v6, v100, v8
	buffer_store_dword v6, off, s[0:3], s32 offset:244 ; 4-byte Folded Spill
	v_mul_f32_e32 v6, v100, v13
	buffer_store_dword v6, off, s[0:3], s32 offset:236 ; 4-byte Folded Spill
	;; [unrolled: 2-line block ×4, first 2 shown]
	s_and_saveexec_b32 s15, vcc_lo
	s_cbranch_execz .LBB210_1030
; %bb.1029:                             ;   in Loop: Header=BB210_995 Depth=1
	s_clause 0x1
	buffer_load_dword v6, off, s[0:3], s32 offset:192
	buffer_load_dword v8, off, s[0:3], s32 offset:236
	s_waitcnt vmcnt(1)
	v_cmp_lt_i32_e64 s4, v113, v6
	s_waitcnt vmcnt(0)
	v_cndmask_b32_e64 v8, 0, v8, s4
	v_cmp_lt_i32_e64 s4, v116, v6
	buffer_store_dword v8, off, s[0:3], s32 offset:236 ; 4-byte Folded Spill
	buffer_load_dword v8, off, s[0:3], s32 offset:244 ; 4-byte Folded Reload
	s_waitcnt vmcnt(0)
	v_cndmask_b32_e64 v8, 0, v8, s4
	v_cmp_lt_i32_e64 s4, v115, v6
	buffer_store_dword v8, off, s[0:3], s32 offset:244 ; 4-byte Folded Spill
	buffer_load_dword v8, off, s[0:3], s32 offset:232 ; 4-byte Folded Reload
	s_waitcnt vmcnt(0)
	v_cndmask_b32_e64 v8, 0, v8, s4
	v_cmp_lt_i32_e64 s4, v114, v6
	buffer_load_dword v6, off, s[0:3], s32 offset:200 ; 4-byte Folded Reload
	buffer_store_dword v8, off, s[0:3], s32 offset:232 ; 4-byte Folded Spill
	s_waitcnt vmcnt(0)
	v_cndmask_b32_e64 v6, 0, v6, s4
	buffer_store_dword v6, off, s[0:3], s32 offset:200 ; 4-byte Folded Spill
.LBB210_1030:                           ;   in Loop: Header=BB210_995 Depth=1
	s_or_b32 exec_lo, exec_lo, s15
	flat_load_dword v23, v[0:1] offset:128
	v_mov_b32_e32 v19, 0
	v_mov_b32_e32 v17, 0
	;; [unrolled: 1-line block ×4, first 2 shown]
	s_waitcnt vmcnt(0) lgkmcnt(0)
	v_cmp_ne_u16_sdwa s4, v23, v7 src0_sel:BYTE_0 src1_sel:DWORD
	s_and_saveexec_b32 s15, s4
	s_cbranch_execz .LBB210_1038
; %bb.1031:                             ;   in Loop: Header=BB210_995 Depth=1
	v_bfrev_b32_e32 v17, 1
	v_mov_b32_e32 v18, 0
	v_cmp_ne_u16_sdwa s4, v23, v83 src0_sel:BYTE_0 src1_sel:DWORD
	s_and_saveexec_b32 s17, s4
	s_cbranch_execz .LBB210_1037
; %bb.1032:                             ;   in Loop: Header=BB210_995 Depth=1
	v_mov_b32_e32 v17, 0x7f800001
	v_and_b32_e32 v10, 0x7f, v23
	v_mov_b32_e32 v18, 0
	s_mov_b32 s18, exec_lo
	v_cmpx_ne_u32_e32 0x7f, v10
	s_cbranch_execz .LBB210_1036
; %bb.1033:                             ;   in Loop: Header=BB210_995 Depth=1
	v_and_b32_e32 v6, 7, v23
	v_lshrrev_b32_e32 v8, 3, v10
	s_mov_b32 s19, exec_lo
	v_cmpx_gt_u32_e32 8, v10
; %bb.1034:                             ;   in Loop: Header=BB210_995 Depth=1
	v_ffbh_u32_e32 v8, v6
	v_min_u32_e32 v8, 32, v8
	v_subrev_nc_u32_e32 v10, 28, v8
	v_sub_nc_u32_e32 v8, 29, v8
	v_lshlrev_b64 v[10:11], v10, v[6:7]
	v_and_b32_e32 v6, 7, v10
; %bb.1035:                             ;   in Loop: Header=BB210_995 Depth=1
	s_or_b32 exec_lo, exec_lo, s19
	v_lshlrev_b32_e32 v10, 24, v23
	v_lshlrev_b32_e32 v6, 20, v6
	v_lshl_add_u32 v8, v8, 23, 0x3c000000
	v_and_b32_e32 v10, 0x80000000, v10
	v_or3_b32 v6, v6, v10, v8
	v_mov_b32_e32 v18, v7
	v_mov_b32_e32 v17, v6
.LBB210_1036:                           ;   in Loop: Header=BB210_995 Depth=1
	s_or_b32 exec_lo, exec_lo, s18
.LBB210_1037:                           ;   in Loop: Header=BB210_995 Depth=1
	s_or_b32 exec_lo, exec_lo, s17
.LBB210_1038:                           ;   in Loop: Header=BB210_995 Depth=1
	s_or_b32 exec_lo, exec_lo, s15
	v_cmp_ne_u16_sdwa s4, v23, v7 src0_sel:BYTE_1 src1_sel:DWORD
	s_and_saveexec_b32 s15, s4
	s_cbranch_execz .LBB210_1046
; %bb.1039:                             ;   in Loop: Header=BB210_995 Depth=1
	v_mov_b32_e32 v8, v7
	v_mov_b32_e32 v20, v9
	v_cmp_ne_u16_sdwa s4, v23, v83 src0_sel:BYTE_1 src1_sel:DWORD
	v_mov_b32_e32 v19, v8
	s_and_saveexec_b32 s17, s4
	s_cbranch_execz .LBB210_1045
; %bb.1040:                             ;   in Loop: Header=BB210_995 Depth=1
	v_mov_b32_e32 v6, 0xffff
	v_mov_b32_e32 v11, v7
	;; [unrolled: 1-line block ×3, first 2 shown]
	s_mov_b32 s18, exec_lo
	v_and_b32_sdwa v6, v6, v23 dst_sel:DWORD dst_unused:UNUSED_PAD src0_sel:DWORD src1_sel:BYTE_1
	v_mov_b32_e32 v19, v11
	v_and_b32_e32 v10, 0x7f, v6
	v_cmpx_ne_u32_e32 0x7f, v10
	s_cbranch_execz .LBB210_1044
; %bb.1041:                             ;   in Loop: Header=BB210_995 Depth=1
	v_and_b32_e32 v6, 7, v6
	v_lshrrev_b32_e32 v8, 3, v10
	s_mov_b32 s19, exec_lo
	v_cmpx_gt_u32_e32 8, v10
; %bb.1042:                             ;   in Loop: Header=BB210_995 Depth=1
	v_ffbh_u32_e32 v8, v6
	v_min_u32_e32 v8, 32, v8
	v_subrev_nc_u32_e32 v10, 28, v8
	v_sub_nc_u32_e32 v8, 29, v8
	v_lshlrev_b64 v[10:11], v10, v[6:7]
	v_and_b32_e32 v6, 7, v10
; %bb.1043:                             ;   in Loop: Header=BB210_995 Depth=1
	s_or_b32 exec_lo, exec_lo, s19
	v_lshlrev_b32_e32 v10, 16, v23
	v_lshlrev_b32_e32 v6, 20, v6
	v_lshl_add_u32 v8, v8, 23, 0x3c000000
	v_mov_b32_e32 v19, v7
	v_and_b32_e32 v10, 0x80000000, v10
	v_or3_b32 v20, v6, v10, v8
.LBB210_1044:                           ;   in Loop: Header=BB210_995 Depth=1
	s_or_b32 exec_lo, exec_lo, s18
.LBB210_1045:                           ;   in Loop: Header=BB210_995 Depth=1
	s_or_b32 exec_lo, exec_lo, s17
.LBB210_1046:                           ;   in Loop: Header=BB210_995 Depth=1
	s_or_b32 exec_lo, exec_lo, s15
	v_mov_b32_e32 v10, 0
	v_mov_b32_e32 v21, 0
	v_and_b32_sdwa v6, v23, v85 dst_sel:DWORD dst_unused:UNUSED_PAD src0_sel:WORD_1 src1_sel:DWORD
	v_mov_b32_e32 v11, 0
	v_mov_b32_e32 v22, 0
	s_mov_b32 s15, exec_lo
	v_cmpx_ne_u16_e32 0, v6
	s_cbranch_execz .LBB210_1054
; %bb.1047:                             ;   in Loop: Header=BB210_995 Depth=1
	v_bfrev_b32_e32 v21, 1
	v_mov_b32_e32 v22, 0
	s_mov_b32 s17, exec_lo
	v_cmpx_ne_u16_e32 0x80, v6
	s_cbranch_execz .LBB210_1053
; %bb.1048:                             ;   in Loop: Header=BB210_995 Depth=1
	v_mov_b32_e32 v21, 0x7f800001
	v_bfe_u32 v24, v23, 16, 7
	v_mov_b32_e32 v22, 0
	s_mov_b32 s18, exec_lo
	v_cmpx_ne_u32_e32 0x7f, v24
	s_cbranch_execz .LBB210_1052
; %bb.1049:                             ;   in Loop: Header=BB210_995 Depth=1
	v_mov_b32_e32 v6, 7
	v_lshrrev_b32_e32 v8, 3, v24
	s_mov_b32 s19, exec_lo
	v_and_b32_sdwa v6, v23, v6 dst_sel:DWORD dst_unused:UNUSED_PAD src0_sel:WORD_1 src1_sel:DWORD
	v_cmpx_gt_u32_e32 8, v24
; %bb.1050:                             ;   in Loop: Header=BB210_995 Depth=1
	v_ffbh_u32_e32 v8, v6
	v_min_u32_e32 v8, 32, v8
	v_subrev_nc_u32_e32 v13, 28, v8
	v_sub_nc_u32_e32 v8, 29, v8
	v_lshlrev_b64 v[21:22], v13, v[6:7]
	v_and_b32_e32 v6, 7, v21
; %bb.1051:                             ;   in Loop: Header=BB210_995 Depth=1
	s_or_b32 exec_lo, exec_lo, s19
	v_mov_b32_e32 v13, 24
	v_lshlrev_b32_e32 v6, 20, v6
	v_lshl_add_u32 v8, v8, 23, 0x3c000000
	v_lshlrev_b32_sdwa v13, v13, v23 dst_sel:DWORD dst_unused:UNUSED_PAD src0_sel:DWORD src1_sel:WORD_1
	v_and_b32_e32 v13, 0x80000000, v13
	v_or3_b32 v6, v6, v13, v8
	v_mov_b32_e32 v22, v7
	v_mov_b32_e32 v21, v6
.LBB210_1052:                           ;   in Loop: Header=BB210_995 Depth=1
	s_or_b32 exec_lo, exec_lo, s18
.LBB210_1053:                           ;   in Loop: Header=BB210_995 Depth=1
	s_or_b32 exec_lo, exec_lo, s17
.LBB210_1054:                           ;   in Loop: Header=BB210_995 Depth=1
	s_or_b32 exec_lo, exec_lo, s15
	s_mov_b32 s15, exec_lo
	v_cmpx_lt_u32_e32 0xffffff, v23
	s_cbranch_execz .LBB210_1062
; %bb.1055:                             ;   in Loop: Header=BB210_995 Depth=1
	v_mov_b32_e32 v8, v7
	v_mov_b32_e32 v11, v9
	v_cmp_ne_u32_sdwa s4, v23, v83 src0_sel:BYTE_3 src1_sel:DWORD
	v_mov_b32_e32 v10, v8
	s_and_saveexec_b32 s17, s4
	s_cbranch_execz .LBB210_1061
; %bb.1056:                             ;   in Loop: Header=BB210_995 Depth=1
	v_mov_b32_e32 v11, v7
	v_bfe_u32 v24, v23, 24, 7
	s_mov_b32 s18, exec_lo
	v_mov_b32_e32 v10, v11
	v_mov_b32_e32 v11, v12
	v_cmpx_ne_u32_e32 0x7f, v24
	s_cbranch_execz .LBB210_1060
; %bb.1057:                             ;   in Loop: Header=BB210_995 Depth=1
	v_mov_b32_e32 v6, 7
	v_lshrrev_b32_e32 v8, 3, v24
	s_mov_b32 s19, exec_lo
	v_and_b32_sdwa v6, v23, v6 dst_sel:DWORD dst_unused:UNUSED_PAD src0_sel:BYTE_3 src1_sel:DWORD
	v_cmpx_gt_u32_e32 8, v24
; %bb.1058:                             ;   in Loop: Header=BB210_995 Depth=1
	v_ffbh_u32_e32 v8, v6
	v_min_u32_e32 v8, 32, v8
	v_subrev_nc_u32_e32 v10, 28, v8
	v_sub_nc_u32_e32 v8, 29, v8
	v_lshlrev_b64 v[10:11], v10, v[6:7]
	v_and_b32_e32 v6, 7, v10
; %bb.1059:                             ;   in Loop: Header=BB210_995 Depth=1
	s_or_b32 exec_lo, exec_lo, s19
	v_mov_b32_e32 v10, 24
	v_lshlrev_b32_e32 v6, 20, v6
	v_lshl_add_u32 v8, v8, 23, 0x3c000000
	v_lshlrev_b32_sdwa v10, v10, v23 dst_sel:DWORD dst_unused:UNUSED_PAD src0_sel:DWORD src1_sel:BYTE_3
	v_and_b32_e32 v10, 0x80000000, v10
	v_or3_b32 v11, v6, v10, v8
	v_mov_b32_e32 v10, v7
.LBB210_1060:                           ;   in Loop: Header=BB210_995 Depth=1
	s_or_b32 exec_lo, exec_lo, s18
.LBB210_1061:                           ;   in Loop: Header=BB210_995 Depth=1
	s_or_b32 exec_lo, exec_lo, s17
.LBB210_1062:                           ;   in Loop: Header=BB210_995 Depth=1
	s_or_b32 exec_lo, exec_lo, s15
	v_or_b32_e32 v6, v20, v18
	v_or_b32_e32 v8, v19, v17
	;; [unrolled: 1-line block ×4, first 2 shown]
	v_mul_f32_e32 v6, v100, v6
	buffer_store_dword v6, off, s[0:3], s32 offset:276 ; 4-byte Folded Spill
	v_mul_f32_e32 v6, v100, v8
	buffer_store_dword v6, off, s[0:3], s32 offset:268 ; 4-byte Folded Spill
	;; [unrolled: 2-line block ×4, first 2 shown]
	s_and_saveexec_b32 s15, vcc_lo
	s_cbranch_execz .LBB210_1064
; %bb.1063:                             ;   in Loop: Header=BB210_995 Depth=1
	s_clause 0x1
	buffer_load_dword v6, off, s[0:3], s32 offset:192
	buffer_load_dword v8, off, s[0:3], s32 offset:268
	s_waitcnt vmcnt(1)
	v_cmp_lt_i32_e64 s4, v113, v6
	s_waitcnt vmcnt(0)
	v_cndmask_b32_e64 v8, 0, v8, s4
	v_cmp_lt_i32_e64 s4, v116, v6
	buffer_store_dword v8, off, s[0:3], s32 offset:268 ; 4-byte Folded Spill
	buffer_load_dword v8, off, s[0:3], s32 offset:276 ; 4-byte Folded Reload
	s_waitcnt vmcnt(0)
	v_cndmask_b32_e64 v8, 0, v8, s4
	v_cmp_lt_i32_e64 s4, v115, v6
	buffer_store_dword v8, off, s[0:3], s32 offset:276 ; 4-byte Folded Spill
	buffer_load_dword v8, off, s[0:3], s32 offset:260 ; 4-byte Folded Reload
	s_waitcnt vmcnt(0)
	v_cndmask_b32_e64 v8, 0, v8, s4
	v_cmp_lt_i32_e64 s4, v114, v6
	buffer_load_dword v6, off, s[0:3], s32 offset:252 ; 4-byte Folded Reload
	buffer_store_dword v8, off, s[0:3], s32 offset:260 ; 4-byte Folded Spill
	s_waitcnt vmcnt(0)
	v_cndmask_b32_e64 v6, 0, v6, s4
	buffer_store_dword v6, off, s[0:3], s32 offset:252 ; 4-byte Folded Spill
.LBB210_1064:                           ;   in Loop: Header=BB210_995 Depth=1
	s_or_b32 exec_lo, exec_lo, s15
	flat_load_dword v23, v[0:1] offset:256
	v_mov_b32_e32 v19, 0
	v_mov_b32_e32 v17, 0
	;; [unrolled: 1-line block ×4, first 2 shown]
	s_waitcnt vmcnt(0) lgkmcnt(0)
	v_cmp_ne_u16_sdwa s4, v23, v7 src0_sel:BYTE_0 src1_sel:DWORD
	s_and_saveexec_b32 s15, s4
	s_cbranch_execz .LBB210_1072
; %bb.1065:                             ;   in Loop: Header=BB210_995 Depth=1
	v_bfrev_b32_e32 v17, 1
	v_mov_b32_e32 v18, 0
	v_cmp_ne_u16_sdwa s4, v23, v83 src0_sel:BYTE_0 src1_sel:DWORD
	s_and_saveexec_b32 s17, s4
	s_cbranch_execz .LBB210_1071
; %bb.1066:                             ;   in Loop: Header=BB210_995 Depth=1
	v_mov_b32_e32 v17, 0x7f800001
	v_and_b32_e32 v10, 0x7f, v23
	v_mov_b32_e32 v18, 0
	s_mov_b32 s18, exec_lo
	v_cmpx_ne_u32_e32 0x7f, v10
	s_cbranch_execz .LBB210_1070
; %bb.1067:                             ;   in Loop: Header=BB210_995 Depth=1
	v_and_b32_e32 v6, 7, v23
	v_lshrrev_b32_e32 v8, 3, v10
	s_mov_b32 s19, exec_lo
	v_cmpx_gt_u32_e32 8, v10
; %bb.1068:                             ;   in Loop: Header=BB210_995 Depth=1
	v_ffbh_u32_e32 v8, v6
	v_min_u32_e32 v8, 32, v8
	v_subrev_nc_u32_e32 v10, 28, v8
	v_sub_nc_u32_e32 v8, 29, v8
	v_lshlrev_b64 v[10:11], v10, v[6:7]
	v_and_b32_e32 v6, 7, v10
; %bb.1069:                             ;   in Loop: Header=BB210_995 Depth=1
	s_or_b32 exec_lo, exec_lo, s19
	v_lshlrev_b32_e32 v10, 24, v23
	v_lshlrev_b32_e32 v6, 20, v6
	v_lshl_add_u32 v8, v8, 23, 0x3c000000
	v_and_b32_e32 v10, 0x80000000, v10
	v_or3_b32 v6, v6, v10, v8
	v_mov_b32_e32 v18, v7
	v_mov_b32_e32 v17, v6
.LBB210_1070:                           ;   in Loop: Header=BB210_995 Depth=1
	s_or_b32 exec_lo, exec_lo, s18
.LBB210_1071:                           ;   in Loop: Header=BB210_995 Depth=1
	s_or_b32 exec_lo, exec_lo, s17
.LBB210_1072:                           ;   in Loop: Header=BB210_995 Depth=1
	s_or_b32 exec_lo, exec_lo, s15
	v_cmp_ne_u16_sdwa s4, v23, v7 src0_sel:BYTE_1 src1_sel:DWORD
	s_and_saveexec_b32 s15, s4
	s_cbranch_execz .LBB210_1080
; %bb.1073:                             ;   in Loop: Header=BB210_995 Depth=1
	v_mov_b32_e32 v8, v7
	v_mov_b32_e32 v20, v9
	v_cmp_ne_u16_sdwa s4, v23, v83 src0_sel:BYTE_1 src1_sel:DWORD
	v_mov_b32_e32 v19, v8
	s_and_saveexec_b32 s17, s4
	s_cbranch_execz .LBB210_1079
; %bb.1074:                             ;   in Loop: Header=BB210_995 Depth=1
	v_mov_b32_e32 v6, 0xffff
	v_mov_b32_e32 v11, v7
	;; [unrolled: 1-line block ×3, first 2 shown]
	s_mov_b32 s18, exec_lo
	v_and_b32_sdwa v6, v6, v23 dst_sel:DWORD dst_unused:UNUSED_PAD src0_sel:DWORD src1_sel:BYTE_1
	v_mov_b32_e32 v19, v11
	v_and_b32_e32 v10, 0x7f, v6
	v_cmpx_ne_u32_e32 0x7f, v10
	s_cbranch_execz .LBB210_1078
; %bb.1075:                             ;   in Loop: Header=BB210_995 Depth=1
	v_and_b32_e32 v6, 7, v6
	v_lshrrev_b32_e32 v8, 3, v10
	s_mov_b32 s19, exec_lo
	v_cmpx_gt_u32_e32 8, v10
; %bb.1076:                             ;   in Loop: Header=BB210_995 Depth=1
	v_ffbh_u32_e32 v8, v6
	v_min_u32_e32 v8, 32, v8
	v_subrev_nc_u32_e32 v10, 28, v8
	v_sub_nc_u32_e32 v8, 29, v8
	v_lshlrev_b64 v[10:11], v10, v[6:7]
	v_and_b32_e32 v6, 7, v10
; %bb.1077:                             ;   in Loop: Header=BB210_995 Depth=1
	s_or_b32 exec_lo, exec_lo, s19
	v_lshlrev_b32_e32 v10, 16, v23
	v_lshlrev_b32_e32 v6, 20, v6
	v_lshl_add_u32 v8, v8, 23, 0x3c000000
	v_mov_b32_e32 v19, v7
	v_and_b32_e32 v10, 0x80000000, v10
	v_or3_b32 v20, v6, v10, v8
.LBB210_1078:                           ;   in Loop: Header=BB210_995 Depth=1
	s_or_b32 exec_lo, exec_lo, s18
.LBB210_1079:                           ;   in Loop: Header=BB210_995 Depth=1
	s_or_b32 exec_lo, exec_lo, s17
.LBB210_1080:                           ;   in Loop: Header=BB210_995 Depth=1
	s_or_b32 exec_lo, exec_lo, s15
	v_mov_b32_e32 v10, 0
	v_mov_b32_e32 v21, 0
	v_and_b32_sdwa v6, v23, v85 dst_sel:DWORD dst_unused:UNUSED_PAD src0_sel:WORD_1 src1_sel:DWORD
	v_mov_b32_e32 v11, 0
	v_mov_b32_e32 v22, 0
	s_mov_b32 s15, exec_lo
	v_cmpx_ne_u16_e32 0, v6
	s_cbranch_execz .LBB210_1088
; %bb.1081:                             ;   in Loop: Header=BB210_995 Depth=1
	v_bfrev_b32_e32 v21, 1
	v_mov_b32_e32 v22, 0
	s_mov_b32 s17, exec_lo
	v_cmpx_ne_u16_e32 0x80, v6
	s_cbranch_execz .LBB210_1087
; %bb.1082:                             ;   in Loop: Header=BB210_995 Depth=1
	v_mov_b32_e32 v21, 0x7f800001
	v_bfe_u32 v24, v23, 16, 7
	v_mov_b32_e32 v22, 0
	s_mov_b32 s18, exec_lo
	v_cmpx_ne_u32_e32 0x7f, v24
	s_cbranch_execz .LBB210_1086
; %bb.1083:                             ;   in Loop: Header=BB210_995 Depth=1
	v_mov_b32_e32 v6, 7
	v_lshrrev_b32_e32 v8, 3, v24
	s_mov_b32 s19, exec_lo
	v_and_b32_sdwa v6, v23, v6 dst_sel:DWORD dst_unused:UNUSED_PAD src0_sel:WORD_1 src1_sel:DWORD
	v_cmpx_gt_u32_e32 8, v24
; %bb.1084:                             ;   in Loop: Header=BB210_995 Depth=1
	v_ffbh_u32_e32 v8, v6
	v_min_u32_e32 v8, 32, v8
	v_subrev_nc_u32_e32 v13, 28, v8
	v_sub_nc_u32_e32 v8, 29, v8
	v_lshlrev_b64 v[21:22], v13, v[6:7]
	v_and_b32_e32 v6, 7, v21
; %bb.1085:                             ;   in Loop: Header=BB210_995 Depth=1
	s_or_b32 exec_lo, exec_lo, s19
	v_mov_b32_e32 v13, 24
	v_lshlrev_b32_e32 v6, 20, v6
	v_lshl_add_u32 v8, v8, 23, 0x3c000000
	v_lshlrev_b32_sdwa v13, v13, v23 dst_sel:DWORD dst_unused:UNUSED_PAD src0_sel:DWORD src1_sel:WORD_1
	v_and_b32_e32 v13, 0x80000000, v13
	v_or3_b32 v6, v6, v13, v8
	v_mov_b32_e32 v22, v7
	v_mov_b32_e32 v21, v6
.LBB210_1086:                           ;   in Loop: Header=BB210_995 Depth=1
	s_or_b32 exec_lo, exec_lo, s18
.LBB210_1087:                           ;   in Loop: Header=BB210_995 Depth=1
	s_or_b32 exec_lo, exec_lo, s17
.LBB210_1088:                           ;   in Loop: Header=BB210_995 Depth=1
	s_or_b32 exec_lo, exec_lo, s15
	s_mov_b32 s15, exec_lo
	v_cmpx_lt_u32_e32 0xffffff, v23
	s_cbranch_execz .LBB210_1096
; %bb.1089:                             ;   in Loop: Header=BB210_995 Depth=1
	v_mov_b32_e32 v8, v7
	v_mov_b32_e32 v11, v9
	v_cmp_ne_u32_sdwa s4, v23, v83 src0_sel:BYTE_3 src1_sel:DWORD
	v_mov_b32_e32 v10, v8
	s_and_saveexec_b32 s17, s4
	s_cbranch_execz .LBB210_1095
; %bb.1090:                             ;   in Loop: Header=BB210_995 Depth=1
	v_mov_b32_e32 v11, v7
	v_bfe_u32 v24, v23, 24, 7
	s_mov_b32 s18, exec_lo
	v_mov_b32_e32 v10, v11
	v_mov_b32_e32 v11, v12
	v_cmpx_ne_u32_e32 0x7f, v24
	s_cbranch_execz .LBB210_1094
; %bb.1091:                             ;   in Loop: Header=BB210_995 Depth=1
	v_mov_b32_e32 v6, 7
	v_lshrrev_b32_e32 v8, 3, v24
	s_mov_b32 s19, exec_lo
	v_and_b32_sdwa v6, v23, v6 dst_sel:DWORD dst_unused:UNUSED_PAD src0_sel:BYTE_3 src1_sel:DWORD
	v_cmpx_gt_u32_e32 8, v24
; %bb.1092:                             ;   in Loop: Header=BB210_995 Depth=1
	v_ffbh_u32_e32 v8, v6
	v_min_u32_e32 v8, 32, v8
	v_subrev_nc_u32_e32 v10, 28, v8
	v_sub_nc_u32_e32 v8, 29, v8
	v_lshlrev_b64 v[10:11], v10, v[6:7]
	v_and_b32_e32 v6, 7, v10
; %bb.1093:                             ;   in Loop: Header=BB210_995 Depth=1
	s_or_b32 exec_lo, exec_lo, s19
	v_mov_b32_e32 v10, 24
	v_lshlrev_b32_e32 v6, 20, v6
	v_lshl_add_u32 v8, v8, 23, 0x3c000000
	v_lshlrev_b32_sdwa v10, v10, v23 dst_sel:DWORD dst_unused:UNUSED_PAD src0_sel:DWORD src1_sel:BYTE_3
	v_and_b32_e32 v10, 0x80000000, v10
	v_or3_b32 v11, v6, v10, v8
	v_mov_b32_e32 v10, v7
.LBB210_1094:                           ;   in Loop: Header=BB210_995 Depth=1
	s_or_b32 exec_lo, exec_lo, s18
.LBB210_1095:                           ;   in Loop: Header=BB210_995 Depth=1
	s_or_b32 exec_lo, exec_lo, s17
.LBB210_1096:                           ;   in Loop: Header=BB210_995 Depth=1
	s_or_b32 exec_lo, exec_lo, s15
	v_or_b32_e32 v6, v20, v18
	v_or_b32_e32 v8, v19, v17
	;; [unrolled: 1-line block ×4, first 2 shown]
	v_mul_f32_e32 v6, v100, v6
	buffer_store_dword v6, off, s[0:3], s32 offset:308 ; 4-byte Folded Spill
	v_mul_f32_e32 v6, v100, v8
	buffer_store_dword v6, off, s[0:3], s32 offset:300 ; 4-byte Folded Spill
	v_mul_f32_e32 v6, v100, v10
	buffer_store_dword v6, off, s[0:3], s32 offset:292 ; 4-byte Folded Spill
	v_mul_f32_e32 v6, v100, v11
	buffer_store_dword v6, off, s[0:3], s32 offset:284 ; 4-byte Folded Spill
	s_and_saveexec_b32 s15, vcc_lo
	s_cbranch_execz .LBB210_1098
; %bb.1097:                             ;   in Loop: Header=BB210_995 Depth=1
	s_clause 0x1
	buffer_load_dword v6, off, s[0:3], s32 offset:192
	buffer_load_dword v8, off, s[0:3], s32 offset:300
	s_waitcnt vmcnt(1)
	v_cmp_lt_i32_e64 s4, v113, v6
	s_waitcnt vmcnt(0)
	v_cndmask_b32_e64 v8, 0, v8, s4
	v_cmp_lt_i32_e64 s4, v116, v6
	buffer_store_dword v8, off, s[0:3], s32 offset:300 ; 4-byte Folded Spill
	buffer_load_dword v8, off, s[0:3], s32 offset:308 ; 4-byte Folded Reload
	s_waitcnt vmcnt(0)
	v_cndmask_b32_e64 v8, 0, v8, s4
	v_cmp_lt_i32_e64 s4, v115, v6
	buffer_store_dword v8, off, s[0:3], s32 offset:308 ; 4-byte Folded Spill
	buffer_load_dword v8, off, s[0:3], s32 offset:292 ; 4-byte Folded Reload
	s_waitcnt vmcnt(0)
	v_cndmask_b32_e64 v8, 0, v8, s4
	v_cmp_lt_i32_e64 s4, v114, v6
	buffer_load_dword v6, off, s[0:3], s32 offset:284 ; 4-byte Folded Reload
	buffer_store_dword v8, off, s[0:3], s32 offset:292 ; 4-byte Folded Spill
	s_waitcnt vmcnt(0)
	v_cndmask_b32_e64 v6, 0, v6, s4
	buffer_store_dword v6, off, s[0:3], s32 offset:284 ; 4-byte Folded Spill
.LBB210_1098:                           ;   in Loop: Header=BB210_995 Depth=1
	s_or_b32 exec_lo, exec_lo, s15
	flat_load_dword v23, v[0:1] offset:384
	v_mov_b32_e32 v19, 0
	v_mov_b32_e32 v17, 0
	;; [unrolled: 1-line block ×4, first 2 shown]
	s_waitcnt vmcnt(0) lgkmcnt(0)
	v_cmp_ne_u16_sdwa s4, v23, v7 src0_sel:BYTE_0 src1_sel:DWORD
	s_and_saveexec_b32 s15, s4
	s_cbranch_execz .LBB210_1106
; %bb.1099:                             ;   in Loop: Header=BB210_995 Depth=1
	v_bfrev_b32_e32 v17, 1
	v_mov_b32_e32 v18, 0
	v_cmp_ne_u16_sdwa s4, v23, v83 src0_sel:BYTE_0 src1_sel:DWORD
	s_and_saveexec_b32 s17, s4
	s_cbranch_execz .LBB210_1105
; %bb.1100:                             ;   in Loop: Header=BB210_995 Depth=1
	v_mov_b32_e32 v17, 0x7f800001
	v_and_b32_e32 v10, 0x7f, v23
	v_mov_b32_e32 v18, 0
	s_mov_b32 s18, exec_lo
	v_cmpx_ne_u32_e32 0x7f, v10
	s_cbranch_execz .LBB210_1104
; %bb.1101:                             ;   in Loop: Header=BB210_995 Depth=1
	v_and_b32_e32 v6, 7, v23
	v_lshrrev_b32_e32 v8, 3, v10
	s_mov_b32 s19, exec_lo
	v_cmpx_gt_u32_e32 8, v10
; %bb.1102:                             ;   in Loop: Header=BB210_995 Depth=1
	v_ffbh_u32_e32 v8, v6
	v_min_u32_e32 v8, 32, v8
	v_subrev_nc_u32_e32 v10, 28, v8
	v_sub_nc_u32_e32 v8, 29, v8
	v_lshlrev_b64 v[10:11], v10, v[6:7]
	v_and_b32_e32 v6, 7, v10
; %bb.1103:                             ;   in Loop: Header=BB210_995 Depth=1
	s_or_b32 exec_lo, exec_lo, s19
	v_lshlrev_b32_e32 v10, 24, v23
	v_lshlrev_b32_e32 v6, 20, v6
	v_lshl_add_u32 v8, v8, 23, 0x3c000000
	v_and_b32_e32 v10, 0x80000000, v10
	v_or3_b32 v6, v6, v10, v8
	v_mov_b32_e32 v18, v7
	v_mov_b32_e32 v17, v6
.LBB210_1104:                           ;   in Loop: Header=BB210_995 Depth=1
	s_or_b32 exec_lo, exec_lo, s18
.LBB210_1105:                           ;   in Loop: Header=BB210_995 Depth=1
	s_or_b32 exec_lo, exec_lo, s17
.LBB210_1106:                           ;   in Loop: Header=BB210_995 Depth=1
	s_or_b32 exec_lo, exec_lo, s15
	v_cmp_ne_u16_sdwa s4, v23, v7 src0_sel:BYTE_1 src1_sel:DWORD
	s_and_saveexec_b32 s15, s4
	s_cbranch_execz .LBB210_1114
; %bb.1107:                             ;   in Loop: Header=BB210_995 Depth=1
	v_mov_b32_e32 v8, v7
	v_mov_b32_e32 v20, v9
	v_cmp_ne_u16_sdwa s4, v23, v83 src0_sel:BYTE_1 src1_sel:DWORD
	v_mov_b32_e32 v19, v8
	s_and_saveexec_b32 s17, s4
	s_cbranch_execz .LBB210_1113
; %bb.1108:                             ;   in Loop: Header=BB210_995 Depth=1
	v_mov_b32_e32 v6, 0xffff
	v_mov_b32_e32 v11, v7
	;; [unrolled: 1-line block ×3, first 2 shown]
	s_mov_b32 s18, exec_lo
	v_and_b32_sdwa v6, v6, v23 dst_sel:DWORD dst_unused:UNUSED_PAD src0_sel:DWORD src1_sel:BYTE_1
	v_mov_b32_e32 v19, v11
	v_and_b32_e32 v10, 0x7f, v6
	v_cmpx_ne_u32_e32 0x7f, v10
	s_cbranch_execz .LBB210_1112
; %bb.1109:                             ;   in Loop: Header=BB210_995 Depth=1
	v_and_b32_e32 v6, 7, v6
	v_lshrrev_b32_e32 v8, 3, v10
	s_mov_b32 s19, exec_lo
	v_cmpx_gt_u32_e32 8, v10
; %bb.1110:                             ;   in Loop: Header=BB210_995 Depth=1
	v_ffbh_u32_e32 v8, v6
	v_min_u32_e32 v8, 32, v8
	v_subrev_nc_u32_e32 v10, 28, v8
	v_sub_nc_u32_e32 v8, 29, v8
	v_lshlrev_b64 v[10:11], v10, v[6:7]
	v_and_b32_e32 v6, 7, v10
; %bb.1111:                             ;   in Loop: Header=BB210_995 Depth=1
	s_or_b32 exec_lo, exec_lo, s19
	v_lshlrev_b32_e32 v10, 16, v23
	v_lshlrev_b32_e32 v6, 20, v6
	v_lshl_add_u32 v8, v8, 23, 0x3c000000
	v_mov_b32_e32 v19, v7
	v_and_b32_e32 v10, 0x80000000, v10
	v_or3_b32 v20, v6, v10, v8
.LBB210_1112:                           ;   in Loop: Header=BB210_995 Depth=1
	s_or_b32 exec_lo, exec_lo, s18
.LBB210_1113:                           ;   in Loop: Header=BB210_995 Depth=1
	s_or_b32 exec_lo, exec_lo, s17
.LBB210_1114:                           ;   in Loop: Header=BB210_995 Depth=1
	s_or_b32 exec_lo, exec_lo, s15
	v_mov_b32_e32 v10, 0
	v_mov_b32_e32 v21, 0
	v_and_b32_sdwa v6, v23, v85 dst_sel:DWORD dst_unused:UNUSED_PAD src0_sel:WORD_1 src1_sel:DWORD
	v_mov_b32_e32 v11, 0
	v_mov_b32_e32 v22, 0
	s_mov_b32 s15, exec_lo
	v_cmpx_ne_u16_e32 0, v6
	s_cbranch_execz .LBB210_1122
; %bb.1115:                             ;   in Loop: Header=BB210_995 Depth=1
	v_bfrev_b32_e32 v21, 1
	v_mov_b32_e32 v22, 0
	s_mov_b32 s17, exec_lo
	v_cmpx_ne_u16_e32 0x80, v6
	s_cbranch_execz .LBB210_1121
; %bb.1116:                             ;   in Loop: Header=BB210_995 Depth=1
	v_mov_b32_e32 v21, 0x7f800001
	v_bfe_u32 v24, v23, 16, 7
	v_mov_b32_e32 v22, 0
	s_mov_b32 s18, exec_lo
	v_cmpx_ne_u32_e32 0x7f, v24
	s_cbranch_execz .LBB210_1120
; %bb.1117:                             ;   in Loop: Header=BB210_995 Depth=1
	v_mov_b32_e32 v6, 7
	v_lshrrev_b32_e32 v8, 3, v24
	s_mov_b32 s19, exec_lo
	v_and_b32_sdwa v6, v23, v6 dst_sel:DWORD dst_unused:UNUSED_PAD src0_sel:WORD_1 src1_sel:DWORD
	v_cmpx_gt_u32_e32 8, v24
; %bb.1118:                             ;   in Loop: Header=BB210_995 Depth=1
	v_ffbh_u32_e32 v8, v6
	v_min_u32_e32 v8, 32, v8
	v_subrev_nc_u32_e32 v13, 28, v8
	v_sub_nc_u32_e32 v8, 29, v8
	v_lshlrev_b64 v[21:22], v13, v[6:7]
	v_and_b32_e32 v6, 7, v21
; %bb.1119:                             ;   in Loop: Header=BB210_995 Depth=1
	s_or_b32 exec_lo, exec_lo, s19
	v_mov_b32_e32 v13, 24
	v_lshlrev_b32_e32 v6, 20, v6
	v_lshl_add_u32 v8, v8, 23, 0x3c000000
	v_lshlrev_b32_sdwa v13, v13, v23 dst_sel:DWORD dst_unused:UNUSED_PAD src0_sel:DWORD src1_sel:WORD_1
	v_and_b32_e32 v13, 0x80000000, v13
	v_or3_b32 v6, v6, v13, v8
	v_mov_b32_e32 v22, v7
	v_mov_b32_e32 v21, v6
.LBB210_1120:                           ;   in Loop: Header=BB210_995 Depth=1
	s_or_b32 exec_lo, exec_lo, s18
.LBB210_1121:                           ;   in Loop: Header=BB210_995 Depth=1
	s_or_b32 exec_lo, exec_lo, s17
.LBB210_1122:                           ;   in Loop: Header=BB210_995 Depth=1
	s_or_b32 exec_lo, exec_lo, s15
	s_mov_b32 s15, exec_lo
	v_cmpx_lt_u32_e32 0xffffff, v23
	s_cbranch_execz .LBB210_1130
; %bb.1123:                             ;   in Loop: Header=BB210_995 Depth=1
	v_mov_b32_e32 v8, v7
	v_mov_b32_e32 v11, v9
	v_cmp_ne_u32_sdwa s4, v23, v83 src0_sel:BYTE_3 src1_sel:DWORD
	v_mov_b32_e32 v10, v8
	s_and_saveexec_b32 s17, s4
	s_cbranch_execz .LBB210_1129
; %bb.1124:                             ;   in Loop: Header=BB210_995 Depth=1
	v_mov_b32_e32 v11, v7
	v_bfe_u32 v24, v23, 24, 7
	s_mov_b32 s18, exec_lo
	v_mov_b32_e32 v10, v11
	v_mov_b32_e32 v11, v12
	v_cmpx_ne_u32_e32 0x7f, v24
	s_cbranch_execz .LBB210_1128
; %bb.1125:                             ;   in Loop: Header=BB210_995 Depth=1
	v_mov_b32_e32 v6, 7
	v_lshrrev_b32_e32 v8, 3, v24
	s_mov_b32 s19, exec_lo
	v_and_b32_sdwa v6, v23, v6 dst_sel:DWORD dst_unused:UNUSED_PAD src0_sel:BYTE_3 src1_sel:DWORD
	v_cmpx_gt_u32_e32 8, v24
; %bb.1126:                             ;   in Loop: Header=BB210_995 Depth=1
	v_ffbh_u32_e32 v8, v6
	v_min_u32_e32 v8, 32, v8
	v_subrev_nc_u32_e32 v10, 28, v8
	v_sub_nc_u32_e32 v8, 29, v8
	v_lshlrev_b64 v[10:11], v10, v[6:7]
	v_and_b32_e32 v6, 7, v10
; %bb.1127:                             ;   in Loop: Header=BB210_995 Depth=1
	s_or_b32 exec_lo, exec_lo, s19
	v_mov_b32_e32 v10, 24
	v_lshlrev_b32_e32 v6, 20, v6
	v_lshl_add_u32 v8, v8, 23, 0x3c000000
	v_lshlrev_b32_sdwa v10, v10, v23 dst_sel:DWORD dst_unused:UNUSED_PAD src0_sel:DWORD src1_sel:BYTE_3
	v_and_b32_e32 v10, 0x80000000, v10
	v_or3_b32 v11, v6, v10, v8
	v_mov_b32_e32 v10, v7
.LBB210_1128:                           ;   in Loop: Header=BB210_995 Depth=1
	s_or_b32 exec_lo, exec_lo, s18
.LBB210_1129:                           ;   in Loop: Header=BB210_995 Depth=1
	s_or_b32 exec_lo, exec_lo, s17
.LBB210_1130:                           ;   in Loop: Header=BB210_995 Depth=1
	s_or_b32 exec_lo, exec_lo, s15
	v_or_b32_e32 v6, v20, v18
	v_or_b32_e32 v8, v19, v17
	v_or_b32_e32 v10, v10, v21
	v_or_b32_e32 v11, v11, v22
	v_mul_f32_e32 v6, v100, v6
	buffer_store_dword v6, off, s[0:3], s32 offset:340 ; 4-byte Folded Spill
	v_mul_f32_e32 v6, v100, v8
	buffer_store_dword v6, off, s[0:3], s32 offset:332 ; 4-byte Folded Spill
	;; [unrolled: 2-line block ×4, first 2 shown]
	s_and_saveexec_b32 s15, vcc_lo
	s_cbranch_execz .LBB210_1132
; %bb.1131:                             ;   in Loop: Header=BB210_995 Depth=1
	s_clause 0x1
	buffer_load_dword v6, off, s[0:3], s32 offset:192
	buffer_load_dword v8, off, s[0:3], s32 offset:332
	s_waitcnt vmcnt(1)
	v_cmp_lt_i32_e64 s4, v113, v6
	s_waitcnt vmcnt(0)
	v_cndmask_b32_e64 v8, 0, v8, s4
	v_cmp_lt_i32_e64 s4, v116, v6
	buffer_store_dword v8, off, s[0:3], s32 offset:332 ; 4-byte Folded Spill
	buffer_load_dword v8, off, s[0:3], s32 offset:340 ; 4-byte Folded Reload
	s_waitcnt vmcnt(0)
	v_cndmask_b32_e64 v8, 0, v8, s4
	v_cmp_lt_i32_e64 s4, v115, v6
	buffer_store_dword v8, off, s[0:3], s32 offset:340 ; 4-byte Folded Spill
	buffer_load_dword v8, off, s[0:3], s32 offset:324 ; 4-byte Folded Reload
	s_waitcnt vmcnt(0)
	v_cndmask_b32_e64 v8, 0, v8, s4
	v_cmp_lt_i32_e64 s4, v114, v6
	buffer_load_dword v6, off, s[0:3], s32 offset:316 ; 4-byte Folded Reload
	buffer_store_dword v8, off, s[0:3], s32 offset:324 ; 4-byte Folded Spill
	s_waitcnt vmcnt(0)
	v_cndmask_b32_e64 v6, 0, v6, s4
	buffer_store_dword v6, off, s[0:3], s32 offset:316 ; 4-byte Folded Spill
.LBB210_1132:                           ;   in Loop: Header=BB210_995 Depth=1
	s_or_b32 exec_lo, exec_lo, s15
	flat_load_dword v23, v[0:1] offset:512
	v_mov_b32_e32 v19, 0
	v_mov_b32_e32 v17, 0
	;; [unrolled: 1-line block ×4, first 2 shown]
	s_waitcnt vmcnt(0) lgkmcnt(0)
	v_cmp_ne_u16_sdwa s4, v23, v7 src0_sel:BYTE_0 src1_sel:DWORD
	s_and_saveexec_b32 s15, s4
	s_cbranch_execz .LBB210_1140
; %bb.1133:                             ;   in Loop: Header=BB210_995 Depth=1
	v_bfrev_b32_e32 v17, 1
	v_mov_b32_e32 v18, 0
	v_cmp_ne_u16_sdwa s4, v23, v83 src0_sel:BYTE_0 src1_sel:DWORD
	s_and_saveexec_b32 s17, s4
	s_cbranch_execz .LBB210_1139
; %bb.1134:                             ;   in Loop: Header=BB210_995 Depth=1
	v_mov_b32_e32 v17, 0x7f800001
	v_and_b32_e32 v10, 0x7f, v23
	v_mov_b32_e32 v18, 0
	s_mov_b32 s18, exec_lo
	v_cmpx_ne_u32_e32 0x7f, v10
	s_cbranch_execz .LBB210_1138
; %bb.1135:                             ;   in Loop: Header=BB210_995 Depth=1
	v_and_b32_e32 v6, 7, v23
	v_lshrrev_b32_e32 v8, 3, v10
	s_mov_b32 s19, exec_lo
	v_cmpx_gt_u32_e32 8, v10
; %bb.1136:                             ;   in Loop: Header=BB210_995 Depth=1
	v_ffbh_u32_e32 v8, v6
	v_min_u32_e32 v8, 32, v8
	v_subrev_nc_u32_e32 v10, 28, v8
	v_sub_nc_u32_e32 v8, 29, v8
	v_lshlrev_b64 v[10:11], v10, v[6:7]
	v_and_b32_e32 v6, 7, v10
; %bb.1137:                             ;   in Loop: Header=BB210_995 Depth=1
	s_or_b32 exec_lo, exec_lo, s19
	v_lshlrev_b32_e32 v10, 24, v23
	v_lshlrev_b32_e32 v6, 20, v6
	v_lshl_add_u32 v8, v8, 23, 0x3c000000
	v_and_b32_e32 v10, 0x80000000, v10
	v_or3_b32 v6, v6, v10, v8
	v_mov_b32_e32 v18, v7
	v_mov_b32_e32 v17, v6
.LBB210_1138:                           ;   in Loop: Header=BB210_995 Depth=1
	s_or_b32 exec_lo, exec_lo, s18
.LBB210_1139:                           ;   in Loop: Header=BB210_995 Depth=1
	s_or_b32 exec_lo, exec_lo, s17
.LBB210_1140:                           ;   in Loop: Header=BB210_995 Depth=1
	s_or_b32 exec_lo, exec_lo, s15
	v_cmp_ne_u16_sdwa s4, v23, v7 src0_sel:BYTE_1 src1_sel:DWORD
	s_and_saveexec_b32 s15, s4
	s_cbranch_execz .LBB210_1148
; %bb.1141:                             ;   in Loop: Header=BB210_995 Depth=1
	v_mov_b32_e32 v8, v7
	v_mov_b32_e32 v20, v9
	v_cmp_ne_u16_sdwa s4, v23, v83 src0_sel:BYTE_1 src1_sel:DWORD
	v_mov_b32_e32 v19, v8
	s_and_saveexec_b32 s17, s4
	s_cbranch_execz .LBB210_1147
; %bb.1142:                             ;   in Loop: Header=BB210_995 Depth=1
	v_mov_b32_e32 v6, 0xffff
	v_mov_b32_e32 v11, v7
	;; [unrolled: 1-line block ×3, first 2 shown]
	s_mov_b32 s18, exec_lo
	v_and_b32_sdwa v6, v6, v23 dst_sel:DWORD dst_unused:UNUSED_PAD src0_sel:DWORD src1_sel:BYTE_1
	v_mov_b32_e32 v19, v11
	v_and_b32_e32 v10, 0x7f, v6
	v_cmpx_ne_u32_e32 0x7f, v10
	s_cbranch_execz .LBB210_1146
; %bb.1143:                             ;   in Loop: Header=BB210_995 Depth=1
	v_and_b32_e32 v6, 7, v6
	v_lshrrev_b32_e32 v8, 3, v10
	s_mov_b32 s19, exec_lo
	v_cmpx_gt_u32_e32 8, v10
; %bb.1144:                             ;   in Loop: Header=BB210_995 Depth=1
	v_ffbh_u32_e32 v8, v6
	v_min_u32_e32 v8, 32, v8
	v_subrev_nc_u32_e32 v10, 28, v8
	v_sub_nc_u32_e32 v8, 29, v8
	v_lshlrev_b64 v[10:11], v10, v[6:7]
	v_and_b32_e32 v6, 7, v10
; %bb.1145:                             ;   in Loop: Header=BB210_995 Depth=1
	s_or_b32 exec_lo, exec_lo, s19
	v_lshlrev_b32_e32 v10, 16, v23
	v_lshlrev_b32_e32 v6, 20, v6
	v_lshl_add_u32 v8, v8, 23, 0x3c000000
	v_mov_b32_e32 v19, v7
	v_and_b32_e32 v10, 0x80000000, v10
	v_or3_b32 v20, v6, v10, v8
.LBB210_1146:                           ;   in Loop: Header=BB210_995 Depth=1
	s_or_b32 exec_lo, exec_lo, s18
.LBB210_1147:                           ;   in Loop: Header=BB210_995 Depth=1
	s_or_b32 exec_lo, exec_lo, s17
.LBB210_1148:                           ;   in Loop: Header=BB210_995 Depth=1
	s_or_b32 exec_lo, exec_lo, s15
	v_mov_b32_e32 v10, 0
	v_mov_b32_e32 v21, 0
	v_and_b32_sdwa v6, v23, v85 dst_sel:DWORD dst_unused:UNUSED_PAD src0_sel:WORD_1 src1_sel:DWORD
	v_mov_b32_e32 v11, 0
	v_mov_b32_e32 v22, 0
	s_mov_b32 s15, exec_lo
	v_cmpx_ne_u16_e32 0, v6
	s_cbranch_execz .LBB210_1156
; %bb.1149:                             ;   in Loop: Header=BB210_995 Depth=1
	v_bfrev_b32_e32 v21, 1
	v_mov_b32_e32 v22, 0
	s_mov_b32 s17, exec_lo
	v_cmpx_ne_u16_e32 0x80, v6
	s_cbranch_execz .LBB210_1155
; %bb.1150:                             ;   in Loop: Header=BB210_995 Depth=1
	v_mov_b32_e32 v21, 0x7f800001
	v_bfe_u32 v24, v23, 16, 7
	v_mov_b32_e32 v22, 0
	s_mov_b32 s18, exec_lo
	v_cmpx_ne_u32_e32 0x7f, v24
	s_cbranch_execz .LBB210_1154
; %bb.1151:                             ;   in Loop: Header=BB210_995 Depth=1
	v_mov_b32_e32 v6, 7
	v_lshrrev_b32_e32 v8, 3, v24
	s_mov_b32 s19, exec_lo
	v_and_b32_sdwa v6, v23, v6 dst_sel:DWORD dst_unused:UNUSED_PAD src0_sel:WORD_1 src1_sel:DWORD
	v_cmpx_gt_u32_e32 8, v24
; %bb.1152:                             ;   in Loop: Header=BB210_995 Depth=1
	v_ffbh_u32_e32 v8, v6
	v_min_u32_e32 v8, 32, v8
	v_subrev_nc_u32_e32 v13, 28, v8
	v_sub_nc_u32_e32 v8, 29, v8
	v_lshlrev_b64 v[21:22], v13, v[6:7]
	v_and_b32_e32 v6, 7, v21
; %bb.1153:                             ;   in Loop: Header=BB210_995 Depth=1
	s_or_b32 exec_lo, exec_lo, s19
	v_mov_b32_e32 v13, 24
	v_lshlrev_b32_e32 v6, 20, v6
	v_lshl_add_u32 v8, v8, 23, 0x3c000000
	v_lshlrev_b32_sdwa v13, v13, v23 dst_sel:DWORD dst_unused:UNUSED_PAD src0_sel:DWORD src1_sel:WORD_1
	v_and_b32_e32 v13, 0x80000000, v13
	v_or3_b32 v6, v6, v13, v8
	v_mov_b32_e32 v22, v7
	v_mov_b32_e32 v21, v6
.LBB210_1154:                           ;   in Loop: Header=BB210_995 Depth=1
	s_or_b32 exec_lo, exec_lo, s18
.LBB210_1155:                           ;   in Loop: Header=BB210_995 Depth=1
	s_or_b32 exec_lo, exec_lo, s17
.LBB210_1156:                           ;   in Loop: Header=BB210_995 Depth=1
	s_or_b32 exec_lo, exec_lo, s15
	s_mov_b32 s15, exec_lo
	v_cmpx_lt_u32_e32 0xffffff, v23
	s_cbranch_execz .LBB210_1164
; %bb.1157:                             ;   in Loop: Header=BB210_995 Depth=1
	v_mov_b32_e32 v8, v7
	v_mov_b32_e32 v11, v9
	v_cmp_ne_u32_sdwa s4, v23, v83 src0_sel:BYTE_3 src1_sel:DWORD
	v_mov_b32_e32 v10, v8
	s_and_saveexec_b32 s17, s4
	s_cbranch_execz .LBB210_1163
; %bb.1158:                             ;   in Loop: Header=BB210_995 Depth=1
	v_mov_b32_e32 v11, v7
	v_bfe_u32 v24, v23, 24, 7
	s_mov_b32 s18, exec_lo
	v_mov_b32_e32 v10, v11
	v_mov_b32_e32 v11, v12
	v_cmpx_ne_u32_e32 0x7f, v24
	s_cbranch_execz .LBB210_1162
; %bb.1159:                             ;   in Loop: Header=BB210_995 Depth=1
	v_mov_b32_e32 v6, 7
	v_lshrrev_b32_e32 v8, 3, v24
	s_mov_b32 s19, exec_lo
	v_and_b32_sdwa v6, v23, v6 dst_sel:DWORD dst_unused:UNUSED_PAD src0_sel:BYTE_3 src1_sel:DWORD
	v_cmpx_gt_u32_e32 8, v24
; %bb.1160:                             ;   in Loop: Header=BB210_995 Depth=1
	v_ffbh_u32_e32 v8, v6
	v_min_u32_e32 v8, 32, v8
	v_subrev_nc_u32_e32 v10, 28, v8
	v_sub_nc_u32_e32 v8, 29, v8
	v_lshlrev_b64 v[10:11], v10, v[6:7]
	v_and_b32_e32 v6, 7, v10
; %bb.1161:                             ;   in Loop: Header=BB210_995 Depth=1
	s_or_b32 exec_lo, exec_lo, s19
	v_mov_b32_e32 v10, 24
	v_lshlrev_b32_e32 v6, 20, v6
	v_lshl_add_u32 v8, v8, 23, 0x3c000000
	v_lshlrev_b32_sdwa v10, v10, v23 dst_sel:DWORD dst_unused:UNUSED_PAD src0_sel:DWORD src1_sel:BYTE_3
	v_and_b32_e32 v10, 0x80000000, v10
	v_or3_b32 v11, v6, v10, v8
	v_mov_b32_e32 v10, v7
.LBB210_1162:                           ;   in Loop: Header=BB210_995 Depth=1
	s_or_b32 exec_lo, exec_lo, s18
.LBB210_1163:                           ;   in Loop: Header=BB210_995 Depth=1
	s_or_b32 exec_lo, exec_lo, s17
.LBB210_1164:                           ;   in Loop: Header=BB210_995 Depth=1
	s_or_b32 exec_lo, exec_lo, s15
	v_or_b32_e32 v6, v20, v18
	v_or_b32_e32 v8, v19, v17
	;; [unrolled: 1-line block ×4, first 2 shown]
	v_mul_f32_e32 v6, v100, v6
	buffer_store_dword v6, off, s[0:3], s32 offset:372 ; 4-byte Folded Spill
	v_mul_f32_e32 v6, v100, v8
	buffer_store_dword v6, off, s[0:3], s32 offset:364 ; 4-byte Folded Spill
	;; [unrolled: 2-line block ×4, first 2 shown]
	s_and_saveexec_b32 s15, vcc_lo
	s_cbranch_execz .LBB210_1166
; %bb.1165:                             ;   in Loop: Header=BB210_995 Depth=1
	s_clause 0x1
	buffer_load_dword v6, off, s[0:3], s32 offset:192
	buffer_load_dword v8, off, s[0:3], s32 offset:364
	s_waitcnt vmcnt(1)
	v_cmp_lt_i32_e64 s4, v113, v6
	s_waitcnt vmcnt(0)
	v_cndmask_b32_e64 v8, 0, v8, s4
	v_cmp_lt_i32_e64 s4, v116, v6
	buffer_store_dword v8, off, s[0:3], s32 offset:364 ; 4-byte Folded Spill
	buffer_load_dword v8, off, s[0:3], s32 offset:372 ; 4-byte Folded Reload
	s_waitcnt vmcnt(0)
	v_cndmask_b32_e64 v8, 0, v8, s4
	v_cmp_lt_i32_e64 s4, v115, v6
	buffer_store_dword v8, off, s[0:3], s32 offset:372 ; 4-byte Folded Spill
	buffer_load_dword v8, off, s[0:3], s32 offset:356 ; 4-byte Folded Reload
	s_waitcnt vmcnt(0)
	v_cndmask_b32_e64 v8, 0, v8, s4
	v_cmp_lt_i32_e64 s4, v114, v6
	buffer_load_dword v6, off, s[0:3], s32 offset:348 ; 4-byte Folded Reload
	buffer_store_dword v8, off, s[0:3], s32 offset:356 ; 4-byte Folded Spill
	s_waitcnt vmcnt(0)
	v_cndmask_b32_e64 v6, 0, v6, s4
	buffer_store_dword v6, off, s[0:3], s32 offset:348 ; 4-byte Folded Spill
.LBB210_1166:                           ;   in Loop: Header=BB210_995 Depth=1
	s_or_b32 exec_lo, exec_lo, s15
	flat_load_dword v23, v[0:1] offset:640
	v_mov_b32_e32 v19, 0
	v_mov_b32_e32 v17, 0
	;; [unrolled: 1-line block ×4, first 2 shown]
	s_waitcnt vmcnt(0) lgkmcnt(0)
	v_cmp_ne_u16_sdwa s4, v23, v7 src0_sel:BYTE_0 src1_sel:DWORD
	s_and_saveexec_b32 s15, s4
	s_cbranch_execz .LBB210_1174
; %bb.1167:                             ;   in Loop: Header=BB210_995 Depth=1
	v_bfrev_b32_e32 v17, 1
	v_mov_b32_e32 v18, 0
	v_cmp_ne_u16_sdwa s4, v23, v83 src0_sel:BYTE_0 src1_sel:DWORD
	s_and_saveexec_b32 s17, s4
	s_cbranch_execz .LBB210_1173
; %bb.1168:                             ;   in Loop: Header=BB210_995 Depth=1
	v_mov_b32_e32 v17, 0x7f800001
	v_and_b32_e32 v10, 0x7f, v23
	v_mov_b32_e32 v18, 0
	s_mov_b32 s18, exec_lo
	v_cmpx_ne_u32_e32 0x7f, v10
	s_cbranch_execz .LBB210_1172
; %bb.1169:                             ;   in Loop: Header=BB210_995 Depth=1
	v_and_b32_e32 v6, 7, v23
	v_lshrrev_b32_e32 v8, 3, v10
	s_mov_b32 s19, exec_lo
	v_cmpx_gt_u32_e32 8, v10
; %bb.1170:                             ;   in Loop: Header=BB210_995 Depth=1
	v_ffbh_u32_e32 v8, v6
	v_min_u32_e32 v8, 32, v8
	v_subrev_nc_u32_e32 v10, 28, v8
	v_sub_nc_u32_e32 v8, 29, v8
	v_lshlrev_b64 v[10:11], v10, v[6:7]
	v_and_b32_e32 v6, 7, v10
; %bb.1171:                             ;   in Loop: Header=BB210_995 Depth=1
	s_or_b32 exec_lo, exec_lo, s19
	v_lshlrev_b32_e32 v10, 24, v23
	v_lshlrev_b32_e32 v6, 20, v6
	v_lshl_add_u32 v8, v8, 23, 0x3c000000
	v_and_b32_e32 v10, 0x80000000, v10
	v_or3_b32 v6, v6, v10, v8
	v_mov_b32_e32 v18, v7
	v_mov_b32_e32 v17, v6
.LBB210_1172:                           ;   in Loop: Header=BB210_995 Depth=1
	s_or_b32 exec_lo, exec_lo, s18
.LBB210_1173:                           ;   in Loop: Header=BB210_995 Depth=1
	s_or_b32 exec_lo, exec_lo, s17
.LBB210_1174:                           ;   in Loop: Header=BB210_995 Depth=1
	s_or_b32 exec_lo, exec_lo, s15
	v_cmp_ne_u16_sdwa s4, v23, v7 src0_sel:BYTE_1 src1_sel:DWORD
	s_and_saveexec_b32 s15, s4
	s_cbranch_execz .LBB210_1182
; %bb.1175:                             ;   in Loop: Header=BB210_995 Depth=1
	v_mov_b32_e32 v8, v7
	v_mov_b32_e32 v20, v9
	v_cmp_ne_u16_sdwa s4, v23, v83 src0_sel:BYTE_1 src1_sel:DWORD
	v_mov_b32_e32 v19, v8
	s_and_saveexec_b32 s17, s4
	s_cbranch_execz .LBB210_1181
; %bb.1176:                             ;   in Loop: Header=BB210_995 Depth=1
	v_mov_b32_e32 v6, 0xffff
	v_mov_b32_e32 v11, v7
	;; [unrolled: 1-line block ×3, first 2 shown]
	s_mov_b32 s18, exec_lo
	v_and_b32_sdwa v6, v6, v23 dst_sel:DWORD dst_unused:UNUSED_PAD src0_sel:DWORD src1_sel:BYTE_1
	v_mov_b32_e32 v19, v11
	v_and_b32_e32 v10, 0x7f, v6
	v_cmpx_ne_u32_e32 0x7f, v10
	s_cbranch_execz .LBB210_1180
; %bb.1177:                             ;   in Loop: Header=BB210_995 Depth=1
	v_and_b32_e32 v6, 7, v6
	v_lshrrev_b32_e32 v8, 3, v10
	s_mov_b32 s19, exec_lo
	v_cmpx_gt_u32_e32 8, v10
; %bb.1178:                             ;   in Loop: Header=BB210_995 Depth=1
	v_ffbh_u32_e32 v8, v6
	v_min_u32_e32 v8, 32, v8
	v_subrev_nc_u32_e32 v10, 28, v8
	v_sub_nc_u32_e32 v8, 29, v8
	v_lshlrev_b64 v[10:11], v10, v[6:7]
	v_and_b32_e32 v6, 7, v10
; %bb.1179:                             ;   in Loop: Header=BB210_995 Depth=1
	s_or_b32 exec_lo, exec_lo, s19
	v_lshlrev_b32_e32 v10, 16, v23
	v_lshlrev_b32_e32 v6, 20, v6
	v_lshl_add_u32 v8, v8, 23, 0x3c000000
	v_mov_b32_e32 v19, v7
	v_and_b32_e32 v10, 0x80000000, v10
	v_or3_b32 v20, v6, v10, v8
.LBB210_1180:                           ;   in Loop: Header=BB210_995 Depth=1
	s_or_b32 exec_lo, exec_lo, s18
.LBB210_1181:                           ;   in Loop: Header=BB210_995 Depth=1
	s_or_b32 exec_lo, exec_lo, s17
.LBB210_1182:                           ;   in Loop: Header=BB210_995 Depth=1
	s_or_b32 exec_lo, exec_lo, s15
	v_mov_b32_e32 v10, 0
	v_mov_b32_e32 v21, 0
	v_and_b32_sdwa v6, v23, v85 dst_sel:DWORD dst_unused:UNUSED_PAD src0_sel:WORD_1 src1_sel:DWORD
	v_mov_b32_e32 v11, 0
	v_mov_b32_e32 v22, 0
	s_mov_b32 s15, exec_lo
	v_cmpx_ne_u16_e32 0, v6
	s_cbranch_execz .LBB210_1190
; %bb.1183:                             ;   in Loop: Header=BB210_995 Depth=1
	v_bfrev_b32_e32 v21, 1
	v_mov_b32_e32 v22, 0
	s_mov_b32 s17, exec_lo
	v_cmpx_ne_u16_e32 0x80, v6
	s_cbranch_execz .LBB210_1189
; %bb.1184:                             ;   in Loop: Header=BB210_995 Depth=1
	v_mov_b32_e32 v21, 0x7f800001
	v_bfe_u32 v24, v23, 16, 7
	v_mov_b32_e32 v22, 0
	s_mov_b32 s18, exec_lo
	v_cmpx_ne_u32_e32 0x7f, v24
	s_cbranch_execz .LBB210_1188
; %bb.1185:                             ;   in Loop: Header=BB210_995 Depth=1
	v_mov_b32_e32 v6, 7
	v_lshrrev_b32_e32 v8, 3, v24
	s_mov_b32 s19, exec_lo
	v_and_b32_sdwa v6, v23, v6 dst_sel:DWORD dst_unused:UNUSED_PAD src0_sel:WORD_1 src1_sel:DWORD
	v_cmpx_gt_u32_e32 8, v24
; %bb.1186:                             ;   in Loop: Header=BB210_995 Depth=1
	v_ffbh_u32_e32 v8, v6
	v_min_u32_e32 v8, 32, v8
	v_subrev_nc_u32_e32 v13, 28, v8
	v_sub_nc_u32_e32 v8, 29, v8
	v_lshlrev_b64 v[21:22], v13, v[6:7]
	v_and_b32_e32 v6, 7, v21
; %bb.1187:                             ;   in Loop: Header=BB210_995 Depth=1
	s_or_b32 exec_lo, exec_lo, s19
	v_mov_b32_e32 v13, 24
	v_lshlrev_b32_e32 v6, 20, v6
	v_lshl_add_u32 v8, v8, 23, 0x3c000000
	v_lshlrev_b32_sdwa v13, v13, v23 dst_sel:DWORD dst_unused:UNUSED_PAD src0_sel:DWORD src1_sel:WORD_1
	v_and_b32_e32 v13, 0x80000000, v13
	v_or3_b32 v6, v6, v13, v8
	v_mov_b32_e32 v22, v7
	v_mov_b32_e32 v21, v6
.LBB210_1188:                           ;   in Loop: Header=BB210_995 Depth=1
	s_or_b32 exec_lo, exec_lo, s18
.LBB210_1189:                           ;   in Loop: Header=BB210_995 Depth=1
	s_or_b32 exec_lo, exec_lo, s17
.LBB210_1190:                           ;   in Loop: Header=BB210_995 Depth=1
	s_or_b32 exec_lo, exec_lo, s15
	s_mov_b32 s15, exec_lo
	v_cmpx_lt_u32_e32 0xffffff, v23
	s_cbranch_execz .LBB210_1198
; %bb.1191:                             ;   in Loop: Header=BB210_995 Depth=1
	v_mov_b32_e32 v8, v7
	v_mov_b32_e32 v11, v9
	v_cmp_ne_u32_sdwa s4, v23, v83 src0_sel:BYTE_3 src1_sel:DWORD
	v_mov_b32_e32 v10, v8
	s_and_saveexec_b32 s17, s4
	s_cbranch_execz .LBB210_1197
; %bb.1192:                             ;   in Loop: Header=BB210_995 Depth=1
	v_mov_b32_e32 v11, v7
	v_bfe_u32 v24, v23, 24, 7
	s_mov_b32 s18, exec_lo
	v_mov_b32_e32 v10, v11
	v_mov_b32_e32 v11, v12
	v_cmpx_ne_u32_e32 0x7f, v24
	s_cbranch_execz .LBB210_1196
; %bb.1193:                             ;   in Loop: Header=BB210_995 Depth=1
	v_mov_b32_e32 v6, 7
	v_lshrrev_b32_e32 v8, 3, v24
	s_mov_b32 s19, exec_lo
	v_and_b32_sdwa v6, v23, v6 dst_sel:DWORD dst_unused:UNUSED_PAD src0_sel:BYTE_3 src1_sel:DWORD
	v_cmpx_gt_u32_e32 8, v24
; %bb.1194:                             ;   in Loop: Header=BB210_995 Depth=1
	v_ffbh_u32_e32 v8, v6
	v_min_u32_e32 v8, 32, v8
	v_subrev_nc_u32_e32 v10, 28, v8
	v_sub_nc_u32_e32 v8, 29, v8
	v_lshlrev_b64 v[10:11], v10, v[6:7]
	v_and_b32_e32 v6, 7, v10
; %bb.1195:                             ;   in Loop: Header=BB210_995 Depth=1
	s_or_b32 exec_lo, exec_lo, s19
	v_mov_b32_e32 v10, 24
	v_lshlrev_b32_e32 v6, 20, v6
	v_lshl_add_u32 v8, v8, 23, 0x3c000000
	v_lshlrev_b32_sdwa v10, v10, v23 dst_sel:DWORD dst_unused:UNUSED_PAD src0_sel:DWORD src1_sel:BYTE_3
	v_and_b32_e32 v10, 0x80000000, v10
	v_or3_b32 v11, v6, v10, v8
	v_mov_b32_e32 v10, v7
.LBB210_1196:                           ;   in Loop: Header=BB210_995 Depth=1
	s_or_b32 exec_lo, exec_lo, s18
.LBB210_1197:                           ;   in Loop: Header=BB210_995 Depth=1
	s_or_b32 exec_lo, exec_lo, s17
.LBB210_1198:                           ;   in Loop: Header=BB210_995 Depth=1
	s_or_b32 exec_lo, exec_lo, s15
	v_or_b32_e32 v6, v20, v18
	v_or_b32_e32 v8, v19, v17
	;; [unrolled: 1-line block ×4, first 2 shown]
	v_mul_f32_e32 v6, v100, v6
	buffer_store_dword v6, off, s[0:3], s32 offset:404 ; 4-byte Folded Spill
	v_mul_f32_e32 v6, v100, v8
	buffer_store_dword v6, off, s[0:3], s32 offset:396 ; 4-byte Folded Spill
	;; [unrolled: 2-line block ×4, first 2 shown]
	s_and_saveexec_b32 s15, vcc_lo
	s_cbranch_execz .LBB210_1200
; %bb.1199:                             ;   in Loop: Header=BB210_995 Depth=1
	s_clause 0x1
	buffer_load_dword v6, off, s[0:3], s32 offset:192
	buffer_load_dword v8, off, s[0:3], s32 offset:396
	s_waitcnt vmcnt(1)
	v_cmp_lt_i32_e64 s4, v113, v6
	s_waitcnt vmcnt(0)
	v_cndmask_b32_e64 v8, 0, v8, s4
	v_cmp_lt_i32_e64 s4, v116, v6
	buffer_store_dword v8, off, s[0:3], s32 offset:396 ; 4-byte Folded Spill
	buffer_load_dword v8, off, s[0:3], s32 offset:404 ; 4-byte Folded Reload
	s_waitcnt vmcnt(0)
	v_cndmask_b32_e64 v8, 0, v8, s4
	v_cmp_lt_i32_e64 s4, v115, v6
	buffer_store_dword v8, off, s[0:3], s32 offset:404 ; 4-byte Folded Spill
	buffer_load_dword v8, off, s[0:3], s32 offset:388 ; 4-byte Folded Reload
	s_waitcnt vmcnt(0)
	v_cndmask_b32_e64 v8, 0, v8, s4
	v_cmp_lt_i32_e64 s4, v114, v6
	buffer_load_dword v6, off, s[0:3], s32 offset:380 ; 4-byte Folded Reload
	buffer_store_dword v8, off, s[0:3], s32 offset:388 ; 4-byte Folded Spill
	s_waitcnt vmcnt(0)
	v_cndmask_b32_e64 v6, 0, v6, s4
	buffer_store_dword v6, off, s[0:3], s32 offset:380 ; 4-byte Folded Spill
.LBB210_1200:                           ;   in Loop: Header=BB210_995 Depth=1
	s_or_b32 exec_lo, exec_lo, s15
	flat_load_dword v23, v[0:1] offset:768
	v_mov_b32_e32 v19, 0
	v_mov_b32_e32 v17, 0
	;; [unrolled: 1-line block ×4, first 2 shown]
	s_waitcnt vmcnt(0) lgkmcnt(0)
	v_cmp_ne_u16_sdwa s4, v23, v7 src0_sel:BYTE_0 src1_sel:DWORD
	s_and_saveexec_b32 s15, s4
	s_cbranch_execz .LBB210_1208
; %bb.1201:                             ;   in Loop: Header=BB210_995 Depth=1
	v_bfrev_b32_e32 v17, 1
	v_mov_b32_e32 v18, 0
	v_cmp_ne_u16_sdwa s4, v23, v83 src0_sel:BYTE_0 src1_sel:DWORD
	s_and_saveexec_b32 s17, s4
	s_cbranch_execz .LBB210_1207
; %bb.1202:                             ;   in Loop: Header=BB210_995 Depth=1
	v_mov_b32_e32 v17, 0x7f800001
	v_and_b32_e32 v10, 0x7f, v23
	v_mov_b32_e32 v18, 0
	s_mov_b32 s18, exec_lo
	v_cmpx_ne_u32_e32 0x7f, v10
	s_cbranch_execz .LBB210_1206
; %bb.1203:                             ;   in Loop: Header=BB210_995 Depth=1
	v_and_b32_e32 v6, 7, v23
	v_lshrrev_b32_e32 v8, 3, v10
	s_mov_b32 s19, exec_lo
	v_cmpx_gt_u32_e32 8, v10
; %bb.1204:                             ;   in Loop: Header=BB210_995 Depth=1
	v_ffbh_u32_e32 v8, v6
	v_min_u32_e32 v8, 32, v8
	v_subrev_nc_u32_e32 v10, 28, v8
	v_sub_nc_u32_e32 v8, 29, v8
	v_lshlrev_b64 v[10:11], v10, v[6:7]
	v_and_b32_e32 v6, 7, v10
; %bb.1205:                             ;   in Loop: Header=BB210_995 Depth=1
	s_or_b32 exec_lo, exec_lo, s19
	v_lshlrev_b32_e32 v10, 24, v23
	v_lshlrev_b32_e32 v6, 20, v6
	v_lshl_add_u32 v8, v8, 23, 0x3c000000
	v_and_b32_e32 v10, 0x80000000, v10
	v_or3_b32 v6, v6, v10, v8
	v_mov_b32_e32 v18, v7
	v_mov_b32_e32 v17, v6
.LBB210_1206:                           ;   in Loop: Header=BB210_995 Depth=1
	s_or_b32 exec_lo, exec_lo, s18
.LBB210_1207:                           ;   in Loop: Header=BB210_995 Depth=1
	s_or_b32 exec_lo, exec_lo, s17
.LBB210_1208:                           ;   in Loop: Header=BB210_995 Depth=1
	s_or_b32 exec_lo, exec_lo, s15
	v_cmp_ne_u16_sdwa s4, v23, v7 src0_sel:BYTE_1 src1_sel:DWORD
	s_and_saveexec_b32 s15, s4
	s_cbranch_execz .LBB210_1216
; %bb.1209:                             ;   in Loop: Header=BB210_995 Depth=1
	v_mov_b32_e32 v8, v7
	v_mov_b32_e32 v20, v9
	v_cmp_ne_u16_sdwa s4, v23, v83 src0_sel:BYTE_1 src1_sel:DWORD
	v_mov_b32_e32 v19, v8
	s_and_saveexec_b32 s17, s4
	s_cbranch_execz .LBB210_1215
; %bb.1210:                             ;   in Loop: Header=BB210_995 Depth=1
	v_mov_b32_e32 v6, 0xffff
	v_mov_b32_e32 v11, v7
	;; [unrolled: 1-line block ×3, first 2 shown]
	s_mov_b32 s18, exec_lo
	v_and_b32_sdwa v6, v6, v23 dst_sel:DWORD dst_unused:UNUSED_PAD src0_sel:DWORD src1_sel:BYTE_1
	v_mov_b32_e32 v19, v11
	v_and_b32_e32 v10, 0x7f, v6
	v_cmpx_ne_u32_e32 0x7f, v10
	s_cbranch_execz .LBB210_1214
; %bb.1211:                             ;   in Loop: Header=BB210_995 Depth=1
	v_and_b32_e32 v6, 7, v6
	v_lshrrev_b32_e32 v8, 3, v10
	s_mov_b32 s19, exec_lo
	v_cmpx_gt_u32_e32 8, v10
; %bb.1212:                             ;   in Loop: Header=BB210_995 Depth=1
	v_ffbh_u32_e32 v8, v6
	v_min_u32_e32 v8, 32, v8
	v_subrev_nc_u32_e32 v10, 28, v8
	v_sub_nc_u32_e32 v8, 29, v8
	v_lshlrev_b64 v[10:11], v10, v[6:7]
	v_and_b32_e32 v6, 7, v10
; %bb.1213:                             ;   in Loop: Header=BB210_995 Depth=1
	s_or_b32 exec_lo, exec_lo, s19
	v_lshlrev_b32_e32 v10, 16, v23
	v_lshlrev_b32_e32 v6, 20, v6
	v_lshl_add_u32 v8, v8, 23, 0x3c000000
	v_mov_b32_e32 v19, v7
	v_and_b32_e32 v10, 0x80000000, v10
	v_or3_b32 v20, v6, v10, v8
.LBB210_1214:                           ;   in Loop: Header=BB210_995 Depth=1
	s_or_b32 exec_lo, exec_lo, s18
.LBB210_1215:                           ;   in Loop: Header=BB210_995 Depth=1
	s_or_b32 exec_lo, exec_lo, s17
.LBB210_1216:                           ;   in Loop: Header=BB210_995 Depth=1
	s_or_b32 exec_lo, exec_lo, s15
	v_mov_b32_e32 v10, 0
	v_mov_b32_e32 v21, 0
	v_and_b32_sdwa v6, v23, v85 dst_sel:DWORD dst_unused:UNUSED_PAD src0_sel:WORD_1 src1_sel:DWORD
	v_mov_b32_e32 v11, 0
	v_mov_b32_e32 v22, 0
	s_mov_b32 s15, exec_lo
	v_cmpx_ne_u16_e32 0, v6
	s_cbranch_execz .LBB210_1224
; %bb.1217:                             ;   in Loop: Header=BB210_995 Depth=1
	v_bfrev_b32_e32 v21, 1
	v_mov_b32_e32 v22, 0
	s_mov_b32 s17, exec_lo
	v_cmpx_ne_u16_e32 0x80, v6
	s_cbranch_execz .LBB210_1223
; %bb.1218:                             ;   in Loop: Header=BB210_995 Depth=1
	v_mov_b32_e32 v21, 0x7f800001
	v_bfe_u32 v24, v23, 16, 7
	v_mov_b32_e32 v22, 0
	s_mov_b32 s18, exec_lo
	v_cmpx_ne_u32_e32 0x7f, v24
	s_cbranch_execz .LBB210_1222
; %bb.1219:                             ;   in Loop: Header=BB210_995 Depth=1
	v_mov_b32_e32 v6, 7
	v_lshrrev_b32_e32 v8, 3, v24
	s_mov_b32 s19, exec_lo
	v_and_b32_sdwa v6, v23, v6 dst_sel:DWORD dst_unused:UNUSED_PAD src0_sel:WORD_1 src1_sel:DWORD
	v_cmpx_gt_u32_e32 8, v24
; %bb.1220:                             ;   in Loop: Header=BB210_995 Depth=1
	v_ffbh_u32_e32 v8, v6
	v_min_u32_e32 v8, 32, v8
	v_subrev_nc_u32_e32 v13, 28, v8
	v_sub_nc_u32_e32 v8, 29, v8
	v_lshlrev_b64 v[21:22], v13, v[6:7]
	v_and_b32_e32 v6, 7, v21
; %bb.1221:                             ;   in Loop: Header=BB210_995 Depth=1
	s_or_b32 exec_lo, exec_lo, s19
	v_mov_b32_e32 v13, 24
	v_lshlrev_b32_e32 v6, 20, v6
	v_lshl_add_u32 v8, v8, 23, 0x3c000000
	v_lshlrev_b32_sdwa v13, v13, v23 dst_sel:DWORD dst_unused:UNUSED_PAD src0_sel:DWORD src1_sel:WORD_1
	v_and_b32_e32 v13, 0x80000000, v13
	v_or3_b32 v6, v6, v13, v8
	v_mov_b32_e32 v22, v7
	v_mov_b32_e32 v21, v6
.LBB210_1222:                           ;   in Loop: Header=BB210_995 Depth=1
	s_or_b32 exec_lo, exec_lo, s18
.LBB210_1223:                           ;   in Loop: Header=BB210_995 Depth=1
	s_or_b32 exec_lo, exec_lo, s17
.LBB210_1224:                           ;   in Loop: Header=BB210_995 Depth=1
	s_or_b32 exec_lo, exec_lo, s15
	s_mov_b32 s15, exec_lo
	v_cmpx_lt_u32_e32 0xffffff, v23
	s_cbranch_execz .LBB210_1232
; %bb.1225:                             ;   in Loop: Header=BB210_995 Depth=1
	v_mov_b32_e32 v8, v7
	v_mov_b32_e32 v11, v9
	v_cmp_ne_u32_sdwa s4, v23, v83 src0_sel:BYTE_3 src1_sel:DWORD
	v_mov_b32_e32 v10, v8
	s_and_saveexec_b32 s17, s4
	s_cbranch_execz .LBB210_1231
; %bb.1226:                             ;   in Loop: Header=BB210_995 Depth=1
	v_mov_b32_e32 v11, v7
	v_bfe_u32 v24, v23, 24, 7
	s_mov_b32 s18, exec_lo
	v_mov_b32_e32 v10, v11
	v_mov_b32_e32 v11, v12
	v_cmpx_ne_u32_e32 0x7f, v24
	s_cbranch_execz .LBB210_1230
; %bb.1227:                             ;   in Loop: Header=BB210_995 Depth=1
	v_mov_b32_e32 v6, 7
	v_lshrrev_b32_e32 v8, 3, v24
	s_mov_b32 s19, exec_lo
	v_and_b32_sdwa v6, v23, v6 dst_sel:DWORD dst_unused:UNUSED_PAD src0_sel:BYTE_3 src1_sel:DWORD
	v_cmpx_gt_u32_e32 8, v24
; %bb.1228:                             ;   in Loop: Header=BB210_995 Depth=1
	v_ffbh_u32_e32 v8, v6
	v_min_u32_e32 v8, 32, v8
	v_subrev_nc_u32_e32 v10, 28, v8
	v_sub_nc_u32_e32 v8, 29, v8
	v_lshlrev_b64 v[10:11], v10, v[6:7]
	v_and_b32_e32 v6, 7, v10
; %bb.1229:                             ;   in Loop: Header=BB210_995 Depth=1
	s_or_b32 exec_lo, exec_lo, s19
	v_mov_b32_e32 v10, 24
	v_lshlrev_b32_e32 v6, 20, v6
	v_lshl_add_u32 v8, v8, 23, 0x3c000000
	v_lshlrev_b32_sdwa v10, v10, v23 dst_sel:DWORD dst_unused:UNUSED_PAD src0_sel:DWORD src1_sel:BYTE_3
	v_and_b32_e32 v10, 0x80000000, v10
	v_or3_b32 v11, v6, v10, v8
	v_mov_b32_e32 v10, v7
.LBB210_1230:                           ;   in Loop: Header=BB210_995 Depth=1
	s_or_b32 exec_lo, exec_lo, s18
.LBB210_1231:                           ;   in Loop: Header=BB210_995 Depth=1
	s_or_b32 exec_lo, exec_lo, s17
.LBB210_1232:                           ;   in Loop: Header=BB210_995 Depth=1
	s_or_b32 exec_lo, exec_lo, s15
	v_or_b32_e32 v6, v20, v18
	v_or_b32_e32 v8, v19, v17
	;; [unrolled: 1-line block ×4, first 2 shown]
	v_mul_f32_e32 v76, v100, v6
	v_mul_f32_e32 v75, v100, v8
	;; [unrolled: 1-line block ×4, first 2 shown]
	s_and_saveexec_b32 s15, vcc_lo
	s_cbranch_execz .LBB210_1234
; %bb.1233:                             ;   in Loop: Header=BB210_995 Depth=1
	buffer_load_dword v6, off, s[0:3], s32 offset:192 ; 4-byte Folded Reload
	s_waitcnt vmcnt(0)
	v_cmp_lt_i32_e64 s4, v113, v6
	v_cndmask_b32_e64 v75, 0, v75, s4
	v_cmp_lt_i32_e64 s4, v116, v6
	v_cndmask_b32_e64 v76, 0, v76, s4
	;; [unrolled: 2-line block ×4, first 2 shown]
.LBB210_1234:                           ;   in Loop: Header=BB210_995 Depth=1
	s_or_b32 exec_lo, exec_lo, s15
	flat_load_dword v23, v[0:1] offset:896
	v_mov_b32_e32 v19, 0
	v_mov_b32_e32 v17, 0
	;; [unrolled: 1-line block ×4, first 2 shown]
	s_waitcnt vmcnt(0) lgkmcnt(0)
	v_cmp_ne_u16_sdwa s4, v23, v7 src0_sel:BYTE_0 src1_sel:DWORD
	s_and_saveexec_b32 s15, s4
	s_cbranch_execz .LBB210_1242
; %bb.1235:                             ;   in Loop: Header=BB210_995 Depth=1
	v_bfrev_b32_e32 v17, 1
	v_mov_b32_e32 v18, 0
	v_cmp_ne_u16_sdwa s4, v23, v83 src0_sel:BYTE_0 src1_sel:DWORD
	s_and_saveexec_b32 s17, s4
	s_cbranch_execz .LBB210_1241
; %bb.1236:                             ;   in Loop: Header=BB210_995 Depth=1
	v_mov_b32_e32 v17, 0x7f800001
	v_and_b32_e32 v10, 0x7f, v23
	v_mov_b32_e32 v18, 0
	s_mov_b32 s18, exec_lo
	v_cmpx_ne_u32_e32 0x7f, v10
	s_cbranch_execz .LBB210_1240
; %bb.1237:                             ;   in Loop: Header=BB210_995 Depth=1
	v_and_b32_e32 v6, 7, v23
	v_lshrrev_b32_e32 v8, 3, v10
	s_mov_b32 s19, exec_lo
	v_cmpx_gt_u32_e32 8, v10
; %bb.1238:                             ;   in Loop: Header=BB210_995 Depth=1
	v_ffbh_u32_e32 v8, v6
	v_min_u32_e32 v8, 32, v8
	v_subrev_nc_u32_e32 v10, 28, v8
	v_sub_nc_u32_e32 v8, 29, v8
	v_lshlrev_b64 v[10:11], v10, v[6:7]
	v_and_b32_e32 v6, 7, v10
; %bb.1239:                             ;   in Loop: Header=BB210_995 Depth=1
	s_or_b32 exec_lo, exec_lo, s19
	v_lshlrev_b32_e32 v10, 24, v23
	v_lshlrev_b32_e32 v6, 20, v6
	v_lshl_add_u32 v8, v8, 23, 0x3c000000
	v_and_b32_e32 v10, 0x80000000, v10
	v_or3_b32 v6, v6, v10, v8
	v_mov_b32_e32 v18, v7
	v_mov_b32_e32 v17, v6
.LBB210_1240:                           ;   in Loop: Header=BB210_995 Depth=1
	s_or_b32 exec_lo, exec_lo, s18
.LBB210_1241:                           ;   in Loop: Header=BB210_995 Depth=1
	s_or_b32 exec_lo, exec_lo, s17
.LBB210_1242:                           ;   in Loop: Header=BB210_995 Depth=1
	s_or_b32 exec_lo, exec_lo, s15
	v_cmp_ne_u16_sdwa s4, v23, v7 src0_sel:BYTE_1 src1_sel:DWORD
	s_and_saveexec_b32 s15, s4
	s_cbranch_execz .LBB210_1250
; %bb.1243:                             ;   in Loop: Header=BB210_995 Depth=1
	v_mov_b32_e32 v8, v7
	v_mov_b32_e32 v20, v9
	v_cmp_ne_u16_sdwa s4, v23, v83 src0_sel:BYTE_1 src1_sel:DWORD
	v_mov_b32_e32 v19, v8
	s_and_saveexec_b32 s17, s4
	s_cbranch_execz .LBB210_1249
; %bb.1244:                             ;   in Loop: Header=BB210_995 Depth=1
	v_mov_b32_e32 v6, 0xffff
	v_mov_b32_e32 v11, v7
	;; [unrolled: 1-line block ×3, first 2 shown]
	s_mov_b32 s18, exec_lo
	v_and_b32_sdwa v6, v6, v23 dst_sel:DWORD dst_unused:UNUSED_PAD src0_sel:DWORD src1_sel:BYTE_1
	v_mov_b32_e32 v19, v11
	v_and_b32_e32 v10, 0x7f, v6
	v_cmpx_ne_u32_e32 0x7f, v10
	s_cbranch_execz .LBB210_1248
; %bb.1245:                             ;   in Loop: Header=BB210_995 Depth=1
	v_and_b32_e32 v6, 7, v6
	v_lshrrev_b32_e32 v8, 3, v10
	s_mov_b32 s19, exec_lo
	v_cmpx_gt_u32_e32 8, v10
; %bb.1246:                             ;   in Loop: Header=BB210_995 Depth=1
	v_ffbh_u32_e32 v8, v6
	v_min_u32_e32 v8, 32, v8
	v_subrev_nc_u32_e32 v10, 28, v8
	v_sub_nc_u32_e32 v8, 29, v8
	v_lshlrev_b64 v[10:11], v10, v[6:7]
	v_and_b32_e32 v6, 7, v10
; %bb.1247:                             ;   in Loop: Header=BB210_995 Depth=1
	s_or_b32 exec_lo, exec_lo, s19
	v_lshlrev_b32_e32 v10, 16, v23
	v_lshlrev_b32_e32 v6, 20, v6
	v_lshl_add_u32 v8, v8, 23, 0x3c000000
	v_mov_b32_e32 v19, v7
	v_and_b32_e32 v10, 0x80000000, v10
	v_or3_b32 v20, v6, v10, v8
.LBB210_1248:                           ;   in Loop: Header=BB210_995 Depth=1
	s_or_b32 exec_lo, exec_lo, s18
.LBB210_1249:                           ;   in Loop: Header=BB210_995 Depth=1
	s_or_b32 exec_lo, exec_lo, s17
.LBB210_1250:                           ;   in Loop: Header=BB210_995 Depth=1
	s_or_b32 exec_lo, exec_lo, s15
	v_mov_b32_e32 v10, 0
	v_mov_b32_e32 v21, 0
	v_and_b32_sdwa v6, v23, v85 dst_sel:DWORD dst_unused:UNUSED_PAD src0_sel:WORD_1 src1_sel:DWORD
	v_mov_b32_e32 v11, 0
	v_mov_b32_e32 v22, 0
	s_mov_b32 s15, exec_lo
	v_cmpx_ne_u16_e32 0, v6
	s_cbranch_execz .LBB210_1258
; %bb.1251:                             ;   in Loop: Header=BB210_995 Depth=1
	v_bfrev_b32_e32 v21, 1
	v_mov_b32_e32 v22, 0
	s_mov_b32 s17, exec_lo
	v_cmpx_ne_u16_e32 0x80, v6
	s_cbranch_execz .LBB210_1257
; %bb.1252:                             ;   in Loop: Header=BB210_995 Depth=1
	v_mov_b32_e32 v21, 0x7f800001
	v_bfe_u32 v24, v23, 16, 7
	v_mov_b32_e32 v22, 0
	s_mov_b32 s18, exec_lo
	v_cmpx_ne_u32_e32 0x7f, v24
	s_cbranch_execz .LBB210_1256
; %bb.1253:                             ;   in Loop: Header=BB210_995 Depth=1
	v_mov_b32_e32 v6, 7
	v_lshrrev_b32_e32 v8, 3, v24
	s_mov_b32 s19, exec_lo
	v_and_b32_sdwa v6, v23, v6 dst_sel:DWORD dst_unused:UNUSED_PAD src0_sel:WORD_1 src1_sel:DWORD
	v_cmpx_gt_u32_e32 8, v24
; %bb.1254:                             ;   in Loop: Header=BB210_995 Depth=1
	v_ffbh_u32_e32 v8, v6
	v_min_u32_e32 v8, 32, v8
	v_subrev_nc_u32_e32 v13, 28, v8
	v_sub_nc_u32_e32 v8, 29, v8
	v_lshlrev_b64 v[21:22], v13, v[6:7]
	v_and_b32_e32 v6, 7, v21
; %bb.1255:                             ;   in Loop: Header=BB210_995 Depth=1
	s_or_b32 exec_lo, exec_lo, s19
	v_mov_b32_e32 v13, 24
	v_lshlrev_b32_e32 v6, 20, v6
	v_lshl_add_u32 v8, v8, 23, 0x3c000000
	v_lshlrev_b32_sdwa v13, v13, v23 dst_sel:DWORD dst_unused:UNUSED_PAD src0_sel:DWORD src1_sel:WORD_1
	v_and_b32_e32 v13, 0x80000000, v13
	v_or3_b32 v6, v6, v13, v8
	v_mov_b32_e32 v22, v7
	v_mov_b32_e32 v21, v6
.LBB210_1256:                           ;   in Loop: Header=BB210_995 Depth=1
	s_or_b32 exec_lo, exec_lo, s18
.LBB210_1257:                           ;   in Loop: Header=BB210_995 Depth=1
	s_or_b32 exec_lo, exec_lo, s17
.LBB210_1258:                           ;   in Loop: Header=BB210_995 Depth=1
	s_or_b32 exec_lo, exec_lo, s15
	s_mov_b32 s15, exec_lo
	v_cmpx_lt_u32_e32 0xffffff, v23
	s_cbranch_execz .LBB210_1266
; %bb.1259:                             ;   in Loop: Header=BB210_995 Depth=1
	v_mov_b32_e32 v8, v7
	v_mov_b32_e32 v11, v9
	v_cmp_ne_u32_sdwa s4, v23, v83 src0_sel:BYTE_3 src1_sel:DWORD
	v_mov_b32_e32 v10, v8
	s_and_saveexec_b32 s17, s4
	s_cbranch_execz .LBB210_1265
; %bb.1260:                             ;   in Loop: Header=BB210_995 Depth=1
	v_mov_b32_e32 v11, v7
	v_bfe_u32 v24, v23, 24, 7
	s_mov_b32 s18, exec_lo
	v_mov_b32_e32 v10, v11
	v_mov_b32_e32 v11, v12
	v_cmpx_ne_u32_e32 0x7f, v24
	s_cbranch_execz .LBB210_1264
; %bb.1261:                             ;   in Loop: Header=BB210_995 Depth=1
	v_mov_b32_e32 v6, 7
	v_lshrrev_b32_e32 v8, 3, v24
	s_mov_b32 s19, exec_lo
	v_and_b32_sdwa v6, v23, v6 dst_sel:DWORD dst_unused:UNUSED_PAD src0_sel:BYTE_3 src1_sel:DWORD
	v_cmpx_gt_u32_e32 8, v24
; %bb.1262:                             ;   in Loop: Header=BB210_995 Depth=1
	v_ffbh_u32_e32 v8, v6
	v_min_u32_e32 v8, 32, v8
	v_subrev_nc_u32_e32 v10, 28, v8
	v_sub_nc_u32_e32 v8, 29, v8
	v_lshlrev_b64 v[10:11], v10, v[6:7]
	v_and_b32_e32 v6, 7, v10
; %bb.1263:                             ;   in Loop: Header=BB210_995 Depth=1
	s_or_b32 exec_lo, exec_lo, s19
	v_mov_b32_e32 v10, 24
	v_lshlrev_b32_e32 v6, 20, v6
	v_lshl_add_u32 v8, v8, 23, 0x3c000000
	v_lshlrev_b32_sdwa v10, v10, v23 dst_sel:DWORD dst_unused:UNUSED_PAD src0_sel:DWORD src1_sel:BYTE_3
	v_and_b32_e32 v10, 0x80000000, v10
	v_or3_b32 v11, v6, v10, v8
	v_mov_b32_e32 v10, v7
.LBB210_1264:                           ;   in Loop: Header=BB210_995 Depth=1
	s_or_b32 exec_lo, exec_lo, s18
.LBB210_1265:                           ;   in Loop: Header=BB210_995 Depth=1
	s_or_b32 exec_lo, exec_lo, s17
.LBB210_1266:                           ;   in Loop: Header=BB210_995 Depth=1
	s_or_b32 exec_lo, exec_lo, s15
	v_or_b32_e32 v6, v20, v18
	v_or_b32_e32 v8, v19, v17
	;; [unrolled: 1-line block ×4, first 2 shown]
	v_mul_f32_e32 v88, v100, v6
	v_mul_f32_e32 v79, v100, v8
	;; [unrolled: 1-line block ×4, first 2 shown]
	s_and_saveexec_b32 s15, vcc_lo
	s_cbranch_execz .LBB210_1268
; %bb.1267:                             ;   in Loop: Header=BB210_995 Depth=1
	buffer_load_dword v6, off, s[0:3], s32 offset:192 ; 4-byte Folded Reload
	s_waitcnt vmcnt(0)
	v_cmp_lt_i32_e64 s4, v113, v6
	v_cndmask_b32_e64 v79, 0, v79, s4
	v_cmp_lt_i32_e64 s4, v116, v6
	v_cndmask_b32_e64 v88, 0, v88, s4
	;; [unrolled: 2-line block ×4, first 2 shown]
.LBB210_1268:                           ;   in Loop: Header=BB210_995 Depth=1
	s_or_b32 exec_lo, exec_lo, s15
	flat_load_dword v23, v[0:1] offset:1024
	v_mov_b32_e32 v19, 0
	v_mov_b32_e32 v17, 0
	;; [unrolled: 1-line block ×4, first 2 shown]
	s_waitcnt vmcnt(0) lgkmcnt(0)
	v_cmp_ne_u16_sdwa s4, v23, v7 src0_sel:BYTE_0 src1_sel:DWORD
	s_and_saveexec_b32 s15, s4
	s_cbranch_execz .LBB210_1276
; %bb.1269:                             ;   in Loop: Header=BB210_995 Depth=1
	v_bfrev_b32_e32 v17, 1
	v_mov_b32_e32 v18, 0
	v_cmp_ne_u16_sdwa s4, v23, v83 src0_sel:BYTE_0 src1_sel:DWORD
	s_and_saveexec_b32 s17, s4
	s_cbranch_execz .LBB210_1275
; %bb.1270:                             ;   in Loop: Header=BB210_995 Depth=1
	v_mov_b32_e32 v17, 0x7f800001
	v_and_b32_e32 v10, 0x7f, v23
	v_mov_b32_e32 v18, 0
	s_mov_b32 s18, exec_lo
	v_cmpx_ne_u32_e32 0x7f, v10
	s_cbranch_execz .LBB210_1274
; %bb.1271:                             ;   in Loop: Header=BB210_995 Depth=1
	v_and_b32_e32 v6, 7, v23
	v_lshrrev_b32_e32 v8, 3, v10
	s_mov_b32 s19, exec_lo
	v_cmpx_gt_u32_e32 8, v10
; %bb.1272:                             ;   in Loop: Header=BB210_995 Depth=1
	v_ffbh_u32_e32 v8, v6
	v_min_u32_e32 v8, 32, v8
	v_subrev_nc_u32_e32 v10, 28, v8
	v_sub_nc_u32_e32 v8, 29, v8
	v_lshlrev_b64 v[10:11], v10, v[6:7]
	v_and_b32_e32 v6, 7, v10
; %bb.1273:                             ;   in Loop: Header=BB210_995 Depth=1
	s_or_b32 exec_lo, exec_lo, s19
	v_lshlrev_b32_e32 v10, 24, v23
	v_lshlrev_b32_e32 v6, 20, v6
	v_lshl_add_u32 v8, v8, 23, 0x3c000000
	v_and_b32_e32 v10, 0x80000000, v10
	v_or3_b32 v6, v6, v10, v8
	v_mov_b32_e32 v18, v7
	v_mov_b32_e32 v17, v6
.LBB210_1274:                           ;   in Loop: Header=BB210_995 Depth=1
	s_or_b32 exec_lo, exec_lo, s18
.LBB210_1275:                           ;   in Loop: Header=BB210_995 Depth=1
	s_or_b32 exec_lo, exec_lo, s17
.LBB210_1276:                           ;   in Loop: Header=BB210_995 Depth=1
	s_or_b32 exec_lo, exec_lo, s15
	v_cmp_ne_u16_sdwa s4, v23, v7 src0_sel:BYTE_1 src1_sel:DWORD
	s_and_saveexec_b32 s15, s4
	s_cbranch_execz .LBB210_1284
; %bb.1277:                             ;   in Loop: Header=BB210_995 Depth=1
	v_mov_b32_e32 v8, v7
	v_mov_b32_e32 v20, v9
	v_cmp_ne_u16_sdwa s4, v23, v83 src0_sel:BYTE_1 src1_sel:DWORD
	v_mov_b32_e32 v19, v8
	s_and_saveexec_b32 s17, s4
	s_cbranch_execz .LBB210_1283
; %bb.1278:                             ;   in Loop: Header=BB210_995 Depth=1
	v_mov_b32_e32 v6, 0xffff
	v_mov_b32_e32 v11, v7
	;; [unrolled: 1-line block ×3, first 2 shown]
	s_mov_b32 s18, exec_lo
	v_and_b32_sdwa v6, v6, v23 dst_sel:DWORD dst_unused:UNUSED_PAD src0_sel:DWORD src1_sel:BYTE_1
	v_mov_b32_e32 v19, v11
	v_and_b32_e32 v10, 0x7f, v6
	v_cmpx_ne_u32_e32 0x7f, v10
	s_cbranch_execz .LBB210_1282
; %bb.1279:                             ;   in Loop: Header=BB210_995 Depth=1
	v_and_b32_e32 v6, 7, v6
	v_lshrrev_b32_e32 v8, 3, v10
	s_mov_b32 s19, exec_lo
	v_cmpx_gt_u32_e32 8, v10
; %bb.1280:                             ;   in Loop: Header=BB210_995 Depth=1
	v_ffbh_u32_e32 v8, v6
	v_min_u32_e32 v8, 32, v8
	v_subrev_nc_u32_e32 v10, 28, v8
	v_sub_nc_u32_e32 v8, 29, v8
	v_lshlrev_b64 v[10:11], v10, v[6:7]
	v_and_b32_e32 v6, 7, v10
; %bb.1281:                             ;   in Loop: Header=BB210_995 Depth=1
	s_or_b32 exec_lo, exec_lo, s19
	v_lshlrev_b32_e32 v10, 16, v23
	v_lshlrev_b32_e32 v6, 20, v6
	v_lshl_add_u32 v8, v8, 23, 0x3c000000
	v_mov_b32_e32 v19, v7
	v_and_b32_e32 v10, 0x80000000, v10
	v_or3_b32 v20, v6, v10, v8
.LBB210_1282:                           ;   in Loop: Header=BB210_995 Depth=1
	s_or_b32 exec_lo, exec_lo, s18
.LBB210_1283:                           ;   in Loop: Header=BB210_995 Depth=1
	s_or_b32 exec_lo, exec_lo, s17
.LBB210_1284:                           ;   in Loop: Header=BB210_995 Depth=1
	s_or_b32 exec_lo, exec_lo, s15
	v_mov_b32_e32 v10, 0
	v_mov_b32_e32 v21, 0
	v_and_b32_sdwa v6, v23, v85 dst_sel:DWORD dst_unused:UNUSED_PAD src0_sel:WORD_1 src1_sel:DWORD
	v_mov_b32_e32 v11, 0
	v_mov_b32_e32 v22, 0
	s_mov_b32 s15, exec_lo
	v_cmpx_ne_u16_e32 0, v6
	s_cbranch_execz .LBB210_1292
; %bb.1285:                             ;   in Loop: Header=BB210_995 Depth=1
	v_bfrev_b32_e32 v21, 1
	v_mov_b32_e32 v22, 0
	s_mov_b32 s17, exec_lo
	v_cmpx_ne_u16_e32 0x80, v6
	s_cbranch_execz .LBB210_1291
; %bb.1286:                             ;   in Loop: Header=BB210_995 Depth=1
	v_mov_b32_e32 v21, 0x7f800001
	v_bfe_u32 v24, v23, 16, 7
	v_mov_b32_e32 v22, 0
	s_mov_b32 s18, exec_lo
	v_cmpx_ne_u32_e32 0x7f, v24
	s_cbranch_execz .LBB210_1290
; %bb.1287:                             ;   in Loop: Header=BB210_995 Depth=1
	v_mov_b32_e32 v6, 7
	v_lshrrev_b32_e32 v8, 3, v24
	s_mov_b32 s19, exec_lo
	v_and_b32_sdwa v6, v23, v6 dst_sel:DWORD dst_unused:UNUSED_PAD src0_sel:WORD_1 src1_sel:DWORD
	v_cmpx_gt_u32_e32 8, v24
; %bb.1288:                             ;   in Loop: Header=BB210_995 Depth=1
	v_ffbh_u32_e32 v8, v6
	v_min_u32_e32 v8, 32, v8
	v_subrev_nc_u32_e32 v13, 28, v8
	v_sub_nc_u32_e32 v8, 29, v8
	v_lshlrev_b64 v[21:22], v13, v[6:7]
	v_and_b32_e32 v6, 7, v21
; %bb.1289:                             ;   in Loop: Header=BB210_995 Depth=1
	s_or_b32 exec_lo, exec_lo, s19
	v_mov_b32_e32 v13, 24
	v_lshlrev_b32_e32 v6, 20, v6
	v_lshl_add_u32 v8, v8, 23, 0x3c000000
	v_lshlrev_b32_sdwa v13, v13, v23 dst_sel:DWORD dst_unused:UNUSED_PAD src0_sel:DWORD src1_sel:WORD_1
	v_and_b32_e32 v13, 0x80000000, v13
	v_or3_b32 v6, v6, v13, v8
	v_mov_b32_e32 v22, v7
	v_mov_b32_e32 v21, v6
.LBB210_1290:                           ;   in Loop: Header=BB210_995 Depth=1
	s_or_b32 exec_lo, exec_lo, s18
.LBB210_1291:                           ;   in Loop: Header=BB210_995 Depth=1
	s_or_b32 exec_lo, exec_lo, s17
.LBB210_1292:                           ;   in Loop: Header=BB210_995 Depth=1
	s_or_b32 exec_lo, exec_lo, s15
	s_mov_b32 s15, exec_lo
	v_cmpx_lt_u32_e32 0xffffff, v23
	s_cbranch_execz .LBB210_1300
; %bb.1293:                             ;   in Loop: Header=BB210_995 Depth=1
	v_mov_b32_e32 v8, v7
	v_mov_b32_e32 v11, v9
	v_cmp_ne_u32_sdwa s4, v23, v83 src0_sel:BYTE_3 src1_sel:DWORD
	v_mov_b32_e32 v10, v8
	s_and_saveexec_b32 s17, s4
	s_cbranch_execz .LBB210_1299
; %bb.1294:                             ;   in Loop: Header=BB210_995 Depth=1
	v_mov_b32_e32 v11, v7
	v_bfe_u32 v24, v23, 24, 7
	s_mov_b32 s18, exec_lo
	v_mov_b32_e32 v10, v11
	v_mov_b32_e32 v11, v12
	v_cmpx_ne_u32_e32 0x7f, v24
	s_cbranch_execz .LBB210_1298
; %bb.1295:                             ;   in Loop: Header=BB210_995 Depth=1
	v_mov_b32_e32 v6, 7
	v_lshrrev_b32_e32 v8, 3, v24
	s_mov_b32 s19, exec_lo
	v_and_b32_sdwa v6, v23, v6 dst_sel:DWORD dst_unused:UNUSED_PAD src0_sel:BYTE_3 src1_sel:DWORD
	v_cmpx_gt_u32_e32 8, v24
; %bb.1296:                             ;   in Loop: Header=BB210_995 Depth=1
	v_ffbh_u32_e32 v8, v6
	v_min_u32_e32 v8, 32, v8
	v_subrev_nc_u32_e32 v10, 28, v8
	v_sub_nc_u32_e32 v8, 29, v8
	v_lshlrev_b64 v[10:11], v10, v[6:7]
	v_and_b32_e32 v6, 7, v10
; %bb.1297:                             ;   in Loop: Header=BB210_995 Depth=1
	s_or_b32 exec_lo, exec_lo, s19
	v_mov_b32_e32 v10, 24
	v_lshlrev_b32_e32 v6, 20, v6
	v_lshl_add_u32 v8, v8, 23, 0x3c000000
	v_lshlrev_b32_sdwa v10, v10, v23 dst_sel:DWORD dst_unused:UNUSED_PAD src0_sel:DWORD src1_sel:BYTE_3
	v_and_b32_e32 v10, 0x80000000, v10
	v_or3_b32 v11, v6, v10, v8
	v_mov_b32_e32 v10, v7
.LBB210_1298:                           ;   in Loop: Header=BB210_995 Depth=1
	s_or_b32 exec_lo, exec_lo, s18
.LBB210_1299:                           ;   in Loop: Header=BB210_995 Depth=1
	s_or_b32 exec_lo, exec_lo, s17
.LBB210_1300:                           ;   in Loop: Header=BB210_995 Depth=1
	s_or_b32 exec_lo, exec_lo, s15
	v_or_b32_e32 v6, v20, v18
	v_or_b32_e32 v8, v19, v17
	;; [unrolled: 1-line block ×4, first 2 shown]
	v_mul_f32_e32 v92, v100, v6
	v_mul_f32_e32 v91, v100, v8
	;; [unrolled: 1-line block ×4, first 2 shown]
	s_and_saveexec_b32 s15, vcc_lo
	s_cbranch_execz .LBB210_1302
; %bb.1301:                             ;   in Loop: Header=BB210_995 Depth=1
	buffer_load_dword v6, off, s[0:3], s32 offset:192 ; 4-byte Folded Reload
	s_waitcnt vmcnt(0)
	v_cmp_lt_i32_e64 s4, v113, v6
	v_cndmask_b32_e64 v91, 0, v91, s4
	v_cmp_lt_i32_e64 s4, v116, v6
	v_cndmask_b32_e64 v92, 0, v92, s4
	v_cmp_lt_i32_e64 s4, v115, v6
	v_cndmask_b32_e64 v90, 0, v90, s4
	v_cmp_lt_i32_e64 s4, v114, v6
	v_cndmask_b32_e64 v89, 0, v89, s4
.LBB210_1302:                           ;   in Loop: Header=BB210_995 Depth=1
	s_or_b32 exec_lo, exec_lo, s15
	flat_load_dword v23, v[0:1] offset:1152
	v_mov_b32_e32 v19, 0
	v_mov_b32_e32 v17, 0
	v_mov_b32_e32 v20, 0
	v_mov_b32_e32 v18, 0
	s_waitcnt vmcnt(0) lgkmcnt(0)
	v_cmp_ne_u16_sdwa s4, v23, v7 src0_sel:BYTE_0 src1_sel:DWORD
	s_and_saveexec_b32 s15, s4
	s_cbranch_execz .LBB210_1310
; %bb.1303:                             ;   in Loop: Header=BB210_995 Depth=1
	v_bfrev_b32_e32 v17, 1
	v_mov_b32_e32 v18, 0
	v_cmp_ne_u16_sdwa s4, v23, v83 src0_sel:BYTE_0 src1_sel:DWORD
	s_and_saveexec_b32 s17, s4
	s_cbranch_execz .LBB210_1309
; %bb.1304:                             ;   in Loop: Header=BB210_995 Depth=1
	v_mov_b32_e32 v17, 0x7f800001
	v_and_b32_e32 v10, 0x7f, v23
	v_mov_b32_e32 v18, 0
	s_mov_b32 s18, exec_lo
	v_cmpx_ne_u32_e32 0x7f, v10
	s_cbranch_execz .LBB210_1308
; %bb.1305:                             ;   in Loop: Header=BB210_995 Depth=1
	v_and_b32_e32 v6, 7, v23
	v_lshrrev_b32_e32 v8, 3, v10
	s_mov_b32 s19, exec_lo
	v_cmpx_gt_u32_e32 8, v10
; %bb.1306:                             ;   in Loop: Header=BB210_995 Depth=1
	v_ffbh_u32_e32 v8, v6
	v_min_u32_e32 v8, 32, v8
	v_subrev_nc_u32_e32 v10, 28, v8
	v_sub_nc_u32_e32 v8, 29, v8
	v_lshlrev_b64 v[10:11], v10, v[6:7]
	v_and_b32_e32 v6, 7, v10
; %bb.1307:                             ;   in Loop: Header=BB210_995 Depth=1
	s_or_b32 exec_lo, exec_lo, s19
	v_lshlrev_b32_e32 v10, 24, v23
	v_lshlrev_b32_e32 v6, 20, v6
	v_lshl_add_u32 v8, v8, 23, 0x3c000000
	v_and_b32_e32 v10, 0x80000000, v10
	v_or3_b32 v6, v6, v10, v8
	v_mov_b32_e32 v18, v7
	v_mov_b32_e32 v17, v6
.LBB210_1308:                           ;   in Loop: Header=BB210_995 Depth=1
	s_or_b32 exec_lo, exec_lo, s18
.LBB210_1309:                           ;   in Loop: Header=BB210_995 Depth=1
	s_or_b32 exec_lo, exec_lo, s17
.LBB210_1310:                           ;   in Loop: Header=BB210_995 Depth=1
	s_or_b32 exec_lo, exec_lo, s15
	v_cmp_ne_u16_sdwa s4, v23, v7 src0_sel:BYTE_1 src1_sel:DWORD
	s_and_saveexec_b32 s15, s4
	s_cbranch_execz .LBB210_1318
; %bb.1311:                             ;   in Loop: Header=BB210_995 Depth=1
	v_mov_b32_e32 v8, v7
	v_mov_b32_e32 v20, v9
	v_cmp_ne_u16_sdwa s4, v23, v83 src0_sel:BYTE_1 src1_sel:DWORD
	v_mov_b32_e32 v19, v8
	s_and_saveexec_b32 s17, s4
	s_cbranch_execz .LBB210_1317
; %bb.1312:                             ;   in Loop: Header=BB210_995 Depth=1
	v_mov_b32_e32 v6, 0xffff
	v_mov_b32_e32 v11, v7
	v_mov_b32_e32 v20, v12
	s_mov_b32 s18, exec_lo
	v_and_b32_sdwa v6, v6, v23 dst_sel:DWORD dst_unused:UNUSED_PAD src0_sel:DWORD src1_sel:BYTE_1
	v_mov_b32_e32 v19, v11
	v_and_b32_e32 v10, 0x7f, v6
	v_cmpx_ne_u32_e32 0x7f, v10
	s_cbranch_execz .LBB210_1316
; %bb.1313:                             ;   in Loop: Header=BB210_995 Depth=1
	v_and_b32_e32 v6, 7, v6
	v_lshrrev_b32_e32 v8, 3, v10
	s_mov_b32 s19, exec_lo
	v_cmpx_gt_u32_e32 8, v10
; %bb.1314:                             ;   in Loop: Header=BB210_995 Depth=1
	v_ffbh_u32_e32 v8, v6
	v_min_u32_e32 v8, 32, v8
	v_subrev_nc_u32_e32 v10, 28, v8
	v_sub_nc_u32_e32 v8, 29, v8
	v_lshlrev_b64 v[10:11], v10, v[6:7]
	v_and_b32_e32 v6, 7, v10
; %bb.1315:                             ;   in Loop: Header=BB210_995 Depth=1
	s_or_b32 exec_lo, exec_lo, s19
	v_lshlrev_b32_e32 v10, 16, v23
	v_lshlrev_b32_e32 v6, 20, v6
	v_lshl_add_u32 v8, v8, 23, 0x3c000000
	v_mov_b32_e32 v19, v7
	v_and_b32_e32 v10, 0x80000000, v10
	v_or3_b32 v20, v6, v10, v8
.LBB210_1316:                           ;   in Loop: Header=BB210_995 Depth=1
	s_or_b32 exec_lo, exec_lo, s18
.LBB210_1317:                           ;   in Loop: Header=BB210_995 Depth=1
	s_or_b32 exec_lo, exec_lo, s17
.LBB210_1318:                           ;   in Loop: Header=BB210_995 Depth=1
	s_or_b32 exec_lo, exec_lo, s15
	v_mov_b32_e32 v10, 0
	v_mov_b32_e32 v21, 0
	v_and_b32_sdwa v6, v23, v85 dst_sel:DWORD dst_unused:UNUSED_PAD src0_sel:WORD_1 src1_sel:DWORD
	v_mov_b32_e32 v11, 0
	v_mov_b32_e32 v22, 0
	s_mov_b32 s15, exec_lo
	v_cmpx_ne_u16_e32 0, v6
	s_cbranch_execz .LBB210_1326
; %bb.1319:                             ;   in Loop: Header=BB210_995 Depth=1
	v_bfrev_b32_e32 v21, 1
	v_mov_b32_e32 v22, 0
	s_mov_b32 s17, exec_lo
	v_cmpx_ne_u16_e32 0x80, v6
	s_cbranch_execz .LBB210_1325
; %bb.1320:                             ;   in Loop: Header=BB210_995 Depth=1
	v_mov_b32_e32 v21, 0x7f800001
	v_bfe_u32 v24, v23, 16, 7
	v_mov_b32_e32 v22, 0
	s_mov_b32 s18, exec_lo
	v_cmpx_ne_u32_e32 0x7f, v24
	s_cbranch_execz .LBB210_1324
; %bb.1321:                             ;   in Loop: Header=BB210_995 Depth=1
	v_mov_b32_e32 v6, 7
	v_lshrrev_b32_e32 v8, 3, v24
	s_mov_b32 s19, exec_lo
	v_and_b32_sdwa v6, v23, v6 dst_sel:DWORD dst_unused:UNUSED_PAD src0_sel:WORD_1 src1_sel:DWORD
	v_cmpx_gt_u32_e32 8, v24
; %bb.1322:                             ;   in Loop: Header=BB210_995 Depth=1
	v_ffbh_u32_e32 v8, v6
	v_min_u32_e32 v8, 32, v8
	v_subrev_nc_u32_e32 v13, 28, v8
	v_sub_nc_u32_e32 v8, 29, v8
	v_lshlrev_b64 v[21:22], v13, v[6:7]
	v_and_b32_e32 v6, 7, v21
; %bb.1323:                             ;   in Loop: Header=BB210_995 Depth=1
	s_or_b32 exec_lo, exec_lo, s19
	v_mov_b32_e32 v13, 24
	v_lshlrev_b32_e32 v6, 20, v6
	v_lshl_add_u32 v8, v8, 23, 0x3c000000
	v_lshlrev_b32_sdwa v13, v13, v23 dst_sel:DWORD dst_unused:UNUSED_PAD src0_sel:DWORD src1_sel:WORD_1
	v_and_b32_e32 v13, 0x80000000, v13
	v_or3_b32 v6, v6, v13, v8
	v_mov_b32_e32 v22, v7
	v_mov_b32_e32 v21, v6
.LBB210_1324:                           ;   in Loop: Header=BB210_995 Depth=1
	s_or_b32 exec_lo, exec_lo, s18
.LBB210_1325:                           ;   in Loop: Header=BB210_995 Depth=1
	s_or_b32 exec_lo, exec_lo, s17
.LBB210_1326:                           ;   in Loop: Header=BB210_995 Depth=1
	s_or_b32 exec_lo, exec_lo, s15
	s_mov_b32 s15, exec_lo
	v_cmpx_lt_u32_e32 0xffffff, v23
	s_cbranch_execz .LBB210_1334
; %bb.1327:                             ;   in Loop: Header=BB210_995 Depth=1
	v_mov_b32_e32 v8, v7
	v_mov_b32_e32 v11, v9
	v_cmp_ne_u32_sdwa s4, v23, v83 src0_sel:BYTE_3 src1_sel:DWORD
	v_mov_b32_e32 v10, v8
	s_and_saveexec_b32 s17, s4
	s_cbranch_execz .LBB210_1333
; %bb.1328:                             ;   in Loop: Header=BB210_995 Depth=1
	v_mov_b32_e32 v11, v7
	v_bfe_u32 v24, v23, 24, 7
	s_mov_b32 s18, exec_lo
	v_mov_b32_e32 v10, v11
	v_mov_b32_e32 v11, v12
	v_cmpx_ne_u32_e32 0x7f, v24
	s_cbranch_execz .LBB210_1332
; %bb.1329:                             ;   in Loop: Header=BB210_995 Depth=1
	v_mov_b32_e32 v6, 7
	v_lshrrev_b32_e32 v8, 3, v24
	s_mov_b32 s19, exec_lo
	v_and_b32_sdwa v6, v23, v6 dst_sel:DWORD dst_unused:UNUSED_PAD src0_sel:BYTE_3 src1_sel:DWORD
	v_cmpx_gt_u32_e32 8, v24
; %bb.1330:                             ;   in Loop: Header=BB210_995 Depth=1
	v_ffbh_u32_e32 v8, v6
	v_min_u32_e32 v8, 32, v8
	v_subrev_nc_u32_e32 v10, 28, v8
	v_sub_nc_u32_e32 v8, 29, v8
	v_lshlrev_b64 v[10:11], v10, v[6:7]
	v_and_b32_e32 v6, 7, v10
; %bb.1331:                             ;   in Loop: Header=BB210_995 Depth=1
	s_or_b32 exec_lo, exec_lo, s19
	v_mov_b32_e32 v10, 24
	v_lshlrev_b32_e32 v6, 20, v6
	v_lshl_add_u32 v8, v8, 23, 0x3c000000
	v_lshlrev_b32_sdwa v10, v10, v23 dst_sel:DWORD dst_unused:UNUSED_PAD src0_sel:DWORD src1_sel:BYTE_3
	v_and_b32_e32 v10, 0x80000000, v10
	v_or3_b32 v11, v6, v10, v8
	v_mov_b32_e32 v10, v7
.LBB210_1332:                           ;   in Loop: Header=BB210_995 Depth=1
	s_or_b32 exec_lo, exec_lo, s18
.LBB210_1333:                           ;   in Loop: Header=BB210_995 Depth=1
	s_or_b32 exec_lo, exec_lo, s17
.LBB210_1334:                           ;   in Loop: Header=BB210_995 Depth=1
	s_or_b32 exec_lo, exec_lo, s15
	v_or_b32_e32 v6, v20, v18
	v_or_b32_e32 v8, v19, v17
	;; [unrolled: 1-line block ×4, first 2 shown]
	v_mul_f32_e32 v104, v100, v6
	v_mul_f32_e32 v95, v100, v8
	;; [unrolled: 1-line block ×4, first 2 shown]
	s_and_saveexec_b32 s15, vcc_lo
	s_cbranch_execz .LBB210_1336
; %bb.1335:                             ;   in Loop: Header=BB210_995 Depth=1
	buffer_load_dword v6, off, s[0:3], s32 offset:192 ; 4-byte Folded Reload
	s_waitcnt vmcnt(0)
	v_cmp_lt_i32_e64 s4, v113, v6
	v_cndmask_b32_e64 v95, 0, v95, s4
	v_cmp_lt_i32_e64 s4, v116, v6
	v_cndmask_b32_e64 v104, 0, v104, s4
	;; [unrolled: 2-line block ×4, first 2 shown]
.LBB210_1336:                           ;   in Loop: Header=BB210_995 Depth=1
	s_or_b32 exec_lo, exec_lo, s15
	flat_load_dword v23, v[0:1] offset:1280
	v_mov_b32_e32 v19, 0
	v_mov_b32_e32 v17, 0
	;; [unrolled: 1-line block ×4, first 2 shown]
	s_waitcnt vmcnt(0) lgkmcnt(0)
	v_cmp_ne_u16_sdwa s4, v23, v7 src0_sel:BYTE_0 src1_sel:DWORD
	s_and_saveexec_b32 s15, s4
	s_cbranch_execz .LBB210_1344
; %bb.1337:                             ;   in Loop: Header=BB210_995 Depth=1
	v_bfrev_b32_e32 v17, 1
	v_mov_b32_e32 v18, 0
	v_cmp_ne_u16_sdwa s4, v23, v83 src0_sel:BYTE_0 src1_sel:DWORD
	s_and_saveexec_b32 s17, s4
	s_cbranch_execz .LBB210_1343
; %bb.1338:                             ;   in Loop: Header=BB210_995 Depth=1
	v_mov_b32_e32 v17, 0x7f800001
	v_and_b32_e32 v10, 0x7f, v23
	v_mov_b32_e32 v18, 0
	s_mov_b32 s18, exec_lo
	v_cmpx_ne_u32_e32 0x7f, v10
	s_cbranch_execz .LBB210_1342
; %bb.1339:                             ;   in Loop: Header=BB210_995 Depth=1
	v_and_b32_e32 v6, 7, v23
	v_lshrrev_b32_e32 v8, 3, v10
	s_mov_b32 s19, exec_lo
	v_cmpx_gt_u32_e32 8, v10
; %bb.1340:                             ;   in Loop: Header=BB210_995 Depth=1
	v_ffbh_u32_e32 v8, v6
	v_min_u32_e32 v8, 32, v8
	v_subrev_nc_u32_e32 v10, 28, v8
	v_sub_nc_u32_e32 v8, 29, v8
	v_lshlrev_b64 v[10:11], v10, v[6:7]
	v_and_b32_e32 v6, 7, v10
; %bb.1341:                             ;   in Loop: Header=BB210_995 Depth=1
	s_or_b32 exec_lo, exec_lo, s19
	v_lshlrev_b32_e32 v10, 24, v23
	v_lshlrev_b32_e32 v6, 20, v6
	v_lshl_add_u32 v8, v8, 23, 0x3c000000
	v_and_b32_e32 v10, 0x80000000, v10
	v_or3_b32 v6, v6, v10, v8
	v_mov_b32_e32 v18, v7
	v_mov_b32_e32 v17, v6
.LBB210_1342:                           ;   in Loop: Header=BB210_995 Depth=1
	s_or_b32 exec_lo, exec_lo, s18
.LBB210_1343:                           ;   in Loop: Header=BB210_995 Depth=1
	s_or_b32 exec_lo, exec_lo, s17
.LBB210_1344:                           ;   in Loop: Header=BB210_995 Depth=1
	s_or_b32 exec_lo, exec_lo, s15
	v_cmp_ne_u16_sdwa s4, v23, v7 src0_sel:BYTE_1 src1_sel:DWORD
	s_and_saveexec_b32 s15, s4
	s_cbranch_execz .LBB210_1352
; %bb.1345:                             ;   in Loop: Header=BB210_995 Depth=1
	v_mov_b32_e32 v8, v7
	v_mov_b32_e32 v20, v9
	v_cmp_ne_u16_sdwa s4, v23, v83 src0_sel:BYTE_1 src1_sel:DWORD
	v_mov_b32_e32 v19, v8
	s_and_saveexec_b32 s17, s4
	s_cbranch_execz .LBB210_1351
; %bb.1346:                             ;   in Loop: Header=BB210_995 Depth=1
	v_mov_b32_e32 v6, 0xffff
	v_mov_b32_e32 v11, v7
	;; [unrolled: 1-line block ×3, first 2 shown]
	s_mov_b32 s18, exec_lo
	v_and_b32_sdwa v6, v6, v23 dst_sel:DWORD dst_unused:UNUSED_PAD src0_sel:DWORD src1_sel:BYTE_1
	v_mov_b32_e32 v19, v11
	v_and_b32_e32 v10, 0x7f, v6
	v_cmpx_ne_u32_e32 0x7f, v10
	s_cbranch_execz .LBB210_1350
; %bb.1347:                             ;   in Loop: Header=BB210_995 Depth=1
	v_and_b32_e32 v6, 7, v6
	v_lshrrev_b32_e32 v8, 3, v10
	s_mov_b32 s19, exec_lo
	v_cmpx_gt_u32_e32 8, v10
; %bb.1348:                             ;   in Loop: Header=BB210_995 Depth=1
	v_ffbh_u32_e32 v8, v6
	v_min_u32_e32 v8, 32, v8
	v_subrev_nc_u32_e32 v10, 28, v8
	v_sub_nc_u32_e32 v8, 29, v8
	v_lshlrev_b64 v[10:11], v10, v[6:7]
	v_and_b32_e32 v6, 7, v10
; %bb.1349:                             ;   in Loop: Header=BB210_995 Depth=1
	s_or_b32 exec_lo, exec_lo, s19
	v_lshlrev_b32_e32 v10, 16, v23
	v_lshlrev_b32_e32 v6, 20, v6
	v_lshl_add_u32 v8, v8, 23, 0x3c000000
	v_mov_b32_e32 v19, v7
	v_and_b32_e32 v10, 0x80000000, v10
	v_or3_b32 v20, v6, v10, v8
.LBB210_1350:                           ;   in Loop: Header=BB210_995 Depth=1
	s_or_b32 exec_lo, exec_lo, s18
.LBB210_1351:                           ;   in Loop: Header=BB210_995 Depth=1
	s_or_b32 exec_lo, exec_lo, s17
.LBB210_1352:                           ;   in Loop: Header=BB210_995 Depth=1
	s_or_b32 exec_lo, exec_lo, s15
	v_mov_b32_e32 v10, 0
	v_mov_b32_e32 v21, 0
	v_and_b32_sdwa v6, v23, v85 dst_sel:DWORD dst_unused:UNUSED_PAD src0_sel:WORD_1 src1_sel:DWORD
	v_mov_b32_e32 v11, 0
	v_mov_b32_e32 v22, 0
	s_mov_b32 s15, exec_lo
	v_cmpx_ne_u16_e32 0, v6
	s_cbranch_execz .LBB210_1360
; %bb.1353:                             ;   in Loop: Header=BB210_995 Depth=1
	v_bfrev_b32_e32 v21, 1
	v_mov_b32_e32 v22, 0
	s_mov_b32 s17, exec_lo
	v_cmpx_ne_u16_e32 0x80, v6
	s_cbranch_execz .LBB210_1359
; %bb.1354:                             ;   in Loop: Header=BB210_995 Depth=1
	v_mov_b32_e32 v21, 0x7f800001
	v_bfe_u32 v24, v23, 16, 7
	v_mov_b32_e32 v22, 0
	s_mov_b32 s18, exec_lo
	v_cmpx_ne_u32_e32 0x7f, v24
	s_cbranch_execz .LBB210_1358
; %bb.1355:                             ;   in Loop: Header=BB210_995 Depth=1
	v_mov_b32_e32 v6, 7
	v_lshrrev_b32_e32 v8, 3, v24
	s_mov_b32 s19, exec_lo
	v_and_b32_sdwa v6, v23, v6 dst_sel:DWORD dst_unused:UNUSED_PAD src0_sel:WORD_1 src1_sel:DWORD
	v_cmpx_gt_u32_e32 8, v24
; %bb.1356:                             ;   in Loop: Header=BB210_995 Depth=1
	v_ffbh_u32_e32 v8, v6
	v_min_u32_e32 v8, 32, v8
	v_subrev_nc_u32_e32 v13, 28, v8
	v_sub_nc_u32_e32 v8, 29, v8
	v_lshlrev_b64 v[21:22], v13, v[6:7]
	v_and_b32_e32 v6, 7, v21
; %bb.1357:                             ;   in Loop: Header=BB210_995 Depth=1
	s_or_b32 exec_lo, exec_lo, s19
	v_mov_b32_e32 v13, 24
	v_lshlrev_b32_e32 v6, 20, v6
	v_lshl_add_u32 v8, v8, 23, 0x3c000000
	v_lshlrev_b32_sdwa v13, v13, v23 dst_sel:DWORD dst_unused:UNUSED_PAD src0_sel:DWORD src1_sel:WORD_1
	v_and_b32_e32 v13, 0x80000000, v13
	v_or3_b32 v6, v6, v13, v8
	v_mov_b32_e32 v22, v7
	v_mov_b32_e32 v21, v6
.LBB210_1358:                           ;   in Loop: Header=BB210_995 Depth=1
	s_or_b32 exec_lo, exec_lo, s18
.LBB210_1359:                           ;   in Loop: Header=BB210_995 Depth=1
	s_or_b32 exec_lo, exec_lo, s17
.LBB210_1360:                           ;   in Loop: Header=BB210_995 Depth=1
	s_or_b32 exec_lo, exec_lo, s15
	s_mov_b32 s15, exec_lo
	v_cmpx_lt_u32_e32 0xffffff, v23
	s_cbranch_execz .LBB210_1368
; %bb.1361:                             ;   in Loop: Header=BB210_995 Depth=1
	v_mov_b32_e32 v8, v7
	v_mov_b32_e32 v11, v9
	v_cmp_ne_u32_sdwa s4, v23, v83 src0_sel:BYTE_3 src1_sel:DWORD
	v_mov_b32_e32 v10, v8
	s_and_saveexec_b32 s17, s4
	s_cbranch_execz .LBB210_1367
; %bb.1362:                             ;   in Loop: Header=BB210_995 Depth=1
	v_mov_b32_e32 v11, v7
	v_bfe_u32 v24, v23, 24, 7
	s_mov_b32 s18, exec_lo
	v_mov_b32_e32 v10, v11
	v_mov_b32_e32 v11, v12
	v_cmpx_ne_u32_e32 0x7f, v24
	s_cbranch_execz .LBB210_1366
; %bb.1363:                             ;   in Loop: Header=BB210_995 Depth=1
	v_mov_b32_e32 v6, 7
	v_lshrrev_b32_e32 v8, 3, v24
	s_mov_b32 s19, exec_lo
	v_and_b32_sdwa v6, v23, v6 dst_sel:DWORD dst_unused:UNUSED_PAD src0_sel:BYTE_3 src1_sel:DWORD
	v_cmpx_gt_u32_e32 8, v24
; %bb.1364:                             ;   in Loop: Header=BB210_995 Depth=1
	v_ffbh_u32_e32 v8, v6
	v_min_u32_e32 v8, 32, v8
	v_subrev_nc_u32_e32 v10, 28, v8
	v_sub_nc_u32_e32 v8, 29, v8
	v_lshlrev_b64 v[10:11], v10, v[6:7]
	v_and_b32_e32 v6, 7, v10
; %bb.1365:                             ;   in Loop: Header=BB210_995 Depth=1
	s_or_b32 exec_lo, exec_lo, s19
	v_mov_b32_e32 v10, 24
	v_lshlrev_b32_e32 v6, 20, v6
	v_lshl_add_u32 v8, v8, 23, 0x3c000000
	v_lshlrev_b32_sdwa v10, v10, v23 dst_sel:DWORD dst_unused:UNUSED_PAD src0_sel:DWORD src1_sel:BYTE_3
	v_and_b32_e32 v10, 0x80000000, v10
	v_or3_b32 v11, v6, v10, v8
	v_mov_b32_e32 v10, v7
.LBB210_1366:                           ;   in Loop: Header=BB210_995 Depth=1
	s_or_b32 exec_lo, exec_lo, s18
.LBB210_1367:                           ;   in Loop: Header=BB210_995 Depth=1
	s_or_b32 exec_lo, exec_lo, s17
.LBB210_1368:                           ;   in Loop: Header=BB210_995 Depth=1
	s_or_b32 exec_lo, exec_lo, s15
	v_or_b32_e32 v6, v20, v18
	v_or_b32_e32 v8, v19, v17
	;; [unrolled: 1-line block ×4, first 2 shown]
	v_mul_f32_e32 v108, v100, v6
	v_mul_f32_e32 v107, v100, v8
	;; [unrolled: 1-line block ×4, first 2 shown]
	s_and_saveexec_b32 s15, vcc_lo
	s_cbranch_execz .LBB210_1370
; %bb.1369:                             ;   in Loop: Header=BB210_995 Depth=1
	buffer_load_dword v6, off, s[0:3], s32 offset:192 ; 4-byte Folded Reload
	s_waitcnt vmcnt(0)
	v_cmp_lt_i32_e64 s4, v113, v6
	v_cndmask_b32_e64 v107, 0, v107, s4
	v_cmp_lt_i32_e64 s4, v116, v6
	v_cndmask_b32_e64 v108, 0, v108, s4
	;; [unrolled: 2-line block ×4, first 2 shown]
.LBB210_1370:                           ;   in Loop: Header=BB210_995 Depth=1
	s_or_b32 exec_lo, exec_lo, s15
	flat_load_dword v23, v[0:1] offset:1408
	v_mov_b32_e32 v19, 0
	v_mov_b32_e32 v17, 0
	;; [unrolled: 1-line block ×4, first 2 shown]
	s_waitcnt vmcnt(0) lgkmcnt(0)
	v_cmp_ne_u16_sdwa s4, v23, v7 src0_sel:BYTE_0 src1_sel:DWORD
	s_and_saveexec_b32 s15, s4
	s_cbranch_execz .LBB210_1378
; %bb.1371:                             ;   in Loop: Header=BB210_995 Depth=1
	v_bfrev_b32_e32 v17, 1
	v_mov_b32_e32 v18, 0
	v_cmp_ne_u16_sdwa s4, v23, v83 src0_sel:BYTE_0 src1_sel:DWORD
	s_and_saveexec_b32 s17, s4
	s_cbranch_execz .LBB210_1377
; %bb.1372:                             ;   in Loop: Header=BB210_995 Depth=1
	v_mov_b32_e32 v17, 0x7f800001
	v_and_b32_e32 v10, 0x7f, v23
	v_mov_b32_e32 v18, 0
	s_mov_b32 s18, exec_lo
	v_cmpx_ne_u32_e32 0x7f, v10
	s_cbranch_execz .LBB210_1376
; %bb.1373:                             ;   in Loop: Header=BB210_995 Depth=1
	v_and_b32_e32 v6, 7, v23
	v_lshrrev_b32_e32 v8, 3, v10
	s_mov_b32 s19, exec_lo
	v_cmpx_gt_u32_e32 8, v10
; %bb.1374:                             ;   in Loop: Header=BB210_995 Depth=1
	v_ffbh_u32_e32 v8, v6
	v_min_u32_e32 v8, 32, v8
	v_subrev_nc_u32_e32 v10, 28, v8
	v_sub_nc_u32_e32 v8, 29, v8
	v_lshlrev_b64 v[10:11], v10, v[6:7]
	v_and_b32_e32 v6, 7, v10
; %bb.1375:                             ;   in Loop: Header=BB210_995 Depth=1
	s_or_b32 exec_lo, exec_lo, s19
	v_lshlrev_b32_e32 v10, 24, v23
	v_lshlrev_b32_e32 v6, 20, v6
	v_lshl_add_u32 v8, v8, 23, 0x3c000000
	v_and_b32_e32 v10, 0x80000000, v10
	v_or3_b32 v6, v6, v10, v8
	v_mov_b32_e32 v18, v7
	v_mov_b32_e32 v17, v6
.LBB210_1376:                           ;   in Loop: Header=BB210_995 Depth=1
	s_or_b32 exec_lo, exec_lo, s18
.LBB210_1377:                           ;   in Loop: Header=BB210_995 Depth=1
	s_or_b32 exec_lo, exec_lo, s17
.LBB210_1378:                           ;   in Loop: Header=BB210_995 Depth=1
	s_or_b32 exec_lo, exec_lo, s15
	v_cmp_ne_u16_sdwa s4, v23, v7 src0_sel:BYTE_1 src1_sel:DWORD
	s_and_saveexec_b32 s15, s4
	s_cbranch_execz .LBB210_1386
; %bb.1379:                             ;   in Loop: Header=BB210_995 Depth=1
	v_mov_b32_e32 v8, v7
	v_mov_b32_e32 v20, v9
	v_cmp_ne_u16_sdwa s4, v23, v83 src0_sel:BYTE_1 src1_sel:DWORD
	v_mov_b32_e32 v19, v8
	s_and_saveexec_b32 s17, s4
	s_cbranch_execz .LBB210_1385
; %bb.1380:                             ;   in Loop: Header=BB210_995 Depth=1
	v_mov_b32_e32 v6, 0xffff
	v_mov_b32_e32 v11, v7
	;; [unrolled: 1-line block ×3, first 2 shown]
	s_mov_b32 s18, exec_lo
	v_and_b32_sdwa v6, v6, v23 dst_sel:DWORD dst_unused:UNUSED_PAD src0_sel:DWORD src1_sel:BYTE_1
	v_mov_b32_e32 v19, v11
	v_and_b32_e32 v10, 0x7f, v6
	v_cmpx_ne_u32_e32 0x7f, v10
	s_cbranch_execz .LBB210_1384
; %bb.1381:                             ;   in Loop: Header=BB210_995 Depth=1
	v_and_b32_e32 v6, 7, v6
	v_lshrrev_b32_e32 v8, 3, v10
	s_mov_b32 s19, exec_lo
	v_cmpx_gt_u32_e32 8, v10
; %bb.1382:                             ;   in Loop: Header=BB210_995 Depth=1
	v_ffbh_u32_e32 v8, v6
	v_min_u32_e32 v8, 32, v8
	v_subrev_nc_u32_e32 v10, 28, v8
	v_sub_nc_u32_e32 v8, 29, v8
	v_lshlrev_b64 v[10:11], v10, v[6:7]
	v_and_b32_e32 v6, 7, v10
; %bb.1383:                             ;   in Loop: Header=BB210_995 Depth=1
	s_or_b32 exec_lo, exec_lo, s19
	v_lshlrev_b32_e32 v10, 16, v23
	v_lshlrev_b32_e32 v6, 20, v6
	v_lshl_add_u32 v8, v8, 23, 0x3c000000
	v_mov_b32_e32 v19, v7
	v_and_b32_e32 v10, 0x80000000, v10
	v_or3_b32 v20, v6, v10, v8
.LBB210_1384:                           ;   in Loop: Header=BB210_995 Depth=1
	s_or_b32 exec_lo, exec_lo, s18
.LBB210_1385:                           ;   in Loop: Header=BB210_995 Depth=1
	s_or_b32 exec_lo, exec_lo, s17
.LBB210_1386:                           ;   in Loop: Header=BB210_995 Depth=1
	s_or_b32 exec_lo, exec_lo, s15
	v_mov_b32_e32 v10, 0
	v_mov_b32_e32 v21, 0
	v_and_b32_sdwa v6, v23, v85 dst_sel:DWORD dst_unused:UNUSED_PAD src0_sel:WORD_1 src1_sel:DWORD
	v_mov_b32_e32 v11, 0
	v_mov_b32_e32 v22, 0
	s_mov_b32 s15, exec_lo
	v_cmpx_ne_u16_e32 0, v6
	s_cbranch_execz .LBB210_1394
; %bb.1387:                             ;   in Loop: Header=BB210_995 Depth=1
	v_bfrev_b32_e32 v21, 1
	v_mov_b32_e32 v22, 0
	s_mov_b32 s17, exec_lo
	v_cmpx_ne_u16_e32 0x80, v6
	s_cbranch_execz .LBB210_1393
; %bb.1388:                             ;   in Loop: Header=BB210_995 Depth=1
	v_mov_b32_e32 v21, 0x7f800001
	v_bfe_u32 v24, v23, 16, 7
	v_mov_b32_e32 v22, 0
	s_mov_b32 s18, exec_lo
	v_cmpx_ne_u32_e32 0x7f, v24
	s_cbranch_execz .LBB210_1392
; %bb.1389:                             ;   in Loop: Header=BB210_995 Depth=1
	v_mov_b32_e32 v6, 7
	v_lshrrev_b32_e32 v8, 3, v24
	s_mov_b32 s19, exec_lo
	v_and_b32_sdwa v6, v23, v6 dst_sel:DWORD dst_unused:UNUSED_PAD src0_sel:WORD_1 src1_sel:DWORD
	v_cmpx_gt_u32_e32 8, v24
; %bb.1390:                             ;   in Loop: Header=BB210_995 Depth=1
	v_ffbh_u32_e32 v8, v6
	v_min_u32_e32 v8, 32, v8
	v_subrev_nc_u32_e32 v13, 28, v8
	v_sub_nc_u32_e32 v8, 29, v8
	v_lshlrev_b64 v[21:22], v13, v[6:7]
	v_and_b32_e32 v6, 7, v21
; %bb.1391:                             ;   in Loop: Header=BB210_995 Depth=1
	s_or_b32 exec_lo, exec_lo, s19
	v_mov_b32_e32 v13, 24
	v_lshlrev_b32_e32 v6, 20, v6
	v_lshl_add_u32 v8, v8, 23, 0x3c000000
	v_lshlrev_b32_sdwa v13, v13, v23 dst_sel:DWORD dst_unused:UNUSED_PAD src0_sel:DWORD src1_sel:WORD_1
	v_and_b32_e32 v13, 0x80000000, v13
	v_or3_b32 v6, v6, v13, v8
	v_mov_b32_e32 v22, v7
	v_mov_b32_e32 v21, v6
.LBB210_1392:                           ;   in Loop: Header=BB210_995 Depth=1
	s_or_b32 exec_lo, exec_lo, s18
.LBB210_1393:                           ;   in Loop: Header=BB210_995 Depth=1
	s_or_b32 exec_lo, exec_lo, s17
.LBB210_1394:                           ;   in Loop: Header=BB210_995 Depth=1
	s_or_b32 exec_lo, exec_lo, s15
	s_mov_b32 s15, exec_lo
	v_cmpx_lt_u32_e32 0xffffff, v23
	s_cbranch_execz .LBB210_1402
; %bb.1395:                             ;   in Loop: Header=BB210_995 Depth=1
	v_mov_b32_e32 v8, v7
	v_mov_b32_e32 v11, v9
	v_cmp_ne_u32_sdwa s4, v23, v83 src0_sel:BYTE_3 src1_sel:DWORD
	v_mov_b32_e32 v10, v8
	s_and_saveexec_b32 s17, s4
	s_cbranch_execz .LBB210_1401
; %bb.1396:                             ;   in Loop: Header=BB210_995 Depth=1
	v_mov_b32_e32 v11, v7
	v_bfe_u32 v24, v23, 24, 7
	s_mov_b32 s18, exec_lo
	v_mov_b32_e32 v10, v11
	v_mov_b32_e32 v11, v12
	v_cmpx_ne_u32_e32 0x7f, v24
	s_cbranch_execz .LBB210_1400
; %bb.1397:                             ;   in Loop: Header=BB210_995 Depth=1
	v_mov_b32_e32 v6, 7
	v_lshrrev_b32_e32 v8, 3, v24
	s_mov_b32 s19, exec_lo
	v_and_b32_sdwa v6, v23, v6 dst_sel:DWORD dst_unused:UNUSED_PAD src0_sel:BYTE_3 src1_sel:DWORD
	v_cmpx_gt_u32_e32 8, v24
; %bb.1398:                             ;   in Loop: Header=BB210_995 Depth=1
	v_ffbh_u32_e32 v8, v6
	v_min_u32_e32 v8, 32, v8
	v_subrev_nc_u32_e32 v10, 28, v8
	v_sub_nc_u32_e32 v8, 29, v8
	v_lshlrev_b64 v[10:11], v10, v[6:7]
	v_and_b32_e32 v6, 7, v10
; %bb.1399:                             ;   in Loop: Header=BB210_995 Depth=1
	s_or_b32 exec_lo, exec_lo, s19
	v_mov_b32_e32 v10, 24
	v_lshlrev_b32_e32 v6, 20, v6
	v_lshl_add_u32 v8, v8, 23, 0x3c000000
	v_lshlrev_b32_sdwa v10, v10, v23 dst_sel:DWORD dst_unused:UNUSED_PAD src0_sel:DWORD src1_sel:BYTE_3
	v_and_b32_e32 v10, 0x80000000, v10
	v_or3_b32 v11, v6, v10, v8
	v_mov_b32_e32 v10, v7
.LBB210_1400:                           ;   in Loop: Header=BB210_995 Depth=1
	s_or_b32 exec_lo, exec_lo, s18
.LBB210_1401:                           ;   in Loop: Header=BB210_995 Depth=1
	s_or_b32 exec_lo, exec_lo, s17
.LBB210_1402:                           ;   in Loop: Header=BB210_995 Depth=1
	s_or_b32 exec_lo, exec_lo, s15
	v_or_b32_e32 v6, v20, v18
	v_or_b32_e32 v8, v19, v17
	;; [unrolled: 1-line block ×4, first 2 shown]
	v_mul_f32_e32 v120, v100, v6
	v_mul_f32_e32 v111, v100, v8
	;; [unrolled: 1-line block ×4, first 2 shown]
	s_and_saveexec_b32 s15, vcc_lo
	s_cbranch_execz .LBB210_1404
; %bb.1403:                             ;   in Loop: Header=BB210_995 Depth=1
	buffer_load_dword v6, off, s[0:3], s32 offset:192 ; 4-byte Folded Reload
	s_waitcnt vmcnt(0)
	v_cmp_lt_i32_e64 s4, v113, v6
	v_cndmask_b32_e64 v111, 0, v111, s4
	v_cmp_lt_i32_e64 s4, v116, v6
	v_cndmask_b32_e64 v120, 0, v120, s4
	;; [unrolled: 2-line block ×4, first 2 shown]
.LBB210_1404:                           ;   in Loop: Header=BB210_995 Depth=1
	s_or_b32 exec_lo, exec_lo, s15
	flat_load_dword v23, v[0:1] offset:1536
	v_mov_b32_e32 v19, 0
	v_mov_b32_e32 v17, 0
	;; [unrolled: 1-line block ×4, first 2 shown]
	s_waitcnt vmcnt(0) lgkmcnt(0)
	v_cmp_ne_u16_sdwa s4, v23, v7 src0_sel:BYTE_0 src1_sel:DWORD
	s_and_saveexec_b32 s15, s4
	s_cbranch_execz .LBB210_1412
; %bb.1405:                             ;   in Loop: Header=BB210_995 Depth=1
	v_bfrev_b32_e32 v17, 1
	v_mov_b32_e32 v18, 0
	v_cmp_ne_u16_sdwa s4, v23, v83 src0_sel:BYTE_0 src1_sel:DWORD
	s_and_saveexec_b32 s17, s4
	s_cbranch_execz .LBB210_1411
; %bb.1406:                             ;   in Loop: Header=BB210_995 Depth=1
	v_mov_b32_e32 v17, 0x7f800001
	v_and_b32_e32 v10, 0x7f, v23
	v_mov_b32_e32 v18, 0
	s_mov_b32 s18, exec_lo
	v_cmpx_ne_u32_e32 0x7f, v10
	s_cbranch_execz .LBB210_1410
; %bb.1407:                             ;   in Loop: Header=BB210_995 Depth=1
	v_and_b32_e32 v6, 7, v23
	v_lshrrev_b32_e32 v8, 3, v10
	s_mov_b32 s19, exec_lo
	v_cmpx_gt_u32_e32 8, v10
; %bb.1408:                             ;   in Loop: Header=BB210_995 Depth=1
	v_ffbh_u32_e32 v8, v6
	v_min_u32_e32 v8, 32, v8
	v_subrev_nc_u32_e32 v10, 28, v8
	v_sub_nc_u32_e32 v8, 29, v8
	v_lshlrev_b64 v[10:11], v10, v[6:7]
	v_and_b32_e32 v6, 7, v10
; %bb.1409:                             ;   in Loop: Header=BB210_995 Depth=1
	s_or_b32 exec_lo, exec_lo, s19
	v_lshlrev_b32_e32 v10, 24, v23
	v_lshlrev_b32_e32 v6, 20, v6
	v_lshl_add_u32 v8, v8, 23, 0x3c000000
	v_and_b32_e32 v10, 0x80000000, v10
	v_or3_b32 v6, v6, v10, v8
	v_mov_b32_e32 v18, v7
	v_mov_b32_e32 v17, v6
.LBB210_1410:                           ;   in Loop: Header=BB210_995 Depth=1
	s_or_b32 exec_lo, exec_lo, s18
.LBB210_1411:                           ;   in Loop: Header=BB210_995 Depth=1
	s_or_b32 exec_lo, exec_lo, s17
.LBB210_1412:                           ;   in Loop: Header=BB210_995 Depth=1
	s_or_b32 exec_lo, exec_lo, s15
	v_cmp_ne_u16_sdwa s4, v23, v7 src0_sel:BYTE_1 src1_sel:DWORD
	s_and_saveexec_b32 s15, s4
	s_cbranch_execz .LBB210_1420
; %bb.1413:                             ;   in Loop: Header=BB210_995 Depth=1
	v_mov_b32_e32 v8, v7
	v_mov_b32_e32 v20, v9
	v_cmp_ne_u16_sdwa s4, v23, v83 src0_sel:BYTE_1 src1_sel:DWORD
	v_mov_b32_e32 v19, v8
	s_and_saveexec_b32 s17, s4
	s_cbranch_execz .LBB210_1419
; %bb.1414:                             ;   in Loop: Header=BB210_995 Depth=1
	v_mov_b32_e32 v6, 0xffff
	v_mov_b32_e32 v11, v7
	;; [unrolled: 1-line block ×3, first 2 shown]
	s_mov_b32 s18, exec_lo
	v_and_b32_sdwa v6, v6, v23 dst_sel:DWORD dst_unused:UNUSED_PAD src0_sel:DWORD src1_sel:BYTE_1
	v_mov_b32_e32 v19, v11
	v_and_b32_e32 v10, 0x7f, v6
	v_cmpx_ne_u32_e32 0x7f, v10
	s_cbranch_execz .LBB210_1418
; %bb.1415:                             ;   in Loop: Header=BB210_995 Depth=1
	v_and_b32_e32 v6, 7, v6
	v_lshrrev_b32_e32 v8, 3, v10
	s_mov_b32 s19, exec_lo
	v_cmpx_gt_u32_e32 8, v10
; %bb.1416:                             ;   in Loop: Header=BB210_995 Depth=1
	v_ffbh_u32_e32 v8, v6
	v_min_u32_e32 v8, 32, v8
	v_subrev_nc_u32_e32 v10, 28, v8
	v_sub_nc_u32_e32 v8, 29, v8
	v_lshlrev_b64 v[10:11], v10, v[6:7]
	v_and_b32_e32 v6, 7, v10
; %bb.1417:                             ;   in Loop: Header=BB210_995 Depth=1
	s_or_b32 exec_lo, exec_lo, s19
	v_lshlrev_b32_e32 v10, 16, v23
	v_lshlrev_b32_e32 v6, 20, v6
	v_lshl_add_u32 v8, v8, 23, 0x3c000000
	v_mov_b32_e32 v19, v7
	v_and_b32_e32 v10, 0x80000000, v10
	v_or3_b32 v20, v6, v10, v8
.LBB210_1418:                           ;   in Loop: Header=BB210_995 Depth=1
	s_or_b32 exec_lo, exec_lo, s18
.LBB210_1419:                           ;   in Loop: Header=BB210_995 Depth=1
	s_or_b32 exec_lo, exec_lo, s17
.LBB210_1420:                           ;   in Loop: Header=BB210_995 Depth=1
	s_or_b32 exec_lo, exec_lo, s15
	v_mov_b32_e32 v10, 0
	v_mov_b32_e32 v21, 0
	v_and_b32_sdwa v6, v23, v85 dst_sel:DWORD dst_unused:UNUSED_PAD src0_sel:WORD_1 src1_sel:DWORD
	v_mov_b32_e32 v11, 0
	v_mov_b32_e32 v22, 0
	s_mov_b32 s15, exec_lo
	v_cmpx_ne_u16_e32 0, v6
	s_cbranch_execz .LBB210_1428
; %bb.1421:                             ;   in Loop: Header=BB210_995 Depth=1
	v_bfrev_b32_e32 v21, 1
	v_mov_b32_e32 v22, 0
	s_mov_b32 s17, exec_lo
	v_cmpx_ne_u16_e32 0x80, v6
	s_cbranch_execz .LBB210_1427
; %bb.1422:                             ;   in Loop: Header=BB210_995 Depth=1
	v_mov_b32_e32 v21, 0x7f800001
	v_bfe_u32 v24, v23, 16, 7
	v_mov_b32_e32 v22, 0
	s_mov_b32 s18, exec_lo
	v_cmpx_ne_u32_e32 0x7f, v24
	s_cbranch_execz .LBB210_1426
; %bb.1423:                             ;   in Loop: Header=BB210_995 Depth=1
	v_mov_b32_e32 v6, 7
	v_lshrrev_b32_e32 v8, 3, v24
	s_mov_b32 s19, exec_lo
	v_and_b32_sdwa v6, v23, v6 dst_sel:DWORD dst_unused:UNUSED_PAD src0_sel:WORD_1 src1_sel:DWORD
	v_cmpx_gt_u32_e32 8, v24
; %bb.1424:                             ;   in Loop: Header=BB210_995 Depth=1
	v_ffbh_u32_e32 v8, v6
	v_min_u32_e32 v8, 32, v8
	v_subrev_nc_u32_e32 v13, 28, v8
	v_sub_nc_u32_e32 v8, 29, v8
	v_lshlrev_b64 v[21:22], v13, v[6:7]
	v_and_b32_e32 v6, 7, v21
; %bb.1425:                             ;   in Loop: Header=BB210_995 Depth=1
	s_or_b32 exec_lo, exec_lo, s19
	v_mov_b32_e32 v13, 24
	v_lshlrev_b32_e32 v6, 20, v6
	v_lshl_add_u32 v8, v8, 23, 0x3c000000
	v_lshlrev_b32_sdwa v13, v13, v23 dst_sel:DWORD dst_unused:UNUSED_PAD src0_sel:DWORD src1_sel:WORD_1
	v_and_b32_e32 v13, 0x80000000, v13
	v_or3_b32 v6, v6, v13, v8
	v_mov_b32_e32 v22, v7
	v_mov_b32_e32 v21, v6
.LBB210_1426:                           ;   in Loop: Header=BB210_995 Depth=1
	s_or_b32 exec_lo, exec_lo, s18
.LBB210_1427:                           ;   in Loop: Header=BB210_995 Depth=1
	s_or_b32 exec_lo, exec_lo, s17
.LBB210_1428:                           ;   in Loop: Header=BB210_995 Depth=1
	s_or_b32 exec_lo, exec_lo, s15
	s_mov_b32 s15, exec_lo
	v_cmpx_lt_u32_e32 0xffffff, v23
	s_cbranch_execz .LBB210_1436
; %bb.1429:                             ;   in Loop: Header=BB210_995 Depth=1
	v_mov_b32_e32 v8, v7
	v_mov_b32_e32 v11, v9
	v_cmp_ne_u32_sdwa s4, v23, v83 src0_sel:BYTE_3 src1_sel:DWORD
	v_mov_b32_e32 v10, v8
	s_and_saveexec_b32 s17, s4
	s_cbranch_execz .LBB210_1435
; %bb.1430:                             ;   in Loop: Header=BB210_995 Depth=1
	v_mov_b32_e32 v11, v7
	v_bfe_u32 v24, v23, 24, 7
	s_mov_b32 s18, exec_lo
	v_mov_b32_e32 v10, v11
	v_mov_b32_e32 v11, v12
	v_cmpx_ne_u32_e32 0x7f, v24
	s_cbranch_execz .LBB210_1434
; %bb.1431:                             ;   in Loop: Header=BB210_995 Depth=1
	v_mov_b32_e32 v6, 7
	v_lshrrev_b32_e32 v8, 3, v24
	s_mov_b32 s19, exec_lo
	v_and_b32_sdwa v6, v23, v6 dst_sel:DWORD dst_unused:UNUSED_PAD src0_sel:BYTE_3 src1_sel:DWORD
	v_cmpx_gt_u32_e32 8, v24
; %bb.1432:                             ;   in Loop: Header=BB210_995 Depth=1
	v_ffbh_u32_e32 v8, v6
	v_min_u32_e32 v8, 32, v8
	v_subrev_nc_u32_e32 v10, 28, v8
	v_sub_nc_u32_e32 v8, 29, v8
	v_lshlrev_b64 v[10:11], v10, v[6:7]
	v_and_b32_e32 v6, 7, v10
; %bb.1433:                             ;   in Loop: Header=BB210_995 Depth=1
	s_or_b32 exec_lo, exec_lo, s19
	v_mov_b32_e32 v10, 24
	v_lshlrev_b32_e32 v6, 20, v6
	v_lshl_add_u32 v8, v8, 23, 0x3c000000
	v_lshlrev_b32_sdwa v10, v10, v23 dst_sel:DWORD dst_unused:UNUSED_PAD src0_sel:DWORD src1_sel:BYTE_3
	v_and_b32_e32 v10, 0x80000000, v10
	v_or3_b32 v11, v6, v10, v8
	v_mov_b32_e32 v10, v7
.LBB210_1434:                           ;   in Loop: Header=BB210_995 Depth=1
	s_or_b32 exec_lo, exec_lo, s18
.LBB210_1435:                           ;   in Loop: Header=BB210_995 Depth=1
	s_or_b32 exec_lo, exec_lo, s17
.LBB210_1436:                           ;   in Loop: Header=BB210_995 Depth=1
	s_or_b32 exec_lo, exec_lo, s15
	v_or_b32_e32 v6, v20, v18
	v_or_b32_e32 v8, v19, v17
	;; [unrolled: 1-line block ×4, first 2 shown]
	v_mul_f32_e32 v124, v100, v6
	v_mul_f32_e32 v123, v100, v8
	;; [unrolled: 1-line block ×4, first 2 shown]
	s_and_saveexec_b32 s15, vcc_lo
	s_cbranch_execz .LBB210_1438
; %bb.1437:                             ;   in Loop: Header=BB210_995 Depth=1
	buffer_load_dword v6, off, s[0:3], s32 offset:192 ; 4-byte Folded Reload
	s_waitcnt vmcnt(0)
	v_cmp_lt_i32_e64 s4, v113, v6
	v_cndmask_b32_e64 v123, 0, v123, s4
	v_cmp_lt_i32_e64 s4, v116, v6
	v_cndmask_b32_e64 v124, 0, v124, s4
	;; [unrolled: 2-line block ×4, first 2 shown]
.LBB210_1438:                           ;   in Loop: Header=BB210_995 Depth=1
	s_or_b32 exec_lo, exec_lo, s15
	flat_load_dword v23, v[0:1] offset:1664
	v_mov_b32_e32 v19, 0
	v_mov_b32_e32 v17, 0
	;; [unrolled: 1-line block ×4, first 2 shown]
	s_waitcnt vmcnt(0) lgkmcnt(0)
	v_cmp_ne_u16_sdwa s4, v23, v7 src0_sel:BYTE_0 src1_sel:DWORD
	s_and_saveexec_b32 s15, s4
	s_cbranch_execz .LBB210_1446
; %bb.1439:                             ;   in Loop: Header=BB210_995 Depth=1
	v_bfrev_b32_e32 v17, 1
	v_mov_b32_e32 v18, 0
	v_cmp_ne_u16_sdwa s4, v23, v83 src0_sel:BYTE_0 src1_sel:DWORD
	s_and_saveexec_b32 s17, s4
	s_cbranch_execz .LBB210_1445
; %bb.1440:                             ;   in Loop: Header=BB210_995 Depth=1
	v_mov_b32_e32 v17, 0x7f800001
	v_and_b32_e32 v10, 0x7f, v23
	v_mov_b32_e32 v18, 0
	s_mov_b32 s18, exec_lo
	v_cmpx_ne_u32_e32 0x7f, v10
	s_cbranch_execz .LBB210_1444
; %bb.1441:                             ;   in Loop: Header=BB210_995 Depth=1
	v_and_b32_e32 v6, 7, v23
	v_lshrrev_b32_e32 v8, 3, v10
	s_mov_b32 s19, exec_lo
	v_cmpx_gt_u32_e32 8, v10
; %bb.1442:                             ;   in Loop: Header=BB210_995 Depth=1
	v_ffbh_u32_e32 v8, v6
	v_min_u32_e32 v8, 32, v8
	v_subrev_nc_u32_e32 v10, 28, v8
	v_sub_nc_u32_e32 v8, 29, v8
	v_lshlrev_b64 v[10:11], v10, v[6:7]
	v_and_b32_e32 v6, 7, v10
; %bb.1443:                             ;   in Loop: Header=BB210_995 Depth=1
	s_or_b32 exec_lo, exec_lo, s19
	v_lshlrev_b32_e32 v10, 24, v23
	v_lshlrev_b32_e32 v6, 20, v6
	v_lshl_add_u32 v8, v8, 23, 0x3c000000
	v_and_b32_e32 v10, 0x80000000, v10
	v_or3_b32 v6, v6, v10, v8
	v_mov_b32_e32 v18, v7
	v_mov_b32_e32 v17, v6
.LBB210_1444:                           ;   in Loop: Header=BB210_995 Depth=1
	s_or_b32 exec_lo, exec_lo, s18
.LBB210_1445:                           ;   in Loop: Header=BB210_995 Depth=1
	s_or_b32 exec_lo, exec_lo, s17
.LBB210_1446:                           ;   in Loop: Header=BB210_995 Depth=1
	s_or_b32 exec_lo, exec_lo, s15
	v_cmp_ne_u16_sdwa s4, v23, v7 src0_sel:BYTE_1 src1_sel:DWORD
	s_and_saveexec_b32 s15, s4
	s_cbranch_execz .LBB210_1454
; %bb.1447:                             ;   in Loop: Header=BB210_995 Depth=1
	v_mov_b32_e32 v8, v7
	v_mov_b32_e32 v20, v9
	v_cmp_ne_u16_sdwa s4, v23, v83 src0_sel:BYTE_1 src1_sel:DWORD
	v_mov_b32_e32 v19, v8
	s_and_saveexec_b32 s17, s4
	s_cbranch_execz .LBB210_1453
; %bb.1448:                             ;   in Loop: Header=BB210_995 Depth=1
	v_mov_b32_e32 v6, 0xffff
	v_mov_b32_e32 v11, v7
	;; [unrolled: 1-line block ×3, first 2 shown]
	s_mov_b32 s18, exec_lo
	v_and_b32_sdwa v6, v6, v23 dst_sel:DWORD dst_unused:UNUSED_PAD src0_sel:DWORD src1_sel:BYTE_1
	v_mov_b32_e32 v19, v11
	v_and_b32_e32 v10, 0x7f, v6
	v_cmpx_ne_u32_e32 0x7f, v10
	s_cbranch_execz .LBB210_1452
; %bb.1449:                             ;   in Loop: Header=BB210_995 Depth=1
	v_and_b32_e32 v6, 7, v6
	v_lshrrev_b32_e32 v8, 3, v10
	s_mov_b32 s19, exec_lo
	v_cmpx_gt_u32_e32 8, v10
; %bb.1450:                             ;   in Loop: Header=BB210_995 Depth=1
	v_ffbh_u32_e32 v8, v6
	v_min_u32_e32 v8, 32, v8
	v_subrev_nc_u32_e32 v10, 28, v8
	v_sub_nc_u32_e32 v8, 29, v8
	v_lshlrev_b64 v[10:11], v10, v[6:7]
	v_and_b32_e32 v6, 7, v10
; %bb.1451:                             ;   in Loop: Header=BB210_995 Depth=1
	s_or_b32 exec_lo, exec_lo, s19
	v_lshlrev_b32_e32 v10, 16, v23
	v_lshlrev_b32_e32 v6, 20, v6
	v_lshl_add_u32 v8, v8, 23, 0x3c000000
	v_mov_b32_e32 v19, v7
	v_and_b32_e32 v10, 0x80000000, v10
	v_or3_b32 v20, v6, v10, v8
.LBB210_1452:                           ;   in Loop: Header=BB210_995 Depth=1
	s_or_b32 exec_lo, exec_lo, s18
.LBB210_1453:                           ;   in Loop: Header=BB210_995 Depth=1
	s_or_b32 exec_lo, exec_lo, s17
.LBB210_1454:                           ;   in Loop: Header=BB210_995 Depth=1
	s_or_b32 exec_lo, exec_lo, s15
	v_mov_b32_e32 v10, 0
	v_mov_b32_e32 v21, 0
	v_and_b32_sdwa v6, v23, v85 dst_sel:DWORD dst_unused:UNUSED_PAD src0_sel:WORD_1 src1_sel:DWORD
	v_mov_b32_e32 v11, 0
	v_mov_b32_e32 v22, 0
	s_mov_b32 s15, exec_lo
	v_cmpx_ne_u16_e32 0, v6
	s_cbranch_execz .LBB210_1462
; %bb.1455:                             ;   in Loop: Header=BB210_995 Depth=1
	v_bfrev_b32_e32 v21, 1
	v_mov_b32_e32 v22, 0
	s_mov_b32 s17, exec_lo
	v_cmpx_ne_u16_e32 0x80, v6
	s_cbranch_execz .LBB210_1461
; %bb.1456:                             ;   in Loop: Header=BB210_995 Depth=1
	v_mov_b32_e32 v21, 0x7f800001
	v_bfe_u32 v24, v23, 16, 7
	v_mov_b32_e32 v22, 0
	s_mov_b32 s18, exec_lo
	v_cmpx_ne_u32_e32 0x7f, v24
	s_cbranch_execz .LBB210_1460
; %bb.1457:                             ;   in Loop: Header=BB210_995 Depth=1
	v_mov_b32_e32 v6, 7
	v_lshrrev_b32_e32 v8, 3, v24
	s_mov_b32 s19, exec_lo
	v_and_b32_sdwa v6, v23, v6 dst_sel:DWORD dst_unused:UNUSED_PAD src0_sel:WORD_1 src1_sel:DWORD
	v_cmpx_gt_u32_e32 8, v24
; %bb.1458:                             ;   in Loop: Header=BB210_995 Depth=1
	v_ffbh_u32_e32 v8, v6
	v_min_u32_e32 v8, 32, v8
	v_subrev_nc_u32_e32 v13, 28, v8
	v_sub_nc_u32_e32 v8, 29, v8
	v_lshlrev_b64 v[21:22], v13, v[6:7]
	v_and_b32_e32 v6, 7, v21
; %bb.1459:                             ;   in Loop: Header=BB210_995 Depth=1
	s_or_b32 exec_lo, exec_lo, s19
	v_mov_b32_e32 v13, 24
	v_lshlrev_b32_e32 v6, 20, v6
	v_lshl_add_u32 v8, v8, 23, 0x3c000000
	v_lshlrev_b32_sdwa v13, v13, v23 dst_sel:DWORD dst_unused:UNUSED_PAD src0_sel:DWORD src1_sel:WORD_1
	v_and_b32_e32 v13, 0x80000000, v13
	v_or3_b32 v6, v6, v13, v8
	v_mov_b32_e32 v22, v7
	v_mov_b32_e32 v21, v6
.LBB210_1460:                           ;   in Loop: Header=BB210_995 Depth=1
	s_or_b32 exec_lo, exec_lo, s18
.LBB210_1461:                           ;   in Loop: Header=BB210_995 Depth=1
	s_or_b32 exec_lo, exec_lo, s17
.LBB210_1462:                           ;   in Loop: Header=BB210_995 Depth=1
	s_or_b32 exec_lo, exec_lo, s15
	s_mov_b32 s15, exec_lo
	v_cmpx_lt_u32_e32 0xffffff, v23
	s_cbranch_execz .LBB210_1470
; %bb.1463:                             ;   in Loop: Header=BB210_995 Depth=1
	v_mov_b32_e32 v8, v7
	v_mov_b32_e32 v11, v9
	v_cmp_ne_u32_sdwa s4, v23, v83 src0_sel:BYTE_3 src1_sel:DWORD
	v_mov_b32_e32 v10, v8
	s_and_saveexec_b32 s17, s4
	s_cbranch_execz .LBB210_1469
; %bb.1464:                             ;   in Loop: Header=BB210_995 Depth=1
	v_mov_b32_e32 v11, v7
	v_bfe_u32 v24, v23, 24, 7
	s_mov_b32 s18, exec_lo
	v_mov_b32_e32 v10, v11
	v_mov_b32_e32 v11, v12
	v_cmpx_ne_u32_e32 0x7f, v24
	s_cbranch_execz .LBB210_1468
; %bb.1465:                             ;   in Loop: Header=BB210_995 Depth=1
	v_mov_b32_e32 v6, 7
	v_lshrrev_b32_e32 v8, 3, v24
	s_mov_b32 s19, exec_lo
	v_and_b32_sdwa v6, v23, v6 dst_sel:DWORD dst_unused:UNUSED_PAD src0_sel:BYTE_3 src1_sel:DWORD
	v_cmpx_gt_u32_e32 8, v24
; %bb.1466:                             ;   in Loop: Header=BB210_995 Depth=1
	v_ffbh_u32_e32 v8, v6
	v_min_u32_e32 v8, 32, v8
	v_subrev_nc_u32_e32 v10, 28, v8
	v_sub_nc_u32_e32 v8, 29, v8
	v_lshlrev_b64 v[10:11], v10, v[6:7]
	v_and_b32_e32 v6, 7, v10
; %bb.1467:                             ;   in Loop: Header=BB210_995 Depth=1
	s_or_b32 exec_lo, exec_lo, s19
	v_mov_b32_e32 v10, 24
	v_lshlrev_b32_e32 v6, 20, v6
	v_lshl_add_u32 v8, v8, 23, 0x3c000000
	v_lshlrev_b32_sdwa v10, v10, v23 dst_sel:DWORD dst_unused:UNUSED_PAD src0_sel:DWORD src1_sel:BYTE_3
	v_and_b32_e32 v10, 0x80000000, v10
	v_or3_b32 v11, v6, v10, v8
	v_mov_b32_e32 v10, v7
.LBB210_1468:                           ;   in Loop: Header=BB210_995 Depth=1
	s_or_b32 exec_lo, exec_lo, s18
.LBB210_1469:                           ;   in Loop: Header=BB210_995 Depth=1
	s_or_b32 exec_lo, exec_lo, s17
.LBB210_1470:                           ;   in Loop: Header=BB210_995 Depth=1
	s_or_b32 exec_lo, exec_lo, s15
	v_or_b32_e32 v6, v20, v18
	v_or_b32_e32 v8, v19, v17
	;; [unrolled: 1-line block ×4, first 2 shown]
	v_mul_f32_e32 v27, v100, v6
	v_mul_f32_e32 v127, v100, v8
	;; [unrolled: 1-line block ×4, first 2 shown]
	s_and_saveexec_b32 s15, vcc_lo
	s_cbranch_execz .LBB210_1472
; %bb.1471:                             ;   in Loop: Header=BB210_995 Depth=1
	buffer_load_dword v6, off, s[0:3], s32 offset:192 ; 4-byte Folded Reload
	s_waitcnt vmcnt(0)
	v_cmp_lt_i32_e64 s4, v113, v6
	v_cndmask_b32_e64 v127, 0, v127, s4
	v_cmp_lt_i32_e64 s4, v116, v6
	v_cndmask_b32_e64 v27, 0, v27, s4
	;; [unrolled: 2-line block ×4, first 2 shown]
.LBB210_1472:                           ;   in Loop: Header=BB210_995 Depth=1
	s_or_b32 exec_lo, exec_lo, s15
	flat_load_dword v23, v[0:1] offset:1792
	v_mov_b32_e32 v19, 0
	v_mov_b32_e32 v17, 0
	;; [unrolled: 1-line block ×4, first 2 shown]
	s_waitcnt vmcnt(0) lgkmcnt(0)
	v_cmp_ne_u16_sdwa s4, v23, v7 src0_sel:BYTE_0 src1_sel:DWORD
	s_and_saveexec_b32 s15, s4
	s_cbranch_execz .LBB210_1480
; %bb.1473:                             ;   in Loop: Header=BB210_995 Depth=1
	v_bfrev_b32_e32 v17, 1
	v_mov_b32_e32 v18, 0
	v_cmp_ne_u16_sdwa s4, v23, v83 src0_sel:BYTE_0 src1_sel:DWORD
	s_and_saveexec_b32 s17, s4
	s_cbranch_execz .LBB210_1479
; %bb.1474:                             ;   in Loop: Header=BB210_995 Depth=1
	v_mov_b32_e32 v17, 0x7f800001
	v_and_b32_e32 v10, 0x7f, v23
	v_mov_b32_e32 v18, 0
	s_mov_b32 s18, exec_lo
	v_cmpx_ne_u32_e32 0x7f, v10
	s_cbranch_execz .LBB210_1478
; %bb.1475:                             ;   in Loop: Header=BB210_995 Depth=1
	v_and_b32_e32 v6, 7, v23
	v_lshrrev_b32_e32 v8, 3, v10
	s_mov_b32 s19, exec_lo
	v_cmpx_gt_u32_e32 8, v10
; %bb.1476:                             ;   in Loop: Header=BB210_995 Depth=1
	v_ffbh_u32_e32 v8, v6
	v_min_u32_e32 v8, 32, v8
	v_subrev_nc_u32_e32 v10, 28, v8
	v_sub_nc_u32_e32 v8, 29, v8
	v_lshlrev_b64 v[10:11], v10, v[6:7]
	v_and_b32_e32 v6, 7, v10
; %bb.1477:                             ;   in Loop: Header=BB210_995 Depth=1
	s_or_b32 exec_lo, exec_lo, s19
	v_lshlrev_b32_e32 v10, 24, v23
	v_lshlrev_b32_e32 v6, 20, v6
	v_lshl_add_u32 v8, v8, 23, 0x3c000000
	v_and_b32_e32 v10, 0x80000000, v10
	v_or3_b32 v6, v6, v10, v8
	v_mov_b32_e32 v18, v7
	v_mov_b32_e32 v17, v6
.LBB210_1478:                           ;   in Loop: Header=BB210_995 Depth=1
	s_or_b32 exec_lo, exec_lo, s18
.LBB210_1479:                           ;   in Loop: Header=BB210_995 Depth=1
	s_or_b32 exec_lo, exec_lo, s17
.LBB210_1480:                           ;   in Loop: Header=BB210_995 Depth=1
	s_or_b32 exec_lo, exec_lo, s15
	v_cmp_ne_u16_sdwa s4, v23, v7 src0_sel:BYTE_1 src1_sel:DWORD
	s_and_saveexec_b32 s15, s4
	s_cbranch_execz .LBB210_1488
; %bb.1481:                             ;   in Loop: Header=BB210_995 Depth=1
	v_mov_b32_e32 v8, v7
	v_mov_b32_e32 v20, v9
	v_cmp_ne_u16_sdwa s4, v23, v83 src0_sel:BYTE_1 src1_sel:DWORD
	v_mov_b32_e32 v19, v8
	s_and_saveexec_b32 s17, s4
	s_cbranch_execz .LBB210_1487
; %bb.1482:                             ;   in Loop: Header=BB210_995 Depth=1
	v_mov_b32_e32 v6, 0xffff
	v_mov_b32_e32 v11, v7
	;; [unrolled: 1-line block ×3, first 2 shown]
	s_mov_b32 s18, exec_lo
	v_and_b32_sdwa v6, v6, v23 dst_sel:DWORD dst_unused:UNUSED_PAD src0_sel:DWORD src1_sel:BYTE_1
	v_mov_b32_e32 v19, v11
	v_and_b32_e32 v10, 0x7f, v6
	v_cmpx_ne_u32_e32 0x7f, v10
	s_cbranch_execz .LBB210_1486
; %bb.1483:                             ;   in Loop: Header=BB210_995 Depth=1
	v_and_b32_e32 v6, 7, v6
	v_lshrrev_b32_e32 v8, 3, v10
	s_mov_b32 s19, exec_lo
	v_cmpx_gt_u32_e32 8, v10
; %bb.1484:                             ;   in Loop: Header=BB210_995 Depth=1
	v_ffbh_u32_e32 v8, v6
	v_min_u32_e32 v8, 32, v8
	v_subrev_nc_u32_e32 v10, 28, v8
	v_sub_nc_u32_e32 v8, 29, v8
	v_lshlrev_b64 v[10:11], v10, v[6:7]
	v_and_b32_e32 v6, 7, v10
; %bb.1485:                             ;   in Loop: Header=BB210_995 Depth=1
	s_or_b32 exec_lo, exec_lo, s19
	v_lshlrev_b32_e32 v10, 16, v23
	v_lshlrev_b32_e32 v6, 20, v6
	v_lshl_add_u32 v8, v8, 23, 0x3c000000
	v_mov_b32_e32 v19, v7
	v_and_b32_e32 v10, 0x80000000, v10
	v_or3_b32 v20, v6, v10, v8
.LBB210_1486:                           ;   in Loop: Header=BB210_995 Depth=1
	s_or_b32 exec_lo, exec_lo, s18
.LBB210_1487:                           ;   in Loop: Header=BB210_995 Depth=1
	s_or_b32 exec_lo, exec_lo, s17
.LBB210_1488:                           ;   in Loop: Header=BB210_995 Depth=1
	s_or_b32 exec_lo, exec_lo, s15
	v_mov_b32_e32 v10, 0
	v_mov_b32_e32 v21, 0
	v_and_b32_sdwa v6, v23, v85 dst_sel:DWORD dst_unused:UNUSED_PAD src0_sel:WORD_1 src1_sel:DWORD
	v_mov_b32_e32 v11, 0
	v_mov_b32_e32 v22, 0
	s_mov_b32 s15, exec_lo
	v_cmpx_ne_u16_e32 0, v6
	s_cbranch_execz .LBB210_1496
; %bb.1489:                             ;   in Loop: Header=BB210_995 Depth=1
	v_bfrev_b32_e32 v21, 1
	v_mov_b32_e32 v22, 0
	s_mov_b32 s17, exec_lo
	v_cmpx_ne_u16_e32 0x80, v6
	s_cbranch_execz .LBB210_1495
; %bb.1490:                             ;   in Loop: Header=BB210_995 Depth=1
	v_mov_b32_e32 v21, 0x7f800001
	v_bfe_u32 v24, v23, 16, 7
	v_mov_b32_e32 v22, 0
	s_mov_b32 s18, exec_lo
	v_cmpx_ne_u32_e32 0x7f, v24
	s_cbranch_execz .LBB210_1494
; %bb.1491:                             ;   in Loop: Header=BB210_995 Depth=1
	v_mov_b32_e32 v6, 7
	v_lshrrev_b32_e32 v8, 3, v24
	s_mov_b32 s19, exec_lo
	v_and_b32_sdwa v6, v23, v6 dst_sel:DWORD dst_unused:UNUSED_PAD src0_sel:WORD_1 src1_sel:DWORD
	v_cmpx_gt_u32_e32 8, v24
; %bb.1492:                             ;   in Loop: Header=BB210_995 Depth=1
	v_ffbh_u32_e32 v8, v6
	v_min_u32_e32 v8, 32, v8
	v_subrev_nc_u32_e32 v13, 28, v8
	v_sub_nc_u32_e32 v8, 29, v8
	v_lshlrev_b64 v[21:22], v13, v[6:7]
	v_and_b32_e32 v6, 7, v21
; %bb.1493:                             ;   in Loop: Header=BB210_995 Depth=1
	s_or_b32 exec_lo, exec_lo, s19
	v_mov_b32_e32 v13, 24
	v_lshlrev_b32_e32 v6, 20, v6
	v_lshl_add_u32 v8, v8, 23, 0x3c000000
	v_lshlrev_b32_sdwa v13, v13, v23 dst_sel:DWORD dst_unused:UNUSED_PAD src0_sel:DWORD src1_sel:WORD_1
	v_and_b32_e32 v13, 0x80000000, v13
	v_or3_b32 v6, v6, v13, v8
	v_mov_b32_e32 v22, v7
	v_mov_b32_e32 v21, v6
.LBB210_1494:                           ;   in Loop: Header=BB210_995 Depth=1
	s_or_b32 exec_lo, exec_lo, s18
.LBB210_1495:                           ;   in Loop: Header=BB210_995 Depth=1
	s_or_b32 exec_lo, exec_lo, s17
.LBB210_1496:                           ;   in Loop: Header=BB210_995 Depth=1
	s_or_b32 exec_lo, exec_lo, s15
	s_mov_b32 s15, exec_lo
	v_cmpx_lt_u32_e32 0xffffff, v23
	s_cbranch_execz .LBB210_1504
; %bb.1497:                             ;   in Loop: Header=BB210_995 Depth=1
	v_mov_b32_e32 v8, v7
	v_mov_b32_e32 v11, v9
	v_cmp_ne_u32_sdwa s4, v23, v83 src0_sel:BYTE_3 src1_sel:DWORD
	v_mov_b32_e32 v10, v8
	s_and_saveexec_b32 s17, s4
	s_cbranch_execz .LBB210_1503
; %bb.1498:                             ;   in Loop: Header=BB210_995 Depth=1
	v_mov_b32_e32 v11, v7
	v_bfe_u32 v24, v23, 24, 7
	s_mov_b32 s18, exec_lo
	v_mov_b32_e32 v10, v11
	v_mov_b32_e32 v11, v12
	v_cmpx_ne_u32_e32 0x7f, v24
	s_cbranch_execz .LBB210_1502
; %bb.1499:                             ;   in Loop: Header=BB210_995 Depth=1
	v_mov_b32_e32 v6, 7
	v_lshrrev_b32_e32 v8, 3, v24
	s_mov_b32 s19, exec_lo
	v_and_b32_sdwa v6, v23, v6 dst_sel:DWORD dst_unused:UNUSED_PAD src0_sel:BYTE_3 src1_sel:DWORD
	v_cmpx_gt_u32_e32 8, v24
; %bb.1500:                             ;   in Loop: Header=BB210_995 Depth=1
	v_ffbh_u32_e32 v8, v6
	v_min_u32_e32 v8, 32, v8
	v_subrev_nc_u32_e32 v10, 28, v8
	v_sub_nc_u32_e32 v8, 29, v8
	v_lshlrev_b64 v[10:11], v10, v[6:7]
	v_and_b32_e32 v6, 7, v10
; %bb.1501:                             ;   in Loop: Header=BB210_995 Depth=1
	s_or_b32 exec_lo, exec_lo, s19
	v_mov_b32_e32 v10, 24
	v_lshlrev_b32_e32 v6, 20, v6
	v_lshl_add_u32 v8, v8, 23, 0x3c000000
	v_lshlrev_b32_sdwa v10, v10, v23 dst_sel:DWORD dst_unused:UNUSED_PAD src0_sel:DWORD src1_sel:BYTE_3
	v_and_b32_e32 v10, 0x80000000, v10
	v_or3_b32 v11, v6, v10, v8
	v_mov_b32_e32 v10, v7
.LBB210_1502:                           ;   in Loop: Header=BB210_995 Depth=1
	s_or_b32 exec_lo, exec_lo, s18
.LBB210_1503:                           ;   in Loop: Header=BB210_995 Depth=1
	s_or_b32 exec_lo, exec_lo, s17
.LBB210_1504:                           ;   in Loop: Header=BB210_995 Depth=1
	s_or_b32 exec_lo, exec_lo, s15
	v_or_b32_e32 v6, v20, v18
	v_or_b32_e32 v8, v19, v17
	;; [unrolled: 1-line block ×4, first 2 shown]
	v_mul_f32_e32 v98, v100, v6
	v_mul_f32_e32 v24, v100, v8
	v_mul_f32_e32 v23, v100, v10
	v_mul_f32_e32 v96, v100, v11
	s_and_saveexec_b32 s15, vcc_lo
	s_cbranch_execz .LBB210_1506
; %bb.1505:                             ;   in Loop: Header=BB210_995 Depth=1
	buffer_load_dword v6, off, s[0:3], s32 offset:192 ; 4-byte Folded Reload
	s_waitcnt vmcnt(0)
	v_cmp_lt_i32_e64 s4, v113, v6
	v_cndmask_b32_e64 v24, 0, v24, s4
	v_cmp_lt_i32_e64 s4, v116, v6
	v_cndmask_b32_e64 v98, 0, v98, s4
	;; [unrolled: 2-line block ×4, first 2 shown]
.LBB210_1506:                           ;   in Loop: Header=BB210_995 Depth=1
	s_or_b32 exec_lo, exec_lo, s15
	flat_load_dword v28, v[0:1] offset:1920
	v_mov_b32_e32 v19, 0
	v_mov_b32_e32 v17, 0
	;; [unrolled: 1-line block ×4, first 2 shown]
	s_waitcnt vmcnt(0) lgkmcnt(0)
	v_cmp_ne_u16_sdwa s4, v28, v7 src0_sel:BYTE_0 src1_sel:DWORD
	s_and_saveexec_b32 s15, s4
	s_cbranch_execz .LBB210_1514
; %bb.1507:                             ;   in Loop: Header=BB210_995 Depth=1
	v_bfrev_b32_e32 v17, 1
	v_mov_b32_e32 v18, 0
	v_cmp_ne_u16_sdwa s4, v28, v83 src0_sel:BYTE_0 src1_sel:DWORD
	s_and_saveexec_b32 s17, s4
	s_cbranch_execz .LBB210_1513
; %bb.1508:                             ;   in Loop: Header=BB210_995 Depth=1
	v_mov_b32_e32 v17, 0x7f800001
	v_and_b32_e32 v10, 0x7f, v28
	v_mov_b32_e32 v18, 0
	s_mov_b32 s18, exec_lo
	v_cmpx_ne_u32_e32 0x7f, v10
	s_cbranch_execz .LBB210_1512
; %bb.1509:                             ;   in Loop: Header=BB210_995 Depth=1
	v_and_b32_e32 v6, 7, v28
	v_lshrrev_b32_e32 v8, 3, v10
	s_mov_b32 s19, exec_lo
	v_cmpx_gt_u32_e32 8, v10
; %bb.1510:                             ;   in Loop: Header=BB210_995 Depth=1
	v_ffbh_u32_e32 v8, v6
	v_min_u32_e32 v8, 32, v8
	v_subrev_nc_u32_e32 v10, 28, v8
	v_sub_nc_u32_e32 v8, 29, v8
	v_lshlrev_b64 v[10:11], v10, v[6:7]
	v_and_b32_e32 v6, 7, v10
; %bb.1511:                             ;   in Loop: Header=BB210_995 Depth=1
	s_or_b32 exec_lo, exec_lo, s19
	v_lshlrev_b32_e32 v10, 24, v28
	v_lshlrev_b32_e32 v6, 20, v6
	v_lshl_add_u32 v8, v8, 23, 0x3c000000
	v_and_b32_e32 v10, 0x80000000, v10
	v_or3_b32 v6, v6, v10, v8
	v_mov_b32_e32 v18, v7
	v_mov_b32_e32 v17, v6
.LBB210_1512:                           ;   in Loop: Header=BB210_995 Depth=1
	s_or_b32 exec_lo, exec_lo, s18
.LBB210_1513:                           ;   in Loop: Header=BB210_995 Depth=1
	s_or_b32 exec_lo, exec_lo, s17
.LBB210_1514:                           ;   in Loop: Header=BB210_995 Depth=1
	s_or_b32 exec_lo, exec_lo, s15
	v_cmp_ne_u16_sdwa s4, v28, v7 src0_sel:BYTE_1 src1_sel:DWORD
	s_and_saveexec_b32 s15, s4
	s_cbranch_execz .LBB210_1522
; %bb.1515:                             ;   in Loop: Header=BB210_995 Depth=1
	v_mov_b32_e32 v8, v7
	v_mov_b32_e32 v20, v9
	v_cmp_ne_u16_sdwa s4, v28, v83 src0_sel:BYTE_1 src1_sel:DWORD
	v_mov_b32_e32 v19, v8
	s_and_saveexec_b32 s17, s4
	s_cbranch_execz .LBB210_1521
; %bb.1516:                             ;   in Loop: Header=BB210_995 Depth=1
	v_mov_b32_e32 v6, 0xffff
	v_mov_b32_e32 v11, v7
	;; [unrolled: 1-line block ×3, first 2 shown]
	s_mov_b32 s18, exec_lo
	v_and_b32_sdwa v6, v6, v28 dst_sel:DWORD dst_unused:UNUSED_PAD src0_sel:DWORD src1_sel:BYTE_1
	v_mov_b32_e32 v19, v11
	v_and_b32_e32 v10, 0x7f, v6
	v_cmpx_ne_u32_e32 0x7f, v10
	s_cbranch_execz .LBB210_1520
; %bb.1517:                             ;   in Loop: Header=BB210_995 Depth=1
	v_and_b32_e32 v6, 7, v6
	v_lshrrev_b32_e32 v8, 3, v10
	s_mov_b32 s19, exec_lo
	v_cmpx_gt_u32_e32 8, v10
; %bb.1518:                             ;   in Loop: Header=BB210_995 Depth=1
	v_ffbh_u32_e32 v8, v6
	v_min_u32_e32 v8, 32, v8
	v_subrev_nc_u32_e32 v10, 28, v8
	v_sub_nc_u32_e32 v8, 29, v8
	v_lshlrev_b64 v[10:11], v10, v[6:7]
	v_and_b32_e32 v6, 7, v10
; %bb.1519:                             ;   in Loop: Header=BB210_995 Depth=1
	s_or_b32 exec_lo, exec_lo, s19
	v_lshlrev_b32_e32 v10, 16, v28
	v_lshlrev_b32_e32 v6, 20, v6
	v_lshl_add_u32 v8, v8, 23, 0x3c000000
	v_mov_b32_e32 v19, v7
	v_and_b32_e32 v10, 0x80000000, v10
	v_or3_b32 v20, v6, v10, v8
.LBB210_1520:                           ;   in Loop: Header=BB210_995 Depth=1
	s_or_b32 exec_lo, exec_lo, s18
.LBB210_1521:                           ;   in Loop: Header=BB210_995 Depth=1
	s_or_b32 exec_lo, exec_lo, s17
.LBB210_1522:                           ;   in Loop: Header=BB210_995 Depth=1
	s_or_b32 exec_lo, exec_lo, s15
	v_mov_b32_e32 v10, 0
	v_mov_b32_e32 v21, 0
	v_and_b32_sdwa v6, v28, v85 dst_sel:DWORD dst_unused:UNUSED_PAD src0_sel:WORD_1 src1_sel:DWORD
	v_mov_b32_e32 v11, 0
	v_mov_b32_e32 v22, 0
	s_mov_b32 s15, exec_lo
	v_cmpx_ne_u16_e32 0, v6
	s_cbranch_execz .LBB210_1530
; %bb.1523:                             ;   in Loop: Header=BB210_995 Depth=1
	v_bfrev_b32_e32 v21, 1
	v_mov_b32_e32 v22, 0
	s_mov_b32 s17, exec_lo
	v_cmpx_ne_u16_e32 0x80, v6
	s_cbranch_execz .LBB210_1529
; %bb.1524:                             ;   in Loop: Header=BB210_995 Depth=1
	v_mov_b32_e32 v21, 0x7f800001
	v_bfe_u32 v29, v28, 16, 7
	v_mov_b32_e32 v22, 0
	s_mov_b32 s18, exec_lo
	v_cmpx_ne_u32_e32 0x7f, v29
	s_cbranch_execz .LBB210_1528
; %bb.1525:                             ;   in Loop: Header=BB210_995 Depth=1
	v_mov_b32_e32 v6, 7
	v_lshrrev_b32_e32 v8, 3, v29
	s_mov_b32 s19, exec_lo
	v_and_b32_sdwa v6, v28, v6 dst_sel:DWORD dst_unused:UNUSED_PAD src0_sel:WORD_1 src1_sel:DWORD
	v_cmpx_gt_u32_e32 8, v29
; %bb.1526:                             ;   in Loop: Header=BB210_995 Depth=1
	v_ffbh_u32_e32 v8, v6
	v_min_u32_e32 v8, 32, v8
	v_subrev_nc_u32_e32 v13, 28, v8
	v_sub_nc_u32_e32 v8, 29, v8
	v_lshlrev_b64 v[21:22], v13, v[6:7]
	v_and_b32_e32 v6, 7, v21
; %bb.1527:                             ;   in Loop: Header=BB210_995 Depth=1
	s_or_b32 exec_lo, exec_lo, s19
	v_mov_b32_e32 v13, 24
	v_lshlrev_b32_e32 v6, 20, v6
	v_lshl_add_u32 v8, v8, 23, 0x3c000000
	v_lshlrev_b32_sdwa v13, v13, v28 dst_sel:DWORD dst_unused:UNUSED_PAD src0_sel:DWORD src1_sel:WORD_1
	v_and_b32_e32 v13, 0x80000000, v13
	v_or3_b32 v6, v6, v13, v8
	v_mov_b32_e32 v22, v7
	v_mov_b32_e32 v21, v6
.LBB210_1528:                           ;   in Loop: Header=BB210_995 Depth=1
	s_or_b32 exec_lo, exec_lo, s18
.LBB210_1529:                           ;   in Loop: Header=BB210_995 Depth=1
	s_or_b32 exec_lo, exec_lo, s17
.LBB210_1530:                           ;   in Loop: Header=BB210_995 Depth=1
	s_or_b32 exec_lo, exec_lo, s15
	s_mov_b32 s15, exec_lo
	v_cmpx_lt_u32_e32 0xffffff, v28
	s_cbranch_execz .LBB210_1538
; %bb.1531:                             ;   in Loop: Header=BB210_995 Depth=1
	v_mov_b32_e32 v8, v7
	v_mov_b32_e32 v11, v9
	v_cmp_ne_u32_sdwa s4, v28, v83 src0_sel:BYTE_3 src1_sel:DWORD
	v_mov_b32_e32 v10, v8
	s_and_saveexec_b32 s17, s4
	s_cbranch_execz .LBB210_1537
; %bb.1532:                             ;   in Loop: Header=BB210_995 Depth=1
	v_mov_b32_e32 v11, v7
	v_bfe_u32 v29, v28, 24, 7
	s_mov_b32 s18, exec_lo
	v_mov_b32_e32 v10, v11
	v_mov_b32_e32 v11, v12
	v_cmpx_ne_u32_e32 0x7f, v29
	s_cbranch_execz .LBB210_1536
; %bb.1533:                             ;   in Loop: Header=BB210_995 Depth=1
	v_mov_b32_e32 v6, 7
	v_lshrrev_b32_e32 v8, 3, v29
	s_mov_b32 s19, exec_lo
	v_and_b32_sdwa v6, v28, v6 dst_sel:DWORD dst_unused:UNUSED_PAD src0_sel:BYTE_3 src1_sel:DWORD
	v_cmpx_gt_u32_e32 8, v29
; %bb.1534:                             ;   in Loop: Header=BB210_995 Depth=1
	v_ffbh_u32_e32 v8, v6
	v_min_u32_e32 v8, 32, v8
	v_subrev_nc_u32_e32 v10, 28, v8
	v_sub_nc_u32_e32 v8, 29, v8
	v_lshlrev_b64 v[10:11], v10, v[6:7]
	v_and_b32_e32 v6, 7, v10
; %bb.1535:                             ;   in Loop: Header=BB210_995 Depth=1
	s_or_b32 exec_lo, exec_lo, s19
	v_mov_b32_e32 v10, 24
	v_lshlrev_b32_e32 v6, 20, v6
	v_lshl_add_u32 v8, v8, 23, 0x3c000000
	v_lshlrev_b32_sdwa v10, v10, v28 dst_sel:DWORD dst_unused:UNUSED_PAD src0_sel:DWORD src1_sel:BYTE_3
	v_and_b32_e32 v10, 0x80000000, v10
	v_or3_b32 v11, v6, v10, v8
	v_mov_b32_e32 v10, v7
.LBB210_1536:                           ;   in Loop: Header=BB210_995 Depth=1
	s_or_b32 exec_lo, exec_lo, s18
.LBB210_1537:                           ;   in Loop: Header=BB210_995 Depth=1
	s_or_b32 exec_lo, exec_lo, s17
.LBB210_1538:                           ;   in Loop: Header=BB210_995 Depth=1
	s_or_b32 exec_lo, exec_lo, s15
	v_or_b32_e32 v6, v20, v18
	v_or_b32_e32 v8, v19, v17
	;; [unrolled: 1-line block ×4, first 2 shown]
	v_mul_f32_e32 v31, v100, v6
	v_mul_f32_e32 v30, v100, v8
	;; [unrolled: 1-line block ×4, first 2 shown]
	s_and_saveexec_b32 s15, vcc_lo
	s_cbranch_execz .LBB210_1540
; %bb.1539:                             ;   in Loop: Header=BB210_995 Depth=1
	buffer_load_dword v6, off, s[0:3], s32 offset:192 ; 4-byte Folded Reload
	s_waitcnt vmcnt(0)
	v_cmp_lt_i32_e64 s4, v113, v6
	v_cndmask_b32_e64 v30, 0, v30, s4
	v_cmp_lt_i32_e64 s4, v116, v6
	v_cndmask_b32_e64 v31, 0, v31, s4
	;; [unrolled: 2-line block ×4, first 2 shown]
.LBB210_1540:                           ;   in Loop: Header=BB210_995 Depth=1
	s_or_b32 exec_lo, exec_lo, s15
	v_add_co_u32 v0, s4, 0x800, v0
	v_add_co_ci_u32_e64 v1, null, 0, v1, s4
	v_mov_b32_e32 v19, 0
	v_mov_b32_e32 v17, 0
	;; [unrolled: 1-line block ×3, first 2 shown]
	flat_load_dword v32, v[0:1]
	v_mov_b32_e32 v18, 0
	s_waitcnt vmcnt(0) lgkmcnt(0)
	v_cmp_ne_u16_sdwa s4, v32, v7 src0_sel:BYTE_0 src1_sel:DWORD
	s_and_saveexec_b32 s15, s4
	s_cbranch_execz .LBB210_1548
; %bb.1541:                             ;   in Loop: Header=BB210_995 Depth=1
	v_bfrev_b32_e32 v17, 1
	v_mov_b32_e32 v18, 0
	v_cmp_ne_u16_sdwa s4, v32, v83 src0_sel:BYTE_0 src1_sel:DWORD
	s_and_saveexec_b32 s17, s4
	s_cbranch_execz .LBB210_1547
; %bb.1542:                             ;   in Loop: Header=BB210_995 Depth=1
	v_mov_b32_e32 v17, 0x7f800001
	v_and_b32_e32 v10, 0x7f, v32
	v_mov_b32_e32 v18, 0
	s_mov_b32 s18, exec_lo
	v_cmpx_ne_u32_e32 0x7f, v10
	s_cbranch_execz .LBB210_1546
; %bb.1543:                             ;   in Loop: Header=BB210_995 Depth=1
	v_and_b32_e32 v6, 7, v32
	v_lshrrev_b32_e32 v8, 3, v10
	s_mov_b32 s19, exec_lo
	v_cmpx_gt_u32_e32 8, v10
; %bb.1544:                             ;   in Loop: Header=BB210_995 Depth=1
	v_ffbh_u32_e32 v8, v6
	v_min_u32_e32 v8, 32, v8
	v_subrev_nc_u32_e32 v10, 28, v8
	v_sub_nc_u32_e32 v8, 29, v8
	v_lshlrev_b64 v[10:11], v10, v[6:7]
	v_and_b32_e32 v6, 7, v10
; %bb.1545:                             ;   in Loop: Header=BB210_995 Depth=1
	s_or_b32 exec_lo, exec_lo, s19
	v_lshlrev_b32_e32 v10, 24, v32
	v_lshlrev_b32_e32 v6, 20, v6
	v_lshl_add_u32 v8, v8, 23, 0x3c000000
	v_and_b32_e32 v10, 0x80000000, v10
	v_or3_b32 v6, v6, v10, v8
	v_mov_b32_e32 v18, v7
	v_mov_b32_e32 v17, v6
.LBB210_1546:                           ;   in Loop: Header=BB210_995 Depth=1
	s_or_b32 exec_lo, exec_lo, s18
.LBB210_1547:                           ;   in Loop: Header=BB210_995 Depth=1
	s_or_b32 exec_lo, exec_lo, s17
.LBB210_1548:                           ;   in Loop: Header=BB210_995 Depth=1
	s_or_b32 exec_lo, exec_lo, s15
	v_cmp_ne_u16_sdwa s4, v32, v7 src0_sel:BYTE_1 src1_sel:DWORD
	s_and_saveexec_b32 s15, s4
	s_cbranch_execz .LBB210_1556
; %bb.1549:                             ;   in Loop: Header=BB210_995 Depth=1
	v_mov_b32_e32 v8, v7
	v_mov_b32_e32 v20, v9
	v_cmp_ne_u16_sdwa s4, v32, v83 src0_sel:BYTE_1 src1_sel:DWORD
	v_mov_b32_e32 v19, v8
	s_and_saveexec_b32 s17, s4
	s_cbranch_execz .LBB210_1555
; %bb.1550:                             ;   in Loop: Header=BB210_995 Depth=1
	v_mov_b32_e32 v6, 0xffff
	v_mov_b32_e32 v11, v7
	;; [unrolled: 1-line block ×3, first 2 shown]
	s_mov_b32 s18, exec_lo
	v_and_b32_sdwa v6, v6, v32 dst_sel:DWORD dst_unused:UNUSED_PAD src0_sel:DWORD src1_sel:BYTE_1
	v_mov_b32_e32 v19, v11
	v_and_b32_e32 v10, 0x7f, v6
	v_cmpx_ne_u32_e32 0x7f, v10
	s_cbranch_execz .LBB210_1554
; %bb.1551:                             ;   in Loop: Header=BB210_995 Depth=1
	v_and_b32_e32 v6, 7, v6
	v_lshrrev_b32_e32 v8, 3, v10
	s_mov_b32 s19, exec_lo
	v_cmpx_gt_u32_e32 8, v10
; %bb.1552:                             ;   in Loop: Header=BB210_995 Depth=1
	v_ffbh_u32_e32 v8, v6
	v_min_u32_e32 v8, 32, v8
	v_subrev_nc_u32_e32 v10, 28, v8
	v_sub_nc_u32_e32 v8, 29, v8
	v_lshlrev_b64 v[10:11], v10, v[6:7]
	v_and_b32_e32 v6, 7, v10
; %bb.1553:                             ;   in Loop: Header=BB210_995 Depth=1
	s_or_b32 exec_lo, exec_lo, s19
	v_lshlrev_b32_e32 v10, 16, v32
	v_lshlrev_b32_e32 v6, 20, v6
	v_lshl_add_u32 v8, v8, 23, 0x3c000000
	v_mov_b32_e32 v19, v7
	v_and_b32_e32 v10, 0x80000000, v10
	v_or3_b32 v20, v6, v10, v8
.LBB210_1554:                           ;   in Loop: Header=BB210_995 Depth=1
	s_or_b32 exec_lo, exec_lo, s18
.LBB210_1555:                           ;   in Loop: Header=BB210_995 Depth=1
	s_or_b32 exec_lo, exec_lo, s17
.LBB210_1556:                           ;   in Loop: Header=BB210_995 Depth=1
	s_or_b32 exec_lo, exec_lo, s15
	v_mov_b32_e32 v10, 0
	v_mov_b32_e32 v21, 0
	v_and_b32_sdwa v6, v32, v85 dst_sel:DWORD dst_unused:UNUSED_PAD src0_sel:WORD_1 src1_sel:DWORD
	v_mov_b32_e32 v11, 0
	v_mov_b32_e32 v22, 0
	s_mov_b32 s15, exec_lo
	v_cmpx_ne_u16_e32 0, v6
	s_cbranch_execz .LBB210_1564
; %bb.1557:                             ;   in Loop: Header=BB210_995 Depth=1
	v_bfrev_b32_e32 v21, 1
	v_mov_b32_e32 v22, 0
	s_mov_b32 s17, exec_lo
	v_cmpx_ne_u16_e32 0x80, v6
	s_cbranch_execz .LBB210_1563
; %bb.1558:                             ;   in Loop: Header=BB210_995 Depth=1
	v_mov_b32_e32 v21, 0x7f800001
	v_bfe_u32 v33, v32, 16, 7
	v_mov_b32_e32 v22, 0
	s_mov_b32 s18, exec_lo
	v_cmpx_ne_u32_e32 0x7f, v33
	s_cbranch_execz .LBB210_1562
; %bb.1559:                             ;   in Loop: Header=BB210_995 Depth=1
	v_mov_b32_e32 v6, 7
	v_lshrrev_b32_e32 v8, 3, v33
	s_mov_b32 s19, exec_lo
	v_and_b32_sdwa v6, v32, v6 dst_sel:DWORD dst_unused:UNUSED_PAD src0_sel:WORD_1 src1_sel:DWORD
	v_cmpx_gt_u32_e32 8, v33
; %bb.1560:                             ;   in Loop: Header=BB210_995 Depth=1
	v_ffbh_u32_e32 v8, v6
	v_min_u32_e32 v8, 32, v8
	v_subrev_nc_u32_e32 v13, 28, v8
	v_sub_nc_u32_e32 v8, 29, v8
	v_lshlrev_b64 v[21:22], v13, v[6:7]
	v_and_b32_e32 v6, 7, v21
; %bb.1561:                             ;   in Loop: Header=BB210_995 Depth=1
	s_or_b32 exec_lo, exec_lo, s19
	v_mov_b32_e32 v13, 24
	v_lshlrev_b32_e32 v6, 20, v6
	v_lshl_add_u32 v8, v8, 23, 0x3c000000
	v_lshlrev_b32_sdwa v13, v13, v32 dst_sel:DWORD dst_unused:UNUSED_PAD src0_sel:DWORD src1_sel:WORD_1
	v_and_b32_e32 v13, 0x80000000, v13
	v_or3_b32 v6, v6, v13, v8
	v_mov_b32_e32 v22, v7
	v_mov_b32_e32 v21, v6
.LBB210_1562:                           ;   in Loop: Header=BB210_995 Depth=1
	s_or_b32 exec_lo, exec_lo, s18
.LBB210_1563:                           ;   in Loop: Header=BB210_995 Depth=1
	s_or_b32 exec_lo, exec_lo, s17
.LBB210_1564:                           ;   in Loop: Header=BB210_995 Depth=1
	s_or_b32 exec_lo, exec_lo, s15
	s_mov_b32 s15, exec_lo
	v_cmpx_lt_u32_e32 0xffffff, v32
	s_cbranch_execz .LBB210_1572
; %bb.1565:                             ;   in Loop: Header=BB210_995 Depth=1
	v_mov_b32_e32 v8, v7
	v_mov_b32_e32 v11, v9
	v_cmp_ne_u32_sdwa s4, v32, v83 src0_sel:BYTE_3 src1_sel:DWORD
	v_mov_b32_e32 v10, v8
	s_and_saveexec_b32 s17, s4
	s_cbranch_execz .LBB210_1571
; %bb.1566:                             ;   in Loop: Header=BB210_995 Depth=1
	v_mov_b32_e32 v11, v7
	v_bfe_u32 v33, v32, 24, 7
	s_mov_b32 s18, exec_lo
	v_mov_b32_e32 v10, v11
	v_mov_b32_e32 v11, v12
	v_cmpx_ne_u32_e32 0x7f, v33
	s_cbranch_execz .LBB210_1570
; %bb.1567:                             ;   in Loop: Header=BB210_995 Depth=1
	v_mov_b32_e32 v6, 7
	v_lshrrev_b32_e32 v8, 3, v33
	s_mov_b32 s19, exec_lo
	v_and_b32_sdwa v6, v32, v6 dst_sel:DWORD dst_unused:UNUSED_PAD src0_sel:BYTE_3 src1_sel:DWORD
	v_cmpx_gt_u32_e32 8, v33
; %bb.1568:                             ;   in Loop: Header=BB210_995 Depth=1
	v_ffbh_u32_e32 v8, v6
	v_min_u32_e32 v8, 32, v8
	v_subrev_nc_u32_e32 v10, 28, v8
	v_sub_nc_u32_e32 v8, 29, v8
	v_lshlrev_b64 v[10:11], v10, v[6:7]
	v_and_b32_e32 v6, 7, v10
; %bb.1569:                             ;   in Loop: Header=BB210_995 Depth=1
	s_or_b32 exec_lo, exec_lo, s19
	v_mov_b32_e32 v10, 24
	v_lshlrev_b32_e32 v6, 20, v6
	v_lshl_add_u32 v8, v8, 23, 0x3c000000
	v_lshlrev_b32_sdwa v10, v10, v32 dst_sel:DWORD dst_unused:UNUSED_PAD src0_sel:DWORD src1_sel:BYTE_3
	v_and_b32_e32 v10, 0x80000000, v10
	v_or3_b32 v11, v6, v10, v8
	v_mov_b32_e32 v10, v7
.LBB210_1570:                           ;   in Loop: Header=BB210_995 Depth=1
	s_or_b32 exec_lo, exec_lo, s18
.LBB210_1571:                           ;   in Loop: Header=BB210_995 Depth=1
	s_or_b32 exec_lo, exec_lo, s17
.LBB210_1572:                           ;   in Loop: Header=BB210_995 Depth=1
	s_or_b32 exec_lo, exec_lo, s15
	v_or_b32_e32 v6, v20, v18
	v_or_b32_e32 v8, v19, v17
	v_or_b32_e32 v10, v10, v21
	v_or_b32_e32 v11, v11, v22
	v_mul_f32_e32 v35, v100, v6
	v_mul_f32_e32 v34, v100, v8
	;; [unrolled: 1-line block ×4, first 2 shown]
	s_and_saveexec_b32 s15, vcc_lo
	s_cbranch_execz .LBB210_1574
; %bb.1573:                             ;   in Loop: Header=BB210_995 Depth=1
	buffer_load_dword v6, off, s[0:3], s32 offset:192 ; 4-byte Folded Reload
	s_waitcnt vmcnt(0)
	v_cmp_lt_i32_e64 s4, v113, v6
	v_cndmask_b32_e64 v34, 0, v34, s4
	v_cmp_lt_i32_e64 s4, v116, v6
	v_cndmask_b32_e64 v35, 0, v35, s4
	v_cmp_lt_i32_e64 s4, v115, v6
	v_cndmask_b32_e64 v33, 0, v33, s4
	v_cmp_lt_i32_e64 s4, v114, v6
	v_cndmask_b32_e64 v32, 0, v32, s4
.LBB210_1574:                           ;   in Loop: Header=BB210_995 Depth=1
	s_or_b32 exec_lo, exec_lo, s15
	flat_load_dword v36, v[0:1] offset:128
	v_mov_b32_e32 v19, 0
	v_mov_b32_e32 v17, 0
	;; [unrolled: 1-line block ×4, first 2 shown]
	s_waitcnt vmcnt(0) lgkmcnt(0)
	v_cmp_ne_u16_sdwa s4, v36, v7 src0_sel:BYTE_0 src1_sel:DWORD
	s_and_saveexec_b32 s15, s4
	s_cbranch_execz .LBB210_1582
; %bb.1575:                             ;   in Loop: Header=BB210_995 Depth=1
	v_bfrev_b32_e32 v17, 1
	v_mov_b32_e32 v18, 0
	v_cmp_ne_u16_sdwa s4, v36, v83 src0_sel:BYTE_0 src1_sel:DWORD
	s_and_saveexec_b32 s17, s4
	s_cbranch_execz .LBB210_1581
; %bb.1576:                             ;   in Loop: Header=BB210_995 Depth=1
	v_mov_b32_e32 v17, 0x7f800001
	v_and_b32_e32 v10, 0x7f, v36
	v_mov_b32_e32 v18, 0
	s_mov_b32 s18, exec_lo
	v_cmpx_ne_u32_e32 0x7f, v10
	s_cbranch_execz .LBB210_1580
; %bb.1577:                             ;   in Loop: Header=BB210_995 Depth=1
	v_and_b32_e32 v6, 7, v36
	v_lshrrev_b32_e32 v8, 3, v10
	s_mov_b32 s19, exec_lo
	v_cmpx_gt_u32_e32 8, v10
; %bb.1578:                             ;   in Loop: Header=BB210_995 Depth=1
	v_ffbh_u32_e32 v8, v6
	v_min_u32_e32 v8, 32, v8
	v_subrev_nc_u32_e32 v10, 28, v8
	v_sub_nc_u32_e32 v8, 29, v8
	v_lshlrev_b64 v[10:11], v10, v[6:7]
	v_and_b32_e32 v6, 7, v10
; %bb.1579:                             ;   in Loop: Header=BB210_995 Depth=1
	s_or_b32 exec_lo, exec_lo, s19
	v_lshlrev_b32_e32 v10, 24, v36
	v_lshlrev_b32_e32 v6, 20, v6
	v_lshl_add_u32 v8, v8, 23, 0x3c000000
	v_and_b32_e32 v10, 0x80000000, v10
	v_or3_b32 v6, v6, v10, v8
	v_mov_b32_e32 v18, v7
	v_mov_b32_e32 v17, v6
.LBB210_1580:                           ;   in Loop: Header=BB210_995 Depth=1
	s_or_b32 exec_lo, exec_lo, s18
.LBB210_1581:                           ;   in Loop: Header=BB210_995 Depth=1
	s_or_b32 exec_lo, exec_lo, s17
.LBB210_1582:                           ;   in Loop: Header=BB210_995 Depth=1
	s_or_b32 exec_lo, exec_lo, s15
	v_cmp_ne_u16_sdwa s4, v36, v7 src0_sel:BYTE_1 src1_sel:DWORD
	s_and_saveexec_b32 s15, s4
	s_cbranch_execz .LBB210_1590
; %bb.1583:                             ;   in Loop: Header=BB210_995 Depth=1
	v_mov_b32_e32 v8, v7
	v_mov_b32_e32 v20, v9
	v_cmp_ne_u16_sdwa s4, v36, v83 src0_sel:BYTE_1 src1_sel:DWORD
	v_mov_b32_e32 v19, v8
	s_and_saveexec_b32 s17, s4
	s_cbranch_execz .LBB210_1589
; %bb.1584:                             ;   in Loop: Header=BB210_995 Depth=1
	v_mov_b32_e32 v6, 0xffff
	v_mov_b32_e32 v11, v7
	;; [unrolled: 1-line block ×3, first 2 shown]
	s_mov_b32 s18, exec_lo
	v_and_b32_sdwa v6, v6, v36 dst_sel:DWORD dst_unused:UNUSED_PAD src0_sel:DWORD src1_sel:BYTE_1
	v_mov_b32_e32 v19, v11
	v_and_b32_e32 v10, 0x7f, v6
	v_cmpx_ne_u32_e32 0x7f, v10
	s_cbranch_execz .LBB210_1588
; %bb.1585:                             ;   in Loop: Header=BB210_995 Depth=1
	v_and_b32_e32 v6, 7, v6
	v_lshrrev_b32_e32 v8, 3, v10
	s_mov_b32 s19, exec_lo
	v_cmpx_gt_u32_e32 8, v10
; %bb.1586:                             ;   in Loop: Header=BB210_995 Depth=1
	v_ffbh_u32_e32 v8, v6
	v_min_u32_e32 v8, 32, v8
	v_subrev_nc_u32_e32 v10, 28, v8
	v_sub_nc_u32_e32 v8, 29, v8
	v_lshlrev_b64 v[10:11], v10, v[6:7]
	v_and_b32_e32 v6, 7, v10
; %bb.1587:                             ;   in Loop: Header=BB210_995 Depth=1
	s_or_b32 exec_lo, exec_lo, s19
	v_lshlrev_b32_e32 v10, 16, v36
	v_lshlrev_b32_e32 v6, 20, v6
	v_lshl_add_u32 v8, v8, 23, 0x3c000000
	v_mov_b32_e32 v19, v7
	v_and_b32_e32 v10, 0x80000000, v10
	v_or3_b32 v20, v6, v10, v8
.LBB210_1588:                           ;   in Loop: Header=BB210_995 Depth=1
	s_or_b32 exec_lo, exec_lo, s18
.LBB210_1589:                           ;   in Loop: Header=BB210_995 Depth=1
	s_or_b32 exec_lo, exec_lo, s17
.LBB210_1590:                           ;   in Loop: Header=BB210_995 Depth=1
	s_or_b32 exec_lo, exec_lo, s15
	v_mov_b32_e32 v10, 0
	v_mov_b32_e32 v21, 0
	v_and_b32_sdwa v6, v36, v85 dst_sel:DWORD dst_unused:UNUSED_PAD src0_sel:WORD_1 src1_sel:DWORD
	v_mov_b32_e32 v11, 0
	v_mov_b32_e32 v22, 0
	s_mov_b32 s15, exec_lo
	v_cmpx_ne_u16_e32 0, v6
	s_cbranch_execz .LBB210_1598
; %bb.1591:                             ;   in Loop: Header=BB210_995 Depth=1
	v_bfrev_b32_e32 v21, 1
	v_mov_b32_e32 v22, 0
	s_mov_b32 s17, exec_lo
	v_cmpx_ne_u16_e32 0x80, v6
	s_cbranch_execz .LBB210_1597
; %bb.1592:                             ;   in Loop: Header=BB210_995 Depth=1
	v_mov_b32_e32 v21, 0x7f800001
	v_bfe_u32 v37, v36, 16, 7
	v_mov_b32_e32 v22, 0
	s_mov_b32 s18, exec_lo
	v_cmpx_ne_u32_e32 0x7f, v37
	s_cbranch_execz .LBB210_1596
; %bb.1593:                             ;   in Loop: Header=BB210_995 Depth=1
	v_mov_b32_e32 v6, 7
	v_lshrrev_b32_e32 v8, 3, v37
	s_mov_b32 s19, exec_lo
	v_and_b32_sdwa v6, v36, v6 dst_sel:DWORD dst_unused:UNUSED_PAD src0_sel:WORD_1 src1_sel:DWORD
	v_cmpx_gt_u32_e32 8, v37
; %bb.1594:                             ;   in Loop: Header=BB210_995 Depth=1
	v_ffbh_u32_e32 v8, v6
	v_min_u32_e32 v8, 32, v8
	v_subrev_nc_u32_e32 v13, 28, v8
	v_sub_nc_u32_e32 v8, 29, v8
	v_lshlrev_b64 v[21:22], v13, v[6:7]
	v_and_b32_e32 v6, 7, v21
; %bb.1595:                             ;   in Loop: Header=BB210_995 Depth=1
	s_or_b32 exec_lo, exec_lo, s19
	v_mov_b32_e32 v13, 24
	v_lshlrev_b32_e32 v6, 20, v6
	v_lshl_add_u32 v8, v8, 23, 0x3c000000
	v_lshlrev_b32_sdwa v13, v13, v36 dst_sel:DWORD dst_unused:UNUSED_PAD src0_sel:DWORD src1_sel:WORD_1
	v_and_b32_e32 v13, 0x80000000, v13
	v_or3_b32 v6, v6, v13, v8
	v_mov_b32_e32 v22, v7
	v_mov_b32_e32 v21, v6
.LBB210_1596:                           ;   in Loop: Header=BB210_995 Depth=1
	s_or_b32 exec_lo, exec_lo, s18
.LBB210_1597:                           ;   in Loop: Header=BB210_995 Depth=1
	s_or_b32 exec_lo, exec_lo, s17
.LBB210_1598:                           ;   in Loop: Header=BB210_995 Depth=1
	s_or_b32 exec_lo, exec_lo, s15
	s_mov_b32 s15, exec_lo
	v_cmpx_lt_u32_e32 0xffffff, v36
	s_cbranch_execz .LBB210_1606
; %bb.1599:                             ;   in Loop: Header=BB210_995 Depth=1
	v_mov_b32_e32 v8, v7
	v_mov_b32_e32 v11, v9
	v_cmp_ne_u32_sdwa s4, v36, v83 src0_sel:BYTE_3 src1_sel:DWORD
	v_mov_b32_e32 v10, v8
	s_and_saveexec_b32 s17, s4
	s_cbranch_execz .LBB210_1605
; %bb.1600:                             ;   in Loop: Header=BB210_995 Depth=1
	v_mov_b32_e32 v11, v7
	v_bfe_u32 v37, v36, 24, 7
	s_mov_b32 s18, exec_lo
	v_mov_b32_e32 v10, v11
	v_mov_b32_e32 v11, v12
	v_cmpx_ne_u32_e32 0x7f, v37
	s_cbranch_execz .LBB210_1604
; %bb.1601:                             ;   in Loop: Header=BB210_995 Depth=1
	v_mov_b32_e32 v6, 7
	v_lshrrev_b32_e32 v8, 3, v37
	s_mov_b32 s19, exec_lo
	v_and_b32_sdwa v6, v36, v6 dst_sel:DWORD dst_unused:UNUSED_PAD src0_sel:BYTE_3 src1_sel:DWORD
	v_cmpx_gt_u32_e32 8, v37
; %bb.1602:                             ;   in Loop: Header=BB210_995 Depth=1
	v_ffbh_u32_e32 v8, v6
	v_min_u32_e32 v8, 32, v8
	v_subrev_nc_u32_e32 v10, 28, v8
	v_sub_nc_u32_e32 v8, 29, v8
	v_lshlrev_b64 v[10:11], v10, v[6:7]
	v_and_b32_e32 v6, 7, v10
; %bb.1603:                             ;   in Loop: Header=BB210_995 Depth=1
	s_or_b32 exec_lo, exec_lo, s19
	v_mov_b32_e32 v10, 24
	v_lshlrev_b32_e32 v6, 20, v6
	v_lshl_add_u32 v8, v8, 23, 0x3c000000
	v_lshlrev_b32_sdwa v10, v10, v36 dst_sel:DWORD dst_unused:UNUSED_PAD src0_sel:DWORD src1_sel:BYTE_3
	v_and_b32_e32 v10, 0x80000000, v10
	v_or3_b32 v11, v6, v10, v8
	v_mov_b32_e32 v10, v7
.LBB210_1604:                           ;   in Loop: Header=BB210_995 Depth=1
	s_or_b32 exec_lo, exec_lo, s18
.LBB210_1605:                           ;   in Loop: Header=BB210_995 Depth=1
	s_or_b32 exec_lo, exec_lo, s17
.LBB210_1606:                           ;   in Loop: Header=BB210_995 Depth=1
	s_or_b32 exec_lo, exec_lo, s15
	v_or_b32_e32 v6, v20, v18
	v_or_b32_e32 v8, v19, v17
	;; [unrolled: 1-line block ×4, first 2 shown]
	v_mul_f32_e32 v39, v100, v6
	v_mul_f32_e32 v38, v100, v8
	;; [unrolled: 1-line block ×4, first 2 shown]
	s_and_saveexec_b32 s15, vcc_lo
	s_cbranch_execz .LBB210_1608
; %bb.1607:                             ;   in Loop: Header=BB210_995 Depth=1
	buffer_load_dword v6, off, s[0:3], s32 offset:192 ; 4-byte Folded Reload
	s_waitcnt vmcnt(0)
	v_cmp_lt_i32_e64 s4, v113, v6
	v_cndmask_b32_e64 v38, 0, v38, s4
	v_cmp_lt_i32_e64 s4, v116, v6
	v_cndmask_b32_e64 v39, 0, v39, s4
	;; [unrolled: 2-line block ×4, first 2 shown]
.LBB210_1608:                           ;   in Loop: Header=BB210_995 Depth=1
	s_or_b32 exec_lo, exec_lo, s15
	flat_load_dword v48, v[0:1] offset:256
	v_mov_b32_e32 v19, 0
	v_mov_b32_e32 v17, 0
	;; [unrolled: 1-line block ×4, first 2 shown]
	s_waitcnt vmcnt(0) lgkmcnt(0)
	v_cmp_ne_u16_sdwa s4, v48, v7 src0_sel:BYTE_0 src1_sel:DWORD
	s_and_saveexec_b32 s15, s4
	s_cbranch_execz .LBB210_1616
; %bb.1609:                             ;   in Loop: Header=BB210_995 Depth=1
	v_bfrev_b32_e32 v17, 1
	v_mov_b32_e32 v18, 0
	v_cmp_ne_u16_sdwa s4, v48, v83 src0_sel:BYTE_0 src1_sel:DWORD
	s_and_saveexec_b32 s17, s4
	s_cbranch_execz .LBB210_1615
; %bb.1610:                             ;   in Loop: Header=BB210_995 Depth=1
	v_mov_b32_e32 v17, 0x7f800001
	v_and_b32_e32 v10, 0x7f, v48
	v_mov_b32_e32 v18, 0
	s_mov_b32 s18, exec_lo
	v_cmpx_ne_u32_e32 0x7f, v10
	s_cbranch_execz .LBB210_1614
; %bb.1611:                             ;   in Loop: Header=BB210_995 Depth=1
	v_and_b32_e32 v6, 7, v48
	v_lshrrev_b32_e32 v8, 3, v10
	s_mov_b32 s19, exec_lo
	v_cmpx_gt_u32_e32 8, v10
; %bb.1612:                             ;   in Loop: Header=BB210_995 Depth=1
	v_ffbh_u32_e32 v8, v6
	v_min_u32_e32 v8, 32, v8
	v_subrev_nc_u32_e32 v10, 28, v8
	v_sub_nc_u32_e32 v8, 29, v8
	v_lshlrev_b64 v[10:11], v10, v[6:7]
	v_and_b32_e32 v6, 7, v10
; %bb.1613:                             ;   in Loop: Header=BB210_995 Depth=1
	s_or_b32 exec_lo, exec_lo, s19
	v_lshlrev_b32_e32 v10, 24, v48
	v_lshlrev_b32_e32 v6, 20, v6
	v_lshl_add_u32 v8, v8, 23, 0x3c000000
	v_and_b32_e32 v10, 0x80000000, v10
	v_or3_b32 v6, v6, v10, v8
	v_mov_b32_e32 v18, v7
	v_mov_b32_e32 v17, v6
.LBB210_1614:                           ;   in Loop: Header=BB210_995 Depth=1
	s_or_b32 exec_lo, exec_lo, s18
.LBB210_1615:                           ;   in Loop: Header=BB210_995 Depth=1
	s_or_b32 exec_lo, exec_lo, s17
.LBB210_1616:                           ;   in Loop: Header=BB210_995 Depth=1
	s_or_b32 exec_lo, exec_lo, s15
	v_cmp_ne_u16_sdwa s4, v48, v7 src0_sel:BYTE_1 src1_sel:DWORD
	s_and_saveexec_b32 s15, s4
	s_cbranch_execz .LBB210_1624
; %bb.1617:                             ;   in Loop: Header=BB210_995 Depth=1
	v_mov_b32_e32 v8, v7
	v_mov_b32_e32 v20, v9
	v_cmp_ne_u16_sdwa s4, v48, v83 src0_sel:BYTE_1 src1_sel:DWORD
	v_mov_b32_e32 v19, v8
	s_and_saveexec_b32 s17, s4
	s_cbranch_execz .LBB210_1623
; %bb.1618:                             ;   in Loop: Header=BB210_995 Depth=1
	v_mov_b32_e32 v6, 0xffff
	v_mov_b32_e32 v11, v7
	;; [unrolled: 1-line block ×3, first 2 shown]
	s_mov_b32 s18, exec_lo
	v_and_b32_sdwa v6, v6, v48 dst_sel:DWORD dst_unused:UNUSED_PAD src0_sel:DWORD src1_sel:BYTE_1
	v_mov_b32_e32 v19, v11
	v_and_b32_e32 v10, 0x7f, v6
	v_cmpx_ne_u32_e32 0x7f, v10
	s_cbranch_execz .LBB210_1622
; %bb.1619:                             ;   in Loop: Header=BB210_995 Depth=1
	v_and_b32_e32 v6, 7, v6
	v_lshrrev_b32_e32 v8, 3, v10
	s_mov_b32 s19, exec_lo
	v_cmpx_gt_u32_e32 8, v10
; %bb.1620:                             ;   in Loop: Header=BB210_995 Depth=1
	v_ffbh_u32_e32 v8, v6
	v_min_u32_e32 v8, 32, v8
	v_subrev_nc_u32_e32 v10, 28, v8
	v_sub_nc_u32_e32 v8, 29, v8
	v_lshlrev_b64 v[10:11], v10, v[6:7]
	v_and_b32_e32 v6, 7, v10
; %bb.1621:                             ;   in Loop: Header=BB210_995 Depth=1
	s_or_b32 exec_lo, exec_lo, s19
	v_lshlrev_b32_e32 v10, 16, v48
	v_lshlrev_b32_e32 v6, 20, v6
	v_lshl_add_u32 v8, v8, 23, 0x3c000000
	v_mov_b32_e32 v19, v7
	v_and_b32_e32 v10, 0x80000000, v10
	v_or3_b32 v20, v6, v10, v8
.LBB210_1622:                           ;   in Loop: Header=BB210_995 Depth=1
	s_or_b32 exec_lo, exec_lo, s18
.LBB210_1623:                           ;   in Loop: Header=BB210_995 Depth=1
	s_or_b32 exec_lo, exec_lo, s17
.LBB210_1624:                           ;   in Loop: Header=BB210_995 Depth=1
	s_or_b32 exec_lo, exec_lo, s15
	v_mov_b32_e32 v10, 0
	v_mov_b32_e32 v21, 0
	v_and_b32_sdwa v6, v48, v85 dst_sel:DWORD dst_unused:UNUSED_PAD src0_sel:WORD_1 src1_sel:DWORD
	v_mov_b32_e32 v11, 0
	v_mov_b32_e32 v22, 0
	s_mov_b32 s15, exec_lo
	v_cmpx_ne_u16_e32 0, v6
	s_cbranch_execz .LBB210_1632
; %bb.1625:                             ;   in Loop: Header=BB210_995 Depth=1
	v_bfrev_b32_e32 v21, 1
	v_mov_b32_e32 v22, 0
	s_mov_b32 s17, exec_lo
	v_cmpx_ne_u16_e32 0x80, v6
	s_cbranch_execz .LBB210_1631
; %bb.1626:                             ;   in Loop: Header=BB210_995 Depth=1
	v_mov_b32_e32 v21, 0x7f800001
	v_bfe_u32 v49, v48, 16, 7
	v_mov_b32_e32 v22, 0
	s_mov_b32 s18, exec_lo
	v_cmpx_ne_u32_e32 0x7f, v49
	s_cbranch_execz .LBB210_1630
; %bb.1627:                             ;   in Loop: Header=BB210_995 Depth=1
	v_mov_b32_e32 v6, 7
	v_lshrrev_b32_e32 v8, 3, v49
	s_mov_b32 s19, exec_lo
	v_and_b32_sdwa v6, v48, v6 dst_sel:DWORD dst_unused:UNUSED_PAD src0_sel:WORD_1 src1_sel:DWORD
	v_cmpx_gt_u32_e32 8, v49
; %bb.1628:                             ;   in Loop: Header=BB210_995 Depth=1
	v_ffbh_u32_e32 v8, v6
	v_min_u32_e32 v8, 32, v8
	v_subrev_nc_u32_e32 v13, 28, v8
	v_sub_nc_u32_e32 v8, 29, v8
	v_lshlrev_b64 v[21:22], v13, v[6:7]
	v_and_b32_e32 v6, 7, v21
; %bb.1629:                             ;   in Loop: Header=BB210_995 Depth=1
	s_or_b32 exec_lo, exec_lo, s19
	v_mov_b32_e32 v13, 24
	v_lshlrev_b32_e32 v6, 20, v6
	v_lshl_add_u32 v8, v8, 23, 0x3c000000
	v_lshlrev_b32_sdwa v13, v13, v48 dst_sel:DWORD dst_unused:UNUSED_PAD src0_sel:DWORD src1_sel:WORD_1
	v_and_b32_e32 v13, 0x80000000, v13
	v_or3_b32 v6, v6, v13, v8
	v_mov_b32_e32 v22, v7
	v_mov_b32_e32 v21, v6
.LBB210_1630:                           ;   in Loop: Header=BB210_995 Depth=1
	s_or_b32 exec_lo, exec_lo, s18
.LBB210_1631:                           ;   in Loop: Header=BB210_995 Depth=1
	s_or_b32 exec_lo, exec_lo, s17
.LBB210_1632:                           ;   in Loop: Header=BB210_995 Depth=1
	s_or_b32 exec_lo, exec_lo, s15
	s_mov_b32 s15, exec_lo
	v_cmpx_lt_u32_e32 0xffffff, v48
	s_cbranch_execz .LBB210_1640
; %bb.1633:                             ;   in Loop: Header=BB210_995 Depth=1
	v_mov_b32_e32 v8, v7
	v_mov_b32_e32 v11, v9
	v_cmp_ne_u32_sdwa s4, v48, v83 src0_sel:BYTE_3 src1_sel:DWORD
	v_mov_b32_e32 v10, v8
	s_and_saveexec_b32 s17, s4
	s_cbranch_execz .LBB210_1639
; %bb.1634:                             ;   in Loop: Header=BB210_995 Depth=1
	v_mov_b32_e32 v11, v7
	v_bfe_u32 v49, v48, 24, 7
	s_mov_b32 s18, exec_lo
	v_mov_b32_e32 v10, v11
	v_mov_b32_e32 v11, v12
	v_cmpx_ne_u32_e32 0x7f, v49
	s_cbranch_execz .LBB210_1638
; %bb.1635:                             ;   in Loop: Header=BB210_995 Depth=1
	v_mov_b32_e32 v6, 7
	v_lshrrev_b32_e32 v8, 3, v49
	s_mov_b32 s19, exec_lo
	v_and_b32_sdwa v6, v48, v6 dst_sel:DWORD dst_unused:UNUSED_PAD src0_sel:BYTE_3 src1_sel:DWORD
	v_cmpx_gt_u32_e32 8, v49
; %bb.1636:                             ;   in Loop: Header=BB210_995 Depth=1
	v_ffbh_u32_e32 v8, v6
	v_min_u32_e32 v8, 32, v8
	v_subrev_nc_u32_e32 v10, 28, v8
	v_sub_nc_u32_e32 v8, 29, v8
	v_lshlrev_b64 v[10:11], v10, v[6:7]
	v_and_b32_e32 v6, 7, v10
; %bb.1637:                             ;   in Loop: Header=BB210_995 Depth=1
	s_or_b32 exec_lo, exec_lo, s19
	v_mov_b32_e32 v10, 24
	v_lshlrev_b32_e32 v6, 20, v6
	v_lshl_add_u32 v8, v8, 23, 0x3c000000
	v_lshlrev_b32_sdwa v10, v10, v48 dst_sel:DWORD dst_unused:UNUSED_PAD src0_sel:DWORD src1_sel:BYTE_3
	v_and_b32_e32 v10, 0x80000000, v10
	v_or3_b32 v11, v6, v10, v8
	v_mov_b32_e32 v10, v7
.LBB210_1638:                           ;   in Loop: Header=BB210_995 Depth=1
	s_or_b32 exec_lo, exec_lo, s18
.LBB210_1639:                           ;   in Loop: Header=BB210_995 Depth=1
	s_or_b32 exec_lo, exec_lo, s17
.LBB210_1640:                           ;   in Loop: Header=BB210_995 Depth=1
	s_or_b32 exec_lo, exec_lo, s15
	v_or_b32_e32 v6, v20, v18
	v_or_b32_e32 v8, v19, v17
	v_or_b32_e32 v10, v10, v21
	v_or_b32_e32 v11, v11, v22
	v_mul_f32_e32 v51, v100, v6
	v_mul_f32_e32 v50, v100, v8
	;; [unrolled: 1-line block ×4, first 2 shown]
	s_and_saveexec_b32 s15, vcc_lo
	s_cbranch_execz .LBB210_1642
; %bb.1641:                             ;   in Loop: Header=BB210_995 Depth=1
	buffer_load_dword v6, off, s[0:3], s32 offset:192 ; 4-byte Folded Reload
	s_waitcnt vmcnt(0)
	v_cmp_lt_i32_e64 s4, v113, v6
	v_cndmask_b32_e64 v50, 0, v50, s4
	v_cmp_lt_i32_e64 s4, v116, v6
	v_cndmask_b32_e64 v51, 0, v51, s4
	;; [unrolled: 2-line block ×4, first 2 shown]
.LBB210_1642:                           ;   in Loop: Header=BB210_995 Depth=1
	s_or_b32 exec_lo, exec_lo, s15
	flat_load_dword v52, v[0:1] offset:384
	v_mov_b32_e32 v19, 0
	v_mov_b32_e32 v17, 0
	v_mov_b32_e32 v20, 0
	v_mov_b32_e32 v18, 0
	s_waitcnt vmcnt(0) lgkmcnt(0)
	v_cmp_ne_u16_sdwa s4, v52, v7 src0_sel:BYTE_0 src1_sel:DWORD
	s_and_saveexec_b32 s15, s4
	s_cbranch_execz .LBB210_1650
; %bb.1643:                             ;   in Loop: Header=BB210_995 Depth=1
	v_bfrev_b32_e32 v17, 1
	v_mov_b32_e32 v18, 0
	v_cmp_ne_u16_sdwa s4, v52, v83 src0_sel:BYTE_0 src1_sel:DWORD
	s_and_saveexec_b32 s17, s4
	s_cbranch_execz .LBB210_1649
; %bb.1644:                             ;   in Loop: Header=BB210_995 Depth=1
	v_mov_b32_e32 v17, 0x7f800001
	v_and_b32_e32 v10, 0x7f, v52
	v_mov_b32_e32 v18, 0
	s_mov_b32 s18, exec_lo
	v_cmpx_ne_u32_e32 0x7f, v10
	s_cbranch_execz .LBB210_1648
; %bb.1645:                             ;   in Loop: Header=BB210_995 Depth=1
	v_and_b32_e32 v6, 7, v52
	v_lshrrev_b32_e32 v8, 3, v10
	s_mov_b32 s19, exec_lo
	v_cmpx_gt_u32_e32 8, v10
; %bb.1646:                             ;   in Loop: Header=BB210_995 Depth=1
	v_ffbh_u32_e32 v8, v6
	v_min_u32_e32 v8, 32, v8
	v_subrev_nc_u32_e32 v10, 28, v8
	v_sub_nc_u32_e32 v8, 29, v8
	v_lshlrev_b64 v[10:11], v10, v[6:7]
	v_and_b32_e32 v6, 7, v10
; %bb.1647:                             ;   in Loop: Header=BB210_995 Depth=1
	s_or_b32 exec_lo, exec_lo, s19
	v_lshlrev_b32_e32 v10, 24, v52
	v_lshlrev_b32_e32 v6, 20, v6
	v_lshl_add_u32 v8, v8, 23, 0x3c000000
	v_and_b32_e32 v10, 0x80000000, v10
	v_or3_b32 v6, v6, v10, v8
	v_mov_b32_e32 v18, v7
	v_mov_b32_e32 v17, v6
.LBB210_1648:                           ;   in Loop: Header=BB210_995 Depth=1
	s_or_b32 exec_lo, exec_lo, s18
.LBB210_1649:                           ;   in Loop: Header=BB210_995 Depth=1
	s_or_b32 exec_lo, exec_lo, s17
.LBB210_1650:                           ;   in Loop: Header=BB210_995 Depth=1
	s_or_b32 exec_lo, exec_lo, s15
	v_cmp_ne_u16_sdwa s4, v52, v7 src0_sel:BYTE_1 src1_sel:DWORD
	s_and_saveexec_b32 s15, s4
	s_cbranch_execz .LBB210_1658
; %bb.1651:                             ;   in Loop: Header=BB210_995 Depth=1
	v_mov_b32_e32 v8, v7
	v_mov_b32_e32 v20, v9
	v_cmp_ne_u16_sdwa s4, v52, v83 src0_sel:BYTE_1 src1_sel:DWORD
	v_mov_b32_e32 v19, v8
	s_and_saveexec_b32 s17, s4
	s_cbranch_execz .LBB210_1657
; %bb.1652:                             ;   in Loop: Header=BB210_995 Depth=1
	v_mov_b32_e32 v6, 0xffff
	v_mov_b32_e32 v11, v7
	;; [unrolled: 1-line block ×3, first 2 shown]
	s_mov_b32 s18, exec_lo
	v_and_b32_sdwa v6, v6, v52 dst_sel:DWORD dst_unused:UNUSED_PAD src0_sel:DWORD src1_sel:BYTE_1
	v_mov_b32_e32 v19, v11
	v_and_b32_e32 v10, 0x7f, v6
	v_cmpx_ne_u32_e32 0x7f, v10
	s_cbranch_execz .LBB210_1656
; %bb.1653:                             ;   in Loop: Header=BB210_995 Depth=1
	v_and_b32_e32 v6, 7, v6
	v_lshrrev_b32_e32 v8, 3, v10
	s_mov_b32 s19, exec_lo
	v_cmpx_gt_u32_e32 8, v10
; %bb.1654:                             ;   in Loop: Header=BB210_995 Depth=1
	v_ffbh_u32_e32 v8, v6
	v_min_u32_e32 v8, 32, v8
	v_subrev_nc_u32_e32 v10, 28, v8
	v_sub_nc_u32_e32 v8, 29, v8
	v_lshlrev_b64 v[10:11], v10, v[6:7]
	v_and_b32_e32 v6, 7, v10
; %bb.1655:                             ;   in Loop: Header=BB210_995 Depth=1
	s_or_b32 exec_lo, exec_lo, s19
	v_lshlrev_b32_e32 v10, 16, v52
	v_lshlrev_b32_e32 v6, 20, v6
	v_lshl_add_u32 v8, v8, 23, 0x3c000000
	v_mov_b32_e32 v19, v7
	v_and_b32_e32 v10, 0x80000000, v10
	v_or3_b32 v20, v6, v10, v8
.LBB210_1656:                           ;   in Loop: Header=BB210_995 Depth=1
	s_or_b32 exec_lo, exec_lo, s18
.LBB210_1657:                           ;   in Loop: Header=BB210_995 Depth=1
	s_or_b32 exec_lo, exec_lo, s17
.LBB210_1658:                           ;   in Loop: Header=BB210_995 Depth=1
	s_or_b32 exec_lo, exec_lo, s15
	v_mov_b32_e32 v10, 0
	v_mov_b32_e32 v21, 0
	v_and_b32_sdwa v6, v52, v85 dst_sel:DWORD dst_unused:UNUSED_PAD src0_sel:WORD_1 src1_sel:DWORD
	v_mov_b32_e32 v11, 0
	v_mov_b32_e32 v22, 0
	s_mov_b32 s15, exec_lo
	v_cmpx_ne_u16_e32 0, v6
	s_cbranch_execz .LBB210_1666
; %bb.1659:                             ;   in Loop: Header=BB210_995 Depth=1
	v_bfrev_b32_e32 v21, 1
	v_mov_b32_e32 v22, 0
	s_mov_b32 s17, exec_lo
	v_cmpx_ne_u16_e32 0x80, v6
	s_cbranch_execz .LBB210_1665
; %bb.1660:                             ;   in Loop: Header=BB210_995 Depth=1
	v_mov_b32_e32 v21, 0x7f800001
	v_bfe_u32 v53, v52, 16, 7
	v_mov_b32_e32 v22, 0
	s_mov_b32 s18, exec_lo
	v_cmpx_ne_u32_e32 0x7f, v53
	s_cbranch_execz .LBB210_1664
; %bb.1661:                             ;   in Loop: Header=BB210_995 Depth=1
	v_mov_b32_e32 v6, 7
	v_lshrrev_b32_e32 v8, 3, v53
	s_mov_b32 s19, exec_lo
	v_and_b32_sdwa v6, v52, v6 dst_sel:DWORD dst_unused:UNUSED_PAD src0_sel:WORD_1 src1_sel:DWORD
	v_cmpx_gt_u32_e32 8, v53
; %bb.1662:                             ;   in Loop: Header=BB210_995 Depth=1
	v_ffbh_u32_e32 v8, v6
	v_min_u32_e32 v8, 32, v8
	v_subrev_nc_u32_e32 v13, 28, v8
	v_sub_nc_u32_e32 v8, 29, v8
	v_lshlrev_b64 v[21:22], v13, v[6:7]
	v_and_b32_e32 v6, 7, v21
; %bb.1663:                             ;   in Loop: Header=BB210_995 Depth=1
	s_or_b32 exec_lo, exec_lo, s19
	v_mov_b32_e32 v13, 24
	v_lshlrev_b32_e32 v6, 20, v6
	v_lshl_add_u32 v8, v8, 23, 0x3c000000
	v_lshlrev_b32_sdwa v13, v13, v52 dst_sel:DWORD dst_unused:UNUSED_PAD src0_sel:DWORD src1_sel:WORD_1
	v_and_b32_e32 v13, 0x80000000, v13
	v_or3_b32 v6, v6, v13, v8
	v_mov_b32_e32 v22, v7
	v_mov_b32_e32 v21, v6
.LBB210_1664:                           ;   in Loop: Header=BB210_995 Depth=1
	s_or_b32 exec_lo, exec_lo, s18
.LBB210_1665:                           ;   in Loop: Header=BB210_995 Depth=1
	s_or_b32 exec_lo, exec_lo, s17
.LBB210_1666:                           ;   in Loop: Header=BB210_995 Depth=1
	s_or_b32 exec_lo, exec_lo, s15
	s_mov_b32 s15, exec_lo
	v_cmpx_lt_u32_e32 0xffffff, v52
	s_cbranch_execz .LBB210_1674
; %bb.1667:                             ;   in Loop: Header=BB210_995 Depth=1
	v_mov_b32_e32 v8, v7
	v_mov_b32_e32 v11, v9
	v_cmp_ne_u32_sdwa s4, v52, v83 src0_sel:BYTE_3 src1_sel:DWORD
	v_mov_b32_e32 v10, v8
	s_and_saveexec_b32 s17, s4
	s_cbranch_execz .LBB210_1673
; %bb.1668:                             ;   in Loop: Header=BB210_995 Depth=1
	v_mov_b32_e32 v11, v7
	v_bfe_u32 v53, v52, 24, 7
	s_mov_b32 s18, exec_lo
	v_mov_b32_e32 v10, v11
	v_mov_b32_e32 v11, v12
	v_cmpx_ne_u32_e32 0x7f, v53
	s_cbranch_execz .LBB210_1672
; %bb.1669:                             ;   in Loop: Header=BB210_995 Depth=1
	v_mov_b32_e32 v6, 7
	v_lshrrev_b32_e32 v8, 3, v53
	s_mov_b32 s19, exec_lo
	v_and_b32_sdwa v6, v52, v6 dst_sel:DWORD dst_unused:UNUSED_PAD src0_sel:BYTE_3 src1_sel:DWORD
	v_cmpx_gt_u32_e32 8, v53
; %bb.1670:                             ;   in Loop: Header=BB210_995 Depth=1
	v_ffbh_u32_e32 v8, v6
	v_min_u32_e32 v8, 32, v8
	v_subrev_nc_u32_e32 v10, 28, v8
	v_sub_nc_u32_e32 v8, 29, v8
	v_lshlrev_b64 v[10:11], v10, v[6:7]
	v_and_b32_e32 v6, 7, v10
; %bb.1671:                             ;   in Loop: Header=BB210_995 Depth=1
	s_or_b32 exec_lo, exec_lo, s19
	v_mov_b32_e32 v10, 24
	v_lshlrev_b32_e32 v6, 20, v6
	v_lshl_add_u32 v8, v8, 23, 0x3c000000
	v_lshlrev_b32_sdwa v10, v10, v52 dst_sel:DWORD dst_unused:UNUSED_PAD src0_sel:DWORD src1_sel:BYTE_3
	v_and_b32_e32 v10, 0x80000000, v10
	v_or3_b32 v11, v6, v10, v8
	v_mov_b32_e32 v10, v7
.LBB210_1672:                           ;   in Loop: Header=BB210_995 Depth=1
	s_or_b32 exec_lo, exec_lo, s18
.LBB210_1673:                           ;   in Loop: Header=BB210_995 Depth=1
	s_or_b32 exec_lo, exec_lo, s17
.LBB210_1674:                           ;   in Loop: Header=BB210_995 Depth=1
	s_or_b32 exec_lo, exec_lo, s15
	v_or_b32_e32 v6, v20, v18
	v_or_b32_e32 v8, v19, v17
	;; [unrolled: 1-line block ×4, first 2 shown]
	v_mul_f32_e32 v55, v100, v6
	v_mul_f32_e32 v54, v100, v8
	;; [unrolled: 1-line block ×4, first 2 shown]
	s_and_saveexec_b32 s15, vcc_lo
	s_cbranch_execz .LBB210_1676
; %bb.1675:                             ;   in Loop: Header=BB210_995 Depth=1
	buffer_load_dword v6, off, s[0:3], s32 offset:192 ; 4-byte Folded Reload
	s_waitcnt vmcnt(0)
	v_cmp_lt_i32_e64 s4, v113, v6
	v_cndmask_b32_e64 v54, 0, v54, s4
	v_cmp_lt_i32_e64 s4, v116, v6
	v_cndmask_b32_e64 v55, 0, v55, s4
	;; [unrolled: 2-line block ×4, first 2 shown]
.LBB210_1676:                           ;   in Loop: Header=BB210_995 Depth=1
	s_or_b32 exec_lo, exec_lo, s15
	flat_load_dword v64, v[0:1] offset:512
	v_mov_b32_e32 v19, 0
	v_mov_b32_e32 v17, 0
	;; [unrolled: 1-line block ×4, first 2 shown]
	s_waitcnt vmcnt(0) lgkmcnt(0)
	v_cmp_ne_u16_sdwa s4, v64, v7 src0_sel:BYTE_0 src1_sel:DWORD
	s_and_saveexec_b32 s15, s4
	s_cbranch_execz .LBB210_1684
; %bb.1677:                             ;   in Loop: Header=BB210_995 Depth=1
	v_bfrev_b32_e32 v17, 1
	v_mov_b32_e32 v18, 0
	v_cmp_ne_u16_sdwa s4, v64, v83 src0_sel:BYTE_0 src1_sel:DWORD
	s_and_saveexec_b32 s17, s4
	s_cbranch_execz .LBB210_1683
; %bb.1678:                             ;   in Loop: Header=BB210_995 Depth=1
	v_mov_b32_e32 v17, 0x7f800001
	v_and_b32_e32 v10, 0x7f, v64
	v_mov_b32_e32 v18, 0
	s_mov_b32 s18, exec_lo
	v_cmpx_ne_u32_e32 0x7f, v10
	s_cbranch_execz .LBB210_1682
; %bb.1679:                             ;   in Loop: Header=BB210_995 Depth=1
	v_and_b32_e32 v6, 7, v64
	v_lshrrev_b32_e32 v8, 3, v10
	s_mov_b32 s19, exec_lo
	v_cmpx_gt_u32_e32 8, v10
; %bb.1680:                             ;   in Loop: Header=BB210_995 Depth=1
	v_ffbh_u32_e32 v8, v6
	v_min_u32_e32 v8, 32, v8
	v_subrev_nc_u32_e32 v10, 28, v8
	v_sub_nc_u32_e32 v8, 29, v8
	v_lshlrev_b64 v[10:11], v10, v[6:7]
	v_and_b32_e32 v6, 7, v10
; %bb.1681:                             ;   in Loop: Header=BB210_995 Depth=1
	s_or_b32 exec_lo, exec_lo, s19
	v_lshlrev_b32_e32 v10, 24, v64
	v_lshlrev_b32_e32 v6, 20, v6
	v_lshl_add_u32 v8, v8, 23, 0x3c000000
	v_and_b32_e32 v10, 0x80000000, v10
	v_or3_b32 v6, v6, v10, v8
	v_mov_b32_e32 v18, v7
	v_mov_b32_e32 v17, v6
.LBB210_1682:                           ;   in Loop: Header=BB210_995 Depth=1
	s_or_b32 exec_lo, exec_lo, s18
.LBB210_1683:                           ;   in Loop: Header=BB210_995 Depth=1
	s_or_b32 exec_lo, exec_lo, s17
.LBB210_1684:                           ;   in Loop: Header=BB210_995 Depth=1
	s_or_b32 exec_lo, exec_lo, s15
	v_cmp_ne_u16_sdwa s4, v64, v7 src0_sel:BYTE_1 src1_sel:DWORD
	s_and_saveexec_b32 s15, s4
	s_cbranch_execz .LBB210_1692
; %bb.1685:                             ;   in Loop: Header=BB210_995 Depth=1
	v_mov_b32_e32 v8, v7
	v_mov_b32_e32 v20, v9
	v_cmp_ne_u16_sdwa s4, v64, v83 src0_sel:BYTE_1 src1_sel:DWORD
	v_mov_b32_e32 v19, v8
	s_and_saveexec_b32 s17, s4
	s_cbranch_execz .LBB210_1691
; %bb.1686:                             ;   in Loop: Header=BB210_995 Depth=1
	v_mov_b32_e32 v6, 0xffff
	v_mov_b32_e32 v11, v7
	;; [unrolled: 1-line block ×3, first 2 shown]
	s_mov_b32 s18, exec_lo
	v_and_b32_sdwa v6, v6, v64 dst_sel:DWORD dst_unused:UNUSED_PAD src0_sel:DWORD src1_sel:BYTE_1
	v_mov_b32_e32 v19, v11
	v_and_b32_e32 v10, 0x7f, v6
	v_cmpx_ne_u32_e32 0x7f, v10
	s_cbranch_execz .LBB210_1690
; %bb.1687:                             ;   in Loop: Header=BB210_995 Depth=1
	v_and_b32_e32 v6, 7, v6
	v_lshrrev_b32_e32 v8, 3, v10
	s_mov_b32 s19, exec_lo
	v_cmpx_gt_u32_e32 8, v10
; %bb.1688:                             ;   in Loop: Header=BB210_995 Depth=1
	v_ffbh_u32_e32 v8, v6
	v_min_u32_e32 v8, 32, v8
	v_subrev_nc_u32_e32 v10, 28, v8
	v_sub_nc_u32_e32 v8, 29, v8
	v_lshlrev_b64 v[10:11], v10, v[6:7]
	v_and_b32_e32 v6, 7, v10
; %bb.1689:                             ;   in Loop: Header=BB210_995 Depth=1
	s_or_b32 exec_lo, exec_lo, s19
	v_lshlrev_b32_e32 v10, 16, v64
	v_lshlrev_b32_e32 v6, 20, v6
	v_lshl_add_u32 v8, v8, 23, 0x3c000000
	v_mov_b32_e32 v19, v7
	v_and_b32_e32 v10, 0x80000000, v10
	v_or3_b32 v20, v6, v10, v8
.LBB210_1690:                           ;   in Loop: Header=BB210_995 Depth=1
	s_or_b32 exec_lo, exec_lo, s18
.LBB210_1691:                           ;   in Loop: Header=BB210_995 Depth=1
	s_or_b32 exec_lo, exec_lo, s17
.LBB210_1692:                           ;   in Loop: Header=BB210_995 Depth=1
	s_or_b32 exec_lo, exec_lo, s15
	v_mov_b32_e32 v10, 0
	v_mov_b32_e32 v21, 0
	v_and_b32_sdwa v6, v64, v85 dst_sel:DWORD dst_unused:UNUSED_PAD src0_sel:WORD_1 src1_sel:DWORD
	v_mov_b32_e32 v11, 0
	v_mov_b32_e32 v22, 0
	s_mov_b32 s15, exec_lo
	v_cmpx_ne_u16_e32 0, v6
	s_cbranch_execz .LBB210_1700
; %bb.1693:                             ;   in Loop: Header=BB210_995 Depth=1
	v_bfrev_b32_e32 v21, 1
	v_mov_b32_e32 v22, 0
	s_mov_b32 s17, exec_lo
	v_cmpx_ne_u16_e32 0x80, v6
	s_cbranch_execz .LBB210_1699
; %bb.1694:                             ;   in Loop: Header=BB210_995 Depth=1
	v_mov_b32_e32 v21, 0x7f800001
	v_bfe_u32 v65, v64, 16, 7
	v_mov_b32_e32 v22, 0
	s_mov_b32 s18, exec_lo
	v_cmpx_ne_u32_e32 0x7f, v65
	s_cbranch_execz .LBB210_1698
; %bb.1695:                             ;   in Loop: Header=BB210_995 Depth=1
	v_mov_b32_e32 v6, 7
	v_lshrrev_b32_e32 v8, 3, v65
	s_mov_b32 s19, exec_lo
	v_and_b32_sdwa v6, v64, v6 dst_sel:DWORD dst_unused:UNUSED_PAD src0_sel:WORD_1 src1_sel:DWORD
	v_cmpx_gt_u32_e32 8, v65
; %bb.1696:                             ;   in Loop: Header=BB210_995 Depth=1
	v_ffbh_u32_e32 v8, v6
	v_min_u32_e32 v8, 32, v8
	v_subrev_nc_u32_e32 v13, 28, v8
	v_sub_nc_u32_e32 v8, 29, v8
	v_lshlrev_b64 v[21:22], v13, v[6:7]
	v_and_b32_e32 v6, 7, v21
; %bb.1697:                             ;   in Loop: Header=BB210_995 Depth=1
	s_or_b32 exec_lo, exec_lo, s19
	v_mov_b32_e32 v13, 24
	v_lshlrev_b32_e32 v6, 20, v6
	v_lshl_add_u32 v8, v8, 23, 0x3c000000
	v_lshlrev_b32_sdwa v13, v13, v64 dst_sel:DWORD dst_unused:UNUSED_PAD src0_sel:DWORD src1_sel:WORD_1
	v_and_b32_e32 v13, 0x80000000, v13
	v_or3_b32 v6, v6, v13, v8
	v_mov_b32_e32 v22, v7
	v_mov_b32_e32 v21, v6
.LBB210_1698:                           ;   in Loop: Header=BB210_995 Depth=1
	s_or_b32 exec_lo, exec_lo, s18
.LBB210_1699:                           ;   in Loop: Header=BB210_995 Depth=1
	s_or_b32 exec_lo, exec_lo, s17
.LBB210_1700:                           ;   in Loop: Header=BB210_995 Depth=1
	s_or_b32 exec_lo, exec_lo, s15
	s_mov_b32 s15, exec_lo
	v_cmpx_lt_u32_e32 0xffffff, v64
	s_cbranch_execz .LBB210_1708
; %bb.1701:                             ;   in Loop: Header=BB210_995 Depth=1
	v_mov_b32_e32 v8, v7
	v_mov_b32_e32 v11, v9
	v_cmp_ne_u32_sdwa s4, v64, v83 src0_sel:BYTE_3 src1_sel:DWORD
	v_mov_b32_e32 v10, v8
	s_and_saveexec_b32 s17, s4
	s_cbranch_execz .LBB210_1707
; %bb.1702:                             ;   in Loop: Header=BB210_995 Depth=1
	v_mov_b32_e32 v11, v7
	v_bfe_u32 v65, v64, 24, 7
	s_mov_b32 s18, exec_lo
	v_mov_b32_e32 v10, v11
	v_mov_b32_e32 v11, v12
	v_cmpx_ne_u32_e32 0x7f, v65
	s_cbranch_execz .LBB210_1706
; %bb.1703:                             ;   in Loop: Header=BB210_995 Depth=1
	v_mov_b32_e32 v6, 7
	v_lshrrev_b32_e32 v8, 3, v65
	s_mov_b32 s19, exec_lo
	v_and_b32_sdwa v6, v64, v6 dst_sel:DWORD dst_unused:UNUSED_PAD src0_sel:BYTE_3 src1_sel:DWORD
	v_cmpx_gt_u32_e32 8, v65
; %bb.1704:                             ;   in Loop: Header=BB210_995 Depth=1
	v_ffbh_u32_e32 v8, v6
	v_min_u32_e32 v8, 32, v8
	v_subrev_nc_u32_e32 v10, 28, v8
	v_sub_nc_u32_e32 v8, 29, v8
	v_lshlrev_b64 v[10:11], v10, v[6:7]
	v_and_b32_e32 v6, 7, v10
; %bb.1705:                             ;   in Loop: Header=BB210_995 Depth=1
	s_or_b32 exec_lo, exec_lo, s19
	v_mov_b32_e32 v10, 24
	v_lshlrev_b32_e32 v6, 20, v6
	v_lshl_add_u32 v8, v8, 23, 0x3c000000
	v_lshlrev_b32_sdwa v10, v10, v64 dst_sel:DWORD dst_unused:UNUSED_PAD src0_sel:DWORD src1_sel:BYTE_3
	v_and_b32_e32 v10, 0x80000000, v10
	v_or3_b32 v11, v6, v10, v8
	v_mov_b32_e32 v10, v7
.LBB210_1706:                           ;   in Loop: Header=BB210_995 Depth=1
	s_or_b32 exec_lo, exec_lo, s18
.LBB210_1707:                           ;   in Loop: Header=BB210_995 Depth=1
	s_or_b32 exec_lo, exec_lo, s17
.LBB210_1708:                           ;   in Loop: Header=BB210_995 Depth=1
	s_or_b32 exec_lo, exec_lo, s15
	v_or_b32_e32 v6, v20, v18
	v_or_b32_e32 v8, v19, v17
	;; [unrolled: 1-line block ×4, first 2 shown]
	v_mul_f32_e32 v67, v100, v6
	v_mul_f32_e32 v66, v100, v8
	;; [unrolled: 1-line block ×4, first 2 shown]
	s_and_saveexec_b32 s15, vcc_lo
	s_cbranch_execz .LBB210_1710
; %bb.1709:                             ;   in Loop: Header=BB210_995 Depth=1
	buffer_load_dword v6, off, s[0:3], s32 offset:192 ; 4-byte Folded Reload
	s_waitcnt vmcnt(0)
	v_cmp_lt_i32_e64 s4, v113, v6
	v_cndmask_b32_e64 v66, 0, v66, s4
	v_cmp_lt_i32_e64 s4, v116, v6
	v_cndmask_b32_e64 v67, 0, v67, s4
	;; [unrolled: 2-line block ×4, first 2 shown]
.LBB210_1710:                           ;   in Loop: Header=BB210_995 Depth=1
	s_or_b32 exec_lo, exec_lo, s15
	flat_load_dword v68, v[0:1] offset:640
	v_mov_b32_e32 v19, 0
	v_mov_b32_e32 v17, 0
	;; [unrolled: 1-line block ×4, first 2 shown]
	s_waitcnt vmcnt(0) lgkmcnt(0)
	v_cmp_ne_u16_sdwa s4, v68, v7 src0_sel:BYTE_0 src1_sel:DWORD
	s_and_saveexec_b32 s15, s4
	s_cbranch_execz .LBB210_1718
; %bb.1711:                             ;   in Loop: Header=BB210_995 Depth=1
	v_bfrev_b32_e32 v17, 1
	v_mov_b32_e32 v18, 0
	v_cmp_ne_u16_sdwa s4, v68, v83 src0_sel:BYTE_0 src1_sel:DWORD
	s_and_saveexec_b32 s17, s4
	s_cbranch_execz .LBB210_1717
; %bb.1712:                             ;   in Loop: Header=BB210_995 Depth=1
	v_mov_b32_e32 v17, 0x7f800001
	v_and_b32_e32 v10, 0x7f, v68
	v_mov_b32_e32 v18, 0
	s_mov_b32 s18, exec_lo
	v_cmpx_ne_u32_e32 0x7f, v10
	s_cbranch_execz .LBB210_1716
; %bb.1713:                             ;   in Loop: Header=BB210_995 Depth=1
	v_and_b32_e32 v6, 7, v68
	v_lshrrev_b32_e32 v8, 3, v10
	s_mov_b32 s19, exec_lo
	v_cmpx_gt_u32_e32 8, v10
; %bb.1714:                             ;   in Loop: Header=BB210_995 Depth=1
	v_ffbh_u32_e32 v8, v6
	v_min_u32_e32 v8, 32, v8
	v_subrev_nc_u32_e32 v10, 28, v8
	v_sub_nc_u32_e32 v8, 29, v8
	v_lshlrev_b64 v[10:11], v10, v[6:7]
	v_and_b32_e32 v6, 7, v10
; %bb.1715:                             ;   in Loop: Header=BB210_995 Depth=1
	s_or_b32 exec_lo, exec_lo, s19
	v_lshlrev_b32_e32 v10, 24, v68
	v_lshlrev_b32_e32 v6, 20, v6
	v_lshl_add_u32 v8, v8, 23, 0x3c000000
	v_and_b32_e32 v10, 0x80000000, v10
	v_or3_b32 v6, v6, v10, v8
	v_mov_b32_e32 v18, v7
	v_mov_b32_e32 v17, v6
.LBB210_1716:                           ;   in Loop: Header=BB210_995 Depth=1
	s_or_b32 exec_lo, exec_lo, s18
.LBB210_1717:                           ;   in Loop: Header=BB210_995 Depth=1
	s_or_b32 exec_lo, exec_lo, s17
.LBB210_1718:                           ;   in Loop: Header=BB210_995 Depth=1
	s_or_b32 exec_lo, exec_lo, s15
	v_cmp_ne_u16_sdwa s4, v68, v7 src0_sel:BYTE_1 src1_sel:DWORD
	s_and_saveexec_b32 s15, s4
	s_cbranch_execz .LBB210_1726
; %bb.1719:                             ;   in Loop: Header=BB210_995 Depth=1
	v_mov_b32_e32 v8, v7
	v_mov_b32_e32 v20, v9
	v_cmp_ne_u16_sdwa s4, v68, v83 src0_sel:BYTE_1 src1_sel:DWORD
	v_mov_b32_e32 v19, v8
	s_and_saveexec_b32 s17, s4
	s_cbranch_execz .LBB210_1725
; %bb.1720:                             ;   in Loop: Header=BB210_995 Depth=1
	v_mov_b32_e32 v6, 0xffff
	v_mov_b32_e32 v11, v7
	;; [unrolled: 1-line block ×3, first 2 shown]
	s_mov_b32 s18, exec_lo
	v_and_b32_sdwa v6, v6, v68 dst_sel:DWORD dst_unused:UNUSED_PAD src0_sel:DWORD src1_sel:BYTE_1
	v_mov_b32_e32 v19, v11
	v_and_b32_e32 v10, 0x7f, v6
	v_cmpx_ne_u32_e32 0x7f, v10
	s_cbranch_execz .LBB210_1724
; %bb.1721:                             ;   in Loop: Header=BB210_995 Depth=1
	v_and_b32_e32 v6, 7, v6
	v_lshrrev_b32_e32 v8, 3, v10
	s_mov_b32 s19, exec_lo
	v_cmpx_gt_u32_e32 8, v10
; %bb.1722:                             ;   in Loop: Header=BB210_995 Depth=1
	v_ffbh_u32_e32 v8, v6
	v_min_u32_e32 v8, 32, v8
	v_subrev_nc_u32_e32 v10, 28, v8
	v_sub_nc_u32_e32 v8, 29, v8
	v_lshlrev_b64 v[10:11], v10, v[6:7]
	v_and_b32_e32 v6, 7, v10
; %bb.1723:                             ;   in Loop: Header=BB210_995 Depth=1
	s_or_b32 exec_lo, exec_lo, s19
	v_lshlrev_b32_e32 v10, 16, v68
	v_lshlrev_b32_e32 v6, 20, v6
	v_lshl_add_u32 v8, v8, 23, 0x3c000000
	v_mov_b32_e32 v19, v7
	v_and_b32_e32 v10, 0x80000000, v10
	v_or3_b32 v20, v6, v10, v8
.LBB210_1724:                           ;   in Loop: Header=BB210_995 Depth=1
	s_or_b32 exec_lo, exec_lo, s18
.LBB210_1725:                           ;   in Loop: Header=BB210_995 Depth=1
	s_or_b32 exec_lo, exec_lo, s17
.LBB210_1726:                           ;   in Loop: Header=BB210_995 Depth=1
	s_or_b32 exec_lo, exec_lo, s15
	v_mov_b32_e32 v10, 0
	v_mov_b32_e32 v21, 0
	v_and_b32_sdwa v6, v68, v85 dst_sel:DWORD dst_unused:UNUSED_PAD src0_sel:WORD_1 src1_sel:DWORD
	v_mov_b32_e32 v11, 0
	v_mov_b32_e32 v22, 0
	s_mov_b32 s15, exec_lo
	v_cmpx_ne_u16_e32 0, v6
	s_cbranch_execz .LBB210_1734
; %bb.1727:                             ;   in Loop: Header=BB210_995 Depth=1
	v_bfrev_b32_e32 v21, 1
	v_mov_b32_e32 v22, 0
	s_mov_b32 s17, exec_lo
	v_cmpx_ne_u16_e32 0x80, v6
	s_cbranch_execz .LBB210_1733
; %bb.1728:                             ;   in Loop: Header=BB210_995 Depth=1
	v_mov_b32_e32 v21, 0x7f800001
	v_bfe_u32 v69, v68, 16, 7
	v_mov_b32_e32 v22, 0
	s_mov_b32 s18, exec_lo
	v_cmpx_ne_u32_e32 0x7f, v69
	s_cbranch_execz .LBB210_1732
; %bb.1729:                             ;   in Loop: Header=BB210_995 Depth=1
	v_mov_b32_e32 v6, 7
	v_lshrrev_b32_e32 v8, 3, v69
	s_mov_b32 s19, exec_lo
	v_and_b32_sdwa v6, v68, v6 dst_sel:DWORD dst_unused:UNUSED_PAD src0_sel:WORD_1 src1_sel:DWORD
	v_cmpx_gt_u32_e32 8, v69
; %bb.1730:                             ;   in Loop: Header=BB210_995 Depth=1
	v_ffbh_u32_e32 v8, v6
	v_min_u32_e32 v8, 32, v8
	v_subrev_nc_u32_e32 v13, 28, v8
	v_sub_nc_u32_e32 v8, 29, v8
	v_lshlrev_b64 v[21:22], v13, v[6:7]
	v_and_b32_e32 v6, 7, v21
; %bb.1731:                             ;   in Loop: Header=BB210_995 Depth=1
	s_or_b32 exec_lo, exec_lo, s19
	v_mov_b32_e32 v13, 24
	v_lshlrev_b32_e32 v6, 20, v6
	v_lshl_add_u32 v8, v8, 23, 0x3c000000
	v_lshlrev_b32_sdwa v13, v13, v68 dst_sel:DWORD dst_unused:UNUSED_PAD src0_sel:DWORD src1_sel:WORD_1
	v_and_b32_e32 v13, 0x80000000, v13
	v_or3_b32 v6, v6, v13, v8
	v_mov_b32_e32 v22, v7
	v_mov_b32_e32 v21, v6
.LBB210_1732:                           ;   in Loop: Header=BB210_995 Depth=1
	s_or_b32 exec_lo, exec_lo, s18
.LBB210_1733:                           ;   in Loop: Header=BB210_995 Depth=1
	s_or_b32 exec_lo, exec_lo, s17
.LBB210_1734:                           ;   in Loop: Header=BB210_995 Depth=1
	s_or_b32 exec_lo, exec_lo, s15
	s_mov_b32 s15, exec_lo
	v_cmpx_lt_u32_e32 0xffffff, v68
	s_cbranch_execz .LBB210_1742
; %bb.1735:                             ;   in Loop: Header=BB210_995 Depth=1
	v_mov_b32_e32 v8, v7
	v_mov_b32_e32 v11, v9
	v_cmp_ne_u32_sdwa s4, v68, v83 src0_sel:BYTE_3 src1_sel:DWORD
	v_mov_b32_e32 v10, v8
	s_and_saveexec_b32 s17, s4
	s_cbranch_execz .LBB210_1741
; %bb.1736:                             ;   in Loop: Header=BB210_995 Depth=1
	v_mov_b32_e32 v11, v7
	v_bfe_u32 v69, v68, 24, 7
	s_mov_b32 s18, exec_lo
	v_mov_b32_e32 v10, v11
	v_mov_b32_e32 v11, v12
	v_cmpx_ne_u32_e32 0x7f, v69
	s_cbranch_execz .LBB210_1740
; %bb.1737:                             ;   in Loop: Header=BB210_995 Depth=1
	v_mov_b32_e32 v6, 7
	v_lshrrev_b32_e32 v8, 3, v69
	s_mov_b32 s19, exec_lo
	v_and_b32_sdwa v6, v68, v6 dst_sel:DWORD dst_unused:UNUSED_PAD src0_sel:BYTE_3 src1_sel:DWORD
	v_cmpx_gt_u32_e32 8, v69
; %bb.1738:                             ;   in Loop: Header=BB210_995 Depth=1
	v_ffbh_u32_e32 v8, v6
	v_min_u32_e32 v8, 32, v8
	v_subrev_nc_u32_e32 v10, 28, v8
	v_sub_nc_u32_e32 v8, 29, v8
	v_lshlrev_b64 v[10:11], v10, v[6:7]
	v_and_b32_e32 v6, 7, v10
; %bb.1739:                             ;   in Loop: Header=BB210_995 Depth=1
	s_or_b32 exec_lo, exec_lo, s19
	v_mov_b32_e32 v10, 24
	v_lshlrev_b32_e32 v6, 20, v6
	v_lshl_add_u32 v8, v8, 23, 0x3c000000
	v_lshlrev_b32_sdwa v10, v10, v68 dst_sel:DWORD dst_unused:UNUSED_PAD src0_sel:DWORD src1_sel:BYTE_3
	v_and_b32_e32 v10, 0x80000000, v10
	v_or3_b32 v11, v6, v10, v8
	v_mov_b32_e32 v10, v7
.LBB210_1740:                           ;   in Loop: Header=BB210_995 Depth=1
	s_or_b32 exec_lo, exec_lo, s18
.LBB210_1741:                           ;   in Loop: Header=BB210_995 Depth=1
	s_or_b32 exec_lo, exec_lo, s17
.LBB210_1742:                           ;   in Loop: Header=BB210_995 Depth=1
	s_or_b32 exec_lo, exec_lo, s15
	v_or_b32_e32 v6, v20, v18
	v_or_b32_e32 v8, v19, v17
	;; [unrolled: 1-line block ×4, first 2 shown]
	v_mul_f32_e32 v71, v100, v6
	v_mul_f32_e32 v70, v100, v8
	;; [unrolled: 1-line block ×4, first 2 shown]
	s_and_saveexec_b32 s15, vcc_lo
	s_cbranch_execz .LBB210_1744
; %bb.1743:                             ;   in Loop: Header=BB210_995 Depth=1
	buffer_load_dword v6, off, s[0:3], s32 offset:192 ; 4-byte Folded Reload
	s_waitcnt vmcnt(0)
	v_cmp_lt_i32_e64 s4, v113, v6
	v_cndmask_b32_e64 v70, 0, v70, s4
	v_cmp_lt_i32_e64 s4, v116, v6
	v_cndmask_b32_e64 v71, 0, v71, s4
	;; [unrolled: 2-line block ×4, first 2 shown]
.LBB210_1744:                           ;   in Loop: Header=BB210_995 Depth=1
	s_or_b32 exec_lo, exec_lo, s15
	flat_load_dword v80, v[0:1] offset:768
	v_mov_b32_e32 v19, 0
	v_mov_b32_e32 v17, 0
	;; [unrolled: 1-line block ×4, first 2 shown]
	s_waitcnt vmcnt(0) lgkmcnt(0)
	v_cmp_ne_u16_sdwa s4, v80, v7 src0_sel:BYTE_0 src1_sel:DWORD
	s_and_saveexec_b32 s15, s4
	s_cbranch_execz .LBB210_1752
; %bb.1745:                             ;   in Loop: Header=BB210_995 Depth=1
	v_bfrev_b32_e32 v17, 1
	v_mov_b32_e32 v18, 0
	v_cmp_ne_u16_sdwa s4, v80, v83 src0_sel:BYTE_0 src1_sel:DWORD
	s_and_saveexec_b32 s17, s4
	s_cbranch_execz .LBB210_1751
; %bb.1746:                             ;   in Loop: Header=BB210_995 Depth=1
	v_mov_b32_e32 v17, 0x7f800001
	v_and_b32_e32 v10, 0x7f, v80
	v_mov_b32_e32 v18, 0
	s_mov_b32 s18, exec_lo
	v_cmpx_ne_u32_e32 0x7f, v10
	s_cbranch_execz .LBB210_1750
; %bb.1747:                             ;   in Loop: Header=BB210_995 Depth=1
	v_and_b32_e32 v6, 7, v80
	v_lshrrev_b32_e32 v8, 3, v10
	s_mov_b32 s19, exec_lo
	v_cmpx_gt_u32_e32 8, v10
; %bb.1748:                             ;   in Loop: Header=BB210_995 Depth=1
	v_ffbh_u32_e32 v8, v6
	v_min_u32_e32 v8, 32, v8
	v_subrev_nc_u32_e32 v10, 28, v8
	v_sub_nc_u32_e32 v8, 29, v8
	v_lshlrev_b64 v[10:11], v10, v[6:7]
	v_and_b32_e32 v6, 7, v10
; %bb.1749:                             ;   in Loop: Header=BB210_995 Depth=1
	s_or_b32 exec_lo, exec_lo, s19
	v_lshlrev_b32_e32 v10, 24, v80
	v_lshlrev_b32_e32 v6, 20, v6
	v_lshl_add_u32 v8, v8, 23, 0x3c000000
	v_and_b32_e32 v10, 0x80000000, v10
	v_or3_b32 v6, v6, v10, v8
	v_mov_b32_e32 v18, v7
	v_mov_b32_e32 v17, v6
.LBB210_1750:                           ;   in Loop: Header=BB210_995 Depth=1
	s_or_b32 exec_lo, exec_lo, s18
.LBB210_1751:                           ;   in Loop: Header=BB210_995 Depth=1
	s_or_b32 exec_lo, exec_lo, s17
.LBB210_1752:                           ;   in Loop: Header=BB210_995 Depth=1
	s_or_b32 exec_lo, exec_lo, s15
	v_cmp_ne_u16_sdwa s4, v80, v7 src0_sel:BYTE_1 src1_sel:DWORD
	s_and_saveexec_b32 s15, s4
	s_cbranch_execz .LBB210_1760
; %bb.1753:                             ;   in Loop: Header=BB210_995 Depth=1
	v_mov_b32_e32 v8, v7
	v_mov_b32_e32 v20, v9
	v_cmp_ne_u16_sdwa s4, v80, v83 src0_sel:BYTE_1 src1_sel:DWORD
	v_mov_b32_e32 v19, v8
	s_and_saveexec_b32 s17, s4
	s_cbranch_execz .LBB210_1759
; %bb.1754:                             ;   in Loop: Header=BB210_995 Depth=1
	v_mov_b32_e32 v6, 0xffff
	v_mov_b32_e32 v11, v7
	;; [unrolled: 1-line block ×3, first 2 shown]
	s_mov_b32 s18, exec_lo
	v_and_b32_sdwa v6, v6, v80 dst_sel:DWORD dst_unused:UNUSED_PAD src0_sel:DWORD src1_sel:BYTE_1
	v_mov_b32_e32 v19, v11
	v_and_b32_e32 v10, 0x7f, v6
	v_cmpx_ne_u32_e32 0x7f, v10
	s_cbranch_execz .LBB210_1758
; %bb.1755:                             ;   in Loop: Header=BB210_995 Depth=1
	v_and_b32_e32 v6, 7, v6
	v_lshrrev_b32_e32 v8, 3, v10
	s_mov_b32 s19, exec_lo
	v_cmpx_gt_u32_e32 8, v10
; %bb.1756:                             ;   in Loop: Header=BB210_995 Depth=1
	v_ffbh_u32_e32 v8, v6
	v_min_u32_e32 v8, 32, v8
	v_subrev_nc_u32_e32 v10, 28, v8
	v_sub_nc_u32_e32 v8, 29, v8
	v_lshlrev_b64 v[10:11], v10, v[6:7]
	v_and_b32_e32 v6, 7, v10
; %bb.1757:                             ;   in Loop: Header=BB210_995 Depth=1
	s_or_b32 exec_lo, exec_lo, s19
	v_lshlrev_b32_e32 v10, 16, v80
	v_lshlrev_b32_e32 v6, 20, v6
	v_lshl_add_u32 v8, v8, 23, 0x3c000000
	v_mov_b32_e32 v19, v7
	v_and_b32_e32 v10, 0x80000000, v10
	v_or3_b32 v20, v6, v10, v8
.LBB210_1758:                           ;   in Loop: Header=BB210_995 Depth=1
	s_or_b32 exec_lo, exec_lo, s18
.LBB210_1759:                           ;   in Loop: Header=BB210_995 Depth=1
	s_or_b32 exec_lo, exec_lo, s17
.LBB210_1760:                           ;   in Loop: Header=BB210_995 Depth=1
	s_or_b32 exec_lo, exec_lo, s15
	v_mov_b32_e32 v10, 0
	v_mov_b32_e32 v21, 0
	v_and_b32_sdwa v6, v80, v85 dst_sel:DWORD dst_unused:UNUSED_PAD src0_sel:WORD_1 src1_sel:DWORD
	v_mov_b32_e32 v11, 0
	v_mov_b32_e32 v22, 0
	s_mov_b32 s15, exec_lo
	v_cmpx_ne_u16_e32 0, v6
	s_cbranch_execz .LBB210_1768
; %bb.1761:                             ;   in Loop: Header=BB210_995 Depth=1
	v_bfrev_b32_e32 v21, 1
	v_mov_b32_e32 v22, 0
	s_mov_b32 s17, exec_lo
	v_cmpx_ne_u16_e32 0x80, v6
	s_cbranch_execz .LBB210_1767
; %bb.1762:                             ;   in Loop: Header=BB210_995 Depth=1
	v_mov_b32_e32 v21, 0x7f800001
	v_bfe_u32 v81, v80, 16, 7
	v_mov_b32_e32 v22, 0
	s_mov_b32 s18, exec_lo
	v_cmpx_ne_u32_e32 0x7f, v81
	s_cbranch_execz .LBB210_1766
; %bb.1763:                             ;   in Loop: Header=BB210_995 Depth=1
	v_mov_b32_e32 v6, 7
	v_lshrrev_b32_e32 v8, 3, v81
	s_mov_b32 s19, exec_lo
	v_and_b32_sdwa v6, v80, v6 dst_sel:DWORD dst_unused:UNUSED_PAD src0_sel:WORD_1 src1_sel:DWORD
	v_cmpx_gt_u32_e32 8, v81
; %bb.1764:                             ;   in Loop: Header=BB210_995 Depth=1
	v_ffbh_u32_e32 v8, v6
	v_min_u32_e32 v8, 32, v8
	v_subrev_nc_u32_e32 v13, 28, v8
	v_sub_nc_u32_e32 v8, 29, v8
	v_lshlrev_b64 v[21:22], v13, v[6:7]
	v_and_b32_e32 v6, 7, v21
; %bb.1765:                             ;   in Loop: Header=BB210_995 Depth=1
	s_or_b32 exec_lo, exec_lo, s19
	v_mov_b32_e32 v13, 24
	v_lshlrev_b32_e32 v6, 20, v6
	v_lshl_add_u32 v8, v8, 23, 0x3c000000
	v_lshlrev_b32_sdwa v13, v13, v80 dst_sel:DWORD dst_unused:UNUSED_PAD src0_sel:DWORD src1_sel:WORD_1
	v_and_b32_e32 v13, 0x80000000, v13
	v_or3_b32 v6, v6, v13, v8
	v_mov_b32_e32 v22, v7
	v_mov_b32_e32 v21, v6
.LBB210_1766:                           ;   in Loop: Header=BB210_995 Depth=1
	s_or_b32 exec_lo, exec_lo, s18
.LBB210_1767:                           ;   in Loop: Header=BB210_995 Depth=1
	s_or_b32 exec_lo, exec_lo, s17
.LBB210_1768:                           ;   in Loop: Header=BB210_995 Depth=1
	s_or_b32 exec_lo, exec_lo, s15
	s_mov_b32 s15, exec_lo
	v_cmpx_lt_u32_e32 0xffffff, v80
	s_cbranch_execz .LBB210_1776
; %bb.1769:                             ;   in Loop: Header=BB210_995 Depth=1
	v_mov_b32_e32 v8, v7
	v_mov_b32_e32 v11, v9
	v_cmp_ne_u32_sdwa s4, v80, v83 src0_sel:BYTE_3 src1_sel:DWORD
	v_mov_b32_e32 v10, v8
	s_and_saveexec_b32 s17, s4
	s_cbranch_execz .LBB210_1775
; %bb.1770:                             ;   in Loop: Header=BB210_995 Depth=1
	v_mov_b32_e32 v11, v7
	v_bfe_u32 v81, v80, 24, 7
	s_mov_b32 s18, exec_lo
	v_mov_b32_e32 v10, v11
	v_mov_b32_e32 v11, v12
	v_cmpx_ne_u32_e32 0x7f, v81
	s_cbranch_execz .LBB210_1774
; %bb.1771:                             ;   in Loop: Header=BB210_995 Depth=1
	v_mov_b32_e32 v6, 7
	v_lshrrev_b32_e32 v8, 3, v81
	s_mov_b32 s19, exec_lo
	v_and_b32_sdwa v6, v80, v6 dst_sel:DWORD dst_unused:UNUSED_PAD src0_sel:BYTE_3 src1_sel:DWORD
	v_cmpx_gt_u32_e32 8, v81
; %bb.1772:                             ;   in Loop: Header=BB210_995 Depth=1
	v_ffbh_u32_e32 v8, v6
	v_min_u32_e32 v8, 32, v8
	v_subrev_nc_u32_e32 v10, 28, v8
	v_sub_nc_u32_e32 v8, 29, v8
	v_lshlrev_b64 v[10:11], v10, v[6:7]
	v_and_b32_e32 v6, 7, v10
; %bb.1773:                             ;   in Loop: Header=BB210_995 Depth=1
	s_or_b32 exec_lo, exec_lo, s19
	v_mov_b32_e32 v10, 24
	v_lshlrev_b32_e32 v6, 20, v6
	v_lshl_add_u32 v8, v8, 23, 0x3c000000
	v_lshlrev_b32_sdwa v10, v10, v80 dst_sel:DWORD dst_unused:UNUSED_PAD src0_sel:DWORD src1_sel:BYTE_3
	v_and_b32_e32 v10, 0x80000000, v10
	v_or3_b32 v11, v6, v10, v8
	v_mov_b32_e32 v10, v7
.LBB210_1774:                           ;   in Loop: Header=BB210_995 Depth=1
	s_or_b32 exec_lo, exec_lo, s18
.LBB210_1775:                           ;   in Loop: Header=BB210_995 Depth=1
	s_or_b32 exec_lo, exec_lo, s17
.LBB210_1776:                           ;   in Loop: Header=BB210_995 Depth=1
	s_or_b32 exec_lo, exec_lo, s15
	v_or_b32_e32 v6, v20, v18
	v_or_b32_e32 v8, v19, v17
	v_or_b32_e32 v10, v10, v21
	v_or_b32_e32 v11, v11, v22
	v_mul_f32_e32 v102, v100, v6
	v_mul_f32_e32 v101, v100, v8
	;; [unrolled: 1-line block ×4, first 2 shown]
	s_and_saveexec_b32 s15, vcc_lo
	s_cbranch_execz .LBB210_1778
; %bb.1777:                             ;   in Loop: Header=BB210_995 Depth=1
	buffer_load_dword v6, off, s[0:3], s32 offset:192 ; 4-byte Folded Reload
	s_waitcnt vmcnt(0)
	v_cmp_lt_i32_e64 s4, v113, v6
	v_cndmask_b32_e64 v101, 0, v101, s4
	v_cmp_lt_i32_e64 s4, v116, v6
	v_cndmask_b32_e64 v102, 0, v102, s4
	v_cmp_lt_i32_e64 s4, v115, v6
	v_cndmask_b32_e64 v81, 0, v81, s4
	v_cmp_lt_i32_e64 s4, v114, v6
	v_cndmask_b32_e64 v80, 0, v80, s4
.LBB210_1778:                           ;   in Loop: Header=BB210_995 Depth=1
	s_or_b32 exec_lo, exec_lo, s15
	flat_load_dword v84, v[0:1] offset:896
	v_mov_b32_e32 v19, 0
	v_mov_b32_e32 v17, 0
	;; [unrolled: 1-line block ×4, first 2 shown]
	s_waitcnt vmcnt(0) lgkmcnt(0)
	v_cmp_ne_u16_sdwa s4, v84, v7 src0_sel:BYTE_0 src1_sel:DWORD
	s_and_saveexec_b32 s15, s4
	s_cbranch_execz .LBB210_1786
; %bb.1779:                             ;   in Loop: Header=BB210_995 Depth=1
	v_bfrev_b32_e32 v17, 1
	v_mov_b32_e32 v18, 0
	v_cmp_ne_u16_sdwa s4, v84, v83 src0_sel:BYTE_0 src1_sel:DWORD
	s_and_saveexec_b32 s17, s4
	s_cbranch_execz .LBB210_1785
; %bb.1780:                             ;   in Loop: Header=BB210_995 Depth=1
	v_mov_b32_e32 v17, 0x7f800001
	v_and_b32_e32 v10, 0x7f, v84
	v_mov_b32_e32 v18, 0
	s_mov_b32 s18, exec_lo
	v_cmpx_ne_u32_e32 0x7f, v10
	s_cbranch_execz .LBB210_1784
; %bb.1781:                             ;   in Loop: Header=BB210_995 Depth=1
	v_and_b32_e32 v6, 7, v84
	v_lshrrev_b32_e32 v8, 3, v10
	s_mov_b32 s19, exec_lo
	v_cmpx_gt_u32_e32 8, v10
; %bb.1782:                             ;   in Loop: Header=BB210_995 Depth=1
	v_ffbh_u32_e32 v8, v6
	v_min_u32_e32 v8, 32, v8
	v_subrev_nc_u32_e32 v10, 28, v8
	v_sub_nc_u32_e32 v8, 29, v8
	v_lshlrev_b64 v[10:11], v10, v[6:7]
	v_and_b32_e32 v6, 7, v10
; %bb.1783:                             ;   in Loop: Header=BB210_995 Depth=1
	s_or_b32 exec_lo, exec_lo, s19
	v_lshlrev_b32_e32 v10, 24, v84
	v_lshlrev_b32_e32 v6, 20, v6
	v_lshl_add_u32 v8, v8, 23, 0x3c000000
	v_and_b32_e32 v10, 0x80000000, v10
	v_or3_b32 v6, v6, v10, v8
	v_mov_b32_e32 v18, v7
	v_mov_b32_e32 v17, v6
.LBB210_1784:                           ;   in Loop: Header=BB210_995 Depth=1
	s_or_b32 exec_lo, exec_lo, s18
.LBB210_1785:                           ;   in Loop: Header=BB210_995 Depth=1
	s_or_b32 exec_lo, exec_lo, s17
.LBB210_1786:                           ;   in Loop: Header=BB210_995 Depth=1
	s_or_b32 exec_lo, exec_lo, s15
	v_cmp_ne_u16_sdwa s4, v84, v7 src0_sel:BYTE_1 src1_sel:DWORD
	s_and_saveexec_b32 s15, s4
	s_cbranch_execz .LBB210_1794
; %bb.1787:                             ;   in Loop: Header=BB210_995 Depth=1
	v_mov_b32_e32 v8, v7
	v_mov_b32_e32 v20, v9
	v_cmp_ne_u16_sdwa s4, v84, v83 src0_sel:BYTE_1 src1_sel:DWORD
	v_mov_b32_e32 v19, v8
	s_and_saveexec_b32 s17, s4
	s_cbranch_execz .LBB210_1793
; %bb.1788:                             ;   in Loop: Header=BB210_995 Depth=1
	v_mov_b32_e32 v6, 0xffff
	v_mov_b32_e32 v11, v7
	;; [unrolled: 1-line block ×3, first 2 shown]
	s_mov_b32 s18, exec_lo
	v_and_b32_sdwa v6, v6, v84 dst_sel:DWORD dst_unused:UNUSED_PAD src0_sel:DWORD src1_sel:BYTE_1
	v_mov_b32_e32 v19, v11
	v_and_b32_e32 v10, 0x7f, v6
	v_cmpx_ne_u32_e32 0x7f, v10
	s_cbranch_execz .LBB210_1792
; %bb.1789:                             ;   in Loop: Header=BB210_995 Depth=1
	v_and_b32_e32 v6, 7, v6
	v_lshrrev_b32_e32 v8, 3, v10
	s_mov_b32 s19, exec_lo
	v_cmpx_gt_u32_e32 8, v10
; %bb.1790:                             ;   in Loop: Header=BB210_995 Depth=1
	v_ffbh_u32_e32 v8, v6
	v_min_u32_e32 v8, 32, v8
	v_subrev_nc_u32_e32 v10, 28, v8
	v_sub_nc_u32_e32 v8, 29, v8
	v_lshlrev_b64 v[10:11], v10, v[6:7]
	v_and_b32_e32 v6, 7, v10
; %bb.1791:                             ;   in Loop: Header=BB210_995 Depth=1
	s_or_b32 exec_lo, exec_lo, s19
	v_lshlrev_b32_e32 v10, 16, v84
	v_lshlrev_b32_e32 v6, 20, v6
	v_lshl_add_u32 v8, v8, 23, 0x3c000000
	v_mov_b32_e32 v19, v7
	v_and_b32_e32 v10, 0x80000000, v10
	v_or3_b32 v20, v6, v10, v8
.LBB210_1792:                           ;   in Loop: Header=BB210_995 Depth=1
	s_or_b32 exec_lo, exec_lo, s18
.LBB210_1793:                           ;   in Loop: Header=BB210_995 Depth=1
	s_or_b32 exec_lo, exec_lo, s17
.LBB210_1794:                           ;   in Loop: Header=BB210_995 Depth=1
	s_or_b32 exec_lo, exec_lo, s15
	v_mov_b32_e32 v10, 0
	v_mov_b32_e32 v21, 0
	v_and_b32_sdwa v6, v84, v85 dst_sel:DWORD dst_unused:UNUSED_PAD src0_sel:WORD_1 src1_sel:DWORD
	v_mov_b32_e32 v11, 0
	v_mov_b32_e32 v22, 0
	s_mov_b32 s15, exec_lo
	v_cmpx_ne_u16_e32 0, v6
	s_cbranch_execz .LBB210_1802
; %bb.1795:                             ;   in Loop: Header=BB210_995 Depth=1
	v_bfrev_b32_e32 v21, 1
	v_mov_b32_e32 v22, 0
	s_mov_b32 s17, exec_lo
	v_cmpx_ne_u16_e32 0x80, v6
	s_cbranch_execz .LBB210_1801
; %bb.1796:                             ;   in Loop: Header=BB210_995 Depth=1
	v_mov_b32_e32 v21, 0x7f800001
	v_bfe_u32 v86, v84, 16, 7
	v_mov_b32_e32 v22, 0
	s_mov_b32 s18, exec_lo
	v_cmpx_ne_u32_e32 0x7f, v86
	s_cbranch_execz .LBB210_1800
; %bb.1797:                             ;   in Loop: Header=BB210_995 Depth=1
	v_mov_b32_e32 v6, 7
	v_lshrrev_b32_e32 v8, 3, v86
	s_mov_b32 s19, exec_lo
	v_and_b32_sdwa v6, v84, v6 dst_sel:DWORD dst_unused:UNUSED_PAD src0_sel:WORD_1 src1_sel:DWORD
	v_cmpx_gt_u32_e32 8, v86
; %bb.1798:                             ;   in Loop: Header=BB210_995 Depth=1
	v_ffbh_u32_e32 v8, v6
	v_min_u32_e32 v8, 32, v8
	v_subrev_nc_u32_e32 v13, 28, v8
	v_sub_nc_u32_e32 v8, 29, v8
	v_lshlrev_b64 v[21:22], v13, v[6:7]
	v_and_b32_e32 v6, 7, v21
; %bb.1799:                             ;   in Loop: Header=BB210_995 Depth=1
	s_or_b32 exec_lo, exec_lo, s19
	v_mov_b32_e32 v13, 24
	v_lshlrev_b32_e32 v6, 20, v6
	v_lshl_add_u32 v8, v8, 23, 0x3c000000
	v_lshlrev_b32_sdwa v13, v13, v84 dst_sel:DWORD dst_unused:UNUSED_PAD src0_sel:DWORD src1_sel:WORD_1
	v_and_b32_e32 v13, 0x80000000, v13
	v_or3_b32 v6, v6, v13, v8
	v_mov_b32_e32 v22, v7
	v_mov_b32_e32 v21, v6
.LBB210_1800:                           ;   in Loop: Header=BB210_995 Depth=1
	s_or_b32 exec_lo, exec_lo, s18
.LBB210_1801:                           ;   in Loop: Header=BB210_995 Depth=1
	s_or_b32 exec_lo, exec_lo, s17
.LBB210_1802:                           ;   in Loop: Header=BB210_995 Depth=1
	s_or_b32 exec_lo, exec_lo, s15
	s_mov_b32 s15, exec_lo
	v_cmpx_lt_u32_e32 0xffffff, v84
	s_cbranch_execz .LBB210_1810
; %bb.1803:                             ;   in Loop: Header=BB210_995 Depth=1
	v_mov_b32_e32 v8, v7
	v_mov_b32_e32 v11, v9
	v_cmp_ne_u32_sdwa s4, v84, v83 src0_sel:BYTE_3 src1_sel:DWORD
	v_mov_b32_e32 v10, v8
	s_and_saveexec_b32 s17, s4
	s_cbranch_execz .LBB210_1809
; %bb.1804:                             ;   in Loop: Header=BB210_995 Depth=1
	v_mov_b32_e32 v11, v7
	v_bfe_u32 v86, v84, 24, 7
	s_mov_b32 s18, exec_lo
	v_mov_b32_e32 v10, v11
	v_mov_b32_e32 v11, v12
	v_cmpx_ne_u32_e32 0x7f, v86
	s_cbranch_execz .LBB210_1808
; %bb.1805:                             ;   in Loop: Header=BB210_995 Depth=1
	v_mov_b32_e32 v6, 7
	v_lshrrev_b32_e32 v8, 3, v86
	s_mov_b32 s19, exec_lo
	v_and_b32_sdwa v6, v84, v6 dst_sel:DWORD dst_unused:UNUSED_PAD src0_sel:BYTE_3 src1_sel:DWORD
	v_cmpx_gt_u32_e32 8, v86
; %bb.1806:                             ;   in Loop: Header=BB210_995 Depth=1
	v_ffbh_u32_e32 v8, v6
	v_min_u32_e32 v8, 32, v8
	v_subrev_nc_u32_e32 v10, 28, v8
	v_sub_nc_u32_e32 v8, 29, v8
	v_lshlrev_b64 v[10:11], v10, v[6:7]
	v_and_b32_e32 v6, 7, v10
; %bb.1807:                             ;   in Loop: Header=BB210_995 Depth=1
	s_or_b32 exec_lo, exec_lo, s19
	v_mov_b32_e32 v10, 24
	v_lshlrev_b32_e32 v6, 20, v6
	v_lshl_add_u32 v8, v8, 23, 0x3c000000
	v_lshlrev_b32_sdwa v10, v10, v84 dst_sel:DWORD dst_unused:UNUSED_PAD src0_sel:DWORD src1_sel:BYTE_3
	v_and_b32_e32 v10, 0x80000000, v10
	v_or3_b32 v11, v6, v10, v8
	v_mov_b32_e32 v10, v7
.LBB210_1808:                           ;   in Loop: Header=BB210_995 Depth=1
	s_or_b32 exec_lo, exec_lo, s18
.LBB210_1809:                           ;   in Loop: Header=BB210_995 Depth=1
	s_or_b32 exec_lo, exec_lo, s17
.LBB210_1810:                           ;   in Loop: Header=BB210_995 Depth=1
	s_or_b32 exec_lo, exec_lo, s15
	v_or_b32_e32 v6, v20, v18
	v_or_b32_e32 v8, v19, v17
	;; [unrolled: 1-line block ×4, first 2 shown]
	v_mul_f32_e32 v118, v100, v6
	v_mul_f32_e32 v117, v100, v8
	;; [unrolled: 1-line block ×4, first 2 shown]
	s_and_saveexec_b32 s15, vcc_lo
	s_cbranch_execz .LBB210_1812
; %bb.1811:                             ;   in Loop: Header=BB210_995 Depth=1
	buffer_load_dword v6, off, s[0:3], s32 offset:192 ; 4-byte Folded Reload
	s_waitcnt vmcnt(0)
	v_cmp_lt_i32_e64 s4, v113, v6
	v_cndmask_b32_e64 v117, 0, v117, s4
	v_cmp_lt_i32_e64 s4, v116, v6
	v_cndmask_b32_e64 v118, 0, v118, s4
	;; [unrolled: 2-line block ×4, first 2 shown]
.LBB210_1812:                           ;   in Loop: Header=BB210_995 Depth=1
	s_or_b32 exec_lo, exec_lo, s15
	flat_load_dword v84, v[0:1] offset:1024
	v_mov_b32_e32 v19, 0
	v_mov_b32_e32 v17, 0
	;; [unrolled: 1-line block ×4, first 2 shown]
	s_waitcnt vmcnt(0) lgkmcnt(0)
	v_cmp_ne_u16_sdwa s4, v84, v7 src0_sel:BYTE_0 src1_sel:DWORD
	s_and_saveexec_b32 s15, s4
	s_cbranch_execz .LBB210_1820
; %bb.1813:                             ;   in Loop: Header=BB210_995 Depth=1
	v_bfrev_b32_e32 v17, 1
	v_mov_b32_e32 v18, 0
	v_cmp_ne_u16_sdwa s4, v84, v83 src0_sel:BYTE_0 src1_sel:DWORD
	s_and_saveexec_b32 s17, s4
	s_cbranch_execz .LBB210_1819
; %bb.1814:                             ;   in Loop: Header=BB210_995 Depth=1
	v_mov_b32_e32 v17, 0x7f800001
	v_and_b32_e32 v10, 0x7f, v84
	v_mov_b32_e32 v18, 0
	s_mov_b32 s18, exec_lo
	v_cmpx_ne_u32_e32 0x7f, v10
	s_cbranch_execz .LBB210_1818
; %bb.1815:                             ;   in Loop: Header=BB210_995 Depth=1
	v_and_b32_e32 v6, 7, v84
	v_lshrrev_b32_e32 v8, 3, v10
	s_mov_b32 s19, exec_lo
	v_cmpx_gt_u32_e32 8, v10
; %bb.1816:                             ;   in Loop: Header=BB210_995 Depth=1
	v_ffbh_u32_e32 v8, v6
	v_min_u32_e32 v8, 32, v8
	v_subrev_nc_u32_e32 v10, 28, v8
	v_sub_nc_u32_e32 v8, 29, v8
	v_lshlrev_b64 v[10:11], v10, v[6:7]
	v_and_b32_e32 v6, 7, v10
; %bb.1817:                             ;   in Loop: Header=BB210_995 Depth=1
	s_or_b32 exec_lo, exec_lo, s19
	v_lshlrev_b32_e32 v10, 24, v84
	v_lshlrev_b32_e32 v6, 20, v6
	v_lshl_add_u32 v8, v8, 23, 0x3c000000
	v_and_b32_e32 v10, 0x80000000, v10
	v_or3_b32 v6, v6, v10, v8
	v_mov_b32_e32 v18, v7
	v_mov_b32_e32 v17, v6
.LBB210_1818:                           ;   in Loop: Header=BB210_995 Depth=1
	s_or_b32 exec_lo, exec_lo, s18
.LBB210_1819:                           ;   in Loop: Header=BB210_995 Depth=1
	s_or_b32 exec_lo, exec_lo, s17
.LBB210_1820:                           ;   in Loop: Header=BB210_995 Depth=1
	s_or_b32 exec_lo, exec_lo, s15
	v_cmp_ne_u16_sdwa s4, v84, v7 src0_sel:BYTE_1 src1_sel:DWORD
	s_and_saveexec_b32 s15, s4
	s_cbranch_execz .LBB210_1828
; %bb.1821:                             ;   in Loop: Header=BB210_995 Depth=1
	v_mov_b32_e32 v8, v7
	v_mov_b32_e32 v20, v9
	v_cmp_ne_u16_sdwa s4, v84, v83 src0_sel:BYTE_1 src1_sel:DWORD
	v_mov_b32_e32 v19, v8
	s_and_saveexec_b32 s17, s4
	s_cbranch_execz .LBB210_1827
; %bb.1822:                             ;   in Loop: Header=BB210_995 Depth=1
	v_mov_b32_e32 v6, 0xffff
	v_mov_b32_e32 v11, v7
	;; [unrolled: 1-line block ×3, first 2 shown]
	s_mov_b32 s18, exec_lo
	v_and_b32_sdwa v6, v6, v84 dst_sel:DWORD dst_unused:UNUSED_PAD src0_sel:DWORD src1_sel:BYTE_1
	v_mov_b32_e32 v19, v11
	v_and_b32_e32 v10, 0x7f, v6
	v_cmpx_ne_u32_e32 0x7f, v10
	s_cbranch_execz .LBB210_1826
; %bb.1823:                             ;   in Loop: Header=BB210_995 Depth=1
	v_and_b32_e32 v6, 7, v6
	v_lshrrev_b32_e32 v8, 3, v10
	s_mov_b32 s19, exec_lo
	v_cmpx_gt_u32_e32 8, v10
; %bb.1824:                             ;   in Loop: Header=BB210_995 Depth=1
	v_ffbh_u32_e32 v8, v6
	v_min_u32_e32 v8, 32, v8
	v_subrev_nc_u32_e32 v10, 28, v8
	v_sub_nc_u32_e32 v8, 29, v8
	v_lshlrev_b64 v[10:11], v10, v[6:7]
	v_and_b32_e32 v6, 7, v10
; %bb.1825:                             ;   in Loop: Header=BB210_995 Depth=1
	s_or_b32 exec_lo, exec_lo, s19
	v_lshlrev_b32_e32 v10, 16, v84
	v_lshlrev_b32_e32 v6, 20, v6
	v_lshl_add_u32 v8, v8, 23, 0x3c000000
	v_mov_b32_e32 v19, v7
	v_and_b32_e32 v10, 0x80000000, v10
	v_or3_b32 v20, v6, v10, v8
.LBB210_1826:                           ;   in Loop: Header=BB210_995 Depth=1
	s_or_b32 exec_lo, exec_lo, s18
.LBB210_1827:                           ;   in Loop: Header=BB210_995 Depth=1
	s_or_b32 exec_lo, exec_lo, s17
.LBB210_1828:                           ;   in Loop: Header=BB210_995 Depth=1
	s_or_b32 exec_lo, exec_lo, s15
	v_mov_b32_e32 v10, 0
	v_mov_b32_e32 v21, 0
	v_and_b32_sdwa v6, v84, v85 dst_sel:DWORD dst_unused:UNUSED_PAD src0_sel:WORD_1 src1_sel:DWORD
	v_mov_b32_e32 v11, 0
	v_mov_b32_e32 v22, 0
	s_mov_b32 s15, exec_lo
	v_cmpx_ne_u16_e32 0, v6
	s_cbranch_execz .LBB210_1836
; %bb.1829:                             ;   in Loop: Header=BB210_995 Depth=1
	v_bfrev_b32_e32 v21, 1
	v_mov_b32_e32 v22, 0
	s_mov_b32 s17, exec_lo
	v_cmpx_ne_u16_e32 0x80, v6
	s_cbranch_execz .LBB210_1835
; %bb.1830:                             ;   in Loop: Header=BB210_995 Depth=1
	v_mov_b32_e32 v21, 0x7f800001
	v_bfe_u32 v86, v84, 16, 7
	v_mov_b32_e32 v22, 0
	s_mov_b32 s18, exec_lo
	v_cmpx_ne_u32_e32 0x7f, v86
	s_cbranch_execz .LBB210_1834
; %bb.1831:                             ;   in Loop: Header=BB210_995 Depth=1
	v_mov_b32_e32 v6, 7
	v_lshrrev_b32_e32 v8, 3, v86
	s_mov_b32 s19, exec_lo
	v_and_b32_sdwa v6, v84, v6 dst_sel:DWORD dst_unused:UNUSED_PAD src0_sel:WORD_1 src1_sel:DWORD
	v_cmpx_gt_u32_e32 8, v86
; %bb.1832:                             ;   in Loop: Header=BB210_995 Depth=1
	v_ffbh_u32_e32 v8, v6
	v_min_u32_e32 v8, 32, v8
	v_subrev_nc_u32_e32 v13, 28, v8
	v_sub_nc_u32_e32 v8, 29, v8
	v_lshlrev_b64 v[21:22], v13, v[6:7]
	v_and_b32_e32 v6, 7, v21
; %bb.1833:                             ;   in Loop: Header=BB210_995 Depth=1
	s_or_b32 exec_lo, exec_lo, s19
	v_mov_b32_e32 v13, 24
	v_lshlrev_b32_e32 v6, 20, v6
	v_lshl_add_u32 v8, v8, 23, 0x3c000000
	v_lshlrev_b32_sdwa v13, v13, v84 dst_sel:DWORD dst_unused:UNUSED_PAD src0_sel:DWORD src1_sel:WORD_1
	v_and_b32_e32 v13, 0x80000000, v13
	v_or3_b32 v6, v6, v13, v8
	v_mov_b32_e32 v22, v7
	v_mov_b32_e32 v21, v6
.LBB210_1834:                           ;   in Loop: Header=BB210_995 Depth=1
	s_or_b32 exec_lo, exec_lo, s18
.LBB210_1835:                           ;   in Loop: Header=BB210_995 Depth=1
	s_or_b32 exec_lo, exec_lo, s17
.LBB210_1836:                           ;   in Loop: Header=BB210_995 Depth=1
	s_or_b32 exec_lo, exec_lo, s15
	s_mov_b32 s15, exec_lo
	v_cmpx_lt_u32_e32 0xffffff, v84
	s_cbranch_execz .LBB210_1844
; %bb.1837:                             ;   in Loop: Header=BB210_995 Depth=1
	v_mov_b32_e32 v8, v7
	v_mov_b32_e32 v11, v9
	v_cmp_ne_u32_sdwa s4, v84, v83 src0_sel:BYTE_3 src1_sel:DWORD
	v_mov_b32_e32 v10, v8
	s_and_saveexec_b32 s17, s4
	s_cbranch_execz .LBB210_1843
; %bb.1838:                             ;   in Loop: Header=BB210_995 Depth=1
	v_mov_b32_e32 v11, v7
	v_bfe_u32 v86, v84, 24, 7
	s_mov_b32 s18, exec_lo
	v_mov_b32_e32 v10, v11
	v_mov_b32_e32 v11, v12
	v_cmpx_ne_u32_e32 0x7f, v86
	s_cbranch_execz .LBB210_1842
; %bb.1839:                             ;   in Loop: Header=BB210_995 Depth=1
	v_mov_b32_e32 v6, 7
	v_lshrrev_b32_e32 v8, 3, v86
	s_mov_b32 s19, exec_lo
	v_and_b32_sdwa v6, v84, v6 dst_sel:DWORD dst_unused:UNUSED_PAD src0_sel:BYTE_3 src1_sel:DWORD
	v_cmpx_gt_u32_e32 8, v86
; %bb.1840:                             ;   in Loop: Header=BB210_995 Depth=1
	v_ffbh_u32_e32 v8, v6
	v_min_u32_e32 v8, 32, v8
	v_subrev_nc_u32_e32 v10, 28, v8
	v_sub_nc_u32_e32 v8, 29, v8
	v_lshlrev_b64 v[10:11], v10, v[6:7]
	v_and_b32_e32 v6, 7, v10
; %bb.1841:                             ;   in Loop: Header=BB210_995 Depth=1
	s_or_b32 exec_lo, exec_lo, s19
	v_mov_b32_e32 v10, 24
	v_lshlrev_b32_e32 v6, 20, v6
	v_lshl_add_u32 v8, v8, 23, 0x3c000000
	v_lshlrev_b32_sdwa v10, v10, v84 dst_sel:DWORD dst_unused:UNUSED_PAD src0_sel:DWORD src1_sel:BYTE_3
	v_and_b32_e32 v10, 0x80000000, v10
	v_or3_b32 v11, v6, v10, v8
	v_mov_b32_e32 v10, v7
.LBB210_1842:                           ;   in Loop: Header=BB210_995 Depth=1
	s_or_b32 exec_lo, exec_lo, s18
.LBB210_1843:                           ;   in Loop: Header=BB210_995 Depth=1
	s_or_b32 exec_lo, exec_lo, s17
.LBB210_1844:                           ;   in Loop: Header=BB210_995 Depth=1
	s_or_b32 exec_lo, exec_lo, s15
	v_or_b32_e32 v6, v20, v18
	v_or_b32_e32 v8, v19, v17
	;; [unrolled: 1-line block ×4, first 2 shown]
	v_mul_f32_e32 v42, v100, v6
	v_mul_f32_e32 v41, v100, v8
	;; [unrolled: 1-line block ×4, first 2 shown]
	s_and_saveexec_b32 s15, vcc_lo
	s_cbranch_execz .LBB210_1846
; %bb.1845:                             ;   in Loop: Header=BB210_995 Depth=1
	buffer_load_dword v6, off, s[0:3], s32 offset:192 ; 4-byte Folded Reload
	s_waitcnt vmcnt(0)
	v_cmp_lt_i32_e64 s4, v113, v6
	v_cndmask_b32_e64 v41, 0, v41, s4
	v_cmp_lt_i32_e64 s4, v116, v6
	v_cndmask_b32_e64 v42, 0, v42, s4
	v_cmp_lt_i32_e64 s4, v115, v6
	v_cndmask_b32_e64 v40, 0, v40, s4
	v_cmp_lt_i32_e64 s4, v114, v6
	v_cndmask_b32_e64 v119, 0, v119, s4
.LBB210_1846:                           ;   in Loop: Header=BB210_995 Depth=1
	s_or_b32 exec_lo, exec_lo, s15
	flat_load_dword v84, v[0:1] offset:1152
	v_mov_b32_e32 v19, 0
	v_mov_b32_e32 v17, 0
	;; [unrolled: 1-line block ×4, first 2 shown]
	s_waitcnt vmcnt(0) lgkmcnt(0)
	v_cmp_ne_u16_sdwa s4, v84, v7 src0_sel:BYTE_0 src1_sel:DWORD
	s_and_saveexec_b32 s15, s4
	s_cbranch_execz .LBB210_1854
; %bb.1847:                             ;   in Loop: Header=BB210_995 Depth=1
	v_bfrev_b32_e32 v17, 1
	v_mov_b32_e32 v18, 0
	v_cmp_ne_u16_sdwa s4, v84, v83 src0_sel:BYTE_0 src1_sel:DWORD
	s_and_saveexec_b32 s17, s4
	s_cbranch_execz .LBB210_1853
; %bb.1848:                             ;   in Loop: Header=BB210_995 Depth=1
	v_mov_b32_e32 v17, 0x7f800001
	v_and_b32_e32 v10, 0x7f, v84
	v_mov_b32_e32 v18, 0
	s_mov_b32 s18, exec_lo
	v_cmpx_ne_u32_e32 0x7f, v10
	s_cbranch_execz .LBB210_1852
; %bb.1849:                             ;   in Loop: Header=BB210_995 Depth=1
	v_and_b32_e32 v6, 7, v84
	v_lshrrev_b32_e32 v8, 3, v10
	s_mov_b32 s19, exec_lo
	v_cmpx_gt_u32_e32 8, v10
; %bb.1850:                             ;   in Loop: Header=BB210_995 Depth=1
	v_ffbh_u32_e32 v8, v6
	v_min_u32_e32 v8, 32, v8
	v_subrev_nc_u32_e32 v10, 28, v8
	v_sub_nc_u32_e32 v8, 29, v8
	v_lshlrev_b64 v[10:11], v10, v[6:7]
	v_and_b32_e32 v6, 7, v10
; %bb.1851:                             ;   in Loop: Header=BB210_995 Depth=1
	s_or_b32 exec_lo, exec_lo, s19
	v_lshlrev_b32_e32 v10, 24, v84
	v_lshlrev_b32_e32 v6, 20, v6
	v_lshl_add_u32 v8, v8, 23, 0x3c000000
	v_and_b32_e32 v10, 0x80000000, v10
	v_or3_b32 v6, v6, v10, v8
	v_mov_b32_e32 v18, v7
	v_mov_b32_e32 v17, v6
.LBB210_1852:                           ;   in Loop: Header=BB210_995 Depth=1
	s_or_b32 exec_lo, exec_lo, s18
.LBB210_1853:                           ;   in Loop: Header=BB210_995 Depth=1
	s_or_b32 exec_lo, exec_lo, s17
.LBB210_1854:                           ;   in Loop: Header=BB210_995 Depth=1
	s_or_b32 exec_lo, exec_lo, s15
	v_cmp_ne_u16_sdwa s4, v84, v7 src0_sel:BYTE_1 src1_sel:DWORD
	s_and_saveexec_b32 s15, s4
	s_cbranch_execz .LBB210_1862
; %bb.1855:                             ;   in Loop: Header=BB210_995 Depth=1
	v_mov_b32_e32 v8, v7
	v_mov_b32_e32 v20, v9
	v_cmp_ne_u16_sdwa s4, v84, v83 src0_sel:BYTE_1 src1_sel:DWORD
	v_mov_b32_e32 v19, v8
	s_and_saveexec_b32 s17, s4
	s_cbranch_execz .LBB210_1861
; %bb.1856:                             ;   in Loop: Header=BB210_995 Depth=1
	v_mov_b32_e32 v6, 0xffff
	v_mov_b32_e32 v11, v7
	v_mov_b32_e32 v20, v12
	s_mov_b32 s18, exec_lo
	v_and_b32_sdwa v6, v6, v84 dst_sel:DWORD dst_unused:UNUSED_PAD src0_sel:DWORD src1_sel:BYTE_1
	v_mov_b32_e32 v19, v11
	v_and_b32_e32 v10, 0x7f, v6
	v_cmpx_ne_u32_e32 0x7f, v10
	s_cbranch_execz .LBB210_1860
; %bb.1857:                             ;   in Loop: Header=BB210_995 Depth=1
	v_and_b32_e32 v6, 7, v6
	v_lshrrev_b32_e32 v8, 3, v10
	s_mov_b32 s19, exec_lo
	v_cmpx_gt_u32_e32 8, v10
; %bb.1858:                             ;   in Loop: Header=BB210_995 Depth=1
	v_ffbh_u32_e32 v8, v6
	v_min_u32_e32 v8, 32, v8
	v_subrev_nc_u32_e32 v10, 28, v8
	v_sub_nc_u32_e32 v8, 29, v8
	v_lshlrev_b64 v[10:11], v10, v[6:7]
	v_and_b32_e32 v6, 7, v10
; %bb.1859:                             ;   in Loop: Header=BB210_995 Depth=1
	s_or_b32 exec_lo, exec_lo, s19
	v_lshlrev_b32_e32 v10, 16, v84
	v_lshlrev_b32_e32 v6, 20, v6
	v_lshl_add_u32 v8, v8, 23, 0x3c000000
	v_mov_b32_e32 v19, v7
	v_and_b32_e32 v10, 0x80000000, v10
	v_or3_b32 v20, v6, v10, v8
.LBB210_1860:                           ;   in Loop: Header=BB210_995 Depth=1
	s_or_b32 exec_lo, exec_lo, s18
.LBB210_1861:                           ;   in Loop: Header=BB210_995 Depth=1
	s_or_b32 exec_lo, exec_lo, s17
.LBB210_1862:                           ;   in Loop: Header=BB210_995 Depth=1
	s_or_b32 exec_lo, exec_lo, s15
	v_mov_b32_e32 v10, 0
	v_mov_b32_e32 v21, 0
	v_and_b32_sdwa v6, v84, v85 dst_sel:DWORD dst_unused:UNUSED_PAD src0_sel:WORD_1 src1_sel:DWORD
	v_mov_b32_e32 v11, 0
	v_mov_b32_e32 v22, 0
	s_mov_b32 s15, exec_lo
	v_cmpx_ne_u16_e32 0, v6
	s_cbranch_execz .LBB210_1870
; %bb.1863:                             ;   in Loop: Header=BB210_995 Depth=1
	v_bfrev_b32_e32 v21, 1
	v_mov_b32_e32 v22, 0
	s_mov_b32 s17, exec_lo
	v_cmpx_ne_u16_e32 0x80, v6
	s_cbranch_execz .LBB210_1869
; %bb.1864:                             ;   in Loop: Header=BB210_995 Depth=1
	v_mov_b32_e32 v21, 0x7f800001
	v_bfe_u32 v86, v84, 16, 7
	v_mov_b32_e32 v22, 0
	s_mov_b32 s18, exec_lo
	v_cmpx_ne_u32_e32 0x7f, v86
	s_cbranch_execz .LBB210_1868
; %bb.1865:                             ;   in Loop: Header=BB210_995 Depth=1
	v_mov_b32_e32 v6, 7
	v_lshrrev_b32_e32 v8, 3, v86
	s_mov_b32 s19, exec_lo
	v_and_b32_sdwa v6, v84, v6 dst_sel:DWORD dst_unused:UNUSED_PAD src0_sel:WORD_1 src1_sel:DWORD
	v_cmpx_gt_u32_e32 8, v86
; %bb.1866:                             ;   in Loop: Header=BB210_995 Depth=1
	v_ffbh_u32_e32 v8, v6
	v_min_u32_e32 v8, 32, v8
	v_subrev_nc_u32_e32 v13, 28, v8
	v_sub_nc_u32_e32 v8, 29, v8
	v_lshlrev_b64 v[21:22], v13, v[6:7]
	v_and_b32_e32 v6, 7, v21
; %bb.1867:                             ;   in Loop: Header=BB210_995 Depth=1
	s_or_b32 exec_lo, exec_lo, s19
	v_mov_b32_e32 v13, 24
	v_lshlrev_b32_e32 v6, 20, v6
	v_lshl_add_u32 v8, v8, 23, 0x3c000000
	v_lshlrev_b32_sdwa v13, v13, v84 dst_sel:DWORD dst_unused:UNUSED_PAD src0_sel:DWORD src1_sel:WORD_1
	v_and_b32_e32 v13, 0x80000000, v13
	v_or3_b32 v6, v6, v13, v8
	v_mov_b32_e32 v22, v7
	v_mov_b32_e32 v21, v6
.LBB210_1868:                           ;   in Loop: Header=BB210_995 Depth=1
	s_or_b32 exec_lo, exec_lo, s18
.LBB210_1869:                           ;   in Loop: Header=BB210_995 Depth=1
	s_or_b32 exec_lo, exec_lo, s17
.LBB210_1870:                           ;   in Loop: Header=BB210_995 Depth=1
	s_or_b32 exec_lo, exec_lo, s15
	s_mov_b32 s15, exec_lo
	v_cmpx_lt_u32_e32 0xffffff, v84
	s_cbranch_execz .LBB210_1878
; %bb.1871:                             ;   in Loop: Header=BB210_995 Depth=1
	v_mov_b32_e32 v8, v7
	v_mov_b32_e32 v11, v9
	v_cmp_ne_u32_sdwa s4, v84, v83 src0_sel:BYTE_3 src1_sel:DWORD
	v_mov_b32_e32 v10, v8
	s_and_saveexec_b32 s17, s4
	s_cbranch_execz .LBB210_1877
; %bb.1872:                             ;   in Loop: Header=BB210_995 Depth=1
	v_mov_b32_e32 v11, v7
	v_bfe_u32 v86, v84, 24, 7
	s_mov_b32 s18, exec_lo
	v_mov_b32_e32 v10, v11
	v_mov_b32_e32 v11, v12
	v_cmpx_ne_u32_e32 0x7f, v86
	s_cbranch_execz .LBB210_1876
; %bb.1873:                             ;   in Loop: Header=BB210_995 Depth=1
	v_mov_b32_e32 v6, 7
	v_lshrrev_b32_e32 v8, 3, v86
	s_mov_b32 s19, exec_lo
	v_and_b32_sdwa v6, v84, v6 dst_sel:DWORD dst_unused:UNUSED_PAD src0_sel:BYTE_3 src1_sel:DWORD
	v_cmpx_gt_u32_e32 8, v86
; %bb.1874:                             ;   in Loop: Header=BB210_995 Depth=1
	v_ffbh_u32_e32 v8, v6
	v_min_u32_e32 v8, 32, v8
	v_subrev_nc_u32_e32 v10, 28, v8
	v_sub_nc_u32_e32 v8, 29, v8
	v_lshlrev_b64 v[10:11], v10, v[6:7]
	v_and_b32_e32 v6, 7, v10
; %bb.1875:                             ;   in Loop: Header=BB210_995 Depth=1
	s_or_b32 exec_lo, exec_lo, s19
	v_mov_b32_e32 v10, 24
	v_lshlrev_b32_e32 v6, 20, v6
	v_lshl_add_u32 v8, v8, 23, 0x3c000000
	v_lshlrev_b32_sdwa v10, v10, v84 dst_sel:DWORD dst_unused:UNUSED_PAD src0_sel:DWORD src1_sel:BYTE_3
	v_and_b32_e32 v10, 0x80000000, v10
	v_or3_b32 v11, v6, v10, v8
	v_mov_b32_e32 v10, v7
.LBB210_1876:                           ;   in Loop: Header=BB210_995 Depth=1
	s_or_b32 exec_lo, exec_lo, s18
.LBB210_1877:                           ;   in Loop: Header=BB210_995 Depth=1
	s_or_b32 exec_lo, exec_lo, s17
.LBB210_1878:                           ;   in Loop: Header=BB210_995 Depth=1
	s_or_b32 exec_lo, exec_lo, s15
	v_or_b32_e32 v6, v20, v18
	v_or_b32_e32 v8, v19, v17
	;; [unrolled: 1-line block ×4, first 2 shown]
	v_mul_f32_e32 v46, v100, v6
	v_mul_f32_e32 v45, v100, v8
	;; [unrolled: 1-line block ×4, first 2 shown]
	s_and_saveexec_b32 s15, vcc_lo
	s_cbranch_execz .LBB210_1880
; %bb.1879:                             ;   in Loop: Header=BB210_995 Depth=1
	buffer_load_dword v6, off, s[0:3], s32 offset:192 ; 4-byte Folded Reload
	s_waitcnt vmcnt(0)
	v_cmp_lt_i32_e64 s4, v113, v6
	v_cndmask_b32_e64 v45, 0, v45, s4
	v_cmp_lt_i32_e64 s4, v116, v6
	v_cndmask_b32_e64 v46, 0, v46, s4
	;; [unrolled: 2-line block ×4, first 2 shown]
.LBB210_1880:                           ;   in Loop: Header=BB210_995 Depth=1
	s_or_b32 exec_lo, exec_lo, s15
	flat_load_dword v84, v[0:1] offset:1280
	v_mov_b32_e32 v19, 0
	v_mov_b32_e32 v17, 0
	;; [unrolled: 1-line block ×4, first 2 shown]
	s_waitcnt vmcnt(0) lgkmcnt(0)
	v_cmp_ne_u16_sdwa s4, v84, v7 src0_sel:BYTE_0 src1_sel:DWORD
	s_and_saveexec_b32 s15, s4
	s_cbranch_execz .LBB210_1888
; %bb.1881:                             ;   in Loop: Header=BB210_995 Depth=1
	v_bfrev_b32_e32 v17, 1
	v_mov_b32_e32 v18, 0
	v_cmp_ne_u16_sdwa s4, v84, v83 src0_sel:BYTE_0 src1_sel:DWORD
	s_and_saveexec_b32 s17, s4
	s_cbranch_execz .LBB210_1887
; %bb.1882:                             ;   in Loop: Header=BB210_995 Depth=1
	v_mov_b32_e32 v17, 0x7f800001
	v_and_b32_e32 v10, 0x7f, v84
	v_mov_b32_e32 v18, 0
	s_mov_b32 s18, exec_lo
	v_cmpx_ne_u32_e32 0x7f, v10
	s_cbranch_execz .LBB210_1886
; %bb.1883:                             ;   in Loop: Header=BB210_995 Depth=1
	v_and_b32_e32 v6, 7, v84
	v_lshrrev_b32_e32 v8, 3, v10
	s_mov_b32 s19, exec_lo
	v_cmpx_gt_u32_e32 8, v10
; %bb.1884:                             ;   in Loop: Header=BB210_995 Depth=1
	v_ffbh_u32_e32 v8, v6
	v_min_u32_e32 v8, 32, v8
	v_subrev_nc_u32_e32 v10, 28, v8
	v_sub_nc_u32_e32 v8, 29, v8
	v_lshlrev_b64 v[10:11], v10, v[6:7]
	v_and_b32_e32 v6, 7, v10
; %bb.1885:                             ;   in Loop: Header=BB210_995 Depth=1
	s_or_b32 exec_lo, exec_lo, s19
	v_lshlrev_b32_e32 v10, 24, v84
	v_lshlrev_b32_e32 v6, 20, v6
	v_lshl_add_u32 v8, v8, 23, 0x3c000000
	v_and_b32_e32 v10, 0x80000000, v10
	v_or3_b32 v6, v6, v10, v8
	v_mov_b32_e32 v18, v7
	v_mov_b32_e32 v17, v6
.LBB210_1886:                           ;   in Loop: Header=BB210_995 Depth=1
	s_or_b32 exec_lo, exec_lo, s18
.LBB210_1887:                           ;   in Loop: Header=BB210_995 Depth=1
	s_or_b32 exec_lo, exec_lo, s17
.LBB210_1888:                           ;   in Loop: Header=BB210_995 Depth=1
	s_or_b32 exec_lo, exec_lo, s15
	v_cmp_ne_u16_sdwa s4, v84, v7 src0_sel:BYTE_1 src1_sel:DWORD
	s_and_saveexec_b32 s15, s4
	s_cbranch_execz .LBB210_1896
; %bb.1889:                             ;   in Loop: Header=BB210_995 Depth=1
	v_mov_b32_e32 v8, v7
	v_mov_b32_e32 v20, v9
	v_cmp_ne_u16_sdwa s4, v84, v83 src0_sel:BYTE_1 src1_sel:DWORD
	v_mov_b32_e32 v19, v8
	s_and_saveexec_b32 s17, s4
	s_cbranch_execz .LBB210_1895
; %bb.1890:                             ;   in Loop: Header=BB210_995 Depth=1
	v_mov_b32_e32 v6, 0xffff
	v_mov_b32_e32 v11, v7
	v_mov_b32_e32 v20, v12
	s_mov_b32 s18, exec_lo
	v_and_b32_sdwa v6, v6, v84 dst_sel:DWORD dst_unused:UNUSED_PAD src0_sel:DWORD src1_sel:BYTE_1
	v_mov_b32_e32 v19, v11
	v_and_b32_e32 v10, 0x7f, v6
	v_cmpx_ne_u32_e32 0x7f, v10
	s_cbranch_execz .LBB210_1894
; %bb.1891:                             ;   in Loop: Header=BB210_995 Depth=1
	v_and_b32_e32 v6, 7, v6
	v_lshrrev_b32_e32 v8, 3, v10
	s_mov_b32 s19, exec_lo
	v_cmpx_gt_u32_e32 8, v10
; %bb.1892:                             ;   in Loop: Header=BB210_995 Depth=1
	v_ffbh_u32_e32 v8, v6
	v_min_u32_e32 v8, 32, v8
	v_subrev_nc_u32_e32 v10, 28, v8
	v_sub_nc_u32_e32 v8, 29, v8
	v_lshlrev_b64 v[10:11], v10, v[6:7]
	v_and_b32_e32 v6, 7, v10
; %bb.1893:                             ;   in Loop: Header=BB210_995 Depth=1
	s_or_b32 exec_lo, exec_lo, s19
	v_lshlrev_b32_e32 v10, 16, v84
	v_lshlrev_b32_e32 v6, 20, v6
	v_lshl_add_u32 v8, v8, 23, 0x3c000000
	v_mov_b32_e32 v19, v7
	v_and_b32_e32 v10, 0x80000000, v10
	v_or3_b32 v20, v6, v10, v8
.LBB210_1894:                           ;   in Loop: Header=BB210_995 Depth=1
	s_or_b32 exec_lo, exec_lo, s18
.LBB210_1895:                           ;   in Loop: Header=BB210_995 Depth=1
	s_or_b32 exec_lo, exec_lo, s17
.LBB210_1896:                           ;   in Loop: Header=BB210_995 Depth=1
	s_or_b32 exec_lo, exec_lo, s15
	v_mov_b32_e32 v10, 0
	v_mov_b32_e32 v21, 0
	v_and_b32_sdwa v6, v84, v85 dst_sel:DWORD dst_unused:UNUSED_PAD src0_sel:WORD_1 src1_sel:DWORD
	v_mov_b32_e32 v11, 0
	v_mov_b32_e32 v22, 0
	s_mov_b32 s15, exec_lo
	v_cmpx_ne_u16_e32 0, v6
	s_cbranch_execz .LBB210_1904
; %bb.1897:                             ;   in Loop: Header=BB210_995 Depth=1
	v_bfrev_b32_e32 v21, 1
	v_mov_b32_e32 v22, 0
	s_mov_b32 s17, exec_lo
	v_cmpx_ne_u16_e32 0x80, v6
	s_cbranch_execz .LBB210_1903
; %bb.1898:                             ;   in Loop: Header=BB210_995 Depth=1
	v_mov_b32_e32 v21, 0x7f800001
	v_bfe_u32 v86, v84, 16, 7
	v_mov_b32_e32 v22, 0
	s_mov_b32 s18, exec_lo
	v_cmpx_ne_u32_e32 0x7f, v86
	s_cbranch_execz .LBB210_1902
; %bb.1899:                             ;   in Loop: Header=BB210_995 Depth=1
	v_mov_b32_e32 v6, 7
	v_lshrrev_b32_e32 v8, 3, v86
	s_mov_b32 s19, exec_lo
	v_and_b32_sdwa v6, v84, v6 dst_sel:DWORD dst_unused:UNUSED_PAD src0_sel:WORD_1 src1_sel:DWORD
	v_cmpx_gt_u32_e32 8, v86
; %bb.1900:                             ;   in Loop: Header=BB210_995 Depth=1
	v_ffbh_u32_e32 v8, v6
	v_min_u32_e32 v8, 32, v8
	v_subrev_nc_u32_e32 v13, 28, v8
	v_sub_nc_u32_e32 v8, 29, v8
	v_lshlrev_b64 v[21:22], v13, v[6:7]
	v_and_b32_e32 v6, 7, v21
; %bb.1901:                             ;   in Loop: Header=BB210_995 Depth=1
	s_or_b32 exec_lo, exec_lo, s19
	v_mov_b32_e32 v13, 24
	v_lshlrev_b32_e32 v6, 20, v6
	v_lshl_add_u32 v8, v8, 23, 0x3c000000
	v_lshlrev_b32_sdwa v13, v13, v84 dst_sel:DWORD dst_unused:UNUSED_PAD src0_sel:DWORD src1_sel:WORD_1
	v_and_b32_e32 v13, 0x80000000, v13
	v_or3_b32 v6, v6, v13, v8
	v_mov_b32_e32 v22, v7
	v_mov_b32_e32 v21, v6
.LBB210_1902:                           ;   in Loop: Header=BB210_995 Depth=1
	s_or_b32 exec_lo, exec_lo, s18
.LBB210_1903:                           ;   in Loop: Header=BB210_995 Depth=1
	s_or_b32 exec_lo, exec_lo, s17
.LBB210_1904:                           ;   in Loop: Header=BB210_995 Depth=1
	s_or_b32 exec_lo, exec_lo, s15
	s_mov_b32 s15, exec_lo
	v_cmpx_lt_u32_e32 0xffffff, v84
	s_cbranch_execz .LBB210_1912
; %bb.1905:                             ;   in Loop: Header=BB210_995 Depth=1
	v_mov_b32_e32 v8, v7
	v_mov_b32_e32 v11, v9
	v_cmp_ne_u32_sdwa s4, v84, v83 src0_sel:BYTE_3 src1_sel:DWORD
	v_mov_b32_e32 v10, v8
	s_and_saveexec_b32 s17, s4
	s_cbranch_execz .LBB210_1911
; %bb.1906:                             ;   in Loop: Header=BB210_995 Depth=1
	v_mov_b32_e32 v11, v7
	v_bfe_u32 v86, v84, 24, 7
	s_mov_b32 s18, exec_lo
	v_mov_b32_e32 v10, v11
	v_mov_b32_e32 v11, v12
	v_cmpx_ne_u32_e32 0x7f, v86
	s_cbranch_execz .LBB210_1910
; %bb.1907:                             ;   in Loop: Header=BB210_995 Depth=1
	v_mov_b32_e32 v6, 7
	v_lshrrev_b32_e32 v8, 3, v86
	s_mov_b32 s19, exec_lo
	v_and_b32_sdwa v6, v84, v6 dst_sel:DWORD dst_unused:UNUSED_PAD src0_sel:BYTE_3 src1_sel:DWORD
	v_cmpx_gt_u32_e32 8, v86
; %bb.1908:                             ;   in Loop: Header=BB210_995 Depth=1
	v_ffbh_u32_e32 v8, v6
	v_min_u32_e32 v8, 32, v8
	v_subrev_nc_u32_e32 v10, 28, v8
	v_sub_nc_u32_e32 v8, 29, v8
	v_lshlrev_b64 v[10:11], v10, v[6:7]
	v_and_b32_e32 v6, 7, v10
; %bb.1909:                             ;   in Loop: Header=BB210_995 Depth=1
	s_or_b32 exec_lo, exec_lo, s19
	v_mov_b32_e32 v10, 24
	v_lshlrev_b32_e32 v6, 20, v6
	v_lshl_add_u32 v8, v8, 23, 0x3c000000
	v_lshlrev_b32_sdwa v10, v10, v84 dst_sel:DWORD dst_unused:UNUSED_PAD src0_sel:DWORD src1_sel:BYTE_3
	v_and_b32_e32 v10, 0x80000000, v10
	v_or3_b32 v11, v6, v10, v8
	v_mov_b32_e32 v10, v7
.LBB210_1910:                           ;   in Loop: Header=BB210_995 Depth=1
	s_or_b32 exec_lo, exec_lo, s18
.LBB210_1911:                           ;   in Loop: Header=BB210_995 Depth=1
	s_or_b32 exec_lo, exec_lo, s17
.LBB210_1912:                           ;   in Loop: Header=BB210_995 Depth=1
	s_or_b32 exec_lo, exec_lo, s15
	v_or_b32_e32 v6, v20, v18
	v_or_b32_e32 v8, v19, v17
	;; [unrolled: 1-line block ×4, first 2 shown]
	v_mul_f32_e32 v58, v100, v6
	v_mul_f32_e32 v57, v100, v8
	;; [unrolled: 1-line block ×4, first 2 shown]
	s_and_saveexec_b32 s15, vcc_lo
	s_cbranch_execz .LBB210_1914
; %bb.1913:                             ;   in Loop: Header=BB210_995 Depth=1
	buffer_load_dword v6, off, s[0:3], s32 offset:192 ; 4-byte Folded Reload
	s_waitcnt vmcnt(0)
	v_cmp_lt_i32_e64 s4, v113, v6
	v_cndmask_b32_e64 v57, 0, v57, s4
	v_cmp_lt_i32_e64 s4, v116, v6
	v_cndmask_b32_e64 v58, 0, v58, s4
	;; [unrolled: 2-line block ×4, first 2 shown]
.LBB210_1914:                           ;   in Loop: Header=BB210_995 Depth=1
	s_or_b32 exec_lo, exec_lo, s15
	flat_load_dword v84, v[0:1] offset:1408
	v_mov_b32_e32 v19, 0
	v_mov_b32_e32 v17, 0
	v_mov_b32_e32 v20, 0
	v_mov_b32_e32 v18, 0
	s_waitcnt vmcnt(0) lgkmcnt(0)
	v_cmp_ne_u16_sdwa s4, v84, v7 src0_sel:BYTE_0 src1_sel:DWORD
	s_and_saveexec_b32 s15, s4
	s_cbranch_execz .LBB210_1922
; %bb.1915:                             ;   in Loop: Header=BB210_995 Depth=1
	v_bfrev_b32_e32 v17, 1
	v_mov_b32_e32 v18, 0
	v_cmp_ne_u16_sdwa s4, v84, v83 src0_sel:BYTE_0 src1_sel:DWORD
	s_and_saveexec_b32 s17, s4
	s_cbranch_execz .LBB210_1921
; %bb.1916:                             ;   in Loop: Header=BB210_995 Depth=1
	v_mov_b32_e32 v17, 0x7f800001
	v_and_b32_e32 v10, 0x7f, v84
	v_mov_b32_e32 v18, 0
	s_mov_b32 s18, exec_lo
	v_cmpx_ne_u32_e32 0x7f, v10
	s_cbranch_execz .LBB210_1920
; %bb.1917:                             ;   in Loop: Header=BB210_995 Depth=1
	v_and_b32_e32 v6, 7, v84
	v_lshrrev_b32_e32 v8, 3, v10
	s_mov_b32 s19, exec_lo
	v_cmpx_gt_u32_e32 8, v10
; %bb.1918:                             ;   in Loop: Header=BB210_995 Depth=1
	v_ffbh_u32_e32 v8, v6
	v_min_u32_e32 v8, 32, v8
	v_subrev_nc_u32_e32 v10, 28, v8
	v_sub_nc_u32_e32 v8, 29, v8
	v_lshlrev_b64 v[10:11], v10, v[6:7]
	v_and_b32_e32 v6, 7, v10
; %bb.1919:                             ;   in Loop: Header=BB210_995 Depth=1
	s_or_b32 exec_lo, exec_lo, s19
	v_lshlrev_b32_e32 v10, 24, v84
	v_lshlrev_b32_e32 v6, 20, v6
	v_lshl_add_u32 v8, v8, 23, 0x3c000000
	v_and_b32_e32 v10, 0x80000000, v10
	v_or3_b32 v6, v6, v10, v8
	v_mov_b32_e32 v18, v7
	v_mov_b32_e32 v17, v6
.LBB210_1920:                           ;   in Loop: Header=BB210_995 Depth=1
	s_or_b32 exec_lo, exec_lo, s18
.LBB210_1921:                           ;   in Loop: Header=BB210_995 Depth=1
	s_or_b32 exec_lo, exec_lo, s17
.LBB210_1922:                           ;   in Loop: Header=BB210_995 Depth=1
	s_or_b32 exec_lo, exec_lo, s15
	v_cmp_ne_u16_sdwa s4, v84, v7 src0_sel:BYTE_1 src1_sel:DWORD
	s_and_saveexec_b32 s15, s4
	s_cbranch_execz .LBB210_1930
; %bb.1923:                             ;   in Loop: Header=BB210_995 Depth=1
	v_mov_b32_e32 v8, v7
	v_mov_b32_e32 v20, v9
	v_cmp_ne_u16_sdwa s4, v84, v83 src0_sel:BYTE_1 src1_sel:DWORD
	v_mov_b32_e32 v19, v8
	s_and_saveexec_b32 s17, s4
	s_cbranch_execz .LBB210_1929
; %bb.1924:                             ;   in Loop: Header=BB210_995 Depth=1
	v_mov_b32_e32 v6, 0xffff
	v_mov_b32_e32 v11, v7
	;; [unrolled: 1-line block ×3, first 2 shown]
	s_mov_b32 s18, exec_lo
	v_and_b32_sdwa v6, v6, v84 dst_sel:DWORD dst_unused:UNUSED_PAD src0_sel:DWORD src1_sel:BYTE_1
	v_mov_b32_e32 v19, v11
	v_and_b32_e32 v10, 0x7f, v6
	v_cmpx_ne_u32_e32 0x7f, v10
	s_cbranch_execz .LBB210_1928
; %bb.1925:                             ;   in Loop: Header=BB210_995 Depth=1
	v_and_b32_e32 v6, 7, v6
	v_lshrrev_b32_e32 v8, 3, v10
	s_mov_b32 s19, exec_lo
	v_cmpx_gt_u32_e32 8, v10
; %bb.1926:                             ;   in Loop: Header=BB210_995 Depth=1
	v_ffbh_u32_e32 v8, v6
	v_min_u32_e32 v8, 32, v8
	v_subrev_nc_u32_e32 v10, 28, v8
	v_sub_nc_u32_e32 v8, 29, v8
	v_lshlrev_b64 v[10:11], v10, v[6:7]
	v_and_b32_e32 v6, 7, v10
; %bb.1927:                             ;   in Loop: Header=BB210_995 Depth=1
	s_or_b32 exec_lo, exec_lo, s19
	v_lshlrev_b32_e32 v10, 16, v84
	v_lshlrev_b32_e32 v6, 20, v6
	v_lshl_add_u32 v8, v8, 23, 0x3c000000
	v_mov_b32_e32 v19, v7
	v_and_b32_e32 v10, 0x80000000, v10
	v_or3_b32 v20, v6, v10, v8
.LBB210_1928:                           ;   in Loop: Header=BB210_995 Depth=1
	s_or_b32 exec_lo, exec_lo, s18
.LBB210_1929:                           ;   in Loop: Header=BB210_995 Depth=1
	s_or_b32 exec_lo, exec_lo, s17
.LBB210_1930:                           ;   in Loop: Header=BB210_995 Depth=1
	s_or_b32 exec_lo, exec_lo, s15
	v_mov_b32_e32 v10, 0
	v_mov_b32_e32 v21, 0
	v_and_b32_sdwa v6, v84, v85 dst_sel:DWORD dst_unused:UNUSED_PAD src0_sel:WORD_1 src1_sel:DWORD
	v_mov_b32_e32 v11, 0
	v_mov_b32_e32 v22, 0
	s_mov_b32 s15, exec_lo
	v_cmpx_ne_u16_e32 0, v6
	s_cbranch_execz .LBB210_1938
; %bb.1931:                             ;   in Loop: Header=BB210_995 Depth=1
	v_bfrev_b32_e32 v21, 1
	v_mov_b32_e32 v22, 0
	s_mov_b32 s17, exec_lo
	v_cmpx_ne_u16_e32 0x80, v6
	s_cbranch_execz .LBB210_1937
; %bb.1932:                             ;   in Loop: Header=BB210_995 Depth=1
	v_mov_b32_e32 v21, 0x7f800001
	v_bfe_u32 v86, v84, 16, 7
	v_mov_b32_e32 v22, 0
	s_mov_b32 s18, exec_lo
	v_cmpx_ne_u32_e32 0x7f, v86
	s_cbranch_execz .LBB210_1936
; %bb.1933:                             ;   in Loop: Header=BB210_995 Depth=1
	v_mov_b32_e32 v6, 7
	v_lshrrev_b32_e32 v8, 3, v86
	s_mov_b32 s19, exec_lo
	v_and_b32_sdwa v6, v84, v6 dst_sel:DWORD dst_unused:UNUSED_PAD src0_sel:WORD_1 src1_sel:DWORD
	v_cmpx_gt_u32_e32 8, v86
; %bb.1934:                             ;   in Loop: Header=BB210_995 Depth=1
	v_ffbh_u32_e32 v8, v6
	v_min_u32_e32 v8, 32, v8
	v_subrev_nc_u32_e32 v13, 28, v8
	v_sub_nc_u32_e32 v8, 29, v8
	v_lshlrev_b64 v[21:22], v13, v[6:7]
	v_and_b32_e32 v6, 7, v21
; %bb.1935:                             ;   in Loop: Header=BB210_995 Depth=1
	s_or_b32 exec_lo, exec_lo, s19
	v_mov_b32_e32 v13, 24
	v_lshlrev_b32_e32 v6, 20, v6
	v_lshl_add_u32 v8, v8, 23, 0x3c000000
	v_lshlrev_b32_sdwa v13, v13, v84 dst_sel:DWORD dst_unused:UNUSED_PAD src0_sel:DWORD src1_sel:WORD_1
	v_and_b32_e32 v13, 0x80000000, v13
	v_or3_b32 v6, v6, v13, v8
	v_mov_b32_e32 v22, v7
	v_mov_b32_e32 v21, v6
.LBB210_1936:                           ;   in Loop: Header=BB210_995 Depth=1
	s_or_b32 exec_lo, exec_lo, s18
.LBB210_1937:                           ;   in Loop: Header=BB210_995 Depth=1
	s_or_b32 exec_lo, exec_lo, s17
.LBB210_1938:                           ;   in Loop: Header=BB210_995 Depth=1
	s_or_b32 exec_lo, exec_lo, s15
	s_mov_b32 s15, exec_lo
	v_cmpx_lt_u32_e32 0xffffff, v84
	s_cbranch_execz .LBB210_1946
; %bb.1939:                             ;   in Loop: Header=BB210_995 Depth=1
	v_mov_b32_e32 v8, v7
	v_mov_b32_e32 v11, v9
	v_cmp_ne_u32_sdwa s4, v84, v83 src0_sel:BYTE_3 src1_sel:DWORD
	v_mov_b32_e32 v10, v8
	s_and_saveexec_b32 s17, s4
	s_cbranch_execz .LBB210_1945
; %bb.1940:                             ;   in Loop: Header=BB210_995 Depth=1
	v_mov_b32_e32 v11, v7
	v_bfe_u32 v86, v84, 24, 7
	s_mov_b32 s18, exec_lo
	v_mov_b32_e32 v10, v11
	v_mov_b32_e32 v11, v12
	v_cmpx_ne_u32_e32 0x7f, v86
	s_cbranch_execz .LBB210_1944
; %bb.1941:                             ;   in Loop: Header=BB210_995 Depth=1
	v_mov_b32_e32 v6, 7
	v_lshrrev_b32_e32 v8, 3, v86
	s_mov_b32 s19, exec_lo
	v_and_b32_sdwa v6, v84, v6 dst_sel:DWORD dst_unused:UNUSED_PAD src0_sel:BYTE_3 src1_sel:DWORD
	v_cmpx_gt_u32_e32 8, v86
; %bb.1942:                             ;   in Loop: Header=BB210_995 Depth=1
	v_ffbh_u32_e32 v8, v6
	v_min_u32_e32 v8, 32, v8
	v_subrev_nc_u32_e32 v10, 28, v8
	v_sub_nc_u32_e32 v8, 29, v8
	v_lshlrev_b64 v[10:11], v10, v[6:7]
	v_and_b32_e32 v6, 7, v10
; %bb.1943:                             ;   in Loop: Header=BB210_995 Depth=1
	s_or_b32 exec_lo, exec_lo, s19
	v_mov_b32_e32 v10, 24
	v_lshlrev_b32_e32 v6, 20, v6
	v_lshl_add_u32 v8, v8, 23, 0x3c000000
	v_lshlrev_b32_sdwa v10, v10, v84 dst_sel:DWORD dst_unused:UNUSED_PAD src0_sel:DWORD src1_sel:BYTE_3
	v_and_b32_e32 v10, 0x80000000, v10
	v_or3_b32 v11, v6, v10, v8
	v_mov_b32_e32 v10, v7
.LBB210_1944:                           ;   in Loop: Header=BB210_995 Depth=1
	s_or_b32 exec_lo, exec_lo, s18
.LBB210_1945:                           ;   in Loop: Header=BB210_995 Depth=1
	s_or_b32 exec_lo, exec_lo, s17
.LBB210_1946:                           ;   in Loop: Header=BB210_995 Depth=1
	s_or_b32 exec_lo, exec_lo, s15
	v_or_b32_e32 v6, v20, v18
	v_or_b32_e32 v8, v19, v17
	;; [unrolled: 1-line block ×4, first 2 shown]
	v_mul_f32_e32 v86, v100, v6
	v_mul_f32_e32 v84, v100, v8
	;; [unrolled: 1-line block ×4, first 2 shown]
	s_and_saveexec_b32 s15, vcc_lo
	s_cbranch_execz .LBB210_1948
; %bb.1947:                             ;   in Loop: Header=BB210_995 Depth=1
	buffer_load_dword v6, off, s[0:3], s32 offset:192 ; 4-byte Folded Reload
	s_waitcnt vmcnt(0)
	v_cmp_lt_i32_e64 s4, v113, v6
	v_cndmask_b32_e64 v84, 0, v84, s4
	v_cmp_lt_i32_e64 s4, v116, v6
	v_cndmask_b32_e64 v86, 0, v86, s4
	;; [unrolled: 2-line block ×4, first 2 shown]
.LBB210_1948:                           ;   in Loop: Header=BB210_995 Depth=1
	s_or_b32 exec_lo, exec_lo, s15
	flat_load_dword v87, v[0:1] offset:1536
	v_mov_b32_e32 v19, 0
	v_mov_b32_e32 v17, 0
	;; [unrolled: 1-line block ×4, first 2 shown]
	s_waitcnt vmcnt(0) lgkmcnt(0)
	v_cmp_ne_u16_sdwa s4, v87, v7 src0_sel:BYTE_0 src1_sel:DWORD
	s_and_saveexec_b32 s15, s4
	s_cbranch_execz .LBB210_1956
; %bb.1949:                             ;   in Loop: Header=BB210_995 Depth=1
	v_bfrev_b32_e32 v17, 1
	v_mov_b32_e32 v18, 0
	v_cmp_ne_u16_sdwa s4, v87, v83 src0_sel:BYTE_0 src1_sel:DWORD
	s_and_saveexec_b32 s17, s4
	s_cbranch_execz .LBB210_1955
; %bb.1950:                             ;   in Loop: Header=BB210_995 Depth=1
	v_mov_b32_e32 v17, 0x7f800001
	v_and_b32_e32 v10, 0x7f, v87
	v_mov_b32_e32 v18, 0
	s_mov_b32 s18, exec_lo
	v_cmpx_ne_u32_e32 0x7f, v10
	s_cbranch_execz .LBB210_1954
; %bb.1951:                             ;   in Loop: Header=BB210_995 Depth=1
	v_and_b32_e32 v6, 7, v87
	v_lshrrev_b32_e32 v8, 3, v10
	s_mov_b32 s19, exec_lo
	v_cmpx_gt_u32_e32 8, v10
; %bb.1952:                             ;   in Loop: Header=BB210_995 Depth=1
	v_ffbh_u32_e32 v8, v6
	v_min_u32_e32 v8, 32, v8
	v_subrev_nc_u32_e32 v10, 28, v8
	v_sub_nc_u32_e32 v8, 29, v8
	v_lshlrev_b64 v[10:11], v10, v[6:7]
	v_and_b32_e32 v6, 7, v10
; %bb.1953:                             ;   in Loop: Header=BB210_995 Depth=1
	s_or_b32 exec_lo, exec_lo, s19
	v_lshlrev_b32_e32 v10, 24, v87
	v_lshlrev_b32_e32 v6, 20, v6
	v_lshl_add_u32 v8, v8, 23, 0x3c000000
	v_and_b32_e32 v10, 0x80000000, v10
	v_or3_b32 v6, v6, v10, v8
	v_mov_b32_e32 v18, v7
	v_mov_b32_e32 v17, v6
.LBB210_1954:                           ;   in Loop: Header=BB210_995 Depth=1
	s_or_b32 exec_lo, exec_lo, s18
.LBB210_1955:                           ;   in Loop: Header=BB210_995 Depth=1
	s_or_b32 exec_lo, exec_lo, s17
.LBB210_1956:                           ;   in Loop: Header=BB210_995 Depth=1
	s_or_b32 exec_lo, exec_lo, s15
	v_cmp_ne_u16_sdwa s4, v87, v7 src0_sel:BYTE_1 src1_sel:DWORD
	s_and_saveexec_b32 s15, s4
	s_cbranch_execz .LBB210_1964
; %bb.1957:                             ;   in Loop: Header=BB210_995 Depth=1
	v_mov_b32_e32 v8, v7
	v_mov_b32_e32 v20, v9
	v_cmp_ne_u16_sdwa s4, v87, v83 src0_sel:BYTE_1 src1_sel:DWORD
	v_mov_b32_e32 v19, v8
	s_and_saveexec_b32 s17, s4
	s_cbranch_execz .LBB210_1963
; %bb.1958:                             ;   in Loop: Header=BB210_995 Depth=1
	v_mov_b32_e32 v6, 0xffff
	v_mov_b32_e32 v11, v7
	;; [unrolled: 1-line block ×3, first 2 shown]
	s_mov_b32 s18, exec_lo
	v_and_b32_sdwa v6, v6, v87 dst_sel:DWORD dst_unused:UNUSED_PAD src0_sel:DWORD src1_sel:BYTE_1
	v_mov_b32_e32 v19, v11
	v_and_b32_e32 v10, 0x7f, v6
	v_cmpx_ne_u32_e32 0x7f, v10
	s_cbranch_execz .LBB210_1962
; %bb.1959:                             ;   in Loop: Header=BB210_995 Depth=1
	v_and_b32_e32 v6, 7, v6
	v_lshrrev_b32_e32 v8, 3, v10
	s_mov_b32 s19, exec_lo
	v_cmpx_gt_u32_e32 8, v10
; %bb.1960:                             ;   in Loop: Header=BB210_995 Depth=1
	v_ffbh_u32_e32 v8, v6
	v_min_u32_e32 v8, 32, v8
	v_subrev_nc_u32_e32 v10, 28, v8
	v_sub_nc_u32_e32 v8, 29, v8
	v_lshlrev_b64 v[10:11], v10, v[6:7]
	v_and_b32_e32 v6, 7, v10
; %bb.1961:                             ;   in Loop: Header=BB210_995 Depth=1
	s_or_b32 exec_lo, exec_lo, s19
	v_lshlrev_b32_e32 v10, 16, v87
	v_lshlrev_b32_e32 v6, 20, v6
	v_lshl_add_u32 v8, v8, 23, 0x3c000000
	v_mov_b32_e32 v19, v7
	v_and_b32_e32 v10, 0x80000000, v10
	v_or3_b32 v20, v6, v10, v8
.LBB210_1962:                           ;   in Loop: Header=BB210_995 Depth=1
	s_or_b32 exec_lo, exec_lo, s18
.LBB210_1963:                           ;   in Loop: Header=BB210_995 Depth=1
	s_or_b32 exec_lo, exec_lo, s17
.LBB210_1964:                           ;   in Loop: Header=BB210_995 Depth=1
	s_or_b32 exec_lo, exec_lo, s15
	v_mov_b32_e32 v10, 0
	v_mov_b32_e32 v21, 0
	v_and_b32_sdwa v6, v87, v85 dst_sel:DWORD dst_unused:UNUSED_PAD src0_sel:WORD_1 src1_sel:DWORD
	v_mov_b32_e32 v11, 0
	v_mov_b32_e32 v22, 0
	s_mov_b32 s15, exec_lo
	v_cmpx_ne_u16_e32 0, v6
	s_cbranch_execz .LBB210_1972
; %bb.1965:                             ;   in Loop: Header=BB210_995 Depth=1
	v_bfrev_b32_e32 v21, 1
	v_mov_b32_e32 v22, 0
	s_mov_b32 s17, exec_lo
	v_cmpx_ne_u16_e32 0x80, v6
	s_cbranch_execz .LBB210_1971
; %bb.1966:                             ;   in Loop: Header=BB210_995 Depth=1
	v_mov_b32_e32 v21, 0x7f800001
	v_bfe_u32 v61, v87, 16, 7
	v_mov_b32_e32 v22, 0
	s_mov_b32 s18, exec_lo
	v_cmpx_ne_u32_e32 0x7f, v61
	s_cbranch_execz .LBB210_1970
; %bb.1967:                             ;   in Loop: Header=BB210_995 Depth=1
	v_mov_b32_e32 v6, 7
	v_lshrrev_b32_e32 v8, 3, v61
	s_mov_b32 s19, exec_lo
	v_and_b32_sdwa v6, v87, v6 dst_sel:DWORD dst_unused:UNUSED_PAD src0_sel:WORD_1 src1_sel:DWORD
	v_cmpx_gt_u32_e32 8, v61
; %bb.1968:                             ;   in Loop: Header=BB210_995 Depth=1
	v_ffbh_u32_e32 v8, v6
	v_min_u32_e32 v8, 32, v8
	v_subrev_nc_u32_e32 v13, 28, v8
	v_sub_nc_u32_e32 v8, 29, v8
	v_lshlrev_b64 v[21:22], v13, v[6:7]
	v_and_b32_e32 v6, 7, v21
; %bb.1969:                             ;   in Loop: Header=BB210_995 Depth=1
	s_or_b32 exec_lo, exec_lo, s19
	v_mov_b32_e32 v13, 24
	v_lshlrev_b32_e32 v6, 20, v6
	v_lshl_add_u32 v8, v8, 23, 0x3c000000
	v_lshlrev_b32_sdwa v13, v13, v87 dst_sel:DWORD dst_unused:UNUSED_PAD src0_sel:DWORD src1_sel:WORD_1
	v_and_b32_e32 v13, 0x80000000, v13
	v_or3_b32 v6, v6, v13, v8
	v_mov_b32_e32 v22, v7
	v_mov_b32_e32 v21, v6
.LBB210_1970:                           ;   in Loop: Header=BB210_995 Depth=1
	s_or_b32 exec_lo, exec_lo, s18
.LBB210_1971:                           ;   in Loop: Header=BB210_995 Depth=1
	s_or_b32 exec_lo, exec_lo, s17
.LBB210_1972:                           ;   in Loop: Header=BB210_995 Depth=1
	s_or_b32 exec_lo, exec_lo, s15
	s_mov_b32 s15, exec_lo
	v_cmpx_lt_u32_e32 0xffffff, v87
	s_cbranch_execz .LBB210_1980
; %bb.1973:                             ;   in Loop: Header=BB210_995 Depth=1
	v_mov_b32_e32 v8, v7
	v_mov_b32_e32 v11, v9
	v_cmp_ne_u32_sdwa s4, v87, v83 src0_sel:BYTE_3 src1_sel:DWORD
	v_mov_b32_e32 v10, v8
	s_and_saveexec_b32 s17, s4
	s_cbranch_execz .LBB210_1979
; %bb.1974:                             ;   in Loop: Header=BB210_995 Depth=1
	v_mov_b32_e32 v11, v7
	v_bfe_u32 v61, v87, 24, 7
	s_mov_b32 s18, exec_lo
	v_mov_b32_e32 v10, v11
	v_mov_b32_e32 v11, v12
	v_cmpx_ne_u32_e32 0x7f, v61
	s_cbranch_execz .LBB210_1978
; %bb.1975:                             ;   in Loop: Header=BB210_995 Depth=1
	v_mov_b32_e32 v6, 7
	v_lshrrev_b32_e32 v8, 3, v61
	s_mov_b32 s19, exec_lo
	v_and_b32_sdwa v6, v87, v6 dst_sel:DWORD dst_unused:UNUSED_PAD src0_sel:BYTE_3 src1_sel:DWORD
	v_cmpx_gt_u32_e32 8, v61
; %bb.1976:                             ;   in Loop: Header=BB210_995 Depth=1
	v_ffbh_u32_e32 v8, v6
	v_min_u32_e32 v8, 32, v8
	v_subrev_nc_u32_e32 v10, 28, v8
	v_sub_nc_u32_e32 v8, 29, v8
	v_lshlrev_b64 v[10:11], v10, v[6:7]
	v_and_b32_e32 v6, 7, v10
; %bb.1977:                             ;   in Loop: Header=BB210_995 Depth=1
	s_or_b32 exec_lo, exec_lo, s19
	v_mov_b32_e32 v10, 24
	v_lshlrev_b32_e32 v6, 20, v6
	v_lshl_add_u32 v8, v8, 23, 0x3c000000
	v_lshlrev_b32_sdwa v10, v10, v87 dst_sel:DWORD dst_unused:UNUSED_PAD src0_sel:DWORD src1_sel:BYTE_3
	v_and_b32_e32 v10, 0x80000000, v10
	v_or3_b32 v11, v6, v10, v8
	v_mov_b32_e32 v10, v7
.LBB210_1978:                           ;   in Loop: Header=BB210_995 Depth=1
	s_or_b32 exec_lo, exec_lo, s18
.LBB210_1979:                           ;   in Loop: Header=BB210_995 Depth=1
	s_or_b32 exec_lo, exec_lo, s17
.LBB210_1980:                           ;   in Loop: Header=BB210_995 Depth=1
	s_or_b32 exec_lo, exec_lo, s15
	v_or_b32_e32 v6, v20, v18
	v_or_b32_e32 v8, v19, v17
	;; [unrolled: 1-line block ×4, first 2 shown]
	v_mul_f32_e32 v61, v100, v6
	v_mul_f32_e32 v87, v100, v8
	;; [unrolled: 1-line block ×4, first 2 shown]
	s_and_saveexec_b32 s15, vcc_lo
	s_cbranch_execz .LBB210_1982
; %bb.1981:                             ;   in Loop: Header=BB210_995 Depth=1
	buffer_load_dword v6, off, s[0:3], s32 offset:192 ; 4-byte Folded Reload
	s_waitcnt vmcnt(0)
	v_cmp_lt_i32_e64 s4, v113, v6
	v_cndmask_b32_e64 v87, 0, v87, s4
	v_cmp_lt_i32_e64 s4, v116, v6
	v_cndmask_b32_e64 v61, 0, v61, s4
	;; [unrolled: 2-line block ×4, first 2 shown]
.LBB210_1982:                           ;   in Loop: Header=BB210_995 Depth=1
	s_or_b32 exec_lo, exec_lo, s15
	flat_load_dword v62, v[0:1] offset:1664
	v_mov_b32_e32 v17, 0
	v_mov_b32_e32 v0, 0
	;; [unrolled: 1-line block ×4, first 2 shown]
	s_waitcnt vmcnt(0) lgkmcnt(0)
	v_cmp_ne_u16_sdwa s4, v62, v7 src0_sel:BYTE_0 src1_sel:DWORD
	s_and_saveexec_b32 s15, s4
	s_cbranch_execz .LBB210_1990
; %bb.1983:                             ;   in Loop: Header=BB210_995 Depth=1
	v_bfrev_b32_e32 v0, 1
	v_mov_b32_e32 v1, 0
	v_cmp_ne_u16_sdwa s4, v62, v83 src0_sel:BYTE_0 src1_sel:DWORD
	s_and_saveexec_b32 s17, s4
	s_cbranch_execz .LBB210_1989
; %bb.1984:                             ;   in Loop: Header=BB210_995 Depth=1
	v_mov_b32_e32 v0, 0x7f800001
	v_and_b32_e32 v8, 0x7f, v62
	v_mov_b32_e32 v1, 0
	s_mov_b32 s18, exec_lo
	v_cmpx_ne_u32_e32 0x7f, v8
	s_cbranch_execz .LBB210_1988
; %bb.1985:                             ;   in Loop: Header=BB210_995 Depth=1
	v_and_b32_e32 v6, 7, v62
	v_lshrrev_b32_e32 v0, 3, v8
	s_mov_b32 s19, exec_lo
	v_cmpx_gt_u32_e32 8, v8
; %bb.1986:                             ;   in Loop: Header=BB210_995 Depth=1
	v_ffbh_u32_e32 v0, v6
	v_min_u32_e32 v0, 32, v0
	v_subrev_nc_u32_e32 v1, 28, v0
	v_sub_nc_u32_e32 v0, 29, v0
	v_lshlrev_b64 v[10:11], v1, v[6:7]
	v_and_b32_e32 v6, 7, v10
; %bb.1987:                             ;   in Loop: Header=BB210_995 Depth=1
	s_or_b32 exec_lo, exec_lo, s19
	v_lshlrev_b32_e32 v1, 24, v62
	v_lshlrev_b32_e32 v6, 20, v6
	v_lshl_add_u32 v0, v0, 23, 0x3c000000
	v_and_b32_e32 v1, 0x80000000, v1
	v_or3_b32 v6, v6, v1, v0
	v_mov_b32_e32 v0, v6
	v_mov_b32_e32 v1, v7
.LBB210_1988:                           ;   in Loop: Header=BB210_995 Depth=1
	s_or_b32 exec_lo, exec_lo, s18
.LBB210_1989:                           ;   in Loop: Header=BB210_995 Depth=1
	s_or_b32 exec_lo, exec_lo, s17
.LBB210_1990:                           ;   in Loop: Header=BB210_995 Depth=1
	s_or_b32 exec_lo, exec_lo, s15
	v_cmp_ne_u16_sdwa s4, v62, v7 src0_sel:BYTE_1 src1_sel:DWORD
	s_and_saveexec_b32 s15, s4
	s_cbranch_execz .LBB210_1998
; %bb.1991:                             ;   in Loop: Header=BB210_995 Depth=1
	v_mov_b32_e32 v8, v7
	v_mov_b32_e32 v18, v9
	v_cmp_ne_u16_sdwa s4, v62, v83 src0_sel:BYTE_1 src1_sel:DWORD
	v_mov_b32_e32 v17, v8
	s_and_saveexec_b32 s17, s4
	s_cbranch_execz .LBB210_1997
; %bb.1992:                             ;   in Loop: Header=BB210_995 Depth=1
	v_mov_b32_e32 v6, 0xffff
	v_mov_b32_e32 v11, v7
	;; [unrolled: 1-line block ×3, first 2 shown]
	s_mov_b32 s18, exec_lo
	v_and_b32_sdwa v6, v6, v62 dst_sel:DWORD dst_unused:UNUSED_PAD src0_sel:DWORD src1_sel:BYTE_1
	v_mov_b32_e32 v17, v11
	v_and_b32_e32 v10, 0x7f, v6
	v_cmpx_ne_u32_e32 0x7f, v10
	s_cbranch_execz .LBB210_1996
; %bb.1993:                             ;   in Loop: Header=BB210_995 Depth=1
	v_and_b32_e32 v6, 7, v6
	v_lshrrev_b32_e32 v8, 3, v10
	s_mov_b32 s19, exec_lo
	v_cmpx_gt_u32_e32 8, v10
; %bb.1994:                             ;   in Loop: Header=BB210_995 Depth=1
	v_ffbh_u32_e32 v8, v6
	v_min_u32_e32 v8, 32, v8
	v_subrev_nc_u32_e32 v10, 28, v8
	v_sub_nc_u32_e32 v8, 29, v8
	v_lshlrev_b64 v[10:11], v10, v[6:7]
	v_and_b32_e32 v6, 7, v10
; %bb.1995:                             ;   in Loop: Header=BB210_995 Depth=1
	s_or_b32 exec_lo, exec_lo, s19
	v_lshlrev_b32_e32 v10, 16, v62
	v_lshlrev_b32_e32 v6, 20, v6
	v_lshl_add_u32 v8, v8, 23, 0x3c000000
	v_mov_b32_e32 v17, v7
	v_and_b32_e32 v10, 0x80000000, v10
	v_or3_b32 v18, v6, v10, v8
.LBB210_1996:                           ;   in Loop: Header=BB210_995 Depth=1
	s_or_b32 exec_lo, exec_lo, s18
.LBB210_1997:                           ;   in Loop: Header=BB210_995 Depth=1
	s_or_b32 exec_lo, exec_lo, s17
.LBB210_1998:                           ;   in Loop: Header=BB210_995 Depth=1
	s_or_b32 exec_lo, exec_lo, s15
	v_mov_b32_e32 v10, 0
	v_mov_b32_e32 v19, 0
	v_and_b32_sdwa v6, v62, v85 dst_sel:DWORD dst_unused:UNUSED_PAD src0_sel:WORD_1 src1_sel:DWORD
	v_mov_b32_e32 v11, 0
	v_mov_b32_e32 v20, 0
	s_mov_b32 s15, exec_lo
	v_cmpx_ne_u16_e32 0, v6
	s_cbranch_execz .LBB210_2006
; %bb.1999:                             ;   in Loop: Header=BB210_995 Depth=1
	v_bfrev_b32_e32 v19, 1
	v_mov_b32_e32 v20, 0
	s_mov_b32 s17, exec_lo
	v_cmpx_ne_u16_e32 0x80, v6
	s_cbranch_execz .LBB210_2005
; %bb.2000:                             ;   in Loop: Header=BB210_995 Depth=1
	v_mov_b32_e32 v19, 0x7f800001
	v_mov_b32_e32 v26, v63
	v_bfe_u32 v63, v62, 16, 7
	v_mov_b32_e32 v20, 0
	s_mov_b32 s18, exec_lo
	v_cmpx_ne_u32_e32 0x7f, v63
	s_cbranch_execz .LBB210_2004
; %bb.2001:                             ;   in Loop: Header=BB210_995 Depth=1
	v_mov_b32_e32 v6, 7
	v_lshrrev_b32_e32 v8, 3, v63
	s_mov_b32 s19, exec_lo
	v_and_b32_sdwa v6, v62, v6 dst_sel:DWORD dst_unused:UNUSED_PAD src0_sel:WORD_1 src1_sel:DWORD
	v_cmpx_gt_u32_e32 8, v63
; %bb.2002:                             ;   in Loop: Header=BB210_995 Depth=1
	v_ffbh_u32_e32 v8, v6
	v_min_u32_e32 v8, 32, v8
	v_subrev_nc_u32_e32 v13, 28, v8
	v_sub_nc_u32_e32 v8, 29, v8
	v_lshlrev_b64 v[19:20], v13, v[6:7]
	v_and_b32_e32 v6, 7, v19
; %bb.2003:                             ;   in Loop: Header=BB210_995 Depth=1
	s_or_b32 exec_lo, exec_lo, s19
	v_mov_b32_e32 v13, 24
	v_lshlrev_b32_e32 v6, 20, v6
	v_lshl_add_u32 v8, v8, 23, 0x3c000000
	v_lshlrev_b32_sdwa v13, v13, v62 dst_sel:DWORD dst_unused:UNUSED_PAD src0_sel:DWORD src1_sel:WORD_1
	v_and_b32_e32 v13, 0x80000000, v13
	v_or3_b32 v6, v6, v13, v8
	v_mov_b32_e32 v20, v7
	v_mov_b32_e32 v19, v6
.LBB210_2004:                           ;   in Loop: Header=BB210_995 Depth=1
	s_or_b32 exec_lo, exec_lo, s18
	v_mov_b32_e32 v63, v26
.LBB210_2005:                           ;   in Loop: Header=BB210_995 Depth=1
	s_or_b32 exec_lo, exec_lo, s17
.LBB210_2006:                           ;   in Loop: Header=BB210_995 Depth=1
	s_or_b32 exec_lo, exec_lo, s15
	s_mov_b32 s15, exec_lo
	v_cmpx_lt_u32_e32 0xffffff, v62
	s_cbranch_execz .LBB210_2014
; %bb.2007:                             ;   in Loop: Header=BB210_995 Depth=1
	v_mov_b32_e32 v8, v7
	v_mov_b32_e32 v11, v9
	v_cmp_ne_u32_sdwa s4, v62, v83 src0_sel:BYTE_3 src1_sel:DWORD
	v_mov_b32_e32 v10, v8
	s_and_saveexec_b32 s17, s4
	s_cbranch_execz .LBB210_2013
; %bb.2008:                             ;   in Loop: Header=BB210_995 Depth=1
	v_mov_b32_e32 v11, v7
	v_mov_b32_e32 v13, v63
	v_bfe_u32 v63, v62, 24, 7
	s_mov_b32 s18, exec_lo
	v_mov_b32_e32 v10, v11
	v_mov_b32_e32 v11, v12
	v_cmpx_ne_u32_e32 0x7f, v63
	s_cbranch_execz .LBB210_2012
; %bb.2009:                             ;   in Loop: Header=BB210_995 Depth=1
	v_mov_b32_e32 v6, 7
	v_lshrrev_b32_e32 v8, 3, v63
	s_mov_b32 s19, exec_lo
	v_and_b32_sdwa v6, v62, v6 dst_sel:DWORD dst_unused:UNUSED_PAD src0_sel:BYTE_3 src1_sel:DWORD
	v_cmpx_gt_u32_e32 8, v63
; %bb.2010:                             ;   in Loop: Header=BB210_995 Depth=1
	v_ffbh_u32_e32 v8, v6
	v_min_u32_e32 v8, 32, v8
	v_subrev_nc_u32_e32 v10, 28, v8
	v_sub_nc_u32_e32 v8, 29, v8
	v_lshlrev_b64 v[10:11], v10, v[6:7]
	v_and_b32_e32 v6, 7, v10
; %bb.2011:                             ;   in Loop: Header=BB210_995 Depth=1
	s_or_b32 exec_lo, exec_lo, s19
	v_mov_b32_e32 v10, 24
	v_lshlrev_b32_e32 v6, 20, v6
	v_lshl_add_u32 v8, v8, 23, 0x3c000000
	v_lshlrev_b32_sdwa v10, v10, v62 dst_sel:DWORD dst_unused:UNUSED_PAD src0_sel:DWORD src1_sel:BYTE_3
	v_and_b32_e32 v10, 0x80000000, v10
	v_or3_b32 v11, v6, v10, v8
	v_mov_b32_e32 v10, v7
.LBB210_2012:                           ;   in Loop: Header=BB210_995 Depth=1
	s_or_b32 exec_lo, exec_lo, s18
	v_mov_b32_e32 v63, v13
.LBB210_2013:                           ;   in Loop: Header=BB210_995 Depth=1
	s_or_b32 exec_lo, exec_lo, s17
.LBB210_2014:                           ;   in Loop: Header=BB210_995 Depth=1
	s_or_b32 exec_lo, exec_lo, s15
	v_or_b32_e32 v1, v18, v1
	v_or_b32_e32 v0, v17, v0
	;; [unrolled: 1-line block ×4, first 2 shown]
	v_mul_f32_e32 v8, v100, v1
	v_mul_f32_e32 v6, v100, v0
	;; [unrolled: 1-line block ×4, first 2 shown]
	s_and_saveexec_b32 s4, vcc_lo
	s_cbranch_execz .LBB210_993
; %bb.2015:                             ;   in Loop: Header=BB210_995 Depth=1
	buffer_load_dword v10, off, s[0:3], s32 offset:192 ; 4-byte Folded Reload
	s_waitcnt vmcnt(0)
	v_cmp_lt_i32_e32 vcc_lo, v113, v10
	v_cndmask_b32_e32 v6, 0, v6, vcc_lo
	v_cmp_lt_i32_e32 vcc_lo, v116, v10
	v_cndmask_b32_e32 v8, 0, v8, vcc_lo
	;; [unrolled: 2-line block ×4, first 2 shown]
	s_branch .LBB210_993
.LBB210_2016:
	s_or_b32 exec_lo, exec_lo, s6
	s_clause 0x1a
	buffer_load_dword v67, off, s[0:3], s32 offset:668
	buffer_load_dword v66, off, s[0:3], s32 offset:676
	;; [unrolled: 1-line block ×27, first 2 shown]
.LBB210_2017:
	s_or_b32 exec_lo, exec_lo, s5
	s_waitcnt vmcnt(0)
	ds_bpermute_b32 v1, v66, v29
	ds_bpermute_b32 v0, v66, v28
	;; [unrolled: 1-line block ×8, first 2 shown]
	v_mov_b32_e32 v24, v5
	ds_bpermute_b32 v5, v66, v21
	ds_bpermute_b32 v2, v66, v27
	;; [unrolled: 1-line block ×9, first 2 shown]
	s_waitcnt lgkmcnt(0)
	s_waitcnt_vscnt null, 0x0
	s_barrier
	v_add_f32_e32 v1, v29, v1
	v_add_f32_e32 v0, v28, v0
	;; [unrolled: 1-line block ×5, first 2 shown]
	ds_bpermute_b32 v17, v25, v1
	ds_bpermute_b32 v16, v25, v0
	v_add_f32_e32 v6, v18, v6
	v_add_f32_e32 v7, v20, v7
	;; [unrolled: 1-line block ×3, first 2 shown]
	ds_bpermute_b32 v20, v25, v4
	v_mov_b32_e32 v29, v23
	ds_bpermute_b32 v22, v25, v6
	ds_bpermute_b32 v23, v25, v7
	v_add_f32_e32 v2, v27, v2
	ds_bpermute_b32 v21, v25, v5
	ds_bpermute_b32 v27, v25, v9
	v_add_f32_e32 v3, v24, v3
	ds_bpermute_b32 v24, v25, v8
	v_mov_b32_e32 v28, v19
	v_add_f32_e32 v12, v30, v12
	v_add_f32_e32 v10, v32, v10
	v_add_f32_e32 v11, v31, v11
	ds_bpermute_b32 v32, v66, v64
	v_add_f32_e32 v15, v28, v15
	s_waitcnt lgkmcnt(8)
	v_add_f32_e32 v1, v1, v17
	s_waitcnt lgkmcnt(7)
	v_add_f32_e32 v0, v0, v16
	ds_bpermute_b32 v28, v25, v12
	ds_bpermute_b32 v19, v25, v3
	v_add_f32_e32 v13, v29, v13
	ds_bpermute_b32 v17, v14, v1
	ds_bpermute_b32 v16, v14, v0
	s_waitcnt lgkmcnt(10)
	v_add_f32_e32 v4, v4, v20
	s_waitcnt lgkmcnt(9)
	v_add_f32_e32 v6, v6, v22
	s_waitcnt lgkmcnt(8)
	v_add_f32_e32 v7, v7, v23
	s_waitcnt lgkmcnt(7)
	v_add_f32_e32 v5, v5, v21
	s_waitcnt lgkmcnt(6)
	v_add_f32_e32 v9, v9, v27
	ds_bpermute_b32 v20, v14, v4
	ds_bpermute_b32 v22, v14, v6
	;; [unrolled: 1-line block ×3, first 2 shown]
	s_waitcnt lgkmcnt(8)
	v_add_f32_e32 v8, v8, v24
	ds_bpermute_b32 v21, v14, v5
	ds_bpermute_b32 v27, v25, v11
	;; [unrolled: 1-line block ×8, first 2 shown]
	s_waitcnt lgkmcnt(14)
	v_add_f32_e32 v12, v12, v28
	s_waitcnt lgkmcnt(12)
	v_add_f32_e32 v1, v1, v17
	ds_bpermute_b32 v17, v66, v36
	s_waitcnt lgkmcnt(12)
	v_add_f32_e32 v0, v0, v16
	ds_bpermute_b32 v16, v66, v37
	ds_bpermute_b32 v18, v25, v2
	v_add_f32_e32 v3, v3, v19
	v_add_f32_e32 v26, v63, v26
	s_waitcnt lgkmcnt(13)
	v_add_f32_e32 v4, v4, v20
	s_waitcnt lgkmcnt(12)
	;; [unrolled: 2-line block ×3, first 2 shown]
	v_add_f32_e32 v7, v7, v23
	ds_bpermute_b32 v20, v14, v12
	v_add_f32_e32 v22, v64, v32
	v_add_f32_e32 v23, v38, v33
	s_waitcnt lgkmcnt(11)
	v_add_f32_e32 v5, v5, v21
	s_waitcnt lgkmcnt(10)
	;; [unrolled: 2-line block ×4, first 2 shown]
	v_add_f32_e32 v21, v65, v31
	ds_bpermute_b32 v27, v25, v22
	ds_bpermute_b32 v28, v25, v23
	ds_bpermute_b32 v32, v66, v54
	ds_bpermute_b32 v33, v66, v53
	s_waitcnt lgkmcnt(7)
	v_add_f32_e32 v17, v36, v17
	ds_bpermute_b32 v19, v14, v3
	s_waitcnt lgkmcnt(7)
	v_add_f32_e32 v16, v37, v16
	v_add_f32_e32 v10, v10, v24
	;; [unrolled: 1-line block ×3, first 2 shown]
	ds_bpermute_b32 v30, v25, v17
	v_add_f32_e32 v13, v13, v34
	v_add_f32_e32 v15, v15, v35
	ds_bpermute_b32 v24, v25, v21
	ds_bpermute_b32 v29, v25, v16
	;; [unrolled: 1-line block ×5, first 2 shown]
	s_waitcnt lgkmcnt(11)
	v_add_f32_e32 v12, v12, v20
	ds_bpermute_b32 v20, v66, v50
	ds_bpermute_b32 v36, v66, v49
	;; [unrolled: 1-line block ×4, first 2 shown]
	v_add_f32_e32 v2, v2, v18
	s_waitcnt lgkmcnt(14)
	v_add_f32_e32 v22, v22, v27
	s_waitcnt lgkmcnt(13)
	;; [unrolled: 2-line block ×4, first 2 shown]
	v_add_f32_e32 v3, v3, v19
	ds_bpermute_b32 v18, v14, v2
	ds_bpermute_b32 v19, v14, v11
	s_waitcnt lgkmcnt(11)
	v_add_f32_e32 v27, v17, v30
	v_add_f32_e32 v17, v54, v32
	ds_bpermute_b32 v33, v25, v28
	s_waitcnt lgkmcnt(11)
	v_add_f32_e32 v21, v21, v24
	s_waitcnt lgkmcnt(10)
	v_add_f32_e32 v24, v16, v29
	;; [unrolled: 2-line block ×4, first 2 shown]
	ds_bpermute_b32 v32, v25, v17
	s_waitcnt lgkmcnt(8)
	v_add_f32_e32 v16, v55, v31
	s_waitcnt lgkmcnt(7)
	v_add_f32_e32 v20, v50, v20
	ds_bpermute_b32 v34, v25, v29
	ds_bpermute_b32 v35, v25, v30
	s_waitcnt lgkmcnt(8)
	v_add_f32_e32 v36, v49, v36
	s_waitcnt lgkmcnt(7)
	v_add_f32_e32 v37, v48, v37
	;; [unrolled: 2-line block ×3, first 2 shown]
	ds_bpermute_b32 v31, v25, v16
	ds_bpermute_b32 v39, v25, v20
	;; [unrolled: 1-line block ×6, first 2 shown]
	s_waitcnt lgkmcnt(11)
	v_add_f32_e32 v2, v2, v18
	ds_bpermute_b32 v18, v14, v10
	s_waitcnt lgkmcnt(11)
	v_add_f32_e32 v11, v11, v19
	ds_bpermute_b32 v19, v14, v15
	ds_bpermute_b32 v55, v14, v27
	s_waitcnt lgkmcnt(12)
	v_add_f32_e32 v28, v28, v33
	s_waitcnt lgkmcnt(11)
	v_add_f32_e32 v32, v17, v32
	ds_bpermute_b32 v51, v14, v21
	ds_bpermute_b32 v52, v14, v22
	s_waitcnt lgkmcnt(12)
	v_add_f32_e32 v29, v29, v34
	s_waitcnt lgkmcnt(11)
	v_add_f32_e32 v30, v30, v35
	ds_bpermute_b32 v34, v14, v32
	ds_bpermute_b32 v35, v14, v28
	;; [unrolled: 1-line block ×3, first 2 shown]
	s_waitcnt lgkmcnt(13)
	v_add_f32_e32 v31, v16, v31
	s_waitcnt lgkmcnt(12)
	v_add_f32_e32 v39, v20, v39
	;; [unrolled: 2-line block ×6, first 2 shown]
	ds_bpermute_b32 v54, v14, v24
	s_waitcnt lgkmcnt(8)
	v_add_f32_e32 v10, v10, v18
	ds_bpermute_b32 v18, v14, v13
	ds_bpermute_b32 v33, v14, v31
	;; [unrolled: 1-line block ×9, first 2 shown]
	s_waitcnt lgkmcnt(0)
	buffer_gl0_inv
	v_add_f32_e32 v14, v15, v19
	v_add_f32_e32 v19, v27, v55
	buffer_load_dword v27, off, s[0:3], s32 offset:800 ; 4-byte Folded Reload
	v_add_f32_e32 v15, v21, v51
	v_add_f32_e32 v16, v22, v52
	v_add_f32_e32 v21, v32, v34
	v_add_f32_e32 v22, v28, v35
	s_clause 0x1
	buffer_load_dword v28, off, s[0:3], s32 offset:804
	buffer_load_dword v32, off, s[0:3], s32 offset:1324
	s_load_dword s4, s[8:9], 0x0
	v_add_f32_e32 v13, v13, v18
	v_add_f32_e32 v18, v24, v54
	;; [unrolled: 1-line block ×9, first 2 shown]
	s_mov_b32 s5, exec_lo
	s_waitcnt vmcnt(2)
	v_lshrrev_b32_e32 v30, 3, v27
	v_add_f32_e32 v27, v37, v49
	s_waitcnt vmcnt(1)
	v_and_b32_e32 v33, 0x3c7, v28
	v_add_f32_e32 v28, v38, v50
	s_waitcnt lgkmcnt(0)
	v_lshl_add_u32 v31, v30, 2, s4
	s_waitcnt vmcnt(0)
	v_mul_u32_u24_e32 v32, 0x1e0, v32
	v_cmpx_eq_u32_e32 64, v33
	s_cbranch_execz .LBB210_2019
; %bb.2018:
	v_add_nc_u32_e32 v33, v31, v32
	v_add_nc_u32_e32 v34, 0xfffffc40, v33
	;; [unrolled: 1-line block ×6, first 2 shown]
	ds_write_b32 v34, v0
	ds_write_b32 v35, v1
	ds_write_b32 v36, v2
	ds_write_b32 v37, v3
	ds_write_b32 v38, v4
	v_add_nc_u32_e32 v34, 0xfffffc90, v33
	v_add_nc_u32_e32 v35, 0xfffffca0, v33
	v_add_nc_u32_e32 v36, 0xfffffcb0, v33
	v_add_nc_u32_e32 v37, 0xfffffcc0, v33
	v_add_nc_u32_e32 v38, 0xfffffcd0, v33
	ds_write_b32 v34, v5
	ds_write_b32 v35, v6
	ds_write_b32 v36, v7
	ds_write_b32 v37, v8
	ds_write_b32 v38, v9
	v_add_nc_u32_e32 v34, 0xfffffce0, v33
	v_add_nc_u32_e32 v35, 0xfffffcf0, v33
	v_add_nc_u32_e32 v36, 0xfffffd00, v33
	v_add_nc_u32_e32 v37, 0xfffffd10, v33
	v_add_nc_u32_e32 v38, 0xfffffd20, v33
	ds_write_b32 v34, v10
	ds_write_b32 v35, v11
	ds_write_b32 v36, v12
	ds_write_b32 v37, v13
	ds_write_b32 v38, v14
	v_add_nc_u32_e32 v34, 0xfffffd30, v33
	v_add_nc_u32_e32 v35, 0xfffffd40, v33
	v_add_nc_u32_e32 v36, 0xfffffd50, v33
	v_add_nc_u32_e32 v37, 0xfffffd60, v33
	v_add_nc_u32_e32 v38, 0xfffffd70, v33
	ds_write_b32 v34, v15
	ds_write_b32 v35, v16
	ds_write_b32 v36, v17
	ds_write_b32 v37, v18
	ds_write_b32 v38, v19
	v_add_nc_u32_e32 v34, 0xfffffd80, v33
	v_add_nc_u32_e32 v35, 0xfffffd90, v33
	v_add_nc_u32_e32 v36, 0xfffffda0, v33
	v_add_nc_u32_e32 v37, 0xfffffdb0, v33
	v_add_nc_u32_e32 v38, 0xfffffdc0, v33
	ds_write_b32 v34, v20
	ds_write_b32 v35, v21
	ds_write_b32 v36, v22
	ds_write_b32 v37, v23
	ds_write_b32 v38, v24
	v_add_nc_u32_e32 v34, 0xfffffdd0, v33
	v_add_nc_u32_e32 v35, 0xfffffde0, v33
	v_add_nc_u32_e32 v36, 0xfffffdf0, v33
	v_add_nc_u32_e32 v37, 0xfffffe00, v33
	v_add_nc_u32_e32 v33, 0xfffffe10, v33
	ds_write_b32 v34, v25
	ds_write_b32 v35, v26
	;; [unrolled: 1-line block ×5, first 2 shown]
.LBB210_2019:
	s_or_b32 exec_lo, exec_lo, s5
	v_lshlrev_b32_e32 v30, 2, v30
	s_mov_b32 s5, exec_lo
	v_cmp_eq_u32_e32 vcc_lo, 0, v67
	v_add3_u32 v30, s4, v32, v30
	buffer_load_dword v32, off, s[0:3], s32 offset:804 ; 4-byte Folded Reload
	s_waitcnt vmcnt(0) lgkmcnt(0)
	s_barrier
	buffer_gl0_inv
	v_cmpx_gt_u32_e32 64, v32
	s_cbranch_execz .LBB210_2052
; %bb.2020:
	s_and_saveexec_b32 s4, vcc_lo
	s_cbranch_execnz .LBB210_2090
; %bb.2021:
	s_or_b32 exec_lo, exec_lo, s4
	s_and_saveexec_b32 s4, vcc_lo
	s_cbranch_execnz .LBB210_2091
.LBB210_2022:
	s_or_b32 exec_lo, exec_lo, s4
	s_and_saveexec_b32 s4, vcc_lo
	s_cbranch_execnz .LBB210_2092
.LBB210_2023:
	s_or_b32 exec_lo, exec_lo, s4
	s_and_saveexec_b32 s4, vcc_lo
	s_cbranch_execnz .LBB210_2093
.LBB210_2024:
	s_or_b32 exec_lo, exec_lo, s4
	s_and_saveexec_b32 s4, vcc_lo
	s_cbranch_execnz .LBB210_2094
.LBB210_2025:
	s_or_b32 exec_lo, exec_lo, s4
	s_and_saveexec_b32 s4, vcc_lo
	s_cbranch_execnz .LBB210_2095
.LBB210_2026:
	s_or_b32 exec_lo, exec_lo, s4
	s_and_saveexec_b32 s4, vcc_lo
	s_cbranch_execnz .LBB210_2096
.LBB210_2027:
	s_or_b32 exec_lo, exec_lo, s4
	s_and_saveexec_b32 s4, vcc_lo
	s_cbranch_execnz .LBB210_2097
.LBB210_2028:
	s_or_b32 exec_lo, exec_lo, s4
	s_and_saveexec_b32 s4, vcc_lo
	s_cbranch_execnz .LBB210_2098
.LBB210_2029:
	s_or_b32 exec_lo, exec_lo, s4
	s_and_saveexec_b32 s4, vcc_lo
	s_cbranch_execnz .LBB210_2099
.LBB210_2030:
	s_or_b32 exec_lo, exec_lo, s4
	s_and_saveexec_b32 s4, vcc_lo
	s_cbranch_execnz .LBB210_2100
.LBB210_2031:
	s_or_b32 exec_lo, exec_lo, s4
	s_and_saveexec_b32 s4, vcc_lo
	s_cbranch_execnz .LBB210_2101
.LBB210_2032:
	s_or_b32 exec_lo, exec_lo, s4
	s_and_saveexec_b32 s4, vcc_lo
	s_cbranch_execnz .LBB210_2102
.LBB210_2033:
	s_or_b32 exec_lo, exec_lo, s4
	s_and_saveexec_b32 s4, vcc_lo
	s_cbranch_execnz .LBB210_2103
.LBB210_2034:
	s_or_b32 exec_lo, exec_lo, s4
	s_and_saveexec_b32 s4, vcc_lo
	s_cbranch_execnz .LBB210_2104
.LBB210_2035:
	s_or_b32 exec_lo, exec_lo, s4
	s_and_saveexec_b32 s4, vcc_lo
	s_cbranch_execnz .LBB210_2105
.LBB210_2036:
	s_or_b32 exec_lo, exec_lo, s4
	s_and_saveexec_b32 s4, vcc_lo
	s_cbranch_execnz .LBB210_2106
.LBB210_2037:
	s_or_b32 exec_lo, exec_lo, s4
	s_and_saveexec_b32 s4, vcc_lo
	s_cbranch_execnz .LBB210_2107
.LBB210_2038:
	s_or_b32 exec_lo, exec_lo, s4
	s_and_saveexec_b32 s4, vcc_lo
	s_cbranch_execnz .LBB210_2108
.LBB210_2039:
	s_or_b32 exec_lo, exec_lo, s4
	s_and_saveexec_b32 s4, vcc_lo
	s_cbranch_execnz .LBB210_2109
.LBB210_2040:
	s_or_b32 exec_lo, exec_lo, s4
	s_and_saveexec_b32 s4, vcc_lo
	s_cbranch_execnz .LBB210_2110
.LBB210_2041:
	s_or_b32 exec_lo, exec_lo, s4
	s_and_saveexec_b32 s4, vcc_lo
	s_cbranch_execnz .LBB210_2111
.LBB210_2042:
	s_or_b32 exec_lo, exec_lo, s4
	s_and_saveexec_b32 s4, vcc_lo
	s_cbranch_execnz .LBB210_2112
.LBB210_2043:
	s_or_b32 exec_lo, exec_lo, s4
	s_and_saveexec_b32 s4, vcc_lo
	s_cbranch_execnz .LBB210_2113
.LBB210_2044:
	s_or_b32 exec_lo, exec_lo, s4
	s_and_saveexec_b32 s4, vcc_lo
	s_cbranch_execnz .LBB210_2114
.LBB210_2045:
	s_or_b32 exec_lo, exec_lo, s4
	s_and_saveexec_b32 s4, vcc_lo
	s_cbranch_execnz .LBB210_2115
.LBB210_2046:
	s_or_b32 exec_lo, exec_lo, s4
	s_and_saveexec_b32 s4, vcc_lo
	s_cbranch_execnz .LBB210_2116
.LBB210_2047:
	s_or_b32 exec_lo, exec_lo, s4
	s_and_saveexec_b32 s4, vcc_lo
	s_cbranch_execnz .LBB210_2117
.LBB210_2048:
	s_or_b32 exec_lo, exec_lo, s4
	s_and_saveexec_b32 s4, vcc_lo
	s_cbranch_execnz .LBB210_2118
.LBB210_2049:
	s_or_b32 exec_lo, exec_lo, s4
	s_and_saveexec_b32 s4, vcc_lo
	s_cbranch_execz .LBB210_2051
.LBB210_2050:
	ds_read_b32 v32, v30 offset:464
	s_waitcnt lgkmcnt(0)
	v_add_f32_e32 v29, v32, v29
.LBB210_2051:
	s_or_b32 exec_lo, exec_lo, s4
.LBB210_2052:
	s_or_b32 exec_lo, exec_lo, s5
	buffer_load_dword v32, off, s[0:3], s32 offset:804 ; 4-byte Folded Reload
	s_mov_b32 s5, exec_lo
	s_waitcnt vmcnt(0)
	s_barrier
	buffer_gl0_inv
	v_and_b32_e32 v32, 0x3e7, v32
	v_cmpx_eq_u32_e32 32, v32
	s_cbranch_execz .LBB210_2054
; %bb.2053:
	ds_write2_b32 v31, v0, v1 offset1:4
	ds_write2_b32 v31, v2, v3 offset0:8 offset1:12
	ds_write2_b32 v31, v4, v5 offset0:16 offset1:20
	;; [unrolled: 1-line block ×14, first 2 shown]
.LBB210_2054:
	s_or_b32 exec_lo, exec_lo, s5
	buffer_load_dword v31, off, s[0:3], s32 offset:804 ; 4-byte Folded Reload
	s_mov_b32 s5, exec_lo
	s_waitcnt vmcnt(0) lgkmcnt(0)
	s_barrier
	buffer_gl0_inv
	v_cmpx_gt_u32_e32 32, v31
	s_cbranch_execz .LBB210_2087
; %bb.2055:
	s_and_saveexec_b32 s4, vcc_lo
	s_cbranch_execnz .LBB210_2119
; %bb.2056:
	s_or_b32 exec_lo, exec_lo, s4
	s_and_saveexec_b32 s4, vcc_lo
	s_cbranch_execnz .LBB210_2120
.LBB210_2057:
	s_or_b32 exec_lo, exec_lo, s4
	s_and_saveexec_b32 s4, vcc_lo
	s_cbranch_execnz .LBB210_2121
.LBB210_2058:
	s_or_b32 exec_lo, exec_lo, s4
	s_and_saveexec_b32 s4, vcc_lo
	s_cbranch_execnz .LBB210_2122
.LBB210_2059:
	s_or_b32 exec_lo, exec_lo, s4
	s_and_saveexec_b32 s4, vcc_lo
	s_cbranch_execnz .LBB210_2123
.LBB210_2060:
	s_or_b32 exec_lo, exec_lo, s4
	s_and_saveexec_b32 s4, vcc_lo
	s_cbranch_execnz .LBB210_2124
.LBB210_2061:
	s_or_b32 exec_lo, exec_lo, s4
	s_and_saveexec_b32 s4, vcc_lo
	s_cbranch_execnz .LBB210_2125
.LBB210_2062:
	s_or_b32 exec_lo, exec_lo, s4
	s_and_saveexec_b32 s4, vcc_lo
	s_cbranch_execnz .LBB210_2126
.LBB210_2063:
	s_or_b32 exec_lo, exec_lo, s4
	s_and_saveexec_b32 s4, vcc_lo
	s_cbranch_execnz .LBB210_2127
.LBB210_2064:
	s_or_b32 exec_lo, exec_lo, s4
	s_and_saveexec_b32 s4, vcc_lo
	s_cbranch_execnz .LBB210_2128
.LBB210_2065:
	s_or_b32 exec_lo, exec_lo, s4
	s_and_saveexec_b32 s4, vcc_lo
	s_cbranch_execnz .LBB210_2129
.LBB210_2066:
	s_or_b32 exec_lo, exec_lo, s4
	s_and_saveexec_b32 s4, vcc_lo
	s_cbranch_execnz .LBB210_2130
.LBB210_2067:
	s_or_b32 exec_lo, exec_lo, s4
	s_and_saveexec_b32 s4, vcc_lo
	s_cbranch_execnz .LBB210_2131
.LBB210_2068:
	s_or_b32 exec_lo, exec_lo, s4
	s_and_saveexec_b32 s4, vcc_lo
	s_cbranch_execnz .LBB210_2132
.LBB210_2069:
	s_or_b32 exec_lo, exec_lo, s4
	s_and_saveexec_b32 s4, vcc_lo
	s_cbranch_execnz .LBB210_2133
.LBB210_2070:
	s_or_b32 exec_lo, exec_lo, s4
	s_and_saveexec_b32 s4, vcc_lo
	s_cbranch_execnz .LBB210_2134
.LBB210_2071:
	s_or_b32 exec_lo, exec_lo, s4
	s_and_saveexec_b32 s4, vcc_lo
	s_cbranch_execnz .LBB210_2135
.LBB210_2072:
	s_or_b32 exec_lo, exec_lo, s4
	s_and_saveexec_b32 s4, vcc_lo
	s_cbranch_execnz .LBB210_2136
.LBB210_2073:
	s_or_b32 exec_lo, exec_lo, s4
	s_and_saveexec_b32 s4, vcc_lo
	s_cbranch_execnz .LBB210_2137
.LBB210_2074:
	s_or_b32 exec_lo, exec_lo, s4
	s_and_saveexec_b32 s4, vcc_lo
	s_cbranch_execnz .LBB210_2138
.LBB210_2075:
	s_or_b32 exec_lo, exec_lo, s4
	s_and_saveexec_b32 s4, vcc_lo
	s_cbranch_execnz .LBB210_2139
.LBB210_2076:
	s_or_b32 exec_lo, exec_lo, s4
	s_and_saveexec_b32 s4, vcc_lo
	s_cbranch_execnz .LBB210_2140
.LBB210_2077:
	s_or_b32 exec_lo, exec_lo, s4
	s_and_saveexec_b32 s4, vcc_lo
	s_cbranch_execnz .LBB210_2141
.LBB210_2078:
	s_or_b32 exec_lo, exec_lo, s4
	s_and_saveexec_b32 s4, vcc_lo
	s_cbranch_execnz .LBB210_2142
.LBB210_2079:
	s_or_b32 exec_lo, exec_lo, s4
	s_and_saveexec_b32 s4, vcc_lo
	s_cbranch_execnz .LBB210_2143
.LBB210_2080:
	s_or_b32 exec_lo, exec_lo, s4
	s_and_saveexec_b32 s4, vcc_lo
	s_cbranch_execnz .LBB210_2144
.LBB210_2081:
	s_or_b32 exec_lo, exec_lo, s4
	s_and_saveexec_b32 s4, vcc_lo
	s_cbranch_execnz .LBB210_2145
.LBB210_2082:
	s_or_b32 exec_lo, exec_lo, s4
	s_and_saveexec_b32 s4, vcc_lo
	s_cbranch_execnz .LBB210_2146
.LBB210_2083:
	s_or_b32 exec_lo, exec_lo, s4
	s_and_saveexec_b32 s4, vcc_lo
	s_cbranch_execnz .LBB210_2147
.LBB210_2084:
	s_or_b32 exec_lo, exec_lo, s4
	s_and_saveexec_b32 s4, vcc_lo
	s_cbranch_execz .LBB210_2086
.LBB210_2085:
	ds_read_b32 v30, v30 offset:464
	s_waitcnt lgkmcnt(0)
	v_add_f32_e32 v29, v30, v29
.LBB210_2086:
	s_or_b32 exec_lo, exec_lo, s4
.LBB210_2087:
	s_or_b32 exec_lo, exec_lo, s5
	s_mov_b32 s4, exec_lo
	s_barrier
	buffer_gl0_inv
	v_cmpx_eq_u32_e32 0, v32
	s_cbranch_execz .LBB210_2089
; %bb.2088:
	s_clause 0x2
	buffer_load_dword v31, off, s[0:3], s32 offset:1348
	buffer_load_dword v30, off, s[0:3], s32 offset:804
	;; [unrolled: 1-line block ×3, first 2 shown]
	s_and_b32 s5, 0xffff, s13
	s_mul_i32 s6, s14, 0x78
	s_cmp_lg_u32 s5, 0
	s_cselect_b32 s5, -1, 0
	s_cmp_lg_u32 s5, 0
	s_addc_u32 s5, s12, 0
	s_mul_i32 s7, s5, s10
	s_mul_i32 s10, s16, s5
	s_mul_i32 s8, s7, s11
	s_ashr_i32 s11, s10, 31
	s_mulk_i32 s8, 0x78
	s_ashr_i32 s7, s6, 31
	s_ashr_i32 s9, s8, 31
	s_lshl_b64 s[6:7], s[6:7], 2
	s_lshl_b64 s[8:9], s[8:9], 2
	s_waitcnt vmcnt(2)
	v_add_co_u32 v31, vcc_lo, v31, s8
	s_waitcnt vmcnt(0)
	v_add_co_ci_u32_e64 v32, null, s9, v32, vcc_lo
	s_lshl_b64 s[8:9], s[10:11], 2
	v_lshrrev_b32_e32 v30, 1, v30
	v_add_co_u32 v31, vcc_lo, v31, s8
	v_add_co_ci_u32_e64 v32, null, s9, v32, vcc_lo
	v_add_co_u32 v31, vcc_lo, v31, s6
	v_add_co_ci_u32_e64 v32, null, s7, v32, vcc_lo
	;; [unrolled: 2-line block ×3, first 2 shown]
	flat_store_dword v[30:31], v0
	flat_store_dword v[30:31], v1 offset:16
	flat_store_dword v[30:31], v2 offset:32
	;; [unrolled: 1-line block ×29, first 2 shown]
.LBB210_2089:
	s_or_b32 exec_lo, exec_lo, s4
	s_clause 0x2f
	buffer_load_dword v127, off, s[0:3], s32
	buffer_load_dword v126, off, s[0:3], s32 offset:4
	buffer_load_dword v125, off, s[0:3], s32 offset:8
	;; [unrolled: 1-line block ×47, first 2 shown]
	s_waitcnt vmcnt(0) lgkmcnt(0)
	s_setpc_b64 s[30:31]
.LBB210_2090:
	ds_read_b32 v32, v30
	s_waitcnt lgkmcnt(0)
	v_add_f32_e32 v0, v32, v0
	s_or_b32 exec_lo, exec_lo, s4
	s_and_saveexec_b32 s4, vcc_lo
	s_cbranch_execz .LBB210_2022
.LBB210_2091:
	ds_read_b32 v32, v30 offset:16
	s_waitcnt lgkmcnt(0)
	v_add_f32_e32 v1, v32, v1
	s_or_b32 exec_lo, exec_lo, s4
	s_and_saveexec_b32 s4, vcc_lo
	s_cbranch_execz .LBB210_2023
.LBB210_2092:
	ds_read_b32 v32, v30 offset:32
	s_waitcnt lgkmcnt(0)
	v_add_f32_e32 v2, v32, v2
	s_or_b32 exec_lo, exec_lo, s4
	s_and_saveexec_b32 s4, vcc_lo
	s_cbranch_execz .LBB210_2024
.LBB210_2093:
	ds_read_b32 v32, v30 offset:48
	s_waitcnt lgkmcnt(0)
	v_add_f32_e32 v3, v32, v3
	s_or_b32 exec_lo, exec_lo, s4
	s_and_saveexec_b32 s4, vcc_lo
	s_cbranch_execz .LBB210_2025
.LBB210_2094:
	ds_read_b32 v32, v30 offset:64
	s_waitcnt lgkmcnt(0)
	v_add_f32_e32 v4, v32, v4
	s_or_b32 exec_lo, exec_lo, s4
	s_and_saveexec_b32 s4, vcc_lo
	s_cbranch_execz .LBB210_2026
.LBB210_2095:
	ds_read_b32 v32, v30 offset:80
	s_waitcnt lgkmcnt(0)
	v_add_f32_e32 v5, v32, v5
	s_or_b32 exec_lo, exec_lo, s4
	s_and_saveexec_b32 s4, vcc_lo
	s_cbranch_execz .LBB210_2027
.LBB210_2096:
	ds_read_b32 v32, v30 offset:96
	s_waitcnt lgkmcnt(0)
	v_add_f32_e32 v6, v32, v6
	s_or_b32 exec_lo, exec_lo, s4
	s_and_saveexec_b32 s4, vcc_lo
	s_cbranch_execz .LBB210_2028
.LBB210_2097:
	ds_read_b32 v32, v30 offset:112
	s_waitcnt lgkmcnt(0)
	v_add_f32_e32 v7, v32, v7
	s_or_b32 exec_lo, exec_lo, s4
	s_and_saveexec_b32 s4, vcc_lo
	s_cbranch_execz .LBB210_2029
.LBB210_2098:
	ds_read_b32 v32, v30 offset:128
	s_waitcnt lgkmcnt(0)
	v_add_f32_e32 v8, v32, v8
	s_or_b32 exec_lo, exec_lo, s4
	s_and_saveexec_b32 s4, vcc_lo
	s_cbranch_execz .LBB210_2030
.LBB210_2099:
	ds_read_b32 v32, v30 offset:144
	s_waitcnt lgkmcnt(0)
	v_add_f32_e32 v9, v32, v9
	s_or_b32 exec_lo, exec_lo, s4
	s_and_saveexec_b32 s4, vcc_lo
	s_cbranch_execz .LBB210_2031
.LBB210_2100:
	ds_read_b32 v32, v30 offset:160
	s_waitcnt lgkmcnt(0)
	v_add_f32_e32 v10, v32, v10
	s_or_b32 exec_lo, exec_lo, s4
	s_and_saveexec_b32 s4, vcc_lo
	s_cbranch_execz .LBB210_2032
.LBB210_2101:
	ds_read_b32 v32, v30 offset:176
	s_waitcnt lgkmcnt(0)
	v_add_f32_e32 v11, v32, v11
	s_or_b32 exec_lo, exec_lo, s4
	s_and_saveexec_b32 s4, vcc_lo
	s_cbranch_execz .LBB210_2033
.LBB210_2102:
	ds_read_b32 v32, v30 offset:192
	s_waitcnt lgkmcnt(0)
	v_add_f32_e32 v12, v32, v12
	s_or_b32 exec_lo, exec_lo, s4
	s_and_saveexec_b32 s4, vcc_lo
	s_cbranch_execz .LBB210_2034
.LBB210_2103:
	ds_read_b32 v32, v30 offset:208
	s_waitcnt lgkmcnt(0)
	v_add_f32_e32 v13, v32, v13
	s_or_b32 exec_lo, exec_lo, s4
	s_and_saveexec_b32 s4, vcc_lo
	s_cbranch_execz .LBB210_2035
.LBB210_2104:
	ds_read_b32 v32, v30 offset:224
	s_waitcnt lgkmcnt(0)
	v_add_f32_e32 v14, v32, v14
	s_or_b32 exec_lo, exec_lo, s4
	s_and_saveexec_b32 s4, vcc_lo
	s_cbranch_execz .LBB210_2036
.LBB210_2105:
	ds_read_b32 v32, v30 offset:240
	s_waitcnt lgkmcnt(0)
	v_add_f32_e32 v15, v32, v15
	s_or_b32 exec_lo, exec_lo, s4
	s_and_saveexec_b32 s4, vcc_lo
	s_cbranch_execz .LBB210_2037
.LBB210_2106:
	ds_read_b32 v32, v30 offset:256
	s_waitcnt lgkmcnt(0)
	v_add_f32_e32 v16, v32, v16
	s_or_b32 exec_lo, exec_lo, s4
	s_and_saveexec_b32 s4, vcc_lo
	s_cbranch_execz .LBB210_2038
.LBB210_2107:
	ds_read_b32 v32, v30 offset:272
	s_waitcnt lgkmcnt(0)
	v_add_f32_e32 v17, v32, v17
	s_or_b32 exec_lo, exec_lo, s4
	s_and_saveexec_b32 s4, vcc_lo
	s_cbranch_execz .LBB210_2039
.LBB210_2108:
	ds_read_b32 v32, v30 offset:288
	s_waitcnt lgkmcnt(0)
	v_add_f32_e32 v18, v32, v18
	s_or_b32 exec_lo, exec_lo, s4
	s_and_saveexec_b32 s4, vcc_lo
	s_cbranch_execz .LBB210_2040
.LBB210_2109:
	ds_read_b32 v32, v30 offset:304
	s_waitcnt lgkmcnt(0)
	v_add_f32_e32 v19, v32, v19
	s_or_b32 exec_lo, exec_lo, s4
	s_and_saveexec_b32 s4, vcc_lo
	s_cbranch_execz .LBB210_2041
.LBB210_2110:
	ds_read_b32 v32, v30 offset:320
	s_waitcnt lgkmcnt(0)
	v_add_f32_e32 v20, v32, v20
	s_or_b32 exec_lo, exec_lo, s4
	s_and_saveexec_b32 s4, vcc_lo
	s_cbranch_execz .LBB210_2042
.LBB210_2111:
	ds_read_b32 v32, v30 offset:336
	s_waitcnt lgkmcnt(0)
	v_add_f32_e32 v21, v32, v21
	s_or_b32 exec_lo, exec_lo, s4
	s_and_saveexec_b32 s4, vcc_lo
	s_cbranch_execz .LBB210_2043
.LBB210_2112:
	ds_read_b32 v32, v30 offset:352
	s_waitcnt lgkmcnt(0)
	v_add_f32_e32 v22, v32, v22
	s_or_b32 exec_lo, exec_lo, s4
	s_and_saveexec_b32 s4, vcc_lo
	s_cbranch_execz .LBB210_2044
.LBB210_2113:
	ds_read_b32 v32, v30 offset:368
	s_waitcnt lgkmcnt(0)
	v_add_f32_e32 v23, v32, v23
	s_or_b32 exec_lo, exec_lo, s4
	s_and_saveexec_b32 s4, vcc_lo
	s_cbranch_execz .LBB210_2045
.LBB210_2114:
	ds_read_b32 v32, v30 offset:384
	s_waitcnt lgkmcnt(0)
	v_add_f32_e32 v24, v32, v24
	s_or_b32 exec_lo, exec_lo, s4
	s_and_saveexec_b32 s4, vcc_lo
	s_cbranch_execz .LBB210_2046
.LBB210_2115:
	ds_read_b32 v32, v30 offset:400
	s_waitcnt lgkmcnt(0)
	v_add_f32_e32 v25, v32, v25
	s_or_b32 exec_lo, exec_lo, s4
	s_and_saveexec_b32 s4, vcc_lo
	s_cbranch_execz .LBB210_2047
.LBB210_2116:
	ds_read_b32 v32, v30 offset:416
	s_waitcnt lgkmcnt(0)
	v_add_f32_e32 v26, v32, v26
	s_or_b32 exec_lo, exec_lo, s4
	s_and_saveexec_b32 s4, vcc_lo
	s_cbranch_execz .LBB210_2048
.LBB210_2117:
	ds_read_b32 v32, v30 offset:432
	s_waitcnt lgkmcnt(0)
	v_add_f32_e32 v27, v32, v27
	s_or_b32 exec_lo, exec_lo, s4
	s_and_saveexec_b32 s4, vcc_lo
	s_cbranch_execz .LBB210_2049
.LBB210_2118:
	ds_read_b32 v32, v30 offset:448
	s_waitcnt lgkmcnt(0)
	v_add_f32_e32 v28, v32, v28
	s_or_b32 exec_lo, exec_lo, s4
	s_and_saveexec_b32 s4, vcc_lo
	s_cbranch_execnz .LBB210_2050
	s_branch .LBB210_2051
.LBB210_2119:
	ds_read_b32 v31, v30
	s_waitcnt lgkmcnt(0)
	v_add_f32_e32 v0, v31, v0
	s_or_b32 exec_lo, exec_lo, s4
	s_and_saveexec_b32 s4, vcc_lo
	s_cbranch_execz .LBB210_2057
.LBB210_2120:
	ds_read_b32 v31, v30 offset:16
	s_waitcnt lgkmcnt(0)
	v_add_f32_e32 v1, v31, v1
	s_or_b32 exec_lo, exec_lo, s4
	s_and_saveexec_b32 s4, vcc_lo
	s_cbranch_execz .LBB210_2058
.LBB210_2121:
	ds_read_b32 v31, v30 offset:32
	s_waitcnt lgkmcnt(0)
	v_add_f32_e32 v2, v31, v2
	s_or_b32 exec_lo, exec_lo, s4
	s_and_saveexec_b32 s4, vcc_lo
	s_cbranch_execz .LBB210_2059
.LBB210_2122:
	ds_read_b32 v31, v30 offset:48
	s_waitcnt lgkmcnt(0)
	v_add_f32_e32 v3, v31, v3
	s_or_b32 exec_lo, exec_lo, s4
	s_and_saveexec_b32 s4, vcc_lo
	s_cbranch_execz .LBB210_2060
.LBB210_2123:
	ds_read_b32 v31, v30 offset:64
	s_waitcnt lgkmcnt(0)
	v_add_f32_e32 v4, v31, v4
	s_or_b32 exec_lo, exec_lo, s4
	s_and_saveexec_b32 s4, vcc_lo
	s_cbranch_execz .LBB210_2061
.LBB210_2124:
	ds_read_b32 v31, v30 offset:80
	s_waitcnt lgkmcnt(0)
	v_add_f32_e32 v5, v31, v5
	s_or_b32 exec_lo, exec_lo, s4
	s_and_saveexec_b32 s4, vcc_lo
	s_cbranch_execz .LBB210_2062
.LBB210_2125:
	ds_read_b32 v31, v30 offset:96
	s_waitcnt lgkmcnt(0)
	v_add_f32_e32 v6, v31, v6
	s_or_b32 exec_lo, exec_lo, s4
	s_and_saveexec_b32 s4, vcc_lo
	s_cbranch_execz .LBB210_2063
.LBB210_2126:
	ds_read_b32 v31, v30 offset:112
	s_waitcnt lgkmcnt(0)
	v_add_f32_e32 v7, v31, v7
	s_or_b32 exec_lo, exec_lo, s4
	s_and_saveexec_b32 s4, vcc_lo
	s_cbranch_execz .LBB210_2064
.LBB210_2127:
	ds_read_b32 v31, v30 offset:128
	s_waitcnt lgkmcnt(0)
	v_add_f32_e32 v8, v31, v8
	s_or_b32 exec_lo, exec_lo, s4
	s_and_saveexec_b32 s4, vcc_lo
	s_cbranch_execz .LBB210_2065
.LBB210_2128:
	ds_read_b32 v31, v30 offset:144
	s_waitcnt lgkmcnt(0)
	v_add_f32_e32 v9, v31, v9
	s_or_b32 exec_lo, exec_lo, s4
	s_and_saveexec_b32 s4, vcc_lo
	s_cbranch_execz .LBB210_2066
.LBB210_2129:
	ds_read_b32 v31, v30 offset:160
	s_waitcnt lgkmcnt(0)
	v_add_f32_e32 v10, v31, v10
	s_or_b32 exec_lo, exec_lo, s4
	s_and_saveexec_b32 s4, vcc_lo
	s_cbranch_execz .LBB210_2067
.LBB210_2130:
	ds_read_b32 v31, v30 offset:176
	s_waitcnt lgkmcnt(0)
	v_add_f32_e32 v11, v31, v11
	s_or_b32 exec_lo, exec_lo, s4
	s_and_saveexec_b32 s4, vcc_lo
	s_cbranch_execz .LBB210_2068
.LBB210_2131:
	ds_read_b32 v31, v30 offset:192
	s_waitcnt lgkmcnt(0)
	v_add_f32_e32 v12, v31, v12
	s_or_b32 exec_lo, exec_lo, s4
	s_and_saveexec_b32 s4, vcc_lo
	s_cbranch_execz .LBB210_2069
.LBB210_2132:
	ds_read_b32 v31, v30 offset:208
	s_waitcnt lgkmcnt(0)
	v_add_f32_e32 v13, v31, v13
	s_or_b32 exec_lo, exec_lo, s4
	s_and_saveexec_b32 s4, vcc_lo
	s_cbranch_execz .LBB210_2070
.LBB210_2133:
	ds_read_b32 v31, v30 offset:224
	s_waitcnt lgkmcnt(0)
	v_add_f32_e32 v14, v31, v14
	s_or_b32 exec_lo, exec_lo, s4
	s_and_saveexec_b32 s4, vcc_lo
	s_cbranch_execz .LBB210_2071
.LBB210_2134:
	ds_read_b32 v31, v30 offset:240
	s_waitcnt lgkmcnt(0)
	v_add_f32_e32 v15, v31, v15
	s_or_b32 exec_lo, exec_lo, s4
	s_and_saveexec_b32 s4, vcc_lo
	s_cbranch_execz .LBB210_2072
.LBB210_2135:
	ds_read_b32 v31, v30 offset:256
	s_waitcnt lgkmcnt(0)
	v_add_f32_e32 v16, v31, v16
	s_or_b32 exec_lo, exec_lo, s4
	s_and_saveexec_b32 s4, vcc_lo
	s_cbranch_execz .LBB210_2073
.LBB210_2136:
	ds_read_b32 v31, v30 offset:272
	s_waitcnt lgkmcnt(0)
	v_add_f32_e32 v17, v31, v17
	s_or_b32 exec_lo, exec_lo, s4
	s_and_saveexec_b32 s4, vcc_lo
	s_cbranch_execz .LBB210_2074
.LBB210_2137:
	ds_read_b32 v31, v30 offset:288
	s_waitcnt lgkmcnt(0)
	v_add_f32_e32 v18, v31, v18
	s_or_b32 exec_lo, exec_lo, s4
	s_and_saveexec_b32 s4, vcc_lo
	s_cbranch_execz .LBB210_2075
.LBB210_2138:
	ds_read_b32 v31, v30 offset:304
	s_waitcnt lgkmcnt(0)
	v_add_f32_e32 v19, v31, v19
	s_or_b32 exec_lo, exec_lo, s4
	s_and_saveexec_b32 s4, vcc_lo
	s_cbranch_execz .LBB210_2076
.LBB210_2139:
	ds_read_b32 v31, v30 offset:320
	s_waitcnt lgkmcnt(0)
	v_add_f32_e32 v20, v31, v20
	s_or_b32 exec_lo, exec_lo, s4
	s_and_saveexec_b32 s4, vcc_lo
	s_cbranch_execz .LBB210_2077
.LBB210_2140:
	ds_read_b32 v31, v30 offset:336
	s_waitcnt lgkmcnt(0)
	v_add_f32_e32 v21, v31, v21
	s_or_b32 exec_lo, exec_lo, s4
	s_and_saveexec_b32 s4, vcc_lo
	s_cbranch_execz .LBB210_2078
.LBB210_2141:
	ds_read_b32 v31, v30 offset:352
	s_waitcnt lgkmcnt(0)
	v_add_f32_e32 v22, v31, v22
	s_or_b32 exec_lo, exec_lo, s4
	s_and_saveexec_b32 s4, vcc_lo
	s_cbranch_execz .LBB210_2079
.LBB210_2142:
	ds_read_b32 v31, v30 offset:368
	s_waitcnt lgkmcnt(0)
	v_add_f32_e32 v23, v31, v23
	s_or_b32 exec_lo, exec_lo, s4
	s_and_saveexec_b32 s4, vcc_lo
	s_cbranch_execz .LBB210_2080
.LBB210_2143:
	ds_read_b32 v31, v30 offset:384
	s_waitcnt lgkmcnt(0)
	v_add_f32_e32 v24, v31, v24
	s_or_b32 exec_lo, exec_lo, s4
	s_and_saveexec_b32 s4, vcc_lo
	s_cbranch_execz .LBB210_2081
.LBB210_2144:
	ds_read_b32 v31, v30 offset:400
	s_waitcnt lgkmcnt(0)
	v_add_f32_e32 v25, v31, v25
	s_or_b32 exec_lo, exec_lo, s4
	s_and_saveexec_b32 s4, vcc_lo
	s_cbranch_execz .LBB210_2082
.LBB210_2145:
	ds_read_b32 v31, v30 offset:416
	s_waitcnt lgkmcnt(0)
	v_add_f32_e32 v26, v31, v26
	s_or_b32 exec_lo, exec_lo, s4
	s_and_saveexec_b32 s4, vcc_lo
	s_cbranch_execz .LBB210_2083
.LBB210_2146:
	ds_read_b32 v31, v30 offset:432
	s_waitcnt lgkmcnt(0)
	v_add_f32_e32 v27, v31, v27
	s_or_b32 exec_lo, exec_lo, s4
	s_and_saveexec_b32 s4, vcc_lo
	s_cbranch_execz .LBB210_2084
.LBB210_2147:
	ds_read_b32 v31, v30 offset:448
	s_waitcnt lgkmcnt(0)
	v_add_f32_e32 v28, v31, v28
	s_or_b32 exec_lo, exec_lo, s4
	s_and_saveexec_b32 s4, vcc_lo
	s_cbranch_execnz .LBB210_2085
	s_branch .LBB210_2086
.Lfunc_end210:
	.size	_ZN4vllm22paged_attention_kernelIfhLi120ELi32ELi128ELNS_18Fp8KVCacheDataTypeE1ELb1ELi0EEEvPfS2_PT_PKS3_PKT0_S9_ifPKiSB_iPKfiiiSD_SD_iiiii, .Lfunc_end210-_ZN4vllm22paged_attention_kernelIfhLi120ELi32ELi128ELNS_18Fp8KVCacheDataTypeE1ELb1ELi0EEEvPfS2_PT_PKS3_PKT0_S9_ifPKiSB_iPKfiiiSD_SD_iiiii
                                        ; -- End function
	.set .L_ZN4vllm22paged_attention_kernelIfhLi120ELi32ELi128ELNS_18Fp8KVCacheDataTypeE1ELb1ELi0EEEvPfS2_PT_PKS3_PKT0_S9_ifPKiSB_iPKfiiiSD_SD_iiiii.num_vgpr, 128
	.set .L_ZN4vllm22paged_attention_kernelIfhLi120ELi32ELi128ELNS_18Fp8KVCacheDataTypeE1ELb1ELi0EEEvPfS2_PT_PKS3_PKT0_S9_ifPKiSB_iPKfiiiSD_SD_iiiii.num_agpr, 0
	.set .L_ZN4vllm22paged_attention_kernelIfhLi120ELi32ELi128ELNS_18Fp8KVCacheDataTypeE1ELb1ELi0EEEvPfS2_PT_PKS3_PKT0_S9_ifPKiSB_iPKfiiiSD_SD_iiiii.numbered_sgpr, 33
	.set .L_ZN4vllm22paged_attention_kernelIfhLi120ELi32ELi128ELNS_18Fp8KVCacheDataTypeE1ELb1ELi0EEEvPfS2_PT_PKS3_PKT0_S9_ifPKiSB_iPKfiiiSD_SD_iiiii.num_named_barrier, 0
	.set .L_ZN4vllm22paged_attention_kernelIfhLi120ELi32ELi128ELNS_18Fp8KVCacheDataTypeE1ELb1ELi0EEEvPfS2_PT_PKS3_PKT0_S9_ifPKiSB_iPKfiiiSD_SD_iiiii.private_seg_size, 1392
	.set .L_ZN4vllm22paged_attention_kernelIfhLi120ELi32ELi128ELNS_18Fp8KVCacheDataTypeE1ELb1ELi0EEEvPfS2_PT_PKS3_PKT0_S9_ifPKiSB_iPKfiiiSD_SD_iiiii.uses_vcc, 1
	.set .L_ZN4vllm22paged_attention_kernelIfhLi120ELi32ELi128ELNS_18Fp8KVCacheDataTypeE1ELb1ELi0EEEvPfS2_PT_PKS3_PKT0_S9_ifPKiSB_iPKfiiiSD_SD_iiiii.uses_flat_scratch, 0
	.set .L_ZN4vllm22paged_attention_kernelIfhLi120ELi32ELi128ELNS_18Fp8KVCacheDataTypeE1ELb1ELi0EEEvPfS2_PT_PKS3_PKT0_S9_ifPKiSB_iPKfiiiSD_SD_iiiii.has_dyn_sized_stack, 0
	.set .L_ZN4vllm22paged_attention_kernelIfhLi120ELi32ELi128ELNS_18Fp8KVCacheDataTypeE1ELb1ELi0EEEvPfS2_PT_PKS3_PKT0_S9_ifPKiSB_iPKfiiiSD_SD_iiiii.has_recursion, 0
	.set .L_ZN4vllm22paged_attention_kernelIfhLi120ELi32ELi128ELNS_18Fp8KVCacheDataTypeE1ELb1ELi0EEEvPfS2_PT_PKS3_PKT0_S9_ifPKiSB_iPKfiiiSD_SD_iiiii.has_indirect_call, 0
	.section	.AMDGPU.csdata,"",@progbits
; Function info:
; codeLenInByte = 75568
; TotalNumSgprs: 35
; NumVgprs: 128
; ScratchSize: 1392
; MemoryBound: 0
	.section	.text._ZN4vllm25paged_attention_v1_kernelIfhLi120ELi32ELi128ELNS_18Fp8KVCacheDataTypeE1ELb1EEEvPT_PKS2_PKT0_S8_ifPKiSA_iPKfiiiSC_SC_iiiii,"axG",@progbits,_ZN4vllm25paged_attention_v1_kernelIfhLi120ELi32ELi128ELNS_18Fp8KVCacheDataTypeE1ELb1EEEvPT_PKS2_PKT0_S8_ifPKiSA_iPKfiiiSC_SC_iiiii,comdat
	.protected	_ZN4vllm25paged_attention_v1_kernelIfhLi120ELi32ELi128ELNS_18Fp8KVCacheDataTypeE1ELb1EEEvPT_PKS2_PKT0_S8_ifPKiSA_iPKfiiiSC_SC_iiiii ; -- Begin function _ZN4vllm25paged_attention_v1_kernelIfhLi120ELi32ELi128ELNS_18Fp8KVCacheDataTypeE1ELb1EEEvPT_PKS2_PKT0_S8_ifPKiSA_iPKfiiiSC_SC_iiiii
	.globl	_ZN4vllm25paged_attention_v1_kernelIfhLi120ELi32ELi128ELNS_18Fp8KVCacheDataTypeE1ELb1EEEvPT_PKS2_PKT0_S8_ifPKiSA_iPKfiiiSC_SC_iiiii
	.p2align	8
	.type	_ZN4vllm25paged_attention_v1_kernelIfhLi120ELi32ELi128ELNS_18Fp8KVCacheDataTypeE1ELb1EEEvPT_PKS2_PKT0_S8_ifPKiSA_iPKfiiiSC_SC_iiiii,@function
_ZN4vllm25paged_attention_v1_kernelIfhLi120ELi32ELi128ELNS_18Fp8KVCacheDataTypeE1ELb1EEEvPT_PKS2_PKT0_S8_ifPKiSA_iPKfiiiSC_SC_iiiii: ; @_ZN4vllm25paged_attention_v1_kernelIfhLi120ELi32ELi128ELNS_18Fp8KVCacheDataTypeE1ELb1EEEvPT_PKS2_PKT0_S8_ifPKiSA_iPKfiiiSC_SC_iiiii
; %bb.0:
	s_clause 0x7
	s_load_dwordx8 s[16:23], s[4:5], 0x0
	s_load_dwordx4 s[36:39], s[4:5], 0x20
	s_load_dwordx2 s[10:11], s[4:5], 0x30
	s_load_dword s13, s[4:5], 0x38
	s_load_dwordx2 s[34:35], s[4:5], 0x40
	s_load_dwordx8 s[24:31], s[4:5], 0x48
	s_load_dword s15, s[4:5], 0x78
	s_load_dwordx4 s[40:43], s[4:5], 0x68
	s_add_u32 s0, s0, s9
	s_addc_u32 s1, s1, 0
	v_mov_b32_e32 v31, v0
	s_mov_b32 s14, s8
	s_add_u32 s8, s4, 0x80
	s_addc_u32 s9, s5, 0
	s_getpc_b64 s[4:5]
	s_add_u32 s4, s4, _ZN4vllm22paged_attention_kernelIfhLi120ELi32ELi128ELNS_18Fp8KVCacheDataTypeE1ELb1ELi0EEEvPfS2_PT_PKS3_PKT0_S9_ifPKiSB_iPKfiiiSD_SD_iiiii@rel32@lo+4
	s_addc_u32 s5, s5, _ZN4vllm22paged_attention_kernelIfhLi120ELi32ELi128ELNS_18Fp8KVCacheDataTypeE1ELb1ELi0EEEvPfS2_PT_PKS3_PKT0_S9_ifPKiSB_iPKfiiiSD_SD_iiiii@rel32@hi+12
	s_mov_b32 s12, s6
	s_mov_b32 s32, 0
	s_waitcnt lgkmcnt(0)
	v_mov_b32_e32 v0, s16
	v_mov_b32_e32 v1, s17
	;; [unrolled: 1-line block ×29, first 2 shown]
	s_mov_b32 s13, s7
	s_mov_b32 s15, 19
	s_swappc_b64 s[30:31], s[4:5]
	s_endpgm
	.section	.rodata,"a",@progbits
	.p2align	6, 0x0
	.amdhsa_kernel _ZN4vllm25paged_attention_v1_kernelIfhLi120ELi32ELi128ELNS_18Fp8KVCacheDataTypeE1ELb1EEEvPT_PKS2_PKT0_S8_ifPKiSA_iPKfiiiSC_SC_iiiii
		.amdhsa_group_segment_fixed_size 512
		.amdhsa_private_segment_fixed_size 1392
		.amdhsa_kernarg_size 384
		.amdhsa_user_sgpr_count 6
		.amdhsa_user_sgpr_private_segment_buffer 1
		.amdhsa_user_sgpr_dispatch_ptr 0
		.amdhsa_user_sgpr_queue_ptr 0
		.amdhsa_user_sgpr_kernarg_segment_ptr 1
		.amdhsa_user_sgpr_dispatch_id 0
		.amdhsa_user_sgpr_flat_scratch_init 0
		.amdhsa_user_sgpr_private_segment_size 0
		.amdhsa_wavefront_size32 1
		.amdhsa_uses_dynamic_stack 0
		.amdhsa_system_sgpr_private_segment_wavefront_offset 1
		.amdhsa_system_sgpr_workgroup_id_x 1
		.amdhsa_system_sgpr_workgroup_id_y 1
		.amdhsa_system_sgpr_workgroup_id_z 1
		.amdhsa_system_sgpr_workgroup_info 0
		.amdhsa_system_vgpr_workitem_id 0
		.amdhsa_next_free_vgpr 128
		.amdhsa_next_free_sgpr 44
		.amdhsa_reserve_vcc 1
		.amdhsa_reserve_flat_scratch 0
		.amdhsa_float_round_mode_32 0
		.amdhsa_float_round_mode_16_64 0
		.amdhsa_float_denorm_mode_32 3
		.amdhsa_float_denorm_mode_16_64 3
		.amdhsa_dx10_clamp 1
		.amdhsa_ieee_mode 1
		.amdhsa_fp16_overflow 0
		.amdhsa_workgroup_processor_mode 1
		.amdhsa_memory_ordered 1
		.amdhsa_forward_progress 1
		.amdhsa_shared_vgpr_count 0
		.amdhsa_exception_fp_ieee_invalid_op 0
		.amdhsa_exception_fp_denorm_src 0
		.amdhsa_exception_fp_ieee_div_zero 0
		.amdhsa_exception_fp_ieee_overflow 0
		.amdhsa_exception_fp_ieee_underflow 0
		.amdhsa_exception_fp_ieee_inexact 0
		.amdhsa_exception_int_div_zero 0
	.end_amdhsa_kernel
	.section	.text._ZN4vllm25paged_attention_v1_kernelIfhLi120ELi32ELi128ELNS_18Fp8KVCacheDataTypeE1ELb1EEEvPT_PKS2_PKT0_S8_ifPKiSA_iPKfiiiSC_SC_iiiii,"axG",@progbits,_ZN4vllm25paged_attention_v1_kernelIfhLi120ELi32ELi128ELNS_18Fp8KVCacheDataTypeE1ELb1EEEvPT_PKS2_PKT0_S8_ifPKiSA_iPKfiiiSC_SC_iiiii,comdat
.Lfunc_end211:
	.size	_ZN4vllm25paged_attention_v1_kernelIfhLi120ELi32ELi128ELNS_18Fp8KVCacheDataTypeE1ELb1EEEvPT_PKS2_PKT0_S8_ifPKiSA_iPKfiiiSC_SC_iiiii, .Lfunc_end211-_ZN4vllm25paged_attention_v1_kernelIfhLi120ELi32ELi128ELNS_18Fp8KVCacheDataTypeE1ELb1EEEvPT_PKS2_PKT0_S8_ifPKiSA_iPKfiiiSC_SC_iiiii
                                        ; -- End function
	.set _ZN4vllm25paged_attention_v1_kernelIfhLi120ELi32ELi128ELNS_18Fp8KVCacheDataTypeE1ELb1EEEvPT_PKS2_PKT0_S8_ifPKiSA_iPKfiiiSC_SC_iiiii.num_vgpr, max(32, .L_ZN4vllm22paged_attention_kernelIfhLi120ELi32ELi128ELNS_18Fp8KVCacheDataTypeE1ELb1ELi0EEEvPfS2_PT_PKS3_PKT0_S9_ifPKiSB_iPKfiiiSD_SD_iiiii.num_vgpr)
	.set _ZN4vllm25paged_attention_v1_kernelIfhLi120ELi32ELi128ELNS_18Fp8KVCacheDataTypeE1ELb1EEEvPT_PKS2_PKT0_S8_ifPKiSA_iPKfiiiSC_SC_iiiii.num_agpr, max(0, .L_ZN4vllm22paged_attention_kernelIfhLi120ELi32ELi128ELNS_18Fp8KVCacheDataTypeE1ELb1ELi0EEEvPfS2_PT_PKS3_PKT0_S9_ifPKiSB_iPKfiiiSD_SD_iiiii.num_agpr)
	.set _ZN4vllm25paged_attention_v1_kernelIfhLi120ELi32ELi128ELNS_18Fp8KVCacheDataTypeE1ELb1EEEvPT_PKS2_PKT0_S8_ifPKiSA_iPKfiiiSC_SC_iiiii.numbered_sgpr, max(44, .L_ZN4vllm22paged_attention_kernelIfhLi120ELi32ELi128ELNS_18Fp8KVCacheDataTypeE1ELb1ELi0EEEvPfS2_PT_PKS3_PKT0_S9_ifPKiSB_iPKfiiiSD_SD_iiiii.numbered_sgpr)
	.set _ZN4vllm25paged_attention_v1_kernelIfhLi120ELi32ELi128ELNS_18Fp8KVCacheDataTypeE1ELb1EEEvPT_PKS2_PKT0_S8_ifPKiSA_iPKfiiiSC_SC_iiiii.num_named_barrier, max(0, .L_ZN4vllm22paged_attention_kernelIfhLi120ELi32ELi128ELNS_18Fp8KVCacheDataTypeE1ELb1ELi0EEEvPfS2_PT_PKS3_PKT0_S9_ifPKiSB_iPKfiiiSD_SD_iiiii.num_named_barrier)
	.set _ZN4vllm25paged_attention_v1_kernelIfhLi120ELi32ELi128ELNS_18Fp8KVCacheDataTypeE1ELb1EEEvPT_PKS2_PKT0_S8_ifPKiSA_iPKfiiiSC_SC_iiiii.private_seg_size, 0+max(.L_ZN4vllm22paged_attention_kernelIfhLi120ELi32ELi128ELNS_18Fp8KVCacheDataTypeE1ELb1ELi0EEEvPfS2_PT_PKS3_PKT0_S9_ifPKiSB_iPKfiiiSD_SD_iiiii.private_seg_size)
	.set _ZN4vllm25paged_attention_v1_kernelIfhLi120ELi32ELi128ELNS_18Fp8KVCacheDataTypeE1ELb1EEEvPT_PKS2_PKT0_S8_ifPKiSA_iPKfiiiSC_SC_iiiii.uses_vcc, or(1, .L_ZN4vllm22paged_attention_kernelIfhLi120ELi32ELi128ELNS_18Fp8KVCacheDataTypeE1ELb1ELi0EEEvPfS2_PT_PKS3_PKT0_S9_ifPKiSB_iPKfiiiSD_SD_iiiii.uses_vcc)
	.set _ZN4vllm25paged_attention_v1_kernelIfhLi120ELi32ELi128ELNS_18Fp8KVCacheDataTypeE1ELb1EEEvPT_PKS2_PKT0_S8_ifPKiSA_iPKfiiiSC_SC_iiiii.uses_flat_scratch, or(0, .L_ZN4vllm22paged_attention_kernelIfhLi120ELi32ELi128ELNS_18Fp8KVCacheDataTypeE1ELb1ELi0EEEvPfS2_PT_PKS3_PKT0_S9_ifPKiSB_iPKfiiiSD_SD_iiiii.uses_flat_scratch)
	.set _ZN4vllm25paged_attention_v1_kernelIfhLi120ELi32ELi128ELNS_18Fp8KVCacheDataTypeE1ELb1EEEvPT_PKS2_PKT0_S8_ifPKiSA_iPKfiiiSC_SC_iiiii.has_dyn_sized_stack, or(0, .L_ZN4vllm22paged_attention_kernelIfhLi120ELi32ELi128ELNS_18Fp8KVCacheDataTypeE1ELb1ELi0EEEvPfS2_PT_PKS3_PKT0_S9_ifPKiSB_iPKfiiiSD_SD_iiiii.has_dyn_sized_stack)
	.set _ZN4vllm25paged_attention_v1_kernelIfhLi120ELi32ELi128ELNS_18Fp8KVCacheDataTypeE1ELb1EEEvPT_PKS2_PKT0_S8_ifPKiSA_iPKfiiiSC_SC_iiiii.has_recursion, or(0, .L_ZN4vllm22paged_attention_kernelIfhLi120ELi32ELi128ELNS_18Fp8KVCacheDataTypeE1ELb1ELi0EEEvPfS2_PT_PKS3_PKT0_S9_ifPKiSB_iPKfiiiSD_SD_iiiii.has_recursion)
	.set _ZN4vllm25paged_attention_v1_kernelIfhLi120ELi32ELi128ELNS_18Fp8KVCacheDataTypeE1ELb1EEEvPT_PKS2_PKT0_S8_ifPKiSA_iPKfiiiSC_SC_iiiii.has_indirect_call, or(0, .L_ZN4vllm22paged_attention_kernelIfhLi120ELi32ELi128ELNS_18Fp8KVCacheDataTypeE1ELb1ELi0EEEvPfS2_PT_PKS3_PKT0_S9_ifPKiSB_iPKfiiiSD_SD_iiiii.has_indirect_call)
	.section	.AMDGPU.csdata,"",@progbits
; Kernel info:
; codeLenInByte = 260
; TotalNumSgprs: 46
; NumVgprs: 128
; ScratchSize: 1392
; MemoryBound: 0
; FloatMode: 240
; IeeeMode: 1
; LDSByteSize: 512 bytes/workgroup (compile time only)
; SGPRBlocks: 0
; VGPRBlocks: 15
; NumSGPRsForWavesPerEU: 46
; NumVGPRsForWavesPerEU: 128
; Occupancy: 8
; WaveLimiterHint : 1
; COMPUTE_PGM_RSRC2:SCRATCH_EN: 1
; COMPUTE_PGM_RSRC2:USER_SGPR: 6
; COMPUTE_PGM_RSRC2:TRAP_HANDLER: 0
; COMPUTE_PGM_RSRC2:TGID_X_EN: 1
; COMPUTE_PGM_RSRC2:TGID_Y_EN: 1
; COMPUTE_PGM_RSRC2:TGID_Z_EN: 1
; COMPUTE_PGM_RSRC2:TIDIG_COMP_CNT: 0
	.text
	.p2align	2                               ; -- Begin function _ZN4vllm22paged_attention_kernelIfhLi128ELi32ELi128ELNS_18Fp8KVCacheDataTypeE1ELb1ELi0EEEvPfS2_PT_PKS3_PKT0_S9_ifPKiSB_iPKfiiiSD_SD_iiiii
	.type	_ZN4vllm22paged_attention_kernelIfhLi128ELi32ELi128ELNS_18Fp8KVCacheDataTypeE1ELb1ELi0EEEvPfS2_PT_PKS3_PKT0_S9_ifPKiSB_iPKfiiiSD_SD_iiiii,@function
_ZN4vllm22paged_attention_kernelIfhLi128ELi32ELi128ELNS_18Fp8KVCacheDataTypeE1ELb1ELi0EEEvPfS2_PT_PKS3_PKT0_S9_ifPKiSB_iPKfiiiSD_SD_iiiii: ; @_ZN4vllm22paged_attention_kernelIfhLi128ELi32ELi128ELNS_18Fp8KVCacheDataTypeE1ELb1ELi0EEEvPfS2_PT_PKS3_PKT0_S9_ifPKiSB_iPKfiiiSD_SD_iiiii
; %bb.0:
	s_waitcnt vmcnt(0) expcnt(0) lgkmcnt(0)
	buffer_store_dword v40, off, s[0:3], s32 offset:188 ; 4-byte Folded Spill
	buffer_store_dword v41, off, s[0:3], s32 offset:184 ; 4-byte Folded Spill
	;; [unrolled: 1-line block ×47, first 2 shown]
	buffer_store_dword v127, off, s[0:3], s32 ; 4-byte Folded Spill
	s_mov_b32 s10, s13
	s_ashr_i32 s11, s13, 31
	buffer_store_dword v22, off, s[0:3], s32 offset:916 ; 4-byte Folded Spill
	buffer_store_dword v23, off, s[0:3], s32 offset:920 ; 4-byte Folded Spill
	;; [unrolled: 1-line block ×8, first 2 shown]
	s_lshl_b64 s[6:7], s[10:11], 2
	buffer_store_dword v1, off, s[0:3], s32 offset:1488 ; 4-byte Folded Spill
	buffer_store_dword v0, off, s[0:3], s32 offset:1492 ; 4-byte Folded Spill
	v_add_co_u32 v0, vcc_lo, v12, s6
	v_add_co_ci_u32_e64 v1, null, s7, v13, vcc_lo
	s_clause 0x1
	s_load_dword s5, s[8:9], 0x10
	s_load_dword s6, s[8:9], 0x0
	v_mov_b32_e32 v33, v6
	flat_load_dword v0, v[0:1]
	v_mov_b32_e32 v32, v7
	s_mov_b32 s4, s15
	s_waitcnt lgkmcnt(0)
	s_lshr_b32 s5, s5, 16
	s_cmp_lg_u32 s5, 0
	s_cselect_b32 s5, -1, 0
	s_cmp_lg_u32 s5, 0
	s_addc_u32 s11, s6, 0
	s_mov_b32 s6, exec_lo
	s_abs_i32 s5, s11
	s_waitcnt vmcnt(0)
	buffer_store_dword v0, off, s[0:3], s32 offset:200 ; 4-byte Folded Spill
	v_sub_nc_u32_e32 v0, 0, v8
	v_max_i32_e32 v0, v8, v0
	v_cvt_f32_u32_e32 v1, v0
	v_sub_nc_u32_e32 v6, 0, v0
	v_rcp_iflag_f32_e32 v1, v1
	v_mul_f32_e32 v1, 0x4f7ffffe, v1
	v_cvt_u32_f32_e32 v1, v1
	v_mul_lo_u32 v6, v6, v1
	v_mul_hi_u32 v6, v1, v6
	v_add_nc_u32_e32 v1, v1, v6
	v_mul_hi_u32 v1, s5, v1
	v_mul_lo_u32 v6, v1, v0
	v_add_nc_u32_e32 v7, 1, v1
	v_sub_nc_u32_e32 v6, s5, v6
	s_abs_i32 s5, s12
	v_sub_nc_u32_e32 v9, v6, v0
	v_cmp_ge_u32_e32 vcc_lo, v6, v0
	v_cndmask_b32_e32 v1, v1, v7, vcc_lo
	v_cndmask_b32_e32 v6, v6, v9, vcc_lo
	v_xor_b32_e32 v7, s11, v8
	v_add_nc_u32_e32 v9, 1, v1
	v_cmp_ge_u32_e32 vcc_lo, v6, v0
	v_ashrrev_i32_e32 v7, 31, v7
	v_cndmask_b32_e32 v0, v1, v9, vcc_lo
	v_xor_b32_e32 v0, v0, v7
	v_sub_nc_u32_e32 v7, v0, v7
	v_sub_nc_u32_e32 v0, 0, v7
	v_max_i32_e32 v6, v7, v0
	v_cvt_f32_u32_e32 v0, v6
	v_sub_nc_u32_e32 v1, 0, v6
	v_rcp_iflag_f32_e32 v0, v0
	v_mul_f32_e32 v0, 0x4f7ffffe, v0
	v_cvt_u32_f32_e32 v0, v0
	v_mul_lo_u32 v1, v1, v0
	v_mul_hi_u32 v1, v0, v1
	v_add_nc_u32_e32 v0, v0, v1
	v_mad_u64_u32 v[0:1], null, s5, v0, 0
	v_mov_b32_e32 v0, 0
	buffer_store_dword v0, off, s[0:3], s32 offset:912 ; 4-byte Folded Spill
	v_cmpx_ne_u64_e32 0, v[15:16]
	s_cbranch_execz .LBB212_2
; %bb.1:
	s_ashr_i32 s13, s12, 31
	s_lshl_b64 s[16:17], s[12:13], 2
	v_add_co_u32 v9, vcc_lo, v15, s16
	v_add_co_ci_u32_e64 v10, null, s17, v16, vcc_lo
	flat_load_dword v0, v[9:10]
	s_waitcnt vmcnt(0) lgkmcnt(0)
	buffer_store_dword v0, off, s[0:3], s32 offset:912 ; 4-byte Folded Spill
.LBB212_2:
	s_or_b32 exec_lo, exec_lo, s6
	v_and_b32_e32 v9, 0x3ff, v31
	v_ashrrev_i32_e32 v0, 31, v7
	s_ashr_i32 s6, s12, 31
	s_lshl_b32 s16, s12, 7
	s_mov_b32 s7, exec_lo
	buffer_store_dword v9, off, s[0:3], s32 offset:908 ; 4-byte Folded Spill
	v_cmpx_gt_u32_e32 32, v9
	s_cbranch_execz .LBB212_4
; %bb.3:
	buffer_load_dword v7, off, s[0:3], s32 offset:908 ; 4-byte Folded Reload
	v_mul_lo_u32 v9, v17, s10
	s_ashr_i32 s17, s16, 31
	s_lshl_b64 s[18:19], s[16:17], 2
	v_ashrrev_i32_e32 v10, 31, v9
	v_lshlrev_b64 v[9:10], 2, v[9:10]
	v_add_co_u32 v2, vcc_lo, v2, v9
	v_add_co_ci_u32_e64 v3, null, v3, v10, vcc_lo
	v_add_co_u32 v2, vcc_lo, v2, s18
	v_add_co_ci_u32_e64 v3, null, s19, v3, vcc_lo
	s_waitcnt vmcnt(0)
	v_lshlrev_b32_e32 v7, 4, v7
	v_add_co_u32 v2, vcc_lo, v2, v7
	v_add_co_ci_u32_e64 v3, null, 0, v3, vcc_lo
	flat_load_dwordx4 v[9:12], v[2:3]
	s_waitcnt vmcnt(0) lgkmcnt(0)
	ds_write_b128 v7, v[9:12]
.LBB212_4:
	s_or_b32 exec_lo, exec_lo, s7
	v_mul_lo_u32 v3, v1, v6
	v_sub_nc_u32_e32 v2, 0, v27
	v_xor_b32_e32 v12, s6, v0
	v_max_i32_e32 v10, v27, v2
	v_sub_nc_u32_e32 v7, s5, v3
	v_add_nc_u32_e32 v3, 1, v1
	s_mov_b32 s5, exec_lo
	v_cvt_f32_u32_e32 v2, v10
	buffer_store_dword v10, off, s[0:3], s32 offset:216 ; 4-byte Folded Spill
	v_cmp_ge_u32_e32 vcc_lo, v7, v6
	v_rcp_iflag_f32_e32 v2, v2
	v_cndmask_b32_e32 v1, v1, v3, vcc_lo
	buffer_load_dword v3, off, s[0:3], s32 offset:200 ; 4-byte Folded Reload
	v_mul_f32_e32 v2, 0x4f7ffffe, v2
	v_cvt_u32_f32_e32 v9, v2
	v_sub_nc_u32_e32 v2, 0, v10
	v_sub_nc_u32_e32 v10, v7, v6
	v_mul_lo_u32 v2, v2, v9
	v_cndmask_b32_e32 v7, v7, v10, vcc_lo
	v_add_nc_u32_e32 v10, 1, v1
	v_cmp_ge_u32_e32 vcc_lo, v7, v6
	v_mul_hi_u32 v11, v9, v2
	v_cndmask_b32_e32 v0, v1, v10, vcc_lo
	v_xor_b32_e32 v6, v0, v12
	v_add_nc_u32_e32 v1, v9, v11
	buffer_store_dword v1, off, s[0:3], s32 offset:232 ; 4-byte Folded Spill
	s_waitcnt vmcnt(0) lgkmcnt(0)
	s_waitcnt_vscnt null, 0x0
	s_barrier
	buffer_gl0_inv
	v_add_nc_u32_e32 v3, -1, v3
	v_sub_nc_u32_e32 v2, 0, v3
	v_max_i32_e32 v2, v3, v2
	v_mad_u64_u32 v[0:1], null, v2, v1, 0
	v_sub_nc_u32_e32 v0, v6, v12
                                        ; implicit-def: $vgpr6
	buffer_store_dword v6, off, s[0:3], s32 offset:220 ; 4-byte Folded Spill
	buffer_store_dword v7, off, s[0:3], s32 offset:224 ; 4-byte Folded Spill
	v_cmpx_gt_i32_e32 0, v28
	s_xor_b32 s5, exec_lo, s5
	s_cbranch_execz .LBB212_6
; %bb.5:
	v_mad_u64_u32 v[6:7], null, v24, v8, v[0:1]
                                        ; implicit-def: $vgpr24
	v_mul_lo_u32 v6, v6, v28
                                        ; implicit-def: $vgpr28
	v_sub_nc_u32_e32 v6, 1, v6
	buffer_store_dword v6, off, s[0:3], s32 offset:220 ; 4-byte Folded Spill
	buffer_store_dword v7, off, s[0:3], s32 offset:224 ; 4-byte Folded Spill
.LBB212_6:
	s_or_saveexec_b32 s5, s5
	v_ashrrev_i32_e32 v3, 31, v3
	v_ashrrev_i32_e32 v6, 31, v27
	buffer_store_dword v6, off, s[0:3], s32 offset:228 ; 4-byte Folded Spill
	s_xor_b32 exec_lo, exec_lo, s5
	s_cbranch_execz .LBB212_8
; %bb.7:
	v_mad_u64_u32 v[6:7], null, s11, v24, s[12:13]
	v_mad_u64_u32 v[6:7], null, v6, v28, 1
	buffer_store_dword v6, off, s[0:3], s32 offset:220 ; 4-byte Folded Spill
	buffer_store_dword v7, off, s[0:3], s32 offset:224 ; 4-byte Folded Spill
.LBB212_8:
	s_or_b32 exec_lo, exec_lo, s5
	buffer_load_dword v13, off, s[0:3], s32 offset:216 ; 4-byte Folded Reload
	s_clause 0x1
	s_load_dword s7, s[8:9], 0x14
	s_load_dword s12, s[8:9], 0x8
	buffer_load_dword v8, off, s[0:3], s32 offset:228 ; 4-byte Folded Reload
	v_add_nc_u32_e32 v7, 1, v1
	s_ashr_i32 s5, s4, 31
	s_getpc_b64 s[8:9]
	s_add_u32 s8, s8, llvm.amdgcn.dynlds.offset.table@rel32@lo+4
	s_addc_u32 s9, s9, llvm.amdgcn.dynlds.offset.table@rel32@hi+12
	v_mov_b32_e32 v24, 0xff7fffff
	s_lshl_b64 s[18:19], s[4:5], 2
	buffer_load_dword v10, off, s[0:3], s32 offset:908 ; 4-byte Folded Reload
	s_add_u32 s8, s8, s18
	s_addc_u32 s9, s9, s19
	s_waitcnt vmcnt(2)
	v_mul_lo_u32 v6, v1, v13
	s_waitcnt vmcnt(1)
	v_xor_b32_e32 v8, v3, v8
	buffer_load_dword v3, off, s[0:3], s32 offset:200 ; 4-byte Folded Reload
	v_sub_nc_u32_e32 v6, v2, v6
	v_mul_lo_u32 v2, v14, s10
	s_waitcnt vmcnt(1)
	v_lshrrev_b32_e32 v11, 5, v10
	v_and_b32_e32 v12, 31, v10
	v_sub_nc_u32_e32 v9, v6, v13
	v_cmp_ge_u32_e32 vcc_lo, v6, v13
	buffer_store_dword v12, off, s[0:3], s32 offset:904 ; 4-byte Folded Spill
	v_lshlrev_b32_e32 v12, 2, v12
	v_cndmask_b32_e32 v1, v1, v7, vcc_lo
	v_cndmask_b32_e32 v6, v6, v9, vcc_lo
	v_add_nc_u32_e32 v9, 1, v1
	v_cmp_ge_u32_e32 vcc_lo, v6, v13
	v_cndmask_b32_e32 v1, v1, v9, vcc_lo
	v_mul_lo_u32 v9, v0, v19
	v_sub_nc_u32_e32 v0, 0, v26
	v_xor_b32_e32 v1, v1, v8
	buffer_store_dword v0, off, s[0:3], s32 offset:1500 ; 4-byte Folded Spill
	s_waitcnt vmcnt(0)
	v_add_nc_u32_e32 v3, 31, v3
	v_ashrrev_i32_e32 v7, 31, v3
	v_lshrrev_b32_e32 v7, 27, v7
	v_add_nc_u32_e32 v0, v3, v7
	v_lshlrev_b32_e32 v3, 5, v11
	v_ashrrev_i32_e32 v6, 5, v0
	buffer_store_dword v3, off, s[0:3], s32 offset:1496 ; 4-byte Folded Spill
	v_ashrrev_i32_e32 v3, 31, v2
	v_sub_nc_u32_e32 v0, v1, v8
	v_ashrrev_i32_e32 v1, 31, v9
	v_cmp_lt_i32_e64 s4, v11, v6
	v_sub_nc_u32_e32 v0, v0, v25
	buffer_store_dword v1, off, s[0:3], s32 offset:1484 ; 4-byte Folded Spill
	v_lshlrev_b64 v[1:2], 2, v[2:3]
	buffer_store_dword v1, off, s[0:3], s32 offset:1472 ; 4-byte Folded Spill
	buffer_store_dword v2, off, s[0:3], s32 offset:1476 ; 4-byte Folded Spill
	;; [unrolled: 1-line block ×5, first 2 shown]
	v_lshrrev_b32_e32 v0, 3, v10
	buffer_store_dword v0, off, s[0:3], s32 offset:1480 ; 4-byte Folded Spill
	s_and_saveexec_b32 s13, s4
	s_cbranch_execz .LBB212_1040
; %bb.9:
	buffer_store_dword v33, off, s[0:3], s32 offset:1512 ; 4-byte Folded Spill
	buffer_store_dword v32, off, s[0:3], s32 offset:1508 ; 4-byte Folded Spill
	;; [unrolled: 1-line block ×3, first 2 shown]
	buffer_load_dword v2, off, s[0:3], s32 offset:1484 ; 4-byte Folded Reload
	v_add_co_u32 v1, vcc_lo, v4, v9
	s_clause 0x1
	buffer_load_dword v4, off, s[0:3], s32 offset:904
	buffer_load_dword v7, off, s[0:3], s32 offset:1460
	v_sub_nc_u32_e32 v0, 0, v26
	v_mov_b32_e32 v8, 0x7f800001
	v_mov_b32_e32 v29, 0
	s_load_dword s15, s[8:9], 0x0
	buffer_store_dword v9, off, s[0:3], s32 offset:1516 ; 4-byte Folded Spill
	v_max_i32_e32 v6, v26, v0
	buffer_store_dword v12, off, s[0:3], s32 offset:1520 ; 4-byte Folded Spill
	v_bfrev_b32_e32 v33, 1
	v_mov_b32_e32 v24, 0xff7fffff
	s_mov_b32 s17, 0
	buffer_store_dword v6, off, s[0:3], s32 offset:824 ; 4-byte Folded Spill
	v_cvt_f32_u32_e32 v0, v6
	v_sub_nc_u32_e32 v6, 0, v6
	v_rcp_iflag_f32_e32 v0, v0
	v_mul_f32_e32 v0, 0x4f7ffffe, v0
	v_cvt_u32_f32_e32 v0, v0
	v_mul_lo_u32 v6, v6, v0
	s_waitcnt vmcnt(2)
	v_add_co_ci_u32_e64 v2, null, v5, v2, vcc_lo
	buffer_load_dword v5, off, s[0:3], s32 offset:912 ; 4-byte Folded Reload
	s_waitcnt vmcnt(1)
	v_lshlrev_b32_e32 v22, 5, v7
	v_lshl_or_b32 v23, v7, 7, v12
	s_waitcnt vmcnt(0)
	v_cmp_neq_f32_e32 vcc_lo, 0, v5
	buffer_load_dword v5, off, s[0:3], s32 offset:200 ; 4-byte Folded Reload
	v_lshlrev_b32_e32 v3, 4, v4
	v_add_co_u32 v1, s5, v1, v3
	v_add_co_ci_u32_e64 v2, null, 0, v2, s5
	s_waitcnt vmcnt(0)
	v_sub_nc_u32_e32 v4, v4, v5
	buffer_load_dword v5, off, s[0:3], s32 offset:1480 ; 4-byte Folded Reload
	buffer_store_dword v7, off, s[0:3], s32 offset:192 ; 4-byte Folded Spill
	buffer_store_dword v8, off, s[0:3], s32 offset:196 ; 4-byte Folded Spill
	;; [unrolled: 1-line block ×4, first 2 shown]
	ds_read_b128 v[10:13], v29
	v_add_nc_u32_e32 v4, 1, v4
	v_mul_hi_u32 v1, v0, v6
	s_waitcnt lgkmcnt(0)
	buffer_store_dword v10, off, s[0:3], s32 offset:944 ; 4-byte Folded Spill
	buffer_store_dword v11, off, s[0:3], s32 offset:948 ; 4-byte Folded Spill
	;; [unrolled: 1-line block ×4, first 2 shown]
	ds_read_b128 v[8:11], v29 offset:16
	v_add_nc_u32_e32 v0, v0, v1
	s_waitcnt lgkmcnt(0)
	buffer_store_dword v8, off, s[0:3], s32 offset:960 ; 4-byte Folded Spill
	buffer_store_dword v9, off, s[0:3], s32 offset:964 ; 4-byte Folded Spill
	buffer_store_dword v10, off, s[0:3], s32 offset:968 ; 4-byte Folded Spill
	buffer_store_dword v11, off, s[0:3], s32 offset:972 ; 4-byte Folded Spill
	ds_read_b128 v[8:11], v29 offset:32
	s_waitcnt lgkmcnt(0)
	buffer_store_dword v8, off, s[0:3], s32 offset:976 ; 4-byte Folded Spill
	buffer_store_dword v9, off, s[0:3], s32 offset:980 ; 4-byte Folded Spill
	buffer_store_dword v10, off, s[0:3], s32 offset:984 ; 4-byte Folded Spill
	buffer_store_dword v11, off, s[0:3], s32 offset:988 ; 4-byte Folded Spill
	ds_read_b128 v[8:11], v29 offset:48
	;; [unrolled: 6-line block ×4, first 2 shown]
	s_waitcnt lgkmcnt(0)
	buffer_store_dword v8, off, s[0:3], s32 offset:1024 ; 4-byte Folded Spill
	buffer_store_dword v9, off, s[0:3], s32 offset:1028 ; 4-byte Folded Spill
	;; [unrolled: 1-line block ×4, first 2 shown]
	s_clause 0x1
	buffer_load_dword v2, off, s[0:3], s32 offset:1472
	buffer_load_dword v3, off, s[0:3], s32 offset:1476
	buffer_store_dword v4, off, s[0:3], s32 offset:1040 ; 4-byte Folded Spill
	buffer_load_dword v4, off, s[0:3], s32 offset:1468 ; 4-byte Folded Reload
	s_waitcnt vmcnt(3)
	v_and_b32_e32 v5, 0x7c, v5
	s_waitcnt vmcnt(2)
	v_add_co_u32 v2, s5, v5, v2
	s_waitcnt vmcnt(1)
	v_add_co_ci_u32_e64 v3, null, 0, v3, s5
	s_waitcnt vmcnt(0)
	v_add_co_u32 v4, s5, v4, v2
	buffer_load_dword v2, off, s[0:3], s32 offset:1464 ; 4-byte Folded Reload
	s_waitcnt vmcnt(0)
	v_add_co_ci_u32_e64 v5, null, v2, v3, s5
	buffer_store_dword v4, off, s[0:3], s32 offset:208 ; 4-byte Folded Spill
	buffer_store_dword v5, off, s[0:3], s32 offset:212 ; 4-byte Folded Spill
	buffer_store_dword v0, off, s[0:3], s32 offset:828 ; 4-byte Folded Spill
	ds_read_b128 v[0:3], v29 offset:96
	s_waitcnt lgkmcnt(0)
	buffer_store_dword v0, off, s[0:3], s32 offset:1044 ; 4-byte Folded Spill
	buffer_store_dword v1, off, s[0:3], s32 offset:1048 ; 4-byte Folded Spill
	buffer_store_dword v2, off, s[0:3], s32 offset:1052 ; 4-byte Folded Spill
	buffer_store_dword v3, off, s[0:3], s32 offset:1056 ; 4-byte Folded Spill
	ds_read_b128 v[0:3], v29 offset:112
	s_waitcnt lgkmcnt(0)
	buffer_store_dword v0, off, s[0:3], s32 offset:1060 ; 4-byte Folded Spill
	;; [unrolled: 6-line block ×26, first 2 shown]
	buffer_store_dword v1, off, s[0:3], s32 offset:1448 ; 4-byte Folded Spill
	buffer_store_dword v2, off, s[0:3], s32 offset:1452 ; 4-byte Folded Spill
	;; [unrolled: 1-line block ×3, first 2 shown]
	s_branch .LBB212_15
.LBB212_10:                             ;   in Loop: Header=BB212_15 Depth=1
	s_or_b32 exec_lo, exec_lo, s21
	v_mov_b32_e32 v4, 24
	v_lshlrev_b32_e32 v28, 20, v28
	v_lshl_add_u32 v32, v32, 23, 0x3c000000
	v_mov_b32_e32 v64, v29
	v_lshlrev_b32_sdwa v48, v4, v97 dst_sel:DWORD dst_unused:UNUSED_PAD src0_sel:DWORD src1_sel:BYTE_3
	v_and_b32_e32 v48, 0x80000000, v48
	v_or3_b32 v65, v28, v48, v32
.LBB212_11:                             ;   in Loop: Header=BB212_15 Depth=1
	s_or_b32 exec_lo, exec_lo, s20
.LBB212_12:                             ;   in Loop: Header=BB212_15 Depth=1
	s_or_b32 exec_lo, exec_lo, s19
.LBB212_13:                             ;   in Loop: Header=BB212_15 Depth=1
	s_or_b32 exec_lo, exec_lo, s18
	v_or_b32_e32 v0, v0, v70
	v_or_b32_e32 v4, v31, v13
	;; [unrolled: 1-line block ×5, first 2 shown]
	buffer_store_dword v0, off, s[0:3], s32 offset:852 ; 4-byte Folded Spill
	v_or_b32_e32 v0, v21, v15
	buffer_store_dword v4, off, s[0:3], s32 offset:848 ; 4-byte Folded Spill
	v_or_b32_e32 v4, v30, v12
	;; [unrolled: 2-line block ×5, first 2 shown]
	v_or_b32_e32 v82, v102, v82
	v_or_b32_e32 v85, v85, v113
	buffer_store_dword v0, off, s[0:3], s32 offset:872 ; 4-byte Folded Spill
	v_or_b32_e32 v0, v59, v55
	v_or_b32_e32 v31, v11, v41
	v_or_b32_e32 v11, v9, v115
	v_or_b32_e32 v8, v8, v114
	v_or_b32_e32 v98, v118, v98
	buffer_store_dword v0, off, s[0:3], s32 offset:860 ; 4-byte Folded Spill
	v_or_b32_e32 v0, v58, v54
	v_or_b32_e32 v117, v117, v45
	v_or_b32_e32 v22, v16, v18
	;; [unrolled: 6-line block ×8, first 2 shown]
	v_or_b32_e32 v37, v37, v53
	v_or_b32_e32 v50, v64, v50
	buffer_store_dword v0, off, s[0:3], s32 offset:896 ; 4-byte Folded Spill
	v_or_b32_e32 v0, v94, v122
	buffer_store_dword v0, off, s[0:3], s32 offset:900 ; 4-byte Folded Spill
	s_clause 0x1
	buffer_load_dword v0, off, s[0:3], s32 offset:812
	buffer_load_dword v1, off, s[0:3], s32 offset:816
	s_waitcnt vmcnt(1)
	v_or_b32_e32 v99, v68, v0
	s_waitcnt vmcnt(0)
	v_or_b32_e32 v69, v69, v1
	s_clause 0x3
	buffer_load_dword v0, off, s[0:3], s32 offset:780
	buffer_load_dword v1, off, s[0:3], s32 offset:784
	;; [unrolled: 1-line block ×4, first 2 shown]
	v_or_b32_e32 v68, v103, v83
	s_waitcnt vmcnt(1)
	v_or_b32_e32 v102, v2, v0
	s_waitcnt vmcnt(0)
	v_or_b32_e32 v101, v3, v1
	s_clause 0x3
	buffer_load_dword v0, off, s[0:3], s32 offset:796
	buffer_load_dword v1, off, s[0:3], s32 offset:800
	buffer_load_dword v2, off, s[0:3], s32 offset:804
	buffer_load_dword v3, off, s[0:3], s32 offset:808
	s_waitcnt vmcnt(1)
	v_or_b32_e32 v86, v0, v2
	s_waitcnt vmcnt(0)
	v_or_b32_e32 v83, v1, v3
	s_clause 0x3
	buffer_load_dword v0, off, s[0:3], s32 offset:748
	buffer_load_dword v1, off, s[0:3], s32 offset:752
	buffer_load_dword v2, off, s[0:3], s32 offset:756
	buffer_load_dword v3, off, s[0:3], s32 offset:760
	;; [unrolled: 9-line block ×33, first 2 shown]
	v_mul_f32_e32 v49, v96, v49
	s_waitcnt vmcnt(1)
	v_or_b32_e32 v17, v0, v2
	s_waitcnt vmcnt(0)
	v_or_b32_e32 v10, v1, v3
	s_clause 0x1
	buffer_load_dword v0, off, s[0:3], s32 offset:244
	buffer_load_dword v1, off, s[0:3], s32 offset:248
	s_waitcnt vmcnt(1)
	v_or_b32_e32 v15, v0, v6
	s_waitcnt vmcnt(0)
	v_or_b32_e32 v19, v1, v7
	s_clause 0x7
	buffer_load_dword v0, off, s[0:3], s32 offset:252
	buffer_load_dword v1, off, s[0:3], s32 offset:256
	;; [unrolled: 1-line block ×8, first 2 shown]
	v_mul_f32_e32 v15, v96, v15
	s_waitcnt vmcnt(3)
	v_mul_f32_e32 v51, v4, v49
	v_or_b32_e32 v23, v0, v2
	v_or_b32_e32 v25, v1, v3
	s_clause 0x3
	buffer_load_dword v0, off, s[0:3], s32 offset:944
	buffer_load_dword v1, off, s[0:3], s32 offset:948
	;; [unrolled: 1-line block ×4, first 2 shown]
	s_waitcnt vmcnt(3)
	v_fmac_f32_e32 v51, v0, v15
	v_mul_f32_e32 v0, v96, v9
	v_mul_f32_e32 v15, v96, v19
	;; [unrolled: 1-line block ×4, first 2 shown]
	s_waitcnt vmcnt(2)
	v_fmac_f32_e32 v53, v1, v15
	v_mul_f32_e32 v64, v6, v0
	v_mul_f32_e32 v0, v96, v10
	;; [unrolled: 1-line block ×5, first 2 shown]
	s_waitcnt vmcnt(1)
	v_fmac_f32_e32 v64, v2, v15
	v_mul_f32_e32 v0, v96, v26
	s_waitcnt vmcnt(0)
	v_fmac_f32_e32 v65, v3, v1
	s_clause 0x3
	buffer_load_dword v1, off, s[0:3], s32 offset:976
	buffer_load_dword v2, off, s[0:3], s32 offset:980
	;; [unrolled: 1-line block ×4, first 2 shown]
	s_waitcnt vmcnt(3)
	v_fmac_f32_e32 v51, v1, v0
	v_mul_f32_e32 v0, v96, v67
	s_waitcnt vmcnt(2)
	v_fmac_f32_e32 v53, v2, v0
	v_mul_f32_e32 v0, v96, v34
	s_waitcnt vmcnt(1)
	v_fmac_f32_e32 v64, v3, v0
	v_mul_f32_e32 v0, v96, v27
	s_waitcnt vmcnt(0)
	v_fmac_f32_e32 v65, v4, v0
	s_clause 0x3
	buffer_load_dword v1, off, s[0:3], s32 offset:992
	buffer_load_dword v2, off, s[0:3], s32 offset:996
	buffer_load_dword v3, off, s[0:3], s32 offset:1000
	buffer_load_dword v4, off, s[0:3], s32 offset:1004
	v_mul_f32_e32 v0, v96, v81
	s_waitcnt vmcnt(3)
	v_fmac_f32_e32 v51, v1, v0
	v_mul_f32_e32 v0, v96, v66
	s_waitcnt vmcnt(2)
	v_fmac_f32_e32 v53, v2, v0
	v_mul_f32_e32 v0, v96, v35
	s_waitcnt vmcnt(1)
	v_fmac_f32_e32 v64, v3, v0
	v_mul_f32_e32 v0, v96, v80
	s_waitcnt vmcnt(0)
	v_fmac_f32_e32 v65, v4, v0
	s_clause 0x3
	buffer_load_dword v1, off, s[0:3], s32 offset:1008
	buffer_load_dword v2, off, s[0:3], s32 offset:1012
	buffer_load_dword v3, off, s[0:3], s32 offset:1016
	buffer_load_dword v4, off, s[0:3], s32 offset:1020
	v_mul_f32_e32 v0, v96, v125
	;; [unrolled: 17-line block ×23, first 2 shown]
	s_waitcnt vmcnt(3)
	v_fmac_f32_e32 v51, v1, v0
	buffer_load_dword v0, off, s[0:3], s32 offset:896 ; 4-byte Folded Reload
	s_waitcnt vmcnt(0)
	v_mul_f32_e32 v0, v96, v0
	v_fmac_f32_e32 v53, v2, v0
	buffer_load_dword v0, off, s[0:3], s32 offset:900 ; 4-byte Folded Reload
	s_waitcnt vmcnt(0)
	v_mul_f32_e32 v0, v96, v0
	v_fmac_f32_e32 v64, v3, v0
	v_mul_f32_e32 v0, v96, v24
	v_fmac_f32_e32 v65, v4, v0
	s_clause 0x3
	buffer_load_dword v1, off, s[0:3], s32 offset:1364
	buffer_load_dword v2, off, s[0:3], s32 offset:1368
	;; [unrolled: 1-line block ×4, first 2 shown]
	v_mul_f32_e32 v0, v96, v28
	s_waitcnt vmcnt(3)
	v_fmac_f32_e32 v51, v1, v0
	v_mul_f32_e32 v0, v96, v13
	s_waitcnt vmcnt(2)
	v_fmac_f32_e32 v53, v2, v0
	;; [unrolled: 3-line block ×4, first 2 shown]
	s_clause 0x4
	buffer_load_dword v0, off, s[0:3], s32 offset:892
	buffer_load_dword v1, off, s[0:3], s32 offset:1380
	;; [unrolled: 1-line block ×5, first 2 shown]
	s_waitcnt vmcnt(4)
	v_mul_f32_e32 v0, v96, v0
	s_waitcnt vmcnt(3)
	v_fmac_f32_e32 v51, v1, v0
	buffer_load_dword v0, off, s[0:3], s32 offset:888 ; 4-byte Folded Reload
	s_waitcnt vmcnt(0)
	v_mul_f32_e32 v0, v96, v0
	v_fmac_f32_e32 v53, v2, v0
	v_mul_f32_e32 v0, v96, v20
	v_fmac_f32_e32 v64, v3, v0
	;; [unrolled: 2-line block ×3, first 2 shown]
	s_clause 0x4
	buffer_load_dword v0, off, s[0:3], s32 offset:884
	buffer_load_dword v1, off, s[0:3], s32 offset:1396
	;; [unrolled: 1-line block ×5, first 2 shown]
	s_waitcnt vmcnt(4)
	v_mul_f32_e32 v0, v96, v0
	s_waitcnt vmcnt(3)
	v_fmac_f32_e32 v51, v1, v0
	buffer_load_dword v0, off, s[0:3], s32 offset:880 ; 4-byte Folded Reload
	s_waitcnt vmcnt(0)
	v_mul_f32_e32 v0, v96, v0
	v_fmac_f32_e32 v53, v2, v0
	v_mul_f32_e32 v0, v96, v22
	v_fmac_f32_e32 v64, v3, v0
	buffer_load_dword v0, off, s[0:3], s32 offset:876 ; 4-byte Folded Reload
	s_waitcnt vmcnt(0)
	v_mul_f32_e32 v0, v96, v0
	v_fmac_f32_e32 v65, v4, v0
	s_clause 0x4
	buffer_load_dword v0, off, s[0:3], s32 offset:872
	buffer_load_dword v1, off, s[0:3], s32 offset:1412
	;; [unrolled: 1-line block ×5, first 2 shown]
	s_waitcnt vmcnt(4)
	v_mul_f32_e32 v0, v96, v0
	s_waitcnt vmcnt(3)
	v_fmac_f32_e32 v51, v1, v0
	buffer_load_dword v0, off, s[0:3], s32 offset:864 ; 4-byte Folded Reload
	s_waitcnt vmcnt(0)
	v_mul_f32_e32 v0, v96, v0
	v_fmac_f32_e32 v53, v2, v0
	buffer_load_dword v0, off, s[0:3], s32 offset:868 ; 4-byte Folded Reload
	s_waitcnt vmcnt(0)
	v_mul_f32_e32 v0, v96, v0
	;; [unrolled: 4-line block ×3, first 2 shown]
	v_fmac_f32_e32 v65, v4, v0
	s_clause 0x4
	buffer_load_dword v0, off, s[0:3], s32 offset:856
	buffer_load_dword v1, off, s[0:3], s32 offset:1428
	;; [unrolled: 1-line block ×5, first 2 shown]
	s_waitcnt vmcnt(4)
	v_mul_f32_e32 v0, v96, v0
	s_waitcnt vmcnt(3)
	v_fmac_f32_e32 v51, v1, v0
	buffer_load_dword v0, off, s[0:3], s32 offset:848 ; 4-byte Folded Reload
	v_mul_f32_e32 v1, v96, v50
	s_waitcnt vmcnt(0)
	v_mul_f32_e32 v0, v96, v0
	v_fmac_f32_e32 v53, v2, v0
	s_clause 0x4
	buffer_load_dword v0, off, s[0:3], s32 offset:852
	buffer_load_dword v5, off, s[0:3], s32 offset:1444
	buffer_load_dword v6, off, s[0:3], s32 offset:1448
	buffer_load_dword v7, off, s[0:3], s32 offset:1452
	buffer_load_dword v8, off, s[0:3], s32 offset:1456
	v_mul_f32_e32 v2, v96, v36
	s_waitcnt vmcnt(4)
	v_mul_f32_e32 v0, v96, v0
	v_fmac_f32_e32 v64, v3, v0
	v_mul_f32_e32 v0, v96, v52
	s_waitcnt vmcnt(1)
	v_fmac_f32_e32 v64, v7, v1
	v_fmac_f32_e32 v51, v5, v0
	v_mul_f32_e32 v0, v96, v37
	v_fmac_f32_e32 v53, v6, v0
	s_clause 0x2
	buffer_load_dword v0, off, s[0:3], s32 offset:844
	buffer_load_dword v22, off, s[0:3], s32 offset:832
	;; [unrolled: 1-line block ×3, first 2 shown]
	s_load_dword s18, s[8:9], 0x0
	s_clause 0x1
	buffer_load_dword v23, off, s[0:3], s32 offset:836
	buffer_load_dword v24, off, s[0:3], s32 offset:840
	s_waitcnt vmcnt(4)
	v_mul_f32_e32 v0, v96, v0
	s_waitcnt vmcnt(2)
	v_add_nc_u32_e32 v1, v1, v22
	v_fmac_f32_e32 v65, v4, v0
	v_cvt_f32_i32_e32 v1, v1
	v_add_f32_e32 v0, v51, v53
	v_fmac_f32_e32 v65, v8, v2
	buffer_load_dword v2, off, s[0:3], s32 offset:912 ; 4-byte Folded Reload
	v_add_f32_e32 v0, v64, v0
	v_add_f32_e32 v0, v65, v0
	s_waitcnt vmcnt(0)
	v_mul_f32_e32 v1, v2, v1
	buffer_load_dword v2, off, s[0:3], s32 offset:932 ; 4-byte Folded Reload
	v_cndmask_b32_e32 v1, 0, v1, vcc_lo
	s_waitcnt vmcnt(0)
	v_fmac_f32_e32 v1, v2, v0
	s_clause 0x1
	buffer_load_dword v0, off, s[0:3], s32 offset:904
	buffer_load_dword v2, off, s[0:3], s32 offset:200
	s_waitcnt vmcnt(1)
	v_add_nc_u32_e32 v0, v0, v22
	s_waitcnt vmcnt(0)
	v_cmp_lt_i32_e64 s5, v0, v2
	s_waitcnt lgkmcnt(0)
	v_add_nc_u32_e32 v0, s18, v23
	v_cndmask_b32_e64 v2, 0, v1, s5
	ds_write_b32 v0, v2
	v_max_f32_e32 v0, v24, v24
	v_max_f32_e32 v0, v0, v1
	v_cndmask_b32_e64 v24, v24, v0, s5
.LBB212_14:                             ;   in Loop: Header=BB212_15 Depth=1
	s_or_b32 exec_lo, exec_lo, s6
	s_clause 0x2
	buffer_load_dword v7, off, s[0:3], s32 offset:240
	buffer_load_dword v0, off, s[0:3], s32 offset:208
	;; [unrolled: 1-line block ×3, first 2 shown]
	v_add_nc_u32_e32 v22, 0x80, v22
	v_add_nc_u32_e32 v23, 0x200, v23
	s_waitcnt vmcnt(1)
	v_add_co_u32 v0, s5, v0, 16
	s_waitcnt vmcnt(0)
	v_add_co_ci_u32_e64 v1, null, 0, v1, s5
	v_add_nc_u32_e32 v7, 4, v7
	buffer_store_dword v0, off, s[0:3], s32 offset:208 ; 4-byte Folded Spill
	buffer_store_dword v1, off, s[0:3], s32 offset:212 ; 4-byte Folded Spill
	buffer_load_dword v0, off, s[0:3], s32 offset:204 ; 4-byte Folded Reload
	s_waitcnt vmcnt(0)
	v_cmp_ge_i32_e64 s5, v7, v0
	s_or_b32 s17, s5, s17
	s_andn2_b32 exec_lo, exec_lo, s17
	s_cbranch_execz .LBB212_1039
.LBB212_15:                             ; =>This Inner Loop Header: Depth=1
	s_clause 0x1
	buffer_load_dword v0, off, s[0:3], s32 offset:232
	buffer_load_dword v4, off, s[0:3], s32 offset:216
	buffer_store_dword v7, off, s[0:3], s32 offset:240 ; 4-byte Folded Spill
	s_waitcnt vmcnt(1)
	v_mul_hi_u32 v0, v22, v0
	s_waitcnt vmcnt(0)
	v_mul_lo_u32 v1, v0, v4
	v_add_nc_u32_e32 v2, 1, v0
	v_sub_nc_u32_e32 v1, v22, v1
	v_sub_nc_u32_e32 v3, v1, v4
	v_cmp_ge_u32_e64 s5, v1, v4
	v_cndmask_b32_e64 v1, v1, v3, s5
	v_cndmask_b32_e64 v0, v0, v2, s5
	v_cmp_ge_u32_e64 s5, v1, v4
	buffer_load_dword v1, off, s[0:3], s32 offset:228 ; 4-byte Folded Reload
	v_add_nc_u32_e32 v2, 1, v0
	v_cndmask_b32_e64 v0, v0, v2, s5
	s_waitcnt vmcnt(0)
	v_xor_b32_e32 v0, v0, v1
	v_sub_nc_u32_e32 v0, v0, v1
	s_clause 0x3
	buffer_load_dword v1, off, s[0:3], s32 offset:220
	buffer_load_dword v2, off, s[0:3], s32 offset:224
	;; [unrolled: 1-line block ×4, first 2 shown]
	s_waitcnt vmcnt(3)
	v_add_nc_u32_e32 v1, v0, v1
	s_waitcnt vmcnt(2)
	v_sub_nc_u32_e32 v2, 0, v1
	v_max_i32_e32 v2, v1, v2
	v_ashrrev_i32_e32 v1, 31, v1
	s_waitcnt vmcnt(1)
	v_mul_hi_u32 v3, v2, v3
	s_waitcnt vmcnt(0)
	v_mul_lo_u32 v3, v3, v4
	v_sub_nc_u32_e32 v2, v2, v3
	v_sub_nc_u32_e32 v3, v2, v4
	v_cmp_ge_u32_e64 s5, v2, v4
	v_cndmask_b32_e64 v2, v2, v3, s5
	v_sub_nc_u32_e32 v3, v2, v4
	v_cmp_ge_u32_e64 s5, v2, v4
	v_cndmask_b32_e64 v2, v2, v3, s5
	v_xor_b32_e32 v2, v2, v1
	v_sub_nc_u32_e32 v1, v2, v1
	v_cmp_ne_u32_e64 s5, 0, v1
	buffer_load_dword v1, off, s[0:3], s32 offset:236 ; 4-byte Folded Reload
	s_waitcnt vmcnt(0)
	v_cmp_le_i32_e64 s6, v0, v1
	s_and_b32 s5, s5, s6
	s_and_saveexec_b32 s6, s5
	s_xor_b32 s5, exec_lo, s6
; %bb.16:                               ;   in Loop: Header=BB212_15 Depth=1
	v_add_nc_u32_e32 v0, s15, v23
	v_mov_b32_e32 v1, 0xff7fffff
	ds_write_b32 v0, v1
; %bb.17:                               ;   in Loop: Header=BB212_15 Depth=1
	s_andn2_saveexec_b32 s6, s5
	s_cbranch_execz .LBB212_14
; %bb.18:                               ;   in Loop: Header=BB212_15 Depth=1
	s_clause 0x1
	buffer_load_dword v0, off, s[0:3], s32 offset:208
	buffer_load_dword v1, off, s[0:3], s32 offset:212
	v_mov_b32_e32 v86, 0
	v_mov_b32_e32 v87, 0
	s_waitcnt vmcnt(0)
	flat_load_dword v0, v[0:1]
	s_clause 0x2
	buffer_load_dword v1, off, s[0:3], s32 offset:820
	buffer_load_dword v2, off, s[0:3], s32 offset:936
	;; [unrolled: 1-line block ×3, first 2 shown]
	s_waitcnt vmcnt(0) lgkmcnt(0)
	v_mad_i64_i32 v[0:1], null, v0, v1, v[2:3]
	flat_load_dword v2, v[0:1]
	s_clause 0x1
	buffer_load_dword v3, off, s[0:3], s32 offset:924
	buffer_load_dword v4, off, s[0:3], s32 offset:928
	s_waitcnt vmcnt(2) lgkmcnt(0)
	v_cmp_ne_u16_sdwa s5, v2, v29 src0_sel:BYTE_0 src1_sel:DWORD
	s_waitcnt vmcnt(0)
	flat_load_dword v96, v[3:4]
	v_mov_b32_e32 v3, 0
	v_mov_b32_e32 v4, 0
	buffer_store_dword v3, off, s[0:3], s32 offset:244 ; 4-byte Folded Spill
	buffer_store_dword v4, off, s[0:3], s32 offset:248 ; 4-byte Folded Spill
	s_and_saveexec_b32 s18, s5
	s_cbranch_execz .LBB212_26
; %bb.19:                               ;   in Loop: Header=BB212_15 Depth=1
	v_mov_b32_e32 v3, 0x80
	v_bfrev_b32_e32 v86, 1
	v_mov_b32_e32 v87, 0
	v_cmp_ne_u16_sdwa s5, v2, v3 src0_sel:BYTE_0 src1_sel:DWORD
	s_and_saveexec_b32 s19, s5
	s_cbranch_execz .LBB212_25
; %bb.20:                               ;   in Loop: Header=BB212_15 Depth=1
	v_mov_b32_e32 v86, 0x7f800001
	v_and_b32_e32 v4, 0x7f, v2
	v_mov_b32_e32 v87, 0
	s_mov_b32 s20, exec_lo
	v_cmpx_ne_u32_e32 0x7f, v4
	s_cbranch_execz .LBB212_24
; %bb.21:                               ;   in Loop: Header=BB212_15 Depth=1
	v_and_b32_e32 v28, 7, v2
	v_lshrrev_b32_e32 v3, 3, v4
	s_mov_b32 s21, exec_lo
	v_cmpx_gt_u32_e32 8, v4
; %bb.22:                               ;   in Loop: Header=BB212_15 Depth=1
	v_ffbh_u32_e32 v3, v28
	v_min_u32_e32 v3, 32, v3
	v_subrev_nc_u32_e32 v4, 28, v3
	v_sub_nc_u32_e32 v3, 29, v3
	v_lshlrev_b64 v[4:5], v4, v[28:29]
	v_and_b32_e32 v28, 7, v4
; %bb.23:                               ;   in Loop: Header=BB212_15 Depth=1
	s_or_b32 exec_lo, exec_lo, s21
	v_lshlrev_b32_e32 v4, 24, v2
	v_lshlrev_b32_e32 v5, 20, v28
	v_lshl_add_u32 v3, v3, 23, 0x3c000000
	v_and_b32_e32 v4, 0x80000000, v4
	v_or3_b32 v28, v5, v4, v3
	v_mov_b32_e32 v87, v29
	v_mov_b32_e32 v86, v28
.LBB212_24:                             ;   in Loop: Header=BB212_15 Depth=1
	s_or_b32 exec_lo, exec_lo, s20
.LBB212_25:                             ;   in Loop: Header=BB212_15 Depth=1
	s_or_b32 exec_lo, exec_lo, s19
.LBB212_26:                             ;   in Loop: Header=BB212_15 Depth=1
	s_or_b32 exec_lo, exec_lo, s18
	v_cmp_ne_u16_sdwa s5, v2, v29 src0_sel:BYTE_1 src1_sel:DWORD
	s_and_saveexec_b32 s18, s5
	s_cbranch_execz .LBB212_34
; %bb.27:                               ;   in Loop: Header=BB212_15 Depth=1
	v_mov_b32_e32 v3, 0x80
	v_mov_b32_e32 v32, v29
	buffer_store_dword v32, off, s[0:3], s32 offset:244 ; 4-byte Folded Spill
	buffer_store_dword v33, off, s[0:3], s32 offset:248 ; 4-byte Folded Spill
	v_cmp_ne_u16_sdwa s5, v2, v3 src0_sel:BYTE_1 src1_sel:DWORD
	s_and_saveexec_b32 s19, s5
	s_cbranch_execz .LBB212_33
; %bb.28:                               ;   in Loop: Header=BB212_15 Depth=1
	s_clause 0x1
	buffer_load_dword v5, off, s[0:3], s32 offset:192
	buffer_load_dword v6, off, s[0:3], s32 offset:196
	v_mov_b32_e32 v3, 0xffff
	s_mov_b32 s20, exec_lo
	v_and_b32_sdwa v3, v3, v2 dst_sel:DWORD dst_unused:UNUSED_PAD src0_sel:DWORD src1_sel:BYTE_1
	v_and_b32_e32 v4, 0x7f, v3
	s_waitcnt vmcnt(0)
	v_mov_b32_e32 v7, v6
	v_mov_b32_e32 v6, v29
	v_mov_b32_e32 v5, v7
	buffer_store_dword v4, off, s[0:3], s32 offset:192 ; 4-byte Folded Spill
	buffer_store_dword v5, off, s[0:3], s32 offset:196 ; 4-byte Folded Spill
	;; [unrolled: 1-line block ×4, first 2 shown]
	v_cmpx_ne_u32_e32 0x7f, v4
	s_cbranch_execz .LBB212_32
; %bb.29:                               ;   in Loop: Header=BB212_15 Depth=1
	v_and_b32_e32 v28, 7, v3
	v_lshrrev_b32_e32 v3, 3, v4
	s_mov_b32 s21, exec_lo
	v_cmpx_gt_u32_e32 8, v4
; %bb.30:                               ;   in Loop: Header=BB212_15 Depth=1
	v_ffbh_u32_e32 v3, v28
	v_min_u32_e32 v3, 32, v3
	v_subrev_nc_u32_e32 v4, 28, v3
	v_sub_nc_u32_e32 v3, 29, v3
	v_lshlrev_b64 v[4:5], v4, v[28:29]
	v_and_b32_e32 v28, 7, v4
; %bb.31:                               ;   in Loop: Header=BB212_15 Depth=1
	s_or_b32 exec_lo, exec_lo, s21
	v_lshlrev_b32_e32 v4, 16, v2
	v_lshlrev_b32_e32 v5, 20, v28
	v_lshl_add_u32 v3, v3, 23, 0x3c000000
	v_and_b32_e32 v4, 0x80000000, v4
	v_or3_b32 v4, v5, v4, v3
	v_mov_b32_e32 v3, v29
	buffer_store_dword v3, off, s[0:3], s32 offset:244 ; 4-byte Folded Spill
	buffer_store_dword v4, off, s[0:3], s32 offset:248 ; 4-byte Folded Spill
.LBB212_32:                             ;   in Loop: Header=BB212_15 Depth=1
	s_or_b32 exec_lo, exec_lo, s20
.LBB212_33:                             ;   in Loop: Header=BB212_15 Depth=1
	s_or_b32 exec_lo, exec_lo, s19
.LBB212_34:                             ;   in Loop: Header=BB212_15 Depth=1
	s_or_b32 exec_lo, exec_lo, s18
	v_mov_b32_e32 v4, 0
	v_mov_b32_e32 v5, 0
	;; [unrolled: 1-line block ×3, first 2 shown]
	s_mov_b32 s18, exec_lo
	buffer_store_dword v4, off, s[0:3], s32 offset:252 ; 4-byte Folded Spill
	buffer_store_dword v5, off, s[0:3], s32 offset:256 ; 4-byte Folded Spill
	v_mov_b32_e32 v4, 0
	v_and_b32_sdwa v3, v2, v3 dst_sel:DWORD dst_unused:UNUSED_PAD src0_sel:WORD_1 src1_sel:DWORD
	v_mov_b32_e32 v5, 0
	buffer_store_dword v4, off, s[0:3], s32 offset:260 ; 4-byte Folded Spill
	buffer_store_dword v5, off, s[0:3], s32 offset:264 ; 4-byte Folded Spill
	v_cmpx_ne_u16_e32 0, v3
	s_cbranch_execz .LBB212_42
; %bb.35:                               ;   in Loop: Header=BB212_15 Depth=1
	v_cmp_ne_u16_e64 s5, 0x80, v3
	v_bfrev_b32_e32 v3, 1
	v_mov_b32_e32 v4, 0
	buffer_store_dword v3, off, s[0:3], s32 offset:260 ; 4-byte Folded Spill
	buffer_store_dword v4, off, s[0:3], s32 offset:264 ; 4-byte Folded Spill
	s_and_saveexec_b32 s19, s5
	s_cbranch_execz .LBB212_41
; %bb.36:                               ;   in Loop: Header=BB212_15 Depth=1
	v_mov_b32_e32 v5, 0x7f800001
	v_bfe_u32 v4, v2, 16, 7
	v_mov_b32_e32 v6, 0
	s_mov_b32 s20, exec_lo
	buffer_store_dword v5, off, s[0:3], s32 offset:260 ; 4-byte Folded Spill
	buffer_store_dword v6, off, s[0:3], s32 offset:264 ; 4-byte Folded Spill
	v_cmpx_ne_u32_e32 0x7f, v4
	s_cbranch_execz .LBB212_40
; %bb.37:                               ;   in Loop: Header=BB212_15 Depth=1
	v_mov_b32_e32 v3, 7
	s_mov_b32 s21, exec_lo
	v_and_b32_sdwa v28, v2, v3 dst_sel:DWORD dst_unused:UNUSED_PAD src0_sel:WORD_1 src1_sel:DWORD
	v_lshrrev_b32_e32 v3, 3, v4
	v_cmpx_gt_u32_e32 8, v4
; %bb.38:                               ;   in Loop: Header=BB212_15 Depth=1
	v_ffbh_u32_e32 v3, v28
	v_min_u32_e32 v3, 32, v3
	v_subrev_nc_u32_e32 v4, 28, v3
	v_sub_nc_u32_e32 v3, 29, v3
	v_lshlrev_b64 v[4:5], v4, v[28:29]
	v_and_b32_e32 v28, 7, v4
; %bb.39:                               ;   in Loop: Header=BB212_15 Depth=1
	s_or_b32 exec_lo, exec_lo, s21
	v_mov_b32_e32 v4, 24
	v_lshlrev_b32_e32 v5, 20, v28
	v_lshl_add_u32 v3, v3, 23, 0x3c000000
	v_lshlrev_b32_sdwa v4, v4, v2 dst_sel:DWORD dst_unused:UNUSED_PAD src0_sel:DWORD src1_sel:WORD_1
	v_and_b32_e32 v4, 0x80000000, v4
	v_or3_b32 v28, v5, v4, v3
	buffer_store_dword v28, off, s[0:3], s32 offset:260 ; 4-byte Folded Spill
	buffer_store_dword v29, off, s[0:3], s32 offset:264 ; 4-byte Folded Spill
.LBB212_40:                             ;   in Loop: Header=BB212_15 Depth=1
	s_or_b32 exec_lo, exec_lo, s20
.LBB212_41:                             ;   in Loop: Header=BB212_15 Depth=1
	s_or_b32 exec_lo, exec_lo, s19
.LBB212_42:                             ;   in Loop: Header=BB212_15 Depth=1
	s_or_b32 exec_lo, exec_lo, s18
	s_mov_b32 s18, exec_lo
	v_cmpx_lt_u32_e32 0xffffff, v2
	s_cbranch_execz .LBB212_50
; %bb.43:                               ;   in Loop: Header=BB212_15 Depth=1
	v_mov_b32_e32 v3, 0x80
	v_mov_b32_e32 v32, v29
	buffer_store_dword v32, off, s[0:3], s32 offset:252 ; 4-byte Folded Spill
	buffer_store_dword v33, off, s[0:3], s32 offset:256 ; 4-byte Folded Spill
	v_cmp_ne_u32_sdwa s5, v2, v3 src0_sel:BYTE_3 src1_sel:DWORD
	s_and_saveexec_b32 s19, s5
	s_cbranch_execz .LBB212_49
; %bb.44:                               ;   in Loop: Header=BB212_15 Depth=1
	s_clause 0x1
	buffer_load_dword v5, off, s[0:3], s32 offset:192
	buffer_load_dword v6, off, s[0:3], s32 offset:196
	v_bfe_u32 v4, v2, 24, 7
	s_waitcnt vmcnt(1)
	v_mov_b32_e32 v5, v29
	s_mov_b32 s20, exec_lo
	s_waitcnt vmcnt(0)
	v_mov_b32_e32 v3, v6
	buffer_store_dword v2, off, s[0:3], s32 offset:192 ; 4-byte Folded Spill
	buffer_store_dword v3, off, s[0:3], s32 offset:196 ; 4-byte Folded Spill
	;; [unrolled: 1-line block ×4, first 2 shown]
	v_cmpx_ne_u32_e32 0x7f, v4
	s_cbranch_execz .LBB212_48
; %bb.45:                               ;   in Loop: Header=BB212_15 Depth=1
	v_mov_b32_e32 v3, 7
	s_mov_b32 s21, exec_lo
	v_and_b32_sdwa v28, v2, v3 dst_sel:DWORD dst_unused:UNUSED_PAD src0_sel:BYTE_3 src1_sel:DWORD
	v_lshrrev_b32_e32 v3, 3, v4
	v_cmpx_gt_u32_e32 8, v4
; %bb.46:                               ;   in Loop: Header=BB212_15 Depth=1
	v_ffbh_u32_e32 v3, v28
	v_min_u32_e32 v3, 32, v3
	v_subrev_nc_u32_e32 v4, 28, v3
	v_sub_nc_u32_e32 v3, 29, v3
	v_lshlrev_b64 v[4:5], v4, v[28:29]
	v_and_b32_e32 v28, 7, v4
; %bb.47:                               ;   in Loop: Header=BB212_15 Depth=1
	s_or_b32 exec_lo, exec_lo, s21
	v_mov_b32_e32 v4, 24
	v_lshl_add_u32 v3, v3, 23, 0x3c000000
	v_lshlrev_b32_sdwa v2, v4, v2 dst_sel:DWORD dst_unused:UNUSED_PAD src0_sel:DWORD src1_sel:BYTE_3
	v_lshlrev_b32_e32 v4, 20, v28
	v_and_b32_e32 v2, 0x80000000, v2
	v_or3_b32 v3, v4, v2, v3
	v_mov_b32_e32 v2, v29
	buffer_store_dword v2, off, s[0:3], s32 offset:252 ; 4-byte Folded Spill
	buffer_store_dword v3, off, s[0:3], s32 offset:256 ; 4-byte Folded Spill
.LBB212_48:                             ;   in Loop: Header=BB212_15 Depth=1
	s_or_b32 exec_lo, exec_lo, s20
.LBB212_49:                             ;   in Loop: Header=BB212_15 Depth=1
	s_or_b32 exec_lo, exec_lo, s19
.LBB212_50:                             ;   in Loop: Header=BB212_15 Depth=1
	s_or_b32 exec_lo, exec_lo, s18
	flat_load_dword v2, v[0:1] offset:4
	v_mov_b32_e32 v3, 0
	v_mov_b32_e32 v4, 0
	buffer_store_dword v3, off, s[0:3], s32 offset:276 ; 4-byte Folded Spill
	buffer_store_dword v4, off, s[0:3], s32 offset:280 ; 4-byte Folded Spill
	v_mov_b32_e32 v3, 0
	v_mov_b32_e32 v4, 0
	buffer_store_dword v3, off, s[0:3], s32 offset:268 ; 4-byte Folded Spill
	buffer_store_dword v4, off, s[0:3], s32 offset:272 ; 4-byte Folded Spill
	s_waitcnt vmcnt(0) lgkmcnt(0)
	v_cmp_ne_u16_sdwa s5, v2, v29 src0_sel:BYTE_0 src1_sel:DWORD
	s_and_saveexec_b32 s18, s5
	s_cbranch_execz .LBB212_58
; %bb.51:                               ;   in Loop: Header=BB212_15 Depth=1
	v_bfrev_b32_e32 v3, 1
	v_mov_b32_e32 v4, 0
	buffer_store_dword v3, off, s[0:3], s32 offset:268 ; 4-byte Folded Spill
	buffer_store_dword v4, off, s[0:3], s32 offset:272 ; 4-byte Folded Spill
	v_mov_b32_e32 v3, 0x80
	v_cmp_ne_u16_sdwa s5, v2, v3 src0_sel:BYTE_0 src1_sel:DWORD
	s_and_saveexec_b32 s19, s5
	s_cbranch_execz .LBB212_57
; %bb.52:                               ;   in Loop: Header=BB212_15 Depth=1
	v_mov_b32_e32 v5, 0x7f800001
	v_and_b32_e32 v4, 0x7f, v2
	v_mov_b32_e32 v6, 0
	s_mov_b32 s20, exec_lo
	buffer_store_dword v5, off, s[0:3], s32 offset:268 ; 4-byte Folded Spill
	buffer_store_dword v6, off, s[0:3], s32 offset:272 ; 4-byte Folded Spill
	v_cmpx_ne_u32_e32 0x7f, v4
	s_cbranch_execz .LBB212_56
; %bb.53:                               ;   in Loop: Header=BB212_15 Depth=1
	v_and_b32_e32 v28, 7, v2
	v_lshrrev_b32_e32 v3, 3, v4
	s_mov_b32 s21, exec_lo
	v_cmpx_gt_u32_e32 8, v4
; %bb.54:                               ;   in Loop: Header=BB212_15 Depth=1
	v_ffbh_u32_e32 v3, v28
	v_min_u32_e32 v3, 32, v3
	v_subrev_nc_u32_e32 v4, 28, v3
	v_sub_nc_u32_e32 v3, 29, v3
	v_lshlrev_b64 v[4:5], v4, v[28:29]
	v_and_b32_e32 v28, 7, v4
; %bb.55:                               ;   in Loop: Header=BB212_15 Depth=1
	s_or_b32 exec_lo, exec_lo, s21
	v_lshlrev_b32_e32 v4, 24, v2
	v_lshlrev_b32_e32 v5, 20, v28
	v_lshl_add_u32 v3, v3, 23, 0x3c000000
	v_and_b32_e32 v4, 0x80000000, v4
	v_or3_b32 v28, v5, v4, v3
	buffer_store_dword v28, off, s[0:3], s32 offset:268 ; 4-byte Folded Spill
	buffer_store_dword v29, off, s[0:3], s32 offset:272 ; 4-byte Folded Spill
.LBB212_56:                             ;   in Loop: Header=BB212_15 Depth=1
	s_or_b32 exec_lo, exec_lo, s20
.LBB212_57:                             ;   in Loop: Header=BB212_15 Depth=1
	s_or_b32 exec_lo, exec_lo, s19
.LBB212_58:                             ;   in Loop: Header=BB212_15 Depth=1
	s_or_b32 exec_lo, exec_lo, s18
	v_cmp_ne_u16_sdwa s5, v2, v29 src0_sel:BYTE_1 src1_sel:DWORD
	s_and_saveexec_b32 s18, s5
	s_cbranch_execz .LBB212_66
; %bb.59:                               ;   in Loop: Header=BB212_15 Depth=1
	v_mov_b32_e32 v3, 0x80
	v_mov_b32_e32 v32, v29
	buffer_store_dword v32, off, s[0:3], s32 offset:276 ; 4-byte Folded Spill
	buffer_store_dword v33, off, s[0:3], s32 offset:280 ; 4-byte Folded Spill
	v_cmp_ne_u16_sdwa s5, v2, v3 src0_sel:BYTE_1 src1_sel:DWORD
	s_and_saveexec_b32 s19, s5
	s_cbranch_execz .LBB212_65
; %bb.60:                               ;   in Loop: Header=BB212_15 Depth=1
	s_clause 0x1
	buffer_load_dword v5, off, s[0:3], s32 offset:192
	buffer_load_dword v6, off, s[0:3], s32 offset:196
	v_mov_b32_e32 v3, 0xffff
	s_mov_b32 s20, exec_lo
	v_and_b32_sdwa v3, v3, v2 dst_sel:DWORD dst_unused:UNUSED_PAD src0_sel:DWORD src1_sel:BYTE_1
	v_and_b32_e32 v4, 0x7f, v3
	s_waitcnt vmcnt(0)
	v_mov_b32_e32 v7, v6
	v_mov_b32_e32 v6, v29
	;; [unrolled: 1-line block ×3, first 2 shown]
	buffer_store_dword v4, off, s[0:3], s32 offset:192 ; 4-byte Folded Spill
	buffer_store_dword v5, off, s[0:3], s32 offset:196 ; 4-byte Folded Spill
	;; [unrolled: 1-line block ×4, first 2 shown]
	v_cmpx_ne_u32_e32 0x7f, v4
	s_cbranch_execz .LBB212_64
; %bb.61:                               ;   in Loop: Header=BB212_15 Depth=1
	v_and_b32_e32 v28, 7, v3
	v_lshrrev_b32_e32 v3, 3, v4
	s_mov_b32 s21, exec_lo
	v_cmpx_gt_u32_e32 8, v4
; %bb.62:                               ;   in Loop: Header=BB212_15 Depth=1
	v_ffbh_u32_e32 v3, v28
	v_min_u32_e32 v3, 32, v3
	v_subrev_nc_u32_e32 v4, 28, v3
	v_sub_nc_u32_e32 v3, 29, v3
	v_lshlrev_b64 v[4:5], v4, v[28:29]
	v_and_b32_e32 v28, 7, v4
; %bb.63:                               ;   in Loop: Header=BB212_15 Depth=1
	s_or_b32 exec_lo, exec_lo, s21
	v_lshlrev_b32_e32 v4, 16, v2
	v_lshlrev_b32_e32 v5, 20, v28
	v_lshl_add_u32 v3, v3, 23, 0x3c000000
	v_and_b32_e32 v4, 0x80000000, v4
	v_or3_b32 v4, v5, v4, v3
	v_mov_b32_e32 v3, v29
	buffer_store_dword v3, off, s[0:3], s32 offset:276 ; 4-byte Folded Spill
	buffer_store_dword v4, off, s[0:3], s32 offset:280 ; 4-byte Folded Spill
.LBB212_64:                             ;   in Loop: Header=BB212_15 Depth=1
	s_or_b32 exec_lo, exec_lo, s20
.LBB212_65:                             ;   in Loop: Header=BB212_15 Depth=1
	s_or_b32 exec_lo, exec_lo, s19
.LBB212_66:                             ;   in Loop: Header=BB212_15 Depth=1
	s_or_b32 exec_lo, exec_lo, s18
	v_mov_b32_e32 v4, 0
	v_mov_b32_e32 v5, 0
	;; [unrolled: 1-line block ×3, first 2 shown]
	s_mov_b32 s18, exec_lo
	buffer_store_dword v4, off, s[0:3], s32 offset:284 ; 4-byte Folded Spill
	buffer_store_dword v5, off, s[0:3], s32 offset:288 ; 4-byte Folded Spill
	v_mov_b32_e32 v4, 0
	v_and_b32_sdwa v3, v2, v3 dst_sel:DWORD dst_unused:UNUSED_PAD src0_sel:WORD_1 src1_sel:DWORD
	v_mov_b32_e32 v5, 0
	buffer_store_dword v4, off, s[0:3], s32 offset:292 ; 4-byte Folded Spill
	buffer_store_dword v5, off, s[0:3], s32 offset:296 ; 4-byte Folded Spill
	v_cmpx_ne_u16_e32 0, v3
	s_cbranch_execz .LBB212_74
; %bb.67:                               ;   in Loop: Header=BB212_15 Depth=1
	v_cmp_ne_u16_e64 s5, 0x80, v3
	v_bfrev_b32_e32 v3, 1
	v_mov_b32_e32 v4, 0
	buffer_store_dword v3, off, s[0:3], s32 offset:292 ; 4-byte Folded Spill
	buffer_store_dword v4, off, s[0:3], s32 offset:296 ; 4-byte Folded Spill
	s_and_saveexec_b32 s19, s5
	s_cbranch_execz .LBB212_73
; %bb.68:                               ;   in Loop: Header=BB212_15 Depth=1
	v_mov_b32_e32 v5, 0x7f800001
	v_bfe_u32 v4, v2, 16, 7
	v_mov_b32_e32 v6, 0
	s_mov_b32 s20, exec_lo
	buffer_store_dword v5, off, s[0:3], s32 offset:292 ; 4-byte Folded Spill
	buffer_store_dword v6, off, s[0:3], s32 offset:296 ; 4-byte Folded Spill
	v_cmpx_ne_u32_e32 0x7f, v4
	s_cbranch_execz .LBB212_72
; %bb.69:                               ;   in Loop: Header=BB212_15 Depth=1
	v_mov_b32_e32 v3, 7
	s_mov_b32 s21, exec_lo
	v_and_b32_sdwa v28, v2, v3 dst_sel:DWORD dst_unused:UNUSED_PAD src0_sel:WORD_1 src1_sel:DWORD
	v_lshrrev_b32_e32 v3, 3, v4
	v_cmpx_gt_u32_e32 8, v4
; %bb.70:                               ;   in Loop: Header=BB212_15 Depth=1
	v_ffbh_u32_e32 v3, v28
	v_min_u32_e32 v3, 32, v3
	v_subrev_nc_u32_e32 v4, 28, v3
	v_sub_nc_u32_e32 v3, 29, v3
	v_lshlrev_b64 v[4:5], v4, v[28:29]
	v_and_b32_e32 v28, 7, v4
; %bb.71:                               ;   in Loop: Header=BB212_15 Depth=1
	s_or_b32 exec_lo, exec_lo, s21
	v_mov_b32_e32 v4, 24
	v_lshlrev_b32_e32 v5, 20, v28
	v_lshl_add_u32 v3, v3, 23, 0x3c000000
	v_lshlrev_b32_sdwa v4, v4, v2 dst_sel:DWORD dst_unused:UNUSED_PAD src0_sel:DWORD src1_sel:WORD_1
	v_and_b32_e32 v4, 0x80000000, v4
	v_or3_b32 v28, v5, v4, v3
	buffer_store_dword v28, off, s[0:3], s32 offset:292 ; 4-byte Folded Spill
	buffer_store_dword v29, off, s[0:3], s32 offset:296 ; 4-byte Folded Spill
.LBB212_72:                             ;   in Loop: Header=BB212_15 Depth=1
	s_or_b32 exec_lo, exec_lo, s20
.LBB212_73:                             ;   in Loop: Header=BB212_15 Depth=1
	s_or_b32 exec_lo, exec_lo, s19
.LBB212_74:                             ;   in Loop: Header=BB212_15 Depth=1
	s_or_b32 exec_lo, exec_lo, s18
	s_mov_b32 s18, exec_lo
	v_cmpx_lt_u32_e32 0xffffff, v2
	s_cbranch_execz .LBB212_82
; %bb.75:                               ;   in Loop: Header=BB212_15 Depth=1
	v_mov_b32_e32 v3, 0x80
	v_mov_b32_e32 v32, v29
	buffer_store_dword v32, off, s[0:3], s32 offset:284 ; 4-byte Folded Spill
	buffer_store_dword v33, off, s[0:3], s32 offset:288 ; 4-byte Folded Spill
	v_cmp_ne_u32_sdwa s5, v2, v3 src0_sel:BYTE_3 src1_sel:DWORD
	s_and_saveexec_b32 s19, s5
	s_cbranch_execz .LBB212_81
; %bb.76:                               ;   in Loop: Header=BB212_15 Depth=1
	s_clause 0x1
	buffer_load_dword v5, off, s[0:3], s32 offset:192
	buffer_load_dword v6, off, s[0:3], s32 offset:196
	v_bfe_u32 v4, v2, 24, 7
	s_waitcnt vmcnt(1)
	v_mov_b32_e32 v5, v29
	s_mov_b32 s20, exec_lo
	s_waitcnt vmcnt(0)
	v_mov_b32_e32 v3, v6
	buffer_store_dword v2, off, s[0:3], s32 offset:192 ; 4-byte Folded Spill
	buffer_store_dword v3, off, s[0:3], s32 offset:196 ; 4-byte Folded Spill
	buffer_store_dword v5, off, s[0:3], s32 offset:284 ; 4-byte Folded Spill
	buffer_store_dword v6, off, s[0:3], s32 offset:288 ; 4-byte Folded Spill
	v_cmpx_ne_u32_e32 0x7f, v4
	s_cbranch_execz .LBB212_80
; %bb.77:                               ;   in Loop: Header=BB212_15 Depth=1
	v_mov_b32_e32 v3, 7
	s_mov_b32 s21, exec_lo
	v_and_b32_sdwa v28, v2, v3 dst_sel:DWORD dst_unused:UNUSED_PAD src0_sel:BYTE_3 src1_sel:DWORD
	v_lshrrev_b32_e32 v3, 3, v4
	v_cmpx_gt_u32_e32 8, v4
; %bb.78:                               ;   in Loop: Header=BB212_15 Depth=1
	v_ffbh_u32_e32 v3, v28
	v_min_u32_e32 v3, 32, v3
	v_subrev_nc_u32_e32 v4, 28, v3
	v_sub_nc_u32_e32 v3, 29, v3
	v_lshlrev_b64 v[4:5], v4, v[28:29]
	v_and_b32_e32 v28, 7, v4
; %bb.79:                               ;   in Loop: Header=BB212_15 Depth=1
	s_or_b32 exec_lo, exec_lo, s21
	v_mov_b32_e32 v4, 24
	v_lshl_add_u32 v3, v3, 23, 0x3c000000
	v_lshlrev_b32_sdwa v2, v4, v2 dst_sel:DWORD dst_unused:UNUSED_PAD src0_sel:DWORD src1_sel:BYTE_3
	v_lshlrev_b32_e32 v4, 20, v28
	v_and_b32_e32 v2, 0x80000000, v2
	v_or3_b32 v3, v4, v2, v3
	v_mov_b32_e32 v2, v29
	buffer_store_dword v2, off, s[0:3], s32 offset:284 ; 4-byte Folded Spill
	buffer_store_dword v3, off, s[0:3], s32 offset:288 ; 4-byte Folded Spill
.LBB212_80:                             ;   in Loop: Header=BB212_15 Depth=1
	s_or_b32 exec_lo, exec_lo, s20
.LBB212_81:                             ;   in Loop: Header=BB212_15 Depth=1
	s_or_b32 exec_lo, exec_lo, s19
.LBB212_82:                             ;   in Loop: Header=BB212_15 Depth=1
	s_or_b32 exec_lo, exec_lo, s18
	flat_load_dword v2, v[0:1] offset:8
	v_mov_b32_e32 v3, 0
	v_mov_b32_e32 v4, 0
	buffer_store_dword v3, off, s[0:3], s32 offset:308 ; 4-byte Folded Spill
	buffer_store_dword v4, off, s[0:3], s32 offset:312 ; 4-byte Folded Spill
	v_mov_b32_e32 v3, 0
	v_mov_b32_e32 v4, 0
	buffer_store_dword v3, off, s[0:3], s32 offset:300 ; 4-byte Folded Spill
	buffer_store_dword v4, off, s[0:3], s32 offset:304 ; 4-byte Folded Spill
	s_waitcnt vmcnt(0) lgkmcnt(0)
	v_cmp_ne_u16_sdwa s5, v2, v29 src0_sel:BYTE_0 src1_sel:DWORD
	s_and_saveexec_b32 s18, s5
	s_cbranch_execz .LBB212_90
; %bb.83:                               ;   in Loop: Header=BB212_15 Depth=1
	v_bfrev_b32_e32 v3, 1
	v_mov_b32_e32 v4, 0
	buffer_store_dword v3, off, s[0:3], s32 offset:300 ; 4-byte Folded Spill
	buffer_store_dword v4, off, s[0:3], s32 offset:304 ; 4-byte Folded Spill
	v_mov_b32_e32 v3, 0x80
	v_cmp_ne_u16_sdwa s5, v2, v3 src0_sel:BYTE_0 src1_sel:DWORD
	s_and_saveexec_b32 s19, s5
	s_cbranch_execz .LBB212_89
; %bb.84:                               ;   in Loop: Header=BB212_15 Depth=1
	v_mov_b32_e32 v5, 0x7f800001
	v_and_b32_e32 v4, 0x7f, v2
	v_mov_b32_e32 v6, 0
	s_mov_b32 s20, exec_lo
	buffer_store_dword v5, off, s[0:3], s32 offset:300 ; 4-byte Folded Spill
	buffer_store_dword v6, off, s[0:3], s32 offset:304 ; 4-byte Folded Spill
	v_cmpx_ne_u32_e32 0x7f, v4
	s_cbranch_execz .LBB212_88
; %bb.85:                               ;   in Loop: Header=BB212_15 Depth=1
	v_and_b32_e32 v28, 7, v2
	v_lshrrev_b32_e32 v3, 3, v4
	s_mov_b32 s21, exec_lo
	v_cmpx_gt_u32_e32 8, v4
; %bb.86:                               ;   in Loop: Header=BB212_15 Depth=1
	v_ffbh_u32_e32 v3, v28
	v_min_u32_e32 v3, 32, v3
	v_subrev_nc_u32_e32 v4, 28, v3
	v_sub_nc_u32_e32 v3, 29, v3
	v_lshlrev_b64 v[4:5], v4, v[28:29]
	v_and_b32_e32 v28, 7, v4
; %bb.87:                               ;   in Loop: Header=BB212_15 Depth=1
	s_or_b32 exec_lo, exec_lo, s21
	v_lshlrev_b32_e32 v4, 24, v2
	v_lshlrev_b32_e32 v5, 20, v28
	v_lshl_add_u32 v3, v3, 23, 0x3c000000
	v_and_b32_e32 v4, 0x80000000, v4
	v_or3_b32 v28, v5, v4, v3
	buffer_store_dword v28, off, s[0:3], s32 offset:300 ; 4-byte Folded Spill
	buffer_store_dword v29, off, s[0:3], s32 offset:304 ; 4-byte Folded Spill
.LBB212_88:                             ;   in Loop: Header=BB212_15 Depth=1
	s_or_b32 exec_lo, exec_lo, s20
.LBB212_89:                             ;   in Loop: Header=BB212_15 Depth=1
	s_or_b32 exec_lo, exec_lo, s19
.LBB212_90:                             ;   in Loop: Header=BB212_15 Depth=1
	s_or_b32 exec_lo, exec_lo, s18
	v_cmp_ne_u16_sdwa s5, v2, v29 src0_sel:BYTE_1 src1_sel:DWORD
	s_and_saveexec_b32 s18, s5
	s_cbranch_execz .LBB212_98
; %bb.91:                               ;   in Loop: Header=BB212_15 Depth=1
	v_mov_b32_e32 v3, 0x80
	v_mov_b32_e32 v32, v29
	buffer_store_dword v32, off, s[0:3], s32 offset:308 ; 4-byte Folded Spill
	buffer_store_dword v33, off, s[0:3], s32 offset:312 ; 4-byte Folded Spill
	v_cmp_ne_u16_sdwa s5, v2, v3 src0_sel:BYTE_1 src1_sel:DWORD
	s_and_saveexec_b32 s19, s5
	s_cbranch_execz .LBB212_97
; %bb.92:                               ;   in Loop: Header=BB212_15 Depth=1
	s_clause 0x1
	buffer_load_dword v5, off, s[0:3], s32 offset:192
	buffer_load_dword v6, off, s[0:3], s32 offset:196
	v_mov_b32_e32 v3, 0xffff
	s_mov_b32 s20, exec_lo
	v_and_b32_sdwa v3, v3, v2 dst_sel:DWORD dst_unused:UNUSED_PAD src0_sel:DWORD src1_sel:BYTE_1
	v_and_b32_e32 v4, 0x7f, v3
	s_waitcnt vmcnt(0)
	v_mov_b32_e32 v7, v6
	v_mov_b32_e32 v6, v29
	;; [unrolled: 1-line block ×3, first 2 shown]
	buffer_store_dword v4, off, s[0:3], s32 offset:192 ; 4-byte Folded Spill
	buffer_store_dword v5, off, s[0:3], s32 offset:196 ; 4-byte Folded Spill
	;; [unrolled: 1-line block ×4, first 2 shown]
	v_cmpx_ne_u32_e32 0x7f, v4
	s_cbranch_execz .LBB212_96
; %bb.93:                               ;   in Loop: Header=BB212_15 Depth=1
	v_and_b32_e32 v28, 7, v3
	v_lshrrev_b32_e32 v3, 3, v4
	s_mov_b32 s21, exec_lo
	v_cmpx_gt_u32_e32 8, v4
; %bb.94:                               ;   in Loop: Header=BB212_15 Depth=1
	v_ffbh_u32_e32 v3, v28
	v_min_u32_e32 v3, 32, v3
	v_subrev_nc_u32_e32 v4, 28, v3
	v_sub_nc_u32_e32 v3, 29, v3
	v_lshlrev_b64 v[4:5], v4, v[28:29]
	v_and_b32_e32 v28, 7, v4
; %bb.95:                               ;   in Loop: Header=BB212_15 Depth=1
	s_or_b32 exec_lo, exec_lo, s21
	v_lshlrev_b32_e32 v4, 16, v2
	v_lshlrev_b32_e32 v5, 20, v28
	v_lshl_add_u32 v3, v3, 23, 0x3c000000
	v_and_b32_e32 v4, 0x80000000, v4
	v_or3_b32 v4, v5, v4, v3
	v_mov_b32_e32 v3, v29
	buffer_store_dword v3, off, s[0:3], s32 offset:308 ; 4-byte Folded Spill
	buffer_store_dword v4, off, s[0:3], s32 offset:312 ; 4-byte Folded Spill
.LBB212_96:                             ;   in Loop: Header=BB212_15 Depth=1
	s_or_b32 exec_lo, exec_lo, s20
.LBB212_97:                             ;   in Loop: Header=BB212_15 Depth=1
	s_or_b32 exec_lo, exec_lo, s19
.LBB212_98:                             ;   in Loop: Header=BB212_15 Depth=1
	s_or_b32 exec_lo, exec_lo, s18
	v_mov_b32_e32 v4, 0
	v_mov_b32_e32 v5, 0
	;; [unrolled: 1-line block ×3, first 2 shown]
	s_mov_b32 s18, exec_lo
	buffer_store_dword v4, off, s[0:3], s32 offset:316 ; 4-byte Folded Spill
	buffer_store_dword v5, off, s[0:3], s32 offset:320 ; 4-byte Folded Spill
	v_mov_b32_e32 v4, 0
	v_and_b32_sdwa v3, v2, v3 dst_sel:DWORD dst_unused:UNUSED_PAD src0_sel:WORD_1 src1_sel:DWORD
	v_mov_b32_e32 v5, 0
	buffer_store_dword v4, off, s[0:3], s32 offset:324 ; 4-byte Folded Spill
	buffer_store_dword v5, off, s[0:3], s32 offset:328 ; 4-byte Folded Spill
	v_cmpx_ne_u16_e32 0, v3
	s_cbranch_execz .LBB212_106
; %bb.99:                               ;   in Loop: Header=BB212_15 Depth=1
	v_cmp_ne_u16_e64 s5, 0x80, v3
	v_bfrev_b32_e32 v3, 1
	v_mov_b32_e32 v4, 0
	buffer_store_dword v3, off, s[0:3], s32 offset:324 ; 4-byte Folded Spill
	buffer_store_dword v4, off, s[0:3], s32 offset:328 ; 4-byte Folded Spill
	s_and_saveexec_b32 s19, s5
	s_cbranch_execz .LBB212_105
; %bb.100:                              ;   in Loop: Header=BB212_15 Depth=1
	v_mov_b32_e32 v5, 0x7f800001
	v_bfe_u32 v4, v2, 16, 7
	v_mov_b32_e32 v6, 0
	s_mov_b32 s20, exec_lo
	buffer_store_dword v5, off, s[0:3], s32 offset:324 ; 4-byte Folded Spill
	buffer_store_dword v6, off, s[0:3], s32 offset:328 ; 4-byte Folded Spill
	v_cmpx_ne_u32_e32 0x7f, v4
	s_cbranch_execz .LBB212_104
; %bb.101:                              ;   in Loop: Header=BB212_15 Depth=1
	v_mov_b32_e32 v3, 7
	s_mov_b32 s21, exec_lo
	v_and_b32_sdwa v28, v2, v3 dst_sel:DWORD dst_unused:UNUSED_PAD src0_sel:WORD_1 src1_sel:DWORD
	v_lshrrev_b32_e32 v3, 3, v4
	v_cmpx_gt_u32_e32 8, v4
; %bb.102:                              ;   in Loop: Header=BB212_15 Depth=1
	v_ffbh_u32_e32 v3, v28
	v_min_u32_e32 v3, 32, v3
	v_subrev_nc_u32_e32 v4, 28, v3
	v_sub_nc_u32_e32 v3, 29, v3
	v_lshlrev_b64 v[4:5], v4, v[28:29]
	v_and_b32_e32 v28, 7, v4
; %bb.103:                              ;   in Loop: Header=BB212_15 Depth=1
	s_or_b32 exec_lo, exec_lo, s21
	v_mov_b32_e32 v4, 24
	v_lshlrev_b32_e32 v5, 20, v28
	v_lshl_add_u32 v3, v3, 23, 0x3c000000
	v_lshlrev_b32_sdwa v4, v4, v2 dst_sel:DWORD dst_unused:UNUSED_PAD src0_sel:DWORD src1_sel:WORD_1
	v_and_b32_e32 v4, 0x80000000, v4
	v_or3_b32 v28, v5, v4, v3
	buffer_store_dword v28, off, s[0:3], s32 offset:324 ; 4-byte Folded Spill
	buffer_store_dword v29, off, s[0:3], s32 offset:328 ; 4-byte Folded Spill
.LBB212_104:                            ;   in Loop: Header=BB212_15 Depth=1
	s_or_b32 exec_lo, exec_lo, s20
.LBB212_105:                            ;   in Loop: Header=BB212_15 Depth=1
	s_or_b32 exec_lo, exec_lo, s19
.LBB212_106:                            ;   in Loop: Header=BB212_15 Depth=1
	s_or_b32 exec_lo, exec_lo, s18
	s_mov_b32 s18, exec_lo
	v_cmpx_lt_u32_e32 0xffffff, v2
	s_cbranch_execz .LBB212_114
; %bb.107:                              ;   in Loop: Header=BB212_15 Depth=1
	v_mov_b32_e32 v3, 0x80
	v_mov_b32_e32 v32, v29
	buffer_store_dword v32, off, s[0:3], s32 offset:316 ; 4-byte Folded Spill
	buffer_store_dword v33, off, s[0:3], s32 offset:320 ; 4-byte Folded Spill
	v_cmp_ne_u32_sdwa s5, v2, v3 src0_sel:BYTE_3 src1_sel:DWORD
	s_and_saveexec_b32 s19, s5
	s_cbranch_execz .LBB212_113
; %bb.108:                              ;   in Loop: Header=BB212_15 Depth=1
	s_clause 0x1
	buffer_load_dword v5, off, s[0:3], s32 offset:192
	buffer_load_dword v6, off, s[0:3], s32 offset:196
	v_bfe_u32 v4, v2, 24, 7
	s_waitcnt vmcnt(1)
	v_mov_b32_e32 v5, v29
	s_mov_b32 s20, exec_lo
	s_waitcnt vmcnt(0)
	v_mov_b32_e32 v3, v6
	buffer_store_dword v2, off, s[0:3], s32 offset:192 ; 4-byte Folded Spill
	buffer_store_dword v3, off, s[0:3], s32 offset:196 ; 4-byte Folded Spill
	;; [unrolled: 1-line block ×4, first 2 shown]
	v_cmpx_ne_u32_e32 0x7f, v4
	s_cbranch_execz .LBB212_112
; %bb.109:                              ;   in Loop: Header=BB212_15 Depth=1
	v_mov_b32_e32 v3, 7
	s_mov_b32 s21, exec_lo
	v_and_b32_sdwa v28, v2, v3 dst_sel:DWORD dst_unused:UNUSED_PAD src0_sel:BYTE_3 src1_sel:DWORD
	v_lshrrev_b32_e32 v3, 3, v4
	v_cmpx_gt_u32_e32 8, v4
; %bb.110:                              ;   in Loop: Header=BB212_15 Depth=1
	v_ffbh_u32_e32 v3, v28
	v_min_u32_e32 v3, 32, v3
	v_subrev_nc_u32_e32 v4, 28, v3
	v_sub_nc_u32_e32 v3, 29, v3
	v_lshlrev_b64 v[4:5], v4, v[28:29]
	v_and_b32_e32 v28, 7, v4
; %bb.111:                              ;   in Loop: Header=BB212_15 Depth=1
	s_or_b32 exec_lo, exec_lo, s21
	v_mov_b32_e32 v4, 24
	v_lshl_add_u32 v3, v3, 23, 0x3c000000
	v_lshlrev_b32_sdwa v2, v4, v2 dst_sel:DWORD dst_unused:UNUSED_PAD src0_sel:DWORD src1_sel:BYTE_3
	v_lshlrev_b32_e32 v4, 20, v28
	v_and_b32_e32 v2, 0x80000000, v2
	v_or3_b32 v3, v4, v2, v3
	v_mov_b32_e32 v2, v29
	buffer_store_dword v2, off, s[0:3], s32 offset:316 ; 4-byte Folded Spill
	buffer_store_dword v3, off, s[0:3], s32 offset:320 ; 4-byte Folded Spill
.LBB212_112:                            ;   in Loop: Header=BB212_15 Depth=1
	s_or_b32 exec_lo, exec_lo, s20
.LBB212_113:                            ;   in Loop: Header=BB212_15 Depth=1
	s_or_b32 exec_lo, exec_lo, s19
.LBB212_114:                            ;   in Loop: Header=BB212_15 Depth=1
	s_or_b32 exec_lo, exec_lo, s18
	flat_load_dword v2, v[0:1] offset:12
	v_mov_b32_e32 v3, 0
	v_mov_b32_e32 v4, 0
	buffer_store_dword v3, off, s[0:3], s32 offset:340 ; 4-byte Folded Spill
	buffer_store_dword v4, off, s[0:3], s32 offset:344 ; 4-byte Folded Spill
	v_mov_b32_e32 v3, 0
	v_mov_b32_e32 v4, 0
	buffer_store_dword v3, off, s[0:3], s32 offset:332 ; 4-byte Folded Spill
	buffer_store_dword v4, off, s[0:3], s32 offset:336 ; 4-byte Folded Spill
	s_waitcnt vmcnt(0) lgkmcnt(0)
	v_cmp_ne_u16_sdwa s5, v2, v29 src0_sel:BYTE_0 src1_sel:DWORD
	s_and_saveexec_b32 s18, s5
	s_cbranch_execz .LBB212_122
; %bb.115:                              ;   in Loop: Header=BB212_15 Depth=1
	v_bfrev_b32_e32 v3, 1
	v_mov_b32_e32 v4, 0
	buffer_store_dword v3, off, s[0:3], s32 offset:332 ; 4-byte Folded Spill
	buffer_store_dword v4, off, s[0:3], s32 offset:336 ; 4-byte Folded Spill
	v_mov_b32_e32 v3, 0x80
	v_cmp_ne_u16_sdwa s5, v2, v3 src0_sel:BYTE_0 src1_sel:DWORD
	s_and_saveexec_b32 s19, s5
	s_cbranch_execz .LBB212_121
; %bb.116:                              ;   in Loop: Header=BB212_15 Depth=1
	v_mov_b32_e32 v5, 0x7f800001
	v_and_b32_e32 v4, 0x7f, v2
	v_mov_b32_e32 v6, 0
	s_mov_b32 s20, exec_lo
	buffer_store_dword v5, off, s[0:3], s32 offset:332 ; 4-byte Folded Spill
	buffer_store_dword v6, off, s[0:3], s32 offset:336 ; 4-byte Folded Spill
	v_cmpx_ne_u32_e32 0x7f, v4
	s_cbranch_execz .LBB212_120
; %bb.117:                              ;   in Loop: Header=BB212_15 Depth=1
	v_and_b32_e32 v28, 7, v2
	v_lshrrev_b32_e32 v3, 3, v4
	s_mov_b32 s21, exec_lo
	v_cmpx_gt_u32_e32 8, v4
; %bb.118:                              ;   in Loop: Header=BB212_15 Depth=1
	v_ffbh_u32_e32 v3, v28
	v_min_u32_e32 v3, 32, v3
	v_subrev_nc_u32_e32 v4, 28, v3
	v_sub_nc_u32_e32 v3, 29, v3
	v_lshlrev_b64 v[4:5], v4, v[28:29]
	v_and_b32_e32 v28, 7, v4
; %bb.119:                              ;   in Loop: Header=BB212_15 Depth=1
	s_or_b32 exec_lo, exec_lo, s21
	v_lshlrev_b32_e32 v4, 24, v2
	v_lshlrev_b32_e32 v5, 20, v28
	v_lshl_add_u32 v3, v3, 23, 0x3c000000
	v_and_b32_e32 v4, 0x80000000, v4
	v_or3_b32 v28, v5, v4, v3
	buffer_store_dword v28, off, s[0:3], s32 offset:332 ; 4-byte Folded Spill
	buffer_store_dword v29, off, s[0:3], s32 offset:336 ; 4-byte Folded Spill
.LBB212_120:                            ;   in Loop: Header=BB212_15 Depth=1
	s_or_b32 exec_lo, exec_lo, s20
.LBB212_121:                            ;   in Loop: Header=BB212_15 Depth=1
	s_or_b32 exec_lo, exec_lo, s19
.LBB212_122:                            ;   in Loop: Header=BB212_15 Depth=1
	s_or_b32 exec_lo, exec_lo, s18
	v_cmp_ne_u16_sdwa s5, v2, v29 src0_sel:BYTE_1 src1_sel:DWORD
	s_and_saveexec_b32 s18, s5
	s_cbranch_execz .LBB212_130
; %bb.123:                              ;   in Loop: Header=BB212_15 Depth=1
	v_mov_b32_e32 v3, 0x80
	v_mov_b32_e32 v32, v29
	buffer_store_dword v32, off, s[0:3], s32 offset:340 ; 4-byte Folded Spill
	buffer_store_dword v33, off, s[0:3], s32 offset:344 ; 4-byte Folded Spill
	v_cmp_ne_u16_sdwa s5, v2, v3 src0_sel:BYTE_1 src1_sel:DWORD
	s_and_saveexec_b32 s19, s5
	s_cbranch_execz .LBB212_129
; %bb.124:                              ;   in Loop: Header=BB212_15 Depth=1
	s_clause 0x1
	buffer_load_dword v5, off, s[0:3], s32 offset:192
	buffer_load_dword v6, off, s[0:3], s32 offset:196
	v_mov_b32_e32 v3, 0xffff
	s_mov_b32 s20, exec_lo
	v_and_b32_sdwa v3, v3, v2 dst_sel:DWORD dst_unused:UNUSED_PAD src0_sel:DWORD src1_sel:BYTE_1
	v_and_b32_e32 v4, 0x7f, v3
	s_waitcnt vmcnt(0)
	v_mov_b32_e32 v7, v6
	v_mov_b32_e32 v6, v29
	v_mov_b32_e32 v5, v7
	buffer_store_dword v4, off, s[0:3], s32 offset:192 ; 4-byte Folded Spill
	buffer_store_dword v5, off, s[0:3], s32 offset:196 ; 4-byte Folded Spill
	buffer_store_dword v6, off, s[0:3], s32 offset:340 ; 4-byte Folded Spill
	buffer_store_dword v7, off, s[0:3], s32 offset:344 ; 4-byte Folded Spill
	v_cmpx_ne_u32_e32 0x7f, v4
	s_cbranch_execz .LBB212_128
; %bb.125:                              ;   in Loop: Header=BB212_15 Depth=1
	v_and_b32_e32 v28, 7, v3
	v_lshrrev_b32_e32 v3, 3, v4
	s_mov_b32 s21, exec_lo
	v_cmpx_gt_u32_e32 8, v4
; %bb.126:                              ;   in Loop: Header=BB212_15 Depth=1
	v_ffbh_u32_e32 v3, v28
	v_min_u32_e32 v3, 32, v3
	v_subrev_nc_u32_e32 v4, 28, v3
	v_sub_nc_u32_e32 v3, 29, v3
	v_lshlrev_b64 v[4:5], v4, v[28:29]
	v_and_b32_e32 v28, 7, v4
; %bb.127:                              ;   in Loop: Header=BB212_15 Depth=1
	s_or_b32 exec_lo, exec_lo, s21
	v_lshlrev_b32_e32 v4, 16, v2
	v_lshlrev_b32_e32 v5, 20, v28
	v_lshl_add_u32 v3, v3, 23, 0x3c000000
	v_and_b32_e32 v4, 0x80000000, v4
	v_or3_b32 v4, v5, v4, v3
	v_mov_b32_e32 v3, v29
	buffer_store_dword v3, off, s[0:3], s32 offset:340 ; 4-byte Folded Spill
	buffer_store_dword v4, off, s[0:3], s32 offset:344 ; 4-byte Folded Spill
.LBB212_128:                            ;   in Loop: Header=BB212_15 Depth=1
	s_or_b32 exec_lo, exec_lo, s20
.LBB212_129:                            ;   in Loop: Header=BB212_15 Depth=1
	s_or_b32 exec_lo, exec_lo, s19
.LBB212_130:                            ;   in Loop: Header=BB212_15 Depth=1
	s_or_b32 exec_lo, exec_lo, s18
	v_mov_b32_e32 v4, 0
	v_mov_b32_e32 v5, 0
	;; [unrolled: 1-line block ×3, first 2 shown]
	s_mov_b32 s18, exec_lo
	buffer_store_dword v4, off, s[0:3], s32 offset:348 ; 4-byte Folded Spill
	buffer_store_dword v5, off, s[0:3], s32 offset:352 ; 4-byte Folded Spill
	v_mov_b32_e32 v4, 0
	v_and_b32_sdwa v3, v2, v3 dst_sel:DWORD dst_unused:UNUSED_PAD src0_sel:WORD_1 src1_sel:DWORD
	v_mov_b32_e32 v5, 0
	buffer_store_dword v4, off, s[0:3], s32 offset:356 ; 4-byte Folded Spill
	buffer_store_dword v5, off, s[0:3], s32 offset:360 ; 4-byte Folded Spill
	v_cmpx_ne_u16_e32 0, v3
	s_cbranch_execz .LBB212_138
; %bb.131:                              ;   in Loop: Header=BB212_15 Depth=1
	v_cmp_ne_u16_e64 s5, 0x80, v3
	v_bfrev_b32_e32 v3, 1
	v_mov_b32_e32 v4, 0
	buffer_store_dword v3, off, s[0:3], s32 offset:356 ; 4-byte Folded Spill
	buffer_store_dword v4, off, s[0:3], s32 offset:360 ; 4-byte Folded Spill
	s_and_saveexec_b32 s19, s5
	s_cbranch_execz .LBB212_137
; %bb.132:                              ;   in Loop: Header=BB212_15 Depth=1
	v_mov_b32_e32 v5, 0x7f800001
	v_bfe_u32 v4, v2, 16, 7
	v_mov_b32_e32 v6, 0
	s_mov_b32 s20, exec_lo
	buffer_store_dword v5, off, s[0:3], s32 offset:356 ; 4-byte Folded Spill
	buffer_store_dword v6, off, s[0:3], s32 offset:360 ; 4-byte Folded Spill
	v_cmpx_ne_u32_e32 0x7f, v4
	s_cbranch_execz .LBB212_136
; %bb.133:                              ;   in Loop: Header=BB212_15 Depth=1
	v_mov_b32_e32 v3, 7
	s_mov_b32 s21, exec_lo
	v_and_b32_sdwa v28, v2, v3 dst_sel:DWORD dst_unused:UNUSED_PAD src0_sel:WORD_1 src1_sel:DWORD
	v_lshrrev_b32_e32 v3, 3, v4
	v_cmpx_gt_u32_e32 8, v4
; %bb.134:                              ;   in Loop: Header=BB212_15 Depth=1
	v_ffbh_u32_e32 v3, v28
	v_min_u32_e32 v3, 32, v3
	v_subrev_nc_u32_e32 v4, 28, v3
	v_sub_nc_u32_e32 v3, 29, v3
	v_lshlrev_b64 v[4:5], v4, v[28:29]
	v_and_b32_e32 v28, 7, v4
; %bb.135:                              ;   in Loop: Header=BB212_15 Depth=1
	s_or_b32 exec_lo, exec_lo, s21
	v_mov_b32_e32 v4, 24
	v_lshlrev_b32_e32 v5, 20, v28
	v_lshl_add_u32 v3, v3, 23, 0x3c000000
	v_lshlrev_b32_sdwa v4, v4, v2 dst_sel:DWORD dst_unused:UNUSED_PAD src0_sel:DWORD src1_sel:WORD_1
	v_and_b32_e32 v4, 0x80000000, v4
	v_or3_b32 v28, v5, v4, v3
	buffer_store_dword v28, off, s[0:3], s32 offset:356 ; 4-byte Folded Spill
	buffer_store_dword v29, off, s[0:3], s32 offset:360 ; 4-byte Folded Spill
.LBB212_136:                            ;   in Loop: Header=BB212_15 Depth=1
	s_or_b32 exec_lo, exec_lo, s20
.LBB212_137:                            ;   in Loop: Header=BB212_15 Depth=1
	s_or_b32 exec_lo, exec_lo, s19
.LBB212_138:                            ;   in Loop: Header=BB212_15 Depth=1
	s_or_b32 exec_lo, exec_lo, s18
	s_mov_b32 s18, exec_lo
	v_cmpx_lt_u32_e32 0xffffff, v2
	s_cbranch_execz .LBB212_146
; %bb.139:                              ;   in Loop: Header=BB212_15 Depth=1
	v_mov_b32_e32 v3, 0x80
	v_mov_b32_e32 v32, v29
	buffer_store_dword v32, off, s[0:3], s32 offset:348 ; 4-byte Folded Spill
	buffer_store_dword v33, off, s[0:3], s32 offset:352 ; 4-byte Folded Spill
	v_cmp_ne_u32_sdwa s5, v2, v3 src0_sel:BYTE_3 src1_sel:DWORD
	s_and_saveexec_b32 s19, s5
	s_cbranch_execz .LBB212_145
; %bb.140:                              ;   in Loop: Header=BB212_15 Depth=1
	s_clause 0x1
	buffer_load_dword v5, off, s[0:3], s32 offset:192
	buffer_load_dword v6, off, s[0:3], s32 offset:196
	v_bfe_u32 v4, v2, 24, 7
	s_waitcnt vmcnt(1)
	v_mov_b32_e32 v5, v29
	s_mov_b32 s20, exec_lo
	s_waitcnt vmcnt(0)
	v_mov_b32_e32 v3, v6
	buffer_store_dword v2, off, s[0:3], s32 offset:192 ; 4-byte Folded Spill
	buffer_store_dword v3, off, s[0:3], s32 offset:196 ; 4-byte Folded Spill
	;; [unrolled: 1-line block ×4, first 2 shown]
	v_cmpx_ne_u32_e32 0x7f, v4
	s_cbranch_execz .LBB212_144
; %bb.141:                              ;   in Loop: Header=BB212_15 Depth=1
	v_mov_b32_e32 v3, 7
	s_mov_b32 s21, exec_lo
	v_and_b32_sdwa v28, v2, v3 dst_sel:DWORD dst_unused:UNUSED_PAD src0_sel:BYTE_3 src1_sel:DWORD
	v_lshrrev_b32_e32 v3, 3, v4
	v_cmpx_gt_u32_e32 8, v4
; %bb.142:                              ;   in Loop: Header=BB212_15 Depth=1
	v_ffbh_u32_e32 v3, v28
	v_min_u32_e32 v3, 32, v3
	v_subrev_nc_u32_e32 v4, 28, v3
	v_sub_nc_u32_e32 v3, 29, v3
	v_lshlrev_b64 v[4:5], v4, v[28:29]
	v_and_b32_e32 v28, 7, v4
; %bb.143:                              ;   in Loop: Header=BB212_15 Depth=1
	s_or_b32 exec_lo, exec_lo, s21
	v_mov_b32_e32 v4, 24
	v_lshl_add_u32 v3, v3, 23, 0x3c000000
	v_lshlrev_b32_sdwa v2, v4, v2 dst_sel:DWORD dst_unused:UNUSED_PAD src0_sel:DWORD src1_sel:BYTE_3
	v_lshlrev_b32_e32 v4, 20, v28
	v_and_b32_e32 v2, 0x80000000, v2
	v_or3_b32 v3, v4, v2, v3
	v_mov_b32_e32 v2, v29
	buffer_store_dword v2, off, s[0:3], s32 offset:348 ; 4-byte Folded Spill
	buffer_store_dword v3, off, s[0:3], s32 offset:352 ; 4-byte Folded Spill
.LBB212_144:                            ;   in Loop: Header=BB212_15 Depth=1
	s_or_b32 exec_lo, exec_lo, s20
.LBB212_145:                            ;   in Loop: Header=BB212_15 Depth=1
	s_or_b32 exec_lo, exec_lo, s19
.LBB212_146:                            ;   in Loop: Header=BB212_15 Depth=1
	s_or_b32 exec_lo, exec_lo, s18
	flat_load_dword v2, v[0:1] offset:512
	v_mov_b32_e32 v3, 0
	v_mov_b32_e32 v4, 0
	buffer_store_dword v3, off, s[0:3], s32 offset:372 ; 4-byte Folded Spill
	buffer_store_dword v4, off, s[0:3], s32 offset:376 ; 4-byte Folded Spill
	v_mov_b32_e32 v3, 0
	v_mov_b32_e32 v4, 0
	buffer_store_dword v3, off, s[0:3], s32 offset:364 ; 4-byte Folded Spill
	buffer_store_dword v4, off, s[0:3], s32 offset:368 ; 4-byte Folded Spill
	s_waitcnt vmcnt(0) lgkmcnt(0)
	v_cmp_ne_u16_sdwa s5, v2, v29 src0_sel:BYTE_0 src1_sel:DWORD
	s_and_saveexec_b32 s18, s5
	s_cbranch_execz .LBB212_154
; %bb.147:                              ;   in Loop: Header=BB212_15 Depth=1
	v_bfrev_b32_e32 v3, 1
	v_mov_b32_e32 v4, 0
	buffer_store_dword v3, off, s[0:3], s32 offset:364 ; 4-byte Folded Spill
	buffer_store_dword v4, off, s[0:3], s32 offset:368 ; 4-byte Folded Spill
	v_mov_b32_e32 v3, 0x80
	v_cmp_ne_u16_sdwa s5, v2, v3 src0_sel:BYTE_0 src1_sel:DWORD
	s_and_saveexec_b32 s19, s5
	s_cbranch_execz .LBB212_153
; %bb.148:                              ;   in Loop: Header=BB212_15 Depth=1
	v_mov_b32_e32 v5, 0x7f800001
	v_and_b32_e32 v4, 0x7f, v2
	v_mov_b32_e32 v6, 0
	s_mov_b32 s20, exec_lo
	buffer_store_dword v5, off, s[0:3], s32 offset:364 ; 4-byte Folded Spill
	buffer_store_dword v6, off, s[0:3], s32 offset:368 ; 4-byte Folded Spill
	v_cmpx_ne_u32_e32 0x7f, v4
	s_cbranch_execz .LBB212_152
; %bb.149:                              ;   in Loop: Header=BB212_15 Depth=1
	v_and_b32_e32 v28, 7, v2
	v_lshrrev_b32_e32 v3, 3, v4
	s_mov_b32 s21, exec_lo
	v_cmpx_gt_u32_e32 8, v4
; %bb.150:                              ;   in Loop: Header=BB212_15 Depth=1
	v_ffbh_u32_e32 v3, v28
	v_min_u32_e32 v3, 32, v3
	v_subrev_nc_u32_e32 v4, 28, v3
	v_sub_nc_u32_e32 v3, 29, v3
	v_lshlrev_b64 v[4:5], v4, v[28:29]
	v_and_b32_e32 v28, 7, v4
; %bb.151:                              ;   in Loop: Header=BB212_15 Depth=1
	s_or_b32 exec_lo, exec_lo, s21
	v_lshlrev_b32_e32 v4, 24, v2
	v_lshlrev_b32_e32 v5, 20, v28
	v_lshl_add_u32 v3, v3, 23, 0x3c000000
	v_and_b32_e32 v4, 0x80000000, v4
	v_or3_b32 v28, v5, v4, v3
	buffer_store_dword v28, off, s[0:3], s32 offset:364 ; 4-byte Folded Spill
	buffer_store_dword v29, off, s[0:3], s32 offset:368 ; 4-byte Folded Spill
.LBB212_152:                            ;   in Loop: Header=BB212_15 Depth=1
	s_or_b32 exec_lo, exec_lo, s20
.LBB212_153:                            ;   in Loop: Header=BB212_15 Depth=1
	s_or_b32 exec_lo, exec_lo, s19
.LBB212_154:                            ;   in Loop: Header=BB212_15 Depth=1
	s_or_b32 exec_lo, exec_lo, s18
	v_cmp_ne_u16_sdwa s5, v2, v29 src0_sel:BYTE_1 src1_sel:DWORD
	s_and_saveexec_b32 s18, s5
	s_cbranch_execz .LBB212_162
; %bb.155:                              ;   in Loop: Header=BB212_15 Depth=1
	v_mov_b32_e32 v3, 0x80
	v_mov_b32_e32 v32, v29
	buffer_store_dword v32, off, s[0:3], s32 offset:372 ; 4-byte Folded Spill
	buffer_store_dword v33, off, s[0:3], s32 offset:376 ; 4-byte Folded Spill
	v_cmp_ne_u16_sdwa s5, v2, v3 src0_sel:BYTE_1 src1_sel:DWORD
	s_and_saveexec_b32 s19, s5
	s_cbranch_execz .LBB212_161
; %bb.156:                              ;   in Loop: Header=BB212_15 Depth=1
	s_clause 0x1
	buffer_load_dword v5, off, s[0:3], s32 offset:192
	buffer_load_dword v6, off, s[0:3], s32 offset:196
	v_mov_b32_e32 v3, 0xffff
	s_mov_b32 s20, exec_lo
	v_and_b32_sdwa v3, v3, v2 dst_sel:DWORD dst_unused:UNUSED_PAD src0_sel:DWORD src1_sel:BYTE_1
	v_and_b32_e32 v4, 0x7f, v3
	s_waitcnt vmcnt(0)
	v_mov_b32_e32 v7, v6
	v_mov_b32_e32 v6, v29
	;; [unrolled: 1-line block ×3, first 2 shown]
	buffer_store_dword v4, off, s[0:3], s32 offset:192 ; 4-byte Folded Spill
	buffer_store_dword v5, off, s[0:3], s32 offset:196 ; 4-byte Folded Spill
	buffer_store_dword v6, off, s[0:3], s32 offset:372 ; 4-byte Folded Spill
	buffer_store_dword v7, off, s[0:3], s32 offset:376 ; 4-byte Folded Spill
	v_cmpx_ne_u32_e32 0x7f, v4
	s_cbranch_execz .LBB212_160
; %bb.157:                              ;   in Loop: Header=BB212_15 Depth=1
	v_and_b32_e32 v28, 7, v3
	v_lshrrev_b32_e32 v3, 3, v4
	s_mov_b32 s21, exec_lo
	v_cmpx_gt_u32_e32 8, v4
; %bb.158:                              ;   in Loop: Header=BB212_15 Depth=1
	v_ffbh_u32_e32 v3, v28
	v_min_u32_e32 v3, 32, v3
	v_subrev_nc_u32_e32 v4, 28, v3
	v_sub_nc_u32_e32 v3, 29, v3
	v_lshlrev_b64 v[4:5], v4, v[28:29]
	v_and_b32_e32 v28, 7, v4
; %bb.159:                              ;   in Loop: Header=BB212_15 Depth=1
	s_or_b32 exec_lo, exec_lo, s21
	v_lshlrev_b32_e32 v4, 16, v2
	v_lshlrev_b32_e32 v5, 20, v28
	v_lshl_add_u32 v3, v3, 23, 0x3c000000
	v_and_b32_e32 v4, 0x80000000, v4
	v_or3_b32 v4, v5, v4, v3
	v_mov_b32_e32 v3, v29
	buffer_store_dword v3, off, s[0:3], s32 offset:372 ; 4-byte Folded Spill
	buffer_store_dword v4, off, s[0:3], s32 offset:376 ; 4-byte Folded Spill
.LBB212_160:                            ;   in Loop: Header=BB212_15 Depth=1
	s_or_b32 exec_lo, exec_lo, s20
.LBB212_161:                            ;   in Loop: Header=BB212_15 Depth=1
	s_or_b32 exec_lo, exec_lo, s19
.LBB212_162:                            ;   in Loop: Header=BB212_15 Depth=1
	s_or_b32 exec_lo, exec_lo, s18
	v_mov_b32_e32 v4, 0
	v_mov_b32_e32 v5, 0
	;; [unrolled: 1-line block ×3, first 2 shown]
	s_mov_b32 s18, exec_lo
	buffer_store_dword v4, off, s[0:3], s32 offset:380 ; 4-byte Folded Spill
	buffer_store_dword v5, off, s[0:3], s32 offset:384 ; 4-byte Folded Spill
	v_mov_b32_e32 v4, 0
	v_and_b32_sdwa v3, v2, v3 dst_sel:DWORD dst_unused:UNUSED_PAD src0_sel:WORD_1 src1_sel:DWORD
	v_mov_b32_e32 v5, 0
	buffer_store_dword v4, off, s[0:3], s32 offset:388 ; 4-byte Folded Spill
	buffer_store_dword v5, off, s[0:3], s32 offset:392 ; 4-byte Folded Spill
	v_cmpx_ne_u16_e32 0, v3
	s_cbranch_execz .LBB212_170
; %bb.163:                              ;   in Loop: Header=BB212_15 Depth=1
	v_cmp_ne_u16_e64 s5, 0x80, v3
	v_bfrev_b32_e32 v3, 1
	v_mov_b32_e32 v4, 0
	buffer_store_dword v3, off, s[0:3], s32 offset:388 ; 4-byte Folded Spill
	buffer_store_dword v4, off, s[0:3], s32 offset:392 ; 4-byte Folded Spill
	s_and_saveexec_b32 s19, s5
	s_cbranch_execz .LBB212_169
; %bb.164:                              ;   in Loop: Header=BB212_15 Depth=1
	v_mov_b32_e32 v5, 0x7f800001
	v_bfe_u32 v4, v2, 16, 7
	v_mov_b32_e32 v6, 0
	s_mov_b32 s20, exec_lo
	buffer_store_dword v5, off, s[0:3], s32 offset:388 ; 4-byte Folded Spill
	buffer_store_dword v6, off, s[0:3], s32 offset:392 ; 4-byte Folded Spill
	v_cmpx_ne_u32_e32 0x7f, v4
	s_cbranch_execz .LBB212_168
; %bb.165:                              ;   in Loop: Header=BB212_15 Depth=1
	v_mov_b32_e32 v3, 7
	s_mov_b32 s21, exec_lo
	v_and_b32_sdwa v28, v2, v3 dst_sel:DWORD dst_unused:UNUSED_PAD src0_sel:WORD_1 src1_sel:DWORD
	v_lshrrev_b32_e32 v3, 3, v4
	v_cmpx_gt_u32_e32 8, v4
; %bb.166:                              ;   in Loop: Header=BB212_15 Depth=1
	v_ffbh_u32_e32 v3, v28
	v_min_u32_e32 v3, 32, v3
	v_subrev_nc_u32_e32 v4, 28, v3
	v_sub_nc_u32_e32 v3, 29, v3
	v_lshlrev_b64 v[4:5], v4, v[28:29]
	v_and_b32_e32 v28, 7, v4
; %bb.167:                              ;   in Loop: Header=BB212_15 Depth=1
	s_or_b32 exec_lo, exec_lo, s21
	v_mov_b32_e32 v4, 24
	v_lshlrev_b32_e32 v5, 20, v28
	v_lshl_add_u32 v3, v3, 23, 0x3c000000
	v_lshlrev_b32_sdwa v4, v4, v2 dst_sel:DWORD dst_unused:UNUSED_PAD src0_sel:DWORD src1_sel:WORD_1
	v_and_b32_e32 v4, 0x80000000, v4
	v_or3_b32 v28, v5, v4, v3
	buffer_store_dword v28, off, s[0:3], s32 offset:388 ; 4-byte Folded Spill
	buffer_store_dword v29, off, s[0:3], s32 offset:392 ; 4-byte Folded Spill
.LBB212_168:                            ;   in Loop: Header=BB212_15 Depth=1
	s_or_b32 exec_lo, exec_lo, s20
.LBB212_169:                            ;   in Loop: Header=BB212_15 Depth=1
	s_or_b32 exec_lo, exec_lo, s19
.LBB212_170:                            ;   in Loop: Header=BB212_15 Depth=1
	s_or_b32 exec_lo, exec_lo, s18
	s_mov_b32 s18, exec_lo
	v_cmpx_lt_u32_e32 0xffffff, v2
	s_cbranch_execz .LBB212_178
; %bb.171:                              ;   in Loop: Header=BB212_15 Depth=1
	v_mov_b32_e32 v3, 0x80
	v_mov_b32_e32 v32, v29
	buffer_store_dword v32, off, s[0:3], s32 offset:380 ; 4-byte Folded Spill
	buffer_store_dword v33, off, s[0:3], s32 offset:384 ; 4-byte Folded Spill
	v_cmp_ne_u32_sdwa s5, v2, v3 src0_sel:BYTE_3 src1_sel:DWORD
	s_and_saveexec_b32 s19, s5
	s_cbranch_execz .LBB212_177
; %bb.172:                              ;   in Loop: Header=BB212_15 Depth=1
	s_clause 0x1
	buffer_load_dword v5, off, s[0:3], s32 offset:192
	buffer_load_dword v6, off, s[0:3], s32 offset:196
	v_bfe_u32 v4, v2, 24, 7
	s_waitcnt vmcnt(1)
	v_mov_b32_e32 v5, v29
	s_mov_b32 s20, exec_lo
	s_waitcnt vmcnt(0)
	v_mov_b32_e32 v3, v6
	buffer_store_dword v2, off, s[0:3], s32 offset:192 ; 4-byte Folded Spill
	buffer_store_dword v3, off, s[0:3], s32 offset:196 ; 4-byte Folded Spill
	;; [unrolled: 1-line block ×4, first 2 shown]
	v_cmpx_ne_u32_e32 0x7f, v4
	s_cbranch_execz .LBB212_176
; %bb.173:                              ;   in Loop: Header=BB212_15 Depth=1
	v_mov_b32_e32 v3, 7
	s_mov_b32 s21, exec_lo
	v_and_b32_sdwa v28, v2, v3 dst_sel:DWORD dst_unused:UNUSED_PAD src0_sel:BYTE_3 src1_sel:DWORD
	v_lshrrev_b32_e32 v3, 3, v4
	v_cmpx_gt_u32_e32 8, v4
; %bb.174:                              ;   in Loop: Header=BB212_15 Depth=1
	v_ffbh_u32_e32 v3, v28
	v_min_u32_e32 v3, 32, v3
	v_subrev_nc_u32_e32 v4, 28, v3
	v_sub_nc_u32_e32 v3, 29, v3
	v_lshlrev_b64 v[4:5], v4, v[28:29]
	v_and_b32_e32 v28, 7, v4
; %bb.175:                              ;   in Loop: Header=BB212_15 Depth=1
	s_or_b32 exec_lo, exec_lo, s21
	v_mov_b32_e32 v4, 24
	v_lshl_add_u32 v3, v3, 23, 0x3c000000
	v_lshlrev_b32_sdwa v2, v4, v2 dst_sel:DWORD dst_unused:UNUSED_PAD src0_sel:DWORD src1_sel:BYTE_3
	v_lshlrev_b32_e32 v4, 20, v28
	v_and_b32_e32 v2, 0x80000000, v2
	v_or3_b32 v3, v4, v2, v3
	v_mov_b32_e32 v2, v29
	buffer_store_dword v2, off, s[0:3], s32 offset:380 ; 4-byte Folded Spill
	buffer_store_dword v3, off, s[0:3], s32 offset:384 ; 4-byte Folded Spill
.LBB212_176:                            ;   in Loop: Header=BB212_15 Depth=1
	s_or_b32 exec_lo, exec_lo, s20
.LBB212_177:                            ;   in Loop: Header=BB212_15 Depth=1
	s_or_b32 exec_lo, exec_lo, s19
.LBB212_178:                            ;   in Loop: Header=BB212_15 Depth=1
	s_or_b32 exec_lo, exec_lo, s18
	flat_load_dword v2, v[0:1] offset:516
	v_mov_b32_e32 v3, 0
	v_mov_b32_e32 v4, 0
	buffer_store_dword v3, off, s[0:3], s32 offset:404 ; 4-byte Folded Spill
	buffer_store_dword v4, off, s[0:3], s32 offset:408 ; 4-byte Folded Spill
	v_mov_b32_e32 v3, 0
	v_mov_b32_e32 v4, 0
	buffer_store_dword v3, off, s[0:3], s32 offset:396 ; 4-byte Folded Spill
	buffer_store_dword v4, off, s[0:3], s32 offset:400 ; 4-byte Folded Spill
	s_waitcnt vmcnt(0) lgkmcnt(0)
	v_cmp_ne_u16_sdwa s5, v2, v29 src0_sel:BYTE_0 src1_sel:DWORD
	s_and_saveexec_b32 s18, s5
	s_cbranch_execz .LBB212_186
; %bb.179:                              ;   in Loop: Header=BB212_15 Depth=1
	v_bfrev_b32_e32 v3, 1
	v_mov_b32_e32 v4, 0
	buffer_store_dword v3, off, s[0:3], s32 offset:396 ; 4-byte Folded Spill
	buffer_store_dword v4, off, s[0:3], s32 offset:400 ; 4-byte Folded Spill
	v_mov_b32_e32 v3, 0x80
	v_cmp_ne_u16_sdwa s5, v2, v3 src0_sel:BYTE_0 src1_sel:DWORD
	s_and_saveexec_b32 s19, s5
	s_cbranch_execz .LBB212_185
; %bb.180:                              ;   in Loop: Header=BB212_15 Depth=1
	v_mov_b32_e32 v5, 0x7f800001
	v_and_b32_e32 v4, 0x7f, v2
	v_mov_b32_e32 v6, 0
	s_mov_b32 s20, exec_lo
	buffer_store_dword v5, off, s[0:3], s32 offset:396 ; 4-byte Folded Spill
	buffer_store_dword v6, off, s[0:3], s32 offset:400 ; 4-byte Folded Spill
	v_cmpx_ne_u32_e32 0x7f, v4
	s_cbranch_execz .LBB212_184
; %bb.181:                              ;   in Loop: Header=BB212_15 Depth=1
	v_and_b32_e32 v28, 7, v2
	v_lshrrev_b32_e32 v3, 3, v4
	s_mov_b32 s21, exec_lo
	v_cmpx_gt_u32_e32 8, v4
; %bb.182:                              ;   in Loop: Header=BB212_15 Depth=1
	v_ffbh_u32_e32 v3, v28
	v_min_u32_e32 v3, 32, v3
	v_subrev_nc_u32_e32 v4, 28, v3
	v_sub_nc_u32_e32 v3, 29, v3
	v_lshlrev_b64 v[4:5], v4, v[28:29]
	v_and_b32_e32 v28, 7, v4
; %bb.183:                              ;   in Loop: Header=BB212_15 Depth=1
	s_or_b32 exec_lo, exec_lo, s21
	v_lshlrev_b32_e32 v4, 24, v2
	v_lshlrev_b32_e32 v5, 20, v28
	v_lshl_add_u32 v3, v3, 23, 0x3c000000
	v_and_b32_e32 v4, 0x80000000, v4
	v_or3_b32 v28, v5, v4, v3
	buffer_store_dword v28, off, s[0:3], s32 offset:396 ; 4-byte Folded Spill
	buffer_store_dword v29, off, s[0:3], s32 offset:400 ; 4-byte Folded Spill
.LBB212_184:                            ;   in Loop: Header=BB212_15 Depth=1
	s_or_b32 exec_lo, exec_lo, s20
.LBB212_185:                            ;   in Loop: Header=BB212_15 Depth=1
	s_or_b32 exec_lo, exec_lo, s19
.LBB212_186:                            ;   in Loop: Header=BB212_15 Depth=1
	s_or_b32 exec_lo, exec_lo, s18
	v_cmp_ne_u16_sdwa s5, v2, v29 src0_sel:BYTE_1 src1_sel:DWORD
	s_and_saveexec_b32 s18, s5
	s_cbranch_execz .LBB212_194
; %bb.187:                              ;   in Loop: Header=BB212_15 Depth=1
	v_mov_b32_e32 v3, 0x80
	v_mov_b32_e32 v32, v29
	buffer_store_dword v32, off, s[0:3], s32 offset:404 ; 4-byte Folded Spill
	buffer_store_dword v33, off, s[0:3], s32 offset:408 ; 4-byte Folded Spill
	v_cmp_ne_u16_sdwa s5, v2, v3 src0_sel:BYTE_1 src1_sel:DWORD
	s_and_saveexec_b32 s19, s5
	s_cbranch_execz .LBB212_193
; %bb.188:                              ;   in Loop: Header=BB212_15 Depth=1
	s_clause 0x1
	buffer_load_dword v5, off, s[0:3], s32 offset:192
	buffer_load_dword v6, off, s[0:3], s32 offset:196
	v_mov_b32_e32 v3, 0xffff
	s_mov_b32 s20, exec_lo
	v_and_b32_sdwa v3, v3, v2 dst_sel:DWORD dst_unused:UNUSED_PAD src0_sel:DWORD src1_sel:BYTE_1
	v_and_b32_e32 v4, 0x7f, v3
	s_waitcnt vmcnt(0)
	v_mov_b32_e32 v7, v6
	v_mov_b32_e32 v6, v29
	;; [unrolled: 1-line block ×3, first 2 shown]
	buffer_store_dword v4, off, s[0:3], s32 offset:192 ; 4-byte Folded Spill
	buffer_store_dword v5, off, s[0:3], s32 offset:196 ; 4-byte Folded Spill
	;; [unrolled: 1-line block ×4, first 2 shown]
	v_cmpx_ne_u32_e32 0x7f, v4
	s_cbranch_execz .LBB212_192
; %bb.189:                              ;   in Loop: Header=BB212_15 Depth=1
	v_and_b32_e32 v28, 7, v3
	v_lshrrev_b32_e32 v3, 3, v4
	s_mov_b32 s21, exec_lo
	v_cmpx_gt_u32_e32 8, v4
; %bb.190:                              ;   in Loop: Header=BB212_15 Depth=1
	v_ffbh_u32_e32 v3, v28
	v_min_u32_e32 v3, 32, v3
	v_subrev_nc_u32_e32 v4, 28, v3
	v_sub_nc_u32_e32 v3, 29, v3
	v_lshlrev_b64 v[4:5], v4, v[28:29]
	v_and_b32_e32 v28, 7, v4
; %bb.191:                              ;   in Loop: Header=BB212_15 Depth=1
	s_or_b32 exec_lo, exec_lo, s21
	v_lshlrev_b32_e32 v4, 16, v2
	v_lshlrev_b32_e32 v5, 20, v28
	v_lshl_add_u32 v3, v3, 23, 0x3c000000
	v_and_b32_e32 v4, 0x80000000, v4
	v_or3_b32 v4, v5, v4, v3
	v_mov_b32_e32 v3, v29
	buffer_store_dword v3, off, s[0:3], s32 offset:404 ; 4-byte Folded Spill
	buffer_store_dword v4, off, s[0:3], s32 offset:408 ; 4-byte Folded Spill
.LBB212_192:                            ;   in Loop: Header=BB212_15 Depth=1
	s_or_b32 exec_lo, exec_lo, s20
.LBB212_193:                            ;   in Loop: Header=BB212_15 Depth=1
	s_or_b32 exec_lo, exec_lo, s19
.LBB212_194:                            ;   in Loop: Header=BB212_15 Depth=1
	s_or_b32 exec_lo, exec_lo, s18
	v_mov_b32_e32 v4, 0
	v_mov_b32_e32 v5, 0
	;; [unrolled: 1-line block ×3, first 2 shown]
	s_mov_b32 s18, exec_lo
	buffer_store_dword v4, off, s[0:3], s32 offset:412 ; 4-byte Folded Spill
	buffer_store_dword v5, off, s[0:3], s32 offset:416 ; 4-byte Folded Spill
	v_mov_b32_e32 v4, 0
	v_and_b32_sdwa v3, v2, v3 dst_sel:DWORD dst_unused:UNUSED_PAD src0_sel:WORD_1 src1_sel:DWORD
	v_mov_b32_e32 v5, 0
	buffer_store_dword v4, off, s[0:3], s32 offset:420 ; 4-byte Folded Spill
	buffer_store_dword v5, off, s[0:3], s32 offset:424 ; 4-byte Folded Spill
	v_cmpx_ne_u16_e32 0, v3
	s_cbranch_execz .LBB212_202
; %bb.195:                              ;   in Loop: Header=BB212_15 Depth=1
	v_cmp_ne_u16_e64 s5, 0x80, v3
	v_bfrev_b32_e32 v3, 1
	v_mov_b32_e32 v4, 0
	buffer_store_dword v3, off, s[0:3], s32 offset:420 ; 4-byte Folded Spill
	buffer_store_dword v4, off, s[0:3], s32 offset:424 ; 4-byte Folded Spill
	s_and_saveexec_b32 s19, s5
	s_cbranch_execz .LBB212_201
; %bb.196:                              ;   in Loop: Header=BB212_15 Depth=1
	v_mov_b32_e32 v5, 0x7f800001
	v_bfe_u32 v4, v2, 16, 7
	v_mov_b32_e32 v6, 0
	s_mov_b32 s20, exec_lo
	buffer_store_dword v5, off, s[0:3], s32 offset:420 ; 4-byte Folded Spill
	buffer_store_dword v6, off, s[0:3], s32 offset:424 ; 4-byte Folded Spill
	v_cmpx_ne_u32_e32 0x7f, v4
	s_cbranch_execz .LBB212_200
; %bb.197:                              ;   in Loop: Header=BB212_15 Depth=1
	v_mov_b32_e32 v3, 7
	s_mov_b32 s21, exec_lo
	v_and_b32_sdwa v28, v2, v3 dst_sel:DWORD dst_unused:UNUSED_PAD src0_sel:WORD_1 src1_sel:DWORD
	v_lshrrev_b32_e32 v3, 3, v4
	v_cmpx_gt_u32_e32 8, v4
; %bb.198:                              ;   in Loop: Header=BB212_15 Depth=1
	v_ffbh_u32_e32 v3, v28
	v_min_u32_e32 v3, 32, v3
	v_subrev_nc_u32_e32 v4, 28, v3
	v_sub_nc_u32_e32 v3, 29, v3
	v_lshlrev_b64 v[4:5], v4, v[28:29]
	v_and_b32_e32 v28, 7, v4
; %bb.199:                              ;   in Loop: Header=BB212_15 Depth=1
	s_or_b32 exec_lo, exec_lo, s21
	v_mov_b32_e32 v4, 24
	v_lshlrev_b32_e32 v5, 20, v28
	v_lshl_add_u32 v3, v3, 23, 0x3c000000
	v_lshlrev_b32_sdwa v4, v4, v2 dst_sel:DWORD dst_unused:UNUSED_PAD src0_sel:DWORD src1_sel:WORD_1
	v_and_b32_e32 v4, 0x80000000, v4
	v_or3_b32 v28, v5, v4, v3
	buffer_store_dword v28, off, s[0:3], s32 offset:420 ; 4-byte Folded Spill
	buffer_store_dword v29, off, s[0:3], s32 offset:424 ; 4-byte Folded Spill
.LBB212_200:                            ;   in Loop: Header=BB212_15 Depth=1
	s_or_b32 exec_lo, exec_lo, s20
.LBB212_201:                            ;   in Loop: Header=BB212_15 Depth=1
	s_or_b32 exec_lo, exec_lo, s19
.LBB212_202:                            ;   in Loop: Header=BB212_15 Depth=1
	s_or_b32 exec_lo, exec_lo, s18
	s_mov_b32 s18, exec_lo
	v_cmpx_lt_u32_e32 0xffffff, v2
	s_cbranch_execz .LBB212_210
; %bb.203:                              ;   in Loop: Header=BB212_15 Depth=1
	v_mov_b32_e32 v3, 0x80
	v_mov_b32_e32 v32, v29
	buffer_store_dword v32, off, s[0:3], s32 offset:412 ; 4-byte Folded Spill
	buffer_store_dword v33, off, s[0:3], s32 offset:416 ; 4-byte Folded Spill
	v_cmp_ne_u32_sdwa s5, v2, v3 src0_sel:BYTE_3 src1_sel:DWORD
	s_and_saveexec_b32 s19, s5
	s_cbranch_execz .LBB212_209
; %bb.204:                              ;   in Loop: Header=BB212_15 Depth=1
	s_clause 0x1
	buffer_load_dword v5, off, s[0:3], s32 offset:192
	buffer_load_dword v6, off, s[0:3], s32 offset:196
	v_bfe_u32 v4, v2, 24, 7
	s_waitcnt vmcnt(1)
	v_mov_b32_e32 v5, v29
	s_mov_b32 s20, exec_lo
	s_waitcnt vmcnt(0)
	v_mov_b32_e32 v3, v6
	buffer_store_dword v2, off, s[0:3], s32 offset:192 ; 4-byte Folded Spill
	buffer_store_dword v3, off, s[0:3], s32 offset:196 ; 4-byte Folded Spill
	;; [unrolled: 1-line block ×4, first 2 shown]
	v_cmpx_ne_u32_e32 0x7f, v4
	s_cbranch_execz .LBB212_208
; %bb.205:                              ;   in Loop: Header=BB212_15 Depth=1
	v_mov_b32_e32 v3, 7
	s_mov_b32 s21, exec_lo
	v_and_b32_sdwa v28, v2, v3 dst_sel:DWORD dst_unused:UNUSED_PAD src0_sel:BYTE_3 src1_sel:DWORD
	v_lshrrev_b32_e32 v3, 3, v4
	v_cmpx_gt_u32_e32 8, v4
; %bb.206:                              ;   in Loop: Header=BB212_15 Depth=1
	v_ffbh_u32_e32 v3, v28
	v_min_u32_e32 v3, 32, v3
	v_subrev_nc_u32_e32 v4, 28, v3
	v_sub_nc_u32_e32 v3, 29, v3
	v_lshlrev_b64 v[4:5], v4, v[28:29]
	v_and_b32_e32 v28, 7, v4
; %bb.207:                              ;   in Loop: Header=BB212_15 Depth=1
	s_or_b32 exec_lo, exec_lo, s21
	v_mov_b32_e32 v4, 24
	v_lshl_add_u32 v3, v3, 23, 0x3c000000
	v_lshlrev_b32_sdwa v2, v4, v2 dst_sel:DWORD dst_unused:UNUSED_PAD src0_sel:DWORD src1_sel:BYTE_3
	v_lshlrev_b32_e32 v4, 20, v28
	v_and_b32_e32 v2, 0x80000000, v2
	v_or3_b32 v3, v4, v2, v3
	v_mov_b32_e32 v2, v29
	buffer_store_dword v2, off, s[0:3], s32 offset:412 ; 4-byte Folded Spill
	buffer_store_dword v3, off, s[0:3], s32 offset:416 ; 4-byte Folded Spill
.LBB212_208:                            ;   in Loop: Header=BB212_15 Depth=1
	s_or_b32 exec_lo, exec_lo, s20
.LBB212_209:                            ;   in Loop: Header=BB212_15 Depth=1
	s_or_b32 exec_lo, exec_lo, s19
.LBB212_210:                            ;   in Loop: Header=BB212_15 Depth=1
	s_or_b32 exec_lo, exec_lo, s18
	flat_load_dword v2, v[0:1] offset:520
	v_mov_b32_e32 v3, 0
	v_mov_b32_e32 v4, 0
	buffer_store_dword v3, off, s[0:3], s32 offset:436 ; 4-byte Folded Spill
	buffer_store_dword v4, off, s[0:3], s32 offset:440 ; 4-byte Folded Spill
	v_mov_b32_e32 v3, 0
	v_mov_b32_e32 v4, 0
	buffer_store_dword v3, off, s[0:3], s32 offset:428 ; 4-byte Folded Spill
	buffer_store_dword v4, off, s[0:3], s32 offset:432 ; 4-byte Folded Spill
	s_waitcnt vmcnt(0) lgkmcnt(0)
	v_cmp_ne_u16_sdwa s5, v2, v29 src0_sel:BYTE_0 src1_sel:DWORD
	s_and_saveexec_b32 s18, s5
	s_cbranch_execz .LBB212_218
; %bb.211:                              ;   in Loop: Header=BB212_15 Depth=1
	v_bfrev_b32_e32 v3, 1
	v_mov_b32_e32 v4, 0
	buffer_store_dword v3, off, s[0:3], s32 offset:428 ; 4-byte Folded Spill
	buffer_store_dword v4, off, s[0:3], s32 offset:432 ; 4-byte Folded Spill
	v_mov_b32_e32 v3, 0x80
	v_cmp_ne_u16_sdwa s5, v2, v3 src0_sel:BYTE_0 src1_sel:DWORD
	s_and_saveexec_b32 s19, s5
	s_cbranch_execz .LBB212_217
; %bb.212:                              ;   in Loop: Header=BB212_15 Depth=1
	v_mov_b32_e32 v5, 0x7f800001
	v_and_b32_e32 v4, 0x7f, v2
	v_mov_b32_e32 v6, 0
	s_mov_b32 s20, exec_lo
	buffer_store_dword v5, off, s[0:3], s32 offset:428 ; 4-byte Folded Spill
	buffer_store_dword v6, off, s[0:3], s32 offset:432 ; 4-byte Folded Spill
	v_cmpx_ne_u32_e32 0x7f, v4
	s_cbranch_execz .LBB212_216
; %bb.213:                              ;   in Loop: Header=BB212_15 Depth=1
	v_and_b32_e32 v28, 7, v2
	v_lshrrev_b32_e32 v3, 3, v4
	s_mov_b32 s21, exec_lo
	v_cmpx_gt_u32_e32 8, v4
; %bb.214:                              ;   in Loop: Header=BB212_15 Depth=1
	v_ffbh_u32_e32 v3, v28
	v_min_u32_e32 v3, 32, v3
	v_subrev_nc_u32_e32 v4, 28, v3
	v_sub_nc_u32_e32 v3, 29, v3
	v_lshlrev_b64 v[4:5], v4, v[28:29]
	v_and_b32_e32 v28, 7, v4
; %bb.215:                              ;   in Loop: Header=BB212_15 Depth=1
	s_or_b32 exec_lo, exec_lo, s21
	v_lshlrev_b32_e32 v4, 24, v2
	v_lshlrev_b32_e32 v5, 20, v28
	v_lshl_add_u32 v3, v3, 23, 0x3c000000
	v_and_b32_e32 v4, 0x80000000, v4
	v_or3_b32 v28, v5, v4, v3
	buffer_store_dword v28, off, s[0:3], s32 offset:428 ; 4-byte Folded Spill
	buffer_store_dword v29, off, s[0:3], s32 offset:432 ; 4-byte Folded Spill
.LBB212_216:                            ;   in Loop: Header=BB212_15 Depth=1
	s_or_b32 exec_lo, exec_lo, s20
.LBB212_217:                            ;   in Loop: Header=BB212_15 Depth=1
	s_or_b32 exec_lo, exec_lo, s19
.LBB212_218:                            ;   in Loop: Header=BB212_15 Depth=1
	s_or_b32 exec_lo, exec_lo, s18
	v_cmp_ne_u16_sdwa s5, v2, v29 src0_sel:BYTE_1 src1_sel:DWORD
	s_and_saveexec_b32 s18, s5
	s_cbranch_execz .LBB212_226
; %bb.219:                              ;   in Loop: Header=BB212_15 Depth=1
	v_mov_b32_e32 v3, 0x80
	v_mov_b32_e32 v32, v29
	buffer_store_dword v32, off, s[0:3], s32 offset:436 ; 4-byte Folded Spill
	buffer_store_dword v33, off, s[0:3], s32 offset:440 ; 4-byte Folded Spill
	v_cmp_ne_u16_sdwa s5, v2, v3 src0_sel:BYTE_1 src1_sel:DWORD
	s_and_saveexec_b32 s19, s5
	s_cbranch_execz .LBB212_225
; %bb.220:                              ;   in Loop: Header=BB212_15 Depth=1
	s_clause 0x1
	buffer_load_dword v5, off, s[0:3], s32 offset:192
	buffer_load_dword v6, off, s[0:3], s32 offset:196
	v_mov_b32_e32 v3, 0xffff
	s_mov_b32 s20, exec_lo
	v_and_b32_sdwa v3, v3, v2 dst_sel:DWORD dst_unused:UNUSED_PAD src0_sel:DWORD src1_sel:BYTE_1
	v_and_b32_e32 v4, 0x7f, v3
	s_waitcnt vmcnt(0)
	v_mov_b32_e32 v7, v6
	v_mov_b32_e32 v6, v29
	;; [unrolled: 1-line block ×3, first 2 shown]
	buffer_store_dword v4, off, s[0:3], s32 offset:192 ; 4-byte Folded Spill
	buffer_store_dword v5, off, s[0:3], s32 offset:196 ; 4-byte Folded Spill
	;; [unrolled: 1-line block ×4, first 2 shown]
	v_cmpx_ne_u32_e32 0x7f, v4
	s_cbranch_execz .LBB212_224
; %bb.221:                              ;   in Loop: Header=BB212_15 Depth=1
	v_and_b32_e32 v28, 7, v3
	v_lshrrev_b32_e32 v3, 3, v4
	s_mov_b32 s21, exec_lo
	v_cmpx_gt_u32_e32 8, v4
; %bb.222:                              ;   in Loop: Header=BB212_15 Depth=1
	v_ffbh_u32_e32 v3, v28
	v_min_u32_e32 v3, 32, v3
	v_subrev_nc_u32_e32 v4, 28, v3
	v_sub_nc_u32_e32 v3, 29, v3
	v_lshlrev_b64 v[4:5], v4, v[28:29]
	v_and_b32_e32 v28, 7, v4
; %bb.223:                              ;   in Loop: Header=BB212_15 Depth=1
	s_or_b32 exec_lo, exec_lo, s21
	v_lshlrev_b32_e32 v4, 16, v2
	v_lshlrev_b32_e32 v5, 20, v28
	v_lshl_add_u32 v3, v3, 23, 0x3c000000
	v_and_b32_e32 v4, 0x80000000, v4
	v_or3_b32 v4, v5, v4, v3
	v_mov_b32_e32 v3, v29
	buffer_store_dword v3, off, s[0:3], s32 offset:436 ; 4-byte Folded Spill
	buffer_store_dword v4, off, s[0:3], s32 offset:440 ; 4-byte Folded Spill
.LBB212_224:                            ;   in Loop: Header=BB212_15 Depth=1
	s_or_b32 exec_lo, exec_lo, s20
.LBB212_225:                            ;   in Loop: Header=BB212_15 Depth=1
	s_or_b32 exec_lo, exec_lo, s19
.LBB212_226:                            ;   in Loop: Header=BB212_15 Depth=1
	s_or_b32 exec_lo, exec_lo, s18
	v_mov_b32_e32 v4, 0
	v_mov_b32_e32 v5, 0
	;; [unrolled: 1-line block ×3, first 2 shown]
	s_mov_b32 s18, exec_lo
	buffer_store_dword v4, off, s[0:3], s32 offset:444 ; 4-byte Folded Spill
	buffer_store_dword v5, off, s[0:3], s32 offset:448 ; 4-byte Folded Spill
	v_mov_b32_e32 v4, 0
	v_and_b32_sdwa v3, v2, v3 dst_sel:DWORD dst_unused:UNUSED_PAD src0_sel:WORD_1 src1_sel:DWORD
	v_mov_b32_e32 v5, 0
	buffer_store_dword v4, off, s[0:3], s32 offset:452 ; 4-byte Folded Spill
	buffer_store_dword v5, off, s[0:3], s32 offset:456 ; 4-byte Folded Spill
	v_cmpx_ne_u16_e32 0, v3
	s_cbranch_execz .LBB212_234
; %bb.227:                              ;   in Loop: Header=BB212_15 Depth=1
	v_cmp_ne_u16_e64 s5, 0x80, v3
	v_bfrev_b32_e32 v3, 1
	v_mov_b32_e32 v4, 0
	buffer_store_dword v3, off, s[0:3], s32 offset:452 ; 4-byte Folded Spill
	buffer_store_dword v4, off, s[0:3], s32 offset:456 ; 4-byte Folded Spill
	s_and_saveexec_b32 s19, s5
	s_cbranch_execz .LBB212_233
; %bb.228:                              ;   in Loop: Header=BB212_15 Depth=1
	v_mov_b32_e32 v5, 0x7f800001
	v_bfe_u32 v4, v2, 16, 7
	v_mov_b32_e32 v6, 0
	s_mov_b32 s20, exec_lo
	buffer_store_dword v5, off, s[0:3], s32 offset:452 ; 4-byte Folded Spill
	buffer_store_dword v6, off, s[0:3], s32 offset:456 ; 4-byte Folded Spill
	v_cmpx_ne_u32_e32 0x7f, v4
	s_cbranch_execz .LBB212_232
; %bb.229:                              ;   in Loop: Header=BB212_15 Depth=1
	v_mov_b32_e32 v3, 7
	s_mov_b32 s21, exec_lo
	v_and_b32_sdwa v28, v2, v3 dst_sel:DWORD dst_unused:UNUSED_PAD src0_sel:WORD_1 src1_sel:DWORD
	v_lshrrev_b32_e32 v3, 3, v4
	v_cmpx_gt_u32_e32 8, v4
; %bb.230:                              ;   in Loop: Header=BB212_15 Depth=1
	v_ffbh_u32_e32 v3, v28
	v_min_u32_e32 v3, 32, v3
	v_subrev_nc_u32_e32 v4, 28, v3
	v_sub_nc_u32_e32 v3, 29, v3
	v_lshlrev_b64 v[4:5], v4, v[28:29]
	v_and_b32_e32 v28, 7, v4
; %bb.231:                              ;   in Loop: Header=BB212_15 Depth=1
	s_or_b32 exec_lo, exec_lo, s21
	v_mov_b32_e32 v4, 24
	v_lshlrev_b32_e32 v5, 20, v28
	v_lshl_add_u32 v3, v3, 23, 0x3c000000
	v_lshlrev_b32_sdwa v4, v4, v2 dst_sel:DWORD dst_unused:UNUSED_PAD src0_sel:DWORD src1_sel:WORD_1
	v_and_b32_e32 v4, 0x80000000, v4
	v_or3_b32 v28, v5, v4, v3
	buffer_store_dword v28, off, s[0:3], s32 offset:452 ; 4-byte Folded Spill
	buffer_store_dword v29, off, s[0:3], s32 offset:456 ; 4-byte Folded Spill
.LBB212_232:                            ;   in Loop: Header=BB212_15 Depth=1
	s_or_b32 exec_lo, exec_lo, s20
.LBB212_233:                            ;   in Loop: Header=BB212_15 Depth=1
	s_or_b32 exec_lo, exec_lo, s19
.LBB212_234:                            ;   in Loop: Header=BB212_15 Depth=1
	s_or_b32 exec_lo, exec_lo, s18
	s_mov_b32 s18, exec_lo
	v_cmpx_lt_u32_e32 0xffffff, v2
	s_cbranch_execz .LBB212_242
; %bb.235:                              ;   in Loop: Header=BB212_15 Depth=1
	v_mov_b32_e32 v3, 0x80
	v_mov_b32_e32 v32, v29
	buffer_store_dword v32, off, s[0:3], s32 offset:444 ; 4-byte Folded Spill
	buffer_store_dword v33, off, s[0:3], s32 offset:448 ; 4-byte Folded Spill
	v_cmp_ne_u32_sdwa s5, v2, v3 src0_sel:BYTE_3 src1_sel:DWORD
	s_and_saveexec_b32 s19, s5
	s_cbranch_execz .LBB212_241
; %bb.236:                              ;   in Loop: Header=BB212_15 Depth=1
	s_clause 0x1
	buffer_load_dword v5, off, s[0:3], s32 offset:192
	buffer_load_dword v6, off, s[0:3], s32 offset:196
	v_bfe_u32 v4, v2, 24, 7
	s_waitcnt vmcnt(1)
	v_mov_b32_e32 v5, v29
	s_mov_b32 s20, exec_lo
	s_waitcnt vmcnt(0)
	v_mov_b32_e32 v3, v6
	buffer_store_dword v2, off, s[0:3], s32 offset:192 ; 4-byte Folded Spill
	buffer_store_dword v3, off, s[0:3], s32 offset:196 ; 4-byte Folded Spill
	;; [unrolled: 1-line block ×4, first 2 shown]
	v_cmpx_ne_u32_e32 0x7f, v4
	s_cbranch_execz .LBB212_240
; %bb.237:                              ;   in Loop: Header=BB212_15 Depth=1
	v_mov_b32_e32 v3, 7
	s_mov_b32 s21, exec_lo
	v_and_b32_sdwa v28, v2, v3 dst_sel:DWORD dst_unused:UNUSED_PAD src0_sel:BYTE_3 src1_sel:DWORD
	v_lshrrev_b32_e32 v3, 3, v4
	v_cmpx_gt_u32_e32 8, v4
; %bb.238:                              ;   in Loop: Header=BB212_15 Depth=1
	v_ffbh_u32_e32 v3, v28
	v_min_u32_e32 v3, 32, v3
	v_subrev_nc_u32_e32 v4, 28, v3
	v_sub_nc_u32_e32 v3, 29, v3
	v_lshlrev_b64 v[4:5], v4, v[28:29]
	v_and_b32_e32 v28, 7, v4
; %bb.239:                              ;   in Loop: Header=BB212_15 Depth=1
	s_or_b32 exec_lo, exec_lo, s21
	v_mov_b32_e32 v4, 24
	v_lshl_add_u32 v3, v3, 23, 0x3c000000
	v_lshlrev_b32_sdwa v2, v4, v2 dst_sel:DWORD dst_unused:UNUSED_PAD src0_sel:DWORD src1_sel:BYTE_3
	v_lshlrev_b32_e32 v4, 20, v28
	v_and_b32_e32 v2, 0x80000000, v2
	v_or3_b32 v3, v4, v2, v3
	v_mov_b32_e32 v2, v29
	buffer_store_dword v2, off, s[0:3], s32 offset:444 ; 4-byte Folded Spill
	buffer_store_dword v3, off, s[0:3], s32 offset:448 ; 4-byte Folded Spill
.LBB212_240:                            ;   in Loop: Header=BB212_15 Depth=1
	s_or_b32 exec_lo, exec_lo, s20
.LBB212_241:                            ;   in Loop: Header=BB212_15 Depth=1
	s_or_b32 exec_lo, exec_lo, s19
.LBB212_242:                            ;   in Loop: Header=BB212_15 Depth=1
	s_or_b32 exec_lo, exec_lo, s18
	flat_load_dword v2, v[0:1] offset:524
	v_mov_b32_e32 v3, 0
	v_mov_b32_e32 v4, 0
	buffer_store_dword v3, off, s[0:3], s32 offset:468 ; 4-byte Folded Spill
	buffer_store_dword v4, off, s[0:3], s32 offset:472 ; 4-byte Folded Spill
	v_mov_b32_e32 v3, 0
	v_mov_b32_e32 v4, 0
	buffer_store_dword v3, off, s[0:3], s32 offset:460 ; 4-byte Folded Spill
	buffer_store_dword v4, off, s[0:3], s32 offset:464 ; 4-byte Folded Spill
	s_waitcnt vmcnt(0) lgkmcnt(0)
	v_cmp_ne_u16_sdwa s5, v2, v29 src0_sel:BYTE_0 src1_sel:DWORD
	s_and_saveexec_b32 s18, s5
	s_cbranch_execz .LBB212_250
; %bb.243:                              ;   in Loop: Header=BB212_15 Depth=1
	v_bfrev_b32_e32 v3, 1
	v_mov_b32_e32 v4, 0
	buffer_store_dword v3, off, s[0:3], s32 offset:460 ; 4-byte Folded Spill
	buffer_store_dword v4, off, s[0:3], s32 offset:464 ; 4-byte Folded Spill
	v_mov_b32_e32 v3, 0x80
	v_cmp_ne_u16_sdwa s5, v2, v3 src0_sel:BYTE_0 src1_sel:DWORD
	s_and_saveexec_b32 s19, s5
	s_cbranch_execz .LBB212_249
; %bb.244:                              ;   in Loop: Header=BB212_15 Depth=1
	v_mov_b32_e32 v5, 0x7f800001
	v_and_b32_e32 v4, 0x7f, v2
	v_mov_b32_e32 v6, 0
	s_mov_b32 s20, exec_lo
	buffer_store_dword v5, off, s[0:3], s32 offset:460 ; 4-byte Folded Spill
	buffer_store_dword v6, off, s[0:3], s32 offset:464 ; 4-byte Folded Spill
	v_cmpx_ne_u32_e32 0x7f, v4
	s_cbranch_execz .LBB212_248
; %bb.245:                              ;   in Loop: Header=BB212_15 Depth=1
	v_and_b32_e32 v28, 7, v2
	v_lshrrev_b32_e32 v3, 3, v4
	s_mov_b32 s21, exec_lo
	v_cmpx_gt_u32_e32 8, v4
; %bb.246:                              ;   in Loop: Header=BB212_15 Depth=1
	v_ffbh_u32_e32 v3, v28
	v_min_u32_e32 v3, 32, v3
	v_subrev_nc_u32_e32 v4, 28, v3
	v_sub_nc_u32_e32 v3, 29, v3
	v_lshlrev_b64 v[4:5], v4, v[28:29]
	v_and_b32_e32 v28, 7, v4
; %bb.247:                              ;   in Loop: Header=BB212_15 Depth=1
	s_or_b32 exec_lo, exec_lo, s21
	v_lshlrev_b32_e32 v4, 24, v2
	v_lshlrev_b32_e32 v5, 20, v28
	v_lshl_add_u32 v3, v3, 23, 0x3c000000
	v_and_b32_e32 v4, 0x80000000, v4
	v_or3_b32 v28, v5, v4, v3
	buffer_store_dword v28, off, s[0:3], s32 offset:460 ; 4-byte Folded Spill
	buffer_store_dword v29, off, s[0:3], s32 offset:464 ; 4-byte Folded Spill
.LBB212_248:                            ;   in Loop: Header=BB212_15 Depth=1
	s_or_b32 exec_lo, exec_lo, s20
.LBB212_249:                            ;   in Loop: Header=BB212_15 Depth=1
	s_or_b32 exec_lo, exec_lo, s19
.LBB212_250:                            ;   in Loop: Header=BB212_15 Depth=1
	s_or_b32 exec_lo, exec_lo, s18
	v_cmp_ne_u16_sdwa s5, v2, v29 src0_sel:BYTE_1 src1_sel:DWORD
	s_and_saveexec_b32 s18, s5
	s_cbranch_execz .LBB212_258
; %bb.251:                              ;   in Loop: Header=BB212_15 Depth=1
	v_mov_b32_e32 v3, 0x80
	v_mov_b32_e32 v32, v29
	buffer_store_dword v32, off, s[0:3], s32 offset:468 ; 4-byte Folded Spill
	buffer_store_dword v33, off, s[0:3], s32 offset:472 ; 4-byte Folded Spill
	v_cmp_ne_u16_sdwa s5, v2, v3 src0_sel:BYTE_1 src1_sel:DWORD
	s_and_saveexec_b32 s19, s5
	s_cbranch_execz .LBB212_257
; %bb.252:                              ;   in Loop: Header=BB212_15 Depth=1
	s_clause 0x1
	buffer_load_dword v5, off, s[0:3], s32 offset:192
	buffer_load_dword v6, off, s[0:3], s32 offset:196
	v_mov_b32_e32 v3, 0xffff
	s_mov_b32 s20, exec_lo
	v_and_b32_sdwa v3, v3, v2 dst_sel:DWORD dst_unused:UNUSED_PAD src0_sel:DWORD src1_sel:BYTE_1
	v_and_b32_e32 v4, 0x7f, v3
	s_waitcnt vmcnt(0)
	v_mov_b32_e32 v7, v6
	v_mov_b32_e32 v6, v29
	;; [unrolled: 1-line block ×3, first 2 shown]
	buffer_store_dword v4, off, s[0:3], s32 offset:192 ; 4-byte Folded Spill
	buffer_store_dword v5, off, s[0:3], s32 offset:196 ; 4-byte Folded Spill
	;; [unrolled: 1-line block ×4, first 2 shown]
	v_cmpx_ne_u32_e32 0x7f, v4
	s_cbranch_execz .LBB212_256
; %bb.253:                              ;   in Loop: Header=BB212_15 Depth=1
	v_and_b32_e32 v28, 7, v3
	v_lshrrev_b32_e32 v3, 3, v4
	s_mov_b32 s21, exec_lo
	v_cmpx_gt_u32_e32 8, v4
; %bb.254:                              ;   in Loop: Header=BB212_15 Depth=1
	v_ffbh_u32_e32 v3, v28
	v_min_u32_e32 v3, 32, v3
	v_subrev_nc_u32_e32 v4, 28, v3
	v_sub_nc_u32_e32 v3, 29, v3
	v_lshlrev_b64 v[4:5], v4, v[28:29]
	v_and_b32_e32 v28, 7, v4
; %bb.255:                              ;   in Loop: Header=BB212_15 Depth=1
	s_or_b32 exec_lo, exec_lo, s21
	v_lshlrev_b32_e32 v4, 16, v2
	v_lshlrev_b32_e32 v5, 20, v28
	v_lshl_add_u32 v3, v3, 23, 0x3c000000
	v_and_b32_e32 v4, 0x80000000, v4
	v_or3_b32 v4, v5, v4, v3
	v_mov_b32_e32 v3, v29
	buffer_store_dword v3, off, s[0:3], s32 offset:468 ; 4-byte Folded Spill
	buffer_store_dword v4, off, s[0:3], s32 offset:472 ; 4-byte Folded Spill
.LBB212_256:                            ;   in Loop: Header=BB212_15 Depth=1
	s_or_b32 exec_lo, exec_lo, s20
.LBB212_257:                            ;   in Loop: Header=BB212_15 Depth=1
	s_or_b32 exec_lo, exec_lo, s19
.LBB212_258:                            ;   in Loop: Header=BB212_15 Depth=1
	s_or_b32 exec_lo, exec_lo, s18
	v_mov_b32_e32 v4, 0
	v_mov_b32_e32 v5, 0
	;; [unrolled: 1-line block ×3, first 2 shown]
	s_mov_b32 s18, exec_lo
	buffer_store_dword v4, off, s[0:3], s32 offset:476 ; 4-byte Folded Spill
	buffer_store_dword v5, off, s[0:3], s32 offset:480 ; 4-byte Folded Spill
	v_mov_b32_e32 v4, 0
	v_and_b32_sdwa v3, v2, v3 dst_sel:DWORD dst_unused:UNUSED_PAD src0_sel:WORD_1 src1_sel:DWORD
	v_mov_b32_e32 v5, 0
	buffer_store_dword v4, off, s[0:3], s32 offset:484 ; 4-byte Folded Spill
	buffer_store_dword v5, off, s[0:3], s32 offset:488 ; 4-byte Folded Spill
	v_cmpx_ne_u16_e32 0, v3
	s_cbranch_execz .LBB212_266
; %bb.259:                              ;   in Loop: Header=BB212_15 Depth=1
	v_cmp_ne_u16_e64 s5, 0x80, v3
	v_bfrev_b32_e32 v3, 1
	v_mov_b32_e32 v4, 0
	buffer_store_dword v3, off, s[0:3], s32 offset:484 ; 4-byte Folded Spill
	buffer_store_dword v4, off, s[0:3], s32 offset:488 ; 4-byte Folded Spill
	s_and_saveexec_b32 s19, s5
	s_cbranch_execz .LBB212_265
; %bb.260:                              ;   in Loop: Header=BB212_15 Depth=1
	v_mov_b32_e32 v5, 0x7f800001
	v_bfe_u32 v4, v2, 16, 7
	v_mov_b32_e32 v6, 0
	s_mov_b32 s20, exec_lo
	buffer_store_dword v5, off, s[0:3], s32 offset:484 ; 4-byte Folded Spill
	buffer_store_dword v6, off, s[0:3], s32 offset:488 ; 4-byte Folded Spill
	v_cmpx_ne_u32_e32 0x7f, v4
	s_cbranch_execz .LBB212_264
; %bb.261:                              ;   in Loop: Header=BB212_15 Depth=1
	v_mov_b32_e32 v3, 7
	s_mov_b32 s21, exec_lo
	v_and_b32_sdwa v28, v2, v3 dst_sel:DWORD dst_unused:UNUSED_PAD src0_sel:WORD_1 src1_sel:DWORD
	v_lshrrev_b32_e32 v3, 3, v4
	v_cmpx_gt_u32_e32 8, v4
; %bb.262:                              ;   in Loop: Header=BB212_15 Depth=1
	v_ffbh_u32_e32 v3, v28
	v_min_u32_e32 v3, 32, v3
	v_subrev_nc_u32_e32 v4, 28, v3
	v_sub_nc_u32_e32 v3, 29, v3
	v_lshlrev_b64 v[4:5], v4, v[28:29]
	v_and_b32_e32 v28, 7, v4
; %bb.263:                              ;   in Loop: Header=BB212_15 Depth=1
	s_or_b32 exec_lo, exec_lo, s21
	v_mov_b32_e32 v4, 24
	v_lshlrev_b32_e32 v5, 20, v28
	v_lshl_add_u32 v3, v3, 23, 0x3c000000
	v_lshlrev_b32_sdwa v4, v4, v2 dst_sel:DWORD dst_unused:UNUSED_PAD src0_sel:DWORD src1_sel:WORD_1
	v_and_b32_e32 v4, 0x80000000, v4
	v_or3_b32 v28, v5, v4, v3
	buffer_store_dword v28, off, s[0:3], s32 offset:484 ; 4-byte Folded Spill
	buffer_store_dword v29, off, s[0:3], s32 offset:488 ; 4-byte Folded Spill
.LBB212_264:                            ;   in Loop: Header=BB212_15 Depth=1
	s_or_b32 exec_lo, exec_lo, s20
.LBB212_265:                            ;   in Loop: Header=BB212_15 Depth=1
	s_or_b32 exec_lo, exec_lo, s19
.LBB212_266:                            ;   in Loop: Header=BB212_15 Depth=1
	s_or_b32 exec_lo, exec_lo, s18
	s_mov_b32 s18, exec_lo
	v_cmpx_lt_u32_e32 0xffffff, v2
	s_cbranch_execz .LBB212_274
; %bb.267:                              ;   in Loop: Header=BB212_15 Depth=1
	v_mov_b32_e32 v3, 0x80
	v_mov_b32_e32 v32, v29
	buffer_store_dword v32, off, s[0:3], s32 offset:476 ; 4-byte Folded Spill
	buffer_store_dword v33, off, s[0:3], s32 offset:480 ; 4-byte Folded Spill
	v_cmp_ne_u32_sdwa s5, v2, v3 src0_sel:BYTE_3 src1_sel:DWORD
	s_and_saveexec_b32 s19, s5
	s_cbranch_execz .LBB212_273
; %bb.268:                              ;   in Loop: Header=BB212_15 Depth=1
	s_clause 0x1
	buffer_load_dword v5, off, s[0:3], s32 offset:192
	buffer_load_dword v6, off, s[0:3], s32 offset:196
	v_bfe_u32 v4, v2, 24, 7
	s_waitcnt vmcnt(1)
	v_mov_b32_e32 v5, v29
	s_mov_b32 s20, exec_lo
	s_waitcnt vmcnt(0)
	v_mov_b32_e32 v3, v6
	buffer_store_dword v2, off, s[0:3], s32 offset:192 ; 4-byte Folded Spill
	buffer_store_dword v3, off, s[0:3], s32 offset:196 ; 4-byte Folded Spill
	;; [unrolled: 1-line block ×4, first 2 shown]
	v_cmpx_ne_u32_e32 0x7f, v4
	s_cbranch_execz .LBB212_272
; %bb.269:                              ;   in Loop: Header=BB212_15 Depth=1
	v_mov_b32_e32 v3, 7
	s_mov_b32 s21, exec_lo
	v_and_b32_sdwa v28, v2, v3 dst_sel:DWORD dst_unused:UNUSED_PAD src0_sel:BYTE_3 src1_sel:DWORD
	v_lshrrev_b32_e32 v3, 3, v4
	v_cmpx_gt_u32_e32 8, v4
; %bb.270:                              ;   in Loop: Header=BB212_15 Depth=1
	v_ffbh_u32_e32 v3, v28
	v_min_u32_e32 v3, 32, v3
	v_subrev_nc_u32_e32 v4, 28, v3
	v_sub_nc_u32_e32 v3, 29, v3
	v_lshlrev_b64 v[4:5], v4, v[28:29]
	v_and_b32_e32 v28, 7, v4
; %bb.271:                              ;   in Loop: Header=BB212_15 Depth=1
	s_or_b32 exec_lo, exec_lo, s21
	v_mov_b32_e32 v4, 24
	v_lshl_add_u32 v3, v3, 23, 0x3c000000
	v_lshlrev_b32_sdwa v2, v4, v2 dst_sel:DWORD dst_unused:UNUSED_PAD src0_sel:DWORD src1_sel:BYTE_3
	v_lshlrev_b32_e32 v4, 20, v28
	v_and_b32_e32 v2, 0x80000000, v2
	v_or3_b32 v3, v4, v2, v3
	v_mov_b32_e32 v2, v29
	buffer_store_dword v2, off, s[0:3], s32 offset:476 ; 4-byte Folded Spill
	buffer_store_dword v3, off, s[0:3], s32 offset:480 ; 4-byte Folded Spill
.LBB212_272:                            ;   in Loop: Header=BB212_15 Depth=1
	s_or_b32 exec_lo, exec_lo, s20
.LBB212_273:                            ;   in Loop: Header=BB212_15 Depth=1
	s_or_b32 exec_lo, exec_lo, s19
.LBB212_274:                            ;   in Loop: Header=BB212_15 Depth=1
	s_or_b32 exec_lo, exec_lo, s18
	flat_load_dword v2, v[0:1] offset:1024
	v_mov_b32_e32 v3, 0
	v_mov_b32_e32 v4, 0
	buffer_store_dword v3, off, s[0:3], s32 offset:500 ; 4-byte Folded Spill
	buffer_store_dword v4, off, s[0:3], s32 offset:504 ; 4-byte Folded Spill
	v_mov_b32_e32 v3, 0
	v_mov_b32_e32 v4, 0
	buffer_store_dword v3, off, s[0:3], s32 offset:492 ; 4-byte Folded Spill
	buffer_store_dword v4, off, s[0:3], s32 offset:496 ; 4-byte Folded Spill
	s_waitcnt vmcnt(0) lgkmcnt(0)
	v_cmp_ne_u16_sdwa s5, v2, v29 src0_sel:BYTE_0 src1_sel:DWORD
	s_and_saveexec_b32 s18, s5
	s_cbranch_execz .LBB212_282
; %bb.275:                              ;   in Loop: Header=BB212_15 Depth=1
	v_bfrev_b32_e32 v3, 1
	v_mov_b32_e32 v4, 0
	buffer_store_dword v3, off, s[0:3], s32 offset:492 ; 4-byte Folded Spill
	buffer_store_dword v4, off, s[0:3], s32 offset:496 ; 4-byte Folded Spill
	v_mov_b32_e32 v3, 0x80
	v_cmp_ne_u16_sdwa s5, v2, v3 src0_sel:BYTE_0 src1_sel:DWORD
	s_and_saveexec_b32 s19, s5
	s_cbranch_execz .LBB212_281
; %bb.276:                              ;   in Loop: Header=BB212_15 Depth=1
	v_mov_b32_e32 v5, 0x7f800001
	v_and_b32_e32 v4, 0x7f, v2
	v_mov_b32_e32 v6, 0
	s_mov_b32 s20, exec_lo
	buffer_store_dword v5, off, s[0:3], s32 offset:492 ; 4-byte Folded Spill
	buffer_store_dword v6, off, s[0:3], s32 offset:496 ; 4-byte Folded Spill
	v_cmpx_ne_u32_e32 0x7f, v4
	s_cbranch_execz .LBB212_280
; %bb.277:                              ;   in Loop: Header=BB212_15 Depth=1
	v_and_b32_e32 v28, 7, v2
	v_lshrrev_b32_e32 v3, 3, v4
	s_mov_b32 s21, exec_lo
	v_cmpx_gt_u32_e32 8, v4
; %bb.278:                              ;   in Loop: Header=BB212_15 Depth=1
	v_ffbh_u32_e32 v3, v28
	v_min_u32_e32 v3, 32, v3
	v_subrev_nc_u32_e32 v4, 28, v3
	v_sub_nc_u32_e32 v3, 29, v3
	v_lshlrev_b64 v[4:5], v4, v[28:29]
	v_and_b32_e32 v28, 7, v4
; %bb.279:                              ;   in Loop: Header=BB212_15 Depth=1
	s_or_b32 exec_lo, exec_lo, s21
	v_lshlrev_b32_e32 v4, 24, v2
	v_lshlrev_b32_e32 v5, 20, v28
	v_lshl_add_u32 v3, v3, 23, 0x3c000000
	v_and_b32_e32 v4, 0x80000000, v4
	v_or3_b32 v28, v5, v4, v3
	buffer_store_dword v28, off, s[0:3], s32 offset:492 ; 4-byte Folded Spill
	buffer_store_dword v29, off, s[0:3], s32 offset:496 ; 4-byte Folded Spill
.LBB212_280:                            ;   in Loop: Header=BB212_15 Depth=1
	s_or_b32 exec_lo, exec_lo, s20
.LBB212_281:                            ;   in Loop: Header=BB212_15 Depth=1
	s_or_b32 exec_lo, exec_lo, s19
.LBB212_282:                            ;   in Loop: Header=BB212_15 Depth=1
	s_or_b32 exec_lo, exec_lo, s18
	v_cmp_ne_u16_sdwa s5, v2, v29 src0_sel:BYTE_1 src1_sel:DWORD
	s_and_saveexec_b32 s18, s5
	s_cbranch_execz .LBB212_290
; %bb.283:                              ;   in Loop: Header=BB212_15 Depth=1
	v_mov_b32_e32 v3, 0x80
	v_mov_b32_e32 v32, v29
	buffer_store_dword v32, off, s[0:3], s32 offset:500 ; 4-byte Folded Spill
	buffer_store_dword v33, off, s[0:3], s32 offset:504 ; 4-byte Folded Spill
	v_cmp_ne_u16_sdwa s5, v2, v3 src0_sel:BYTE_1 src1_sel:DWORD
	s_and_saveexec_b32 s19, s5
	s_cbranch_execz .LBB212_289
; %bb.284:                              ;   in Loop: Header=BB212_15 Depth=1
	s_clause 0x1
	buffer_load_dword v5, off, s[0:3], s32 offset:192
	buffer_load_dword v6, off, s[0:3], s32 offset:196
	v_mov_b32_e32 v3, 0xffff
	s_mov_b32 s20, exec_lo
	v_and_b32_sdwa v3, v3, v2 dst_sel:DWORD dst_unused:UNUSED_PAD src0_sel:DWORD src1_sel:BYTE_1
	v_and_b32_e32 v4, 0x7f, v3
	s_waitcnt vmcnt(0)
	v_mov_b32_e32 v7, v6
	v_mov_b32_e32 v6, v29
	;; [unrolled: 1-line block ×3, first 2 shown]
	buffer_store_dword v4, off, s[0:3], s32 offset:192 ; 4-byte Folded Spill
	buffer_store_dword v5, off, s[0:3], s32 offset:196 ; 4-byte Folded Spill
	;; [unrolled: 1-line block ×4, first 2 shown]
	v_cmpx_ne_u32_e32 0x7f, v4
	s_cbranch_execz .LBB212_288
; %bb.285:                              ;   in Loop: Header=BB212_15 Depth=1
	v_and_b32_e32 v28, 7, v3
	v_lshrrev_b32_e32 v3, 3, v4
	s_mov_b32 s21, exec_lo
	v_cmpx_gt_u32_e32 8, v4
; %bb.286:                              ;   in Loop: Header=BB212_15 Depth=1
	v_ffbh_u32_e32 v3, v28
	v_min_u32_e32 v3, 32, v3
	v_subrev_nc_u32_e32 v4, 28, v3
	v_sub_nc_u32_e32 v3, 29, v3
	v_lshlrev_b64 v[4:5], v4, v[28:29]
	v_and_b32_e32 v28, 7, v4
; %bb.287:                              ;   in Loop: Header=BB212_15 Depth=1
	s_or_b32 exec_lo, exec_lo, s21
	v_lshlrev_b32_e32 v4, 16, v2
	v_lshlrev_b32_e32 v5, 20, v28
	v_lshl_add_u32 v3, v3, 23, 0x3c000000
	v_and_b32_e32 v4, 0x80000000, v4
	v_or3_b32 v4, v5, v4, v3
	v_mov_b32_e32 v3, v29
	buffer_store_dword v3, off, s[0:3], s32 offset:500 ; 4-byte Folded Spill
	buffer_store_dword v4, off, s[0:3], s32 offset:504 ; 4-byte Folded Spill
.LBB212_288:                            ;   in Loop: Header=BB212_15 Depth=1
	s_or_b32 exec_lo, exec_lo, s20
.LBB212_289:                            ;   in Loop: Header=BB212_15 Depth=1
	s_or_b32 exec_lo, exec_lo, s19
.LBB212_290:                            ;   in Loop: Header=BB212_15 Depth=1
	s_or_b32 exec_lo, exec_lo, s18
	v_mov_b32_e32 v4, 0
	v_mov_b32_e32 v5, 0
	;; [unrolled: 1-line block ×3, first 2 shown]
	s_mov_b32 s18, exec_lo
	buffer_store_dword v4, off, s[0:3], s32 offset:508 ; 4-byte Folded Spill
	buffer_store_dword v5, off, s[0:3], s32 offset:512 ; 4-byte Folded Spill
	v_mov_b32_e32 v4, 0
	v_and_b32_sdwa v3, v2, v3 dst_sel:DWORD dst_unused:UNUSED_PAD src0_sel:WORD_1 src1_sel:DWORD
	v_mov_b32_e32 v5, 0
	buffer_store_dword v4, off, s[0:3], s32 offset:516 ; 4-byte Folded Spill
	buffer_store_dword v5, off, s[0:3], s32 offset:520 ; 4-byte Folded Spill
	v_cmpx_ne_u16_e32 0, v3
	s_cbranch_execz .LBB212_298
; %bb.291:                              ;   in Loop: Header=BB212_15 Depth=1
	v_cmp_ne_u16_e64 s5, 0x80, v3
	v_bfrev_b32_e32 v3, 1
	v_mov_b32_e32 v4, 0
	buffer_store_dword v3, off, s[0:3], s32 offset:516 ; 4-byte Folded Spill
	buffer_store_dword v4, off, s[0:3], s32 offset:520 ; 4-byte Folded Spill
	s_and_saveexec_b32 s19, s5
	s_cbranch_execz .LBB212_297
; %bb.292:                              ;   in Loop: Header=BB212_15 Depth=1
	v_mov_b32_e32 v5, 0x7f800001
	v_bfe_u32 v4, v2, 16, 7
	v_mov_b32_e32 v6, 0
	s_mov_b32 s20, exec_lo
	buffer_store_dword v5, off, s[0:3], s32 offset:516 ; 4-byte Folded Spill
	buffer_store_dword v6, off, s[0:3], s32 offset:520 ; 4-byte Folded Spill
	v_cmpx_ne_u32_e32 0x7f, v4
	s_cbranch_execz .LBB212_296
; %bb.293:                              ;   in Loop: Header=BB212_15 Depth=1
	v_mov_b32_e32 v3, 7
	s_mov_b32 s21, exec_lo
	v_and_b32_sdwa v28, v2, v3 dst_sel:DWORD dst_unused:UNUSED_PAD src0_sel:WORD_1 src1_sel:DWORD
	v_lshrrev_b32_e32 v3, 3, v4
	v_cmpx_gt_u32_e32 8, v4
; %bb.294:                              ;   in Loop: Header=BB212_15 Depth=1
	v_ffbh_u32_e32 v3, v28
	v_min_u32_e32 v3, 32, v3
	v_subrev_nc_u32_e32 v4, 28, v3
	v_sub_nc_u32_e32 v3, 29, v3
	v_lshlrev_b64 v[4:5], v4, v[28:29]
	v_and_b32_e32 v28, 7, v4
; %bb.295:                              ;   in Loop: Header=BB212_15 Depth=1
	s_or_b32 exec_lo, exec_lo, s21
	v_mov_b32_e32 v4, 24
	v_lshlrev_b32_e32 v5, 20, v28
	v_lshl_add_u32 v3, v3, 23, 0x3c000000
	v_lshlrev_b32_sdwa v4, v4, v2 dst_sel:DWORD dst_unused:UNUSED_PAD src0_sel:DWORD src1_sel:WORD_1
	v_and_b32_e32 v4, 0x80000000, v4
	v_or3_b32 v28, v5, v4, v3
	buffer_store_dword v28, off, s[0:3], s32 offset:516 ; 4-byte Folded Spill
	buffer_store_dword v29, off, s[0:3], s32 offset:520 ; 4-byte Folded Spill
.LBB212_296:                            ;   in Loop: Header=BB212_15 Depth=1
	s_or_b32 exec_lo, exec_lo, s20
.LBB212_297:                            ;   in Loop: Header=BB212_15 Depth=1
	s_or_b32 exec_lo, exec_lo, s19
.LBB212_298:                            ;   in Loop: Header=BB212_15 Depth=1
	s_or_b32 exec_lo, exec_lo, s18
	s_mov_b32 s18, exec_lo
	v_cmpx_lt_u32_e32 0xffffff, v2
	s_cbranch_execz .LBB212_306
; %bb.299:                              ;   in Loop: Header=BB212_15 Depth=1
	v_mov_b32_e32 v3, 0x80
	v_mov_b32_e32 v32, v29
	buffer_store_dword v32, off, s[0:3], s32 offset:508 ; 4-byte Folded Spill
	buffer_store_dword v33, off, s[0:3], s32 offset:512 ; 4-byte Folded Spill
	v_cmp_ne_u32_sdwa s5, v2, v3 src0_sel:BYTE_3 src1_sel:DWORD
	s_and_saveexec_b32 s19, s5
	s_cbranch_execz .LBB212_305
; %bb.300:                              ;   in Loop: Header=BB212_15 Depth=1
	s_clause 0x1
	buffer_load_dword v5, off, s[0:3], s32 offset:192
	buffer_load_dword v6, off, s[0:3], s32 offset:196
	v_bfe_u32 v4, v2, 24, 7
	s_waitcnt vmcnt(1)
	v_mov_b32_e32 v5, v29
	s_mov_b32 s20, exec_lo
	s_waitcnt vmcnt(0)
	v_mov_b32_e32 v3, v6
	buffer_store_dword v2, off, s[0:3], s32 offset:192 ; 4-byte Folded Spill
	buffer_store_dword v3, off, s[0:3], s32 offset:196 ; 4-byte Folded Spill
	;; [unrolled: 1-line block ×4, first 2 shown]
	v_cmpx_ne_u32_e32 0x7f, v4
	s_cbranch_execz .LBB212_304
; %bb.301:                              ;   in Loop: Header=BB212_15 Depth=1
	v_mov_b32_e32 v3, 7
	s_mov_b32 s21, exec_lo
	v_and_b32_sdwa v28, v2, v3 dst_sel:DWORD dst_unused:UNUSED_PAD src0_sel:BYTE_3 src1_sel:DWORD
	v_lshrrev_b32_e32 v3, 3, v4
	v_cmpx_gt_u32_e32 8, v4
; %bb.302:                              ;   in Loop: Header=BB212_15 Depth=1
	v_ffbh_u32_e32 v3, v28
	v_min_u32_e32 v3, 32, v3
	v_subrev_nc_u32_e32 v4, 28, v3
	v_sub_nc_u32_e32 v3, 29, v3
	v_lshlrev_b64 v[4:5], v4, v[28:29]
	v_and_b32_e32 v28, 7, v4
; %bb.303:                              ;   in Loop: Header=BB212_15 Depth=1
	s_or_b32 exec_lo, exec_lo, s21
	v_mov_b32_e32 v4, 24
	v_lshl_add_u32 v3, v3, 23, 0x3c000000
	v_lshlrev_b32_sdwa v2, v4, v2 dst_sel:DWORD dst_unused:UNUSED_PAD src0_sel:DWORD src1_sel:BYTE_3
	v_lshlrev_b32_e32 v4, 20, v28
	v_and_b32_e32 v2, 0x80000000, v2
	v_or3_b32 v3, v4, v2, v3
	v_mov_b32_e32 v2, v29
	buffer_store_dword v2, off, s[0:3], s32 offset:508 ; 4-byte Folded Spill
	buffer_store_dword v3, off, s[0:3], s32 offset:512 ; 4-byte Folded Spill
.LBB212_304:                            ;   in Loop: Header=BB212_15 Depth=1
	s_or_b32 exec_lo, exec_lo, s20
.LBB212_305:                            ;   in Loop: Header=BB212_15 Depth=1
	s_or_b32 exec_lo, exec_lo, s19
.LBB212_306:                            ;   in Loop: Header=BB212_15 Depth=1
	s_or_b32 exec_lo, exec_lo, s18
	flat_load_dword v2, v[0:1] offset:1028
	v_mov_b32_e32 v3, 0
	v_mov_b32_e32 v4, 0
	buffer_store_dword v3, off, s[0:3], s32 offset:532 ; 4-byte Folded Spill
	buffer_store_dword v4, off, s[0:3], s32 offset:536 ; 4-byte Folded Spill
	v_mov_b32_e32 v3, 0
	v_mov_b32_e32 v4, 0
	buffer_store_dword v3, off, s[0:3], s32 offset:524 ; 4-byte Folded Spill
	buffer_store_dword v4, off, s[0:3], s32 offset:528 ; 4-byte Folded Spill
	s_waitcnt vmcnt(0) lgkmcnt(0)
	v_cmp_ne_u16_sdwa s5, v2, v29 src0_sel:BYTE_0 src1_sel:DWORD
	s_and_saveexec_b32 s18, s5
	s_cbranch_execz .LBB212_314
; %bb.307:                              ;   in Loop: Header=BB212_15 Depth=1
	v_bfrev_b32_e32 v3, 1
	v_mov_b32_e32 v4, 0
	buffer_store_dword v3, off, s[0:3], s32 offset:524 ; 4-byte Folded Spill
	buffer_store_dword v4, off, s[0:3], s32 offset:528 ; 4-byte Folded Spill
	v_mov_b32_e32 v3, 0x80
	v_cmp_ne_u16_sdwa s5, v2, v3 src0_sel:BYTE_0 src1_sel:DWORD
	s_and_saveexec_b32 s19, s5
	s_cbranch_execz .LBB212_313
; %bb.308:                              ;   in Loop: Header=BB212_15 Depth=1
	v_mov_b32_e32 v5, 0x7f800001
	v_and_b32_e32 v4, 0x7f, v2
	v_mov_b32_e32 v6, 0
	s_mov_b32 s20, exec_lo
	buffer_store_dword v5, off, s[0:3], s32 offset:524 ; 4-byte Folded Spill
	buffer_store_dword v6, off, s[0:3], s32 offset:528 ; 4-byte Folded Spill
	v_cmpx_ne_u32_e32 0x7f, v4
	s_cbranch_execz .LBB212_312
; %bb.309:                              ;   in Loop: Header=BB212_15 Depth=1
	v_and_b32_e32 v28, 7, v2
	v_lshrrev_b32_e32 v3, 3, v4
	s_mov_b32 s21, exec_lo
	v_cmpx_gt_u32_e32 8, v4
; %bb.310:                              ;   in Loop: Header=BB212_15 Depth=1
	v_ffbh_u32_e32 v3, v28
	v_min_u32_e32 v3, 32, v3
	v_subrev_nc_u32_e32 v4, 28, v3
	v_sub_nc_u32_e32 v3, 29, v3
	v_lshlrev_b64 v[4:5], v4, v[28:29]
	v_and_b32_e32 v28, 7, v4
; %bb.311:                              ;   in Loop: Header=BB212_15 Depth=1
	s_or_b32 exec_lo, exec_lo, s21
	v_lshlrev_b32_e32 v4, 24, v2
	v_lshlrev_b32_e32 v5, 20, v28
	v_lshl_add_u32 v3, v3, 23, 0x3c000000
	v_and_b32_e32 v4, 0x80000000, v4
	v_or3_b32 v28, v5, v4, v3
	buffer_store_dword v28, off, s[0:3], s32 offset:524 ; 4-byte Folded Spill
	buffer_store_dword v29, off, s[0:3], s32 offset:528 ; 4-byte Folded Spill
.LBB212_312:                            ;   in Loop: Header=BB212_15 Depth=1
	s_or_b32 exec_lo, exec_lo, s20
.LBB212_313:                            ;   in Loop: Header=BB212_15 Depth=1
	s_or_b32 exec_lo, exec_lo, s19
.LBB212_314:                            ;   in Loop: Header=BB212_15 Depth=1
	s_or_b32 exec_lo, exec_lo, s18
	v_cmp_ne_u16_sdwa s5, v2, v29 src0_sel:BYTE_1 src1_sel:DWORD
	s_and_saveexec_b32 s18, s5
	s_cbranch_execz .LBB212_322
; %bb.315:                              ;   in Loop: Header=BB212_15 Depth=1
	v_mov_b32_e32 v3, 0x80
	v_mov_b32_e32 v32, v29
	buffer_store_dword v32, off, s[0:3], s32 offset:532 ; 4-byte Folded Spill
	buffer_store_dword v33, off, s[0:3], s32 offset:536 ; 4-byte Folded Spill
	v_cmp_ne_u16_sdwa s5, v2, v3 src0_sel:BYTE_1 src1_sel:DWORD
	s_and_saveexec_b32 s19, s5
	s_cbranch_execz .LBB212_321
; %bb.316:                              ;   in Loop: Header=BB212_15 Depth=1
	s_clause 0x1
	buffer_load_dword v5, off, s[0:3], s32 offset:192
	buffer_load_dword v6, off, s[0:3], s32 offset:196
	v_mov_b32_e32 v3, 0xffff
	s_mov_b32 s20, exec_lo
	v_and_b32_sdwa v3, v3, v2 dst_sel:DWORD dst_unused:UNUSED_PAD src0_sel:DWORD src1_sel:BYTE_1
	v_and_b32_e32 v4, 0x7f, v3
	s_waitcnt vmcnt(0)
	v_mov_b32_e32 v7, v6
	v_mov_b32_e32 v6, v29
	;; [unrolled: 1-line block ×3, first 2 shown]
	buffer_store_dword v4, off, s[0:3], s32 offset:192 ; 4-byte Folded Spill
	buffer_store_dword v5, off, s[0:3], s32 offset:196 ; 4-byte Folded Spill
	;; [unrolled: 1-line block ×4, first 2 shown]
	v_cmpx_ne_u32_e32 0x7f, v4
	s_cbranch_execz .LBB212_320
; %bb.317:                              ;   in Loop: Header=BB212_15 Depth=1
	v_and_b32_e32 v28, 7, v3
	v_lshrrev_b32_e32 v3, 3, v4
	s_mov_b32 s21, exec_lo
	v_cmpx_gt_u32_e32 8, v4
; %bb.318:                              ;   in Loop: Header=BB212_15 Depth=1
	v_ffbh_u32_e32 v3, v28
	v_min_u32_e32 v3, 32, v3
	v_subrev_nc_u32_e32 v4, 28, v3
	v_sub_nc_u32_e32 v3, 29, v3
	v_lshlrev_b64 v[4:5], v4, v[28:29]
	v_and_b32_e32 v28, 7, v4
; %bb.319:                              ;   in Loop: Header=BB212_15 Depth=1
	s_or_b32 exec_lo, exec_lo, s21
	v_lshlrev_b32_e32 v4, 16, v2
	v_lshlrev_b32_e32 v5, 20, v28
	v_lshl_add_u32 v3, v3, 23, 0x3c000000
	v_and_b32_e32 v4, 0x80000000, v4
	v_or3_b32 v4, v5, v4, v3
	v_mov_b32_e32 v3, v29
	buffer_store_dword v3, off, s[0:3], s32 offset:532 ; 4-byte Folded Spill
	buffer_store_dword v4, off, s[0:3], s32 offset:536 ; 4-byte Folded Spill
.LBB212_320:                            ;   in Loop: Header=BB212_15 Depth=1
	s_or_b32 exec_lo, exec_lo, s20
.LBB212_321:                            ;   in Loop: Header=BB212_15 Depth=1
	s_or_b32 exec_lo, exec_lo, s19
.LBB212_322:                            ;   in Loop: Header=BB212_15 Depth=1
	s_or_b32 exec_lo, exec_lo, s18
	v_mov_b32_e32 v4, 0
	v_mov_b32_e32 v5, 0
	v_mov_b32_e32 v3, 0xff
	s_mov_b32 s18, exec_lo
	buffer_store_dword v4, off, s[0:3], s32 offset:540 ; 4-byte Folded Spill
	buffer_store_dword v5, off, s[0:3], s32 offset:544 ; 4-byte Folded Spill
	v_mov_b32_e32 v4, 0
	v_and_b32_sdwa v3, v2, v3 dst_sel:DWORD dst_unused:UNUSED_PAD src0_sel:WORD_1 src1_sel:DWORD
	v_mov_b32_e32 v5, 0
	buffer_store_dword v4, off, s[0:3], s32 offset:548 ; 4-byte Folded Spill
	buffer_store_dword v5, off, s[0:3], s32 offset:552 ; 4-byte Folded Spill
	v_cmpx_ne_u16_e32 0, v3
	s_cbranch_execz .LBB212_330
; %bb.323:                              ;   in Loop: Header=BB212_15 Depth=1
	v_cmp_ne_u16_e64 s5, 0x80, v3
	v_bfrev_b32_e32 v3, 1
	v_mov_b32_e32 v4, 0
	buffer_store_dword v3, off, s[0:3], s32 offset:548 ; 4-byte Folded Spill
	buffer_store_dword v4, off, s[0:3], s32 offset:552 ; 4-byte Folded Spill
	s_and_saveexec_b32 s19, s5
	s_cbranch_execz .LBB212_329
; %bb.324:                              ;   in Loop: Header=BB212_15 Depth=1
	v_mov_b32_e32 v5, 0x7f800001
	v_bfe_u32 v4, v2, 16, 7
	v_mov_b32_e32 v6, 0
	s_mov_b32 s20, exec_lo
	buffer_store_dword v5, off, s[0:3], s32 offset:548 ; 4-byte Folded Spill
	buffer_store_dword v6, off, s[0:3], s32 offset:552 ; 4-byte Folded Spill
	v_cmpx_ne_u32_e32 0x7f, v4
	s_cbranch_execz .LBB212_328
; %bb.325:                              ;   in Loop: Header=BB212_15 Depth=1
	v_mov_b32_e32 v3, 7
	s_mov_b32 s21, exec_lo
	v_and_b32_sdwa v28, v2, v3 dst_sel:DWORD dst_unused:UNUSED_PAD src0_sel:WORD_1 src1_sel:DWORD
	v_lshrrev_b32_e32 v3, 3, v4
	v_cmpx_gt_u32_e32 8, v4
; %bb.326:                              ;   in Loop: Header=BB212_15 Depth=1
	v_ffbh_u32_e32 v3, v28
	v_min_u32_e32 v3, 32, v3
	v_subrev_nc_u32_e32 v4, 28, v3
	v_sub_nc_u32_e32 v3, 29, v3
	v_lshlrev_b64 v[4:5], v4, v[28:29]
	v_and_b32_e32 v28, 7, v4
; %bb.327:                              ;   in Loop: Header=BB212_15 Depth=1
	s_or_b32 exec_lo, exec_lo, s21
	v_mov_b32_e32 v4, 24
	v_lshlrev_b32_e32 v5, 20, v28
	v_lshl_add_u32 v3, v3, 23, 0x3c000000
	v_lshlrev_b32_sdwa v4, v4, v2 dst_sel:DWORD dst_unused:UNUSED_PAD src0_sel:DWORD src1_sel:WORD_1
	v_and_b32_e32 v4, 0x80000000, v4
	v_or3_b32 v28, v5, v4, v3
	buffer_store_dword v28, off, s[0:3], s32 offset:548 ; 4-byte Folded Spill
	buffer_store_dword v29, off, s[0:3], s32 offset:552 ; 4-byte Folded Spill
.LBB212_328:                            ;   in Loop: Header=BB212_15 Depth=1
	s_or_b32 exec_lo, exec_lo, s20
.LBB212_329:                            ;   in Loop: Header=BB212_15 Depth=1
	s_or_b32 exec_lo, exec_lo, s19
.LBB212_330:                            ;   in Loop: Header=BB212_15 Depth=1
	s_or_b32 exec_lo, exec_lo, s18
	s_mov_b32 s18, exec_lo
	v_cmpx_lt_u32_e32 0xffffff, v2
	s_cbranch_execz .LBB212_338
; %bb.331:                              ;   in Loop: Header=BB212_15 Depth=1
	v_mov_b32_e32 v3, 0x80
	v_mov_b32_e32 v32, v29
	buffer_store_dword v32, off, s[0:3], s32 offset:540 ; 4-byte Folded Spill
	buffer_store_dword v33, off, s[0:3], s32 offset:544 ; 4-byte Folded Spill
	v_cmp_ne_u32_sdwa s5, v2, v3 src0_sel:BYTE_3 src1_sel:DWORD
	s_and_saveexec_b32 s19, s5
	s_cbranch_execz .LBB212_337
; %bb.332:                              ;   in Loop: Header=BB212_15 Depth=1
	s_clause 0x1
	buffer_load_dword v5, off, s[0:3], s32 offset:192
	buffer_load_dword v6, off, s[0:3], s32 offset:196
	v_bfe_u32 v4, v2, 24, 7
	s_waitcnt vmcnt(1)
	v_mov_b32_e32 v5, v29
	s_mov_b32 s20, exec_lo
	s_waitcnt vmcnt(0)
	v_mov_b32_e32 v3, v6
	buffer_store_dword v2, off, s[0:3], s32 offset:192 ; 4-byte Folded Spill
	buffer_store_dword v3, off, s[0:3], s32 offset:196 ; 4-byte Folded Spill
	;; [unrolled: 1-line block ×4, first 2 shown]
	v_cmpx_ne_u32_e32 0x7f, v4
	s_cbranch_execz .LBB212_336
; %bb.333:                              ;   in Loop: Header=BB212_15 Depth=1
	v_mov_b32_e32 v3, 7
	s_mov_b32 s21, exec_lo
	v_and_b32_sdwa v28, v2, v3 dst_sel:DWORD dst_unused:UNUSED_PAD src0_sel:BYTE_3 src1_sel:DWORD
	v_lshrrev_b32_e32 v3, 3, v4
	v_cmpx_gt_u32_e32 8, v4
; %bb.334:                              ;   in Loop: Header=BB212_15 Depth=1
	v_ffbh_u32_e32 v3, v28
	v_min_u32_e32 v3, 32, v3
	v_subrev_nc_u32_e32 v4, 28, v3
	v_sub_nc_u32_e32 v3, 29, v3
	v_lshlrev_b64 v[4:5], v4, v[28:29]
	v_and_b32_e32 v28, 7, v4
; %bb.335:                              ;   in Loop: Header=BB212_15 Depth=1
	s_or_b32 exec_lo, exec_lo, s21
	v_mov_b32_e32 v4, 24
	v_lshl_add_u32 v3, v3, 23, 0x3c000000
	v_lshlrev_b32_sdwa v2, v4, v2 dst_sel:DWORD dst_unused:UNUSED_PAD src0_sel:DWORD src1_sel:BYTE_3
	v_lshlrev_b32_e32 v4, 20, v28
	v_and_b32_e32 v2, 0x80000000, v2
	v_or3_b32 v3, v4, v2, v3
	v_mov_b32_e32 v2, v29
	buffer_store_dword v2, off, s[0:3], s32 offset:540 ; 4-byte Folded Spill
	buffer_store_dword v3, off, s[0:3], s32 offset:544 ; 4-byte Folded Spill
.LBB212_336:                            ;   in Loop: Header=BB212_15 Depth=1
	s_or_b32 exec_lo, exec_lo, s20
.LBB212_337:                            ;   in Loop: Header=BB212_15 Depth=1
	s_or_b32 exec_lo, exec_lo, s19
.LBB212_338:                            ;   in Loop: Header=BB212_15 Depth=1
	s_or_b32 exec_lo, exec_lo, s18
	flat_load_dword v2, v[0:1] offset:1032
	v_mov_b32_e32 v3, 0
	v_mov_b32_e32 v4, 0
	buffer_store_dword v3, off, s[0:3], s32 offset:564 ; 4-byte Folded Spill
	buffer_store_dword v4, off, s[0:3], s32 offset:568 ; 4-byte Folded Spill
	v_mov_b32_e32 v3, 0
	v_mov_b32_e32 v4, 0
	buffer_store_dword v3, off, s[0:3], s32 offset:556 ; 4-byte Folded Spill
	buffer_store_dword v4, off, s[0:3], s32 offset:560 ; 4-byte Folded Spill
	s_waitcnt vmcnt(0) lgkmcnt(0)
	v_cmp_ne_u16_sdwa s5, v2, v29 src0_sel:BYTE_0 src1_sel:DWORD
	s_and_saveexec_b32 s18, s5
	s_cbranch_execz .LBB212_346
; %bb.339:                              ;   in Loop: Header=BB212_15 Depth=1
	v_bfrev_b32_e32 v3, 1
	v_mov_b32_e32 v4, 0
	buffer_store_dword v3, off, s[0:3], s32 offset:556 ; 4-byte Folded Spill
	buffer_store_dword v4, off, s[0:3], s32 offset:560 ; 4-byte Folded Spill
	v_mov_b32_e32 v3, 0x80
	v_cmp_ne_u16_sdwa s5, v2, v3 src0_sel:BYTE_0 src1_sel:DWORD
	s_and_saveexec_b32 s19, s5
	s_cbranch_execz .LBB212_345
; %bb.340:                              ;   in Loop: Header=BB212_15 Depth=1
	v_mov_b32_e32 v5, 0x7f800001
	v_and_b32_e32 v4, 0x7f, v2
	v_mov_b32_e32 v6, 0
	s_mov_b32 s20, exec_lo
	buffer_store_dword v5, off, s[0:3], s32 offset:556 ; 4-byte Folded Spill
	buffer_store_dword v6, off, s[0:3], s32 offset:560 ; 4-byte Folded Spill
	v_cmpx_ne_u32_e32 0x7f, v4
	s_cbranch_execz .LBB212_344
; %bb.341:                              ;   in Loop: Header=BB212_15 Depth=1
	v_and_b32_e32 v28, 7, v2
	v_lshrrev_b32_e32 v3, 3, v4
	s_mov_b32 s21, exec_lo
	v_cmpx_gt_u32_e32 8, v4
; %bb.342:                              ;   in Loop: Header=BB212_15 Depth=1
	v_ffbh_u32_e32 v3, v28
	v_min_u32_e32 v3, 32, v3
	v_subrev_nc_u32_e32 v4, 28, v3
	v_sub_nc_u32_e32 v3, 29, v3
	v_lshlrev_b64 v[4:5], v4, v[28:29]
	v_and_b32_e32 v28, 7, v4
; %bb.343:                              ;   in Loop: Header=BB212_15 Depth=1
	s_or_b32 exec_lo, exec_lo, s21
	v_lshlrev_b32_e32 v4, 24, v2
	v_lshlrev_b32_e32 v5, 20, v28
	v_lshl_add_u32 v3, v3, 23, 0x3c000000
	v_and_b32_e32 v4, 0x80000000, v4
	v_or3_b32 v28, v5, v4, v3
	buffer_store_dword v28, off, s[0:3], s32 offset:556 ; 4-byte Folded Spill
	buffer_store_dword v29, off, s[0:3], s32 offset:560 ; 4-byte Folded Spill
.LBB212_344:                            ;   in Loop: Header=BB212_15 Depth=1
	s_or_b32 exec_lo, exec_lo, s20
.LBB212_345:                            ;   in Loop: Header=BB212_15 Depth=1
	s_or_b32 exec_lo, exec_lo, s19
.LBB212_346:                            ;   in Loop: Header=BB212_15 Depth=1
	s_or_b32 exec_lo, exec_lo, s18
	v_cmp_ne_u16_sdwa s5, v2, v29 src0_sel:BYTE_1 src1_sel:DWORD
	s_and_saveexec_b32 s18, s5
	s_cbranch_execz .LBB212_354
; %bb.347:                              ;   in Loop: Header=BB212_15 Depth=1
	v_mov_b32_e32 v3, 0x80
	v_mov_b32_e32 v32, v29
	buffer_store_dword v32, off, s[0:3], s32 offset:564 ; 4-byte Folded Spill
	buffer_store_dword v33, off, s[0:3], s32 offset:568 ; 4-byte Folded Spill
	v_cmp_ne_u16_sdwa s5, v2, v3 src0_sel:BYTE_1 src1_sel:DWORD
	s_and_saveexec_b32 s19, s5
	s_cbranch_execz .LBB212_353
; %bb.348:                              ;   in Loop: Header=BB212_15 Depth=1
	s_clause 0x1
	buffer_load_dword v5, off, s[0:3], s32 offset:192
	buffer_load_dword v6, off, s[0:3], s32 offset:196
	v_mov_b32_e32 v3, 0xffff
	s_mov_b32 s20, exec_lo
	v_and_b32_sdwa v3, v3, v2 dst_sel:DWORD dst_unused:UNUSED_PAD src0_sel:DWORD src1_sel:BYTE_1
	v_and_b32_e32 v4, 0x7f, v3
	s_waitcnt vmcnt(0)
	v_mov_b32_e32 v7, v6
	v_mov_b32_e32 v6, v29
	;; [unrolled: 1-line block ×3, first 2 shown]
	buffer_store_dword v4, off, s[0:3], s32 offset:192 ; 4-byte Folded Spill
	buffer_store_dword v5, off, s[0:3], s32 offset:196 ; 4-byte Folded Spill
	buffer_store_dword v6, off, s[0:3], s32 offset:564 ; 4-byte Folded Spill
	buffer_store_dword v7, off, s[0:3], s32 offset:568 ; 4-byte Folded Spill
	v_cmpx_ne_u32_e32 0x7f, v4
	s_cbranch_execz .LBB212_352
; %bb.349:                              ;   in Loop: Header=BB212_15 Depth=1
	v_and_b32_e32 v28, 7, v3
	v_lshrrev_b32_e32 v3, 3, v4
	s_mov_b32 s21, exec_lo
	v_cmpx_gt_u32_e32 8, v4
; %bb.350:                              ;   in Loop: Header=BB212_15 Depth=1
	v_ffbh_u32_e32 v3, v28
	v_min_u32_e32 v3, 32, v3
	v_subrev_nc_u32_e32 v4, 28, v3
	v_sub_nc_u32_e32 v3, 29, v3
	v_lshlrev_b64 v[4:5], v4, v[28:29]
	v_and_b32_e32 v28, 7, v4
; %bb.351:                              ;   in Loop: Header=BB212_15 Depth=1
	s_or_b32 exec_lo, exec_lo, s21
	v_lshlrev_b32_e32 v4, 16, v2
	v_lshlrev_b32_e32 v5, 20, v28
	v_lshl_add_u32 v3, v3, 23, 0x3c000000
	v_and_b32_e32 v4, 0x80000000, v4
	v_or3_b32 v4, v5, v4, v3
	v_mov_b32_e32 v3, v29
	buffer_store_dword v3, off, s[0:3], s32 offset:564 ; 4-byte Folded Spill
	buffer_store_dword v4, off, s[0:3], s32 offset:568 ; 4-byte Folded Spill
.LBB212_352:                            ;   in Loop: Header=BB212_15 Depth=1
	s_or_b32 exec_lo, exec_lo, s20
.LBB212_353:                            ;   in Loop: Header=BB212_15 Depth=1
	s_or_b32 exec_lo, exec_lo, s19
.LBB212_354:                            ;   in Loop: Header=BB212_15 Depth=1
	s_or_b32 exec_lo, exec_lo, s18
	v_mov_b32_e32 v4, 0
	v_mov_b32_e32 v5, 0
	;; [unrolled: 1-line block ×3, first 2 shown]
	s_mov_b32 s18, exec_lo
	buffer_store_dword v4, off, s[0:3], s32 offset:572 ; 4-byte Folded Spill
	buffer_store_dword v5, off, s[0:3], s32 offset:576 ; 4-byte Folded Spill
	v_mov_b32_e32 v4, 0
	v_and_b32_sdwa v3, v2, v3 dst_sel:DWORD dst_unused:UNUSED_PAD src0_sel:WORD_1 src1_sel:DWORD
	v_mov_b32_e32 v5, 0
	buffer_store_dword v4, off, s[0:3], s32 offset:580 ; 4-byte Folded Spill
	buffer_store_dword v5, off, s[0:3], s32 offset:584 ; 4-byte Folded Spill
	v_cmpx_ne_u16_e32 0, v3
	s_cbranch_execz .LBB212_362
; %bb.355:                              ;   in Loop: Header=BB212_15 Depth=1
	v_cmp_ne_u16_e64 s5, 0x80, v3
	v_bfrev_b32_e32 v3, 1
	v_mov_b32_e32 v4, 0
	buffer_store_dword v3, off, s[0:3], s32 offset:580 ; 4-byte Folded Spill
	buffer_store_dword v4, off, s[0:3], s32 offset:584 ; 4-byte Folded Spill
	s_and_saveexec_b32 s19, s5
	s_cbranch_execz .LBB212_361
; %bb.356:                              ;   in Loop: Header=BB212_15 Depth=1
	v_mov_b32_e32 v5, 0x7f800001
	v_bfe_u32 v4, v2, 16, 7
	v_mov_b32_e32 v6, 0
	s_mov_b32 s20, exec_lo
	buffer_store_dword v5, off, s[0:3], s32 offset:580 ; 4-byte Folded Spill
	buffer_store_dword v6, off, s[0:3], s32 offset:584 ; 4-byte Folded Spill
	v_cmpx_ne_u32_e32 0x7f, v4
	s_cbranch_execz .LBB212_360
; %bb.357:                              ;   in Loop: Header=BB212_15 Depth=1
	v_mov_b32_e32 v3, 7
	s_mov_b32 s21, exec_lo
	v_and_b32_sdwa v28, v2, v3 dst_sel:DWORD dst_unused:UNUSED_PAD src0_sel:WORD_1 src1_sel:DWORD
	v_lshrrev_b32_e32 v3, 3, v4
	v_cmpx_gt_u32_e32 8, v4
; %bb.358:                              ;   in Loop: Header=BB212_15 Depth=1
	v_ffbh_u32_e32 v3, v28
	v_min_u32_e32 v3, 32, v3
	v_subrev_nc_u32_e32 v4, 28, v3
	v_sub_nc_u32_e32 v3, 29, v3
	v_lshlrev_b64 v[4:5], v4, v[28:29]
	v_and_b32_e32 v28, 7, v4
; %bb.359:                              ;   in Loop: Header=BB212_15 Depth=1
	s_or_b32 exec_lo, exec_lo, s21
	v_mov_b32_e32 v4, 24
	v_lshlrev_b32_e32 v5, 20, v28
	v_lshl_add_u32 v3, v3, 23, 0x3c000000
	v_lshlrev_b32_sdwa v4, v4, v2 dst_sel:DWORD dst_unused:UNUSED_PAD src0_sel:DWORD src1_sel:WORD_1
	v_and_b32_e32 v4, 0x80000000, v4
	v_or3_b32 v28, v5, v4, v3
	buffer_store_dword v28, off, s[0:3], s32 offset:580 ; 4-byte Folded Spill
	buffer_store_dword v29, off, s[0:3], s32 offset:584 ; 4-byte Folded Spill
.LBB212_360:                            ;   in Loop: Header=BB212_15 Depth=1
	s_or_b32 exec_lo, exec_lo, s20
.LBB212_361:                            ;   in Loop: Header=BB212_15 Depth=1
	s_or_b32 exec_lo, exec_lo, s19
.LBB212_362:                            ;   in Loop: Header=BB212_15 Depth=1
	s_or_b32 exec_lo, exec_lo, s18
	s_mov_b32 s18, exec_lo
	v_cmpx_lt_u32_e32 0xffffff, v2
	s_cbranch_execz .LBB212_370
; %bb.363:                              ;   in Loop: Header=BB212_15 Depth=1
	v_mov_b32_e32 v3, 0x80
	v_mov_b32_e32 v32, v29
	buffer_store_dword v32, off, s[0:3], s32 offset:572 ; 4-byte Folded Spill
	buffer_store_dword v33, off, s[0:3], s32 offset:576 ; 4-byte Folded Spill
	v_cmp_ne_u32_sdwa s5, v2, v3 src0_sel:BYTE_3 src1_sel:DWORD
	s_and_saveexec_b32 s19, s5
	s_cbranch_execz .LBB212_369
; %bb.364:                              ;   in Loop: Header=BB212_15 Depth=1
	s_clause 0x1
	buffer_load_dword v5, off, s[0:3], s32 offset:192
	buffer_load_dword v6, off, s[0:3], s32 offset:196
	v_bfe_u32 v4, v2, 24, 7
	s_waitcnt vmcnt(1)
	v_mov_b32_e32 v5, v29
	s_mov_b32 s20, exec_lo
	s_waitcnt vmcnt(0)
	v_mov_b32_e32 v3, v6
	buffer_store_dword v2, off, s[0:3], s32 offset:192 ; 4-byte Folded Spill
	buffer_store_dword v3, off, s[0:3], s32 offset:196 ; 4-byte Folded Spill
	;; [unrolled: 1-line block ×4, first 2 shown]
	v_cmpx_ne_u32_e32 0x7f, v4
	s_cbranch_execz .LBB212_368
; %bb.365:                              ;   in Loop: Header=BB212_15 Depth=1
	v_mov_b32_e32 v3, 7
	s_mov_b32 s21, exec_lo
	v_and_b32_sdwa v28, v2, v3 dst_sel:DWORD dst_unused:UNUSED_PAD src0_sel:BYTE_3 src1_sel:DWORD
	v_lshrrev_b32_e32 v3, 3, v4
	v_cmpx_gt_u32_e32 8, v4
; %bb.366:                              ;   in Loop: Header=BB212_15 Depth=1
	v_ffbh_u32_e32 v3, v28
	v_min_u32_e32 v3, 32, v3
	v_subrev_nc_u32_e32 v4, 28, v3
	v_sub_nc_u32_e32 v3, 29, v3
	v_lshlrev_b64 v[4:5], v4, v[28:29]
	v_and_b32_e32 v28, 7, v4
; %bb.367:                              ;   in Loop: Header=BB212_15 Depth=1
	s_or_b32 exec_lo, exec_lo, s21
	v_mov_b32_e32 v4, 24
	v_lshl_add_u32 v3, v3, 23, 0x3c000000
	v_lshlrev_b32_sdwa v2, v4, v2 dst_sel:DWORD dst_unused:UNUSED_PAD src0_sel:DWORD src1_sel:BYTE_3
	v_lshlrev_b32_e32 v4, 20, v28
	v_and_b32_e32 v2, 0x80000000, v2
	v_or3_b32 v3, v4, v2, v3
	v_mov_b32_e32 v2, v29
	buffer_store_dword v2, off, s[0:3], s32 offset:572 ; 4-byte Folded Spill
	buffer_store_dword v3, off, s[0:3], s32 offset:576 ; 4-byte Folded Spill
.LBB212_368:                            ;   in Loop: Header=BB212_15 Depth=1
	s_or_b32 exec_lo, exec_lo, s20
.LBB212_369:                            ;   in Loop: Header=BB212_15 Depth=1
	s_or_b32 exec_lo, exec_lo, s19
.LBB212_370:                            ;   in Loop: Header=BB212_15 Depth=1
	s_or_b32 exec_lo, exec_lo, s18
	flat_load_dword v2, v[0:1] offset:1036
	v_mov_b32_e32 v3, 0
	v_mov_b32_e32 v4, 0
	buffer_store_dword v3, off, s[0:3], s32 offset:596 ; 4-byte Folded Spill
	buffer_store_dword v4, off, s[0:3], s32 offset:600 ; 4-byte Folded Spill
	v_mov_b32_e32 v3, 0
	v_mov_b32_e32 v4, 0
	buffer_store_dword v3, off, s[0:3], s32 offset:588 ; 4-byte Folded Spill
	buffer_store_dword v4, off, s[0:3], s32 offset:592 ; 4-byte Folded Spill
	s_waitcnt vmcnt(0) lgkmcnt(0)
	v_cmp_ne_u16_sdwa s5, v2, v29 src0_sel:BYTE_0 src1_sel:DWORD
	s_and_saveexec_b32 s18, s5
	s_cbranch_execz .LBB212_378
; %bb.371:                              ;   in Loop: Header=BB212_15 Depth=1
	v_bfrev_b32_e32 v3, 1
	v_mov_b32_e32 v4, 0
	buffer_store_dword v3, off, s[0:3], s32 offset:588 ; 4-byte Folded Spill
	buffer_store_dword v4, off, s[0:3], s32 offset:592 ; 4-byte Folded Spill
	v_mov_b32_e32 v3, 0x80
	v_cmp_ne_u16_sdwa s5, v2, v3 src0_sel:BYTE_0 src1_sel:DWORD
	s_and_saveexec_b32 s19, s5
	s_cbranch_execz .LBB212_377
; %bb.372:                              ;   in Loop: Header=BB212_15 Depth=1
	v_mov_b32_e32 v5, 0x7f800001
	v_and_b32_e32 v4, 0x7f, v2
	v_mov_b32_e32 v6, 0
	s_mov_b32 s20, exec_lo
	buffer_store_dword v5, off, s[0:3], s32 offset:588 ; 4-byte Folded Spill
	buffer_store_dword v6, off, s[0:3], s32 offset:592 ; 4-byte Folded Spill
	v_cmpx_ne_u32_e32 0x7f, v4
	s_cbranch_execz .LBB212_376
; %bb.373:                              ;   in Loop: Header=BB212_15 Depth=1
	v_and_b32_e32 v28, 7, v2
	v_lshrrev_b32_e32 v3, 3, v4
	s_mov_b32 s21, exec_lo
	v_cmpx_gt_u32_e32 8, v4
; %bb.374:                              ;   in Loop: Header=BB212_15 Depth=1
	v_ffbh_u32_e32 v3, v28
	v_min_u32_e32 v3, 32, v3
	v_subrev_nc_u32_e32 v4, 28, v3
	v_sub_nc_u32_e32 v3, 29, v3
	v_lshlrev_b64 v[4:5], v4, v[28:29]
	v_and_b32_e32 v28, 7, v4
; %bb.375:                              ;   in Loop: Header=BB212_15 Depth=1
	s_or_b32 exec_lo, exec_lo, s21
	v_lshlrev_b32_e32 v4, 24, v2
	v_lshlrev_b32_e32 v5, 20, v28
	v_lshl_add_u32 v3, v3, 23, 0x3c000000
	v_and_b32_e32 v4, 0x80000000, v4
	v_or3_b32 v28, v5, v4, v3
	buffer_store_dword v28, off, s[0:3], s32 offset:588 ; 4-byte Folded Spill
	buffer_store_dword v29, off, s[0:3], s32 offset:592 ; 4-byte Folded Spill
.LBB212_376:                            ;   in Loop: Header=BB212_15 Depth=1
	s_or_b32 exec_lo, exec_lo, s20
.LBB212_377:                            ;   in Loop: Header=BB212_15 Depth=1
	s_or_b32 exec_lo, exec_lo, s19
.LBB212_378:                            ;   in Loop: Header=BB212_15 Depth=1
	s_or_b32 exec_lo, exec_lo, s18
	v_cmp_ne_u16_sdwa s5, v2, v29 src0_sel:BYTE_1 src1_sel:DWORD
	s_and_saveexec_b32 s18, s5
	s_cbranch_execz .LBB212_386
; %bb.379:                              ;   in Loop: Header=BB212_15 Depth=1
	v_mov_b32_e32 v3, 0x80
	v_mov_b32_e32 v32, v29
	buffer_store_dword v32, off, s[0:3], s32 offset:596 ; 4-byte Folded Spill
	buffer_store_dword v33, off, s[0:3], s32 offset:600 ; 4-byte Folded Spill
	v_cmp_ne_u16_sdwa s5, v2, v3 src0_sel:BYTE_1 src1_sel:DWORD
	s_and_saveexec_b32 s19, s5
	s_cbranch_execz .LBB212_385
; %bb.380:                              ;   in Loop: Header=BB212_15 Depth=1
	s_clause 0x1
	buffer_load_dword v5, off, s[0:3], s32 offset:192
	buffer_load_dword v6, off, s[0:3], s32 offset:196
	v_mov_b32_e32 v3, 0xffff
	s_mov_b32 s20, exec_lo
	v_and_b32_sdwa v3, v3, v2 dst_sel:DWORD dst_unused:UNUSED_PAD src0_sel:DWORD src1_sel:BYTE_1
	v_and_b32_e32 v4, 0x7f, v3
	s_waitcnt vmcnt(0)
	v_mov_b32_e32 v7, v6
	v_mov_b32_e32 v6, v29
	;; [unrolled: 1-line block ×3, first 2 shown]
	buffer_store_dword v4, off, s[0:3], s32 offset:192 ; 4-byte Folded Spill
	buffer_store_dword v5, off, s[0:3], s32 offset:196 ; 4-byte Folded Spill
	;; [unrolled: 1-line block ×4, first 2 shown]
	v_cmpx_ne_u32_e32 0x7f, v4
	s_cbranch_execz .LBB212_384
; %bb.381:                              ;   in Loop: Header=BB212_15 Depth=1
	v_and_b32_e32 v28, 7, v3
	v_lshrrev_b32_e32 v3, 3, v4
	s_mov_b32 s21, exec_lo
	v_cmpx_gt_u32_e32 8, v4
; %bb.382:                              ;   in Loop: Header=BB212_15 Depth=1
	v_ffbh_u32_e32 v3, v28
	v_min_u32_e32 v3, 32, v3
	v_subrev_nc_u32_e32 v4, 28, v3
	v_sub_nc_u32_e32 v3, 29, v3
	v_lshlrev_b64 v[4:5], v4, v[28:29]
	v_and_b32_e32 v28, 7, v4
; %bb.383:                              ;   in Loop: Header=BB212_15 Depth=1
	s_or_b32 exec_lo, exec_lo, s21
	v_lshlrev_b32_e32 v4, 16, v2
	v_lshlrev_b32_e32 v5, 20, v28
	v_lshl_add_u32 v3, v3, 23, 0x3c000000
	v_and_b32_e32 v4, 0x80000000, v4
	v_or3_b32 v4, v5, v4, v3
	v_mov_b32_e32 v3, v29
	buffer_store_dword v3, off, s[0:3], s32 offset:596 ; 4-byte Folded Spill
	buffer_store_dword v4, off, s[0:3], s32 offset:600 ; 4-byte Folded Spill
.LBB212_384:                            ;   in Loop: Header=BB212_15 Depth=1
	s_or_b32 exec_lo, exec_lo, s20
.LBB212_385:                            ;   in Loop: Header=BB212_15 Depth=1
	s_or_b32 exec_lo, exec_lo, s19
.LBB212_386:                            ;   in Loop: Header=BB212_15 Depth=1
	s_or_b32 exec_lo, exec_lo, s18
	v_mov_b32_e32 v4, 0
	v_mov_b32_e32 v5, 0
	;; [unrolled: 1-line block ×3, first 2 shown]
	s_mov_b32 s18, exec_lo
	buffer_store_dword v4, off, s[0:3], s32 offset:604 ; 4-byte Folded Spill
	buffer_store_dword v5, off, s[0:3], s32 offset:608 ; 4-byte Folded Spill
	v_mov_b32_e32 v4, 0
	v_and_b32_sdwa v3, v2, v3 dst_sel:DWORD dst_unused:UNUSED_PAD src0_sel:WORD_1 src1_sel:DWORD
	v_mov_b32_e32 v5, 0
	buffer_store_dword v4, off, s[0:3], s32 offset:612 ; 4-byte Folded Spill
	buffer_store_dword v5, off, s[0:3], s32 offset:616 ; 4-byte Folded Spill
	v_cmpx_ne_u16_e32 0, v3
	s_cbranch_execz .LBB212_394
; %bb.387:                              ;   in Loop: Header=BB212_15 Depth=1
	v_cmp_ne_u16_e64 s5, 0x80, v3
	v_bfrev_b32_e32 v3, 1
	v_mov_b32_e32 v4, 0
	buffer_store_dword v3, off, s[0:3], s32 offset:612 ; 4-byte Folded Spill
	buffer_store_dword v4, off, s[0:3], s32 offset:616 ; 4-byte Folded Spill
	s_and_saveexec_b32 s19, s5
	s_cbranch_execz .LBB212_393
; %bb.388:                              ;   in Loop: Header=BB212_15 Depth=1
	v_mov_b32_e32 v5, 0x7f800001
	v_bfe_u32 v4, v2, 16, 7
	v_mov_b32_e32 v6, 0
	s_mov_b32 s20, exec_lo
	buffer_store_dword v5, off, s[0:3], s32 offset:612 ; 4-byte Folded Spill
	buffer_store_dword v6, off, s[0:3], s32 offset:616 ; 4-byte Folded Spill
	v_cmpx_ne_u32_e32 0x7f, v4
	s_cbranch_execz .LBB212_392
; %bb.389:                              ;   in Loop: Header=BB212_15 Depth=1
	v_mov_b32_e32 v3, 7
	s_mov_b32 s21, exec_lo
	v_and_b32_sdwa v28, v2, v3 dst_sel:DWORD dst_unused:UNUSED_PAD src0_sel:WORD_1 src1_sel:DWORD
	v_lshrrev_b32_e32 v3, 3, v4
	v_cmpx_gt_u32_e32 8, v4
; %bb.390:                              ;   in Loop: Header=BB212_15 Depth=1
	v_ffbh_u32_e32 v3, v28
	v_min_u32_e32 v3, 32, v3
	v_subrev_nc_u32_e32 v4, 28, v3
	v_sub_nc_u32_e32 v3, 29, v3
	v_lshlrev_b64 v[4:5], v4, v[28:29]
	v_and_b32_e32 v28, 7, v4
; %bb.391:                              ;   in Loop: Header=BB212_15 Depth=1
	s_or_b32 exec_lo, exec_lo, s21
	v_mov_b32_e32 v4, 24
	v_lshlrev_b32_e32 v5, 20, v28
	v_lshl_add_u32 v3, v3, 23, 0x3c000000
	v_lshlrev_b32_sdwa v4, v4, v2 dst_sel:DWORD dst_unused:UNUSED_PAD src0_sel:DWORD src1_sel:WORD_1
	v_and_b32_e32 v4, 0x80000000, v4
	v_or3_b32 v28, v5, v4, v3
	buffer_store_dword v28, off, s[0:3], s32 offset:612 ; 4-byte Folded Spill
	buffer_store_dword v29, off, s[0:3], s32 offset:616 ; 4-byte Folded Spill
.LBB212_392:                            ;   in Loop: Header=BB212_15 Depth=1
	s_or_b32 exec_lo, exec_lo, s20
.LBB212_393:                            ;   in Loop: Header=BB212_15 Depth=1
	s_or_b32 exec_lo, exec_lo, s19
.LBB212_394:                            ;   in Loop: Header=BB212_15 Depth=1
	s_or_b32 exec_lo, exec_lo, s18
	s_mov_b32 s18, exec_lo
	v_cmpx_lt_u32_e32 0xffffff, v2
	s_cbranch_execz .LBB212_402
; %bb.395:                              ;   in Loop: Header=BB212_15 Depth=1
	v_mov_b32_e32 v3, 0x80
	v_mov_b32_e32 v32, v29
	buffer_store_dword v32, off, s[0:3], s32 offset:604 ; 4-byte Folded Spill
	buffer_store_dword v33, off, s[0:3], s32 offset:608 ; 4-byte Folded Spill
	v_cmp_ne_u32_sdwa s5, v2, v3 src0_sel:BYTE_3 src1_sel:DWORD
	s_and_saveexec_b32 s19, s5
	s_cbranch_execz .LBB212_401
; %bb.396:                              ;   in Loop: Header=BB212_15 Depth=1
	s_clause 0x1
	buffer_load_dword v5, off, s[0:3], s32 offset:192
	buffer_load_dword v6, off, s[0:3], s32 offset:196
	v_bfe_u32 v4, v2, 24, 7
	s_waitcnt vmcnt(1)
	v_mov_b32_e32 v5, v29
	s_mov_b32 s20, exec_lo
	s_waitcnt vmcnt(0)
	v_mov_b32_e32 v3, v6
	buffer_store_dword v2, off, s[0:3], s32 offset:192 ; 4-byte Folded Spill
	buffer_store_dword v3, off, s[0:3], s32 offset:196 ; 4-byte Folded Spill
	;; [unrolled: 1-line block ×4, first 2 shown]
	v_cmpx_ne_u32_e32 0x7f, v4
	s_cbranch_execz .LBB212_400
; %bb.397:                              ;   in Loop: Header=BB212_15 Depth=1
	v_mov_b32_e32 v3, 7
	s_mov_b32 s21, exec_lo
	v_and_b32_sdwa v28, v2, v3 dst_sel:DWORD dst_unused:UNUSED_PAD src0_sel:BYTE_3 src1_sel:DWORD
	v_lshrrev_b32_e32 v3, 3, v4
	v_cmpx_gt_u32_e32 8, v4
; %bb.398:                              ;   in Loop: Header=BB212_15 Depth=1
	v_ffbh_u32_e32 v3, v28
	v_min_u32_e32 v3, 32, v3
	v_subrev_nc_u32_e32 v4, 28, v3
	v_sub_nc_u32_e32 v3, 29, v3
	v_lshlrev_b64 v[4:5], v4, v[28:29]
	v_and_b32_e32 v28, 7, v4
; %bb.399:                              ;   in Loop: Header=BB212_15 Depth=1
	s_or_b32 exec_lo, exec_lo, s21
	v_mov_b32_e32 v4, 24
	v_lshl_add_u32 v3, v3, 23, 0x3c000000
	v_lshlrev_b32_sdwa v2, v4, v2 dst_sel:DWORD dst_unused:UNUSED_PAD src0_sel:DWORD src1_sel:BYTE_3
	v_lshlrev_b32_e32 v4, 20, v28
	v_and_b32_e32 v2, 0x80000000, v2
	v_or3_b32 v3, v4, v2, v3
	v_mov_b32_e32 v2, v29
	buffer_store_dword v2, off, s[0:3], s32 offset:604 ; 4-byte Folded Spill
	buffer_store_dword v3, off, s[0:3], s32 offset:608 ; 4-byte Folded Spill
.LBB212_400:                            ;   in Loop: Header=BB212_15 Depth=1
	s_or_b32 exec_lo, exec_lo, s20
.LBB212_401:                            ;   in Loop: Header=BB212_15 Depth=1
	s_or_b32 exec_lo, exec_lo, s19
.LBB212_402:                            ;   in Loop: Header=BB212_15 Depth=1
	s_or_b32 exec_lo, exec_lo, s18
	flat_load_dword v2, v[0:1] offset:1536
	v_mov_b32_e32 v3, 0
	v_mov_b32_e32 v4, 0
	buffer_store_dword v3, off, s[0:3], s32 offset:628 ; 4-byte Folded Spill
	buffer_store_dword v4, off, s[0:3], s32 offset:632 ; 4-byte Folded Spill
	v_mov_b32_e32 v3, 0
	v_mov_b32_e32 v4, 0
	buffer_store_dword v3, off, s[0:3], s32 offset:620 ; 4-byte Folded Spill
	buffer_store_dword v4, off, s[0:3], s32 offset:624 ; 4-byte Folded Spill
	s_waitcnt vmcnt(0) lgkmcnt(0)
	v_cmp_ne_u16_sdwa s5, v2, v29 src0_sel:BYTE_0 src1_sel:DWORD
	s_and_saveexec_b32 s18, s5
	s_cbranch_execz .LBB212_410
; %bb.403:                              ;   in Loop: Header=BB212_15 Depth=1
	v_bfrev_b32_e32 v3, 1
	v_mov_b32_e32 v4, 0
	buffer_store_dword v3, off, s[0:3], s32 offset:620 ; 4-byte Folded Spill
	buffer_store_dword v4, off, s[0:3], s32 offset:624 ; 4-byte Folded Spill
	v_mov_b32_e32 v3, 0x80
	v_cmp_ne_u16_sdwa s5, v2, v3 src0_sel:BYTE_0 src1_sel:DWORD
	s_and_saveexec_b32 s19, s5
	s_cbranch_execz .LBB212_409
; %bb.404:                              ;   in Loop: Header=BB212_15 Depth=1
	v_mov_b32_e32 v5, 0x7f800001
	v_and_b32_e32 v4, 0x7f, v2
	v_mov_b32_e32 v6, 0
	s_mov_b32 s20, exec_lo
	buffer_store_dword v5, off, s[0:3], s32 offset:620 ; 4-byte Folded Spill
	buffer_store_dword v6, off, s[0:3], s32 offset:624 ; 4-byte Folded Spill
	v_cmpx_ne_u32_e32 0x7f, v4
	s_cbranch_execz .LBB212_408
; %bb.405:                              ;   in Loop: Header=BB212_15 Depth=1
	v_and_b32_e32 v28, 7, v2
	v_lshrrev_b32_e32 v3, 3, v4
	s_mov_b32 s21, exec_lo
	v_cmpx_gt_u32_e32 8, v4
; %bb.406:                              ;   in Loop: Header=BB212_15 Depth=1
	v_ffbh_u32_e32 v3, v28
	v_min_u32_e32 v3, 32, v3
	v_subrev_nc_u32_e32 v4, 28, v3
	v_sub_nc_u32_e32 v3, 29, v3
	v_lshlrev_b64 v[4:5], v4, v[28:29]
	v_and_b32_e32 v28, 7, v4
; %bb.407:                              ;   in Loop: Header=BB212_15 Depth=1
	s_or_b32 exec_lo, exec_lo, s21
	v_lshlrev_b32_e32 v4, 24, v2
	v_lshlrev_b32_e32 v5, 20, v28
	v_lshl_add_u32 v3, v3, 23, 0x3c000000
	v_and_b32_e32 v4, 0x80000000, v4
	v_or3_b32 v28, v5, v4, v3
	buffer_store_dword v28, off, s[0:3], s32 offset:620 ; 4-byte Folded Spill
	buffer_store_dword v29, off, s[0:3], s32 offset:624 ; 4-byte Folded Spill
.LBB212_408:                            ;   in Loop: Header=BB212_15 Depth=1
	s_or_b32 exec_lo, exec_lo, s20
.LBB212_409:                            ;   in Loop: Header=BB212_15 Depth=1
	s_or_b32 exec_lo, exec_lo, s19
.LBB212_410:                            ;   in Loop: Header=BB212_15 Depth=1
	s_or_b32 exec_lo, exec_lo, s18
	v_cmp_ne_u16_sdwa s5, v2, v29 src0_sel:BYTE_1 src1_sel:DWORD
	s_and_saveexec_b32 s18, s5
	s_cbranch_execz .LBB212_418
; %bb.411:                              ;   in Loop: Header=BB212_15 Depth=1
	v_mov_b32_e32 v3, 0x80
	v_mov_b32_e32 v32, v29
	buffer_store_dword v32, off, s[0:3], s32 offset:628 ; 4-byte Folded Spill
	buffer_store_dword v33, off, s[0:3], s32 offset:632 ; 4-byte Folded Spill
	v_cmp_ne_u16_sdwa s5, v2, v3 src0_sel:BYTE_1 src1_sel:DWORD
	s_and_saveexec_b32 s19, s5
	s_cbranch_execz .LBB212_417
; %bb.412:                              ;   in Loop: Header=BB212_15 Depth=1
	s_clause 0x1
	buffer_load_dword v5, off, s[0:3], s32 offset:192
	buffer_load_dword v6, off, s[0:3], s32 offset:196
	v_mov_b32_e32 v3, 0xffff
	s_mov_b32 s20, exec_lo
	v_and_b32_sdwa v3, v3, v2 dst_sel:DWORD dst_unused:UNUSED_PAD src0_sel:DWORD src1_sel:BYTE_1
	v_and_b32_e32 v4, 0x7f, v3
	s_waitcnt vmcnt(0)
	v_mov_b32_e32 v7, v6
	v_mov_b32_e32 v6, v29
	;; [unrolled: 1-line block ×3, first 2 shown]
	buffer_store_dword v4, off, s[0:3], s32 offset:192 ; 4-byte Folded Spill
	buffer_store_dword v5, off, s[0:3], s32 offset:196 ; 4-byte Folded Spill
	;; [unrolled: 1-line block ×4, first 2 shown]
	v_cmpx_ne_u32_e32 0x7f, v4
	s_cbranch_execz .LBB212_416
; %bb.413:                              ;   in Loop: Header=BB212_15 Depth=1
	v_and_b32_e32 v28, 7, v3
	v_lshrrev_b32_e32 v3, 3, v4
	s_mov_b32 s21, exec_lo
	v_cmpx_gt_u32_e32 8, v4
; %bb.414:                              ;   in Loop: Header=BB212_15 Depth=1
	v_ffbh_u32_e32 v3, v28
	v_min_u32_e32 v3, 32, v3
	v_subrev_nc_u32_e32 v4, 28, v3
	v_sub_nc_u32_e32 v3, 29, v3
	v_lshlrev_b64 v[4:5], v4, v[28:29]
	v_and_b32_e32 v28, 7, v4
; %bb.415:                              ;   in Loop: Header=BB212_15 Depth=1
	s_or_b32 exec_lo, exec_lo, s21
	v_lshlrev_b32_e32 v4, 16, v2
	v_lshlrev_b32_e32 v5, 20, v28
	v_lshl_add_u32 v3, v3, 23, 0x3c000000
	v_and_b32_e32 v4, 0x80000000, v4
	v_or3_b32 v4, v5, v4, v3
	v_mov_b32_e32 v3, v29
	buffer_store_dword v3, off, s[0:3], s32 offset:628 ; 4-byte Folded Spill
	buffer_store_dword v4, off, s[0:3], s32 offset:632 ; 4-byte Folded Spill
.LBB212_416:                            ;   in Loop: Header=BB212_15 Depth=1
	s_or_b32 exec_lo, exec_lo, s20
.LBB212_417:                            ;   in Loop: Header=BB212_15 Depth=1
	s_or_b32 exec_lo, exec_lo, s19
.LBB212_418:                            ;   in Loop: Header=BB212_15 Depth=1
	s_or_b32 exec_lo, exec_lo, s18
	v_mov_b32_e32 v4, 0
	v_mov_b32_e32 v5, 0
	;; [unrolled: 1-line block ×3, first 2 shown]
	s_mov_b32 s18, exec_lo
	buffer_store_dword v4, off, s[0:3], s32 offset:636 ; 4-byte Folded Spill
	buffer_store_dword v5, off, s[0:3], s32 offset:640 ; 4-byte Folded Spill
	v_mov_b32_e32 v4, 0
	v_and_b32_sdwa v3, v2, v3 dst_sel:DWORD dst_unused:UNUSED_PAD src0_sel:WORD_1 src1_sel:DWORD
	v_mov_b32_e32 v5, 0
	buffer_store_dword v4, off, s[0:3], s32 offset:644 ; 4-byte Folded Spill
	buffer_store_dword v5, off, s[0:3], s32 offset:648 ; 4-byte Folded Spill
	v_cmpx_ne_u16_e32 0, v3
	s_cbranch_execz .LBB212_426
; %bb.419:                              ;   in Loop: Header=BB212_15 Depth=1
	v_cmp_ne_u16_e64 s5, 0x80, v3
	v_bfrev_b32_e32 v3, 1
	v_mov_b32_e32 v4, 0
	buffer_store_dword v3, off, s[0:3], s32 offset:644 ; 4-byte Folded Spill
	buffer_store_dword v4, off, s[0:3], s32 offset:648 ; 4-byte Folded Spill
	s_and_saveexec_b32 s19, s5
	s_cbranch_execz .LBB212_425
; %bb.420:                              ;   in Loop: Header=BB212_15 Depth=1
	v_mov_b32_e32 v5, 0x7f800001
	v_bfe_u32 v4, v2, 16, 7
	v_mov_b32_e32 v6, 0
	s_mov_b32 s20, exec_lo
	buffer_store_dword v5, off, s[0:3], s32 offset:644 ; 4-byte Folded Spill
	buffer_store_dword v6, off, s[0:3], s32 offset:648 ; 4-byte Folded Spill
	v_cmpx_ne_u32_e32 0x7f, v4
	s_cbranch_execz .LBB212_424
; %bb.421:                              ;   in Loop: Header=BB212_15 Depth=1
	v_mov_b32_e32 v3, 7
	s_mov_b32 s21, exec_lo
	v_and_b32_sdwa v28, v2, v3 dst_sel:DWORD dst_unused:UNUSED_PAD src0_sel:WORD_1 src1_sel:DWORD
	v_lshrrev_b32_e32 v3, 3, v4
	v_cmpx_gt_u32_e32 8, v4
; %bb.422:                              ;   in Loop: Header=BB212_15 Depth=1
	v_ffbh_u32_e32 v3, v28
	v_min_u32_e32 v3, 32, v3
	v_subrev_nc_u32_e32 v4, 28, v3
	v_sub_nc_u32_e32 v3, 29, v3
	v_lshlrev_b64 v[4:5], v4, v[28:29]
	v_and_b32_e32 v28, 7, v4
; %bb.423:                              ;   in Loop: Header=BB212_15 Depth=1
	s_or_b32 exec_lo, exec_lo, s21
	v_mov_b32_e32 v4, 24
	v_lshlrev_b32_e32 v5, 20, v28
	v_lshl_add_u32 v3, v3, 23, 0x3c000000
	v_lshlrev_b32_sdwa v4, v4, v2 dst_sel:DWORD dst_unused:UNUSED_PAD src0_sel:DWORD src1_sel:WORD_1
	v_and_b32_e32 v4, 0x80000000, v4
	v_or3_b32 v28, v5, v4, v3
	buffer_store_dword v28, off, s[0:3], s32 offset:644 ; 4-byte Folded Spill
	buffer_store_dword v29, off, s[0:3], s32 offset:648 ; 4-byte Folded Spill
.LBB212_424:                            ;   in Loop: Header=BB212_15 Depth=1
	s_or_b32 exec_lo, exec_lo, s20
.LBB212_425:                            ;   in Loop: Header=BB212_15 Depth=1
	s_or_b32 exec_lo, exec_lo, s19
.LBB212_426:                            ;   in Loop: Header=BB212_15 Depth=1
	s_or_b32 exec_lo, exec_lo, s18
	s_mov_b32 s18, exec_lo
	v_cmpx_lt_u32_e32 0xffffff, v2
	s_cbranch_execz .LBB212_434
; %bb.427:                              ;   in Loop: Header=BB212_15 Depth=1
	v_mov_b32_e32 v3, 0x80
	v_mov_b32_e32 v32, v29
	buffer_store_dword v32, off, s[0:3], s32 offset:636 ; 4-byte Folded Spill
	buffer_store_dword v33, off, s[0:3], s32 offset:640 ; 4-byte Folded Spill
	v_cmp_ne_u32_sdwa s5, v2, v3 src0_sel:BYTE_3 src1_sel:DWORD
	s_and_saveexec_b32 s19, s5
	s_cbranch_execz .LBB212_433
; %bb.428:                              ;   in Loop: Header=BB212_15 Depth=1
	s_clause 0x1
	buffer_load_dword v5, off, s[0:3], s32 offset:192
	buffer_load_dword v6, off, s[0:3], s32 offset:196
	v_bfe_u32 v4, v2, 24, 7
	s_waitcnt vmcnt(1)
	v_mov_b32_e32 v5, v29
	s_mov_b32 s20, exec_lo
	s_waitcnt vmcnt(0)
	v_mov_b32_e32 v3, v6
	buffer_store_dword v2, off, s[0:3], s32 offset:192 ; 4-byte Folded Spill
	buffer_store_dword v3, off, s[0:3], s32 offset:196 ; 4-byte Folded Spill
	;; [unrolled: 1-line block ×4, first 2 shown]
	v_cmpx_ne_u32_e32 0x7f, v4
	s_cbranch_execz .LBB212_432
; %bb.429:                              ;   in Loop: Header=BB212_15 Depth=1
	v_mov_b32_e32 v3, 7
	s_mov_b32 s21, exec_lo
	v_and_b32_sdwa v28, v2, v3 dst_sel:DWORD dst_unused:UNUSED_PAD src0_sel:BYTE_3 src1_sel:DWORD
	v_lshrrev_b32_e32 v3, 3, v4
	v_cmpx_gt_u32_e32 8, v4
; %bb.430:                              ;   in Loop: Header=BB212_15 Depth=1
	v_ffbh_u32_e32 v3, v28
	v_min_u32_e32 v3, 32, v3
	v_subrev_nc_u32_e32 v4, 28, v3
	v_sub_nc_u32_e32 v3, 29, v3
	v_lshlrev_b64 v[4:5], v4, v[28:29]
	v_and_b32_e32 v28, 7, v4
; %bb.431:                              ;   in Loop: Header=BB212_15 Depth=1
	s_or_b32 exec_lo, exec_lo, s21
	v_mov_b32_e32 v4, 24
	v_lshl_add_u32 v3, v3, 23, 0x3c000000
	v_lshlrev_b32_sdwa v2, v4, v2 dst_sel:DWORD dst_unused:UNUSED_PAD src0_sel:DWORD src1_sel:BYTE_3
	v_lshlrev_b32_e32 v4, 20, v28
	v_and_b32_e32 v2, 0x80000000, v2
	v_or3_b32 v3, v4, v2, v3
	v_mov_b32_e32 v2, v29
	buffer_store_dword v2, off, s[0:3], s32 offset:636 ; 4-byte Folded Spill
	buffer_store_dword v3, off, s[0:3], s32 offset:640 ; 4-byte Folded Spill
.LBB212_432:                            ;   in Loop: Header=BB212_15 Depth=1
	s_or_b32 exec_lo, exec_lo, s20
.LBB212_433:                            ;   in Loop: Header=BB212_15 Depth=1
	s_or_b32 exec_lo, exec_lo, s19
.LBB212_434:                            ;   in Loop: Header=BB212_15 Depth=1
	s_or_b32 exec_lo, exec_lo, s18
	flat_load_dword v2, v[0:1] offset:1540
	v_mov_b32_e32 v3, 0
	v_mov_b32_e32 v4, 0
	buffer_store_dword v3, off, s[0:3], s32 offset:660 ; 4-byte Folded Spill
	buffer_store_dword v4, off, s[0:3], s32 offset:664 ; 4-byte Folded Spill
	v_mov_b32_e32 v3, 0
	v_mov_b32_e32 v4, 0
	buffer_store_dword v3, off, s[0:3], s32 offset:652 ; 4-byte Folded Spill
	buffer_store_dword v4, off, s[0:3], s32 offset:656 ; 4-byte Folded Spill
	s_waitcnt vmcnt(0) lgkmcnt(0)
	v_cmp_ne_u16_sdwa s5, v2, v29 src0_sel:BYTE_0 src1_sel:DWORD
	s_and_saveexec_b32 s18, s5
	s_cbranch_execz .LBB212_442
; %bb.435:                              ;   in Loop: Header=BB212_15 Depth=1
	v_bfrev_b32_e32 v3, 1
	v_mov_b32_e32 v4, 0
	buffer_store_dword v3, off, s[0:3], s32 offset:652 ; 4-byte Folded Spill
	buffer_store_dword v4, off, s[0:3], s32 offset:656 ; 4-byte Folded Spill
	v_mov_b32_e32 v3, 0x80
	v_cmp_ne_u16_sdwa s5, v2, v3 src0_sel:BYTE_0 src1_sel:DWORD
	s_and_saveexec_b32 s19, s5
	s_cbranch_execz .LBB212_441
; %bb.436:                              ;   in Loop: Header=BB212_15 Depth=1
	v_mov_b32_e32 v5, 0x7f800001
	v_and_b32_e32 v4, 0x7f, v2
	v_mov_b32_e32 v6, 0
	s_mov_b32 s20, exec_lo
	buffer_store_dword v5, off, s[0:3], s32 offset:652 ; 4-byte Folded Spill
	buffer_store_dword v6, off, s[0:3], s32 offset:656 ; 4-byte Folded Spill
	v_cmpx_ne_u32_e32 0x7f, v4
	s_cbranch_execz .LBB212_440
; %bb.437:                              ;   in Loop: Header=BB212_15 Depth=1
	v_and_b32_e32 v28, 7, v2
	v_lshrrev_b32_e32 v3, 3, v4
	s_mov_b32 s21, exec_lo
	v_cmpx_gt_u32_e32 8, v4
; %bb.438:                              ;   in Loop: Header=BB212_15 Depth=1
	v_ffbh_u32_e32 v3, v28
	v_min_u32_e32 v3, 32, v3
	v_subrev_nc_u32_e32 v4, 28, v3
	v_sub_nc_u32_e32 v3, 29, v3
	v_lshlrev_b64 v[4:5], v4, v[28:29]
	v_and_b32_e32 v28, 7, v4
; %bb.439:                              ;   in Loop: Header=BB212_15 Depth=1
	s_or_b32 exec_lo, exec_lo, s21
	v_lshlrev_b32_e32 v4, 24, v2
	v_lshlrev_b32_e32 v5, 20, v28
	v_lshl_add_u32 v3, v3, 23, 0x3c000000
	v_and_b32_e32 v4, 0x80000000, v4
	v_or3_b32 v28, v5, v4, v3
	buffer_store_dword v28, off, s[0:3], s32 offset:652 ; 4-byte Folded Spill
	buffer_store_dword v29, off, s[0:3], s32 offset:656 ; 4-byte Folded Spill
.LBB212_440:                            ;   in Loop: Header=BB212_15 Depth=1
	s_or_b32 exec_lo, exec_lo, s20
.LBB212_441:                            ;   in Loop: Header=BB212_15 Depth=1
	s_or_b32 exec_lo, exec_lo, s19
.LBB212_442:                            ;   in Loop: Header=BB212_15 Depth=1
	s_or_b32 exec_lo, exec_lo, s18
	v_cmp_ne_u16_sdwa s5, v2, v29 src0_sel:BYTE_1 src1_sel:DWORD
	s_and_saveexec_b32 s18, s5
	s_cbranch_execz .LBB212_450
; %bb.443:                              ;   in Loop: Header=BB212_15 Depth=1
	v_mov_b32_e32 v3, 0x80
	v_mov_b32_e32 v32, v29
	buffer_store_dword v32, off, s[0:3], s32 offset:660 ; 4-byte Folded Spill
	buffer_store_dword v33, off, s[0:3], s32 offset:664 ; 4-byte Folded Spill
	v_cmp_ne_u16_sdwa s5, v2, v3 src0_sel:BYTE_1 src1_sel:DWORD
	s_and_saveexec_b32 s19, s5
	s_cbranch_execz .LBB212_449
; %bb.444:                              ;   in Loop: Header=BB212_15 Depth=1
	s_clause 0x1
	buffer_load_dword v5, off, s[0:3], s32 offset:192
	buffer_load_dword v6, off, s[0:3], s32 offset:196
	v_mov_b32_e32 v3, 0xffff
	s_mov_b32 s20, exec_lo
	v_and_b32_sdwa v3, v3, v2 dst_sel:DWORD dst_unused:UNUSED_PAD src0_sel:DWORD src1_sel:BYTE_1
	v_and_b32_e32 v4, 0x7f, v3
	s_waitcnt vmcnt(0)
	v_mov_b32_e32 v7, v6
	v_mov_b32_e32 v6, v29
	v_mov_b32_e32 v5, v7
	buffer_store_dword v4, off, s[0:3], s32 offset:192 ; 4-byte Folded Spill
	buffer_store_dword v5, off, s[0:3], s32 offset:196 ; 4-byte Folded Spill
	;; [unrolled: 1-line block ×4, first 2 shown]
	v_cmpx_ne_u32_e32 0x7f, v4
	s_cbranch_execz .LBB212_448
; %bb.445:                              ;   in Loop: Header=BB212_15 Depth=1
	v_and_b32_e32 v28, 7, v3
	v_lshrrev_b32_e32 v3, 3, v4
	s_mov_b32 s21, exec_lo
	v_cmpx_gt_u32_e32 8, v4
; %bb.446:                              ;   in Loop: Header=BB212_15 Depth=1
	v_ffbh_u32_e32 v3, v28
	v_min_u32_e32 v3, 32, v3
	v_subrev_nc_u32_e32 v4, 28, v3
	v_sub_nc_u32_e32 v3, 29, v3
	v_lshlrev_b64 v[4:5], v4, v[28:29]
	v_and_b32_e32 v28, 7, v4
; %bb.447:                              ;   in Loop: Header=BB212_15 Depth=1
	s_or_b32 exec_lo, exec_lo, s21
	v_lshlrev_b32_e32 v4, 16, v2
	v_lshlrev_b32_e32 v5, 20, v28
	v_lshl_add_u32 v3, v3, 23, 0x3c000000
	v_and_b32_e32 v4, 0x80000000, v4
	v_or3_b32 v4, v5, v4, v3
	v_mov_b32_e32 v3, v29
	buffer_store_dword v3, off, s[0:3], s32 offset:660 ; 4-byte Folded Spill
	buffer_store_dword v4, off, s[0:3], s32 offset:664 ; 4-byte Folded Spill
.LBB212_448:                            ;   in Loop: Header=BB212_15 Depth=1
	s_or_b32 exec_lo, exec_lo, s20
.LBB212_449:                            ;   in Loop: Header=BB212_15 Depth=1
	s_or_b32 exec_lo, exec_lo, s19
.LBB212_450:                            ;   in Loop: Header=BB212_15 Depth=1
	s_or_b32 exec_lo, exec_lo, s18
	v_mov_b32_e32 v4, 0
	v_mov_b32_e32 v5, 0
	;; [unrolled: 1-line block ×3, first 2 shown]
	s_mov_b32 s18, exec_lo
	buffer_store_dword v4, off, s[0:3], s32 offset:668 ; 4-byte Folded Spill
	buffer_store_dword v5, off, s[0:3], s32 offset:672 ; 4-byte Folded Spill
	v_mov_b32_e32 v4, 0
	v_and_b32_sdwa v3, v2, v3 dst_sel:DWORD dst_unused:UNUSED_PAD src0_sel:WORD_1 src1_sel:DWORD
	v_mov_b32_e32 v5, 0
	buffer_store_dword v4, off, s[0:3], s32 offset:676 ; 4-byte Folded Spill
	buffer_store_dword v5, off, s[0:3], s32 offset:680 ; 4-byte Folded Spill
	v_cmpx_ne_u16_e32 0, v3
	s_cbranch_execz .LBB212_458
; %bb.451:                              ;   in Loop: Header=BB212_15 Depth=1
	v_cmp_ne_u16_e64 s5, 0x80, v3
	v_bfrev_b32_e32 v3, 1
	v_mov_b32_e32 v4, 0
	buffer_store_dword v3, off, s[0:3], s32 offset:676 ; 4-byte Folded Spill
	buffer_store_dword v4, off, s[0:3], s32 offset:680 ; 4-byte Folded Spill
	s_and_saveexec_b32 s19, s5
	s_cbranch_execz .LBB212_457
; %bb.452:                              ;   in Loop: Header=BB212_15 Depth=1
	v_mov_b32_e32 v5, 0x7f800001
	v_bfe_u32 v4, v2, 16, 7
	v_mov_b32_e32 v6, 0
	s_mov_b32 s20, exec_lo
	buffer_store_dword v5, off, s[0:3], s32 offset:676 ; 4-byte Folded Spill
	buffer_store_dword v6, off, s[0:3], s32 offset:680 ; 4-byte Folded Spill
	v_cmpx_ne_u32_e32 0x7f, v4
	s_cbranch_execz .LBB212_456
; %bb.453:                              ;   in Loop: Header=BB212_15 Depth=1
	v_mov_b32_e32 v3, 7
	s_mov_b32 s21, exec_lo
	v_and_b32_sdwa v28, v2, v3 dst_sel:DWORD dst_unused:UNUSED_PAD src0_sel:WORD_1 src1_sel:DWORD
	v_lshrrev_b32_e32 v3, 3, v4
	v_cmpx_gt_u32_e32 8, v4
; %bb.454:                              ;   in Loop: Header=BB212_15 Depth=1
	v_ffbh_u32_e32 v3, v28
	v_min_u32_e32 v3, 32, v3
	v_subrev_nc_u32_e32 v4, 28, v3
	v_sub_nc_u32_e32 v3, 29, v3
	v_lshlrev_b64 v[4:5], v4, v[28:29]
	v_and_b32_e32 v28, 7, v4
; %bb.455:                              ;   in Loop: Header=BB212_15 Depth=1
	s_or_b32 exec_lo, exec_lo, s21
	v_mov_b32_e32 v4, 24
	v_lshlrev_b32_e32 v5, 20, v28
	v_lshl_add_u32 v3, v3, 23, 0x3c000000
	v_lshlrev_b32_sdwa v4, v4, v2 dst_sel:DWORD dst_unused:UNUSED_PAD src0_sel:DWORD src1_sel:WORD_1
	v_and_b32_e32 v4, 0x80000000, v4
	v_or3_b32 v28, v5, v4, v3
	buffer_store_dword v28, off, s[0:3], s32 offset:676 ; 4-byte Folded Spill
	buffer_store_dword v29, off, s[0:3], s32 offset:680 ; 4-byte Folded Spill
.LBB212_456:                            ;   in Loop: Header=BB212_15 Depth=1
	s_or_b32 exec_lo, exec_lo, s20
.LBB212_457:                            ;   in Loop: Header=BB212_15 Depth=1
	s_or_b32 exec_lo, exec_lo, s19
.LBB212_458:                            ;   in Loop: Header=BB212_15 Depth=1
	s_or_b32 exec_lo, exec_lo, s18
	s_mov_b32 s18, exec_lo
	v_cmpx_lt_u32_e32 0xffffff, v2
	s_cbranch_execz .LBB212_466
; %bb.459:                              ;   in Loop: Header=BB212_15 Depth=1
	v_mov_b32_e32 v3, 0x80
	v_mov_b32_e32 v32, v29
	buffer_store_dword v32, off, s[0:3], s32 offset:668 ; 4-byte Folded Spill
	buffer_store_dword v33, off, s[0:3], s32 offset:672 ; 4-byte Folded Spill
	v_cmp_ne_u32_sdwa s5, v2, v3 src0_sel:BYTE_3 src1_sel:DWORD
	s_and_saveexec_b32 s19, s5
	s_cbranch_execz .LBB212_465
; %bb.460:                              ;   in Loop: Header=BB212_15 Depth=1
	s_clause 0x1
	buffer_load_dword v5, off, s[0:3], s32 offset:192
	buffer_load_dword v6, off, s[0:3], s32 offset:196
	v_bfe_u32 v4, v2, 24, 7
	s_waitcnt vmcnt(1)
	v_mov_b32_e32 v5, v29
	s_mov_b32 s20, exec_lo
	s_waitcnt vmcnt(0)
	v_mov_b32_e32 v3, v6
	buffer_store_dword v2, off, s[0:3], s32 offset:192 ; 4-byte Folded Spill
	buffer_store_dword v3, off, s[0:3], s32 offset:196 ; 4-byte Folded Spill
	;; [unrolled: 1-line block ×4, first 2 shown]
	v_cmpx_ne_u32_e32 0x7f, v4
	s_cbranch_execz .LBB212_464
; %bb.461:                              ;   in Loop: Header=BB212_15 Depth=1
	v_mov_b32_e32 v3, 7
	s_mov_b32 s21, exec_lo
	v_and_b32_sdwa v28, v2, v3 dst_sel:DWORD dst_unused:UNUSED_PAD src0_sel:BYTE_3 src1_sel:DWORD
	v_lshrrev_b32_e32 v3, 3, v4
	v_cmpx_gt_u32_e32 8, v4
; %bb.462:                              ;   in Loop: Header=BB212_15 Depth=1
	v_ffbh_u32_e32 v3, v28
	v_min_u32_e32 v3, 32, v3
	v_subrev_nc_u32_e32 v4, 28, v3
	v_sub_nc_u32_e32 v3, 29, v3
	v_lshlrev_b64 v[4:5], v4, v[28:29]
	v_and_b32_e32 v28, 7, v4
; %bb.463:                              ;   in Loop: Header=BB212_15 Depth=1
	s_or_b32 exec_lo, exec_lo, s21
	v_mov_b32_e32 v4, 24
	v_lshl_add_u32 v3, v3, 23, 0x3c000000
	v_lshlrev_b32_sdwa v2, v4, v2 dst_sel:DWORD dst_unused:UNUSED_PAD src0_sel:DWORD src1_sel:BYTE_3
	v_lshlrev_b32_e32 v4, 20, v28
	v_and_b32_e32 v2, 0x80000000, v2
	v_or3_b32 v3, v4, v2, v3
	v_mov_b32_e32 v2, v29
	buffer_store_dword v2, off, s[0:3], s32 offset:668 ; 4-byte Folded Spill
	buffer_store_dword v3, off, s[0:3], s32 offset:672 ; 4-byte Folded Spill
.LBB212_464:                            ;   in Loop: Header=BB212_15 Depth=1
	s_or_b32 exec_lo, exec_lo, s20
.LBB212_465:                            ;   in Loop: Header=BB212_15 Depth=1
	s_or_b32 exec_lo, exec_lo, s19
.LBB212_466:                            ;   in Loop: Header=BB212_15 Depth=1
	s_or_b32 exec_lo, exec_lo, s18
	flat_load_dword v2, v[0:1] offset:1544
	v_mov_b32_e32 v3, 0
	v_mov_b32_e32 v4, 0
	buffer_store_dword v3, off, s[0:3], s32 offset:692 ; 4-byte Folded Spill
	buffer_store_dword v4, off, s[0:3], s32 offset:696 ; 4-byte Folded Spill
	v_mov_b32_e32 v3, 0
	v_mov_b32_e32 v4, 0
	buffer_store_dword v3, off, s[0:3], s32 offset:684 ; 4-byte Folded Spill
	buffer_store_dword v4, off, s[0:3], s32 offset:688 ; 4-byte Folded Spill
	s_waitcnt vmcnt(0) lgkmcnt(0)
	v_cmp_ne_u16_sdwa s5, v2, v29 src0_sel:BYTE_0 src1_sel:DWORD
	s_and_saveexec_b32 s18, s5
	s_cbranch_execz .LBB212_474
; %bb.467:                              ;   in Loop: Header=BB212_15 Depth=1
	v_bfrev_b32_e32 v3, 1
	v_mov_b32_e32 v4, 0
	buffer_store_dword v3, off, s[0:3], s32 offset:684 ; 4-byte Folded Spill
	buffer_store_dword v4, off, s[0:3], s32 offset:688 ; 4-byte Folded Spill
	v_mov_b32_e32 v3, 0x80
	v_cmp_ne_u16_sdwa s5, v2, v3 src0_sel:BYTE_0 src1_sel:DWORD
	s_and_saveexec_b32 s19, s5
	s_cbranch_execz .LBB212_473
; %bb.468:                              ;   in Loop: Header=BB212_15 Depth=1
	v_mov_b32_e32 v5, 0x7f800001
	v_and_b32_e32 v4, 0x7f, v2
	v_mov_b32_e32 v6, 0
	s_mov_b32 s20, exec_lo
	buffer_store_dword v5, off, s[0:3], s32 offset:684 ; 4-byte Folded Spill
	buffer_store_dword v6, off, s[0:3], s32 offset:688 ; 4-byte Folded Spill
	v_cmpx_ne_u32_e32 0x7f, v4
	s_cbranch_execz .LBB212_472
; %bb.469:                              ;   in Loop: Header=BB212_15 Depth=1
	v_and_b32_e32 v28, 7, v2
	v_lshrrev_b32_e32 v3, 3, v4
	s_mov_b32 s21, exec_lo
	v_cmpx_gt_u32_e32 8, v4
; %bb.470:                              ;   in Loop: Header=BB212_15 Depth=1
	v_ffbh_u32_e32 v3, v28
	v_min_u32_e32 v3, 32, v3
	v_subrev_nc_u32_e32 v4, 28, v3
	v_sub_nc_u32_e32 v3, 29, v3
	v_lshlrev_b64 v[4:5], v4, v[28:29]
	v_and_b32_e32 v28, 7, v4
; %bb.471:                              ;   in Loop: Header=BB212_15 Depth=1
	s_or_b32 exec_lo, exec_lo, s21
	v_lshlrev_b32_e32 v4, 24, v2
	v_lshlrev_b32_e32 v5, 20, v28
	v_lshl_add_u32 v3, v3, 23, 0x3c000000
	v_and_b32_e32 v4, 0x80000000, v4
	v_or3_b32 v28, v5, v4, v3
	buffer_store_dword v28, off, s[0:3], s32 offset:684 ; 4-byte Folded Spill
	buffer_store_dword v29, off, s[0:3], s32 offset:688 ; 4-byte Folded Spill
.LBB212_472:                            ;   in Loop: Header=BB212_15 Depth=1
	s_or_b32 exec_lo, exec_lo, s20
.LBB212_473:                            ;   in Loop: Header=BB212_15 Depth=1
	s_or_b32 exec_lo, exec_lo, s19
.LBB212_474:                            ;   in Loop: Header=BB212_15 Depth=1
	s_or_b32 exec_lo, exec_lo, s18
	v_cmp_ne_u16_sdwa s5, v2, v29 src0_sel:BYTE_1 src1_sel:DWORD
	s_and_saveexec_b32 s18, s5
	s_cbranch_execz .LBB212_482
; %bb.475:                              ;   in Loop: Header=BB212_15 Depth=1
	v_mov_b32_e32 v3, 0x80
	v_mov_b32_e32 v32, v29
	buffer_store_dword v32, off, s[0:3], s32 offset:692 ; 4-byte Folded Spill
	buffer_store_dword v33, off, s[0:3], s32 offset:696 ; 4-byte Folded Spill
	v_cmp_ne_u16_sdwa s5, v2, v3 src0_sel:BYTE_1 src1_sel:DWORD
	s_and_saveexec_b32 s19, s5
	s_cbranch_execz .LBB212_481
; %bb.476:                              ;   in Loop: Header=BB212_15 Depth=1
	s_clause 0x1
	buffer_load_dword v5, off, s[0:3], s32 offset:192
	buffer_load_dword v6, off, s[0:3], s32 offset:196
	v_mov_b32_e32 v3, 0xffff
	s_mov_b32 s20, exec_lo
	v_and_b32_sdwa v3, v3, v2 dst_sel:DWORD dst_unused:UNUSED_PAD src0_sel:DWORD src1_sel:BYTE_1
	v_and_b32_e32 v4, 0x7f, v3
	s_waitcnt vmcnt(0)
	v_mov_b32_e32 v7, v6
	v_mov_b32_e32 v6, v29
	v_mov_b32_e32 v5, v7
	buffer_store_dword v4, off, s[0:3], s32 offset:192 ; 4-byte Folded Spill
	buffer_store_dword v5, off, s[0:3], s32 offset:196 ; 4-byte Folded Spill
	;; [unrolled: 1-line block ×4, first 2 shown]
	v_cmpx_ne_u32_e32 0x7f, v4
	s_cbranch_execz .LBB212_480
; %bb.477:                              ;   in Loop: Header=BB212_15 Depth=1
	v_and_b32_e32 v28, 7, v3
	v_lshrrev_b32_e32 v3, 3, v4
	s_mov_b32 s21, exec_lo
	v_cmpx_gt_u32_e32 8, v4
; %bb.478:                              ;   in Loop: Header=BB212_15 Depth=1
	v_ffbh_u32_e32 v3, v28
	v_min_u32_e32 v3, 32, v3
	v_subrev_nc_u32_e32 v4, 28, v3
	v_sub_nc_u32_e32 v3, 29, v3
	v_lshlrev_b64 v[4:5], v4, v[28:29]
	v_and_b32_e32 v28, 7, v4
; %bb.479:                              ;   in Loop: Header=BB212_15 Depth=1
	s_or_b32 exec_lo, exec_lo, s21
	v_lshlrev_b32_e32 v4, 16, v2
	v_lshlrev_b32_e32 v5, 20, v28
	v_lshl_add_u32 v3, v3, 23, 0x3c000000
	v_and_b32_e32 v4, 0x80000000, v4
	v_or3_b32 v4, v5, v4, v3
	v_mov_b32_e32 v3, v29
	buffer_store_dword v3, off, s[0:3], s32 offset:692 ; 4-byte Folded Spill
	buffer_store_dword v4, off, s[0:3], s32 offset:696 ; 4-byte Folded Spill
.LBB212_480:                            ;   in Loop: Header=BB212_15 Depth=1
	s_or_b32 exec_lo, exec_lo, s20
.LBB212_481:                            ;   in Loop: Header=BB212_15 Depth=1
	s_or_b32 exec_lo, exec_lo, s19
.LBB212_482:                            ;   in Loop: Header=BB212_15 Depth=1
	s_or_b32 exec_lo, exec_lo, s18
	v_mov_b32_e32 v4, 0
	v_mov_b32_e32 v5, 0
	;; [unrolled: 1-line block ×3, first 2 shown]
	s_mov_b32 s18, exec_lo
	buffer_store_dword v4, off, s[0:3], s32 offset:700 ; 4-byte Folded Spill
	buffer_store_dword v5, off, s[0:3], s32 offset:704 ; 4-byte Folded Spill
	v_mov_b32_e32 v4, 0
	v_and_b32_sdwa v3, v2, v3 dst_sel:DWORD dst_unused:UNUSED_PAD src0_sel:WORD_1 src1_sel:DWORD
	v_mov_b32_e32 v5, 0
	buffer_store_dword v4, off, s[0:3], s32 offset:708 ; 4-byte Folded Spill
	buffer_store_dword v5, off, s[0:3], s32 offset:712 ; 4-byte Folded Spill
	v_cmpx_ne_u16_e32 0, v3
	s_cbranch_execz .LBB212_490
; %bb.483:                              ;   in Loop: Header=BB212_15 Depth=1
	v_cmp_ne_u16_e64 s5, 0x80, v3
	v_bfrev_b32_e32 v3, 1
	v_mov_b32_e32 v4, 0
	buffer_store_dword v3, off, s[0:3], s32 offset:708 ; 4-byte Folded Spill
	buffer_store_dword v4, off, s[0:3], s32 offset:712 ; 4-byte Folded Spill
	s_and_saveexec_b32 s19, s5
	s_cbranch_execz .LBB212_489
; %bb.484:                              ;   in Loop: Header=BB212_15 Depth=1
	v_mov_b32_e32 v5, 0x7f800001
	v_bfe_u32 v4, v2, 16, 7
	v_mov_b32_e32 v6, 0
	s_mov_b32 s20, exec_lo
	buffer_store_dword v5, off, s[0:3], s32 offset:708 ; 4-byte Folded Spill
	buffer_store_dword v6, off, s[0:3], s32 offset:712 ; 4-byte Folded Spill
	v_cmpx_ne_u32_e32 0x7f, v4
	s_cbranch_execz .LBB212_488
; %bb.485:                              ;   in Loop: Header=BB212_15 Depth=1
	v_mov_b32_e32 v3, 7
	s_mov_b32 s21, exec_lo
	v_and_b32_sdwa v28, v2, v3 dst_sel:DWORD dst_unused:UNUSED_PAD src0_sel:WORD_1 src1_sel:DWORD
	v_lshrrev_b32_e32 v3, 3, v4
	v_cmpx_gt_u32_e32 8, v4
; %bb.486:                              ;   in Loop: Header=BB212_15 Depth=1
	v_ffbh_u32_e32 v3, v28
	v_min_u32_e32 v3, 32, v3
	v_subrev_nc_u32_e32 v4, 28, v3
	v_sub_nc_u32_e32 v3, 29, v3
	v_lshlrev_b64 v[4:5], v4, v[28:29]
	v_and_b32_e32 v28, 7, v4
; %bb.487:                              ;   in Loop: Header=BB212_15 Depth=1
	s_or_b32 exec_lo, exec_lo, s21
	v_mov_b32_e32 v4, 24
	v_lshlrev_b32_e32 v5, 20, v28
	v_lshl_add_u32 v3, v3, 23, 0x3c000000
	v_lshlrev_b32_sdwa v4, v4, v2 dst_sel:DWORD dst_unused:UNUSED_PAD src0_sel:DWORD src1_sel:WORD_1
	v_and_b32_e32 v4, 0x80000000, v4
	v_or3_b32 v28, v5, v4, v3
	buffer_store_dword v28, off, s[0:3], s32 offset:708 ; 4-byte Folded Spill
	buffer_store_dword v29, off, s[0:3], s32 offset:712 ; 4-byte Folded Spill
.LBB212_488:                            ;   in Loop: Header=BB212_15 Depth=1
	s_or_b32 exec_lo, exec_lo, s20
.LBB212_489:                            ;   in Loop: Header=BB212_15 Depth=1
	s_or_b32 exec_lo, exec_lo, s19
.LBB212_490:                            ;   in Loop: Header=BB212_15 Depth=1
	s_or_b32 exec_lo, exec_lo, s18
	s_mov_b32 s18, exec_lo
	v_cmpx_lt_u32_e32 0xffffff, v2
	s_cbranch_execz .LBB212_498
; %bb.491:                              ;   in Loop: Header=BB212_15 Depth=1
	v_mov_b32_e32 v3, 0x80
	v_mov_b32_e32 v32, v29
	buffer_store_dword v32, off, s[0:3], s32 offset:700 ; 4-byte Folded Spill
	buffer_store_dword v33, off, s[0:3], s32 offset:704 ; 4-byte Folded Spill
	v_cmp_ne_u32_sdwa s5, v2, v3 src0_sel:BYTE_3 src1_sel:DWORD
	s_and_saveexec_b32 s19, s5
	s_cbranch_execz .LBB212_497
; %bb.492:                              ;   in Loop: Header=BB212_15 Depth=1
	s_clause 0x1
	buffer_load_dword v5, off, s[0:3], s32 offset:192
	buffer_load_dword v6, off, s[0:3], s32 offset:196
	v_bfe_u32 v4, v2, 24, 7
	s_waitcnt vmcnt(1)
	v_mov_b32_e32 v5, v29
	s_mov_b32 s20, exec_lo
	s_waitcnt vmcnt(0)
	v_mov_b32_e32 v3, v6
	buffer_store_dword v2, off, s[0:3], s32 offset:192 ; 4-byte Folded Spill
	buffer_store_dword v3, off, s[0:3], s32 offset:196 ; 4-byte Folded Spill
	;; [unrolled: 1-line block ×4, first 2 shown]
	v_cmpx_ne_u32_e32 0x7f, v4
	s_cbranch_execz .LBB212_496
; %bb.493:                              ;   in Loop: Header=BB212_15 Depth=1
	v_mov_b32_e32 v3, 7
	s_mov_b32 s21, exec_lo
	v_and_b32_sdwa v28, v2, v3 dst_sel:DWORD dst_unused:UNUSED_PAD src0_sel:BYTE_3 src1_sel:DWORD
	v_lshrrev_b32_e32 v3, 3, v4
	v_cmpx_gt_u32_e32 8, v4
; %bb.494:                              ;   in Loop: Header=BB212_15 Depth=1
	v_ffbh_u32_e32 v3, v28
	v_min_u32_e32 v3, 32, v3
	v_subrev_nc_u32_e32 v4, 28, v3
	v_sub_nc_u32_e32 v3, 29, v3
	v_lshlrev_b64 v[4:5], v4, v[28:29]
	v_and_b32_e32 v28, 7, v4
; %bb.495:                              ;   in Loop: Header=BB212_15 Depth=1
	s_or_b32 exec_lo, exec_lo, s21
	v_mov_b32_e32 v4, 24
	v_lshl_add_u32 v3, v3, 23, 0x3c000000
	v_lshlrev_b32_sdwa v2, v4, v2 dst_sel:DWORD dst_unused:UNUSED_PAD src0_sel:DWORD src1_sel:BYTE_3
	v_lshlrev_b32_e32 v4, 20, v28
	v_and_b32_e32 v2, 0x80000000, v2
	v_or3_b32 v3, v4, v2, v3
	v_mov_b32_e32 v2, v29
	buffer_store_dword v2, off, s[0:3], s32 offset:700 ; 4-byte Folded Spill
	buffer_store_dword v3, off, s[0:3], s32 offset:704 ; 4-byte Folded Spill
.LBB212_496:                            ;   in Loop: Header=BB212_15 Depth=1
	s_or_b32 exec_lo, exec_lo, s20
.LBB212_497:                            ;   in Loop: Header=BB212_15 Depth=1
	s_or_b32 exec_lo, exec_lo, s19
.LBB212_498:                            ;   in Loop: Header=BB212_15 Depth=1
	s_or_b32 exec_lo, exec_lo, s18
	flat_load_dword v2, v[0:1] offset:1548
	v_mov_b32_e32 v3, 0
	v_mov_b32_e32 v4, 0
	buffer_store_dword v3, off, s[0:3], s32 offset:724 ; 4-byte Folded Spill
	buffer_store_dword v4, off, s[0:3], s32 offset:728 ; 4-byte Folded Spill
	v_mov_b32_e32 v3, 0
	v_mov_b32_e32 v4, 0
	buffer_store_dword v3, off, s[0:3], s32 offset:716 ; 4-byte Folded Spill
	buffer_store_dword v4, off, s[0:3], s32 offset:720 ; 4-byte Folded Spill
	s_waitcnt vmcnt(0) lgkmcnt(0)
	v_cmp_ne_u16_sdwa s5, v2, v29 src0_sel:BYTE_0 src1_sel:DWORD
	s_and_saveexec_b32 s18, s5
	s_cbranch_execz .LBB212_506
; %bb.499:                              ;   in Loop: Header=BB212_15 Depth=1
	v_bfrev_b32_e32 v3, 1
	v_mov_b32_e32 v4, 0
	buffer_store_dword v3, off, s[0:3], s32 offset:716 ; 4-byte Folded Spill
	buffer_store_dword v4, off, s[0:3], s32 offset:720 ; 4-byte Folded Spill
	v_mov_b32_e32 v3, 0x80
	v_cmp_ne_u16_sdwa s5, v2, v3 src0_sel:BYTE_0 src1_sel:DWORD
	s_and_saveexec_b32 s19, s5
	s_cbranch_execz .LBB212_505
; %bb.500:                              ;   in Loop: Header=BB212_15 Depth=1
	v_mov_b32_e32 v5, 0x7f800001
	v_and_b32_e32 v4, 0x7f, v2
	v_mov_b32_e32 v6, 0
	s_mov_b32 s20, exec_lo
	buffer_store_dword v5, off, s[0:3], s32 offset:716 ; 4-byte Folded Spill
	buffer_store_dword v6, off, s[0:3], s32 offset:720 ; 4-byte Folded Spill
	v_cmpx_ne_u32_e32 0x7f, v4
	s_cbranch_execz .LBB212_504
; %bb.501:                              ;   in Loop: Header=BB212_15 Depth=1
	v_and_b32_e32 v28, 7, v2
	v_lshrrev_b32_e32 v3, 3, v4
	s_mov_b32 s21, exec_lo
	v_cmpx_gt_u32_e32 8, v4
; %bb.502:                              ;   in Loop: Header=BB212_15 Depth=1
	v_ffbh_u32_e32 v3, v28
	v_min_u32_e32 v3, 32, v3
	v_subrev_nc_u32_e32 v4, 28, v3
	v_sub_nc_u32_e32 v3, 29, v3
	v_lshlrev_b64 v[4:5], v4, v[28:29]
	v_and_b32_e32 v28, 7, v4
; %bb.503:                              ;   in Loop: Header=BB212_15 Depth=1
	s_or_b32 exec_lo, exec_lo, s21
	v_lshlrev_b32_e32 v4, 24, v2
	v_lshlrev_b32_e32 v5, 20, v28
	v_lshl_add_u32 v3, v3, 23, 0x3c000000
	v_and_b32_e32 v4, 0x80000000, v4
	v_or3_b32 v28, v5, v4, v3
	buffer_store_dword v28, off, s[0:3], s32 offset:716 ; 4-byte Folded Spill
	buffer_store_dword v29, off, s[0:3], s32 offset:720 ; 4-byte Folded Spill
.LBB212_504:                            ;   in Loop: Header=BB212_15 Depth=1
	s_or_b32 exec_lo, exec_lo, s20
.LBB212_505:                            ;   in Loop: Header=BB212_15 Depth=1
	s_or_b32 exec_lo, exec_lo, s19
.LBB212_506:                            ;   in Loop: Header=BB212_15 Depth=1
	s_or_b32 exec_lo, exec_lo, s18
	v_cmp_ne_u16_sdwa s5, v2, v29 src0_sel:BYTE_1 src1_sel:DWORD
	s_and_saveexec_b32 s18, s5
	s_cbranch_execz .LBB212_514
; %bb.507:                              ;   in Loop: Header=BB212_15 Depth=1
	v_mov_b32_e32 v3, 0x80
	v_mov_b32_e32 v32, v29
	buffer_store_dword v32, off, s[0:3], s32 offset:724 ; 4-byte Folded Spill
	buffer_store_dword v33, off, s[0:3], s32 offset:728 ; 4-byte Folded Spill
	v_cmp_ne_u16_sdwa s5, v2, v3 src0_sel:BYTE_1 src1_sel:DWORD
	s_and_saveexec_b32 s19, s5
	s_cbranch_execz .LBB212_513
; %bb.508:                              ;   in Loop: Header=BB212_15 Depth=1
	s_clause 0x1
	buffer_load_dword v5, off, s[0:3], s32 offset:192
	buffer_load_dword v6, off, s[0:3], s32 offset:196
	v_mov_b32_e32 v3, 0xffff
	s_mov_b32 s20, exec_lo
	v_and_b32_sdwa v3, v3, v2 dst_sel:DWORD dst_unused:UNUSED_PAD src0_sel:DWORD src1_sel:BYTE_1
	v_and_b32_e32 v4, 0x7f, v3
	s_waitcnt vmcnt(0)
	v_mov_b32_e32 v7, v6
	v_mov_b32_e32 v6, v29
	;; [unrolled: 1-line block ×3, first 2 shown]
	buffer_store_dword v4, off, s[0:3], s32 offset:192 ; 4-byte Folded Spill
	buffer_store_dword v5, off, s[0:3], s32 offset:196 ; 4-byte Folded Spill
	;; [unrolled: 1-line block ×4, first 2 shown]
	v_cmpx_ne_u32_e32 0x7f, v4
	s_cbranch_execz .LBB212_512
; %bb.509:                              ;   in Loop: Header=BB212_15 Depth=1
	v_and_b32_e32 v28, 7, v3
	v_lshrrev_b32_e32 v3, 3, v4
	s_mov_b32 s21, exec_lo
	v_cmpx_gt_u32_e32 8, v4
; %bb.510:                              ;   in Loop: Header=BB212_15 Depth=1
	v_ffbh_u32_e32 v3, v28
	v_min_u32_e32 v3, 32, v3
	v_subrev_nc_u32_e32 v4, 28, v3
	v_sub_nc_u32_e32 v3, 29, v3
	v_lshlrev_b64 v[4:5], v4, v[28:29]
	v_and_b32_e32 v28, 7, v4
; %bb.511:                              ;   in Loop: Header=BB212_15 Depth=1
	s_or_b32 exec_lo, exec_lo, s21
	v_lshlrev_b32_e32 v4, 16, v2
	v_lshlrev_b32_e32 v5, 20, v28
	v_lshl_add_u32 v3, v3, 23, 0x3c000000
	v_and_b32_e32 v4, 0x80000000, v4
	v_or3_b32 v4, v5, v4, v3
	v_mov_b32_e32 v3, v29
	buffer_store_dword v3, off, s[0:3], s32 offset:724 ; 4-byte Folded Spill
	buffer_store_dword v4, off, s[0:3], s32 offset:728 ; 4-byte Folded Spill
.LBB212_512:                            ;   in Loop: Header=BB212_15 Depth=1
	s_or_b32 exec_lo, exec_lo, s20
.LBB212_513:                            ;   in Loop: Header=BB212_15 Depth=1
	s_or_b32 exec_lo, exec_lo, s19
.LBB212_514:                            ;   in Loop: Header=BB212_15 Depth=1
	s_or_b32 exec_lo, exec_lo, s18
	v_mov_b32_e32 v4, 0
	v_mov_b32_e32 v5, 0
	;; [unrolled: 1-line block ×3, first 2 shown]
	s_mov_b32 s18, exec_lo
	buffer_store_dword v4, off, s[0:3], s32 offset:732 ; 4-byte Folded Spill
	buffer_store_dword v5, off, s[0:3], s32 offset:736 ; 4-byte Folded Spill
	v_mov_b32_e32 v4, 0
	v_and_b32_sdwa v3, v2, v3 dst_sel:DWORD dst_unused:UNUSED_PAD src0_sel:WORD_1 src1_sel:DWORD
	v_mov_b32_e32 v5, 0
	buffer_store_dword v4, off, s[0:3], s32 offset:740 ; 4-byte Folded Spill
	buffer_store_dword v5, off, s[0:3], s32 offset:744 ; 4-byte Folded Spill
	v_cmpx_ne_u16_e32 0, v3
	s_cbranch_execz .LBB212_522
; %bb.515:                              ;   in Loop: Header=BB212_15 Depth=1
	v_cmp_ne_u16_e64 s5, 0x80, v3
	v_bfrev_b32_e32 v3, 1
	v_mov_b32_e32 v4, 0
	buffer_store_dword v3, off, s[0:3], s32 offset:740 ; 4-byte Folded Spill
	buffer_store_dword v4, off, s[0:3], s32 offset:744 ; 4-byte Folded Spill
	s_and_saveexec_b32 s19, s5
	s_cbranch_execz .LBB212_521
; %bb.516:                              ;   in Loop: Header=BB212_15 Depth=1
	v_mov_b32_e32 v5, 0x7f800001
	v_bfe_u32 v4, v2, 16, 7
	v_mov_b32_e32 v6, 0
	s_mov_b32 s20, exec_lo
	buffer_store_dword v5, off, s[0:3], s32 offset:740 ; 4-byte Folded Spill
	buffer_store_dword v6, off, s[0:3], s32 offset:744 ; 4-byte Folded Spill
	v_cmpx_ne_u32_e32 0x7f, v4
	s_cbranch_execz .LBB212_520
; %bb.517:                              ;   in Loop: Header=BB212_15 Depth=1
	v_mov_b32_e32 v3, 7
	s_mov_b32 s21, exec_lo
	v_and_b32_sdwa v28, v2, v3 dst_sel:DWORD dst_unused:UNUSED_PAD src0_sel:WORD_1 src1_sel:DWORD
	v_lshrrev_b32_e32 v3, 3, v4
	v_cmpx_gt_u32_e32 8, v4
; %bb.518:                              ;   in Loop: Header=BB212_15 Depth=1
	v_ffbh_u32_e32 v3, v28
	v_min_u32_e32 v3, 32, v3
	v_subrev_nc_u32_e32 v4, 28, v3
	v_sub_nc_u32_e32 v3, 29, v3
	v_lshlrev_b64 v[4:5], v4, v[28:29]
	v_and_b32_e32 v28, 7, v4
; %bb.519:                              ;   in Loop: Header=BB212_15 Depth=1
	s_or_b32 exec_lo, exec_lo, s21
	v_mov_b32_e32 v4, 24
	v_lshlrev_b32_e32 v5, 20, v28
	v_lshl_add_u32 v3, v3, 23, 0x3c000000
	v_lshlrev_b32_sdwa v4, v4, v2 dst_sel:DWORD dst_unused:UNUSED_PAD src0_sel:DWORD src1_sel:WORD_1
	v_and_b32_e32 v4, 0x80000000, v4
	v_or3_b32 v28, v5, v4, v3
	buffer_store_dword v28, off, s[0:3], s32 offset:740 ; 4-byte Folded Spill
	buffer_store_dword v29, off, s[0:3], s32 offset:744 ; 4-byte Folded Spill
.LBB212_520:                            ;   in Loop: Header=BB212_15 Depth=1
	s_or_b32 exec_lo, exec_lo, s20
.LBB212_521:                            ;   in Loop: Header=BB212_15 Depth=1
	s_or_b32 exec_lo, exec_lo, s19
.LBB212_522:                            ;   in Loop: Header=BB212_15 Depth=1
	s_or_b32 exec_lo, exec_lo, s18
	s_mov_b32 s18, exec_lo
	v_cmpx_lt_u32_e32 0xffffff, v2
	s_cbranch_execz .LBB212_530
; %bb.523:                              ;   in Loop: Header=BB212_15 Depth=1
	v_mov_b32_e32 v3, 0x80
	v_mov_b32_e32 v32, v29
	buffer_store_dword v32, off, s[0:3], s32 offset:732 ; 4-byte Folded Spill
	buffer_store_dword v33, off, s[0:3], s32 offset:736 ; 4-byte Folded Spill
	v_cmp_ne_u32_sdwa s5, v2, v3 src0_sel:BYTE_3 src1_sel:DWORD
	s_and_saveexec_b32 s19, s5
	s_cbranch_execz .LBB212_529
; %bb.524:                              ;   in Loop: Header=BB212_15 Depth=1
	s_clause 0x1
	buffer_load_dword v5, off, s[0:3], s32 offset:192
	buffer_load_dword v6, off, s[0:3], s32 offset:196
	v_bfe_u32 v4, v2, 24, 7
	s_waitcnt vmcnt(1)
	v_mov_b32_e32 v5, v29
	s_mov_b32 s20, exec_lo
	s_waitcnt vmcnt(0)
	v_mov_b32_e32 v3, v6
	buffer_store_dword v2, off, s[0:3], s32 offset:192 ; 4-byte Folded Spill
	buffer_store_dword v3, off, s[0:3], s32 offset:196 ; 4-byte Folded Spill
	;; [unrolled: 1-line block ×4, first 2 shown]
	v_cmpx_ne_u32_e32 0x7f, v4
	s_cbranch_execz .LBB212_528
; %bb.525:                              ;   in Loop: Header=BB212_15 Depth=1
	v_mov_b32_e32 v3, 7
	s_mov_b32 s21, exec_lo
	v_and_b32_sdwa v28, v2, v3 dst_sel:DWORD dst_unused:UNUSED_PAD src0_sel:BYTE_3 src1_sel:DWORD
	v_lshrrev_b32_e32 v3, 3, v4
	v_cmpx_gt_u32_e32 8, v4
; %bb.526:                              ;   in Loop: Header=BB212_15 Depth=1
	v_ffbh_u32_e32 v3, v28
	v_min_u32_e32 v3, 32, v3
	v_subrev_nc_u32_e32 v4, 28, v3
	v_sub_nc_u32_e32 v3, 29, v3
	v_lshlrev_b64 v[4:5], v4, v[28:29]
	v_and_b32_e32 v28, 7, v4
; %bb.527:                              ;   in Loop: Header=BB212_15 Depth=1
	s_or_b32 exec_lo, exec_lo, s21
	v_mov_b32_e32 v4, 24
	v_lshl_add_u32 v3, v3, 23, 0x3c000000
	v_lshlrev_b32_sdwa v2, v4, v2 dst_sel:DWORD dst_unused:UNUSED_PAD src0_sel:DWORD src1_sel:BYTE_3
	v_lshlrev_b32_e32 v4, 20, v28
	v_and_b32_e32 v2, 0x80000000, v2
	v_or3_b32 v3, v4, v2, v3
	v_mov_b32_e32 v2, v29
	buffer_store_dword v2, off, s[0:3], s32 offset:732 ; 4-byte Folded Spill
	buffer_store_dword v3, off, s[0:3], s32 offset:736 ; 4-byte Folded Spill
.LBB212_528:                            ;   in Loop: Header=BB212_15 Depth=1
	s_or_b32 exec_lo, exec_lo, s20
.LBB212_529:                            ;   in Loop: Header=BB212_15 Depth=1
	s_or_b32 exec_lo, exec_lo, s19
.LBB212_530:                            ;   in Loop: Header=BB212_15 Depth=1
	s_or_b32 exec_lo, exec_lo, s18
	v_add_co_u32 v52, s5, 0x800, v0
	v_add_co_ci_u32_e64 v53, null, 0, v1, s5
	v_mov_b32_e32 v1, 0
	v_mov_b32_e32 v2, 0
	flat_load_dword v0, v[52:53]
	buffer_store_dword v1, off, s[0:3], s32 offset:756 ; 4-byte Folded Spill
	buffer_store_dword v2, off, s[0:3], s32 offset:760 ; 4-byte Folded Spill
	v_mov_b32_e32 v1, 0
	v_mov_b32_e32 v2, 0
	buffer_store_dword v1, off, s[0:3], s32 offset:748 ; 4-byte Folded Spill
	buffer_store_dword v2, off, s[0:3], s32 offset:752 ; 4-byte Folded Spill
	s_waitcnt vmcnt(0) lgkmcnt(0)
	v_cmp_ne_u16_sdwa s5, v0, v29 src0_sel:BYTE_0 src1_sel:DWORD
	s_and_saveexec_b32 s18, s5
	s_cbranch_execz .LBB212_538
; %bb.531:                              ;   in Loop: Header=BB212_15 Depth=1
	v_bfrev_b32_e32 v1, 1
	v_mov_b32_e32 v2, 0
	buffer_store_dword v1, off, s[0:3], s32 offset:748 ; 4-byte Folded Spill
	buffer_store_dword v2, off, s[0:3], s32 offset:752 ; 4-byte Folded Spill
	v_mov_b32_e32 v1, 0x80
	v_cmp_ne_u16_sdwa s5, v0, v1 src0_sel:BYTE_0 src1_sel:DWORD
	s_and_saveexec_b32 s19, s5
	s_cbranch_execz .LBB212_537
; %bb.532:                              ;   in Loop: Header=BB212_15 Depth=1
	v_mov_b32_e32 v3, 0x7f800001
	v_and_b32_e32 v2, 0x7f, v0
	v_mov_b32_e32 v4, 0
	s_mov_b32 s20, exec_lo
	buffer_store_dword v3, off, s[0:3], s32 offset:748 ; 4-byte Folded Spill
	buffer_store_dword v4, off, s[0:3], s32 offset:752 ; 4-byte Folded Spill
	v_cmpx_ne_u32_e32 0x7f, v2
	s_cbranch_execz .LBB212_536
; %bb.533:                              ;   in Loop: Header=BB212_15 Depth=1
	v_and_b32_e32 v28, 7, v0
	v_lshrrev_b32_e32 v1, 3, v2
	s_mov_b32 s21, exec_lo
	v_cmpx_gt_u32_e32 8, v2
; %bb.534:                              ;   in Loop: Header=BB212_15 Depth=1
	v_ffbh_u32_e32 v1, v28
	v_min_u32_e32 v1, 32, v1
	v_subrev_nc_u32_e32 v2, 28, v1
	v_sub_nc_u32_e32 v1, 29, v1
	v_lshlrev_b64 v[2:3], v2, v[28:29]
	v_and_b32_e32 v28, 7, v2
; %bb.535:                              ;   in Loop: Header=BB212_15 Depth=1
	s_or_b32 exec_lo, exec_lo, s21
	v_lshlrev_b32_e32 v2, 24, v0
	v_lshlrev_b32_e32 v3, 20, v28
	v_lshl_add_u32 v1, v1, 23, 0x3c000000
	v_and_b32_e32 v2, 0x80000000, v2
	v_or3_b32 v28, v3, v2, v1
	buffer_store_dword v28, off, s[0:3], s32 offset:748 ; 4-byte Folded Spill
	buffer_store_dword v29, off, s[0:3], s32 offset:752 ; 4-byte Folded Spill
.LBB212_536:                            ;   in Loop: Header=BB212_15 Depth=1
	s_or_b32 exec_lo, exec_lo, s20
.LBB212_537:                            ;   in Loop: Header=BB212_15 Depth=1
	s_or_b32 exec_lo, exec_lo, s19
.LBB212_538:                            ;   in Loop: Header=BB212_15 Depth=1
	s_or_b32 exec_lo, exec_lo, s18
	v_cmp_ne_u16_sdwa s5, v0, v29 src0_sel:BYTE_1 src1_sel:DWORD
	s_and_saveexec_b32 s18, s5
	s_cbranch_execz .LBB212_546
; %bb.539:                              ;   in Loop: Header=BB212_15 Depth=1
	v_mov_b32_e32 v1, 0x80
	v_mov_b32_e32 v32, v29
	buffer_store_dword v32, off, s[0:3], s32 offset:756 ; 4-byte Folded Spill
	buffer_store_dword v33, off, s[0:3], s32 offset:760 ; 4-byte Folded Spill
	v_cmp_ne_u16_sdwa s5, v0, v1 src0_sel:BYTE_1 src1_sel:DWORD
	s_and_saveexec_b32 s19, s5
	s_cbranch_execz .LBB212_545
; %bb.540:                              ;   in Loop: Header=BB212_15 Depth=1
	s_clause 0x1
	buffer_load_dword v3, off, s[0:3], s32 offset:192
	buffer_load_dword v4, off, s[0:3], s32 offset:196
	v_mov_b32_e32 v1, 0xffff
	s_mov_b32 s20, exec_lo
	v_and_b32_sdwa v1, v1, v0 dst_sel:DWORD dst_unused:UNUSED_PAD src0_sel:DWORD src1_sel:BYTE_1
	v_and_b32_e32 v2, 0x7f, v1
	s_waitcnt vmcnt(0)
	v_mov_b32_e32 v5, v4
	v_mov_b32_e32 v4, v29
	;; [unrolled: 1-line block ×3, first 2 shown]
	buffer_store_dword v2, off, s[0:3], s32 offset:192 ; 4-byte Folded Spill
	buffer_store_dword v3, off, s[0:3], s32 offset:196 ; 4-byte Folded Spill
	;; [unrolled: 1-line block ×4, first 2 shown]
	v_cmpx_ne_u32_e32 0x7f, v2
	s_cbranch_execz .LBB212_544
; %bb.541:                              ;   in Loop: Header=BB212_15 Depth=1
	v_and_b32_e32 v28, 7, v1
	v_lshrrev_b32_e32 v1, 3, v2
	s_mov_b32 s21, exec_lo
	v_cmpx_gt_u32_e32 8, v2
; %bb.542:                              ;   in Loop: Header=BB212_15 Depth=1
	v_ffbh_u32_e32 v1, v28
	v_min_u32_e32 v1, 32, v1
	v_subrev_nc_u32_e32 v2, 28, v1
	v_sub_nc_u32_e32 v1, 29, v1
	v_lshlrev_b64 v[2:3], v2, v[28:29]
	v_and_b32_e32 v28, 7, v2
; %bb.543:                              ;   in Loop: Header=BB212_15 Depth=1
	s_or_b32 exec_lo, exec_lo, s21
	v_lshlrev_b32_e32 v2, 16, v0
	v_lshlrev_b32_e32 v3, 20, v28
	v_lshl_add_u32 v1, v1, 23, 0x3c000000
	v_and_b32_e32 v2, 0x80000000, v2
	v_or3_b32 v2, v3, v2, v1
	v_mov_b32_e32 v1, v29
	buffer_store_dword v1, off, s[0:3], s32 offset:756 ; 4-byte Folded Spill
	buffer_store_dword v2, off, s[0:3], s32 offset:760 ; 4-byte Folded Spill
.LBB212_544:                            ;   in Loop: Header=BB212_15 Depth=1
	s_or_b32 exec_lo, exec_lo, s20
.LBB212_545:                            ;   in Loop: Header=BB212_15 Depth=1
	s_or_b32 exec_lo, exec_lo, s19
.LBB212_546:                            ;   in Loop: Header=BB212_15 Depth=1
	s_or_b32 exec_lo, exec_lo, s18
	v_mov_b32_e32 v2, 0
	v_mov_b32_e32 v3, 0
	;; [unrolled: 1-line block ×3, first 2 shown]
	s_mov_b32 s18, exec_lo
	buffer_store_dword v2, off, s[0:3], s32 offset:764 ; 4-byte Folded Spill
	buffer_store_dword v3, off, s[0:3], s32 offset:768 ; 4-byte Folded Spill
	v_mov_b32_e32 v2, 0
	v_and_b32_sdwa v1, v0, v1 dst_sel:DWORD dst_unused:UNUSED_PAD src0_sel:WORD_1 src1_sel:DWORD
	v_mov_b32_e32 v3, 0
	buffer_store_dword v2, off, s[0:3], s32 offset:772 ; 4-byte Folded Spill
	buffer_store_dword v3, off, s[0:3], s32 offset:776 ; 4-byte Folded Spill
	v_cmpx_ne_u16_e32 0, v1
	s_cbranch_execz .LBB212_554
; %bb.547:                              ;   in Loop: Header=BB212_15 Depth=1
	v_cmp_ne_u16_e64 s5, 0x80, v1
	v_bfrev_b32_e32 v1, 1
	v_mov_b32_e32 v2, 0
	buffer_store_dword v1, off, s[0:3], s32 offset:772 ; 4-byte Folded Spill
	buffer_store_dword v2, off, s[0:3], s32 offset:776 ; 4-byte Folded Spill
	s_and_saveexec_b32 s19, s5
	s_cbranch_execz .LBB212_553
; %bb.548:                              ;   in Loop: Header=BB212_15 Depth=1
	v_mov_b32_e32 v3, 0x7f800001
	v_bfe_u32 v2, v0, 16, 7
	v_mov_b32_e32 v4, 0
	s_mov_b32 s20, exec_lo
	buffer_store_dword v3, off, s[0:3], s32 offset:772 ; 4-byte Folded Spill
	buffer_store_dword v4, off, s[0:3], s32 offset:776 ; 4-byte Folded Spill
	v_cmpx_ne_u32_e32 0x7f, v2
	s_cbranch_execz .LBB212_552
; %bb.549:                              ;   in Loop: Header=BB212_15 Depth=1
	v_mov_b32_e32 v1, 7
	s_mov_b32 s21, exec_lo
	v_and_b32_sdwa v28, v0, v1 dst_sel:DWORD dst_unused:UNUSED_PAD src0_sel:WORD_1 src1_sel:DWORD
	v_lshrrev_b32_e32 v1, 3, v2
	v_cmpx_gt_u32_e32 8, v2
; %bb.550:                              ;   in Loop: Header=BB212_15 Depth=1
	v_ffbh_u32_e32 v1, v28
	v_min_u32_e32 v1, 32, v1
	v_subrev_nc_u32_e32 v2, 28, v1
	v_sub_nc_u32_e32 v1, 29, v1
	v_lshlrev_b64 v[2:3], v2, v[28:29]
	v_and_b32_e32 v28, 7, v2
; %bb.551:                              ;   in Loop: Header=BB212_15 Depth=1
	s_or_b32 exec_lo, exec_lo, s21
	v_mov_b32_e32 v2, 24
	v_lshlrev_b32_e32 v3, 20, v28
	v_lshl_add_u32 v1, v1, 23, 0x3c000000
	v_lshlrev_b32_sdwa v2, v2, v0 dst_sel:DWORD dst_unused:UNUSED_PAD src0_sel:DWORD src1_sel:WORD_1
	v_and_b32_e32 v2, 0x80000000, v2
	v_or3_b32 v28, v3, v2, v1
	buffer_store_dword v28, off, s[0:3], s32 offset:772 ; 4-byte Folded Spill
	buffer_store_dword v29, off, s[0:3], s32 offset:776 ; 4-byte Folded Spill
.LBB212_552:                            ;   in Loop: Header=BB212_15 Depth=1
	s_or_b32 exec_lo, exec_lo, s20
.LBB212_553:                            ;   in Loop: Header=BB212_15 Depth=1
	s_or_b32 exec_lo, exec_lo, s19
.LBB212_554:                            ;   in Loop: Header=BB212_15 Depth=1
	s_or_b32 exec_lo, exec_lo, s18
	s_mov_b32 s18, exec_lo
	v_cmpx_lt_u32_e32 0xffffff, v0
	s_cbranch_execz .LBB212_562
; %bb.555:                              ;   in Loop: Header=BB212_15 Depth=1
	v_mov_b32_e32 v1, 0x80
	v_mov_b32_e32 v32, v29
	buffer_store_dword v32, off, s[0:3], s32 offset:764 ; 4-byte Folded Spill
	buffer_store_dword v33, off, s[0:3], s32 offset:768 ; 4-byte Folded Spill
	v_cmp_ne_u32_sdwa s5, v0, v1 src0_sel:BYTE_3 src1_sel:DWORD
	s_and_saveexec_b32 s19, s5
	s_cbranch_execz .LBB212_561
; %bb.556:                              ;   in Loop: Header=BB212_15 Depth=1
	s_clause 0x1
	buffer_load_dword v3, off, s[0:3], s32 offset:192
	buffer_load_dword v4, off, s[0:3], s32 offset:196
	v_bfe_u32 v2, v0, 24, 7
	s_waitcnt vmcnt(1)
	v_mov_b32_e32 v3, v29
	s_mov_b32 s20, exec_lo
	s_waitcnt vmcnt(0)
	v_mov_b32_e32 v1, v4
	buffer_store_dword v0, off, s[0:3], s32 offset:192 ; 4-byte Folded Spill
	buffer_store_dword v1, off, s[0:3], s32 offset:196 ; 4-byte Folded Spill
	;; [unrolled: 1-line block ×4, first 2 shown]
	v_cmpx_ne_u32_e32 0x7f, v2
	s_cbranch_execz .LBB212_560
; %bb.557:                              ;   in Loop: Header=BB212_15 Depth=1
	v_mov_b32_e32 v1, 7
	s_mov_b32 s21, exec_lo
	v_and_b32_sdwa v28, v0, v1 dst_sel:DWORD dst_unused:UNUSED_PAD src0_sel:BYTE_3 src1_sel:DWORD
	v_lshrrev_b32_e32 v1, 3, v2
	v_cmpx_gt_u32_e32 8, v2
; %bb.558:                              ;   in Loop: Header=BB212_15 Depth=1
	v_ffbh_u32_e32 v1, v28
	v_min_u32_e32 v1, 32, v1
	v_subrev_nc_u32_e32 v2, 28, v1
	v_sub_nc_u32_e32 v1, 29, v1
	v_lshlrev_b64 v[2:3], v2, v[28:29]
	v_and_b32_e32 v28, 7, v2
; %bb.559:                              ;   in Loop: Header=BB212_15 Depth=1
	s_or_b32 exec_lo, exec_lo, s21
	v_mov_b32_e32 v2, 24
	v_lshl_add_u32 v1, v1, 23, 0x3c000000
	v_lshlrev_b32_sdwa v0, v2, v0 dst_sel:DWORD dst_unused:UNUSED_PAD src0_sel:DWORD src1_sel:BYTE_3
	v_lshlrev_b32_e32 v2, 20, v28
	v_and_b32_e32 v0, 0x80000000, v0
	v_or3_b32 v1, v2, v0, v1
	v_mov_b32_e32 v0, v29
	buffer_store_dword v0, off, s[0:3], s32 offset:764 ; 4-byte Folded Spill
	buffer_store_dword v1, off, s[0:3], s32 offset:768 ; 4-byte Folded Spill
.LBB212_560:                            ;   in Loop: Header=BB212_15 Depth=1
	s_or_b32 exec_lo, exec_lo, s20
.LBB212_561:                            ;   in Loop: Header=BB212_15 Depth=1
	s_or_b32 exec_lo, exec_lo, s19
.LBB212_562:                            ;   in Loop: Header=BB212_15 Depth=1
	s_or_b32 exec_lo, exec_lo, s18
	flat_load_dword v0, v[52:53] offset:4
	v_mov_b32_e32 v1, 0
	v_mov_b32_e32 v2, 0
	buffer_store_dword v1, off, s[0:3], s32 offset:788 ; 4-byte Folded Spill
	buffer_store_dword v2, off, s[0:3], s32 offset:792 ; 4-byte Folded Spill
	v_mov_b32_e32 v1, 0
	v_mov_b32_e32 v2, 0
	buffer_store_dword v1, off, s[0:3], s32 offset:780 ; 4-byte Folded Spill
	buffer_store_dword v2, off, s[0:3], s32 offset:784 ; 4-byte Folded Spill
	s_waitcnt vmcnt(0) lgkmcnt(0)
	v_cmp_ne_u16_sdwa s5, v0, v29 src0_sel:BYTE_0 src1_sel:DWORD
	s_and_saveexec_b32 s18, s5
	s_cbranch_execz .LBB212_570
; %bb.563:                              ;   in Loop: Header=BB212_15 Depth=1
	v_bfrev_b32_e32 v1, 1
	v_mov_b32_e32 v2, 0
	buffer_store_dword v1, off, s[0:3], s32 offset:780 ; 4-byte Folded Spill
	buffer_store_dword v2, off, s[0:3], s32 offset:784 ; 4-byte Folded Spill
	v_mov_b32_e32 v1, 0x80
	v_cmp_ne_u16_sdwa s5, v0, v1 src0_sel:BYTE_0 src1_sel:DWORD
	s_and_saveexec_b32 s19, s5
	s_cbranch_execz .LBB212_569
; %bb.564:                              ;   in Loop: Header=BB212_15 Depth=1
	v_mov_b32_e32 v3, 0x7f800001
	v_and_b32_e32 v2, 0x7f, v0
	v_mov_b32_e32 v4, 0
	s_mov_b32 s20, exec_lo
	buffer_store_dword v3, off, s[0:3], s32 offset:780 ; 4-byte Folded Spill
	buffer_store_dword v4, off, s[0:3], s32 offset:784 ; 4-byte Folded Spill
	v_cmpx_ne_u32_e32 0x7f, v2
	s_cbranch_execz .LBB212_568
; %bb.565:                              ;   in Loop: Header=BB212_15 Depth=1
	v_and_b32_e32 v28, 7, v0
	v_lshrrev_b32_e32 v1, 3, v2
	s_mov_b32 s21, exec_lo
	v_cmpx_gt_u32_e32 8, v2
; %bb.566:                              ;   in Loop: Header=BB212_15 Depth=1
	v_ffbh_u32_e32 v1, v28
	v_min_u32_e32 v1, 32, v1
	v_subrev_nc_u32_e32 v2, 28, v1
	v_sub_nc_u32_e32 v1, 29, v1
	v_lshlrev_b64 v[2:3], v2, v[28:29]
	v_and_b32_e32 v28, 7, v2
; %bb.567:                              ;   in Loop: Header=BB212_15 Depth=1
	s_or_b32 exec_lo, exec_lo, s21
	v_lshlrev_b32_e32 v2, 24, v0
	v_lshlrev_b32_e32 v3, 20, v28
	v_lshl_add_u32 v1, v1, 23, 0x3c000000
	v_and_b32_e32 v2, 0x80000000, v2
	v_or3_b32 v28, v3, v2, v1
	buffer_store_dword v28, off, s[0:3], s32 offset:780 ; 4-byte Folded Spill
	buffer_store_dword v29, off, s[0:3], s32 offset:784 ; 4-byte Folded Spill
.LBB212_568:                            ;   in Loop: Header=BB212_15 Depth=1
	s_or_b32 exec_lo, exec_lo, s20
.LBB212_569:                            ;   in Loop: Header=BB212_15 Depth=1
	s_or_b32 exec_lo, exec_lo, s19
.LBB212_570:                            ;   in Loop: Header=BB212_15 Depth=1
	s_or_b32 exec_lo, exec_lo, s18
	v_cmp_ne_u16_sdwa s5, v0, v29 src0_sel:BYTE_1 src1_sel:DWORD
	s_and_saveexec_b32 s18, s5
	s_cbranch_execz .LBB212_578
; %bb.571:                              ;   in Loop: Header=BB212_15 Depth=1
	v_mov_b32_e32 v1, 0x80
	v_mov_b32_e32 v32, v29
	buffer_store_dword v32, off, s[0:3], s32 offset:788 ; 4-byte Folded Spill
	buffer_store_dword v33, off, s[0:3], s32 offset:792 ; 4-byte Folded Spill
	v_cmp_ne_u16_sdwa s5, v0, v1 src0_sel:BYTE_1 src1_sel:DWORD
	s_and_saveexec_b32 s19, s5
	s_cbranch_execz .LBB212_577
; %bb.572:                              ;   in Loop: Header=BB212_15 Depth=1
	s_clause 0x1
	buffer_load_dword v3, off, s[0:3], s32 offset:192
	buffer_load_dword v4, off, s[0:3], s32 offset:196
	v_mov_b32_e32 v1, 0xffff
	s_mov_b32 s20, exec_lo
	v_and_b32_sdwa v1, v1, v0 dst_sel:DWORD dst_unused:UNUSED_PAD src0_sel:DWORD src1_sel:BYTE_1
	v_and_b32_e32 v2, 0x7f, v1
	s_waitcnt vmcnt(0)
	v_mov_b32_e32 v5, v4
	v_mov_b32_e32 v4, v29
	;; [unrolled: 1-line block ×3, first 2 shown]
	buffer_store_dword v2, off, s[0:3], s32 offset:192 ; 4-byte Folded Spill
	buffer_store_dword v3, off, s[0:3], s32 offset:196 ; 4-byte Folded Spill
	;; [unrolled: 1-line block ×4, first 2 shown]
	v_cmpx_ne_u32_e32 0x7f, v2
	s_cbranch_execz .LBB212_576
; %bb.573:                              ;   in Loop: Header=BB212_15 Depth=1
	v_and_b32_e32 v28, 7, v1
	v_lshrrev_b32_e32 v1, 3, v2
	s_mov_b32 s21, exec_lo
	v_cmpx_gt_u32_e32 8, v2
; %bb.574:                              ;   in Loop: Header=BB212_15 Depth=1
	v_ffbh_u32_e32 v1, v28
	v_min_u32_e32 v1, 32, v1
	v_subrev_nc_u32_e32 v2, 28, v1
	v_sub_nc_u32_e32 v1, 29, v1
	v_lshlrev_b64 v[2:3], v2, v[28:29]
	v_and_b32_e32 v28, 7, v2
; %bb.575:                              ;   in Loop: Header=BB212_15 Depth=1
	s_or_b32 exec_lo, exec_lo, s21
	v_lshlrev_b32_e32 v2, 16, v0
	v_lshlrev_b32_e32 v3, 20, v28
	v_lshl_add_u32 v1, v1, 23, 0x3c000000
	v_and_b32_e32 v2, 0x80000000, v2
	v_or3_b32 v2, v3, v2, v1
	v_mov_b32_e32 v1, v29
	buffer_store_dword v1, off, s[0:3], s32 offset:788 ; 4-byte Folded Spill
	buffer_store_dword v2, off, s[0:3], s32 offset:792 ; 4-byte Folded Spill
.LBB212_576:                            ;   in Loop: Header=BB212_15 Depth=1
	s_or_b32 exec_lo, exec_lo, s20
.LBB212_577:                            ;   in Loop: Header=BB212_15 Depth=1
	s_or_b32 exec_lo, exec_lo, s19
.LBB212_578:                            ;   in Loop: Header=BB212_15 Depth=1
	s_or_b32 exec_lo, exec_lo, s18
	v_mov_b32_e32 v2, 0
	v_mov_b32_e32 v3, 0
	;; [unrolled: 1-line block ×3, first 2 shown]
	s_mov_b32 s18, exec_lo
	buffer_store_dword v2, off, s[0:3], s32 offset:796 ; 4-byte Folded Spill
	buffer_store_dword v3, off, s[0:3], s32 offset:800 ; 4-byte Folded Spill
	v_mov_b32_e32 v2, 0
	v_and_b32_sdwa v1, v0, v1 dst_sel:DWORD dst_unused:UNUSED_PAD src0_sel:WORD_1 src1_sel:DWORD
	v_mov_b32_e32 v3, 0
	buffer_store_dword v2, off, s[0:3], s32 offset:804 ; 4-byte Folded Spill
	buffer_store_dword v3, off, s[0:3], s32 offset:808 ; 4-byte Folded Spill
	v_cmpx_ne_u16_e32 0, v1
	s_cbranch_execz .LBB212_586
; %bb.579:                              ;   in Loop: Header=BB212_15 Depth=1
	v_cmp_ne_u16_e64 s5, 0x80, v1
	v_bfrev_b32_e32 v1, 1
	v_mov_b32_e32 v2, 0
	buffer_store_dword v1, off, s[0:3], s32 offset:804 ; 4-byte Folded Spill
	buffer_store_dword v2, off, s[0:3], s32 offset:808 ; 4-byte Folded Spill
	s_and_saveexec_b32 s19, s5
	s_cbranch_execz .LBB212_585
; %bb.580:                              ;   in Loop: Header=BB212_15 Depth=1
	v_mov_b32_e32 v3, 0x7f800001
	v_bfe_u32 v2, v0, 16, 7
	v_mov_b32_e32 v4, 0
	s_mov_b32 s20, exec_lo
	buffer_store_dword v3, off, s[0:3], s32 offset:804 ; 4-byte Folded Spill
	buffer_store_dword v4, off, s[0:3], s32 offset:808 ; 4-byte Folded Spill
	v_cmpx_ne_u32_e32 0x7f, v2
	s_cbranch_execz .LBB212_584
; %bb.581:                              ;   in Loop: Header=BB212_15 Depth=1
	v_mov_b32_e32 v1, 7
	s_mov_b32 s21, exec_lo
	v_and_b32_sdwa v28, v0, v1 dst_sel:DWORD dst_unused:UNUSED_PAD src0_sel:WORD_1 src1_sel:DWORD
	v_lshrrev_b32_e32 v1, 3, v2
	v_cmpx_gt_u32_e32 8, v2
; %bb.582:                              ;   in Loop: Header=BB212_15 Depth=1
	v_ffbh_u32_e32 v1, v28
	v_min_u32_e32 v1, 32, v1
	v_subrev_nc_u32_e32 v2, 28, v1
	v_sub_nc_u32_e32 v1, 29, v1
	v_lshlrev_b64 v[2:3], v2, v[28:29]
	v_and_b32_e32 v28, 7, v2
; %bb.583:                              ;   in Loop: Header=BB212_15 Depth=1
	s_or_b32 exec_lo, exec_lo, s21
	v_mov_b32_e32 v2, 24
	v_lshlrev_b32_e32 v3, 20, v28
	v_lshl_add_u32 v1, v1, 23, 0x3c000000
	v_lshlrev_b32_sdwa v2, v2, v0 dst_sel:DWORD dst_unused:UNUSED_PAD src0_sel:DWORD src1_sel:WORD_1
	v_and_b32_e32 v2, 0x80000000, v2
	v_or3_b32 v28, v3, v2, v1
	buffer_store_dword v28, off, s[0:3], s32 offset:804 ; 4-byte Folded Spill
	buffer_store_dword v29, off, s[0:3], s32 offset:808 ; 4-byte Folded Spill
.LBB212_584:                            ;   in Loop: Header=BB212_15 Depth=1
	s_or_b32 exec_lo, exec_lo, s20
.LBB212_585:                            ;   in Loop: Header=BB212_15 Depth=1
	s_or_b32 exec_lo, exec_lo, s19
.LBB212_586:                            ;   in Loop: Header=BB212_15 Depth=1
	s_or_b32 exec_lo, exec_lo, s18
	s_mov_b32 s18, exec_lo
	v_cmpx_lt_u32_e32 0xffffff, v0
	s_cbranch_execz .LBB212_594
; %bb.587:                              ;   in Loop: Header=BB212_15 Depth=1
	v_mov_b32_e32 v1, 0x80
	v_mov_b32_e32 v32, v29
	buffer_store_dword v32, off, s[0:3], s32 offset:796 ; 4-byte Folded Spill
	buffer_store_dword v33, off, s[0:3], s32 offset:800 ; 4-byte Folded Spill
	v_cmp_ne_u32_sdwa s5, v0, v1 src0_sel:BYTE_3 src1_sel:DWORD
	s_and_saveexec_b32 s19, s5
	s_cbranch_execz .LBB212_593
; %bb.588:                              ;   in Loop: Header=BB212_15 Depth=1
	s_clause 0x1
	buffer_load_dword v3, off, s[0:3], s32 offset:192
	buffer_load_dword v4, off, s[0:3], s32 offset:196
	v_bfe_u32 v2, v0, 24, 7
	s_waitcnt vmcnt(1)
	v_mov_b32_e32 v3, v29
	s_mov_b32 s20, exec_lo
	s_waitcnt vmcnt(0)
	v_mov_b32_e32 v1, v4
	buffer_store_dword v0, off, s[0:3], s32 offset:192 ; 4-byte Folded Spill
	buffer_store_dword v1, off, s[0:3], s32 offset:196 ; 4-byte Folded Spill
	;; [unrolled: 1-line block ×4, first 2 shown]
	v_cmpx_ne_u32_e32 0x7f, v2
	s_cbranch_execz .LBB212_592
; %bb.589:                              ;   in Loop: Header=BB212_15 Depth=1
	v_mov_b32_e32 v1, 7
	s_mov_b32 s21, exec_lo
	v_and_b32_sdwa v28, v0, v1 dst_sel:DWORD dst_unused:UNUSED_PAD src0_sel:BYTE_3 src1_sel:DWORD
	v_lshrrev_b32_e32 v1, 3, v2
	v_cmpx_gt_u32_e32 8, v2
; %bb.590:                              ;   in Loop: Header=BB212_15 Depth=1
	v_ffbh_u32_e32 v1, v28
	v_min_u32_e32 v1, 32, v1
	v_subrev_nc_u32_e32 v2, 28, v1
	v_sub_nc_u32_e32 v1, 29, v1
	v_lshlrev_b64 v[2:3], v2, v[28:29]
	v_and_b32_e32 v28, 7, v2
; %bb.591:                              ;   in Loop: Header=BB212_15 Depth=1
	s_or_b32 exec_lo, exec_lo, s21
	v_mov_b32_e32 v2, 24
	v_lshl_add_u32 v1, v1, 23, 0x3c000000
	v_lshlrev_b32_sdwa v0, v2, v0 dst_sel:DWORD dst_unused:UNUSED_PAD src0_sel:DWORD src1_sel:BYTE_3
	v_lshlrev_b32_e32 v2, 20, v28
	v_and_b32_e32 v0, 0x80000000, v0
	v_or3_b32 v1, v2, v0, v1
	v_mov_b32_e32 v0, v29
	buffer_store_dword v0, off, s[0:3], s32 offset:796 ; 4-byte Folded Spill
	buffer_store_dword v1, off, s[0:3], s32 offset:800 ; 4-byte Folded Spill
.LBB212_592:                            ;   in Loop: Header=BB212_15 Depth=1
	s_or_b32 exec_lo, exec_lo, s20
.LBB212_593:                            ;   in Loop: Header=BB212_15 Depth=1
	s_or_b32 exec_lo, exec_lo, s19
.LBB212_594:                            ;   in Loop: Header=BB212_15 Depth=1
	s_or_b32 exec_lo, exec_lo, s18
	flat_load_dword v0, v[52:53] offset:8
	v_mov_b32_e32 v68, 0
	v_mov_b32_e32 v1, 0
	;; [unrolled: 1-line block ×4, first 2 shown]
	buffer_store_dword v1, off, s[0:3], s32 offset:812 ; 4-byte Folded Spill
	buffer_store_dword v2, off, s[0:3], s32 offset:816 ; 4-byte Folded Spill
	s_waitcnt vmcnt(0) lgkmcnt(0)
	v_cmp_ne_u16_sdwa s5, v0, v29 src0_sel:BYTE_0 src1_sel:DWORD
	s_and_saveexec_b32 s18, s5
	s_cbranch_execz .LBB212_602
; %bb.595:                              ;   in Loop: Header=BB212_15 Depth=1
	v_bfrev_b32_e32 v1, 1
	v_mov_b32_e32 v2, 0
	buffer_store_dword v1, off, s[0:3], s32 offset:812 ; 4-byte Folded Spill
	buffer_store_dword v2, off, s[0:3], s32 offset:816 ; 4-byte Folded Spill
	v_mov_b32_e32 v1, 0x80
	v_cmp_ne_u16_sdwa s5, v0, v1 src0_sel:BYTE_0 src1_sel:DWORD
	s_and_saveexec_b32 s19, s5
	s_cbranch_execz .LBB212_601
; %bb.596:                              ;   in Loop: Header=BB212_15 Depth=1
	v_mov_b32_e32 v3, 0x7f800001
	v_and_b32_e32 v2, 0x7f, v0
	v_mov_b32_e32 v4, 0
	s_mov_b32 s20, exec_lo
	buffer_store_dword v3, off, s[0:3], s32 offset:812 ; 4-byte Folded Spill
	buffer_store_dword v4, off, s[0:3], s32 offset:816 ; 4-byte Folded Spill
	v_cmpx_ne_u32_e32 0x7f, v2
	s_cbranch_execz .LBB212_600
; %bb.597:                              ;   in Loop: Header=BB212_15 Depth=1
	v_and_b32_e32 v28, 7, v0
	v_lshrrev_b32_e32 v1, 3, v2
	s_mov_b32 s21, exec_lo
	v_cmpx_gt_u32_e32 8, v2
; %bb.598:                              ;   in Loop: Header=BB212_15 Depth=1
	v_ffbh_u32_e32 v1, v28
	v_min_u32_e32 v1, 32, v1
	v_subrev_nc_u32_e32 v2, 28, v1
	v_sub_nc_u32_e32 v1, 29, v1
	v_lshlrev_b64 v[2:3], v2, v[28:29]
	v_and_b32_e32 v28, 7, v2
; %bb.599:                              ;   in Loop: Header=BB212_15 Depth=1
	s_or_b32 exec_lo, exec_lo, s21
	v_lshlrev_b32_e32 v2, 24, v0
	v_lshlrev_b32_e32 v3, 20, v28
	v_lshl_add_u32 v1, v1, 23, 0x3c000000
	v_and_b32_e32 v2, 0x80000000, v2
	v_or3_b32 v28, v3, v2, v1
	buffer_store_dword v28, off, s[0:3], s32 offset:812 ; 4-byte Folded Spill
	buffer_store_dword v29, off, s[0:3], s32 offset:816 ; 4-byte Folded Spill
.LBB212_600:                            ;   in Loop: Header=BB212_15 Depth=1
	s_or_b32 exec_lo, exec_lo, s20
.LBB212_601:                            ;   in Loop: Header=BB212_15 Depth=1
	s_or_b32 exec_lo, exec_lo, s19
.LBB212_602:                            ;   in Loop: Header=BB212_15 Depth=1
	s_or_b32 exec_lo, exec_lo, s18
	v_cmp_ne_u16_sdwa s5, v0, v29 src0_sel:BYTE_1 src1_sel:DWORD
	s_and_saveexec_b32 s18, s5
	s_cbranch_execz .LBB212_610
; %bb.603:                              ;   in Loop: Header=BB212_15 Depth=1
	v_mov_b32_e32 v32, v29
	v_mov_b32_e32 v1, 0x80
	;; [unrolled: 1-line block ×4, first 2 shown]
	v_cmp_ne_u16_sdwa s5, v0, v1 src0_sel:BYTE_1 src1_sel:DWORD
	s_and_saveexec_b32 s19, s5
	s_cbranch_execz .LBB212_609
; %bb.604:                              ;   in Loop: Header=BB212_15 Depth=1
	s_clause 0x1
	buffer_load_dword v68, off, s[0:3], s32 offset:192
	buffer_load_dword v69, off, s[0:3], s32 offset:196
	v_mov_b32_e32 v1, 0xffff
	s_waitcnt vmcnt(1)
	v_mov_b32_e32 v68, v29
	s_mov_b32 s20, exec_lo
	v_and_b32_sdwa v1, v1, v0 dst_sel:DWORD dst_unused:UNUSED_PAD src0_sel:DWORD src1_sel:BYTE_1
	v_and_b32_e32 v2, 0x7f, v1
	s_waitcnt vmcnt(0)
	v_mov_b32_e32 v3, v69
	buffer_store_dword v2, off, s[0:3], s32 offset:192 ; 4-byte Folded Spill
	buffer_store_dword v3, off, s[0:3], s32 offset:196 ; 4-byte Folded Spill
	v_cmpx_ne_u32_e32 0x7f, v2
	s_cbranch_execz .LBB212_608
; %bb.605:                              ;   in Loop: Header=BB212_15 Depth=1
	v_and_b32_e32 v28, 7, v1
	v_lshrrev_b32_e32 v1, 3, v2
	s_mov_b32 s21, exec_lo
	v_cmpx_gt_u32_e32 8, v2
; %bb.606:                              ;   in Loop: Header=BB212_15 Depth=1
	v_ffbh_u32_e32 v1, v28
	v_min_u32_e32 v1, 32, v1
	v_subrev_nc_u32_e32 v2, 28, v1
	v_sub_nc_u32_e32 v1, 29, v1
	v_lshlrev_b64 v[2:3], v2, v[28:29]
	v_and_b32_e32 v28, 7, v2
; %bb.607:                              ;   in Loop: Header=BB212_15 Depth=1
	s_or_b32 exec_lo, exec_lo, s21
	v_lshlrev_b32_e32 v2, 16, v0
	v_lshlrev_b32_e32 v3, 20, v28
	v_lshl_add_u32 v1, v1, 23, 0x3c000000
	v_mov_b32_e32 v68, v29
	v_and_b32_e32 v2, 0x80000000, v2
	v_or3_b32 v69, v3, v2, v1
.LBB212_608:                            ;   in Loop: Header=BB212_15 Depth=1
	s_or_b32 exec_lo, exec_lo, s20
.LBB212_609:                            ;   in Loop: Header=BB212_15 Depth=1
	s_or_b32 exec_lo, exec_lo, s19
.LBB212_610:                            ;   in Loop: Header=BB212_15 Depth=1
	s_or_b32 exec_lo, exec_lo, s18
	v_mov_b32_e32 v1, 0xff
	v_mov_b32_e32 v102, 0
	v_mov_b32_e32 v82, 0
	v_mov_b32_e32 v103, 0
	v_mov_b32_e32 v83, 0
	v_and_b32_sdwa v1, v0, v1 dst_sel:DWORD dst_unused:UNUSED_PAD src0_sel:WORD_1 src1_sel:DWORD
	s_mov_b32 s18, exec_lo
	v_cmpx_ne_u16_e32 0, v1
	s_cbranch_execz .LBB212_618
; %bb.611:                              ;   in Loop: Header=BB212_15 Depth=1
	v_bfrev_b32_e32 v82, 1
	v_mov_b32_e32 v83, 0
	s_mov_b32 s19, exec_lo
	v_cmpx_ne_u16_e32 0x80, v1
	s_cbranch_execz .LBB212_617
; %bb.612:                              ;   in Loop: Header=BB212_15 Depth=1
	v_mov_b32_e32 v82, 0x7f800001
	v_bfe_u32 v2, v0, 16, 7
	v_mov_b32_e32 v83, 0
	s_mov_b32 s20, exec_lo
	v_cmpx_ne_u32_e32 0x7f, v2
	s_cbranch_execz .LBB212_616
; %bb.613:                              ;   in Loop: Header=BB212_15 Depth=1
	v_mov_b32_e32 v1, 7
	s_mov_b32 s21, exec_lo
	v_and_b32_sdwa v28, v0, v1 dst_sel:DWORD dst_unused:UNUSED_PAD src0_sel:WORD_1 src1_sel:DWORD
	v_lshrrev_b32_e32 v1, 3, v2
	v_cmpx_gt_u32_e32 8, v2
; %bb.614:                              ;   in Loop: Header=BB212_15 Depth=1
	v_ffbh_u32_e32 v1, v28
	v_min_u32_e32 v1, 32, v1
	v_subrev_nc_u32_e32 v2, 28, v1
	v_sub_nc_u32_e32 v1, 29, v1
	v_lshlrev_b64 v[2:3], v2, v[28:29]
	v_and_b32_e32 v28, 7, v2
; %bb.615:                              ;   in Loop: Header=BB212_15 Depth=1
	s_or_b32 exec_lo, exec_lo, s21
	v_mov_b32_e32 v2, 24
	v_lshlrev_b32_e32 v3, 20, v28
	v_lshl_add_u32 v1, v1, 23, 0x3c000000
	v_lshlrev_b32_sdwa v2, v2, v0 dst_sel:DWORD dst_unused:UNUSED_PAD src0_sel:DWORD src1_sel:WORD_1
	v_and_b32_e32 v2, 0x80000000, v2
	v_or3_b32 v28, v3, v2, v1
	v_mov_b32_e32 v83, v29
	v_mov_b32_e32 v82, v28
.LBB212_616:                            ;   in Loop: Header=BB212_15 Depth=1
	s_or_b32 exec_lo, exec_lo, s20
.LBB212_617:                            ;   in Loop: Header=BB212_15 Depth=1
	s_or_b32 exec_lo, exec_lo, s19
.LBB212_618:                            ;   in Loop: Header=BB212_15 Depth=1
	s_or_b32 exec_lo, exec_lo, s18
	s_mov_b32 s18, exec_lo
	v_cmpx_lt_u32_e32 0xffffff, v0
	s_cbranch_execz .LBB212_626
; %bb.619:                              ;   in Loop: Header=BB212_15 Depth=1
	v_mov_b32_e32 v32, v29
	v_mov_b32_e32 v1, 0x80
	;; [unrolled: 1-line block ×4, first 2 shown]
	v_cmp_ne_u32_sdwa s5, v0, v1 src0_sel:BYTE_3 src1_sel:DWORD
	s_and_saveexec_b32 s19, s5
	s_cbranch_execz .LBB212_625
; %bb.620:                              ;   in Loop: Header=BB212_15 Depth=1
	s_clause 0x1
	buffer_load_dword v102, off, s[0:3], s32 offset:192
	buffer_load_dword v103, off, s[0:3], s32 offset:196
	v_bfe_u32 v2, v0, 24, 7
	s_waitcnt vmcnt(1)
	v_mov_b32_e32 v102, v29
	s_mov_b32 s20, exec_lo
	s_waitcnt vmcnt(0)
	v_mov_b32_e32 v1, v103
	buffer_store_dword v0, off, s[0:3], s32 offset:192 ; 4-byte Folded Spill
	buffer_store_dword v1, off, s[0:3], s32 offset:196 ; 4-byte Folded Spill
	v_cmpx_ne_u32_e32 0x7f, v2
	s_cbranch_execz .LBB212_624
; %bb.621:                              ;   in Loop: Header=BB212_15 Depth=1
	v_mov_b32_e32 v1, 7
	s_mov_b32 s21, exec_lo
	v_and_b32_sdwa v28, v0, v1 dst_sel:DWORD dst_unused:UNUSED_PAD src0_sel:BYTE_3 src1_sel:DWORD
	v_lshrrev_b32_e32 v1, 3, v2
	v_cmpx_gt_u32_e32 8, v2
; %bb.622:                              ;   in Loop: Header=BB212_15 Depth=1
	v_ffbh_u32_e32 v1, v28
	v_min_u32_e32 v1, 32, v1
	v_subrev_nc_u32_e32 v2, 28, v1
	v_sub_nc_u32_e32 v1, 29, v1
	v_lshlrev_b64 v[2:3], v2, v[28:29]
	v_and_b32_e32 v28, 7, v2
; %bb.623:                              ;   in Loop: Header=BB212_15 Depth=1
	s_or_b32 exec_lo, exec_lo, s21
	v_mov_b32_e32 v2, 24
	v_lshl_add_u32 v1, v1, 23, 0x3c000000
	v_mov_b32_e32 v102, v29
	v_lshlrev_b32_sdwa v0, v2, v0 dst_sel:DWORD dst_unused:UNUSED_PAD src0_sel:DWORD src1_sel:BYTE_3
	v_lshlrev_b32_e32 v2, 20, v28
	v_and_b32_e32 v0, 0x80000000, v0
	v_or3_b32 v103, v2, v0, v1
.LBB212_624:                            ;   in Loop: Header=BB212_15 Depth=1
	s_or_b32 exec_lo, exec_lo, s20
.LBB212_625:                            ;   in Loop: Header=BB212_15 Depth=1
	s_or_b32 exec_lo, exec_lo, s19
.LBB212_626:                            ;   in Loop: Header=BB212_15 Depth=1
	s_or_b32 exec_lo, exec_lo, s18
	flat_load_dword v0, v[52:53] offset:12
	v_mov_b32_e32 v84, 0
	v_mov_b32_e32 v112, 0
	;; [unrolled: 1-line block ×4, first 2 shown]
	s_waitcnt vmcnt(0) lgkmcnt(0)
	v_cmp_ne_u16_sdwa s5, v0, v29 src0_sel:BYTE_0 src1_sel:DWORD
	s_and_saveexec_b32 s18, s5
	s_cbranch_execz .LBB212_634
; %bb.627:                              ;   in Loop: Header=BB212_15 Depth=1
	v_mov_b32_e32 v1, 0x80
	v_bfrev_b32_e32 v112, 1
	v_mov_b32_e32 v113, 0
	v_cmp_ne_u16_sdwa s5, v0, v1 src0_sel:BYTE_0 src1_sel:DWORD
	s_and_saveexec_b32 s19, s5
	s_cbranch_execz .LBB212_633
; %bb.628:                              ;   in Loop: Header=BB212_15 Depth=1
	v_mov_b32_e32 v112, 0x7f800001
	v_and_b32_e32 v2, 0x7f, v0
	v_mov_b32_e32 v113, 0
	s_mov_b32 s20, exec_lo
	v_cmpx_ne_u32_e32 0x7f, v2
	s_cbranch_execz .LBB212_632
; %bb.629:                              ;   in Loop: Header=BB212_15 Depth=1
	v_and_b32_e32 v28, 7, v0
	v_lshrrev_b32_e32 v1, 3, v2
	s_mov_b32 s21, exec_lo
	v_cmpx_gt_u32_e32 8, v2
; %bb.630:                              ;   in Loop: Header=BB212_15 Depth=1
	v_ffbh_u32_e32 v1, v28
	v_min_u32_e32 v1, 32, v1
	v_subrev_nc_u32_e32 v2, 28, v1
	v_sub_nc_u32_e32 v1, 29, v1
	v_lshlrev_b64 v[2:3], v2, v[28:29]
	v_and_b32_e32 v28, 7, v2
; %bb.631:                              ;   in Loop: Header=BB212_15 Depth=1
	s_or_b32 exec_lo, exec_lo, s21
	v_lshlrev_b32_e32 v2, 24, v0
	v_lshlrev_b32_e32 v3, 20, v28
	v_lshl_add_u32 v1, v1, 23, 0x3c000000
	v_and_b32_e32 v2, 0x80000000, v2
	v_or3_b32 v28, v3, v2, v1
	v_mov_b32_e32 v113, v29
	v_mov_b32_e32 v112, v28
.LBB212_632:                            ;   in Loop: Header=BB212_15 Depth=1
	s_or_b32 exec_lo, exec_lo, s20
.LBB212_633:                            ;   in Loop: Header=BB212_15 Depth=1
	s_or_b32 exec_lo, exec_lo, s19
.LBB212_634:                            ;   in Loop: Header=BB212_15 Depth=1
	s_or_b32 exec_lo, exec_lo, s18
	v_cmp_ne_u16_sdwa s5, v0, v29 src0_sel:BYTE_1 src1_sel:DWORD
	s_and_saveexec_b32 s18, s5
	s_cbranch_execz .LBB212_642
; %bb.635:                              ;   in Loop: Header=BB212_15 Depth=1
	v_mov_b32_e32 v32, v29
	v_mov_b32_e32 v1, 0x80
	;; [unrolled: 1-line block ×4, first 2 shown]
	v_cmp_ne_u16_sdwa s5, v0, v1 src0_sel:BYTE_1 src1_sel:DWORD
	s_and_saveexec_b32 s19, s5
	s_cbranch_execz .LBB212_641
; %bb.636:                              ;   in Loop: Header=BB212_15 Depth=1
	s_clause 0x1
	buffer_load_dword v84, off, s[0:3], s32 offset:192
	buffer_load_dword v85, off, s[0:3], s32 offset:196
	v_mov_b32_e32 v1, 0xffff
	s_waitcnt vmcnt(1)
	v_mov_b32_e32 v84, v29
	s_mov_b32 s20, exec_lo
	v_and_b32_sdwa v1, v1, v0 dst_sel:DWORD dst_unused:UNUSED_PAD src0_sel:DWORD src1_sel:BYTE_1
	v_and_b32_e32 v2, 0x7f, v1
	s_waitcnt vmcnt(0)
	v_mov_b32_e32 v3, v85
	buffer_store_dword v2, off, s[0:3], s32 offset:192 ; 4-byte Folded Spill
	buffer_store_dword v3, off, s[0:3], s32 offset:196 ; 4-byte Folded Spill
	v_cmpx_ne_u32_e32 0x7f, v2
	s_cbranch_execz .LBB212_640
; %bb.637:                              ;   in Loop: Header=BB212_15 Depth=1
	v_and_b32_e32 v28, 7, v1
	v_lshrrev_b32_e32 v1, 3, v2
	s_mov_b32 s21, exec_lo
	v_cmpx_gt_u32_e32 8, v2
; %bb.638:                              ;   in Loop: Header=BB212_15 Depth=1
	v_ffbh_u32_e32 v1, v28
	v_min_u32_e32 v1, 32, v1
	v_subrev_nc_u32_e32 v2, 28, v1
	v_sub_nc_u32_e32 v1, 29, v1
	v_lshlrev_b64 v[2:3], v2, v[28:29]
	v_and_b32_e32 v28, 7, v2
; %bb.639:                              ;   in Loop: Header=BB212_15 Depth=1
	s_or_b32 exec_lo, exec_lo, s21
	v_lshlrev_b32_e32 v2, 16, v0
	v_lshlrev_b32_e32 v3, 20, v28
	v_lshl_add_u32 v1, v1, 23, 0x3c000000
	v_mov_b32_e32 v84, v29
	v_and_b32_e32 v2, 0x80000000, v2
	v_or3_b32 v85, v3, v2, v1
.LBB212_640:                            ;   in Loop: Header=BB212_15 Depth=1
	s_or_b32 exec_lo, exec_lo, s20
.LBB212_641:                            ;   in Loop: Header=BB212_15 Depth=1
	s_or_b32 exec_lo, exec_lo, s19
.LBB212_642:                            ;   in Loop: Header=BB212_15 Depth=1
	s_or_b32 exec_lo, exec_lo, s18
	v_mov_b32_e32 v1, 0xff
	v_mov_b32_e32 v118, 0
	;; [unrolled: 1-line block ×5, first 2 shown]
	v_and_b32_sdwa v1, v0, v1 dst_sel:DWORD dst_unused:UNUSED_PAD src0_sel:WORD_1 src1_sel:DWORD
	s_mov_b32 s18, exec_lo
	v_cmpx_ne_u16_e32 0, v1
	s_cbranch_execz .LBB212_650
; %bb.643:                              ;   in Loop: Header=BB212_15 Depth=1
	v_bfrev_b32_e32 v98, 1
	v_mov_b32_e32 v99, 0
	s_mov_b32 s19, exec_lo
	v_cmpx_ne_u16_e32 0x80, v1
	s_cbranch_execz .LBB212_649
; %bb.644:                              ;   in Loop: Header=BB212_15 Depth=1
	v_mov_b32_e32 v98, 0x7f800001
	v_bfe_u32 v2, v0, 16, 7
	v_mov_b32_e32 v99, 0
	s_mov_b32 s20, exec_lo
	v_cmpx_ne_u32_e32 0x7f, v2
	s_cbranch_execz .LBB212_648
; %bb.645:                              ;   in Loop: Header=BB212_15 Depth=1
	v_mov_b32_e32 v1, 7
	s_mov_b32 s21, exec_lo
	v_and_b32_sdwa v28, v0, v1 dst_sel:DWORD dst_unused:UNUSED_PAD src0_sel:WORD_1 src1_sel:DWORD
	v_lshrrev_b32_e32 v1, 3, v2
	v_cmpx_gt_u32_e32 8, v2
; %bb.646:                              ;   in Loop: Header=BB212_15 Depth=1
	v_ffbh_u32_e32 v1, v28
	v_min_u32_e32 v1, 32, v1
	v_subrev_nc_u32_e32 v2, 28, v1
	v_sub_nc_u32_e32 v1, 29, v1
	v_lshlrev_b64 v[2:3], v2, v[28:29]
	v_and_b32_e32 v28, 7, v2
; %bb.647:                              ;   in Loop: Header=BB212_15 Depth=1
	s_or_b32 exec_lo, exec_lo, s21
	v_mov_b32_e32 v2, 24
	v_lshlrev_b32_e32 v3, 20, v28
	v_lshl_add_u32 v1, v1, 23, 0x3c000000
	v_lshlrev_b32_sdwa v2, v2, v0 dst_sel:DWORD dst_unused:UNUSED_PAD src0_sel:DWORD src1_sel:WORD_1
	v_and_b32_e32 v2, 0x80000000, v2
	v_or3_b32 v28, v3, v2, v1
	v_mov_b32_e32 v99, v29
	v_mov_b32_e32 v98, v28
.LBB212_648:                            ;   in Loop: Header=BB212_15 Depth=1
	s_or_b32 exec_lo, exec_lo, s20
.LBB212_649:                            ;   in Loop: Header=BB212_15 Depth=1
	s_or_b32 exec_lo, exec_lo, s19
.LBB212_650:                            ;   in Loop: Header=BB212_15 Depth=1
	s_or_b32 exec_lo, exec_lo, s18
	s_mov_b32 s18, exec_lo
	v_cmpx_lt_u32_e32 0xffffff, v0
	s_cbranch_execz .LBB212_658
; %bb.651:                              ;   in Loop: Header=BB212_15 Depth=1
	v_mov_b32_e32 v32, v29
	v_mov_b32_e32 v1, 0x80
	;; [unrolled: 1-line block ×4, first 2 shown]
	v_cmp_ne_u32_sdwa s5, v0, v1 src0_sel:BYTE_3 src1_sel:DWORD
	s_and_saveexec_b32 s19, s5
	s_cbranch_execz .LBB212_657
; %bb.652:                              ;   in Loop: Header=BB212_15 Depth=1
	s_clause 0x1
	buffer_load_dword v118, off, s[0:3], s32 offset:192
	buffer_load_dword v119, off, s[0:3], s32 offset:196
	v_bfe_u32 v2, v0, 24, 7
	s_waitcnt vmcnt(1)
	v_mov_b32_e32 v118, v29
	s_mov_b32 s20, exec_lo
	s_waitcnt vmcnt(0)
	v_mov_b32_e32 v1, v119
	buffer_store_dword v0, off, s[0:3], s32 offset:192 ; 4-byte Folded Spill
	buffer_store_dword v1, off, s[0:3], s32 offset:196 ; 4-byte Folded Spill
	v_cmpx_ne_u32_e32 0x7f, v2
	s_cbranch_execz .LBB212_656
; %bb.653:                              ;   in Loop: Header=BB212_15 Depth=1
	v_mov_b32_e32 v1, 7
	s_mov_b32 s21, exec_lo
	v_and_b32_sdwa v28, v0, v1 dst_sel:DWORD dst_unused:UNUSED_PAD src0_sel:BYTE_3 src1_sel:DWORD
	v_lshrrev_b32_e32 v1, 3, v2
	v_cmpx_gt_u32_e32 8, v2
; %bb.654:                              ;   in Loop: Header=BB212_15 Depth=1
	v_ffbh_u32_e32 v1, v28
	v_min_u32_e32 v1, 32, v1
	v_subrev_nc_u32_e32 v2, 28, v1
	v_sub_nc_u32_e32 v1, 29, v1
	v_lshlrev_b64 v[2:3], v2, v[28:29]
	v_and_b32_e32 v28, 7, v2
; %bb.655:                              ;   in Loop: Header=BB212_15 Depth=1
	s_or_b32 exec_lo, exec_lo, s21
	v_mov_b32_e32 v2, 24
	v_lshl_add_u32 v1, v1, 23, 0x3c000000
	v_mov_b32_e32 v118, v29
	v_lshlrev_b32_sdwa v0, v2, v0 dst_sel:DWORD dst_unused:UNUSED_PAD src0_sel:DWORD src1_sel:BYTE_3
	v_lshlrev_b32_e32 v2, 20, v28
	v_and_b32_e32 v0, 0x80000000, v0
	v_or3_b32 v119, v2, v0, v1
.LBB212_656:                            ;   in Loop: Header=BB212_15 Depth=1
	s_or_b32 exec_lo, exec_lo, s20
.LBB212_657:                            ;   in Loop: Header=BB212_15 Depth=1
	s_or_b32 exec_lo, exec_lo, s19
.LBB212_658:                            ;   in Loop: Header=BB212_15 Depth=1
	s_or_b32 exec_lo, exec_lo, s18
	flat_load_dword v0, v[52:53] offset:512
	v_mov_b32_e32 v100, 0
	v_mov_b32_e32 v38, 0
	;; [unrolled: 1-line block ×4, first 2 shown]
	s_waitcnt vmcnt(0) lgkmcnt(0)
	v_cmp_ne_u16_sdwa s5, v0, v29 src0_sel:BYTE_0 src1_sel:DWORD
	s_and_saveexec_b32 s18, s5
	s_cbranch_execz .LBB212_666
; %bb.659:                              ;   in Loop: Header=BB212_15 Depth=1
	v_mov_b32_e32 v1, 0x80
	v_bfrev_b32_e32 v38, 1
	v_mov_b32_e32 v39, 0
	v_cmp_ne_u16_sdwa s5, v0, v1 src0_sel:BYTE_0 src1_sel:DWORD
	s_and_saveexec_b32 s19, s5
	s_cbranch_execz .LBB212_665
; %bb.660:                              ;   in Loop: Header=BB212_15 Depth=1
	v_mov_b32_e32 v38, 0x7f800001
	v_and_b32_e32 v2, 0x7f, v0
	v_mov_b32_e32 v39, 0
	s_mov_b32 s20, exec_lo
	v_cmpx_ne_u32_e32 0x7f, v2
	s_cbranch_execz .LBB212_664
; %bb.661:                              ;   in Loop: Header=BB212_15 Depth=1
	v_and_b32_e32 v28, 7, v0
	v_lshrrev_b32_e32 v1, 3, v2
	s_mov_b32 s21, exec_lo
	v_cmpx_gt_u32_e32 8, v2
; %bb.662:                              ;   in Loop: Header=BB212_15 Depth=1
	v_ffbh_u32_e32 v1, v28
	v_min_u32_e32 v1, 32, v1
	v_subrev_nc_u32_e32 v2, 28, v1
	v_sub_nc_u32_e32 v1, 29, v1
	v_lshlrev_b64 v[2:3], v2, v[28:29]
	v_and_b32_e32 v28, 7, v2
; %bb.663:                              ;   in Loop: Header=BB212_15 Depth=1
	s_or_b32 exec_lo, exec_lo, s21
	v_lshlrev_b32_e32 v2, 24, v0
	v_lshlrev_b32_e32 v3, 20, v28
	v_lshl_add_u32 v1, v1, 23, 0x3c000000
	v_and_b32_e32 v2, 0x80000000, v2
	v_or3_b32 v28, v3, v2, v1
	v_mov_b32_e32 v39, v29
	v_mov_b32_e32 v38, v28
.LBB212_664:                            ;   in Loop: Header=BB212_15 Depth=1
	s_or_b32 exec_lo, exec_lo, s20
.LBB212_665:                            ;   in Loop: Header=BB212_15 Depth=1
	s_or_b32 exec_lo, exec_lo, s19
.LBB212_666:                            ;   in Loop: Header=BB212_15 Depth=1
	s_or_b32 exec_lo, exec_lo, s18
	v_cmp_ne_u16_sdwa s5, v0, v29 src0_sel:BYTE_1 src1_sel:DWORD
	s_and_saveexec_b32 s18, s5
	s_cbranch_execz .LBB212_674
; %bb.667:                              ;   in Loop: Header=BB212_15 Depth=1
	v_mov_b32_e32 v32, v29
	v_mov_b32_e32 v1, 0x80
	;; [unrolled: 1-line block ×4, first 2 shown]
	v_cmp_ne_u16_sdwa s5, v0, v1 src0_sel:BYTE_1 src1_sel:DWORD
	s_and_saveexec_b32 s19, s5
	s_cbranch_execz .LBB212_673
; %bb.668:                              ;   in Loop: Header=BB212_15 Depth=1
	s_clause 0x1
	buffer_load_dword v100, off, s[0:3], s32 offset:192
	buffer_load_dword v101, off, s[0:3], s32 offset:196
	v_mov_b32_e32 v1, 0xffff
	s_waitcnt vmcnt(1)
	v_mov_b32_e32 v100, v29
	s_mov_b32 s20, exec_lo
	v_and_b32_sdwa v1, v1, v0 dst_sel:DWORD dst_unused:UNUSED_PAD src0_sel:DWORD src1_sel:BYTE_1
	v_and_b32_e32 v2, 0x7f, v1
	s_waitcnt vmcnt(0)
	v_mov_b32_e32 v3, v101
	buffer_store_dword v2, off, s[0:3], s32 offset:192 ; 4-byte Folded Spill
	buffer_store_dword v3, off, s[0:3], s32 offset:196 ; 4-byte Folded Spill
	v_cmpx_ne_u32_e32 0x7f, v2
	s_cbranch_execz .LBB212_672
; %bb.669:                              ;   in Loop: Header=BB212_15 Depth=1
	v_and_b32_e32 v28, 7, v1
	v_lshrrev_b32_e32 v1, 3, v2
	s_mov_b32 s21, exec_lo
	v_cmpx_gt_u32_e32 8, v2
; %bb.670:                              ;   in Loop: Header=BB212_15 Depth=1
	v_ffbh_u32_e32 v1, v28
	v_min_u32_e32 v1, 32, v1
	v_subrev_nc_u32_e32 v2, 28, v1
	v_sub_nc_u32_e32 v1, 29, v1
	v_lshlrev_b64 v[2:3], v2, v[28:29]
	v_and_b32_e32 v28, 7, v2
; %bb.671:                              ;   in Loop: Header=BB212_15 Depth=1
	s_or_b32 exec_lo, exec_lo, s21
	v_lshlrev_b32_e32 v2, 16, v0
	v_lshlrev_b32_e32 v3, 20, v28
	v_lshl_add_u32 v1, v1, 23, 0x3c000000
	v_mov_b32_e32 v100, v29
	v_and_b32_e32 v2, 0x80000000, v2
	v_or3_b32 v101, v3, v2, v1
.LBB212_672:                            ;   in Loop: Header=BB212_15 Depth=1
	s_or_b32 exec_lo, exec_lo, s20
.LBB212_673:                            ;   in Loop: Header=BB212_15 Depth=1
	s_or_b32 exec_lo, exec_lo, s19
.LBB212_674:                            ;   in Loop: Header=BB212_15 Depth=1
	s_or_b32 exec_lo, exec_lo, s18
	v_mov_b32_e32 v1, 0xff
	v_mov_b32_e32 v8, 0
	;; [unrolled: 1-line block ×5, first 2 shown]
	v_and_b32_sdwa v1, v0, v1 dst_sel:DWORD dst_unused:UNUSED_PAD src0_sel:WORD_1 src1_sel:DWORD
	s_mov_b32 s18, exec_lo
	v_cmpx_ne_u16_e32 0, v1
	s_cbranch_execz .LBB212_682
; %bb.675:                              ;   in Loop: Header=BB212_15 Depth=1
	v_bfrev_b32_e32 v114, 1
	v_mov_b32_e32 v115, 0
	s_mov_b32 s19, exec_lo
	v_cmpx_ne_u16_e32 0x80, v1
	s_cbranch_execz .LBB212_681
; %bb.676:                              ;   in Loop: Header=BB212_15 Depth=1
	v_mov_b32_e32 v114, 0x7f800001
	v_bfe_u32 v2, v0, 16, 7
	v_mov_b32_e32 v115, 0
	s_mov_b32 s20, exec_lo
	v_cmpx_ne_u32_e32 0x7f, v2
	s_cbranch_execz .LBB212_680
; %bb.677:                              ;   in Loop: Header=BB212_15 Depth=1
	v_mov_b32_e32 v1, 7
	s_mov_b32 s21, exec_lo
	v_and_b32_sdwa v28, v0, v1 dst_sel:DWORD dst_unused:UNUSED_PAD src0_sel:WORD_1 src1_sel:DWORD
	v_lshrrev_b32_e32 v1, 3, v2
	v_cmpx_gt_u32_e32 8, v2
; %bb.678:                              ;   in Loop: Header=BB212_15 Depth=1
	v_ffbh_u32_e32 v1, v28
	v_min_u32_e32 v1, 32, v1
	v_subrev_nc_u32_e32 v2, 28, v1
	v_sub_nc_u32_e32 v1, 29, v1
	v_lshlrev_b64 v[2:3], v2, v[28:29]
	v_and_b32_e32 v28, 7, v2
; %bb.679:                              ;   in Loop: Header=BB212_15 Depth=1
	s_or_b32 exec_lo, exec_lo, s21
	v_mov_b32_e32 v2, 24
	v_lshlrev_b32_e32 v3, 20, v28
	v_lshl_add_u32 v1, v1, 23, 0x3c000000
	v_lshlrev_b32_sdwa v2, v2, v0 dst_sel:DWORD dst_unused:UNUSED_PAD src0_sel:DWORD src1_sel:WORD_1
	v_and_b32_e32 v2, 0x80000000, v2
	v_or3_b32 v28, v3, v2, v1
	v_mov_b32_e32 v115, v29
	v_mov_b32_e32 v114, v28
.LBB212_680:                            ;   in Loop: Header=BB212_15 Depth=1
	s_or_b32 exec_lo, exec_lo, s20
.LBB212_681:                            ;   in Loop: Header=BB212_15 Depth=1
	s_or_b32 exec_lo, exec_lo, s19
.LBB212_682:                            ;   in Loop: Header=BB212_15 Depth=1
	s_or_b32 exec_lo, exec_lo, s18
	s_mov_b32 s18, exec_lo
	v_cmpx_lt_u32_e32 0xffffff, v0
	s_cbranch_execz .LBB212_690
; %bb.683:                              ;   in Loop: Header=BB212_15 Depth=1
	v_mov_b32_e32 v32, v29
	v_mov_b32_e32 v1, 0x80
	v_mov_b32_e32 v8, v32
	v_cmp_ne_u32_sdwa s5, v0, v1 src0_sel:BYTE_3 src1_sel:DWORD
	v_mov_b32_e32 v9, v33
	s_and_saveexec_b32 s19, s5
	s_cbranch_execz .LBB212_689
; %bb.684:                              ;   in Loop: Header=BB212_15 Depth=1
	s_clause 0x1
	buffer_load_dword v8, off, s[0:3], s32 offset:192
	buffer_load_dword v9, off, s[0:3], s32 offset:196
	v_bfe_u32 v2, v0, 24, 7
	s_waitcnt vmcnt(1)
	v_mov_b32_e32 v8, v29
	s_mov_b32 s20, exec_lo
	s_waitcnt vmcnt(0)
	v_mov_b32_e32 v1, v9
	buffer_store_dword v0, off, s[0:3], s32 offset:192 ; 4-byte Folded Spill
	buffer_store_dword v1, off, s[0:3], s32 offset:196 ; 4-byte Folded Spill
	v_cmpx_ne_u32_e32 0x7f, v2
	s_cbranch_execz .LBB212_688
; %bb.685:                              ;   in Loop: Header=BB212_15 Depth=1
	v_mov_b32_e32 v1, 7
	s_mov_b32 s21, exec_lo
	v_and_b32_sdwa v28, v0, v1 dst_sel:DWORD dst_unused:UNUSED_PAD src0_sel:BYTE_3 src1_sel:DWORD
	v_lshrrev_b32_e32 v1, 3, v2
	v_cmpx_gt_u32_e32 8, v2
; %bb.686:                              ;   in Loop: Header=BB212_15 Depth=1
	v_ffbh_u32_e32 v1, v28
	v_min_u32_e32 v1, 32, v1
	v_subrev_nc_u32_e32 v2, 28, v1
	v_sub_nc_u32_e32 v1, 29, v1
	v_lshlrev_b64 v[2:3], v2, v[28:29]
	v_and_b32_e32 v28, 7, v2
; %bb.687:                              ;   in Loop: Header=BB212_15 Depth=1
	s_or_b32 exec_lo, exec_lo, s21
	v_mov_b32_e32 v2, 24
	v_lshl_add_u32 v1, v1, 23, 0x3c000000
	v_mov_b32_e32 v8, v29
	v_lshlrev_b32_sdwa v0, v2, v0 dst_sel:DWORD dst_unused:UNUSED_PAD src0_sel:DWORD src1_sel:BYTE_3
	v_lshlrev_b32_e32 v2, 20, v28
	v_and_b32_e32 v0, 0x80000000, v0
	v_or3_b32 v9, v2, v0, v1
.LBB212_688:                            ;   in Loop: Header=BB212_15 Depth=1
	s_or_b32 exec_lo, exec_lo, s20
.LBB212_689:                            ;   in Loop: Header=BB212_15 Depth=1
	s_or_b32 exec_lo, exec_lo, s19
.LBB212_690:                            ;   in Loop: Header=BB212_15 Depth=1
	s_or_b32 exec_lo, exec_lo, s18
	flat_load_dword v0, v[52:53] offset:516
	v_mov_b32_e32 v116, 0
	v_mov_b32_e32 v44, 0
	v_mov_b32_e32 v117, 0
	v_mov_b32_e32 v45, 0
	s_waitcnt vmcnt(0) lgkmcnt(0)
	v_cmp_ne_u16_sdwa s5, v0, v29 src0_sel:BYTE_0 src1_sel:DWORD
	s_and_saveexec_b32 s18, s5
	s_cbranch_execz .LBB212_698
; %bb.691:                              ;   in Loop: Header=BB212_15 Depth=1
	v_mov_b32_e32 v1, 0x80
	v_bfrev_b32_e32 v44, 1
	v_mov_b32_e32 v45, 0
	v_cmp_ne_u16_sdwa s5, v0, v1 src0_sel:BYTE_0 src1_sel:DWORD
	s_and_saveexec_b32 s19, s5
	s_cbranch_execz .LBB212_697
; %bb.692:                              ;   in Loop: Header=BB212_15 Depth=1
	v_mov_b32_e32 v44, 0x7f800001
	v_and_b32_e32 v2, 0x7f, v0
	v_mov_b32_e32 v45, 0
	s_mov_b32 s20, exec_lo
	v_cmpx_ne_u32_e32 0x7f, v2
	s_cbranch_execz .LBB212_696
; %bb.693:                              ;   in Loop: Header=BB212_15 Depth=1
	v_and_b32_e32 v28, 7, v0
	v_lshrrev_b32_e32 v1, 3, v2
	s_mov_b32 s21, exec_lo
	v_cmpx_gt_u32_e32 8, v2
; %bb.694:                              ;   in Loop: Header=BB212_15 Depth=1
	v_ffbh_u32_e32 v1, v28
	v_min_u32_e32 v1, 32, v1
	v_subrev_nc_u32_e32 v2, 28, v1
	v_sub_nc_u32_e32 v1, 29, v1
	v_lshlrev_b64 v[2:3], v2, v[28:29]
	v_and_b32_e32 v28, 7, v2
; %bb.695:                              ;   in Loop: Header=BB212_15 Depth=1
	s_or_b32 exec_lo, exec_lo, s21
	v_lshlrev_b32_e32 v2, 24, v0
	v_lshlrev_b32_e32 v3, 20, v28
	v_lshl_add_u32 v1, v1, 23, 0x3c000000
	v_and_b32_e32 v2, 0x80000000, v2
	v_or3_b32 v28, v3, v2, v1
	v_mov_b32_e32 v45, v29
	v_mov_b32_e32 v44, v28
.LBB212_696:                            ;   in Loop: Header=BB212_15 Depth=1
	s_or_b32 exec_lo, exec_lo, s20
.LBB212_697:                            ;   in Loop: Header=BB212_15 Depth=1
	s_or_b32 exec_lo, exec_lo, s19
.LBB212_698:                            ;   in Loop: Header=BB212_15 Depth=1
	s_or_b32 exec_lo, exec_lo, s18
	v_cmp_ne_u16_sdwa s5, v0, v29 src0_sel:BYTE_1 src1_sel:DWORD
	s_and_saveexec_b32 s18, s5
	s_cbranch_execz .LBB212_706
; %bb.699:                              ;   in Loop: Header=BB212_15 Depth=1
	v_mov_b32_e32 v32, v29
	v_mov_b32_e32 v1, 0x80
	v_mov_b32_e32 v117, v33
	v_mov_b32_e32 v116, v32
	v_cmp_ne_u16_sdwa s5, v0, v1 src0_sel:BYTE_1 src1_sel:DWORD
	s_and_saveexec_b32 s19, s5
	s_cbranch_execz .LBB212_705
; %bb.700:                              ;   in Loop: Header=BB212_15 Depth=1
	s_clause 0x1
	buffer_load_dword v116, off, s[0:3], s32 offset:192
	buffer_load_dword v117, off, s[0:3], s32 offset:196
	v_mov_b32_e32 v1, 0xffff
	s_waitcnt vmcnt(1)
	v_mov_b32_e32 v116, v29
	s_mov_b32 s20, exec_lo
	v_and_b32_sdwa v1, v1, v0 dst_sel:DWORD dst_unused:UNUSED_PAD src0_sel:DWORD src1_sel:BYTE_1
	v_and_b32_e32 v2, 0x7f, v1
	s_waitcnt vmcnt(0)
	v_mov_b32_e32 v3, v117
	buffer_store_dword v2, off, s[0:3], s32 offset:192 ; 4-byte Folded Spill
	buffer_store_dword v3, off, s[0:3], s32 offset:196 ; 4-byte Folded Spill
	v_cmpx_ne_u32_e32 0x7f, v2
	s_cbranch_execz .LBB212_704
; %bb.701:                              ;   in Loop: Header=BB212_15 Depth=1
	v_and_b32_e32 v28, 7, v1
	v_lshrrev_b32_e32 v1, 3, v2
	s_mov_b32 s21, exec_lo
	v_cmpx_gt_u32_e32 8, v2
; %bb.702:                              ;   in Loop: Header=BB212_15 Depth=1
	v_ffbh_u32_e32 v1, v28
	v_min_u32_e32 v1, 32, v1
	v_subrev_nc_u32_e32 v2, 28, v1
	v_sub_nc_u32_e32 v1, 29, v1
	v_lshlrev_b64 v[2:3], v2, v[28:29]
	v_and_b32_e32 v28, 7, v2
; %bb.703:                              ;   in Loop: Header=BB212_15 Depth=1
	s_or_b32 exec_lo, exec_lo, s21
	v_lshlrev_b32_e32 v2, 16, v0
	v_lshlrev_b32_e32 v3, 20, v28
	v_lshl_add_u32 v1, v1, 23, 0x3c000000
	v_mov_b32_e32 v116, v29
	v_and_b32_e32 v2, 0x80000000, v2
	v_or3_b32 v117, v3, v2, v1
.LBB212_704:                            ;   in Loop: Header=BB212_15 Depth=1
	s_or_b32 exec_lo, exec_lo, s20
.LBB212_705:                            ;   in Loop: Header=BB212_15 Depth=1
	s_or_b32 exec_lo, exec_lo, s19
.LBB212_706:                            ;   in Loop: Header=BB212_15 Depth=1
	s_or_b32 exec_lo, exec_lo, s18
	v_mov_b32_e32 v1, 0xff
	v_mov_b32_e32 v10, 0
	;; [unrolled: 1-line block ×5, first 2 shown]
	v_and_b32_sdwa v1, v0, v1 dst_sel:DWORD dst_unused:UNUSED_PAD src0_sel:WORD_1 src1_sel:DWORD
	s_mov_b32 s18, exec_lo
	v_cmpx_ne_u16_e32 0, v1
	s_cbranch_execz .LBB212_714
; %bb.707:                              ;   in Loop: Header=BB212_15 Depth=1
	v_bfrev_b32_e32 v40, 1
	v_mov_b32_e32 v41, 0
	s_mov_b32 s19, exec_lo
	v_cmpx_ne_u16_e32 0x80, v1
	s_cbranch_execz .LBB212_713
; %bb.708:                              ;   in Loop: Header=BB212_15 Depth=1
	v_mov_b32_e32 v40, 0x7f800001
	v_bfe_u32 v2, v0, 16, 7
	v_mov_b32_e32 v41, 0
	s_mov_b32 s20, exec_lo
	v_cmpx_ne_u32_e32 0x7f, v2
	s_cbranch_execz .LBB212_712
; %bb.709:                              ;   in Loop: Header=BB212_15 Depth=1
	v_mov_b32_e32 v1, 7
	s_mov_b32 s21, exec_lo
	v_and_b32_sdwa v28, v0, v1 dst_sel:DWORD dst_unused:UNUSED_PAD src0_sel:WORD_1 src1_sel:DWORD
	v_lshrrev_b32_e32 v1, 3, v2
	v_cmpx_gt_u32_e32 8, v2
; %bb.710:                              ;   in Loop: Header=BB212_15 Depth=1
	v_ffbh_u32_e32 v1, v28
	v_min_u32_e32 v1, 32, v1
	v_subrev_nc_u32_e32 v2, 28, v1
	v_sub_nc_u32_e32 v1, 29, v1
	v_lshlrev_b64 v[2:3], v2, v[28:29]
	v_and_b32_e32 v28, 7, v2
; %bb.711:                              ;   in Loop: Header=BB212_15 Depth=1
	s_or_b32 exec_lo, exec_lo, s21
	v_mov_b32_e32 v2, 24
	v_lshlrev_b32_e32 v3, 20, v28
	v_lshl_add_u32 v1, v1, 23, 0x3c000000
	v_lshlrev_b32_sdwa v2, v2, v0 dst_sel:DWORD dst_unused:UNUSED_PAD src0_sel:DWORD src1_sel:WORD_1
	v_and_b32_e32 v2, 0x80000000, v2
	v_or3_b32 v28, v3, v2, v1
	v_mov_b32_e32 v41, v29
	v_mov_b32_e32 v40, v28
.LBB212_712:                            ;   in Loop: Header=BB212_15 Depth=1
	s_or_b32 exec_lo, exec_lo, s20
.LBB212_713:                            ;   in Loop: Header=BB212_15 Depth=1
	s_or_b32 exec_lo, exec_lo, s19
.LBB212_714:                            ;   in Loop: Header=BB212_15 Depth=1
	s_or_b32 exec_lo, exec_lo, s18
	s_mov_b32 s18, exec_lo
	v_cmpx_lt_u32_e32 0xffffff, v0
	s_cbranch_execz .LBB212_722
; %bb.715:                              ;   in Loop: Header=BB212_15 Depth=1
	v_mov_b32_e32 v32, v29
	v_mov_b32_e32 v1, 0x80
	;; [unrolled: 1-line block ×3, first 2 shown]
	v_cmp_ne_u32_sdwa s5, v0, v1 src0_sel:BYTE_3 src1_sel:DWORD
	v_mov_b32_e32 v11, v33
	s_and_saveexec_b32 s19, s5
	s_cbranch_execz .LBB212_721
; %bb.716:                              ;   in Loop: Header=BB212_15 Depth=1
	s_clause 0x1
	buffer_load_dword v10, off, s[0:3], s32 offset:192
	buffer_load_dword v11, off, s[0:3], s32 offset:196
	v_bfe_u32 v2, v0, 24, 7
	s_waitcnt vmcnt(1)
	v_mov_b32_e32 v10, v29
	s_mov_b32 s20, exec_lo
	s_waitcnt vmcnt(0)
	v_mov_b32_e32 v1, v11
	buffer_store_dword v0, off, s[0:3], s32 offset:192 ; 4-byte Folded Spill
	buffer_store_dword v1, off, s[0:3], s32 offset:196 ; 4-byte Folded Spill
	v_cmpx_ne_u32_e32 0x7f, v2
	s_cbranch_execz .LBB212_720
; %bb.717:                              ;   in Loop: Header=BB212_15 Depth=1
	v_mov_b32_e32 v1, 7
	s_mov_b32 s21, exec_lo
	v_and_b32_sdwa v28, v0, v1 dst_sel:DWORD dst_unused:UNUSED_PAD src0_sel:BYTE_3 src1_sel:DWORD
	v_lshrrev_b32_e32 v1, 3, v2
	v_cmpx_gt_u32_e32 8, v2
; %bb.718:                              ;   in Loop: Header=BB212_15 Depth=1
	v_ffbh_u32_e32 v1, v28
	v_min_u32_e32 v1, 32, v1
	v_subrev_nc_u32_e32 v2, 28, v1
	v_sub_nc_u32_e32 v1, 29, v1
	v_lshlrev_b64 v[2:3], v2, v[28:29]
	v_and_b32_e32 v28, 7, v2
; %bb.719:                              ;   in Loop: Header=BB212_15 Depth=1
	s_or_b32 exec_lo, exec_lo, s21
	v_mov_b32_e32 v2, 24
	v_lshl_add_u32 v1, v1, 23, 0x3c000000
	v_mov_b32_e32 v10, v29
	v_lshlrev_b32_sdwa v0, v2, v0 dst_sel:DWORD dst_unused:UNUSED_PAD src0_sel:DWORD src1_sel:BYTE_3
	v_lshlrev_b32_e32 v2, 20, v28
	v_and_b32_e32 v0, 0x80000000, v0
	v_or3_b32 v11, v2, v0, v1
.LBB212_720:                            ;   in Loop: Header=BB212_15 Depth=1
	s_or_b32 exec_lo, exec_lo, s20
.LBB212_721:                            ;   in Loop: Header=BB212_15 Depth=1
	s_or_b32 exec_lo, exec_lo, s19
.LBB212_722:                            ;   in Loop: Header=BB212_15 Depth=1
	s_or_b32 exec_lo, exec_lo, s18
	flat_load_dword v0, v[52:53] offset:520
	v_mov_b32_e32 v42, 0
	v_mov_b32_e32 v60, 0
	v_mov_b32_e32 v43, 0
	v_mov_b32_e32 v61, 0
	s_waitcnt vmcnt(0) lgkmcnt(0)
	v_cmp_ne_u16_sdwa s5, v0, v29 src0_sel:BYTE_0 src1_sel:DWORD
	s_and_saveexec_b32 s18, s5
	s_cbranch_execz .LBB212_730
; %bb.723:                              ;   in Loop: Header=BB212_15 Depth=1
	v_mov_b32_e32 v1, 0x80
	v_bfrev_b32_e32 v60, 1
	v_mov_b32_e32 v61, 0
	v_cmp_ne_u16_sdwa s5, v0, v1 src0_sel:BYTE_0 src1_sel:DWORD
	s_and_saveexec_b32 s19, s5
	s_cbranch_execz .LBB212_729
; %bb.724:                              ;   in Loop: Header=BB212_15 Depth=1
	v_mov_b32_e32 v60, 0x7f800001
	v_and_b32_e32 v2, 0x7f, v0
	v_mov_b32_e32 v61, 0
	s_mov_b32 s20, exec_lo
	v_cmpx_ne_u32_e32 0x7f, v2
	s_cbranch_execz .LBB212_728
; %bb.725:                              ;   in Loop: Header=BB212_15 Depth=1
	v_and_b32_e32 v28, 7, v0
	v_lshrrev_b32_e32 v1, 3, v2
	s_mov_b32 s21, exec_lo
	v_cmpx_gt_u32_e32 8, v2
; %bb.726:                              ;   in Loop: Header=BB212_15 Depth=1
	v_ffbh_u32_e32 v1, v28
	v_min_u32_e32 v1, 32, v1
	v_subrev_nc_u32_e32 v2, 28, v1
	v_sub_nc_u32_e32 v1, 29, v1
	v_lshlrev_b64 v[2:3], v2, v[28:29]
	v_and_b32_e32 v28, 7, v2
; %bb.727:                              ;   in Loop: Header=BB212_15 Depth=1
	s_or_b32 exec_lo, exec_lo, s21
	v_lshlrev_b32_e32 v2, 24, v0
	v_lshlrev_b32_e32 v3, 20, v28
	v_lshl_add_u32 v1, v1, 23, 0x3c000000
	v_and_b32_e32 v2, 0x80000000, v2
	v_or3_b32 v28, v3, v2, v1
	v_mov_b32_e32 v61, v29
	v_mov_b32_e32 v60, v28
.LBB212_728:                            ;   in Loop: Header=BB212_15 Depth=1
	s_or_b32 exec_lo, exec_lo, s20
.LBB212_729:                            ;   in Loop: Header=BB212_15 Depth=1
	s_or_b32 exec_lo, exec_lo, s19
.LBB212_730:                            ;   in Loop: Header=BB212_15 Depth=1
	s_or_b32 exec_lo, exec_lo, s18
	v_cmp_ne_u16_sdwa s5, v0, v29 src0_sel:BYTE_1 src1_sel:DWORD
	s_and_saveexec_b32 s18, s5
	s_cbranch_execz .LBB212_738
; %bb.731:                              ;   in Loop: Header=BB212_15 Depth=1
	v_mov_b32_e32 v32, v29
	v_mov_b32_e32 v1, 0x80
	;; [unrolled: 1-line block ×4, first 2 shown]
	v_cmp_ne_u16_sdwa s5, v0, v1 src0_sel:BYTE_1 src1_sel:DWORD
	s_and_saveexec_b32 s19, s5
	s_cbranch_execz .LBB212_737
; %bb.732:                              ;   in Loop: Header=BB212_15 Depth=1
	s_clause 0x1
	buffer_load_dword v42, off, s[0:3], s32 offset:192
	buffer_load_dword v43, off, s[0:3], s32 offset:196
	v_mov_b32_e32 v1, 0xffff
	s_waitcnt vmcnt(1)
	v_mov_b32_e32 v42, v29
	s_mov_b32 s20, exec_lo
	v_and_b32_sdwa v1, v1, v0 dst_sel:DWORD dst_unused:UNUSED_PAD src0_sel:DWORD src1_sel:BYTE_1
	v_and_b32_e32 v2, 0x7f, v1
	s_waitcnt vmcnt(0)
	v_mov_b32_e32 v3, v43
	buffer_store_dword v2, off, s[0:3], s32 offset:192 ; 4-byte Folded Spill
	buffer_store_dword v3, off, s[0:3], s32 offset:196 ; 4-byte Folded Spill
	v_cmpx_ne_u32_e32 0x7f, v2
	s_cbranch_execz .LBB212_736
; %bb.733:                              ;   in Loop: Header=BB212_15 Depth=1
	v_and_b32_e32 v28, 7, v1
	v_lshrrev_b32_e32 v1, 3, v2
	s_mov_b32 s21, exec_lo
	v_cmpx_gt_u32_e32 8, v2
; %bb.734:                              ;   in Loop: Header=BB212_15 Depth=1
	v_ffbh_u32_e32 v1, v28
	v_min_u32_e32 v1, 32, v1
	v_subrev_nc_u32_e32 v2, 28, v1
	v_sub_nc_u32_e32 v1, 29, v1
	v_lshlrev_b64 v[2:3], v2, v[28:29]
	v_and_b32_e32 v28, 7, v2
; %bb.735:                              ;   in Loop: Header=BB212_15 Depth=1
	s_or_b32 exec_lo, exec_lo, s21
	v_lshlrev_b32_e32 v2, 16, v0
	v_lshlrev_b32_e32 v3, 20, v28
	v_lshl_add_u32 v1, v1, 23, 0x3c000000
	v_mov_b32_e32 v42, v29
	v_and_b32_e32 v2, 0x80000000, v2
	v_or3_b32 v43, v3, v2, v1
.LBB212_736:                            ;   in Loop: Header=BB212_15 Depth=1
	s_or_b32 exec_lo, exec_lo, s20
.LBB212_737:                            ;   in Loop: Header=BB212_15 Depth=1
	s_or_b32 exec_lo, exec_lo, s19
.LBB212_738:                            ;   in Loop: Header=BB212_15 Depth=1
	s_or_b32 exec_lo, exec_lo, s18
	v_mov_b32_e32 v1, 0xff
	v_mov_b32_e32 v74, 0
	;; [unrolled: 1-line block ×5, first 2 shown]
	v_and_b32_sdwa v1, v0, v1 dst_sel:DWORD dst_unused:UNUSED_PAD src0_sel:WORD_1 src1_sel:DWORD
	s_mov_b32 s18, exec_lo
	v_cmpx_ne_u16_e32 0, v1
	s_cbranch_execz .LBB212_746
; %bb.739:                              ;   in Loop: Header=BB212_15 Depth=1
	v_bfrev_b32_e32 v46, 1
	v_mov_b32_e32 v47, 0
	s_mov_b32 s19, exec_lo
	v_cmpx_ne_u16_e32 0x80, v1
	s_cbranch_execz .LBB212_745
; %bb.740:                              ;   in Loop: Header=BB212_15 Depth=1
	v_mov_b32_e32 v46, 0x7f800001
	v_bfe_u32 v2, v0, 16, 7
	v_mov_b32_e32 v47, 0
	s_mov_b32 s20, exec_lo
	v_cmpx_ne_u32_e32 0x7f, v2
	s_cbranch_execz .LBB212_744
; %bb.741:                              ;   in Loop: Header=BB212_15 Depth=1
	v_mov_b32_e32 v1, 7
	s_mov_b32 s21, exec_lo
	v_and_b32_sdwa v28, v0, v1 dst_sel:DWORD dst_unused:UNUSED_PAD src0_sel:WORD_1 src1_sel:DWORD
	v_lshrrev_b32_e32 v1, 3, v2
	v_cmpx_gt_u32_e32 8, v2
; %bb.742:                              ;   in Loop: Header=BB212_15 Depth=1
	v_ffbh_u32_e32 v1, v28
	v_min_u32_e32 v1, 32, v1
	v_subrev_nc_u32_e32 v2, 28, v1
	v_sub_nc_u32_e32 v1, 29, v1
	v_lshlrev_b64 v[2:3], v2, v[28:29]
	v_and_b32_e32 v28, 7, v2
; %bb.743:                              ;   in Loop: Header=BB212_15 Depth=1
	s_or_b32 exec_lo, exec_lo, s21
	v_mov_b32_e32 v2, 24
	v_lshlrev_b32_e32 v3, 20, v28
	v_lshl_add_u32 v1, v1, 23, 0x3c000000
	v_lshlrev_b32_sdwa v2, v2, v0 dst_sel:DWORD dst_unused:UNUSED_PAD src0_sel:DWORD src1_sel:WORD_1
	v_and_b32_e32 v2, 0x80000000, v2
	v_or3_b32 v28, v3, v2, v1
	v_mov_b32_e32 v47, v29
	v_mov_b32_e32 v46, v28
.LBB212_744:                            ;   in Loop: Header=BB212_15 Depth=1
	s_or_b32 exec_lo, exec_lo, s20
.LBB212_745:                            ;   in Loop: Header=BB212_15 Depth=1
	s_or_b32 exec_lo, exec_lo, s19
.LBB212_746:                            ;   in Loop: Header=BB212_15 Depth=1
	s_or_b32 exec_lo, exec_lo, s18
	s_mov_b32 s18, exec_lo
	v_cmpx_lt_u32_e32 0xffffff, v0
	s_cbranch_execz .LBB212_754
; %bb.747:                              ;   in Loop: Header=BB212_15 Depth=1
	v_mov_b32_e32 v32, v29
	v_mov_b32_e32 v1, 0x80
	;; [unrolled: 1-line block ×4, first 2 shown]
	v_cmp_ne_u32_sdwa s5, v0, v1 src0_sel:BYTE_3 src1_sel:DWORD
	s_and_saveexec_b32 s19, s5
	s_cbranch_execz .LBB212_753
; %bb.748:                              ;   in Loop: Header=BB212_15 Depth=1
	s_clause 0x1
	buffer_load_dword v74, off, s[0:3], s32 offset:192
	buffer_load_dword v75, off, s[0:3], s32 offset:196
	v_bfe_u32 v2, v0, 24, 7
	s_waitcnt vmcnt(1)
	v_mov_b32_e32 v74, v29
	s_mov_b32 s20, exec_lo
	s_waitcnt vmcnt(0)
	v_mov_b32_e32 v1, v75
	buffer_store_dword v0, off, s[0:3], s32 offset:192 ; 4-byte Folded Spill
	buffer_store_dword v1, off, s[0:3], s32 offset:196 ; 4-byte Folded Spill
	v_cmpx_ne_u32_e32 0x7f, v2
	s_cbranch_execz .LBB212_752
; %bb.749:                              ;   in Loop: Header=BB212_15 Depth=1
	v_mov_b32_e32 v1, 7
	s_mov_b32 s21, exec_lo
	v_and_b32_sdwa v28, v0, v1 dst_sel:DWORD dst_unused:UNUSED_PAD src0_sel:BYTE_3 src1_sel:DWORD
	v_lshrrev_b32_e32 v1, 3, v2
	v_cmpx_gt_u32_e32 8, v2
; %bb.750:                              ;   in Loop: Header=BB212_15 Depth=1
	v_ffbh_u32_e32 v1, v28
	v_min_u32_e32 v1, 32, v1
	v_subrev_nc_u32_e32 v2, 28, v1
	v_sub_nc_u32_e32 v1, 29, v1
	v_lshlrev_b64 v[2:3], v2, v[28:29]
	v_and_b32_e32 v28, 7, v2
; %bb.751:                              ;   in Loop: Header=BB212_15 Depth=1
	s_or_b32 exec_lo, exec_lo, s21
	v_mov_b32_e32 v2, 24
	v_lshl_add_u32 v1, v1, 23, 0x3c000000
	v_mov_b32_e32 v74, v29
	v_lshlrev_b32_sdwa v0, v2, v0 dst_sel:DWORD dst_unused:UNUSED_PAD src0_sel:DWORD src1_sel:BYTE_3
	v_lshlrev_b32_e32 v2, 20, v28
	v_and_b32_e32 v0, 0x80000000, v0
	v_or3_b32 v75, v2, v0, v1
.LBB212_752:                            ;   in Loop: Header=BB212_15 Depth=1
	s_or_b32 exec_lo, exec_lo, s20
.LBB212_753:                            ;   in Loop: Header=BB212_15 Depth=1
	s_or_b32 exec_lo, exec_lo, s19
.LBB212_754:                            ;   in Loop: Header=BB212_15 Depth=1
	s_or_b32 exec_lo, exec_lo, s18
	flat_load_dword v0, v[52:53] offset:524
	v_mov_b32_e32 v76, 0
	v_mov_b32_e32 v66, 0
	;; [unrolled: 1-line block ×4, first 2 shown]
	s_waitcnt vmcnt(0) lgkmcnt(0)
	v_cmp_ne_u16_sdwa s5, v0, v29 src0_sel:BYTE_0 src1_sel:DWORD
	s_and_saveexec_b32 s18, s5
	s_cbranch_execz .LBB212_762
; %bb.755:                              ;   in Loop: Header=BB212_15 Depth=1
	v_mov_b32_e32 v1, 0x80
	v_bfrev_b32_e32 v66, 1
	v_mov_b32_e32 v67, 0
	v_cmp_ne_u16_sdwa s5, v0, v1 src0_sel:BYTE_0 src1_sel:DWORD
	s_and_saveexec_b32 s19, s5
	s_cbranch_execz .LBB212_761
; %bb.756:                              ;   in Loop: Header=BB212_15 Depth=1
	v_mov_b32_e32 v66, 0x7f800001
	v_and_b32_e32 v2, 0x7f, v0
	v_mov_b32_e32 v67, 0
	s_mov_b32 s20, exec_lo
	v_cmpx_ne_u32_e32 0x7f, v2
	s_cbranch_execz .LBB212_760
; %bb.757:                              ;   in Loop: Header=BB212_15 Depth=1
	v_and_b32_e32 v28, 7, v0
	v_lshrrev_b32_e32 v1, 3, v2
	s_mov_b32 s21, exec_lo
	v_cmpx_gt_u32_e32 8, v2
; %bb.758:                              ;   in Loop: Header=BB212_15 Depth=1
	v_ffbh_u32_e32 v1, v28
	v_min_u32_e32 v1, 32, v1
	v_subrev_nc_u32_e32 v2, 28, v1
	v_sub_nc_u32_e32 v1, 29, v1
	v_lshlrev_b64 v[2:3], v2, v[28:29]
	v_and_b32_e32 v28, 7, v2
; %bb.759:                              ;   in Loop: Header=BB212_15 Depth=1
	s_or_b32 exec_lo, exec_lo, s21
	v_lshlrev_b32_e32 v2, 24, v0
	v_lshlrev_b32_e32 v3, 20, v28
	v_lshl_add_u32 v1, v1, 23, 0x3c000000
	v_and_b32_e32 v2, 0x80000000, v2
	v_or3_b32 v28, v3, v2, v1
	v_mov_b32_e32 v67, v29
	v_mov_b32_e32 v66, v28
.LBB212_760:                            ;   in Loop: Header=BB212_15 Depth=1
	s_or_b32 exec_lo, exec_lo, s20
.LBB212_761:                            ;   in Loop: Header=BB212_15 Depth=1
	s_or_b32 exec_lo, exec_lo, s19
.LBB212_762:                            ;   in Loop: Header=BB212_15 Depth=1
	s_or_b32 exec_lo, exec_lo, s18
	v_cmp_ne_u16_sdwa s5, v0, v29 src0_sel:BYTE_1 src1_sel:DWORD
	s_and_saveexec_b32 s18, s5
	s_cbranch_execz .LBB212_770
; %bb.763:                              ;   in Loop: Header=BB212_15 Depth=1
	v_mov_b32_e32 v32, v29
	v_mov_b32_e32 v1, 0x80
	;; [unrolled: 1-line block ×4, first 2 shown]
	v_cmp_ne_u16_sdwa s5, v0, v1 src0_sel:BYTE_1 src1_sel:DWORD
	s_and_saveexec_b32 s19, s5
	s_cbranch_execz .LBB212_769
; %bb.764:                              ;   in Loop: Header=BB212_15 Depth=1
	s_clause 0x1
	buffer_load_dword v76, off, s[0:3], s32 offset:192
	buffer_load_dword v77, off, s[0:3], s32 offset:196
	v_mov_b32_e32 v1, 0xffff
	s_waitcnt vmcnt(1)
	v_mov_b32_e32 v76, v29
	s_mov_b32 s20, exec_lo
	v_and_b32_sdwa v1, v1, v0 dst_sel:DWORD dst_unused:UNUSED_PAD src0_sel:DWORD src1_sel:BYTE_1
	v_and_b32_e32 v2, 0x7f, v1
	s_waitcnt vmcnt(0)
	v_mov_b32_e32 v3, v77
	buffer_store_dword v2, off, s[0:3], s32 offset:192 ; 4-byte Folded Spill
	buffer_store_dword v3, off, s[0:3], s32 offset:196 ; 4-byte Folded Spill
	v_cmpx_ne_u32_e32 0x7f, v2
	s_cbranch_execz .LBB212_768
; %bb.765:                              ;   in Loop: Header=BB212_15 Depth=1
	v_and_b32_e32 v28, 7, v1
	v_lshrrev_b32_e32 v1, 3, v2
	s_mov_b32 s21, exec_lo
	v_cmpx_gt_u32_e32 8, v2
; %bb.766:                              ;   in Loop: Header=BB212_15 Depth=1
	v_ffbh_u32_e32 v1, v28
	v_min_u32_e32 v1, 32, v1
	v_subrev_nc_u32_e32 v2, 28, v1
	v_sub_nc_u32_e32 v1, 29, v1
	v_lshlrev_b64 v[2:3], v2, v[28:29]
	v_and_b32_e32 v28, 7, v2
; %bb.767:                              ;   in Loop: Header=BB212_15 Depth=1
	s_or_b32 exec_lo, exec_lo, s21
	v_lshlrev_b32_e32 v2, 16, v0
	v_lshlrev_b32_e32 v3, 20, v28
	v_lshl_add_u32 v1, v1, 23, 0x3c000000
	v_mov_b32_e32 v76, v29
	v_and_b32_e32 v2, 0x80000000, v2
	v_or3_b32 v77, v3, v2, v1
.LBB212_768:                            ;   in Loop: Header=BB212_15 Depth=1
	s_or_b32 exec_lo, exec_lo, s20
.LBB212_769:                            ;   in Loop: Header=BB212_15 Depth=1
	s_or_b32 exec_lo, exec_lo, s19
.LBB212_770:                            ;   in Loop: Header=BB212_15 Depth=1
	s_or_b32 exec_lo, exec_lo, s18
	v_mov_b32_e32 v1, 0xff
	v_mov_b32_e32 v62, 0
	;; [unrolled: 1-line block ×5, first 2 shown]
	v_and_b32_sdwa v1, v0, v1 dst_sel:DWORD dst_unused:UNUSED_PAD src0_sel:WORD_1 src1_sel:DWORD
	s_mov_b32 s18, exec_lo
	v_cmpx_ne_u16_e32 0, v1
	s_cbranch_execz .LBB212_778
; %bb.771:                              ;   in Loop: Header=BB212_15 Depth=1
	v_bfrev_b32_e32 v90, 1
	v_mov_b32_e32 v91, 0
	s_mov_b32 s19, exec_lo
	v_cmpx_ne_u16_e32 0x80, v1
	s_cbranch_execz .LBB212_777
; %bb.772:                              ;   in Loop: Header=BB212_15 Depth=1
	v_mov_b32_e32 v90, 0x7f800001
	v_bfe_u32 v2, v0, 16, 7
	v_mov_b32_e32 v91, 0
	s_mov_b32 s20, exec_lo
	v_cmpx_ne_u32_e32 0x7f, v2
	s_cbranch_execz .LBB212_776
; %bb.773:                              ;   in Loop: Header=BB212_15 Depth=1
	v_mov_b32_e32 v1, 7
	s_mov_b32 s21, exec_lo
	v_and_b32_sdwa v28, v0, v1 dst_sel:DWORD dst_unused:UNUSED_PAD src0_sel:WORD_1 src1_sel:DWORD
	v_lshrrev_b32_e32 v1, 3, v2
	v_cmpx_gt_u32_e32 8, v2
; %bb.774:                              ;   in Loop: Header=BB212_15 Depth=1
	v_ffbh_u32_e32 v1, v28
	v_min_u32_e32 v1, 32, v1
	v_subrev_nc_u32_e32 v2, 28, v1
	v_sub_nc_u32_e32 v1, 29, v1
	v_lshlrev_b64 v[2:3], v2, v[28:29]
	v_and_b32_e32 v28, 7, v2
; %bb.775:                              ;   in Loop: Header=BB212_15 Depth=1
	s_or_b32 exec_lo, exec_lo, s21
	v_mov_b32_e32 v2, 24
	v_lshlrev_b32_e32 v3, 20, v28
	v_lshl_add_u32 v1, v1, 23, 0x3c000000
	v_lshlrev_b32_sdwa v2, v2, v0 dst_sel:DWORD dst_unused:UNUSED_PAD src0_sel:DWORD src1_sel:WORD_1
	v_and_b32_e32 v2, 0x80000000, v2
	v_or3_b32 v28, v3, v2, v1
	v_mov_b32_e32 v91, v29
	v_mov_b32_e32 v90, v28
.LBB212_776:                            ;   in Loop: Header=BB212_15 Depth=1
	s_or_b32 exec_lo, exec_lo, s20
.LBB212_777:                            ;   in Loop: Header=BB212_15 Depth=1
	s_or_b32 exec_lo, exec_lo, s19
.LBB212_778:                            ;   in Loop: Header=BB212_15 Depth=1
	s_or_b32 exec_lo, exec_lo, s18
	s_mov_b32 s18, exec_lo
	v_cmpx_lt_u32_e32 0xffffff, v0
	s_cbranch_execz .LBB212_786
; %bb.779:                              ;   in Loop: Header=BB212_15 Depth=1
	v_mov_b32_e32 v32, v29
	v_mov_b32_e32 v1, 0x80
	;; [unrolled: 1-line block ×4, first 2 shown]
	v_cmp_ne_u32_sdwa s5, v0, v1 src0_sel:BYTE_3 src1_sel:DWORD
	s_and_saveexec_b32 s19, s5
	s_cbranch_execz .LBB212_785
; %bb.780:                              ;   in Loop: Header=BB212_15 Depth=1
	s_clause 0x1
	buffer_load_dword v62, off, s[0:3], s32 offset:192
	buffer_load_dword v63, off, s[0:3], s32 offset:196
	v_bfe_u32 v2, v0, 24, 7
	s_waitcnt vmcnt(1)
	v_mov_b32_e32 v62, v29
	s_mov_b32 s20, exec_lo
	s_waitcnt vmcnt(0)
	v_mov_b32_e32 v1, v63
	buffer_store_dword v0, off, s[0:3], s32 offset:192 ; 4-byte Folded Spill
	buffer_store_dword v1, off, s[0:3], s32 offset:196 ; 4-byte Folded Spill
	v_cmpx_ne_u32_e32 0x7f, v2
	s_cbranch_execz .LBB212_784
; %bb.781:                              ;   in Loop: Header=BB212_15 Depth=1
	v_mov_b32_e32 v1, 7
	s_mov_b32 s21, exec_lo
	v_and_b32_sdwa v28, v0, v1 dst_sel:DWORD dst_unused:UNUSED_PAD src0_sel:BYTE_3 src1_sel:DWORD
	v_lshrrev_b32_e32 v1, 3, v2
	v_cmpx_gt_u32_e32 8, v2
; %bb.782:                              ;   in Loop: Header=BB212_15 Depth=1
	v_ffbh_u32_e32 v1, v28
	v_min_u32_e32 v1, 32, v1
	v_subrev_nc_u32_e32 v2, 28, v1
	v_sub_nc_u32_e32 v1, 29, v1
	v_lshlrev_b64 v[2:3], v2, v[28:29]
	v_and_b32_e32 v28, 7, v2
; %bb.783:                              ;   in Loop: Header=BB212_15 Depth=1
	s_or_b32 exec_lo, exec_lo, s21
	v_mov_b32_e32 v2, 24
	v_lshl_add_u32 v1, v1, 23, 0x3c000000
	v_mov_b32_e32 v62, v29
	v_lshlrev_b32_sdwa v0, v2, v0 dst_sel:DWORD dst_unused:UNUSED_PAD src0_sel:DWORD src1_sel:BYTE_3
	v_lshlrev_b32_e32 v2, 20, v28
	v_and_b32_e32 v0, 0x80000000, v0
	v_or3_b32 v63, v2, v0, v1
.LBB212_784:                            ;   in Loop: Header=BB212_15 Depth=1
	s_or_b32 exec_lo, exec_lo, s20
.LBB212_785:                            ;   in Loop: Header=BB212_15 Depth=1
	s_or_b32 exec_lo, exec_lo, s19
.LBB212_786:                            ;   in Loop: Header=BB212_15 Depth=1
	s_or_b32 exec_lo, exec_lo, s18
	flat_load_dword v0, v[52:53] offset:1024
	v_mov_b32_e32 v92, 0
	v_mov_b32_e32 v72, 0
	;; [unrolled: 1-line block ×4, first 2 shown]
	s_waitcnt vmcnt(0) lgkmcnt(0)
	v_cmp_ne_u16_sdwa s5, v0, v29 src0_sel:BYTE_0 src1_sel:DWORD
	s_and_saveexec_b32 s18, s5
	s_cbranch_execz .LBB212_794
; %bb.787:                              ;   in Loop: Header=BB212_15 Depth=1
	v_mov_b32_e32 v1, 0x80
	v_bfrev_b32_e32 v72, 1
	v_mov_b32_e32 v73, 0
	v_cmp_ne_u16_sdwa s5, v0, v1 src0_sel:BYTE_0 src1_sel:DWORD
	s_and_saveexec_b32 s19, s5
	s_cbranch_execz .LBB212_793
; %bb.788:                              ;   in Loop: Header=BB212_15 Depth=1
	v_mov_b32_e32 v72, 0x7f800001
	v_and_b32_e32 v2, 0x7f, v0
	v_mov_b32_e32 v73, 0
	s_mov_b32 s20, exec_lo
	v_cmpx_ne_u32_e32 0x7f, v2
	s_cbranch_execz .LBB212_792
; %bb.789:                              ;   in Loop: Header=BB212_15 Depth=1
	v_and_b32_e32 v28, 7, v0
	v_lshrrev_b32_e32 v1, 3, v2
	s_mov_b32 s21, exec_lo
	v_cmpx_gt_u32_e32 8, v2
; %bb.790:                              ;   in Loop: Header=BB212_15 Depth=1
	v_ffbh_u32_e32 v1, v28
	v_min_u32_e32 v1, 32, v1
	v_subrev_nc_u32_e32 v2, 28, v1
	v_sub_nc_u32_e32 v1, 29, v1
	v_lshlrev_b64 v[2:3], v2, v[28:29]
	v_and_b32_e32 v28, 7, v2
; %bb.791:                              ;   in Loop: Header=BB212_15 Depth=1
	s_or_b32 exec_lo, exec_lo, s21
	v_lshlrev_b32_e32 v2, 24, v0
	v_lshlrev_b32_e32 v3, 20, v28
	v_lshl_add_u32 v1, v1, 23, 0x3c000000
	v_and_b32_e32 v2, 0x80000000, v2
	v_or3_b32 v28, v3, v2, v1
	v_mov_b32_e32 v73, v29
	v_mov_b32_e32 v72, v28
.LBB212_792:                            ;   in Loop: Header=BB212_15 Depth=1
	s_or_b32 exec_lo, exec_lo, s20
.LBB212_793:                            ;   in Loop: Header=BB212_15 Depth=1
	s_or_b32 exec_lo, exec_lo, s19
.LBB212_794:                            ;   in Loop: Header=BB212_15 Depth=1
	s_or_b32 exec_lo, exec_lo, s18
	v_cmp_ne_u16_sdwa s5, v0, v29 src0_sel:BYTE_1 src1_sel:DWORD
	s_and_saveexec_b32 s18, s5
	s_cbranch_execz .LBB212_802
; %bb.795:                              ;   in Loop: Header=BB212_15 Depth=1
	v_mov_b32_e32 v32, v29
	v_mov_b32_e32 v1, 0x80
	;; [unrolled: 1-line block ×4, first 2 shown]
	v_cmp_ne_u16_sdwa s5, v0, v1 src0_sel:BYTE_1 src1_sel:DWORD
	s_and_saveexec_b32 s19, s5
	s_cbranch_execz .LBB212_801
; %bb.796:                              ;   in Loop: Header=BB212_15 Depth=1
	s_clause 0x1
	buffer_load_dword v92, off, s[0:3], s32 offset:192
	buffer_load_dword v93, off, s[0:3], s32 offset:196
	v_mov_b32_e32 v1, 0xffff
	s_waitcnt vmcnt(1)
	v_mov_b32_e32 v92, v29
	s_mov_b32 s20, exec_lo
	v_and_b32_sdwa v1, v1, v0 dst_sel:DWORD dst_unused:UNUSED_PAD src0_sel:DWORD src1_sel:BYTE_1
	v_and_b32_e32 v2, 0x7f, v1
	s_waitcnt vmcnt(0)
	v_mov_b32_e32 v3, v93
	buffer_store_dword v2, off, s[0:3], s32 offset:192 ; 4-byte Folded Spill
	buffer_store_dword v3, off, s[0:3], s32 offset:196 ; 4-byte Folded Spill
	v_cmpx_ne_u32_e32 0x7f, v2
	s_cbranch_execz .LBB212_800
; %bb.797:                              ;   in Loop: Header=BB212_15 Depth=1
	v_and_b32_e32 v28, 7, v1
	v_lshrrev_b32_e32 v1, 3, v2
	s_mov_b32 s21, exec_lo
	v_cmpx_gt_u32_e32 8, v2
; %bb.798:                              ;   in Loop: Header=BB212_15 Depth=1
	v_ffbh_u32_e32 v1, v28
	v_min_u32_e32 v1, 32, v1
	v_subrev_nc_u32_e32 v2, 28, v1
	v_sub_nc_u32_e32 v1, 29, v1
	v_lshlrev_b64 v[2:3], v2, v[28:29]
	v_and_b32_e32 v28, 7, v2
; %bb.799:                              ;   in Loop: Header=BB212_15 Depth=1
	s_or_b32 exec_lo, exec_lo, s21
	v_lshlrev_b32_e32 v2, 16, v0
	v_lshlrev_b32_e32 v3, 20, v28
	v_lshl_add_u32 v1, v1, 23, 0x3c000000
	v_mov_b32_e32 v92, v29
	v_and_b32_e32 v2, 0x80000000, v2
	v_or3_b32 v93, v3, v2, v1
.LBB212_800:                            ;   in Loop: Header=BB212_15 Depth=1
	s_or_b32 exec_lo, exec_lo, s20
.LBB212_801:                            ;   in Loop: Header=BB212_15 Depth=1
	s_or_b32 exec_lo, exec_lo, s19
.LBB212_802:                            ;   in Loop: Header=BB212_15 Depth=1
	s_or_b32 exec_lo, exec_lo, s18
	v_mov_b32_e32 v1, 0xff
	v_mov_b32_e32 v78, 0
	;; [unrolled: 1-line block ×5, first 2 shown]
	v_and_b32_sdwa v1, v0, v1 dst_sel:DWORD dst_unused:UNUSED_PAD src0_sel:WORD_1 src1_sel:DWORD
	s_mov_b32 s18, exec_lo
	v_cmpx_ne_u16_e32 0, v1
	s_cbranch_execz .LBB212_810
; %bb.803:                              ;   in Loop: Header=BB212_15 Depth=1
	v_bfrev_b32_e32 v106, 1
	v_mov_b32_e32 v107, 0
	s_mov_b32 s19, exec_lo
	v_cmpx_ne_u16_e32 0x80, v1
	s_cbranch_execz .LBB212_809
; %bb.804:                              ;   in Loop: Header=BB212_15 Depth=1
	v_mov_b32_e32 v106, 0x7f800001
	v_bfe_u32 v2, v0, 16, 7
	v_mov_b32_e32 v107, 0
	s_mov_b32 s20, exec_lo
	v_cmpx_ne_u32_e32 0x7f, v2
	s_cbranch_execz .LBB212_808
; %bb.805:                              ;   in Loop: Header=BB212_15 Depth=1
	v_mov_b32_e32 v1, 7
	s_mov_b32 s21, exec_lo
	v_and_b32_sdwa v28, v0, v1 dst_sel:DWORD dst_unused:UNUSED_PAD src0_sel:WORD_1 src1_sel:DWORD
	v_lshrrev_b32_e32 v1, 3, v2
	v_cmpx_gt_u32_e32 8, v2
; %bb.806:                              ;   in Loop: Header=BB212_15 Depth=1
	v_ffbh_u32_e32 v1, v28
	v_min_u32_e32 v1, 32, v1
	v_subrev_nc_u32_e32 v2, 28, v1
	v_sub_nc_u32_e32 v1, 29, v1
	v_lshlrev_b64 v[2:3], v2, v[28:29]
	v_and_b32_e32 v28, 7, v2
; %bb.807:                              ;   in Loop: Header=BB212_15 Depth=1
	s_or_b32 exec_lo, exec_lo, s21
	v_mov_b32_e32 v2, 24
	v_lshlrev_b32_e32 v3, 20, v28
	v_lshl_add_u32 v1, v1, 23, 0x3c000000
	v_lshlrev_b32_sdwa v2, v2, v0 dst_sel:DWORD dst_unused:UNUSED_PAD src0_sel:DWORD src1_sel:WORD_1
	v_and_b32_e32 v2, 0x80000000, v2
	v_or3_b32 v28, v3, v2, v1
	v_mov_b32_e32 v107, v29
	v_mov_b32_e32 v106, v28
.LBB212_808:                            ;   in Loop: Header=BB212_15 Depth=1
	s_or_b32 exec_lo, exec_lo, s20
.LBB212_809:                            ;   in Loop: Header=BB212_15 Depth=1
	s_or_b32 exec_lo, exec_lo, s19
.LBB212_810:                            ;   in Loop: Header=BB212_15 Depth=1
	s_or_b32 exec_lo, exec_lo, s18
	s_mov_b32 s18, exec_lo
	v_cmpx_lt_u32_e32 0xffffff, v0
	s_cbranch_execz .LBB212_818
; %bb.811:                              ;   in Loop: Header=BB212_15 Depth=1
	v_mov_b32_e32 v32, v29
	v_mov_b32_e32 v1, 0x80
	;; [unrolled: 1-line block ×4, first 2 shown]
	v_cmp_ne_u32_sdwa s5, v0, v1 src0_sel:BYTE_3 src1_sel:DWORD
	s_and_saveexec_b32 s19, s5
	s_cbranch_execz .LBB212_817
; %bb.812:                              ;   in Loop: Header=BB212_15 Depth=1
	s_clause 0x1
	buffer_load_dword v78, off, s[0:3], s32 offset:192
	buffer_load_dword v79, off, s[0:3], s32 offset:196
	v_bfe_u32 v2, v0, 24, 7
	s_waitcnt vmcnt(1)
	v_mov_b32_e32 v78, v29
	s_mov_b32 s20, exec_lo
	s_waitcnt vmcnt(0)
	v_mov_b32_e32 v1, v79
	buffer_store_dword v0, off, s[0:3], s32 offset:192 ; 4-byte Folded Spill
	buffer_store_dword v1, off, s[0:3], s32 offset:196 ; 4-byte Folded Spill
	v_cmpx_ne_u32_e32 0x7f, v2
	s_cbranch_execz .LBB212_816
; %bb.813:                              ;   in Loop: Header=BB212_15 Depth=1
	v_mov_b32_e32 v1, 7
	s_mov_b32 s21, exec_lo
	v_and_b32_sdwa v28, v0, v1 dst_sel:DWORD dst_unused:UNUSED_PAD src0_sel:BYTE_3 src1_sel:DWORD
	v_lshrrev_b32_e32 v1, 3, v2
	v_cmpx_gt_u32_e32 8, v2
; %bb.814:                              ;   in Loop: Header=BB212_15 Depth=1
	v_ffbh_u32_e32 v1, v28
	v_min_u32_e32 v1, 32, v1
	v_subrev_nc_u32_e32 v2, 28, v1
	v_sub_nc_u32_e32 v1, 29, v1
	v_lshlrev_b64 v[2:3], v2, v[28:29]
	v_and_b32_e32 v28, 7, v2
; %bb.815:                              ;   in Loop: Header=BB212_15 Depth=1
	s_or_b32 exec_lo, exec_lo, s21
	v_mov_b32_e32 v2, 24
	v_lshl_add_u32 v1, v1, 23, 0x3c000000
	v_mov_b32_e32 v78, v29
	v_lshlrev_b32_sdwa v0, v2, v0 dst_sel:DWORD dst_unused:UNUSED_PAD src0_sel:DWORD src1_sel:BYTE_3
	v_lshlrev_b32_e32 v2, 20, v28
	v_and_b32_e32 v0, 0x80000000, v0
	v_or3_b32 v79, v2, v0, v1
.LBB212_816:                            ;   in Loop: Header=BB212_15 Depth=1
	s_or_b32 exec_lo, exec_lo, s20
.LBB212_817:                            ;   in Loop: Header=BB212_15 Depth=1
	s_or_b32 exec_lo, exec_lo, s19
.LBB212_818:                            ;   in Loop: Header=BB212_15 Depth=1
	s_or_b32 exec_lo, exec_lo, s18
	flat_load_dword v0, v[52:53] offset:1028
	v_mov_b32_e32 v108, 0
	v_mov_b32_e32 v88, 0
	;; [unrolled: 1-line block ×4, first 2 shown]
	s_waitcnt vmcnt(0) lgkmcnt(0)
	v_cmp_ne_u16_sdwa s5, v0, v29 src0_sel:BYTE_0 src1_sel:DWORD
	s_and_saveexec_b32 s18, s5
	s_cbranch_execz .LBB212_826
; %bb.819:                              ;   in Loop: Header=BB212_15 Depth=1
	v_mov_b32_e32 v1, 0x80
	v_bfrev_b32_e32 v88, 1
	v_mov_b32_e32 v89, 0
	v_cmp_ne_u16_sdwa s5, v0, v1 src0_sel:BYTE_0 src1_sel:DWORD
	s_and_saveexec_b32 s19, s5
	s_cbranch_execz .LBB212_825
; %bb.820:                              ;   in Loop: Header=BB212_15 Depth=1
	v_mov_b32_e32 v88, 0x7f800001
	v_and_b32_e32 v2, 0x7f, v0
	v_mov_b32_e32 v89, 0
	s_mov_b32 s20, exec_lo
	v_cmpx_ne_u32_e32 0x7f, v2
	s_cbranch_execz .LBB212_824
; %bb.821:                              ;   in Loop: Header=BB212_15 Depth=1
	v_and_b32_e32 v28, 7, v0
	v_lshrrev_b32_e32 v1, 3, v2
	s_mov_b32 s21, exec_lo
	v_cmpx_gt_u32_e32 8, v2
; %bb.822:                              ;   in Loop: Header=BB212_15 Depth=1
	v_ffbh_u32_e32 v1, v28
	v_min_u32_e32 v1, 32, v1
	v_subrev_nc_u32_e32 v2, 28, v1
	v_sub_nc_u32_e32 v1, 29, v1
	v_lshlrev_b64 v[2:3], v2, v[28:29]
	v_and_b32_e32 v28, 7, v2
; %bb.823:                              ;   in Loop: Header=BB212_15 Depth=1
	s_or_b32 exec_lo, exec_lo, s21
	v_lshlrev_b32_e32 v2, 24, v0
	v_lshlrev_b32_e32 v3, 20, v28
	v_lshl_add_u32 v1, v1, 23, 0x3c000000
	v_and_b32_e32 v2, 0x80000000, v2
	v_or3_b32 v28, v3, v2, v1
	v_mov_b32_e32 v89, v29
	v_mov_b32_e32 v88, v28
.LBB212_824:                            ;   in Loop: Header=BB212_15 Depth=1
	s_or_b32 exec_lo, exec_lo, s20
.LBB212_825:                            ;   in Loop: Header=BB212_15 Depth=1
	s_or_b32 exec_lo, exec_lo, s19
.LBB212_826:                            ;   in Loop: Header=BB212_15 Depth=1
	s_or_b32 exec_lo, exec_lo, s18
	v_cmp_ne_u16_sdwa s5, v0, v29 src0_sel:BYTE_1 src1_sel:DWORD
	s_and_saveexec_b32 s18, s5
	s_cbranch_execz .LBB212_834
; %bb.827:                              ;   in Loop: Header=BB212_15 Depth=1
	v_mov_b32_e32 v32, v29
	v_mov_b32_e32 v1, 0x80
	;; [unrolled: 1-line block ×4, first 2 shown]
	v_cmp_ne_u16_sdwa s5, v0, v1 src0_sel:BYTE_1 src1_sel:DWORD
	s_and_saveexec_b32 s19, s5
	s_cbranch_execz .LBB212_833
; %bb.828:                              ;   in Loop: Header=BB212_15 Depth=1
	s_clause 0x1
	buffer_load_dword v108, off, s[0:3], s32 offset:192
	buffer_load_dword v109, off, s[0:3], s32 offset:196
	v_mov_b32_e32 v1, 0xffff
	s_waitcnt vmcnt(1)
	v_mov_b32_e32 v108, v29
	s_mov_b32 s20, exec_lo
	v_and_b32_sdwa v1, v1, v0 dst_sel:DWORD dst_unused:UNUSED_PAD src0_sel:DWORD src1_sel:BYTE_1
	v_and_b32_e32 v2, 0x7f, v1
	s_waitcnt vmcnt(0)
	v_mov_b32_e32 v3, v109
	buffer_store_dword v2, off, s[0:3], s32 offset:192 ; 4-byte Folded Spill
	buffer_store_dword v3, off, s[0:3], s32 offset:196 ; 4-byte Folded Spill
	v_cmpx_ne_u32_e32 0x7f, v2
	s_cbranch_execz .LBB212_832
; %bb.829:                              ;   in Loop: Header=BB212_15 Depth=1
	v_and_b32_e32 v28, 7, v1
	v_lshrrev_b32_e32 v1, 3, v2
	s_mov_b32 s21, exec_lo
	v_cmpx_gt_u32_e32 8, v2
; %bb.830:                              ;   in Loop: Header=BB212_15 Depth=1
	v_ffbh_u32_e32 v1, v28
	v_min_u32_e32 v1, 32, v1
	v_subrev_nc_u32_e32 v2, 28, v1
	v_sub_nc_u32_e32 v1, 29, v1
	v_lshlrev_b64 v[2:3], v2, v[28:29]
	v_and_b32_e32 v28, 7, v2
; %bb.831:                              ;   in Loop: Header=BB212_15 Depth=1
	s_or_b32 exec_lo, exec_lo, s21
	v_lshlrev_b32_e32 v2, 16, v0
	v_lshlrev_b32_e32 v3, 20, v28
	v_lshl_add_u32 v1, v1, 23, 0x3c000000
	v_mov_b32_e32 v108, v29
	v_and_b32_e32 v2, 0x80000000, v2
	v_or3_b32 v109, v3, v2, v1
.LBB212_832:                            ;   in Loop: Header=BB212_15 Depth=1
	s_or_b32 exec_lo, exec_lo, s20
.LBB212_833:                            ;   in Loop: Header=BB212_15 Depth=1
	s_or_b32 exec_lo, exec_lo, s19
.LBB212_834:                            ;   in Loop: Header=BB212_15 Depth=1
	s_or_b32 exec_lo, exec_lo, s18
	v_mov_b32_e32 v1, 0xff
	v_mov_b32_e32 v94, 0
	;; [unrolled: 1-line block ×5, first 2 shown]
	v_and_b32_sdwa v1, v0, v1 dst_sel:DWORD dst_unused:UNUSED_PAD src0_sel:WORD_1 src1_sel:DWORD
	s_mov_b32 s18, exec_lo
	v_cmpx_ne_u16_e32 0, v1
	s_cbranch_execz .LBB212_842
; %bb.835:                              ;   in Loop: Header=BB212_15 Depth=1
	v_bfrev_b32_e32 v122, 1
	v_mov_b32_e32 v123, 0
	s_mov_b32 s19, exec_lo
	v_cmpx_ne_u16_e32 0x80, v1
	s_cbranch_execz .LBB212_841
; %bb.836:                              ;   in Loop: Header=BB212_15 Depth=1
	v_mov_b32_e32 v122, 0x7f800001
	v_bfe_u32 v2, v0, 16, 7
	v_mov_b32_e32 v123, 0
	s_mov_b32 s20, exec_lo
	v_cmpx_ne_u32_e32 0x7f, v2
	s_cbranch_execz .LBB212_840
; %bb.837:                              ;   in Loop: Header=BB212_15 Depth=1
	v_mov_b32_e32 v1, 7
	s_mov_b32 s21, exec_lo
	v_and_b32_sdwa v28, v0, v1 dst_sel:DWORD dst_unused:UNUSED_PAD src0_sel:WORD_1 src1_sel:DWORD
	v_lshrrev_b32_e32 v1, 3, v2
	v_cmpx_gt_u32_e32 8, v2
; %bb.838:                              ;   in Loop: Header=BB212_15 Depth=1
	v_ffbh_u32_e32 v1, v28
	v_min_u32_e32 v1, 32, v1
	v_subrev_nc_u32_e32 v2, 28, v1
	v_sub_nc_u32_e32 v1, 29, v1
	v_lshlrev_b64 v[2:3], v2, v[28:29]
	v_and_b32_e32 v28, 7, v2
; %bb.839:                              ;   in Loop: Header=BB212_15 Depth=1
	s_or_b32 exec_lo, exec_lo, s21
	v_mov_b32_e32 v2, 24
	v_lshlrev_b32_e32 v3, 20, v28
	v_lshl_add_u32 v1, v1, 23, 0x3c000000
	v_lshlrev_b32_sdwa v2, v2, v0 dst_sel:DWORD dst_unused:UNUSED_PAD src0_sel:DWORD src1_sel:WORD_1
	v_and_b32_e32 v2, 0x80000000, v2
	v_or3_b32 v28, v3, v2, v1
	v_mov_b32_e32 v123, v29
	v_mov_b32_e32 v122, v28
.LBB212_840:                            ;   in Loop: Header=BB212_15 Depth=1
	s_or_b32 exec_lo, exec_lo, s20
.LBB212_841:                            ;   in Loop: Header=BB212_15 Depth=1
	s_or_b32 exec_lo, exec_lo, s19
.LBB212_842:                            ;   in Loop: Header=BB212_15 Depth=1
	s_or_b32 exec_lo, exec_lo, s18
	s_mov_b32 s18, exec_lo
	v_cmpx_lt_u32_e32 0xffffff, v0
	s_cbranch_execz .LBB212_850
; %bb.843:                              ;   in Loop: Header=BB212_15 Depth=1
	v_mov_b32_e32 v32, v29
	v_mov_b32_e32 v1, 0x80
	;; [unrolled: 1-line block ×4, first 2 shown]
	v_cmp_ne_u32_sdwa s5, v0, v1 src0_sel:BYTE_3 src1_sel:DWORD
	s_and_saveexec_b32 s19, s5
	s_cbranch_execz .LBB212_849
; %bb.844:                              ;   in Loop: Header=BB212_15 Depth=1
	s_clause 0x1
	buffer_load_dword v94, off, s[0:3], s32 offset:192
	buffer_load_dword v95, off, s[0:3], s32 offset:196
	v_bfe_u32 v2, v0, 24, 7
	s_waitcnt vmcnt(1)
	v_mov_b32_e32 v94, v29
	s_mov_b32 s20, exec_lo
	s_waitcnt vmcnt(0)
	v_mov_b32_e32 v1, v95
	buffer_store_dword v0, off, s[0:3], s32 offset:192 ; 4-byte Folded Spill
	buffer_store_dword v1, off, s[0:3], s32 offset:196 ; 4-byte Folded Spill
	v_cmpx_ne_u32_e32 0x7f, v2
	s_cbranch_execz .LBB212_848
; %bb.845:                              ;   in Loop: Header=BB212_15 Depth=1
	v_mov_b32_e32 v1, 7
	s_mov_b32 s21, exec_lo
	v_and_b32_sdwa v28, v0, v1 dst_sel:DWORD dst_unused:UNUSED_PAD src0_sel:BYTE_3 src1_sel:DWORD
	v_lshrrev_b32_e32 v1, 3, v2
	v_cmpx_gt_u32_e32 8, v2
; %bb.846:                              ;   in Loop: Header=BB212_15 Depth=1
	v_ffbh_u32_e32 v1, v28
	v_min_u32_e32 v1, 32, v1
	v_subrev_nc_u32_e32 v2, 28, v1
	v_sub_nc_u32_e32 v1, 29, v1
	v_lshlrev_b64 v[2:3], v2, v[28:29]
	v_and_b32_e32 v28, 7, v2
; %bb.847:                              ;   in Loop: Header=BB212_15 Depth=1
	s_or_b32 exec_lo, exec_lo, s21
	v_mov_b32_e32 v2, 24
	v_lshl_add_u32 v1, v1, 23, 0x3c000000
	v_mov_b32_e32 v94, v29
	v_lshlrev_b32_sdwa v0, v2, v0 dst_sel:DWORD dst_unused:UNUSED_PAD src0_sel:DWORD src1_sel:BYTE_3
	v_lshlrev_b32_e32 v2, 20, v28
	v_and_b32_e32 v0, 0x80000000, v0
	v_or3_b32 v95, v2, v0, v1
.LBB212_848:                            ;   in Loop: Header=BB212_15 Depth=1
	s_or_b32 exec_lo, exec_lo, s20
.LBB212_849:                            ;   in Loop: Header=BB212_15 Depth=1
	s_or_b32 exec_lo, exec_lo, s19
.LBB212_850:                            ;   in Loop: Header=BB212_15 Depth=1
	s_or_b32 exec_lo, exec_lo, s18
	flat_load_dword v0, v[52:53] offset:1032
	v_mov_b32_e32 v124, 0
	v_mov_b32_e32 v104, 0
	;; [unrolled: 1-line block ×4, first 2 shown]
	s_waitcnt vmcnt(0) lgkmcnt(0)
	v_cmp_ne_u16_sdwa s5, v0, v29 src0_sel:BYTE_0 src1_sel:DWORD
	s_and_saveexec_b32 s18, s5
	s_cbranch_execz .LBB212_858
; %bb.851:                              ;   in Loop: Header=BB212_15 Depth=1
	v_mov_b32_e32 v1, 0x80
	v_bfrev_b32_e32 v104, 1
	v_mov_b32_e32 v105, 0
	v_cmp_ne_u16_sdwa s5, v0, v1 src0_sel:BYTE_0 src1_sel:DWORD
	s_and_saveexec_b32 s19, s5
	s_cbranch_execz .LBB212_857
; %bb.852:                              ;   in Loop: Header=BB212_15 Depth=1
	v_mov_b32_e32 v104, 0x7f800001
	v_and_b32_e32 v2, 0x7f, v0
	v_mov_b32_e32 v105, 0
	s_mov_b32 s20, exec_lo
	v_cmpx_ne_u32_e32 0x7f, v2
	s_cbranch_execz .LBB212_856
; %bb.853:                              ;   in Loop: Header=BB212_15 Depth=1
	v_and_b32_e32 v28, 7, v0
	v_lshrrev_b32_e32 v1, 3, v2
	s_mov_b32 s21, exec_lo
	v_cmpx_gt_u32_e32 8, v2
; %bb.854:                              ;   in Loop: Header=BB212_15 Depth=1
	v_ffbh_u32_e32 v1, v28
	v_min_u32_e32 v1, 32, v1
	v_subrev_nc_u32_e32 v2, 28, v1
	v_sub_nc_u32_e32 v1, 29, v1
	v_lshlrev_b64 v[2:3], v2, v[28:29]
	v_and_b32_e32 v28, 7, v2
; %bb.855:                              ;   in Loop: Header=BB212_15 Depth=1
	s_or_b32 exec_lo, exec_lo, s21
	v_lshlrev_b32_e32 v2, 24, v0
	v_lshlrev_b32_e32 v3, 20, v28
	v_lshl_add_u32 v1, v1, 23, 0x3c000000
	v_and_b32_e32 v2, 0x80000000, v2
	v_or3_b32 v28, v3, v2, v1
	v_mov_b32_e32 v105, v29
	v_mov_b32_e32 v104, v28
.LBB212_856:                            ;   in Loop: Header=BB212_15 Depth=1
	s_or_b32 exec_lo, exec_lo, s20
.LBB212_857:                            ;   in Loop: Header=BB212_15 Depth=1
	s_or_b32 exec_lo, exec_lo, s19
.LBB212_858:                            ;   in Loop: Header=BB212_15 Depth=1
	s_or_b32 exec_lo, exec_lo, s18
	v_cmp_ne_u16_sdwa s5, v0, v29 src0_sel:BYTE_1 src1_sel:DWORD
	s_and_saveexec_b32 s18, s5
	s_cbranch_execz .LBB212_866
; %bb.859:                              ;   in Loop: Header=BB212_15 Depth=1
	v_mov_b32_e32 v32, v29
	v_mov_b32_e32 v1, 0x80
	;; [unrolled: 1-line block ×4, first 2 shown]
	v_cmp_ne_u16_sdwa s5, v0, v1 src0_sel:BYTE_1 src1_sel:DWORD
	s_and_saveexec_b32 s19, s5
	s_cbranch_execz .LBB212_865
; %bb.860:                              ;   in Loop: Header=BB212_15 Depth=1
	s_clause 0x1
	buffer_load_dword v124, off, s[0:3], s32 offset:192
	buffer_load_dword v125, off, s[0:3], s32 offset:196
	v_mov_b32_e32 v1, 0xffff
	s_waitcnt vmcnt(1)
	v_mov_b32_e32 v124, v29
	s_mov_b32 s20, exec_lo
	v_and_b32_sdwa v1, v1, v0 dst_sel:DWORD dst_unused:UNUSED_PAD src0_sel:DWORD src1_sel:BYTE_1
	v_and_b32_e32 v2, 0x7f, v1
	s_waitcnt vmcnt(0)
	v_mov_b32_e32 v3, v125
	buffer_store_dword v2, off, s[0:3], s32 offset:192 ; 4-byte Folded Spill
	buffer_store_dword v3, off, s[0:3], s32 offset:196 ; 4-byte Folded Spill
	v_cmpx_ne_u32_e32 0x7f, v2
	s_cbranch_execz .LBB212_864
; %bb.861:                              ;   in Loop: Header=BB212_15 Depth=1
	v_and_b32_e32 v28, 7, v1
	v_lshrrev_b32_e32 v1, 3, v2
	s_mov_b32 s21, exec_lo
	v_cmpx_gt_u32_e32 8, v2
; %bb.862:                              ;   in Loop: Header=BB212_15 Depth=1
	v_ffbh_u32_e32 v1, v28
	v_min_u32_e32 v1, 32, v1
	v_subrev_nc_u32_e32 v2, 28, v1
	v_sub_nc_u32_e32 v1, 29, v1
	v_lshlrev_b64 v[2:3], v2, v[28:29]
	v_and_b32_e32 v28, 7, v2
; %bb.863:                              ;   in Loop: Header=BB212_15 Depth=1
	s_or_b32 exec_lo, exec_lo, s21
	v_lshlrev_b32_e32 v2, 16, v0
	v_lshlrev_b32_e32 v3, 20, v28
	v_lshl_add_u32 v1, v1, 23, 0x3c000000
	v_mov_b32_e32 v124, v29
	v_and_b32_e32 v2, 0x80000000, v2
	v_or3_b32 v125, v3, v2, v1
.LBB212_864:                            ;   in Loop: Header=BB212_15 Depth=1
	s_or_b32 exec_lo, exec_lo, s20
.LBB212_865:                            ;   in Loop: Header=BB212_15 Depth=1
	s_or_b32 exec_lo, exec_lo, s19
.LBB212_866:                            ;   in Loop: Header=BB212_15 Depth=1
	s_or_b32 exec_lo, exec_lo, s18
	v_mov_b32_e32 v1, 0xff
	v_mov_b32_e32 v110, 0
	;; [unrolled: 1-line block ×5, first 2 shown]
	v_and_b32_sdwa v1, v0, v1 dst_sel:DWORD dst_unused:UNUSED_PAD src0_sel:WORD_1 src1_sel:DWORD
	s_mov_b32 s18, exec_lo
	v_cmpx_ne_u16_e32 0, v1
	s_cbranch_execz .LBB212_874
; %bb.867:                              ;   in Loop: Header=BB212_15 Depth=1
	v_bfrev_b32_e32 v80, 1
	v_mov_b32_e32 v81, 0
	s_mov_b32 s19, exec_lo
	v_cmpx_ne_u16_e32 0x80, v1
	s_cbranch_execz .LBB212_873
; %bb.868:                              ;   in Loop: Header=BB212_15 Depth=1
	v_mov_b32_e32 v80, 0x7f800001
	v_bfe_u32 v2, v0, 16, 7
	v_mov_b32_e32 v81, 0
	s_mov_b32 s20, exec_lo
	v_cmpx_ne_u32_e32 0x7f, v2
	s_cbranch_execz .LBB212_872
; %bb.869:                              ;   in Loop: Header=BB212_15 Depth=1
	v_mov_b32_e32 v1, 7
	s_mov_b32 s21, exec_lo
	v_and_b32_sdwa v28, v0, v1 dst_sel:DWORD dst_unused:UNUSED_PAD src0_sel:WORD_1 src1_sel:DWORD
	v_lshrrev_b32_e32 v1, 3, v2
	v_cmpx_gt_u32_e32 8, v2
; %bb.870:                              ;   in Loop: Header=BB212_15 Depth=1
	v_ffbh_u32_e32 v1, v28
	v_min_u32_e32 v1, 32, v1
	v_subrev_nc_u32_e32 v2, 28, v1
	v_sub_nc_u32_e32 v1, 29, v1
	v_lshlrev_b64 v[2:3], v2, v[28:29]
	v_and_b32_e32 v28, 7, v2
; %bb.871:                              ;   in Loop: Header=BB212_15 Depth=1
	s_or_b32 exec_lo, exec_lo, s21
	v_mov_b32_e32 v2, 24
	v_lshlrev_b32_e32 v3, 20, v28
	v_lshl_add_u32 v1, v1, 23, 0x3c000000
	v_lshlrev_b32_sdwa v2, v2, v0 dst_sel:DWORD dst_unused:UNUSED_PAD src0_sel:DWORD src1_sel:WORD_1
	v_and_b32_e32 v2, 0x80000000, v2
	v_or3_b32 v28, v3, v2, v1
	v_mov_b32_e32 v81, v29
	v_mov_b32_e32 v80, v28
.LBB212_872:                            ;   in Loop: Header=BB212_15 Depth=1
	s_or_b32 exec_lo, exec_lo, s20
.LBB212_873:                            ;   in Loop: Header=BB212_15 Depth=1
	s_or_b32 exec_lo, exec_lo, s19
.LBB212_874:                            ;   in Loop: Header=BB212_15 Depth=1
	s_or_b32 exec_lo, exec_lo, s18
	s_mov_b32 s18, exec_lo
	v_cmpx_lt_u32_e32 0xffffff, v0
	s_cbranch_execz .LBB212_882
; %bb.875:                              ;   in Loop: Header=BB212_15 Depth=1
	v_mov_b32_e32 v32, v29
	v_mov_b32_e32 v1, 0x80
	;; [unrolled: 1-line block ×4, first 2 shown]
	v_cmp_ne_u32_sdwa s5, v0, v1 src0_sel:BYTE_3 src1_sel:DWORD
	s_and_saveexec_b32 s19, s5
	s_cbranch_execz .LBB212_881
; %bb.876:                              ;   in Loop: Header=BB212_15 Depth=1
	s_clause 0x1
	buffer_load_dword v110, off, s[0:3], s32 offset:192
	buffer_load_dword v111, off, s[0:3], s32 offset:196
	v_bfe_u32 v2, v0, 24, 7
	s_waitcnt vmcnt(1)
	v_mov_b32_e32 v110, v29
	s_mov_b32 s20, exec_lo
	s_waitcnt vmcnt(0)
	v_mov_b32_e32 v1, v111
	buffer_store_dword v0, off, s[0:3], s32 offset:192 ; 4-byte Folded Spill
	buffer_store_dword v1, off, s[0:3], s32 offset:196 ; 4-byte Folded Spill
	v_cmpx_ne_u32_e32 0x7f, v2
	s_cbranch_execz .LBB212_880
; %bb.877:                              ;   in Loop: Header=BB212_15 Depth=1
	v_mov_b32_e32 v1, 7
	s_mov_b32 s21, exec_lo
	v_and_b32_sdwa v28, v0, v1 dst_sel:DWORD dst_unused:UNUSED_PAD src0_sel:BYTE_3 src1_sel:DWORD
	v_lshrrev_b32_e32 v1, 3, v2
	v_cmpx_gt_u32_e32 8, v2
; %bb.878:                              ;   in Loop: Header=BB212_15 Depth=1
	v_ffbh_u32_e32 v1, v28
	v_min_u32_e32 v1, 32, v1
	v_subrev_nc_u32_e32 v2, 28, v1
	v_sub_nc_u32_e32 v1, 29, v1
	v_lshlrev_b64 v[2:3], v2, v[28:29]
	v_and_b32_e32 v28, 7, v2
; %bb.879:                              ;   in Loop: Header=BB212_15 Depth=1
	s_or_b32 exec_lo, exec_lo, s21
	v_mov_b32_e32 v2, 24
	v_lshl_add_u32 v1, v1, 23, 0x3c000000
	v_mov_b32_e32 v110, v29
	v_lshlrev_b32_sdwa v0, v2, v0 dst_sel:DWORD dst_unused:UNUSED_PAD src0_sel:DWORD src1_sel:BYTE_3
	v_lshlrev_b32_e32 v2, 20, v28
	v_and_b32_e32 v0, 0x80000000, v0
	v_or3_b32 v111, v2, v0, v1
.LBB212_880:                            ;   in Loop: Header=BB212_15 Depth=1
	s_or_b32 exec_lo, exec_lo, s20
.LBB212_881:                            ;   in Loop: Header=BB212_15 Depth=1
	s_or_b32 exec_lo, exec_lo, s19
.LBB212_882:                            ;   in Loop: Header=BB212_15 Depth=1
	s_or_b32 exec_lo, exec_lo, s18
	flat_load_dword v0, v[52:53] offset:1036
	v_mov_b32_e32 v26, 0
	v_mov_b32_e32 v120, 0
	;; [unrolled: 1-line block ×4, first 2 shown]
	s_waitcnt vmcnt(0) lgkmcnt(0)
	v_cmp_ne_u16_sdwa s5, v0, v29 src0_sel:BYTE_0 src1_sel:DWORD
	s_and_saveexec_b32 s18, s5
	s_cbranch_execz .LBB212_890
; %bb.883:                              ;   in Loop: Header=BB212_15 Depth=1
	v_mov_b32_e32 v1, 0x80
	v_bfrev_b32_e32 v120, 1
	v_mov_b32_e32 v121, 0
	v_cmp_ne_u16_sdwa s5, v0, v1 src0_sel:BYTE_0 src1_sel:DWORD
	s_and_saveexec_b32 s19, s5
	s_cbranch_execz .LBB212_889
; %bb.884:                              ;   in Loop: Header=BB212_15 Depth=1
	v_mov_b32_e32 v120, 0x7f800001
	v_and_b32_e32 v2, 0x7f, v0
	v_mov_b32_e32 v121, 0
	s_mov_b32 s20, exec_lo
	v_cmpx_ne_u32_e32 0x7f, v2
	s_cbranch_execz .LBB212_888
; %bb.885:                              ;   in Loop: Header=BB212_15 Depth=1
	v_and_b32_e32 v28, 7, v0
	v_lshrrev_b32_e32 v1, 3, v2
	s_mov_b32 s21, exec_lo
	v_cmpx_gt_u32_e32 8, v2
; %bb.886:                              ;   in Loop: Header=BB212_15 Depth=1
	v_ffbh_u32_e32 v1, v28
	v_min_u32_e32 v1, 32, v1
	v_subrev_nc_u32_e32 v2, 28, v1
	v_sub_nc_u32_e32 v1, 29, v1
	v_lshlrev_b64 v[2:3], v2, v[28:29]
	v_and_b32_e32 v28, 7, v2
; %bb.887:                              ;   in Loop: Header=BB212_15 Depth=1
	s_or_b32 exec_lo, exec_lo, s21
	v_lshlrev_b32_e32 v2, 24, v0
	v_lshlrev_b32_e32 v3, 20, v28
	v_lshl_add_u32 v1, v1, 23, 0x3c000000
	v_and_b32_e32 v2, 0x80000000, v2
	v_or3_b32 v28, v3, v2, v1
	v_mov_b32_e32 v121, v29
	v_mov_b32_e32 v120, v28
.LBB212_888:                            ;   in Loop: Header=BB212_15 Depth=1
	s_or_b32 exec_lo, exec_lo, s20
.LBB212_889:                            ;   in Loop: Header=BB212_15 Depth=1
	s_or_b32 exec_lo, exec_lo, s19
.LBB212_890:                            ;   in Loop: Header=BB212_15 Depth=1
	s_or_b32 exec_lo, exec_lo, s18
	v_cmp_ne_u16_sdwa s5, v0, v29 src0_sel:BYTE_1 src1_sel:DWORD
	s_and_saveexec_b32 s18, s5
	s_cbranch_execz .LBB212_898
; %bb.891:                              ;   in Loop: Header=BB212_15 Depth=1
	v_mov_b32_e32 v32, v29
	v_mov_b32_e32 v1, 0x80
	;; [unrolled: 1-line block ×3, first 2 shown]
	v_cmp_ne_u16_sdwa s5, v0, v1 src0_sel:BYTE_1 src1_sel:DWORD
	v_mov_b32_e32 v27, v33
	s_and_saveexec_b32 s19, s5
	s_cbranch_execz .LBB212_897
; %bb.892:                              ;   in Loop: Header=BB212_15 Depth=1
	s_clause 0x1
	buffer_load_dword v26, off, s[0:3], s32 offset:192
	buffer_load_dword v27, off, s[0:3], s32 offset:196
	v_mov_b32_e32 v1, 0xffff
	s_waitcnt vmcnt(1)
	v_mov_b32_e32 v26, v29
	s_mov_b32 s20, exec_lo
	v_and_b32_sdwa v1, v1, v0 dst_sel:DWORD dst_unused:UNUSED_PAD src0_sel:DWORD src1_sel:BYTE_1
	v_and_b32_e32 v2, 0x7f, v1
	s_waitcnt vmcnt(0)
	v_mov_b32_e32 v3, v27
	buffer_store_dword v2, off, s[0:3], s32 offset:192 ; 4-byte Folded Spill
	buffer_store_dword v3, off, s[0:3], s32 offset:196 ; 4-byte Folded Spill
	v_cmpx_ne_u32_e32 0x7f, v2
	s_cbranch_execz .LBB212_896
; %bb.893:                              ;   in Loop: Header=BB212_15 Depth=1
	v_and_b32_e32 v28, 7, v1
	v_lshrrev_b32_e32 v1, 3, v2
	s_mov_b32 s21, exec_lo
	v_cmpx_gt_u32_e32 8, v2
; %bb.894:                              ;   in Loop: Header=BB212_15 Depth=1
	v_ffbh_u32_e32 v1, v28
	v_min_u32_e32 v1, 32, v1
	v_subrev_nc_u32_e32 v2, 28, v1
	v_sub_nc_u32_e32 v1, 29, v1
	v_lshlrev_b64 v[2:3], v2, v[28:29]
	v_and_b32_e32 v28, 7, v2
; %bb.895:                              ;   in Loop: Header=BB212_15 Depth=1
	s_or_b32 exec_lo, exec_lo, s21
	v_lshlrev_b32_e32 v2, 16, v0
	v_lshlrev_b32_e32 v3, 20, v28
	v_lshl_add_u32 v1, v1, 23, 0x3c000000
	v_mov_b32_e32 v26, v29
	v_and_b32_e32 v2, 0x80000000, v2
	v_or3_b32 v27, v3, v2, v1
.LBB212_896:                            ;   in Loop: Header=BB212_15 Depth=1
	s_or_b32 exec_lo, exec_lo, s20
.LBB212_897:                            ;   in Loop: Header=BB212_15 Depth=1
	s_or_b32 exec_lo, exec_lo, s19
.LBB212_898:                            ;   in Loop: Header=BB212_15 Depth=1
	s_or_b32 exec_lo, exec_lo, s18
	v_mov_b32_e32 v1, 0xff
	v_mov_b32_e32 v126, 0
	;; [unrolled: 1-line block ×5, first 2 shown]
	v_and_b32_sdwa v1, v0, v1 dst_sel:DWORD dst_unused:UNUSED_PAD src0_sel:WORD_1 src1_sel:DWORD
	s_mov_b32 s18, exec_lo
	v_cmpx_ne_u16_e32 0, v1
	s_cbranch_execz .LBB212_906
; %bb.899:                              ;   in Loop: Header=BB212_15 Depth=1
	v_bfrev_b32_e32 v34, 1
	v_mov_b32_e32 v35, 0
	s_mov_b32 s19, exec_lo
	v_cmpx_ne_u16_e32 0x80, v1
	s_cbranch_execz .LBB212_905
; %bb.900:                              ;   in Loop: Header=BB212_15 Depth=1
	v_mov_b32_e32 v34, 0x7f800001
	v_bfe_u32 v2, v0, 16, 7
	v_mov_b32_e32 v35, 0
	s_mov_b32 s20, exec_lo
	v_cmpx_ne_u32_e32 0x7f, v2
	s_cbranch_execz .LBB212_904
; %bb.901:                              ;   in Loop: Header=BB212_15 Depth=1
	v_mov_b32_e32 v1, 7
	s_mov_b32 s21, exec_lo
	v_and_b32_sdwa v28, v0, v1 dst_sel:DWORD dst_unused:UNUSED_PAD src0_sel:WORD_1 src1_sel:DWORD
	v_lshrrev_b32_e32 v1, 3, v2
	v_cmpx_gt_u32_e32 8, v2
; %bb.902:                              ;   in Loop: Header=BB212_15 Depth=1
	v_ffbh_u32_e32 v1, v28
	v_min_u32_e32 v1, 32, v1
	v_subrev_nc_u32_e32 v2, 28, v1
	v_sub_nc_u32_e32 v1, 29, v1
	v_lshlrev_b64 v[2:3], v2, v[28:29]
	v_and_b32_e32 v28, 7, v2
; %bb.903:                              ;   in Loop: Header=BB212_15 Depth=1
	s_or_b32 exec_lo, exec_lo, s21
	v_mov_b32_e32 v2, 24
	v_lshlrev_b32_e32 v3, 20, v28
	v_lshl_add_u32 v1, v1, 23, 0x3c000000
	v_lshlrev_b32_sdwa v2, v2, v0 dst_sel:DWORD dst_unused:UNUSED_PAD src0_sel:DWORD src1_sel:WORD_1
	v_and_b32_e32 v2, 0x80000000, v2
	v_or3_b32 v28, v3, v2, v1
	v_mov_b32_e32 v35, v29
	v_mov_b32_e32 v34, v28
.LBB212_904:                            ;   in Loop: Header=BB212_15 Depth=1
	s_or_b32 exec_lo, exec_lo, s20
.LBB212_905:                            ;   in Loop: Header=BB212_15 Depth=1
	s_or_b32 exec_lo, exec_lo, s19
.LBB212_906:                            ;   in Loop: Header=BB212_15 Depth=1
	s_or_b32 exec_lo, exec_lo, s18
	s_mov_b32 s18, exec_lo
	v_cmpx_lt_u32_e32 0xffffff, v0
	s_cbranch_execz .LBB212_914
; %bb.907:                              ;   in Loop: Header=BB212_15 Depth=1
	v_mov_b32_e32 v32, v29
	v_mov_b32_e32 v1, 0x80
	;; [unrolled: 1-line block ×4, first 2 shown]
	v_cmp_ne_u32_sdwa s5, v0, v1 src0_sel:BYTE_3 src1_sel:DWORD
	s_and_saveexec_b32 s19, s5
	s_cbranch_execz .LBB212_913
; %bb.908:                              ;   in Loop: Header=BB212_15 Depth=1
	s_clause 0x1
	buffer_load_dword v126, off, s[0:3], s32 offset:192
	buffer_load_dword v127, off, s[0:3], s32 offset:196
	v_bfe_u32 v2, v0, 24, 7
	s_waitcnt vmcnt(1)
	v_mov_b32_e32 v126, v29
	s_mov_b32 s20, exec_lo
	s_waitcnt vmcnt(0)
	v_mov_b32_e32 v1, v127
	buffer_store_dword v0, off, s[0:3], s32 offset:192 ; 4-byte Folded Spill
	buffer_store_dword v1, off, s[0:3], s32 offset:196 ; 4-byte Folded Spill
	v_cmpx_ne_u32_e32 0x7f, v2
	s_cbranch_execz .LBB212_912
; %bb.909:                              ;   in Loop: Header=BB212_15 Depth=1
	v_mov_b32_e32 v1, 7
	s_mov_b32 s21, exec_lo
	v_and_b32_sdwa v28, v0, v1 dst_sel:DWORD dst_unused:UNUSED_PAD src0_sel:BYTE_3 src1_sel:DWORD
	v_lshrrev_b32_e32 v1, 3, v2
	v_cmpx_gt_u32_e32 8, v2
; %bb.910:                              ;   in Loop: Header=BB212_15 Depth=1
	v_ffbh_u32_e32 v1, v28
	v_min_u32_e32 v1, 32, v1
	v_subrev_nc_u32_e32 v2, 28, v1
	v_sub_nc_u32_e32 v1, 29, v1
	v_lshlrev_b64 v[2:3], v2, v[28:29]
	v_and_b32_e32 v28, 7, v2
; %bb.911:                              ;   in Loop: Header=BB212_15 Depth=1
	s_or_b32 exec_lo, exec_lo, s21
	v_mov_b32_e32 v2, 24
	v_lshl_add_u32 v1, v1, 23, 0x3c000000
	v_mov_b32_e32 v126, v29
	v_lshlrev_b32_sdwa v0, v2, v0 dst_sel:DWORD dst_unused:UNUSED_PAD src0_sel:DWORD src1_sel:BYTE_3
	v_lshlrev_b32_e32 v2, 20, v28
	v_and_b32_e32 v0, 0x80000000, v0
	v_or3_b32 v127, v2, v0, v1
.LBB212_912:                            ;   in Loop: Header=BB212_15 Depth=1
	s_or_b32 exec_lo, exec_lo, s20
.LBB212_913:                            ;   in Loop: Header=BB212_15 Depth=1
	s_or_b32 exec_lo, exec_lo, s19
.LBB212_914:                            ;   in Loop: Header=BB212_15 Depth=1
	s_or_b32 exec_lo, exec_lo, s18
	flat_load_dword v0, v[52:53] offset:1536
	v_mov_b32_e32 v56, 0
	v_mov_b32_e32 v2, 0
	;; [unrolled: 1-line block ×4, first 2 shown]
	s_waitcnt vmcnt(0) lgkmcnt(0)
	v_cmp_ne_u16_sdwa s5, v0, v29 src0_sel:BYTE_0 src1_sel:DWORD
	s_and_saveexec_b32 s18, s5
	s_cbranch_execz .LBB212_922
; %bb.915:                              ;   in Loop: Header=BB212_15 Depth=1
	v_mov_b32_e32 v1, 0x80
	v_bfrev_b32_e32 v2, 1
	v_mov_b32_e32 v3, 0
	v_cmp_ne_u16_sdwa s5, v0, v1 src0_sel:BYTE_0 src1_sel:DWORD
	s_and_saveexec_b32 s19, s5
	s_cbranch_execz .LBB212_921
; %bb.916:                              ;   in Loop: Header=BB212_15 Depth=1
	v_mov_b32_e32 v2, 0x7f800001
	v_and_b32_e32 v12, 0x7f, v0
	v_mov_b32_e32 v3, 0
	s_mov_b32 s20, exec_lo
	v_cmpx_ne_u32_e32 0x7f, v12
	s_cbranch_execz .LBB212_920
; %bb.917:                              ;   in Loop: Header=BB212_15 Depth=1
	v_and_b32_e32 v28, 7, v0
	v_lshrrev_b32_e32 v1, 3, v12
	s_mov_b32 s21, exec_lo
	v_cmpx_gt_u32_e32 8, v12
; %bb.918:                              ;   in Loop: Header=BB212_15 Depth=1
	v_ffbh_u32_e32 v1, v28
	v_min_u32_e32 v1, 32, v1
	v_subrev_nc_u32_e32 v2, 28, v1
	v_sub_nc_u32_e32 v1, 29, v1
	v_lshlrev_b64 v[2:3], v2, v[28:29]
	v_and_b32_e32 v28, 7, v2
; %bb.919:                              ;   in Loop: Header=BB212_15 Depth=1
	s_or_b32 exec_lo, exec_lo, s21
	v_lshlrev_b32_e32 v2, 24, v0
	v_lshlrev_b32_e32 v3, 20, v28
	v_lshl_add_u32 v1, v1, 23, 0x3c000000
	v_and_b32_e32 v2, 0x80000000, v2
	v_or3_b32 v28, v3, v2, v1
	v_mov_b32_e32 v2, v28
	v_mov_b32_e32 v3, v29
.LBB212_920:                            ;   in Loop: Header=BB212_15 Depth=1
	s_or_b32 exec_lo, exec_lo, s20
.LBB212_921:                            ;   in Loop: Header=BB212_15 Depth=1
	s_or_b32 exec_lo, exec_lo, s19
.LBB212_922:                            ;   in Loop: Header=BB212_15 Depth=1
	s_or_b32 exec_lo, exec_lo, s18
	v_cmp_ne_u16_sdwa s5, v0, v29 src0_sel:BYTE_1 src1_sel:DWORD
	s_and_saveexec_b32 s18, s5
	s_cbranch_execz .LBB212_930
; %bb.923:                              ;   in Loop: Header=BB212_15 Depth=1
	v_mov_b32_e32 v32, v29
	v_mov_b32_e32 v1, 0x80
	;; [unrolled: 1-line block ×4, first 2 shown]
	v_cmp_ne_u16_sdwa s5, v0, v1 src0_sel:BYTE_1 src1_sel:DWORD
	s_and_saveexec_b32 s19, s5
	s_cbranch_execz .LBB212_929
; %bb.924:                              ;   in Loop: Header=BB212_15 Depth=1
	s_clause 0x1
	buffer_load_dword v56, off, s[0:3], s32 offset:192
	buffer_load_dword v57, off, s[0:3], s32 offset:196
	v_mov_b32_e32 v1, 0xffff
	s_waitcnt vmcnt(1)
	v_mov_b32_e32 v56, v29
	s_mov_b32 s20, exec_lo
	v_and_b32_sdwa v1, v1, v0 dst_sel:DWORD dst_unused:UNUSED_PAD src0_sel:DWORD src1_sel:BYTE_1
	v_and_b32_e32 v12, 0x7f, v1
	s_waitcnt vmcnt(0)
	v_mov_b32_e32 v4, v57
	buffer_store_dword v3, off, s[0:3], s32 offset:192 ; 4-byte Folded Spill
	buffer_store_dword v4, off, s[0:3], s32 offset:196 ; 4-byte Folded Spill
	v_cmpx_ne_u32_e32 0x7f, v12
	s_cbranch_execz .LBB212_928
; %bb.925:                              ;   in Loop: Header=BB212_15 Depth=1
	v_and_b32_e32 v28, 7, v1
	v_lshrrev_b32_e32 v1, 3, v12
	s_mov_b32 s21, exec_lo
	v_cmpx_gt_u32_e32 8, v12
; %bb.926:                              ;   in Loop: Header=BB212_15 Depth=1
	v_ffbh_u32_e32 v1, v28
	v_min_u32_e32 v1, 32, v1
	v_subrev_nc_u32_e32 v12, 28, v1
	v_sub_nc_u32_e32 v1, 29, v1
	v_lshlrev_b64 v[12:13], v12, v[28:29]
	v_and_b32_e32 v28, 7, v12
; %bb.927:                              ;   in Loop: Header=BB212_15 Depth=1
	s_or_b32 exec_lo, exec_lo, s21
	v_lshlrev_b32_e32 v12, 16, v0
	v_lshlrev_b32_e32 v13, 20, v28
	v_lshl_add_u32 v1, v1, 23, 0x3c000000
	v_mov_b32_e32 v56, v29
	v_and_b32_e32 v12, 0x80000000, v12
	v_or3_b32 v57, v13, v12, v1
.LBB212_928:                            ;   in Loop: Header=BB212_15 Depth=1
	s_or_b32 exec_lo, exec_lo, s20
.LBB212_929:                            ;   in Loop: Header=BB212_15 Depth=1
	s_or_b32 exec_lo, exec_lo, s19
.LBB212_930:                            ;   in Loop: Header=BB212_15 Depth=1
	s_or_b32 exec_lo, exec_lo, s18
	v_mov_b32_e32 v1, 0xff
	v_mov_b32_e32 v16, 0
	;; [unrolled: 1-line block ×5, first 2 shown]
	v_and_b32_sdwa v1, v0, v1 dst_sel:DWORD dst_unused:UNUSED_PAD src0_sel:WORD_1 src1_sel:DWORD
	s_mov_b32 s18, exec_lo
	v_cmpx_ne_u16_e32 0, v1
	s_cbranch_execz .LBB212_938
; %bb.931:                              ;   in Loop: Header=BB212_15 Depth=1
	v_bfrev_b32_e32 v18, 1
	v_mov_b32_e32 v19, 0
	s_mov_b32 s19, exec_lo
	v_cmpx_ne_u16_e32 0x80, v1
	s_cbranch_execz .LBB212_937
; %bb.932:                              ;   in Loop: Header=BB212_15 Depth=1
	v_mov_b32_e32 v18, 0x7f800001
	v_bfe_u32 v12, v0, 16, 7
	v_mov_b32_e32 v19, 0
	s_mov_b32 s20, exec_lo
	v_cmpx_ne_u32_e32 0x7f, v12
	s_cbranch_execz .LBB212_936
; %bb.933:                              ;   in Loop: Header=BB212_15 Depth=1
	v_mov_b32_e32 v1, 7
	s_mov_b32 s21, exec_lo
	v_and_b32_sdwa v28, v0, v1 dst_sel:DWORD dst_unused:UNUSED_PAD src0_sel:WORD_1 src1_sel:DWORD
	v_lshrrev_b32_e32 v1, 3, v12
	v_cmpx_gt_u32_e32 8, v12
; %bb.934:                              ;   in Loop: Header=BB212_15 Depth=1
	v_ffbh_u32_e32 v1, v28
	v_min_u32_e32 v1, 32, v1
	v_subrev_nc_u32_e32 v12, 28, v1
	v_sub_nc_u32_e32 v1, 29, v1
	v_lshlrev_b64 v[12:13], v12, v[28:29]
	v_and_b32_e32 v28, 7, v12
; %bb.935:                              ;   in Loop: Header=BB212_15 Depth=1
	s_or_b32 exec_lo, exec_lo, s21
	v_mov_b32_e32 v4, 24
	v_lshlrev_b32_e32 v13, 20, v28
	v_lshl_add_u32 v1, v1, 23, 0x3c000000
	v_lshlrev_b32_sdwa v12, v4, v0 dst_sel:DWORD dst_unused:UNUSED_PAD src0_sel:DWORD src1_sel:WORD_1
	v_and_b32_e32 v12, 0x80000000, v12
	v_or3_b32 v28, v13, v12, v1
	v_mov_b32_e32 v18, v28
	v_mov_b32_e32 v19, v29
.LBB212_936:                            ;   in Loop: Header=BB212_15 Depth=1
	s_or_b32 exec_lo, exec_lo, s20
.LBB212_937:                            ;   in Loop: Header=BB212_15 Depth=1
	s_or_b32 exec_lo, exec_lo, s19
.LBB212_938:                            ;   in Loop: Header=BB212_15 Depth=1
	s_or_b32 exec_lo, exec_lo, s18
	s_mov_b32 s18, exec_lo
	v_cmpx_lt_u32_e32 0xffffff, v0
	s_cbranch_execz .LBB212_946
; %bb.939:                              ;   in Loop: Header=BB212_15 Depth=1
	v_mov_b32_e32 v32, v29
	v_mov_b32_e32 v1, 0x80
	;; [unrolled: 1-line block ×3, first 2 shown]
	v_cmp_ne_u32_sdwa s5, v0, v1 src0_sel:BYTE_3 src1_sel:DWORD
	v_mov_b32_e32 v17, v33
	s_and_saveexec_b32 s19, s5
	s_cbranch_execz .LBB212_945
; %bb.940:                              ;   in Loop: Header=BB212_15 Depth=1
	s_clause 0x1
	buffer_load_dword v16, off, s[0:3], s32 offset:192
	buffer_load_dword v17, off, s[0:3], s32 offset:196
	v_bfe_u32 v12, v0, 24, 7
	s_waitcnt vmcnt(1)
	v_mov_b32_e32 v16, v29
	s_mov_b32 s20, exec_lo
	s_waitcnt vmcnt(0)
	v_mov_b32_e32 v1, v17
	buffer_store_dword v0, off, s[0:3], s32 offset:192 ; 4-byte Folded Spill
	buffer_store_dword v1, off, s[0:3], s32 offset:196 ; 4-byte Folded Spill
	v_cmpx_ne_u32_e32 0x7f, v12
	s_cbranch_execz .LBB212_944
; %bb.941:                              ;   in Loop: Header=BB212_15 Depth=1
	v_mov_b32_e32 v1, 7
	s_mov_b32 s21, exec_lo
	v_and_b32_sdwa v28, v0, v1 dst_sel:DWORD dst_unused:UNUSED_PAD src0_sel:BYTE_3 src1_sel:DWORD
	v_lshrrev_b32_e32 v1, 3, v12
	v_cmpx_gt_u32_e32 8, v12
; %bb.942:                              ;   in Loop: Header=BB212_15 Depth=1
	v_ffbh_u32_e32 v1, v28
	v_min_u32_e32 v1, 32, v1
	v_subrev_nc_u32_e32 v12, 28, v1
	v_sub_nc_u32_e32 v1, 29, v1
	v_lshlrev_b64 v[12:13], v12, v[28:29]
	v_and_b32_e32 v28, 7, v12
; %bb.943:                              ;   in Loop: Header=BB212_15 Depth=1
	s_or_b32 exec_lo, exec_lo, s21
	v_mov_b32_e32 v4, 24
	v_lshlrev_b32_e32 v12, 20, v28
	v_lshl_add_u32 v1, v1, 23, 0x3c000000
	v_mov_b32_e32 v16, v29
	v_lshlrev_b32_sdwa v0, v4, v0 dst_sel:DWORD dst_unused:UNUSED_PAD src0_sel:DWORD src1_sel:BYTE_3
	v_and_b32_e32 v0, 0x80000000, v0
	v_or3_b32 v17, v12, v0, v1
.LBB212_944:                            ;   in Loop: Header=BB212_15 Depth=1
	s_or_b32 exec_lo, exec_lo, s20
.LBB212_945:                            ;   in Loop: Header=BB212_15 Depth=1
	s_or_b32 exec_lo, exec_lo, s19
.LBB212_946:                            ;   in Loop: Header=BB212_15 Depth=1
	s_or_b32 exec_lo, exec_lo, s18
	flat_load_dword v0, v[52:53] offset:1540
	v_mov_b32_e32 v20, 0
	v_mov_b32_e32 v14, 0
	;; [unrolled: 1-line block ×4, first 2 shown]
	s_waitcnt vmcnt(0) lgkmcnt(0)
	v_cmp_ne_u16_sdwa s5, v0, v29 src0_sel:BYTE_0 src1_sel:DWORD
	s_and_saveexec_b32 s18, s5
	s_cbranch_execz .LBB212_954
; %bb.947:                              ;   in Loop: Header=BB212_15 Depth=1
	v_mov_b32_e32 v1, 0x80
	v_bfrev_b32_e32 v14, 1
	v_mov_b32_e32 v15, 0
	v_cmp_ne_u16_sdwa s5, v0, v1 src0_sel:BYTE_0 src1_sel:DWORD
	s_and_saveexec_b32 s19, s5
	s_cbranch_execz .LBB212_953
; %bb.948:                              ;   in Loop: Header=BB212_15 Depth=1
	v_mov_b32_e32 v14, 0x7f800001
	v_and_b32_e32 v12, 0x7f, v0
	v_mov_b32_e32 v15, 0
	s_mov_b32 s20, exec_lo
	v_cmpx_ne_u32_e32 0x7f, v12
	s_cbranch_execz .LBB212_952
; %bb.949:                              ;   in Loop: Header=BB212_15 Depth=1
	v_and_b32_e32 v28, 7, v0
	v_lshrrev_b32_e32 v1, 3, v12
	s_mov_b32 s21, exec_lo
	v_cmpx_gt_u32_e32 8, v12
; %bb.950:                              ;   in Loop: Header=BB212_15 Depth=1
	v_ffbh_u32_e32 v1, v28
	v_min_u32_e32 v1, 32, v1
	v_subrev_nc_u32_e32 v12, 28, v1
	v_sub_nc_u32_e32 v1, 29, v1
	v_lshlrev_b64 v[12:13], v12, v[28:29]
	v_and_b32_e32 v28, 7, v12
; %bb.951:                              ;   in Loop: Header=BB212_15 Depth=1
	s_or_b32 exec_lo, exec_lo, s21
	v_lshlrev_b32_e32 v12, 24, v0
	v_lshlrev_b32_e32 v13, 20, v28
	v_lshl_add_u32 v1, v1, 23, 0x3c000000
	v_and_b32_e32 v12, 0x80000000, v12
	v_or3_b32 v28, v13, v12, v1
	v_mov_b32_e32 v14, v28
	v_mov_b32_e32 v15, v29
.LBB212_952:                            ;   in Loop: Header=BB212_15 Depth=1
	s_or_b32 exec_lo, exec_lo, s20
.LBB212_953:                            ;   in Loop: Header=BB212_15 Depth=1
	s_or_b32 exec_lo, exec_lo, s19
.LBB212_954:                            ;   in Loop: Header=BB212_15 Depth=1
	s_or_b32 exec_lo, exec_lo, s18
	v_cmp_ne_u16_sdwa s5, v0, v29 src0_sel:BYTE_1 src1_sel:DWORD
	s_and_saveexec_b32 s18, s5
	s_cbranch_execz .LBB212_962
; %bb.955:                              ;   in Loop: Header=BB212_15 Depth=1
	v_mov_b32_e32 v32, v29
	v_mov_b32_e32 v1, 0x80
	v_mov_b32_e32 v20, v32
	v_cmp_ne_u16_sdwa s5, v0, v1 src0_sel:BYTE_1 src1_sel:DWORD
	v_mov_b32_e32 v21, v33
	s_and_saveexec_b32 s19, s5
	s_cbranch_execz .LBB212_961
; %bb.956:                              ;   in Loop: Header=BB212_15 Depth=1
	s_clause 0x1
	buffer_load_dword v20, off, s[0:3], s32 offset:192
	buffer_load_dword v21, off, s[0:3], s32 offset:196
	v_mov_b32_e32 v1, 0xffff
	s_waitcnt vmcnt(1)
	v_mov_b32_e32 v20, v29
	s_mov_b32 s20, exec_lo
	v_and_b32_sdwa v1, v1, v0 dst_sel:DWORD dst_unused:UNUSED_PAD src0_sel:DWORD src1_sel:BYTE_1
	v_and_b32_e32 v12, 0x7f, v1
	s_waitcnt vmcnt(0)
	v_mov_b32_e32 v4, v21
	buffer_store_dword v3, off, s[0:3], s32 offset:192 ; 4-byte Folded Spill
	buffer_store_dword v4, off, s[0:3], s32 offset:196 ; 4-byte Folded Spill
	v_cmpx_ne_u32_e32 0x7f, v12
	s_cbranch_execz .LBB212_960
; %bb.957:                              ;   in Loop: Header=BB212_15 Depth=1
	v_and_b32_e32 v28, 7, v1
	v_lshrrev_b32_e32 v1, 3, v12
	s_mov_b32 s21, exec_lo
	v_cmpx_gt_u32_e32 8, v12
; %bb.958:                              ;   in Loop: Header=BB212_15 Depth=1
	v_ffbh_u32_e32 v1, v28
	v_min_u32_e32 v1, 32, v1
	v_subrev_nc_u32_e32 v12, 28, v1
	v_sub_nc_u32_e32 v1, 29, v1
	v_lshlrev_b64 v[12:13], v12, v[28:29]
	v_and_b32_e32 v28, 7, v12
; %bb.959:                              ;   in Loop: Header=BB212_15 Depth=1
	s_or_b32 exec_lo, exec_lo, s21
	v_lshlrev_b32_e32 v12, 16, v0
	v_lshlrev_b32_e32 v13, 20, v28
	v_lshl_add_u32 v1, v1, 23, 0x3c000000
	v_mov_b32_e32 v20, v29
	v_and_b32_e32 v12, 0x80000000, v12
	v_or3_b32 v21, v13, v12, v1
.LBB212_960:                            ;   in Loop: Header=BB212_15 Depth=1
	s_or_b32 exec_lo, exec_lo, s20
.LBB212_961:                            ;   in Loop: Header=BB212_15 Depth=1
	s_or_b32 exec_lo, exec_lo, s19
.LBB212_962:                            ;   in Loop: Header=BB212_15 Depth=1
	s_or_b32 exec_lo, exec_lo, s18
	v_mov_b32_e32 v1, 0xff
	v_mov_b32_e32 v58, 0
	v_mov_b32_e32 v54, 0
	v_mov_b32_e32 v59, 0
	v_mov_b32_e32 v55, 0
	v_and_b32_sdwa v1, v0, v1 dst_sel:DWORD dst_unused:UNUSED_PAD src0_sel:WORD_1 src1_sel:DWORD
	s_mov_b32 s18, exec_lo
	v_cmpx_ne_u16_e32 0, v1
	s_cbranch_execz .LBB212_970
; %bb.963:                              ;   in Loop: Header=BB212_15 Depth=1
	v_bfrev_b32_e32 v54, 1
	v_mov_b32_e32 v55, 0
	s_mov_b32 s19, exec_lo
	v_cmpx_ne_u16_e32 0x80, v1
	s_cbranch_execz .LBB212_969
; %bb.964:                              ;   in Loop: Header=BB212_15 Depth=1
	v_mov_b32_e32 v54, 0x7f800001
	v_bfe_u32 v12, v0, 16, 7
	v_mov_b32_e32 v55, 0
	s_mov_b32 s20, exec_lo
	v_cmpx_ne_u32_e32 0x7f, v12
	s_cbranch_execz .LBB212_968
; %bb.965:                              ;   in Loop: Header=BB212_15 Depth=1
	v_mov_b32_e32 v1, 7
	s_mov_b32 s21, exec_lo
	v_and_b32_sdwa v28, v0, v1 dst_sel:DWORD dst_unused:UNUSED_PAD src0_sel:WORD_1 src1_sel:DWORD
	v_lshrrev_b32_e32 v1, 3, v12
	v_cmpx_gt_u32_e32 8, v12
; %bb.966:                              ;   in Loop: Header=BB212_15 Depth=1
	v_ffbh_u32_e32 v1, v28
	v_min_u32_e32 v1, 32, v1
	v_subrev_nc_u32_e32 v12, 28, v1
	v_sub_nc_u32_e32 v1, 29, v1
	v_lshlrev_b64 v[12:13], v12, v[28:29]
	v_and_b32_e32 v28, 7, v12
; %bb.967:                              ;   in Loop: Header=BB212_15 Depth=1
	s_or_b32 exec_lo, exec_lo, s21
	v_mov_b32_e32 v4, 24
	v_lshlrev_b32_e32 v13, 20, v28
	v_lshl_add_u32 v1, v1, 23, 0x3c000000
	v_lshlrev_b32_sdwa v12, v4, v0 dst_sel:DWORD dst_unused:UNUSED_PAD src0_sel:DWORD src1_sel:WORD_1
	v_and_b32_e32 v12, 0x80000000, v12
	v_or3_b32 v28, v13, v12, v1
	v_mov_b32_e32 v55, v29
	v_mov_b32_e32 v54, v28
.LBB212_968:                            ;   in Loop: Header=BB212_15 Depth=1
	s_or_b32 exec_lo, exec_lo, s20
.LBB212_969:                            ;   in Loop: Header=BB212_15 Depth=1
	s_or_b32 exec_lo, exec_lo, s19
.LBB212_970:                            ;   in Loop: Header=BB212_15 Depth=1
	s_or_b32 exec_lo, exec_lo, s18
	s_mov_b32 s18, exec_lo
	v_cmpx_lt_u32_e32 0xffffff, v0
	s_cbranch_execz .LBB212_978
; %bb.971:                              ;   in Loop: Header=BB212_15 Depth=1
	v_mov_b32_e32 v32, v29
	v_mov_b32_e32 v1, 0x80
	;; [unrolled: 1-line block ×4, first 2 shown]
	v_cmp_ne_u32_sdwa s5, v0, v1 src0_sel:BYTE_3 src1_sel:DWORD
	s_and_saveexec_b32 s19, s5
	s_cbranch_execz .LBB212_977
; %bb.972:                              ;   in Loop: Header=BB212_15 Depth=1
	s_clause 0x1
	buffer_load_dword v58, off, s[0:3], s32 offset:192
	buffer_load_dword v59, off, s[0:3], s32 offset:196
	v_bfe_u32 v12, v0, 24, 7
	s_waitcnt vmcnt(1)
	v_mov_b32_e32 v58, v29
	s_mov_b32 s20, exec_lo
	s_waitcnt vmcnt(0)
	v_mov_b32_e32 v1, v59
	buffer_store_dword v0, off, s[0:3], s32 offset:192 ; 4-byte Folded Spill
	buffer_store_dword v1, off, s[0:3], s32 offset:196 ; 4-byte Folded Spill
	v_cmpx_ne_u32_e32 0x7f, v12
	s_cbranch_execz .LBB212_976
; %bb.973:                              ;   in Loop: Header=BB212_15 Depth=1
	v_mov_b32_e32 v1, 7
	s_mov_b32 s21, exec_lo
	v_and_b32_sdwa v28, v0, v1 dst_sel:DWORD dst_unused:UNUSED_PAD src0_sel:BYTE_3 src1_sel:DWORD
	v_lshrrev_b32_e32 v1, 3, v12
	v_cmpx_gt_u32_e32 8, v12
; %bb.974:                              ;   in Loop: Header=BB212_15 Depth=1
	v_ffbh_u32_e32 v1, v28
	v_min_u32_e32 v1, 32, v1
	v_subrev_nc_u32_e32 v12, 28, v1
	v_sub_nc_u32_e32 v1, 29, v1
	v_lshlrev_b64 v[12:13], v12, v[28:29]
	v_and_b32_e32 v28, 7, v12
; %bb.975:                              ;   in Loop: Header=BB212_15 Depth=1
	s_or_b32 exec_lo, exec_lo, s21
	v_mov_b32_e32 v4, 24
	v_lshlrev_b32_e32 v12, 20, v28
	v_lshl_add_u32 v1, v1, 23, 0x3c000000
	v_mov_b32_e32 v58, v29
	v_lshlrev_b32_sdwa v0, v4, v0 dst_sel:DWORD dst_unused:UNUSED_PAD src0_sel:DWORD src1_sel:BYTE_3
	v_and_b32_e32 v0, 0x80000000, v0
	v_or3_b32 v59, v12, v0, v1
.LBB212_976:                            ;   in Loop: Header=BB212_15 Depth=1
	s_or_b32 exec_lo, exec_lo, s20
.LBB212_977:                            ;   in Loop: Header=BB212_15 Depth=1
	s_or_b32 exec_lo, exec_lo, s19
.LBB212_978:                            ;   in Loop: Header=BB212_15 Depth=1
	s_or_b32 exec_lo, exec_lo, s18
	flat_load_dword v36, v[52:53] offset:1544
	v_mov_b32_e32 v30, 0
	v_mov_b32_e32 v12, 0
	;; [unrolled: 1-line block ×4, first 2 shown]
	s_waitcnt vmcnt(0) lgkmcnt(0)
	v_cmp_ne_u16_sdwa s5, v36, v29 src0_sel:BYTE_0 src1_sel:DWORD
	s_and_saveexec_b32 s18, s5
	s_cbranch_execz .LBB212_986
; %bb.979:                              ;   in Loop: Header=BB212_15 Depth=1
	v_mov_b32_e32 v0, 0x80
	v_bfrev_b32_e32 v12, 1
	v_mov_b32_e32 v13, 0
	v_cmp_ne_u16_sdwa s5, v36, v0 src0_sel:BYTE_0 src1_sel:DWORD
	s_and_saveexec_b32 s19, s5
	s_cbranch_execz .LBB212_985
; %bb.980:                              ;   in Loop: Header=BB212_15 Depth=1
	v_mov_b32_e32 v12, 0x7f800001
	v_and_b32_e32 v1, 0x7f, v36
	v_mov_b32_e32 v13, 0
	s_mov_b32 s20, exec_lo
	v_cmpx_ne_u32_e32 0x7f, v1
	s_cbranch_execz .LBB212_984
; %bb.981:                              ;   in Loop: Header=BB212_15 Depth=1
	v_and_b32_e32 v28, 7, v36
	v_lshrrev_b32_e32 v0, 3, v1
	s_mov_b32 s21, exec_lo
	v_cmpx_gt_u32_e32 8, v1
; %bb.982:                              ;   in Loop: Header=BB212_15 Depth=1
	v_ffbh_u32_e32 v0, v28
	v_min_u32_e32 v0, 32, v0
	v_subrev_nc_u32_e32 v1, 28, v0
	v_sub_nc_u32_e32 v0, 29, v0
	v_lshlrev_b64 v[12:13], v1, v[28:29]
	v_and_b32_e32 v28, 7, v12
; %bb.983:                              ;   in Loop: Header=BB212_15 Depth=1
	s_or_b32 exec_lo, exec_lo, s21
	v_lshlrev_b32_e32 v1, 24, v36
	v_lshlrev_b32_e32 v12, 20, v28
	v_lshl_add_u32 v0, v0, 23, 0x3c000000
	v_and_b32_e32 v1, 0x80000000, v1
	v_or3_b32 v28, v12, v1, v0
	v_mov_b32_e32 v12, v28
	v_mov_b32_e32 v13, v29
.LBB212_984:                            ;   in Loop: Header=BB212_15 Depth=1
	s_or_b32 exec_lo, exec_lo, s20
.LBB212_985:                            ;   in Loop: Header=BB212_15 Depth=1
	s_or_b32 exec_lo, exec_lo, s19
.LBB212_986:                            ;   in Loop: Header=BB212_15 Depth=1
	s_or_b32 exec_lo, exec_lo, s18
	v_cmp_ne_u16_sdwa s5, v36, v29 src0_sel:BYTE_1 src1_sel:DWORD
	s_and_saveexec_b32 s18, s5
	s_cbranch_execz .LBB212_994
; %bb.987:                              ;   in Loop: Header=BB212_15 Depth=1
	v_mov_b32_e32 v32, v29
	v_mov_b32_e32 v0, 0x80
	;; [unrolled: 1-line block ×3, first 2 shown]
	v_cmp_ne_u16_sdwa s5, v36, v0 src0_sel:BYTE_1 src1_sel:DWORD
	v_mov_b32_e32 v31, v33
	s_and_saveexec_b32 s19, s5
	s_cbranch_execz .LBB212_993
; %bb.988:                              ;   in Loop: Header=BB212_15 Depth=1
	s_clause 0x1
	buffer_load_dword v30, off, s[0:3], s32 offset:192
	buffer_load_dword v31, off, s[0:3], s32 offset:196
	v_mov_b32_e32 v0, 0xffff
	s_waitcnt vmcnt(1)
	v_mov_b32_e32 v30, v29
	s_mov_b32 s20, exec_lo
	v_and_b32_sdwa v0, v0, v36 dst_sel:DWORD dst_unused:UNUSED_PAD src0_sel:DWORD src1_sel:BYTE_1
	v_and_b32_e32 v1, 0x7f, v0
	s_waitcnt vmcnt(0)
	v_mov_b32_e32 v4, v31
	buffer_store_dword v3, off, s[0:3], s32 offset:192 ; 4-byte Folded Spill
	buffer_store_dword v4, off, s[0:3], s32 offset:196 ; 4-byte Folded Spill
	v_cmpx_ne_u32_e32 0x7f, v1
	s_cbranch_execz .LBB212_992
; %bb.989:                              ;   in Loop: Header=BB212_15 Depth=1
	v_and_b32_e32 v28, 7, v0
	v_lshrrev_b32_e32 v0, 3, v1
	s_mov_b32 s21, exec_lo
	v_cmpx_gt_u32_e32 8, v1
; %bb.990:                              ;   in Loop: Header=BB212_15 Depth=1
	v_ffbh_u32_e32 v0, v28
	v_min_u32_e32 v0, 32, v0
	v_subrev_nc_u32_e32 v1, 28, v0
	v_sub_nc_u32_e32 v0, 29, v0
	v_lshlrev_b64 v[30:31], v1, v[28:29]
	v_and_b32_e32 v28, 7, v30
; %bb.991:                              ;   in Loop: Header=BB212_15 Depth=1
	s_or_b32 exec_lo, exec_lo, s21
	v_lshlrev_b32_e32 v1, 16, v36
	v_lshlrev_b32_e32 v28, 20, v28
	v_lshl_add_u32 v0, v0, 23, 0x3c000000
	v_mov_b32_e32 v30, v29
	v_and_b32_e32 v1, 0x80000000, v1
	v_or3_b32 v31, v28, v1, v0
.LBB212_992:                            ;   in Loop: Header=BB212_15 Depth=1
	s_or_b32 exec_lo, exec_lo, s20
.LBB212_993:                            ;   in Loop: Header=BB212_15 Depth=1
	s_or_b32 exec_lo, exec_lo, s19
.LBB212_994:                            ;   in Loop: Header=BB212_15 Depth=1
	s_or_b32 exec_lo, exec_lo, s18
	v_mov_b32_e32 v0, 0xff
	v_mov_b32_e32 v70, 0
	;; [unrolled: 1-line block ×3, first 2 shown]
	s_mov_b32 s18, exec_lo
	v_and_b32_sdwa v28, v36, v0 dst_sel:DWORD dst_unused:UNUSED_PAD src0_sel:WORD_1 src1_sel:DWORD
	v_mov_b32_e32 v0, 0
	v_mov_b32_e32 v1, 0
	v_cmpx_ne_u16_e32 0, v28
	s_cbranch_execz .LBB212_1002
; %bb.995:                              ;   in Loop: Header=BB212_15 Depth=1
	v_bfrev_b32_e32 v70, 1
	v_mov_b32_e32 v71, 0
	s_mov_b32 s19, exec_lo
	v_cmpx_ne_u16_e32 0x80, v28
	s_cbranch_execz .LBB212_1001
; %bb.996:                              ;   in Loop: Header=BB212_15 Depth=1
	v_mov_b32_e32 v70, 0x7f800001
	v_bfe_u32 v37, v36, 16, 7
	v_mov_b32_e32 v71, 0
	s_mov_b32 s20, exec_lo
	v_cmpx_ne_u32_e32 0x7f, v37
	s_cbranch_execz .LBB212_1000
; %bb.997:                              ;   in Loop: Header=BB212_15 Depth=1
	v_mov_b32_e32 v4, 7
	v_lshrrev_b32_e32 v32, 3, v37
	s_mov_b32 s21, exec_lo
	v_and_b32_sdwa v28, v36, v4 dst_sel:DWORD dst_unused:UNUSED_PAD src0_sel:WORD_1 src1_sel:DWORD
	v_cmpx_gt_u32_e32 8, v37
; %bb.998:                              ;   in Loop: Header=BB212_15 Depth=1
	v_ffbh_u32_e32 v32, v28
	v_min_u32_e32 v32, 32, v32
	v_subrev_nc_u32_e32 v37, 28, v32
	v_sub_nc_u32_e32 v32, 29, v32
	v_lshlrev_b64 v[50:51], v37, v[28:29]
	v_and_b32_e32 v28, 7, v50
; %bb.999:                              ;   in Loop: Header=BB212_15 Depth=1
	s_or_b32 exec_lo, exec_lo, s21
	v_mov_b32_e32 v4, 24
	v_lshlrev_b32_e32 v28, 20, v28
	v_lshl_add_u32 v32, v32, 23, 0x3c000000
	v_lshlrev_b32_sdwa v37, v4, v36 dst_sel:DWORD dst_unused:UNUSED_PAD src0_sel:DWORD src1_sel:WORD_1
	v_and_b32_e32 v37, 0x80000000, v37
	v_or3_b32 v28, v28, v37, v32
	v_mov_b32_e32 v71, v29
	v_mov_b32_e32 v70, v28
.LBB212_1000:                           ;   in Loop: Header=BB212_15 Depth=1
	s_or_b32 exec_lo, exec_lo, s20
.LBB212_1001:                           ;   in Loop: Header=BB212_15 Depth=1
	s_or_b32 exec_lo, exec_lo, s19
.LBB212_1002:                           ;   in Loop: Header=BB212_15 Depth=1
	s_or_b32 exec_lo, exec_lo, s18
	s_mov_b32 s18, exec_lo
	v_cmpx_lt_u32_e32 0xffffff, v36
	s_cbranch_execz .LBB212_1010
; %bb.1003:                             ;   in Loop: Header=BB212_15 Depth=1
	v_mov_b32_e32 v32, v29
	v_mov_b32_e32 v0, 0x80
	v_cmp_ne_u32_sdwa s5, v36, v0 src0_sel:BYTE_3 src1_sel:DWORD
	v_mov_b32_e32 v0, v32
	v_mov_b32_e32 v1, v33
	s_and_saveexec_b32 s19, s5
	s_cbranch_execz .LBB212_1009
; %bb.1004:                             ;   in Loop: Header=BB212_15 Depth=1
	s_clause 0x1
	buffer_load_dword v0, off, s[0:3], s32 offset:192
	buffer_load_dword v1, off, s[0:3], s32 offset:196
	v_mov_b32_e32 v4, v29
	v_bfe_u32 v32, v36, 24, 7
	s_mov_b32 s20, exec_lo
	s_waitcnt vmcnt(0)
	v_mov_b32_e32 v5, v1
	buffer_store_dword v0, off, s[0:3], s32 offset:192 ; 4-byte Folded Spill
	buffer_store_dword v1, off, s[0:3], s32 offset:196 ; 4-byte Folded Spill
	v_mov_b32_e32 v0, v4
	v_mov_b32_e32 v1, v5
	v_cmpx_ne_u32_e32 0x7f, v32
	s_cbranch_execz .LBB212_1008
; %bb.1005:                             ;   in Loop: Header=BB212_15 Depth=1
	v_mov_b32_e32 v0, 7
	s_mov_b32 s21, exec_lo
	v_and_b32_sdwa v28, v36, v0 dst_sel:DWORD dst_unused:UNUSED_PAD src0_sel:BYTE_3 src1_sel:DWORD
	v_lshrrev_b32_e32 v0, 3, v32
	v_cmpx_gt_u32_e32 8, v32
; %bb.1006:                             ;   in Loop: Header=BB212_15 Depth=1
	v_ffbh_u32_e32 v0, v28
	v_min_u32_e32 v0, 32, v0
	v_subrev_nc_u32_e32 v1, 28, v0
	v_sub_nc_u32_e32 v0, 29, v0
	v_lshlrev_b64 v[50:51], v1, v[28:29]
	v_and_b32_e32 v28, 7, v50
; %bb.1007:                             ;   in Loop: Header=BB212_15 Depth=1
	s_or_b32 exec_lo, exec_lo, s21
	v_mov_b32_e32 v1, 24
	v_lshlrev_b32_e32 v28, 20, v28
	v_lshl_add_u32 v0, v0, 23, 0x3c000000
	v_lshlrev_b32_sdwa v1, v1, v36 dst_sel:DWORD dst_unused:UNUSED_PAD src0_sel:DWORD src1_sel:BYTE_3
	v_and_b32_e32 v1, 0x80000000, v1
	v_or3_b32 v1, v28, v1, v0
	v_mov_b32_e32 v0, v29
.LBB212_1008:                           ;   in Loop: Header=BB212_15 Depth=1
	s_or_b32 exec_lo, exec_lo, s20
.LBB212_1009:                           ;   in Loop: Header=BB212_15 Depth=1
	s_or_b32 exec_lo, exec_lo, s19
.LBB212_1010:                           ;   in Loop: Header=BB212_15 Depth=1
	s_or_b32 exec_lo, exec_lo, s18
	flat_load_dword v97, v[52:53] offset:1548
	v_mov_b32_e32 v36, 0
	v_mov_b32_e32 v52, 0
	;; [unrolled: 1-line block ×4, first 2 shown]
	s_waitcnt vmcnt(0) lgkmcnt(0)
	v_cmp_ne_u16_sdwa s5, v97, v29 src0_sel:BYTE_0 src1_sel:DWORD
	s_and_saveexec_b32 s18, s5
	s_cbranch_execz .LBB212_1018
; %bb.1011:                             ;   in Loop: Header=BB212_15 Depth=1
	v_mov_b32_e32 v4, 0x80
	v_bfrev_b32_e32 v52, 1
	v_mov_b32_e32 v53, 0
	v_cmp_ne_u16_sdwa s5, v97, v4 src0_sel:BYTE_0 src1_sel:DWORD
	s_and_saveexec_b32 s19, s5
	s_cbranch_execz .LBB212_1017
; %bb.1012:                             ;   in Loop: Header=BB212_15 Depth=1
	v_mov_b32_e32 v52, 0x7f800001
	v_and_b32_e32 v48, 0x7f, v97
	v_mov_b32_e32 v53, 0
	s_mov_b32 s20, exec_lo
	v_cmpx_ne_u32_e32 0x7f, v48
	s_cbranch_execz .LBB212_1016
; %bb.1013:                             ;   in Loop: Header=BB212_15 Depth=1
	v_and_b32_e32 v28, 7, v97
	v_lshrrev_b32_e32 v32, 3, v48
	s_mov_b32 s21, exec_lo
	v_cmpx_gt_u32_e32 8, v48
; %bb.1014:                             ;   in Loop: Header=BB212_15 Depth=1
	v_ffbh_u32_e32 v32, v28
	v_min_u32_e32 v32, 32, v32
	v_subrev_nc_u32_e32 v48, 28, v32
	v_sub_nc_u32_e32 v32, 29, v32
	v_lshlrev_b64 v[50:51], v48, v[28:29]
	v_and_b32_e32 v28, 7, v50
; %bb.1015:                             ;   in Loop: Header=BB212_15 Depth=1
	s_or_b32 exec_lo, exec_lo, s21
	v_lshlrev_b32_e32 v48, 24, v97
	v_lshlrev_b32_e32 v28, 20, v28
	v_lshl_add_u32 v32, v32, 23, 0x3c000000
	v_and_b32_e32 v48, 0x80000000, v48
	v_or3_b32 v28, v28, v48, v32
	v_mov_b32_e32 v53, v29
	v_mov_b32_e32 v52, v28
.LBB212_1016:                           ;   in Loop: Header=BB212_15 Depth=1
	s_or_b32 exec_lo, exec_lo, s20
.LBB212_1017:                           ;   in Loop: Header=BB212_15 Depth=1
	s_or_b32 exec_lo, exec_lo, s19
.LBB212_1018:                           ;   in Loop: Header=BB212_15 Depth=1
	s_or_b32 exec_lo, exec_lo, s18
	v_cmp_ne_u16_sdwa s5, v97, v29 src0_sel:BYTE_1 src1_sel:DWORD
	s_and_saveexec_b32 s18, s5
	s_cbranch_execz .LBB212_1026
; %bb.1019:                             ;   in Loop: Header=BB212_15 Depth=1
	v_mov_b32_e32 v32, v29
	v_mov_b32_e32 v4, 0x80
	;; [unrolled: 1-line block ×4, first 2 shown]
	v_cmp_ne_u16_sdwa s5, v97, v4 src0_sel:BYTE_1 src1_sel:DWORD
	s_and_saveexec_b32 s19, s5
	s_cbranch_execz .LBB212_1025
; %bb.1020:                             ;   in Loop: Header=BB212_15 Depth=1
	s_clause 0x1
	buffer_load_dword v36, off, s[0:3], s32 offset:192
	buffer_load_dword v37, off, s[0:3], s32 offset:196
	v_mov_b32_e32 v4, 0xffff
	s_waitcnt vmcnt(1)
	v_mov_b32_e32 v36, v29
	s_mov_b32 s20, exec_lo
	v_and_b32_sdwa v28, v4, v97 dst_sel:DWORD dst_unused:UNUSED_PAD src0_sel:DWORD src1_sel:BYTE_1
	v_and_b32_e32 v50, 0x7f, v28
	s_waitcnt vmcnt(0)
	v_mov_b32_e32 v4, v37
	buffer_store_dword v3, off, s[0:3], s32 offset:192 ; 4-byte Folded Spill
	buffer_store_dword v4, off, s[0:3], s32 offset:196 ; 4-byte Folded Spill
	v_cmpx_ne_u32_e32 0x7f, v50
	s_cbranch_execz .LBB212_1024
; %bb.1021:                             ;   in Loop: Header=BB212_15 Depth=1
	v_and_b32_e32 v28, 7, v28
	v_lshrrev_b32_e32 v32, 3, v50
	s_mov_b32 s21, exec_lo
	v_cmpx_gt_u32_e32 8, v50
; %bb.1022:                             ;   in Loop: Header=BB212_15 Depth=1
	v_ffbh_u32_e32 v32, v28
	v_min_u32_e32 v32, 32, v32
	v_subrev_nc_u32_e32 v36, 28, v32
	v_sub_nc_u32_e32 v32, 29, v32
	v_lshlrev_b64 v[36:37], v36, v[28:29]
	v_and_b32_e32 v28, 7, v36
; %bb.1023:                             ;   in Loop: Header=BB212_15 Depth=1
	s_or_b32 exec_lo, exec_lo, s21
	v_lshlrev_b32_e32 v36, 16, v97
	v_lshlrev_b32_e32 v28, 20, v28
	v_lshl_add_u32 v32, v32, 23, 0x3c000000
	v_and_b32_e32 v36, 0x80000000, v36
	v_or3_b32 v37, v28, v36, v32
	v_mov_b32_e32 v36, v29
.LBB212_1024:                           ;   in Loop: Header=BB212_15 Depth=1
	s_or_b32 exec_lo, exec_lo, s20
.LBB212_1025:                           ;   in Loop: Header=BB212_15 Depth=1
	s_or_b32 exec_lo, exec_lo, s19
.LBB212_1026:                           ;   in Loop: Header=BB212_15 Depth=1
	s_or_b32 exec_lo, exec_lo, s18
	v_mov_b32_e32 v4, 0xff
	v_mov_b32_e32 v64, 0
	;; [unrolled: 1-line block ×5, first 2 shown]
	v_and_b32_sdwa v28, v97, v4 dst_sel:DWORD dst_unused:UNUSED_PAD src0_sel:WORD_1 src1_sel:DWORD
	s_mov_b32 s18, exec_lo
	v_cmpx_ne_u16_e32 0, v28
	s_cbranch_execz .LBB212_1034
; %bb.1027:                             ;   in Loop: Header=BB212_15 Depth=1
	v_bfrev_b32_e32 v50, 1
	v_mov_b32_e32 v51, 0
	s_mov_b32 s19, exec_lo
	v_cmpx_ne_u16_e32 0x80, v28
	s_cbranch_execz .LBB212_1033
; %bb.1028:                             ;   in Loop: Header=BB212_15 Depth=1
	v_mov_b32_e32 v50, 0x7f800001
	v_bfe_u32 v48, v97, 16, 7
	v_mov_b32_e32 v51, 0
	s_mov_b32 s20, exec_lo
	v_cmpx_ne_u32_e32 0x7f, v48
	s_cbranch_execz .LBB212_1032
; %bb.1029:                             ;   in Loop: Header=BB212_15 Depth=1
	v_mov_b32_e32 v4, 7
	v_lshrrev_b32_e32 v32, 3, v48
	s_mov_b32 s21, exec_lo
	v_and_b32_sdwa v28, v97, v4 dst_sel:DWORD dst_unused:UNUSED_PAD src0_sel:WORD_1 src1_sel:DWORD
	v_cmpx_gt_u32_e32 8, v48
; %bb.1030:                             ;   in Loop: Header=BB212_15 Depth=1
	v_ffbh_u32_e32 v32, v28
	v_min_u32_e32 v32, 32, v32
	v_subrev_nc_u32_e32 v48, 28, v32
	v_sub_nc_u32_e32 v32, 29, v32
	v_lshlrev_b64 v[50:51], v48, v[28:29]
	v_and_b32_e32 v28, 7, v50
; %bb.1031:                             ;   in Loop: Header=BB212_15 Depth=1
	s_or_b32 exec_lo, exec_lo, s21
	v_mov_b32_e32 v4, 24
	v_lshlrev_b32_e32 v28, 20, v28
	v_lshl_add_u32 v32, v32, 23, 0x3c000000
	v_lshlrev_b32_sdwa v48, v4, v97 dst_sel:DWORD dst_unused:UNUSED_PAD src0_sel:DWORD src1_sel:WORD_1
	v_and_b32_e32 v48, 0x80000000, v48
	v_or3_b32 v28, v28, v48, v32
	v_mov_b32_e32 v51, v29
	v_mov_b32_e32 v50, v28
.LBB212_1032:                           ;   in Loop: Header=BB212_15 Depth=1
	s_or_b32 exec_lo, exec_lo, s20
.LBB212_1033:                           ;   in Loop: Header=BB212_15 Depth=1
	s_or_b32 exec_lo, exec_lo, s19
.LBB212_1034:                           ;   in Loop: Header=BB212_15 Depth=1
	s_or_b32 exec_lo, exec_lo, s18
	v_mov_b32_e32 v6, v86
	v_mov_b32_e32 v7, v87
	s_mov_b32 s18, exec_lo
	buffer_store_dword v24, off, s[0:3], s32 offset:840 ; 4-byte Folded Spill
	buffer_store_dword v23, off, s[0:3], s32 offset:836 ; 4-byte Folded Spill
	;; [unrolled: 1-line block ×3, first 2 shown]
	v_cmpx_lt_u32_e32 0xffffff, v97
	s_cbranch_execz .LBB212_13
; %bb.1035:                             ;   in Loop: Header=BB212_15 Depth=1
	v_mov_b32_e32 v32, v29
	v_mov_b32_e32 v4, 0x80
	;; [unrolled: 1-line block ×4, first 2 shown]
	v_cmp_ne_u32_sdwa s5, v97, v4 src0_sel:BYTE_3 src1_sel:DWORD
	s_and_saveexec_b32 s19, s5
	s_cbranch_execz .LBB212_12
; %bb.1036:                             ;   in Loop: Header=BB212_15 Depth=1
	s_clause 0x1
	buffer_load_dword v64, off, s[0:3], s32 offset:192
	buffer_load_dword v65, off, s[0:3], s32 offset:196
	v_bfe_u32 v86, v97, 24, 7
	s_waitcnt vmcnt(1)
	v_mov_b32_e32 v64, v29
	s_mov_b32 s20, exec_lo
	s_waitcnt vmcnt(0)
	v_mov_b32_e32 v4, v65
	buffer_store_dword v3, off, s[0:3], s32 offset:192 ; 4-byte Folded Spill
	buffer_store_dword v4, off, s[0:3], s32 offset:196 ; 4-byte Folded Spill
	v_cmpx_ne_u32_e32 0x7f, v86
	s_cbranch_execz .LBB212_11
; %bb.1037:                             ;   in Loop: Header=BB212_15 Depth=1
	v_mov_b32_e32 v4, 7
	v_lshrrev_b32_e32 v32, 3, v86
	s_mov_b32 s21, exec_lo
	v_and_b32_sdwa v28, v97, v4 dst_sel:DWORD dst_unused:UNUSED_PAD src0_sel:BYTE_3 src1_sel:DWORD
	v_cmpx_gt_u32_e32 8, v86
	s_cbranch_execz .LBB212_10
; %bb.1038:                             ;   in Loop: Header=BB212_15 Depth=1
	v_ffbh_u32_e32 v32, v28
	v_min_u32_e32 v32, 32, v32
	v_subrev_nc_u32_e32 v48, 28, v32
	v_sub_nc_u32_e32 v32, 29, v32
	v_lshlrev_b64 v[64:65], v48, v[28:29]
	v_and_b32_e32 v28, 7, v64
	s_branch .LBB212_10
.LBB212_1039:
	s_or_b32 exec_lo, exec_lo, s17
	s_clause 0x4
	buffer_load_dword v26, off, s[0:3], s32 offset:1504
	buffer_load_dword v32, off, s[0:3], s32 offset:1508
	;; [unrolled: 1-line block ×5, first 2 shown]
.LBB212_1040:
	s_or_b32 exec_lo, exec_lo, s13
	v_mbcnt_lo_u32_b32 v0, -1, 0
	v_max_f32_e32 v4, v24, v24
	s_waitcnt lgkmcnt(0)
	s_lshr_b32 s13, s7, 16
	v_xor_b32_e32 v1, 16, v0
	v_xor_b32_e32 v3, 8, v0
	v_cmp_gt_i32_e32 vcc_lo, 32, v1
	v_cndmask_b32_e32 v1, v0, v1, vcc_lo
	v_cmp_gt_i32_e32 vcc_lo, 32, v3
	v_lshlrev_b32_e32 v1, 2, v1
	v_cndmask_b32_e32 v3, v0, v3, vcc_lo
	ds_bpermute_b32 v2, v1, v24
	s_waitcnt lgkmcnt(0)
	v_max_f32_e32 v5, v2, v2
	v_lshlrev_b32_e32 v2, 2, v3
	v_max_f32_e32 v3, v4, v5
	v_xor_b32_e32 v5, 4, v0
	ds_bpermute_b32 v4, v2, v3
	v_cmp_gt_i32_e32 vcc_lo, 32, v5
	v_cndmask_b32_e32 v5, v0, v5, vcc_lo
	v_lshlrev_b32_e32 v27, 2, v5
	v_xor_b32_e32 v5, 2, v0
	v_cmp_gt_i32_e32 vcc_lo, 32, v5
	s_waitcnt lgkmcnt(0)
	v_max_f32_e32 v4, v4, v4
	v_cndmask_b32_e32 v5, v0, v5, vcc_lo
	v_max_f32_e32 v3, v3, v4
	v_lshlrev_b32_e32 v95, 2, v5
	v_xor_b32_e32 v5, 1, v0
	ds_bpermute_b32 v4, v27, v3
	v_cmp_gt_i32_e32 vcc_lo, 32, v5
	v_cndmask_b32_e32 v5, v0, v5, vcc_lo
	v_lshlrev_b32_e32 v25, 2, v5
	s_waitcnt lgkmcnt(0)
	v_max_f32_e32 v4, v4, v4
	v_max_f32_e32 v3, v3, v4
	ds_bpermute_b32 v4, v95, v3
	s_waitcnt lgkmcnt(0)
	v_max_f32_e32 v4, v4, v4
	v_max_f32_e32 v0, v3, v4
	buffer_load_dword v3, off, s[0:3], s32 offset:904 ; 4-byte Folded Reload
	ds_bpermute_b32 v4, v25, v0
	s_waitcnt vmcnt(0)
	v_cmp_eq_u32_e32 vcc_lo, 0, v3
	buffer_load_dword v3, off, s[0:3], s32 offset:1460 ; 4-byte Folded Reload
	s_waitcnt vmcnt(0)
	v_lshlrev_b32_e32 v3, 2, v3
	s_and_saveexec_b32 s5, vcc_lo
	s_cbranch_execz .LBB212_1042
; %bb.1041:
	s_waitcnt lgkmcnt(0)
	v_max_f32_e32 v4, v4, v4
	v_max_f32_e32 v0, v0, v0
	;; [unrolled: 1-line block ×3, first 2 shown]
	ds_write_b32 v3, v0 offset:512
.LBB212_1042:
	s_or_b32 exec_lo, exec_lo, s5
	buffer_load_dword v0, off, s[0:3], s32 offset:904 ; 4-byte Folded Reload
	s_waitcnt vmcnt(0) lgkmcnt(0)
	s_waitcnt_vscnt null, 0x0
	s_barrier
	buffer_gl0_inv
	v_cmp_gt_u32_e64 s5, 4, v0
	v_mov_b32_e32 v0, 0xff7fffff
	s_and_saveexec_b32 s6, s5
; %bb.1043:
	ds_read_b32 v0, v12 offset:512
; %bb.1044:
	s_or_b32 exec_lo, exec_lo, s6
	s_waitcnt lgkmcnt(0)
	ds_bpermute_b32 v4, v95, v0
	v_max_f32_e32 v0, v0, v0
	buffer_load_dword v6, off, s[0:3], s32 offset:200 ; 4-byte Folded Reload
	s_waitcnt lgkmcnt(0)
	v_max_f32_e32 v4, v4, v4
	v_max_f32_e32 v0, v0, v4
	ds_bpermute_b32 v4, v25, v0
	s_waitcnt lgkmcnt(0)
	v_max_f32_e32 v4, v4, v4
	v_max_f32_e32 v0, v0, v4
	v_mov_b32_e32 v4, 0
	ds_bpermute_b32 v5, v4, v0
	buffer_load_dword v0, off, s[0:3], s32 offset:204 ; 4-byte Folded Reload
	s_waitcnt vmcnt(0)
	v_lshlrev_b32_e32 v0, 5, v0
	v_min_i32_e32 v0, v0, v6
	buffer_load_dword v6, off, s[0:3], s32 offset:908 ; 4-byte Folded Reload
	s_waitcnt vmcnt(0)
	v_cmp_lt_i32_e64 s6, v6, v0
	s_and_saveexec_b32 s15, s6
	s_cbranch_execz .LBB212_1048
; %bb.1045:
	buffer_load_dword v7, off, s[0:3], s32 offset:908 ; 4-byte Folded Reload
	s_load_dword s7, s[8:9], 0x0
	v_mov_b32_e32 v4, 0
	s_mov_b32 s17, 0
	s_waitcnt vmcnt(0) lgkmcnt(0)
	v_lshl_add_u32 v6, v7, 2, s7
	.p2align	6
.LBB212_1046:                           ; =>This Inner Loop Header: Depth=1
	ds_read_b32 v8, v6
	v_add_nc_u32_e32 v7, 0x80, v7
	v_cmp_ge_i32_e64 s7, v7, v0
	s_or_b32 s17, s7, s17
	s_waitcnt lgkmcnt(0)
	v_sub_f32_e32 v8, v8, v5
	v_mul_f32_e32 v8, 0x3fb8aa3b, v8
	v_exp_f32_e32 v8, v8
	ds_write_b32 v6, v8
	v_add_f32_e32 v4, v4, v8
	v_add_nc_u32_e32 v6, 0x200, v6
	s_andn2_b32 exec_lo, exec_lo, s17
	s_cbranch_execnz .LBB212_1046
; %bb.1047:
	s_or_b32 exec_lo, exec_lo, s17
.LBB212_1048:
	s_or_b32 exec_lo, exec_lo, s15
	ds_bpermute_b32 v1, v1, v4
	s_waitcnt lgkmcnt(0)
	v_add_f32_e32 v1, v4, v1
	ds_bpermute_b32 v2, v2, v1
	s_waitcnt lgkmcnt(0)
	v_add_f32_e32 v1, v1, v2
	;; [unrolled: 3-line block ×5, first 2 shown]
	s_and_saveexec_b32 s7, vcc_lo
; %bb.1049:
	ds_write_b32 v3, v1 offset:528
; %bb.1050:
	s_or_b32 exec_lo, exec_lo, s7
	s_waitcnt lgkmcnt(0)
	s_barrier
	buffer_gl0_inv
	s_and_saveexec_b32 s7, s5
; %bb.1051:
	ds_read_b32 v1, v12 offset:528
; %bb.1052:
	s_or_b32 exec_lo, exec_lo, s7
	s_waitcnt lgkmcnt(0)
	ds_bpermute_b32 v2, v95, v1
	s_waitcnt lgkmcnt(0)
	v_add_f32_e32 v1, v1, v2
	ds_bpermute_b32 v2, v25, v1
	s_waitcnt lgkmcnt(0)
	v_add_f32_e32 v1, v1, v2
	v_mov_b32_e32 v2, 0
	ds_bpermute_b32 v1, v2, v1
	s_and_saveexec_b32 s5, s6
	s_cbranch_execz .LBB212_1055
; %bb.1053:
	s_waitcnt lgkmcnt(0)
	v_add_f32_e32 v2, 0x358637bd, v1
	s_load_dword s6, s[8:9], 0x0
	v_div_scale_f32 v1, null, v2, v2, 1.0
	v_div_scale_f32 v5, vcc_lo, 1.0, v2, 1.0
	v_rcp_f32_e32 v3, v1
	v_fma_f32 v4, -v1, v3, 1.0
	v_fmac_f32_e32 v3, v4, v3
	v_mul_f32_e32 v4, v5, v3
	v_fma_f32 v6, -v1, v4, v5
	v_fmac_f32_e32 v4, v6, v3
	v_fma_f32 v1, -v1, v4, v5
	v_div_fmas_f32 v3, v1, v3, v4
	buffer_load_dword v4, off, s[0:3], s32 offset:908 ; 4-byte Folded Reload
	v_div_fixup_f32 v2, v3, v2, 1.0
	s_waitcnt vmcnt(0) lgkmcnt(0)
	v_lshl_add_u32 v1, v4, 2, s6
	v_mov_b32_e32 v3, v4
	s_mov_b32 s6, 0
.LBB212_1054:                           ; =>This Inner Loop Header: Depth=1
	ds_read_b32 v4, v1
	v_add_nc_u32_e32 v3, 0x80, v3
	v_cmp_ge_i32_e32 vcc_lo, v3, v0
	s_or_b32 s6, vcc_lo, s6
	s_waitcnt lgkmcnt(0)
	v_mul_f32_e32 v4, v2, v4
	ds_write_b32 v1, v4
	v_add_nc_u32_e32 v1, 0x200, v1
	s_andn2_b32 exec_lo, exec_lo, s6
	s_cbranch_execnz .LBB212_1054
.LBB212_1055:
	s_or_b32 exec_lo, exec_lo, s5
	buffer_load_dword v0, off, s[0:3], s32 offset:908 ; 4-byte Folded Reload
	v_mov_b32_e32 v34, 0
	v_mov_b32_e32 v36, 0
	;; [unrolled: 1-line block ×32, first 2 shown]
	s_waitcnt vmcnt(0) lgkmcnt(0)
	s_barrier
	buffer_gl0_inv
	v_and_b32_e32 v68, 7, v0
	s_and_saveexec_b32 s5, s4
	s_cbranch_execz .LBB212_2149
; %bb.1056:
	buffer_load_dword v0, off, s[0:3], s32 offset:1500 ; 4-byte Folded Reload
	v_add_co_u32 v2, vcc_lo, v33, v9
	v_mov_b32_e32 v5, 0
	buffer_store_dword v27, off, s[0:3], s32 offset:764 ; 4-byte Folded Spill
	v_mov_b32_e32 v4, 0
	v_mov_b32_e32 v9, 0
	;; [unrolled: 1-line block ×3, first 2 shown]
	v_bfrev_b32_e32 v12, 1
	v_mov_b32_e32 v14, 0x7f800001
	v_mov_b32_e32 v98, 0xff
	;; [unrolled: 1-line block ×10, first 2 shown]
	s_mov_b32 s6, 0
	buffer_load_dword v3, off, s[0:3], s32 offset:1484 ; 4-byte Folded Reload
	s_waitcnt vmcnt(1)
	v_max_i32_e32 v87, v26, v0
	buffer_load_dword v0, off, s[0:3], s32 offset:908 ; 4-byte Folded Reload
	v_cvt_f32_u32_e32 v1, v87
	v_rcp_iflag_f32_e32 v1, v1
	v_mul_f32_e32 v1, 0x4f7ffffe, v1
	s_waitcnt vmcnt(1)
	v_add_co_ci_u32_e64 v3, null, v32, v3, vcc_lo
	buffer_store_dword v2, off, s[0:3], s32 offset:724 ; 4-byte Folded Spill
	buffer_store_dword v3, off, s[0:3], s32 offset:728 ; 4-byte Folded Spill
	buffer_store_dword v5, off, s[0:3], s32 offset:484 ; 4-byte Folded Spill
	v_mov_b32_e32 v5, 0
	buffer_store_dword v4, off, s[0:3], s32 offset:476 ; 4-byte Folded Spill
	v_sub_nc_u32_e32 v4, 0, v87
	v_cvt_u32_f32_e32 v1, v1
	buffer_store_dword v68, off, s[0:3], s32 offset:756 ; 4-byte Folded Spill
	buffer_load_dword v3, off, s[0:3], s32 offset:1480 ; 4-byte Folded Reload
	v_lshlrev_b32_e32 v2, 4, v68
	buffer_store_dword v5, off, s[0:3], s32 offset:492 ; 4-byte Folded Spill
	v_mov_b32_e32 v5, 0
	v_mul_lo_u32 v4, v4, v1
	buffer_store_dword v5, off, s[0:3], s32 offset:500 ; 4-byte Folded Spill
	v_mov_b32_e32 v5, 0
	buffer_store_dword v5, off, s[0:3], s32 offset:508 ; 4-byte Folded Spill
	v_mov_b32_e32 v5, 0
	buffer_store_dword v5, off, s[0:3], s32 offset:516 ; 4-byte Folded Spill
	v_mov_b32_e32 v5, 0
	buffer_store_dword v5, off, s[0:3], s32 offset:524 ; 4-byte Folded Spill
	v_mov_b32_e32 v5, 0
	buffer_store_dword v5, off, s[0:3], s32 offset:532 ; 4-byte Folded Spill
	v_mov_b32_e32 v5, 0
	buffer_store_dword v5, off, s[0:3], s32 offset:540 ; 4-byte Folded Spill
	s_waitcnt vmcnt(1)
	v_lshlrev_b32_e32 v0, 2, v0
	v_and_b32_e32 v5, 28, v0
	buffer_store_dword v5, off, s[0:3], s32 offset:732 ; 4-byte Folded Spill
	v_and_b32_e32 v5, 0x7c, v0
	v_or_b32_e32 v0, 0xf80, v0
	buffer_store_dword v5, off, s[0:3], s32 offset:740 ; 4-byte Folded Spill
	buffer_store_dword v0, off, s[0:3], s32 offset:748 ; 4-byte Folded Spill
	v_mul_hi_u32 v0, v1, v4
	s_clause 0x2
	buffer_load_dword v4, off, s[0:3], s32 offset:1472
	buffer_load_dword v5, off, s[0:3], s32 offset:1476
	;; [unrolled: 1-line block ×3, first 2 shown]
	v_add_nc_u32_e32 v0, v1, v0
	buffer_store_dword v0, off, s[0:3], s32 offset:660 ; 4-byte Folded Spill
	v_mov_b32_e32 v0, 0
	s_waitcnt vmcnt(3)
	v_and_b32_e32 v3, 0x7c, v3
	buffer_store_dword v0, off, s[0:3], s32 offset:548 ; 4-byte Folded Spill
	v_mov_b32_e32 v0, 0
	buffer_store_dword v0, off, s[0:3], s32 offset:556 ; 4-byte Folded Spill
	v_mov_b32_e32 v0, 0
	buffer_store_dword v0, off, s[0:3], s32 offset:564 ; 4-byte Folded Spill
	v_mov_b32_e32 v0, 0
	buffer_store_dword v0, off, s[0:3], s32 offset:572 ; 4-byte Folded Spill
	v_mov_b32_e32 v0, 0
	buffer_store_dword v0, off, s[0:3], s32 offset:580 ; 4-byte Folded Spill
	v_mov_b32_e32 v0, 0
	buffer_store_dword v0, off, s[0:3], s32 offset:588 ; 4-byte Folded Spill
	v_mov_b32_e32 v0, 0
	buffer_store_dword v0, off, s[0:3], s32 offset:596 ; 4-byte Folded Spill
	v_mov_b32_e32 v0, 0
	buffer_store_dword v0, off, s[0:3], s32 offset:604 ; 4-byte Folded Spill
	v_mov_b32_e32 v0, 0
	buffer_store_dword v0, off, s[0:3], s32 offset:612 ; 4-byte Folded Spill
	v_mov_b32_e32 v0, 0
	buffer_store_dword v0, off, s[0:3], s32 offset:620 ; 4-byte Folded Spill
	v_mov_b32_e32 v0, 0
	buffer_store_dword v0, off, s[0:3], s32 offset:628 ; 4-byte Folded Spill
	v_mov_b32_e32 v0, 0
	buffer_store_dword v0, off, s[0:3], s32 offset:636 ; 4-byte Folded Spill
	v_mov_b32_e32 v0, 0
	buffer_store_dword v0, off, s[0:3], s32 offset:652 ; 4-byte Folded Spill
	v_mov_b32_e32 v0, 0
	buffer_store_dword v0, off, s[0:3], s32 offset:644 ; 4-byte Folded Spill
	s_waitcnt vmcnt(2)
	v_add_co_u32 v3, vcc_lo, v3, v4
	s_waitcnt vmcnt(0)
	v_lshl_or_b32 v112, v114, 7, v2
	buffer_load_dword v2, off, s[0:3], s32 offset:1468 ; 4-byte Folded Reload
	v_add_co_ci_u32_e64 v4, null, 0, v5, vcc_lo
	v_mov_b32_e32 v5, 0
	s_waitcnt vmcnt(0)
	v_add_co_u32 v15, vcc_lo, v2, v3
	buffer_load_dword v2, off, s[0:3], s32 offset:1464 ; 4-byte Folded Reload
	s_waitcnt vmcnt(0)
	v_add_co_ci_u32_e64 v16, null, v2, v4, vcc_lo
	buffer_load_dword v2, off, s[0:3], s32 offset:1496 ; 4-byte Folded Reload
	s_branch .LBB212_1059
.LBB212_1057:                           ;   in Loop: Header=BB212_1059 Depth=1
	s_or_b32 exec_lo, exec_lo, s4
	v_mul_f32_e32 v11, v3, v91
	v_mul_f32_e32 v13, v3, v99
	;; [unrolled: 1-line block ×5, first 2 shown]
	v_fmac_f32_e32 v11, v2, v100
	v_fmac_f32_e32 v13, v2, v97
	;; [unrolled: 1-line block ×15, first 2 shown]
	v_add_f32_e32 v93, v93, v11
	buffer_load_dword v11, off, s[0:3], s32 offset:476 ; 4-byte Folded Reload
	v_mul_f32_e32 v20, v3, v62
	v_mul_f32_e32 v21, v3, v58
	s_clause 0x1
	buffer_load_dword v22, off, s[0:3], s32 offset:684
	buffer_load_dword v23, off, s[0:3], s32 offset:460
	v_fmac_f32_e32 v20, v2, v61
	v_fmac_f32_e32 v21, v2, v57
	;; [unrolled: 1-line block ×6, first 2 shown]
	s_waitcnt vmcnt(2)
	v_add_f32_e32 v11, v11, v13
	v_mul_f32_e32 v13, v3, v119
	buffer_store_dword v11, off, s[0:3], s32 offset:476 ; 4-byte Folded Spill
	buffer_load_dword v11, off, s[0:3], s32 offset:484 ; 4-byte Folded Reload
	v_fmac_f32_e32 v13, v2, v117
	v_fmac_f32_e32 v13, v4, v116
	v_fmac_f32_e32 v13, v5, v115
	s_waitcnt vmcnt(0)
	v_add_f32_e32 v11, v11, v17
	v_mul_f32_e32 v17, v3, v86
	buffer_store_dword v11, off, s[0:3], s32 offset:484 ; 4-byte Folded Spill
	buffer_load_dword v11, off, s[0:3], s32 offset:492 ; 4-byte Folded Reload
	v_fmac_f32_e32 v17, v2, v85
	v_fmac_f32_e32 v17, v4, v84
	v_fmac_f32_e32 v17, v5, v83
	;; [unrolled: 8-line block ×4, first 2 shown]
	s_waitcnt vmcnt(0)
	v_add_f32_e32 v11, v11, v20
	buffer_load_dword v20, off, s[0:3], s32 offset:524 ; 4-byte Folded Reload
	buffer_store_dword v11, off, s[0:3], s32 offset:508 ; 4-byte Folded Spill
	buffer_load_dword v11, off, s[0:3], s32 offset:516 ; 4-byte Folded Reload
	s_waitcnt vmcnt(0)
	v_add_f32_e32 v11, v11, v21
	buffer_load_dword v21, off, s[0:3], s32 offset:676 ; 4-byte Folded Reload
	buffer_store_dword v11, off, s[0:3], s32 offset:516 ; 4-byte Folded Spill
	v_mul_f32_e32 v11, v3, v47
	v_fmac_f32_e32 v11, v2, v46
	v_fmac_f32_e32 v11, v4, v45
	;; [unrolled: 1-line block ×3, first 2 shown]
	v_add_f32_e32 v20, v20, v11
	buffer_load_dword v11, off, s[0:3], s32 offset:532 ; 4-byte Folded Reload
	buffer_store_dword v20, off, s[0:3], s32 offset:524 ; 4-byte Folded Spill
	buffer_load_dword v20, off, s[0:3], s32 offset:564 ; 4-byte Folded Reload
	s_waitcnt vmcnt(1)
	v_add_f32_e32 v11, v11, v13
	v_mul_f32_e32 v13, v3, v54
	buffer_store_dword v11, off, s[0:3], s32 offset:532 ; 4-byte Folded Spill
	buffer_load_dword v11, off, s[0:3], s32 offset:540 ; 4-byte Folded Reload
	v_fmac_f32_e32 v13, v2, v53
	v_fmac_f32_e32 v13, v4, v52
	v_fmac_f32_e32 v13, v5, v51
	s_waitcnt vmcnt(0)
	v_add_f32_e32 v11, v11, v17
	v_mul_f32_e32 v17, v3, v50
	buffer_store_dword v11, off, s[0:3], s32 offset:540 ; 4-byte Folded Spill
	buffer_load_dword v11, off, s[0:3], s32 offset:548 ; 4-byte Folded Reload
	v_fmac_f32_e32 v17, v2, v49
	v_fmac_f32_e32 v17, v4, v48
	v_fmac_f32_e32 v17, v5, v39
	;; [unrolled: 8-line block ×3, first 2 shown]
	s_waitcnt vmcnt(0)
	v_add_f32_e32 v11, v11, v19
	v_mul_f32_e32 v19, v3, v32
	buffer_store_dword v11, off, s[0:3], s32 offset:556 ; 4-byte Folded Spill
	v_mul_f32_e32 v11, v3, v66
	v_fmac_f32_e32 v19, v2, v31
	v_fmac_f32_e32 v11, v2, v65
	;; [unrolled: 1-line block ×6, first 2 shown]
	v_add_f32_e32 v20, v20, v11
	buffer_load_dword v11, off, s[0:3], s32 offset:572 ; 4-byte Folded Reload
	buffer_store_dword v20, off, s[0:3], s32 offset:564 ; 4-byte Folded Spill
	buffer_load_dword v20, off, s[0:3], s32 offset:668 ; 4-byte Folded Reload
	s_waitcnt vmcnt(1)
	v_add_f32_e32 v11, v11, v13
	v_mul_f32_e32 v13, v3, v102
	buffer_store_dword v11, off, s[0:3], s32 offset:572 ; 4-byte Folded Spill
	v_mul_f32_e32 v11, v3, v113
	v_fmac_f32_e32 v13, v2, v101
	s_waitcnt vmcnt(0)
	v_add_f32_e32 v20, v20, v17
	v_mul_f32_e32 v17, v3, v126
	v_fmac_f32_e32 v11, v2, v7
	buffer_load_dword v7, off, s[0:3], s32 offset:468 ; 4-byte Folded Reload
	v_fmac_f32_e32 v13, v4, v28
	v_fmac_f32_e32 v17, v2, v125
	;; [unrolled: 1-line block ×3, first 2 shown]
	buffer_load_dword v6, off, s[0:3], s32 offset:580 ; 4-byte Folded Reload
	v_fmac_f32_e32 v13, v5, v127
	v_fmac_f32_e32 v17, v4, v124
	;; [unrolled: 1-line block ×4, first 2 shown]
	s_waitcnt vmcnt(1)
	v_mul_f32_e32 v7, v3, v7
	s_waitcnt vmcnt(0)
	v_add_f32_e32 v6, v6, v11
	buffer_load_dword v11, off, s[0:3], s32 offset:436 ; 4-byte Folded Reload
	v_fmac_f32_e32 v7, v2, v23
	buffer_load_dword v23, off, s[0:3], s32 offset:428 ; 4-byte Folded Reload
	buffer_store_dword v6, off, s[0:3], s32 offset:580 ; 4-byte Folded Spill
	buffer_load_dword v6, off, s[0:3], s32 offset:588 ; 4-byte Folded Reload
	s_waitcnt vmcnt(2)
	v_mul_f32_e32 v11, v3, v11
	s_waitcnt vmcnt(0)
	v_add_f32_e32 v6, v6, v13
	buffer_load_dword v13, off, s[0:3], s32 offset:404 ; 4-byte Folded Reload
	v_fmac_f32_e32 v11, v2, v23
	buffer_load_dword v23, off, s[0:3], s32 offset:396 ; 4-byte Folded Reload
	buffer_store_dword v6, off, s[0:3], s32 offset:588 ; 4-byte Folded Spill
	buffer_load_dword v6, off, s[0:3], s32 offset:596 ; 4-byte Folded Reload
	;; [unrolled: 9-line block ×3, first 2 shown]
	s_waitcnt vmcnt(2)
	v_mul_f32_e32 v17, v3, v17
	s_waitcnt vmcnt(1)
	v_fmac_f32_e32 v17, v2, v23
	buffer_load_dword v23, off, s[0:3], s32 offset:452 ; 4-byte Folded Reload
	s_waitcnt vmcnt(0)
	v_fmac_f32_e32 v7, v4, v23
	buffer_load_dword v23, off, s[0:3], s32 offset:420 ; 4-byte Folded Reload
	;; [unrolled: 3-line block ×4, first 2 shown]
	v_add_f32_e32 v22, v22, v19
	v_mul_f32_e32 v19, v3, v110
	v_fmac_f32_e32 v19, v2, v109
	v_fmac_f32_e32 v19, v4, v108
	;; [unrolled: 1-line block ×3, first 2 shown]
	s_waitcnt vmcnt(0)
	v_fmac_f32_e32 v17, v4, v23
	buffer_load_dword v23, off, s[0:3], s32 offset:444 ; 4-byte Folded Reload
	s_waitcnt vmcnt(0)
	v_fmac_f32_e32 v7, v5, v23
	buffer_load_dword v23, off, s[0:3], s32 offset:412 ; 4-byte Folded Reload
	;; [unrolled: 3-line block ×4, first 2 shown]
	v_add_f32_e32 v21, v21, v18
	v_mul_f32_e32 v18, v3, v122
	v_fmac_f32_e32 v18, v2, v121
	v_fmac_f32_e32 v18, v4, v120
	;; [unrolled: 1-line block ×3, first 2 shown]
	v_add_f32_e32 v18, v6, v18
	buffer_load_dword v6, off, s[0:3], s32 offset:700 ; 4-byte Folded Reload
	s_waitcnt vmcnt(1)
	v_fmac_f32_e32 v17, v5, v23
	buffer_load_dword v23, off, s[0:3], s32 offset:604 ; 4-byte Folded Reload
	s_waitcnt vmcnt(1)
	v_add_f32_e32 v19, v6, v19
	v_mul_f32_e32 v6, v3, v106
	v_fmac_f32_e32 v6, v2, v105
	v_fmac_f32_e32 v6, v4, v104
	;; [unrolled: 1-line block ×3, first 2 shown]
	s_waitcnt vmcnt(0)
	v_add_f32_e32 v23, v23, v6
	buffer_load_dword v6, off, s[0:3], s32 offset:612 ; 4-byte Folded Reload
	buffer_store_dword v23, off, s[0:3], s32 offset:604 ; 4-byte Folded Spill
	s_waitcnt vmcnt(0)
	v_add_f32_e32 v6, v6, v7
	buffer_load_dword v7, off, s[0:3], s32 offset:308 ; 4-byte Folded Reload
	buffer_store_dword v6, off, s[0:3], s32 offset:612 ; 4-byte Folded Spill
	buffer_load_dword v6, off, s[0:3], s32 offset:620 ; 4-byte Folded Reload
	s_waitcnt vmcnt(0)
	v_add_f32_e32 v6, v6, v11
	buffer_load_dword v11, off, s[0:3], s32 offset:276 ; 4-byte Folded Reload
	v_mul_f32_e32 v7, v3, v7
	buffer_store_dword v6, off, s[0:3], s32 offset:620 ; 4-byte Folded Spill
	buffer_load_dword v6, off, s[0:3], s32 offset:628 ; 4-byte Folded Reload
	s_waitcnt vmcnt(0)
	v_add_f32_e32 v6, v6, v13
	buffer_load_dword v13, off, s[0:3], s32 offset:244 ; 4-byte Folded Reload
	v_mul_f32_e32 v11, v3, v11
	buffer_store_dword v6, off, s[0:3], s32 offset:628 ; 4-byte Folded Spill
	buffer_load_dword v6, off, s[0:3], s32 offset:636 ; 4-byte Folded Reload
	s_waitcnt vmcnt(1)
	v_mul_f32_e32 v13, v3, v13
	s_waitcnt vmcnt(0)
	v_add_f32_e32 v6, v6, v17
	buffer_store_dword v6, off, s[0:3], s32 offset:636 ; 4-byte Folded Spill
	buffer_load_dword v6, off, s[0:3], s32 offset:340 ; 4-byte Folded Reload
	s_waitcnt vmcnt(0)
	v_mul_f32_e32 v6, v3, v6
	v_mul_f32_e32 v3, v3, v10
	buffer_load_dword v10, off, s[0:3], s32 offset:332 ; 4-byte Folded Reload
	v_fmac_f32_e32 v3, v2, v8
	v_fmac_f32_e32 v3, v4, v1
	buffer_load_dword v1, off, s[0:3], s32 offset:316 ; 4-byte Folded Reload
	v_fmac_f32_e32 v3, v5, v0
	buffer_load_dword v0, off, s[0:3], s32 offset:652 ; 4-byte Folded Reload
	v_add_f32_e32 v94, v94, v3
	s_waitcnt vmcnt(2)
	v_fmac_f32_e32 v6, v2, v10
	buffer_load_dword v10, off, s[0:3], s32 offset:300 ; 4-byte Folded Reload
	s_waitcnt vmcnt(0)
	v_fmac_f32_e32 v7, v2, v10
	buffer_load_dword v10, off, s[0:3], s32 offset:268 ; 4-byte Folded Reload
	;; [unrolled: 3-line block ×5, first 2 shown]
	v_fmac_f32_e32 v6, v5, v1
	buffer_load_dword v1, off, s[0:3], s32 offset:284 ; 4-byte Folded Reload
	s_waitcnt vmcnt(1)
	v_fmac_f32_e32 v7, v4, v2
	buffer_load_dword v2, off, s[0:3], s32 offset:260 ; 4-byte Folded Reload
	s_waitcnt vmcnt(1)
	;; [unrolled: 3-line block ×4, first 2 shown]
	v_fmac_f32_e32 v11, v5, v1
	buffer_load_dword v1, off, s[0:3], s32 offset:192 ; 4-byte Folded Reload
	v_add_f32_e32 v0, v0, v11
	buffer_store_dword v0, off, s[0:3], s32 offset:652 ; 4-byte Folded Spill
	buffer_load_dword v0, off, s[0:3], s32 offset:644 ; 4-byte Folded Reload
	s_waitcnt vmcnt(2)
	v_fmac_f32_e32 v13, v4, v2
	s_waitcnt vmcnt(1)
	v_fmac_f32_e32 v13, v5, v1
	buffer_load_dword v5, off, s[0:3], s32 offset:708 ; 4-byte Folded Reload
	s_waitcnt vmcnt(1)
	v_add_f32_e32 v0, v0, v13
	buffer_store_dword v0, off, s[0:3], s32 offset:644 ; 4-byte Folded Spill
	s_waitcnt vmcnt(0)
	v_add_f32_e32 v5, v5, v6
	buffer_load_dword v6, off, s[0:3], s32 offset:716 ; 4-byte Folded Reload
	s_waitcnt vmcnt(0)
	v_add_f32_e32 v6, v6, v7
.LBB212_1058:                           ;   in Loop: Header=BB212_1059 Depth=1
	s_or_b32 exec_lo, exec_lo, s7
	buffer_load_dword v0, off, s[0:3], s32 offset:204 ; 4-byte Folded Reload
	v_add_nc_u32_e32 v114, 4, v114
	v_mov_b32_e32 v2, v34
	v_add_co_u32 v15, s4, v15, 16
	v_add_nc_u32_e32 v112, 0x200, v112
	v_add_co_ci_u32_e64 v16, null, 0, v16, s4
	v_add_nc_u32_e32 v2, 0x80, v2
	s_waitcnt vmcnt(0)
	v_cmp_ge_i32_e32 vcc_lo, v114, v0
	s_or_b32 s6, vcc_lo, s6
	s_andn2_b32 exec_lo, exec_lo, s6
	s_cbranch_execz .LBB212_2148
.LBB212_1059:                           ; =>This Inner Loop Header: Depth=1
	s_clause 0x1
	buffer_load_dword v0, off, s[0:3], s32 offset:232
	buffer_load_dword v4, off, s[0:3], s32 offset:216
	s_waitcnt vmcnt(2)
	v_mov_b32_e32 v34, v2
	s_waitcnt vmcnt(1)
	v_mul_hi_u32 v0, v2, v0
	s_waitcnt vmcnt(0)
	v_mul_lo_u32 v1, v0, v4
	v_sub_nc_u32_e32 v1, v2, v1
	v_add_nc_u32_e32 v2, 1, v0
	v_sub_nc_u32_e32 v3, v1, v4
	v_cmp_ge_u32_e32 vcc_lo, v1, v4
	v_cndmask_b32_e32 v1, v1, v3, vcc_lo
	v_cndmask_b32_e32 v0, v0, v2, vcc_lo
	v_cmp_ge_u32_e32 vcc_lo, v1, v4
	buffer_load_dword v1, off, s[0:3], s32 offset:228 ; 4-byte Folded Reload
	v_add_nc_u32_e32 v2, 1, v0
	v_cndmask_b32_e32 v0, v0, v2, vcc_lo
	s_waitcnt vmcnt(0)
	v_xor_b32_e32 v0, v0, v1
	v_sub_nc_u32_e32 v0, v0, v1
	s_clause 0x2
	buffer_load_dword v1, off, s[0:3], s32 offset:220
	buffer_load_dword v2, off, s[0:3], s32 offset:224
	;; [unrolled: 1-line block ×3, first 2 shown]
	s_waitcnt vmcnt(2)
	v_add_nc_u32_e32 v1, v0, v1
	s_waitcnt vmcnt(1)
	v_sub_nc_u32_e32 v2, 0, v1
	v_max_i32_e32 v2, v1, v2
	v_ashrrev_i32_e32 v1, 31, v1
	s_waitcnt vmcnt(0)
	v_mul_hi_u32 v3, v2, v3
	v_mul_lo_u32 v3, v3, v87
	v_sub_nc_u32_e32 v2, v2, v3
	v_sub_nc_u32_e32 v3, v2, v87
	v_cmp_ge_u32_e32 vcc_lo, v2, v87
	v_cndmask_b32_e32 v2, v2, v3, vcc_lo
	v_sub_nc_u32_e32 v3, v2, v87
	v_cmp_ge_u32_e32 vcc_lo, v2, v87
	v_cndmask_b32_e32 v2, v2, v3, vcc_lo
	v_xor_b32_e32 v2, v2, v1
	v_sub_nc_u32_e32 v1, v2, v1
	v_cmp_eq_u32_e32 vcc_lo, 0, v1
	buffer_load_dword v1, off, s[0:3], s32 offset:236 ; 4-byte Folded Reload
	s_waitcnt vmcnt(0)
	v_cmp_gt_i32_e64 s4, v0, v1
	s_or_b32 s4, vcc_lo, s4
	s_and_saveexec_b32 s7, s4
	s_cbranch_execz .LBB212_1058
; %bb.1060:                             ;   in Loop: Header=BB212_1059 Depth=1
	buffer_store_dword v6, off, s[0:3], s32 offset:716 ; 4-byte Folded Spill
	buffer_store_dword v5, off, s[0:3], s32 offset:708 ; 4-byte Folded Spill
	;; [unrolled: 1-line block ×7, first 2 shown]
	flat_load_dword v0, v[15:16]
	s_clause 0x2
	buffer_load_dword v1, off, s[0:3], s32 offset:820
	buffer_load_dword v2, off, s[0:3], s32 offset:724
	;; [unrolled: 1-line block ×3, first 2 shown]
	v_mov_b32_e32 v21, 0
	v_mov_b32_e32 v19, 0
	;; [unrolled: 1-line block ×4, first 2 shown]
	s_waitcnt vmcnt(0) lgkmcnt(0)
	v_mad_i64_i32 v[17:18], null, v0, v1, v[2:3]
	buffer_load_dword v0, off, s[0:3], s32 offset:740 ; 4-byte Folded Reload
	s_waitcnt vmcnt(0)
	v_add_co_u32 v0, vcc_lo, v17, v0
	v_add_co_ci_u32_e64 v1, null, 0, v18, vcc_lo
	flat_load_dword v6, v[0:1]
	s_clause 0x1
	buffer_load_dword v2, off, s[0:3], s32 offset:916
	buffer_load_dword v3, off, s[0:3], s32 offset:920
	s_load_dword s4, s[8:9], 0x0
	s_waitcnt vmcnt(2) lgkmcnt(0)
	v_cmp_ne_u16_sdwa s15, v6, v9 src0_sel:BYTE_0 src1_sel:DWORD
	s_waitcnt vmcnt(0)
	flat_load_dword v118, v[2:3]
	v_add_nc_u32_e32 v2, s4, v112
	ds_read_b128 v[2:5], v2
	s_and_saveexec_b32 s4, s15
	s_cbranch_execz .LBB212_1068
; %bb.1061:                             ;   in Loop: Header=BB212_1059 Depth=1
	v_bfrev_b32_e32 v19, 1
	v_mov_b32_e32 v20, 0
	v_cmp_ne_u16_sdwa s17, v6, v96 src0_sel:BYTE_0 src1_sel:DWORD
	s_and_saveexec_b32 s15, s17
	s_cbranch_execz .LBB212_1067
; %bb.1062:                             ;   in Loop: Header=BB212_1059 Depth=1
	v_mov_b32_e32 v19, 0x7f800001
	v_and_b32_e32 v10, 0x7f, v6
	v_mov_b32_e32 v20, 0
	s_mov_b32 s17, exec_lo
	v_cmpx_ne_u32_e32 0x7f, v10
	s_cbranch_execz .LBB212_1066
; %bb.1063:                             ;   in Loop: Header=BB212_1059 Depth=1
	v_and_b32_e32 v8, 7, v6
	v_lshrrev_b32_e32 v7, 3, v10
	s_mov_b32 s18, exec_lo
	v_cmpx_gt_u32_e32 8, v10
; %bb.1064:                             ;   in Loop: Header=BB212_1059 Depth=1
	v_ffbh_u32_e32 v7, v8
	v_min_u32_e32 v7, 32, v7
	v_subrev_nc_u32_e32 v10, 28, v7
	v_sub_nc_u32_e32 v7, 29, v7
	v_lshlrev_b64 v[10:11], v10, v[8:9]
	v_and_b32_e32 v8, 7, v10
; %bb.1065:                             ;   in Loop: Header=BB212_1059 Depth=1
	s_or_b32 exec_lo, exec_lo, s18
	v_lshlrev_b32_e32 v10, 24, v6
	v_lshlrev_b32_e32 v8, 20, v8
	v_lshl_add_u32 v7, v7, 23, 0x3c000000
	v_and_b32_e32 v10, 0x80000000, v10
	v_or3_b32 v8, v8, v10, v7
	v_mov_b32_e32 v20, v9
	v_mov_b32_e32 v19, v8
.LBB212_1066:                           ;   in Loop: Header=BB212_1059 Depth=1
	s_or_b32 exec_lo, exec_lo, s17
.LBB212_1067:                           ;   in Loop: Header=BB212_1059 Depth=1
	s_or_b32 exec_lo, exec_lo, s15
.LBB212_1068:                           ;   in Loop: Header=BB212_1059 Depth=1
	s_or_b32 exec_lo, exec_lo, s4
	v_cmp_ne_u16_sdwa s15, v6, v9 src0_sel:BYTE_1 src1_sel:DWORD
	s_and_saveexec_b32 s4, s15
	s_cbranch_execz .LBB212_1076
; %bb.1069:                             ;   in Loop: Header=BB212_1059 Depth=1
	v_mov_b32_e32 v11, v9
	v_mov_b32_e32 v22, v12
	v_cmp_ne_u16_sdwa s17, v6, v96 src0_sel:BYTE_1 src1_sel:DWORD
	v_mov_b32_e32 v21, v11
	s_and_saveexec_b32 s15, s17
	s_cbranch_execz .LBB212_1075
; %bb.1070:                             ;   in Loop: Header=BB212_1059 Depth=1
	v_mov_b32_e32 v7, 0xffff
	v_mov_b32_e32 v13, v9
	;; [unrolled: 1-line block ×3, first 2 shown]
	s_mov_b32 s17, exec_lo
	v_and_b32_sdwa v7, v7, v6 dst_sel:DWORD dst_unused:UNUSED_PAD src0_sel:DWORD src1_sel:BYTE_1
	v_mov_b32_e32 v21, v13
	v_and_b32_e32 v10, 0x7f, v7
	v_cmpx_ne_u32_e32 0x7f, v10
	s_cbranch_execz .LBB212_1074
; %bb.1071:                             ;   in Loop: Header=BB212_1059 Depth=1
	v_and_b32_e32 v8, 7, v7
	v_lshrrev_b32_e32 v7, 3, v10
	s_mov_b32 s18, exec_lo
	v_cmpx_gt_u32_e32 8, v10
; %bb.1072:                             ;   in Loop: Header=BB212_1059 Depth=1
	v_ffbh_u32_e32 v7, v8
	v_min_u32_e32 v7, 32, v7
	v_subrev_nc_u32_e32 v10, 28, v7
	v_sub_nc_u32_e32 v7, 29, v7
	v_lshlrev_b64 v[10:11], v10, v[8:9]
	v_and_b32_e32 v8, 7, v10
; %bb.1073:                             ;   in Loop: Header=BB212_1059 Depth=1
	s_or_b32 exec_lo, exec_lo, s18
	v_lshlrev_b32_e32 v10, 16, v6
	v_lshlrev_b32_e32 v8, 20, v8
	v_lshl_add_u32 v7, v7, 23, 0x3c000000
	v_mov_b32_e32 v21, v9
	v_and_b32_e32 v10, 0x80000000, v10
	v_or3_b32 v22, v8, v10, v7
.LBB212_1074:                           ;   in Loop: Header=BB212_1059 Depth=1
	s_or_b32 exec_lo, exec_lo, s17
.LBB212_1075:                           ;   in Loop: Header=BB212_1059 Depth=1
	s_or_b32 exec_lo, exec_lo, s15
.LBB212_1076:                           ;   in Loop: Header=BB212_1059 Depth=1
	s_or_b32 exec_lo, exec_lo, s4
	v_mov_b32_e32 v10, 0
	v_mov_b32_e32 v23, 0
	v_and_b32_sdwa v7, v6, v98 dst_sel:DWORD dst_unused:UNUSED_PAD src0_sel:WORD_1 src1_sel:DWORD
	v_mov_b32_e32 v11, 0
	v_mov_b32_e32 v24, 0
	s_mov_b32 s4, exec_lo
	v_cmpx_ne_u16_e32 0, v7
	s_cbranch_execz .LBB212_1084
; %bb.1077:                             ;   in Loop: Header=BB212_1059 Depth=1
	v_bfrev_b32_e32 v23, 1
	v_mov_b32_e32 v24, 0
	s_mov_b32 s15, exec_lo
	v_cmpx_ne_u16_e32 0x80, v7
	s_cbranch_execz .LBB212_1083
; %bb.1078:                             ;   in Loop: Header=BB212_1059 Depth=1
	v_mov_b32_e32 v23, 0x7f800001
	v_bfe_u32 v13, v6, 16, 7
	v_mov_b32_e32 v24, 0
	s_mov_b32 s17, exec_lo
	v_cmpx_ne_u32_e32 0x7f, v13
	s_cbranch_execz .LBB212_1082
; %bb.1079:                             ;   in Loop: Header=BB212_1059 Depth=1
	v_mov_b32_e32 v7, 7
	s_mov_b32 s18, exec_lo
	v_and_b32_sdwa v8, v6, v7 dst_sel:DWORD dst_unused:UNUSED_PAD src0_sel:WORD_1 src1_sel:DWORD
	v_lshrrev_b32_e32 v7, 3, v13
	v_cmpx_gt_u32_e32 8, v13
; %bb.1080:                             ;   in Loop: Header=BB212_1059 Depth=1
	v_ffbh_u32_e32 v7, v8
	v_min_u32_e32 v7, 32, v7
	v_subrev_nc_u32_e32 v13, 28, v7
	v_sub_nc_u32_e32 v7, 29, v7
	v_lshlrev_b64 v[23:24], v13, v[8:9]
	v_and_b32_e32 v8, 7, v23
; %bb.1081:                             ;   in Loop: Header=BB212_1059 Depth=1
	s_or_b32 exec_lo, exec_lo, s18
	v_mov_b32_e32 v13, 24
	v_lshlrev_b32_e32 v8, 20, v8
	v_lshl_add_u32 v7, v7, 23, 0x3c000000
	v_lshlrev_b32_sdwa v13, v13, v6 dst_sel:DWORD dst_unused:UNUSED_PAD src0_sel:DWORD src1_sel:WORD_1
	v_and_b32_e32 v13, 0x80000000, v13
	v_or3_b32 v8, v8, v13, v7
	v_mov_b32_e32 v24, v9
	v_mov_b32_e32 v23, v8
.LBB212_1082:                           ;   in Loop: Header=BB212_1059 Depth=1
	s_or_b32 exec_lo, exec_lo, s17
.LBB212_1083:                           ;   in Loop: Header=BB212_1059 Depth=1
	s_or_b32 exec_lo, exec_lo, s15
.LBB212_1084:                           ;   in Loop: Header=BB212_1059 Depth=1
	s_or_b32 exec_lo, exec_lo, s4
	s_mov_b32 s4, exec_lo
	v_cmpx_lt_u32_e32 0xffffff, v6
	s_cbranch_execz .LBB212_1092
; %bb.1085:                             ;   in Loop: Header=BB212_1059 Depth=1
	v_mov_b32_e32 v11, v9
	v_cmp_ne_u32_sdwa s17, v6, v96 src0_sel:BYTE_3 src1_sel:DWORD
	v_mov_b32_e32 v10, v11
	v_mov_b32_e32 v11, v12
	s_and_saveexec_b32 s15, s17
	s_cbranch_execz .LBB212_1091
; %bb.1086:                             ;   in Loop: Header=BB212_1059 Depth=1
	v_mov_b32_e32 v13, v9
	v_bfe_u32 v28, v6, 24, 7
	s_mov_b32 s17, exec_lo
	v_mov_b32_e32 v10, v13
	v_mov_b32_e32 v11, v14
	v_cmpx_ne_u32_e32 0x7f, v28
	s_cbranch_execz .LBB212_1090
; %bb.1087:                             ;   in Loop: Header=BB212_1059 Depth=1
	v_mov_b32_e32 v7, 7
	s_mov_b32 s18, exec_lo
	v_and_b32_sdwa v8, v6, v7 dst_sel:DWORD dst_unused:UNUSED_PAD src0_sel:BYTE_3 src1_sel:DWORD
	v_lshrrev_b32_e32 v7, 3, v28
	v_cmpx_gt_u32_e32 8, v28
; %bb.1088:                             ;   in Loop: Header=BB212_1059 Depth=1
	v_ffbh_u32_e32 v7, v8
	v_min_u32_e32 v7, 32, v7
	v_subrev_nc_u32_e32 v10, 28, v7
	v_sub_nc_u32_e32 v7, 29, v7
	v_lshlrev_b64 v[10:11], v10, v[8:9]
	v_and_b32_e32 v8, 7, v10
; %bb.1089:                             ;   in Loop: Header=BB212_1059 Depth=1
	s_or_b32 exec_lo, exec_lo, s18
	v_mov_b32_e32 v10, 24
	v_lshlrev_b32_e32 v8, 20, v8
	v_lshl_add_u32 v7, v7, 23, 0x3c000000
	v_lshlrev_b32_sdwa v6, v10, v6 dst_sel:DWORD dst_unused:UNUSED_PAD src0_sel:DWORD src1_sel:BYTE_3
	v_mov_b32_e32 v10, v9
	v_and_b32_e32 v6, 0x80000000, v6
	v_or3_b32 v11, v8, v6, v7
.LBB212_1090:                           ;   in Loop: Header=BB212_1059 Depth=1
	s_or_b32 exec_lo, exec_lo, s17
.LBB212_1091:                           ;   in Loop: Header=BB212_1059 Depth=1
	s_or_b32 exec_lo, exec_lo, s15
.LBB212_1092:                           ;   in Loop: Header=BB212_1059 Depth=1
	s_or_b32 exec_lo, exec_lo, s4
	buffer_load_dword v6, off, s[0:3], s32 offset:732 ; 4-byte Folded Reload
	v_or_b32_e32 v7, v22, v20
	v_or_b32_e32 v8, v21, v19
	;; [unrolled: 1-line block ×4, first 2 shown]
	s_waitcnt vmcnt(0)
	v_add_nc_u32_e32 v40, v6, v34
	buffer_load_dword v6, off, s[0:3], s32 offset:204 ; 4-byte Folded Reload
	v_add_nc_u32_e32 v43, 1, v40
	v_add_nc_u32_e32 v42, 2, v40
	;; [unrolled: 1-line block ×3, first 2 shown]
	s_waitcnt vmcnt(0)
	v_add_nc_u32_e32 v6, -1, v6
	v_cmp_eq_u32_e32 vcc_lo, v6, v114
	s_waitcnt lgkmcnt(1)
	v_mul_f32_e32 v6, v118, v7
	buffer_store_dword v6, off, s[0:3], s32 offset:244 ; 4-byte Folded Spill
	v_mul_f32_e32 v6, v118, v8
	buffer_store_dword v6, off, s[0:3], s32 offset:240 ; 4-byte Folded Spill
	;; [unrolled: 2-line block ×4, first 2 shown]
	s_and_saveexec_b32 s15, vcc_lo
	s_cbranch_execz .LBB212_1094
; %bb.1093:                             ;   in Loop: Header=BB212_1059 Depth=1
	s_clause 0x1
	buffer_load_dword v6, off, s[0:3], s32 offset:200
	buffer_load_dword v7, off, s[0:3], s32 offset:240
	s_waitcnt vmcnt(1)
	v_cmp_lt_i32_e64 s4, v40, v6
	s_waitcnt vmcnt(0)
	v_cndmask_b32_e64 v7, 0, v7, s4
	v_cmp_lt_i32_e64 s4, v43, v6
	buffer_store_dword v7, off, s[0:3], s32 offset:240 ; 4-byte Folded Spill
	buffer_load_dword v7, off, s[0:3], s32 offset:244 ; 4-byte Folded Reload
	s_waitcnt vmcnt(0)
	v_cndmask_b32_e64 v7, 0, v7, s4
	v_cmp_lt_i32_e64 s4, v42, v6
	buffer_store_dword v7, off, s[0:3], s32 offset:244 ; 4-byte Folded Spill
	buffer_load_dword v7, off, s[0:3], s32 offset:208 ; 4-byte Folded Reload
	s_waitcnt vmcnt(0)
	v_cndmask_b32_e64 v7, 0, v7, s4
	v_cmp_lt_i32_e64 s4, v41, v6
	buffer_load_dword v6, off, s[0:3], s32 offset:192 ; 4-byte Folded Reload
	buffer_store_dword v7, off, s[0:3], s32 offset:208 ; 4-byte Folded Spill
	s_waitcnt vmcnt(0)
	v_cndmask_b32_e64 v6, 0, v6, s4
	buffer_store_dword v6, off, s[0:3], s32 offset:192 ; 4-byte Folded Spill
.LBB212_1094:                           ;   in Loop: Header=BB212_1059 Depth=1
	s_or_b32 exec_lo, exec_lo, s15
	flat_load_dword v6, v[0:1] offset:128
	v_mov_b32_e32 v21, 0
	v_mov_b32_e32 v19, 0
	;; [unrolled: 1-line block ×4, first 2 shown]
	s_waitcnt vmcnt(0) lgkmcnt(0)
	v_cmp_ne_u16_sdwa s4, v6, v9 src0_sel:BYTE_0 src1_sel:DWORD
	s_and_saveexec_b32 s15, s4
	s_cbranch_execz .LBB212_1102
; %bb.1095:                             ;   in Loop: Header=BB212_1059 Depth=1
	v_bfrev_b32_e32 v19, 1
	v_mov_b32_e32 v20, 0
	v_cmp_ne_u16_sdwa s4, v6, v96 src0_sel:BYTE_0 src1_sel:DWORD
	s_and_saveexec_b32 s17, s4
	s_cbranch_execz .LBB212_1101
; %bb.1096:                             ;   in Loop: Header=BB212_1059 Depth=1
	v_mov_b32_e32 v19, 0x7f800001
	v_and_b32_e32 v10, 0x7f, v6
	v_mov_b32_e32 v20, 0
	s_mov_b32 s18, exec_lo
	v_cmpx_ne_u32_e32 0x7f, v10
	s_cbranch_execz .LBB212_1100
; %bb.1097:                             ;   in Loop: Header=BB212_1059 Depth=1
	v_and_b32_e32 v8, 7, v6
	v_lshrrev_b32_e32 v7, 3, v10
	s_mov_b32 s19, exec_lo
	v_cmpx_gt_u32_e32 8, v10
; %bb.1098:                             ;   in Loop: Header=BB212_1059 Depth=1
	v_ffbh_u32_e32 v7, v8
	v_min_u32_e32 v7, 32, v7
	v_subrev_nc_u32_e32 v10, 28, v7
	v_sub_nc_u32_e32 v7, 29, v7
	v_lshlrev_b64 v[10:11], v10, v[8:9]
	v_and_b32_e32 v8, 7, v10
; %bb.1099:                             ;   in Loop: Header=BB212_1059 Depth=1
	s_or_b32 exec_lo, exec_lo, s19
	v_lshlrev_b32_e32 v10, 24, v6
	v_lshlrev_b32_e32 v8, 20, v8
	v_lshl_add_u32 v7, v7, 23, 0x3c000000
	v_and_b32_e32 v10, 0x80000000, v10
	v_or3_b32 v8, v8, v10, v7
	v_mov_b32_e32 v20, v9
	v_mov_b32_e32 v19, v8
.LBB212_1100:                           ;   in Loop: Header=BB212_1059 Depth=1
	s_or_b32 exec_lo, exec_lo, s18
.LBB212_1101:                           ;   in Loop: Header=BB212_1059 Depth=1
	s_or_b32 exec_lo, exec_lo, s17
.LBB212_1102:                           ;   in Loop: Header=BB212_1059 Depth=1
	s_or_b32 exec_lo, exec_lo, s15
	v_cmp_ne_u16_sdwa s4, v6, v9 src0_sel:BYTE_1 src1_sel:DWORD
	s_and_saveexec_b32 s15, s4
	s_cbranch_execz .LBB212_1110
; %bb.1103:                             ;   in Loop: Header=BB212_1059 Depth=1
	v_mov_b32_e32 v11, v9
	v_mov_b32_e32 v22, v12
	v_cmp_ne_u16_sdwa s4, v6, v96 src0_sel:BYTE_1 src1_sel:DWORD
	v_mov_b32_e32 v21, v11
	s_and_saveexec_b32 s17, s4
	s_cbranch_execz .LBB212_1109
; %bb.1104:                             ;   in Loop: Header=BB212_1059 Depth=1
	v_mov_b32_e32 v7, 0xffff
	v_mov_b32_e32 v13, v9
	;; [unrolled: 1-line block ×3, first 2 shown]
	s_mov_b32 s18, exec_lo
	v_and_b32_sdwa v7, v7, v6 dst_sel:DWORD dst_unused:UNUSED_PAD src0_sel:DWORD src1_sel:BYTE_1
	v_mov_b32_e32 v21, v13
	v_and_b32_e32 v10, 0x7f, v7
	v_cmpx_ne_u32_e32 0x7f, v10
	s_cbranch_execz .LBB212_1108
; %bb.1105:                             ;   in Loop: Header=BB212_1059 Depth=1
	v_and_b32_e32 v8, 7, v7
	v_lshrrev_b32_e32 v7, 3, v10
	s_mov_b32 s19, exec_lo
	v_cmpx_gt_u32_e32 8, v10
; %bb.1106:                             ;   in Loop: Header=BB212_1059 Depth=1
	v_ffbh_u32_e32 v7, v8
	v_min_u32_e32 v7, 32, v7
	v_subrev_nc_u32_e32 v10, 28, v7
	v_sub_nc_u32_e32 v7, 29, v7
	v_lshlrev_b64 v[10:11], v10, v[8:9]
	v_and_b32_e32 v8, 7, v10
; %bb.1107:                             ;   in Loop: Header=BB212_1059 Depth=1
	s_or_b32 exec_lo, exec_lo, s19
	v_lshlrev_b32_e32 v10, 16, v6
	v_lshlrev_b32_e32 v8, 20, v8
	v_lshl_add_u32 v7, v7, 23, 0x3c000000
	v_mov_b32_e32 v21, v9
	v_and_b32_e32 v10, 0x80000000, v10
	v_or3_b32 v22, v8, v10, v7
.LBB212_1108:                           ;   in Loop: Header=BB212_1059 Depth=1
	s_or_b32 exec_lo, exec_lo, s18
.LBB212_1109:                           ;   in Loop: Header=BB212_1059 Depth=1
	s_or_b32 exec_lo, exec_lo, s17
.LBB212_1110:                           ;   in Loop: Header=BB212_1059 Depth=1
	s_or_b32 exec_lo, exec_lo, s15
	v_mov_b32_e32 v10, 0
	v_mov_b32_e32 v23, 0
	v_and_b32_sdwa v7, v6, v98 dst_sel:DWORD dst_unused:UNUSED_PAD src0_sel:WORD_1 src1_sel:DWORD
	v_mov_b32_e32 v11, 0
	v_mov_b32_e32 v24, 0
	s_mov_b32 s15, exec_lo
	v_cmpx_ne_u16_e32 0, v7
	s_cbranch_execz .LBB212_1118
; %bb.1111:                             ;   in Loop: Header=BB212_1059 Depth=1
	v_bfrev_b32_e32 v23, 1
	v_mov_b32_e32 v24, 0
	s_mov_b32 s17, exec_lo
	v_cmpx_ne_u16_e32 0x80, v7
	s_cbranch_execz .LBB212_1117
; %bb.1112:                             ;   in Loop: Header=BB212_1059 Depth=1
	v_mov_b32_e32 v23, 0x7f800001
	v_bfe_u32 v13, v6, 16, 7
	v_mov_b32_e32 v24, 0
	s_mov_b32 s18, exec_lo
	v_cmpx_ne_u32_e32 0x7f, v13
	s_cbranch_execz .LBB212_1116
; %bb.1113:                             ;   in Loop: Header=BB212_1059 Depth=1
	v_mov_b32_e32 v7, 7
	s_mov_b32 s19, exec_lo
	v_and_b32_sdwa v8, v6, v7 dst_sel:DWORD dst_unused:UNUSED_PAD src0_sel:WORD_1 src1_sel:DWORD
	v_lshrrev_b32_e32 v7, 3, v13
	v_cmpx_gt_u32_e32 8, v13
; %bb.1114:                             ;   in Loop: Header=BB212_1059 Depth=1
	v_ffbh_u32_e32 v7, v8
	v_min_u32_e32 v7, 32, v7
	v_subrev_nc_u32_e32 v13, 28, v7
	v_sub_nc_u32_e32 v7, 29, v7
	v_lshlrev_b64 v[23:24], v13, v[8:9]
	v_and_b32_e32 v8, 7, v23
; %bb.1115:                             ;   in Loop: Header=BB212_1059 Depth=1
	s_or_b32 exec_lo, exec_lo, s19
	v_mov_b32_e32 v13, 24
	v_lshlrev_b32_e32 v8, 20, v8
	v_lshl_add_u32 v7, v7, 23, 0x3c000000
	v_lshlrev_b32_sdwa v13, v13, v6 dst_sel:DWORD dst_unused:UNUSED_PAD src0_sel:DWORD src1_sel:WORD_1
	v_and_b32_e32 v13, 0x80000000, v13
	v_or3_b32 v8, v8, v13, v7
	v_mov_b32_e32 v24, v9
	v_mov_b32_e32 v23, v8
.LBB212_1116:                           ;   in Loop: Header=BB212_1059 Depth=1
	s_or_b32 exec_lo, exec_lo, s18
.LBB212_1117:                           ;   in Loop: Header=BB212_1059 Depth=1
	s_or_b32 exec_lo, exec_lo, s17
.LBB212_1118:                           ;   in Loop: Header=BB212_1059 Depth=1
	s_or_b32 exec_lo, exec_lo, s15
	s_mov_b32 s15, exec_lo
	v_cmpx_lt_u32_e32 0xffffff, v6
	s_cbranch_execz .LBB212_1126
; %bb.1119:                             ;   in Loop: Header=BB212_1059 Depth=1
	v_mov_b32_e32 v11, v9
	v_cmp_ne_u32_sdwa s4, v6, v96 src0_sel:BYTE_3 src1_sel:DWORD
	v_mov_b32_e32 v10, v11
	v_mov_b32_e32 v11, v12
	s_and_saveexec_b32 s17, s4
	s_cbranch_execz .LBB212_1125
; %bb.1120:                             ;   in Loop: Header=BB212_1059 Depth=1
	v_mov_b32_e32 v13, v9
	v_bfe_u32 v28, v6, 24, 7
	s_mov_b32 s18, exec_lo
	v_mov_b32_e32 v10, v13
	v_mov_b32_e32 v11, v14
	v_cmpx_ne_u32_e32 0x7f, v28
	s_cbranch_execz .LBB212_1124
; %bb.1121:                             ;   in Loop: Header=BB212_1059 Depth=1
	v_mov_b32_e32 v7, 7
	s_mov_b32 s19, exec_lo
	v_and_b32_sdwa v8, v6, v7 dst_sel:DWORD dst_unused:UNUSED_PAD src0_sel:BYTE_3 src1_sel:DWORD
	v_lshrrev_b32_e32 v7, 3, v28
	v_cmpx_gt_u32_e32 8, v28
; %bb.1122:                             ;   in Loop: Header=BB212_1059 Depth=1
	v_ffbh_u32_e32 v7, v8
	v_min_u32_e32 v7, 32, v7
	v_subrev_nc_u32_e32 v10, 28, v7
	v_sub_nc_u32_e32 v7, 29, v7
	v_lshlrev_b64 v[10:11], v10, v[8:9]
	v_and_b32_e32 v8, 7, v10
; %bb.1123:                             ;   in Loop: Header=BB212_1059 Depth=1
	s_or_b32 exec_lo, exec_lo, s19
	v_mov_b32_e32 v10, 24
	v_lshlrev_b32_e32 v8, 20, v8
	v_lshl_add_u32 v7, v7, 23, 0x3c000000
	v_lshlrev_b32_sdwa v6, v10, v6 dst_sel:DWORD dst_unused:UNUSED_PAD src0_sel:DWORD src1_sel:BYTE_3
	v_mov_b32_e32 v10, v9
	v_and_b32_e32 v6, 0x80000000, v6
	v_or3_b32 v11, v8, v6, v7
.LBB212_1124:                           ;   in Loop: Header=BB212_1059 Depth=1
	s_or_b32 exec_lo, exec_lo, s18
.LBB212_1125:                           ;   in Loop: Header=BB212_1059 Depth=1
	s_or_b32 exec_lo, exec_lo, s17
.LBB212_1126:                           ;   in Loop: Header=BB212_1059 Depth=1
	s_or_b32 exec_lo, exec_lo, s15
	v_or_b32_e32 v6, v22, v20
	v_or_b32_e32 v7, v21, v19
	;; [unrolled: 1-line block ×4, first 2 shown]
	v_mul_f32_e32 v6, v118, v6
	buffer_store_dword v6, off, s[0:3], s32 offset:276 ; 4-byte Folded Spill
	v_mul_f32_e32 v6, v118, v7
	buffer_store_dword v6, off, s[0:3], s32 offset:268 ; 4-byte Folded Spill
	;; [unrolled: 2-line block ×4, first 2 shown]
	s_and_saveexec_b32 s15, vcc_lo
	s_cbranch_execz .LBB212_1128
; %bb.1127:                             ;   in Loop: Header=BB212_1059 Depth=1
	s_clause 0x1
	buffer_load_dword v6, off, s[0:3], s32 offset:200
	buffer_load_dword v7, off, s[0:3], s32 offset:268
	s_waitcnt vmcnt(1)
	v_cmp_lt_i32_e64 s4, v40, v6
	s_waitcnt vmcnt(0)
	v_cndmask_b32_e64 v7, 0, v7, s4
	v_cmp_lt_i32_e64 s4, v43, v6
	buffer_store_dword v7, off, s[0:3], s32 offset:268 ; 4-byte Folded Spill
	buffer_load_dword v7, off, s[0:3], s32 offset:276 ; 4-byte Folded Reload
	s_waitcnt vmcnt(0)
	v_cndmask_b32_e64 v7, 0, v7, s4
	v_cmp_lt_i32_e64 s4, v42, v6
	buffer_store_dword v7, off, s[0:3], s32 offset:276 ; 4-byte Folded Spill
	buffer_load_dword v7, off, s[0:3], s32 offset:260 ; 4-byte Folded Reload
	s_waitcnt vmcnt(0)
	v_cndmask_b32_e64 v7, 0, v7, s4
	v_cmp_lt_i32_e64 s4, v41, v6
	buffer_load_dword v6, off, s[0:3], s32 offset:252 ; 4-byte Folded Reload
	buffer_store_dword v7, off, s[0:3], s32 offset:260 ; 4-byte Folded Spill
	s_waitcnt vmcnt(0)
	v_cndmask_b32_e64 v6, 0, v6, s4
	buffer_store_dword v6, off, s[0:3], s32 offset:252 ; 4-byte Folded Spill
.LBB212_1128:                           ;   in Loop: Header=BB212_1059 Depth=1
	s_or_b32 exec_lo, exec_lo, s15
	flat_load_dword v6, v[0:1] offset:256
	v_mov_b32_e32 v21, 0
	v_mov_b32_e32 v19, 0
	;; [unrolled: 1-line block ×4, first 2 shown]
	s_waitcnt vmcnt(0) lgkmcnt(0)
	v_cmp_ne_u16_sdwa s4, v6, v9 src0_sel:BYTE_0 src1_sel:DWORD
	s_and_saveexec_b32 s15, s4
	s_cbranch_execz .LBB212_1136
; %bb.1129:                             ;   in Loop: Header=BB212_1059 Depth=1
	v_bfrev_b32_e32 v19, 1
	v_mov_b32_e32 v20, 0
	v_cmp_ne_u16_sdwa s4, v6, v96 src0_sel:BYTE_0 src1_sel:DWORD
	s_and_saveexec_b32 s17, s4
	s_cbranch_execz .LBB212_1135
; %bb.1130:                             ;   in Loop: Header=BB212_1059 Depth=1
	v_mov_b32_e32 v19, 0x7f800001
	v_and_b32_e32 v10, 0x7f, v6
	v_mov_b32_e32 v20, 0
	s_mov_b32 s18, exec_lo
	v_cmpx_ne_u32_e32 0x7f, v10
	s_cbranch_execz .LBB212_1134
; %bb.1131:                             ;   in Loop: Header=BB212_1059 Depth=1
	v_and_b32_e32 v8, 7, v6
	v_lshrrev_b32_e32 v7, 3, v10
	s_mov_b32 s19, exec_lo
	v_cmpx_gt_u32_e32 8, v10
; %bb.1132:                             ;   in Loop: Header=BB212_1059 Depth=1
	v_ffbh_u32_e32 v7, v8
	v_min_u32_e32 v7, 32, v7
	v_subrev_nc_u32_e32 v10, 28, v7
	v_sub_nc_u32_e32 v7, 29, v7
	v_lshlrev_b64 v[10:11], v10, v[8:9]
	v_and_b32_e32 v8, 7, v10
; %bb.1133:                             ;   in Loop: Header=BB212_1059 Depth=1
	s_or_b32 exec_lo, exec_lo, s19
	v_lshlrev_b32_e32 v10, 24, v6
	v_lshlrev_b32_e32 v8, 20, v8
	v_lshl_add_u32 v7, v7, 23, 0x3c000000
	v_and_b32_e32 v10, 0x80000000, v10
	v_or3_b32 v8, v8, v10, v7
	v_mov_b32_e32 v20, v9
	v_mov_b32_e32 v19, v8
.LBB212_1134:                           ;   in Loop: Header=BB212_1059 Depth=1
	s_or_b32 exec_lo, exec_lo, s18
.LBB212_1135:                           ;   in Loop: Header=BB212_1059 Depth=1
	s_or_b32 exec_lo, exec_lo, s17
.LBB212_1136:                           ;   in Loop: Header=BB212_1059 Depth=1
	s_or_b32 exec_lo, exec_lo, s15
	v_cmp_ne_u16_sdwa s4, v6, v9 src0_sel:BYTE_1 src1_sel:DWORD
	s_and_saveexec_b32 s15, s4
	s_cbranch_execz .LBB212_1144
; %bb.1137:                             ;   in Loop: Header=BB212_1059 Depth=1
	v_mov_b32_e32 v11, v9
	v_mov_b32_e32 v22, v12
	v_cmp_ne_u16_sdwa s4, v6, v96 src0_sel:BYTE_1 src1_sel:DWORD
	v_mov_b32_e32 v21, v11
	s_and_saveexec_b32 s17, s4
	s_cbranch_execz .LBB212_1143
; %bb.1138:                             ;   in Loop: Header=BB212_1059 Depth=1
	v_mov_b32_e32 v7, 0xffff
	v_mov_b32_e32 v13, v9
	;; [unrolled: 1-line block ×3, first 2 shown]
	s_mov_b32 s18, exec_lo
	v_and_b32_sdwa v7, v7, v6 dst_sel:DWORD dst_unused:UNUSED_PAD src0_sel:DWORD src1_sel:BYTE_1
	v_mov_b32_e32 v21, v13
	v_and_b32_e32 v10, 0x7f, v7
	v_cmpx_ne_u32_e32 0x7f, v10
	s_cbranch_execz .LBB212_1142
; %bb.1139:                             ;   in Loop: Header=BB212_1059 Depth=1
	v_and_b32_e32 v8, 7, v7
	v_lshrrev_b32_e32 v7, 3, v10
	s_mov_b32 s19, exec_lo
	v_cmpx_gt_u32_e32 8, v10
; %bb.1140:                             ;   in Loop: Header=BB212_1059 Depth=1
	v_ffbh_u32_e32 v7, v8
	v_min_u32_e32 v7, 32, v7
	v_subrev_nc_u32_e32 v10, 28, v7
	v_sub_nc_u32_e32 v7, 29, v7
	v_lshlrev_b64 v[10:11], v10, v[8:9]
	v_and_b32_e32 v8, 7, v10
; %bb.1141:                             ;   in Loop: Header=BB212_1059 Depth=1
	s_or_b32 exec_lo, exec_lo, s19
	v_lshlrev_b32_e32 v10, 16, v6
	v_lshlrev_b32_e32 v8, 20, v8
	v_lshl_add_u32 v7, v7, 23, 0x3c000000
	v_mov_b32_e32 v21, v9
	v_and_b32_e32 v10, 0x80000000, v10
	v_or3_b32 v22, v8, v10, v7
.LBB212_1142:                           ;   in Loop: Header=BB212_1059 Depth=1
	s_or_b32 exec_lo, exec_lo, s18
.LBB212_1143:                           ;   in Loop: Header=BB212_1059 Depth=1
	s_or_b32 exec_lo, exec_lo, s17
.LBB212_1144:                           ;   in Loop: Header=BB212_1059 Depth=1
	s_or_b32 exec_lo, exec_lo, s15
	v_mov_b32_e32 v10, 0
	v_mov_b32_e32 v23, 0
	v_and_b32_sdwa v7, v6, v98 dst_sel:DWORD dst_unused:UNUSED_PAD src0_sel:WORD_1 src1_sel:DWORD
	v_mov_b32_e32 v11, 0
	v_mov_b32_e32 v24, 0
	s_mov_b32 s15, exec_lo
	v_cmpx_ne_u16_e32 0, v7
	s_cbranch_execz .LBB212_1152
; %bb.1145:                             ;   in Loop: Header=BB212_1059 Depth=1
	v_bfrev_b32_e32 v23, 1
	v_mov_b32_e32 v24, 0
	s_mov_b32 s17, exec_lo
	v_cmpx_ne_u16_e32 0x80, v7
	s_cbranch_execz .LBB212_1151
; %bb.1146:                             ;   in Loop: Header=BB212_1059 Depth=1
	v_mov_b32_e32 v23, 0x7f800001
	v_bfe_u32 v13, v6, 16, 7
	v_mov_b32_e32 v24, 0
	s_mov_b32 s18, exec_lo
	v_cmpx_ne_u32_e32 0x7f, v13
	s_cbranch_execz .LBB212_1150
; %bb.1147:                             ;   in Loop: Header=BB212_1059 Depth=1
	v_mov_b32_e32 v7, 7
	s_mov_b32 s19, exec_lo
	v_and_b32_sdwa v8, v6, v7 dst_sel:DWORD dst_unused:UNUSED_PAD src0_sel:WORD_1 src1_sel:DWORD
	v_lshrrev_b32_e32 v7, 3, v13
	v_cmpx_gt_u32_e32 8, v13
; %bb.1148:                             ;   in Loop: Header=BB212_1059 Depth=1
	v_ffbh_u32_e32 v7, v8
	v_min_u32_e32 v7, 32, v7
	v_subrev_nc_u32_e32 v13, 28, v7
	v_sub_nc_u32_e32 v7, 29, v7
	v_lshlrev_b64 v[23:24], v13, v[8:9]
	v_and_b32_e32 v8, 7, v23
; %bb.1149:                             ;   in Loop: Header=BB212_1059 Depth=1
	s_or_b32 exec_lo, exec_lo, s19
	v_mov_b32_e32 v13, 24
	v_lshlrev_b32_e32 v8, 20, v8
	v_lshl_add_u32 v7, v7, 23, 0x3c000000
	v_lshlrev_b32_sdwa v13, v13, v6 dst_sel:DWORD dst_unused:UNUSED_PAD src0_sel:DWORD src1_sel:WORD_1
	v_and_b32_e32 v13, 0x80000000, v13
	v_or3_b32 v8, v8, v13, v7
	v_mov_b32_e32 v24, v9
	v_mov_b32_e32 v23, v8
.LBB212_1150:                           ;   in Loop: Header=BB212_1059 Depth=1
	s_or_b32 exec_lo, exec_lo, s18
.LBB212_1151:                           ;   in Loop: Header=BB212_1059 Depth=1
	s_or_b32 exec_lo, exec_lo, s17
.LBB212_1152:                           ;   in Loop: Header=BB212_1059 Depth=1
	s_or_b32 exec_lo, exec_lo, s15
	s_mov_b32 s15, exec_lo
	v_cmpx_lt_u32_e32 0xffffff, v6
	s_cbranch_execz .LBB212_1160
; %bb.1153:                             ;   in Loop: Header=BB212_1059 Depth=1
	v_mov_b32_e32 v11, v9
	v_cmp_ne_u32_sdwa s4, v6, v96 src0_sel:BYTE_3 src1_sel:DWORD
	v_mov_b32_e32 v10, v11
	v_mov_b32_e32 v11, v12
	s_and_saveexec_b32 s17, s4
	s_cbranch_execz .LBB212_1159
; %bb.1154:                             ;   in Loop: Header=BB212_1059 Depth=1
	v_mov_b32_e32 v13, v9
	v_bfe_u32 v28, v6, 24, 7
	s_mov_b32 s18, exec_lo
	v_mov_b32_e32 v10, v13
	v_mov_b32_e32 v11, v14
	v_cmpx_ne_u32_e32 0x7f, v28
	s_cbranch_execz .LBB212_1158
; %bb.1155:                             ;   in Loop: Header=BB212_1059 Depth=1
	v_mov_b32_e32 v7, 7
	s_mov_b32 s19, exec_lo
	v_and_b32_sdwa v8, v6, v7 dst_sel:DWORD dst_unused:UNUSED_PAD src0_sel:BYTE_3 src1_sel:DWORD
	v_lshrrev_b32_e32 v7, 3, v28
	v_cmpx_gt_u32_e32 8, v28
; %bb.1156:                             ;   in Loop: Header=BB212_1059 Depth=1
	v_ffbh_u32_e32 v7, v8
	v_min_u32_e32 v7, 32, v7
	v_subrev_nc_u32_e32 v10, 28, v7
	v_sub_nc_u32_e32 v7, 29, v7
	v_lshlrev_b64 v[10:11], v10, v[8:9]
	v_and_b32_e32 v8, 7, v10
; %bb.1157:                             ;   in Loop: Header=BB212_1059 Depth=1
	s_or_b32 exec_lo, exec_lo, s19
	v_mov_b32_e32 v10, 24
	v_lshlrev_b32_e32 v8, 20, v8
	v_lshl_add_u32 v7, v7, 23, 0x3c000000
	v_lshlrev_b32_sdwa v6, v10, v6 dst_sel:DWORD dst_unused:UNUSED_PAD src0_sel:DWORD src1_sel:BYTE_3
	v_mov_b32_e32 v10, v9
	v_and_b32_e32 v6, 0x80000000, v6
	v_or3_b32 v11, v8, v6, v7
.LBB212_1158:                           ;   in Loop: Header=BB212_1059 Depth=1
	s_or_b32 exec_lo, exec_lo, s18
.LBB212_1159:                           ;   in Loop: Header=BB212_1059 Depth=1
	s_or_b32 exec_lo, exec_lo, s17
.LBB212_1160:                           ;   in Loop: Header=BB212_1059 Depth=1
	s_or_b32 exec_lo, exec_lo, s15
	v_or_b32_e32 v6, v22, v20
	v_or_b32_e32 v7, v21, v19
	;; [unrolled: 1-line block ×4, first 2 shown]
	v_mul_f32_e32 v6, v118, v6
	buffer_store_dword v6, off, s[0:3], s32 offset:308 ; 4-byte Folded Spill
	v_mul_f32_e32 v6, v118, v7
	buffer_store_dword v6, off, s[0:3], s32 offset:300 ; 4-byte Folded Spill
	v_mul_f32_e32 v6, v118, v8
	buffer_store_dword v6, off, s[0:3], s32 offset:292 ; 4-byte Folded Spill
	v_mul_f32_e32 v6, v118, v10
	buffer_store_dword v6, off, s[0:3], s32 offset:284 ; 4-byte Folded Spill
	s_and_saveexec_b32 s15, vcc_lo
	s_cbranch_execz .LBB212_1162
; %bb.1161:                             ;   in Loop: Header=BB212_1059 Depth=1
	s_clause 0x1
	buffer_load_dword v6, off, s[0:3], s32 offset:200
	buffer_load_dword v7, off, s[0:3], s32 offset:300
	s_waitcnt vmcnt(1)
	v_cmp_lt_i32_e64 s4, v40, v6
	s_waitcnt vmcnt(0)
	v_cndmask_b32_e64 v7, 0, v7, s4
	v_cmp_lt_i32_e64 s4, v43, v6
	buffer_store_dword v7, off, s[0:3], s32 offset:300 ; 4-byte Folded Spill
	buffer_load_dword v7, off, s[0:3], s32 offset:308 ; 4-byte Folded Reload
	s_waitcnt vmcnt(0)
	v_cndmask_b32_e64 v7, 0, v7, s4
	v_cmp_lt_i32_e64 s4, v42, v6
	buffer_store_dword v7, off, s[0:3], s32 offset:308 ; 4-byte Folded Spill
	buffer_load_dword v7, off, s[0:3], s32 offset:292 ; 4-byte Folded Reload
	s_waitcnt vmcnt(0)
	v_cndmask_b32_e64 v7, 0, v7, s4
	v_cmp_lt_i32_e64 s4, v41, v6
	buffer_load_dword v6, off, s[0:3], s32 offset:284 ; 4-byte Folded Reload
	buffer_store_dword v7, off, s[0:3], s32 offset:292 ; 4-byte Folded Spill
	s_waitcnt vmcnt(0)
	v_cndmask_b32_e64 v6, 0, v6, s4
	buffer_store_dword v6, off, s[0:3], s32 offset:284 ; 4-byte Folded Spill
.LBB212_1162:                           ;   in Loop: Header=BB212_1059 Depth=1
	s_or_b32 exec_lo, exec_lo, s15
	flat_load_dword v6, v[0:1] offset:384
	v_mov_b32_e32 v21, 0
	v_mov_b32_e32 v19, 0
	;; [unrolled: 1-line block ×4, first 2 shown]
	s_waitcnt vmcnt(0) lgkmcnt(0)
	v_cmp_ne_u16_sdwa s4, v6, v9 src0_sel:BYTE_0 src1_sel:DWORD
	s_and_saveexec_b32 s15, s4
	s_cbranch_execz .LBB212_1170
; %bb.1163:                             ;   in Loop: Header=BB212_1059 Depth=1
	v_bfrev_b32_e32 v19, 1
	v_mov_b32_e32 v20, 0
	v_cmp_ne_u16_sdwa s4, v6, v96 src0_sel:BYTE_0 src1_sel:DWORD
	s_and_saveexec_b32 s17, s4
	s_cbranch_execz .LBB212_1169
; %bb.1164:                             ;   in Loop: Header=BB212_1059 Depth=1
	v_mov_b32_e32 v19, 0x7f800001
	v_and_b32_e32 v10, 0x7f, v6
	v_mov_b32_e32 v20, 0
	s_mov_b32 s18, exec_lo
	v_cmpx_ne_u32_e32 0x7f, v10
	s_cbranch_execz .LBB212_1168
; %bb.1165:                             ;   in Loop: Header=BB212_1059 Depth=1
	v_and_b32_e32 v8, 7, v6
	v_lshrrev_b32_e32 v7, 3, v10
	s_mov_b32 s19, exec_lo
	v_cmpx_gt_u32_e32 8, v10
; %bb.1166:                             ;   in Loop: Header=BB212_1059 Depth=1
	v_ffbh_u32_e32 v7, v8
	v_min_u32_e32 v7, 32, v7
	v_subrev_nc_u32_e32 v10, 28, v7
	v_sub_nc_u32_e32 v7, 29, v7
	v_lshlrev_b64 v[10:11], v10, v[8:9]
	v_and_b32_e32 v8, 7, v10
; %bb.1167:                             ;   in Loop: Header=BB212_1059 Depth=1
	s_or_b32 exec_lo, exec_lo, s19
	v_lshlrev_b32_e32 v10, 24, v6
	v_lshlrev_b32_e32 v8, 20, v8
	v_lshl_add_u32 v7, v7, 23, 0x3c000000
	v_and_b32_e32 v10, 0x80000000, v10
	v_or3_b32 v8, v8, v10, v7
	v_mov_b32_e32 v20, v9
	v_mov_b32_e32 v19, v8
.LBB212_1168:                           ;   in Loop: Header=BB212_1059 Depth=1
	s_or_b32 exec_lo, exec_lo, s18
.LBB212_1169:                           ;   in Loop: Header=BB212_1059 Depth=1
	s_or_b32 exec_lo, exec_lo, s17
.LBB212_1170:                           ;   in Loop: Header=BB212_1059 Depth=1
	s_or_b32 exec_lo, exec_lo, s15
	v_cmp_ne_u16_sdwa s4, v6, v9 src0_sel:BYTE_1 src1_sel:DWORD
	s_and_saveexec_b32 s15, s4
	s_cbranch_execz .LBB212_1178
; %bb.1171:                             ;   in Loop: Header=BB212_1059 Depth=1
	v_mov_b32_e32 v11, v9
	v_mov_b32_e32 v22, v12
	v_cmp_ne_u16_sdwa s4, v6, v96 src0_sel:BYTE_1 src1_sel:DWORD
	v_mov_b32_e32 v21, v11
	s_and_saveexec_b32 s17, s4
	s_cbranch_execz .LBB212_1177
; %bb.1172:                             ;   in Loop: Header=BB212_1059 Depth=1
	v_mov_b32_e32 v7, 0xffff
	v_mov_b32_e32 v13, v9
	;; [unrolled: 1-line block ×3, first 2 shown]
	s_mov_b32 s18, exec_lo
	v_and_b32_sdwa v7, v7, v6 dst_sel:DWORD dst_unused:UNUSED_PAD src0_sel:DWORD src1_sel:BYTE_1
	v_mov_b32_e32 v21, v13
	v_and_b32_e32 v10, 0x7f, v7
	v_cmpx_ne_u32_e32 0x7f, v10
	s_cbranch_execz .LBB212_1176
; %bb.1173:                             ;   in Loop: Header=BB212_1059 Depth=1
	v_and_b32_e32 v8, 7, v7
	v_lshrrev_b32_e32 v7, 3, v10
	s_mov_b32 s19, exec_lo
	v_cmpx_gt_u32_e32 8, v10
; %bb.1174:                             ;   in Loop: Header=BB212_1059 Depth=1
	v_ffbh_u32_e32 v7, v8
	v_min_u32_e32 v7, 32, v7
	v_subrev_nc_u32_e32 v10, 28, v7
	v_sub_nc_u32_e32 v7, 29, v7
	v_lshlrev_b64 v[10:11], v10, v[8:9]
	v_and_b32_e32 v8, 7, v10
; %bb.1175:                             ;   in Loop: Header=BB212_1059 Depth=1
	s_or_b32 exec_lo, exec_lo, s19
	v_lshlrev_b32_e32 v10, 16, v6
	v_lshlrev_b32_e32 v8, 20, v8
	v_lshl_add_u32 v7, v7, 23, 0x3c000000
	v_mov_b32_e32 v21, v9
	v_and_b32_e32 v10, 0x80000000, v10
	v_or3_b32 v22, v8, v10, v7
.LBB212_1176:                           ;   in Loop: Header=BB212_1059 Depth=1
	s_or_b32 exec_lo, exec_lo, s18
.LBB212_1177:                           ;   in Loop: Header=BB212_1059 Depth=1
	s_or_b32 exec_lo, exec_lo, s17
.LBB212_1178:                           ;   in Loop: Header=BB212_1059 Depth=1
	s_or_b32 exec_lo, exec_lo, s15
	v_mov_b32_e32 v10, 0
	v_mov_b32_e32 v23, 0
	v_and_b32_sdwa v7, v6, v98 dst_sel:DWORD dst_unused:UNUSED_PAD src0_sel:WORD_1 src1_sel:DWORD
	v_mov_b32_e32 v11, 0
	v_mov_b32_e32 v24, 0
	s_mov_b32 s15, exec_lo
	v_cmpx_ne_u16_e32 0, v7
	s_cbranch_execz .LBB212_1186
; %bb.1179:                             ;   in Loop: Header=BB212_1059 Depth=1
	v_bfrev_b32_e32 v23, 1
	v_mov_b32_e32 v24, 0
	s_mov_b32 s17, exec_lo
	v_cmpx_ne_u16_e32 0x80, v7
	s_cbranch_execz .LBB212_1185
; %bb.1180:                             ;   in Loop: Header=BB212_1059 Depth=1
	v_mov_b32_e32 v23, 0x7f800001
	v_bfe_u32 v13, v6, 16, 7
	v_mov_b32_e32 v24, 0
	s_mov_b32 s18, exec_lo
	v_cmpx_ne_u32_e32 0x7f, v13
	s_cbranch_execz .LBB212_1184
; %bb.1181:                             ;   in Loop: Header=BB212_1059 Depth=1
	v_mov_b32_e32 v7, 7
	s_mov_b32 s19, exec_lo
	v_and_b32_sdwa v8, v6, v7 dst_sel:DWORD dst_unused:UNUSED_PAD src0_sel:WORD_1 src1_sel:DWORD
	v_lshrrev_b32_e32 v7, 3, v13
	v_cmpx_gt_u32_e32 8, v13
; %bb.1182:                             ;   in Loop: Header=BB212_1059 Depth=1
	v_ffbh_u32_e32 v7, v8
	v_min_u32_e32 v7, 32, v7
	v_subrev_nc_u32_e32 v13, 28, v7
	v_sub_nc_u32_e32 v7, 29, v7
	v_lshlrev_b64 v[23:24], v13, v[8:9]
	v_and_b32_e32 v8, 7, v23
; %bb.1183:                             ;   in Loop: Header=BB212_1059 Depth=1
	s_or_b32 exec_lo, exec_lo, s19
	v_mov_b32_e32 v13, 24
	v_lshlrev_b32_e32 v8, 20, v8
	v_lshl_add_u32 v7, v7, 23, 0x3c000000
	v_lshlrev_b32_sdwa v13, v13, v6 dst_sel:DWORD dst_unused:UNUSED_PAD src0_sel:DWORD src1_sel:WORD_1
	v_and_b32_e32 v13, 0x80000000, v13
	v_or3_b32 v8, v8, v13, v7
	v_mov_b32_e32 v24, v9
	v_mov_b32_e32 v23, v8
.LBB212_1184:                           ;   in Loop: Header=BB212_1059 Depth=1
	s_or_b32 exec_lo, exec_lo, s18
.LBB212_1185:                           ;   in Loop: Header=BB212_1059 Depth=1
	s_or_b32 exec_lo, exec_lo, s17
.LBB212_1186:                           ;   in Loop: Header=BB212_1059 Depth=1
	s_or_b32 exec_lo, exec_lo, s15
	s_mov_b32 s15, exec_lo
	v_cmpx_lt_u32_e32 0xffffff, v6
	s_cbranch_execz .LBB212_1194
; %bb.1187:                             ;   in Loop: Header=BB212_1059 Depth=1
	v_mov_b32_e32 v11, v9
	v_cmp_ne_u32_sdwa s4, v6, v96 src0_sel:BYTE_3 src1_sel:DWORD
	v_mov_b32_e32 v10, v11
	v_mov_b32_e32 v11, v12
	s_and_saveexec_b32 s17, s4
	s_cbranch_execz .LBB212_1193
; %bb.1188:                             ;   in Loop: Header=BB212_1059 Depth=1
	v_mov_b32_e32 v13, v9
	v_bfe_u32 v28, v6, 24, 7
	s_mov_b32 s18, exec_lo
	v_mov_b32_e32 v10, v13
	v_mov_b32_e32 v11, v14
	v_cmpx_ne_u32_e32 0x7f, v28
	s_cbranch_execz .LBB212_1192
; %bb.1189:                             ;   in Loop: Header=BB212_1059 Depth=1
	v_mov_b32_e32 v7, 7
	s_mov_b32 s19, exec_lo
	v_and_b32_sdwa v8, v6, v7 dst_sel:DWORD dst_unused:UNUSED_PAD src0_sel:BYTE_3 src1_sel:DWORD
	v_lshrrev_b32_e32 v7, 3, v28
	v_cmpx_gt_u32_e32 8, v28
; %bb.1190:                             ;   in Loop: Header=BB212_1059 Depth=1
	v_ffbh_u32_e32 v7, v8
	v_min_u32_e32 v7, 32, v7
	v_subrev_nc_u32_e32 v10, 28, v7
	v_sub_nc_u32_e32 v7, 29, v7
	v_lshlrev_b64 v[10:11], v10, v[8:9]
	v_and_b32_e32 v8, 7, v10
; %bb.1191:                             ;   in Loop: Header=BB212_1059 Depth=1
	s_or_b32 exec_lo, exec_lo, s19
	v_mov_b32_e32 v10, 24
	v_lshlrev_b32_e32 v8, 20, v8
	v_lshl_add_u32 v7, v7, 23, 0x3c000000
	v_lshlrev_b32_sdwa v6, v10, v6 dst_sel:DWORD dst_unused:UNUSED_PAD src0_sel:DWORD src1_sel:BYTE_3
	v_mov_b32_e32 v10, v9
	v_and_b32_e32 v6, 0x80000000, v6
	v_or3_b32 v11, v8, v6, v7
.LBB212_1192:                           ;   in Loop: Header=BB212_1059 Depth=1
	s_or_b32 exec_lo, exec_lo, s18
.LBB212_1193:                           ;   in Loop: Header=BB212_1059 Depth=1
	s_or_b32 exec_lo, exec_lo, s17
.LBB212_1194:                           ;   in Loop: Header=BB212_1059 Depth=1
	s_or_b32 exec_lo, exec_lo, s15
	v_or_b32_e32 v6, v22, v20
	v_or_b32_e32 v7, v21, v19
	;; [unrolled: 1-line block ×4, first 2 shown]
	v_mul_f32_e32 v6, v118, v6
	buffer_store_dword v6, off, s[0:3], s32 offset:340 ; 4-byte Folded Spill
	v_mul_f32_e32 v6, v118, v7
	buffer_store_dword v6, off, s[0:3], s32 offset:332 ; 4-byte Folded Spill
	;; [unrolled: 2-line block ×4, first 2 shown]
	s_and_saveexec_b32 s15, vcc_lo
	s_cbranch_execz .LBB212_1196
; %bb.1195:                             ;   in Loop: Header=BB212_1059 Depth=1
	s_clause 0x1
	buffer_load_dword v6, off, s[0:3], s32 offset:200
	buffer_load_dword v7, off, s[0:3], s32 offset:332
	s_waitcnt vmcnt(1)
	v_cmp_lt_i32_e64 s4, v40, v6
	s_waitcnt vmcnt(0)
	v_cndmask_b32_e64 v7, 0, v7, s4
	v_cmp_lt_i32_e64 s4, v43, v6
	buffer_store_dword v7, off, s[0:3], s32 offset:332 ; 4-byte Folded Spill
	buffer_load_dword v7, off, s[0:3], s32 offset:340 ; 4-byte Folded Reload
	s_waitcnt vmcnt(0)
	v_cndmask_b32_e64 v7, 0, v7, s4
	v_cmp_lt_i32_e64 s4, v42, v6
	buffer_store_dword v7, off, s[0:3], s32 offset:340 ; 4-byte Folded Spill
	buffer_load_dword v7, off, s[0:3], s32 offset:324 ; 4-byte Folded Reload
	s_waitcnt vmcnt(0)
	v_cndmask_b32_e64 v7, 0, v7, s4
	v_cmp_lt_i32_e64 s4, v41, v6
	buffer_load_dword v6, off, s[0:3], s32 offset:316 ; 4-byte Folded Reload
	buffer_store_dword v7, off, s[0:3], s32 offset:324 ; 4-byte Folded Spill
	s_waitcnt vmcnt(0)
	v_cndmask_b32_e64 v6, 0, v6, s4
	buffer_store_dword v6, off, s[0:3], s32 offset:316 ; 4-byte Folded Spill
.LBB212_1196:                           ;   in Loop: Header=BB212_1059 Depth=1
	s_or_b32 exec_lo, exec_lo, s15
	flat_load_dword v6, v[0:1] offset:512
	v_mov_b32_e32 v21, 0
	v_mov_b32_e32 v19, 0
	;; [unrolled: 1-line block ×4, first 2 shown]
	s_waitcnt vmcnt(0) lgkmcnt(0)
	v_cmp_ne_u16_sdwa s4, v6, v9 src0_sel:BYTE_0 src1_sel:DWORD
	s_and_saveexec_b32 s15, s4
	s_cbranch_execz .LBB212_1204
; %bb.1197:                             ;   in Loop: Header=BB212_1059 Depth=1
	v_bfrev_b32_e32 v19, 1
	v_mov_b32_e32 v20, 0
	v_cmp_ne_u16_sdwa s4, v6, v96 src0_sel:BYTE_0 src1_sel:DWORD
	s_and_saveexec_b32 s17, s4
	s_cbranch_execz .LBB212_1203
; %bb.1198:                             ;   in Loop: Header=BB212_1059 Depth=1
	v_mov_b32_e32 v19, 0x7f800001
	v_and_b32_e32 v10, 0x7f, v6
	v_mov_b32_e32 v20, 0
	s_mov_b32 s18, exec_lo
	v_cmpx_ne_u32_e32 0x7f, v10
	s_cbranch_execz .LBB212_1202
; %bb.1199:                             ;   in Loop: Header=BB212_1059 Depth=1
	v_and_b32_e32 v8, 7, v6
	v_lshrrev_b32_e32 v7, 3, v10
	s_mov_b32 s19, exec_lo
	v_cmpx_gt_u32_e32 8, v10
; %bb.1200:                             ;   in Loop: Header=BB212_1059 Depth=1
	v_ffbh_u32_e32 v7, v8
	v_min_u32_e32 v7, 32, v7
	v_subrev_nc_u32_e32 v10, 28, v7
	v_sub_nc_u32_e32 v7, 29, v7
	v_lshlrev_b64 v[10:11], v10, v[8:9]
	v_and_b32_e32 v8, 7, v10
; %bb.1201:                             ;   in Loop: Header=BB212_1059 Depth=1
	s_or_b32 exec_lo, exec_lo, s19
	v_lshlrev_b32_e32 v10, 24, v6
	v_lshlrev_b32_e32 v8, 20, v8
	v_lshl_add_u32 v7, v7, 23, 0x3c000000
	v_and_b32_e32 v10, 0x80000000, v10
	v_or3_b32 v8, v8, v10, v7
	v_mov_b32_e32 v20, v9
	v_mov_b32_e32 v19, v8
.LBB212_1202:                           ;   in Loop: Header=BB212_1059 Depth=1
	s_or_b32 exec_lo, exec_lo, s18
.LBB212_1203:                           ;   in Loop: Header=BB212_1059 Depth=1
	s_or_b32 exec_lo, exec_lo, s17
.LBB212_1204:                           ;   in Loop: Header=BB212_1059 Depth=1
	s_or_b32 exec_lo, exec_lo, s15
	v_cmp_ne_u16_sdwa s4, v6, v9 src0_sel:BYTE_1 src1_sel:DWORD
	s_and_saveexec_b32 s15, s4
	s_cbranch_execz .LBB212_1212
; %bb.1205:                             ;   in Loop: Header=BB212_1059 Depth=1
	v_mov_b32_e32 v11, v9
	v_mov_b32_e32 v22, v12
	v_cmp_ne_u16_sdwa s4, v6, v96 src0_sel:BYTE_1 src1_sel:DWORD
	v_mov_b32_e32 v21, v11
	s_and_saveexec_b32 s17, s4
	s_cbranch_execz .LBB212_1211
; %bb.1206:                             ;   in Loop: Header=BB212_1059 Depth=1
	v_mov_b32_e32 v7, 0xffff
	v_mov_b32_e32 v13, v9
	;; [unrolled: 1-line block ×3, first 2 shown]
	s_mov_b32 s18, exec_lo
	v_and_b32_sdwa v7, v7, v6 dst_sel:DWORD dst_unused:UNUSED_PAD src0_sel:DWORD src1_sel:BYTE_1
	v_mov_b32_e32 v21, v13
	v_and_b32_e32 v10, 0x7f, v7
	v_cmpx_ne_u32_e32 0x7f, v10
	s_cbranch_execz .LBB212_1210
; %bb.1207:                             ;   in Loop: Header=BB212_1059 Depth=1
	v_and_b32_e32 v8, 7, v7
	v_lshrrev_b32_e32 v7, 3, v10
	s_mov_b32 s19, exec_lo
	v_cmpx_gt_u32_e32 8, v10
; %bb.1208:                             ;   in Loop: Header=BB212_1059 Depth=1
	v_ffbh_u32_e32 v7, v8
	v_min_u32_e32 v7, 32, v7
	v_subrev_nc_u32_e32 v10, 28, v7
	v_sub_nc_u32_e32 v7, 29, v7
	v_lshlrev_b64 v[10:11], v10, v[8:9]
	v_and_b32_e32 v8, 7, v10
; %bb.1209:                             ;   in Loop: Header=BB212_1059 Depth=1
	s_or_b32 exec_lo, exec_lo, s19
	v_lshlrev_b32_e32 v10, 16, v6
	v_lshlrev_b32_e32 v8, 20, v8
	v_lshl_add_u32 v7, v7, 23, 0x3c000000
	v_mov_b32_e32 v21, v9
	v_and_b32_e32 v10, 0x80000000, v10
	v_or3_b32 v22, v8, v10, v7
.LBB212_1210:                           ;   in Loop: Header=BB212_1059 Depth=1
	s_or_b32 exec_lo, exec_lo, s18
.LBB212_1211:                           ;   in Loop: Header=BB212_1059 Depth=1
	s_or_b32 exec_lo, exec_lo, s17
.LBB212_1212:                           ;   in Loop: Header=BB212_1059 Depth=1
	s_or_b32 exec_lo, exec_lo, s15
	v_mov_b32_e32 v10, 0
	v_mov_b32_e32 v23, 0
	v_and_b32_sdwa v7, v6, v98 dst_sel:DWORD dst_unused:UNUSED_PAD src0_sel:WORD_1 src1_sel:DWORD
	v_mov_b32_e32 v11, 0
	v_mov_b32_e32 v24, 0
	s_mov_b32 s15, exec_lo
	v_cmpx_ne_u16_e32 0, v7
	s_cbranch_execz .LBB212_1220
; %bb.1213:                             ;   in Loop: Header=BB212_1059 Depth=1
	v_bfrev_b32_e32 v23, 1
	v_mov_b32_e32 v24, 0
	s_mov_b32 s17, exec_lo
	v_cmpx_ne_u16_e32 0x80, v7
	s_cbranch_execz .LBB212_1219
; %bb.1214:                             ;   in Loop: Header=BB212_1059 Depth=1
	v_mov_b32_e32 v23, 0x7f800001
	v_bfe_u32 v13, v6, 16, 7
	v_mov_b32_e32 v24, 0
	s_mov_b32 s18, exec_lo
	v_cmpx_ne_u32_e32 0x7f, v13
	s_cbranch_execz .LBB212_1218
; %bb.1215:                             ;   in Loop: Header=BB212_1059 Depth=1
	v_mov_b32_e32 v7, 7
	s_mov_b32 s19, exec_lo
	v_and_b32_sdwa v8, v6, v7 dst_sel:DWORD dst_unused:UNUSED_PAD src0_sel:WORD_1 src1_sel:DWORD
	v_lshrrev_b32_e32 v7, 3, v13
	v_cmpx_gt_u32_e32 8, v13
; %bb.1216:                             ;   in Loop: Header=BB212_1059 Depth=1
	v_ffbh_u32_e32 v7, v8
	v_min_u32_e32 v7, 32, v7
	v_subrev_nc_u32_e32 v13, 28, v7
	v_sub_nc_u32_e32 v7, 29, v7
	v_lshlrev_b64 v[23:24], v13, v[8:9]
	v_and_b32_e32 v8, 7, v23
; %bb.1217:                             ;   in Loop: Header=BB212_1059 Depth=1
	s_or_b32 exec_lo, exec_lo, s19
	v_mov_b32_e32 v13, 24
	v_lshlrev_b32_e32 v8, 20, v8
	v_lshl_add_u32 v7, v7, 23, 0x3c000000
	v_lshlrev_b32_sdwa v13, v13, v6 dst_sel:DWORD dst_unused:UNUSED_PAD src0_sel:DWORD src1_sel:WORD_1
	v_and_b32_e32 v13, 0x80000000, v13
	v_or3_b32 v8, v8, v13, v7
	v_mov_b32_e32 v24, v9
	v_mov_b32_e32 v23, v8
.LBB212_1218:                           ;   in Loop: Header=BB212_1059 Depth=1
	s_or_b32 exec_lo, exec_lo, s18
.LBB212_1219:                           ;   in Loop: Header=BB212_1059 Depth=1
	s_or_b32 exec_lo, exec_lo, s17
.LBB212_1220:                           ;   in Loop: Header=BB212_1059 Depth=1
	s_or_b32 exec_lo, exec_lo, s15
	s_mov_b32 s15, exec_lo
	v_cmpx_lt_u32_e32 0xffffff, v6
	s_cbranch_execz .LBB212_1228
; %bb.1221:                             ;   in Loop: Header=BB212_1059 Depth=1
	v_mov_b32_e32 v11, v9
	v_cmp_ne_u32_sdwa s4, v6, v96 src0_sel:BYTE_3 src1_sel:DWORD
	v_mov_b32_e32 v10, v11
	v_mov_b32_e32 v11, v12
	s_and_saveexec_b32 s17, s4
	s_cbranch_execz .LBB212_1227
; %bb.1222:                             ;   in Loop: Header=BB212_1059 Depth=1
	v_mov_b32_e32 v13, v9
	v_bfe_u32 v28, v6, 24, 7
	s_mov_b32 s18, exec_lo
	v_mov_b32_e32 v10, v13
	v_mov_b32_e32 v11, v14
	v_cmpx_ne_u32_e32 0x7f, v28
	s_cbranch_execz .LBB212_1226
; %bb.1223:                             ;   in Loop: Header=BB212_1059 Depth=1
	v_mov_b32_e32 v7, 7
	s_mov_b32 s19, exec_lo
	v_and_b32_sdwa v8, v6, v7 dst_sel:DWORD dst_unused:UNUSED_PAD src0_sel:BYTE_3 src1_sel:DWORD
	v_lshrrev_b32_e32 v7, 3, v28
	v_cmpx_gt_u32_e32 8, v28
; %bb.1224:                             ;   in Loop: Header=BB212_1059 Depth=1
	v_ffbh_u32_e32 v7, v8
	v_min_u32_e32 v7, 32, v7
	v_subrev_nc_u32_e32 v10, 28, v7
	v_sub_nc_u32_e32 v7, 29, v7
	v_lshlrev_b64 v[10:11], v10, v[8:9]
	v_and_b32_e32 v8, 7, v10
; %bb.1225:                             ;   in Loop: Header=BB212_1059 Depth=1
	s_or_b32 exec_lo, exec_lo, s19
	v_mov_b32_e32 v10, 24
	v_lshlrev_b32_e32 v8, 20, v8
	v_lshl_add_u32 v7, v7, 23, 0x3c000000
	v_lshlrev_b32_sdwa v6, v10, v6 dst_sel:DWORD dst_unused:UNUSED_PAD src0_sel:DWORD src1_sel:BYTE_3
	v_mov_b32_e32 v10, v9
	v_and_b32_e32 v6, 0x80000000, v6
	v_or3_b32 v11, v8, v6, v7
.LBB212_1226:                           ;   in Loop: Header=BB212_1059 Depth=1
	s_or_b32 exec_lo, exec_lo, s18
.LBB212_1227:                           ;   in Loop: Header=BB212_1059 Depth=1
	s_or_b32 exec_lo, exec_lo, s17
.LBB212_1228:                           ;   in Loop: Header=BB212_1059 Depth=1
	s_or_b32 exec_lo, exec_lo, s15
	v_or_b32_e32 v6, v22, v20
	v_or_b32_e32 v7, v21, v19
	;; [unrolled: 1-line block ×4, first 2 shown]
	v_mul_f32_e32 v6, v118, v6
	buffer_store_dword v6, off, s[0:3], s32 offset:372 ; 4-byte Folded Spill
	v_mul_f32_e32 v6, v118, v7
	buffer_store_dword v6, off, s[0:3], s32 offset:364 ; 4-byte Folded Spill
	;; [unrolled: 2-line block ×4, first 2 shown]
	s_and_saveexec_b32 s15, vcc_lo
	s_cbranch_execz .LBB212_1230
; %bb.1229:                             ;   in Loop: Header=BB212_1059 Depth=1
	s_clause 0x1
	buffer_load_dword v6, off, s[0:3], s32 offset:200
	buffer_load_dword v7, off, s[0:3], s32 offset:364
	s_waitcnt vmcnt(1)
	v_cmp_lt_i32_e64 s4, v40, v6
	s_waitcnt vmcnt(0)
	v_cndmask_b32_e64 v7, 0, v7, s4
	v_cmp_lt_i32_e64 s4, v43, v6
	buffer_store_dword v7, off, s[0:3], s32 offset:364 ; 4-byte Folded Spill
	buffer_load_dword v7, off, s[0:3], s32 offset:372 ; 4-byte Folded Reload
	s_waitcnt vmcnt(0)
	v_cndmask_b32_e64 v7, 0, v7, s4
	v_cmp_lt_i32_e64 s4, v42, v6
	buffer_store_dword v7, off, s[0:3], s32 offset:372 ; 4-byte Folded Spill
	buffer_load_dword v7, off, s[0:3], s32 offset:356 ; 4-byte Folded Reload
	s_waitcnt vmcnt(0)
	v_cndmask_b32_e64 v7, 0, v7, s4
	v_cmp_lt_i32_e64 s4, v41, v6
	buffer_load_dword v6, off, s[0:3], s32 offset:348 ; 4-byte Folded Reload
	buffer_store_dword v7, off, s[0:3], s32 offset:356 ; 4-byte Folded Spill
	s_waitcnt vmcnt(0)
	v_cndmask_b32_e64 v6, 0, v6, s4
	buffer_store_dword v6, off, s[0:3], s32 offset:348 ; 4-byte Folded Spill
.LBB212_1230:                           ;   in Loop: Header=BB212_1059 Depth=1
	s_or_b32 exec_lo, exec_lo, s15
	flat_load_dword v6, v[0:1] offset:640
	v_mov_b32_e32 v21, 0
	v_mov_b32_e32 v19, 0
	;; [unrolled: 1-line block ×4, first 2 shown]
	s_waitcnt vmcnt(0) lgkmcnt(0)
	v_cmp_ne_u16_sdwa s4, v6, v9 src0_sel:BYTE_0 src1_sel:DWORD
	s_and_saveexec_b32 s15, s4
	s_cbranch_execz .LBB212_1238
; %bb.1231:                             ;   in Loop: Header=BB212_1059 Depth=1
	v_bfrev_b32_e32 v19, 1
	v_mov_b32_e32 v20, 0
	v_cmp_ne_u16_sdwa s4, v6, v96 src0_sel:BYTE_0 src1_sel:DWORD
	s_and_saveexec_b32 s17, s4
	s_cbranch_execz .LBB212_1237
; %bb.1232:                             ;   in Loop: Header=BB212_1059 Depth=1
	v_mov_b32_e32 v19, 0x7f800001
	v_and_b32_e32 v10, 0x7f, v6
	v_mov_b32_e32 v20, 0
	s_mov_b32 s18, exec_lo
	v_cmpx_ne_u32_e32 0x7f, v10
	s_cbranch_execz .LBB212_1236
; %bb.1233:                             ;   in Loop: Header=BB212_1059 Depth=1
	v_and_b32_e32 v8, 7, v6
	v_lshrrev_b32_e32 v7, 3, v10
	s_mov_b32 s19, exec_lo
	v_cmpx_gt_u32_e32 8, v10
; %bb.1234:                             ;   in Loop: Header=BB212_1059 Depth=1
	v_ffbh_u32_e32 v7, v8
	v_min_u32_e32 v7, 32, v7
	v_subrev_nc_u32_e32 v10, 28, v7
	v_sub_nc_u32_e32 v7, 29, v7
	v_lshlrev_b64 v[10:11], v10, v[8:9]
	v_and_b32_e32 v8, 7, v10
; %bb.1235:                             ;   in Loop: Header=BB212_1059 Depth=1
	s_or_b32 exec_lo, exec_lo, s19
	v_lshlrev_b32_e32 v10, 24, v6
	v_lshlrev_b32_e32 v8, 20, v8
	v_lshl_add_u32 v7, v7, 23, 0x3c000000
	v_and_b32_e32 v10, 0x80000000, v10
	v_or3_b32 v8, v8, v10, v7
	v_mov_b32_e32 v20, v9
	v_mov_b32_e32 v19, v8
.LBB212_1236:                           ;   in Loop: Header=BB212_1059 Depth=1
	s_or_b32 exec_lo, exec_lo, s18
.LBB212_1237:                           ;   in Loop: Header=BB212_1059 Depth=1
	s_or_b32 exec_lo, exec_lo, s17
.LBB212_1238:                           ;   in Loop: Header=BB212_1059 Depth=1
	s_or_b32 exec_lo, exec_lo, s15
	v_cmp_ne_u16_sdwa s4, v6, v9 src0_sel:BYTE_1 src1_sel:DWORD
	s_and_saveexec_b32 s15, s4
	s_cbranch_execz .LBB212_1246
; %bb.1239:                             ;   in Loop: Header=BB212_1059 Depth=1
	v_mov_b32_e32 v11, v9
	v_mov_b32_e32 v22, v12
	v_cmp_ne_u16_sdwa s4, v6, v96 src0_sel:BYTE_1 src1_sel:DWORD
	v_mov_b32_e32 v21, v11
	s_and_saveexec_b32 s17, s4
	s_cbranch_execz .LBB212_1245
; %bb.1240:                             ;   in Loop: Header=BB212_1059 Depth=1
	v_mov_b32_e32 v7, 0xffff
	v_mov_b32_e32 v13, v9
	;; [unrolled: 1-line block ×3, first 2 shown]
	s_mov_b32 s18, exec_lo
	v_and_b32_sdwa v7, v7, v6 dst_sel:DWORD dst_unused:UNUSED_PAD src0_sel:DWORD src1_sel:BYTE_1
	v_mov_b32_e32 v21, v13
	v_and_b32_e32 v10, 0x7f, v7
	v_cmpx_ne_u32_e32 0x7f, v10
	s_cbranch_execz .LBB212_1244
; %bb.1241:                             ;   in Loop: Header=BB212_1059 Depth=1
	v_and_b32_e32 v8, 7, v7
	v_lshrrev_b32_e32 v7, 3, v10
	s_mov_b32 s19, exec_lo
	v_cmpx_gt_u32_e32 8, v10
; %bb.1242:                             ;   in Loop: Header=BB212_1059 Depth=1
	v_ffbh_u32_e32 v7, v8
	v_min_u32_e32 v7, 32, v7
	v_subrev_nc_u32_e32 v10, 28, v7
	v_sub_nc_u32_e32 v7, 29, v7
	v_lshlrev_b64 v[10:11], v10, v[8:9]
	v_and_b32_e32 v8, 7, v10
; %bb.1243:                             ;   in Loop: Header=BB212_1059 Depth=1
	s_or_b32 exec_lo, exec_lo, s19
	v_lshlrev_b32_e32 v10, 16, v6
	v_lshlrev_b32_e32 v8, 20, v8
	v_lshl_add_u32 v7, v7, 23, 0x3c000000
	v_mov_b32_e32 v21, v9
	v_and_b32_e32 v10, 0x80000000, v10
	v_or3_b32 v22, v8, v10, v7
.LBB212_1244:                           ;   in Loop: Header=BB212_1059 Depth=1
	s_or_b32 exec_lo, exec_lo, s18
.LBB212_1245:                           ;   in Loop: Header=BB212_1059 Depth=1
	s_or_b32 exec_lo, exec_lo, s17
.LBB212_1246:                           ;   in Loop: Header=BB212_1059 Depth=1
	s_or_b32 exec_lo, exec_lo, s15
	v_mov_b32_e32 v10, 0
	v_mov_b32_e32 v23, 0
	v_and_b32_sdwa v7, v6, v98 dst_sel:DWORD dst_unused:UNUSED_PAD src0_sel:WORD_1 src1_sel:DWORD
	v_mov_b32_e32 v11, 0
	v_mov_b32_e32 v24, 0
	s_mov_b32 s15, exec_lo
	v_cmpx_ne_u16_e32 0, v7
	s_cbranch_execz .LBB212_1254
; %bb.1247:                             ;   in Loop: Header=BB212_1059 Depth=1
	v_bfrev_b32_e32 v23, 1
	v_mov_b32_e32 v24, 0
	s_mov_b32 s17, exec_lo
	v_cmpx_ne_u16_e32 0x80, v7
	s_cbranch_execz .LBB212_1253
; %bb.1248:                             ;   in Loop: Header=BB212_1059 Depth=1
	v_mov_b32_e32 v23, 0x7f800001
	v_bfe_u32 v13, v6, 16, 7
	v_mov_b32_e32 v24, 0
	s_mov_b32 s18, exec_lo
	v_cmpx_ne_u32_e32 0x7f, v13
	s_cbranch_execz .LBB212_1252
; %bb.1249:                             ;   in Loop: Header=BB212_1059 Depth=1
	v_mov_b32_e32 v7, 7
	s_mov_b32 s19, exec_lo
	v_and_b32_sdwa v8, v6, v7 dst_sel:DWORD dst_unused:UNUSED_PAD src0_sel:WORD_1 src1_sel:DWORD
	v_lshrrev_b32_e32 v7, 3, v13
	v_cmpx_gt_u32_e32 8, v13
; %bb.1250:                             ;   in Loop: Header=BB212_1059 Depth=1
	v_ffbh_u32_e32 v7, v8
	v_min_u32_e32 v7, 32, v7
	v_subrev_nc_u32_e32 v13, 28, v7
	v_sub_nc_u32_e32 v7, 29, v7
	v_lshlrev_b64 v[23:24], v13, v[8:9]
	v_and_b32_e32 v8, 7, v23
; %bb.1251:                             ;   in Loop: Header=BB212_1059 Depth=1
	s_or_b32 exec_lo, exec_lo, s19
	v_mov_b32_e32 v13, 24
	v_lshlrev_b32_e32 v8, 20, v8
	v_lshl_add_u32 v7, v7, 23, 0x3c000000
	v_lshlrev_b32_sdwa v13, v13, v6 dst_sel:DWORD dst_unused:UNUSED_PAD src0_sel:DWORD src1_sel:WORD_1
	v_and_b32_e32 v13, 0x80000000, v13
	v_or3_b32 v8, v8, v13, v7
	v_mov_b32_e32 v24, v9
	v_mov_b32_e32 v23, v8
.LBB212_1252:                           ;   in Loop: Header=BB212_1059 Depth=1
	s_or_b32 exec_lo, exec_lo, s18
.LBB212_1253:                           ;   in Loop: Header=BB212_1059 Depth=1
	s_or_b32 exec_lo, exec_lo, s17
.LBB212_1254:                           ;   in Loop: Header=BB212_1059 Depth=1
	s_or_b32 exec_lo, exec_lo, s15
	s_mov_b32 s15, exec_lo
	v_cmpx_lt_u32_e32 0xffffff, v6
	s_cbranch_execz .LBB212_1262
; %bb.1255:                             ;   in Loop: Header=BB212_1059 Depth=1
	v_mov_b32_e32 v11, v9
	v_cmp_ne_u32_sdwa s4, v6, v96 src0_sel:BYTE_3 src1_sel:DWORD
	v_mov_b32_e32 v10, v11
	v_mov_b32_e32 v11, v12
	s_and_saveexec_b32 s17, s4
	s_cbranch_execz .LBB212_1261
; %bb.1256:                             ;   in Loop: Header=BB212_1059 Depth=1
	v_mov_b32_e32 v13, v9
	v_bfe_u32 v28, v6, 24, 7
	s_mov_b32 s18, exec_lo
	v_mov_b32_e32 v10, v13
	v_mov_b32_e32 v11, v14
	v_cmpx_ne_u32_e32 0x7f, v28
	s_cbranch_execz .LBB212_1260
; %bb.1257:                             ;   in Loop: Header=BB212_1059 Depth=1
	v_mov_b32_e32 v7, 7
	s_mov_b32 s19, exec_lo
	v_and_b32_sdwa v8, v6, v7 dst_sel:DWORD dst_unused:UNUSED_PAD src0_sel:BYTE_3 src1_sel:DWORD
	v_lshrrev_b32_e32 v7, 3, v28
	v_cmpx_gt_u32_e32 8, v28
; %bb.1258:                             ;   in Loop: Header=BB212_1059 Depth=1
	v_ffbh_u32_e32 v7, v8
	v_min_u32_e32 v7, 32, v7
	v_subrev_nc_u32_e32 v10, 28, v7
	v_sub_nc_u32_e32 v7, 29, v7
	v_lshlrev_b64 v[10:11], v10, v[8:9]
	v_and_b32_e32 v8, 7, v10
; %bb.1259:                             ;   in Loop: Header=BB212_1059 Depth=1
	s_or_b32 exec_lo, exec_lo, s19
	v_mov_b32_e32 v10, 24
	v_lshlrev_b32_e32 v8, 20, v8
	v_lshl_add_u32 v7, v7, 23, 0x3c000000
	v_lshlrev_b32_sdwa v6, v10, v6 dst_sel:DWORD dst_unused:UNUSED_PAD src0_sel:DWORD src1_sel:BYTE_3
	v_mov_b32_e32 v10, v9
	v_and_b32_e32 v6, 0x80000000, v6
	v_or3_b32 v11, v8, v6, v7
.LBB212_1260:                           ;   in Loop: Header=BB212_1059 Depth=1
	s_or_b32 exec_lo, exec_lo, s18
.LBB212_1261:                           ;   in Loop: Header=BB212_1059 Depth=1
	s_or_b32 exec_lo, exec_lo, s17
.LBB212_1262:                           ;   in Loop: Header=BB212_1059 Depth=1
	s_or_b32 exec_lo, exec_lo, s15
	v_or_b32_e32 v6, v22, v20
	v_or_b32_e32 v7, v21, v19
	;; [unrolled: 1-line block ×4, first 2 shown]
	v_mul_f32_e32 v6, v118, v6
	buffer_store_dword v6, off, s[0:3], s32 offset:404 ; 4-byte Folded Spill
	v_mul_f32_e32 v6, v118, v7
	buffer_store_dword v6, off, s[0:3], s32 offset:396 ; 4-byte Folded Spill
	;; [unrolled: 2-line block ×4, first 2 shown]
	s_and_saveexec_b32 s15, vcc_lo
	s_cbranch_execz .LBB212_1264
; %bb.1263:                             ;   in Loop: Header=BB212_1059 Depth=1
	s_clause 0x1
	buffer_load_dword v6, off, s[0:3], s32 offset:200
	buffer_load_dword v7, off, s[0:3], s32 offset:396
	s_waitcnt vmcnt(1)
	v_cmp_lt_i32_e64 s4, v40, v6
	s_waitcnt vmcnt(0)
	v_cndmask_b32_e64 v7, 0, v7, s4
	v_cmp_lt_i32_e64 s4, v43, v6
	buffer_store_dword v7, off, s[0:3], s32 offset:396 ; 4-byte Folded Spill
	buffer_load_dword v7, off, s[0:3], s32 offset:404 ; 4-byte Folded Reload
	s_waitcnt vmcnt(0)
	v_cndmask_b32_e64 v7, 0, v7, s4
	v_cmp_lt_i32_e64 s4, v42, v6
	buffer_store_dword v7, off, s[0:3], s32 offset:404 ; 4-byte Folded Spill
	buffer_load_dword v7, off, s[0:3], s32 offset:388 ; 4-byte Folded Reload
	s_waitcnt vmcnt(0)
	v_cndmask_b32_e64 v7, 0, v7, s4
	v_cmp_lt_i32_e64 s4, v41, v6
	buffer_load_dword v6, off, s[0:3], s32 offset:380 ; 4-byte Folded Reload
	buffer_store_dword v7, off, s[0:3], s32 offset:388 ; 4-byte Folded Spill
	s_waitcnt vmcnt(0)
	v_cndmask_b32_e64 v6, 0, v6, s4
	buffer_store_dword v6, off, s[0:3], s32 offset:380 ; 4-byte Folded Spill
.LBB212_1264:                           ;   in Loop: Header=BB212_1059 Depth=1
	s_or_b32 exec_lo, exec_lo, s15
	flat_load_dword v6, v[0:1] offset:768
	v_mov_b32_e32 v21, 0
	v_mov_b32_e32 v19, 0
	;; [unrolled: 1-line block ×4, first 2 shown]
	s_waitcnt vmcnt(0) lgkmcnt(0)
	v_cmp_ne_u16_sdwa s4, v6, v9 src0_sel:BYTE_0 src1_sel:DWORD
	s_and_saveexec_b32 s15, s4
	s_cbranch_execz .LBB212_1272
; %bb.1265:                             ;   in Loop: Header=BB212_1059 Depth=1
	v_bfrev_b32_e32 v19, 1
	v_mov_b32_e32 v20, 0
	v_cmp_ne_u16_sdwa s4, v6, v96 src0_sel:BYTE_0 src1_sel:DWORD
	s_and_saveexec_b32 s17, s4
	s_cbranch_execz .LBB212_1271
; %bb.1266:                             ;   in Loop: Header=BB212_1059 Depth=1
	v_mov_b32_e32 v19, 0x7f800001
	v_and_b32_e32 v10, 0x7f, v6
	v_mov_b32_e32 v20, 0
	s_mov_b32 s18, exec_lo
	v_cmpx_ne_u32_e32 0x7f, v10
	s_cbranch_execz .LBB212_1270
; %bb.1267:                             ;   in Loop: Header=BB212_1059 Depth=1
	v_and_b32_e32 v8, 7, v6
	v_lshrrev_b32_e32 v7, 3, v10
	s_mov_b32 s19, exec_lo
	v_cmpx_gt_u32_e32 8, v10
; %bb.1268:                             ;   in Loop: Header=BB212_1059 Depth=1
	v_ffbh_u32_e32 v7, v8
	v_min_u32_e32 v7, 32, v7
	v_subrev_nc_u32_e32 v10, 28, v7
	v_sub_nc_u32_e32 v7, 29, v7
	v_lshlrev_b64 v[10:11], v10, v[8:9]
	v_and_b32_e32 v8, 7, v10
; %bb.1269:                             ;   in Loop: Header=BB212_1059 Depth=1
	s_or_b32 exec_lo, exec_lo, s19
	v_lshlrev_b32_e32 v10, 24, v6
	v_lshlrev_b32_e32 v8, 20, v8
	v_lshl_add_u32 v7, v7, 23, 0x3c000000
	v_and_b32_e32 v10, 0x80000000, v10
	v_or3_b32 v8, v8, v10, v7
	v_mov_b32_e32 v20, v9
	v_mov_b32_e32 v19, v8
.LBB212_1270:                           ;   in Loop: Header=BB212_1059 Depth=1
	s_or_b32 exec_lo, exec_lo, s18
.LBB212_1271:                           ;   in Loop: Header=BB212_1059 Depth=1
	s_or_b32 exec_lo, exec_lo, s17
.LBB212_1272:                           ;   in Loop: Header=BB212_1059 Depth=1
	s_or_b32 exec_lo, exec_lo, s15
	v_cmp_ne_u16_sdwa s4, v6, v9 src0_sel:BYTE_1 src1_sel:DWORD
	s_and_saveexec_b32 s15, s4
	s_cbranch_execz .LBB212_1280
; %bb.1273:                             ;   in Loop: Header=BB212_1059 Depth=1
	v_mov_b32_e32 v11, v9
	v_mov_b32_e32 v22, v12
	v_cmp_ne_u16_sdwa s4, v6, v96 src0_sel:BYTE_1 src1_sel:DWORD
	v_mov_b32_e32 v21, v11
	s_and_saveexec_b32 s17, s4
	s_cbranch_execz .LBB212_1279
; %bb.1274:                             ;   in Loop: Header=BB212_1059 Depth=1
	v_mov_b32_e32 v7, 0xffff
	v_mov_b32_e32 v13, v9
	;; [unrolled: 1-line block ×3, first 2 shown]
	s_mov_b32 s18, exec_lo
	v_and_b32_sdwa v7, v7, v6 dst_sel:DWORD dst_unused:UNUSED_PAD src0_sel:DWORD src1_sel:BYTE_1
	v_mov_b32_e32 v21, v13
	v_and_b32_e32 v10, 0x7f, v7
	v_cmpx_ne_u32_e32 0x7f, v10
	s_cbranch_execz .LBB212_1278
; %bb.1275:                             ;   in Loop: Header=BB212_1059 Depth=1
	v_and_b32_e32 v8, 7, v7
	v_lshrrev_b32_e32 v7, 3, v10
	s_mov_b32 s19, exec_lo
	v_cmpx_gt_u32_e32 8, v10
; %bb.1276:                             ;   in Loop: Header=BB212_1059 Depth=1
	v_ffbh_u32_e32 v7, v8
	v_min_u32_e32 v7, 32, v7
	v_subrev_nc_u32_e32 v10, 28, v7
	v_sub_nc_u32_e32 v7, 29, v7
	v_lshlrev_b64 v[10:11], v10, v[8:9]
	v_and_b32_e32 v8, 7, v10
; %bb.1277:                             ;   in Loop: Header=BB212_1059 Depth=1
	s_or_b32 exec_lo, exec_lo, s19
	v_lshlrev_b32_e32 v10, 16, v6
	v_lshlrev_b32_e32 v8, 20, v8
	v_lshl_add_u32 v7, v7, 23, 0x3c000000
	v_mov_b32_e32 v21, v9
	v_and_b32_e32 v10, 0x80000000, v10
	v_or3_b32 v22, v8, v10, v7
.LBB212_1278:                           ;   in Loop: Header=BB212_1059 Depth=1
	s_or_b32 exec_lo, exec_lo, s18
.LBB212_1279:                           ;   in Loop: Header=BB212_1059 Depth=1
	s_or_b32 exec_lo, exec_lo, s17
.LBB212_1280:                           ;   in Loop: Header=BB212_1059 Depth=1
	s_or_b32 exec_lo, exec_lo, s15
	v_mov_b32_e32 v10, 0
	v_mov_b32_e32 v23, 0
	v_and_b32_sdwa v7, v6, v98 dst_sel:DWORD dst_unused:UNUSED_PAD src0_sel:WORD_1 src1_sel:DWORD
	v_mov_b32_e32 v11, 0
	v_mov_b32_e32 v24, 0
	s_mov_b32 s15, exec_lo
	v_cmpx_ne_u16_e32 0, v7
	s_cbranch_execz .LBB212_1288
; %bb.1281:                             ;   in Loop: Header=BB212_1059 Depth=1
	v_bfrev_b32_e32 v23, 1
	v_mov_b32_e32 v24, 0
	s_mov_b32 s17, exec_lo
	v_cmpx_ne_u16_e32 0x80, v7
	s_cbranch_execz .LBB212_1287
; %bb.1282:                             ;   in Loop: Header=BB212_1059 Depth=1
	v_mov_b32_e32 v23, 0x7f800001
	v_bfe_u32 v13, v6, 16, 7
	v_mov_b32_e32 v24, 0
	s_mov_b32 s18, exec_lo
	v_cmpx_ne_u32_e32 0x7f, v13
	s_cbranch_execz .LBB212_1286
; %bb.1283:                             ;   in Loop: Header=BB212_1059 Depth=1
	v_mov_b32_e32 v7, 7
	s_mov_b32 s19, exec_lo
	v_and_b32_sdwa v8, v6, v7 dst_sel:DWORD dst_unused:UNUSED_PAD src0_sel:WORD_1 src1_sel:DWORD
	v_lshrrev_b32_e32 v7, 3, v13
	v_cmpx_gt_u32_e32 8, v13
; %bb.1284:                             ;   in Loop: Header=BB212_1059 Depth=1
	v_ffbh_u32_e32 v7, v8
	v_min_u32_e32 v7, 32, v7
	v_subrev_nc_u32_e32 v13, 28, v7
	v_sub_nc_u32_e32 v7, 29, v7
	v_lshlrev_b64 v[23:24], v13, v[8:9]
	v_and_b32_e32 v8, 7, v23
; %bb.1285:                             ;   in Loop: Header=BB212_1059 Depth=1
	s_or_b32 exec_lo, exec_lo, s19
	v_mov_b32_e32 v13, 24
	v_lshlrev_b32_e32 v8, 20, v8
	v_lshl_add_u32 v7, v7, 23, 0x3c000000
	v_lshlrev_b32_sdwa v13, v13, v6 dst_sel:DWORD dst_unused:UNUSED_PAD src0_sel:DWORD src1_sel:WORD_1
	v_and_b32_e32 v13, 0x80000000, v13
	v_or3_b32 v8, v8, v13, v7
	v_mov_b32_e32 v24, v9
	v_mov_b32_e32 v23, v8
.LBB212_1286:                           ;   in Loop: Header=BB212_1059 Depth=1
	s_or_b32 exec_lo, exec_lo, s18
.LBB212_1287:                           ;   in Loop: Header=BB212_1059 Depth=1
	s_or_b32 exec_lo, exec_lo, s17
.LBB212_1288:                           ;   in Loop: Header=BB212_1059 Depth=1
	s_or_b32 exec_lo, exec_lo, s15
	s_mov_b32 s15, exec_lo
	v_cmpx_lt_u32_e32 0xffffff, v6
	s_cbranch_execz .LBB212_1296
; %bb.1289:                             ;   in Loop: Header=BB212_1059 Depth=1
	v_mov_b32_e32 v11, v9
	v_cmp_ne_u32_sdwa s4, v6, v96 src0_sel:BYTE_3 src1_sel:DWORD
	v_mov_b32_e32 v10, v11
	v_mov_b32_e32 v11, v12
	s_and_saveexec_b32 s17, s4
	s_cbranch_execz .LBB212_1295
; %bb.1290:                             ;   in Loop: Header=BB212_1059 Depth=1
	v_mov_b32_e32 v13, v9
	v_bfe_u32 v28, v6, 24, 7
	s_mov_b32 s18, exec_lo
	v_mov_b32_e32 v10, v13
	v_mov_b32_e32 v11, v14
	v_cmpx_ne_u32_e32 0x7f, v28
	s_cbranch_execz .LBB212_1294
; %bb.1291:                             ;   in Loop: Header=BB212_1059 Depth=1
	v_mov_b32_e32 v7, 7
	s_mov_b32 s19, exec_lo
	v_and_b32_sdwa v8, v6, v7 dst_sel:DWORD dst_unused:UNUSED_PAD src0_sel:BYTE_3 src1_sel:DWORD
	v_lshrrev_b32_e32 v7, 3, v28
	v_cmpx_gt_u32_e32 8, v28
; %bb.1292:                             ;   in Loop: Header=BB212_1059 Depth=1
	v_ffbh_u32_e32 v7, v8
	v_min_u32_e32 v7, 32, v7
	v_subrev_nc_u32_e32 v10, 28, v7
	v_sub_nc_u32_e32 v7, 29, v7
	v_lshlrev_b64 v[10:11], v10, v[8:9]
	v_and_b32_e32 v8, 7, v10
; %bb.1293:                             ;   in Loop: Header=BB212_1059 Depth=1
	s_or_b32 exec_lo, exec_lo, s19
	v_mov_b32_e32 v10, 24
	v_lshlrev_b32_e32 v8, 20, v8
	v_lshl_add_u32 v7, v7, 23, 0x3c000000
	v_lshlrev_b32_sdwa v6, v10, v6 dst_sel:DWORD dst_unused:UNUSED_PAD src0_sel:DWORD src1_sel:BYTE_3
	v_mov_b32_e32 v10, v9
	v_and_b32_e32 v6, 0x80000000, v6
	v_or3_b32 v11, v8, v6, v7
.LBB212_1294:                           ;   in Loop: Header=BB212_1059 Depth=1
	s_or_b32 exec_lo, exec_lo, s18
.LBB212_1295:                           ;   in Loop: Header=BB212_1059 Depth=1
	s_or_b32 exec_lo, exec_lo, s17
.LBB212_1296:                           ;   in Loop: Header=BB212_1059 Depth=1
	s_or_b32 exec_lo, exec_lo, s15
	v_or_b32_e32 v6, v22, v20
	v_or_b32_e32 v7, v21, v19
	;; [unrolled: 1-line block ×4, first 2 shown]
	v_mul_f32_e32 v6, v118, v6
	buffer_store_dword v6, off, s[0:3], s32 offset:436 ; 4-byte Folded Spill
	v_mul_f32_e32 v6, v118, v7
	buffer_store_dword v6, off, s[0:3], s32 offset:428 ; 4-byte Folded Spill
	;; [unrolled: 2-line block ×4, first 2 shown]
	s_and_saveexec_b32 s15, vcc_lo
	s_cbranch_execz .LBB212_1298
; %bb.1297:                             ;   in Loop: Header=BB212_1059 Depth=1
	s_clause 0x1
	buffer_load_dword v6, off, s[0:3], s32 offset:200
	buffer_load_dword v7, off, s[0:3], s32 offset:428
	s_waitcnt vmcnt(1)
	v_cmp_lt_i32_e64 s4, v40, v6
	s_waitcnt vmcnt(0)
	v_cndmask_b32_e64 v7, 0, v7, s4
	v_cmp_lt_i32_e64 s4, v43, v6
	buffer_store_dword v7, off, s[0:3], s32 offset:428 ; 4-byte Folded Spill
	buffer_load_dword v7, off, s[0:3], s32 offset:436 ; 4-byte Folded Reload
	s_waitcnt vmcnt(0)
	v_cndmask_b32_e64 v7, 0, v7, s4
	v_cmp_lt_i32_e64 s4, v42, v6
	buffer_store_dword v7, off, s[0:3], s32 offset:436 ; 4-byte Folded Spill
	buffer_load_dword v7, off, s[0:3], s32 offset:420 ; 4-byte Folded Reload
	s_waitcnt vmcnt(0)
	v_cndmask_b32_e64 v7, 0, v7, s4
	v_cmp_lt_i32_e64 s4, v41, v6
	buffer_load_dword v6, off, s[0:3], s32 offset:412 ; 4-byte Folded Reload
	buffer_store_dword v7, off, s[0:3], s32 offset:420 ; 4-byte Folded Spill
	s_waitcnt vmcnt(0)
	v_cndmask_b32_e64 v6, 0, v6, s4
	buffer_store_dword v6, off, s[0:3], s32 offset:412 ; 4-byte Folded Spill
.LBB212_1298:                           ;   in Loop: Header=BB212_1059 Depth=1
	s_or_b32 exec_lo, exec_lo, s15
	flat_load_dword v6, v[0:1] offset:896
	v_mov_b32_e32 v21, 0
	v_mov_b32_e32 v19, 0
	v_mov_b32_e32 v22, 0
	v_mov_b32_e32 v20, 0
	s_waitcnt vmcnt(0) lgkmcnt(0)
	v_cmp_ne_u16_sdwa s4, v6, v9 src0_sel:BYTE_0 src1_sel:DWORD
	s_and_saveexec_b32 s15, s4
	s_cbranch_execz .LBB212_1306
; %bb.1299:                             ;   in Loop: Header=BB212_1059 Depth=1
	v_bfrev_b32_e32 v19, 1
	v_mov_b32_e32 v20, 0
	v_cmp_ne_u16_sdwa s4, v6, v96 src0_sel:BYTE_0 src1_sel:DWORD
	s_and_saveexec_b32 s17, s4
	s_cbranch_execz .LBB212_1305
; %bb.1300:                             ;   in Loop: Header=BB212_1059 Depth=1
	v_mov_b32_e32 v19, 0x7f800001
	v_and_b32_e32 v10, 0x7f, v6
	v_mov_b32_e32 v20, 0
	s_mov_b32 s18, exec_lo
	v_cmpx_ne_u32_e32 0x7f, v10
	s_cbranch_execz .LBB212_1304
; %bb.1301:                             ;   in Loop: Header=BB212_1059 Depth=1
	v_and_b32_e32 v8, 7, v6
	v_lshrrev_b32_e32 v7, 3, v10
	s_mov_b32 s19, exec_lo
	v_cmpx_gt_u32_e32 8, v10
; %bb.1302:                             ;   in Loop: Header=BB212_1059 Depth=1
	v_ffbh_u32_e32 v7, v8
	v_min_u32_e32 v7, 32, v7
	v_subrev_nc_u32_e32 v10, 28, v7
	v_sub_nc_u32_e32 v7, 29, v7
	v_lshlrev_b64 v[10:11], v10, v[8:9]
	v_and_b32_e32 v8, 7, v10
; %bb.1303:                             ;   in Loop: Header=BB212_1059 Depth=1
	s_or_b32 exec_lo, exec_lo, s19
	v_lshlrev_b32_e32 v10, 24, v6
	v_lshlrev_b32_e32 v8, 20, v8
	v_lshl_add_u32 v7, v7, 23, 0x3c000000
	v_and_b32_e32 v10, 0x80000000, v10
	v_or3_b32 v8, v8, v10, v7
	v_mov_b32_e32 v20, v9
	v_mov_b32_e32 v19, v8
.LBB212_1304:                           ;   in Loop: Header=BB212_1059 Depth=1
	s_or_b32 exec_lo, exec_lo, s18
.LBB212_1305:                           ;   in Loop: Header=BB212_1059 Depth=1
	s_or_b32 exec_lo, exec_lo, s17
.LBB212_1306:                           ;   in Loop: Header=BB212_1059 Depth=1
	s_or_b32 exec_lo, exec_lo, s15
	v_cmp_ne_u16_sdwa s4, v6, v9 src0_sel:BYTE_1 src1_sel:DWORD
	s_and_saveexec_b32 s15, s4
	s_cbranch_execz .LBB212_1314
; %bb.1307:                             ;   in Loop: Header=BB212_1059 Depth=1
	v_mov_b32_e32 v11, v9
	v_mov_b32_e32 v22, v12
	v_cmp_ne_u16_sdwa s4, v6, v96 src0_sel:BYTE_1 src1_sel:DWORD
	v_mov_b32_e32 v21, v11
	s_and_saveexec_b32 s17, s4
	s_cbranch_execz .LBB212_1313
; %bb.1308:                             ;   in Loop: Header=BB212_1059 Depth=1
	v_mov_b32_e32 v7, 0xffff
	v_mov_b32_e32 v13, v9
	;; [unrolled: 1-line block ×3, first 2 shown]
	s_mov_b32 s18, exec_lo
	v_and_b32_sdwa v7, v7, v6 dst_sel:DWORD dst_unused:UNUSED_PAD src0_sel:DWORD src1_sel:BYTE_1
	v_mov_b32_e32 v21, v13
	v_and_b32_e32 v10, 0x7f, v7
	v_cmpx_ne_u32_e32 0x7f, v10
	s_cbranch_execz .LBB212_1312
; %bb.1309:                             ;   in Loop: Header=BB212_1059 Depth=1
	v_and_b32_e32 v8, 7, v7
	v_lshrrev_b32_e32 v7, 3, v10
	s_mov_b32 s19, exec_lo
	v_cmpx_gt_u32_e32 8, v10
; %bb.1310:                             ;   in Loop: Header=BB212_1059 Depth=1
	v_ffbh_u32_e32 v7, v8
	v_min_u32_e32 v7, 32, v7
	v_subrev_nc_u32_e32 v10, 28, v7
	v_sub_nc_u32_e32 v7, 29, v7
	v_lshlrev_b64 v[10:11], v10, v[8:9]
	v_and_b32_e32 v8, 7, v10
; %bb.1311:                             ;   in Loop: Header=BB212_1059 Depth=1
	s_or_b32 exec_lo, exec_lo, s19
	v_lshlrev_b32_e32 v10, 16, v6
	v_lshlrev_b32_e32 v8, 20, v8
	v_lshl_add_u32 v7, v7, 23, 0x3c000000
	v_mov_b32_e32 v21, v9
	v_and_b32_e32 v10, 0x80000000, v10
	v_or3_b32 v22, v8, v10, v7
.LBB212_1312:                           ;   in Loop: Header=BB212_1059 Depth=1
	s_or_b32 exec_lo, exec_lo, s18
.LBB212_1313:                           ;   in Loop: Header=BB212_1059 Depth=1
	s_or_b32 exec_lo, exec_lo, s17
.LBB212_1314:                           ;   in Loop: Header=BB212_1059 Depth=1
	s_or_b32 exec_lo, exec_lo, s15
	v_mov_b32_e32 v10, 0
	v_mov_b32_e32 v23, 0
	v_and_b32_sdwa v7, v6, v98 dst_sel:DWORD dst_unused:UNUSED_PAD src0_sel:WORD_1 src1_sel:DWORD
	v_mov_b32_e32 v11, 0
	v_mov_b32_e32 v24, 0
	s_mov_b32 s15, exec_lo
	v_cmpx_ne_u16_e32 0, v7
	s_cbranch_execz .LBB212_1322
; %bb.1315:                             ;   in Loop: Header=BB212_1059 Depth=1
	v_bfrev_b32_e32 v23, 1
	v_mov_b32_e32 v24, 0
	s_mov_b32 s17, exec_lo
	v_cmpx_ne_u16_e32 0x80, v7
	s_cbranch_execz .LBB212_1321
; %bb.1316:                             ;   in Loop: Header=BB212_1059 Depth=1
	v_mov_b32_e32 v23, 0x7f800001
	v_bfe_u32 v13, v6, 16, 7
	v_mov_b32_e32 v24, 0
	s_mov_b32 s18, exec_lo
	v_cmpx_ne_u32_e32 0x7f, v13
	s_cbranch_execz .LBB212_1320
; %bb.1317:                             ;   in Loop: Header=BB212_1059 Depth=1
	v_mov_b32_e32 v7, 7
	s_mov_b32 s19, exec_lo
	v_and_b32_sdwa v8, v6, v7 dst_sel:DWORD dst_unused:UNUSED_PAD src0_sel:WORD_1 src1_sel:DWORD
	v_lshrrev_b32_e32 v7, 3, v13
	v_cmpx_gt_u32_e32 8, v13
; %bb.1318:                             ;   in Loop: Header=BB212_1059 Depth=1
	v_ffbh_u32_e32 v7, v8
	v_min_u32_e32 v7, 32, v7
	v_subrev_nc_u32_e32 v13, 28, v7
	v_sub_nc_u32_e32 v7, 29, v7
	v_lshlrev_b64 v[23:24], v13, v[8:9]
	v_and_b32_e32 v8, 7, v23
; %bb.1319:                             ;   in Loop: Header=BB212_1059 Depth=1
	s_or_b32 exec_lo, exec_lo, s19
	v_mov_b32_e32 v13, 24
	v_lshlrev_b32_e32 v8, 20, v8
	v_lshl_add_u32 v7, v7, 23, 0x3c000000
	v_lshlrev_b32_sdwa v13, v13, v6 dst_sel:DWORD dst_unused:UNUSED_PAD src0_sel:DWORD src1_sel:WORD_1
	v_and_b32_e32 v13, 0x80000000, v13
	v_or3_b32 v8, v8, v13, v7
	v_mov_b32_e32 v24, v9
	v_mov_b32_e32 v23, v8
.LBB212_1320:                           ;   in Loop: Header=BB212_1059 Depth=1
	s_or_b32 exec_lo, exec_lo, s18
.LBB212_1321:                           ;   in Loop: Header=BB212_1059 Depth=1
	s_or_b32 exec_lo, exec_lo, s17
.LBB212_1322:                           ;   in Loop: Header=BB212_1059 Depth=1
	s_or_b32 exec_lo, exec_lo, s15
	s_mov_b32 s15, exec_lo
	v_cmpx_lt_u32_e32 0xffffff, v6
	s_cbranch_execz .LBB212_1330
; %bb.1323:                             ;   in Loop: Header=BB212_1059 Depth=1
	v_mov_b32_e32 v11, v9
	v_cmp_ne_u32_sdwa s4, v6, v96 src0_sel:BYTE_3 src1_sel:DWORD
	v_mov_b32_e32 v10, v11
	v_mov_b32_e32 v11, v12
	s_and_saveexec_b32 s17, s4
	s_cbranch_execz .LBB212_1329
; %bb.1324:                             ;   in Loop: Header=BB212_1059 Depth=1
	v_mov_b32_e32 v13, v9
	v_bfe_u32 v28, v6, 24, 7
	s_mov_b32 s18, exec_lo
	v_mov_b32_e32 v10, v13
	v_mov_b32_e32 v11, v14
	v_cmpx_ne_u32_e32 0x7f, v28
	s_cbranch_execz .LBB212_1328
; %bb.1325:                             ;   in Loop: Header=BB212_1059 Depth=1
	v_mov_b32_e32 v7, 7
	s_mov_b32 s19, exec_lo
	v_and_b32_sdwa v8, v6, v7 dst_sel:DWORD dst_unused:UNUSED_PAD src0_sel:BYTE_3 src1_sel:DWORD
	v_lshrrev_b32_e32 v7, 3, v28
	v_cmpx_gt_u32_e32 8, v28
; %bb.1326:                             ;   in Loop: Header=BB212_1059 Depth=1
	v_ffbh_u32_e32 v7, v8
	v_min_u32_e32 v7, 32, v7
	v_subrev_nc_u32_e32 v10, 28, v7
	v_sub_nc_u32_e32 v7, 29, v7
	v_lshlrev_b64 v[10:11], v10, v[8:9]
	v_and_b32_e32 v8, 7, v10
; %bb.1327:                             ;   in Loop: Header=BB212_1059 Depth=1
	s_or_b32 exec_lo, exec_lo, s19
	v_mov_b32_e32 v10, 24
	v_lshlrev_b32_e32 v8, 20, v8
	v_lshl_add_u32 v7, v7, 23, 0x3c000000
	v_lshlrev_b32_sdwa v6, v10, v6 dst_sel:DWORD dst_unused:UNUSED_PAD src0_sel:DWORD src1_sel:BYTE_3
	v_mov_b32_e32 v10, v9
	v_and_b32_e32 v6, 0x80000000, v6
	v_or3_b32 v11, v8, v6, v7
.LBB212_1328:                           ;   in Loop: Header=BB212_1059 Depth=1
	s_or_b32 exec_lo, exec_lo, s18
.LBB212_1329:                           ;   in Loop: Header=BB212_1059 Depth=1
	s_or_b32 exec_lo, exec_lo, s17
.LBB212_1330:                           ;   in Loop: Header=BB212_1059 Depth=1
	s_or_b32 exec_lo, exec_lo, s15
	v_or_b32_e32 v6, v22, v20
	v_or_b32_e32 v7, v21, v19
	;; [unrolled: 1-line block ×4, first 2 shown]
	v_mul_f32_e32 v6, v118, v6
	buffer_store_dword v6, off, s[0:3], s32 offset:468 ; 4-byte Folded Spill
	v_mul_f32_e32 v6, v118, v7
	buffer_store_dword v6, off, s[0:3], s32 offset:460 ; 4-byte Folded Spill
	;; [unrolled: 2-line block ×4, first 2 shown]
	s_and_saveexec_b32 s15, vcc_lo
	s_cbranch_execz .LBB212_1332
; %bb.1331:                             ;   in Loop: Header=BB212_1059 Depth=1
	s_clause 0x1
	buffer_load_dword v6, off, s[0:3], s32 offset:200
	buffer_load_dword v7, off, s[0:3], s32 offset:460
	s_waitcnt vmcnt(1)
	v_cmp_lt_i32_e64 s4, v40, v6
	s_waitcnt vmcnt(0)
	v_cndmask_b32_e64 v7, 0, v7, s4
	v_cmp_lt_i32_e64 s4, v43, v6
	buffer_store_dword v7, off, s[0:3], s32 offset:460 ; 4-byte Folded Spill
	buffer_load_dword v7, off, s[0:3], s32 offset:468 ; 4-byte Folded Reload
	s_waitcnt vmcnt(0)
	v_cndmask_b32_e64 v7, 0, v7, s4
	v_cmp_lt_i32_e64 s4, v42, v6
	buffer_store_dword v7, off, s[0:3], s32 offset:468 ; 4-byte Folded Spill
	buffer_load_dword v7, off, s[0:3], s32 offset:452 ; 4-byte Folded Reload
	s_waitcnt vmcnt(0)
	v_cndmask_b32_e64 v7, 0, v7, s4
	v_cmp_lt_i32_e64 s4, v41, v6
	buffer_load_dword v6, off, s[0:3], s32 offset:444 ; 4-byte Folded Reload
	buffer_store_dword v7, off, s[0:3], s32 offset:452 ; 4-byte Folded Spill
	s_waitcnt vmcnt(0)
	v_cndmask_b32_e64 v6, 0, v6, s4
	buffer_store_dword v6, off, s[0:3], s32 offset:444 ; 4-byte Folded Spill
.LBB212_1332:                           ;   in Loop: Header=BB212_1059 Depth=1
	s_or_b32 exec_lo, exec_lo, s15
	flat_load_dword v6, v[0:1] offset:1024
	v_mov_b32_e32 v21, 0
	v_mov_b32_e32 v19, 0
	;; [unrolled: 1-line block ×4, first 2 shown]
	s_waitcnt vmcnt(0) lgkmcnt(0)
	v_cmp_ne_u16_sdwa s4, v6, v9 src0_sel:BYTE_0 src1_sel:DWORD
	s_and_saveexec_b32 s15, s4
	s_cbranch_execz .LBB212_1340
; %bb.1333:                             ;   in Loop: Header=BB212_1059 Depth=1
	v_bfrev_b32_e32 v19, 1
	v_mov_b32_e32 v20, 0
	v_cmp_ne_u16_sdwa s4, v6, v96 src0_sel:BYTE_0 src1_sel:DWORD
	s_and_saveexec_b32 s17, s4
	s_cbranch_execz .LBB212_1339
; %bb.1334:                             ;   in Loop: Header=BB212_1059 Depth=1
	v_mov_b32_e32 v19, 0x7f800001
	v_and_b32_e32 v10, 0x7f, v6
	v_mov_b32_e32 v20, 0
	s_mov_b32 s18, exec_lo
	v_cmpx_ne_u32_e32 0x7f, v10
	s_cbranch_execz .LBB212_1338
; %bb.1335:                             ;   in Loop: Header=BB212_1059 Depth=1
	v_and_b32_e32 v8, 7, v6
	v_lshrrev_b32_e32 v7, 3, v10
	s_mov_b32 s19, exec_lo
	v_cmpx_gt_u32_e32 8, v10
; %bb.1336:                             ;   in Loop: Header=BB212_1059 Depth=1
	v_ffbh_u32_e32 v7, v8
	v_min_u32_e32 v7, 32, v7
	v_subrev_nc_u32_e32 v10, 28, v7
	v_sub_nc_u32_e32 v7, 29, v7
	v_lshlrev_b64 v[10:11], v10, v[8:9]
	v_and_b32_e32 v8, 7, v10
; %bb.1337:                             ;   in Loop: Header=BB212_1059 Depth=1
	s_or_b32 exec_lo, exec_lo, s19
	v_lshlrev_b32_e32 v10, 24, v6
	v_lshlrev_b32_e32 v8, 20, v8
	v_lshl_add_u32 v7, v7, 23, 0x3c000000
	v_and_b32_e32 v10, 0x80000000, v10
	v_or3_b32 v8, v8, v10, v7
	v_mov_b32_e32 v20, v9
	v_mov_b32_e32 v19, v8
.LBB212_1338:                           ;   in Loop: Header=BB212_1059 Depth=1
	s_or_b32 exec_lo, exec_lo, s18
.LBB212_1339:                           ;   in Loop: Header=BB212_1059 Depth=1
	s_or_b32 exec_lo, exec_lo, s17
.LBB212_1340:                           ;   in Loop: Header=BB212_1059 Depth=1
	s_or_b32 exec_lo, exec_lo, s15
	v_cmp_ne_u16_sdwa s4, v6, v9 src0_sel:BYTE_1 src1_sel:DWORD
	s_and_saveexec_b32 s15, s4
	s_cbranch_execz .LBB212_1348
; %bb.1341:                             ;   in Loop: Header=BB212_1059 Depth=1
	v_mov_b32_e32 v11, v9
	v_mov_b32_e32 v22, v12
	v_cmp_ne_u16_sdwa s4, v6, v96 src0_sel:BYTE_1 src1_sel:DWORD
	v_mov_b32_e32 v21, v11
	s_and_saveexec_b32 s17, s4
	s_cbranch_execz .LBB212_1347
; %bb.1342:                             ;   in Loop: Header=BB212_1059 Depth=1
	v_mov_b32_e32 v7, 0xffff
	v_mov_b32_e32 v13, v9
	;; [unrolled: 1-line block ×3, first 2 shown]
	s_mov_b32 s18, exec_lo
	v_and_b32_sdwa v7, v7, v6 dst_sel:DWORD dst_unused:UNUSED_PAD src0_sel:DWORD src1_sel:BYTE_1
	v_mov_b32_e32 v21, v13
	v_and_b32_e32 v10, 0x7f, v7
	v_cmpx_ne_u32_e32 0x7f, v10
	s_cbranch_execz .LBB212_1346
; %bb.1343:                             ;   in Loop: Header=BB212_1059 Depth=1
	v_and_b32_e32 v8, 7, v7
	v_lshrrev_b32_e32 v7, 3, v10
	s_mov_b32 s19, exec_lo
	v_cmpx_gt_u32_e32 8, v10
; %bb.1344:                             ;   in Loop: Header=BB212_1059 Depth=1
	v_ffbh_u32_e32 v7, v8
	v_min_u32_e32 v7, 32, v7
	v_subrev_nc_u32_e32 v10, 28, v7
	v_sub_nc_u32_e32 v7, 29, v7
	v_lshlrev_b64 v[10:11], v10, v[8:9]
	v_and_b32_e32 v8, 7, v10
; %bb.1345:                             ;   in Loop: Header=BB212_1059 Depth=1
	s_or_b32 exec_lo, exec_lo, s19
	v_lshlrev_b32_e32 v10, 16, v6
	v_lshlrev_b32_e32 v8, 20, v8
	v_lshl_add_u32 v7, v7, 23, 0x3c000000
	v_mov_b32_e32 v21, v9
	v_and_b32_e32 v10, 0x80000000, v10
	v_or3_b32 v22, v8, v10, v7
.LBB212_1346:                           ;   in Loop: Header=BB212_1059 Depth=1
	s_or_b32 exec_lo, exec_lo, s18
.LBB212_1347:                           ;   in Loop: Header=BB212_1059 Depth=1
	s_or_b32 exec_lo, exec_lo, s17
.LBB212_1348:                           ;   in Loop: Header=BB212_1059 Depth=1
	s_or_b32 exec_lo, exec_lo, s15
	v_mov_b32_e32 v10, 0
	v_mov_b32_e32 v23, 0
	v_and_b32_sdwa v7, v6, v98 dst_sel:DWORD dst_unused:UNUSED_PAD src0_sel:WORD_1 src1_sel:DWORD
	v_mov_b32_e32 v11, 0
	v_mov_b32_e32 v24, 0
	s_mov_b32 s15, exec_lo
	v_cmpx_ne_u16_e32 0, v7
	s_cbranch_execz .LBB212_1356
; %bb.1349:                             ;   in Loop: Header=BB212_1059 Depth=1
	v_bfrev_b32_e32 v23, 1
	v_mov_b32_e32 v24, 0
	s_mov_b32 s17, exec_lo
	v_cmpx_ne_u16_e32 0x80, v7
	s_cbranch_execz .LBB212_1355
; %bb.1350:                             ;   in Loop: Header=BB212_1059 Depth=1
	v_mov_b32_e32 v23, 0x7f800001
	v_bfe_u32 v13, v6, 16, 7
	v_mov_b32_e32 v24, 0
	s_mov_b32 s18, exec_lo
	v_cmpx_ne_u32_e32 0x7f, v13
	s_cbranch_execz .LBB212_1354
; %bb.1351:                             ;   in Loop: Header=BB212_1059 Depth=1
	v_mov_b32_e32 v7, 7
	s_mov_b32 s19, exec_lo
	v_and_b32_sdwa v8, v6, v7 dst_sel:DWORD dst_unused:UNUSED_PAD src0_sel:WORD_1 src1_sel:DWORD
	v_lshrrev_b32_e32 v7, 3, v13
	v_cmpx_gt_u32_e32 8, v13
; %bb.1352:                             ;   in Loop: Header=BB212_1059 Depth=1
	v_ffbh_u32_e32 v7, v8
	v_min_u32_e32 v7, 32, v7
	v_subrev_nc_u32_e32 v13, 28, v7
	v_sub_nc_u32_e32 v7, 29, v7
	v_lshlrev_b64 v[23:24], v13, v[8:9]
	v_and_b32_e32 v8, 7, v23
; %bb.1353:                             ;   in Loop: Header=BB212_1059 Depth=1
	s_or_b32 exec_lo, exec_lo, s19
	v_mov_b32_e32 v13, 24
	v_lshlrev_b32_e32 v8, 20, v8
	v_lshl_add_u32 v7, v7, 23, 0x3c000000
	v_lshlrev_b32_sdwa v13, v13, v6 dst_sel:DWORD dst_unused:UNUSED_PAD src0_sel:DWORD src1_sel:WORD_1
	v_and_b32_e32 v13, 0x80000000, v13
	v_or3_b32 v8, v8, v13, v7
	v_mov_b32_e32 v24, v9
	v_mov_b32_e32 v23, v8
.LBB212_1354:                           ;   in Loop: Header=BB212_1059 Depth=1
	s_or_b32 exec_lo, exec_lo, s18
.LBB212_1355:                           ;   in Loop: Header=BB212_1059 Depth=1
	s_or_b32 exec_lo, exec_lo, s17
.LBB212_1356:                           ;   in Loop: Header=BB212_1059 Depth=1
	s_or_b32 exec_lo, exec_lo, s15
	s_mov_b32 s15, exec_lo
	v_cmpx_lt_u32_e32 0xffffff, v6
	s_cbranch_execz .LBB212_1364
; %bb.1357:                             ;   in Loop: Header=BB212_1059 Depth=1
	v_mov_b32_e32 v11, v9
	v_cmp_ne_u32_sdwa s4, v6, v96 src0_sel:BYTE_3 src1_sel:DWORD
	v_mov_b32_e32 v10, v11
	v_mov_b32_e32 v11, v12
	s_and_saveexec_b32 s17, s4
	s_cbranch_execz .LBB212_1363
; %bb.1358:                             ;   in Loop: Header=BB212_1059 Depth=1
	v_mov_b32_e32 v13, v9
	v_bfe_u32 v28, v6, 24, 7
	s_mov_b32 s18, exec_lo
	v_mov_b32_e32 v10, v13
	v_mov_b32_e32 v11, v14
	v_cmpx_ne_u32_e32 0x7f, v28
	s_cbranch_execz .LBB212_1362
; %bb.1359:                             ;   in Loop: Header=BB212_1059 Depth=1
	v_mov_b32_e32 v7, 7
	s_mov_b32 s19, exec_lo
	v_and_b32_sdwa v8, v6, v7 dst_sel:DWORD dst_unused:UNUSED_PAD src0_sel:BYTE_3 src1_sel:DWORD
	v_lshrrev_b32_e32 v7, 3, v28
	v_cmpx_gt_u32_e32 8, v28
; %bb.1360:                             ;   in Loop: Header=BB212_1059 Depth=1
	v_ffbh_u32_e32 v7, v8
	v_min_u32_e32 v7, 32, v7
	v_subrev_nc_u32_e32 v10, 28, v7
	v_sub_nc_u32_e32 v7, 29, v7
	v_lshlrev_b64 v[10:11], v10, v[8:9]
	v_and_b32_e32 v8, 7, v10
; %bb.1361:                             ;   in Loop: Header=BB212_1059 Depth=1
	s_or_b32 exec_lo, exec_lo, s19
	v_mov_b32_e32 v10, 24
	v_lshlrev_b32_e32 v8, 20, v8
	v_lshl_add_u32 v7, v7, 23, 0x3c000000
	v_lshlrev_b32_sdwa v6, v10, v6 dst_sel:DWORD dst_unused:UNUSED_PAD src0_sel:DWORD src1_sel:BYTE_3
	v_mov_b32_e32 v10, v9
	v_and_b32_e32 v6, 0x80000000, v6
	v_or3_b32 v11, v8, v6, v7
.LBB212_1362:                           ;   in Loop: Header=BB212_1059 Depth=1
	s_or_b32 exec_lo, exec_lo, s18
.LBB212_1363:                           ;   in Loop: Header=BB212_1059 Depth=1
	s_or_b32 exec_lo, exec_lo, s17
.LBB212_1364:                           ;   in Loop: Header=BB212_1059 Depth=1
	s_or_b32 exec_lo, exec_lo, s15
	v_or_b32_e32 v6, v22, v20
	v_or_b32_e32 v7, v21, v19
	;; [unrolled: 1-line block ×4, first 2 shown]
	v_mul_f32_e32 v106, v118, v6
	v_mul_f32_e32 v105, v118, v7
	;; [unrolled: 1-line block ×4, first 2 shown]
	s_and_saveexec_b32 s15, vcc_lo
	s_cbranch_execz .LBB212_1366
; %bb.1365:                             ;   in Loop: Header=BB212_1059 Depth=1
	buffer_load_dword v6, off, s[0:3], s32 offset:200 ; 4-byte Folded Reload
	s_waitcnt vmcnt(0)
	v_cmp_lt_i32_e64 s4, v40, v6
	v_cndmask_b32_e64 v105, 0, v105, s4
	v_cmp_lt_i32_e64 s4, v43, v6
	v_cndmask_b32_e64 v106, 0, v106, s4
	;; [unrolled: 2-line block ×4, first 2 shown]
.LBB212_1366:                           ;   in Loop: Header=BB212_1059 Depth=1
	s_or_b32 exec_lo, exec_lo, s15
	flat_load_dword v6, v[0:1] offset:1152
	v_mov_b32_e32 v21, 0
	v_mov_b32_e32 v19, 0
	;; [unrolled: 1-line block ×4, first 2 shown]
	s_waitcnt vmcnt(0) lgkmcnt(0)
	v_cmp_ne_u16_sdwa s4, v6, v9 src0_sel:BYTE_0 src1_sel:DWORD
	s_and_saveexec_b32 s15, s4
	s_cbranch_execz .LBB212_1374
; %bb.1367:                             ;   in Loop: Header=BB212_1059 Depth=1
	v_bfrev_b32_e32 v19, 1
	v_mov_b32_e32 v20, 0
	v_cmp_ne_u16_sdwa s4, v6, v96 src0_sel:BYTE_0 src1_sel:DWORD
	s_and_saveexec_b32 s17, s4
	s_cbranch_execz .LBB212_1373
; %bb.1368:                             ;   in Loop: Header=BB212_1059 Depth=1
	v_mov_b32_e32 v19, 0x7f800001
	v_and_b32_e32 v10, 0x7f, v6
	v_mov_b32_e32 v20, 0
	s_mov_b32 s18, exec_lo
	v_cmpx_ne_u32_e32 0x7f, v10
	s_cbranch_execz .LBB212_1372
; %bb.1369:                             ;   in Loop: Header=BB212_1059 Depth=1
	v_and_b32_e32 v8, 7, v6
	v_lshrrev_b32_e32 v7, 3, v10
	s_mov_b32 s19, exec_lo
	v_cmpx_gt_u32_e32 8, v10
; %bb.1370:                             ;   in Loop: Header=BB212_1059 Depth=1
	v_ffbh_u32_e32 v7, v8
	v_min_u32_e32 v7, 32, v7
	v_subrev_nc_u32_e32 v10, 28, v7
	v_sub_nc_u32_e32 v7, 29, v7
	v_lshlrev_b64 v[10:11], v10, v[8:9]
	v_and_b32_e32 v8, 7, v10
; %bb.1371:                             ;   in Loop: Header=BB212_1059 Depth=1
	s_or_b32 exec_lo, exec_lo, s19
	v_lshlrev_b32_e32 v10, 24, v6
	v_lshlrev_b32_e32 v8, 20, v8
	v_lshl_add_u32 v7, v7, 23, 0x3c000000
	v_and_b32_e32 v10, 0x80000000, v10
	v_or3_b32 v8, v8, v10, v7
	v_mov_b32_e32 v20, v9
	v_mov_b32_e32 v19, v8
.LBB212_1372:                           ;   in Loop: Header=BB212_1059 Depth=1
	s_or_b32 exec_lo, exec_lo, s18
.LBB212_1373:                           ;   in Loop: Header=BB212_1059 Depth=1
	s_or_b32 exec_lo, exec_lo, s17
.LBB212_1374:                           ;   in Loop: Header=BB212_1059 Depth=1
	s_or_b32 exec_lo, exec_lo, s15
	v_cmp_ne_u16_sdwa s4, v6, v9 src0_sel:BYTE_1 src1_sel:DWORD
	s_and_saveexec_b32 s15, s4
	s_cbranch_execz .LBB212_1382
; %bb.1375:                             ;   in Loop: Header=BB212_1059 Depth=1
	v_mov_b32_e32 v11, v9
	v_mov_b32_e32 v22, v12
	v_cmp_ne_u16_sdwa s4, v6, v96 src0_sel:BYTE_1 src1_sel:DWORD
	v_mov_b32_e32 v21, v11
	s_and_saveexec_b32 s17, s4
	s_cbranch_execz .LBB212_1381
; %bb.1376:                             ;   in Loop: Header=BB212_1059 Depth=1
	v_mov_b32_e32 v7, 0xffff
	v_mov_b32_e32 v13, v9
	;; [unrolled: 1-line block ×3, first 2 shown]
	s_mov_b32 s18, exec_lo
	v_and_b32_sdwa v7, v7, v6 dst_sel:DWORD dst_unused:UNUSED_PAD src0_sel:DWORD src1_sel:BYTE_1
	v_mov_b32_e32 v21, v13
	v_and_b32_e32 v10, 0x7f, v7
	v_cmpx_ne_u32_e32 0x7f, v10
	s_cbranch_execz .LBB212_1380
; %bb.1377:                             ;   in Loop: Header=BB212_1059 Depth=1
	v_and_b32_e32 v8, 7, v7
	v_lshrrev_b32_e32 v7, 3, v10
	s_mov_b32 s19, exec_lo
	v_cmpx_gt_u32_e32 8, v10
; %bb.1378:                             ;   in Loop: Header=BB212_1059 Depth=1
	v_ffbh_u32_e32 v7, v8
	v_min_u32_e32 v7, 32, v7
	v_subrev_nc_u32_e32 v10, 28, v7
	v_sub_nc_u32_e32 v7, 29, v7
	v_lshlrev_b64 v[10:11], v10, v[8:9]
	v_and_b32_e32 v8, 7, v10
; %bb.1379:                             ;   in Loop: Header=BB212_1059 Depth=1
	s_or_b32 exec_lo, exec_lo, s19
	v_lshlrev_b32_e32 v10, 16, v6
	v_lshlrev_b32_e32 v8, 20, v8
	v_lshl_add_u32 v7, v7, 23, 0x3c000000
	v_mov_b32_e32 v21, v9
	v_and_b32_e32 v10, 0x80000000, v10
	v_or3_b32 v22, v8, v10, v7
.LBB212_1380:                           ;   in Loop: Header=BB212_1059 Depth=1
	s_or_b32 exec_lo, exec_lo, s18
.LBB212_1381:                           ;   in Loop: Header=BB212_1059 Depth=1
	s_or_b32 exec_lo, exec_lo, s17
.LBB212_1382:                           ;   in Loop: Header=BB212_1059 Depth=1
	s_or_b32 exec_lo, exec_lo, s15
	v_mov_b32_e32 v10, 0
	v_mov_b32_e32 v23, 0
	v_and_b32_sdwa v7, v6, v98 dst_sel:DWORD dst_unused:UNUSED_PAD src0_sel:WORD_1 src1_sel:DWORD
	v_mov_b32_e32 v11, 0
	v_mov_b32_e32 v24, 0
	s_mov_b32 s15, exec_lo
	v_cmpx_ne_u16_e32 0, v7
	s_cbranch_execz .LBB212_1390
; %bb.1383:                             ;   in Loop: Header=BB212_1059 Depth=1
	v_bfrev_b32_e32 v23, 1
	v_mov_b32_e32 v24, 0
	s_mov_b32 s17, exec_lo
	v_cmpx_ne_u16_e32 0x80, v7
	s_cbranch_execz .LBB212_1389
; %bb.1384:                             ;   in Loop: Header=BB212_1059 Depth=1
	v_mov_b32_e32 v23, 0x7f800001
	v_bfe_u32 v13, v6, 16, 7
	v_mov_b32_e32 v24, 0
	s_mov_b32 s18, exec_lo
	v_cmpx_ne_u32_e32 0x7f, v13
	s_cbranch_execz .LBB212_1388
; %bb.1385:                             ;   in Loop: Header=BB212_1059 Depth=1
	v_mov_b32_e32 v7, 7
	s_mov_b32 s19, exec_lo
	v_and_b32_sdwa v8, v6, v7 dst_sel:DWORD dst_unused:UNUSED_PAD src0_sel:WORD_1 src1_sel:DWORD
	v_lshrrev_b32_e32 v7, 3, v13
	v_cmpx_gt_u32_e32 8, v13
; %bb.1386:                             ;   in Loop: Header=BB212_1059 Depth=1
	v_ffbh_u32_e32 v7, v8
	v_min_u32_e32 v7, 32, v7
	v_subrev_nc_u32_e32 v13, 28, v7
	v_sub_nc_u32_e32 v7, 29, v7
	v_lshlrev_b64 v[23:24], v13, v[8:9]
	v_and_b32_e32 v8, 7, v23
; %bb.1387:                             ;   in Loop: Header=BB212_1059 Depth=1
	s_or_b32 exec_lo, exec_lo, s19
	v_mov_b32_e32 v13, 24
	v_lshlrev_b32_e32 v8, 20, v8
	v_lshl_add_u32 v7, v7, 23, 0x3c000000
	v_lshlrev_b32_sdwa v13, v13, v6 dst_sel:DWORD dst_unused:UNUSED_PAD src0_sel:DWORD src1_sel:WORD_1
	v_and_b32_e32 v13, 0x80000000, v13
	v_or3_b32 v8, v8, v13, v7
	v_mov_b32_e32 v24, v9
	v_mov_b32_e32 v23, v8
.LBB212_1388:                           ;   in Loop: Header=BB212_1059 Depth=1
	s_or_b32 exec_lo, exec_lo, s18
.LBB212_1389:                           ;   in Loop: Header=BB212_1059 Depth=1
	s_or_b32 exec_lo, exec_lo, s17
.LBB212_1390:                           ;   in Loop: Header=BB212_1059 Depth=1
	s_or_b32 exec_lo, exec_lo, s15
	s_mov_b32 s15, exec_lo
	v_cmpx_lt_u32_e32 0xffffff, v6
	s_cbranch_execz .LBB212_1398
; %bb.1391:                             ;   in Loop: Header=BB212_1059 Depth=1
	v_mov_b32_e32 v11, v9
	v_cmp_ne_u32_sdwa s4, v6, v96 src0_sel:BYTE_3 src1_sel:DWORD
	v_mov_b32_e32 v10, v11
	v_mov_b32_e32 v11, v12
	s_and_saveexec_b32 s17, s4
	s_cbranch_execz .LBB212_1397
; %bb.1392:                             ;   in Loop: Header=BB212_1059 Depth=1
	v_mov_b32_e32 v13, v9
	v_bfe_u32 v28, v6, 24, 7
	s_mov_b32 s18, exec_lo
	v_mov_b32_e32 v10, v13
	v_mov_b32_e32 v11, v14
	v_cmpx_ne_u32_e32 0x7f, v28
	s_cbranch_execz .LBB212_1396
; %bb.1393:                             ;   in Loop: Header=BB212_1059 Depth=1
	v_mov_b32_e32 v7, 7
	s_mov_b32 s19, exec_lo
	v_and_b32_sdwa v8, v6, v7 dst_sel:DWORD dst_unused:UNUSED_PAD src0_sel:BYTE_3 src1_sel:DWORD
	v_lshrrev_b32_e32 v7, 3, v28
	v_cmpx_gt_u32_e32 8, v28
; %bb.1394:                             ;   in Loop: Header=BB212_1059 Depth=1
	v_ffbh_u32_e32 v7, v8
	v_min_u32_e32 v7, 32, v7
	v_subrev_nc_u32_e32 v10, 28, v7
	v_sub_nc_u32_e32 v7, 29, v7
	v_lshlrev_b64 v[10:11], v10, v[8:9]
	v_and_b32_e32 v8, 7, v10
; %bb.1395:                             ;   in Loop: Header=BB212_1059 Depth=1
	s_or_b32 exec_lo, exec_lo, s19
	v_mov_b32_e32 v10, 24
	v_lshlrev_b32_e32 v8, 20, v8
	v_lshl_add_u32 v7, v7, 23, 0x3c000000
	v_lshlrev_b32_sdwa v6, v10, v6 dst_sel:DWORD dst_unused:UNUSED_PAD src0_sel:DWORD src1_sel:BYTE_3
	v_mov_b32_e32 v10, v9
	v_and_b32_e32 v6, 0x80000000, v6
	v_or3_b32 v11, v8, v6, v7
.LBB212_1396:                           ;   in Loop: Header=BB212_1059 Depth=1
	s_or_b32 exec_lo, exec_lo, s18
.LBB212_1397:                           ;   in Loop: Header=BB212_1059 Depth=1
	s_or_b32 exec_lo, exec_lo, s17
.LBB212_1398:                           ;   in Loop: Header=BB212_1059 Depth=1
	s_or_b32 exec_lo, exec_lo, s15
	v_or_b32_e32 v6, v22, v20
	v_or_b32_e32 v7, v21, v19
	;; [unrolled: 1-line block ×4, first 2 shown]
	v_mul_f32_e32 v110, v118, v6
	v_mul_f32_e32 v109, v118, v7
	;; [unrolled: 1-line block ×4, first 2 shown]
	s_and_saveexec_b32 s15, vcc_lo
	s_cbranch_execz .LBB212_1400
; %bb.1399:                             ;   in Loop: Header=BB212_1059 Depth=1
	buffer_load_dword v6, off, s[0:3], s32 offset:200 ; 4-byte Folded Reload
	s_waitcnt vmcnt(0)
	v_cmp_lt_i32_e64 s4, v40, v6
	v_cndmask_b32_e64 v109, 0, v109, s4
	v_cmp_lt_i32_e64 s4, v43, v6
	v_cndmask_b32_e64 v110, 0, v110, s4
	;; [unrolled: 2-line block ×4, first 2 shown]
.LBB212_1400:                           ;   in Loop: Header=BB212_1059 Depth=1
	s_or_b32 exec_lo, exec_lo, s15
	flat_load_dword v6, v[0:1] offset:1280
	v_mov_b32_e32 v21, 0
	v_mov_b32_e32 v19, 0
	v_mov_b32_e32 v22, 0
	v_mov_b32_e32 v20, 0
	s_waitcnt vmcnt(0) lgkmcnt(0)
	v_cmp_ne_u16_sdwa s4, v6, v9 src0_sel:BYTE_0 src1_sel:DWORD
	s_and_saveexec_b32 s15, s4
	s_cbranch_execz .LBB212_1408
; %bb.1401:                             ;   in Loop: Header=BB212_1059 Depth=1
	v_bfrev_b32_e32 v19, 1
	v_mov_b32_e32 v20, 0
	v_cmp_ne_u16_sdwa s4, v6, v96 src0_sel:BYTE_0 src1_sel:DWORD
	s_and_saveexec_b32 s17, s4
	s_cbranch_execz .LBB212_1407
; %bb.1402:                             ;   in Loop: Header=BB212_1059 Depth=1
	v_mov_b32_e32 v19, 0x7f800001
	v_and_b32_e32 v10, 0x7f, v6
	v_mov_b32_e32 v20, 0
	s_mov_b32 s18, exec_lo
	v_cmpx_ne_u32_e32 0x7f, v10
	s_cbranch_execz .LBB212_1406
; %bb.1403:                             ;   in Loop: Header=BB212_1059 Depth=1
	v_and_b32_e32 v8, 7, v6
	v_lshrrev_b32_e32 v7, 3, v10
	s_mov_b32 s19, exec_lo
	v_cmpx_gt_u32_e32 8, v10
; %bb.1404:                             ;   in Loop: Header=BB212_1059 Depth=1
	v_ffbh_u32_e32 v7, v8
	v_min_u32_e32 v7, 32, v7
	v_subrev_nc_u32_e32 v10, 28, v7
	v_sub_nc_u32_e32 v7, 29, v7
	v_lshlrev_b64 v[10:11], v10, v[8:9]
	v_and_b32_e32 v8, 7, v10
; %bb.1405:                             ;   in Loop: Header=BB212_1059 Depth=1
	s_or_b32 exec_lo, exec_lo, s19
	v_lshlrev_b32_e32 v10, 24, v6
	v_lshlrev_b32_e32 v8, 20, v8
	v_lshl_add_u32 v7, v7, 23, 0x3c000000
	v_and_b32_e32 v10, 0x80000000, v10
	v_or3_b32 v8, v8, v10, v7
	v_mov_b32_e32 v20, v9
	v_mov_b32_e32 v19, v8
.LBB212_1406:                           ;   in Loop: Header=BB212_1059 Depth=1
	s_or_b32 exec_lo, exec_lo, s18
.LBB212_1407:                           ;   in Loop: Header=BB212_1059 Depth=1
	s_or_b32 exec_lo, exec_lo, s17
.LBB212_1408:                           ;   in Loop: Header=BB212_1059 Depth=1
	s_or_b32 exec_lo, exec_lo, s15
	v_cmp_ne_u16_sdwa s4, v6, v9 src0_sel:BYTE_1 src1_sel:DWORD
	s_and_saveexec_b32 s15, s4
	s_cbranch_execz .LBB212_1416
; %bb.1409:                             ;   in Loop: Header=BB212_1059 Depth=1
	v_mov_b32_e32 v11, v9
	v_mov_b32_e32 v22, v12
	v_cmp_ne_u16_sdwa s4, v6, v96 src0_sel:BYTE_1 src1_sel:DWORD
	v_mov_b32_e32 v21, v11
	s_and_saveexec_b32 s17, s4
	s_cbranch_execz .LBB212_1415
; %bb.1410:                             ;   in Loop: Header=BB212_1059 Depth=1
	v_mov_b32_e32 v7, 0xffff
	v_mov_b32_e32 v13, v9
	v_mov_b32_e32 v22, v14
	s_mov_b32 s18, exec_lo
	v_and_b32_sdwa v7, v7, v6 dst_sel:DWORD dst_unused:UNUSED_PAD src0_sel:DWORD src1_sel:BYTE_1
	v_mov_b32_e32 v21, v13
	v_and_b32_e32 v10, 0x7f, v7
	v_cmpx_ne_u32_e32 0x7f, v10
	s_cbranch_execz .LBB212_1414
; %bb.1411:                             ;   in Loop: Header=BB212_1059 Depth=1
	v_and_b32_e32 v8, 7, v7
	v_lshrrev_b32_e32 v7, 3, v10
	s_mov_b32 s19, exec_lo
	v_cmpx_gt_u32_e32 8, v10
; %bb.1412:                             ;   in Loop: Header=BB212_1059 Depth=1
	v_ffbh_u32_e32 v7, v8
	v_min_u32_e32 v7, 32, v7
	v_subrev_nc_u32_e32 v10, 28, v7
	v_sub_nc_u32_e32 v7, 29, v7
	v_lshlrev_b64 v[10:11], v10, v[8:9]
	v_and_b32_e32 v8, 7, v10
; %bb.1413:                             ;   in Loop: Header=BB212_1059 Depth=1
	s_or_b32 exec_lo, exec_lo, s19
	v_lshlrev_b32_e32 v10, 16, v6
	v_lshlrev_b32_e32 v8, 20, v8
	v_lshl_add_u32 v7, v7, 23, 0x3c000000
	v_mov_b32_e32 v21, v9
	v_and_b32_e32 v10, 0x80000000, v10
	v_or3_b32 v22, v8, v10, v7
.LBB212_1414:                           ;   in Loop: Header=BB212_1059 Depth=1
	s_or_b32 exec_lo, exec_lo, s18
.LBB212_1415:                           ;   in Loop: Header=BB212_1059 Depth=1
	s_or_b32 exec_lo, exec_lo, s17
.LBB212_1416:                           ;   in Loop: Header=BB212_1059 Depth=1
	s_or_b32 exec_lo, exec_lo, s15
	v_mov_b32_e32 v10, 0
	v_mov_b32_e32 v23, 0
	v_and_b32_sdwa v7, v6, v98 dst_sel:DWORD dst_unused:UNUSED_PAD src0_sel:WORD_1 src1_sel:DWORD
	v_mov_b32_e32 v11, 0
	v_mov_b32_e32 v24, 0
	s_mov_b32 s15, exec_lo
	v_cmpx_ne_u16_e32 0, v7
	s_cbranch_execz .LBB212_1424
; %bb.1417:                             ;   in Loop: Header=BB212_1059 Depth=1
	v_bfrev_b32_e32 v23, 1
	v_mov_b32_e32 v24, 0
	s_mov_b32 s17, exec_lo
	v_cmpx_ne_u16_e32 0x80, v7
	s_cbranch_execz .LBB212_1423
; %bb.1418:                             ;   in Loop: Header=BB212_1059 Depth=1
	v_mov_b32_e32 v23, 0x7f800001
	v_bfe_u32 v13, v6, 16, 7
	v_mov_b32_e32 v24, 0
	s_mov_b32 s18, exec_lo
	v_cmpx_ne_u32_e32 0x7f, v13
	s_cbranch_execz .LBB212_1422
; %bb.1419:                             ;   in Loop: Header=BB212_1059 Depth=1
	v_mov_b32_e32 v7, 7
	s_mov_b32 s19, exec_lo
	v_and_b32_sdwa v8, v6, v7 dst_sel:DWORD dst_unused:UNUSED_PAD src0_sel:WORD_1 src1_sel:DWORD
	v_lshrrev_b32_e32 v7, 3, v13
	v_cmpx_gt_u32_e32 8, v13
; %bb.1420:                             ;   in Loop: Header=BB212_1059 Depth=1
	v_ffbh_u32_e32 v7, v8
	v_min_u32_e32 v7, 32, v7
	v_subrev_nc_u32_e32 v13, 28, v7
	v_sub_nc_u32_e32 v7, 29, v7
	v_lshlrev_b64 v[23:24], v13, v[8:9]
	v_and_b32_e32 v8, 7, v23
; %bb.1421:                             ;   in Loop: Header=BB212_1059 Depth=1
	s_or_b32 exec_lo, exec_lo, s19
	v_mov_b32_e32 v13, 24
	v_lshlrev_b32_e32 v8, 20, v8
	v_lshl_add_u32 v7, v7, 23, 0x3c000000
	v_lshlrev_b32_sdwa v13, v13, v6 dst_sel:DWORD dst_unused:UNUSED_PAD src0_sel:DWORD src1_sel:WORD_1
	v_and_b32_e32 v13, 0x80000000, v13
	v_or3_b32 v8, v8, v13, v7
	v_mov_b32_e32 v24, v9
	v_mov_b32_e32 v23, v8
.LBB212_1422:                           ;   in Loop: Header=BB212_1059 Depth=1
	s_or_b32 exec_lo, exec_lo, s18
.LBB212_1423:                           ;   in Loop: Header=BB212_1059 Depth=1
	s_or_b32 exec_lo, exec_lo, s17
.LBB212_1424:                           ;   in Loop: Header=BB212_1059 Depth=1
	s_or_b32 exec_lo, exec_lo, s15
	s_mov_b32 s15, exec_lo
	v_cmpx_lt_u32_e32 0xffffff, v6
	s_cbranch_execz .LBB212_1432
; %bb.1425:                             ;   in Loop: Header=BB212_1059 Depth=1
	v_mov_b32_e32 v11, v9
	v_cmp_ne_u32_sdwa s4, v6, v96 src0_sel:BYTE_3 src1_sel:DWORD
	v_mov_b32_e32 v10, v11
	v_mov_b32_e32 v11, v12
	s_and_saveexec_b32 s17, s4
	s_cbranch_execz .LBB212_1431
; %bb.1426:                             ;   in Loop: Header=BB212_1059 Depth=1
	v_mov_b32_e32 v13, v9
	v_bfe_u32 v28, v6, 24, 7
	s_mov_b32 s18, exec_lo
	v_mov_b32_e32 v10, v13
	v_mov_b32_e32 v11, v14
	v_cmpx_ne_u32_e32 0x7f, v28
	s_cbranch_execz .LBB212_1430
; %bb.1427:                             ;   in Loop: Header=BB212_1059 Depth=1
	v_mov_b32_e32 v7, 7
	s_mov_b32 s19, exec_lo
	v_and_b32_sdwa v8, v6, v7 dst_sel:DWORD dst_unused:UNUSED_PAD src0_sel:BYTE_3 src1_sel:DWORD
	v_lshrrev_b32_e32 v7, 3, v28
	v_cmpx_gt_u32_e32 8, v28
; %bb.1428:                             ;   in Loop: Header=BB212_1059 Depth=1
	v_ffbh_u32_e32 v7, v8
	v_min_u32_e32 v7, 32, v7
	v_subrev_nc_u32_e32 v10, 28, v7
	v_sub_nc_u32_e32 v7, 29, v7
	v_lshlrev_b64 v[10:11], v10, v[8:9]
	v_and_b32_e32 v8, 7, v10
; %bb.1429:                             ;   in Loop: Header=BB212_1059 Depth=1
	s_or_b32 exec_lo, exec_lo, s19
	v_mov_b32_e32 v10, 24
	v_lshlrev_b32_e32 v8, 20, v8
	v_lshl_add_u32 v7, v7, 23, 0x3c000000
	v_lshlrev_b32_sdwa v6, v10, v6 dst_sel:DWORD dst_unused:UNUSED_PAD src0_sel:DWORD src1_sel:BYTE_3
	v_mov_b32_e32 v10, v9
	v_and_b32_e32 v6, 0x80000000, v6
	v_or3_b32 v11, v8, v6, v7
.LBB212_1430:                           ;   in Loop: Header=BB212_1059 Depth=1
	s_or_b32 exec_lo, exec_lo, s18
.LBB212_1431:                           ;   in Loop: Header=BB212_1059 Depth=1
	s_or_b32 exec_lo, exec_lo, s17
.LBB212_1432:                           ;   in Loop: Header=BB212_1059 Depth=1
	s_or_b32 exec_lo, exec_lo, s15
	v_or_b32_e32 v6, v22, v20
	v_or_b32_e32 v7, v21, v19
	;; [unrolled: 1-line block ×4, first 2 shown]
	v_mul_f32_e32 v122, v118, v6
	v_mul_f32_e32 v121, v118, v7
	;; [unrolled: 1-line block ×4, first 2 shown]
	s_and_saveexec_b32 s15, vcc_lo
	s_cbranch_execz .LBB212_1434
; %bb.1433:                             ;   in Loop: Header=BB212_1059 Depth=1
	buffer_load_dword v6, off, s[0:3], s32 offset:200 ; 4-byte Folded Reload
	s_waitcnt vmcnt(0)
	v_cmp_lt_i32_e64 s4, v40, v6
	v_cndmask_b32_e64 v121, 0, v121, s4
	v_cmp_lt_i32_e64 s4, v43, v6
	v_cndmask_b32_e64 v122, 0, v122, s4
	;; [unrolled: 2-line block ×4, first 2 shown]
.LBB212_1434:                           ;   in Loop: Header=BB212_1059 Depth=1
	s_or_b32 exec_lo, exec_lo, s15
	flat_load_dword v6, v[0:1] offset:1408
	v_mov_b32_e32 v21, 0
	v_mov_b32_e32 v19, 0
	v_mov_b32_e32 v22, 0
	v_mov_b32_e32 v20, 0
	s_waitcnt vmcnt(0) lgkmcnt(0)
	v_cmp_ne_u16_sdwa s4, v6, v9 src0_sel:BYTE_0 src1_sel:DWORD
	s_and_saveexec_b32 s15, s4
	s_cbranch_execz .LBB212_1442
; %bb.1435:                             ;   in Loop: Header=BB212_1059 Depth=1
	v_bfrev_b32_e32 v19, 1
	v_mov_b32_e32 v20, 0
	v_cmp_ne_u16_sdwa s4, v6, v96 src0_sel:BYTE_0 src1_sel:DWORD
	s_and_saveexec_b32 s17, s4
	s_cbranch_execz .LBB212_1441
; %bb.1436:                             ;   in Loop: Header=BB212_1059 Depth=1
	v_mov_b32_e32 v19, 0x7f800001
	v_and_b32_e32 v10, 0x7f, v6
	v_mov_b32_e32 v20, 0
	s_mov_b32 s18, exec_lo
	v_cmpx_ne_u32_e32 0x7f, v10
	s_cbranch_execz .LBB212_1440
; %bb.1437:                             ;   in Loop: Header=BB212_1059 Depth=1
	v_and_b32_e32 v8, 7, v6
	v_lshrrev_b32_e32 v7, 3, v10
	s_mov_b32 s19, exec_lo
	v_cmpx_gt_u32_e32 8, v10
; %bb.1438:                             ;   in Loop: Header=BB212_1059 Depth=1
	v_ffbh_u32_e32 v7, v8
	v_min_u32_e32 v7, 32, v7
	v_subrev_nc_u32_e32 v10, 28, v7
	v_sub_nc_u32_e32 v7, 29, v7
	v_lshlrev_b64 v[10:11], v10, v[8:9]
	v_and_b32_e32 v8, 7, v10
; %bb.1439:                             ;   in Loop: Header=BB212_1059 Depth=1
	s_or_b32 exec_lo, exec_lo, s19
	v_lshlrev_b32_e32 v10, 24, v6
	v_lshlrev_b32_e32 v8, 20, v8
	v_lshl_add_u32 v7, v7, 23, 0x3c000000
	v_and_b32_e32 v10, 0x80000000, v10
	v_or3_b32 v8, v8, v10, v7
	v_mov_b32_e32 v20, v9
	v_mov_b32_e32 v19, v8
.LBB212_1440:                           ;   in Loop: Header=BB212_1059 Depth=1
	s_or_b32 exec_lo, exec_lo, s18
.LBB212_1441:                           ;   in Loop: Header=BB212_1059 Depth=1
	s_or_b32 exec_lo, exec_lo, s17
.LBB212_1442:                           ;   in Loop: Header=BB212_1059 Depth=1
	s_or_b32 exec_lo, exec_lo, s15
	v_cmp_ne_u16_sdwa s4, v6, v9 src0_sel:BYTE_1 src1_sel:DWORD
	s_and_saveexec_b32 s15, s4
	s_cbranch_execz .LBB212_1450
; %bb.1443:                             ;   in Loop: Header=BB212_1059 Depth=1
	v_mov_b32_e32 v11, v9
	v_mov_b32_e32 v22, v12
	v_cmp_ne_u16_sdwa s4, v6, v96 src0_sel:BYTE_1 src1_sel:DWORD
	v_mov_b32_e32 v21, v11
	s_and_saveexec_b32 s17, s4
	s_cbranch_execz .LBB212_1449
; %bb.1444:                             ;   in Loop: Header=BB212_1059 Depth=1
	v_mov_b32_e32 v7, 0xffff
	v_mov_b32_e32 v13, v9
	;; [unrolled: 1-line block ×3, first 2 shown]
	s_mov_b32 s18, exec_lo
	v_and_b32_sdwa v7, v7, v6 dst_sel:DWORD dst_unused:UNUSED_PAD src0_sel:DWORD src1_sel:BYTE_1
	v_mov_b32_e32 v21, v13
	v_and_b32_e32 v10, 0x7f, v7
	v_cmpx_ne_u32_e32 0x7f, v10
	s_cbranch_execz .LBB212_1448
; %bb.1445:                             ;   in Loop: Header=BB212_1059 Depth=1
	v_and_b32_e32 v8, 7, v7
	v_lshrrev_b32_e32 v7, 3, v10
	s_mov_b32 s19, exec_lo
	v_cmpx_gt_u32_e32 8, v10
; %bb.1446:                             ;   in Loop: Header=BB212_1059 Depth=1
	v_ffbh_u32_e32 v7, v8
	v_min_u32_e32 v7, 32, v7
	v_subrev_nc_u32_e32 v10, 28, v7
	v_sub_nc_u32_e32 v7, 29, v7
	v_lshlrev_b64 v[10:11], v10, v[8:9]
	v_and_b32_e32 v8, 7, v10
; %bb.1447:                             ;   in Loop: Header=BB212_1059 Depth=1
	s_or_b32 exec_lo, exec_lo, s19
	v_lshlrev_b32_e32 v10, 16, v6
	v_lshlrev_b32_e32 v8, 20, v8
	v_lshl_add_u32 v7, v7, 23, 0x3c000000
	v_mov_b32_e32 v21, v9
	v_and_b32_e32 v10, 0x80000000, v10
	v_or3_b32 v22, v8, v10, v7
.LBB212_1448:                           ;   in Loop: Header=BB212_1059 Depth=1
	s_or_b32 exec_lo, exec_lo, s18
.LBB212_1449:                           ;   in Loop: Header=BB212_1059 Depth=1
	s_or_b32 exec_lo, exec_lo, s17
.LBB212_1450:                           ;   in Loop: Header=BB212_1059 Depth=1
	s_or_b32 exec_lo, exec_lo, s15
	v_mov_b32_e32 v10, 0
	v_mov_b32_e32 v23, 0
	v_and_b32_sdwa v7, v6, v98 dst_sel:DWORD dst_unused:UNUSED_PAD src0_sel:WORD_1 src1_sel:DWORD
	v_mov_b32_e32 v11, 0
	v_mov_b32_e32 v24, 0
	s_mov_b32 s15, exec_lo
	v_cmpx_ne_u16_e32 0, v7
	s_cbranch_execz .LBB212_1458
; %bb.1451:                             ;   in Loop: Header=BB212_1059 Depth=1
	v_bfrev_b32_e32 v23, 1
	v_mov_b32_e32 v24, 0
	s_mov_b32 s17, exec_lo
	v_cmpx_ne_u16_e32 0x80, v7
	s_cbranch_execz .LBB212_1457
; %bb.1452:                             ;   in Loop: Header=BB212_1059 Depth=1
	v_mov_b32_e32 v23, 0x7f800001
	v_bfe_u32 v13, v6, 16, 7
	v_mov_b32_e32 v24, 0
	s_mov_b32 s18, exec_lo
	v_cmpx_ne_u32_e32 0x7f, v13
	s_cbranch_execz .LBB212_1456
; %bb.1453:                             ;   in Loop: Header=BB212_1059 Depth=1
	v_mov_b32_e32 v7, 7
	s_mov_b32 s19, exec_lo
	v_and_b32_sdwa v8, v6, v7 dst_sel:DWORD dst_unused:UNUSED_PAD src0_sel:WORD_1 src1_sel:DWORD
	v_lshrrev_b32_e32 v7, 3, v13
	v_cmpx_gt_u32_e32 8, v13
; %bb.1454:                             ;   in Loop: Header=BB212_1059 Depth=1
	v_ffbh_u32_e32 v7, v8
	v_min_u32_e32 v7, 32, v7
	v_subrev_nc_u32_e32 v13, 28, v7
	v_sub_nc_u32_e32 v7, 29, v7
	v_lshlrev_b64 v[23:24], v13, v[8:9]
	v_and_b32_e32 v8, 7, v23
; %bb.1455:                             ;   in Loop: Header=BB212_1059 Depth=1
	s_or_b32 exec_lo, exec_lo, s19
	v_mov_b32_e32 v13, 24
	v_lshlrev_b32_e32 v8, 20, v8
	v_lshl_add_u32 v7, v7, 23, 0x3c000000
	v_lshlrev_b32_sdwa v13, v13, v6 dst_sel:DWORD dst_unused:UNUSED_PAD src0_sel:DWORD src1_sel:WORD_1
	v_and_b32_e32 v13, 0x80000000, v13
	v_or3_b32 v8, v8, v13, v7
	v_mov_b32_e32 v24, v9
	v_mov_b32_e32 v23, v8
.LBB212_1456:                           ;   in Loop: Header=BB212_1059 Depth=1
	s_or_b32 exec_lo, exec_lo, s18
.LBB212_1457:                           ;   in Loop: Header=BB212_1059 Depth=1
	s_or_b32 exec_lo, exec_lo, s17
.LBB212_1458:                           ;   in Loop: Header=BB212_1059 Depth=1
	s_or_b32 exec_lo, exec_lo, s15
	s_mov_b32 s15, exec_lo
	v_cmpx_lt_u32_e32 0xffffff, v6
	s_cbranch_execz .LBB212_1466
; %bb.1459:                             ;   in Loop: Header=BB212_1059 Depth=1
	v_mov_b32_e32 v11, v9
	v_cmp_ne_u32_sdwa s4, v6, v96 src0_sel:BYTE_3 src1_sel:DWORD
	v_mov_b32_e32 v10, v11
	v_mov_b32_e32 v11, v12
	s_and_saveexec_b32 s17, s4
	s_cbranch_execz .LBB212_1465
; %bb.1460:                             ;   in Loop: Header=BB212_1059 Depth=1
	v_mov_b32_e32 v13, v9
	v_bfe_u32 v28, v6, 24, 7
	s_mov_b32 s18, exec_lo
	v_mov_b32_e32 v10, v13
	v_mov_b32_e32 v11, v14
	v_cmpx_ne_u32_e32 0x7f, v28
	s_cbranch_execz .LBB212_1464
; %bb.1461:                             ;   in Loop: Header=BB212_1059 Depth=1
	v_mov_b32_e32 v7, 7
	s_mov_b32 s19, exec_lo
	v_and_b32_sdwa v8, v6, v7 dst_sel:DWORD dst_unused:UNUSED_PAD src0_sel:BYTE_3 src1_sel:DWORD
	v_lshrrev_b32_e32 v7, 3, v28
	v_cmpx_gt_u32_e32 8, v28
; %bb.1462:                             ;   in Loop: Header=BB212_1059 Depth=1
	v_ffbh_u32_e32 v7, v8
	v_min_u32_e32 v7, 32, v7
	v_subrev_nc_u32_e32 v10, 28, v7
	v_sub_nc_u32_e32 v7, 29, v7
	v_lshlrev_b64 v[10:11], v10, v[8:9]
	v_and_b32_e32 v8, 7, v10
; %bb.1463:                             ;   in Loop: Header=BB212_1059 Depth=1
	s_or_b32 exec_lo, exec_lo, s19
	v_mov_b32_e32 v10, 24
	v_lshlrev_b32_e32 v8, 20, v8
	v_lshl_add_u32 v7, v7, 23, 0x3c000000
	v_lshlrev_b32_sdwa v6, v10, v6 dst_sel:DWORD dst_unused:UNUSED_PAD src0_sel:DWORD src1_sel:BYTE_3
	v_mov_b32_e32 v10, v9
	v_and_b32_e32 v6, 0x80000000, v6
	v_or3_b32 v11, v8, v6, v7
.LBB212_1464:                           ;   in Loop: Header=BB212_1059 Depth=1
	s_or_b32 exec_lo, exec_lo, s18
.LBB212_1465:                           ;   in Loop: Header=BB212_1059 Depth=1
	s_or_b32 exec_lo, exec_lo, s17
.LBB212_1466:                           ;   in Loop: Header=BB212_1059 Depth=1
	s_or_b32 exec_lo, exec_lo, s15
	v_or_b32_e32 v6, v22, v20
	v_or_b32_e32 v7, v21, v19
	v_or_b32_e32 v8, v10, v23
	v_or_b32_e32 v10, v11, v24
	v_mul_f32_e32 v126, v118, v6
	v_mul_f32_e32 v125, v118, v7
	;; [unrolled: 1-line block ×4, first 2 shown]
	s_and_saveexec_b32 s15, vcc_lo
	s_cbranch_execz .LBB212_1468
; %bb.1467:                             ;   in Loop: Header=BB212_1059 Depth=1
	buffer_load_dword v6, off, s[0:3], s32 offset:200 ; 4-byte Folded Reload
	s_waitcnt vmcnt(0)
	v_cmp_lt_i32_e64 s4, v40, v6
	v_cndmask_b32_e64 v125, 0, v125, s4
	v_cmp_lt_i32_e64 s4, v43, v6
	v_cndmask_b32_e64 v126, 0, v126, s4
	;; [unrolled: 2-line block ×4, first 2 shown]
.LBB212_1468:                           ;   in Loop: Header=BB212_1059 Depth=1
	s_or_b32 exec_lo, exec_lo, s15
	flat_load_dword v6, v[0:1] offset:1536
	v_mov_b32_e32 v21, 0
	v_mov_b32_e32 v19, 0
	;; [unrolled: 1-line block ×4, first 2 shown]
	s_waitcnt vmcnt(0) lgkmcnt(0)
	v_cmp_ne_u16_sdwa s4, v6, v9 src0_sel:BYTE_0 src1_sel:DWORD
	s_and_saveexec_b32 s15, s4
	s_cbranch_execz .LBB212_1476
; %bb.1469:                             ;   in Loop: Header=BB212_1059 Depth=1
	v_bfrev_b32_e32 v19, 1
	v_mov_b32_e32 v20, 0
	v_cmp_ne_u16_sdwa s4, v6, v96 src0_sel:BYTE_0 src1_sel:DWORD
	s_and_saveexec_b32 s17, s4
	s_cbranch_execz .LBB212_1475
; %bb.1470:                             ;   in Loop: Header=BB212_1059 Depth=1
	v_mov_b32_e32 v19, 0x7f800001
	v_and_b32_e32 v10, 0x7f, v6
	v_mov_b32_e32 v20, 0
	s_mov_b32 s18, exec_lo
	v_cmpx_ne_u32_e32 0x7f, v10
	s_cbranch_execz .LBB212_1474
; %bb.1471:                             ;   in Loop: Header=BB212_1059 Depth=1
	v_and_b32_e32 v8, 7, v6
	v_lshrrev_b32_e32 v7, 3, v10
	s_mov_b32 s19, exec_lo
	v_cmpx_gt_u32_e32 8, v10
; %bb.1472:                             ;   in Loop: Header=BB212_1059 Depth=1
	v_ffbh_u32_e32 v7, v8
	v_min_u32_e32 v7, 32, v7
	v_subrev_nc_u32_e32 v10, 28, v7
	v_sub_nc_u32_e32 v7, 29, v7
	v_lshlrev_b64 v[10:11], v10, v[8:9]
	v_and_b32_e32 v8, 7, v10
; %bb.1473:                             ;   in Loop: Header=BB212_1059 Depth=1
	s_or_b32 exec_lo, exec_lo, s19
	v_lshlrev_b32_e32 v10, 24, v6
	v_lshlrev_b32_e32 v8, 20, v8
	v_lshl_add_u32 v7, v7, 23, 0x3c000000
	v_and_b32_e32 v10, 0x80000000, v10
	v_or3_b32 v8, v8, v10, v7
	v_mov_b32_e32 v20, v9
	v_mov_b32_e32 v19, v8
.LBB212_1474:                           ;   in Loop: Header=BB212_1059 Depth=1
	s_or_b32 exec_lo, exec_lo, s18
.LBB212_1475:                           ;   in Loop: Header=BB212_1059 Depth=1
	s_or_b32 exec_lo, exec_lo, s17
.LBB212_1476:                           ;   in Loop: Header=BB212_1059 Depth=1
	s_or_b32 exec_lo, exec_lo, s15
	v_cmp_ne_u16_sdwa s4, v6, v9 src0_sel:BYTE_1 src1_sel:DWORD
	s_and_saveexec_b32 s15, s4
	s_cbranch_execz .LBB212_1484
; %bb.1477:                             ;   in Loop: Header=BB212_1059 Depth=1
	v_mov_b32_e32 v11, v9
	v_mov_b32_e32 v22, v12
	v_cmp_ne_u16_sdwa s4, v6, v96 src0_sel:BYTE_1 src1_sel:DWORD
	v_mov_b32_e32 v21, v11
	s_and_saveexec_b32 s17, s4
	s_cbranch_execz .LBB212_1483
; %bb.1478:                             ;   in Loop: Header=BB212_1059 Depth=1
	v_mov_b32_e32 v7, 0xffff
	v_mov_b32_e32 v13, v9
	;; [unrolled: 1-line block ×3, first 2 shown]
	s_mov_b32 s18, exec_lo
	v_and_b32_sdwa v7, v7, v6 dst_sel:DWORD dst_unused:UNUSED_PAD src0_sel:DWORD src1_sel:BYTE_1
	v_mov_b32_e32 v21, v13
	v_and_b32_e32 v10, 0x7f, v7
	v_cmpx_ne_u32_e32 0x7f, v10
	s_cbranch_execz .LBB212_1482
; %bb.1479:                             ;   in Loop: Header=BB212_1059 Depth=1
	v_and_b32_e32 v8, 7, v7
	v_lshrrev_b32_e32 v7, 3, v10
	s_mov_b32 s19, exec_lo
	v_cmpx_gt_u32_e32 8, v10
; %bb.1480:                             ;   in Loop: Header=BB212_1059 Depth=1
	v_ffbh_u32_e32 v7, v8
	v_min_u32_e32 v7, 32, v7
	v_subrev_nc_u32_e32 v10, 28, v7
	v_sub_nc_u32_e32 v7, 29, v7
	v_lshlrev_b64 v[10:11], v10, v[8:9]
	v_and_b32_e32 v8, 7, v10
; %bb.1481:                             ;   in Loop: Header=BB212_1059 Depth=1
	s_or_b32 exec_lo, exec_lo, s19
	v_lshlrev_b32_e32 v10, 16, v6
	v_lshlrev_b32_e32 v8, 20, v8
	v_lshl_add_u32 v7, v7, 23, 0x3c000000
	v_mov_b32_e32 v21, v9
	v_and_b32_e32 v10, 0x80000000, v10
	v_or3_b32 v22, v8, v10, v7
.LBB212_1482:                           ;   in Loop: Header=BB212_1059 Depth=1
	s_or_b32 exec_lo, exec_lo, s18
.LBB212_1483:                           ;   in Loop: Header=BB212_1059 Depth=1
	s_or_b32 exec_lo, exec_lo, s17
.LBB212_1484:                           ;   in Loop: Header=BB212_1059 Depth=1
	s_or_b32 exec_lo, exec_lo, s15
	v_mov_b32_e32 v10, 0
	v_mov_b32_e32 v23, 0
	v_and_b32_sdwa v7, v6, v98 dst_sel:DWORD dst_unused:UNUSED_PAD src0_sel:WORD_1 src1_sel:DWORD
	v_mov_b32_e32 v11, 0
	v_mov_b32_e32 v24, 0
	s_mov_b32 s15, exec_lo
	v_cmpx_ne_u16_e32 0, v7
	s_cbranch_execz .LBB212_1492
; %bb.1485:                             ;   in Loop: Header=BB212_1059 Depth=1
	v_bfrev_b32_e32 v23, 1
	v_mov_b32_e32 v24, 0
	s_mov_b32 s17, exec_lo
	v_cmpx_ne_u16_e32 0x80, v7
	s_cbranch_execz .LBB212_1491
; %bb.1486:                             ;   in Loop: Header=BB212_1059 Depth=1
	v_mov_b32_e32 v23, 0x7f800001
	v_bfe_u32 v13, v6, 16, 7
	v_mov_b32_e32 v24, 0
	s_mov_b32 s18, exec_lo
	v_cmpx_ne_u32_e32 0x7f, v13
	s_cbranch_execz .LBB212_1490
; %bb.1487:                             ;   in Loop: Header=BB212_1059 Depth=1
	v_mov_b32_e32 v7, 7
	s_mov_b32 s19, exec_lo
	v_and_b32_sdwa v8, v6, v7 dst_sel:DWORD dst_unused:UNUSED_PAD src0_sel:WORD_1 src1_sel:DWORD
	v_lshrrev_b32_e32 v7, 3, v13
	v_cmpx_gt_u32_e32 8, v13
; %bb.1488:                             ;   in Loop: Header=BB212_1059 Depth=1
	v_ffbh_u32_e32 v7, v8
	v_min_u32_e32 v7, 32, v7
	v_subrev_nc_u32_e32 v13, 28, v7
	v_sub_nc_u32_e32 v7, 29, v7
	v_lshlrev_b64 v[23:24], v13, v[8:9]
	v_and_b32_e32 v8, 7, v23
; %bb.1489:                             ;   in Loop: Header=BB212_1059 Depth=1
	s_or_b32 exec_lo, exec_lo, s19
	v_mov_b32_e32 v13, 24
	v_lshlrev_b32_e32 v8, 20, v8
	v_lshl_add_u32 v7, v7, 23, 0x3c000000
	v_lshlrev_b32_sdwa v13, v13, v6 dst_sel:DWORD dst_unused:UNUSED_PAD src0_sel:DWORD src1_sel:WORD_1
	v_and_b32_e32 v13, 0x80000000, v13
	v_or3_b32 v8, v8, v13, v7
	v_mov_b32_e32 v24, v9
	v_mov_b32_e32 v23, v8
.LBB212_1490:                           ;   in Loop: Header=BB212_1059 Depth=1
	s_or_b32 exec_lo, exec_lo, s18
.LBB212_1491:                           ;   in Loop: Header=BB212_1059 Depth=1
	s_or_b32 exec_lo, exec_lo, s17
.LBB212_1492:                           ;   in Loop: Header=BB212_1059 Depth=1
	s_or_b32 exec_lo, exec_lo, s15
	s_mov_b32 s15, exec_lo
	v_cmpx_lt_u32_e32 0xffffff, v6
	s_cbranch_execz .LBB212_1500
; %bb.1493:                             ;   in Loop: Header=BB212_1059 Depth=1
	v_mov_b32_e32 v11, v9
	v_cmp_ne_u32_sdwa s4, v6, v96 src0_sel:BYTE_3 src1_sel:DWORD
	v_mov_b32_e32 v10, v11
	v_mov_b32_e32 v11, v12
	s_and_saveexec_b32 s17, s4
	s_cbranch_execz .LBB212_1499
; %bb.1494:                             ;   in Loop: Header=BB212_1059 Depth=1
	v_mov_b32_e32 v13, v9
	v_bfe_u32 v28, v6, 24, 7
	s_mov_b32 s18, exec_lo
	v_mov_b32_e32 v10, v13
	v_mov_b32_e32 v11, v14
	v_cmpx_ne_u32_e32 0x7f, v28
	s_cbranch_execz .LBB212_1498
; %bb.1495:                             ;   in Loop: Header=BB212_1059 Depth=1
	v_mov_b32_e32 v7, 7
	s_mov_b32 s19, exec_lo
	v_and_b32_sdwa v8, v6, v7 dst_sel:DWORD dst_unused:UNUSED_PAD src0_sel:BYTE_3 src1_sel:DWORD
	v_lshrrev_b32_e32 v7, 3, v28
	v_cmpx_gt_u32_e32 8, v28
; %bb.1496:                             ;   in Loop: Header=BB212_1059 Depth=1
	v_ffbh_u32_e32 v7, v8
	v_min_u32_e32 v7, 32, v7
	v_subrev_nc_u32_e32 v10, 28, v7
	v_sub_nc_u32_e32 v7, 29, v7
	v_lshlrev_b64 v[10:11], v10, v[8:9]
	v_and_b32_e32 v8, 7, v10
; %bb.1497:                             ;   in Loop: Header=BB212_1059 Depth=1
	s_or_b32 exec_lo, exec_lo, s19
	v_mov_b32_e32 v10, 24
	v_lshlrev_b32_e32 v8, 20, v8
	v_lshl_add_u32 v7, v7, 23, 0x3c000000
	v_lshlrev_b32_sdwa v6, v10, v6 dst_sel:DWORD dst_unused:UNUSED_PAD src0_sel:DWORD src1_sel:BYTE_3
	v_mov_b32_e32 v10, v9
	v_and_b32_e32 v6, 0x80000000, v6
	v_or3_b32 v11, v8, v6, v7
.LBB212_1498:                           ;   in Loop: Header=BB212_1059 Depth=1
	s_or_b32 exec_lo, exec_lo, s18
.LBB212_1499:                           ;   in Loop: Header=BB212_1059 Depth=1
	s_or_b32 exec_lo, exec_lo, s17
.LBB212_1500:                           ;   in Loop: Header=BB212_1059 Depth=1
	s_or_b32 exec_lo, exec_lo, s15
	v_or_b32_e32 v6, v22, v20
	v_or_b32_e32 v7, v21, v19
	v_or_b32_e32 v8, v10, v23
	v_or_b32_e32 v10, v11, v24
	v_mul_f32_e32 v102, v118, v6
	v_mul_f32_e32 v101, v118, v7
	v_mul_f32_e32 v28, v118, v8
	v_mul_f32_e32 v127, v118, v10
	s_and_saveexec_b32 s15, vcc_lo
	s_cbranch_execz .LBB212_1502
; %bb.1501:                             ;   in Loop: Header=BB212_1059 Depth=1
	buffer_load_dword v6, off, s[0:3], s32 offset:200 ; 4-byte Folded Reload
	s_waitcnt vmcnt(0)
	v_cmp_lt_i32_e64 s4, v40, v6
	v_cndmask_b32_e64 v101, 0, v101, s4
	v_cmp_lt_i32_e64 s4, v43, v6
	v_cndmask_b32_e64 v102, 0, v102, s4
	;; [unrolled: 2-line block ×4, first 2 shown]
.LBB212_1502:                           ;   in Loop: Header=BB212_1059 Depth=1
	s_or_b32 exec_lo, exec_lo, s15
	flat_load_dword v6, v[0:1] offset:1664
	v_mov_b32_e32 v21, 0
	v_mov_b32_e32 v19, 0
	;; [unrolled: 1-line block ×4, first 2 shown]
	s_waitcnt vmcnt(0) lgkmcnt(0)
	v_cmp_ne_u16_sdwa s4, v6, v9 src0_sel:BYTE_0 src1_sel:DWORD
	s_and_saveexec_b32 s15, s4
	s_cbranch_execz .LBB212_1510
; %bb.1503:                             ;   in Loop: Header=BB212_1059 Depth=1
	v_bfrev_b32_e32 v19, 1
	v_mov_b32_e32 v20, 0
	v_cmp_ne_u16_sdwa s4, v6, v96 src0_sel:BYTE_0 src1_sel:DWORD
	s_and_saveexec_b32 s17, s4
	s_cbranch_execz .LBB212_1509
; %bb.1504:                             ;   in Loop: Header=BB212_1059 Depth=1
	v_mov_b32_e32 v19, 0x7f800001
	v_and_b32_e32 v10, 0x7f, v6
	v_mov_b32_e32 v20, 0
	s_mov_b32 s18, exec_lo
	v_cmpx_ne_u32_e32 0x7f, v10
	s_cbranch_execz .LBB212_1508
; %bb.1505:                             ;   in Loop: Header=BB212_1059 Depth=1
	v_and_b32_e32 v8, 7, v6
	v_lshrrev_b32_e32 v7, 3, v10
	s_mov_b32 s19, exec_lo
	v_cmpx_gt_u32_e32 8, v10
; %bb.1506:                             ;   in Loop: Header=BB212_1059 Depth=1
	v_ffbh_u32_e32 v7, v8
	v_min_u32_e32 v7, 32, v7
	v_subrev_nc_u32_e32 v10, 28, v7
	v_sub_nc_u32_e32 v7, 29, v7
	v_lshlrev_b64 v[10:11], v10, v[8:9]
	v_and_b32_e32 v8, 7, v10
; %bb.1507:                             ;   in Loop: Header=BB212_1059 Depth=1
	s_or_b32 exec_lo, exec_lo, s19
	v_lshlrev_b32_e32 v10, 24, v6
	v_lshlrev_b32_e32 v8, 20, v8
	v_lshl_add_u32 v7, v7, 23, 0x3c000000
	v_and_b32_e32 v10, 0x80000000, v10
	v_or3_b32 v8, v8, v10, v7
	v_mov_b32_e32 v20, v9
	v_mov_b32_e32 v19, v8
.LBB212_1508:                           ;   in Loop: Header=BB212_1059 Depth=1
	s_or_b32 exec_lo, exec_lo, s18
.LBB212_1509:                           ;   in Loop: Header=BB212_1059 Depth=1
	s_or_b32 exec_lo, exec_lo, s17
.LBB212_1510:                           ;   in Loop: Header=BB212_1059 Depth=1
	s_or_b32 exec_lo, exec_lo, s15
	v_cmp_ne_u16_sdwa s4, v6, v9 src0_sel:BYTE_1 src1_sel:DWORD
	s_and_saveexec_b32 s15, s4
	s_cbranch_execz .LBB212_1518
; %bb.1511:                             ;   in Loop: Header=BB212_1059 Depth=1
	v_mov_b32_e32 v11, v9
	v_mov_b32_e32 v22, v12
	v_cmp_ne_u16_sdwa s4, v6, v96 src0_sel:BYTE_1 src1_sel:DWORD
	v_mov_b32_e32 v21, v11
	s_and_saveexec_b32 s17, s4
	s_cbranch_execz .LBB212_1517
; %bb.1512:                             ;   in Loop: Header=BB212_1059 Depth=1
	v_mov_b32_e32 v7, 0xffff
	v_mov_b32_e32 v13, v9
	;; [unrolled: 1-line block ×3, first 2 shown]
	s_mov_b32 s18, exec_lo
	v_and_b32_sdwa v7, v7, v6 dst_sel:DWORD dst_unused:UNUSED_PAD src0_sel:DWORD src1_sel:BYTE_1
	v_mov_b32_e32 v21, v13
	v_and_b32_e32 v10, 0x7f, v7
	v_cmpx_ne_u32_e32 0x7f, v10
	s_cbranch_execz .LBB212_1516
; %bb.1513:                             ;   in Loop: Header=BB212_1059 Depth=1
	v_and_b32_e32 v8, 7, v7
	v_lshrrev_b32_e32 v7, 3, v10
	s_mov_b32 s19, exec_lo
	v_cmpx_gt_u32_e32 8, v10
; %bb.1514:                             ;   in Loop: Header=BB212_1059 Depth=1
	v_ffbh_u32_e32 v7, v8
	v_min_u32_e32 v7, 32, v7
	v_subrev_nc_u32_e32 v10, 28, v7
	v_sub_nc_u32_e32 v7, 29, v7
	v_lshlrev_b64 v[10:11], v10, v[8:9]
	v_and_b32_e32 v8, 7, v10
; %bb.1515:                             ;   in Loop: Header=BB212_1059 Depth=1
	s_or_b32 exec_lo, exec_lo, s19
	v_lshlrev_b32_e32 v10, 16, v6
	v_lshlrev_b32_e32 v8, 20, v8
	v_lshl_add_u32 v7, v7, 23, 0x3c000000
	v_mov_b32_e32 v21, v9
	v_and_b32_e32 v10, 0x80000000, v10
	v_or3_b32 v22, v8, v10, v7
.LBB212_1516:                           ;   in Loop: Header=BB212_1059 Depth=1
	s_or_b32 exec_lo, exec_lo, s18
.LBB212_1517:                           ;   in Loop: Header=BB212_1059 Depth=1
	s_or_b32 exec_lo, exec_lo, s17
.LBB212_1518:                           ;   in Loop: Header=BB212_1059 Depth=1
	s_or_b32 exec_lo, exec_lo, s15
	v_mov_b32_e32 v10, 0
	v_mov_b32_e32 v23, 0
	v_and_b32_sdwa v7, v6, v98 dst_sel:DWORD dst_unused:UNUSED_PAD src0_sel:WORD_1 src1_sel:DWORD
	v_mov_b32_e32 v11, 0
	v_mov_b32_e32 v24, 0
	s_mov_b32 s15, exec_lo
	v_cmpx_ne_u16_e32 0, v7
	s_cbranch_execz .LBB212_1526
; %bb.1519:                             ;   in Loop: Header=BB212_1059 Depth=1
	v_bfrev_b32_e32 v23, 1
	v_mov_b32_e32 v24, 0
	s_mov_b32 s17, exec_lo
	v_cmpx_ne_u16_e32 0x80, v7
	s_cbranch_execz .LBB212_1525
; %bb.1520:                             ;   in Loop: Header=BB212_1059 Depth=1
	v_mov_b32_e32 v23, 0x7f800001
	v_bfe_u32 v13, v6, 16, 7
	v_mov_b32_e32 v24, 0
	s_mov_b32 s18, exec_lo
	v_cmpx_ne_u32_e32 0x7f, v13
	s_cbranch_execz .LBB212_1524
; %bb.1521:                             ;   in Loop: Header=BB212_1059 Depth=1
	v_mov_b32_e32 v7, 7
	s_mov_b32 s19, exec_lo
	v_and_b32_sdwa v8, v6, v7 dst_sel:DWORD dst_unused:UNUSED_PAD src0_sel:WORD_1 src1_sel:DWORD
	v_lshrrev_b32_e32 v7, 3, v13
	v_cmpx_gt_u32_e32 8, v13
; %bb.1522:                             ;   in Loop: Header=BB212_1059 Depth=1
	v_ffbh_u32_e32 v7, v8
	v_min_u32_e32 v7, 32, v7
	v_subrev_nc_u32_e32 v13, 28, v7
	v_sub_nc_u32_e32 v7, 29, v7
	v_lshlrev_b64 v[23:24], v13, v[8:9]
	v_and_b32_e32 v8, 7, v23
; %bb.1523:                             ;   in Loop: Header=BB212_1059 Depth=1
	s_or_b32 exec_lo, exec_lo, s19
	v_mov_b32_e32 v13, 24
	v_lshlrev_b32_e32 v8, 20, v8
	v_lshl_add_u32 v7, v7, 23, 0x3c000000
	v_lshlrev_b32_sdwa v13, v13, v6 dst_sel:DWORD dst_unused:UNUSED_PAD src0_sel:DWORD src1_sel:WORD_1
	v_and_b32_e32 v13, 0x80000000, v13
	v_or3_b32 v8, v8, v13, v7
	v_mov_b32_e32 v24, v9
	v_mov_b32_e32 v23, v8
.LBB212_1524:                           ;   in Loop: Header=BB212_1059 Depth=1
	s_or_b32 exec_lo, exec_lo, s18
.LBB212_1525:                           ;   in Loop: Header=BB212_1059 Depth=1
	s_or_b32 exec_lo, exec_lo, s17
.LBB212_1526:                           ;   in Loop: Header=BB212_1059 Depth=1
	s_or_b32 exec_lo, exec_lo, s15
	s_mov_b32 s15, exec_lo
	v_cmpx_lt_u32_e32 0xffffff, v6
	s_cbranch_execz .LBB212_1534
; %bb.1527:                             ;   in Loop: Header=BB212_1059 Depth=1
	v_mov_b32_e32 v11, v9
	v_cmp_ne_u32_sdwa s4, v6, v96 src0_sel:BYTE_3 src1_sel:DWORD
	v_mov_b32_e32 v10, v11
	v_mov_b32_e32 v11, v12
	s_and_saveexec_b32 s17, s4
	s_cbranch_execz .LBB212_1533
; %bb.1528:                             ;   in Loop: Header=BB212_1059 Depth=1
	v_mov_b32_e32 v13, v9
	v_bfe_u32 v29, v6, 24, 7
	s_mov_b32 s18, exec_lo
	v_mov_b32_e32 v10, v13
	v_mov_b32_e32 v11, v14
	v_cmpx_ne_u32_e32 0x7f, v29
	s_cbranch_execz .LBB212_1532
; %bb.1529:                             ;   in Loop: Header=BB212_1059 Depth=1
	v_mov_b32_e32 v7, 7
	s_mov_b32 s19, exec_lo
	v_and_b32_sdwa v8, v6, v7 dst_sel:DWORD dst_unused:UNUSED_PAD src0_sel:BYTE_3 src1_sel:DWORD
	v_lshrrev_b32_e32 v7, 3, v29
	v_cmpx_gt_u32_e32 8, v29
; %bb.1530:                             ;   in Loop: Header=BB212_1059 Depth=1
	v_ffbh_u32_e32 v7, v8
	v_min_u32_e32 v7, 32, v7
	v_subrev_nc_u32_e32 v10, 28, v7
	v_sub_nc_u32_e32 v7, 29, v7
	v_lshlrev_b64 v[10:11], v10, v[8:9]
	v_and_b32_e32 v8, 7, v10
; %bb.1531:                             ;   in Loop: Header=BB212_1059 Depth=1
	s_or_b32 exec_lo, exec_lo, s19
	v_mov_b32_e32 v10, 24
	v_lshlrev_b32_e32 v8, 20, v8
	v_lshl_add_u32 v7, v7, 23, 0x3c000000
	v_lshlrev_b32_sdwa v6, v10, v6 dst_sel:DWORD dst_unused:UNUSED_PAD src0_sel:DWORD src1_sel:BYTE_3
	v_mov_b32_e32 v10, v9
	v_and_b32_e32 v6, 0x80000000, v6
	v_or3_b32 v11, v8, v6, v7
.LBB212_1532:                           ;   in Loop: Header=BB212_1059 Depth=1
	s_or_b32 exec_lo, exec_lo, s18
.LBB212_1533:                           ;   in Loop: Header=BB212_1059 Depth=1
	s_or_b32 exec_lo, exec_lo, s17
.LBB212_1534:                           ;   in Loop: Header=BB212_1059 Depth=1
	s_or_b32 exec_lo, exec_lo, s15
	v_or_b32_e32 v6, v22, v20
	v_or_b32_e32 v7, v21, v19
	;; [unrolled: 1-line block ×4, first 2 shown]
	v_mul_f32_e32 v113, v118, v6
	v_mul_f32_e32 v7, v118, v7
	;; [unrolled: 1-line block ×4, first 2 shown]
	s_and_saveexec_b32 s15, vcc_lo
	s_cbranch_execz .LBB212_1536
; %bb.1535:                             ;   in Loop: Header=BB212_1059 Depth=1
	buffer_load_dword v8, off, s[0:3], s32 offset:200 ; 4-byte Folded Reload
	s_waitcnt vmcnt(0)
	v_cmp_lt_i32_e64 s4, v40, v8
	v_cndmask_b32_e64 v7, 0, v7, s4
	v_cmp_lt_i32_e64 s4, v43, v8
	v_cndmask_b32_e64 v113, 0, v113, s4
	;; [unrolled: 2-line block ×4, first 2 shown]
.LBB212_1536:                           ;   in Loop: Header=BB212_1059 Depth=1
	s_or_b32 exec_lo, exec_lo, s15
	flat_load_dword v29, v[0:1] offset:1792
	v_mov_b32_e32 v21, 0
	v_mov_b32_e32 v19, 0
	;; [unrolled: 1-line block ×4, first 2 shown]
	s_waitcnt vmcnt(0) lgkmcnt(0)
	v_cmp_ne_u16_sdwa s4, v29, v9 src0_sel:BYTE_0 src1_sel:DWORD
	s_and_saveexec_b32 s15, s4
	s_cbranch_execz .LBB212_1544
; %bb.1537:                             ;   in Loop: Header=BB212_1059 Depth=1
	v_bfrev_b32_e32 v19, 1
	v_mov_b32_e32 v20, 0
	v_cmp_ne_u16_sdwa s4, v29, v96 src0_sel:BYTE_0 src1_sel:DWORD
	s_and_saveexec_b32 s17, s4
	s_cbranch_execz .LBB212_1543
; %bb.1538:                             ;   in Loop: Header=BB212_1059 Depth=1
	v_mov_b32_e32 v19, 0x7f800001
	v_and_b32_e32 v11, 0x7f, v29
	v_mov_b32_e32 v20, 0
	s_mov_b32 s18, exec_lo
	v_cmpx_ne_u32_e32 0x7f, v11
	s_cbranch_execz .LBB212_1542
; %bb.1539:                             ;   in Loop: Header=BB212_1059 Depth=1
	v_and_b32_e32 v8, 7, v29
	v_lshrrev_b32_e32 v10, 3, v11
	s_mov_b32 s19, exec_lo
	v_cmpx_gt_u32_e32 8, v11
; %bb.1540:                             ;   in Loop: Header=BB212_1059 Depth=1
	v_ffbh_u32_e32 v10, v8
	v_min_u32_e32 v10, 32, v10
	v_subrev_nc_u32_e32 v11, 28, v10
	v_sub_nc_u32_e32 v10, 29, v10
	v_lshlrev_b64 v[19:20], v11, v[8:9]
	v_and_b32_e32 v8, 7, v19
; %bb.1541:                             ;   in Loop: Header=BB212_1059 Depth=1
	s_or_b32 exec_lo, exec_lo, s19
	v_lshlrev_b32_e32 v11, 24, v29
	v_lshlrev_b32_e32 v8, 20, v8
	v_lshl_add_u32 v10, v10, 23, 0x3c000000
	v_and_b32_e32 v11, 0x80000000, v11
	v_or3_b32 v8, v8, v11, v10
	v_mov_b32_e32 v20, v9
	v_mov_b32_e32 v19, v8
.LBB212_1542:                           ;   in Loop: Header=BB212_1059 Depth=1
	s_or_b32 exec_lo, exec_lo, s18
.LBB212_1543:                           ;   in Loop: Header=BB212_1059 Depth=1
	s_or_b32 exec_lo, exec_lo, s17
.LBB212_1544:                           ;   in Loop: Header=BB212_1059 Depth=1
	s_or_b32 exec_lo, exec_lo, s15
	v_cmp_ne_u16_sdwa s4, v29, v9 src0_sel:BYTE_1 src1_sel:DWORD
	s_and_saveexec_b32 s15, s4
	s_cbranch_execz .LBB212_1552
; %bb.1545:                             ;   in Loop: Header=BB212_1059 Depth=1
	v_mov_b32_e32 v11, v9
	v_mov_b32_e32 v22, v12
	v_cmp_ne_u16_sdwa s4, v29, v96 src0_sel:BYTE_1 src1_sel:DWORD
	v_mov_b32_e32 v21, v11
	s_and_saveexec_b32 s17, s4
	s_cbranch_execz .LBB212_1551
; %bb.1546:                             ;   in Loop: Header=BB212_1059 Depth=1
	v_mov_b32_e32 v8, 0xffff
	v_mov_b32_e32 v13, v9
	;; [unrolled: 1-line block ×3, first 2 shown]
	s_mov_b32 s18, exec_lo
	v_and_b32_sdwa v8, v8, v29 dst_sel:DWORD dst_unused:UNUSED_PAD src0_sel:DWORD src1_sel:BYTE_1
	v_mov_b32_e32 v21, v13
	v_and_b32_e32 v11, 0x7f, v8
	v_cmpx_ne_u32_e32 0x7f, v11
	s_cbranch_execz .LBB212_1550
; %bb.1547:                             ;   in Loop: Header=BB212_1059 Depth=1
	v_and_b32_e32 v8, 7, v8
	v_lshrrev_b32_e32 v10, 3, v11
	s_mov_b32 s19, exec_lo
	v_cmpx_gt_u32_e32 8, v11
; %bb.1548:                             ;   in Loop: Header=BB212_1059 Depth=1
	v_ffbh_u32_e32 v10, v8
	v_min_u32_e32 v10, 32, v10
	v_subrev_nc_u32_e32 v11, 28, v10
	v_sub_nc_u32_e32 v10, 29, v10
	v_lshlrev_b64 v[21:22], v11, v[8:9]
	v_and_b32_e32 v8, 7, v21
; %bb.1549:                             ;   in Loop: Header=BB212_1059 Depth=1
	s_or_b32 exec_lo, exec_lo, s19
	v_lshlrev_b32_e32 v11, 16, v29
	v_lshlrev_b32_e32 v8, 20, v8
	v_lshl_add_u32 v10, v10, 23, 0x3c000000
	v_mov_b32_e32 v21, v9
	v_and_b32_e32 v11, 0x80000000, v11
	v_or3_b32 v22, v8, v11, v10
.LBB212_1550:                           ;   in Loop: Header=BB212_1059 Depth=1
	s_or_b32 exec_lo, exec_lo, s18
.LBB212_1551:                           ;   in Loop: Header=BB212_1059 Depth=1
	s_or_b32 exec_lo, exec_lo, s17
.LBB212_1552:                           ;   in Loop: Header=BB212_1059 Depth=1
	s_or_b32 exec_lo, exec_lo, s15
	v_mov_b32_e32 v10, 0
	v_mov_b32_e32 v23, 0
	v_and_b32_sdwa v8, v29, v98 dst_sel:DWORD dst_unused:UNUSED_PAD src0_sel:WORD_1 src1_sel:DWORD
	v_mov_b32_e32 v11, 0
	v_mov_b32_e32 v24, 0
	s_mov_b32 s15, exec_lo
	v_cmpx_ne_u16_e32 0, v8
	s_cbranch_execz .LBB212_1560
; %bb.1553:                             ;   in Loop: Header=BB212_1059 Depth=1
	v_bfrev_b32_e32 v23, 1
	v_mov_b32_e32 v24, 0
	s_mov_b32 s17, exec_lo
	v_cmpx_ne_u16_e32 0x80, v8
	s_cbranch_execz .LBB212_1559
; %bb.1554:                             ;   in Loop: Header=BB212_1059 Depth=1
	v_mov_b32_e32 v23, 0x7f800001
	v_bfe_u32 v30, v29, 16, 7
	v_mov_b32_e32 v24, 0
	s_mov_b32 s18, exec_lo
	v_cmpx_ne_u32_e32 0x7f, v30
	s_cbranch_execz .LBB212_1558
; %bb.1555:                             ;   in Loop: Header=BB212_1059 Depth=1
	v_mov_b32_e32 v8, 7
	v_lshrrev_b32_e32 v13, 3, v30
	s_mov_b32 s19, exec_lo
	v_and_b32_sdwa v8, v29, v8 dst_sel:DWORD dst_unused:UNUSED_PAD src0_sel:WORD_1 src1_sel:DWORD
	v_cmpx_gt_u32_e32 8, v30
; %bb.1556:                             ;   in Loop: Header=BB212_1059 Depth=1
	v_ffbh_u32_e32 v13, v8
	v_min_u32_e32 v13, 32, v13
	v_subrev_nc_u32_e32 v23, 28, v13
	v_sub_nc_u32_e32 v13, 29, v13
	v_lshlrev_b64 v[23:24], v23, v[8:9]
	v_and_b32_e32 v8, 7, v23
; %bb.1557:                             ;   in Loop: Header=BB212_1059 Depth=1
	s_or_b32 exec_lo, exec_lo, s19
	v_mov_b32_e32 v23, 24
	v_lshlrev_b32_e32 v8, 20, v8
	v_lshl_add_u32 v13, v13, 23, 0x3c000000
	v_lshlrev_b32_sdwa v23, v23, v29 dst_sel:DWORD dst_unused:UNUSED_PAD src0_sel:DWORD src1_sel:WORD_1
	v_and_b32_e32 v23, 0x80000000, v23
	v_or3_b32 v8, v8, v23, v13
	v_mov_b32_e32 v24, v9
	v_mov_b32_e32 v23, v8
.LBB212_1558:                           ;   in Loop: Header=BB212_1059 Depth=1
	s_or_b32 exec_lo, exec_lo, s18
.LBB212_1559:                           ;   in Loop: Header=BB212_1059 Depth=1
	s_or_b32 exec_lo, exec_lo, s17
.LBB212_1560:                           ;   in Loop: Header=BB212_1059 Depth=1
	s_or_b32 exec_lo, exec_lo, s15
	s_mov_b32 s15, exec_lo
	v_cmpx_lt_u32_e32 0xffffff, v29
	s_cbranch_execz .LBB212_1568
; %bb.1561:                             ;   in Loop: Header=BB212_1059 Depth=1
	v_mov_b32_e32 v11, v9
	v_cmp_ne_u32_sdwa s4, v29, v96 src0_sel:BYTE_3 src1_sel:DWORD
	v_mov_b32_e32 v10, v11
	v_mov_b32_e32 v11, v12
	s_and_saveexec_b32 s17, s4
	s_cbranch_execz .LBB212_1567
; %bb.1562:                             ;   in Loop: Header=BB212_1059 Depth=1
	v_mov_b32_e32 v13, v9
	v_bfe_u32 v30, v29, 24, 7
	s_mov_b32 s18, exec_lo
	v_mov_b32_e32 v10, v13
	v_mov_b32_e32 v11, v14
	v_cmpx_ne_u32_e32 0x7f, v30
	s_cbranch_execz .LBB212_1566
; %bb.1563:                             ;   in Loop: Header=BB212_1059 Depth=1
	v_mov_b32_e32 v8, 7
	v_lshrrev_b32_e32 v10, 3, v30
	s_mov_b32 s19, exec_lo
	v_and_b32_sdwa v8, v29, v8 dst_sel:DWORD dst_unused:UNUSED_PAD src0_sel:BYTE_3 src1_sel:DWORD
	v_cmpx_gt_u32_e32 8, v30
; %bb.1564:                             ;   in Loop: Header=BB212_1059 Depth=1
	v_ffbh_u32_e32 v10, v8
	v_min_u32_e32 v10, 32, v10
	v_subrev_nc_u32_e32 v11, 28, v10
	v_sub_nc_u32_e32 v10, 29, v10
	v_lshlrev_b64 v[30:31], v11, v[8:9]
	v_and_b32_e32 v8, 7, v30
; %bb.1565:                             ;   in Loop: Header=BB212_1059 Depth=1
	s_or_b32 exec_lo, exec_lo, s19
	v_mov_b32_e32 v11, 24
	v_lshlrev_b32_e32 v8, 20, v8
	v_lshl_add_u32 v10, v10, 23, 0x3c000000
	v_lshlrev_b32_sdwa v11, v11, v29 dst_sel:DWORD dst_unused:UNUSED_PAD src0_sel:DWORD src1_sel:BYTE_3
	v_and_b32_e32 v11, 0x80000000, v11
	v_or3_b32 v11, v8, v11, v10
	v_mov_b32_e32 v10, v9
.LBB212_1566:                           ;   in Loop: Header=BB212_1059 Depth=1
	s_or_b32 exec_lo, exec_lo, s18
.LBB212_1567:                           ;   in Loop: Header=BB212_1059 Depth=1
	s_or_b32 exec_lo, exec_lo, s17
.LBB212_1568:                           ;   in Loop: Header=BB212_1059 Depth=1
	s_or_b32 exec_lo, exec_lo, s15
	v_or_b32_e32 v8, v22, v20
	v_or_b32_e32 v13, v21, v19
	;; [unrolled: 1-line block ×4, first 2 shown]
	v_mul_f32_e32 v32, v118, v8
	v_mul_f32_e32 v31, v118, v13
	;; [unrolled: 1-line block ×4, first 2 shown]
	s_and_saveexec_b32 s15, vcc_lo
	s_cbranch_execz .LBB212_1570
; %bb.1569:                             ;   in Loop: Header=BB212_1059 Depth=1
	buffer_load_dword v8, off, s[0:3], s32 offset:200 ; 4-byte Folded Reload
	s_waitcnt vmcnt(0)
	v_cmp_lt_i32_e64 s4, v40, v8
	v_cndmask_b32_e64 v31, 0, v31, s4
	v_cmp_lt_i32_e64 s4, v43, v8
	v_cndmask_b32_e64 v32, 0, v32, s4
	;; [unrolled: 2-line block ×4, first 2 shown]
.LBB212_1570:                           ;   in Loop: Header=BB212_1059 Depth=1
	s_or_b32 exec_lo, exec_lo, s15
	flat_load_dword v33, v[0:1] offset:1920
	v_mov_b32_e32 v21, 0
	v_mov_b32_e32 v19, 0
	;; [unrolled: 1-line block ×4, first 2 shown]
	s_waitcnt vmcnt(0) lgkmcnt(0)
	v_cmp_ne_u16_sdwa s4, v33, v9 src0_sel:BYTE_0 src1_sel:DWORD
	s_and_saveexec_b32 s15, s4
	s_cbranch_execz .LBB212_1578
; %bb.1571:                             ;   in Loop: Header=BB212_1059 Depth=1
	v_bfrev_b32_e32 v19, 1
	v_mov_b32_e32 v20, 0
	v_cmp_ne_u16_sdwa s4, v33, v96 src0_sel:BYTE_0 src1_sel:DWORD
	s_and_saveexec_b32 s17, s4
	s_cbranch_execz .LBB212_1577
; %bb.1572:                             ;   in Loop: Header=BB212_1059 Depth=1
	v_mov_b32_e32 v19, 0x7f800001
	v_and_b32_e32 v11, 0x7f, v33
	v_mov_b32_e32 v20, 0
	s_mov_b32 s18, exec_lo
	v_cmpx_ne_u32_e32 0x7f, v11
	s_cbranch_execz .LBB212_1576
; %bb.1573:                             ;   in Loop: Header=BB212_1059 Depth=1
	v_and_b32_e32 v8, 7, v33
	v_lshrrev_b32_e32 v10, 3, v11
	s_mov_b32 s19, exec_lo
	v_cmpx_gt_u32_e32 8, v11
; %bb.1574:                             ;   in Loop: Header=BB212_1059 Depth=1
	v_ffbh_u32_e32 v10, v8
	v_min_u32_e32 v10, 32, v10
	v_subrev_nc_u32_e32 v11, 28, v10
	v_sub_nc_u32_e32 v10, 29, v10
	v_lshlrev_b64 v[19:20], v11, v[8:9]
	v_and_b32_e32 v8, 7, v19
; %bb.1575:                             ;   in Loop: Header=BB212_1059 Depth=1
	s_or_b32 exec_lo, exec_lo, s19
	v_lshlrev_b32_e32 v11, 24, v33
	v_lshlrev_b32_e32 v8, 20, v8
	v_lshl_add_u32 v10, v10, 23, 0x3c000000
	v_and_b32_e32 v11, 0x80000000, v11
	v_or3_b32 v8, v8, v11, v10
	v_mov_b32_e32 v20, v9
	v_mov_b32_e32 v19, v8
.LBB212_1576:                           ;   in Loop: Header=BB212_1059 Depth=1
	s_or_b32 exec_lo, exec_lo, s18
.LBB212_1577:                           ;   in Loop: Header=BB212_1059 Depth=1
	s_or_b32 exec_lo, exec_lo, s17
.LBB212_1578:                           ;   in Loop: Header=BB212_1059 Depth=1
	s_or_b32 exec_lo, exec_lo, s15
	v_cmp_ne_u16_sdwa s4, v33, v9 src0_sel:BYTE_1 src1_sel:DWORD
	s_and_saveexec_b32 s15, s4
	s_cbranch_execz .LBB212_1586
; %bb.1579:                             ;   in Loop: Header=BB212_1059 Depth=1
	v_mov_b32_e32 v11, v9
	v_mov_b32_e32 v22, v12
	v_cmp_ne_u16_sdwa s4, v33, v96 src0_sel:BYTE_1 src1_sel:DWORD
	v_mov_b32_e32 v21, v11
	s_and_saveexec_b32 s17, s4
	s_cbranch_execz .LBB212_1585
; %bb.1580:                             ;   in Loop: Header=BB212_1059 Depth=1
	v_mov_b32_e32 v8, 0xffff
	v_mov_b32_e32 v13, v9
	;; [unrolled: 1-line block ×3, first 2 shown]
	s_mov_b32 s18, exec_lo
	v_and_b32_sdwa v8, v8, v33 dst_sel:DWORD dst_unused:UNUSED_PAD src0_sel:DWORD src1_sel:BYTE_1
	v_mov_b32_e32 v21, v13
	v_and_b32_e32 v11, 0x7f, v8
	v_cmpx_ne_u32_e32 0x7f, v11
	s_cbranch_execz .LBB212_1584
; %bb.1581:                             ;   in Loop: Header=BB212_1059 Depth=1
	v_and_b32_e32 v8, 7, v8
	v_lshrrev_b32_e32 v10, 3, v11
	s_mov_b32 s19, exec_lo
	v_cmpx_gt_u32_e32 8, v11
; %bb.1582:                             ;   in Loop: Header=BB212_1059 Depth=1
	v_ffbh_u32_e32 v10, v8
	v_min_u32_e32 v10, 32, v10
	v_subrev_nc_u32_e32 v11, 28, v10
	v_sub_nc_u32_e32 v10, 29, v10
	v_lshlrev_b64 v[21:22], v11, v[8:9]
	v_and_b32_e32 v8, 7, v21
; %bb.1583:                             ;   in Loop: Header=BB212_1059 Depth=1
	s_or_b32 exec_lo, exec_lo, s19
	v_lshlrev_b32_e32 v11, 16, v33
	v_lshlrev_b32_e32 v8, 20, v8
	v_lshl_add_u32 v10, v10, 23, 0x3c000000
	v_mov_b32_e32 v21, v9
	v_and_b32_e32 v11, 0x80000000, v11
	v_or3_b32 v22, v8, v11, v10
.LBB212_1584:                           ;   in Loop: Header=BB212_1059 Depth=1
	s_or_b32 exec_lo, exec_lo, s18
.LBB212_1585:                           ;   in Loop: Header=BB212_1059 Depth=1
	s_or_b32 exec_lo, exec_lo, s17
.LBB212_1586:                           ;   in Loop: Header=BB212_1059 Depth=1
	s_or_b32 exec_lo, exec_lo, s15
	v_mov_b32_e32 v10, 0
	v_mov_b32_e32 v23, 0
	v_and_b32_sdwa v8, v33, v98 dst_sel:DWORD dst_unused:UNUSED_PAD src0_sel:WORD_1 src1_sel:DWORD
	v_mov_b32_e32 v11, 0
	v_mov_b32_e32 v24, 0
	s_mov_b32 s15, exec_lo
	v_cmpx_ne_u16_e32 0, v8
	s_cbranch_execz .LBB212_1594
; %bb.1587:                             ;   in Loop: Header=BB212_1059 Depth=1
	v_bfrev_b32_e32 v23, 1
	v_mov_b32_e32 v24, 0
	s_mov_b32 s17, exec_lo
	v_cmpx_ne_u16_e32 0x80, v8
	s_cbranch_execz .LBB212_1593
; %bb.1588:                             ;   in Loop: Header=BB212_1059 Depth=1
	v_mov_b32_e32 v23, 0x7f800001
	v_bfe_u32 v35, v33, 16, 7
	v_mov_b32_e32 v24, 0
	s_mov_b32 s18, exec_lo
	v_cmpx_ne_u32_e32 0x7f, v35
	s_cbranch_execz .LBB212_1592
; %bb.1589:                             ;   in Loop: Header=BB212_1059 Depth=1
	v_mov_b32_e32 v8, 7
	v_lshrrev_b32_e32 v13, 3, v35
	s_mov_b32 s19, exec_lo
	v_and_b32_sdwa v8, v33, v8 dst_sel:DWORD dst_unused:UNUSED_PAD src0_sel:WORD_1 src1_sel:DWORD
	v_cmpx_gt_u32_e32 8, v35
; %bb.1590:                             ;   in Loop: Header=BB212_1059 Depth=1
	v_ffbh_u32_e32 v13, v8
	v_min_u32_e32 v13, 32, v13
	v_subrev_nc_u32_e32 v23, 28, v13
	v_sub_nc_u32_e32 v13, 29, v13
	v_lshlrev_b64 v[23:24], v23, v[8:9]
	v_and_b32_e32 v8, 7, v23
; %bb.1591:                             ;   in Loop: Header=BB212_1059 Depth=1
	s_or_b32 exec_lo, exec_lo, s19
	v_mov_b32_e32 v23, 24
	v_lshlrev_b32_e32 v8, 20, v8
	v_lshl_add_u32 v13, v13, 23, 0x3c000000
	v_lshlrev_b32_sdwa v23, v23, v33 dst_sel:DWORD dst_unused:UNUSED_PAD src0_sel:DWORD src1_sel:WORD_1
	v_and_b32_e32 v23, 0x80000000, v23
	v_or3_b32 v8, v8, v23, v13
	v_mov_b32_e32 v24, v9
	v_mov_b32_e32 v23, v8
.LBB212_1592:                           ;   in Loop: Header=BB212_1059 Depth=1
	s_or_b32 exec_lo, exec_lo, s18
.LBB212_1593:                           ;   in Loop: Header=BB212_1059 Depth=1
	s_or_b32 exec_lo, exec_lo, s17
.LBB212_1594:                           ;   in Loop: Header=BB212_1059 Depth=1
	s_or_b32 exec_lo, exec_lo, s15
	s_mov_b32 s15, exec_lo
	v_cmpx_lt_u32_e32 0xffffff, v33
	s_cbranch_execz .LBB212_1602
; %bb.1595:                             ;   in Loop: Header=BB212_1059 Depth=1
	v_mov_b32_e32 v11, v9
	v_cmp_ne_u32_sdwa s4, v33, v96 src0_sel:BYTE_3 src1_sel:DWORD
	v_mov_b32_e32 v10, v11
	v_mov_b32_e32 v11, v12
	s_and_saveexec_b32 s17, s4
	s_cbranch_execz .LBB212_1601
; %bb.1596:                             ;   in Loop: Header=BB212_1059 Depth=1
	v_mov_b32_e32 v13, v9
	v_bfe_u32 v35, v33, 24, 7
	s_mov_b32 s18, exec_lo
	v_mov_b32_e32 v10, v13
	v_mov_b32_e32 v11, v14
	v_cmpx_ne_u32_e32 0x7f, v35
	s_cbranch_execz .LBB212_1600
; %bb.1597:                             ;   in Loop: Header=BB212_1059 Depth=1
	v_mov_b32_e32 v8, 7
	v_lshrrev_b32_e32 v10, 3, v35
	s_mov_b32 s19, exec_lo
	v_and_b32_sdwa v8, v33, v8 dst_sel:DWORD dst_unused:UNUSED_PAD src0_sel:BYTE_3 src1_sel:DWORD
	v_cmpx_gt_u32_e32 8, v35
; %bb.1598:                             ;   in Loop: Header=BB212_1059 Depth=1
	v_ffbh_u32_e32 v10, v8
	v_min_u32_e32 v10, 32, v10
	v_subrev_nc_u32_e32 v11, 28, v10
	v_sub_nc_u32_e32 v10, 29, v10
	v_lshlrev_b64 v[35:36], v11, v[8:9]
	v_and_b32_e32 v8, 7, v35
; %bb.1599:                             ;   in Loop: Header=BB212_1059 Depth=1
	s_or_b32 exec_lo, exec_lo, s19
	v_mov_b32_e32 v11, 24
	v_lshlrev_b32_e32 v8, 20, v8
	v_lshl_add_u32 v10, v10, 23, 0x3c000000
	v_lshlrev_b32_sdwa v11, v11, v33 dst_sel:DWORD dst_unused:UNUSED_PAD src0_sel:DWORD src1_sel:BYTE_3
	v_and_b32_e32 v11, 0x80000000, v11
	v_or3_b32 v11, v8, v11, v10
	v_mov_b32_e32 v10, v9
.LBB212_1600:                           ;   in Loop: Header=BB212_1059 Depth=1
	s_or_b32 exec_lo, exec_lo, s18
.LBB212_1601:                           ;   in Loop: Header=BB212_1059 Depth=1
	s_or_b32 exec_lo, exec_lo, s17
.LBB212_1602:                           ;   in Loop: Header=BB212_1059 Depth=1
	s_or_b32 exec_lo, exec_lo, s15
	v_or_b32_e32 v8, v22, v20
	v_or_b32_e32 v13, v21, v19
	;; [unrolled: 1-line block ×4, first 2 shown]
	v_mul_f32_e32 v38, v118, v8
	v_mul_f32_e32 v37, v118, v13
	;; [unrolled: 1-line block ×4, first 2 shown]
	s_and_saveexec_b32 s15, vcc_lo
	s_cbranch_execz .LBB212_1604
; %bb.1603:                             ;   in Loop: Header=BB212_1059 Depth=1
	buffer_load_dword v8, off, s[0:3], s32 offset:200 ; 4-byte Folded Reload
	s_waitcnt vmcnt(0)
	v_cmp_lt_i32_e64 s4, v40, v8
	v_cndmask_b32_e64 v37, 0, v37, s4
	v_cmp_lt_i32_e64 s4, v43, v8
	v_cndmask_b32_e64 v38, 0, v38, s4
	v_cmp_lt_i32_e64 s4, v42, v8
	v_cndmask_b32_e64 v36, 0, v36, s4
	v_cmp_lt_i32_e64 s4, v41, v8
	v_cndmask_b32_e64 v33, 0, v33, s4
.LBB212_1604:                           ;   in Loop: Header=BB212_1059 Depth=1
	s_or_b32 exec_lo, exec_lo, s15
	v_add_co_u32 v0, s4, 0x800, v0
	v_add_co_ci_u32_e64 v1, null, 0, v1, s4
	v_mov_b32_e32 v21, 0
	v_mov_b32_e32 v19, 0
	v_mov_b32_e32 v22, 0
	flat_load_dword v35, v[0:1]
	v_mov_b32_e32 v20, 0
	s_waitcnt vmcnt(0) lgkmcnt(0)
	v_cmp_ne_u16_sdwa s4, v35, v9 src0_sel:BYTE_0 src1_sel:DWORD
	s_and_saveexec_b32 s15, s4
	s_cbranch_execz .LBB212_1612
; %bb.1605:                             ;   in Loop: Header=BB212_1059 Depth=1
	v_bfrev_b32_e32 v19, 1
	v_mov_b32_e32 v20, 0
	v_cmp_ne_u16_sdwa s4, v35, v96 src0_sel:BYTE_0 src1_sel:DWORD
	s_and_saveexec_b32 s17, s4
	s_cbranch_execz .LBB212_1611
; %bb.1606:                             ;   in Loop: Header=BB212_1059 Depth=1
	v_mov_b32_e32 v19, 0x7f800001
	v_and_b32_e32 v11, 0x7f, v35
	v_mov_b32_e32 v20, 0
	s_mov_b32 s18, exec_lo
	v_cmpx_ne_u32_e32 0x7f, v11
	s_cbranch_execz .LBB212_1610
; %bb.1607:                             ;   in Loop: Header=BB212_1059 Depth=1
	v_and_b32_e32 v8, 7, v35
	v_lshrrev_b32_e32 v10, 3, v11
	s_mov_b32 s19, exec_lo
	v_cmpx_gt_u32_e32 8, v11
; %bb.1608:                             ;   in Loop: Header=BB212_1059 Depth=1
	v_ffbh_u32_e32 v10, v8
	v_min_u32_e32 v10, 32, v10
	v_subrev_nc_u32_e32 v11, 28, v10
	v_sub_nc_u32_e32 v10, 29, v10
	v_lshlrev_b64 v[19:20], v11, v[8:9]
	v_and_b32_e32 v8, 7, v19
; %bb.1609:                             ;   in Loop: Header=BB212_1059 Depth=1
	s_or_b32 exec_lo, exec_lo, s19
	v_lshlrev_b32_e32 v11, 24, v35
	v_lshlrev_b32_e32 v8, 20, v8
	v_lshl_add_u32 v10, v10, 23, 0x3c000000
	v_and_b32_e32 v11, 0x80000000, v11
	v_or3_b32 v8, v8, v11, v10
	v_mov_b32_e32 v20, v9
	v_mov_b32_e32 v19, v8
.LBB212_1610:                           ;   in Loop: Header=BB212_1059 Depth=1
	s_or_b32 exec_lo, exec_lo, s18
.LBB212_1611:                           ;   in Loop: Header=BB212_1059 Depth=1
	s_or_b32 exec_lo, exec_lo, s17
.LBB212_1612:                           ;   in Loop: Header=BB212_1059 Depth=1
	s_or_b32 exec_lo, exec_lo, s15
	v_cmp_ne_u16_sdwa s4, v35, v9 src0_sel:BYTE_1 src1_sel:DWORD
	s_and_saveexec_b32 s15, s4
	s_cbranch_execz .LBB212_1620
; %bb.1613:                             ;   in Loop: Header=BB212_1059 Depth=1
	v_mov_b32_e32 v11, v9
	v_mov_b32_e32 v22, v12
	v_cmp_ne_u16_sdwa s4, v35, v96 src0_sel:BYTE_1 src1_sel:DWORD
	v_mov_b32_e32 v21, v11
	s_and_saveexec_b32 s17, s4
	s_cbranch_execz .LBB212_1619
; %bb.1614:                             ;   in Loop: Header=BB212_1059 Depth=1
	v_mov_b32_e32 v8, 0xffff
	v_mov_b32_e32 v13, v9
	;; [unrolled: 1-line block ×3, first 2 shown]
	s_mov_b32 s18, exec_lo
	v_and_b32_sdwa v8, v8, v35 dst_sel:DWORD dst_unused:UNUSED_PAD src0_sel:DWORD src1_sel:BYTE_1
	v_mov_b32_e32 v21, v13
	v_and_b32_e32 v11, 0x7f, v8
	v_cmpx_ne_u32_e32 0x7f, v11
	s_cbranch_execz .LBB212_1618
; %bb.1615:                             ;   in Loop: Header=BB212_1059 Depth=1
	v_and_b32_e32 v8, 7, v8
	v_lshrrev_b32_e32 v10, 3, v11
	s_mov_b32 s19, exec_lo
	v_cmpx_gt_u32_e32 8, v11
; %bb.1616:                             ;   in Loop: Header=BB212_1059 Depth=1
	v_ffbh_u32_e32 v10, v8
	v_min_u32_e32 v10, 32, v10
	v_subrev_nc_u32_e32 v11, 28, v10
	v_sub_nc_u32_e32 v10, 29, v10
	v_lshlrev_b64 v[21:22], v11, v[8:9]
	v_and_b32_e32 v8, 7, v21
; %bb.1617:                             ;   in Loop: Header=BB212_1059 Depth=1
	s_or_b32 exec_lo, exec_lo, s19
	v_lshlrev_b32_e32 v11, 16, v35
	v_lshlrev_b32_e32 v8, 20, v8
	v_lshl_add_u32 v10, v10, 23, 0x3c000000
	v_mov_b32_e32 v21, v9
	v_and_b32_e32 v11, 0x80000000, v11
	v_or3_b32 v22, v8, v11, v10
.LBB212_1618:                           ;   in Loop: Header=BB212_1059 Depth=1
	s_or_b32 exec_lo, exec_lo, s18
.LBB212_1619:                           ;   in Loop: Header=BB212_1059 Depth=1
	s_or_b32 exec_lo, exec_lo, s17
.LBB212_1620:                           ;   in Loop: Header=BB212_1059 Depth=1
	s_or_b32 exec_lo, exec_lo, s15
	v_mov_b32_e32 v10, 0
	v_mov_b32_e32 v23, 0
	v_and_b32_sdwa v8, v35, v98 dst_sel:DWORD dst_unused:UNUSED_PAD src0_sel:WORD_1 src1_sel:DWORD
	v_mov_b32_e32 v11, 0
	v_mov_b32_e32 v24, 0
	s_mov_b32 s15, exec_lo
	v_cmpx_ne_u16_e32 0, v8
	s_cbranch_execz .LBB212_1628
; %bb.1621:                             ;   in Loop: Header=BB212_1059 Depth=1
	v_bfrev_b32_e32 v23, 1
	v_mov_b32_e32 v24, 0
	s_mov_b32 s17, exec_lo
	v_cmpx_ne_u16_e32 0x80, v8
	s_cbranch_execz .LBB212_1627
; %bb.1622:                             ;   in Loop: Header=BB212_1059 Depth=1
	v_mov_b32_e32 v23, 0x7f800001
	v_bfe_u32 v39, v35, 16, 7
	v_mov_b32_e32 v24, 0
	s_mov_b32 s18, exec_lo
	v_cmpx_ne_u32_e32 0x7f, v39
	s_cbranch_execz .LBB212_1626
; %bb.1623:                             ;   in Loop: Header=BB212_1059 Depth=1
	v_mov_b32_e32 v8, 7
	v_lshrrev_b32_e32 v13, 3, v39
	s_mov_b32 s19, exec_lo
	v_and_b32_sdwa v8, v35, v8 dst_sel:DWORD dst_unused:UNUSED_PAD src0_sel:WORD_1 src1_sel:DWORD
	v_cmpx_gt_u32_e32 8, v39
; %bb.1624:                             ;   in Loop: Header=BB212_1059 Depth=1
	v_ffbh_u32_e32 v13, v8
	v_min_u32_e32 v13, 32, v13
	v_subrev_nc_u32_e32 v23, 28, v13
	v_sub_nc_u32_e32 v13, 29, v13
	v_lshlrev_b64 v[23:24], v23, v[8:9]
	v_and_b32_e32 v8, 7, v23
; %bb.1625:                             ;   in Loop: Header=BB212_1059 Depth=1
	s_or_b32 exec_lo, exec_lo, s19
	v_mov_b32_e32 v23, 24
	v_lshlrev_b32_e32 v8, 20, v8
	v_lshl_add_u32 v13, v13, 23, 0x3c000000
	v_lshlrev_b32_sdwa v23, v23, v35 dst_sel:DWORD dst_unused:UNUSED_PAD src0_sel:DWORD src1_sel:WORD_1
	v_and_b32_e32 v23, 0x80000000, v23
	v_or3_b32 v8, v8, v23, v13
	v_mov_b32_e32 v24, v9
	v_mov_b32_e32 v23, v8
.LBB212_1626:                           ;   in Loop: Header=BB212_1059 Depth=1
	s_or_b32 exec_lo, exec_lo, s18
.LBB212_1627:                           ;   in Loop: Header=BB212_1059 Depth=1
	s_or_b32 exec_lo, exec_lo, s17
.LBB212_1628:                           ;   in Loop: Header=BB212_1059 Depth=1
	s_or_b32 exec_lo, exec_lo, s15
	s_mov_b32 s15, exec_lo
	v_cmpx_lt_u32_e32 0xffffff, v35
	s_cbranch_execz .LBB212_1636
; %bb.1629:                             ;   in Loop: Header=BB212_1059 Depth=1
	v_mov_b32_e32 v11, v9
	v_cmp_ne_u32_sdwa s4, v35, v96 src0_sel:BYTE_3 src1_sel:DWORD
	v_mov_b32_e32 v10, v11
	v_mov_b32_e32 v11, v12
	s_and_saveexec_b32 s17, s4
	s_cbranch_execz .LBB212_1635
; %bb.1630:                             ;   in Loop: Header=BB212_1059 Depth=1
	v_mov_b32_e32 v13, v9
	v_bfe_u32 v39, v35, 24, 7
	s_mov_b32 s18, exec_lo
	v_mov_b32_e32 v10, v13
	v_mov_b32_e32 v11, v14
	v_cmpx_ne_u32_e32 0x7f, v39
	s_cbranch_execz .LBB212_1634
; %bb.1631:                             ;   in Loop: Header=BB212_1059 Depth=1
	v_mov_b32_e32 v8, 7
	v_lshrrev_b32_e32 v10, 3, v39
	s_mov_b32 s19, exec_lo
	v_and_b32_sdwa v8, v35, v8 dst_sel:DWORD dst_unused:UNUSED_PAD src0_sel:BYTE_3 src1_sel:DWORD
	v_cmpx_gt_u32_e32 8, v39
; %bb.1632:                             ;   in Loop: Header=BB212_1059 Depth=1
	v_ffbh_u32_e32 v10, v8
	v_min_u32_e32 v10, 32, v10
	v_subrev_nc_u32_e32 v11, 28, v10
	v_sub_nc_u32_e32 v10, 29, v10
	v_lshlrev_b64 v[48:49], v11, v[8:9]
	v_and_b32_e32 v8, 7, v48
; %bb.1633:                             ;   in Loop: Header=BB212_1059 Depth=1
	s_or_b32 exec_lo, exec_lo, s19
	v_mov_b32_e32 v11, 24
	v_lshlrev_b32_e32 v8, 20, v8
	v_lshl_add_u32 v10, v10, 23, 0x3c000000
	v_lshlrev_b32_sdwa v11, v11, v35 dst_sel:DWORD dst_unused:UNUSED_PAD src0_sel:DWORD src1_sel:BYTE_3
	v_and_b32_e32 v11, 0x80000000, v11
	v_or3_b32 v11, v8, v11, v10
	v_mov_b32_e32 v10, v9
.LBB212_1634:                           ;   in Loop: Header=BB212_1059 Depth=1
	s_or_b32 exec_lo, exec_lo, s18
.LBB212_1635:                           ;   in Loop: Header=BB212_1059 Depth=1
	s_or_b32 exec_lo, exec_lo, s17
.LBB212_1636:                           ;   in Loop: Header=BB212_1059 Depth=1
	s_or_b32 exec_lo, exec_lo, s15
	v_or_b32_e32 v8, v22, v20
	v_or_b32_e32 v13, v21, v19
	;; [unrolled: 1-line block ×4, first 2 shown]
	v_mul_f32_e32 v50, v118, v8
	v_mul_f32_e32 v49, v118, v13
	;; [unrolled: 1-line block ×4, first 2 shown]
	s_and_saveexec_b32 s15, vcc_lo
	s_cbranch_execz .LBB212_1638
; %bb.1637:                             ;   in Loop: Header=BB212_1059 Depth=1
	buffer_load_dword v8, off, s[0:3], s32 offset:200 ; 4-byte Folded Reload
	s_waitcnt vmcnt(0)
	v_cmp_lt_i32_e64 s4, v40, v8
	v_cndmask_b32_e64 v49, 0, v49, s4
	v_cmp_lt_i32_e64 s4, v43, v8
	v_cndmask_b32_e64 v50, 0, v50, s4
	;; [unrolled: 2-line block ×4, first 2 shown]
.LBB212_1638:                           ;   in Loop: Header=BB212_1059 Depth=1
	s_or_b32 exec_lo, exec_lo, s15
	flat_load_dword v35, v[0:1] offset:128
	v_mov_b32_e32 v21, 0
	v_mov_b32_e32 v19, 0
	;; [unrolled: 1-line block ×4, first 2 shown]
	s_waitcnt vmcnt(0) lgkmcnt(0)
	v_cmp_ne_u16_sdwa s4, v35, v9 src0_sel:BYTE_0 src1_sel:DWORD
	s_and_saveexec_b32 s15, s4
	s_cbranch_execz .LBB212_1646
; %bb.1639:                             ;   in Loop: Header=BB212_1059 Depth=1
	v_bfrev_b32_e32 v19, 1
	v_mov_b32_e32 v20, 0
	v_cmp_ne_u16_sdwa s4, v35, v96 src0_sel:BYTE_0 src1_sel:DWORD
	s_and_saveexec_b32 s17, s4
	s_cbranch_execz .LBB212_1645
; %bb.1640:                             ;   in Loop: Header=BB212_1059 Depth=1
	v_mov_b32_e32 v19, 0x7f800001
	v_and_b32_e32 v11, 0x7f, v35
	v_mov_b32_e32 v20, 0
	s_mov_b32 s18, exec_lo
	v_cmpx_ne_u32_e32 0x7f, v11
	s_cbranch_execz .LBB212_1644
; %bb.1641:                             ;   in Loop: Header=BB212_1059 Depth=1
	v_and_b32_e32 v8, 7, v35
	v_lshrrev_b32_e32 v10, 3, v11
	s_mov_b32 s19, exec_lo
	v_cmpx_gt_u32_e32 8, v11
; %bb.1642:                             ;   in Loop: Header=BB212_1059 Depth=1
	v_ffbh_u32_e32 v10, v8
	v_min_u32_e32 v10, 32, v10
	v_subrev_nc_u32_e32 v11, 28, v10
	v_sub_nc_u32_e32 v10, 29, v10
	v_lshlrev_b64 v[19:20], v11, v[8:9]
	v_and_b32_e32 v8, 7, v19
; %bb.1643:                             ;   in Loop: Header=BB212_1059 Depth=1
	s_or_b32 exec_lo, exec_lo, s19
	v_lshlrev_b32_e32 v11, 24, v35
	v_lshlrev_b32_e32 v8, 20, v8
	v_lshl_add_u32 v10, v10, 23, 0x3c000000
	v_and_b32_e32 v11, 0x80000000, v11
	v_or3_b32 v8, v8, v11, v10
	v_mov_b32_e32 v20, v9
	v_mov_b32_e32 v19, v8
.LBB212_1644:                           ;   in Loop: Header=BB212_1059 Depth=1
	s_or_b32 exec_lo, exec_lo, s18
.LBB212_1645:                           ;   in Loop: Header=BB212_1059 Depth=1
	s_or_b32 exec_lo, exec_lo, s17
.LBB212_1646:                           ;   in Loop: Header=BB212_1059 Depth=1
	s_or_b32 exec_lo, exec_lo, s15
	v_cmp_ne_u16_sdwa s4, v35, v9 src0_sel:BYTE_1 src1_sel:DWORD
	s_and_saveexec_b32 s15, s4
	s_cbranch_execz .LBB212_1654
; %bb.1647:                             ;   in Loop: Header=BB212_1059 Depth=1
	v_mov_b32_e32 v11, v9
	v_mov_b32_e32 v22, v12
	v_cmp_ne_u16_sdwa s4, v35, v96 src0_sel:BYTE_1 src1_sel:DWORD
	v_mov_b32_e32 v21, v11
	s_and_saveexec_b32 s17, s4
	s_cbranch_execz .LBB212_1653
; %bb.1648:                             ;   in Loop: Header=BB212_1059 Depth=1
	v_mov_b32_e32 v8, 0xffff
	v_mov_b32_e32 v13, v9
	;; [unrolled: 1-line block ×3, first 2 shown]
	s_mov_b32 s18, exec_lo
	v_and_b32_sdwa v8, v8, v35 dst_sel:DWORD dst_unused:UNUSED_PAD src0_sel:DWORD src1_sel:BYTE_1
	v_mov_b32_e32 v21, v13
	v_and_b32_e32 v11, 0x7f, v8
	v_cmpx_ne_u32_e32 0x7f, v11
	s_cbranch_execz .LBB212_1652
; %bb.1649:                             ;   in Loop: Header=BB212_1059 Depth=1
	v_and_b32_e32 v8, 7, v8
	v_lshrrev_b32_e32 v10, 3, v11
	s_mov_b32 s19, exec_lo
	v_cmpx_gt_u32_e32 8, v11
; %bb.1650:                             ;   in Loop: Header=BB212_1059 Depth=1
	v_ffbh_u32_e32 v10, v8
	v_min_u32_e32 v10, 32, v10
	v_subrev_nc_u32_e32 v11, 28, v10
	v_sub_nc_u32_e32 v10, 29, v10
	v_lshlrev_b64 v[21:22], v11, v[8:9]
	v_and_b32_e32 v8, 7, v21
; %bb.1651:                             ;   in Loop: Header=BB212_1059 Depth=1
	s_or_b32 exec_lo, exec_lo, s19
	v_lshlrev_b32_e32 v11, 16, v35
	v_lshlrev_b32_e32 v8, 20, v8
	v_lshl_add_u32 v10, v10, 23, 0x3c000000
	v_mov_b32_e32 v21, v9
	v_and_b32_e32 v11, 0x80000000, v11
	v_or3_b32 v22, v8, v11, v10
.LBB212_1652:                           ;   in Loop: Header=BB212_1059 Depth=1
	s_or_b32 exec_lo, exec_lo, s18
.LBB212_1653:                           ;   in Loop: Header=BB212_1059 Depth=1
	s_or_b32 exec_lo, exec_lo, s17
.LBB212_1654:                           ;   in Loop: Header=BB212_1059 Depth=1
	s_or_b32 exec_lo, exec_lo, s15
	v_mov_b32_e32 v10, 0
	v_mov_b32_e32 v23, 0
	v_and_b32_sdwa v8, v35, v98 dst_sel:DWORD dst_unused:UNUSED_PAD src0_sel:WORD_1 src1_sel:DWORD
	v_mov_b32_e32 v11, 0
	v_mov_b32_e32 v24, 0
	s_mov_b32 s15, exec_lo
	v_cmpx_ne_u16_e32 0, v8
	s_cbranch_execz .LBB212_1662
; %bb.1655:                             ;   in Loop: Header=BB212_1059 Depth=1
	v_bfrev_b32_e32 v23, 1
	v_mov_b32_e32 v24, 0
	s_mov_b32 s17, exec_lo
	v_cmpx_ne_u16_e32 0x80, v8
	s_cbranch_execz .LBB212_1661
; %bb.1656:                             ;   in Loop: Header=BB212_1059 Depth=1
	v_mov_b32_e32 v23, 0x7f800001
	v_bfe_u32 v51, v35, 16, 7
	v_mov_b32_e32 v24, 0
	s_mov_b32 s18, exec_lo
	v_cmpx_ne_u32_e32 0x7f, v51
	s_cbranch_execz .LBB212_1660
; %bb.1657:                             ;   in Loop: Header=BB212_1059 Depth=1
	v_mov_b32_e32 v8, 7
	v_lshrrev_b32_e32 v13, 3, v51
	s_mov_b32 s19, exec_lo
	v_and_b32_sdwa v8, v35, v8 dst_sel:DWORD dst_unused:UNUSED_PAD src0_sel:WORD_1 src1_sel:DWORD
	v_cmpx_gt_u32_e32 8, v51
; %bb.1658:                             ;   in Loop: Header=BB212_1059 Depth=1
	v_ffbh_u32_e32 v13, v8
	v_min_u32_e32 v13, 32, v13
	v_subrev_nc_u32_e32 v23, 28, v13
	v_sub_nc_u32_e32 v13, 29, v13
	v_lshlrev_b64 v[23:24], v23, v[8:9]
	v_and_b32_e32 v8, 7, v23
; %bb.1659:                             ;   in Loop: Header=BB212_1059 Depth=1
	s_or_b32 exec_lo, exec_lo, s19
	v_mov_b32_e32 v23, 24
	v_lshlrev_b32_e32 v8, 20, v8
	v_lshl_add_u32 v13, v13, 23, 0x3c000000
	v_lshlrev_b32_sdwa v23, v23, v35 dst_sel:DWORD dst_unused:UNUSED_PAD src0_sel:DWORD src1_sel:WORD_1
	v_and_b32_e32 v23, 0x80000000, v23
	v_or3_b32 v8, v8, v23, v13
	v_mov_b32_e32 v24, v9
	v_mov_b32_e32 v23, v8
.LBB212_1660:                           ;   in Loop: Header=BB212_1059 Depth=1
	s_or_b32 exec_lo, exec_lo, s18
.LBB212_1661:                           ;   in Loop: Header=BB212_1059 Depth=1
	s_or_b32 exec_lo, exec_lo, s17
.LBB212_1662:                           ;   in Loop: Header=BB212_1059 Depth=1
	s_or_b32 exec_lo, exec_lo, s15
	s_mov_b32 s15, exec_lo
	v_cmpx_lt_u32_e32 0xffffff, v35
	s_cbranch_execz .LBB212_1670
; %bb.1663:                             ;   in Loop: Header=BB212_1059 Depth=1
	v_mov_b32_e32 v11, v9
	v_cmp_ne_u32_sdwa s4, v35, v96 src0_sel:BYTE_3 src1_sel:DWORD
	v_mov_b32_e32 v10, v11
	v_mov_b32_e32 v11, v12
	s_and_saveexec_b32 s17, s4
	s_cbranch_execz .LBB212_1669
; %bb.1664:                             ;   in Loop: Header=BB212_1059 Depth=1
	v_mov_b32_e32 v13, v9
	v_bfe_u32 v51, v35, 24, 7
	s_mov_b32 s18, exec_lo
	v_mov_b32_e32 v10, v13
	v_mov_b32_e32 v11, v14
	v_cmpx_ne_u32_e32 0x7f, v51
	s_cbranch_execz .LBB212_1668
; %bb.1665:                             ;   in Loop: Header=BB212_1059 Depth=1
	v_mov_b32_e32 v8, 7
	v_lshrrev_b32_e32 v10, 3, v51
	s_mov_b32 s19, exec_lo
	v_and_b32_sdwa v8, v35, v8 dst_sel:DWORD dst_unused:UNUSED_PAD src0_sel:BYTE_3 src1_sel:DWORD
	v_cmpx_gt_u32_e32 8, v51
; %bb.1666:                             ;   in Loop: Header=BB212_1059 Depth=1
	v_ffbh_u32_e32 v10, v8
	v_min_u32_e32 v10, 32, v10
	v_subrev_nc_u32_e32 v11, 28, v10
	v_sub_nc_u32_e32 v10, 29, v10
	v_lshlrev_b64 v[51:52], v11, v[8:9]
	v_and_b32_e32 v8, 7, v51
; %bb.1667:                             ;   in Loop: Header=BB212_1059 Depth=1
	s_or_b32 exec_lo, exec_lo, s19
	v_mov_b32_e32 v11, 24
	v_lshlrev_b32_e32 v8, 20, v8
	v_lshl_add_u32 v10, v10, 23, 0x3c000000
	v_lshlrev_b32_sdwa v11, v11, v35 dst_sel:DWORD dst_unused:UNUSED_PAD src0_sel:DWORD src1_sel:BYTE_3
	v_and_b32_e32 v11, 0x80000000, v11
	v_or3_b32 v11, v8, v11, v10
	v_mov_b32_e32 v10, v9
.LBB212_1668:                           ;   in Loop: Header=BB212_1059 Depth=1
	s_or_b32 exec_lo, exec_lo, s18
.LBB212_1669:                           ;   in Loop: Header=BB212_1059 Depth=1
	s_or_b32 exec_lo, exec_lo, s17
.LBB212_1670:                           ;   in Loop: Header=BB212_1059 Depth=1
	s_or_b32 exec_lo, exec_lo, s15
	v_or_b32_e32 v8, v22, v20
	v_or_b32_e32 v13, v21, v19
	;; [unrolled: 1-line block ×4, first 2 shown]
	v_mul_f32_e32 v54, v118, v8
	v_mul_f32_e32 v53, v118, v13
	;; [unrolled: 1-line block ×4, first 2 shown]
	s_and_saveexec_b32 s15, vcc_lo
	s_cbranch_execz .LBB212_1672
; %bb.1671:                             ;   in Loop: Header=BB212_1059 Depth=1
	buffer_load_dword v8, off, s[0:3], s32 offset:200 ; 4-byte Folded Reload
	s_waitcnt vmcnt(0)
	v_cmp_lt_i32_e64 s4, v40, v8
	v_cndmask_b32_e64 v53, 0, v53, s4
	v_cmp_lt_i32_e64 s4, v43, v8
	v_cndmask_b32_e64 v54, 0, v54, s4
	;; [unrolled: 2-line block ×4, first 2 shown]
.LBB212_1672:                           ;   in Loop: Header=BB212_1059 Depth=1
	s_or_b32 exec_lo, exec_lo, s15
	flat_load_dword v35, v[0:1] offset:256
	v_mov_b32_e32 v21, 0
	v_mov_b32_e32 v19, 0
	;; [unrolled: 1-line block ×4, first 2 shown]
	s_waitcnt vmcnt(0) lgkmcnt(0)
	v_cmp_ne_u16_sdwa s4, v35, v9 src0_sel:BYTE_0 src1_sel:DWORD
	s_and_saveexec_b32 s15, s4
	s_cbranch_execz .LBB212_1680
; %bb.1673:                             ;   in Loop: Header=BB212_1059 Depth=1
	v_bfrev_b32_e32 v19, 1
	v_mov_b32_e32 v20, 0
	v_cmp_ne_u16_sdwa s4, v35, v96 src0_sel:BYTE_0 src1_sel:DWORD
	s_and_saveexec_b32 s17, s4
	s_cbranch_execz .LBB212_1679
; %bb.1674:                             ;   in Loop: Header=BB212_1059 Depth=1
	v_mov_b32_e32 v19, 0x7f800001
	v_and_b32_e32 v11, 0x7f, v35
	v_mov_b32_e32 v20, 0
	s_mov_b32 s18, exec_lo
	v_cmpx_ne_u32_e32 0x7f, v11
	s_cbranch_execz .LBB212_1678
; %bb.1675:                             ;   in Loop: Header=BB212_1059 Depth=1
	v_and_b32_e32 v8, 7, v35
	v_lshrrev_b32_e32 v10, 3, v11
	s_mov_b32 s19, exec_lo
	v_cmpx_gt_u32_e32 8, v11
; %bb.1676:                             ;   in Loop: Header=BB212_1059 Depth=1
	v_ffbh_u32_e32 v10, v8
	v_min_u32_e32 v10, 32, v10
	v_subrev_nc_u32_e32 v11, 28, v10
	v_sub_nc_u32_e32 v10, 29, v10
	v_lshlrev_b64 v[19:20], v11, v[8:9]
	v_and_b32_e32 v8, 7, v19
; %bb.1677:                             ;   in Loop: Header=BB212_1059 Depth=1
	s_or_b32 exec_lo, exec_lo, s19
	v_lshlrev_b32_e32 v11, 24, v35
	v_lshlrev_b32_e32 v8, 20, v8
	v_lshl_add_u32 v10, v10, 23, 0x3c000000
	v_and_b32_e32 v11, 0x80000000, v11
	v_or3_b32 v8, v8, v11, v10
	v_mov_b32_e32 v20, v9
	v_mov_b32_e32 v19, v8
.LBB212_1678:                           ;   in Loop: Header=BB212_1059 Depth=1
	s_or_b32 exec_lo, exec_lo, s18
.LBB212_1679:                           ;   in Loop: Header=BB212_1059 Depth=1
	s_or_b32 exec_lo, exec_lo, s17
.LBB212_1680:                           ;   in Loop: Header=BB212_1059 Depth=1
	s_or_b32 exec_lo, exec_lo, s15
	v_cmp_ne_u16_sdwa s4, v35, v9 src0_sel:BYTE_1 src1_sel:DWORD
	s_and_saveexec_b32 s15, s4
	s_cbranch_execz .LBB212_1688
; %bb.1681:                             ;   in Loop: Header=BB212_1059 Depth=1
	v_mov_b32_e32 v11, v9
	v_mov_b32_e32 v22, v12
	v_cmp_ne_u16_sdwa s4, v35, v96 src0_sel:BYTE_1 src1_sel:DWORD
	v_mov_b32_e32 v21, v11
	s_and_saveexec_b32 s17, s4
	s_cbranch_execz .LBB212_1687
; %bb.1682:                             ;   in Loop: Header=BB212_1059 Depth=1
	v_mov_b32_e32 v8, 0xffff
	v_mov_b32_e32 v13, v9
	;; [unrolled: 1-line block ×3, first 2 shown]
	s_mov_b32 s18, exec_lo
	v_and_b32_sdwa v8, v8, v35 dst_sel:DWORD dst_unused:UNUSED_PAD src0_sel:DWORD src1_sel:BYTE_1
	v_mov_b32_e32 v21, v13
	v_and_b32_e32 v11, 0x7f, v8
	v_cmpx_ne_u32_e32 0x7f, v11
	s_cbranch_execz .LBB212_1686
; %bb.1683:                             ;   in Loop: Header=BB212_1059 Depth=1
	v_and_b32_e32 v8, 7, v8
	v_lshrrev_b32_e32 v10, 3, v11
	s_mov_b32 s19, exec_lo
	v_cmpx_gt_u32_e32 8, v11
; %bb.1684:                             ;   in Loop: Header=BB212_1059 Depth=1
	v_ffbh_u32_e32 v10, v8
	v_min_u32_e32 v10, 32, v10
	v_subrev_nc_u32_e32 v11, 28, v10
	v_sub_nc_u32_e32 v10, 29, v10
	v_lshlrev_b64 v[21:22], v11, v[8:9]
	v_and_b32_e32 v8, 7, v21
; %bb.1685:                             ;   in Loop: Header=BB212_1059 Depth=1
	s_or_b32 exec_lo, exec_lo, s19
	v_lshlrev_b32_e32 v11, 16, v35
	v_lshlrev_b32_e32 v8, 20, v8
	v_lshl_add_u32 v10, v10, 23, 0x3c000000
	v_mov_b32_e32 v21, v9
	v_and_b32_e32 v11, 0x80000000, v11
	v_or3_b32 v22, v8, v11, v10
.LBB212_1686:                           ;   in Loop: Header=BB212_1059 Depth=1
	s_or_b32 exec_lo, exec_lo, s18
.LBB212_1687:                           ;   in Loop: Header=BB212_1059 Depth=1
	s_or_b32 exec_lo, exec_lo, s17
.LBB212_1688:                           ;   in Loop: Header=BB212_1059 Depth=1
	s_or_b32 exec_lo, exec_lo, s15
	v_mov_b32_e32 v10, 0
	v_mov_b32_e32 v23, 0
	v_and_b32_sdwa v8, v35, v98 dst_sel:DWORD dst_unused:UNUSED_PAD src0_sel:WORD_1 src1_sel:DWORD
	v_mov_b32_e32 v11, 0
	v_mov_b32_e32 v24, 0
	s_mov_b32 s15, exec_lo
	v_cmpx_ne_u16_e32 0, v8
	s_cbranch_execz .LBB212_1696
; %bb.1689:                             ;   in Loop: Header=BB212_1059 Depth=1
	v_bfrev_b32_e32 v23, 1
	v_mov_b32_e32 v24, 0
	s_mov_b32 s17, exec_lo
	v_cmpx_ne_u16_e32 0x80, v8
	s_cbranch_execz .LBB212_1695
; %bb.1690:                             ;   in Loop: Header=BB212_1059 Depth=1
	v_mov_b32_e32 v23, 0x7f800001
	v_bfe_u32 v55, v35, 16, 7
	v_mov_b32_e32 v24, 0
	s_mov_b32 s18, exec_lo
	v_cmpx_ne_u32_e32 0x7f, v55
	s_cbranch_execz .LBB212_1694
; %bb.1691:                             ;   in Loop: Header=BB212_1059 Depth=1
	v_mov_b32_e32 v8, 7
	v_lshrrev_b32_e32 v13, 3, v55
	s_mov_b32 s19, exec_lo
	v_and_b32_sdwa v8, v35, v8 dst_sel:DWORD dst_unused:UNUSED_PAD src0_sel:WORD_1 src1_sel:DWORD
	v_cmpx_gt_u32_e32 8, v55
; %bb.1692:                             ;   in Loop: Header=BB212_1059 Depth=1
	v_ffbh_u32_e32 v13, v8
	v_min_u32_e32 v13, 32, v13
	v_subrev_nc_u32_e32 v23, 28, v13
	v_sub_nc_u32_e32 v13, 29, v13
	v_lshlrev_b64 v[23:24], v23, v[8:9]
	v_and_b32_e32 v8, 7, v23
; %bb.1693:                             ;   in Loop: Header=BB212_1059 Depth=1
	s_or_b32 exec_lo, exec_lo, s19
	v_mov_b32_e32 v23, 24
	v_lshlrev_b32_e32 v8, 20, v8
	v_lshl_add_u32 v13, v13, 23, 0x3c000000
	v_lshlrev_b32_sdwa v23, v23, v35 dst_sel:DWORD dst_unused:UNUSED_PAD src0_sel:DWORD src1_sel:WORD_1
	v_and_b32_e32 v23, 0x80000000, v23
	v_or3_b32 v8, v8, v23, v13
	v_mov_b32_e32 v24, v9
	v_mov_b32_e32 v23, v8
.LBB212_1694:                           ;   in Loop: Header=BB212_1059 Depth=1
	s_or_b32 exec_lo, exec_lo, s18
.LBB212_1695:                           ;   in Loop: Header=BB212_1059 Depth=1
	s_or_b32 exec_lo, exec_lo, s17
.LBB212_1696:                           ;   in Loop: Header=BB212_1059 Depth=1
	s_or_b32 exec_lo, exec_lo, s15
	s_mov_b32 s15, exec_lo
	v_cmpx_lt_u32_e32 0xffffff, v35
	s_cbranch_execz .LBB212_1704
; %bb.1697:                             ;   in Loop: Header=BB212_1059 Depth=1
	v_mov_b32_e32 v11, v9
	v_cmp_ne_u32_sdwa s4, v35, v96 src0_sel:BYTE_3 src1_sel:DWORD
	v_mov_b32_e32 v10, v11
	v_mov_b32_e32 v11, v12
	s_and_saveexec_b32 s17, s4
	s_cbranch_execz .LBB212_1703
; %bb.1698:                             ;   in Loop: Header=BB212_1059 Depth=1
	v_mov_b32_e32 v13, v9
	v_bfe_u32 v55, v35, 24, 7
	s_mov_b32 s18, exec_lo
	v_mov_b32_e32 v10, v13
	v_mov_b32_e32 v11, v14
	v_cmpx_ne_u32_e32 0x7f, v55
	s_cbranch_execz .LBB212_1702
; %bb.1699:                             ;   in Loop: Header=BB212_1059 Depth=1
	v_mov_b32_e32 v8, 7
	v_lshrrev_b32_e32 v10, 3, v55
	s_mov_b32 s19, exec_lo
	v_and_b32_sdwa v8, v35, v8 dst_sel:DWORD dst_unused:UNUSED_PAD src0_sel:BYTE_3 src1_sel:DWORD
	v_cmpx_gt_u32_e32 8, v55
; %bb.1700:                             ;   in Loop: Header=BB212_1059 Depth=1
	v_ffbh_u32_e32 v10, v8
	v_min_u32_e32 v10, 32, v10
	v_subrev_nc_u32_e32 v11, 28, v10
	v_sub_nc_u32_e32 v10, 29, v10
	v_lshlrev_b64 v[64:65], v11, v[8:9]
	v_and_b32_e32 v8, 7, v64
; %bb.1701:                             ;   in Loop: Header=BB212_1059 Depth=1
	s_or_b32 exec_lo, exec_lo, s19
	v_mov_b32_e32 v11, 24
	v_lshlrev_b32_e32 v8, 20, v8
	v_lshl_add_u32 v10, v10, 23, 0x3c000000
	v_lshlrev_b32_sdwa v11, v11, v35 dst_sel:DWORD dst_unused:UNUSED_PAD src0_sel:DWORD src1_sel:BYTE_3
	v_and_b32_e32 v11, 0x80000000, v11
	v_or3_b32 v11, v8, v11, v10
	v_mov_b32_e32 v10, v9
.LBB212_1702:                           ;   in Loop: Header=BB212_1059 Depth=1
	s_or_b32 exec_lo, exec_lo, s18
.LBB212_1703:                           ;   in Loop: Header=BB212_1059 Depth=1
	s_or_b32 exec_lo, exec_lo, s17
.LBB212_1704:                           ;   in Loop: Header=BB212_1059 Depth=1
	s_or_b32 exec_lo, exec_lo, s15
	v_or_b32_e32 v8, v22, v20
	v_or_b32_e32 v13, v21, v19
	;; [unrolled: 1-line block ×4, first 2 shown]
	v_mul_f32_e32 v66, v118, v8
	v_mul_f32_e32 v65, v118, v13
	;; [unrolled: 1-line block ×4, first 2 shown]
	s_and_saveexec_b32 s15, vcc_lo
	s_cbranch_execz .LBB212_1706
; %bb.1705:                             ;   in Loop: Header=BB212_1059 Depth=1
	buffer_load_dword v8, off, s[0:3], s32 offset:200 ; 4-byte Folded Reload
	s_waitcnt vmcnt(0)
	v_cmp_lt_i32_e64 s4, v40, v8
	v_cndmask_b32_e64 v65, 0, v65, s4
	v_cmp_lt_i32_e64 s4, v43, v8
	v_cndmask_b32_e64 v66, 0, v66, s4
	;; [unrolled: 2-line block ×4, first 2 shown]
.LBB212_1706:                           ;   in Loop: Header=BB212_1059 Depth=1
	s_or_b32 exec_lo, exec_lo, s15
	flat_load_dword v35, v[0:1] offset:384
	v_mov_b32_e32 v21, 0
	v_mov_b32_e32 v19, 0
	;; [unrolled: 1-line block ×4, first 2 shown]
	s_waitcnt vmcnt(0) lgkmcnt(0)
	v_cmp_ne_u16_sdwa s4, v35, v9 src0_sel:BYTE_0 src1_sel:DWORD
	s_and_saveexec_b32 s15, s4
	s_cbranch_execz .LBB212_1714
; %bb.1707:                             ;   in Loop: Header=BB212_1059 Depth=1
	v_bfrev_b32_e32 v19, 1
	v_mov_b32_e32 v20, 0
	v_cmp_ne_u16_sdwa s4, v35, v96 src0_sel:BYTE_0 src1_sel:DWORD
	s_and_saveexec_b32 s17, s4
	s_cbranch_execz .LBB212_1713
; %bb.1708:                             ;   in Loop: Header=BB212_1059 Depth=1
	v_mov_b32_e32 v19, 0x7f800001
	v_and_b32_e32 v11, 0x7f, v35
	v_mov_b32_e32 v20, 0
	s_mov_b32 s18, exec_lo
	v_cmpx_ne_u32_e32 0x7f, v11
	s_cbranch_execz .LBB212_1712
; %bb.1709:                             ;   in Loop: Header=BB212_1059 Depth=1
	v_and_b32_e32 v8, 7, v35
	v_lshrrev_b32_e32 v10, 3, v11
	s_mov_b32 s19, exec_lo
	v_cmpx_gt_u32_e32 8, v11
; %bb.1710:                             ;   in Loop: Header=BB212_1059 Depth=1
	v_ffbh_u32_e32 v10, v8
	v_min_u32_e32 v10, 32, v10
	v_subrev_nc_u32_e32 v11, 28, v10
	v_sub_nc_u32_e32 v10, 29, v10
	v_lshlrev_b64 v[19:20], v11, v[8:9]
	v_and_b32_e32 v8, 7, v19
; %bb.1711:                             ;   in Loop: Header=BB212_1059 Depth=1
	s_or_b32 exec_lo, exec_lo, s19
	v_lshlrev_b32_e32 v11, 24, v35
	v_lshlrev_b32_e32 v8, 20, v8
	v_lshl_add_u32 v10, v10, 23, 0x3c000000
	v_and_b32_e32 v11, 0x80000000, v11
	v_or3_b32 v8, v8, v11, v10
	v_mov_b32_e32 v20, v9
	v_mov_b32_e32 v19, v8
.LBB212_1712:                           ;   in Loop: Header=BB212_1059 Depth=1
	s_or_b32 exec_lo, exec_lo, s18
.LBB212_1713:                           ;   in Loop: Header=BB212_1059 Depth=1
	s_or_b32 exec_lo, exec_lo, s17
.LBB212_1714:                           ;   in Loop: Header=BB212_1059 Depth=1
	s_or_b32 exec_lo, exec_lo, s15
	v_cmp_ne_u16_sdwa s4, v35, v9 src0_sel:BYTE_1 src1_sel:DWORD
	s_and_saveexec_b32 s15, s4
	s_cbranch_execz .LBB212_1722
; %bb.1715:                             ;   in Loop: Header=BB212_1059 Depth=1
	v_mov_b32_e32 v11, v9
	v_mov_b32_e32 v22, v12
	v_cmp_ne_u16_sdwa s4, v35, v96 src0_sel:BYTE_1 src1_sel:DWORD
	v_mov_b32_e32 v21, v11
	s_and_saveexec_b32 s17, s4
	s_cbranch_execz .LBB212_1721
; %bb.1716:                             ;   in Loop: Header=BB212_1059 Depth=1
	v_mov_b32_e32 v8, 0xffff
	v_mov_b32_e32 v13, v9
	;; [unrolled: 1-line block ×3, first 2 shown]
	s_mov_b32 s18, exec_lo
	v_and_b32_sdwa v8, v8, v35 dst_sel:DWORD dst_unused:UNUSED_PAD src0_sel:DWORD src1_sel:BYTE_1
	v_mov_b32_e32 v21, v13
	v_and_b32_e32 v11, 0x7f, v8
	v_cmpx_ne_u32_e32 0x7f, v11
	s_cbranch_execz .LBB212_1720
; %bb.1717:                             ;   in Loop: Header=BB212_1059 Depth=1
	v_and_b32_e32 v8, 7, v8
	v_lshrrev_b32_e32 v10, 3, v11
	s_mov_b32 s19, exec_lo
	v_cmpx_gt_u32_e32 8, v11
; %bb.1718:                             ;   in Loop: Header=BB212_1059 Depth=1
	v_ffbh_u32_e32 v10, v8
	v_min_u32_e32 v10, 32, v10
	v_subrev_nc_u32_e32 v11, 28, v10
	v_sub_nc_u32_e32 v10, 29, v10
	v_lshlrev_b64 v[21:22], v11, v[8:9]
	v_and_b32_e32 v8, 7, v21
; %bb.1719:                             ;   in Loop: Header=BB212_1059 Depth=1
	s_or_b32 exec_lo, exec_lo, s19
	v_lshlrev_b32_e32 v11, 16, v35
	v_lshlrev_b32_e32 v8, 20, v8
	v_lshl_add_u32 v10, v10, 23, 0x3c000000
	v_mov_b32_e32 v21, v9
	v_and_b32_e32 v11, 0x80000000, v11
	v_or3_b32 v22, v8, v11, v10
.LBB212_1720:                           ;   in Loop: Header=BB212_1059 Depth=1
	s_or_b32 exec_lo, exec_lo, s18
.LBB212_1721:                           ;   in Loop: Header=BB212_1059 Depth=1
	s_or_b32 exec_lo, exec_lo, s17
.LBB212_1722:                           ;   in Loop: Header=BB212_1059 Depth=1
	s_or_b32 exec_lo, exec_lo, s15
	v_mov_b32_e32 v10, 0
	v_mov_b32_e32 v23, 0
	v_and_b32_sdwa v8, v35, v98 dst_sel:DWORD dst_unused:UNUSED_PAD src0_sel:WORD_1 src1_sel:DWORD
	v_mov_b32_e32 v11, 0
	v_mov_b32_e32 v24, 0
	s_mov_b32 s15, exec_lo
	v_cmpx_ne_u16_e32 0, v8
	s_cbranch_execz .LBB212_1730
; %bb.1723:                             ;   in Loop: Header=BB212_1059 Depth=1
	v_bfrev_b32_e32 v23, 1
	v_mov_b32_e32 v24, 0
	s_mov_b32 s17, exec_lo
	v_cmpx_ne_u16_e32 0x80, v8
	s_cbranch_execz .LBB212_1729
; %bb.1724:                             ;   in Loop: Header=BB212_1059 Depth=1
	v_mov_b32_e32 v23, 0x7f800001
	v_bfe_u32 v67, v35, 16, 7
	v_mov_b32_e32 v24, 0
	s_mov_b32 s18, exec_lo
	v_cmpx_ne_u32_e32 0x7f, v67
	s_cbranch_execz .LBB212_1728
; %bb.1725:                             ;   in Loop: Header=BB212_1059 Depth=1
	v_mov_b32_e32 v8, 7
	v_lshrrev_b32_e32 v13, 3, v67
	s_mov_b32 s19, exec_lo
	v_and_b32_sdwa v8, v35, v8 dst_sel:DWORD dst_unused:UNUSED_PAD src0_sel:WORD_1 src1_sel:DWORD
	v_cmpx_gt_u32_e32 8, v67
; %bb.1726:                             ;   in Loop: Header=BB212_1059 Depth=1
	v_ffbh_u32_e32 v13, v8
	v_min_u32_e32 v13, 32, v13
	v_subrev_nc_u32_e32 v23, 28, v13
	v_sub_nc_u32_e32 v13, 29, v13
	v_lshlrev_b64 v[23:24], v23, v[8:9]
	v_and_b32_e32 v8, 7, v23
; %bb.1727:                             ;   in Loop: Header=BB212_1059 Depth=1
	s_or_b32 exec_lo, exec_lo, s19
	v_mov_b32_e32 v23, 24
	v_lshlrev_b32_e32 v8, 20, v8
	v_lshl_add_u32 v13, v13, 23, 0x3c000000
	v_lshlrev_b32_sdwa v23, v23, v35 dst_sel:DWORD dst_unused:UNUSED_PAD src0_sel:DWORD src1_sel:WORD_1
	v_and_b32_e32 v23, 0x80000000, v23
	v_or3_b32 v8, v8, v23, v13
	v_mov_b32_e32 v24, v9
	v_mov_b32_e32 v23, v8
.LBB212_1728:                           ;   in Loop: Header=BB212_1059 Depth=1
	s_or_b32 exec_lo, exec_lo, s18
.LBB212_1729:                           ;   in Loop: Header=BB212_1059 Depth=1
	s_or_b32 exec_lo, exec_lo, s17
.LBB212_1730:                           ;   in Loop: Header=BB212_1059 Depth=1
	s_or_b32 exec_lo, exec_lo, s15
	s_mov_b32 s15, exec_lo
	v_cmpx_lt_u32_e32 0xffffff, v35
	s_cbranch_execz .LBB212_1738
; %bb.1731:                             ;   in Loop: Header=BB212_1059 Depth=1
	v_mov_b32_e32 v11, v9
	v_cmp_ne_u32_sdwa s4, v35, v96 src0_sel:BYTE_3 src1_sel:DWORD
	v_mov_b32_e32 v10, v11
	v_mov_b32_e32 v11, v12
	s_and_saveexec_b32 s17, s4
	s_cbranch_execz .LBB212_1737
; %bb.1732:                             ;   in Loop: Header=BB212_1059 Depth=1
	v_mov_b32_e32 v13, v9
	v_bfe_u32 v67, v35, 24, 7
	s_mov_b32 s18, exec_lo
	v_mov_b32_e32 v10, v13
	v_mov_b32_e32 v11, v14
	v_cmpx_ne_u32_e32 0x7f, v67
	s_cbranch_execz .LBB212_1736
; %bb.1733:                             ;   in Loop: Header=BB212_1059 Depth=1
	v_mov_b32_e32 v8, 7
	v_lshrrev_b32_e32 v10, 3, v67
	s_mov_b32 s19, exec_lo
	v_and_b32_sdwa v8, v35, v8 dst_sel:DWORD dst_unused:UNUSED_PAD src0_sel:BYTE_3 src1_sel:DWORD
	v_cmpx_gt_u32_e32 8, v67
; %bb.1734:                             ;   in Loop: Header=BB212_1059 Depth=1
	v_ffbh_u32_e32 v10, v8
	v_min_u32_e32 v10, 32, v10
	v_subrev_nc_u32_e32 v11, 28, v10
	v_sub_nc_u32_e32 v10, 29, v10
	v_lshlrev_b64 v[67:68], v11, v[8:9]
	v_and_b32_e32 v8, 7, v67
; %bb.1735:                             ;   in Loop: Header=BB212_1059 Depth=1
	s_or_b32 exec_lo, exec_lo, s19
	v_mov_b32_e32 v11, 24
	v_lshlrev_b32_e32 v8, 20, v8
	v_lshl_add_u32 v10, v10, 23, 0x3c000000
	v_lshlrev_b32_sdwa v11, v11, v35 dst_sel:DWORD dst_unused:UNUSED_PAD src0_sel:DWORD src1_sel:BYTE_3
	v_and_b32_e32 v11, 0x80000000, v11
	v_or3_b32 v11, v8, v11, v10
	v_mov_b32_e32 v10, v9
.LBB212_1736:                           ;   in Loop: Header=BB212_1059 Depth=1
	s_or_b32 exec_lo, exec_lo, s18
.LBB212_1737:                           ;   in Loop: Header=BB212_1059 Depth=1
	s_or_b32 exec_lo, exec_lo, s17
.LBB212_1738:                           ;   in Loop: Header=BB212_1059 Depth=1
	s_or_b32 exec_lo, exec_lo, s15
	v_or_b32_e32 v8, v22, v20
	v_or_b32_e32 v13, v21, v19
	;; [unrolled: 1-line block ×4, first 2 shown]
	v_mul_f32_e32 v70, v118, v8
	v_mul_f32_e32 v69, v118, v13
	;; [unrolled: 1-line block ×4, first 2 shown]
	s_and_saveexec_b32 s15, vcc_lo
	s_cbranch_execz .LBB212_1740
; %bb.1739:                             ;   in Loop: Header=BB212_1059 Depth=1
	buffer_load_dword v8, off, s[0:3], s32 offset:200 ; 4-byte Folded Reload
	s_waitcnt vmcnt(0)
	v_cmp_lt_i32_e64 s4, v40, v8
	v_cndmask_b32_e64 v69, 0, v69, s4
	v_cmp_lt_i32_e64 s4, v43, v8
	v_cndmask_b32_e64 v70, 0, v70, s4
	;; [unrolled: 2-line block ×4, first 2 shown]
.LBB212_1740:                           ;   in Loop: Header=BB212_1059 Depth=1
	s_or_b32 exec_lo, exec_lo, s15
	flat_load_dword v35, v[0:1] offset:512
	v_mov_b32_e32 v21, 0
	v_mov_b32_e32 v19, 0
	v_mov_b32_e32 v22, 0
	v_mov_b32_e32 v20, 0
	s_waitcnt vmcnt(0) lgkmcnt(0)
	v_cmp_ne_u16_sdwa s4, v35, v9 src0_sel:BYTE_0 src1_sel:DWORD
	s_and_saveexec_b32 s15, s4
	s_cbranch_execz .LBB212_1748
; %bb.1741:                             ;   in Loop: Header=BB212_1059 Depth=1
	v_bfrev_b32_e32 v19, 1
	v_mov_b32_e32 v20, 0
	v_cmp_ne_u16_sdwa s4, v35, v96 src0_sel:BYTE_0 src1_sel:DWORD
	s_and_saveexec_b32 s17, s4
	s_cbranch_execz .LBB212_1747
; %bb.1742:                             ;   in Loop: Header=BB212_1059 Depth=1
	v_mov_b32_e32 v19, 0x7f800001
	v_and_b32_e32 v11, 0x7f, v35
	v_mov_b32_e32 v20, 0
	s_mov_b32 s18, exec_lo
	v_cmpx_ne_u32_e32 0x7f, v11
	s_cbranch_execz .LBB212_1746
; %bb.1743:                             ;   in Loop: Header=BB212_1059 Depth=1
	v_and_b32_e32 v8, 7, v35
	v_lshrrev_b32_e32 v10, 3, v11
	s_mov_b32 s19, exec_lo
	v_cmpx_gt_u32_e32 8, v11
; %bb.1744:                             ;   in Loop: Header=BB212_1059 Depth=1
	v_ffbh_u32_e32 v10, v8
	v_min_u32_e32 v10, 32, v10
	v_subrev_nc_u32_e32 v11, 28, v10
	v_sub_nc_u32_e32 v10, 29, v10
	v_lshlrev_b64 v[19:20], v11, v[8:9]
	v_and_b32_e32 v8, 7, v19
; %bb.1745:                             ;   in Loop: Header=BB212_1059 Depth=1
	s_or_b32 exec_lo, exec_lo, s19
	v_lshlrev_b32_e32 v11, 24, v35
	v_lshlrev_b32_e32 v8, 20, v8
	v_lshl_add_u32 v10, v10, 23, 0x3c000000
	v_and_b32_e32 v11, 0x80000000, v11
	v_or3_b32 v8, v8, v11, v10
	v_mov_b32_e32 v20, v9
	v_mov_b32_e32 v19, v8
.LBB212_1746:                           ;   in Loop: Header=BB212_1059 Depth=1
	s_or_b32 exec_lo, exec_lo, s18
.LBB212_1747:                           ;   in Loop: Header=BB212_1059 Depth=1
	s_or_b32 exec_lo, exec_lo, s17
.LBB212_1748:                           ;   in Loop: Header=BB212_1059 Depth=1
	s_or_b32 exec_lo, exec_lo, s15
	v_cmp_ne_u16_sdwa s4, v35, v9 src0_sel:BYTE_1 src1_sel:DWORD
	s_and_saveexec_b32 s15, s4
	s_cbranch_execz .LBB212_1756
; %bb.1749:                             ;   in Loop: Header=BB212_1059 Depth=1
	v_mov_b32_e32 v11, v9
	v_mov_b32_e32 v22, v12
	v_cmp_ne_u16_sdwa s4, v35, v96 src0_sel:BYTE_1 src1_sel:DWORD
	v_mov_b32_e32 v21, v11
	s_and_saveexec_b32 s17, s4
	s_cbranch_execz .LBB212_1755
; %bb.1750:                             ;   in Loop: Header=BB212_1059 Depth=1
	v_mov_b32_e32 v8, 0xffff
	v_mov_b32_e32 v13, v9
	;; [unrolled: 1-line block ×3, first 2 shown]
	s_mov_b32 s18, exec_lo
	v_and_b32_sdwa v8, v8, v35 dst_sel:DWORD dst_unused:UNUSED_PAD src0_sel:DWORD src1_sel:BYTE_1
	v_mov_b32_e32 v21, v13
	v_and_b32_e32 v11, 0x7f, v8
	v_cmpx_ne_u32_e32 0x7f, v11
	s_cbranch_execz .LBB212_1754
; %bb.1751:                             ;   in Loop: Header=BB212_1059 Depth=1
	v_and_b32_e32 v8, 7, v8
	v_lshrrev_b32_e32 v10, 3, v11
	s_mov_b32 s19, exec_lo
	v_cmpx_gt_u32_e32 8, v11
; %bb.1752:                             ;   in Loop: Header=BB212_1059 Depth=1
	v_ffbh_u32_e32 v10, v8
	v_min_u32_e32 v10, 32, v10
	v_subrev_nc_u32_e32 v11, 28, v10
	v_sub_nc_u32_e32 v10, 29, v10
	v_lshlrev_b64 v[21:22], v11, v[8:9]
	v_and_b32_e32 v8, 7, v21
; %bb.1753:                             ;   in Loop: Header=BB212_1059 Depth=1
	s_or_b32 exec_lo, exec_lo, s19
	v_lshlrev_b32_e32 v11, 16, v35
	v_lshlrev_b32_e32 v8, 20, v8
	v_lshl_add_u32 v10, v10, 23, 0x3c000000
	v_mov_b32_e32 v21, v9
	v_and_b32_e32 v11, 0x80000000, v11
	v_or3_b32 v22, v8, v11, v10
.LBB212_1754:                           ;   in Loop: Header=BB212_1059 Depth=1
	s_or_b32 exec_lo, exec_lo, s18
.LBB212_1755:                           ;   in Loop: Header=BB212_1059 Depth=1
	s_or_b32 exec_lo, exec_lo, s17
.LBB212_1756:                           ;   in Loop: Header=BB212_1059 Depth=1
	s_or_b32 exec_lo, exec_lo, s15
	v_mov_b32_e32 v10, 0
	v_mov_b32_e32 v23, 0
	v_and_b32_sdwa v8, v35, v98 dst_sel:DWORD dst_unused:UNUSED_PAD src0_sel:WORD_1 src1_sel:DWORD
	v_mov_b32_e32 v11, 0
	v_mov_b32_e32 v24, 0
	s_mov_b32 s15, exec_lo
	v_cmpx_ne_u16_e32 0, v8
	s_cbranch_execz .LBB212_1764
; %bb.1757:                             ;   in Loop: Header=BB212_1059 Depth=1
	v_bfrev_b32_e32 v23, 1
	v_mov_b32_e32 v24, 0
	s_mov_b32 s17, exec_lo
	v_cmpx_ne_u16_e32 0x80, v8
	s_cbranch_execz .LBB212_1763
; %bb.1758:                             ;   in Loop: Header=BB212_1059 Depth=1
	v_mov_b32_e32 v23, 0x7f800001
	v_bfe_u32 v71, v35, 16, 7
	v_mov_b32_e32 v24, 0
	s_mov_b32 s18, exec_lo
	v_cmpx_ne_u32_e32 0x7f, v71
	s_cbranch_execz .LBB212_1762
; %bb.1759:                             ;   in Loop: Header=BB212_1059 Depth=1
	v_mov_b32_e32 v8, 7
	v_lshrrev_b32_e32 v13, 3, v71
	s_mov_b32 s19, exec_lo
	v_and_b32_sdwa v8, v35, v8 dst_sel:DWORD dst_unused:UNUSED_PAD src0_sel:WORD_1 src1_sel:DWORD
	v_cmpx_gt_u32_e32 8, v71
; %bb.1760:                             ;   in Loop: Header=BB212_1059 Depth=1
	v_ffbh_u32_e32 v13, v8
	v_min_u32_e32 v13, 32, v13
	v_subrev_nc_u32_e32 v23, 28, v13
	v_sub_nc_u32_e32 v13, 29, v13
	v_lshlrev_b64 v[23:24], v23, v[8:9]
	v_and_b32_e32 v8, 7, v23
; %bb.1761:                             ;   in Loop: Header=BB212_1059 Depth=1
	s_or_b32 exec_lo, exec_lo, s19
	v_mov_b32_e32 v23, 24
	v_lshlrev_b32_e32 v8, 20, v8
	v_lshl_add_u32 v13, v13, 23, 0x3c000000
	v_lshlrev_b32_sdwa v23, v23, v35 dst_sel:DWORD dst_unused:UNUSED_PAD src0_sel:DWORD src1_sel:WORD_1
	v_and_b32_e32 v23, 0x80000000, v23
	v_or3_b32 v8, v8, v23, v13
	v_mov_b32_e32 v24, v9
	v_mov_b32_e32 v23, v8
.LBB212_1762:                           ;   in Loop: Header=BB212_1059 Depth=1
	s_or_b32 exec_lo, exec_lo, s18
.LBB212_1763:                           ;   in Loop: Header=BB212_1059 Depth=1
	s_or_b32 exec_lo, exec_lo, s17
.LBB212_1764:                           ;   in Loop: Header=BB212_1059 Depth=1
	s_or_b32 exec_lo, exec_lo, s15
	s_mov_b32 s15, exec_lo
	v_cmpx_lt_u32_e32 0xffffff, v35
	s_cbranch_execz .LBB212_1772
; %bb.1765:                             ;   in Loop: Header=BB212_1059 Depth=1
	v_mov_b32_e32 v11, v9
	v_cmp_ne_u32_sdwa s4, v35, v96 src0_sel:BYTE_3 src1_sel:DWORD
	v_mov_b32_e32 v10, v11
	v_mov_b32_e32 v11, v12
	s_and_saveexec_b32 s17, s4
	s_cbranch_execz .LBB212_1771
; %bb.1766:                             ;   in Loop: Header=BB212_1059 Depth=1
	v_mov_b32_e32 v13, v9
	v_bfe_u32 v71, v35, 24, 7
	s_mov_b32 s18, exec_lo
	v_mov_b32_e32 v10, v13
	v_mov_b32_e32 v11, v14
	v_cmpx_ne_u32_e32 0x7f, v71
	s_cbranch_execz .LBB212_1770
; %bb.1767:                             ;   in Loop: Header=BB212_1059 Depth=1
	v_mov_b32_e32 v8, 7
	v_lshrrev_b32_e32 v10, 3, v71
	s_mov_b32 s19, exec_lo
	v_and_b32_sdwa v8, v35, v8 dst_sel:DWORD dst_unused:UNUSED_PAD src0_sel:BYTE_3 src1_sel:DWORD
	v_cmpx_gt_u32_e32 8, v71
; %bb.1768:                             ;   in Loop: Header=BB212_1059 Depth=1
	v_ffbh_u32_e32 v10, v8
	v_min_u32_e32 v10, 32, v10
	v_subrev_nc_u32_e32 v11, 28, v10
	v_sub_nc_u32_e32 v10, 29, v10
	v_lshlrev_b64 v[80:81], v11, v[8:9]
	v_and_b32_e32 v8, 7, v80
; %bb.1769:                             ;   in Loop: Header=BB212_1059 Depth=1
	s_or_b32 exec_lo, exec_lo, s19
	v_mov_b32_e32 v11, 24
	v_lshlrev_b32_e32 v8, 20, v8
	v_lshl_add_u32 v10, v10, 23, 0x3c000000
	v_lshlrev_b32_sdwa v11, v11, v35 dst_sel:DWORD dst_unused:UNUSED_PAD src0_sel:DWORD src1_sel:BYTE_3
	v_and_b32_e32 v11, 0x80000000, v11
	v_or3_b32 v11, v8, v11, v10
	v_mov_b32_e32 v10, v9
.LBB212_1770:                           ;   in Loop: Header=BB212_1059 Depth=1
	s_or_b32 exec_lo, exec_lo, s18
.LBB212_1771:                           ;   in Loop: Header=BB212_1059 Depth=1
	s_or_b32 exec_lo, exec_lo, s17
.LBB212_1772:                           ;   in Loop: Header=BB212_1059 Depth=1
	s_or_b32 exec_lo, exec_lo, s15
	v_or_b32_e32 v8, v22, v20
	v_or_b32_e32 v13, v21, v19
	;; [unrolled: 1-line block ×4, first 2 shown]
	v_mul_f32_e32 v82, v118, v8
	v_mul_f32_e32 v81, v118, v13
	;; [unrolled: 1-line block ×4, first 2 shown]
	s_and_saveexec_b32 s15, vcc_lo
	s_cbranch_execz .LBB212_1774
; %bb.1773:                             ;   in Loop: Header=BB212_1059 Depth=1
	buffer_load_dword v8, off, s[0:3], s32 offset:200 ; 4-byte Folded Reload
	s_waitcnt vmcnt(0)
	v_cmp_lt_i32_e64 s4, v40, v8
	v_cndmask_b32_e64 v81, 0, v81, s4
	v_cmp_lt_i32_e64 s4, v43, v8
	v_cndmask_b32_e64 v82, 0, v82, s4
	;; [unrolled: 2-line block ×4, first 2 shown]
.LBB212_1774:                           ;   in Loop: Header=BB212_1059 Depth=1
	s_or_b32 exec_lo, exec_lo, s15
	flat_load_dword v35, v[0:1] offset:640
	v_mov_b32_e32 v21, 0
	v_mov_b32_e32 v19, 0
	;; [unrolled: 1-line block ×4, first 2 shown]
	s_waitcnt vmcnt(0) lgkmcnt(0)
	v_cmp_ne_u16_sdwa s4, v35, v9 src0_sel:BYTE_0 src1_sel:DWORD
	s_and_saveexec_b32 s15, s4
	s_cbranch_execz .LBB212_1782
; %bb.1775:                             ;   in Loop: Header=BB212_1059 Depth=1
	v_bfrev_b32_e32 v19, 1
	v_mov_b32_e32 v20, 0
	v_cmp_ne_u16_sdwa s4, v35, v96 src0_sel:BYTE_0 src1_sel:DWORD
	s_and_saveexec_b32 s17, s4
	s_cbranch_execz .LBB212_1781
; %bb.1776:                             ;   in Loop: Header=BB212_1059 Depth=1
	v_mov_b32_e32 v19, 0x7f800001
	v_and_b32_e32 v11, 0x7f, v35
	v_mov_b32_e32 v20, 0
	s_mov_b32 s18, exec_lo
	v_cmpx_ne_u32_e32 0x7f, v11
	s_cbranch_execz .LBB212_1780
; %bb.1777:                             ;   in Loop: Header=BB212_1059 Depth=1
	v_and_b32_e32 v8, 7, v35
	v_lshrrev_b32_e32 v10, 3, v11
	s_mov_b32 s19, exec_lo
	v_cmpx_gt_u32_e32 8, v11
; %bb.1778:                             ;   in Loop: Header=BB212_1059 Depth=1
	v_ffbh_u32_e32 v10, v8
	v_min_u32_e32 v10, 32, v10
	v_subrev_nc_u32_e32 v11, 28, v10
	v_sub_nc_u32_e32 v10, 29, v10
	v_lshlrev_b64 v[19:20], v11, v[8:9]
	v_and_b32_e32 v8, 7, v19
; %bb.1779:                             ;   in Loop: Header=BB212_1059 Depth=1
	s_or_b32 exec_lo, exec_lo, s19
	v_lshlrev_b32_e32 v11, 24, v35
	v_lshlrev_b32_e32 v8, 20, v8
	v_lshl_add_u32 v10, v10, 23, 0x3c000000
	v_and_b32_e32 v11, 0x80000000, v11
	v_or3_b32 v8, v8, v11, v10
	v_mov_b32_e32 v20, v9
	v_mov_b32_e32 v19, v8
.LBB212_1780:                           ;   in Loop: Header=BB212_1059 Depth=1
	s_or_b32 exec_lo, exec_lo, s18
.LBB212_1781:                           ;   in Loop: Header=BB212_1059 Depth=1
	s_or_b32 exec_lo, exec_lo, s17
.LBB212_1782:                           ;   in Loop: Header=BB212_1059 Depth=1
	s_or_b32 exec_lo, exec_lo, s15
	v_cmp_ne_u16_sdwa s4, v35, v9 src0_sel:BYTE_1 src1_sel:DWORD
	s_and_saveexec_b32 s15, s4
	s_cbranch_execz .LBB212_1790
; %bb.1783:                             ;   in Loop: Header=BB212_1059 Depth=1
	v_mov_b32_e32 v11, v9
	v_mov_b32_e32 v22, v12
	v_cmp_ne_u16_sdwa s4, v35, v96 src0_sel:BYTE_1 src1_sel:DWORD
	v_mov_b32_e32 v21, v11
	s_and_saveexec_b32 s17, s4
	s_cbranch_execz .LBB212_1789
; %bb.1784:                             ;   in Loop: Header=BB212_1059 Depth=1
	v_mov_b32_e32 v8, 0xffff
	v_mov_b32_e32 v13, v9
	;; [unrolled: 1-line block ×3, first 2 shown]
	s_mov_b32 s18, exec_lo
	v_and_b32_sdwa v8, v8, v35 dst_sel:DWORD dst_unused:UNUSED_PAD src0_sel:DWORD src1_sel:BYTE_1
	v_mov_b32_e32 v21, v13
	v_and_b32_e32 v11, 0x7f, v8
	v_cmpx_ne_u32_e32 0x7f, v11
	s_cbranch_execz .LBB212_1788
; %bb.1785:                             ;   in Loop: Header=BB212_1059 Depth=1
	v_and_b32_e32 v8, 7, v8
	v_lshrrev_b32_e32 v10, 3, v11
	s_mov_b32 s19, exec_lo
	v_cmpx_gt_u32_e32 8, v11
; %bb.1786:                             ;   in Loop: Header=BB212_1059 Depth=1
	v_ffbh_u32_e32 v10, v8
	v_min_u32_e32 v10, 32, v10
	v_subrev_nc_u32_e32 v11, 28, v10
	v_sub_nc_u32_e32 v10, 29, v10
	v_lshlrev_b64 v[21:22], v11, v[8:9]
	v_and_b32_e32 v8, 7, v21
; %bb.1787:                             ;   in Loop: Header=BB212_1059 Depth=1
	s_or_b32 exec_lo, exec_lo, s19
	v_lshlrev_b32_e32 v11, 16, v35
	v_lshlrev_b32_e32 v8, 20, v8
	v_lshl_add_u32 v10, v10, 23, 0x3c000000
	v_mov_b32_e32 v21, v9
	v_and_b32_e32 v11, 0x80000000, v11
	v_or3_b32 v22, v8, v11, v10
.LBB212_1788:                           ;   in Loop: Header=BB212_1059 Depth=1
	s_or_b32 exec_lo, exec_lo, s18
.LBB212_1789:                           ;   in Loop: Header=BB212_1059 Depth=1
	s_or_b32 exec_lo, exec_lo, s17
.LBB212_1790:                           ;   in Loop: Header=BB212_1059 Depth=1
	s_or_b32 exec_lo, exec_lo, s15
	v_mov_b32_e32 v10, 0
	v_mov_b32_e32 v23, 0
	v_and_b32_sdwa v8, v35, v98 dst_sel:DWORD dst_unused:UNUSED_PAD src0_sel:WORD_1 src1_sel:DWORD
	v_mov_b32_e32 v11, 0
	v_mov_b32_e32 v24, 0
	s_mov_b32 s15, exec_lo
	v_cmpx_ne_u16_e32 0, v8
	s_cbranch_execz .LBB212_1798
; %bb.1791:                             ;   in Loop: Header=BB212_1059 Depth=1
	v_bfrev_b32_e32 v23, 1
	v_mov_b32_e32 v24, 0
	s_mov_b32 s17, exec_lo
	v_cmpx_ne_u16_e32 0x80, v8
	s_cbranch_execz .LBB212_1797
; %bb.1792:                             ;   in Loop: Header=BB212_1059 Depth=1
	v_mov_b32_e32 v23, 0x7f800001
	v_bfe_u32 v83, v35, 16, 7
	v_mov_b32_e32 v24, 0
	s_mov_b32 s18, exec_lo
	v_cmpx_ne_u32_e32 0x7f, v83
	s_cbranch_execz .LBB212_1796
; %bb.1793:                             ;   in Loop: Header=BB212_1059 Depth=1
	v_mov_b32_e32 v8, 7
	v_lshrrev_b32_e32 v13, 3, v83
	s_mov_b32 s19, exec_lo
	v_and_b32_sdwa v8, v35, v8 dst_sel:DWORD dst_unused:UNUSED_PAD src0_sel:WORD_1 src1_sel:DWORD
	v_cmpx_gt_u32_e32 8, v83
; %bb.1794:                             ;   in Loop: Header=BB212_1059 Depth=1
	v_ffbh_u32_e32 v13, v8
	v_min_u32_e32 v13, 32, v13
	v_subrev_nc_u32_e32 v23, 28, v13
	v_sub_nc_u32_e32 v13, 29, v13
	v_lshlrev_b64 v[23:24], v23, v[8:9]
	v_and_b32_e32 v8, 7, v23
; %bb.1795:                             ;   in Loop: Header=BB212_1059 Depth=1
	s_or_b32 exec_lo, exec_lo, s19
	v_mov_b32_e32 v23, 24
	v_lshlrev_b32_e32 v8, 20, v8
	v_lshl_add_u32 v13, v13, 23, 0x3c000000
	v_lshlrev_b32_sdwa v23, v23, v35 dst_sel:DWORD dst_unused:UNUSED_PAD src0_sel:DWORD src1_sel:WORD_1
	v_and_b32_e32 v23, 0x80000000, v23
	v_or3_b32 v8, v8, v23, v13
	v_mov_b32_e32 v24, v9
	v_mov_b32_e32 v23, v8
.LBB212_1796:                           ;   in Loop: Header=BB212_1059 Depth=1
	s_or_b32 exec_lo, exec_lo, s18
.LBB212_1797:                           ;   in Loop: Header=BB212_1059 Depth=1
	s_or_b32 exec_lo, exec_lo, s17
.LBB212_1798:                           ;   in Loop: Header=BB212_1059 Depth=1
	s_or_b32 exec_lo, exec_lo, s15
	s_mov_b32 s15, exec_lo
	v_cmpx_lt_u32_e32 0xffffff, v35
	s_cbranch_execz .LBB212_1806
; %bb.1799:                             ;   in Loop: Header=BB212_1059 Depth=1
	v_mov_b32_e32 v11, v9
	v_cmp_ne_u32_sdwa s4, v35, v96 src0_sel:BYTE_3 src1_sel:DWORD
	v_mov_b32_e32 v10, v11
	v_mov_b32_e32 v11, v12
	s_and_saveexec_b32 s17, s4
	s_cbranch_execz .LBB212_1805
; %bb.1800:                             ;   in Loop: Header=BB212_1059 Depth=1
	v_mov_b32_e32 v13, v9
	v_bfe_u32 v83, v35, 24, 7
	s_mov_b32 s18, exec_lo
	v_mov_b32_e32 v10, v13
	v_mov_b32_e32 v11, v14
	v_cmpx_ne_u32_e32 0x7f, v83
	s_cbranch_execz .LBB212_1804
; %bb.1801:                             ;   in Loop: Header=BB212_1059 Depth=1
	v_mov_b32_e32 v8, 7
	v_lshrrev_b32_e32 v10, 3, v83
	s_mov_b32 s19, exec_lo
	v_and_b32_sdwa v8, v35, v8 dst_sel:DWORD dst_unused:UNUSED_PAD src0_sel:BYTE_3 src1_sel:DWORD
	v_cmpx_gt_u32_e32 8, v83
; %bb.1802:                             ;   in Loop: Header=BB212_1059 Depth=1
	v_ffbh_u32_e32 v10, v8
	v_min_u32_e32 v10, 32, v10
	v_subrev_nc_u32_e32 v11, 28, v10
	v_sub_nc_u32_e32 v10, 29, v10
	v_lshlrev_b64 v[83:84], v11, v[8:9]
	v_and_b32_e32 v8, 7, v83
; %bb.1803:                             ;   in Loop: Header=BB212_1059 Depth=1
	s_or_b32 exec_lo, exec_lo, s19
	v_mov_b32_e32 v11, 24
	v_lshlrev_b32_e32 v8, 20, v8
	v_lshl_add_u32 v10, v10, 23, 0x3c000000
	v_lshlrev_b32_sdwa v11, v11, v35 dst_sel:DWORD dst_unused:UNUSED_PAD src0_sel:DWORD src1_sel:BYTE_3
	v_and_b32_e32 v11, 0x80000000, v11
	v_or3_b32 v11, v8, v11, v10
	v_mov_b32_e32 v10, v9
.LBB212_1804:                           ;   in Loop: Header=BB212_1059 Depth=1
	s_or_b32 exec_lo, exec_lo, s18
.LBB212_1805:                           ;   in Loop: Header=BB212_1059 Depth=1
	s_or_b32 exec_lo, exec_lo, s17
.LBB212_1806:                           ;   in Loop: Header=BB212_1059 Depth=1
	s_or_b32 exec_lo, exec_lo, s15
	v_or_b32_e32 v8, v22, v20
	v_or_b32_e32 v13, v21, v19
	;; [unrolled: 1-line block ×4, first 2 shown]
	v_mul_f32_e32 v86, v118, v8
	v_mul_f32_e32 v85, v118, v13
	;; [unrolled: 1-line block ×4, first 2 shown]
	s_and_saveexec_b32 s15, vcc_lo
	s_cbranch_execz .LBB212_1808
; %bb.1807:                             ;   in Loop: Header=BB212_1059 Depth=1
	buffer_load_dword v8, off, s[0:3], s32 offset:200 ; 4-byte Folded Reload
	s_waitcnt vmcnt(0)
	v_cmp_lt_i32_e64 s4, v40, v8
	v_cndmask_b32_e64 v85, 0, v85, s4
	v_cmp_lt_i32_e64 s4, v43, v8
	v_cndmask_b32_e64 v86, 0, v86, s4
	;; [unrolled: 2-line block ×4, first 2 shown]
.LBB212_1808:                           ;   in Loop: Header=BB212_1059 Depth=1
	s_or_b32 exec_lo, exec_lo, s15
	flat_load_dword v35, v[0:1] offset:768
	v_mov_b32_e32 v21, 0
	v_mov_b32_e32 v19, 0
	;; [unrolled: 1-line block ×4, first 2 shown]
	s_waitcnt vmcnt(0) lgkmcnt(0)
	v_cmp_ne_u16_sdwa s4, v35, v9 src0_sel:BYTE_0 src1_sel:DWORD
	s_and_saveexec_b32 s15, s4
	s_cbranch_execz .LBB212_1816
; %bb.1809:                             ;   in Loop: Header=BB212_1059 Depth=1
	v_bfrev_b32_e32 v19, 1
	v_mov_b32_e32 v20, 0
	v_cmp_ne_u16_sdwa s4, v35, v96 src0_sel:BYTE_0 src1_sel:DWORD
	s_and_saveexec_b32 s17, s4
	s_cbranch_execz .LBB212_1815
; %bb.1810:                             ;   in Loop: Header=BB212_1059 Depth=1
	v_mov_b32_e32 v19, 0x7f800001
	v_and_b32_e32 v11, 0x7f, v35
	v_mov_b32_e32 v20, 0
	s_mov_b32 s18, exec_lo
	v_cmpx_ne_u32_e32 0x7f, v11
	s_cbranch_execz .LBB212_1814
; %bb.1811:                             ;   in Loop: Header=BB212_1059 Depth=1
	v_and_b32_e32 v8, 7, v35
	v_lshrrev_b32_e32 v10, 3, v11
	s_mov_b32 s19, exec_lo
	v_cmpx_gt_u32_e32 8, v11
; %bb.1812:                             ;   in Loop: Header=BB212_1059 Depth=1
	v_ffbh_u32_e32 v10, v8
	v_min_u32_e32 v10, 32, v10
	v_subrev_nc_u32_e32 v11, 28, v10
	v_sub_nc_u32_e32 v10, 29, v10
	v_lshlrev_b64 v[19:20], v11, v[8:9]
	v_and_b32_e32 v8, 7, v19
; %bb.1813:                             ;   in Loop: Header=BB212_1059 Depth=1
	s_or_b32 exec_lo, exec_lo, s19
	v_lshlrev_b32_e32 v11, 24, v35
	v_lshlrev_b32_e32 v8, 20, v8
	v_lshl_add_u32 v10, v10, 23, 0x3c000000
	v_and_b32_e32 v11, 0x80000000, v11
	v_or3_b32 v8, v8, v11, v10
	v_mov_b32_e32 v20, v9
	v_mov_b32_e32 v19, v8
.LBB212_1814:                           ;   in Loop: Header=BB212_1059 Depth=1
	s_or_b32 exec_lo, exec_lo, s18
.LBB212_1815:                           ;   in Loop: Header=BB212_1059 Depth=1
	s_or_b32 exec_lo, exec_lo, s17
.LBB212_1816:                           ;   in Loop: Header=BB212_1059 Depth=1
	s_or_b32 exec_lo, exec_lo, s15
	v_cmp_ne_u16_sdwa s4, v35, v9 src0_sel:BYTE_1 src1_sel:DWORD
	s_and_saveexec_b32 s15, s4
	s_cbranch_execz .LBB212_1824
; %bb.1817:                             ;   in Loop: Header=BB212_1059 Depth=1
	v_mov_b32_e32 v11, v9
	v_mov_b32_e32 v22, v12
	v_cmp_ne_u16_sdwa s4, v35, v96 src0_sel:BYTE_1 src1_sel:DWORD
	v_mov_b32_e32 v21, v11
	s_and_saveexec_b32 s17, s4
	s_cbranch_execz .LBB212_1823
; %bb.1818:                             ;   in Loop: Header=BB212_1059 Depth=1
	v_mov_b32_e32 v8, 0xffff
	v_mov_b32_e32 v13, v9
	;; [unrolled: 1-line block ×3, first 2 shown]
	s_mov_b32 s18, exec_lo
	v_and_b32_sdwa v8, v8, v35 dst_sel:DWORD dst_unused:UNUSED_PAD src0_sel:DWORD src1_sel:BYTE_1
	v_mov_b32_e32 v21, v13
	v_and_b32_e32 v11, 0x7f, v8
	v_cmpx_ne_u32_e32 0x7f, v11
	s_cbranch_execz .LBB212_1822
; %bb.1819:                             ;   in Loop: Header=BB212_1059 Depth=1
	v_and_b32_e32 v8, 7, v8
	v_lshrrev_b32_e32 v10, 3, v11
	s_mov_b32 s19, exec_lo
	v_cmpx_gt_u32_e32 8, v11
; %bb.1820:                             ;   in Loop: Header=BB212_1059 Depth=1
	v_ffbh_u32_e32 v10, v8
	v_min_u32_e32 v10, 32, v10
	v_subrev_nc_u32_e32 v11, 28, v10
	v_sub_nc_u32_e32 v10, 29, v10
	v_lshlrev_b64 v[21:22], v11, v[8:9]
	v_and_b32_e32 v8, 7, v21
; %bb.1821:                             ;   in Loop: Header=BB212_1059 Depth=1
	s_or_b32 exec_lo, exec_lo, s19
	v_lshlrev_b32_e32 v11, 16, v35
	v_lshlrev_b32_e32 v8, 20, v8
	v_lshl_add_u32 v10, v10, 23, 0x3c000000
	v_mov_b32_e32 v21, v9
	v_and_b32_e32 v11, 0x80000000, v11
	v_or3_b32 v22, v8, v11, v10
.LBB212_1822:                           ;   in Loop: Header=BB212_1059 Depth=1
	s_or_b32 exec_lo, exec_lo, s18
.LBB212_1823:                           ;   in Loop: Header=BB212_1059 Depth=1
	s_or_b32 exec_lo, exec_lo, s17
.LBB212_1824:                           ;   in Loop: Header=BB212_1059 Depth=1
	s_or_b32 exec_lo, exec_lo, s15
	v_mov_b32_e32 v10, 0
	v_mov_b32_e32 v23, 0
	v_and_b32_sdwa v8, v35, v98 dst_sel:DWORD dst_unused:UNUSED_PAD src0_sel:WORD_1 src1_sel:DWORD
	v_mov_b32_e32 v11, 0
	v_mov_b32_e32 v24, 0
	s_mov_b32 s15, exec_lo
	v_cmpx_ne_u16_e32 0, v8
	s_cbranch_execz .LBB212_1832
; %bb.1825:                             ;   in Loop: Header=BB212_1059 Depth=1
	v_bfrev_b32_e32 v23, 1
	v_mov_b32_e32 v24, 0
	s_mov_b32 s17, exec_lo
	v_cmpx_ne_u16_e32 0x80, v8
	s_cbranch_execz .LBB212_1831
; %bb.1826:                             ;   in Loop: Header=BB212_1059 Depth=1
	v_mov_b32_e32 v23, 0x7f800001
	v_bfe_u32 v97, v35, 16, 7
	v_mov_b32_e32 v24, 0
	s_mov_b32 s18, exec_lo
	v_cmpx_ne_u32_e32 0x7f, v97
	s_cbranch_execz .LBB212_1830
; %bb.1827:                             ;   in Loop: Header=BB212_1059 Depth=1
	v_mov_b32_e32 v8, 7
	v_lshrrev_b32_e32 v13, 3, v97
	s_mov_b32 s19, exec_lo
	v_and_b32_sdwa v8, v35, v8 dst_sel:DWORD dst_unused:UNUSED_PAD src0_sel:WORD_1 src1_sel:DWORD
	v_cmpx_gt_u32_e32 8, v97
; %bb.1828:                             ;   in Loop: Header=BB212_1059 Depth=1
	v_ffbh_u32_e32 v13, v8
	v_min_u32_e32 v13, 32, v13
	v_subrev_nc_u32_e32 v23, 28, v13
	v_sub_nc_u32_e32 v13, 29, v13
	v_lshlrev_b64 v[23:24], v23, v[8:9]
	v_and_b32_e32 v8, 7, v23
; %bb.1829:                             ;   in Loop: Header=BB212_1059 Depth=1
	s_or_b32 exec_lo, exec_lo, s19
	v_mov_b32_e32 v23, 24
	v_lshlrev_b32_e32 v8, 20, v8
	v_lshl_add_u32 v13, v13, 23, 0x3c000000
	v_lshlrev_b32_sdwa v23, v23, v35 dst_sel:DWORD dst_unused:UNUSED_PAD src0_sel:DWORD src1_sel:WORD_1
	v_and_b32_e32 v23, 0x80000000, v23
	v_or3_b32 v8, v8, v23, v13
	v_mov_b32_e32 v24, v9
	v_mov_b32_e32 v23, v8
.LBB212_1830:                           ;   in Loop: Header=BB212_1059 Depth=1
	s_or_b32 exec_lo, exec_lo, s18
.LBB212_1831:                           ;   in Loop: Header=BB212_1059 Depth=1
	s_or_b32 exec_lo, exec_lo, s17
.LBB212_1832:                           ;   in Loop: Header=BB212_1059 Depth=1
	s_or_b32 exec_lo, exec_lo, s15
	s_mov_b32 s15, exec_lo
	v_cmpx_lt_u32_e32 0xffffff, v35
	s_cbranch_execz .LBB212_1840
; %bb.1833:                             ;   in Loop: Header=BB212_1059 Depth=1
	v_mov_b32_e32 v11, v9
	v_cmp_ne_u32_sdwa s4, v35, v96 src0_sel:BYTE_3 src1_sel:DWORD
	v_mov_b32_e32 v10, v11
	v_mov_b32_e32 v11, v12
	s_and_saveexec_b32 s17, s4
	s_cbranch_execz .LBB212_1839
; %bb.1834:                             ;   in Loop: Header=BB212_1059 Depth=1
	v_mov_b32_e32 v13, v9
	v_bfe_u32 v97, v35, 24, 7
	s_mov_b32 s18, exec_lo
	v_mov_b32_e32 v10, v13
	v_mov_b32_e32 v11, v14
	v_cmpx_ne_u32_e32 0x7f, v97
	s_cbranch_execz .LBB212_1838
; %bb.1835:                             ;   in Loop: Header=BB212_1059 Depth=1
	v_mov_b32_e32 v8, 7
	v_lshrrev_b32_e32 v10, 3, v97
	s_mov_b32 s19, exec_lo
	v_and_b32_sdwa v8, v35, v8 dst_sel:DWORD dst_unused:UNUSED_PAD src0_sel:BYTE_3 src1_sel:DWORD
	v_cmpx_gt_u32_e32 8, v97
; %bb.1836:                             ;   in Loop: Header=BB212_1059 Depth=1
	v_ffbh_u32_e32 v10, v8
	v_min_u32_e32 v10, 32, v10
	v_subrev_nc_u32_e32 v11, 28, v10
	v_sub_nc_u32_e32 v10, 29, v10
	v_lshlrev_b64 v[99:100], v11, v[8:9]
	v_and_b32_e32 v8, 7, v99
; %bb.1837:                             ;   in Loop: Header=BB212_1059 Depth=1
	s_or_b32 exec_lo, exec_lo, s19
	v_mov_b32_e32 v11, 24
	v_lshlrev_b32_e32 v8, 20, v8
	v_lshl_add_u32 v10, v10, 23, 0x3c000000
	v_lshlrev_b32_sdwa v11, v11, v35 dst_sel:DWORD dst_unused:UNUSED_PAD src0_sel:DWORD src1_sel:BYTE_3
	v_and_b32_e32 v11, 0x80000000, v11
	v_or3_b32 v11, v8, v11, v10
	v_mov_b32_e32 v10, v9
.LBB212_1838:                           ;   in Loop: Header=BB212_1059 Depth=1
	s_or_b32 exec_lo, exec_lo, s18
.LBB212_1839:                           ;   in Loop: Header=BB212_1059 Depth=1
	s_or_b32 exec_lo, exec_lo, s17
.LBB212_1840:                           ;   in Loop: Header=BB212_1059 Depth=1
	s_or_b32 exec_lo, exec_lo, s15
	v_or_b32_e32 v8, v22, v20
	v_or_b32_e32 v13, v21, v19
	;; [unrolled: 1-line block ×4, first 2 shown]
	v_mul_f32_e32 v119, v118, v8
	v_mul_f32_e32 v117, v118, v13
	;; [unrolled: 1-line block ×4, first 2 shown]
	s_and_saveexec_b32 s15, vcc_lo
	s_cbranch_execz .LBB212_1842
; %bb.1841:                             ;   in Loop: Header=BB212_1059 Depth=1
	buffer_load_dword v8, off, s[0:3], s32 offset:200 ; 4-byte Folded Reload
	s_waitcnt vmcnt(0)
	v_cmp_lt_i32_e64 s4, v40, v8
	v_cndmask_b32_e64 v117, 0, v117, s4
	v_cmp_lt_i32_e64 s4, v43, v8
	v_cndmask_b32_e64 v119, 0, v119, s4
	;; [unrolled: 2-line block ×4, first 2 shown]
.LBB212_1842:                           ;   in Loop: Header=BB212_1059 Depth=1
	s_or_b32 exec_lo, exec_lo, s15
	flat_load_dword v35, v[0:1] offset:896
	v_mov_b32_e32 v21, 0
	v_mov_b32_e32 v19, 0
	;; [unrolled: 1-line block ×4, first 2 shown]
	s_waitcnt vmcnt(0) lgkmcnt(0)
	v_cmp_ne_u16_sdwa s4, v35, v9 src0_sel:BYTE_0 src1_sel:DWORD
	s_and_saveexec_b32 s15, s4
	s_cbranch_execz .LBB212_1850
; %bb.1843:                             ;   in Loop: Header=BB212_1059 Depth=1
	v_bfrev_b32_e32 v19, 1
	v_mov_b32_e32 v20, 0
	v_cmp_ne_u16_sdwa s4, v35, v96 src0_sel:BYTE_0 src1_sel:DWORD
	s_and_saveexec_b32 s17, s4
	s_cbranch_execz .LBB212_1849
; %bb.1844:                             ;   in Loop: Header=BB212_1059 Depth=1
	v_mov_b32_e32 v19, 0x7f800001
	v_and_b32_e32 v11, 0x7f, v35
	v_mov_b32_e32 v20, 0
	s_mov_b32 s18, exec_lo
	v_cmpx_ne_u32_e32 0x7f, v11
	s_cbranch_execz .LBB212_1848
; %bb.1845:                             ;   in Loop: Header=BB212_1059 Depth=1
	v_and_b32_e32 v8, 7, v35
	v_lshrrev_b32_e32 v10, 3, v11
	s_mov_b32 s19, exec_lo
	v_cmpx_gt_u32_e32 8, v11
; %bb.1846:                             ;   in Loop: Header=BB212_1059 Depth=1
	v_ffbh_u32_e32 v10, v8
	v_min_u32_e32 v10, 32, v10
	v_subrev_nc_u32_e32 v11, 28, v10
	v_sub_nc_u32_e32 v10, 29, v10
	v_lshlrev_b64 v[19:20], v11, v[8:9]
	v_and_b32_e32 v8, 7, v19
; %bb.1847:                             ;   in Loop: Header=BB212_1059 Depth=1
	s_or_b32 exec_lo, exec_lo, s19
	v_lshlrev_b32_e32 v11, 24, v35
	v_lshlrev_b32_e32 v8, 20, v8
	v_lshl_add_u32 v10, v10, 23, 0x3c000000
	v_and_b32_e32 v11, 0x80000000, v11
	v_or3_b32 v8, v8, v11, v10
	v_mov_b32_e32 v20, v9
	v_mov_b32_e32 v19, v8
.LBB212_1848:                           ;   in Loop: Header=BB212_1059 Depth=1
	s_or_b32 exec_lo, exec_lo, s18
.LBB212_1849:                           ;   in Loop: Header=BB212_1059 Depth=1
	s_or_b32 exec_lo, exec_lo, s17
.LBB212_1850:                           ;   in Loop: Header=BB212_1059 Depth=1
	s_or_b32 exec_lo, exec_lo, s15
	v_cmp_ne_u16_sdwa s4, v35, v9 src0_sel:BYTE_1 src1_sel:DWORD
	s_and_saveexec_b32 s15, s4
	s_cbranch_execz .LBB212_1858
; %bb.1851:                             ;   in Loop: Header=BB212_1059 Depth=1
	v_mov_b32_e32 v11, v9
	v_mov_b32_e32 v22, v12
	v_cmp_ne_u16_sdwa s4, v35, v96 src0_sel:BYTE_1 src1_sel:DWORD
	v_mov_b32_e32 v21, v11
	s_and_saveexec_b32 s17, s4
	s_cbranch_execz .LBB212_1857
; %bb.1852:                             ;   in Loop: Header=BB212_1059 Depth=1
	v_mov_b32_e32 v8, 0xffff
	v_mov_b32_e32 v13, v9
	;; [unrolled: 1-line block ×3, first 2 shown]
	s_mov_b32 s18, exec_lo
	v_and_b32_sdwa v8, v8, v35 dst_sel:DWORD dst_unused:UNUSED_PAD src0_sel:DWORD src1_sel:BYTE_1
	v_mov_b32_e32 v21, v13
	v_and_b32_e32 v11, 0x7f, v8
	v_cmpx_ne_u32_e32 0x7f, v11
	s_cbranch_execz .LBB212_1856
; %bb.1853:                             ;   in Loop: Header=BB212_1059 Depth=1
	v_and_b32_e32 v8, 7, v8
	v_lshrrev_b32_e32 v10, 3, v11
	s_mov_b32 s19, exec_lo
	v_cmpx_gt_u32_e32 8, v11
; %bb.1854:                             ;   in Loop: Header=BB212_1059 Depth=1
	v_ffbh_u32_e32 v10, v8
	v_min_u32_e32 v10, 32, v10
	v_subrev_nc_u32_e32 v11, 28, v10
	v_sub_nc_u32_e32 v10, 29, v10
	v_lshlrev_b64 v[21:22], v11, v[8:9]
	v_and_b32_e32 v8, 7, v21
; %bb.1855:                             ;   in Loop: Header=BB212_1059 Depth=1
	s_or_b32 exec_lo, exec_lo, s19
	v_lshlrev_b32_e32 v11, 16, v35
	v_lshlrev_b32_e32 v8, 20, v8
	v_lshl_add_u32 v10, v10, 23, 0x3c000000
	v_mov_b32_e32 v21, v9
	v_and_b32_e32 v11, 0x80000000, v11
	v_or3_b32 v22, v8, v11, v10
.LBB212_1856:                           ;   in Loop: Header=BB212_1059 Depth=1
	s_or_b32 exec_lo, exec_lo, s18
.LBB212_1857:                           ;   in Loop: Header=BB212_1059 Depth=1
	s_or_b32 exec_lo, exec_lo, s17
.LBB212_1858:                           ;   in Loop: Header=BB212_1059 Depth=1
	s_or_b32 exec_lo, exec_lo, s15
	v_mov_b32_e32 v10, 0
	v_mov_b32_e32 v23, 0
	v_and_b32_sdwa v8, v35, v98 dst_sel:DWORD dst_unused:UNUSED_PAD src0_sel:WORD_1 src1_sel:DWORD
	v_mov_b32_e32 v11, 0
	v_mov_b32_e32 v24, 0
	s_mov_b32 s15, exec_lo
	v_cmpx_ne_u16_e32 0, v8
	s_cbranch_execz .LBB212_1866
; %bb.1859:                             ;   in Loop: Header=BB212_1059 Depth=1
	v_bfrev_b32_e32 v23, 1
	v_mov_b32_e32 v24, 0
	s_mov_b32 s17, exec_lo
	v_cmpx_ne_u16_e32 0x80, v8
	s_cbranch_execz .LBB212_1865
; %bb.1860:                             ;   in Loop: Header=BB212_1059 Depth=1
	v_mov_b32_e32 v23, 0x7f800001
	v_bfe_u32 v97, v35, 16, 7
	v_mov_b32_e32 v24, 0
	s_mov_b32 s18, exec_lo
	v_cmpx_ne_u32_e32 0x7f, v97
	s_cbranch_execz .LBB212_1864
; %bb.1861:                             ;   in Loop: Header=BB212_1059 Depth=1
	v_mov_b32_e32 v8, 7
	v_lshrrev_b32_e32 v13, 3, v97
	s_mov_b32 s19, exec_lo
	v_and_b32_sdwa v8, v35, v8 dst_sel:DWORD dst_unused:UNUSED_PAD src0_sel:WORD_1 src1_sel:DWORD
	v_cmpx_gt_u32_e32 8, v97
; %bb.1862:                             ;   in Loop: Header=BB212_1059 Depth=1
	v_ffbh_u32_e32 v13, v8
	v_min_u32_e32 v13, 32, v13
	v_subrev_nc_u32_e32 v23, 28, v13
	v_sub_nc_u32_e32 v13, 29, v13
	v_lshlrev_b64 v[23:24], v23, v[8:9]
	v_and_b32_e32 v8, 7, v23
; %bb.1863:                             ;   in Loop: Header=BB212_1059 Depth=1
	s_or_b32 exec_lo, exec_lo, s19
	v_mov_b32_e32 v23, 24
	v_lshlrev_b32_e32 v8, 20, v8
	v_lshl_add_u32 v13, v13, 23, 0x3c000000
	v_lshlrev_b32_sdwa v23, v23, v35 dst_sel:DWORD dst_unused:UNUSED_PAD src0_sel:DWORD src1_sel:WORD_1
	v_and_b32_e32 v23, 0x80000000, v23
	v_or3_b32 v8, v8, v23, v13
	v_mov_b32_e32 v24, v9
	v_mov_b32_e32 v23, v8
.LBB212_1864:                           ;   in Loop: Header=BB212_1059 Depth=1
	s_or_b32 exec_lo, exec_lo, s18
.LBB212_1865:                           ;   in Loop: Header=BB212_1059 Depth=1
	s_or_b32 exec_lo, exec_lo, s17
.LBB212_1866:                           ;   in Loop: Header=BB212_1059 Depth=1
	s_or_b32 exec_lo, exec_lo, s15
	s_mov_b32 s15, exec_lo
	v_cmpx_lt_u32_e32 0xffffff, v35
	s_cbranch_execz .LBB212_1874
; %bb.1867:                             ;   in Loop: Header=BB212_1059 Depth=1
	v_mov_b32_e32 v11, v9
	v_cmp_ne_u32_sdwa s4, v35, v96 src0_sel:BYTE_3 src1_sel:DWORD
	v_mov_b32_e32 v10, v11
	v_mov_b32_e32 v11, v12
	s_and_saveexec_b32 s17, s4
	s_cbranch_execz .LBB212_1873
; %bb.1868:                             ;   in Loop: Header=BB212_1059 Depth=1
	v_mov_b32_e32 v13, v9
	v_bfe_u32 v97, v35, 24, 7
	s_mov_b32 s18, exec_lo
	v_mov_b32_e32 v10, v13
	v_mov_b32_e32 v11, v14
	v_cmpx_ne_u32_e32 0x7f, v97
	s_cbranch_execz .LBB212_1872
; %bb.1869:                             ;   in Loop: Header=BB212_1059 Depth=1
	v_mov_b32_e32 v8, 7
	v_lshrrev_b32_e32 v10, 3, v97
	s_mov_b32 s19, exec_lo
	v_and_b32_sdwa v8, v35, v8 dst_sel:DWORD dst_unused:UNUSED_PAD src0_sel:BYTE_3 src1_sel:DWORD
	v_cmpx_gt_u32_e32 8, v97
; %bb.1870:                             ;   in Loop: Header=BB212_1059 Depth=1
	v_ffbh_u32_e32 v10, v8
	v_min_u32_e32 v10, 32, v10
	v_subrev_nc_u32_e32 v11, 28, v10
	v_sub_nc_u32_e32 v10, 29, v10
	v_lshlrev_b64 v[99:100], v11, v[8:9]
	v_and_b32_e32 v8, 7, v99
; %bb.1871:                             ;   in Loop: Header=BB212_1059 Depth=1
	s_or_b32 exec_lo, exec_lo, s19
	v_mov_b32_e32 v11, 24
	v_lshlrev_b32_e32 v8, 20, v8
	v_lshl_add_u32 v10, v10, 23, 0x3c000000
	v_lshlrev_b32_sdwa v11, v11, v35 dst_sel:DWORD dst_unused:UNUSED_PAD src0_sel:DWORD src1_sel:BYTE_3
	v_and_b32_e32 v11, 0x80000000, v11
	v_or3_b32 v11, v8, v11, v10
	v_mov_b32_e32 v10, v9
.LBB212_1872:                           ;   in Loop: Header=BB212_1059 Depth=1
	s_or_b32 exec_lo, exec_lo, s18
.LBB212_1873:                           ;   in Loop: Header=BB212_1059 Depth=1
	s_or_b32 exec_lo, exec_lo, s17
.LBB212_1874:                           ;   in Loop: Header=BB212_1059 Depth=1
	s_or_b32 exec_lo, exec_lo, s15
	v_or_b32_e32 v8, v22, v20
	v_or_b32_e32 v13, v21, v19
	;; [unrolled: 1-line block ×4, first 2 shown]
	v_mul_f32_e32 v47, v118, v8
	v_mul_f32_e32 v46, v118, v13
	;; [unrolled: 1-line block ×4, first 2 shown]
	s_and_saveexec_b32 s15, vcc_lo
	s_cbranch_execz .LBB212_1876
; %bb.1875:                             ;   in Loop: Header=BB212_1059 Depth=1
	buffer_load_dword v8, off, s[0:3], s32 offset:200 ; 4-byte Folded Reload
	s_waitcnt vmcnt(0)
	v_cmp_lt_i32_e64 s4, v40, v8
	v_cndmask_b32_e64 v46, 0, v46, s4
	v_cmp_lt_i32_e64 s4, v43, v8
	v_cndmask_b32_e64 v47, 0, v47, s4
	;; [unrolled: 2-line block ×4, first 2 shown]
.LBB212_1876:                           ;   in Loop: Header=BB212_1059 Depth=1
	s_or_b32 exec_lo, exec_lo, s15
	flat_load_dword v35, v[0:1] offset:1024
	v_mov_b32_e32 v21, 0
	v_mov_b32_e32 v19, 0
	;; [unrolled: 1-line block ×4, first 2 shown]
	s_waitcnt vmcnt(0) lgkmcnt(0)
	v_cmp_ne_u16_sdwa s4, v35, v9 src0_sel:BYTE_0 src1_sel:DWORD
	s_and_saveexec_b32 s15, s4
	s_cbranch_execz .LBB212_1884
; %bb.1877:                             ;   in Loop: Header=BB212_1059 Depth=1
	v_bfrev_b32_e32 v19, 1
	v_mov_b32_e32 v20, 0
	v_cmp_ne_u16_sdwa s4, v35, v96 src0_sel:BYTE_0 src1_sel:DWORD
	s_and_saveexec_b32 s17, s4
	s_cbranch_execz .LBB212_1883
; %bb.1878:                             ;   in Loop: Header=BB212_1059 Depth=1
	v_mov_b32_e32 v19, 0x7f800001
	v_and_b32_e32 v11, 0x7f, v35
	v_mov_b32_e32 v20, 0
	s_mov_b32 s18, exec_lo
	v_cmpx_ne_u32_e32 0x7f, v11
	s_cbranch_execz .LBB212_1882
; %bb.1879:                             ;   in Loop: Header=BB212_1059 Depth=1
	v_and_b32_e32 v8, 7, v35
	v_lshrrev_b32_e32 v10, 3, v11
	s_mov_b32 s19, exec_lo
	v_cmpx_gt_u32_e32 8, v11
; %bb.1880:                             ;   in Loop: Header=BB212_1059 Depth=1
	v_ffbh_u32_e32 v10, v8
	v_min_u32_e32 v10, 32, v10
	v_subrev_nc_u32_e32 v11, 28, v10
	v_sub_nc_u32_e32 v10, 29, v10
	v_lshlrev_b64 v[19:20], v11, v[8:9]
	v_and_b32_e32 v8, 7, v19
; %bb.1881:                             ;   in Loop: Header=BB212_1059 Depth=1
	s_or_b32 exec_lo, exec_lo, s19
	v_lshlrev_b32_e32 v11, 24, v35
	v_lshlrev_b32_e32 v8, 20, v8
	v_lshl_add_u32 v10, v10, 23, 0x3c000000
	v_and_b32_e32 v11, 0x80000000, v11
	v_or3_b32 v8, v8, v11, v10
	v_mov_b32_e32 v20, v9
	v_mov_b32_e32 v19, v8
.LBB212_1882:                           ;   in Loop: Header=BB212_1059 Depth=1
	s_or_b32 exec_lo, exec_lo, s18
.LBB212_1883:                           ;   in Loop: Header=BB212_1059 Depth=1
	s_or_b32 exec_lo, exec_lo, s17
.LBB212_1884:                           ;   in Loop: Header=BB212_1059 Depth=1
	s_or_b32 exec_lo, exec_lo, s15
	v_cmp_ne_u16_sdwa s4, v35, v9 src0_sel:BYTE_1 src1_sel:DWORD
	s_and_saveexec_b32 s15, s4
	s_cbranch_execz .LBB212_1892
; %bb.1885:                             ;   in Loop: Header=BB212_1059 Depth=1
	v_mov_b32_e32 v11, v9
	v_mov_b32_e32 v22, v12
	v_cmp_ne_u16_sdwa s4, v35, v96 src0_sel:BYTE_1 src1_sel:DWORD
	v_mov_b32_e32 v21, v11
	s_and_saveexec_b32 s17, s4
	s_cbranch_execz .LBB212_1891
; %bb.1886:                             ;   in Loop: Header=BB212_1059 Depth=1
	v_mov_b32_e32 v8, 0xffff
	v_mov_b32_e32 v13, v9
	;; [unrolled: 1-line block ×3, first 2 shown]
	s_mov_b32 s18, exec_lo
	v_and_b32_sdwa v8, v8, v35 dst_sel:DWORD dst_unused:UNUSED_PAD src0_sel:DWORD src1_sel:BYTE_1
	v_mov_b32_e32 v21, v13
	v_and_b32_e32 v11, 0x7f, v8
	v_cmpx_ne_u32_e32 0x7f, v11
	s_cbranch_execz .LBB212_1890
; %bb.1887:                             ;   in Loop: Header=BB212_1059 Depth=1
	v_and_b32_e32 v8, 7, v8
	v_lshrrev_b32_e32 v10, 3, v11
	s_mov_b32 s19, exec_lo
	v_cmpx_gt_u32_e32 8, v11
; %bb.1888:                             ;   in Loop: Header=BB212_1059 Depth=1
	v_ffbh_u32_e32 v10, v8
	v_min_u32_e32 v10, 32, v10
	v_subrev_nc_u32_e32 v11, 28, v10
	v_sub_nc_u32_e32 v10, 29, v10
	v_lshlrev_b64 v[21:22], v11, v[8:9]
	v_and_b32_e32 v8, 7, v21
; %bb.1889:                             ;   in Loop: Header=BB212_1059 Depth=1
	s_or_b32 exec_lo, exec_lo, s19
	v_lshlrev_b32_e32 v11, 16, v35
	v_lshlrev_b32_e32 v8, 20, v8
	v_lshl_add_u32 v10, v10, 23, 0x3c000000
	v_mov_b32_e32 v21, v9
	v_and_b32_e32 v11, 0x80000000, v11
	v_or3_b32 v22, v8, v11, v10
.LBB212_1890:                           ;   in Loop: Header=BB212_1059 Depth=1
	s_or_b32 exec_lo, exec_lo, s18
.LBB212_1891:                           ;   in Loop: Header=BB212_1059 Depth=1
	s_or_b32 exec_lo, exec_lo, s17
.LBB212_1892:                           ;   in Loop: Header=BB212_1059 Depth=1
	s_or_b32 exec_lo, exec_lo, s15
	v_mov_b32_e32 v10, 0
	v_mov_b32_e32 v23, 0
	v_and_b32_sdwa v8, v35, v98 dst_sel:DWORD dst_unused:UNUSED_PAD src0_sel:WORD_1 src1_sel:DWORD
	v_mov_b32_e32 v11, 0
	v_mov_b32_e32 v24, 0
	s_mov_b32 s15, exec_lo
	v_cmpx_ne_u16_e32 0, v8
	s_cbranch_execz .LBB212_1900
; %bb.1893:                             ;   in Loop: Header=BB212_1059 Depth=1
	v_bfrev_b32_e32 v23, 1
	v_mov_b32_e32 v24, 0
	s_mov_b32 s17, exec_lo
	v_cmpx_ne_u16_e32 0x80, v8
	s_cbranch_execz .LBB212_1899
; %bb.1894:                             ;   in Loop: Header=BB212_1059 Depth=1
	v_mov_b32_e32 v23, 0x7f800001
	v_bfe_u32 v97, v35, 16, 7
	v_mov_b32_e32 v24, 0
	s_mov_b32 s18, exec_lo
	v_cmpx_ne_u32_e32 0x7f, v97
	s_cbranch_execz .LBB212_1898
; %bb.1895:                             ;   in Loop: Header=BB212_1059 Depth=1
	v_mov_b32_e32 v8, 7
	v_lshrrev_b32_e32 v13, 3, v97
	s_mov_b32 s19, exec_lo
	v_and_b32_sdwa v8, v35, v8 dst_sel:DWORD dst_unused:UNUSED_PAD src0_sel:WORD_1 src1_sel:DWORD
	v_cmpx_gt_u32_e32 8, v97
; %bb.1896:                             ;   in Loop: Header=BB212_1059 Depth=1
	v_ffbh_u32_e32 v13, v8
	v_min_u32_e32 v13, 32, v13
	v_subrev_nc_u32_e32 v23, 28, v13
	v_sub_nc_u32_e32 v13, 29, v13
	v_lshlrev_b64 v[23:24], v23, v[8:9]
	v_and_b32_e32 v8, 7, v23
; %bb.1897:                             ;   in Loop: Header=BB212_1059 Depth=1
	s_or_b32 exec_lo, exec_lo, s19
	v_mov_b32_e32 v23, 24
	v_lshlrev_b32_e32 v8, 20, v8
	v_lshl_add_u32 v13, v13, 23, 0x3c000000
	v_lshlrev_b32_sdwa v23, v23, v35 dst_sel:DWORD dst_unused:UNUSED_PAD src0_sel:DWORD src1_sel:WORD_1
	v_and_b32_e32 v23, 0x80000000, v23
	v_or3_b32 v8, v8, v23, v13
	v_mov_b32_e32 v24, v9
	v_mov_b32_e32 v23, v8
.LBB212_1898:                           ;   in Loop: Header=BB212_1059 Depth=1
	s_or_b32 exec_lo, exec_lo, s18
.LBB212_1899:                           ;   in Loop: Header=BB212_1059 Depth=1
	s_or_b32 exec_lo, exec_lo, s17
.LBB212_1900:                           ;   in Loop: Header=BB212_1059 Depth=1
	s_or_b32 exec_lo, exec_lo, s15
	s_mov_b32 s15, exec_lo
	v_cmpx_lt_u32_e32 0xffffff, v35
	s_cbranch_execz .LBB212_1908
; %bb.1901:                             ;   in Loop: Header=BB212_1059 Depth=1
	v_mov_b32_e32 v11, v9
	v_cmp_ne_u32_sdwa s4, v35, v96 src0_sel:BYTE_3 src1_sel:DWORD
	v_mov_b32_e32 v10, v11
	v_mov_b32_e32 v11, v12
	s_and_saveexec_b32 s17, s4
	s_cbranch_execz .LBB212_1907
; %bb.1902:                             ;   in Loop: Header=BB212_1059 Depth=1
	v_mov_b32_e32 v13, v9
	v_bfe_u32 v97, v35, 24, 7
	s_mov_b32 s18, exec_lo
	v_mov_b32_e32 v10, v13
	v_mov_b32_e32 v11, v14
	v_cmpx_ne_u32_e32 0x7f, v97
	s_cbranch_execz .LBB212_1906
; %bb.1903:                             ;   in Loop: Header=BB212_1059 Depth=1
	v_mov_b32_e32 v8, 7
	v_lshrrev_b32_e32 v10, 3, v97
	s_mov_b32 s19, exec_lo
	v_and_b32_sdwa v8, v35, v8 dst_sel:DWORD dst_unused:UNUSED_PAD src0_sel:BYTE_3 src1_sel:DWORD
	v_cmpx_gt_u32_e32 8, v97
; %bb.1904:                             ;   in Loop: Header=BB212_1059 Depth=1
	v_ffbh_u32_e32 v10, v8
	v_min_u32_e32 v10, 32, v10
	v_subrev_nc_u32_e32 v11, 28, v10
	v_sub_nc_u32_e32 v10, 29, v10
	v_lshlrev_b64 v[99:100], v11, v[8:9]
	v_and_b32_e32 v8, 7, v99
; %bb.1905:                             ;   in Loop: Header=BB212_1059 Depth=1
	s_or_b32 exec_lo, exec_lo, s19
	v_mov_b32_e32 v11, 24
	v_lshlrev_b32_e32 v8, 20, v8
	v_lshl_add_u32 v10, v10, 23, 0x3c000000
	v_lshlrev_b32_sdwa v11, v11, v35 dst_sel:DWORD dst_unused:UNUSED_PAD src0_sel:DWORD src1_sel:BYTE_3
	v_and_b32_e32 v11, 0x80000000, v11
	v_or3_b32 v11, v8, v11, v10
	v_mov_b32_e32 v10, v9
.LBB212_1906:                           ;   in Loop: Header=BB212_1059 Depth=1
	s_or_b32 exec_lo, exec_lo, s18
.LBB212_1907:                           ;   in Loop: Header=BB212_1059 Depth=1
	s_or_b32 exec_lo, exec_lo, s17
.LBB212_1908:                           ;   in Loop: Header=BB212_1059 Depth=1
	s_or_b32 exec_lo, exec_lo, s15
	v_or_b32_e32 v8, v22, v20
	v_or_b32_e32 v13, v21, v19
	;; [unrolled: 1-line block ×4, first 2 shown]
	v_mul_f32_e32 v58, v118, v8
	v_mul_f32_e32 v57, v118, v13
	;; [unrolled: 1-line block ×4, first 2 shown]
	s_and_saveexec_b32 s15, vcc_lo
	s_cbranch_execz .LBB212_1910
; %bb.1909:                             ;   in Loop: Header=BB212_1059 Depth=1
	buffer_load_dword v8, off, s[0:3], s32 offset:200 ; 4-byte Folded Reload
	s_waitcnt vmcnt(0)
	v_cmp_lt_i32_e64 s4, v40, v8
	v_cndmask_b32_e64 v57, 0, v57, s4
	v_cmp_lt_i32_e64 s4, v43, v8
	v_cndmask_b32_e64 v58, 0, v58, s4
	;; [unrolled: 2-line block ×4, first 2 shown]
.LBB212_1910:                           ;   in Loop: Header=BB212_1059 Depth=1
	s_or_b32 exec_lo, exec_lo, s15
	flat_load_dword v97, v[0:1] offset:1152
	v_mov_b32_e32 v21, 0
	v_mov_b32_e32 v19, 0
	v_mov_b32_e32 v22, 0
	v_mov_b32_e32 v20, 0
	s_waitcnt vmcnt(0) lgkmcnt(0)
	v_cmp_ne_u16_sdwa s4, v97, v9 src0_sel:BYTE_0 src1_sel:DWORD
	s_and_saveexec_b32 s15, s4
	s_cbranch_execz .LBB212_1918
; %bb.1911:                             ;   in Loop: Header=BB212_1059 Depth=1
	v_bfrev_b32_e32 v19, 1
	v_mov_b32_e32 v20, 0
	v_cmp_ne_u16_sdwa s4, v97, v96 src0_sel:BYTE_0 src1_sel:DWORD
	s_and_saveexec_b32 s17, s4
	s_cbranch_execz .LBB212_1917
; %bb.1912:                             ;   in Loop: Header=BB212_1059 Depth=1
	v_mov_b32_e32 v19, 0x7f800001
	v_and_b32_e32 v11, 0x7f, v97
	v_mov_b32_e32 v20, 0
	s_mov_b32 s18, exec_lo
	v_cmpx_ne_u32_e32 0x7f, v11
	s_cbranch_execz .LBB212_1916
; %bb.1913:                             ;   in Loop: Header=BB212_1059 Depth=1
	v_and_b32_e32 v8, 7, v97
	v_lshrrev_b32_e32 v10, 3, v11
	s_mov_b32 s19, exec_lo
	v_cmpx_gt_u32_e32 8, v11
; %bb.1914:                             ;   in Loop: Header=BB212_1059 Depth=1
	v_ffbh_u32_e32 v10, v8
	v_min_u32_e32 v10, 32, v10
	v_subrev_nc_u32_e32 v11, 28, v10
	v_sub_nc_u32_e32 v10, 29, v10
	v_lshlrev_b64 v[19:20], v11, v[8:9]
	v_and_b32_e32 v8, 7, v19
; %bb.1915:                             ;   in Loop: Header=BB212_1059 Depth=1
	s_or_b32 exec_lo, exec_lo, s19
	v_lshlrev_b32_e32 v11, 24, v97
	v_lshlrev_b32_e32 v8, 20, v8
	v_lshl_add_u32 v10, v10, 23, 0x3c000000
	v_and_b32_e32 v11, 0x80000000, v11
	v_or3_b32 v8, v8, v11, v10
	v_mov_b32_e32 v20, v9
	v_mov_b32_e32 v19, v8
.LBB212_1916:                           ;   in Loop: Header=BB212_1059 Depth=1
	s_or_b32 exec_lo, exec_lo, s18
.LBB212_1917:                           ;   in Loop: Header=BB212_1059 Depth=1
	s_or_b32 exec_lo, exec_lo, s17
.LBB212_1918:                           ;   in Loop: Header=BB212_1059 Depth=1
	s_or_b32 exec_lo, exec_lo, s15
	v_cmp_ne_u16_sdwa s4, v97, v9 src0_sel:BYTE_1 src1_sel:DWORD
	s_and_saveexec_b32 s15, s4
	s_cbranch_execz .LBB212_1926
; %bb.1919:                             ;   in Loop: Header=BB212_1059 Depth=1
	v_mov_b32_e32 v11, v9
	v_mov_b32_e32 v22, v12
	v_cmp_ne_u16_sdwa s4, v97, v96 src0_sel:BYTE_1 src1_sel:DWORD
	v_mov_b32_e32 v21, v11
	s_and_saveexec_b32 s17, s4
	s_cbranch_execz .LBB212_1925
; %bb.1920:                             ;   in Loop: Header=BB212_1059 Depth=1
	v_mov_b32_e32 v8, 0xffff
	v_mov_b32_e32 v13, v9
	;; [unrolled: 1-line block ×3, first 2 shown]
	s_mov_b32 s18, exec_lo
	v_and_b32_sdwa v8, v8, v97 dst_sel:DWORD dst_unused:UNUSED_PAD src0_sel:DWORD src1_sel:BYTE_1
	v_mov_b32_e32 v21, v13
	v_and_b32_e32 v11, 0x7f, v8
	v_cmpx_ne_u32_e32 0x7f, v11
	s_cbranch_execz .LBB212_1924
; %bb.1921:                             ;   in Loop: Header=BB212_1059 Depth=1
	v_and_b32_e32 v8, 7, v8
	v_lshrrev_b32_e32 v10, 3, v11
	s_mov_b32 s19, exec_lo
	v_cmpx_gt_u32_e32 8, v11
; %bb.1922:                             ;   in Loop: Header=BB212_1059 Depth=1
	v_ffbh_u32_e32 v10, v8
	v_min_u32_e32 v10, 32, v10
	v_subrev_nc_u32_e32 v11, 28, v10
	v_sub_nc_u32_e32 v10, 29, v10
	v_lshlrev_b64 v[21:22], v11, v[8:9]
	v_and_b32_e32 v8, 7, v21
; %bb.1923:                             ;   in Loop: Header=BB212_1059 Depth=1
	s_or_b32 exec_lo, exec_lo, s19
	v_lshlrev_b32_e32 v11, 16, v97
	v_lshlrev_b32_e32 v8, 20, v8
	v_lshl_add_u32 v10, v10, 23, 0x3c000000
	v_mov_b32_e32 v21, v9
	v_and_b32_e32 v11, 0x80000000, v11
	v_or3_b32 v22, v8, v11, v10
.LBB212_1924:                           ;   in Loop: Header=BB212_1059 Depth=1
	s_or_b32 exec_lo, exec_lo, s18
.LBB212_1925:                           ;   in Loop: Header=BB212_1059 Depth=1
	s_or_b32 exec_lo, exec_lo, s17
.LBB212_1926:                           ;   in Loop: Header=BB212_1059 Depth=1
	s_or_b32 exec_lo, exec_lo, s15
	v_mov_b32_e32 v10, 0
	v_mov_b32_e32 v23, 0
	v_and_b32_sdwa v8, v97, v98 dst_sel:DWORD dst_unused:UNUSED_PAD src0_sel:WORD_1 src1_sel:DWORD
	v_mov_b32_e32 v11, 0
	v_mov_b32_e32 v24, 0
	s_mov_b32 s15, exec_lo
	v_cmpx_ne_u16_e32 0, v8
	s_cbranch_execz .LBB212_1934
; %bb.1927:                             ;   in Loop: Header=BB212_1059 Depth=1
	v_bfrev_b32_e32 v23, 1
	v_mov_b32_e32 v24, 0
	s_mov_b32 s17, exec_lo
	v_cmpx_ne_u16_e32 0x80, v8
	s_cbranch_execz .LBB212_1933
; %bb.1928:                             ;   in Loop: Header=BB212_1059 Depth=1
	v_mov_b32_e32 v23, 0x7f800001
	v_bfe_u32 v99, v97, 16, 7
	v_mov_b32_e32 v24, 0
	s_mov_b32 s18, exec_lo
	v_cmpx_ne_u32_e32 0x7f, v99
	s_cbranch_execz .LBB212_1932
; %bb.1929:                             ;   in Loop: Header=BB212_1059 Depth=1
	v_mov_b32_e32 v8, 7
	v_lshrrev_b32_e32 v13, 3, v99
	s_mov_b32 s19, exec_lo
	v_and_b32_sdwa v8, v97, v8 dst_sel:DWORD dst_unused:UNUSED_PAD src0_sel:WORD_1 src1_sel:DWORD
	v_cmpx_gt_u32_e32 8, v99
; %bb.1930:                             ;   in Loop: Header=BB212_1059 Depth=1
	v_ffbh_u32_e32 v13, v8
	v_min_u32_e32 v13, 32, v13
	v_subrev_nc_u32_e32 v23, 28, v13
	v_sub_nc_u32_e32 v13, 29, v13
	v_lshlrev_b64 v[23:24], v23, v[8:9]
	v_and_b32_e32 v8, 7, v23
; %bb.1931:                             ;   in Loop: Header=BB212_1059 Depth=1
	s_or_b32 exec_lo, exec_lo, s19
	v_mov_b32_e32 v23, 24
	v_lshlrev_b32_e32 v8, 20, v8
	v_lshl_add_u32 v13, v13, 23, 0x3c000000
	v_lshlrev_b32_sdwa v23, v23, v97 dst_sel:DWORD dst_unused:UNUSED_PAD src0_sel:DWORD src1_sel:WORD_1
	v_and_b32_e32 v23, 0x80000000, v23
	v_or3_b32 v8, v8, v23, v13
	v_mov_b32_e32 v24, v9
	v_mov_b32_e32 v23, v8
.LBB212_1932:                           ;   in Loop: Header=BB212_1059 Depth=1
	s_or_b32 exec_lo, exec_lo, s18
.LBB212_1933:                           ;   in Loop: Header=BB212_1059 Depth=1
	s_or_b32 exec_lo, exec_lo, s17
.LBB212_1934:                           ;   in Loop: Header=BB212_1059 Depth=1
	s_or_b32 exec_lo, exec_lo, s15
	s_mov_b32 s15, exec_lo
	v_cmpx_lt_u32_e32 0xffffff, v97
	s_cbranch_execz .LBB212_1942
; %bb.1935:                             ;   in Loop: Header=BB212_1059 Depth=1
	v_mov_b32_e32 v11, v9
	v_cmp_ne_u32_sdwa s4, v97, v96 src0_sel:BYTE_3 src1_sel:DWORD
	v_mov_b32_e32 v10, v11
	v_mov_b32_e32 v11, v12
	s_and_saveexec_b32 s17, s4
	s_cbranch_execz .LBB212_1941
; %bb.1936:                             ;   in Loop: Header=BB212_1059 Depth=1
	v_mov_b32_e32 v13, v9
	v_bfe_u32 v99, v97, 24, 7
	s_mov_b32 s18, exec_lo
	v_mov_b32_e32 v10, v13
	v_mov_b32_e32 v11, v14
	v_cmpx_ne_u32_e32 0x7f, v99
	s_cbranch_execz .LBB212_1940
; %bb.1937:                             ;   in Loop: Header=BB212_1059 Depth=1
	v_mov_b32_e32 v8, 7
	v_lshrrev_b32_e32 v10, 3, v99
	s_mov_b32 s19, exec_lo
	v_and_b32_sdwa v8, v97, v8 dst_sel:DWORD dst_unused:UNUSED_PAD src0_sel:BYTE_3 src1_sel:DWORD
	v_cmpx_gt_u32_e32 8, v99
; %bb.1938:                             ;   in Loop: Header=BB212_1059 Depth=1
	v_ffbh_u32_e32 v10, v8
	v_min_u32_e32 v10, 32, v10
	v_subrev_nc_u32_e32 v11, 28, v10
	v_sub_nc_u32_e32 v10, 29, v10
	v_lshlrev_b64 v[99:100], v11, v[8:9]
	v_and_b32_e32 v8, 7, v99
; %bb.1939:                             ;   in Loop: Header=BB212_1059 Depth=1
	s_or_b32 exec_lo, exec_lo, s19
	v_mov_b32_e32 v11, 24
	v_lshlrev_b32_e32 v8, 20, v8
	v_lshl_add_u32 v10, v10, 23, 0x3c000000
	v_lshlrev_b32_sdwa v11, v11, v97 dst_sel:DWORD dst_unused:UNUSED_PAD src0_sel:DWORD src1_sel:BYTE_3
	v_and_b32_e32 v11, 0x80000000, v11
	v_or3_b32 v11, v8, v11, v10
	v_mov_b32_e32 v10, v9
.LBB212_1940:                           ;   in Loop: Header=BB212_1059 Depth=1
	s_or_b32 exec_lo, exec_lo, s18
.LBB212_1941:                           ;   in Loop: Header=BB212_1059 Depth=1
	s_or_b32 exec_lo, exec_lo, s17
.LBB212_1942:                           ;   in Loop: Header=BB212_1059 Depth=1
	s_or_b32 exec_lo, exec_lo, s15
	v_or_b32_e32 v8, v22, v20
	v_or_b32_e32 v13, v21, v19
	;; [unrolled: 1-line block ×4, first 2 shown]
	v_mul_f32_e32 v62, v118, v8
	v_mul_f32_e32 v61, v118, v13
	;; [unrolled: 1-line block ×4, first 2 shown]
	s_and_saveexec_b32 s15, vcc_lo
	s_cbranch_execz .LBB212_1944
; %bb.1943:                             ;   in Loop: Header=BB212_1059 Depth=1
	buffer_load_dword v8, off, s[0:3], s32 offset:200 ; 4-byte Folded Reload
	s_waitcnt vmcnt(0)
	v_cmp_lt_i32_e64 s4, v40, v8
	v_cndmask_b32_e64 v61, 0, v61, s4
	v_cmp_lt_i32_e64 s4, v43, v8
	v_cndmask_b32_e64 v62, 0, v62, s4
	;; [unrolled: 2-line block ×4, first 2 shown]
.LBB212_1944:                           ;   in Loop: Header=BB212_1059 Depth=1
	s_or_b32 exec_lo, exec_lo, s15
	flat_load_dword v97, v[0:1] offset:1280
	v_mov_b32_e32 v21, 0
	v_mov_b32_e32 v19, 0
	;; [unrolled: 1-line block ×4, first 2 shown]
	s_waitcnt vmcnt(0) lgkmcnt(0)
	v_cmp_ne_u16_sdwa s4, v97, v9 src0_sel:BYTE_0 src1_sel:DWORD
	s_and_saveexec_b32 s15, s4
	s_cbranch_execz .LBB212_1952
; %bb.1945:                             ;   in Loop: Header=BB212_1059 Depth=1
	v_bfrev_b32_e32 v19, 1
	v_mov_b32_e32 v20, 0
	v_cmp_ne_u16_sdwa s4, v97, v96 src0_sel:BYTE_0 src1_sel:DWORD
	s_and_saveexec_b32 s17, s4
	s_cbranch_execz .LBB212_1951
; %bb.1946:                             ;   in Loop: Header=BB212_1059 Depth=1
	v_mov_b32_e32 v19, 0x7f800001
	v_and_b32_e32 v11, 0x7f, v97
	v_mov_b32_e32 v20, 0
	s_mov_b32 s18, exec_lo
	v_cmpx_ne_u32_e32 0x7f, v11
	s_cbranch_execz .LBB212_1950
; %bb.1947:                             ;   in Loop: Header=BB212_1059 Depth=1
	v_and_b32_e32 v8, 7, v97
	v_lshrrev_b32_e32 v10, 3, v11
	s_mov_b32 s19, exec_lo
	v_cmpx_gt_u32_e32 8, v11
; %bb.1948:                             ;   in Loop: Header=BB212_1059 Depth=1
	v_ffbh_u32_e32 v10, v8
	v_min_u32_e32 v10, 32, v10
	v_subrev_nc_u32_e32 v11, 28, v10
	v_sub_nc_u32_e32 v10, 29, v10
	v_lshlrev_b64 v[19:20], v11, v[8:9]
	v_and_b32_e32 v8, 7, v19
; %bb.1949:                             ;   in Loop: Header=BB212_1059 Depth=1
	s_or_b32 exec_lo, exec_lo, s19
	v_lshlrev_b32_e32 v11, 24, v97
	v_lshlrev_b32_e32 v8, 20, v8
	v_lshl_add_u32 v10, v10, 23, 0x3c000000
	v_and_b32_e32 v11, 0x80000000, v11
	v_or3_b32 v8, v8, v11, v10
	v_mov_b32_e32 v20, v9
	v_mov_b32_e32 v19, v8
.LBB212_1950:                           ;   in Loop: Header=BB212_1059 Depth=1
	s_or_b32 exec_lo, exec_lo, s18
.LBB212_1951:                           ;   in Loop: Header=BB212_1059 Depth=1
	s_or_b32 exec_lo, exec_lo, s17
.LBB212_1952:                           ;   in Loop: Header=BB212_1059 Depth=1
	s_or_b32 exec_lo, exec_lo, s15
	v_cmp_ne_u16_sdwa s4, v97, v9 src0_sel:BYTE_1 src1_sel:DWORD
	s_and_saveexec_b32 s15, s4
	s_cbranch_execz .LBB212_1960
; %bb.1953:                             ;   in Loop: Header=BB212_1059 Depth=1
	v_mov_b32_e32 v11, v9
	v_mov_b32_e32 v22, v12
	v_cmp_ne_u16_sdwa s4, v97, v96 src0_sel:BYTE_1 src1_sel:DWORD
	v_mov_b32_e32 v21, v11
	s_and_saveexec_b32 s17, s4
	s_cbranch_execz .LBB212_1959
; %bb.1954:                             ;   in Loop: Header=BB212_1059 Depth=1
	v_mov_b32_e32 v8, 0xffff
	v_mov_b32_e32 v13, v9
	;; [unrolled: 1-line block ×3, first 2 shown]
	s_mov_b32 s18, exec_lo
	v_and_b32_sdwa v8, v8, v97 dst_sel:DWORD dst_unused:UNUSED_PAD src0_sel:DWORD src1_sel:BYTE_1
	v_mov_b32_e32 v21, v13
	v_and_b32_e32 v11, 0x7f, v8
	v_cmpx_ne_u32_e32 0x7f, v11
	s_cbranch_execz .LBB212_1958
; %bb.1955:                             ;   in Loop: Header=BB212_1059 Depth=1
	v_and_b32_e32 v8, 7, v8
	v_lshrrev_b32_e32 v10, 3, v11
	s_mov_b32 s19, exec_lo
	v_cmpx_gt_u32_e32 8, v11
; %bb.1956:                             ;   in Loop: Header=BB212_1059 Depth=1
	v_ffbh_u32_e32 v10, v8
	v_min_u32_e32 v10, 32, v10
	v_subrev_nc_u32_e32 v11, 28, v10
	v_sub_nc_u32_e32 v10, 29, v10
	v_lshlrev_b64 v[21:22], v11, v[8:9]
	v_and_b32_e32 v8, 7, v21
; %bb.1957:                             ;   in Loop: Header=BB212_1059 Depth=1
	s_or_b32 exec_lo, exec_lo, s19
	v_lshlrev_b32_e32 v11, 16, v97
	v_lshlrev_b32_e32 v8, 20, v8
	v_lshl_add_u32 v10, v10, 23, 0x3c000000
	v_mov_b32_e32 v21, v9
	v_and_b32_e32 v11, 0x80000000, v11
	v_or3_b32 v22, v8, v11, v10
.LBB212_1958:                           ;   in Loop: Header=BB212_1059 Depth=1
	s_or_b32 exec_lo, exec_lo, s18
.LBB212_1959:                           ;   in Loop: Header=BB212_1059 Depth=1
	s_or_b32 exec_lo, exec_lo, s17
.LBB212_1960:                           ;   in Loop: Header=BB212_1059 Depth=1
	s_or_b32 exec_lo, exec_lo, s15
	v_mov_b32_e32 v10, 0
	v_mov_b32_e32 v23, 0
	v_and_b32_sdwa v8, v97, v98 dst_sel:DWORD dst_unused:UNUSED_PAD src0_sel:WORD_1 src1_sel:DWORD
	v_mov_b32_e32 v11, 0
	v_mov_b32_e32 v24, 0
	s_mov_b32 s15, exec_lo
	v_cmpx_ne_u16_e32 0, v8
	s_cbranch_execz .LBB212_1968
; %bb.1961:                             ;   in Loop: Header=BB212_1059 Depth=1
	v_bfrev_b32_e32 v23, 1
	v_mov_b32_e32 v24, 0
	s_mov_b32 s17, exec_lo
	v_cmpx_ne_u16_e32 0x80, v8
	s_cbranch_execz .LBB212_1967
; %bb.1962:                             ;   in Loop: Header=BB212_1059 Depth=1
	v_mov_b32_e32 v23, 0x7f800001
	v_bfe_u32 v99, v97, 16, 7
	v_mov_b32_e32 v24, 0
	s_mov_b32 s18, exec_lo
	v_cmpx_ne_u32_e32 0x7f, v99
	s_cbranch_execz .LBB212_1966
; %bb.1963:                             ;   in Loop: Header=BB212_1059 Depth=1
	v_mov_b32_e32 v8, 7
	v_lshrrev_b32_e32 v13, 3, v99
	s_mov_b32 s19, exec_lo
	v_and_b32_sdwa v8, v97, v8 dst_sel:DWORD dst_unused:UNUSED_PAD src0_sel:WORD_1 src1_sel:DWORD
	v_cmpx_gt_u32_e32 8, v99
; %bb.1964:                             ;   in Loop: Header=BB212_1059 Depth=1
	v_ffbh_u32_e32 v13, v8
	v_min_u32_e32 v13, 32, v13
	v_subrev_nc_u32_e32 v23, 28, v13
	v_sub_nc_u32_e32 v13, 29, v13
	v_lshlrev_b64 v[23:24], v23, v[8:9]
	v_and_b32_e32 v8, 7, v23
; %bb.1965:                             ;   in Loop: Header=BB212_1059 Depth=1
	s_or_b32 exec_lo, exec_lo, s19
	v_mov_b32_e32 v23, 24
	v_lshlrev_b32_e32 v8, 20, v8
	v_lshl_add_u32 v13, v13, 23, 0x3c000000
	v_lshlrev_b32_sdwa v23, v23, v97 dst_sel:DWORD dst_unused:UNUSED_PAD src0_sel:DWORD src1_sel:WORD_1
	v_and_b32_e32 v23, 0x80000000, v23
	v_or3_b32 v8, v8, v23, v13
	v_mov_b32_e32 v24, v9
	v_mov_b32_e32 v23, v8
.LBB212_1966:                           ;   in Loop: Header=BB212_1059 Depth=1
	s_or_b32 exec_lo, exec_lo, s18
.LBB212_1967:                           ;   in Loop: Header=BB212_1059 Depth=1
	s_or_b32 exec_lo, exec_lo, s17
.LBB212_1968:                           ;   in Loop: Header=BB212_1059 Depth=1
	s_or_b32 exec_lo, exec_lo, s15
	s_mov_b32 s15, exec_lo
	v_cmpx_lt_u32_e32 0xffffff, v97
	s_cbranch_execz .LBB212_1976
; %bb.1969:                             ;   in Loop: Header=BB212_1059 Depth=1
	v_mov_b32_e32 v11, v9
	v_cmp_ne_u32_sdwa s4, v97, v96 src0_sel:BYTE_3 src1_sel:DWORD
	v_mov_b32_e32 v10, v11
	v_mov_b32_e32 v11, v12
	s_and_saveexec_b32 s17, s4
	s_cbranch_execz .LBB212_1975
; %bb.1970:                             ;   in Loop: Header=BB212_1059 Depth=1
	v_mov_b32_e32 v13, v9
	v_bfe_u32 v99, v97, 24, 7
	s_mov_b32 s18, exec_lo
	v_mov_b32_e32 v10, v13
	v_mov_b32_e32 v11, v14
	v_cmpx_ne_u32_e32 0x7f, v99
	s_cbranch_execz .LBB212_1974
; %bb.1971:                             ;   in Loop: Header=BB212_1059 Depth=1
	v_mov_b32_e32 v8, 7
	v_lshrrev_b32_e32 v10, 3, v99
	s_mov_b32 s19, exec_lo
	v_and_b32_sdwa v8, v97, v8 dst_sel:DWORD dst_unused:UNUSED_PAD src0_sel:BYTE_3 src1_sel:DWORD
	v_cmpx_gt_u32_e32 8, v99
; %bb.1972:                             ;   in Loop: Header=BB212_1059 Depth=1
	v_ffbh_u32_e32 v10, v8
	v_min_u32_e32 v10, 32, v10
	v_subrev_nc_u32_e32 v11, 28, v10
	v_sub_nc_u32_e32 v10, 29, v10
	v_lshlrev_b64 v[99:100], v11, v[8:9]
	v_and_b32_e32 v8, 7, v99
; %bb.1973:                             ;   in Loop: Header=BB212_1059 Depth=1
	s_or_b32 exec_lo, exec_lo, s19
	v_mov_b32_e32 v11, 24
	v_lshlrev_b32_e32 v8, 20, v8
	v_lshl_add_u32 v10, v10, 23, 0x3c000000
	v_lshlrev_b32_sdwa v11, v11, v97 dst_sel:DWORD dst_unused:UNUSED_PAD src0_sel:DWORD src1_sel:BYTE_3
	v_and_b32_e32 v11, 0x80000000, v11
	v_or3_b32 v11, v8, v11, v10
	v_mov_b32_e32 v10, v9
.LBB212_1974:                           ;   in Loop: Header=BB212_1059 Depth=1
	s_or_b32 exec_lo, exec_lo, s18
.LBB212_1975:                           ;   in Loop: Header=BB212_1059 Depth=1
	s_or_b32 exec_lo, exec_lo, s17
.LBB212_1976:                           ;   in Loop: Header=BB212_1059 Depth=1
	s_or_b32 exec_lo, exec_lo, s15
	v_or_b32_e32 v8, v22, v20
	v_or_b32_e32 v13, v21, v19
	;; [unrolled: 1-line block ×4, first 2 shown]
	v_mul_f32_e32 v74, v118, v8
	v_mul_f32_e32 v73, v118, v13
	v_mul_f32_e32 v72, v118, v10
	v_mul_f32_e32 v63, v118, v11
	s_and_saveexec_b32 s15, vcc_lo
	s_cbranch_execz .LBB212_1978
; %bb.1977:                             ;   in Loop: Header=BB212_1059 Depth=1
	buffer_load_dword v8, off, s[0:3], s32 offset:200 ; 4-byte Folded Reload
	s_waitcnt vmcnt(0)
	v_cmp_lt_i32_e64 s4, v40, v8
	v_cndmask_b32_e64 v73, 0, v73, s4
	v_cmp_lt_i32_e64 s4, v43, v8
	v_cndmask_b32_e64 v74, 0, v74, s4
	;; [unrolled: 2-line block ×4, first 2 shown]
.LBB212_1978:                           ;   in Loop: Header=BB212_1059 Depth=1
	s_or_b32 exec_lo, exec_lo, s15
	flat_load_dword v97, v[0:1] offset:1408
	v_mov_b32_e32 v21, 0
	v_mov_b32_e32 v19, 0
	;; [unrolled: 1-line block ×4, first 2 shown]
	s_waitcnt vmcnt(0) lgkmcnt(0)
	v_cmp_ne_u16_sdwa s4, v97, v9 src0_sel:BYTE_0 src1_sel:DWORD
	s_and_saveexec_b32 s15, s4
	s_cbranch_execz .LBB212_1986
; %bb.1979:                             ;   in Loop: Header=BB212_1059 Depth=1
	v_bfrev_b32_e32 v19, 1
	v_mov_b32_e32 v20, 0
	v_cmp_ne_u16_sdwa s4, v97, v96 src0_sel:BYTE_0 src1_sel:DWORD
	s_and_saveexec_b32 s17, s4
	s_cbranch_execz .LBB212_1985
; %bb.1980:                             ;   in Loop: Header=BB212_1059 Depth=1
	v_mov_b32_e32 v19, 0x7f800001
	v_and_b32_e32 v11, 0x7f, v97
	v_mov_b32_e32 v20, 0
	s_mov_b32 s18, exec_lo
	v_cmpx_ne_u32_e32 0x7f, v11
	s_cbranch_execz .LBB212_1984
; %bb.1981:                             ;   in Loop: Header=BB212_1059 Depth=1
	v_and_b32_e32 v8, 7, v97
	v_lshrrev_b32_e32 v10, 3, v11
	s_mov_b32 s19, exec_lo
	v_cmpx_gt_u32_e32 8, v11
; %bb.1982:                             ;   in Loop: Header=BB212_1059 Depth=1
	v_ffbh_u32_e32 v10, v8
	v_min_u32_e32 v10, 32, v10
	v_subrev_nc_u32_e32 v11, 28, v10
	v_sub_nc_u32_e32 v10, 29, v10
	v_lshlrev_b64 v[19:20], v11, v[8:9]
	v_and_b32_e32 v8, 7, v19
; %bb.1983:                             ;   in Loop: Header=BB212_1059 Depth=1
	s_or_b32 exec_lo, exec_lo, s19
	v_lshlrev_b32_e32 v11, 24, v97
	v_lshlrev_b32_e32 v8, 20, v8
	v_lshl_add_u32 v10, v10, 23, 0x3c000000
	v_and_b32_e32 v11, 0x80000000, v11
	v_or3_b32 v8, v8, v11, v10
	v_mov_b32_e32 v20, v9
	v_mov_b32_e32 v19, v8
.LBB212_1984:                           ;   in Loop: Header=BB212_1059 Depth=1
	s_or_b32 exec_lo, exec_lo, s18
.LBB212_1985:                           ;   in Loop: Header=BB212_1059 Depth=1
	s_or_b32 exec_lo, exec_lo, s17
.LBB212_1986:                           ;   in Loop: Header=BB212_1059 Depth=1
	s_or_b32 exec_lo, exec_lo, s15
	v_cmp_ne_u16_sdwa s4, v97, v9 src0_sel:BYTE_1 src1_sel:DWORD
	s_and_saveexec_b32 s15, s4
	s_cbranch_execz .LBB212_1994
; %bb.1987:                             ;   in Loop: Header=BB212_1059 Depth=1
	v_mov_b32_e32 v11, v9
	v_mov_b32_e32 v22, v12
	v_cmp_ne_u16_sdwa s4, v97, v96 src0_sel:BYTE_1 src1_sel:DWORD
	v_mov_b32_e32 v21, v11
	s_and_saveexec_b32 s17, s4
	s_cbranch_execz .LBB212_1993
; %bb.1988:                             ;   in Loop: Header=BB212_1059 Depth=1
	v_mov_b32_e32 v8, 0xffff
	v_mov_b32_e32 v13, v9
	;; [unrolled: 1-line block ×3, first 2 shown]
	s_mov_b32 s18, exec_lo
	v_and_b32_sdwa v8, v8, v97 dst_sel:DWORD dst_unused:UNUSED_PAD src0_sel:DWORD src1_sel:BYTE_1
	v_mov_b32_e32 v21, v13
	v_and_b32_e32 v11, 0x7f, v8
	v_cmpx_ne_u32_e32 0x7f, v11
	s_cbranch_execz .LBB212_1992
; %bb.1989:                             ;   in Loop: Header=BB212_1059 Depth=1
	v_and_b32_e32 v8, 7, v8
	v_lshrrev_b32_e32 v10, 3, v11
	s_mov_b32 s19, exec_lo
	v_cmpx_gt_u32_e32 8, v11
; %bb.1990:                             ;   in Loop: Header=BB212_1059 Depth=1
	v_ffbh_u32_e32 v10, v8
	v_min_u32_e32 v10, 32, v10
	v_subrev_nc_u32_e32 v11, 28, v10
	v_sub_nc_u32_e32 v10, 29, v10
	v_lshlrev_b64 v[21:22], v11, v[8:9]
	v_and_b32_e32 v8, 7, v21
; %bb.1991:                             ;   in Loop: Header=BB212_1059 Depth=1
	s_or_b32 exec_lo, exec_lo, s19
	v_lshlrev_b32_e32 v11, 16, v97
	v_lshlrev_b32_e32 v8, 20, v8
	v_lshl_add_u32 v10, v10, 23, 0x3c000000
	v_mov_b32_e32 v21, v9
	v_and_b32_e32 v11, 0x80000000, v11
	v_or3_b32 v22, v8, v11, v10
.LBB212_1992:                           ;   in Loop: Header=BB212_1059 Depth=1
	s_or_b32 exec_lo, exec_lo, s18
.LBB212_1993:                           ;   in Loop: Header=BB212_1059 Depth=1
	s_or_b32 exec_lo, exec_lo, s17
.LBB212_1994:                           ;   in Loop: Header=BB212_1059 Depth=1
	s_or_b32 exec_lo, exec_lo, s15
	v_mov_b32_e32 v10, 0
	v_mov_b32_e32 v23, 0
	v_and_b32_sdwa v8, v97, v98 dst_sel:DWORD dst_unused:UNUSED_PAD src0_sel:WORD_1 src1_sel:DWORD
	v_mov_b32_e32 v11, 0
	v_mov_b32_e32 v24, 0
	s_mov_b32 s15, exec_lo
	v_cmpx_ne_u16_e32 0, v8
	s_cbranch_execz .LBB212_2002
; %bb.1995:                             ;   in Loop: Header=BB212_1059 Depth=1
	v_bfrev_b32_e32 v23, 1
	v_mov_b32_e32 v24, 0
	s_mov_b32 s17, exec_lo
	v_cmpx_ne_u16_e32 0x80, v8
	s_cbranch_execz .LBB212_2001
; %bb.1996:                             ;   in Loop: Header=BB212_1059 Depth=1
	v_mov_b32_e32 v23, 0x7f800001
	v_bfe_u32 v99, v97, 16, 7
	v_mov_b32_e32 v24, 0
	s_mov_b32 s18, exec_lo
	v_cmpx_ne_u32_e32 0x7f, v99
	s_cbranch_execz .LBB212_2000
; %bb.1997:                             ;   in Loop: Header=BB212_1059 Depth=1
	v_mov_b32_e32 v8, 7
	v_lshrrev_b32_e32 v13, 3, v99
	s_mov_b32 s19, exec_lo
	v_and_b32_sdwa v8, v97, v8 dst_sel:DWORD dst_unused:UNUSED_PAD src0_sel:WORD_1 src1_sel:DWORD
	v_cmpx_gt_u32_e32 8, v99
; %bb.1998:                             ;   in Loop: Header=BB212_1059 Depth=1
	v_ffbh_u32_e32 v13, v8
	v_min_u32_e32 v13, 32, v13
	v_subrev_nc_u32_e32 v23, 28, v13
	v_sub_nc_u32_e32 v13, 29, v13
	v_lshlrev_b64 v[23:24], v23, v[8:9]
	v_and_b32_e32 v8, 7, v23
; %bb.1999:                             ;   in Loop: Header=BB212_1059 Depth=1
	s_or_b32 exec_lo, exec_lo, s19
	v_mov_b32_e32 v23, 24
	v_lshlrev_b32_e32 v8, 20, v8
	v_lshl_add_u32 v13, v13, 23, 0x3c000000
	v_lshlrev_b32_sdwa v23, v23, v97 dst_sel:DWORD dst_unused:UNUSED_PAD src0_sel:DWORD src1_sel:WORD_1
	v_and_b32_e32 v23, 0x80000000, v23
	v_or3_b32 v8, v8, v23, v13
	v_mov_b32_e32 v24, v9
	v_mov_b32_e32 v23, v8
.LBB212_2000:                           ;   in Loop: Header=BB212_1059 Depth=1
	s_or_b32 exec_lo, exec_lo, s18
.LBB212_2001:                           ;   in Loop: Header=BB212_1059 Depth=1
	s_or_b32 exec_lo, exec_lo, s17
.LBB212_2002:                           ;   in Loop: Header=BB212_1059 Depth=1
	s_or_b32 exec_lo, exec_lo, s15
	s_mov_b32 s15, exec_lo
	v_cmpx_lt_u32_e32 0xffffff, v97
	s_cbranch_execz .LBB212_2010
; %bb.2003:                             ;   in Loop: Header=BB212_1059 Depth=1
	v_mov_b32_e32 v11, v9
	v_cmp_ne_u32_sdwa s4, v97, v96 src0_sel:BYTE_3 src1_sel:DWORD
	v_mov_b32_e32 v10, v11
	v_mov_b32_e32 v11, v12
	s_and_saveexec_b32 s17, s4
	s_cbranch_execz .LBB212_2009
; %bb.2004:                             ;   in Loop: Header=BB212_1059 Depth=1
	v_mov_b32_e32 v13, v9
	v_bfe_u32 v99, v97, 24, 7
	s_mov_b32 s18, exec_lo
	v_mov_b32_e32 v10, v13
	v_mov_b32_e32 v11, v14
	v_cmpx_ne_u32_e32 0x7f, v99
	s_cbranch_execz .LBB212_2008
; %bb.2005:                             ;   in Loop: Header=BB212_1059 Depth=1
	v_mov_b32_e32 v8, 7
	v_lshrrev_b32_e32 v10, 3, v99
	s_mov_b32 s19, exec_lo
	v_and_b32_sdwa v8, v97, v8 dst_sel:DWORD dst_unused:UNUSED_PAD src0_sel:BYTE_3 src1_sel:DWORD
	v_cmpx_gt_u32_e32 8, v99
; %bb.2006:                             ;   in Loop: Header=BB212_1059 Depth=1
	v_ffbh_u32_e32 v10, v8
	v_min_u32_e32 v10, 32, v10
	v_subrev_nc_u32_e32 v11, 28, v10
	v_sub_nc_u32_e32 v10, 29, v10
	v_lshlrev_b64 v[99:100], v11, v[8:9]
	v_and_b32_e32 v8, 7, v99
; %bb.2007:                             ;   in Loop: Header=BB212_1059 Depth=1
	s_or_b32 exec_lo, exec_lo, s19
	v_mov_b32_e32 v11, 24
	v_lshlrev_b32_e32 v8, 20, v8
	v_lshl_add_u32 v10, v10, 23, 0x3c000000
	v_lshlrev_b32_sdwa v11, v11, v97 dst_sel:DWORD dst_unused:UNUSED_PAD src0_sel:DWORD src1_sel:BYTE_3
	v_and_b32_e32 v11, 0x80000000, v11
	v_or3_b32 v11, v8, v11, v10
	v_mov_b32_e32 v10, v9
.LBB212_2008:                           ;   in Loop: Header=BB212_1059 Depth=1
	s_or_b32 exec_lo, exec_lo, s18
.LBB212_2009:                           ;   in Loop: Header=BB212_1059 Depth=1
	s_or_b32 exec_lo, exec_lo, s17
.LBB212_2010:                           ;   in Loop: Header=BB212_1059 Depth=1
	s_or_b32 exec_lo, exec_lo, s15
	v_or_b32_e32 v8, v22, v20
	v_or_b32_e32 v13, v21, v19
	;; [unrolled: 1-line block ×4, first 2 shown]
	v_mul_f32_e32 v78, v118, v8
	v_mul_f32_e32 v77, v118, v13
	;; [unrolled: 1-line block ×4, first 2 shown]
	s_and_saveexec_b32 s15, vcc_lo
	s_cbranch_execz .LBB212_2012
; %bb.2011:                             ;   in Loop: Header=BB212_1059 Depth=1
	buffer_load_dword v8, off, s[0:3], s32 offset:200 ; 4-byte Folded Reload
	s_waitcnt vmcnt(0)
	v_cmp_lt_i32_e64 s4, v40, v8
	v_cndmask_b32_e64 v77, 0, v77, s4
	v_cmp_lt_i32_e64 s4, v43, v8
	v_cndmask_b32_e64 v78, 0, v78, s4
	;; [unrolled: 2-line block ×4, first 2 shown]
.LBB212_2012:                           ;   in Loop: Header=BB212_1059 Depth=1
	s_or_b32 exec_lo, exec_lo, s15
	flat_load_dword v97, v[0:1] offset:1536
	v_mov_b32_e32 v21, 0
	v_mov_b32_e32 v19, 0
	;; [unrolled: 1-line block ×4, first 2 shown]
	s_waitcnt vmcnt(0) lgkmcnt(0)
	v_cmp_ne_u16_sdwa s4, v97, v9 src0_sel:BYTE_0 src1_sel:DWORD
	s_and_saveexec_b32 s15, s4
	s_cbranch_execz .LBB212_2020
; %bb.2013:                             ;   in Loop: Header=BB212_1059 Depth=1
	v_bfrev_b32_e32 v19, 1
	v_mov_b32_e32 v20, 0
	v_cmp_ne_u16_sdwa s4, v97, v96 src0_sel:BYTE_0 src1_sel:DWORD
	s_and_saveexec_b32 s17, s4
	s_cbranch_execz .LBB212_2019
; %bb.2014:                             ;   in Loop: Header=BB212_1059 Depth=1
	v_mov_b32_e32 v19, 0x7f800001
	v_and_b32_e32 v11, 0x7f, v97
	v_mov_b32_e32 v20, 0
	s_mov_b32 s18, exec_lo
	v_cmpx_ne_u32_e32 0x7f, v11
	s_cbranch_execz .LBB212_2018
; %bb.2015:                             ;   in Loop: Header=BB212_1059 Depth=1
	v_and_b32_e32 v8, 7, v97
	v_lshrrev_b32_e32 v10, 3, v11
	s_mov_b32 s19, exec_lo
	v_cmpx_gt_u32_e32 8, v11
; %bb.2016:                             ;   in Loop: Header=BB212_1059 Depth=1
	v_ffbh_u32_e32 v10, v8
	v_min_u32_e32 v10, 32, v10
	v_subrev_nc_u32_e32 v11, 28, v10
	v_sub_nc_u32_e32 v10, 29, v10
	v_lshlrev_b64 v[19:20], v11, v[8:9]
	v_and_b32_e32 v8, 7, v19
; %bb.2017:                             ;   in Loop: Header=BB212_1059 Depth=1
	s_or_b32 exec_lo, exec_lo, s19
	v_lshlrev_b32_e32 v11, 24, v97
	v_lshlrev_b32_e32 v8, 20, v8
	v_lshl_add_u32 v10, v10, 23, 0x3c000000
	v_and_b32_e32 v11, 0x80000000, v11
	v_or3_b32 v8, v8, v11, v10
	v_mov_b32_e32 v20, v9
	v_mov_b32_e32 v19, v8
.LBB212_2018:                           ;   in Loop: Header=BB212_1059 Depth=1
	s_or_b32 exec_lo, exec_lo, s18
.LBB212_2019:                           ;   in Loop: Header=BB212_1059 Depth=1
	s_or_b32 exec_lo, exec_lo, s17
.LBB212_2020:                           ;   in Loop: Header=BB212_1059 Depth=1
	s_or_b32 exec_lo, exec_lo, s15
	v_cmp_ne_u16_sdwa s4, v97, v9 src0_sel:BYTE_1 src1_sel:DWORD
	s_and_saveexec_b32 s15, s4
	s_cbranch_execz .LBB212_2028
; %bb.2021:                             ;   in Loop: Header=BB212_1059 Depth=1
	v_mov_b32_e32 v11, v9
	v_mov_b32_e32 v22, v12
	v_cmp_ne_u16_sdwa s4, v97, v96 src0_sel:BYTE_1 src1_sel:DWORD
	v_mov_b32_e32 v21, v11
	s_and_saveexec_b32 s17, s4
	s_cbranch_execz .LBB212_2027
; %bb.2022:                             ;   in Loop: Header=BB212_1059 Depth=1
	v_mov_b32_e32 v8, 0xffff
	v_mov_b32_e32 v13, v9
	;; [unrolled: 1-line block ×3, first 2 shown]
	s_mov_b32 s18, exec_lo
	v_and_b32_sdwa v8, v8, v97 dst_sel:DWORD dst_unused:UNUSED_PAD src0_sel:DWORD src1_sel:BYTE_1
	v_mov_b32_e32 v21, v13
	v_and_b32_e32 v11, 0x7f, v8
	v_cmpx_ne_u32_e32 0x7f, v11
	s_cbranch_execz .LBB212_2026
; %bb.2023:                             ;   in Loop: Header=BB212_1059 Depth=1
	v_and_b32_e32 v8, 7, v8
	v_lshrrev_b32_e32 v10, 3, v11
	s_mov_b32 s19, exec_lo
	v_cmpx_gt_u32_e32 8, v11
; %bb.2024:                             ;   in Loop: Header=BB212_1059 Depth=1
	v_ffbh_u32_e32 v10, v8
	v_min_u32_e32 v10, 32, v10
	v_subrev_nc_u32_e32 v11, 28, v10
	v_sub_nc_u32_e32 v10, 29, v10
	v_lshlrev_b64 v[21:22], v11, v[8:9]
	v_and_b32_e32 v8, 7, v21
; %bb.2025:                             ;   in Loop: Header=BB212_1059 Depth=1
	s_or_b32 exec_lo, exec_lo, s19
	v_lshlrev_b32_e32 v11, 16, v97
	v_lshlrev_b32_e32 v8, 20, v8
	v_lshl_add_u32 v10, v10, 23, 0x3c000000
	v_mov_b32_e32 v21, v9
	v_and_b32_e32 v11, 0x80000000, v11
	v_or3_b32 v22, v8, v11, v10
.LBB212_2026:                           ;   in Loop: Header=BB212_1059 Depth=1
	s_or_b32 exec_lo, exec_lo, s18
.LBB212_2027:                           ;   in Loop: Header=BB212_1059 Depth=1
	s_or_b32 exec_lo, exec_lo, s17
.LBB212_2028:                           ;   in Loop: Header=BB212_1059 Depth=1
	s_or_b32 exec_lo, exec_lo, s15
	v_mov_b32_e32 v10, 0
	v_mov_b32_e32 v23, 0
	v_and_b32_sdwa v8, v97, v98 dst_sel:DWORD dst_unused:UNUSED_PAD src0_sel:WORD_1 src1_sel:DWORD
	v_mov_b32_e32 v11, 0
	v_mov_b32_e32 v24, 0
	s_mov_b32 s15, exec_lo
	v_cmpx_ne_u16_e32 0, v8
	s_cbranch_execz .LBB212_2036
; %bb.2029:                             ;   in Loop: Header=BB212_1059 Depth=1
	v_bfrev_b32_e32 v23, 1
	v_mov_b32_e32 v24, 0
	s_mov_b32 s17, exec_lo
	v_cmpx_ne_u16_e32 0x80, v8
	s_cbranch_execz .LBB212_2035
; %bb.2030:                             ;   in Loop: Header=BB212_1059 Depth=1
	v_mov_b32_e32 v23, 0x7f800001
	v_bfe_u32 v99, v97, 16, 7
	v_mov_b32_e32 v24, 0
	s_mov_b32 s18, exec_lo
	v_cmpx_ne_u32_e32 0x7f, v99
	s_cbranch_execz .LBB212_2034
; %bb.2031:                             ;   in Loop: Header=BB212_1059 Depth=1
	v_mov_b32_e32 v8, 7
	v_lshrrev_b32_e32 v13, 3, v99
	s_mov_b32 s19, exec_lo
	v_and_b32_sdwa v8, v97, v8 dst_sel:DWORD dst_unused:UNUSED_PAD src0_sel:WORD_1 src1_sel:DWORD
	v_cmpx_gt_u32_e32 8, v99
; %bb.2032:                             ;   in Loop: Header=BB212_1059 Depth=1
	v_ffbh_u32_e32 v13, v8
	v_min_u32_e32 v13, 32, v13
	v_subrev_nc_u32_e32 v23, 28, v13
	v_sub_nc_u32_e32 v13, 29, v13
	v_lshlrev_b64 v[23:24], v23, v[8:9]
	v_and_b32_e32 v8, 7, v23
; %bb.2033:                             ;   in Loop: Header=BB212_1059 Depth=1
	s_or_b32 exec_lo, exec_lo, s19
	v_mov_b32_e32 v23, 24
	v_lshlrev_b32_e32 v8, 20, v8
	v_lshl_add_u32 v13, v13, 23, 0x3c000000
	v_lshlrev_b32_sdwa v23, v23, v97 dst_sel:DWORD dst_unused:UNUSED_PAD src0_sel:DWORD src1_sel:WORD_1
	v_and_b32_e32 v23, 0x80000000, v23
	v_or3_b32 v8, v8, v23, v13
	v_mov_b32_e32 v24, v9
	v_mov_b32_e32 v23, v8
.LBB212_2034:                           ;   in Loop: Header=BB212_1059 Depth=1
	s_or_b32 exec_lo, exec_lo, s18
.LBB212_2035:                           ;   in Loop: Header=BB212_1059 Depth=1
	s_or_b32 exec_lo, exec_lo, s17
.LBB212_2036:                           ;   in Loop: Header=BB212_1059 Depth=1
	s_or_b32 exec_lo, exec_lo, s15
	s_mov_b32 s15, exec_lo
	v_cmpx_lt_u32_e32 0xffffff, v97
	s_cbranch_execz .LBB212_2044
; %bb.2037:                             ;   in Loop: Header=BB212_1059 Depth=1
	v_mov_b32_e32 v11, v9
	v_cmp_ne_u32_sdwa s4, v97, v96 src0_sel:BYTE_3 src1_sel:DWORD
	v_mov_b32_e32 v10, v11
	v_mov_b32_e32 v11, v12
	s_and_saveexec_b32 s17, s4
	s_cbranch_execz .LBB212_2043
; %bb.2038:                             ;   in Loop: Header=BB212_1059 Depth=1
	v_mov_b32_e32 v13, v9
	v_bfe_u32 v99, v97, 24, 7
	s_mov_b32 s18, exec_lo
	v_mov_b32_e32 v10, v13
	v_mov_b32_e32 v11, v14
	v_cmpx_ne_u32_e32 0x7f, v99
	s_cbranch_execz .LBB212_2042
; %bb.2039:                             ;   in Loop: Header=BB212_1059 Depth=1
	v_mov_b32_e32 v8, 7
	v_lshrrev_b32_e32 v10, 3, v99
	s_mov_b32 s19, exec_lo
	v_and_b32_sdwa v8, v97, v8 dst_sel:DWORD dst_unused:UNUSED_PAD src0_sel:BYTE_3 src1_sel:DWORD
	v_cmpx_gt_u32_e32 8, v99
; %bb.2040:                             ;   in Loop: Header=BB212_1059 Depth=1
	v_ffbh_u32_e32 v10, v8
	v_min_u32_e32 v10, 32, v10
	v_subrev_nc_u32_e32 v11, 28, v10
	v_sub_nc_u32_e32 v10, 29, v10
	v_lshlrev_b64 v[99:100], v11, v[8:9]
	v_and_b32_e32 v8, 7, v99
; %bb.2041:                             ;   in Loop: Header=BB212_1059 Depth=1
	s_or_b32 exec_lo, exec_lo, s19
	v_mov_b32_e32 v11, 24
	v_lshlrev_b32_e32 v8, 20, v8
	v_lshl_add_u32 v10, v10, 23, 0x3c000000
	v_lshlrev_b32_sdwa v11, v11, v97 dst_sel:DWORD dst_unused:UNUSED_PAD src0_sel:DWORD src1_sel:BYTE_3
	v_and_b32_e32 v11, 0x80000000, v11
	v_or3_b32 v11, v8, v11, v10
	v_mov_b32_e32 v10, v9
.LBB212_2042:                           ;   in Loop: Header=BB212_1059 Depth=1
	s_or_b32 exec_lo, exec_lo, s18
.LBB212_2043:                           ;   in Loop: Header=BB212_1059 Depth=1
	s_or_b32 exec_lo, exec_lo, s17
.LBB212_2044:                           ;   in Loop: Header=BB212_1059 Depth=1
	s_or_b32 exec_lo, exec_lo, s15
	v_or_b32_e32 v8, v22, v20
	v_or_b32_e32 v13, v21, v19
	;; [unrolled: 1-line block ×4, first 2 shown]
	v_mul_f32_e32 v90, v118, v8
	v_mul_f32_e32 v89, v118, v13
	;; [unrolled: 1-line block ×4, first 2 shown]
	s_and_saveexec_b32 s15, vcc_lo
	s_cbranch_execz .LBB212_2046
; %bb.2045:                             ;   in Loop: Header=BB212_1059 Depth=1
	buffer_load_dword v8, off, s[0:3], s32 offset:200 ; 4-byte Folded Reload
	s_waitcnt vmcnt(0)
	v_cmp_lt_i32_e64 s4, v40, v8
	v_cndmask_b32_e64 v89, 0, v89, s4
	v_cmp_lt_i32_e64 s4, v43, v8
	v_cndmask_b32_e64 v90, 0, v90, s4
	;; [unrolled: 2-line block ×4, first 2 shown]
.LBB212_2046:                           ;   in Loop: Header=BB212_1059 Depth=1
	s_or_b32 exec_lo, exec_lo, s15
	flat_load_dword v97, v[0:1] offset:1664
	v_mov_b32_e32 v21, 0
	v_mov_b32_e32 v19, 0
	;; [unrolled: 1-line block ×4, first 2 shown]
	s_waitcnt vmcnt(0) lgkmcnt(0)
	v_cmp_ne_u16_sdwa s4, v97, v9 src0_sel:BYTE_0 src1_sel:DWORD
	s_and_saveexec_b32 s15, s4
	s_cbranch_execz .LBB212_2054
; %bb.2047:                             ;   in Loop: Header=BB212_1059 Depth=1
	v_bfrev_b32_e32 v19, 1
	v_mov_b32_e32 v20, 0
	v_cmp_ne_u16_sdwa s4, v97, v96 src0_sel:BYTE_0 src1_sel:DWORD
	s_and_saveexec_b32 s17, s4
	s_cbranch_execz .LBB212_2053
; %bb.2048:                             ;   in Loop: Header=BB212_1059 Depth=1
	v_mov_b32_e32 v19, 0x7f800001
	v_and_b32_e32 v11, 0x7f, v97
	v_mov_b32_e32 v20, 0
	s_mov_b32 s18, exec_lo
	v_cmpx_ne_u32_e32 0x7f, v11
	s_cbranch_execz .LBB212_2052
; %bb.2049:                             ;   in Loop: Header=BB212_1059 Depth=1
	v_and_b32_e32 v8, 7, v97
	v_lshrrev_b32_e32 v10, 3, v11
	s_mov_b32 s19, exec_lo
	v_cmpx_gt_u32_e32 8, v11
; %bb.2050:                             ;   in Loop: Header=BB212_1059 Depth=1
	v_ffbh_u32_e32 v10, v8
	v_min_u32_e32 v10, 32, v10
	v_subrev_nc_u32_e32 v11, 28, v10
	v_sub_nc_u32_e32 v10, 29, v10
	v_lshlrev_b64 v[19:20], v11, v[8:9]
	v_and_b32_e32 v8, 7, v19
; %bb.2051:                             ;   in Loop: Header=BB212_1059 Depth=1
	s_or_b32 exec_lo, exec_lo, s19
	v_lshlrev_b32_e32 v11, 24, v97
	v_lshlrev_b32_e32 v8, 20, v8
	v_lshl_add_u32 v10, v10, 23, 0x3c000000
	v_and_b32_e32 v11, 0x80000000, v11
	v_or3_b32 v8, v8, v11, v10
	v_mov_b32_e32 v20, v9
	v_mov_b32_e32 v19, v8
.LBB212_2052:                           ;   in Loop: Header=BB212_1059 Depth=1
	s_or_b32 exec_lo, exec_lo, s18
.LBB212_2053:                           ;   in Loop: Header=BB212_1059 Depth=1
	s_or_b32 exec_lo, exec_lo, s17
.LBB212_2054:                           ;   in Loop: Header=BB212_1059 Depth=1
	s_or_b32 exec_lo, exec_lo, s15
	v_cmp_ne_u16_sdwa s4, v97, v9 src0_sel:BYTE_1 src1_sel:DWORD
	s_and_saveexec_b32 s15, s4
	s_cbranch_execz .LBB212_2062
; %bb.2055:                             ;   in Loop: Header=BB212_1059 Depth=1
	v_mov_b32_e32 v11, v9
	v_mov_b32_e32 v22, v12
	v_cmp_ne_u16_sdwa s4, v97, v96 src0_sel:BYTE_1 src1_sel:DWORD
	v_mov_b32_e32 v21, v11
	s_and_saveexec_b32 s17, s4
	s_cbranch_execz .LBB212_2061
; %bb.2056:                             ;   in Loop: Header=BB212_1059 Depth=1
	v_mov_b32_e32 v8, 0xffff
	v_mov_b32_e32 v13, v9
	;; [unrolled: 1-line block ×3, first 2 shown]
	s_mov_b32 s18, exec_lo
	v_and_b32_sdwa v8, v8, v97 dst_sel:DWORD dst_unused:UNUSED_PAD src0_sel:DWORD src1_sel:BYTE_1
	v_mov_b32_e32 v21, v13
	v_and_b32_e32 v11, 0x7f, v8
	v_cmpx_ne_u32_e32 0x7f, v11
	s_cbranch_execz .LBB212_2060
; %bb.2057:                             ;   in Loop: Header=BB212_1059 Depth=1
	v_and_b32_e32 v8, 7, v8
	v_lshrrev_b32_e32 v10, 3, v11
	s_mov_b32 s19, exec_lo
	v_cmpx_gt_u32_e32 8, v11
; %bb.2058:                             ;   in Loop: Header=BB212_1059 Depth=1
	v_ffbh_u32_e32 v10, v8
	v_min_u32_e32 v10, 32, v10
	v_subrev_nc_u32_e32 v11, 28, v10
	v_sub_nc_u32_e32 v10, 29, v10
	v_lshlrev_b64 v[21:22], v11, v[8:9]
	v_and_b32_e32 v8, 7, v21
; %bb.2059:                             ;   in Loop: Header=BB212_1059 Depth=1
	s_or_b32 exec_lo, exec_lo, s19
	v_lshlrev_b32_e32 v11, 16, v97
	v_lshlrev_b32_e32 v8, 20, v8
	v_lshl_add_u32 v10, v10, 23, 0x3c000000
	v_mov_b32_e32 v21, v9
	v_and_b32_e32 v11, 0x80000000, v11
	v_or3_b32 v22, v8, v11, v10
.LBB212_2060:                           ;   in Loop: Header=BB212_1059 Depth=1
	s_or_b32 exec_lo, exec_lo, s18
.LBB212_2061:                           ;   in Loop: Header=BB212_1059 Depth=1
	s_or_b32 exec_lo, exec_lo, s17
.LBB212_2062:                           ;   in Loop: Header=BB212_1059 Depth=1
	s_or_b32 exec_lo, exec_lo, s15
	v_mov_b32_e32 v10, 0
	v_mov_b32_e32 v23, 0
	v_and_b32_sdwa v8, v97, v98 dst_sel:DWORD dst_unused:UNUSED_PAD src0_sel:WORD_1 src1_sel:DWORD
	v_mov_b32_e32 v11, 0
	v_mov_b32_e32 v24, 0
	s_mov_b32 s15, exec_lo
	v_cmpx_ne_u16_e32 0, v8
	s_cbranch_execz .LBB212_2070
; %bb.2063:                             ;   in Loop: Header=BB212_1059 Depth=1
	v_bfrev_b32_e32 v23, 1
	v_mov_b32_e32 v24, 0
	s_mov_b32 s17, exec_lo
	v_cmpx_ne_u16_e32 0x80, v8
	s_cbranch_execz .LBB212_2069
; %bb.2064:                             ;   in Loop: Header=BB212_1059 Depth=1
	v_mov_b32_e32 v23, 0x7f800001
	v_bfe_u32 v99, v97, 16, 7
	v_mov_b32_e32 v24, 0
	s_mov_b32 s18, exec_lo
	v_cmpx_ne_u32_e32 0x7f, v99
	s_cbranch_execz .LBB212_2068
; %bb.2065:                             ;   in Loop: Header=BB212_1059 Depth=1
	v_mov_b32_e32 v8, 7
	v_lshrrev_b32_e32 v13, 3, v99
	s_mov_b32 s19, exec_lo
	v_and_b32_sdwa v8, v97, v8 dst_sel:DWORD dst_unused:UNUSED_PAD src0_sel:WORD_1 src1_sel:DWORD
	v_cmpx_gt_u32_e32 8, v99
; %bb.2066:                             ;   in Loop: Header=BB212_1059 Depth=1
	v_ffbh_u32_e32 v13, v8
	v_min_u32_e32 v13, 32, v13
	v_subrev_nc_u32_e32 v23, 28, v13
	v_sub_nc_u32_e32 v13, 29, v13
	v_lshlrev_b64 v[23:24], v23, v[8:9]
	v_and_b32_e32 v8, 7, v23
; %bb.2067:                             ;   in Loop: Header=BB212_1059 Depth=1
	s_or_b32 exec_lo, exec_lo, s19
	v_mov_b32_e32 v23, 24
	v_lshlrev_b32_e32 v8, 20, v8
	v_lshl_add_u32 v13, v13, 23, 0x3c000000
	v_lshlrev_b32_sdwa v23, v23, v97 dst_sel:DWORD dst_unused:UNUSED_PAD src0_sel:DWORD src1_sel:WORD_1
	v_and_b32_e32 v23, 0x80000000, v23
	v_or3_b32 v8, v8, v23, v13
	v_mov_b32_e32 v24, v9
	v_mov_b32_e32 v23, v8
.LBB212_2068:                           ;   in Loop: Header=BB212_1059 Depth=1
	s_or_b32 exec_lo, exec_lo, s18
.LBB212_2069:                           ;   in Loop: Header=BB212_1059 Depth=1
	s_or_b32 exec_lo, exec_lo, s17
.LBB212_2070:                           ;   in Loop: Header=BB212_1059 Depth=1
	s_or_b32 exec_lo, exec_lo, s15
	s_mov_b32 s15, exec_lo
	v_cmpx_lt_u32_e32 0xffffff, v97
	s_cbranch_execz .LBB212_2078
; %bb.2071:                             ;   in Loop: Header=BB212_1059 Depth=1
	v_mov_b32_e32 v11, v9
	v_cmp_ne_u32_sdwa s4, v97, v96 src0_sel:BYTE_3 src1_sel:DWORD
	v_mov_b32_e32 v10, v11
	v_mov_b32_e32 v11, v12
	s_and_saveexec_b32 s17, s4
	s_cbranch_execz .LBB212_2077
; %bb.2072:                             ;   in Loop: Header=BB212_1059 Depth=1
	v_mov_b32_e32 v13, v9
	v_bfe_u32 v99, v97, 24, 7
	s_mov_b32 s18, exec_lo
	v_mov_b32_e32 v10, v13
	v_mov_b32_e32 v11, v14
	v_cmpx_ne_u32_e32 0x7f, v99
	s_cbranch_execz .LBB212_2076
; %bb.2073:                             ;   in Loop: Header=BB212_1059 Depth=1
	v_mov_b32_e32 v8, 7
	v_lshrrev_b32_e32 v10, 3, v99
	s_mov_b32 s19, exec_lo
	v_and_b32_sdwa v8, v97, v8 dst_sel:DWORD dst_unused:UNUSED_PAD src0_sel:BYTE_3 src1_sel:DWORD
	v_cmpx_gt_u32_e32 8, v99
; %bb.2074:                             ;   in Loop: Header=BB212_1059 Depth=1
	v_ffbh_u32_e32 v10, v8
	v_min_u32_e32 v10, 32, v10
	v_subrev_nc_u32_e32 v11, 28, v10
	v_sub_nc_u32_e32 v10, 29, v10
	v_lshlrev_b64 v[99:100], v11, v[8:9]
	v_and_b32_e32 v8, 7, v99
; %bb.2075:                             ;   in Loop: Header=BB212_1059 Depth=1
	s_or_b32 exec_lo, exec_lo, s19
	v_mov_b32_e32 v11, 24
	v_lshlrev_b32_e32 v8, 20, v8
	v_lshl_add_u32 v10, v10, 23, 0x3c000000
	v_lshlrev_b32_sdwa v11, v11, v97 dst_sel:DWORD dst_unused:UNUSED_PAD src0_sel:DWORD src1_sel:BYTE_3
	v_and_b32_e32 v11, 0x80000000, v11
	v_or3_b32 v11, v8, v11, v10
	v_mov_b32_e32 v10, v9
.LBB212_2076:                           ;   in Loop: Header=BB212_1059 Depth=1
	s_or_b32 exec_lo, exec_lo, s18
.LBB212_2077:                           ;   in Loop: Header=BB212_1059 Depth=1
	s_or_b32 exec_lo, exec_lo, s17
.LBB212_2078:                           ;   in Loop: Header=BB212_1059 Depth=1
	s_or_b32 exec_lo, exec_lo, s15
	v_or_b32_e32 v8, v22, v20
	v_or_b32_e32 v13, v21, v19
	;; [unrolled: 1-line block ×4, first 2 shown]
	v_mul_f32_e32 v99, v118, v8
	v_mul_f32_e32 v97, v118, v13
	;; [unrolled: 1-line block ×4, first 2 shown]
	s_and_saveexec_b32 s15, vcc_lo
	s_cbranch_execz .LBB212_2080
; %bb.2079:                             ;   in Loop: Header=BB212_1059 Depth=1
	buffer_load_dword v8, off, s[0:3], s32 offset:200 ; 4-byte Folded Reload
	s_waitcnt vmcnt(0)
	v_cmp_lt_i32_e64 s4, v40, v8
	v_cndmask_b32_e64 v97, 0, v97, s4
	v_cmp_lt_i32_e64 s4, v43, v8
	v_cndmask_b32_e64 v99, 0, v99, s4
	;; [unrolled: 2-line block ×4, first 2 shown]
.LBB212_2080:                           ;   in Loop: Header=BB212_1059 Depth=1
	s_or_b32 exec_lo, exec_lo, s15
	flat_load_dword v100, v[0:1] offset:1792
	v_mov_b32_e32 v19, 0
	v_mov_b32_e32 v0, 0
	;; [unrolled: 1-line block ×4, first 2 shown]
	s_waitcnt vmcnt(0) lgkmcnt(0)
	v_cmp_ne_u16_sdwa s4, v100, v9 src0_sel:BYTE_0 src1_sel:DWORD
	s_and_saveexec_b32 s15, s4
	s_cbranch_execz .LBB212_2088
; %bb.2081:                             ;   in Loop: Header=BB212_1059 Depth=1
	v_bfrev_b32_e32 v0, 1
	v_mov_b32_e32 v1, 0
	v_cmp_ne_u16_sdwa s4, v100, v96 src0_sel:BYTE_0 src1_sel:DWORD
	s_and_saveexec_b32 s17, s4
	s_cbranch_execz .LBB212_2087
; %bb.2082:                             ;   in Loop: Header=BB212_1059 Depth=1
	v_mov_b32_e32 v0, 0x7f800001
	v_and_b32_e32 v10, 0x7f, v100
	v_mov_b32_e32 v1, 0
	s_mov_b32 s18, exec_lo
	v_cmpx_ne_u32_e32 0x7f, v10
	s_cbranch_execz .LBB212_2086
; %bb.2083:                             ;   in Loop: Header=BB212_1059 Depth=1
	v_and_b32_e32 v8, 7, v100
	v_lshrrev_b32_e32 v0, 3, v10
	s_mov_b32 s19, exec_lo
	v_cmpx_gt_u32_e32 8, v10
; %bb.2084:                             ;   in Loop: Header=BB212_1059 Depth=1
	v_ffbh_u32_e32 v0, v8
	v_min_u32_e32 v0, 32, v0
	v_subrev_nc_u32_e32 v1, 28, v0
	v_sub_nc_u32_e32 v0, 29, v0
	v_lshlrev_b64 v[10:11], v1, v[8:9]
	v_and_b32_e32 v8, 7, v10
; %bb.2085:                             ;   in Loop: Header=BB212_1059 Depth=1
	s_or_b32 exec_lo, exec_lo, s19
	v_lshlrev_b32_e32 v1, 24, v100
	v_lshlrev_b32_e32 v8, 20, v8
	v_lshl_add_u32 v0, v0, 23, 0x3c000000
	v_and_b32_e32 v1, 0x80000000, v1
	v_or3_b32 v8, v8, v1, v0
	v_mov_b32_e32 v0, v8
	v_mov_b32_e32 v1, v9
.LBB212_2086:                           ;   in Loop: Header=BB212_1059 Depth=1
	s_or_b32 exec_lo, exec_lo, s18
.LBB212_2087:                           ;   in Loop: Header=BB212_1059 Depth=1
	s_or_b32 exec_lo, exec_lo, s17
.LBB212_2088:                           ;   in Loop: Header=BB212_1059 Depth=1
	s_or_b32 exec_lo, exec_lo, s15
	v_cmp_ne_u16_sdwa s4, v100, v9 src0_sel:BYTE_1 src1_sel:DWORD
	s_and_saveexec_b32 s15, s4
	s_cbranch_execz .LBB212_2096
; %bb.2089:                             ;   in Loop: Header=BB212_1059 Depth=1
	v_mov_b32_e32 v11, v9
	v_mov_b32_e32 v20, v12
	v_cmp_ne_u16_sdwa s4, v100, v96 src0_sel:BYTE_1 src1_sel:DWORD
	v_mov_b32_e32 v19, v11
	s_and_saveexec_b32 s17, s4
	s_cbranch_execz .LBB212_2095
; %bb.2090:                             ;   in Loop: Header=BB212_1059 Depth=1
	v_mov_b32_e32 v8, 0xffff
	v_mov_b32_e32 v13, v9
	;; [unrolled: 1-line block ×3, first 2 shown]
	s_mov_b32 s18, exec_lo
	v_and_b32_sdwa v8, v8, v100 dst_sel:DWORD dst_unused:UNUSED_PAD src0_sel:DWORD src1_sel:BYTE_1
	v_mov_b32_e32 v19, v13
	v_and_b32_e32 v11, 0x7f, v8
	v_cmpx_ne_u32_e32 0x7f, v11
	s_cbranch_execz .LBB212_2094
; %bb.2091:                             ;   in Loop: Header=BB212_1059 Depth=1
	v_and_b32_e32 v8, 7, v8
	v_lshrrev_b32_e32 v10, 3, v11
	s_mov_b32 s19, exec_lo
	v_cmpx_gt_u32_e32 8, v11
; %bb.2092:                             ;   in Loop: Header=BB212_1059 Depth=1
	v_ffbh_u32_e32 v10, v8
	v_min_u32_e32 v10, 32, v10
	v_subrev_nc_u32_e32 v11, 28, v10
	v_sub_nc_u32_e32 v10, 29, v10
	v_lshlrev_b64 v[19:20], v11, v[8:9]
	v_and_b32_e32 v8, 7, v19
; %bb.2093:                             ;   in Loop: Header=BB212_1059 Depth=1
	s_or_b32 exec_lo, exec_lo, s19
	v_lshlrev_b32_e32 v11, 16, v100
	v_lshlrev_b32_e32 v8, 20, v8
	v_lshl_add_u32 v10, v10, 23, 0x3c000000
	v_mov_b32_e32 v19, v9
	v_and_b32_e32 v11, 0x80000000, v11
	v_or3_b32 v20, v8, v11, v10
.LBB212_2094:                           ;   in Loop: Header=BB212_1059 Depth=1
	s_or_b32 exec_lo, exec_lo, s18
.LBB212_2095:                           ;   in Loop: Header=BB212_1059 Depth=1
	s_or_b32 exec_lo, exec_lo, s17
.LBB212_2096:                           ;   in Loop: Header=BB212_1059 Depth=1
	s_or_b32 exec_lo, exec_lo, s15
	v_mov_b32_e32 v10, 0
	v_mov_b32_e32 v21, 0
	v_and_b32_sdwa v8, v100, v98 dst_sel:DWORD dst_unused:UNUSED_PAD src0_sel:WORD_1 src1_sel:DWORD
	v_mov_b32_e32 v11, 0
	v_mov_b32_e32 v22, 0
	s_mov_b32 s15, exec_lo
	v_cmpx_ne_u16_e32 0, v8
	s_cbranch_execz .LBB212_2104
; %bb.2097:                             ;   in Loop: Header=BB212_1059 Depth=1
	v_bfrev_b32_e32 v21, 1
	v_mov_b32_e32 v22, 0
	s_mov_b32 s17, exec_lo
	v_cmpx_ne_u16_e32 0x80, v8
	s_cbranch_execz .LBB212_2103
; %bb.2098:                             ;   in Loop: Header=BB212_1059 Depth=1
	v_mov_b32_e32 v21, 0x7f800001
	v_bfe_u32 v91, v100, 16, 7
	v_mov_b32_e32 v22, 0
	s_mov_b32 s18, exec_lo
	v_cmpx_ne_u32_e32 0x7f, v91
	s_cbranch_execz .LBB212_2102
; %bb.2099:                             ;   in Loop: Header=BB212_1059 Depth=1
	v_mov_b32_e32 v8, 7
	v_lshrrev_b32_e32 v13, 3, v91
	s_mov_b32 s19, exec_lo
	v_and_b32_sdwa v8, v100, v8 dst_sel:DWORD dst_unused:UNUSED_PAD src0_sel:WORD_1 src1_sel:DWORD
	v_cmpx_gt_u32_e32 8, v91
; %bb.2100:                             ;   in Loop: Header=BB212_1059 Depth=1
	v_ffbh_u32_e32 v13, v8
	v_min_u32_e32 v13, 32, v13
	v_subrev_nc_u32_e32 v21, 28, v13
	v_sub_nc_u32_e32 v13, 29, v13
	v_lshlrev_b64 v[21:22], v21, v[8:9]
	v_and_b32_e32 v8, 7, v21
; %bb.2101:                             ;   in Loop: Header=BB212_1059 Depth=1
	s_or_b32 exec_lo, exec_lo, s19
	v_mov_b32_e32 v21, 24
	v_lshlrev_b32_e32 v8, 20, v8
	v_lshl_add_u32 v13, v13, 23, 0x3c000000
	v_lshlrev_b32_sdwa v21, v21, v100 dst_sel:DWORD dst_unused:UNUSED_PAD src0_sel:DWORD src1_sel:WORD_1
	v_and_b32_e32 v21, 0x80000000, v21
	v_or3_b32 v8, v8, v21, v13
	v_mov_b32_e32 v22, v9
	v_mov_b32_e32 v21, v8
.LBB212_2102:                           ;   in Loop: Header=BB212_1059 Depth=1
	s_or_b32 exec_lo, exec_lo, s18
.LBB212_2103:                           ;   in Loop: Header=BB212_1059 Depth=1
	s_or_b32 exec_lo, exec_lo, s17
.LBB212_2104:                           ;   in Loop: Header=BB212_1059 Depth=1
	s_or_b32 exec_lo, exec_lo, s15
	s_mov_b32 s15, exec_lo
	v_cmpx_lt_u32_e32 0xffffff, v100
	s_cbranch_execz .LBB212_2112
; %bb.2105:                             ;   in Loop: Header=BB212_1059 Depth=1
	v_mov_b32_e32 v11, v9
	v_cmp_ne_u32_sdwa s4, v100, v96 src0_sel:BYTE_3 src1_sel:DWORD
	v_mov_b32_e32 v10, v11
	v_mov_b32_e32 v11, v12
	s_and_saveexec_b32 s17, s4
	s_cbranch_execz .LBB212_2111
; %bb.2106:                             ;   in Loop: Header=BB212_1059 Depth=1
	v_mov_b32_e32 v13, v9
	v_bfe_u32 v91, v100, 24, 7
	s_mov_b32 s18, exec_lo
	v_mov_b32_e32 v10, v13
	v_mov_b32_e32 v11, v14
	v_cmpx_ne_u32_e32 0x7f, v91
	s_cbranch_execz .LBB212_2110
; %bb.2107:                             ;   in Loop: Header=BB212_1059 Depth=1
	v_mov_b32_e32 v8, 7
	v_lshrrev_b32_e32 v10, 3, v91
	s_mov_b32 s19, exec_lo
	v_and_b32_sdwa v8, v100, v8 dst_sel:DWORD dst_unused:UNUSED_PAD src0_sel:BYTE_3 src1_sel:DWORD
	v_cmpx_gt_u32_e32 8, v91
; %bb.2108:                             ;   in Loop: Header=BB212_1059 Depth=1
	v_ffbh_u32_e32 v10, v8
	v_min_u32_e32 v10, 32, v10
	v_subrev_nc_u32_e32 v11, 28, v10
	v_sub_nc_u32_e32 v10, 29, v10
	v_lshlrev_b64 v[91:92], v11, v[8:9]
	v_and_b32_e32 v8, 7, v91
; %bb.2109:                             ;   in Loop: Header=BB212_1059 Depth=1
	s_or_b32 exec_lo, exec_lo, s19
	v_mov_b32_e32 v11, 24
	v_lshlrev_b32_e32 v8, 20, v8
	v_lshl_add_u32 v10, v10, 23, 0x3c000000
	v_lshlrev_b32_sdwa v11, v11, v100 dst_sel:DWORD dst_unused:UNUSED_PAD src0_sel:DWORD src1_sel:BYTE_3
	v_and_b32_e32 v11, 0x80000000, v11
	v_or3_b32 v11, v8, v11, v10
	v_mov_b32_e32 v10, v9
.LBB212_2110:                           ;   in Loop: Header=BB212_1059 Depth=1
	s_or_b32 exec_lo, exec_lo, s18
.LBB212_2111:                           ;   in Loop: Header=BB212_1059 Depth=1
	s_or_b32 exec_lo, exec_lo, s17
.LBB212_2112:                           ;   in Loop: Header=BB212_1059 Depth=1
	s_or_b32 exec_lo, exec_lo, s15
	v_or_b32_e32 v1, v20, v1
	v_or_b32_e32 v0, v19, v0
	v_or_b32_e32 v8, v10, v21
	v_or_b32_e32 v10, v11, v22
	v_mul_f32_e32 v91, v118, v1
	v_mul_f32_e32 v100, v118, v0
	v_mul_f32_e32 v22, v118, v8
	v_mul_f32_e32 v21, v118, v10
	s_and_saveexec_b32 s15, vcc_lo
	s_cbranch_execz .LBB212_2114
; %bb.2113:                             ;   in Loop: Header=BB212_1059 Depth=1
	buffer_load_dword v0, off, s[0:3], s32 offset:200 ; 4-byte Folded Reload
	s_waitcnt vmcnt(0)
	v_cmp_lt_i32_e64 s4, v40, v0
	v_cndmask_b32_e64 v100, 0, v100, s4
	v_cmp_lt_i32_e64 s4, v43, v0
	v_cndmask_b32_e64 v91, 0, v91, s4
	;; [unrolled: 2-line block ×4, first 2 shown]
.LBB212_2114:                           ;   in Loop: Header=BB212_1059 Depth=1
	s_or_b32 exec_lo, exec_lo, s15
	buffer_load_dword v0, off, s[0:3], s32 offset:748 ; 4-byte Folded Reload
	s_waitcnt vmcnt(0)
	v_add_co_u32 v0, s4, v17, v0
	v_add_co_ci_u32_e64 v1, null, 0, v18, s4
	v_mov_b32_e32 v17, 0
	v_mov_b32_e32 v18, 0
	flat_load_dword v92, v[0:1]
	v_mov_b32_e32 v0, 0
	v_mov_b32_e32 v1, 0
	s_waitcnt vmcnt(0) lgkmcnt(0)
	v_cmp_ne_u16_sdwa s4, v92, v9 src0_sel:BYTE_0 src1_sel:DWORD
	s_and_saveexec_b32 s15, s4
	s_cbranch_execz .LBB212_2122
; %bb.2115:                             ;   in Loop: Header=BB212_1059 Depth=1
	v_bfrev_b32_e32 v0, 1
	v_mov_b32_e32 v1, 0
	v_cmp_ne_u16_sdwa s4, v92, v96 src0_sel:BYTE_0 src1_sel:DWORD
	s_and_saveexec_b32 s17, s4
	s_cbranch_execz .LBB212_2121
; %bb.2116:                             ;   in Loop: Header=BB212_1059 Depth=1
	v_mov_b32_e32 v0, 0x7f800001
	v_and_b32_e32 v10, 0x7f, v92
	v_mov_b32_e32 v1, 0
	s_mov_b32 s18, exec_lo
	v_cmpx_ne_u32_e32 0x7f, v10
	s_cbranch_execz .LBB212_2120
; %bb.2117:                             ;   in Loop: Header=BB212_1059 Depth=1
	v_and_b32_e32 v8, 7, v92
	v_lshrrev_b32_e32 v0, 3, v10
	s_mov_b32 s19, exec_lo
	v_cmpx_gt_u32_e32 8, v10
; %bb.2118:                             ;   in Loop: Header=BB212_1059 Depth=1
	v_ffbh_u32_e32 v0, v8
	v_min_u32_e32 v0, 32, v0
	v_subrev_nc_u32_e32 v1, 28, v0
	v_sub_nc_u32_e32 v0, 29, v0
	v_lshlrev_b64 v[10:11], v1, v[8:9]
	v_and_b32_e32 v8, 7, v10
; %bb.2119:                             ;   in Loop: Header=BB212_1059 Depth=1
	s_or_b32 exec_lo, exec_lo, s19
	v_lshlrev_b32_e32 v1, 24, v92
	v_lshlrev_b32_e32 v8, 20, v8
	v_lshl_add_u32 v0, v0, 23, 0x3c000000
	v_and_b32_e32 v1, 0x80000000, v1
	v_or3_b32 v8, v8, v1, v0
	v_mov_b32_e32 v0, v8
	v_mov_b32_e32 v1, v9
.LBB212_2120:                           ;   in Loop: Header=BB212_1059 Depth=1
	s_or_b32 exec_lo, exec_lo, s18
.LBB212_2121:                           ;   in Loop: Header=BB212_1059 Depth=1
	s_or_b32 exec_lo, exec_lo, s17
.LBB212_2122:                           ;   in Loop: Header=BB212_1059 Depth=1
	s_or_b32 exec_lo, exec_lo, s15
	v_cmp_ne_u16_sdwa s4, v92, v9 src0_sel:BYTE_1 src1_sel:DWORD
	s_and_saveexec_b32 s15, s4
	s_cbranch_execz .LBB212_2130
; %bb.2123:                             ;   in Loop: Header=BB212_1059 Depth=1
	v_mov_b32_e32 v11, v9
	v_mov_b32_e32 v18, v12
	v_cmp_ne_u16_sdwa s4, v92, v96 src0_sel:BYTE_1 src1_sel:DWORD
	v_mov_b32_e32 v17, v11
	s_and_saveexec_b32 s17, s4
	s_cbranch_execz .LBB212_2129
; %bb.2124:                             ;   in Loop: Header=BB212_1059 Depth=1
	v_mov_b32_e32 v8, 0xffff
	v_mov_b32_e32 v13, v9
	;; [unrolled: 1-line block ×3, first 2 shown]
	s_mov_b32 s18, exec_lo
	v_and_b32_sdwa v8, v8, v92 dst_sel:DWORD dst_unused:UNUSED_PAD src0_sel:DWORD src1_sel:BYTE_1
	v_mov_b32_e32 v17, v13
	v_and_b32_e32 v11, 0x7f, v8
	v_cmpx_ne_u32_e32 0x7f, v11
	s_cbranch_execz .LBB212_2128
; %bb.2125:                             ;   in Loop: Header=BB212_1059 Depth=1
	v_and_b32_e32 v8, 7, v8
	v_lshrrev_b32_e32 v10, 3, v11
	s_mov_b32 s19, exec_lo
	v_cmpx_gt_u32_e32 8, v11
; %bb.2126:                             ;   in Loop: Header=BB212_1059 Depth=1
	v_ffbh_u32_e32 v10, v8
	v_min_u32_e32 v10, 32, v10
	v_subrev_nc_u32_e32 v11, 28, v10
	v_sub_nc_u32_e32 v10, 29, v10
	v_lshlrev_b64 v[17:18], v11, v[8:9]
	v_and_b32_e32 v8, 7, v17
; %bb.2127:                             ;   in Loop: Header=BB212_1059 Depth=1
	s_or_b32 exec_lo, exec_lo, s19
	v_lshlrev_b32_e32 v11, 16, v92
	v_lshlrev_b32_e32 v8, 20, v8
	v_lshl_add_u32 v10, v10, 23, 0x3c000000
	v_mov_b32_e32 v17, v9
	v_and_b32_e32 v11, 0x80000000, v11
	v_or3_b32 v18, v8, v11, v10
.LBB212_2128:                           ;   in Loop: Header=BB212_1059 Depth=1
	s_or_b32 exec_lo, exec_lo, s18
.LBB212_2129:                           ;   in Loop: Header=BB212_1059 Depth=1
	s_or_b32 exec_lo, exec_lo, s17
.LBB212_2130:                           ;   in Loop: Header=BB212_1059 Depth=1
	s_or_b32 exec_lo, exec_lo, s15
	v_mov_b32_e32 v10, 0
	v_mov_b32_e32 v19, 0
	v_and_b32_sdwa v8, v92, v98 dst_sel:DWORD dst_unused:UNUSED_PAD src0_sel:WORD_1 src1_sel:DWORD
	v_mov_b32_e32 v11, 0
	v_mov_b32_e32 v20, 0
	s_mov_b32 s15, exec_lo
	v_cmpx_ne_u16_e32 0, v8
	s_cbranch_execz .LBB212_2138
; %bb.2131:                             ;   in Loop: Header=BB212_1059 Depth=1
	v_bfrev_b32_e32 v19, 1
	v_mov_b32_e32 v20, 0
	s_mov_b32 s17, exec_lo
	v_cmpx_ne_u16_e32 0x80, v8
	s_cbranch_execz .LBB212_2137
; %bb.2132:                             ;   in Loop: Header=BB212_1059 Depth=1
	v_mov_b32_e32 v19, 0x7f800001
	v_mov_b32_e32 v27, v93
	v_bfe_u32 v93, v92, 16, 7
	v_mov_b32_e32 v20, 0
	s_mov_b32 s18, exec_lo
	v_cmpx_ne_u32_e32 0x7f, v93
	s_cbranch_execz .LBB212_2136
; %bb.2133:                             ;   in Loop: Header=BB212_1059 Depth=1
	v_mov_b32_e32 v8, 7
	v_lshrrev_b32_e32 v13, 3, v93
	s_mov_b32 s19, exec_lo
	v_and_b32_sdwa v8, v92, v8 dst_sel:DWORD dst_unused:UNUSED_PAD src0_sel:WORD_1 src1_sel:DWORD
	v_cmpx_gt_u32_e32 8, v93
; %bb.2134:                             ;   in Loop: Header=BB212_1059 Depth=1
	v_ffbh_u32_e32 v13, v8
	v_min_u32_e32 v13, 32, v13
	v_subrev_nc_u32_e32 v19, 28, v13
	v_sub_nc_u32_e32 v13, 29, v13
	v_lshlrev_b64 v[19:20], v19, v[8:9]
	v_and_b32_e32 v8, 7, v19
; %bb.2135:                             ;   in Loop: Header=BB212_1059 Depth=1
	s_or_b32 exec_lo, exec_lo, s19
	v_mov_b32_e32 v19, 24
	v_lshlrev_b32_e32 v8, 20, v8
	v_lshl_add_u32 v13, v13, 23, 0x3c000000
	v_lshlrev_b32_sdwa v19, v19, v92 dst_sel:DWORD dst_unused:UNUSED_PAD src0_sel:DWORD src1_sel:WORD_1
	v_and_b32_e32 v19, 0x80000000, v19
	v_or3_b32 v8, v8, v19, v13
	v_mov_b32_e32 v20, v9
	v_mov_b32_e32 v19, v8
.LBB212_2136:                           ;   in Loop: Header=BB212_1059 Depth=1
	s_or_b32 exec_lo, exec_lo, s18
	v_mov_b32_e32 v93, v27
.LBB212_2137:                           ;   in Loop: Header=BB212_1059 Depth=1
	s_or_b32 exec_lo, exec_lo, s17
.LBB212_2138:                           ;   in Loop: Header=BB212_1059 Depth=1
	s_or_b32 exec_lo, exec_lo, s15
	s_mov_b32 s15, exec_lo
	v_cmpx_lt_u32_e32 0xffffff, v92
	s_cbranch_execz .LBB212_2146
; %bb.2139:                             ;   in Loop: Header=BB212_1059 Depth=1
	v_mov_b32_e32 v11, v9
	v_cmp_ne_u32_sdwa s4, v92, v96 src0_sel:BYTE_3 src1_sel:DWORD
	v_mov_b32_e32 v10, v11
	v_mov_b32_e32 v11, v12
	s_and_saveexec_b32 s17, s4
	s_cbranch_execz .LBB212_2145
; %bb.2140:                             ;   in Loop: Header=BB212_1059 Depth=1
	v_mov_b32_e32 v13, v9
	v_mov_b32_e32 v27, v93
	v_bfe_u32 v93, v92, 24, 7
	s_mov_b32 s18, exec_lo
	v_mov_b32_e32 v10, v13
	v_mov_b32_e32 v11, v14
	v_cmpx_ne_u32_e32 0x7f, v93
	s_cbranch_execz .LBB212_2144
; %bb.2141:                             ;   in Loop: Header=BB212_1059 Depth=1
	v_mov_b32_e32 v8, 7
	v_lshrrev_b32_e32 v10, 3, v93
	s_mov_b32 s19, exec_lo
	v_and_b32_sdwa v8, v92, v8 dst_sel:DWORD dst_unused:UNUSED_PAD src0_sel:BYTE_3 src1_sel:DWORD
	v_cmpx_gt_u32_e32 8, v93
	s_cbranch_execz .LBB212_2143
; %bb.2142:                             ;   in Loop: Header=BB212_1059 Depth=1
	v_ffbh_u32_e32 v10, v8
	v_mov_b32_e32 v13, v94
	v_min_u32_e32 v10, 32, v10
	v_subrev_nc_u32_e32 v11, 28, v10
	v_sub_nc_u32_e32 v10, 29, v10
	v_lshlrev_b64 v[93:94], v11, v[8:9]
	v_mov_b32_e32 v94, v13
	v_and_b32_e32 v8, 7, v93
.LBB212_2143:                           ;   in Loop: Header=BB212_1059 Depth=1
	s_or_b32 exec_lo, exec_lo, s19
	v_mov_b32_e32 v11, 24
	v_lshlrev_b32_e32 v8, 20, v8
	v_lshl_add_u32 v10, v10, 23, 0x3c000000
	v_lshlrev_b32_sdwa v11, v11, v92 dst_sel:DWORD dst_unused:UNUSED_PAD src0_sel:DWORD src1_sel:BYTE_3
	v_and_b32_e32 v11, 0x80000000, v11
	v_or3_b32 v11, v8, v11, v10
	v_mov_b32_e32 v10, v9
.LBB212_2144:                           ;   in Loop: Header=BB212_1059 Depth=1
	s_or_b32 exec_lo, exec_lo, s18
	v_mov_b32_e32 v93, v27
.LBB212_2145:                           ;   in Loop: Header=BB212_1059 Depth=1
	s_or_b32 exec_lo, exec_lo, s17
.LBB212_2146:                           ;   in Loop: Header=BB212_1059 Depth=1
	s_or_b32 exec_lo, exec_lo, s15
	v_or_b32_e32 v1, v18, v1
	v_or_b32_e32 v0, v17, v0
	;; [unrolled: 1-line block ×4, first 2 shown]
	v_mul_f32_e32 v10, v118, v1
	v_mul_f32_e32 v8, v118, v0
	;; [unrolled: 1-line block ×4, first 2 shown]
	s_and_saveexec_b32 s4, vcc_lo
	s_cbranch_execz .LBB212_1057
; %bb.2147:                             ;   in Loop: Header=BB212_1059 Depth=1
	buffer_load_dword v11, off, s[0:3], s32 offset:200 ; 4-byte Folded Reload
	s_waitcnt vmcnt(0)
	v_cmp_lt_i32_e32 vcc_lo, v40, v11
	v_cndmask_b32_e32 v8, 0, v8, vcc_lo
	v_cmp_lt_i32_e32 vcc_lo, v43, v11
	v_cndmask_b32_e32 v10, 0, v10, vcc_lo
	;; [unrolled: 2-line block ×4, first 2 shown]
	s_branch .LBB212_1057
.LBB212_2148:
	s_or_b32 exec_lo, exec_lo, s6
	s_clause 0x18
	buffer_load_dword v68, off, s[0:3], s32 offset:756
	buffer_load_dword v27, off, s[0:3], s32 offset:764
	;; [unrolled: 1-line block ×25, first 2 shown]
.LBB212_2149:
	s_or_b32 exec_lo, exec_lo, s5
	s_waitcnt vmcnt(23)
	ds_bpermute_b32 v3, v27, v5
	ds_bpermute_b32 v2, v27, v6
	s_waitcnt vmcnt(2)
	ds_bpermute_b32 v4, v27, v31
	s_waitcnt vmcnt(1)
	ds_bpermute_b32 v0, v27, v34
	v_mov_b32_e32 v32, v5
	ds_bpermute_b32 v5, v27, v30
	ds_bpermute_b32 v7, v27, v23
	v_mov_b32_e32 v33, v6
	ds_bpermute_b32 v8, v27, v24
	ds_bpermute_b32 v16, v27, v20
	;; [unrolled: 1-line block ×9, first 2 shown]
	s_waitcnt vmcnt(0)
	ds_bpermute_b32 v1, v27, v36
	ds_bpermute_b32 v13, v27, v35
	s_waitcnt lgkmcnt(0)
	s_waitcnt_vscnt null, 0x0
	v_add_f32_e32 v3, v32, v3
	v_add_f32_e32 v2, v33, v2
	;; [unrolled: 1-line block ×3, first 2 shown]
	v_mov_b32_e32 v33, v20
	v_add_f32_e32 v0, v34, v0
	ds_bpermute_b32 v20, v95, v3
	v_add_f32_e32 v5, v30, v5
	v_add_f32_e32 v7, v23, v7
	v_mov_b32_e32 v23, v19
	ds_bpermute_b32 v19, v95, v2
	v_mov_b32_e32 v34, v21
	ds_bpermute_b32 v21, v95, v4
	;; [unrolled: 2-line block ×3, first 2 shown]
	v_add_f32_e32 v8, v24, v8
	v_mov_b32_e32 v30, v18
	v_add_f32_e32 v9, v23, v9
	v_add_f32_e32 v12, v28, v12
	;; [unrolled: 1-line block ×3, first 2 shown]
	ds_bpermute_b32 v28, v95, v8
	v_add_f32_e32 v10, v30, v10
	v_add_f32_e32 v11, v29, v11
	ds_bpermute_b32 v29, v95, v9
	v_add_f32_e32 v1, v36, v1
	ds_bpermute_b32 v17, v95, v0
	s_waitcnt lgkmcnt(6)
	v_add_f32_e32 v3, v3, v20
	ds_bpermute_b32 v23, v95, v6
	ds_bpermute_b32 v30, v95, v10
	;; [unrolled: 1-line block ×3, first 2 shown]
	s_waitcnt lgkmcnt(8)
	v_add_f32_e32 v2, v2, v19
	v_add_f32_e32 v16, v33, v16
	s_waitcnt lgkmcnt(7)
	v_add_f32_e32 v4, v4, v21
	ds_bpermute_b32 v21, v25, v3
	s_waitcnt lgkmcnt(7)
	v_add_f32_e32 v5, v5, v22
	ds_bpermute_b32 v20, v25, v2
	v_add_f32_e32 v15, v34, v15
	ds_bpermute_b32 v22, v25, v4
	ds_bpermute_b32 v33, v27, v48
	;; [unrolled: 1-line block ×3, first 2 shown]
	s_waitcnt lgkmcnt(10)
	v_add_f32_e32 v8, v8, v28
	ds_bpermute_b32 v34, v27, v39
	ds_bpermute_b32 v31, v95, v11
	s_waitcnt lgkmcnt(11)
	v_add_f32_e32 v9, v9, v29
	v_add_f32_e32 v13, v35, v13
	ds_bpermute_b32 v29, v25, v8
	s_waitcnt lgkmcnt(11)
	v_add_f32_e32 v0, v0, v17
	s_waitcnt lgkmcnt(10)
	v_add_f32_e32 v6, v6, v23
	;; [unrolled: 2-line block ×3, first 2 shown]
	ds_bpermute_b32 v23, v25, v5
	ds_bpermute_b32 v30, v25, v9
	;; [unrolled: 1-line block ×3, first 2 shown]
	s_waitcnt lgkmcnt(11)
	v_add_f32_e32 v1, v1, v18
	s_waitcnt lgkmcnt(10)
	v_add_f32_e32 v3, v3, v21
	ds_bpermute_b32 v21, v95, v16
	s_waitcnt lgkmcnt(10)
	v_add_f32_e32 v2, v2, v20
	ds_bpermute_b32 v20, v95, v15
	;; [unrolled: 3-line block ×3, first 2 shown]
	ds_bpermute_b32 v18, v25, v0
	s_waitcnt lgkmcnt(10)
	v_add_f32_e32 v7, v7, v24
	ds_bpermute_b32 v17, v95, v12
	s_waitcnt lgkmcnt(9)
	v_add_f32_e32 v11, v11, v31
	ds_bpermute_b32 v24, v25, v6
	ds_bpermute_b32 v31, v25, v10
	s_waitcnt lgkmcnt(10)
	v_add_f32_e32 v8, v8, v29
	ds_bpermute_b32 v28, v25, v7
	ds_bpermute_b32 v36, v27, v37
	v_add_f32_e32 v14, v32, v14
	s_waitcnt lgkmcnt(11)
	v_add_f32_e32 v5, v5, v23
	s_waitcnt lgkmcnt(10)
	;; [unrolled: 2-line block ×3, first 2 shown]
	v_add_f32_e32 v23, v38, v35
	ds_bpermute_b32 v35, v27, v54
	ds_bpermute_b32 v32, v25, v11
	s_waitcnt lgkmcnt(10)
	v_add_f32_e32 v16, v16, v21
	v_add_f32_e32 v21, v48, v33
	s_waitcnt lgkmcnt(9)
	v_add_f32_e32 v15, v15, v20
	ds_bpermute_b32 v33, v27, v64
	s_waitcnt lgkmcnt(9)
	v_add_f32_e32 v20, v65, v22
	v_add_f32_e32 v22, v39, v34
	ds_bpermute_b32 v29, v95, v21
	ds_bpermute_b32 v34, v27, v55
	s_waitcnt lgkmcnt(10)
	v_add_f32_e32 v0, v0, v18
	ds_bpermute_b32 v18, v95, v13
	ds_bpermute_b32 v30, v95, v22
	s_waitcnt lgkmcnt(10)
	v_add_f32_e32 v6, v6, v24
	s_waitcnt lgkmcnt(8)
	v_add_f32_e32 v7, v7, v28
	v_add_f32_e32 v12, v12, v17
	;; [unrolled: 1-line block ×3, first 2 shown]
	s_waitcnt lgkmcnt(7)
	v_add_f32_e32 v24, v37, v36
	ds_bpermute_b32 v28, v95, v20
	ds_bpermute_b32 v31, v95, v23
	;; [unrolled: 1-line block ×3, first 2 shown]
	s_waitcnt lgkmcnt(8)
	v_add_f32_e32 v11, v11, v32
	ds_bpermute_b32 v32, v95, v24
	ds_bpermute_b32 v36, v27, v53
	s_barrier
	s_waitcnt lgkmcnt(0)
	buffer_gl0_inv
	ds_bpermute_b32 v19, v25, v1
	ds_bpermute_b32 v37, v27, v52
	v_add_f32_e32 v21, v21, v29
	v_add_f32_e32 v29, v55, v34
	ds_bpermute_b32 v38, v27, v50
	v_add_f32_e32 v13, v13, v18
	v_add_f32_e32 v22, v22, v30
	v_add_f32_e32 v30, v54, v35
	ds_bpermute_b32 v34, v95, v29
	ds_bpermute_b32 v54, v25, v21
	;; [unrolled: 1-line block ×5, first 2 shown]
	v_add_f32_e32 v20, v20, v28
	v_add_f32_e32 v23, v23, v31
	;; [unrolled: 1-line block ×3, first 2 shown]
	ds_bpermute_b32 v17, v25, v15
	v_add_f32_e32 v24, v24, v32
	v_add_f32_e32 v28, v64, v33
	;; [unrolled: 1-line block ×3, first 2 shown]
	ds_bpermute_b32 v53, v25, v20
	ds_bpermute_b32 v64, v25, v23
	;; [unrolled: 1-line block ×3, first 2 shown]
	s_waitcnt lgkmcnt(11)
	v_add_f32_e32 v1, v1, v19
	ds_bpermute_b32 v19, v95, v14
	ds_bpermute_b32 v48, v27, v93
	s_waitcnt lgkmcnt(12)
	v_add_f32_e32 v32, v52, v37
	s_waitcnt lgkmcnt(11)
	v_add_f32_e32 v38, v50, v38
	;; [unrolled: 2-line block ×3, first 2 shown]
	ds_bpermute_b32 v33, v95, v28
	s_waitcnt lgkmcnt(9)
	v_add_f32_e32 v13, v13, v18
	ds_bpermute_b32 v18, v25, v16
	s_waitcnt lgkmcnt(8)
	v_add_f32_e32 v30, v30, v35
	ds_bpermute_b32 v34, v25, v29
	ds_bpermute_b32 v37, v95, v32
	v_add_f32_e32 v39, v49, v39
	s_waitcnt lgkmcnt(9)
	v_add_f32_e32 v15, v15, v17
	ds_bpermute_b32 v35, v25, v30
	ds_bpermute_b32 v36, v95, v31
	;; [unrolled: 1-line block ×3, first 2 shown]
	s_waitcnt lgkmcnt(11)
	v_add_f32_e32 v17, v20, v53
	s_waitcnt lgkmcnt(10)
	v_add_f32_e32 v20, v23, v64
	ds_bpermute_b32 v55, v25, v22
	s_load_dword s4, s[8:9], 0x0
	s_waitcnt lgkmcnt(0)
	v_add_f32_e32 v14, v14, v19
	v_add_f32_e32 v48, v93, v48
	s_mov_b32 s5, exec_lo
	ds_bpermute_b32 v19, v25, v14
	ds_bpermute_b32 v52, v95, v48
	v_add_f32_e32 v16, v16, v18
	v_add_f32_e32 v18, v21, v54
	;; [unrolled: 1-line block ×3, first 2 shown]
	s_clause 0x1
	buffer_load_dword v29, off, s[0:3], s32 offset:904
	buffer_load_dword v34, off, s[0:3], s32 offset:1460
	v_add_f32_e32 v21, v24, v65
	v_add_f32_e32 v24, v30, v35
	buffer_load_dword v30, off, s[0:3], s32 offset:908 ; 4-byte Folded Reload
	v_add_f32_e32 v32, v32, v37
	v_add_f32_e32 v28, v28, v33
	;; [unrolled: 1-line block ×4, first 2 shown]
	ds_bpermute_b32 v37, v25, v32
	ds_bpermute_b32 v33, v25, v28
	;; [unrolled: 1-line block ×3, first 2 shown]
	s_waitcnt lgkmcnt(4)
	v_add_f32_e32 v14, v14, v19
	ds_bpermute_b32 v19, v27, v51
	ds_bpermute_b32 v27, v27, v94
	s_waitcnt lgkmcnt(5)
	v_add_f32_e32 v48, v48, v52
	ds_bpermute_b32 v66, v25, v48
	s_waitcnt lgkmcnt(2)
	v_add_f32_e32 v19, v51, v19
	s_waitcnt lgkmcnt(1)
	v_add_f32_e32 v27, v94, v27
	ds_bpermute_b32 v51, v95, v39
	ds_bpermute_b32 v49, v95, v19
	;; [unrolled: 1-line block ×3, first 2 shown]
	s_waitcnt lgkmcnt(2)
	v_add_f32_e32 v39, v39, v51
	ds_bpermute_b32 v51, v25, v38
	s_waitcnt lgkmcnt(2)
	v_add_f32_e32 v49, v19, v49
	s_waitcnt lgkmcnt(1)
	v_add_f32_e32 v50, v27, v26
	ds_bpermute_b32 v52, v25, v39
	v_add_f32_e32 v26, v32, v37
	v_add_f32_e32 v19, v22, v55
	ds_bpermute_b32 v27, v25, v49
	ds_bpermute_b32 v67, v25, v50
	v_add_f32_e32 v22, v28, v33
	v_add_f32_e32 v25, v31, v36
	s_waitcnt lgkmcnt(3)
	v_add_f32_e32 v28, v38, v51
	s_waitcnt lgkmcnt(1)
	;; [unrolled: 2-line block ×3, first 2 shown]
	v_add_f32_e32 v31, v50, v67
	s_waitcnt vmcnt(2)
	v_lshrrev_b32_e32 v32, 3, v29
	v_add_f32_e32 v29, v39, v52
	s_waitcnt vmcnt(1)
	v_lshlrev_b32_e32 v34, 9, v34
	s_waitcnt vmcnt(0)
	v_and_b32_e32 v35, 0x3c7, v30
	v_add_f32_e32 v30, v48, v66
	v_lshl_add_u32 v33, v32, 2, s4
	v_cmpx_eq_u32_e32 64, v35
	s_cbranch_execz .LBB212_2151
; %bb.2150:
	v_add_nc_u32_e32 v35, v33, v34
	v_add_nc_u32_e32 v36, 0xfffffc00, v35
	;; [unrolled: 1-line block ×8, first 2 shown]
	ds_write_b32 v36, v0
	ds_write_b32 v37, v1
	;; [unrolled: 1-line block ×7, first 2 shown]
	v_add_nc_u32_e32 v36, 0xfffffc70, v35
	v_add_nc_u32_e32 v37, 0xfffffc80, v35
	v_add_nc_u32_e32 v38, 0xfffffc90, v35
	v_add_nc_u32_e32 v39, 0xfffffca0, v35
	v_add_nc_u32_e32 v48, 0xfffffcb0, v35
	ds_write_b32 v36, v7
	ds_write_b32 v37, v8
	ds_write_b32 v38, v9
	ds_write_b32 v39, v10
	ds_write_b32 v48, v11
	v_add_nc_u32_e32 v36, 0xfffffcc0, v35
	v_add_nc_u32_e32 v37, 0xfffffcd0, v35
	v_add_nc_u32_e32 v38, 0xfffffce0, v35
	v_add_nc_u32_e32 v39, 0xfffffcf0, v35
	v_add_nc_u32_e32 v48, 0xfffffd00, v35
	ds_write_b32 v36, v12
	ds_write_b32 v37, v13
	ds_write_b32 v38, v14
	ds_write_b32 v39, v15
	ds_write_b32 v48, v16
	;; [unrolled: 10-line block ×5, first 2 shown]
.LBB212_2151:
	s_or_b32 exec_lo, exec_lo, s5
	v_lshlrev_b32_e32 v32, 2, v32
	s_mov_b32 s5, exec_lo
	v_cmp_eq_u32_e32 vcc_lo, 0, v68
	v_add3_u32 v32, s4, v34, v32
	buffer_load_dword v34, off, s[0:3], s32 offset:908 ; 4-byte Folded Reload
	s_waitcnt vmcnt(0) lgkmcnt(0)
	s_barrier
	buffer_gl0_inv
	v_cmpx_gt_u32_e32 64, v34
	s_cbranch_execz .LBB212_2186
; %bb.2152:
	s_and_saveexec_b32 s4, vcc_lo
	s_cbranch_execnz .LBB212_2226
; %bb.2153:
	s_or_b32 exec_lo, exec_lo, s4
	s_and_saveexec_b32 s4, vcc_lo
	s_cbranch_execnz .LBB212_2227
.LBB212_2154:
	s_or_b32 exec_lo, exec_lo, s4
	s_and_saveexec_b32 s4, vcc_lo
	s_cbranch_execnz .LBB212_2228
.LBB212_2155:
	s_or_b32 exec_lo, exec_lo, s4
	s_and_saveexec_b32 s4, vcc_lo
	s_cbranch_execnz .LBB212_2229
.LBB212_2156:
	s_or_b32 exec_lo, exec_lo, s4
	s_and_saveexec_b32 s4, vcc_lo
	s_cbranch_execnz .LBB212_2230
.LBB212_2157:
	s_or_b32 exec_lo, exec_lo, s4
	s_and_saveexec_b32 s4, vcc_lo
	s_cbranch_execnz .LBB212_2231
.LBB212_2158:
	s_or_b32 exec_lo, exec_lo, s4
	s_and_saveexec_b32 s4, vcc_lo
	s_cbranch_execnz .LBB212_2232
.LBB212_2159:
	s_or_b32 exec_lo, exec_lo, s4
	s_and_saveexec_b32 s4, vcc_lo
	s_cbranch_execnz .LBB212_2233
.LBB212_2160:
	s_or_b32 exec_lo, exec_lo, s4
	s_and_saveexec_b32 s4, vcc_lo
	s_cbranch_execnz .LBB212_2234
.LBB212_2161:
	s_or_b32 exec_lo, exec_lo, s4
	s_and_saveexec_b32 s4, vcc_lo
	s_cbranch_execnz .LBB212_2235
.LBB212_2162:
	s_or_b32 exec_lo, exec_lo, s4
	s_and_saveexec_b32 s4, vcc_lo
	s_cbranch_execnz .LBB212_2236
.LBB212_2163:
	s_or_b32 exec_lo, exec_lo, s4
	s_and_saveexec_b32 s4, vcc_lo
	s_cbranch_execnz .LBB212_2237
.LBB212_2164:
	s_or_b32 exec_lo, exec_lo, s4
	s_and_saveexec_b32 s4, vcc_lo
	s_cbranch_execnz .LBB212_2238
.LBB212_2165:
	s_or_b32 exec_lo, exec_lo, s4
	s_and_saveexec_b32 s4, vcc_lo
	s_cbranch_execnz .LBB212_2239
.LBB212_2166:
	s_or_b32 exec_lo, exec_lo, s4
	s_and_saveexec_b32 s4, vcc_lo
	s_cbranch_execnz .LBB212_2240
.LBB212_2167:
	s_or_b32 exec_lo, exec_lo, s4
	s_and_saveexec_b32 s4, vcc_lo
	s_cbranch_execnz .LBB212_2241
.LBB212_2168:
	s_or_b32 exec_lo, exec_lo, s4
	s_and_saveexec_b32 s4, vcc_lo
	s_cbranch_execnz .LBB212_2242
.LBB212_2169:
	s_or_b32 exec_lo, exec_lo, s4
	s_and_saveexec_b32 s4, vcc_lo
	s_cbranch_execnz .LBB212_2243
.LBB212_2170:
	s_or_b32 exec_lo, exec_lo, s4
	s_and_saveexec_b32 s4, vcc_lo
	s_cbranch_execnz .LBB212_2244
.LBB212_2171:
	s_or_b32 exec_lo, exec_lo, s4
	s_and_saveexec_b32 s4, vcc_lo
	s_cbranch_execnz .LBB212_2245
.LBB212_2172:
	s_or_b32 exec_lo, exec_lo, s4
	s_and_saveexec_b32 s4, vcc_lo
	s_cbranch_execnz .LBB212_2246
.LBB212_2173:
	s_or_b32 exec_lo, exec_lo, s4
	s_and_saveexec_b32 s4, vcc_lo
	s_cbranch_execnz .LBB212_2247
.LBB212_2174:
	s_or_b32 exec_lo, exec_lo, s4
	s_and_saveexec_b32 s4, vcc_lo
	s_cbranch_execnz .LBB212_2248
.LBB212_2175:
	s_or_b32 exec_lo, exec_lo, s4
	s_and_saveexec_b32 s4, vcc_lo
	s_cbranch_execnz .LBB212_2249
.LBB212_2176:
	s_or_b32 exec_lo, exec_lo, s4
	s_and_saveexec_b32 s4, vcc_lo
	s_cbranch_execnz .LBB212_2250
.LBB212_2177:
	s_or_b32 exec_lo, exec_lo, s4
	s_and_saveexec_b32 s4, vcc_lo
	s_cbranch_execnz .LBB212_2251
.LBB212_2178:
	s_or_b32 exec_lo, exec_lo, s4
	s_and_saveexec_b32 s4, vcc_lo
	s_cbranch_execnz .LBB212_2252
.LBB212_2179:
	s_or_b32 exec_lo, exec_lo, s4
	s_and_saveexec_b32 s4, vcc_lo
	s_cbranch_execnz .LBB212_2253
.LBB212_2180:
	s_or_b32 exec_lo, exec_lo, s4
	s_and_saveexec_b32 s4, vcc_lo
	s_cbranch_execnz .LBB212_2254
.LBB212_2181:
	s_or_b32 exec_lo, exec_lo, s4
	s_and_saveexec_b32 s4, vcc_lo
	s_cbranch_execnz .LBB212_2255
.LBB212_2182:
	s_or_b32 exec_lo, exec_lo, s4
	s_and_saveexec_b32 s4, vcc_lo
	s_cbranch_execnz .LBB212_2256
.LBB212_2183:
	s_or_b32 exec_lo, exec_lo, s4
	s_and_saveexec_b32 s4, vcc_lo
	s_cbranch_execz .LBB212_2185
.LBB212_2184:
	ds_read_b32 v34, v32 offset:496
	s_waitcnt lgkmcnt(0)
	v_add_f32_e32 v31, v34, v31
.LBB212_2185:
	s_or_b32 exec_lo, exec_lo, s4
.LBB212_2186:
	s_or_b32 exec_lo, exec_lo, s5
	buffer_load_dword v34, off, s[0:3], s32 offset:908 ; 4-byte Folded Reload
	s_mov_b32 s5, exec_lo
	s_waitcnt vmcnt(0)
	s_barrier
	buffer_gl0_inv
	v_and_b32_e32 v34, 0x3e7, v34
	v_cmpx_eq_u32_e32 32, v34
	s_cbranch_execz .LBB212_2188
; %bb.2187:
	ds_write2_b32 v33, v0, v1 offset1:4
	ds_write2_b32 v33, v2, v3 offset0:8 offset1:12
	ds_write2_b32 v33, v4, v5 offset0:16 offset1:20
	;; [unrolled: 1-line block ×15, first 2 shown]
.LBB212_2188:
	s_or_b32 exec_lo, exec_lo, s5
	buffer_load_dword v33, off, s[0:3], s32 offset:908 ; 4-byte Folded Reload
	s_mov_b32 s5, exec_lo
	s_waitcnt vmcnt(0) lgkmcnt(0)
	s_barrier
	buffer_gl0_inv
	v_cmpx_gt_u32_e32 32, v33
	s_cbranch_execz .LBB212_2223
; %bb.2189:
	s_and_saveexec_b32 s4, vcc_lo
	s_cbranch_execnz .LBB212_2257
; %bb.2190:
	s_or_b32 exec_lo, exec_lo, s4
	s_and_saveexec_b32 s4, vcc_lo
	s_cbranch_execnz .LBB212_2258
.LBB212_2191:
	s_or_b32 exec_lo, exec_lo, s4
	s_and_saveexec_b32 s4, vcc_lo
	s_cbranch_execnz .LBB212_2259
.LBB212_2192:
	s_or_b32 exec_lo, exec_lo, s4
	s_and_saveexec_b32 s4, vcc_lo
	s_cbranch_execnz .LBB212_2260
.LBB212_2193:
	s_or_b32 exec_lo, exec_lo, s4
	s_and_saveexec_b32 s4, vcc_lo
	s_cbranch_execnz .LBB212_2261
.LBB212_2194:
	s_or_b32 exec_lo, exec_lo, s4
	s_and_saveexec_b32 s4, vcc_lo
	s_cbranch_execnz .LBB212_2262
.LBB212_2195:
	s_or_b32 exec_lo, exec_lo, s4
	s_and_saveexec_b32 s4, vcc_lo
	s_cbranch_execnz .LBB212_2263
.LBB212_2196:
	s_or_b32 exec_lo, exec_lo, s4
	s_and_saveexec_b32 s4, vcc_lo
	s_cbranch_execnz .LBB212_2264
.LBB212_2197:
	s_or_b32 exec_lo, exec_lo, s4
	s_and_saveexec_b32 s4, vcc_lo
	s_cbranch_execnz .LBB212_2265
.LBB212_2198:
	s_or_b32 exec_lo, exec_lo, s4
	s_and_saveexec_b32 s4, vcc_lo
	s_cbranch_execnz .LBB212_2266
.LBB212_2199:
	s_or_b32 exec_lo, exec_lo, s4
	s_and_saveexec_b32 s4, vcc_lo
	s_cbranch_execnz .LBB212_2267
.LBB212_2200:
	s_or_b32 exec_lo, exec_lo, s4
	s_and_saveexec_b32 s4, vcc_lo
	s_cbranch_execnz .LBB212_2268
.LBB212_2201:
	s_or_b32 exec_lo, exec_lo, s4
	s_and_saveexec_b32 s4, vcc_lo
	s_cbranch_execnz .LBB212_2269
.LBB212_2202:
	s_or_b32 exec_lo, exec_lo, s4
	s_and_saveexec_b32 s4, vcc_lo
	s_cbranch_execnz .LBB212_2270
.LBB212_2203:
	s_or_b32 exec_lo, exec_lo, s4
	s_and_saveexec_b32 s4, vcc_lo
	s_cbranch_execnz .LBB212_2271
.LBB212_2204:
	s_or_b32 exec_lo, exec_lo, s4
	s_and_saveexec_b32 s4, vcc_lo
	s_cbranch_execnz .LBB212_2272
.LBB212_2205:
	s_or_b32 exec_lo, exec_lo, s4
	s_and_saveexec_b32 s4, vcc_lo
	s_cbranch_execnz .LBB212_2273
.LBB212_2206:
	s_or_b32 exec_lo, exec_lo, s4
	s_and_saveexec_b32 s4, vcc_lo
	s_cbranch_execnz .LBB212_2274
.LBB212_2207:
	s_or_b32 exec_lo, exec_lo, s4
	s_and_saveexec_b32 s4, vcc_lo
	s_cbranch_execnz .LBB212_2275
.LBB212_2208:
	s_or_b32 exec_lo, exec_lo, s4
	s_and_saveexec_b32 s4, vcc_lo
	s_cbranch_execnz .LBB212_2276
.LBB212_2209:
	s_or_b32 exec_lo, exec_lo, s4
	s_and_saveexec_b32 s4, vcc_lo
	s_cbranch_execnz .LBB212_2277
.LBB212_2210:
	s_or_b32 exec_lo, exec_lo, s4
	s_and_saveexec_b32 s4, vcc_lo
	s_cbranch_execnz .LBB212_2278
.LBB212_2211:
	s_or_b32 exec_lo, exec_lo, s4
	s_and_saveexec_b32 s4, vcc_lo
	s_cbranch_execnz .LBB212_2279
.LBB212_2212:
	s_or_b32 exec_lo, exec_lo, s4
	s_and_saveexec_b32 s4, vcc_lo
	s_cbranch_execnz .LBB212_2280
.LBB212_2213:
	s_or_b32 exec_lo, exec_lo, s4
	s_and_saveexec_b32 s4, vcc_lo
	s_cbranch_execnz .LBB212_2281
.LBB212_2214:
	s_or_b32 exec_lo, exec_lo, s4
	s_and_saveexec_b32 s4, vcc_lo
	s_cbranch_execnz .LBB212_2282
.LBB212_2215:
	s_or_b32 exec_lo, exec_lo, s4
	s_and_saveexec_b32 s4, vcc_lo
	s_cbranch_execnz .LBB212_2283
.LBB212_2216:
	s_or_b32 exec_lo, exec_lo, s4
	s_and_saveexec_b32 s4, vcc_lo
	s_cbranch_execnz .LBB212_2284
.LBB212_2217:
	s_or_b32 exec_lo, exec_lo, s4
	s_and_saveexec_b32 s4, vcc_lo
	s_cbranch_execnz .LBB212_2285
.LBB212_2218:
	s_or_b32 exec_lo, exec_lo, s4
	s_and_saveexec_b32 s4, vcc_lo
	s_cbranch_execnz .LBB212_2286
.LBB212_2219:
	s_or_b32 exec_lo, exec_lo, s4
	s_and_saveexec_b32 s4, vcc_lo
	s_cbranch_execnz .LBB212_2287
.LBB212_2220:
	s_or_b32 exec_lo, exec_lo, s4
	s_and_saveexec_b32 s4, vcc_lo
	s_cbranch_execz .LBB212_2222
.LBB212_2221:
	ds_read_b32 v32, v32 offset:496
	s_waitcnt lgkmcnt(0)
	v_add_f32_e32 v31, v32, v31
.LBB212_2222:
	s_or_b32 exec_lo, exec_lo, s4
.LBB212_2223:
	s_or_b32 exec_lo, exec_lo, s5
	s_mov_b32 s4, exec_lo
	s_barrier
	buffer_gl0_inv
	v_cmpx_eq_u32_e32 0, v34
	s_cbranch_execz .LBB212_2225
; %bb.2224:
	s_clause 0x2
	buffer_load_dword v33, off, s[0:3], s32 offset:1492
	buffer_load_dword v32, off, s[0:3], s32 offset:908
	;; [unrolled: 1-line block ×3, first 2 shown]
	s_and_b32 s5, 0xffff, s13
	s_cmp_lg_u32 s5, 0
	s_cselect_b32 s5, -1, 0
	s_cmp_lg_u32 s5, 0
	s_addc_u32 s5, s12, 0
	s_lshl_b32 s6, s14, 7
	s_mul_i32 s7, s10, s5
	s_mul_i32 s8, s16, s5
	;; [unrolled: 1-line block ×3, first 2 shown]
	s_ashr_i32 s9, s8, 31
	s_lshl_b32 s10, s7, 7
	s_lshl_b64 s[8:9], s[8:9], 2
	s_ashr_i32 s11, s10, 31
	s_ashr_i32 s7, s6, 31
	s_lshl_b64 s[10:11], s[10:11], 2
	s_lshl_b64 s[6:7], s[6:7], 2
	s_waitcnt vmcnt(2)
	v_add_co_u32 v33, vcc_lo, v33, s10
	s_waitcnt vmcnt(0)
	v_add_co_ci_u32_e64 v34, null, s11, v34, vcc_lo
	v_lshrrev_b32_e32 v32, 1, v32
	v_add_co_u32 v33, vcc_lo, v33, s8
	v_add_co_ci_u32_e64 v34, null, s9, v34, vcc_lo
	v_add_co_u32 v33, vcc_lo, v33, s6
	v_add_co_ci_u32_e64 v34, null, s7, v34, vcc_lo
	;; [unrolled: 2-line block ×3, first 2 shown]
	flat_store_dword v[32:33], v0
	flat_store_dword v[32:33], v1 offset:16
	flat_store_dword v[32:33], v2 offset:32
	;; [unrolled: 1-line block ×31, first 2 shown]
.LBB212_2225:
	s_or_b32 exec_lo, exec_lo, s4
	s_clause 0x2f
	buffer_load_dword v127, off, s[0:3], s32
	buffer_load_dword v126, off, s[0:3], s32 offset:4
	buffer_load_dword v125, off, s[0:3], s32 offset:8
	;; [unrolled: 1-line block ×47, first 2 shown]
	s_waitcnt vmcnt(0) lgkmcnt(0)
	s_setpc_b64 s[30:31]
.LBB212_2226:
	ds_read_b32 v34, v32
	s_waitcnt lgkmcnt(0)
	v_add_f32_e32 v0, v34, v0
	s_or_b32 exec_lo, exec_lo, s4
	s_and_saveexec_b32 s4, vcc_lo
	s_cbranch_execz .LBB212_2154
.LBB212_2227:
	ds_read_b32 v34, v32 offset:16
	s_waitcnt lgkmcnt(0)
	v_add_f32_e32 v1, v34, v1
	s_or_b32 exec_lo, exec_lo, s4
	s_and_saveexec_b32 s4, vcc_lo
	s_cbranch_execz .LBB212_2155
.LBB212_2228:
	ds_read_b32 v34, v32 offset:32
	s_waitcnt lgkmcnt(0)
	v_add_f32_e32 v2, v34, v2
	s_or_b32 exec_lo, exec_lo, s4
	s_and_saveexec_b32 s4, vcc_lo
	s_cbranch_execz .LBB212_2156
.LBB212_2229:
	ds_read_b32 v34, v32 offset:48
	s_waitcnt lgkmcnt(0)
	v_add_f32_e32 v3, v34, v3
	s_or_b32 exec_lo, exec_lo, s4
	s_and_saveexec_b32 s4, vcc_lo
	s_cbranch_execz .LBB212_2157
.LBB212_2230:
	ds_read_b32 v34, v32 offset:64
	s_waitcnt lgkmcnt(0)
	v_add_f32_e32 v4, v34, v4
	s_or_b32 exec_lo, exec_lo, s4
	s_and_saveexec_b32 s4, vcc_lo
	s_cbranch_execz .LBB212_2158
.LBB212_2231:
	ds_read_b32 v34, v32 offset:80
	s_waitcnt lgkmcnt(0)
	v_add_f32_e32 v5, v34, v5
	s_or_b32 exec_lo, exec_lo, s4
	s_and_saveexec_b32 s4, vcc_lo
	s_cbranch_execz .LBB212_2159
.LBB212_2232:
	ds_read_b32 v34, v32 offset:96
	s_waitcnt lgkmcnt(0)
	v_add_f32_e32 v6, v34, v6
	s_or_b32 exec_lo, exec_lo, s4
	s_and_saveexec_b32 s4, vcc_lo
	s_cbranch_execz .LBB212_2160
.LBB212_2233:
	ds_read_b32 v34, v32 offset:112
	s_waitcnt lgkmcnt(0)
	v_add_f32_e32 v7, v34, v7
	s_or_b32 exec_lo, exec_lo, s4
	s_and_saveexec_b32 s4, vcc_lo
	s_cbranch_execz .LBB212_2161
.LBB212_2234:
	ds_read_b32 v34, v32 offset:128
	s_waitcnt lgkmcnt(0)
	v_add_f32_e32 v8, v34, v8
	s_or_b32 exec_lo, exec_lo, s4
	s_and_saveexec_b32 s4, vcc_lo
	s_cbranch_execz .LBB212_2162
.LBB212_2235:
	ds_read_b32 v34, v32 offset:144
	s_waitcnt lgkmcnt(0)
	v_add_f32_e32 v9, v34, v9
	s_or_b32 exec_lo, exec_lo, s4
	s_and_saveexec_b32 s4, vcc_lo
	s_cbranch_execz .LBB212_2163
.LBB212_2236:
	ds_read_b32 v34, v32 offset:160
	s_waitcnt lgkmcnt(0)
	v_add_f32_e32 v10, v34, v10
	s_or_b32 exec_lo, exec_lo, s4
	s_and_saveexec_b32 s4, vcc_lo
	s_cbranch_execz .LBB212_2164
.LBB212_2237:
	ds_read_b32 v34, v32 offset:176
	s_waitcnt lgkmcnt(0)
	v_add_f32_e32 v11, v34, v11
	s_or_b32 exec_lo, exec_lo, s4
	s_and_saveexec_b32 s4, vcc_lo
	s_cbranch_execz .LBB212_2165
.LBB212_2238:
	ds_read_b32 v34, v32 offset:192
	s_waitcnt lgkmcnt(0)
	v_add_f32_e32 v12, v34, v12
	s_or_b32 exec_lo, exec_lo, s4
	s_and_saveexec_b32 s4, vcc_lo
	s_cbranch_execz .LBB212_2166
.LBB212_2239:
	ds_read_b32 v34, v32 offset:208
	s_waitcnt lgkmcnt(0)
	v_add_f32_e32 v13, v34, v13
	s_or_b32 exec_lo, exec_lo, s4
	s_and_saveexec_b32 s4, vcc_lo
	s_cbranch_execz .LBB212_2167
.LBB212_2240:
	ds_read_b32 v34, v32 offset:224
	s_waitcnt lgkmcnt(0)
	v_add_f32_e32 v14, v34, v14
	s_or_b32 exec_lo, exec_lo, s4
	s_and_saveexec_b32 s4, vcc_lo
	s_cbranch_execz .LBB212_2168
.LBB212_2241:
	ds_read_b32 v34, v32 offset:240
	s_waitcnt lgkmcnt(0)
	v_add_f32_e32 v15, v34, v15
	s_or_b32 exec_lo, exec_lo, s4
	s_and_saveexec_b32 s4, vcc_lo
	s_cbranch_execz .LBB212_2169
.LBB212_2242:
	ds_read_b32 v34, v32 offset:256
	s_waitcnt lgkmcnt(0)
	v_add_f32_e32 v16, v34, v16
	s_or_b32 exec_lo, exec_lo, s4
	s_and_saveexec_b32 s4, vcc_lo
	s_cbranch_execz .LBB212_2170
.LBB212_2243:
	ds_read_b32 v34, v32 offset:272
	s_waitcnt lgkmcnt(0)
	v_add_f32_e32 v17, v34, v17
	s_or_b32 exec_lo, exec_lo, s4
	s_and_saveexec_b32 s4, vcc_lo
	s_cbranch_execz .LBB212_2171
.LBB212_2244:
	ds_read_b32 v34, v32 offset:288
	s_waitcnt lgkmcnt(0)
	v_add_f32_e32 v18, v34, v18
	s_or_b32 exec_lo, exec_lo, s4
	s_and_saveexec_b32 s4, vcc_lo
	s_cbranch_execz .LBB212_2172
.LBB212_2245:
	ds_read_b32 v34, v32 offset:304
	s_waitcnt lgkmcnt(0)
	v_add_f32_e32 v19, v34, v19
	s_or_b32 exec_lo, exec_lo, s4
	s_and_saveexec_b32 s4, vcc_lo
	s_cbranch_execz .LBB212_2173
.LBB212_2246:
	ds_read_b32 v34, v32 offset:320
	s_waitcnt lgkmcnt(0)
	v_add_f32_e32 v20, v34, v20
	s_or_b32 exec_lo, exec_lo, s4
	s_and_saveexec_b32 s4, vcc_lo
	s_cbranch_execz .LBB212_2174
.LBB212_2247:
	ds_read_b32 v34, v32 offset:336
	s_waitcnt lgkmcnt(0)
	v_add_f32_e32 v21, v34, v21
	s_or_b32 exec_lo, exec_lo, s4
	s_and_saveexec_b32 s4, vcc_lo
	s_cbranch_execz .LBB212_2175
.LBB212_2248:
	ds_read_b32 v34, v32 offset:352
	s_waitcnt lgkmcnt(0)
	v_add_f32_e32 v22, v34, v22
	s_or_b32 exec_lo, exec_lo, s4
	s_and_saveexec_b32 s4, vcc_lo
	s_cbranch_execz .LBB212_2176
.LBB212_2249:
	ds_read_b32 v34, v32 offset:368
	s_waitcnt lgkmcnt(0)
	v_add_f32_e32 v23, v34, v23
	s_or_b32 exec_lo, exec_lo, s4
	s_and_saveexec_b32 s4, vcc_lo
	s_cbranch_execz .LBB212_2177
.LBB212_2250:
	ds_read_b32 v34, v32 offset:384
	s_waitcnt lgkmcnt(0)
	v_add_f32_e32 v24, v34, v24
	s_or_b32 exec_lo, exec_lo, s4
	s_and_saveexec_b32 s4, vcc_lo
	s_cbranch_execz .LBB212_2178
.LBB212_2251:
	ds_read_b32 v34, v32 offset:400
	s_waitcnt lgkmcnt(0)
	v_add_f32_e32 v25, v34, v25
	s_or_b32 exec_lo, exec_lo, s4
	s_and_saveexec_b32 s4, vcc_lo
	s_cbranch_execz .LBB212_2179
.LBB212_2252:
	ds_read_b32 v34, v32 offset:416
	s_waitcnt lgkmcnt(0)
	v_add_f32_e32 v26, v34, v26
	s_or_b32 exec_lo, exec_lo, s4
	s_and_saveexec_b32 s4, vcc_lo
	s_cbranch_execz .LBB212_2180
.LBB212_2253:
	ds_read_b32 v34, v32 offset:432
	s_waitcnt lgkmcnt(0)
	v_add_f32_e32 v27, v34, v27
	s_or_b32 exec_lo, exec_lo, s4
	s_and_saveexec_b32 s4, vcc_lo
	s_cbranch_execz .LBB212_2181
.LBB212_2254:
	ds_read_b32 v34, v32 offset:448
	s_waitcnt lgkmcnt(0)
	v_add_f32_e32 v28, v34, v28
	s_or_b32 exec_lo, exec_lo, s4
	s_and_saveexec_b32 s4, vcc_lo
	s_cbranch_execz .LBB212_2182
.LBB212_2255:
	ds_read_b32 v34, v32 offset:464
	s_waitcnt lgkmcnt(0)
	v_add_f32_e32 v29, v34, v29
	s_or_b32 exec_lo, exec_lo, s4
	s_and_saveexec_b32 s4, vcc_lo
	s_cbranch_execz .LBB212_2183
.LBB212_2256:
	ds_read_b32 v34, v32 offset:480
	s_waitcnt lgkmcnt(0)
	v_add_f32_e32 v30, v34, v30
	s_or_b32 exec_lo, exec_lo, s4
	s_and_saveexec_b32 s4, vcc_lo
	s_cbranch_execnz .LBB212_2184
	s_branch .LBB212_2185
.LBB212_2257:
	ds_read_b32 v33, v32
	s_waitcnt lgkmcnt(0)
	v_add_f32_e32 v0, v33, v0
	s_or_b32 exec_lo, exec_lo, s4
	s_and_saveexec_b32 s4, vcc_lo
	s_cbranch_execz .LBB212_2191
.LBB212_2258:
	ds_read_b32 v33, v32 offset:16
	s_waitcnt lgkmcnt(0)
	v_add_f32_e32 v1, v33, v1
	s_or_b32 exec_lo, exec_lo, s4
	s_and_saveexec_b32 s4, vcc_lo
	s_cbranch_execz .LBB212_2192
.LBB212_2259:
	ds_read_b32 v33, v32 offset:32
	s_waitcnt lgkmcnt(0)
	v_add_f32_e32 v2, v33, v2
	s_or_b32 exec_lo, exec_lo, s4
	s_and_saveexec_b32 s4, vcc_lo
	s_cbranch_execz .LBB212_2193
.LBB212_2260:
	ds_read_b32 v33, v32 offset:48
	s_waitcnt lgkmcnt(0)
	v_add_f32_e32 v3, v33, v3
	s_or_b32 exec_lo, exec_lo, s4
	s_and_saveexec_b32 s4, vcc_lo
	s_cbranch_execz .LBB212_2194
.LBB212_2261:
	ds_read_b32 v33, v32 offset:64
	s_waitcnt lgkmcnt(0)
	v_add_f32_e32 v4, v33, v4
	s_or_b32 exec_lo, exec_lo, s4
	s_and_saveexec_b32 s4, vcc_lo
	s_cbranch_execz .LBB212_2195
.LBB212_2262:
	ds_read_b32 v33, v32 offset:80
	s_waitcnt lgkmcnt(0)
	v_add_f32_e32 v5, v33, v5
	s_or_b32 exec_lo, exec_lo, s4
	s_and_saveexec_b32 s4, vcc_lo
	s_cbranch_execz .LBB212_2196
.LBB212_2263:
	ds_read_b32 v33, v32 offset:96
	s_waitcnt lgkmcnt(0)
	v_add_f32_e32 v6, v33, v6
	s_or_b32 exec_lo, exec_lo, s4
	s_and_saveexec_b32 s4, vcc_lo
	s_cbranch_execz .LBB212_2197
.LBB212_2264:
	ds_read_b32 v33, v32 offset:112
	s_waitcnt lgkmcnt(0)
	v_add_f32_e32 v7, v33, v7
	s_or_b32 exec_lo, exec_lo, s4
	s_and_saveexec_b32 s4, vcc_lo
	s_cbranch_execz .LBB212_2198
.LBB212_2265:
	ds_read_b32 v33, v32 offset:128
	s_waitcnt lgkmcnt(0)
	v_add_f32_e32 v8, v33, v8
	s_or_b32 exec_lo, exec_lo, s4
	s_and_saveexec_b32 s4, vcc_lo
	s_cbranch_execz .LBB212_2199
.LBB212_2266:
	ds_read_b32 v33, v32 offset:144
	s_waitcnt lgkmcnt(0)
	v_add_f32_e32 v9, v33, v9
	s_or_b32 exec_lo, exec_lo, s4
	s_and_saveexec_b32 s4, vcc_lo
	s_cbranch_execz .LBB212_2200
.LBB212_2267:
	ds_read_b32 v33, v32 offset:160
	s_waitcnt lgkmcnt(0)
	v_add_f32_e32 v10, v33, v10
	s_or_b32 exec_lo, exec_lo, s4
	s_and_saveexec_b32 s4, vcc_lo
	s_cbranch_execz .LBB212_2201
.LBB212_2268:
	ds_read_b32 v33, v32 offset:176
	s_waitcnt lgkmcnt(0)
	v_add_f32_e32 v11, v33, v11
	s_or_b32 exec_lo, exec_lo, s4
	s_and_saveexec_b32 s4, vcc_lo
	s_cbranch_execz .LBB212_2202
.LBB212_2269:
	ds_read_b32 v33, v32 offset:192
	s_waitcnt lgkmcnt(0)
	v_add_f32_e32 v12, v33, v12
	s_or_b32 exec_lo, exec_lo, s4
	s_and_saveexec_b32 s4, vcc_lo
	s_cbranch_execz .LBB212_2203
.LBB212_2270:
	ds_read_b32 v33, v32 offset:208
	s_waitcnt lgkmcnt(0)
	v_add_f32_e32 v13, v33, v13
	s_or_b32 exec_lo, exec_lo, s4
	s_and_saveexec_b32 s4, vcc_lo
	s_cbranch_execz .LBB212_2204
.LBB212_2271:
	ds_read_b32 v33, v32 offset:224
	s_waitcnt lgkmcnt(0)
	v_add_f32_e32 v14, v33, v14
	s_or_b32 exec_lo, exec_lo, s4
	s_and_saveexec_b32 s4, vcc_lo
	s_cbranch_execz .LBB212_2205
.LBB212_2272:
	ds_read_b32 v33, v32 offset:240
	s_waitcnt lgkmcnt(0)
	v_add_f32_e32 v15, v33, v15
	s_or_b32 exec_lo, exec_lo, s4
	s_and_saveexec_b32 s4, vcc_lo
	s_cbranch_execz .LBB212_2206
.LBB212_2273:
	ds_read_b32 v33, v32 offset:256
	s_waitcnt lgkmcnt(0)
	v_add_f32_e32 v16, v33, v16
	s_or_b32 exec_lo, exec_lo, s4
	s_and_saveexec_b32 s4, vcc_lo
	s_cbranch_execz .LBB212_2207
.LBB212_2274:
	ds_read_b32 v33, v32 offset:272
	s_waitcnt lgkmcnt(0)
	v_add_f32_e32 v17, v33, v17
	s_or_b32 exec_lo, exec_lo, s4
	s_and_saveexec_b32 s4, vcc_lo
	s_cbranch_execz .LBB212_2208
.LBB212_2275:
	ds_read_b32 v33, v32 offset:288
	s_waitcnt lgkmcnt(0)
	v_add_f32_e32 v18, v33, v18
	s_or_b32 exec_lo, exec_lo, s4
	s_and_saveexec_b32 s4, vcc_lo
	s_cbranch_execz .LBB212_2209
.LBB212_2276:
	ds_read_b32 v33, v32 offset:304
	s_waitcnt lgkmcnt(0)
	v_add_f32_e32 v19, v33, v19
	s_or_b32 exec_lo, exec_lo, s4
	s_and_saveexec_b32 s4, vcc_lo
	s_cbranch_execz .LBB212_2210
.LBB212_2277:
	ds_read_b32 v33, v32 offset:320
	s_waitcnt lgkmcnt(0)
	v_add_f32_e32 v20, v33, v20
	s_or_b32 exec_lo, exec_lo, s4
	s_and_saveexec_b32 s4, vcc_lo
	s_cbranch_execz .LBB212_2211
.LBB212_2278:
	ds_read_b32 v33, v32 offset:336
	s_waitcnt lgkmcnt(0)
	v_add_f32_e32 v21, v33, v21
	s_or_b32 exec_lo, exec_lo, s4
	s_and_saveexec_b32 s4, vcc_lo
	s_cbranch_execz .LBB212_2212
.LBB212_2279:
	ds_read_b32 v33, v32 offset:352
	s_waitcnt lgkmcnt(0)
	v_add_f32_e32 v22, v33, v22
	s_or_b32 exec_lo, exec_lo, s4
	s_and_saveexec_b32 s4, vcc_lo
	s_cbranch_execz .LBB212_2213
.LBB212_2280:
	ds_read_b32 v33, v32 offset:368
	s_waitcnt lgkmcnt(0)
	v_add_f32_e32 v23, v33, v23
	s_or_b32 exec_lo, exec_lo, s4
	s_and_saveexec_b32 s4, vcc_lo
	s_cbranch_execz .LBB212_2214
.LBB212_2281:
	ds_read_b32 v33, v32 offset:384
	s_waitcnt lgkmcnt(0)
	v_add_f32_e32 v24, v33, v24
	s_or_b32 exec_lo, exec_lo, s4
	s_and_saveexec_b32 s4, vcc_lo
	s_cbranch_execz .LBB212_2215
.LBB212_2282:
	ds_read_b32 v33, v32 offset:400
	s_waitcnt lgkmcnt(0)
	v_add_f32_e32 v25, v33, v25
	s_or_b32 exec_lo, exec_lo, s4
	s_and_saveexec_b32 s4, vcc_lo
	s_cbranch_execz .LBB212_2216
.LBB212_2283:
	ds_read_b32 v33, v32 offset:416
	s_waitcnt lgkmcnt(0)
	v_add_f32_e32 v26, v33, v26
	s_or_b32 exec_lo, exec_lo, s4
	s_and_saveexec_b32 s4, vcc_lo
	s_cbranch_execz .LBB212_2217
.LBB212_2284:
	ds_read_b32 v33, v32 offset:432
	s_waitcnt lgkmcnt(0)
	v_add_f32_e32 v27, v33, v27
	s_or_b32 exec_lo, exec_lo, s4
	s_and_saveexec_b32 s4, vcc_lo
	s_cbranch_execz .LBB212_2218
.LBB212_2285:
	ds_read_b32 v33, v32 offset:448
	s_waitcnt lgkmcnt(0)
	v_add_f32_e32 v28, v33, v28
	s_or_b32 exec_lo, exec_lo, s4
	s_and_saveexec_b32 s4, vcc_lo
	s_cbranch_execz .LBB212_2219
.LBB212_2286:
	ds_read_b32 v33, v32 offset:464
	s_waitcnt lgkmcnt(0)
	v_add_f32_e32 v29, v33, v29
	s_or_b32 exec_lo, exec_lo, s4
	s_and_saveexec_b32 s4, vcc_lo
	s_cbranch_execz .LBB212_2220
.LBB212_2287:
	ds_read_b32 v33, v32 offset:480
	s_waitcnt lgkmcnt(0)
	v_add_f32_e32 v30, v33, v30
	s_or_b32 exec_lo, exec_lo, s4
	s_and_saveexec_b32 s4, vcc_lo
	s_cbranch_execnz .LBB212_2221
	s_branch .LBB212_2222
.Lfunc_end212:
	.size	_ZN4vllm22paged_attention_kernelIfhLi128ELi32ELi128ELNS_18Fp8KVCacheDataTypeE1ELb1ELi0EEEvPfS2_PT_PKS3_PKT0_S9_ifPKiSB_iPKfiiiSD_SD_iiiii, .Lfunc_end212-_ZN4vllm22paged_attention_kernelIfhLi128ELi32ELi128ELNS_18Fp8KVCacheDataTypeE1ELb1ELi0EEEvPfS2_PT_PKS3_PKT0_S9_ifPKiSB_iPKfiiiSD_SD_iiiii
                                        ; -- End function
	.set .L_ZN4vllm22paged_attention_kernelIfhLi128ELi32ELi128ELNS_18Fp8KVCacheDataTypeE1ELb1ELi0EEEvPfS2_PT_PKS3_PKT0_S9_ifPKiSB_iPKfiiiSD_SD_iiiii.num_vgpr, 128
	.set .L_ZN4vllm22paged_attention_kernelIfhLi128ELi32ELi128ELNS_18Fp8KVCacheDataTypeE1ELb1ELi0EEEvPfS2_PT_PKS3_PKT0_S9_ifPKiSB_iPKfiiiSD_SD_iiiii.num_agpr, 0
	.set .L_ZN4vllm22paged_attention_kernelIfhLi128ELi32ELi128ELNS_18Fp8KVCacheDataTypeE1ELb1ELi0EEEvPfS2_PT_PKS3_PKT0_S9_ifPKiSB_iPKfiiiSD_SD_iiiii.numbered_sgpr, 33
	.set .L_ZN4vllm22paged_attention_kernelIfhLi128ELi32ELi128ELNS_18Fp8KVCacheDataTypeE1ELb1ELi0EEEvPfS2_PT_PKS3_PKT0_S9_ifPKiSB_iPKfiiiSD_SD_iiiii.num_named_barrier, 0
	.set .L_ZN4vllm22paged_attention_kernelIfhLi128ELi32ELi128ELNS_18Fp8KVCacheDataTypeE1ELb1ELi0EEEvPfS2_PT_PKS3_PKT0_S9_ifPKiSB_iPKfiiiSD_SD_iiiii.private_seg_size, 1528
	.set .L_ZN4vllm22paged_attention_kernelIfhLi128ELi32ELi128ELNS_18Fp8KVCacheDataTypeE1ELb1ELi0EEEvPfS2_PT_PKS3_PKT0_S9_ifPKiSB_iPKfiiiSD_SD_iiiii.uses_vcc, 1
	.set .L_ZN4vllm22paged_attention_kernelIfhLi128ELi32ELi128ELNS_18Fp8KVCacheDataTypeE1ELb1ELi0EEEvPfS2_PT_PKS3_PKT0_S9_ifPKiSB_iPKfiiiSD_SD_iiiii.uses_flat_scratch, 0
	.set .L_ZN4vllm22paged_attention_kernelIfhLi128ELi32ELi128ELNS_18Fp8KVCacheDataTypeE1ELb1ELi0EEEvPfS2_PT_PKS3_PKT0_S9_ifPKiSB_iPKfiiiSD_SD_iiiii.has_dyn_sized_stack, 0
	.set .L_ZN4vllm22paged_attention_kernelIfhLi128ELi32ELi128ELNS_18Fp8KVCacheDataTypeE1ELb1ELi0EEEvPfS2_PT_PKS3_PKT0_S9_ifPKiSB_iPKfiiiSD_SD_iiiii.has_recursion, 0
	.set .L_ZN4vllm22paged_attention_kernelIfhLi128ELi32ELi128ELNS_18Fp8KVCacheDataTypeE1ELb1ELi0EEEvPfS2_PT_PKS3_PKT0_S9_ifPKiSB_iPKfiiiSD_SD_iiiii.has_indirect_call, 0
	.section	.AMDGPU.csdata,"",@progbits
; Function info:
; codeLenInByte = 83836
; TotalNumSgprs: 35
; NumVgprs: 128
; ScratchSize: 1528
; MemoryBound: 0
	.section	.text._ZN4vllm25paged_attention_v1_kernelIfhLi128ELi32ELi128ELNS_18Fp8KVCacheDataTypeE1ELb1EEEvPT_PKS2_PKT0_S8_ifPKiSA_iPKfiiiSC_SC_iiiii,"axG",@progbits,_ZN4vllm25paged_attention_v1_kernelIfhLi128ELi32ELi128ELNS_18Fp8KVCacheDataTypeE1ELb1EEEvPT_PKS2_PKT0_S8_ifPKiSA_iPKfiiiSC_SC_iiiii,comdat
	.protected	_ZN4vllm25paged_attention_v1_kernelIfhLi128ELi32ELi128ELNS_18Fp8KVCacheDataTypeE1ELb1EEEvPT_PKS2_PKT0_S8_ifPKiSA_iPKfiiiSC_SC_iiiii ; -- Begin function _ZN4vllm25paged_attention_v1_kernelIfhLi128ELi32ELi128ELNS_18Fp8KVCacheDataTypeE1ELb1EEEvPT_PKS2_PKT0_S8_ifPKiSA_iPKfiiiSC_SC_iiiii
	.globl	_ZN4vllm25paged_attention_v1_kernelIfhLi128ELi32ELi128ELNS_18Fp8KVCacheDataTypeE1ELb1EEEvPT_PKS2_PKT0_S8_ifPKiSA_iPKfiiiSC_SC_iiiii
	.p2align	8
	.type	_ZN4vllm25paged_attention_v1_kernelIfhLi128ELi32ELi128ELNS_18Fp8KVCacheDataTypeE1ELb1EEEvPT_PKS2_PKT0_S8_ifPKiSA_iPKfiiiSC_SC_iiiii,@function
_ZN4vllm25paged_attention_v1_kernelIfhLi128ELi32ELi128ELNS_18Fp8KVCacheDataTypeE1ELb1EEEvPT_PKS2_PKT0_S8_ifPKiSA_iPKfiiiSC_SC_iiiii: ; @_ZN4vllm25paged_attention_v1_kernelIfhLi128ELi32ELi128ELNS_18Fp8KVCacheDataTypeE1ELb1EEEvPT_PKS2_PKT0_S8_ifPKiSA_iPKfiiiSC_SC_iiiii
; %bb.0:
	s_clause 0x7
	s_load_dwordx8 s[16:23], s[4:5], 0x0
	s_load_dwordx4 s[36:39], s[4:5], 0x20
	s_load_dwordx2 s[10:11], s[4:5], 0x30
	s_load_dword s13, s[4:5], 0x38
	s_load_dwordx2 s[34:35], s[4:5], 0x40
	s_load_dwordx8 s[24:31], s[4:5], 0x48
	s_load_dword s15, s[4:5], 0x78
	s_load_dwordx4 s[40:43], s[4:5], 0x68
	s_add_u32 s0, s0, s9
	s_addc_u32 s1, s1, 0
	v_mov_b32_e32 v31, v0
	s_mov_b32 s14, s8
	s_add_u32 s8, s4, 0x80
	s_addc_u32 s9, s5, 0
	s_getpc_b64 s[4:5]
	s_add_u32 s4, s4, _ZN4vllm22paged_attention_kernelIfhLi128ELi32ELi128ELNS_18Fp8KVCacheDataTypeE1ELb1ELi0EEEvPfS2_PT_PKS3_PKT0_S9_ifPKiSB_iPKfiiiSD_SD_iiiii@rel32@lo+4
	s_addc_u32 s5, s5, _ZN4vllm22paged_attention_kernelIfhLi128ELi32ELi128ELNS_18Fp8KVCacheDataTypeE1ELb1ELi0EEEvPfS2_PT_PKS3_PKT0_S9_ifPKiSB_iPKfiiiSD_SD_iiiii@rel32@hi+12
	s_mov_b32 s12, s6
	s_mov_b32 s32, 0
	s_waitcnt lgkmcnt(0)
	v_mov_b32_e32 v0, s16
	v_mov_b32_e32 v1, s17
	;; [unrolled: 1-line block ×29, first 2 shown]
	s_mov_b32 s13, s7
	s_mov_b32 s15, 21
	s_swappc_b64 s[30:31], s[4:5]
	s_endpgm
	.section	.rodata,"a",@progbits
	.p2align	6, 0x0
	.amdhsa_kernel _ZN4vllm25paged_attention_v1_kernelIfhLi128ELi32ELi128ELNS_18Fp8KVCacheDataTypeE1ELb1EEEvPT_PKS2_PKT0_S8_ifPKiSA_iPKfiiiSC_SC_iiiii
		.amdhsa_group_segment_fixed_size 544
		.amdhsa_private_segment_fixed_size 1528
		.amdhsa_kernarg_size 384
		.amdhsa_user_sgpr_count 6
		.amdhsa_user_sgpr_private_segment_buffer 1
		.amdhsa_user_sgpr_dispatch_ptr 0
		.amdhsa_user_sgpr_queue_ptr 0
		.amdhsa_user_sgpr_kernarg_segment_ptr 1
		.amdhsa_user_sgpr_dispatch_id 0
		.amdhsa_user_sgpr_flat_scratch_init 0
		.amdhsa_user_sgpr_private_segment_size 0
		.amdhsa_wavefront_size32 1
		.amdhsa_uses_dynamic_stack 0
		.amdhsa_system_sgpr_private_segment_wavefront_offset 1
		.amdhsa_system_sgpr_workgroup_id_x 1
		.amdhsa_system_sgpr_workgroup_id_y 1
		.amdhsa_system_sgpr_workgroup_id_z 1
		.amdhsa_system_sgpr_workgroup_info 0
		.amdhsa_system_vgpr_workitem_id 0
		.amdhsa_next_free_vgpr 128
		.amdhsa_next_free_sgpr 44
		.amdhsa_reserve_vcc 1
		.amdhsa_reserve_flat_scratch 0
		.amdhsa_float_round_mode_32 0
		.amdhsa_float_round_mode_16_64 0
		.amdhsa_float_denorm_mode_32 3
		.amdhsa_float_denorm_mode_16_64 3
		.amdhsa_dx10_clamp 1
		.amdhsa_ieee_mode 1
		.amdhsa_fp16_overflow 0
		.amdhsa_workgroup_processor_mode 1
		.amdhsa_memory_ordered 1
		.amdhsa_forward_progress 1
		.amdhsa_shared_vgpr_count 0
		.amdhsa_exception_fp_ieee_invalid_op 0
		.amdhsa_exception_fp_denorm_src 0
		.amdhsa_exception_fp_ieee_div_zero 0
		.amdhsa_exception_fp_ieee_overflow 0
		.amdhsa_exception_fp_ieee_underflow 0
		.amdhsa_exception_fp_ieee_inexact 0
		.amdhsa_exception_int_div_zero 0
	.end_amdhsa_kernel
	.section	.text._ZN4vllm25paged_attention_v1_kernelIfhLi128ELi32ELi128ELNS_18Fp8KVCacheDataTypeE1ELb1EEEvPT_PKS2_PKT0_S8_ifPKiSA_iPKfiiiSC_SC_iiiii,"axG",@progbits,_ZN4vllm25paged_attention_v1_kernelIfhLi128ELi32ELi128ELNS_18Fp8KVCacheDataTypeE1ELb1EEEvPT_PKS2_PKT0_S8_ifPKiSA_iPKfiiiSC_SC_iiiii,comdat
.Lfunc_end213:
	.size	_ZN4vllm25paged_attention_v1_kernelIfhLi128ELi32ELi128ELNS_18Fp8KVCacheDataTypeE1ELb1EEEvPT_PKS2_PKT0_S8_ifPKiSA_iPKfiiiSC_SC_iiiii, .Lfunc_end213-_ZN4vllm25paged_attention_v1_kernelIfhLi128ELi32ELi128ELNS_18Fp8KVCacheDataTypeE1ELb1EEEvPT_PKS2_PKT0_S8_ifPKiSA_iPKfiiiSC_SC_iiiii
                                        ; -- End function
	.set _ZN4vllm25paged_attention_v1_kernelIfhLi128ELi32ELi128ELNS_18Fp8KVCacheDataTypeE1ELb1EEEvPT_PKS2_PKT0_S8_ifPKiSA_iPKfiiiSC_SC_iiiii.num_vgpr, max(32, .L_ZN4vllm22paged_attention_kernelIfhLi128ELi32ELi128ELNS_18Fp8KVCacheDataTypeE1ELb1ELi0EEEvPfS2_PT_PKS3_PKT0_S9_ifPKiSB_iPKfiiiSD_SD_iiiii.num_vgpr)
	.set _ZN4vllm25paged_attention_v1_kernelIfhLi128ELi32ELi128ELNS_18Fp8KVCacheDataTypeE1ELb1EEEvPT_PKS2_PKT0_S8_ifPKiSA_iPKfiiiSC_SC_iiiii.num_agpr, max(0, .L_ZN4vllm22paged_attention_kernelIfhLi128ELi32ELi128ELNS_18Fp8KVCacheDataTypeE1ELb1ELi0EEEvPfS2_PT_PKS3_PKT0_S9_ifPKiSB_iPKfiiiSD_SD_iiiii.num_agpr)
	.set _ZN4vllm25paged_attention_v1_kernelIfhLi128ELi32ELi128ELNS_18Fp8KVCacheDataTypeE1ELb1EEEvPT_PKS2_PKT0_S8_ifPKiSA_iPKfiiiSC_SC_iiiii.numbered_sgpr, max(44, .L_ZN4vllm22paged_attention_kernelIfhLi128ELi32ELi128ELNS_18Fp8KVCacheDataTypeE1ELb1ELi0EEEvPfS2_PT_PKS3_PKT0_S9_ifPKiSB_iPKfiiiSD_SD_iiiii.numbered_sgpr)
	.set _ZN4vllm25paged_attention_v1_kernelIfhLi128ELi32ELi128ELNS_18Fp8KVCacheDataTypeE1ELb1EEEvPT_PKS2_PKT0_S8_ifPKiSA_iPKfiiiSC_SC_iiiii.num_named_barrier, max(0, .L_ZN4vllm22paged_attention_kernelIfhLi128ELi32ELi128ELNS_18Fp8KVCacheDataTypeE1ELb1ELi0EEEvPfS2_PT_PKS3_PKT0_S9_ifPKiSB_iPKfiiiSD_SD_iiiii.num_named_barrier)
	.set _ZN4vllm25paged_attention_v1_kernelIfhLi128ELi32ELi128ELNS_18Fp8KVCacheDataTypeE1ELb1EEEvPT_PKS2_PKT0_S8_ifPKiSA_iPKfiiiSC_SC_iiiii.private_seg_size, 0+max(.L_ZN4vllm22paged_attention_kernelIfhLi128ELi32ELi128ELNS_18Fp8KVCacheDataTypeE1ELb1ELi0EEEvPfS2_PT_PKS3_PKT0_S9_ifPKiSB_iPKfiiiSD_SD_iiiii.private_seg_size)
	.set _ZN4vllm25paged_attention_v1_kernelIfhLi128ELi32ELi128ELNS_18Fp8KVCacheDataTypeE1ELb1EEEvPT_PKS2_PKT0_S8_ifPKiSA_iPKfiiiSC_SC_iiiii.uses_vcc, or(1, .L_ZN4vllm22paged_attention_kernelIfhLi128ELi32ELi128ELNS_18Fp8KVCacheDataTypeE1ELb1ELi0EEEvPfS2_PT_PKS3_PKT0_S9_ifPKiSB_iPKfiiiSD_SD_iiiii.uses_vcc)
	.set _ZN4vllm25paged_attention_v1_kernelIfhLi128ELi32ELi128ELNS_18Fp8KVCacheDataTypeE1ELb1EEEvPT_PKS2_PKT0_S8_ifPKiSA_iPKfiiiSC_SC_iiiii.uses_flat_scratch, or(0, .L_ZN4vllm22paged_attention_kernelIfhLi128ELi32ELi128ELNS_18Fp8KVCacheDataTypeE1ELb1ELi0EEEvPfS2_PT_PKS3_PKT0_S9_ifPKiSB_iPKfiiiSD_SD_iiiii.uses_flat_scratch)
	.set _ZN4vllm25paged_attention_v1_kernelIfhLi128ELi32ELi128ELNS_18Fp8KVCacheDataTypeE1ELb1EEEvPT_PKS2_PKT0_S8_ifPKiSA_iPKfiiiSC_SC_iiiii.has_dyn_sized_stack, or(0, .L_ZN4vllm22paged_attention_kernelIfhLi128ELi32ELi128ELNS_18Fp8KVCacheDataTypeE1ELb1ELi0EEEvPfS2_PT_PKS3_PKT0_S9_ifPKiSB_iPKfiiiSD_SD_iiiii.has_dyn_sized_stack)
	.set _ZN4vllm25paged_attention_v1_kernelIfhLi128ELi32ELi128ELNS_18Fp8KVCacheDataTypeE1ELb1EEEvPT_PKS2_PKT0_S8_ifPKiSA_iPKfiiiSC_SC_iiiii.has_recursion, or(0, .L_ZN4vllm22paged_attention_kernelIfhLi128ELi32ELi128ELNS_18Fp8KVCacheDataTypeE1ELb1ELi0EEEvPfS2_PT_PKS3_PKT0_S9_ifPKiSB_iPKfiiiSD_SD_iiiii.has_recursion)
	.set _ZN4vllm25paged_attention_v1_kernelIfhLi128ELi32ELi128ELNS_18Fp8KVCacheDataTypeE1ELb1EEEvPT_PKS2_PKT0_S8_ifPKiSA_iPKfiiiSC_SC_iiiii.has_indirect_call, or(0, .L_ZN4vllm22paged_attention_kernelIfhLi128ELi32ELi128ELNS_18Fp8KVCacheDataTypeE1ELb1ELi0EEEvPfS2_PT_PKS3_PKT0_S9_ifPKiSB_iPKfiiiSD_SD_iiiii.has_indirect_call)
	.section	.AMDGPU.csdata,"",@progbits
; Kernel info:
; codeLenInByte = 260
; TotalNumSgprs: 46
; NumVgprs: 128
; ScratchSize: 1528
; MemoryBound: 0
; FloatMode: 240
; IeeeMode: 1
; LDSByteSize: 544 bytes/workgroup (compile time only)
; SGPRBlocks: 0
; VGPRBlocks: 15
; NumSGPRsForWavesPerEU: 46
; NumVGPRsForWavesPerEU: 128
; Occupancy: 8
; WaveLimiterHint : 1
; COMPUTE_PGM_RSRC2:SCRATCH_EN: 1
; COMPUTE_PGM_RSRC2:USER_SGPR: 6
; COMPUTE_PGM_RSRC2:TRAP_HANDLER: 0
; COMPUTE_PGM_RSRC2:TGID_X_EN: 1
; COMPUTE_PGM_RSRC2:TGID_Y_EN: 1
; COMPUTE_PGM_RSRC2:TGID_Z_EN: 1
; COMPUTE_PGM_RSRC2:TIDIG_COMP_CNT: 0
	.text
	.p2align	2                               ; -- Begin function _ZN4vllm22paged_attention_kernelIfhLi192ELi32ELi128ELNS_18Fp8KVCacheDataTypeE1ELb1ELi0EEEvPfS2_PT_PKS3_PKT0_S9_ifPKiSB_iPKfiiiSD_SD_iiiii
	.type	_ZN4vllm22paged_attention_kernelIfhLi192ELi32ELi128ELNS_18Fp8KVCacheDataTypeE1ELb1ELi0EEEvPfS2_PT_PKS3_PKT0_S9_ifPKiSB_iPKfiiiSD_SD_iiiii,@function
_ZN4vllm22paged_attention_kernelIfhLi192ELi32ELi128ELNS_18Fp8KVCacheDataTypeE1ELb1ELi0EEEvPfS2_PT_PKS3_PKT0_S9_ifPKiSB_iPKfiiiSD_SD_iiiii: ; @_ZN4vllm22paged_attention_kernelIfhLi192ELi32ELi128ELNS_18Fp8KVCacheDataTypeE1ELb1ELi0EEEvPfS2_PT_PKS3_PKT0_S9_ifPKiSB_iPKfiiiSD_SD_iiiii
; %bb.0:
	s_waitcnt vmcnt(0) expcnt(0) lgkmcnt(0)
	buffer_store_dword v40, off, s[0:3], s32 offset:188 ; 4-byte Folded Spill
	buffer_store_dword v41, off, s[0:3], s32 offset:184 ; 4-byte Folded Spill
	;; [unrolled: 1-line block ×47, first 2 shown]
	buffer_store_dword v127, off, s[0:3], s32 ; 4-byte Folded Spill
	s_mov_b32 s10, s13
	s_ashr_i32 s11, s13, 31
	buffer_store_dword v26, off, s[0:3], s32 offset:2392 ; 4-byte Folded Spill
	buffer_store_dword v22, off, s[0:3], s32 offset:1588 ; 4-byte Folded Spill
	;; [unrolled: 1-line block ×13, first 2 shown]
	s_lshl_b64 s[6:7], s[10:11], 2
	s_load_dword s5, s[8:9], 0x10
	v_add_co_u32 v0, vcc_lo, v12, s6
	v_add_co_ci_u32_e64 v1, null, s7, v13, vcc_lo
	s_load_dword s6, s[8:9], 0x0
	s_mov_b32 s4, s15
	flat_load_dword v0, v[0:1]
	s_waitcnt lgkmcnt(0)
	s_lshr_b32 s5, s5, 16
	s_cmp_lg_u32 s5, 0
	s_cselect_b32 s5, -1, 0
	s_cmp_lg_u32 s5, 0
	s_addc_u32 s11, s6, 0
	s_mov_b32 s6, exec_lo
	s_abs_i32 s5, s11
	s_waitcnt vmcnt(0)
	buffer_store_dword v0, off, s[0:3], s32 offset:200 ; 4-byte Folded Spill
	v_sub_nc_u32_e32 v0, 0, v8
	v_max_i32_e32 v0, v8, v0
	v_cvt_f32_u32_e32 v1, v0
	v_sub_nc_u32_e32 v6, 0, v0
	v_rcp_iflag_f32_e32 v1, v1
	v_mul_f32_e32 v1, 0x4f7ffffe, v1
	v_cvt_u32_f32_e32 v1, v1
	v_mul_lo_u32 v6, v6, v1
	v_mul_hi_u32 v6, v1, v6
	v_add_nc_u32_e32 v1, v1, v6
	v_mul_hi_u32 v1, s5, v1
	v_mul_lo_u32 v6, v1, v0
	v_add_nc_u32_e32 v7, 1, v1
	v_sub_nc_u32_e32 v6, s5, v6
	s_abs_i32 s5, s12
	v_sub_nc_u32_e32 v9, v6, v0
	v_cmp_ge_u32_e32 vcc_lo, v6, v0
	v_cndmask_b32_e32 v1, v1, v7, vcc_lo
	v_cndmask_b32_e32 v6, v6, v9, vcc_lo
	v_xor_b32_e32 v7, s11, v8
	v_add_nc_u32_e32 v9, 1, v1
	v_cmp_ge_u32_e32 vcc_lo, v6, v0
	v_ashrrev_i32_e32 v7, 31, v7
	v_cndmask_b32_e32 v0, v1, v9, vcc_lo
	v_xor_b32_e32 v0, v0, v7
	v_sub_nc_u32_e32 v7, v0, v7
	v_sub_nc_u32_e32 v0, 0, v7
	v_max_i32_e32 v6, v7, v0
	v_cvt_f32_u32_e32 v0, v6
	v_sub_nc_u32_e32 v1, 0, v6
	v_rcp_iflag_f32_e32 v0, v0
	v_mul_f32_e32 v0, 0x4f7ffffe, v0
	v_cvt_u32_f32_e32 v0, v0
	v_mul_lo_u32 v1, v1, v0
	v_mul_hi_u32 v1, v0, v1
	v_add_nc_u32_e32 v0, v0, v1
	v_mad_u64_u32 v[0:1], null, s5, v0, 0
	v_mov_b32_e32 v0, 0
	buffer_store_dword v0, off, s[0:3], s32 offset:1584 ; 4-byte Folded Spill
	v_cmpx_ne_u64_e32 0, v[15:16]
	s_cbranch_execz .LBB214_2
; %bb.1:
	s_ashr_i32 s13, s12, 31
	s_lshl_b64 s[16:17], s[12:13], 2
	v_add_co_u32 v9, vcc_lo, v15, s16
	v_add_co_ci_u32_e64 v10, null, s17, v16, vcc_lo
	flat_load_dword v0, v[9:10]
	s_waitcnt vmcnt(0) lgkmcnt(0)
	buffer_store_dword v0, off, s[0:3], s32 offset:1584 ; 4-byte Folded Spill
.LBB214_2:
	s_or_b32 exec_lo, exec_lo, s6
	v_and_b32_e32 v9, 0x3ff, v31
	v_ashrrev_i32_e32 v0, 31, v7
	s_ashr_i32 s6, s12, 31
	s_mul_i32 s16, s12, 0xc0
	s_mov_b32 s7, exec_lo
	buffer_store_dword v9, off, s[0:3], s32 offset:1580 ; 4-byte Folded Spill
	v_cmpx_gt_u32_e32 48, v9
	s_cbranch_execz .LBB214_4
; %bb.3:
	buffer_load_dword v7, off, s[0:3], s32 offset:1580 ; 4-byte Folded Reload
	v_mul_lo_u32 v9, v17, s10
	s_ashr_i32 s17, s16, 31
	s_lshl_b64 s[18:19], s[16:17], 2
	v_ashrrev_i32_e32 v10, 31, v9
	v_lshlrev_b64 v[9:10], 2, v[9:10]
	v_add_co_u32 v2, vcc_lo, v2, v9
	v_add_co_ci_u32_e64 v3, null, v3, v10, vcc_lo
	v_add_co_u32 v2, vcc_lo, v2, s18
	v_add_co_ci_u32_e64 v3, null, s19, v3, vcc_lo
	s_waitcnt vmcnt(0)
	v_lshlrev_b32_e32 v7, 4, v7
	v_add_co_u32 v2, vcc_lo, v2, v7
	v_add_co_ci_u32_e64 v3, null, 0, v3, vcc_lo
	flat_load_dwordx4 v[9:12], v[2:3]
	s_waitcnt vmcnt(0) lgkmcnt(0)
	ds_write_b128 v7, v[9:12]
.LBB214_4:
	s_or_b32 exec_lo, exec_lo, s7
	v_mul_lo_u32 v3, v1, v6
	v_sub_nc_u32_e32 v2, 0, v27
	v_xor_b32_e32 v12, s6, v0
	v_max_i32_e32 v10, v27, v2
	v_sub_nc_u32_e32 v7, s5, v3
	v_add_nc_u32_e32 v3, 1, v1
	s_mov_b32 s5, exec_lo
	v_cvt_f32_u32_e32 v2, v10
	buffer_store_dword v10, off, s[0:3], s32 offset:220 ; 4-byte Folded Spill
	v_cmp_ge_u32_e32 vcc_lo, v7, v6
	v_rcp_iflag_f32_e32 v2, v2
	v_cndmask_b32_e32 v1, v1, v3, vcc_lo
	buffer_load_dword v3, off, s[0:3], s32 offset:200 ; 4-byte Folded Reload
	v_mul_f32_e32 v2, 0x4f7ffffe, v2
	v_cvt_u32_f32_e32 v9, v2
	v_sub_nc_u32_e32 v2, 0, v10
	v_sub_nc_u32_e32 v10, v7, v6
	v_mul_lo_u32 v2, v2, v9
	v_cndmask_b32_e32 v7, v7, v10, vcc_lo
	v_add_nc_u32_e32 v10, 1, v1
	v_cmp_ge_u32_e32 vcc_lo, v7, v6
	v_mul_hi_u32 v11, v9, v2
	v_cndmask_b32_e32 v0, v1, v10, vcc_lo
	v_xor_b32_e32 v6, v0, v12
	v_add_nc_u32_e32 v1, v9, v11
	buffer_store_dword v1, off, s[0:3], s32 offset:236 ; 4-byte Folded Spill
	s_waitcnt vmcnt(0) lgkmcnt(0)
	s_waitcnt_vscnt null, 0x0
	s_barrier
	buffer_gl0_inv
	v_add_nc_u32_e32 v3, -1, v3
	v_sub_nc_u32_e32 v2, 0, v3
	v_max_i32_e32 v2, v3, v2
	v_mad_u64_u32 v[0:1], null, v2, v1, 0
	v_sub_nc_u32_e32 v0, v6, v12
                                        ; implicit-def: $vgpr6
	buffer_store_dword v6, off, s[0:3], s32 offset:224 ; 4-byte Folded Spill
	buffer_store_dword v7, off, s[0:3], s32 offset:228 ; 4-byte Folded Spill
	v_cmpx_gt_i32_e32 0, v28
	s_xor_b32 s5, exec_lo, s5
	s_cbranch_execz .LBB214_6
; %bb.5:
	v_mad_u64_u32 v[6:7], null, v24, v8, v[0:1]
                                        ; implicit-def: $vgpr24
	v_mul_lo_u32 v6, v6, v28
                                        ; implicit-def: $vgpr28
	v_sub_nc_u32_e32 v6, 1, v6
	buffer_store_dword v6, off, s[0:3], s32 offset:224 ; 4-byte Folded Spill
	buffer_store_dword v7, off, s[0:3], s32 offset:228 ; 4-byte Folded Spill
.LBB214_6:
	s_or_saveexec_b32 s5, s5
	v_ashrrev_i32_e32 v3, 31, v3
	v_ashrrev_i32_e32 v6, 31, v27
	buffer_store_dword v6, off, s[0:3], s32 offset:232 ; 4-byte Folded Spill
	s_xor_b32 exec_lo, exec_lo, s5
	s_cbranch_execz .LBB214_8
; %bb.7:
	v_mad_u64_u32 v[6:7], null, s11, v24, s[12:13]
	v_mad_u64_u32 v[6:7], null, v6, v28, 1
	buffer_store_dword v6, off, s[0:3], s32 offset:224 ; 4-byte Folded Spill
	buffer_store_dword v7, off, s[0:3], s32 offset:228 ; 4-byte Folded Spill
.LBB214_8:
	s_or_b32 exec_lo, exec_lo, s5
	buffer_load_dword v13, off, s[0:3], s32 offset:220 ; 4-byte Folded Reload
	s_clause 0x1
	s_load_dword s7, s[8:9], 0x14
	s_load_dword s12, s[8:9], 0x8
	buffer_load_dword v8, off, s[0:3], s32 offset:232 ; 4-byte Folded Reload
	v_add_nc_u32_e32 v7, 1, v1
	s_ashr_i32 s5, s4, 31
	s_getpc_b64 s[8:9]
	s_add_u32 s8, s8, llvm.amdgcn.dynlds.offset.table@rel32@lo+4
	s_addc_u32 s9, s9, llvm.amdgcn.dynlds.offset.table@rel32@hi+12
	s_lshl_b64 s[18:19], s[4:5], 2
	buffer_load_dword v10, off, s[0:3], s32 offset:1580 ; 4-byte Folded Reload
	s_add_u32 s8, s8, s18
	s_addc_u32 s9, s9, s19
	s_waitcnt vmcnt(2)
	v_mul_lo_u32 v6, v1, v13
	s_waitcnt vmcnt(0)
	v_lshrrev_b32_e32 v11, 5, v10
	v_sub_nc_u32_e32 v6, v2, v6
	v_mul_lo_u32 v2, v14, s10
	v_and_b32_e32 v12, 31, v10
	v_sub_nc_u32_e32 v9, v6, v13
	v_cmp_ge_u32_e32 vcc_lo, v6, v13
	buffer_store_dword v12, off, s[0:3], s32 offset:1576 ; 4-byte Folded Spill
	v_lshlrev_b32_e32 v12, 2, v12
	v_cndmask_b32_e32 v1, v1, v7, vcc_lo
	v_cndmask_b32_e32 v6, v6, v9, vcc_lo
	v_add_nc_u32_e32 v9, 1, v1
	v_cmp_ge_u32_e32 vcc_lo, v6, v13
	v_mov_b32_e32 v13, 0xff7fffff
	v_cndmask_b32_e32 v1, v1, v9, vcc_lo
	v_mul_lo_u32 v9, v0, v19
	buffer_load_dword v0, off, s[0:3], s32 offset:2392 ; 4-byte Folded Reload
	v_xor_b32_e32 v8, v3, v8
	buffer_load_dword v3, off, s[0:3], s32 offset:200 ; 4-byte Folded Reload
	v_xor_b32_e32 v1, v1, v8
	buffer_store_dword v9, off, s[0:3], s32 offset:2412 ; 4-byte Folded Spill
	s_waitcnt vmcnt(1)
	v_sub_nc_u32_e32 v0, 0, v0
	s_waitcnt vmcnt(0)
	v_add_nc_u32_e32 v3, 31, v3
	buffer_store_dword v0, off, s[0:3], s32 offset:2420 ; 4-byte Folded Spill
	v_ashrrev_i32_e32 v7, 31, v3
	v_lshrrev_b32_e32 v7, 27, v7
	v_add_nc_u32_e32 v0, v3, v7
	v_lshlrev_b32_e32 v3, 5, v11
	v_ashrrev_i32_e32 v6, 5, v0
	buffer_store_dword v3, off, s[0:3], s32 offset:208 ; 4-byte Folded Spill
	v_ashrrev_i32_e32 v3, 31, v2
	v_sub_nc_u32_e32 v0, v1, v8
	v_ashrrev_i32_e32 v1, 31, v9
	v_cmp_lt_i32_e64 s4, v11, v6
	v_sub_nc_u32_e32 v0, v0, v25
	buffer_store_dword v1, off, s[0:3], s32 offset:2424 ; 4-byte Folded Spill
	v_lshlrev_b64 v[1:2], 2, v[2:3]
	buffer_store_dword v1, off, s[0:3], s32 offset:2404 ; 4-byte Folded Spill
	buffer_store_dword v2, off, s[0:3], s32 offset:2408 ; 4-byte Folded Spill
	;; [unrolled: 1-line block ×5, first 2 shown]
	v_lshrrev_b32_e32 v0, 3, v10
	buffer_store_dword v0, off, s[0:3], s32 offset:2416 ; 4-byte Folded Spill
	s_and_saveexec_b32 s13, s4
	s_cbranch_execz .LBB214_1552
; %bb.9:
	s_clause 0x1
	buffer_load_dword v0, off, s[0:3], s32 offset:2392
	buffer_load_dword v1, off, s[0:3], s32 offset:2420
	v_mov_b32_e32 v11, 0x7f800001
	v_mov_b32_e32 v93, 0
	s_load_dword s15, s[8:9], 0x0
	buffer_store_dword v12, off, s[0:3], s32 offset:2444 ; 4-byte Folded Spill
	v_bfrev_b32_e32 v17, 1
	s_mov_b32 s17, 0
	s_clause 0x1
	buffer_load_dword v6, off, s[0:3], s32 offset:1584
	buffer_load_dword v8, off, s[0:3], s32 offset:2388
	s_waitcnt vmcnt(2)
	v_max_i32_e32 v7, v0, v1
	buffer_load_dword v1, off, s[0:3], s32 offset:2412 ; 4-byte Folded Reload
	buffer_store_dword v7, off, s[0:3], s32 offset:1340 ; 4-byte Folded Spill
	v_cvt_f32_u32_e32 v0, v7
	v_sub_nc_u32_e32 v7, 0, v7
	s_waitcnt vmcnt(1)
	v_lshl_or_b32 v10, v8, 7, v12
	v_lshlrev_b32_e32 v9, 5, v8
	v_rcp_iflag_f32_e32 v0, v0
	v_mul_f32_e32 v0, 0x4f7ffffe, v0
	v_cvt_u32_f32_e32 v0, v0
	v_mul_lo_u32 v7, v7, v0
	s_waitcnt vmcnt(0)
	v_add_co_u32 v2, vcc_lo, v4, v1
	buffer_load_dword v1, off, s[0:3], s32 offset:2424 ; 4-byte Folded Reload
	s_waitcnt vmcnt(0)
	v_add_co_ci_u32_e64 v3, null, v5, v1, vcc_lo
	buffer_load_dword v5, off, s[0:3], s32 offset:1576 ; 4-byte Folded Reload
	v_cmp_neq_f32_e32 vcc_lo, 0, v6
	buffer_load_dword v6, off, s[0:3], s32 offset:200 ; 4-byte Folded Reload
	s_waitcnt vmcnt(1)
	v_lshlrev_b32_e32 v4, 4, v5
	s_waitcnt vmcnt(0)
	v_sub_nc_u32_e32 v5, v5, v6
	buffer_load_dword v6, off, s[0:3], s32 offset:2416 ; 4-byte Folded Reload
	buffer_store_dword v10, off, s[0:3], s32 offset:192 ; 4-byte Folded Spill
	buffer_store_dword v11, off, s[0:3], s32 offset:196 ; 4-byte Folded Spill
	v_add_co_u32 v2, s5, v2, v4
	v_add_co_ci_u32_e64 v3, null, 0, v3, s5
	buffer_store_dword v2, off, s[0:3], s32 offset:1608 ; 4-byte Folded Spill
	buffer_store_dword v3, off, s[0:3], s32 offset:1612 ; 4-byte Folded Spill
	ds_read_b128 v[11:14], v93
	s_waitcnt lgkmcnt(0)
	buffer_store_dword v11, off, s[0:3], s32 offset:1616 ; 4-byte Folded Spill
	buffer_store_dword v12, off, s[0:3], s32 offset:1620 ; 4-byte Folded Spill
	;; [unrolled: 1-line block ×4, first 2 shown]
	ds_read_b128 v[1:4], v93 offset:16
	v_mov_b32_e32 v13, 0xff7fffff
	s_waitcnt lgkmcnt(0)
	buffer_store_dword v1, off, s[0:3], s32 offset:1632 ; 4-byte Folded Spill
	buffer_store_dword v2, off, s[0:3], s32 offset:1636 ; 4-byte Folded Spill
	buffer_store_dword v3, off, s[0:3], s32 offset:1640 ; 4-byte Folded Spill
	buffer_store_dword v4, off, s[0:3], s32 offset:1644 ; 4-byte Folded Spill
	ds_read_b128 v[1:4], v93 offset:32
	s_waitcnt lgkmcnt(0)
	buffer_store_dword v1, off, s[0:3], s32 offset:1648 ; 4-byte Folded Spill
	buffer_store_dword v2, off, s[0:3], s32 offset:1652 ; 4-byte Folded Spill
	buffer_store_dword v3, off, s[0:3], s32 offset:1656 ; 4-byte Folded Spill
	buffer_store_dword v4, off, s[0:3], s32 offset:1660 ; 4-byte Folded Spill
	ds_read_b128 v[1:4], v93 offset:48
	;; [unrolled: 6-line block ×4, first 2 shown]
	s_waitcnt lgkmcnt(0)
	buffer_store_dword v1, off, s[0:3], s32 offset:1696 ; 4-byte Folded Spill
	buffer_store_dword v2, off, s[0:3], s32 offset:1700 ; 4-byte Folded Spill
	;; [unrolled: 1-line block ×4, first 2 shown]
	s_clause 0x1
	buffer_load_dword v3, off, s[0:3], s32 offset:2404
	buffer_load_dword v4, off, s[0:3], s32 offset:2408
	v_add_nc_u32_e32 v1, 1, v5
	buffer_load_dword v5, off, s[0:3], s32 offset:2400 ; 4-byte Folded Reload
	v_mul_hi_u32 v2, v0, v7
	buffer_store_dword v1, off, s[0:3], s32 offset:1712 ; 4-byte Folded Spill
	v_add_nc_u32_e32 v0, v0, v2
	s_waitcnt vmcnt(3)
	v_and_b32_e32 v6, 0x7c, v6
	s_waitcnt vmcnt(2)
	v_add_co_u32 v3, s5, v6, v3
	s_waitcnt vmcnt(1)
	v_add_co_ci_u32_e64 v4, null, 0, v4, s5
	s_waitcnt vmcnt(0)
	v_add_co_u32 v5, s5, v5, v3
	buffer_load_dword v3, off, s[0:3], s32 offset:2396 ; 4-byte Folded Reload
	s_waitcnt vmcnt(0)
	v_add_co_ci_u32_e64 v6, null, v3, v4, s5
	buffer_store_dword v5, off, s[0:3], s32 offset:212 ; 4-byte Folded Spill
	buffer_store_dword v6, off, s[0:3], s32 offset:216 ; 4-byte Folded Spill
	buffer_store_dword v0, off, s[0:3], s32 offset:1344 ; 4-byte Folded Spill
	ds_read_b128 v[0:3], v93 offset:96
	s_waitcnt lgkmcnt(0)
	buffer_store_dword v0, off, s[0:3], s32 offset:1716 ; 4-byte Folded Spill
	buffer_store_dword v1, off, s[0:3], s32 offset:1720 ; 4-byte Folded Spill
	buffer_store_dword v2, off, s[0:3], s32 offset:1724 ; 4-byte Folded Spill
	buffer_store_dword v3, off, s[0:3], s32 offset:1728 ; 4-byte Folded Spill
	ds_read_b128 v[0:3], v93 offset:112
	s_waitcnt lgkmcnt(0)
	buffer_store_dword v0, off, s[0:3], s32 offset:1732 ; 4-byte Folded Spill
	buffer_store_dword v1, off, s[0:3], s32 offset:1736 ; 4-byte Folded Spill
	buffer_store_dword v2, off, s[0:3], s32 offset:1740 ; 4-byte Folded Spill
	buffer_store_dword v3, off, s[0:3], s32 offset:1744 ; 4-byte Folded Spill
	ds_read_b128 v[0:3], v93 offset:128
	s_waitcnt lgkmcnt(0)
	buffer_store_dword v0, off, s[0:3], s32 offset:1748 ; 4-byte Folded Spill
	buffer_store_dword v1, off, s[0:3], s32 offset:1752 ; 4-byte Folded Spill
	buffer_store_dword v2, off, s[0:3], s32 offset:1756 ; 4-byte Folded Spill
	buffer_store_dword v3, off, s[0:3], s32 offset:1760 ; 4-byte Folded Spill
	ds_read_b128 v[0:3], v93 offset:144
	s_waitcnt lgkmcnt(0)
	buffer_store_dword v0, off, s[0:3], s32 offset:1764 ; 4-byte Folded Spill
	buffer_store_dword v1, off, s[0:3], s32 offset:1768 ; 4-byte Folded Spill
	buffer_store_dword v2, off, s[0:3], s32 offset:1772 ; 4-byte Folded Spill
	buffer_store_dword v3, off, s[0:3], s32 offset:1776 ; 4-byte Folded Spill
	ds_read_b128 v[0:3], v93 offset:160
	s_waitcnt lgkmcnt(0)
	buffer_store_dword v0, off, s[0:3], s32 offset:1780 ; 4-byte Folded Spill
	buffer_store_dword v1, off, s[0:3], s32 offset:1784 ; 4-byte Folded Spill
	buffer_store_dword v2, off, s[0:3], s32 offset:1788 ; 4-byte Folded Spill
	buffer_store_dword v3, off, s[0:3], s32 offset:1792 ; 4-byte Folded Spill
	ds_read_b128 v[0:3], v93 offset:176
	s_waitcnt lgkmcnt(0)
	buffer_store_dword v0, off, s[0:3], s32 offset:1796 ; 4-byte Folded Spill
	buffer_store_dword v1, off, s[0:3], s32 offset:1800 ; 4-byte Folded Spill
	buffer_store_dword v2, off, s[0:3], s32 offset:1804 ; 4-byte Folded Spill
	buffer_store_dword v3, off, s[0:3], s32 offset:1808 ; 4-byte Folded Spill
	ds_read_b128 v[0:3], v93 offset:192
	s_waitcnt lgkmcnt(0)
	buffer_store_dword v0, off, s[0:3], s32 offset:1812 ; 4-byte Folded Spill
	buffer_store_dword v1, off, s[0:3], s32 offset:1816 ; 4-byte Folded Spill
	buffer_store_dword v2, off, s[0:3], s32 offset:1820 ; 4-byte Folded Spill
	buffer_store_dword v3, off, s[0:3], s32 offset:1824 ; 4-byte Folded Spill
	ds_read_b128 v[0:3], v93 offset:208
	s_waitcnt lgkmcnt(0)
	buffer_store_dword v0, off, s[0:3], s32 offset:1828 ; 4-byte Folded Spill
	buffer_store_dword v1, off, s[0:3], s32 offset:1832 ; 4-byte Folded Spill
	buffer_store_dword v2, off, s[0:3], s32 offset:1836 ; 4-byte Folded Spill
	buffer_store_dword v3, off, s[0:3], s32 offset:1840 ; 4-byte Folded Spill
	ds_read_b128 v[0:3], v93 offset:224
	s_waitcnt lgkmcnt(0)
	buffer_store_dword v0, off, s[0:3], s32 offset:1844 ; 4-byte Folded Spill
	buffer_store_dword v1, off, s[0:3], s32 offset:1848 ; 4-byte Folded Spill
	buffer_store_dword v2, off, s[0:3], s32 offset:1852 ; 4-byte Folded Spill
	buffer_store_dword v3, off, s[0:3], s32 offset:1856 ; 4-byte Folded Spill
	ds_read_b128 v[0:3], v93 offset:240
	s_waitcnt lgkmcnt(0)
	buffer_store_dword v0, off, s[0:3], s32 offset:1860 ; 4-byte Folded Spill
	buffer_store_dword v1, off, s[0:3], s32 offset:1864 ; 4-byte Folded Spill
	buffer_store_dword v2, off, s[0:3], s32 offset:1868 ; 4-byte Folded Spill
	buffer_store_dword v3, off, s[0:3], s32 offset:1872 ; 4-byte Folded Spill
	ds_read_b128 v[0:3], v93 offset:256
	s_waitcnt lgkmcnt(0)
	buffer_store_dword v0, off, s[0:3], s32 offset:1876 ; 4-byte Folded Spill
	buffer_store_dword v1, off, s[0:3], s32 offset:1880 ; 4-byte Folded Spill
	buffer_store_dword v2, off, s[0:3], s32 offset:1884 ; 4-byte Folded Spill
	buffer_store_dword v3, off, s[0:3], s32 offset:1888 ; 4-byte Folded Spill
	ds_read_b128 v[0:3], v93 offset:272
	s_waitcnt lgkmcnt(0)
	buffer_store_dword v0, off, s[0:3], s32 offset:1892 ; 4-byte Folded Spill
	buffer_store_dword v1, off, s[0:3], s32 offset:1896 ; 4-byte Folded Spill
	buffer_store_dword v2, off, s[0:3], s32 offset:1900 ; 4-byte Folded Spill
	buffer_store_dword v3, off, s[0:3], s32 offset:1904 ; 4-byte Folded Spill
	ds_read_b128 v[0:3], v93 offset:288
	s_waitcnt lgkmcnt(0)
	buffer_store_dword v0, off, s[0:3], s32 offset:1908 ; 4-byte Folded Spill
	buffer_store_dword v1, off, s[0:3], s32 offset:1912 ; 4-byte Folded Spill
	buffer_store_dword v2, off, s[0:3], s32 offset:1916 ; 4-byte Folded Spill
	buffer_store_dword v3, off, s[0:3], s32 offset:1920 ; 4-byte Folded Spill
	ds_read_b128 v[0:3], v93 offset:304
	s_waitcnt lgkmcnt(0)
	buffer_store_dword v0, off, s[0:3], s32 offset:1924 ; 4-byte Folded Spill
	buffer_store_dword v1, off, s[0:3], s32 offset:1928 ; 4-byte Folded Spill
	buffer_store_dword v2, off, s[0:3], s32 offset:1932 ; 4-byte Folded Spill
	buffer_store_dword v3, off, s[0:3], s32 offset:1936 ; 4-byte Folded Spill
	ds_read_b128 v[0:3], v93 offset:320
	s_waitcnt lgkmcnt(0)
	buffer_store_dword v0, off, s[0:3], s32 offset:1940 ; 4-byte Folded Spill
	buffer_store_dword v1, off, s[0:3], s32 offset:1944 ; 4-byte Folded Spill
	buffer_store_dword v2, off, s[0:3], s32 offset:1948 ; 4-byte Folded Spill
	buffer_store_dword v3, off, s[0:3], s32 offset:1952 ; 4-byte Folded Spill
	ds_read_b128 v[0:3], v93 offset:336
	s_waitcnt lgkmcnt(0)
	buffer_store_dword v0, off, s[0:3], s32 offset:1956 ; 4-byte Folded Spill
	buffer_store_dword v1, off, s[0:3], s32 offset:1960 ; 4-byte Folded Spill
	buffer_store_dword v2, off, s[0:3], s32 offset:1964 ; 4-byte Folded Spill
	buffer_store_dword v3, off, s[0:3], s32 offset:1968 ; 4-byte Folded Spill
	ds_read_b128 v[0:3], v93 offset:352
	s_waitcnt lgkmcnt(0)
	buffer_store_dword v0, off, s[0:3], s32 offset:1972 ; 4-byte Folded Spill
	buffer_store_dword v1, off, s[0:3], s32 offset:1976 ; 4-byte Folded Spill
	buffer_store_dword v2, off, s[0:3], s32 offset:1980 ; 4-byte Folded Spill
	buffer_store_dword v3, off, s[0:3], s32 offset:1984 ; 4-byte Folded Spill
	ds_read_b128 v[0:3], v93 offset:368
	s_waitcnt lgkmcnt(0)
	buffer_store_dword v0, off, s[0:3], s32 offset:1988 ; 4-byte Folded Spill
	buffer_store_dword v1, off, s[0:3], s32 offset:1992 ; 4-byte Folded Spill
	buffer_store_dword v2, off, s[0:3], s32 offset:1996 ; 4-byte Folded Spill
	buffer_store_dword v3, off, s[0:3], s32 offset:2000 ; 4-byte Folded Spill
	ds_read_b128 v[0:3], v93 offset:384
	s_waitcnt lgkmcnt(0)
	buffer_store_dword v0, off, s[0:3], s32 offset:2004 ; 4-byte Folded Spill
	buffer_store_dword v1, off, s[0:3], s32 offset:2008 ; 4-byte Folded Spill
	buffer_store_dword v2, off, s[0:3], s32 offset:2012 ; 4-byte Folded Spill
	buffer_store_dword v3, off, s[0:3], s32 offset:2016 ; 4-byte Folded Spill
	ds_read_b128 v[0:3], v93 offset:400
	s_waitcnt lgkmcnt(0)
	buffer_store_dword v0, off, s[0:3], s32 offset:2020 ; 4-byte Folded Spill
	buffer_store_dword v1, off, s[0:3], s32 offset:2024 ; 4-byte Folded Spill
	buffer_store_dword v2, off, s[0:3], s32 offset:2028 ; 4-byte Folded Spill
	buffer_store_dword v3, off, s[0:3], s32 offset:2032 ; 4-byte Folded Spill
	ds_read_b128 v[0:3], v93 offset:416
	s_waitcnt lgkmcnt(0)
	buffer_store_dword v0, off, s[0:3], s32 offset:2036 ; 4-byte Folded Spill
	buffer_store_dword v1, off, s[0:3], s32 offset:2040 ; 4-byte Folded Spill
	buffer_store_dword v2, off, s[0:3], s32 offset:2044 ; 4-byte Folded Spill
	buffer_store_dword v3, off, s[0:3], s32 offset:2048 ; 4-byte Folded Spill
	ds_read_b128 v[0:3], v93 offset:432
	s_waitcnt lgkmcnt(0)
	buffer_store_dword v0, off, s[0:3], s32 offset:2052 ; 4-byte Folded Spill
	buffer_store_dword v1, off, s[0:3], s32 offset:2056 ; 4-byte Folded Spill
	buffer_store_dword v2, off, s[0:3], s32 offset:2060 ; 4-byte Folded Spill
	buffer_store_dword v3, off, s[0:3], s32 offset:2064 ; 4-byte Folded Spill
	ds_read_b128 v[0:3], v93 offset:448
	s_waitcnt lgkmcnt(0)
	buffer_store_dword v0, off, s[0:3], s32 offset:2068 ; 4-byte Folded Spill
	buffer_store_dword v1, off, s[0:3], s32 offset:2072 ; 4-byte Folded Spill
	buffer_store_dword v2, off, s[0:3], s32 offset:2076 ; 4-byte Folded Spill
	buffer_store_dword v3, off, s[0:3], s32 offset:2080 ; 4-byte Folded Spill
	ds_read_b128 v[0:3], v93 offset:464
	s_waitcnt lgkmcnt(0)
	buffer_store_dword v0, off, s[0:3], s32 offset:2084 ; 4-byte Folded Spill
	buffer_store_dword v1, off, s[0:3], s32 offset:2088 ; 4-byte Folded Spill
	buffer_store_dword v2, off, s[0:3], s32 offset:2092 ; 4-byte Folded Spill
	buffer_store_dword v3, off, s[0:3], s32 offset:2096 ; 4-byte Folded Spill
	ds_read_b128 v[0:3], v93 offset:480
	s_waitcnt lgkmcnt(0)
	buffer_store_dword v0, off, s[0:3], s32 offset:2100 ; 4-byte Folded Spill
	buffer_store_dword v1, off, s[0:3], s32 offset:2104 ; 4-byte Folded Spill
	buffer_store_dword v2, off, s[0:3], s32 offset:2108 ; 4-byte Folded Spill
	buffer_store_dword v3, off, s[0:3], s32 offset:2112 ; 4-byte Folded Spill
	ds_read_b128 v[0:3], v93 offset:496
	s_waitcnt lgkmcnt(0)
	buffer_store_dword v0, off, s[0:3], s32 offset:2116 ; 4-byte Folded Spill
	buffer_store_dword v1, off, s[0:3], s32 offset:2120 ; 4-byte Folded Spill
	buffer_store_dword v2, off, s[0:3], s32 offset:2124 ; 4-byte Folded Spill
	buffer_store_dword v3, off, s[0:3], s32 offset:2128 ; 4-byte Folded Spill
	ds_read_b128 v[0:3], v93 offset:512
	s_waitcnt lgkmcnt(0)
	buffer_store_dword v0, off, s[0:3], s32 offset:2132 ; 4-byte Folded Spill
	buffer_store_dword v1, off, s[0:3], s32 offset:2136 ; 4-byte Folded Spill
	buffer_store_dword v2, off, s[0:3], s32 offset:2140 ; 4-byte Folded Spill
	buffer_store_dword v3, off, s[0:3], s32 offset:2144 ; 4-byte Folded Spill
	ds_read_b128 v[0:3], v93 offset:528
	s_waitcnt lgkmcnt(0)
	buffer_store_dword v0, off, s[0:3], s32 offset:2148 ; 4-byte Folded Spill
	buffer_store_dword v1, off, s[0:3], s32 offset:2152 ; 4-byte Folded Spill
	buffer_store_dword v2, off, s[0:3], s32 offset:2156 ; 4-byte Folded Spill
	buffer_store_dword v3, off, s[0:3], s32 offset:2160 ; 4-byte Folded Spill
	ds_read_b128 v[0:3], v93 offset:544
	s_waitcnt lgkmcnt(0)
	buffer_store_dword v0, off, s[0:3], s32 offset:2164 ; 4-byte Folded Spill
	buffer_store_dword v1, off, s[0:3], s32 offset:2168 ; 4-byte Folded Spill
	buffer_store_dword v2, off, s[0:3], s32 offset:2172 ; 4-byte Folded Spill
	buffer_store_dword v3, off, s[0:3], s32 offset:2176 ; 4-byte Folded Spill
	ds_read_b128 v[0:3], v93 offset:560
	s_waitcnt lgkmcnt(0)
	buffer_store_dword v0, off, s[0:3], s32 offset:2180 ; 4-byte Folded Spill
	buffer_store_dword v1, off, s[0:3], s32 offset:2184 ; 4-byte Folded Spill
	buffer_store_dword v2, off, s[0:3], s32 offset:2188 ; 4-byte Folded Spill
	buffer_store_dword v3, off, s[0:3], s32 offset:2192 ; 4-byte Folded Spill
	ds_read_b128 v[0:3], v93 offset:576
	s_waitcnt lgkmcnt(0)
	buffer_store_dword v0, off, s[0:3], s32 offset:2196 ; 4-byte Folded Spill
	buffer_store_dword v1, off, s[0:3], s32 offset:2200 ; 4-byte Folded Spill
	buffer_store_dword v2, off, s[0:3], s32 offset:2204 ; 4-byte Folded Spill
	buffer_store_dword v3, off, s[0:3], s32 offset:2208 ; 4-byte Folded Spill
	ds_read_b128 v[0:3], v93 offset:592
	s_waitcnt lgkmcnt(0)
	buffer_store_dword v0, off, s[0:3], s32 offset:2212 ; 4-byte Folded Spill
	buffer_store_dword v1, off, s[0:3], s32 offset:2216 ; 4-byte Folded Spill
	buffer_store_dword v2, off, s[0:3], s32 offset:2220 ; 4-byte Folded Spill
	buffer_store_dword v3, off, s[0:3], s32 offset:2224 ; 4-byte Folded Spill
	ds_read_b128 v[0:3], v93 offset:608
	s_waitcnt lgkmcnt(0)
	buffer_store_dword v0, off, s[0:3], s32 offset:2228 ; 4-byte Folded Spill
	buffer_store_dword v1, off, s[0:3], s32 offset:2232 ; 4-byte Folded Spill
	buffer_store_dword v2, off, s[0:3], s32 offset:2236 ; 4-byte Folded Spill
	buffer_store_dword v3, off, s[0:3], s32 offset:2240 ; 4-byte Folded Spill
	ds_read_b128 v[0:3], v93 offset:624
	s_waitcnt lgkmcnt(0)
	buffer_store_dword v0, off, s[0:3], s32 offset:2244 ; 4-byte Folded Spill
	buffer_store_dword v1, off, s[0:3], s32 offset:2248 ; 4-byte Folded Spill
	buffer_store_dword v2, off, s[0:3], s32 offset:2252 ; 4-byte Folded Spill
	buffer_store_dword v3, off, s[0:3], s32 offset:2256 ; 4-byte Folded Spill
	ds_read_b128 v[0:3], v93 offset:640
	s_waitcnt lgkmcnt(0)
	buffer_store_dword v0, off, s[0:3], s32 offset:2260 ; 4-byte Folded Spill
	buffer_store_dword v1, off, s[0:3], s32 offset:2264 ; 4-byte Folded Spill
	buffer_store_dword v2, off, s[0:3], s32 offset:2268 ; 4-byte Folded Spill
	buffer_store_dword v3, off, s[0:3], s32 offset:2272 ; 4-byte Folded Spill
	ds_read_b128 v[0:3], v93 offset:656
	s_waitcnt lgkmcnt(0)
	buffer_store_dword v0, off, s[0:3], s32 offset:2276 ; 4-byte Folded Spill
	buffer_store_dword v1, off, s[0:3], s32 offset:2280 ; 4-byte Folded Spill
	buffer_store_dword v2, off, s[0:3], s32 offset:2284 ; 4-byte Folded Spill
	buffer_store_dword v3, off, s[0:3], s32 offset:2288 ; 4-byte Folded Spill
	ds_read_b128 v[0:3], v93 offset:672
	s_waitcnt lgkmcnt(0)
	buffer_store_dword v0, off, s[0:3], s32 offset:2292 ; 4-byte Folded Spill
	buffer_store_dword v1, off, s[0:3], s32 offset:2296 ; 4-byte Folded Spill
	buffer_store_dword v2, off, s[0:3], s32 offset:2300 ; 4-byte Folded Spill
	buffer_store_dword v3, off, s[0:3], s32 offset:2304 ; 4-byte Folded Spill
	ds_read_b128 v[0:3], v93 offset:688
	s_waitcnt lgkmcnt(0)
	buffer_store_dword v0, off, s[0:3], s32 offset:2308 ; 4-byte Folded Spill
	buffer_store_dword v1, off, s[0:3], s32 offset:2312 ; 4-byte Folded Spill
	buffer_store_dword v2, off, s[0:3], s32 offset:2316 ; 4-byte Folded Spill
	buffer_store_dword v3, off, s[0:3], s32 offset:2320 ; 4-byte Folded Spill
	ds_read_b128 v[0:3], v93 offset:704
	s_waitcnt lgkmcnt(0)
	buffer_store_dword v0, off, s[0:3], s32 offset:2324 ; 4-byte Folded Spill
	buffer_store_dword v1, off, s[0:3], s32 offset:2328 ; 4-byte Folded Spill
	buffer_store_dword v2, off, s[0:3], s32 offset:2332 ; 4-byte Folded Spill
	buffer_store_dword v3, off, s[0:3], s32 offset:2336 ; 4-byte Folded Spill
	ds_read_b128 v[0:3], v93 offset:720
	s_waitcnt lgkmcnt(0)
	buffer_store_dword v0, off, s[0:3], s32 offset:2340 ; 4-byte Folded Spill
	buffer_store_dword v1, off, s[0:3], s32 offset:2344 ; 4-byte Folded Spill
	buffer_store_dword v2, off, s[0:3], s32 offset:2348 ; 4-byte Folded Spill
	buffer_store_dword v3, off, s[0:3], s32 offset:2352 ; 4-byte Folded Spill
	ds_read_b128 v[0:3], v93 offset:736
	s_waitcnt lgkmcnt(0)
	buffer_store_dword v0, off, s[0:3], s32 offset:2356 ; 4-byte Folded Spill
	buffer_store_dword v1, off, s[0:3], s32 offset:2360 ; 4-byte Folded Spill
	buffer_store_dword v2, off, s[0:3], s32 offset:2364 ; 4-byte Folded Spill
	buffer_store_dword v3, off, s[0:3], s32 offset:2368 ; 4-byte Folded Spill
	ds_read_b128 v[0:3], v93 offset:752
	s_waitcnt lgkmcnt(0)
	buffer_store_dword v0, off, s[0:3], s32 offset:2372 ; 4-byte Folded Spill
	buffer_store_dword v1, off, s[0:3], s32 offset:2376 ; 4-byte Folded Spill
	buffer_store_dword v2, off, s[0:3], s32 offset:2380 ; 4-byte Folded Spill
	;; [unrolled: 1-line block ×3, first 2 shown]
	s_branch .LBB214_15
.LBB214_10:                             ;   in Loop: Header=BB214_15 Depth=1
	s_or_b32 exec_lo, exec_lo, s21
	v_mov_b32_e32 v0, 24
	v_lshlrev_b32_e32 v13, 20, v78
	v_lshl_add_u32 v12, v12, 23, 0x3c000000
	v_mov_b32_e32 v78, v93
	v_lshlrev_b32_sdwa v0, v0, v30 dst_sel:DWORD dst_unused:UNUSED_PAD src0_sel:DWORD src1_sel:BYTE_3
	v_and_b32_e32 v0, 0x80000000, v0
	v_or3_b32 v79, v13, v0, v12
.LBB214_11:                             ;   in Loop: Header=BB214_15 Depth=1
	s_or_b32 exec_lo, exec_lo, s20
	v_mov_b32_e32 v64, v112
	v_mov_b32_e32 v65, v113
.LBB214_12:                             ;   in Loop: Header=BB214_15 Depth=1
	s_or_b32 exec_lo, exec_lo, s19
.LBB214_13:                             ;   in Loop: Header=BB214_15 Depth=1
	s_or_b32 exec_lo, exec_lo, s18
	v_or_b32_e32 v0, v9, v75
	v_or_b32_e32 v79, v79, v4
	;; [unrolled: 1-line block ×5, first 2 shown]
	buffer_store_dword v0, off, s[0:3], s32 offset:1368 ; 4-byte Folded Spill
	v_or_b32_e32 v0, v8, v74
	buffer_store_dword v0, off, s[0:3], s32 offset:1376 ; 4-byte Folded Spill
	v_or_b32_e32 v0, v7, v89
	;; [unrolled: 2-line block ×47, first 2 shown]
	buffer_store_dword v0, off, s[0:3], s32 offset:1548 ; 4-byte Folded Spill
	s_clause 0x1
	buffer_load_dword v5, off, s[0:3], s32 offset:1056
	buffer_load_dword v6, off, s[0:3], s32 offset:1060
	s_waitcnt vmcnt(0)
	v_or_b32_e32 v0, v49, v6
	buffer_store_dword v0, off, s[0:3], s32 offset:1556 ; 4-byte Folded Spill
	v_or_b32_e32 v0, v48, v5
	buffer_store_dword v0, off, s[0:3], s32 offset:1564 ; 4-byte Folded Spill
	;; [unrolled: 2-line block ×4, first 2 shown]
	s_clause 0x3
	buffer_load_dword v5, off, s[0:3], s32 offset:1032
	buffer_load_dword v6, off, s[0:3], s32 offset:1036
	buffer_load_dword v7, off, s[0:3], s32 offset:1040
	buffer_load_dword v8, off, s[0:3], s32 offset:1044
	s_waitcnt vmcnt(0)
	v_or_b32_e32 v0, v8, v6
	buffer_store_dword v0, off, s[0:3], s32 offset:1568 ; 4-byte Folded Spill
	v_or_b32_e32 v0, v7, v5
	buffer_store_dword v0, off, s[0:3], s32 offset:1572 ; 4-byte Folded Spill
	s_clause 0x3
	buffer_load_dword v5, off, s[0:3], s32 offset:1048
	buffer_load_dword v6, off, s[0:3], s32 offset:1052
	buffer_load_dword v7, off, s[0:3], s32 offset:1328
	buffer_load_dword v8, off, s[0:3], s32 offset:1332
	s_waitcnt vmcnt(0)
	v_or_b32_e32 v0, v6, v8
	buffer_store_dword v0, off, s[0:3], s32 offset:1032 ; 4-byte Folded Spill
	v_or_b32_e32 v0, v5, v7
	buffer_store_dword v0, off, s[0:3], s32 offset:1040 ; 4-byte Folded Spill
	;; [unrolled: 10-line block ×10, first 2 shown]
	s_clause 0x3
	buffer_load_dword v5, off, s[0:3], s32 offset:912
	buffer_load_dword v6, off, s[0:3], s32 offset:916
	;; [unrolled: 1-line block ×4, first 2 shown]
	s_waitcnt vmcnt(1)
	v_or_b32_e32 v116, v7, v5
	s_waitcnt vmcnt(0)
	v_or_b32_e32 v0, v8, v6
	buffer_store_dword v0, off, s[0:3], s32 offset:952 ; 4-byte Folded Spill
	s_clause 0x3
	buffer_load_dword v5, off, s[0:3], s32 offset:928
	buffer_load_dword v6, off, s[0:3], s32 offset:932
	;; [unrolled: 1-line block ×4, first 2 shown]
	s_waitcnt vmcnt(1)
	v_or_b32_e32 v127, v5, v7
	s_waitcnt vmcnt(0)
	v_or_b32_e32 v0, v6, v8
	buffer_store_dword v0, off, s[0:3], s32 offset:912 ; 4-byte Folded Spill
	s_clause 0x3
	buffer_load_dword v5, off, s[0:3], s32 offset:888
	buffer_load_dword v6, off, s[0:3], s32 offset:892
	;; [unrolled: 1-line block ×4, first 2 shown]
	s_waitcnt vmcnt(1)
	v_or_b32_e32 v70, v7, v5
	s_waitcnt vmcnt(0)
	v_or_b32_e32 v82, v8, v6
	s_clause 0x3
	buffer_load_dword v5, off, s[0:3], s32 offset:904
	buffer_load_dword v6, off, s[0:3], s32 offset:908
	;; [unrolled: 1-line block ×4, first 2 shown]
	s_waitcnt vmcnt(1)
	v_or_b32_e32 v80, v5, v7
	s_waitcnt vmcnt(0)
	v_or_b32_e32 v96, v6, v8
	s_clause 0x3
	buffer_load_dword v5, off, s[0:3], s32 offset:864
	buffer_load_dword v6, off, s[0:3], s32 offset:868
	;; [unrolled: 1-line block ×4, first 2 shown]
	s_waitcnt vmcnt(0)
	v_or_b32_e32 v0, v8, v6
	buffer_store_dword v0, off, s[0:3], s32 offset:888 ; 4-byte Folded Spill
	v_or_b32_e32 v0, v7, v5
	buffer_store_dword v0, off, s[0:3], s32 offset:872 ; 4-byte Folded Spill
	s_clause 0x3
	buffer_load_dword v5, off, s[0:3], s32 offset:880
	buffer_load_dword v6, off, s[0:3], s32 offset:884
	;; [unrolled: 1-line block ×4, first 2 shown]
	s_waitcnt vmcnt(1)
	v_or_b32_e32 v0, v5, v7
	s_waitcnt vmcnt(0)
	v_or_b32_e32 v50, v6, v8
	buffer_store_dword v0, off, s[0:3], s32 offset:864 ; 4-byte Folded Spill
	s_clause 0x3
	buffer_load_dword v5, off, s[0:3], s32 offset:840
	buffer_load_dword v6, off, s[0:3], s32 offset:844
	;; [unrolled: 1-line block ×4, first 2 shown]
	s_waitcnt vmcnt(1)
	v_or_b32_e32 v89, v7, v5
	s_waitcnt vmcnt(0)
	v_or_b32_e32 v36, v8, v6
	s_clause 0x3
	buffer_load_dword v5, off, s[0:3], s32 offset:856
	buffer_load_dword v6, off, s[0:3], s32 offset:860
	;; [unrolled: 1-line block ×4, first 2 shown]
	s_waitcnt vmcnt(1)
	v_or_b32_e32 v88, v5, v7
	s_waitcnt vmcnt(0)
	v_or_b32_e32 v0, v6, v8
	buffer_store_dword v0, off, s[0:3], s32 offset:840 ; 4-byte Folded Spill
	s_clause 0x3
	buffer_load_dword v5, off, s[0:3], s32 offset:816
	buffer_load_dword v6, off, s[0:3], s32 offset:820
	;; [unrolled: 1-line block ×4, first 2 shown]
	s_waitcnt vmcnt(1)
	v_or_b32_e32 v94, v7, v5
	s_waitcnt vmcnt(0)
	v_or_b32_e32 v92, v8, v6
	s_clause 0x3
	buffer_load_dword v5, off, s[0:3], s32 offset:832
	buffer_load_dword v6, off, s[0:3], s32 offset:836
	;; [unrolled: 1-line block ×4, first 2 shown]
	s_waitcnt vmcnt(1)
	v_or_b32_e32 v75, v5, v7
	s_waitcnt vmcnt(0)
	v_or_b32_e32 v90, v6, v8
	s_clause 0x1
	buffer_load_dword v5, off, s[0:3], s32 offset:800
	buffer_load_dword v6, off, s[0:3], s32 offset:804
	s_waitcnt vmcnt(1)
	v_or_b32_e32 v76, v5, v64
	s_waitcnt vmcnt(0)
	v_or_b32_e32 v26, v6, v65
	s_clause 0x3
	buffer_load_dword v5, off, s[0:3], s32 offset:808
	buffer_load_dword v6, off, s[0:3], s32 offset:812
	buffer_load_dword v7, off, s[0:3], s32 offset:1248
	buffer_load_dword v8, off, s[0:3], s32 offset:1252
	s_waitcnt vmcnt(1)
	v_or_b32_e32 v24, v5, v7
	s_waitcnt vmcnt(0)
	v_or_b32_e32 v28, v6, v8
	s_clause 0x3
	buffer_load_dword v5, off, s[0:3], s32 offset:776
	buffer_load_dword v6, off, s[0:3], s32 offset:780
	buffer_load_dword v7, off, s[0:3], s32 offset:784
	buffer_load_dword v8, off, s[0:3], s32 offset:788
	s_waitcnt vmcnt(1)
	v_or_b32_e32 v14, v7, v5
	s_waitcnt vmcnt(0)
	v_or_b32_e32 v64, v8, v6
	s_clause 0x3
	buffer_load_dword v5, off, s[0:3], s32 offset:792
	buffer_load_dword v6, off, s[0:3], s32 offset:796
	buffer_load_dword v7, off, s[0:3], s32 offset:1240
	buffer_load_dword v8, off, s[0:3], s32 offset:1244
	s_waitcnt vmcnt(1)
	v_or_b32_e32 v16, v5, v7
	s_waitcnt vmcnt(0)
	v_or_b32_e32 v18, v6, v8
	s_clause 0x3
	buffer_load_dword v5, off, s[0:3], s32 offset:752
	buffer_load_dword v6, off, s[0:3], s32 offset:756
	buffer_load_dword v7, off, s[0:3], s32 offset:760
	buffer_load_dword v8, off, s[0:3], s32 offset:764
	s_waitcnt vmcnt(1)
	v_or_b32_e32 v62, v7, v5
	s_waitcnt vmcnt(0)
	v_or_b32_e32 v74, v8, v6
	s_clause 0x3
	buffer_load_dword v5, off, s[0:3], s32 offset:768
	buffer_load_dword v6, off, s[0:3], s32 offset:772
	buffer_load_dword v7, off, s[0:3], s32 offset:1232
	buffer_load_dword v8, off, s[0:3], s32 offset:1236
	s_waitcnt vmcnt(1)
	v_or_b32_e32 v11, v5, v7
	s_waitcnt vmcnt(0)
	v_or_b32_e32 v12, v6, v8
	s_clause 0x3
	buffer_load_dword v5, off, s[0:3], s32 offset:728
	buffer_load_dword v6, off, s[0:3], s32 offset:732
	buffer_load_dword v7, off, s[0:3], s32 offset:736
	buffer_load_dword v8, off, s[0:3], s32 offset:740
	s_waitcnt vmcnt(0)
	v_or_b32_e32 v9, v8, v6
	v_or_b32_e32 v8, v7, v5
	s_clause 0x3
	buffer_load_dword v5, off, s[0:3], s32 offset:744
	buffer_load_dword v6, off, s[0:3], s32 offset:748
	buffer_load_dword v19, off, s[0:3], s32 offset:1224
	buffer_load_dword v20, off, s[0:3], s32 offset:1228
	s_waitcnt vmcnt(1)
	v_or_b32_e32 v105, v5, v19
	s_waitcnt vmcnt(0)
	v_or_b32_e32 v123, v6, v20
	s_clause 0x3
	buffer_load_dword v5, off, s[0:3], s32 offset:704
	buffer_load_dword v6, off, s[0:3], s32 offset:708
	buffer_load_dword v19, off, s[0:3], s32 offset:712
	buffer_load_dword v20, off, s[0:3], s32 offset:716
	s_waitcnt vmcnt(1)
	v_or_b32_e32 v114, v19, v5
	s_waitcnt vmcnt(0)
	;; [unrolled: 9-line block ×38, first 2 shown]
	v_or_b32_e32 v45, v85, v6
	s_clause 0x3
	buffer_load_dword v5, off, s[0:3], s32 offset:288
	buffer_load_dword v6, off, s[0:3], s32 offset:292
	;; [unrolled: 1-line block ×4, first 2 shown]
	v_mul_f32_e32 v112, v31, v41
	s_waitcnt vmcnt(1)
	v_or_b32_e32 v56, v5, v84
	s_waitcnt vmcnt(0)
	v_or_b32_e32 v59, v6, v85
	s_clause 0x3
	buffer_load_dword v5, off, s[0:3], s32 offset:248
	buffer_load_dword v6, off, s[0:3], s32 offset:252
	;; [unrolled: 1-line block ×4, first 2 shown]
	s_waitcnt vmcnt(1)
	v_or_b32_e32 v85, v109, v5
	s_waitcnt vmcnt(0)
	v_or_b32_e32 v84, v110, v6
	s_clause 0x3
	buffer_load_dword v5, off, s[0:3], s32 offset:264
	buffer_load_dword v6, off, s[0:3], s32 offset:268
	;; [unrolled: 1-line block ×4, first 2 shown]
	v_mul_f32_e32 v85, v31, v85
	v_mul_f32_e32 v84, v31, v84
	s_waitcnt vmcnt(1)
	v_or_b32_e32 v110, v5, v101
	s_waitcnt vmcnt(0)
	v_or_b32_e32 v109, v6, v102
	s_clause 0x7
	buffer_load_dword v4, off, s[0:3], s32 offset:1632
	buffer_load_dword v5, off, s[0:3], s32 offset:1636
	;; [unrolled: 1-line block ×8, first 2 shown]
	s_waitcnt vmcnt(7)
	v_mul_f32_e32 v41, v4, v112
	s_waitcnt vmcnt(3)
	v_fmac_f32_e32 v41, v0, v85
	v_mul_f32_e32 v85, v31, v45
	v_mul_f32_e32 v0, v31, v13
	;; [unrolled: 1-line block ×4, first 2 shown]
	s_waitcnt vmcnt(2)
	v_fmac_f32_e32 v45, v1, v84
	v_mul_f32_e32 v84, v31, v56
	v_mul_f32_e32 v56, v6, v84
	;; [unrolled: 1-line block ×3, first 2 shown]
	s_waitcnt vmcnt(1)
	v_fmac_f32_e32 v56, v2, v85
	v_mul_f32_e32 v85, v31, v109
	v_mul_f32_e32 v59, v7, v84
	v_mul_f32_e32 v2, v31, v106
	s_waitcnt vmcnt(0)
	v_fmac_f32_e32 v59, v3, v85
	s_clause 0x3
	buffer_load_dword v3, off, s[0:3], s32 offset:1648
	buffer_load_dword v4, off, s[0:3], s32 offset:1652
	;; [unrolled: 1-line block ×4, first 2 shown]
	s_waitcnt vmcnt(3)
	v_fmac_f32_e32 v41, v3, v2
	v_mul_f32_e32 v2, v31, v104
	s_waitcnt vmcnt(2)
	v_fmac_f32_e32 v45, v4, v2
	v_mul_f32_e32 v2, v31, v72
	s_waitcnt vmcnt(1)
	v_fmac_f32_e32 v56, v5, v2
	v_mul_f32_e32 v2, v31, v108
	s_waitcnt vmcnt(0)
	v_fmac_f32_e32 v59, v6, v2
	s_clause 0x3
	buffer_load_dword v3, off, s[0:3], s32 offset:1664
	buffer_load_dword v4, off, s[0:3], s32 offset:1668
	buffer_load_dword v5, off, s[0:3], s32 offset:1672
	buffer_load_dword v6, off, s[0:3], s32 offset:1676
	v_mul_f32_e32 v2, v31, v122
	s_waitcnt vmcnt(3)
	v_fmac_f32_e32 v41, v3, v2
	v_mul_f32_e32 v2, v31, v121
	s_waitcnt vmcnt(2)
	v_fmac_f32_e32 v45, v4, v2
	v_mul_f32_e32 v2, v31, v61
	s_waitcnt vmcnt(1)
	v_fmac_f32_e32 v56, v5, v2
	v_mul_f32_e32 v2, v31, v60
	s_waitcnt vmcnt(0)
	v_fmac_f32_e32 v59, v6, v2
	s_clause 0x3
	buffer_load_dword v3, off, s[0:3], s32 offset:1680
	buffer_load_dword v4, off, s[0:3], s32 offset:1684
	buffer_load_dword v5, off, s[0:3], s32 offset:1688
	buffer_load_dword v6, off, s[0:3], s32 offset:1692
	v_mul_f32_e32 v2, v31, v20
	;; [unrolled: 17-line block ×4, first 2 shown]
	s_waitcnt vmcnt(3)
	v_fmac_f32_e32 v41, v3, v2
	v_mul_f32_e32 v2, v31, v43
	s_waitcnt vmcnt(0)
	v_fmac_f32_e32 v59, v6, v0
	v_mul_f32_e32 v0, v31, v58
	v_fmac_f32_e32 v45, v4, v2
	v_mul_f32_e32 v2, v31, v126
	v_fmac_f32_e32 v56, v5, v2
	s_clause 0x3
	buffer_load_dword v1, off, s[0:3], s32 offset:1732
	buffer_load_dword v2, off, s[0:3], s32 offset:1736
	;; [unrolled: 1-line block ×4, first 2 shown]
	s_waitcnt vmcnt(3)
	v_fmac_f32_e32 v41, v1, v0
	v_mul_f32_e32 v0, v31, v113
	s_waitcnt vmcnt(2)
	v_fmac_f32_e32 v45, v2, v0
	v_mul_f32_e32 v0, v31, v77
	s_waitcnt vmcnt(1)
	v_fmac_f32_e32 v56, v3, v0
	v_mul_f32_e32 v0, v31, v63
	s_waitcnt vmcnt(0)
	v_fmac_f32_e32 v59, v4, v0
	s_clause 0x3
	buffer_load_dword v1, off, s[0:3], s32 offset:1748
	buffer_load_dword v2, off, s[0:3], s32 offset:1752
	buffer_load_dword v3, off, s[0:3], s32 offset:1756
	buffer_load_dword v4, off, s[0:3], s32 offset:1760
	v_mul_f32_e32 v0, v31, v51
	s_waitcnt vmcnt(3)
	v_fmac_f32_e32 v41, v1, v0
	v_mul_f32_e32 v0, v31, v37
	s_waitcnt vmcnt(2)
	v_fmac_f32_e32 v45, v2, v0
	v_mul_f32_e32 v0, v31, v71
	s_waitcnt vmcnt(1)
	v_fmac_f32_e32 v56, v3, v0
	v_mul_f32_e32 v0, v31, v55
	s_waitcnt vmcnt(0)
	v_fmac_f32_e32 v59, v4, v0
	s_clause 0x3
	buffer_load_dword v1, off, s[0:3], s32 offset:1764
	buffer_load_dword v2, off, s[0:3], s32 offset:1768
	buffer_load_dword v3, off, s[0:3], s32 offset:1772
	buffer_load_dword v4, off, s[0:3], s32 offset:1776
	v_mul_f32_e32 v0, v31, v15
	;; [unrolled: 17-line block ×18, first 2 shown]
	s_waitcnt vmcnt(3)
	v_fmac_f32_e32 v41, v1, v0
	v_mul_f32_e32 v0, v31, v36
	s_waitcnt vmcnt(2)
	v_fmac_f32_e32 v45, v2, v0
	v_mul_f32_e32 v0, v31, v88
	s_waitcnt vmcnt(1)
	v_fmac_f32_e32 v56, v3, v0
	buffer_load_dword v0, off, s[0:3], s32 offset:840 ; 4-byte Folded Reload
	s_waitcnt vmcnt(0)
	v_mul_f32_e32 v0, v31, v0
	v_fmac_f32_e32 v59, v4, v0
	s_clause 0x4
	buffer_load_dword v0, off, s[0:3], s32 offset:872
	buffer_load_dword v1, off, s[0:3], s32 offset:2036
	buffer_load_dword v2, off, s[0:3], s32 offset:2040
	buffer_load_dword v3, off, s[0:3], s32 offset:2044
	buffer_load_dword v4, off, s[0:3], s32 offset:2048
	s_waitcnt vmcnt(4)
	v_mul_f32_e32 v0, v31, v0
	s_waitcnt vmcnt(3)
	v_fmac_f32_e32 v41, v1, v0
	buffer_load_dword v0, off, s[0:3], s32 offset:888 ; 4-byte Folded Reload
	s_waitcnt vmcnt(0)
	v_mul_f32_e32 v0, v31, v0
	v_fmac_f32_e32 v45, v2, v0
	buffer_load_dword v0, off, s[0:3], s32 offset:864 ; 4-byte Folded Reload
	s_waitcnt vmcnt(0)
	v_mul_f32_e32 v0, v31, v0
	v_fmac_f32_e32 v56, v3, v0
	v_mul_f32_e32 v0, v31, v50
	v_fmac_f32_e32 v59, v4, v0
	s_clause 0x3
	buffer_load_dword v1, off, s[0:3], s32 offset:2052
	buffer_load_dword v2, off, s[0:3], s32 offset:2056
	;; [unrolled: 1-line block ×4, first 2 shown]
	v_mul_f32_e32 v0, v31, v70
	s_waitcnt vmcnt(3)
	v_fmac_f32_e32 v41, v1, v0
	v_mul_f32_e32 v0, v31, v82
	s_waitcnt vmcnt(2)
	v_fmac_f32_e32 v45, v2, v0
	;; [unrolled: 3-line block ×4, first 2 shown]
	s_clause 0x3
	buffer_load_dword v1, off, s[0:3], s32 offset:2068
	buffer_load_dword v2, off, s[0:3], s32 offset:2072
	buffer_load_dword v3, off, s[0:3], s32 offset:2076
	buffer_load_dword v4, off, s[0:3], s32 offset:2080
	v_mul_f32_e32 v0, v31, v116
	s_waitcnt vmcnt(3)
	v_fmac_f32_e32 v41, v1, v0
	buffer_load_dword v0, off, s[0:3], s32 offset:952 ; 4-byte Folded Reload
	s_waitcnt vmcnt(0)
	v_mul_f32_e32 v0, v31, v0
	v_fmac_f32_e32 v45, v2, v0
	v_mul_f32_e32 v0, v31, v127
	v_fmac_f32_e32 v56, v3, v0
	buffer_load_dword v0, off, s[0:3], s32 offset:912 ; 4-byte Folded Reload
	s_waitcnt vmcnt(0)
	v_mul_f32_e32 v0, v31, v0
	v_fmac_f32_e32 v59, v4, v0
	s_clause 0x4
	buffer_load_dword v0, off, s[0:3], s32 offset:1304
	buffer_load_dword v1, off, s[0:3], s32 offset:2084
	buffer_load_dword v2, off, s[0:3], s32 offset:2088
	buffer_load_dword v3, off, s[0:3], s32 offset:2092
	buffer_load_dword v4, off, s[0:3], s32 offset:2096
	s_waitcnt vmcnt(4)
	v_mul_f32_e32 v0, v31, v0
	s_waitcnt vmcnt(3)
	v_fmac_f32_e32 v41, v1, v0
	buffer_load_dword v0, off, s[0:3], s32 offset:976 ; 4-byte Folded Reload
	s_waitcnt vmcnt(0)
	v_mul_f32_e32 v0, v31, v0
	v_fmac_f32_e32 v45, v2, v0
	buffer_load_dword v0, off, s[0:3], s32 offset:944 ; 4-byte Folded Reload
	s_waitcnt vmcnt(0)
	v_mul_f32_e32 v0, v31, v0
	v_fmac_f32_e32 v56, v3, v0
	buffer_load_dword v0, off, s[0:3], s32 offset:936 ; 4-byte Folded Reload
	s_waitcnt vmcnt(0)
	v_mul_f32_e32 v0, v31, v0
	v_fmac_f32_e32 v59, v4, v0
	s_clause 0x4
	buffer_load_dword v0, off, s[0:3], s32 offset:1312
	buffer_load_dword v1, off, s[0:3], s32 offset:2100
	buffer_load_dword v2, off, s[0:3], s32 offset:2104
	buffer_load_dword v3, off, s[0:3], s32 offset:2108
	buffer_load_dword v4, off, s[0:3], s32 offset:2112
	s_waitcnt vmcnt(4)
	v_mul_f32_e32 v0, v31, v0
	s_waitcnt vmcnt(3)
	v_fmac_f32_e32 v41, v1, v0
	buffer_load_dword v0, off, s[0:3], s32 offset:1000 ; 4-byte Folded Reload
	s_waitcnt vmcnt(0)
	v_mul_f32_e32 v0, v31, v0
	v_fmac_f32_e32 v45, v2, v0
	buffer_load_dword v0, off, s[0:3], s32 offset:968 ; 4-byte Folded Reload
	s_waitcnt vmcnt(0)
	;; [unrolled: 22-line block ×17, first 2 shown]
	v_mul_f32_e32 v0, v31, v0
	v_fmac_f32_e32 v56, v3, v0
	buffer_load_dword v0, off, s[0:3], s32 offset:1380 ; 4-byte Folded Reload
	s_waitcnt vmcnt(0)
	v_mul_f32_e32 v0, v31, v0
	v_fmac_f32_e32 v59, v4, v0
	s_clause 0x4
	buffer_load_dword v0, off, s[0:3], s32 offset:1376
	buffer_load_dword v1, off, s[0:3], s32 offset:2356
	buffer_load_dword v2, off, s[0:3], s32 offset:2360
	buffer_load_dword v3, off, s[0:3], s32 offset:2364
	buffer_load_dword v4, off, s[0:3], s32 offset:2368
	s_waitcnt vmcnt(4)
	v_mul_f32_e32 v0, v31, v0
	s_waitcnt vmcnt(3)
	v_fmac_f32_e32 v41, v1, v0
	buffer_load_dword v0, off, s[0:3], s32 offset:1368 ; 4-byte Folded Reload
	s_waitcnt vmcnt(0)
	v_mul_f32_e32 v0, v31, v0
	v_fmac_f32_e32 v45, v2, v0
	s_clause 0x4
	buffer_load_dword v0, off, s[0:3], s32 offset:1372
	buffer_load_dword v5, off, s[0:3], s32 offset:2372
	;; [unrolled: 1-line block ×5, first 2 shown]
	v_mul_f32_e32 v2, v31, v78
	s_waitcnt vmcnt(4)
	v_mul_f32_e32 v0, v31, v0
	v_fmac_f32_e32 v56, v3, v0
	v_mul_f32_e32 v0, v31, v124
	v_mul_f32_e32 v3, v31, v79
	s_waitcnt vmcnt(1)
	v_fmac_f32_e32 v56, v7, v2
	v_fmac_f32_e32 v41, v5, v0
	v_mul_f32_e32 v0, v31, v125
	v_fmac_f32_e32 v45, v6, v0
	s_clause 0x2
	buffer_load_dword v0, off, s[0:3], s32 offset:1360
	buffer_load_dword v9, off, s[0:3], s32 offset:1348
	;; [unrolled: 1-line block ×3, first 2 shown]
	s_load_dword s18, s[8:9], 0x0
	s_clause 0x1
	buffer_load_dword v10, off, s[0:3], s32 offset:1352
	buffer_load_dword v13, off, s[0:3], s32 offset:1356
	s_waitcnt vmcnt(4)
	v_mul_f32_e32 v0, v31, v0
	s_waitcnt vmcnt(2)
	v_add_nc_u32_e32 v2, v1, v9
	v_fmac_f32_e32 v59, v4, v0
	v_cvt_f32_i32_e32 v2, v2
	v_add_f32_e32 v0, v41, v45
	v_fmac_f32_e32 v59, v8, v3
	buffer_load_dword v3, off, s[0:3], s32 offset:1584 ; 4-byte Folded Reload
	v_add_f32_e32 v0, v56, v0
	v_add_f32_e32 v0, v59, v0
	s_waitcnt vmcnt(0)
	v_mul_f32_e32 v2, v3, v2
	buffer_load_dword v3, off, s[0:3], s32 offset:1604 ; 4-byte Folded Reload
	v_cndmask_b32_e32 v2, 0, v2, vcc_lo
	s_waitcnt vmcnt(0)
	v_fmac_f32_e32 v2, v3, v0
	s_clause 0x1
	buffer_load_dword v0, off, s[0:3], s32 offset:1576
	buffer_load_dword v3, off, s[0:3], s32 offset:200
	s_waitcnt vmcnt(1)
	v_add_nc_u32_e32 v0, v0, v9
	s_waitcnt vmcnt(0)
	v_cmp_lt_i32_e64 s5, v0, v3
	s_waitcnt lgkmcnt(0)
	v_add_nc_u32_e32 v0, s18, v10
	v_cndmask_b32_e64 v3, 0, v2, s5
	ds_write_b32 v0, v3
	v_max_f32_e32 v0, v13, v13
	v_max_f32_e32 v0, v0, v2
	v_cndmask_b32_e64 v13, v13, v0, s5
.LBB214_14:                             ;   in Loop: Header=BB214_15 Depth=1
	s_or_b32 exec_lo, exec_lo, s6
	s_clause 0x2
	buffer_load_dword v8, off, s[0:3], s32 offset:244
	buffer_load_dword v0, off, s[0:3], s32 offset:212
	;; [unrolled: 1-line block ×3, first 2 shown]
	v_add_nc_u32_e32 v9, 0x80, v9
	v_add_nc_u32_e32 v10, 0x200, v10
	s_waitcnt vmcnt(1)
	v_add_co_u32 v0, s5, v0, 16
	s_waitcnt vmcnt(0)
	v_add_co_ci_u32_e64 v1, null, 0, v1, s5
	v_add_nc_u32_e32 v8, 4, v8
	buffer_store_dword v0, off, s[0:3], s32 offset:212 ; 4-byte Folded Spill
	buffer_store_dword v1, off, s[0:3], s32 offset:216 ; 4-byte Folded Spill
	buffer_load_dword v0, off, s[0:3], s32 offset:204 ; 4-byte Folded Reload
	s_waitcnt vmcnt(0)
	v_cmp_ge_i32_e64 s5, v8, v0
	s_or_b32 s17, s5, s17
	s_andn2_b32 exec_lo, exec_lo, s17
	s_cbranch_execz .LBB214_1551
.LBB214_15:                             ; =>This Inner Loop Header: Depth=1
	s_clause 0x1
	buffer_load_dword v0, off, s[0:3], s32 offset:236
	buffer_load_dword v5, off, s[0:3], s32 offset:220
	buffer_store_dword v8, off, s[0:3], s32 offset:244 ; 4-byte Folded Spill
	s_waitcnt vmcnt(1)
	v_mul_hi_u32 v0, v9, v0
	s_waitcnt vmcnt(0)
	v_mul_lo_u32 v2, v0, v5
	v_add_nc_u32_e32 v3, 1, v0
	v_sub_nc_u32_e32 v2, v9, v2
	v_sub_nc_u32_e32 v4, v2, v5
	v_cmp_ge_u32_e64 s5, v2, v5
	v_cndmask_b32_e64 v2, v2, v4, s5
	v_cndmask_b32_e64 v0, v0, v3, s5
	v_cmp_ge_u32_e64 s5, v2, v5
	buffer_load_dword v2, off, s[0:3], s32 offset:232 ; 4-byte Folded Reload
	v_add_nc_u32_e32 v3, 1, v0
	v_cndmask_b32_e64 v0, v0, v3, s5
	s_waitcnt vmcnt(0)
	v_xor_b32_e32 v0, v0, v2
	v_sub_nc_u32_e32 v0, v0, v2
	s_clause 0x3
	buffer_load_dword v2, off, s[0:3], s32 offset:224
	buffer_load_dword v3, off, s[0:3], s32 offset:228
	;; [unrolled: 1-line block ×4, first 2 shown]
	s_waitcnt vmcnt(3)
	v_add_nc_u32_e32 v2, v0, v2
	s_waitcnt vmcnt(2)
	v_sub_nc_u32_e32 v3, 0, v2
	v_max_i32_e32 v3, v2, v3
	v_ashrrev_i32_e32 v2, 31, v2
	s_waitcnt vmcnt(1)
	v_mul_hi_u32 v4, v3, v1
	s_waitcnt vmcnt(0)
	v_mul_lo_u32 v4, v4, v5
	v_sub_nc_u32_e32 v3, v3, v4
	v_sub_nc_u32_e32 v4, v3, v5
	v_cmp_ge_u32_e64 s5, v3, v5
	v_cndmask_b32_e64 v3, v3, v4, s5
	v_sub_nc_u32_e32 v4, v3, v5
	v_cmp_ge_u32_e64 s5, v3, v5
	v_cndmask_b32_e64 v3, v3, v4, s5
	v_xor_b32_e32 v3, v3, v2
	v_sub_nc_u32_e32 v2, v3, v2
	v_cmp_ne_u32_e64 s5, 0, v2
	buffer_load_dword v2, off, s[0:3], s32 offset:240 ; 4-byte Folded Reload
	s_waitcnt vmcnt(0)
	v_cmp_le_i32_e64 s6, v0, v2
	s_and_b32 s5, s5, s6
	s_and_saveexec_b32 s6, s5
	s_xor_b32 s5, exec_lo, s6
; %bb.16:                               ;   in Loop: Header=BB214_15 Depth=1
	v_add_nc_u32_e32 v0, s15, v10
	v_mov_b32_e32 v2, 0xff7fffff
	ds_write_b32 v0, v2
; %bb.17:                               ;   in Loop: Header=BB214_15 Depth=1
	s_andn2_saveexec_b32 s6, s5
	s_cbranch_execz .LBB214_14
; %bb.18:                               ;   in Loop: Header=BB214_15 Depth=1
	buffer_store_dword v13, off, s[0:3], s32 offset:1356 ; 4-byte Folded Spill
	buffer_store_dword v10, off, s[0:3], s32 offset:1352 ; 4-byte Folded Spill
	;; [unrolled: 1-line block ×3, first 2 shown]
	s_clause 0x1
	buffer_load_dword v0, off, s[0:3], s32 offset:212
	buffer_load_dword v1, off, s[0:3], s32 offset:216
	s_waitcnt vmcnt(0)
	flat_load_dword v0, v[0:1]
	s_clause 0x2
	buffer_load_dword v2, off, s[0:3], s32 offset:1336
	buffer_load_dword v3, off, s[0:3], s32 offset:1608
	;; [unrolled: 1-line block ×3, first 2 shown]
	s_waitcnt vmcnt(0) lgkmcnt(0)
	v_mad_i64_i32 v[74:75], null, v0, v2, v[3:4]
	v_mov_b32_e32 v0, 0
	v_mov_b32_e32 v1, 0
	flat_load_dword v2, v[74:75]
	s_clause 0x1
	buffer_load_dword v3, off, s[0:3], s32 offset:1596
	buffer_load_dword v4, off, s[0:3], s32 offset:1600
	s_waitcnt vmcnt(2) lgkmcnt(0)
	v_cmp_ne_u16_sdwa s5, v2, v93 src0_sel:BYTE_0 src1_sel:DWORD
	s_waitcnt vmcnt(0)
	flat_load_dword v31, v[3:4]
	buffer_store_dword v0, off, s[0:3], s32 offset:256 ; 4-byte Folded Spill
	buffer_store_dword v1, off, s[0:3], s32 offset:260 ; 4-byte Folded Spill
	v_mov_b32_e32 v0, 0
	v_mov_b32_e32 v1, 0
	buffer_store_dword v0, off, s[0:3], s32 offset:248 ; 4-byte Folded Spill
	buffer_store_dword v1, off, s[0:3], s32 offset:252 ; 4-byte Folded Spill
	s_mov_b32 s18, exec_lo
	v_mov_b32_e32 v10, 0xff
	s_and_b32 s5, s18, s5
	s_mov_b32 exec_lo, s5
	s_cbranch_execz .LBB214_26
; %bb.19:                               ;   in Loop: Header=BB214_15 Depth=1
	v_bfrev_b32_e32 v0, 1
	v_mov_b32_e32 v1, 0
	buffer_store_dword v0, off, s[0:3], s32 offset:248 ; 4-byte Folded Spill
	buffer_store_dword v1, off, s[0:3], s32 offset:252 ; 4-byte Folded Spill
	v_mov_b32_e32 v0, 0x80
	v_cmp_ne_u16_sdwa s5, v2, v0 src0_sel:BYTE_0 src1_sel:DWORD
	s_and_saveexec_b32 s19, s5
	s_cbranch_execz .LBB214_25
; %bb.20:                               ;   in Loop: Header=BB214_15 Depth=1
	v_mov_b32_e32 v0, 0x7f800001
	v_and_b32_e32 v4, 0x7f, v2
	v_mov_b32_e32 v1, 0
	s_mov_b32 s20, exec_lo
	buffer_store_dword v0, off, s[0:3], s32 offset:248 ; 4-byte Folded Spill
	buffer_store_dword v1, off, s[0:3], s32 offset:252 ; 4-byte Folded Spill
	v_cmpx_ne_u32_e32 0x7f, v4
	s_cbranch_execz .LBB214_24
; %bb.21:                               ;   in Loop: Header=BB214_15 Depth=1
	v_and_b32_e32 v92, 7, v2
	v_lshrrev_b32_e32 v3, 3, v4
	s_mov_b32 s21, exec_lo
	v_cmpx_gt_u32_e32 8, v4
; %bb.22:                               ;   in Loop: Header=BB214_15 Depth=1
	v_ffbh_u32_e32 v3, v92
	v_min_u32_e32 v3, 32, v3
	v_subrev_nc_u32_e32 v4, 28, v3
	v_sub_nc_u32_e32 v3, 29, v3
	v_lshlrev_b64 v[4:5], v4, v[92:93]
	v_and_b32_e32 v92, 7, v4
; %bb.23:                               ;   in Loop: Header=BB214_15 Depth=1
	s_or_b32 exec_lo, exec_lo, s21
	v_lshlrev_b32_e32 v4, 24, v2
	v_lshlrev_b32_e32 v0, 20, v92
	v_lshl_add_u32 v3, v3, 23, 0x3c000000
	v_and_b32_e32 v4, 0x80000000, v4
	v_or3_b32 v92, v0, v4, v3
	buffer_store_dword v92, off, s[0:3], s32 offset:248 ; 4-byte Folded Spill
	buffer_store_dword v93, off, s[0:3], s32 offset:252 ; 4-byte Folded Spill
.LBB214_24:                             ;   in Loop: Header=BB214_15 Depth=1
	s_or_b32 exec_lo, exec_lo, s20
.LBB214_25:                             ;   in Loop: Header=BB214_15 Depth=1
	s_or_b32 exec_lo, exec_lo, s19
.LBB214_26:                             ;   in Loop: Header=BB214_15 Depth=1
	s_or_b32 exec_lo, exec_lo, s18
	v_cmp_ne_u16_sdwa s5, v2, v93 src0_sel:BYTE_1 src1_sel:DWORD
	s_and_saveexec_b32 s18, s5
	s_cbranch_execz .LBB214_34
; %bb.27:                               ;   in Loop: Header=BB214_15 Depth=1
	v_mov_b32_e32 v0, 0x80
	v_mov_b32_e32 v16, v93
	buffer_store_dword v16, off, s[0:3], s32 offset:256 ; 4-byte Folded Spill
	buffer_store_dword v17, off, s[0:3], s32 offset:260 ; 4-byte Folded Spill
	v_cmp_ne_u16_sdwa s5, v2, v0 src0_sel:BYTE_1 src1_sel:DWORD
	s_and_saveexec_b32 s19, s5
	s_cbranch_execz .LBB214_33
; %bb.28:                               ;   in Loop: Header=BB214_15 Depth=1
	s_clause 0x1
	buffer_load_dword v5, off, s[0:3], s32 offset:192
	buffer_load_dword v6, off, s[0:3], s32 offset:196
	v_mov_b32_e32 v0, 0xffff
	s_waitcnt vmcnt(1)
	v_mov_b32_e32 v5, v93
	s_mov_b32 s20, exec_lo
	v_and_b32_sdwa v0, v0, v2 dst_sel:DWORD dst_unused:UNUSED_PAD src0_sel:DWORD src1_sel:BYTE_1
	v_and_b32_e32 v4, 0x7f, v0
	s_waitcnt vmcnt(0)
	v_mov_b32_e32 v3, v6
	buffer_store_dword v2, off, s[0:3], s32 offset:192 ; 4-byte Folded Spill
	buffer_store_dword v3, off, s[0:3], s32 offset:196 ; 4-byte Folded Spill
	;; [unrolled: 1-line block ×4, first 2 shown]
	v_cmpx_ne_u32_e32 0x7f, v4
	s_cbranch_execz .LBB214_32
; %bb.29:                               ;   in Loop: Header=BB214_15 Depth=1
	v_and_b32_e32 v92, 7, v0
	v_lshrrev_b32_e32 v3, 3, v4
	s_mov_b32 s21, exec_lo
	v_cmpx_gt_u32_e32 8, v4
; %bb.30:                               ;   in Loop: Header=BB214_15 Depth=1
	v_ffbh_u32_e32 v3, v92
	v_min_u32_e32 v3, 32, v3
	v_subrev_nc_u32_e32 v4, 28, v3
	v_sub_nc_u32_e32 v3, 29, v3
	v_lshlrev_b64 v[4:5], v4, v[92:93]
	v_and_b32_e32 v92, 7, v4
; %bb.31:                               ;   in Loop: Header=BB214_15 Depth=1
	s_or_b32 exec_lo, exec_lo, s21
	v_lshlrev_b32_e32 v4, 16, v2
	v_lshlrev_b32_e32 v0, 20, v92
	v_lshl_add_u32 v3, v3, 23, 0x3c000000
	v_and_b32_e32 v4, 0x80000000, v4
	v_or3_b32 v1, v0, v4, v3
	v_mov_b32_e32 v0, v93
	buffer_store_dword v0, off, s[0:3], s32 offset:256 ; 4-byte Folded Spill
	buffer_store_dword v1, off, s[0:3], s32 offset:260 ; 4-byte Folded Spill
.LBB214_32:                             ;   in Loop: Header=BB214_15 Depth=1
	s_or_b32 exec_lo, exec_lo, s20
.LBB214_33:                             ;   in Loop: Header=BB214_15 Depth=1
	s_or_b32 exec_lo, exec_lo, s19
.LBB214_34:                             ;   in Loop: Header=BB214_15 Depth=1
	s_or_b32 exec_lo, exec_lo, s18
	v_mov_b32_e32 v3, 0
	v_mov_b32_e32 v4, 0
	v_and_b32_sdwa v0, v2, v10 dst_sel:DWORD dst_unused:UNUSED_PAD src0_sel:WORD_1 src1_sel:DWORD
	s_mov_b32 s18, exec_lo
	buffer_store_dword v3, off, s[0:3], s32 offset:264 ; 4-byte Folded Spill
	buffer_store_dword v4, off, s[0:3], s32 offset:268 ; 4-byte Folded Spill
	v_mov_b32_e32 v3, 0
	v_mov_b32_e32 v4, 0
	buffer_store_dword v3, off, s[0:3], s32 offset:1064 ; 4-byte Folded Spill
	buffer_store_dword v4, off, s[0:3], s32 offset:1068 ; 4-byte Folded Spill
	v_cmpx_ne_u16_e32 0, v0
	s_cbranch_execz .LBB214_42
; %bb.35:                               ;   in Loop: Header=BB214_15 Depth=1
	v_cmp_ne_u16_e64 s5, 0x80, v0
	v_bfrev_b32_e32 v0, 1
	v_mov_b32_e32 v1, 0
	s_and_saveexec_b32 s19, s5
	s_cbranch_execz .LBB214_41
; %bb.36:                               ;   in Loop: Header=BB214_15 Depth=1
	v_mov_b32_e32 v0, 0x7f800001
	v_bfe_u32 v4, v2, 16, 7
	v_mov_b32_e32 v1, 0
	s_mov_b32 s20, exec_lo
	v_cmpx_ne_u32_e32 0x7f, v4
	s_cbranch_execz .LBB214_40
; %bb.37:                               ;   in Loop: Header=BB214_15 Depth=1
	v_mov_b32_e32 v0, 7
	v_lshrrev_b32_e32 v3, 3, v4
	s_mov_b32 s21, exec_lo
	v_and_b32_sdwa v92, v2, v0 dst_sel:DWORD dst_unused:UNUSED_PAD src0_sel:WORD_1 src1_sel:DWORD
	v_cmpx_gt_u32_e32 8, v4
; %bb.38:                               ;   in Loop: Header=BB214_15 Depth=1
	v_ffbh_u32_e32 v3, v92
	v_min_u32_e32 v3, 32, v3
	v_subrev_nc_u32_e32 v4, 28, v3
	v_sub_nc_u32_e32 v3, 29, v3
	v_lshlrev_b64 v[4:5], v4, v[92:93]
	v_and_b32_e32 v92, 7, v4
; %bb.39:                               ;   in Loop: Header=BB214_15 Depth=1
	s_or_b32 exec_lo, exec_lo, s21
	v_mov_b32_e32 v0, 24
	v_lshl_add_u32 v3, v3, 23, 0x3c000000
	v_lshlrev_b32_sdwa v4, v0, v2 dst_sel:DWORD dst_unused:UNUSED_PAD src0_sel:DWORD src1_sel:WORD_1
	v_lshlrev_b32_e32 v0, 20, v92
	v_and_b32_e32 v4, 0x80000000, v4
	v_or3_b32 v92, v0, v4, v3
	v_mov_b32_e32 v0, v92
	v_mov_b32_e32 v1, v93
.LBB214_40:                             ;   in Loop: Header=BB214_15 Depth=1
	s_or_b32 exec_lo, exec_lo, s20
.LBB214_41:                             ;   in Loop: Header=BB214_15 Depth=1
	s_or_b32 exec_lo, exec_lo, s19
	buffer_store_dword v0, off, s[0:3], s32 offset:1064 ; 4-byte Folded Spill
	buffer_store_dword v1, off, s[0:3], s32 offset:1068 ; 4-byte Folded Spill
.LBB214_42:                             ;   in Loop: Header=BB214_15 Depth=1
	s_or_b32 exec_lo, exec_lo, s18
	s_mov_b32 s18, exec_lo
	v_cmpx_lt_u32_e32 0xffffff, v2
	s_cbranch_execz .LBB214_50
; %bb.43:                               ;   in Loop: Header=BB214_15 Depth=1
	v_mov_b32_e32 v0, 0x80
	v_mov_b32_e32 v16, v93
	buffer_store_dword v16, off, s[0:3], s32 offset:264 ; 4-byte Folded Spill
	buffer_store_dword v17, off, s[0:3], s32 offset:268 ; 4-byte Folded Spill
	v_cmp_ne_u32_sdwa s5, v2, v0 src0_sel:BYTE_3 src1_sel:DWORD
	s_and_saveexec_b32 s19, s5
	s_cbranch_execz .LBB214_49
; %bb.44:                               ;   in Loop: Header=BB214_15 Depth=1
	s_clause 0x1
	buffer_load_dword v5, off, s[0:3], s32 offset:192
	buffer_load_dword v6, off, s[0:3], s32 offset:196
	v_bfe_u32 v4, v2, 24, 7
	s_waitcnt vmcnt(1)
	v_mov_b32_e32 v5, v93
	s_mov_b32 s20, exec_lo
	s_waitcnt vmcnt(0)
	v_mov_b32_e32 v3, v6
	buffer_store_dword v2, off, s[0:3], s32 offset:192 ; 4-byte Folded Spill
	buffer_store_dword v3, off, s[0:3], s32 offset:196 ; 4-byte Folded Spill
	;; [unrolled: 1-line block ×4, first 2 shown]
	v_cmpx_ne_u32_e32 0x7f, v4
	s_cbranch_execz .LBB214_48
; %bb.45:                               ;   in Loop: Header=BB214_15 Depth=1
	v_mov_b32_e32 v0, 7
	v_lshrrev_b32_e32 v3, 3, v4
	s_mov_b32 s21, exec_lo
	v_and_b32_sdwa v92, v2, v0 dst_sel:DWORD dst_unused:UNUSED_PAD src0_sel:BYTE_3 src1_sel:DWORD
	v_cmpx_gt_u32_e32 8, v4
; %bb.46:                               ;   in Loop: Header=BB214_15 Depth=1
	v_ffbh_u32_e32 v3, v92
	v_min_u32_e32 v3, 32, v3
	v_subrev_nc_u32_e32 v4, 28, v3
	v_sub_nc_u32_e32 v3, 29, v3
	v_lshlrev_b64 v[4:5], v4, v[92:93]
	v_and_b32_e32 v92, 7, v4
; %bb.47:                               ;   in Loop: Header=BB214_15 Depth=1
	s_or_b32 exec_lo, exec_lo, s21
	v_mov_b32_e32 v0, 24
	v_lshl_add_u32 v3, v3, 23, 0x3c000000
	v_lshlrev_b32_sdwa v2, v0, v2 dst_sel:DWORD dst_unused:UNUSED_PAD src0_sel:DWORD src1_sel:BYTE_3
	v_lshlrev_b32_e32 v0, 20, v92
	v_and_b32_e32 v2, 0x80000000, v2
	v_or3_b32 v1, v0, v2, v3
	v_mov_b32_e32 v0, v93
	buffer_store_dword v0, off, s[0:3], s32 offset:264 ; 4-byte Folded Spill
	buffer_store_dword v1, off, s[0:3], s32 offset:268 ; 4-byte Folded Spill
.LBB214_48:                             ;   in Loop: Header=BB214_15 Depth=1
	s_or_b32 exec_lo, exec_lo, s20
.LBB214_49:                             ;   in Loop: Header=BB214_15 Depth=1
	s_or_b32 exec_lo, exec_lo, s19
.LBB214_50:                             ;   in Loop: Header=BB214_15 Depth=1
	s_or_b32 exec_lo, exec_lo, s18
	flat_load_dword v2, v[74:75] offset:4
	v_mov_b32_e32 v0, 0
	v_mov_b32_e32 v1, 0
	buffer_store_dword v0, off, s[0:3], s32 offset:280 ; 4-byte Folded Spill
	buffer_store_dword v1, off, s[0:3], s32 offset:284 ; 4-byte Folded Spill
	v_mov_b32_e32 v0, 0
	v_mov_b32_e32 v1, 0
	buffer_store_dword v0, off, s[0:3], s32 offset:272 ; 4-byte Folded Spill
	buffer_store_dword v1, off, s[0:3], s32 offset:276 ; 4-byte Folded Spill
	s_waitcnt vmcnt(0) lgkmcnt(0)
	v_cmp_ne_u16_sdwa s5, v2, v93 src0_sel:BYTE_0 src1_sel:DWORD
	s_and_saveexec_b32 s18, s5
	s_cbranch_execz .LBB214_58
; %bb.51:                               ;   in Loop: Header=BB214_15 Depth=1
	v_bfrev_b32_e32 v0, 1
	v_mov_b32_e32 v1, 0
	buffer_store_dword v0, off, s[0:3], s32 offset:272 ; 4-byte Folded Spill
	buffer_store_dword v1, off, s[0:3], s32 offset:276 ; 4-byte Folded Spill
	v_mov_b32_e32 v0, 0x80
	v_cmp_ne_u16_sdwa s5, v2, v0 src0_sel:BYTE_0 src1_sel:DWORD
	s_and_saveexec_b32 s19, s5
	s_cbranch_execz .LBB214_57
; %bb.52:                               ;   in Loop: Header=BB214_15 Depth=1
	v_mov_b32_e32 v0, 0x7f800001
	v_and_b32_e32 v4, 0x7f, v2
	v_mov_b32_e32 v1, 0
	s_mov_b32 s20, exec_lo
	buffer_store_dword v0, off, s[0:3], s32 offset:272 ; 4-byte Folded Spill
	buffer_store_dword v1, off, s[0:3], s32 offset:276 ; 4-byte Folded Spill
	v_cmpx_ne_u32_e32 0x7f, v4
	s_cbranch_execz .LBB214_56
; %bb.53:                               ;   in Loop: Header=BB214_15 Depth=1
	v_and_b32_e32 v92, 7, v2
	v_lshrrev_b32_e32 v3, 3, v4
	s_mov_b32 s21, exec_lo
	v_cmpx_gt_u32_e32 8, v4
; %bb.54:                               ;   in Loop: Header=BB214_15 Depth=1
	v_ffbh_u32_e32 v3, v92
	v_min_u32_e32 v3, 32, v3
	v_subrev_nc_u32_e32 v4, 28, v3
	v_sub_nc_u32_e32 v3, 29, v3
	v_lshlrev_b64 v[4:5], v4, v[92:93]
	v_and_b32_e32 v92, 7, v4
; %bb.55:                               ;   in Loop: Header=BB214_15 Depth=1
	s_or_b32 exec_lo, exec_lo, s21
	v_lshlrev_b32_e32 v4, 24, v2
	v_lshlrev_b32_e32 v0, 20, v92
	v_lshl_add_u32 v3, v3, 23, 0x3c000000
	v_and_b32_e32 v4, 0x80000000, v4
	v_or3_b32 v92, v0, v4, v3
	buffer_store_dword v92, off, s[0:3], s32 offset:272 ; 4-byte Folded Spill
	buffer_store_dword v93, off, s[0:3], s32 offset:276 ; 4-byte Folded Spill
.LBB214_56:                             ;   in Loop: Header=BB214_15 Depth=1
	s_or_b32 exec_lo, exec_lo, s20
.LBB214_57:                             ;   in Loop: Header=BB214_15 Depth=1
	s_or_b32 exec_lo, exec_lo, s19
.LBB214_58:                             ;   in Loop: Header=BB214_15 Depth=1
	s_or_b32 exec_lo, exec_lo, s18
	v_cmp_ne_u16_sdwa s5, v2, v93 src0_sel:BYTE_1 src1_sel:DWORD
	s_and_saveexec_b32 s18, s5
	s_cbranch_execz .LBB214_66
; %bb.59:                               ;   in Loop: Header=BB214_15 Depth=1
	v_mov_b32_e32 v0, 0x80
	v_mov_b32_e32 v16, v93
	buffer_store_dword v16, off, s[0:3], s32 offset:280 ; 4-byte Folded Spill
	buffer_store_dword v17, off, s[0:3], s32 offset:284 ; 4-byte Folded Spill
	v_cmp_ne_u16_sdwa s5, v2, v0 src0_sel:BYTE_1 src1_sel:DWORD
	s_and_saveexec_b32 s19, s5
	s_cbranch_execz .LBB214_65
; %bb.60:                               ;   in Loop: Header=BB214_15 Depth=1
	s_clause 0x1
	buffer_load_dword v5, off, s[0:3], s32 offset:192
	buffer_load_dword v6, off, s[0:3], s32 offset:196
	v_mov_b32_e32 v0, 0xffff
	s_waitcnt vmcnt(1)
	v_mov_b32_e32 v5, v93
	s_mov_b32 s20, exec_lo
	v_and_b32_sdwa v0, v0, v2 dst_sel:DWORD dst_unused:UNUSED_PAD src0_sel:DWORD src1_sel:BYTE_1
	v_and_b32_e32 v4, 0x7f, v0
	s_waitcnt vmcnt(0)
	v_mov_b32_e32 v3, v6
	buffer_store_dword v2, off, s[0:3], s32 offset:192 ; 4-byte Folded Spill
	buffer_store_dword v3, off, s[0:3], s32 offset:196 ; 4-byte Folded Spill
	;; [unrolled: 1-line block ×4, first 2 shown]
	v_cmpx_ne_u32_e32 0x7f, v4
	s_cbranch_execz .LBB214_64
; %bb.61:                               ;   in Loop: Header=BB214_15 Depth=1
	v_and_b32_e32 v92, 7, v0
	v_lshrrev_b32_e32 v3, 3, v4
	s_mov_b32 s21, exec_lo
	v_cmpx_gt_u32_e32 8, v4
; %bb.62:                               ;   in Loop: Header=BB214_15 Depth=1
	v_ffbh_u32_e32 v3, v92
	v_min_u32_e32 v3, 32, v3
	v_subrev_nc_u32_e32 v4, 28, v3
	v_sub_nc_u32_e32 v3, 29, v3
	v_lshlrev_b64 v[4:5], v4, v[92:93]
	v_and_b32_e32 v92, 7, v4
; %bb.63:                               ;   in Loop: Header=BB214_15 Depth=1
	s_or_b32 exec_lo, exec_lo, s21
	v_lshlrev_b32_e32 v4, 16, v2
	v_lshlrev_b32_e32 v0, 20, v92
	v_lshl_add_u32 v3, v3, 23, 0x3c000000
	v_and_b32_e32 v4, 0x80000000, v4
	v_or3_b32 v1, v0, v4, v3
	v_mov_b32_e32 v0, v93
	buffer_store_dword v0, off, s[0:3], s32 offset:280 ; 4-byte Folded Spill
	buffer_store_dword v1, off, s[0:3], s32 offset:284 ; 4-byte Folded Spill
.LBB214_64:                             ;   in Loop: Header=BB214_15 Depth=1
	s_or_b32 exec_lo, exec_lo, s20
.LBB214_65:                             ;   in Loop: Header=BB214_15 Depth=1
	s_or_b32 exec_lo, exec_lo, s19
.LBB214_66:                             ;   in Loop: Header=BB214_15 Depth=1
	s_or_b32 exec_lo, exec_lo, s18
	v_mov_b32_e32 v3, 0
	v_mov_b32_e32 v4, 0
	v_and_b32_sdwa v0, v2, v10 dst_sel:DWORD dst_unused:UNUSED_PAD src0_sel:WORD_1 src1_sel:DWORD
	s_mov_b32 s18, exec_lo
	buffer_store_dword v3, off, s[0:3], s32 offset:288 ; 4-byte Folded Spill
	buffer_store_dword v4, off, s[0:3], s32 offset:292 ; 4-byte Folded Spill
	v_mov_b32_e32 v3, 0
	v_mov_b32_e32 v4, 0
	buffer_store_dword v3, off, s[0:3], s32 offset:1072 ; 4-byte Folded Spill
	buffer_store_dword v4, off, s[0:3], s32 offset:1076 ; 4-byte Folded Spill
	v_cmpx_ne_u16_e32 0, v0
	s_cbranch_execz .LBB214_74
; %bb.67:                               ;   in Loop: Header=BB214_15 Depth=1
	v_cmp_ne_u16_e64 s5, 0x80, v0
	v_bfrev_b32_e32 v0, 1
	v_mov_b32_e32 v1, 0
	s_and_saveexec_b32 s19, s5
	s_cbranch_execz .LBB214_73
; %bb.68:                               ;   in Loop: Header=BB214_15 Depth=1
	v_mov_b32_e32 v0, 0x7f800001
	v_bfe_u32 v4, v2, 16, 7
	v_mov_b32_e32 v1, 0
	s_mov_b32 s20, exec_lo
	v_cmpx_ne_u32_e32 0x7f, v4
	s_cbranch_execz .LBB214_72
; %bb.69:                               ;   in Loop: Header=BB214_15 Depth=1
	v_mov_b32_e32 v0, 7
	v_lshrrev_b32_e32 v3, 3, v4
	s_mov_b32 s21, exec_lo
	v_and_b32_sdwa v92, v2, v0 dst_sel:DWORD dst_unused:UNUSED_PAD src0_sel:WORD_1 src1_sel:DWORD
	v_cmpx_gt_u32_e32 8, v4
; %bb.70:                               ;   in Loop: Header=BB214_15 Depth=1
	v_ffbh_u32_e32 v3, v92
	v_min_u32_e32 v3, 32, v3
	v_subrev_nc_u32_e32 v4, 28, v3
	v_sub_nc_u32_e32 v3, 29, v3
	v_lshlrev_b64 v[4:5], v4, v[92:93]
	v_and_b32_e32 v92, 7, v4
; %bb.71:                               ;   in Loop: Header=BB214_15 Depth=1
	s_or_b32 exec_lo, exec_lo, s21
	v_mov_b32_e32 v0, 24
	v_lshl_add_u32 v3, v3, 23, 0x3c000000
	v_lshlrev_b32_sdwa v4, v0, v2 dst_sel:DWORD dst_unused:UNUSED_PAD src0_sel:DWORD src1_sel:WORD_1
	v_lshlrev_b32_e32 v0, 20, v92
	v_and_b32_e32 v4, 0x80000000, v4
	v_or3_b32 v92, v0, v4, v3
	v_mov_b32_e32 v0, v92
	v_mov_b32_e32 v1, v93
.LBB214_72:                             ;   in Loop: Header=BB214_15 Depth=1
	s_or_b32 exec_lo, exec_lo, s20
.LBB214_73:                             ;   in Loop: Header=BB214_15 Depth=1
	s_or_b32 exec_lo, exec_lo, s19
	buffer_store_dword v0, off, s[0:3], s32 offset:1072 ; 4-byte Folded Spill
	buffer_store_dword v1, off, s[0:3], s32 offset:1076 ; 4-byte Folded Spill
.LBB214_74:                             ;   in Loop: Header=BB214_15 Depth=1
	s_or_b32 exec_lo, exec_lo, s18
	s_mov_b32 s18, exec_lo
	v_cmpx_lt_u32_e32 0xffffff, v2
	s_cbranch_execz .LBB214_82
; %bb.75:                               ;   in Loop: Header=BB214_15 Depth=1
	v_mov_b32_e32 v0, 0x80
	v_mov_b32_e32 v16, v93
	buffer_store_dword v16, off, s[0:3], s32 offset:288 ; 4-byte Folded Spill
	buffer_store_dword v17, off, s[0:3], s32 offset:292 ; 4-byte Folded Spill
	v_cmp_ne_u32_sdwa s5, v2, v0 src0_sel:BYTE_3 src1_sel:DWORD
	s_and_saveexec_b32 s19, s5
	s_cbranch_execz .LBB214_81
; %bb.76:                               ;   in Loop: Header=BB214_15 Depth=1
	s_clause 0x1
	buffer_load_dword v5, off, s[0:3], s32 offset:192
	buffer_load_dword v6, off, s[0:3], s32 offset:196
	v_bfe_u32 v4, v2, 24, 7
	s_waitcnt vmcnt(1)
	v_mov_b32_e32 v5, v93
	s_mov_b32 s20, exec_lo
	s_waitcnt vmcnt(0)
	v_mov_b32_e32 v3, v6
	buffer_store_dword v2, off, s[0:3], s32 offset:192 ; 4-byte Folded Spill
	buffer_store_dword v3, off, s[0:3], s32 offset:196 ; 4-byte Folded Spill
	;; [unrolled: 1-line block ×4, first 2 shown]
	v_cmpx_ne_u32_e32 0x7f, v4
	s_cbranch_execz .LBB214_80
; %bb.77:                               ;   in Loop: Header=BB214_15 Depth=1
	v_mov_b32_e32 v0, 7
	v_lshrrev_b32_e32 v3, 3, v4
	s_mov_b32 s21, exec_lo
	v_and_b32_sdwa v92, v2, v0 dst_sel:DWORD dst_unused:UNUSED_PAD src0_sel:BYTE_3 src1_sel:DWORD
	v_cmpx_gt_u32_e32 8, v4
; %bb.78:                               ;   in Loop: Header=BB214_15 Depth=1
	v_ffbh_u32_e32 v3, v92
	v_min_u32_e32 v3, 32, v3
	v_subrev_nc_u32_e32 v4, 28, v3
	v_sub_nc_u32_e32 v3, 29, v3
	v_lshlrev_b64 v[4:5], v4, v[92:93]
	v_and_b32_e32 v92, 7, v4
; %bb.79:                               ;   in Loop: Header=BB214_15 Depth=1
	s_or_b32 exec_lo, exec_lo, s21
	v_mov_b32_e32 v0, 24
	v_lshl_add_u32 v3, v3, 23, 0x3c000000
	v_lshlrev_b32_sdwa v2, v0, v2 dst_sel:DWORD dst_unused:UNUSED_PAD src0_sel:DWORD src1_sel:BYTE_3
	v_lshlrev_b32_e32 v0, 20, v92
	v_and_b32_e32 v2, 0x80000000, v2
	v_or3_b32 v1, v0, v2, v3
	v_mov_b32_e32 v0, v93
	buffer_store_dword v0, off, s[0:3], s32 offset:288 ; 4-byte Folded Spill
	buffer_store_dword v1, off, s[0:3], s32 offset:292 ; 4-byte Folded Spill
.LBB214_80:                             ;   in Loop: Header=BB214_15 Depth=1
	s_or_b32 exec_lo, exec_lo, s20
.LBB214_81:                             ;   in Loop: Header=BB214_15 Depth=1
	s_or_b32 exec_lo, exec_lo, s19
.LBB214_82:                             ;   in Loop: Header=BB214_15 Depth=1
	s_or_b32 exec_lo, exec_lo, s18
	flat_load_dword v2, v[74:75] offset:8
	v_mov_b32_e32 v0, 0
	v_mov_b32_e32 v1, 0
	buffer_store_dword v0, off, s[0:3], s32 offset:304 ; 4-byte Folded Spill
	buffer_store_dword v1, off, s[0:3], s32 offset:308 ; 4-byte Folded Spill
	v_mov_b32_e32 v0, 0
	v_mov_b32_e32 v1, 0
	buffer_store_dword v0, off, s[0:3], s32 offset:296 ; 4-byte Folded Spill
	buffer_store_dword v1, off, s[0:3], s32 offset:300 ; 4-byte Folded Spill
	s_waitcnt vmcnt(0) lgkmcnt(0)
	v_cmp_ne_u16_sdwa s5, v2, v93 src0_sel:BYTE_0 src1_sel:DWORD
	s_and_saveexec_b32 s18, s5
	s_cbranch_execz .LBB214_90
; %bb.83:                               ;   in Loop: Header=BB214_15 Depth=1
	v_bfrev_b32_e32 v0, 1
	v_mov_b32_e32 v1, 0
	buffer_store_dword v0, off, s[0:3], s32 offset:296 ; 4-byte Folded Spill
	buffer_store_dword v1, off, s[0:3], s32 offset:300 ; 4-byte Folded Spill
	v_mov_b32_e32 v0, 0x80
	v_cmp_ne_u16_sdwa s5, v2, v0 src0_sel:BYTE_0 src1_sel:DWORD
	s_and_saveexec_b32 s19, s5
	s_cbranch_execz .LBB214_89
; %bb.84:                               ;   in Loop: Header=BB214_15 Depth=1
	v_mov_b32_e32 v0, 0x7f800001
	v_and_b32_e32 v4, 0x7f, v2
	v_mov_b32_e32 v1, 0
	s_mov_b32 s20, exec_lo
	buffer_store_dword v0, off, s[0:3], s32 offset:296 ; 4-byte Folded Spill
	buffer_store_dword v1, off, s[0:3], s32 offset:300 ; 4-byte Folded Spill
	v_cmpx_ne_u32_e32 0x7f, v4
	s_cbranch_execz .LBB214_88
; %bb.85:                               ;   in Loop: Header=BB214_15 Depth=1
	v_and_b32_e32 v92, 7, v2
	v_lshrrev_b32_e32 v3, 3, v4
	s_mov_b32 s21, exec_lo
	v_cmpx_gt_u32_e32 8, v4
; %bb.86:                               ;   in Loop: Header=BB214_15 Depth=1
	v_ffbh_u32_e32 v3, v92
	v_min_u32_e32 v3, 32, v3
	v_subrev_nc_u32_e32 v4, 28, v3
	v_sub_nc_u32_e32 v3, 29, v3
	v_lshlrev_b64 v[4:5], v4, v[92:93]
	v_and_b32_e32 v92, 7, v4
; %bb.87:                               ;   in Loop: Header=BB214_15 Depth=1
	s_or_b32 exec_lo, exec_lo, s21
	v_lshlrev_b32_e32 v4, 24, v2
	v_lshlrev_b32_e32 v0, 20, v92
	v_lshl_add_u32 v3, v3, 23, 0x3c000000
	v_and_b32_e32 v4, 0x80000000, v4
	v_or3_b32 v92, v0, v4, v3
	buffer_store_dword v92, off, s[0:3], s32 offset:296 ; 4-byte Folded Spill
	buffer_store_dword v93, off, s[0:3], s32 offset:300 ; 4-byte Folded Spill
.LBB214_88:                             ;   in Loop: Header=BB214_15 Depth=1
	s_or_b32 exec_lo, exec_lo, s20
.LBB214_89:                             ;   in Loop: Header=BB214_15 Depth=1
	s_or_b32 exec_lo, exec_lo, s19
.LBB214_90:                             ;   in Loop: Header=BB214_15 Depth=1
	s_or_b32 exec_lo, exec_lo, s18
	v_cmp_ne_u16_sdwa s5, v2, v93 src0_sel:BYTE_1 src1_sel:DWORD
	s_and_saveexec_b32 s18, s5
	s_cbranch_execz .LBB214_98
; %bb.91:                               ;   in Loop: Header=BB214_15 Depth=1
	v_mov_b32_e32 v0, 0x80
	v_mov_b32_e32 v16, v93
	buffer_store_dword v16, off, s[0:3], s32 offset:304 ; 4-byte Folded Spill
	buffer_store_dword v17, off, s[0:3], s32 offset:308 ; 4-byte Folded Spill
	v_cmp_ne_u16_sdwa s5, v2, v0 src0_sel:BYTE_1 src1_sel:DWORD
	s_and_saveexec_b32 s19, s5
	s_cbranch_execz .LBB214_97
; %bb.92:                               ;   in Loop: Header=BB214_15 Depth=1
	s_clause 0x1
	buffer_load_dword v5, off, s[0:3], s32 offset:192
	buffer_load_dword v6, off, s[0:3], s32 offset:196
	v_mov_b32_e32 v0, 0xffff
	s_waitcnt vmcnt(1)
	v_mov_b32_e32 v5, v93
	s_mov_b32 s20, exec_lo
	v_and_b32_sdwa v0, v0, v2 dst_sel:DWORD dst_unused:UNUSED_PAD src0_sel:DWORD src1_sel:BYTE_1
	v_and_b32_e32 v4, 0x7f, v0
	s_waitcnt vmcnt(0)
	v_mov_b32_e32 v3, v6
	buffer_store_dword v2, off, s[0:3], s32 offset:192 ; 4-byte Folded Spill
	buffer_store_dword v3, off, s[0:3], s32 offset:196 ; 4-byte Folded Spill
	;; [unrolled: 1-line block ×4, first 2 shown]
	v_cmpx_ne_u32_e32 0x7f, v4
	s_cbranch_execz .LBB214_96
; %bb.93:                               ;   in Loop: Header=BB214_15 Depth=1
	v_and_b32_e32 v92, 7, v0
	v_lshrrev_b32_e32 v3, 3, v4
	s_mov_b32 s21, exec_lo
	v_cmpx_gt_u32_e32 8, v4
; %bb.94:                               ;   in Loop: Header=BB214_15 Depth=1
	v_ffbh_u32_e32 v3, v92
	v_min_u32_e32 v3, 32, v3
	v_subrev_nc_u32_e32 v4, 28, v3
	v_sub_nc_u32_e32 v3, 29, v3
	v_lshlrev_b64 v[4:5], v4, v[92:93]
	v_and_b32_e32 v92, 7, v4
; %bb.95:                               ;   in Loop: Header=BB214_15 Depth=1
	s_or_b32 exec_lo, exec_lo, s21
	v_lshlrev_b32_e32 v4, 16, v2
	v_lshlrev_b32_e32 v0, 20, v92
	v_lshl_add_u32 v3, v3, 23, 0x3c000000
	v_and_b32_e32 v4, 0x80000000, v4
	v_or3_b32 v1, v0, v4, v3
	v_mov_b32_e32 v0, v93
	buffer_store_dword v0, off, s[0:3], s32 offset:304 ; 4-byte Folded Spill
	buffer_store_dword v1, off, s[0:3], s32 offset:308 ; 4-byte Folded Spill
.LBB214_96:                             ;   in Loop: Header=BB214_15 Depth=1
	s_or_b32 exec_lo, exec_lo, s20
.LBB214_97:                             ;   in Loop: Header=BB214_15 Depth=1
	s_or_b32 exec_lo, exec_lo, s19
.LBB214_98:                             ;   in Loop: Header=BB214_15 Depth=1
	s_or_b32 exec_lo, exec_lo, s18
	v_mov_b32_e32 v3, 0
	v_mov_b32_e32 v4, 0
	v_and_b32_sdwa v0, v2, v10 dst_sel:DWORD dst_unused:UNUSED_PAD src0_sel:WORD_1 src1_sel:DWORD
	s_mov_b32 s18, exec_lo
	buffer_store_dword v3, off, s[0:3], s32 offset:312 ; 4-byte Folded Spill
	buffer_store_dword v4, off, s[0:3], s32 offset:316 ; 4-byte Folded Spill
	v_mov_b32_e32 v3, 0
	v_mov_b32_e32 v4, 0
	buffer_store_dword v3, off, s[0:3], s32 offset:1080 ; 4-byte Folded Spill
	buffer_store_dword v4, off, s[0:3], s32 offset:1084 ; 4-byte Folded Spill
	v_cmpx_ne_u16_e32 0, v0
	s_cbranch_execz .LBB214_106
; %bb.99:                               ;   in Loop: Header=BB214_15 Depth=1
	v_cmp_ne_u16_e64 s5, 0x80, v0
	v_bfrev_b32_e32 v0, 1
	v_mov_b32_e32 v1, 0
	s_and_saveexec_b32 s19, s5
	s_cbranch_execz .LBB214_105
; %bb.100:                              ;   in Loop: Header=BB214_15 Depth=1
	v_mov_b32_e32 v0, 0x7f800001
	v_bfe_u32 v4, v2, 16, 7
	v_mov_b32_e32 v1, 0
	s_mov_b32 s20, exec_lo
	v_cmpx_ne_u32_e32 0x7f, v4
	s_cbranch_execz .LBB214_104
; %bb.101:                              ;   in Loop: Header=BB214_15 Depth=1
	v_mov_b32_e32 v0, 7
	v_lshrrev_b32_e32 v3, 3, v4
	s_mov_b32 s21, exec_lo
	v_and_b32_sdwa v92, v2, v0 dst_sel:DWORD dst_unused:UNUSED_PAD src0_sel:WORD_1 src1_sel:DWORD
	v_cmpx_gt_u32_e32 8, v4
; %bb.102:                              ;   in Loop: Header=BB214_15 Depth=1
	v_ffbh_u32_e32 v3, v92
	v_min_u32_e32 v3, 32, v3
	v_subrev_nc_u32_e32 v4, 28, v3
	v_sub_nc_u32_e32 v3, 29, v3
	v_lshlrev_b64 v[4:5], v4, v[92:93]
	v_and_b32_e32 v92, 7, v4
; %bb.103:                              ;   in Loop: Header=BB214_15 Depth=1
	s_or_b32 exec_lo, exec_lo, s21
	v_mov_b32_e32 v0, 24
	v_lshl_add_u32 v3, v3, 23, 0x3c000000
	v_lshlrev_b32_sdwa v4, v0, v2 dst_sel:DWORD dst_unused:UNUSED_PAD src0_sel:DWORD src1_sel:WORD_1
	v_lshlrev_b32_e32 v0, 20, v92
	v_and_b32_e32 v4, 0x80000000, v4
	v_or3_b32 v92, v0, v4, v3
	v_mov_b32_e32 v0, v92
	v_mov_b32_e32 v1, v93
.LBB214_104:                            ;   in Loop: Header=BB214_15 Depth=1
	s_or_b32 exec_lo, exec_lo, s20
.LBB214_105:                            ;   in Loop: Header=BB214_15 Depth=1
	s_or_b32 exec_lo, exec_lo, s19
	buffer_store_dword v0, off, s[0:3], s32 offset:1080 ; 4-byte Folded Spill
	buffer_store_dword v1, off, s[0:3], s32 offset:1084 ; 4-byte Folded Spill
.LBB214_106:                            ;   in Loop: Header=BB214_15 Depth=1
	s_or_b32 exec_lo, exec_lo, s18
	s_mov_b32 s18, exec_lo
	v_cmpx_lt_u32_e32 0xffffff, v2
	s_cbranch_execz .LBB214_114
; %bb.107:                              ;   in Loop: Header=BB214_15 Depth=1
	v_mov_b32_e32 v0, 0x80
	v_mov_b32_e32 v16, v93
	buffer_store_dword v16, off, s[0:3], s32 offset:312 ; 4-byte Folded Spill
	buffer_store_dword v17, off, s[0:3], s32 offset:316 ; 4-byte Folded Spill
	v_cmp_ne_u32_sdwa s5, v2, v0 src0_sel:BYTE_3 src1_sel:DWORD
	s_and_saveexec_b32 s19, s5
	s_cbranch_execz .LBB214_113
; %bb.108:                              ;   in Loop: Header=BB214_15 Depth=1
	s_clause 0x1
	buffer_load_dword v5, off, s[0:3], s32 offset:192
	buffer_load_dword v6, off, s[0:3], s32 offset:196
	v_bfe_u32 v4, v2, 24, 7
	s_waitcnt vmcnt(1)
	v_mov_b32_e32 v5, v93
	s_mov_b32 s20, exec_lo
	s_waitcnt vmcnt(0)
	v_mov_b32_e32 v3, v6
	buffer_store_dword v2, off, s[0:3], s32 offset:192 ; 4-byte Folded Spill
	buffer_store_dword v3, off, s[0:3], s32 offset:196 ; 4-byte Folded Spill
	;; [unrolled: 1-line block ×4, first 2 shown]
	v_cmpx_ne_u32_e32 0x7f, v4
	s_cbranch_execz .LBB214_112
; %bb.109:                              ;   in Loop: Header=BB214_15 Depth=1
	v_mov_b32_e32 v0, 7
	v_lshrrev_b32_e32 v3, 3, v4
	s_mov_b32 s21, exec_lo
	v_and_b32_sdwa v92, v2, v0 dst_sel:DWORD dst_unused:UNUSED_PAD src0_sel:BYTE_3 src1_sel:DWORD
	v_cmpx_gt_u32_e32 8, v4
; %bb.110:                              ;   in Loop: Header=BB214_15 Depth=1
	v_ffbh_u32_e32 v3, v92
	v_min_u32_e32 v3, 32, v3
	v_subrev_nc_u32_e32 v4, 28, v3
	v_sub_nc_u32_e32 v3, 29, v3
	v_lshlrev_b64 v[4:5], v4, v[92:93]
	v_and_b32_e32 v92, 7, v4
; %bb.111:                              ;   in Loop: Header=BB214_15 Depth=1
	s_or_b32 exec_lo, exec_lo, s21
	v_mov_b32_e32 v0, 24
	v_lshl_add_u32 v3, v3, 23, 0x3c000000
	v_lshlrev_b32_sdwa v2, v0, v2 dst_sel:DWORD dst_unused:UNUSED_PAD src0_sel:DWORD src1_sel:BYTE_3
	v_lshlrev_b32_e32 v0, 20, v92
	v_and_b32_e32 v2, 0x80000000, v2
	v_or3_b32 v1, v0, v2, v3
	v_mov_b32_e32 v0, v93
	buffer_store_dword v0, off, s[0:3], s32 offset:312 ; 4-byte Folded Spill
	buffer_store_dword v1, off, s[0:3], s32 offset:316 ; 4-byte Folded Spill
.LBB214_112:                            ;   in Loop: Header=BB214_15 Depth=1
	s_or_b32 exec_lo, exec_lo, s20
.LBB214_113:                            ;   in Loop: Header=BB214_15 Depth=1
	s_or_b32 exec_lo, exec_lo, s19
.LBB214_114:                            ;   in Loop: Header=BB214_15 Depth=1
	s_or_b32 exec_lo, exec_lo, s18
	flat_load_dword v2, v[74:75] offset:12
	v_mov_b32_e32 v0, 0
	v_mov_b32_e32 v1, 0
	buffer_store_dword v0, off, s[0:3], s32 offset:328 ; 4-byte Folded Spill
	buffer_store_dword v1, off, s[0:3], s32 offset:332 ; 4-byte Folded Spill
	v_mov_b32_e32 v0, 0
	v_mov_b32_e32 v1, 0
	buffer_store_dword v0, off, s[0:3], s32 offset:320 ; 4-byte Folded Spill
	buffer_store_dword v1, off, s[0:3], s32 offset:324 ; 4-byte Folded Spill
	s_waitcnt vmcnt(0) lgkmcnt(0)
	v_cmp_ne_u16_sdwa s5, v2, v93 src0_sel:BYTE_0 src1_sel:DWORD
	s_and_saveexec_b32 s18, s5
	s_cbranch_execz .LBB214_122
; %bb.115:                              ;   in Loop: Header=BB214_15 Depth=1
	v_bfrev_b32_e32 v0, 1
	v_mov_b32_e32 v1, 0
	buffer_store_dword v0, off, s[0:3], s32 offset:320 ; 4-byte Folded Spill
	buffer_store_dword v1, off, s[0:3], s32 offset:324 ; 4-byte Folded Spill
	v_mov_b32_e32 v0, 0x80
	v_cmp_ne_u16_sdwa s5, v2, v0 src0_sel:BYTE_0 src1_sel:DWORD
	s_and_saveexec_b32 s19, s5
	s_cbranch_execz .LBB214_121
; %bb.116:                              ;   in Loop: Header=BB214_15 Depth=1
	v_mov_b32_e32 v0, 0x7f800001
	v_and_b32_e32 v4, 0x7f, v2
	v_mov_b32_e32 v1, 0
	s_mov_b32 s20, exec_lo
	buffer_store_dword v0, off, s[0:3], s32 offset:320 ; 4-byte Folded Spill
	buffer_store_dword v1, off, s[0:3], s32 offset:324 ; 4-byte Folded Spill
	v_cmpx_ne_u32_e32 0x7f, v4
	s_cbranch_execz .LBB214_120
; %bb.117:                              ;   in Loop: Header=BB214_15 Depth=1
	v_and_b32_e32 v92, 7, v2
	v_lshrrev_b32_e32 v3, 3, v4
	s_mov_b32 s21, exec_lo
	v_cmpx_gt_u32_e32 8, v4
; %bb.118:                              ;   in Loop: Header=BB214_15 Depth=1
	v_ffbh_u32_e32 v3, v92
	v_min_u32_e32 v3, 32, v3
	v_subrev_nc_u32_e32 v4, 28, v3
	v_sub_nc_u32_e32 v3, 29, v3
	v_lshlrev_b64 v[4:5], v4, v[92:93]
	v_and_b32_e32 v92, 7, v4
; %bb.119:                              ;   in Loop: Header=BB214_15 Depth=1
	s_or_b32 exec_lo, exec_lo, s21
	v_lshlrev_b32_e32 v4, 24, v2
	v_lshlrev_b32_e32 v0, 20, v92
	v_lshl_add_u32 v3, v3, 23, 0x3c000000
	v_and_b32_e32 v4, 0x80000000, v4
	v_or3_b32 v92, v0, v4, v3
	buffer_store_dword v92, off, s[0:3], s32 offset:320 ; 4-byte Folded Spill
	buffer_store_dword v93, off, s[0:3], s32 offset:324 ; 4-byte Folded Spill
.LBB214_120:                            ;   in Loop: Header=BB214_15 Depth=1
	s_or_b32 exec_lo, exec_lo, s20
.LBB214_121:                            ;   in Loop: Header=BB214_15 Depth=1
	s_or_b32 exec_lo, exec_lo, s19
.LBB214_122:                            ;   in Loop: Header=BB214_15 Depth=1
	s_or_b32 exec_lo, exec_lo, s18
	v_cmp_ne_u16_sdwa s5, v2, v93 src0_sel:BYTE_1 src1_sel:DWORD
	s_and_saveexec_b32 s18, s5
	s_cbranch_execz .LBB214_130
; %bb.123:                              ;   in Loop: Header=BB214_15 Depth=1
	v_mov_b32_e32 v0, 0x80
	v_mov_b32_e32 v16, v93
	buffer_store_dword v16, off, s[0:3], s32 offset:328 ; 4-byte Folded Spill
	buffer_store_dword v17, off, s[0:3], s32 offset:332 ; 4-byte Folded Spill
	v_cmp_ne_u16_sdwa s5, v2, v0 src0_sel:BYTE_1 src1_sel:DWORD
	s_and_saveexec_b32 s19, s5
	s_cbranch_execz .LBB214_129
; %bb.124:                              ;   in Loop: Header=BB214_15 Depth=1
	s_clause 0x1
	buffer_load_dword v5, off, s[0:3], s32 offset:192
	buffer_load_dword v6, off, s[0:3], s32 offset:196
	v_mov_b32_e32 v0, 0xffff
	s_waitcnt vmcnt(1)
	v_mov_b32_e32 v5, v93
	s_mov_b32 s20, exec_lo
	v_and_b32_sdwa v0, v0, v2 dst_sel:DWORD dst_unused:UNUSED_PAD src0_sel:DWORD src1_sel:BYTE_1
	v_and_b32_e32 v4, 0x7f, v0
	s_waitcnt vmcnt(0)
	v_mov_b32_e32 v3, v6
	buffer_store_dword v2, off, s[0:3], s32 offset:192 ; 4-byte Folded Spill
	buffer_store_dword v3, off, s[0:3], s32 offset:196 ; 4-byte Folded Spill
	;; [unrolled: 1-line block ×4, first 2 shown]
	v_cmpx_ne_u32_e32 0x7f, v4
	s_cbranch_execz .LBB214_128
; %bb.125:                              ;   in Loop: Header=BB214_15 Depth=1
	v_and_b32_e32 v92, 7, v0
	v_lshrrev_b32_e32 v3, 3, v4
	s_mov_b32 s21, exec_lo
	v_cmpx_gt_u32_e32 8, v4
; %bb.126:                              ;   in Loop: Header=BB214_15 Depth=1
	v_ffbh_u32_e32 v3, v92
	v_min_u32_e32 v3, 32, v3
	v_subrev_nc_u32_e32 v4, 28, v3
	v_sub_nc_u32_e32 v3, 29, v3
	v_lshlrev_b64 v[4:5], v4, v[92:93]
	v_and_b32_e32 v92, 7, v4
; %bb.127:                              ;   in Loop: Header=BB214_15 Depth=1
	s_or_b32 exec_lo, exec_lo, s21
	v_lshlrev_b32_e32 v4, 16, v2
	v_lshlrev_b32_e32 v0, 20, v92
	v_lshl_add_u32 v3, v3, 23, 0x3c000000
	v_and_b32_e32 v4, 0x80000000, v4
	v_or3_b32 v1, v0, v4, v3
	v_mov_b32_e32 v0, v93
	buffer_store_dword v0, off, s[0:3], s32 offset:328 ; 4-byte Folded Spill
	buffer_store_dword v1, off, s[0:3], s32 offset:332 ; 4-byte Folded Spill
.LBB214_128:                            ;   in Loop: Header=BB214_15 Depth=1
	s_or_b32 exec_lo, exec_lo, s20
.LBB214_129:                            ;   in Loop: Header=BB214_15 Depth=1
	s_or_b32 exec_lo, exec_lo, s19
.LBB214_130:                            ;   in Loop: Header=BB214_15 Depth=1
	s_or_b32 exec_lo, exec_lo, s18
	v_mov_b32_e32 v3, 0
	v_mov_b32_e32 v4, 0
	v_and_b32_sdwa v0, v2, v10 dst_sel:DWORD dst_unused:UNUSED_PAD src0_sel:WORD_1 src1_sel:DWORD
	s_mov_b32 s18, exec_lo
	buffer_store_dword v3, off, s[0:3], s32 offset:336 ; 4-byte Folded Spill
	buffer_store_dword v4, off, s[0:3], s32 offset:340 ; 4-byte Folded Spill
	v_mov_b32_e32 v3, 0
	v_mov_b32_e32 v4, 0
	buffer_store_dword v3, off, s[0:3], s32 offset:1088 ; 4-byte Folded Spill
	buffer_store_dword v4, off, s[0:3], s32 offset:1092 ; 4-byte Folded Spill
	v_cmpx_ne_u16_e32 0, v0
	s_cbranch_execz .LBB214_138
; %bb.131:                              ;   in Loop: Header=BB214_15 Depth=1
	v_cmp_ne_u16_e64 s5, 0x80, v0
	v_bfrev_b32_e32 v0, 1
	v_mov_b32_e32 v1, 0
	s_and_saveexec_b32 s19, s5
	s_cbranch_execz .LBB214_137
; %bb.132:                              ;   in Loop: Header=BB214_15 Depth=1
	v_mov_b32_e32 v0, 0x7f800001
	v_bfe_u32 v4, v2, 16, 7
	v_mov_b32_e32 v1, 0
	s_mov_b32 s20, exec_lo
	v_cmpx_ne_u32_e32 0x7f, v4
	s_cbranch_execz .LBB214_136
; %bb.133:                              ;   in Loop: Header=BB214_15 Depth=1
	v_mov_b32_e32 v0, 7
	v_lshrrev_b32_e32 v3, 3, v4
	s_mov_b32 s21, exec_lo
	v_and_b32_sdwa v92, v2, v0 dst_sel:DWORD dst_unused:UNUSED_PAD src0_sel:WORD_1 src1_sel:DWORD
	v_cmpx_gt_u32_e32 8, v4
; %bb.134:                              ;   in Loop: Header=BB214_15 Depth=1
	v_ffbh_u32_e32 v3, v92
	v_min_u32_e32 v3, 32, v3
	v_subrev_nc_u32_e32 v4, 28, v3
	v_sub_nc_u32_e32 v3, 29, v3
	v_lshlrev_b64 v[4:5], v4, v[92:93]
	v_and_b32_e32 v92, 7, v4
; %bb.135:                              ;   in Loop: Header=BB214_15 Depth=1
	s_or_b32 exec_lo, exec_lo, s21
	v_mov_b32_e32 v0, 24
	v_lshl_add_u32 v3, v3, 23, 0x3c000000
	v_lshlrev_b32_sdwa v4, v0, v2 dst_sel:DWORD dst_unused:UNUSED_PAD src0_sel:DWORD src1_sel:WORD_1
	v_lshlrev_b32_e32 v0, 20, v92
	v_and_b32_e32 v4, 0x80000000, v4
	v_or3_b32 v92, v0, v4, v3
	v_mov_b32_e32 v0, v92
	v_mov_b32_e32 v1, v93
.LBB214_136:                            ;   in Loop: Header=BB214_15 Depth=1
	s_or_b32 exec_lo, exec_lo, s20
.LBB214_137:                            ;   in Loop: Header=BB214_15 Depth=1
	s_or_b32 exec_lo, exec_lo, s19
	buffer_store_dword v0, off, s[0:3], s32 offset:1088 ; 4-byte Folded Spill
	buffer_store_dword v1, off, s[0:3], s32 offset:1092 ; 4-byte Folded Spill
.LBB214_138:                            ;   in Loop: Header=BB214_15 Depth=1
	s_or_b32 exec_lo, exec_lo, s18
	s_mov_b32 s18, exec_lo
	v_cmpx_lt_u32_e32 0xffffff, v2
	s_cbranch_execz .LBB214_146
; %bb.139:                              ;   in Loop: Header=BB214_15 Depth=1
	v_mov_b32_e32 v0, 0x80
	v_mov_b32_e32 v16, v93
	buffer_store_dword v16, off, s[0:3], s32 offset:336 ; 4-byte Folded Spill
	buffer_store_dword v17, off, s[0:3], s32 offset:340 ; 4-byte Folded Spill
	v_cmp_ne_u32_sdwa s5, v2, v0 src0_sel:BYTE_3 src1_sel:DWORD
	s_and_saveexec_b32 s19, s5
	s_cbranch_execz .LBB214_145
; %bb.140:                              ;   in Loop: Header=BB214_15 Depth=1
	s_clause 0x1
	buffer_load_dword v5, off, s[0:3], s32 offset:192
	buffer_load_dword v6, off, s[0:3], s32 offset:196
	v_bfe_u32 v4, v2, 24, 7
	s_waitcnt vmcnt(1)
	v_mov_b32_e32 v5, v93
	s_mov_b32 s20, exec_lo
	s_waitcnt vmcnt(0)
	v_mov_b32_e32 v3, v6
	buffer_store_dword v2, off, s[0:3], s32 offset:192 ; 4-byte Folded Spill
	buffer_store_dword v3, off, s[0:3], s32 offset:196 ; 4-byte Folded Spill
	;; [unrolled: 1-line block ×4, first 2 shown]
	v_cmpx_ne_u32_e32 0x7f, v4
	s_cbranch_execz .LBB214_144
; %bb.141:                              ;   in Loop: Header=BB214_15 Depth=1
	v_mov_b32_e32 v0, 7
	v_lshrrev_b32_e32 v3, 3, v4
	s_mov_b32 s21, exec_lo
	v_and_b32_sdwa v92, v2, v0 dst_sel:DWORD dst_unused:UNUSED_PAD src0_sel:BYTE_3 src1_sel:DWORD
	v_cmpx_gt_u32_e32 8, v4
; %bb.142:                              ;   in Loop: Header=BB214_15 Depth=1
	v_ffbh_u32_e32 v3, v92
	v_min_u32_e32 v3, 32, v3
	v_subrev_nc_u32_e32 v4, 28, v3
	v_sub_nc_u32_e32 v3, 29, v3
	v_lshlrev_b64 v[4:5], v4, v[92:93]
	v_and_b32_e32 v92, 7, v4
; %bb.143:                              ;   in Loop: Header=BB214_15 Depth=1
	s_or_b32 exec_lo, exec_lo, s21
	v_mov_b32_e32 v0, 24
	v_lshl_add_u32 v3, v3, 23, 0x3c000000
	v_lshlrev_b32_sdwa v2, v0, v2 dst_sel:DWORD dst_unused:UNUSED_PAD src0_sel:DWORD src1_sel:BYTE_3
	v_lshlrev_b32_e32 v0, 20, v92
	v_and_b32_e32 v2, 0x80000000, v2
	v_or3_b32 v1, v0, v2, v3
	v_mov_b32_e32 v0, v93
	buffer_store_dword v0, off, s[0:3], s32 offset:336 ; 4-byte Folded Spill
	buffer_store_dword v1, off, s[0:3], s32 offset:340 ; 4-byte Folded Spill
.LBB214_144:                            ;   in Loop: Header=BB214_15 Depth=1
	s_or_b32 exec_lo, exec_lo, s20
.LBB214_145:                            ;   in Loop: Header=BB214_15 Depth=1
	s_or_b32 exec_lo, exec_lo, s19
.LBB214_146:                            ;   in Loop: Header=BB214_15 Depth=1
	s_or_b32 exec_lo, exec_lo, s18
	flat_load_dword v2, v[74:75] offset:512
	v_mov_b32_e32 v0, 0
	v_mov_b32_e32 v1, 0
	buffer_store_dword v0, off, s[0:3], s32 offset:352 ; 4-byte Folded Spill
	buffer_store_dword v1, off, s[0:3], s32 offset:356 ; 4-byte Folded Spill
	v_mov_b32_e32 v0, 0
	v_mov_b32_e32 v1, 0
	buffer_store_dword v0, off, s[0:3], s32 offset:344 ; 4-byte Folded Spill
	buffer_store_dword v1, off, s[0:3], s32 offset:348 ; 4-byte Folded Spill
	s_waitcnt vmcnt(0) lgkmcnt(0)
	v_cmp_ne_u16_sdwa s5, v2, v93 src0_sel:BYTE_0 src1_sel:DWORD
	s_and_saveexec_b32 s18, s5
	s_cbranch_execz .LBB214_154
; %bb.147:                              ;   in Loop: Header=BB214_15 Depth=1
	v_bfrev_b32_e32 v0, 1
	v_mov_b32_e32 v1, 0
	buffer_store_dword v0, off, s[0:3], s32 offset:344 ; 4-byte Folded Spill
	buffer_store_dword v1, off, s[0:3], s32 offset:348 ; 4-byte Folded Spill
	v_mov_b32_e32 v0, 0x80
	v_cmp_ne_u16_sdwa s5, v2, v0 src0_sel:BYTE_0 src1_sel:DWORD
	s_and_saveexec_b32 s19, s5
	s_cbranch_execz .LBB214_153
; %bb.148:                              ;   in Loop: Header=BB214_15 Depth=1
	v_mov_b32_e32 v0, 0x7f800001
	v_and_b32_e32 v4, 0x7f, v2
	v_mov_b32_e32 v1, 0
	s_mov_b32 s20, exec_lo
	buffer_store_dword v0, off, s[0:3], s32 offset:344 ; 4-byte Folded Spill
	buffer_store_dword v1, off, s[0:3], s32 offset:348 ; 4-byte Folded Spill
	v_cmpx_ne_u32_e32 0x7f, v4
	s_cbranch_execz .LBB214_152
; %bb.149:                              ;   in Loop: Header=BB214_15 Depth=1
	v_and_b32_e32 v92, 7, v2
	v_lshrrev_b32_e32 v3, 3, v4
	s_mov_b32 s21, exec_lo
	v_cmpx_gt_u32_e32 8, v4
; %bb.150:                              ;   in Loop: Header=BB214_15 Depth=1
	v_ffbh_u32_e32 v3, v92
	v_min_u32_e32 v3, 32, v3
	v_subrev_nc_u32_e32 v4, 28, v3
	v_sub_nc_u32_e32 v3, 29, v3
	v_lshlrev_b64 v[4:5], v4, v[92:93]
	v_and_b32_e32 v92, 7, v4
; %bb.151:                              ;   in Loop: Header=BB214_15 Depth=1
	s_or_b32 exec_lo, exec_lo, s21
	v_lshlrev_b32_e32 v4, 24, v2
	v_lshlrev_b32_e32 v0, 20, v92
	v_lshl_add_u32 v3, v3, 23, 0x3c000000
	v_and_b32_e32 v4, 0x80000000, v4
	v_or3_b32 v92, v0, v4, v3
	buffer_store_dword v92, off, s[0:3], s32 offset:344 ; 4-byte Folded Spill
	buffer_store_dword v93, off, s[0:3], s32 offset:348 ; 4-byte Folded Spill
.LBB214_152:                            ;   in Loop: Header=BB214_15 Depth=1
	s_or_b32 exec_lo, exec_lo, s20
.LBB214_153:                            ;   in Loop: Header=BB214_15 Depth=1
	s_or_b32 exec_lo, exec_lo, s19
.LBB214_154:                            ;   in Loop: Header=BB214_15 Depth=1
	s_or_b32 exec_lo, exec_lo, s18
	v_cmp_ne_u16_sdwa s5, v2, v93 src0_sel:BYTE_1 src1_sel:DWORD
	s_and_saveexec_b32 s18, s5
	s_cbranch_execz .LBB214_162
; %bb.155:                              ;   in Loop: Header=BB214_15 Depth=1
	v_mov_b32_e32 v0, 0x80
	v_mov_b32_e32 v16, v93
	buffer_store_dword v16, off, s[0:3], s32 offset:352 ; 4-byte Folded Spill
	buffer_store_dword v17, off, s[0:3], s32 offset:356 ; 4-byte Folded Spill
	v_cmp_ne_u16_sdwa s5, v2, v0 src0_sel:BYTE_1 src1_sel:DWORD
	s_and_saveexec_b32 s19, s5
	s_cbranch_execz .LBB214_161
; %bb.156:                              ;   in Loop: Header=BB214_15 Depth=1
	s_clause 0x1
	buffer_load_dword v5, off, s[0:3], s32 offset:192
	buffer_load_dword v6, off, s[0:3], s32 offset:196
	v_mov_b32_e32 v0, 0xffff
	s_waitcnt vmcnt(1)
	v_mov_b32_e32 v5, v93
	s_mov_b32 s20, exec_lo
	v_and_b32_sdwa v0, v0, v2 dst_sel:DWORD dst_unused:UNUSED_PAD src0_sel:DWORD src1_sel:BYTE_1
	v_and_b32_e32 v4, 0x7f, v0
	s_waitcnt vmcnt(0)
	v_mov_b32_e32 v3, v6
	buffer_store_dword v2, off, s[0:3], s32 offset:192 ; 4-byte Folded Spill
	buffer_store_dword v3, off, s[0:3], s32 offset:196 ; 4-byte Folded Spill
	;; [unrolled: 1-line block ×4, first 2 shown]
	v_cmpx_ne_u32_e32 0x7f, v4
	s_cbranch_execz .LBB214_160
; %bb.157:                              ;   in Loop: Header=BB214_15 Depth=1
	v_and_b32_e32 v92, 7, v0
	v_lshrrev_b32_e32 v3, 3, v4
	s_mov_b32 s21, exec_lo
	v_cmpx_gt_u32_e32 8, v4
; %bb.158:                              ;   in Loop: Header=BB214_15 Depth=1
	v_ffbh_u32_e32 v3, v92
	v_min_u32_e32 v3, 32, v3
	v_subrev_nc_u32_e32 v4, 28, v3
	v_sub_nc_u32_e32 v3, 29, v3
	v_lshlrev_b64 v[4:5], v4, v[92:93]
	v_and_b32_e32 v92, 7, v4
; %bb.159:                              ;   in Loop: Header=BB214_15 Depth=1
	s_or_b32 exec_lo, exec_lo, s21
	v_lshlrev_b32_e32 v4, 16, v2
	v_lshlrev_b32_e32 v0, 20, v92
	v_lshl_add_u32 v3, v3, 23, 0x3c000000
	v_and_b32_e32 v4, 0x80000000, v4
	v_or3_b32 v1, v0, v4, v3
	v_mov_b32_e32 v0, v93
	buffer_store_dword v0, off, s[0:3], s32 offset:352 ; 4-byte Folded Spill
	buffer_store_dword v1, off, s[0:3], s32 offset:356 ; 4-byte Folded Spill
.LBB214_160:                            ;   in Loop: Header=BB214_15 Depth=1
	s_or_b32 exec_lo, exec_lo, s20
.LBB214_161:                            ;   in Loop: Header=BB214_15 Depth=1
	s_or_b32 exec_lo, exec_lo, s19
.LBB214_162:                            ;   in Loop: Header=BB214_15 Depth=1
	s_or_b32 exec_lo, exec_lo, s18
	v_mov_b32_e32 v3, 0
	v_mov_b32_e32 v4, 0
	v_and_b32_sdwa v0, v2, v10 dst_sel:DWORD dst_unused:UNUSED_PAD src0_sel:WORD_1 src1_sel:DWORD
	s_mov_b32 s18, exec_lo
	buffer_store_dword v3, off, s[0:3], s32 offset:360 ; 4-byte Folded Spill
	buffer_store_dword v4, off, s[0:3], s32 offset:364 ; 4-byte Folded Spill
	v_mov_b32_e32 v3, 0
	v_mov_b32_e32 v4, 0
	buffer_store_dword v3, off, s[0:3], s32 offset:1096 ; 4-byte Folded Spill
	buffer_store_dword v4, off, s[0:3], s32 offset:1100 ; 4-byte Folded Spill
	v_cmpx_ne_u16_e32 0, v0
	s_cbranch_execz .LBB214_170
; %bb.163:                              ;   in Loop: Header=BB214_15 Depth=1
	v_cmp_ne_u16_e64 s5, 0x80, v0
	v_bfrev_b32_e32 v0, 1
	v_mov_b32_e32 v1, 0
	s_and_saveexec_b32 s19, s5
	s_cbranch_execz .LBB214_169
; %bb.164:                              ;   in Loop: Header=BB214_15 Depth=1
	v_mov_b32_e32 v0, 0x7f800001
	v_bfe_u32 v4, v2, 16, 7
	v_mov_b32_e32 v1, 0
	s_mov_b32 s20, exec_lo
	v_cmpx_ne_u32_e32 0x7f, v4
	s_cbranch_execz .LBB214_168
; %bb.165:                              ;   in Loop: Header=BB214_15 Depth=1
	v_mov_b32_e32 v0, 7
	v_lshrrev_b32_e32 v3, 3, v4
	s_mov_b32 s21, exec_lo
	v_and_b32_sdwa v92, v2, v0 dst_sel:DWORD dst_unused:UNUSED_PAD src0_sel:WORD_1 src1_sel:DWORD
	v_cmpx_gt_u32_e32 8, v4
; %bb.166:                              ;   in Loop: Header=BB214_15 Depth=1
	v_ffbh_u32_e32 v3, v92
	v_min_u32_e32 v3, 32, v3
	v_subrev_nc_u32_e32 v4, 28, v3
	v_sub_nc_u32_e32 v3, 29, v3
	v_lshlrev_b64 v[4:5], v4, v[92:93]
	v_and_b32_e32 v92, 7, v4
; %bb.167:                              ;   in Loop: Header=BB214_15 Depth=1
	s_or_b32 exec_lo, exec_lo, s21
	v_mov_b32_e32 v0, 24
	v_lshl_add_u32 v3, v3, 23, 0x3c000000
	v_lshlrev_b32_sdwa v4, v0, v2 dst_sel:DWORD dst_unused:UNUSED_PAD src0_sel:DWORD src1_sel:WORD_1
	v_lshlrev_b32_e32 v0, 20, v92
	v_and_b32_e32 v4, 0x80000000, v4
	v_or3_b32 v92, v0, v4, v3
	v_mov_b32_e32 v0, v92
	v_mov_b32_e32 v1, v93
.LBB214_168:                            ;   in Loop: Header=BB214_15 Depth=1
	s_or_b32 exec_lo, exec_lo, s20
.LBB214_169:                            ;   in Loop: Header=BB214_15 Depth=1
	s_or_b32 exec_lo, exec_lo, s19
	buffer_store_dword v0, off, s[0:3], s32 offset:1096 ; 4-byte Folded Spill
	buffer_store_dword v1, off, s[0:3], s32 offset:1100 ; 4-byte Folded Spill
.LBB214_170:                            ;   in Loop: Header=BB214_15 Depth=1
	s_or_b32 exec_lo, exec_lo, s18
	s_mov_b32 s18, exec_lo
	v_cmpx_lt_u32_e32 0xffffff, v2
	s_cbranch_execz .LBB214_178
; %bb.171:                              ;   in Loop: Header=BB214_15 Depth=1
	v_mov_b32_e32 v0, 0x80
	v_mov_b32_e32 v16, v93
	buffer_store_dword v16, off, s[0:3], s32 offset:360 ; 4-byte Folded Spill
	buffer_store_dword v17, off, s[0:3], s32 offset:364 ; 4-byte Folded Spill
	v_cmp_ne_u32_sdwa s5, v2, v0 src0_sel:BYTE_3 src1_sel:DWORD
	s_and_saveexec_b32 s19, s5
	s_cbranch_execz .LBB214_177
; %bb.172:                              ;   in Loop: Header=BB214_15 Depth=1
	s_clause 0x1
	buffer_load_dword v5, off, s[0:3], s32 offset:192
	buffer_load_dword v6, off, s[0:3], s32 offset:196
	v_bfe_u32 v4, v2, 24, 7
	s_waitcnt vmcnt(1)
	v_mov_b32_e32 v5, v93
	s_mov_b32 s20, exec_lo
	s_waitcnt vmcnt(0)
	v_mov_b32_e32 v3, v6
	buffer_store_dword v2, off, s[0:3], s32 offset:192 ; 4-byte Folded Spill
	buffer_store_dword v3, off, s[0:3], s32 offset:196 ; 4-byte Folded Spill
	buffer_store_dword v5, off, s[0:3], s32 offset:360 ; 4-byte Folded Spill
	buffer_store_dword v6, off, s[0:3], s32 offset:364 ; 4-byte Folded Spill
	v_cmpx_ne_u32_e32 0x7f, v4
	s_cbranch_execz .LBB214_176
; %bb.173:                              ;   in Loop: Header=BB214_15 Depth=1
	v_mov_b32_e32 v0, 7
	v_lshrrev_b32_e32 v3, 3, v4
	s_mov_b32 s21, exec_lo
	v_and_b32_sdwa v92, v2, v0 dst_sel:DWORD dst_unused:UNUSED_PAD src0_sel:BYTE_3 src1_sel:DWORD
	v_cmpx_gt_u32_e32 8, v4
; %bb.174:                              ;   in Loop: Header=BB214_15 Depth=1
	v_ffbh_u32_e32 v3, v92
	v_min_u32_e32 v3, 32, v3
	v_subrev_nc_u32_e32 v4, 28, v3
	v_sub_nc_u32_e32 v3, 29, v3
	v_lshlrev_b64 v[4:5], v4, v[92:93]
	v_and_b32_e32 v92, 7, v4
; %bb.175:                              ;   in Loop: Header=BB214_15 Depth=1
	s_or_b32 exec_lo, exec_lo, s21
	v_mov_b32_e32 v0, 24
	v_lshl_add_u32 v3, v3, 23, 0x3c000000
	v_lshlrev_b32_sdwa v2, v0, v2 dst_sel:DWORD dst_unused:UNUSED_PAD src0_sel:DWORD src1_sel:BYTE_3
	v_lshlrev_b32_e32 v0, 20, v92
	v_and_b32_e32 v2, 0x80000000, v2
	v_or3_b32 v1, v0, v2, v3
	v_mov_b32_e32 v0, v93
	buffer_store_dword v0, off, s[0:3], s32 offset:360 ; 4-byte Folded Spill
	buffer_store_dword v1, off, s[0:3], s32 offset:364 ; 4-byte Folded Spill
.LBB214_176:                            ;   in Loop: Header=BB214_15 Depth=1
	s_or_b32 exec_lo, exec_lo, s20
.LBB214_177:                            ;   in Loop: Header=BB214_15 Depth=1
	s_or_b32 exec_lo, exec_lo, s19
.LBB214_178:                            ;   in Loop: Header=BB214_15 Depth=1
	s_or_b32 exec_lo, exec_lo, s18
	flat_load_dword v2, v[74:75] offset:516
	v_mov_b32_e32 v0, 0
	v_mov_b32_e32 v1, 0
	buffer_store_dword v0, off, s[0:3], s32 offset:376 ; 4-byte Folded Spill
	buffer_store_dword v1, off, s[0:3], s32 offset:380 ; 4-byte Folded Spill
	v_mov_b32_e32 v0, 0
	v_mov_b32_e32 v1, 0
	buffer_store_dword v0, off, s[0:3], s32 offset:368 ; 4-byte Folded Spill
	buffer_store_dword v1, off, s[0:3], s32 offset:372 ; 4-byte Folded Spill
	s_waitcnt vmcnt(0) lgkmcnt(0)
	v_cmp_ne_u16_sdwa s5, v2, v93 src0_sel:BYTE_0 src1_sel:DWORD
	s_and_saveexec_b32 s18, s5
	s_cbranch_execz .LBB214_186
; %bb.179:                              ;   in Loop: Header=BB214_15 Depth=1
	v_bfrev_b32_e32 v0, 1
	v_mov_b32_e32 v1, 0
	buffer_store_dword v0, off, s[0:3], s32 offset:368 ; 4-byte Folded Spill
	buffer_store_dword v1, off, s[0:3], s32 offset:372 ; 4-byte Folded Spill
	v_mov_b32_e32 v0, 0x80
	v_cmp_ne_u16_sdwa s5, v2, v0 src0_sel:BYTE_0 src1_sel:DWORD
	s_and_saveexec_b32 s19, s5
	s_cbranch_execz .LBB214_185
; %bb.180:                              ;   in Loop: Header=BB214_15 Depth=1
	v_mov_b32_e32 v0, 0x7f800001
	v_and_b32_e32 v4, 0x7f, v2
	v_mov_b32_e32 v1, 0
	s_mov_b32 s20, exec_lo
	buffer_store_dword v0, off, s[0:3], s32 offset:368 ; 4-byte Folded Spill
	buffer_store_dword v1, off, s[0:3], s32 offset:372 ; 4-byte Folded Spill
	v_cmpx_ne_u32_e32 0x7f, v4
	s_cbranch_execz .LBB214_184
; %bb.181:                              ;   in Loop: Header=BB214_15 Depth=1
	v_and_b32_e32 v92, 7, v2
	v_lshrrev_b32_e32 v3, 3, v4
	s_mov_b32 s21, exec_lo
	v_cmpx_gt_u32_e32 8, v4
; %bb.182:                              ;   in Loop: Header=BB214_15 Depth=1
	v_ffbh_u32_e32 v3, v92
	v_min_u32_e32 v3, 32, v3
	v_subrev_nc_u32_e32 v4, 28, v3
	v_sub_nc_u32_e32 v3, 29, v3
	v_lshlrev_b64 v[4:5], v4, v[92:93]
	v_and_b32_e32 v92, 7, v4
; %bb.183:                              ;   in Loop: Header=BB214_15 Depth=1
	s_or_b32 exec_lo, exec_lo, s21
	v_lshlrev_b32_e32 v4, 24, v2
	v_lshlrev_b32_e32 v0, 20, v92
	v_lshl_add_u32 v3, v3, 23, 0x3c000000
	v_and_b32_e32 v4, 0x80000000, v4
	v_or3_b32 v92, v0, v4, v3
	buffer_store_dword v92, off, s[0:3], s32 offset:368 ; 4-byte Folded Spill
	buffer_store_dword v93, off, s[0:3], s32 offset:372 ; 4-byte Folded Spill
.LBB214_184:                            ;   in Loop: Header=BB214_15 Depth=1
	s_or_b32 exec_lo, exec_lo, s20
.LBB214_185:                            ;   in Loop: Header=BB214_15 Depth=1
	s_or_b32 exec_lo, exec_lo, s19
.LBB214_186:                            ;   in Loop: Header=BB214_15 Depth=1
	s_or_b32 exec_lo, exec_lo, s18
	v_cmp_ne_u16_sdwa s5, v2, v93 src0_sel:BYTE_1 src1_sel:DWORD
	s_and_saveexec_b32 s18, s5
	s_cbranch_execz .LBB214_194
; %bb.187:                              ;   in Loop: Header=BB214_15 Depth=1
	v_mov_b32_e32 v0, 0x80
	v_mov_b32_e32 v16, v93
	buffer_store_dword v16, off, s[0:3], s32 offset:376 ; 4-byte Folded Spill
	buffer_store_dword v17, off, s[0:3], s32 offset:380 ; 4-byte Folded Spill
	v_cmp_ne_u16_sdwa s5, v2, v0 src0_sel:BYTE_1 src1_sel:DWORD
	s_and_saveexec_b32 s19, s5
	s_cbranch_execz .LBB214_193
; %bb.188:                              ;   in Loop: Header=BB214_15 Depth=1
	s_clause 0x1
	buffer_load_dword v5, off, s[0:3], s32 offset:192
	buffer_load_dword v6, off, s[0:3], s32 offset:196
	v_mov_b32_e32 v0, 0xffff
	s_waitcnt vmcnt(1)
	v_mov_b32_e32 v5, v93
	s_mov_b32 s20, exec_lo
	v_and_b32_sdwa v0, v0, v2 dst_sel:DWORD dst_unused:UNUSED_PAD src0_sel:DWORD src1_sel:BYTE_1
	v_and_b32_e32 v4, 0x7f, v0
	s_waitcnt vmcnt(0)
	v_mov_b32_e32 v3, v6
	buffer_store_dword v2, off, s[0:3], s32 offset:192 ; 4-byte Folded Spill
	buffer_store_dword v3, off, s[0:3], s32 offset:196 ; 4-byte Folded Spill
	;; [unrolled: 1-line block ×4, first 2 shown]
	v_cmpx_ne_u32_e32 0x7f, v4
	s_cbranch_execz .LBB214_192
; %bb.189:                              ;   in Loop: Header=BB214_15 Depth=1
	v_and_b32_e32 v92, 7, v0
	v_lshrrev_b32_e32 v3, 3, v4
	s_mov_b32 s21, exec_lo
	v_cmpx_gt_u32_e32 8, v4
; %bb.190:                              ;   in Loop: Header=BB214_15 Depth=1
	v_ffbh_u32_e32 v3, v92
	v_min_u32_e32 v3, 32, v3
	v_subrev_nc_u32_e32 v4, 28, v3
	v_sub_nc_u32_e32 v3, 29, v3
	v_lshlrev_b64 v[4:5], v4, v[92:93]
	v_and_b32_e32 v92, 7, v4
; %bb.191:                              ;   in Loop: Header=BB214_15 Depth=1
	s_or_b32 exec_lo, exec_lo, s21
	v_lshlrev_b32_e32 v4, 16, v2
	v_lshlrev_b32_e32 v0, 20, v92
	v_lshl_add_u32 v3, v3, 23, 0x3c000000
	v_and_b32_e32 v4, 0x80000000, v4
	v_or3_b32 v1, v0, v4, v3
	v_mov_b32_e32 v0, v93
	buffer_store_dword v0, off, s[0:3], s32 offset:376 ; 4-byte Folded Spill
	buffer_store_dword v1, off, s[0:3], s32 offset:380 ; 4-byte Folded Spill
.LBB214_192:                            ;   in Loop: Header=BB214_15 Depth=1
	s_or_b32 exec_lo, exec_lo, s20
.LBB214_193:                            ;   in Loop: Header=BB214_15 Depth=1
	s_or_b32 exec_lo, exec_lo, s19
.LBB214_194:                            ;   in Loop: Header=BB214_15 Depth=1
	s_or_b32 exec_lo, exec_lo, s18
	v_mov_b32_e32 v3, 0
	v_mov_b32_e32 v4, 0
	v_and_b32_sdwa v0, v2, v10 dst_sel:DWORD dst_unused:UNUSED_PAD src0_sel:WORD_1 src1_sel:DWORD
	s_mov_b32 s18, exec_lo
	buffer_store_dword v3, off, s[0:3], s32 offset:384 ; 4-byte Folded Spill
	buffer_store_dword v4, off, s[0:3], s32 offset:388 ; 4-byte Folded Spill
	v_mov_b32_e32 v3, 0
	v_mov_b32_e32 v4, 0
	buffer_store_dword v3, off, s[0:3], s32 offset:1104 ; 4-byte Folded Spill
	buffer_store_dword v4, off, s[0:3], s32 offset:1108 ; 4-byte Folded Spill
	v_cmpx_ne_u16_e32 0, v0
	s_cbranch_execz .LBB214_202
; %bb.195:                              ;   in Loop: Header=BB214_15 Depth=1
	v_cmp_ne_u16_e64 s5, 0x80, v0
	v_bfrev_b32_e32 v0, 1
	v_mov_b32_e32 v1, 0
	s_and_saveexec_b32 s19, s5
	s_cbranch_execz .LBB214_201
; %bb.196:                              ;   in Loop: Header=BB214_15 Depth=1
	v_mov_b32_e32 v0, 0x7f800001
	v_bfe_u32 v4, v2, 16, 7
	v_mov_b32_e32 v1, 0
	s_mov_b32 s20, exec_lo
	v_cmpx_ne_u32_e32 0x7f, v4
	s_cbranch_execz .LBB214_200
; %bb.197:                              ;   in Loop: Header=BB214_15 Depth=1
	v_mov_b32_e32 v0, 7
	v_lshrrev_b32_e32 v3, 3, v4
	s_mov_b32 s21, exec_lo
	v_and_b32_sdwa v92, v2, v0 dst_sel:DWORD dst_unused:UNUSED_PAD src0_sel:WORD_1 src1_sel:DWORD
	v_cmpx_gt_u32_e32 8, v4
; %bb.198:                              ;   in Loop: Header=BB214_15 Depth=1
	v_ffbh_u32_e32 v3, v92
	v_min_u32_e32 v3, 32, v3
	v_subrev_nc_u32_e32 v4, 28, v3
	v_sub_nc_u32_e32 v3, 29, v3
	v_lshlrev_b64 v[4:5], v4, v[92:93]
	v_and_b32_e32 v92, 7, v4
; %bb.199:                              ;   in Loop: Header=BB214_15 Depth=1
	s_or_b32 exec_lo, exec_lo, s21
	v_mov_b32_e32 v0, 24
	v_lshl_add_u32 v3, v3, 23, 0x3c000000
	v_lshlrev_b32_sdwa v4, v0, v2 dst_sel:DWORD dst_unused:UNUSED_PAD src0_sel:DWORD src1_sel:WORD_1
	v_lshlrev_b32_e32 v0, 20, v92
	v_and_b32_e32 v4, 0x80000000, v4
	v_or3_b32 v92, v0, v4, v3
	v_mov_b32_e32 v0, v92
	v_mov_b32_e32 v1, v93
.LBB214_200:                            ;   in Loop: Header=BB214_15 Depth=1
	s_or_b32 exec_lo, exec_lo, s20
.LBB214_201:                            ;   in Loop: Header=BB214_15 Depth=1
	s_or_b32 exec_lo, exec_lo, s19
	buffer_store_dword v0, off, s[0:3], s32 offset:1104 ; 4-byte Folded Spill
	buffer_store_dword v1, off, s[0:3], s32 offset:1108 ; 4-byte Folded Spill
.LBB214_202:                            ;   in Loop: Header=BB214_15 Depth=1
	s_or_b32 exec_lo, exec_lo, s18
	s_mov_b32 s18, exec_lo
	v_cmpx_lt_u32_e32 0xffffff, v2
	s_cbranch_execz .LBB214_210
; %bb.203:                              ;   in Loop: Header=BB214_15 Depth=1
	v_mov_b32_e32 v0, 0x80
	v_mov_b32_e32 v16, v93
	buffer_store_dword v16, off, s[0:3], s32 offset:384 ; 4-byte Folded Spill
	buffer_store_dword v17, off, s[0:3], s32 offset:388 ; 4-byte Folded Spill
	v_cmp_ne_u32_sdwa s5, v2, v0 src0_sel:BYTE_3 src1_sel:DWORD
	s_and_saveexec_b32 s19, s5
	s_cbranch_execz .LBB214_209
; %bb.204:                              ;   in Loop: Header=BB214_15 Depth=1
	s_clause 0x1
	buffer_load_dword v5, off, s[0:3], s32 offset:192
	buffer_load_dword v6, off, s[0:3], s32 offset:196
	v_bfe_u32 v4, v2, 24, 7
	s_waitcnt vmcnt(1)
	v_mov_b32_e32 v5, v93
	s_mov_b32 s20, exec_lo
	s_waitcnt vmcnt(0)
	v_mov_b32_e32 v3, v6
	buffer_store_dword v2, off, s[0:3], s32 offset:192 ; 4-byte Folded Spill
	buffer_store_dword v3, off, s[0:3], s32 offset:196 ; 4-byte Folded Spill
	;; [unrolled: 1-line block ×4, first 2 shown]
	v_cmpx_ne_u32_e32 0x7f, v4
	s_cbranch_execz .LBB214_208
; %bb.205:                              ;   in Loop: Header=BB214_15 Depth=1
	v_mov_b32_e32 v0, 7
	v_lshrrev_b32_e32 v3, 3, v4
	s_mov_b32 s21, exec_lo
	v_and_b32_sdwa v92, v2, v0 dst_sel:DWORD dst_unused:UNUSED_PAD src0_sel:BYTE_3 src1_sel:DWORD
	v_cmpx_gt_u32_e32 8, v4
; %bb.206:                              ;   in Loop: Header=BB214_15 Depth=1
	v_ffbh_u32_e32 v3, v92
	v_min_u32_e32 v3, 32, v3
	v_subrev_nc_u32_e32 v4, 28, v3
	v_sub_nc_u32_e32 v3, 29, v3
	v_lshlrev_b64 v[4:5], v4, v[92:93]
	v_and_b32_e32 v92, 7, v4
; %bb.207:                              ;   in Loop: Header=BB214_15 Depth=1
	s_or_b32 exec_lo, exec_lo, s21
	v_mov_b32_e32 v0, 24
	v_lshl_add_u32 v3, v3, 23, 0x3c000000
	v_lshlrev_b32_sdwa v2, v0, v2 dst_sel:DWORD dst_unused:UNUSED_PAD src0_sel:DWORD src1_sel:BYTE_3
	v_lshlrev_b32_e32 v0, 20, v92
	v_and_b32_e32 v2, 0x80000000, v2
	v_or3_b32 v1, v0, v2, v3
	v_mov_b32_e32 v0, v93
	buffer_store_dword v0, off, s[0:3], s32 offset:384 ; 4-byte Folded Spill
	buffer_store_dword v1, off, s[0:3], s32 offset:388 ; 4-byte Folded Spill
.LBB214_208:                            ;   in Loop: Header=BB214_15 Depth=1
	s_or_b32 exec_lo, exec_lo, s20
.LBB214_209:                            ;   in Loop: Header=BB214_15 Depth=1
	s_or_b32 exec_lo, exec_lo, s19
.LBB214_210:                            ;   in Loop: Header=BB214_15 Depth=1
	s_or_b32 exec_lo, exec_lo, s18
	flat_load_dword v2, v[74:75] offset:520
	v_mov_b32_e32 v0, 0
	v_mov_b32_e32 v1, 0
	buffer_store_dword v0, off, s[0:3], s32 offset:400 ; 4-byte Folded Spill
	buffer_store_dword v1, off, s[0:3], s32 offset:404 ; 4-byte Folded Spill
	v_mov_b32_e32 v0, 0
	v_mov_b32_e32 v1, 0
	buffer_store_dword v0, off, s[0:3], s32 offset:392 ; 4-byte Folded Spill
	buffer_store_dword v1, off, s[0:3], s32 offset:396 ; 4-byte Folded Spill
	s_waitcnt vmcnt(0) lgkmcnt(0)
	v_cmp_ne_u16_sdwa s5, v2, v93 src0_sel:BYTE_0 src1_sel:DWORD
	s_and_saveexec_b32 s18, s5
	s_cbranch_execz .LBB214_218
; %bb.211:                              ;   in Loop: Header=BB214_15 Depth=1
	v_bfrev_b32_e32 v0, 1
	v_mov_b32_e32 v1, 0
	buffer_store_dword v0, off, s[0:3], s32 offset:392 ; 4-byte Folded Spill
	buffer_store_dword v1, off, s[0:3], s32 offset:396 ; 4-byte Folded Spill
	v_mov_b32_e32 v0, 0x80
	v_cmp_ne_u16_sdwa s5, v2, v0 src0_sel:BYTE_0 src1_sel:DWORD
	s_and_saveexec_b32 s19, s5
	s_cbranch_execz .LBB214_217
; %bb.212:                              ;   in Loop: Header=BB214_15 Depth=1
	v_mov_b32_e32 v0, 0x7f800001
	v_and_b32_e32 v4, 0x7f, v2
	v_mov_b32_e32 v1, 0
	s_mov_b32 s20, exec_lo
	buffer_store_dword v0, off, s[0:3], s32 offset:392 ; 4-byte Folded Spill
	buffer_store_dword v1, off, s[0:3], s32 offset:396 ; 4-byte Folded Spill
	v_cmpx_ne_u32_e32 0x7f, v4
	s_cbranch_execz .LBB214_216
; %bb.213:                              ;   in Loop: Header=BB214_15 Depth=1
	v_and_b32_e32 v92, 7, v2
	v_lshrrev_b32_e32 v3, 3, v4
	s_mov_b32 s21, exec_lo
	v_cmpx_gt_u32_e32 8, v4
; %bb.214:                              ;   in Loop: Header=BB214_15 Depth=1
	v_ffbh_u32_e32 v3, v92
	v_min_u32_e32 v3, 32, v3
	v_subrev_nc_u32_e32 v4, 28, v3
	v_sub_nc_u32_e32 v3, 29, v3
	v_lshlrev_b64 v[4:5], v4, v[92:93]
	v_and_b32_e32 v92, 7, v4
; %bb.215:                              ;   in Loop: Header=BB214_15 Depth=1
	s_or_b32 exec_lo, exec_lo, s21
	v_lshlrev_b32_e32 v4, 24, v2
	v_lshlrev_b32_e32 v0, 20, v92
	v_lshl_add_u32 v3, v3, 23, 0x3c000000
	v_and_b32_e32 v4, 0x80000000, v4
	v_or3_b32 v92, v0, v4, v3
	buffer_store_dword v92, off, s[0:3], s32 offset:392 ; 4-byte Folded Spill
	buffer_store_dword v93, off, s[0:3], s32 offset:396 ; 4-byte Folded Spill
.LBB214_216:                            ;   in Loop: Header=BB214_15 Depth=1
	s_or_b32 exec_lo, exec_lo, s20
.LBB214_217:                            ;   in Loop: Header=BB214_15 Depth=1
	s_or_b32 exec_lo, exec_lo, s19
.LBB214_218:                            ;   in Loop: Header=BB214_15 Depth=1
	s_or_b32 exec_lo, exec_lo, s18
	v_cmp_ne_u16_sdwa s5, v2, v93 src0_sel:BYTE_1 src1_sel:DWORD
	s_and_saveexec_b32 s18, s5
	s_cbranch_execz .LBB214_226
; %bb.219:                              ;   in Loop: Header=BB214_15 Depth=1
	v_mov_b32_e32 v0, 0x80
	v_mov_b32_e32 v16, v93
	buffer_store_dword v16, off, s[0:3], s32 offset:400 ; 4-byte Folded Spill
	buffer_store_dword v17, off, s[0:3], s32 offset:404 ; 4-byte Folded Spill
	v_cmp_ne_u16_sdwa s5, v2, v0 src0_sel:BYTE_1 src1_sel:DWORD
	s_and_saveexec_b32 s19, s5
	s_cbranch_execz .LBB214_225
; %bb.220:                              ;   in Loop: Header=BB214_15 Depth=1
	s_clause 0x1
	buffer_load_dword v5, off, s[0:3], s32 offset:192
	buffer_load_dword v6, off, s[0:3], s32 offset:196
	v_mov_b32_e32 v0, 0xffff
	s_waitcnt vmcnt(1)
	v_mov_b32_e32 v5, v93
	s_mov_b32 s20, exec_lo
	v_and_b32_sdwa v0, v0, v2 dst_sel:DWORD dst_unused:UNUSED_PAD src0_sel:DWORD src1_sel:BYTE_1
	v_and_b32_e32 v4, 0x7f, v0
	s_waitcnt vmcnt(0)
	v_mov_b32_e32 v3, v6
	buffer_store_dword v2, off, s[0:3], s32 offset:192 ; 4-byte Folded Spill
	buffer_store_dword v3, off, s[0:3], s32 offset:196 ; 4-byte Folded Spill
	;; [unrolled: 1-line block ×4, first 2 shown]
	v_cmpx_ne_u32_e32 0x7f, v4
	s_cbranch_execz .LBB214_224
; %bb.221:                              ;   in Loop: Header=BB214_15 Depth=1
	v_and_b32_e32 v92, 7, v0
	v_lshrrev_b32_e32 v3, 3, v4
	s_mov_b32 s21, exec_lo
	v_cmpx_gt_u32_e32 8, v4
; %bb.222:                              ;   in Loop: Header=BB214_15 Depth=1
	v_ffbh_u32_e32 v3, v92
	v_min_u32_e32 v3, 32, v3
	v_subrev_nc_u32_e32 v4, 28, v3
	v_sub_nc_u32_e32 v3, 29, v3
	v_lshlrev_b64 v[4:5], v4, v[92:93]
	v_and_b32_e32 v92, 7, v4
; %bb.223:                              ;   in Loop: Header=BB214_15 Depth=1
	s_or_b32 exec_lo, exec_lo, s21
	v_lshlrev_b32_e32 v4, 16, v2
	v_lshlrev_b32_e32 v0, 20, v92
	v_lshl_add_u32 v3, v3, 23, 0x3c000000
	v_and_b32_e32 v4, 0x80000000, v4
	v_or3_b32 v1, v0, v4, v3
	v_mov_b32_e32 v0, v93
	buffer_store_dword v0, off, s[0:3], s32 offset:400 ; 4-byte Folded Spill
	buffer_store_dword v1, off, s[0:3], s32 offset:404 ; 4-byte Folded Spill
.LBB214_224:                            ;   in Loop: Header=BB214_15 Depth=1
	s_or_b32 exec_lo, exec_lo, s20
.LBB214_225:                            ;   in Loop: Header=BB214_15 Depth=1
	s_or_b32 exec_lo, exec_lo, s19
.LBB214_226:                            ;   in Loop: Header=BB214_15 Depth=1
	s_or_b32 exec_lo, exec_lo, s18
	v_mov_b32_e32 v3, 0
	v_mov_b32_e32 v4, 0
	v_and_b32_sdwa v0, v2, v10 dst_sel:DWORD dst_unused:UNUSED_PAD src0_sel:WORD_1 src1_sel:DWORD
	s_mov_b32 s18, exec_lo
	buffer_store_dword v3, off, s[0:3], s32 offset:408 ; 4-byte Folded Spill
	buffer_store_dword v4, off, s[0:3], s32 offset:412 ; 4-byte Folded Spill
	v_mov_b32_e32 v3, 0
	v_mov_b32_e32 v4, 0
	buffer_store_dword v3, off, s[0:3], s32 offset:1112 ; 4-byte Folded Spill
	buffer_store_dword v4, off, s[0:3], s32 offset:1116 ; 4-byte Folded Spill
	v_cmpx_ne_u16_e32 0, v0
	s_cbranch_execz .LBB214_234
; %bb.227:                              ;   in Loop: Header=BB214_15 Depth=1
	v_cmp_ne_u16_e64 s5, 0x80, v0
	v_bfrev_b32_e32 v0, 1
	v_mov_b32_e32 v1, 0
	s_and_saveexec_b32 s19, s5
	s_cbranch_execz .LBB214_233
; %bb.228:                              ;   in Loop: Header=BB214_15 Depth=1
	v_mov_b32_e32 v0, 0x7f800001
	v_bfe_u32 v4, v2, 16, 7
	v_mov_b32_e32 v1, 0
	s_mov_b32 s20, exec_lo
	v_cmpx_ne_u32_e32 0x7f, v4
	s_cbranch_execz .LBB214_232
; %bb.229:                              ;   in Loop: Header=BB214_15 Depth=1
	v_mov_b32_e32 v0, 7
	v_lshrrev_b32_e32 v3, 3, v4
	s_mov_b32 s21, exec_lo
	v_and_b32_sdwa v92, v2, v0 dst_sel:DWORD dst_unused:UNUSED_PAD src0_sel:WORD_1 src1_sel:DWORD
	v_cmpx_gt_u32_e32 8, v4
; %bb.230:                              ;   in Loop: Header=BB214_15 Depth=1
	v_ffbh_u32_e32 v3, v92
	v_min_u32_e32 v3, 32, v3
	v_subrev_nc_u32_e32 v4, 28, v3
	v_sub_nc_u32_e32 v3, 29, v3
	v_lshlrev_b64 v[4:5], v4, v[92:93]
	v_and_b32_e32 v92, 7, v4
; %bb.231:                              ;   in Loop: Header=BB214_15 Depth=1
	s_or_b32 exec_lo, exec_lo, s21
	v_mov_b32_e32 v0, 24
	v_lshl_add_u32 v3, v3, 23, 0x3c000000
	v_lshlrev_b32_sdwa v4, v0, v2 dst_sel:DWORD dst_unused:UNUSED_PAD src0_sel:DWORD src1_sel:WORD_1
	v_lshlrev_b32_e32 v0, 20, v92
	v_and_b32_e32 v4, 0x80000000, v4
	v_or3_b32 v92, v0, v4, v3
	v_mov_b32_e32 v0, v92
	v_mov_b32_e32 v1, v93
.LBB214_232:                            ;   in Loop: Header=BB214_15 Depth=1
	s_or_b32 exec_lo, exec_lo, s20
.LBB214_233:                            ;   in Loop: Header=BB214_15 Depth=1
	s_or_b32 exec_lo, exec_lo, s19
	buffer_store_dword v0, off, s[0:3], s32 offset:1112 ; 4-byte Folded Spill
	buffer_store_dword v1, off, s[0:3], s32 offset:1116 ; 4-byte Folded Spill
.LBB214_234:                            ;   in Loop: Header=BB214_15 Depth=1
	s_or_b32 exec_lo, exec_lo, s18
	s_mov_b32 s18, exec_lo
	v_cmpx_lt_u32_e32 0xffffff, v2
	s_cbranch_execz .LBB214_242
; %bb.235:                              ;   in Loop: Header=BB214_15 Depth=1
	v_mov_b32_e32 v0, 0x80
	v_mov_b32_e32 v16, v93
	buffer_store_dword v16, off, s[0:3], s32 offset:408 ; 4-byte Folded Spill
	buffer_store_dword v17, off, s[0:3], s32 offset:412 ; 4-byte Folded Spill
	v_cmp_ne_u32_sdwa s5, v2, v0 src0_sel:BYTE_3 src1_sel:DWORD
	s_and_saveexec_b32 s19, s5
	s_cbranch_execz .LBB214_241
; %bb.236:                              ;   in Loop: Header=BB214_15 Depth=1
	s_clause 0x1
	buffer_load_dword v5, off, s[0:3], s32 offset:192
	buffer_load_dword v6, off, s[0:3], s32 offset:196
	v_bfe_u32 v4, v2, 24, 7
	s_waitcnt vmcnt(1)
	v_mov_b32_e32 v5, v93
	s_mov_b32 s20, exec_lo
	s_waitcnt vmcnt(0)
	v_mov_b32_e32 v3, v6
	buffer_store_dword v2, off, s[0:3], s32 offset:192 ; 4-byte Folded Spill
	buffer_store_dword v3, off, s[0:3], s32 offset:196 ; 4-byte Folded Spill
	;; [unrolled: 1-line block ×4, first 2 shown]
	v_cmpx_ne_u32_e32 0x7f, v4
	s_cbranch_execz .LBB214_240
; %bb.237:                              ;   in Loop: Header=BB214_15 Depth=1
	v_mov_b32_e32 v0, 7
	v_lshrrev_b32_e32 v3, 3, v4
	s_mov_b32 s21, exec_lo
	v_and_b32_sdwa v92, v2, v0 dst_sel:DWORD dst_unused:UNUSED_PAD src0_sel:BYTE_3 src1_sel:DWORD
	v_cmpx_gt_u32_e32 8, v4
; %bb.238:                              ;   in Loop: Header=BB214_15 Depth=1
	v_ffbh_u32_e32 v3, v92
	v_min_u32_e32 v3, 32, v3
	v_subrev_nc_u32_e32 v4, 28, v3
	v_sub_nc_u32_e32 v3, 29, v3
	v_lshlrev_b64 v[4:5], v4, v[92:93]
	v_and_b32_e32 v92, 7, v4
; %bb.239:                              ;   in Loop: Header=BB214_15 Depth=1
	s_or_b32 exec_lo, exec_lo, s21
	v_mov_b32_e32 v0, 24
	v_lshl_add_u32 v3, v3, 23, 0x3c000000
	v_lshlrev_b32_sdwa v2, v0, v2 dst_sel:DWORD dst_unused:UNUSED_PAD src0_sel:DWORD src1_sel:BYTE_3
	v_lshlrev_b32_e32 v0, 20, v92
	v_and_b32_e32 v2, 0x80000000, v2
	v_or3_b32 v1, v0, v2, v3
	v_mov_b32_e32 v0, v93
	buffer_store_dword v0, off, s[0:3], s32 offset:408 ; 4-byte Folded Spill
	buffer_store_dword v1, off, s[0:3], s32 offset:412 ; 4-byte Folded Spill
.LBB214_240:                            ;   in Loop: Header=BB214_15 Depth=1
	s_or_b32 exec_lo, exec_lo, s20
.LBB214_241:                            ;   in Loop: Header=BB214_15 Depth=1
	s_or_b32 exec_lo, exec_lo, s19
.LBB214_242:                            ;   in Loop: Header=BB214_15 Depth=1
	s_or_b32 exec_lo, exec_lo, s18
	flat_load_dword v2, v[74:75] offset:524
	v_mov_b32_e32 v0, 0
	v_mov_b32_e32 v1, 0
	buffer_store_dword v0, off, s[0:3], s32 offset:424 ; 4-byte Folded Spill
	buffer_store_dword v1, off, s[0:3], s32 offset:428 ; 4-byte Folded Spill
	v_mov_b32_e32 v0, 0
	v_mov_b32_e32 v1, 0
	buffer_store_dword v0, off, s[0:3], s32 offset:416 ; 4-byte Folded Spill
	buffer_store_dword v1, off, s[0:3], s32 offset:420 ; 4-byte Folded Spill
	s_waitcnt vmcnt(0) lgkmcnt(0)
	v_cmp_ne_u16_sdwa s5, v2, v93 src0_sel:BYTE_0 src1_sel:DWORD
	s_and_saveexec_b32 s18, s5
	s_cbranch_execz .LBB214_250
; %bb.243:                              ;   in Loop: Header=BB214_15 Depth=1
	v_bfrev_b32_e32 v0, 1
	v_mov_b32_e32 v1, 0
	buffer_store_dword v0, off, s[0:3], s32 offset:416 ; 4-byte Folded Spill
	buffer_store_dword v1, off, s[0:3], s32 offset:420 ; 4-byte Folded Spill
	v_mov_b32_e32 v0, 0x80
	v_cmp_ne_u16_sdwa s5, v2, v0 src0_sel:BYTE_0 src1_sel:DWORD
	s_and_saveexec_b32 s19, s5
	s_cbranch_execz .LBB214_249
; %bb.244:                              ;   in Loop: Header=BB214_15 Depth=1
	v_mov_b32_e32 v0, 0x7f800001
	v_and_b32_e32 v4, 0x7f, v2
	v_mov_b32_e32 v1, 0
	s_mov_b32 s20, exec_lo
	buffer_store_dword v0, off, s[0:3], s32 offset:416 ; 4-byte Folded Spill
	buffer_store_dword v1, off, s[0:3], s32 offset:420 ; 4-byte Folded Spill
	v_cmpx_ne_u32_e32 0x7f, v4
	s_cbranch_execz .LBB214_248
; %bb.245:                              ;   in Loop: Header=BB214_15 Depth=1
	v_and_b32_e32 v92, 7, v2
	v_lshrrev_b32_e32 v3, 3, v4
	s_mov_b32 s21, exec_lo
	v_cmpx_gt_u32_e32 8, v4
; %bb.246:                              ;   in Loop: Header=BB214_15 Depth=1
	v_ffbh_u32_e32 v3, v92
	v_min_u32_e32 v3, 32, v3
	v_subrev_nc_u32_e32 v4, 28, v3
	v_sub_nc_u32_e32 v3, 29, v3
	v_lshlrev_b64 v[4:5], v4, v[92:93]
	v_and_b32_e32 v92, 7, v4
; %bb.247:                              ;   in Loop: Header=BB214_15 Depth=1
	s_or_b32 exec_lo, exec_lo, s21
	v_lshlrev_b32_e32 v4, 24, v2
	v_lshlrev_b32_e32 v0, 20, v92
	v_lshl_add_u32 v3, v3, 23, 0x3c000000
	v_and_b32_e32 v4, 0x80000000, v4
	v_or3_b32 v92, v0, v4, v3
	buffer_store_dword v92, off, s[0:3], s32 offset:416 ; 4-byte Folded Spill
	buffer_store_dword v93, off, s[0:3], s32 offset:420 ; 4-byte Folded Spill
.LBB214_248:                            ;   in Loop: Header=BB214_15 Depth=1
	s_or_b32 exec_lo, exec_lo, s20
.LBB214_249:                            ;   in Loop: Header=BB214_15 Depth=1
	s_or_b32 exec_lo, exec_lo, s19
.LBB214_250:                            ;   in Loop: Header=BB214_15 Depth=1
	s_or_b32 exec_lo, exec_lo, s18
	v_cmp_ne_u16_sdwa s5, v2, v93 src0_sel:BYTE_1 src1_sel:DWORD
	s_and_saveexec_b32 s18, s5
	s_cbranch_execz .LBB214_258
; %bb.251:                              ;   in Loop: Header=BB214_15 Depth=1
	v_mov_b32_e32 v0, 0x80
	v_mov_b32_e32 v16, v93
	buffer_store_dword v16, off, s[0:3], s32 offset:424 ; 4-byte Folded Spill
	buffer_store_dword v17, off, s[0:3], s32 offset:428 ; 4-byte Folded Spill
	v_cmp_ne_u16_sdwa s5, v2, v0 src0_sel:BYTE_1 src1_sel:DWORD
	s_and_saveexec_b32 s19, s5
	s_cbranch_execz .LBB214_257
; %bb.252:                              ;   in Loop: Header=BB214_15 Depth=1
	s_clause 0x1
	buffer_load_dword v5, off, s[0:3], s32 offset:192
	buffer_load_dword v6, off, s[0:3], s32 offset:196
	v_mov_b32_e32 v0, 0xffff
	s_waitcnt vmcnt(1)
	v_mov_b32_e32 v5, v93
	s_mov_b32 s20, exec_lo
	v_and_b32_sdwa v0, v0, v2 dst_sel:DWORD dst_unused:UNUSED_PAD src0_sel:DWORD src1_sel:BYTE_1
	v_and_b32_e32 v4, 0x7f, v0
	s_waitcnt vmcnt(0)
	v_mov_b32_e32 v3, v6
	buffer_store_dword v2, off, s[0:3], s32 offset:192 ; 4-byte Folded Spill
	buffer_store_dword v3, off, s[0:3], s32 offset:196 ; 4-byte Folded Spill
	;; [unrolled: 1-line block ×4, first 2 shown]
	v_cmpx_ne_u32_e32 0x7f, v4
	s_cbranch_execz .LBB214_256
; %bb.253:                              ;   in Loop: Header=BB214_15 Depth=1
	v_and_b32_e32 v92, 7, v0
	v_lshrrev_b32_e32 v3, 3, v4
	s_mov_b32 s21, exec_lo
	v_cmpx_gt_u32_e32 8, v4
; %bb.254:                              ;   in Loop: Header=BB214_15 Depth=1
	v_ffbh_u32_e32 v3, v92
	v_min_u32_e32 v3, 32, v3
	v_subrev_nc_u32_e32 v4, 28, v3
	v_sub_nc_u32_e32 v3, 29, v3
	v_lshlrev_b64 v[4:5], v4, v[92:93]
	v_and_b32_e32 v92, 7, v4
; %bb.255:                              ;   in Loop: Header=BB214_15 Depth=1
	s_or_b32 exec_lo, exec_lo, s21
	v_lshlrev_b32_e32 v4, 16, v2
	v_lshlrev_b32_e32 v0, 20, v92
	v_lshl_add_u32 v3, v3, 23, 0x3c000000
	v_and_b32_e32 v4, 0x80000000, v4
	v_or3_b32 v1, v0, v4, v3
	v_mov_b32_e32 v0, v93
	buffer_store_dword v0, off, s[0:3], s32 offset:424 ; 4-byte Folded Spill
	buffer_store_dword v1, off, s[0:3], s32 offset:428 ; 4-byte Folded Spill
.LBB214_256:                            ;   in Loop: Header=BB214_15 Depth=1
	s_or_b32 exec_lo, exec_lo, s20
.LBB214_257:                            ;   in Loop: Header=BB214_15 Depth=1
	s_or_b32 exec_lo, exec_lo, s19
.LBB214_258:                            ;   in Loop: Header=BB214_15 Depth=1
	s_or_b32 exec_lo, exec_lo, s18
	v_mov_b32_e32 v3, 0
	v_mov_b32_e32 v4, 0
	v_and_b32_sdwa v0, v2, v10 dst_sel:DWORD dst_unused:UNUSED_PAD src0_sel:WORD_1 src1_sel:DWORD
	s_mov_b32 s18, exec_lo
	buffer_store_dword v3, off, s[0:3], s32 offset:432 ; 4-byte Folded Spill
	buffer_store_dword v4, off, s[0:3], s32 offset:436 ; 4-byte Folded Spill
	v_mov_b32_e32 v3, 0
	v_mov_b32_e32 v4, 0
	buffer_store_dword v3, off, s[0:3], s32 offset:1120 ; 4-byte Folded Spill
	buffer_store_dword v4, off, s[0:3], s32 offset:1124 ; 4-byte Folded Spill
	v_cmpx_ne_u16_e32 0, v0
	s_cbranch_execz .LBB214_266
; %bb.259:                              ;   in Loop: Header=BB214_15 Depth=1
	v_cmp_ne_u16_e64 s5, 0x80, v0
	v_bfrev_b32_e32 v0, 1
	v_mov_b32_e32 v1, 0
	s_and_saveexec_b32 s19, s5
	s_cbranch_execz .LBB214_265
; %bb.260:                              ;   in Loop: Header=BB214_15 Depth=1
	v_mov_b32_e32 v0, 0x7f800001
	v_bfe_u32 v4, v2, 16, 7
	v_mov_b32_e32 v1, 0
	s_mov_b32 s20, exec_lo
	v_cmpx_ne_u32_e32 0x7f, v4
	s_cbranch_execz .LBB214_264
; %bb.261:                              ;   in Loop: Header=BB214_15 Depth=1
	v_mov_b32_e32 v0, 7
	v_lshrrev_b32_e32 v3, 3, v4
	s_mov_b32 s21, exec_lo
	v_and_b32_sdwa v92, v2, v0 dst_sel:DWORD dst_unused:UNUSED_PAD src0_sel:WORD_1 src1_sel:DWORD
	v_cmpx_gt_u32_e32 8, v4
; %bb.262:                              ;   in Loop: Header=BB214_15 Depth=1
	v_ffbh_u32_e32 v3, v92
	v_min_u32_e32 v3, 32, v3
	v_subrev_nc_u32_e32 v4, 28, v3
	v_sub_nc_u32_e32 v3, 29, v3
	v_lshlrev_b64 v[4:5], v4, v[92:93]
	v_and_b32_e32 v92, 7, v4
; %bb.263:                              ;   in Loop: Header=BB214_15 Depth=1
	s_or_b32 exec_lo, exec_lo, s21
	v_mov_b32_e32 v0, 24
	v_lshl_add_u32 v3, v3, 23, 0x3c000000
	v_lshlrev_b32_sdwa v4, v0, v2 dst_sel:DWORD dst_unused:UNUSED_PAD src0_sel:DWORD src1_sel:WORD_1
	v_lshlrev_b32_e32 v0, 20, v92
	v_and_b32_e32 v4, 0x80000000, v4
	v_or3_b32 v92, v0, v4, v3
	v_mov_b32_e32 v0, v92
	v_mov_b32_e32 v1, v93
.LBB214_264:                            ;   in Loop: Header=BB214_15 Depth=1
	s_or_b32 exec_lo, exec_lo, s20
.LBB214_265:                            ;   in Loop: Header=BB214_15 Depth=1
	s_or_b32 exec_lo, exec_lo, s19
	buffer_store_dword v0, off, s[0:3], s32 offset:1120 ; 4-byte Folded Spill
	buffer_store_dword v1, off, s[0:3], s32 offset:1124 ; 4-byte Folded Spill
.LBB214_266:                            ;   in Loop: Header=BB214_15 Depth=1
	s_or_b32 exec_lo, exec_lo, s18
	s_mov_b32 s18, exec_lo
	v_cmpx_lt_u32_e32 0xffffff, v2
	s_cbranch_execz .LBB214_274
; %bb.267:                              ;   in Loop: Header=BB214_15 Depth=1
	v_mov_b32_e32 v0, 0x80
	v_mov_b32_e32 v16, v93
	buffer_store_dword v16, off, s[0:3], s32 offset:432 ; 4-byte Folded Spill
	buffer_store_dword v17, off, s[0:3], s32 offset:436 ; 4-byte Folded Spill
	v_cmp_ne_u32_sdwa s5, v2, v0 src0_sel:BYTE_3 src1_sel:DWORD
	s_and_saveexec_b32 s19, s5
	s_cbranch_execz .LBB214_273
; %bb.268:                              ;   in Loop: Header=BB214_15 Depth=1
	s_clause 0x1
	buffer_load_dword v5, off, s[0:3], s32 offset:192
	buffer_load_dword v6, off, s[0:3], s32 offset:196
	v_bfe_u32 v4, v2, 24, 7
	s_waitcnt vmcnt(1)
	v_mov_b32_e32 v5, v93
	s_mov_b32 s20, exec_lo
	s_waitcnt vmcnt(0)
	v_mov_b32_e32 v3, v6
	buffer_store_dword v2, off, s[0:3], s32 offset:192 ; 4-byte Folded Spill
	buffer_store_dword v3, off, s[0:3], s32 offset:196 ; 4-byte Folded Spill
	buffer_store_dword v5, off, s[0:3], s32 offset:432 ; 4-byte Folded Spill
	buffer_store_dword v6, off, s[0:3], s32 offset:436 ; 4-byte Folded Spill
	v_cmpx_ne_u32_e32 0x7f, v4
	s_cbranch_execz .LBB214_272
; %bb.269:                              ;   in Loop: Header=BB214_15 Depth=1
	v_mov_b32_e32 v0, 7
	v_lshrrev_b32_e32 v3, 3, v4
	s_mov_b32 s21, exec_lo
	v_and_b32_sdwa v92, v2, v0 dst_sel:DWORD dst_unused:UNUSED_PAD src0_sel:BYTE_3 src1_sel:DWORD
	v_cmpx_gt_u32_e32 8, v4
; %bb.270:                              ;   in Loop: Header=BB214_15 Depth=1
	v_ffbh_u32_e32 v3, v92
	v_min_u32_e32 v3, 32, v3
	v_subrev_nc_u32_e32 v4, 28, v3
	v_sub_nc_u32_e32 v3, 29, v3
	v_lshlrev_b64 v[4:5], v4, v[92:93]
	v_and_b32_e32 v92, 7, v4
; %bb.271:                              ;   in Loop: Header=BB214_15 Depth=1
	s_or_b32 exec_lo, exec_lo, s21
	v_mov_b32_e32 v0, 24
	v_lshl_add_u32 v3, v3, 23, 0x3c000000
	v_lshlrev_b32_sdwa v2, v0, v2 dst_sel:DWORD dst_unused:UNUSED_PAD src0_sel:DWORD src1_sel:BYTE_3
	v_lshlrev_b32_e32 v0, 20, v92
	v_and_b32_e32 v2, 0x80000000, v2
	v_or3_b32 v1, v0, v2, v3
	v_mov_b32_e32 v0, v93
	buffer_store_dword v0, off, s[0:3], s32 offset:432 ; 4-byte Folded Spill
	buffer_store_dword v1, off, s[0:3], s32 offset:436 ; 4-byte Folded Spill
.LBB214_272:                            ;   in Loop: Header=BB214_15 Depth=1
	s_or_b32 exec_lo, exec_lo, s20
.LBB214_273:                            ;   in Loop: Header=BB214_15 Depth=1
	s_or_b32 exec_lo, exec_lo, s19
.LBB214_274:                            ;   in Loop: Header=BB214_15 Depth=1
	s_or_b32 exec_lo, exec_lo, s18
	flat_load_dword v2, v[74:75] offset:1024
	v_mov_b32_e32 v0, 0
	v_mov_b32_e32 v1, 0
	buffer_store_dword v0, off, s[0:3], s32 offset:448 ; 4-byte Folded Spill
	buffer_store_dword v1, off, s[0:3], s32 offset:452 ; 4-byte Folded Spill
	v_mov_b32_e32 v0, 0
	v_mov_b32_e32 v1, 0
	buffer_store_dword v0, off, s[0:3], s32 offset:440 ; 4-byte Folded Spill
	buffer_store_dword v1, off, s[0:3], s32 offset:444 ; 4-byte Folded Spill
	s_waitcnt vmcnt(0) lgkmcnt(0)
	v_cmp_ne_u16_sdwa s5, v2, v93 src0_sel:BYTE_0 src1_sel:DWORD
	s_and_saveexec_b32 s18, s5
	s_cbranch_execz .LBB214_282
; %bb.275:                              ;   in Loop: Header=BB214_15 Depth=1
	v_bfrev_b32_e32 v0, 1
	v_mov_b32_e32 v1, 0
	buffer_store_dword v0, off, s[0:3], s32 offset:440 ; 4-byte Folded Spill
	buffer_store_dword v1, off, s[0:3], s32 offset:444 ; 4-byte Folded Spill
	v_mov_b32_e32 v0, 0x80
	v_cmp_ne_u16_sdwa s5, v2, v0 src0_sel:BYTE_0 src1_sel:DWORD
	s_and_saveexec_b32 s19, s5
	s_cbranch_execz .LBB214_281
; %bb.276:                              ;   in Loop: Header=BB214_15 Depth=1
	v_mov_b32_e32 v0, 0x7f800001
	v_and_b32_e32 v4, 0x7f, v2
	v_mov_b32_e32 v1, 0
	s_mov_b32 s20, exec_lo
	buffer_store_dword v0, off, s[0:3], s32 offset:440 ; 4-byte Folded Spill
	buffer_store_dword v1, off, s[0:3], s32 offset:444 ; 4-byte Folded Spill
	v_cmpx_ne_u32_e32 0x7f, v4
	s_cbranch_execz .LBB214_280
; %bb.277:                              ;   in Loop: Header=BB214_15 Depth=1
	v_and_b32_e32 v92, 7, v2
	v_lshrrev_b32_e32 v3, 3, v4
	s_mov_b32 s21, exec_lo
	v_cmpx_gt_u32_e32 8, v4
; %bb.278:                              ;   in Loop: Header=BB214_15 Depth=1
	v_ffbh_u32_e32 v3, v92
	v_min_u32_e32 v3, 32, v3
	v_subrev_nc_u32_e32 v4, 28, v3
	v_sub_nc_u32_e32 v3, 29, v3
	v_lshlrev_b64 v[4:5], v4, v[92:93]
	v_and_b32_e32 v92, 7, v4
; %bb.279:                              ;   in Loop: Header=BB214_15 Depth=1
	s_or_b32 exec_lo, exec_lo, s21
	v_lshlrev_b32_e32 v4, 24, v2
	v_lshlrev_b32_e32 v0, 20, v92
	v_lshl_add_u32 v3, v3, 23, 0x3c000000
	v_and_b32_e32 v4, 0x80000000, v4
	v_or3_b32 v92, v0, v4, v3
	buffer_store_dword v92, off, s[0:3], s32 offset:440 ; 4-byte Folded Spill
	buffer_store_dword v93, off, s[0:3], s32 offset:444 ; 4-byte Folded Spill
.LBB214_280:                            ;   in Loop: Header=BB214_15 Depth=1
	s_or_b32 exec_lo, exec_lo, s20
.LBB214_281:                            ;   in Loop: Header=BB214_15 Depth=1
	s_or_b32 exec_lo, exec_lo, s19
.LBB214_282:                            ;   in Loop: Header=BB214_15 Depth=1
	s_or_b32 exec_lo, exec_lo, s18
	v_cmp_ne_u16_sdwa s5, v2, v93 src0_sel:BYTE_1 src1_sel:DWORD
	s_and_saveexec_b32 s18, s5
	s_cbranch_execz .LBB214_290
; %bb.283:                              ;   in Loop: Header=BB214_15 Depth=1
	v_mov_b32_e32 v0, 0x80
	v_mov_b32_e32 v16, v93
	buffer_store_dword v16, off, s[0:3], s32 offset:448 ; 4-byte Folded Spill
	buffer_store_dword v17, off, s[0:3], s32 offset:452 ; 4-byte Folded Spill
	v_cmp_ne_u16_sdwa s5, v2, v0 src0_sel:BYTE_1 src1_sel:DWORD
	s_and_saveexec_b32 s19, s5
	s_cbranch_execz .LBB214_289
; %bb.284:                              ;   in Loop: Header=BB214_15 Depth=1
	s_clause 0x1
	buffer_load_dword v5, off, s[0:3], s32 offset:192
	buffer_load_dword v6, off, s[0:3], s32 offset:196
	v_mov_b32_e32 v0, 0xffff
	s_waitcnt vmcnt(1)
	v_mov_b32_e32 v5, v93
	s_mov_b32 s20, exec_lo
	v_and_b32_sdwa v0, v0, v2 dst_sel:DWORD dst_unused:UNUSED_PAD src0_sel:DWORD src1_sel:BYTE_1
	v_and_b32_e32 v4, 0x7f, v0
	s_waitcnt vmcnt(0)
	v_mov_b32_e32 v3, v6
	buffer_store_dword v2, off, s[0:3], s32 offset:192 ; 4-byte Folded Spill
	buffer_store_dword v3, off, s[0:3], s32 offset:196 ; 4-byte Folded Spill
	;; [unrolled: 1-line block ×4, first 2 shown]
	v_cmpx_ne_u32_e32 0x7f, v4
	s_cbranch_execz .LBB214_288
; %bb.285:                              ;   in Loop: Header=BB214_15 Depth=1
	v_and_b32_e32 v92, 7, v0
	v_lshrrev_b32_e32 v3, 3, v4
	s_mov_b32 s21, exec_lo
	v_cmpx_gt_u32_e32 8, v4
; %bb.286:                              ;   in Loop: Header=BB214_15 Depth=1
	v_ffbh_u32_e32 v3, v92
	v_min_u32_e32 v3, 32, v3
	v_subrev_nc_u32_e32 v4, 28, v3
	v_sub_nc_u32_e32 v3, 29, v3
	v_lshlrev_b64 v[4:5], v4, v[92:93]
	v_and_b32_e32 v92, 7, v4
; %bb.287:                              ;   in Loop: Header=BB214_15 Depth=1
	s_or_b32 exec_lo, exec_lo, s21
	v_lshlrev_b32_e32 v4, 16, v2
	v_lshlrev_b32_e32 v0, 20, v92
	v_lshl_add_u32 v3, v3, 23, 0x3c000000
	v_and_b32_e32 v4, 0x80000000, v4
	v_or3_b32 v1, v0, v4, v3
	v_mov_b32_e32 v0, v93
	buffer_store_dword v0, off, s[0:3], s32 offset:448 ; 4-byte Folded Spill
	buffer_store_dword v1, off, s[0:3], s32 offset:452 ; 4-byte Folded Spill
.LBB214_288:                            ;   in Loop: Header=BB214_15 Depth=1
	s_or_b32 exec_lo, exec_lo, s20
.LBB214_289:                            ;   in Loop: Header=BB214_15 Depth=1
	s_or_b32 exec_lo, exec_lo, s19
.LBB214_290:                            ;   in Loop: Header=BB214_15 Depth=1
	s_or_b32 exec_lo, exec_lo, s18
	v_mov_b32_e32 v3, 0
	v_mov_b32_e32 v4, 0
	v_and_b32_sdwa v0, v2, v10 dst_sel:DWORD dst_unused:UNUSED_PAD src0_sel:WORD_1 src1_sel:DWORD
	s_mov_b32 s18, exec_lo
	buffer_store_dword v3, off, s[0:3], s32 offset:456 ; 4-byte Folded Spill
	buffer_store_dword v4, off, s[0:3], s32 offset:460 ; 4-byte Folded Spill
	v_mov_b32_e32 v3, 0
	v_mov_b32_e32 v4, 0
	buffer_store_dword v3, off, s[0:3], s32 offset:1128 ; 4-byte Folded Spill
	buffer_store_dword v4, off, s[0:3], s32 offset:1132 ; 4-byte Folded Spill
	v_cmpx_ne_u16_e32 0, v0
	s_cbranch_execz .LBB214_298
; %bb.291:                              ;   in Loop: Header=BB214_15 Depth=1
	v_cmp_ne_u16_e64 s5, 0x80, v0
	v_bfrev_b32_e32 v0, 1
	v_mov_b32_e32 v1, 0
	s_and_saveexec_b32 s19, s5
	s_cbranch_execz .LBB214_297
; %bb.292:                              ;   in Loop: Header=BB214_15 Depth=1
	v_mov_b32_e32 v0, 0x7f800001
	v_bfe_u32 v4, v2, 16, 7
	v_mov_b32_e32 v1, 0
	s_mov_b32 s20, exec_lo
	v_cmpx_ne_u32_e32 0x7f, v4
	s_cbranch_execz .LBB214_296
; %bb.293:                              ;   in Loop: Header=BB214_15 Depth=1
	v_mov_b32_e32 v0, 7
	v_lshrrev_b32_e32 v3, 3, v4
	s_mov_b32 s21, exec_lo
	v_and_b32_sdwa v92, v2, v0 dst_sel:DWORD dst_unused:UNUSED_PAD src0_sel:WORD_1 src1_sel:DWORD
	v_cmpx_gt_u32_e32 8, v4
; %bb.294:                              ;   in Loop: Header=BB214_15 Depth=1
	v_ffbh_u32_e32 v3, v92
	v_min_u32_e32 v3, 32, v3
	v_subrev_nc_u32_e32 v4, 28, v3
	v_sub_nc_u32_e32 v3, 29, v3
	v_lshlrev_b64 v[4:5], v4, v[92:93]
	v_and_b32_e32 v92, 7, v4
; %bb.295:                              ;   in Loop: Header=BB214_15 Depth=1
	s_or_b32 exec_lo, exec_lo, s21
	v_mov_b32_e32 v0, 24
	v_lshl_add_u32 v3, v3, 23, 0x3c000000
	v_lshlrev_b32_sdwa v4, v0, v2 dst_sel:DWORD dst_unused:UNUSED_PAD src0_sel:DWORD src1_sel:WORD_1
	v_lshlrev_b32_e32 v0, 20, v92
	v_and_b32_e32 v4, 0x80000000, v4
	v_or3_b32 v92, v0, v4, v3
	v_mov_b32_e32 v0, v92
	v_mov_b32_e32 v1, v93
.LBB214_296:                            ;   in Loop: Header=BB214_15 Depth=1
	s_or_b32 exec_lo, exec_lo, s20
.LBB214_297:                            ;   in Loop: Header=BB214_15 Depth=1
	s_or_b32 exec_lo, exec_lo, s19
	buffer_store_dword v0, off, s[0:3], s32 offset:1128 ; 4-byte Folded Spill
	buffer_store_dword v1, off, s[0:3], s32 offset:1132 ; 4-byte Folded Spill
.LBB214_298:                            ;   in Loop: Header=BB214_15 Depth=1
	s_or_b32 exec_lo, exec_lo, s18
	s_mov_b32 s18, exec_lo
	v_cmpx_lt_u32_e32 0xffffff, v2
	s_cbranch_execz .LBB214_306
; %bb.299:                              ;   in Loop: Header=BB214_15 Depth=1
	v_mov_b32_e32 v0, 0x80
	v_mov_b32_e32 v16, v93
	buffer_store_dword v16, off, s[0:3], s32 offset:456 ; 4-byte Folded Spill
	buffer_store_dword v17, off, s[0:3], s32 offset:460 ; 4-byte Folded Spill
	v_cmp_ne_u32_sdwa s5, v2, v0 src0_sel:BYTE_3 src1_sel:DWORD
	s_and_saveexec_b32 s19, s5
	s_cbranch_execz .LBB214_305
; %bb.300:                              ;   in Loop: Header=BB214_15 Depth=1
	s_clause 0x1
	buffer_load_dword v5, off, s[0:3], s32 offset:192
	buffer_load_dword v6, off, s[0:3], s32 offset:196
	v_bfe_u32 v4, v2, 24, 7
	s_waitcnt vmcnt(1)
	v_mov_b32_e32 v5, v93
	s_mov_b32 s20, exec_lo
	s_waitcnt vmcnt(0)
	v_mov_b32_e32 v3, v6
	buffer_store_dword v2, off, s[0:3], s32 offset:192 ; 4-byte Folded Spill
	buffer_store_dword v3, off, s[0:3], s32 offset:196 ; 4-byte Folded Spill
	;; [unrolled: 1-line block ×4, first 2 shown]
	v_cmpx_ne_u32_e32 0x7f, v4
	s_cbranch_execz .LBB214_304
; %bb.301:                              ;   in Loop: Header=BB214_15 Depth=1
	v_mov_b32_e32 v0, 7
	v_lshrrev_b32_e32 v3, 3, v4
	s_mov_b32 s21, exec_lo
	v_and_b32_sdwa v92, v2, v0 dst_sel:DWORD dst_unused:UNUSED_PAD src0_sel:BYTE_3 src1_sel:DWORD
	v_cmpx_gt_u32_e32 8, v4
; %bb.302:                              ;   in Loop: Header=BB214_15 Depth=1
	v_ffbh_u32_e32 v3, v92
	v_min_u32_e32 v3, 32, v3
	v_subrev_nc_u32_e32 v4, 28, v3
	v_sub_nc_u32_e32 v3, 29, v3
	v_lshlrev_b64 v[4:5], v4, v[92:93]
	v_and_b32_e32 v92, 7, v4
; %bb.303:                              ;   in Loop: Header=BB214_15 Depth=1
	s_or_b32 exec_lo, exec_lo, s21
	v_mov_b32_e32 v0, 24
	v_lshl_add_u32 v3, v3, 23, 0x3c000000
	v_lshlrev_b32_sdwa v2, v0, v2 dst_sel:DWORD dst_unused:UNUSED_PAD src0_sel:DWORD src1_sel:BYTE_3
	v_lshlrev_b32_e32 v0, 20, v92
	v_and_b32_e32 v2, 0x80000000, v2
	v_or3_b32 v1, v0, v2, v3
	v_mov_b32_e32 v0, v93
	buffer_store_dword v0, off, s[0:3], s32 offset:456 ; 4-byte Folded Spill
	buffer_store_dword v1, off, s[0:3], s32 offset:460 ; 4-byte Folded Spill
.LBB214_304:                            ;   in Loop: Header=BB214_15 Depth=1
	s_or_b32 exec_lo, exec_lo, s20
.LBB214_305:                            ;   in Loop: Header=BB214_15 Depth=1
	s_or_b32 exec_lo, exec_lo, s19
.LBB214_306:                            ;   in Loop: Header=BB214_15 Depth=1
	s_or_b32 exec_lo, exec_lo, s18
	flat_load_dword v2, v[74:75] offset:1028
	v_mov_b32_e32 v0, 0
	v_mov_b32_e32 v1, 0
	buffer_store_dword v0, off, s[0:3], s32 offset:472 ; 4-byte Folded Spill
	buffer_store_dword v1, off, s[0:3], s32 offset:476 ; 4-byte Folded Spill
	v_mov_b32_e32 v0, 0
	v_mov_b32_e32 v1, 0
	buffer_store_dword v0, off, s[0:3], s32 offset:464 ; 4-byte Folded Spill
	buffer_store_dword v1, off, s[0:3], s32 offset:468 ; 4-byte Folded Spill
	s_waitcnt vmcnt(0) lgkmcnt(0)
	v_cmp_ne_u16_sdwa s5, v2, v93 src0_sel:BYTE_0 src1_sel:DWORD
	s_and_saveexec_b32 s18, s5
	s_cbranch_execz .LBB214_314
; %bb.307:                              ;   in Loop: Header=BB214_15 Depth=1
	v_bfrev_b32_e32 v0, 1
	v_mov_b32_e32 v1, 0
	buffer_store_dword v0, off, s[0:3], s32 offset:464 ; 4-byte Folded Spill
	buffer_store_dword v1, off, s[0:3], s32 offset:468 ; 4-byte Folded Spill
	v_mov_b32_e32 v0, 0x80
	v_cmp_ne_u16_sdwa s5, v2, v0 src0_sel:BYTE_0 src1_sel:DWORD
	s_and_saveexec_b32 s19, s5
	s_cbranch_execz .LBB214_313
; %bb.308:                              ;   in Loop: Header=BB214_15 Depth=1
	v_mov_b32_e32 v0, 0x7f800001
	v_and_b32_e32 v4, 0x7f, v2
	v_mov_b32_e32 v1, 0
	s_mov_b32 s20, exec_lo
	buffer_store_dword v0, off, s[0:3], s32 offset:464 ; 4-byte Folded Spill
	buffer_store_dword v1, off, s[0:3], s32 offset:468 ; 4-byte Folded Spill
	v_cmpx_ne_u32_e32 0x7f, v4
	s_cbranch_execz .LBB214_312
; %bb.309:                              ;   in Loop: Header=BB214_15 Depth=1
	v_and_b32_e32 v92, 7, v2
	v_lshrrev_b32_e32 v3, 3, v4
	s_mov_b32 s21, exec_lo
	v_cmpx_gt_u32_e32 8, v4
; %bb.310:                              ;   in Loop: Header=BB214_15 Depth=1
	v_ffbh_u32_e32 v3, v92
	v_min_u32_e32 v3, 32, v3
	v_subrev_nc_u32_e32 v4, 28, v3
	v_sub_nc_u32_e32 v3, 29, v3
	v_lshlrev_b64 v[4:5], v4, v[92:93]
	v_and_b32_e32 v92, 7, v4
; %bb.311:                              ;   in Loop: Header=BB214_15 Depth=1
	s_or_b32 exec_lo, exec_lo, s21
	v_lshlrev_b32_e32 v4, 24, v2
	v_lshlrev_b32_e32 v0, 20, v92
	v_lshl_add_u32 v3, v3, 23, 0x3c000000
	v_and_b32_e32 v4, 0x80000000, v4
	v_or3_b32 v92, v0, v4, v3
	buffer_store_dword v92, off, s[0:3], s32 offset:464 ; 4-byte Folded Spill
	buffer_store_dword v93, off, s[0:3], s32 offset:468 ; 4-byte Folded Spill
.LBB214_312:                            ;   in Loop: Header=BB214_15 Depth=1
	s_or_b32 exec_lo, exec_lo, s20
.LBB214_313:                            ;   in Loop: Header=BB214_15 Depth=1
	s_or_b32 exec_lo, exec_lo, s19
.LBB214_314:                            ;   in Loop: Header=BB214_15 Depth=1
	s_or_b32 exec_lo, exec_lo, s18
	v_cmp_ne_u16_sdwa s5, v2, v93 src0_sel:BYTE_1 src1_sel:DWORD
	s_and_saveexec_b32 s18, s5
	s_cbranch_execz .LBB214_322
; %bb.315:                              ;   in Loop: Header=BB214_15 Depth=1
	v_mov_b32_e32 v0, 0x80
	v_mov_b32_e32 v16, v93
	buffer_store_dword v16, off, s[0:3], s32 offset:472 ; 4-byte Folded Spill
	buffer_store_dword v17, off, s[0:3], s32 offset:476 ; 4-byte Folded Spill
	v_cmp_ne_u16_sdwa s5, v2, v0 src0_sel:BYTE_1 src1_sel:DWORD
	s_and_saveexec_b32 s19, s5
	s_cbranch_execz .LBB214_321
; %bb.316:                              ;   in Loop: Header=BB214_15 Depth=1
	s_clause 0x1
	buffer_load_dword v5, off, s[0:3], s32 offset:192
	buffer_load_dword v6, off, s[0:3], s32 offset:196
	v_mov_b32_e32 v0, 0xffff
	s_waitcnt vmcnt(1)
	v_mov_b32_e32 v5, v93
	s_mov_b32 s20, exec_lo
	v_and_b32_sdwa v0, v0, v2 dst_sel:DWORD dst_unused:UNUSED_PAD src0_sel:DWORD src1_sel:BYTE_1
	v_and_b32_e32 v4, 0x7f, v0
	s_waitcnt vmcnt(0)
	v_mov_b32_e32 v3, v6
	buffer_store_dword v2, off, s[0:3], s32 offset:192 ; 4-byte Folded Spill
	buffer_store_dword v3, off, s[0:3], s32 offset:196 ; 4-byte Folded Spill
	;; [unrolled: 1-line block ×4, first 2 shown]
	v_cmpx_ne_u32_e32 0x7f, v4
	s_cbranch_execz .LBB214_320
; %bb.317:                              ;   in Loop: Header=BB214_15 Depth=1
	v_and_b32_e32 v92, 7, v0
	v_lshrrev_b32_e32 v3, 3, v4
	s_mov_b32 s21, exec_lo
	v_cmpx_gt_u32_e32 8, v4
; %bb.318:                              ;   in Loop: Header=BB214_15 Depth=1
	v_ffbh_u32_e32 v3, v92
	v_min_u32_e32 v3, 32, v3
	v_subrev_nc_u32_e32 v4, 28, v3
	v_sub_nc_u32_e32 v3, 29, v3
	v_lshlrev_b64 v[4:5], v4, v[92:93]
	v_and_b32_e32 v92, 7, v4
; %bb.319:                              ;   in Loop: Header=BB214_15 Depth=1
	s_or_b32 exec_lo, exec_lo, s21
	v_lshlrev_b32_e32 v4, 16, v2
	v_lshlrev_b32_e32 v0, 20, v92
	v_lshl_add_u32 v3, v3, 23, 0x3c000000
	v_and_b32_e32 v4, 0x80000000, v4
	v_or3_b32 v1, v0, v4, v3
	v_mov_b32_e32 v0, v93
	buffer_store_dword v0, off, s[0:3], s32 offset:472 ; 4-byte Folded Spill
	buffer_store_dword v1, off, s[0:3], s32 offset:476 ; 4-byte Folded Spill
.LBB214_320:                            ;   in Loop: Header=BB214_15 Depth=1
	s_or_b32 exec_lo, exec_lo, s20
.LBB214_321:                            ;   in Loop: Header=BB214_15 Depth=1
	s_or_b32 exec_lo, exec_lo, s19
.LBB214_322:                            ;   in Loop: Header=BB214_15 Depth=1
	s_or_b32 exec_lo, exec_lo, s18
	v_mov_b32_e32 v3, 0
	v_mov_b32_e32 v4, 0
	v_and_b32_sdwa v0, v2, v10 dst_sel:DWORD dst_unused:UNUSED_PAD src0_sel:WORD_1 src1_sel:DWORD
	s_mov_b32 s18, exec_lo
	buffer_store_dword v3, off, s[0:3], s32 offset:480 ; 4-byte Folded Spill
	buffer_store_dword v4, off, s[0:3], s32 offset:484 ; 4-byte Folded Spill
	v_mov_b32_e32 v3, 0
	v_mov_b32_e32 v4, 0
	buffer_store_dword v3, off, s[0:3], s32 offset:1136 ; 4-byte Folded Spill
	buffer_store_dword v4, off, s[0:3], s32 offset:1140 ; 4-byte Folded Spill
	v_cmpx_ne_u16_e32 0, v0
	s_cbranch_execz .LBB214_330
; %bb.323:                              ;   in Loop: Header=BB214_15 Depth=1
	v_cmp_ne_u16_e64 s5, 0x80, v0
	v_bfrev_b32_e32 v0, 1
	v_mov_b32_e32 v1, 0
	s_and_saveexec_b32 s19, s5
	s_cbranch_execz .LBB214_329
; %bb.324:                              ;   in Loop: Header=BB214_15 Depth=1
	v_mov_b32_e32 v0, 0x7f800001
	v_bfe_u32 v4, v2, 16, 7
	v_mov_b32_e32 v1, 0
	s_mov_b32 s20, exec_lo
	v_cmpx_ne_u32_e32 0x7f, v4
	s_cbranch_execz .LBB214_328
; %bb.325:                              ;   in Loop: Header=BB214_15 Depth=1
	v_mov_b32_e32 v0, 7
	v_lshrrev_b32_e32 v3, 3, v4
	s_mov_b32 s21, exec_lo
	v_and_b32_sdwa v92, v2, v0 dst_sel:DWORD dst_unused:UNUSED_PAD src0_sel:WORD_1 src1_sel:DWORD
	v_cmpx_gt_u32_e32 8, v4
; %bb.326:                              ;   in Loop: Header=BB214_15 Depth=1
	v_ffbh_u32_e32 v3, v92
	v_min_u32_e32 v3, 32, v3
	v_subrev_nc_u32_e32 v4, 28, v3
	v_sub_nc_u32_e32 v3, 29, v3
	v_lshlrev_b64 v[4:5], v4, v[92:93]
	v_and_b32_e32 v92, 7, v4
; %bb.327:                              ;   in Loop: Header=BB214_15 Depth=1
	s_or_b32 exec_lo, exec_lo, s21
	v_mov_b32_e32 v0, 24
	v_lshl_add_u32 v3, v3, 23, 0x3c000000
	v_lshlrev_b32_sdwa v4, v0, v2 dst_sel:DWORD dst_unused:UNUSED_PAD src0_sel:DWORD src1_sel:WORD_1
	v_lshlrev_b32_e32 v0, 20, v92
	v_and_b32_e32 v4, 0x80000000, v4
	v_or3_b32 v92, v0, v4, v3
	v_mov_b32_e32 v0, v92
	v_mov_b32_e32 v1, v93
.LBB214_328:                            ;   in Loop: Header=BB214_15 Depth=1
	s_or_b32 exec_lo, exec_lo, s20
.LBB214_329:                            ;   in Loop: Header=BB214_15 Depth=1
	s_or_b32 exec_lo, exec_lo, s19
	buffer_store_dword v0, off, s[0:3], s32 offset:1136 ; 4-byte Folded Spill
	buffer_store_dword v1, off, s[0:3], s32 offset:1140 ; 4-byte Folded Spill
.LBB214_330:                            ;   in Loop: Header=BB214_15 Depth=1
	s_or_b32 exec_lo, exec_lo, s18
	s_mov_b32 s18, exec_lo
	v_cmpx_lt_u32_e32 0xffffff, v2
	s_cbranch_execz .LBB214_338
; %bb.331:                              ;   in Loop: Header=BB214_15 Depth=1
	v_mov_b32_e32 v0, 0x80
	v_mov_b32_e32 v16, v93
	buffer_store_dword v16, off, s[0:3], s32 offset:480 ; 4-byte Folded Spill
	buffer_store_dword v17, off, s[0:3], s32 offset:484 ; 4-byte Folded Spill
	v_cmp_ne_u32_sdwa s5, v2, v0 src0_sel:BYTE_3 src1_sel:DWORD
	s_and_saveexec_b32 s19, s5
	s_cbranch_execz .LBB214_337
; %bb.332:                              ;   in Loop: Header=BB214_15 Depth=1
	s_clause 0x1
	buffer_load_dword v5, off, s[0:3], s32 offset:192
	buffer_load_dword v6, off, s[0:3], s32 offset:196
	v_bfe_u32 v4, v2, 24, 7
	s_waitcnt vmcnt(1)
	v_mov_b32_e32 v5, v93
	s_mov_b32 s20, exec_lo
	s_waitcnt vmcnt(0)
	v_mov_b32_e32 v3, v6
	buffer_store_dword v2, off, s[0:3], s32 offset:192 ; 4-byte Folded Spill
	buffer_store_dword v3, off, s[0:3], s32 offset:196 ; 4-byte Folded Spill
	;; [unrolled: 1-line block ×4, first 2 shown]
	v_cmpx_ne_u32_e32 0x7f, v4
	s_cbranch_execz .LBB214_336
; %bb.333:                              ;   in Loop: Header=BB214_15 Depth=1
	v_mov_b32_e32 v0, 7
	v_lshrrev_b32_e32 v3, 3, v4
	s_mov_b32 s21, exec_lo
	v_and_b32_sdwa v92, v2, v0 dst_sel:DWORD dst_unused:UNUSED_PAD src0_sel:BYTE_3 src1_sel:DWORD
	v_cmpx_gt_u32_e32 8, v4
; %bb.334:                              ;   in Loop: Header=BB214_15 Depth=1
	v_ffbh_u32_e32 v3, v92
	v_min_u32_e32 v3, 32, v3
	v_subrev_nc_u32_e32 v4, 28, v3
	v_sub_nc_u32_e32 v3, 29, v3
	v_lshlrev_b64 v[4:5], v4, v[92:93]
	v_and_b32_e32 v92, 7, v4
; %bb.335:                              ;   in Loop: Header=BB214_15 Depth=1
	s_or_b32 exec_lo, exec_lo, s21
	v_mov_b32_e32 v0, 24
	v_lshl_add_u32 v3, v3, 23, 0x3c000000
	v_lshlrev_b32_sdwa v2, v0, v2 dst_sel:DWORD dst_unused:UNUSED_PAD src0_sel:DWORD src1_sel:BYTE_3
	v_lshlrev_b32_e32 v0, 20, v92
	v_and_b32_e32 v2, 0x80000000, v2
	v_or3_b32 v1, v0, v2, v3
	v_mov_b32_e32 v0, v93
	buffer_store_dword v0, off, s[0:3], s32 offset:480 ; 4-byte Folded Spill
	buffer_store_dword v1, off, s[0:3], s32 offset:484 ; 4-byte Folded Spill
.LBB214_336:                            ;   in Loop: Header=BB214_15 Depth=1
	s_or_b32 exec_lo, exec_lo, s20
.LBB214_337:                            ;   in Loop: Header=BB214_15 Depth=1
	s_or_b32 exec_lo, exec_lo, s19
.LBB214_338:                            ;   in Loop: Header=BB214_15 Depth=1
	s_or_b32 exec_lo, exec_lo, s18
	flat_load_dword v2, v[74:75] offset:1032
	v_mov_b32_e32 v0, 0
	v_mov_b32_e32 v1, 0
	buffer_store_dword v0, off, s[0:3], s32 offset:496 ; 4-byte Folded Spill
	buffer_store_dword v1, off, s[0:3], s32 offset:500 ; 4-byte Folded Spill
	v_mov_b32_e32 v0, 0
	v_mov_b32_e32 v1, 0
	buffer_store_dword v0, off, s[0:3], s32 offset:488 ; 4-byte Folded Spill
	buffer_store_dword v1, off, s[0:3], s32 offset:492 ; 4-byte Folded Spill
	s_waitcnt vmcnt(0) lgkmcnt(0)
	v_cmp_ne_u16_sdwa s5, v2, v93 src0_sel:BYTE_0 src1_sel:DWORD
	s_and_saveexec_b32 s18, s5
	s_cbranch_execz .LBB214_346
; %bb.339:                              ;   in Loop: Header=BB214_15 Depth=1
	v_bfrev_b32_e32 v0, 1
	v_mov_b32_e32 v1, 0
	buffer_store_dword v0, off, s[0:3], s32 offset:488 ; 4-byte Folded Spill
	buffer_store_dword v1, off, s[0:3], s32 offset:492 ; 4-byte Folded Spill
	v_mov_b32_e32 v0, 0x80
	v_cmp_ne_u16_sdwa s5, v2, v0 src0_sel:BYTE_0 src1_sel:DWORD
	s_and_saveexec_b32 s19, s5
	s_cbranch_execz .LBB214_345
; %bb.340:                              ;   in Loop: Header=BB214_15 Depth=1
	v_mov_b32_e32 v0, 0x7f800001
	v_and_b32_e32 v4, 0x7f, v2
	v_mov_b32_e32 v1, 0
	s_mov_b32 s20, exec_lo
	buffer_store_dword v0, off, s[0:3], s32 offset:488 ; 4-byte Folded Spill
	buffer_store_dword v1, off, s[0:3], s32 offset:492 ; 4-byte Folded Spill
	v_cmpx_ne_u32_e32 0x7f, v4
	s_cbranch_execz .LBB214_344
; %bb.341:                              ;   in Loop: Header=BB214_15 Depth=1
	v_and_b32_e32 v92, 7, v2
	v_lshrrev_b32_e32 v3, 3, v4
	s_mov_b32 s21, exec_lo
	v_cmpx_gt_u32_e32 8, v4
; %bb.342:                              ;   in Loop: Header=BB214_15 Depth=1
	v_ffbh_u32_e32 v3, v92
	v_min_u32_e32 v3, 32, v3
	v_subrev_nc_u32_e32 v4, 28, v3
	v_sub_nc_u32_e32 v3, 29, v3
	v_lshlrev_b64 v[4:5], v4, v[92:93]
	v_and_b32_e32 v92, 7, v4
; %bb.343:                              ;   in Loop: Header=BB214_15 Depth=1
	s_or_b32 exec_lo, exec_lo, s21
	v_lshlrev_b32_e32 v4, 24, v2
	v_lshlrev_b32_e32 v0, 20, v92
	v_lshl_add_u32 v3, v3, 23, 0x3c000000
	v_and_b32_e32 v4, 0x80000000, v4
	v_or3_b32 v92, v0, v4, v3
	buffer_store_dword v92, off, s[0:3], s32 offset:488 ; 4-byte Folded Spill
	buffer_store_dword v93, off, s[0:3], s32 offset:492 ; 4-byte Folded Spill
.LBB214_344:                            ;   in Loop: Header=BB214_15 Depth=1
	s_or_b32 exec_lo, exec_lo, s20
.LBB214_345:                            ;   in Loop: Header=BB214_15 Depth=1
	s_or_b32 exec_lo, exec_lo, s19
.LBB214_346:                            ;   in Loop: Header=BB214_15 Depth=1
	s_or_b32 exec_lo, exec_lo, s18
	v_cmp_ne_u16_sdwa s5, v2, v93 src0_sel:BYTE_1 src1_sel:DWORD
	s_and_saveexec_b32 s18, s5
	s_cbranch_execz .LBB214_354
; %bb.347:                              ;   in Loop: Header=BB214_15 Depth=1
	v_mov_b32_e32 v0, 0x80
	v_mov_b32_e32 v16, v93
	buffer_store_dword v16, off, s[0:3], s32 offset:496 ; 4-byte Folded Spill
	buffer_store_dword v17, off, s[0:3], s32 offset:500 ; 4-byte Folded Spill
	v_cmp_ne_u16_sdwa s5, v2, v0 src0_sel:BYTE_1 src1_sel:DWORD
	s_and_saveexec_b32 s19, s5
	s_cbranch_execz .LBB214_353
; %bb.348:                              ;   in Loop: Header=BB214_15 Depth=1
	s_clause 0x1
	buffer_load_dword v5, off, s[0:3], s32 offset:192
	buffer_load_dword v6, off, s[0:3], s32 offset:196
	v_mov_b32_e32 v0, 0xffff
	s_waitcnt vmcnt(1)
	v_mov_b32_e32 v5, v93
	s_mov_b32 s20, exec_lo
	v_and_b32_sdwa v0, v0, v2 dst_sel:DWORD dst_unused:UNUSED_PAD src0_sel:DWORD src1_sel:BYTE_1
	v_and_b32_e32 v4, 0x7f, v0
	s_waitcnt vmcnt(0)
	v_mov_b32_e32 v3, v6
	buffer_store_dword v2, off, s[0:3], s32 offset:192 ; 4-byte Folded Spill
	buffer_store_dword v3, off, s[0:3], s32 offset:196 ; 4-byte Folded Spill
	;; [unrolled: 1-line block ×4, first 2 shown]
	v_cmpx_ne_u32_e32 0x7f, v4
	s_cbranch_execz .LBB214_352
; %bb.349:                              ;   in Loop: Header=BB214_15 Depth=1
	v_and_b32_e32 v92, 7, v0
	v_lshrrev_b32_e32 v3, 3, v4
	s_mov_b32 s21, exec_lo
	v_cmpx_gt_u32_e32 8, v4
; %bb.350:                              ;   in Loop: Header=BB214_15 Depth=1
	v_ffbh_u32_e32 v3, v92
	v_min_u32_e32 v3, 32, v3
	v_subrev_nc_u32_e32 v4, 28, v3
	v_sub_nc_u32_e32 v3, 29, v3
	v_lshlrev_b64 v[4:5], v4, v[92:93]
	v_and_b32_e32 v92, 7, v4
; %bb.351:                              ;   in Loop: Header=BB214_15 Depth=1
	s_or_b32 exec_lo, exec_lo, s21
	v_lshlrev_b32_e32 v4, 16, v2
	v_lshlrev_b32_e32 v0, 20, v92
	v_lshl_add_u32 v3, v3, 23, 0x3c000000
	v_and_b32_e32 v4, 0x80000000, v4
	v_or3_b32 v1, v0, v4, v3
	v_mov_b32_e32 v0, v93
	buffer_store_dword v0, off, s[0:3], s32 offset:496 ; 4-byte Folded Spill
	buffer_store_dword v1, off, s[0:3], s32 offset:500 ; 4-byte Folded Spill
.LBB214_352:                            ;   in Loop: Header=BB214_15 Depth=1
	s_or_b32 exec_lo, exec_lo, s20
.LBB214_353:                            ;   in Loop: Header=BB214_15 Depth=1
	s_or_b32 exec_lo, exec_lo, s19
.LBB214_354:                            ;   in Loop: Header=BB214_15 Depth=1
	s_or_b32 exec_lo, exec_lo, s18
	v_mov_b32_e32 v3, 0
	v_mov_b32_e32 v4, 0
	v_and_b32_sdwa v0, v2, v10 dst_sel:DWORD dst_unused:UNUSED_PAD src0_sel:WORD_1 src1_sel:DWORD
	s_mov_b32 s18, exec_lo
	buffer_store_dword v3, off, s[0:3], s32 offset:504 ; 4-byte Folded Spill
	buffer_store_dword v4, off, s[0:3], s32 offset:508 ; 4-byte Folded Spill
	v_mov_b32_e32 v3, 0
	v_mov_b32_e32 v4, 0
	buffer_store_dword v3, off, s[0:3], s32 offset:1144 ; 4-byte Folded Spill
	buffer_store_dword v4, off, s[0:3], s32 offset:1148 ; 4-byte Folded Spill
	v_cmpx_ne_u16_e32 0, v0
	s_cbranch_execz .LBB214_362
; %bb.355:                              ;   in Loop: Header=BB214_15 Depth=1
	v_cmp_ne_u16_e64 s5, 0x80, v0
	v_bfrev_b32_e32 v0, 1
	v_mov_b32_e32 v1, 0
	s_and_saveexec_b32 s19, s5
	s_cbranch_execz .LBB214_361
; %bb.356:                              ;   in Loop: Header=BB214_15 Depth=1
	v_mov_b32_e32 v0, 0x7f800001
	v_bfe_u32 v4, v2, 16, 7
	v_mov_b32_e32 v1, 0
	s_mov_b32 s20, exec_lo
	v_cmpx_ne_u32_e32 0x7f, v4
	s_cbranch_execz .LBB214_360
; %bb.357:                              ;   in Loop: Header=BB214_15 Depth=1
	v_mov_b32_e32 v0, 7
	v_lshrrev_b32_e32 v3, 3, v4
	s_mov_b32 s21, exec_lo
	v_and_b32_sdwa v92, v2, v0 dst_sel:DWORD dst_unused:UNUSED_PAD src0_sel:WORD_1 src1_sel:DWORD
	v_cmpx_gt_u32_e32 8, v4
; %bb.358:                              ;   in Loop: Header=BB214_15 Depth=1
	v_ffbh_u32_e32 v3, v92
	v_min_u32_e32 v3, 32, v3
	v_subrev_nc_u32_e32 v4, 28, v3
	v_sub_nc_u32_e32 v3, 29, v3
	v_lshlrev_b64 v[4:5], v4, v[92:93]
	v_and_b32_e32 v92, 7, v4
; %bb.359:                              ;   in Loop: Header=BB214_15 Depth=1
	s_or_b32 exec_lo, exec_lo, s21
	v_mov_b32_e32 v0, 24
	v_lshl_add_u32 v3, v3, 23, 0x3c000000
	v_lshlrev_b32_sdwa v4, v0, v2 dst_sel:DWORD dst_unused:UNUSED_PAD src0_sel:DWORD src1_sel:WORD_1
	v_lshlrev_b32_e32 v0, 20, v92
	v_and_b32_e32 v4, 0x80000000, v4
	v_or3_b32 v92, v0, v4, v3
	v_mov_b32_e32 v0, v92
	v_mov_b32_e32 v1, v93
.LBB214_360:                            ;   in Loop: Header=BB214_15 Depth=1
	s_or_b32 exec_lo, exec_lo, s20
.LBB214_361:                            ;   in Loop: Header=BB214_15 Depth=1
	s_or_b32 exec_lo, exec_lo, s19
	buffer_store_dword v0, off, s[0:3], s32 offset:1144 ; 4-byte Folded Spill
	buffer_store_dword v1, off, s[0:3], s32 offset:1148 ; 4-byte Folded Spill
.LBB214_362:                            ;   in Loop: Header=BB214_15 Depth=1
	s_or_b32 exec_lo, exec_lo, s18
	s_mov_b32 s18, exec_lo
	v_cmpx_lt_u32_e32 0xffffff, v2
	s_cbranch_execz .LBB214_370
; %bb.363:                              ;   in Loop: Header=BB214_15 Depth=1
	v_mov_b32_e32 v0, 0x80
	v_mov_b32_e32 v16, v93
	buffer_store_dword v16, off, s[0:3], s32 offset:504 ; 4-byte Folded Spill
	buffer_store_dword v17, off, s[0:3], s32 offset:508 ; 4-byte Folded Spill
	v_cmp_ne_u32_sdwa s5, v2, v0 src0_sel:BYTE_3 src1_sel:DWORD
	s_and_saveexec_b32 s19, s5
	s_cbranch_execz .LBB214_369
; %bb.364:                              ;   in Loop: Header=BB214_15 Depth=1
	s_clause 0x1
	buffer_load_dword v5, off, s[0:3], s32 offset:192
	buffer_load_dword v6, off, s[0:3], s32 offset:196
	v_bfe_u32 v4, v2, 24, 7
	s_waitcnt vmcnt(1)
	v_mov_b32_e32 v5, v93
	s_mov_b32 s20, exec_lo
	s_waitcnt vmcnt(0)
	v_mov_b32_e32 v3, v6
	buffer_store_dword v2, off, s[0:3], s32 offset:192 ; 4-byte Folded Spill
	buffer_store_dword v3, off, s[0:3], s32 offset:196 ; 4-byte Folded Spill
	;; [unrolled: 1-line block ×4, first 2 shown]
	v_cmpx_ne_u32_e32 0x7f, v4
	s_cbranch_execz .LBB214_368
; %bb.365:                              ;   in Loop: Header=BB214_15 Depth=1
	v_mov_b32_e32 v0, 7
	v_lshrrev_b32_e32 v3, 3, v4
	s_mov_b32 s21, exec_lo
	v_and_b32_sdwa v92, v2, v0 dst_sel:DWORD dst_unused:UNUSED_PAD src0_sel:BYTE_3 src1_sel:DWORD
	v_cmpx_gt_u32_e32 8, v4
; %bb.366:                              ;   in Loop: Header=BB214_15 Depth=1
	v_ffbh_u32_e32 v3, v92
	v_min_u32_e32 v3, 32, v3
	v_subrev_nc_u32_e32 v4, 28, v3
	v_sub_nc_u32_e32 v3, 29, v3
	v_lshlrev_b64 v[4:5], v4, v[92:93]
	v_and_b32_e32 v92, 7, v4
; %bb.367:                              ;   in Loop: Header=BB214_15 Depth=1
	s_or_b32 exec_lo, exec_lo, s21
	v_mov_b32_e32 v0, 24
	v_lshl_add_u32 v3, v3, 23, 0x3c000000
	v_lshlrev_b32_sdwa v2, v0, v2 dst_sel:DWORD dst_unused:UNUSED_PAD src0_sel:DWORD src1_sel:BYTE_3
	v_lshlrev_b32_e32 v0, 20, v92
	v_and_b32_e32 v2, 0x80000000, v2
	v_or3_b32 v1, v0, v2, v3
	v_mov_b32_e32 v0, v93
	buffer_store_dword v0, off, s[0:3], s32 offset:504 ; 4-byte Folded Spill
	buffer_store_dword v1, off, s[0:3], s32 offset:508 ; 4-byte Folded Spill
.LBB214_368:                            ;   in Loop: Header=BB214_15 Depth=1
	s_or_b32 exec_lo, exec_lo, s20
.LBB214_369:                            ;   in Loop: Header=BB214_15 Depth=1
	s_or_b32 exec_lo, exec_lo, s19
.LBB214_370:                            ;   in Loop: Header=BB214_15 Depth=1
	s_or_b32 exec_lo, exec_lo, s18
	flat_load_dword v2, v[74:75] offset:1036
	v_mov_b32_e32 v0, 0
	v_mov_b32_e32 v1, 0
	buffer_store_dword v0, off, s[0:3], s32 offset:520 ; 4-byte Folded Spill
	buffer_store_dword v1, off, s[0:3], s32 offset:524 ; 4-byte Folded Spill
	v_mov_b32_e32 v0, 0
	v_mov_b32_e32 v1, 0
	buffer_store_dword v0, off, s[0:3], s32 offset:512 ; 4-byte Folded Spill
	buffer_store_dword v1, off, s[0:3], s32 offset:516 ; 4-byte Folded Spill
	s_waitcnt vmcnt(0) lgkmcnt(0)
	v_cmp_ne_u16_sdwa s5, v2, v93 src0_sel:BYTE_0 src1_sel:DWORD
	s_and_saveexec_b32 s18, s5
	s_cbranch_execz .LBB214_378
; %bb.371:                              ;   in Loop: Header=BB214_15 Depth=1
	v_bfrev_b32_e32 v0, 1
	v_mov_b32_e32 v1, 0
	buffer_store_dword v0, off, s[0:3], s32 offset:512 ; 4-byte Folded Spill
	buffer_store_dword v1, off, s[0:3], s32 offset:516 ; 4-byte Folded Spill
	v_mov_b32_e32 v0, 0x80
	v_cmp_ne_u16_sdwa s5, v2, v0 src0_sel:BYTE_0 src1_sel:DWORD
	s_and_saveexec_b32 s19, s5
	s_cbranch_execz .LBB214_377
; %bb.372:                              ;   in Loop: Header=BB214_15 Depth=1
	v_mov_b32_e32 v0, 0x7f800001
	v_and_b32_e32 v4, 0x7f, v2
	v_mov_b32_e32 v1, 0
	s_mov_b32 s20, exec_lo
	buffer_store_dword v0, off, s[0:3], s32 offset:512 ; 4-byte Folded Spill
	buffer_store_dword v1, off, s[0:3], s32 offset:516 ; 4-byte Folded Spill
	v_cmpx_ne_u32_e32 0x7f, v4
	s_cbranch_execz .LBB214_376
; %bb.373:                              ;   in Loop: Header=BB214_15 Depth=1
	v_and_b32_e32 v92, 7, v2
	v_lshrrev_b32_e32 v3, 3, v4
	s_mov_b32 s21, exec_lo
	v_cmpx_gt_u32_e32 8, v4
; %bb.374:                              ;   in Loop: Header=BB214_15 Depth=1
	v_ffbh_u32_e32 v3, v92
	v_min_u32_e32 v3, 32, v3
	v_subrev_nc_u32_e32 v4, 28, v3
	v_sub_nc_u32_e32 v3, 29, v3
	v_lshlrev_b64 v[4:5], v4, v[92:93]
	v_and_b32_e32 v92, 7, v4
; %bb.375:                              ;   in Loop: Header=BB214_15 Depth=1
	s_or_b32 exec_lo, exec_lo, s21
	v_lshlrev_b32_e32 v4, 24, v2
	v_lshlrev_b32_e32 v0, 20, v92
	v_lshl_add_u32 v3, v3, 23, 0x3c000000
	v_and_b32_e32 v4, 0x80000000, v4
	v_or3_b32 v92, v0, v4, v3
	buffer_store_dword v92, off, s[0:3], s32 offset:512 ; 4-byte Folded Spill
	buffer_store_dword v93, off, s[0:3], s32 offset:516 ; 4-byte Folded Spill
.LBB214_376:                            ;   in Loop: Header=BB214_15 Depth=1
	s_or_b32 exec_lo, exec_lo, s20
.LBB214_377:                            ;   in Loop: Header=BB214_15 Depth=1
	s_or_b32 exec_lo, exec_lo, s19
.LBB214_378:                            ;   in Loop: Header=BB214_15 Depth=1
	s_or_b32 exec_lo, exec_lo, s18
	v_cmp_ne_u16_sdwa s5, v2, v93 src0_sel:BYTE_1 src1_sel:DWORD
	s_and_saveexec_b32 s18, s5
	s_cbranch_execz .LBB214_386
; %bb.379:                              ;   in Loop: Header=BB214_15 Depth=1
	v_mov_b32_e32 v0, 0x80
	v_mov_b32_e32 v16, v93
	buffer_store_dword v16, off, s[0:3], s32 offset:520 ; 4-byte Folded Spill
	buffer_store_dword v17, off, s[0:3], s32 offset:524 ; 4-byte Folded Spill
	v_cmp_ne_u16_sdwa s5, v2, v0 src0_sel:BYTE_1 src1_sel:DWORD
	s_and_saveexec_b32 s19, s5
	s_cbranch_execz .LBB214_385
; %bb.380:                              ;   in Loop: Header=BB214_15 Depth=1
	s_clause 0x1
	buffer_load_dword v5, off, s[0:3], s32 offset:192
	buffer_load_dword v6, off, s[0:3], s32 offset:196
	v_mov_b32_e32 v0, 0xffff
	s_waitcnt vmcnt(1)
	v_mov_b32_e32 v5, v93
	s_mov_b32 s20, exec_lo
	v_and_b32_sdwa v0, v0, v2 dst_sel:DWORD dst_unused:UNUSED_PAD src0_sel:DWORD src1_sel:BYTE_1
	v_and_b32_e32 v4, 0x7f, v0
	s_waitcnt vmcnt(0)
	v_mov_b32_e32 v3, v6
	buffer_store_dword v2, off, s[0:3], s32 offset:192 ; 4-byte Folded Spill
	buffer_store_dword v3, off, s[0:3], s32 offset:196 ; 4-byte Folded Spill
	;; [unrolled: 1-line block ×4, first 2 shown]
	v_cmpx_ne_u32_e32 0x7f, v4
	s_cbranch_execz .LBB214_384
; %bb.381:                              ;   in Loop: Header=BB214_15 Depth=1
	v_and_b32_e32 v92, 7, v0
	v_lshrrev_b32_e32 v3, 3, v4
	s_mov_b32 s21, exec_lo
	v_cmpx_gt_u32_e32 8, v4
; %bb.382:                              ;   in Loop: Header=BB214_15 Depth=1
	v_ffbh_u32_e32 v3, v92
	v_min_u32_e32 v3, 32, v3
	v_subrev_nc_u32_e32 v4, 28, v3
	v_sub_nc_u32_e32 v3, 29, v3
	v_lshlrev_b64 v[4:5], v4, v[92:93]
	v_and_b32_e32 v92, 7, v4
; %bb.383:                              ;   in Loop: Header=BB214_15 Depth=1
	s_or_b32 exec_lo, exec_lo, s21
	v_lshlrev_b32_e32 v4, 16, v2
	v_lshlrev_b32_e32 v0, 20, v92
	v_lshl_add_u32 v3, v3, 23, 0x3c000000
	v_and_b32_e32 v4, 0x80000000, v4
	v_or3_b32 v1, v0, v4, v3
	v_mov_b32_e32 v0, v93
	buffer_store_dword v0, off, s[0:3], s32 offset:520 ; 4-byte Folded Spill
	buffer_store_dword v1, off, s[0:3], s32 offset:524 ; 4-byte Folded Spill
.LBB214_384:                            ;   in Loop: Header=BB214_15 Depth=1
	s_or_b32 exec_lo, exec_lo, s20
.LBB214_385:                            ;   in Loop: Header=BB214_15 Depth=1
	s_or_b32 exec_lo, exec_lo, s19
.LBB214_386:                            ;   in Loop: Header=BB214_15 Depth=1
	s_or_b32 exec_lo, exec_lo, s18
	v_mov_b32_e32 v3, 0
	v_mov_b32_e32 v4, 0
	v_and_b32_sdwa v0, v2, v10 dst_sel:DWORD dst_unused:UNUSED_PAD src0_sel:WORD_1 src1_sel:DWORD
	s_mov_b32 s18, exec_lo
	buffer_store_dword v3, off, s[0:3], s32 offset:528 ; 4-byte Folded Spill
	buffer_store_dword v4, off, s[0:3], s32 offset:532 ; 4-byte Folded Spill
	v_mov_b32_e32 v3, 0
	v_mov_b32_e32 v4, 0
	buffer_store_dword v3, off, s[0:3], s32 offset:1152 ; 4-byte Folded Spill
	buffer_store_dword v4, off, s[0:3], s32 offset:1156 ; 4-byte Folded Spill
	v_cmpx_ne_u16_e32 0, v0
	s_cbranch_execz .LBB214_394
; %bb.387:                              ;   in Loop: Header=BB214_15 Depth=1
	v_cmp_ne_u16_e64 s5, 0x80, v0
	v_bfrev_b32_e32 v0, 1
	v_mov_b32_e32 v1, 0
	s_and_saveexec_b32 s19, s5
	s_cbranch_execz .LBB214_393
; %bb.388:                              ;   in Loop: Header=BB214_15 Depth=1
	v_mov_b32_e32 v0, 0x7f800001
	v_bfe_u32 v4, v2, 16, 7
	v_mov_b32_e32 v1, 0
	s_mov_b32 s20, exec_lo
	v_cmpx_ne_u32_e32 0x7f, v4
	s_cbranch_execz .LBB214_392
; %bb.389:                              ;   in Loop: Header=BB214_15 Depth=1
	v_mov_b32_e32 v0, 7
	v_lshrrev_b32_e32 v3, 3, v4
	s_mov_b32 s21, exec_lo
	v_and_b32_sdwa v92, v2, v0 dst_sel:DWORD dst_unused:UNUSED_PAD src0_sel:WORD_1 src1_sel:DWORD
	v_cmpx_gt_u32_e32 8, v4
; %bb.390:                              ;   in Loop: Header=BB214_15 Depth=1
	v_ffbh_u32_e32 v3, v92
	v_min_u32_e32 v3, 32, v3
	v_subrev_nc_u32_e32 v4, 28, v3
	v_sub_nc_u32_e32 v3, 29, v3
	v_lshlrev_b64 v[4:5], v4, v[92:93]
	v_and_b32_e32 v92, 7, v4
; %bb.391:                              ;   in Loop: Header=BB214_15 Depth=1
	s_or_b32 exec_lo, exec_lo, s21
	v_mov_b32_e32 v0, 24
	v_lshl_add_u32 v3, v3, 23, 0x3c000000
	v_lshlrev_b32_sdwa v4, v0, v2 dst_sel:DWORD dst_unused:UNUSED_PAD src0_sel:DWORD src1_sel:WORD_1
	v_lshlrev_b32_e32 v0, 20, v92
	v_and_b32_e32 v4, 0x80000000, v4
	v_or3_b32 v92, v0, v4, v3
	v_mov_b32_e32 v0, v92
	v_mov_b32_e32 v1, v93
.LBB214_392:                            ;   in Loop: Header=BB214_15 Depth=1
	s_or_b32 exec_lo, exec_lo, s20
.LBB214_393:                            ;   in Loop: Header=BB214_15 Depth=1
	s_or_b32 exec_lo, exec_lo, s19
	buffer_store_dword v0, off, s[0:3], s32 offset:1152 ; 4-byte Folded Spill
	buffer_store_dword v1, off, s[0:3], s32 offset:1156 ; 4-byte Folded Spill
.LBB214_394:                            ;   in Loop: Header=BB214_15 Depth=1
	s_or_b32 exec_lo, exec_lo, s18
	s_mov_b32 s18, exec_lo
	v_cmpx_lt_u32_e32 0xffffff, v2
	s_cbranch_execz .LBB214_402
; %bb.395:                              ;   in Loop: Header=BB214_15 Depth=1
	v_mov_b32_e32 v0, 0x80
	v_mov_b32_e32 v16, v93
	buffer_store_dword v16, off, s[0:3], s32 offset:528 ; 4-byte Folded Spill
	buffer_store_dword v17, off, s[0:3], s32 offset:532 ; 4-byte Folded Spill
	v_cmp_ne_u32_sdwa s5, v2, v0 src0_sel:BYTE_3 src1_sel:DWORD
	s_and_saveexec_b32 s19, s5
	s_cbranch_execz .LBB214_401
; %bb.396:                              ;   in Loop: Header=BB214_15 Depth=1
	s_clause 0x1
	buffer_load_dword v5, off, s[0:3], s32 offset:192
	buffer_load_dword v6, off, s[0:3], s32 offset:196
	v_bfe_u32 v4, v2, 24, 7
	s_waitcnt vmcnt(1)
	v_mov_b32_e32 v5, v93
	s_mov_b32 s20, exec_lo
	s_waitcnt vmcnt(0)
	v_mov_b32_e32 v3, v6
	buffer_store_dword v2, off, s[0:3], s32 offset:192 ; 4-byte Folded Spill
	buffer_store_dword v3, off, s[0:3], s32 offset:196 ; 4-byte Folded Spill
	;; [unrolled: 1-line block ×4, first 2 shown]
	v_cmpx_ne_u32_e32 0x7f, v4
	s_cbranch_execz .LBB214_400
; %bb.397:                              ;   in Loop: Header=BB214_15 Depth=1
	v_mov_b32_e32 v0, 7
	v_lshrrev_b32_e32 v3, 3, v4
	s_mov_b32 s21, exec_lo
	v_and_b32_sdwa v92, v2, v0 dst_sel:DWORD dst_unused:UNUSED_PAD src0_sel:BYTE_3 src1_sel:DWORD
	v_cmpx_gt_u32_e32 8, v4
; %bb.398:                              ;   in Loop: Header=BB214_15 Depth=1
	v_ffbh_u32_e32 v3, v92
	v_min_u32_e32 v3, 32, v3
	v_subrev_nc_u32_e32 v4, 28, v3
	v_sub_nc_u32_e32 v3, 29, v3
	v_lshlrev_b64 v[4:5], v4, v[92:93]
	v_and_b32_e32 v92, 7, v4
; %bb.399:                              ;   in Loop: Header=BB214_15 Depth=1
	s_or_b32 exec_lo, exec_lo, s21
	v_mov_b32_e32 v0, 24
	v_lshl_add_u32 v3, v3, 23, 0x3c000000
	v_lshlrev_b32_sdwa v2, v0, v2 dst_sel:DWORD dst_unused:UNUSED_PAD src0_sel:DWORD src1_sel:BYTE_3
	v_lshlrev_b32_e32 v0, 20, v92
	v_and_b32_e32 v2, 0x80000000, v2
	v_or3_b32 v1, v0, v2, v3
	v_mov_b32_e32 v0, v93
	buffer_store_dword v0, off, s[0:3], s32 offset:528 ; 4-byte Folded Spill
	buffer_store_dword v1, off, s[0:3], s32 offset:532 ; 4-byte Folded Spill
.LBB214_400:                            ;   in Loop: Header=BB214_15 Depth=1
	s_or_b32 exec_lo, exec_lo, s20
.LBB214_401:                            ;   in Loop: Header=BB214_15 Depth=1
	s_or_b32 exec_lo, exec_lo, s19
.LBB214_402:                            ;   in Loop: Header=BB214_15 Depth=1
	s_or_b32 exec_lo, exec_lo, s18
	flat_load_dword v2, v[74:75] offset:1536
	v_mov_b32_e32 v0, 0
	v_mov_b32_e32 v1, 0
	buffer_store_dword v0, off, s[0:3], s32 offset:544 ; 4-byte Folded Spill
	buffer_store_dword v1, off, s[0:3], s32 offset:548 ; 4-byte Folded Spill
	v_mov_b32_e32 v0, 0
	v_mov_b32_e32 v1, 0
	buffer_store_dword v0, off, s[0:3], s32 offset:536 ; 4-byte Folded Spill
	buffer_store_dword v1, off, s[0:3], s32 offset:540 ; 4-byte Folded Spill
	s_waitcnt vmcnt(0) lgkmcnt(0)
	v_cmp_ne_u16_sdwa s5, v2, v93 src0_sel:BYTE_0 src1_sel:DWORD
	s_and_saveexec_b32 s18, s5
	s_cbranch_execz .LBB214_410
; %bb.403:                              ;   in Loop: Header=BB214_15 Depth=1
	v_bfrev_b32_e32 v0, 1
	v_mov_b32_e32 v1, 0
	buffer_store_dword v0, off, s[0:3], s32 offset:536 ; 4-byte Folded Spill
	buffer_store_dword v1, off, s[0:3], s32 offset:540 ; 4-byte Folded Spill
	v_mov_b32_e32 v0, 0x80
	v_cmp_ne_u16_sdwa s5, v2, v0 src0_sel:BYTE_0 src1_sel:DWORD
	s_and_saveexec_b32 s19, s5
	s_cbranch_execz .LBB214_409
; %bb.404:                              ;   in Loop: Header=BB214_15 Depth=1
	v_mov_b32_e32 v0, 0x7f800001
	v_and_b32_e32 v4, 0x7f, v2
	v_mov_b32_e32 v1, 0
	s_mov_b32 s20, exec_lo
	buffer_store_dword v0, off, s[0:3], s32 offset:536 ; 4-byte Folded Spill
	buffer_store_dword v1, off, s[0:3], s32 offset:540 ; 4-byte Folded Spill
	v_cmpx_ne_u32_e32 0x7f, v4
	s_cbranch_execz .LBB214_408
; %bb.405:                              ;   in Loop: Header=BB214_15 Depth=1
	v_and_b32_e32 v92, 7, v2
	v_lshrrev_b32_e32 v3, 3, v4
	s_mov_b32 s21, exec_lo
	v_cmpx_gt_u32_e32 8, v4
; %bb.406:                              ;   in Loop: Header=BB214_15 Depth=1
	v_ffbh_u32_e32 v3, v92
	v_min_u32_e32 v3, 32, v3
	v_subrev_nc_u32_e32 v4, 28, v3
	v_sub_nc_u32_e32 v3, 29, v3
	v_lshlrev_b64 v[4:5], v4, v[92:93]
	v_and_b32_e32 v92, 7, v4
; %bb.407:                              ;   in Loop: Header=BB214_15 Depth=1
	s_or_b32 exec_lo, exec_lo, s21
	v_lshlrev_b32_e32 v4, 24, v2
	v_lshlrev_b32_e32 v0, 20, v92
	v_lshl_add_u32 v3, v3, 23, 0x3c000000
	v_and_b32_e32 v4, 0x80000000, v4
	v_or3_b32 v92, v0, v4, v3
	buffer_store_dword v92, off, s[0:3], s32 offset:536 ; 4-byte Folded Spill
	buffer_store_dword v93, off, s[0:3], s32 offset:540 ; 4-byte Folded Spill
.LBB214_408:                            ;   in Loop: Header=BB214_15 Depth=1
	s_or_b32 exec_lo, exec_lo, s20
.LBB214_409:                            ;   in Loop: Header=BB214_15 Depth=1
	s_or_b32 exec_lo, exec_lo, s19
.LBB214_410:                            ;   in Loop: Header=BB214_15 Depth=1
	s_or_b32 exec_lo, exec_lo, s18
	v_cmp_ne_u16_sdwa s5, v2, v93 src0_sel:BYTE_1 src1_sel:DWORD
	s_and_saveexec_b32 s18, s5
	s_cbranch_execz .LBB214_418
; %bb.411:                              ;   in Loop: Header=BB214_15 Depth=1
	v_mov_b32_e32 v0, 0x80
	v_mov_b32_e32 v16, v93
	buffer_store_dword v16, off, s[0:3], s32 offset:544 ; 4-byte Folded Spill
	buffer_store_dword v17, off, s[0:3], s32 offset:548 ; 4-byte Folded Spill
	v_cmp_ne_u16_sdwa s5, v2, v0 src0_sel:BYTE_1 src1_sel:DWORD
	s_and_saveexec_b32 s19, s5
	s_cbranch_execz .LBB214_417
; %bb.412:                              ;   in Loop: Header=BB214_15 Depth=1
	s_clause 0x1
	buffer_load_dword v5, off, s[0:3], s32 offset:192
	buffer_load_dword v6, off, s[0:3], s32 offset:196
	v_mov_b32_e32 v0, 0xffff
	s_waitcnt vmcnt(1)
	v_mov_b32_e32 v5, v93
	s_mov_b32 s20, exec_lo
	v_and_b32_sdwa v0, v0, v2 dst_sel:DWORD dst_unused:UNUSED_PAD src0_sel:DWORD src1_sel:BYTE_1
	v_and_b32_e32 v4, 0x7f, v0
	s_waitcnt vmcnt(0)
	v_mov_b32_e32 v3, v6
	buffer_store_dword v2, off, s[0:3], s32 offset:192 ; 4-byte Folded Spill
	buffer_store_dword v3, off, s[0:3], s32 offset:196 ; 4-byte Folded Spill
	;; [unrolled: 1-line block ×4, first 2 shown]
	v_cmpx_ne_u32_e32 0x7f, v4
	s_cbranch_execz .LBB214_416
; %bb.413:                              ;   in Loop: Header=BB214_15 Depth=1
	v_and_b32_e32 v92, 7, v0
	v_lshrrev_b32_e32 v3, 3, v4
	s_mov_b32 s21, exec_lo
	v_cmpx_gt_u32_e32 8, v4
; %bb.414:                              ;   in Loop: Header=BB214_15 Depth=1
	v_ffbh_u32_e32 v3, v92
	v_min_u32_e32 v3, 32, v3
	v_subrev_nc_u32_e32 v4, 28, v3
	v_sub_nc_u32_e32 v3, 29, v3
	v_lshlrev_b64 v[4:5], v4, v[92:93]
	v_and_b32_e32 v92, 7, v4
; %bb.415:                              ;   in Loop: Header=BB214_15 Depth=1
	s_or_b32 exec_lo, exec_lo, s21
	v_lshlrev_b32_e32 v4, 16, v2
	v_lshlrev_b32_e32 v0, 20, v92
	v_lshl_add_u32 v3, v3, 23, 0x3c000000
	v_and_b32_e32 v4, 0x80000000, v4
	v_or3_b32 v1, v0, v4, v3
	v_mov_b32_e32 v0, v93
	buffer_store_dword v0, off, s[0:3], s32 offset:544 ; 4-byte Folded Spill
	buffer_store_dword v1, off, s[0:3], s32 offset:548 ; 4-byte Folded Spill
.LBB214_416:                            ;   in Loop: Header=BB214_15 Depth=1
	s_or_b32 exec_lo, exec_lo, s20
.LBB214_417:                            ;   in Loop: Header=BB214_15 Depth=1
	s_or_b32 exec_lo, exec_lo, s19
.LBB214_418:                            ;   in Loop: Header=BB214_15 Depth=1
	s_or_b32 exec_lo, exec_lo, s18
	v_mov_b32_e32 v3, 0
	v_mov_b32_e32 v4, 0
	v_and_b32_sdwa v0, v2, v10 dst_sel:DWORD dst_unused:UNUSED_PAD src0_sel:WORD_1 src1_sel:DWORD
	s_mov_b32 s18, exec_lo
	buffer_store_dword v3, off, s[0:3], s32 offset:552 ; 4-byte Folded Spill
	buffer_store_dword v4, off, s[0:3], s32 offset:556 ; 4-byte Folded Spill
	v_mov_b32_e32 v3, 0
	v_mov_b32_e32 v4, 0
	buffer_store_dword v3, off, s[0:3], s32 offset:1160 ; 4-byte Folded Spill
	buffer_store_dword v4, off, s[0:3], s32 offset:1164 ; 4-byte Folded Spill
	v_cmpx_ne_u16_e32 0, v0
	s_cbranch_execz .LBB214_426
; %bb.419:                              ;   in Loop: Header=BB214_15 Depth=1
	v_cmp_ne_u16_e64 s5, 0x80, v0
	v_bfrev_b32_e32 v0, 1
	v_mov_b32_e32 v1, 0
	s_and_saveexec_b32 s19, s5
	s_cbranch_execz .LBB214_425
; %bb.420:                              ;   in Loop: Header=BB214_15 Depth=1
	v_mov_b32_e32 v0, 0x7f800001
	v_bfe_u32 v4, v2, 16, 7
	v_mov_b32_e32 v1, 0
	s_mov_b32 s20, exec_lo
	v_cmpx_ne_u32_e32 0x7f, v4
	s_cbranch_execz .LBB214_424
; %bb.421:                              ;   in Loop: Header=BB214_15 Depth=1
	v_mov_b32_e32 v0, 7
	v_lshrrev_b32_e32 v3, 3, v4
	s_mov_b32 s21, exec_lo
	v_and_b32_sdwa v92, v2, v0 dst_sel:DWORD dst_unused:UNUSED_PAD src0_sel:WORD_1 src1_sel:DWORD
	v_cmpx_gt_u32_e32 8, v4
; %bb.422:                              ;   in Loop: Header=BB214_15 Depth=1
	v_ffbh_u32_e32 v3, v92
	v_min_u32_e32 v3, 32, v3
	v_subrev_nc_u32_e32 v4, 28, v3
	v_sub_nc_u32_e32 v3, 29, v3
	v_lshlrev_b64 v[4:5], v4, v[92:93]
	v_and_b32_e32 v92, 7, v4
; %bb.423:                              ;   in Loop: Header=BB214_15 Depth=1
	s_or_b32 exec_lo, exec_lo, s21
	v_mov_b32_e32 v0, 24
	v_lshl_add_u32 v3, v3, 23, 0x3c000000
	v_lshlrev_b32_sdwa v4, v0, v2 dst_sel:DWORD dst_unused:UNUSED_PAD src0_sel:DWORD src1_sel:WORD_1
	v_lshlrev_b32_e32 v0, 20, v92
	v_and_b32_e32 v4, 0x80000000, v4
	v_or3_b32 v92, v0, v4, v3
	v_mov_b32_e32 v0, v92
	v_mov_b32_e32 v1, v93
.LBB214_424:                            ;   in Loop: Header=BB214_15 Depth=1
	s_or_b32 exec_lo, exec_lo, s20
.LBB214_425:                            ;   in Loop: Header=BB214_15 Depth=1
	s_or_b32 exec_lo, exec_lo, s19
	buffer_store_dword v0, off, s[0:3], s32 offset:1160 ; 4-byte Folded Spill
	buffer_store_dword v1, off, s[0:3], s32 offset:1164 ; 4-byte Folded Spill
.LBB214_426:                            ;   in Loop: Header=BB214_15 Depth=1
	s_or_b32 exec_lo, exec_lo, s18
	s_mov_b32 s18, exec_lo
	v_cmpx_lt_u32_e32 0xffffff, v2
	s_cbranch_execz .LBB214_434
; %bb.427:                              ;   in Loop: Header=BB214_15 Depth=1
	v_mov_b32_e32 v0, 0x80
	v_mov_b32_e32 v16, v93
	buffer_store_dword v16, off, s[0:3], s32 offset:552 ; 4-byte Folded Spill
	buffer_store_dword v17, off, s[0:3], s32 offset:556 ; 4-byte Folded Spill
	v_cmp_ne_u32_sdwa s5, v2, v0 src0_sel:BYTE_3 src1_sel:DWORD
	s_and_saveexec_b32 s19, s5
	s_cbranch_execz .LBB214_433
; %bb.428:                              ;   in Loop: Header=BB214_15 Depth=1
	s_clause 0x1
	buffer_load_dword v5, off, s[0:3], s32 offset:192
	buffer_load_dword v6, off, s[0:3], s32 offset:196
	v_bfe_u32 v4, v2, 24, 7
	s_waitcnt vmcnt(1)
	v_mov_b32_e32 v5, v93
	s_mov_b32 s20, exec_lo
	s_waitcnt vmcnt(0)
	v_mov_b32_e32 v3, v6
	buffer_store_dword v2, off, s[0:3], s32 offset:192 ; 4-byte Folded Spill
	buffer_store_dword v3, off, s[0:3], s32 offset:196 ; 4-byte Folded Spill
	;; [unrolled: 1-line block ×4, first 2 shown]
	v_cmpx_ne_u32_e32 0x7f, v4
	s_cbranch_execz .LBB214_432
; %bb.429:                              ;   in Loop: Header=BB214_15 Depth=1
	v_mov_b32_e32 v0, 7
	v_lshrrev_b32_e32 v3, 3, v4
	s_mov_b32 s21, exec_lo
	v_and_b32_sdwa v92, v2, v0 dst_sel:DWORD dst_unused:UNUSED_PAD src0_sel:BYTE_3 src1_sel:DWORD
	v_cmpx_gt_u32_e32 8, v4
; %bb.430:                              ;   in Loop: Header=BB214_15 Depth=1
	v_ffbh_u32_e32 v3, v92
	v_min_u32_e32 v3, 32, v3
	v_subrev_nc_u32_e32 v4, 28, v3
	v_sub_nc_u32_e32 v3, 29, v3
	v_lshlrev_b64 v[4:5], v4, v[92:93]
	v_and_b32_e32 v92, 7, v4
; %bb.431:                              ;   in Loop: Header=BB214_15 Depth=1
	s_or_b32 exec_lo, exec_lo, s21
	v_mov_b32_e32 v0, 24
	v_lshl_add_u32 v3, v3, 23, 0x3c000000
	v_lshlrev_b32_sdwa v2, v0, v2 dst_sel:DWORD dst_unused:UNUSED_PAD src0_sel:DWORD src1_sel:BYTE_3
	v_lshlrev_b32_e32 v0, 20, v92
	v_and_b32_e32 v2, 0x80000000, v2
	v_or3_b32 v1, v0, v2, v3
	v_mov_b32_e32 v0, v93
	buffer_store_dword v0, off, s[0:3], s32 offset:552 ; 4-byte Folded Spill
	buffer_store_dword v1, off, s[0:3], s32 offset:556 ; 4-byte Folded Spill
.LBB214_432:                            ;   in Loop: Header=BB214_15 Depth=1
	s_or_b32 exec_lo, exec_lo, s20
.LBB214_433:                            ;   in Loop: Header=BB214_15 Depth=1
	s_or_b32 exec_lo, exec_lo, s19
.LBB214_434:                            ;   in Loop: Header=BB214_15 Depth=1
	s_or_b32 exec_lo, exec_lo, s18
	flat_load_dword v2, v[74:75] offset:1540
	v_mov_b32_e32 v0, 0
	v_mov_b32_e32 v1, 0
	buffer_store_dword v0, off, s[0:3], s32 offset:568 ; 4-byte Folded Spill
	buffer_store_dword v1, off, s[0:3], s32 offset:572 ; 4-byte Folded Spill
	v_mov_b32_e32 v0, 0
	v_mov_b32_e32 v1, 0
	buffer_store_dword v0, off, s[0:3], s32 offset:560 ; 4-byte Folded Spill
	buffer_store_dword v1, off, s[0:3], s32 offset:564 ; 4-byte Folded Spill
	s_waitcnt vmcnt(0) lgkmcnt(0)
	v_cmp_ne_u16_sdwa s5, v2, v93 src0_sel:BYTE_0 src1_sel:DWORD
	s_and_saveexec_b32 s18, s5
	s_cbranch_execz .LBB214_442
; %bb.435:                              ;   in Loop: Header=BB214_15 Depth=1
	v_bfrev_b32_e32 v0, 1
	v_mov_b32_e32 v1, 0
	buffer_store_dword v0, off, s[0:3], s32 offset:560 ; 4-byte Folded Spill
	buffer_store_dword v1, off, s[0:3], s32 offset:564 ; 4-byte Folded Spill
	v_mov_b32_e32 v0, 0x80
	v_cmp_ne_u16_sdwa s5, v2, v0 src0_sel:BYTE_0 src1_sel:DWORD
	s_and_saveexec_b32 s19, s5
	s_cbranch_execz .LBB214_441
; %bb.436:                              ;   in Loop: Header=BB214_15 Depth=1
	v_mov_b32_e32 v0, 0x7f800001
	v_and_b32_e32 v4, 0x7f, v2
	v_mov_b32_e32 v1, 0
	s_mov_b32 s20, exec_lo
	buffer_store_dword v0, off, s[0:3], s32 offset:560 ; 4-byte Folded Spill
	buffer_store_dword v1, off, s[0:3], s32 offset:564 ; 4-byte Folded Spill
	v_cmpx_ne_u32_e32 0x7f, v4
	s_cbranch_execz .LBB214_440
; %bb.437:                              ;   in Loop: Header=BB214_15 Depth=1
	v_and_b32_e32 v92, 7, v2
	v_lshrrev_b32_e32 v3, 3, v4
	s_mov_b32 s21, exec_lo
	v_cmpx_gt_u32_e32 8, v4
; %bb.438:                              ;   in Loop: Header=BB214_15 Depth=1
	v_ffbh_u32_e32 v3, v92
	v_min_u32_e32 v3, 32, v3
	v_subrev_nc_u32_e32 v4, 28, v3
	v_sub_nc_u32_e32 v3, 29, v3
	v_lshlrev_b64 v[4:5], v4, v[92:93]
	v_and_b32_e32 v92, 7, v4
; %bb.439:                              ;   in Loop: Header=BB214_15 Depth=1
	s_or_b32 exec_lo, exec_lo, s21
	v_lshlrev_b32_e32 v4, 24, v2
	v_lshlrev_b32_e32 v0, 20, v92
	v_lshl_add_u32 v3, v3, 23, 0x3c000000
	v_and_b32_e32 v4, 0x80000000, v4
	v_or3_b32 v92, v0, v4, v3
	buffer_store_dword v92, off, s[0:3], s32 offset:560 ; 4-byte Folded Spill
	buffer_store_dword v93, off, s[0:3], s32 offset:564 ; 4-byte Folded Spill
.LBB214_440:                            ;   in Loop: Header=BB214_15 Depth=1
	s_or_b32 exec_lo, exec_lo, s20
.LBB214_441:                            ;   in Loop: Header=BB214_15 Depth=1
	s_or_b32 exec_lo, exec_lo, s19
.LBB214_442:                            ;   in Loop: Header=BB214_15 Depth=1
	s_or_b32 exec_lo, exec_lo, s18
	v_cmp_ne_u16_sdwa s5, v2, v93 src0_sel:BYTE_1 src1_sel:DWORD
	s_and_saveexec_b32 s18, s5
	s_cbranch_execz .LBB214_450
; %bb.443:                              ;   in Loop: Header=BB214_15 Depth=1
	v_mov_b32_e32 v0, 0x80
	v_mov_b32_e32 v16, v93
	buffer_store_dword v16, off, s[0:3], s32 offset:568 ; 4-byte Folded Spill
	buffer_store_dword v17, off, s[0:3], s32 offset:572 ; 4-byte Folded Spill
	v_cmp_ne_u16_sdwa s5, v2, v0 src0_sel:BYTE_1 src1_sel:DWORD
	s_and_saveexec_b32 s19, s5
	s_cbranch_execz .LBB214_449
; %bb.444:                              ;   in Loop: Header=BB214_15 Depth=1
	s_clause 0x1
	buffer_load_dword v5, off, s[0:3], s32 offset:192
	buffer_load_dword v6, off, s[0:3], s32 offset:196
	v_mov_b32_e32 v0, 0xffff
	s_waitcnt vmcnt(1)
	v_mov_b32_e32 v5, v93
	s_mov_b32 s20, exec_lo
	v_and_b32_sdwa v0, v0, v2 dst_sel:DWORD dst_unused:UNUSED_PAD src0_sel:DWORD src1_sel:BYTE_1
	v_and_b32_e32 v4, 0x7f, v0
	s_waitcnt vmcnt(0)
	v_mov_b32_e32 v3, v6
	buffer_store_dword v2, off, s[0:3], s32 offset:192 ; 4-byte Folded Spill
	buffer_store_dword v3, off, s[0:3], s32 offset:196 ; 4-byte Folded Spill
	;; [unrolled: 1-line block ×4, first 2 shown]
	v_cmpx_ne_u32_e32 0x7f, v4
	s_cbranch_execz .LBB214_448
; %bb.445:                              ;   in Loop: Header=BB214_15 Depth=1
	v_and_b32_e32 v92, 7, v0
	v_lshrrev_b32_e32 v3, 3, v4
	s_mov_b32 s21, exec_lo
	v_cmpx_gt_u32_e32 8, v4
; %bb.446:                              ;   in Loop: Header=BB214_15 Depth=1
	v_ffbh_u32_e32 v3, v92
	v_min_u32_e32 v3, 32, v3
	v_subrev_nc_u32_e32 v4, 28, v3
	v_sub_nc_u32_e32 v3, 29, v3
	v_lshlrev_b64 v[4:5], v4, v[92:93]
	v_and_b32_e32 v92, 7, v4
; %bb.447:                              ;   in Loop: Header=BB214_15 Depth=1
	s_or_b32 exec_lo, exec_lo, s21
	v_lshlrev_b32_e32 v4, 16, v2
	v_lshlrev_b32_e32 v0, 20, v92
	v_lshl_add_u32 v3, v3, 23, 0x3c000000
	v_and_b32_e32 v4, 0x80000000, v4
	v_or3_b32 v1, v0, v4, v3
	v_mov_b32_e32 v0, v93
	buffer_store_dword v0, off, s[0:3], s32 offset:568 ; 4-byte Folded Spill
	buffer_store_dword v1, off, s[0:3], s32 offset:572 ; 4-byte Folded Spill
.LBB214_448:                            ;   in Loop: Header=BB214_15 Depth=1
	s_or_b32 exec_lo, exec_lo, s20
.LBB214_449:                            ;   in Loop: Header=BB214_15 Depth=1
	s_or_b32 exec_lo, exec_lo, s19
.LBB214_450:                            ;   in Loop: Header=BB214_15 Depth=1
	s_or_b32 exec_lo, exec_lo, s18
	v_mov_b32_e32 v3, 0
	v_mov_b32_e32 v4, 0
	v_and_b32_sdwa v0, v2, v10 dst_sel:DWORD dst_unused:UNUSED_PAD src0_sel:WORD_1 src1_sel:DWORD
	s_mov_b32 s18, exec_lo
	buffer_store_dword v3, off, s[0:3], s32 offset:576 ; 4-byte Folded Spill
	buffer_store_dword v4, off, s[0:3], s32 offset:580 ; 4-byte Folded Spill
	v_mov_b32_e32 v3, 0
	v_mov_b32_e32 v4, 0
	buffer_store_dword v3, off, s[0:3], s32 offset:1168 ; 4-byte Folded Spill
	buffer_store_dword v4, off, s[0:3], s32 offset:1172 ; 4-byte Folded Spill
	v_cmpx_ne_u16_e32 0, v0
	s_cbranch_execz .LBB214_458
; %bb.451:                              ;   in Loop: Header=BB214_15 Depth=1
	v_cmp_ne_u16_e64 s5, 0x80, v0
	v_bfrev_b32_e32 v0, 1
	v_mov_b32_e32 v1, 0
	s_and_saveexec_b32 s19, s5
	s_cbranch_execz .LBB214_457
; %bb.452:                              ;   in Loop: Header=BB214_15 Depth=1
	v_mov_b32_e32 v0, 0x7f800001
	v_bfe_u32 v4, v2, 16, 7
	v_mov_b32_e32 v1, 0
	s_mov_b32 s20, exec_lo
	v_cmpx_ne_u32_e32 0x7f, v4
	s_cbranch_execz .LBB214_456
; %bb.453:                              ;   in Loop: Header=BB214_15 Depth=1
	v_mov_b32_e32 v0, 7
	v_lshrrev_b32_e32 v3, 3, v4
	s_mov_b32 s21, exec_lo
	v_and_b32_sdwa v92, v2, v0 dst_sel:DWORD dst_unused:UNUSED_PAD src0_sel:WORD_1 src1_sel:DWORD
	v_cmpx_gt_u32_e32 8, v4
; %bb.454:                              ;   in Loop: Header=BB214_15 Depth=1
	v_ffbh_u32_e32 v3, v92
	v_min_u32_e32 v3, 32, v3
	v_subrev_nc_u32_e32 v4, 28, v3
	v_sub_nc_u32_e32 v3, 29, v3
	v_lshlrev_b64 v[4:5], v4, v[92:93]
	v_and_b32_e32 v92, 7, v4
; %bb.455:                              ;   in Loop: Header=BB214_15 Depth=1
	s_or_b32 exec_lo, exec_lo, s21
	v_mov_b32_e32 v0, 24
	v_lshl_add_u32 v3, v3, 23, 0x3c000000
	v_lshlrev_b32_sdwa v4, v0, v2 dst_sel:DWORD dst_unused:UNUSED_PAD src0_sel:DWORD src1_sel:WORD_1
	v_lshlrev_b32_e32 v0, 20, v92
	v_and_b32_e32 v4, 0x80000000, v4
	v_or3_b32 v92, v0, v4, v3
	v_mov_b32_e32 v0, v92
	v_mov_b32_e32 v1, v93
.LBB214_456:                            ;   in Loop: Header=BB214_15 Depth=1
	s_or_b32 exec_lo, exec_lo, s20
.LBB214_457:                            ;   in Loop: Header=BB214_15 Depth=1
	s_or_b32 exec_lo, exec_lo, s19
	buffer_store_dword v0, off, s[0:3], s32 offset:1168 ; 4-byte Folded Spill
	buffer_store_dword v1, off, s[0:3], s32 offset:1172 ; 4-byte Folded Spill
.LBB214_458:                            ;   in Loop: Header=BB214_15 Depth=1
	s_or_b32 exec_lo, exec_lo, s18
	s_mov_b32 s18, exec_lo
	v_cmpx_lt_u32_e32 0xffffff, v2
	s_cbranch_execz .LBB214_466
; %bb.459:                              ;   in Loop: Header=BB214_15 Depth=1
	v_mov_b32_e32 v0, 0x80
	v_mov_b32_e32 v16, v93
	buffer_store_dword v16, off, s[0:3], s32 offset:576 ; 4-byte Folded Spill
	buffer_store_dword v17, off, s[0:3], s32 offset:580 ; 4-byte Folded Spill
	v_cmp_ne_u32_sdwa s5, v2, v0 src0_sel:BYTE_3 src1_sel:DWORD
	s_and_saveexec_b32 s19, s5
	s_cbranch_execz .LBB214_465
; %bb.460:                              ;   in Loop: Header=BB214_15 Depth=1
	s_clause 0x1
	buffer_load_dword v5, off, s[0:3], s32 offset:192
	buffer_load_dword v6, off, s[0:3], s32 offset:196
	v_bfe_u32 v4, v2, 24, 7
	s_waitcnt vmcnt(1)
	v_mov_b32_e32 v5, v93
	s_mov_b32 s20, exec_lo
	s_waitcnt vmcnt(0)
	v_mov_b32_e32 v3, v6
	buffer_store_dword v2, off, s[0:3], s32 offset:192 ; 4-byte Folded Spill
	buffer_store_dword v3, off, s[0:3], s32 offset:196 ; 4-byte Folded Spill
	;; [unrolled: 1-line block ×4, first 2 shown]
	v_cmpx_ne_u32_e32 0x7f, v4
	s_cbranch_execz .LBB214_464
; %bb.461:                              ;   in Loop: Header=BB214_15 Depth=1
	v_mov_b32_e32 v0, 7
	v_lshrrev_b32_e32 v3, 3, v4
	s_mov_b32 s21, exec_lo
	v_and_b32_sdwa v92, v2, v0 dst_sel:DWORD dst_unused:UNUSED_PAD src0_sel:BYTE_3 src1_sel:DWORD
	v_cmpx_gt_u32_e32 8, v4
; %bb.462:                              ;   in Loop: Header=BB214_15 Depth=1
	v_ffbh_u32_e32 v3, v92
	v_min_u32_e32 v3, 32, v3
	v_subrev_nc_u32_e32 v4, 28, v3
	v_sub_nc_u32_e32 v3, 29, v3
	v_lshlrev_b64 v[4:5], v4, v[92:93]
	v_and_b32_e32 v92, 7, v4
; %bb.463:                              ;   in Loop: Header=BB214_15 Depth=1
	s_or_b32 exec_lo, exec_lo, s21
	v_mov_b32_e32 v0, 24
	v_lshl_add_u32 v3, v3, 23, 0x3c000000
	v_lshlrev_b32_sdwa v2, v0, v2 dst_sel:DWORD dst_unused:UNUSED_PAD src0_sel:DWORD src1_sel:BYTE_3
	v_lshlrev_b32_e32 v0, 20, v92
	v_and_b32_e32 v2, 0x80000000, v2
	v_or3_b32 v1, v0, v2, v3
	v_mov_b32_e32 v0, v93
	buffer_store_dword v0, off, s[0:3], s32 offset:576 ; 4-byte Folded Spill
	buffer_store_dword v1, off, s[0:3], s32 offset:580 ; 4-byte Folded Spill
.LBB214_464:                            ;   in Loop: Header=BB214_15 Depth=1
	s_or_b32 exec_lo, exec_lo, s20
.LBB214_465:                            ;   in Loop: Header=BB214_15 Depth=1
	s_or_b32 exec_lo, exec_lo, s19
.LBB214_466:                            ;   in Loop: Header=BB214_15 Depth=1
	s_or_b32 exec_lo, exec_lo, s18
	flat_load_dword v2, v[74:75] offset:1544
	v_mov_b32_e32 v0, 0
	v_mov_b32_e32 v1, 0
	buffer_store_dword v0, off, s[0:3], s32 offset:592 ; 4-byte Folded Spill
	buffer_store_dword v1, off, s[0:3], s32 offset:596 ; 4-byte Folded Spill
	v_mov_b32_e32 v0, 0
	v_mov_b32_e32 v1, 0
	buffer_store_dword v0, off, s[0:3], s32 offset:584 ; 4-byte Folded Spill
	buffer_store_dword v1, off, s[0:3], s32 offset:588 ; 4-byte Folded Spill
	s_waitcnt vmcnt(0) lgkmcnt(0)
	v_cmp_ne_u16_sdwa s5, v2, v93 src0_sel:BYTE_0 src1_sel:DWORD
	s_and_saveexec_b32 s18, s5
	s_cbranch_execz .LBB214_474
; %bb.467:                              ;   in Loop: Header=BB214_15 Depth=1
	v_bfrev_b32_e32 v0, 1
	v_mov_b32_e32 v1, 0
	buffer_store_dword v0, off, s[0:3], s32 offset:584 ; 4-byte Folded Spill
	buffer_store_dword v1, off, s[0:3], s32 offset:588 ; 4-byte Folded Spill
	v_mov_b32_e32 v0, 0x80
	v_cmp_ne_u16_sdwa s5, v2, v0 src0_sel:BYTE_0 src1_sel:DWORD
	s_and_saveexec_b32 s19, s5
	s_cbranch_execz .LBB214_473
; %bb.468:                              ;   in Loop: Header=BB214_15 Depth=1
	v_mov_b32_e32 v0, 0x7f800001
	v_and_b32_e32 v4, 0x7f, v2
	v_mov_b32_e32 v1, 0
	s_mov_b32 s20, exec_lo
	buffer_store_dword v0, off, s[0:3], s32 offset:584 ; 4-byte Folded Spill
	buffer_store_dword v1, off, s[0:3], s32 offset:588 ; 4-byte Folded Spill
	v_cmpx_ne_u32_e32 0x7f, v4
	s_cbranch_execz .LBB214_472
; %bb.469:                              ;   in Loop: Header=BB214_15 Depth=1
	v_and_b32_e32 v92, 7, v2
	v_lshrrev_b32_e32 v3, 3, v4
	s_mov_b32 s21, exec_lo
	v_cmpx_gt_u32_e32 8, v4
; %bb.470:                              ;   in Loop: Header=BB214_15 Depth=1
	v_ffbh_u32_e32 v3, v92
	v_min_u32_e32 v3, 32, v3
	v_subrev_nc_u32_e32 v4, 28, v3
	v_sub_nc_u32_e32 v3, 29, v3
	v_lshlrev_b64 v[4:5], v4, v[92:93]
	v_and_b32_e32 v92, 7, v4
; %bb.471:                              ;   in Loop: Header=BB214_15 Depth=1
	s_or_b32 exec_lo, exec_lo, s21
	v_lshlrev_b32_e32 v4, 24, v2
	v_lshlrev_b32_e32 v0, 20, v92
	v_lshl_add_u32 v3, v3, 23, 0x3c000000
	v_and_b32_e32 v4, 0x80000000, v4
	v_or3_b32 v92, v0, v4, v3
	buffer_store_dword v92, off, s[0:3], s32 offset:584 ; 4-byte Folded Spill
	buffer_store_dword v93, off, s[0:3], s32 offset:588 ; 4-byte Folded Spill
.LBB214_472:                            ;   in Loop: Header=BB214_15 Depth=1
	s_or_b32 exec_lo, exec_lo, s20
.LBB214_473:                            ;   in Loop: Header=BB214_15 Depth=1
	s_or_b32 exec_lo, exec_lo, s19
.LBB214_474:                            ;   in Loop: Header=BB214_15 Depth=1
	s_or_b32 exec_lo, exec_lo, s18
	v_cmp_ne_u16_sdwa s5, v2, v93 src0_sel:BYTE_1 src1_sel:DWORD
	s_and_saveexec_b32 s18, s5
	s_cbranch_execz .LBB214_482
; %bb.475:                              ;   in Loop: Header=BB214_15 Depth=1
	v_mov_b32_e32 v0, 0x80
	v_mov_b32_e32 v16, v93
	buffer_store_dword v16, off, s[0:3], s32 offset:592 ; 4-byte Folded Spill
	buffer_store_dword v17, off, s[0:3], s32 offset:596 ; 4-byte Folded Spill
	v_cmp_ne_u16_sdwa s5, v2, v0 src0_sel:BYTE_1 src1_sel:DWORD
	s_and_saveexec_b32 s19, s5
	s_cbranch_execz .LBB214_481
; %bb.476:                              ;   in Loop: Header=BB214_15 Depth=1
	s_clause 0x1
	buffer_load_dword v5, off, s[0:3], s32 offset:192
	buffer_load_dword v6, off, s[0:3], s32 offset:196
	v_mov_b32_e32 v0, 0xffff
	s_waitcnt vmcnt(1)
	v_mov_b32_e32 v5, v93
	s_mov_b32 s20, exec_lo
	v_and_b32_sdwa v0, v0, v2 dst_sel:DWORD dst_unused:UNUSED_PAD src0_sel:DWORD src1_sel:BYTE_1
	v_and_b32_e32 v4, 0x7f, v0
	s_waitcnt vmcnt(0)
	v_mov_b32_e32 v3, v6
	buffer_store_dword v2, off, s[0:3], s32 offset:192 ; 4-byte Folded Spill
	buffer_store_dword v3, off, s[0:3], s32 offset:196 ; 4-byte Folded Spill
	buffer_store_dword v5, off, s[0:3], s32 offset:592 ; 4-byte Folded Spill
	buffer_store_dword v6, off, s[0:3], s32 offset:596 ; 4-byte Folded Spill
	v_cmpx_ne_u32_e32 0x7f, v4
	s_cbranch_execz .LBB214_480
; %bb.477:                              ;   in Loop: Header=BB214_15 Depth=1
	v_and_b32_e32 v92, 7, v0
	v_lshrrev_b32_e32 v3, 3, v4
	s_mov_b32 s21, exec_lo
	v_cmpx_gt_u32_e32 8, v4
; %bb.478:                              ;   in Loop: Header=BB214_15 Depth=1
	v_ffbh_u32_e32 v3, v92
	v_min_u32_e32 v3, 32, v3
	v_subrev_nc_u32_e32 v4, 28, v3
	v_sub_nc_u32_e32 v3, 29, v3
	v_lshlrev_b64 v[4:5], v4, v[92:93]
	v_and_b32_e32 v92, 7, v4
; %bb.479:                              ;   in Loop: Header=BB214_15 Depth=1
	s_or_b32 exec_lo, exec_lo, s21
	v_lshlrev_b32_e32 v4, 16, v2
	v_lshlrev_b32_e32 v0, 20, v92
	v_lshl_add_u32 v3, v3, 23, 0x3c000000
	v_and_b32_e32 v4, 0x80000000, v4
	v_or3_b32 v1, v0, v4, v3
	v_mov_b32_e32 v0, v93
	buffer_store_dword v0, off, s[0:3], s32 offset:592 ; 4-byte Folded Spill
	buffer_store_dword v1, off, s[0:3], s32 offset:596 ; 4-byte Folded Spill
.LBB214_480:                            ;   in Loop: Header=BB214_15 Depth=1
	s_or_b32 exec_lo, exec_lo, s20
.LBB214_481:                            ;   in Loop: Header=BB214_15 Depth=1
	s_or_b32 exec_lo, exec_lo, s19
.LBB214_482:                            ;   in Loop: Header=BB214_15 Depth=1
	s_or_b32 exec_lo, exec_lo, s18
	v_mov_b32_e32 v3, 0
	v_mov_b32_e32 v4, 0
	v_and_b32_sdwa v0, v2, v10 dst_sel:DWORD dst_unused:UNUSED_PAD src0_sel:WORD_1 src1_sel:DWORD
	s_mov_b32 s18, exec_lo
	buffer_store_dword v3, off, s[0:3], s32 offset:600 ; 4-byte Folded Spill
	buffer_store_dword v4, off, s[0:3], s32 offset:604 ; 4-byte Folded Spill
	v_mov_b32_e32 v3, 0
	v_mov_b32_e32 v4, 0
	buffer_store_dword v3, off, s[0:3], s32 offset:1176 ; 4-byte Folded Spill
	buffer_store_dword v4, off, s[0:3], s32 offset:1180 ; 4-byte Folded Spill
	v_cmpx_ne_u16_e32 0, v0
	s_cbranch_execz .LBB214_490
; %bb.483:                              ;   in Loop: Header=BB214_15 Depth=1
	v_cmp_ne_u16_e64 s5, 0x80, v0
	v_bfrev_b32_e32 v0, 1
	v_mov_b32_e32 v1, 0
	s_and_saveexec_b32 s19, s5
	s_cbranch_execz .LBB214_489
; %bb.484:                              ;   in Loop: Header=BB214_15 Depth=1
	v_mov_b32_e32 v0, 0x7f800001
	v_bfe_u32 v4, v2, 16, 7
	v_mov_b32_e32 v1, 0
	s_mov_b32 s20, exec_lo
	v_cmpx_ne_u32_e32 0x7f, v4
	s_cbranch_execz .LBB214_488
; %bb.485:                              ;   in Loop: Header=BB214_15 Depth=1
	v_mov_b32_e32 v0, 7
	v_lshrrev_b32_e32 v3, 3, v4
	s_mov_b32 s21, exec_lo
	v_and_b32_sdwa v92, v2, v0 dst_sel:DWORD dst_unused:UNUSED_PAD src0_sel:WORD_1 src1_sel:DWORD
	v_cmpx_gt_u32_e32 8, v4
; %bb.486:                              ;   in Loop: Header=BB214_15 Depth=1
	v_ffbh_u32_e32 v3, v92
	v_min_u32_e32 v3, 32, v3
	v_subrev_nc_u32_e32 v4, 28, v3
	v_sub_nc_u32_e32 v3, 29, v3
	v_lshlrev_b64 v[4:5], v4, v[92:93]
	v_and_b32_e32 v92, 7, v4
; %bb.487:                              ;   in Loop: Header=BB214_15 Depth=1
	s_or_b32 exec_lo, exec_lo, s21
	v_mov_b32_e32 v0, 24
	v_lshl_add_u32 v3, v3, 23, 0x3c000000
	v_lshlrev_b32_sdwa v4, v0, v2 dst_sel:DWORD dst_unused:UNUSED_PAD src0_sel:DWORD src1_sel:WORD_1
	v_lshlrev_b32_e32 v0, 20, v92
	v_and_b32_e32 v4, 0x80000000, v4
	v_or3_b32 v92, v0, v4, v3
	v_mov_b32_e32 v0, v92
	v_mov_b32_e32 v1, v93
.LBB214_488:                            ;   in Loop: Header=BB214_15 Depth=1
	s_or_b32 exec_lo, exec_lo, s20
.LBB214_489:                            ;   in Loop: Header=BB214_15 Depth=1
	s_or_b32 exec_lo, exec_lo, s19
	buffer_store_dword v0, off, s[0:3], s32 offset:1176 ; 4-byte Folded Spill
	buffer_store_dword v1, off, s[0:3], s32 offset:1180 ; 4-byte Folded Spill
.LBB214_490:                            ;   in Loop: Header=BB214_15 Depth=1
	s_or_b32 exec_lo, exec_lo, s18
	s_mov_b32 s18, exec_lo
	v_cmpx_lt_u32_e32 0xffffff, v2
	s_cbranch_execz .LBB214_498
; %bb.491:                              ;   in Loop: Header=BB214_15 Depth=1
	v_mov_b32_e32 v0, 0x80
	v_mov_b32_e32 v16, v93
	buffer_store_dword v16, off, s[0:3], s32 offset:600 ; 4-byte Folded Spill
	buffer_store_dword v17, off, s[0:3], s32 offset:604 ; 4-byte Folded Spill
	v_cmp_ne_u32_sdwa s5, v2, v0 src0_sel:BYTE_3 src1_sel:DWORD
	s_and_saveexec_b32 s19, s5
	s_cbranch_execz .LBB214_497
; %bb.492:                              ;   in Loop: Header=BB214_15 Depth=1
	s_clause 0x1
	buffer_load_dword v5, off, s[0:3], s32 offset:192
	buffer_load_dword v6, off, s[0:3], s32 offset:196
	v_bfe_u32 v4, v2, 24, 7
	s_waitcnt vmcnt(1)
	v_mov_b32_e32 v5, v93
	s_mov_b32 s20, exec_lo
	s_waitcnt vmcnt(0)
	v_mov_b32_e32 v3, v6
	buffer_store_dword v2, off, s[0:3], s32 offset:192 ; 4-byte Folded Spill
	buffer_store_dword v3, off, s[0:3], s32 offset:196 ; 4-byte Folded Spill
	;; [unrolled: 1-line block ×4, first 2 shown]
	v_cmpx_ne_u32_e32 0x7f, v4
	s_cbranch_execz .LBB214_496
; %bb.493:                              ;   in Loop: Header=BB214_15 Depth=1
	v_mov_b32_e32 v0, 7
	v_lshrrev_b32_e32 v3, 3, v4
	s_mov_b32 s21, exec_lo
	v_and_b32_sdwa v92, v2, v0 dst_sel:DWORD dst_unused:UNUSED_PAD src0_sel:BYTE_3 src1_sel:DWORD
	v_cmpx_gt_u32_e32 8, v4
; %bb.494:                              ;   in Loop: Header=BB214_15 Depth=1
	v_ffbh_u32_e32 v3, v92
	v_min_u32_e32 v3, 32, v3
	v_subrev_nc_u32_e32 v4, 28, v3
	v_sub_nc_u32_e32 v3, 29, v3
	v_lshlrev_b64 v[4:5], v4, v[92:93]
	v_and_b32_e32 v92, 7, v4
; %bb.495:                              ;   in Loop: Header=BB214_15 Depth=1
	s_or_b32 exec_lo, exec_lo, s21
	v_mov_b32_e32 v0, 24
	v_lshl_add_u32 v3, v3, 23, 0x3c000000
	v_lshlrev_b32_sdwa v2, v0, v2 dst_sel:DWORD dst_unused:UNUSED_PAD src0_sel:DWORD src1_sel:BYTE_3
	v_lshlrev_b32_e32 v0, 20, v92
	v_and_b32_e32 v2, 0x80000000, v2
	v_or3_b32 v1, v0, v2, v3
	v_mov_b32_e32 v0, v93
	buffer_store_dword v0, off, s[0:3], s32 offset:600 ; 4-byte Folded Spill
	buffer_store_dword v1, off, s[0:3], s32 offset:604 ; 4-byte Folded Spill
.LBB214_496:                            ;   in Loop: Header=BB214_15 Depth=1
	s_or_b32 exec_lo, exec_lo, s20
.LBB214_497:                            ;   in Loop: Header=BB214_15 Depth=1
	s_or_b32 exec_lo, exec_lo, s19
.LBB214_498:                            ;   in Loop: Header=BB214_15 Depth=1
	s_or_b32 exec_lo, exec_lo, s18
	flat_load_dword v2, v[74:75] offset:1548
	v_mov_b32_e32 v0, 0
	v_mov_b32_e32 v1, 0
	buffer_store_dword v0, off, s[0:3], s32 offset:616 ; 4-byte Folded Spill
	buffer_store_dword v1, off, s[0:3], s32 offset:620 ; 4-byte Folded Spill
	v_mov_b32_e32 v0, 0
	v_mov_b32_e32 v1, 0
	buffer_store_dword v0, off, s[0:3], s32 offset:608 ; 4-byte Folded Spill
	buffer_store_dword v1, off, s[0:3], s32 offset:612 ; 4-byte Folded Spill
	s_waitcnt vmcnt(0) lgkmcnt(0)
	v_cmp_ne_u16_sdwa s5, v2, v93 src0_sel:BYTE_0 src1_sel:DWORD
	s_and_saveexec_b32 s18, s5
	s_cbranch_execz .LBB214_506
; %bb.499:                              ;   in Loop: Header=BB214_15 Depth=1
	v_bfrev_b32_e32 v0, 1
	v_mov_b32_e32 v1, 0
	buffer_store_dword v0, off, s[0:3], s32 offset:608 ; 4-byte Folded Spill
	buffer_store_dword v1, off, s[0:3], s32 offset:612 ; 4-byte Folded Spill
	v_mov_b32_e32 v0, 0x80
	v_cmp_ne_u16_sdwa s5, v2, v0 src0_sel:BYTE_0 src1_sel:DWORD
	s_and_saveexec_b32 s19, s5
	s_cbranch_execz .LBB214_505
; %bb.500:                              ;   in Loop: Header=BB214_15 Depth=1
	v_mov_b32_e32 v0, 0x7f800001
	v_and_b32_e32 v4, 0x7f, v2
	v_mov_b32_e32 v1, 0
	s_mov_b32 s20, exec_lo
	buffer_store_dword v0, off, s[0:3], s32 offset:608 ; 4-byte Folded Spill
	buffer_store_dword v1, off, s[0:3], s32 offset:612 ; 4-byte Folded Spill
	v_cmpx_ne_u32_e32 0x7f, v4
	s_cbranch_execz .LBB214_504
; %bb.501:                              ;   in Loop: Header=BB214_15 Depth=1
	v_and_b32_e32 v92, 7, v2
	v_lshrrev_b32_e32 v3, 3, v4
	s_mov_b32 s21, exec_lo
	v_cmpx_gt_u32_e32 8, v4
; %bb.502:                              ;   in Loop: Header=BB214_15 Depth=1
	v_ffbh_u32_e32 v3, v92
	v_min_u32_e32 v3, 32, v3
	v_subrev_nc_u32_e32 v4, 28, v3
	v_sub_nc_u32_e32 v3, 29, v3
	v_lshlrev_b64 v[4:5], v4, v[92:93]
	v_and_b32_e32 v92, 7, v4
; %bb.503:                              ;   in Loop: Header=BB214_15 Depth=1
	s_or_b32 exec_lo, exec_lo, s21
	v_lshlrev_b32_e32 v4, 24, v2
	v_lshlrev_b32_e32 v0, 20, v92
	v_lshl_add_u32 v3, v3, 23, 0x3c000000
	v_and_b32_e32 v4, 0x80000000, v4
	v_or3_b32 v92, v0, v4, v3
	buffer_store_dword v92, off, s[0:3], s32 offset:608 ; 4-byte Folded Spill
	buffer_store_dword v93, off, s[0:3], s32 offset:612 ; 4-byte Folded Spill
.LBB214_504:                            ;   in Loop: Header=BB214_15 Depth=1
	s_or_b32 exec_lo, exec_lo, s20
.LBB214_505:                            ;   in Loop: Header=BB214_15 Depth=1
	s_or_b32 exec_lo, exec_lo, s19
.LBB214_506:                            ;   in Loop: Header=BB214_15 Depth=1
	s_or_b32 exec_lo, exec_lo, s18
	v_cmp_ne_u16_sdwa s5, v2, v93 src0_sel:BYTE_1 src1_sel:DWORD
	s_and_saveexec_b32 s18, s5
	s_cbranch_execz .LBB214_514
; %bb.507:                              ;   in Loop: Header=BB214_15 Depth=1
	v_mov_b32_e32 v0, 0x80
	v_mov_b32_e32 v16, v93
	buffer_store_dword v16, off, s[0:3], s32 offset:616 ; 4-byte Folded Spill
	buffer_store_dword v17, off, s[0:3], s32 offset:620 ; 4-byte Folded Spill
	v_cmp_ne_u16_sdwa s5, v2, v0 src0_sel:BYTE_1 src1_sel:DWORD
	s_and_saveexec_b32 s19, s5
	s_cbranch_execz .LBB214_513
; %bb.508:                              ;   in Loop: Header=BB214_15 Depth=1
	s_clause 0x1
	buffer_load_dword v5, off, s[0:3], s32 offset:192
	buffer_load_dword v6, off, s[0:3], s32 offset:196
	v_mov_b32_e32 v0, 0xffff
	s_waitcnt vmcnt(1)
	v_mov_b32_e32 v5, v93
	s_mov_b32 s20, exec_lo
	v_and_b32_sdwa v0, v0, v2 dst_sel:DWORD dst_unused:UNUSED_PAD src0_sel:DWORD src1_sel:BYTE_1
	v_and_b32_e32 v4, 0x7f, v0
	s_waitcnt vmcnt(0)
	v_mov_b32_e32 v3, v6
	buffer_store_dword v2, off, s[0:3], s32 offset:192 ; 4-byte Folded Spill
	buffer_store_dword v3, off, s[0:3], s32 offset:196 ; 4-byte Folded Spill
	;; [unrolled: 1-line block ×4, first 2 shown]
	v_cmpx_ne_u32_e32 0x7f, v4
	s_cbranch_execz .LBB214_512
; %bb.509:                              ;   in Loop: Header=BB214_15 Depth=1
	v_and_b32_e32 v92, 7, v0
	v_lshrrev_b32_e32 v3, 3, v4
	s_mov_b32 s21, exec_lo
	v_cmpx_gt_u32_e32 8, v4
; %bb.510:                              ;   in Loop: Header=BB214_15 Depth=1
	v_ffbh_u32_e32 v3, v92
	v_min_u32_e32 v3, 32, v3
	v_subrev_nc_u32_e32 v4, 28, v3
	v_sub_nc_u32_e32 v3, 29, v3
	v_lshlrev_b64 v[4:5], v4, v[92:93]
	v_and_b32_e32 v92, 7, v4
; %bb.511:                              ;   in Loop: Header=BB214_15 Depth=1
	s_or_b32 exec_lo, exec_lo, s21
	v_lshlrev_b32_e32 v4, 16, v2
	v_lshlrev_b32_e32 v0, 20, v92
	v_lshl_add_u32 v3, v3, 23, 0x3c000000
	v_and_b32_e32 v4, 0x80000000, v4
	v_or3_b32 v1, v0, v4, v3
	v_mov_b32_e32 v0, v93
	buffer_store_dword v0, off, s[0:3], s32 offset:616 ; 4-byte Folded Spill
	buffer_store_dword v1, off, s[0:3], s32 offset:620 ; 4-byte Folded Spill
.LBB214_512:                            ;   in Loop: Header=BB214_15 Depth=1
	s_or_b32 exec_lo, exec_lo, s20
.LBB214_513:                            ;   in Loop: Header=BB214_15 Depth=1
	s_or_b32 exec_lo, exec_lo, s19
.LBB214_514:                            ;   in Loop: Header=BB214_15 Depth=1
	s_or_b32 exec_lo, exec_lo, s18
	v_mov_b32_e32 v3, 0
	v_mov_b32_e32 v4, 0
	v_and_b32_sdwa v0, v2, v10 dst_sel:DWORD dst_unused:UNUSED_PAD src0_sel:WORD_1 src1_sel:DWORD
	s_mov_b32 s18, exec_lo
	buffer_store_dword v3, off, s[0:3], s32 offset:624 ; 4-byte Folded Spill
	buffer_store_dword v4, off, s[0:3], s32 offset:628 ; 4-byte Folded Spill
	v_mov_b32_e32 v3, 0
	v_mov_b32_e32 v4, 0
	buffer_store_dword v3, off, s[0:3], s32 offset:1184 ; 4-byte Folded Spill
	buffer_store_dword v4, off, s[0:3], s32 offset:1188 ; 4-byte Folded Spill
	v_cmpx_ne_u16_e32 0, v0
	s_cbranch_execz .LBB214_522
; %bb.515:                              ;   in Loop: Header=BB214_15 Depth=1
	v_cmp_ne_u16_e64 s5, 0x80, v0
	v_bfrev_b32_e32 v0, 1
	v_mov_b32_e32 v1, 0
	s_and_saveexec_b32 s19, s5
	s_cbranch_execz .LBB214_521
; %bb.516:                              ;   in Loop: Header=BB214_15 Depth=1
	v_mov_b32_e32 v0, 0x7f800001
	v_bfe_u32 v4, v2, 16, 7
	v_mov_b32_e32 v1, 0
	s_mov_b32 s20, exec_lo
	v_cmpx_ne_u32_e32 0x7f, v4
	s_cbranch_execz .LBB214_520
; %bb.517:                              ;   in Loop: Header=BB214_15 Depth=1
	v_mov_b32_e32 v0, 7
	v_lshrrev_b32_e32 v3, 3, v4
	s_mov_b32 s21, exec_lo
	v_and_b32_sdwa v92, v2, v0 dst_sel:DWORD dst_unused:UNUSED_PAD src0_sel:WORD_1 src1_sel:DWORD
	v_cmpx_gt_u32_e32 8, v4
; %bb.518:                              ;   in Loop: Header=BB214_15 Depth=1
	v_ffbh_u32_e32 v3, v92
	v_min_u32_e32 v3, 32, v3
	v_subrev_nc_u32_e32 v4, 28, v3
	v_sub_nc_u32_e32 v3, 29, v3
	v_lshlrev_b64 v[4:5], v4, v[92:93]
	v_and_b32_e32 v92, 7, v4
; %bb.519:                              ;   in Loop: Header=BB214_15 Depth=1
	s_or_b32 exec_lo, exec_lo, s21
	v_mov_b32_e32 v0, 24
	v_lshl_add_u32 v3, v3, 23, 0x3c000000
	v_lshlrev_b32_sdwa v4, v0, v2 dst_sel:DWORD dst_unused:UNUSED_PAD src0_sel:DWORD src1_sel:WORD_1
	v_lshlrev_b32_e32 v0, 20, v92
	v_and_b32_e32 v4, 0x80000000, v4
	v_or3_b32 v92, v0, v4, v3
	v_mov_b32_e32 v0, v92
	v_mov_b32_e32 v1, v93
.LBB214_520:                            ;   in Loop: Header=BB214_15 Depth=1
	s_or_b32 exec_lo, exec_lo, s20
.LBB214_521:                            ;   in Loop: Header=BB214_15 Depth=1
	s_or_b32 exec_lo, exec_lo, s19
	buffer_store_dword v0, off, s[0:3], s32 offset:1184 ; 4-byte Folded Spill
	buffer_store_dword v1, off, s[0:3], s32 offset:1188 ; 4-byte Folded Spill
.LBB214_522:                            ;   in Loop: Header=BB214_15 Depth=1
	s_or_b32 exec_lo, exec_lo, s18
	s_mov_b32 s18, exec_lo
	v_cmpx_lt_u32_e32 0xffffff, v2
	s_cbranch_execz .LBB214_530
; %bb.523:                              ;   in Loop: Header=BB214_15 Depth=1
	v_mov_b32_e32 v0, 0x80
	v_mov_b32_e32 v16, v93
	buffer_store_dword v16, off, s[0:3], s32 offset:624 ; 4-byte Folded Spill
	buffer_store_dword v17, off, s[0:3], s32 offset:628 ; 4-byte Folded Spill
	v_cmp_ne_u32_sdwa s5, v2, v0 src0_sel:BYTE_3 src1_sel:DWORD
	s_and_saveexec_b32 s19, s5
	s_cbranch_execz .LBB214_529
; %bb.524:                              ;   in Loop: Header=BB214_15 Depth=1
	s_clause 0x1
	buffer_load_dword v5, off, s[0:3], s32 offset:192
	buffer_load_dword v6, off, s[0:3], s32 offset:196
	v_bfe_u32 v4, v2, 24, 7
	s_waitcnt vmcnt(1)
	v_mov_b32_e32 v5, v93
	s_mov_b32 s20, exec_lo
	s_waitcnt vmcnt(0)
	v_mov_b32_e32 v3, v6
	buffer_store_dword v2, off, s[0:3], s32 offset:192 ; 4-byte Folded Spill
	buffer_store_dword v3, off, s[0:3], s32 offset:196 ; 4-byte Folded Spill
	;; [unrolled: 1-line block ×4, first 2 shown]
	v_cmpx_ne_u32_e32 0x7f, v4
	s_cbranch_execz .LBB214_528
; %bb.525:                              ;   in Loop: Header=BB214_15 Depth=1
	v_mov_b32_e32 v0, 7
	v_lshrrev_b32_e32 v3, 3, v4
	s_mov_b32 s21, exec_lo
	v_and_b32_sdwa v92, v2, v0 dst_sel:DWORD dst_unused:UNUSED_PAD src0_sel:BYTE_3 src1_sel:DWORD
	v_cmpx_gt_u32_e32 8, v4
; %bb.526:                              ;   in Loop: Header=BB214_15 Depth=1
	v_ffbh_u32_e32 v3, v92
	v_min_u32_e32 v3, 32, v3
	v_subrev_nc_u32_e32 v4, 28, v3
	v_sub_nc_u32_e32 v3, 29, v3
	v_lshlrev_b64 v[4:5], v4, v[92:93]
	v_and_b32_e32 v92, 7, v4
; %bb.527:                              ;   in Loop: Header=BB214_15 Depth=1
	s_or_b32 exec_lo, exec_lo, s21
	v_mov_b32_e32 v0, 24
	v_lshl_add_u32 v3, v3, 23, 0x3c000000
	v_lshlrev_b32_sdwa v2, v0, v2 dst_sel:DWORD dst_unused:UNUSED_PAD src0_sel:DWORD src1_sel:BYTE_3
	v_lshlrev_b32_e32 v0, 20, v92
	v_and_b32_e32 v2, 0x80000000, v2
	v_or3_b32 v1, v0, v2, v3
	v_mov_b32_e32 v0, v93
	buffer_store_dword v0, off, s[0:3], s32 offset:624 ; 4-byte Folded Spill
	buffer_store_dword v1, off, s[0:3], s32 offset:628 ; 4-byte Folded Spill
.LBB214_528:                            ;   in Loop: Header=BB214_15 Depth=1
	s_or_b32 exec_lo, exec_lo, s20
.LBB214_529:                            ;   in Loop: Header=BB214_15 Depth=1
	s_or_b32 exec_lo, exec_lo, s19
.LBB214_530:                            ;   in Loop: Header=BB214_15 Depth=1
	s_or_b32 exec_lo, exec_lo, s18
	v_add_co_u32 v2, s5, 0x800, v74
	v_add_co_ci_u32_e64 v3, null, 0, v75, s5
	v_mov_b32_e32 v0, 0
	v_mov_b32_e32 v1, 0
	flat_load_dword v4, v[2:3]
	buffer_store_dword v0, off, s[0:3], s32 offset:640 ; 4-byte Folded Spill
	buffer_store_dword v1, off, s[0:3], s32 offset:644 ; 4-byte Folded Spill
	v_mov_b32_e32 v0, 0
	v_mov_b32_e32 v1, 0
	buffer_store_dword v0, off, s[0:3], s32 offset:632 ; 4-byte Folded Spill
	buffer_store_dword v1, off, s[0:3], s32 offset:636 ; 4-byte Folded Spill
	s_waitcnt vmcnt(0) lgkmcnt(0)
	v_cmp_ne_u16_sdwa s5, v4, v93 src0_sel:BYTE_0 src1_sel:DWORD
	s_and_saveexec_b32 s18, s5
	s_cbranch_execz .LBB214_538
; %bb.531:                              ;   in Loop: Header=BB214_15 Depth=1
	v_bfrev_b32_e32 v0, 1
	v_mov_b32_e32 v1, 0
	buffer_store_dword v0, off, s[0:3], s32 offset:632 ; 4-byte Folded Spill
	buffer_store_dword v1, off, s[0:3], s32 offset:636 ; 4-byte Folded Spill
	v_mov_b32_e32 v0, 0x80
	v_cmp_ne_u16_sdwa s5, v4, v0 src0_sel:BYTE_0 src1_sel:DWORD
	s_and_saveexec_b32 s19, s5
	s_cbranch_execz .LBB214_537
; %bb.532:                              ;   in Loop: Header=BB214_15 Depth=1
	v_mov_b32_e32 v0, 0x7f800001
	v_and_b32_e32 v6, 0x7f, v4
	v_mov_b32_e32 v1, 0
	s_mov_b32 s20, exec_lo
	buffer_store_dword v0, off, s[0:3], s32 offset:632 ; 4-byte Folded Spill
	buffer_store_dword v1, off, s[0:3], s32 offset:636 ; 4-byte Folded Spill
	v_cmpx_ne_u32_e32 0x7f, v6
	s_cbranch_execz .LBB214_536
; %bb.533:                              ;   in Loop: Header=BB214_15 Depth=1
	v_and_b32_e32 v92, 7, v4
	v_lshrrev_b32_e32 v5, 3, v6
	s_mov_b32 s21, exec_lo
	v_cmpx_gt_u32_e32 8, v6
; %bb.534:                              ;   in Loop: Header=BB214_15 Depth=1
	v_ffbh_u32_e32 v5, v92
	v_min_u32_e32 v5, 32, v5
	v_subrev_nc_u32_e32 v6, 28, v5
	v_sub_nc_u32_e32 v5, 29, v5
	v_lshlrev_b64 v[6:7], v6, v[92:93]
	v_and_b32_e32 v92, 7, v6
; %bb.535:                              ;   in Loop: Header=BB214_15 Depth=1
	s_or_b32 exec_lo, exec_lo, s21
	v_lshlrev_b32_e32 v6, 24, v4
	v_lshlrev_b32_e32 v0, 20, v92
	v_lshl_add_u32 v5, v5, 23, 0x3c000000
	v_and_b32_e32 v6, 0x80000000, v6
	v_or3_b32 v92, v0, v6, v5
	buffer_store_dword v92, off, s[0:3], s32 offset:632 ; 4-byte Folded Spill
	buffer_store_dword v93, off, s[0:3], s32 offset:636 ; 4-byte Folded Spill
.LBB214_536:                            ;   in Loop: Header=BB214_15 Depth=1
	s_or_b32 exec_lo, exec_lo, s20
.LBB214_537:                            ;   in Loop: Header=BB214_15 Depth=1
	s_or_b32 exec_lo, exec_lo, s19
.LBB214_538:                            ;   in Loop: Header=BB214_15 Depth=1
	s_or_b32 exec_lo, exec_lo, s18
	v_cmp_ne_u16_sdwa s5, v4, v93 src0_sel:BYTE_1 src1_sel:DWORD
	s_and_saveexec_b32 s18, s5
	s_cbranch_execz .LBB214_546
; %bb.539:                              ;   in Loop: Header=BB214_15 Depth=1
	v_mov_b32_e32 v0, 0x80
	v_mov_b32_e32 v16, v93
	buffer_store_dword v16, off, s[0:3], s32 offset:640 ; 4-byte Folded Spill
	buffer_store_dword v17, off, s[0:3], s32 offset:644 ; 4-byte Folded Spill
	v_cmp_ne_u16_sdwa s5, v4, v0 src0_sel:BYTE_1 src1_sel:DWORD
	s_and_saveexec_b32 s19, s5
	s_cbranch_execz .LBB214_545
; %bb.540:                              ;   in Loop: Header=BB214_15 Depth=1
	s_clause 0x1
	buffer_load_dword v7, off, s[0:3], s32 offset:192
	buffer_load_dword v8, off, s[0:3], s32 offset:196
	v_mov_b32_e32 v0, 0xffff
	s_waitcnt vmcnt(1)
	v_mov_b32_e32 v7, v93
	s_mov_b32 s20, exec_lo
	v_and_b32_sdwa v0, v0, v4 dst_sel:DWORD dst_unused:UNUSED_PAD src0_sel:DWORD src1_sel:BYTE_1
	v_and_b32_e32 v6, 0x7f, v0
	s_waitcnt vmcnt(0)
	v_mov_b32_e32 v5, v8
	buffer_store_dword v4, off, s[0:3], s32 offset:192 ; 4-byte Folded Spill
	buffer_store_dword v5, off, s[0:3], s32 offset:196 ; 4-byte Folded Spill
	;; [unrolled: 1-line block ×4, first 2 shown]
	v_cmpx_ne_u32_e32 0x7f, v6
	s_cbranch_execz .LBB214_544
; %bb.541:                              ;   in Loop: Header=BB214_15 Depth=1
	v_and_b32_e32 v92, 7, v0
	v_lshrrev_b32_e32 v5, 3, v6
	s_mov_b32 s21, exec_lo
	v_cmpx_gt_u32_e32 8, v6
; %bb.542:                              ;   in Loop: Header=BB214_15 Depth=1
	v_ffbh_u32_e32 v5, v92
	v_min_u32_e32 v5, 32, v5
	v_subrev_nc_u32_e32 v6, 28, v5
	v_sub_nc_u32_e32 v5, 29, v5
	v_lshlrev_b64 v[6:7], v6, v[92:93]
	v_and_b32_e32 v92, 7, v6
; %bb.543:                              ;   in Loop: Header=BB214_15 Depth=1
	s_or_b32 exec_lo, exec_lo, s21
	v_lshlrev_b32_e32 v6, 16, v4
	v_lshlrev_b32_e32 v0, 20, v92
	v_lshl_add_u32 v5, v5, 23, 0x3c000000
	v_and_b32_e32 v6, 0x80000000, v6
	v_or3_b32 v1, v0, v6, v5
	v_mov_b32_e32 v0, v93
	buffer_store_dword v0, off, s[0:3], s32 offset:640 ; 4-byte Folded Spill
	buffer_store_dword v1, off, s[0:3], s32 offset:644 ; 4-byte Folded Spill
.LBB214_544:                            ;   in Loop: Header=BB214_15 Depth=1
	s_or_b32 exec_lo, exec_lo, s20
.LBB214_545:                            ;   in Loop: Header=BB214_15 Depth=1
	s_or_b32 exec_lo, exec_lo, s19
.LBB214_546:                            ;   in Loop: Header=BB214_15 Depth=1
	s_or_b32 exec_lo, exec_lo, s18
	v_mov_b32_e32 v5, 0
	v_mov_b32_e32 v6, 0
	v_and_b32_sdwa v0, v4, v10 dst_sel:DWORD dst_unused:UNUSED_PAD src0_sel:WORD_1 src1_sel:DWORD
	s_mov_b32 s18, exec_lo
	buffer_store_dword v5, off, s[0:3], s32 offset:648 ; 4-byte Folded Spill
	buffer_store_dword v6, off, s[0:3], s32 offset:652 ; 4-byte Folded Spill
	v_mov_b32_e32 v5, 0
	v_mov_b32_e32 v6, 0
	buffer_store_dword v5, off, s[0:3], s32 offset:1192 ; 4-byte Folded Spill
	buffer_store_dword v6, off, s[0:3], s32 offset:1196 ; 4-byte Folded Spill
	v_cmpx_ne_u16_e32 0, v0
	s_cbranch_execz .LBB214_554
; %bb.547:                              ;   in Loop: Header=BB214_15 Depth=1
	v_cmp_ne_u16_e64 s5, 0x80, v0
	v_bfrev_b32_e32 v0, 1
	v_mov_b32_e32 v1, 0
	s_and_saveexec_b32 s19, s5
	s_cbranch_execz .LBB214_553
; %bb.548:                              ;   in Loop: Header=BB214_15 Depth=1
	v_mov_b32_e32 v0, 0x7f800001
	v_bfe_u32 v6, v4, 16, 7
	v_mov_b32_e32 v1, 0
	s_mov_b32 s20, exec_lo
	v_cmpx_ne_u32_e32 0x7f, v6
	s_cbranch_execz .LBB214_552
; %bb.549:                              ;   in Loop: Header=BB214_15 Depth=1
	v_mov_b32_e32 v0, 7
	v_lshrrev_b32_e32 v5, 3, v6
	s_mov_b32 s21, exec_lo
	v_and_b32_sdwa v92, v4, v0 dst_sel:DWORD dst_unused:UNUSED_PAD src0_sel:WORD_1 src1_sel:DWORD
	v_cmpx_gt_u32_e32 8, v6
; %bb.550:                              ;   in Loop: Header=BB214_15 Depth=1
	v_ffbh_u32_e32 v5, v92
	v_min_u32_e32 v5, 32, v5
	v_subrev_nc_u32_e32 v6, 28, v5
	v_sub_nc_u32_e32 v5, 29, v5
	v_lshlrev_b64 v[6:7], v6, v[92:93]
	v_and_b32_e32 v92, 7, v6
; %bb.551:                              ;   in Loop: Header=BB214_15 Depth=1
	s_or_b32 exec_lo, exec_lo, s21
	v_mov_b32_e32 v0, 24
	v_lshl_add_u32 v5, v5, 23, 0x3c000000
	v_lshlrev_b32_sdwa v6, v0, v4 dst_sel:DWORD dst_unused:UNUSED_PAD src0_sel:DWORD src1_sel:WORD_1
	v_lshlrev_b32_e32 v0, 20, v92
	v_and_b32_e32 v6, 0x80000000, v6
	v_or3_b32 v92, v0, v6, v5
	v_mov_b32_e32 v0, v92
	v_mov_b32_e32 v1, v93
.LBB214_552:                            ;   in Loop: Header=BB214_15 Depth=1
	s_or_b32 exec_lo, exec_lo, s20
.LBB214_553:                            ;   in Loop: Header=BB214_15 Depth=1
	s_or_b32 exec_lo, exec_lo, s19
	buffer_store_dword v0, off, s[0:3], s32 offset:1192 ; 4-byte Folded Spill
	buffer_store_dword v1, off, s[0:3], s32 offset:1196 ; 4-byte Folded Spill
.LBB214_554:                            ;   in Loop: Header=BB214_15 Depth=1
	s_or_b32 exec_lo, exec_lo, s18
	s_mov_b32 s18, exec_lo
	v_cmpx_lt_u32_e32 0xffffff, v4
	s_cbranch_execz .LBB214_562
; %bb.555:                              ;   in Loop: Header=BB214_15 Depth=1
	v_mov_b32_e32 v0, 0x80
	v_mov_b32_e32 v16, v93
	buffer_store_dword v16, off, s[0:3], s32 offset:648 ; 4-byte Folded Spill
	buffer_store_dword v17, off, s[0:3], s32 offset:652 ; 4-byte Folded Spill
	v_cmp_ne_u32_sdwa s5, v4, v0 src0_sel:BYTE_3 src1_sel:DWORD
	s_and_saveexec_b32 s19, s5
	s_cbranch_execz .LBB214_561
; %bb.556:                              ;   in Loop: Header=BB214_15 Depth=1
	s_clause 0x1
	buffer_load_dword v7, off, s[0:3], s32 offset:192
	buffer_load_dword v8, off, s[0:3], s32 offset:196
	v_bfe_u32 v6, v4, 24, 7
	s_waitcnt vmcnt(1)
	v_mov_b32_e32 v7, v93
	s_mov_b32 s20, exec_lo
	s_waitcnt vmcnt(0)
	v_mov_b32_e32 v5, v8
	buffer_store_dword v4, off, s[0:3], s32 offset:192 ; 4-byte Folded Spill
	buffer_store_dword v5, off, s[0:3], s32 offset:196 ; 4-byte Folded Spill
	;; [unrolled: 1-line block ×4, first 2 shown]
	v_cmpx_ne_u32_e32 0x7f, v6
	s_cbranch_execz .LBB214_560
; %bb.557:                              ;   in Loop: Header=BB214_15 Depth=1
	v_mov_b32_e32 v0, 7
	v_lshrrev_b32_e32 v5, 3, v6
	s_mov_b32 s21, exec_lo
	v_and_b32_sdwa v92, v4, v0 dst_sel:DWORD dst_unused:UNUSED_PAD src0_sel:BYTE_3 src1_sel:DWORD
	v_cmpx_gt_u32_e32 8, v6
; %bb.558:                              ;   in Loop: Header=BB214_15 Depth=1
	v_ffbh_u32_e32 v5, v92
	v_min_u32_e32 v5, 32, v5
	v_subrev_nc_u32_e32 v6, 28, v5
	v_sub_nc_u32_e32 v5, 29, v5
	v_lshlrev_b64 v[6:7], v6, v[92:93]
	v_and_b32_e32 v92, 7, v6
; %bb.559:                              ;   in Loop: Header=BB214_15 Depth=1
	s_or_b32 exec_lo, exec_lo, s21
	v_mov_b32_e32 v0, 24
	v_lshl_add_u32 v5, v5, 23, 0x3c000000
	v_lshlrev_b32_sdwa v4, v0, v4 dst_sel:DWORD dst_unused:UNUSED_PAD src0_sel:DWORD src1_sel:BYTE_3
	v_lshlrev_b32_e32 v0, 20, v92
	v_and_b32_e32 v4, 0x80000000, v4
	v_or3_b32 v1, v0, v4, v5
	v_mov_b32_e32 v0, v93
	buffer_store_dword v0, off, s[0:3], s32 offset:648 ; 4-byte Folded Spill
	buffer_store_dword v1, off, s[0:3], s32 offset:652 ; 4-byte Folded Spill
.LBB214_560:                            ;   in Loop: Header=BB214_15 Depth=1
	s_or_b32 exec_lo, exec_lo, s20
.LBB214_561:                            ;   in Loop: Header=BB214_15 Depth=1
	s_or_b32 exec_lo, exec_lo, s19
.LBB214_562:                            ;   in Loop: Header=BB214_15 Depth=1
	s_or_b32 exec_lo, exec_lo, s18
	flat_load_dword v4, v[2:3] offset:4
	v_mov_b32_e32 v0, 0
	v_mov_b32_e32 v1, 0
	buffer_store_dword v0, off, s[0:3], s32 offset:664 ; 4-byte Folded Spill
	buffer_store_dword v1, off, s[0:3], s32 offset:668 ; 4-byte Folded Spill
	v_mov_b32_e32 v0, 0
	v_mov_b32_e32 v1, 0
	buffer_store_dword v0, off, s[0:3], s32 offset:656 ; 4-byte Folded Spill
	buffer_store_dword v1, off, s[0:3], s32 offset:660 ; 4-byte Folded Spill
	s_waitcnt vmcnt(0) lgkmcnt(0)
	v_cmp_ne_u16_sdwa s5, v4, v93 src0_sel:BYTE_0 src1_sel:DWORD
	s_and_saveexec_b32 s18, s5
	s_cbranch_execz .LBB214_570
; %bb.563:                              ;   in Loop: Header=BB214_15 Depth=1
	v_bfrev_b32_e32 v0, 1
	v_mov_b32_e32 v1, 0
	buffer_store_dword v0, off, s[0:3], s32 offset:656 ; 4-byte Folded Spill
	buffer_store_dword v1, off, s[0:3], s32 offset:660 ; 4-byte Folded Spill
	v_mov_b32_e32 v0, 0x80
	v_cmp_ne_u16_sdwa s5, v4, v0 src0_sel:BYTE_0 src1_sel:DWORD
	s_and_saveexec_b32 s19, s5
	s_cbranch_execz .LBB214_569
; %bb.564:                              ;   in Loop: Header=BB214_15 Depth=1
	v_mov_b32_e32 v0, 0x7f800001
	v_and_b32_e32 v6, 0x7f, v4
	v_mov_b32_e32 v1, 0
	s_mov_b32 s20, exec_lo
	buffer_store_dword v0, off, s[0:3], s32 offset:656 ; 4-byte Folded Spill
	buffer_store_dword v1, off, s[0:3], s32 offset:660 ; 4-byte Folded Spill
	v_cmpx_ne_u32_e32 0x7f, v6
	s_cbranch_execz .LBB214_568
; %bb.565:                              ;   in Loop: Header=BB214_15 Depth=1
	v_and_b32_e32 v92, 7, v4
	v_lshrrev_b32_e32 v5, 3, v6
	s_mov_b32 s21, exec_lo
	v_cmpx_gt_u32_e32 8, v6
; %bb.566:                              ;   in Loop: Header=BB214_15 Depth=1
	v_ffbh_u32_e32 v5, v92
	v_min_u32_e32 v5, 32, v5
	v_subrev_nc_u32_e32 v6, 28, v5
	v_sub_nc_u32_e32 v5, 29, v5
	v_lshlrev_b64 v[6:7], v6, v[92:93]
	v_and_b32_e32 v92, 7, v6
; %bb.567:                              ;   in Loop: Header=BB214_15 Depth=1
	s_or_b32 exec_lo, exec_lo, s21
	v_lshlrev_b32_e32 v6, 24, v4
	v_lshlrev_b32_e32 v0, 20, v92
	v_lshl_add_u32 v5, v5, 23, 0x3c000000
	v_and_b32_e32 v6, 0x80000000, v6
	v_or3_b32 v92, v0, v6, v5
	buffer_store_dword v92, off, s[0:3], s32 offset:656 ; 4-byte Folded Spill
	buffer_store_dword v93, off, s[0:3], s32 offset:660 ; 4-byte Folded Spill
.LBB214_568:                            ;   in Loop: Header=BB214_15 Depth=1
	s_or_b32 exec_lo, exec_lo, s20
.LBB214_569:                            ;   in Loop: Header=BB214_15 Depth=1
	s_or_b32 exec_lo, exec_lo, s19
.LBB214_570:                            ;   in Loop: Header=BB214_15 Depth=1
	s_or_b32 exec_lo, exec_lo, s18
	v_cmp_ne_u16_sdwa s5, v4, v93 src0_sel:BYTE_1 src1_sel:DWORD
	s_and_saveexec_b32 s18, s5
	s_cbranch_execz .LBB214_578
; %bb.571:                              ;   in Loop: Header=BB214_15 Depth=1
	v_mov_b32_e32 v0, 0x80
	v_mov_b32_e32 v16, v93
	buffer_store_dword v16, off, s[0:3], s32 offset:664 ; 4-byte Folded Spill
	buffer_store_dword v17, off, s[0:3], s32 offset:668 ; 4-byte Folded Spill
	v_cmp_ne_u16_sdwa s5, v4, v0 src0_sel:BYTE_1 src1_sel:DWORD
	s_and_saveexec_b32 s19, s5
	s_cbranch_execz .LBB214_577
; %bb.572:                              ;   in Loop: Header=BB214_15 Depth=1
	s_clause 0x1
	buffer_load_dword v7, off, s[0:3], s32 offset:192
	buffer_load_dword v8, off, s[0:3], s32 offset:196
	v_mov_b32_e32 v0, 0xffff
	s_waitcnt vmcnt(1)
	v_mov_b32_e32 v7, v93
	s_mov_b32 s20, exec_lo
	v_and_b32_sdwa v0, v0, v4 dst_sel:DWORD dst_unused:UNUSED_PAD src0_sel:DWORD src1_sel:BYTE_1
	v_and_b32_e32 v6, 0x7f, v0
	s_waitcnt vmcnt(0)
	v_mov_b32_e32 v5, v8
	buffer_store_dword v4, off, s[0:3], s32 offset:192 ; 4-byte Folded Spill
	buffer_store_dword v5, off, s[0:3], s32 offset:196 ; 4-byte Folded Spill
	;; [unrolled: 1-line block ×4, first 2 shown]
	v_cmpx_ne_u32_e32 0x7f, v6
	s_cbranch_execz .LBB214_576
; %bb.573:                              ;   in Loop: Header=BB214_15 Depth=1
	v_and_b32_e32 v92, 7, v0
	v_lshrrev_b32_e32 v5, 3, v6
	s_mov_b32 s21, exec_lo
	v_cmpx_gt_u32_e32 8, v6
; %bb.574:                              ;   in Loop: Header=BB214_15 Depth=1
	v_ffbh_u32_e32 v5, v92
	v_min_u32_e32 v5, 32, v5
	v_subrev_nc_u32_e32 v6, 28, v5
	v_sub_nc_u32_e32 v5, 29, v5
	v_lshlrev_b64 v[6:7], v6, v[92:93]
	v_and_b32_e32 v92, 7, v6
; %bb.575:                              ;   in Loop: Header=BB214_15 Depth=1
	s_or_b32 exec_lo, exec_lo, s21
	v_lshlrev_b32_e32 v6, 16, v4
	v_lshlrev_b32_e32 v0, 20, v92
	v_lshl_add_u32 v5, v5, 23, 0x3c000000
	v_and_b32_e32 v6, 0x80000000, v6
	v_or3_b32 v1, v0, v6, v5
	v_mov_b32_e32 v0, v93
	buffer_store_dword v0, off, s[0:3], s32 offset:664 ; 4-byte Folded Spill
	buffer_store_dword v1, off, s[0:3], s32 offset:668 ; 4-byte Folded Spill
.LBB214_576:                            ;   in Loop: Header=BB214_15 Depth=1
	s_or_b32 exec_lo, exec_lo, s20
.LBB214_577:                            ;   in Loop: Header=BB214_15 Depth=1
	s_or_b32 exec_lo, exec_lo, s19
.LBB214_578:                            ;   in Loop: Header=BB214_15 Depth=1
	s_or_b32 exec_lo, exec_lo, s18
	v_mov_b32_e32 v5, 0
	v_mov_b32_e32 v6, 0
	v_and_b32_sdwa v0, v4, v10 dst_sel:DWORD dst_unused:UNUSED_PAD src0_sel:WORD_1 src1_sel:DWORD
	s_mov_b32 s18, exec_lo
	buffer_store_dword v5, off, s[0:3], s32 offset:672 ; 4-byte Folded Spill
	buffer_store_dword v6, off, s[0:3], s32 offset:676 ; 4-byte Folded Spill
	v_mov_b32_e32 v5, 0
	v_mov_b32_e32 v6, 0
	buffer_store_dword v5, off, s[0:3], s32 offset:1200 ; 4-byte Folded Spill
	buffer_store_dword v6, off, s[0:3], s32 offset:1204 ; 4-byte Folded Spill
	v_cmpx_ne_u16_e32 0, v0
	s_cbranch_execz .LBB214_586
; %bb.579:                              ;   in Loop: Header=BB214_15 Depth=1
	v_cmp_ne_u16_e64 s5, 0x80, v0
	v_bfrev_b32_e32 v0, 1
	v_mov_b32_e32 v1, 0
	s_and_saveexec_b32 s19, s5
	s_cbranch_execz .LBB214_585
; %bb.580:                              ;   in Loop: Header=BB214_15 Depth=1
	v_mov_b32_e32 v0, 0x7f800001
	v_bfe_u32 v6, v4, 16, 7
	v_mov_b32_e32 v1, 0
	s_mov_b32 s20, exec_lo
	v_cmpx_ne_u32_e32 0x7f, v6
	s_cbranch_execz .LBB214_584
; %bb.581:                              ;   in Loop: Header=BB214_15 Depth=1
	v_mov_b32_e32 v0, 7
	v_lshrrev_b32_e32 v5, 3, v6
	s_mov_b32 s21, exec_lo
	v_and_b32_sdwa v92, v4, v0 dst_sel:DWORD dst_unused:UNUSED_PAD src0_sel:WORD_1 src1_sel:DWORD
	v_cmpx_gt_u32_e32 8, v6
; %bb.582:                              ;   in Loop: Header=BB214_15 Depth=1
	v_ffbh_u32_e32 v5, v92
	v_min_u32_e32 v5, 32, v5
	v_subrev_nc_u32_e32 v6, 28, v5
	v_sub_nc_u32_e32 v5, 29, v5
	v_lshlrev_b64 v[6:7], v6, v[92:93]
	v_and_b32_e32 v92, 7, v6
; %bb.583:                              ;   in Loop: Header=BB214_15 Depth=1
	s_or_b32 exec_lo, exec_lo, s21
	v_mov_b32_e32 v0, 24
	v_lshl_add_u32 v5, v5, 23, 0x3c000000
	v_lshlrev_b32_sdwa v6, v0, v4 dst_sel:DWORD dst_unused:UNUSED_PAD src0_sel:DWORD src1_sel:WORD_1
	v_lshlrev_b32_e32 v0, 20, v92
	v_and_b32_e32 v6, 0x80000000, v6
	v_or3_b32 v92, v0, v6, v5
	v_mov_b32_e32 v0, v92
	v_mov_b32_e32 v1, v93
.LBB214_584:                            ;   in Loop: Header=BB214_15 Depth=1
	s_or_b32 exec_lo, exec_lo, s20
.LBB214_585:                            ;   in Loop: Header=BB214_15 Depth=1
	s_or_b32 exec_lo, exec_lo, s19
	buffer_store_dword v0, off, s[0:3], s32 offset:1200 ; 4-byte Folded Spill
	buffer_store_dword v1, off, s[0:3], s32 offset:1204 ; 4-byte Folded Spill
.LBB214_586:                            ;   in Loop: Header=BB214_15 Depth=1
	s_or_b32 exec_lo, exec_lo, s18
	s_mov_b32 s18, exec_lo
	v_cmpx_lt_u32_e32 0xffffff, v4
	s_cbranch_execz .LBB214_594
; %bb.587:                              ;   in Loop: Header=BB214_15 Depth=1
	v_mov_b32_e32 v0, 0x80
	v_mov_b32_e32 v16, v93
	buffer_store_dword v16, off, s[0:3], s32 offset:672 ; 4-byte Folded Spill
	buffer_store_dword v17, off, s[0:3], s32 offset:676 ; 4-byte Folded Spill
	v_cmp_ne_u32_sdwa s5, v4, v0 src0_sel:BYTE_3 src1_sel:DWORD
	s_and_saveexec_b32 s19, s5
	s_cbranch_execz .LBB214_593
; %bb.588:                              ;   in Loop: Header=BB214_15 Depth=1
	s_clause 0x1
	buffer_load_dword v7, off, s[0:3], s32 offset:192
	buffer_load_dword v8, off, s[0:3], s32 offset:196
	v_bfe_u32 v6, v4, 24, 7
	s_waitcnt vmcnt(1)
	v_mov_b32_e32 v7, v93
	s_mov_b32 s20, exec_lo
	s_waitcnt vmcnt(0)
	v_mov_b32_e32 v5, v8
	buffer_store_dword v4, off, s[0:3], s32 offset:192 ; 4-byte Folded Spill
	buffer_store_dword v5, off, s[0:3], s32 offset:196 ; 4-byte Folded Spill
	;; [unrolled: 1-line block ×4, first 2 shown]
	v_cmpx_ne_u32_e32 0x7f, v6
	s_cbranch_execz .LBB214_592
; %bb.589:                              ;   in Loop: Header=BB214_15 Depth=1
	v_mov_b32_e32 v0, 7
	v_lshrrev_b32_e32 v5, 3, v6
	s_mov_b32 s21, exec_lo
	v_and_b32_sdwa v92, v4, v0 dst_sel:DWORD dst_unused:UNUSED_PAD src0_sel:BYTE_3 src1_sel:DWORD
	v_cmpx_gt_u32_e32 8, v6
; %bb.590:                              ;   in Loop: Header=BB214_15 Depth=1
	v_ffbh_u32_e32 v5, v92
	v_min_u32_e32 v5, 32, v5
	v_subrev_nc_u32_e32 v6, 28, v5
	v_sub_nc_u32_e32 v5, 29, v5
	v_lshlrev_b64 v[6:7], v6, v[92:93]
	v_and_b32_e32 v92, 7, v6
; %bb.591:                              ;   in Loop: Header=BB214_15 Depth=1
	s_or_b32 exec_lo, exec_lo, s21
	v_mov_b32_e32 v0, 24
	v_lshl_add_u32 v5, v5, 23, 0x3c000000
	v_lshlrev_b32_sdwa v4, v0, v4 dst_sel:DWORD dst_unused:UNUSED_PAD src0_sel:DWORD src1_sel:BYTE_3
	v_lshlrev_b32_e32 v0, 20, v92
	v_and_b32_e32 v4, 0x80000000, v4
	v_or3_b32 v1, v0, v4, v5
	v_mov_b32_e32 v0, v93
	buffer_store_dword v0, off, s[0:3], s32 offset:672 ; 4-byte Folded Spill
	buffer_store_dword v1, off, s[0:3], s32 offset:676 ; 4-byte Folded Spill
.LBB214_592:                            ;   in Loop: Header=BB214_15 Depth=1
	s_or_b32 exec_lo, exec_lo, s20
.LBB214_593:                            ;   in Loop: Header=BB214_15 Depth=1
	s_or_b32 exec_lo, exec_lo, s19
.LBB214_594:                            ;   in Loop: Header=BB214_15 Depth=1
	s_or_b32 exec_lo, exec_lo, s18
	flat_load_dword v4, v[2:3] offset:8
	v_mov_b32_e32 v0, 0
	v_mov_b32_e32 v1, 0
	buffer_store_dword v0, off, s[0:3], s32 offset:688 ; 4-byte Folded Spill
	buffer_store_dword v1, off, s[0:3], s32 offset:692 ; 4-byte Folded Spill
	v_mov_b32_e32 v0, 0
	v_mov_b32_e32 v1, 0
	buffer_store_dword v0, off, s[0:3], s32 offset:680 ; 4-byte Folded Spill
	buffer_store_dword v1, off, s[0:3], s32 offset:684 ; 4-byte Folded Spill
	s_waitcnt vmcnt(0) lgkmcnt(0)
	v_cmp_ne_u16_sdwa s5, v4, v93 src0_sel:BYTE_0 src1_sel:DWORD
	s_and_saveexec_b32 s18, s5
	s_cbranch_execz .LBB214_602
; %bb.595:                              ;   in Loop: Header=BB214_15 Depth=1
	v_bfrev_b32_e32 v0, 1
	v_mov_b32_e32 v1, 0
	buffer_store_dword v0, off, s[0:3], s32 offset:680 ; 4-byte Folded Spill
	buffer_store_dword v1, off, s[0:3], s32 offset:684 ; 4-byte Folded Spill
	v_mov_b32_e32 v0, 0x80
	v_cmp_ne_u16_sdwa s5, v4, v0 src0_sel:BYTE_0 src1_sel:DWORD
	s_and_saveexec_b32 s19, s5
	s_cbranch_execz .LBB214_601
; %bb.596:                              ;   in Loop: Header=BB214_15 Depth=1
	v_mov_b32_e32 v0, 0x7f800001
	v_and_b32_e32 v6, 0x7f, v4
	v_mov_b32_e32 v1, 0
	s_mov_b32 s20, exec_lo
	buffer_store_dword v0, off, s[0:3], s32 offset:680 ; 4-byte Folded Spill
	buffer_store_dword v1, off, s[0:3], s32 offset:684 ; 4-byte Folded Spill
	v_cmpx_ne_u32_e32 0x7f, v6
	s_cbranch_execz .LBB214_600
; %bb.597:                              ;   in Loop: Header=BB214_15 Depth=1
	v_and_b32_e32 v92, 7, v4
	v_lshrrev_b32_e32 v5, 3, v6
	s_mov_b32 s21, exec_lo
	v_cmpx_gt_u32_e32 8, v6
; %bb.598:                              ;   in Loop: Header=BB214_15 Depth=1
	v_ffbh_u32_e32 v5, v92
	v_min_u32_e32 v5, 32, v5
	v_subrev_nc_u32_e32 v6, 28, v5
	v_sub_nc_u32_e32 v5, 29, v5
	v_lshlrev_b64 v[6:7], v6, v[92:93]
	v_and_b32_e32 v92, 7, v6
; %bb.599:                              ;   in Loop: Header=BB214_15 Depth=1
	s_or_b32 exec_lo, exec_lo, s21
	v_lshlrev_b32_e32 v6, 24, v4
	v_lshlrev_b32_e32 v0, 20, v92
	v_lshl_add_u32 v5, v5, 23, 0x3c000000
	v_and_b32_e32 v6, 0x80000000, v6
	v_or3_b32 v92, v0, v6, v5
	buffer_store_dword v92, off, s[0:3], s32 offset:680 ; 4-byte Folded Spill
	buffer_store_dword v93, off, s[0:3], s32 offset:684 ; 4-byte Folded Spill
.LBB214_600:                            ;   in Loop: Header=BB214_15 Depth=1
	s_or_b32 exec_lo, exec_lo, s20
.LBB214_601:                            ;   in Loop: Header=BB214_15 Depth=1
	s_or_b32 exec_lo, exec_lo, s19
.LBB214_602:                            ;   in Loop: Header=BB214_15 Depth=1
	s_or_b32 exec_lo, exec_lo, s18
	v_cmp_ne_u16_sdwa s5, v4, v93 src0_sel:BYTE_1 src1_sel:DWORD
	s_and_saveexec_b32 s18, s5
	s_cbranch_execz .LBB214_610
; %bb.603:                              ;   in Loop: Header=BB214_15 Depth=1
	v_mov_b32_e32 v0, 0x80
	v_mov_b32_e32 v16, v93
	buffer_store_dword v16, off, s[0:3], s32 offset:688 ; 4-byte Folded Spill
	buffer_store_dword v17, off, s[0:3], s32 offset:692 ; 4-byte Folded Spill
	v_cmp_ne_u16_sdwa s5, v4, v0 src0_sel:BYTE_1 src1_sel:DWORD
	s_and_saveexec_b32 s19, s5
	s_cbranch_execz .LBB214_609
; %bb.604:                              ;   in Loop: Header=BB214_15 Depth=1
	s_clause 0x1
	buffer_load_dword v7, off, s[0:3], s32 offset:192
	buffer_load_dword v8, off, s[0:3], s32 offset:196
	v_mov_b32_e32 v0, 0xffff
	s_waitcnt vmcnt(1)
	v_mov_b32_e32 v7, v93
	s_mov_b32 s20, exec_lo
	v_and_b32_sdwa v0, v0, v4 dst_sel:DWORD dst_unused:UNUSED_PAD src0_sel:DWORD src1_sel:BYTE_1
	v_and_b32_e32 v6, 0x7f, v0
	s_waitcnt vmcnt(0)
	v_mov_b32_e32 v5, v8
	buffer_store_dword v4, off, s[0:3], s32 offset:192 ; 4-byte Folded Spill
	buffer_store_dword v5, off, s[0:3], s32 offset:196 ; 4-byte Folded Spill
	;; [unrolled: 1-line block ×4, first 2 shown]
	v_cmpx_ne_u32_e32 0x7f, v6
	s_cbranch_execz .LBB214_608
; %bb.605:                              ;   in Loop: Header=BB214_15 Depth=1
	v_and_b32_e32 v92, 7, v0
	v_lshrrev_b32_e32 v5, 3, v6
	s_mov_b32 s21, exec_lo
	v_cmpx_gt_u32_e32 8, v6
; %bb.606:                              ;   in Loop: Header=BB214_15 Depth=1
	v_ffbh_u32_e32 v5, v92
	v_min_u32_e32 v5, 32, v5
	v_subrev_nc_u32_e32 v6, 28, v5
	v_sub_nc_u32_e32 v5, 29, v5
	v_lshlrev_b64 v[6:7], v6, v[92:93]
	v_and_b32_e32 v92, 7, v6
; %bb.607:                              ;   in Loop: Header=BB214_15 Depth=1
	s_or_b32 exec_lo, exec_lo, s21
	v_lshlrev_b32_e32 v6, 16, v4
	v_lshlrev_b32_e32 v0, 20, v92
	v_lshl_add_u32 v5, v5, 23, 0x3c000000
	v_and_b32_e32 v6, 0x80000000, v6
	v_or3_b32 v1, v0, v6, v5
	v_mov_b32_e32 v0, v93
	buffer_store_dword v0, off, s[0:3], s32 offset:688 ; 4-byte Folded Spill
	buffer_store_dword v1, off, s[0:3], s32 offset:692 ; 4-byte Folded Spill
.LBB214_608:                            ;   in Loop: Header=BB214_15 Depth=1
	s_or_b32 exec_lo, exec_lo, s20
.LBB214_609:                            ;   in Loop: Header=BB214_15 Depth=1
	s_or_b32 exec_lo, exec_lo, s19
.LBB214_610:                            ;   in Loop: Header=BB214_15 Depth=1
	s_or_b32 exec_lo, exec_lo, s18
	v_mov_b32_e32 v5, 0
	v_mov_b32_e32 v6, 0
	v_and_b32_sdwa v0, v4, v10 dst_sel:DWORD dst_unused:UNUSED_PAD src0_sel:WORD_1 src1_sel:DWORD
	s_mov_b32 s18, exec_lo
	buffer_store_dword v5, off, s[0:3], s32 offset:696 ; 4-byte Folded Spill
	buffer_store_dword v6, off, s[0:3], s32 offset:700 ; 4-byte Folded Spill
	v_mov_b32_e32 v5, 0
	v_mov_b32_e32 v6, 0
	buffer_store_dword v5, off, s[0:3], s32 offset:1208 ; 4-byte Folded Spill
	buffer_store_dword v6, off, s[0:3], s32 offset:1212 ; 4-byte Folded Spill
	v_cmpx_ne_u16_e32 0, v0
	s_cbranch_execz .LBB214_618
; %bb.611:                              ;   in Loop: Header=BB214_15 Depth=1
	v_cmp_ne_u16_e64 s5, 0x80, v0
	v_bfrev_b32_e32 v0, 1
	v_mov_b32_e32 v1, 0
	s_and_saveexec_b32 s19, s5
	s_cbranch_execz .LBB214_617
; %bb.612:                              ;   in Loop: Header=BB214_15 Depth=1
	v_mov_b32_e32 v0, 0x7f800001
	v_bfe_u32 v6, v4, 16, 7
	v_mov_b32_e32 v1, 0
	s_mov_b32 s20, exec_lo
	v_cmpx_ne_u32_e32 0x7f, v6
	s_cbranch_execz .LBB214_616
; %bb.613:                              ;   in Loop: Header=BB214_15 Depth=1
	v_mov_b32_e32 v0, 7
	v_lshrrev_b32_e32 v5, 3, v6
	s_mov_b32 s21, exec_lo
	v_and_b32_sdwa v92, v4, v0 dst_sel:DWORD dst_unused:UNUSED_PAD src0_sel:WORD_1 src1_sel:DWORD
	v_cmpx_gt_u32_e32 8, v6
; %bb.614:                              ;   in Loop: Header=BB214_15 Depth=1
	v_ffbh_u32_e32 v5, v92
	v_min_u32_e32 v5, 32, v5
	v_subrev_nc_u32_e32 v6, 28, v5
	v_sub_nc_u32_e32 v5, 29, v5
	v_lshlrev_b64 v[6:7], v6, v[92:93]
	v_and_b32_e32 v92, 7, v6
; %bb.615:                              ;   in Loop: Header=BB214_15 Depth=1
	s_or_b32 exec_lo, exec_lo, s21
	v_mov_b32_e32 v0, 24
	v_lshl_add_u32 v5, v5, 23, 0x3c000000
	v_lshlrev_b32_sdwa v6, v0, v4 dst_sel:DWORD dst_unused:UNUSED_PAD src0_sel:DWORD src1_sel:WORD_1
	v_lshlrev_b32_e32 v0, 20, v92
	v_and_b32_e32 v6, 0x80000000, v6
	v_or3_b32 v92, v0, v6, v5
	v_mov_b32_e32 v0, v92
	v_mov_b32_e32 v1, v93
.LBB214_616:                            ;   in Loop: Header=BB214_15 Depth=1
	s_or_b32 exec_lo, exec_lo, s20
.LBB214_617:                            ;   in Loop: Header=BB214_15 Depth=1
	s_or_b32 exec_lo, exec_lo, s19
	buffer_store_dword v0, off, s[0:3], s32 offset:1208 ; 4-byte Folded Spill
	buffer_store_dword v1, off, s[0:3], s32 offset:1212 ; 4-byte Folded Spill
.LBB214_618:                            ;   in Loop: Header=BB214_15 Depth=1
	s_or_b32 exec_lo, exec_lo, s18
	s_mov_b32 s18, exec_lo
	v_cmpx_lt_u32_e32 0xffffff, v4
	s_cbranch_execz .LBB214_626
; %bb.619:                              ;   in Loop: Header=BB214_15 Depth=1
	v_mov_b32_e32 v0, 0x80
	v_mov_b32_e32 v16, v93
	buffer_store_dword v16, off, s[0:3], s32 offset:696 ; 4-byte Folded Spill
	buffer_store_dword v17, off, s[0:3], s32 offset:700 ; 4-byte Folded Spill
	v_cmp_ne_u32_sdwa s5, v4, v0 src0_sel:BYTE_3 src1_sel:DWORD
	s_and_saveexec_b32 s19, s5
	s_cbranch_execz .LBB214_625
; %bb.620:                              ;   in Loop: Header=BB214_15 Depth=1
	s_clause 0x1
	buffer_load_dword v7, off, s[0:3], s32 offset:192
	buffer_load_dword v8, off, s[0:3], s32 offset:196
	v_bfe_u32 v6, v4, 24, 7
	s_waitcnt vmcnt(1)
	v_mov_b32_e32 v7, v93
	s_mov_b32 s20, exec_lo
	s_waitcnt vmcnt(0)
	v_mov_b32_e32 v5, v8
	buffer_store_dword v4, off, s[0:3], s32 offset:192 ; 4-byte Folded Spill
	buffer_store_dword v5, off, s[0:3], s32 offset:196 ; 4-byte Folded Spill
	;; [unrolled: 1-line block ×4, first 2 shown]
	v_cmpx_ne_u32_e32 0x7f, v6
	s_cbranch_execz .LBB214_624
; %bb.621:                              ;   in Loop: Header=BB214_15 Depth=1
	v_mov_b32_e32 v0, 7
	v_lshrrev_b32_e32 v5, 3, v6
	s_mov_b32 s21, exec_lo
	v_and_b32_sdwa v92, v4, v0 dst_sel:DWORD dst_unused:UNUSED_PAD src0_sel:BYTE_3 src1_sel:DWORD
	v_cmpx_gt_u32_e32 8, v6
; %bb.622:                              ;   in Loop: Header=BB214_15 Depth=1
	v_ffbh_u32_e32 v5, v92
	v_min_u32_e32 v5, 32, v5
	v_subrev_nc_u32_e32 v6, 28, v5
	v_sub_nc_u32_e32 v5, 29, v5
	v_lshlrev_b64 v[6:7], v6, v[92:93]
	v_and_b32_e32 v92, 7, v6
; %bb.623:                              ;   in Loop: Header=BB214_15 Depth=1
	s_or_b32 exec_lo, exec_lo, s21
	v_mov_b32_e32 v0, 24
	v_lshl_add_u32 v5, v5, 23, 0x3c000000
	v_lshlrev_b32_sdwa v4, v0, v4 dst_sel:DWORD dst_unused:UNUSED_PAD src0_sel:DWORD src1_sel:BYTE_3
	v_lshlrev_b32_e32 v0, 20, v92
	v_and_b32_e32 v4, 0x80000000, v4
	v_or3_b32 v1, v0, v4, v5
	v_mov_b32_e32 v0, v93
	buffer_store_dword v0, off, s[0:3], s32 offset:696 ; 4-byte Folded Spill
	buffer_store_dword v1, off, s[0:3], s32 offset:700 ; 4-byte Folded Spill
.LBB214_624:                            ;   in Loop: Header=BB214_15 Depth=1
	s_or_b32 exec_lo, exec_lo, s20
.LBB214_625:                            ;   in Loop: Header=BB214_15 Depth=1
	s_or_b32 exec_lo, exec_lo, s19
.LBB214_626:                            ;   in Loop: Header=BB214_15 Depth=1
	s_or_b32 exec_lo, exec_lo, s18
	flat_load_dword v4, v[2:3] offset:12
	v_mov_b32_e32 v0, 0
	v_mov_b32_e32 v1, 0
	buffer_store_dword v0, off, s[0:3], s32 offset:712 ; 4-byte Folded Spill
	buffer_store_dword v1, off, s[0:3], s32 offset:716 ; 4-byte Folded Spill
	v_mov_b32_e32 v0, 0
	v_mov_b32_e32 v1, 0
	buffer_store_dword v0, off, s[0:3], s32 offset:704 ; 4-byte Folded Spill
	buffer_store_dword v1, off, s[0:3], s32 offset:708 ; 4-byte Folded Spill
	s_waitcnt vmcnt(0) lgkmcnt(0)
	v_cmp_ne_u16_sdwa s5, v4, v93 src0_sel:BYTE_0 src1_sel:DWORD
	s_and_saveexec_b32 s18, s5
	s_cbranch_execz .LBB214_634
; %bb.627:                              ;   in Loop: Header=BB214_15 Depth=1
	v_bfrev_b32_e32 v0, 1
	v_mov_b32_e32 v1, 0
	buffer_store_dword v0, off, s[0:3], s32 offset:704 ; 4-byte Folded Spill
	buffer_store_dword v1, off, s[0:3], s32 offset:708 ; 4-byte Folded Spill
	v_mov_b32_e32 v0, 0x80
	v_cmp_ne_u16_sdwa s5, v4, v0 src0_sel:BYTE_0 src1_sel:DWORD
	s_and_saveexec_b32 s19, s5
	s_cbranch_execz .LBB214_633
; %bb.628:                              ;   in Loop: Header=BB214_15 Depth=1
	v_mov_b32_e32 v0, 0x7f800001
	v_and_b32_e32 v6, 0x7f, v4
	v_mov_b32_e32 v1, 0
	s_mov_b32 s20, exec_lo
	buffer_store_dword v0, off, s[0:3], s32 offset:704 ; 4-byte Folded Spill
	buffer_store_dword v1, off, s[0:3], s32 offset:708 ; 4-byte Folded Spill
	v_cmpx_ne_u32_e32 0x7f, v6
	s_cbranch_execz .LBB214_632
; %bb.629:                              ;   in Loop: Header=BB214_15 Depth=1
	v_and_b32_e32 v92, 7, v4
	v_lshrrev_b32_e32 v5, 3, v6
	s_mov_b32 s21, exec_lo
	v_cmpx_gt_u32_e32 8, v6
; %bb.630:                              ;   in Loop: Header=BB214_15 Depth=1
	v_ffbh_u32_e32 v5, v92
	v_min_u32_e32 v5, 32, v5
	v_subrev_nc_u32_e32 v6, 28, v5
	v_sub_nc_u32_e32 v5, 29, v5
	v_lshlrev_b64 v[6:7], v6, v[92:93]
	v_and_b32_e32 v92, 7, v6
; %bb.631:                              ;   in Loop: Header=BB214_15 Depth=1
	s_or_b32 exec_lo, exec_lo, s21
	v_lshlrev_b32_e32 v6, 24, v4
	v_lshlrev_b32_e32 v0, 20, v92
	v_lshl_add_u32 v5, v5, 23, 0x3c000000
	v_and_b32_e32 v6, 0x80000000, v6
	v_or3_b32 v92, v0, v6, v5
	buffer_store_dword v92, off, s[0:3], s32 offset:704 ; 4-byte Folded Spill
	buffer_store_dword v93, off, s[0:3], s32 offset:708 ; 4-byte Folded Spill
.LBB214_632:                            ;   in Loop: Header=BB214_15 Depth=1
	s_or_b32 exec_lo, exec_lo, s20
.LBB214_633:                            ;   in Loop: Header=BB214_15 Depth=1
	s_or_b32 exec_lo, exec_lo, s19
.LBB214_634:                            ;   in Loop: Header=BB214_15 Depth=1
	s_or_b32 exec_lo, exec_lo, s18
	v_cmp_ne_u16_sdwa s5, v4, v93 src0_sel:BYTE_1 src1_sel:DWORD
	s_and_saveexec_b32 s18, s5
	s_cbranch_execz .LBB214_642
; %bb.635:                              ;   in Loop: Header=BB214_15 Depth=1
	v_mov_b32_e32 v0, 0x80
	v_mov_b32_e32 v16, v93
	buffer_store_dword v16, off, s[0:3], s32 offset:712 ; 4-byte Folded Spill
	buffer_store_dword v17, off, s[0:3], s32 offset:716 ; 4-byte Folded Spill
	v_cmp_ne_u16_sdwa s5, v4, v0 src0_sel:BYTE_1 src1_sel:DWORD
	s_and_saveexec_b32 s19, s5
	s_cbranch_execz .LBB214_641
; %bb.636:                              ;   in Loop: Header=BB214_15 Depth=1
	s_clause 0x1
	buffer_load_dword v7, off, s[0:3], s32 offset:192
	buffer_load_dword v8, off, s[0:3], s32 offset:196
	v_mov_b32_e32 v0, 0xffff
	s_waitcnt vmcnt(1)
	v_mov_b32_e32 v7, v93
	s_mov_b32 s20, exec_lo
	v_and_b32_sdwa v0, v0, v4 dst_sel:DWORD dst_unused:UNUSED_PAD src0_sel:DWORD src1_sel:BYTE_1
	v_and_b32_e32 v6, 0x7f, v0
	s_waitcnt vmcnt(0)
	v_mov_b32_e32 v5, v8
	buffer_store_dword v4, off, s[0:3], s32 offset:192 ; 4-byte Folded Spill
	buffer_store_dword v5, off, s[0:3], s32 offset:196 ; 4-byte Folded Spill
	;; [unrolled: 1-line block ×4, first 2 shown]
	v_cmpx_ne_u32_e32 0x7f, v6
	s_cbranch_execz .LBB214_640
; %bb.637:                              ;   in Loop: Header=BB214_15 Depth=1
	v_and_b32_e32 v92, 7, v0
	v_lshrrev_b32_e32 v5, 3, v6
	s_mov_b32 s21, exec_lo
	v_cmpx_gt_u32_e32 8, v6
; %bb.638:                              ;   in Loop: Header=BB214_15 Depth=1
	v_ffbh_u32_e32 v5, v92
	v_min_u32_e32 v5, 32, v5
	v_subrev_nc_u32_e32 v6, 28, v5
	v_sub_nc_u32_e32 v5, 29, v5
	v_lshlrev_b64 v[6:7], v6, v[92:93]
	v_and_b32_e32 v92, 7, v6
; %bb.639:                              ;   in Loop: Header=BB214_15 Depth=1
	s_or_b32 exec_lo, exec_lo, s21
	v_lshlrev_b32_e32 v6, 16, v4
	v_lshlrev_b32_e32 v0, 20, v92
	v_lshl_add_u32 v5, v5, 23, 0x3c000000
	v_and_b32_e32 v6, 0x80000000, v6
	v_or3_b32 v1, v0, v6, v5
	v_mov_b32_e32 v0, v93
	buffer_store_dword v0, off, s[0:3], s32 offset:712 ; 4-byte Folded Spill
	buffer_store_dword v1, off, s[0:3], s32 offset:716 ; 4-byte Folded Spill
.LBB214_640:                            ;   in Loop: Header=BB214_15 Depth=1
	s_or_b32 exec_lo, exec_lo, s20
.LBB214_641:                            ;   in Loop: Header=BB214_15 Depth=1
	s_or_b32 exec_lo, exec_lo, s19
.LBB214_642:                            ;   in Loop: Header=BB214_15 Depth=1
	s_or_b32 exec_lo, exec_lo, s18
	v_mov_b32_e32 v5, 0
	v_mov_b32_e32 v6, 0
	v_and_b32_sdwa v0, v4, v10 dst_sel:DWORD dst_unused:UNUSED_PAD src0_sel:WORD_1 src1_sel:DWORD
	s_mov_b32 s18, exec_lo
	buffer_store_dword v5, off, s[0:3], s32 offset:720 ; 4-byte Folded Spill
	buffer_store_dword v6, off, s[0:3], s32 offset:724 ; 4-byte Folded Spill
	v_mov_b32_e32 v5, 0
	v_mov_b32_e32 v6, 0
	buffer_store_dword v5, off, s[0:3], s32 offset:1216 ; 4-byte Folded Spill
	buffer_store_dword v6, off, s[0:3], s32 offset:1220 ; 4-byte Folded Spill
	v_cmpx_ne_u16_e32 0, v0
	s_cbranch_execz .LBB214_650
; %bb.643:                              ;   in Loop: Header=BB214_15 Depth=1
	v_cmp_ne_u16_e64 s5, 0x80, v0
	v_bfrev_b32_e32 v0, 1
	v_mov_b32_e32 v1, 0
	s_and_saveexec_b32 s19, s5
	s_cbranch_execz .LBB214_649
; %bb.644:                              ;   in Loop: Header=BB214_15 Depth=1
	v_mov_b32_e32 v0, 0x7f800001
	v_bfe_u32 v6, v4, 16, 7
	v_mov_b32_e32 v1, 0
	s_mov_b32 s20, exec_lo
	v_cmpx_ne_u32_e32 0x7f, v6
	s_cbranch_execz .LBB214_648
; %bb.645:                              ;   in Loop: Header=BB214_15 Depth=1
	v_mov_b32_e32 v0, 7
	v_lshrrev_b32_e32 v5, 3, v6
	s_mov_b32 s21, exec_lo
	v_and_b32_sdwa v92, v4, v0 dst_sel:DWORD dst_unused:UNUSED_PAD src0_sel:WORD_1 src1_sel:DWORD
	v_cmpx_gt_u32_e32 8, v6
; %bb.646:                              ;   in Loop: Header=BB214_15 Depth=1
	v_ffbh_u32_e32 v5, v92
	v_min_u32_e32 v5, 32, v5
	v_subrev_nc_u32_e32 v6, 28, v5
	v_sub_nc_u32_e32 v5, 29, v5
	v_lshlrev_b64 v[6:7], v6, v[92:93]
	v_and_b32_e32 v92, 7, v6
; %bb.647:                              ;   in Loop: Header=BB214_15 Depth=1
	s_or_b32 exec_lo, exec_lo, s21
	v_mov_b32_e32 v0, 24
	v_lshl_add_u32 v5, v5, 23, 0x3c000000
	v_lshlrev_b32_sdwa v6, v0, v4 dst_sel:DWORD dst_unused:UNUSED_PAD src0_sel:DWORD src1_sel:WORD_1
	v_lshlrev_b32_e32 v0, 20, v92
	v_and_b32_e32 v6, 0x80000000, v6
	v_or3_b32 v92, v0, v6, v5
	v_mov_b32_e32 v0, v92
	v_mov_b32_e32 v1, v93
.LBB214_648:                            ;   in Loop: Header=BB214_15 Depth=1
	s_or_b32 exec_lo, exec_lo, s20
.LBB214_649:                            ;   in Loop: Header=BB214_15 Depth=1
	s_or_b32 exec_lo, exec_lo, s19
	buffer_store_dword v0, off, s[0:3], s32 offset:1216 ; 4-byte Folded Spill
	buffer_store_dword v1, off, s[0:3], s32 offset:1220 ; 4-byte Folded Spill
.LBB214_650:                            ;   in Loop: Header=BB214_15 Depth=1
	s_or_b32 exec_lo, exec_lo, s18
	s_mov_b32 s18, exec_lo
	v_cmpx_lt_u32_e32 0xffffff, v4
	s_cbranch_execz .LBB214_658
; %bb.651:                              ;   in Loop: Header=BB214_15 Depth=1
	v_mov_b32_e32 v0, 0x80
	v_mov_b32_e32 v16, v93
	buffer_store_dword v16, off, s[0:3], s32 offset:720 ; 4-byte Folded Spill
	buffer_store_dword v17, off, s[0:3], s32 offset:724 ; 4-byte Folded Spill
	v_cmp_ne_u32_sdwa s5, v4, v0 src0_sel:BYTE_3 src1_sel:DWORD
	s_and_saveexec_b32 s19, s5
	s_cbranch_execz .LBB214_657
; %bb.652:                              ;   in Loop: Header=BB214_15 Depth=1
	s_clause 0x1
	buffer_load_dword v7, off, s[0:3], s32 offset:192
	buffer_load_dword v8, off, s[0:3], s32 offset:196
	v_bfe_u32 v6, v4, 24, 7
	s_waitcnt vmcnt(1)
	v_mov_b32_e32 v7, v93
	s_mov_b32 s20, exec_lo
	s_waitcnt vmcnt(0)
	v_mov_b32_e32 v5, v8
	buffer_store_dword v4, off, s[0:3], s32 offset:192 ; 4-byte Folded Spill
	buffer_store_dword v5, off, s[0:3], s32 offset:196 ; 4-byte Folded Spill
	buffer_store_dword v7, off, s[0:3], s32 offset:720 ; 4-byte Folded Spill
	buffer_store_dword v8, off, s[0:3], s32 offset:724 ; 4-byte Folded Spill
	v_cmpx_ne_u32_e32 0x7f, v6
	s_cbranch_execz .LBB214_656
; %bb.653:                              ;   in Loop: Header=BB214_15 Depth=1
	v_mov_b32_e32 v0, 7
	v_lshrrev_b32_e32 v5, 3, v6
	s_mov_b32 s21, exec_lo
	v_and_b32_sdwa v92, v4, v0 dst_sel:DWORD dst_unused:UNUSED_PAD src0_sel:BYTE_3 src1_sel:DWORD
	v_cmpx_gt_u32_e32 8, v6
; %bb.654:                              ;   in Loop: Header=BB214_15 Depth=1
	v_ffbh_u32_e32 v5, v92
	v_min_u32_e32 v5, 32, v5
	v_subrev_nc_u32_e32 v6, 28, v5
	v_sub_nc_u32_e32 v5, 29, v5
	v_lshlrev_b64 v[6:7], v6, v[92:93]
	v_and_b32_e32 v92, 7, v6
; %bb.655:                              ;   in Loop: Header=BB214_15 Depth=1
	s_or_b32 exec_lo, exec_lo, s21
	v_mov_b32_e32 v0, 24
	v_lshl_add_u32 v5, v5, 23, 0x3c000000
	v_lshlrev_b32_sdwa v4, v0, v4 dst_sel:DWORD dst_unused:UNUSED_PAD src0_sel:DWORD src1_sel:BYTE_3
	v_lshlrev_b32_e32 v0, 20, v92
	v_and_b32_e32 v4, 0x80000000, v4
	v_or3_b32 v1, v0, v4, v5
	v_mov_b32_e32 v0, v93
	buffer_store_dword v0, off, s[0:3], s32 offset:720 ; 4-byte Folded Spill
	buffer_store_dword v1, off, s[0:3], s32 offset:724 ; 4-byte Folded Spill
.LBB214_656:                            ;   in Loop: Header=BB214_15 Depth=1
	s_or_b32 exec_lo, exec_lo, s20
.LBB214_657:                            ;   in Loop: Header=BB214_15 Depth=1
	s_or_b32 exec_lo, exec_lo, s19
.LBB214_658:                            ;   in Loop: Header=BB214_15 Depth=1
	s_or_b32 exec_lo, exec_lo, s18
	flat_load_dword v4, v[2:3] offset:512
	v_mov_b32_e32 v0, 0
	v_mov_b32_e32 v1, 0
	buffer_store_dword v0, off, s[0:3], s32 offset:736 ; 4-byte Folded Spill
	buffer_store_dword v1, off, s[0:3], s32 offset:740 ; 4-byte Folded Spill
	v_mov_b32_e32 v0, 0
	v_mov_b32_e32 v1, 0
	buffer_store_dword v0, off, s[0:3], s32 offset:728 ; 4-byte Folded Spill
	buffer_store_dword v1, off, s[0:3], s32 offset:732 ; 4-byte Folded Spill
	s_waitcnt vmcnt(0) lgkmcnt(0)
	v_cmp_ne_u16_sdwa s5, v4, v93 src0_sel:BYTE_0 src1_sel:DWORD
	s_and_saveexec_b32 s18, s5
	s_cbranch_execz .LBB214_666
; %bb.659:                              ;   in Loop: Header=BB214_15 Depth=1
	v_bfrev_b32_e32 v0, 1
	v_mov_b32_e32 v1, 0
	buffer_store_dword v0, off, s[0:3], s32 offset:728 ; 4-byte Folded Spill
	buffer_store_dword v1, off, s[0:3], s32 offset:732 ; 4-byte Folded Spill
	v_mov_b32_e32 v0, 0x80
	v_cmp_ne_u16_sdwa s5, v4, v0 src0_sel:BYTE_0 src1_sel:DWORD
	s_and_saveexec_b32 s19, s5
	s_cbranch_execz .LBB214_665
; %bb.660:                              ;   in Loop: Header=BB214_15 Depth=1
	v_mov_b32_e32 v0, 0x7f800001
	v_and_b32_e32 v6, 0x7f, v4
	v_mov_b32_e32 v1, 0
	s_mov_b32 s20, exec_lo
	buffer_store_dword v0, off, s[0:3], s32 offset:728 ; 4-byte Folded Spill
	buffer_store_dword v1, off, s[0:3], s32 offset:732 ; 4-byte Folded Spill
	v_cmpx_ne_u32_e32 0x7f, v6
	s_cbranch_execz .LBB214_664
; %bb.661:                              ;   in Loop: Header=BB214_15 Depth=1
	v_and_b32_e32 v92, 7, v4
	v_lshrrev_b32_e32 v5, 3, v6
	s_mov_b32 s21, exec_lo
	v_cmpx_gt_u32_e32 8, v6
; %bb.662:                              ;   in Loop: Header=BB214_15 Depth=1
	v_ffbh_u32_e32 v5, v92
	v_min_u32_e32 v5, 32, v5
	v_subrev_nc_u32_e32 v6, 28, v5
	v_sub_nc_u32_e32 v5, 29, v5
	v_lshlrev_b64 v[6:7], v6, v[92:93]
	v_and_b32_e32 v92, 7, v6
; %bb.663:                              ;   in Loop: Header=BB214_15 Depth=1
	s_or_b32 exec_lo, exec_lo, s21
	v_lshlrev_b32_e32 v6, 24, v4
	v_lshlrev_b32_e32 v0, 20, v92
	v_lshl_add_u32 v5, v5, 23, 0x3c000000
	v_and_b32_e32 v6, 0x80000000, v6
	v_or3_b32 v92, v0, v6, v5
	buffer_store_dword v92, off, s[0:3], s32 offset:728 ; 4-byte Folded Spill
	buffer_store_dword v93, off, s[0:3], s32 offset:732 ; 4-byte Folded Spill
.LBB214_664:                            ;   in Loop: Header=BB214_15 Depth=1
	s_or_b32 exec_lo, exec_lo, s20
.LBB214_665:                            ;   in Loop: Header=BB214_15 Depth=1
	s_or_b32 exec_lo, exec_lo, s19
.LBB214_666:                            ;   in Loop: Header=BB214_15 Depth=1
	s_or_b32 exec_lo, exec_lo, s18
	v_cmp_ne_u16_sdwa s5, v4, v93 src0_sel:BYTE_1 src1_sel:DWORD
	s_and_saveexec_b32 s18, s5
	s_cbranch_execz .LBB214_674
; %bb.667:                              ;   in Loop: Header=BB214_15 Depth=1
	v_mov_b32_e32 v0, 0x80
	v_mov_b32_e32 v16, v93
	buffer_store_dword v16, off, s[0:3], s32 offset:736 ; 4-byte Folded Spill
	buffer_store_dword v17, off, s[0:3], s32 offset:740 ; 4-byte Folded Spill
	v_cmp_ne_u16_sdwa s5, v4, v0 src0_sel:BYTE_1 src1_sel:DWORD
	s_and_saveexec_b32 s19, s5
	s_cbranch_execz .LBB214_673
; %bb.668:                              ;   in Loop: Header=BB214_15 Depth=1
	s_clause 0x1
	buffer_load_dword v7, off, s[0:3], s32 offset:192
	buffer_load_dword v8, off, s[0:3], s32 offset:196
	v_mov_b32_e32 v0, 0xffff
	s_waitcnt vmcnt(1)
	v_mov_b32_e32 v7, v93
	s_mov_b32 s20, exec_lo
	v_and_b32_sdwa v0, v0, v4 dst_sel:DWORD dst_unused:UNUSED_PAD src0_sel:DWORD src1_sel:BYTE_1
	v_and_b32_e32 v6, 0x7f, v0
	s_waitcnt vmcnt(0)
	v_mov_b32_e32 v5, v8
	buffer_store_dword v4, off, s[0:3], s32 offset:192 ; 4-byte Folded Spill
	buffer_store_dword v5, off, s[0:3], s32 offset:196 ; 4-byte Folded Spill
	;; [unrolled: 1-line block ×4, first 2 shown]
	v_cmpx_ne_u32_e32 0x7f, v6
	s_cbranch_execz .LBB214_672
; %bb.669:                              ;   in Loop: Header=BB214_15 Depth=1
	v_and_b32_e32 v92, 7, v0
	v_lshrrev_b32_e32 v5, 3, v6
	s_mov_b32 s21, exec_lo
	v_cmpx_gt_u32_e32 8, v6
; %bb.670:                              ;   in Loop: Header=BB214_15 Depth=1
	v_ffbh_u32_e32 v5, v92
	v_min_u32_e32 v5, 32, v5
	v_subrev_nc_u32_e32 v6, 28, v5
	v_sub_nc_u32_e32 v5, 29, v5
	v_lshlrev_b64 v[6:7], v6, v[92:93]
	v_and_b32_e32 v92, 7, v6
; %bb.671:                              ;   in Loop: Header=BB214_15 Depth=1
	s_or_b32 exec_lo, exec_lo, s21
	v_lshlrev_b32_e32 v6, 16, v4
	v_lshlrev_b32_e32 v0, 20, v92
	v_lshl_add_u32 v5, v5, 23, 0x3c000000
	v_and_b32_e32 v6, 0x80000000, v6
	v_or3_b32 v1, v0, v6, v5
	v_mov_b32_e32 v0, v93
	buffer_store_dword v0, off, s[0:3], s32 offset:736 ; 4-byte Folded Spill
	buffer_store_dword v1, off, s[0:3], s32 offset:740 ; 4-byte Folded Spill
.LBB214_672:                            ;   in Loop: Header=BB214_15 Depth=1
	s_or_b32 exec_lo, exec_lo, s20
.LBB214_673:                            ;   in Loop: Header=BB214_15 Depth=1
	s_or_b32 exec_lo, exec_lo, s19
.LBB214_674:                            ;   in Loop: Header=BB214_15 Depth=1
	s_or_b32 exec_lo, exec_lo, s18
	v_mov_b32_e32 v5, 0
	v_mov_b32_e32 v6, 0
	v_and_b32_sdwa v0, v4, v10 dst_sel:DWORD dst_unused:UNUSED_PAD src0_sel:WORD_1 src1_sel:DWORD
	s_mov_b32 s18, exec_lo
	buffer_store_dword v5, off, s[0:3], s32 offset:744 ; 4-byte Folded Spill
	buffer_store_dword v6, off, s[0:3], s32 offset:748 ; 4-byte Folded Spill
	v_mov_b32_e32 v5, 0
	v_mov_b32_e32 v6, 0
	buffer_store_dword v5, off, s[0:3], s32 offset:1224 ; 4-byte Folded Spill
	buffer_store_dword v6, off, s[0:3], s32 offset:1228 ; 4-byte Folded Spill
	v_cmpx_ne_u16_e32 0, v0
	s_cbranch_execz .LBB214_682
; %bb.675:                              ;   in Loop: Header=BB214_15 Depth=1
	v_cmp_ne_u16_e64 s5, 0x80, v0
	v_bfrev_b32_e32 v0, 1
	v_mov_b32_e32 v1, 0
	s_and_saveexec_b32 s19, s5
	s_cbranch_execz .LBB214_681
; %bb.676:                              ;   in Loop: Header=BB214_15 Depth=1
	v_mov_b32_e32 v0, 0x7f800001
	v_bfe_u32 v6, v4, 16, 7
	v_mov_b32_e32 v1, 0
	s_mov_b32 s20, exec_lo
	v_cmpx_ne_u32_e32 0x7f, v6
	s_cbranch_execz .LBB214_680
; %bb.677:                              ;   in Loop: Header=BB214_15 Depth=1
	v_mov_b32_e32 v0, 7
	v_lshrrev_b32_e32 v5, 3, v6
	s_mov_b32 s21, exec_lo
	v_and_b32_sdwa v92, v4, v0 dst_sel:DWORD dst_unused:UNUSED_PAD src0_sel:WORD_1 src1_sel:DWORD
	v_cmpx_gt_u32_e32 8, v6
; %bb.678:                              ;   in Loop: Header=BB214_15 Depth=1
	v_ffbh_u32_e32 v5, v92
	v_min_u32_e32 v5, 32, v5
	v_subrev_nc_u32_e32 v6, 28, v5
	v_sub_nc_u32_e32 v5, 29, v5
	v_lshlrev_b64 v[6:7], v6, v[92:93]
	v_and_b32_e32 v92, 7, v6
; %bb.679:                              ;   in Loop: Header=BB214_15 Depth=1
	s_or_b32 exec_lo, exec_lo, s21
	v_mov_b32_e32 v0, 24
	v_lshl_add_u32 v5, v5, 23, 0x3c000000
	v_lshlrev_b32_sdwa v6, v0, v4 dst_sel:DWORD dst_unused:UNUSED_PAD src0_sel:DWORD src1_sel:WORD_1
	v_lshlrev_b32_e32 v0, 20, v92
	v_and_b32_e32 v6, 0x80000000, v6
	v_or3_b32 v92, v0, v6, v5
	v_mov_b32_e32 v0, v92
	v_mov_b32_e32 v1, v93
.LBB214_680:                            ;   in Loop: Header=BB214_15 Depth=1
	s_or_b32 exec_lo, exec_lo, s20
.LBB214_681:                            ;   in Loop: Header=BB214_15 Depth=1
	s_or_b32 exec_lo, exec_lo, s19
	buffer_store_dword v0, off, s[0:3], s32 offset:1224 ; 4-byte Folded Spill
	buffer_store_dword v1, off, s[0:3], s32 offset:1228 ; 4-byte Folded Spill
.LBB214_682:                            ;   in Loop: Header=BB214_15 Depth=1
	s_or_b32 exec_lo, exec_lo, s18
	s_mov_b32 s18, exec_lo
	v_cmpx_lt_u32_e32 0xffffff, v4
	s_cbranch_execz .LBB214_690
; %bb.683:                              ;   in Loop: Header=BB214_15 Depth=1
	v_mov_b32_e32 v0, 0x80
	v_mov_b32_e32 v16, v93
	buffer_store_dword v16, off, s[0:3], s32 offset:744 ; 4-byte Folded Spill
	buffer_store_dword v17, off, s[0:3], s32 offset:748 ; 4-byte Folded Spill
	v_cmp_ne_u32_sdwa s5, v4, v0 src0_sel:BYTE_3 src1_sel:DWORD
	s_and_saveexec_b32 s19, s5
	s_cbranch_execz .LBB214_689
; %bb.684:                              ;   in Loop: Header=BB214_15 Depth=1
	s_clause 0x1
	buffer_load_dword v7, off, s[0:3], s32 offset:192
	buffer_load_dword v8, off, s[0:3], s32 offset:196
	v_bfe_u32 v6, v4, 24, 7
	s_waitcnt vmcnt(1)
	v_mov_b32_e32 v7, v93
	s_mov_b32 s20, exec_lo
	s_waitcnt vmcnt(0)
	v_mov_b32_e32 v5, v8
	buffer_store_dword v4, off, s[0:3], s32 offset:192 ; 4-byte Folded Spill
	buffer_store_dword v5, off, s[0:3], s32 offset:196 ; 4-byte Folded Spill
	;; [unrolled: 1-line block ×4, first 2 shown]
	v_cmpx_ne_u32_e32 0x7f, v6
	s_cbranch_execz .LBB214_688
; %bb.685:                              ;   in Loop: Header=BB214_15 Depth=1
	v_mov_b32_e32 v0, 7
	v_lshrrev_b32_e32 v5, 3, v6
	s_mov_b32 s21, exec_lo
	v_and_b32_sdwa v92, v4, v0 dst_sel:DWORD dst_unused:UNUSED_PAD src0_sel:BYTE_3 src1_sel:DWORD
	v_cmpx_gt_u32_e32 8, v6
; %bb.686:                              ;   in Loop: Header=BB214_15 Depth=1
	v_ffbh_u32_e32 v5, v92
	v_min_u32_e32 v5, 32, v5
	v_subrev_nc_u32_e32 v6, 28, v5
	v_sub_nc_u32_e32 v5, 29, v5
	v_lshlrev_b64 v[6:7], v6, v[92:93]
	v_and_b32_e32 v92, 7, v6
; %bb.687:                              ;   in Loop: Header=BB214_15 Depth=1
	s_or_b32 exec_lo, exec_lo, s21
	v_mov_b32_e32 v0, 24
	v_lshl_add_u32 v5, v5, 23, 0x3c000000
	v_lshlrev_b32_sdwa v4, v0, v4 dst_sel:DWORD dst_unused:UNUSED_PAD src0_sel:DWORD src1_sel:BYTE_3
	v_lshlrev_b32_e32 v0, 20, v92
	v_and_b32_e32 v4, 0x80000000, v4
	v_or3_b32 v1, v0, v4, v5
	v_mov_b32_e32 v0, v93
	buffer_store_dword v0, off, s[0:3], s32 offset:744 ; 4-byte Folded Spill
	buffer_store_dword v1, off, s[0:3], s32 offset:748 ; 4-byte Folded Spill
.LBB214_688:                            ;   in Loop: Header=BB214_15 Depth=1
	s_or_b32 exec_lo, exec_lo, s20
.LBB214_689:                            ;   in Loop: Header=BB214_15 Depth=1
	s_or_b32 exec_lo, exec_lo, s19
.LBB214_690:                            ;   in Loop: Header=BB214_15 Depth=1
	s_or_b32 exec_lo, exec_lo, s18
	flat_load_dword v4, v[2:3] offset:516
	v_mov_b32_e32 v0, 0
	v_mov_b32_e32 v1, 0
	buffer_store_dword v0, off, s[0:3], s32 offset:760 ; 4-byte Folded Spill
	buffer_store_dword v1, off, s[0:3], s32 offset:764 ; 4-byte Folded Spill
	v_mov_b32_e32 v0, 0
	v_mov_b32_e32 v1, 0
	buffer_store_dword v0, off, s[0:3], s32 offset:752 ; 4-byte Folded Spill
	buffer_store_dword v1, off, s[0:3], s32 offset:756 ; 4-byte Folded Spill
	s_waitcnt vmcnt(0) lgkmcnt(0)
	v_cmp_ne_u16_sdwa s5, v4, v93 src0_sel:BYTE_0 src1_sel:DWORD
	s_and_saveexec_b32 s18, s5
	s_cbranch_execz .LBB214_698
; %bb.691:                              ;   in Loop: Header=BB214_15 Depth=1
	v_bfrev_b32_e32 v0, 1
	v_mov_b32_e32 v1, 0
	buffer_store_dword v0, off, s[0:3], s32 offset:752 ; 4-byte Folded Spill
	buffer_store_dword v1, off, s[0:3], s32 offset:756 ; 4-byte Folded Spill
	v_mov_b32_e32 v0, 0x80
	v_cmp_ne_u16_sdwa s5, v4, v0 src0_sel:BYTE_0 src1_sel:DWORD
	s_and_saveexec_b32 s19, s5
	s_cbranch_execz .LBB214_697
; %bb.692:                              ;   in Loop: Header=BB214_15 Depth=1
	v_mov_b32_e32 v0, 0x7f800001
	v_and_b32_e32 v6, 0x7f, v4
	v_mov_b32_e32 v1, 0
	s_mov_b32 s20, exec_lo
	buffer_store_dword v0, off, s[0:3], s32 offset:752 ; 4-byte Folded Spill
	buffer_store_dword v1, off, s[0:3], s32 offset:756 ; 4-byte Folded Spill
	v_cmpx_ne_u32_e32 0x7f, v6
	s_cbranch_execz .LBB214_696
; %bb.693:                              ;   in Loop: Header=BB214_15 Depth=1
	v_and_b32_e32 v92, 7, v4
	v_lshrrev_b32_e32 v5, 3, v6
	s_mov_b32 s21, exec_lo
	v_cmpx_gt_u32_e32 8, v6
; %bb.694:                              ;   in Loop: Header=BB214_15 Depth=1
	v_ffbh_u32_e32 v5, v92
	v_min_u32_e32 v5, 32, v5
	v_subrev_nc_u32_e32 v6, 28, v5
	v_sub_nc_u32_e32 v5, 29, v5
	v_lshlrev_b64 v[6:7], v6, v[92:93]
	v_and_b32_e32 v92, 7, v6
; %bb.695:                              ;   in Loop: Header=BB214_15 Depth=1
	s_or_b32 exec_lo, exec_lo, s21
	v_lshlrev_b32_e32 v6, 24, v4
	v_lshlrev_b32_e32 v0, 20, v92
	v_lshl_add_u32 v5, v5, 23, 0x3c000000
	v_and_b32_e32 v6, 0x80000000, v6
	v_or3_b32 v92, v0, v6, v5
	buffer_store_dword v92, off, s[0:3], s32 offset:752 ; 4-byte Folded Spill
	buffer_store_dword v93, off, s[0:3], s32 offset:756 ; 4-byte Folded Spill
.LBB214_696:                            ;   in Loop: Header=BB214_15 Depth=1
	s_or_b32 exec_lo, exec_lo, s20
.LBB214_697:                            ;   in Loop: Header=BB214_15 Depth=1
	s_or_b32 exec_lo, exec_lo, s19
.LBB214_698:                            ;   in Loop: Header=BB214_15 Depth=1
	s_or_b32 exec_lo, exec_lo, s18
	v_cmp_ne_u16_sdwa s5, v4, v93 src0_sel:BYTE_1 src1_sel:DWORD
	s_and_saveexec_b32 s18, s5
	s_cbranch_execz .LBB214_706
; %bb.699:                              ;   in Loop: Header=BB214_15 Depth=1
	v_mov_b32_e32 v0, 0x80
	v_mov_b32_e32 v16, v93
	buffer_store_dword v16, off, s[0:3], s32 offset:760 ; 4-byte Folded Spill
	buffer_store_dword v17, off, s[0:3], s32 offset:764 ; 4-byte Folded Spill
	v_cmp_ne_u16_sdwa s5, v4, v0 src0_sel:BYTE_1 src1_sel:DWORD
	s_and_saveexec_b32 s19, s5
	s_cbranch_execz .LBB214_705
; %bb.700:                              ;   in Loop: Header=BB214_15 Depth=1
	s_clause 0x1
	buffer_load_dword v7, off, s[0:3], s32 offset:192
	buffer_load_dword v8, off, s[0:3], s32 offset:196
	v_mov_b32_e32 v0, 0xffff
	s_waitcnt vmcnt(1)
	v_mov_b32_e32 v7, v93
	s_mov_b32 s20, exec_lo
	v_and_b32_sdwa v0, v0, v4 dst_sel:DWORD dst_unused:UNUSED_PAD src0_sel:DWORD src1_sel:BYTE_1
	v_and_b32_e32 v6, 0x7f, v0
	s_waitcnt vmcnt(0)
	v_mov_b32_e32 v5, v8
	buffer_store_dword v4, off, s[0:3], s32 offset:192 ; 4-byte Folded Spill
	buffer_store_dword v5, off, s[0:3], s32 offset:196 ; 4-byte Folded Spill
	;; [unrolled: 1-line block ×4, first 2 shown]
	v_cmpx_ne_u32_e32 0x7f, v6
	s_cbranch_execz .LBB214_704
; %bb.701:                              ;   in Loop: Header=BB214_15 Depth=1
	v_and_b32_e32 v92, 7, v0
	v_lshrrev_b32_e32 v5, 3, v6
	s_mov_b32 s21, exec_lo
	v_cmpx_gt_u32_e32 8, v6
; %bb.702:                              ;   in Loop: Header=BB214_15 Depth=1
	v_ffbh_u32_e32 v5, v92
	v_min_u32_e32 v5, 32, v5
	v_subrev_nc_u32_e32 v6, 28, v5
	v_sub_nc_u32_e32 v5, 29, v5
	v_lshlrev_b64 v[6:7], v6, v[92:93]
	v_and_b32_e32 v92, 7, v6
; %bb.703:                              ;   in Loop: Header=BB214_15 Depth=1
	s_or_b32 exec_lo, exec_lo, s21
	v_lshlrev_b32_e32 v6, 16, v4
	v_lshlrev_b32_e32 v0, 20, v92
	v_lshl_add_u32 v5, v5, 23, 0x3c000000
	v_and_b32_e32 v6, 0x80000000, v6
	v_or3_b32 v1, v0, v6, v5
	v_mov_b32_e32 v0, v93
	buffer_store_dword v0, off, s[0:3], s32 offset:760 ; 4-byte Folded Spill
	buffer_store_dword v1, off, s[0:3], s32 offset:764 ; 4-byte Folded Spill
.LBB214_704:                            ;   in Loop: Header=BB214_15 Depth=1
	s_or_b32 exec_lo, exec_lo, s20
.LBB214_705:                            ;   in Loop: Header=BB214_15 Depth=1
	s_or_b32 exec_lo, exec_lo, s19
.LBB214_706:                            ;   in Loop: Header=BB214_15 Depth=1
	s_or_b32 exec_lo, exec_lo, s18
	v_mov_b32_e32 v5, 0
	v_mov_b32_e32 v6, 0
	v_and_b32_sdwa v0, v4, v10 dst_sel:DWORD dst_unused:UNUSED_PAD src0_sel:WORD_1 src1_sel:DWORD
	s_mov_b32 s18, exec_lo
	buffer_store_dword v5, off, s[0:3], s32 offset:768 ; 4-byte Folded Spill
	buffer_store_dword v6, off, s[0:3], s32 offset:772 ; 4-byte Folded Spill
	v_mov_b32_e32 v5, 0
	v_mov_b32_e32 v6, 0
	buffer_store_dword v5, off, s[0:3], s32 offset:1232 ; 4-byte Folded Spill
	buffer_store_dword v6, off, s[0:3], s32 offset:1236 ; 4-byte Folded Spill
	v_cmpx_ne_u16_e32 0, v0
	s_cbranch_execz .LBB214_714
; %bb.707:                              ;   in Loop: Header=BB214_15 Depth=1
	v_cmp_ne_u16_e64 s5, 0x80, v0
	v_bfrev_b32_e32 v0, 1
	v_mov_b32_e32 v1, 0
	s_and_saveexec_b32 s19, s5
	s_cbranch_execz .LBB214_713
; %bb.708:                              ;   in Loop: Header=BB214_15 Depth=1
	v_mov_b32_e32 v0, 0x7f800001
	v_bfe_u32 v6, v4, 16, 7
	v_mov_b32_e32 v1, 0
	s_mov_b32 s20, exec_lo
	v_cmpx_ne_u32_e32 0x7f, v6
	s_cbranch_execz .LBB214_712
; %bb.709:                              ;   in Loop: Header=BB214_15 Depth=1
	v_mov_b32_e32 v0, 7
	v_lshrrev_b32_e32 v5, 3, v6
	s_mov_b32 s21, exec_lo
	v_and_b32_sdwa v92, v4, v0 dst_sel:DWORD dst_unused:UNUSED_PAD src0_sel:WORD_1 src1_sel:DWORD
	v_cmpx_gt_u32_e32 8, v6
; %bb.710:                              ;   in Loop: Header=BB214_15 Depth=1
	v_ffbh_u32_e32 v5, v92
	v_min_u32_e32 v5, 32, v5
	v_subrev_nc_u32_e32 v6, 28, v5
	v_sub_nc_u32_e32 v5, 29, v5
	v_lshlrev_b64 v[6:7], v6, v[92:93]
	v_and_b32_e32 v92, 7, v6
; %bb.711:                              ;   in Loop: Header=BB214_15 Depth=1
	s_or_b32 exec_lo, exec_lo, s21
	v_mov_b32_e32 v0, 24
	v_lshl_add_u32 v5, v5, 23, 0x3c000000
	v_lshlrev_b32_sdwa v6, v0, v4 dst_sel:DWORD dst_unused:UNUSED_PAD src0_sel:DWORD src1_sel:WORD_1
	v_lshlrev_b32_e32 v0, 20, v92
	v_and_b32_e32 v6, 0x80000000, v6
	v_or3_b32 v92, v0, v6, v5
	v_mov_b32_e32 v0, v92
	v_mov_b32_e32 v1, v93
.LBB214_712:                            ;   in Loop: Header=BB214_15 Depth=1
	s_or_b32 exec_lo, exec_lo, s20
.LBB214_713:                            ;   in Loop: Header=BB214_15 Depth=1
	s_or_b32 exec_lo, exec_lo, s19
	buffer_store_dword v0, off, s[0:3], s32 offset:1232 ; 4-byte Folded Spill
	buffer_store_dword v1, off, s[0:3], s32 offset:1236 ; 4-byte Folded Spill
.LBB214_714:                            ;   in Loop: Header=BB214_15 Depth=1
	s_or_b32 exec_lo, exec_lo, s18
	s_mov_b32 s18, exec_lo
	v_cmpx_lt_u32_e32 0xffffff, v4
	s_cbranch_execz .LBB214_722
; %bb.715:                              ;   in Loop: Header=BB214_15 Depth=1
	v_mov_b32_e32 v0, 0x80
	v_mov_b32_e32 v16, v93
	buffer_store_dword v16, off, s[0:3], s32 offset:768 ; 4-byte Folded Spill
	buffer_store_dword v17, off, s[0:3], s32 offset:772 ; 4-byte Folded Spill
	v_cmp_ne_u32_sdwa s5, v4, v0 src0_sel:BYTE_3 src1_sel:DWORD
	s_and_saveexec_b32 s19, s5
	s_cbranch_execz .LBB214_721
; %bb.716:                              ;   in Loop: Header=BB214_15 Depth=1
	s_clause 0x1
	buffer_load_dword v7, off, s[0:3], s32 offset:192
	buffer_load_dword v8, off, s[0:3], s32 offset:196
	v_bfe_u32 v6, v4, 24, 7
	s_waitcnt vmcnt(1)
	v_mov_b32_e32 v7, v93
	s_mov_b32 s20, exec_lo
	s_waitcnt vmcnt(0)
	v_mov_b32_e32 v5, v8
	buffer_store_dword v4, off, s[0:3], s32 offset:192 ; 4-byte Folded Spill
	buffer_store_dword v5, off, s[0:3], s32 offset:196 ; 4-byte Folded Spill
	;; [unrolled: 1-line block ×4, first 2 shown]
	v_cmpx_ne_u32_e32 0x7f, v6
	s_cbranch_execz .LBB214_720
; %bb.717:                              ;   in Loop: Header=BB214_15 Depth=1
	v_mov_b32_e32 v0, 7
	v_lshrrev_b32_e32 v5, 3, v6
	s_mov_b32 s21, exec_lo
	v_and_b32_sdwa v92, v4, v0 dst_sel:DWORD dst_unused:UNUSED_PAD src0_sel:BYTE_3 src1_sel:DWORD
	v_cmpx_gt_u32_e32 8, v6
; %bb.718:                              ;   in Loop: Header=BB214_15 Depth=1
	v_ffbh_u32_e32 v5, v92
	v_min_u32_e32 v5, 32, v5
	v_subrev_nc_u32_e32 v6, 28, v5
	v_sub_nc_u32_e32 v5, 29, v5
	v_lshlrev_b64 v[6:7], v6, v[92:93]
	v_and_b32_e32 v92, 7, v6
; %bb.719:                              ;   in Loop: Header=BB214_15 Depth=1
	s_or_b32 exec_lo, exec_lo, s21
	v_mov_b32_e32 v0, 24
	v_lshl_add_u32 v5, v5, 23, 0x3c000000
	v_lshlrev_b32_sdwa v4, v0, v4 dst_sel:DWORD dst_unused:UNUSED_PAD src0_sel:DWORD src1_sel:BYTE_3
	v_lshlrev_b32_e32 v0, 20, v92
	v_and_b32_e32 v4, 0x80000000, v4
	v_or3_b32 v1, v0, v4, v5
	v_mov_b32_e32 v0, v93
	buffer_store_dword v0, off, s[0:3], s32 offset:768 ; 4-byte Folded Spill
	buffer_store_dword v1, off, s[0:3], s32 offset:772 ; 4-byte Folded Spill
.LBB214_720:                            ;   in Loop: Header=BB214_15 Depth=1
	s_or_b32 exec_lo, exec_lo, s20
.LBB214_721:                            ;   in Loop: Header=BB214_15 Depth=1
	s_or_b32 exec_lo, exec_lo, s19
.LBB214_722:                            ;   in Loop: Header=BB214_15 Depth=1
	s_or_b32 exec_lo, exec_lo, s18
	flat_load_dword v4, v[2:3] offset:520
	v_mov_b32_e32 v0, 0
	v_mov_b32_e32 v1, 0
	buffer_store_dword v0, off, s[0:3], s32 offset:784 ; 4-byte Folded Spill
	buffer_store_dword v1, off, s[0:3], s32 offset:788 ; 4-byte Folded Spill
	v_mov_b32_e32 v0, 0
	v_mov_b32_e32 v1, 0
	buffer_store_dword v0, off, s[0:3], s32 offset:776 ; 4-byte Folded Spill
	buffer_store_dword v1, off, s[0:3], s32 offset:780 ; 4-byte Folded Spill
	s_waitcnt vmcnt(0) lgkmcnt(0)
	v_cmp_ne_u16_sdwa s5, v4, v93 src0_sel:BYTE_0 src1_sel:DWORD
	s_and_saveexec_b32 s18, s5
	s_cbranch_execz .LBB214_730
; %bb.723:                              ;   in Loop: Header=BB214_15 Depth=1
	v_bfrev_b32_e32 v0, 1
	v_mov_b32_e32 v1, 0
	buffer_store_dword v0, off, s[0:3], s32 offset:776 ; 4-byte Folded Spill
	buffer_store_dword v1, off, s[0:3], s32 offset:780 ; 4-byte Folded Spill
	v_mov_b32_e32 v0, 0x80
	v_cmp_ne_u16_sdwa s5, v4, v0 src0_sel:BYTE_0 src1_sel:DWORD
	s_and_saveexec_b32 s19, s5
	s_cbranch_execz .LBB214_729
; %bb.724:                              ;   in Loop: Header=BB214_15 Depth=1
	v_mov_b32_e32 v0, 0x7f800001
	v_and_b32_e32 v6, 0x7f, v4
	v_mov_b32_e32 v1, 0
	s_mov_b32 s20, exec_lo
	buffer_store_dword v0, off, s[0:3], s32 offset:776 ; 4-byte Folded Spill
	buffer_store_dword v1, off, s[0:3], s32 offset:780 ; 4-byte Folded Spill
	v_cmpx_ne_u32_e32 0x7f, v6
	s_cbranch_execz .LBB214_728
; %bb.725:                              ;   in Loop: Header=BB214_15 Depth=1
	v_and_b32_e32 v92, 7, v4
	v_lshrrev_b32_e32 v5, 3, v6
	s_mov_b32 s21, exec_lo
	v_cmpx_gt_u32_e32 8, v6
; %bb.726:                              ;   in Loop: Header=BB214_15 Depth=1
	v_ffbh_u32_e32 v5, v92
	v_min_u32_e32 v5, 32, v5
	v_subrev_nc_u32_e32 v6, 28, v5
	v_sub_nc_u32_e32 v5, 29, v5
	v_lshlrev_b64 v[6:7], v6, v[92:93]
	v_and_b32_e32 v92, 7, v6
; %bb.727:                              ;   in Loop: Header=BB214_15 Depth=1
	s_or_b32 exec_lo, exec_lo, s21
	v_lshlrev_b32_e32 v6, 24, v4
	v_lshlrev_b32_e32 v0, 20, v92
	v_lshl_add_u32 v5, v5, 23, 0x3c000000
	v_and_b32_e32 v6, 0x80000000, v6
	v_or3_b32 v92, v0, v6, v5
	buffer_store_dword v92, off, s[0:3], s32 offset:776 ; 4-byte Folded Spill
	buffer_store_dword v93, off, s[0:3], s32 offset:780 ; 4-byte Folded Spill
.LBB214_728:                            ;   in Loop: Header=BB214_15 Depth=1
	s_or_b32 exec_lo, exec_lo, s20
.LBB214_729:                            ;   in Loop: Header=BB214_15 Depth=1
	s_or_b32 exec_lo, exec_lo, s19
.LBB214_730:                            ;   in Loop: Header=BB214_15 Depth=1
	s_or_b32 exec_lo, exec_lo, s18
	v_cmp_ne_u16_sdwa s5, v4, v93 src0_sel:BYTE_1 src1_sel:DWORD
	s_and_saveexec_b32 s18, s5
	s_cbranch_execz .LBB214_738
; %bb.731:                              ;   in Loop: Header=BB214_15 Depth=1
	v_mov_b32_e32 v0, 0x80
	v_mov_b32_e32 v16, v93
	buffer_store_dword v16, off, s[0:3], s32 offset:784 ; 4-byte Folded Spill
	buffer_store_dword v17, off, s[0:3], s32 offset:788 ; 4-byte Folded Spill
	v_cmp_ne_u16_sdwa s5, v4, v0 src0_sel:BYTE_1 src1_sel:DWORD
	s_and_saveexec_b32 s19, s5
	s_cbranch_execz .LBB214_737
; %bb.732:                              ;   in Loop: Header=BB214_15 Depth=1
	s_clause 0x1
	buffer_load_dword v7, off, s[0:3], s32 offset:192
	buffer_load_dword v8, off, s[0:3], s32 offset:196
	v_mov_b32_e32 v0, 0xffff
	s_waitcnt vmcnt(1)
	v_mov_b32_e32 v7, v93
	s_mov_b32 s20, exec_lo
	v_and_b32_sdwa v0, v0, v4 dst_sel:DWORD dst_unused:UNUSED_PAD src0_sel:DWORD src1_sel:BYTE_1
	v_and_b32_e32 v6, 0x7f, v0
	s_waitcnt vmcnt(0)
	v_mov_b32_e32 v5, v8
	buffer_store_dword v4, off, s[0:3], s32 offset:192 ; 4-byte Folded Spill
	buffer_store_dword v5, off, s[0:3], s32 offset:196 ; 4-byte Folded Spill
	;; [unrolled: 1-line block ×4, first 2 shown]
	v_cmpx_ne_u32_e32 0x7f, v6
	s_cbranch_execz .LBB214_736
; %bb.733:                              ;   in Loop: Header=BB214_15 Depth=1
	v_and_b32_e32 v92, 7, v0
	v_lshrrev_b32_e32 v5, 3, v6
	s_mov_b32 s21, exec_lo
	v_cmpx_gt_u32_e32 8, v6
; %bb.734:                              ;   in Loop: Header=BB214_15 Depth=1
	v_ffbh_u32_e32 v5, v92
	v_min_u32_e32 v5, 32, v5
	v_subrev_nc_u32_e32 v6, 28, v5
	v_sub_nc_u32_e32 v5, 29, v5
	v_lshlrev_b64 v[6:7], v6, v[92:93]
	v_and_b32_e32 v92, 7, v6
; %bb.735:                              ;   in Loop: Header=BB214_15 Depth=1
	s_or_b32 exec_lo, exec_lo, s21
	v_lshlrev_b32_e32 v6, 16, v4
	v_lshlrev_b32_e32 v0, 20, v92
	v_lshl_add_u32 v5, v5, 23, 0x3c000000
	v_and_b32_e32 v6, 0x80000000, v6
	v_or3_b32 v1, v0, v6, v5
	v_mov_b32_e32 v0, v93
	buffer_store_dword v0, off, s[0:3], s32 offset:784 ; 4-byte Folded Spill
	buffer_store_dword v1, off, s[0:3], s32 offset:788 ; 4-byte Folded Spill
.LBB214_736:                            ;   in Loop: Header=BB214_15 Depth=1
	s_or_b32 exec_lo, exec_lo, s20
.LBB214_737:                            ;   in Loop: Header=BB214_15 Depth=1
	s_or_b32 exec_lo, exec_lo, s19
.LBB214_738:                            ;   in Loop: Header=BB214_15 Depth=1
	s_or_b32 exec_lo, exec_lo, s18
	v_mov_b32_e32 v5, 0
	v_mov_b32_e32 v6, 0
	v_and_b32_sdwa v0, v4, v10 dst_sel:DWORD dst_unused:UNUSED_PAD src0_sel:WORD_1 src1_sel:DWORD
	s_mov_b32 s18, exec_lo
	buffer_store_dword v5, off, s[0:3], s32 offset:792 ; 4-byte Folded Spill
	buffer_store_dword v6, off, s[0:3], s32 offset:796 ; 4-byte Folded Spill
	v_mov_b32_e32 v5, 0
	v_mov_b32_e32 v6, 0
	buffer_store_dword v5, off, s[0:3], s32 offset:1240 ; 4-byte Folded Spill
	buffer_store_dword v6, off, s[0:3], s32 offset:1244 ; 4-byte Folded Spill
	v_cmpx_ne_u16_e32 0, v0
	s_cbranch_execz .LBB214_746
; %bb.739:                              ;   in Loop: Header=BB214_15 Depth=1
	v_cmp_ne_u16_e64 s5, 0x80, v0
	v_bfrev_b32_e32 v0, 1
	v_mov_b32_e32 v1, 0
	s_and_saveexec_b32 s19, s5
	s_cbranch_execz .LBB214_745
; %bb.740:                              ;   in Loop: Header=BB214_15 Depth=1
	v_mov_b32_e32 v0, 0x7f800001
	v_bfe_u32 v6, v4, 16, 7
	v_mov_b32_e32 v1, 0
	s_mov_b32 s20, exec_lo
	v_cmpx_ne_u32_e32 0x7f, v6
	s_cbranch_execz .LBB214_744
; %bb.741:                              ;   in Loop: Header=BB214_15 Depth=1
	v_mov_b32_e32 v0, 7
	v_lshrrev_b32_e32 v5, 3, v6
	s_mov_b32 s21, exec_lo
	v_and_b32_sdwa v92, v4, v0 dst_sel:DWORD dst_unused:UNUSED_PAD src0_sel:WORD_1 src1_sel:DWORD
	v_cmpx_gt_u32_e32 8, v6
; %bb.742:                              ;   in Loop: Header=BB214_15 Depth=1
	v_ffbh_u32_e32 v5, v92
	v_min_u32_e32 v5, 32, v5
	v_subrev_nc_u32_e32 v6, 28, v5
	v_sub_nc_u32_e32 v5, 29, v5
	v_lshlrev_b64 v[6:7], v6, v[92:93]
	v_and_b32_e32 v92, 7, v6
; %bb.743:                              ;   in Loop: Header=BB214_15 Depth=1
	s_or_b32 exec_lo, exec_lo, s21
	v_mov_b32_e32 v0, 24
	v_lshl_add_u32 v5, v5, 23, 0x3c000000
	v_lshlrev_b32_sdwa v6, v0, v4 dst_sel:DWORD dst_unused:UNUSED_PAD src0_sel:DWORD src1_sel:WORD_1
	v_lshlrev_b32_e32 v0, 20, v92
	v_and_b32_e32 v6, 0x80000000, v6
	v_or3_b32 v92, v0, v6, v5
	v_mov_b32_e32 v0, v92
	v_mov_b32_e32 v1, v93
.LBB214_744:                            ;   in Loop: Header=BB214_15 Depth=1
	s_or_b32 exec_lo, exec_lo, s20
.LBB214_745:                            ;   in Loop: Header=BB214_15 Depth=1
	s_or_b32 exec_lo, exec_lo, s19
	buffer_store_dword v0, off, s[0:3], s32 offset:1240 ; 4-byte Folded Spill
	buffer_store_dword v1, off, s[0:3], s32 offset:1244 ; 4-byte Folded Spill
.LBB214_746:                            ;   in Loop: Header=BB214_15 Depth=1
	s_or_b32 exec_lo, exec_lo, s18
	s_mov_b32 s18, exec_lo
	v_cmpx_lt_u32_e32 0xffffff, v4
	s_cbranch_execz .LBB214_754
; %bb.747:                              ;   in Loop: Header=BB214_15 Depth=1
	v_mov_b32_e32 v0, 0x80
	v_mov_b32_e32 v16, v93
	buffer_store_dword v16, off, s[0:3], s32 offset:792 ; 4-byte Folded Spill
	buffer_store_dword v17, off, s[0:3], s32 offset:796 ; 4-byte Folded Spill
	v_cmp_ne_u32_sdwa s5, v4, v0 src0_sel:BYTE_3 src1_sel:DWORD
	s_and_saveexec_b32 s19, s5
	s_cbranch_execz .LBB214_753
; %bb.748:                              ;   in Loop: Header=BB214_15 Depth=1
	s_clause 0x1
	buffer_load_dword v7, off, s[0:3], s32 offset:192
	buffer_load_dword v8, off, s[0:3], s32 offset:196
	v_bfe_u32 v6, v4, 24, 7
	s_waitcnt vmcnt(1)
	v_mov_b32_e32 v7, v93
	s_mov_b32 s20, exec_lo
	s_waitcnt vmcnt(0)
	v_mov_b32_e32 v5, v8
	buffer_store_dword v4, off, s[0:3], s32 offset:192 ; 4-byte Folded Spill
	buffer_store_dword v5, off, s[0:3], s32 offset:196 ; 4-byte Folded Spill
	buffer_store_dword v7, off, s[0:3], s32 offset:792 ; 4-byte Folded Spill
	buffer_store_dword v8, off, s[0:3], s32 offset:796 ; 4-byte Folded Spill
	v_cmpx_ne_u32_e32 0x7f, v6
	s_cbranch_execz .LBB214_752
; %bb.749:                              ;   in Loop: Header=BB214_15 Depth=1
	v_mov_b32_e32 v0, 7
	v_lshrrev_b32_e32 v5, 3, v6
	s_mov_b32 s21, exec_lo
	v_and_b32_sdwa v92, v4, v0 dst_sel:DWORD dst_unused:UNUSED_PAD src0_sel:BYTE_3 src1_sel:DWORD
	v_cmpx_gt_u32_e32 8, v6
; %bb.750:                              ;   in Loop: Header=BB214_15 Depth=1
	v_ffbh_u32_e32 v5, v92
	v_min_u32_e32 v5, 32, v5
	v_subrev_nc_u32_e32 v6, 28, v5
	v_sub_nc_u32_e32 v5, 29, v5
	v_lshlrev_b64 v[6:7], v6, v[92:93]
	v_and_b32_e32 v92, 7, v6
; %bb.751:                              ;   in Loop: Header=BB214_15 Depth=1
	s_or_b32 exec_lo, exec_lo, s21
	v_mov_b32_e32 v0, 24
	v_lshl_add_u32 v5, v5, 23, 0x3c000000
	v_lshlrev_b32_sdwa v4, v0, v4 dst_sel:DWORD dst_unused:UNUSED_PAD src0_sel:DWORD src1_sel:BYTE_3
	v_lshlrev_b32_e32 v0, 20, v92
	v_and_b32_e32 v4, 0x80000000, v4
	v_or3_b32 v1, v0, v4, v5
	v_mov_b32_e32 v0, v93
	buffer_store_dword v0, off, s[0:3], s32 offset:792 ; 4-byte Folded Spill
	buffer_store_dword v1, off, s[0:3], s32 offset:796 ; 4-byte Folded Spill
.LBB214_752:                            ;   in Loop: Header=BB214_15 Depth=1
	s_or_b32 exec_lo, exec_lo, s20
.LBB214_753:                            ;   in Loop: Header=BB214_15 Depth=1
	s_or_b32 exec_lo, exec_lo, s19
.LBB214_754:                            ;   in Loop: Header=BB214_15 Depth=1
	s_or_b32 exec_lo, exec_lo, s18
	flat_load_dword v4, v[2:3] offset:524
	v_mov_b32_e32 v0, 0
	v_mov_b32_e32 v64, 0
	;; [unrolled: 1-line block ×4, first 2 shown]
	buffer_store_dword v0, off, s[0:3], s32 offset:800 ; 4-byte Folded Spill
	buffer_store_dword v1, off, s[0:3], s32 offset:804 ; 4-byte Folded Spill
	s_waitcnt vmcnt(0) lgkmcnt(0)
	v_cmp_ne_u16_sdwa s5, v4, v93 src0_sel:BYTE_0 src1_sel:DWORD
	s_and_saveexec_b32 s18, s5
	s_cbranch_execz .LBB214_762
; %bb.755:                              ;   in Loop: Header=BB214_15 Depth=1
	v_mov_b32_e32 v0, 0x80
	v_bfrev_b32_e32 v64, 1
	v_mov_b32_e32 v65, 0
	v_cmp_ne_u16_sdwa s5, v4, v0 src0_sel:BYTE_0 src1_sel:DWORD
	s_and_saveexec_b32 s19, s5
	s_cbranch_execz .LBB214_761
; %bb.756:                              ;   in Loop: Header=BB214_15 Depth=1
	v_mov_b32_e32 v64, 0x7f800001
	v_and_b32_e32 v6, 0x7f, v4
	v_mov_b32_e32 v65, 0
	s_mov_b32 s20, exec_lo
	v_cmpx_ne_u32_e32 0x7f, v6
	s_cbranch_execz .LBB214_760
; %bb.757:                              ;   in Loop: Header=BB214_15 Depth=1
	v_and_b32_e32 v92, 7, v4
	v_lshrrev_b32_e32 v5, 3, v6
	s_mov_b32 s21, exec_lo
	v_cmpx_gt_u32_e32 8, v6
; %bb.758:                              ;   in Loop: Header=BB214_15 Depth=1
	v_ffbh_u32_e32 v5, v92
	v_min_u32_e32 v5, 32, v5
	v_subrev_nc_u32_e32 v6, 28, v5
	v_sub_nc_u32_e32 v5, 29, v5
	v_lshlrev_b64 v[6:7], v6, v[92:93]
	v_and_b32_e32 v92, 7, v6
; %bb.759:                              ;   in Loop: Header=BB214_15 Depth=1
	s_or_b32 exec_lo, exec_lo, s21
	v_lshlrev_b32_e32 v6, 24, v4
	v_lshlrev_b32_e32 v0, 20, v92
	v_lshl_add_u32 v5, v5, 23, 0x3c000000
	v_and_b32_e32 v6, 0x80000000, v6
	v_or3_b32 v92, v0, v6, v5
	v_mov_b32_e32 v64, v92
	v_mov_b32_e32 v65, v93
.LBB214_760:                            ;   in Loop: Header=BB214_15 Depth=1
	s_or_b32 exec_lo, exec_lo, s20
.LBB214_761:                            ;   in Loop: Header=BB214_15 Depth=1
	s_or_b32 exec_lo, exec_lo, s19
.LBB214_762:                            ;   in Loop: Header=BB214_15 Depth=1
	s_or_b32 exec_lo, exec_lo, s18
	v_cmp_ne_u16_sdwa s5, v4, v93 src0_sel:BYTE_1 src1_sel:DWORD
	s_and_saveexec_b32 s18, s5
	s_cbranch_execz .LBB214_770
; %bb.763:                              ;   in Loop: Header=BB214_15 Depth=1
	v_mov_b32_e32 v0, 0x80
	v_mov_b32_e32 v16, v93
	buffer_store_dword v16, off, s[0:3], s32 offset:800 ; 4-byte Folded Spill
	buffer_store_dword v17, off, s[0:3], s32 offset:804 ; 4-byte Folded Spill
	v_cmp_ne_u16_sdwa s5, v4, v0 src0_sel:BYTE_1 src1_sel:DWORD
	s_and_saveexec_b32 s19, s5
	s_cbranch_execz .LBB214_769
; %bb.764:                              ;   in Loop: Header=BB214_15 Depth=1
	s_clause 0x1
	buffer_load_dword v7, off, s[0:3], s32 offset:192
	buffer_load_dword v8, off, s[0:3], s32 offset:196
	v_mov_b32_e32 v0, 0xffff
	s_waitcnt vmcnt(1)
	v_mov_b32_e32 v7, v93
	s_mov_b32 s20, exec_lo
	v_and_b32_sdwa v0, v0, v4 dst_sel:DWORD dst_unused:UNUSED_PAD src0_sel:DWORD src1_sel:BYTE_1
	v_and_b32_e32 v6, 0x7f, v0
	s_waitcnt vmcnt(0)
	v_mov_b32_e32 v5, v8
	buffer_store_dword v4, off, s[0:3], s32 offset:192 ; 4-byte Folded Spill
	buffer_store_dword v5, off, s[0:3], s32 offset:196 ; 4-byte Folded Spill
	;; [unrolled: 1-line block ×4, first 2 shown]
	v_cmpx_ne_u32_e32 0x7f, v6
	s_cbranch_execz .LBB214_768
; %bb.765:                              ;   in Loop: Header=BB214_15 Depth=1
	v_and_b32_e32 v92, 7, v0
	v_lshrrev_b32_e32 v5, 3, v6
	s_mov_b32 s21, exec_lo
	v_cmpx_gt_u32_e32 8, v6
; %bb.766:                              ;   in Loop: Header=BB214_15 Depth=1
	v_ffbh_u32_e32 v5, v92
	v_min_u32_e32 v5, 32, v5
	v_subrev_nc_u32_e32 v6, 28, v5
	v_sub_nc_u32_e32 v5, 29, v5
	v_lshlrev_b64 v[6:7], v6, v[92:93]
	v_and_b32_e32 v92, 7, v6
; %bb.767:                              ;   in Loop: Header=BB214_15 Depth=1
	s_or_b32 exec_lo, exec_lo, s21
	v_lshlrev_b32_e32 v6, 16, v4
	v_lshlrev_b32_e32 v0, 20, v92
	v_lshl_add_u32 v5, v5, 23, 0x3c000000
	v_and_b32_e32 v6, 0x80000000, v6
	v_or3_b32 v1, v0, v6, v5
	v_mov_b32_e32 v0, v93
	buffer_store_dword v0, off, s[0:3], s32 offset:800 ; 4-byte Folded Spill
	buffer_store_dword v1, off, s[0:3], s32 offset:804 ; 4-byte Folded Spill
.LBB214_768:                            ;   in Loop: Header=BB214_15 Depth=1
	s_or_b32 exec_lo, exec_lo, s20
.LBB214_769:                            ;   in Loop: Header=BB214_15 Depth=1
	s_or_b32 exec_lo, exec_lo, s19
.LBB214_770:                            ;   in Loop: Header=BB214_15 Depth=1
	s_or_b32 exec_lo, exec_lo, s18
	v_mov_b32_e32 v5, 0
	v_mov_b32_e32 v6, 0
	v_and_b32_sdwa v0, v4, v10 dst_sel:DWORD dst_unused:UNUSED_PAD src0_sel:WORD_1 src1_sel:DWORD
	s_mov_b32 s18, exec_lo
	buffer_store_dword v5, off, s[0:3], s32 offset:808 ; 4-byte Folded Spill
	buffer_store_dword v6, off, s[0:3], s32 offset:812 ; 4-byte Folded Spill
	v_mov_b32_e32 v5, 0
	v_mov_b32_e32 v6, 0
	buffer_store_dword v5, off, s[0:3], s32 offset:1248 ; 4-byte Folded Spill
	buffer_store_dword v6, off, s[0:3], s32 offset:1252 ; 4-byte Folded Spill
	v_cmpx_ne_u16_e32 0, v0
	s_cbranch_execz .LBB214_778
; %bb.771:                              ;   in Loop: Header=BB214_15 Depth=1
	v_cmp_ne_u16_e64 s5, 0x80, v0
	v_bfrev_b32_e32 v0, 1
	v_mov_b32_e32 v1, 0
	s_and_saveexec_b32 s19, s5
	s_cbranch_execz .LBB214_777
; %bb.772:                              ;   in Loop: Header=BB214_15 Depth=1
	v_mov_b32_e32 v0, 0x7f800001
	v_bfe_u32 v6, v4, 16, 7
	v_mov_b32_e32 v1, 0
	s_mov_b32 s20, exec_lo
	v_cmpx_ne_u32_e32 0x7f, v6
	s_cbranch_execz .LBB214_776
; %bb.773:                              ;   in Loop: Header=BB214_15 Depth=1
	v_mov_b32_e32 v0, 7
	v_lshrrev_b32_e32 v5, 3, v6
	s_mov_b32 s21, exec_lo
	v_and_b32_sdwa v92, v4, v0 dst_sel:DWORD dst_unused:UNUSED_PAD src0_sel:WORD_1 src1_sel:DWORD
	v_cmpx_gt_u32_e32 8, v6
; %bb.774:                              ;   in Loop: Header=BB214_15 Depth=1
	v_ffbh_u32_e32 v5, v92
	v_min_u32_e32 v5, 32, v5
	v_subrev_nc_u32_e32 v6, 28, v5
	v_sub_nc_u32_e32 v5, 29, v5
	v_lshlrev_b64 v[6:7], v6, v[92:93]
	v_and_b32_e32 v92, 7, v6
; %bb.775:                              ;   in Loop: Header=BB214_15 Depth=1
	s_or_b32 exec_lo, exec_lo, s21
	v_mov_b32_e32 v0, 24
	v_lshl_add_u32 v5, v5, 23, 0x3c000000
	v_lshlrev_b32_sdwa v6, v0, v4 dst_sel:DWORD dst_unused:UNUSED_PAD src0_sel:DWORD src1_sel:WORD_1
	v_lshlrev_b32_e32 v0, 20, v92
	v_and_b32_e32 v6, 0x80000000, v6
	v_or3_b32 v92, v0, v6, v5
	v_mov_b32_e32 v0, v92
	v_mov_b32_e32 v1, v93
.LBB214_776:                            ;   in Loop: Header=BB214_15 Depth=1
	s_or_b32 exec_lo, exec_lo, s20
.LBB214_777:                            ;   in Loop: Header=BB214_15 Depth=1
	s_or_b32 exec_lo, exec_lo, s19
	buffer_store_dword v0, off, s[0:3], s32 offset:1248 ; 4-byte Folded Spill
	buffer_store_dword v1, off, s[0:3], s32 offset:1252 ; 4-byte Folded Spill
.LBB214_778:                            ;   in Loop: Header=BB214_15 Depth=1
	s_or_b32 exec_lo, exec_lo, s18
	s_mov_b32 s18, exec_lo
	v_cmpx_lt_u32_e32 0xffffff, v4
	s_cbranch_execz .LBB214_786
; %bb.779:                              ;   in Loop: Header=BB214_15 Depth=1
	v_mov_b32_e32 v0, 0x80
	v_mov_b32_e32 v16, v93
	buffer_store_dword v16, off, s[0:3], s32 offset:808 ; 4-byte Folded Spill
	buffer_store_dword v17, off, s[0:3], s32 offset:812 ; 4-byte Folded Spill
	v_cmp_ne_u32_sdwa s5, v4, v0 src0_sel:BYTE_3 src1_sel:DWORD
	s_and_saveexec_b32 s19, s5
	s_cbranch_execz .LBB214_785
; %bb.780:                              ;   in Loop: Header=BB214_15 Depth=1
	s_clause 0x1
	buffer_load_dword v7, off, s[0:3], s32 offset:192
	buffer_load_dword v8, off, s[0:3], s32 offset:196
	v_bfe_u32 v6, v4, 24, 7
	s_waitcnt vmcnt(1)
	v_mov_b32_e32 v7, v93
	s_mov_b32 s20, exec_lo
	s_waitcnt vmcnt(0)
	v_mov_b32_e32 v5, v8
	buffer_store_dword v4, off, s[0:3], s32 offset:192 ; 4-byte Folded Spill
	buffer_store_dword v5, off, s[0:3], s32 offset:196 ; 4-byte Folded Spill
	;; [unrolled: 1-line block ×4, first 2 shown]
	v_cmpx_ne_u32_e32 0x7f, v6
	s_cbranch_execz .LBB214_784
; %bb.781:                              ;   in Loop: Header=BB214_15 Depth=1
	v_mov_b32_e32 v0, 7
	v_lshrrev_b32_e32 v5, 3, v6
	s_mov_b32 s21, exec_lo
	v_and_b32_sdwa v92, v4, v0 dst_sel:DWORD dst_unused:UNUSED_PAD src0_sel:BYTE_3 src1_sel:DWORD
	v_cmpx_gt_u32_e32 8, v6
; %bb.782:                              ;   in Loop: Header=BB214_15 Depth=1
	v_ffbh_u32_e32 v5, v92
	v_min_u32_e32 v5, 32, v5
	v_subrev_nc_u32_e32 v6, 28, v5
	v_sub_nc_u32_e32 v5, 29, v5
	v_lshlrev_b64 v[6:7], v6, v[92:93]
	v_and_b32_e32 v92, 7, v6
; %bb.783:                              ;   in Loop: Header=BB214_15 Depth=1
	s_or_b32 exec_lo, exec_lo, s21
	v_mov_b32_e32 v0, 24
	v_lshl_add_u32 v5, v5, 23, 0x3c000000
	v_lshlrev_b32_sdwa v4, v0, v4 dst_sel:DWORD dst_unused:UNUSED_PAD src0_sel:DWORD src1_sel:BYTE_3
	v_lshlrev_b32_e32 v0, 20, v92
	v_and_b32_e32 v4, 0x80000000, v4
	v_or3_b32 v1, v0, v4, v5
	v_mov_b32_e32 v0, v93
	buffer_store_dword v0, off, s[0:3], s32 offset:808 ; 4-byte Folded Spill
	buffer_store_dword v1, off, s[0:3], s32 offset:812 ; 4-byte Folded Spill
.LBB214_784:                            ;   in Loop: Header=BB214_15 Depth=1
	s_or_b32 exec_lo, exec_lo, s20
.LBB214_785:                            ;   in Loop: Header=BB214_15 Depth=1
	s_or_b32 exec_lo, exec_lo, s19
.LBB214_786:                            ;   in Loop: Header=BB214_15 Depth=1
	s_or_b32 exec_lo, exec_lo, s18
	flat_load_dword v4, v[2:3] offset:1024
	v_mov_b32_e32 v0, 0
	v_mov_b32_e32 v1, 0
	buffer_store_dword v0, off, s[0:3], s32 offset:824 ; 4-byte Folded Spill
	buffer_store_dword v1, off, s[0:3], s32 offset:828 ; 4-byte Folded Spill
	v_mov_b32_e32 v0, 0
	v_mov_b32_e32 v1, 0
	buffer_store_dword v0, off, s[0:3], s32 offset:816 ; 4-byte Folded Spill
	buffer_store_dword v1, off, s[0:3], s32 offset:820 ; 4-byte Folded Spill
	s_waitcnt vmcnt(0) lgkmcnt(0)
	v_cmp_ne_u16_sdwa s5, v4, v93 src0_sel:BYTE_0 src1_sel:DWORD
	s_and_saveexec_b32 s18, s5
	s_cbranch_execz .LBB214_794
; %bb.787:                              ;   in Loop: Header=BB214_15 Depth=1
	v_bfrev_b32_e32 v0, 1
	v_mov_b32_e32 v1, 0
	buffer_store_dword v0, off, s[0:3], s32 offset:816 ; 4-byte Folded Spill
	buffer_store_dword v1, off, s[0:3], s32 offset:820 ; 4-byte Folded Spill
	v_mov_b32_e32 v0, 0x80
	v_cmp_ne_u16_sdwa s5, v4, v0 src0_sel:BYTE_0 src1_sel:DWORD
	s_and_saveexec_b32 s19, s5
	s_cbranch_execz .LBB214_793
; %bb.788:                              ;   in Loop: Header=BB214_15 Depth=1
	v_mov_b32_e32 v0, 0x7f800001
	v_and_b32_e32 v6, 0x7f, v4
	v_mov_b32_e32 v1, 0
	s_mov_b32 s20, exec_lo
	buffer_store_dword v0, off, s[0:3], s32 offset:816 ; 4-byte Folded Spill
	buffer_store_dword v1, off, s[0:3], s32 offset:820 ; 4-byte Folded Spill
	v_cmpx_ne_u32_e32 0x7f, v6
	s_cbranch_execz .LBB214_792
; %bb.789:                              ;   in Loop: Header=BB214_15 Depth=1
	v_and_b32_e32 v92, 7, v4
	v_lshrrev_b32_e32 v5, 3, v6
	s_mov_b32 s21, exec_lo
	v_cmpx_gt_u32_e32 8, v6
; %bb.790:                              ;   in Loop: Header=BB214_15 Depth=1
	v_ffbh_u32_e32 v5, v92
	v_min_u32_e32 v5, 32, v5
	v_subrev_nc_u32_e32 v6, 28, v5
	v_sub_nc_u32_e32 v5, 29, v5
	v_lshlrev_b64 v[6:7], v6, v[92:93]
	v_and_b32_e32 v92, 7, v6
; %bb.791:                              ;   in Loop: Header=BB214_15 Depth=1
	s_or_b32 exec_lo, exec_lo, s21
	v_lshlrev_b32_e32 v6, 24, v4
	v_lshlrev_b32_e32 v0, 20, v92
	v_lshl_add_u32 v5, v5, 23, 0x3c000000
	v_and_b32_e32 v6, 0x80000000, v6
	v_or3_b32 v92, v0, v6, v5
	buffer_store_dword v92, off, s[0:3], s32 offset:816 ; 4-byte Folded Spill
	buffer_store_dword v93, off, s[0:3], s32 offset:820 ; 4-byte Folded Spill
.LBB214_792:                            ;   in Loop: Header=BB214_15 Depth=1
	s_or_b32 exec_lo, exec_lo, s20
.LBB214_793:                            ;   in Loop: Header=BB214_15 Depth=1
	s_or_b32 exec_lo, exec_lo, s19
.LBB214_794:                            ;   in Loop: Header=BB214_15 Depth=1
	s_or_b32 exec_lo, exec_lo, s18
	v_cmp_ne_u16_sdwa s5, v4, v93 src0_sel:BYTE_1 src1_sel:DWORD
	s_and_saveexec_b32 s18, s5
	s_cbranch_execz .LBB214_802
; %bb.795:                              ;   in Loop: Header=BB214_15 Depth=1
	v_mov_b32_e32 v0, 0x80
	v_mov_b32_e32 v16, v93
	buffer_store_dword v16, off, s[0:3], s32 offset:824 ; 4-byte Folded Spill
	buffer_store_dword v17, off, s[0:3], s32 offset:828 ; 4-byte Folded Spill
	v_cmp_ne_u16_sdwa s5, v4, v0 src0_sel:BYTE_1 src1_sel:DWORD
	s_and_saveexec_b32 s19, s5
	s_cbranch_execz .LBB214_801
; %bb.796:                              ;   in Loop: Header=BB214_15 Depth=1
	s_clause 0x1
	buffer_load_dword v7, off, s[0:3], s32 offset:192
	buffer_load_dword v8, off, s[0:3], s32 offset:196
	v_mov_b32_e32 v0, 0xffff
	s_waitcnt vmcnt(1)
	v_mov_b32_e32 v7, v93
	s_mov_b32 s20, exec_lo
	v_and_b32_sdwa v0, v0, v4 dst_sel:DWORD dst_unused:UNUSED_PAD src0_sel:DWORD src1_sel:BYTE_1
	v_and_b32_e32 v6, 0x7f, v0
	s_waitcnt vmcnt(0)
	v_mov_b32_e32 v5, v8
	buffer_store_dword v4, off, s[0:3], s32 offset:192 ; 4-byte Folded Spill
	buffer_store_dword v5, off, s[0:3], s32 offset:196 ; 4-byte Folded Spill
	;; [unrolled: 1-line block ×4, first 2 shown]
	v_cmpx_ne_u32_e32 0x7f, v6
	s_cbranch_execz .LBB214_800
; %bb.797:                              ;   in Loop: Header=BB214_15 Depth=1
	v_and_b32_e32 v92, 7, v0
	v_lshrrev_b32_e32 v5, 3, v6
	s_mov_b32 s21, exec_lo
	v_cmpx_gt_u32_e32 8, v6
; %bb.798:                              ;   in Loop: Header=BB214_15 Depth=1
	v_ffbh_u32_e32 v5, v92
	v_min_u32_e32 v5, 32, v5
	v_subrev_nc_u32_e32 v6, 28, v5
	v_sub_nc_u32_e32 v5, 29, v5
	v_lshlrev_b64 v[6:7], v6, v[92:93]
	v_and_b32_e32 v92, 7, v6
; %bb.799:                              ;   in Loop: Header=BB214_15 Depth=1
	s_or_b32 exec_lo, exec_lo, s21
	v_lshlrev_b32_e32 v6, 16, v4
	v_lshlrev_b32_e32 v0, 20, v92
	v_lshl_add_u32 v5, v5, 23, 0x3c000000
	v_and_b32_e32 v6, 0x80000000, v6
	v_or3_b32 v1, v0, v6, v5
	v_mov_b32_e32 v0, v93
	buffer_store_dword v0, off, s[0:3], s32 offset:824 ; 4-byte Folded Spill
	buffer_store_dword v1, off, s[0:3], s32 offset:828 ; 4-byte Folded Spill
.LBB214_800:                            ;   in Loop: Header=BB214_15 Depth=1
	s_or_b32 exec_lo, exec_lo, s20
.LBB214_801:                            ;   in Loop: Header=BB214_15 Depth=1
	s_or_b32 exec_lo, exec_lo, s19
.LBB214_802:                            ;   in Loop: Header=BB214_15 Depth=1
	s_or_b32 exec_lo, exec_lo, s18
	v_mov_b32_e32 v5, 0
	v_mov_b32_e32 v6, 0
	v_and_b32_sdwa v0, v4, v10 dst_sel:DWORD dst_unused:UNUSED_PAD src0_sel:WORD_1 src1_sel:DWORD
	s_mov_b32 s18, exec_lo
	buffer_store_dword v5, off, s[0:3], s32 offset:832 ; 4-byte Folded Spill
	buffer_store_dword v6, off, s[0:3], s32 offset:836 ; 4-byte Folded Spill
	v_mov_b32_e32 v5, 0
	v_mov_b32_e32 v6, 0
	buffer_store_dword v5, off, s[0:3], s32 offset:1256 ; 4-byte Folded Spill
	buffer_store_dword v6, off, s[0:3], s32 offset:1260 ; 4-byte Folded Spill
	v_cmpx_ne_u16_e32 0, v0
	s_cbranch_execz .LBB214_810
; %bb.803:                              ;   in Loop: Header=BB214_15 Depth=1
	v_cmp_ne_u16_e64 s5, 0x80, v0
	v_bfrev_b32_e32 v0, 1
	v_mov_b32_e32 v1, 0
	s_and_saveexec_b32 s19, s5
	s_cbranch_execz .LBB214_809
; %bb.804:                              ;   in Loop: Header=BB214_15 Depth=1
	v_mov_b32_e32 v0, 0x7f800001
	v_bfe_u32 v6, v4, 16, 7
	v_mov_b32_e32 v1, 0
	s_mov_b32 s20, exec_lo
	v_cmpx_ne_u32_e32 0x7f, v6
	s_cbranch_execz .LBB214_808
; %bb.805:                              ;   in Loop: Header=BB214_15 Depth=1
	v_mov_b32_e32 v0, 7
	v_lshrrev_b32_e32 v5, 3, v6
	s_mov_b32 s21, exec_lo
	v_and_b32_sdwa v92, v4, v0 dst_sel:DWORD dst_unused:UNUSED_PAD src0_sel:WORD_1 src1_sel:DWORD
	v_cmpx_gt_u32_e32 8, v6
; %bb.806:                              ;   in Loop: Header=BB214_15 Depth=1
	v_ffbh_u32_e32 v5, v92
	v_min_u32_e32 v5, 32, v5
	v_subrev_nc_u32_e32 v6, 28, v5
	v_sub_nc_u32_e32 v5, 29, v5
	v_lshlrev_b64 v[6:7], v6, v[92:93]
	v_and_b32_e32 v92, 7, v6
; %bb.807:                              ;   in Loop: Header=BB214_15 Depth=1
	s_or_b32 exec_lo, exec_lo, s21
	v_mov_b32_e32 v0, 24
	v_lshl_add_u32 v5, v5, 23, 0x3c000000
	v_lshlrev_b32_sdwa v6, v0, v4 dst_sel:DWORD dst_unused:UNUSED_PAD src0_sel:DWORD src1_sel:WORD_1
	v_lshlrev_b32_e32 v0, 20, v92
	v_and_b32_e32 v6, 0x80000000, v6
	v_or3_b32 v92, v0, v6, v5
	v_mov_b32_e32 v0, v92
	v_mov_b32_e32 v1, v93
.LBB214_808:                            ;   in Loop: Header=BB214_15 Depth=1
	s_or_b32 exec_lo, exec_lo, s20
.LBB214_809:                            ;   in Loop: Header=BB214_15 Depth=1
	s_or_b32 exec_lo, exec_lo, s19
	buffer_store_dword v0, off, s[0:3], s32 offset:1256 ; 4-byte Folded Spill
	buffer_store_dword v1, off, s[0:3], s32 offset:1260 ; 4-byte Folded Spill
.LBB214_810:                            ;   in Loop: Header=BB214_15 Depth=1
	s_or_b32 exec_lo, exec_lo, s18
	s_mov_b32 s18, exec_lo
	v_cmpx_lt_u32_e32 0xffffff, v4
	s_cbranch_execz .LBB214_818
; %bb.811:                              ;   in Loop: Header=BB214_15 Depth=1
	v_mov_b32_e32 v0, 0x80
	v_mov_b32_e32 v16, v93
	buffer_store_dword v16, off, s[0:3], s32 offset:832 ; 4-byte Folded Spill
	buffer_store_dword v17, off, s[0:3], s32 offset:836 ; 4-byte Folded Spill
	v_cmp_ne_u32_sdwa s5, v4, v0 src0_sel:BYTE_3 src1_sel:DWORD
	s_and_saveexec_b32 s19, s5
	s_cbranch_execz .LBB214_817
; %bb.812:                              ;   in Loop: Header=BB214_15 Depth=1
	s_clause 0x1
	buffer_load_dword v7, off, s[0:3], s32 offset:192
	buffer_load_dword v8, off, s[0:3], s32 offset:196
	v_bfe_u32 v6, v4, 24, 7
	s_waitcnt vmcnt(1)
	v_mov_b32_e32 v7, v93
	s_mov_b32 s20, exec_lo
	s_waitcnt vmcnt(0)
	v_mov_b32_e32 v5, v8
	buffer_store_dword v4, off, s[0:3], s32 offset:192 ; 4-byte Folded Spill
	buffer_store_dword v5, off, s[0:3], s32 offset:196 ; 4-byte Folded Spill
	;; [unrolled: 1-line block ×4, first 2 shown]
	v_cmpx_ne_u32_e32 0x7f, v6
	s_cbranch_execz .LBB214_816
; %bb.813:                              ;   in Loop: Header=BB214_15 Depth=1
	v_mov_b32_e32 v0, 7
	v_lshrrev_b32_e32 v5, 3, v6
	s_mov_b32 s21, exec_lo
	v_and_b32_sdwa v92, v4, v0 dst_sel:DWORD dst_unused:UNUSED_PAD src0_sel:BYTE_3 src1_sel:DWORD
	v_cmpx_gt_u32_e32 8, v6
; %bb.814:                              ;   in Loop: Header=BB214_15 Depth=1
	v_ffbh_u32_e32 v5, v92
	v_min_u32_e32 v5, 32, v5
	v_subrev_nc_u32_e32 v6, 28, v5
	v_sub_nc_u32_e32 v5, 29, v5
	v_lshlrev_b64 v[6:7], v6, v[92:93]
	v_and_b32_e32 v92, 7, v6
; %bb.815:                              ;   in Loop: Header=BB214_15 Depth=1
	s_or_b32 exec_lo, exec_lo, s21
	v_mov_b32_e32 v0, 24
	v_lshl_add_u32 v5, v5, 23, 0x3c000000
	v_lshlrev_b32_sdwa v4, v0, v4 dst_sel:DWORD dst_unused:UNUSED_PAD src0_sel:DWORD src1_sel:BYTE_3
	v_lshlrev_b32_e32 v0, 20, v92
	v_and_b32_e32 v4, 0x80000000, v4
	v_or3_b32 v1, v0, v4, v5
	v_mov_b32_e32 v0, v93
	buffer_store_dword v0, off, s[0:3], s32 offset:832 ; 4-byte Folded Spill
	buffer_store_dword v1, off, s[0:3], s32 offset:836 ; 4-byte Folded Spill
.LBB214_816:                            ;   in Loop: Header=BB214_15 Depth=1
	s_or_b32 exec_lo, exec_lo, s20
.LBB214_817:                            ;   in Loop: Header=BB214_15 Depth=1
	s_or_b32 exec_lo, exec_lo, s19
.LBB214_818:                            ;   in Loop: Header=BB214_15 Depth=1
	s_or_b32 exec_lo, exec_lo, s18
	flat_load_dword v4, v[2:3] offset:1028
	v_mov_b32_e32 v0, 0
	v_mov_b32_e32 v1, 0
	buffer_store_dword v0, off, s[0:3], s32 offset:848 ; 4-byte Folded Spill
	buffer_store_dword v1, off, s[0:3], s32 offset:852 ; 4-byte Folded Spill
	v_mov_b32_e32 v0, 0
	v_mov_b32_e32 v1, 0
	buffer_store_dword v0, off, s[0:3], s32 offset:840 ; 4-byte Folded Spill
	buffer_store_dword v1, off, s[0:3], s32 offset:844 ; 4-byte Folded Spill
	s_waitcnt vmcnt(0) lgkmcnt(0)
	v_cmp_ne_u16_sdwa s5, v4, v93 src0_sel:BYTE_0 src1_sel:DWORD
	s_and_saveexec_b32 s18, s5
	s_cbranch_execz .LBB214_826
; %bb.819:                              ;   in Loop: Header=BB214_15 Depth=1
	v_bfrev_b32_e32 v0, 1
	v_mov_b32_e32 v1, 0
	buffer_store_dword v0, off, s[0:3], s32 offset:840 ; 4-byte Folded Spill
	buffer_store_dword v1, off, s[0:3], s32 offset:844 ; 4-byte Folded Spill
	v_mov_b32_e32 v0, 0x80
	v_cmp_ne_u16_sdwa s5, v4, v0 src0_sel:BYTE_0 src1_sel:DWORD
	s_and_saveexec_b32 s19, s5
	s_cbranch_execz .LBB214_825
; %bb.820:                              ;   in Loop: Header=BB214_15 Depth=1
	v_mov_b32_e32 v0, 0x7f800001
	v_and_b32_e32 v6, 0x7f, v4
	v_mov_b32_e32 v1, 0
	s_mov_b32 s20, exec_lo
	buffer_store_dword v0, off, s[0:3], s32 offset:840 ; 4-byte Folded Spill
	buffer_store_dword v1, off, s[0:3], s32 offset:844 ; 4-byte Folded Spill
	v_cmpx_ne_u32_e32 0x7f, v6
	s_cbranch_execz .LBB214_824
; %bb.821:                              ;   in Loop: Header=BB214_15 Depth=1
	v_and_b32_e32 v92, 7, v4
	v_lshrrev_b32_e32 v5, 3, v6
	s_mov_b32 s21, exec_lo
	v_cmpx_gt_u32_e32 8, v6
; %bb.822:                              ;   in Loop: Header=BB214_15 Depth=1
	v_ffbh_u32_e32 v5, v92
	v_min_u32_e32 v5, 32, v5
	v_subrev_nc_u32_e32 v6, 28, v5
	v_sub_nc_u32_e32 v5, 29, v5
	v_lshlrev_b64 v[6:7], v6, v[92:93]
	v_and_b32_e32 v92, 7, v6
; %bb.823:                              ;   in Loop: Header=BB214_15 Depth=1
	s_or_b32 exec_lo, exec_lo, s21
	v_lshlrev_b32_e32 v6, 24, v4
	v_lshlrev_b32_e32 v0, 20, v92
	v_lshl_add_u32 v5, v5, 23, 0x3c000000
	v_and_b32_e32 v6, 0x80000000, v6
	v_or3_b32 v92, v0, v6, v5
	buffer_store_dword v92, off, s[0:3], s32 offset:840 ; 4-byte Folded Spill
	buffer_store_dword v93, off, s[0:3], s32 offset:844 ; 4-byte Folded Spill
.LBB214_824:                            ;   in Loop: Header=BB214_15 Depth=1
	s_or_b32 exec_lo, exec_lo, s20
.LBB214_825:                            ;   in Loop: Header=BB214_15 Depth=1
	s_or_b32 exec_lo, exec_lo, s19
.LBB214_826:                            ;   in Loop: Header=BB214_15 Depth=1
	s_or_b32 exec_lo, exec_lo, s18
	v_cmp_ne_u16_sdwa s5, v4, v93 src0_sel:BYTE_1 src1_sel:DWORD
	s_and_saveexec_b32 s18, s5
	s_cbranch_execz .LBB214_834
; %bb.827:                              ;   in Loop: Header=BB214_15 Depth=1
	v_mov_b32_e32 v0, 0x80
	v_mov_b32_e32 v16, v93
	buffer_store_dword v16, off, s[0:3], s32 offset:848 ; 4-byte Folded Spill
	buffer_store_dword v17, off, s[0:3], s32 offset:852 ; 4-byte Folded Spill
	v_cmp_ne_u16_sdwa s5, v4, v0 src0_sel:BYTE_1 src1_sel:DWORD
	s_and_saveexec_b32 s19, s5
	s_cbranch_execz .LBB214_833
; %bb.828:                              ;   in Loop: Header=BB214_15 Depth=1
	s_clause 0x1
	buffer_load_dword v7, off, s[0:3], s32 offset:192
	buffer_load_dword v8, off, s[0:3], s32 offset:196
	v_mov_b32_e32 v0, 0xffff
	s_waitcnt vmcnt(1)
	v_mov_b32_e32 v7, v93
	s_mov_b32 s20, exec_lo
	v_and_b32_sdwa v0, v0, v4 dst_sel:DWORD dst_unused:UNUSED_PAD src0_sel:DWORD src1_sel:BYTE_1
	v_and_b32_e32 v6, 0x7f, v0
	s_waitcnt vmcnt(0)
	v_mov_b32_e32 v5, v8
	buffer_store_dword v4, off, s[0:3], s32 offset:192 ; 4-byte Folded Spill
	buffer_store_dword v5, off, s[0:3], s32 offset:196 ; 4-byte Folded Spill
	;; [unrolled: 1-line block ×4, first 2 shown]
	v_cmpx_ne_u32_e32 0x7f, v6
	s_cbranch_execz .LBB214_832
; %bb.829:                              ;   in Loop: Header=BB214_15 Depth=1
	v_and_b32_e32 v92, 7, v0
	v_lshrrev_b32_e32 v5, 3, v6
	s_mov_b32 s21, exec_lo
	v_cmpx_gt_u32_e32 8, v6
; %bb.830:                              ;   in Loop: Header=BB214_15 Depth=1
	v_ffbh_u32_e32 v5, v92
	v_min_u32_e32 v5, 32, v5
	v_subrev_nc_u32_e32 v6, 28, v5
	v_sub_nc_u32_e32 v5, 29, v5
	v_lshlrev_b64 v[6:7], v6, v[92:93]
	v_and_b32_e32 v92, 7, v6
; %bb.831:                              ;   in Loop: Header=BB214_15 Depth=1
	s_or_b32 exec_lo, exec_lo, s21
	v_lshlrev_b32_e32 v6, 16, v4
	v_lshlrev_b32_e32 v0, 20, v92
	v_lshl_add_u32 v5, v5, 23, 0x3c000000
	v_and_b32_e32 v6, 0x80000000, v6
	v_or3_b32 v1, v0, v6, v5
	v_mov_b32_e32 v0, v93
	buffer_store_dword v0, off, s[0:3], s32 offset:848 ; 4-byte Folded Spill
	buffer_store_dword v1, off, s[0:3], s32 offset:852 ; 4-byte Folded Spill
.LBB214_832:                            ;   in Loop: Header=BB214_15 Depth=1
	s_or_b32 exec_lo, exec_lo, s20
.LBB214_833:                            ;   in Loop: Header=BB214_15 Depth=1
	s_or_b32 exec_lo, exec_lo, s19
.LBB214_834:                            ;   in Loop: Header=BB214_15 Depth=1
	s_or_b32 exec_lo, exec_lo, s18
	v_mov_b32_e32 v5, 0
	v_mov_b32_e32 v6, 0
	v_and_b32_sdwa v0, v4, v10 dst_sel:DWORD dst_unused:UNUSED_PAD src0_sel:WORD_1 src1_sel:DWORD
	s_mov_b32 s18, exec_lo
	buffer_store_dword v5, off, s[0:3], s32 offset:856 ; 4-byte Folded Spill
	buffer_store_dword v6, off, s[0:3], s32 offset:860 ; 4-byte Folded Spill
	v_mov_b32_e32 v5, 0
	v_mov_b32_e32 v6, 0
	buffer_store_dword v5, off, s[0:3], s32 offset:1264 ; 4-byte Folded Spill
	buffer_store_dword v6, off, s[0:3], s32 offset:1268 ; 4-byte Folded Spill
	v_cmpx_ne_u16_e32 0, v0
	s_cbranch_execz .LBB214_842
; %bb.835:                              ;   in Loop: Header=BB214_15 Depth=1
	v_cmp_ne_u16_e64 s5, 0x80, v0
	v_bfrev_b32_e32 v0, 1
	v_mov_b32_e32 v1, 0
	s_and_saveexec_b32 s19, s5
	s_cbranch_execz .LBB214_841
; %bb.836:                              ;   in Loop: Header=BB214_15 Depth=1
	v_mov_b32_e32 v0, 0x7f800001
	v_bfe_u32 v6, v4, 16, 7
	v_mov_b32_e32 v1, 0
	s_mov_b32 s20, exec_lo
	v_cmpx_ne_u32_e32 0x7f, v6
	s_cbranch_execz .LBB214_840
; %bb.837:                              ;   in Loop: Header=BB214_15 Depth=1
	v_mov_b32_e32 v0, 7
	v_lshrrev_b32_e32 v5, 3, v6
	s_mov_b32 s21, exec_lo
	v_and_b32_sdwa v92, v4, v0 dst_sel:DWORD dst_unused:UNUSED_PAD src0_sel:WORD_1 src1_sel:DWORD
	v_cmpx_gt_u32_e32 8, v6
; %bb.838:                              ;   in Loop: Header=BB214_15 Depth=1
	v_ffbh_u32_e32 v5, v92
	v_min_u32_e32 v5, 32, v5
	v_subrev_nc_u32_e32 v6, 28, v5
	v_sub_nc_u32_e32 v5, 29, v5
	v_lshlrev_b64 v[6:7], v6, v[92:93]
	v_and_b32_e32 v92, 7, v6
; %bb.839:                              ;   in Loop: Header=BB214_15 Depth=1
	s_or_b32 exec_lo, exec_lo, s21
	v_mov_b32_e32 v0, 24
	v_lshl_add_u32 v5, v5, 23, 0x3c000000
	v_lshlrev_b32_sdwa v6, v0, v4 dst_sel:DWORD dst_unused:UNUSED_PAD src0_sel:DWORD src1_sel:WORD_1
	v_lshlrev_b32_e32 v0, 20, v92
	v_and_b32_e32 v6, 0x80000000, v6
	v_or3_b32 v92, v0, v6, v5
	v_mov_b32_e32 v0, v92
	v_mov_b32_e32 v1, v93
.LBB214_840:                            ;   in Loop: Header=BB214_15 Depth=1
	s_or_b32 exec_lo, exec_lo, s20
.LBB214_841:                            ;   in Loop: Header=BB214_15 Depth=1
	s_or_b32 exec_lo, exec_lo, s19
	buffer_store_dword v0, off, s[0:3], s32 offset:1264 ; 4-byte Folded Spill
	buffer_store_dword v1, off, s[0:3], s32 offset:1268 ; 4-byte Folded Spill
.LBB214_842:                            ;   in Loop: Header=BB214_15 Depth=1
	s_or_b32 exec_lo, exec_lo, s18
	s_mov_b32 s18, exec_lo
	v_cmpx_lt_u32_e32 0xffffff, v4
	s_cbranch_execz .LBB214_850
; %bb.843:                              ;   in Loop: Header=BB214_15 Depth=1
	v_mov_b32_e32 v0, 0x80
	v_mov_b32_e32 v16, v93
	buffer_store_dword v16, off, s[0:3], s32 offset:856 ; 4-byte Folded Spill
	buffer_store_dword v17, off, s[0:3], s32 offset:860 ; 4-byte Folded Spill
	v_cmp_ne_u32_sdwa s5, v4, v0 src0_sel:BYTE_3 src1_sel:DWORD
	s_and_saveexec_b32 s19, s5
	s_cbranch_execz .LBB214_849
; %bb.844:                              ;   in Loop: Header=BB214_15 Depth=1
	s_clause 0x1
	buffer_load_dword v7, off, s[0:3], s32 offset:192
	buffer_load_dword v8, off, s[0:3], s32 offset:196
	v_bfe_u32 v6, v4, 24, 7
	s_waitcnt vmcnt(1)
	v_mov_b32_e32 v7, v93
	s_mov_b32 s20, exec_lo
	s_waitcnt vmcnt(0)
	v_mov_b32_e32 v5, v8
	buffer_store_dword v4, off, s[0:3], s32 offset:192 ; 4-byte Folded Spill
	buffer_store_dword v5, off, s[0:3], s32 offset:196 ; 4-byte Folded Spill
	;; [unrolled: 1-line block ×4, first 2 shown]
	v_cmpx_ne_u32_e32 0x7f, v6
	s_cbranch_execz .LBB214_848
; %bb.845:                              ;   in Loop: Header=BB214_15 Depth=1
	v_mov_b32_e32 v0, 7
	v_lshrrev_b32_e32 v5, 3, v6
	s_mov_b32 s21, exec_lo
	v_and_b32_sdwa v92, v4, v0 dst_sel:DWORD dst_unused:UNUSED_PAD src0_sel:BYTE_3 src1_sel:DWORD
	v_cmpx_gt_u32_e32 8, v6
; %bb.846:                              ;   in Loop: Header=BB214_15 Depth=1
	v_ffbh_u32_e32 v5, v92
	v_min_u32_e32 v5, 32, v5
	v_subrev_nc_u32_e32 v6, 28, v5
	v_sub_nc_u32_e32 v5, 29, v5
	v_lshlrev_b64 v[6:7], v6, v[92:93]
	v_and_b32_e32 v92, 7, v6
; %bb.847:                              ;   in Loop: Header=BB214_15 Depth=1
	s_or_b32 exec_lo, exec_lo, s21
	v_mov_b32_e32 v0, 24
	v_lshl_add_u32 v5, v5, 23, 0x3c000000
	v_lshlrev_b32_sdwa v4, v0, v4 dst_sel:DWORD dst_unused:UNUSED_PAD src0_sel:DWORD src1_sel:BYTE_3
	v_lshlrev_b32_e32 v0, 20, v92
	v_and_b32_e32 v4, 0x80000000, v4
	v_or3_b32 v1, v0, v4, v5
	v_mov_b32_e32 v0, v93
	buffer_store_dword v0, off, s[0:3], s32 offset:856 ; 4-byte Folded Spill
	buffer_store_dword v1, off, s[0:3], s32 offset:860 ; 4-byte Folded Spill
.LBB214_848:                            ;   in Loop: Header=BB214_15 Depth=1
	s_or_b32 exec_lo, exec_lo, s20
.LBB214_849:                            ;   in Loop: Header=BB214_15 Depth=1
	s_or_b32 exec_lo, exec_lo, s19
.LBB214_850:                            ;   in Loop: Header=BB214_15 Depth=1
	s_or_b32 exec_lo, exec_lo, s18
	flat_load_dword v4, v[2:3] offset:1032
	v_mov_b32_e32 v0, 0
	v_mov_b32_e32 v1, 0
	buffer_store_dword v0, off, s[0:3], s32 offset:872 ; 4-byte Folded Spill
	buffer_store_dword v1, off, s[0:3], s32 offset:876 ; 4-byte Folded Spill
	v_mov_b32_e32 v0, 0
	v_mov_b32_e32 v1, 0
	buffer_store_dword v0, off, s[0:3], s32 offset:864 ; 4-byte Folded Spill
	buffer_store_dword v1, off, s[0:3], s32 offset:868 ; 4-byte Folded Spill
	s_waitcnt vmcnt(0) lgkmcnt(0)
	v_cmp_ne_u16_sdwa s5, v4, v93 src0_sel:BYTE_0 src1_sel:DWORD
	s_and_saveexec_b32 s18, s5
	s_cbranch_execz .LBB214_858
; %bb.851:                              ;   in Loop: Header=BB214_15 Depth=1
	v_bfrev_b32_e32 v0, 1
	v_mov_b32_e32 v1, 0
	buffer_store_dword v0, off, s[0:3], s32 offset:864 ; 4-byte Folded Spill
	buffer_store_dword v1, off, s[0:3], s32 offset:868 ; 4-byte Folded Spill
	v_mov_b32_e32 v0, 0x80
	v_cmp_ne_u16_sdwa s5, v4, v0 src0_sel:BYTE_0 src1_sel:DWORD
	s_and_saveexec_b32 s19, s5
	s_cbranch_execz .LBB214_857
; %bb.852:                              ;   in Loop: Header=BB214_15 Depth=1
	v_mov_b32_e32 v0, 0x7f800001
	v_and_b32_e32 v6, 0x7f, v4
	v_mov_b32_e32 v1, 0
	s_mov_b32 s20, exec_lo
	buffer_store_dword v0, off, s[0:3], s32 offset:864 ; 4-byte Folded Spill
	buffer_store_dword v1, off, s[0:3], s32 offset:868 ; 4-byte Folded Spill
	v_cmpx_ne_u32_e32 0x7f, v6
	s_cbranch_execz .LBB214_856
; %bb.853:                              ;   in Loop: Header=BB214_15 Depth=1
	v_and_b32_e32 v92, 7, v4
	v_lshrrev_b32_e32 v5, 3, v6
	s_mov_b32 s21, exec_lo
	v_cmpx_gt_u32_e32 8, v6
; %bb.854:                              ;   in Loop: Header=BB214_15 Depth=1
	v_ffbh_u32_e32 v5, v92
	v_min_u32_e32 v5, 32, v5
	v_subrev_nc_u32_e32 v6, 28, v5
	v_sub_nc_u32_e32 v5, 29, v5
	v_lshlrev_b64 v[6:7], v6, v[92:93]
	v_and_b32_e32 v92, 7, v6
; %bb.855:                              ;   in Loop: Header=BB214_15 Depth=1
	s_or_b32 exec_lo, exec_lo, s21
	v_lshlrev_b32_e32 v6, 24, v4
	v_lshlrev_b32_e32 v0, 20, v92
	v_lshl_add_u32 v5, v5, 23, 0x3c000000
	v_and_b32_e32 v6, 0x80000000, v6
	v_or3_b32 v92, v0, v6, v5
	buffer_store_dword v92, off, s[0:3], s32 offset:864 ; 4-byte Folded Spill
	buffer_store_dword v93, off, s[0:3], s32 offset:868 ; 4-byte Folded Spill
.LBB214_856:                            ;   in Loop: Header=BB214_15 Depth=1
	s_or_b32 exec_lo, exec_lo, s20
.LBB214_857:                            ;   in Loop: Header=BB214_15 Depth=1
	s_or_b32 exec_lo, exec_lo, s19
.LBB214_858:                            ;   in Loop: Header=BB214_15 Depth=1
	s_or_b32 exec_lo, exec_lo, s18
	v_cmp_ne_u16_sdwa s5, v4, v93 src0_sel:BYTE_1 src1_sel:DWORD
	s_and_saveexec_b32 s18, s5
	s_cbranch_execz .LBB214_866
; %bb.859:                              ;   in Loop: Header=BB214_15 Depth=1
	v_mov_b32_e32 v0, 0x80
	v_mov_b32_e32 v16, v93
	buffer_store_dword v16, off, s[0:3], s32 offset:872 ; 4-byte Folded Spill
	buffer_store_dword v17, off, s[0:3], s32 offset:876 ; 4-byte Folded Spill
	v_cmp_ne_u16_sdwa s5, v4, v0 src0_sel:BYTE_1 src1_sel:DWORD
	s_and_saveexec_b32 s19, s5
	s_cbranch_execz .LBB214_865
; %bb.860:                              ;   in Loop: Header=BB214_15 Depth=1
	s_clause 0x1
	buffer_load_dword v7, off, s[0:3], s32 offset:192
	buffer_load_dword v8, off, s[0:3], s32 offset:196
	v_mov_b32_e32 v0, 0xffff
	s_waitcnt vmcnt(1)
	v_mov_b32_e32 v7, v93
	s_mov_b32 s20, exec_lo
	v_and_b32_sdwa v0, v0, v4 dst_sel:DWORD dst_unused:UNUSED_PAD src0_sel:DWORD src1_sel:BYTE_1
	v_and_b32_e32 v6, 0x7f, v0
	s_waitcnt vmcnt(0)
	v_mov_b32_e32 v5, v8
	buffer_store_dword v4, off, s[0:3], s32 offset:192 ; 4-byte Folded Spill
	buffer_store_dword v5, off, s[0:3], s32 offset:196 ; 4-byte Folded Spill
	;; [unrolled: 1-line block ×4, first 2 shown]
	v_cmpx_ne_u32_e32 0x7f, v6
	s_cbranch_execz .LBB214_864
; %bb.861:                              ;   in Loop: Header=BB214_15 Depth=1
	v_and_b32_e32 v92, 7, v0
	v_lshrrev_b32_e32 v5, 3, v6
	s_mov_b32 s21, exec_lo
	v_cmpx_gt_u32_e32 8, v6
; %bb.862:                              ;   in Loop: Header=BB214_15 Depth=1
	v_ffbh_u32_e32 v5, v92
	v_min_u32_e32 v5, 32, v5
	v_subrev_nc_u32_e32 v6, 28, v5
	v_sub_nc_u32_e32 v5, 29, v5
	v_lshlrev_b64 v[6:7], v6, v[92:93]
	v_and_b32_e32 v92, 7, v6
; %bb.863:                              ;   in Loop: Header=BB214_15 Depth=1
	s_or_b32 exec_lo, exec_lo, s21
	v_lshlrev_b32_e32 v6, 16, v4
	v_lshlrev_b32_e32 v0, 20, v92
	v_lshl_add_u32 v5, v5, 23, 0x3c000000
	v_and_b32_e32 v6, 0x80000000, v6
	v_or3_b32 v1, v0, v6, v5
	v_mov_b32_e32 v0, v93
	buffer_store_dword v0, off, s[0:3], s32 offset:872 ; 4-byte Folded Spill
	buffer_store_dword v1, off, s[0:3], s32 offset:876 ; 4-byte Folded Spill
.LBB214_864:                            ;   in Loop: Header=BB214_15 Depth=1
	s_or_b32 exec_lo, exec_lo, s20
.LBB214_865:                            ;   in Loop: Header=BB214_15 Depth=1
	s_or_b32 exec_lo, exec_lo, s19
.LBB214_866:                            ;   in Loop: Header=BB214_15 Depth=1
	s_or_b32 exec_lo, exec_lo, s18
	v_mov_b32_e32 v5, 0
	v_mov_b32_e32 v6, 0
	v_and_b32_sdwa v0, v4, v10 dst_sel:DWORD dst_unused:UNUSED_PAD src0_sel:WORD_1 src1_sel:DWORD
	s_mov_b32 s18, exec_lo
	buffer_store_dword v5, off, s[0:3], s32 offset:880 ; 4-byte Folded Spill
	buffer_store_dword v6, off, s[0:3], s32 offset:884 ; 4-byte Folded Spill
	v_mov_b32_e32 v5, 0
	v_mov_b32_e32 v6, 0
	buffer_store_dword v5, off, s[0:3], s32 offset:1272 ; 4-byte Folded Spill
	buffer_store_dword v6, off, s[0:3], s32 offset:1276 ; 4-byte Folded Spill
	v_cmpx_ne_u16_e32 0, v0
	s_cbranch_execz .LBB214_874
; %bb.867:                              ;   in Loop: Header=BB214_15 Depth=1
	v_cmp_ne_u16_e64 s5, 0x80, v0
	v_bfrev_b32_e32 v0, 1
	v_mov_b32_e32 v1, 0
	s_and_saveexec_b32 s19, s5
	s_cbranch_execz .LBB214_873
; %bb.868:                              ;   in Loop: Header=BB214_15 Depth=1
	v_mov_b32_e32 v0, 0x7f800001
	v_bfe_u32 v6, v4, 16, 7
	v_mov_b32_e32 v1, 0
	s_mov_b32 s20, exec_lo
	v_cmpx_ne_u32_e32 0x7f, v6
	s_cbranch_execz .LBB214_872
; %bb.869:                              ;   in Loop: Header=BB214_15 Depth=1
	v_mov_b32_e32 v0, 7
	v_lshrrev_b32_e32 v5, 3, v6
	s_mov_b32 s21, exec_lo
	v_and_b32_sdwa v92, v4, v0 dst_sel:DWORD dst_unused:UNUSED_PAD src0_sel:WORD_1 src1_sel:DWORD
	v_cmpx_gt_u32_e32 8, v6
; %bb.870:                              ;   in Loop: Header=BB214_15 Depth=1
	v_ffbh_u32_e32 v5, v92
	v_min_u32_e32 v5, 32, v5
	v_subrev_nc_u32_e32 v6, 28, v5
	v_sub_nc_u32_e32 v5, 29, v5
	v_lshlrev_b64 v[6:7], v6, v[92:93]
	v_and_b32_e32 v92, 7, v6
; %bb.871:                              ;   in Loop: Header=BB214_15 Depth=1
	s_or_b32 exec_lo, exec_lo, s21
	v_mov_b32_e32 v0, 24
	v_lshl_add_u32 v5, v5, 23, 0x3c000000
	v_lshlrev_b32_sdwa v6, v0, v4 dst_sel:DWORD dst_unused:UNUSED_PAD src0_sel:DWORD src1_sel:WORD_1
	v_lshlrev_b32_e32 v0, 20, v92
	v_and_b32_e32 v6, 0x80000000, v6
	v_or3_b32 v92, v0, v6, v5
	v_mov_b32_e32 v0, v92
	v_mov_b32_e32 v1, v93
.LBB214_872:                            ;   in Loop: Header=BB214_15 Depth=1
	s_or_b32 exec_lo, exec_lo, s20
.LBB214_873:                            ;   in Loop: Header=BB214_15 Depth=1
	s_or_b32 exec_lo, exec_lo, s19
	buffer_store_dword v0, off, s[0:3], s32 offset:1272 ; 4-byte Folded Spill
	buffer_store_dword v1, off, s[0:3], s32 offset:1276 ; 4-byte Folded Spill
.LBB214_874:                            ;   in Loop: Header=BB214_15 Depth=1
	s_or_b32 exec_lo, exec_lo, s18
	s_mov_b32 s18, exec_lo
	v_cmpx_lt_u32_e32 0xffffff, v4
	s_cbranch_execz .LBB214_882
; %bb.875:                              ;   in Loop: Header=BB214_15 Depth=1
	v_mov_b32_e32 v0, 0x80
	v_mov_b32_e32 v16, v93
	buffer_store_dword v16, off, s[0:3], s32 offset:880 ; 4-byte Folded Spill
	buffer_store_dword v17, off, s[0:3], s32 offset:884 ; 4-byte Folded Spill
	v_cmp_ne_u32_sdwa s5, v4, v0 src0_sel:BYTE_3 src1_sel:DWORD
	s_and_saveexec_b32 s19, s5
	s_cbranch_execz .LBB214_881
; %bb.876:                              ;   in Loop: Header=BB214_15 Depth=1
	s_clause 0x1
	buffer_load_dword v7, off, s[0:3], s32 offset:192
	buffer_load_dword v8, off, s[0:3], s32 offset:196
	v_bfe_u32 v6, v4, 24, 7
	s_waitcnt vmcnt(1)
	v_mov_b32_e32 v7, v93
	s_mov_b32 s20, exec_lo
	s_waitcnt vmcnt(0)
	v_mov_b32_e32 v5, v8
	buffer_store_dword v4, off, s[0:3], s32 offset:192 ; 4-byte Folded Spill
	buffer_store_dword v5, off, s[0:3], s32 offset:196 ; 4-byte Folded Spill
	;; [unrolled: 1-line block ×4, first 2 shown]
	v_cmpx_ne_u32_e32 0x7f, v6
	s_cbranch_execz .LBB214_880
; %bb.877:                              ;   in Loop: Header=BB214_15 Depth=1
	v_mov_b32_e32 v0, 7
	v_lshrrev_b32_e32 v5, 3, v6
	s_mov_b32 s21, exec_lo
	v_and_b32_sdwa v92, v4, v0 dst_sel:DWORD dst_unused:UNUSED_PAD src0_sel:BYTE_3 src1_sel:DWORD
	v_cmpx_gt_u32_e32 8, v6
; %bb.878:                              ;   in Loop: Header=BB214_15 Depth=1
	v_ffbh_u32_e32 v5, v92
	v_min_u32_e32 v5, 32, v5
	v_subrev_nc_u32_e32 v6, 28, v5
	v_sub_nc_u32_e32 v5, 29, v5
	v_lshlrev_b64 v[6:7], v6, v[92:93]
	v_and_b32_e32 v92, 7, v6
; %bb.879:                              ;   in Loop: Header=BB214_15 Depth=1
	s_or_b32 exec_lo, exec_lo, s21
	v_mov_b32_e32 v0, 24
	v_lshl_add_u32 v5, v5, 23, 0x3c000000
	v_lshlrev_b32_sdwa v4, v0, v4 dst_sel:DWORD dst_unused:UNUSED_PAD src0_sel:DWORD src1_sel:BYTE_3
	v_lshlrev_b32_e32 v0, 20, v92
	v_and_b32_e32 v4, 0x80000000, v4
	v_or3_b32 v1, v0, v4, v5
	v_mov_b32_e32 v0, v93
	buffer_store_dword v0, off, s[0:3], s32 offset:880 ; 4-byte Folded Spill
	buffer_store_dword v1, off, s[0:3], s32 offset:884 ; 4-byte Folded Spill
.LBB214_880:                            ;   in Loop: Header=BB214_15 Depth=1
	s_or_b32 exec_lo, exec_lo, s20
.LBB214_881:                            ;   in Loop: Header=BB214_15 Depth=1
	s_or_b32 exec_lo, exec_lo, s19
.LBB214_882:                            ;   in Loop: Header=BB214_15 Depth=1
	s_or_b32 exec_lo, exec_lo, s18
	flat_load_dword v4, v[2:3] offset:1036
	v_mov_b32_e32 v0, 0
	v_mov_b32_e32 v1, 0
	buffer_store_dword v0, off, s[0:3], s32 offset:896 ; 4-byte Folded Spill
	buffer_store_dword v1, off, s[0:3], s32 offset:900 ; 4-byte Folded Spill
	v_mov_b32_e32 v0, 0
	v_mov_b32_e32 v1, 0
	buffer_store_dword v0, off, s[0:3], s32 offset:888 ; 4-byte Folded Spill
	buffer_store_dword v1, off, s[0:3], s32 offset:892 ; 4-byte Folded Spill
	s_waitcnt vmcnt(0) lgkmcnt(0)
	v_cmp_ne_u16_sdwa s5, v4, v93 src0_sel:BYTE_0 src1_sel:DWORD
	s_and_saveexec_b32 s18, s5
	s_cbranch_execz .LBB214_890
; %bb.883:                              ;   in Loop: Header=BB214_15 Depth=1
	v_bfrev_b32_e32 v0, 1
	v_mov_b32_e32 v1, 0
	buffer_store_dword v0, off, s[0:3], s32 offset:888 ; 4-byte Folded Spill
	buffer_store_dword v1, off, s[0:3], s32 offset:892 ; 4-byte Folded Spill
	v_mov_b32_e32 v0, 0x80
	v_cmp_ne_u16_sdwa s5, v4, v0 src0_sel:BYTE_0 src1_sel:DWORD
	s_and_saveexec_b32 s19, s5
	s_cbranch_execz .LBB214_889
; %bb.884:                              ;   in Loop: Header=BB214_15 Depth=1
	v_mov_b32_e32 v0, 0x7f800001
	v_and_b32_e32 v6, 0x7f, v4
	v_mov_b32_e32 v1, 0
	s_mov_b32 s20, exec_lo
	buffer_store_dword v0, off, s[0:3], s32 offset:888 ; 4-byte Folded Spill
	buffer_store_dword v1, off, s[0:3], s32 offset:892 ; 4-byte Folded Spill
	v_cmpx_ne_u32_e32 0x7f, v6
	s_cbranch_execz .LBB214_888
; %bb.885:                              ;   in Loop: Header=BB214_15 Depth=1
	v_and_b32_e32 v92, 7, v4
	v_lshrrev_b32_e32 v5, 3, v6
	s_mov_b32 s21, exec_lo
	v_cmpx_gt_u32_e32 8, v6
; %bb.886:                              ;   in Loop: Header=BB214_15 Depth=1
	v_ffbh_u32_e32 v5, v92
	v_min_u32_e32 v5, 32, v5
	v_subrev_nc_u32_e32 v6, 28, v5
	v_sub_nc_u32_e32 v5, 29, v5
	v_lshlrev_b64 v[6:7], v6, v[92:93]
	v_and_b32_e32 v92, 7, v6
; %bb.887:                              ;   in Loop: Header=BB214_15 Depth=1
	s_or_b32 exec_lo, exec_lo, s21
	v_lshlrev_b32_e32 v6, 24, v4
	v_lshlrev_b32_e32 v0, 20, v92
	v_lshl_add_u32 v5, v5, 23, 0x3c000000
	v_and_b32_e32 v6, 0x80000000, v6
	v_or3_b32 v92, v0, v6, v5
	buffer_store_dword v92, off, s[0:3], s32 offset:888 ; 4-byte Folded Spill
	buffer_store_dword v93, off, s[0:3], s32 offset:892 ; 4-byte Folded Spill
.LBB214_888:                            ;   in Loop: Header=BB214_15 Depth=1
	s_or_b32 exec_lo, exec_lo, s20
.LBB214_889:                            ;   in Loop: Header=BB214_15 Depth=1
	s_or_b32 exec_lo, exec_lo, s19
.LBB214_890:                            ;   in Loop: Header=BB214_15 Depth=1
	s_or_b32 exec_lo, exec_lo, s18
	v_cmp_ne_u16_sdwa s5, v4, v93 src0_sel:BYTE_1 src1_sel:DWORD
	s_and_saveexec_b32 s18, s5
	s_cbranch_execz .LBB214_898
; %bb.891:                              ;   in Loop: Header=BB214_15 Depth=1
	v_mov_b32_e32 v0, 0x80
	v_mov_b32_e32 v16, v93
	buffer_store_dword v16, off, s[0:3], s32 offset:896 ; 4-byte Folded Spill
	buffer_store_dword v17, off, s[0:3], s32 offset:900 ; 4-byte Folded Spill
	v_cmp_ne_u16_sdwa s5, v4, v0 src0_sel:BYTE_1 src1_sel:DWORD
	s_and_saveexec_b32 s19, s5
	s_cbranch_execz .LBB214_897
; %bb.892:                              ;   in Loop: Header=BB214_15 Depth=1
	s_clause 0x1
	buffer_load_dword v7, off, s[0:3], s32 offset:192
	buffer_load_dword v8, off, s[0:3], s32 offset:196
	v_mov_b32_e32 v0, 0xffff
	s_waitcnt vmcnt(1)
	v_mov_b32_e32 v7, v93
	s_mov_b32 s20, exec_lo
	v_and_b32_sdwa v0, v0, v4 dst_sel:DWORD dst_unused:UNUSED_PAD src0_sel:DWORD src1_sel:BYTE_1
	v_and_b32_e32 v6, 0x7f, v0
	s_waitcnt vmcnt(0)
	v_mov_b32_e32 v5, v8
	buffer_store_dword v4, off, s[0:3], s32 offset:192 ; 4-byte Folded Spill
	buffer_store_dword v5, off, s[0:3], s32 offset:196 ; 4-byte Folded Spill
	;; [unrolled: 1-line block ×4, first 2 shown]
	v_cmpx_ne_u32_e32 0x7f, v6
	s_cbranch_execz .LBB214_896
; %bb.893:                              ;   in Loop: Header=BB214_15 Depth=1
	v_and_b32_e32 v92, 7, v0
	v_lshrrev_b32_e32 v5, 3, v6
	s_mov_b32 s21, exec_lo
	v_cmpx_gt_u32_e32 8, v6
; %bb.894:                              ;   in Loop: Header=BB214_15 Depth=1
	v_ffbh_u32_e32 v5, v92
	v_min_u32_e32 v5, 32, v5
	v_subrev_nc_u32_e32 v6, 28, v5
	v_sub_nc_u32_e32 v5, 29, v5
	v_lshlrev_b64 v[6:7], v6, v[92:93]
	v_and_b32_e32 v92, 7, v6
; %bb.895:                              ;   in Loop: Header=BB214_15 Depth=1
	s_or_b32 exec_lo, exec_lo, s21
	v_lshlrev_b32_e32 v6, 16, v4
	v_lshlrev_b32_e32 v0, 20, v92
	v_lshl_add_u32 v5, v5, 23, 0x3c000000
	v_and_b32_e32 v6, 0x80000000, v6
	v_or3_b32 v1, v0, v6, v5
	v_mov_b32_e32 v0, v93
	buffer_store_dword v0, off, s[0:3], s32 offset:896 ; 4-byte Folded Spill
	buffer_store_dword v1, off, s[0:3], s32 offset:900 ; 4-byte Folded Spill
.LBB214_896:                            ;   in Loop: Header=BB214_15 Depth=1
	s_or_b32 exec_lo, exec_lo, s20
.LBB214_897:                            ;   in Loop: Header=BB214_15 Depth=1
	s_or_b32 exec_lo, exec_lo, s19
.LBB214_898:                            ;   in Loop: Header=BB214_15 Depth=1
	s_or_b32 exec_lo, exec_lo, s18
	v_mov_b32_e32 v5, 0
	v_mov_b32_e32 v6, 0
	v_and_b32_sdwa v0, v4, v10 dst_sel:DWORD dst_unused:UNUSED_PAD src0_sel:WORD_1 src1_sel:DWORD
	s_mov_b32 s18, exec_lo
	buffer_store_dword v5, off, s[0:3], s32 offset:904 ; 4-byte Folded Spill
	buffer_store_dword v6, off, s[0:3], s32 offset:908 ; 4-byte Folded Spill
	v_mov_b32_e32 v5, 0
	v_mov_b32_e32 v6, 0
	buffer_store_dword v5, off, s[0:3], s32 offset:1280 ; 4-byte Folded Spill
	buffer_store_dword v6, off, s[0:3], s32 offset:1284 ; 4-byte Folded Spill
	v_cmpx_ne_u16_e32 0, v0
	s_cbranch_execz .LBB214_906
; %bb.899:                              ;   in Loop: Header=BB214_15 Depth=1
	v_cmp_ne_u16_e64 s5, 0x80, v0
	v_bfrev_b32_e32 v0, 1
	v_mov_b32_e32 v1, 0
	s_and_saveexec_b32 s19, s5
	s_cbranch_execz .LBB214_905
; %bb.900:                              ;   in Loop: Header=BB214_15 Depth=1
	v_mov_b32_e32 v0, 0x7f800001
	v_bfe_u32 v6, v4, 16, 7
	v_mov_b32_e32 v1, 0
	s_mov_b32 s20, exec_lo
	v_cmpx_ne_u32_e32 0x7f, v6
	s_cbranch_execz .LBB214_904
; %bb.901:                              ;   in Loop: Header=BB214_15 Depth=1
	v_mov_b32_e32 v0, 7
	v_lshrrev_b32_e32 v5, 3, v6
	s_mov_b32 s21, exec_lo
	v_and_b32_sdwa v92, v4, v0 dst_sel:DWORD dst_unused:UNUSED_PAD src0_sel:WORD_1 src1_sel:DWORD
	v_cmpx_gt_u32_e32 8, v6
; %bb.902:                              ;   in Loop: Header=BB214_15 Depth=1
	v_ffbh_u32_e32 v5, v92
	v_min_u32_e32 v5, 32, v5
	v_subrev_nc_u32_e32 v6, 28, v5
	v_sub_nc_u32_e32 v5, 29, v5
	v_lshlrev_b64 v[6:7], v6, v[92:93]
	v_and_b32_e32 v92, 7, v6
; %bb.903:                              ;   in Loop: Header=BB214_15 Depth=1
	s_or_b32 exec_lo, exec_lo, s21
	v_mov_b32_e32 v0, 24
	v_lshl_add_u32 v5, v5, 23, 0x3c000000
	v_lshlrev_b32_sdwa v6, v0, v4 dst_sel:DWORD dst_unused:UNUSED_PAD src0_sel:DWORD src1_sel:WORD_1
	v_lshlrev_b32_e32 v0, 20, v92
	v_and_b32_e32 v6, 0x80000000, v6
	v_or3_b32 v92, v0, v6, v5
	v_mov_b32_e32 v0, v92
	v_mov_b32_e32 v1, v93
.LBB214_904:                            ;   in Loop: Header=BB214_15 Depth=1
	s_or_b32 exec_lo, exec_lo, s20
.LBB214_905:                            ;   in Loop: Header=BB214_15 Depth=1
	s_or_b32 exec_lo, exec_lo, s19
	buffer_store_dword v0, off, s[0:3], s32 offset:1280 ; 4-byte Folded Spill
	buffer_store_dword v1, off, s[0:3], s32 offset:1284 ; 4-byte Folded Spill
.LBB214_906:                            ;   in Loop: Header=BB214_15 Depth=1
	s_or_b32 exec_lo, exec_lo, s18
	s_mov_b32 s18, exec_lo
	v_cmpx_lt_u32_e32 0xffffff, v4
	s_cbranch_execz .LBB214_914
; %bb.907:                              ;   in Loop: Header=BB214_15 Depth=1
	v_mov_b32_e32 v0, 0x80
	v_mov_b32_e32 v16, v93
	buffer_store_dword v16, off, s[0:3], s32 offset:904 ; 4-byte Folded Spill
	buffer_store_dword v17, off, s[0:3], s32 offset:908 ; 4-byte Folded Spill
	v_cmp_ne_u32_sdwa s5, v4, v0 src0_sel:BYTE_3 src1_sel:DWORD
	s_and_saveexec_b32 s19, s5
	s_cbranch_execz .LBB214_913
; %bb.908:                              ;   in Loop: Header=BB214_15 Depth=1
	s_clause 0x1
	buffer_load_dword v7, off, s[0:3], s32 offset:192
	buffer_load_dword v8, off, s[0:3], s32 offset:196
	v_bfe_u32 v6, v4, 24, 7
	s_waitcnt vmcnt(1)
	v_mov_b32_e32 v7, v93
	s_mov_b32 s20, exec_lo
	s_waitcnt vmcnt(0)
	v_mov_b32_e32 v5, v8
	buffer_store_dword v4, off, s[0:3], s32 offset:192 ; 4-byte Folded Spill
	buffer_store_dword v5, off, s[0:3], s32 offset:196 ; 4-byte Folded Spill
	;; [unrolled: 1-line block ×4, first 2 shown]
	v_cmpx_ne_u32_e32 0x7f, v6
	s_cbranch_execz .LBB214_912
; %bb.909:                              ;   in Loop: Header=BB214_15 Depth=1
	v_mov_b32_e32 v0, 7
	v_lshrrev_b32_e32 v5, 3, v6
	s_mov_b32 s21, exec_lo
	v_and_b32_sdwa v92, v4, v0 dst_sel:DWORD dst_unused:UNUSED_PAD src0_sel:BYTE_3 src1_sel:DWORD
	v_cmpx_gt_u32_e32 8, v6
; %bb.910:                              ;   in Loop: Header=BB214_15 Depth=1
	v_ffbh_u32_e32 v5, v92
	v_min_u32_e32 v5, 32, v5
	v_subrev_nc_u32_e32 v6, 28, v5
	v_sub_nc_u32_e32 v5, 29, v5
	v_lshlrev_b64 v[6:7], v6, v[92:93]
	v_and_b32_e32 v92, 7, v6
; %bb.911:                              ;   in Loop: Header=BB214_15 Depth=1
	s_or_b32 exec_lo, exec_lo, s21
	v_mov_b32_e32 v0, 24
	v_lshl_add_u32 v5, v5, 23, 0x3c000000
	v_lshlrev_b32_sdwa v4, v0, v4 dst_sel:DWORD dst_unused:UNUSED_PAD src0_sel:DWORD src1_sel:BYTE_3
	v_lshlrev_b32_e32 v0, 20, v92
	v_and_b32_e32 v4, 0x80000000, v4
	v_or3_b32 v1, v0, v4, v5
	v_mov_b32_e32 v0, v93
	buffer_store_dword v0, off, s[0:3], s32 offset:904 ; 4-byte Folded Spill
	buffer_store_dword v1, off, s[0:3], s32 offset:908 ; 4-byte Folded Spill
.LBB214_912:                            ;   in Loop: Header=BB214_15 Depth=1
	s_or_b32 exec_lo, exec_lo, s20
.LBB214_913:                            ;   in Loop: Header=BB214_15 Depth=1
	s_or_b32 exec_lo, exec_lo, s19
.LBB214_914:                            ;   in Loop: Header=BB214_15 Depth=1
	s_or_b32 exec_lo, exec_lo, s18
	flat_load_dword v4, v[2:3] offset:1536
	v_mov_b32_e32 v0, 0
	v_mov_b32_e32 v1, 0
	buffer_store_dword v0, off, s[0:3], s32 offset:920 ; 4-byte Folded Spill
	buffer_store_dword v1, off, s[0:3], s32 offset:924 ; 4-byte Folded Spill
	v_mov_b32_e32 v0, 0
	v_mov_b32_e32 v1, 0
	buffer_store_dword v0, off, s[0:3], s32 offset:912 ; 4-byte Folded Spill
	buffer_store_dword v1, off, s[0:3], s32 offset:916 ; 4-byte Folded Spill
	s_waitcnt vmcnt(0) lgkmcnt(0)
	v_cmp_ne_u16_sdwa s5, v4, v93 src0_sel:BYTE_0 src1_sel:DWORD
	s_and_saveexec_b32 s18, s5
	s_cbranch_execz .LBB214_922
; %bb.915:                              ;   in Loop: Header=BB214_15 Depth=1
	v_bfrev_b32_e32 v0, 1
	v_mov_b32_e32 v1, 0
	buffer_store_dword v0, off, s[0:3], s32 offset:912 ; 4-byte Folded Spill
	buffer_store_dword v1, off, s[0:3], s32 offset:916 ; 4-byte Folded Spill
	v_mov_b32_e32 v0, 0x80
	v_cmp_ne_u16_sdwa s5, v4, v0 src0_sel:BYTE_0 src1_sel:DWORD
	s_and_saveexec_b32 s19, s5
	s_cbranch_execz .LBB214_921
; %bb.916:                              ;   in Loop: Header=BB214_15 Depth=1
	v_mov_b32_e32 v0, 0x7f800001
	v_and_b32_e32 v6, 0x7f, v4
	v_mov_b32_e32 v1, 0
	s_mov_b32 s20, exec_lo
	buffer_store_dword v0, off, s[0:3], s32 offset:912 ; 4-byte Folded Spill
	buffer_store_dword v1, off, s[0:3], s32 offset:916 ; 4-byte Folded Spill
	v_cmpx_ne_u32_e32 0x7f, v6
	s_cbranch_execz .LBB214_920
; %bb.917:                              ;   in Loop: Header=BB214_15 Depth=1
	v_and_b32_e32 v92, 7, v4
	v_lshrrev_b32_e32 v5, 3, v6
	s_mov_b32 s21, exec_lo
	v_cmpx_gt_u32_e32 8, v6
; %bb.918:                              ;   in Loop: Header=BB214_15 Depth=1
	v_ffbh_u32_e32 v5, v92
	v_min_u32_e32 v5, 32, v5
	v_subrev_nc_u32_e32 v6, 28, v5
	v_sub_nc_u32_e32 v5, 29, v5
	v_lshlrev_b64 v[6:7], v6, v[92:93]
	v_and_b32_e32 v92, 7, v6
; %bb.919:                              ;   in Loop: Header=BB214_15 Depth=1
	s_or_b32 exec_lo, exec_lo, s21
	v_lshlrev_b32_e32 v6, 24, v4
	v_lshlrev_b32_e32 v0, 20, v92
	v_lshl_add_u32 v5, v5, 23, 0x3c000000
	v_and_b32_e32 v6, 0x80000000, v6
	v_or3_b32 v92, v0, v6, v5
	buffer_store_dword v92, off, s[0:3], s32 offset:912 ; 4-byte Folded Spill
	buffer_store_dword v93, off, s[0:3], s32 offset:916 ; 4-byte Folded Spill
.LBB214_920:                            ;   in Loop: Header=BB214_15 Depth=1
	s_or_b32 exec_lo, exec_lo, s20
.LBB214_921:                            ;   in Loop: Header=BB214_15 Depth=1
	s_or_b32 exec_lo, exec_lo, s19
.LBB214_922:                            ;   in Loop: Header=BB214_15 Depth=1
	s_or_b32 exec_lo, exec_lo, s18
	v_cmp_ne_u16_sdwa s5, v4, v93 src0_sel:BYTE_1 src1_sel:DWORD
	s_and_saveexec_b32 s18, s5
	s_cbranch_execz .LBB214_930
; %bb.923:                              ;   in Loop: Header=BB214_15 Depth=1
	v_mov_b32_e32 v0, 0x80
	v_mov_b32_e32 v16, v93
	buffer_store_dword v16, off, s[0:3], s32 offset:920 ; 4-byte Folded Spill
	buffer_store_dword v17, off, s[0:3], s32 offset:924 ; 4-byte Folded Spill
	v_cmp_ne_u16_sdwa s5, v4, v0 src0_sel:BYTE_1 src1_sel:DWORD
	s_and_saveexec_b32 s19, s5
	s_cbranch_execz .LBB214_929
; %bb.924:                              ;   in Loop: Header=BB214_15 Depth=1
	s_clause 0x1
	buffer_load_dword v7, off, s[0:3], s32 offset:192
	buffer_load_dword v8, off, s[0:3], s32 offset:196
	v_mov_b32_e32 v0, 0xffff
	s_waitcnt vmcnt(1)
	v_mov_b32_e32 v7, v93
	s_mov_b32 s20, exec_lo
	v_and_b32_sdwa v0, v0, v4 dst_sel:DWORD dst_unused:UNUSED_PAD src0_sel:DWORD src1_sel:BYTE_1
	v_and_b32_e32 v6, 0x7f, v0
	s_waitcnt vmcnt(0)
	v_mov_b32_e32 v5, v8
	buffer_store_dword v4, off, s[0:3], s32 offset:192 ; 4-byte Folded Spill
	buffer_store_dword v5, off, s[0:3], s32 offset:196 ; 4-byte Folded Spill
	buffer_store_dword v7, off, s[0:3], s32 offset:920 ; 4-byte Folded Spill
	buffer_store_dword v8, off, s[0:3], s32 offset:924 ; 4-byte Folded Spill
	v_cmpx_ne_u32_e32 0x7f, v6
	s_cbranch_execz .LBB214_928
; %bb.925:                              ;   in Loop: Header=BB214_15 Depth=1
	v_and_b32_e32 v92, 7, v0
	v_lshrrev_b32_e32 v5, 3, v6
	s_mov_b32 s21, exec_lo
	v_cmpx_gt_u32_e32 8, v6
; %bb.926:                              ;   in Loop: Header=BB214_15 Depth=1
	v_ffbh_u32_e32 v5, v92
	v_min_u32_e32 v5, 32, v5
	v_subrev_nc_u32_e32 v6, 28, v5
	v_sub_nc_u32_e32 v5, 29, v5
	v_lshlrev_b64 v[6:7], v6, v[92:93]
	v_and_b32_e32 v92, 7, v6
; %bb.927:                              ;   in Loop: Header=BB214_15 Depth=1
	s_or_b32 exec_lo, exec_lo, s21
	v_lshlrev_b32_e32 v6, 16, v4
	v_lshlrev_b32_e32 v0, 20, v92
	v_lshl_add_u32 v5, v5, 23, 0x3c000000
	v_and_b32_e32 v6, 0x80000000, v6
	v_or3_b32 v1, v0, v6, v5
	v_mov_b32_e32 v0, v93
	buffer_store_dword v0, off, s[0:3], s32 offset:920 ; 4-byte Folded Spill
	buffer_store_dword v1, off, s[0:3], s32 offset:924 ; 4-byte Folded Spill
.LBB214_928:                            ;   in Loop: Header=BB214_15 Depth=1
	s_or_b32 exec_lo, exec_lo, s20
.LBB214_929:                            ;   in Loop: Header=BB214_15 Depth=1
	s_or_b32 exec_lo, exec_lo, s19
.LBB214_930:                            ;   in Loop: Header=BB214_15 Depth=1
	s_or_b32 exec_lo, exec_lo, s18
	v_mov_b32_e32 v5, 0
	v_mov_b32_e32 v6, 0
	v_and_b32_sdwa v0, v4, v10 dst_sel:DWORD dst_unused:UNUSED_PAD src0_sel:WORD_1 src1_sel:DWORD
	s_mov_b32 s18, exec_lo
	buffer_store_dword v5, off, s[0:3], s32 offset:928 ; 4-byte Folded Spill
	buffer_store_dword v6, off, s[0:3], s32 offset:932 ; 4-byte Folded Spill
	v_mov_b32_e32 v5, 0
	v_mov_b32_e32 v6, 0
	buffer_store_dword v5, off, s[0:3], s32 offset:1288 ; 4-byte Folded Spill
	buffer_store_dword v6, off, s[0:3], s32 offset:1292 ; 4-byte Folded Spill
	v_cmpx_ne_u16_e32 0, v0
	s_cbranch_execz .LBB214_938
; %bb.931:                              ;   in Loop: Header=BB214_15 Depth=1
	v_cmp_ne_u16_e64 s5, 0x80, v0
	v_bfrev_b32_e32 v0, 1
	v_mov_b32_e32 v1, 0
	s_and_saveexec_b32 s19, s5
	s_cbranch_execz .LBB214_937
; %bb.932:                              ;   in Loop: Header=BB214_15 Depth=1
	v_mov_b32_e32 v0, 0x7f800001
	v_bfe_u32 v6, v4, 16, 7
	v_mov_b32_e32 v1, 0
	s_mov_b32 s20, exec_lo
	v_cmpx_ne_u32_e32 0x7f, v6
	s_cbranch_execz .LBB214_936
; %bb.933:                              ;   in Loop: Header=BB214_15 Depth=1
	v_mov_b32_e32 v0, 7
	v_lshrrev_b32_e32 v5, 3, v6
	s_mov_b32 s21, exec_lo
	v_and_b32_sdwa v92, v4, v0 dst_sel:DWORD dst_unused:UNUSED_PAD src0_sel:WORD_1 src1_sel:DWORD
	v_cmpx_gt_u32_e32 8, v6
; %bb.934:                              ;   in Loop: Header=BB214_15 Depth=1
	v_ffbh_u32_e32 v5, v92
	v_min_u32_e32 v5, 32, v5
	v_subrev_nc_u32_e32 v6, 28, v5
	v_sub_nc_u32_e32 v5, 29, v5
	v_lshlrev_b64 v[6:7], v6, v[92:93]
	v_and_b32_e32 v92, 7, v6
; %bb.935:                              ;   in Loop: Header=BB214_15 Depth=1
	s_or_b32 exec_lo, exec_lo, s21
	v_mov_b32_e32 v0, 24
	v_lshl_add_u32 v5, v5, 23, 0x3c000000
	v_lshlrev_b32_sdwa v6, v0, v4 dst_sel:DWORD dst_unused:UNUSED_PAD src0_sel:DWORD src1_sel:WORD_1
	v_lshlrev_b32_e32 v0, 20, v92
	v_and_b32_e32 v6, 0x80000000, v6
	v_or3_b32 v92, v0, v6, v5
	v_mov_b32_e32 v0, v92
	v_mov_b32_e32 v1, v93
.LBB214_936:                            ;   in Loop: Header=BB214_15 Depth=1
	s_or_b32 exec_lo, exec_lo, s20
.LBB214_937:                            ;   in Loop: Header=BB214_15 Depth=1
	s_or_b32 exec_lo, exec_lo, s19
	buffer_store_dword v0, off, s[0:3], s32 offset:1288 ; 4-byte Folded Spill
	buffer_store_dword v1, off, s[0:3], s32 offset:1292 ; 4-byte Folded Spill
.LBB214_938:                            ;   in Loop: Header=BB214_15 Depth=1
	s_or_b32 exec_lo, exec_lo, s18
	s_mov_b32 s18, exec_lo
	v_cmpx_lt_u32_e32 0xffffff, v4
	s_cbranch_execz .LBB214_946
; %bb.939:                              ;   in Loop: Header=BB214_15 Depth=1
	v_mov_b32_e32 v0, 0x80
	v_mov_b32_e32 v16, v93
	buffer_store_dword v16, off, s[0:3], s32 offset:928 ; 4-byte Folded Spill
	buffer_store_dword v17, off, s[0:3], s32 offset:932 ; 4-byte Folded Spill
	v_cmp_ne_u32_sdwa s5, v4, v0 src0_sel:BYTE_3 src1_sel:DWORD
	s_and_saveexec_b32 s19, s5
	s_cbranch_execz .LBB214_945
; %bb.940:                              ;   in Loop: Header=BB214_15 Depth=1
	s_clause 0x1
	buffer_load_dword v7, off, s[0:3], s32 offset:192
	buffer_load_dword v8, off, s[0:3], s32 offset:196
	v_bfe_u32 v6, v4, 24, 7
	s_waitcnt vmcnt(1)
	v_mov_b32_e32 v7, v93
	s_mov_b32 s20, exec_lo
	s_waitcnt vmcnt(0)
	v_mov_b32_e32 v5, v8
	buffer_store_dword v4, off, s[0:3], s32 offset:192 ; 4-byte Folded Spill
	buffer_store_dword v5, off, s[0:3], s32 offset:196 ; 4-byte Folded Spill
	;; [unrolled: 1-line block ×4, first 2 shown]
	v_cmpx_ne_u32_e32 0x7f, v6
	s_cbranch_execz .LBB214_944
; %bb.941:                              ;   in Loop: Header=BB214_15 Depth=1
	v_mov_b32_e32 v0, 7
	v_lshrrev_b32_e32 v5, 3, v6
	s_mov_b32 s21, exec_lo
	v_and_b32_sdwa v92, v4, v0 dst_sel:DWORD dst_unused:UNUSED_PAD src0_sel:BYTE_3 src1_sel:DWORD
	v_cmpx_gt_u32_e32 8, v6
; %bb.942:                              ;   in Loop: Header=BB214_15 Depth=1
	v_ffbh_u32_e32 v5, v92
	v_min_u32_e32 v5, 32, v5
	v_subrev_nc_u32_e32 v6, 28, v5
	v_sub_nc_u32_e32 v5, 29, v5
	v_lshlrev_b64 v[6:7], v6, v[92:93]
	v_and_b32_e32 v92, 7, v6
; %bb.943:                              ;   in Loop: Header=BB214_15 Depth=1
	s_or_b32 exec_lo, exec_lo, s21
	v_mov_b32_e32 v0, 24
	v_lshl_add_u32 v5, v5, 23, 0x3c000000
	v_lshlrev_b32_sdwa v4, v0, v4 dst_sel:DWORD dst_unused:UNUSED_PAD src0_sel:DWORD src1_sel:BYTE_3
	v_lshlrev_b32_e32 v0, 20, v92
	v_and_b32_e32 v4, 0x80000000, v4
	v_or3_b32 v1, v0, v4, v5
	v_mov_b32_e32 v0, v93
	buffer_store_dword v0, off, s[0:3], s32 offset:928 ; 4-byte Folded Spill
	buffer_store_dword v1, off, s[0:3], s32 offset:932 ; 4-byte Folded Spill
.LBB214_944:                            ;   in Loop: Header=BB214_15 Depth=1
	s_or_b32 exec_lo, exec_lo, s20
.LBB214_945:                            ;   in Loop: Header=BB214_15 Depth=1
	s_or_b32 exec_lo, exec_lo, s19
.LBB214_946:                            ;   in Loop: Header=BB214_15 Depth=1
	s_or_b32 exec_lo, exec_lo, s18
	flat_load_dword v4, v[2:3] offset:1540
	v_mov_b32_e32 v0, 0
	v_mov_b32_e32 v1, 0
	buffer_store_dword v0, off, s[0:3], s32 offset:944 ; 4-byte Folded Spill
	buffer_store_dword v1, off, s[0:3], s32 offset:948 ; 4-byte Folded Spill
	v_mov_b32_e32 v0, 0
	v_mov_b32_e32 v1, 0
	buffer_store_dword v0, off, s[0:3], s32 offset:936 ; 4-byte Folded Spill
	buffer_store_dword v1, off, s[0:3], s32 offset:940 ; 4-byte Folded Spill
	s_waitcnt vmcnt(0) lgkmcnt(0)
	v_cmp_ne_u16_sdwa s5, v4, v93 src0_sel:BYTE_0 src1_sel:DWORD
	s_and_saveexec_b32 s18, s5
	s_cbranch_execz .LBB214_954
; %bb.947:                              ;   in Loop: Header=BB214_15 Depth=1
	v_bfrev_b32_e32 v0, 1
	v_mov_b32_e32 v1, 0
	buffer_store_dword v0, off, s[0:3], s32 offset:936 ; 4-byte Folded Spill
	buffer_store_dword v1, off, s[0:3], s32 offset:940 ; 4-byte Folded Spill
	v_mov_b32_e32 v0, 0x80
	v_cmp_ne_u16_sdwa s5, v4, v0 src0_sel:BYTE_0 src1_sel:DWORD
	s_and_saveexec_b32 s19, s5
	s_cbranch_execz .LBB214_953
; %bb.948:                              ;   in Loop: Header=BB214_15 Depth=1
	v_mov_b32_e32 v0, 0x7f800001
	v_and_b32_e32 v6, 0x7f, v4
	v_mov_b32_e32 v1, 0
	s_mov_b32 s20, exec_lo
	buffer_store_dword v0, off, s[0:3], s32 offset:936 ; 4-byte Folded Spill
	buffer_store_dword v1, off, s[0:3], s32 offset:940 ; 4-byte Folded Spill
	v_cmpx_ne_u32_e32 0x7f, v6
	s_cbranch_execz .LBB214_952
; %bb.949:                              ;   in Loop: Header=BB214_15 Depth=1
	v_and_b32_e32 v92, 7, v4
	v_lshrrev_b32_e32 v5, 3, v6
	s_mov_b32 s21, exec_lo
	v_cmpx_gt_u32_e32 8, v6
; %bb.950:                              ;   in Loop: Header=BB214_15 Depth=1
	v_ffbh_u32_e32 v5, v92
	v_min_u32_e32 v5, 32, v5
	v_subrev_nc_u32_e32 v6, 28, v5
	v_sub_nc_u32_e32 v5, 29, v5
	v_lshlrev_b64 v[6:7], v6, v[92:93]
	v_and_b32_e32 v92, 7, v6
; %bb.951:                              ;   in Loop: Header=BB214_15 Depth=1
	s_or_b32 exec_lo, exec_lo, s21
	v_lshlrev_b32_e32 v6, 24, v4
	v_lshlrev_b32_e32 v0, 20, v92
	v_lshl_add_u32 v5, v5, 23, 0x3c000000
	v_and_b32_e32 v6, 0x80000000, v6
	v_or3_b32 v92, v0, v6, v5
	buffer_store_dword v92, off, s[0:3], s32 offset:936 ; 4-byte Folded Spill
	buffer_store_dword v93, off, s[0:3], s32 offset:940 ; 4-byte Folded Spill
.LBB214_952:                            ;   in Loop: Header=BB214_15 Depth=1
	s_or_b32 exec_lo, exec_lo, s20
.LBB214_953:                            ;   in Loop: Header=BB214_15 Depth=1
	s_or_b32 exec_lo, exec_lo, s19
.LBB214_954:                            ;   in Loop: Header=BB214_15 Depth=1
	s_or_b32 exec_lo, exec_lo, s18
	v_cmp_ne_u16_sdwa s5, v4, v93 src0_sel:BYTE_1 src1_sel:DWORD
	s_and_saveexec_b32 s18, s5
	s_cbranch_execz .LBB214_962
; %bb.955:                              ;   in Loop: Header=BB214_15 Depth=1
	v_mov_b32_e32 v0, 0x80
	v_mov_b32_e32 v16, v93
	buffer_store_dword v16, off, s[0:3], s32 offset:944 ; 4-byte Folded Spill
	buffer_store_dword v17, off, s[0:3], s32 offset:948 ; 4-byte Folded Spill
	v_cmp_ne_u16_sdwa s5, v4, v0 src0_sel:BYTE_1 src1_sel:DWORD
	s_and_saveexec_b32 s19, s5
	s_cbranch_execz .LBB214_961
; %bb.956:                              ;   in Loop: Header=BB214_15 Depth=1
	s_clause 0x1
	buffer_load_dword v7, off, s[0:3], s32 offset:192
	buffer_load_dword v8, off, s[0:3], s32 offset:196
	v_mov_b32_e32 v0, 0xffff
	s_waitcnt vmcnt(1)
	v_mov_b32_e32 v7, v93
	s_mov_b32 s20, exec_lo
	v_and_b32_sdwa v0, v0, v4 dst_sel:DWORD dst_unused:UNUSED_PAD src0_sel:DWORD src1_sel:BYTE_1
	v_and_b32_e32 v6, 0x7f, v0
	s_waitcnt vmcnt(0)
	v_mov_b32_e32 v5, v8
	buffer_store_dword v4, off, s[0:3], s32 offset:192 ; 4-byte Folded Spill
	buffer_store_dword v5, off, s[0:3], s32 offset:196 ; 4-byte Folded Spill
	;; [unrolled: 1-line block ×4, first 2 shown]
	v_cmpx_ne_u32_e32 0x7f, v6
	s_cbranch_execz .LBB214_960
; %bb.957:                              ;   in Loop: Header=BB214_15 Depth=1
	v_and_b32_e32 v92, 7, v0
	v_lshrrev_b32_e32 v5, 3, v6
	s_mov_b32 s21, exec_lo
	v_cmpx_gt_u32_e32 8, v6
; %bb.958:                              ;   in Loop: Header=BB214_15 Depth=1
	v_ffbh_u32_e32 v5, v92
	v_min_u32_e32 v5, 32, v5
	v_subrev_nc_u32_e32 v6, 28, v5
	v_sub_nc_u32_e32 v5, 29, v5
	v_lshlrev_b64 v[6:7], v6, v[92:93]
	v_and_b32_e32 v92, 7, v6
; %bb.959:                              ;   in Loop: Header=BB214_15 Depth=1
	s_or_b32 exec_lo, exec_lo, s21
	v_lshlrev_b32_e32 v6, 16, v4
	v_lshlrev_b32_e32 v0, 20, v92
	v_lshl_add_u32 v5, v5, 23, 0x3c000000
	v_and_b32_e32 v6, 0x80000000, v6
	v_or3_b32 v1, v0, v6, v5
	v_mov_b32_e32 v0, v93
	buffer_store_dword v0, off, s[0:3], s32 offset:944 ; 4-byte Folded Spill
	buffer_store_dword v1, off, s[0:3], s32 offset:948 ; 4-byte Folded Spill
.LBB214_960:                            ;   in Loop: Header=BB214_15 Depth=1
	s_or_b32 exec_lo, exec_lo, s20
.LBB214_961:                            ;   in Loop: Header=BB214_15 Depth=1
	s_or_b32 exec_lo, exec_lo, s19
.LBB214_962:                            ;   in Loop: Header=BB214_15 Depth=1
	s_or_b32 exec_lo, exec_lo, s18
	v_mov_b32_e32 v5, 0
	v_mov_b32_e32 v6, 0
	v_and_b32_sdwa v0, v4, v10 dst_sel:DWORD dst_unused:UNUSED_PAD src0_sel:WORD_1 src1_sel:DWORD
	s_mov_b32 s18, exec_lo
	buffer_store_dword v5, off, s[0:3], s32 offset:952 ; 4-byte Folded Spill
	buffer_store_dword v6, off, s[0:3], s32 offset:956 ; 4-byte Folded Spill
	v_mov_b32_e32 v5, 0
	v_mov_b32_e32 v6, 0
	buffer_store_dword v5, off, s[0:3], s32 offset:1296 ; 4-byte Folded Spill
	buffer_store_dword v6, off, s[0:3], s32 offset:1300 ; 4-byte Folded Spill
	v_cmpx_ne_u16_e32 0, v0
	s_cbranch_execz .LBB214_970
; %bb.963:                              ;   in Loop: Header=BB214_15 Depth=1
	v_cmp_ne_u16_e64 s5, 0x80, v0
	v_bfrev_b32_e32 v0, 1
	v_mov_b32_e32 v1, 0
	s_and_saveexec_b32 s19, s5
	s_cbranch_execz .LBB214_969
; %bb.964:                              ;   in Loop: Header=BB214_15 Depth=1
	v_mov_b32_e32 v0, 0x7f800001
	v_bfe_u32 v6, v4, 16, 7
	v_mov_b32_e32 v1, 0
	s_mov_b32 s20, exec_lo
	v_cmpx_ne_u32_e32 0x7f, v6
	s_cbranch_execz .LBB214_968
; %bb.965:                              ;   in Loop: Header=BB214_15 Depth=1
	v_mov_b32_e32 v0, 7
	v_lshrrev_b32_e32 v5, 3, v6
	s_mov_b32 s21, exec_lo
	v_and_b32_sdwa v92, v4, v0 dst_sel:DWORD dst_unused:UNUSED_PAD src0_sel:WORD_1 src1_sel:DWORD
	v_cmpx_gt_u32_e32 8, v6
; %bb.966:                              ;   in Loop: Header=BB214_15 Depth=1
	v_ffbh_u32_e32 v5, v92
	v_min_u32_e32 v5, 32, v5
	v_subrev_nc_u32_e32 v6, 28, v5
	v_sub_nc_u32_e32 v5, 29, v5
	v_lshlrev_b64 v[6:7], v6, v[92:93]
	v_and_b32_e32 v92, 7, v6
; %bb.967:                              ;   in Loop: Header=BB214_15 Depth=1
	s_or_b32 exec_lo, exec_lo, s21
	v_mov_b32_e32 v0, 24
	v_lshl_add_u32 v5, v5, 23, 0x3c000000
	v_lshlrev_b32_sdwa v6, v0, v4 dst_sel:DWORD dst_unused:UNUSED_PAD src0_sel:DWORD src1_sel:WORD_1
	v_lshlrev_b32_e32 v0, 20, v92
	v_and_b32_e32 v6, 0x80000000, v6
	v_or3_b32 v92, v0, v6, v5
	v_mov_b32_e32 v0, v92
	v_mov_b32_e32 v1, v93
.LBB214_968:                            ;   in Loop: Header=BB214_15 Depth=1
	s_or_b32 exec_lo, exec_lo, s20
.LBB214_969:                            ;   in Loop: Header=BB214_15 Depth=1
	s_or_b32 exec_lo, exec_lo, s19
	buffer_store_dword v0, off, s[0:3], s32 offset:1296 ; 4-byte Folded Spill
	buffer_store_dword v1, off, s[0:3], s32 offset:1300 ; 4-byte Folded Spill
.LBB214_970:                            ;   in Loop: Header=BB214_15 Depth=1
	s_or_b32 exec_lo, exec_lo, s18
	s_mov_b32 s18, exec_lo
	v_cmpx_lt_u32_e32 0xffffff, v4
	s_cbranch_execz .LBB214_978
; %bb.971:                              ;   in Loop: Header=BB214_15 Depth=1
	v_mov_b32_e32 v0, 0x80
	v_mov_b32_e32 v16, v93
	buffer_store_dword v16, off, s[0:3], s32 offset:952 ; 4-byte Folded Spill
	buffer_store_dword v17, off, s[0:3], s32 offset:956 ; 4-byte Folded Spill
	v_cmp_ne_u32_sdwa s5, v4, v0 src0_sel:BYTE_3 src1_sel:DWORD
	s_and_saveexec_b32 s19, s5
	s_cbranch_execz .LBB214_977
; %bb.972:                              ;   in Loop: Header=BB214_15 Depth=1
	s_clause 0x1
	buffer_load_dword v7, off, s[0:3], s32 offset:192
	buffer_load_dword v8, off, s[0:3], s32 offset:196
	v_bfe_u32 v6, v4, 24, 7
	s_waitcnt vmcnt(1)
	v_mov_b32_e32 v7, v93
	s_mov_b32 s20, exec_lo
	s_waitcnt vmcnt(0)
	v_mov_b32_e32 v5, v8
	buffer_store_dword v4, off, s[0:3], s32 offset:192 ; 4-byte Folded Spill
	buffer_store_dword v5, off, s[0:3], s32 offset:196 ; 4-byte Folded Spill
	;; [unrolled: 1-line block ×4, first 2 shown]
	v_cmpx_ne_u32_e32 0x7f, v6
	s_cbranch_execz .LBB214_976
; %bb.973:                              ;   in Loop: Header=BB214_15 Depth=1
	v_mov_b32_e32 v0, 7
	v_lshrrev_b32_e32 v5, 3, v6
	s_mov_b32 s21, exec_lo
	v_and_b32_sdwa v92, v4, v0 dst_sel:DWORD dst_unused:UNUSED_PAD src0_sel:BYTE_3 src1_sel:DWORD
	v_cmpx_gt_u32_e32 8, v6
; %bb.974:                              ;   in Loop: Header=BB214_15 Depth=1
	v_ffbh_u32_e32 v5, v92
	v_min_u32_e32 v5, 32, v5
	v_subrev_nc_u32_e32 v6, 28, v5
	v_sub_nc_u32_e32 v5, 29, v5
	v_lshlrev_b64 v[6:7], v6, v[92:93]
	v_and_b32_e32 v92, 7, v6
; %bb.975:                              ;   in Loop: Header=BB214_15 Depth=1
	s_or_b32 exec_lo, exec_lo, s21
	v_mov_b32_e32 v0, 24
	v_lshl_add_u32 v5, v5, 23, 0x3c000000
	v_lshlrev_b32_sdwa v4, v0, v4 dst_sel:DWORD dst_unused:UNUSED_PAD src0_sel:DWORD src1_sel:BYTE_3
	v_lshlrev_b32_e32 v0, 20, v92
	v_and_b32_e32 v4, 0x80000000, v4
	v_or3_b32 v1, v0, v4, v5
	v_mov_b32_e32 v0, v93
	buffer_store_dword v0, off, s[0:3], s32 offset:952 ; 4-byte Folded Spill
	buffer_store_dword v1, off, s[0:3], s32 offset:956 ; 4-byte Folded Spill
.LBB214_976:                            ;   in Loop: Header=BB214_15 Depth=1
	s_or_b32 exec_lo, exec_lo, s20
.LBB214_977:                            ;   in Loop: Header=BB214_15 Depth=1
	s_or_b32 exec_lo, exec_lo, s19
.LBB214_978:                            ;   in Loop: Header=BB214_15 Depth=1
	s_or_b32 exec_lo, exec_lo, s18
	flat_load_dword v4, v[2:3] offset:1544
	v_mov_b32_e32 v0, 0
	v_mov_b32_e32 v1, 0
	buffer_store_dword v0, off, s[0:3], s32 offset:968 ; 4-byte Folded Spill
	buffer_store_dword v1, off, s[0:3], s32 offset:972 ; 4-byte Folded Spill
	v_mov_b32_e32 v0, 0
	v_mov_b32_e32 v1, 0
	buffer_store_dword v0, off, s[0:3], s32 offset:960 ; 4-byte Folded Spill
	buffer_store_dword v1, off, s[0:3], s32 offset:964 ; 4-byte Folded Spill
	s_waitcnt vmcnt(0) lgkmcnt(0)
	v_cmp_ne_u16_sdwa s5, v4, v93 src0_sel:BYTE_0 src1_sel:DWORD
	s_and_saveexec_b32 s18, s5
	s_cbranch_execz .LBB214_986
; %bb.979:                              ;   in Loop: Header=BB214_15 Depth=1
	v_bfrev_b32_e32 v0, 1
	v_mov_b32_e32 v1, 0
	buffer_store_dword v0, off, s[0:3], s32 offset:960 ; 4-byte Folded Spill
	buffer_store_dword v1, off, s[0:3], s32 offset:964 ; 4-byte Folded Spill
	v_mov_b32_e32 v0, 0x80
	v_cmp_ne_u16_sdwa s5, v4, v0 src0_sel:BYTE_0 src1_sel:DWORD
	s_and_saveexec_b32 s19, s5
	s_cbranch_execz .LBB214_985
; %bb.980:                              ;   in Loop: Header=BB214_15 Depth=1
	v_mov_b32_e32 v0, 0x7f800001
	v_and_b32_e32 v6, 0x7f, v4
	v_mov_b32_e32 v1, 0
	s_mov_b32 s20, exec_lo
	buffer_store_dword v0, off, s[0:3], s32 offset:960 ; 4-byte Folded Spill
	buffer_store_dword v1, off, s[0:3], s32 offset:964 ; 4-byte Folded Spill
	v_cmpx_ne_u32_e32 0x7f, v6
	s_cbranch_execz .LBB214_984
; %bb.981:                              ;   in Loop: Header=BB214_15 Depth=1
	v_and_b32_e32 v92, 7, v4
	v_lshrrev_b32_e32 v5, 3, v6
	s_mov_b32 s21, exec_lo
	v_cmpx_gt_u32_e32 8, v6
; %bb.982:                              ;   in Loop: Header=BB214_15 Depth=1
	v_ffbh_u32_e32 v5, v92
	v_min_u32_e32 v5, 32, v5
	v_subrev_nc_u32_e32 v6, 28, v5
	v_sub_nc_u32_e32 v5, 29, v5
	v_lshlrev_b64 v[6:7], v6, v[92:93]
	v_and_b32_e32 v92, 7, v6
; %bb.983:                              ;   in Loop: Header=BB214_15 Depth=1
	s_or_b32 exec_lo, exec_lo, s21
	v_lshlrev_b32_e32 v6, 24, v4
	v_lshlrev_b32_e32 v0, 20, v92
	v_lshl_add_u32 v5, v5, 23, 0x3c000000
	v_and_b32_e32 v6, 0x80000000, v6
	v_or3_b32 v92, v0, v6, v5
	buffer_store_dword v92, off, s[0:3], s32 offset:960 ; 4-byte Folded Spill
	buffer_store_dword v93, off, s[0:3], s32 offset:964 ; 4-byte Folded Spill
.LBB214_984:                            ;   in Loop: Header=BB214_15 Depth=1
	s_or_b32 exec_lo, exec_lo, s20
.LBB214_985:                            ;   in Loop: Header=BB214_15 Depth=1
	s_or_b32 exec_lo, exec_lo, s19
.LBB214_986:                            ;   in Loop: Header=BB214_15 Depth=1
	s_or_b32 exec_lo, exec_lo, s18
	v_cmp_ne_u16_sdwa s5, v4, v93 src0_sel:BYTE_1 src1_sel:DWORD
	s_and_saveexec_b32 s18, s5
	s_cbranch_execz .LBB214_994
; %bb.987:                              ;   in Loop: Header=BB214_15 Depth=1
	v_mov_b32_e32 v0, 0x80
	v_mov_b32_e32 v16, v93
	buffer_store_dword v16, off, s[0:3], s32 offset:968 ; 4-byte Folded Spill
	buffer_store_dword v17, off, s[0:3], s32 offset:972 ; 4-byte Folded Spill
	v_cmp_ne_u16_sdwa s5, v4, v0 src0_sel:BYTE_1 src1_sel:DWORD
	s_and_saveexec_b32 s19, s5
	s_cbranch_execz .LBB214_993
; %bb.988:                              ;   in Loop: Header=BB214_15 Depth=1
	s_clause 0x1
	buffer_load_dword v7, off, s[0:3], s32 offset:192
	buffer_load_dword v8, off, s[0:3], s32 offset:196
	v_mov_b32_e32 v0, 0xffff
	s_waitcnt vmcnt(1)
	v_mov_b32_e32 v7, v93
	s_mov_b32 s20, exec_lo
	v_and_b32_sdwa v0, v0, v4 dst_sel:DWORD dst_unused:UNUSED_PAD src0_sel:DWORD src1_sel:BYTE_1
	v_and_b32_e32 v6, 0x7f, v0
	s_waitcnt vmcnt(0)
	v_mov_b32_e32 v5, v8
	buffer_store_dword v4, off, s[0:3], s32 offset:192 ; 4-byte Folded Spill
	buffer_store_dword v5, off, s[0:3], s32 offset:196 ; 4-byte Folded Spill
	;; [unrolled: 1-line block ×4, first 2 shown]
	v_cmpx_ne_u32_e32 0x7f, v6
	s_cbranch_execz .LBB214_992
; %bb.989:                              ;   in Loop: Header=BB214_15 Depth=1
	v_and_b32_e32 v92, 7, v0
	v_lshrrev_b32_e32 v5, 3, v6
	s_mov_b32 s21, exec_lo
	v_cmpx_gt_u32_e32 8, v6
; %bb.990:                              ;   in Loop: Header=BB214_15 Depth=1
	v_ffbh_u32_e32 v5, v92
	v_min_u32_e32 v5, 32, v5
	v_subrev_nc_u32_e32 v6, 28, v5
	v_sub_nc_u32_e32 v5, 29, v5
	v_lshlrev_b64 v[6:7], v6, v[92:93]
	v_and_b32_e32 v92, 7, v6
; %bb.991:                              ;   in Loop: Header=BB214_15 Depth=1
	s_or_b32 exec_lo, exec_lo, s21
	v_lshlrev_b32_e32 v6, 16, v4
	v_lshlrev_b32_e32 v0, 20, v92
	v_lshl_add_u32 v5, v5, 23, 0x3c000000
	v_and_b32_e32 v6, 0x80000000, v6
	v_or3_b32 v1, v0, v6, v5
	v_mov_b32_e32 v0, v93
	buffer_store_dword v0, off, s[0:3], s32 offset:968 ; 4-byte Folded Spill
	buffer_store_dword v1, off, s[0:3], s32 offset:972 ; 4-byte Folded Spill
.LBB214_992:                            ;   in Loop: Header=BB214_15 Depth=1
	s_or_b32 exec_lo, exec_lo, s20
.LBB214_993:                            ;   in Loop: Header=BB214_15 Depth=1
	s_or_b32 exec_lo, exec_lo, s19
.LBB214_994:                            ;   in Loop: Header=BB214_15 Depth=1
	s_or_b32 exec_lo, exec_lo, s18
	v_mov_b32_e32 v5, 0
	v_mov_b32_e32 v6, 0
	v_and_b32_sdwa v0, v4, v10 dst_sel:DWORD dst_unused:UNUSED_PAD src0_sel:WORD_1 src1_sel:DWORD
	s_mov_b32 s18, exec_lo
	buffer_store_dword v5, off, s[0:3], s32 offset:976 ; 4-byte Folded Spill
	buffer_store_dword v6, off, s[0:3], s32 offset:980 ; 4-byte Folded Spill
	v_mov_b32_e32 v5, 0
	v_mov_b32_e32 v6, 0
	buffer_store_dword v5, off, s[0:3], s32 offset:1304 ; 4-byte Folded Spill
	buffer_store_dword v6, off, s[0:3], s32 offset:1308 ; 4-byte Folded Spill
	v_cmpx_ne_u16_e32 0, v0
	s_cbranch_execz .LBB214_1002
; %bb.995:                              ;   in Loop: Header=BB214_15 Depth=1
	v_cmp_ne_u16_e64 s5, 0x80, v0
	v_bfrev_b32_e32 v0, 1
	v_mov_b32_e32 v1, 0
	s_and_saveexec_b32 s19, s5
	s_cbranch_execz .LBB214_1001
; %bb.996:                              ;   in Loop: Header=BB214_15 Depth=1
	v_mov_b32_e32 v0, 0x7f800001
	v_bfe_u32 v6, v4, 16, 7
	v_mov_b32_e32 v1, 0
	s_mov_b32 s20, exec_lo
	v_cmpx_ne_u32_e32 0x7f, v6
	s_cbranch_execz .LBB214_1000
; %bb.997:                              ;   in Loop: Header=BB214_15 Depth=1
	v_mov_b32_e32 v0, 7
	v_lshrrev_b32_e32 v5, 3, v6
	s_mov_b32 s21, exec_lo
	v_and_b32_sdwa v92, v4, v0 dst_sel:DWORD dst_unused:UNUSED_PAD src0_sel:WORD_1 src1_sel:DWORD
	v_cmpx_gt_u32_e32 8, v6
; %bb.998:                              ;   in Loop: Header=BB214_15 Depth=1
	v_ffbh_u32_e32 v5, v92
	v_min_u32_e32 v5, 32, v5
	v_subrev_nc_u32_e32 v6, 28, v5
	v_sub_nc_u32_e32 v5, 29, v5
	v_lshlrev_b64 v[6:7], v6, v[92:93]
	v_and_b32_e32 v92, 7, v6
; %bb.999:                              ;   in Loop: Header=BB214_15 Depth=1
	s_or_b32 exec_lo, exec_lo, s21
	v_mov_b32_e32 v0, 24
	v_lshl_add_u32 v5, v5, 23, 0x3c000000
	v_lshlrev_b32_sdwa v6, v0, v4 dst_sel:DWORD dst_unused:UNUSED_PAD src0_sel:DWORD src1_sel:WORD_1
	v_lshlrev_b32_e32 v0, 20, v92
	v_and_b32_e32 v6, 0x80000000, v6
	v_or3_b32 v92, v0, v6, v5
	v_mov_b32_e32 v0, v92
	v_mov_b32_e32 v1, v93
.LBB214_1000:                           ;   in Loop: Header=BB214_15 Depth=1
	s_or_b32 exec_lo, exec_lo, s20
.LBB214_1001:                           ;   in Loop: Header=BB214_15 Depth=1
	s_or_b32 exec_lo, exec_lo, s19
	buffer_store_dword v0, off, s[0:3], s32 offset:1304 ; 4-byte Folded Spill
	buffer_store_dword v1, off, s[0:3], s32 offset:1308 ; 4-byte Folded Spill
.LBB214_1002:                           ;   in Loop: Header=BB214_15 Depth=1
	s_or_b32 exec_lo, exec_lo, s18
	s_mov_b32 s18, exec_lo
	v_cmpx_lt_u32_e32 0xffffff, v4
	s_cbranch_execz .LBB214_1010
; %bb.1003:                             ;   in Loop: Header=BB214_15 Depth=1
	v_mov_b32_e32 v0, 0x80
	v_mov_b32_e32 v16, v93
	buffer_store_dword v16, off, s[0:3], s32 offset:976 ; 4-byte Folded Spill
	buffer_store_dword v17, off, s[0:3], s32 offset:980 ; 4-byte Folded Spill
	v_cmp_ne_u32_sdwa s5, v4, v0 src0_sel:BYTE_3 src1_sel:DWORD
	s_and_saveexec_b32 s19, s5
	s_cbranch_execz .LBB214_1009
; %bb.1004:                             ;   in Loop: Header=BB214_15 Depth=1
	s_clause 0x1
	buffer_load_dword v7, off, s[0:3], s32 offset:192
	buffer_load_dword v8, off, s[0:3], s32 offset:196
	v_bfe_u32 v6, v4, 24, 7
	s_waitcnt vmcnt(1)
	v_mov_b32_e32 v7, v93
	s_mov_b32 s20, exec_lo
	s_waitcnt vmcnt(0)
	v_mov_b32_e32 v5, v8
	buffer_store_dword v4, off, s[0:3], s32 offset:192 ; 4-byte Folded Spill
	buffer_store_dword v5, off, s[0:3], s32 offset:196 ; 4-byte Folded Spill
	;; [unrolled: 1-line block ×4, first 2 shown]
	v_cmpx_ne_u32_e32 0x7f, v6
	s_cbranch_execz .LBB214_1008
; %bb.1005:                             ;   in Loop: Header=BB214_15 Depth=1
	v_mov_b32_e32 v0, 7
	v_lshrrev_b32_e32 v5, 3, v6
	s_mov_b32 s21, exec_lo
	v_and_b32_sdwa v92, v4, v0 dst_sel:DWORD dst_unused:UNUSED_PAD src0_sel:BYTE_3 src1_sel:DWORD
	v_cmpx_gt_u32_e32 8, v6
; %bb.1006:                             ;   in Loop: Header=BB214_15 Depth=1
	v_ffbh_u32_e32 v5, v92
	v_min_u32_e32 v5, 32, v5
	v_subrev_nc_u32_e32 v6, 28, v5
	v_sub_nc_u32_e32 v5, 29, v5
	v_lshlrev_b64 v[6:7], v6, v[92:93]
	v_and_b32_e32 v92, 7, v6
; %bb.1007:                             ;   in Loop: Header=BB214_15 Depth=1
	s_or_b32 exec_lo, exec_lo, s21
	v_mov_b32_e32 v0, 24
	v_lshl_add_u32 v5, v5, 23, 0x3c000000
	v_lshlrev_b32_sdwa v4, v0, v4 dst_sel:DWORD dst_unused:UNUSED_PAD src0_sel:DWORD src1_sel:BYTE_3
	v_lshlrev_b32_e32 v0, 20, v92
	v_and_b32_e32 v4, 0x80000000, v4
	v_or3_b32 v1, v0, v4, v5
	v_mov_b32_e32 v0, v93
	buffer_store_dword v0, off, s[0:3], s32 offset:976 ; 4-byte Folded Spill
	buffer_store_dword v1, off, s[0:3], s32 offset:980 ; 4-byte Folded Spill
.LBB214_1008:                           ;   in Loop: Header=BB214_15 Depth=1
	s_or_b32 exec_lo, exec_lo, s20
.LBB214_1009:                           ;   in Loop: Header=BB214_15 Depth=1
	s_or_b32 exec_lo, exec_lo, s19
.LBB214_1010:                           ;   in Loop: Header=BB214_15 Depth=1
	s_or_b32 exec_lo, exec_lo, s18
	flat_load_dword v2, v[2:3] offset:1548
	v_mov_b32_e32 v0, 0
	v_mov_b32_e32 v1, 0
	buffer_store_dword v0, off, s[0:3], s32 offset:992 ; 4-byte Folded Spill
	buffer_store_dword v1, off, s[0:3], s32 offset:996 ; 4-byte Folded Spill
	v_mov_b32_e32 v0, 0
	v_mov_b32_e32 v1, 0
	buffer_store_dword v0, off, s[0:3], s32 offset:984 ; 4-byte Folded Spill
	buffer_store_dword v1, off, s[0:3], s32 offset:988 ; 4-byte Folded Spill
	s_waitcnt vmcnt(0) lgkmcnt(0)
	v_cmp_ne_u16_sdwa s5, v2, v93 src0_sel:BYTE_0 src1_sel:DWORD
	s_and_saveexec_b32 s18, s5
	s_cbranch_execz .LBB214_1018
; %bb.1011:                             ;   in Loop: Header=BB214_15 Depth=1
	v_bfrev_b32_e32 v0, 1
	v_mov_b32_e32 v1, 0
	buffer_store_dword v0, off, s[0:3], s32 offset:984 ; 4-byte Folded Spill
	buffer_store_dword v1, off, s[0:3], s32 offset:988 ; 4-byte Folded Spill
	v_mov_b32_e32 v0, 0x80
	v_cmp_ne_u16_sdwa s5, v2, v0 src0_sel:BYTE_0 src1_sel:DWORD
	s_and_saveexec_b32 s19, s5
	s_cbranch_execz .LBB214_1017
; %bb.1012:                             ;   in Loop: Header=BB214_15 Depth=1
	v_mov_b32_e32 v0, 0x7f800001
	v_and_b32_e32 v4, 0x7f, v2
	v_mov_b32_e32 v1, 0
	s_mov_b32 s20, exec_lo
	buffer_store_dword v0, off, s[0:3], s32 offset:984 ; 4-byte Folded Spill
	buffer_store_dword v1, off, s[0:3], s32 offset:988 ; 4-byte Folded Spill
	v_cmpx_ne_u32_e32 0x7f, v4
	s_cbranch_execz .LBB214_1016
; %bb.1013:                             ;   in Loop: Header=BB214_15 Depth=1
	v_and_b32_e32 v92, 7, v2
	v_lshrrev_b32_e32 v3, 3, v4
	s_mov_b32 s21, exec_lo
	v_cmpx_gt_u32_e32 8, v4
; %bb.1014:                             ;   in Loop: Header=BB214_15 Depth=1
	v_ffbh_u32_e32 v3, v92
	v_min_u32_e32 v3, 32, v3
	v_subrev_nc_u32_e32 v4, 28, v3
	v_sub_nc_u32_e32 v3, 29, v3
	v_lshlrev_b64 v[4:5], v4, v[92:93]
	v_and_b32_e32 v92, 7, v4
; %bb.1015:                             ;   in Loop: Header=BB214_15 Depth=1
	s_or_b32 exec_lo, exec_lo, s21
	v_lshlrev_b32_e32 v4, 24, v2
	v_lshlrev_b32_e32 v0, 20, v92
	v_lshl_add_u32 v3, v3, 23, 0x3c000000
	v_and_b32_e32 v4, 0x80000000, v4
	v_or3_b32 v92, v0, v4, v3
	buffer_store_dword v92, off, s[0:3], s32 offset:984 ; 4-byte Folded Spill
	buffer_store_dword v93, off, s[0:3], s32 offset:988 ; 4-byte Folded Spill
.LBB214_1016:                           ;   in Loop: Header=BB214_15 Depth=1
	s_or_b32 exec_lo, exec_lo, s20
.LBB214_1017:                           ;   in Loop: Header=BB214_15 Depth=1
	s_or_b32 exec_lo, exec_lo, s19
.LBB214_1018:                           ;   in Loop: Header=BB214_15 Depth=1
	s_or_b32 exec_lo, exec_lo, s18
	v_cmp_ne_u16_sdwa s5, v2, v93 src0_sel:BYTE_1 src1_sel:DWORD
	s_and_saveexec_b32 s18, s5
	s_cbranch_execz .LBB214_1026
; %bb.1019:                             ;   in Loop: Header=BB214_15 Depth=1
	v_mov_b32_e32 v0, 0x80
	v_mov_b32_e32 v16, v93
	buffer_store_dword v16, off, s[0:3], s32 offset:992 ; 4-byte Folded Spill
	buffer_store_dword v17, off, s[0:3], s32 offset:996 ; 4-byte Folded Spill
	v_cmp_ne_u16_sdwa s5, v2, v0 src0_sel:BYTE_1 src1_sel:DWORD
	s_and_saveexec_b32 s19, s5
	s_cbranch_execz .LBB214_1025
; %bb.1020:                             ;   in Loop: Header=BB214_15 Depth=1
	s_clause 0x1
	buffer_load_dword v5, off, s[0:3], s32 offset:192
	buffer_load_dword v6, off, s[0:3], s32 offset:196
	v_mov_b32_e32 v0, 0xffff
	s_waitcnt vmcnt(1)
	v_mov_b32_e32 v5, v93
	s_mov_b32 s20, exec_lo
	v_and_b32_sdwa v0, v0, v2 dst_sel:DWORD dst_unused:UNUSED_PAD src0_sel:DWORD src1_sel:BYTE_1
	v_and_b32_e32 v4, 0x7f, v0
	s_waitcnt vmcnt(0)
	v_mov_b32_e32 v3, v6
	buffer_store_dword v2, off, s[0:3], s32 offset:192 ; 4-byte Folded Spill
	buffer_store_dword v3, off, s[0:3], s32 offset:196 ; 4-byte Folded Spill
	;; [unrolled: 1-line block ×4, first 2 shown]
	v_cmpx_ne_u32_e32 0x7f, v4
	s_cbranch_execz .LBB214_1024
; %bb.1021:                             ;   in Loop: Header=BB214_15 Depth=1
	v_and_b32_e32 v92, 7, v0
	v_lshrrev_b32_e32 v3, 3, v4
	s_mov_b32 s21, exec_lo
	v_cmpx_gt_u32_e32 8, v4
; %bb.1022:                             ;   in Loop: Header=BB214_15 Depth=1
	v_ffbh_u32_e32 v3, v92
	v_min_u32_e32 v3, 32, v3
	v_subrev_nc_u32_e32 v4, 28, v3
	v_sub_nc_u32_e32 v3, 29, v3
	v_lshlrev_b64 v[4:5], v4, v[92:93]
	v_and_b32_e32 v92, 7, v4
; %bb.1023:                             ;   in Loop: Header=BB214_15 Depth=1
	s_or_b32 exec_lo, exec_lo, s21
	v_lshlrev_b32_e32 v4, 16, v2
	v_lshlrev_b32_e32 v0, 20, v92
	v_lshl_add_u32 v3, v3, 23, 0x3c000000
	v_and_b32_e32 v4, 0x80000000, v4
	v_or3_b32 v1, v0, v4, v3
	v_mov_b32_e32 v0, v93
	buffer_store_dword v0, off, s[0:3], s32 offset:992 ; 4-byte Folded Spill
	buffer_store_dword v1, off, s[0:3], s32 offset:996 ; 4-byte Folded Spill
.LBB214_1024:                           ;   in Loop: Header=BB214_15 Depth=1
	s_or_b32 exec_lo, exec_lo, s20
.LBB214_1025:                           ;   in Loop: Header=BB214_15 Depth=1
	s_or_b32 exec_lo, exec_lo, s19
.LBB214_1026:                           ;   in Loop: Header=BB214_15 Depth=1
	s_or_b32 exec_lo, exec_lo, s18
	v_mov_b32_e32 v3, 0
	v_mov_b32_e32 v4, 0
	v_and_b32_sdwa v0, v2, v10 dst_sel:DWORD dst_unused:UNUSED_PAD src0_sel:WORD_1 src1_sel:DWORD
	s_mov_b32 s18, exec_lo
	buffer_store_dword v3, off, s[0:3], s32 offset:1000 ; 4-byte Folded Spill
	buffer_store_dword v4, off, s[0:3], s32 offset:1004 ; 4-byte Folded Spill
	v_mov_b32_e32 v3, 0
	v_mov_b32_e32 v4, 0
	buffer_store_dword v3, off, s[0:3], s32 offset:1312 ; 4-byte Folded Spill
	buffer_store_dword v4, off, s[0:3], s32 offset:1316 ; 4-byte Folded Spill
	v_cmpx_ne_u16_e32 0, v0
	s_cbranch_execz .LBB214_1034
; %bb.1027:                             ;   in Loop: Header=BB214_15 Depth=1
	v_cmp_ne_u16_e64 s5, 0x80, v0
	v_bfrev_b32_e32 v0, 1
	v_mov_b32_e32 v1, 0
	s_and_saveexec_b32 s19, s5
	s_cbranch_execz .LBB214_1033
; %bb.1028:                             ;   in Loop: Header=BB214_15 Depth=1
	v_mov_b32_e32 v0, 0x7f800001
	v_bfe_u32 v4, v2, 16, 7
	v_mov_b32_e32 v1, 0
	s_mov_b32 s20, exec_lo
	v_cmpx_ne_u32_e32 0x7f, v4
	s_cbranch_execz .LBB214_1032
; %bb.1029:                             ;   in Loop: Header=BB214_15 Depth=1
	v_mov_b32_e32 v0, 7
	v_lshrrev_b32_e32 v3, 3, v4
	s_mov_b32 s21, exec_lo
	v_and_b32_sdwa v92, v2, v0 dst_sel:DWORD dst_unused:UNUSED_PAD src0_sel:WORD_1 src1_sel:DWORD
	v_cmpx_gt_u32_e32 8, v4
; %bb.1030:                             ;   in Loop: Header=BB214_15 Depth=1
	v_ffbh_u32_e32 v3, v92
	v_min_u32_e32 v3, 32, v3
	v_subrev_nc_u32_e32 v4, 28, v3
	v_sub_nc_u32_e32 v3, 29, v3
	v_lshlrev_b64 v[4:5], v4, v[92:93]
	v_and_b32_e32 v92, 7, v4
; %bb.1031:                             ;   in Loop: Header=BB214_15 Depth=1
	s_or_b32 exec_lo, exec_lo, s21
	v_mov_b32_e32 v0, 24
	v_lshl_add_u32 v3, v3, 23, 0x3c000000
	v_lshlrev_b32_sdwa v4, v0, v2 dst_sel:DWORD dst_unused:UNUSED_PAD src0_sel:DWORD src1_sel:WORD_1
	v_lshlrev_b32_e32 v0, 20, v92
	v_and_b32_e32 v4, 0x80000000, v4
	v_or3_b32 v92, v0, v4, v3
	v_mov_b32_e32 v0, v92
	v_mov_b32_e32 v1, v93
.LBB214_1032:                           ;   in Loop: Header=BB214_15 Depth=1
	s_or_b32 exec_lo, exec_lo, s20
.LBB214_1033:                           ;   in Loop: Header=BB214_15 Depth=1
	s_or_b32 exec_lo, exec_lo, s19
	buffer_store_dword v0, off, s[0:3], s32 offset:1312 ; 4-byte Folded Spill
	buffer_store_dword v1, off, s[0:3], s32 offset:1316 ; 4-byte Folded Spill
.LBB214_1034:                           ;   in Loop: Header=BB214_15 Depth=1
	s_or_b32 exec_lo, exec_lo, s18
	s_mov_b32 s18, exec_lo
	v_cmpx_lt_u32_e32 0xffffff, v2
	s_cbranch_execz .LBB214_1042
; %bb.1035:                             ;   in Loop: Header=BB214_15 Depth=1
	v_mov_b32_e32 v0, 0x80
	v_mov_b32_e32 v16, v93
	buffer_store_dword v16, off, s[0:3], s32 offset:1000 ; 4-byte Folded Spill
	buffer_store_dword v17, off, s[0:3], s32 offset:1004 ; 4-byte Folded Spill
	v_cmp_ne_u32_sdwa s5, v2, v0 src0_sel:BYTE_3 src1_sel:DWORD
	s_and_saveexec_b32 s19, s5
	s_cbranch_execz .LBB214_1041
; %bb.1036:                             ;   in Loop: Header=BB214_15 Depth=1
	s_clause 0x1
	buffer_load_dword v5, off, s[0:3], s32 offset:192
	buffer_load_dword v6, off, s[0:3], s32 offset:196
	v_bfe_u32 v4, v2, 24, 7
	s_waitcnt vmcnt(1)
	v_mov_b32_e32 v5, v93
	s_mov_b32 s20, exec_lo
	s_waitcnt vmcnt(0)
	v_mov_b32_e32 v3, v6
	buffer_store_dword v2, off, s[0:3], s32 offset:192 ; 4-byte Folded Spill
	buffer_store_dword v3, off, s[0:3], s32 offset:196 ; 4-byte Folded Spill
	;; [unrolled: 1-line block ×4, first 2 shown]
	v_cmpx_ne_u32_e32 0x7f, v4
	s_cbranch_execz .LBB214_1040
; %bb.1037:                             ;   in Loop: Header=BB214_15 Depth=1
	v_mov_b32_e32 v0, 7
	v_lshrrev_b32_e32 v3, 3, v4
	s_mov_b32 s21, exec_lo
	v_and_b32_sdwa v92, v2, v0 dst_sel:DWORD dst_unused:UNUSED_PAD src0_sel:BYTE_3 src1_sel:DWORD
	v_cmpx_gt_u32_e32 8, v4
; %bb.1038:                             ;   in Loop: Header=BB214_15 Depth=1
	v_ffbh_u32_e32 v3, v92
	v_min_u32_e32 v3, 32, v3
	v_subrev_nc_u32_e32 v4, 28, v3
	v_sub_nc_u32_e32 v3, 29, v3
	v_lshlrev_b64 v[4:5], v4, v[92:93]
	v_and_b32_e32 v92, 7, v4
; %bb.1039:                             ;   in Loop: Header=BB214_15 Depth=1
	s_or_b32 exec_lo, exec_lo, s21
	v_mov_b32_e32 v0, 24
	v_lshl_add_u32 v3, v3, 23, 0x3c000000
	v_lshlrev_b32_sdwa v2, v0, v2 dst_sel:DWORD dst_unused:UNUSED_PAD src0_sel:DWORD src1_sel:BYTE_3
	v_lshlrev_b32_e32 v0, 20, v92
	v_and_b32_e32 v2, 0x80000000, v2
	v_or3_b32 v1, v0, v2, v3
	v_mov_b32_e32 v0, v93
	buffer_store_dword v0, off, s[0:3], s32 offset:1000 ; 4-byte Folded Spill
	buffer_store_dword v1, off, s[0:3], s32 offset:1004 ; 4-byte Folded Spill
.LBB214_1040:                           ;   in Loop: Header=BB214_15 Depth=1
	s_or_b32 exec_lo, exec_lo, s20
.LBB214_1041:                           ;   in Loop: Header=BB214_15 Depth=1
	s_or_b32 exec_lo, exec_lo, s19
.LBB214_1042:                           ;   in Loop: Header=BB214_15 Depth=1
	s_or_b32 exec_lo, exec_lo, s18
	v_add_co_u32 v126, s5, 0x1000, v74
	v_add_co_ci_u32_e64 v127, null, 0, v75, s5
	v_mov_b32_e32 v0, 0
	v_mov_b32_e32 v1, 0
	flat_load_dword v2, v[126:127]
	buffer_store_dword v0, off, s[0:3], s32 offset:1016 ; 4-byte Folded Spill
	buffer_store_dword v1, off, s[0:3], s32 offset:1020 ; 4-byte Folded Spill
	v_mov_b32_e32 v0, 0
	v_mov_b32_e32 v1, 0
	buffer_store_dword v0, off, s[0:3], s32 offset:1008 ; 4-byte Folded Spill
	buffer_store_dword v1, off, s[0:3], s32 offset:1012 ; 4-byte Folded Spill
	s_waitcnt vmcnt(0) lgkmcnt(0)
	v_cmp_ne_u16_sdwa s5, v2, v93 src0_sel:BYTE_0 src1_sel:DWORD
	s_and_saveexec_b32 s18, s5
	s_cbranch_execz .LBB214_1050
; %bb.1043:                             ;   in Loop: Header=BB214_15 Depth=1
	v_bfrev_b32_e32 v0, 1
	v_mov_b32_e32 v1, 0
	buffer_store_dword v0, off, s[0:3], s32 offset:1008 ; 4-byte Folded Spill
	buffer_store_dword v1, off, s[0:3], s32 offset:1012 ; 4-byte Folded Spill
	v_mov_b32_e32 v0, 0x80
	v_cmp_ne_u16_sdwa s5, v2, v0 src0_sel:BYTE_0 src1_sel:DWORD
	s_and_saveexec_b32 s19, s5
	s_cbranch_execz .LBB214_1049
; %bb.1044:                             ;   in Loop: Header=BB214_15 Depth=1
	v_mov_b32_e32 v0, 0x7f800001
	v_and_b32_e32 v4, 0x7f, v2
	v_mov_b32_e32 v1, 0
	s_mov_b32 s20, exec_lo
	buffer_store_dword v0, off, s[0:3], s32 offset:1008 ; 4-byte Folded Spill
	buffer_store_dword v1, off, s[0:3], s32 offset:1012 ; 4-byte Folded Spill
	v_cmpx_ne_u32_e32 0x7f, v4
	s_cbranch_execz .LBB214_1048
; %bb.1045:                             ;   in Loop: Header=BB214_15 Depth=1
	v_and_b32_e32 v92, 7, v2
	v_lshrrev_b32_e32 v3, 3, v4
	s_mov_b32 s21, exec_lo
	v_cmpx_gt_u32_e32 8, v4
; %bb.1046:                             ;   in Loop: Header=BB214_15 Depth=1
	v_ffbh_u32_e32 v3, v92
	v_min_u32_e32 v3, 32, v3
	v_subrev_nc_u32_e32 v4, 28, v3
	v_sub_nc_u32_e32 v3, 29, v3
	v_lshlrev_b64 v[4:5], v4, v[92:93]
	v_and_b32_e32 v92, 7, v4
; %bb.1047:                             ;   in Loop: Header=BB214_15 Depth=1
	s_or_b32 exec_lo, exec_lo, s21
	v_lshlrev_b32_e32 v4, 24, v2
	v_lshlrev_b32_e32 v0, 20, v92
	v_lshl_add_u32 v3, v3, 23, 0x3c000000
	v_and_b32_e32 v4, 0x80000000, v4
	v_or3_b32 v92, v0, v4, v3
	buffer_store_dword v92, off, s[0:3], s32 offset:1008 ; 4-byte Folded Spill
	buffer_store_dword v93, off, s[0:3], s32 offset:1012 ; 4-byte Folded Spill
.LBB214_1048:                           ;   in Loop: Header=BB214_15 Depth=1
	s_or_b32 exec_lo, exec_lo, s20
.LBB214_1049:                           ;   in Loop: Header=BB214_15 Depth=1
	s_or_b32 exec_lo, exec_lo, s19
.LBB214_1050:                           ;   in Loop: Header=BB214_15 Depth=1
	s_or_b32 exec_lo, exec_lo, s18
	v_cmp_ne_u16_sdwa s5, v2, v93 src0_sel:BYTE_1 src1_sel:DWORD
	s_and_saveexec_b32 s18, s5
	s_cbranch_execz .LBB214_1058
; %bb.1051:                             ;   in Loop: Header=BB214_15 Depth=1
	v_mov_b32_e32 v0, 0x80
	v_mov_b32_e32 v16, v93
	buffer_store_dword v16, off, s[0:3], s32 offset:1016 ; 4-byte Folded Spill
	buffer_store_dword v17, off, s[0:3], s32 offset:1020 ; 4-byte Folded Spill
	v_cmp_ne_u16_sdwa s5, v2, v0 src0_sel:BYTE_1 src1_sel:DWORD
	s_and_saveexec_b32 s19, s5
	s_cbranch_execz .LBB214_1057
; %bb.1052:                             ;   in Loop: Header=BB214_15 Depth=1
	s_clause 0x1
	buffer_load_dword v5, off, s[0:3], s32 offset:192
	buffer_load_dword v6, off, s[0:3], s32 offset:196
	v_mov_b32_e32 v0, 0xffff
	s_waitcnt vmcnt(1)
	v_mov_b32_e32 v5, v93
	s_mov_b32 s20, exec_lo
	v_and_b32_sdwa v0, v0, v2 dst_sel:DWORD dst_unused:UNUSED_PAD src0_sel:DWORD src1_sel:BYTE_1
	v_and_b32_e32 v4, 0x7f, v0
	s_waitcnt vmcnt(0)
	v_mov_b32_e32 v3, v6
	buffer_store_dword v2, off, s[0:3], s32 offset:192 ; 4-byte Folded Spill
	buffer_store_dword v3, off, s[0:3], s32 offset:196 ; 4-byte Folded Spill
	;; [unrolled: 1-line block ×4, first 2 shown]
	v_cmpx_ne_u32_e32 0x7f, v4
	s_cbranch_execz .LBB214_1056
; %bb.1053:                             ;   in Loop: Header=BB214_15 Depth=1
	v_and_b32_e32 v92, 7, v0
	v_lshrrev_b32_e32 v3, 3, v4
	s_mov_b32 s21, exec_lo
	v_cmpx_gt_u32_e32 8, v4
; %bb.1054:                             ;   in Loop: Header=BB214_15 Depth=1
	v_ffbh_u32_e32 v3, v92
	v_min_u32_e32 v3, 32, v3
	v_subrev_nc_u32_e32 v4, 28, v3
	v_sub_nc_u32_e32 v3, 29, v3
	v_lshlrev_b64 v[4:5], v4, v[92:93]
	v_and_b32_e32 v92, 7, v4
; %bb.1055:                             ;   in Loop: Header=BB214_15 Depth=1
	s_or_b32 exec_lo, exec_lo, s21
	v_lshlrev_b32_e32 v4, 16, v2
	v_lshlrev_b32_e32 v0, 20, v92
	v_lshl_add_u32 v3, v3, 23, 0x3c000000
	v_and_b32_e32 v4, 0x80000000, v4
	v_or3_b32 v1, v0, v4, v3
	v_mov_b32_e32 v0, v93
	buffer_store_dword v0, off, s[0:3], s32 offset:1016 ; 4-byte Folded Spill
	buffer_store_dword v1, off, s[0:3], s32 offset:1020 ; 4-byte Folded Spill
.LBB214_1056:                           ;   in Loop: Header=BB214_15 Depth=1
	s_or_b32 exec_lo, exec_lo, s20
.LBB214_1057:                           ;   in Loop: Header=BB214_15 Depth=1
	s_or_b32 exec_lo, exec_lo, s19
.LBB214_1058:                           ;   in Loop: Header=BB214_15 Depth=1
	s_or_b32 exec_lo, exec_lo, s18
	v_mov_b32_e32 v3, 0
	v_mov_b32_e32 v4, 0
	v_and_b32_sdwa v0, v2, v10 dst_sel:DWORD dst_unused:UNUSED_PAD src0_sel:WORD_1 src1_sel:DWORD
	s_mov_b32 s18, exec_lo
	buffer_store_dword v3, off, s[0:3], s32 offset:1024 ; 4-byte Folded Spill
	buffer_store_dword v4, off, s[0:3], s32 offset:1028 ; 4-byte Folded Spill
	v_mov_b32_e32 v3, 0
	v_mov_b32_e32 v4, 0
	buffer_store_dword v3, off, s[0:3], s32 offset:1320 ; 4-byte Folded Spill
	buffer_store_dword v4, off, s[0:3], s32 offset:1324 ; 4-byte Folded Spill
	v_cmpx_ne_u16_e32 0, v0
	s_cbranch_execz .LBB214_1066
; %bb.1059:                             ;   in Loop: Header=BB214_15 Depth=1
	v_cmp_ne_u16_e64 s5, 0x80, v0
	v_bfrev_b32_e32 v0, 1
	v_mov_b32_e32 v1, 0
	s_and_saveexec_b32 s19, s5
	s_cbranch_execz .LBB214_1065
; %bb.1060:                             ;   in Loop: Header=BB214_15 Depth=1
	v_mov_b32_e32 v0, 0x7f800001
	v_bfe_u32 v4, v2, 16, 7
	v_mov_b32_e32 v1, 0
	s_mov_b32 s20, exec_lo
	v_cmpx_ne_u32_e32 0x7f, v4
	s_cbranch_execz .LBB214_1064
; %bb.1061:                             ;   in Loop: Header=BB214_15 Depth=1
	v_mov_b32_e32 v0, 7
	v_lshrrev_b32_e32 v3, 3, v4
	s_mov_b32 s21, exec_lo
	v_and_b32_sdwa v92, v2, v0 dst_sel:DWORD dst_unused:UNUSED_PAD src0_sel:WORD_1 src1_sel:DWORD
	v_cmpx_gt_u32_e32 8, v4
; %bb.1062:                             ;   in Loop: Header=BB214_15 Depth=1
	v_ffbh_u32_e32 v3, v92
	v_min_u32_e32 v3, 32, v3
	v_subrev_nc_u32_e32 v4, 28, v3
	v_sub_nc_u32_e32 v3, 29, v3
	v_lshlrev_b64 v[4:5], v4, v[92:93]
	v_and_b32_e32 v92, 7, v4
; %bb.1063:                             ;   in Loop: Header=BB214_15 Depth=1
	s_or_b32 exec_lo, exec_lo, s21
	v_mov_b32_e32 v0, 24
	v_lshl_add_u32 v3, v3, 23, 0x3c000000
	v_lshlrev_b32_sdwa v4, v0, v2 dst_sel:DWORD dst_unused:UNUSED_PAD src0_sel:DWORD src1_sel:WORD_1
	v_lshlrev_b32_e32 v0, 20, v92
	v_and_b32_e32 v4, 0x80000000, v4
	v_or3_b32 v92, v0, v4, v3
	v_mov_b32_e32 v0, v92
	v_mov_b32_e32 v1, v93
.LBB214_1064:                           ;   in Loop: Header=BB214_15 Depth=1
	s_or_b32 exec_lo, exec_lo, s20
.LBB214_1065:                           ;   in Loop: Header=BB214_15 Depth=1
	s_or_b32 exec_lo, exec_lo, s19
	buffer_store_dword v0, off, s[0:3], s32 offset:1320 ; 4-byte Folded Spill
	buffer_store_dword v1, off, s[0:3], s32 offset:1324 ; 4-byte Folded Spill
.LBB214_1066:                           ;   in Loop: Header=BB214_15 Depth=1
	s_or_b32 exec_lo, exec_lo, s18
	s_mov_b32 s18, exec_lo
	v_cmpx_lt_u32_e32 0xffffff, v2
	s_cbranch_execz .LBB214_1074
; %bb.1067:                             ;   in Loop: Header=BB214_15 Depth=1
	v_mov_b32_e32 v0, 0x80
	v_mov_b32_e32 v16, v93
	buffer_store_dword v16, off, s[0:3], s32 offset:1024 ; 4-byte Folded Spill
	buffer_store_dword v17, off, s[0:3], s32 offset:1028 ; 4-byte Folded Spill
	v_cmp_ne_u32_sdwa s5, v2, v0 src0_sel:BYTE_3 src1_sel:DWORD
	s_and_saveexec_b32 s19, s5
	s_cbranch_execz .LBB214_1073
; %bb.1068:                             ;   in Loop: Header=BB214_15 Depth=1
	s_clause 0x1
	buffer_load_dword v5, off, s[0:3], s32 offset:192
	buffer_load_dword v6, off, s[0:3], s32 offset:196
	v_bfe_u32 v4, v2, 24, 7
	s_waitcnt vmcnt(1)
	v_mov_b32_e32 v5, v93
	s_mov_b32 s20, exec_lo
	s_waitcnt vmcnt(0)
	v_mov_b32_e32 v3, v6
	buffer_store_dword v2, off, s[0:3], s32 offset:192 ; 4-byte Folded Spill
	buffer_store_dword v3, off, s[0:3], s32 offset:196 ; 4-byte Folded Spill
	;; [unrolled: 1-line block ×4, first 2 shown]
	v_cmpx_ne_u32_e32 0x7f, v4
	s_cbranch_execz .LBB214_1072
; %bb.1069:                             ;   in Loop: Header=BB214_15 Depth=1
	v_mov_b32_e32 v0, 7
	v_lshrrev_b32_e32 v3, 3, v4
	s_mov_b32 s21, exec_lo
	v_and_b32_sdwa v92, v2, v0 dst_sel:DWORD dst_unused:UNUSED_PAD src0_sel:BYTE_3 src1_sel:DWORD
	v_cmpx_gt_u32_e32 8, v4
; %bb.1070:                             ;   in Loop: Header=BB214_15 Depth=1
	v_ffbh_u32_e32 v3, v92
	v_min_u32_e32 v3, 32, v3
	v_subrev_nc_u32_e32 v4, 28, v3
	v_sub_nc_u32_e32 v3, 29, v3
	v_lshlrev_b64 v[4:5], v4, v[92:93]
	v_and_b32_e32 v92, 7, v4
; %bb.1071:                             ;   in Loop: Header=BB214_15 Depth=1
	s_or_b32 exec_lo, exec_lo, s21
	v_mov_b32_e32 v0, 24
	v_lshl_add_u32 v3, v3, 23, 0x3c000000
	v_lshlrev_b32_sdwa v2, v0, v2 dst_sel:DWORD dst_unused:UNUSED_PAD src0_sel:DWORD src1_sel:BYTE_3
	v_lshlrev_b32_e32 v0, 20, v92
	v_and_b32_e32 v2, 0x80000000, v2
	v_or3_b32 v1, v0, v2, v3
	v_mov_b32_e32 v0, v93
	buffer_store_dword v0, off, s[0:3], s32 offset:1024 ; 4-byte Folded Spill
	buffer_store_dword v1, off, s[0:3], s32 offset:1028 ; 4-byte Folded Spill
.LBB214_1072:                           ;   in Loop: Header=BB214_15 Depth=1
	s_or_b32 exec_lo, exec_lo, s20
.LBB214_1073:                           ;   in Loop: Header=BB214_15 Depth=1
	s_or_b32 exec_lo, exec_lo, s19
.LBB214_1074:                           ;   in Loop: Header=BB214_15 Depth=1
	s_or_b32 exec_lo, exec_lo, s18
	flat_load_dword v2, v[126:127] offset:4
	v_mov_b32_e32 v0, 0
	v_mov_b32_e32 v1, 0
	buffer_store_dword v0, off, s[0:3], s32 offset:1040 ; 4-byte Folded Spill
	buffer_store_dword v1, off, s[0:3], s32 offset:1044 ; 4-byte Folded Spill
	v_mov_b32_e32 v0, 0
	v_mov_b32_e32 v1, 0
	buffer_store_dword v0, off, s[0:3], s32 offset:1032 ; 4-byte Folded Spill
	buffer_store_dword v1, off, s[0:3], s32 offset:1036 ; 4-byte Folded Spill
	s_waitcnt vmcnt(0) lgkmcnt(0)
	v_cmp_ne_u16_sdwa s5, v2, v93 src0_sel:BYTE_0 src1_sel:DWORD
	s_and_saveexec_b32 s18, s5
	s_cbranch_execz .LBB214_1082
; %bb.1075:                             ;   in Loop: Header=BB214_15 Depth=1
	v_bfrev_b32_e32 v0, 1
	v_mov_b32_e32 v1, 0
	buffer_store_dword v0, off, s[0:3], s32 offset:1032 ; 4-byte Folded Spill
	buffer_store_dword v1, off, s[0:3], s32 offset:1036 ; 4-byte Folded Spill
	v_mov_b32_e32 v0, 0x80
	v_cmp_ne_u16_sdwa s5, v2, v0 src0_sel:BYTE_0 src1_sel:DWORD
	s_and_saveexec_b32 s19, s5
	s_cbranch_execz .LBB214_1081
; %bb.1076:                             ;   in Loop: Header=BB214_15 Depth=1
	v_mov_b32_e32 v0, 0x7f800001
	v_and_b32_e32 v4, 0x7f, v2
	v_mov_b32_e32 v1, 0
	s_mov_b32 s20, exec_lo
	buffer_store_dword v0, off, s[0:3], s32 offset:1032 ; 4-byte Folded Spill
	buffer_store_dword v1, off, s[0:3], s32 offset:1036 ; 4-byte Folded Spill
	v_cmpx_ne_u32_e32 0x7f, v4
	s_cbranch_execz .LBB214_1080
; %bb.1077:                             ;   in Loop: Header=BB214_15 Depth=1
	v_and_b32_e32 v92, 7, v2
	v_lshrrev_b32_e32 v3, 3, v4
	s_mov_b32 s21, exec_lo
	v_cmpx_gt_u32_e32 8, v4
; %bb.1078:                             ;   in Loop: Header=BB214_15 Depth=1
	v_ffbh_u32_e32 v3, v92
	v_min_u32_e32 v3, 32, v3
	v_subrev_nc_u32_e32 v4, 28, v3
	v_sub_nc_u32_e32 v3, 29, v3
	v_lshlrev_b64 v[4:5], v4, v[92:93]
	v_and_b32_e32 v92, 7, v4
; %bb.1079:                             ;   in Loop: Header=BB214_15 Depth=1
	s_or_b32 exec_lo, exec_lo, s21
	v_lshlrev_b32_e32 v4, 24, v2
	v_lshlrev_b32_e32 v0, 20, v92
	v_lshl_add_u32 v3, v3, 23, 0x3c000000
	v_and_b32_e32 v4, 0x80000000, v4
	v_or3_b32 v92, v0, v4, v3
	buffer_store_dword v92, off, s[0:3], s32 offset:1032 ; 4-byte Folded Spill
	buffer_store_dword v93, off, s[0:3], s32 offset:1036 ; 4-byte Folded Spill
.LBB214_1080:                           ;   in Loop: Header=BB214_15 Depth=1
	s_or_b32 exec_lo, exec_lo, s20
.LBB214_1081:                           ;   in Loop: Header=BB214_15 Depth=1
	s_or_b32 exec_lo, exec_lo, s19
.LBB214_1082:                           ;   in Loop: Header=BB214_15 Depth=1
	s_or_b32 exec_lo, exec_lo, s18
	v_cmp_ne_u16_sdwa s5, v2, v93 src0_sel:BYTE_1 src1_sel:DWORD
	s_and_saveexec_b32 s18, s5
	s_cbranch_execz .LBB214_1090
; %bb.1083:                             ;   in Loop: Header=BB214_15 Depth=1
	v_mov_b32_e32 v0, 0x80
	v_mov_b32_e32 v16, v93
	buffer_store_dword v16, off, s[0:3], s32 offset:1040 ; 4-byte Folded Spill
	buffer_store_dword v17, off, s[0:3], s32 offset:1044 ; 4-byte Folded Spill
	v_cmp_ne_u16_sdwa s5, v2, v0 src0_sel:BYTE_1 src1_sel:DWORD
	s_and_saveexec_b32 s19, s5
	s_cbranch_execz .LBB214_1089
; %bb.1084:                             ;   in Loop: Header=BB214_15 Depth=1
	s_clause 0x1
	buffer_load_dword v5, off, s[0:3], s32 offset:192
	buffer_load_dword v6, off, s[0:3], s32 offset:196
	v_mov_b32_e32 v0, 0xffff
	s_waitcnt vmcnt(1)
	v_mov_b32_e32 v5, v93
	s_mov_b32 s20, exec_lo
	v_and_b32_sdwa v0, v0, v2 dst_sel:DWORD dst_unused:UNUSED_PAD src0_sel:DWORD src1_sel:BYTE_1
	v_and_b32_e32 v4, 0x7f, v0
	s_waitcnt vmcnt(0)
	v_mov_b32_e32 v3, v6
	buffer_store_dword v2, off, s[0:3], s32 offset:192 ; 4-byte Folded Spill
	buffer_store_dword v3, off, s[0:3], s32 offset:196 ; 4-byte Folded Spill
	;; [unrolled: 1-line block ×4, first 2 shown]
	v_cmpx_ne_u32_e32 0x7f, v4
	s_cbranch_execz .LBB214_1088
; %bb.1085:                             ;   in Loop: Header=BB214_15 Depth=1
	v_and_b32_e32 v92, 7, v0
	v_lshrrev_b32_e32 v3, 3, v4
	s_mov_b32 s21, exec_lo
	v_cmpx_gt_u32_e32 8, v4
; %bb.1086:                             ;   in Loop: Header=BB214_15 Depth=1
	v_ffbh_u32_e32 v3, v92
	v_min_u32_e32 v3, 32, v3
	v_subrev_nc_u32_e32 v4, 28, v3
	v_sub_nc_u32_e32 v3, 29, v3
	v_lshlrev_b64 v[4:5], v4, v[92:93]
	v_and_b32_e32 v92, 7, v4
; %bb.1087:                             ;   in Loop: Header=BB214_15 Depth=1
	s_or_b32 exec_lo, exec_lo, s21
	v_lshlrev_b32_e32 v4, 16, v2
	v_lshlrev_b32_e32 v0, 20, v92
	v_lshl_add_u32 v3, v3, 23, 0x3c000000
	v_and_b32_e32 v4, 0x80000000, v4
	v_or3_b32 v1, v0, v4, v3
	v_mov_b32_e32 v0, v93
	buffer_store_dword v0, off, s[0:3], s32 offset:1040 ; 4-byte Folded Spill
	buffer_store_dword v1, off, s[0:3], s32 offset:1044 ; 4-byte Folded Spill
.LBB214_1088:                           ;   in Loop: Header=BB214_15 Depth=1
	s_or_b32 exec_lo, exec_lo, s20
.LBB214_1089:                           ;   in Loop: Header=BB214_15 Depth=1
	s_or_b32 exec_lo, exec_lo, s19
.LBB214_1090:                           ;   in Loop: Header=BB214_15 Depth=1
	s_or_b32 exec_lo, exec_lo, s18
	v_mov_b32_e32 v3, 0
	v_mov_b32_e32 v4, 0
	v_and_b32_sdwa v0, v2, v10 dst_sel:DWORD dst_unused:UNUSED_PAD src0_sel:WORD_1 src1_sel:DWORD
	s_mov_b32 s18, exec_lo
	buffer_store_dword v3, off, s[0:3], s32 offset:1048 ; 4-byte Folded Spill
	buffer_store_dword v4, off, s[0:3], s32 offset:1052 ; 4-byte Folded Spill
	v_mov_b32_e32 v3, 0
	v_mov_b32_e32 v4, 0
	buffer_store_dword v3, off, s[0:3], s32 offset:1328 ; 4-byte Folded Spill
	buffer_store_dword v4, off, s[0:3], s32 offset:1332 ; 4-byte Folded Spill
	v_cmpx_ne_u16_e32 0, v0
	s_cbranch_execz .LBB214_1098
; %bb.1091:                             ;   in Loop: Header=BB214_15 Depth=1
	v_cmp_ne_u16_e64 s5, 0x80, v0
	v_bfrev_b32_e32 v0, 1
	v_mov_b32_e32 v1, 0
	s_and_saveexec_b32 s19, s5
	s_cbranch_execz .LBB214_1097
; %bb.1092:                             ;   in Loop: Header=BB214_15 Depth=1
	v_mov_b32_e32 v0, 0x7f800001
	v_bfe_u32 v4, v2, 16, 7
	v_mov_b32_e32 v1, 0
	s_mov_b32 s20, exec_lo
	v_cmpx_ne_u32_e32 0x7f, v4
	s_cbranch_execz .LBB214_1096
; %bb.1093:                             ;   in Loop: Header=BB214_15 Depth=1
	v_mov_b32_e32 v0, 7
	v_lshrrev_b32_e32 v3, 3, v4
	s_mov_b32 s21, exec_lo
	v_and_b32_sdwa v92, v2, v0 dst_sel:DWORD dst_unused:UNUSED_PAD src0_sel:WORD_1 src1_sel:DWORD
	v_cmpx_gt_u32_e32 8, v4
; %bb.1094:                             ;   in Loop: Header=BB214_15 Depth=1
	v_ffbh_u32_e32 v3, v92
	v_min_u32_e32 v3, 32, v3
	v_subrev_nc_u32_e32 v4, 28, v3
	v_sub_nc_u32_e32 v3, 29, v3
	v_lshlrev_b64 v[4:5], v4, v[92:93]
	v_and_b32_e32 v92, 7, v4
; %bb.1095:                             ;   in Loop: Header=BB214_15 Depth=1
	s_or_b32 exec_lo, exec_lo, s21
	v_mov_b32_e32 v0, 24
	v_lshl_add_u32 v3, v3, 23, 0x3c000000
	v_lshlrev_b32_sdwa v4, v0, v2 dst_sel:DWORD dst_unused:UNUSED_PAD src0_sel:DWORD src1_sel:WORD_1
	v_lshlrev_b32_e32 v0, 20, v92
	v_and_b32_e32 v4, 0x80000000, v4
	v_or3_b32 v92, v0, v4, v3
	v_mov_b32_e32 v0, v92
	v_mov_b32_e32 v1, v93
.LBB214_1096:                           ;   in Loop: Header=BB214_15 Depth=1
	s_or_b32 exec_lo, exec_lo, s20
.LBB214_1097:                           ;   in Loop: Header=BB214_15 Depth=1
	s_or_b32 exec_lo, exec_lo, s19
	buffer_store_dword v0, off, s[0:3], s32 offset:1328 ; 4-byte Folded Spill
	buffer_store_dword v1, off, s[0:3], s32 offset:1332 ; 4-byte Folded Spill
.LBB214_1098:                           ;   in Loop: Header=BB214_15 Depth=1
	s_or_b32 exec_lo, exec_lo, s18
	s_mov_b32 s18, exec_lo
	v_cmpx_lt_u32_e32 0xffffff, v2
	s_cbranch_execz .LBB214_1106
; %bb.1099:                             ;   in Loop: Header=BB214_15 Depth=1
	v_mov_b32_e32 v0, 0x80
	v_mov_b32_e32 v16, v93
	buffer_store_dword v16, off, s[0:3], s32 offset:1048 ; 4-byte Folded Spill
	buffer_store_dword v17, off, s[0:3], s32 offset:1052 ; 4-byte Folded Spill
	v_cmp_ne_u32_sdwa s5, v2, v0 src0_sel:BYTE_3 src1_sel:DWORD
	s_and_saveexec_b32 s19, s5
	s_cbranch_execz .LBB214_1105
; %bb.1100:                             ;   in Loop: Header=BB214_15 Depth=1
	s_clause 0x1
	buffer_load_dword v5, off, s[0:3], s32 offset:192
	buffer_load_dword v6, off, s[0:3], s32 offset:196
	v_bfe_u32 v4, v2, 24, 7
	v_mov_b32_e32 v22, v93
	s_mov_b32 s20, exec_lo
	s_waitcnt vmcnt(0)
	v_mov_b32_e32 v3, v6
	v_mov_b32_e32 v23, v6
	buffer_store_dword v2, off, s[0:3], s32 offset:192 ; 4-byte Folded Spill
	buffer_store_dword v3, off, s[0:3], s32 offset:196 ; 4-byte Folded Spill
	;; [unrolled: 1-line block ×4, first 2 shown]
	v_cmpx_ne_u32_e32 0x7f, v4
	s_cbranch_execz .LBB214_1104
; %bb.1101:                             ;   in Loop: Header=BB214_15 Depth=1
	v_mov_b32_e32 v0, 7
	v_lshrrev_b32_e32 v3, 3, v4
	s_mov_b32 s21, exec_lo
	v_and_b32_sdwa v92, v2, v0 dst_sel:DWORD dst_unused:UNUSED_PAD src0_sel:BYTE_3 src1_sel:DWORD
	v_cmpx_gt_u32_e32 8, v4
; %bb.1102:                             ;   in Loop: Header=BB214_15 Depth=1
	v_ffbh_u32_e32 v3, v92
	v_min_u32_e32 v3, 32, v3
	v_subrev_nc_u32_e32 v4, 28, v3
	v_sub_nc_u32_e32 v3, 29, v3
	v_lshlrev_b64 v[4:5], v4, v[92:93]
	v_and_b32_e32 v92, 7, v4
; %bb.1103:                             ;   in Loop: Header=BB214_15 Depth=1
	s_or_b32 exec_lo, exec_lo, s21
	v_mov_b32_e32 v0, 24
	v_lshl_add_u32 v3, v3, 23, 0x3c000000
	v_lshlrev_b32_sdwa v2, v0, v2 dst_sel:DWORD dst_unused:UNUSED_PAD src0_sel:DWORD src1_sel:BYTE_3
	v_lshlrev_b32_e32 v0, 20, v92
	v_and_b32_e32 v2, 0x80000000, v2
	v_or3_b32 v1, v0, v2, v3
	v_mov_b32_e32 v0, v93
	buffer_store_dword v0, off, s[0:3], s32 offset:1048 ; 4-byte Folded Spill
	buffer_store_dword v1, off, s[0:3], s32 offset:1052 ; 4-byte Folded Spill
.LBB214_1104:                           ;   in Loop: Header=BB214_15 Depth=1
	s_or_b32 exec_lo, exec_lo, s20
.LBB214_1105:                           ;   in Loop: Header=BB214_15 Depth=1
	s_or_b32 exec_lo, exec_lo, s19
.LBB214_1106:                           ;   in Loop: Header=BB214_15 Depth=1
	s_or_b32 exec_lo, exec_lo, s18
	flat_load_dword v2, v[126:127] offset:8
	v_mov_b32_e32 v48, 0
	v_mov_b32_e32 v0, 0
	;; [unrolled: 1-line block ×4, first 2 shown]
	buffer_store_dword v0, off, s[0:3], s32 offset:1056 ; 4-byte Folded Spill
	buffer_store_dword v1, off, s[0:3], s32 offset:1060 ; 4-byte Folded Spill
	s_waitcnt vmcnt(0) lgkmcnt(0)
	v_cmp_ne_u16_sdwa s5, v2, v93 src0_sel:BYTE_0 src1_sel:DWORD
	s_and_saveexec_b32 s18, s5
	s_cbranch_execz .LBB214_1114
; %bb.1107:                             ;   in Loop: Header=BB214_15 Depth=1
	v_bfrev_b32_e32 v0, 1
	v_mov_b32_e32 v1, 0
	buffer_store_dword v0, off, s[0:3], s32 offset:1056 ; 4-byte Folded Spill
	buffer_store_dword v1, off, s[0:3], s32 offset:1060 ; 4-byte Folded Spill
	v_mov_b32_e32 v0, 0x80
	v_cmp_ne_u16_sdwa s5, v2, v0 src0_sel:BYTE_0 src1_sel:DWORD
	s_and_saveexec_b32 s19, s5
	s_cbranch_execz .LBB214_1113
; %bb.1108:                             ;   in Loop: Header=BB214_15 Depth=1
	v_mov_b32_e32 v0, 0x7f800001
	v_and_b32_e32 v4, 0x7f, v2
	v_mov_b32_e32 v1, 0
	s_mov_b32 s20, exec_lo
	buffer_store_dword v0, off, s[0:3], s32 offset:1056 ; 4-byte Folded Spill
	buffer_store_dword v1, off, s[0:3], s32 offset:1060 ; 4-byte Folded Spill
	v_cmpx_ne_u32_e32 0x7f, v4
	s_cbranch_execz .LBB214_1112
; %bb.1109:                             ;   in Loop: Header=BB214_15 Depth=1
	v_and_b32_e32 v92, 7, v2
	v_lshrrev_b32_e32 v3, 3, v4
	s_mov_b32 s21, exec_lo
	v_cmpx_gt_u32_e32 8, v4
; %bb.1110:                             ;   in Loop: Header=BB214_15 Depth=1
	v_ffbh_u32_e32 v3, v92
	v_min_u32_e32 v3, 32, v3
	v_subrev_nc_u32_e32 v4, 28, v3
	v_sub_nc_u32_e32 v3, 29, v3
	v_lshlrev_b64 v[4:5], v4, v[92:93]
	v_and_b32_e32 v92, 7, v4
; %bb.1111:                             ;   in Loop: Header=BB214_15 Depth=1
	s_or_b32 exec_lo, exec_lo, s21
	v_lshlrev_b32_e32 v4, 24, v2
	v_lshlrev_b32_e32 v0, 20, v92
	v_lshl_add_u32 v3, v3, 23, 0x3c000000
	v_and_b32_e32 v4, 0x80000000, v4
	v_or3_b32 v92, v0, v4, v3
	buffer_store_dword v92, off, s[0:3], s32 offset:1056 ; 4-byte Folded Spill
	buffer_store_dword v93, off, s[0:3], s32 offset:1060 ; 4-byte Folded Spill
.LBB214_1112:                           ;   in Loop: Header=BB214_15 Depth=1
	s_or_b32 exec_lo, exec_lo, s20
.LBB214_1113:                           ;   in Loop: Header=BB214_15 Depth=1
	s_or_b32 exec_lo, exec_lo, s19
.LBB214_1114:                           ;   in Loop: Header=BB214_15 Depth=1
	s_or_b32 exec_lo, exec_lo, s18
	v_cmp_ne_u16_sdwa s5, v2, v93 src0_sel:BYTE_1 src1_sel:DWORD
	s_and_saveexec_b32 s18, s5
	s_cbranch_execz .LBB214_1122
; %bb.1115:                             ;   in Loop: Header=BB214_15 Depth=1
	v_mov_b32_e32 v16, v93
	v_mov_b32_e32 v0, 0x80
	;; [unrolled: 1-line block ×4, first 2 shown]
	v_cmp_ne_u16_sdwa s5, v2, v0 src0_sel:BYTE_1 src1_sel:DWORD
	s_and_saveexec_b32 s19, s5
	s_cbranch_execz .LBB214_1121
; %bb.1116:                             ;   in Loop: Header=BB214_15 Depth=1
	s_clause 0x1
	buffer_load_dword v48, off, s[0:3], s32 offset:192
	buffer_load_dword v49, off, s[0:3], s32 offset:196
	v_mov_b32_e32 v0, 0xffff
	s_waitcnt vmcnt(1)
	v_mov_b32_e32 v48, v93
	s_mov_b32 s20, exec_lo
	v_and_b32_sdwa v0, v0, v2 dst_sel:DWORD dst_unused:UNUSED_PAD src0_sel:DWORD src1_sel:BYTE_1
	v_and_b32_e32 v4, 0x7f, v0
	s_waitcnt vmcnt(0)
	v_mov_b32_e32 v3, v49
	buffer_store_dword v2, off, s[0:3], s32 offset:192 ; 4-byte Folded Spill
	buffer_store_dword v3, off, s[0:3], s32 offset:196 ; 4-byte Folded Spill
	v_cmpx_ne_u32_e32 0x7f, v4
	s_cbranch_execz .LBB214_1120
; %bb.1117:                             ;   in Loop: Header=BB214_15 Depth=1
	v_and_b32_e32 v92, 7, v0
	v_lshrrev_b32_e32 v3, 3, v4
	s_mov_b32 s21, exec_lo
	v_cmpx_gt_u32_e32 8, v4
; %bb.1118:                             ;   in Loop: Header=BB214_15 Depth=1
	v_ffbh_u32_e32 v3, v92
	v_min_u32_e32 v3, 32, v3
	v_subrev_nc_u32_e32 v4, 28, v3
	v_sub_nc_u32_e32 v3, 29, v3
	v_lshlrev_b64 v[4:5], v4, v[92:93]
	v_and_b32_e32 v92, 7, v4
; %bb.1119:                             ;   in Loop: Header=BB214_15 Depth=1
	s_or_b32 exec_lo, exec_lo, s21
	v_lshlrev_b32_e32 v4, 16, v2
	v_lshlrev_b32_e32 v0, 20, v92
	v_lshl_add_u32 v3, v3, 23, 0x3c000000
	v_mov_b32_e32 v48, v93
	v_and_b32_e32 v4, 0x80000000, v4
	v_or3_b32 v49, v0, v4, v3
.LBB214_1120:                           ;   in Loop: Header=BB214_15 Depth=1
	s_or_b32 exec_lo, exec_lo, s20
.LBB214_1121:                           ;   in Loop: Header=BB214_15 Depth=1
	s_or_b32 exec_lo, exec_lo, s19
.LBB214_1122:                           ;   in Loop: Header=BB214_15 Depth=1
	s_or_b32 exec_lo, exec_lo, s18
	v_mov_b32_e32 v90, 0
	v_mov_b32_e32 v20, 0
	v_and_b32_sdwa v0, v2, v10 dst_sel:DWORD dst_unused:UNUSED_PAD src0_sel:WORD_1 src1_sel:DWORD
	v_mov_b32_e32 v91, 0
	v_mov_b32_e32 v21, 0
	s_mov_b32 s18, exec_lo
	v_cmpx_ne_u16_e32 0, v0
	s_cbranch_execz .LBB214_1130
; %bb.1123:                             ;   in Loop: Header=BB214_15 Depth=1
	v_bfrev_b32_e32 v20, 1
	v_mov_b32_e32 v21, 0
	s_mov_b32 s19, exec_lo
	v_cmpx_ne_u16_e32 0x80, v0
	s_cbranch_execz .LBB214_1129
; %bb.1124:                             ;   in Loop: Header=BB214_15 Depth=1
	v_mov_b32_e32 v20, 0x7f800001
	v_bfe_u32 v4, v2, 16, 7
	v_mov_b32_e32 v21, 0
	s_mov_b32 s20, exec_lo
	v_cmpx_ne_u32_e32 0x7f, v4
	s_cbranch_execz .LBB214_1128
; %bb.1125:                             ;   in Loop: Header=BB214_15 Depth=1
	v_mov_b32_e32 v0, 7
	v_lshrrev_b32_e32 v3, 3, v4
	s_mov_b32 s21, exec_lo
	v_and_b32_sdwa v92, v2, v0 dst_sel:DWORD dst_unused:UNUSED_PAD src0_sel:WORD_1 src1_sel:DWORD
	v_cmpx_gt_u32_e32 8, v4
; %bb.1126:                             ;   in Loop: Header=BB214_15 Depth=1
	v_ffbh_u32_e32 v3, v92
	v_min_u32_e32 v3, 32, v3
	v_subrev_nc_u32_e32 v4, 28, v3
	v_sub_nc_u32_e32 v3, 29, v3
	v_lshlrev_b64 v[4:5], v4, v[92:93]
	v_and_b32_e32 v92, 7, v4
; %bb.1127:                             ;   in Loop: Header=BB214_15 Depth=1
	s_or_b32 exec_lo, exec_lo, s21
	v_mov_b32_e32 v0, 24
	v_lshl_add_u32 v3, v3, 23, 0x3c000000
	v_lshlrev_b32_sdwa v4, v0, v2 dst_sel:DWORD dst_unused:UNUSED_PAD src0_sel:DWORD src1_sel:WORD_1
	v_lshlrev_b32_e32 v0, 20, v92
	v_and_b32_e32 v4, 0x80000000, v4
	v_or3_b32 v92, v0, v4, v3
	v_mov_b32_e32 v20, v92
	v_mov_b32_e32 v21, v93
.LBB214_1128:                           ;   in Loop: Header=BB214_15 Depth=1
	s_or_b32 exec_lo, exec_lo, s20
.LBB214_1129:                           ;   in Loop: Header=BB214_15 Depth=1
	s_or_b32 exec_lo, exec_lo, s19
.LBB214_1130:                           ;   in Loop: Header=BB214_15 Depth=1
	s_or_b32 exec_lo, exec_lo, s18
	s_mov_b32 s18, exec_lo
	v_cmpx_lt_u32_e32 0xffffff, v2
	s_cbranch_execz .LBB214_1138
; %bb.1131:                             ;   in Loop: Header=BB214_15 Depth=1
	v_mov_b32_e32 v16, v93
	v_mov_b32_e32 v0, 0x80
	;; [unrolled: 1-line block ×4, first 2 shown]
	v_cmp_ne_u32_sdwa s5, v2, v0 src0_sel:BYTE_3 src1_sel:DWORD
	s_and_saveexec_b32 s19, s5
	s_cbranch_execz .LBB214_1137
; %bb.1132:                             ;   in Loop: Header=BB214_15 Depth=1
	s_clause 0x1
	buffer_load_dword v90, off, s[0:3], s32 offset:192
	buffer_load_dword v91, off, s[0:3], s32 offset:196
	v_bfe_u32 v4, v2, 24, 7
	s_waitcnt vmcnt(1)
	v_mov_b32_e32 v90, v93
	s_mov_b32 s20, exec_lo
	s_waitcnt vmcnt(0)
	v_mov_b32_e32 v3, v91
	buffer_store_dword v2, off, s[0:3], s32 offset:192 ; 4-byte Folded Spill
	buffer_store_dword v3, off, s[0:3], s32 offset:196 ; 4-byte Folded Spill
	v_cmpx_ne_u32_e32 0x7f, v4
	s_cbranch_execz .LBB214_1136
; %bb.1133:                             ;   in Loop: Header=BB214_15 Depth=1
	v_mov_b32_e32 v0, 7
	v_lshrrev_b32_e32 v3, 3, v4
	s_mov_b32 s21, exec_lo
	v_and_b32_sdwa v92, v2, v0 dst_sel:DWORD dst_unused:UNUSED_PAD src0_sel:BYTE_3 src1_sel:DWORD
	v_cmpx_gt_u32_e32 8, v4
; %bb.1134:                             ;   in Loop: Header=BB214_15 Depth=1
	v_ffbh_u32_e32 v3, v92
	v_min_u32_e32 v3, 32, v3
	v_subrev_nc_u32_e32 v4, 28, v3
	v_sub_nc_u32_e32 v3, 29, v3
	v_lshlrev_b64 v[4:5], v4, v[92:93]
	v_and_b32_e32 v92, 7, v4
; %bb.1135:                             ;   in Loop: Header=BB214_15 Depth=1
	s_or_b32 exec_lo, exec_lo, s21
	v_mov_b32_e32 v0, 24
	v_lshl_add_u32 v3, v3, 23, 0x3c000000
	v_mov_b32_e32 v90, v93
	v_lshlrev_b32_sdwa v2, v0, v2 dst_sel:DWORD dst_unused:UNUSED_PAD src0_sel:DWORD src1_sel:BYTE_3
	v_lshlrev_b32_e32 v0, 20, v92
	v_and_b32_e32 v2, 0x80000000, v2
	v_or3_b32 v91, v0, v2, v3
.LBB214_1136:                           ;   in Loop: Header=BB214_15 Depth=1
	s_or_b32 exec_lo, exec_lo, s20
.LBB214_1137:                           ;   in Loop: Header=BB214_15 Depth=1
	s_or_b32 exec_lo, exec_lo, s19
.LBB214_1138:                           ;   in Loop: Header=BB214_15 Depth=1
	s_or_b32 exec_lo, exec_lo, s18
	flat_load_dword v6, v[126:127] offset:12
	v_mov_b32_e32 v108, 0
	v_mov_b32_e32 v28, 0
	;; [unrolled: 1-line block ×4, first 2 shown]
	s_waitcnt vmcnt(0) lgkmcnt(0)
	v_cmp_ne_u16_sdwa s5, v6, v93 src0_sel:BYTE_0 src1_sel:DWORD
	s_and_saveexec_b32 s18, s5
	s_cbranch_execz .LBB214_1146
; %bb.1139:                             ;   in Loop: Header=BB214_15 Depth=1
	v_mov_b32_e32 v0, 0x80
	v_bfrev_b32_e32 v28, 1
	v_mov_b32_e32 v29, 0
	v_cmp_ne_u16_sdwa s5, v6, v0 src0_sel:BYTE_0 src1_sel:DWORD
	s_and_saveexec_b32 s19, s5
	s_cbranch_execz .LBB214_1145
; %bb.1140:                             ;   in Loop: Header=BB214_15 Depth=1
	v_mov_b32_e32 v28, 0x7f800001
	v_and_b32_e32 v3, 0x7f, v6
	v_mov_b32_e32 v29, 0
	s_mov_b32 s20, exec_lo
	v_cmpx_ne_u32_e32 0x7f, v3
	s_cbranch_execz .LBB214_1144
; %bb.1141:                             ;   in Loop: Header=BB214_15 Depth=1
	v_and_b32_e32 v92, 7, v6
	v_lshrrev_b32_e32 v2, 3, v3
	s_mov_b32 s21, exec_lo
	v_cmpx_gt_u32_e32 8, v3
; %bb.1142:                             ;   in Loop: Header=BB214_15 Depth=1
	v_ffbh_u32_e32 v2, v92
	v_min_u32_e32 v2, 32, v2
	v_subrev_nc_u32_e32 v3, 28, v2
	v_sub_nc_u32_e32 v2, 29, v2
	v_lshlrev_b64 v[3:4], v3, v[92:93]
	v_and_b32_e32 v92, 7, v3
; %bb.1143:                             ;   in Loop: Header=BB214_15 Depth=1
	s_or_b32 exec_lo, exec_lo, s21
	v_lshlrev_b32_e32 v3, 24, v6
	v_lshlrev_b32_e32 v0, 20, v92
	v_lshl_add_u32 v2, v2, 23, 0x3c000000
	v_and_b32_e32 v3, 0x80000000, v3
	v_or3_b32 v92, v0, v3, v2
	v_mov_b32_e32 v28, v92
	v_mov_b32_e32 v29, v93
.LBB214_1144:                           ;   in Loop: Header=BB214_15 Depth=1
	s_or_b32 exec_lo, exec_lo, s20
.LBB214_1145:                           ;   in Loop: Header=BB214_15 Depth=1
	s_or_b32 exec_lo, exec_lo, s19
.LBB214_1146:                           ;   in Loop: Header=BB214_15 Depth=1
	s_or_b32 exec_lo, exec_lo, s18
	v_cmp_ne_u16_sdwa s5, v6, v93 src0_sel:BYTE_1 src1_sel:DWORD
	s_and_saveexec_b32 s18, s5
	s_cbranch_execz .LBB214_1154
; %bb.1147:                             ;   in Loop: Header=BB214_15 Depth=1
	v_mov_b32_e32 v16, v93
	v_mov_b32_e32 v0, 0x80
	v_mov_b32_e32 v109, v17
	v_mov_b32_e32 v108, v16
	v_cmp_ne_u16_sdwa s5, v6, v0 src0_sel:BYTE_1 src1_sel:DWORD
	s_and_saveexec_b32 s19, s5
	s_cbranch_execz .LBB214_1153
; %bb.1148:                             ;   in Loop: Header=BB214_15 Depth=1
	s_clause 0x1
	buffer_load_dword v108, off, s[0:3], s32 offset:192
	buffer_load_dword v109, off, s[0:3], s32 offset:196
	v_mov_b32_e32 v0, 0xffff
	s_waitcnt vmcnt(1)
	v_mov_b32_e32 v108, v93
	s_mov_b32 s20, exec_lo
	v_and_b32_sdwa v0, v0, v6 dst_sel:DWORD dst_unused:UNUSED_PAD src0_sel:DWORD src1_sel:BYTE_1
	v_and_b32_e32 v3, 0x7f, v0
	s_waitcnt vmcnt(0)
	v_mov_b32_e32 v2, v109
	buffer_store_dword v1, off, s[0:3], s32 offset:192 ; 4-byte Folded Spill
	buffer_store_dword v2, off, s[0:3], s32 offset:196 ; 4-byte Folded Spill
	v_cmpx_ne_u32_e32 0x7f, v3
	s_cbranch_execz .LBB214_1152
; %bb.1149:                             ;   in Loop: Header=BB214_15 Depth=1
	v_and_b32_e32 v92, 7, v0
	v_lshrrev_b32_e32 v2, 3, v3
	s_mov_b32 s21, exec_lo
	v_cmpx_gt_u32_e32 8, v3
; %bb.1150:                             ;   in Loop: Header=BB214_15 Depth=1
	v_ffbh_u32_e32 v2, v92
	v_min_u32_e32 v2, 32, v2
	v_subrev_nc_u32_e32 v3, 28, v2
	v_sub_nc_u32_e32 v2, 29, v2
	v_lshlrev_b64 v[3:4], v3, v[92:93]
	v_and_b32_e32 v92, 7, v3
; %bb.1151:                             ;   in Loop: Header=BB214_15 Depth=1
	s_or_b32 exec_lo, exec_lo, s21
	v_lshlrev_b32_e32 v3, 16, v6
	v_lshlrev_b32_e32 v0, 20, v92
	v_lshl_add_u32 v2, v2, 23, 0x3c000000
	v_mov_b32_e32 v108, v93
	v_and_b32_e32 v3, 0x80000000, v3
	v_or3_b32 v109, v0, v3, v2
.LBB214_1152:                           ;   in Loop: Header=BB214_15 Depth=1
	s_or_b32 exec_lo, exec_lo, s20
.LBB214_1153:                           ;   in Loop: Header=BB214_15 Depth=1
	s_or_b32 exec_lo, exec_lo, s19
.LBB214_1154:                           ;   in Loop: Header=BB214_15 Depth=1
	s_or_b32 exec_lo, exec_lo, s18
	v_mov_b32_e32 v18, 0
	v_mov_b32_e32 v62, 0
	v_and_b32_sdwa v0, v6, v10 dst_sel:DWORD dst_unused:UNUSED_PAD src0_sel:WORD_1 src1_sel:DWORD
	v_mov_b32_e32 v19, 0
	v_mov_b32_e32 v63, 0
	s_mov_b32 s18, exec_lo
	v_cmpx_ne_u16_e32 0, v0
	s_cbranch_execz .LBB214_1162
; %bb.1155:                             ;   in Loop: Header=BB214_15 Depth=1
	v_bfrev_b32_e32 v62, 1
	v_mov_b32_e32 v63, 0
	s_mov_b32 s19, exec_lo
	v_cmpx_ne_u16_e32 0x80, v0
	s_cbranch_execz .LBB214_1161
; %bb.1156:                             ;   in Loop: Header=BB214_15 Depth=1
	v_mov_b32_e32 v62, 0x7f800001
	v_bfe_u32 v4, v6, 16, 7
	v_mov_b32_e32 v63, 0
	s_mov_b32 s20, exec_lo
	v_cmpx_ne_u32_e32 0x7f, v4
	s_cbranch_execz .LBB214_1160
; %bb.1157:                             ;   in Loop: Header=BB214_15 Depth=1
	v_mov_b32_e32 v0, 7
	v_lshrrev_b32_e32 v2, 3, v4
	s_mov_b32 s21, exec_lo
	v_and_b32_sdwa v92, v6, v0 dst_sel:DWORD dst_unused:UNUSED_PAD src0_sel:WORD_1 src1_sel:DWORD
	v_cmpx_gt_u32_e32 8, v4
; %bb.1158:                             ;   in Loop: Header=BB214_15 Depth=1
	v_ffbh_u32_e32 v2, v92
	v_min_u32_e32 v2, 32, v2
	v_subrev_nc_u32_e32 v3, 28, v2
	v_sub_nc_u32_e32 v2, 29, v2
	v_lshlrev_b64 v[3:4], v3, v[92:93]
	v_and_b32_e32 v92, 7, v3
; %bb.1159:                             ;   in Loop: Header=BB214_15 Depth=1
	s_or_b32 exec_lo, exec_lo, s21
	v_mov_b32_e32 v0, 24
	v_lshl_add_u32 v2, v2, 23, 0x3c000000
	v_lshlrev_b32_sdwa v3, v0, v6 dst_sel:DWORD dst_unused:UNUSED_PAD src0_sel:DWORD src1_sel:WORD_1
	v_lshlrev_b32_e32 v0, 20, v92
	v_and_b32_e32 v3, 0x80000000, v3
	v_or3_b32 v92, v0, v3, v2
	v_mov_b32_e32 v62, v92
	v_mov_b32_e32 v63, v93
.LBB214_1160:                           ;   in Loop: Header=BB214_15 Depth=1
	s_or_b32 exec_lo, exec_lo, s20
.LBB214_1161:                           ;   in Loop: Header=BB214_15 Depth=1
	s_or_b32 exec_lo, exec_lo, s19
.LBB214_1162:                           ;   in Loop: Header=BB214_15 Depth=1
	s_or_b32 exec_lo, exec_lo, s18
	s_mov_b32 s18, exec_lo
	v_cmpx_lt_u32_e32 0xffffff, v6
	s_cbranch_execz .LBB214_1170
; %bb.1163:                             ;   in Loop: Header=BB214_15 Depth=1
	v_mov_b32_e32 v16, v93
	v_mov_b32_e32 v0, 0x80
	;; [unrolled: 1-line block ×4, first 2 shown]
	v_cmp_ne_u32_sdwa s5, v6, v0 src0_sel:BYTE_3 src1_sel:DWORD
	s_and_saveexec_b32 s19, s5
	s_cbranch_execz .LBB214_1169
; %bb.1164:                             ;   in Loop: Header=BB214_15 Depth=1
	s_clause 0x1
	buffer_load_dword v18, off, s[0:3], s32 offset:192
	buffer_load_dword v19, off, s[0:3], s32 offset:196
	v_bfe_u32 v5, v6, 24, 7
	s_waitcnt vmcnt(1)
	v_mov_b32_e32 v18, v93
	s_mov_b32 s20, exec_lo
	s_waitcnt vmcnt(0)
	v_mov_b32_e32 v2, v19
	buffer_store_dword v1, off, s[0:3], s32 offset:192 ; 4-byte Folded Spill
	buffer_store_dword v2, off, s[0:3], s32 offset:196 ; 4-byte Folded Spill
	v_cmpx_ne_u32_e32 0x7f, v5
	s_cbranch_execz .LBB214_1168
; %bb.1165:                             ;   in Loop: Header=BB214_15 Depth=1
	v_mov_b32_e32 v0, 7
	v_lshrrev_b32_e32 v4, 3, v5
	s_mov_b32 s21, exec_lo
	v_and_b32_sdwa v92, v6, v0 dst_sel:DWORD dst_unused:UNUSED_PAD src0_sel:BYTE_3 src1_sel:DWORD
	v_cmpx_gt_u32_e32 8, v5
; %bb.1166:                             ;   in Loop: Header=BB214_15 Depth=1
	v_ffbh_u32_e32 v4, v92
	v_min_u32_e32 v4, 32, v4
	v_subrev_nc_u32_e32 v5, 28, v4
	v_sub_nc_u32_e32 v4, 29, v4
	v_lshlrev_b64 v[7:8], v5, v[92:93]
	v_and_b32_e32 v92, 7, v7
; %bb.1167:                             ;   in Loop: Header=BB214_15 Depth=1
	s_or_b32 exec_lo, exec_lo, s21
	v_mov_b32_e32 v0, 24
	v_lshl_add_u32 v4, v4, 23, 0x3c000000
	v_mov_b32_e32 v18, v93
	v_lshlrev_b32_sdwa v5, v0, v6 dst_sel:DWORD dst_unused:UNUSED_PAD src0_sel:DWORD src1_sel:BYTE_3
	v_lshlrev_b32_e32 v0, 20, v92
	v_and_b32_e32 v5, 0x80000000, v5
	v_or3_b32 v19, v0, v5, v4
.LBB214_1168:                           ;   in Loop: Header=BB214_15 Depth=1
	s_or_b32 exec_lo, exec_lo, s20
.LBB214_1169:                           ;   in Loop: Header=BB214_15 Depth=1
	s_or_b32 exec_lo, exec_lo, s19
.LBB214_1170:                           ;   in Loop: Header=BB214_15 Depth=1
	s_or_b32 exec_lo, exec_lo, s18
	flat_load_dword v6, v[126:127] offset:512
	v_mov_b32_e32 v24, 0
	v_mov_b32_e32 v50, 0
	;; [unrolled: 1-line block ×4, first 2 shown]
	s_waitcnt vmcnt(0) lgkmcnt(0)
	v_cmp_ne_u16_sdwa s5, v6, v93 src0_sel:BYTE_0 src1_sel:DWORD
	s_and_saveexec_b32 s18, s5
	s_cbranch_execz .LBB214_1178
; %bb.1171:                             ;   in Loop: Header=BB214_15 Depth=1
	v_mov_b32_e32 v0, 0x80
	v_bfrev_b32_e32 v50, 1
	v_mov_b32_e32 v51, 0
	v_cmp_ne_u16_sdwa s5, v6, v0 src0_sel:BYTE_0 src1_sel:DWORD
	s_and_saveexec_b32 s19, s5
	s_cbranch_execz .LBB214_1177
; %bb.1172:                             ;   in Loop: Header=BB214_15 Depth=1
	v_mov_b32_e32 v50, 0x7f800001
	v_and_b32_e32 v5, 0x7f, v6
	v_mov_b32_e32 v51, 0
	s_mov_b32 s20, exec_lo
	v_cmpx_ne_u32_e32 0x7f, v5
	s_cbranch_execz .LBB214_1176
; %bb.1173:                             ;   in Loop: Header=BB214_15 Depth=1
	v_and_b32_e32 v92, 7, v6
	v_lshrrev_b32_e32 v4, 3, v5
	s_mov_b32 s21, exec_lo
	v_cmpx_gt_u32_e32 8, v5
; %bb.1174:                             ;   in Loop: Header=BB214_15 Depth=1
	v_ffbh_u32_e32 v4, v92
	v_min_u32_e32 v4, 32, v4
	v_subrev_nc_u32_e32 v5, 28, v4
	v_sub_nc_u32_e32 v4, 29, v4
	v_lshlrev_b64 v[7:8], v5, v[92:93]
	v_and_b32_e32 v92, 7, v7
; %bb.1175:                             ;   in Loop: Header=BB214_15 Depth=1
	s_or_b32 exec_lo, exec_lo, s21
	v_lshlrev_b32_e32 v5, 24, v6
	v_lshlrev_b32_e32 v0, 20, v92
	v_lshl_add_u32 v4, v4, 23, 0x3c000000
	v_and_b32_e32 v5, 0x80000000, v5
	v_or3_b32 v92, v0, v5, v4
	v_mov_b32_e32 v50, v92
	v_mov_b32_e32 v51, v93
.LBB214_1176:                           ;   in Loop: Header=BB214_15 Depth=1
	s_or_b32 exec_lo, exec_lo, s20
.LBB214_1177:                           ;   in Loop: Header=BB214_15 Depth=1
	s_or_b32 exec_lo, exec_lo, s19
.LBB214_1178:                           ;   in Loop: Header=BB214_15 Depth=1
	s_or_b32 exec_lo, exec_lo, s18
	v_cmp_ne_u16_sdwa s5, v6, v93 src0_sel:BYTE_1 src1_sel:DWORD
	s_and_saveexec_b32 s18, s5
	s_cbranch_execz .LBB214_1186
; %bb.1179:                             ;   in Loop: Header=BB214_15 Depth=1
	v_mov_b32_e32 v16, v93
	v_mov_b32_e32 v0, 0x80
	;; [unrolled: 1-line block ×4, first 2 shown]
	v_cmp_ne_u16_sdwa s5, v6, v0 src0_sel:BYTE_1 src1_sel:DWORD
	s_and_saveexec_b32 s19, s5
	s_cbranch_execz .LBB214_1185
; %bb.1180:                             ;   in Loop: Header=BB214_15 Depth=1
	s_clause 0x1
	buffer_load_dword v24, off, s[0:3], s32 offset:192
	buffer_load_dword v25, off, s[0:3], s32 offset:196
	v_mov_b32_e32 v0, 0xffff
	s_waitcnt vmcnt(1)
	v_mov_b32_e32 v24, v93
	s_mov_b32 s20, exec_lo
	v_and_b32_sdwa v0, v0, v6 dst_sel:DWORD dst_unused:UNUSED_PAD src0_sel:DWORD src1_sel:BYTE_1
	v_and_b32_e32 v5, 0x7f, v0
	s_waitcnt vmcnt(0)
	v_mov_b32_e32 v2, v25
	buffer_store_dword v1, off, s[0:3], s32 offset:192 ; 4-byte Folded Spill
	buffer_store_dword v2, off, s[0:3], s32 offset:196 ; 4-byte Folded Spill
	v_cmpx_ne_u32_e32 0x7f, v5
	s_cbranch_execz .LBB214_1184
; %bb.1181:                             ;   in Loop: Header=BB214_15 Depth=1
	v_and_b32_e32 v92, 7, v0
	v_lshrrev_b32_e32 v4, 3, v5
	s_mov_b32 s21, exec_lo
	v_cmpx_gt_u32_e32 8, v5
; %bb.1182:                             ;   in Loop: Header=BB214_15 Depth=1
	v_ffbh_u32_e32 v4, v92
	v_min_u32_e32 v4, 32, v4
	v_subrev_nc_u32_e32 v5, 28, v4
	v_sub_nc_u32_e32 v4, 29, v4
	v_lshlrev_b64 v[7:8], v5, v[92:93]
	v_and_b32_e32 v92, 7, v7
; %bb.1183:                             ;   in Loop: Header=BB214_15 Depth=1
	s_or_b32 exec_lo, exec_lo, s21
	v_lshlrev_b32_e32 v5, 16, v6
	v_lshlrev_b32_e32 v0, 20, v92
	v_lshl_add_u32 v4, v4, 23, 0x3c000000
	v_mov_b32_e32 v24, v93
	v_and_b32_e32 v5, 0x80000000, v5
	v_or3_b32 v25, v0, v5, v4
.LBB214_1184:                           ;   in Loop: Header=BB214_15 Depth=1
	s_or_b32 exec_lo, exec_lo, s20
.LBB214_1185:                           ;   in Loop: Header=BB214_15 Depth=1
	s_or_b32 exec_lo, exec_lo, s19
.LBB214_1186:                           ;   in Loop: Header=BB214_15 Depth=1
	s_or_b32 exec_lo, exec_lo, s18
	v_mov_b32_e32 v104, 0
	v_mov_b32_e32 v42, 0
	v_and_b32_sdwa v0, v6, v10 dst_sel:DWORD dst_unused:UNUSED_PAD src0_sel:WORD_1 src1_sel:DWORD
	v_mov_b32_e32 v105, 0
	v_mov_b32_e32 v43, 0
	s_mov_b32 s18, exec_lo
	v_cmpx_ne_u16_e32 0, v0
	s_cbranch_execz .LBB214_1194
; %bb.1187:                             ;   in Loop: Header=BB214_15 Depth=1
	v_bfrev_b32_e32 v42, 1
	v_mov_b32_e32 v43, 0
	s_mov_b32 s19, exec_lo
	v_cmpx_ne_u16_e32 0x80, v0
	s_cbranch_execz .LBB214_1193
; %bb.1188:                             ;   in Loop: Header=BB214_15 Depth=1
	v_mov_b32_e32 v42, 0x7f800001
	v_bfe_u32 v5, v6, 16, 7
	v_mov_b32_e32 v43, 0
	s_mov_b32 s20, exec_lo
	v_cmpx_ne_u32_e32 0x7f, v5
	s_cbranch_execz .LBB214_1192
; %bb.1189:                             ;   in Loop: Header=BB214_15 Depth=1
	v_mov_b32_e32 v0, 7
	v_lshrrev_b32_e32 v4, 3, v5
	s_mov_b32 s21, exec_lo
	v_and_b32_sdwa v92, v6, v0 dst_sel:DWORD dst_unused:UNUSED_PAD src0_sel:WORD_1 src1_sel:DWORD
	v_cmpx_gt_u32_e32 8, v5
; %bb.1190:                             ;   in Loop: Header=BB214_15 Depth=1
	v_ffbh_u32_e32 v4, v92
	v_min_u32_e32 v4, 32, v4
	v_subrev_nc_u32_e32 v5, 28, v4
	v_sub_nc_u32_e32 v4, 29, v4
	v_lshlrev_b64 v[7:8], v5, v[92:93]
	v_and_b32_e32 v92, 7, v7
; %bb.1191:                             ;   in Loop: Header=BB214_15 Depth=1
	s_or_b32 exec_lo, exec_lo, s21
	v_mov_b32_e32 v0, 24
	v_lshl_add_u32 v4, v4, 23, 0x3c000000
	v_lshlrev_b32_sdwa v5, v0, v6 dst_sel:DWORD dst_unused:UNUSED_PAD src0_sel:DWORD src1_sel:WORD_1
	v_lshlrev_b32_e32 v0, 20, v92
	v_and_b32_e32 v5, 0x80000000, v5
	v_or3_b32 v92, v0, v5, v4
	v_mov_b32_e32 v42, v92
	v_mov_b32_e32 v43, v93
.LBB214_1192:                           ;   in Loop: Header=BB214_15 Depth=1
	s_or_b32 exec_lo, exec_lo, s20
.LBB214_1193:                           ;   in Loop: Header=BB214_15 Depth=1
	s_or_b32 exec_lo, exec_lo, s19
.LBB214_1194:                           ;   in Loop: Header=BB214_15 Depth=1
	s_or_b32 exec_lo, exec_lo, s18
	s_mov_b32 s18, exec_lo
	v_cmpx_lt_u32_e32 0xffffff, v6
	s_cbranch_execz .LBB214_1202
; %bb.1195:                             ;   in Loop: Header=BB214_15 Depth=1
	v_mov_b32_e32 v16, v93
	v_mov_b32_e32 v0, 0x80
	v_mov_b32_e32 v105, v17
	v_mov_b32_e32 v104, v16
	v_cmp_ne_u32_sdwa s5, v6, v0 src0_sel:BYTE_3 src1_sel:DWORD
	s_and_saveexec_b32 s19, s5
	s_cbranch_execz .LBB214_1201
; %bb.1196:                             ;   in Loop: Header=BB214_15 Depth=1
	s_clause 0x1
	buffer_load_dword v104, off, s[0:3], s32 offset:192
	buffer_load_dword v105, off, s[0:3], s32 offset:196
	v_bfe_u32 v5, v6, 24, 7
	s_waitcnt vmcnt(1)
	v_mov_b32_e32 v104, v93
	s_mov_b32 s20, exec_lo
	s_waitcnt vmcnt(0)
	v_mov_b32_e32 v2, v105
	buffer_store_dword v1, off, s[0:3], s32 offset:192 ; 4-byte Folded Spill
	buffer_store_dword v2, off, s[0:3], s32 offset:196 ; 4-byte Folded Spill
	v_cmpx_ne_u32_e32 0x7f, v5
	s_cbranch_execz .LBB214_1200
; %bb.1197:                             ;   in Loop: Header=BB214_15 Depth=1
	v_mov_b32_e32 v0, 7
	v_lshrrev_b32_e32 v4, 3, v5
	s_mov_b32 s21, exec_lo
	v_and_b32_sdwa v92, v6, v0 dst_sel:DWORD dst_unused:UNUSED_PAD src0_sel:BYTE_3 src1_sel:DWORD
	v_cmpx_gt_u32_e32 8, v5
; %bb.1198:                             ;   in Loop: Header=BB214_15 Depth=1
	v_ffbh_u32_e32 v4, v92
	v_min_u32_e32 v4, 32, v4
	v_subrev_nc_u32_e32 v5, 28, v4
	v_sub_nc_u32_e32 v4, 29, v4
	v_lshlrev_b64 v[7:8], v5, v[92:93]
	v_and_b32_e32 v92, 7, v7
; %bb.1199:                             ;   in Loop: Header=BB214_15 Depth=1
	s_or_b32 exec_lo, exec_lo, s21
	v_mov_b32_e32 v0, 24
	v_lshl_add_u32 v4, v4, 23, 0x3c000000
	v_mov_b32_e32 v104, v93
	v_lshlrev_b32_sdwa v5, v0, v6 dst_sel:DWORD dst_unused:UNUSED_PAD src0_sel:DWORD src1_sel:BYTE_3
	v_lshlrev_b32_e32 v0, 20, v92
	v_and_b32_e32 v5, 0x80000000, v5
	v_or3_b32 v105, v0, v5, v4
.LBB214_1200:                           ;   in Loop: Header=BB214_15 Depth=1
	s_or_b32 exec_lo, exec_lo, s20
.LBB214_1201:                           ;   in Loop: Header=BB214_15 Depth=1
	s_or_b32 exec_lo, exec_lo, s19
.LBB214_1202:                           ;   in Loop: Header=BB214_15 Depth=1
	s_or_b32 exec_lo, exec_lo, s18
	flat_load_dword v6, v[126:127] offset:516
	v_mov_b32_e32 v32, 0
	v_mov_b32_e32 v54, 0
	;; [unrolled: 1-line block ×4, first 2 shown]
	s_waitcnt vmcnt(0) lgkmcnt(0)
	v_cmp_ne_u16_sdwa s5, v6, v93 src0_sel:BYTE_0 src1_sel:DWORD
	s_and_saveexec_b32 s18, s5
	s_cbranch_execz .LBB214_1210
; %bb.1203:                             ;   in Loop: Header=BB214_15 Depth=1
	v_mov_b32_e32 v0, 0x80
	v_bfrev_b32_e32 v54, 1
	v_mov_b32_e32 v55, 0
	v_cmp_ne_u16_sdwa s5, v6, v0 src0_sel:BYTE_0 src1_sel:DWORD
	s_and_saveexec_b32 s19, s5
	s_cbranch_execz .LBB214_1209
; %bb.1204:                             ;   in Loop: Header=BB214_15 Depth=1
	v_mov_b32_e32 v54, 0x7f800001
	v_and_b32_e32 v5, 0x7f, v6
	v_mov_b32_e32 v55, 0
	s_mov_b32 s20, exec_lo
	v_cmpx_ne_u32_e32 0x7f, v5
	s_cbranch_execz .LBB214_1208
; %bb.1205:                             ;   in Loop: Header=BB214_15 Depth=1
	v_and_b32_e32 v92, 7, v6
	v_lshrrev_b32_e32 v4, 3, v5
	s_mov_b32 s21, exec_lo
	v_cmpx_gt_u32_e32 8, v5
; %bb.1206:                             ;   in Loop: Header=BB214_15 Depth=1
	v_ffbh_u32_e32 v4, v92
	v_min_u32_e32 v4, 32, v4
	v_subrev_nc_u32_e32 v5, 28, v4
	v_sub_nc_u32_e32 v4, 29, v4
	v_lshlrev_b64 v[7:8], v5, v[92:93]
	v_and_b32_e32 v92, 7, v7
; %bb.1207:                             ;   in Loop: Header=BB214_15 Depth=1
	s_or_b32 exec_lo, exec_lo, s21
	v_lshlrev_b32_e32 v5, 24, v6
	v_lshlrev_b32_e32 v0, 20, v92
	v_lshl_add_u32 v4, v4, 23, 0x3c000000
	v_and_b32_e32 v5, 0x80000000, v5
	v_or3_b32 v92, v0, v5, v4
	v_mov_b32_e32 v54, v92
	v_mov_b32_e32 v55, v93
.LBB214_1208:                           ;   in Loop: Header=BB214_15 Depth=1
	s_or_b32 exec_lo, exec_lo, s20
.LBB214_1209:                           ;   in Loop: Header=BB214_15 Depth=1
	s_or_b32 exec_lo, exec_lo, s19
.LBB214_1210:                           ;   in Loop: Header=BB214_15 Depth=1
	s_or_b32 exec_lo, exec_lo, s18
	v_cmp_ne_u16_sdwa s5, v6, v93 src0_sel:BYTE_1 src1_sel:DWORD
	s_and_saveexec_b32 s18, s5
	s_cbranch_execz .LBB214_1218
; %bb.1211:                             ;   in Loop: Header=BB214_15 Depth=1
	v_mov_b32_e32 v16, v93
	v_mov_b32_e32 v0, 0x80
	;; [unrolled: 1-line block ×4, first 2 shown]
	v_cmp_ne_u16_sdwa s5, v6, v0 src0_sel:BYTE_1 src1_sel:DWORD
	s_and_saveexec_b32 s19, s5
	s_cbranch_execz .LBB214_1217
; %bb.1212:                             ;   in Loop: Header=BB214_15 Depth=1
	s_clause 0x1
	buffer_load_dword v32, off, s[0:3], s32 offset:192
	buffer_load_dword v33, off, s[0:3], s32 offset:196
	v_mov_b32_e32 v0, 0xffff
	s_waitcnt vmcnt(1)
	v_mov_b32_e32 v32, v93
	s_mov_b32 s20, exec_lo
	v_and_b32_sdwa v0, v0, v6 dst_sel:DWORD dst_unused:UNUSED_PAD src0_sel:DWORD src1_sel:BYTE_1
	v_and_b32_e32 v5, 0x7f, v0
	s_waitcnt vmcnt(0)
	v_mov_b32_e32 v2, v33
	buffer_store_dword v1, off, s[0:3], s32 offset:192 ; 4-byte Folded Spill
	buffer_store_dword v2, off, s[0:3], s32 offset:196 ; 4-byte Folded Spill
	v_cmpx_ne_u32_e32 0x7f, v5
	s_cbranch_execz .LBB214_1216
; %bb.1213:                             ;   in Loop: Header=BB214_15 Depth=1
	v_and_b32_e32 v92, 7, v0
	v_lshrrev_b32_e32 v4, 3, v5
	s_mov_b32 s21, exec_lo
	v_cmpx_gt_u32_e32 8, v5
; %bb.1214:                             ;   in Loop: Header=BB214_15 Depth=1
	v_ffbh_u32_e32 v4, v92
	v_min_u32_e32 v4, 32, v4
	v_subrev_nc_u32_e32 v5, 28, v4
	v_sub_nc_u32_e32 v4, 29, v4
	v_lshlrev_b64 v[7:8], v5, v[92:93]
	v_and_b32_e32 v92, 7, v7
; %bb.1215:                             ;   in Loop: Header=BB214_15 Depth=1
	s_or_b32 exec_lo, exec_lo, s21
	v_lshlrev_b32_e32 v5, 16, v6
	v_lshlrev_b32_e32 v0, 20, v92
	v_lshl_add_u32 v4, v4, 23, 0x3c000000
	v_mov_b32_e32 v32, v93
	v_and_b32_e32 v5, 0x80000000, v5
	v_or3_b32 v33, v0, v5, v4
.LBB214_1216:                           ;   in Loop: Header=BB214_15 Depth=1
	s_or_b32 exec_lo, exec_lo, s20
.LBB214_1217:                           ;   in Loop: Header=BB214_15 Depth=1
	s_or_b32 exec_lo, exec_lo, s19
.LBB214_1218:                           ;   in Loop: Header=BB214_15 Depth=1
	s_or_b32 exec_lo, exec_lo, s18
	v_mov_b32_e32 v46, 0
	v_mov_b32_e32 v66, 0
	v_and_b32_sdwa v0, v6, v10 dst_sel:DWORD dst_unused:UNUSED_PAD src0_sel:WORD_1 src1_sel:DWORD
	v_mov_b32_e32 v47, 0
	v_mov_b32_e32 v67, 0
	s_mov_b32 s18, exec_lo
	v_cmpx_ne_u16_e32 0, v0
	s_cbranch_execz .LBB214_1226
; %bb.1219:                             ;   in Loop: Header=BB214_15 Depth=1
	v_bfrev_b32_e32 v66, 1
	v_mov_b32_e32 v67, 0
	s_mov_b32 s19, exec_lo
	v_cmpx_ne_u16_e32 0x80, v0
	s_cbranch_execz .LBB214_1225
; %bb.1220:                             ;   in Loop: Header=BB214_15 Depth=1
	v_mov_b32_e32 v66, 0x7f800001
	v_bfe_u32 v8, v6, 16, 7
	v_mov_b32_e32 v67, 0
	s_mov_b32 s20, exec_lo
	v_cmpx_ne_u32_e32 0x7f, v8
	s_cbranch_execz .LBB214_1224
; %bb.1221:                             ;   in Loop: Header=BB214_15 Depth=1
	v_mov_b32_e32 v0, 7
	v_lshrrev_b32_e32 v7, 3, v8
	s_mov_b32 s21, exec_lo
	v_and_b32_sdwa v92, v6, v0 dst_sel:DWORD dst_unused:UNUSED_PAD src0_sel:WORD_1 src1_sel:DWORD
	v_cmpx_gt_u32_e32 8, v8
; %bb.1222:                             ;   in Loop: Header=BB214_15 Depth=1
	v_ffbh_u32_e32 v7, v92
	v_min_u32_e32 v7, 32, v7
	v_subrev_nc_u32_e32 v8, 28, v7
	v_sub_nc_u32_e32 v7, 29, v7
	v_lshlrev_b64 v[8:9], v8, v[92:93]
	v_and_b32_e32 v92, 7, v8
; %bb.1223:                             ;   in Loop: Header=BB214_15 Depth=1
	s_or_b32 exec_lo, exec_lo, s21
	v_mov_b32_e32 v0, 24
	v_lshl_add_u32 v7, v7, 23, 0x3c000000
	v_lshlrev_b32_sdwa v8, v0, v6 dst_sel:DWORD dst_unused:UNUSED_PAD src0_sel:DWORD src1_sel:WORD_1
	v_lshlrev_b32_e32 v0, 20, v92
	v_and_b32_e32 v8, 0x80000000, v8
	v_or3_b32 v92, v0, v8, v7
	v_mov_b32_e32 v66, v92
	v_mov_b32_e32 v67, v93
.LBB214_1224:                           ;   in Loop: Header=BB214_15 Depth=1
	s_or_b32 exec_lo, exec_lo, s20
.LBB214_1225:                           ;   in Loop: Header=BB214_15 Depth=1
	s_or_b32 exec_lo, exec_lo, s19
.LBB214_1226:                           ;   in Loop: Header=BB214_15 Depth=1
	s_or_b32 exec_lo, exec_lo, s18
	s_mov_b32 s18, exec_lo
	v_cmpx_lt_u32_e32 0xffffff, v6
	s_cbranch_execz .LBB214_1234
; %bb.1227:                             ;   in Loop: Header=BB214_15 Depth=1
	v_mov_b32_e32 v16, v93
	v_mov_b32_e32 v0, 0x80
	;; [unrolled: 1-line block ×4, first 2 shown]
	v_cmp_ne_u32_sdwa s5, v6, v0 src0_sel:BYTE_3 src1_sel:DWORD
	s_and_saveexec_b32 s19, s5
	s_cbranch_execz .LBB214_1233
; %bb.1228:                             ;   in Loop: Header=BB214_15 Depth=1
	s_clause 0x1
	buffer_load_dword v46, off, s[0:3], s32 offset:192
	buffer_load_dword v47, off, s[0:3], s32 offset:196
	v_bfe_u32 v7, v6, 24, 7
	s_waitcnt vmcnt(1)
	v_mov_b32_e32 v46, v93
	s_mov_b32 s20, exec_lo
	s_waitcnt vmcnt(0)
	v_mov_b32_e32 v2, v47
	buffer_store_dword v1, off, s[0:3], s32 offset:192 ; 4-byte Folded Spill
	buffer_store_dword v2, off, s[0:3], s32 offset:196 ; 4-byte Folded Spill
	v_cmpx_ne_u32_e32 0x7f, v7
	s_cbranch_execz .LBB214_1232
; %bb.1229:                             ;   in Loop: Header=BB214_15 Depth=1
	v_mov_b32_e32 v0, 7
	v_lshrrev_b32_e32 v4, 3, v7
	s_mov_b32 s21, exec_lo
	v_and_b32_sdwa v92, v6, v0 dst_sel:DWORD dst_unused:UNUSED_PAD src0_sel:BYTE_3 src1_sel:DWORD
	v_cmpx_gt_u32_e32 8, v7
; %bb.1230:                             ;   in Loop: Header=BB214_15 Depth=1
	v_ffbh_u32_e32 v4, v92
	v_min_u32_e32 v4, 32, v4
	v_subrev_nc_u32_e32 v5, 28, v4
	v_sub_nc_u32_e32 v4, 29, v4
	v_lshlrev_b64 v[7:8], v5, v[92:93]
	v_and_b32_e32 v92, 7, v7
; %bb.1231:                             ;   in Loop: Header=BB214_15 Depth=1
	s_or_b32 exec_lo, exec_lo, s21
	v_mov_b32_e32 v0, 24
	v_lshl_add_u32 v4, v4, 23, 0x3c000000
	v_mov_b32_e32 v46, v93
	v_lshlrev_b32_sdwa v5, v0, v6 dst_sel:DWORD dst_unused:UNUSED_PAD src0_sel:DWORD src1_sel:BYTE_3
	v_lshlrev_b32_e32 v0, 20, v92
	v_and_b32_e32 v5, 0x80000000, v5
	v_or3_b32 v47, v0, v5, v4
.LBB214_1232:                           ;   in Loop: Header=BB214_15 Depth=1
	s_or_b32 exec_lo, exec_lo, s20
.LBB214_1233:                           ;   in Loop: Header=BB214_15 Depth=1
	s_or_b32 exec_lo, exec_lo, s19
.LBB214_1234:                           ;   in Loop: Header=BB214_15 Depth=1
	s_or_b32 exec_lo, exec_lo, s18
	flat_load_dword v6, v[126:127] offset:520
	v_mov_b32_e32 v80, 0
	v_mov_b32_e32 v36, 0
	;; [unrolled: 1-line block ×4, first 2 shown]
	s_waitcnt vmcnt(0) lgkmcnt(0)
	v_cmp_ne_u16_sdwa s5, v6, v93 src0_sel:BYTE_0 src1_sel:DWORD
	s_and_saveexec_b32 s18, s5
	s_cbranch_execz .LBB214_1242
; %bb.1235:                             ;   in Loop: Header=BB214_15 Depth=1
	v_mov_b32_e32 v0, 0x80
	v_bfrev_b32_e32 v36, 1
	v_mov_b32_e32 v37, 0
	v_cmp_ne_u16_sdwa s5, v6, v0 src0_sel:BYTE_0 src1_sel:DWORD
	s_and_saveexec_b32 s19, s5
	s_cbranch_execz .LBB214_1241
; %bb.1236:                             ;   in Loop: Header=BB214_15 Depth=1
	v_mov_b32_e32 v36, 0x7f800001
	v_and_b32_e32 v8, 0x7f, v6
	v_mov_b32_e32 v37, 0
	s_mov_b32 s20, exec_lo
	v_cmpx_ne_u32_e32 0x7f, v8
	s_cbranch_execz .LBB214_1240
; %bb.1237:                             ;   in Loop: Header=BB214_15 Depth=1
	v_and_b32_e32 v92, 7, v6
	v_lshrrev_b32_e32 v7, 3, v8
	s_mov_b32 s21, exec_lo
	v_cmpx_gt_u32_e32 8, v8
; %bb.1238:                             ;   in Loop: Header=BB214_15 Depth=1
	v_ffbh_u32_e32 v7, v92
	v_min_u32_e32 v7, 32, v7
	v_subrev_nc_u32_e32 v8, 28, v7
	v_sub_nc_u32_e32 v7, 29, v7
	v_lshlrev_b64 v[8:9], v8, v[92:93]
	v_and_b32_e32 v92, 7, v8
; %bb.1239:                             ;   in Loop: Header=BB214_15 Depth=1
	s_or_b32 exec_lo, exec_lo, s21
	v_lshlrev_b32_e32 v8, 24, v6
	v_lshlrev_b32_e32 v0, 20, v92
	v_lshl_add_u32 v7, v7, 23, 0x3c000000
	v_and_b32_e32 v8, 0x80000000, v8
	v_or3_b32 v92, v0, v8, v7
	v_mov_b32_e32 v36, v92
	v_mov_b32_e32 v37, v93
.LBB214_1240:                           ;   in Loop: Header=BB214_15 Depth=1
	s_or_b32 exec_lo, exec_lo, s20
.LBB214_1241:                           ;   in Loop: Header=BB214_15 Depth=1
	s_or_b32 exec_lo, exec_lo, s19
.LBB214_1242:                           ;   in Loop: Header=BB214_15 Depth=1
	s_or_b32 exec_lo, exec_lo, s18
	v_cmp_ne_u16_sdwa s5, v6, v93 src0_sel:BYTE_1 src1_sel:DWORD
	s_and_saveexec_b32 s18, s5
	s_cbranch_execz .LBB214_1250
; %bb.1243:                             ;   in Loop: Header=BB214_15 Depth=1
	v_mov_b32_e32 v16, v93
	v_mov_b32_e32 v0, 0x80
	;; [unrolled: 1-line block ×4, first 2 shown]
	v_cmp_ne_u16_sdwa s5, v6, v0 src0_sel:BYTE_1 src1_sel:DWORD
	s_and_saveexec_b32 s19, s5
	s_cbranch_execz .LBB214_1249
; %bb.1244:                             ;   in Loop: Header=BB214_15 Depth=1
	s_clause 0x1
	buffer_load_dword v80, off, s[0:3], s32 offset:192
	buffer_load_dword v81, off, s[0:3], s32 offset:196
	v_mov_b32_e32 v0, 0xffff
	s_waitcnt vmcnt(1)
	v_mov_b32_e32 v80, v93
	s_mov_b32 s20, exec_lo
	v_and_b32_sdwa v0, v0, v6 dst_sel:DWORD dst_unused:UNUSED_PAD src0_sel:DWORD src1_sel:BYTE_1
	v_and_b32_e32 v8, 0x7f, v0
	s_waitcnt vmcnt(0)
	v_mov_b32_e32 v2, v81
	buffer_store_dword v1, off, s[0:3], s32 offset:192 ; 4-byte Folded Spill
	buffer_store_dword v2, off, s[0:3], s32 offset:196 ; 4-byte Folded Spill
	v_cmpx_ne_u32_e32 0x7f, v8
	s_cbranch_execz .LBB214_1248
; %bb.1245:                             ;   in Loop: Header=BB214_15 Depth=1
	v_and_b32_e32 v92, 7, v0
	v_lshrrev_b32_e32 v7, 3, v8
	s_mov_b32 s21, exec_lo
	v_cmpx_gt_u32_e32 8, v8
; %bb.1246:                             ;   in Loop: Header=BB214_15 Depth=1
	v_ffbh_u32_e32 v7, v92
	v_min_u32_e32 v7, 32, v7
	v_subrev_nc_u32_e32 v8, 28, v7
	v_sub_nc_u32_e32 v7, 29, v7
	v_lshlrev_b64 v[8:9], v8, v[92:93]
	v_and_b32_e32 v92, 7, v8
; %bb.1247:                             ;   in Loop: Header=BB214_15 Depth=1
	s_or_b32 exec_lo, exec_lo, s21
	v_lshlrev_b32_e32 v8, 16, v6
	v_lshlrev_b32_e32 v0, 20, v92
	v_lshl_add_u32 v7, v7, 23, 0x3c000000
	v_mov_b32_e32 v80, v93
	v_and_b32_e32 v8, 0x80000000, v8
	v_or3_b32 v81, v0, v8, v7
.LBB214_1248:                           ;   in Loop: Header=BB214_15 Depth=1
	s_or_b32 exec_lo, exec_lo, s20
.LBB214_1249:                           ;   in Loop: Header=BB214_15 Depth=1
	s_or_b32 exec_lo, exec_lo, s19
.LBB214_1250:                           ;   in Loop: Header=BB214_15 Depth=1
	s_or_b32 exec_lo, exec_lo, s18
	v_mov_b32_e32 v60, 0
	v_mov_b32_e32 v56, 0
	v_and_b32_sdwa v0, v6, v10 dst_sel:DWORD dst_unused:UNUSED_PAD src0_sel:WORD_1 src1_sel:DWORD
	v_mov_b32_e32 v61, 0
	v_mov_b32_e32 v57, 0
	s_mov_b32 s18, exec_lo
	v_cmpx_ne_u16_e32 0, v0
	s_cbranch_execz .LBB214_1258
; %bb.1251:                             ;   in Loop: Header=BB214_15 Depth=1
	v_bfrev_b32_e32 v56, 1
	v_mov_b32_e32 v57, 0
	s_mov_b32 s19, exec_lo
	v_cmpx_ne_u16_e32 0x80, v0
	s_cbranch_execz .LBB214_1257
; %bb.1252:                             ;   in Loop: Header=BB214_15 Depth=1
	v_mov_b32_e32 v56, 0x7f800001
	v_bfe_u32 v8, v6, 16, 7
	v_mov_b32_e32 v57, 0
	s_mov_b32 s20, exec_lo
	v_cmpx_ne_u32_e32 0x7f, v8
	s_cbranch_execz .LBB214_1256
; %bb.1253:                             ;   in Loop: Header=BB214_15 Depth=1
	v_mov_b32_e32 v0, 7
	v_lshrrev_b32_e32 v7, 3, v8
	s_mov_b32 s21, exec_lo
	v_and_b32_sdwa v92, v6, v0 dst_sel:DWORD dst_unused:UNUSED_PAD src0_sel:WORD_1 src1_sel:DWORD
	v_cmpx_gt_u32_e32 8, v8
; %bb.1254:                             ;   in Loop: Header=BB214_15 Depth=1
	v_ffbh_u32_e32 v7, v92
	v_min_u32_e32 v7, 32, v7
	v_subrev_nc_u32_e32 v8, 28, v7
	v_sub_nc_u32_e32 v7, 29, v7
	v_lshlrev_b64 v[8:9], v8, v[92:93]
	v_and_b32_e32 v92, 7, v8
; %bb.1255:                             ;   in Loop: Header=BB214_15 Depth=1
	s_or_b32 exec_lo, exec_lo, s21
	v_mov_b32_e32 v0, 24
	v_lshl_add_u32 v7, v7, 23, 0x3c000000
	v_lshlrev_b32_sdwa v8, v0, v6 dst_sel:DWORD dst_unused:UNUSED_PAD src0_sel:DWORD src1_sel:WORD_1
	v_lshlrev_b32_e32 v0, 20, v92
	v_and_b32_e32 v8, 0x80000000, v8
	v_or3_b32 v92, v0, v8, v7
	v_mov_b32_e32 v56, v92
	v_mov_b32_e32 v57, v93
.LBB214_1256:                           ;   in Loop: Header=BB214_15 Depth=1
	s_or_b32 exec_lo, exec_lo, s20
.LBB214_1257:                           ;   in Loop: Header=BB214_15 Depth=1
	s_or_b32 exec_lo, exec_lo, s19
.LBB214_1258:                           ;   in Loop: Header=BB214_15 Depth=1
	s_or_b32 exec_lo, exec_lo, s18
	s_mov_b32 s18, exec_lo
	v_cmpx_lt_u32_e32 0xffffff, v6
	s_cbranch_execz .LBB214_1266
; %bb.1259:                             ;   in Loop: Header=BB214_15 Depth=1
	v_mov_b32_e32 v16, v93
	v_mov_b32_e32 v0, 0x80
	;; [unrolled: 1-line block ×4, first 2 shown]
	v_cmp_ne_u32_sdwa s5, v6, v0 src0_sel:BYTE_3 src1_sel:DWORD
	s_and_saveexec_b32 s19, s5
	s_cbranch_execz .LBB214_1265
; %bb.1260:                             ;   in Loop: Header=BB214_15 Depth=1
	s_clause 0x1
	buffer_load_dword v60, off, s[0:3], s32 offset:192
	buffer_load_dword v61, off, s[0:3], s32 offset:196
	v_bfe_u32 v8, v6, 24, 7
	s_waitcnt vmcnt(1)
	v_mov_b32_e32 v60, v93
	s_mov_b32 s20, exec_lo
	s_waitcnt vmcnt(0)
	v_mov_b32_e32 v2, v61
	buffer_store_dword v1, off, s[0:3], s32 offset:192 ; 4-byte Folded Spill
	buffer_store_dword v2, off, s[0:3], s32 offset:196 ; 4-byte Folded Spill
	v_cmpx_ne_u32_e32 0x7f, v8
	s_cbranch_execz .LBB214_1264
; %bb.1261:                             ;   in Loop: Header=BB214_15 Depth=1
	v_mov_b32_e32 v0, 7
	v_lshrrev_b32_e32 v7, 3, v8
	s_mov_b32 s21, exec_lo
	v_and_b32_sdwa v92, v6, v0 dst_sel:DWORD dst_unused:UNUSED_PAD src0_sel:BYTE_3 src1_sel:DWORD
	v_cmpx_gt_u32_e32 8, v8
; %bb.1262:                             ;   in Loop: Header=BB214_15 Depth=1
	v_ffbh_u32_e32 v7, v92
	v_min_u32_e32 v7, 32, v7
	v_subrev_nc_u32_e32 v8, 28, v7
	v_sub_nc_u32_e32 v7, 29, v7
	v_lshlrev_b64 v[8:9], v8, v[92:93]
	v_and_b32_e32 v92, 7, v8
; %bb.1263:                             ;   in Loop: Header=BB214_15 Depth=1
	s_or_b32 exec_lo, exec_lo, s21
	v_mov_b32_e32 v0, 24
	v_lshl_add_u32 v7, v7, 23, 0x3c000000
	v_mov_b32_e32 v60, v93
	v_lshlrev_b32_sdwa v6, v0, v6 dst_sel:DWORD dst_unused:UNUSED_PAD src0_sel:DWORD src1_sel:BYTE_3
	v_lshlrev_b32_e32 v0, 20, v92
	v_and_b32_e32 v6, 0x80000000, v6
	v_or3_b32 v61, v0, v6, v7
.LBB214_1264:                           ;   in Loop: Header=BB214_15 Depth=1
	s_or_b32 exec_lo, exec_lo, s20
.LBB214_1265:                           ;   in Loop: Header=BB214_15 Depth=1
	s_or_b32 exec_lo, exec_lo, s19
.LBB214_1266:                           ;   in Loop: Header=BB214_15 Depth=1
	s_or_b32 exec_lo, exec_lo, s18
	flat_load_dword v6, v[126:127] offset:524
	v_mov_b32_e32 v34, 0
	v_mov_b32_e32 v52, 0
	;; [unrolled: 1-line block ×4, first 2 shown]
	s_waitcnt vmcnt(0) lgkmcnt(0)
	v_cmp_ne_u16_sdwa s5, v6, v93 src0_sel:BYTE_0 src1_sel:DWORD
	s_and_saveexec_b32 s18, s5
	s_cbranch_execz .LBB214_1274
; %bb.1267:                             ;   in Loop: Header=BB214_15 Depth=1
	v_mov_b32_e32 v0, 0x80
	v_bfrev_b32_e32 v52, 1
	v_mov_b32_e32 v53, 0
	v_cmp_ne_u16_sdwa s5, v6, v0 src0_sel:BYTE_0 src1_sel:DWORD
	s_and_saveexec_b32 s19, s5
	s_cbranch_execz .LBB214_1273
; %bb.1268:                             ;   in Loop: Header=BB214_15 Depth=1
	v_mov_b32_e32 v52, 0x7f800001
	v_and_b32_e32 v8, 0x7f, v6
	v_mov_b32_e32 v53, 0
	s_mov_b32 s20, exec_lo
	v_cmpx_ne_u32_e32 0x7f, v8
	s_cbranch_execz .LBB214_1272
; %bb.1269:                             ;   in Loop: Header=BB214_15 Depth=1
	v_and_b32_e32 v92, 7, v6
	v_lshrrev_b32_e32 v7, 3, v8
	s_mov_b32 s21, exec_lo
	v_cmpx_gt_u32_e32 8, v8
; %bb.1270:                             ;   in Loop: Header=BB214_15 Depth=1
	v_ffbh_u32_e32 v7, v92
	v_min_u32_e32 v7, 32, v7
	v_subrev_nc_u32_e32 v8, 28, v7
	v_sub_nc_u32_e32 v7, 29, v7
	v_lshlrev_b64 v[8:9], v8, v[92:93]
	v_and_b32_e32 v92, 7, v8
; %bb.1271:                             ;   in Loop: Header=BB214_15 Depth=1
	s_or_b32 exec_lo, exec_lo, s21
	v_lshlrev_b32_e32 v8, 24, v6
	v_lshlrev_b32_e32 v0, 20, v92
	v_lshl_add_u32 v7, v7, 23, 0x3c000000
	v_and_b32_e32 v8, 0x80000000, v8
	v_or3_b32 v92, v0, v8, v7
	v_mov_b32_e32 v52, v92
	v_mov_b32_e32 v53, v93
.LBB214_1272:                           ;   in Loop: Header=BB214_15 Depth=1
	s_or_b32 exec_lo, exec_lo, s20
.LBB214_1273:                           ;   in Loop: Header=BB214_15 Depth=1
	s_or_b32 exec_lo, exec_lo, s19
.LBB214_1274:                           ;   in Loop: Header=BB214_15 Depth=1
	s_or_b32 exec_lo, exec_lo, s18
	v_cmp_ne_u16_sdwa s5, v6, v93 src0_sel:BYTE_1 src1_sel:DWORD
	s_and_saveexec_b32 s18, s5
	s_cbranch_execz .LBB214_1282
; %bb.1275:                             ;   in Loop: Header=BB214_15 Depth=1
	v_mov_b32_e32 v16, v93
	v_mov_b32_e32 v0, 0x80
	;; [unrolled: 1-line block ×4, first 2 shown]
	v_cmp_ne_u16_sdwa s5, v6, v0 src0_sel:BYTE_1 src1_sel:DWORD
	s_and_saveexec_b32 s19, s5
	s_cbranch_execz .LBB214_1281
; %bb.1276:                             ;   in Loop: Header=BB214_15 Depth=1
	s_clause 0x1
	buffer_load_dword v34, off, s[0:3], s32 offset:192
	buffer_load_dword v35, off, s[0:3], s32 offset:196
	v_mov_b32_e32 v0, 0xffff
	s_waitcnt vmcnt(1)
	v_mov_b32_e32 v34, v93
	s_mov_b32 s20, exec_lo
	v_and_b32_sdwa v0, v0, v6 dst_sel:DWORD dst_unused:UNUSED_PAD src0_sel:DWORD src1_sel:BYTE_1
	v_and_b32_e32 v8, 0x7f, v0
	s_waitcnt vmcnt(0)
	v_mov_b32_e32 v2, v35
	buffer_store_dword v1, off, s[0:3], s32 offset:192 ; 4-byte Folded Spill
	buffer_store_dword v2, off, s[0:3], s32 offset:196 ; 4-byte Folded Spill
	v_cmpx_ne_u32_e32 0x7f, v8
	s_cbranch_execz .LBB214_1280
; %bb.1277:                             ;   in Loop: Header=BB214_15 Depth=1
	v_and_b32_e32 v92, 7, v0
	v_lshrrev_b32_e32 v7, 3, v8
	s_mov_b32 s21, exec_lo
	v_cmpx_gt_u32_e32 8, v8
; %bb.1278:                             ;   in Loop: Header=BB214_15 Depth=1
	v_ffbh_u32_e32 v7, v92
	v_min_u32_e32 v7, 32, v7
	v_subrev_nc_u32_e32 v8, 28, v7
	v_sub_nc_u32_e32 v7, 29, v7
	v_lshlrev_b64 v[8:9], v8, v[92:93]
	v_and_b32_e32 v92, 7, v8
; %bb.1279:                             ;   in Loop: Header=BB214_15 Depth=1
	s_or_b32 exec_lo, exec_lo, s21
	v_lshlrev_b32_e32 v8, 16, v6
	v_lshlrev_b32_e32 v0, 20, v92
	v_lshl_add_u32 v7, v7, 23, 0x3c000000
	v_mov_b32_e32 v34, v93
	v_and_b32_e32 v8, 0x80000000, v8
	v_or3_b32 v35, v0, v8, v7
.LBB214_1280:                           ;   in Loop: Header=BB214_15 Depth=1
	s_or_b32 exec_lo, exec_lo, s20
.LBB214_1281:                           ;   in Loop: Header=BB214_15 Depth=1
	s_or_b32 exec_lo, exec_lo, s19
.LBB214_1282:                           ;   in Loop: Header=BB214_15 Depth=1
	s_or_b32 exec_lo, exec_lo, s18
	v_mov_b32_e32 v26, 0
	v_mov_b32_e32 v70, 0
	v_and_b32_sdwa v0, v6, v10 dst_sel:DWORD dst_unused:UNUSED_PAD src0_sel:WORD_1 src1_sel:DWORD
	v_mov_b32_e32 v27, 0
	v_mov_b32_e32 v71, 0
	s_mov_b32 s18, exec_lo
	v_cmpx_ne_u16_e32 0, v0
	s_cbranch_execz .LBB214_1290
; %bb.1283:                             ;   in Loop: Header=BB214_15 Depth=1
	v_bfrev_b32_e32 v70, 1
	v_mov_b32_e32 v71, 0
	s_mov_b32 s19, exec_lo
	v_cmpx_ne_u16_e32 0x80, v0
	s_cbranch_execz .LBB214_1289
; %bb.1284:                             ;   in Loop: Header=BB214_15 Depth=1
	v_mov_b32_e32 v70, 0x7f800001
	v_bfe_u32 v8, v6, 16, 7
	v_mov_b32_e32 v71, 0
	s_mov_b32 s20, exec_lo
	v_cmpx_ne_u32_e32 0x7f, v8
	s_cbranch_execz .LBB214_1288
; %bb.1285:                             ;   in Loop: Header=BB214_15 Depth=1
	v_mov_b32_e32 v0, 7
	v_lshrrev_b32_e32 v7, 3, v8
	s_mov_b32 s21, exec_lo
	v_and_b32_sdwa v92, v6, v0 dst_sel:DWORD dst_unused:UNUSED_PAD src0_sel:WORD_1 src1_sel:DWORD
	v_cmpx_gt_u32_e32 8, v8
; %bb.1286:                             ;   in Loop: Header=BB214_15 Depth=1
	v_ffbh_u32_e32 v7, v92
	v_min_u32_e32 v7, 32, v7
	v_subrev_nc_u32_e32 v8, 28, v7
	v_sub_nc_u32_e32 v7, 29, v7
	v_lshlrev_b64 v[8:9], v8, v[92:93]
	v_and_b32_e32 v92, 7, v8
; %bb.1287:                             ;   in Loop: Header=BB214_15 Depth=1
	s_or_b32 exec_lo, exec_lo, s21
	v_mov_b32_e32 v0, 24
	v_lshl_add_u32 v7, v7, 23, 0x3c000000
	v_lshlrev_b32_sdwa v8, v0, v6 dst_sel:DWORD dst_unused:UNUSED_PAD src0_sel:DWORD src1_sel:WORD_1
	v_lshlrev_b32_e32 v0, 20, v92
	v_and_b32_e32 v8, 0x80000000, v8
	v_or3_b32 v92, v0, v8, v7
	v_mov_b32_e32 v70, v92
	v_mov_b32_e32 v71, v93
.LBB214_1288:                           ;   in Loop: Header=BB214_15 Depth=1
	s_or_b32 exec_lo, exec_lo, s20
.LBB214_1289:                           ;   in Loop: Header=BB214_15 Depth=1
	s_or_b32 exec_lo, exec_lo, s19
.LBB214_1290:                           ;   in Loop: Header=BB214_15 Depth=1
	s_or_b32 exec_lo, exec_lo, s18
	s_mov_b32 s18, exec_lo
	v_cmpx_lt_u32_e32 0xffffff, v6
	s_cbranch_execz .LBB214_1298
; %bb.1291:                             ;   in Loop: Header=BB214_15 Depth=1
	v_mov_b32_e32 v16, v93
	v_mov_b32_e32 v0, 0x80
	;; [unrolled: 1-line block ×4, first 2 shown]
	v_cmp_ne_u32_sdwa s5, v6, v0 src0_sel:BYTE_3 src1_sel:DWORD
	s_and_saveexec_b32 s19, s5
	s_cbranch_execz .LBB214_1297
; %bb.1292:                             ;   in Loop: Header=BB214_15 Depth=1
	s_clause 0x1
	buffer_load_dword v26, off, s[0:3], s32 offset:192
	buffer_load_dword v27, off, s[0:3], s32 offset:196
	v_bfe_u32 v8, v6, 24, 7
	s_waitcnt vmcnt(1)
	v_mov_b32_e32 v26, v93
	s_mov_b32 s20, exec_lo
	s_waitcnt vmcnt(0)
	v_mov_b32_e32 v2, v27
	buffer_store_dword v1, off, s[0:3], s32 offset:192 ; 4-byte Folded Spill
	buffer_store_dword v2, off, s[0:3], s32 offset:196 ; 4-byte Folded Spill
	v_cmpx_ne_u32_e32 0x7f, v8
	s_cbranch_execz .LBB214_1296
; %bb.1293:                             ;   in Loop: Header=BB214_15 Depth=1
	v_mov_b32_e32 v0, 7
	v_lshrrev_b32_e32 v7, 3, v8
	s_mov_b32 s21, exec_lo
	v_and_b32_sdwa v92, v6, v0 dst_sel:DWORD dst_unused:UNUSED_PAD src0_sel:BYTE_3 src1_sel:DWORD
	v_cmpx_gt_u32_e32 8, v8
; %bb.1294:                             ;   in Loop: Header=BB214_15 Depth=1
	v_ffbh_u32_e32 v7, v92
	v_min_u32_e32 v7, 32, v7
	v_subrev_nc_u32_e32 v8, 28, v7
	v_sub_nc_u32_e32 v7, 29, v7
	v_lshlrev_b64 v[8:9], v8, v[92:93]
	v_and_b32_e32 v92, 7, v8
; %bb.1295:                             ;   in Loop: Header=BB214_15 Depth=1
	s_or_b32 exec_lo, exec_lo, s21
	v_mov_b32_e32 v0, 24
	v_lshl_add_u32 v7, v7, 23, 0x3c000000
	v_mov_b32_e32 v26, v93
	v_lshlrev_b32_sdwa v6, v0, v6 dst_sel:DWORD dst_unused:UNUSED_PAD src0_sel:DWORD src1_sel:BYTE_3
	v_lshlrev_b32_e32 v0, 20, v92
	v_and_b32_e32 v6, 0x80000000, v6
	v_or3_b32 v27, v0, v6, v7
.LBB214_1296:                           ;   in Loop: Header=BB214_15 Depth=1
	s_or_b32 exec_lo, exec_lo, s20
.LBB214_1297:                           ;   in Loop: Header=BB214_15 Depth=1
	s_or_b32 exec_lo, exec_lo, s19
.LBB214_1298:                           ;   in Loop: Header=BB214_15 Depth=1
	s_or_b32 exec_lo, exec_lo, s18
	flat_load_dword v6, v[126:127] offset:1024
	v_mov_b32_e32 v84, 0
	v_mov_b32_e32 v38, 0
	;; [unrolled: 1-line block ×4, first 2 shown]
	s_waitcnt vmcnt(0) lgkmcnt(0)
	v_cmp_ne_u16_sdwa s5, v6, v93 src0_sel:BYTE_0 src1_sel:DWORD
	s_and_saveexec_b32 s18, s5
	s_cbranch_execz .LBB214_1306
; %bb.1299:                             ;   in Loop: Header=BB214_15 Depth=1
	v_mov_b32_e32 v0, 0x80
	v_bfrev_b32_e32 v38, 1
	v_mov_b32_e32 v39, 0
	v_cmp_ne_u16_sdwa s5, v6, v0 src0_sel:BYTE_0 src1_sel:DWORD
	s_and_saveexec_b32 s19, s5
	s_cbranch_execz .LBB214_1305
; %bb.1300:                             ;   in Loop: Header=BB214_15 Depth=1
	v_mov_b32_e32 v38, 0x7f800001
	v_and_b32_e32 v8, 0x7f, v6
	v_mov_b32_e32 v39, 0
	s_mov_b32 s20, exec_lo
	v_cmpx_ne_u32_e32 0x7f, v8
	s_cbranch_execz .LBB214_1304
; %bb.1301:                             ;   in Loop: Header=BB214_15 Depth=1
	v_and_b32_e32 v92, 7, v6
	v_lshrrev_b32_e32 v7, 3, v8
	s_mov_b32 s21, exec_lo
	v_cmpx_gt_u32_e32 8, v8
; %bb.1302:                             ;   in Loop: Header=BB214_15 Depth=1
	v_ffbh_u32_e32 v7, v92
	v_min_u32_e32 v7, 32, v7
	v_subrev_nc_u32_e32 v8, 28, v7
	v_sub_nc_u32_e32 v7, 29, v7
	v_lshlrev_b64 v[8:9], v8, v[92:93]
	v_and_b32_e32 v92, 7, v8
; %bb.1303:                             ;   in Loop: Header=BB214_15 Depth=1
	s_or_b32 exec_lo, exec_lo, s21
	v_lshlrev_b32_e32 v8, 24, v6
	v_lshlrev_b32_e32 v0, 20, v92
	v_lshl_add_u32 v7, v7, 23, 0x3c000000
	v_and_b32_e32 v8, 0x80000000, v8
	v_or3_b32 v92, v0, v8, v7
	v_mov_b32_e32 v38, v92
	v_mov_b32_e32 v39, v93
.LBB214_1304:                           ;   in Loop: Header=BB214_15 Depth=1
	s_or_b32 exec_lo, exec_lo, s20
.LBB214_1305:                           ;   in Loop: Header=BB214_15 Depth=1
	s_or_b32 exec_lo, exec_lo, s19
.LBB214_1306:                           ;   in Loop: Header=BB214_15 Depth=1
	s_or_b32 exec_lo, exec_lo, s18
	v_cmp_ne_u16_sdwa s5, v6, v93 src0_sel:BYTE_1 src1_sel:DWORD
	s_and_saveexec_b32 s18, s5
	s_cbranch_execz .LBB214_1314
; %bb.1307:                             ;   in Loop: Header=BB214_15 Depth=1
	v_mov_b32_e32 v16, v93
	v_mov_b32_e32 v0, 0x80
	;; [unrolled: 1-line block ×4, first 2 shown]
	v_cmp_ne_u16_sdwa s5, v6, v0 src0_sel:BYTE_1 src1_sel:DWORD
	s_and_saveexec_b32 s19, s5
	s_cbranch_execz .LBB214_1313
; %bb.1308:                             ;   in Loop: Header=BB214_15 Depth=1
	s_clause 0x1
	buffer_load_dword v84, off, s[0:3], s32 offset:192
	buffer_load_dword v85, off, s[0:3], s32 offset:196
	v_mov_b32_e32 v0, 0xffff
	s_waitcnt vmcnt(1)
	v_mov_b32_e32 v84, v93
	s_mov_b32 s20, exec_lo
	v_and_b32_sdwa v0, v0, v6 dst_sel:DWORD dst_unused:UNUSED_PAD src0_sel:DWORD src1_sel:BYTE_1
	v_and_b32_e32 v8, 0x7f, v0
	s_waitcnt vmcnt(0)
	v_mov_b32_e32 v2, v85
	buffer_store_dword v1, off, s[0:3], s32 offset:192 ; 4-byte Folded Spill
	buffer_store_dword v2, off, s[0:3], s32 offset:196 ; 4-byte Folded Spill
	v_cmpx_ne_u32_e32 0x7f, v8
	s_cbranch_execz .LBB214_1312
; %bb.1309:                             ;   in Loop: Header=BB214_15 Depth=1
	v_and_b32_e32 v92, 7, v0
	v_lshrrev_b32_e32 v7, 3, v8
	s_mov_b32 s21, exec_lo
	v_cmpx_gt_u32_e32 8, v8
; %bb.1310:                             ;   in Loop: Header=BB214_15 Depth=1
	v_ffbh_u32_e32 v7, v92
	v_min_u32_e32 v7, 32, v7
	v_subrev_nc_u32_e32 v8, 28, v7
	v_sub_nc_u32_e32 v7, 29, v7
	v_lshlrev_b64 v[8:9], v8, v[92:93]
	v_and_b32_e32 v92, 7, v8
; %bb.1311:                             ;   in Loop: Header=BB214_15 Depth=1
	s_or_b32 exec_lo, exec_lo, s21
	v_lshlrev_b32_e32 v8, 16, v6
	v_lshlrev_b32_e32 v0, 20, v92
	v_lshl_add_u32 v7, v7, 23, 0x3c000000
	v_mov_b32_e32 v84, v93
	v_and_b32_e32 v8, 0x80000000, v8
	v_or3_b32 v85, v0, v8, v7
.LBB214_1312:                           ;   in Loop: Header=BB214_15 Depth=1
	s_or_b32 exec_lo, exec_lo, s20
.LBB214_1313:                           ;   in Loop: Header=BB214_15 Depth=1
	s_or_b32 exec_lo, exec_lo, s19
.LBB214_1314:                           ;   in Loop: Header=BB214_15 Depth=1
	s_or_b32 exec_lo, exec_lo, s18
	v_mov_b32_e32 v82, 0
	v_mov_b32_e32 v98, 0
	v_and_b32_sdwa v0, v6, v10 dst_sel:DWORD dst_unused:UNUSED_PAD src0_sel:WORD_1 src1_sel:DWORD
	v_mov_b32_e32 v83, 0
	v_mov_b32_e32 v99, 0
	s_mov_b32 s18, exec_lo
	v_cmpx_ne_u16_e32 0, v0
	s_cbranch_execz .LBB214_1322
; %bb.1315:                             ;   in Loop: Header=BB214_15 Depth=1
	v_bfrev_b32_e32 v98, 1
	v_mov_b32_e32 v99, 0
	s_mov_b32 s19, exec_lo
	v_cmpx_ne_u16_e32 0x80, v0
	s_cbranch_execz .LBB214_1321
; %bb.1316:                             ;   in Loop: Header=BB214_15 Depth=1
	v_mov_b32_e32 v98, 0x7f800001
	v_bfe_u32 v8, v6, 16, 7
	v_mov_b32_e32 v99, 0
	s_mov_b32 s20, exec_lo
	v_cmpx_ne_u32_e32 0x7f, v8
	s_cbranch_execz .LBB214_1320
; %bb.1317:                             ;   in Loop: Header=BB214_15 Depth=1
	v_mov_b32_e32 v0, 7
	v_lshrrev_b32_e32 v7, 3, v8
	s_mov_b32 s21, exec_lo
	v_and_b32_sdwa v92, v6, v0 dst_sel:DWORD dst_unused:UNUSED_PAD src0_sel:WORD_1 src1_sel:DWORD
	v_cmpx_gt_u32_e32 8, v8
; %bb.1318:                             ;   in Loop: Header=BB214_15 Depth=1
	v_ffbh_u32_e32 v7, v92
	v_min_u32_e32 v7, 32, v7
	v_subrev_nc_u32_e32 v8, 28, v7
	v_sub_nc_u32_e32 v7, 29, v7
	v_lshlrev_b64 v[8:9], v8, v[92:93]
	v_and_b32_e32 v92, 7, v8
; %bb.1319:                             ;   in Loop: Header=BB214_15 Depth=1
	s_or_b32 exec_lo, exec_lo, s21
	v_mov_b32_e32 v0, 24
	v_lshl_add_u32 v7, v7, 23, 0x3c000000
	v_lshlrev_b32_sdwa v8, v0, v6 dst_sel:DWORD dst_unused:UNUSED_PAD src0_sel:DWORD src1_sel:WORD_1
	v_lshlrev_b32_e32 v0, 20, v92
	v_and_b32_e32 v8, 0x80000000, v8
	v_or3_b32 v92, v0, v8, v7
	v_mov_b32_e32 v99, v93
	v_mov_b32_e32 v98, v92
.LBB214_1320:                           ;   in Loop: Header=BB214_15 Depth=1
	s_or_b32 exec_lo, exec_lo, s20
.LBB214_1321:                           ;   in Loop: Header=BB214_15 Depth=1
	s_or_b32 exec_lo, exec_lo, s19
.LBB214_1322:                           ;   in Loop: Header=BB214_15 Depth=1
	s_or_b32 exec_lo, exec_lo, s18
	s_mov_b32 s18, exec_lo
	v_cmpx_lt_u32_e32 0xffffff, v6
	s_cbranch_execz .LBB214_1330
; %bb.1323:                             ;   in Loop: Header=BB214_15 Depth=1
	v_mov_b32_e32 v16, v93
	v_mov_b32_e32 v0, 0x80
	;; [unrolled: 1-line block ×4, first 2 shown]
	v_cmp_ne_u32_sdwa s5, v6, v0 src0_sel:BYTE_3 src1_sel:DWORD
	s_and_saveexec_b32 s19, s5
	s_cbranch_execz .LBB214_1329
; %bb.1324:                             ;   in Loop: Header=BB214_15 Depth=1
	s_clause 0x1
	buffer_load_dword v82, off, s[0:3], s32 offset:192
	buffer_load_dword v83, off, s[0:3], s32 offset:196
	v_bfe_u32 v8, v6, 24, 7
	s_waitcnt vmcnt(1)
	v_mov_b32_e32 v82, v93
	s_mov_b32 s20, exec_lo
	s_waitcnt vmcnt(0)
	v_mov_b32_e32 v2, v83
	buffer_store_dword v1, off, s[0:3], s32 offset:192 ; 4-byte Folded Spill
	buffer_store_dword v2, off, s[0:3], s32 offset:196 ; 4-byte Folded Spill
	v_cmpx_ne_u32_e32 0x7f, v8
	s_cbranch_execz .LBB214_1328
; %bb.1325:                             ;   in Loop: Header=BB214_15 Depth=1
	v_mov_b32_e32 v0, 7
	v_lshrrev_b32_e32 v7, 3, v8
	s_mov_b32 s21, exec_lo
	v_and_b32_sdwa v92, v6, v0 dst_sel:DWORD dst_unused:UNUSED_PAD src0_sel:BYTE_3 src1_sel:DWORD
	v_cmpx_gt_u32_e32 8, v8
; %bb.1326:                             ;   in Loop: Header=BB214_15 Depth=1
	v_ffbh_u32_e32 v7, v92
	v_min_u32_e32 v7, 32, v7
	v_subrev_nc_u32_e32 v8, 28, v7
	v_sub_nc_u32_e32 v7, 29, v7
	v_lshlrev_b64 v[8:9], v8, v[92:93]
	v_and_b32_e32 v92, 7, v8
; %bb.1327:                             ;   in Loop: Header=BB214_15 Depth=1
	s_or_b32 exec_lo, exec_lo, s21
	v_mov_b32_e32 v0, 24
	v_lshl_add_u32 v7, v7, 23, 0x3c000000
	v_mov_b32_e32 v82, v93
	v_lshlrev_b32_sdwa v6, v0, v6 dst_sel:DWORD dst_unused:UNUSED_PAD src0_sel:DWORD src1_sel:BYTE_3
	v_lshlrev_b32_e32 v0, 20, v92
	v_and_b32_e32 v6, 0x80000000, v6
	v_or3_b32 v83, v0, v6, v7
.LBB214_1328:                           ;   in Loop: Header=BB214_15 Depth=1
	s_or_b32 exec_lo, exec_lo, s20
.LBB214_1329:                           ;   in Loop: Header=BB214_15 Depth=1
	s_or_b32 exec_lo, exec_lo, s19
.LBB214_1330:                           ;   in Loop: Header=BB214_15 Depth=1
	s_or_b32 exec_lo, exec_lo, s18
	flat_load_dword v8, v[126:127] offset:1028
	v_mov_b32_e32 v68, 0
	v_mov_b32_e32 v114, 0
	;; [unrolled: 1-line block ×4, first 2 shown]
	s_waitcnt vmcnt(0) lgkmcnt(0)
	v_cmp_ne_u16_sdwa s5, v8, v93 src0_sel:BYTE_0 src1_sel:DWORD
	s_and_saveexec_b32 s18, s5
	s_cbranch_execz .LBB214_1338
; %bb.1331:                             ;   in Loop: Header=BB214_15 Depth=1
	v_mov_b32_e32 v0, 0x80
	v_bfrev_b32_e32 v114, 1
	v_mov_b32_e32 v115, 0
	v_cmp_ne_u16_sdwa s5, v8, v0 src0_sel:BYTE_0 src1_sel:DWORD
	s_and_saveexec_b32 s19, s5
	s_cbranch_execz .LBB214_1337
; %bb.1332:                             ;   in Loop: Header=BB214_15 Depth=1
	v_mov_b32_e32 v114, 0x7f800001
	v_and_b32_e32 v7, 0x7f, v8
	v_mov_b32_e32 v115, 0
	s_mov_b32 s20, exec_lo
	v_cmpx_ne_u32_e32 0x7f, v7
	s_cbranch_execz .LBB214_1336
; %bb.1333:                             ;   in Loop: Header=BB214_15 Depth=1
	v_and_b32_e32 v92, 7, v8
	v_lshrrev_b32_e32 v6, 3, v7
	s_mov_b32 s21, exec_lo
	v_cmpx_gt_u32_e32 8, v7
	s_cbranch_execz .LBB214_1335
; %bb.1334:                             ;   in Loop: Header=BB214_15 Depth=1
	v_ffbh_u32_e32 v6, v92
	v_min_u32_e32 v6, 32, v6
	v_subrev_nc_u32_e32 v7, 28, v6
	v_sub_nc_u32_e32 v6, 29, v6
	v_lshlrev_b64 v[9:10], v7, v[92:93]
	v_mov_b32_e32 v10, 0xff
	v_and_b32_e32 v92, 7, v9
.LBB214_1335:                           ;   in Loop: Header=BB214_15 Depth=1
	s_or_b32 exec_lo, exec_lo, s21
	v_lshlrev_b32_e32 v7, 24, v8
	v_lshlrev_b32_e32 v0, 20, v92
	v_lshl_add_u32 v6, v6, 23, 0x3c000000
	v_and_b32_e32 v7, 0x80000000, v7
	v_or3_b32 v92, v0, v7, v6
	v_mov_b32_e32 v115, v93
	v_mov_b32_e32 v114, v92
.LBB214_1336:                           ;   in Loop: Header=BB214_15 Depth=1
	s_or_b32 exec_lo, exec_lo, s20
.LBB214_1337:                           ;   in Loop: Header=BB214_15 Depth=1
	s_or_b32 exec_lo, exec_lo, s19
.LBB214_1338:                           ;   in Loop: Header=BB214_15 Depth=1
	s_or_b32 exec_lo, exec_lo, s18
	v_cmp_ne_u16_sdwa s5, v8, v93 src0_sel:BYTE_1 src1_sel:DWORD
	s_and_saveexec_b32 s18, s5
	s_cbranch_execz .LBB214_1346
; %bb.1339:                             ;   in Loop: Header=BB214_15 Depth=1
	v_mov_b32_e32 v16, v93
	v_mov_b32_e32 v0, 0x80
	;; [unrolled: 1-line block ×4, first 2 shown]
	v_cmp_ne_u16_sdwa s5, v8, v0 src0_sel:BYTE_1 src1_sel:DWORD
	s_and_saveexec_b32 s19, s5
	s_cbranch_execz .LBB214_1345
; %bb.1340:                             ;   in Loop: Header=BB214_15 Depth=1
	s_clause 0x1
	buffer_load_dword v68, off, s[0:3], s32 offset:192
	buffer_load_dword v69, off, s[0:3], s32 offset:196
	v_mov_b32_e32 v0, 0xffff
	s_waitcnt vmcnt(1)
	v_mov_b32_e32 v68, v93
	s_mov_b32 s20, exec_lo
	v_and_b32_sdwa v0, v0, v8 dst_sel:DWORD dst_unused:UNUSED_PAD src0_sel:DWORD src1_sel:BYTE_1
	v_and_b32_e32 v7, 0x7f, v0
	s_waitcnt vmcnt(0)
	v_mov_b32_e32 v2, v69
	buffer_store_dword v1, off, s[0:3], s32 offset:192 ; 4-byte Folded Spill
	buffer_store_dword v2, off, s[0:3], s32 offset:196 ; 4-byte Folded Spill
	v_cmpx_ne_u32_e32 0x7f, v7
	s_cbranch_execz .LBB214_1344
; %bb.1341:                             ;   in Loop: Header=BB214_15 Depth=1
	v_and_b32_e32 v92, 7, v0
	v_lshrrev_b32_e32 v6, 3, v7
	s_mov_b32 s21, exec_lo
	v_cmpx_gt_u32_e32 8, v7
	s_cbranch_execz .LBB214_1343
; %bb.1342:                             ;   in Loop: Header=BB214_15 Depth=1
	v_ffbh_u32_e32 v6, v92
	v_min_u32_e32 v6, 32, v6
	v_subrev_nc_u32_e32 v7, 28, v6
	v_sub_nc_u32_e32 v6, 29, v6
	v_lshlrev_b64 v[9:10], v7, v[92:93]
	v_mov_b32_e32 v10, 0xff
	v_and_b32_e32 v92, 7, v9
.LBB214_1343:                           ;   in Loop: Header=BB214_15 Depth=1
	s_or_b32 exec_lo, exec_lo, s21
	v_lshlrev_b32_e32 v7, 16, v8
	v_lshlrev_b32_e32 v0, 20, v92
	v_lshl_add_u32 v6, v6, 23, 0x3c000000
	v_mov_b32_e32 v68, v93
	v_and_b32_e32 v7, 0x80000000, v7
	v_or3_b32 v69, v0, v7, v6
.LBB214_1344:                           ;   in Loop: Header=BB214_15 Depth=1
	s_or_b32 exec_lo, exec_lo, s20
.LBB214_1345:                           ;   in Loop: Header=BB214_15 Depth=1
	s_or_b32 exec_lo, exec_lo, s19
.LBB214_1346:                           ;   in Loop: Header=BB214_15 Depth=1
	s_or_b32 exec_lo, exec_lo, s18
	v_and_b32_sdwa v0, v8, v10 dst_sel:DWORD dst_unused:UNUSED_PAD src0_sel:WORD_1 src1_sel:DWORD
	v_mov_b32_e32 v118, 0
	v_mov_b32_e32 v10, 0
	v_mov_b32_e32 v113, 0xff
	v_mov_b32_e32 v119, 0
	v_mov_b32_e32 v11, 0
	s_mov_b32 s18, exec_lo
	v_cmpx_ne_u16_e32 0, v0
	s_cbranch_execz .LBB214_1354
; %bb.1347:                             ;   in Loop: Header=BB214_15 Depth=1
	v_bfrev_b32_e32 v10, 1
	v_mov_b32_e32 v11, 0
	s_mov_b32 s19, exec_lo
	v_cmpx_ne_u16_e32 0x80, v0
	s_cbranch_execz .LBB214_1353
; %bb.1348:                             ;   in Loop: Header=BB214_15 Depth=1
	v_mov_b32_e32 v10, 0x7f800001
	v_bfe_u32 v7, v8, 16, 7
	v_mov_b32_e32 v11, 0
	s_mov_b32 s20, exec_lo
	v_cmpx_ne_u32_e32 0x7f, v7
	s_cbranch_execz .LBB214_1352
; %bb.1349:                             ;   in Loop: Header=BB214_15 Depth=1
	v_mov_b32_e32 v0, 7
	v_lshrrev_b32_e32 v6, 3, v7
	s_mov_b32 s21, exec_lo
	v_and_b32_sdwa v92, v8, v0 dst_sel:DWORD dst_unused:UNUSED_PAD src0_sel:WORD_1 src1_sel:DWORD
	v_cmpx_gt_u32_e32 8, v7
; %bb.1350:                             ;   in Loop: Header=BB214_15 Depth=1
	v_ffbh_u32_e32 v6, v92
	v_min_u32_e32 v6, 32, v6
	v_subrev_nc_u32_e32 v7, 28, v6
	v_sub_nc_u32_e32 v6, 29, v6
	v_lshlrev_b64 v[9:10], v7, v[92:93]
	v_and_b32_e32 v92, 7, v9
; %bb.1351:                             ;   in Loop: Header=BB214_15 Depth=1
	s_or_b32 exec_lo, exec_lo, s21
	v_mov_b32_e32 v0, 24
	v_lshl_add_u32 v6, v6, 23, 0x3c000000
	v_lshlrev_b32_sdwa v7, v0, v8 dst_sel:DWORD dst_unused:UNUSED_PAD src0_sel:DWORD src1_sel:WORD_1
	v_lshlrev_b32_e32 v0, 20, v92
	v_and_b32_e32 v7, 0x80000000, v7
	v_or3_b32 v92, v0, v7, v6
	v_mov_b32_e32 v10, v92
	v_mov_b32_e32 v11, v93
.LBB214_1352:                           ;   in Loop: Header=BB214_15 Depth=1
	s_or_b32 exec_lo, exec_lo, s20
.LBB214_1353:                           ;   in Loop: Header=BB214_15 Depth=1
	s_or_b32 exec_lo, exec_lo, s19
.LBB214_1354:                           ;   in Loop: Header=BB214_15 Depth=1
	s_or_b32 exec_lo, exec_lo, s18
	s_mov_b32 s18, exec_lo
	v_cmpx_lt_u32_e32 0xffffff, v8
	s_cbranch_execz .LBB214_1362
; %bb.1355:                             ;   in Loop: Header=BB214_15 Depth=1
	v_mov_b32_e32 v16, v93
	v_mov_b32_e32 v0, 0x80
	;; [unrolled: 1-line block ×4, first 2 shown]
	v_cmp_ne_u32_sdwa s5, v8, v0 src0_sel:BYTE_3 src1_sel:DWORD
	s_and_saveexec_b32 s19, s5
	s_cbranch_execz .LBB214_1361
; %bb.1356:                             ;   in Loop: Header=BB214_15 Depth=1
	s_clause 0x1
	buffer_load_dword v118, off, s[0:3], s32 offset:192
	buffer_load_dword v119, off, s[0:3], s32 offset:196
	v_bfe_u32 v6, v8, 24, 7
	s_waitcnt vmcnt(1)
	v_mov_b32_e32 v118, v93
	s_mov_b32 s20, exec_lo
	s_waitcnt vmcnt(0)
	v_mov_b32_e32 v2, v119
	buffer_store_dword v1, off, s[0:3], s32 offset:192 ; 4-byte Folded Spill
	buffer_store_dword v2, off, s[0:3], s32 offset:196 ; 4-byte Folded Spill
	v_cmpx_ne_u32_e32 0x7f, v6
	s_cbranch_execz .LBB214_1360
; %bb.1357:                             ;   in Loop: Header=BB214_15 Depth=1
	v_mov_b32_e32 v0, 7
	v_lshrrev_b32_e32 v9, 3, v6
	v_cmp_gt_u32_e64 s5, 8, v6
	v_and_b32_sdwa v92, v8, v0 dst_sel:DWORD dst_unused:UNUSED_PAD src0_sel:BYTE_3 src1_sel:DWORD
	v_mov_b32_e32 v6, v92
	v_mov_b32_e32 v7, v93
	s_and_saveexec_b32 s21, s5
; %bb.1358:                             ;   in Loop: Header=BB214_15 Depth=1
	v_ffbh_u32_e32 v6, v92
	v_min_u32_e32 v9, 32, v6
	v_subrev_nc_u32_e32 v6, 28, v9
	v_sub_nc_u32_e32 v9, 29, v9
	v_lshlrev_b64 v[6:7], v6, v[92:93]
	v_and_b32_e32 v6, 7, v6
; %bb.1359:                             ;   in Loop: Header=BB214_15 Depth=1
	s_or_b32 exec_lo, exec_lo, s21
	v_mov_b32_e32 v0, 24
	v_lshlrev_b32_e32 v6, 20, v6
	v_lshl_add_u32 v7, v9, 23, 0x3c000000
	v_mov_b32_e32 v118, v93
	v_lshlrev_b32_sdwa v0, v0, v8 dst_sel:DWORD dst_unused:UNUSED_PAD src0_sel:DWORD src1_sel:BYTE_3
	v_and_b32_e32 v0, 0x80000000, v0
	v_or3_b32 v119, v6, v0, v7
.LBB214_1360:                           ;   in Loop: Header=BB214_15 Depth=1
	s_or_b32 exec_lo, exec_lo, s20
.LBB214_1361:                           ;   in Loop: Header=BB214_15 Depth=1
	s_or_b32 exec_lo, exec_lo, s19
.LBB214_1362:                           ;   in Loop: Header=BB214_15 Depth=1
	s_or_b32 exec_lo, exec_lo, s18
	flat_load_dword v8, v[126:127] offset:1032
	v_mov_b32_e32 v72, 0
	v_mov_b32_e32 v120, 0
	;; [unrolled: 1-line block ×4, first 2 shown]
	s_waitcnt vmcnt(0) lgkmcnt(0)
	v_cmp_ne_u16_sdwa s5, v8, v93 src0_sel:BYTE_0 src1_sel:DWORD
	s_and_saveexec_b32 s18, s5
	s_cbranch_execz .LBB214_1370
; %bb.1363:                             ;   in Loop: Header=BB214_15 Depth=1
	v_mov_b32_e32 v0, 0x80
	v_bfrev_b32_e32 v120, 1
	v_mov_b32_e32 v121, 0
	v_cmp_ne_u16_sdwa s5, v8, v0 src0_sel:BYTE_0 src1_sel:DWORD
	s_and_saveexec_b32 s19, s5
	s_cbranch_execz .LBB214_1369
; %bb.1364:                             ;   in Loop: Header=BB214_15 Depth=1
	v_mov_b32_e32 v120, 0x7f800001
	v_and_b32_e32 v6, 0x7f, v8
	v_mov_b32_e32 v121, 0
	s_mov_b32 s20, exec_lo
	v_cmpx_ne_u32_e32 0x7f, v6
	s_cbranch_execz .LBB214_1368
; %bb.1365:                             ;   in Loop: Header=BB214_15 Depth=1
	v_and_b32_e32 v92, 7, v8
	v_lshrrev_b32_e32 v9, 3, v6
	v_cmp_gt_u32_e64 s5, 8, v6
	v_mov_b32_e32 v6, v92
	v_mov_b32_e32 v7, v93
	s_and_saveexec_b32 s21, s5
; %bb.1366:                             ;   in Loop: Header=BB214_15 Depth=1
	v_ffbh_u32_e32 v6, v92
	v_min_u32_e32 v9, 32, v6
	v_subrev_nc_u32_e32 v6, 28, v9
	v_sub_nc_u32_e32 v9, 29, v9
	v_lshlrev_b64 v[6:7], v6, v[92:93]
	v_and_b32_e32 v6, 7, v6
; %bb.1367:                             ;   in Loop: Header=BB214_15 Depth=1
	s_or_b32 exec_lo, exec_lo, s21
	v_lshlrev_b32_e32 v0, 24, v8
	v_lshlrev_b32_e32 v6, 20, v6
	v_lshl_add_u32 v7, v9, 23, 0x3c000000
	v_and_b32_e32 v0, 0x80000000, v0
	v_or3_b32 v92, v6, v0, v7
	v_mov_b32_e32 v121, v93
	v_mov_b32_e32 v120, v92
.LBB214_1368:                           ;   in Loop: Header=BB214_15 Depth=1
	s_or_b32 exec_lo, exec_lo, s20
.LBB214_1369:                           ;   in Loop: Header=BB214_15 Depth=1
	s_or_b32 exec_lo, exec_lo, s19
.LBB214_1370:                           ;   in Loop: Header=BB214_15 Depth=1
	s_or_b32 exec_lo, exec_lo, s18
	v_cmp_ne_u16_sdwa s5, v8, v93 src0_sel:BYTE_1 src1_sel:DWORD
	s_and_saveexec_b32 s18, s5
	s_cbranch_execz .LBB214_1378
; %bb.1371:                             ;   in Loop: Header=BB214_15 Depth=1
	v_mov_b32_e32 v16, v93
	v_mov_b32_e32 v0, 0x80
	;; [unrolled: 1-line block ×4, first 2 shown]
	v_cmp_ne_u16_sdwa s5, v8, v0 src0_sel:BYTE_1 src1_sel:DWORD
	s_and_saveexec_b32 s19, s5
	s_cbranch_execz .LBB214_1377
; %bb.1372:                             ;   in Loop: Header=BB214_15 Depth=1
	s_clause 0x1
	buffer_load_dword v72, off, s[0:3], s32 offset:192
	buffer_load_dword v73, off, s[0:3], s32 offset:196
	v_mov_b32_e32 v0, 0xffff
	s_waitcnt vmcnt(1)
	v_mov_b32_e32 v72, v93
	s_mov_b32 s20, exec_lo
	v_and_b32_sdwa v0, v0, v8 dst_sel:DWORD dst_unused:UNUSED_PAD src0_sel:DWORD src1_sel:BYTE_1
	v_and_b32_e32 v6, 0x7f, v0
	s_waitcnt vmcnt(0)
	v_mov_b32_e32 v2, v73
	buffer_store_dword v1, off, s[0:3], s32 offset:192 ; 4-byte Folded Spill
	buffer_store_dword v2, off, s[0:3], s32 offset:196 ; 4-byte Folded Spill
	v_cmpx_ne_u32_e32 0x7f, v6
	s_cbranch_execz .LBB214_1376
; %bb.1373:                             ;   in Loop: Header=BB214_15 Depth=1
	v_and_b32_e32 v92, 7, v0
	v_lshrrev_b32_e32 v9, 3, v6
	v_cmp_gt_u32_e64 s5, 8, v6
	v_mov_b32_e32 v6, v92
	v_mov_b32_e32 v7, v93
	s_and_saveexec_b32 s21, s5
; %bb.1374:                             ;   in Loop: Header=BB214_15 Depth=1
	v_ffbh_u32_e32 v6, v92
	v_min_u32_e32 v9, 32, v6
	v_subrev_nc_u32_e32 v6, 28, v9
	v_sub_nc_u32_e32 v9, 29, v9
	v_lshlrev_b64 v[6:7], v6, v[92:93]
	v_and_b32_e32 v6, 7, v6
; %bb.1375:                             ;   in Loop: Header=BB214_15 Depth=1
	s_or_b32 exec_lo, exec_lo, s21
	v_lshlrev_b32_e32 v0, 16, v8
	v_lshlrev_b32_e32 v6, 20, v6
	v_lshl_add_u32 v7, v9, 23, 0x3c000000
	v_mov_b32_e32 v72, v93
	v_and_b32_e32 v0, 0x80000000, v0
	v_or3_b32 v73, v6, v0, v7
.LBB214_1376:                           ;   in Loop: Header=BB214_15 Depth=1
	s_or_b32 exec_lo, exec_lo, s20
.LBB214_1377:                           ;   in Loop: Header=BB214_15 Depth=1
	s_or_b32 exec_lo, exec_lo, s19
.LBB214_1378:                           ;   in Loop: Header=BB214_15 Depth=1
	s_or_b32 exec_lo, exec_lo, s18
	v_mov_b32_e32 v116, 0
	v_mov_b32_e32 v44, 0
	v_and_b32_sdwa v0, v8, v113 dst_sel:DWORD dst_unused:UNUSED_PAD src0_sel:WORD_1 src1_sel:DWORD
	v_mov_b32_e32 v117, 0
	v_mov_b32_e32 v45, 0
	s_mov_b32 s18, exec_lo
	v_cmpx_ne_u16_e32 0, v0
	s_cbranch_execz .LBB214_1386
; %bb.1379:                             ;   in Loop: Header=BB214_15 Depth=1
	v_bfrev_b32_e32 v44, 1
	v_mov_b32_e32 v45, 0
	s_mov_b32 s19, exec_lo
	v_cmpx_ne_u16_e32 0x80, v0
	s_cbranch_execz .LBB214_1385
; %bb.1380:                             ;   in Loop: Header=BB214_15 Depth=1
	v_mov_b32_e32 v44, 0x7f800001
	v_bfe_u32 v6, v8, 16, 7
	v_mov_b32_e32 v45, 0
	s_mov_b32 s20, exec_lo
	v_cmpx_ne_u32_e32 0x7f, v6
	s_cbranch_execz .LBB214_1384
; %bb.1381:                             ;   in Loop: Header=BB214_15 Depth=1
	v_mov_b32_e32 v0, 7
	v_lshrrev_b32_e32 v9, 3, v6
	v_cmp_gt_u32_e64 s5, 8, v6
	v_and_b32_sdwa v92, v8, v0 dst_sel:DWORD dst_unused:UNUSED_PAD src0_sel:WORD_1 src1_sel:DWORD
	v_mov_b32_e32 v6, v92
	v_mov_b32_e32 v7, v93
	s_and_saveexec_b32 s21, s5
; %bb.1382:                             ;   in Loop: Header=BB214_15 Depth=1
	v_ffbh_u32_e32 v6, v92
	v_min_u32_e32 v9, 32, v6
	v_subrev_nc_u32_e32 v6, 28, v9
	v_sub_nc_u32_e32 v9, 29, v9
	v_lshlrev_b64 v[6:7], v6, v[92:93]
	v_and_b32_e32 v6, 7, v6
; %bb.1383:                             ;   in Loop: Header=BB214_15 Depth=1
	s_or_b32 exec_lo, exec_lo, s21
	v_mov_b32_e32 v0, 24
	v_lshlrev_b32_e32 v6, 20, v6
	v_lshl_add_u32 v7, v9, 23, 0x3c000000
	v_lshlrev_b32_sdwa v0, v0, v8 dst_sel:DWORD dst_unused:UNUSED_PAD src0_sel:DWORD src1_sel:WORD_1
	v_and_b32_e32 v0, 0x80000000, v0
	v_or3_b32 v92, v6, v0, v7
	v_mov_b32_e32 v44, v92
	v_mov_b32_e32 v45, v93
.LBB214_1384:                           ;   in Loop: Header=BB214_15 Depth=1
	s_or_b32 exec_lo, exec_lo, s20
.LBB214_1385:                           ;   in Loop: Header=BB214_15 Depth=1
	s_or_b32 exec_lo, exec_lo, s19
.LBB214_1386:                           ;   in Loop: Header=BB214_15 Depth=1
	s_or_b32 exec_lo, exec_lo, s18
	s_mov_b32 s18, exec_lo
	v_cmpx_lt_u32_e32 0xffffff, v8
	s_cbranch_execz .LBB214_1394
; %bb.1387:                             ;   in Loop: Header=BB214_15 Depth=1
	v_mov_b32_e32 v16, v93
	v_mov_b32_e32 v0, 0x80
	v_mov_b32_e32 v117, v17
	v_mov_b32_e32 v116, v16
	v_cmp_ne_u32_sdwa s5, v8, v0 src0_sel:BYTE_3 src1_sel:DWORD
	s_and_saveexec_b32 s19, s5
	s_cbranch_execz .LBB214_1393
; %bb.1388:                             ;   in Loop: Header=BB214_15 Depth=1
	s_clause 0x1
	buffer_load_dword v116, off, s[0:3], s32 offset:192
	buffer_load_dword v117, off, s[0:3], s32 offset:196
	v_bfe_u32 v6, v8, 24, 7
	s_waitcnt vmcnt(1)
	v_mov_b32_e32 v116, v93
	s_mov_b32 s20, exec_lo
	s_waitcnt vmcnt(0)
	v_mov_b32_e32 v2, v117
	buffer_store_dword v1, off, s[0:3], s32 offset:192 ; 4-byte Folded Spill
	buffer_store_dword v2, off, s[0:3], s32 offset:196 ; 4-byte Folded Spill
	v_cmpx_ne_u32_e32 0x7f, v6
	s_cbranch_execz .LBB214_1392
; %bb.1389:                             ;   in Loop: Header=BB214_15 Depth=1
	v_mov_b32_e32 v0, 7
	v_lshrrev_b32_e32 v9, 3, v6
	v_cmp_gt_u32_e64 s5, 8, v6
	v_and_b32_sdwa v92, v8, v0 dst_sel:DWORD dst_unused:UNUSED_PAD src0_sel:BYTE_3 src1_sel:DWORD
	v_mov_b32_e32 v6, v92
	v_mov_b32_e32 v7, v93
	s_and_saveexec_b32 s21, s5
; %bb.1390:                             ;   in Loop: Header=BB214_15 Depth=1
	v_ffbh_u32_e32 v6, v92
	v_min_u32_e32 v9, 32, v6
	v_subrev_nc_u32_e32 v6, 28, v9
	v_sub_nc_u32_e32 v9, 29, v9
	v_lshlrev_b64 v[6:7], v6, v[92:93]
	v_and_b32_e32 v6, 7, v6
; %bb.1391:                             ;   in Loop: Header=BB214_15 Depth=1
	s_or_b32 exec_lo, exec_lo, s21
	v_mov_b32_e32 v0, 24
	v_lshlrev_b32_e32 v6, 20, v6
	v_lshl_add_u32 v7, v9, 23, 0x3c000000
	v_mov_b32_e32 v116, v93
	v_lshlrev_b32_sdwa v0, v0, v8 dst_sel:DWORD dst_unused:UNUSED_PAD src0_sel:DWORD src1_sel:BYTE_3
	v_and_b32_e32 v0, 0x80000000, v0
	v_or3_b32 v117, v6, v0, v7
.LBB214_1392:                           ;   in Loop: Header=BB214_15 Depth=1
	s_or_b32 exec_lo, exec_lo, s20
.LBB214_1393:                           ;   in Loop: Header=BB214_15 Depth=1
	s_or_b32 exec_lo, exec_lo, s19
.LBB214_1394:                           ;   in Loop: Header=BB214_15 Depth=1
	s_or_b32 exec_lo, exec_lo, s18
	flat_load_dword v8, v[126:127] offset:1036
	v_mov_b32_e32 v76, 0
	v_mov_b32_e32 v22, 0
	;; [unrolled: 1-line block ×4, first 2 shown]
	s_waitcnt vmcnt(0) lgkmcnt(0)
	v_cmp_ne_u16_sdwa s5, v8, v93 src0_sel:BYTE_0 src1_sel:DWORD
	s_and_saveexec_b32 s18, s5
	s_cbranch_execz .LBB214_1402
; %bb.1395:                             ;   in Loop: Header=BB214_15 Depth=1
	v_mov_b32_e32 v0, 0x80
	v_bfrev_b32_e32 v22, 1
	v_mov_b32_e32 v23, 0
	v_cmp_ne_u16_sdwa s5, v8, v0 src0_sel:BYTE_0 src1_sel:DWORD
	s_and_saveexec_b32 s19, s5
	s_cbranch_execz .LBB214_1401
; %bb.1396:                             ;   in Loop: Header=BB214_15 Depth=1
	v_mov_b32_e32 v22, 0x7f800001
	v_and_b32_e32 v6, 0x7f, v8
	v_mov_b32_e32 v23, 0
	s_mov_b32 s20, exec_lo
	v_cmpx_ne_u32_e32 0x7f, v6
	s_cbranch_execz .LBB214_1400
; %bb.1397:                             ;   in Loop: Header=BB214_15 Depth=1
	v_and_b32_e32 v92, 7, v8
	v_lshrrev_b32_e32 v9, 3, v6
	v_cmp_gt_u32_e64 s5, 8, v6
	v_mov_b32_e32 v6, v92
	v_mov_b32_e32 v7, v93
	s_and_saveexec_b32 s21, s5
; %bb.1398:                             ;   in Loop: Header=BB214_15 Depth=1
	v_ffbh_u32_e32 v6, v92
	v_min_u32_e32 v9, 32, v6
	v_subrev_nc_u32_e32 v6, 28, v9
	v_sub_nc_u32_e32 v9, 29, v9
	v_lshlrev_b64 v[6:7], v6, v[92:93]
	v_and_b32_e32 v6, 7, v6
; %bb.1399:                             ;   in Loop: Header=BB214_15 Depth=1
	s_or_b32 exec_lo, exec_lo, s21
	v_lshlrev_b32_e32 v0, 24, v8
	v_lshlrev_b32_e32 v6, 20, v6
	v_lshl_add_u32 v7, v9, 23, 0x3c000000
	v_and_b32_e32 v0, 0x80000000, v0
	v_or3_b32 v92, v6, v0, v7
	v_mov_b32_e32 v22, v92
	v_mov_b32_e32 v23, v93
.LBB214_1400:                           ;   in Loop: Header=BB214_15 Depth=1
	s_or_b32 exec_lo, exec_lo, s20
.LBB214_1401:                           ;   in Loop: Header=BB214_15 Depth=1
	s_or_b32 exec_lo, exec_lo, s19
.LBB214_1402:                           ;   in Loop: Header=BB214_15 Depth=1
	s_or_b32 exec_lo, exec_lo, s18
	v_cmp_ne_u16_sdwa s5, v8, v93 src0_sel:BYTE_1 src1_sel:DWORD
	s_and_saveexec_b32 s18, s5
	s_cbranch_execz .LBB214_1410
; %bb.1403:                             ;   in Loop: Header=BB214_15 Depth=1
	v_mov_b32_e32 v16, v93
	v_mov_b32_e32 v0, 0x80
	;; [unrolled: 1-line block ×4, first 2 shown]
	v_cmp_ne_u16_sdwa s5, v8, v0 src0_sel:BYTE_1 src1_sel:DWORD
	s_and_saveexec_b32 s19, s5
	s_cbranch_execz .LBB214_1409
; %bb.1404:                             ;   in Loop: Header=BB214_15 Depth=1
	s_clause 0x1
	buffer_load_dword v76, off, s[0:3], s32 offset:192
	buffer_load_dword v77, off, s[0:3], s32 offset:196
	v_mov_b32_e32 v0, 0xffff
	s_waitcnt vmcnt(1)
	v_mov_b32_e32 v76, v93
	s_mov_b32 s20, exec_lo
	v_and_b32_sdwa v0, v0, v8 dst_sel:DWORD dst_unused:UNUSED_PAD src0_sel:DWORD src1_sel:BYTE_1
	v_and_b32_e32 v6, 0x7f, v0
	s_waitcnt vmcnt(0)
	v_mov_b32_e32 v2, v77
	buffer_store_dword v1, off, s[0:3], s32 offset:192 ; 4-byte Folded Spill
	buffer_store_dword v2, off, s[0:3], s32 offset:196 ; 4-byte Folded Spill
	v_cmpx_ne_u32_e32 0x7f, v6
	s_cbranch_execz .LBB214_1408
; %bb.1405:                             ;   in Loop: Header=BB214_15 Depth=1
	v_and_b32_e32 v92, 7, v0
	v_lshrrev_b32_e32 v9, 3, v6
	v_cmp_gt_u32_e64 s5, 8, v6
	v_mov_b32_e32 v6, v92
	v_mov_b32_e32 v7, v93
	s_and_saveexec_b32 s21, s5
; %bb.1406:                             ;   in Loop: Header=BB214_15 Depth=1
	v_ffbh_u32_e32 v6, v92
	v_min_u32_e32 v9, 32, v6
	v_subrev_nc_u32_e32 v6, 28, v9
	v_sub_nc_u32_e32 v9, 29, v9
	v_lshlrev_b64 v[6:7], v6, v[92:93]
	v_and_b32_e32 v6, 7, v6
; %bb.1407:                             ;   in Loop: Header=BB214_15 Depth=1
	s_or_b32 exec_lo, exec_lo, s21
	v_lshlrev_b32_e32 v0, 16, v8
	v_lshlrev_b32_e32 v6, 20, v6
	v_lshl_add_u32 v7, v9, 23, 0x3c000000
	v_mov_b32_e32 v76, v93
	v_and_b32_e32 v0, 0x80000000, v0
	v_or3_b32 v77, v6, v0, v7
.LBB214_1408:                           ;   in Loop: Header=BB214_15 Depth=1
	s_or_b32 exec_lo, exec_lo, s20
.LBB214_1409:                           ;   in Loop: Header=BB214_15 Depth=1
	s_or_b32 exec_lo, exec_lo, s19
.LBB214_1410:                           ;   in Loop: Header=BB214_15 Depth=1
	s_or_b32 exec_lo, exec_lo, s18
	v_mov_b32_e32 v40, 0
	v_mov_b32_e32 v94, 0
	v_and_b32_sdwa v0, v8, v113 dst_sel:DWORD dst_unused:UNUSED_PAD src0_sel:WORD_1 src1_sel:DWORD
	v_mov_b32_e32 v41, 0
	v_mov_b32_e32 v95, 0
	s_mov_b32 s18, exec_lo
	v_cmpx_ne_u16_e32 0, v0
	s_cbranch_execz .LBB214_1418
; %bb.1411:                             ;   in Loop: Header=BB214_15 Depth=1
	v_bfrev_b32_e32 v94, 1
	v_mov_b32_e32 v95, 0
	s_mov_b32 s19, exec_lo
	v_cmpx_ne_u16_e32 0x80, v0
	s_cbranch_execz .LBB214_1417
; %bb.1412:                             ;   in Loop: Header=BB214_15 Depth=1
	v_mov_b32_e32 v94, 0x7f800001
	v_bfe_u32 v6, v8, 16, 7
	v_mov_b32_e32 v95, 0
	s_mov_b32 s20, exec_lo
	v_cmpx_ne_u32_e32 0x7f, v6
	s_cbranch_execz .LBB214_1416
; %bb.1413:                             ;   in Loop: Header=BB214_15 Depth=1
	v_mov_b32_e32 v0, 7
	v_lshrrev_b32_e32 v9, 3, v6
	v_cmp_gt_u32_e64 s5, 8, v6
	v_and_b32_sdwa v92, v8, v0 dst_sel:DWORD dst_unused:UNUSED_PAD src0_sel:WORD_1 src1_sel:DWORD
	v_mov_b32_e32 v6, v92
	v_mov_b32_e32 v7, v93
	s_and_saveexec_b32 s21, s5
; %bb.1414:                             ;   in Loop: Header=BB214_15 Depth=1
	v_ffbh_u32_e32 v6, v92
	v_min_u32_e32 v9, 32, v6
	v_subrev_nc_u32_e32 v6, 28, v9
	v_sub_nc_u32_e32 v9, 29, v9
	v_lshlrev_b64 v[6:7], v6, v[92:93]
	v_and_b32_e32 v6, 7, v6
; %bb.1415:                             ;   in Loop: Header=BB214_15 Depth=1
	s_or_b32 exec_lo, exec_lo, s21
	v_mov_b32_e32 v0, 24
	v_lshlrev_b32_e32 v6, 20, v6
	v_lshl_add_u32 v7, v9, 23, 0x3c000000
	v_lshlrev_b32_sdwa v0, v0, v8 dst_sel:DWORD dst_unused:UNUSED_PAD src0_sel:DWORD src1_sel:WORD_1
	v_and_b32_e32 v0, 0x80000000, v0
	v_or3_b32 v92, v6, v0, v7
	v_mov_b32_e32 v95, v93
	v_mov_b32_e32 v94, v92
.LBB214_1416:                           ;   in Loop: Header=BB214_15 Depth=1
	s_or_b32 exec_lo, exec_lo, s20
.LBB214_1417:                           ;   in Loop: Header=BB214_15 Depth=1
	s_or_b32 exec_lo, exec_lo, s19
.LBB214_1418:                           ;   in Loop: Header=BB214_15 Depth=1
	s_or_b32 exec_lo, exec_lo, s18
	s_mov_b32 s18, exec_lo
	v_cmpx_lt_u32_e32 0xffffff, v8
	s_cbranch_execz .LBB214_1426
; %bb.1419:                             ;   in Loop: Header=BB214_15 Depth=1
	v_mov_b32_e32 v16, v93
	v_mov_b32_e32 v0, 0x80
	;; [unrolled: 1-line block ×4, first 2 shown]
	v_cmp_ne_u32_sdwa s5, v8, v0 src0_sel:BYTE_3 src1_sel:DWORD
	s_and_saveexec_b32 s19, s5
	s_cbranch_execz .LBB214_1425
; %bb.1420:                             ;   in Loop: Header=BB214_15 Depth=1
	s_clause 0x1
	buffer_load_dword v40, off, s[0:3], s32 offset:192
	buffer_load_dword v41, off, s[0:3], s32 offset:196
	v_bfe_u32 v6, v8, 24, 7
	s_waitcnt vmcnt(1)
	v_mov_b32_e32 v40, v93
	s_mov_b32 s20, exec_lo
	s_waitcnt vmcnt(0)
	v_mov_b32_e32 v2, v41
	buffer_store_dword v1, off, s[0:3], s32 offset:192 ; 4-byte Folded Spill
	buffer_store_dword v2, off, s[0:3], s32 offset:196 ; 4-byte Folded Spill
	v_cmpx_ne_u32_e32 0x7f, v6
	s_cbranch_execz .LBB214_1424
; %bb.1421:                             ;   in Loop: Header=BB214_15 Depth=1
	v_mov_b32_e32 v0, 7
	v_lshrrev_b32_e32 v9, 3, v6
	v_cmp_gt_u32_e64 s5, 8, v6
	v_and_b32_sdwa v92, v8, v0 dst_sel:DWORD dst_unused:UNUSED_PAD src0_sel:BYTE_3 src1_sel:DWORD
	v_mov_b32_e32 v6, v92
	v_mov_b32_e32 v7, v93
	s_and_saveexec_b32 s21, s5
; %bb.1422:                             ;   in Loop: Header=BB214_15 Depth=1
	v_ffbh_u32_e32 v6, v92
	v_min_u32_e32 v9, 32, v6
	v_subrev_nc_u32_e32 v6, 28, v9
	v_sub_nc_u32_e32 v9, 29, v9
	v_lshlrev_b64 v[6:7], v6, v[92:93]
	v_and_b32_e32 v6, 7, v6
; %bb.1423:                             ;   in Loop: Header=BB214_15 Depth=1
	s_or_b32 exec_lo, exec_lo, s21
	v_mov_b32_e32 v0, 24
	v_lshlrev_b32_e32 v6, 20, v6
	v_lshl_add_u32 v7, v9, 23, 0x3c000000
	v_mov_b32_e32 v40, v93
	v_lshlrev_b32_sdwa v0, v0, v8 dst_sel:DWORD dst_unused:UNUSED_PAD src0_sel:DWORD src1_sel:BYTE_3
	v_and_b32_e32 v0, 0x80000000, v0
	v_or3_b32 v41, v6, v0, v7
.LBB214_1424:                           ;   in Loop: Header=BB214_15 Depth=1
	s_or_b32 exec_lo, exec_lo, s20
.LBB214_1425:                           ;   in Loop: Header=BB214_15 Depth=1
	s_or_b32 exec_lo, exec_lo, s19
.LBB214_1426:                           ;   in Loop: Header=BB214_15 Depth=1
	s_or_b32 exec_lo, exec_lo, s18
	flat_load_dword v8, v[126:127] offset:1536
	v_mov_b32_e32 v96, 0
	v_mov_b32_e32 v14, 0
	;; [unrolled: 1-line block ×4, first 2 shown]
	s_waitcnt vmcnt(0) lgkmcnt(0)
	v_cmp_ne_u16_sdwa s5, v8, v93 src0_sel:BYTE_0 src1_sel:DWORD
	s_and_saveexec_b32 s18, s5
	s_cbranch_execz .LBB214_1434
; %bb.1427:                             ;   in Loop: Header=BB214_15 Depth=1
	v_mov_b32_e32 v0, 0x80
	v_bfrev_b32_e32 v14, 1
	v_mov_b32_e32 v15, 0
	v_cmp_ne_u16_sdwa s5, v8, v0 src0_sel:BYTE_0 src1_sel:DWORD
	s_and_saveexec_b32 s19, s5
	s_cbranch_execz .LBB214_1433
; %bb.1428:                             ;   in Loop: Header=BB214_15 Depth=1
	v_mov_b32_e32 v14, 0x7f800001
	v_and_b32_e32 v6, 0x7f, v8
	v_mov_b32_e32 v15, 0
	s_mov_b32 s20, exec_lo
	v_cmpx_ne_u32_e32 0x7f, v6
	s_cbranch_execz .LBB214_1432
; %bb.1429:                             ;   in Loop: Header=BB214_15 Depth=1
	v_and_b32_e32 v92, 7, v8
	v_lshrrev_b32_e32 v9, 3, v6
	v_cmp_gt_u32_e64 s5, 8, v6
	v_mov_b32_e32 v6, v92
	v_mov_b32_e32 v7, v93
	s_and_saveexec_b32 s21, s5
; %bb.1430:                             ;   in Loop: Header=BB214_15 Depth=1
	v_ffbh_u32_e32 v6, v92
	v_min_u32_e32 v9, 32, v6
	v_subrev_nc_u32_e32 v6, 28, v9
	v_sub_nc_u32_e32 v9, 29, v9
	v_lshlrev_b64 v[6:7], v6, v[92:93]
	v_and_b32_e32 v6, 7, v6
; %bb.1431:                             ;   in Loop: Header=BB214_15 Depth=1
	s_or_b32 exec_lo, exec_lo, s21
	v_lshlrev_b32_e32 v0, 24, v8
	v_lshlrev_b32_e32 v6, 20, v6
	v_lshl_add_u32 v7, v9, 23, 0x3c000000
	v_and_b32_e32 v0, 0x80000000, v0
	v_or3_b32 v92, v6, v0, v7
	v_mov_b32_e32 v14, v92
	v_mov_b32_e32 v15, v93
.LBB214_1432:                           ;   in Loop: Header=BB214_15 Depth=1
	s_or_b32 exec_lo, exec_lo, s20
.LBB214_1433:                           ;   in Loop: Header=BB214_15 Depth=1
	s_or_b32 exec_lo, exec_lo, s19
.LBB214_1434:                           ;   in Loop: Header=BB214_15 Depth=1
	s_or_b32 exec_lo, exec_lo, s18
	v_cmp_ne_u16_sdwa s5, v8, v93 src0_sel:BYTE_1 src1_sel:DWORD
	s_and_saveexec_b32 s18, s5
	s_cbranch_execz .LBB214_1442
; %bb.1435:                             ;   in Loop: Header=BB214_15 Depth=1
	v_mov_b32_e32 v16, v93
	v_mov_b32_e32 v0, 0x80
	;; [unrolled: 1-line block ×4, first 2 shown]
	v_cmp_ne_u16_sdwa s5, v8, v0 src0_sel:BYTE_1 src1_sel:DWORD
	s_and_saveexec_b32 s19, s5
	s_cbranch_execz .LBB214_1441
; %bb.1436:                             ;   in Loop: Header=BB214_15 Depth=1
	s_clause 0x1
	buffer_load_dword v96, off, s[0:3], s32 offset:192
	buffer_load_dword v97, off, s[0:3], s32 offset:196
	v_mov_b32_e32 v0, 0xffff
	s_waitcnt vmcnt(1)
	v_mov_b32_e32 v96, v93
	s_mov_b32 s20, exec_lo
	v_and_b32_sdwa v0, v0, v8 dst_sel:DWORD dst_unused:UNUSED_PAD src0_sel:DWORD src1_sel:BYTE_1
	v_and_b32_e32 v6, 0x7f, v0
	s_waitcnt vmcnt(0)
	v_mov_b32_e32 v2, v97
	buffer_store_dword v1, off, s[0:3], s32 offset:192 ; 4-byte Folded Spill
	buffer_store_dword v2, off, s[0:3], s32 offset:196 ; 4-byte Folded Spill
	v_cmpx_ne_u32_e32 0x7f, v6
	s_cbranch_execz .LBB214_1440
; %bb.1437:                             ;   in Loop: Header=BB214_15 Depth=1
	v_and_b32_e32 v92, 7, v0
	v_lshrrev_b32_e32 v9, 3, v6
	v_cmp_gt_u32_e64 s5, 8, v6
	v_mov_b32_e32 v6, v92
	v_mov_b32_e32 v7, v93
	s_and_saveexec_b32 s21, s5
; %bb.1438:                             ;   in Loop: Header=BB214_15 Depth=1
	v_ffbh_u32_e32 v6, v92
	v_min_u32_e32 v9, 32, v6
	v_subrev_nc_u32_e32 v6, 28, v9
	v_sub_nc_u32_e32 v9, 29, v9
	v_lshlrev_b64 v[6:7], v6, v[92:93]
	v_and_b32_e32 v6, 7, v6
; %bb.1439:                             ;   in Loop: Header=BB214_15 Depth=1
	s_or_b32 exec_lo, exec_lo, s21
	v_lshlrev_b32_e32 v0, 16, v8
	v_lshlrev_b32_e32 v6, 20, v6
	v_lshl_add_u32 v7, v9, 23, 0x3c000000
	v_mov_b32_e32 v96, v93
	v_and_b32_e32 v0, 0x80000000, v0
	v_or3_b32 v97, v6, v0, v7
.LBB214_1440:                           ;   in Loop: Header=BB214_15 Depth=1
	s_or_b32 exec_lo, exec_lo, s20
.LBB214_1441:                           ;   in Loop: Header=BB214_15 Depth=1
	s_or_b32 exec_lo, exec_lo, s19
.LBB214_1442:                           ;   in Loop: Header=BB214_15 Depth=1
	s_or_b32 exec_lo, exec_lo, s18
	v_mov_b32_e32 v102, 0
	v_mov_b32_e32 v122, 0
	v_and_b32_sdwa v0, v8, v113 dst_sel:DWORD dst_unused:UNUSED_PAD src0_sel:WORD_1 src1_sel:DWORD
	v_mov_b32_e32 v103, 0
	v_mov_b32_e32 v123, 0
	s_mov_b32 s18, exec_lo
	v_cmpx_ne_u16_e32 0, v0
	s_cbranch_execz .LBB214_1450
; %bb.1443:                             ;   in Loop: Header=BB214_15 Depth=1
	v_bfrev_b32_e32 v122, 1
	v_mov_b32_e32 v123, 0
	s_mov_b32 s19, exec_lo
	v_cmpx_ne_u16_e32 0x80, v0
	s_cbranch_execz .LBB214_1449
; %bb.1444:                             ;   in Loop: Header=BB214_15 Depth=1
	v_mov_b32_e32 v122, 0x7f800001
	v_bfe_u32 v6, v8, 16, 7
	v_mov_b32_e32 v123, 0
	s_mov_b32 s20, exec_lo
	v_cmpx_ne_u32_e32 0x7f, v6
	s_cbranch_execz .LBB214_1448
; %bb.1445:                             ;   in Loop: Header=BB214_15 Depth=1
	v_mov_b32_e32 v0, 7
	v_lshrrev_b32_e32 v9, 3, v6
	v_cmp_gt_u32_e64 s5, 8, v6
	v_and_b32_sdwa v92, v8, v0 dst_sel:DWORD dst_unused:UNUSED_PAD src0_sel:WORD_1 src1_sel:DWORD
	v_mov_b32_e32 v6, v92
	v_mov_b32_e32 v7, v93
	s_and_saveexec_b32 s21, s5
; %bb.1446:                             ;   in Loop: Header=BB214_15 Depth=1
	v_ffbh_u32_e32 v6, v92
	v_min_u32_e32 v9, 32, v6
	v_subrev_nc_u32_e32 v6, 28, v9
	v_sub_nc_u32_e32 v9, 29, v9
	v_lshlrev_b64 v[6:7], v6, v[92:93]
	v_and_b32_e32 v6, 7, v6
; %bb.1447:                             ;   in Loop: Header=BB214_15 Depth=1
	s_or_b32 exec_lo, exec_lo, s21
	v_mov_b32_e32 v0, 24
	v_lshlrev_b32_e32 v6, 20, v6
	v_lshl_add_u32 v7, v9, 23, 0x3c000000
	v_lshlrev_b32_sdwa v0, v0, v8 dst_sel:DWORD dst_unused:UNUSED_PAD src0_sel:DWORD src1_sel:WORD_1
	v_and_b32_e32 v0, 0x80000000, v0
	v_or3_b32 v92, v6, v0, v7
	v_mov_b32_e32 v123, v93
	v_mov_b32_e32 v122, v92
.LBB214_1448:                           ;   in Loop: Header=BB214_15 Depth=1
	s_or_b32 exec_lo, exec_lo, s20
.LBB214_1449:                           ;   in Loop: Header=BB214_15 Depth=1
	s_or_b32 exec_lo, exec_lo, s19
.LBB214_1450:                           ;   in Loop: Header=BB214_15 Depth=1
	s_or_b32 exec_lo, exec_lo, s18
	s_mov_b32 s18, exec_lo
	v_cmpx_lt_u32_e32 0xffffff, v8
	s_cbranch_execz .LBB214_1458
; %bb.1451:                             ;   in Loop: Header=BB214_15 Depth=1
	v_mov_b32_e32 v16, v93
	v_mov_b32_e32 v0, 0x80
	;; [unrolled: 1-line block ×4, first 2 shown]
	v_cmp_ne_u32_sdwa s5, v8, v0 src0_sel:BYTE_3 src1_sel:DWORD
	s_and_saveexec_b32 s19, s5
	s_cbranch_execz .LBB214_1457
; %bb.1452:                             ;   in Loop: Header=BB214_15 Depth=1
	s_clause 0x1
	buffer_load_dword v102, off, s[0:3], s32 offset:192
	buffer_load_dword v103, off, s[0:3], s32 offset:196
	v_bfe_u32 v6, v8, 24, 7
	s_waitcnt vmcnt(1)
	v_mov_b32_e32 v102, v93
	s_mov_b32 s20, exec_lo
	s_waitcnt vmcnt(0)
	v_mov_b32_e32 v2, v103
	buffer_store_dword v1, off, s[0:3], s32 offset:192 ; 4-byte Folded Spill
	buffer_store_dword v2, off, s[0:3], s32 offset:196 ; 4-byte Folded Spill
	v_cmpx_ne_u32_e32 0x7f, v6
	s_cbranch_execz .LBB214_1456
; %bb.1453:                             ;   in Loop: Header=BB214_15 Depth=1
	v_mov_b32_e32 v0, 7
	v_lshrrev_b32_e32 v9, 3, v6
	v_cmp_gt_u32_e64 s5, 8, v6
	v_and_b32_sdwa v92, v8, v0 dst_sel:DWORD dst_unused:UNUSED_PAD src0_sel:BYTE_3 src1_sel:DWORD
	v_mov_b32_e32 v6, v92
	v_mov_b32_e32 v7, v93
	s_and_saveexec_b32 s21, s5
; %bb.1454:                             ;   in Loop: Header=BB214_15 Depth=1
	v_ffbh_u32_e32 v6, v92
	v_min_u32_e32 v9, 32, v6
	v_subrev_nc_u32_e32 v6, 28, v9
	v_sub_nc_u32_e32 v9, 29, v9
	v_lshlrev_b64 v[6:7], v6, v[92:93]
	v_and_b32_e32 v6, 7, v6
; %bb.1455:                             ;   in Loop: Header=BB214_15 Depth=1
	s_or_b32 exec_lo, exec_lo, s21
	v_mov_b32_e32 v0, 24
	v_lshlrev_b32_e32 v6, 20, v6
	v_lshl_add_u32 v7, v9, 23, 0x3c000000
	v_mov_b32_e32 v102, v93
	v_lshlrev_b32_sdwa v0, v0, v8 dst_sel:DWORD dst_unused:UNUSED_PAD src0_sel:DWORD src1_sel:BYTE_3
	v_and_b32_e32 v0, 0x80000000, v0
	v_or3_b32 v103, v6, v0, v7
.LBB214_1456:                           ;   in Loop: Header=BB214_15 Depth=1
	s_or_b32 exec_lo, exec_lo, s20
.LBB214_1457:                           ;   in Loop: Header=BB214_15 Depth=1
	s_or_b32 exec_lo, exec_lo, s19
.LBB214_1458:                           ;   in Loop: Header=BB214_15 Depth=1
	s_or_b32 exec_lo, exec_lo, s18
	flat_load_dword v8, v[126:127] offset:1540
	v_mov_b32_e32 v100, 0
	v_mov_b32_e32 v58, 0
	;; [unrolled: 1-line block ×4, first 2 shown]
	s_waitcnt vmcnt(0) lgkmcnt(0)
	v_cmp_ne_u16_sdwa s5, v8, v93 src0_sel:BYTE_0 src1_sel:DWORD
	s_and_saveexec_b32 s18, s5
	s_cbranch_execz .LBB214_1466
; %bb.1459:                             ;   in Loop: Header=BB214_15 Depth=1
	v_mov_b32_e32 v0, 0x80
	v_bfrev_b32_e32 v58, 1
	v_mov_b32_e32 v59, 0
	v_cmp_ne_u16_sdwa s5, v8, v0 src0_sel:BYTE_0 src1_sel:DWORD
	s_and_saveexec_b32 s19, s5
	s_cbranch_execz .LBB214_1465
; %bb.1460:                             ;   in Loop: Header=BB214_15 Depth=1
	v_mov_b32_e32 v58, 0x7f800001
	v_and_b32_e32 v6, 0x7f, v8
	v_mov_b32_e32 v59, 0
	s_mov_b32 s20, exec_lo
	v_cmpx_ne_u32_e32 0x7f, v6
	s_cbranch_execz .LBB214_1464
; %bb.1461:                             ;   in Loop: Header=BB214_15 Depth=1
	v_and_b32_e32 v92, 7, v8
	v_lshrrev_b32_e32 v9, 3, v6
	v_cmp_gt_u32_e64 s5, 8, v6
	v_mov_b32_e32 v6, v92
	v_mov_b32_e32 v7, v93
	s_and_saveexec_b32 s21, s5
; %bb.1462:                             ;   in Loop: Header=BB214_15 Depth=1
	v_ffbh_u32_e32 v6, v92
	v_min_u32_e32 v9, 32, v6
	v_subrev_nc_u32_e32 v6, 28, v9
	v_sub_nc_u32_e32 v9, 29, v9
	v_lshlrev_b64 v[6:7], v6, v[92:93]
	v_and_b32_e32 v6, 7, v6
; %bb.1463:                             ;   in Loop: Header=BB214_15 Depth=1
	s_or_b32 exec_lo, exec_lo, s21
	v_lshlrev_b32_e32 v0, 24, v8
	v_lshlrev_b32_e32 v6, 20, v6
	v_lshl_add_u32 v7, v9, 23, 0x3c000000
	v_and_b32_e32 v0, 0x80000000, v0
	v_or3_b32 v92, v6, v0, v7
	v_mov_b32_e32 v58, v92
	v_mov_b32_e32 v59, v93
.LBB214_1464:                           ;   in Loop: Header=BB214_15 Depth=1
	s_or_b32 exec_lo, exec_lo, s20
.LBB214_1465:                           ;   in Loop: Header=BB214_15 Depth=1
	s_or_b32 exec_lo, exec_lo, s19
.LBB214_1466:                           ;   in Loop: Header=BB214_15 Depth=1
	s_or_b32 exec_lo, exec_lo, s18
	v_cmp_ne_u16_sdwa s5, v8, v93 src0_sel:BYTE_1 src1_sel:DWORD
	s_and_saveexec_b32 s18, s5
	s_cbranch_execz .LBB214_1474
; %bb.1467:                             ;   in Loop: Header=BB214_15 Depth=1
	v_mov_b32_e32 v16, v93
	v_mov_b32_e32 v0, 0x80
	;; [unrolled: 1-line block ×4, first 2 shown]
	v_cmp_ne_u16_sdwa s5, v8, v0 src0_sel:BYTE_1 src1_sel:DWORD
	s_and_saveexec_b32 s19, s5
	s_cbranch_execz .LBB214_1473
; %bb.1468:                             ;   in Loop: Header=BB214_15 Depth=1
	s_clause 0x1
	buffer_load_dword v100, off, s[0:3], s32 offset:192
	buffer_load_dword v101, off, s[0:3], s32 offset:196
	v_mov_b32_e32 v0, 0xffff
	s_waitcnt vmcnt(1)
	v_mov_b32_e32 v100, v93
	s_mov_b32 s20, exec_lo
	v_and_b32_sdwa v0, v0, v8 dst_sel:DWORD dst_unused:UNUSED_PAD src0_sel:DWORD src1_sel:BYTE_1
	v_and_b32_e32 v6, 0x7f, v0
	s_waitcnt vmcnt(0)
	v_mov_b32_e32 v2, v101
	buffer_store_dword v1, off, s[0:3], s32 offset:192 ; 4-byte Folded Spill
	buffer_store_dword v2, off, s[0:3], s32 offset:196 ; 4-byte Folded Spill
	v_cmpx_ne_u32_e32 0x7f, v6
	s_cbranch_execz .LBB214_1472
; %bb.1469:                             ;   in Loop: Header=BB214_15 Depth=1
	v_and_b32_e32 v92, 7, v0
	v_lshrrev_b32_e32 v9, 3, v6
	v_cmp_gt_u32_e64 s5, 8, v6
	v_mov_b32_e32 v6, v92
	v_mov_b32_e32 v7, v93
	s_and_saveexec_b32 s21, s5
; %bb.1470:                             ;   in Loop: Header=BB214_15 Depth=1
	v_ffbh_u32_e32 v6, v92
	v_min_u32_e32 v9, 32, v6
	v_subrev_nc_u32_e32 v6, 28, v9
	v_sub_nc_u32_e32 v9, 29, v9
	v_lshlrev_b64 v[6:7], v6, v[92:93]
	v_and_b32_e32 v6, 7, v6
; %bb.1471:                             ;   in Loop: Header=BB214_15 Depth=1
	s_or_b32 exec_lo, exec_lo, s21
	v_lshlrev_b32_e32 v0, 16, v8
	v_lshlrev_b32_e32 v6, 20, v6
	v_lshl_add_u32 v7, v9, 23, 0x3c000000
	v_mov_b32_e32 v100, v93
	v_and_b32_e32 v0, 0x80000000, v0
	v_or3_b32 v101, v6, v0, v7
.LBB214_1472:                           ;   in Loop: Header=BB214_15 Depth=1
	s_or_b32 exec_lo, exec_lo, s20
.LBB214_1473:                           ;   in Loop: Header=BB214_15 Depth=1
	s_or_b32 exec_lo, exec_lo, s19
.LBB214_1474:                           ;   in Loop: Header=BB214_15 Depth=1
	s_or_b32 exec_lo, exec_lo, s18
	v_mov_b32_e32 v86, 0
	v_mov_b32_e32 v110, 0
	v_and_b32_sdwa v0, v8, v113 dst_sel:DWORD dst_unused:UNUSED_PAD src0_sel:WORD_1 src1_sel:DWORD
	v_mov_b32_e32 v87, 0
	v_mov_b32_e32 v111, 0
	s_mov_b32 s18, exec_lo
	v_cmpx_ne_u16_e32 0, v0
	s_cbranch_execz .LBB214_1482
; %bb.1475:                             ;   in Loop: Header=BB214_15 Depth=1
	v_bfrev_b32_e32 v110, 1
	v_mov_b32_e32 v111, 0
	s_mov_b32 s19, exec_lo
	v_cmpx_ne_u16_e32 0x80, v0
	s_cbranch_execz .LBB214_1481
; %bb.1476:                             ;   in Loop: Header=BB214_15 Depth=1
	v_mov_b32_e32 v110, 0x7f800001
	v_bfe_u32 v6, v8, 16, 7
	v_mov_b32_e32 v111, 0
	s_mov_b32 s20, exec_lo
	v_cmpx_ne_u32_e32 0x7f, v6
	s_cbranch_execz .LBB214_1480
; %bb.1477:                             ;   in Loop: Header=BB214_15 Depth=1
	v_mov_b32_e32 v0, 7
	v_lshrrev_b32_e32 v9, 3, v6
	v_cmp_gt_u32_e64 s5, 8, v6
	v_and_b32_sdwa v92, v8, v0 dst_sel:DWORD dst_unused:UNUSED_PAD src0_sel:WORD_1 src1_sel:DWORD
	v_mov_b32_e32 v6, v92
	v_mov_b32_e32 v7, v93
	s_and_saveexec_b32 s21, s5
; %bb.1478:                             ;   in Loop: Header=BB214_15 Depth=1
	v_ffbh_u32_e32 v6, v92
	v_min_u32_e32 v9, 32, v6
	v_subrev_nc_u32_e32 v6, 28, v9
	v_sub_nc_u32_e32 v9, 29, v9
	v_lshlrev_b64 v[6:7], v6, v[92:93]
	v_and_b32_e32 v6, 7, v6
; %bb.1479:                             ;   in Loop: Header=BB214_15 Depth=1
	s_or_b32 exec_lo, exec_lo, s21
	v_mov_b32_e32 v0, 24
	v_lshlrev_b32_e32 v6, 20, v6
	v_lshl_add_u32 v7, v9, 23, 0x3c000000
	v_lshlrev_b32_sdwa v0, v0, v8 dst_sel:DWORD dst_unused:UNUSED_PAD src0_sel:DWORD src1_sel:WORD_1
	v_and_b32_e32 v0, 0x80000000, v0
	v_or3_b32 v92, v6, v0, v7
	v_mov_b32_e32 v111, v93
	v_mov_b32_e32 v110, v92
.LBB214_1480:                           ;   in Loop: Header=BB214_15 Depth=1
	s_or_b32 exec_lo, exec_lo, s20
.LBB214_1481:                           ;   in Loop: Header=BB214_15 Depth=1
	s_or_b32 exec_lo, exec_lo, s19
.LBB214_1482:                           ;   in Loop: Header=BB214_15 Depth=1
	s_or_b32 exec_lo, exec_lo, s18
	s_mov_b32 s18, exec_lo
	v_cmpx_lt_u32_e32 0xffffff, v8
	s_cbranch_execz .LBB214_1490
; %bb.1483:                             ;   in Loop: Header=BB214_15 Depth=1
	v_mov_b32_e32 v16, v93
	v_mov_b32_e32 v0, 0x80
	v_mov_b32_e32 v87, v17
	v_mov_b32_e32 v86, v16
	v_cmp_ne_u32_sdwa s5, v8, v0 src0_sel:BYTE_3 src1_sel:DWORD
	s_and_saveexec_b32 s19, s5
	s_cbranch_execz .LBB214_1489
; %bb.1484:                             ;   in Loop: Header=BB214_15 Depth=1
	s_clause 0x1
	buffer_load_dword v86, off, s[0:3], s32 offset:192
	buffer_load_dword v87, off, s[0:3], s32 offset:196
	v_bfe_u32 v6, v8, 24, 7
	s_waitcnt vmcnt(1)
	v_mov_b32_e32 v86, v93
	s_mov_b32 s20, exec_lo
	s_waitcnt vmcnt(0)
	v_mov_b32_e32 v7, v87
	buffer_store_dword v6, off, s[0:3], s32 offset:192 ; 4-byte Folded Spill
	buffer_store_dword v7, off, s[0:3], s32 offset:196 ; 4-byte Folded Spill
	v_cmpx_ne_u32_e32 0x7f, v6
	s_cbranch_execz .LBB214_1488
; %bb.1485:                             ;   in Loop: Header=BB214_15 Depth=1
	v_mov_b32_e32 v0, 7
	v_lshrrev_b32_e32 v9, 3, v6
	v_cmp_gt_u32_e64 s5, 8, v6
	v_and_b32_sdwa v92, v8, v0 dst_sel:DWORD dst_unused:UNUSED_PAD src0_sel:BYTE_3 src1_sel:DWORD
	v_mov_b32_e32 v6, v92
	v_mov_b32_e32 v7, v93
	s_and_saveexec_b32 s21, s5
; %bb.1486:                             ;   in Loop: Header=BB214_15 Depth=1
	v_ffbh_u32_e32 v6, v92
	v_min_u32_e32 v9, 32, v6
	v_subrev_nc_u32_e32 v6, 28, v9
	v_sub_nc_u32_e32 v9, 29, v9
	v_lshlrev_b64 v[6:7], v6, v[92:93]
	v_and_b32_e32 v6, 7, v6
; %bb.1487:                             ;   in Loop: Header=BB214_15 Depth=1
	s_or_b32 exec_lo, exec_lo, s21
	v_mov_b32_e32 v0, 24
	v_lshlrev_b32_e32 v6, 20, v6
	v_lshl_add_u32 v7, v9, 23, 0x3c000000
	v_mov_b32_e32 v86, v93
	v_lshlrev_b32_sdwa v0, v0, v8 dst_sel:DWORD dst_unused:UNUSED_PAD src0_sel:DWORD src1_sel:BYTE_3
	v_and_b32_e32 v0, 0x80000000, v0
	v_or3_b32 v87, v6, v0, v7
.LBB214_1488:                           ;   in Loop: Header=BB214_15 Depth=1
	s_or_b32 exec_lo, exec_lo, s20
.LBB214_1489:                           ;   in Loop: Header=BB214_15 Depth=1
	s_or_b32 exec_lo, exec_lo, s19
.LBB214_1490:                           ;   in Loop: Header=BB214_15 Depth=1
	s_or_b32 exec_lo, exec_lo, s18
	flat_load_dword v30, v[126:127] offset:1544
	v_mov_b32_e32 v8, 0
	v_mov_b32_e32 v74, 0
	v_mov_b32_e32 v9, 0
	v_mov_b32_e32 v75, 0
	s_waitcnt vmcnt(0) lgkmcnt(0)
	v_cmp_ne_u16_sdwa s5, v30, v93 src0_sel:BYTE_0 src1_sel:DWORD
	s_and_saveexec_b32 s18, s5
	s_cbranch_execz .LBB214_1498
; %bb.1491:                             ;   in Loop: Header=BB214_15 Depth=1
	v_mov_b32_e32 v0, 0x80
	v_bfrev_b32_e32 v74, 1
	v_mov_b32_e32 v75, 0
	v_cmp_ne_u16_sdwa s5, v30, v0 src0_sel:BYTE_0 src1_sel:DWORD
	s_and_saveexec_b32 s19, s5
	s_cbranch_execz .LBB214_1497
; %bb.1492:                             ;   in Loop: Header=BB214_15 Depth=1
	v_mov_b32_e32 v74, 0x7f800001
	v_and_b32_e32 v6, 0x7f, v30
	v_mov_b32_e32 v75, 0
	s_mov_b32 s20, exec_lo
	v_cmpx_ne_u32_e32 0x7f, v6
	s_cbranch_execz .LBB214_1496
; %bb.1493:                             ;   in Loop: Header=BB214_15 Depth=1
	v_and_b32_e32 v92, 7, v30
	v_lshrrev_b32_e32 v12, 3, v6
	v_cmp_gt_u32_e64 s5, 8, v6
	v_mov_b32_e32 v6, v92
	v_mov_b32_e32 v7, v93
	s_and_saveexec_b32 s21, s5
; %bb.1494:                             ;   in Loop: Header=BB214_15 Depth=1
	v_ffbh_u32_e32 v6, v92
	v_min_u32_e32 v12, 32, v6
	v_subrev_nc_u32_e32 v6, 28, v12
	v_sub_nc_u32_e32 v12, 29, v12
	v_lshlrev_b64 v[6:7], v6, v[92:93]
	v_and_b32_e32 v6, 7, v6
; %bb.1495:                             ;   in Loop: Header=BB214_15 Depth=1
	s_or_b32 exec_lo, exec_lo, s21
	v_lshlrev_b32_e32 v0, 24, v30
	v_lshlrev_b32_e32 v6, 20, v6
	v_lshl_add_u32 v7, v12, 23, 0x3c000000
	v_and_b32_e32 v0, 0x80000000, v0
	v_or3_b32 v92, v6, v0, v7
	v_mov_b32_e32 v74, v92
	v_mov_b32_e32 v75, v93
.LBB214_1496:                           ;   in Loop: Header=BB214_15 Depth=1
	s_or_b32 exec_lo, exec_lo, s20
.LBB214_1497:                           ;   in Loop: Header=BB214_15 Depth=1
	s_or_b32 exec_lo, exec_lo, s19
.LBB214_1498:                           ;   in Loop: Header=BB214_15 Depth=1
	s_or_b32 exec_lo, exec_lo, s18
	v_cmp_ne_u16_sdwa s5, v30, v93 src0_sel:BYTE_1 src1_sel:DWORD
	s_and_saveexec_b32 s18, s5
	s_cbranch_execz .LBB214_1506
; %bb.1499:                             ;   in Loop: Header=BB214_15 Depth=1
	v_mov_b32_e32 v16, v93
	v_mov_b32_e32 v0, 0x80
	;; [unrolled: 1-line block ×3, first 2 shown]
	v_cmp_ne_u16_sdwa s5, v30, v0 src0_sel:BYTE_1 src1_sel:DWORD
	v_mov_b32_e32 v9, v17
	s_and_saveexec_b32 s19, s5
	s_cbranch_execz .LBB214_1505
; %bb.1500:                             ;   in Loop: Header=BB214_15 Depth=1
	s_clause 0x1
	buffer_load_dword v7, off, s[0:3], s32 offset:192
	buffer_load_dword v8, off, s[0:3], s32 offset:196
	v_mov_b32_e32 v0, 0xffff
	s_mov_b32 s20, exec_lo
	v_and_b32_sdwa v0, v0, v30 dst_sel:DWORD dst_unused:UNUSED_PAD src0_sel:DWORD src1_sel:BYTE_1
	v_and_b32_e32 v6, 0x7f, v0
	s_waitcnt vmcnt(0)
	v_mov_b32_e32 v9, v8
	v_mov_b32_e32 v8, v93
	;; [unrolled: 1-line block ×3, first 2 shown]
	buffer_store_dword v6, off, s[0:3], s32 offset:192 ; 4-byte Folded Spill
	buffer_store_dword v7, off, s[0:3], s32 offset:196 ; 4-byte Folded Spill
	v_cmpx_ne_u32_e32 0x7f, v6
	s_cbranch_execz .LBB214_1504
; %bb.1501:                             ;   in Loop: Header=BB214_15 Depth=1
	v_and_b32_e32 v92, 7, v0
	v_lshrrev_b32_e32 v8, 3, v6
	v_cmp_gt_u32_e64 s5, 8, v6
	v_mov_b32_e32 v6, v92
	v_mov_b32_e32 v7, v93
	s_and_saveexec_b32 s21, s5
; %bb.1502:                             ;   in Loop: Header=BB214_15 Depth=1
	v_ffbh_u32_e32 v6, v92
	v_min_u32_e32 v8, 32, v6
	v_subrev_nc_u32_e32 v6, 28, v8
	v_sub_nc_u32_e32 v8, 29, v8
	v_lshlrev_b64 v[6:7], v6, v[92:93]
	v_and_b32_e32 v6, 7, v6
; %bb.1503:                             ;   in Loop: Header=BB214_15 Depth=1
	s_or_b32 exec_lo, exec_lo, s21
	v_lshlrev_b32_e32 v0, 16, v30
	v_lshlrev_b32_e32 v6, 20, v6
	v_lshl_add_u32 v7, v8, 23, 0x3c000000
	v_mov_b32_e32 v8, v93
	v_and_b32_e32 v0, 0x80000000, v0
	v_or3_b32 v9, v6, v0, v7
.LBB214_1504:                           ;   in Loop: Header=BB214_15 Depth=1
	s_or_b32 exec_lo, exec_lo, s20
.LBB214_1505:                           ;   in Loop: Header=BB214_15 Depth=1
	s_or_b32 exec_lo, exec_lo, s19
.LBB214_1506:                           ;   in Loop: Header=BB214_15 Depth=1
	s_or_b32 exec_lo, exec_lo, s18
	v_mov_b32_e32 v6, 0
	v_mov_b32_e32 v88, 0
	v_and_b32_sdwa v0, v30, v113 dst_sel:DWORD dst_unused:UNUSED_PAD src0_sel:WORD_1 src1_sel:DWORD
	v_mov_b32_e32 v7, 0
	v_mov_b32_e32 v89, 0
	s_mov_b32 s18, exec_lo
	v_cmpx_ne_u16_e32 0, v0
	s_cbranch_execz .LBB214_1514
; %bb.1507:                             ;   in Loop: Header=BB214_15 Depth=1
	v_bfrev_b32_e32 v88, 1
	v_mov_b32_e32 v89, 0
	s_mov_b32 s19, exec_lo
	v_cmpx_ne_u16_e32 0x80, v0
	s_cbranch_execz .LBB214_1513
; %bb.1508:                             ;   in Loop: Header=BB214_15 Depth=1
	v_mov_b32_e32 v88, 0x7f800001
	v_bfe_u32 v13, v30, 16, 7
	v_mov_b32_e32 v89, 0
	s_mov_b32 s20, exec_lo
	v_cmpx_ne_u32_e32 0x7f, v13
	s_cbranch_execz .LBB214_1512
; %bb.1509:                             ;   in Loop: Header=BB214_15 Depth=1
	v_mov_b32_e32 v0, 7
	v_lshrrev_b32_e32 v12, 3, v13
	s_mov_b32 s21, exec_lo
	v_and_b32_sdwa v92, v30, v0 dst_sel:DWORD dst_unused:UNUSED_PAD src0_sel:WORD_1 src1_sel:DWORD
	v_mov_b32_e32 v78, v92
	v_mov_b32_e32 v79, v93
	v_cmpx_gt_u32_e32 8, v13
	s_cbranch_execz .LBB214_1511
; %bb.1510:                             ;   in Loop: Header=BB214_15 Depth=1
	v_ffbh_u32_e32 v12, v92
	v_mov_b32_e32 v0, v64
	v_mov_b32_e32 v1, v65
	v_min_u32_e32 v12, 32, v12
	v_subrev_nc_u32_e32 v13, 28, v12
	v_sub_nc_u32_e32 v12, 29, v12
	v_lshlrev_b64 v[64:65], v13, v[92:93]
	v_and_b32_e32 v78, 7, v64
	v_mov_b32_e32 v65, v1
	v_mov_b32_e32 v64, v0
.LBB214_1511:                           ;   in Loop: Header=BB214_15 Depth=1
	s_or_b32 exec_lo, exec_lo, s21
	v_mov_b32_e32 v0, 24
	v_lshlrev_b32_e32 v13, 20, v78
	v_lshl_add_u32 v12, v12, 23, 0x3c000000
	v_lshlrev_b32_sdwa v0, v0, v30 dst_sel:DWORD dst_unused:UNUSED_PAD src0_sel:DWORD src1_sel:WORD_1
	v_and_b32_e32 v0, 0x80000000, v0
	v_or3_b32 v92, v13, v0, v12
	v_mov_b32_e32 v88, v92
	v_mov_b32_e32 v89, v93
.LBB214_1512:                           ;   in Loop: Header=BB214_15 Depth=1
	s_or_b32 exec_lo, exec_lo, s20
.LBB214_1513:                           ;   in Loop: Header=BB214_15 Depth=1
	s_or_b32 exec_lo, exec_lo, s19
.LBB214_1514:                           ;   in Loop: Header=BB214_15 Depth=1
	s_or_b32 exec_lo, exec_lo, s18
	s_mov_b32 s18, exec_lo
	v_cmpx_lt_u32_e32 0xffffff, v30
	s_cbranch_execz .LBB214_1522
; %bb.1515:                             ;   in Loop: Header=BB214_15 Depth=1
	v_mov_b32_e32 v16, v93
	v_mov_b32_e32 v0, 0x80
	;; [unrolled: 1-line block ×3, first 2 shown]
	v_cmp_ne_u32_sdwa s5, v30, v0 src0_sel:BYTE_3 src1_sel:DWORD
	v_mov_b32_e32 v7, v17
	s_and_saveexec_b32 s19, s5
	s_cbranch_execz .LBB214_1521
; %bb.1516:                             ;   in Loop: Header=BB214_15 Depth=1
	s_clause 0x1
	buffer_load_dword v6, off, s[0:3], s32 offset:192
	buffer_load_dword v7, off, s[0:3], s32 offset:196
	v_mov_b32_e32 v1, v64
	v_mov_b32_e32 v2, v65
	;; [unrolled: 1-line block ×3, first 2 shown]
	v_bfe_u32 v13, v30, 24, 7
	s_mov_b32 s20, exec_lo
	s_waitcnt vmcnt(0)
	v_mov_b32_e32 v6, v7
	v_mov_b32_e32 v65, v7
	buffer_store_dword v5, off, s[0:3], s32 offset:192 ; 4-byte Folded Spill
	buffer_store_dword v6, off, s[0:3], s32 offset:196 ; 4-byte Folded Spill
	v_mov_b32_e32 v6, v64
	v_mov_b32_e32 v7, v65
	v_cmpx_ne_u32_e32 0x7f, v13
	s_cbranch_execz .LBB214_1520
; %bb.1517:                             ;   in Loop: Header=BB214_15 Depth=1
	v_mov_b32_e32 v0, 7
	v_lshrrev_b32_e32 v12, 3, v13
	s_mov_b32 s21, exec_lo
	v_and_b32_sdwa v92, v30, v0 dst_sel:DWORD dst_unused:UNUSED_PAD src0_sel:BYTE_3 src1_sel:DWORD
	v_mov_b32_e32 v6, v92
	v_mov_b32_e32 v7, v93
	v_cmpx_gt_u32_e32 8, v13
; %bb.1518:                             ;   in Loop: Header=BB214_15 Depth=1
	v_ffbh_u32_e32 v6, v92
	v_min_u32_e32 v12, 32, v6
	v_subrev_nc_u32_e32 v6, 28, v12
	v_sub_nc_u32_e32 v12, 29, v12
	v_lshlrev_b64 v[6:7], v6, v[92:93]
	v_and_b32_e32 v6, 7, v6
; %bb.1519:                             ;   in Loop: Header=BB214_15 Depth=1
	s_or_b32 exec_lo, exec_lo, s21
	v_mov_b32_e32 v0, 24
	v_lshlrev_b32_e32 v6, 20, v6
	v_lshl_add_u32 v7, v12, 23, 0x3c000000
	v_lshlrev_b32_sdwa v0, v0, v30 dst_sel:DWORD dst_unused:UNUSED_PAD src0_sel:DWORD src1_sel:BYTE_3
	v_and_b32_e32 v0, 0x80000000, v0
	v_or3_b32 v7, v6, v0, v7
	v_mov_b32_e32 v6, v93
.LBB214_1520:                           ;   in Loop: Header=BB214_15 Depth=1
	s_or_b32 exec_lo, exec_lo, s20
	v_mov_b32_e32 v65, v2
	v_mov_b32_e32 v64, v1
.LBB214_1521:                           ;   in Loop: Header=BB214_15 Depth=1
	s_or_b32 exec_lo, exec_lo, s19
.LBB214_1522:                           ;   in Loop: Header=BB214_15 Depth=1
	s_or_b32 exec_lo, exec_lo, s18
	flat_load_dword v30, v[126:127] offset:1548
	v_mov_b32_e32 v124, 0
	v_mov_b32_e32 v1, 0
	;; [unrolled: 1-line block ×4, first 2 shown]
	s_waitcnt vmcnt(0) lgkmcnt(0)
	v_cmp_ne_u16_sdwa s5, v30, v93 src0_sel:BYTE_0 src1_sel:DWORD
	s_and_saveexec_b32 s18, s5
	s_cbranch_execz .LBB214_1530
; %bb.1523:                             ;   in Loop: Header=BB214_15 Depth=1
	v_mov_b32_e32 v0, 0x80
	v_bfrev_b32_e32 v1, 1
	v_mov_b32_e32 v2, 0
	v_cmp_ne_u16_sdwa s5, v30, v0 src0_sel:BYTE_0 src1_sel:DWORD
	s_and_saveexec_b32 s19, s5
	s_cbranch_execz .LBB214_1529
; %bb.1524:                             ;   in Loop: Header=BB214_15 Depth=1
	v_mov_b32_e32 v1, 0x7f800001
	v_and_b32_e32 v13, 0x7f, v30
	v_mov_b32_e32 v2, 0
	s_mov_b32 s20, exec_lo
	v_cmpx_ne_u32_e32 0x7f, v13
	s_cbranch_execz .LBB214_1528
; %bb.1525:                             ;   in Loop: Header=BB214_15 Depth=1
	v_and_b32_e32 v92, 7, v30
	v_lshrrev_b32_e32 v12, 3, v13
	s_mov_b32 s21, exec_lo
	v_mov_b32_e32 v78, v92
	v_mov_b32_e32 v79, v93
	v_cmpx_gt_u32_e32 8, v13
	s_cbranch_execz .LBB214_1527
; %bb.1526:                             ;   in Loop: Header=BB214_15 Depth=1
	v_ffbh_u32_e32 v12, v92
	v_mov_b32_e32 v0, v64
	v_mov_b32_e32 v1, v65
	v_min_u32_e32 v12, 32, v12
	v_subrev_nc_u32_e32 v13, 28, v12
	v_sub_nc_u32_e32 v12, 29, v12
	v_lshlrev_b64 v[64:65], v13, v[92:93]
	v_and_b32_e32 v78, 7, v64
	v_mov_b32_e32 v65, v1
	v_mov_b32_e32 v64, v0
.LBB214_1527:                           ;   in Loop: Header=BB214_15 Depth=1
	s_or_b32 exec_lo, exec_lo, s21
	v_lshlrev_b32_e32 v0, 24, v30
	v_lshlrev_b32_e32 v13, 20, v78
	v_lshl_add_u32 v12, v12, 23, 0x3c000000
	v_and_b32_e32 v0, 0x80000000, v0
	v_or3_b32 v92, v13, v0, v12
	v_mov_b32_e32 v1, v92
	v_mov_b32_e32 v2, v93
.LBB214_1528:                           ;   in Loop: Header=BB214_15 Depth=1
	s_or_b32 exec_lo, exec_lo, s20
.LBB214_1529:                           ;   in Loop: Header=BB214_15 Depth=1
	s_or_b32 exec_lo, exec_lo, s19
.LBB214_1530:                           ;   in Loop: Header=BB214_15 Depth=1
	s_or_b32 exec_lo, exec_lo, s18
	v_cmp_ne_u16_sdwa s5, v30, v93 src0_sel:BYTE_1 src1_sel:DWORD
	s_and_saveexec_b32 s18, s5
	s_cbranch_execz .LBB214_1538
; %bb.1531:                             ;   in Loop: Header=BB214_15 Depth=1
	v_mov_b32_e32 v16, v93
	v_mov_b32_e32 v0, 0x80
	;; [unrolled: 1-line block ×4, first 2 shown]
	v_cmp_ne_u16_sdwa s5, v30, v0 src0_sel:BYTE_1 src1_sel:DWORD
	s_and_saveexec_b32 s19, s5
	s_cbranch_execz .LBB214_1537
; %bb.1532:                             ;   in Loop: Header=BB214_15 Depth=1
	s_clause 0x1
	buffer_load_dword v124, off, s[0:3], s32 offset:192
	buffer_load_dword v125, off, s[0:3], s32 offset:196
	v_mov_b32_e32 v0, 0xffff
	v_mov_b32_e32 v3, v64
	;; [unrolled: 1-line block ×3, first 2 shown]
	s_waitcnt vmcnt(1)
	v_mov_b32_e32 v124, v93
	s_mov_b32 s20, exec_lo
	v_and_b32_sdwa v0, v0, v30 dst_sel:DWORD dst_unused:UNUSED_PAD src0_sel:DWORD src1_sel:BYTE_1
	v_and_b32_e32 v13, 0x7f, v0
	s_waitcnt vmcnt(0)
	v_mov_b32_e32 v12, v125
	buffer_store_dword v11, off, s[0:3], s32 offset:192 ; 4-byte Folded Spill
	buffer_store_dword v12, off, s[0:3], s32 offset:196 ; 4-byte Folded Spill
	v_cmpx_ne_u32_e32 0x7f, v13
	s_cbranch_execz .LBB214_1536
; %bb.1533:                             ;   in Loop: Header=BB214_15 Depth=1
	v_and_b32_e32 v92, 7, v0
	v_lshrrev_b32_e32 v12, 3, v13
	s_mov_b32 s21, exec_lo
	v_mov_b32_e32 v78, v92
	v_mov_b32_e32 v79, v93
	v_cmpx_gt_u32_e32 8, v13
; %bb.1534:                             ;   in Loop: Header=BB214_15 Depth=1
	v_ffbh_u32_e32 v12, v92
	v_min_u32_e32 v12, 32, v12
	v_subrev_nc_u32_e32 v13, 28, v12
	v_sub_nc_u32_e32 v12, 29, v12
	v_lshlrev_b64 v[64:65], v13, v[92:93]
	v_and_b32_e32 v78, 7, v64
; %bb.1535:                             ;   in Loop: Header=BB214_15 Depth=1
	s_or_b32 exec_lo, exec_lo, s21
	v_lshlrev_b32_e32 v0, 16, v30
	v_lshlrev_b32_e32 v13, 20, v78
	v_lshl_add_u32 v12, v12, 23, 0x3c000000
	v_mov_b32_e32 v124, v93
	v_and_b32_e32 v0, 0x80000000, v0
	v_or3_b32 v125, v13, v0, v12
.LBB214_1536:                           ;   in Loop: Header=BB214_15 Depth=1
	s_or_b32 exec_lo, exec_lo, s20
	v_mov_b32_e32 v65, v4
	v_mov_b32_e32 v64, v3
.LBB214_1537:                           ;   in Loop: Header=BB214_15 Depth=1
	s_or_b32 exec_lo, exec_lo, s19
.LBB214_1538:                           ;   in Loop: Header=BB214_15 Depth=1
	s_or_b32 exec_lo, exec_lo, s18
	v_mov_b32_e32 v78, 0
	v_mov_b32_e32 v3, 0
	v_and_b32_sdwa v0, v30, v113 dst_sel:DWORD dst_unused:UNUSED_PAD src0_sel:WORD_1 src1_sel:DWORD
	v_mov_b32_e32 v79, 0
	v_mov_b32_e32 v4, 0
	s_mov_b32 s18, exec_lo
	v_cmpx_ne_u16_e32 0, v0
	s_cbranch_execz .LBB214_1546
; %bb.1539:                             ;   in Loop: Header=BB214_15 Depth=1
	v_bfrev_b32_e32 v3, 1
	v_mov_b32_e32 v4, 0
	s_mov_b32 s19, exec_lo
	v_cmpx_ne_u16_e32 0x80, v0
	s_cbranch_execz .LBB214_1545
; %bb.1540:                             ;   in Loop: Header=BB214_15 Depth=1
	v_mov_b32_e32 v3, 0x7f800001
	v_bfe_u32 v13, v30, 16, 7
	v_mov_b32_e32 v4, 0
	s_mov_b32 s20, exec_lo
	v_cmpx_ne_u32_e32 0x7f, v13
	s_cbranch_execz .LBB214_1544
; %bb.1541:                             ;   in Loop: Header=BB214_15 Depth=1
	v_mov_b32_e32 v0, 7
	v_lshrrev_b32_e32 v12, 3, v13
	s_mov_b32 s21, exec_lo
	v_and_b32_sdwa v92, v30, v0 dst_sel:DWORD dst_unused:UNUSED_PAD src0_sel:WORD_1 src1_sel:DWORD
	v_mov_b32_e32 v107, v93
	v_mov_b32_e32 v106, v92
	v_cmpx_gt_u32_e32 8, v13
	s_cbranch_execz .LBB214_1543
; %bb.1542:                             ;   in Loop: Header=BB214_15 Depth=1
	v_ffbh_u32_e32 v12, v92
	v_mov_b32_e32 v3, v64
	v_mov_b32_e32 v4, v65
	v_min_u32_e32 v12, 32, v12
	v_subrev_nc_u32_e32 v13, 28, v12
	v_sub_nc_u32_e32 v12, 29, v12
	v_lshlrev_b64 v[64:65], v13, v[92:93]
	v_and_b32_e32 v106, 7, v64
	v_mov_b32_e32 v65, v4
	v_mov_b32_e32 v64, v3
.LBB214_1543:                           ;   in Loop: Header=BB214_15 Depth=1
	s_or_b32 exec_lo, exec_lo, s21
	v_mov_b32_e32 v0, 24
	v_lshlrev_b32_e32 v13, 20, v106
	v_lshl_add_u32 v12, v12, 23, 0x3c000000
	v_lshlrev_b32_sdwa v0, v0, v30 dst_sel:DWORD dst_unused:UNUSED_PAD src0_sel:DWORD src1_sel:WORD_1
	v_and_b32_e32 v0, 0x80000000, v0
	v_or3_b32 v92, v13, v0, v12
	v_mov_b32_e32 v3, v92
	v_mov_b32_e32 v4, v93
.LBB214_1544:                           ;   in Loop: Header=BB214_15 Depth=1
	s_or_b32 exec_lo, exec_lo, s20
.LBB214_1545:                           ;   in Loop: Header=BB214_15 Depth=1
	s_or_b32 exec_lo, exec_lo, s19
.LBB214_1546:                           ;   in Loop: Header=BB214_15 Depth=1
	s_or_b32 exec_lo, exec_lo, s18
	s_mov_b32 s18, exec_lo
	v_cmpx_lt_u32_e32 0xffffff, v30
	s_cbranch_execz .LBB214_13
; %bb.1547:                             ;   in Loop: Header=BB214_15 Depth=1
	v_mov_b32_e32 v16, v93
	v_mov_b32_e32 v0, 0x80
	;; [unrolled: 1-line block ×4, first 2 shown]
	v_cmp_ne_u32_sdwa s5, v30, v0 src0_sel:BYTE_3 src1_sel:DWORD
	s_and_saveexec_b32 s19, s5
	s_cbranch_execz .LBB214_12
; %bb.1548:                             ;   in Loop: Header=BB214_15 Depth=1
	s_clause 0x1
	buffer_load_dword v78, off, s[0:3], s32 offset:192
	buffer_load_dword v79, off, s[0:3], s32 offset:196
	v_mov_b32_e32 v113, v65
	v_mov_b32_e32 v112, v64
	v_bfe_u32 v13, v30, 24, 7
	s_waitcnt vmcnt(1)
	v_mov_b32_e32 v78, v93
	s_mov_b32 s20, exec_lo
	s_waitcnt vmcnt(0)
	v_mov_b32_e32 v12, v79
	buffer_store_dword v11, off, s[0:3], s32 offset:192 ; 4-byte Folded Spill
	buffer_store_dword v12, off, s[0:3], s32 offset:196 ; 4-byte Folded Spill
	v_cmpx_ne_u32_e32 0x7f, v13
	s_cbranch_execz .LBB214_11
; %bb.1549:                             ;   in Loop: Header=BB214_15 Depth=1
	v_mov_b32_e32 v0, 7
	v_lshrrev_b32_e32 v12, 3, v13
	s_mov_b32 s21, exec_lo
	v_and_b32_sdwa v92, v30, v0 dst_sel:DWORD dst_unused:UNUSED_PAD src0_sel:BYTE_3 src1_sel:DWORD
	v_mov_b32_e32 v78, v92
	v_mov_b32_e32 v79, v93
	v_cmpx_gt_u32_e32 8, v13
	s_cbranch_execz .LBB214_10
; %bb.1550:                             ;   in Loop: Header=BB214_15 Depth=1
	v_ffbh_u32_e32 v12, v92
	v_min_u32_e32 v12, 32, v12
	v_subrev_nc_u32_e32 v13, 28, v12
	v_sub_nc_u32_e32 v12, 29, v12
	v_lshlrev_b64 v[64:65], v13, v[92:93]
	v_and_b32_e32 v78, 7, v64
	s_branch .LBB214_10
.LBB214_1551:
	s_or_b32 exec_lo, exec_lo, s17
	buffer_load_dword v12, off, s[0:3], s32 offset:2444 ; 4-byte Folded Reload
.LBB214_1552:
	s_or_b32 exec_lo, exec_lo, s13
	v_mbcnt_lo_u32_b32 v0, -1, 0
	v_max_f32_e32 v4, v13, v13
	s_waitcnt lgkmcnt(0)
	s_lshr_b32 s13, s7, 16
	v_xor_b32_e32 v1, 16, v0
	v_xor_b32_e32 v3, 8, v0
	v_cmp_gt_i32_e32 vcc_lo, 32, v1
	v_cndmask_b32_e32 v1, v0, v1, vcc_lo
	v_cmp_gt_i32_e32 vcc_lo, 32, v3
	v_lshlrev_b32_e32 v1, 2, v1
	v_cndmask_b32_e32 v3, v0, v3, vcc_lo
	ds_bpermute_b32 v2, v1, v13
	s_waitcnt lgkmcnt(0)
	v_max_f32_e32 v5, v2, v2
	v_lshlrev_b32_e32 v2, 2, v3
	v_max_f32_e32 v3, v4, v5
	v_xor_b32_e32 v5, 4, v0
	ds_bpermute_b32 v4, v2, v3
	v_cmp_gt_i32_e32 vcc_lo, 32, v5
	v_cndmask_b32_e32 v5, v0, v5, vcc_lo
	v_lshlrev_b32_e32 v30, 2, v5
	v_xor_b32_e32 v5, 2, v0
	v_cmp_gt_i32_e32 vcc_lo, 32, v5
	s_waitcnt lgkmcnt(0)
	v_max_f32_e32 v4, v4, v4
	v_cndmask_b32_e32 v5, v0, v5, vcc_lo
	v_max_f32_e32 v3, v3, v4
	v_lshlrev_b32_e32 v29, 2, v5
	v_xor_b32_e32 v5, 1, v0
	ds_bpermute_b32 v4, v30, v3
	v_cmp_gt_i32_e32 vcc_lo, 32, v5
	v_cndmask_b32_e32 v5, v0, v5, vcc_lo
	v_lshlrev_b32_e32 v6, 2, v5
	s_waitcnt lgkmcnt(0)
	v_max_f32_e32 v4, v4, v4
	v_max_f32_e32 v3, v3, v4
	ds_bpermute_b32 v4, v29, v3
	s_waitcnt lgkmcnt(0)
	v_max_f32_e32 v4, v4, v4
	v_max_f32_e32 v0, v3, v4
	buffer_load_dword v3, off, s[0:3], s32 offset:1576 ; 4-byte Folded Reload
	ds_bpermute_b32 v4, v6, v0
	s_waitcnt vmcnt(0)
	v_cmp_eq_u32_e32 vcc_lo, 0, v3
	buffer_load_dword v3, off, s[0:3], s32 offset:2388 ; 4-byte Folded Reload
	s_waitcnt vmcnt(0)
	v_lshlrev_b32_e32 v3, 2, v3
	s_and_saveexec_b32 s5, vcc_lo
	s_cbranch_execz .LBB214_1554
; %bb.1553:
	s_waitcnt lgkmcnt(0)
	v_max_f32_e32 v4, v4, v4
	v_max_f32_e32 v0, v0, v0
	;; [unrolled: 1-line block ×3, first 2 shown]
	ds_write_b32 v3, v0 offset:768
.LBB214_1554:
	s_or_b32 exec_lo, exec_lo, s5
	buffer_load_dword v0, off, s[0:3], s32 offset:1576 ; 4-byte Folded Reload
	s_waitcnt vmcnt(0) lgkmcnt(0)
	s_waitcnt_vscnt null, 0x0
	s_barrier
	buffer_gl0_inv
	v_cmp_gt_u32_e64 s5, 4, v0
	v_mov_b32_e32 v0, 0xff7fffff
	s_and_saveexec_b32 s6, s5
; %bb.1555:
	ds_read_b32 v0, v12 offset:768
; %bb.1556:
	s_or_b32 exec_lo, exec_lo, s6
	s_waitcnt lgkmcnt(0)
	ds_bpermute_b32 v4, v29, v0
	v_max_f32_e32 v0, v0, v0
	buffer_load_dword v7, off, s[0:3], s32 offset:200 ; 4-byte Folded Reload
	s_waitcnt lgkmcnt(0)
	v_max_f32_e32 v4, v4, v4
	v_max_f32_e32 v0, v0, v4
	ds_bpermute_b32 v4, v6, v0
	s_waitcnt lgkmcnt(0)
	v_max_f32_e32 v4, v4, v4
	v_max_f32_e32 v0, v0, v4
	v_mov_b32_e32 v4, 0
	ds_bpermute_b32 v5, v4, v0
	buffer_load_dword v0, off, s[0:3], s32 offset:204 ; 4-byte Folded Reload
	s_waitcnt vmcnt(0)
	v_lshlrev_b32_e32 v0, 5, v0
	v_min_i32_e32 v0, v0, v7
	buffer_load_dword v7, off, s[0:3], s32 offset:1580 ; 4-byte Folded Reload
	s_waitcnt vmcnt(0)
	v_cmp_lt_i32_e64 s6, v7, v0
	s_and_saveexec_b32 s15, s6
	s_cbranch_execz .LBB214_1560
; %bb.1557:
	buffer_load_dword v8, off, s[0:3], s32 offset:1580 ; 4-byte Folded Reload
	s_load_dword s7, s[8:9], 0x0
	v_mov_b32_e32 v4, 0
	s_mov_b32 s17, 0
	s_waitcnt vmcnt(0) lgkmcnt(0)
	v_lshl_add_u32 v7, v8, 2, s7
	.p2align	6
.LBB214_1558:                           ; =>This Inner Loop Header: Depth=1
	ds_read_b32 v9, v7
	v_add_nc_u32_e32 v8, 0x80, v8
	v_cmp_ge_i32_e64 s7, v8, v0
	s_or_b32 s17, s7, s17
	s_waitcnt lgkmcnt(0)
	v_sub_f32_e32 v9, v9, v5
	v_mul_f32_e32 v9, 0x3fb8aa3b, v9
	v_exp_f32_e32 v9, v9
	ds_write_b32 v7, v9
	v_add_f32_e32 v4, v4, v9
	v_add_nc_u32_e32 v7, 0x200, v7
	s_andn2_b32 exec_lo, exec_lo, s17
	s_cbranch_execnz .LBB214_1558
; %bb.1559:
	s_or_b32 exec_lo, exec_lo, s17
.LBB214_1560:
	s_or_b32 exec_lo, exec_lo, s15
	ds_bpermute_b32 v1, v1, v4
	s_waitcnt lgkmcnt(0)
	v_add_f32_e32 v1, v4, v1
	ds_bpermute_b32 v2, v2, v1
	s_waitcnt lgkmcnt(0)
	v_add_f32_e32 v1, v1, v2
	;; [unrolled: 3-line block ×5, first 2 shown]
	s_and_saveexec_b32 s7, vcc_lo
; %bb.1561:
	ds_write_b32 v3, v1 offset:784
; %bb.1562:
	s_or_b32 exec_lo, exec_lo, s7
	s_waitcnt lgkmcnt(0)
	s_barrier
	buffer_gl0_inv
	s_and_saveexec_b32 s7, s5
; %bb.1563:
	ds_read_b32 v1, v12 offset:784
; %bb.1564:
	s_or_b32 exec_lo, exec_lo, s7
	s_waitcnt lgkmcnt(0)
	ds_bpermute_b32 v2, v29, v1
	s_waitcnt lgkmcnt(0)
	v_add_f32_e32 v1, v1, v2
	ds_bpermute_b32 v2, v6, v1
	s_waitcnt lgkmcnt(0)
	v_add_f32_e32 v1, v1, v2
	v_mov_b32_e32 v2, 0
	ds_bpermute_b32 v1, v2, v1
	s_and_saveexec_b32 s5, s6
	s_cbranch_execz .LBB214_1567
; %bb.1565:
	s_waitcnt lgkmcnt(0)
	v_add_f32_e32 v2, 0x358637bd, v1
	s_load_dword s6, s[8:9], 0x0
	v_div_scale_f32 v1, null, v2, v2, 1.0
	v_div_scale_f32 v5, vcc_lo, 1.0, v2, 1.0
	v_rcp_f32_e32 v3, v1
	v_fma_f32 v4, -v1, v3, 1.0
	v_fmac_f32_e32 v3, v4, v3
	v_mul_f32_e32 v4, v5, v3
	v_fma_f32 v7, -v1, v4, v5
	v_fmac_f32_e32 v4, v7, v3
	v_fma_f32 v1, -v1, v4, v5
	v_div_fmas_f32 v3, v1, v3, v4
	buffer_load_dword v4, off, s[0:3], s32 offset:1580 ; 4-byte Folded Reload
	v_div_fixup_f32 v2, v3, v2, 1.0
	s_waitcnt vmcnt(0) lgkmcnt(0)
	v_lshl_add_u32 v1, v4, 2, s6
	v_mov_b32_e32 v3, v4
	s_mov_b32 s6, 0
.LBB214_1566:                           ; =>This Inner Loop Header: Depth=1
	ds_read_b32 v4, v1
	v_add_nc_u32_e32 v3, 0x80, v3
	v_cmp_ge_i32_e32 vcc_lo, v3, v0
	s_or_b32 s6, vcc_lo, s6
	s_waitcnt lgkmcnt(0)
	v_mul_f32_e32 v4, v2, v4
	ds_write_b32 v1, v4
	v_add_nc_u32_e32 v1, 0x200, v1
	s_andn2_b32 exec_lo, exec_lo, s6
	s_cbranch_execnz .LBB214_1566
.LBB214_1567:
	s_or_b32 exec_lo, exec_lo, s5
	buffer_load_dword v0, off, s[0:3], s32 offset:1580 ; 4-byte Folded Reload
	v_mov_b32_e32 v31, 0
	v_mov_b32_e32 v32, 0
	;; [unrolled: 1-line block ×48, first 2 shown]
	s_waitcnt vmcnt(0) lgkmcnt(0)
	s_barrier
	buffer_gl0_inv
	v_and_b32_e32 v102, 7, v0
	s_and_saveexec_b32 s5, s4
	s_cbranch_execz .LBB214_3205
; %bb.1568:
	s_clause 0x1
	buffer_load_dword v0, off, s[0:3], s32 offset:2392
	buffer_load_dword v1, off, s[0:3], s32 offset:2420
	v_mov_b32_e32 v5, 0
	v_mov_b32_e32 v10, 0
	;; [unrolled: 1-line block ×3, first 2 shown]
	v_bfrev_b32_e32 v12, 1
	v_mov_b32_e32 v48, 0xffff
	v_mov_b32_e32 v14, 0x7f800001
	;; [unrolled: 1-line block ×8, first 2 shown]
	s_mov_b32 s6, 0
	s_waitcnt vmcnt(0)
	v_max_i32_e32 v40, v0, v1
	s_clause 0x2
	buffer_load_dword v0, off, s[0:3], s32 offset:1580
	buffer_load_dword v2, off, s[0:3], s32 offset:2432
	buffer_load_dword v3, off, s[0:3], s32 offset:2412
	v_cvt_f32_u32_e32 v1, v40
	v_rcp_iflag_f32_e32 v1, v1
	v_mul_f32_e32 v1, 0x4f7ffffe, v1
	v_cvt_u32_f32_e32 v1, v1
	s_waitcnt vmcnt(2)
	v_lshlrev_b32_e32 v0, 2, v0
	s_waitcnt vmcnt(0)
	v_add_co_u32 v2, vcc_lo, v2, v3
	s_clause 0x1
	buffer_load_dword v3, off, s[0:3], s32 offset:2428
	buffer_load_dword v4, off, s[0:3], s32 offset:2424
	s_waitcnt vmcnt(0)
	v_add_co_ci_u32_e64 v3, null, v3, v4, vcc_lo
	buffer_store_dword v2, off, s[0:3], s32 offset:1360 ; 4-byte Folded Spill
	buffer_store_dword v3, off, s[0:3], s32 offset:1364 ; 4-byte Folded Spill
	;; [unrolled: 1-line block ×3, first 2 shown]
	v_mov_b32_e32 v5, 0
	v_mov_b32_e32 v4, 0
	buffer_store_dword v102, off, s[0:3], s32 offset:1380 ; 4-byte Folded Spill
	buffer_load_dword v3, off, s[0:3], s32 offset:2416 ; 4-byte Folded Reload
	v_lshlrev_b32_e32 v2, 4, v102
	buffer_store_dword v5, off, s[0:3], s32 offset:1016 ; 4-byte Folded Spill
	v_mov_b32_e32 v5, 0
	buffer_store_dword v4, off, s[0:3], s32 offset:984 ; 4-byte Folded Spill
	v_mov_b32_e32 v4, 0
	;; [unrolled: 2-line block ×5, first 2 shown]
	buffer_store_dword v4, off, s[0:3], s32 offset:1000 ; 4-byte Folded Spill
	v_sub_nc_u32_e32 v4, 0, v40
	buffer_store_dword v5, off, s[0:3], s32 offset:1040 ; 4-byte Folded Spill
	v_mov_b32_e32 v5, 0
	v_mul_lo_u32 v4, v4, v1
	buffer_store_dword v5, off, s[0:3], s32 offset:1048 ; 4-byte Folded Spill
	v_mov_b32_e32 v5, 0
	buffer_store_dword v5, off, s[0:3], s32 offset:1056 ; 4-byte Folded Spill
	v_mov_b32_e32 v5, 0
	buffer_store_dword v5, off, s[0:3], s32 offset:1064 ; 4-byte Folded Spill
	v_and_b32_e32 v5, 28, v0
	buffer_store_dword v5, off, s[0:3], s32 offset:1368 ; 4-byte Folded Spill
	v_and_b32_e32 v5, 0x7c, v0
	v_or_b32_e32 v0, 0xf80, v0
	buffer_store_dword v5, off, s[0:3], s32 offset:1372 ; 4-byte Folded Spill
	buffer_store_dword v0, off, s[0:3], s32 offset:1376 ; 4-byte Folded Spill
	v_mul_hi_u32 v0, v1, v4
	s_clause 0x2
	buffer_load_dword v4, off, s[0:3], s32 offset:2404
	buffer_load_dword v5, off, s[0:3], s32 offset:2408
	;; [unrolled: 1-line block ×3, first 2 shown]
	v_add_nc_u32_e32 v0, v1, v0
	buffer_store_dword v0, off, s[0:3], s32 offset:1320 ; 4-byte Folded Spill
	v_mov_b32_e32 v0, 0
	buffer_store_dword v0, off, s[0:3], s32 offset:1072 ; 4-byte Folded Spill
	v_mov_b32_e32 v0, 0
	;; [unrolled: 2-line block ×31, first 2 shown]
	buffer_store_dword v0, off, s[0:3], s32 offset:1304 ; 4-byte Folded Spill
	s_waitcnt vmcnt(3)
	v_and_b32_e32 v3, 0x7c, v3
	s_waitcnt vmcnt(2)
	v_add_co_u32 v3, vcc_lo, v3, v4
	s_waitcnt vmcnt(0)
	v_lshl_or_b32 v57, v59, 7, v2
	buffer_load_dword v2, off, s[0:3], s32 offset:2400 ; 4-byte Folded Reload
	v_add_co_ci_u32_e64 v4, null, 0, v5, vcc_lo
	v_mov_b32_e32 v5, 0
	s_waitcnt vmcnt(0)
	v_add_co_u32 v15, vcc_lo, v2, v3
	buffer_load_dword v2, off, s[0:3], s32 offset:2396 ; 4-byte Folded Reload
	s_waitcnt vmcnt(0)
	v_add_co_ci_u32_e64 v16, null, v2, v4, vcc_lo
	buffer_load_dword v2, off, s[0:3], s32 offset:208 ; 4-byte Folded Reload
	s_branch .LBB214_1571
.LBB214_1569:                           ;   in Loop: Header=BB214_1571 Depth=1
	s_or_b32 exec_lo, exec_lo, s4
	buffer_load_dword v22, off, s[0:3], s32 offset:992 ; 4-byte Folded Reload
	v_mul_f32_e32 v13, v3, v91
	v_mul_f32_e32 v17, v3, v45
	;; [unrolled: 1-line block ×5, first 2 shown]
	v_fmac_f32_e32 v13, v2, v78
	v_fmac_f32_e32 v17, v2, v44
	v_fmac_f32_e32 v18, v2, v75
	v_fmac_f32_e32 v19, v2, v60
	v_fmac_f32_e32 v20, v2, v116
	v_fmac_f32_e32 v13, v4, v24
	v_fmac_f32_e32 v17, v4, v42
	v_fmac_f32_e32 v18, v4, v63
	v_fmac_f32_e32 v19, v4, v119
	v_fmac_f32_e32 v20, v4, v101
	v_fmac_f32_e32 v13, v5, v23
	v_fmac_f32_e32 v17, v5, v77
	v_fmac_f32_e32 v18, v5, v62
	v_fmac_f32_e32 v19, v5, v118
	v_fmac_f32_e32 v20, v5, v85
	v_mul_f32_e32 v21, v3, v113
	v_mul_f32_e32 v7, v3, v7
	buffer_load_dword v23, off, s[0:3], s32 offset:496 ; 4-byte Folded Reload
	v_fmac_f32_e32 v21, v2, v112
	v_fmac_f32_e32 v7, v2, v56
	;; [unrolled: 1-line block ×6, first 2 shown]
	s_waitcnt vmcnt(1)
	v_add_f32_e32 v22, v22, v13
	buffer_load_dword v13, off, s[0:3], s32 offset:1000 ; 4-byte Folded Reload
	buffer_store_dword v22, off, s[0:3], s32 offset:992 ; 4-byte Folded Spill
	buffer_load_dword v22, off, s[0:3], s32 offset:1348 ; 4-byte Folded Reload
	s_waitcnt vmcnt(1)
	v_add_f32_e32 v13, v13, v17
	v_mul_f32_e32 v17, v3, v97
	buffer_store_dword v13, off, s[0:3], s32 offset:1000 ; 4-byte Folded Spill
	buffer_load_dword v13, off, s[0:3], s32 offset:1008 ; 4-byte Folded Reload
	v_fmac_f32_e32 v17, v2, v96
	v_fmac_f32_e32 v17, v4, v87
	;; [unrolled: 1-line block ×3, first 2 shown]
	s_waitcnt vmcnt(0)
	v_add_f32_e32 v13, v13, v18
	buffer_load_dword v18, off, s[0:3], s32 offset:1016 ; 4-byte Folded Reload
	buffer_store_dword v13, off, s[0:3], s32 offset:1008 ; 4-byte Folded Spill
	v_mul_f32_e32 v13, v3, v100
	v_fmac_f32_e32 v13, v2, v114
	v_fmac_f32_e32 v13, v4, v98
	;; [unrolled: 1-line block ×3, first 2 shown]
	s_waitcnt vmcnt(0)
	v_add_f32_e32 v18, v18, v19
	v_mul_f32_e32 v19, v3, v65
	buffer_store_dword v18, off, s[0:3], s32 offset:1016 ; 4-byte Folded Spill
	buffer_load_dword v18, off, s[0:3], s32 offset:1024 ; 4-byte Folded Reload
	v_fmac_f32_e32 v19, v2, v64
	v_fmac_f32_e32 v19, v4, v55
	v_fmac_f32_e32 v19, v5, v54
	s_waitcnt vmcnt(0)
	v_add_f32_e32 v18, v18, v20
	v_mul_f32_e32 v20, v3, v39
	buffer_store_dword v18, off, s[0:3], s32 offset:1024 ; 4-byte Folded Spill
	buffer_load_dword v18, off, s[0:3], s32 offset:1032 ; 4-byte Folded Reload
	v_fmac_f32_e32 v20, v2, v38
	v_fmac_f32_e32 v20, v4, v51
	;; [unrolled: 1-line block ×3, first 2 shown]
	s_waitcnt vmcnt(0)
	v_add_f32_e32 v18, v18, v21
	buffer_load_dword v21, off, s[0:3], s32 offset:1056 ; 4-byte Folded Reload
	buffer_store_dword v18, off, s[0:3], s32 offset:1032 ; 4-byte Folded Spill
	buffer_load_dword v18, off, s[0:3], s32 offset:1040 ; 4-byte Folded Reload
	s_waitcnt vmcnt(0)
	v_add_f32_e32 v18, v18, v13
	buffer_load_dword v13, off, s[0:3], s32 offset:1048 ; 4-byte Folded Reload
	buffer_store_dword v18, off, s[0:3], s32 offset:1040 ; 4-byte Folded Spill
	v_mul_f32_e32 v18, v3, v68
	v_fmac_f32_e32 v18, v2, v115
	v_fmac_f32_e32 v18, v4, v66
	v_fmac_f32_e32 v18, v5, v35
	s_waitcnt vmcnt(0)
	v_add_f32_e32 v13, v13, v17
	v_mul_f32_e32 v17, v3, v81
	buffer_store_dword v13, off, s[0:3], s32 offset:1048 ; 4-byte Folded Spill
	v_mul_f32_e32 v13, v3, v84
	v_fmac_f32_e32 v17, v2, v80
	v_fmac_f32_e32 v13, v2, v72
	;; [unrolled: 1-line block ×6, first 2 shown]
	v_add_f32_e32 v21, v21, v13
	buffer_load_dword v13, off, s[0:3], s32 offset:1064 ; 4-byte Folded Reload
	buffer_store_dword v21, off, s[0:3], s32 offset:1056 ; 4-byte Folded Spill
	buffer_load_dword v21, off, s[0:3], s32 offset:1344 ; 4-byte Folded Reload
	s_waitcnt vmcnt(1)
	v_add_f32_e32 v13, v13, v17
	v_mul_f32_e32 v17, v3, v37
	buffer_store_dword v13, off, s[0:3], s32 offset:1064 ; 4-byte Folded Spill
	buffer_load_dword v13, off, s[0:3], s32 offset:1072 ; 4-byte Folded Reload
	v_fmac_f32_e32 v17, v2, v36
	v_fmac_f32_e32 v17, v4, v34
	;; [unrolled: 1-line block ×3, first 2 shown]
	s_waitcnt vmcnt(0)
	v_add_f32_e32 v13, v13, v18
	v_mul_f32_e32 v18, v3, v67
	buffer_store_dword v13, off, s[0:3], s32 offset:1072 ; 4-byte Folded Spill
	buffer_load_dword v13, off, s[0:3], s32 offset:1080 ; 4-byte Folded Reload
	v_fmac_f32_e32 v18, v2, v49
	v_fmac_f32_e32 v18, v4, v58
	;; [unrolled: 1-line block ×3, first 2 shown]
	buffer_load_dword v8, off, s[0:3], s32 offset:1096 ; 4-byte Folded Reload
	s_waitcnt vmcnt(1)
	v_add_f32_e32 v13, v13, v19
	v_mul_f32_e32 v19, v3, v47
	buffer_store_dword v13, off, s[0:3], s32 offset:1080 ; 4-byte Folded Spill
	buffer_load_dword v13, off, s[0:3], s32 offset:1088 ; 4-byte Folded Reload
	v_fmac_f32_e32 v19, v2, v46
	v_fmac_f32_e32 v19, v4, v28
	;; [unrolled: 1-line block ×3, first 2 shown]
	s_waitcnt vmcnt(0)
	v_add_f32_e32 v13, v13, v20
	buffer_load_dword v20, off, s[0:3], s32 offset:656 ; 4-byte Folded Reload
	buffer_store_dword v13, off, s[0:3], s32 offset:1088 ; 4-byte Folded Spill
	v_mul_f32_e32 v13, v3, v33
	v_fmac_f32_e32 v13, v2, v32
	v_fmac_f32_e32 v13, v4, v99
	;; [unrolled: 1-line block ×3, first 2 shown]
	v_add_f32_e32 v8, v8, v13
	v_mul_f32_e32 v13, v3, v120
	buffer_store_dword v8, off, s[0:3], s32 offset:1096 ; 4-byte Folded Spill
	buffer_load_dword v8, off, s[0:3], s32 offset:1104 ; 4-byte Folded Reload
	v_fmac_f32_e32 v13, v2, v111
	v_fmac_f32_e32 v13, v4, v110
	v_fmac_f32_e32 v13, v5, v109
	s_waitcnt vmcnt(0)
	v_add_f32_e32 v8, v8, v17
	v_mul_f32_e32 v17, v3, v108
	buffer_store_dword v8, off, s[0:3], s32 offset:1104 ; 4-byte Folded Spill
	buffer_load_dword v8, off, s[0:3], s32 offset:1112 ; 4-byte Folded Reload
	v_fmac_f32_e32 v17, v2, v107
	v_fmac_f32_e32 v17, v4, v106
	v_fmac_f32_e32 v17, v5, v105
	s_waitcnt vmcnt(0)
	;; [unrolled: 8-line block ×3, first 2 shown]
	v_add_f32_e32 v8, v8, v7
	buffer_load_dword v7, off, s[0:3], s32 offset:1128 ; 4-byte Folded Reload
	buffer_store_dword v8, off, s[0:3], s32 offset:1120 ; 4-byte Folded Spill
	v_mul_f32_e32 v8, v3, v124
	v_fmac_f32_e32 v8, v2, v123
	v_fmac_f32_e32 v8, v4, v122
	;; [unrolled: 1-line block ×3, first 2 shown]
	s_waitcnt vmcnt(0)
	v_add_f32_e32 v7, v7, v19
	buffer_load_dword v19, off, s[0:3], s32 offset:1136 ; 4-byte Folded Reload
	buffer_store_dword v7, off, s[0:3], s32 offset:1128 ; 4-byte Folded Spill
	v_mul_f32_e32 v7, v3, v31
	v_fmac_f32_e32 v7, v2, v127
	v_fmac_f32_e32 v7, v4, v126
	;; [unrolled: 1-line block ×3, first 2 shown]
	s_waitcnt vmcnt(0)
	v_add_f32_e32 v19, v19, v7
	buffer_load_dword v7, off, s[0:3], s32 offset:1144 ; 4-byte Folded Reload
	buffer_store_dword v19, off, s[0:3], s32 offset:1136 ; 4-byte Folded Spill
	buffer_load_dword v19, off, s[0:3], s32 offset:848 ; 4-byte Folded Reload
	s_waitcnt vmcnt(1)
	v_add_f32_e32 v7, v7, v8
	buffer_load_dword v8, off, s[0:3], s32 offset:976 ; 4-byte Folded Reload
	buffer_store_dword v7, off, s[0:3], s32 offset:1144 ; 4-byte Folded Spill
	buffer_load_dword v7, off, s[0:3], s32 offset:1152 ; 4-byte Folded Reload
	s_waitcnt vmcnt(0)
	v_add_f32_e32 v7, v7, v13
	buffer_load_dword v13, off, s[0:3], s32 offset:944 ; 4-byte Folded Reload
	buffer_store_dword v7, off, s[0:3], s32 offset:1152 ; 4-byte Folded Spill
	buffer_load_dword v7, off, s[0:3], s32 offset:1160 ; 4-byte Folded Reload
	s_waitcnt vmcnt(0)
	v_add_f32_e32 v7, v7, v17
	buffer_load_dword v17, off, s[0:3], s32 offset:912 ; 4-byte Folded Reload
	buffer_store_dword v7, off, s[0:3], s32 offset:1160 ; 4-byte Folded Spill
	buffer_load_dword v7, off, s[0:3], s32 offset:1168 ; 4-byte Folded Reload
	s_waitcnt vmcnt(0)
	v_add_f32_e32 v7, v7, v18
	buffer_load_dword v18, off, s[0:3], s32 offset:880 ; 4-byte Folded Reload
	buffer_store_dword v7, off, s[0:3], s32 offset:1168 ; 4-byte Folded Spill
	v_mul_f32_e32 v7, v3, v93
	v_fmac_f32_e32 v7, v2, v8
	buffer_load_dword v8, off, s[0:3], s32 offset:952 ; 4-byte Folded Reload
	s_waitcnt vmcnt(0)
	v_mul_f32_e32 v8, v3, v8
	v_fmac_f32_e32 v8, v2, v13
	buffer_load_dword v13, off, s[0:3], s32 offset:920 ; 4-byte Folded Reload
	s_waitcnt vmcnt(0)
	;; [unrolled: 4-line block ×5, first 2 shown]
	v_fmac_f32_e32 v7, v4, v19
	buffer_load_dword v19, off, s[0:3], s32 offset:936 ; 4-byte Folded Reload
	s_waitcnt vmcnt(0)
	v_fmac_f32_e32 v8, v4, v19
	buffer_load_dword v19, off, s[0:3], s32 offset:904 ; 4-byte Folded Reload
	s_waitcnt vmcnt(0)
	;; [unrolled: 3-line block ×10, first 2 shown]
	v_add_f32_e32 v19, v19, v7
	buffer_load_dword v7, off, s[0:3], s32 offset:1184 ; 4-byte Folded Reload
	buffer_store_dword v19, off, s[0:3], s32 offset:1176 ; 4-byte Folded Spill
	buffer_load_dword v19, off, s[0:3], s32 offset:688 ; 4-byte Folded Reload
	s_waitcnt vmcnt(1)
	v_add_f32_e32 v7, v7, v8
	buffer_load_dword v8, off, s[0:3], s32 offset:816 ; 4-byte Folded Reload
	buffer_store_dword v7, off, s[0:3], s32 offset:1184 ; 4-byte Folded Spill
	buffer_load_dword v7, off, s[0:3], s32 offset:1192 ; 4-byte Folded Reload
	s_waitcnt vmcnt(0)
	;; [unrolled: 5-line block ×5, first 2 shown]
	v_mul_f32_e32 v7, v3, v7
	v_fmac_f32_e32 v7, v2, v8
	buffer_load_dword v8, off, s[0:3], s32 offset:792 ; 4-byte Folded Reload
	s_waitcnt vmcnt(0)
	v_mul_f32_e32 v8, v3, v8
	v_fmac_f32_e32 v8, v2, v13
	buffer_load_dword v13, off, s[0:3], s32 offset:760 ; 4-byte Folded Reload
	s_waitcnt vmcnt(0)
	;; [unrolled: 4-line block ×5, first 2 shown]
	v_fmac_f32_e32 v7, v4, v19
	buffer_load_dword v19, off, s[0:3], s32 offset:776 ; 4-byte Folded Reload
	s_waitcnt vmcnt(0)
	v_fmac_f32_e32 v8, v4, v19
	buffer_load_dword v19, off, s[0:3], s32 offset:744 ; 4-byte Folded Reload
	s_waitcnt vmcnt(0)
	;; [unrolled: 3-line block ×10, first 2 shown]
	v_add_f32_e32 v19, v19, v7
	buffer_load_dword v7, off, s[0:3], s32 offset:1224 ; 4-byte Folded Reload
	buffer_store_dword v19, off, s[0:3], s32 offset:1216 ; 4-byte Folded Spill
	buffer_load_dword v19, off, s[0:3], s32 offset:1328 ; 4-byte Folded Reload
	s_waitcnt vmcnt(1)
	v_add_f32_e32 v7, v7, v8
	buffer_load_dword v8, off, s[0:3], s32 offset:632 ; 4-byte Folded Reload
	buffer_store_dword v7, off, s[0:3], s32 offset:1224 ; 4-byte Folded Spill
	buffer_load_dword v7, off, s[0:3], s32 offset:1232 ; 4-byte Folded Reload
	s_waitcnt vmcnt(0)
	;; [unrolled: 5-line block ×3, first 2 shown]
	v_add_f32_e32 v7, v7, v17
	buffer_load_dword v17, off, s[0:3], s32 offset:568 ; 4-byte Folded Reload
	buffer_store_dword v7, off, s[0:3], s32 offset:1240 ; 4-byte Folded Spill
	buffer_load_dword v7, off, s[0:3], s32 offset:664 ; 4-byte Folded Reload
	v_add_f32_e32 v19, v19, v18
	buffer_load_dword v18, off, s[0:3], s32 offset:536 ; 4-byte Folded Reload
	s_waitcnt vmcnt(1)
	v_mul_f32_e32 v7, v3, v7
	v_fmac_f32_e32 v7, v2, v20
	buffer_load_dword v20, off, s[0:3], s32 offset:624 ; 4-byte Folded Reload
	v_mul_f32_e32 v8, v3, v8
	s_waitcnt vmcnt(0)
	v_fmac_f32_e32 v8, v2, v20
	buffer_load_dword v20, off, s[0:3], s32 offset:592 ; 4-byte Folded Reload
	v_mul_f32_e32 v13, v3, v13
	s_waitcnt vmcnt(0)
	;; [unrolled: 4-line block ×4, first 2 shown]
	v_fmac_f32_e32 v18, v2, v20
	buffer_load_dword v20, off, s[0:3], s32 offset:648 ; 4-byte Folded Reload
	s_waitcnt vmcnt(0)
	v_fmac_f32_e32 v7, v4, v20
	buffer_load_dword v20, off, s[0:3], s32 offset:616 ; 4-byte Folded Reload
	s_waitcnt vmcnt(0)
	v_fmac_f32_e32 v8, v4, v20
	buffer_load_dword v20, off, s[0:3], s32 offset:584 ; 4-byte Folded Reload
	s_waitcnt vmcnt(0)
	v_fmac_f32_e32 v13, v4, v20
	buffer_load_dword v20, off, s[0:3], s32 offset:552 ; 4-byte Folded Reload
	s_waitcnt vmcnt(0)
	v_fmac_f32_e32 v17, v4, v20
	buffer_load_dword v20, off, s[0:3], s32 offset:520 ; 4-byte Folded Reload
	s_waitcnt vmcnt(0)
	v_fmac_f32_e32 v18, v4, v20
	buffer_load_dword v20, off, s[0:3], s32 offset:640 ; 4-byte Folded Reload
	s_waitcnt vmcnt(0)
	v_fmac_f32_e32 v7, v5, v20
	buffer_load_dword v20, off, s[0:3], s32 offset:608 ; 4-byte Folded Reload
	s_waitcnt vmcnt(0)
	v_fmac_f32_e32 v8, v5, v20
	buffer_load_dword v20, off, s[0:3], s32 offset:576 ; 4-byte Folded Reload
	s_waitcnt vmcnt(0)
	v_fmac_f32_e32 v13, v5, v20
	buffer_load_dword v20, off, s[0:3], s32 offset:544 ; 4-byte Folded Reload
	v_add_f32_e32 v22, v22, v13
	buffer_load_dword v13, off, s[0:3], s32 offset:440 ; 4-byte Folded Reload
	s_waitcnt vmcnt(1)
	v_fmac_f32_e32 v17, v5, v20
	buffer_load_dword v20, off, s[0:3], s32 offset:512 ; 4-byte Folded Reload
	s_waitcnt vmcnt(0)
	v_fmac_f32_e32 v18, v5, v20
	buffer_load_dword v20, off, s[0:3], s32 offset:1340 ; 4-byte Folded Reload
	s_waitcnt vmcnt(0)
	v_add_f32_e32 v20, v20, v7
	buffer_load_dword v7, off, s[0:3], s32 offset:1248 ; 4-byte Folded Reload
	s_waitcnt vmcnt(0)
	v_add_f32_e32 v7, v7, v17
	buffer_load_dword v17, off, s[0:3], s32 offset:408 ; 4-byte Folded Reload
	buffer_store_dword v7, off, s[0:3], s32 offset:1248 ; 4-byte Folded Spill
	buffer_load_dword v7, off, s[0:3], s32 offset:1256 ; 4-byte Folded Reload
	s_waitcnt vmcnt(0)
	v_add_f32_e32 v7, v7, v18
	buffer_load_dword v18, off, s[0:3], s32 offset:376 ; 4-byte Folded Reload
	buffer_store_dword v7, off, s[0:3], s32 offset:1256 ; 4-byte Folded Spill
	buffer_load_dword v7, off, s[0:3], s32 offset:504 ; 4-byte Folded Reload
	v_add_f32_e32 v21, v21, v8
	buffer_load_dword v8, off, s[0:3], s32 offset:472 ; 4-byte Folded Reload
	s_waitcnt vmcnt(1)
	v_mul_f32_e32 v7, v3, v7
	v_fmac_f32_e32 v7, v2, v23
	buffer_load_dword v23, off, s[0:3], s32 offset:464 ; 4-byte Folded Reload
	s_waitcnt vmcnt(1)
	v_mul_f32_e32 v8, v3, v8
	s_waitcnt vmcnt(0)
	v_fmac_f32_e32 v8, v2, v23
	buffer_load_dword v23, off, s[0:3], s32 offset:432 ; 4-byte Folded Reload
	v_mul_f32_e32 v13, v3, v13
	s_waitcnt vmcnt(0)
	v_fmac_f32_e32 v13, v2, v23
	buffer_load_dword v23, off, s[0:3], s32 offset:400 ; 4-byte Folded Reload
	;; [unrolled: 4-line block ×4, first 2 shown]
	s_waitcnt vmcnt(0)
	v_fmac_f32_e32 v7, v4, v23
	buffer_load_dword v23, off, s[0:3], s32 offset:456 ; 4-byte Folded Reload
	s_waitcnt vmcnt(0)
	v_fmac_f32_e32 v8, v4, v23
	buffer_load_dword v23, off, s[0:3], s32 offset:424 ; 4-byte Folded Reload
	;; [unrolled: 3-line block ×10, first 2 shown]
	s_waitcnt vmcnt(0)
	v_add_f32_e32 v23, v23, v7
	buffer_load_dword v7, off, s[0:3], s32 offset:1272 ; 4-byte Folded Reload
	buffer_store_dword v23, off, s[0:3], s32 offset:1264 ; 4-byte Folded Spill
	s_waitcnt vmcnt(0)
	v_add_f32_e32 v7, v7, v8
	buffer_load_dword v8, off, s[0:3], s32 offset:312 ; 4-byte Folded Reload
	buffer_store_dword v7, off, s[0:3], s32 offset:1272 ; 4-byte Folded Spill
	buffer_load_dword v7, off, s[0:3], s32 offset:1280 ; 4-byte Folded Reload
	s_waitcnt vmcnt(0)
	v_add_f32_e32 v7, v7, v13
	buffer_load_dword v13, off, s[0:3], s32 offset:280 ; 4-byte Folded Reload
	v_mul_f32_e32 v8, v3, v8
	buffer_store_dword v7, off, s[0:3], s32 offset:1280 ; 4-byte Folded Spill
	buffer_load_dword v7, off, s[0:3], s32 offset:1288 ; 4-byte Folded Reload
	s_waitcnt vmcnt(0)
	v_add_f32_e32 v7, v7, v17
	buffer_load_dword v17, off, s[0:3], s32 offset:248 ; 4-byte Folded Reload
	v_mul_f32_e32 v13, v3, v13
	buffer_store_dword v7, off, s[0:3], s32 offset:1288 ; 4-byte Folded Spill
	buffer_load_dword v7, off, s[0:3], s32 offset:1296 ; 4-byte Folded Reload
	s_waitcnt vmcnt(1)
	v_mul_f32_e32 v17, v3, v17
	s_waitcnt vmcnt(0)
	v_add_f32_e32 v7, v7, v18
	buffer_store_dword v7, off, s[0:3], s32 offset:1296 ; 4-byte Folded Spill
	buffer_load_dword v7, off, s[0:3], s32 offset:344 ; 4-byte Folded Reload
	s_waitcnt vmcnt(0)
	v_mul_f32_e32 v7, v3, v7
	v_mul_f32_e32 v3, v3, v11
	buffer_load_dword v11, off, s[0:3], s32 offset:336 ; 4-byte Folded Reload
	v_fmac_f32_e32 v3, v2, v9
	v_fmac_f32_e32 v3, v4, v1
	buffer_load_dword v1, off, s[0:3], s32 offset:320 ; 4-byte Folded Reload
	v_fmac_f32_e32 v3, v5, v0
	buffer_load_dword v0, off, s[0:3], s32 offset:1312 ; 4-byte Folded Reload
	s_waitcnt vmcnt(2)
	v_fmac_f32_e32 v7, v2, v11
	buffer_load_dword v11, off, s[0:3], s32 offset:304 ; 4-byte Folded Reload
	s_waitcnt vmcnt(0)
	;; [unrolled: 3-line block ×5, first 2 shown]
	v_fmac_f32_e32 v7, v4, v2
	buffer_load_dword v2, off, s[0:3], s32 offset:296 ; 4-byte Folded Reload
	v_fmac_f32_e32 v7, v5, v1
	buffer_load_dword v1, off, s[0:3], s32 offset:288 ; 4-byte Folded Reload
	s_waitcnt vmcnt(1)
	v_fmac_f32_e32 v8, v4, v2
	buffer_load_dword v2, off, s[0:3], s32 offset:264 ; 4-byte Folded Reload
	s_waitcnt vmcnt(1)
	v_fmac_f32_e32 v8, v5, v1
	buffer_load_dword v1, off, s[0:3], s32 offset:256 ; 4-byte Folded Reload
	s_waitcnt vmcnt(1)
	v_fmac_f32_e32 v13, v4, v2
	buffer_load_dword v2, off, s[0:3], s32 offset:212 ; 4-byte Folded Reload
	s_waitcnt vmcnt(1)
	v_fmac_f32_e32 v13, v5, v1
	buffer_load_dword v1, off, s[0:3], s32 offset:192 ; 4-byte Folded Reload
	v_add_f32_e32 v0, v0, v13
	buffer_store_dword v0, off, s[0:3], s32 offset:1312 ; 4-byte Folded Spill
	buffer_load_dword v0, off, s[0:3], s32 offset:1304 ; 4-byte Folded Reload
	s_waitcnt vmcnt(2)
	v_fmac_f32_e32 v17, v4, v2
	s_waitcnt vmcnt(1)
	v_fmac_f32_e32 v17, v5, v1
	buffer_load_dword v5, off, s[0:3], s32 offset:1352 ; 4-byte Folded Reload
	s_waitcnt vmcnt(1)
	v_add_f32_e32 v0, v0, v17
	buffer_store_dword v0, off, s[0:3], s32 offset:1304 ; 4-byte Folded Spill
	buffer_load_dword v0, off, s[0:3], s32 offset:984 ; 4-byte Folded Reload
	s_waitcnt vmcnt(1)
	v_add_f32_e32 v5, v5, v7
	buffer_load_dword v7, off, s[0:3], s32 offset:1356 ; 4-byte Folded Reload
	s_waitcnt vmcnt(1)
	v_add_f32_e32 v0, v0, v3
	buffer_store_dword v0, off, s[0:3], s32 offset:984 ; 4-byte Folded Spill
	s_waitcnt vmcnt(0)
	v_add_f32_e32 v7, v7, v8
.LBB214_1570:                           ;   in Loop: Header=BB214_1571 Depth=1
	s_or_b32 exec_lo, exec_lo, s7
	s_clause 0x1
	buffer_load_dword v2, off, s[0:3], s32 offset:208
	buffer_load_dword v0, off, s[0:3], s32 offset:204
	v_add_nc_u32_e32 v59, 4, v59
	v_add_co_u32 v15, s4, v15, 16
	v_add_nc_u32_e32 v57, 0x200, v57
	v_add_co_ci_u32_e64 v16, null, 0, v16, s4
	s_waitcnt vmcnt(1)
	v_add_nc_u32_e32 v2, 0x80, v2
	s_waitcnt vmcnt(0)
	v_cmp_ge_i32_e32 vcc_lo, v59, v0
	s_or_b32 s6, vcc_lo, s6
	s_andn2_b32 exec_lo, exec_lo, s6
	s_cbranch_execz .LBB214_3204
.LBB214_1571:                           ; =>This Inner Loop Header: Depth=1
	s_clause 0x1
	buffer_load_dword v0, off, s[0:3], s32 offset:236
	buffer_load_dword v4, off, s[0:3], s32 offset:220
	s_waitcnt vmcnt(2)
	buffer_store_dword v2, off, s[0:3], s32 offset:208 ; 4-byte Folded Spill
	s_waitcnt vmcnt(1)
	v_mul_hi_u32 v0, v2, v0
	s_waitcnt vmcnt(0)
	v_mul_lo_u32 v1, v0, v4
	v_sub_nc_u32_e32 v1, v2, v1
	v_add_nc_u32_e32 v2, 1, v0
	v_sub_nc_u32_e32 v3, v1, v4
	v_cmp_ge_u32_e32 vcc_lo, v1, v4
	v_cndmask_b32_e32 v1, v1, v3, vcc_lo
	v_cndmask_b32_e32 v0, v0, v2, vcc_lo
	v_cmp_ge_u32_e32 vcc_lo, v1, v4
	buffer_load_dword v1, off, s[0:3], s32 offset:232 ; 4-byte Folded Reload
	v_add_nc_u32_e32 v2, 1, v0
	v_cndmask_b32_e32 v0, v0, v2, vcc_lo
	s_waitcnt vmcnt(0)
	v_xor_b32_e32 v0, v0, v1
	v_sub_nc_u32_e32 v0, v0, v1
	s_clause 0x2
	buffer_load_dword v1, off, s[0:3], s32 offset:224
	buffer_load_dword v2, off, s[0:3], s32 offset:228
	;; [unrolled: 1-line block ×3, first 2 shown]
	s_waitcnt vmcnt(2)
	v_add_nc_u32_e32 v1, v0, v1
	s_waitcnt vmcnt(1)
	v_sub_nc_u32_e32 v2, 0, v1
	v_max_i32_e32 v2, v1, v2
	v_ashrrev_i32_e32 v1, 31, v1
	s_waitcnt vmcnt(0)
	v_mul_hi_u32 v3, v2, v3
	v_mul_lo_u32 v3, v3, v40
	v_sub_nc_u32_e32 v2, v2, v3
	v_sub_nc_u32_e32 v3, v2, v40
	v_cmp_ge_u32_e32 vcc_lo, v2, v40
	v_cndmask_b32_e32 v2, v2, v3, vcc_lo
	v_sub_nc_u32_e32 v3, v2, v40
	v_cmp_ge_u32_e32 vcc_lo, v2, v40
	v_cndmask_b32_e32 v2, v2, v3, vcc_lo
	v_xor_b32_e32 v2, v2, v1
	v_sub_nc_u32_e32 v1, v2, v1
	v_cmp_eq_u32_e32 vcc_lo, 0, v1
	buffer_load_dword v1, off, s[0:3], s32 offset:240 ; 4-byte Folded Reload
	s_waitcnt vmcnt(0)
	v_cmp_gt_i32_e64 s4, v0, v1
	s_or_b32 s4, vcc_lo, s4
	s_and_saveexec_b32 s7, s4
	s_cbranch_execz .LBB214_1570
; %bb.1572:                             ;   in Loop: Header=BB214_1571 Depth=1
	buffer_store_dword v7, off, s[0:3], s32 offset:1356 ; 4-byte Folded Spill
	buffer_store_dword v5, off, s[0:3], s32 offset:1352 ; 4-byte Folded Spill
	;; [unrolled: 1-line block ×6, first 2 shown]
	flat_load_dword v0, v[15:16]
	s_clause 0x2
	buffer_load_dword v1, off, s[0:3], s32 offset:1336
	buffer_load_dword v2, off, s[0:3], s32 offset:1360
	;; [unrolled: 1-line block ×3, first 2 shown]
	v_mov_b32_e32 v21, 0
	v_mov_b32_e32 v19, 0
	;; [unrolled: 1-line block ×4, first 2 shown]
	s_waitcnt vmcnt(0) lgkmcnt(0)
	v_mad_i64_i32 v[17:18], null, v0, v1, v[2:3]
	buffer_load_dword v0, off, s[0:3], s32 offset:1372 ; 4-byte Folded Reload
	s_waitcnt vmcnt(0)
	v_add_co_u32 v0, vcc_lo, v17, v0
	v_add_co_ci_u32_e64 v1, null, 0, v18, vcc_lo
	flat_load_dword v7, v[0:1]
	s_clause 0x1
	buffer_load_dword v2, off, s[0:3], s32 offset:1588
	buffer_load_dword v3, off, s[0:3], s32 offset:1592
	s_load_dword s4, s[8:9], 0x0
	s_waitcnt vmcnt(2) lgkmcnt(0)
	v_cmp_ne_u16_sdwa s15, v7, v10 src0_sel:BYTE_0 src1_sel:DWORD
	s_waitcnt vmcnt(0)
	flat_load_dword v74, v[2:3]
	v_add_nc_u32_e32 v2, s4, v57
	ds_read_b128 v[2:5], v2
	s_and_saveexec_b32 s4, s15
	s_cbranch_execz .LBB214_1580
; %bb.1573:                             ;   in Loop: Header=BB214_1571 Depth=1
	v_bfrev_b32_e32 v19, 1
	v_mov_b32_e32 v20, 0
	v_cmp_ne_u16_sdwa s17, v7, v41 src0_sel:BYTE_0 src1_sel:DWORD
	s_and_saveexec_b32 s15, s17
	s_cbranch_execz .LBB214_1579
; %bb.1574:                             ;   in Loop: Header=BB214_1571 Depth=1
	v_mov_b32_e32 v19, 0x7f800001
	v_and_b32_e32 v11, 0x7f, v7
	v_mov_b32_e32 v20, 0
	s_mov_b32 s17, exec_lo
	v_cmpx_ne_u32_e32 0x7f, v11
	s_cbranch_execz .LBB214_1578
; %bb.1575:                             ;   in Loop: Header=BB214_1571 Depth=1
	v_and_b32_e32 v9, 7, v7
	v_lshrrev_b32_e32 v8, 3, v11
	s_mov_b32 s18, exec_lo
	v_cmpx_gt_u32_e32 8, v11
; %bb.1576:                             ;   in Loop: Header=BB214_1571 Depth=1
	v_ffbh_u32_e32 v8, v9
	v_min_u32_e32 v8, 32, v8
	v_subrev_nc_u32_e32 v11, 28, v8
	v_sub_nc_u32_e32 v8, 29, v8
	v_lshlrev_b64 v[19:20], v11, v[9:10]
	v_and_b32_e32 v9, 7, v19
; %bb.1577:                             ;   in Loop: Header=BB214_1571 Depth=1
	s_or_b32 exec_lo, exec_lo, s18
	v_lshlrev_b32_e32 v11, 24, v7
	v_lshlrev_b32_e32 v9, 20, v9
	v_lshl_add_u32 v8, v8, 23, 0x3c000000
	v_and_b32_e32 v11, 0x80000000, v11
	v_or3_b32 v9, v9, v11, v8
	v_mov_b32_e32 v20, v10
	v_mov_b32_e32 v19, v9
.LBB214_1578:                           ;   in Loop: Header=BB214_1571 Depth=1
	s_or_b32 exec_lo, exec_lo, s17
.LBB214_1579:                           ;   in Loop: Header=BB214_1571 Depth=1
	s_or_b32 exec_lo, exec_lo, s15
.LBB214_1580:                           ;   in Loop: Header=BB214_1571 Depth=1
	s_or_b32 exec_lo, exec_lo, s4
	v_cmp_ne_u16_sdwa s15, v7, v10 src0_sel:BYTE_1 src1_sel:DWORD
	s_and_saveexec_b32 s4, s15
	s_cbranch_execz .LBB214_1588
; %bb.1581:                             ;   in Loop: Header=BB214_1571 Depth=1
	v_mov_b32_e32 v11, v10
	v_mov_b32_e32 v22, v12
	v_cmp_ne_u16_sdwa s17, v7, v41 src0_sel:BYTE_1 src1_sel:DWORD
	v_mov_b32_e32 v21, v11
	s_and_saveexec_b32 s15, s17
	s_cbranch_execz .LBB214_1587
; %bb.1582:                             ;   in Loop: Header=BB214_1571 Depth=1
	v_and_b32_sdwa v8, v48, v7 dst_sel:DWORD dst_unused:UNUSED_PAD src0_sel:DWORD src1_sel:BYTE_1
	v_mov_b32_e32 v13, v10
	v_mov_b32_e32 v22, v14
	s_mov_b32 s17, exec_lo
	v_and_b32_e32 v11, 0x7f, v8
	v_mov_b32_e32 v21, v13
	v_cmpx_ne_u32_e32 0x7f, v11
	s_cbranch_execz .LBB214_1586
; %bb.1583:                             ;   in Loop: Header=BB214_1571 Depth=1
	v_and_b32_e32 v9, 7, v8
	v_lshrrev_b32_e32 v8, 3, v11
	s_mov_b32 s18, exec_lo
	v_cmpx_gt_u32_e32 8, v11
; %bb.1584:                             ;   in Loop: Header=BB214_1571 Depth=1
	v_ffbh_u32_e32 v8, v9
	v_min_u32_e32 v8, 32, v8
	v_subrev_nc_u32_e32 v11, 28, v8
	v_sub_nc_u32_e32 v8, 29, v8
	v_lshlrev_b64 v[21:22], v11, v[9:10]
	v_and_b32_e32 v9, 7, v21
; %bb.1585:                             ;   in Loop: Header=BB214_1571 Depth=1
	s_or_b32 exec_lo, exec_lo, s18
	v_lshlrev_b32_e32 v11, 16, v7
	v_lshlrev_b32_e32 v9, 20, v9
	v_lshl_add_u32 v8, v8, 23, 0x3c000000
	v_mov_b32_e32 v21, v10
	v_and_b32_e32 v11, 0x80000000, v11
	v_or3_b32 v22, v9, v11, v8
.LBB214_1586:                           ;   in Loop: Header=BB214_1571 Depth=1
	s_or_b32 exec_lo, exec_lo, s17
.LBB214_1587:                           ;   in Loop: Header=BB214_1571 Depth=1
	s_or_b32 exec_lo, exec_lo, s15
.LBB214_1588:                           ;   in Loop: Header=BB214_1571 Depth=1
	s_or_b32 exec_lo, exec_lo, s4
	v_mov_b32_e32 v25, 0
	v_mov_b32_e32 v23, 0
	v_and_b32_sdwa v8, v7, v43 dst_sel:DWORD dst_unused:UNUSED_PAD src0_sel:WORD_1 src1_sel:DWORD
	v_mov_b32_e32 v26, 0
	v_mov_b32_e32 v24, 0
	s_mov_b32 s4, exec_lo
	v_cmpx_ne_u16_e32 0, v8
	s_cbranch_execz .LBB214_1596
; %bb.1589:                             ;   in Loop: Header=BB214_1571 Depth=1
	v_bfrev_b32_e32 v23, 1
	v_mov_b32_e32 v24, 0
	s_mov_b32 s15, exec_lo
	v_cmpx_ne_u16_e32 0x80, v8
	s_cbranch_execz .LBB214_1595
; %bb.1590:                             ;   in Loop: Header=BB214_1571 Depth=1
	v_mov_b32_e32 v23, 0x7f800001
	v_bfe_u32 v11, v7, 16, 7
	v_mov_b32_e32 v24, 0
	s_mov_b32 s17, exec_lo
	v_cmpx_ne_u32_e32 0x7f, v11
	s_cbranch_execz .LBB214_1594
; %bb.1591:                             ;   in Loop: Header=BB214_1571 Depth=1
	v_mov_b32_e32 v8, 7
	s_mov_b32 s18, exec_lo
	v_and_b32_sdwa v9, v7, v8 dst_sel:DWORD dst_unused:UNUSED_PAD src0_sel:WORD_1 src1_sel:DWORD
	v_lshrrev_b32_e32 v8, 3, v11
	v_cmpx_gt_u32_e32 8, v11
; %bb.1592:                             ;   in Loop: Header=BB214_1571 Depth=1
	v_ffbh_u32_e32 v8, v9
	v_min_u32_e32 v8, 32, v8
	v_subrev_nc_u32_e32 v11, 28, v8
	v_sub_nc_u32_e32 v8, 29, v8
	v_lshlrev_b64 v[23:24], v11, v[9:10]
	v_and_b32_e32 v9, 7, v23
; %bb.1593:                             ;   in Loop: Header=BB214_1571 Depth=1
	s_or_b32 exec_lo, exec_lo, s18
	v_mov_b32_e32 v11, 24
	v_lshlrev_b32_e32 v9, 20, v9
	v_lshl_add_u32 v8, v8, 23, 0x3c000000
	v_lshlrev_b32_sdwa v11, v11, v7 dst_sel:DWORD dst_unused:UNUSED_PAD src0_sel:DWORD src1_sel:WORD_1
	v_and_b32_e32 v11, 0x80000000, v11
	v_or3_b32 v9, v9, v11, v8
	v_mov_b32_e32 v24, v10
	v_mov_b32_e32 v23, v9
.LBB214_1594:                           ;   in Loop: Header=BB214_1571 Depth=1
	s_or_b32 exec_lo, exec_lo, s17
.LBB214_1595:                           ;   in Loop: Header=BB214_1571 Depth=1
	s_or_b32 exec_lo, exec_lo, s15
.LBB214_1596:                           ;   in Loop: Header=BB214_1571 Depth=1
	s_or_b32 exec_lo, exec_lo, s4
	s_mov_b32 s4, exec_lo
	v_cmpx_lt_u32_e32 0xffffff, v7
	s_cbranch_execz .LBB214_1604
; %bb.1597:                             ;   in Loop: Header=BB214_1571 Depth=1
	v_mov_b32_e32 v11, v10
	v_mov_b32_e32 v26, v12
	v_cmp_ne_u32_sdwa s17, v7, v41 src0_sel:BYTE_3 src1_sel:DWORD
	v_mov_b32_e32 v25, v11
	s_and_saveexec_b32 s15, s17
	s_cbranch_execz .LBB214_1603
; %bb.1598:                             ;   in Loop: Header=BB214_1571 Depth=1
	v_mov_b32_e32 v13, v10
	v_mov_b32_e32 v26, v14
	v_bfe_u32 v11, v7, 24, 7
	s_mov_b32 s17, exec_lo
	v_mov_b32_e32 v25, v13
	v_cmpx_ne_u32_e32 0x7f, v11
	s_cbranch_execz .LBB214_1602
; %bb.1599:                             ;   in Loop: Header=BB214_1571 Depth=1
	v_mov_b32_e32 v8, 7
	s_mov_b32 s18, exec_lo
	v_and_b32_sdwa v9, v7, v8 dst_sel:DWORD dst_unused:UNUSED_PAD src0_sel:BYTE_3 src1_sel:DWORD
	v_lshrrev_b32_e32 v8, 3, v11
	v_cmpx_gt_u32_e32 8, v11
; %bb.1600:                             ;   in Loop: Header=BB214_1571 Depth=1
	v_ffbh_u32_e32 v8, v9
	v_min_u32_e32 v8, 32, v8
	v_subrev_nc_u32_e32 v11, 28, v8
	v_sub_nc_u32_e32 v8, 29, v8
	v_lshlrev_b64 v[25:26], v11, v[9:10]
	v_and_b32_e32 v9, 7, v25
; %bb.1601:                             ;   in Loop: Header=BB214_1571 Depth=1
	s_or_b32 exec_lo, exec_lo, s18
	v_mov_b32_e32 v11, 24
	v_lshlrev_b32_e32 v9, 20, v9
	v_lshl_add_u32 v8, v8, 23, 0x3c000000
	v_mov_b32_e32 v25, v10
	v_lshlrev_b32_sdwa v7, v11, v7 dst_sel:DWORD dst_unused:UNUSED_PAD src0_sel:DWORD src1_sel:BYTE_3
	v_and_b32_e32 v7, 0x80000000, v7
	v_or3_b32 v26, v9, v7, v8
.LBB214_1602:                           ;   in Loop: Header=BB214_1571 Depth=1
	s_or_b32 exec_lo, exec_lo, s17
.LBB214_1603:                           ;   in Loop: Header=BB214_1571 Depth=1
	s_or_b32 exec_lo, exec_lo, s15
.LBB214_1604:                           ;   in Loop: Header=BB214_1571 Depth=1
	s_or_b32 exec_lo, exec_lo, s4
	s_clause 0x1
	buffer_load_dword v7, off, s[0:3], s32 offset:208
	buffer_load_dword v8, off, s[0:3], s32 offset:1368
	v_or_b32_e32 v9, v21, v19
	v_or_b32_e32 v11, v25, v23
	;; [unrolled: 1-line block ×3, first 2 shown]
	s_waitcnt vmcnt(0)
	v_add_nc_u32_e32 v79, v8, v7
	buffer_load_dword v7, off, s[0:3], s32 offset:204 ; 4-byte Folded Reload
	v_or_b32_e32 v8, v22, v20
	v_add_nc_u32_e32 v90, 1, v79
	v_add_nc_u32_e32 v89, 2, v79
	v_add_nc_u32_e32 v88, 3, v79
	s_waitcnt vmcnt(0)
	v_add_nc_u32_e32 v7, -1, v7
	v_cmp_eq_u32_e32 vcc_lo, v7, v59
	s_waitcnt lgkmcnt(1)
	v_mul_f32_e32 v7, v74, v8
	buffer_store_dword v7, off, s[0:3], s32 offset:248 ; 4-byte Folded Spill
	v_mul_f32_e32 v7, v74, v9
	buffer_store_dword v7, off, s[0:3], s32 offset:244 ; 4-byte Folded Spill
	;; [unrolled: 2-line block ×4, first 2 shown]
	s_and_saveexec_b32 s15, vcc_lo
	s_cbranch_execz .LBB214_1606
; %bb.1605:                             ;   in Loop: Header=BB214_1571 Depth=1
	s_clause 0x1
	buffer_load_dword v7, off, s[0:3], s32 offset:200
	buffer_load_dword v8, off, s[0:3], s32 offset:244
	s_waitcnt vmcnt(1)
	v_cmp_lt_i32_e64 s4, v79, v7
	s_waitcnt vmcnt(0)
	v_cndmask_b32_e64 v8, 0, v8, s4
	v_cmp_lt_i32_e64 s4, v90, v7
	buffer_store_dword v8, off, s[0:3], s32 offset:244 ; 4-byte Folded Spill
	buffer_load_dword v8, off, s[0:3], s32 offset:248 ; 4-byte Folded Reload
	s_waitcnt vmcnt(0)
	v_cndmask_b32_e64 v8, 0, v8, s4
	v_cmp_lt_i32_e64 s4, v89, v7
	buffer_store_dword v8, off, s[0:3], s32 offset:248 ; 4-byte Folded Spill
	buffer_load_dword v8, off, s[0:3], s32 offset:212 ; 4-byte Folded Reload
	s_waitcnt vmcnt(0)
	v_cndmask_b32_e64 v8, 0, v8, s4
	v_cmp_lt_i32_e64 s4, v88, v7
	buffer_load_dword v7, off, s[0:3], s32 offset:192 ; 4-byte Folded Reload
	buffer_store_dword v8, off, s[0:3], s32 offset:212 ; 4-byte Folded Spill
	s_waitcnt vmcnt(0)
	v_cndmask_b32_e64 v7, 0, v7, s4
	buffer_store_dword v7, off, s[0:3], s32 offset:192 ; 4-byte Folded Spill
.LBB214_1606:                           ;   in Loop: Header=BB214_1571 Depth=1
	s_or_b32 exec_lo, exec_lo, s15
	flat_load_dword v7, v[0:1] offset:128
	v_mov_b32_e32 v21, 0
	v_mov_b32_e32 v19, 0
	;; [unrolled: 1-line block ×4, first 2 shown]
	s_waitcnt vmcnt(0) lgkmcnt(0)
	v_cmp_ne_u16_sdwa s4, v7, v10 src0_sel:BYTE_0 src1_sel:DWORD
	s_and_saveexec_b32 s15, s4
	s_cbranch_execz .LBB214_1614
; %bb.1607:                             ;   in Loop: Header=BB214_1571 Depth=1
	v_bfrev_b32_e32 v19, 1
	v_mov_b32_e32 v20, 0
	v_cmp_ne_u16_sdwa s4, v7, v41 src0_sel:BYTE_0 src1_sel:DWORD
	s_and_saveexec_b32 s17, s4
	s_cbranch_execz .LBB214_1613
; %bb.1608:                             ;   in Loop: Header=BB214_1571 Depth=1
	v_mov_b32_e32 v19, 0x7f800001
	v_and_b32_e32 v11, 0x7f, v7
	v_mov_b32_e32 v20, 0
	s_mov_b32 s18, exec_lo
	v_cmpx_ne_u32_e32 0x7f, v11
	s_cbranch_execz .LBB214_1612
; %bb.1609:                             ;   in Loop: Header=BB214_1571 Depth=1
	v_and_b32_e32 v9, 7, v7
	v_lshrrev_b32_e32 v8, 3, v11
	s_mov_b32 s19, exec_lo
	v_cmpx_gt_u32_e32 8, v11
; %bb.1610:                             ;   in Loop: Header=BB214_1571 Depth=1
	v_ffbh_u32_e32 v8, v9
	v_min_u32_e32 v8, 32, v8
	v_subrev_nc_u32_e32 v11, 28, v8
	v_sub_nc_u32_e32 v8, 29, v8
	v_lshlrev_b64 v[19:20], v11, v[9:10]
	v_and_b32_e32 v9, 7, v19
; %bb.1611:                             ;   in Loop: Header=BB214_1571 Depth=1
	s_or_b32 exec_lo, exec_lo, s19
	v_lshlrev_b32_e32 v11, 24, v7
	v_lshlrev_b32_e32 v9, 20, v9
	v_lshl_add_u32 v8, v8, 23, 0x3c000000
	v_and_b32_e32 v11, 0x80000000, v11
	v_or3_b32 v9, v9, v11, v8
	v_mov_b32_e32 v20, v10
	v_mov_b32_e32 v19, v9
.LBB214_1612:                           ;   in Loop: Header=BB214_1571 Depth=1
	s_or_b32 exec_lo, exec_lo, s18
.LBB214_1613:                           ;   in Loop: Header=BB214_1571 Depth=1
	s_or_b32 exec_lo, exec_lo, s17
.LBB214_1614:                           ;   in Loop: Header=BB214_1571 Depth=1
	s_or_b32 exec_lo, exec_lo, s15
	v_cmp_ne_u16_sdwa s4, v7, v10 src0_sel:BYTE_1 src1_sel:DWORD
	s_and_saveexec_b32 s15, s4
	s_cbranch_execz .LBB214_1622
; %bb.1615:                             ;   in Loop: Header=BB214_1571 Depth=1
	v_mov_b32_e32 v11, v10
	v_mov_b32_e32 v22, v12
	v_cmp_ne_u16_sdwa s4, v7, v41 src0_sel:BYTE_1 src1_sel:DWORD
	v_mov_b32_e32 v21, v11
	s_and_saveexec_b32 s17, s4
	s_cbranch_execz .LBB214_1621
; %bb.1616:                             ;   in Loop: Header=BB214_1571 Depth=1
	v_and_b32_sdwa v8, v48, v7 dst_sel:DWORD dst_unused:UNUSED_PAD src0_sel:DWORD src1_sel:BYTE_1
	v_mov_b32_e32 v13, v10
	v_mov_b32_e32 v22, v14
	s_mov_b32 s18, exec_lo
	v_and_b32_e32 v11, 0x7f, v8
	v_mov_b32_e32 v21, v13
	v_cmpx_ne_u32_e32 0x7f, v11
	s_cbranch_execz .LBB214_1620
; %bb.1617:                             ;   in Loop: Header=BB214_1571 Depth=1
	v_and_b32_e32 v9, 7, v8
	v_lshrrev_b32_e32 v8, 3, v11
	s_mov_b32 s19, exec_lo
	v_cmpx_gt_u32_e32 8, v11
; %bb.1618:                             ;   in Loop: Header=BB214_1571 Depth=1
	v_ffbh_u32_e32 v8, v9
	v_min_u32_e32 v8, 32, v8
	v_subrev_nc_u32_e32 v11, 28, v8
	v_sub_nc_u32_e32 v8, 29, v8
	v_lshlrev_b64 v[21:22], v11, v[9:10]
	v_and_b32_e32 v9, 7, v21
; %bb.1619:                             ;   in Loop: Header=BB214_1571 Depth=1
	s_or_b32 exec_lo, exec_lo, s19
	v_lshlrev_b32_e32 v11, 16, v7
	v_lshlrev_b32_e32 v9, 20, v9
	v_lshl_add_u32 v8, v8, 23, 0x3c000000
	v_mov_b32_e32 v21, v10
	v_and_b32_e32 v11, 0x80000000, v11
	v_or3_b32 v22, v9, v11, v8
.LBB214_1620:                           ;   in Loop: Header=BB214_1571 Depth=1
	s_or_b32 exec_lo, exec_lo, s18
.LBB214_1621:                           ;   in Loop: Header=BB214_1571 Depth=1
	s_or_b32 exec_lo, exec_lo, s17
.LBB214_1622:                           ;   in Loop: Header=BB214_1571 Depth=1
	s_or_b32 exec_lo, exec_lo, s15
	v_mov_b32_e32 v25, 0
	v_mov_b32_e32 v23, 0
	v_and_b32_sdwa v8, v7, v43 dst_sel:DWORD dst_unused:UNUSED_PAD src0_sel:WORD_1 src1_sel:DWORD
	v_mov_b32_e32 v26, 0
	v_mov_b32_e32 v24, 0
	s_mov_b32 s15, exec_lo
	v_cmpx_ne_u16_e32 0, v8
	s_cbranch_execz .LBB214_1630
; %bb.1623:                             ;   in Loop: Header=BB214_1571 Depth=1
	v_bfrev_b32_e32 v23, 1
	v_mov_b32_e32 v24, 0
	s_mov_b32 s17, exec_lo
	v_cmpx_ne_u16_e32 0x80, v8
	s_cbranch_execz .LBB214_1629
; %bb.1624:                             ;   in Loop: Header=BB214_1571 Depth=1
	v_mov_b32_e32 v23, 0x7f800001
	v_bfe_u32 v11, v7, 16, 7
	v_mov_b32_e32 v24, 0
	s_mov_b32 s18, exec_lo
	v_cmpx_ne_u32_e32 0x7f, v11
	s_cbranch_execz .LBB214_1628
; %bb.1625:                             ;   in Loop: Header=BB214_1571 Depth=1
	v_mov_b32_e32 v8, 7
	s_mov_b32 s19, exec_lo
	v_and_b32_sdwa v9, v7, v8 dst_sel:DWORD dst_unused:UNUSED_PAD src0_sel:WORD_1 src1_sel:DWORD
	v_lshrrev_b32_e32 v8, 3, v11
	v_cmpx_gt_u32_e32 8, v11
; %bb.1626:                             ;   in Loop: Header=BB214_1571 Depth=1
	v_ffbh_u32_e32 v8, v9
	v_min_u32_e32 v8, 32, v8
	v_subrev_nc_u32_e32 v11, 28, v8
	v_sub_nc_u32_e32 v8, 29, v8
	v_lshlrev_b64 v[23:24], v11, v[9:10]
	v_and_b32_e32 v9, 7, v23
; %bb.1627:                             ;   in Loop: Header=BB214_1571 Depth=1
	s_or_b32 exec_lo, exec_lo, s19
	v_mov_b32_e32 v11, 24
	v_lshlrev_b32_e32 v9, 20, v9
	v_lshl_add_u32 v8, v8, 23, 0x3c000000
	v_lshlrev_b32_sdwa v11, v11, v7 dst_sel:DWORD dst_unused:UNUSED_PAD src0_sel:DWORD src1_sel:WORD_1
	v_and_b32_e32 v11, 0x80000000, v11
	v_or3_b32 v9, v9, v11, v8
	v_mov_b32_e32 v24, v10
	v_mov_b32_e32 v23, v9
.LBB214_1628:                           ;   in Loop: Header=BB214_1571 Depth=1
	s_or_b32 exec_lo, exec_lo, s18
.LBB214_1629:                           ;   in Loop: Header=BB214_1571 Depth=1
	s_or_b32 exec_lo, exec_lo, s17
.LBB214_1630:                           ;   in Loop: Header=BB214_1571 Depth=1
	s_or_b32 exec_lo, exec_lo, s15
	s_mov_b32 s15, exec_lo
	v_cmpx_lt_u32_e32 0xffffff, v7
	s_cbranch_execz .LBB214_1638
; %bb.1631:                             ;   in Loop: Header=BB214_1571 Depth=1
	v_mov_b32_e32 v11, v10
	v_mov_b32_e32 v26, v12
	v_cmp_ne_u32_sdwa s4, v7, v41 src0_sel:BYTE_3 src1_sel:DWORD
	v_mov_b32_e32 v25, v11
	s_and_saveexec_b32 s17, s4
	s_cbranch_execz .LBB214_1637
; %bb.1632:                             ;   in Loop: Header=BB214_1571 Depth=1
	v_mov_b32_e32 v13, v10
	v_mov_b32_e32 v26, v14
	v_bfe_u32 v11, v7, 24, 7
	s_mov_b32 s18, exec_lo
	v_mov_b32_e32 v25, v13
	v_cmpx_ne_u32_e32 0x7f, v11
	s_cbranch_execz .LBB214_1636
; %bb.1633:                             ;   in Loop: Header=BB214_1571 Depth=1
	v_mov_b32_e32 v8, 7
	s_mov_b32 s19, exec_lo
	v_and_b32_sdwa v9, v7, v8 dst_sel:DWORD dst_unused:UNUSED_PAD src0_sel:BYTE_3 src1_sel:DWORD
	v_lshrrev_b32_e32 v8, 3, v11
	v_cmpx_gt_u32_e32 8, v11
; %bb.1634:                             ;   in Loop: Header=BB214_1571 Depth=1
	v_ffbh_u32_e32 v8, v9
	v_min_u32_e32 v8, 32, v8
	v_subrev_nc_u32_e32 v11, 28, v8
	v_sub_nc_u32_e32 v8, 29, v8
	v_lshlrev_b64 v[25:26], v11, v[9:10]
	v_and_b32_e32 v9, 7, v25
; %bb.1635:                             ;   in Loop: Header=BB214_1571 Depth=1
	s_or_b32 exec_lo, exec_lo, s19
	v_mov_b32_e32 v11, 24
	v_lshlrev_b32_e32 v9, 20, v9
	v_lshl_add_u32 v8, v8, 23, 0x3c000000
	v_mov_b32_e32 v25, v10
	v_lshlrev_b32_sdwa v7, v11, v7 dst_sel:DWORD dst_unused:UNUSED_PAD src0_sel:DWORD src1_sel:BYTE_3
	v_and_b32_e32 v7, 0x80000000, v7
	v_or3_b32 v26, v9, v7, v8
.LBB214_1636:                           ;   in Loop: Header=BB214_1571 Depth=1
	s_or_b32 exec_lo, exec_lo, s18
.LBB214_1637:                           ;   in Loop: Header=BB214_1571 Depth=1
	s_or_b32 exec_lo, exec_lo, s17
.LBB214_1638:                           ;   in Loop: Header=BB214_1571 Depth=1
	s_or_b32 exec_lo, exec_lo, s15
	v_or_b32_e32 v7, v22, v20
	v_or_b32_e32 v8, v21, v19
	;; [unrolled: 1-line block ×4, first 2 shown]
	v_mul_f32_e32 v7, v74, v7
	buffer_store_dword v7, off, s[0:3], s32 offset:280 ; 4-byte Folded Spill
	v_mul_f32_e32 v7, v74, v8
	buffer_store_dword v7, off, s[0:3], s32 offset:272 ; 4-byte Folded Spill
	;; [unrolled: 2-line block ×4, first 2 shown]
	s_and_saveexec_b32 s15, vcc_lo
	s_cbranch_execz .LBB214_1640
; %bb.1639:                             ;   in Loop: Header=BB214_1571 Depth=1
	s_clause 0x1
	buffer_load_dword v7, off, s[0:3], s32 offset:200
	buffer_load_dword v8, off, s[0:3], s32 offset:272
	s_waitcnt vmcnt(1)
	v_cmp_lt_i32_e64 s4, v79, v7
	s_waitcnt vmcnt(0)
	v_cndmask_b32_e64 v8, 0, v8, s4
	v_cmp_lt_i32_e64 s4, v90, v7
	buffer_store_dword v8, off, s[0:3], s32 offset:272 ; 4-byte Folded Spill
	buffer_load_dword v8, off, s[0:3], s32 offset:280 ; 4-byte Folded Reload
	s_waitcnt vmcnt(0)
	v_cndmask_b32_e64 v8, 0, v8, s4
	v_cmp_lt_i32_e64 s4, v89, v7
	buffer_store_dword v8, off, s[0:3], s32 offset:280 ; 4-byte Folded Spill
	buffer_load_dword v8, off, s[0:3], s32 offset:264 ; 4-byte Folded Reload
	s_waitcnt vmcnt(0)
	v_cndmask_b32_e64 v8, 0, v8, s4
	v_cmp_lt_i32_e64 s4, v88, v7
	buffer_load_dword v7, off, s[0:3], s32 offset:256 ; 4-byte Folded Reload
	buffer_store_dword v8, off, s[0:3], s32 offset:264 ; 4-byte Folded Spill
	s_waitcnt vmcnt(0)
	v_cndmask_b32_e64 v7, 0, v7, s4
	buffer_store_dword v7, off, s[0:3], s32 offset:256 ; 4-byte Folded Spill
.LBB214_1640:                           ;   in Loop: Header=BB214_1571 Depth=1
	s_or_b32 exec_lo, exec_lo, s15
	flat_load_dword v7, v[0:1] offset:256
	v_mov_b32_e32 v21, 0
	v_mov_b32_e32 v19, 0
	;; [unrolled: 1-line block ×4, first 2 shown]
	s_waitcnt vmcnt(0) lgkmcnt(0)
	v_cmp_ne_u16_sdwa s4, v7, v10 src0_sel:BYTE_0 src1_sel:DWORD
	s_and_saveexec_b32 s15, s4
	s_cbranch_execz .LBB214_1648
; %bb.1641:                             ;   in Loop: Header=BB214_1571 Depth=1
	v_bfrev_b32_e32 v19, 1
	v_mov_b32_e32 v20, 0
	v_cmp_ne_u16_sdwa s4, v7, v41 src0_sel:BYTE_0 src1_sel:DWORD
	s_and_saveexec_b32 s17, s4
	s_cbranch_execz .LBB214_1647
; %bb.1642:                             ;   in Loop: Header=BB214_1571 Depth=1
	v_mov_b32_e32 v19, 0x7f800001
	v_and_b32_e32 v11, 0x7f, v7
	v_mov_b32_e32 v20, 0
	s_mov_b32 s18, exec_lo
	v_cmpx_ne_u32_e32 0x7f, v11
	s_cbranch_execz .LBB214_1646
; %bb.1643:                             ;   in Loop: Header=BB214_1571 Depth=1
	v_and_b32_e32 v9, 7, v7
	v_lshrrev_b32_e32 v8, 3, v11
	s_mov_b32 s19, exec_lo
	v_cmpx_gt_u32_e32 8, v11
; %bb.1644:                             ;   in Loop: Header=BB214_1571 Depth=1
	v_ffbh_u32_e32 v8, v9
	v_min_u32_e32 v8, 32, v8
	v_subrev_nc_u32_e32 v11, 28, v8
	v_sub_nc_u32_e32 v8, 29, v8
	v_lshlrev_b64 v[19:20], v11, v[9:10]
	v_and_b32_e32 v9, 7, v19
; %bb.1645:                             ;   in Loop: Header=BB214_1571 Depth=1
	s_or_b32 exec_lo, exec_lo, s19
	v_lshlrev_b32_e32 v11, 24, v7
	v_lshlrev_b32_e32 v9, 20, v9
	v_lshl_add_u32 v8, v8, 23, 0x3c000000
	v_and_b32_e32 v11, 0x80000000, v11
	v_or3_b32 v9, v9, v11, v8
	v_mov_b32_e32 v20, v10
	v_mov_b32_e32 v19, v9
.LBB214_1646:                           ;   in Loop: Header=BB214_1571 Depth=1
	s_or_b32 exec_lo, exec_lo, s18
.LBB214_1647:                           ;   in Loop: Header=BB214_1571 Depth=1
	s_or_b32 exec_lo, exec_lo, s17
.LBB214_1648:                           ;   in Loop: Header=BB214_1571 Depth=1
	s_or_b32 exec_lo, exec_lo, s15
	v_cmp_ne_u16_sdwa s4, v7, v10 src0_sel:BYTE_1 src1_sel:DWORD
	s_and_saveexec_b32 s15, s4
	s_cbranch_execz .LBB214_1656
; %bb.1649:                             ;   in Loop: Header=BB214_1571 Depth=1
	v_mov_b32_e32 v11, v10
	v_mov_b32_e32 v22, v12
	v_cmp_ne_u16_sdwa s4, v7, v41 src0_sel:BYTE_1 src1_sel:DWORD
	v_mov_b32_e32 v21, v11
	s_and_saveexec_b32 s17, s4
	s_cbranch_execz .LBB214_1655
; %bb.1650:                             ;   in Loop: Header=BB214_1571 Depth=1
	v_and_b32_sdwa v8, v48, v7 dst_sel:DWORD dst_unused:UNUSED_PAD src0_sel:DWORD src1_sel:BYTE_1
	v_mov_b32_e32 v13, v10
	v_mov_b32_e32 v22, v14
	s_mov_b32 s18, exec_lo
	v_and_b32_e32 v11, 0x7f, v8
	v_mov_b32_e32 v21, v13
	v_cmpx_ne_u32_e32 0x7f, v11
	s_cbranch_execz .LBB214_1654
; %bb.1651:                             ;   in Loop: Header=BB214_1571 Depth=1
	v_and_b32_e32 v9, 7, v8
	v_lshrrev_b32_e32 v8, 3, v11
	s_mov_b32 s19, exec_lo
	v_cmpx_gt_u32_e32 8, v11
; %bb.1652:                             ;   in Loop: Header=BB214_1571 Depth=1
	v_ffbh_u32_e32 v8, v9
	v_min_u32_e32 v8, 32, v8
	v_subrev_nc_u32_e32 v11, 28, v8
	v_sub_nc_u32_e32 v8, 29, v8
	v_lshlrev_b64 v[21:22], v11, v[9:10]
	v_and_b32_e32 v9, 7, v21
; %bb.1653:                             ;   in Loop: Header=BB214_1571 Depth=1
	s_or_b32 exec_lo, exec_lo, s19
	v_lshlrev_b32_e32 v11, 16, v7
	v_lshlrev_b32_e32 v9, 20, v9
	v_lshl_add_u32 v8, v8, 23, 0x3c000000
	v_mov_b32_e32 v21, v10
	v_and_b32_e32 v11, 0x80000000, v11
	v_or3_b32 v22, v9, v11, v8
.LBB214_1654:                           ;   in Loop: Header=BB214_1571 Depth=1
	s_or_b32 exec_lo, exec_lo, s18
.LBB214_1655:                           ;   in Loop: Header=BB214_1571 Depth=1
	s_or_b32 exec_lo, exec_lo, s17
.LBB214_1656:                           ;   in Loop: Header=BB214_1571 Depth=1
	s_or_b32 exec_lo, exec_lo, s15
	v_mov_b32_e32 v25, 0
	v_mov_b32_e32 v23, 0
	v_and_b32_sdwa v8, v7, v43 dst_sel:DWORD dst_unused:UNUSED_PAD src0_sel:WORD_1 src1_sel:DWORD
	v_mov_b32_e32 v26, 0
	v_mov_b32_e32 v24, 0
	s_mov_b32 s15, exec_lo
	v_cmpx_ne_u16_e32 0, v8
	s_cbranch_execz .LBB214_1664
; %bb.1657:                             ;   in Loop: Header=BB214_1571 Depth=1
	v_bfrev_b32_e32 v23, 1
	v_mov_b32_e32 v24, 0
	s_mov_b32 s17, exec_lo
	v_cmpx_ne_u16_e32 0x80, v8
	s_cbranch_execz .LBB214_1663
; %bb.1658:                             ;   in Loop: Header=BB214_1571 Depth=1
	v_mov_b32_e32 v23, 0x7f800001
	v_bfe_u32 v11, v7, 16, 7
	v_mov_b32_e32 v24, 0
	s_mov_b32 s18, exec_lo
	v_cmpx_ne_u32_e32 0x7f, v11
	s_cbranch_execz .LBB214_1662
; %bb.1659:                             ;   in Loop: Header=BB214_1571 Depth=1
	v_mov_b32_e32 v8, 7
	s_mov_b32 s19, exec_lo
	v_and_b32_sdwa v9, v7, v8 dst_sel:DWORD dst_unused:UNUSED_PAD src0_sel:WORD_1 src1_sel:DWORD
	v_lshrrev_b32_e32 v8, 3, v11
	v_cmpx_gt_u32_e32 8, v11
; %bb.1660:                             ;   in Loop: Header=BB214_1571 Depth=1
	v_ffbh_u32_e32 v8, v9
	v_min_u32_e32 v8, 32, v8
	v_subrev_nc_u32_e32 v11, 28, v8
	v_sub_nc_u32_e32 v8, 29, v8
	v_lshlrev_b64 v[23:24], v11, v[9:10]
	v_and_b32_e32 v9, 7, v23
; %bb.1661:                             ;   in Loop: Header=BB214_1571 Depth=1
	s_or_b32 exec_lo, exec_lo, s19
	v_mov_b32_e32 v11, 24
	v_lshlrev_b32_e32 v9, 20, v9
	v_lshl_add_u32 v8, v8, 23, 0x3c000000
	v_lshlrev_b32_sdwa v11, v11, v7 dst_sel:DWORD dst_unused:UNUSED_PAD src0_sel:DWORD src1_sel:WORD_1
	v_and_b32_e32 v11, 0x80000000, v11
	v_or3_b32 v9, v9, v11, v8
	v_mov_b32_e32 v24, v10
	v_mov_b32_e32 v23, v9
.LBB214_1662:                           ;   in Loop: Header=BB214_1571 Depth=1
	s_or_b32 exec_lo, exec_lo, s18
.LBB214_1663:                           ;   in Loop: Header=BB214_1571 Depth=1
	s_or_b32 exec_lo, exec_lo, s17
.LBB214_1664:                           ;   in Loop: Header=BB214_1571 Depth=1
	s_or_b32 exec_lo, exec_lo, s15
	s_mov_b32 s15, exec_lo
	v_cmpx_lt_u32_e32 0xffffff, v7
	s_cbranch_execz .LBB214_1672
; %bb.1665:                             ;   in Loop: Header=BB214_1571 Depth=1
	v_mov_b32_e32 v11, v10
	v_mov_b32_e32 v26, v12
	v_cmp_ne_u32_sdwa s4, v7, v41 src0_sel:BYTE_3 src1_sel:DWORD
	v_mov_b32_e32 v25, v11
	s_and_saveexec_b32 s17, s4
	s_cbranch_execz .LBB214_1671
; %bb.1666:                             ;   in Loop: Header=BB214_1571 Depth=1
	v_mov_b32_e32 v13, v10
	v_mov_b32_e32 v26, v14
	v_bfe_u32 v11, v7, 24, 7
	s_mov_b32 s18, exec_lo
	v_mov_b32_e32 v25, v13
	v_cmpx_ne_u32_e32 0x7f, v11
	s_cbranch_execz .LBB214_1670
; %bb.1667:                             ;   in Loop: Header=BB214_1571 Depth=1
	v_mov_b32_e32 v8, 7
	s_mov_b32 s19, exec_lo
	v_and_b32_sdwa v9, v7, v8 dst_sel:DWORD dst_unused:UNUSED_PAD src0_sel:BYTE_3 src1_sel:DWORD
	v_lshrrev_b32_e32 v8, 3, v11
	v_cmpx_gt_u32_e32 8, v11
; %bb.1668:                             ;   in Loop: Header=BB214_1571 Depth=1
	v_ffbh_u32_e32 v8, v9
	v_min_u32_e32 v8, 32, v8
	v_subrev_nc_u32_e32 v11, 28, v8
	v_sub_nc_u32_e32 v8, 29, v8
	v_lshlrev_b64 v[25:26], v11, v[9:10]
	v_and_b32_e32 v9, 7, v25
; %bb.1669:                             ;   in Loop: Header=BB214_1571 Depth=1
	s_or_b32 exec_lo, exec_lo, s19
	v_mov_b32_e32 v11, 24
	v_lshlrev_b32_e32 v9, 20, v9
	v_lshl_add_u32 v8, v8, 23, 0x3c000000
	v_mov_b32_e32 v25, v10
	v_lshlrev_b32_sdwa v7, v11, v7 dst_sel:DWORD dst_unused:UNUSED_PAD src0_sel:DWORD src1_sel:BYTE_3
	v_and_b32_e32 v7, 0x80000000, v7
	v_or3_b32 v26, v9, v7, v8
.LBB214_1670:                           ;   in Loop: Header=BB214_1571 Depth=1
	s_or_b32 exec_lo, exec_lo, s18
.LBB214_1671:                           ;   in Loop: Header=BB214_1571 Depth=1
	s_or_b32 exec_lo, exec_lo, s17
.LBB214_1672:                           ;   in Loop: Header=BB214_1571 Depth=1
	s_or_b32 exec_lo, exec_lo, s15
	v_or_b32_e32 v7, v22, v20
	v_or_b32_e32 v8, v21, v19
	;; [unrolled: 1-line block ×4, first 2 shown]
	v_mul_f32_e32 v7, v74, v7
	buffer_store_dword v7, off, s[0:3], s32 offset:312 ; 4-byte Folded Spill
	v_mul_f32_e32 v7, v74, v8
	buffer_store_dword v7, off, s[0:3], s32 offset:304 ; 4-byte Folded Spill
	;; [unrolled: 2-line block ×4, first 2 shown]
	s_and_saveexec_b32 s15, vcc_lo
	s_cbranch_execz .LBB214_1674
; %bb.1673:                             ;   in Loop: Header=BB214_1571 Depth=1
	s_clause 0x1
	buffer_load_dword v7, off, s[0:3], s32 offset:200
	buffer_load_dword v8, off, s[0:3], s32 offset:304
	s_waitcnt vmcnt(1)
	v_cmp_lt_i32_e64 s4, v79, v7
	s_waitcnt vmcnt(0)
	v_cndmask_b32_e64 v8, 0, v8, s4
	v_cmp_lt_i32_e64 s4, v90, v7
	buffer_store_dword v8, off, s[0:3], s32 offset:304 ; 4-byte Folded Spill
	buffer_load_dword v8, off, s[0:3], s32 offset:312 ; 4-byte Folded Reload
	s_waitcnt vmcnt(0)
	v_cndmask_b32_e64 v8, 0, v8, s4
	v_cmp_lt_i32_e64 s4, v89, v7
	buffer_store_dword v8, off, s[0:3], s32 offset:312 ; 4-byte Folded Spill
	buffer_load_dword v8, off, s[0:3], s32 offset:296 ; 4-byte Folded Reload
	s_waitcnt vmcnt(0)
	v_cndmask_b32_e64 v8, 0, v8, s4
	v_cmp_lt_i32_e64 s4, v88, v7
	buffer_load_dword v7, off, s[0:3], s32 offset:288 ; 4-byte Folded Reload
	buffer_store_dword v8, off, s[0:3], s32 offset:296 ; 4-byte Folded Spill
	s_waitcnt vmcnt(0)
	v_cndmask_b32_e64 v7, 0, v7, s4
	buffer_store_dword v7, off, s[0:3], s32 offset:288 ; 4-byte Folded Spill
.LBB214_1674:                           ;   in Loop: Header=BB214_1571 Depth=1
	s_or_b32 exec_lo, exec_lo, s15
	flat_load_dword v7, v[0:1] offset:384
	v_mov_b32_e32 v21, 0
	v_mov_b32_e32 v19, 0
	;; [unrolled: 1-line block ×4, first 2 shown]
	s_waitcnt vmcnt(0) lgkmcnt(0)
	v_cmp_ne_u16_sdwa s4, v7, v10 src0_sel:BYTE_0 src1_sel:DWORD
	s_and_saveexec_b32 s15, s4
	s_cbranch_execz .LBB214_1682
; %bb.1675:                             ;   in Loop: Header=BB214_1571 Depth=1
	v_bfrev_b32_e32 v19, 1
	v_mov_b32_e32 v20, 0
	v_cmp_ne_u16_sdwa s4, v7, v41 src0_sel:BYTE_0 src1_sel:DWORD
	s_and_saveexec_b32 s17, s4
	s_cbranch_execz .LBB214_1681
; %bb.1676:                             ;   in Loop: Header=BB214_1571 Depth=1
	v_mov_b32_e32 v19, 0x7f800001
	v_and_b32_e32 v11, 0x7f, v7
	v_mov_b32_e32 v20, 0
	s_mov_b32 s18, exec_lo
	v_cmpx_ne_u32_e32 0x7f, v11
	s_cbranch_execz .LBB214_1680
; %bb.1677:                             ;   in Loop: Header=BB214_1571 Depth=1
	v_and_b32_e32 v9, 7, v7
	v_lshrrev_b32_e32 v8, 3, v11
	s_mov_b32 s19, exec_lo
	v_cmpx_gt_u32_e32 8, v11
; %bb.1678:                             ;   in Loop: Header=BB214_1571 Depth=1
	v_ffbh_u32_e32 v8, v9
	v_min_u32_e32 v8, 32, v8
	v_subrev_nc_u32_e32 v11, 28, v8
	v_sub_nc_u32_e32 v8, 29, v8
	v_lshlrev_b64 v[19:20], v11, v[9:10]
	v_and_b32_e32 v9, 7, v19
; %bb.1679:                             ;   in Loop: Header=BB214_1571 Depth=1
	s_or_b32 exec_lo, exec_lo, s19
	v_lshlrev_b32_e32 v11, 24, v7
	v_lshlrev_b32_e32 v9, 20, v9
	v_lshl_add_u32 v8, v8, 23, 0x3c000000
	v_and_b32_e32 v11, 0x80000000, v11
	v_or3_b32 v9, v9, v11, v8
	v_mov_b32_e32 v20, v10
	v_mov_b32_e32 v19, v9
.LBB214_1680:                           ;   in Loop: Header=BB214_1571 Depth=1
	s_or_b32 exec_lo, exec_lo, s18
.LBB214_1681:                           ;   in Loop: Header=BB214_1571 Depth=1
	s_or_b32 exec_lo, exec_lo, s17
.LBB214_1682:                           ;   in Loop: Header=BB214_1571 Depth=1
	s_or_b32 exec_lo, exec_lo, s15
	v_cmp_ne_u16_sdwa s4, v7, v10 src0_sel:BYTE_1 src1_sel:DWORD
	s_and_saveexec_b32 s15, s4
	s_cbranch_execz .LBB214_1690
; %bb.1683:                             ;   in Loop: Header=BB214_1571 Depth=1
	v_mov_b32_e32 v11, v10
	v_mov_b32_e32 v22, v12
	v_cmp_ne_u16_sdwa s4, v7, v41 src0_sel:BYTE_1 src1_sel:DWORD
	v_mov_b32_e32 v21, v11
	s_and_saveexec_b32 s17, s4
	s_cbranch_execz .LBB214_1689
; %bb.1684:                             ;   in Loop: Header=BB214_1571 Depth=1
	v_and_b32_sdwa v8, v48, v7 dst_sel:DWORD dst_unused:UNUSED_PAD src0_sel:DWORD src1_sel:BYTE_1
	v_mov_b32_e32 v13, v10
	v_mov_b32_e32 v22, v14
	s_mov_b32 s18, exec_lo
	v_and_b32_e32 v11, 0x7f, v8
	v_mov_b32_e32 v21, v13
	v_cmpx_ne_u32_e32 0x7f, v11
	s_cbranch_execz .LBB214_1688
; %bb.1685:                             ;   in Loop: Header=BB214_1571 Depth=1
	v_and_b32_e32 v9, 7, v8
	v_lshrrev_b32_e32 v8, 3, v11
	s_mov_b32 s19, exec_lo
	v_cmpx_gt_u32_e32 8, v11
; %bb.1686:                             ;   in Loop: Header=BB214_1571 Depth=1
	v_ffbh_u32_e32 v8, v9
	v_min_u32_e32 v8, 32, v8
	v_subrev_nc_u32_e32 v11, 28, v8
	v_sub_nc_u32_e32 v8, 29, v8
	v_lshlrev_b64 v[21:22], v11, v[9:10]
	v_and_b32_e32 v9, 7, v21
; %bb.1687:                             ;   in Loop: Header=BB214_1571 Depth=1
	s_or_b32 exec_lo, exec_lo, s19
	v_lshlrev_b32_e32 v11, 16, v7
	v_lshlrev_b32_e32 v9, 20, v9
	v_lshl_add_u32 v8, v8, 23, 0x3c000000
	v_mov_b32_e32 v21, v10
	v_and_b32_e32 v11, 0x80000000, v11
	v_or3_b32 v22, v9, v11, v8
.LBB214_1688:                           ;   in Loop: Header=BB214_1571 Depth=1
	s_or_b32 exec_lo, exec_lo, s18
.LBB214_1689:                           ;   in Loop: Header=BB214_1571 Depth=1
	s_or_b32 exec_lo, exec_lo, s17
.LBB214_1690:                           ;   in Loop: Header=BB214_1571 Depth=1
	s_or_b32 exec_lo, exec_lo, s15
	v_mov_b32_e32 v25, 0
	v_mov_b32_e32 v23, 0
	v_and_b32_sdwa v8, v7, v43 dst_sel:DWORD dst_unused:UNUSED_PAD src0_sel:WORD_1 src1_sel:DWORD
	v_mov_b32_e32 v26, 0
	v_mov_b32_e32 v24, 0
	s_mov_b32 s15, exec_lo
	v_cmpx_ne_u16_e32 0, v8
	s_cbranch_execz .LBB214_1698
; %bb.1691:                             ;   in Loop: Header=BB214_1571 Depth=1
	v_bfrev_b32_e32 v23, 1
	v_mov_b32_e32 v24, 0
	s_mov_b32 s17, exec_lo
	v_cmpx_ne_u16_e32 0x80, v8
	s_cbranch_execz .LBB214_1697
; %bb.1692:                             ;   in Loop: Header=BB214_1571 Depth=1
	v_mov_b32_e32 v23, 0x7f800001
	v_bfe_u32 v11, v7, 16, 7
	v_mov_b32_e32 v24, 0
	s_mov_b32 s18, exec_lo
	v_cmpx_ne_u32_e32 0x7f, v11
	s_cbranch_execz .LBB214_1696
; %bb.1693:                             ;   in Loop: Header=BB214_1571 Depth=1
	v_mov_b32_e32 v8, 7
	s_mov_b32 s19, exec_lo
	v_and_b32_sdwa v9, v7, v8 dst_sel:DWORD dst_unused:UNUSED_PAD src0_sel:WORD_1 src1_sel:DWORD
	v_lshrrev_b32_e32 v8, 3, v11
	v_cmpx_gt_u32_e32 8, v11
; %bb.1694:                             ;   in Loop: Header=BB214_1571 Depth=1
	v_ffbh_u32_e32 v8, v9
	v_min_u32_e32 v8, 32, v8
	v_subrev_nc_u32_e32 v11, 28, v8
	v_sub_nc_u32_e32 v8, 29, v8
	v_lshlrev_b64 v[23:24], v11, v[9:10]
	v_and_b32_e32 v9, 7, v23
; %bb.1695:                             ;   in Loop: Header=BB214_1571 Depth=1
	s_or_b32 exec_lo, exec_lo, s19
	v_mov_b32_e32 v11, 24
	v_lshlrev_b32_e32 v9, 20, v9
	v_lshl_add_u32 v8, v8, 23, 0x3c000000
	v_lshlrev_b32_sdwa v11, v11, v7 dst_sel:DWORD dst_unused:UNUSED_PAD src0_sel:DWORD src1_sel:WORD_1
	v_and_b32_e32 v11, 0x80000000, v11
	v_or3_b32 v9, v9, v11, v8
	v_mov_b32_e32 v24, v10
	v_mov_b32_e32 v23, v9
.LBB214_1696:                           ;   in Loop: Header=BB214_1571 Depth=1
	s_or_b32 exec_lo, exec_lo, s18
.LBB214_1697:                           ;   in Loop: Header=BB214_1571 Depth=1
	s_or_b32 exec_lo, exec_lo, s17
.LBB214_1698:                           ;   in Loop: Header=BB214_1571 Depth=1
	s_or_b32 exec_lo, exec_lo, s15
	s_mov_b32 s15, exec_lo
	v_cmpx_lt_u32_e32 0xffffff, v7
	s_cbranch_execz .LBB214_1706
; %bb.1699:                             ;   in Loop: Header=BB214_1571 Depth=1
	v_mov_b32_e32 v11, v10
	v_mov_b32_e32 v26, v12
	v_cmp_ne_u32_sdwa s4, v7, v41 src0_sel:BYTE_3 src1_sel:DWORD
	v_mov_b32_e32 v25, v11
	s_and_saveexec_b32 s17, s4
	s_cbranch_execz .LBB214_1705
; %bb.1700:                             ;   in Loop: Header=BB214_1571 Depth=1
	v_mov_b32_e32 v13, v10
	v_mov_b32_e32 v26, v14
	v_bfe_u32 v11, v7, 24, 7
	s_mov_b32 s18, exec_lo
	v_mov_b32_e32 v25, v13
	v_cmpx_ne_u32_e32 0x7f, v11
	s_cbranch_execz .LBB214_1704
; %bb.1701:                             ;   in Loop: Header=BB214_1571 Depth=1
	v_mov_b32_e32 v8, 7
	s_mov_b32 s19, exec_lo
	v_and_b32_sdwa v9, v7, v8 dst_sel:DWORD dst_unused:UNUSED_PAD src0_sel:BYTE_3 src1_sel:DWORD
	v_lshrrev_b32_e32 v8, 3, v11
	v_cmpx_gt_u32_e32 8, v11
; %bb.1702:                             ;   in Loop: Header=BB214_1571 Depth=1
	v_ffbh_u32_e32 v8, v9
	v_min_u32_e32 v8, 32, v8
	v_subrev_nc_u32_e32 v11, 28, v8
	v_sub_nc_u32_e32 v8, 29, v8
	v_lshlrev_b64 v[25:26], v11, v[9:10]
	v_and_b32_e32 v9, 7, v25
; %bb.1703:                             ;   in Loop: Header=BB214_1571 Depth=1
	s_or_b32 exec_lo, exec_lo, s19
	v_mov_b32_e32 v11, 24
	v_lshlrev_b32_e32 v9, 20, v9
	v_lshl_add_u32 v8, v8, 23, 0x3c000000
	v_mov_b32_e32 v25, v10
	v_lshlrev_b32_sdwa v7, v11, v7 dst_sel:DWORD dst_unused:UNUSED_PAD src0_sel:DWORD src1_sel:BYTE_3
	v_and_b32_e32 v7, 0x80000000, v7
	v_or3_b32 v26, v9, v7, v8
.LBB214_1704:                           ;   in Loop: Header=BB214_1571 Depth=1
	s_or_b32 exec_lo, exec_lo, s18
.LBB214_1705:                           ;   in Loop: Header=BB214_1571 Depth=1
	s_or_b32 exec_lo, exec_lo, s17
.LBB214_1706:                           ;   in Loop: Header=BB214_1571 Depth=1
	s_or_b32 exec_lo, exec_lo, s15
	v_or_b32_e32 v7, v22, v20
	v_or_b32_e32 v8, v21, v19
	v_or_b32_e32 v9, v25, v23
	v_or_b32_e32 v11, v26, v24
	v_mul_f32_e32 v7, v74, v7
	buffer_store_dword v7, off, s[0:3], s32 offset:344 ; 4-byte Folded Spill
	v_mul_f32_e32 v7, v74, v8
	buffer_store_dword v7, off, s[0:3], s32 offset:336 ; 4-byte Folded Spill
	;; [unrolled: 2-line block ×4, first 2 shown]
	s_and_saveexec_b32 s15, vcc_lo
	s_cbranch_execz .LBB214_1708
; %bb.1707:                             ;   in Loop: Header=BB214_1571 Depth=1
	s_clause 0x1
	buffer_load_dword v7, off, s[0:3], s32 offset:200
	buffer_load_dword v8, off, s[0:3], s32 offset:336
	s_waitcnt vmcnt(1)
	v_cmp_lt_i32_e64 s4, v79, v7
	s_waitcnt vmcnt(0)
	v_cndmask_b32_e64 v8, 0, v8, s4
	v_cmp_lt_i32_e64 s4, v90, v7
	buffer_store_dword v8, off, s[0:3], s32 offset:336 ; 4-byte Folded Spill
	buffer_load_dword v8, off, s[0:3], s32 offset:344 ; 4-byte Folded Reload
	s_waitcnt vmcnt(0)
	v_cndmask_b32_e64 v8, 0, v8, s4
	v_cmp_lt_i32_e64 s4, v89, v7
	buffer_store_dword v8, off, s[0:3], s32 offset:344 ; 4-byte Folded Spill
	buffer_load_dword v8, off, s[0:3], s32 offset:328 ; 4-byte Folded Reload
	s_waitcnt vmcnt(0)
	v_cndmask_b32_e64 v8, 0, v8, s4
	v_cmp_lt_i32_e64 s4, v88, v7
	buffer_load_dword v7, off, s[0:3], s32 offset:320 ; 4-byte Folded Reload
	buffer_store_dword v8, off, s[0:3], s32 offset:328 ; 4-byte Folded Spill
	s_waitcnt vmcnt(0)
	v_cndmask_b32_e64 v7, 0, v7, s4
	buffer_store_dword v7, off, s[0:3], s32 offset:320 ; 4-byte Folded Spill
.LBB214_1708:                           ;   in Loop: Header=BB214_1571 Depth=1
	s_or_b32 exec_lo, exec_lo, s15
	flat_load_dword v7, v[0:1] offset:512
	v_mov_b32_e32 v21, 0
	v_mov_b32_e32 v19, 0
	;; [unrolled: 1-line block ×4, first 2 shown]
	s_waitcnt vmcnt(0) lgkmcnt(0)
	v_cmp_ne_u16_sdwa s4, v7, v10 src0_sel:BYTE_0 src1_sel:DWORD
	s_and_saveexec_b32 s15, s4
	s_cbranch_execz .LBB214_1716
; %bb.1709:                             ;   in Loop: Header=BB214_1571 Depth=1
	v_bfrev_b32_e32 v19, 1
	v_mov_b32_e32 v20, 0
	v_cmp_ne_u16_sdwa s4, v7, v41 src0_sel:BYTE_0 src1_sel:DWORD
	s_and_saveexec_b32 s17, s4
	s_cbranch_execz .LBB214_1715
; %bb.1710:                             ;   in Loop: Header=BB214_1571 Depth=1
	v_mov_b32_e32 v19, 0x7f800001
	v_and_b32_e32 v11, 0x7f, v7
	v_mov_b32_e32 v20, 0
	s_mov_b32 s18, exec_lo
	v_cmpx_ne_u32_e32 0x7f, v11
	s_cbranch_execz .LBB214_1714
; %bb.1711:                             ;   in Loop: Header=BB214_1571 Depth=1
	v_and_b32_e32 v9, 7, v7
	v_lshrrev_b32_e32 v8, 3, v11
	s_mov_b32 s19, exec_lo
	v_cmpx_gt_u32_e32 8, v11
; %bb.1712:                             ;   in Loop: Header=BB214_1571 Depth=1
	v_ffbh_u32_e32 v8, v9
	v_min_u32_e32 v8, 32, v8
	v_subrev_nc_u32_e32 v11, 28, v8
	v_sub_nc_u32_e32 v8, 29, v8
	v_lshlrev_b64 v[19:20], v11, v[9:10]
	v_and_b32_e32 v9, 7, v19
; %bb.1713:                             ;   in Loop: Header=BB214_1571 Depth=1
	s_or_b32 exec_lo, exec_lo, s19
	v_lshlrev_b32_e32 v11, 24, v7
	v_lshlrev_b32_e32 v9, 20, v9
	v_lshl_add_u32 v8, v8, 23, 0x3c000000
	v_and_b32_e32 v11, 0x80000000, v11
	v_or3_b32 v9, v9, v11, v8
	v_mov_b32_e32 v20, v10
	v_mov_b32_e32 v19, v9
.LBB214_1714:                           ;   in Loop: Header=BB214_1571 Depth=1
	s_or_b32 exec_lo, exec_lo, s18
.LBB214_1715:                           ;   in Loop: Header=BB214_1571 Depth=1
	s_or_b32 exec_lo, exec_lo, s17
.LBB214_1716:                           ;   in Loop: Header=BB214_1571 Depth=1
	s_or_b32 exec_lo, exec_lo, s15
	v_cmp_ne_u16_sdwa s4, v7, v10 src0_sel:BYTE_1 src1_sel:DWORD
	s_and_saveexec_b32 s15, s4
	s_cbranch_execz .LBB214_1724
; %bb.1717:                             ;   in Loop: Header=BB214_1571 Depth=1
	v_mov_b32_e32 v11, v10
	v_mov_b32_e32 v22, v12
	v_cmp_ne_u16_sdwa s4, v7, v41 src0_sel:BYTE_1 src1_sel:DWORD
	v_mov_b32_e32 v21, v11
	s_and_saveexec_b32 s17, s4
	s_cbranch_execz .LBB214_1723
; %bb.1718:                             ;   in Loop: Header=BB214_1571 Depth=1
	v_and_b32_sdwa v8, v48, v7 dst_sel:DWORD dst_unused:UNUSED_PAD src0_sel:DWORD src1_sel:BYTE_1
	v_mov_b32_e32 v13, v10
	v_mov_b32_e32 v22, v14
	s_mov_b32 s18, exec_lo
	v_and_b32_e32 v11, 0x7f, v8
	v_mov_b32_e32 v21, v13
	v_cmpx_ne_u32_e32 0x7f, v11
	s_cbranch_execz .LBB214_1722
; %bb.1719:                             ;   in Loop: Header=BB214_1571 Depth=1
	v_and_b32_e32 v9, 7, v8
	v_lshrrev_b32_e32 v8, 3, v11
	s_mov_b32 s19, exec_lo
	v_cmpx_gt_u32_e32 8, v11
; %bb.1720:                             ;   in Loop: Header=BB214_1571 Depth=1
	v_ffbh_u32_e32 v8, v9
	v_min_u32_e32 v8, 32, v8
	v_subrev_nc_u32_e32 v11, 28, v8
	v_sub_nc_u32_e32 v8, 29, v8
	v_lshlrev_b64 v[21:22], v11, v[9:10]
	v_and_b32_e32 v9, 7, v21
; %bb.1721:                             ;   in Loop: Header=BB214_1571 Depth=1
	s_or_b32 exec_lo, exec_lo, s19
	v_lshlrev_b32_e32 v11, 16, v7
	v_lshlrev_b32_e32 v9, 20, v9
	v_lshl_add_u32 v8, v8, 23, 0x3c000000
	v_mov_b32_e32 v21, v10
	v_and_b32_e32 v11, 0x80000000, v11
	v_or3_b32 v22, v9, v11, v8
.LBB214_1722:                           ;   in Loop: Header=BB214_1571 Depth=1
	s_or_b32 exec_lo, exec_lo, s18
.LBB214_1723:                           ;   in Loop: Header=BB214_1571 Depth=1
	s_or_b32 exec_lo, exec_lo, s17
.LBB214_1724:                           ;   in Loop: Header=BB214_1571 Depth=1
	s_or_b32 exec_lo, exec_lo, s15
	v_mov_b32_e32 v25, 0
	v_mov_b32_e32 v23, 0
	v_and_b32_sdwa v8, v7, v43 dst_sel:DWORD dst_unused:UNUSED_PAD src0_sel:WORD_1 src1_sel:DWORD
	v_mov_b32_e32 v26, 0
	v_mov_b32_e32 v24, 0
	s_mov_b32 s15, exec_lo
	v_cmpx_ne_u16_e32 0, v8
	s_cbranch_execz .LBB214_1732
; %bb.1725:                             ;   in Loop: Header=BB214_1571 Depth=1
	v_bfrev_b32_e32 v23, 1
	v_mov_b32_e32 v24, 0
	s_mov_b32 s17, exec_lo
	v_cmpx_ne_u16_e32 0x80, v8
	s_cbranch_execz .LBB214_1731
; %bb.1726:                             ;   in Loop: Header=BB214_1571 Depth=1
	v_mov_b32_e32 v23, 0x7f800001
	v_bfe_u32 v11, v7, 16, 7
	v_mov_b32_e32 v24, 0
	s_mov_b32 s18, exec_lo
	v_cmpx_ne_u32_e32 0x7f, v11
	s_cbranch_execz .LBB214_1730
; %bb.1727:                             ;   in Loop: Header=BB214_1571 Depth=1
	v_mov_b32_e32 v8, 7
	s_mov_b32 s19, exec_lo
	v_and_b32_sdwa v9, v7, v8 dst_sel:DWORD dst_unused:UNUSED_PAD src0_sel:WORD_1 src1_sel:DWORD
	v_lshrrev_b32_e32 v8, 3, v11
	v_cmpx_gt_u32_e32 8, v11
; %bb.1728:                             ;   in Loop: Header=BB214_1571 Depth=1
	v_ffbh_u32_e32 v8, v9
	v_min_u32_e32 v8, 32, v8
	v_subrev_nc_u32_e32 v11, 28, v8
	v_sub_nc_u32_e32 v8, 29, v8
	v_lshlrev_b64 v[23:24], v11, v[9:10]
	v_and_b32_e32 v9, 7, v23
; %bb.1729:                             ;   in Loop: Header=BB214_1571 Depth=1
	s_or_b32 exec_lo, exec_lo, s19
	v_mov_b32_e32 v11, 24
	v_lshlrev_b32_e32 v9, 20, v9
	v_lshl_add_u32 v8, v8, 23, 0x3c000000
	v_lshlrev_b32_sdwa v11, v11, v7 dst_sel:DWORD dst_unused:UNUSED_PAD src0_sel:DWORD src1_sel:WORD_1
	v_and_b32_e32 v11, 0x80000000, v11
	v_or3_b32 v9, v9, v11, v8
	v_mov_b32_e32 v24, v10
	v_mov_b32_e32 v23, v9
.LBB214_1730:                           ;   in Loop: Header=BB214_1571 Depth=1
	s_or_b32 exec_lo, exec_lo, s18
.LBB214_1731:                           ;   in Loop: Header=BB214_1571 Depth=1
	s_or_b32 exec_lo, exec_lo, s17
.LBB214_1732:                           ;   in Loop: Header=BB214_1571 Depth=1
	s_or_b32 exec_lo, exec_lo, s15
	s_mov_b32 s15, exec_lo
	v_cmpx_lt_u32_e32 0xffffff, v7
	s_cbranch_execz .LBB214_1740
; %bb.1733:                             ;   in Loop: Header=BB214_1571 Depth=1
	v_mov_b32_e32 v11, v10
	v_mov_b32_e32 v26, v12
	v_cmp_ne_u32_sdwa s4, v7, v41 src0_sel:BYTE_3 src1_sel:DWORD
	v_mov_b32_e32 v25, v11
	s_and_saveexec_b32 s17, s4
	s_cbranch_execz .LBB214_1739
; %bb.1734:                             ;   in Loop: Header=BB214_1571 Depth=1
	v_mov_b32_e32 v13, v10
	v_mov_b32_e32 v26, v14
	v_bfe_u32 v11, v7, 24, 7
	s_mov_b32 s18, exec_lo
	v_mov_b32_e32 v25, v13
	v_cmpx_ne_u32_e32 0x7f, v11
	s_cbranch_execz .LBB214_1738
; %bb.1735:                             ;   in Loop: Header=BB214_1571 Depth=1
	v_mov_b32_e32 v8, 7
	s_mov_b32 s19, exec_lo
	v_and_b32_sdwa v9, v7, v8 dst_sel:DWORD dst_unused:UNUSED_PAD src0_sel:BYTE_3 src1_sel:DWORD
	v_lshrrev_b32_e32 v8, 3, v11
	v_cmpx_gt_u32_e32 8, v11
; %bb.1736:                             ;   in Loop: Header=BB214_1571 Depth=1
	v_ffbh_u32_e32 v8, v9
	v_min_u32_e32 v8, 32, v8
	v_subrev_nc_u32_e32 v11, 28, v8
	v_sub_nc_u32_e32 v8, 29, v8
	v_lshlrev_b64 v[25:26], v11, v[9:10]
	v_and_b32_e32 v9, 7, v25
; %bb.1737:                             ;   in Loop: Header=BB214_1571 Depth=1
	s_or_b32 exec_lo, exec_lo, s19
	v_mov_b32_e32 v11, 24
	v_lshlrev_b32_e32 v9, 20, v9
	v_lshl_add_u32 v8, v8, 23, 0x3c000000
	v_mov_b32_e32 v25, v10
	v_lshlrev_b32_sdwa v7, v11, v7 dst_sel:DWORD dst_unused:UNUSED_PAD src0_sel:DWORD src1_sel:BYTE_3
	v_and_b32_e32 v7, 0x80000000, v7
	v_or3_b32 v26, v9, v7, v8
.LBB214_1738:                           ;   in Loop: Header=BB214_1571 Depth=1
	s_or_b32 exec_lo, exec_lo, s18
.LBB214_1739:                           ;   in Loop: Header=BB214_1571 Depth=1
	s_or_b32 exec_lo, exec_lo, s17
.LBB214_1740:                           ;   in Loop: Header=BB214_1571 Depth=1
	s_or_b32 exec_lo, exec_lo, s15
	v_or_b32_e32 v7, v22, v20
	v_or_b32_e32 v8, v21, v19
	v_or_b32_e32 v9, v25, v23
	v_or_b32_e32 v11, v26, v24
	v_mul_f32_e32 v7, v74, v7
	buffer_store_dword v7, off, s[0:3], s32 offset:376 ; 4-byte Folded Spill
	v_mul_f32_e32 v7, v74, v8
	buffer_store_dword v7, off, s[0:3], s32 offset:368 ; 4-byte Folded Spill
	;; [unrolled: 2-line block ×4, first 2 shown]
	s_and_saveexec_b32 s15, vcc_lo
	s_cbranch_execz .LBB214_1742
; %bb.1741:                             ;   in Loop: Header=BB214_1571 Depth=1
	s_clause 0x1
	buffer_load_dword v7, off, s[0:3], s32 offset:200
	buffer_load_dword v8, off, s[0:3], s32 offset:368
	s_waitcnt vmcnt(1)
	v_cmp_lt_i32_e64 s4, v79, v7
	s_waitcnt vmcnt(0)
	v_cndmask_b32_e64 v8, 0, v8, s4
	v_cmp_lt_i32_e64 s4, v90, v7
	buffer_store_dword v8, off, s[0:3], s32 offset:368 ; 4-byte Folded Spill
	buffer_load_dword v8, off, s[0:3], s32 offset:376 ; 4-byte Folded Reload
	s_waitcnt vmcnt(0)
	v_cndmask_b32_e64 v8, 0, v8, s4
	v_cmp_lt_i32_e64 s4, v89, v7
	buffer_store_dword v8, off, s[0:3], s32 offset:376 ; 4-byte Folded Spill
	buffer_load_dword v8, off, s[0:3], s32 offset:360 ; 4-byte Folded Reload
	s_waitcnt vmcnt(0)
	v_cndmask_b32_e64 v8, 0, v8, s4
	v_cmp_lt_i32_e64 s4, v88, v7
	buffer_load_dword v7, off, s[0:3], s32 offset:352 ; 4-byte Folded Reload
	buffer_store_dword v8, off, s[0:3], s32 offset:360 ; 4-byte Folded Spill
	s_waitcnt vmcnt(0)
	v_cndmask_b32_e64 v7, 0, v7, s4
	buffer_store_dword v7, off, s[0:3], s32 offset:352 ; 4-byte Folded Spill
.LBB214_1742:                           ;   in Loop: Header=BB214_1571 Depth=1
	s_or_b32 exec_lo, exec_lo, s15
	flat_load_dword v7, v[0:1] offset:640
	v_mov_b32_e32 v21, 0
	v_mov_b32_e32 v19, 0
	;; [unrolled: 1-line block ×4, first 2 shown]
	s_waitcnt vmcnt(0) lgkmcnt(0)
	v_cmp_ne_u16_sdwa s4, v7, v10 src0_sel:BYTE_0 src1_sel:DWORD
	s_and_saveexec_b32 s15, s4
	s_cbranch_execz .LBB214_1750
; %bb.1743:                             ;   in Loop: Header=BB214_1571 Depth=1
	v_bfrev_b32_e32 v19, 1
	v_mov_b32_e32 v20, 0
	v_cmp_ne_u16_sdwa s4, v7, v41 src0_sel:BYTE_0 src1_sel:DWORD
	s_and_saveexec_b32 s17, s4
	s_cbranch_execz .LBB214_1749
; %bb.1744:                             ;   in Loop: Header=BB214_1571 Depth=1
	v_mov_b32_e32 v19, 0x7f800001
	v_and_b32_e32 v11, 0x7f, v7
	v_mov_b32_e32 v20, 0
	s_mov_b32 s18, exec_lo
	v_cmpx_ne_u32_e32 0x7f, v11
	s_cbranch_execz .LBB214_1748
; %bb.1745:                             ;   in Loop: Header=BB214_1571 Depth=1
	v_and_b32_e32 v9, 7, v7
	v_lshrrev_b32_e32 v8, 3, v11
	s_mov_b32 s19, exec_lo
	v_cmpx_gt_u32_e32 8, v11
; %bb.1746:                             ;   in Loop: Header=BB214_1571 Depth=1
	v_ffbh_u32_e32 v8, v9
	v_min_u32_e32 v8, 32, v8
	v_subrev_nc_u32_e32 v11, 28, v8
	v_sub_nc_u32_e32 v8, 29, v8
	v_lshlrev_b64 v[19:20], v11, v[9:10]
	v_and_b32_e32 v9, 7, v19
; %bb.1747:                             ;   in Loop: Header=BB214_1571 Depth=1
	s_or_b32 exec_lo, exec_lo, s19
	v_lshlrev_b32_e32 v11, 24, v7
	v_lshlrev_b32_e32 v9, 20, v9
	v_lshl_add_u32 v8, v8, 23, 0x3c000000
	v_and_b32_e32 v11, 0x80000000, v11
	v_or3_b32 v9, v9, v11, v8
	v_mov_b32_e32 v20, v10
	v_mov_b32_e32 v19, v9
.LBB214_1748:                           ;   in Loop: Header=BB214_1571 Depth=1
	s_or_b32 exec_lo, exec_lo, s18
.LBB214_1749:                           ;   in Loop: Header=BB214_1571 Depth=1
	s_or_b32 exec_lo, exec_lo, s17
.LBB214_1750:                           ;   in Loop: Header=BB214_1571 Depth=1
	s_or_b32 exec_lo, exec_lo, s15
	v_cmp_ne_u16_sdwa s4, v7, v10 src0_sel:BYTE_1 src1_sel:DWORD
	s_and_saveexec_b32 s15, s4
	s_cbranch_execz .LBB214_1758
; %bb.1751:                             ;   in Loop: Header=BB214_1571 Depth=1
	v_mov_b32_e32 v11, v10
	v_mov_b32_e32 v22, v12
	v_cmp_ne_u16_sdwa s4, v7, v41 src0_sel:BYTE_1 src1_sel:DWORD
	v_mov_b32_e32 v21, v11
	s_and_saveexec_b32 s17, s4
	s_cbranch_execz .LBB214_1757
; %bb.1752:                             ;   in Loop: Header=BB214_1571 Depth=1
	v_and_b32_sdwa v8, v48, v7 dst_sel:DWORD dst_unused:UNUSED_PAD src0_sel:DWORD src1_sel:BYTE_1
	v_mov_b32_e32 v13, v10
	v_mov_b32_e32 v22, v14
	s_mov_b32 s18, exec_lo
	v_and_b32_e32 v11, 0x7f, v8
	v_mov_b32_e32 v21, v13
	v_cmpx_ne_u32_e32 0x7f, v11
	s_cbranch_execz .LBB214_1756
; %bb.1753:                             ;   in Loop: Header=BB214_1571 Depth=1
	v_and_b32_e32 v9, 7, v8
	v_lshrrev_b32_e32 v8, 3, v11
	s_mov_b32 s19, exec_lo
	v_cmpx_gt_u32_e32 8, v11
; %bb.1754:                             ;   in Loop: Header=BB214_1571 Depth=1
	v_ffbh_u32_e32 v8, v9
	v_min_u32_e32 v8, 32, v8
	v_subrev_nc_u32_e32 v11, 28, v8
	v_sub_nc_u32_e32 v8, 29, v8
	v_lshlrev_b64 v[21:22], v11, v[9:10]
	v_and_b32_e32 v9, 7, v21
; %bb.1755:                             ;   in Loop: Header=BB214_1571 Depth=1
	s_or_b32 exec_lo, exec_lo, s19
	v_lshlrev_b32_e32 v11, 16, v7
	v_lshlrev_b32_e32 v9, 20, v9
	v_lshl_add_u32 v8, v8, 23, 0x3c000000
	v_mov_b32_e32 v21, v10
	v_and_b32_e32 v11, 0x80000000, v11
	v_or3_b32 v22, v9, v11, v8
.LBB214_1756:                           ;   in Loop: Header=BB214_1571 Depth=1
	s_or_b32 exec_lo, exec_lo, s18
.LBB214_1757:                           ;   in Loop: Header=BB214_1571 Depth=1
	s_or_b32 exec_lo, exec_lo, s17
.LBB214_1758:                           ;   in Loop: Header=BB214_1571 Depth=1
	s_or_b32 exec_lo, exec_lo, s15
	v_mov_b32_e32 v23, 0
	v_mov_b32_e32 v25, 0
	v_and_b32_sdwa v8, v7, v43 dst_sel:DWORD dst_unused:UNUSED_PAD src0_sel:WORD_1 src1_sel:DWORD
	v_mov_b32_e32 v24, 0
	v_mov_b32_e32 v26, 0
	s_mov_b32 s15, exec_lo
	v_cmpx_ne_u16_e32 0, v8
	s_cbranch_execz .LBB214_1766
; %bb.1759:                             ;   in Loop: Header=BB214_1571 Depth=1
	v_bfrev_b32_e32 v25, 1
	v_mov_b32_e32 v26, 0
	s_mov_b32 s17, exec_lo
	v_cmpx_ne_u16_e32 0x80, v8
	s_cbranch_execz .LBB214_1765
; %bb.1760:                             ;   in Loop: Header=BB214_1571 Depth=1
	v_mov_b32_e32 v25, 0x7f800001
	v_bfe_u32 v11, v7, 16, 7
	v_mov_b32_e32 v26, 0
	s_mov_b32 s18, exec_lo
	v_cmpx_ne_u32_e32 0x7f, v11
	s_cbranch_execz .LBB214_1764
; %bb.1761:                             ;   in Loop: Header=BB214_1571 Depth=1
	v_mov_b32_e32 v8, 7
	s_mov_b32 s19, exec_lo
	v_and_b32_sdwa v9, v7, v8 dst_sel:DWORD dst_unused:UNUSED_PAD src0_sel:WORD_1 src1_sel:DWORD
	v_lshrrev_b32_e32 v8, 3, v11
	v_cmpx_gt_u32_e32 8, v11
; %bb.1762:                             ;   in Loop: Header=BB214_1571 Depth=1
	v_ffbh_u32_e32 v8, v9
	v_min_u32_e32 v8, 32, v8
	v_subrev_nc_u32_e32 v11, 28, v8
	v_sub_nc_u32_e32 v8, 29, v8
	v_lshlrev_b64 v[25:26], v11, v[9:10]
	v_and_b32_e32 v9, 7, v25
; %bb.1763:                             ;   in Loop: Header=BB214_1571 Depth=1
	s_or_b32 exec_lo, exec_lo, s19
	v_mov_b32_e32 v11, 24
	v_lshlrev_b32_e32 v9, 20, v9
	v_lshl_add_u32 v8, v8, 23, 0x3c000000
	v_lshlrev_b32_sdwa v11, v11, v7 dst_sel:DWORD dst_unused:UNUSED_PAD src0_sel:DWORD src1_sel:WORD_1
	v_and_b32_e32 v11, 0x80000000, v11
	v_or3_b32 v9, v9, v11, v8
	v_mov_b32_e32 v26, v10
	v_mov_b32_e32 v25, v9
.LBB214_1764:                           ;   in Loop: Header=BB214_1571 Depth=1
	s_or_b32 exec_lo, exec_lo, s18
.LBB214_1765:                           ;   in Loop: Header=BB214_1571 Depth=1
	s_or_b32 exec_lo, exec_lo, s17
.LBB214_1766:                           ;   in Loop: Header=BB214_1571 Depth=1
	s_or_b32 exec_lo, exec_lo, s15
	s_mov_b32 s15, exec_lo
	v_cmpx_lt_u32_e32 0xffffff, v7
	s_cbranch_execz .LBB214_1774
; %bb.1767:                             ;   in Loop: Header=BB214_1571 Depth=1
	v_mov_b32_e32 v11, v10
	v_mov_b32_e32 v24, v12
	v_cmp_ne_u32_sdwa s4, v7, v41 src0_sel:BYTE_3 src1_sel:DWORD
	v_mov_b32_e32 v23, v11
	s_and_saveexec_b32 s17, s4
	s_cbranch_execz .LBB214_1773
; %bb.1768:                             ;   in Loop: Header=BB214_1571 Depth=1
	v_mov_b32_e32 v13, v10
	v_mov_b32_e32 v24, v14
	v_bfe_u32 v11, v7, 24, 7
	s_mov_b32 s18, exec_lo
	v_mov_b32_e32 v23, v13
	v_cmpx_ne_u32_e32 0x7f, v11
	s_cbranch_execz .LBB214_1772
; %bb.1769:                             ;   in Loop: Header=BB214_1571 Depth=1
	v_mov_b32_e32 v8, 7
	s_mov_b32 s19, exec_lo
	v_and_b32_sdwa v9, v7, v8 dst_sel:DWORD dst_unused:UNUSED_PAD src0_sel:BYTE_3 src1_sel:DWORD
	v_lshrrev_b32_e32 v8, 3, v11
	v_cmpx_gt_u32_e32 8, v11
; %bb.1770:                             ;   in Loop: Header=BB214_1571 Depth=1
	v_ffbh_u32_e32 v8, v9
	v_min_u32_e32 v8, 32, v8
	v_subrev_nc_u32_e32 v11, 28, v8
	v_sub_nc_u32_e32 v8, 29, v8
	v_lshlrev_b64 v[23:24], v11, v[9:10]
	v_and_b32_e32 v9, 7, v23
; %bb.1771:                             ;   in Loop: Header=BB214_1571 Depth=1
	s_or_b32 exec_lo, exec_lo, s19
	v_mov_b32_e32 v11, 24
	v_lshlrev_b32_e32 v9, 20, v9
	v_lshl_add_u32 v8, v8, 23, 0x3c000000
	v_mov_b32_e32 v23, v10
	v_lshlrev_b32_sdwa v7, v11, v7 dst_sel:DWORD dst_unused:UNUSED_PAD src0_sel:DWORD src1_sel:BYTE_3
	v_and_b32_e32 v7, 0x80000000, v7
	v_or3_b32 v24, v9, v7, v8
.LBB214_1772:                           ;   in Loop: Header=BB214_1571 Depth=1
	s_or_b32 exec_lo, exec_lo, s18
.LBB214_1773:                           ;   in Loop: Header=BB214_1571 Depth=1
	s_or_b32 exec_lo, exec_lo, s17
.LBB214_1774:                           ;   in Loop: Header=BB214_1571 Depth=1
	s_or_b32 exec_lo, exec_lo, s15
	v_or_b32_e32 v7, v22, v20
	v_or_b32_e32 v8, v21, v19
	;; [unrolled: 1-line block ×4, first 2 shown]
	v_mul_f32_e32 v7, v74, v7
	buffer_store_dword v7, off, s[0:3], s32 offset:408 ; 4-byte Folded Spill
	v_mul_f32_e32 v7, v74, v8
	buffer_store_dword v7, off, s[0:3], s32 offset:400 ; 4-byte Folded Spill
	;; [unrolled: 2-line block ×4, first 2 shown]
	s_and_saveexec_b32 s15, vcc_lo
	s_cbranch_execz .LBB214_1776
; %bb.1775:                             ;   in Loop: Header=BB214_1571 Depth=1
	s_clause 0x1
	buffer_load_dword v7, off, s[0:3], s32 offset:200
	buffer_load_dword v8, off, s[0:3], s32 offset:400
	s_waitcnt vmcnt(1)
	v_cmp_lt_i32_e64 s4, v79, v7
	s_waitcnt vmcnt(0)
	v_cndmask_b32_e64 v8, 0, v8, s4
	v_cmp_lt_i32_e64 s4, v90, v7
	buffer_store_dword v8, off, s[0:3], s32 offset:400 ; 4-byte Folded Spill
	buffer_load_dword v8, off, s[0:3], s32 offset:408 ; 4-byte Folded Reload
	s_waitcnt vmcnt(0)
	v_cndmask_b32_e64 v8, 0, v8, s4
	v_cmp_lt_i32_e64 s4, v89, v7
	buffer_store_dword v8, off, s[0:3], s32 offset:408 ; 4-byte Folded Spill
	buffer_load_dword v8, off, s[0:3], s32 offset:392 ; 4-byte Folded Reload
	s_waitcnt vmcnt(0)
	v_cndmask_b32_e64 v8, 0, v8, s4
	v_cmp_lt_i32_e64 s4, v88, v7
	buffer_load_dword v7, off, s[0:3], s32 offset:384 ; 4-byte Folded Reload
	buffer_store_dword v8, off, s[0:3], s32 offset:392 ; 4-byte Folded Spill
	s_waitcnt vmcnt(0)
	v_cndmask_b32_e64 v7, 0, v7, s4
	buffer_store_dword v7, off, s[0:3], s32 offset:384 ; 4-byte Folded Spill
.LBB214_1776:                           ;   in Loop: Header=BB214_1571 Depth=1
	s_or_b32 exec_lo, exec_lo, s15
	flat_load_dword v7, v[0:1] offset:768
	v_mov_b32_e32 v21, 0
	v_mov_b32_e32 v19, 0
	;; [unrolled: 1-line block ×4, first 2 shown]
	s_waitcnt vmcnt(0) lgkmcnt(0)
	v_cmp_ne_u16_sdwa s4, v7, v10 src0_sel:BYTE_0 src1_sel:DWORD
	s_and_saveexec_b32 s15, s4
	s_cbranch_execz .LBB214_1784
; %bb.1777:                             ;   in Loop: Header=BB214_1571 Depth=1
	v_bfrev_b32_e32 v19, 1
	v_mov_b32_e32 v20, 0
	v_cmp_ne_u16_sdwa s4, v7, v41 src0_sel:BYTE_0 src1_sel:DWORD
	s_and_saveexec_b32 s17, s4
	s_cbranch_execz .LBB214_1783
; %bb.1778:                             ;   in Loop: Header=BB214_1571 Depth=1
	v_mov_b32_e32 v19, 0x7f800001
	v_and_b32_e32 v11, 0x7f, v7
	v_mov_b32_e32 v20, 0
	s_mov_b32 s18, exec_lo
	v_cmpx_ne_u32_e32 0x7f, v11
	s_cbranch_execz .LBB214_1782
; %bb.1779:                             ;   in Loop: Header=BB214_1571 Depth=1
	v_and_b32_e32 v9, 7, v7
	v_lshrrev_b32_e32 v8, 3, v11
	s_mov_b32 s19, exec_lo
	v_cmpx_gt_u32_e32 8, v11
; %bb.1780:                             ;   in Loop: Header=BB214_1571 Depth=1
	v_ffbh_u32_e32 v8, v9
	v_min_u32_e32 v8, 32, v8
	v_subrev_nc_u32_e32 v11, 28, v8
	v_sub_nc_u32_e32 v8, 29, v8
	v_lshlrev_b64 v[19:20], v11, v[9:10]
	v_and_b32_e32 v9, 7, v19
; %bb.1781:                             ;   in Loop: Header=BB214_1571 Depth=1
	s_or_b32 exec_lo, exec_lo, s19
	v_lshlrev_b32_e32 v11, 24, v7
	v_lshlrev_b32_e32 v9, 20, v9
	v_lshl_add_u32 v8, v8, 23, 0x3c000000
	v_and_b32_e32 v11, 0x80000000, v11
	v_or3_b32 v9, v9, v11, v8
	v_mov_b32_e32 v20, v10
	v_mov_b32_e32 v19, v9
.LBB214_1782:                           ;   in Loop: Header=BB214_1571 Depth=1
	s_or_b32 exec_lo, exec_lo, s18
.LBB214_1783:                           ;   in Loop: Header=BB214_1571 Depth=1
	s_or_b32 exec_lo, exec_lo, s17
.LBB214_1784:                           ;   in Loop: Header=BB214_1571 Depth=1
	s_or_b32 exec_lo, exec_lo, s15
	v_cmp_ne_u16_sdwa s4, v7, v10 src0_sel:BYTE_1 src1_sel:DWORD
	s_and_saveexec_b32 s15, s4
	s_cbranch_execz .LBB214_1792
; %bb.1785:                             ;   in Loop: Header=BB214_1571 Depth=1
	v_mov_b32_e32 v11, v10
	v_mov_b32_e32 v22, v12
	v_cmp_ne_u16_sdwa s4, v7, v41 src0_sel:BYTE_1 src1_sel:DWORD
	v_mov_b32_e32 v21, v11
	s_and_saveexec_b32 s17, s4
	s_cbranch_execz .LBB214_1791
; %bb.1786:                             ;   in Loop: Header=BB214_1571 Depth=1
	v_and_b32_sdwa v8, v48, v7 dst_sel:DWORD dst_unused:UNUSED_PAD src0_sel:DWORD src1_sel:BYTE_1
	v_mov_b32_e32 v13, v10
	v_mov_b32_e32 v22, v14
	s_mov_b32 s18, exec_lo
	v_and_b32_e32 v11, 0x7f, v8
	v_mov_b32_e32 v21, v13
	v_cmpx_ne_u32_e32 0x7f, v11
	s_cbranch_execz .LBB214_1790
; %bb.1787:                             ;   in Loop: Header=BB214_1571 Depth=1
	v_and_b32_e32 v9, 7, v8
	v_lshrrev_b32_e32 v8, 3, v11
	s_mov_b32 s19, exec_lo
	v_cmpx_gt_u32_e32 8, v11
; %bb.1788:                             ;   in Loop: Header=BB214_1571 Depth=1
	v_ffbh_u32_e32 v8, v9
	v_min_u32_e32 v8, 32, v8
	v_subrev_nc_u32_e32 v11, 28, v8
	v_sub_nc_u32_e32 v8, 29, v8
	v_lshlrev_b64 v[21:22], v11, v[9:10]
	v_and_b32_e32 v9, 7, v21
; %bb.1789:                             ;   in Loop: Header=BB214_1571 Depth=1
	s_or_b32 exec_lo, exec_lo, s19
	v_lshlrev_b32_e32 v11, 16, v7
	v_lshlrev_b32_e32 v9, 20, v9
	v_lshl_add_u32 v8, v8, 23, 0x3c000000
	v_mov_b32_e32 v21, v10
	v_and_b32_e32 v11, 0x80000000, v11
	v_or3_b32 v22, v9, v11, v8
.LBB214_1790:                           ;   in Loop: Header=BB214_1571 Depth=1
	s_or_b32 exec_lo, exec_lo, s18
.LBB214_1791:                           ;   in Loop: Header=BB214_1571 Depth=1
	s_or_b32 exec_lo, exec_lo, s17
.LBB214_1792:                           ;   in Loop: Header=BB214_1571 Depth=1
	s_or_b32 exec_lo, exec_lo, s15
	v_mov_b32_e32 v23, 0
	v_mov_b32_e32 v25, 0
	v_and_b32_sdwa v8, v7, v43 dst_sel:DWORD dst_unused:UNUSED_PAD src0_sel:WORD_1 src1_sel:DWORD
	v_mov_b32_e32 v24, 0
	v_mov_b32_e32 v26, 0
	s_mov_b32 s15, exec_lo
	v_cmpx_ne_u16_e32 0, v8
	s_cbranch_execz .LBB214_1800
; %bb.1793:                             ;   in Loop: Header=BB214_1571 Depth=1
	v_bfrev_b32_e32 v25, 1
	v_mov_b32_e32 v26, 0
	s_mov_b32 s17, exec_lo
	v_cmpx_ne_u16_e32 0x80, v8
	s_cbranch_execz .LBB214_1799
; %bb.1794:                             ;   in Loop: Header=BB214_1571 Depth=1
	v_mov_b32_e32 v25, 0x7f800001
	v_bfe_u32 v11, v7, 16, 7
	v_mov_b32_e32 v26, 0
	s_mov_b32 s18, exec_lo
	v_cmpx_ne_u32_e32 0x7f, v11
	s_cbranch_execz .LBB214_1798
; %bb.1795:                             ;   in Loop: Header=BB214_1571 Depth=1
	v_mov_b32_e32 v8, 7
	s_mov_b32 s19, exec_lo
	v_and_b32_sdwa v9, v7, v8 dst_sel:DWORD dst_unused:UNUSED_PAD src0_sel:WORD_1 src1_sel:DWORD
	v_lshrrev_b32_e32 v8, 3, v11
	v_cmpx_gt_u32_e32 8, v11
; %bb.1796:                             ;   in Loop: Header=BB214_1571 Depth=1
	v_ffbh_u32_e32 v8, v9
	v_min_u32_e32 v8, 32, v8
	v_subrev_nc_u32_e32 v11, 28, v8
	v_sub_nc_u32_e32 v8, 29, v8
	v_lshlrev_b64 v[25:26], v11, v[9:10]
	v_and_b32_e32 v9, 7, v25
; %bb.1797:                             ;   in Loop: Header=BB214_1571 Depth=1
	s_or_b32 exec_lo, exec_lo, s19
	v_mov_b32_e32 v11, 24
	v_lshlrev_b32_e32 v9, 20, v9
	v_lshl_add_u32 v8, v8, 23, 0x3c000000
	v_lshlrev_b32_sdwa v11, v11, v7 dst_sel:DWORD dst_unused:UNUSED_PAD src0_sel:DWORD src1_sel:WORD_1
	v_and_b32_e32 v11, 0x80000000, v11
	v_or3_b32 v9, v9, v11, v8
	v_mov_b32_e32 v26, v10
	v_mov_b32_e32 v25, v9
.LBB214_1798:                           ;   in Loop: Header=BB214_1571 Depth=1
	s_or_b32 exec_lo, exec_lo, s18
.LBB214_1799:                           ;   in Loop: Header=BB214_1571 Depth=1
	s_or_b32 exec_lo, exec_lo, s17
.LBB214_1800:                           ;   in Loop: Header=BB214_1571 Depth=1
	s_or_b32 exec_lo, exec_lo, s15
	s_mov_b32 s15, exec_lo
	v_cmpx_lt_u32_e32 0xffffff, v7
	s_cbranch_execz .LBB214_1808
; %bb.1801:                             ;   in Loop: Header=BB214_1571 Depth=1
	v_mov_b32_e32 v11, v10
	v_mov_b32_e32 v24, v12
	v_cmp_ne_u32_sdwa s4, v7, v41 src0_sel:BYTE_3 src1_sel:DWORD
	v_mov_b32_e32 v23, v11
	s_and_saveexec_b32 s17, s4
	s_cbranch_execz .LBB214_1807
; %bb.1802:                             ;   in Loop: Header=BB214_1571 Depth=1
	v_mov_b32_e32 v13, v10
	v_mov_b32_e32 v24, v14
	v_bfe_u32 v11, v7, 24, 7
	s_mov_b32 s18, exec_lo
	v_mov_b32_e32 v23, v13
	v_cmpx_ne_u32_e32 0x7f, v11
	s_cbranch_execz .LBB214_1806
; %bb.1803:                             ;   in Loop: Header=BB214_1571 Depth=1
	v_mov_b32_e32 v8, 7
	s_mov_b32 s19, exec_lo
	v_and_b32_sdwa v9, v7, v8 dst_sel:DWORD dst_unused:UNUSED_PAD src0_sel:BYTE_3 src1_sel:DWORD
	v_lshrrev_b32_e32 v8, 3, v11
	v_cmpx_gt_u32_e32 8, v11
; %bb.1804:                             ;   in Loop: Header=BB214_1571 Depth=1
	v_ffbh_u32_e32 v8, v9
	v_min_u32_e32 v8, 32, v8
	v_subrev_nc_u32_e32 v11, 28, v8
	v_sub_nc_u32_e32 v8, 29, v8
	v_lshlrev_b64 v[23:24], v11, v[9:10]
	v_and_b32_e32 v9, 7, v23
; %bb.1805:                             ;   in Loop: Header=BB214_1571 Depth=1
	s_or_b32 exec_lo, exec_lo, s19
	v_mov_b32_e32 v11, 24
	v_lshlrev_b32_e32 v9, 20, v9
	v_lshl_add_u32 v8, v8, 23, 0x3c000000
	v_mov_b32_e32 v23, v10
	v_lshlrev_b32_sdwa v7, v11, v7 dst_sel:DWORD dst_unused:UNUSED_PAD src0_sel:DWORD src1_sel:BYTE_3
	v_and_b32_e32 v7, 0x80000000, v7
	v_or3_b32 v24, v9, v7, v8
.LBB214_1806:                           ;   in Loop: Header=BB214_1571 Depth=1
	s_or_b32 exec_lo, exec_lo, s18
.LBB214_1807:                           ;   in Loop: Header=BB214_1571 Depth=1
	s_or_b32 exec_lo, exec_lo, s17
.LBB214_1808:                           ;   in Loop: Header=BB214_1571 Depth=1
	s_or_b32 exec_lo, exec_lo, s15
	v_or_b32_e32 v7, v22, v20
	v_or_b32_e32 v8, v21, v19
	;; [unrolled: 1-line block ×4, first 2 shown]
	v_mul_f32_e32 v7, v74, v7
	buffer_store_dword v7, off, s[0:3], s32 offset:440 ; 4-byte Folded Spill
	v_mul_f32_e32 v7, v74, v8
	buffer_store_dword v7, off, s[0:3], s32 offset:432 ; 4-byte Folded Spill
	;; [unrolled: 2-line block ×4, first 2 shown]
	s_and_saveexec_b32 s15, vcc_lo
	s_cbranch_execz .LBB214_1810
; %bb.1809:                             ;   in Loop: Header=BB214_1571 Depth=1
	s_clause 0x1
	buffer_load_dword v7, off, s[0:3], s32 offset:200
	buffer_load_dword v8, off, s[0:3], s32 offset:432
	s_waitcnt vmcnt(1)
	v_cmp_lt_i32_e64 s4, v79, v7
	s_waitcnt vmcnt(0)
	v_cndmask_b32_e64 v8, 0, v8, s4
	v_cmp_lt_i32_e64 s4, v90, v7
	buffer_store_dword v8, off, s[0:3], s32 offset:432 ; 4-byte Folded Spill
	buffer_load_dword v8, off, s[0:3], s32 offset:440 ; 4-byte Folded Reload
	s_waitcnt vmcnt(0)
	v_cndmask_b32_e64 v8, 0, v8, s4
	v_cmp_lt_i32_e64 s4, v89, v7
	buffer_store_dword v8, off, s[0:3], s32 offset:440 ; 4-byte Folded Spill
	buffer_load_dword v8, off, s[0:3], s32 offset:424 ; 4-byte Folded Reload
	s_waitcnt vmcnt(0)
	v_cndmask_b32_e64 v8, 0, v8, s4
	v_cmp_lt_i32_e64 s4, v88, v7
	buffer_load_dword v7, off, s[0:3], s32 offset:416 ; 4-byte Folded Reload
	buffer_store_dword v8, off, s[0:3], s32 offset:424 ; 4-byte Folded Spill
	s_waitcnt vmcnt(0)
	v_cndmask_b32_e64 v7, 0, v7, s4
	buffer_store_dword v7, off, s[0:3], s32 offset:416 ; 4-byte Folded Spill
.LBB214_1810:                           ;   in Loop: Header=BB214_1571 Depth=1
	s_or_b32 exec_lo, exec_lo, s15
	flat_load_dword v7, v[0:1] offset:896
	v_mov_b32_e32 v21, 0
	v_mov_b32_e32 v19, 0
	;; [unrolled: 1-line block ×4, first 2 shown]
	s_waitcnt vmcnt(0) lgkmcnt(0)
	v_cmp_ne_u16_sdwa s4, v7, v10 src0_sel:BYTE_0 src1_sel:DWORD
	s_and_saveexec_b32 s15, s4
	s_cbranch_execz .LBB214_1818
; %bb.1811:                             ;   in Loop: Header=BB214_1571 Depth=1
	v_bfrev_b32_e32 v19, 1
	v_mov_b32_e32 v20, 0
	v_cmp_ne_u16_sdwa s4, v7, v41 src0_sel:BYTE_0 src1_sel:DWORD
	s_and_saveexec_b32 s17, s4
	s_cbranch_execz .LBB214_1817
; %bb.1812:                             ;   in Loop: Header=BB214_1571 Depth=1
	v_mov_b32_e32 v19, 0x7f800001
	v_and_b32_e32 v11, 0x7f, v7
	v_mov_b32_e32 v20, 0
	s_mov_b32 s18, exec_lo
	v_cmpx_ne_u32_e32 0x7f, v11
	s_cbranch_execz .LBB214_1816
; %bb.1813:                             ;   in Loop: Header=BB214_1571 Depth=1
	v_and_b32_e32 v9, 7, v7
	v_lshrrev_b32_e32 v8, 3, v11
	s_mov_b32 s19, exec_lo
	v_cmpx_gt_u32_e32 8, v11
; %bb.1814:                             ;   in Loop: Header=BB214_1571 Depth=1
	v_ffbh_u32_e32 v8, v9
	v_min_u32_e32 v8, 32, v8
	v_subrev_nc_u32_e32 v11, 28, v8
	v_sub_nc_u32_e32 v8, 29, v8
	v_lshlrev_b64 v[19:20], v11, v[9:10]
	v_and_b32_e32 v9, 7, v19
; %bb.1815:                             ;   in Loop: Header=BB214_1571 Depth=1
	s_or_b32 exec_lo, exec_lo, s19
	v_lshlrev_b32_e32 v11, 24, v7
	v_lshlrev_b32_e32 v9, 20, v9
	v_lshl_add_u32 v8, v8, 23, 0x3c000000
	v_and_b32_e32 v11, 0x80000000, v11
	v_or3_b32 v9, v9, v11, v8
	v_mov_b32_e32 v20, v10
	v_mov_b32_e32 v19, v9
.LBB214_1816:                           ;   in Loop: Header=BB214_1571 Depth=1
	s_or_b32 exec_lo, exec_lo, s18
.LBB214_1817:                           ;   in Loop: Header=BB214_1571 Depth=1
	s_or_b32 exec_lo, exec_lo, s17
.LBB214_1818:                           ;   in Loop: Header=BB214_1571 Depth=1
	s_or_b32 exec_lo, exec_lo, s15
	v_cmp_ne_u16_sdwa s4, v7, v10 src0_sel:BYTE_1 src1_sel:DWORD
	s_and_saveexec_b32 s15, s4
	s_cbranch_execz .LBB214_1826
; %bb.1819:                             ;   in Loop: Header=BB214_1571 Depth=1
	v_mov_b32_e32 v11, v10
	v_mov_b32_e32 v22, v12
	v_cmp_ne_u16_sdwa s4, v7, v41 src0_sel:BYTE_1 src1_sel:DWORD
	v_mov_b32_e32 v21, v11
	s_and_saveexec_b32 s17, s4
	s_cbranch_execz .LBB214_1825
; %bb.1820:                             ;   in Loop: Header=BB214_1571 Depth=1
	v_and_b32_sdwa v8, v48, v7 dst_sel:DWORD dst_unused:UNUSED_PAD src0_sel:DWORD src1_sel:BYTE_1
	v_mov_b32_e32 v13, v10
	v_mov_b32_e32 v22, v14
	s_mov_b32 s18, exec_lo
	v_and_b32_e32 v11, 0x7f, v8
	v_mov_b32_e32 v21, v13
	v_cmpx_ne_u32_e32 0x7f, v11
	s_cbranch_execz .LBB214_1824
; %bb.1821:                             ;   in Loop: Header=BB214_1571 Depth=1
	v_and_b32_e32 v9, 7, v8
	v_lshrrev_b32_e32 v8, 3, v11
	s_mov_b32 s19, exec_lo
	v_cmpx_gt_u32_e32 8, v11
; %bb.1822:                             ;   in Loop: Header=BB214_1571 Depth=1
	v_ffbh_u32_e32 v8, v9
	v_min_u32_e32 v8, 32, v8
	v_subrev_nc_u32_e32 v11, 28, v8
	v_sub_nc_u32_e32 v8, 29, v8
	v_lshlrev_b64 v[21:22], v11, v[9:10]
	v_and_b32_e32 v9, 7, v21
; %bb.1823:                             ;   in Loop: Header=BB214_1571 Depth=1
	s_or_b32 exec_lo, exec_lo, s19
	v_lshlrev_b32_e32 v11, 16, v7
	v_lshlrev_b32_e32 v9, 20, v9
	v_lshl_add_u32 v8, v8, 23, 0x3c000000
	v_mov_b32_e32 v21, v10
	v_and_b32_e32 v11, 0x80000000, v11
	v_or3_b32 v22, v9, v11, v8
.LBB214_1824:                           ;   in Loop: Header=BB214_1571 Depth=1
	s_or_b32 exec_lo, exec_lo, s18
.LBB214_1825:                           ;   in Loop: Header=BB214_1571 Depth=1
	s_or_b32 exec_lo, exec_lo, s17
.LBB214_1826:                           ;   in Loop: Header=BB214_1571 Depth=1
	s_or_b32 exec_lo, exec_lo, s15
	v_mov_b32_e32 v23, 0
	v_mov_b32_e32 v25, 0
	v_and_b32_sdwa v8, v7, v43 dst_sel:DWORD dst_unused:UNUSED_PAD src0_sel:WORD_1 src1_sel:DWORD
	v_mov_b32_e32 v24, 0
	v_mov_b32_e32 v26, 0
	s_mov_b32 s15, exec_lo
	v_cmpx_ne_u16_e32 0, v8
	s_cbranch_execz .LBB214_1834
; %bb.1827:                             ;   in Loop: Header=BB214_1571 Depth=1
	v_bfrev_b32_e32 v25, 1
	v_mov_b32_e32 v26, 0
	s_mov_b32 s17, exec_lo
	v_cmpx_ne_u16_e32 0x80, v8
	s_cbranch_execz .LBB214_1833
; %bb.1828:                             ;   in Loop: Header=BB214_1571 Depth=1
	v_mov_b32_e32 v25, 0x7f800001
	v_bfe_u32 v11, v7, 16, 7
	v_mov_b32_e32 v26, 0
	s_mov_b32 s18, exec_lo
	v_cmpx_ne_u32_e32 0x7f, v11
	s_cbranch_execz .LBB214_1832
; %bb.1829:                             ;   in Loop: Header=BB214_1571 Depth=1
	v_mov_b32_e32 v8, 7
	s_mov_b32 s19, exec_lo
	v_and_b32_sdwa v9, v7, v8 dst_sel:DWORD dst_unused:UNUSED_PAD src0_sel:WORD_1 src1_sel:DWORD
	v_lshrrev_b32_e32 v8, 3, v11
	v_cmpx_gt_u32_e32 8, v11
; %bb.1830:                             ;   in Loop: Header=BB214_1571 Depth=1
	v_ffbh_u32_e32 v8, v9
	v_min_u32_e32 v8, 32, v8
	v_subrev_nc_u32_e32 v11, 28, v8
	v_sub_nc_u32_e32 v8, 29, v8
	v_lshlrev_b64 v[25:26], v11, v[9:10]
	v_and_b32_e32 v9, 7, v25
; %bb.1831:                             ;   in Loop: Header=BB214_1571 Depth=1
	s_or_b32 exec_lo, exec_lo, s19
	v_mov_b32_e32 v11, 24
	v_lshlrev_b32_e32 v9, 20, v9
	v_lshl_add_u32 v8, v8, 23, 0x3c000000
	v_lshlrev_b32_sdwa v11, v11, v7 dst_sel:DWORD dst_unused:UNUSED_PAD src0_sel:DWORD src1_sel:WORD_1
	v_and_b32_e32 v11, 0x80000000, v11
	v_or3_b32 v9, v9, v11, v8
	v_mov_b32_e32 v26, v10
	v_mov_b32_e32 v25, v9
.LBB214_1832:                           ;   in Loop: Header=BB214_1571 Depth=1
	s_or_b32 exec_lo, exec_lo, s18
.LBB214_1833:                           ;   in Loop: Header=BB214_1571 Depth=1
	s_or_b32 exec_lo, exec_lo, s17
.LBB214_1834:                           ;   in Loop: Header=BB214_1571 Depth=1
	s_or_b32 exec_lo, exec_lo, s15
	s_mov_b32 s15, exec_lo
	v_cmpx_lt_u32_e32 0xffffff, v7
	s_cbranch_execz .LBB214_1842
; %bb.1835:                             ;   in Loop: Header=BB214_1571 Depth=1
	v_mov_b32_e32 v11, v10
	v_mov_b32_e32 v24, v12
	v_cmp_ne_u32_sdwa s4, v7, v41 src0_sel:BYTE_3 src1_sel:DWORD
	v_mov_b32_e32 v23, v11
	s_and_saveexec_b32 s17, s4
	s_cbranch_execz .LBB214_1841
; %bb.1836:                             ;   in Loop: Header=BB214_1571 Depth=1
	v_mov_b32_e32 v13, v10
	v_mov_b32_e32 v24, v14
	v_bfe_u32 v11, v7, 24, 7
	s_mov_b32 s18, exec_lo
	v_mov_b32_e32 v23, v13
	v_cmpx_ne_u32_e32 0x7f, v11
	s_cbranch_execz .LBB214_1840
; %bb.1837:                             ;   in Loop: Header=BB214_1571 Depth=1
	v_mov_b32_e32 v8, 7
	s_mov_b32 s19, exec_lo
	v_and_b32_sdwa v9, v7, v8 dst_sel:DWORD dst_unused:UNUSED_PAD src0_sel:BYTE_3 src1_sel:DWORD
	v_lshrrev_b32_e32 v8, 3, v11
	v_cmpx_gt_u32_e32 8, v11
; %bb.1838:                             ;   in Loop: Header=BB214_1571 Depth=1
	v_ffbh_u32_e32 v8, v9
	v_min_u32_e32 v8, 32, v8
	v_subrev_nc_u32_e32 v11, 28, v8
	v_sub_nc_u32_e32 v8, 29, v8
	v_lshlrev_b64 v[23:24], v11, v[9:10]
	v_and_b32_e32 v9, 7, v23
; %bb.1839:                             ;   in Loop: Header=BB214_1571 Depth=1
	s_or_b32 exec_lo, exec_lo, s19
	v_mov_b32_e32 v11, 24
	v_lshlrev_b32_e32 v9, 20, v9
	v_lshl_add_u32 v8, v8, 23, 0x3c000000
	v_mov_b32_e32 v23, v10
	v_lshlrev_b32_sdwa v7, v11, v7 dst_sel:DWORD dst_unused:UNUSED_PAD src0_sel:DWORD src1_sel:BYTE_3
	v_and_b32_e32 v7, 0x80000000, v7
	v_or3_b32 v24, v9, v7, v8
.LBB214_1840:                           ;   in Loop: Header=BB214_1571 Depth=1
	s_or_b32 exec_lo, exec_lo, s18
.LBB214_1841:                           ;   in Loop: Header=BB214_1571 Depth=1
	s_or_b32 exec_lo, exec_lo, s17
.LBB214_1842:                           ;   in Loop: Header=BB214_1571 Depth=1
	s_or_b32 exec_lo, exec_lo, s15
	v_or_b32_e32 v7, v22, v20
	v_or_b32_e32 v8, v21, v19
	;; [unrolled: 1-line block ×4, first 2 shown]
	v_mul_f32_e32 v7, v74, v7
	buffer_store_dword v7, off, s[0:3], s32 offset:472 ; 4-byte Folded Spill
	v_mul_f32_e32 v7, v74, v8
	buffer_store_dword v7, off, s[0:3], s32 offset:464 ; 4-byte Folded Spill
	;; [unrolled: 2-line block ×4, first 2 shown]
	s_and_saveexec_b32 s15, vcc_lo
	s_cbranch_execz .LBB214_1844
; %bb.1843:                             ;   in Loop: Header=BB214_1571 Depth=1
	s_clause 0x1
	buffer_load_dword v7, off, s[0:3], s32 offset:200
	buffer_load_dword v8, off, s[0:3], s32 offset:464
	s_waitcnt vmcnt(1)
	v_cmp_lt_i32_e64 s4, v79, v7
	s_waitcnt vmcnt(0)
	v_cndmask_b32_e64 v8, 0, v8, s4
	v_cmp_lt_i32_e64 s4, v90, v7
	buffer_store_dword v8, off, s[0:3], s32 offset:464 ; 4-byte Folded Spill
	buffer_load_dword v8, off, s[0:3], s32 offset:472 ; 4-byte Folded Reload
	s_waitcnt vmcnt(0)
	v_cndmask_b32_e64 v8, 0, v8, s4
	v_cmp_lt_i32_e64 s4, v89, v7
	buffer_store_dword v8, off, s[0:3], s32 offset:472 ; 4-byte Folded Spill
	buffer_load_dword v8, off, s[0:3], s32 offset:456 ; 4-byte Folded Reload
	s_waitcnt vmcnt(0)
	v_cndmask_b32_e64 v8, 0, v8, s4
	v_cmp_lt_i32_e64 s4, v88, v7
	buffer_load_dword v7, off, s[0:3], s32 offset:448 ; 4-byte Folded Reload
	buffer_store_dword v8, off, s[0:3], s32 offset:456 ; 4-byte Folded Spill
	s_waitcnt vmcnt(0)
	v_cndmask_b32_e64 v7, 0, v7, s4
	buffer_store_dword v7, off, s[0:3], s32 offset:448 ; 4-byte Folded Spill
.LBB214_1844:                           ;   in Loop: Header=BB214_1571 Depth=1
	s_or_b32 exec_lo, exec_lo, s15
	flat_load_dword v7, v[0:1] offset:1024
	v_mov_b32_e32 v21, 0
	v_mov_b32_e32 v19, 0
	;; [unrolled: 1-line block ×4, first 2 shown]
	s_waitcnt vmcnt(0) lgkmcnt(0)
	v_cmp_ne_u16_sdwa s4, v7, v10 src0_sel:BYTE_0 src1_sel:DWORD
	s_and_saveexec_b32 s15, s4
	s_cbranch_execz .LBB214_1852
; %bb.1845:                             ;   in Loop: Header=BB214_1571 Depth=1
	v_bfrev_b32_e32 v19, 1
	v_mov_b32_e32 v20, 0
	v_cmp_ne_u16_sdwa s4, v7, v41 src0_sel:BYTE_0 src1_sel:DWORD
	s_and_saveexec_b32 s17, s4
	s_cbranch_execz .LBB214_1851
; %bb.1846:                             ;   in Loop: Header=BB214_1571 Depth=1
	v_mov_b32_e32 v19, 0x7f800001
	v_and_b32_e32 v11, 0x7f, v7
	v_mov_b32_e32 v20, 0
	s_mov_b32 s18, exec_lo
	v_cmpx_ne_u32_e32 0x7f, v11
	s_cbranch_execz .LBB214_1850
; %bb.1847:                             ;   in Loop: Header=BB214_1571 Depth=1
	v_and_b32_e32 v9, 7, v7
	v_lshrrev_b32_e32 v8, 3, v11
	s_mov_b32 s19, exec_lo
	v_cmpx_gt_u32_e32 8, v11
; %bb.1848:                             ;   in Loop: Header=BB214_1571 Depth=1
	v_ffbh_u32_e32 v8, v9
	v_min_u32_e32 v8, 32, v8
	v_subrev_nc_u32_e32 v11, 28, v8
	v_sub_nc_u32_e32 v8, 29, v8
	v_lshlrev_b64 v[19:20], v11, v[9:10]
	v_and_b32_e32 v9, 7, v19
; %bb.1849:                             ;   in Loop: Header=BB214_1571 Depth=1
	s_or_b32 exec_lo, exec_lo, s19
	v_lshlrev_b32_e32 v11, 24, v7
	v_lshlrev_b32_e32 v9, 20, v9
	v_lshl_add_u32 v8, v8, 23, 0x3c000000
	v_and_b32_e32 v11, 0x80000000, v11
	v_or3_b32 v9, v9, v11, v8
	v_mov_b32_e32 v20, v10
	v_mov_b32_e32 v19, v9
.LBB214_1850:                           ;   in Loop: Header=BB214_1571 Depth=1
	s_or_b32 exec_lo, exec_lo, s18
.LBB214_1851:                           ;   in Loop: Header=BB214_1571 Depth=1
	s_or_b32 exec_lo, exec_lo, s17
.LBB214_1852:                           ;   in Loop: Header=BB214_1571 Depth=1
	s_or_b32 exec_lo, exec_lo, s15
	v_cmp_ne_u16_sdwa s4, v7, v10 src0_sel:BYTE_1 src1_sel:DWORD
	s_and_saveexec_b32 s15, s4
	s_cbranch_execz .LBB214_1860
; %bb.1853:                             ;   in Loop: Header=BB214_1571 Depth=1
	v_mov_b32_e32 v11, v10
	v_mov_b32_e32 v22, v12
	v_cmp_ne_u16_sdwa s4, v7, v41 src0_sel:BYTE_1 src1_sel:DWORD
	v_mov_b32_e32 v21, v11
	s_and_saveexec_b32 s17, s4
	s_cbranch_execz .LBB214_1859
; %bb.1854:                             ;   in Loop: Header=BB214_1571 Depth=1
	v_and_b32_sdwa v8, v48, v7 dst_sel:DWORD dst_unused:UNUSED_PAD src0_sel:DWORD src1_sel:BYTE_1
	v_mov_b32_e32 v13, v10
	v_mov_b32_e32 v22, v14
	s_mov_b32 s18, exec_lo
	v_and_b32_e32 v11, 0x7f, v8
	v_mov_b32_e32 v21, v13
	v_cmpx_ne_u32_e32 0x7f, v11
	s_cbranch_execz .LBB214_1858
; %bb.1855:                             ;   in Loop: Header=BB214_1571 Depth=1
	v_and_b32_e32 v9, 7, v8
	v_lshrrev_b32_e32 v8, 3, v11
	s_mov_b32 s19, exec_lo
	v_cmpx_gt_u32_e32 8, v11
; %bb.1856:                             ;   in Loop: Header=BB214_1571 Depth=1
	v_ffbh_u32_e32 v8, v9
	v_min_u32_e32 v8, 32, v8
	v_subrev_nc_u32_e32 v11, 28, v8
	v_sub_nc_u32_e32 v8, 29, v8
	v_lshlrev_b64 v[21:22], v11, v[9:10]
	v_and_b32_e32 v9, 7, v21
; %bb.1857:                             ;   in Loop: Header=BB214_1571 Depth=1
	s_or_b32 exec_lo, exec_lo, s19
	v_lshlrev_b32_e32 v11, 16, v7
	v_lshlrev_b32_e32 v9, 20, v9
	v_lshl_add_u32 v8, v8, 23, 0x3c000000
	v_mov_b32_e32 v21, v10
	v_and_b32_e32 v11, 0x80000000, v11
	v_or3_b32 v22, v9, v11, v8
.LBB214_1858:                           ;   in Loop: Header=BB214_1571 Depth=1
	s_or_b32 exec_lo, exec_lo, s18
.LBB214_1859:                           ;   in Loop: Header=BB214_1571 Depth=1
	s_or_b32 exec_lo, exec_lo, s17
.LBB214_1860:                           ;   in Loop: Header=BB214_1571 Depth=1
	s_or_b32 exec_lo, exec_lo, s15
	v_mov_b32_e32 v23, 0
	v_mov_b32_e32 v25, 0
	v_and_b32_sdwa v8, v7, v43 dst_sel:DWORD dst_unused:UNUSED_PAD src0_sel:WORD_1 src1_sel:DWORD
	v_mov_b32_e32 v24, 0
	v_mov_b32_e32 v26, 0
	s_mov_b32 s15, exec_lo
	v_cmpx_ne_u16_e32 0, v8
	s_cbranch_execz .LBB214_1868
; %bb.1861:                             ;   in Loop: Header=BB214_1571 Depth=1
	v_bfrev_b32_e32 v25, 1
	v_mov_b32_e32 v26, 0
	s_mov_b32 s17, exec_lo
	v_cmpx_ne_u16_e32 0x80, v8
	s_cbranch_execz .LBB214_1867
; %bb.1862:                             ;   in Loop: Header=BB214_1571 Depth=1
	v_mov_b32_e32 v25, 0x7f800001
	v_bfe_u32 v11, v7, 16, 7
	v_mov_b32_e32 v26, 0
	s_mov_b32 s18, exec_lo
	v_cmpx_ne_u32_e32 0x7f, v11
	s_cbranch_execz .LBB214_1866
; %bb.1863:                             ;   in Loop: Header=BB214_1571 Depth=1
	v_mov_b32_e32 v8, 7
	s_mov_b32 s19, exec_lo
	v_and_b32_sdwa v9, v7, v8 dst_sel:DWORD dst_unused:UNUSED_PAD src0_sel:WORD_1 src1_sel:DWORD
	v_lshrrev_b32_e32 v8, 3, v11
	v_cmpx_gt_u32_e32 8, v11
; %bb.1864:                             ;   in Loop: Header=BB214_1571 Depth=1
	v_ffbh_u32_e32 v8, v9
	v_min_u32_e32 v8, 32, v8
	v_subrev_nc_u32_e32 v11, 28, v8
	v_sub_nc_u32_e32 v8, 29, v8
	v_lshlrev_b64 v[25:26], v11, v[9:10]
	v_and_b32_e32 v9, 7, v25
; %bb.1865:                             ;   in Loop: Header=BB214_1571 Depth=1
	s_or_b32 exec_lo, exec_lo, s19
	v_mov_b32_e32 v11, 24
	v_lshlrev_b32_e32 v9, 20, v9
	v_lshl_add_u32 v8, v8, 23, 0x3c000000
	v_lshlrev_b32_sdwa v11, v11, v7 dst_sel:DWORD dst_unused:UNUSED_PAD src0_sel:DWORD src1_sel:WORD_1
	v_and_b32_e32 v11, 0x80000000, v11
	v_or3_b32 v9, v9, v11, v8
	v_mov_b32_e32 v26, v10
	v_mov_b32_e32 v25, v9
.LBB214_1866:                           ;   in Loop: Header=BB214_1571 Depth=1
	s_or_b32 exec_lo, exec_lo, s18
.LBB214_1867:                           ;   in Loop: Header=BB214_1571 Depth=1
	s_or_b32 exec_lo, exec_lo, s17
.LBB214_1868:                           ;   in Loop: Header=BB214_1571 Depth=1
	s_or_b32 exec_lo, exec_lo, s15
	s_mov_b32 s15, exec_lo
	v_cmpx_lt_u32_e32 0xffffff, v7
	s_cbranch_execz .LBB214_1876
; %bb.1869:                             ;   in Loop: Header=BB214_1571 Depth=1
	v_mov_b32_e32 v11, v10
	v_mov_b32_e32 v24, v12
	v_cmp_ne_u32_sdwa s4, v7, v41 src0_sel:BYTE_3 src1_sel:DWORD
	v_mov_b32_e32 v23, v11
	s_and_saveexec_b32 s17, s4
	s_cbranch_execz .LBB214_1875
; %bb.1870:                             ;   in Loop: Header=BB214_1571 Depth=1
	v_mov_b32_e32 v13, v10
	v_mov_b32_e32 v24, v14
	v_bfe_u32 v11, v7, 24, 7
	s_mov_b32 s18, exec_lo
	v_mov_b32_e32 v23, v13
	v_cmpx_ne_u32_e32 0x7f, v11
	s_cbranch_execz .LBB214_1874
; %bb.1871:                             ;   in Loop: Header=BB214_1571 Depth=1
	v_mov_b32_e32 v8, 7
	s_mov_b32 s19, exec_lo
	v_and_b32_sdwa v9, v7, v8 dst_sel:DWORD dst_unused:UNUSED_PAD src0_sel:BYTE_3 src1_sel:DWORD
	v_lshrrev_b32_e32 v8, 3, v11
	v_cmpx_gt_u32_e32 8, v11
; %bb.1872:                             ;   in Loop: Header=BB214_1571 Depth=1
	v_ffbh_u32_e32 v8, v9
	v_min_u32_e32 v8, 32, v8
	v_subrev_nc_u32_e32 v11, 28, v8
	v_sub_nc_u32_e32 v8, 29, v8
	v_lshlrev_b64 v[23:24], v11, v[9:10]
	v_and_b32_e32 v9, 7, v23
; %bb.1873:                             ;   in Loop: Header=BB214_1571 Depth=1
	s_or_b32 exec_lo, exec_lo, s19
	v_mov_b32_e32 v11, 24
	v_lshlrev_b32_e32 v9, 20, v9
	v_lshl_add_u32 v8, v8, 23, 0x3c000000
	v_mov_b32_e32 v23, v10
	v_lshlrev_b32_sdwa v7, v11, v7 dst_sel:DWORD dst_unused:UNUSED_PAD src0_sel:DWORD src1_sel:BYTE_3
	v_and_b32_e32 v7, 0x80000000, v7
	v_or3_b32 v24, v9, v7, v8
.LBB214_1874:                           ;   in Loop: Header=BB214_1571 Depth=1
	s_or_b32 exec_lo, exec_lo, s18
.LBB214_1875:                           ;   in Loop: Header=BB214_1571 Depth=1
	s_or_b32 exec_lo, exec_lo, s17
.LBB214_1876:                           ;   in Loop: Header=BB214_1571 Depth=1
	s_or_b32 exec_lo, exec_lo, s15
	v_or_b32_e32 v7, v22, v20
	v_or_b32_e32 v8, v21, v19
	;; [unrolled: 1-line block ×4, first 2 shown]
	v_mul_f32_e32 v7, v74, v7
	buffer_store_dword v7, off, s[0:3], s32 offset:504 ; 4-byte Folded Spill
	v_mul_f32_e32 v7, v74, v8
	buffer_store_dword v7, off, s[0:3], s32 offset:496 ; 4-byte Folded Spill
	;; [unrolled: 2-line block ×4, first 2 shown]
	s_and_saveexec_b32 s15, vcc_lo
	s_cbranch_execz .LBB214_1878
; %bb.1877:                             ;   in Loop: Header=BB214_1571 Depth=1
	s_clause 0x1
	buffer_load_dword v7, off, s[0:3], s32 offset:200
	buffer_load_dword v8, off, s[0:3], s32 offset:496
	s_waitcnt vmcnt(1)
	v_cmp_lt_i32_e64 s4, v79, v7
	s_waitcnt vmcnt(0)
	v_cndmask_b32_e64 v8, 0, v8, s4
	v_cmp_lt_i32_e64 s4, v90, v7
	buffer_store_dword v8, off, s[0:3], s32 offset:496 ; 4-byte Folded Spill
	buffer_load_dword v8, off, s[0:3], s32 offset:504 ; 4-byte Folded Reload
	s_waitcnt vmcnt(0)
	v_cndmask_b32_e64 v8, 0, v8, s4
	v_cmp_lt_i32_e64 s4, v89, v7
	buffer_store_dword v8, off, s[0:3], s32 offset:504 ; 4-byte Folded Spill
	buffer_load_dword v8, off, s[0:3], s32 offset:488 ; 4-byte Folded Reload
	s_waitcnt vmcnt(0)
	v_cndmask_b32_e64 v8, 0, v8, s4
	v_cmp_lt_i32_e64 s4, v88, v7
	buffer_load_dword v7, off, s[0:3], s32 offset:480 ; 4-byte Folded Reload
	buffer_store_dword v8, off, s[0:3], s32 offset:488 ; 4-byte Folded Spill
	s_waitcnt vmcnt(0)
	v_cndmask_b32_e64 v7, 0, v7, s4
	buffer_store_dword v7, off, s[0:3], s32 offset:480 ; 4-byte Folded Spill
.LBB214_1878:                           ;   in Loop: Header=BB214_1571 Depth=1
	s_or_b32 exec_lo, exec_lo, s15
	flat_load_dword v7, v[0:1] offset:1152
	v_mov_b32_e32 v21, 0
	v_mov_b32_e32 v19, 0
	;; [unrolled: 1-line block ×4, first 2 shown]
	s_waitcnt vmcnt(0) lgkmcnt(0)
	v_cmp_ne_u16_sdwa s4, v7, v10 src0_sel:BYTE_0 src1_sel:DWORD
	s_and_saveexec_b32 s15, s4
	s_cbranch_execz .LBB214_1886
; %bb.1879:                             ;   in Loop: Header=BB214_1571 Depth=1
	v_bfrev_b32_e32 v19, 1
	v_mov_b32_e32 v20, 0
	v_cmp_ne_u16_sdwa s4, v7, v41 src0_sel:BYTE_0 src1_sel:DWORD
	s_and_saveexec_b32 s17, s4
	s_cbranch_execz .LBB214_1885
; %bb.1880:                             ;   in Loop: Header=BB214_1571 Depth=1
	v_mov_b32_e32 v19, 0x7f800001
	v_and_b32_e32 v11, 0x7f, v7
	v_mov_b32_e32 v20, 0
	s_mov_b32 s18, exec_lo
	v_cmpx_ne_u32_e32 0x7f, v11
	s_cbranch_execz .LBB214_1884
; %bb.1881:                             ;   in Loop: Header=BB214_1571 Depth=1
	v_and_b32_e32 v9, 7, v7
	v_lshrrev_b32_e32 v8, 3, v11
	s_mov_b32 s19, exec_lo
	v_cmpx_gt_u32_e32 8, v11
; %bb.1882:                             ;   in Loop: Header=BB214_1571 Depth=1
	v_ffbh_u32_e32 v8, v9
	v_min_u32_e32 v8, 32, v8
	v_subrev_nc_u32_e32 v11, 28, v8
	v_sub_nc_u32_e32 v8, 29, v8
	v_lshlrev_b64 v[19:20], v11, v[9:10]
	v_and_b32_e32 v9, 7, v19
; %bb.1883:                             ;   in Loop: Header=BB214_1571 Depth=1
	s_or_b32 exec_lo, exec_lo, s19
	v_lshlrev_b32_e32 v11, 24, v7
	v_lshlrev_b32_e32 v9, 20, v9
	v_lshl_add_u32 v8, v8, 23, 0x3c000000
	v_and_b32_e32 v11, 0x80000000, v11
	v_or3_b32 v9, v9, v11, v8
	v_mov_b32_e32 v20, v10
	v_mov_b32_e32 v19, v9
.LBB214_1884:                           ;   in Loop: Header=BB214_1571 Depth=1
	s_or_b32 exec_lo, exec_lo, s18
.LBB214_1885:                           ;   in Loop: Header=BB214_1571 Depth=1
	s_or_b32 exec_lo, exec_lo, s17
.LBB214_1886:                           ;   in Loop: Header=BB214_1571 Depth=1
	s_or_b32 exec_lo, exec_lo, s15
	v_cmp_ne_u16_sdwa s4, v7, v10 src0_sel:BYTE_1 src1_sel:DWORD
	s_and_saveexec_b32 s15, s4
	s_cbranch_execz .LBB214_1894
; %bb.1887:                             ;   in Loop: Header=BB214_1571 Depth=1
	v_mov_b32_e32 v11, v10
	v_mov_b32_e32 v22, v12
	v_cmp_ne_u16_sdwa s4, v7, v41 src0_sel:BYTE_1 src1_sel:DWORD
	v_mov_b32_e32 v21, v11
	s_and_saveexec_b32 s17, s4
	s_cbranch_execz .LBB214_1893
; %bb.1888:                             ;   in Loop: Header=BB214_1571 Depth=1
	v_and_b32_sdwa v8, v48, v7 dst_sel:DWORD dst_unused:UNUSED_PAD src0_sel:DWORD src1_sel:BYTE_1
	v_mov_b32_e32 v13, v10
	v_mov_b32_e32 v22, v14
	s_mov_b32 s18, exec_lo
	v_and_b32_e32 v11, 0x7f, v8
	v_mov_b32_e32 v21, v13
	v_cmpx_ne_u32_e32 0x7f, v11
	s_cbranch_execz .LBB214_1892
; %bb.1889:                             ;   in Loop: Header=BB214_1571 Depth=1
	v_and_b32_e32 v9, 7, v8
	v_lshrrev_b32_e32 v8, 3, v11
	s_mov_b32 s19, exec_lo
	v_cmpx_gt_u32_e32 8, v11
; %bb.1890:                             ;   in Loop: Header=BB214_1571 Depth=1
	v_ffbh_u32_e32 v8, v9
	v_min_u32_e32 v8, 32, v8
	v_subrev_nc_u32_e32 v11, 28, v8
	v_sub_nc_u32_e32 v8, 29, v8
	v_lshlrev_b64 v[21:22], v11, v[9:10]
	v_and_b32_e32 v9, 7, v21
; %bb.1891:                             ;   in Loop: Header=BB214_1571 Depth=1
	s_or_b32 exec_lo, exec_lo, s19
	v_lshlrev_b32_e32 v11, 16, v7
	v_lshlrev_b32_e32 v9, 20, v9
	v_lshl_add_u32 v8, v8, 23, 0x3c000000
	v_mov_b32_e32 v21, v10
	v_and_b32_e32 v11, 0x80000000, v11
	v_or3_b32 v22, v9, v11, v8
.LBB214_1892:                           ;   in Loop: Header=BB214_1571 Depth=1
	s_or_b32 exec_lo, exec_lo, s18
.LBB214_1893:                           ;   in Loop: Header=BB214_1571 Depth=1
	s_or_b32 exec_lo, exec_lo, s17
.LBB214_1894:                           ;   in Loop: Header=BB214_1571 Depth=1
	s_or_b32 exec_lo, exec_lo, s15
	v_mov_b32_e32 v23, 0
	v_mov_b32_e32 v25, 0
	v_and_b32_sdwa v8, v7, v43 dst_sel:DWORD dst_unused:UNUSED_PAD src0_sel:WORD_1 src1_sel:DWORD
	v_mov_b32_e32 v24, 0
	v_mov_b32_e32 v26, 0
	s_mov_b32 s15, exec_lo
	v_cmpx_ne_u16_e32 0, v8
	s_cbranch_execz .LBB214_1902
; %bb.1895:                             ;   in Loop: Header=BB214_1571 Depth=1
	v_bfrev_b32_e32 v25, 1
	v_mov_b32_e32 v26, 0
	s_mov_b32 s17, exec_lo
	v_cmpx_ne_u16_e32 0x80, v8
	s_cbranch_execz .LBB214_1901
; %bb.1896:                             ;   in Loop: Header=BB214_1571 Depth=1
	v_mov_b32_e32 v25, 0x7f800001
	v_bfe_u32 v11, v7, 16, 7
	v_mov_b32_e32 v26, 0
	s_mov_b32 s18, exec_lo
	v_cmpx_ne_u32_e32 0x7f, v11
	s_cbranch_execz .LBB214_1900
; %bb.1897:                             ;   in Loop: Header=BB214_1571 Depth=1
	v_mov_b32_e32 v8, 7
	s_mov_b32 s19, exec_lo
	v_and_b32_sdwa v9, v7, v8 dst_sel:DWORD dst_unused:UNUSED_PAD src0_sel:WORD_1 src1_sel:DWORD
	v_lshrrev_b32_e32 v8, 3, v11
	v_cmpx_gt_u32_e32 8, v11
; %bb.1898:                             ;   in Loop: Header=BB214_1571 Depth=1
	v_ffbh_u32_e32 v8, v9
	v_min_u32_e32 v8, 32, v8
	v_subrev_nc_u32_e32 v11, 28, v8
	v_sub_nc_u32_e32 v8, 29, v8
	v_lshlrev_b64 v[25:26], v11, v[9:10]
	v_and_b32_e32 v9, 7, v25
; %bb.1899:                             ;   in Loop: Header=BB214_1571 Depth=1
	s_or_b32 exec_lo, exec_lo, s19
	v_mov_b32_e32 v11, 24
	v_lshlrev_b32_e32 v9, 20, v9
	v_lshl_add_u32 v8, v8, 23, 0x3c000000
	v_lshlrev_b32_sdwa v11, v11, v7 dst_sel:DWORD dst_unused:UNUSED_PAD src0_sel:DWORD src1_sel:WORD_1
	v_and_b32_e32 v11, 0x80000000, v11
	v_or3_b32 v9, v9, v11, v8
	v_mov_b32_e32 v26, v10
	v_mov_b32_e32 v25, v9
.LBB214_1900:                           ;   in Loop: Header=BB214_1571 Depth=1
	s_or_b32 exec_lo, exec_lo, s18
.LBB214_1901:                           ;   in Loop: Header=BB214_1571 Depth=1
	s_or_b32 exec_lo, exec_lo, s17
.LBB214_1902:                           ;   in Loop: Header=BB214_1571 Depth=1
	s_or_b32 exec_lo, exec_lo, s15
	s_mov_b32 s15, exec_lo
	v_cmpx_lt_u32_e32 0xffffff, v7
	s_cbranch_execz .LBB214_1910
; %bb.1903:                             ;   in Loop: Header=BB214_1571 Depth=1
	v_mov_b32_e32 v11, v10
	v_mov_b32_e32 v24, v12
	v_cmp_ne_u32_sdwa s4, v7, v41 src0_sel:BYTE_3 src1_sel:DWORD
	v_mov_b32_e32 v23, v11
	s_and_saveexec_b32 s17, s4
	s_cbranch_execz .LBB214_1909
; %bb.1904:                             ;   in Loop: Header=BB214_1571 Depth=1
	v_mov_b32_e32 v13, v10
	v_mov_b32_e32 v24, v14
	v_bfe_u32 v11, v7, 24, 7
	s_mov_b32 s18, exec_lo
	v_mov_b32_e32 v23, v13
	v_cmpx_ne_u32_e32 0x7f, v11
	s_cbranch_execz .LBB214_1908
; %bb.1905:                             ;   in Loop: Header=BB214_1571 Depth=1
	v_mov_b32_e32 v8, 7
	s_mov_b32 s19, exec_lo
	v_and_b32_sdwa v9, v7, v8 dst_sel:DWORD dst_unused:UNUSED_PAD src0_sel:BYTE_3 src1_sel:DWORD
	v_lshrrev_b32_e32 v8, 3, v11
	v_cmpx_gt_u32_e32 8, v11
; %bb.1906:                             ;   in Loop: Header=BB214_1571 Depth=1
	v_ffbh_u32_e32 v8, v9
	v_min_u32_e32 v8, 32, v8
	v_subrev_nc_u32_e32 v11, 28, v8
	v_sub_nc_u32_e32 v8, 29, v8
	v_lshlrev_b64 v[23:24], v11, v[9:10]
	v_and_b32_e32 v9, 7, v23
; %bb.1907:                             ;   in Loop: Header=BB214_1571 Depth=1
	s_or_b32 exec_lo, exec_lo, s19
	v_mov_b32_e32 v11, 24
	v_lshlrev_b32_e32 v9, 20, v9
	v_lshl_add_u32 v8, v8, 23, 0x3c000000
	v_mov_b32_e32 v23, v10
	v_lshlrev_b32_sdwa v7, v11, v7 dst_sel:DWORD dst_unused:UNUSED_PAD src0_sel:DWORD src1_sel:BYTE_3
	v_and_b32_e32 v7, 0x80000000, v7
	v_or3_b32 v24, v9, v7, v8
.LBB214_1908:                           ;   in Loop: Header=BB214_1571 Depth=1
	s_or_b32 exec_lo, exec_lo, s18
.LBB214_1909:                           ;   in Loop: Header=BB214_1571 Depth=1
	s_or_b32 exec_lo, exec_lo, s17
.LBB214_1910:                           ;   in Loop: Header=BB214_1571 Depth=1
	s_or_b32 exec_lo, exec_lo, s15
	v_or_b32_e32 v7, v22, v20
	v_or_b32_e32 v8, v21, v19
	;; [unrolled: 1-line block ×4, first 2 shown]
	v_mul_f32_e32 v7, v74, v7
	buffer_store_dword v7, off, s[0:3], s32 offset:536 ; 4-byte Folded Spill
	v_mul_f32_e32 v7, v74, v8
	buffer_store_dword v7, off, s[0:3], s32 offset:528 ; 4-byte Folded Spill
	;; [unrolled: 2-line block ×4, first 2 shown]
	s_and_saveexec_b32 s15, vcc_lo
	s_cbranch_execz .LBB214_1912
; %bb.1911:                             ;   in Loop: Header=BB214_1571 Depth=1
	s_clause 0x1
	buffer_load_dword v7, off, s[0:3], s32 offset:200
	buffer_load_dword v8, off, s[0:3], s32 offset:528
	s_waitcnt vmcnt(1)
	v_cmp_lt_i32_e64 s4, v79, v7
	s_waitcnt vmcnt(0)
	v_cndmask_b32_e64 v8, 0, v8, s4
	v_cmp_lt_i32_e64 s4, v90, v7
	buffer_store_dword v8, off, s[0:3], s32 offset:528 ; 4-byte Folded Spill
	buffer_load_dword v8, off, s[0:3], s32 offset:536 ; 4-byte Folded Reload
	s_waitcnt vmcnt(0)
	v_cndmask_b32_e64 v8, 0, v8, s4
	v_cmp_lt_i32_e64 s4, v89, v7
	buffer_store_dword v8, off, s[0:3], s32 offset:536 ; 4-byte Folded Spill
	buffer_load_dword v8, off, s[0:3], s32 offset:520 ; 4-byte Folded Reload
	s_waitcnt vmcnt(0)
	v_cndmask_b32_e64 v8, 0, v8, s4
	v_cmp_lt_i32_e64 s4, v88, v7
	buffer_load_dword v7, off, s[0:3], s32 offset:512 ; 4-byte Folded Reload
	buffer_store_dword v8, off, s[0:3], s32 offset:520 ; 4-byte Folded Spill
	s_waitcnt vmcnt(0)
	v_cndmask_b32_e64 v7, 0, v7, s4
	buffer_store_dword v7, off, s[0:3], s32 offset:512 ; 4-byte Folded Spill
.LBB214_1912:                           ;   in Loop: Header=BB214_1571 Depth=1
	s_or_b32 exec_lo, exec_lo, s15
	flat_load_dword v7, v[0:1] offset:1280
	v_mov_b32_e32 v21, 0
	v_mov_b32_e32 v19, 0
	;; [unrolled: 1-line block ×4, first 2 shown]
	s_waitcnt vmcnt(0) lgkmcnt(0)
	v_cmp_ne_u16_sdwa s4, v7, v10 src0_sel:BYTE_0 src1_sel:DWORD
	s_and_saveexec_b32 s15, s4
	s_cbranch_execz .LBB214_1920
; %bb.1913:                             ;   in Loop: Header=BB214_1571 Depth=1
	v_bfrev_b32_e32 v19, 1
	v_mov_b32_e32 v20, 0
	v_cmp_ne_u16_sdwa s4, v7, v41 src0_sel:BYTE_0 src1_sel:DWORD
	s_and_saveexec_b32 s17, s4
	s_cbranch_execz .LBB214_1919
; %bb.1914:                             ;   in Loop: Header=BB214_1571 Depth=1
	v_mov_b32_e32 v19, 0x7f800001
	v_and_b32_e32 v11, 0x7f, v7
	v_mov_b32_e32 v20, 0
	s_mov_b32 s18, exec_lo
	v_cmpx_ne_u32_e32 0x7f, v11
	s_cbranch_execz .LBB214_1918
; %bb.1915:                             ;   in Loop: Header=BB214_1571 Depth=1
	v_and_b32_e32 v9, 7, v7
	v_lshrrev_b32_e32 v8, 3, v11
	s_mov_b32 s19, exec_lo
	v_cmpx_gt_u32_e32 8, v11
; %bb.1916:                             ;   in Loop: Header=BB214_1571 Depth=1
	v_ffbh_u32_e32 v8, v9
	v_min_u32_e32 v8, 32, v8
	v_subrev_nc_u32_e32 v11, 28, v8
	v_sub_nc_u32_e32 v8, 29, v8
	v_lshlrev_b64 v[19:20], v11, v[9:10]
	v_and_b32_e32 v9, 7, v19
; %bb.1917:                             ;   in Loop: Header=BB214_1571 Depth=1
	s_or_b32 exec_lo, exec_lo, s19
	v_lshlrev_b32_e32 v11, 24, v7
	v_lshlrev_b32_e32 v9, 20, v9
	v_lshl_add_u32 v8, v8, 23, 0x3c000000
	v_and_b32_e32 v11, 0x80000000, v11
	v_or3_b32 v9, v9, v11, v8
	v_mov_b32_e32 v20, v10
	v_mov_b32_e32 v19, v9
.LBB214_1918:                           ;   in Loop: Header=BB214_1571 Depth=1
	s_or_b32 exec_lo, exec_lo, s18
.LBB214_1919:                           ;   in Loop: Header=BB214_1571 Depth=1
	s_or_b32 exec_lo, exec_lo, s17
.LBB214_1920:                           ;   in Loop: Header=BB214_1571 Depth=1
	s_or_b32 exec_lo, exec_lo, s15
	v_cmp_ne_u16_sdwa s4, v7, v10 src0_sel:BYTE_1 src1_sel:DWORD
	s_and_saveexec_b32 s15, s4
	s_cbranch_execz .LBB214_1928
; %bb.1921:                             ;   in Loop: Header=BB214_1571 Depth=1
	v_mov_b32_e32 v11, v10
	v_mov_b32_e32 v22, v12
	v_cmp_ne_u16_sdwa s4, v7, v41 src0_sel:BYTE_1 src1_sel:DWORD
	v_mov_b32_e32 v21, v11
	s_and_saveexec_b32 s17, s4
	s_cbranch_execz .LBB214_1927
; %bb.1922:                             ;   in Loop: Header=BB214_1571 Depth=1
	v_and_b32_sdwa v8, v48, v7 dst_sel:DWORD dst_unused:UNUSED_PAD src0_sel:DWORD src1_sel:BYTE_1
	v_mov_b32_e32 v13, v10
	v_mov_b32_e32 v22, v14
	s_mov_b32 s18, exec_lo
	v_and_b32_e32 v11, 0x7f, v8
	v_mov_b32_e32 v21, v13
	v_cmpx_ne_u32_e32 0x7f, v11
	s_cbranch_execz .LBB214_1926
; %bb.1923:                             ;   in Loop: Header=BB214_1571 Depth=1
	v_and_b32_e32 v9, 7, v8
	v_lshrrev_b32_e32 v8, 3, v11
	s_mov_b32 s19, exec_lo
	v_cmpx_gt_u32_e32 8, v11
; %bb.1924:                             ;   in Loop: Header=BB214_1571 Depth=1
	v_ffbh_u32_e32 v8, v9
	v_min_u32_e32 v8, 32, v8
	v_subrev_nc_u32_e32 v11, 28, v8
	v_sub_nc_u32_e32 v8, 29, v8
	v_lshlrev_b64 v[21:22], v11, v[9:10]
	v_and_b32_e32 v9, 7, v21
; %bb.1925:                             ;   in Loop: Header=BB214_1571 Depth=1
	s_or_b32 exec_lo, exec_lo, s19
	v_lshlrev_b32_e32 v11, 16, v7
	v_lshlrev_b32_e32 v9, 20, v9
	v_lshl_add_u32 v8, v8, 23, 0x3c000000
	v_mov_b32_e32 v21, v10
	v_and_b32_e32 v11, 0x80000000, v11
	v_or3_b32 v22, v9, v11, v8
.LBB214_1926:                           ;   in Loop: Header=BB214_1571 Depth=1
	s_or_b32 exec_lo, exec_lo, s18
.LBB214_1927:                           ;   in Loop: Header=BB214_1571 Depth=1
	s_or_b32 exec_lo, exec_lo, s17
.LBB214_1928:                           ;   in Loop: Header=BB214_1571 Depth=1
	s_or_b32 exec_lo, exec_lo, s15
	v_mov_b32_e32 v23, 0
	v_mov_b32_e32 v25, 0
	v_and_b32_sdwa v8, v7, v43 dst_sel:DWORD dst_unused:UNUSED_PAD src0_sel:WORD_1 src1_sel:DWORD
	v_mov_b32_e32 v24, 0
	v_mov_b32_e32 v26, 0
	s_mov_b32 s15, exec_lo
	v_cmpx_ne_u16_e32 0, v8
	s_cbranch_execz .LBB214_1936
; %bb.1929:                             ;   in Loop: Header=BB214_1571 Depth=1
	v_bfrev_b32_e32 v25, 1
	v_mov_b32_e32 v26, 0
	s_mov_b32 s17, exec_lo
	v_cmpx_ne_u16_e32 0x80, v8
	s_cbranch_execz .LBB214_1935
; %bb.1930:                             ;   in Loop: Header=BB214_1571 Depth=1
	v_mov_b32_e32 v25, 0x7f800001
	v_bfe_u32 v11, v7, 16, 7
	v_mov_b32_e32 v26, 0
	s_mov_b32 s18, exec_lo
	v_cmpx_ne_u32_e32 0x7f, v11
	s_cbranch_execz .LBB214_1934
; %bb.1931:                             ;   in Loop: Header=BB214_1571 Depth=1
	v_mov_b32_e32 v8, 7
	s_mov_b32 s19, exec_lo
	v_and_b32_sdwa v9, v7, v8 dst_sel:DWORD dst_unused:UNUSED_PAD src0_sel:WORD_1 src1_sel:DWORD
	v_lshrrev_b32_e32 v8, 3, v11
	v_cmpx_gt_u32_e32 8, v11
; %bb.1932:                             ;   in Loop: Header=BB214_1571 Depth=1
	v_ffbh_u32_e32 v8, v9
	v_min_u32_e32 v8, 32, v8
	v_subrev_nc_u32_e32 v11, 28, v8
	v_sub_nc_u32_e32 v8, 29, v8
	v_lshlrev_b64 v[25:26], v11, v[9:10]
	v_and_b32_e32 v9, 7, v25
; %bb.1933:                             ;   in Loop: Header=BB214_1571 Depth=1
	s_or_b32 exec_lo, exec_lo, s19
	v_mov_b32_e32 v11, 24
	v_lshlrev_b32_e32 v9, 20, v9
	v_lshl_add_u32 v8, v8, 23, 0x3c000000
	v_lshlrev_b32_sdwa v11, v11, v7 dst_sel:DWORD dst_unused:UNUSED_PAD src0_sel:DWORD src1_sel:WORD_1
	v_and_b32_e32 v11, 0x80000000, v11
	v_or3_b32 v9, v9, v11, v8
	v_mov_b32_e32 v26, v10
	v_mov_b32_e32 v25, v9
.LBB214_1934:                           ;   in Loop: Header=BB214_1571 Depth=1
	s_or_b32 exec_lo, exec_lo, s18
.LBB214_1935:                           ;   in Loop: Header=BB214_1571 Depth=1
	s_or_b32 exec_lo, exec_lo, s17
.LBB214_1936:                           ;   in Loop: Header=BB214_1571 Depth=1
	s_or_b32 exec_lo, exec_lo, s15
	s_mov_b32 s15, exec_lo
	v_cmpx_lt_u32_e32 0xffffff, v7
	s_cbranch_execz .LBB214_1944
; %bb.1937:                             ;   in Loop: Header=BB214_1571 Depth=1
	v_mov_b32_e32 v11, v10
	v_mov_b32_e32 v24, v12
	v_cmp_ne_u32_sdwa s4, v7, v41 src0_sel:BYTE_3 src1_sel:DWORD
	v_mov_b32_e32 v23, v11
	s_and_saveexec_b32 s17, s4
	s_cbranch_execz .LBB214_1943
; %bb.1938:                             ;   in Loop: Header=BB214_1571 Depth=1
	v_mov_b32_e32 v13, v10
	v_mov_b32_e32 v24, v14
	v_bfe_u32 v11, v7, 24, 7
	s_mov_b32 s18, exec_lo
	v_mov_b32_e32 v23, v13
	v_cmpx_ne_u32_e32 0x7f, v11
	s_cbranch_execz .LBB214_1942
; %bb.1939:                             ;   in Loop: Header=BB214_1571 Depth=1
	v_mov_b32_e32 v8, 7
	s_mov_b32 s19, exec_lo
	v_and_b32_sdwa v9, v7, v8 dst_sel:DWORD dst_unused:UNUSED_PAD src0_sel:BYTE_3 src1_sel:DWORD
	v_lshrrev_b32_e32 v8, 3, v11
	v_cmpx_gt_u32_e32 8, v11
; %bb.1940:                             ;   in Loop: Header=BB214_1571 Depth=1
	v_ffbh_u32_e32 v8, v9
	v_min_u32_e32 v8, 32, v8
	v_subrev_nc_u32_e32 v11, 28, v8
	v_sub_nc_u32_e32 v8, 29, v8
	v_lshlrev_b64 v[23:24], v11, v[9:10]
	v_and_b32_e32 v9, 7, v23
; %bb.1941:                             ;   in Loop: Header=BB214_1571 Depth=1
	s_or_b32 exec_lo, exec_lo, s19
	v_mov_b32_e32 v11, 24
	v_lshlrev_b32_e32 v9, 20, v9
	v_lshl_add_u32 v8, v8, 23, 0x3c000000
	v_mov_b32_e32 v23, v10
	v_lshlrev_b32_sdwa v7, v11, v7 dst_sel:DWORD dst_unused:UNUSED_PAD src0_sel:DWORD src1_sel:BYTE_3
	v_and_b32_e32 v7, 0x80000000, v7
	v_or3_b32 v24, v9, v7, v8
.LBB214_1942:                           ;   in Loop: Header=BB214_1571 Depth=1
	s_or_b32 exec_lo, exec_lo, s18
.LBB214_1943:                           ;   in Loop: Header=BB214_1571 Depth=1
	s_or_b32 exec_lo, exec_lo, s17
.LBB214_1944:                           ;   in Loop: Header=BB214_1571 Depth=1
	s_or_b32 exec_lo, exec_lo, s15
	v_or_b32_e32 v7, v22, v20
	v_or_b32_e32 v8, v21, v19
	;; [unrolled: 1-line block ×4, first 2 shown]
	v_mul_f32_e32 v7, v74, v7
	buffer_store_dword v7, off, s[0:3], s32 offset:568 ; 4-byte Folded Spill
	v_mul_f32_e32 v7, v74, v8
	buffer_store_dword v7, off, s[0:3], s32 offset:560 ; 4-byte Folded Spill
	;; [unrolled: 2-line block ×4, first 2 shown]
	s_and_saveexec_b32 s15, vcc_lo
	s_cbranch_execz .LBB214_1946
; %bb.1945:                             ;   in Loop: Header=BB214_1571 Depth=1
	s_clause 0x1
	buffer_load_dword v7, off, s[0:3], s32 offset:200
	buffer_load_dword v8, off, s[0:3], s32 offset:560
	s_waitcnt vmcnt(1)
	v_cmp_lt_i32_e64 s4, v79, v7
	s_waitcnt vmcnt(0)
	v_cndmask_b32_e64 v8, 0, v8, s4
	v_cmp_lt_i32_e64 s4, v90, v7
	buffer_store_dword v8, off, s[0:3], s32 offset:560 ; 4-byte Folded Spill
	buffer_load_dword v8, off, s[0:3], s32 offset:568 ; 4-byte Folded Reload
	s_waitcnt vmcnt(0)
	v_cndmask_b32_e64 v8, 0, v8, s4
	v_cmp_lt_i32_e64 s4, v89, v7
	buffer_store_dword v8, off, s[0:3], s32 offset:568 ; 4-byte Folded Spill
	buffer_load_dword v8, off, s[0:3], s32 offset:552 ; 4-byte Folded Reload
	s_waitcnt vmcnt(0)
	v_cndmask_b32_e64 v8, 0, v8, s4
	v_cmp_lt_i32_e64 s4, v88, v7
	buffer_load_dword v7, off, s[0:3], s32 offset:544 ; 4-byte Folded Reload
	buffer_store_dword v8, off, s[0:3], s32 offset:552 ; 4-byte Folded Spill
	s_waitcnt vmcnt(0)
	v_cndmask_b32_e64 v7, 0, v7, s4
	buffer_store_dword v7, off, s[0:3], s32 offset:544 ; 4-byte Folded Spill
.LBB214_1946:                           ;   in Loop: Header=BB214_1571 Depth=1
	s_or_b32 exec_lo, exec_lo, s15
	flat_load_dword v7, v[0:1] offset:1408
	v_mov_b32_e32 v21, 0
	v_mov_b32_e32 v19, 0
	;; [unrolled: 1-line block ×4, first 2 shown]
	s_waitcnt vmcnt(0) lgkmcnt(0)
	v_cmp_ne_u16_sdwa s4, v7, v10 src0_sel:BYTE_0 src1_sel:DWORD
	s_and_saveexec_b32 s15, s4
	s_cbranch_execz .LBB214_1954
; %bb.1947:                             ;   in Loop: Header=BB214_1571 Depth=1
	v_bfrev_b32_e32 v19, 1
	v_mov_b32_e32 v20, 0
	v_cmp_ne_u16_sdwa s4, v7, v41 src0_sel:BYTE_0 src1_sel:DWORD
	s_and_saveexec_b32 s17, s4
	s_cbranch_execz .LBB214_1953
; %bb.1948:                             ;   in Loop: Header=BB214_1571 Depth=1
	v_mov_b32_e32 v19, 0x7f800001
	v_and_b32_e32 v11, 0x7f, v7
	v_mov_b32_e32 v20, 0
	s_mov_b32 s18, exec_lo
	v_cmpx_ne_u32_e32 0x7f, v11
	s_cbranch_execz .LBB214_1952
; %bb.1949:                             ;   in Loop: Header=BB214_1571 Depth=1
	v_and_b32_e32 v9, 7, v7
	v_lshrrev_b32_e32 v8, 3, v11
	s_mov_b32 s19, exec_lo
	v_cmpx_gt_u32_e32 8, v11
; %bb.1950:                             ;   in Loop: Header=BB214_1571 Depth=1
	v_ffbh_u32_e32 v8, v9
	v_min_u32_e32 v8, 32, v8
	v_subrev_nc_u32_e32 v11, 28, v8
	v_sub_nc_u32_e32 v8, 29, v8
	v_lshlrev_b64 v[19:20], v11, v[9:10]
	v_and_b32_e32 v9, 7, v19
; %bb.1951:                             ;   in Loop: Header=BB214_1571 Depth=1
	s_or_b32 exec_lo, exec_lo, s19
	v_lshlrev_b32_e32 v11, 24, v7
	v_lshlrev_b32_e32 v9, 20, v9
	v_lshl_add_u32 v8, v8, 23, 0x3c000000
	v_and_b32_e32 v11, 0x80000000, v11
	v_or3_b32 v9, v9, v11, v8
	v_mov_b32_e32 v20, v10
	v_mov_b32_e32 v19, v9
.LBB214_1952:                           ;   in Loop: Header=BB214_1571 Depth=1
	s_or_b32 exec_lo, exec_lo, s18
.LBB214_1953:                           ;   in Loop: Header=BB214_1571 Depth=1
	s_or_b32 exec_lo, exec_lo, s17
.LBB214_1954:                           ;   in Loop: Header=BB214_1571 Depth=1
	s_or_b32 exec_lo, exec_lo, s15
	v_cmp_ne_u16_sdwa s4, v7, v10 src0_sel:BYTE_1 src1_sel:DWORD
	s_and_saveexec_b32 s15, s4
	s_cbranch_execz .LBB214_1962
; %bb.1955:                             ;   in Loop: Header=BB214_1571 Depth=1
	v_mov_b32_e32 v11, v10
	v_mov_b32_e32 v22, v12
	v_cmp_ne_u16_sdwa s4, v7, v41 src0_sel:BYTE_1 src1_sel:DWORD
	v_mov_b32_e32 v21, v11
	s_and_saveexec_b32 s17, s4
	s_cbranch_execz .LBB214_1961
; %bb.1956:                             ;   in Loop: Header=BB214_1571 Depth=1
	v_and_b32_sdwa v8, v48, v7 dst_sel:DWORD dst_unused:UNUSED_PAD src0_sel:DWORD src1_sel:BYTE_1
	v_mov_b32_e32 v13, v10
	v_mov_b32_e32 v22, v14
	s_mov_b32 s18, exec_lo
	v_and_b32_e32 v11, 0x7f, v8
	v_mov_b32_e32 v21, v13
	v_cmpx_ne_u32_e32 0x7f, v11
	s_cbranch_execz .LBB214_1960
; %bb.1957:                             ;   in Loop: Header=BB214_1571 Depth=1
	v_and_b32_e32 v9, 7, v8
	v_lshrrev_b32_e32 v8, 3, v11
	s_mov_b32 s19, exec_lo
	v_cmpx_gt_u32_e32 8, v11
; %bb.1958:                             ;   in Loop: Header=BB214_1571 Depth=1
	v_ffbh_u32_e32 v8, v9
	v_min_u32_e32 v8, 32, v8
	v_subrev_nc_u32_e32 v11, 28, v8
	v_sub_nc_u32_e32 v8, 29, v8
	v_lshlrev_b64 v[21:22], v11, v[9:10]
	v_and_b32_e32 v9, 7, v21
; %bb.1959:                             ;   in Loop: Header=BB214_1571 Depth=1
	s_or_b32 exec_lo, exec_lo, s19
	v_lshlrev_b32_e32 v11, 16, v7
	v_lshlrev_b32_e32 v9, 20, v9
	v_lshl_add_u32 v8, v8, 23, 0x3c000000
	v_mov_b32_e32 v21, v10
	v_and_b32_e32 v11, 0x80000000, v11
	v_or3_b32 v22, v9, v11, v8
.LBB214_1960:                           ;   in Loop: Header=BB214_1571 Depth=1
	s_or_b32 exec_lo, exec_lo, s18
.LBB214_1961:                           ;   in Loop: Header=BB214_1571 Depth=1
	s_or_b32 exec_lo, exec_lo, s17
.LBB214_1962:                           ;   in Loop: Header=BB214_1571 Depth=1
	s_or_b32 exec_lo, exec_lo, s15
	v_mov_b32_e32 v23, 0
	v_mov_b32_e32 v25, 0
	v_and_b32_sdwa v8, v7, v43 dst_sel:DWORD dst_unused:UNUSED_PAD src0_sel:WORD_1 src1_sel:DWORD
	v_mov_b32_e32 v24, 0
	v_mov_b32_e32 v26, 0
	s_mov_b32 s15, exec_lo
	v_cmpx_ne_u16_e32 0, v8
	s_cbranch_execz .LBB214_1970
; %bb.1963:                             ;   in Loop: Header=BB214_1571 Depth=1
	v_bfrev_b32_e32 v25, 1
	v_mov_b32_e32 v26, 0
	s_mov_b32 s17, exec_lo
	v_cmpx_ne_u16_e32 0x80, v8
	s_cbranch_execz .LBB214_1969
; %bb.1964:                             ;   in Loop: Header=BB214_1571 Depth=1
	v_mov_b32_e32 v25, 0x7f800001
	v_bfe_u32 v11, v7, 16, 7
	v_mov_b32_e32 v26, 0
	s_mov_b32 s18, exec_lo
	v_cmpx_ne_u32_e32 0x7f, v11
	s_cbranch_execz .LBB214_1968
; %bb.1965:                             ;   in Loop: Header=BB214_1571 Depth=1
	v_mov_b32_e32 v8, 7
	s_mov_b32 s19, exec_lo
	v_and_b32_sdwa v9, v7, v8 dst_sel:DWORD dst_unused:UNUSED_PAD src0_sel:WORD_1 src1_sel:DWORD
	v_lshrrev_b32_e32 v8, 3, v11
	v_cmpx_gt_u32_e32 8, v11
; %bb.1966:                             ;   in Loop: Header=BB214_1571 Depth=1
	v_ffbh_u32_e32 v8, v9
	v_min_u32_e32 v8, 32, v8
	v_subrev_nc_u32_e32 v11, 28, v8
	v_sub_nc_u32_e32 v8, 29, v8
	v_lshlrev_b64 v[25:26], v11, v[9:10]
	v_and_b32_e32 v9, 7, v25
; %bb.1967:                             ;   in Loop: Header=BB214_1571 Depth=1
	s_or_b32 exec_lo, exec_lo, s19
	v_mov_b32_e32 v11, 24
	v_lshlrev_b32_e32 v9, 20, v9
	v_lshl_add_u32 v8, v8, 23, 0x3c000000
	v_lshlrev_b32_sdwa v11, v11, v7 dst_sel:DWORD dst_unused:UNUSED_PAD src0_sel:DWORD src1_sel:WORD_1
	v_and_b32_e32 v11, 0x80000000, v11
	v_or3_b32 v9, v9, v11, v8
	v_mov_b32_e32 v26, v10
	v_mov_b32_e32 v25, v9
.LBB214_1968:                           ;   in Loop: Header=BB214_1571 Depth=1
	s_or_b32 exec_lo, exec_lo, s18
.LBB214_1969:                           ;   in Loop: Header=BB214_1571 Depth=1
	s_or_b32 exec_lo, exec_lo, s17
.LBB214_1970:                           ;   in Loop: Header=BB214_1571 Depth=1
	s_or_b32 exec_lo, exec_lo, s15
	s_mov_b32 s15, exec_lo
	v_cmpx_lt_u32_e32 0xffffff, v7
	s_cbranch_execz .LBB214_1978
; %bb.1971:                             ;   in Loop: Header=BB214_1571 Depth=1
	v_mov_b32_e32 v11, v10
	v_mov_b32_e32 v24, v12
	v_cmp_ne_u32_sdwa s4, v7, v41 src0_sel:BYTE_3 src1_sel:DWORD
	v_mov_b32_e32 v23, v11
	s_and_saveexec_b32 s17, s4
	s_cbranch_execz .LBB214_1977
; %bb.1972:                             ;   in Loop: Header=BB214_1571 Depth=1
	v_mov_b32_e32 v13, v10
	v_mov_b32_e32 v24, v14
	v_bfe_u32 v11, v7, 24, 7
	s_mov_b32 s18, exec_lo
	v_mov_b32_e32 v23, v13
	v_cmpx_ne_u32_e32 0x7f, v11
	s_cbranch_execz .LBB214_1976
; %bb.1973:                             ;   in Loop: Header=BB214_1571 Depth=1
	v_mov_b32_e32 v8, 7
	s_mov_b32 s19, exec_lo
	v_and_b32_sdwa v9, v7, v8 dst_sel:DWORD dst_unused:UNUSED_PAD src0_sel:BYTE_3 src1_sel:DWORD
	v_lshrrev_b32_e32 v8, 3, v11
	v_cmpx_gt_u32_e32 8, v11
; %bb.1974:                             ;   in Loop: Header=BB214_1571 Depth=1
	v_ffbh_u32_e32 v8, v9
	v_min_u32_e32 v8, 32, v8
	v_subrev_nc_u32_e32 v11, 28, v8
	v_sub_nc_u32_e32 v8, 29, v8
	v_lshlrev_b64 v[23:24], v11, v[9:10]
	v_and_b32_e32 v9, 7, v23
; %bb.1975:                             ;   in Loop: Header=BB214_1571 Depth=1
	s_or_b32 exec_lo, exec_lo, s19
	v_mov_b32_e32 v11, 24
	v_lshlrev_b32_e32 v9, 20, v9
	v_lshl_add_u32 v8, v8, 23, 0x3c000000
	v_mov_b32_e32 v23, v10
	v_lshlrev_b32_sdwa v7, v11, v7 dst_sel:DWORD dst_unused:UNUSED_PAD src0_sel:DWORD src1_sel:BYTE_3
	v_and_b32_e32 v7, 0x80000000, v7
	v_or3_b32 v24, v9, v7, v8
.LBB214_1976:                           ;   in Loop: Header=BB214_1571 Depth=1
	s_or_b32 exec_lo, exec_lo, s18
.LBB214_1977:                           ;   in Loop: Header=BB214_1571 Depth=1
	s_or_b32 exec_lo, exec_lo, s17
.LBB214_1978:                           ;   in Loop: Header=BB214_1571 Depth=1
	s_or_b32 exec_lo, exec_lo, s15
	v_or_b32_e32 v7, v22, v20
	v_or_b32_e32 v8, v21, v19
	;; [unrolled: 1-line block ×4, first 2 shown]
	v_mul_f32_e32 v7, v74, v7
	buffer_store_dword v7, off, s[0:3], s32 offset:600 ; 4-byte Folded Spill
	v_mul_f32_e32 v7, v74, v8
	buffer_store_dword v7, off, s[0:3], s32 offset:592 ; 4-byte Folded Spill
	;; [unrolled: 2-line block ×4, first 2 shown]
	s_and_saveexec_b32 s15, vcc_lo
	s_cbranch_execz .LBB214_1980
; %bb.1979:                             ;   in Loop: Header=BB214_1571 Depth=1
	s_clause 0x1
	buffer_load_dword v7, off, s[0:3], s32 offset:200
	buffer_load_dword v8, off, s[0:3], s32 offset:592
	s_waitcnt vmcnt(1)
	v_cmp_lt_i32_e64 s4, v79, v7
	s_waitcnt vmcnt(0)
	v_cndmask_b32_e64 v8, 0, v8, s4
	v_cmp_lt_i32_e64 s4, v90, v7
	buffer_store_dword v8, off, s[0:3], s32 offset:592 ; 4-byte Folded Spill
	buffer_load_dword v8, off, s[0:3], s32 offset:600 ; 4-byte Folded Reload
	s_waitcnt vmcnt(0)
	v_cndmask_b32_e64 v8, 0, v8, s4
	v_cmp_lt_i32_e64 s4, v89, v7
	buffer_store_dword v8, off, s[0:3], s32 offset:600 ; 4-byte Folded Spill
	buffer_load_dword v8, off, s[0:3], s32 offset:584 ; 4-byte Folded Reload
	s_waitcnt vmcnt(0)
	v_cndmask_b32_e64 v8, 0, v8, s4
	v_cmp_lt_i32_e64 s4, v88, v7
	buffer_load_dword v7, off, s[0:3], s32 offset:576 ; 4-byte Folded Reload
	buffer_store_dword v8, off, s[0:3], s32 offset:584 ; 4-byte Folded Spill
	s_waitcnt vmcnt(0)
	v_cndmask_b32_e64 v7, 0, v7, s4
	buffer_store_dword v7, off, s[0:3], s32 offset:576 ; 4-byte Folded Spill
.LBB214_1980:                           ;   in Loop: Header=BB214_1571 Depth=1
	s_or_b32 exec_lo, exec_lo, s15
	flat_load_dword v7, v[0:1] offset:1536
	v_mov_b32_e32 v21, 0
	v_mov_b32_e32 v19, 0
	;; [unrolled: 1-line block ×4, first 2 shown]
	s_waitcnt vmcnt(0) lgkmcnt(0)
	v_cmp_ne_u16_sdwa s4, v7, v10 src0_sel:BYTE_0 src1_sel:DWORD
	s_and_saveexec_b32 s15, s4
	s_cbranch_execz .LBB214_1988
; %bb.1981:                             ;   in Loop: Header=BB214_1571 Depth=1
	v_bfrev_b32_e32 v19, 1
	v_mov_b32_e32 v20, 0
	v_cmp_ne_u16_sdwa s4, v7, v41 src0_sel:BYTE_0 src1_sel:DWORD
	s_and_saveexec_b32 s17, s4
	s_cbranch_execz .LBB214_1987
; %bb.1982:                             ;   in Loop: Header=BB214_1571 Depth=1
	v_mov_b32_e32 v19, 0x7f800001
	v_and_b32_e32 v11, 0x7f, v7
	v_mov_b32_e32 v20, 0
	s_mov_b32 s18, exec_lo
	v_cmpx_ne_u32_e32 0x7f, v11
	s_cbranch_execz .LBB214_1986
; %bb.1983:                             ;   in Loop: Header=BB214_1571 Depth=1
	v_and_b32_e32 v9, 7, v7
	v_lshrrev_b32_e32 v8, 3, v11
	s_mov_b32 s19, exec_lo
	v_cmpx_gt_u32_e32 8, v11
; %bb.1984:                             ;   in Loop: Header=BB214_1571 Depth=1
	v_ffbh_u32_e32 v8, v9
	v_min_u32_e32 v8, 32, v8
	v_subrev_nc_u32_e32 v11, 28, v8
	v_sub_nc_u32_e32 v8, 29, v8
	v_lshlrev_b64 v[19:20], v11, v[9:10]
	v_and_b32_e32 v9, 7, v19
; %bb.1985:                             ;   in Loop: Header=BB214_1571 Depth=1
	s_or_b32 exec_lo, exec_lo, s19
	v_lshlrev_b32_e32 v11, 24, v7
	v_lshlrev_b32_e32 v9, 20, v9
	v_lshl_add_u32 v8, v8, 23, 0x3c000000
	v_and_b32_e32 v11, 0x80000000, v11
	v_or3_b32 v9, v9, v11, v8
	v_mov_b32_e32 v20, v10
	v_mov_b32_e32 v19, v9
.LBB214_1986:                           ;   in Loop: Header=BB214_1571 Depth=1
	s_or_b32 exec_lo, exec_lo, s18
.LBB214_1987:                           ;   in Loop: Header=BB214_1571 Depth=1
	s_or_b32 exec_lo, exec_lo, s17
.LBB214_1988:                           ;   in Loop: Header=BB214_1571 Depth=1
	s_or_b32 exec_lo, exec_lo, s15
	v_cmp_ne_u16_sdwa s4, v7, v10 src0_sel:BYTE_1 src1_sel:DWORD
	s_and_saveexec_b32 s15, s4
	s_cbranch_execz .LBB214_1996
; %bb.1989:                             ;   in Loop: Header=BB214_1571 Depth=1
	v_mov_b32_e32 v11, v10
	v_mov_b32_e32 v22, v12
	v_cmp_ne_u16_sdwa s4, v7, v41 src0_sel:BYTE_1 src1_sel:DWORD
	v_mov_b32_e32 v21, v11
	s_and_saveexec_b32 s17, s4
	s_cbranch_execz .LBB214_1995
; %bb.1990:                             ;   in Loop: Header=BB214_1571 Depth=1
	v_and_b32_sdwa v8, v48, v7 dst_sel:DWORD dst_unused:UNUSED_PAD src0_sel:DWORD src1_sel:BYTE_1
	v_mov_b32_e32 v13, v10
	v_mov_b32_e32 v22, v14
	s_mov_b32 s18, exec_lo
	v_and_b32_e32 v11, 0x7f, v8
	v_mov_b32_e32 v21, v13
	v_cmpx_ne_u32_e32 0x7f, v11
	s_cbranch_execz .LBB214_1994
; %bb.1991:                             ;   in Loop: Header=BB214_1571 Depth=1
	v_and_b32_e32 v9, 7, v8
	v_lshrrev_b32_e32 v8, 3, v11
	s_mov_b32 s19, exec_lo
	v_cmpx_gt_u32_e32 8, v11
; %bb.1992:                             ;   in Loop: Header=BB214_1571 Depth=1
	v_ffbh_u32_e32 v8, v9
	v_min_u32_e32 v8, 32, v8
	v_subrev_nc_u32_e32 v11, 28, v8
	v_sub_nc_u32_e32 v8, 29, v8
	v_lshlrev_b64 v[21:22], v11, v[9:10]
	v_and_b32_e32 v9, 7, v21
; %bb.1993:                             ;   in Loop: Header=BB214_1571 Depth=1
	s_or_b32 exec_lo, exec_lo, s19
	v_lshlrev_b32_e32 v11, 16, v7
	v_lshlrev_b32_e32 v9, 20, v9
	v_lshl_add_u32 v8, v8, 23, 0x3c000000
	v_mov_b32_e32 v21, v10
	v_and_b32_e32 v11, 0x80000000, v11
	v_or3_b32 v22, v9, v11, v8
.LBB214_1994:                           ;   in Loop: Header=BB214_1571 Depth=1
	s_or_b32 exec_lo, exec_lo, s18
.LBB214_1995:                           ;   in Loop: Header=BB214_1571 Depth=1
	s_or_b32 exec_lo, exec_lo, s17
.LBB214_1996:                           ;   in Loop: Header=BB214_1571 Depth=1
	s_or_b32 exec_lo, exec_lo, s15
	v_mov_b32_e32 v23, 0
	v_mov_b32_e32 v25, 0
	v_and_b32_sdwa v8, v7, v43 dst_sel:DWORD dst_unused:UNUSED_PAD src0_sel:WORD_1 src1_sel:DWORD
	v_mov_b32_e32 v24, 0
	v_mov_b32_e32 v26, 0
	s_mov_b32 s15, exec_lo
	v_cmpx_ne_u16_e32 0, v8
	s_cbranch_execz .LBB214_2004
; %bb.1997:                             ;   in Loop: Header=BB214_1571 Depth=1
	v_bfrev_b32_e32 v25, 1
	v_mov_b32_e32 v26, 0
	s_mov_b32 s17, exec_lo
	v_cmpx_ne_u16_e32 0x80, v8
	s_cbranch_execz .LBB214_2003
; %bb.1998:                             ;   in Loop: Header=BB214_1571 Depth=1
	v_mov_b32_e32 v25, 0x7f800001
	v_bfe_u32 v11, v7, 16, 7
	v_mov_b32_e32 v26, 0
	s_mov_b32 s18, exec_lo
	v_cmpx_ne_u32_e32 0x7f, v11
	s_cbranch_execz .LBB214_2002
; %bb.1999:                             ;   in Loop: Header=BB214_1571 Depth=1
	v_mov_b32_e32 v8, 7
	s_mov_b32 s19, exec_lo
	v_and_b32_sdwa v9, v7, v8 dst_sel:DWORD dst_unused:UNUSED_PAD src0_sel:WORD_1 src1_sel:DWORD
	v_lshrrev_b32_e32 v8, 3, v11
	v_cmpx_gt_u32_e32 8, v11
; %bb.2000:                             ;   in Loop: Header=BB214_1571 Depth=1
	v_ffbh_u32_e32 v8, v9
	v_min_u32_e32 v8, 32, v8
	v_subrev_nc_u32_e32 v11, 28, v8
	v_sub_nc_u32_e32 v8, 29, v8
	v_lshlrev_b64 v[25:26], v11, v[9:10]
	v_and_b32_e32 v9, 7, v25
; %bb.2001:                             ;   in Loop: Header=BB214_1571 Depth=1
	s_or_b32 exec_lo, exec_lo, s19
	v_mov_b32_e32 v11, 24
	v_lshlrev_b32_e32 v9, 20, v9
	v_lshl_add_u32 v8, v8, 23, 0x3c000000
	v_lshlrev_b32_sdwa v11, v11, v7 dst_sel:DWORD dst_unused:UNUSED_PAD src0_sel:DWORD src1_sel:WORD_1
	v_and_b32_e32 v11, 0x80000000, v11
	v_or3_b32 v9, v9, v11, v8
	v_mov_b32_e32 v26, v10
	v_mov_b32_e32 v25, v9
.LBB214_2002:                           ;   in Loop: Header=BB214_1571 Depth=1
	s_or_b32 exec_lo, exec_lo, s18
.LBB214_2003:                           ;   in Loop: Header=BB214_1571 Depth=1
	s_or_b32 exec_lo, exec_lo, s17
.LBB214_2004:                           ;   in Loop: Header=BB214_1571 Depth=1
	s_or_b32 exec_lo, exec_lo, s15
	s_mov_b32 s15, exec_lo
	v_cmpx_lt_u32_e32 0xffffff, v7
	s_cbranch_execz .LBB214_2012
; %bb.2005:                             ;   in Loop: Header=BB214_1571 Depth=1
	v_mov_b32_e32 v11, v10
	v_mov_b32_e32 v24, v12
	v_cmp_ne_u32_sdwa s4, v7, v41 src0_sel:BYTE_3 src1_sel:DWORD
	v_mov_b32_e32 v23, v11
	s_and_saveexec_b32 s17, s4
	s_cbranch_execz .LBB214_2011
; %bb.2006:                             ;   in Loop: Header=BB214_1571 Depth=1
	v_mov_b32_e32 v13, v10
	v_mov_b32_e32 v24, v14
	v_bfe_u32 v11, v7, 24, 7
	s_mov_b32 s18, exec_lo
	v_mov_b32_e32 v23, v13
	v_cmpx_ne_u32_e32 0x7f, v11
	s_cbranch_execz .LBB214_2010
; %bb.2007:                             ;   in Loop: Header=BB214_1571 Depth=1
	v_mov_b32_e32 v8, 7
	s_mov_b32 s19, exec_lo
	v_and_b32_sdwa v9, v7, v8 dst_sel:DWORD dst_unused:UNUSED_PAD src0_sel:BYTE_3 src1_sel:DWORD
	v_lshrrev_b32_e32 v8, 3, v11
	v_cmpx_gt_u32_e32 8, v11
; %bb.2008:                             ;   in Loop: Header=BB214_1571 Depth=1
	v_ffbh_u32_e32 v8, v9
	v_min_u32_e32 v8, 32, v8
	v_subrev_nc_u32_e32 v11, 28, v8
	v_sub_nc_u32_e32 v8, 29, v8
	v_lshlrev_b64 v[23:24], v11, v[9:10]
	v_and_b32_e32 v9, 7, v23
; %bb.2009:                             ;   in Loop: Header=BB214_1571 Depth=1
	s_or_b32 exec_lo, exec_lo, s19
	v_mov_b32_e32 v11, 24
	v_lshlrev_b32_e32 v9, 20, v9
	v_lshl_add_u32 v8, v8, 23, 0x3c000000
	v_mov_b32_e32 v23, v10
	v_lshlrev_b32_sdwa v7, v11, v7 dst_sel:DWORD dst_unused:UNUSED_PAD src0_sel:DWORD src1_sel:BYTE_3
	v_and_b32_e32 v7, 0x80000000, v7
	v_or3_b32 v24, v9, v7, v8
.LBB214_2010:                           ;   in Loop: Header=BB214_1571 Depth=1
	s_or_b32 exec_lo, exec_lo, s18
.LBB214_2011:                           ;   in Loop: Header=BB214_1571 Depth=1
	s_or_b32 exec_lo, exec_lo, s17
.LBB214_2012:                           ;   in Loop: Header=BB214_1571 Depth=1
	s_or_b32 exec_lo, exec_lo, s15
	v_or_b32_e32 v7, v22, v20
	v_or_b32_e32 v8, v21, v19
	;; [unrolled: 1-line block ×4, first 2 shown]
	v_mul_f32_e32 v7, v74, v7
	buffer_store_dword v7, off, s[0:3], s32 offset:632 ; 4-byte Folded Spill
	v_mul_f32_e32 v7, v74, v8
	buffer_store_dword v7, off, s[0:3], s32 offset:624 ; 4-byte Folded Spill
	;; [unrolled: 2-line block ×4, first 2 shown]
	s_and_saveexec_b32 s15, vcc_lo
	s_cbranch_execz .LBB214_2014
; %bb.2013:                             ;   in Loop: Header=BB214_1571 Depth=1
	s_clause 0x1
	buffer_load_dword v7, off, s[0:3], s32 offset:200
	buffer_load_dword v8, off, s[0:3], s32 offset:624
	s_waitcnt vmcnt(1)
	v_cmp_lt_i32_e64 s4, v79, v7
	s_waitcnt vmcnt(0)
	v_cndmask_b32_e64 v8, 0, v8, s4
	v_cmp_lt_i32_e64 s4, v90, v7
	buffer_store_dword v8, off, s[0:3], s32 offset:624 ; 4-byte Folded Spill
	buffer_load_dword v8, off, s[0:3], s32 offset:632 ; 4-byte Folded Reload
	s_waitcnt vmcnt(0)
	v_cndmask_b32_e64 v8, 0, v8, s4
	v_cmp_lt_i32_e64 s4, v89, v7
	buffer_store_dword v8, off, s[0:3], s32 offset:632 ; 4-byte Folded Spill
	buffer_load_dword v8, off, s[0:3], s32 offset:616 ; 4-byte Folded Reload
	s_waitcnt vmcnt(0)
	v_cndmask_b32_e64 v8, 0, v8, s4
	v_cmp_lt_i32_e64 s4, v88, v7
	buffer_load_dword v7, off, s[0:3], s32 offset:608 ; 4-byte Folded Reload
	buffer_store_dword v8, off, s[0:3], s32 offset:616 ; 4-byte Folded Spill
	s_waitcnt vmcnt(0)
	v_cndmask_b32_e64 v7, 0, v7, s4
	buffer_store_dword v7, off, s[0:3], s32 offset:608 ; 4-byte Folded Spill
.LBB214_2014:                           ;   in Loop: Header=BB214_1571 Depth=1
	s_or_b32 exec_lo, exec_lo, s15
	flat_load_dword v7, v[0:1] offset:1664
	v_mov_b32_e32 v21, 0
	v_mov_b32_e32 v19, 0
	;; [unrolled: 1-line block ×4, first 2 shown]
	s_waitcnt vmcnt(0) lgkmcnt(0)
	v_cmp_ne_u16_sdwa s4, v7, v10 src0_sel:BYTE_0 src1_sel:DWORD
	s_and_saveexec_b32 s15, s4
	s_cbranch_execz .LBB214_2022
; %bb.2015:                             ;   in Loop: Header=BB214_1571 Depth=1
	v_bfrev_b32_e32 v19, 1
	v_mov_b32_e32 v20, 0
	v_cmp_ne_u16_sdwa s4, v7, v41 src0_sel:BYTE_0 src1_sel:DWORD
	s_and_saveexec_b32 s17, s4
	s_cbranch_execz .LBB214_2021
; %bb.2016:                             ;   in Loop: Header=BB214_1571 Depth=1
	v_mov_b32_e32 v19, 0x7f800001
	v_and_b32_e32 v11, 0x7f, v7
	v_mov_b32_e32 v20, 0
	s_mov_b32 s18, exec_lo
	v_cmpx_ne_u32_e32 0x7f, v11
	s_cbranch_execz .LBB214_2020
; %bb.2017:                             ;   in Loop: Header=BB214_1571 Depth=1
	v_and_b32_e32 v9, 7, v7
	v_lshrrev_b32_e32 v8, 3, v11
	s_mov_b32 s19, exec_lo
	v_cmpx_gt_u32_e32 8, v11
; %bb.2018:                             ;   in Loop: Header=BB214_1571 Depth=1
	v_ffbh_u32_e32 v8, v9
	v_min_u32_e32 v8, 32, v8
	v_subrev_nc_u32_e32 v11, 28, v8
	v_sub_nc_u32_e32 v8, 29, v8
	v_lshlrev_b64 v[19:20], v11, v[9:10]
	v_and_b32_e32 v9, 7, v19
; %bb.2019:                             ;   in Loop: Header=BB214_1571 Depth=1
	s_or_b32 exec_lo, exec_lo, s19
	v_lshlrev_b32_e32 v11, 24, v7
	v_lshlrev_b32_e32 v9, 20, v9
	v_lshl_add_u32 v8, v8, 23, 0x3c000000
	v_and_b32_e32 v11, 0x80000000, v11
	v_or3_b32 v9, v9, v11, v8
	v_mov_b32_e32 v20, v10
	v_mov_b32_e32 v19, v9
.LBB214_2020:                           ;   in Loop: Header=BB214_1571 Depth=1
	s_or_b32 exec_lo, exec_lo, s18
.LBB214_2021:                           ;   in Loop: Header=BB214_1571 Depth=1
	s_or_b32 exec_lo, exec_lo, s17
.LBB214_2022:                           ;   in Loop: Header=BB214_1571 Depth=1
	s_or_b32 exec_lo, exec_lo, s15
	v_cmp_ne_u16_sdwa s4, v7, v10 src0_sel:BYTE_1 src1_sel:DWORD
	s_and_saveexec_b32 s15, s4
	s_cbranch_execz .LBB214_2030
; %bb.2023:                             ;   in Loop: Header=BB214_1571 Depth=1
	v_mov_b32_e32 v11, v10
	v_mov_b32_e32 v22, v12
	v_cmp_ne_u16_sdwa s4, v7, v41 src0_sel:BYTE_1 src1_sel:DWORD
	v_mov_b32_e32 v21, v11
	s_and_saveexec_b32 s17, s4
	s_cbranch_execz .LBB214_2029
; %bb.2024:                             ;   in Loop: Header=BB214_1571 Depth=1
	v_and_b32_sdwa v8, v48, v7 dst_sel:DWORD dst_unused:UNUSED_PAD src0_sel:DWORD src1_sel:BYTE_1
	v_mov_b32_e32 v13, v10
	v_mov_b32_e32 v22, v14
	s_mov_b32 s18, exec_lo
	v_and_b32_e32 v11, 0x7f, v8
	v_mov_b32_e32 v21, v13
	v_cmpx_ne_u32_e32 0x7f, v11
	s_cbranch_execz .LBB214_2028
; %bb.2025:                             ;   in Loop: Header=BB214_1571 Depth=1
	v_and_b32_e32 v9, 7, v8
	v_lshrrev_b32_e32 v8, 3, v11
	s_mov_b32 s19, exec_lo
	v_cmpx_gt_u32_e32 8, v11
; %bb.2026:                             ;   in Loop: Header=BB214_1571 Depth=1
	v_ffbh_u32_e32 v8, v9
	v_min_u32_e32 v8, 32, v8
	v_subrev_nc_u32_e32 v11, 28, v8
	v_sub_nc_u32_e32 v8, 29, v8
	v_lshlrev_b64 v[21:22], v11, v[9:10]
	v_and_b32_e32 v9, 7, v21
; %bb.2027:                             ;   in Loop: Header=BB214_1571 Depth=1
	s_or_b32 exec_lo, exec_lo, s19
	v_lshlrev_b32_e32 v11, 16, v7
	v_lshlrev_b32_e32 v9, 20, v9
	v_lshl_add_u32 v8, v8, 23, 0x3c000000
	v_mov_b32_e32 v21, v10
	v_and_b32_e32 v11, 0x80000000, v11
	v_or3_b32 v22, v9, v11, v8
.LBB214_2028:                           ;   in Loop: Header=BB214_1571 Depth=1
	s_or_b32 exec_lo, exec_lo, s18
.LBB214_2029:                           ;   in Loop: Header=BB214_1571 Depth=1
	s_or_b32 exec_lo, exec_lo, s17
.LBB214_2030:                           ;   in Loop: Header=BB214_1571 Depth=1
	s_or_b32 exec_lo, exec_lo, s15
	v_mov_b32_e32 v23, 0
	v_mov_b32_e32 v25, 0
	v_and_b32_sdwa v8, v7, v43 dst_sel:DWORD dst_unused:UNUSED_PAD src0_sel:WORD_1 src1_sel:DWORD
	v_mov_b32_e32 v24, 0
	v_mov_b32_e32 v26, 0
	s_mov_b32 s15, exec_lo
	v_cmpx_ne_u16_e32 0, v8
	s_cbranch_execz .LBB214_2038
; %bb.2031:                             ;   in Loop: Header=BB214_1571 Depth=1
	v_bfrev_b32_e32 v25, 1
	v_mov_b32_e32 v26, 0
	s_mov_b32 s17, exec_lo
	v_cmpx_ne_u16_e32 0x80, v8
	s_cbranch_execz .LBB214_2037
; %bb.2032:                             ;   in Loop: Header=BB214_1571 Depth=1
	v_mov_b32_e32 v25, 0x7f800001
	v_bfe_u32 v11, v7, 16, 7
	v_mov_b32_e32 v26, 0
	s_mov_b32 s18, exec_lo
	v_cmpx_ne_u32_e32 0x7f, v11
	s_cbranch_execz .LBB214_2036
; %bb.2033:                             ;   in Loop: Header=BB214_1571 Depth=1
	v_mov_b32_e32 v8, 7
	s_mov_b32 s19, exec_lo
	v_and_b32_sdwa v9, v7, v8 dst_sel:DWORD dst_unused:UNUSED_PAD src0_sel:WORD_1 src1_sel:DWORD
	v_lshrrev_b32_e32 v8, 3, v11
	v_cmpx_gt_u32_e32 8, v11
; %bb.2034:                             ;   in Loop: Header=BB214_1571 Depth=1
	v_ffbh_u32_e32 v8, v9
	v_min_u32_e32 v8, 32, v8
	v_subrev_nc_u32_e32 v11, 28, v8
	v_sub_nc_u32_e32 v8, 29, v8
	v_lshlrev_b64 v[25:26], v11, v[9:10]
	v_and_b32_e32 v9, 7, v25
; %bb.2035:                             ;   in Loop: Header=BB214_1571 Depth=1
	s_or_b32 exec_lo, exec_lo, s19
	v_mov_b32_e32 v11, 24
	v_lshlrev_b32_e32 v9, 20, v9
	v_lshl_add_u32 v8, v8, 23, 0x3c000000
	v_lshlrev_b32_sdwa v11, v11, v7 dst_sel:DWORD dst_unused:UNUSED_PAD src0_sel:DWORD src1_sel:WORD_1
	v_and_b32_e32 v11, 0x80000000, v11
	v_or3_b32 v9, v9, v11, v8
	v_mov_b32_e32 v26, v10
	v_mov_b32_e32 v25, v9
.LBB214_2036:                           ;   in Loop: Header=BB214_1571 Depth=1
	s_or_b32 exec_lo, exec_lo, s18
.LBB214_2037:                           ;   in Loop: Header=BB214_1571 Depth=1
	s_or_b32 exec_lo, exec_lo, s17
.LBB214_2038:                           ;   in Loop: Header=BB214_1571 Depth=1
	s_or_b32 exec_lo, exec_lo, s15
	s_mov_b32 s15, exec_lo
	v_cmpx_lt_u32_e32 0xffffff, v7
	s_cbranch_execz .LBB214_2046
; %bb.2039:                             ;   in Loop: Header=BB214_1571 Depth=1
	v_mov_b32_e32 v11, v10
	v_mov_b32_e32 v24, v12
	v_cmp_ne_u32_sdwa s4, v7, v41 src0_sel:BYTE_3 src1_sel:DWORD
	v_mov_b32_e32 v23, v11
	s_and_saveexec_b32 s17, s4
	s_cbranch_execz .LBB214_2045
; %bb.2040:                             ;   in Loop: Header=BB214_1571 Depth=1
	v_mov_b32_e32 v13, v10
	v_mov_b32_e32 v24, v14
	v_bfe_u32 v11, v7, 24, 7
	s_mov_b32 s18, exec_lo
	v_mov_b32_e32 v23, v13
	v_cmpx_ne_u32_e32 0x7f, v11
	s_cbranch_execz .LBB214_2044
; %bb.2041:                             ;   in Loop: Header=BB214_1571 Depth=1
	v_mov_b32_e32 v8, 7
	s_mov_b32 s19, exec_lo
	v_and_b32_sdwa v9, v7, v8 dst_sel:DWORD dst_unused:UNUSED_PAD src0_sel:BYTE_3 src1_sel:DWORD
	v_lshrrev_b32_e32 v8, 3, v11
	v_cmpx_gt_u32_e32 8, v11
; %bb.2042:                             ;   in Loop: Header=BB214_1571 Depth=1
	v_ffbh_u32_e32 v8, v9
	v_min_u32_e32 v8, 32, v8
	v_subrev_nc_u32_e32 v11, 28, v8
	v_sub_nc_u32_e32 v8, 29, v8
	v_lshlrev_b64 v[23:24], v11, v[9:10]
	v_and_b32_e32 v9, 7, v23
; %bb.2043:                             ;   in Loop: Header=BB214_1571 Depth=1
	s_or_b32 exec_lo, exec_lo, s19
	v_mov_b32_e32 v11, 24
	v_lshlrev_b32_e32 v9, 20, v9
	v_lshl_add_u32 v8, v8, 23, 0x3c000000
	v_mov_b32_e32 v23, v10
	v_lshlrev_b32_sdwa v7, v11, v7 dst_sel:DWORD dst_unused:UNUSED_PAD src0_sel:DWORD src1_sel:BYTE_3
	v_and_b32_e32 v7, 0x80000000, v7
	v_or3_b32 v24, v9, v7, v8
.LBB214_2044:                           ;   in Loop: Header=BB214_1571 Depth=1
	s_or_b32 exec_lo, exec_lo, s18
.LBB214_2045:                           ;   in Loop: Header=BB214_1571 Depth=1
	s_or_b32 exec_lo, exec_lo, s17
.LBB214_2046:                           ;   in Loop: Header=BB214_1571 Depth=1
	s_or_b32 exec_lo, exec_lo, s15
	v_or_b32_e32 v7, v22, v20
	v_or_b32_e32 v8, v21, v19
	;; [unrolled: 1-line block ×4, first 2 shown]
	v_mul_f32_e32 v7, v74, v7
	buffer_store_dword v7, off, s[0:3], s32 offset:664 ; 4-byte Folded Spill
	v_mul_f32_e32 v7, v74, v8
	buffer_store_dword v7, off, s[0:3], s32 offset:656 ; 4-byte Folded Spill
	;; [unrolled: 2-line block ×4, first 2 shown]
	s_and_saveexec_b32 s15, vcc_lo
	s_cbranch_execz .LBB214_2048
; %bb.2047:                             ;   in Loop: Header=BB214_1571 Depth=1
	s_clause 0x1
	buffer_load_dword v7, off, s[0:3], s32 offset:200
	buffer_load_dword v8, off, s[0:3], s32 offset:656
	s_waitcnt vmcnt(1)
	v_cmp_lt_i32_e64 s4, v79, v7
	s_waitcnt vmcnt(0)
	v_cndmask_b32_e64 v8, 0, v8, s4
	v_cmp_lt_i32_e64 s4, v90, v7
	buffer_store_dword v8, off, s[0:3], s32 offset:656 ; 4-byte Folded Spill
	buffer_load_dword v8, off, s[0:3], s32 offset:664 ; 4-byte Folded Reload
	s_waitcnt vmcnt(0)
	v_cndmask_b32_e64 v8, 0, v8, s4
	v_cmp_lt_i32_e64 s4, v89, v7
	buffer_store_dword v8, off, s[0:3], s32 offset:664 ; 4-byte Folded Spill
	buffer_load_dword v8, off, s[0:3], s32 offset:648 ; 4-byte Folded Reload
	s_waitcnt vmcnt(0)
	v_cndmask_b32_e64 v8, 0, v8, s4
	v_cmp_lt_i32_e64 s4, v88, v7
	buffer_load_dword v7, off, s[0:3], s32 offset:640 ; 4-byte Folded Reload
	buffer_store_dword v8, off, s[0:3], s32 offset:648 ; 4-byte Folded Spill
	s_waitcnt vmcnt(0)
	v_cndmask_b32_e64 v7, 0, v7, s4
	buffer_store_dword v7, off, s[0:3], s32 offset:640 ; 4-byte Folded Spill
.LBB214_2048:                           ;   in Loop: Header=BB214_1571 Depth=1
	s_or_b32 exec_lo, exec_lo, s15
	flat_load_dword v7, v[0:1] offset:1792
	v_mov_b32_e32 v21, 0
	v_mov_b32_e32 v19, 0
	v_mov_b32_e32 v22, 0
	v_mov_b32_e32 v20, 0
	s_waitcnt vmcnt(0) lgkmcnt(0)
	v_cmp_ne_u16_sdwa s4, v7, v10 src0_sel:BYTE_0 src1_sel:DWORD
	s_and_saveexec_b32 s15, s4
	s_cbranch_execz .LBB214_2056
; %bb.2049:                             ;   in Loop: Header=BB214_1571 Depth=1
	v_bfrev_b32_e32 v19, 1
	v_mov_b32_e32 v20, 0
	v_cmp_ne_u16_sdwa s4, v7, v41 src0_sel:BYTE_0 src1_sel:DWORD
	s_and_saveexec_b32 s17, s4
	s_cbranch_execz .LBB214_2055
; %bb.2050:                             ;   in Loop: Header=BB214_1571 Depth=1
	v_mov_b32_e32 v19, 0x7f800001
	v_and_b32_e32 v11, 0x7f, v7
	v_mov_b32_e32 v20, 0
	s_mov_b32 s18, exec_lo
	v_cmpx_ne_u32_e32 0x7f, v11
	s_cbranch_execz .LBB214_2054
; %bb.2051:                             ;   in Loop: Header=BB214_1571 Depth=1
	v_and_b32_e32 v9, 7, v7
	v_lshrrev_b32_e32 v8, 3, v11
	s_mov_b32 s19, exec_lo
	v_cmpx_gt_u32_e32 8, v11
; %bb.2052:                             ;   in Loop: Header=BB214_1571 Depth=1
	v_ffbh_u32_e32 v8, v9
	v_min_u32_e32 v8, 32, v8
	v_subrev_nc_u32_e32 v11, 28, v8
	v_sub_nc_u32_e32 v8, 29, v8
	v_lshlrev_b64 v[19:20], v11, v[9:10]
	v_and_b32_e32 v9, 7, v19
; %bb.2053:                             ;   in Loop: Header=BB214_1571 Depth=1
	s_or_b32 exec_lo, exec_lo, s19
	v_lshlrev_b32_e32 v11, 24, v7
	v_lshlrev_b32_e32 v9, 20, v9
	v_lshl_add_u32 v8, v8, 23, 0x3c000000
	v_and_b32_e32 v11, 0x80000000, v11
	v_or3_b32 v9, v9, v11, v8
	v_mov_b32_e32 v20, v10
	v_mov_b32_e32 v19, v9
.LBB214_2054:                           ;   in Loop: Header=BB214_1571 Depth=1
	s_or_b32 exec_lo, exec_lo, s18
.LBB214_2055:                           ;   in Loop: Header=BB214_1571 Depth=1
	s_or_b32 exec_lo, exec_lo, s17
.LBB214_2056:                           ;   in Loop: Header=BB214_1571 Depth=1
	s_or_b32 exec_lo, exec_lo, s15
	v_cmp_ne_u16_sdwa s4, v7, v10 src0_sel:BYTE_1 src1_sel:DWORD
	s_and_saveexec_b32 s15, s4
	s_cbranch_execz .LBB214_2064
; %bb.2057:                             ;   in Loop: Header=BB214_1571 Depth=1
	v_mov_b32_e32 v11, v10
	v_mov_b32_e32 v22, v12
	v_cmp_ne_u16_sdwa s4, v7, v41 src0_sel:BYTE_1 src1_sel:DWORD
	v_mov_b32_e32 v21, v11
	s_and_saveexec_b32 s17, s4
	s_cbranch_execz .LBB214_2063
; %bb.2058:                             ;   in Loop: Header=BB214_1571 Depth=1
	v_and_b32_sdwa v8, v48, v7 dst_sel:DWORD dst_unused:UNUSED_PAD src0_sel:DWORD src1_sel:BYTE_1
	v_mov_b32_e32 v13, v10
	v_mov_b32_e32 v22, v14
	s_mov_b32 s18, exec_lo
	v_and_b32_e32 v11, 0x7f, v8
	v_mov_b32_e32 v21, v13
	v_cmpx_ne_u32_e32 0x7f, v11
	s_cbranch_execz .LBB214_2062
; %bb.2059:                             ;   in Loop: Header=BB214_1571 Depth=1
	v_and_b32_e32 v9, 7, v8
	v_lshrrev_b32_e32 v8, 3, v11
	s_mov_b32 s19, exec_lo
	v_cmpx_gt_u32_e32 8, v11
; %bb.2060:                             ;   in Loop: Header=BB214_1571 Depth=1
	v_ffbh_u32_e32 v8, v9
	v_min_u32_e32 v8, 32, v8
	v_subrev_nc_u32_e32 v11, 28, v8
	v_sub_nc_u32_e32 v8, 29, v8
	v_lshlrev_b64 v[21:22], v11, v[9:10]
	v_and_b32_e32 v9, 7, v21
; %bb.2061:                             ;   in Loop: Header=BB214_1571 Depth=1
	s_or_b32 exec_lo, exec_lo, s19
	v_lshlrev_b32_e32 v11, 16, v7
	v_lshlrev_b32_e32 v9, 20, v9
	v_lshl_add_u32 v8, v8, 23, 0x3c000000
	v_mov_b32_e32 v21, v10
	v_and_b32_e32 v11, 0x80000000, v11
	v_or3_b32 v22, v9, v11, v8
.LBB214_2062:                           ;   in Loop: Header=BB214_1571 Depth=1
	s_or_b32 exec_lo, exec_lo, s18
.LBB214_2063:                           ;   in Loop: Header=BB214_1571 Depth=1
	s_or_b32 exec_lo, exec_lo, s17
.LBB214_2064:                           ;   in Loop: Header=BB214_1571 Depth=1
	s_or_b32 exec_lo, exec_lo, s15
	v_mov_b32_e32 v23, 0
	v_mov_b32_e32 v25, 0
	v_and_b32_sdwa v8, v7, v43 dst_sel:DWORD dst_unused:UNUSED_PAD src0_sel:WORD_1 src1_sel:DWORD
	v_mov_b32_e32 v24, 0
	v_mov_b32_e32 v26, 0
	s_mov_b32 s15, exec_lo
	v_cmpx_ne_u16_e32 0, v8
	s_cbranch_execz .LBB214_2072
; %bb.2065:                             ;   in Loop: Header=BB214_1571 Depth=1
	v_bfrev_b32_e32 v25, 1
	v_mov_b32_e32 v26, 0
	s_mov_b32 s17, exec_lo
	v_cmpx_ne_u16_e32 0x80, v8
	s_cbranch_execz .LBB214_2071
; %bb.2066:                             ;   in Loop: Header=BB214_1571 Depth=1
	v_mov_b32_e32 v25, 0x7f800001
	v_bfe_u32 v11, v7, 16, 7
	v_mov_b32_e32 v26, 0
	s_mov_b32 s18, exec_lo
	v_cmpx_ne_u32_e32 0x7f, v11
	s_cbranch_execz .LBB214_2070
; %bb.2067:                             ;   in Loop: Header=BB214_1571 Depth=1
	v_mov_b32_e32 v8, 7
	s_mov_b32 s19, exec_lo
	v_and_b32_sdwa v9, v7, v8 dst_sel:DWORD dst_unused:UNUSED_PAD src0_sel:WORD_1 src1_sel:DWORD
	v_lshrrev_b32_e32 v8, 3, v11
	v_cmpx_gt_u32_e32 8, v11
; %bb.2068:                             ;   in Loop: Header=BB214_1571 Depth=1
	v_ffbh_u32_e32 v8, v9
	v_min_u32_e32 v8, 32, v8
	v_subrev_nc_u32_e32 v11, 28, v8
	v_sub_nc_u32_e32 v8, 29, v8
	v_lshlrev_b64 v[25:26], v11, v[9:10]
	v_and_b32_e32 v9, 7, v25
; %bb.2069:                             ;   in Loop: Header=BB214_1571 Depth=1
	s_or_b32 exec_lo, exec_lo, s19
	v_mov_b32_e32 v11, 24
	v_lshlrev_b32_e32 v9, 20, v9
	v_lshl_add_u32 v8, v8, 23, 0x3c000000
	v_lshlrev_b32_sdwa v11, v11, v7 dst_sel:DWORD dst_unused:UNUSED_PAD src0_sel:DWORD src1_sel:WORD_1
	v_and_b32_e32 v11, 0x80000000, v11
	v_or3_b32 v9, v9, v11, v8
	v_mov_b32_e32 v26, v10
	v_mov_b32_e32 v25, v9
.LBB214_2070:                           ;   in Loop: Header=BB214_1571 Depth=1
	s_or_b32 exec_lo, exec_lo, s18
.LBB214_2071:                           ;   in Loop: Header=BB214_1571 Depth=1
	s_or_b32 exec_lo, exec_lo, s17
.LBB214_2072:                           ;   in Loop: Header=BB214_1571 Depth=1
	s_or_b32 exec_lo, exec_lo, s15
	s_mov_b32 s15, exec_lo
	v_cmpx_lt_u32_e32 0xffffff, v7
	s_cbranch_execz .LBB214_2080
; %bb.2073:                             ;   in Loop: Header=BB214_1571 Depth=1
	v_mov_b32_e32 v11, v10
	v_mov_b32_e32 v24, v12
	v_cmp_ne_u32_sdwa s4, v7, v41 src0_sel:BYTE_3 src1_sel:DWORD
	v_mov_b32_e32 v23, v11
	s_and_saveexec_b32 s17, s4
	s_cbranch_execz .LBB214_2079
; %bb.2074:                             ;   in Loop: Header=BB214_1571 Depth=1
	v_mov_b32_e32 v13, v10
	v_mov_b32_e32 v24, v14
	v_bfe_u32 v11, v7, 24, 7
	s_mov_b32 s18, exec_lo
	v_mov_b32_e32 v23, v13
	v_cmpx_ne_u32_e32 0x7f, v11
	s_cbranch_execz .LBB214_2078
; %bb.2075:                             ;   in Loop: Header=BB214_1571 Depth=1
	v_mov_b32_e32 v8, 7
	s_mov_b32 s19, exec_lo
	v_and_b32_sdwa v9, v7, v8 dst_sel:DWORD dst_unused:UNUSED_PAD src0_sel:BYTE_3 src1_sel:DWORD
	v_lshrrev_b32_e32 v8, 3, v11
	v_cmpx_gt_u32_e32 8, v11
; %bb.2076:                             ;   in Loop: Header=BB214_1571 Depth=1
	v_ffbh_u32_e32 v8, v9
	v_min_u32_e32 v8, 32, v8
	v_subrev_nc_u32_e32 v11, 28, v8
	v_sub_nc_u32_e32 v8, 29, v8
	v_lshlrev_b64 v[23:24], v11, v[9:10]
	v_and_b32_e32 v9, 7, v23
; %bb.2077:                             ;   in Loop: Header=BB214_1571 Depth=1
	s_or_b32 exec_lo, exec_lo, s19
	v_mov_b32_e32 v11, 24
	v_lshlrev_b32_e32 v9, 20, v9
	v_lshl_add_u32 v8, v8, 23, 0x3c000000
	v_mov_b32_e32 v23, v10
	v_lshlrev_b32_sdwa v7, v11, v7 dst_sel:DWORD dst_unused:UNUSED_PAD src0_sel:DWORD src1_sel:BYTE_3
	v_and_b32_e32 v7, 0x80000000, v7
	v_or3_b32 v24, v9, v7, v8
.LBB214_2078:                           ;   in Loop: Header=BB214_1571 Depth=1
	s_or_b32 exec_lo, exec_lo, s18
.LBB214_2079:                           ;   in Loop: Header=BB214_1571 Depth=1
	s_or_b32 exec_lo, exec_lo, s17
.LBB214_2080:                           ;   in Loop: Header=BB214_1571 Depth=1
	s_or_b32 exec_lo, exec_lo, s15
	v_or_b32_e32 v7, v22, v20
	v_or_b32_e32 v8, v21, v19
	;; [unrolled: 1-line block ×4, first 2 shown]
	v_mul_f32_e32 v7, v74, v7
	buffer_store_dword v7, off, s[0:3], s32 offset:696 ; 4-byte Folded Spill
	v_mul_f32_e32 v7, v74, v8
	buffer_store_dword v7, off, s[0:3], s32 offset:688 ; 4-byte Folded Spill
	;; [unrolled: 2-line block ×4, first 2 shown]
	s_and_saveexec_b32 s15, vcc_lo
	s_cbranch_execz .LBB214_2082
; %bb.2081:                             ;   in Loop: Header=BB214_1571 Depth=1
	s_clause 0x1
	buffer_load_dword v7, off, s[0:3], s32 offset:200
	buffer_load_dword v8, off, s[0:3], s32 offset:688
	s_waitcnt vmcnt(1)
	v_cmp_lt_i32_e64 s4, v79, v7
	s_waitcnt vmcnt(0)
	v_cndmask_b32_e64 v8, 0, v8, s4
	v_cmp_lt_i32_e64 s4, v90, v7
	buffer_store_dword v8, off, s[0:3], s32 offset:688 ; 4-byte Folded Spill
	buffer_load_dword v8, off, s[0:3], s32 offset:696 ; 4-byte Folded Reload
	s_waitcnt vmcnt(0)
	v_cndmask_b32_e64 v8, 0, v8, s4
	v_cmp_lt_i32_e64 s4, v89, v7
	buffer_store_dword v8, off, s[0:3], s32 offset:696 ; 4-byte Folded Spill
	buffer_load_dword v8, off, s[0:3], s32 offset:680 ; 4-byte Folded Reload
	s_waitcnt vmcnt(0)
	v_cndmask_b32_e64 v8, 0, v8, s4
	v_cmp_lt_i32_e64 s4, v88, v7
	buffer_load_dword v7, off, s[0:3], s32 offset:672 ; 4-byte Folded Reload
	buffer_store_dword v8, off, s[0:3], s32 offset:680 ; 4-byte Folded Spill
	s_waitcnt vmcnt(0)
	v_cndmask_b32_e64 v7, 0, v7, s4
	buffer_store_dword v7, off, s[0:3], s32 offset:672 ; 4-byte Folded Spill
.LBB214_2082:                           ;   in Loop: Header=BB214_1571 Depth=1
	s_or_b32 exec_lo, exec_lo, s15
	flat_load_dword v7, v[0:1] offset:1920
	v_mov_b32_e32 v21, 0
	v_mov_b32_e32 v19, 0
	;; [unrolled: 1-line block ×4, first 2 shown]
	s_waitcnt vmcnt(0) lgkmcnt(0)
	v_cmp_ne_u16_sdwa s4, v7, v10 src0_sel:BYTE_0 src1_sel:DWORD
	s_and_saveexec_b32 s15, s4
	s_cbranch_execz .LBB214_2090
; %bb.2083:                             ;   in Loop: Header=BB214_1571 Depth=1
	v_bfrev_b32_e32 v19, 1
	v_mov_b32_e32 v20, 0
	v_cmp_ne_u16_sdwa s4, v7, v41 src0_sel:BYTE_0 src1_sel:DWORD
	s_and_saveexec_b32 s17, s4
	s_cbranch_execz .LBB214_2089
; %bb.2084:                             ;   in Loop: Header=BB214_1571 Depth=1
	v_mov_b32_e32 v19, 0x7f800001
	v_and_b32_e32 v11, 0x7f, v7
	v_mov_b32_e32 v20, 0
	s_mov_b32 s18, exec_lo
	v_cmpx_ne_u32_e32 0x7f, v11
	s_cbranch_execz .LBB214_2088
; %bb.2085:                             ;   in Loop: Header=BB214_1571 Depth=1
	v_and_b32_e32 v9, 7, v7
	v_lshrrev_b32_e32 v8, 3, v11
	s_mov_b32 s19, exec_lo
	v_cmpx_gt_u32_e32 8, v11
; %bb.2086:                             ;   in Loop: Header=BB214_1571 Depth=1
	v_ffbh_u32_e32 v8, v9
	v_min_u32_e32 v8, 32, v8
	v_subrev_nc_u32_e32 v11, 28, v8
	v_sub_nc_u32_e32 v8, 29, v8
	v_lshlrev_b64 v[19:20], v11, v[9:10]
	v_and_b32_e32 v9, 7, v19
; %bb.2087:                             ;   in Loop: Header=BB214_1571 Depth=1
	s_or_b32 exec_lo, exec_lo, s19
	v_lshlrev_b32_e32 v11, 24, v7
	v_lshlrev_b32_e32 v9, 20, v9
	v_lshl_add_u32 v8, v8, 23, 0x3c000000
	v_and_b32_e32 v11, 0x80000000, v11
	v_or3_b32 v9, v9, v11, v8
	v_mov_b32_e32 v20, v10
	v_mov_b32_e32 v19, v9
.LBB214_2088:                           ;   in Loop: Header=BB214_1571 Depth=1
	s_or_b32 exec_lo, exec_lo, s18
.LBB214_2089:                           ;   in Loop: Header=BB214_1571 Depth=1
	s_or_b32 exec_lo, exec_lo, s17
.LBB214_2090:                           ;   in Loop: Header=BB214_1571 Depth=1
	s_or_b32 exec_lo, exec_lo, s15
	v_cmp_ne_u16_sdwa s4, v7, v10 src0_sel:BYTE_1 src1_sel:DWORD
	s_and_saveexec_b32 s15, s4
	s_cbranch_execz .LBB214_2098
; %bb.2091:                             ;   in Loop: Header=BB214_1571 Depth=1
	v_mov_b32_e32 v11, v10
	v_mov_b32_e32 v22, v12
	v_cmp_ne_u16_sdwa s4, v7, v41 src0_sel:BYTE_1 src1_sel:DWORD
	v_mov_b32_e32 v21, v11
	s_and_saveexec_b32 s17, s4
	s_cbranch_execz .LBB214_2097
; %bb.2092:                             ;   in Loop: Header=BB214_1571 Depth=1
	v_and_b32_sdwa v8, v48, v7 dst_sel:DWORD dst_unused:UNUSED_PAD src0_sel:DWORD src1_sel:BYTE_1
	v_mov_b32_e32 v13, v10
	v_mov_b32_e32 v22, v14
	s_mov_b32 s18, exec_lo
	v_and_b32_e32 v11, 0x7f, v8
	v_mov_b32_e32 v21, v13
	v_cmpx_ne_u32_e32 0x7f, v11
	s_cbranch_execz .LBB214_2096
; %bb.2093:                             ;   in Loop: Header=BB214_1571 Depth=1
	v_and_b32_e32 v9, 7, v8
	v_lshrrev_b32_e32 v8, 3, v11
	s_mov_b32 s19, exec_lo
	v_cmpx_gt_u32_e32 8, v11
; %bb.2094:                             ;   in Loop: Header=BB214_1571 Depth=1
	v_ffbh_u32_e32 v8, v9
	v_min_u32_e32 v8, 32, v8
	v_subrev_nc_u32_e32 v11, 28, v8
	v_sub_nc_u32_e32 v8, 29, v8
	v_lshlrev_b64 v[21:22], v11, v[9:10]
	v_and_b32_e32 v9, 7, v21
; %bb.2095:                             ;   in Loop: Header=BB214_1571 Depth=1
	s_or_b32 exec_lo, exec_lo, s19
	v_lshlrev_b32_e32 v11, 16, v7
	v_lshlrev_b32_e32 v9, 20, v9
	v_lshl_add_u32 v8, v8, 23, 0x3c000000
	v_mov_b32_e32 v21, v10
	v_and_b32_e32 v11, 0x80000000, v11
	v_or3_b32 v22, v9, v11, v8
.LBB214_2096:                           ;   in Loop: Header=BB214_1571 Depth=1
	s_or_b32 exec_lo, exec_lo, s18
.LBB214_2097:                           ;   in Loop: Header=BB214_1571 Depth=1
	s_or_b32 exec_lo, exec_lo, s17
.LBB214_2098:                           ;   in Loop: Header=BB214_1571 Depth=1
	s_or_b32 exec_lo, exec_lo, s15
	v_mov_b32_e32 v23, 0
	v_mov_b32_e32 v25, 0
	v_and_b32_sdwa v8, v7, v43 dst_sel:DWORD dst_unused:UNUSED_PAD src0_sel:WORD_1 src1_sel:DWORD
	v_mov_b32_e32 v24, 0
	v_mov_b32_e32 v26, 0
	s_mov_b32 s15, exec_lo
	v_cmpx_ne_u16_e32 0, v8
	s_cbranch_execz .LBB214_2106
; %bb.2099:                             ;   in Loop: Header=BB214_1571 Depth=1
	v_bfrev_b32_e32 v25, 1
	v_mov_b32_e32 v26, 0
	s_mov_b32 s17, exec_lo
	v_cmpx_ne_u16_e32 0x80, v8
	s_cbranch_execz .LBB214_2105
; %bb.2100:                             ;   in Loop: Header=BB214_1571 Depth=1
	v_mov_b32_e32 v25, 0x7f800001
	v_bfe_u32 v11, v7, 16, 7
	v_mov_b32_e32 v26, 0
	s_mov_b32 s18, exec_lo
	v_cmpx_ne_u32_e32 0x7f, v11
	s_cbranch_execz .LBB214_2104
; %bb.2101:                             ;   in Loop: Header=BB214_1571 Depth=1
	v_mov_b32_e32 v8, 7
	s_mov_b32 s19, exec_lo
	v_and_b32_sdwa v9, v7, v8 dst_sel:DWORD dst_unused:UNUSED_PAD src0_sel:WORD_1 src1_sel:DWORD
	v_lshrrev_b32_e32 v8, 3, v11
	v_cmpx_gt_u32_e32 8, v11
; %bb.2102:                             ;   in Loop: Header=BB214_1571 Depth=1
	v_ffbh_u32_e32 v8, v9
	v_min_u32_e32 v8, 32, v8
	v_subrev_nc_u32_e32 v11, 28, v8
	v_sub_nc_u32_e32 v8, 29, v8
	v_lshlrev_b64 v[25:26], v11, v[9:10]
	v_and_b32_e32 v9, 7, v25
; %bb.2103:                             ;   in Loop: Header=BB214_1571 Depth=1
	s_or_b32 exec_lo, exec_lo, s19
	v_mov_b32_e32 v11, 24
	v_lshlrev_b32_e32 v9, 20, v9
	v_lshl_add_u32 v8, v8, 23, 0x3c000000
	v_lshlrev_b32_sdwa v11, v11, v7 dst_sel:DWORD dst_unused:UNUSED_PAD src0_sel:DWORD src1_sel:WORD_1
	v_and_b32_e32 v11, 0x80000000, v11
	v_or3_b32 v9, v9, v11, v8
	v_mov_b32_e32 v26, v10
	v_mov_b32_e32 v25, v9
.LBB214_2104:                           ;   in Loop: Header=BB214_1571 Depth=1
	s_or_b32 exec_lo, exec_lo, s18
.LBB214_2105:                           ;   in Loop: Header=BB214_1571 Depth=1
	s_or_b32 exec_lo, exec_lo, s17
.LBB214_2106:                           ;   in Loop: Header=BB214_1571 Depth=1
	s_or_b32 exec_lo, exec_lo, s15
	s_mov_b32 s15, exec_lo
	v_cmpx_lt_u32_e32 0xffffff, v7
	s_cbranch_execz .LBB214_2114
; %bb.2107:                             ;   in Loop: Header=BB214_1571 Depth=1
	v_mov_b32_e32 v11, v10
	v_mov_b32_e32 v24, v12
	v_cmp_ne_u32_sdwa s4, v7, v41 src0_sel:BYTE_3 src1_sel:DWORD
	v_mov_b32_e32 v23, v11
	s_and_saveexec_b32 s17, s4
	s_cbranch_execz .LBB214_2113
; %bb.2108:                             ;   in Loop: Header=BB214_1571 Depth=1
	v_mov_b32_e32 v13, v10
	v_mov_b32_e32 v24, v14
	v_bfe_u32 v11, v7, 24, 7
	s_mov_b32 s18, exec_lo
	v_mov_b32_e32 v23, v13
	v_cmpx_ne_u32_e32 0x7f, v11
	s_cbranch_execz .LBB214_2112
; %bb.2109:                             ;   in Loop: Header=BB214_1571 Depth=1
	v_mov_b32_e32 v8, 7
	s_mov_b32 s19, exec_lo
	v_and_b32_sdwa v9, v7, v8 dst_sel:DWORD dst_unused:UNUSED_PAD src0_sel:BYTE_3 src1_sel:DWORD
	v_lshrrev_b32_e32 v8, 3, v11
	v_cmpx_gt_u32_e32 8, v11
; %bb.2110:                             ;   in Loop: Header=BB214_1571 Depth=1
	v_ffbh_u32_e32 v8, v9
	v_min_u32_e32 v8, 32, v8
	v_subrev_nc_u32_e32 v11, 28, v8
	v_sub_nc_u32_e32 v8, 29, v8
	v_lshlrev_b64 v[23:24], v11, v[9:10]
	v_and_b32_e32 v9, 7, v23
; %bb.2111:                             ;   in Loop: Header=BB214_1571 Depth=1
	s_or_b32 exec_lo, exec_lo, s19
	v_mov_b32_e32 v11, 24
	v_lshlrev_b32_e32 v9, 20, v9
	v_lshl_add_u32 v8, v8, 23, 0x3c000000
	v_mov_b32_e32 v23, v10
	v_lshlrev_b32_sdwa v7, v11, v7 dst_sel:DWORD dst_unused:UNUSED_PAD src0_sel:DWORD src1_sel:BYTE_3
	v_and_b32_e32 v7, 0x80000000, v7
	v_or3_b32 v24, v9, v7, v8
.LBB214_2112:                           ;   in Loop: Header=BB214_1571 Depth=1
	s_or_b32 exec_lo, exec_lo, s18
.LBB214_2113:                           ;   in Loop: Header=BB214_1571 Depth=1
	s_or_b32 exec_lo, exec_lo, s17
.LBB214_2114:                           ;   in Loop: Header=BB214_1571 Depth=1
	s_or_b32 exec_lo, exec_lo, s15
	v_or_b32_e32 v7, v22, v20
	v_or_b32_e32 v8, v21, v19
	;; [unrolled: 1-line block ×4, first 2 shown]
	v_mul_f32_e32 v7, v74, v7
	buffer_store_dword v7, off, s[0:3], s32 offset:728 ; 4-byte Folded Spill
	v_mul_f32_e32 v7, v74, v8
	buffer_store_dword v7, off, s[0:3], s32 offset:720 ; 4-byte Folded Spill
	;; [unrolled: 2-line block ×4, first 2 shown]
	s_and_saveexec_b32 s15, vcc_lo
	s_cbranch_execz .LBB214_2116
; %bb.2115:                             ;   in Loop: Header=BB214_1571 Depth=1
	s_clause 0x1
	buffer_load_dword v7, off, s[0:3], s32 offset:200
	buffer_load_dword v8, off, s[0:3], s32 offset:720
	s_waitcnt vmcnt(1)
	v_cmp_lt_i32_e64 s4, v79, v7
	s_waitcnt vmcnt(0)
	v_cndmask_b32_e64 v8, 0, v8, s4
	v_cmp_lt_i32_e64 s4, v90, v7
	buffer_store_dword v8, off, s[0:3], s32 offset:720 ; 4-byte Folded Spill
	buffer_load_dword v8, off, s[0:3], s32 offset:728 ; 4-byte Folded Reload
	s_waitcnt vmcnt(0)
	v_cndmask_b32_e64 v8, 0, v8, s4
	v_cmp_lt_i32_e64 s4, v89, v7
	buffer_store_dword v8, off, s[0:3], s32 offset:728 ; 4-byte Folded Spill
	buffer_load_dword v8, off, s[0:3], s32 offset:712 ; 4-byte Folded Reload
	s_waitcnt vmcnt(0)
	v_cndmask_b32_e64 v8, 0, v8, s4
	v_cmp_lt_i32_e64 s4, v88, v7
	buffer_load_dword v7, off, s[0:3], s32 offset:704 ; 4-byte Folded Reload
	buffer_store_dword v8, off, s[0:3], s32 offset:712 ; 4-byte Folded Spill
	s_waitcnt vmcnt(0)
	v_cndmask_b32_e64 v7, 0, v7, s4
	buffer_store_dword v7, off, s[0:3], s32 offset:704 ; 4-byte Folded Spill
.LBB214_2116:                           ;   in Loop: Header=BB214_1571 Depth=1
	s_or_b32 exec_lo, exec_lo, s15
	v_add_co_u32 v19, s4, 0x800, v0
	v_add_co_ci_u32_e64 v20, null, 0, v1, s4
	v_mov_b32_e32 v23, 0
	v_mov_b32_e32 v21, 0
	;; [unrolled: 1-line block ×3, first 2 shown]
	flat_load_dword v7, v[19:20]
	v_mov_b32_e32 v22, 0
	s_waitcnt vmcnt(0) lgkmcnt(0)
	v_cmp_ne_u16_sdwa s4, v7, v10 src0_sel:BYTE_0 src1_sel:DWORD
	s_and_saveexec_b32 s15, s4
	s_cbranch_execz .LBB214_2124
; %bb.2117:                             ;   in Loop: Header=BB214_1571 Depth=1
	v_bfrev_b32_e32 v21, 1
	v_mov_b32_e32 v22, 0
	v_cmp_ne_u16_sdwa s4, v7, v41 src0_sel:BYTE_0 src1_sel:DWORD
	s_and_saveexec_b32 s17, s4
	s_cbranch_execz .LBB214_2123
; %bb.2118:                             ;   in Loop: Header=BB214_1571 Depth=1
	v_mov_b32_e32 v21, 0x7f800001
	v_and_b32_e32 v11, 0x7f, v7
	v_mov_b32_e32 v22, 0
	s_mov_b32 s18, exec_lo
	v_cmpx_ne_u32_e32 0x7f, v11
	s_cbranch_execz .LBB214_2122
; %bb.2119:                             ;   in Loop: Header=BB214_1571 Depth=1
	v_and_b32_e32 v9, 7, v7
	v_lshrrev_b32_e32 v8, 3, v11
	s_mov_b32 s19, exec_lo
	v_cmpx_gt_u32_e32 8, v11
; %bb.2120:                             ;   in Loop: Header=BB214_1571 Depth=1
	v_ffbh_u32_e32 v8, v9
	v_min_u32_e32 v8, 32, v8
	v_subrev_nc_u32_e32 v11, 28, v8
	v_sub_nc_u32_e32 v8, 29, v8
	v_lshlrev_b64 v[21:22], v11, v[9:10]
	v_and_b32_e32 v9, 7, v21
; %bb.2121:                             ;   in Loop: Header=BB214_1571 Depth=1
	s_or_b32 exec_lo, exec_lo, s19
	v_lshlrev_b32_e32 v11, 24, v7
	v_lshlrev_b32_e32 v9, 20, v9
	v_lshl_add_u32 v8, v8, 23, 0x3c000000
	v_and_b32_e32 v11, 0x80000000, v11
	v_or3_b32 v9, v9, v11, v8
	v_mov_b32_e32 v22, v10
	v_mov_b32_e32 v21, v9
.LBB214_2122:                           ;   in Loop: Header=BB214_1571 Depth=1
	s_or_b32 exec_lo, exec_lo, s18
.LBB214_2123:                           ;   in Loop: Header=BB214_1571 Depth=1
	s_or_b32 exec_lo, exec_lo, s17
.LBB214_2124:                           ;   in Loop: Header=BB214_1571 Depth=1
	s_or_b32 exec_lo, exec_lo, s15
	v_cmp_ne_u16_sdwa s4, v7, v10 src0_sel:BYTE_1 src1_sel:DWORD
	s_and_saveexec_b32 s15, s4
	s_cbranch_execz .LBB214_2132
; %bb.2125:                             ;   in Loop: Header=BB214_1571 Depth=1
	v_mov_b32_e32 v11, v10
	v_mov_b32_e32 v24, v12
	v_cmp_ne_u16_sdwa s4, v7, v41 src0_sel:BYTE_1 src1_sel:DWORD
	v_mov_b32_e32 v23, v11
	s_and_saveexec_b32 s17, s4
	s_cbranch_execz .LBB214_2131
; %bb.2126:                             ;   in Loop: Header=BB214_1571 Depth=1
	v_and_b32_sdwa v8, v48, v7 dst_sel:DWORD dst_unused:UNUSED_PAD src0_sel:DWORD src1_sel:BYTE_1
	v_mov_b32_e32 v13, v10
	v_mov_b32_e32 v24, v14
	s_mov_b32 s18, exec_lo
	v_and_b32_e32 v11, 0x7f, v8
	v_mov_b32_e32 v23, v13
	v_cmpx_ne_u32_e32 0x7f, v11
	s_cbranch_execz .LBB214_2130
; %bb.2127:                             ;   in Loop: Header=BB214_1571 Depth=1
	v_and_b32_e32 v9, 7, v8
	v_lshrrev_b32_e32 v8, 3, v11
	s_mov_b32 s19, exec_lo
	v_cmpx_gt_u32_e32 8, v11
; %bb.2128:                             ;   in Loop: Header=BB214_1571 Depth=1
	v_ffbh_u32_e32 v8, v9
	v_min_u32_e32 v8, 32, v8
	v_subrev_nc_u32_e32 v11, 28, v8
	v_sub_nc_u32_e32 v8, 29, v8
	v_lshlrev_b64 v[23:24], v11, v[9:10]
	v_and_b32_e32 v9, 7, v23
; %bb.2129:                             ;   in Loop: Header=BB214_1571 Depth=1
	s_or_b32 exec_lo, exec_lo, s19
	v_lshlrev_b32_e32 v11, 16, v7
	v_lshlrev_b32_e32 v9, 20, v9
	v_lshl_add_u32 v8, v8, 23, 0x3c000000
	v_mov_b32_e32 v23, v10
	v_and_b32_e32 v11, 0x80000000, v11
	v_or3_b32 v24, v9, v11, v8
.LBB214_2130:                           ;   in Loop: Header=BB214_1571 Depth=1
	s_or_b32 exec_lo, exec_lo, s18
.LBB214_2131:                           ;   in Loop: Header=BB214_1571 Depth=1
	s_or_b32 exec_lo, exec_lo, s17
.LBB214_2132:                           ;   in Loop: Header=BB214_1571 Depth=1
	s_or_b32 exec_lo, exec_lo, s15
	v_mov_b32_e32 v25, 0
	v_mov_b32_e32 v27, 0
	v_and_b32_sdwa v8, v7, v43 dst_sel:DWORD dst_unused:UNUSED_PAD src0_sel:WORD_1 src1_sel:DWORD
	v_mov_b32_e32 v26, 0
	v_mov_b32_e32 v28, 0
	s_mov_b32 s15, exec_lo
	v_cmpx_ne_u16_e32 0, v8
	s_cbranch_execz .LBB214_2140
; %bb.2133:                             ;   in Loop: Header=BB214_1571 Depth=1
	v_bfrev_b32_e32 v27, 1
	v_mov_b32_e32 v28, 0
	s_mov_b32 s17, exec_lo
	v_cmpx_ne_u16_e32 0x80, v8
	s_cbranch_execz .LBB214_2139
; %bb.2134:                             ;   in Loop: Header=BB214_1571 Depth=1
	v_mov_b32_e32 v27, 0x7f800001
	v_bfe_u32 v11, v7, 16, 7
	v_mov_b32_e32 v28, 0
	s_mov_b32 s18, exec_lo
	v_cmpx_ne_u32_e32 0x7f, v11
	s_cbranch_execz .LBB214_2138
; %bb.2135:                             ;   in Loop: Header=BB214_1571 Depth=1
	v_mov_b32_e32 v8, 7
	s_mov_b32 s19, exec_lo
	v_and_b32_sdwa v9, v7, v8 dst_sel:DWORD dst_unused:UNUSED_PAD src0_sel:WORD_1 src1_sel:DWORD
	v_lshrrev_b32_e32 v8, 3, v11
	v_cmpx_gt_u32_e32 8, v11
; %bb.2136:                             ;   in Loop: Header=BB214_1571 Depth=1
	v_ffbh_u32_e32 v8, v9
	v_min_u32_e32 v8, 32, v8
	v_subrev_nc_u32_e32 v11, 28, v8
	v_sub_nc_u32_e32 v8, 29, v8
	v_lshlrev_b64 v[27:28], v11, v[9:10]
	v_and_b32_e32 v9, 7, v27
; %bb.2137:                             ;   in Loop: Header=BB214_1571 Depth=1
	s_or_b32 exec_lo, exec_lo, s19
	v_mov_b32_e32 v11, 24
	v_lshlrev_b32_e32 v9, 20, v9
	v_lshl_add_u32 v8, v8, 23, 0x3c000000
	v_lshlrev_b32_sdwa v11, v11, v7 dst_sel:DWORD dst_unused:UNUSED_PAD src0_sel:DWORD src1_sel:WORD_1
	v_and_b32_e32 v11, 0x80000000, v11
	v_or3_b32 v9, v9, v11, v8
	v_mov_b32_e32 v28, v10
	v_mov_b32_e32 v27, v9
.LBB214_2138:                           ;   in Loop: Header=BB214_1571 Depth=1
	s_or_b32 exec_lo, exec_lo, s18
.LBB214_2139:                           ;   in Loop: Header=BB214_1571 Depth=1
	s_or_b32 exec_lo, exec_lo, s17
.LBB214_2140:                           ;   in Loop: Header=BB214_1571 Depth=1
	s_or_b32 exec_lo, exec_lo, s15
	s_mov_b32 s15, exec_lo
	v_cmpx_lt_u32_e32 0xffffff, v7
	s_cbranch_execz .LBB214_2148
; %bb.2141:                             ;   in Loop: Header=BB214_1571 Depth=1
	v_mov_b32_e32 v11, v10
	v_mov_b32_e32 v26, v12
	v_cmp_ne_u32_sdwa s4, v7, v41 src0_sel:BYTE_3 src1_sel:DWORD
	v_mov_b32_e32 v25, v11
	s_and_saveexec_b32 s17, s4
	s_cbranch_execz .LBB214_2147
; %bb.2142:                             ;   in Loop: Header=BB214_1571 Depth=1
	v_mov_b32_e32 v13, v10
	v_mov_b32_e32 v26, v14
	v_bfe_u32 v11, v7, 24, 7
	s_mov_b32 s18, exec_lo
	v_mov_b32_e32 v25, v13
	v_cmpx_ne_u32_e32 0x7f, v11
	s_cbranch_execz .LBB214_2146
; %bb.2143:                             ;   in Loop: Header=BB214_1571 Depth=1
	v_mov_b32_e32 v8, 7
	s_mov_b32 s19, exec_lo
	v_and_b32_sdwa v9, v7, v8 dst_sel:DWORD dst_unused:UNUSED_PAD src0_sel:BYTE_3 src1_sel:DWORD
	v_lshrrev_b32_e32 v8, 3, v11
	v_cmpx_gt_u32_e32 8, v11
; %bb.2144:                             ;   in Loop: Header=BB214_1571 Depth=1
	v_ffbh_u32_e32 v8, v9
	v_min_u32_e32 v8, 32, v8
	v_subrev_nc_u32_e32 v11, 28, v8
	v_sub_nc_u32_e32 v8, 29, v8
	v_lshlrev_b64 v[25:26], v11, v[9:10]
	v_and_b32_e32 v9, 7, v25
; %bb.2145:                             ;   in Loop: Header=BB214_1571 Depth=1
	s_or_b32 exec_lo, exec_lo, s19
	v_mov_b32_e32 v11, 24
	v_lshlrev_b32_e32 v9, 20, v9
	v_lshl_add_u32 v8, v8, 23, 0x3c000000
	v_mov_b32_e32 v25, v10
	v_lshlrev_b32_sdwa v7, v11, v7 dst_sel:DWORD dst_unused:UNUSED_PAD src0_sel:DWORD src1_sel:BYTE_3
	v_and_b32_e32 v7, 0x80000000, v7
	v_or3_b32 v26, v9, v7, v8
.LBB214_2146:                           ;   in Loop: Header=BB214_1571 Depth=1
	s_or_b32 exec_lo, exec_lo, s18
.LBB214_2147:                           ;   in Loop: Header=BB214_1571 Depth=1
	s_or_b32 exec_lo, exec_lo, s17
.LBB214_2148:                           ;   in Loop: Header=BB214_1571 Depth=1
	s_or_b32 exec_lo, exec_lo, s15
	v_or_b32_e32 v7, v24, v22
	v_or_b32_e32 v8, v23, v21
	;; [unrolled: 1-line block ×4, first 2 shown]
	v_mul_f32_e32 v7, v74, v7
	buffer_store_dword v7, off, s[0:3], s32 offset:760 ; 4-byte Folded Spill
	v_mul_f32_e32 v7, v74, v8
	buffer_store_dword v7, off, s[0:3], s32 offset:752 ; 4-byte Folded Spill
	;; [unrolled: 2-line block ×4, first 2 shown]
	s_and_saveexec_b32 s15, vcc_lo
	s_cbranch_execz .LBB214_2150
; %bb.2149:                             ;   in Loop: Header=BB214_1571 Depth=1
	s_clause 0x1
	buffer_load_dword v7, off, s[0:3], s32 offset:200
	buffer_load_dword v8, off, s[0:3], s32 offset:752
	s_waitcnt vmcnt(1)
	v_cmp_lt_i32_e64 s4, v79, v7
	s_waitcnt vmcnt(0)
	v_cndmask_b32_e64 v8, 0, v8, s4
	v_cmp_lt_i32_e64 s4, v90, v7
	buffer_store_dword v8, off, s[0:3], s32 offset:752 ; 4-byte Folded Spill
	buffer_load_dword v8, off, s[0:3], s32 offset:760 ; 4-byte Folded Reload
	s_waitcnt vmcnt(0)
	v_cndmask_b32_e64 v8, 0, v8, s4
	v_cmp_lt_i32_e64 s4, v89, v7
	buffer_store_dword v8, off, s[0:3], s32 offset:760 ; 4-byte Folded Spill
	buffer_load_dword v8, off, s[0:3], s32 offset:744 ; 4-byte Folded Reload
	s_waitcnt vmcnt(0)
	v_cndmask_b32_e64 v8, 0, v8, s4
	v_cmp_lt_i32_e64 s4, v88, v7
	buffer_load_dword v7, off, s[0:3], s32 offset:736 ; 4-byte Folded Reload
	buffer_store_dword v8, off, s[0:3], s32 offset:744 ; 4-byte Folded Spill
	s_waitcnt vmcnt(0)
	v_cndmask_b32_e64 v7, 0, v7, s4
	buffer_store_dword v7, off, s[0:3], s32 offset:736 ; 4-byte Folded Spill
.LBB214_2150:                           ;   in Loop: Header=BB214_1571 Depth=1
	s_or_b32 exec_lo, exec_lo, s15
	flat_load_dword v7, v[19:20] offset:128
	v_mov_b32_e32 v23, 0
	v_mov_b32_e32 v21, 0
	;; [unrolled: 1-line block ×4, first 2 shown]
	s_waitcnt vmcnt(0) lgkmcnt(0)
	v_cmp_ne_u16_sdwa s4, v7, v10 src0_sel:BYTE_0 src1_sel:DWORD
	s_and_saveexec_b32 s15, s4
	s_cbranch_execz .LBB214_2158
; %bb.2151:                             ;   in Loop: Header=BB214_1571 Depth=1
	v_bfrev_b32_e32 v21, 1
	v_mov_b32_e32 v22, 0
	v_cmp_ne_u16_sdwa s4, v7, v41 src0_sel:BYTE_0 src1_sel:DWORD
	s_and_saveexec_b32 s17, s4
	s_cbranch_execz .LBB214_2157
; %bb.2152:                             ;   in Loop: Header=BB214_1571 Depth=1
	v_mov_b32_e32 v21, 0x7f800001
	v_and_b32_e32 v11, 0x7f, v7
	v_mov_b32_e32 v22, 0
	s_mov_b32 s18, exec_lo
	v_cmpx_ne_u32_e32 0x7f, v11
	s_cbranch_execz .LBB214_2156
; %bb.2153:                             ;   in Loop: Header=BB214_1571 Depth=1
	v_and_b32_e32 v9, 7, v7
	v_lshrrev_b32_e32 v8, 3, v11
	s_mov_b32 s19, exec_lo
	v_cmpx_gt_u32_e32 8, v11
; %bb.2154:                             ;   in Loop: Header=BB214_1571 Depth=1
	v_ffbh_u32_e32 v8, v9
	v_min_u32_e32 v8, 32, v8
	v_subrev_nc_u32_e32 v11, 28, v8
	v_sub_nc_u32_e32 v8, 29, v8
	v_lshlrev_b64 v[21:22], v11, v[9:10]
	v_and_b32_e32 v9, 7, v21
; %bb.2155:                             ;   in Loop: Header=BB214_1571 Depth=1
	s_or_b32 exec_lo, exec_lo, s19
	v_lshlrev_b32_e32 v11, 24, v7
	v_lshlrev_b32_e32 v9, 20, v9
	v_lshl_add_u32 v8, v8, 23, 0x3c000000
	v_and_b32_e32 v11, 0x80000000, v11
	v_or3_b32 v9, v9, v11, v8
	v_mov_b32_e32 v22, v10
	v_mov_b32_e32 v21, v9
.LBB214_2156:                           ;   in Loop: Header=BB214_1571 Depth=1
	s_or_b32 exec_lo, exec_lo, s18
.LBB214_2157:                           ;   in Loop: Header=BB214_1571 Depth=1
	s_or_b32 exec_lo, exec_lo, s17
.LBB214_2158:                           ;   in Loop: Header=BB214_1571 Depth=1
	s_or_b32 exec_lo, exec_lo, s15
	v_cmp_ne_u16_sdwa s4, v7, v10 src0_sel:BYTE_1 src1_sel:DWORD
	s_and_saveexec_b32 s15, s4
	s_cbranch_execz .LBB214_2166
; %bb.2159:                             ;   in Loop: Header=BB214_1571 Depth=1
	v_mov_b32_e32 v11, v10
	v_mov_b32_e32 v24, v12
	v_cmp_ne_u16_sdwa s4, v7, v41 src0_sel:BYTE_1 src1_sel:DWORD
	v_mov_b32_e32 v23, v11
	s_and_saveexec_b32 s17, s4
	s_cbranch_execz .LBB214_2165
; %bb.2160:                             ;   in Loop: Header=BB214_1571 Depth=1
	v_and_b32_sdwa v8, v48, v7 dst_sel:DWORD dst_unused:UNUSED_PAD src0_sel:DWORD src1_sel:BYTE_1
	v_mov_b32_e32 v13, v10
	v_mov_b32_e32 v24, v14
	s_mov_b32 s18, exec_lo
	v_and_b32_e32 v11, 0x7f, v8
	v_mov_b32_e32 v23, v13
	v_cmpx_ne_u32_e32 0x7f, v11
	s_cbranch_execz .LBB214_2164
; %bb.2161:                             ;   in Loop: Header=BB214_1571 Depth=1
	v_and_b32_e32 v9, 7, v8
	v_lshrrev_b32_e32 v8, 3, v11
	s_mov_b32 s19, exec_lo
	v_cmpx_gt_u32_e32 8, v11
; %bb.2162:                             ;   in Loop: Header=BB214_1571 Depth=1
	v_ffbh_u32_e32 v8, v9
	v_min_u32_e32 v8, 32, v8
	v_subrev_nc_u32_e32 v11, 28, v8
	v_sub_nc_u32_e32 v8, 29, v8
	v_lshlrev_b64 v[23:24], v11, v[9:10]
	v_and_b32_e32 v9, 7, v23
; %bb.2163:                             ;   in Loop: Header=BB214_1571 Depth=1
	s_or_b32 exec_lo, exec_lo, s19
	v_lshlrev_b32_e32 v11, 16, v7
	v_lshlrev_b32_e32 v9, 20, v9
	v_lshl_add_u32 v8, v8, 23, 0x3c000000
	v_mov_b32_e32 v23, v10
	v_and_b32_e32 v11, 0x80000000, v11
	v_or3_b32 v24, v9, v11, v8
.LBB214_2164:                           ;   in Loop: Header=BB214_1571 Depth=1
	s_or_b32 exec_lo, exec_lo, s18
.LBB214_2165:                           ;   in Loop: Header=BB214_1571 Depth=1
	s_or_b32 exec_lo, exec_lo, s17
.LBB214_2166:                           ;   in Loop: Header=BB214_1571 Depth=1
	s_or_b32 exec_lo, exec_lo, s15
	v_mov_b32_e32 v25, 0
	v_mov_b32_e32 v27, 0
	v_and_b32_sdwa v8, v7, v43 dst_sel:DWORD dst_unused:UNUSED_PAD src0_sel:WORD_1 src1_sel:DWORD
	v_mov_b32_e32 v26, 0
	v_mov_b32_e32 v28, 0
	s_mov_b32 s15, exec_lo
	v_cmpx_ne_u16_e32 0, v8
	s_cbranch_execz .LBB214_2174
; %bb.2167:                             ;   in Loop: Header=BB214_1571 Depth=1
	v_bfrev_b32_e32 v27, 1
	v_mov_b32_e32 v28, 0
	s_mov_b32 s17, exec_lo
	v_cmpx_ne_u16_e32 0x80, v8
	s_cbranch_execz .LBB214_2173
; %bb.2168:                             ;   in Loop: Header=BB214_1571 Depth=1
	v_mov_b32_e32 v27, 0x7f800001
	v_bfe_u32 v11, v7, 16, 7
	v_mov_b32_e32 v28, 0
	s_mov_b32 s18, exec_lo
	v_cmpx_ne_u32_e32 0x7f, v11
	s_cbranch_execz .LBB214_2172
; %bb.2169:                             ;   in Loop: Header=BB214_1571 Depth=1
	v_mov_b32_e32 v8, 7
	s_mov_b32 s19, exec_lo
	v_and_b32_sdwa v9, v7, v8 dst_sel:DWORD dst_unused:UNUSED_PAD src0_sel:WORD_1 src1_sel:DWORD
	v_lshrrev_b32_e32 v8, 3, v11
	v_cmpx_gt_u32_e32 8, v11
; %bb.2170:                             ;   in Loop: Header=BB214_1571 Depth=1
	v_ffbh_u32_e32 v8, v9
	v_min_u32_e32 v8, 32, v8
	v_subrev_nc_u32_e32 v11, 28, v8
	v_sub_nc_u32_e32 v8, 29, v8
	v_lshlrev_b64 v[27:28], v11, v[9:10]
	v_and_b32_e32 v9, 7, v27
; %bb.2171:                             ;   in Loop: Header=BB214_1571 Depth=1
	s_or_b32 exec_lo, exec_lo, s19
	v_mov_b32_e32 v11, 24
	v_lshlrev_b32_e32 v9, 20, v9
	v_lshl_add_u32 v8, v8, 23, 0x3c000000
	v_lshlrev_b32_sdwa v11, v11, v7 dst_sel:DWORD dst_unused:UNUSED_PAD src0_sel:DWORD src1_sel:WORD_1
	v_and_b32_e32 v11, 0x80000000, v11
	v_or3_b32 v9, v9, v11, v8
	v_mov_b32_e32 v28, v10
	v_mov_b32_e32 v27, v9
.LBB214_2172:                           ;   in Loop: Header=BB214_1571 Depth=1
	s_or_b32 exec_lo, exec_lo, s18
.LBB214_2173:                           ;   in Loop: Header=BB214_1571 Depth=1
	s_or_b32 exec_lo, exec_lo, s17
.LBB214_2174:                           ;   in Loop: Header=BB214_1571 Depth=1
	s_or_b32 exec_lo, exec_lo, s15
	s_mov_b32 s15, exec_lo
	v_cmpx_lt_u32_e32 0xffffff, v7
	s_cbranch_execz .LBB214_2182
; %bb.2175:                             ;   in Loop: Header=BB214_1571 Depth=1
	v_mov_b32_e32 v11, v10
	v_mov_b32_e32 v26, v12
	v_cmp_ne_u32_sdwa s4, v7, v41 src0_sel:BYTE_3 src1_sel:DWORD
	v_mov_b32_e32 v25, v11
	s_and_saveexec_b32 s17, s4
	s_cbranch_execz .LBB214_2181
; %bb.2176:                             ;   in Loop: Header=BB214_1571 Depth=1
	v_mov_b32_e32 v13, v10
	v_mov_b32_e32 v26, v14
	v_bfe_u32 v11, v7, 24, 7
	s_mov_b32 s18, exec_lo
	v_mov_b32_e32 v25, v13
	v_cmpx_ne_u32_e32 0x7f, v11
	s_cbranch_execz .LBB214_2180
; %bb.2177:                             ;   in Loop: Header=BB214_1571 Depth=1
	v_mov_b32_e32 v8, 7
	s_mov_b32 s19, exec_lo
	v_and_b32_sdwa v9, v7, v8 dst_sel:DWORD dst_unused:UNUSED_PAD src0_sel:BYTE_3 src1_sel:DWORD
	v_lshrrev_b32_e32 v8, 3, v11
	v_cmpx_gt_u32_e32 8, v11
; %bb.2178:                             ;   in Loop: Header=BB214_1571 Depth=1
	v_ffbh_u32_e32 v8, v9
	v_min_u32_e32 v8, 32, v8
	v_subrev_nc_u32_e32 v11, 28, v8
	v_sub_nc_u32_e32 v8, 29, v8
	v_lshlrev_b64 v[25:26], v11, v[9:10]
	v_and_b32_e32 v9, 7, v25
; %bb.2179:                             ;   in Loop: Header=BB214_1571 Depth=1
	s_or_b32 exec_lo, exec_lo, s19
	v_mov_b32_e32 v11, 24
	v_lshlrev_b32_e32 v9, 20, v9
	v_lshl_add_u32 v8, v8, 23, 0x3c000000
	v_mov_b32_e32 v25, v10
	v_lshlrev_b32_sdwa v7, v11, v7 dst_sel:DWORD dst_unused:UNUSED_PAD src0_sel:DWORD src1_sel:BYTE_3
	v_and_b32_e32 v7, 0x80000000, v7
	v_or3_b32 v26, v9, v7, v8
.LBB214_2180:                           ;   in Loop: Header=BB214_1571 Depth=1
	s_or_b32 exec_lo, exec_lo, s18
.LBB214_2181:                           ;   in Loop: Header=BB214_1571 Depth=1
	s_or_b32 exec_lo, exec_lo, s17
.LBB214_2182:                           ;   in Loop: Header=BB214_1571 Depth=1
	s_or_b32 exec_lo, exec_lo, s15
	v_or_b32_e32 v7, v24, v22
	v_or_b32_e32 v8, v23, v21
	;; [unrolled: 1-line block ×4, first 2 shown]
	v_mul_f32_e32 v7, v74, v7
	buffer_store_dword v7, off, s[0:3], s32 offset:792 ; 4-byte Folded Spill
	v_mul_f32_e32 v7, v74, v8
	buffer_store_dword v7, off, s[0:3], s32 offset:784 ; 4-byte Folded Spill
	;; [unrolled: 2-line block ×4, first 2 shown]
	s_and_saveexec_b32 s15, vcc_lo
	s_cbranch_execz .LBB214_2184
; %bb.2183:                             ;   in Loop: Header=BB214_1571 Depth=1
	s_clause 0x1
	buffer_load_dword v7, off, s[0:3], s32 offset:200
	buffer_load_dword v8, off, s[0:3], s32 offset:784
	s_waitcnt vmcnt(1)
	v_cmp_lt_i32_e64 s4, v79, v7
	s_waitcnt vmcnt(0)
	v_cndmask_b32_e64 v8, 0, v8, s4
	v_cmp_lt_i32_e64 s4, v90, v7
	buffer_store_dword v8, off, s[0:3], s32 offset:784 ; 4-byte Folded Spill
	buffer_load_dword v8, off, s[0:3], s32 offset:792 ; 4-byte Folded Reload
	s_waitcnt vmcnt(0)
	v_cndmask_b32_e64 v8, 0, v8, s4
	v_cmp_lt_i32_e64 s4, v89, v7
	buffer_store_dword v8, off, s[0:3], s32 offset:792 ; 4-byte Folded Spill
	buffer_load_dword v8, off, s[0:3], s32 offset:776 ; 4-byte Folded Reload
	s_waitcnt vmcnt(0)
	v_cndmask_b32_e64 v8, 0, v8, s4
	v_cmp_lt_i32_e64 s4, v88, v7
	buffer_load_dword v7, off, s[0:3], s32 offset:768 ; 4-byte Folded Reload
	buffer_store_dword v8, off, s[0:3], s32 offset:776 ; 4-byte Folded Spill
	s_waitcnt vmcnt(0)
	v_cndmask_b32_e64 v7, 0, v7, s4
	buffer_store_dword v7, off, s[0:3], s32 offset:768 ; 4-byte Folded Spill
.LBB214_2184:                           ;   in Loop: Header=BB214_1571 Depth=1
	s_or_b32 exec_lo, exec_lo, s15
	flat_load_dword v7, v[19:20] offset:256
	v_mov_b32_e32 v23, 0
	v_mov_b32_e32 v21, 0
	;; [unrolled: 1-line block ×4, first 2 shown]
	s_waitcnt vmcnt(0) lgkmcnt(0)
	v_cmp_ne_u16_sdwa s4, v7, v10 src0_sel:BYTE_0 src1_sel:DWORD
	s_and_saveexec_b32 s15, s4
	s_cbranch_execz .LBB214_2192
; %bb.2185:                             ;   in Loop: Header=BB214_1571 Depth=1
	v_bfrev_b32_e32 v21, 1
	v_mov_b32_e32 v22, 0
	v_cmp_ne_u16_sdwa s4, v7, v41 src0_sel:BYTE_0 src1_sel:DWORD
	s_and_saveexec_b32 s17, s4
	s_cbranch_execz .LBB214_2191
; %bb.2186:                             ;   in Loop: Header=BB214_1571 Depth=1
	v_mov_b32_e32 v21, 0x7f800001
	v_and_b32_e32 v11, 0x7f, v7
	v_mov_b32_e32 v22, 0
	s_mov_b32 s18, exec_lo
	v_cmpx_ne_u32_e32 0x7f, v11
	s_cbranch_execz .LBB214_2190
; %bb.2187:                             ;   in Loop: Header=BB214_1571 Depth=1
	v_and_b32_e32 v9, 7, v7
	v_lshrrev_b32_e32 v8, 3, v11
	s_mov_b32 s19, exec_lo
	v_cmpx_gt_u32_e32 8, v11
; %bb.2188:                             ;   in Loop: Header=BB214_1571 Depth=1
	v_ffbh_u32_e32 v8, v9
	v_min_u32_e32 v8, 32, v8
	v_subrev_nc_u32_e32 v11, 28, v8
	v_sub_nc_u32_e32 v8, 29, v8
	v_lshlrev_b64 v[21:22], v11, v[9:10]
	v_and_b32_e32 v9, 7, v21
; %bb.2189:                             ;   in Loop: Header=BB214_1571 Depth=1
	s_or_b32 exec_lo, exec_lo, s19
	v_lshlrev_b32_e32 v11, 24, v7
	v_lshlrev_b32_e32 v9, 20, v9
	v_lshl_add_u32 v8, v8, 23, 0x3c000000
	v_and_b32_e32 v11, 0x80000000, v11
	v_or3_b32 v9, v9, v11, v8
	v_mov_b32_e32 v22, v10
	v_mov_b32_e32 v21, v9
.LBB214_2190:                           ;   in Loop: Header=BB214_1571 Depth=1
	s_or_b32 exec_lo, exec_lo, s18
.LBB214_2191:                           ;   in Loop: Header=BB214_1571 Depth=1
	s_or_b32 exec_lo, exec_lo, s17
.LBB214_2192:                           ;   in Loop: Header=BB214_1571 Depth=1
	s_or_b32 exec_lo, exec_lo, s15
	v_cmp_ne_u16_sdwa s4, v7, v10 src0_sel:BYTE_1 src1_sel:DWORD
	s_and_saveexec_b32 s15, s4
	s_cbranch_execz .LBB214_2200
; %bb.2193:                             ;   in Loop: Header=BB214_1571 Depth=1
	v_mov_b32_e32 v11, v10
	v_mov_b32_e32 v24, v12
	v_cmp_ne_u16_sdwa s4, v7, v41 src0_sel:BYTE_1 src1_sel:DWORD
	v_mov_b32_e32 v23, v11
	s_and_saveexec_b32 s17, s4
	s_cbranch_execz .LBB214_2199
; %bb.2194:                             ;   in Loop: Header=BB214_1571 Depth=1
	v_and_b32_sdwa v8, v48, v7 dst_sel:DWORD dst_unused:UNUSED_PAD src0_sel:DWORD src1_sel:BYTE_1
	v_mov_b32_e32 v13, v10
	v_mov_b32_e32 v24, v14
	s_mov_b32 s18, exec_lo
	v_and_b32_e32 v11, 0x7f, v8
	v_mov_b32_e32 v23, v13
	v_cmpx_ne_u32_e32 0x7f, v11
	s_cbranch_execz .LBB214_2198
; %bb.2195:                             ;   in Loop: Header=BB214_1571 Depth=1
	v_and_b32_e32 v9, 7, v8
	v_lshrrev_b32_e32 v8, 3, v11
	s_mov_b32 s19, exec_lo
	v_cmpx_gt_u32_e32 8, v11
; %bb.2196:                             ;   in Loop: Header=BB214_1571 Depth=1
	v_ffbh_u32_e32 v8, v9
	v_min_u32_e32 v8, 32, v8
	v_subrev_nc_u32_e32 v11, 28, v8
	v_sub_nc_u32_e32 v8, 29, v8
	v_lshlrev_b64 v[23:24], v11, v[9:10]
	v_and_b32_e32 v9, 7, v23
; %bb.2197:                             ;   in Loop: Header=BB214_1571 Depth=1
	s_or_b32 exec_lo, exec_lo, s19
	v_lshlrev_b32_e32 v11, 16, v7
	v_lshlrev_b32_e32 v9, 20, v9
	v_lshl_add_u32 v8, v8, 23, 0x3c000000
	v_mov_b32_e32 v23, v10
	v_and_b32_e32 v11, 0x80000000, v11
	v_or3_b32 v24, v9, v11, v8
.LBB214_2198:                           ;   in Loop: Header=BB214_1571 Depth=1
	s_or_b32 exec_lo, exec_lo, s18
.LBB214_2199:                           ;   in Loop: Header=BB214_1571 Depth=1
	s_or_b32 exec_lo, exec_lo, s17
.LBB214_2200:                           ;   in Loop: Header=BB214_1571 Depth=1
	s_or_b32 exec_lo, exec_lo, s15
	v_mov_b32_e32 v25, 0
	v_mov_b32_e32 v27, 0
	v_and_b32_sdwa v8, v7, v43 dst_sel:DWORD dst_unused:UNUSED_PAD src0_sel:WORD_1 src1_sel:DWORD
	v_mov_b32_e32 v26, 0
	v_mov_b32_e32 v28, 0
	s_mov_b32 s15, exec_lo
	v_cmpx_ne_u16_e32 0, v8
	s_cbranch_execz .LBB214_2208
; %bb.2201:                             ;   in Loop: Header=BB214_1571 Depth=1
	v_bfrev_b32_e32 v27, 1
	v_mov_b32_e32 v28, 0
	s_mov_b32 s17, exec_lo
	v_cmpx_ne_u16_e32 0x80, v8
	s_cbranch_execz .LBB214_2207
; %bb.2202:                             ;   in Loop: Header=BB214_1571 Depth=1
	v_mov_b32_e32 v27, 0x7f800001
	v_bfe_u32 v11, v7, 16, 7
	v_mov_b32_e32 v28, 0
	s_mov_b32 s18, exec_lo
	v_cmpx_ne_u32_e32 0x7f, v11
	s_cbranch_execz .LBB214_2206
; %bb.2203:                             ;   in Loop: Header=BB214_1571 Depth=1
	v_mov_b32_e32 v8, 7
	s_mov_b32 s19, exec_lo
	v_and_b32_sdwa v9, v7, v8 dst_sel:DWORD dst_unused:UNUSED_PAD src0_sel:WORD_1 src1_sel:DWORD
	v_lshrrev_b32_e32 v8, 3, v11
	v_cmpx_gt_u32_e32 8, v11
; %bb.2204:                             ;   in Loop: Header=BB214_1571 Depth=1
	v_ffbh_u32_e32 v8, v9
	v_min_u32_e32 v8, 32, v8
	v_subrev_nc_u32_e32 v11, 28, v8
	v_sub_nc_u32_e32 v8, 29, v8
	v_lshlrev_b64 v[27:28], v11, v[9:10]
	v_and_b32_e32 v9, 7, v27
; %bb.2205:                             ;   in Loop: Header=BB214_1571 Depth=1
	s_or_b32 exec_lo, exec_lo, s19
	v_mov_b32_e32 v11, 24
	v_lshlrev_b32_e32 v9, 20, v9
	v_lshl_add_u32 v8, v8, 23, 0x3c000000
	v_lshlrev_b32_sdwa v11, v11, v7 dst_sel:DWORD dst_unused:UNUSED_PAD src0_sel:DWORD src1_sel:WORD_1
	v_and_b32_e32 v11, 0x80000000, v11
	v_or3_b32 v9, v9, v11, v8
	v_mov_b32_e32 v28, v10
	v_mov_b32_e32 v27, v9
.LBB214_2206:                           ;   in Loop: Header=BB214_1571 Depth=1
	s_or_b32 exec_lo, exec_lo, s18
.LBB214_2207:                           ;   in Loop: Header=BB214_1571 Depth=1
	s_or_b32 exec_lo, exec_lo, s17
.LBB214_2208:                           ;   in Loop: Header=BB214_1571 Depth=1
	s_or_b32 exec_lo, exec_lo, s15
	s_mov_b32 s15, exec_lo
	v_cmpx_lt_u32_e32 0xffffff, v7
	s_cbranch_execz .LBB214_2216
; %bb.2209:                             ;   in Loop: Header=BB214_1571 Depth=1
	v_mov_b32_e32 v11, v10
	v_mov_b32_e32 v26, v12
	v_cmp_ne_u32_sdwa s4, v7, v41 src0_sel:BYTE_3 src1_sel:DWORD
	v_mov_b32_e32 v25, v11
	s_and_saveexec_b32 s17, s4
	s_cbranch_execz .LBB214_2215
; %bb.2210:                             ;   in Loop: Header=BB214_1571 Depth=1
	v_mov_b32_e32 v13, v10
	v_mov_b32_e32 v26, v14
	v_bfe_u32 v11, v7, 24, 7
	s_mov_b32 s18, exec_lo
	v_mov_b32_e32 v25, v13
	v_cmpx_ne_u32_e32 0x7f, v11
	s_cbranch_execz .LBB214_2214
; %bb.2211:                             ;   in Loop: Header=BB214_1571 Depth=1
	v_mov_b32_e32 v8, 7
	s_mov_b32 s19, exec_lo
	v_and_b32_sdwa v9, v7, v8 dst_sel:DWORD dst_unused:UNUSED_PAD src0_sel:BYTE_3 src1_sel:DWORD
	v_lshrrev_b32_e32 v8, 3, v11
	v_cmpx_gt_u32_e32 8, v11
; %bb.2212:                             ;   in Loop: Header=BB214_1571 Depth=1
	v_ffbh_u32_e32 v8, v9
	v_min_u32_e32 v8, 32, v8
	v_subrev_nc_u32_e32 v11, 28, v8
	v_sub_nc_u32_e32 v8, 29, v8
	v_lshlrev_b64 v[25:26], v11, v[9:10]
	v_and_b32_e32 v9, 7, v25
; %bb.2213:                             ;   in Loop: Header=BB214_1571 Depth=1
	s_or_b32 exec_lo, exec_lo, s19
	v_mov_b32_e32 v11, 24
	v_lshlrev_b32_e32 v9, 20, v9
	v_lshl_add_u32 v8, v8, 23, 0x3c000000
	v_mov_b32_e32 v25, v10
	v_lshlrev_b32_sdwa v7, v11, v7 dst_sel:DWORD dst_unused:UNUSED_PAD src0_sel:DWORD src1_sel:BYTE_3
	v_and_b32_e32 v7, 0x80000000, v7
	v_or3_b32 v26, v9, v7, v8
.LBB214_2214:                           ;   in Loop: Header=BB214_1571 Depth=1
	s_or_b32 exec_lo, exec_lo, s18
.LBB214_2215:                           ;   in Loop: Header=BB214_1571 Depth=1
	s_or_b32 exec_lo, exec_lo, s17
.LBB214_2216:                           ;   in Loop: Header=BB214_1571 Depth=1
	s_or_b32 exec_lo, exec_lo, s15
	v_or_b32_e32 v7, v24, v22
	v_or_b32_e32 v8, v23, v21
	;; [unrolled: 1-line block ×4, first 2 shown]
	v_mul_f32_e32 v7, v74, v7
	buffer_store_dword v7, off, s[0:3], s32 offset:824 ; 4-byte Folded Spill
	v_mul_f32_e32 v7, v74, v8
	buffer_store_dword v7, off, s[0:3], s32 offset:816 ; 4-byte Folded Spill
	;; [unrolled: 2-line block ×4, first 2 shown]
	s_and_saveexec_b32 s15, vcc_lo
	s_cbranch_execz .LBB214_2218
; %bb.2217:                             ;   in Loop: Header=BB214_1571 Depth=1
	s_clause 0x1
	buffer_load_dword v7, off, s[0:3], s32 offset:200
	buffer_load_dword v8, off, s[0:3], s32 offset:816
	s_waitcnt vmcnt(1)
	v_cmp_lt_i32_e64 s4, v79, v7
	s_waitcnt vmcnt(0)
	v_cndmask_b32_e64 v8, 0, v8, s4
	v_cmp_lt_i32_e64 s4, v90, v7
	buffer_store_dword v8, off, s[0:3], s32 offset:816 ; 4-byte Folded Spill
	buffer_load_dword v8, off, s[0:3], s32 offset:824 ; 4-byte Folded Reload
	s_waitcnt vmcnt(0)
	v_cndmask_b32_e64 v8, 0, v8, s4
	v_cmp_lt_i32_e64 s4, v89, v7
	buffer_store_dword v8, off, s[0:3], s32 offset:824 ; 4-byte Folded Spill
	buffer_load_dword v8, off, s[0:3], s32 offset:808 ; 4-byte Folded Reload
	s_waitcnt vmcnt(0)
	v_cndmask_b32_e64 v8, 0, v8, s4
	v_cmp_lt_i32_e64 s4, v88, v7
	buffer_load_dword v7, off, s[0:3], s32 offset:800 ; 4-byte Folded Reload
	buffer_store_dword v8, off, s[0:3], s32 offset:808 ; 4-byte Folded Spill
	s_waitcnt vmcnt(0)
	v_cndmask_b32_e64 v7, 0, v7, s4
	buffer_store_dword v7, off, s[0:3], s32 offset:800 ; 4-byte Folded Spill
.LBB214_2218:                           ;   in Loop: Header=BB214_1571 Depth=1
	s_or_b32 exec_lo, exec_lo, s15
	flat_load_dword v7, v[19:20] offset:384
	v_mov_b32_e32 v23, 0
	v_mov_b32_e32 v21, 0
	;; [unrolled: 1-line block ×4, first 2 shown]
	s_waitcnt vmcnt(0) lgkmcnt(0)
	v_cmp_ne_u16_sdwa s4, v7, v10 src0_sel:BYTE_0 src1_sel:DWORD
	s_and_saveexec_b32 s15, s4
	s_cbranch_execz .LBB214_2226
; %bb.2219:                             ;   in Loop: Header=BB214_1571 Depth=1
	v_bfrev_b32_e32 v21, 1
	v_mov_b32_e32 v22, 0
	v_cmp_ne_u16_sdwa s4, v7, v41 src0_sel:BYTE_0 src1_sel:DWORD
	s_and_saveexec_b32 s17, s4
	s_cbranch_execz .LBB214_2225
; %bb.2220:                             ;   in Loop: Header=BB214_1571 Depth=1
	v_mov_b32_e32 v21, 0x7f800001
	v_and_b32_e32 v11, 0x7f, v7
	v_mov_b32_e32 v22, 0
	s_mov_b32 s18, exec_lo
	v_cmpx_ne_u32_e32 0x7f, v11
	s_cbranch_execz .LBB214_2224
; %bb.2221:                             ;   in Loop: Header=BB214_1571 Depth=1
	v_and_b32_e32 v9, 7, v7
	v_lshrrev_b32_e32 v8, 3, v11
	s_mov_b32 s19, exec_lo
	v_cmpx_gt_u32_e32 8, v11
; %bb.2222:                             ;   in Loop: Header=BB214_1571 Depth=1
	v_ffbh_u32_e32 v8, v9
	v_min_u32_e32 v8, 32, v8
	v_subrev_nc_u32_e32 v11, 28, v8
	v_sub_nc_u32_e32 v8, 29, v8
	v_lshlrev_b64 v[21:22], v11, v[9:10]
	v_and_b32_e32 v9, 7, v21
; %bb.2223:                             ;   in Loop: Header=BB214_1571 Depth=1
	s_or_b32 exec_lo, exec_lo, s19
	v_lshlrev_b32_e32 v11, 24, v7
	v_lshlrev_b32_e32 v9, 20, v9
	v_lshl_add_u32 v8, v8, 23, 0x3c000000
	v_and_b32_e32 v11, 0x80000000, v11
	v_or3_b32 v9, v9, v11, v8
	v_mov_b32_e32 v22, v10
	v_mov_b32_e32 v21, v9
.LBB214_2224:                           ;   in Loop: Header=BB214_1571 Depth=1
	s_or_b32 exec_lo, exec_lo, s18
.LBB214_2225:                           ;   in Loop: Header=BB214_1571 Depth=1
	s_or_b32 exec_lo, exec_lo, s17
.LBB214_2226:                           ;   in Loop: Header=BB214_1571 Depth=1
	s_or_b32 exec_lo, exec_lo, s15
	v_cmp_ne_u16_sdwa s4, v7, v10 src0_sel:BYTE_1 src1_sel:DWORD
	s_and_saveexec_b32 s15, s4
	s_cbranch_execz .LBB214_2234
; %bb.2227:                             ;   in Loop: Header=BB214_1571 Depth=1
	v_mov_b32_e32 v11, v10
	v_mov_b32_e32 v24, v12
	v_cmp_ne_u16_sdwa s4, v7, v41 src0_sel:BYTE_1 src1_sel:DWORD
	v_mov_b32_e32 v23, v11
	s_and_saveexec_b32 s17, s4
	s_cbranch_execz .LBB214_2233
; %bb.2228:                             ;   in Loop: Header=BB214_1571 Depth=1
	v_and_b32_sdwa v8, v48, v7 dst_sel:DWORD dst_unused:UNUSED_PAD src0_sel:DWORD src1_sel:BYTE_1
	v_mov_b32_e32 v13, v10
	v_mov_b32_e32 v24, v14
	s_mov_b32 s18, exec_lo
	v_and_b32_e32 v11, 0x7f, v8
	v_mov_b32_e32 v23, v13
	v_cmpx_ne_u32_e32 0x7f, v11
	s_cbranch_execz .LBB214_2232
; %bb.2229:                             ;   in Loop: Header=BB214_1571 Depth=1
	v_and_b32_e32 v9, 7, v8
	v_lshrrev_b32_e32 v8, 3, v11
	s_mov_b32 s19, exec_lo
	v_cmpx_gt_u32_e32 8, v11
; %bb.2230:                             ;   in Loop: Header=BB214_1571 Depth=1
	v_ffbh_u32_e32 v8, v9
	v_min_u32_e32 v8, 32, v8
	v_subrev_nc_u32_e32 v11, 28, v8
	v_sub_nc_u32_e32 v8, 29, v8
	v_lshlrev_b64 v[23:24], v11, v[9:10]
	v_and_b32_e32 v9, 7, v23
; %bb.2231:                             ;   in Loop: Header=BB214_1571 Depth=1
	s_or_b32 exec_lo, exec_lo, s19
	v_lshlrev_b32_e32 v11, 16, v7
	v_lshlrev_b32_e32 v9, 20, v9
	v_lshl_add_u32 v8, v8, 23, 0x3c000000
	v_mov_b32_e32 v23, v10
	v_and_b32_e32 v11, 0x80000000, v11
	v_or3_b32 v24, v9, v11, v8
.LBB214_2232:                           ;   in Loop: Header=BB214_1571 Depth=1
	s_or_b32 exec_lo, exec_lo, s18
.LBB214_2233:                           ;   in Loop: Header=BB214_1571 Depth=1
	s_or_b32 exec_lo, exec_lo, s17
.LBB214_2234:                           ;   in Loop: Header=BB214_1571 Depth=1
	s_or_b32 exec_lo, exec_lo, s15
	v_mov_b32_e32 v25, 0
	v_mov_b32_e32 v27, 0
	v_and_b32_sdwa v8, v7, v43 dst_sel:DWORD dst_unused:UNUSED_PAD src0_sel:WORD_1 src1_sel:DWORD
	v_mov_b32_e32 v26, 0
	v_mov_b32_e32 v28, 0
	s_mov_b32 s15, exec_lo
	v_cmpx_ne_u16_e32 0, v8
	s_cbranch_execz .LBB214_2242
; %bb.2235:                             ;   in Loop: Header=BB214_1571 Depth=1
	v_bfrev_b32_e32 v27, 1
	v_mov_b32_e32 v28, 0
	s_mov_b32 s17, exec_lo
	v_cmpx_ne_u16_e32 0x80, v8
	s_cbranch_execz .LBB214_2241
; %bb.2236:                             ;   in Loop: Header=BB214_1571 Depth=1
	v_mov_b32_e32 v27, 0x7f800001
	v_bfe_u32 v11, v7, 16, 7
	v_mov_b32_e32 v28, 0
	s_mov_b32 s18, exec_lo
	v_cmpx_ne_u32_e32 0x7f, v11
	s_cbranch_execz .LBB214_2240
; %bb.2237:                             ;   in Loop: Header=BB214_1571 Depth=1
	v_mov_b32_e32 v8, 7
	s_mov_b32 s19, exec_lo
	v_and_b32_sdwa v9, v7, v8 dst_sel:DWORD dst_unused:UNUSED_PAD src0_sel:WORD_1 src1_sel:DWORD
	v_lshrrev_b32_e32 v8, 3, v11
	v_cmpx_gt_u32_e32 8, v11
; %bb.2238:                             ;   in Loop: Header=BB214_1571 Depth=1
	v_ffbh_u32_e32 v8, v9
	v_min_u32_e32 v8, 32, v8
	v_subrev_nc_u32_e32 v11, 28, v8
	v_sub_nc_u32_e32 v8, 29, v8
	v_lshlrev_b64 v[27:28], v11, v[9:10]
	v_and_b32_e32 v9, 7, v27
; %bb.2239:                             ;   in Loop: Header=BB214_1571 Depth=1
	s_or_b32 exec_lo, exec_lo, s19
	v_mov_b32_e32 v11, 24
	v_lshlrev_b32_e32 v9, 20, v9
	v_lshl_add_u32 v8, v8, 23, 0x3c000000
	v_lshlrev_b32_sdwa v11, v11, v7 dst_sel:DWORD dst_unused:UNUSED_PAD src0_sel:DWORD src1_sel:WORD_1
	v_and_b32_e32 v11, 0x80000000, v11
	v_or3_b32 v9, v9, v11, v8
	v_mov_b32_e32 v28, v10
	v_mov_b32_e32 v27, v9
.LBB214_2240:                           ;   in Loop: Header=BB214_1571 Depth=1
	s_or_b32 exec_lo, exec_lo, s18
.LBB214_2241:                           ;   in Loop: Header=BB214_1571 Depth=1
	s_or_b32 exec_lo, exec_lo, s17
.LBB214_2242:                           ;   in Loop: Header=BB214_1571 Depth=1
	s_or_b32 exec_lo, exec_lo, s15
	s_mov_b32 s15, exec_lo
	v_cmpx_lt_u32_e32 0xffffff, v7
	s_cbranch_execz .LBB214_2250
; %bb.2243:                             ;   in Loop: Header=BB214_1571 Depth=1
	v_mov_b32_e32 v11, v10
	v_mov_b32_e32 v26, v12
	v_cmp_ne_u32_sdwa s4, v7, v41 src0_sel:BYTE_3 src1_sel:DWORD
	v_mov_b32_e32 v25, v11
	s_and_saveexec_b32 s17, s4
	s_cbranch_execz .LBB214_2249
; %bb.2244:                             ;   in Loop: Header=BB214_1571 Depth=1
	v_mov_b32_e32 v13, v10
	v_mov_b32_e32 v26, v14
	v_bfe_u32 v11, v7, 24, 7
	s_mov_b32 s18, exec_lo
	v_mov_b32_e32 v25, v13
	v_cmpx_ne_u32_e32 0x7f, v11
	s_cbranch_execz .LBB214_2248
; %bb.2245:                             ;   in Loop: Header=BB214_1571 Depth=1
	v_mov_b32_e32 v8, 7
	s_mov_b32 s19, exec_lo
	v_and_b32_sdwa v9, v7, v8 dst_sel:DWORD dst_unused:UNUSED_PAD src0_sel:BYTE_3 src1_sel:DWORD
	v_lshrrev_b32_e32 v8, 3, v11
	v_cmpx_gt_u32_e32 8, v11
; %bb.2246:                             ;   in Loop: Header=BB214_1571 Depth=1
	v_ffbh_u32_e32 v8, v9
	v_min_u32_e32 v8, 32, v8
	v_subrev_nc_u32_e32 v11, 28, v8
	v_sub_nc_u32_e32 v8, 29, v8
	v_lshlrev_b64 v[25:26], v11, v[9:10]
	v_and_b32_e32 v9, 7, v25
; %bb.2247:                             ;   in Loop: Header=BB214_1571 Depth=1
	s_or_b32 exec_lo, exec_lo, s19
	v_mov_b32_e32 v11, 24
	v_lshlrev_b32_e32 v9, 20, v9
	v_lshl_add_u32 v8, v8, 23, 0x3c000000
	v_mov_b32_e32 v25, v10
	v_lshlrev_b32_sdwa v7, v11, v7 dst_sel:DWORD dst_unused:UNUSED_PAD src0_sel:DWORD src1_sel:BYTE_3
	v_and_b32_e32 v7, 0x80000000, v7
	v_or3_b32 v26, v9, v7, v8
.LBB214_2248:                           ;   in Loop: Header=BB214_1571 Depth=1
	s_or_b32 exec_lo, exec_lo, s18
.LBB214_2249:                           ;   in Loop: Header=BB214_1571 Depth=1
	s_or_b32 exec_lo, exec_lo, s17
.LBB214_2250:                           ;   in Loop: Header=BB214_1571 Depth=1
	s_or_b32 exec_lo, exec_lo, s15
	v_or_b32_e32 v7, v24, v22
	v_or_b32_e32 v8, v23, v21
	;; [unrolled: 1-line block ×4, first 2 shown]
	v_mul_f32_e32 v7, v74, v7
	buffer_store_dword v7, off, s[0:3], s32 offset:856 ; 4-byte Folded Spill
	v_mul_f32_e32 v7, v74, v8
	buffer_store_dword v7, off, s[0:3], s32 offset:848 ; 4-byte Folded Spill
	;; [unrolled: 2-line block ×4, first 2 shown]
	s_and_saveexec_b32 s15, vcc_lo
	s_cbranch_execz .LBB214_2252
; %bb.2251:                             ;   in Loop: Header=BB214_1571 Depth=1
	s_clause 0x1
	buffer_load_dword v7, off, s[0:3], s32 offset:200
	buffer_load_dword v8, off, s[0:3], s32 offset:848
	s_waitcnt vmcnt(1)
	v_cmp_lt_i32_e64 s4, v79, v7
	s_waitcnt vmcnt(0)
	v_cndmask_b32_e64 v8, 0, v8, s4
	v_cmp_lt_i32_e64 s4, v90, v7
	buffer_store_dword v8, off, s[0:3], s32 offset:848 ; 4-byte Folded Spill
	buffer_load_dword v8, off, s[0:3], s32 offset:856 ; 4-byte Folded Reload
	s_waitcnt vmcnt(0)
	v_cndmask_b32_e64 v8, 0, v8, s4
	v_cmp_lt_i32_e64 s4, v89, v7
	buffer_store_dword v8, off, s[0:3], s32 offset:856 ; 4-byte Folded Spill
	buffer_load_dword v8, off, s[0:3], s32 offset:840 ; 4-byte Folded Reload
	s_waitcnt vmcnt(0)
	v_cndmask_b32_e64 v8, 0, v8, s4
	v_cmp_lt_i32_e64 s4, v88, v7
	buffer_load_dword v7, off, s[0:3], s32 offset:832 ; 4-byte Folded Reload
	buffer_store_dword v8, off, s[0:3], s32 offset:840 ; 4-byte Folded Spill
	s_waitcnt vmcnt(0)
	v_cndmask_b32_e64 v7, 0, v7, s4
	buffer_store_dword v7, off, s[0:3], s32 offset:832 ; 4-byte Folded Spill
.LBB214_2252:                           ;   in Loop: Header=BB214_1571 Depth=1
	s_or_b32 exec_lo, exec_lo, s15
	flat_load_dword v7, v[19:20] offset:512
	v_mov_b32_e32 v23, 0
	v_mov_b32_e32 v21, 0
	;; [unrolled: 1-line block ×4, first 2 shown]
	s_waitcnt vmcnt(0) lgkmcnt(0)
	v_cmp_ne_u16_sdwa s4, v7, v10 src0_sel:BYTE_0 src1_sel:DWORD
	s_and_saveexec_b32 s15, s4
	s_cbranch_execz .LBB214_2260
; %bb.2253:                             ;   in Loop: Header=BB214_1571 Depth=1
	v_bfrev_b32_e32 v21, 1
	v_mov_b32_e32 v22, 0
	v_cmp_ne_u16_sdwa s4, v7, v41 src0_sel:BYTE_0 src1_sel:DWORD
	s_and_saveexec_b32 s17, s4
	s_cbranch_execz .LBB214_2259
; %bb.2254:                             ;   in Loop: Header=BB214_1571 Depth=1
	v_mov_b32_e32 v21, 0x7f800001
	v_and_b32_e32 v11, 0x7f, v7
	v_mov_b32_e32 v22, 0
	s_mov_b32 s18, exec_lo
	v_cmpx_ne_u32_e32 0x7f, v11
	s_cbranch_execz .LBB214_2258
; %bb.2255:                             ;   in Loop: Header=BB214_1571 Depth=1
	v_and_b32_e32 v9, 7, v7
	v_lshrrev_b32_e32 v8, 3, v11
	s_mov_b32 s19, exec_lo
	v_cmpx_gt_u32_e32 8, v11
; %bb.2256:                             ;   in Loop: Header=BB214_1571 Depth=1
	v_ffbh_u32_e32 v8, v9
	v_min_u32_e32 v8, 32, v8
	v_subrev_nc_u32_e32 v11, 28, v8
	v_sub_nc_u32_e32 v8, 29, v8
	v_lshlrev_b64 v[21:22], v11, v[9:10]
	v_and_b32_e32 v9, 7, v21
; %bb.2257:                             ;   in Loop: Header=BB214_1571 Depth=1
	s_or_b32 exec_lo, exec_lo, s19
	v_lshlrev_b32_e32 v11, 24, v7
	v_lshlrev_b32_e32 v9, 20, v9
	v_lshl_add_u32 v8, v8, 23, 0x3c000000
	v_and_b32_e32 v11, 0x80000000, v11
	v_or3_b32 v9, v9, v11, v8
	v_mov_b32_e32 v22, v10
	v_mov_b32_e32 v21, v9
.LBB214_2258:                           ;   in Loop: Header=BB214_1571 Depth=1
	s_or_b32 exec_lo, exec_lo, s18
.LBB214_2259:                           ;   in Loop: Header=BB214_1571 Depth=1
	s_or_b32 exec_lo, exec_lo, s17
.LBB214_2260:                           ;   in Loop: Header=BB214_1571 Depth=1
	s_or_b32 exec_lo, exec_lo, s15
	v_cmp_ne_u16_sdwa s4, v7, v10 src0_sel:BYTE_1 src1_sel:DWORD
	s_and_saveexec_b32 s15, s4
	s_cbranch_execz .LBB214_2268
; %bb.2261:                             ;   in Loop: Header=BB214_1571 Depth=1
	v_mov_b32_e32 v11, v10
	v_mov_b32_e32 v24, v12
	v_cmp_ne_u16_sdwa s4, v7, v41 src0_sel:BYTE_1 src1_sel:DWORD
	v_mov_b32_e32 v23, v11
	s_and_saveexec_b32 s17, s4
	s_cbranch_execz .LBB214_2267
; %bb.2262:                             ;   in Loop: Header=BB214_1571 Depth=1
	v_and_b32_sdwa v8, v48, v7 dst_sel:DWORD dst_unused:UNUSED_PAD src0_sel:DWORD src1_sel:BYTE_1
	v_mov_b32_e32 v13, v10
	v_mov_b32_e32 v24, v14
	s_mov_b32 s18, exec_lo
	v_and_b32_e32 v11, 0x7f, v8
	v_mov_b32_e32 v23, v13
	v_cmpx_ne_u32_e32 0x7f, v11
	s_cbranch_execz .LBB214_2266
; %bb.2263:                             ;   in Loop: Header=BB214_1571 Depth=1
	v_and_b32_e32 v9, 7, v8
	v_lshrrev_b32_e32 v8, 3, v11
	s_mov_b32 s19, exec_lo
	v_cmpx_gt_u32_e32 8, v11
; %bb.2264:                             ;   in Loop: Header=BB214_1571 Depth=1
	v_ffbh_u32_e32 v8, v9
	v_min_u32_e32 v8, 32, v8
	v_subrev_nc_u32_e32 v11, 28, v8
	v_sub_nc_u32_e32 v8, 29, v8
	v_lshlrev_b64 v[23:24], v11, v[9:10]
	v_and_b32_e32 v9, 7, v23
; %bb.2265:                             ;   in Loop: Header=BB214_1571 Depth=1
	s_or_b32 exec_lo, exec_lo, s19
	v_lshlrev_b32_e32 v11, 16, v7
	v_lshlrev_b32_e32 v9, 20, v9
	v_lshl_add_u32 v8, v8, 23, 0x3c000000
	v_mov_b32_e32 v23, v10
	v_and_b32_e32 v11, 0x80000000, v11
	v_or3_b32 v24, v9, v11, v8
.LBB214_2266:                           ;   in Loop: Header=BB214_1571 Depth=1
	s_or_b32 exec_lo, exec_lo, s18
.LBB214_2267:                           ;   in Loop: Header=BB214_1571 Depth=1
	s_or_b32 exec_lo, exec_lo, s17
.LBB214_2268:                           ;   in Loop: Header=BB214_1571 Depth=1
	s_or_b32 exec_lo, exec_lo, s15
	v_mov_b32_e32 v25, 0
	v_mov_b32_e32 v27, 0
	v_and_b32_sdwa v8, v7, v43 dst_sel:DWORD dst_unused:UNUSED_PAD src0_sel:WORD_1 src1_sel:DWORD
	v_mov_b32_e32 v26, 0
	v_mov_b32_e32 v28, 0
	s_mov_b32 s15, exec_lo
	v_cmpx_ne_u16_e32 0, v8
	s_cbranch_execz .LBB214_2276
; %bb.2269:                             ;   in Loop: Header=BB214_1571 Depth=1
	v_bfrev_b32_e32 v27, 1
	v_mov_b32_e32 v28, 0
	s_mov_b32 s17, exec_lo
	v_cmpx_ne_u16_e32 0x80, v8
	s_cbranch_execz .LBB214_2275
; %bb.2270:                             ;   in Loop: Header=BB214_1571 Depth=1
	v_mov_b32_e32 v27, 0x7f800001
	v_bfe_u32 v11, v7, 16, 7
	v_mov_b32_e32 v28, 0
	s_mov_b32 s18, exec_lo
	v_cmpx_ne_u32_e32 0x7f, v11
	s_cbranch_execz .LBB214_2274
; %bb.2271:                             ;   in Loop: Header=BB214_1571 Depth=1
	v_mov_b32_e32 v8, 7
	s_mov_b32 s19, exec_lo
	v_and_b32_sdwa v9, v7, v8 dst_sel:DWORD dst_unused:UNUSED_PAD src0_sel:WORD_1 src1_sel:DWORD
	v_lshrrev_b32_e32 v8, 3, v11
	v_cmpx_gt_u32_e32 8, v11
; %bb.2272:                             ;   in Loop: Header=BB214_1571 Depth=1
	v_ffbh_u32_e32 v8, v9
	v_min_u32_e32 v8, 32, v8
	v_subrev_nc_u32_e32 v11, 28, v8
	v_sub_nc_u32_e32 v8, 29, v8
	v_lshlrev_b64 v[27:28], v11, v[9:10]
	v_and_b32_e32 v9, 7, v27
; %bb.2273:                             ;   in Loop: Header=BB214_1571 Depth=1
	s_or_b32 exec_lo, exec_lo, s19
	v_mov_b32_e32 v11, 24
	v_lshlrev_b32_e32 v9, 20, v9
	v_lshl_add_u32 v8, v8, 23, 0x3c000000
	v_lshlrev_b32_sdwa v11, v11, v7 dst_sel:DWORD dst_unused:UNUSED_PAD src0_sel:DWORD src1_sel:WORD_1
	v_and_b32_e32 v11, 0x80000000, v11
	v_or3_b32 v9, v9, v11, v8
	v_mov_b32_e32 v28, v10
	v_mov_b32_e32 v27, v9
.LBB214_2274:                           ;   in Loop: Header=BB214_1571 Depth=1
	s_or_b32 exec_lo, exec_lo, s18
.LBB214_2275:                           ;   in Loop: Header=BB214_1571 Depth=1
	s_or_b32 exec_lo, exec_lo, s17
.LBB214_2276:                           ;   in Loop: Header=BB214_1571 Depth=1
	s_or_b32 exec_lo, exec_lo, s15
	s_mov_b32 s15, exec_lo
	v_cmpx_lt_u32_e32 0xffffff, v7
	s_cbranch_execz .LBB214_2284
; %bb.2277:                             ;   in Loop: Header=BB214_1571 Depth=1
	v_mov_b32_e32 v11, v10
	v_mov_b32_e32 v26, v12
	v_cmp_ne_u32_sdwa s4, v7, v41 src0_sel:BYTE_3 src1_sel:DWORD
	v_mov_b32_e32 v25, v11
	s_and_saveexec_b32 s17, s4
	s_cbranch_execz .LBB214_2283
; %bb.2278:                             ;   in Loop: Header=BB214_1571 Depth=1
	v_mov_b32_e32 v13, v10
	v_mov_b32_e32 v26, v14
	v_bfe_u32 v11, v7, 24, 7
	s_mov_b32 s18, exec_lo
	v_mov_b32_e32 v25, v13
	v_cmpx_ne_u32_e32 0x7f, v11
	s_cbranch_execz .LBB214_2282
; %bb.2279:                             ;   in Loop: Header=BB214_1571 Depth=1
	v_mov_b32_e32 v8, 7
	s_mov_b32 s19, exec_lo
	v_and_b32_sdwa v9, v7, v8 dst_sel:DWORD dst_unused:UNUSED_PAD src0_sel:BYTE_3 src1_sel:DWORD
	v_lshrrev_b32_e32 v8, 3, v11
	v_cmpx_gt_u32_e32 8, v11
; %bb.2280:                             ;   in Loop: Header=BB214_1571 Depth=1
	v_ffbh_u32_e32 v8, v9
	v_min_u32_e32 v8, 32, v8
	v_subrev_nc_u32_e32 v11, 28, v8
	v_sub_nc_u32_e32 v8, 29, v8
	v_lshlrev_b64 v[25:26], v11, v[9:10]
	v_and_b32_e32 v9, 7, v25
; %bb.2281:                             ;   in Loop: Header=BB214_1571 Depth=1
	s_or_b32 exec_lo, exec_lo, s19
	v_mov_b32_e32 v11, 24
	v_lshlrev_b32_e32 v9, 20, v9
	v_lshl_add_u32 v8, v8, 23, 0x3c000000
	v_mov_b32_e32 v25, v10
	v_lshlrev_b32_sdwa v7, v11, v7 dst_sel:DWORD dst_unused:UNUSED_PAD src0_sel:DWORD src1_sel:BYTE_3
	v_and_b32_e32 v7, 0x80000000, v7
	v_or3_b32 v26, v9, v7, v8
.LBB214_2282:                           ;   in Loop: Header=BB214_1571 Depth=1
	s_or_b32 exec_lo, exec_lo, s18
.LBB214_2283:                           ;   in Loop: Header=BB214_1571 Depth=1
	s_or_b32 exec_lo, exec_lo, s17
.LBB214_2284:                           ;   in Loop: Header=BB214_1571 Depth=1
	s_or_b32 exec_lo, exec_lo, s15
	v_or_b32_e32 v7, v24, v22
	v_or_b32_e32 v8, v23, v21
	;; [unrolled: 1-line block ×4, first 2 shown]
	v_mul_f32_e32 v7, v74, v7
	buffer_store_dword v7, off, s[0:3], s32 offset:888 ; 4-byte Folded Spill
	v_mul_f32_e32 v7, v74, v8
	buffer_store_dword v7, off, s[0:3], s32 offset:880 ; 4-byte Folded Spill
	;; [unrolled: 2-line block ×4, first 2 shown]
	s_and_saveexec_b32 s15, vcc_lo
	s_cbranch_execz .LBB214_2286
; %bb.2285:                             ;   in Loop: Header=BB214_1571 Depth=1
	s_clause 0x1
	buffer_load_dword v7, off, s[0:3], s32 offset:200
	buffer_load_dword v8, off, s[0:3], s32 offset:880
	s_waitcnt vmcnt(1)
	v_cmp_lt_i32_e64 s4, v79, v7
	s_waitcnt vmcnt(0)
	v_cndmask_b32_e64 v8, 0, v8, s4
	v_cmp_lt_i32_e64 s4, v90, v7
	buffer_store_dword v8, off, s[0:3], s32 offset:880 ; 4-byte Folded Spill
	buffer_load_dword v8, off, s[0:3], s32 offset:888 ; 4-byte Folded Reload
	s_waitcnt vmcnt(0)
	v_cndmask_b32_e64 v8, 0, v8, s4
	v_cmp_lt_i32_e64 s4, v89, v7
	buffer_store_dword v8, off, s[0:3], s32 offset:888 ; 4-byte Folded Spill
	buffer_load_dword v8, off, s[0:3], s32 offset:872 ; 4-byte Folded Reload
	s_waitcnt vmcnt(0)
	v_cndmask_b32_e64 v8, 0, v8, s4
	v_cmp_lt_i32_e64 s4, v88, v7
	buffer_load_dword v7, off, s[0:3], s32 offset:864 ; 4-byte Folded Reload
	buffer_store_dword v8, off, s[0:3], s32 offset:872 ; 4-byte Folded Spill
	s_waitcnt vmcnt(0)
	v_cndmask_b32_e64 v7, 0, v7, s4
	buffer_store_dword v7, off, s[0:3], s32 offset:864 ; 4-byte Folded Spill
.LBB214_2286:                           ;   in Loop: Header=BB214_1571 Depth=1
	s_or_b32 exec_lo, exec_lo, s15
	flat_load_dword v7, v[19:20] offset:640
	v_mov_b32_e32 v23, 0
	v_mov_b32_e32 v21, 0
	;; [unrolled: 1-line block ×4, first 2 shown]
	s_waitcnt vmcnt(0) lgkmcnt(0)
	v_cmp_ne_u16_sdwa s4, v7, v10 src0_sel:BYTE_0 src1_sel:DWORD
	s_and_saveexec_b32 s15, s4
	s_cbranch_execz .LBB214_2294
; %bb.2287:                             ;   in Loop: Header=BB214_1571 Depth=1
	v_bfrev_b32_e32 v21, 1
	v_mov_b32_e32 v22, 0
	v_cmp_ne_u16_sdwa s4, v7, v41 src0_sel:BYTE_0 src1_sel:DWORD
	s_and_saveexec_b32 s17, s4
	s_cbranch_execz .LBB214_2293
; %bb.2288:                             ;   in Loop: Header=BB214_1571 Depth=1
	v_mov_b32_e32 v21, 0x7f800001
	v_and_b32_e32 v11, 0x7f, v7
	v_mov_b32_e32 v22, 0
	s_mov_b32 s18, exec_lo
	v_cmpx_ne_u32_e32 0x7f, v11
	s_cbranch_execz .LBB214_2292
; %bb.2289:                             ;   in Loop: Header=BB214_1571 Depth=1
	v_and_b32_e32 v9, 7, v7
	v_lshrrev_b32_e32 v8, 3, v11
	s_mov_b32 s19, exec_lo
	v_cmpx_gt_u32_e32 8, v11
; %bb.2290:                             ;   in Loop: Header=BB214_1571 Depth=1
	v_ffbh_u32_e32 v8, v9
	v_min_u32_e32 v8, 32, v8
	v_subrev_nc_u32_e32 v11, 28, v8
	v_sub_nc_u32_e32 v8, 29, v8
	v_lshlrev_b64 v[21:22], v11, v[9:10]
	v_and_b32_e32 v9, 7, v21
; %bb.2291:                             ;   in Loop: Header=BB214_1571 Depth=1
	s_or_b32 exec_lo, exec_lo, s19
	v_lshlrev_b32_e32 v11, 24, v7
	v_lshlrev_b32_e32 v9, 20, v9
	v_lshl_add_u32 v8, v8, 23, 0x3c000000
	v_and_b32_e32 v11, 0x80000000, v11
	v_or3_b32 v9, v9, v11, v8
	v_mov_b32_e32 v22, v10
	v_mov_b32_e32 v21, v9
.LBB214_2292:                           ;   in Loop: Header=BB214_1571 Depth=1
	s_or_b32 exec_lo, exec_lo, s18
.LBB214_2293:                           ;   in Loop: Header=BB214_1571 Depth=1
	s_or_b32 exec_lo, exec_lo, s17
.LBB214_2294:                           ;   in Loop: Header=BB214_1571 Depth=1
	s_or_b32 exec_lo, exec_lo, s15
	v_cmp_ne_u16_sdwa s4, v7, v10 src0_sel:BYTE_1 src1_sel:DWORD
	s_and_saveexec_b32 s15, s4
	s_cbranch_execz .LBB214_2302
; %bb.2295:                             ;   in Loop: Header=BB214_1571 Depth=1
	v_mov_b32_e32 v11, v10
	v_mov_b32_e32 v24, v12
	v_cmp_ne_u16_sdwa s4, v7, v41 src0_sel:BYTE_1 src1_sel:DWORD
	v_mov_b32_e32 v23, v11
	s_and_saveexec_b32 s17, s4
	s_cbranch_execz .LBB214_2301
; %bb.2296:                             ;   in Loop: Header=BB214_1571 Depth=1
	v_and_b32_sdwa v8, v48, v7 dst_sel:DWORD dst_unused:UNUSED_PAD src0_sel:DWORD src1_sel:BYTE_1
	v_mov_b32_e32 v13, v10
	v_mov_b32_e32 v24, v14
	s_mov_b32 s18, exec_lo
	v_and_b32_e32 v11, 0x7f, v8
	v_mov_b32_e32 v23, v13
	v_cmpx_ne_u32_e32 0x7f, v11
	s_cbranch_execz .LBB214_2300
; %bb.2297:                             ;   in Loop: Header=BB214_1571 Depth=1
	v_and_b32_e32 v9, 7, v8
	v_lshrrev_b32_e32 v8, 3, v11
	s_mov_b32 s19, exec_lo
	v_cmpx_gt_u32_e32 8, v11
; %bb.2298:                             ;   in Loop: Header=BB214_1571 Depth=1
	v_ffbh_u32_e32 v8, v9
	v_min_u32_e32 v8, 32, v8
	v_subrev_nc_u32_e32 v11, 28, v8
	v_sub_nc_u32_e32 v8, 29, v8
	v_lshlrev_b64 v[23:24], v11, v[9:10]
	v_and_b32_e32 v9, 7, v23
; %bb.2299:                             ;   in Loop: Header=BB214_1571 Depth=1
	s_or_b32 exec_lo, exec_lo, s19
	v_lshlrev_b32_e32 v11, 16, v7
	v_lshlrev_b32_e32 v9, 20, v9
	v_lshl_add_u32 v8, v8, 23, 0x3c000000
	v_mov_b32_e32 v23, v10
	v_and_b32_e32 v11, 0x80000000, v11
	v_or3_b32 v24, v9, v11, v8
.LBB214_2300:                           ;   in Loop: Header=BB214_1571 Depth=1
	s_or_b32 exec_lo, exec_lo, s18
.LBB214_2301:                           ;   in Loop: Header=BB214_1571 Depth=1
	s_or_b32 exec_lo, exec_lo, s17
.LBB214_2302:                           ;   in Loop: Header=BB214_1571 Depth=1
	s_or_b32 exec_lo, exec_lo, s15
	v_mov_b32_e32 v25, 0
	v_mov_b32_e32 v27, 0
	v_and_b32_sdwa v8, v7, v43 dst_sel:DWORD dst_unused:UNUSED_PAD src0_sel:WORD_1 src1_sel:DWORD
	v_mov_b32_e32 v26, 0
	v_mov_b32_e32 v28, 0
	s_mov_b32 s15, exec_lo
	v_cmpx_ne_u16_e32 0, v8
	s_cbranch_execz .LBB214_2310
; %bb.2303:                             ;   in Loop: Header=BB214_1571 Depth=1
	v_bfrev_b32_e32 v27, 1
	v_mov_b32_e32 v28, 0
	s_mov_b32 s17, exec_lo
	v_cmpx_ne_u16_e32 0x80, v8
	s_cbranch_execz .LBB214_2309
; %bb.2304:                             ;   in Loop: Header=BB214_1571 Depth=1
	v_mov_b32_e32 v27, 0x7f800001
	v_bfe_u32 v11, v7, 16, 7
	v_mov_b32_e32 v28, 0
	s_mov_b32 s18, exec_lo
	v_cmpx_ne_u32_e32 0x7f, v11
	s_cbranch_execz .LBB214_2308
; %bb.2305:                             ;   in Loop: Header=BB214_1571 Depth=1
	v_mov_b32_e32 v8, 7
	s_mov_b32 s19, exec_lo
	v_and_b32_sdwa v9, v7, v8 dst_sel:DWORD dst_unused:UNUSED_PAD src0_sel:WORD_1 src1_sel:DWORD
	v_lshrrev_b32_e32 v8, 3, v11
	v_cmpx_gt_u32_e32 8, v11
; %bb.2306:                             ;   in Loop: Header=BB214_1571 Depth=1
	v_ffbh_u32_e32 v8, v9
	v_min_u32_e32 v8, 32, v8
	v_subrev_nc_u32_e32 v11, 28, v8
	v_sub_nc_u32_e32 v8, 29, v8
	v_lshlrev_b64 v[27:28], v11, v[9:10]
	v_and_b32_e32 v9, 7, v27
; %bb.2307:                             ;   in Loop: Header=BB214_1571 Depth=1
	s_or_b32 exec_lo, exec_lo, s19
	v_mov_b32_e32 v11, 24
	v_lshlrev_b32_e32 v9, 20, v9
	v_lshl_add_u32 v8, v8, 23, 0x3c000000
	v_lshlrev_b32_sdwa v11, v11, v7 dst_sel:DWORD dst_unused:UNUSED_PAD src0_sel:DWORD src1_sel:WORD_1
	v_and_b32_e32 v11, 0x80000000, v11
	v_or3_b32 v9, v9, v11, v8
	v_mov_b32_e32 v28, v10
	v_mov_b32_e32 v27, v9
.LBB214_2308:                           ;   in Loop: Header=BB214_1571 Depth=1
	s_or_b32 exec_lo, exec_lo, s18
.LBB214_2309:                           ;   in Loop: Header=BB214_1571 Depth=1
	s_or_b32 exec_lo, exec_lo, s17
.LBB214_2310:                           ;   in Loop: Header=BB214_1571 Depth=1
	s_or_b32 exec_lo, exec_lo, s15
	s_mov_b32 s15, exec_lo
	v_cmpx_lt_u32_e32 0xffffff, v7
	s_cbranch_execz .LBB214_2318
; %bb.2311:                             ;   in Loop: Header=BB214_1571 Depth=1
	v_mov_b32_e32 v11, v10
	v_mov_b32_e32 v26, v12
	v_cmp_ne_u32_sdwa s4, v7, v41 src0_sel:BYTE_3 src1_sel:DWORD
	v_mov_b32_e32 v25, v11
	s_and_saveexec_b32 s17, s4
	s_cbranch_execz .LBB214_2317
; %bb.2312:                             ;   in Loop: Header=BB214_1571 Depth=1
	v_mov_b32_e32 v13, v10
	v_mov_b32_e32 v26, v14
	v_bfe_u32 v11, v7, 24, 7
	s_mov_b32 s18, exec_lo
	v_mov_b32_e32 v25, v13
	v_cmpx_ne_u32_e32 0x7f, v11
	s_cbranch_execz .LBB214_2316
; %bb.2313:                             ;   in Loop: Header=BB214_1571 Depth=1
	v_mov_b32_e32 v8, 7
	s_mov_b32 s19, exec_lo
	v_and_b32_sdwa v9, v7, v8 dst_sel:DWORD dst_unused:UNUSED_PAD src0_sel:BYTE_3 src1_sel:DWORD
	v_lshrrev_b32_e32 v8, 3, v11
	v_cmpx_gt_u32_e32 8, v11
; %bb.2314:                             ;   in Loop: Header=BB214_1571 Depth=1
	v_ffbh_u32_e32 v8, v9
	v_min_u32_e32 v8, 32, v8
	v_subrev_nc_u32_e32 v11, 28, v8
	v_sub_nc_u32_e32 v8, 29, v8
	v_lshlrev_b64 v[25:26], v11, v[9:10]
	v_and_b32_e32 v9, 7, v25
; %bb.2315:                             ;   in Loop: Header=BB214_1571 Depth=1
	s_or_b32 exec_lo, exec_lo, s19
	v_mov_b32_e32 v11, 24
	v_lshlrev_b32_e32 v9, 20, v9
	v_lshl_add_u32 v8, v8, 23, 0x3c000000
	v_mov_b32_e32 v25, v10
	v_lshlrev_b32_sdwa v7, v11, v7 dst_sel:DWORD dst_unused:UNUSED_PAD src0_sel:DWORD src1_sel:BYTE_3
	v_and_b32_e32 v7, 0x80000000, v7
	v_or3_b32 v26, v9, v7, v8
.LBB214_2316:                           ;   in Loop: Header=BB214_1571 Depth=1
	s_or_b32 exec_lo, exec_lo, s18
.LBB214_2317:                           ;   in Loop: Header=BB214_1571 Depth=1
	s_or_b32 exec_lo, exec_lo, s17
.LBB214_2318:                           ;   in Loop: Header=BB214_1571 Depth=1
	s_or_b32 exec_lo, exec_lo, s15
	v_or_b32_e32 v7, v24, v22
	v_or_b32_e32 v8, v23, v21
	v_or_b32_e32 v9, v25, v27
	v_or_b32_e32 v11, v26, v28
	v_mul_f32_e32 v7, v74, v7
	buffer_store_dword v7, off, s[0:3], s32 offset:920 ; 4-byte Folded Spill
	v_mul_f32_e32 v7, v74, v8
	buffer_store_dword v7, off, s[0:3], s32 offset:912 ; 4-byte Folded Spill
	;; [unrolled: 2-line block ×4, first 2 shown]
	s_and_saveexec_b32 s15, vcc_lo
	s_cbranch_execz .LBB214_2320
; %bb.2319:                             ;   in Loop: Header=BB214_1571 Depth=1
	s_clause 0x1
	buffer_load_dword v7, off, s[0:3], s32 offset:200
	buffer_load_dword v8, off, s[0:3], s32 offset:912
	s_waitcnt vmcnt(1)
	v_cmp_lt_i32_e64 s4, v79, v7
	s_waitcnt vmcnt(0)
	v_cndmask_b32_e64 v8, 0, v8, s4
	v_cmp_lt_i32_e64 s4, v90, v7
	buffer_store_dword v8, off, s[0:3], s32 offset:912 ; 4-byte Folded Spill
	buffer_load_dword v8, off, s[0:3], s32 offset:920 ; 4-byte Folded Reload
	s_waitcnt vmcnt(0)
	v_cndmask_b32_e64 v8, 0, v8, s4
	v_cmp_lt_i32_e64 s4, v89, v7
	buffer_store_dword v8, off, s[0:3], s32 offset:920 ; 4-byte Folded Spill
	buffer_load_dword v8, off, s[0:3], s32 offset:904 ; 4-byte Folded Reload
	s_waitcnt vmcnt(0)
	v_cndmask_b32_e64 v8, 0, v8, s4
	v_cmp_lt_i32_e64 s4, v88, v7
	buffer_load_dword v7, off, s[0:3], s32 offset:896 ; 4-byte Folded Reload
	buffer_store_dword v8, off, s[0:3], s32 offset:904 ; 4-byte Folded Spill
	s_waitcnt vmcnt(0)
	v_cndmask_b32_e64 v7, 0, v7, s4
	buffer_store_dword v7, off, s[0:3], s32 offset:896 ; 4-byte Folded Spill
.LBB214_2320:                           ;   in Loop: Header=BB214_1571 Depth=1
	s_or_b32 exec_lo, exec_lo, s15
	flat_load_dword v7, v[19:20] offset:768
	v_mov_b32_e32 v23, 0
	v_mov_b32_e32 v21, 0
	;; [unrolled: 1-line block ×4, first 2 shown]
	s_waitcnt vmcnt(0) lgkmcnt(0)
	v_cmp_ne_u16_sdwa s4, v7, v10 src0_sel:BYTE_0 src1_sel:DWORD
	s_and_saveexec_b32 s15, s4
	s_cbranch_execz .LBB214_2328
; %bb.2321:                             ;   in Loop: Header=BB214_1571 Depth=1
	v_bfrev_b32_e32 v21, 1
	v_mov_b32_e32 v22, 0
	v_cmp_ne_u16_sdwa s4, v7, v41 src0_sel:BYTE_0 src1_sel:DWORD
	s_and_saveexec_b32 s17, s4
	s_cbranch_execz .LBB214_2327
; %bb.2322:                             ;   in Loop: Header=BB214_1571 Depth=1
	v_mov_b32_e32 v21, 0x7f800001
	v_and_b32_e32 v11, 0x7f, v7
	v_mov_b32_e32 v22, 0
	s_mov_b32 s18, exec_lo
	v_cmpx_ne_u32_e32 0x7f, v11
	s_cbranch_execz .LBB214_2326
; %bb.2323:                             ;   in Loop: Header=BB214_1571 Depth=1
	v_and_b32_e32 v9, 7, v7
	v_lshrrev_b32_e32 v8, 3, v11
	s_mov_b32 s19, exec_lo
	v_cmpx_gt_u32_e32 8, v11
; %bb.2324:                             ;   in Loop: Header=BB214_1571 Depth=1
	v_ffbh_u32_e32 v8, v9
	v_min_u32_e32 v8, 32, v8
	v_subrev_nc_u32_e32 v11, 28, v8
	v_sub_nc_u32_e32 v8, 29, v8
	v_lshlrev_b64 v[21:22], v11, v[9:10]
	v_and_b32_e32 v9, 7, v21
; %bb.2325:                             ;   in Loop: Header=BB214_1571 Depth=1
	s_or_b32 exec_lo, exec_lo, s19
	v_lshlrev_b32_e32 v11, 24, v7
	v_lshlrev_b32_e32 v9, 20, v9
	v_lshl_add_u32 v8, v8, 23, 0x3c000000
	v_and_b32_e32 v11, 0x80000000, v11
	v_or3_b32 v9, v9, v11, v8
	v_mov_b32_e32 v22, v10
	v_mov_b32_e32 v21, v9
.LBB214_2326:                           ;   in Loop: Header=BB214_1571 Depth=1
	s_or_b32 exec_lo, exec_lo, s18
.LBB214_2327:                           ;   in Loop: Header=BB214_1571 Depth=1
	s_or_b32 exec_lo, exec_lo, s17
.LBB214_2328:                           ;   in Loop: Header=BB214_1571 Depth=1
	s_or_b32 exec_lo, exec_lo, s15
	v_cmp_ne_u16_sdwa s4, v7, v10 src0_sel:BYTE_1 src1_sel:DWORD
	s_and_saveexec_b32 s15, s4
	s_cbranch_execz .LBB214_2336
; %bb.2329:                             ;   in Loop: Header=BB214_1571 Depth=1
	v_mov_b32_e32 v11, v10
	v_mov_b32_e32 v24, v12
	v_cmp_ne_u16_sdwa s4, v7, v41 src0_sel:BYTE_1 src1_sel:DWORD
	v_mov_b32_e32 v23, v11
	s_and_saveexec_b32 s17, s4
	s_cbranch_execz .LBB214_2335
; %bb.2330:                             ;   in Loop: Header=BB214_1571 Depth=1
	v_and_b32_sdwa v8, v48, v7 dst_sel:DWORD dst_unused:UNUSED_PAD src0_sel:DWORD src1_sel:BYTE_1
	v_mov_b32_e32 v13, v10
	v_mov_b32_e32 v24, v14
	s_mov_b32 s18, exec_lo
	v_and_b32_e32 v11, 0x7f, v8
	v_mov_b32_e32 v23, v13
	v_cmpx_ne_u32_e32 0x7f, v11
	s_cbranch_execz .LBB214_2334
; %bb.2331:                             ;   in Loop: Header=BB214_1571 Depth=1
	v_and_b32_e32 v9, 7, v8
	v_lshrrev_b32_e32 v8, 3, v11
	s_mov_b32 s19, exec_lo
	v_cmpx_gt_u32_e32 8, v11
; %bb.2332:                             ;   in Loop: Header=BB214_1571 Depth=1
	v_ffbh_u32_e32 v8, v9
	v_min_u32_e32 v8, 32, v8
	v_subrev_nc_u32_e32 v11, 28, v8
	v_sub_nc_u32_e32 v8, 29, v8
	v_lshlrev_b64 v[23:24], v11, v[9:10]
	v_and_b32_e32 v9, 7, v23
; %bb.2333:                             ;   in Loop: Header=BB214_1571 Depth=1
	s_or_b32 exec_lo, exec_lo, s19
	v_lshlrev_b32_e32 v11, 16, v7
	v_lshlrev_b32_e32 v9, 20, v9
	v_lshl_add_u32 v8, v8, 23, 0x3c000000
	v_mov_b32_e32 v23, v10
	v_and_b32_e32 v11, 0x80000000, v11
	v_or3_b32 v24, v9, v11, v8
.LBB214_2334:                           ;   in Loop: Header=BB214_1571 Depth=1
	s_or_b32 exec_lo, exec_lo, s18
.LBB214_2335:                           ;   in Loop: Header=BB214_1571 Depth=1
	s_or_b32 exec_lo, exec_lo, s17
.LBB214_2336:                           ;   in Loop: Header=BB214_1571 Depth=1
	s_or_b32 exec_lo, exec_lo, s15
	v_mov_b32_e32 v25, 0
	v_mov_b32_e32 v27, 0
	v_and_b32_sdwa v8, v7, v43 dst_sel:DWORD dst_unused:UNUSED_PAD src0_sel:WORD_1 src1_sel:DWORD
	v_mov_b32_e32 v26, 0
	v_mov_b32_e32 v28, 0
	s_mov_b32 s15, exec_lo
	v_cmpx_ne_u16_e32 0, v8
	s_cbranch_execz .LBB214_2344
; %bb.2337:                             ;   in Loop: Header=BB214_1571 Depth=1
	v_bfrev_b32_e32 v27, 1
	v_mov_b32_e32 v28, 0
	s_mov_b32 s17, exec_lo
	v_cmpx_ne_u16_e32 0x80, v8
	s_cbranch_execz .LBB214_2343
; %bb.2338:                             ;   in Loop: Header=BB214_1571 Depth=1
	v_mov_b32_e32 v27, 0x7f800001
	v_bfe_u32 v11, v7, 16, 7
	v_mov_b32_e32 v28, 0
	s_mov_b32 s18, exec_lo
	v_cmpx_ne_u32_e32 0x7f, v11
	s_cbranch_execz .LBB214_2342
; %bb.2339:                             ;   in Loop: Header=BB214_1571 Depth=1
	v_mov_b32_e32 v8, 7
	s_mov_b32 s19, exec_lo
	v_and_b32_sdwa v9, v7, v8 dst_sel:DWORD dst_unused:UNUSED_PAD src0_sel:WORD_1 src1_sel:DWORD
	v_lshrrev_b32_e32 v8, 3, v11
	v_cmpx_gt_u32_e32 8, v11
; %bb.2340:                             ;   in Loop: Header=BB214_1571 Depth=1
	v_ffbh_u32_e32 v8, v9
	v_min_u32_e32 v8, 32, v8
	v_subrev_nc_u32_e32 v11, 28, v8
	v_sub_nc_u32_e32 v8, 29, v8
	v_lshlrev_b64 v[27:28], v11, v[9:10]
	v_and_b32_e32 v9, 7, v27
; %bb.2341:                             ;   in Loop: Header=BB214_1571 Depth=1
	s_or_b32 exec_lo, exec_lo, s19
	v_mov_b32_e32 v11, 24
	v_lshlrev_b32_e32 v9, 20, v9
	v_lshl_add_u32 v8, v8, 23, 0x3c000000
	v_lshlrev_b32_sdwa v11, v11, v7 dst_sel:DWORD dst_unused:UNUSED_PAD src0_sel:DWORD src1_sel:WORD_1
	v_and_b32_e32 v11, 0x80000000, v11
	v_or3_b32 v9, v9, v11, v8
	v_mov_b32_e32 v28, v10
	v_mov_b32_e32 v27, v9
.LBB214_2342:                           ;   in Loop: Header=BB214_1571 Depth=1
	s_or_b32 exec_lo, exec_lo, s18
.LBB214_2343:                           ;   in Loop: Header=BB214_1571 Depth=1
	s_or_b32 exec_lo, exec_lo, s17
.LBB214_2344:                           ;   in Loop: Header=BB214_1571 Depth=1
	s_or_b32 exec_lo, exec_lo, s15
	s_mov_b32 s15, exec_lo
	v_cmpx_lt_u32_e32 0xffffff, v7
	s_cbranch_execz .LBB214_2352
; %bb.2345:                             ;   in Loop: Header=BB214_1571 Depth=1
	v_mov_b32_e32 v11, v10
	v_mov_b32_e32 v26, v12
	v_cmp_ne_u32_sdwa s4, v7, v41 src0_sel:BYTE_3 src1_sel:DWORD
	v_mov_b32_e32 v25, v11
	s_and_saveexec_b32 s17, s4
	s_cbranch_execz .LBB214_2351
; %bb.2346:                             ;   in Loop: Header=BB214_1571 Depth=1
	v_mov_b32_e32 v13, v10
	v_mov_b32_e32 v26, v14
	v_bfe_u32 v11, v7, 24, 7
	s_mov_b32 s18, exec_lo
	v_mov_b32_e32 v25, v13
	v_cmpx_ne_u32_e32 0x7f, v11
	s_cbranch_execz .LBB214_2350
; %bb.2347:                             ;   in Loop: Header=BB214_1571 Depth=1
	v_mov_b32_e32 v8, 7
	s_mov_b32 s19, exec_lo
	v_and_b32_sdwa v9, v7, v8 dst_sel:DWORD dst_unused:UNUSED_PAD src0_sel:BYTE_3 src1_sel:DWORD
	v_lshrrev_b32_e32 v8, 3, v11
	v_cmpx_gt_u32_e32 8, v11
; %bb.2348:                             ;   in Loop: Header=BB214_1571 Depth=1
	v_ffbh_u32_e32 v8, v9
	v_min_u32_e32 v8, 32, v8
	v_subrev_nc_u32_e32 v11, 28, v8
	v_sub_nc_u32_e32 v8, 29, v8
	v_lshlrev_b64 v[25:26], v11, v[9:10]
	v_and_b32_e32 v9, 7, v25
; %bb.2349:                             ;   in Loop: Header=BB214_1571 Depth=1
	s_or_b32 exec_lo, exec_lo, s19
	v_mov_b32_e32 v11, 24
	v_lshlrev_b32_e32 v9, 20, v9
	v_lshl_add_u32 v8, v8, 23, 0x3c000000
	v_mov_b32_e32 v25, v10
	v_lshlrev_b32_sdwa v7, v11, v7 dst_sel:DWORD dst_unused:UNUSED_PAD src0_sel:DWORD src1_sel:BYTE_3
	v_and_b32_e32 v7, 0x80000000, v7
	v_or3_b32 v26, v9, v7, v8
.LBB214_2350:                           ;   in Loop: Header=BB214_1571 Depth=1
	s_or_b32 exec_lo, exec_lo, s18
.LBB214_2351:                           ;   in Loop: Header=BB214_1571 Depth=1
	s_or_b32 exec_lo, exec_lo, s17
.LBB214_2352:                           ;   in Loop: Header=BB214_1571 Depth=1
	s_or_b32 exec_lo, exec_lo, s15
	v_or_b32_e32 v7, v24, v22
	v_or_b32_e32 v8, v23, v21
	v_or_b32_e32 v9, v25, v27
	v_or_b32_e32 v11, v26, v28
	v_mul_f32_e32 v7, v74, v7
	buffer_store_dword v7, off, s[0:3], s32 offset:952 ; 4-byte Folded Spill
	v_mul_f32_e32 v7, v74, v8
	buffer_store_dword v7, off, s[0:3], s32 offset:944 ; 4-byte Folded Spill
	;; [unrolled: 2-line block ×4, first 2 shown]
	s_and_saveexec_b32 s15, vcc_lo
	s_cbranch_execz .LBB214_2354
; %bb.2353:                             ;   in Loop: Header=BB214_1571 Depth=1
	s_clause 0x1
	buffer_load_dword v7, off, s[0:3], s32 offset:200
	buffer_load_dword v8, off, s[0:3], s32 offset:944
	s_waitcnt vmcnt(1)
	v_cmp_lt_i32_e64 s4, v79, v7
	s_waitcnt vmcnt(0)
	v_cndmask_b32_e64 v8, 0, v8, s4
	v_cmp_lt_i32_e64 s4, v90, v7
	buffer_store_dword v8, off, s[0:3], s32 offset:944 ; 4-byte Folded Spill
	buffer_load_dword v8, off, s[0:3], s32 offset:952 ; 4-byte Folded Reload
	s_waitcnt vmcnt(0)
	v_cndmask_b32_e64 v8, 0, v8, s4
	v_cmp_lt_i32_e64 s4, v89, v7
	buffer_store_dword v8, off, s[0:3], s32 offset:952 ; 4-byte Folded Spill
	buffer_load_dword v8, off, s[0:3], s32 offset:936 ; 4-byte Folded Reload
	s_waitcnt vmcnt(0)
	v_cndmask_b32_e64 v8, 0, v8, s4
	v_cmp_lt_i32_e64 s4, v88, v7
	buffer_load_dword v7, off, s[0:3], s32 offset:928 ; 4-byte Folded Reload
	buffer_store_dword v8, off, s[0:3], s32 offset:936 ; 4-byte Folded Spill
	s_waitcnt vmcnt(0)
	v_cndmask_b32_e64 v7, 0, v7, s4
	buffer_store_dword v7, off, s[0:3], s32 offset:928 ; 4-byte Folded Spill
.LBB214_2354:                           ;   in Loop: Header=BB214_1571 Depth=1
	s_or_b32 exec_lo, exec_lo, s15
	flat_load_dword v7, v[19:20] offset:896
	v_mov_b32_e32 v23, 0
	v_mov_b32_e32 v21, 0
	;; [unrolled: 1-line block ×4, first 2 shown]
	s_waitcnt vmcnt(0) lgkmcnt(0)
	v_cmp_ne_u16_sdwa s4, v7, v10 src0_sel:BYTE_0 src1_sel:DWORD
	s_and_saveexec_b32 s15, s4
	s_cbranch_execz .LBB214_2362
; %bb.2355:                             ;   in Loop: Header=BB214_1571 Depth=1
	v_bfrev_b32_e32 v21, 1
	v_mov_b32_e32 v22, 0
	v_cmp_ne_u16_sdwa s4, v7, v41 src0_sel:BYTE_0 src1_sel:DWORD
	s_and_saveexec_b32 s17, s4
	s_cbranch_execz .LBB214_2361
; %bb.2356:                             ;   in Loop: Header=BB214_1571 Depth=1
	v_mov_b32_e32 v21, 0x7f800001
	v_and_b32_e32 v11, 0x7f, v7
	v_mov_b32_e32 v22, 0
	s_mov_b32 s18, exec_lo
	v_cmpx_ne_u32_e32 0x7f, v11
	s_cbranch_execz .LBB214_2360
; %bb.2357:                             ;   in Loop: Header=BB214_1571 Depth=1
	v_and_b32_e32 v9, 7, v7
	v_lshrrev_b32_e32 v8, 3, v11
	s_mov_b32 s19, exec_lo
	v_cmpx_gt_u32_e32 8, v11
; %bb.2358:                             ;   in Loop: Header=BB214_1571 Depth=1
	v_ffbh_u32_e32 v8, v9
	v_min_u32_e32 v8, 32, v8
	v_subrev_nc_u32_e32 v11, 28, v8
	v_sub_nc_u32_e32 v8, 29, v8
	v_lshlrev_b64 v[21:22], v11, v[9:10]
	v_and_b32_e32 v9, 7, v21
; %bb.2359:                             ;   in Loop: Header=BB214_1571 Depth=1
	s_or_b32 exec_lo, exec_lo, s19
	v_lshlrev_b32_e32 v11, 24, v7
	v_lshlrev_b32_e32 v9, 20, v9
	v_lshl_add_u32 v8, v8, 23, 0x3c000000
	v_and_b32_e32 v11, 0x80000000, v11
	v_or3_b32 v9, v9, v11, v8
	v_mov_b32_e32 v22, v10
	v_mov_b32_e32 v21, v9
.LBB214_2360:                           ;   in Loop: Header=BB214_1571 Depth=1
	s_or_b32 exec_lo, exec_lo, s18
.LBB214_2361:                           ;   in Loop: Header=BB214_1571 Depth=1
	s_or_b32 exec_lo, exec_lo, s17
.LBB214_2362:                           ;   in Loop: Header=BB214_1571 Depth=1
	s_or_b32 exec_lo, exec_lo, s15
	v_cmp_ne_u16_sdwa s4, v7, v10 src0_sel:BYTE_1 src1_sel:DWORD
	s_and_saveexec_b32 s15, s4
	s_cbranch_execz .LBB214_2370
; %bb.2363:                             ;   in Loop: Header=BB214_1571 Depth=1
	v_mov_b32_e32 v11, v10
	v_mov_b32_e32 v24, v12
	v_cmp_ne_u16_sdwa s4, v7, v41 src0_sel:BYTE_1 src1_sel:DWORD
	v_mov_b32_e32 v23, v11
	s_and_saveexec_b32 s17, s4
	s_cbranch_execz .LBB214_2369
; %bb.2364:                             ;   in Loop: Header=BB214_1571 Depth=1
	v_and_b32_sdwa v8, v48, v7 dst_sel:DWORD dst_unused:UNUSED_PAD src0_sel:DWORD src1_sel:BYTE_1
	v_mov_b32_e32 v13, v10
	v_mov_b32_e32 v24, v14
	s_mov_b32 s18, exec_lo
	v_and_b32_e32 v11, 0x7f, v8
	v_mov_b32_e32 v23, v13
	v_cmpx_ne_u32_e32 0x7f, v11
	s_cbranch_execz .LBB214_2368
; %bb.2365:                             ;   in Loop: Header=BB214_1571 Depth=1
	v_and_b32_e32 v9, 7, v8
	v_lshrrev_b32_e32 v8, 3, v11
	s_mov_b32 s19, exec_lo
	v_cmpx_gt_u32_e32 8, v11
; %bb.2366:                             ;   in Loop: Header=BB214_1571 Depth=1
	v_ffbh_u32_e32 v8, v9
	v_min_u32_e32 v8, 32, v8
	v_subrev_nc_u32_e32 v11, 28, v8
	v_sub_nc_u32_e32 v8, 29, v8
	v_lshlrev_b64 v[23:24], v11, v[9:10]
	v_and_b32_e32 v9, 7, v23
; %bb.2367:                             ;   in Loop: Header=BB214_1571 Depth=1
	s_or_b32 exec_lo, exec_lo, s19
	v_lshlrev_b32_e32 v11, 16, v7
	v_lshlrev_b32_e32 v9, 20, v9
	v_lshl_add_u32 v8, v8, 23, 0x3c000000
	v_mov_b32_e32 v23, v10
	v_and_b32_e32 v11, 0x80000000, v11
	v_or3_b32 v24, v9, v11, v8
.LBB214_2368:                           ;   in Loop: Header=BB214_1571 Depth=1
	s_or_b32 exec_lo, exec_lo, s18
.LBB214_2369:                           ;   in Loop: Header=BB214_1571 Depth=1
	s_or_b32 exec_lo, exec_lo, s17
.LBB214_2370:                           ;   in Loop: Header=BB214_1571 Depth=1
	s_or_b32 exec_lo, exec_lo, s15
	v_mov_b32_e32 v25, 0
	v_mov_b32_e32 v27, 0
	v_and_b32_sdwa v8, v7, v43 dst_sel:DWORD dst_unused:UNUSED_PAD src0_sel:WORD_1 src1_sel:DWORD
	v_mov_b32_e32 v26, 0
	v_mov_b32_e32 v28, 0
	s_mov_b32 s15, exec_lo
	v_cmpx_ne_u16_e32 0, v8
	s_cbranch_execz .LBB214_2378
; %bb.2371:                             ;   in Loop: Header=BB214_1571 Depth=1
	v_bfrev_b32_e32 v27, 1
	v_mov_b32_e32 v28, 0
	s_mov_b32 s17, exec_lo
	v_cmpx_ne_u16_e32 0x80, v8
	s_cbranch_execz .LBB214_2377
; %bb.2372:                             ;   in Loop: Header=BB214_1571 Depth=1
	v_mov_b32_e32 v27, 0x7f800001
	v_bfe_u32 v11, v7, 16, 7
	v_mov_b32_e32 v28, 0
	s_mov_b32 s18, exec_lo
	v_cmpx_ne_u32_e32 0x7f, v11
	s_cbranch_execz .LBB214_2376
; %bb.2373:                             ;   in Loop: Header=BB214_1571 Depth=1
	v_mov_b32_e32 v8, 7
	s_mov_b32 s19, exec_lo
	v_and_b32_sdwa v9, v7, v8 dst_sel:DWORD dst_unused:UNUSED_PAD src0_sel:WORD_1 src1_sel:DWORD
	v_lshrrev_b32_e32 v8, 3, v11
	v_cmpx_gt_u32_e32 8, v11
; %bb.2374:                             ;   in Loop: Header=BB214_1571 Depth=1
	v_ffbh_u32_e32 v8, v9
	v_min_u32_e32 v8, 32, v8
	v_subrev_nc_u32_e32 v11, 28, v8
	v_sub_nc_u32_e32 v8, 29, v8
	v_lshlrev_b64 v[27:28], v11, v[9:10]
	v_and_b32_e32 v9, 7, v27
; %bb.2375:                             ;   in Loop: Header=BB214_1571 Depth=1
	s_or_b32 exec_lo, exec_lo, s19
	v_mov_b32_e32 v11, 24
	v_lshlrev_b32_e32 v9, 20, v9
	v_lshl_add_u32 v8, v8, 23, 0x3c000000
	v_lshlrev_b32_sdwa v11, v11, v7 dst_sel:DWORD dst_unused:UNUSED_PAD src0_sel:DWORD src1_sel:WORD_1
	v_and_b32_e32 v11, 0x80000000, v11
	v_or3_b32 v9, v9, v11, v8
	v_mov_b32_e32 v28, v10
	v_mov_b32_e32 v27, v9
.LBB214_2376:                           ;   in Loop: Header=BB214_1571 Depth=1
	s_or_b32 exec_lo, exec_lo, s18
.LBB214_2377:                           ;   in Loop: Header=BB214_1571 Depth=1
	s_or_b32 exec_lo, exec_lo, s17
.LBB214_2378:                           ;   in Loop: Header=BB214_1571 Depth=1
	s_or_b32 exec_lo, exec_lo, s15
	s_mov_b32 s15, exec_lo
	v_cmpx_lt_u32_e32 0xffffff, v7
	s_cbranch_execz .LBB214_2386
; %bb.2379:                             ;   in Loop: Header=BB214_1571 Depth=1
	v_mov_b32_e32 v11, v10
	v_mov_b32_e32 v26, v12
	v_cmp_ne_u32_sdwa s4, v7, v41 src0_sel:BYTE_3 src1_sel:DWORD
	v_mov_b32_e32 v25, v11
	s_and_saveexec_b32 s17, s4
	s_cbranch_execz .LBB214_2385
; %bb.2380:                             ;   in Loop: Header=BB214_1571 Depth=1
	v_mov_b32_e32 v13, v10
	v_mov_b32_e32 v26, v14
	v_bfe_u32 v11, v7, 24, 7
	s_mov_b32 s18, exec_lo
	v_mov_b32_e32 v25, v13
	v_cmpx_ne_u32_e32 0x7f, v11
	s_cbranch_execz .LBB214_2384
; %bb.2381:                             ;   in Loop: Header=BB214_1571 Depth=1
	v_mov_b32_e32 v8, 7
	s_mov_b32 s19, exec_lo
	v_and_b32_sdwa v9, v7, v8 dst_sel:DWORD dst_unused:UNUSED_PAD src0_sel:BYTE_3 src1_sel:DWORD
	v_lshrrev_b32_e32 v8, 3, v11
	v_cmpx_gt_u32_e32 8, v11
; %bb.2382:                             ;   in Loop: Header=BB214_1571 Depth=1
	v_ffbh_u32_e32 v8, v9
	v_min_u32_e32 v8, 32, v8
	v_subrev_nc_u32_e32 v11, 28, v8
	v_sub_nc_u32_e32 v8, 29, v8
	v_lshlrev_b64 v[25:26], v11, v[9:10]
	v_and_b32_e32 v9, 7, v25
; %bb.2383:                             ;   in Loop: Header=BB214_1571 Depth=1
	s_or_b32 exec_lo, exec_lo, s19
	v_mov_b32_e32 v11, 24
	v_lshlrev_b32_e32 v9, 20, v9
	v_lshl_add_u32 v8, v8, 23, 0x3c000000
	v_mov_b32_e32 v25, v10
	v_lshlrev_b32_sdwa v7, v11, v7 dst_sel:DWORD dst_unused:UNUSED_PAD src0_sel:DWORD src1_sel:BYTE_3
	v_and_b32_e32 v7, 0x80000000, v7
	v_or3_b32 v26, v9, v7, v8
.LBB214_2384:                           ;   in Loop: Header=BB214_1571 Depth=1
	s_or_b32 exec_lo, exec_lo, s18
.LBB214_2385:                           ;   in Loop: Header=BB214_1571 Depth=1
	s_or_b32 exec_lo, exec_lo, s17
.LBB214_2386:                           ;   in Loop: Header=BB214_1571 Depth=1
	s_or_b32 exec_lo, exec_lo, s15
	v_or_b32_e32 v7, v24, v22
	v_or_b32_e32 v8, v23, v21
	;; [unrolled: 1-line block ×4, first 2 shown]
	v_mul_f32_e32 v93, v74, v7
	v_mul_f32_e32 v7, v74, v8
	buffer_store_dword v7, off, s[0:3], s32 offset:976 ; 4-byte Folded Spill
	v_mul_f32_e32 v7, v74, v9
	buffer_store_dword v7, off, s[0:3], s32 offset:968 ; 4-byte Folded Spill
	;; [unrolled: 2-line block ×3, first 2 shown]
	s_and_saveexec_b32 s15, vcc_lo
	s_cbranch_execz .LBB214_2388
; %bb.2387:                             ;   in Loop: Header=BB214_1571 Depth=1
	s_clause 0x1
	buffer_load_dword v7, off, s[0:3], s32 offset:200
	buffer_load_dword v8, off, s[0:3], s32 offset:976
	s_waitcnt vmcnt(1)
	v_cmp_lt_i32_e64 s4, v79, v7
	s_waitcnt vmcnt(0)
	v_cndmask_b32_e64 v8, 0, v8, s4
	v_cmp_lt_i32_e64 s4, v90, v7
	buffer_store_dword v8, off, s[0:3], s32 offset:976 ; 4-byte Folded Spill
	buffer_load_dword v8, off, s[0:3], s32 offset:968 ; 4-byte Folded Reload
	v_cndmask_b32_e64 v93, 0, v93, s4
	v_cmp_lt_i32_e64 s4, v89, v7
	s_waitcnt vmcnt(0)
	v_cndmask_b32_e64 v8, 0, v8, s4
	v_cmp_lt_i32_e64 s4, v88, v7
	buffer_load_dword v7, off, s[0:3], s32 offset:960 ; 4-byte Folded Reload
	buffer_store_dword v8, off, s[0:3], s32 offset:968 ; 4-byte Folded Spill
	s_waitcnt vmcnt(0)
	v_cndmask_b32_e64 v7, 0, v7, s4
	buffer_store_dword v7, off, s[0:3], s32 offset:960 ; 4-byte Folded Spill
.LBB214_2388:                           ;   in Loop: Header=BB214_1571 Depth=1
	s_or_b32 exec_lo, exec_lo, s15
	flat_load_dword v7, v[19:20] offset:1024
	v_mov_b32_e32 v23, 0
	v_mov_b32_e32 v21, 0
	;; [unrolled: 1-line block ×4, first 2 shown]
	s_waitcnt vmcnt(0) lgkmcnt(0)
	v_cmp_ne_u16_sdwa s4, v7, v10 src0_sel:BYTE_0 src1_sel:DWORD
	s_and_saveexec_b32 s15, s4
	s_cbranch_execz .LBB214_2396
; %bb.2389:                             ;   in Loop: Header=BB214_1571 Depth=1
	v_bfrev_b32_e32 v21, 1
	v_mov_b32_e32 v22, 0
	v_cmp_ne_u16_sdwa s4, v7, v41 src0_sel:BYTE_0 src1_sel:DWORD
	s_and_saveexec_b32 s17, s4
	s_cbranch_execz .LBB214_2395
; %bb.2390:                             ;   in Loop: Header=BB214_1571 Depth=1
	v_mov_b32_e32 v21, 0x7f800001
	v_and_b32_e32 v11, 0x7f, v7
	v_mov_b32_e32 v22, 0
	s_mov_b32 s18, exec_lo
	v_cmpx_ne_u32_e32 0x7f, v11
	s_cbranch_execz .LBB214_2394
; %bb.2391:                             ;   in Loop: Header=BB214_1571 Depth=1
	v_and_b32_e32 v9, 7, v7
	v_lshrrev_b32_e32 v8, 3, v11
	s_mov_b32 s19, exec_lo
	v_cmpx_gt_u32_e32 8, v11
; %bb.2392:                             ;   in Loop: Header=BB214_1571 Depth=1
	v_ffbh_u32_e32 v8, v9
	v_min_u32_e32 v8, 32, v8
	v_subrev_nc_u32_e32 v11, 28, v8
	v_sub_nc_u32_e32 v8, 29, v8
	v_lshlrev_b64 v[21:22], v11, v[9:10]
	v_and_b32_e32 v9, 7, v21
; %bb.2393:                             ;   in Loop: Header=BB214_1571 Depth=1
	s_or_b32 exec_lo, exec_lo, s19
	v_lshlrev_b32_e32 v11, 24, v7
	v_lshlrev_b32_e32 v9, 20, v9
	v_lshl_add_u32 v8, v8, 23, 0x3c000000
	v_and_b32_e32 v11, 0x80000000, v11
	v_or3_b32 v9, v9, v11, v8
	v_mov_b32_e32 v22, v10
	v_mov_b32_e32 v21, v9
.LBB214_2394:                           ;   in Loop: Header=BB214_1571 Depth=1
	s_or_b32 exec_lo, exec_lo, s18
.LBB214_2395:                           ;   in Loop: Header=BB214_1571 Depth=1
	s_or_b32 exec_lo, exec_lo, s17
.LBB214_2396:                           ;   in Loop: Header=BB214_1571 Depth=1
	s_or_b32 exec_lo, exec_lo, s15
	v_cmp_ne_u16_sdwa s4, v7, v10 src0_sel:BYTE_1 src1_sel:DWORD
	s_and_saveexec_b32 s15, s4
	s_cbranch_execz .LBB214_2404
; %bb.2397:                             ;   in Loop: Header=BB214_1571 Depth=1
	v_mov_b32_e32 v11, v10
	v_mov_b32_e32 v24, v12
	v_cmp_ne_u16_sdwa s4, v7, v41 src0_sel:BYTE_1 src1_sel:DWORD
	v_mov_b32_e32 v23, v11
	s_and_saveexec_b32 s17, s4
	s_cbranch_execz .LBB214_2403
; %bb.2398:                             ;   in Loop: Header=BB214_1571 Depth=1
	v_and_b32_sdwa v8, v48, v7 dst_sel:DWORD dst_unused:UNUSED_PAD src0_sel:DWORD src1_sel:BYTE_1
	v_mov_b32_e32 v13, v10
	v_mov_b32_e32 v24, v14
	s_mov_b32 s18, exec_lo
	v_and_b32_e32 v11, 0x7f, v8
	v_mov_b32_e32 v23, v13
	v_cmpx_ne_u32_e32 0x7f, v11
	s_cbranch_execz .LBB214_2402
; %bb.2399:                             ;   in Loop: Header=BB214_1571 Depth=1
	v_and_b32_e32 v9, 7, v8
	v_lshrrev_b32_e32 v8, 3, v11
	s_mov_b32 s19, exec_lo
	v_cmpx_gt_u32_e32 8, v11
; %bb.2400:                             ;   in Loop: Header=BB214_1571 Depth=1
	v_ffbh_u32_e32 v8, v9
	v_min_u32_e32 v8, 32, v8
	v_subrev_nc_u32_e32 v11, 28, v8
	v_sub_nc_u32_e32 v8, 29, v8
	v_lshlrev_b64 v[23:24], v11, v[9:10]
	v_and_b32_e32 v9, 7, v23
; %bb.2401:                             ;   in Loop: Header=BB214_1571 Depth=1
	s_or_b32 exec_lo, exec_lo, s19
	v_lshlrev_b32_e32 v11, 16, v7
	v_lshlrev_b32_e32 v9, 20, v9
	v_lshl_add_u32 v8, v8, 23, 0x3c000000
	v_mov_b32_e32 v23, v10
	v_and_b32_e32 v11, 0x80000000, v11
	v_or3_b32 v24, v9, v11, v8
.LBB214_2402:                           ;   in Loop: Header=BB214_1571 Depth=1
	s_or_b32 exec_lo, exec_lo, s18
.LBB214_2403:                           ;   in Loop: Header=BB214_1571 Depth=1
	s_or_b32 exec_lo, exec_lo, s17
.LBB214_2404:                           ;   in Loop: Header=BB214_1571 Depth=1
	s_or_b32 exec_lo, exec_lo, s15
	v_mov_b32_e32 v25, 0
	v_mov_b32_e32 v27, 0
	v_and_b32_sdwa v8, v7, v43 dst_sel:DWORD dst_unused:UNUSED_PAD src0_sel:WORD_1 src1_sel:DWORD
	v_mov_b32_e32 v26, 0
	v_mov_b32_e32 v28, 0
	s_mov_b32 s15, exec_lo
	v_cmpx_ne_u16_e32 0, v8
	s_cbranch_execz .LBB214_2412
; %bb.2405:                             ;   in Loop: Header=BB214_1571 Depth=1
	v_bfrev_b32_e32 v27, 1
	v_mov_b32_e32 v28, 0
	s_mov_b32 s17, exec_lo
	v_cmpx_ne_u16_e32 0x80, v8
	s_cbranch_execz .LBB214_2411
; %bb.2406:                             ;   in Loop: Header=BB214_1571 Depth=1
	v_mov_b32_e32 v27, 0x7f800001
	v_bfe_u32 v11, v7, 16, 7
	v_mov_b32_e32 v28, 0
	s_mov_b32 s18, exec_lo
	v_cmpx_ne_u32_e32 0x7f, v11
	s_cbranch_execz .LBB214_2410
; %bb.2407:                             ;   in Loop: Header=BB214_1571 Depth=1
	v_mov_b32_e32 v8, 7
	s_mov_b32 s19, exec_lo
	v_and_b32_sdwa v9, v7, v8 dst_sel:DWORD dst_unused:UNUSED_PAD src0_sel:WORD_1 src1_sel:DWORD
	v_lshrrev_b32_e32 v8, 3, v11
	v_cmpx_gt_u32_e32 8, v11
; %bb.2408:                             ;   in Loop: Header=BB214_1571 Depth=1
	v_ffbh_u32_e32 v8, v9
	v_min_u32_e32 v8, 32, v8
	v_subrev_nc_u32_e32 v11, 28, v8
	v_sub_nc_u32_e32 v8, 29, v8
	v_lshlrev_b64 v[27:28], v11, v[9:10]
	v_and_b32_e32 v9, 7, v27
; %bb.2409:                             ;   in Loop: Header=BB214_1571 Depth=1
	s_or_b32 exec_lo, exec_lo, s19
	v_mov_b32_e32 v11, 24
	v_lshlrev_b32_e32 v9, 20, v9
	v_lshl_add_u32 v8, v8, 23, 0x3c000000
	v_lshlrev_b32_sdwa v11, v11, v7 dst_sel:DWORD dst_unused:UNUSED_PAD src0_sel:DWORD src1_sel:WORD_1
	v_and_b32_e32 v11, 0x80000000, v11
	v_or3_b32 v9, v9, v11, v8
	v_mov_b32_e32 v28, v10
	v_mov_b32_e32 v27, v9
.LBB214_2410:                           ;   in Loop: Header=BB214_1571 Depth=1
	s_or_b32 exec_lo, exec_lo, s18
.LBB214_2411:                           ;   in Loop: Header=BB214_1571 Depth=1
	s_or_b32 exec_lo, exec_lo, s17
.LBB214_2412:                           ;   in Loop: Header=BB214_1571 Depth=1
	s_or_b32 exec_lo, exec_lo, s15
	s_mov_b32 s15, exec_lo
	v_cmpx_lt_u32_e32 0xffffff, v7
	s_cbranch_execz .LBB214_2420
; %bb.2413:                             ;   in Loop: Header=BB214_1571 Depth=1
	v_mov_b32_e32 v11, v10
	v_mov_b32_e32 v26, v12
	v_cmp_ne_u32_sdwa s4, v7, v41 src0_sel:BYTE_3 src1_sel:DWORD
	v_mov_b32_e32 v25, v11
	s_and_saveexec_b32 s17, s4
	s_cbranch_execz .LBB214_2419
; %bb.2414:                             ;   in Loop: Header=BB214_1571 Depth=1
	v_mov_b32_e32 v13, v10
	v_mov_b32_e32 v26, v14
	v_bfe_u32 v11, v7, 24, 7
	s_mov_b32 s18, exec_lo
	v_mov_b32_e32 v25, v13
	v_cmpx_ne_u32_e32 0x7f, v11
	s_cbranch_execz .LBB214_2418
; %bb.2415:                             ;   in Loop: Header=BB214_1571 Depth=1
	v_mov_b32_e32 v8, 7
	s_mov_b32 s19, exec_lo
	v_and_b32_sdwa v9, v7, v8 dst_sel:DWORD dst_unused:UNUSED_PAD src0_sel:BYTE_3 src1_sel:DWORD
	v_lshrrev_b32_e32 v8, 3, v11
	v_cmpx_gt_u32_e32 8, v11
; %bb.2416:                             ;   in Loop: Header=BB214_1571 Depth=1
	v_ffbh_u32_e32 v8, v9
	v_min_u32_e32 v8, 32, v8
	v_subrev_nc_u32_e32 v11, 28, v8
	v_sub_nc_u32_e32 v8, 29, v8
	v_lshlrev_b64 v[25:26], v11, v[9:10]
	v_and_b32_e32 v9, 7, v25
; %bb.2417:                             ;   in Loop: Header=BB214_1571 Depth=1
	s_or_b32 exec_lo, exec_lo, s19
	v_mov_b32_e32 v11, 24
	v_lshlrev_b32_e32 v9, 20, v9
	v_lshl_add_u32 v8, v8, 23, 0x3c000000
	v_mov_b32_e32 v25, v10
	v_lshlrev_b32_sdwa v7, v11, v7 dst_sel:DWORD dst_unused:UNUSED_PAD src0_sel:DWORD src1_sel:BYTE_3
	v_and_b32_e32 v7, 0x80000000, v7
	v_or3_b32 v26, v9, v7, v8
.LBB214_2418:                           ;   in Loop: Header=BB214_1571 Depth=1
	s_or_b32 exec_lo, exec_lo, s18
.LBB214_2419:                           ;   in Loop: Header=BB214_1571 Depth=1
	s_or_b32 exec_lo, exec_lo, s17
.LBB214_2420:                           ;   in Loop: Header=BB214_1571 Depth=1
	s_or_b32 exec_lo, exec_lo, s15
	v_or_b32_e32 v7, v24, v22
	v_or_b32_e32 v8, v23, v21
	v_or_b32_e32 v9, v25, v27
	v_or_b32_e32 v11, v26, v28
	v_mul_f32_e32 v104, v74, v7
	v_mul_f32_e32 v95, v74, v8
	;; [unrolled: 1-line block ×4, first 2 shown]
	s_and_saveexec_b32 s15, vcc_lo
	s_cbranch_execz .LBB214_2422
; %bb.2421:                             ;   in Loop: Header=BB214_1571 Depth=1
	buffer_load_dword v7, off, s[0:3], s32 offset:200 ; 4-byte Folded Reload
	s_waitcnt vmcnt(0)
	v_cmp_lt_i32_e64 s4, v79, v7
	v_cndmask_b32_e64 v95, 0, v95, s4
	v_cmp_lt_i32_e64 s4, v90, v7
	v_cndmask_b32_e64 v104, 0, v104, s4
	;; [unrolled: 2-line block ×4, first 2 shown]
.LBB214_2422:                           ;   in Loop: Header=BB214_1571 Depth=1
	s_or_b32 exec_lo, exec_lo, s15
	flat_load_dword v7, v[19:20] offset:1152
	v_mov_b32_e32 v23, 0
	v_mov_b32_e32 v21, 0
	;; [unrolled: 1-line block ×4, first 2 shown]
	s_waitcnt vmcnt(0) lgkmcnt(0)
	v_cmp_ne_u16_sdwa s4, v7, v10 src0_sel:BYTE_0 src1_sel:DWORD
	s_and_saveexec_b32 s15, s4
	s_cbranch_execz .LBB214_2430
; %bb.2423:                             ;   in Loop: Header=BB214_1571 Depth=1
	v_bfrev_b32_e32 v21, 1
	v_mov_b32_e32 v22, 0
	v_cmp_ne_u16_sdwa s4, v7, v41 src0_sel:BYTE_0 src1_sel:DWORD
	s_and_saveexec_b32 s17, s4
	s_cbranch_execz .LBB214_2429
; %bb.2424:                             ;   in Loop: Header=BB214_1571 Depth=1
	v_mov_b32_e32 v21, 0x7f800001
	v_and_b32_e32 v11, 0x7f, v7
	v_mov_b32_e32 v22, 0
	s_mov_b32 s18, exec_lo
	v_cmpx_ne_u32_e32 0x7f, v11
	s_cbranch_execz .LBB214_2428
; %bb.2425:                             ;   in Loop: Header=BB214_1571 Depth=1
	v_and_b32_e32 v9, 7, v7
	v_lshrrev_b32_e32 v8, 3, v11
	s_mov_b32 s19, exec_lo
	v_cmpx_gt_u32_e32 8, v11
; %bb.2426:                             ;   in Loop: Header=BB214_1571 Depth=1
	v_ffbh_u32_e32 v8, v9
	v_min_u32_e32 v8, 32, v8
	v_subrev_nc_u32_e32 v11, 28, v8
	v_sub_nc_u32_e32 v8, 29, v8
	v_lshlrev_b64 v[21:22], v11, v[9:10]
	v_and_b32_e32 v9, 7, v21
; %bb.2427:                             ;   in Loop: Header=BB214_1571 Depth=1
	s_or_b32 exec_lo, exec_lo, s19
	v_lshlrev_b32_e32 v11, 24, v7
	v_lshlrev_b32_e32 v9, 20, v9
	v_lshl_add_u32 v8, v8, 23, 0x3c000000
	v_and_b32_e32 v11, 0x80000000, v11
	v_or3_b32 v9, v9, v11, v8
	v_mov_b32_e32 v22, v10
	v_mov_b32_e32 v21, v9
.LBB214_2428:                           ;   in Loop: Header=BB214_1571 Depth=1
	s_or_b32 exec_lo, exec_lo, s18
.LBB214_2429:                           ;   in Loop: Header=BB214_1571 Depth=1
	s_or_b32 exec_lo, exec_lo, s17
.LBB214_2430:                           ;   in Loop: Header=BB214_1571 Depth=1
	s_or_b32 exec_lo, exec_lo, s15
	v_cmp_ne_u16_sdwa s4, v7, v10 src0_sel:BYTE_1 src1_sel:DWORD
	s_and_saveexec_b32 s15, s4
	s_cbranch_execz .LBB214_2438
; %bb.2431:                             ;   in Loop: Header=BB214_1571 Depth=1
	v_mov_b32_e32 v11, v10
	v_mov_b32_e32 v24, v12
	v_cmp_ne_u16_sdwa s4, v7, v41 src0_sel:BYTE_1 src1_sel:DWORD
	v_mov_b32_e32 v23, v11
	s_and_saveexec_b32 s17, s4
	s_cbranch_execz .LBB214_2437
; %bb.2432:                             ;   in Loop: Header=BB214_1571 Depth=1
	v_and_b32_sdwa v8, v48, v7 dst_sel:DWORD dst_unused:UNUSED_PAD src0_sel:DWORD src1_sel:BYTE_1
	v_mov_b32_e32 v13, v10
	v_mov_b32_e32 v24, v14
	s_mov_b32 s18, exec_lo
	v_and_b32_e32 v11, 0x7f, v8
	v_mov_b32_e32 v23, v13
	v_cmpx_ne_u32_e32 0x7f, v11
	s_cbranch_execz .LBB214_2436
; %bb.2433:                             ;   in Loop: Header=BB214_1571 Depth=1
	v_and_b32_e32 v9, 7, v8
	v_lshrrev_b32_e32 v8, 3, v11
	s_mov_b32 s19, exec_lo
	v_cmpx_gt_u32_e32 8, v11
; %bb.2434:                             ;   in Loop: Header=BB214_1571 Depth=1
	v_ffbh_u32_e32 v8, v9
	v_min_u32_e32 v8, 32, v8
	v_subrev_nc_u32_e32 v11, 28, v8
	v_sub_nc_u32_e32 v8, 29, v8
	v_lshlrev_b64 v[23:24], v11, v[9:10]
	v_and_b32_e32 v9, 7, v23
; %bb.2435:                             ;   in Loop: Header=BB214_1571 Depth=1
	s_or_b32 exec_lo, exec_lo, s19
	v_lshlrev_b32_e32 v11, 16, v7
	v_lshlrev_b32_e32 v9, 20, v9
	v_lshl_add_u32 v8, v8, 23, 0x3c000000
	v_mov_b32_e32 v23, v10
	v_and_b32_e32 v11, 0x80000000, v11
	v_or3_b32 v24, v9, v11, v8
.LBB214_2436:                           ;   in Loop: Header=BB214_1571 Depth=1
	s_or_b32 exec_lo, exec_lo, s18
.LBB214_2437:                           ;   in Loop: Header=BB214_1571 Depth=1
	s_or_b32 exec_lo, exec_lo, s17
.LBB214_2438:                           ;   in Loop: Header=BB214_1571 Depth=1
	s_or_b32 exec_lo, exec_lo, s15
	v_mov_b32_e32 v25, 0
	v_mov_b32_e32 v27, 0
	v_and_b32_sdwa v8, v7, v43 dst_sel:DWORD dst_unused:UNUSED_PAD src0_sel:WORD_1 src1_sel:DWORD
	v_mov_b32_e32 v26, 0
	v_mov_b32_e32 v28, 0
	s_mov_b32 s15, exec_lo
	v_cmpx_ne_u16_e32 0, v8
	s_cbranch_execz .LBB214_2446
; %bb.2439:                             ;   in Loop: Header=BB214_1571 Depth=1
	v_bfrev_b32_e32 v27, 1
	v_mov_b32_e32 v28, 0
	s_mov_b32 s17, exec_lo
	v_cmpx_ne_u16_e32 0x80, v8
	s_cbranch_execz .LBB214_2445
; %bb.2440:                             ;   in Loop: Header=BB214_1571 Depth=1
	v_mov_b32_e32 v27, 0x7f800001
	v_bfe_u32 v11, v7, 16, 7
	v_mov_b32_e32 v28, 0
	s_mov_b32 s18, exec_lo
	v_cmpx_ne_u32_e32 0x7f, v11
	s_cbranch_execz .LBB214_2444
; %bb.2441:                             ;   in Loop: Header=BB214_1571 Depth=1
	v_mov_b32_e32 v8, 7
	s_mov_b32 s19, exec_lo
	v_and_b32_sdwa v9, v7, v8 dst_sel:DWORD dst_unused:UNUSED_PAD src0_sel:WORD_1 src1_sel:DWORD
	v_lshrrev_b32_e32 v8, 3, v11
	v_cmpx_gt_u32_e32 8, v11
; %bb.2442:                             ;   in Loop: Header=BB214_1571 Depth=1
	v_ffbh_u32_e32 v8, v9
	v_min_u32_e32 v8, 32, v8
	v_subrev_nc_u32_e32 v11, 28, v8
	v_sub_nc_u32_e32 v8, 29, v8
	v_lshlrev_b64 v[27:28], v11, v[9:10]
	v_and_b32_e32 v9, 7, v27
; %bb.2443:                             ;   in Loop: Header=BB214_1571 Depth=1
	s_or_b32 exec_lo, exec_lo, s19
	v_mov_b32_e32 v11, 24
	v_lshlrev_b32_e32 v9, 20, v9
	v_lshl_add_u32 v8, v8, 23, 0x3c000000
	v_lshlrev_b32_sdwa v11, v11, v7 dst_sel:DWORD dst_unused:UNUSED_PAD src0_sel:DWORD src1_sel:WORD_1
	v_and_b32_e32 v11, 0x80000000, v11
	v_or3_b32 v9, v9, v11, v8
	v_mov_b32_e32 v28, v10
	v_mov_b32_e32 v27, v9
.LBB214_2444:                           ;   in Loop: Header=BB214_1571 Depth=1
	s_or_b32 exec_lo, exec_lo, s18
.LBB214_2445:                           ;   in Loop: Header=BB214_1571 Depth=1
	s_or_b32 exec_lo, exec_lo, s17
.LBB214_2446:                           ;   in Loop: Header=BB214_1571 Depth=1
	s_or_b32 exec_lo, exec_lo, s15
	s_mov_b32 s15, exec_lo
	v_cmpx_lt_u32_e32 0xffffff, v7
	s_cbranch_execz .LBB214_2454
; %bb.2447:                             ;   in Loop: Header=BB214_1571 Depth=1
	v_mov_b32_e32 v11, v10
	v_mov_b32_e32 v26, v12
	v_cmp_ne_u32_sdwa s4, v7, v41 src0_sel:BYTE_3 src1_sel:DWORD
	v_mov_b32_e32 v25, v11
	s_and_saveexec_b32 s17, s4
	s_cbranch_execz .LBB214_2453
; %bb.2448:                             ;   in Loop: Header=BB214_1571 Depth=1
	v_mov_b32_e32 v13, v10
	v_mov_b32_e32 v26, v14
	v_bfe_u32 v11, v7, 24, 7
	s_mov_b32 s18, exec_lo
	v_mov_b32_e32 v25, v13
	v_cmpx_ne_u32_e32 0x7f, v11
	s_cbranch_execz .LBB214_2452
; %bb.2449:                             ;   in Loop: Header=BB214_1571 Depth=1
	v_mov_b32_e32 v8, 7
	s_mov_b32 s19, exec_lo
	v_and_b32_sdwa v9, v7, v8 dst_sel:DWORD dst_unused:UNUSED_PAD src0_sel:BYTE_3 src1_sel:DWORD
	v_lshrrev_b32_e32 v8, 3, v11
	v_cmpx_gt_u32_e32 8, v11
; %bb.2450:                             ;   in Loop: Header=BB214_1571 Depth=1
	v_ffbh_u32_e32 v8, v9
	v_min_u32_e32 v8, 32, v8
	v_subrev_nc_u32_e32 v11, 28, v8
	v_sub_nc_u32_e32 v8, 29, v8
	v_lshlrev_b64 v[25:26], v11, v[9:10]
	v_and_b32_e32 v9, 7, v25
; %bb.2451:                             ;   in Loop: Header=BB214_1571 Depth=1
	s_or_b32 exec_lo, exec_lo, s19
	v_mov_b32_e32 v11, 24
	v_lshlrev_b32_e32 v9, 20, v9
	v_lshl_add_u32 v8, v8, 23, 0x3c000000
	v_mov_b32_e32 v25, v10
	v_lshlrev_b32_sdwa v7, v11, v7 dst_sel:DWORD dst_unused:UNUSED_PAD src0_sel:DWORD src1_sel:BYTE_3
	v_and_b32_e32 v7, 0x80000000, v7
	v_or3_b32 v26, v9, v7, v8
.LBB214_2452:                           ;   in Loop: Header=BB214_1571 Depth=1
	s_or_b32 exec_lo, exec_lo, s18
.LBB214_2453:                           ;   in Loop: Header=BB214_1571 Depth=1
	s_or_b32 exec_lo, exec_lo, s17
.LBB214_2454:                           ;   in Loop: Header=BB214_1571 Depth=1
	s_or_b32 exec_lo, exec_lo, s15
	v_or_b32_e32 v7, v24, v22
	v_or_b32_e32 v8, v23, v21
	;; [unrolled: 1-line block ×4, first 2 shown]
	v_mul_f32_e32 v108, v74, v7
	v_mul_f32_e32 v107, v74, v8
	;; [unrolled: 1-line block ×4, first 2 shown]
	s_and_saveexec_b32 s15, vcc_lo
	s_cbranch_execz .LBB214_2456
; %bb.2455:                             ;   in Loop: Header=BB214_1571 Depth=1
	buffer_load_dword v7, off, s[0:3], s32 offset:200 ; 4-byte Folded Reload
	s_waitcnt vmcnt(0)
	v_cmp_lt_i32_e64 s4, v79, v7
	v_cndmask_b32_e64 v107, 0, v107, s4
	v_cmp_lt_i32_e64 s4, v90, v7
	v_cndmask_b32_e64 v108, 0, v108, s4
	;; [unrolled: 2-line block ×4, first 2 shown]
.LBB214_2456:                           ;   in Loop: Header=BB214_1571 Depth=1
	s_or_b32 exec_lo, exec_lo, s15
	flat_load_dword v7, v[19:20] offset:1280
	v_mov_b32_e32 v23, 0
	v_mov_b32_e32 v21, 0
	;; [unrolled: 1-line block ×4, first 2 shown]
	s_waitcnt vmcnt(0) lgkmcnt(0)
	v_cmp_ne_u16_sdwa s4, v7, v10 src0_sel:BYTE_0 src1_sel:DWORD
	s_and_saveexec_b32 s15, s4
	s_cbranch_execz .LBB214_2464
; %bb.2457:                             ;   in Loop: Header=BB214_1571 Depth=1
	v_bfrev_b32_e32 v21, 1
	v_mov_b32_e32 v22, 0
	v_cmp_ne_u16_sdwa s4, v7, v41 src0_sel:BYTE_0 src1_sel:DWORD
	s_and_saveexec_b32 s17, s4
	s_cbranch_execz .LBB214_2463
; %bb.2458:                             ;   in Loop: Header=BB214_1571 Depth=1
	v_mov_b32_e32 v21, 0x7f800001
	v_and_b32_e32 v11, 0x7f, v7
	v_mov_b32_e32 v22, 0
	s_mov_b32 s18, exec_lo
	v_cmpx_ne_u32_e32 0x7f, v11
	s_cbranch_execz .LBB214_2462
; %bb.2459:                             ;   in Loop: Header=BB214_1571 Depth=1
	v_and_b32_e32 v9, 7, v7
	v_lshrrev_b32_e32 v8, 3, v11
	s_mov_b32 s19, exec_lo
	v_cmpx_gt_u32_e32 8, v11
; %bb.2460:                             ;   in Loop: Header=BB214_1571 Depth=1
	v_ffbh_u32_e32 v8, v9
	v_min_u32_e32 v8, 32, v8
	v_subrev_nc_u32_e32 v11, 28, v8
	v_sub_nc_u32_e32 v8, 29, v8
	v_lshlrev_b64 v[21:22], v11, v[9:10]
	v_and_b32_e32 v9, 7, v21
; %bb.2461:                             ;   in Loop: Header=BB214_1571 Depth=1
	s_or_b32 exec_lo, exec_lo, s19
	v_lshlrev_b32_e32 v11, 24, v7
	v_lshlrev_b32_e32 v9, 20, v9
	v_lshl_add_u32 v8, v8, 23, 0x3c000000
	v_and_b32_e32 v11, 0x80000000, v11
	v_or3_b32 v9, v9, v11, v8
	v_mov_b32_e32 v22, v10
	v_mov_b32_e32 v21, v9
.LBB214_2462:                           ;   in Loop: Header=BB214_1571 Depth=1
	s_or_b32 exec_lo, exec_lo, s18
.LBB214_2463:                           ;   in Loop: Header=BB214_1571 Depth=1
	s_or_b32 exec_lo, exec_lo, s17
.LBB214_2464:                           ;   in Loop: Header=BB214_1571 Depth=1
	s_or_b32 exec_lo, exec_lo, s15
	v_cmp_ne_u16_sdwa s4, v7, v10 src0_sel:BYTE_1 src1_sel:DWORD
	s_and_saveexec_b32 s15, s4
	s_cbranch_execz .LBB214_2472
; %bb.2465:                             ;   in Loop: Header=BB214_1571 Depth=1
	v_mov_b32_e32 v11, v10
	v_mov_b32_e32 v24, v12
	v_cmp_ne_u16_sdwa s4, v7, v41 src0_sel:BYTE_1 src1_sel:DWORD
	v_mov_b32_e32 v23, v11
	s_and_saveexec_b32 s17, s4
	s_cbranch_execz .LBB214_2471
; %bb.2466:                             ;   in Loop: Header=BB214_1571 Depth=1
	v_and_b32_sdwa v8, v48, v7 dst_sel:DWORD dst_unused:UNUSED_PAD src0_sel:DWORD src1_sel:BYTE_1
	v_mov_b32_e32 v13, v10
	v_mov_b32_e32 v24, v14
	s_mov_b32 s18, exec_lo
	v_and_b32_e32 v11, 0x7f, v8
	v_mov_b32_e32 v23, v13
	v_cmpx_ne_u32_e32 0x7f, v11
	s_cbranch_execz .LBB214_2470
; %bb.2467:                             ;   in Loop: Header=BB214_1571 Depth=1
	v_and_b32_e32 v9, 7, v8
	v_lshrrev_b32_e32 v8, 3, v11
	s_mov_b32 s19, exec_lo
	v_cmpx_gt_u32_e32 8, v11
; %bb.2468:                             ;   in Loop: Header=BB214_1571 Depth=1
	v_ffbh_u32_e32 v8, v9
	v_min_u32_e32 v8, 32, v8
	v_subrev_nc_u32_e32 v11, 28, v8
	v_sub_nc_u32_e32 v8, 29, v8
	v_lshlrev_b64 v[23:24], v11, v[9:10]
	v_and_b32_e32 v9, 7, v23
; %bb.2469:                             ;   in Loop: Header=BB214_1571 Depth=1
	s_or_b32 exec_lo, exec_lo, s19
	v_lshlrev_b32_e32 v11, 16, v7
	v_lshlrev_b32_e32 v9, 20, v9
	v_lshl_add_u32 v8, v8, 23, 0x3c000000
	v_mov_b32_e32 v23, v10
	v_and_b32_e32 v11, 0x80000000, v11
	v_or3_b32 v24, v9, v11, v8
.LBB214_2470:                           ;   in Loop: Header=BB214_1571 Depth=1
	s_or_b32 exec_lo, exec_lo, s18
.LBB214_2471:                           ;   in Loop: Header=BB214_1571 Depth=1
	s_or_b32 exec_lo, exec_lo, s17
.LBB214_2472:                           ;   in Loop: Header=BB214_1571 Depth=1
	s_or_b32 exec_lo, exec_lo, s15
	v_mov_b32_e32 v25, 0
	v_mov_b32_e32 v27, 0
	v_and_b32_sdwa v8, v7, v43 dst_sel:DWORD dst_unused:UNUSED_PAD src0_sel:WORD_1 src1_sel:DWORD
	v_mov_b32_e32 v26, 0
	v_mov_b32_e32 v28, 0
	s_mov_b32 s15, exec_lo
	v_cmpx_ne_u16_e32 0, v8
	s_cbranch_execz .LBB214_2480
; %bb.2473:                             ;   in Loop: Header=BB214_1571 Depth=1
	v_bfrev_b32_e32 v27, 1
	v_mov_b32_e32 v28, 0
	s_mov_b32 s17, exec_lo
	v_cmpx_ne_u16_e32 0x80, v8
	s_cbranch_execz .LBB214_2479
; %bb.2474:                             ;   in Loop: Header=BB214_1571 Depth=1
	v_mov_b32_e32 v27, 0x7f800001
	v_bfe_u32 v11, v7, 16, 7
	v_mov_b32_e32 v28, 0
	s_mov_b32 s18, exec_lo
	v_cmpx_ne_u32_e32 0x7f, v11
	s_cbranch_execz .LBB214_2478
; %bb.2475:                             ;   in Loop: Header=BB214_1571 Depth=1
	v_mov_b32_e32 v8, 7
	s_mov_b32 s19, exec_lo
	v_and_b32_sdwa v9, v7, v8 dst_sel:DWORD dst_unused:UNUSED_PAD src0_sel:WORD_1 src1_sel:DWORD
	v_lshrrev_b32_e32 v8, 3, v11
	v_cmpx_gt_u32_e32 8, v11
; %bb.2476:                             ;   in Loop: Header=BB214_1571 Depth=1
	v_ffbh_u32_e32 v8, v9
	v_min_u32_e32 v8, 32, v8
	v_subrev_nc_u32_e32 v11, 28, v8
	v_sub_nc_u32_e32 v8, 29, v8
	v_lshlrev_b64 v[27:28], v11, v[9:10]
	v_and_b32_e32 v9, 7, v27
; %bb.2477:                             ;   in Loop: Header=BB214_1571 Depth=1
	s_or_b32 exec_lo, exec_lo, s19
	v_mov_b32_e32 v11, 24
	v_lshlrev_b32_e32 v9, 20, v9
	v_lshl_add_u32 v8, v8, 23, 0x3c000000
	v_lshlrev_b32_sdwa v11, v11, v7 dst_sel:DWORD dst_unused:UNUSED_PAD src0_sel:DWORD src1_sel:WORD_1
	v_and_b32_e32 v11, 0x80000000, v11
	v_or3_b32 v9, v9, v11, v8
	v_mov_b32_e32 v28, v10
	v_mov_b32_e32 v27, v9
.LBB214_2478:                           ;   in Loop: Header=BB214_1571 Depth=1
	s_or_b32 exec_lo, exec_lo, s18
.LBB214_2479:                           ;   in Loop: Header=BB214_1571 Depth=1
	s_or_b32 exec_lo, exec_lo, s17
.LBB214_2480:                           ;   in Loop: Header=BB214_1571 Depth=1
	s_or_b32 exec_lo, exec_lo, s15
	s_mov_b32 s15, exec_lo
	v_cmpx_lt_u32_e32 0xffffff, v7
	s_cbranch_execz .LBB214_2488
; %bb.2481:                             ;   in Loop: Header=BB214_1571 Depth=1
	v_mov_b32_e32 v11, v10
	v_mov_b32_e32 v26, v12
	v_cmp_ne_u32_sdwa s4, v7, v41 src0_sel:BYTE_3 src1_sel:DWORD
	v_mov_b32_e32 v25, v11
	s_and_saveexec_b32 s17, s4
	s_cbranch_execz .LBB214_2487
; %bb.2482:                             ;   in Loop: Header=BB214_1571 Depth=1
	v_mov_b32_e32 v13, v10
	v_mov_b32_e32 v26, v14
	v_bfe_u32 v11, v7, 24, 7
	s_mov_b32 s18, exec_lo
	v_mov_b32_e32 v25, v13
	v_cmpx_ne_u32_e32 0x7f, v11
	s_cbranch_execz .LBB214_2486
; %bb.2483:                             ;   in Loop: Header=BB214_1571 Depth=1
	v_mov_b32_e32 v8, 7
	s_mov_b32 s19, exec_lo
	v_and_b32_sdwa v9, v7, v8 dst_sel:DWORD dst_unused:UNUSED_PAD src0_sel:BYTE_3 src1_sel:DWORD
	v_lshrrev_b32_e32 v8, 3, v11
	v_cmpx_gt_u32_e32 8, v11
; %bb.2484:                             ;   in Loop: Header=BB214_1571 Depth=1
	v_ffbh_u32_e32 v8, v9
	v_min_u32_e32 v8, 32, v8
	v_subrev_nc_u32_e32 v11, 28, v8
	v_sub_nc_u32_e32 v8, 29, v8
	v_lshlrev_b64 v[25:26], v11, v[9:10]
	v_and_b32_e32 v9, 7, v25
; %bb.2485:                             ;   in Loop: Header=BB214_1571 Depth=1
	s_or_b32 exec_lo, exec_lo, s19
	v_mov_b32_e32 v11, 24
	v_lshlrev_b32_e32 v9, 20, v9
	v_lshl_add_u32 v8, v8, 23, 0x3c000000
	v_mov_b32_e32 v25, v10
	v_lshlrev_b32_sdwa v7, v11, v7 dst_sel:DWORD dst_unused:UNUSED_PAD src0_sel:DWORD src1_sel:BYTE_3
	v_and_b32_e32 v7, 0x80000000, v7
	v_or3_b32 v26, v9, v7, v8
.LBB214_2486:                           ;   in Loop: Header=BB214_1571 Depth=1
	s_or_b32 exec_lo, exec_lo, s18
.LBB214_2487:                           ;   in Loop: Header=BB214_1571 Depth=1
	s_or_b32 exec_lo, exec_lo, s17
.LBB214_2488:                           ;   in Loop: Header=BB214_1571 Depth=1
	s_or_b32 exec_lo, exec_lo, s15
	v_or_b32_e32 v7, v24, v22
	v_or_b32_e32 v8, v23, v21
	;; [unrolled: 1-line block ×4, first 2 shown]
	v_mul_f32_e32 v120, v74, v7
	v_mul_f32_e32 v111, v74, v8
	;; [unrolled: 1-line block ×4, first 2 shown]
	s_and_saveexec_b32 s15, vcc_lo
	s_cbranch_execz .LBB214_2490
; %bb.2489:                             ;   in Loop: Header=BB214_1571 Depth=1
	buffer_load_dword v7, off, s[0:3], s32 offset:200 ; 4-byte Folded Reload
	s_waitcnt vmcnt(0)
	v_cmp_lt_i32_e64 s4, v79, v7
	v_cndmask_b32_e64 v111, 0, v111, s4
	v_cmp_lt_i32_e64 s4, v90, v7
	v_cndmask_b32_e64 v120, 0, v120, s4
	v_cmp_lt_i32_e64 s4, v89, v7
	v_cndmask_b32_e64 v110, 0, v110, s4
	v_cmp_lt_i32_e64 s4, v88, v7
	v_cndmask_b32_e64 v109, 0, v109, s4
.LBB214_2490:                           ;   in Loop: Header=BB214_1571 Depth=1
	s_or_b32 exec_lo, exec_lo, s15
	flat_load_dword v7, v[19:20] offset:1408
	v_mov_b32_e32 v23, 0
	v_mov_b32_e32 v21, 0
	v_mov_b32_e32 v24, 0
	v_mov_b32_e32 v22, 0
	s_waitcnt vmcnt(0) lgkmcnt(0)
	v_cmp_ne_u16_sdwa s4, v7, v10 src0_sel:BYTE_0 src1_sel:DWORD
	s_and_saveexec_b32 s15, s4
	s_cbranch_execz .LBB214_2498
; %bb.2491:                             ;   in Loop: Header=BB214_1571 Depth=1
	v_bfrev_b32_e32 v21, 1
	v_mov_b32_e32 v22, 0
	v_cmp_ne_u16_sdwa s4, v7, v41 src0_sel:BYTE_0 src1_sel:DWORD
	s_and_saveexec_b32 s17, s4
	s_cbranch_execz .LBB214_2497
; %bb.2492:                             ;   in Loop: Header=BB214_1571 Depth=1
	v_mov_b32_e32 v21, 0x7f800001
	v_and_b32_e32 v11, 0x7f, v7
	v_mov_b32_e32 v22, 0
	s_mov_b32 s18, exec_lo
	v_cmpx_ne_u32_e32 0x7f, v11
	s_cbranch_execz .LBB214_2496
; %bb.2493:                             ;   in Loop: Header=BB214_1571 Depth=1
	v_and_b32_e32 v9, 7, v7
	v_lshrrev_b32_e32 v8, 3, v11
	s_mov_b32 s19, exec_lo
	v_cmpx_gt_u32_e32 8, v11
; %bb.2494:                             ;   in Loop: Header=BB214_1571 Depth=1
	v_ffbh_u32_e32 v8, v9
	v_min_u32_e32 v8, 32, v8
	v_subrev_nc_u32_e32 v11, 28, v8
	v_sub_nc_u32_e32 v8, 29, v8
	v_lshlrev_b64 v[21:22], v11, v[9:10]
	v_and_b32_e32 v9, 7, v21
; %bb.2495:                             ;   in Loop: Header=BB214_1571 Depth=1
	s_or_b32 exec_lo, exec_lo, s19
	v_lshlrev_b32_e32 v11, 24, v7
	v_lshlrev_b32_e32 v9, 20, v9
	v_lshl_add_u32 v8, v8, 23, 0x3c000000
	v_and_b32_e32 v11, 0x80000000, v11
	v_or3_b32 v9, v9, v11, v8
	v_mov_b32_e32 v22, v10
	v_mov_b32_e32 v21, v9
.LBB214_2496:                           ;   in Loop: Header=BB214_1571 Depth=1
	s_or_b32 exec_lo, exec_lo, s18
.LBB214_2497:                           ;   in Loop: Header=BB214_1571 Depth=1
	s_or_b32 exec_lo, exec_lo, s17
.LBB214_2498:                           ;   in Loop: Header=BB214_1571 Depth=1
	s_or_b32 exec_lo, exec_lo, s15
	v_cmp_ne_u16_sdwa s4, v7, v10 src0_sel:BYTE_1 src1_sel:DWORD
	s_and_saveexec_b32 s15, s4
	s_cbranch_execz .LBB214_2506
; %bb.2499:                             ;   in Loop: Header=BB214_1571 Depth=1
	v_mov_b32_e32 v11, v10
	v_mov_b32_e32 v24, v12
	v_cmp_ne_u16_sdwa s4, v7, v41 src0_sel:BYTE_1 src1_sel:DWORD
	v_mov_b32_e32 v23, v11
	s_and_saveexec_b32 s17, s4
	s_cbranch_execz .LBB214_2505
; %bb.2500:                             ;   in Loop: Header=BB214_1571 Depth=1
	v_and_b32_sdwa v8, v48, v7 dst_sel:DWORD dst_unused:UNUSED_PAD src0_sel:DWORD src1_sel:BYTE_1
	v_mov_b32_e32 v13, v10
	v_mov_b32_e32 v24, v14
	s_mov_b32 s18, exec_lo
	v_and_b32_e32 v11, 0x7f, v8
	v_mov_b32_e32 v23, v13
	v_cmpx_ne_u32_e32 0x7f, v11
	s_cbranch_execz .LBB214_2504
; %bb.2501:                             ;   in Loop: Header=BB214_1571 Depth=1
	v_and_b32_e32 v9, 7, v8
	v_lshrrev_b32_e32 v8, 3, v11
	s_mov_b32 s19, exec_lo
	v_cmpx_gt_u32_e32 8, v11
; %bb.2502:                             ;   in Loop: Header=BB214_1571 Depth=1
	v_ffbh_u32_e32 v8, v9
	v_min_u32_e32 v8, 32, v8
	v_subrev_nc_u32_e32 v11, 28, v8
	v_sub_nc_u32_e32 v8, 29, v8
	v_lshlrev_b64 v[23:24], v11, v[9:10]
	v_and_b32_e32 v9, 7, v23
; %bb.2503:                             ;   in Loop: Header=BB214_1571 Depth=1
	s_or_b32 exec_lo, exec_lo, s19
	v_lshlrev_b32_e32 v11, 16, v7
	v_lshlrev_b32_e32 v9, 20, v9
	v_lshl_add_u32 v8, v8, 23, 0x3c000000
	v_mov_b32_e32 v23, v10
	v_and_b32_e32 v11, 0x80000000, v11
	v_or3_b32 v24, v9, v11, v8
.LBB214_2504:                           ;   in Loop: Header=BB214_1571 Depth=1
	s_or_b32 exec_lo, exec_lo, s18
.LBB214_2505:                           ;   in Loop: Header=BB214_1571 Depth=1
	s_or_b32 exec_lo, exec_lo, s17
.LBB214_2506:                           ;   in Loop: Header=BB214_1571 Depth=1
	s_or_b32 exec_lo, exec_lo, s15
	v_mov_b32_e32 v25, 0
	v_mov_b32_e32 v27, 0
	v_and_b32_sdwa v8, v7, v43 dst_sel:DWORD dst_unused:UNUSED_PAD src0_sel:WORD_1 src1_sel:DWORD
	v_mov_b32_e32 v26, 0
	v_mov_b32_e32 v28, 0
	s_mov_b32 s15, exec_lo
	v_cmpx_ne_u16_e32 0, v8
	s_cbranch_execz .LBB214_2514
; %bb.2507:                             ;   in Loop: Header=BB214_1571 Depth=1
	v_bfrev_b32_e32 v27, 1
	v_mov_b32_e32 v28, 0
	s_mov_b32 s17, exec_lo
	v_cmpx_ne_u16_e32 0x80, v8
	s_cbranch_execz .LBB214_2513
; %bb.2508:                             ;   in Loop: Header=BB214_1571 Depth=1
	v_mov_b32_e32 v27, 0x7f800001
	v_bfe_u32 v11, v7, 16, 7
	v_mov_b32_e32 v28, 0
	s_mov_b32 s18, exec_lo
	v_cmpx_ne_u32_e32 0x7f, v11
	s_cbranch_execz .LBB214_2512
; %bb.2509:                             ;   in Loop: Header=BB214_1571 Depth=1
	v_mov_b32_e32 v8, 7
	s_mov_b32 s19, exec_lo
	v_and_b32_sdwa v9, v7, v8 dst_sel:DWORD dst_unused:UNUSED_PAD src0_sel:WORD_1 src1_sel:DWORD
	v_lshrrev_b32_e32 v8, 3, v11
	v_cmpx_gt_u32_e32 8, v11
; %bb.2510:                             ;   in Loop: Header=BB214_1571 Depth=1
	v_ffbh_u32_e32 v8, v9
	v_min_u32_e32 v8, 32, v8
	v_subrev_nc_u32_e32 v11, 28, v8
	v_sub_nc_u32_e32 v8, 29, v8
	v_lshlrev_b64 v[27:28], v11, v[9:10]
	v_and_b32_e32 v9, 7, v27
; %bb.2511:                             ;   in Loop: Header=BB214_1571 Depth=1
	s_or_b32 exec_lo, exec_lo, s19
	v_mov_b32_e32 v11, 24
	v_lshlrev_b32_e32 v9, 20, v9
	v_lshl_add_u32 v8, v8, 23, 0x3c000000
	v_lshlrev_b32_sdwa v11, v11, v7 dst_sel:DWORD dst_unused:UNUSED_PAD src0_sel:DWORD src1_sel:WORD_1
	v_and_b32_e32 v11, 0x80000000, v11
	v_or3_b32 v9, v9, v11, v8
	v_mov_b32_e32 v28, v10
	v_mov_b32_e32 v27, v9
.LBB214_2512:                           ;   in Loop: Header=BB214_1571 Depth=1
	s_or_b32 exec_lo, exec_lo, s18
.LBB214_2513:                           ;   in Loop: Header=BB214_1571 Depth=1
	s_or_b32 exec_lo, exec_lo, s17
.LBB214_2514:                           ;   in Loop: Header=BB214_1571 Depth=1
	s_or_b32 exec_lo, exec_lo, s15
	s_mov_b32 s15, exec_lo
	v_cmpx_lt_u32_e32 0xffffff, v7
	s_cbranch_execz .LBB214_2522
; %bb.2515:                             ;   in Loop: Header=BB214_1571 Depth=1
	v_mov_b32_e32 v11, v10
	v_mov_b32_e32 v26, v12
	v_cmp_ne_u32_sdwa s4, v7, v41 src0_sel:BYTE_3 src1_sel:DWORD
	v_mov_b32_e32 v25, v11
	s_and_saveexec_b32 s17, s4
	s_cbranch_execz .LBB214_2521
; %bb.2516:                             ;   in Loop: Header=BB214_1571 Depth=1
	v_mov_b32_e32 v13, v10
	v_mov_b32_e32 v26, v14
	v_bfe_u32 v11, v7, 24, 7
	s_mov_b32 s18, exec_lo
	v_mov_b32_e32 v25, v13
	v_cmpx_ne_u32_e32 0x7f, v11
	s_cbranch_execz .LBB214_2520
; %bb.2517:                             ;   in Loop: Header=BB214_1571 Depth=1
	v_mov_b32_e32 v8, 7
	s_mov_b32 s19, exec_lo
	v_and_b32_sdwa v9, v7, v8 dst_sel:DWORD dst_unused:UNUSED_PAD src0_sel:BYTE_3 src1_sel:DWORD
	v_lshrrev_b32_e32 v8, 3, v11
	v_cmpx_gt_u32_e32 8, v11
; %bb.2518:                             ;   in Loop: Header=BB214_1571 Depth=1
	v_ffbh_u32_e32 v8, v9
	v_min_u32_e32 v8, 32, v8
	v_subrev_nc_u32_e32 v11, 28, v8
	v_sub_nc_u32_e32 v8, 29, v8
	v_lshlrev_b64 v[25:26], v11, v[9:10]
	v_and_b32_e32 v9, 7, v25
; %bb.2519:                             ;   in Loop: Header=BB214_1571 Depth=1
	s_or_b32 exec_lo, exec_lo, s19
	v_mov_b32_e32 v11, 24
	v_lshlrev_b32_e32 v9, 20, v9
	v_lshl_add_u32 v8, v8, 23, 0x3c000000
	v_mov_b32_e32 v25, v10
	v_lshlrev_b32_sdwa v7, v11, v7 dst_sel:DWORD dst_unused:UNUSED_PAD src0_sel:DWORD src1_sel:BYTE_3
	v_and_b32_e32 v7, 0x80000000, v7
	v_or3_b32 v26, v9, v7, v8
.LBB214_2520:                           ;   in Loop: Header=BB214_1571 Depth=1
	s_or_b32 exec_lo, exec_lo, s18
.LBB214_2521:                           ;   in Loop: Header=BB214_1571 Depth=1
	s_or_b32 exec_lo, exec_lo, s17
.LBB214_2522:                           ;   in Loop: Header=BB214_1571 Depth=1
	s_or_b32 exec_lo, exec_lo, s15
	v_or_b32_e32 v7, v24, v22
	v_or_b32_e32 v8, v23, v21
	;; [unrolled: 1-line block ×4, first 2 shown]
	v_mul_f32_e32 v124, v74, v7
	v_mul_f32_e32 v123, v74, v8
	;; [unrolled: 1-line block ×4, first 2 shown]
	s_and_saveexec_b32 s15, vcc_lo
	s_cbranch_execz .LBB214_2524
; %bb.2523:                             ;   in Loop: Header=BB214_1571 Depth=1
	buffer_load_dword v7, off, s[0:3], s32 offset:200 ; 4-byte Folded Reload
	s_waitcnt vmcnt(0)
	v_cmp_lt_i32_e64 s4, v79, v7
	v_cndmask_b32_e64 v123, 0, v123, s4
	v_cmp_lt_i32_e64 s4, v90, v7
	v_cndmask_b32_e64 v124, 0, v124, s4
	;; [unrolled: 2-line block ×4, first 2 shown]
.LBB214_2524:                           ;   in Loop: Header=BB214_1571 Depth=1
	s_or_b32 exec_lo, exec_lo, s15
	flat_load_dword v7, v[19:20] offset:1536
	v_mov_b32_e32 v23, 0
	v_mov_b32_e32 v21, 0
	;; [unrolled: 1-line block ×4, first 2 shown]
	s_waitcnt vmcnt(0) lgkmcnt(0)
	v_cmp_ne_u16_sdwa s4, v7, v10 src0_sel:BYTE_0 src1_sel:DWORD
	s_and_saveexec_b32 s15, s4
	s_cbranch_execz .LBB214_2532
; %bb.2525:                             ;   in Loop: Header=BB214_1571 Depth=1
	v_bfrev_b32_e32 v21, 1
	v_mov_b32_e32 v22, 0
	v_cmp_ne_u16_sdwa s4, v7, v41 src0_sel:BYTE_0 src1_sel:DWORD
	s_and_saveexec_b32 s17, s4
	s_cbranch_execz .LBB214_2531
; %bb.2526:                             ;   in Loop: Header=BB214_1571 Depth=1
	v_mov_b32_e32 v21, 0x7f800001
	v_and_b32_e32 v11, 0x7f, v7
	v_mov_b32_e32 v22, 0
	s_mov_b32 s18, exec_lo
	v_cmpx_ne_u32_e32 0x7f, v11
	s_cbranch_execz .LBB214_2530
; %bb.2527:                             ;   in Loop: Header=BB214_1571 Depth=1
	v_and_b32_e32 v9, 7, v7
	v_lshrrev_b32_e32 v8, 3, v11
	s_mov_b32 s19, exec_lo
	v_cmpx_gt_u32_e32 8, v11
; %bb.2528:                             ;   in Loop: Header=BB214_1571 Depth=1
	v_ffbh_u32_e32 v8, v9
	v_min_u32_e32 v8, 32, v8
	v_subrev_nc_u32_e32 v11, 28, v8
	v_sub_nc_u32_e32 v8, 29, v8
	v_lshlrev_b64 v[21:22], v11, v[9:10]
	v_and_b32_e32 v9, 7, v21
; %bb.2529:                             ;   in Loop: Header=BB214_1571 Depth=1
	s_or_b32 exec_lo, exec_lo, s19
	v_lshlrev_b32_e32 v11, 24, v7
	v_lshlrev_b32_e32 v9, 20, v9
	v_lshl_add_u32 v8, v8, 23, 0x3c000000
	v_and_b32_e32 v11, 0x80000000, v11
	v_or3_b32 v9, v9, v11, v8
	v_mov_b32_e32 v22, v10
	v_mov_b32_e32 v21, v9
.LBB214_2530:                           ;   in Loop: Header=BB214_1571 Depth=1
	s_or_b32 exec_lo, exec_lo, s18
.LBB214_2531:                           ;   in Loop: Header=BB214_1571 Depth=1
	s_or_b32 exec_lo, exec_lo, s17
.LBB214_2532:                           ;   in Loop: Header=BB214_1571 Depth=1
	s_or_b32 exec_lo, exec_lo, s15
	v_cmp_ne_u16_sdwa s4, v7, v10 src0_sel:BYTE_1 src1_sel:DWORD
	s_and_saveexec_b32 s15, s4
	s_cbranch_execz .LBB214_2540
; %bb.2533:                             ;   in Loop: Header=BB214_1571 Depth=1
	v_mov_b32_e32 v11, v10
	v_mov_b32_e32 v24, v12
	v_cmp_ne_u16_sdwa s4, v7, v41 src0_sel:BYTE_1 src1_sel:DWORD
	v_mov_b32_e32 v23, v11
	s_and_saveexec_b32 s17, s4
	s_cbranch_execz .LBB214_2539
; %bb.2534:                             ;   in Loop: Header=BB214_1571 Depth=1
	v_and_b32_sdwa v8, v48, v7 dst_sel:DWORD dst_unused:UNUSED_PAD src0_sel:DWORD src1_sel:BYTE_1
	v_mov_b32_e32 v13, v10
	v_mov_b32_e32 v24, v14
	s_mov_b32 s18, exec_lo
	v_and_b32_e32 v11, 0x7f, v8
	v_mov_b32_e32 v23, v13
	v_cmpx_ne_u32_e32 0x7f, v11
	s_cbranch_execz .LBB214_2538
; %bb.2535:                             ;   in Loop: Header=BB214_1571 Depth=1
	v_and_b32_e32 v9, 7, v8
	v_lshrrev_b32_e32 v8, 3, v11
	s_mov_b32 s19, exec_lo
	v_cmpx_gt_u32_e32 8, v11
; %bb.2536:                             ;   in Loop: Header=BB214_1571 Depth=1
	v_ffbh_u32_e32 v8, v9
	v_min_u32_e32 v8, 32, v8
	v_subrev_nc_u32_e32 v11, 28, v8
	v_sub_nc_u32_e32 v8, 29, v8
	v_lshlrev_b64 v[23:24], v11, v[9:10]
	v_and_b32_e32 v9, 7, v23
; %bb.2537:                             ;   in Loop: Header=BB214_1571 Depth=1
	s_or_b32 exec_lo, exec_lo, s19
	v_lshlrev_b32_e32 v11, 16, v7
	v_lshlrev_b32_e32 v9, 20, v9
	v_lshl_add_u32 v8, v8, 23, 0x3c000000
	v_mov_b32_e32 v23, v10
	v_and_b32_e32 v11, 0x80000000, v11
	v_or3_b32 v24, v9, v11, v8
.LBB214_2538:                           ;   in Loop: Header=BB214_1571 Depth=1
	s_or_b32 exec_lo, exec_lo, s18
.LBB214_2539:                           ;   in Loop: Header=BB214_1571 Depth=1
	s_or_b32 exec_lo, exec_lo, s17
.LBB214_2540:                           ;   in Loop: Header=BB214_1571 Depth=1
	s_or_b32 exec_lo, exec_lo, s15
	v_mov_b32_e32 v25, 0
	v_mov_b32_e32 v27, 0
	v_and_b32_sdwa v8, v7, v43 dst_sel:DWORD dst_unused:UNUSED_PAD src0_sel:WORD_1 src1_sel:DWORD
	v_mov_b32_e32 v26, 0
	v_mov_b32_e32 v28, 0
	s_mov_b32 s15, exec_lo
	v_cmpx_ne_u16_e32 0, v8
	s_cbranch_execz .LBB214_2548
; %bb.2541:                             ;   in Loop: Header=BB214_1571 Depth=1
	v_bfrev_b32_e32 v27, 1
	v_mov_b32_e32 v28, 0
	s_mov_b32 s17, exec_lo
	v_cmpx_ne_u16_e32 0x80, v8
	s_cbranch_execz .LBB214_2547
; %bb.2542:                             ;   in Loop: Header=BB214_1571 Depth=1
	v_mov_b32_e32 v27, 0x7f800001
	v_bfe_u32 v11, v7, 16, 7
	v_mov_b32_e32 v28, 0
	s_mov_b32 s18, exec_lo
	v_cmpx_ne_u32_e32 0x7f, v11
	s_cbranch_execz .LBB214_2546
; %bb.2543:                             ;   in Loop: Header=BB214_1571 Depth=1
	v_mov_b32_e32 v8, 7
	s_mov_b32 s19, exec_lo
	v_and_b32_sdwa v9, v7, v8 dst_sel:DWORD dst_unused:UNUSED_PAD src0_sel:WORD_1 src1_sel:DWORD
	v_lshrrev_b32_e32 v8, 3, v11
	v_cmpx_gt_u32_e32 8, v11
; %bb.2544:                             ;   in Loop: Header=BB214_1571 Depth=1
	v_ffbh_u32_e32 v8, v9
	v_min_u32_e32 v8, 32, v8
	v_subrev_nc_u32_e32 v11, 28, v8
	v_sub_nc_u32_e32 v8, 29, v8
	v_lshlrev_b64 v[27:28], v11, v[9:10]
	v_and_b32_e32 v9, 7, v27
; %bb.2545:                             ;   in Loop: Header=BB214_1571 Depth=1
	s_or_b32 exec_lo, exec_lo, s19
	v_mov_b32_e32 v11, 24
	v_lshlrev_b32_e32 v9, 20, v9
	v_lshl_add_u32 v8, v8, 23, 0x3c000000
	v_lshlrev_b32_sdwa v11, v11, v7 dst_sel:DWORD dst_unused:UNUSED_PAD src0_sel:DWORD src1_sel:WORD_1
	v_and_b32_e32 v11, 0x80000000, v11
	v_or3_b32 v9, v9, v11, v8
	v_mov_b32_e32 v28, v10
	v_mov_b32_e32 v27, v9
.LBB214_2546:                           ;   in Loop: Header=BB214_1571 Depth=1
	s_or_b32 exec_lo, exec_lo, s18
.LBB214_2547:                           ;   in Loop: Header=BB214_1571 Depth=1
	s_or_b32 exec_lo, exec_lo, s17
.LBB214_2548:                           ;   in Loop: Header=BB214_1571 Depth=1
	s_or_b32 exec_lo, exec_lo, s15
	s_mov_b32 s15, exec_lo
	v_cmpx_lt_u32_e32 0xffffff, v7
	s_cbranch_execz .LBB214_2556
; %bb.2549:                             ;   in Loop: Header=BB214_1571 Depth=1
	v_mov_b32_e32 v11, v10
	v_mov_b32_e32 v26, v12
	v_cmp_ne_u32_sdwa s4, v7, v41 src0_sel:BYTE_3 src1_sel:DWORD
	v_mov_b32_e32 v25, v11
	s_and_saveexec_b32 s17, s4
	s_cbranch_execz .LBB214_2555
; %bb.2550:                             ;   in Loop: Header=BB214_1571 Depth=1
	v_mov_b32_e32 v13, v10
	v_mov_b32_e32 v26, v14
	v_bfe_u32 v11, v7, 24, 7
	s_mov_b32 s18, exec_lo
	v_mov_b32_e32 v25, v13
	v_cmpx_ne_u32_e32 0x7f, v11
	s_cbranch_execz .LBB214_2554
; %bb.2551:                             ;   in Loop: Header=BB214_1571 Depth=1
	v_mov_b32_e32 v8, 7
	s_mov_b32 s19, exec_lo
	v_and_b32_sdwa v9, v7, v8 dst_sel:DWORD dst_unused:UNUSED_PAD src0_sel:BYTE_3 src1_sel:DWORD
	v_lshrrev_b32_e32 v8, 3, v11
	v_cmpx_gt_u32_e32 8, v11
; %bb.2552:                             ;   in Loop: Header=BB214_1571 Depth=1
	v_ffbh_u32_e32 v8, v9
	v_min_u32_e32 v8, 32, v8
	v_subrev_nc_u32_e32 v11, 28, v8
	v_sub_nc_u32_e32 v8, 29, v8
	v_lshlrev_b64 v[25:26], v11, v[9:10]
	v_and_b32_e32 v9, 7, v25
; %bb.2553:                             ;   in Loop: Header=BB214_1571 Depth=1
	s_or_b32 exec_lo, exec_lo, s19
	v_mov_b32_e32 v11, 24
	v_lshlrev_b32_e32 v9, 20, v9
	v_lshl_add_u32 v8, v8, 23, 0x3c000000
	v_mov_b32_e32 v25, v10
	v_lshlrev_b32_sdwa v7, v11, v7 dst_sel:DWORD dst_unused:UNUSED_PAD src0_sel:DWORD src1_sel:BYTE_3
	v_and_b32_e32 v7, 0x80000000, v7
	v_or3_b32 v26, v9, v7, v8
.LBB214_2554:                           ;   in Loop: Header=BB214_1571 Depth=1
	s_or_b32 exec_lo, exec_lo, s18
.LBB214_2555:                           ;   in Loop: Header=BB214_1571 Depth=1
	s_or_b32 exec_lo, exec_lo, s17
.LBB214_2556:                           ;   in Loop: Header=BB214_1571 Depth=1
	s_or_b32 exec_lo, exec_lo, s15
	v_or_b32_e32 v7, v24, v22
	v_or_b32_e32 v8, v23, v21
	;; [unrolled: 1-line block ×4, first 2 shown]
	v_mul_f32_e32 v31, v74, v7
	v_mul_f32_e32 v127, v74, v8
	;; [unrolled: 1-line block ×4, first 2 shown]
	s_and_saveexec_b32 s15, vcc_lo
	s_cbranch_execz .LBB214_2558
; %bb.2557:                             ;   in Loop: Header=BB214_1571 Depth=1
	buffer_load_dword v7, off, s[0:3], s32 offset:200 ; 4-byte Folded Reload
	s_waitcnt vmcnt(0)
	v_cmp_lt_i32_e64 s4, v79, v7
	v_cndmask_b32_e64 v127, 0, v127, s4
	v_cmp_lt_i32_e64 s4, v90, v7
	v_cndmask_b32_e64 v31, 0, v31, s4
	;; [unrolled: 2-line block ×4, first 2 shown]
.LBB214_2558:                           ;   in Loop: Header=BB214_1571 Depth=1
	s_or_b32 exec_lo, exec_lo, s15
	flat_load_dword v7, v[19:20] offset:1664
	v_mov_b32_e32 v23, 0
	v_mov_b32_e32 v21, 0
	;; [unrolled: 1-line block ×4, first 2 shown]
	s_waitcnt vmcnt(0) lgkmcnt(0)
	v_cmp_ne_u16_sdwa s4, v7, v10 src0_sel:BYTE_0 src1_sel:DWORD
	s_and_saveexec_b32 s15, s4
	s_cbranch_execz .LBB214_2566
; %bb.2559:                             ;   in Loop: Header=BB214_1571 Depth=1
	v_bfrev_b32_e32 v21, 1
	v_mov_b32_e32 v22, 0
	v_cmp_ne_u16_sdwa s4, v7, v41 src0_sel:BYTE_0 src1_sel:DWORD
	s_and_saveexec_b32 s17, s4
	s_cbranch_execz .LBB214_2565
; %bb.2560:                             ;   in Loop: Header=BB214_1571 Depth=1
	v_mov_b32_e32 v21, 0x7f800001
	v_and_b32_e32 v11, 0x7f, v7
	v_mov_b32_e32 v22, 0
	s_mov_b32 s18, exec_lo
	v_cmpx_ne_u32_e32 0x7f, v11
	s_cbranch_execz .LBB214_2564
; %bb.2561:                             ;   in Loop: Header=BB214_1571 Depth=1
	v_and_b32_e32 v9, 7, v7
	v_lshrrev_b32_e32 v8, 3, v11
	s_mov_b32 s19, exec_lo
	v_cmpx_gt_u32_e32 8, v11
; %bb.2562:                             ;   in Loop: Header=BB214_1571 Depth=1
	v_ffbh_u32_e32 v8, v9
	v_min_u32_e32 v8, 32, v8
	v_subrev_nc_u32_e32 v11, 28, v8
	v_sub_nc_u32_e32 v8, 29, v8
	v_lshlrev_b64 v[21:22], v11, v[9:10]
	v_and_b32_e32 v9, 7, v21
; %bb.2563:                             ;   in Loop: Header=BB214_1571 Depth=1
	s_or_b32 exec_lo, exec_lo, s19
	v_lshlrev_b32_e32 v11, 24, v7
	v_lshlrev_b32_e32 v9, 20, v9
	v_lshl_add_u32 v8, v8, 23, 0x3c000000
	v_and_b32_e32 v11, 0x80000000, v11
	v_or3_b32 v9, v9, v11, v8
	v_mov_b32_e32 v22, v10
	v_mov_b32_e32 v21, v9
.LBB214_2564:                           ;   in Loop: Header=BB214_1571 Depth=1
	s_or_b32 exec_lo, exec_lo, s18
.LBB214_2565:                           ;   in Loop: Header=BB214_1571 Depth=1
	s_or_b32 exec_lo, exec_lo, s17
.LBB214_2566:                           ;   in Loop: Header=BB214_1571 Depth=1
	s_or_b32 exec_lo, exec_lo, s15
	v_cmp_ne_u16_sdwa s4, v7, v10 src0_sel:BYTE_1 src1_sel:DWORD
	s_and_saveexec_b32 s15, s4
	s_cbranch_execz .LBB214_2574
; %bb.2567:                             ;   in Loop: Header=BB214_1571 Depth=1
	v_mov_b32_e32 v11, v10
	v_mov_b32_e32 v24, v12
	v_cmp_ne_u16_sdwa s4, v7, v41 src0_sel:BYTE_1 src1_sel:DWORD
	v_mov_b32_e32 v23, v11
	s_and_saveexec_b32 s17, s4
	s_cbranch_execz .LBB214_2573
; %bb.2568:                             ;   in Loop: Header=BB214_1571 Depth=1
	v_and_b32_sdwa v8, v48, v7 dst_sel:DWORD dst_unused:UNUSED_PAD src0_sel:DWORD src1_sel:BYTE_1
	v_mov_b32_e32 v13, v10
	v_mov_b32_e32 v24, v14
	s_mov_b32 s18, exec_lo
	v_and_b32_e32 v11, 0x7f, v8
	v_mov_b32_e32 v23, v13
	v_cmpx_ne_u32_e32 0x7f, v11
	s_cbranch_execz .LBB214_2572
; %bb.2569:                             ;   in Loop: Header=BB214_1571 Depth=1
	v_and_b32_e32 v9, 7, v8
	v_lshrrev_b32_e32 v8, 3, v11
	s_mov_b32 s19, exec_lo
	v_cmpx_gt_u32_e32 8, v11
; %bb.2570:                             ;   in Loop: Header=BB214_1571 Depth=1
	v_ffbh_u32_e32 v8, v9
	v_min_u32_e32 v8, 32, v8
	v_subrev_nc_u32_e32 v11, 28, v8
	v_sub_nc_u32_e32 v8, 29, v8
	v_lshlrev_b64 v[23:24], v11, v[9:10]
	v_and_b32_e32 v9, 7, v23
; %bb.2571:                             ;   in Loop: Header=BB214_1571 Depth=1
	s_or_b32 exec_lo, exec_lo, s19
	v_lshlrev_b32_e32 v11, 16, v7
	v_lshlrev_b32_e32 v9, 20, v9
	v_lshl_add_u32 v8, v8, 23, 0x3c000000
	v_mov_b32_e32 v23, v10
	v_and_b32_e32 v11, 0x80000000, v11
	v_or3_b32 v24, v9, v11, v8
.LBB214_2572:                           ;   in Loop: Header=BB214_1571 Depth=1
	s_or_b32 exec_lo, exec_lo, s18
.LBB214_2573:                           ;   in Loop: Header=BB214_1571 Depth=1
	s_or_b32 exec_lo, exec_lo, s17
.LBB214_2574:                           ;   in Loop: Header=BB214_1571 Depth=1
	s_or_b32 exec_lo, exec_lo, s15
	v_mov_b32_e32 v25, 0
	v_mov_b32_e32 v27, 0
	v_and_b32_sdwa v8, v7, v43 dst_sel:DWORD dst_unused:UNUSED_PAD src0_sel:WORD_1 src1_sel:DWORD
	v_mov_b32_e32 v26, 0
	v_mov_b32_e32 v28, 0
	s_mov_b32 s15, exec_lo
	v_cmpx_ne_u16_e32 0, v8
	s_cbranch_execz .LBB214_2582
; %bb.2575:                             ;   in Loop: Header=BB214_1571 Depth=1
	v_bfrev_b32_e32 v27, 1
	v_mov_b32_e32 v28, 0
	s_mov_b32 s17, exec_lo
	v_cmpx_ne_u16_e32 0x80, v8
	s_cbranch_execz .LBB214_2581
; %bb.2576:                             ;   in Loop: Header=BB214_1571 Depth=1
	v_mov_b32_e32 v27, 0x7f800001
	v_bfe_u32 v11, v7, 16, 7
	v_mov_b32_e32 v28, 0
	s_mov_b32 s18, exec_lo
	v_cmpx_ne_u32_e32 0x7f, v11
	s_cbranch_execz .LBB214_2580
; %bb.2577:                             ;   in Loop: Header=BB214_1571 Depth=1
	v_mov_b32_e32 v8, 7
	s_mov_b32 s19, exec_lo
	v_and_b32_sdwa v9, v7, v8 dst_sel:DWORD dst_unused:UNUSED_PAD src0_sel:WORD_1 src1_sel:DWORD
	v_lshrrev_b32_e32 v8, 3, v11
	v_cmpx_gt_u32_e32 8, v11
; %bb.2578:                             ;   in Loop: Header=BB214_1571 Depth=1
	v_ffbh_u32_e32 v8, v9
	v_min_u32_e32 v8, 32, v8
	v_subrev_nc_u32_e32 v11, 28, v8
	v_sub_nc_u32_e32 v8, 29, v8
	v_lshlrev_b64 v[27:28], v11, v[9:10]
	v_and_b32_e32 v9, 7, v27
; %bb.2579:                             ;   in Loop: Header=BB214_1571 Depth=1
	s_or_b32 exec_lo, exec_lo, s19
	v_mov_b32_e32 v11, 24
	v_lshlrev_b32_e32 v9, 20, v9
	v_lshl_add_u32 v8, v8, 23, 0x3c000000
	v_lshlrev_b32_sdwa v11, v11, v7 dst_sel:DWORD dst_unused:UNUSED_PAD src0_sel:DWORD src1_sel:WORD_1
	v_and_b32_e32 v11, 0x80000000, v11
	v_or3_b32 v9, v9, v11, v8
	v_mov_b32_e32 v28, v10
	v_mov_b32_e32 v27, v9
.LBB214_2580:                           ;   in Loop: Header=BB214_1571 Depth=1
	s_or_b32 exec_lo, exec_lo, s18
.LBB214_2581:                           ;   in Loop: Header=BB214_1571 Depth=1
	s_or_b32 exec_lo, exec_lo, s17
.LBB214_2582:                           ;   in Loop: Header=BB214_1571 Depth=1
	s_or_b32 exec_lo, exec_lo, s15
	s_mov_b32 s15, exec_lo
	v_cmpx_lt_u32_e32 0xffffff, v7
	s_cbranch_execz .LBB214_2590
; %bb.2583:                             ;   in Loop: Header=BB214_1571 Depth=1
	v_mov_b32_e32 v11, v10
	v_mov_b32_e32 v26, v12
	v_cmp_ne_u32_sdwa s4, v7, v41 src0_sel:BYTE_3 src1_sel:DWORD
	v_mov_b32_e32 v25, v11
	s_and_saveexec_b32 s17, s4
	s_cbranch_execz .LBB214_2589
; %bb.2584:                             ;   in Loop: Header=BB214_1571 Depth=1
	v_mov_b32_e32 v13, v10
	v_mov_b32_e32 v26, v14
	v_bfe_u32 v11, v7, 24, 7
	s_mov_b32 s18, exec_lo
	v_mov_b32_e32 v25, v13
	v_cmpx_ne_u32_e32 0x7f, v11
	s_cbranch_execz .LBB214_2588
; %bb.2585:                             ;   in Loop: Header=BB214_1571 Depth=1
	v_mov_b32_e32 v8, 7
	s_mov_b32 s19, exec_lo
	v_and_b32_sdwa v9, v7, v8 dst_sel:DWORD dst_unused:UNUSED_PAD src0_sel:BYTE_3 src1_sel:DWORD
	v_lshrrev_b32_e32 v8, 3, v11
	v_cmpx_gt_u32_e32 8, v11
; %bb.2586:                             ;   in Loop: Header=BB214_1571 Depth=1
	v_ffbh_u32_e32 v8, v9
	v_min_u32_e32 v8, 32, v8
	v_subrev_nc_u32_e32 v11, 28, v8
	v_sub_nc_u32_e32 v8, 29, v8
	v_lshlrev_b64 v[25:26], v11, v[9:10]
	v_and_b32_e32 v9, 7, v25
; %bb.2587:                             ;   in Loop: Header=BB214_1571 Depth=1
	s_or_b32 exec_lo, exec_lo, s19
	v_mov_b32_e32 v11, 24
	v_lshlrev_b32_e32 v9, 20, v9
	v_lshl_add_u32 v8, v8, 23, 0x3c000000
	v_mov_b32_e32 v25, v10
	v_lshlrev_b32_sdwa v7, v11, v7 dst_sel:DWORD dst_unused:UNUSED_PAD src0_sel:DWORD src1_sel:BYTE_3
	v_and_b32_e32 v7, 0x80000000, v7
	v_or3_b32 v26, v9, v7, v8
.LBB214_2588:                           ;   in Loop: Header=BB214_1571 Depth=1
	s_or_b32 exec_lo, exec_lo, s18
.LBB214_2589:                           ;   in Loop: Header=BB214_1571 Depth=1
	s_or_b32 exec_lo, exec_lo, s17
.LBB214_2590:                           ;   in Loop: Header=BB214_1571 Depth=1
	s_or_b32 exec_lo, exec_lo, s15
	v_or_b32_e32 v7, v24, v22
	v_or_b32_e32 v8, v23, v21
	;; [unrolled: 1-line block ×4, first 2 shown]
	v_mul_f32_e32 v47, v74, v7
	v_mul_f32_e32 v46, v74, v8
	;; [unrolled: 1-line block ×4, first 2 shown]
	s_and_saveexec_b32 s15, vcc_lo
	s_cbranch_execz .LBB214_2592
; %bb.2591:                             ;   in Loop: Header=BB214_1571 Depth=1
	buffer_load_dword v7, off, s[0:3], s32 offset:200 ; 4-byte Folded Reload
	s_waitcnt vmcnt(0)
	v_cmp_lt_i32_e64 s4, v79, v7
	v_cndmask_b32_e64 v46, 0, v46, s4
	v_cmp_lt_i32_e64 s4, v90, v7
	v_cndmask_b32_e64 v47, 0, v47, s4
	;; [unrolled: 2-line block ×4, first 2 shown]
.LBB214_2592:                           ;   in Loop: Header=BB214_1571 Depth=1
	s_or_b32 exec_lo, exec_lo, s15
	flat_load_dword v7, v[19:20] offset:1792
	v_mov_b32_e32 v21, 0
	v_mov_b32_e32 v19, 0
	;; [unrolled: 1-line block ×4, first 2 shown]
	s_waitcnt vmcnt(0) lgkmcnt(0)
	v_cmp_ne_u16_sdwa s4, v7, v10 src0_sel:BYTE_0 src1_sel:DWORD
	s_and_saveexec_b32 s15, s4
	s_cbranch_execz .LBB214_2600
; %bb.2593:                             ;   in Loop: Header=BB214_1571 Depth=1
	v_bfrev_b32_e32 v19, 1
	v_mov_b32_e32 v20, 0
	v_cmp_ne_u16_sdwa s4, v7, v41 src0_sel:BYTE_0 src1_sel:DWORD
	s_and_saveexec_b32 s17, s4
	s_cbranch_execz .LBB214_2599
; %bb.2594:                             ;   in Loop: Header=BB214_1571 Depth=1
	v_mov_b32_e32 v19, 0x7f800001
	v_and_b32_e32 v11, 0x7f, v7
	v_mov_b32_e32 v20, 0
	s_mov_b32 s18, exec_lo
	v_cmpx_ne_u32_e32 0x7f, v11
	s_cbranch_execz .LBB214_2598
; %bb.2595:                             ;   in Loop: Header=BB214_1571 Depth=1
	v_and_b32_e32 v9, 7, v7
	v_lshrrev_b32_e32 v8, 3, v11
	s_mov_b32 s19, exec_lo
	v_cmpx_gt_u32_e32 8, v11
; %bb.2596:                             ;   in Loop: Header=BB214_1571 Depth=1
	v_ffbh_u32_e32 v8, v9
	v_min_u32_e32 v8, 32, v8
	v_subrev_nc_u32_e32 v11, 28, v8
	v_sub_nc_u32_e32 v8, 29, v8
	v_lshlrev_b64 v[19:20], v11, v[9:10]
	v_and_b32_e32 v9, 7, v19
; %bb.2597:                             ;   in Loop: Header=BB214_1571 Depth=1
	s_or_b32 exec_lo, exec_lo, s19
	v_lshlrev_b32_e32 v11, 24, v7
	v_lshlrev_b32_e32 v9, 20, v9
	v_lshl_add_u32 v8, v8, 23, 0x3c000000
	v_and_b32_e32 v11, 0x80000000, v11
	v_or3_b32 v9, v9, v11, v8
	v_mov_b32_e32 v20, v10
	v_mov_b32_e32 v19, v9
.LBB214_2598:                           ;   in Loop: Header=BB214_1571 Depth=1
	s_or_b32 exec_lo, exec_lo, s18
.LBB214_2599:                           ;   in Loop: Header=BB214_1571 Depth=1
	s_or_b32 exec_lo, exec_lo, s17
.LBB214_2600:                           ;   in Loop: Header=BB214_1571 Depth=1
	s_or_b32 exec_lo, exec_lo, s15
	v_cmp_ne_u16_sdwa s4, v7, v10 src0_sel:BYTE_1 src1_sel:DWORD
	s_and_saveexec_b32 s15, s4
	s_cbranch_execz .LBB214_2608
; %bb.2601:                             ;   in Loop: Header=BB214_1571 Depth=1
	v_mov_b32_e32 v11, v10
	v_mov_b32_e32 v22, v12
	v_cmp_ne_u16_sdwa s4, v7, v41 src0_sel:BYTE_1 src1_sel:DWORD
	v_mov_b32_e32 v21, v11
	s_and_saveexec_b32 s17, s4
	s_cbranch_execz .LBB214_2607
; %bb.2602:                             ;   in Loop: Header=BB214_1571 Depth=1
	v_and_b32_sdwa v8, v48, v7 dst_sel:DWORD dst_unused:UNUSED_PAD src0_sel:DWORD src1_sel:BYTE_1
	v_mov_b32_e32 v13, v10
	v_mov_b32_e32 v22, v14
	s_mov_b32 s18, exec_lo
	v_and_b32_e32 v11, 0x7f, v8
	v_mov_b32_e32 v21, v13
	v_cmpx_ne_u32_e32 0x7f, v11
	s_cbranch_execz .LBB214_2606
; %bb.2603:                             ;   in Loop: Header=BB214_1571 Depth=1
	v_and_b32_e32 v9, 7, v8
	v_lshrrev_b32_e32 v8, 3, v11
	s_mov_b32 s19, exec_lo
	v_cmpx_gt_u32_e32 8, v11
; %bb.2604:                             ;   in Loop: Header=BB214_1571 Depth=1
	v_ffbh_u32_e32 v8, v9
	v_min_u32_e32 v8, 32, v8
	v_subrev_nc_u32_e32 v11, 28, v8
	v_sub_nc_u32_e32 v8, 29, v8
	v_lshlrev_b64 v[21:22], v11, v[9:10]
	v_and_b32_e32 v9, 7, v21
; %bb.2605:                             ;   in Loop: Header=BB214_1571 Depth=1
	s_or_b32 exec_lo, exec_lo, s19
	v_lshlrev_b32_e32 v11, 16, v7
	v_lshlrev_b32_e32 v9, 20, v9
	v_lshl_add_u32 v8, v8, 23, 0x3c000000
	v_mov_b32_e32 v21, v10
	v_and_b32_e32 v11, 0x80000000, v11
	v_or3_b32 v22, v9, v11, v8
.LBB214_2606:                           ;   in Loop: Header=BB214_1571 Depth=1
	s_or_b32 exec_lo, exec_lo, s18
.LBB214_2607:                           ;   in Loop: Header=BB214_1571 Depth=1
	s_or_b32 exec_lo, exec_lo, s17
.LBB214_2608:                           ;   in Loop: Header=BB214_1571 Depth=1
	s_or_b32 exec_lo, exec_lo, s15
	v_mov_b32_e32 v23, 0
	v_mov_b32_e32 v25, 0
	v_and_b32_sdwa v8, v7, v43 dst_sel:DWORD dst_unused:UNUSED_PAD src0_sel:WORD_1 src1_sel:DWORD
	v_mov_b32_e32 v24, 0
	v_mov_b32_e32 v26, 0
	s_mov_b32 s15, exec_lo
	v_cmpx_ne_u16_e32 0, v8
	s_cbranch_execz .LBB214_2616
; %bb.2609:                             ;   in Loop: Header=BB214_1571 Depth=1
	v_bfrev_b32_e32 v25, 1
	v_mov_b32_e32 v26, 0
	s_mov_b32 s17, exec_lo
	v_cmpx_ne_u16_e32 0x80, v8
	s_cbranch_execz .LBB214_2615
; %bb.2610:                             ;   in Loop: Header=BB214_1571 Depth=1
	v_mov_b32_e32 v25, 0x7f800001
	v_bfe_u32 v11, v7, 16, 7
	v_mov_b32_e32 v26, 0
	s_mov_b32 s18, exec_lo
	v_cmpx_ne_u32_e32 0x7f, v11
	s_cbranch_execz .LBB214_2614
; %bb.2611:                             ;   in Loop: Header=BB214_1571 Depth=1
	v_mov_b32_e32 v8, 7
	s_mov_b32 s19, exec_lo
	v_and_b32_sdwa v9, v7, v8 dst_sel:DWORD dst_unused:UNUSED_PAD src0_sel:WORD_1 src1_sel:DWORD
	v_lshrrev_b32_e32 v8, 3, v11
	v_cmpx_gt_u32_e32 8, v11
; %bb.2612:                             ;   in Loop: Header=BB214_1571 Depth=1
	v_ffbh_u32_e32 v8, v9
	v_min_u32_e32 v8, 32, v8
	v_subrev_nc_u32_e32 v11, 28, v8
	v_sub_nc_u32_e32 v8, 29, v8
	v_lshlrev_b64 v[25:26], v11, v[9:10]
	v_and_b32_e32 v9, 7, v25
; %bb.2613:                             ;   in Loop: Header=BB214_1571 Depth=1
	s_or_b32 exec_lo, exec_lo, s19
	v_mov_b32_e32 v11, 24
	v_lshlrev_b32_e32 v9, 20, v9
	v_lshl_add_u32 v8, v8, 23, 0x3c000000
	v_lshlrev_b32_sdwa v11, v11, v7 dst_sel:DWORD dst_unused:UNUSED_PAD src0_sel:DWORD src1_sel:WORD_1
	v_and_b32_e32 v11, 0x80000000, v11
	v_or3_b32 v9, v9, v11, v8
	v_mov_b32_e32 v26, v10
	v_mov_b32_e32 v25, v9
.LBB214_2614:                           ;   in Loop: Header=BB214_1571 Depth=1
	s_or_b32 exec_lo, exec_lo, s18
.LBB214_2615:                           ;   in Loop: Header=BB214_1571 Depth=1
	s_or_b32 exec_lo, exec_lo, s17
.LBB214_2616:                           ;   in Loop: Header=BB214_1571 Depth=1
	s_or_b32 exec_lo, exec_lo, s15
	s_mov_b32 s15, exec_lo
	v_cmpx_lt_u32_e32 0xffffff, v7
	s_cbranch_execz .LBB214_2624
; %bb.2617:                             ;   in Loop: Header=BB214_1571 Depth=1
	v_mov_b32_e32 v11, v10
	v_mov_b32_e32 v24, v12
	v_cmp_ne_u32_sdwa s4, v7, v41 src0_sel:BYTE_3 src1_sel:DWORD
	v_mov_b32_e32 v23, v11
	s_and_saveexec_b32 s17, s4
	s_cbranch_execz .LBB214_2623
; %bb.2618:                             ;   in Loop: Header=BB214_1571 Depth=1
	v_mov_b32_e32 v13, v10
	v_mov_b32_e32 v24, v14
	v_bfe_u32 v11, v7, 24, 7
	s_mov_b32 s18, exec_lo
	v_mov_b32_e32 v23, v13
	v_cmpx_ne_u32_e32 0x7f, v11
	s_cbranch_execz .LBB214_2622
; %bb.2619:                             ;   in Loop: Header=BB214_1571 Depth=1
	v_mov_b32_e32 v8, 7
	s_mov_b32 s19, exec_lo
	v_and_b32_sdwa v9, v7, v8 dst_sel:DWORD dst_unused:UNUSED_PAD src0_sel:BYTE_3 src1_sel:DWORD
	v_lshrrev_b32_e32 v8, 3, v11
	v_cmpx_gt_u32_e32 8, v11
; %bb.2620:                             ;   in Loop: Header=BB214_1571 Depth=1
	v_ffbh_u32_e32 v8, v9
	v_min_u32_e32 v8, 32, v8
	v_subrev_nc_u32_e32 v11, 28, v8
	v_sub_nc_u32_e32 v8, 29, v8
	v_lshlrev_b64 v[23:24], v11, v[9:10]
	v_and_b32_e32 v9, 7, v23
; %bb.2621:                             ;   in Loop: Header=BB214_1571 Depth=1
	s_or_b32 exec_lo, exec_lo, s19
	v_mov_b32_e32 v11, 24
	v_lshlrev_b32_e32 v9, 20, v9
	v_lshl_add_u32 v8, v8, 23, 0x3c000000
	v_mov_b32_e32 v23, v10
	v_lshlrev_b32_sdwa v7, v11, v7 dst_sel:DWORD dst_unused:UNUSED_PAD src0_sel:DWORD src1_sel:BYTE_3
	v_and_b32_e32 v7, 0x80000000, v7
	v_or3_b32 v24, v9, v7, v8
.LBB214_2622:                           ;   in Loop: Header=BB214_1571 Depth=1
	s_or_b32 exec_lo, exec_lo, s18
.LBB214_2623:                           ;   in Loop: Header=BB214_1571 Depth=1
	s_or_b32 exec_lo, exec_lo, s17
.LBB214_2624:                           ;   in Loop: Header=BB214_1571 Depth=1
	s_or_b32 exec_lo, exec_lo, s15
	v_or_b32_e32 v7, v22, v20
	v_or_b32_e32 v8, v21, v19
	;; [unrolled: 1-line block ×4, first 2 shown]
	v_mul_f32_e32 v7, v74, v7
	v_mul_f32_e32 v56, v74, v8
	;; [unrolled: 1-line block ×4, first 2 shown]
	s_and_saveexec_b32 s15, vcc_lo
	s_cbranch_execz .LBB214_2626
; %bb.2625:                             ;   in Loop: Header=BB214_1571 Depth=1
	buffer_load_dword v8, off, s[0:3], s32 offset:200 ; 4-byte Folded Reload
	s_waitcnt vmcnt(0)
	v_cmp_lt_i32_e64 s4, v79, v8
	v_cndmask_b32_e64 v56, 0, v56, s4
	v_cmp_lt_i32_e64 s4, v90, v8
	v_cndmask_b32_e64 v7, 0, v7, s4
	;; [unrolled: 2-line block ×4, first 2 shown]
.LBB214_2626:                           ;   in Loop: Header=BB214_1571 Depth=1
	s_or_b32 exec_lo, exec_lo, s15
	buffer_load_dword v8, off, s[0:3], s32 offset:1376 ; 4-byte Folded Reload
	v_mov_b32_e32 v19, 0
	v_mov_b32_e32 v20, 0
	s_waitcnt vmcnt(0)
	v_add_co_u32 v8, s4, v17, v8
	v_add_co_ci_u32_e64 v9, null, 0, v18, s4
	v_mov_b32_e32 v17, 0
	v_mov_b32_e32 v18, 0
	flat_load_dword v8, v[8:9]
	s_waitcnt vmcnt(0) lgkmcnt(0)
	v_cmp_ne_u16_sdwa s4, v8, v10 src0_sel:BYTE_0 src1_sel:DWORD
	s_and_saveexec_b32 s15, s4
	s_cbranch_execz .LBB214_2634
; %bb.2627:                             ;   in Loop: Header=BB214_1571 Depth=1
	v_bfrev_b32_e32 v17, 1
	v_mov_b32_e32 v18, 0
	v_cmp_ne_u16_sdwa s4, v8, v41 src0_sel:BYTE_0 src1_sel:DWORD
	s_and_saveexec_b32 s17, s4
	s_cbranch_execz .LBB214_2633
; %bb.2628:                             ;   in Loop: Header=BB214_1571 Depth=1
	v_mov_b32_e32 v17, 0x7f800001
	v_and_b32_e32 v13, 0x7f, v8
	v_mov_b32_e32 v18, 0
	s_mov_b32 s18, exec_lo
	v_cmpx_ne_u32_e32 0x7f, v13
	s_cbranch_execz .LBB214_2632
; %bb.2629:                             ;   in Loop: Header=BB214_1571 Depth=1
	v_and_b32_e32 v9, 7, v8
	v_lshrrev_b32_e32 v11, 3, v13
	s_mov_b32 s19, exec_lo
	v_cmpx_gt_u32_e32 8, v13
; %bb.2630:                             ;   in Loop: Header=BB214_1571 Depth=1
	v_ffbh_u32_e32 v11, v9
	v_min_u32_e32 v11, 32, v11
	v_subrev_nc_u32_e32 v13, 28, v11
	v_sub_nc_u32_e32 v11, 29, v11
	v_lshlrev_b64 v[17:18], v13, v[9:10]
	v_and_b32_e32 v9, 7, v17
; %bb.2631:                             ;   in Loop: Header=BB214_1571 Depth=1
	s_or_b32 exec_lo, exec_lo, s19
	v_lshlrev_b32_e32 v13, 24, v8
	v_lshlrev_b32_e32 v9, 20, v9
	v_lshl_add_u32 v11, v11, 23, 0x3c000000
	v_and_b32_e32 v13, 0x80000000, v13
	v_or3_b32 v9, v9, v13, v11
	v_mov_b32_e32 v18, v10
	v_mov_b32_e32 v17, v9
.LBB214_2632:                           ;   in Loop: Header=BB214_1571 Depth=1
	s_or_b32 exec_lo, exec_lo, s18
.LBB214_2633:                           ;   in Loop: Header=BB214_1571 Depth=1
	s_or_b32 exec_lo, exec_lo, s17
.LBB214_2634:                           ;   in Loop: Header=BB214_1571 Depth=1
	s_or_b32 exec_lo, exec_lo, s15
	v_cmp_ne_u16_sdwa s4, v8, v10 src0_sel:BYTE_1 src1_sel:DWORD
	s_and_saveexec_b32 s15, s4
	s_cbranch_execz .LBB214_2642
; %bb.2635:                             ;   in Loop: Header=BB214_1571 Depth=1
	v_mov_b32_e32 v11, v10
	v_mov_b32_e32 v20, v12
	v_cmp_ne_u16_sdwa s4, v8, v41 src0_sel:BYTE_1 src1_sel:DWORD
	v_mov_b32_e32 v19, v11
	s_and_saveexec_b32 s17, s4
	s_cbranch_execz .LBB214_2641
; %bb.2636:                             ;   in Loop: Header=BB214_1571 Depth=1
	v_and_b32_sdwa v9, v48, v8 dst_sel:DWORD dst_unused:UNUSED_PAD src0_sel:DWORD src1_sel:BYTE_1
	v_mov_b32_e32 v13, v10
	v_mov_b32_e32 v20, v14
	s_mov_b32 s18, exec_lo
	v_and_b32_e32 v21, 0x7f, v9
	v_mov_b32_e32 v19, v13
	v_cmpx_ne_u32_e32 0x7f, v21
	s_cbranch_execz .LBB214_2640
; %bb.2637:                             ;   in Loop: Header=BB214_1571 Depth=1
	v_and_b32_e32 v9, 7, v9
	v_lshrrev_b32_e32 v11, 3, v21
	s_mov_b32 s19, exec_lo
	v_cmpx_gt_u32_e32 8, v21
; %bb.2638:                             ;   in Loop: Header=BB214_1571 Depth=1
	v_ffbh_u32_e32 v11, v9
	v_min_u32_e32 v11, 32, v11
	v_subrev_nc_u32_e32 v13, 28, v11
	v_sub_nc_u32_e32 v11, 29, v11
	v_lshlrev_b64 v[19:20], v13, v[9:10]
	v_and_b32_e32 v9, 7, v19
; %bb.2639:                             ;   in Loop: Header=BB214_1571 Depth=1
	s_or_b32 exec_lo, exec_lo, s19
	v_lshlrev_b32_e32 v13, 16, v8
	v_lshlrev_b32_e32 v9, 20, v9
	v_lshl_add_u32 v11, v11, 23, 0x3c000000
	v_mov_b32_e32 v19, v10
	v_and_b32_e32 v13, 0x80000000, v13
	v_or3_b32 v20, v9, v13, v11
.LBB214_2640:                           ;   in Loop: Header=BB214_1571 Depth=1
	s_or_b32 exec_lo, exec_lo, s18
.LBB214_2641:                           ;   in Loop: Header=BB214_1571 Depth=1
	s_or_b32 exec_lo, exec_lo, s17
.LBB214_2642:                           ;   in Loop: Header=BB214_1571 Depth=1
	s_or_b32 exec_lo, exec_lo, s15
	v_mov_b32_e32 v21, 0
	v_mov_b32_e32 v23, 0
	v_and_b32_sdwa v9, v8, v43 dst_sel:DWORD dst_unused:UNUSED_PAD src0_sel:WORD_1 src1_sel:DWORD
	v_mov_b32_e32 v22, 0
	v_mov_b32_e32 v24, 0
	s_mov_b32 s15, exec_lo
	v_cmpx_ne_u16_e32 0, v9
	s_cbranch_execz .LBB214_2650
; %bb.2643:                             ;   in Loop: Header=BB214_1571 Depth=1
	v_bfrev_b32_e32 v23, 1
	v_mov_b32_e32 v24, 0
	s_mov_b32 s17, exec_lo
	v_cmpx_ne_u16_e32 0x80, v9
	s_cbranch_execz .LBB214_2649
; %bb.2644:                             ;   in Loop: Header=BB214_1571 Depth=1
	v_mov_b32_e32 v23, 0x7f800001
	v_bfe_u32 v13, v8, 16, 7
	v_mov_b32_e32 v24, 0
	s_mov_b32 s18, exec_lo
	v_cmpx_ne_u32_e32 0x7f, v13
	s_cbranch_execz .LBB214_2648
; %bb.2645:                             ;   in Loop: Header=BB214_1571 Depth=1
	v_mov_b32_e32 v9, 7
	v_lshrrev_b32_e32 v11, 3, v13
	s_mov_b32 s19, exec_lo
	v_and_b32_sdwa v9, v8, v9 dst_sel:DWORD dst_unused:UNUSED_PAD src0_sel:WORD_1 src1_sel:DWORD
	v_cmpx_gt_u32_e32 8, v13
; %bb.2646:                             ;   in Loop: Header=BB214_1571 Depth=1
	v_ffbh_u32_e32 v11, v9
	v_min_u32_e32 v11, 32, v11
	v_subrev_nc_u32_e32 v13, 28, v11
	v_sub_nc_u32_e32 v11, 29, v11
	v_lshlrev_b64 v[23:24], v13, v[9:10]
	v_and_b32_e32 v9, 7, v23
; %bb.2647:                             ;   in Loop: Header=BB214_1571 Depth=1
	s_or_b32 exec_lo, exec_lo, s19
	v_mov_b32_e32 v13, 24
	v_lshlrev_b32_e32 v9, 20, v9
	v_lshl_add_u32 v11, v11, 23, 0x3c000000
	v_lshlrev_b32_sdwa v13, v13, v8 dst_sel:DWORD dst_unused:UNUSED_PAD src0_sel:DWORD src1_sel:WORD_1
	v_and_b32_e32 v13, 0x80000000, v13
	v_or3_b32 v9, v9, v13, v11
	v_mov_b32_e32 v24, v10
	v_mov_b32_e32 v23, v9
.LBB214_2648:                           ;   in Loop: Header=BB214_1571 Depth=1
	s_or_b32 exec_lo, exec_lo, s18
.LBB214_2649:                           ;   in Loop: Header=BB214_1571 Depth=1
	s_or_b32 exec_lo, exec_lo, s17
.LBB214_2650:                           ;   in Loop: Header=BB214_1571 Depth=1
	s_or_b32 exec_lo, exec_lo, s15
	s_mov_b32 s15, exec_lo
	v_cmpx_lt_u32_e32 0xffffff, v8
	s_cbranch_execz .LBB214_2658
; %bb.2651:                             ;   in Loop: Header=BB214_1571 Depth=1
	v_mov_b32_e32 v11, v10
	v_mov_b32_e32 v22, v12
	v_cmp_ne_u32_sdwa s4, v8, v41 src0_sel:BYTE_3 src1_sel:DWORD
	v_mov_b32_e32 v21, v11
	s_and_saveexec_b32 s17, s4
	s_cbranch_execz .LBB214_2657
; %bb.2652:                             ;   in Loop: Header=BB214_1571 Depth=1
	v_mov_b32_e32 v13, v10
	v_mov_b32_e32 v22, v14
	v_bfe_u32 v32, v8, 24, 7
	s_mov_b32 s18, exec_lo
	v_mov_b32_e32 v21, v13
	v_cmpx_ne_u32_e32 0x7f, v32
	s_cbranch_execz .LBB214_2656
; %bb.2653:                             ;   in Loop: Header=BB214_1571 Depth=1
	v_mov_b32_e32 v9, 7
	v_lshrrev_b32_e32 v11, 3, v32
	s_mov_b32 s19, exec_lo
	v_and_b32_sdwa v9, v8, v9 dst_sel:DWORD dst_unused:UNUSED_PAD src0_sel:BYTE_3 src1_sel:DWORD
	v_cmpx_gt_u32_e32 8, v32
; %bb.2654:                             ;   in Loop: Header=BB214_1571 Depth=1
	v_ffbh_u32_e32 v11, v9
	v_min_u32_e32 v11, 32, v11
	v_subrev_nc_u32_e32 v13, 28, v11
	v_sub_nc_u32_e32 v11, 29, v11
	v_lshlrev_b64 v[21:22], v13, v[9:10]
	v_and_b32_e32 v9, 7, v21
; %bb.2655:                             ;   in Loop: Header=BB214_1571 Depth=1
	s_or_b32 exec_lo, exec_lo, s19
	v_mov_b32_e32 v13, 24
	v_lshlrev_b32_e32 v9, 20, v9
	v_lshl_add_u32 v11, v11, 23, 0x3c000000
	v_mov_b32_e32 v21, v10
	v_lshlrev_b32_sdwa v8, v13, v8 dst_sel:DWORD dst_unused:UNUSED_PAD src0_sel:DWORD src1_sel:BYTE_3
	v_and_b32_e32 v8, 0x80000000, v8
	v_or3_b32 v22, v9, v8, v11
.LBB214_2656:                           ;   in Loop: Header=BB214_1571 Depth=1
	s_or_b32 exec_lo, exec_lo, s18
.LBB214_2657:                           ;   in Loop: Header=BB214_1571 Depth=1
	s_or_b32 exec_lo, exec_lo, s17
.LBB214_2658:                           ;   in Loop: Header=BB214_1571 Depth=1
	s_or_b32 exec_lo, exec_lo, s15
	v_or_b32_e32 v8, v20, v18
	v_or_b32_e32 v9, v19, v17
	;; [unrolled: 1-line block ×4, first 2 shown]
	v_mul_f32_e32 v67, v74, v8
	v_mul_f32_e32 v49, v74, v9
	;; [unrolled: 1-line block ×4, first 2 shown]
	s_and_saveexec_b32 s15, vcc_lo
	s_cbranch_execz .LBB214_2660
; %bb.2659:                             ;   in Loop: Header=BB214_1571 Depth=1
	buffer_load_dword v9, off, s[0:3], s32 offset:200 ; 4-byte Folded Reload
	s_waitcnt vmcnt(0)
	v_cmp_lt_i32_e64 s4, v79, v9
	v_cndmask_b32_e64 v49, 0, v49, s4
	v_cmp_lt_i32_e64 s4, v90, v9
	v_cndmask_b32_e64 v67, 0, v67, s4
	;; [unrolled: 2-line block ×4, first 2 shown]
.LBB214_2660:                           ;   in Loop: Header=BB214_1571 Depth=1
	s_or_b32 exec_lo, exec_lo, s15
	v_add_co_u32 v0, s4, 0x1000, v0
	v_add_co_ci_u32_e64 v1, null, 0, v1, s4
	v_mov_b32_e32 v19, 0
	v_mov_b32_e32 v17, 0
	;; [unrolled: 1-line block ×3, first 2 shown]
	flat_load_dword v34, v[0:1]
	v_mov_b32_e32 v18, 0
	s_waitcnt vmcnt(0) lgkmcnt(0)
	v_cmp_ne_u16_sdwa s4, v34, v10 src0_sel:BYTE_0 src1_sel:DWORD
	s_and_saveexec_b32 s15, s4
	s_cbranch_execz .LBB214_2668
; %bb.2661:                             ;   in Loop: Header=BB214_1571 Depth=1
	v_bfrev_b32_e32 v17, 1
	v_mov_b32_e32 v18, 0
	v_cmp_ne_u16_sdwa s4, v34, v41 src0_sel:BYTE_0 src1_sel:DWORD
	s_and_saveexec_b32 s17, s4
	s_cbranch_execz .LBB214_2667
; %bb.2662:                             ;   in Loop: Header=BB214_1571 Depth=1
	v_mov_b32_e32 v17, 0x7f800001
	v_and_b32_e32 v13, 0x7f, v34
	v_mov_b32_e32 v18, 0
	s_mov_b32 s18, exec_lo
	v_cmpx_ne_u32_e32 0x7f, v13
	s_cbranch_execz .LBB214_2666
; %bb.2663:                             ;   in Loop: Header=BB214_1571 Depth=1
	v_and_b32_e32 v9, 7, v34
	v_lshrrev_b32_e32 v11, 3, v13
	s_mov_b32 s19, exec_lo
	v_cmpx_gt_u32_e32 8, v13
; %bb.2664:                             ;   in Loop: Header=BB214_1571 Depth=1
	v_ffbh_u32_e32 v11, v9
	v_min_u32_e32 v11, 32, v11
	v_subrev_nc_u32_e32 v13, 28, v11
	v_sub_nc_u32_e32 v11, 29, v11
	v_lshlrev_b64 v[17:18], v13, v[9:10]
	v_and_b32_e32 v9, 7, v17
; %bb.2665:                             ;   in Loop: Header=BB214_1571 Depth=1
	s_or_b32 exec_lo, exec_lo, s19
	v_lshlrev_b32_e32 v13, 24, v34
	v_lshlrev_b32_e32 v9, 20, v9
	v_lshl_add_u32 v11, v11, 23, 0x3c000000
	v_and_b32_e32 v13, 0x80000000, v13
	v_or3_b32 v9, v9, v13, v11
	v_mov_b32_e32 v18, v10
	v_mov_b32_e32 v17, v9
.LBB214_2666:                           ;   in Loop: Header=BB214_1571 Depth=1
	s_or_b32 exec_lo, exec_lo, s18
.LBB214_2667:                           ;   in Loop: Header=BB214_1571 Depth=1
	s_or_b32 exec_lo, exec_lo, s17
.LBB214_2668:                           ;   in Loop: Header=BB214_1571 Depth=1
	s_or_b32 exec_lo, exec_lo, s15
	v_cmp_ne_u16_sdwa s4, v34, v10 src0_sel:BYTE_1 src1_sel:DWORD
	s_and_saveexec_b32 s15, s4
	s_cbranch_execz .LBB214_2676
; %bb.2669:                             ;   in Loop: Header=BB214_1571 Depth=1
	v_mov_b32_e32 v11, v10
	v_mov_b32_e32 v20, v12
	v_cmp_ne_u16_sdwa s4, v34, v41 src0_sel:BYTE_1 src1_sel:DWORD
	v_mov_b32_e32 v19, v11
	s_and_saveexec_b32 s17, s4
	s_cbranch_execz .LBB214_2675
; %bb.2670:                             ;   in Loop: Header=BB214_1571 Depth=1
	v_and_b32_sdwa v9, v48, v34 dst_sel:DWORD dst_unused:UNUSED_PAD src0_sel:DWORD src1_sel:BYTE_1
	v_mov_b32_e32 v13, v10
	v_mov_b32_e32 v20, v14
	s_mov_b32 s18, exec_lo
	v_and_b32_e32 v21, 0x7f, v9
	v_mov_b32_e32 v19, v13
	v_cmpx_ne_u32_e32 0x7f, v21
	s_cbranch_execz .LBB214_2674
; %bb.2671:                             ;   in Loop: Header=BB214_1571 Depth=1
	v_and_b32_e32 v9, 7, v9
	v_lshrrev_b32_e32 v11, 3, v21
	s_mov_b32 s19, exec_lo
	v_cmpx_gt_u32_e32 8, v21
; %bb.2672:                             ;   in Loop: Header=BB214_1571 Depth=1
	v_ffbh_u32_e32 v11, v9
	v_min_u32_e32 v11, 32, v11
	v_subrev_nc_u32_e32 v13, 28, v11
	v_sub_nc_u32_e32 v11, 29, v11
	v_lshlrev_b64 v[19:20], v13, v[9:10]
	v_and_b32_e32 v9, 7, v19
; %bb.2673:                             ;   in Loop: Header=BB214_1571 Depth=1
	s_or_b32 exec_lo, exec_lo, s19
	v_lshlrev_b32_e32 v13, 16, v34
	v_lshlrev_b32_e32 v9, 20, v9
	v_lshl_add_u32 v11, v11, 23, 0x3c000000
	v_mov_b32_e32 v19, v10
	v_and_b32_e32 v13, 0x80000000, v13
	v_or3_b32 v20, v9, v13, v11
.LBB214_2674:                           ;   in Loop: Header=BB214_1571 Depth=1
	s_or_b32 exec_lo, exec_lo, s18
.LBB214_2675:                           ;   in Loop: Header=BB214_1571 Depth=1
	s_or_b32 exec_lo, exec_lo, s17
.LBB214_2676:                           ;   in Loop: Header=BB214_1571 Depth=1
	s_or_b32 exec_lo, exec_lo, s15
	v_mov_b32_e32 v21, 0
	v_mov_b32_e32 v23, 0
	v_and_b32_sdwa v9, v34, v43 dst_sel:DWORD dst_unused:UNUSED_PAD src0_sel:WORD_1 src1_sel:DWORD
	v_mov_b32_e32 v22, 0
	v_mov_b32_e32 v24, 0
	s_mov_b32 s15, exec_lo
	v_cmpx_ne_u16_e32 0, v9
	s_cbranch_execz .LBB214_2684
; %bb.2677:                             ;   in Loop: Header=BB214_1571 Depth=1
	v_bfrev_b32_e32 v23, 1
	v_mov_b32_e32 v24, 0
	s_mov_b32 s17, exec_lo
	v_cmpx_ne_u16_e32 0x80, v9
	s_cbranch_execz .LBB214_2683
; %bb.2678:                             ;   in Loop: Header=BB214_1571 Depth=1
	v_mov_b32_e32 v23, 0x7f800001
	v_bfe_u32 v13, v34, 16, 7
	v_mov_b32_e32 v24, 0
	s_mov_b32 s18, exec_lo
	v_cmpx_ne_u32_e32 0x7f, v13
	s_cbranch_execz .LBB214_2682
; %bb.2679:                             ;   in Loop: Header=BB214_1571 Depth=1
	v_mov_b32_e32 v9, 7
	v_lshrrev_b32_e32 v11, 3, v13
	s_mov_b32 s19, exec_lo
	v_and_b32_sdwa v9, v34, v9 dst_sel:DWORD dst_unused:UNUSED_PAD src0_sel:WORD_1 src1_sel:DWORD
	v_cmpx_gt_u32_e32 8, v13
; %bb.2680:                             ;   in Loop: Header=BB214_1571 Depth=1
	v_ffbh_u32_e32 v11, v9
	v_min_u32_e32 v11, 32, v11
	v_subrev_nc_u32_e32 v13, 28, v11
	v_sub_nc_u32_e32 v11, 29, v11
	v_lshlrev_b64 v[23:24], v13, v[9:10]
	v_and_b32_e32 v9, 7, v23
; %bb.2681:                             ;   in Loop: Header=BB214_1571 Depth=1
	s_or_b32 exec_lo, exec_lo, s19
	v_mov_b32_e32 v13, 24
	v_lshlrev_b32_e32 v9, 20, v9
	v_lshl_add_u32 v11, v11, 23, 0x3c000000
	v_lshlrev_b32_sdwa v13, v13, v34 dst_sel:DWORD dst_unused:UNUSED_PAD src0_sel:DWORD src1_sel:WORD_1
	v_and_b32_e32 v13, 0x80000000, v13
	v_or3_b32 v9, v9, v13, v11
	v_mov_b32_e32 v24, v10
	v_mov_b32_e32 v23, v9
.LBB214_2682:                           ;   in Loop: Header=BB214_1571 Depth=1
	s_or_b32 exec_lo, exec_lo, s18
.LBB214_2683:                           ;   in Loop: Header=BB214_1571 Depth=1
	s_or_b32 exec_lo, exec_lo, s17
.LBB214_2684:                           ;   in Loop: Header=BB214_1571 Depth=1
	s_or_b32 exec_lo, exec_lo, s15
	s_mov_b32 s15, exec_lo
	v_cmpx_lt_u32_e32 0xffffff, v34
	s_cbranch_execz .LBB214_2692
; %bb.2685:                             ;   in Loop: Header=BB214_1571 Depth=1
	v_mov_b32_e32 v11, v10
	v_mov_b32_e32 v22, v12
	v_cmp_ne_u32_sdwa s4, v34, v41 src0_sel:BYTE_3 src1_sel:DWORD
	v_mov_b32_e32 v21, v11
	s_and_saveexec_b32 s17, s4
	s_cbranch_execz .LBB214_2691
; %bb.2686:                             ;   in Loop: Header=BB214_1571 Depth=1
	v_mov_b32_e32 v13, v10
	v_mov_b32_e32 v22, v14
	v_bfe_u32 v32, v34, 24, 7
	s_mov_b32 s18, exec_lo
	v_mov_b32_e32 v21, v13
	v_cmpx_ne_u32_e32 0x7f, v32
	s_cbranch_execz .LBB214_2690
; %bb.2687:                             ;   in Loop: Header=BB214_1571 Depth=1
	v_mov_b32_e32 v9, 7
	v_lshrrev_b32_e32 v11, 3, v32
	s_mov_b32 s19, exec_lo
	v_and_b32_sdwa v9, v34, v9 dst_sel:DWORD dst_unused:UNUSED_PAD src0_sel:BYTE_3 src1_sel:DWORD
	v_cmpx_gt_u32_e32 8, v32
; %bb.2688:                             ;   in Loop: Header=BB214_1571 Depth=1
	v_ffbh_u32_e32 v11, v9
	v_min_u32_e32 v11, 32, v11
	v_subrev_nc_u32_e32 v13, 28, v11
	v_sub_nc_u32_e32 v11, 29, v11
	v_lshlrev_b64 v[21:22], v13, v[9:10]
	v_and_b32_e32 v9, 7, v21
; %bb.2689:                             ;   in Loop: Header=BB214_1571 Depth=1
	s_or_b32 exec_lo, exec_lo, s19
	v_mov_b32_e32 v13, 24
	v_lshlrev_b32_e32 v9, 20, v9
	v_lshl_add_u32 v11, v11, 23, 0x3c000000
	v_mov_b32_e32 v21, v10
	v_lshlrev_b32_sdwa v13, v13, v34 dst_sel:DWORD dst_unused:UNUSED_PAD src0_sel:DWORD src1_sel:BYTE_3
	v_and_b32_e32 v13, 0x80000000, v13
	v_or3_b32 v22, v9, v13, v11
.LBB214_2690:                           ;   in Loop: Header=BB214_1571 Depth=1
	s_or_b32 exec_lo, exec_lo, s18
.LBB214_2691:                           ;   in Loop: Header=BB214_1571 Depth=1
	s_or_b32 exec_lo, exec_lo, s17
.LBB214_2692:                           ;   in Loop: Header=BB214_1571 Depth=1
	s_or_b32 exec_lo, exec_lo, s15
	v_or_b32_e32 v9, v20, v18
	v_or_b32_e32 v11, v19, v17
	;; [unrolled: 1-line block ×4, first 2 shown]
	v_mul_f32_e32 v37, v74, v9
	v_mul_f32_e32 v36, v74, v11
	;; [unrolled: 1-line block ×4, first 2 shown]
	s_and_saveexec_b32 s15, vcc_lo
	s_cbranch_execz .LBB214_2694
; %bb.2693:                             ;   in Loop: Header=BB214_1571 Depth=1
	buffer_load_dword v9, off, s[0:3], s32 offset:200 ; 4-byte Folded Reload
	s_waitcnt vmcnt(0)
	v_cmp_lt_i32_e64 s4, v79, v9
	v_cndmask_b32_e64 v36, 0, v36, s4
	v_cmp_lt_i32_e64 s4, v90, v9
	v_cndmask_b32_e64 v37, 0, v37, s4
	;; [unrolled: 2-line block ×4, first 2 shown]
.LBB214_2694:                           ;   in Loop: Header=BB214_1571 Depth=1
	s_or_b32 exec_lo, exec_lo, s15
	flat_load_dword v35, v[0:1] offset:128
	v_mov_b32_e32 v19, 0
	v_mov_b32_e32 v17, 0
	;; [unrolled: 1-line block ×4, first 2 shown]
	s_waitcnt vmcnt(0) lgkmcnt(0)
	v_cmp_ne_u16_sdwa s4, v35, v10 src0_sel:BYTE_0 src1_sel:DWORD
	s_and_saveexec_b32 s15, s4
	s_cbranch_execz .LBB214_2702
; %bb.2695:                             ;   in Loop: Header=BB214_1571 Depth=1
	v_bfrev_b32_e32 v17, 1
	v_mov_b32_e32 v18, 0
	v_cmp_ne_u16_sdwa s4, v35, v41 src0_sel:BYTE_0 src1_sel:DWORD
	s_and_saveexec_b32 s17, s4
	s_cbranch_execz .LBB214_2701
; %bb.2696:                             ;   in Loop: Header=BB214_1571 Depth=1
	v_mov_b32_e32 v17, 0x7f800001
	v_and_b32_e32 v13, 0x7f, v35
	v_mov_b32_e32 v18, 0
	s_mov_b32 s18, exec_lo
	v_cmpx_ne_u32_e32 0x7f, v13
	s_cbranch_execz .LBB214_2700
; %bb.2697:                             ;   in Loop: Header=BB214_1571 Depth=1
	v_and_b32_e32 v9, 7, v35
	v_lshrrev_b32_e32 v11, 3, v13
	s_mov_b32 s19, exec_lo
	v_cmpx_gt_u32_e32 8, v13
; %bb.2698:                             ;   in Loop: Header=BB214_1571 Depth=1
	v_ffbh_u32_e32 v11, v9
	v_min_u32_e32 v11, 32, v11
	v_subrev_nc_u32_e32 v13, 28, v11
	v_sub_nc_u32_e32 v11, 29, v11
	v_lshlrev_b64 v[17:18], v13, v[9:10]
	v_and_b32_e32 v9, 7, v17
; %bb.2699:                             ;   in Loop: Header=BB214_1571 Depth=1
	s_or_b32 exec_lo, exec_lo, s19
	v_lshlrev_b32_e32 v13, 24, v35
	v_lshlrev_b32_e32 v9, 20, v9
	v_lshl_add_u32 v11, v11, 23, 0x3c000000
	v_and_b32_e32 v13, 0x80000000, v13
	v_or3_b32 v9, v9, v13, v11
	v_mov_b32_e32 v18, v10
	v_mov_b32_e32 v17, v9
.LBB214_2700:                           ;   in Loop: Header=BB214_1571 Depth=1
	s_or_b32 exec_lo, exec_lo, s18
.LBB214_2701:                           ;   in Loop: Header=BB214_1571 Depth=1
	s_or_b32 exec_lo, exec_lo, s17
.LBB214_2702:                           ;   in Loop: Header=BB214_1571 Depth=1
	s_or_b32 exec_lo, exec_lo, s15
	v_cmp_ne_u16_sdwa s4, v35, v10 src0_sel:BYTE_1 src1_sel:DWORD
	s_and_saveexec_b32 s15, s4
	s_cbranch_execz .LBB214_2710
; %bb.2703:                             ;   in Loop: Header=BB214_1571 Depth=1
	v_mov_b32_e32 v11, v10
	v_mov_b32_e32 v20, v12
	v_cmp_ne_u16_sdwa s4, v35, v41 src0_sel:BYTE_1 src1_sel:DWORD
	v_mov_b32_e32 v19, v11
	s_and_saveexec_b32 s17, s4
	s_cbranch_execz .LBB214_2709
; %bb.2704:                             ;   in Loop: Header=BB214_1571 Depth=1
	v_and_b32_sdwa v9, v48, v35 dst_sel:DWORD dst_unused:UNUSED_PAD src0_sel:DWORD src1_sel:BYTE_1
	v_mov_b32_e32 v13, v10
	v_mov_b32_e32 v20, v14
	s_mov_b32 s18, exec_lo
	v_and_b32_e32 v21, 0x7f, v9
	v_mov_b32_e32 v19, v13
	v_cmpx_ne_u32_e32 0x7f, v21
	s_cbranch_execz .LBB214_2708
; %bb.2705:                             ;   in Loop: Header=BB214_1571 Depth=1
	v_and_b32_e32 v9, 7, v9
	v_lshrrev_b32_e32 v11, 3, v21
	s_mov_b32 s19, exec_lo
	v_cmpx_gt_u32_e32 8, v21
; %bb.2706:                             ;   in Loop: Header=BB214_1571 Depth=1
	v_ffbh_u32_e32 v11, v9
	v_min_u32_e32 v11, 32, v11
	v_subrev_nc_u32_e32 v13, 28, v11
	v_sub_nc_u32_e32 v11, 29, v11
	v_lshlrev_b64 v[19:20], v13, v[9:10]
	v_and_b32_e32 v9, 7, v19
; %bb.2707:                             ;   in Loop: Header=BB214_1571 Depth=1
	s_or_b32 exec_lo, exec_lo, s19
	v_lshlrev_b32_e32 v13, 16, v35
	v_lshlrev_b32_e32 v9, 20, v9
	v_lshl_add_u32 v11, v11, 23, 0x3c000000
	v_mov_b32_e32 v19, v10
	v_and_b32_e32 v13, 0x80000000, v13
	v_or3_b32 v20, v9, v13, v11
.LBB214_2708:                           ;   in Loop: Header=BB214_1571 Depth=1
	s_or_b32 exec_lo, exec_lo, s18
.LBB214_2709:                           ;   in Loop: Header=BB214_1571 Depth=1
	s_or_b32 exec_lo, exec_lo, s17
.LBB214_2710:                           ;   in Loop: Header=BB214_1571 Depth=1
	s_or_b32 exec_lo, exec_lo, s15
	v_mov_b32_e32 v21, 0
	v_mov_b32_e32 v23, 0
	v_and_b32_sdwa v9, v35, v43 dst_sel:DWORD dst_unused:UNUSED_PAD src0_sel:WORD_1 src1_sel:DWORD
	v_mov_b32_e32 v22, 0
	v_mov_b32_e32 v24, 0
	s_mov_b32 s15, exec_lo
	v_cmpx_ne_u16_e32 0, v9
	s_cbranch_execz .LBB214_2718
; %bb.2711:                             ;   in Loop: Header=BB214_1571 Depth=1
	v_bfrev_b32_e32 v23, 1
	v_mov_b32_e32 v24, 0
	s_mov_b32 s17, exec_lo
	v_cmpx_ne_u16_e32 0x80, v9
	s_cbranch_execz .LBB214_2717
; %bb.2712:                             ;   in Loop: Header=BB214_1571 Depth=1
	v_mov_b32_e32 v23, 0x7f800001
	v_bfe_u32 v13, v35, 16, 7
	v_mov_b32_e32 v24, 0
	s_mov_b32 s18, exec_lo
	v_cmpx_ne_u32_e32 0x7f, v13
	s_cbranch_execz .LBB214_2716
; %bb.2713:                             ;   in Loop: Header=BB214_1571 Depth=1
	v_mov_b32_e32 v9, 7
	v_lshrrev_b32_e32 v11, 3, v13
	s_mov_b32 s19, exec_lo
	v_and_b32_sdwa v9, v35, v9 dst_sel:DWORD dst_unused:UNUSED_PAD src0_sel:WORD_1 src1_sel:DWORD
	v_cmpx_gt_u32_e32 8, v13
; %bb.2714:                             ;   in Loop: Header=BB214_1571 Depth=1
	v_ffbh_u32_e32 v11, v9
	v_min_u32_e32 v11, 32, v11
	v_subrev_nc_u32_e32 v13, 28, v11
	v_sub_nc_u32_e32 v11, 29, v11
	v_lshlrev_b64 v[23:24], v13, v[9:10]
	v_and_b32_e32 v9, 7, v23
; %bb.2715:                             ;   in Loop: Header=BB214_1571 Depth=1
	s_or_b32 exec_lo, exec_lo, s19
	v_mov_b32_e32 v13, 24
	v_lshlrev_b32_e32 v9, 20, v9
	v_lshl_add_u32 v11, v11, 23, 0x3c000000
	v_lshlrev_b32_sdwa v13, v13, v35 dst_sel:DWORD dst_unused:UNUSED_PAD src0_sel:DWORD src1_sel:WORD_1
	v_and_b32_e32 v13, 0x80000000, v13
	v_or3_b32 v9, v9, v13, v11
	v_mov_b32_e32 v24, v10
	v_mov_b32_e32 v23, v9
.LBB214_2716:                           ;   in Loop: Header=BB214_1571 Depth=1
	s_or_b32 exec_lo, exec_lo, s18
.LBB214_2717:                           ;   in Loop: Header=BB214_1571 Depth=1
	s_or_b32 exec_lo, exec_lo, s17
.LBB214_2718:                           ;   in Loop: Header=BB214_1571 Depth=1
	s_or_b32 exec_lo, exec_lo, s15
	s_mov_b32 s15, exec_lo
	v_cmpx_lt_u32_e32 0xffffff, v35
	s_cbranch_execz .LBB214_2726
; %bb.2719:                             ;   in Loop: Header=BB214_1571 Depth=1
	v_mov_b32_e32 v11, v10
	v_mov_b32_e32 v22, v12
	v_cmp_ne_u32_sdwa s4, v35, v41 src0_sel:BYTE_3 src1_sel:DWORD
	v_mov_b32_e32 v21, v11
	s_and_saveexec_b32 s17, s4
	s_cbranch_execz .LBB214_2725
; %bb.2720:                             ;   in Loop: Header=BB214_1571 Depth=1
	v_mov_b32_e32 v13, v10
	v_mov_b32_e32 v22, v14
	v_bfe_u32 v32, v35, 24, 7
	s_mov_b32 s18, exec_lo
	v_mov_b32_e32 v21, v13
	v_cmpx_ne_u32_e32 0x7f, v32
	s_cbranch_execz .LBB214_2724
; %bb.2721:                             ;   in Loop: Header=BB214_1571 Depth=1
	v_mov_b32_e32 v9, 7
	v_lshrrev_b32_e32 v11, 3, v32
	s_mov_b32 s19, exec_lo
	v_and_b32_sdwa v9, v35, v9 dst_sel:DWORD dst_unused:UNUSED_PAD src0_sel:BYTE_3 src1_sel:DWORD
	v_mov_b32_e32 v22, v10
	v_mov_b32_e32 v21, v9
	v_cmpx_gt_u32_e32 8, v32
; %bb.2722:                             ;   in Loop: Header=BB214_1571 Depth=1
	v_ffbh_u32_e32 v11, v9
	v_min_u32_e32 v11, 32, v11
	v_subrev_nc_u32_e32 v13, 28, v11
	v_sub_nc_u32_e32 v11, 29, v11
	v_lshlrev_b64 v[21:22], v13, v[9:10]
	v_and_b32_e32 v21, 7, v21
; %bb.2723:                             ;   in Loop: Header=BB214_1571 Depth=1
	s_or_b32 exec_lo, exec_lo, s19
	v_mov_b32_e32 v9, 24
	v_lshlrev_b32_e32 v13, 20, v21
	v_lshl_add_u32 v11, v11, 23, 0x3c000000
	v_mov_b32_e32 v21, v10
	v_lshlrev_b32_sdwa v9, v9, v35 dst_sel:DWORD dst_unused:UNUSED_PAD src0_sel:DWORD src1_sel:BYTE_3
	v_and_b32_e32 v9, 0x80000000, v9
	v_or3_b32 v22, v13, v9, v11
.LBB214_2724:                           ;   in Loop: Header=BB214_1571 Depth=1
	s_or_b32 exec_lo, exec_lo, s18
.LBB214_2725:                           ;   in Loop: Header=BB214_1571 Depth=1
	s_or_b32 exec_lo, exec_lo, s17
.LBB214_2726:                           ;   in Loop: Header=BB214_1571 Depth=1
	s_or_b32 exec_lo, exec_lo, s15
	v_or_b32_e32 v9, v20, v18
	v_or_b32_e32 v11, v19, v17
	;; [unrolled: 1-line block ×4, first 2 shown]
	v_mul_f32_e32 v33, v74, v9
	v_mul_f32_e32 v32, v74, v11
	;; [unrolled: 1-line block ×4, first 2 shown]
	s_and_saveexec_b32 s15, vcc_lo
	s_cbranch_execz .LBB214_2728
; %bb.2727:                             ;   in Loop: Header=BB214_1571 Depth=1
	buffer_load_dword v9, off, s[0:3], s32 offset:200 ; 4-byte Folded Reload
	s_waitcnt vmcnt(0)
	v_cmp_lt_i32_e64 s4, v79, v9
	v_cndmask_b32_e64 v32, 0, v32, s4
	v_cmp_lt_i32_e64 s4, v90, v9
	v_cndmask_b32_e64 v33, 0, v33, s4
	;; [unrolled: 2-line block ×4, first 2 shown]
.LBB214_2728:                           ;   in Loop: Header=BB214_1571 Depth=1
	s_or_b32 exec_lo, exec_lo, s15
	flat_load_dword v35, v[0:1] offset:256
	v_mov_b32_e32 v19, 0
	v_mov_b32_e32 v17, 0
	;; [unrolled: 1-line block ×4, first 2 shown]
	s_waitcnt vmcnt(0) lgkmcnt(0)
	v_cmp_ne_u16_sdwa s4, v35, v10 src0_sel:BYTE_0 src1_sel:DWORD
	s_and_saveexec_b32 s15, s4
	s_cbranch_execz .LBB214_2736
; %bb.2729:                             ;   in Loop: Header=BB214_1571 Depth=1
	v_bfrev_b32_e32 v17, 1
	v_mov_b32_e32 v18, 0
	v_cmp_ne_u16_sdwa s4, v35, v41 src0_sel:BYTE_0 src1_sel:DWORD
	s_and_saveexec_b32 s17, s4
	s_cbranch_execz .LBB214_2735
; %bb.2730:                             ;   in Loop: Header=BB214_1571 Depth=1
	v_mov_b32_e32 v17, 0x7f800001
	v_and_b32_e32 v13, 0x7f, v35
	v_mov_b32_e32 v18, 0
	s_mov_b32 s18, exec_lo
	v_cmpx_ne_u32_e32 0x7f, v13
	s_cbranch_execz .LBB214_2734
; %bb.2731:                             ;   in Loop: Header=BB214_1571 Depth=1
	v_and_b32_e32 v9, 7, v35
	v_mov_b32_e32 v18, v10
	v_lshrrev_b32_e32 v11, 3, v13
	s_mov_b32 s19, exec_lo
	v_mov_b32_e32 v17, v9
	v_cmpx_gt_u32_e32 8, v13
; %bb.2732:                             ;   in Loop: Header=BB214_1571 Depth=1
	v_ffbh_u32_e32 v11, v9
	v_min_u32_e32 v11, 32, v11
	v_subrev_nc_u32_e32 v13, 28, v11
	v_sub_nc_u32_e32 v11, 29, v11
	v_lshlrev_b64 v[17:18], v13, v[9:10]
	v_and_b32_e32 v17, 7, v17
; %bb.2733:                             ;   in Loop: Header=BB214_1571 Depth=1
	s_or_b32 exec_lo, exec_lo, s19
	v_lshlrev_b32_e32 v9, 24, v35
	v_lshlrev_b32_e32 v13, 20, v17
	v_lshl_add_u32 v11, v11, 23, 0x3c000000
	v_and_b32_e32 v9, 0x80000000, v9
	v_or3_b32 v9, v13, v9, v11
	v_mov_b32_e32 v18, v10
	v_mov_b32_e32 v17, v9
.LBB214_2734:                           ;   in Loop: Header=BB214_1571 Depth=1
	s_or_b32 exec_lo, exec_lo, s18
.LBB214_2735:                           ;   in Loop: Header=BB214_1571 Depth=1
	s_or_b32 exec_lo, exec_lo, s17
.LBB214_2736:                           ;   in Loop: Header=BB214_1571 Depth=1
	s_or_b32 exec_lo, exec_lo, s15
	v_cmp_ne_u16_sdwa s4, v35, v10 src0_sel:BYTE_1 src1_sel:DWORD
	s_and_saveexec_b32 s15, s4
	s_cbranch_execz .LBB214_2744
; %bb.2737:                             ;   in Loop: Header=BB214_1571 Depth=1
	v_mov_b32_e32 v11, v10
	v_mov_b32_e32 v20, v12
	v_cmp_ne_u16_sdwa s4, v35, v41 src0_sel:BYTE_1 src1_sel:DWORD
	v_mov_b32_e32 v19, v11
	s_and_saveexec_b32 s17, s4
	s_cbranch_execz .LBB214_2743
; %bb.2738:                             ;   in Loop: Header=BB214_1571 Depth=1
	v_and_b32_sdwa v9, v48, v35 dst_sel:DWORD dst_unused:UNUSED_PAD src0_sel:DWORD src1_sel:BYTE_1
	v_mov_b32_e32 v13, v10
	v_mov_b32_e32 v20, v14
	s_mov_b32 s18, exec_lo
	v_and_b32_e32 v21, 0x7f, v9
	v_mov_b32_e32 v19, v13
	v_cmpx_ne_u32_e32 0x7f, v21
	s_cbranch_execz .LBB214_2742
; %bb.2739:                             ;   in Loop: Header=BB214_1571 Depth=1
	v_and_b32_e32 v9, 7, v9
	v_mov_b32_e32 v20, v10
	v_lshrrev_b32_e32 v11, 3, v21
	s_mov_b32 s19, exec_lo
	v_mov_b32_e32 v19, v9
	v_cmpx_gt_u32_e32 8, v21
; %bb.2740:                             ;   in Loop: Header=BB214_1571 Depth=1
	v_ffbh_u32_e32 v11, v9
	v_min_u32_e32 v11, 32, v11
	v_subrev_nc_u32_e32 v13, 28, v11
	v_sub_nc_u32_e32 v11, 29, v11
	v_lshlrev_b64 v[19:20], v13, v[9:10]
	v_and_b32_e32 v19, 7, v19
; %bb.2741:                             ;   in Loop: Header=BB214_1571 Depth=1
	s_or_b32 exec_lo, exec_lo, s19
	v_lshlrev_b32_e32 v9, 16, v35
	v_lshlrev_b32_e32 v13, 20, v19
	v_lshl_add_u32 v11, v11, 23, 0x3c000000
	v_mov_b32_e32 v19, v10
	v_and_b32_e32 v9, 0x80000000, v9
	v_or3_b32 v20, v13, v9, v11
.LBB214_2742:                           ;   in Loop: Header=BB214_1571 Depth=1
	s_or_b32 exec_lo, exec_lo, s18
.LBB214_2743:                           ;   in Loop: Header=BB214_1571 Depth=1
	s_or_b32 exec_lo, exec_lo, s17
.LBB214_2744:                           ;   in Loop: Header=BB214_1571 Depth=1
	s_or_b32 exec_lo, exec_lo, s15
	v_mov_b32_e32 v21, 0
	v_mov_b32_e32 v23, 0
	v_and_b32_sdwa v9, v35, v43 dst_sel:DWORD dst_unused:UNUSED_PAD src0_sel:WORD_1 src1_sel:DWORD
	v_mov_b32_e32 v22, 0
	v_mov_b32_e32 v24, 0
	s_mov_b32 s15, exec_lo
	v_cmpx_ne_u16_e32 0, v9
	s_cbranch_execz .LBB214_2752
; %bb.2745:                             ;   in Loop: Header=BB214_1571 Depth=1
	v_bfrev_b32_e32 v23, 1
	v_mov_b32_e32 v24, 0
	s_mov_b32 s17, exec_lo
	v_cmpx_ne_u16_e32 0x80, v9
	s_cbranch_execz .LBB214_2751
; %bb.2746:                             ;   in Loop: Header=BB214_1571 Depth=1
	v_mov_b32_e32 v23, 0x7f800001
	v_bfe_u32 v13, v35, 16, 7
	v_mov_b32_e32 v24, 0
	s_mov_b32 s18, exec_lo
	v_cmpx_ne_u32_e32 0x7f, v13
	s_cbranch_execz .LBB214_2750
; %bb.2747:                             ;   in Loop: Header=BB214_1571 Depth=1
	v_mov_b32_e32 v9, 7
	v_lshrrev_b32_e32 v11, 3, v13
	s_mov_b32 s19, exec_lo
	v_and_b32_sdwa v9, v35, v9 dst_sel:DWORD dst_unused:UNUSED_PAD src0_sel:WORD_1 src1_sel:DWORD
	v_mov_b32_e32 v24, v10
	v_mov_b32_e32 v23, v9
	v_cmpx_gt_u32_e32 8, v13
; %bb.2748:                             ;   in Loop: Header=BB214_1571 Depth=1
	v_ffbh_u32_e32 v11, v9
	v_min_u32_e32 v11, 32, v11
	v_subrev_nc_u32_e32 v13, 28, v11
	v_sub_nc_u32_e32 v11, 29, v11
	v_lshlrev_b64 v[23:24], v13, v[9:10]
	v_and_b32_e32 v23, 7, v23
; %bb.2749:                             ;   in Loop: Header=BB214_1571 Depth=1
	s_or_b32 exec_lo, exec_lo, s19
	v_mov_b32_e32 v9, 24
	v_lshlrev_b32_e32 v13, 20, v23
	v_lshl_add_u32 v11, v11, 23, 0x3c000000
	v_lshlrev_b32_sdwa v9, v9, v35 dst_sel:DWORD dst_unused:UNUSED_PAD src0_sel:DWORD src1_sel:WORD_1
	v_and_b32_e32 v9, 0x80000000, v9
	v_or3_b32 v9, v13, v9, v11
	v_mov_b32_e32 v24, v10
	v_mov_b32_e32 v23, v9
.LBB214_2750:                           ;   in Loop: Header=BB214_1571 Depth=1
	s_or_b32 exec_lo, exec_lo, s18
.LBB214_2751:                           ;   in Loop: Header=BB214_1571 Depth=1
	s_or_b32 exec_lo, exec_lo, s17
.LBB214_2752:                           ;   in Loop: Header=BB214_1571 Depth=1
	s_or_b32 exec_lo, exec_lo, s15
	s_mov_b32 s15, exec_lo
	v_cmpx_lt_u32_e32 0xffffff, v35
	s_cbranch_execz .LBB214_2760
; %bb.2753:                             ;   in Loop: Header=BB214_1571 Depth=1
	v_mov_b32_e32 v11, v10
	v_mov_b32_e32 v22, v12
	v_cmp_ne_u32_sdwa s4, v35, v41 src0_sel:BYTE_3 src1_sel:DWORD
	v_mov_b32_e32 v21, v11
	s_and_saveexec_b32 s17, s4
	s_cbranch_execz .LBB214_2759
; %bb.2754:                             ;   in Loop: Header=BB214_1571 Depth=1
	v_mov_b32_e32 v13, v10
	v_mov_b32_e32 v22, v14
	v_bfe_u32 v38, v35, 24, 7
	s_mov_b32 s18, exec_lo
	v_mov_b32_e32 v21, v13
	v_cmpx_ne_u32_e32 0x7f, v38
	s_cbranch_execz .LBB214_2758
; %bb.2755:                             ;   in Loop: Header=BB214_1571 Depth=1
	v_mov_b32_e32 v9, 7
	v_lshrrev_b32_e32 v11, 3, v38
	s_mov_b32 s19, exec_lo
	v_and_b32_sdwa v9, v35, v9 dst_sel:DWORD dst_unused:UNUSED_PAD src0_sel:BYTE_3 src1_sel:DWORD
	v_mov_b32_e32 v22, v10
	v_mov_b32_e32 v21, v9
	v_cmpx_gt_u32_e32 8, v38
; %bb.2756:                             ;   in Loop: Header=BB214_1571 Depth=1
	v_ffbh_u32_e32 v11, v9
	v_min_u32_e32 v11, 32, v11
	v_subrev_nc_u32_e32 v13, 28, v11
	v_sub_nc_u32_e32 v11, 29, v11
	v_lshlrev_b64 v[21:22], v13, v[9:10]
	v_and_b32_e32 v21, 7, v21
; %bb.2757:                             ;   in Loop: Header=BB214_1571 Depth=1
	s_or_b32 exec_lo, exec_lo, s19
	v_mov_b32_e32 v9, 24
	v_lshlrev_b32_e32 v13, 20, v21
	v_lshl_add_u32 v11, v11, 23, 0x3c000000
	v_mov_b32_e32 v21, v10
	v_lshlrev_b32_sdwa v9, v9, v35 dst_sel:DWORD dst_unused:UNUSED_PAD src0_sel:DWORD src1_sel:BYTE_3
	v_and_b32_e32 v9, 0x80000000, v9
	v_or3_b32 v22, v13, v9, v11
.LBB214_2758:                           ;   in Loop: Header=BB214_1571 Depth=1
	s_or_b32 exec_lo, exec_lo, s18
.LBB214_2759:                           ;   in Loop: Header=BB214_1571 Depth=1
	s_or_b32 exec_lo, exec_lo, s17
.LBB214_2760:                           ;   in Loop: Header=BB214_1571 Depth=1
	s_or_b32 exec_lo, exec_lo, s15
	v_or_b32_e32 v9, v20, v18
	v_or_b32_e32 v11, v19, v17
	;; [unrolled: 1-line block ×4, first 2 shown]
	v_mul_f32_e32 v39, v74, v9
	v_mul_f32_e32 v38, v74, v11
	;; [unrolled: 1-line block ×4, first 2 shown]
	s_and_saveexec_b32 s15, vcc_lo
	s_cbranch_execz .LBB214_2762
; %bb.2761:                             ;   in Loop: Header=BB214_1571 Depth=1
	buffer_load_dword v9, off, s[0:3], s32 offset:200 ; 4-byte Folded Reload
	s_waitcnt vmcnt(0)
	v_cmp_lt_i32_e64 s4, v79, v9
	v_cndmask_b32_e64 v38, 0, v38, s4
	v_cmp_lt_i32_e64 s4, v90, v9
	v_cndmask_b32_e64 v39, 0, v39, s4
	;; [unrolled: 2-line block ×4, first 2 shown]
.LBB214_2762:                           ;   in Loop: Header=BB214_1571 Depth=1
	s_or_b32 exec_lo, exec_lo, s15
	flat_load_dword v35, v[0:1] offset:384
	v_mov_b32_e32 v19, 0
	v_mov_b32_e32 v17, 0
	;; [unrolled: 1-line block ×4, first 2 shown]
	s_waitcnt vmcnt(0) lgkmcnt(0)
	v_cmp_ne_u16_sdwa s4, v35, v10 src0_sel:BYTE_0 src1_sel:DWORD
	s_and_saveexec_b32 s15, s4
	s_cbranch_execz .LBB214_2770
; %bb.2763:                             ;   in Loop: Header=BB214_1571 Depth=1
	v_bfrev_b32_e32 v17, 1
	v_mov_b32_e32 v18, 0
	v_cmp_ne_u16_sdwa s4, v35, v41 src0_sel:BYTE_0 src1_sel:DWORD
	s_and_saveexec_b32 s17, s4
	s_cbranch_execz .LBB214_2769
; %bb.2764:                             ;   in Loop: Header=BB214_1571 Depth=1
	v_mov_b32_e32 v17, 0x7f800001
	v_and_b32_e32 v13, 0x7f, v35
	v_mov_b32_e32 v18, 0
	s_mov_b32 s18, exec_lo
	v_cmpx_ne_u32_e32 0x7f, v13
	s_cbranch_execz .LBB214_2768
; %bb.2765:                             ;   in Loop: Header=BB214_1571 Depth=1
	v_and_b32_e32 v9, 7, v35
	v_mov_b32_e32 v18, v10
	v_lshrrev_b32_e32 v11, 3, v13
	s_mov_b32 s19, exec_lo
	v_mov_b32_e32 v17, v9
	v_cmpx_gt_u32_e32 8, v13
; %bb.2766:                             ;   in Loop: Header=BB214_1571 Depth=1
	v_ffbh_u32_e32 v11, v9
	v_min_u32_e32 v11, 32, v11
	v_subrev_nc_u32_e32 v13, 28, v11
	v_sub_nc_u32_e32 v11, 29, v11
	v_lshlrev_b64 v[17:18], v13, v[9:10]
	v_and_b32_e32 v17, 7, v17
; %bb.2767:                             ;   in Loop: Header=BB214_1571 Depth=1
	s_or_b32 exec_lo, exec_lo, s19
	v_lshlrev_b32_e32 v9, 24, v35
	v_lshlrev_b32_e32 v13, 20, v17
	v_lshl_add_u32 v11, v11, 23, 0x3c000000
	v_and_b32_e32 v9, 0x80000000, v9
	v_or3_b32 v9, v13, v9, v11
	v_mov_b32_e32 v18, v10
	v_mov_b32_e32 v17, v9
.LBB214_2768:                           ;   in Loop: Header=BB214_1571 Depth=1
	s_or_b32 exec_lo, exec_lo, s18
.LBB214_2769:                           ;   in Loop: Header=BB214_1571 Depth=1
	s_or_b32 exec_lo, exec_lo, s17
.LBB214_2770:                           ;   in Loop: Header=BB214_1571 Depth=1
	s_or_b32 exec_lo, exec_lo, s15
	v_cmp_ne_u16_sdwa s4, v35, v10 src0_sel:BYTE_1 src1_sel:DWORD
	s_and_saveexec_b32 s15, s4
	s_cbranch_execz .LBB214_2778
; %bb.2771:                             ;   in Loop: Header=BB214_1571 Depth=1
	v_mov_b32_e32 v11, v10
	v_mov_b32_e32 v20, v12
	v_cmp_ne_u16_sdwa s4, v35, v41 src0_sel:BYTE_1 src1_sel:DWORD
	v_mov_b32_e32 v19, v11
	s_and_saveexec_b32 s17, s4
	s_cbranch_execz .LBB214_2777
; %bb.2772:                             ;   in Loop: Header=BB214_1571 Depth=1
	v_and_b32_sdwa v9, v48, v35 dst_sel:DWORD dst_unused:UNUSED_PAD src0_sel:DWORD src1_sel:BYTE_1
	v_mov_b32_e32 v13, v10
	v_mov_b32_e32 v20, v14
	s_mov_b32 s18, exec_lo
	v_and_b32_e32 v21, 0x7f, v9
	v_mov_b32_e32 v19, v13
	v_cmpx_ne_u32_e32 0x7f, v21
	s_cbranch_execz .LBB214_2776
; %bb.2773:                             ;   in Loop: Header=BB214_1571 Depth=1
	v_and_b32_e32 v9, 7, v9
	v_mov_b32_e32 v20, v10
	v_lshrrev_b32_e32 v11, 3, v21
	s_mov_b32 s19, exec_lo
	v_mov_b32_e32 v19, v9
	v_cmpx_gt_u32_e32 8, v21
; %bb.2774:                             ;   in Loop: Header=BB214_1571 Depth=1
	v_ffbh_u32_e32 v11, v9
	v_min_u32_e32 v11, 32, v11
	v_subrev_nc_u32_e32 v13, 28, v11
	v_sub_nc_u32_e32 v11, 29, v11
	v_lshlrev_b64 v[19:20], v13, v[9:10]
	v_and_b32_e32 v19, 7, v19
; %bb.2775:                             ;   in Loop: Header=BB214_1571 Depth=1
	s_or_b32 exec_lo, exec_lo, s19
	v_lshlrev_b32_e32 v9, 16, v35
	v_lshlrev_b32_e32 v13, 20, v19
	v_lshl_add_u32 v11, v11, 23, 0x3c000000
	v_mov_b32_e32 v19, v10
	v_and_b32_e32 v9, 0x80000000, v9
	v_or3_b32 v20, v13, v9, v11
.LBB214_2776:                           ;   in Loop: Header=BB214_1571 Depth=1
	s_or_b32 exec_lo, exec_lo, s18
.LBB214_2777:                           ;   in Loop: Header=BB214_1571 Depth=1
	s_or_b32 exec_lo, exec_lo, s17
.LBB214_2778:                           ;   in Loop: Header=BB214_1571 Depth=1
	s_or_b32 exec_lo, exec_lo, s15
	v_mov_b32_e32 v21, 0
	v_mov_b32_e32 v23, 0
	v_and_b32_sdwa v9, v35, v43 dst_sel:DWORD dst_unused:UNUSED_PAD src0_sel:WORD_1 src1_sel:DWORD
	v_mov_b32_e32 v22, 0
	v_mov_b32_e32 v24, 0
	s_mov_b32 s15, exec_lo
	v_cmpx_ne_u16_e32 0, v9
	s_cbranch_execz .LBB214_2786
; %bb.2779:                             ;   in Loop: Header=BB214_1571 Depth=1
	v_bfrev_b32_e32 v23, 1
	v_mov_b32_e32 v24, 0
	s_mov_b32 s17, exec_lo
	v_cmpx_ne_u16_e32 0x80, v9
	s_cbranch_execz .LBB214_2785
; %bb.2780:                             ;   in Loop: Header=BB214_1571 Depth=1
	v_mov_b32_e32 v23, 0x7f800001
	v_bfe_u32 v13, v35, 16, 7
	v_mov_b32_e32 v24, 0
	s_mov_b32 s18, exec_lo
	v_cmpx_ne_u32_e32 0x7f, v13
	s_cbranch_execz .LBB214_2784
; %bb.2781:                             ;   in Loop: Header=BB214_1571 Depth=1
	v_mov_b32_e32 v9, 7
	v_lshrrev_b32_e32 v11, 3, v13
	s_mov_b32 s19, exec_lo
	v_and_b32_sdwa v9, v35, v9 dst_sel:DWORD dst_unused:UNUSED_PAD src0_sel:WORD_1 src1_sel:DWORD
	v_mov_b32_e32 v24, v10
	v_mov_b32_e32 v23, v9
	v_cmpx_gt_u32_e32 8, v13
; %bb.2782:                             ;   in Loop: Header=BB214_1571 Depth=1
	v_ffbh_u32_e32 v11, v9
	v_min_u32_e32 v11, 32, v11
	v_subrev_nc_u32_e32 v13, 28, v11
	v_sub_nc_u32_e32 v11, 29, v11
	v_lshlrev_b64 v[23:24], v13, v[9:10]
	v_and_b32_e32 v23, 7, v23
; %bb.2783:                             ;   in Loop: Header=BB214_1571 Depth=1
	s_or_b32 exec_lo, exec_lo, s19
	v_mov_b32_e32 v9, 24
	v_lshlrev_b32_e32 v13, 20, v23
	v_lshl_add_u32 v11, v11, 23, 0x3c000000
	v_lshlrev_b32_sdwa v9, v9, v35 dst_sel:DWORD dst_unused:UNUSED_PAD src0_sel:DWORD src1_sel:WORD_1
	v_and_b32_e32 v9, 0x80000000, v9
	v_or3_b32 v9, v13, v9, v11
	v_mov_b32_e32 v24, v10
	v_mov_b32_e32 v23, v9
.LBB214_2784:                           ;   in Loop: Header=BB214_1571 Depth=1
	s_or_b32 exec_lo, exec_lo, s18
.LBB214_2785:                           ;   in Loop: Header=BB214_1571 Depth=1
	s_or_b32 exec_lo, exec_lo, s17
.LBB214_2786:                           ;   in Loop: Header=BB214_1571 Depth=1
	s_or_b32 exec_lo, exec_lo, s15
	s_mov_b32 s15, exec_lo
	v_cmpx_lt_u32_e32 0xffffff, v35
	s_cbranch_execz .LBB214_2794
; %bb.2787:                             ;   in Loop: Header=BB214_1571 Depth=1
	v_mov_b32_e32 v11, v10
	v_mov_b32_e32 v22, v12
	v_cmp_ne_u32_sdwa s4, v35, v41 src0_sel:BYTE_3 src1_sel:DWORD
	v_mov_b32_e32 v21, v11
	s_and_saveexec_b32 s17, s4
	s_cbranch_execz .LBB214_2793
; %bb.2788:                             ;   in Loop: Header=BB214_1571 Depth=1
	v_mov_b32_e32 v13, v10
	v_mov_b32_e32 v22, v14
	v_bfe_u32 v48, v35, 24, 7
	s_mov_b32 s18, exec_lo
	v_mov_b32_e32 v21, v13
	v_cmpx_ne_u32_e32 0x7f, v48
	s_cbranch_execz .LBB214_2792
; %bb.2789:                             ;   in Loop: Header=BB214_1571 Depth=1
	v_mov_b32_e32 v9, 7
	v_lshrrev_b32_e32 v11, 3, v48
	s_mov_b32 s19, exec_lo
	v_and_b32_sdwa v9, v35, v9 dst_sel:DWORD dst_unused:UNUSED_PAD src0_sel:BYTE_3 src1_sel:DWORD
	v_mov_b32_e32 v22, v10
	v_mov_b32_e32 v21, v9
	v_cmpx_gt_u32_e32 8, v48
; %bb.2790:                             ;   in Loop: Header=BB214_1571 Depth=1
	v_ffbh_u32_e32 v11, v9
	v_min_u32_e32 v11, 32, v11
	v_subrev_nc_u32_e32 v13, 28, v11
	v_sub_nc_u32_e32 v11, 29, v11
	v_lshlrev_b64 v[21:22], v13, v[9:10]
	v_and_b32_e32 v21, 7, v21
; %bb.2791:                             ;   in Loop: Header=BB214_1571 Depth=1
	s_or_b32 exec_lo, exec_lo, s19
	v_mov_b32_e32 v9, 24
	v_lshlrev_b32_e32 v13, 20, v21
	v_lshl_add_u32 v11, v11, 23, 0x3c000000
	v_mov_b32_e32 v21, v10
	v_lshlrev_b32_sdwa v9, v9, v35 dst_sel:DWORD dst_unused:UNUSED_PAD src0_sel:DWORD src1_sel:BYTE_3
	v_and_b32_e32 v9, 0x80000000, v9
	v_or3_b32 v22, v13, v9, v11
.LBB214_2792:                           ;   in Loop: Header=BB214_1571 Depth=1
	s_or_b32 exec_lo, exec_lo, s18
	v_mov_b32_e32 v48, 0xffff
.LBB214_2793:                           ;   in Loop: Header=BB214_1571 Depth=1
	s_or_b32 exec_lo, exec_lo, s17
.LBB214_2794:                           ;   in Loop: Header=BB214_1571 Depth=1
	s_or_b32 exec_lo, exec_lo, s15
	v_or_b32_e32 v9, v20, v18
	v_or_b32_e32 v11, v19, v17
	;; [unrolled: 1-line block ×4, first 2 shown]
	v_mul_f32_e32 v65, v74, v9
	v_mul_f32_e32 v64, v74, v11
	;; [unrolled: 1-line block ×4, first 2 shown]
	s_and_saveexec_b32 s15, vcc_lo
	s_cbranch_execz .LBB214_2796
; %bb.2795:                             ;   in Loop: Header=BB214_1571 Depth=1
	buffer_load_dword v9, off, s[0:3], s32 offset:200 ; 4-byte Folded Reload
	s_waitcnt vmcnt(0)
	v_cmp_lt_i32_e64 s4, v79, v9
	v_cndmask_b32_e64 v64, 0, v64, s4
	v_cmp_lt_i32_e64 s4, v90, v9
	v_cndmask_b32_e64 v65, 0, v65, s4
	;; [unrolled: 2-line block ×4, first 2 shown]
.LBB214_2796:                           ;   in Loop: Header=BB214_1571 Depth=1
	s_or_b32 exec_lo, exec_lo, s15
	flat_load_dword v35, v[0:1] offset:512
	v_mov_b32_e32 v19, 0
	v_mov_b32_e32 v17, 0
	;; [unrolled: 1-line block ×4, first 2 shown]
	s_waitcnt vmcnt(0) lgkmcnt(0)
	v_cmp_ne_u16_sdwa s4, v35, v10 src0_sel:BYTE_0 src1_sel:DWORD
	s_and_saveexec_b32 s15, s4
	s_cbranch_execz .LBB214_2804
; %bb.2797:                             ;   in Loop: Header=BB214_1571 Depth=1
	v_bfrev_b32_e32 v17, 1
	v_mov_b32_e32 v18, 0
	v_cmp_ne_u16_sdwa s4, v35, v41 src0_sel:BYTE_0 src1_sel:DWORD
	s_and_saveexec_b32 s17, s4
	s_cbranch_execz .LBB214_2803
; %bb.2798:                             ;   in Loop: Header=BB214_1571 Depth=1
	v_mov_b32_e32 v17, 0x7f800001
	v_and_b32_e32 v13, 0x7f, v35
	v_mov_b32_e32 v18, 0
	s_mov_b32 s18, exec_lo
	v_cmpx_ne_u32_e32 0x7f, v13
	s_cbranch_execz .LBB214_2802
; %bb.2799:                             ;   in Loop: Header=BB214_1571 Depth=1
	v_and_b32_e32 v9, 7, v35
	v_mov_b32_e32 v18, v10
	v_lshrrev_b32_e32 v11, 3, v13
	s_mov_b32 s19, exec_lo
	v_mov_b32_e32 v17, v9
	v_cmpx_gt_u32_e32 8, v13
; %bb.2800:                             ;   in Loop: Header=BB214_1571 Depth=1
	v_ffbh_u32_e32 v11, v9
	v_min_u32_e32 v11, 32, v11
	v_subrev_nc_u32_e32 v13, 28, v11
	v_sub_nc_u32_e32 v11, 29, v11
	v_lshlrev_b64 v[17:18], v13, v[9:10]
	v_and_b32_e32 v17, 7, v17
; %bb.2801:                             ;   in Loop: Header=BB214_1571 Depth=1
	s_or_b32 exec_lo, exec_lo, s19
	v_lshlrev_b32_e32 v9, 24, v35
	v_lshlrev_b32_e32 v13, 20, v17
	v_lshl_add_u32 v11, v11, 23, 0x3c000000
	v_and_b32_e32 v9, 0x80000000, v9
	v_or3_b32 v9, v13, v9, v11
	v_mov_b32_e32 v18, v10
	v_mov_b32_e32 v17, v9
.LBB214_2802:                           ;   in Loop: Header=BB214_1571 Depth=1
	s_or_b32 exec_lo, exec_lo, s18
.LBB214_2803:                           ;   in Loop: Header=BB214_1571 Depth=1
	s_or_b32 exec_lo, exec_lo, s17
.LBB214_2804:                           ;   in Loop: Header=BB214_1571 Depth=1
	s_or_b32 exec_lo, exec_lo, s15
	v_cmp_ne_u16_sdwa s4, v35, v10 src0_sel:BYTE_1 src1_sel:DWORD
	s_and_saveexec_b32 s15, s4
	s_cbranch_execz .LBB214_2812
; %bb.2805:                             ;   in Loop: Header=BB214_1571 Depth=1
	v_mov_b32_e32 v11, v10
	v_mov_b32_e32 v20, v12
	v_cmp_ne_u16_sdwa s4, v35, v41 src0_sel:BYTE_1 src1_sel:DWORD
	v_mov_b32_e32 v19, v11
	s_and_saveexec_b32 s17, s4
	s_cbranch_execz .LBB214_2811
; %bb.2806:                             ;   in Loop: Header=BB214_1571 Depth=1
	v_and_b32_sdwa v9, v48, v35 dst_sel:DWORD dst_unused:UNUSED_PAD src0_sel:DWORD src1_sel:BYTE_1
	v_mov_b32_e32 v13, v10
	v_mov_b32_e32 v20, v14
	s_mov_b32 s18, exec_lo
	v_and_b32_e32 v21, 0x7f, v9
	v_mov_b32_e32 v19, v13
	v_cmpx_ne_u32_e32 0x7f, v21
	s_cbranch_execz .LBB214_2810
; %bb.2807:                             ;   in Loop: Header=BB214_1571 Depth=1
	v_and_b32_e32 v9, 7, v9
	v_mov_b32_e32 v20, v10
	v_lshrrev_b32_e32 v11, 3, v21
	s_mov_b32 s19, exec_lo
	v_mov_b32_e32 v19, v9
	v_cmpx_gt_u32_e32 8, v21
; %bb.2808:                             ;   in Loop: Header=BB214_1571 Depth=1
	v_ffbh_u32_e32 v11, v9
	v_min_u32_e32 v11, 32, v11
	v_subrev_nc_u32_e32 v13, 28, v11
	v_sub_nc_u32_e32 v11, 29, v11
	v_lshlrev_b64 v[19:20], v13, v[9:10]
	v_and_b32_e32 v19, 7, v19
; %bb.2809:                             ;   in Loop: Header=BB214_1571 Depth=1
	s_or_b32 exec_lo, exec_lo, s19
	v_lshlrev_b32_e32 v9, 16, v35
	v_lshlrev_b32_e32 v13, 20, v19
	v_lshl_add_u32 v11, v11, 23, 0x3c000000
	v_mov_b32_e32 v19, v10
	v_and_b32_e32 v9, 0x80000000, v9
	v_or3_b32 v20, v13, v9, v11
.LBB214_2810:                           ;   in Loop: Header=BB214_1571 Depth=1
	s_or_b32 exec_lo, exec_lo, s18
.LBB214_2811:                           ;   in Loop: Header=BB214_1571 Depth=1
	s_or_b32 exec_lo, exec_lo, s17
.LBB214_2812:                           ;   in Loop: Header=BB214_1571 Depth=1
	s_or_b32 exec_lo, exec_lo, s15
	v_mov_b32_e32 v21, 0
	v_mov_b32_e32 v23, 0
	v_and_b32_sdwa v9, v35, v43 dst_sel:DWORD dst_unused:UNUSED_PAD src0_sel:WORD_1 src1_sel:DWORD
	v_mov_b32_e32 v22, 0
	v_mov_b32_e32 v24, 0
	s_mov_b32 s15, exec_lo
	v_cmpx_ne_u16_e32 0, v9
	s_cbranch_execz .LBB214_2820
; %bb.2813:                             ;   in Loop: Header=BB214_1571 Depth=1
	v_bfrev_b32_e32 v23, 1
	v_mov_b32_e32 v24, 0
	s_mov_b32 s17, exec_lo
	v_cmpx_ne_u16_e32 0x80, v9
	s_cbranch_execz .LBB214_2819
; %bb.2814:                             ;   in Loop: Header=BB214_1571 Depth=1
	v_mov_b32_e32 v23, 0x7f800001
	v_bfe_u32 v13, v35, 16, 7
	v_mov_b32_e32 v24, 0
	s_mov_b32 s18, exec_lo
	v_cmpx_ne_u32_e32 0x7f, v13
	s_cbranch_execz .LBB214_2818
; %bb.2815:                             ;   in Loop: Header=BB214_1571 Depth=1
	v_mov_b32_e32 v9, 7
	v_lshrrev_b32_e32 v11, 3, v13
	s_mov_b32 s19, exec_lo
	v_and_b32_sdwa v9, v35, v9 dst_sel:DWORD dst_unused:UNUSED_PAD src0_sel:WORD_1 src1_sel:DWORD
	v_mov_b32_e32 v24, v10
	v_mov_b32_e32 v23, v9
	v_cmpx_gt_u32_e32 8, v13
; %bb.2816:                             ;   in Loop: Header=BB214_1571 Depth=1
	v_ffbh_u32_e32 v11, v9
	v_min_u32_e32 v11, 32, v11
	v_subrev_nc_u32_e32 v13, 28, v11
	v_sub_nc_u32_e32 v11, 29, v11
	v_lshlrev_b64 v[23:24], v13, v[9:10]
	v_and_b32_e32 v23, 7, v23
; %bb.2817:                             ;   in Loop: Header=BB214_1571 Depth=1
	s_or_b32 exec_lo, exec_lo, s19
	v_mov_b32_e32 v9, 24
	v_lshlrev_b32_e32 v13, 20, v23
	v_lshl_add_u32 v11, v11, 23, 0x3c000000
	v_lshlrev_b32_sdwa v9, v9, v35 dst_sel:DWORD dst_unused:UNUSED_PAD src0_sel:DWORD src1_sel:WORD_1
	v_and_b32_e32 v9, 0x80000000, v9
	v_or3_b32 v9, v13, v9, v11
	v_mov_b32_e32 v24, v10
	v_mov_b32_e32 v23, v9
.LBB214_2818:                           ;   in Loop: Header=BB214_1571 Depth=1
	s_or_b32 exec_lo, exec_lo, s18
.LBB214_2819:                           ;   in Loop: Header=BB214_1571 Depth=1
	s_or_b32 exec_lo, exec_lo, s17
.LBB214_2820:                           ;   in Loop: Header=BB214_1571 Depth=1
	s_or_b32 exec_lo, exec_lo, s15
	s_mov_b32 s15, exec_lo
	v_cmpx_lt_u32_e32 0xffffff, v35
	s_cbranch_execz .LBB214_2828
; %bb.2821:                             ;   in Loop: Header=BB214_1571 Depth=1
	v_mov_b32_e32 v11, v10
	v_mov_b32_e32 v22, v12
	v_cmp_ne_u32_sdwa s4, v35, v41 src0_sel:BYTE_3 src1_sel:DWORD
	v_mov_b32_e32 v21, v11
	s_and_saveexec_b32 s17, s4
	s_cbranch_execz .LBB214_2827
; %bb.2822:                             ;   in Loop: Header=BB214_1571 Depth=1
	v_mov_b32_e32 v13, v10
	v_mov_b32_e32 v22, v14
	v_bfe_u32 v48, v35, 24, 7
	s_mov_b32 s18, exec_lo
	v_mov_b32_e32 v21, v13
	v_cmpx_ne_u32_e32 0x7f, v48
	s_cbranch_execz .LBB214_2826
; %bb.2823:                             ;   in Loop: Header=BB214_1571 Depth=1
	v_mov_b32_e32 v9, 7
	v_lshrrev_b32_e32 v11, 3, v48
	s_mov_b32 s19, exec_lo
	v_and_b32_sdwa v9, v35, v9 dst_sel:DWORD dst_unused:UNUSED_PAD src0_sel:BYTE_3 src1_sel:DWORD
	v_mov_b32_e32 v22, v10
	v_mov_b32_e32 v21, v9
	v_cmpx_gt_u32_e32 8, v48
; %bb.2824:                             ;   in Loop: Header=BB214_1571 Depth=1
	v_ffbh_u32_e32 v11, v9
	v_min_u32_e32 v11, 32, v11
	v_subrev_nc_u32_e32 v13, 28, v11
	v_sub_nc_u32_e32 v11, 29, v11
	v_lshlrev_b64 v[21:22], v13, v[9:10]
	v_and_b32_e32 v21, 7, v21
; %bb.2825:                             ;   in Loop: Header=BB214_1571 Depth=1
	s_or_b32 exec_lo, exec_lo, s19
	v_mov_b32_e32 v9, 24
	v_lshlrev_b32_e32 v13, 20, v21
	v_lshl_add_u32 v11, v11, 23, 0x3c000000
	v_mov_b32_e32 v21, v10
	v_lshlrev_b32_sdwa v9, v9, v35 dst_sel:DWORD dst_unused:UNUSED_PAD src0_sel:DWORD src1_sel:BYTE_3
	v_and_b32_e32 v9, 0x80000000, v9
	v_or3_b32 v22, v13, v9, v11
.LBB214_2826:                           ;   in Loop: Header=BB214_1571 Depth=1
	s_or_b32 exec_lo, exec_lo, s18
	v_mov_b32_e32 v48, 0xffff
.LBB214_2827:                           ;   in Loop: Header=BB214_1571 Depth=1
	s_or_b32 exec_lo, exec_lo, s17
.LBB214_2828:                           ;   in Loop: Header=BB214_1571 Depth=1
	s_or_b32 exec_lo, exec_lo, s15
	v_or_b32_e32 v9, v20, v18
	v_or_b32_e32 v11, v19, v17
	;; [unrolled: 1-line block ×4, first 2 shown]
	v_mul_f32_e32 v68, v74, v9
	v_mul_f32_e32 v115, v74, v11
	v_mul_f32_e32 v66, v74, v13
	v_mul_f32_e32 v35, v74, v17
	s_and_saveexec_b32 s15, vcc_lo
	s_cbranch_execz .LBB214_2830
; %bb.2829:                             ;   in Loop: Header=BB214_1571 Depth=1
	buffer_load_dword v9, off, s[0:3], s32 offset:200 ; 4-byte Folded Reload
	s_waitcnt vmcnt(0)
	v_cmp_lt_i32_e64 s4, v79, v9
	v_cndmask_b32_e64 v115, 0, v115, s4
	v_cmp_lt_i32_e64 s4, v90, v9
	v_cndmask_b32_e64 v68, 0, v68, s4
	;; [unrolled: 2-line block ×4, first 2 shown]
.LBB214_2830:                           ;   in Loop: Header=BB214_1571 Depth=1
	s_or_b32 exec_lo, exec_lo, s15
	flat_load_dword v69, v[0:1] offset:640
	v_mov_b32_e32 v19, 0
	v_mov_b32_e32 v17, 0
	;; [unrolled: 1-line block ×4, first 2 shown]
	s_waitcnt vmcnt(0) lgkmcnt(0)
	v_cmp_ne_u16_sdwa s4, v69, v10 src0_sel:BYTE_0 src1_sel:DWORD
	s_and_saveexec_b32 s15, s4
	s_cbranch_execz .LBB214_2838
; %bb.2831:                             ;   in Loop: Header=BB214_1571 Depth=1
	v_bfrev_b32_e32 v17, 1
	v_mov_b32_e32 v18, 0
	v_cmp_ne_u16_sdwa s4, v69, v41 src0_sel:BYTE_0 src1_sel:DWORD
	s_and_saveexec_b32 s17, s4
	s_cbranch_execz .LBB214_2837
; %bb.2832:                             ;   in Loop: Header=BB214_1571 Depth=1
	v_mov_b32_e32 v17, 0x7f800001
	v_and_b32_e32 v13, 0x7f, v69
	v_mov_b32_e32 v18, 0
	s_mov_b32 s18, exec_lo
	v_cmpx_ne_u32_e32 0x7f, v13
	s_cbranch_execz .LBB214_2836
; %bb.2833:                             ;   in Loop: Header=BB214_1571 Depth=1
	v_and_b32_e32 v9, 7, v69
	v_mov_b32_e32 v18, v10
	v_lshrrev_b32_e32 v11, 3, v13
	s_mov_b32 s19, exec_lo
	v_mov_b32_e32 v17, v9
	v_cmpx_gt_u32_e32 8, v13
; %bb.2834:                             ;   in Loop: Header=BB214_1571 Depth=1
	v_ffbh_u32_e32 v11, v9
	v_min_u32_e32 v11, 32, v11
	v_subrev_nc_u32_e32 v13, 28, v11
	v_sub_nc_u32_e32 v11, 29, v11
	v_lshlrev_b64 v[17:18], v13, v[9:10]
	v_and_b32_e32 v17, 7, v17
; %bb.2835:                             ;   in Loop: Header=BB214_1571 Depth=1
	s_or_b32 exec_lo, exec_lo, s19
	v_lshlrev_b32_e32 v9, 24, v69
	v_lshlrev_b32_e32 v13, 20, v17
	v_lshl_add_u32 v11, v11, 23, 0x3c000000
	v_and_b32_e32 v9, 0x80000000, v9
	v_or3_b32 v9, v13, v9, v11
	v_mov_b32_e32 v18, v10
	v_mov_b32_e32 v17, v9
.LBB214_2836:                           ;   in Loop: Header=BB214_1571 Depth=1
	s_or_b32 exec_lo, exec_lo, s18
.LBB214_2837:                           ;   in Loop: Header=BB214_1571 Depth=1
	s_or_b32 exec_lo, exec_lo, s17
.LBB214_2838:                           ;   in Loop: Header=BB214_1571 Depth=1
	s_or_b32 exec_lo, exec_lo, s15
	v_cmp_ne_u16_sdwa s4, v69, v10 src0_sel:BYTE_1 src1_sel:DWORD
	s_and_saveexec_b32 s15, s4
	s_cbranch_execz .LBB214_2846
; %bb.2839:                             ;   in Loop: Header=BB214_1571 Depth=1
	v_mov_b32_e32 v11, v10
	v_mov_b32_e32 v20, v12
	v_cmp_ne_u16_sdwa s4, v69, v41 src0_sel:BYTE_1 src1_sel:DWORD
	v_mov_b32_e32 v19, v11
	s_and_saveexec_b32 s17, s4
	s_cbranch_execz .LBB214_2845
; %bb.2840:                             ;   in Loop: Header=BB214_1571 Depth=1
	v_and_b32_sdwa v9, v48, v69 dst_sel:DWORD dst_unused:UNUSED_PAD src0_sel:DWORD src1_sel:BYTE_1
	v_mov_b32_e32 v13, v10
	v_mov_b32_e32 v20, v14
	s_mov_b32 s18, exec_lo
	v_and_b32_e32 v21, 0x7f, v9
	v_mov_b32_e32 v19, v13
	v_cmpx_ne_u32_e32 0x7f, v21
	s_cbranch_execz .LBB214_2844
; %bb.2841:                             ;   in Loop: Header=BB214_1571 Depth=1
	v_and_b32_e32 v9, 7, v9
	v_mov_b32_e32 v20, v10
	v_lshrrev_b32_e32 v11, 3, v21
	s_mov_b32 s19, exec_lo
	v_mov_b32_e32 v19, v9
	v_cmpx_gt_u32_e32 8, v21
; %bb.2842:                             ;   in Loop: Header=BB214_1571 Depth=1
	v_ffbh_u32_e32 v11, v9
	v_min_u32_e32 v11, 32, v11
	v_subrev_nc_u32_e32 v13, 28, v11
	v_sub_nc_u32_e32 v11, 29, v11
	v_lshlrev_b64 v[19:20], v13, v[9:10]
	v_and_b32_e32 v19, 7, v19
; %bb.2843:                             ;   in Loop: Header=BB214_1571 Depth=1
	s_or_b32 exec_lo, exec_lo, s19
	v_lshlrev_b32_e32 v9, 16, v69
	v_lshlrev_b32_e32 v13, 20, v19
	v_lshl_add_u32 v11, v11, 23, 0x3c000000
	v_mov_b32_e32 v19, v10
	v_and_b32_e32 v9, 0x80000000, v9
	v_or3_b32 v20, v13, v9, v11
.LBB214_2844:                           ;   in Loop: Header=BB214_1571 Depth=1
	s_or_b32 exec_lo, exec_lo, s18
.LBB214_2845:                           ;   in Loop: Header=BB214_1571 Depth=1
	s_or_b32 exec_lo, exec_lo, s17
.LBB214_2846:                           ;   in Loop: Header=BB214_1571 Depth=1
	s_or_b32 exec_lo, exec_lo, s15
	v_mov_b32_e32 v21, 0
	v_mov_b32_e32 v23, 0
	v_and_b32_sdwa v9, v69, v43 dst_sel:DWORD dst_unused:UNUSED_PAD src0_sel:WORD_1 src1_sel:DWORD
	v_mov_b32_e32 v22, 0
	v_mov_b32_e32 v24, 0
	s_mov_b32 s15, exec_lo
	v_cmpx_ne_u16_e32 0, v9
	s_cbranch_execz .LBB214_2854
; %bb.2847:                             ;   in Loop: Header=BB214_1571 Depth=1
	v_bfrev_b32_e32 v23, 1
	v_mov_b32_e32 v24, 0
	s_mov_b32 s17, exec_lo
	v_cmpx_ne_u16_e32 0x80, v9
	s_cbranch_execz .LBB214_2853
; %bb.2848:                             ;   in Loop: Header=BB214_1571 Depth=1
	v_mov_b32_e32 v23, 0x7f800001
	v_bfe_u32 v13, v69, 16, 7
	v_mov_b32_e32 v24, 0
	s_mov_b32 s18, exec_lo
	v_cmpx_ne_u32_e32 0x7f, v13
	s_cbranch_execz .LBB214_2852
; %bb.2849:                             ;   in Loop: Header=BB214_1571 Depth=1
	v_mov_b32_e32 v9, 7
	v_lshrrev_b32_e32 v11, 3, v13
	s_mov_b32 s19, exec_lo
	v_and_b32_sdwa v9, v69, v9 dst_sel:DWORD dst_unused:UNUSED_PAD src0_sel:WORD_1 src1_sel:DWORD
	v_mov_b32_e32 v24, v10
	v_mov_b32_e32 v23, v9
	v_cmpx_gt_u32_e32 8, v13
; %bb.2850:                             ;   in Loop: Header=BB214_1571 Depth=1
	v_ffbh_u32_e32 v11, v9
	v_min_u32_e32 v11, 32, v11
	v_subrev_nc_u32_e32 v13, 28, v11
	v_sub_nc_u32_e32 v11, 29, v11
	v_lshlrev_b64 v[23:24], v13, v[9:10]
	v_and_b32_e32 v23, 7, v23
; %bb.2851:                             ;   in Loop: Header=BB214_1571 Depth=1
	s_or_b32 exec_lo, exec_lo, s19
	v_mov_b32_e32 v9, 24
	v_lshlrev_b32_e32 v13, 20, v23
	v_lshl_add_u32 v11, v11, 23, 0x3c000000
	v_lshlrev_b32_sdwa v9, v9, v69 dst_sel:DWORD dst_unused:UNUSED_PAD src0_sel:DWORD src1_sel:WORD_1
	v_and_b32_e32 v9, 0x80000000, v9
	v_or3_b32 v9, v13, v9, v11
	v_mov_b32_e32 v24, v10
	v_mov_b32_e32 v23, v9
.LBB214_2852:                           ;   in Loop: Header=BB214_1571 Depth=1
	s_or_b32 exec_lo, exec_lo, s18
.LBB214_2853:                           ;   in Loop: Header=BB214_1571 Depth=1
	s_or_b32 exec_lo, exec_lo, s17
.LBB214_2854:                           ;   in Loop: Header=BB214_1571 Depth=1
	s_or_b32 exec_lo, exec_lo, s15
	s_mov_b32 s15, exec_lo
	v_cmpx_lt_u32_e32 0xffffff, v69
	s_cbranch_execz .LBB214_2862
; %bb.2855:                             ;   in Loop: Header=BB214_1571 Depth=1
	v_mov_b32_e32 v11, v10
	v_mov_b32_e32 v22, v12
	v_cmp_ne_u32_sdwa s4, v69, v41 src0_sel:BYTE_3 src1_sel:DWORD
	v_mov_b32_e32 v21, v11
	s_and_saveexec_b32 s17, s4
	s_cbranch_execz .LBB214_2861
; %bb.2856:                             ;   in Loop: Header=BB214_1571 Depth=1
	v_mov_b32_e32 v13, v10
	v_mov_b32_e32 v22, v14
	v_bfe_u32 v48, v69, 24, 7
	s_mov_b32 s18, exec_lo
	v_mov_b32_e32 v21, v13
	v_cmpx_ne_u32_e32 0x7f, v48
	s_cbranch_execz .LBB214_2860
; %bb.2857:                             ;   in Loop: Header=BB214_1571 Depth=1
	v_mov_b32_e32 v9, 7
	v_lshrrev_b32_e32 v11, 3, v48
	s_mov_b32 s19, exec_lo
	v_and_b32_sdwa v9, v69, v9 dst_sel:DWORD dst_unused:UNUSED_PAD src0_sel:BYTE_3 src1_sel:DWORD
	v_mov_b32_e32 v22, v10
	v_mov_b32_e32 v21, v9
	v_cmpx_gt_u32_e32 8, v48
; %bb.2858:                             ;   in Loop: Header=BB214_1571 Depth=1
	v_ffbh_u32_e32 v11, v9
	v_min_u32_e32 v11, 32, v11
	v_subrev_nc_u32_e32 v13, 28, v11
	v_sub_nc_u32_e32 v11, 29, v11
	v_lshlrev_b64 v[21:22], v13, v[9:10]
	v_and_b32_e32 v21, 7, v21
; %bb.2859:                             ;   in Loop: Header=BB214_1571 Depth=1
	s_or_b32 exec_lo, exec_lo, s19
	v_mov_b32_e32 v9, 24
	v_lshlrev_b32_e32 v13, 20, v21
	v_lshl_add_u32 v11, v11, 23, 0x3c000000
	v_mov_b32_e32 v21, v10
	v_lshlrev_b32_sdwa v9, v9, v69 dst_sel:DWORD dst_unused:UNUSED_PAD src0_sel:DWORD src1_sel:BYTE_3
	v_and_b32_e32 v9, 0x80000000, v9
	v_or3_b32 v22, v13, v9, v11
.LBB214_2860:                           ;   in Loop: Header=BB214_1571 Depth=1
	s_or_b32 exec_lo, exec_lo, s18
	v_mov_b32_e32 v48, 0xffff
.LBB214_2861:                           ;   in Loop: Header=BB214_1571 Depth=1
	s_or_b32 exec_lo, exec_lo, s17
.LBB214_2862:                           ;   in Loop: Header=BB214_1571 Depth=1
	s_or_b32 exec_lo, exec_lo, s15
	v_or_b32_e32 v9, v20, v18
	v_or_b32_e32 v11, v19, v17
	;; [unrolled: 1-line block ×4, first 2 shown]
	v_mul_f32_e32 v81, v74, v9
	v_mul_f32_e32 v80, v74, v11
	;; [unrolled: 1-line block ×4, first 2 shown]
	s_and_saveexec_b32 s15, vcc_lo
	s_cbranch_execz .LBB214_2864
; %bb.2863:                             ;   in Loop: Header=BB214_1571 Depth=1
	buffer_load_dword v9, off, s[0:3], s32 offset:200 ; 4-byte Folded Reload
	s_waitcnt vmcnt(0)
	v_cmp_lt_i32_e64 s4, v79, v9
	v_cndmask_b32_e64 v80, 0, v80, s4
	v_cmp_lt_i32_e64 s4, v90, v9
	v_cndmask_b32_e64 v81, 0, v81, s4
	;; [unrolled: 2-line block ×4, first 2 shown]
.LBB214_2864:                           ;   in Loop: Header=BB214_1571 Depth=1
	s_or_b32 exec_lo, exec_lo, s15
	flat_load_dword v69, v[0:1] offset:768
	v_mov_b32_e32 v19, 0
	v_mov_b32_e32 v17, 0
	;; [unrolled: 1-line block ×4, first 2 shown]
	s_waitcnt vmcnt(0) lgkmcnt(0)
	v_cmp_ne_u16_sdwa s4, v69, v10 src0_sel:BYTE_0 src1_sel:DWORD
	s_and_saveexec_b32 s15, s4
	s_cbranch_execz .LBB214_2872
; %bb.2865:                             ;   in Loop: Header=BB214_1571 Depth=1
	v_bfrev_b32_e32 v17, 1
	v_mov_b32_e32 v18, 0
	v_cmp_ne_u16_sdwa s4, v69, v41 src0_sel:BYTE_0 src1_sel:DWORD
	s_and_saveexec_b32 s17, s4
	s_cbranch_execz .LBB214_2871
; %bb.2866:                             ;   in Loop: Header=BB214_1571 Depth=1
	v_mov_b32_e32 v17, 0x7f800001
	v_and_b32_e32 v13, 0x7f, v69
	v_mov_b32_e32 v18, 0
	s_mov_b32 s18, exec_lo
	v_cmpx_ne_u32_e32 0x7f, v13
	s_cbranch_execz .LBB214_2870
; %bb.2867:                             ;   in Loop: Header=BB214_1571 Depth=1
	v_and_b32_e32 v9, 7, v69
	v_mov_b32_e32 v18, v10
	v_lshrrev_b32_e32 v11, 3, v13
	s_mov_b32 s19, exec_lo
	v_mov_b32_e32 v17, v9
	v_cmpx_gt_u32_e32 8, v13
; %bb.2868:                             ;   in Loop: Header=BB214_1571 Depth=1
	v_ffbh_u32_e32 v11, v9
	v_min_u32_e32 v11, 32, v11
	v_subrev_nc_u32_e32 v13, 28, v11
	v_sub_nc_u32_e32 v11, 29, v11
	v_lshlrev_b64 v[17:18], v13, v[9:10]
	v_and_b32_e32 v17, 7, v17
; %bb.2869:                             ;   in Loop: Header=BB214_1571 Depth=1
	s_or_b32 exec_lo, exec_lo, s19
	v_lshlrev_b32_e32 v9, 24, v69
	v_lshlrev_b32_e32 v13, 20, v17
	v_lshl_add_u32 v11, v11, 23, 0x3c000000
	v_and_b32_e32 v9, 0x80000000, v9
	v_or3_b32 v9, v13, v9, v11
	v_mov_b32_e32 v18, v10
	v_mov_b32_e32 v17, v9
.LBB214_2870:                           ;   in Loop: Header=BB214_1571 Depth=1
	s_or_b32 exec_lo, exec_lo, s18
.LBB214_2871:                           ;   in Loop: Header=BB214_1571 Depth=1
	s_or_b32 exec_lo, exec_lo, s17
.LBB214_2872:                           ;   in Loop: Header=BB214_1571 Depth=1
	s_or_b32 exec_lo, exec_lo, s15
	v_cmp_ne_u16_sdwa s4, v69, v10 src0_sel:BYTE_1 src1_sel:DWORD
	s_and_saveexec_b32 s15, s4
	s_cbranch_execz .LBB214_2880
; %bb.2873:                             ;   in Loop: Header=BB214_1571 Depth=1
	v_mov_b32_e32 v11, v10
	v_mov_b32_e32 v20, v12
	v_cmp_ne_u16_sdwa s4, v69, v41 src0_sel:BYTE_1 src1_sel:DWORD
	v_mov_b32_e32 v19, v11
	s_and_saveexec_b32 s17, s4
	s_cbranch_execz .LBB214_2879
; %bb.2874:                             ;   in Loop: Header=BB214_1571 Depth=1
	v_and_b32_sdwa v9, v48, v69 dst_sel:DWORD dst_unused:UNUSED_PAD src0_sel:DWORD src1_sel:BYTE_1
	v_mov_b32_e32 v13, v10
	v_mov_b32_e32 v20, v14
	s_mov_b32 s18, exec_lo
	v_and_b32_e32 v21, 0x7f, v9
	v_mov_b32_e32 v19, v13
	v_cmpx_ne_u32_e32 0x7f, v21
	s_cbranch_execz .LBB214_2878
; %bb.2875:                             ;   in Loop: Header=BB214_1571 Depth=1
	v_and_b32_e32 v9, 7, v9
	v_mov_b32_e32 v20, v10
	v_lshrrev_b32_e32 v11, 3, v21
	s_mov_b32 s19, exec_lo
	v_mov_b32_e32 v19, v9
	v_cmpx_gt_u32_e32 8, v21
; %bb.2876:                             ;   in Loop: Header=BB214_1571 Depth=1
	v_ffbh_u32_e32 v11, v9
	v_min_u32_e32 v11, 32, v11
	v_subrev_nc_u32_e32 v13, 28, v11
	v_sub_nc_u32_e32 v11, 29, v11
	v_lshlrev_b64 v[19:20], v13, v[9:10]
	v_and_b32_e32 v19, 7, v19
; %bb.2877:                             ;   in Loop: Header=BB214_1571 Depth=1
	s_or_b32 exec_lo, exec_lo, s19
	v_lshlrev_b32_e32 v9, 16, v69
	v_lshlrev_b32_e32 v13, 20, v19
	v_lshl_add_u32 v11, v11, 23, 0x3c000000
	v_mov_b32_e32 v19, v10
	v_and_b32_e32 v9, 0x80000000, v9
	v_or3_b32 v20, v13, v9, v11
.LBB214_2878:                           ;   in Loop: Header=BB214_1571 Depth=1
	s_or_b32 exec_lo, exec_lo, s18
.LBB214_2879:                           ;   in Loop: Header=BB214_1571 Depth=1
	s_or_b32 exec_lo, exec_lo, s17
.LBB214_2880:                           ;   in Loop: Header=BB214_1571 Depth=1
	s_or_b32 exec_lo, exec_lo, s15
	v_mov_b32_e32 v21, 0
	v_mov_b32_e32 v23, 0
	v_and_b32_sdwa v9, v69, v43 dst_sel:DWORD dst_unused:UNUSED_PAD src0_sel:WORD_1 src1_sel:DWORD
	v_mov_b32_e32 v22, 0
	v_mov_b32_e32 v24, 0
	s_mov_b32 s15, exec_lo
	v_cmpx_ne_u16_e32 0, v9
	s_cbranch_execz .LBB214_2888
; %bb.2881:                             ;   in Loop: Header=BB214_1571 Depth=1
	v_bfrev_b32_e32 v23, 1
	v_mov_b32_e32 v24, 0
	s_mov_b32 s17, exec_lo
	v_cmpx_ne_u16_e32 0x80, v9
	s_cbranch_execz .LBB214_2887
; %bb.2882:                             ;   in Loop: Header=BB214_1571 Depth=1
	v_mov_b32_e32 v23, 0x7f800001
	v_bfe_u32 v13, v69, 16, 7
	v_mov_b32_e32 v24, 0
	s_mov_b32 s18, exec_lo
	v_cmpx_ne_u32_e32 0x7f, v13
	s_cbranch_execz .LBB214_2886
; %bb.2883:                             ;   in Loop: Header=BB214_1571 Depth=1
	v_mov_b32_e32 v9, 7
	v_lshrrev_b32_e32 v11, 3, v13
	s_mov_b32 s19, exec_lo
	v_and_b32_sdwa v9, v69, v9 dst_sel:DWORD dst_unused:UNUSED_PAD src0_sel:WORD_1 src1_sel:DWORD
	v_mov_b32_e32 v24, v10
	v_mov_b32_e32 v23, v9
	v_cmpx_gt_u32_e32 8, v13
; %bb.2884:                             ;   in Loop: Header=BB214_1571 Depth=1
	v_ffbh_u32_e32 v11, v9
	v_min_u32_e32 v11, 32, v11
	v_subrev_nc_u32_e32 v13, 28, v11
	v_sub_nc_u32_e32 v11, 29, v11
	v_lshlrev_b64 v[23:24], v13, v[9:10]
	v_and_b32_e32 v23, 7, v23
; %bb.2885:                             ;   in Loop: Header=BB214_1571 Depth=1
	s_or_b32 exec_lo, exec_lo, s19
	v_mov_b32_e32 v9, 24
	v_lshlrev_b32_e32 v13, 20, v23
	v_lshl_add_u32 v11, v11, 23, 0x3c000000
	v_lshlrev_b32_sdwa v9, v9, v69 dst_sel:DWORD dst_unused:UNUSED_PAD src0_sel:DWORD src1_sel:WORD_1
	v_and_b32_e32 v9, 0x80000000, v9
	v_or3_b32 v9, v13, v9, v11
	v_mov_b32_e32 v24, v10
	v_mov_b32_e32 v23, v9
.LBB214_2886:                           ;   in Loop: Header=BB214_1571 Depth=1
	s_or_b32 exec_lo, exec_lo, s18
.LBB214_2887:                           ;   in Loop: Header=BB214_1571 Depth=1
	s_or_b32 exec_lo, exec_lo, s17
.LBB214_2888:                           ;   in Loop: Header=BB214_1571 Depth=1
	s_or_b32 exec_lo, exec_lo, s15
	s_mov_b32 s15, exec_lo
	v_cmpx_lt_u32_e32 0xffffff, v69
	s_cbranch_execz .LBB214_2896
; %bb.2889:                             ;   in Loop: Header=BB214_1571 Depth=1
	v_mov_b32_e32 v11, v10
	v_mov_b32_e32 v22, v12
	v_cmp_ne_u32_sdwa s4, v69, v41 src0_sel:BYTE_3 src1_sel:DWORD
	v_mov_b32_e32 v21, v11
	s_and_saveexec_b32 s17, s4
	s_cbranch_execz .LBB214_2895
; %bb.2890:                             ;   in Loop: Header=BB214_1571 Depth=1
	v_mov_b32_e32 v13, v10
	v_mov_b32_e32 v22, v14
	v_bfe_u32 v48, v69, 24, 7
	s_mov_b32 s18, exec_lo
	v_mov_b32_e32 v21, v13
	v_cmpx_ne_u32_e32 0x7f, v48
	s_cbranch_execz .LBB214_2894
; %bb.2891:                             ;   in Loop: Header=BB214_1571 Depth=1
	v_mov_b32_e32 v9, 7
	v_lshrrev_b32_e32 v11, 3, v48
	s_mov_b32 s19, exec_lo
	v_and_b32_sdwa v9, v69, v9 dst_sel:DWORD dst_unused:UNUSED_PAD src0_sel:BYTE_3 src1_sel:DWORD
	v_mov_b32_e32 v22, v10
	v_mov_b32_e32 v21, v9
	v_cmpx_gt_u32_e32 8, v48
; %bb.2892:                             ;   in Loop: Header=BB214_1571 Depth=1
	v_ffbh_u32_e32 v11, v9
	v_min_u32_e32 v11, 32, v11
	v_subrev_nc_u32_e32 v13, 28, v11
	v_sub_nc_u32_e32 v11, 29, v11
	v_lshlrev_b64 v[21:22], v13, v[9:10]
	v_and_b32_e32 v21, 7, v21
; %bb.2893:                             ;   in Loop: Header=BB214_1571 Depth=1
	s_or_b32 exec_lo, exec_lo, s19
	v_mov_b32_e32 v9, 24
	v_lshlrev_b32_e32 v13, 20, v21
	v_lshl_add_u32 v11, v11, 23, 0x3c000000
	v_mov_b32_e32 v21, v10
	v_lshlrev_b32_sdwa v9, v9, v69 dst_sel:DWORD dst_unused:UNUSED_PAD src0_sel:DWORD src1_sel:BYTE_3
	v_and_b32_e32 v9, 0x80000000, v9
	v_or3_b32 v22, v13, v9, v11
.LBB214_2894:                           ;   in Loop: Header=BB214_1571 Depth=1
	s_or_b32 exec_lo, exec_lo, s18
	v_mov_b32_e32 v48, 0xffff
.LBB214_2895:                           ;   in Loop: Header=BB214_1571 Depth=1
	s_or_b32 exec_lo, exec_lo, s17
.LBB214_2896:                           ;   in Loop: Header=BB214_1571 Depth=1
	s_or_b32 exec_lo, exec_lo, s15
	v_or_b32_e32 v9, v20, v18
	v_or_b32_e32 v11, v19, v17
	;; [unrolled: 1-line block ×4, first 2 shown]
	v_mul_f32_e32 v84, v74, v9
	v_mul_f32_e32 v72, v74, v11
	;; [unrolled: 1-line block ×4, first 2 shown]
	s_and_saveexec_b32 s15, vcc_lo
	s_cbranch_execz .LBB214_2898
; %bb.2897:                             ;   in Loop: Header=BB214_1571 Depth=1
	buffer_load_dword v9, off, s[0:3], s32 offset:200 ; 4-byte Folded Reload
	s_waitcnt vmcnt(0)
	v_cmp_lt_i32_e64 s4, v79, v9
	v_cndmask_b32_e64 v72, 0, v72, s4
	v_cmp_lt_i32_e64 s4, v90, v9
	v_cndmask_b32_e64 v84, 0, v84, s4
	;; [unrolled: 2-line block ×4, first 2 shown]
.LBB214_2898:                           ;   in Loop: Header=BB214_1571 Depth=1
	s_or_b32 exec_lo, exec_lo, s15
	flat_load_dword v69, v[0:1] offset:896
	v_mov_b32_e32 v19, 0
	v_mov_b32_e32 v17, 0
	;; [unrolled: 1-line block ×4, first 2 shown]
	s_waitcnt vmcnt(0) lgkmcnt(0)
	v_cmp_ne_u16_sdwa s4, v69, v10 src0_sel:BYTE_0 src1_sel:DWORD
	s_and_saveexec_b32 s15, s4
	s_cbranch_execz .LBB214_2906
; %bb.2899:                             ;   in Loop: Header=BB214_1571 Depth=1
	v_bfrev_b32_e32 v17, 1
	v_mov_b32_e32 v18, 0
	v_cmp_ne_u16_sdwa s4, v69, v41 src0_sel:BYTE_0 src1_sel:DWORD
	s_and_saveexec_b32 s17, s4
	s_cbranch_execz .LBB214_2905
; %bb.2900:                             ;   in Loop: Header=BB214_1571 Depth=1
	v_mov_b32_e32 v17, 0x7f800001
	v_and_b32_e32 v13, 0x7f, v69
	v_mov_b32_e32 v18, 0
	s_mov_b32 s18, exec_lo
	v_cmpx_ne_u32_e32 0x7f, v13
	s_cbranch_execz .LBB214_2904
; %bb.2901:                             ;   in Loop: Header=BB214_1571 Depth=1
	v_and_b32_e32 v9, 7, v69
	v_mov_b32_e32 v18, v10
	v_lshrrev_b32_e32 v11, 3, v13
	s_mov_b32 s19, exec_lo
	v_mov_b32_e32 v17, v9
	v_cmpx_gt_u32_e32 8, v13
; %bb.2902:                             ;   in Loop: Header=BB214_1571 Depth=1
	v_ffbh_u32_e32 v11, v9
	v_min_u32_e32 v11, 32, v11
	v_subrev_nc_u32_e32 v13, 28, v11
	v_sub_nc_u32_e32 v11, 29, v11
	v_lshlrev_b64 v[17:18], v13, v[9:10]
	v_and_b32_e32 v17, 7, v17
; %bb.2903:                             ;   in Loop: Header=BB214_1571 Depth=1
	s_or_b32 exec_lo, exec_lo, s19
	v_lshlrev_b32_e32 v9, 24, v69
	v_lshlrev_b32_e32 v13, 20, v17
	v_lshl_add_u32 v11, v11, 23, 0x3c000000
	v_and_b32_e32 v9, 0x80000000, v9
	v_or3_b32 v9, v13, v9, v11
	v_mov_b32_e32 v18, v10
	v_mov_b32_e32 v17, v9
.LBB214_2904:                           ;   in Loop: Header=BB214_1571 Depth=1
	s_or_b32 exec_lo, exec_lo, s18
.LBB214_2905:                           ;   in Loop: Header=BB214_1571 Depth=1
	s_or_b32 exec_lo, exec_lo, s17
.LBB214_2906:                           ;   in Loop: Header=BB214_1571 Depth=1
	s_or_b32 exec_lo, exec_lo, s15
	v_cmp_ne_u16_sdwa s4, v69, v10 src0_sel:BYTE_1 src1_sel:DWORD
	s_and_saveexec_b32 s15, s4
	s_cbranch_execz .LBB214_2914
; %bb.2907:                             ;   in Loop: Header=BB214_1571 Depth=1
	v_mov_b32_e32 v11, v10
	v_mov_b32_e32 v20, v12
	v_cmp_ne_u16_sdwa s4, v69, v41 src0_sel:BYTE_1 src1_sel:DWORD
	v_mov_b32_e32 v19, v11
	s_and_saveexec_b32 s17, s4
	s_cbranch_execz .LBB214_2913
; %bb.2908:                             ;   in Loop: Header=BB214_1571 Depth=1
	v_and_b32_sdwa v9, v48, v69 dst_sel:DWORD dst_unused:UNUSED_PAD src0_sel:DWORD src1_sel:BYTE_1
	v_mov_b32_e32 v13, v10
	v_mov_b32_e32 v20, v14
	s_mov_b32 s18, exec_lo
	v_and_b32_e32 v21, 0x7f, v9
	v_mov_b32_e32 v19, v13
	v_cmpx_ne_u32_e32 0x7f, v21
	s_cbranch_execz .LBB214_2912
; %bb.2909:                             ;   in Loop: Header=BB214_1571 Depth=1
	v_and_b32_e32 v9, 7, v9
	v_mov_b32_e32 v20, v10
	v_lshrrev_b32_e32 v11, 3, v21
	s_mov_b32 s19, exec_lo
	v_mov_b32_e32 v19, v9
	v_cmpx_gt_u32_e32 8, v21
; %bb.2910:                             ;   in Loop: Header=BB214_1571 Depth=1
	v_ffbh_u32_e32 v11, v9
	v_min_u32_e32 v11, 32, v11
	v_subrev_nc_u32_e32 v13, 28, v11
	v_sub_nc_u32_e32 v11, 29, v11
	v_lshlrev_b64 v[19:20], v13, v[9:10]
	v_and_b32_e32 v19, 7, v19
; %bb.2911:                             ;   in Loop: Header=BB214_1571 Depth=1
	s_or_b32 exec_lo, exec_lo, s19
	v_lshlrev_b32_e32 v9, 16, v69
	v_lshlrev_b32_e32 v13, 20, v19
	v_lshl_add_u32 v11, v11, 23, 0x3c000000
	v_mov_b32_e32 v19, v10
	v_and_b32_e32 v9, 0x80000000, v9
	v_or3_b32 v20, v13, v9, v11
.LBB214_2912:                           ;   in Loop: Header=BB214_1571 Depth=1
	s_or_b32 exec_lo, exec_lo, s18
.LBB214_2913:                           ;   in Loop: Header=BB214_1571 Depth=1
	s_or_b32 exec_lo, exec_lo, s17
.LBB214_2914:                           ;   in Loop: Header=BB214_1571 Depth=1
	s_or_b32 exec_lo, exec_lo, s15
	v_mov_b32_e32 v21, 0
	v_mov_b32_e32 v23, 0
	v_and_b32_sdwa v9, v69, v43 dst_sel:DWORD dst_unused:UNUSED_PAD src0_sel:WORD_1 src1_sel:DWORD
	v_mov_b32_e32 v22, 0
	v_mov_b32_e32 v24, 0
	s_mov_b32 s15, exec_lo
	v_cmpx_ne_u16_e32 0, v9
	s_cbranch_execz .LBB214_2922
; %bb.2915:                             ;   in Loop: Header=BB214_1571 Depth=1
	v_bfrev_b32_e32 v23, 1
	v_mov_b32_e32 v24, 0
	s_mov_b32 s17, exec_lo
	v_cmpx_ne_u16_e32 0x80, v9
	s_cbranch_execz .LBB214_2921
; %bb.2916:                             ;   in Loop: Header=BB214_1571 Depth=1
	v_mov_b32_e32 v23, 0x7f800001
	v_bfe_u32 v13, v69, 16, 7
	v_mov_b32_e32 v24, 0
	s_mov_b32 s18, exec_lo
	v_cmpx_ne_u32_e32 0x7f, v13
	s_cbranch_execz .LBB214_2920
; %bb.2917:                             ;   in Loop: Header=BB214_1571 Depth=1
	v_mov_b32_e32 v9, 7
	v_lshrrev_b32_e32 v11, 3, v13
	s_mov_b32 s19, exec_lo
	v_and_b32_sdwa v9, v69, v9 dst_sel:DWORD dst_unused:UNUSED_PAD src0_sel:WORD_1 src1_sel:DWORD
	v_mov_b32_e32 v24, v10
	v_mov_b32_e32 v23, v9
	v_cmpx_gt_u32_e32 8, v13
; %bb.2918:                             ;   in Loop: Header=BB214_1571 Depth=1
	v_ffbh_u32_e32 v11, v9
	v_min_u32_e32 v11, 32, v11
	v_subrev_nc_u32_e32 v13, 28, v11
	v_sub_nc_u32_e32 v11, 29, v11
	v_lshlrev_b64 v[23:24], v13, v[9:10]
	v_and_b32_e32 v23, 7, v23
; %bb.2919:                             ;   in Loop: Header=BB214_1571 Depth=1
	s_or_b32 exec_lo, exec_lo, s19
	v_mov_b32_e32 v9, 24
	v_lshlrev_b32_e32 v13, 20, v23
	v_lshl_add_u32 v11, v11, 23, 0x3c000000
	v_lshlrev_b32_sdwa v9, v9, v69 dst_sel:DWORD dst_unused:UNUSED_PAD src0_sel:DWORD src1_sel:WORD_1
	v_and_b32_e32 v9, 0x80000000, v9
	v_or3_b32 v9, v13, v9, v11
	v_mov_b32_e32 v24, v10
	v_mov_b32_e32 v23, v9
.LBB214_2920:                           ;   in Loop: Header=BB214_1571 Depth=1
	s_or_b32 exec_lo, exec_lo, s18
.LBB214_2921:                           ;   in Loop: Header=BB214_1571 Depth=1
	s_or_b32 exec_lo, exec_lo, s17
.LBB214_2922:                           ;   in Loop: Header=BB214_1571 Depth=1
	s_or_b32 exec_lo, exec_lo, s15
	s_mov_b32 s15, exec_lo
	v_cmpx_lt_u32_e32 0xffffff, v69
	s_cbranch_execz .LBB214_2930
; %bb.2923:                             ;   in Loop: Header=BB214_1571 Depth=1
	v_mov_b32_e32 v11, v10
	v_mov_b32_e32 v22, v12
	v_cmp_ne_u32_sdwa s4, v69, v41 src0_sel:BYTE_3 src1_sel:DWORD
	v_mov_b32_e32 v21, v11
	s_and_saveexec_b32 s17, s4
	s_cbranch_execz .LBB214_2929
; %bb.2924:                             ;   in Loop: Header=BB214_1571 Depth=1
	v_mov_b32_e32 v13, v10
	v_mov_b32_e32 v22, v14
	v_bfe_u32 v48, v69, 24, 7
	s_mov_b32 s18, exec_lo
	v_mov_b32_e32 v21, v13
	v_cmpx_ne_u32_e32 0x7f, v48
	s_cbranch_execz .LBB214_2928
; %bb.2925:                             ;   in Loop: Header=BB214_1571 Depth=1
	v_mov_b32_e32 v9, 7
	v_lshrrev_b32_e32 v11, 3, v48
	s_mov_b32 s19, exec_lo
	v_and_b32_sdwa v9, v69, v9 dst_sel:DWORD dst_unused:UNUSED_PAD src0_sel:BYTE_3 src1_sel:DWORD
	v_mov_b32_e32 v22, v10
	v_mov_b32_e32 v21, v9
	v_cmpx_gt_u32_e32 8, v48
; %bb.2926:                             ;   in Loop: Header=BB214_1571 Depth=1
	v_ffbh_u32_e32 v11, v9
	v_min_u32_e32 v11, 32, v11
	v_subrev_nc_u32_e32 v13, 28, v11
	v_sub_nc_u32_e32 v11, 29, v11
	v_lshlrev_b64 v[21:22], v13, v[9:10]
	v_and_b32_e32 v21, 7, v21
; %bb.2927:                             ;   in Loop: Header=BB214_1571 Depth=1
	s_or_b32 exec_lo, exec_lo, s19
	v_mov_b32_e32 v9, 24
	v_lshlrev_b32_e32 v13, 20, v21
	v_lshl_add_u32 v11, v11, 23, 0x3c000000
	v_mov_b32_e32 v21, v10
	v_lshlrev_b32_sdwa v9, v9, v69 dst_sel:DWORD dst_unused:UNUSED_PAD src0_sel:DWORD src1_sel:BYTE_3
	v_and_b32_e32 v9, 0x80000000, v9
	v_or3_b32 v22, v13, v9, v11
.LBB214_2928:                           ;   in Loop: Header=BB214_1571 Depth=1
	s_or_b32 exec_lo, exec_lo, s18
	v_mov_b32_e32 v48, 0xffff
.LBB214_2929:                           ;   in Loop: Header=BB214_1571 Depth=1
	s_or_b32 exec_lo, exec_lo, s17
.LBB214_2930:                           ;   in Loop: Header=BB214_1571 Depth=1
	s_or_b32 exec_lo, exec_lo, s15
	v_or_b32_e32 v9, v20, v18
	v_or_b32_e32 v11, v19, v17
	;; [unrolled: 1-line block ×4, first 2 shown]
	v_mul_f32_e32 v97, v74, v9
	v_mul_f32_e32 v96, v74, v11
	;; [unrolled: 1-line block ×4, first 2 shown]
	s_and_saveexec_b32 s15, vcc_lo
	s_cbranch_execz .LBB214_2932
; %bb.2931:                             ;   in Loop: Header=BB214_1571 Depth=1
	buffer_load_dword v9, off, s[0:3], s32 offset:200 ; 4-byte Folded Reload
	s_waitcnt vmcnt(0)
	v_cmp_lt_i32_e64 s4, v79, v9
	v_cndmask_b32_e64 v96, 0, v96, s4
	v_cmp_lt_i32_e64 s4, v90, v9
	v_cndmask_b32_e64 v97, 0, v97, s4
	;; [unrolled: 2-line block ×4, first 2 shown]
.LBB214_2932:                           ;   in Loop: Header=BB214_1571 Depth=1
	s_or_b32 exec_lo, exec_lo, s15
	flat_load_dword v69, v[0:1] offset:1024
	v_mov_b32_e32 v19, 0
	v_mov_b32_e32 v17, 0
	;; [unrolled: 1-line block ×4, first 2 shown]
	s_waitcnt vmcnt(0) lgkmcnt(0)
	v_cmp_ne_u16_sdwa s4, v69, v10 src0_sel:BYTE_0 src1_sel:DWORD
	s_and_saveexec_b32 s15, s4
	s_cbranch_execz .LBB214_2940
; %bb.2933:                             ;   in Loop: Header=BB214_1571 Depth=1
	v_bfrev_b32_e32 v17, 1
	v_mov_b32_e32 v18, 0
	v_cmp_ne_u16_sdwa s4, v69, v41 src0_sel:BYTE_0 src1_sel:DWORD
	s_and_saveexec_b32 s17, s4
	s_cbranch_execz .LBB214_2939
; %bb.2934:                             ;   in Loop: Header=BB214_1571 Depth=1
	v_mov_b32_e32 v17, 0x7f800001
	v_and_b32_e32 v13, 0x7f, v69
	v_mov_b32_e32 v18, 0
	s_mov_b32 s18, exec_lo
	v_cmpx_ne_u32_e32 0x7f, v13
	s_cbranch_execz .LBB214_2938
; %bb.2935:                             ;   in Loop: Header=BB214_1571 Depth=1
	v_and_b32_e32 v9, 7, v69
	v_mov_b32_e32 v18, v10
	v_lshrrev_b32_e32 v11, 3, v13
	s_mov_b32 s19, exec_lo
	v_mov_b32_e32 v17, v9
	v_cmpx_gt_u32_e32 8, v13
; %bb.2936:                             ;   in Loop: Header=BB214_1571 Depth=1
	v_ffbh_u32_e32 v11, v9
	v_min_u32_e32 v11, 32, v11
	v_subrev_nc_u32_e32 v13, 28, v11
	v_sub_nc_u32_e32 v11, 29, v11
	v_lshlrev_b64 v[17:18], v13, v[9:10]
	v_and_b32_e32 v17, 7, v17
; %bb.2937:                             ;   in Loop: Header=BB214_1571 Depth=1
	s_or_b32 exec_lo, exec_lo, s19
	v_lshlrev_b32_e32 v9, 24, v69
	v_lshlrev_b32_e32 v13, 20, v17
	v_lshl_add_u32 v11, v11, 23, 0x3c000000
	v_and_b32_e32 v9, 0x80000000, v9
	v_or3_b32 v9, v13, v9, v11
	v_mov_b32_e32 v18, v10
	v_mov_b32_e32 v17, v9
.LBB214_2938:                           ;   in Loop: Header=BB214_1571 Depth=1
	s_or_b32 exec_lo, exec_lo, s18
.LBB214_2939:                           ;   in Loop: Header=BB214_1571 Depth=1
	s_or_b32 exec_lo, exec_lo, s17
.LBB214_2940:                           ;   in Loop: Header=BB214_1571 Depth=1
	s_or_b32 exec_lo, exec_lo, s15
	v_cmp_ne_u16_sdwa s4, v69, v10 src0_sel:BYTE_1 src1_sel:DWORD
	s_and_saveexec_b32 s15, s4
	s_cbranch_execz .LBB214_2948
; %bb.2941:                             ;   in Loop: Header=BB214_1571 Depth=1
	v_mov_b32_e32 v11, v10
	v_mov_b32_e32 v20, v12
	v_cmp_ne_u16_sdwa s4, v69, v41 src0_sel:BYTE_1 src1_sel:DWORD
	v_mov_b32_e32 v19, v11
	s_and_saveexec_b32 s17, s4
	s_cbranch_execz .LBB214_2947
; %bb.2942:                             ;   in Loop: Header=BB214_1571 Depth=1
	v_and_b32_sdwa v9, v48, v69 dst_sel:DWORD dst_unused:UNUSED_PAD src0_sel:DWORD src1_sel:BYTE_1
	v_mov_b32_e32 v13, v10
	v_mov_b32_e32 v20, v14
	s_mov_b32 s18, exec_lo
	v_and_b32_e32 v21, 0x7f, v9
	v_mov_b32_e32 v19, v13
	v_cmpx_ne_u32_e32 0x7f, v21
	s_cbranch_execz .LBB214_2946
; %bb.2943:                             ;   in Loop: Header=BB214_1571 Depth=1
	v_and_b32_e32 v9, 7, v9
	v_mov_b32_e32 v20, v10
	v_lshrrev_b32_e32 v11, 3, v21
	s_mov_b32 s19, exec_lo
	v_mov_b32_e32 v19, v9
	v_cmpx_gt_u32_e32 8, v21
; %bb.2944:                             ;   in Loop: Header=BB214_1571 Depth=1
	v_ffbh_u32_e32 v11, v9
	v_min_u32_e32 v11, 32, v11
	v_subrev_nc_u32_e32 v13, 28, v11
	v_sub_nc_u32_e32 v11, 29, v11
	v_lshlrev_b64 v[19:20], v13, v[9:10]
	v_and_b32_e32 v19, 7, v19
; %bb.2945:                             ;   in Loop: Header=BB214_1571 Depth=1
	s_or_b32 exec_lo, exec_lo, s19
	v_lshlrev_b32_e32 v9, 16, v69
	v_lshlrev_b32_e32 v13, 20, v19
	v_lshl_add_u32 v11, v11, 23, 0x3c000000
	v_mov_b32_e32 v19, v10
	v_and_b32_e32 v9, 0x80000000, v9
	v_or3_b32 v20, v13, v9, v11
.LBB214_2946:                           ;   in Loop: Header=BB214_1571 Depth=1
	s_or_b32 exec_lo, exec_lo, s18
.LBB214_2947:                           ;   in Loop: Header=BB214_1571 Depth=1
	s_or_b32 exec_lo, exec_lo, s17
.LBB214_2948:                           ;   in Loop: Header=BB214_1571 Depth=1
	s_or_b32 exec_lo, exec_lo, s15
	v_mov_b32_e32 v21, 0
	v_mov_b32_e32 v23, 0
	v_and_b32_sdwa v9, v69, v43 dst_sel:DWORD dst_unused:UNUSED_PAD src0_sel:WORD_1 src1_sel:DWORD
	v_mov_b32_e32 v22, 0
	v_mov_b32_e32 v24, 0
	s_mov_b32 s15, exec_lo
	v_cmpx_ne_u16_e32 0, v9
	s_cbranch_execz .LBB214_2956
; %bb.2949:                             ;   in Loop: Header=BB214_1571 Depth=1
	v_bfrev_b32_e32 v23, 1
	v_mov_b32_e32 v24, 0
	s_mov_b32 s17, exec_lo
	v_cmpx_ne_u16_e32 0x80, v9
	s_cbranch_execz .LBB214_2955
; %bb.2950:                             ;   in Loop: Header=BB214_1571 Depth=1
	v_mov_b32_e32 v23, 0x7f800001
	v_bfe_u32 v13, v69, 16, 7
	v_mov_b32_e32 v24, 0
	s_mov_b32 s18, exec_lo
	v_cmpx_ne_u32_e32 0x7f, v13
	s_cbranch_execz .LBB214_2954
; %bb.2951:                             ;   in Loop: Header=BB214_1571 Depth=1
	v_mov_b32_e32 v9, 7
	v_lshrrev_b32_e32 v11, 3, v13
	s_mov_b32 s19, exec_lo
	v_and_b32_sdwa v9, v69, v9 dst_sel:DWORD dst_unused:UNUSED_PAD src0_sel:WORD_1 src1_sel:DWORD
	v_mov_b32_e32 v24, v10
	v_mov_b32_e32 v23, v9
	v_cmpx_gt_u32_e32 8, v13
; %bb.2952:                             ;   in Loop: Header=BB214_1571 Depth=1
	v_ffbh_u32_e32 v11, v9
	v_min_u32_e32 v11, 32, v11
	v_subrev_nc_u32_e32 v13, 28, v11
	v_sub_nc_u32_e32 v11, 29, v11
	v_lshlrev_b64 v[23:24], v13, v[9:10]
	v_and_b32_e32 v23, 7, v23
; %bb.2953:                             ;   in Loop: Header=BB214_1571 Depth=1
	s_or_b32 exec_lo, exec_lo, s19
	v_mov_b32_e32 v9, 24
	v_lshlrev_b32_e32 v13, 20, v23
	v_lshl_add_u32 v11, v11, 23, 0x3c000000
	v_lshlrev_b32_sdwa v9, v9, v69 dst_sel:DWORD dst_unused:UNUSED_PAD src0_sel:DWORD src1_sel:WORD_1
	v_and_b32_e32 v9, 0x80000000, v9
	v_or3_b32 v9, v13, v9, v11
	v_mov_b32_e32 v24, v10
	v_mov_b32_e32 v23, v9
.LBB214_2954:                           ;   in Loop: Header=BB214_1571 Depth=1
	s_or_b32 exec_lo, exec_lo, s18
.LBB214_2955:                           ;   in Loop: Header=BB214_1571 Depth=1
	s_or_b32 exec_lo, exec_lo, s17
.LBB214_2956:                           ;   in Loop: Header=BB214_1571 Depth=1
	s_or_b32 exec_lo, exec_lo, s15
	s_mov_b32 s15, exec_lo
	v_cmpx_lt_u32_e32 0xffffff, v69
	s_cbranch_execz .LBB214_2964
; %bb.2957:                             ;   in Loop: Header=BB214_1571 Depth=1
	v_mov_b32_e32 v11, v10
	v_mov_b32_e32 v22, v12
	v_cmp_ne_u32_sdwa s4, v69, v41 src0_sel:BYTE_3 src1_sel:DWORD
	v_mov_b32_e32 v21, v11
	s_and_saveexec_b32 s17, s4
	s_cbranch_execz .LBB214_2963
; %bb.2958:                             ;   in Loop: Header=BB214_1571 Depth=1
	v_mov_b32_e32 v13, v10
	v_mov_b32_e32 v22, v14
	v_bfe_u32 v48, v69, 24, 7
	s_mov_b32 s18, exec_lo
	v_mov_b32_e32 v21, v13
	v_cmpx_ne_u32_e32 0x7f, v48
	s_cbranch_execz .LBB214_2962
; %bb.2959:                             ;   in Loop: Header=BB214_1571 Depth=1
	v_mov_b32_e32 v9, 7
	v_lshrrev_b32_e32 v11, 3, v48
	s_mov_b32 s19, exec_lo
	v_and_b32_sdwa v9, v69, v9 dst_sel:DWORD dst_unused:UNUSED_PAD src0_sel:BYTE_3 src1_sel:DWORD
	v_mov_b32_e32 v22, v10
	v_mov_b32_e32 v21, v9
	v_cmpx_gt_u32_e32 8, v48
; %bb.2960:                             ;   in Loop: Header=BB214_1571 Depth=1
	v_ffbh_u32_e32 v11, v9
	v_min_u32_e32 v11, 32, v11
	v_subrev_nc_u32_e32 v13, 28, v11
	v_sub_nc_u32_e32 v11, 29, v11
	v_lshlrev_b64 v[21:22], v13, v[9:10]
	v_and_b32_e32 v21, 7, v21
; %bb.2961:                             ;   in Loop: Header=BB214_1571 Depth=1
	s_or_b32 exec_lo, exec_lo, s19
	v_mov_b32_e32 v9, 24
	v_lshlrev_b32_e32 v13, 20, v21
	v_lshl_add_u32 v11, v11, 23, 0x3c000000
	v_mov_b32_e32 v21, v10
	v_lshlrev_b32_sdwa v9, v9, v69 dst_sel:DWORD dst_unused:UNUSED_PAD src0_sel:DWORD src1_sel:BYTE_3
	v_and_b32_e32 v9, 0x80000000, v9
	v_or3_b32 v22, v13, v9, v11
.LBB214_2962:                           ;   in Loop: Header=BB214_1571 Depth=1
	s_or_b32 exec_lo, exec_lo, s18
	v_mov_b32_e32 v48, 0xffff
.LBB214_2963:                           ;   in Loop: Header=BB214_1571 Depth=1
	s_or_b32 exec_lo, exec_lo, s17
.LBB214_2964:                           ;   in Loop: Header=BB214_1571 Depth=1
	s_or_b32 exec_lo, exec_lo, s15
	v_or_b32_e32 v9, v20, v18
	v_or_b32_e32 v11, v19, v17
	v_or_b32_e32 v13, v21, v23
	v_or_b32_e32 v17, v22, v24
	v_mul_f32_e32 v100, v74, v9
	v_mul_f32_e32 v114, v74, v11
	;; [unrolled: 1-line block ×4, first 2 shown]
	s_and_saveexec_b32 s15, vcc_lo
	s_cbranch_execz .LBB214_2966
; %bb.2965:                             ;   in Loop: Header=BB214_1571 Depth=1
	buffer_load_dword v9, off, s[0:3], s32 offset:200 ; 4-byte Folded Reload
	s_waitcnt vmcnt(0)
	v_cmp_lt_i32_e64 s4, v79, v9
	v_cndmask_b32_e64 v114, 0, v114, s4
	v_cmp_lt_i32_e64 s4, v90, v9
	v_cndmask_b32_e64 v100, 0, v100, s4
	;; [unrolled: 2-line block ×4, first 2 shown]
.LBB214_2966:                           ;   in Loop: Header=BB214_1571 Depth=1
	s_or_b32 exec_lo, exec_lo, s15
	flat_load_dword v85, v[0:1] offset:1152
	v_mov_b32_e32 v19, 0
	v_mov_b32_e32 v17, 0
	;; [unrolled: 1-line block ×4, first 2 shown]
	s_waitcnt vmcnt(0) lgkmcnt(0)
	v_cmp_ne_u16_sdwa s4, v85, v10 src0_sel:BYTE_0 src1_sel:DWORD
	s_and_saveexec_b32 s15, s4
	s_cbranch_execz .LBB214_2974
; %bb.2967:                             ;   in Loop: Header=BB214_1571 Depth=1
	v_bfrev_b32_e32 v17, 1
	v_mov_b32_e32 v18, 0
	v_cmp_ne_u16_sdwa s4, v85, v41 src0_sel:BYTE_0 src1_sel:DWORD
	s_and_saveexec_b32 s17, s4
	s_cbranch_execz .LBB214_2973
; %bb.2968:                             ;   in Loop: Header=BB214_1571 Depth=1
	v_mov_b32_e32 v17, 0x7f800001
	v_and_b32_e32 v13, 0x7f, v85
	v_mov_b32_e32 v18, 0
	s_mov_b32 s18, exec_lo
	v_cmpx_ne_u32_e32 0x7f, v13
	s_cbranch_execz .LBB214_2972
; %bb.2969:                             ;   in Loop: Header=BB214_1571 Depth=1
	v_and_b32_e32 v9, 7, v85
	v_mov_b32_e32 v18, v10
	v_lshrrev_b32_e32 v11, 3, v13
	s_mov_b32 s19, exec_lo
	v_mov_b32_e32 v17, v9
	v_cmpx_gt_u32_e32 8, v13
; %bb.2970:                             ;   in Loop: Header=BB214_1571 Depth=1
	v_ffbh_u32_e32 v11, v9
	v_min_u32_e32 v11, 32, v11
	v_subrev_nc_u32_e32 v13, 28, v11
	v_sub_nc_u32_e32 v11, 29, v11
	v_lshlrev_b64 v[17:18], v13, v[9:10]
	v_and_b32_e32 v17, 7, v17
; %bb.2971:                             ;   in Loop: Header=BB214_1571 Depth=1
	s_or_b32 exec_lo, exec_lo, s19
	v_lshlrev_b32_e32 v9, 24, v85
	v_lshlrev_b32_e32 v13, 20, v17
	v_lshl_add_u32 v11, v11, 23, 0x3c000000
	v_and_b32_e32 v9, 0x80000000, v9
	v_or3_b32 v9, v13, v9, v11
	v_mov_b32_e32 v18, v10
	v_mov_b32_e32 v17, v9
.LBB214_2972:                           ;   in Loop: Header=BB214_1571 Depth=1
	s_or_b32 exec_lo, exec_lo, s18
.LBB214_2973:                           ;   in Loop: Header=BB214_1571 Depth=1
	s_or_b32 exec_lo, exec_lo, s17
.LBB214_2974:                           ;   in Loop: Header=BB214_1571 Depth=1
	s_or_b32 exec_lo, exec_lo, s15
	v_cmp_ne_u16_sdwa s4, v85, v10 src0_sel:BYTE_1 src1_sel:DWORD
	s_and_saveexec_b32 s15, s4
	s_cbranch_execz .LBB214_2982
; %bb.2975:                             ;   in Loop: Header=BB214_1571 Depth=1
	v_mov_b32_e32 v11, v10
	v_mov_b32_e32 v20, v12
	v_cmp_ne_u16_sdwa s4, v85, v41 src0_sel:BYTE_1 src1_sel:DWORD
	v_mov_b32_e32 v19, v11
	s_and_saveexec_b32 s17, s4
	s_cbranch_execz .LBB214_2981
; %bb.2976:                             ;   in Loop: Header=BB214_1571 Depth=1
	v_and_b32_sdwa v9, v48, v85 dst_sel:DWORD dst_unused:UNUSED_PAD src0_sel:DWORD src1_sel:BYTE_1
	v_mov_b32_e32 v13, v10
	v_mov_b32_e32 v20, v14
	s_mov_b32 s18, exec_lo
	v_and_b32_e32 v21, 0x7f, v9
	v_mov_b32_e32 v19, v13
	v_cmpx_ne_u32_e32 0x7f, v21
	s_cbranch_execz .LBB214_2980
; %bb.2977:                             ;   in Loop: Header=BB214_1571 Depth=1
	v_and_b32_e32 v9, 7, v9
	v_mov_b32_e32 v20, v10
	v_lshrrev_b32_e32 v11, 3, v21
	s_mov_b32 s19, exec_lo
	v_mov_b32_e32 v19, v9
	v_cmpx_gt_u32_e32 8, v21
; %bb.2978:                             ;   in Loop: Header=BB214_1571 Depth=1
	v_ffbh_u32_e32 v11, v9
	v_min_u32_e32 v11, 32, v11
	v_subrev_nc_u32_e32 v13, 28, v11
	v_sub_nc_u32_e32 v11, 29, v11
	v_lshlrev_b64 v[19:20], v13, v[9:10]
	v_and_b32_e32 v19, 7, v19
; %bb.2979:                             ;   in Loop: Header=BB214_1571 Depth=1
	s_or_b32 exec_lo, exec_lo, s19
	v_lshlrev_b32_e32 v9, 16, v85
	v_lshlrev_b32_e32 v13, 20, v19
	v_lshl_add_u32 v11, v11, 23, 0x3c000000
	v_mov_b32_e32 v19, v10
	v_and_b32_e32 v9, 0x80000000, v9
	v_or3_b32 v20, v13, v9, v11
.LBB214_2980:                           ;   in Loop: Header=BB214_1571 Depth=1
	s_or_b32 exec_lo, exec_lo, s18
.LBB214_2981:                           ;   in Loop: Header=BB214_1571 Depth=1
	s_or_b32 exec_lo, exec_lo, s17
.LBB214_2982:                           ;   in Loop: Header=BB214_1571 Depth=1
	s_or_b32 exec_lo, exec_lo, s15
	v_mov_b32_e32 v21, 0
	v_mov_b32_e32 v23, 0
	v_and_b32_sdwa v9, v85, v43 dst_sel:DWORD dst_unused:UNUSED_PAD src0_sel:WORD_1 src1_sel:DWORD
	v_mov_b32_e32 v22, 0
	v_mov_b32_e32 v24, 0
	s_mov_b32 s15, exec_lo
	v_cmpx_ne_u16_e32 0, v9
	s_cbranch_execz .LBB214_2990
; %bb.2983:                             ;   in Loop: Header=BB214_1571 Depth=1
	v_bfrev_b32_e32 v23, 1
	v_mov_b32_e32 v24, 0
	s_mov_b32 s17, exec_lo
	v_cmpx_ne_u16_e32 0x80, v9
	s_cbranch_execz .LBB214_2989
; %bb.2984:                             ;   in Loop: Header=BB214_1571 Depth=1
	v_mov_b32_e32 v23, 0x7f800001
	v_bfe_u32 v13, v85, 16, 7
	v_mov_b32_e32 v24, 0
	s_mov_b32 s18, exec_lo
	v_cmpx_ne_u32_e32 0x7f, v13
	s_cbranch_execz .LBB214_2988
; %bb.2985:                             ;   in Loop: Header=BB214_1571 Depth=1
	v_mov_b32_e32 v9, 7
	v_lshrrev_b32_e32 v11, 3, v13
	s_mov_b32 s19, exec_lo
	v_and_b32_sdwa v9, v85, v9 dst_sel:DWORD dst_unused:UNUSED_PAD src0_sel:WORD_1 src1_sel:DWORD
	v_mov_b32_e32 v24, v10
	v_mov_b32_e32 v23, v9
	v_cmpx_gt_u32_e32 8, v13
; %bb.2986:                             ;   in Loop: Header=BB214_1571 Depth=1
	v_ffbh_u32_e32 v11, v9
	v_min_u32_e32 v11, 32, v11
	v_subrev_nc_u32_e32 v13, 28, v11
	v_sub_nc_u32_e32 v11, 29, v11
	v_lshlrev_b64 v[23:24], v13, v[9:10]
	v_and_b32_e32 v23, 7, v23
; %bb.2987:                             ;   in Loop: Header=BB214_1571 Depth=1
	s_or_b32 exec_lo, exec_lo, s19
	v_mov_b32_e32 v9, 24
	v_lshlrev_b32_e32 v13, 20, v23
	v_lshl_add_u32 v11, v11, 23, 0x3c000000
	v_lshlrev_b32_sdwa v9, v9, v85 dst_sel:DWORD dst_unused:UNUSED_PAD src0_sel:DWORD src1_sel:WORD_1
	v_and_b32_e32 v9, 0x80000000, v9
	v_or3_b32 v9, v13, v9, v11
	v_mov_b32_e32 v24, v10
	v_mov_b32_e32 v23, v9
.LBB214_2988:                           ;   in Loop: Header=BB214_1571 Depth=1
	s_or_b32 exec_lo, exec_lo, s18
.LBB214_2989:                           ;   in Loop: Header=BB214_1571 Depth=1
	s_or_b32 exec_lo, exec_lo, s17
.LBB214_2990:                           ;   in Loop: Header=BB214_1571 Depth=1
	s_or_b32 exec_lo, exec_lo, s15
	s_mov_b32 s15, exec_lo
	v_cmpx_lt_u32_e32 0xffffff, v85
	s_cbranch_execz .LBB214_2998
; %bb.2991:                             ;   in Loop: Header=BB214_1571 Depth=1
	v_mov_b32_e32 v11, v10
	v_mov_b32_e32 v22, v12
	v_cmp_ne_u32_sdwa s4, v85, v41 src0_sel:BYTE_3 src1_sel:DWORD
	v_mov_b32_e32 v21, v11
	s_and_saveexec_b32 s17, s4
	s_cbranch_execz .LBB214_2997
; %bb.2992:                             ;   in Loop: Header=BB214_1571 Depth=1
	v_mov_b32_e32 v13, v10
	v_mov_b32_e32 v22, v14
	v_bfe_u32 v48, v85, 24, 7
	s_mov_b32 s18, exec_lo
	v_mov_b32_e32 v21, v13
	v_cmpx_ne_u32_e32 0x7f, v48
	s_cbranch_execz .LBB214_2996
; %bb.2993:                             ;   in Loop: Header=BB214_1571 Depth=1
	v_mov_b32_e32 v9, 7
	v_lshrrev_b32_e32 v11, 3, v48
	s_mov_b32 s19, exec_lo
	v_and_b32_sdwa v9, v85, v9 dst_sel:DWORD dst_unused:UNUSED_PAD src0_sel:BYTE_3 src1_sel:DWORD
	v_mov_b32_e32 v22, v10
	v_mov_b32_e32 v21, v9
	v_cmpx_gt_u32_e32 8, v48
; %bb.2994:                             ;   in Loop: Header=BB214_1571 Depth=1
	v_ffbh_u32_e32 v11, v9
	v_min_u32_e32 v11, 32, v11
	v_subrev_nc_u32_e32 v13, 28, v11
	v_sub_nc_u32_e32 v11, 29, v11
	v_lshlrev_b64 v[21:22], v13, v[9:10]
	v_and_b32_e32 v21, 7, v21
; %bb.2995:                             ;   in Loop: Header=BB214_1571 Depth=1
	s_or_b32 exec_lo, exec_lo, s19
	v_mov_b32_e32 v9, 24
	v_lshlrev_b32_e32 v13, 20, v21
	v_lshl_add_u32 v11, v11, 23, 0x3c000000
	v_mov_b32_e32 v21, v10
	v_lshlrev_b32_sdwa v9, v9, v85 dst_sel:DWORD dst_unused:UNUSED_PAD src0_sel:DWORD src1_sel:BYTE_3
	v_and_b32_e32 v9, 0x80000000, v9
	v_or3_b32 v22, v13, v9, v11
.LBB214_2996:                           ;   in Loop: Header=BB214_1571 Depth=1
	s_or_b32 exec_lo, exec_lo, s18
	v_mov_b32_e32 v48, 0xffff
.LBB214_2997:                           ;   in Loop: Header=BB214_1571 Depth=1
	s_or_b32 exec_lo, exec_lo, s17
.LBB214_2998:                           ;   in Loop: Header=BB214_1571 Depth=1
	s_or_b32 exec_lo, exec_lo, s15
	v_or_b32_e32 v9, v20, v18
	v_or_b32_e32 v11, v19, v17
	;; [unrolled: 1-line block ×4, first 2 shown]
	v_mul_f32_e32 v113, v74, v9
	v_mul_f32_e32 v112, v74, v11
	;; [unrolled: 1-line block ×4, first 2 shown]
	s_and_saveexec_b32 s15, vcc_lo
	s_cbranch_execz .LBB214_3000
; %bb.2999:                             ;   in Loop: Header=BB214_1571 Depth=1
	buffer_load_dword v9, off, s[0:3], s32 offset:200 ; 4-byte Folded Reload
	s_waitcnt vmcnt(0)
	v_cmp_lt_i32_e64 s4, v79, v9
	v_cndmask_b32_e64 v112, 0, v112, s4
	v_cmp_lt_i32_e64 s4, v90, v9
	v_cndmask_b32_e64 v113, 0, v113, s4
	;; [unrolled: 2-line block ×4, first 2 shown]
.LBB214_3000:                           ;   in Loop: Header=BB214_1571 Depth=1
	s_or_b32 exec_lo, exec_lo, s15
	flat_load_dword v85, v[0:1] offset:1280
	v_mov_b32_e32 v19, 0
	v_mov_b32_e32 v17, 0
	;; [unrolled: 1-line block ×4, first 2 shown]
	s_waitcnt vmcnt(0) lgkmcnt(0)
	v_cmp_ne_u16_sdwa s4, v85, v10 src0_sel:BYTE_0 src1_sel:DWORD
	s_and_saveexec_b32 s15, s4
	s_cbranch_execz .LBB214_3008
; %bb.3001:                             ;   in Loop: Header=BB214_1571 Depth=1
	v_bfrev_b32_e32 v17, 1
	v_mov_b32_e32 v18, 0
	v_cmp_ne_u16_sdwa s4, v85, v41 src0_sel:BYTE_0 src1_sel:DWORD
	s_and_saveexec_b32 s17, s4
	s_cbranch_execz .LBB214_3007
; %bb.3002:                             ;   in Loop: Header=BB214_1571 Depth=1
	v_mov_b32_e32 v17, 0x7f800001
	v_and_b32_e32 v13, 0x7f, v85
	v_mov_b32_e32 v18, 0
	s_mov_b32 s18, exec_lo
	v_cmpx_ne_u32_e32 0x7f, v13
	s_cbranch_execz .LBB214_3006
; %bb.3003:                             ;   in Loop: Header=BB214_1571 Depth=1
	v_and_b32_e32 v9, 7, v85
	v_mov_b32_e32 v18, v10
	v_lshrrev_b32_e32 v11, 3, v13
	s_mov_b32 s19, exec_lo
	v_mov_b32_e32 v17, v9
	v_cmpx_gt_u32_e32 8, v13
; %bb.3004:                             ;   in Loop: Header=BB214_1571 Depth=1
	v_ffbh_u32_e32 v11, v9
	v_min_u32_e32 v11, 32, v11
	v_subrev_nc_u32_e32 v13, 28, v11
	v_sub_nc_u32_e32 v11, 29, v11
	v_lshlrev_b64 v[17:18], v13, v[9:10]
	v_and_b32_e32 v17, 7, v17
; %bb.3005:                             ;   in Loop: Header=BB214_1571 Depth=1
	s_or_b32 exec_lo, exec_lo, s19
	v_lshlrev_b32_e32 v9, 24, v85
	v_lshlrev_b32_e32 v13, 20, v17
	v_lshl_add_u32 v11, v11, 23, 0x3c000000
	v_and_b32_e32 v9, 0x80000000, v9
	v_or3_b32 v9, v13, v9, v11
	v_mov_b32_e32 v18, v10
	v_mov_b32_e32 v17, v9
.LBB214_3006:                           ;   in Loop: Header=BB214_1571 Depth=1
	s_or_b32 exec_lo, exec_lo, s18
.LBB214_3007:                           ;   in Loop: Header=BB214_1571 Depth=1
	s_or_b32 exec_lo, exec_lo, s17
.LBB214_3008:                           ;   in Loop: Header=BB214_1571 Depth=1
	s_or_b32 exec_lo, exec_lo, s15
	v_cmp_ne_u16_sdwa s4, v85, v10 src0_sel:BYTE_1 src1_sel:DWORD
	s_and_saveexec_b32 s15, s4
	s_cbranch_execz .LBB214_3016
; %bb.3009:                             ;   in Loop: Header=BB214_1571 Depth=1
	v_mov_b32_e32 v11, v10
	v_mov_b32_e32 v20, v12
	v_cmp_ne_u16_sdwa s4, v85, v41 src0_sel:BYTE_1 src1_sel:DWORD
	v_mov_b32_e32 v19, v11
	s_and_saveexec_b32 s17, s4
	s_cbranch_execz .LBB214_3015
; %bb.3010:                             ;   in Loop: Header=BB214_1571 Depth=1
	v_and_b32_sdwa v9, v48, v85 dst_sel:DWORD dst_unused:UNUSED_PAD src0_sel:DWORD src1_sel:BYTE_1
	v_mov_b32_e32 v13, v10
	v_mov_b32_e32 v20, v14
	s_mov_b32 s18, exec_lo
	v_and_b32_e32 v21, 0x7f, v9
	v_mov_b32_e32 v19, v13
	v_cmpx_ne_u32_e32 0x7f, v21
	s_cbranch_execz .LBB214_3014
; %bb.3011:                             ;   in Loop: Header=BB214_1571 Depth=1
	v_and_b32_e32 v9, 7, v9
	v_mov_b32_e32 v20, v10
	v_lshrrev_b32_e32 v11, 3, v21
	s_mov_b32 s19, exec_lo
	v_mov_b32_e32 v19, v9
	v_cmpx_gt_u32_e32 8, v21
; %bb.3012:                             ;   in Loop: Header=BB214_1571 Depth=1
	v_ffbh_u32_e32 v11, v9
	v_min_u32_e32 v11, 32, v11
	v_subrev_nc_u32_e32 v13, 28, v11
	v_sub_nc_u32_e32 v11, 29, v11
	v_lshlrev_b64 v[19:20], v13, v[9:10]
	v_and_b32_e32 v19, 7, v19
; %bb.3013:                             ;   in Loop: Header=BB214_1571 Depth=1
	s_or_b32 exec_lo, exec_lo, s19
	v_lshlrev_b32_e32 v9, 16, v85
	v_lshlrev_b32_e32 v13, 20, v19
	v_lshl_add_u32 v11, v11, 23, 0x3c000000
	v_mov_b32_e32 v19, v10
	v_and_b32_e32 v9, 0x80000000, v9
	v_or3_b32 v20, v13, v9, v11
.LBB214_3014:                           ;   in Loop: Header=BB214_1571 Depth=1
	s_or_b32 exec_lo, exec_lo, s18
.LBB214_3015:                           ;   in Loop: Header=BB214_1571 Depth=1
	s_or_b32 exec_lo, exec_lo, s17
.LBB214_3016:                           ;   in Loop: Header=BB214_1571 Depth=1
	s_or_b32 exec_lo, exec_lo, s15
	v_mov_b32_e32 v21, 0
	v_mov_b32_e32 v23, 0
	v_and_b32_sdwa v9, v85, v43 dst_sel:DWORD dst_unused:UNUSED_PAD src0_sel:WORD_1 src1_sel:DWORD
	v_mov_b32_e32 v22, 0
	v_mov_b32_e32 v24, 0
	s_mov_b32 s15, exec_lo
	v_cmpx_ne_u16_e32 0, v9
	s_cbranch_execz .LBB214_3024
; %bb.3017:                             ;   in Loop: Header=BB214_1571 Depth=1
	v_bfrev_b32_e32 v23, 1
	v_mov_b32_e32 v24, 0
	s_mov_b32 s17, exec_lo
	v_cmpx_ne_u16_e32 0x80, v9
	s_cbranch_execz .LBB214_3023
; %bb.3018:                             ;   in Loop: Header=BB214_1571 Depth=1
	v_mov_b32_e32 v23, 0x7f800001
	v_bfe_u32 v13, v85, 16, 7
	v_mov_b32_e32 v24, 0
	s_mov_b32 s18, exec_lo
	v_cmpx_ne_u32_e32 0x7f, v13
	s_cbranch_execz .LBB214_3022
; %bb.3019:                             ;   in Loop: Header=BB214_1571 Depth=1
	v_mov_b32_e32 v9, 7
	v_lshrrev_b32_e32 v11, 3, v13
	s_mov_b32 s19, exec_lo
	v_and_b32_sdwa v9, v85, v9 dst_sel:DWORD dst_unused:UNUSED_PAD src0_sel:WORD_1 src1_sel:DWORD
	v_mov_b32_e32 v24, v10
	v_mov_b32_e32 v23, v9
	v_cmpx_gt_u32_e32 8, v13
; %bb.3020:                             ;   in Loop: Header=BB214_1571 Depth=1
	v_ffbh_u32_e32 v11, v9
	v_min_u32_e32 v11, 32, v11
	v_subrev_nc_u32_e32 v13, 28, v11
	v_sub_nc_u32_e32 v11, 29, v11
	v_lshlrev_b64 v[23:24], v13, v[9:10]
	v_and_b32_e32 v23, 7, v23
; %bb.3021:                             ;   in Loop: Header=BB214_1571 Depth=1
	s_or_b32 exec_lo, exec_lo, s19
	v_mov_b32_e32 v9, 24
	v_lshlrev_b32_e32 v13, 20, v23
	v_lshl_add_u32 v11, v11, 23, 0x3c000000
	v_lshlrev_b32_sdwa v9, v9, v85 dst_sel:DWORD dst_unused:UNUSED_PAD src0_sel:DWORD src1_sel:WORD_1
	v_and_b32_e32 v9, 0x80000000, v9
	v_or3_b32 v9, v13, v9, v11
	v_mov_b32_e32 v24, v10
	v_mov_b32_e32 v23, v9
.LBB214_3022:                           ;   in Loop: Header=BB214_1571 Depth=1
	s_or_b32 exec_lo, exec_lo, s18
.LBB214_3023:                           ;   in Loop: Header=BB214_1571 Depth=1
	s_or_b32 exec_lo, exec_lo, s17
.LBB214_3024:                           ;   in Loop: Header=BB214_1571 Depth=1
	s_or_b32 exec_lo, exec_lo, s15
	s_mov_b32 s15, exec_lo
	v_cmpx_lt_u32_e32 0xffffff, v85
	s_cbranch_execz .LBB214_3032
; %bb.3025:                             ;   in Loop: Header=BB214_1571 Depth=1
	v_mov_b32_e32 v11, v10
	v_mov_b32_e32 v22, v12
	v_cmp_ne_u32_sdwa s4, v85, v41 src0_sel:BYTE_3 src1_sel:DWORD
	v_mov_b32_e32 v21, v11
	s_and_saveexec_b32 s17, s4
	s_cbranch_execz .LBB214_3031
; %bb.3026:                             ;   in Loop: Header=BB214_1571 Depth=1
	v_mov_b32_e32 v13, v10
	v_mov_b32_e32 v22, v14
	v_bfe_u32 v48, v85, 24, 7
	s_mov_b32 s18, exec_lo
	v_mov_b32_e32 v21, v13
	v_cmpx_ne_u32_e32 0x7f, v48
	s_cbranch_execz .LBB214_3030
; %bb.3027:                             ;   in Loop: Header=BB214_1571 Depth=1
	v_mov_b32_e32 v9, 7
	v_lshrrev_b32_e32 v11, 3, v48
	s_mov_b32 s19, exec_lo
	v_and_b32_sdwa v9, v85, v9 dst_sel:DWORD dst_unused:UNUSED_PAD src0_sel:BYTE_3 src1_sel:DWORD
	v_mov_b32_e32 v22, v10
	v_mov_b32_e32 v21, v9
	v_cmpx_gt_u32_e32 8, v48
; %bb.3028:                             ;   in Loop: Header=BB214_1571 Depth=1
	v_ffbh_u32_e32 v11, v9
	v_min_u32_e32 v11, 32, v11
	v_subrev_nc_u32_e32 v13, 28, v11
	v_sub_nc_u32_e32 v11, 29, v11
	v_lshlrev_b64 v[21:22], v13, v[9:10]
	v_and_b32_e32 v21, 7, v21
; %bb.3029:                             ;   in Loop: Header=BB214_1571 Depth=1
	s_or_b32 exec_lo, exec_lo, s19
	v_mov_b32_e32 v9, 24
	v_lshlrev_b32_e32 v13, 20, v21
	v_lshl_add_u32 v11, v11, 23, 0x3c000000
	v_mov_b32_e32 v21, v10
	v_lshlrev_b32_sdwa v9, v9, v85 dst_sel:DWORD dst_unused:UNUSED_PAD src0_sel:DWORD src1_sel:BYTE_3
	v_and_b32_e32 v9, 0x80000000, v9
	v_or3_b32 v22, v13, v9, v11
.LBB214_3030:                           ;   in Loop: Header=BB214_1571 Depth=1
	s_or_b32 exec_lo, exec_lo, s18
	v_mov_b32_e32 v48, 0xffff
.LBB214_3031:                           ;   in Loop: Header=BB214_1571 Depth=1
	s_or_b32 exec_lo, exec_lo, s17
.LBB214_3032:                           ;   in Loop: Header=BB214_1571 Depth=1
	s_or_b32 exec_lo, exec_lo, s15
	v_or_b32_e32 v9, v20, v18
	v_or_b32_e32 v11, v19, v17
	;; [unrolled: 1-line block ×4, first 2 shown]
	v_mul_f32_e32 v117, v74, v9
	v_mul_f32_e32 v116, v74, v11
	;; [unrolled: 1-line block ×4, first 2 shown]
	s_and_saveexec_b32 s15, vcc_lo
	s_cbranch_execz .LBB214_3034
; %bb.3033:                             ;   in Loop: Header=BB214_1571 Depth=1
	buffer_load_dword v9, off, s[0:3], s32 offset:200 ; 4-byte Folded Reload
	s_waitcnt vmcnt(0)
	v_cmp_lt_i32_e64 s4, v79, v9
	v_cndmask_b32_e64 v116, 0, v116, s4
	v_cmp_lt_i32_e64 s4, v90, v9
	v_cndmask_b32_e64 v117, 0, v117, s4
	;; [unrolled: 2-line block ×4, first 2 shown]
.LBB214_3034:                           ;   in Loop: Header=BB214_1571 Depth=1
	s_or_b32 exec_lo, exec_lo, s15
	flat_load_dword v118, v[0:1] offset:1408
	v_mov_b32_e32 v19, 0
	v_mov_b32_e32 v17, 0
	;; [unrolled: 1-line block ×4, first 2 shown]
	s_waitcnt vmcnt(0) lgkmcnt(0)
	v_cmp_ne_u16_sdwa s4, v118, v10 src0_sel:BYTE_0 src1_sel:DWORD
	s_and_saveexec_b32 s15, s4
	s_cbranch_execz .LBB214_3042
; %bb.3035:                             ;   in Loop: Header=BB214_1571 Depth=1
	v_bfrev_b32_e32 v17, 1
	v_mov_b32_e32 v18, 0
	v_cmp_ne_u16_sdwa s4, v118, v41 src0_sel:BYTE_0 src1_sel:DWORD
	s_and_saveexec_b32 s17, s4
	s_cbranch_execz .LBB214_3041
; %bb.3036:                             ;   in Loop: Header=BB214_1571 Depth=1
	v_mov_b32_e32 v17, 0x7f800001
	v_and_b32_e32 v13, 0x7f, v118
	v_mov_b32_e32 v18, 0
	s_mov_b32 s18, exec_lo
	v_cmpx_ne_u32_e32 0x7f, v13
	s_cbranch_execz .LBB214_3040
; %bb.3037:                             ;   in Loop: Header=BB214_1571 Depth=1
	v_and_b32_e32 v9, 7, v118
	v_mov_b32_e32 v18, v10
	v_lshrrev_b32_e32 v11, 3, v13
	s_mov_b32 s19, exec_lo
	v_mov_b32_e32 v17, v9
	v_cmpx_gt_u32_e32 8, v13
; %bb.3038:                             ;   in Loop: Header=BB214_1571 Depth=1
	v_ffbh_u32_e32 v11, v9
	v_min_u32_e32 v11, 32, v11
	v_subrev_nc_u32_e32 v13, 28, v11
	v_sub_nc_u32_e32 v11, 29, v11
	v_lshlrev_b64 v[17:18], v13, v[9:10]
	v_and_b32_e32 v17, 7, v17
; %bb.3039:                             ;   in Loop: Header=BB214_1571 Depth=1
	s_or_b32 exec_lo, exec_lo, s19
	v_lshlrev_b32_e32 v9, 24, v118
	v_lshlrev_b32_e32 v13, 20, v17
	v_lshl_add_u32 v11, v11, 23, 0x3c000000
	v_and_b32_e32 v9, 0x80000000, v9
	v_or3_b32 v9, v13, v9, v11
	v_mov_b32_e32 v18, v10
	v_mov_b32_e32 v17, v9
.LBB214_3040:                           ;   in Loop: Header=BB214_1571 Depth=1
	s_or_b32 exec_lo, exec_lo, s18
.LBB214_3041:                           ;   in Loop: Header=BB214_1571 Depth=1
	s_or_b32 exec_lo, exec_lo, s17
.LBB214_3042:                           ;   in Loop: Header=BB214_1571 Depth=1
	s_or_b32 exec_lo, exec_lo, s15
	v_cmp_ne_u16_sdwa s4, v118, v10 src0_sel:BYTE_1 src1_sel:DWORD
	s_and_saveexec_b32 s15, s4
	s_cbranch_execz .LBB214_3050
; %bb.3043:                             ;   in Loop: Header=BB214_1571 Depth=1
	v_mov_b32_e32 v11, v10
	v_mov_b32_e32 v20, v12
	v_cmp_ne_u16_sdwa s4, v118, v41 src0_sel:BYTE_1 src1_sel:DWORD
	v_mov_b32_e32 v19, v11
	s_and_saveexec_b32 s17, s4
	s_cbranch_execz .LBB214_3049
; %bb.3044:                             ;   in Loop: Header=BB214_1571 Depth=1
	v_and_b32_sdwa v9, v48, v118 dst_sel:DWORD dst_unused:UNUSED_PAD src0_sel:DWORD src1_sel:BYTE_1
	v_mov_b32_e32 v13, v10
	v_mov_b32_e32 v20, v14
	s_mov_b32 s18, exec_lo
	v_and_b32_e32 v21, 0x7f, v9
	v_mov_b32_e32 v19, v13
	v_cmpx_ne_u32_e32 0x7f, v21
	s_cbranch_execz .LBB214_3048
; %bb.3045:                             ;   in Loop: Header=BB214_1571 Depth=1
	v_and_b32_e32 v9, 7, v9
	v_mov_b32_e32 v20, v10
	v_lshrrev_b32_e32 v11, 3, v21
	s_mov_b32 s19, exec_lo
	v_mov_b32_e32 v19, v9
	v_cmpx_gt_u32_e32 8, v21
; %bb.3046:                             ;   in Loop: Header=BB214_1571 Depth=1
	v_ffbh_u32_e32 v11, v9
	v_min_u32_e32 v11, 32, v11
	v_subrev_nc_u32_e32 v13, 28, v11
	v_sub_nc_u32_e32 v11, 29, v11
	v_lshlrev_b64 v[19:20], v13, v[9:10]
	v_and_b32_e32 v19, 7, v19
; %bb.3047:                             ;   in Loop: Header=BB214_1571 Depth=1
	s_or_b32 exec_lo, exec_lo, s19
	v_lshlrev_b32_e32 v9, 16, v118
	v_lshlrev_b32_e32 v13, 20, v19
	v_lshl_add_u32 v11, v11, 23, 0x3c000000
	v_mov_b32_e32 v19, v10
	v_and_b32_e32 v9, 0x80000000, v9
	v_or3_b32 v20, v13, v9, v11
.LBB214_3048:                           ;   in Loop: Header=BB214_1571 Depth=1
	s_or_b32 exec_lo, exec_lo, s18
.LBB214_3049:                           ;   in Loop: Header=BB214_1571 Depth=1
	s_or_b32 exec_lo, exec_lo, s17
.LBB214_3050:                           ;   in Loop: Header=BB214_1571 Depth=1
	s_or_b32 exec_lo, exec_lo, s15
	v_mov_b32_e32 v21, 0
	v_mov_b32_e32 v23, 0
	v_and_b32_sdwa v9, v118, v43 dst_sel:DWORD dst_unused:UNUSED_PAD src0_sel:WORD_1 src1_sel:DWORD
	v_mov_b32_e32 v22, 0
	v_mov_b32_e32 v24, 0
	s_mov_b32 s15, exec_lo
	v_cmpx_ne_u16_e32 0, v9
	s_cbranch_execz .LBB214_3058
; %bb.3051:                             ;   in Loop: Header=BB214_1571 Depth=1
	v_bfrev_b32_e32 v23, 1
	v_mov_b32_e32 v24, 0
	s_mov_b32 s17, exec_lo
	v_cmpx_ne_u16_e32 0x80, v9
	s_cbranch_execz .LBB214_3057
; %bb.3052:                             ;   in Loop: Header=BB214_1571 Depth=1
	v_mov_b32_e32 v23, 0x7f800001
	v_bfe_u32 v13, v118, 16, 7
	v_mov_b32_e32 v24, 0
	s_mov_b32 s18, exec_lo
	v_cmpx_ne_u32_e32 0x7f, v13
	s_cbranch_execz .LBB214_3056
; %bb.3053:                             ;   in Loop: Header=BB214_1571 Depth=1
	v_mov_b32_e32 v9, 7
	v_lshrrev_b32_e32 v11, 3, v13
	s_mov_b32 s19, exec_lo
	v_and_b32_sdwa v9, v118, v9 dst_sel:DWORD dst_unused:UNUSED_PAD src0_sel:WORD_1 src1_sel:DWORD
	v_mov_b32_e32 v24, v10
	v_mov_b32_e32 v23, v9
	v_cmpx_gt_u32_e32 8, v13
; %bb.3054:                             ;   in Loop: Header=BB214_1571 Depth=1
	v_ffbh_u32_e32 v11, v9
	v_min_u32_e32 v11, 32, v11
	v_subrev_nc_u32_e32 v13, 28, v11
	v_sub_nc_u32_e32 v11, 29, v11
	v_lshlrev_b64 v[23:24], v13, v[9:10]
	v_and_b32_e32 v23, 7, v23
; %bb.3055:                             ;   in Loop: Header=BB214_1571 Depth=1
	s_or_b32 exec_lo, exec_lo, s19
	v_mov_b32_e32 v9, 24
	v_lshlrev_b32_e32 v13, 20, v23
	v_lshl_add_u32 v11, v11, 23, 0x3c000000
	v_lshlrev_b32_sdwa v9, v9, v118 dst_sel:DWORD dst_unused:UNUSED_PAD src0_sel:DWORD src1_sel:WORD_1
	v_and_b32_e32 v9, 0x80000000, v9
	v_or3_b32 v9, v13, v9, v11
	v_mov_b32_e32 v24, v10
	v_mov_b32_e32 v23, v9
.LBB214_3056:                           ;   in Loop: Header=BB214_1571 Depth=1
	s_or_b32 exec_lo, exec_lo, s18
.LBB214_3057:                           ;   in Loop: Header=BB214_1571 Depth=1
	s_or_b32 exec_lo, exec_lo, s17
.LBB214_3058:                           ;   in Loop: Header=BB214_1571 Depth=1
	s_or_b32 exec_lo, exec_lo, s15
	s_mov_b32 s15, exec_lo
	v_cmpx_lt_u32_e32 0xffffff, v118
	s_cbranch_execz .LBB214_3066
; %bb.3059:                             ;   in Loop: Header=BB214_1571 Depth=1
	v_mov_b32_e32 v11, v10
	v_mov_b32_e32 v22, v12
	v_cmp_ne_u32_sdwa s4, v118, v41 src0_sel:BYTE_3 src1_sel:DWORD
	v_mov_b32_e32 v21, v11
	s_and_saveexec_b32 s17, s4
	s_cbranch_execz .LBB214_3065
; %bb.3060:                             ;   in Loop: Header=BB214_1571 Depth=1
	v_mov_b32_e32 v13, v10
	v_mov_b32_e32 v22, v14
	v_bfe_u32 v48, v118, 24, 7
	s_mov_b32 s18, exec_lo
	v_mov_b32_e32 v21, v13
	v_cmpx_ne_u32_e32 0x7f, v48
	s_cbranch_execz .LBB214_3064
; %bb.3061:                             ;   in Loop: Header=BB214_1571 Depth=1
	v_mov_b32_e32 v9, 7
	v_lshrrev_b32_e32 v11, 3, v48
	s_mov_b32 s19, exec_lo
	v_and_b32_sdwa v9, v118, v9 dst_sel:DWORD dst_unused:UNUSED_PAD src0_sel:BYTE_3 src1_sel:DWORD
	v_mov_b32_e32 v22, v10
	v_mov_b32_e32 v21, v9
	v_cmpx_gt_u32_e32 8, v48
; %bb.3062:                             ;   in Loop: Header=BB214_1571 Depth=1
	v_ffbh_u32_e32 v11, v9
	v_min_u32_e32 v11, 32, v11
	v_subrev_nc_u32_e32 v13, 28, v11
	v_sub_nc_u32_e32 v11, 29, v11
	v_lshlrev_b64 v[21:22], v13, v[9:10]
	v_and_b32_e32 v21, 7, v21
; %bb.3063:                             ;   in Loop: Header=BB214_1571 Depth=1
	s_or_b32 exec_lo, exec_lo, s19
	v_mov_b32_e32 v9, 24
	v_lshlrev_b32_e32 v13, 20, v21
	v_lshl_add_u32 v11, v11, 23, 0x3c000000
	v_mov_b32_e32 v21, v10
	v_lshlrev_b32_sdwa v9, v9, v118 dst_sel:DWORD dst_unused:UNUSED_PAD src0_sel:DWORD src1_sel:BYTE_3
	v_and_b32_e32 v9, 0x80000000, v9
	v_or3_b32 v22, v13, v9, v11
.LBB214_3064:                           ;   in Loop: Header=BB214_1571 Depth=1
	s_or_b32 exec_lo, exec_lo, s18
	v_mov_b32_e32 v48, 0xffff
.LBB214_3065:                           ;   in Loop: Header=BB214_1571 Depth=1
	s_or_b32 exec_lo, exec_lo, s17
.LBB214_3066:                           ;   in Loop: Header=BB214_1571 Depth=1
	s_or_b32 exec_lo, exec_lo, s15
	v_or_b32_e32 v9, v20, v18
	v_or_b32_e32 v11, v19, v17
	;; [unrolled: 1-line block ×4, first 2 shown]
	v_mul_f32_e32 v61, v74, v9
	v_mul_f32_e32 v60, v74, v11
	;; [unrolled: 1-line block ×4, first 2 shown]
	s_and_saveexec_b32 s15, vcc_lo
	s_cbranch_execz .LBB214_3068
; %bb.3067:                             ;   in Loop: Header=BB214_1571 Depth=1
	buffer_load_dword v9, off, s[0:3], s32 offset:200 ; 4-byte Folded Reload
	s_waitcnt vmcnt(0)
	v_cmp_lt_i32_e64 s4, v79, v9
	v_cndmask_b32_e64 v60, 0, v60, s4
	v_cmp_lt_i32_e64 s4, v90, v9
	v_cndmask_b32_e64 v61, 0, v61, s4
	;; [unrolled: 2-line block ×4, first 2 shown]
.LBB214_3068:                           ;   in Loop: Header=BB214_1571 Depth=1
	s_or_b32 exec_lo, exec_lo, s15
	flat_load_dword v42, v[0:1] offset:1536
	v_mov_b32_e32 v19, 0
	v_mov_b32_e32 v17, 0
	;; [unrolled: 1-line block ×4, first 2 shown]
	s_waitcnt vmcnt(0) lgkmcnt(0)
	v_cmp_ne_u16_sdwa s4, v42, v10 src0_sel:BYTE_0 src1_sel:DWORD
	s_and_saveexec_b32 s15, s4
	s_cbranch_execz .LBB214_3076
; %bb.3069:                             ;   in Loop: Header=BB214_1571 Depth=1
	v_bfrev_b32_e32 v17, 1
	v_mov_b32_e32 v18, 0
	v_cmp_ne_u16_sdwa s4, v42, v41 src0_sel:BYTE_0 src1_sel:DWORD
	s_and_saveexec_b32 s17, s4
	s_cbranch_execz .LBB214_3075
; %bb.3070:                             ;   in Loop: Header=BB214_1571 Depth=1
	v_mov_b32_e32 v17, 0x7f800001
	v_and_b32_e32 v13, 0x7f, v42
	v_mov_b32_e32 v18, 0
	s_mov_b32 s18, exec_lo
	v_cmpx_ne_u32_e32 0x7f, v13
	s_cbranch_execz .LBB214_3074
; %bb.3071:                             ;   in Loop: Header=BB214_1571 Depth=1
	v_and_b32_e32 v9, 7, v42
	v_mov_b32_e32 v18, v10
	v_lshrrev_b32_e32 v11, 3, v13
	s_mov_b32 s19, exec_lo
	v_mov_b32_e32 v17, v9
	v_cmpx_gt_u32_e32 8, v13
; %bb.3072:                             ;   in Loop: Header=BB214_1571 Depth=1
	v_ffbh_u32_e32 v11, v9
	v_min_u32_e32 v11, 32, v11
	v_subrev_nc_u32_e32 v13, 28, v11
	v_sub_nc_u32_e32 v11, 29, v11
	v_lshlrev_b64 v[17:18], v13, v[9:10]
	v_and_b32_e32 v17, 7, v17
; %bb.3073:                             ;   in Loop: Header=BB214_1571 Depth=1
	s_or_b32 exec_lo, exec_lo, s19
	v_lshlrev_b32_e32 v9, 24, v42
	v_lshlrev_b32_e32 v13, 20, v17
	v_lshl_add_u32 v11, v11, 23, 0x3c000000
	v_and_b32_e32 v9, 0x80000000, v9
	v_or3_b32 v9, v13, v9, v11
	v_mov_b32_e32 v18, v10
	v_mov_b32_e32 v17, v9
.LBB214_3074:                           ;   in Loop: Header=BB214_1571 Depth=1
	s_or_b32 exec_lo, exec_lo, s18
.LBB214_3075:                           ;   in Loop: Header=BB214_1571 Depth=1
	s_or_b32 exec_lo, exec_lo, s17
.LBB214_3076:                           ;   in Loop: Header=BB214_1571 Depth=1
	s_or_b32 exec_lo, exec_lo, s15
	v_cmp_ne_u16_sdwa s4, v42, v10 src0_sel:BYTE_1 src1_sel:DWORD
	s_and_saveexec_b32 s15, s4
	s_cbranch_execz .LBB214_3084
; %bb.3077:                             ;   in Loop: Header=BB214_1571 Depth=1
	v_mov_b32_e32 v11, v10
	v_mov_b32_e32 v20, v12
	v_cmp_ne_u16_sdwa s4, v42, v41 src0_sel:BYTE_1 src1_sel:DWORD
	v_mov_b32_e32 v19, v11
	s_and_saveexec_b32 s17, s4
	s_cbranch_execz .LBB214_3083
; %bb.3078:                             ;   in Loop: Header=BB214_1571 Depth=1
	v_and_b32_sdwa v9, v48, v42 dst_sel:DWORD dst_unused:UNUSED_PAD src0_sel:DWORD src1_sel:BYTE_1
	v_mov_b32_e32 v13, v10
	v_mov_b32_e32 v20, v14
	s_mov_b32 s18, exec_lo
	v_and_b32_e32 v21, 0x7f, v9
	v_mov_b32_e32 v19, v13
	v_cmpx_ne_u32_e32 0x7f, v21
	s_cbranch_execz .LBB214_3082
; %bb.3079:                             ;   in Loop: Header=BB214_1571 Depth=1
	v_and_b32_e32 v9, 7, v9
	v_mov_b32_e32 v20, v10
	v_lshrrev_b32_e32 v11, 3, v21
	s_mov_b32 s19, exec_lo
	v_mov_b32_e32 v19, v9
	v_cmpx_gt_u32_e32 8, v21
; %bb.3080:                             ;   in Loop: Header=BB214_1571 Depth=1
	v_ffbh_u32_e32 v11, v9
	v_min_u32_e32 v11, 32, v11
	v_subrev_nc_u32_e32 v13, 28, v11
	v_sub_nc_u32_e32 v11, 29, v11
	v_lshlrev_b64 v[19:20], v13, v[9:10]
	v_and_b32_e32 v19, 7, v19
; %bb.3081:                             ;   in Loop: Header=BB214_1571 Depth=1
	s_or_b32 exec_lo, exec_lo, s19
	v_lshlrev_b32_e32 v9, 16, v42
	v_lshlrev_b32_e32 v13, 20, v19
	v_lshl_add_u32 v11, v11, 23, 0x3c000000
	v_mov_b32_e32 v19, v10
	v_and_b32_e32 v9, 0x80000000, v9
	v_or3_b32 v20, v13, v9, v11
.LBB214_3082:                           ;   in Loop: Header=BB214_1571 Depth=1
	s_or_b32 exec_lo, exec_lo, s18
.LBB214_3083:                           ;   in Loop: Header=BB214_1571 Depth=1
	s_or_b32 exec_lo, exec_lo, s17
.LBB214_3084:                           ;   in Loop: Header=BB214_1571 Depth=1
	s_or_b32 exec_lo, exec_lo, s15
	v_mov_b32_e32 v21, 0
	v_mov_b32_e32 v23, 0
	v_and_b32_sdwa v9, v42, v43 dst_sel:DWORD dst_unused:UNUSED_PAD src0_sel:WORD_1 src1_sel:DWORD
	v_mov_b32_e32 v22, 0
	v_mov_b32_e32 v24, 0
	s_mov_b32 s15, exec_lo
	v_cmpx_ne_u16_e32 0, v9
	s_cbranch_execz .LBB214_3092
; %bb.3085:                             ;   in Loop: Header=BB214_1571 Depth=1
	v_bfrev_b32_e32 v23, 1
	v_mov_b32_e32 v24, 0
	s_mov_b32 s17, exec_lo
	v_cmpx_ne_u16_e32 0x80, v9
	s_cbranch_execz .LBB214_3091
; %bb.3086:                             ;   in Loop: Header=BB214_1571 Depth=1
	v_mov_b32_e32 v23, 0x7f800001
	v_bfe_u32 v13, v42, 16, 7
	v_mov_b32_e32 v24, 0
	s_mov_b32 s18, exec_lo
	v_cmpx_ne_u32_e32 0x7f, v13
	s_cbranch_execz .LBB214_3090
; %bb.3087:                             ;   in Loop: Header=BB214_1571 Depth=1
	v_mov_b32_e32 v9, 7
	v_lshrrev_b32_e32 v11, 3, v13
	s_mov_b32 s19, exec_lo
	v_and_b32_sdwa v9, v42, v9 dst_sel:DWORD dst_unused:UNUSED_PAD src0_sel:WORD_1 src1_sel:DWORD
	v_mov_b32_e32 v24, v10
	v_mov_b32_e32 v23, v9
	v_cmpx_gt_u32_e32 8, v13
; %bb.3088:                             ;   in Loop: Header=BB214_1571 Depth=1
	v_ffbh_u32_e32 v11, v9
	v_min_u32_e32 v11, 32, v11
	v_subrev_nc_u32_e32 v13, 28, v11
	v_sub_nc_u32_e32 v11, 29, v11
	v_lshlrev_b64 v[23:24], v13, v[9:10]
	v_and_b32_e32 v23, 7, v23
; %bb.3089:                             ;   in Loop: Header=BB214_1571 Depth=1
	s_or_b32 exec_lo, exec_lo, s19
	v_mov_b32_e32 v9, 24
	v_lshlrev_b32_e32 v13, 20, v23
	v_lshl_add_u32 v11, v11, 23, 0x3c000000
	v_lshlrev_b32_sdwa v9, v9, v42 dst_sel:DWORD dst_unused:UNUSED_PAD src0_sel:DWORD src1_sel:WORD_1
	v_and_b32_e32 v9, 0x80000000, v9
	v_or3_b32 v9, v13, v9, v11
	v_mov_b32_e32 v24, v10
	v_mov_b32_e32 v23, v9
.LBB214_3090:                           ;   in Loop: Header=BB214_1571 Depth=1
	s_or_b32 exec_lo, exec_lo, s18
.LBB214_3091:                           ;   in Loop: Header=BB214_1571 Depth=1
	s_or_b32 exec_lo, exec_lo, s17
.LBB214_3092:                           ;   in Loop: Header=BB214_1571 Depth=1
	s_or_b32 exec_lo, exec_lo, s15
	s_mov_b32 s15, exec_lo
	v_cmpx_lt_u32_e32 0xffffff, v42
	s_cbranch_execz .LBB214_3100
; %bb.3093:                             ;   in Loop: Header=BB214_1571 Depth=1
	v_mov_b32_e32 v11, v10
	v_mov_b32_e32 v22, v12
	v_cmp_ne_u32_sdwa s4, v42, v41 src0_sel:BYTE_3 src1_sel:DWORD
	v_mov_b32_e32 v21, v11
	s_and_saveexec_b32 s17, s4
	s_cbranch_execz .LBB214_3099
; %bb.3094:                             ;   in Loop: Header=BB214_1571 Depth=1
	v_mov_b32_e32 v13, v10
	v_mov_b32_e32 v22, v14
	v_bfe_u32 v48, v42, 24, 7
	s_mov_b32 s18, exec_lo
	v_mov_b32_e32 v21, v13
	v_cmpx_ne_u32_e32 0x7f, v48
	s_cbranch_execz .LBB214_3098
; %bb.3095:                             ;   in Loop: Header=BB214_1571 Depth=1
	v_mov_b32_e32 v9, 7
	v_lshrrev_b32_e32 v11, 3, v48
	s_mov_b32 s19, exec_lo
	v_and_b32_sdwa v9, v42, v9 dst_sel:DWORD dst_unused:UNUSED_PAD src0_sel:BYTE_3 src1_sel:DWORD
	v_mov_b32_e32 v22, v10
	v_mov_b32_e32 v21, v9
	v_cmpx_gt_u32_e32 8, v48
; %bb.3096:                             ;   in Loop: Header=BB214_1571 Depth=1
	v_ffbh_u32_e32 v11, v9
	v_min_u32_e32 v11, 32, v11
	v_subrev_nc_u32_e32 v13, 28, v11
	v_sub_nc_u32_e32 v11, 29, v11
	v_lshlrev_b64 v[21:22], v13, v[9:10]
	v_and_b32_e32 v21, 7, v21
; %bb.3097:                             ;   in Loop: Header=BB214_1571 Depth=1
	s_or_b32 exec_lo, exec_lo, s19
	v_mov_b32_e32 v9, 24
	v_lshlrev_b32_e32 v13, 20, v21
	v_lshl_add_u32 v11, v11, 23, 0x3c000000
	v_mov_b32_e32 v21, v10
	v_lshlrev_b32_sdwa v9, v9, v42 dst_sel:DWORD dst_unused:UNUSED_PAD src0_sel:DWORD src1_sel:BYTE_3
	v_and_b32_e32 v9, 0x80000000, v9
	v_or3_b32 v22, v13, v9, v11
.LBB214_3098:                           ;   in Loop: Header=BB214_1571 Depth=1
	s_or_b32 exec_lo, exec_lo, s18
	v_mov_b32_e32 v48, 0xffff
.LBB214_3099:                           ;   in Loop: Header=BB214_1571 Depth=1
	s_or_b32 exec_lo, exec_lo, s17
.LBB214_3100:                           ;   in Loop: Header=BB214_1571 Depth=1
	s_or_b32 exec_lo, exec_lo, s15
	v_or_b32_e32 v9, v20, v18
	v_or_b32_e32 v11, v19, v17
	v_or_b32_e32 v13, v21, v23
	v_or_b32_e32 v17, v22, v24
	v_mul_f32_e32 v76, v74, v9
	v_mul_f32_e32 v75, v74, v11
	;; [unrolled: 1-line block ×4, first 2 shown]
	s_and_saveexec_b32 s15, vcc_lo
	s_cbranch_execz .LBB214_3102
; %bb.3101:                             ;   in Loop: Header=BB214_1571 Depth=1
	buffer_load_dword v9, off, s[0:3], s32 offset:200 ; 4-byte Folded Reload
	s_waitcnt vmcnt(0)
	v_cmp_lt_i32_e64 s4, v79, v9
	v_cndmask_b32_e64 v75, 0, v75, s4
	v_cmp_lt_i32_e64 s4, v90, v9
	v_cndmask_b32_e64 v76, 0, v76, s4
	;; [unrolled: 2-line block ×4, first 2 shown]
.LBB214_3102:                           ;   in Loop: Header=BB214_1571 Depth=1
	s_or_b32 exec_lo, exec_lo, s15
	flat_load_dword v42, v[0:1] offset:1664
	v_mov_b32_e32 v19, 0
	v_mov_b32_e32 v17, 0
	;; [unrolled: 1-line block ×4, first 2 shown]
	s_waitcnt vmcnt(0) lgkmcnt(0)
	v_cmp_ne_u16_sdwa s4, v42, v10 src0_sel:BYTE_0 src1_sel:DWORD
	s_and_saveexec_b32 s15, s4
	s_cbranch_execz .LBB214_3110
; %bb.3103:                             ;   in Loop: Header=BB214_1571 Depth=1
	v_bfrev_b32_e32 v17, 1
	v_mov_b32_e32 v18, 0
	v_cmp_ne_u16_sdwa s4, v42, v41 src0_sel:BYTE_0 src1_sel:DWORD
	s_and_saveexec_b32 s17, s4
	s_cbranch_execz .LBB214_3109
; %bb.3104:                             ;   in Loop: Header=BB214_1571 Depth=1
	v_mov_b32_e32 v17, 0x7f800001
	v_and_b32_e32 v13, 0x7f, v42
	v_mov_b32_e32 v18, 0
	s_mov_b32 s18, exec_lo
	v_cmpx_ne_u32_e32 0x7f, v13
	s_cbranch_execz .LBB214_3108
; %bb.3105:                             ;   in Loop: Header=BB214_1571 Depth=1
	v_and_b32_e32 v9, 7, v42
	v_mov_b32_e32 v18, v10
	v_lshrrev_b32_e32 v11, 3, v13
	s_mov_b32 s19, exec_lo
	v_mov_b32_e32 v17, v9
	v_cmpx_gt_u32_e32 8, v13
; %bb.3106:                             ;   in Loop: Header=BB214_1571 Depth=1
	v_ffbh_u32_e32 v11, v9
	v_min_u32_e32 v11, 32, v11
	v_subrev_nc_u32_e32 v13, 28, v11
	v_sub_nc_u32_e32 v11, 29, v11
	v_lshlrev_b64 v[17:18], v13, v[9:10]
	v_and_b32_e32 v17, 7, v17
; %bb.3107:                             ;   in Loop: Header=BB214_1571 Depth=1
	s_or_b32 exec_lo, exec_lo, s19
	v_lshlrev_b32_e32 v9, 24, v42
	v_lshlrev_b32_e32 v13, 20, v17
	v_lshl_add_u32 v11, v11, 23, 0x3c000000
	v_and_b32_e32 v9, 0x80000000, v9
	v_or3_b32 v9, v13, v9, v11
	v_mov_b32_e32 v18, v10
	v_mov_b32_e32 v17, v9
.LBB214_3108:                           ;   in Loop: Header=BB214_1571 Depth=1
	s_or_b32 exec_lo, exec_lo, s18
.LBB214_3109:                           ;   in Loop: Header=BB214_1571 Depth=1
	s_or_b32 exec_lo, exec_lo, s17
.LBB214_3110:                           ;   in Loop: Header=BB214_1571 Depth=1
	s_or_b32 exec_lo, exec_lo, s15
	v_cmp_ne_u16_sdwa s4, v42, v10 src0_sel:BYTE_1 src1_sel:DWORD
	s_and_saveexec_b32 s15, s4
	s_cbranch_execz .LBB214_3118
; %bb.3111:                             ;   in Loop: Header=BB214_1571 Depth=1
	v_mov_b32_e32 v11, v10
	v_mov_b32_e32 v20, v12
	v_cmp_ne_u16_sdwa s4, v42, v41 src0_sel:BYTE_1 src1_sel:DWORD
	v_mov_b32_e32 v19, v11
	s_and_saveexec_b32 s17, s4
	s_cbranch_execz .LBB214_3117
; %bb.3112:                             ;   in Loop: Header=BB214_1571 Depth=1
	v_and_b32_sdwa v9, v48, v42 dst_sel:DWORD dst_unused:UNUSED_PAD src0_sel:DWORD src1_sel:BYTE_1
	v_mov_b32_e32 v13, v10
	v_mov_b32_e32 v20, v14
	s_mov_b32 s18, exec_lo
	v_and_b32_e32 v21, 0x7f, v9
	v_mov_b32_e32 v19, v13
	v_cmpx_ne_u32_e32 0x7f, v21
	s_cbranch_execz .LBB214_3116
; %bb.3113:                             ;   in Loop: Header=BB214_1571 Depth=1
	v_and_b32_e32 v9, 7, v9
	v_mov_b32_e32 v20, v10
	v_lshrrev_b32_e32 v11, 3, v21
	s_mov_b32 s19, exec_lo
	v_mov_b32_e32 v19, v9
	v_cmpx_gt_u32_e32 8, v21
; %bb.3114:                             ;   in Loop: Header=BB214_1571 Depth=1
	v_ffbh_u32_e32 v11, v9
	v_min_u32_e32 v11, 32, v11
	v_subrev_nc_u32_e32 v13, 28, v11
	v_sub_nc_u32_e32 v11, 29, v11
	v_lshlrev_b64 v[19:20], v13, v[9:10]
	v_and_b32_e32 v19, 7, v19
; %bb.3115:                             ;   in Loop: Header=BB214_1571 Depth=1
	s_or_b32 exec_lo, exec_lo, s19
	v_lshlrev_b32_e32 v9, 16, v42
	v_lshlrev_b32_e32 v13, 20, v19
	v_lshl_add_u32 v11, v11, 23, 0x3c000000
	v_mov_b32_e32 v19, v10
	v_and_b32_e32 v9, 0x80000000, v9
	v_or3_b32 v20, v13, v9, v11
.LBB214_3116:                           ;   in Loop: Header=BB214_1571 Depth=1
	s_or_b32 exec_lo, exec_lo, s18
.LBB214_3117:                           ;   in Loop: Header=BB214_1571 Depth=1
	s_or_b32 exec_lo, exec_lo, s17
.LBB214_3118:                           ;   in Loop: Header=BB214_1571 Depth=1
	s_or_b32 exec_lo, exec_lo, s15
	v_mov_b32_e32 v21, 0
	v_mov_b32_e32 v23, 0
	v_and_b32_sdwa v9, v42, v43 dst_sel:DWORD dst_unused:UNUSED_PAD src0_sel:WORD_1 src1_sel:DWORD
	v_mov_b32_e32 v22, 0
	v_mov_b32_e32 v24, 0
	s_mov_b32 s15, exec_lo
	v_cmpx_ne_u16_e32 0, v9
	s_cbranch_execz .LBB214_3126
; %bb.3119:                             ;   in Loop: Header=BB214_1571 Depth=1
	v_bfrev_b32_e32 v23, 1
	v_mov_b32_e32 v24, 0
	s_mov_b32 s17, exec_lo
	v_cmpx_ne_u16_e32 0x80, v9
	s_cbranch_execz .LBB214_3125
; %bb.3120:                             ;   in Loop: Header=BB214_1571 Depth=1
	v_mov_b32_e32 v23, 0x7f800001
	v_bfe_u32 v13, v42, 16, 7
	v_mov_b32_e32 v24, 0
	s_mov_b32 s18, exec_lo
	v_cmpx_ne_u32_e32 0x7f, v13
	s_cbranch_execz .LBB214_3124
; %bb.3121:                             ;   in Loop: Header=BB214_1571 Depth=1
	v_mov_b32_e32 v9, 7
	v_lshrrev_b32_e32 v11, 3, v13
	s_mov_b32 s19, exec_lo
	v_and_b32_sdwa v9, v42, v9 dst_sel:DWORD dst_unused:UNUSED_PAD src0_sel:WORD_1 src1_sel:DWORD
	v_mov_b32_e32 v24, v10
	v_mov_b32_e32 v23, v9
	v_cmpx_gt_u32_e32 8, v13
; %bb.3122:                             ;   in Loop: Header=BB214_1571 Depth=1
	v_ffbh_u32_e32 v11, v9
	v_min_u32_e32 v11, 32, v11
	v_subrev_nc_u32_e32 v13, 28, v11
	v_sub_nc_u32_e32 v11, 29, v11
	v_lshlrev_b64 v[23:24], v13, v[9:10]
	v_and_b32_e32 v23, 7, v23
; %bb.3123:                             ;   in Loop: Header=BB214_1571 Depth=1
	s_or_b32 exec_lo, exec_lo, s19
	v_mov_b32_e32 v9, 24
	v_lshlrev_b32_e32 v13, 20, v23
	v_lshl_add_u32 v11, v11, 23, 0x3c000000
	v_lshlrev_b32_sdwa v9, v9, v42 dst_sel:DWORD dst_unused:UNUSED_PAD src0_sel:DWORD src1_sel:WORD_1
	v_and_b32_e32 v9, 0x80000000, v9
	v_or3_b32 v9, v13, v9, v11
	v_mov_b32_e32 v24, v10
	v_mov_b32_e32 v23, v9
.LBB214_3124:                           ;   in Loop: Header=BB214_1571 Depth=1
	s_or_b32 exec_lo, exec_lo, s18
.LBB214_3125:                           ;   in Loop: Header=BB214_1571 Depth=1
	s_or_b32 exec_lo, exec_lo, s17
.LBB214_3126:                           ;   in Loop: Header=BB214_1571 Depth=1
	s_or_b32 exec_lo, exec_lo, s15
	s_mov_b32 s15, exec_lo
	v_cmpx_lt_u32_e32 0xffffff, v42
	s_cbranch_execz .LBB214_3134
; %bb.3127:                             ;   in Loop: Header=BB214_1571 Depth=1
	v_mov_b32_e32 v11, v10
	v_mov_b32_e32 v22, v12
	v_cmp_ne_u32_sdwa s4, v42, v41 src0_sel:BYTE_3 src1_sel:DWORD
	v_mov_b32_e32 v21, v11
	s_and_saveexec_b32 s17, s4
	s_cbranch_execz .LBB214_3133
; %bb.3128:                             ;   in Loop: Header=BB214_1571 Depth=1
	v_mov_b32_e32 v13, v10
	v_mov_b32_e32 v22, v14
	v_bfe_u32 v48, v42, 24, 7
	s_mov_b32 s18, exec_lo
	v_mov_b32_e32 v21, v13
	v_cmpx_ne_u32_e32 0x7f, v48
	s_cbranch_execz .LBB214_3132
; %bb.3129:                             ;   in Loop: Header=BB214_1571 Depth=1
	v_mov_b32_e32 v9, 7
	v_lshrrev_b32_e32 v11, 3, v48
	s_mov_b32 s19, exec_lo
	v_and_b32_sdwa v9, v42, v9 dst_sel:DWORD dst_unused:UNUSED_PAD src0_sel:BYTE_3 src1_sel:DWORD
	v_mov_b32_e32 v22, v10
	v_mov_b32_e32 v21, v9
	v_cmpx_gt_u32_e32 8, v48
; %bb.3130:                             ;   in Loop: Header=BB214_1571 Depth=1
	v_ffbh_u32_e32 v11, v9
	v_min_u32_e32 v11, 32, v11
	v_subrev_nc_u32_e32 v13, 28, v11
	v_sub_nc_u32_e32 v11, 29, v11
	v_lshlrev_b64 v[21:22], v13, v[9:10]
	v_and_b32_e32 v21, 7, v21
; %bb.3131:                             ;   in Loop: Header=BB214_1571 Depth=1
	s_or_b32 exec_lo, exec_lo, s19
	v_mov_b32_e32 v9, 24
	v_lshlrev_b32_e32 v13, 20, v21
	v_lshl_add_u32 v11, v11, 23, 0x3c000000
	v_mov_b32_e32 v21, v10
	v_lshlrev_b32_sdwa v9, v9, v42 dst_sel:DWORD dst_unused:UNUSED_PAD src0_sel:DWORD src1_sel:BYTE_3
	v_and_b32_e32 v9, 0x80000000, v9
	v_or3_b32 v22, v13, v9, v11
.LBB214_3132:                           ;   in Loop: Header=BB214_1571 Depth=1
	s_or_b32 exec_lo, exec_lo, s18
	v_mov_b32_e32 v48, 0xffff
.LBB214_3133:                           ;   in Loop: Header=BB214_1571 Depth=1
	s_or_b32 exec_lo, exec_lo, s17
.LBB214_3134:                           ;   in Loop: Header=BB214_1571 Depth=1
	s_or_b32 exec_lo, exec_lo, s15
	v_or_b32_e32 v9, v20, v18
	v_or_b32_e32 v11, v19, v17
	;; [unrolled: 1-line block ×4, first 2 shown]
	v_mul_f32_e32 v45, v74, v9
	v_mul_f32_e32 v44, v74, v11
	;; [unrolled: 1-line block ×4, first 2 shown]
	s_and_saveexec_b32 s15, vcc_lo
	s_cbranch_execz .LBB214_3136
; %bb.3135:                             ;   in Loop: Header=BB214_1571 Depth=1
	buffer_load_dword v9, off, s[0:3], s32 offset:200 ; 4-byte Folded Reload
	s_waitcnt vmcnt(0)
	v_cmp_lt_i32_e64 s4, v79, v9
	v_cndmask_b32_e64 v44, 0, v44, s4
	v_cmp_lt_i32_e64 s4, v90, v9
	v_cndmask_b32_e64 v45, 0, v45, s4
	;; [unrolled: 2-line block ×4, first 2 shown]
.LBB214_3136:                           ;   in Loop: Header=BB214_1571 Depth=1
	s_or_b32 exec_lo, exec_lo, s15
	flat_load_dword v78, v[0:1] offset:1792
	v_mov_b32_e32 v19, 0
	v_mov_b32_e32 v17, 0
	;; [unrolled: 1-line block ×4, first 2 shown]
	s_waitcnt vmcnt(0) lgkmcnt(0)
	v_cmp_ne_u16_sdwa s4, v78, v10 src0_sel:BYTE_0 src1_sel:DWORD
	s_and_saveexec_b32 s15, s4
	s_cbranch_execz .LBB214_3144
; %bb.3137:                             ;   in Loop: Header=BB214_1571 Depth=1
	v_bfrev_b32_e32 v17, 1
	v_mov_b32_e32 v18, 0
	v_cmp_ne_u16_sdwa s4, v78, v41 src0_sel:BYTE_0 src1_sel:DWORD
	s_and_saveexec_b32 s17, s4
	s_cbranch_execz .LBB214_3143
; %bb.3138:                             ;   in Loop: Header=BB214_1571 Depth=1
	v_mov_b32_e32 v17, 0x7f800001
	v_and_b32_e32 v13, 0x7f, v78
	v_mov_b32_e32 v18, 0
	s_mov_b32 s18, exec_lo
	v_cmpx_ne_u32_e32 0x7f, v13
	s_cbranch_execz .LBB214_3142
; %bb.3139:                             ;   in Loop: Header=BB214_1571 Depth=1
	v_and_b32_e32 v9, 7, v78
	v_mov_b32_e32 v18, v10
	v_lshrrev_b32_e32 v11, 3, v13
	s_mov_b32 s19, exec_lo
	v_mov_b32_e32 v17, v9
	v_cmpx_gt_u32_e32 8, v13
; %bb.3140:                             ;   in Loop: Header=BB214_1571 Depth=1
	v_ffbh_u32_e32 v11, v9
	v_min_u32_e32 v11, 32, v11
	v_subrev_nc_u32_e32 v13, 28, v11
	v_sub_nc_u32_e32 v11, 29, v11
	v_lshlrev_b64 v[17:18], v13, v[9:10]
	v_and_b32_e32 v17, 7, v17
; %bb.3141:                             ;   in Loop: Header=BB214_1571 Depth=1
	s_or_b32 exec_lo, exec_lo, s19
	v_lshlrev_b32_e32 v9, 24, v78
	v_lshlrev_b32_e32 v13, 20, v17
	v_lshl_add_u32 v11, v11, 23, 0x3c000000
	v_and_b32_e32 v9, 0x80000000, v9
	v_or3_b32 v9, v13, v9, v11
	v_mov_b32_e32 v18, v10
	v_mov_b32_e32 v17, v9
.LBB214_3142:                           ;   in Loop: Header=BB214_1571 Depth=1
	s_or_b32 exec_lo, exec_lo, s18
.LBB214_3143:                           ;   in Loop: Header=BB214_1571 Depth=1
	s_or_b32 exec_lo, exec_lo, s17
.LBB214_3144:                           ;   in Loop: Header=BB214_1571 Depth=1
	s_or_b32 exec_lo, exec_lo, s15
	v_cmp_ne_u16_sdwa s4, v78, v10 src0_sel:BYTE_1 src1_sel:DWORD
	s_and_saveexec_b32 s15, s4
	s_cbranch_execz .LBB214_3152
; %bb.3145:                             ;   in Loop: Header=BB214_1571 Depth=1
	v_mov_b32_e32 v11, v10
	v_mov_b32_e32 v20, v12
	v_cmp_ne_u16_sdwa s4, v78, v41 src0_sel:BYTE_1 src1_sel:DWORD
	v_mov_b32_e32 v19, v11
	s_and_saveexec_b32 s17, s4
	s_cbranch_execz .LBB214_3151
; %bb.3146:                             ;   in Loop: Header=BB214_1571 Depth=1
	v_and_b32_sdwa v9, v48, v78 dst_sel:DWORD dst_unused:UNUSED_PAD src0_sel:DWORD src1_sel:BYTE_1
	v_mov_b32_e32 v13, v10
	v_mov_b32_e32 v20, v14
	s_mov_b32 s18, exec_lo
	v_and_b32_e32 v21, 0x7f, v9
	v_mov_b32_e32 v19, v13
	v_cmpx_ne_u32_e32 0x7f, v21
	s_cbranch_execz .LBB214_3150
; %bb.3147:                             ;   in Loop: Header=BB214_1571 Depth=1
	v_and_b32_e32 v9, 7, v9
	v_mov_b32_e32 v20, v10
	v_lshrrev_b32_e32 v11, 3, v21
	s_mov_b32 s19, exec_lo
	v_mov_b32_e32 v19, v9
	v_cmpx_gt_u32_e32 8, v21
; %bb.3148:                             ;   in Loop: Header=BB214_1571 Depth=1
	v_ffbh_u32_e32 v11, v9
	v_min_u32_e32 v11, 32, v11
	v_subrev_nc_u32_e32 v13, 28, v11
	v_sub_nc_u32_e32 v11, 29, v11
	v_lshlrev_b64 v[19:20], v13, v[9:10]
	v_and_b32_e32 v19, 7, v19
; %bb.3149:                             ;   in Loop: Header=BB214_1571 Depth=1
	s_or_b32 exec_lo, exec_lo, s19
	v_lshlrev_b32_e32 v9, 16, v78
	v_lshlrev_b32_e32 v13, 20, v19
	v_lshl_add_u32 v11, v11, 23, 0x3c000000
	v_mov_b32_e32 v19, v10
	v_and_b32_e32 v9, 0x80000000, v9
	v_or3_b32 v20, v13, v9, v11
.LBB214_3150:                           ;   in Loop: Header=BB214_1571 Depth=1
	s_or_b32 exec_lo, exec_lo, s18
.LBB214_3151:                           ;   in Loop: Header=BB214_1571 Depth=1
	s_or_b32 exec_lo, exec_lo, s17
.LBB214_3152:                           ;   in Loop: Header=BB214_1571 Depth=1
	s_or_b32 exec_lo, exec_lo, s15
	v_mov_b32_e32 v21, 0
	v_mov_b32_e32 v23, 0
	v_and_b32_sdwa v9, v78, v43 dst_sel:DWORD dst_unused:UNUSED_PAD src0_sel:WORD_1 src1_sel:DWORD
	v_mov_b32_e32 v22, 0
	v_mov_b32_e32 v24, 0
	s_mov_b32 s15, exec_lo
	v_cmpx_ne_u16_e32 0, v9
	s_cbranch_execz .LBB214_3160
; %bb.3153:                             ;   in Loop: Header=BB214_1571 Depth=1
	v_bfrev_b32_e32 v23, 1
	v_mov_b32_e32 v24, 0
	s_mov_b32 s17, exec_lo
	v_cmpx_ne_u16_e32 0x80, v9
	s_cbranch_execz .LBB214_3159
; %bb.3154:                             ;   in Loop: Header=BB214_1571 Depth=1
	v_mov_b32_e32 v23, 0x7f800001
	v_bfe_u32 v13, v78, 16, 7
	v_mov_b32_e32 v24, 0
	s_mov_b32 s18, exec_lo
	v_cmpx_ne_u32_e32 0x7f, v13
	s_cbranch_execz .LBB214_3158
; %bb.3155:                             ;   in Loop: Header=BB214_1571 Depth=1
	v_mov_b32_e32 v9, 7
	v_lshrrev_b32_e32 v11, 3, v13
	s_mov_b32 s19, exec_lo
	v_and_b32_sdwa v9, v78, v9 dst_sel:DWORD dst_unused:UNUSED_PAD src0_sel:WORD_1 src1_sel:DWORD
	v_mov_b32_e32 v24, v10
	v_mov_b32_e32 v23, v9
	v_cmpx_gt_u32_e32 8, v13
; %bb.3156:                             ;   in Loop: Header=BB214_1571 Depth=1
	v_ffbh_u32_e32 v11, v9
	v_min_u32_e32 v11, 32, v11
	v_subrev_nc_u32_e32 v13, 28, v11
	v_sub_nc_u32_e32 v11, 29, v11
	v_lshlrev_b64 v[23:24], v13, v[9:10]
	v_and_b32_e32 v23, 7, v23
; %bb.3157:                             ;   in Loop: Header=BB214_1571 Depth=1
	s_or_b32 exec_lo, exec_lo, s19
	v_mov_b32_e32 v9, 24
	v_lshlrev_b32_e32 v13, 20, v23
	v_lshl_add_u32 v11, v11, 23, 0x3c000000
	v_lshlrev_b32_sdwa v9, v9, v78 dst_sel:DWORD dst_unused:UNUSED_PAD src0_sel:DWORD src1_sel:WORD_1
	v_and_b32_e32 v9, 0x80000000, v9
	v_or3_b32 v9, v13, v9, v11
	v_mov_b32_e32 v24, v10
	v_mov_b32_e32 v23, v9
.LBB214_3158:                           ;   in Loop: Header=BB214_1571 Depth=1
	s_or_b32 exec_lo, exec_lo, s18
.LBB214_3159:                           ;   in Loop: Header=BB214_1571 Depth=1
	s_or_b32 exec_lo, exec_lo, s17
.LBB214_3160:                           ;   in Loop: Header=BB214_1571 Depth=1
	s_or_b32 exec_lo, exec_lo, s15
	s_mov_b32 s15, exec_lo
	v_cmpx_lt_u32_e32 0xffffff, v78
	s_cbranch_execz .LBB214_3168
; %bb.3161:                             ;   in Loop: Header=BB214_1571 Depth=1
	v_mov_b32_e32 v11, v10
	v_mov_b32_e32 v22, v12
	v_cmp_ne_u32_sdwa s4, v78, v41 src0_sel:BYTE_3 src1_sel:DWORD
	v_mov_b32_e32 v21, v11
	s_and_saveexec_b32 s17, s4
	s_cbranch_execz .LBB214_3167
; %bb.3162:                             ;   in Loop: Header=BB214_1571 Depth=1
	v_mov_b32_e32 v13, v10
	v_mov_b32_e32 v22, v14
	v_bfe_u32 v48, v78, 24, 7
	s_mov_b32 s18, exec_lo
	v_mov_b32_e32 v21, v13
	v_cmpx_ne_u32_e32 0x7f, v48
	s_cbranch_execz .LBB214_3166
; %bb.3163:                             ;   in Loop: Header=BB214_1571 Depth=1
	v_mov_b32_e32 v9, 7
	v_lshrrev_b32_e32 v11, 3, v48
	s_mov_b32 s19, exec_lo
	v_and_b32_sdwa v9, v78, v9 dst_sel:DWORD dst_unused:UNUSED_PAD src0_sel:BYTE_3 src1_sel:DWORD
	v_mov_b32_e32 v22, v10
	v_mov_b32_e32 v21, v9
	v_cmpx_gt_u32_e32 8, v48
; %bb.3164:                             ;   in Loop: Header=BB214_1571 Depth=1
	v_ffbh_u32_e32 v11, v9
	v_min_u32_e32 v11, 32, v11
	v_subrev_nc_u32_e32 v13, 28, v11
	v_sub_nc_u32_e32 v11, 29, v11
	v_lshlrev_b64 v[21:22], v13, v[9:10]
	v_and_b32_e32 v21, 7, v21
; %bb.3165:                             ;   in Loop: Header=BB214_1571 Depth=1
	s_or_b32 exec_lo, exec_lo, s19
	v_mov_b32_e32 v9, 24
	v_lshlrev_b32_e32 v13, 20, v21
	v_lshl_add_u32 v11, v11, 23, 0x3c000000
	v_mov_b32_e32 v21, v10
	v_lshlrev_b32_sdwa v9, v9, v78 dst_sel:DWORD dst_unused:UNUSED_PAD src0_sel:DWORD src1_sel:BYTE_3
	v_and_b32_e32 v9, 0x80000000, v9
	v_or3_b32 v22, v13, v9, v11
.LBB214_3166:                           ;   in Loop: Header=BB214_1571 Depth=1
	s_or_b32 exec_lo, exec_lo, s18
	v_mov_b32_e32 v48, 0xffff
.LBB214_3167:                           ;   in Loop: Header=BB214_1571 Depth=1
	s_or_b32 exec_lo, exec_lo, s17
.LBB214_3168:                           ;   in Loop: Header=BB214_1571 Depth=1
	s_or_b32 exec_lo, exec_lo, s15
	v_or_b32_e32 v9, v20, v18
	v_or_b32_e32 v11, v19, v17
	;; [unrolled: 1-line block ×4, first 2 shown]
	v_mul_f32_e32 v91, v74, v9
	v_mul_f32_e32 v78, v74, v11
	;; [unrolled: 1-line block ×4, first 2 shown]
	s_and_saveexec_b32 s15, vcc_lo
	s_cbranch_execz .LBB214_3170
; %bb.3169:                             ;   in Loop: Header=BB214_1571 Depth=1
	buffer_load_dword v9, off, s[0:3], s32 offset:200 ; 4-byte Folded Reload
	s_waitcnt vmcnt(0)
	v_cmp_lt_i32_e64 s4, v79, v9
	v_cndmask_b32_e64 v78, 0, v78, s4
	v_cmp_lt_i32_e64 s4, v90, v9
	v_cndmask_b32_e64 v91, 0, v91, s4
	;; [unrolled: 2-line block ×4, first 2 shown]
.LBB214_3170:                           ;   in Loop: Header=BB214_1571 Depth=1
	s_or_b32 exec_lo, exec_lo, s15
	flat_load_dword v92, v[0:1] offset:1920
	v_mov_b32_e32 v17, 0
	v_mov_b32_e32 v0, 0
	v_mov_b32_e32 v18, 0
	v_mov_b32_e32 v1, 0
	s_waitcnt vmcnt(0) lgkmcnt(0)
	v_cmp_ne_u16_sdwa s4, v92, v10 src0_sel:BYTE_0 src1_sel:DWORD
	s_and_saveexec_b32 s15, s4
	s_cbranch_execz .LBB214_3178
; %bb.3171:                             ;   in Loop: Header=BB214_1571 Depth=1
	v_bfrev_b32_e32 v0, 1
	v_mov_b32_e32 v1, 0
	v_cmp_ne_u16_sdwa s4, v92, v41 src0_sel:BYTE_0 src1_sel:DWORD
	s_and_saveexec_b32 s17, s4
	s_cbranch_execz .LBB214_3177
; %bb.3172:                             ;   in Loop: Header=BB214_1571 Depth=1
	v_mov_b32_e32 v0, 0x7f800001
	v_and_b32_e32 v13, 0x7f, v92
	v_mov_b32_e32 v1, 0
	s_mov_b32 s18, exec_lo
	v_cmpx_ne_u32_e32 0x7f, v13
	s_cbranch_execz .LBB214_3176
; %bb.3173:                             ;   in Loop: Header=BB214_1571 Depth=1
	v_and_b32_e32 v9, 7, v92
	v_lshrrev_b32_e32 v11, 3, v13
	s_mov_b32 s19, exec_lo
	v_mov_b32_e32 v0, v9
	v_mov_b32_e32 v1, v10
	v_cmpx_gt_u32_e32 8, v13
; %bb.3174:                             ;   in Loop: Header=BB214_1571 Depth=1
	v_ffbh_u32_e32 v0, v9
	v_min_u32_e32 v11, 32, v0
	v_subrev_nc_u32_e32 v0, 28, v11
	v_sub_nc_u32_e32 v11, 29, v11
	v_lshlrev_b64 v[0:1], v0, v[9:10]
	v_and_b32_e32 v0, 7, v0
; %bb.3175:                             ;   in Loop: Header=BB214_1571 Depth=1
	s_or_b32 exec_lo, exec_lo, s19
	v_lshlrev_b32_e32 v1, 24, v92
	v_lshlrev_b32_e32 v0, 20, v0
	v_lshl_add_u32 v9, v11, 23, 0x3c000000
	v_and_b32_e32 v1, 0x80000000, v1
	v_or3_b32 v9, v0, v1, v9
	v_mov_b32_e32 v0, v9
	v_mov_b32_e32 v1, v10
.LBB214_3176:                           ;   in Loop: Header=BB214_1571 Depth=1
	s_or_b32 exec_lo, exec_lo, s18
.LBB214_3177:                           ;   in Loop: Header=BB214_1571 Depth=1
	s_or_b32 exec_lo, exec_lo, s17
.LBB214_3178:                           ;   in Loop: Header=BB214_1571 Depth=1
	s_or_b32 exec_lo, exec_lo, s15
	v_cmp_ne_u16_sdwa s4, v92, v10 src0_sel:BYTE_1 src1_sel:DWORD
	s_and_saveexec_b32 s15, s4
	s_cbranch_execz .LBB214_3186
; %bb.3179:                             ;   in Loop: Header=BB214_1571 Depth=1
	v_mov_b32_e32 v11, v10
	v_mov_b32_e32 v18, v12
	v_cmp_ne_u16_sdwa s4, v92, v41 src0_sel:BYTE_1 src1_sel:DWORD
	v_mov_b32_e32 v17, v11
	s_and_saveexec_b32 s17, s4
	s_cbranch_execz .LBB214_3185
; %bb.3180:                             ;   in Loop: Header=BB214_1571 Depth=1
	v_and_b32_sdwa v9, v48, v92 dst_sel:DWORD dst_unused:UNUSED_PAD src0_sel:DWORD src1_sel:BYTE_1
	v_mov_b32_e32 v13, v10
	v_mov_b32_e32 v18, v14
	s_mov_b32 s18, exec_lo
	v_and_b32_e32 v19, 0x7f, v9
	v_mov_b32_e32 v17, v13
	v_cmpx_ne_u32_e32 0x7f, v19
	s_cbranch_execz .LBB214_3184
; %bb.3181:                             ;   in Loop: Header=BB214_1571 Depth=1
	v_and_b32_e32 v9, 7, v9
	v_mov_b32_e32 v18, v10
	v_lshrrev_b32_e32 v11, 3, v19
	s_mov_b32 s19, exec_lo
	v_mov_b32_e32 v17, v9
	v_cmpx_gt_u32_e32 8, v19
; %bb.3182:                             ;   in Loop: Header=BB214_1571 Depth=1
	v_ffbh_u32_e32 v11, v9
	v_min_u32_e32 v11, 32, v11
	v_subrev_nc_u32_e32 v13, 28, v11
	v_sub_nc_u32_e32 v11, 29, v11
	v_lshlrev_b64 v[17:18], v13, v[9:10]
	v_and_b32_e32 v17, 7, v17
; %bb.3183:                             ;   in Loop: Header=BB214_1571 Depth=1
	s_or_b32 exec_lo, exec_lo, s19
	v_lshlrev_b32_e32 v9, 16, v92
	v_lshlrev_b32_e32 v13, 20, v17
	v_lshl_add_u32 v11, v11, 23, 0x3c000000
	v_mov_b32_e32 v17, v10
	v_and_b32_e32 v9, 0x80000000, v9
	v_or3_b32 v18, v13, v9, v11
.LBB214_3184:                           ;   in Loop: Header=BB214_1571 Depth=1
	s_or_b32 exec_lo, exec_lo, s18
.LBB214_3185:                           ;   in Loop: Header=BB214_1571 Depth=1
	s_or_b32 exec_lo, exec_lo, s17
.LBB214_3186:                           ;   in Loop: Header=BB214_1571 Depth=1
	s_or_b32 exec_lo, exec_lo, s15
	v_mov_b32_e32 v19, 0
	v_mov_b32_e32 v21, 0
	v_and_b32_sdwa v9, v92, v43 dst_sel:DWORD dst_unused:UNUSED_PAD src0_sel:WORD_1 src1_sel:DWORD
	v_mov_b32_e32 v20, 0
	v_mov_b32_e32 v22, 0
	s_mov_b32 s15, exec_lo
	v_cmpx_ne_u16_e32 0, v9
	s_cbranch_execz .LBB214_3194
; %bb.3187:                             ;   in Loop: Header=BB214_1571 Depth=1
	v_bfrev_b32_e32 v21, 1
	v_mov_b32_e32 v22, 0
	s_mov_b32 s17, exec_lo
	v_cmpx_ne_u16_e32 0x80, v9
	s_cbranch_execz .LBB214_3193
; %bb.3188:                             ;   in Loop: Header=BB214_1571 Depth=1
	v_mov_b32_e32 v21, 0x7f800001
	v_bfe_u32 v13, v92, 16, 7
	v_mov_b32_e32 v22, 0
	s_mov_b32 s18, exec_lo
	v_cmpx_ne_u32_e32 0x7f, v13
	s_cbranch_execz .LBB214_3192
; %bb.3189:                             ;   in Loop: Header=BB214_1571 Depth=1
	v_mov_b32_e32 v9, 7
	v_lshrrev_b32_e32 v11, 3, v13
	s_mov_b32 s19, exec_lo
	v_and_b32_sdwa v9, v92, v9 dst_sel:DWORD dst_unused:UNUSED_PAD src0_sel:WORD_1 src1_sel:DWORD
	v_mov_b32_e32 v22, v10
	v_mov_b32_e32 v21, v9
	v_cmpx_gt_u32_e32 8, v13
; %bb.3190:                             ;   in Loop: Header=BB214_1571 Depth=1
	v_ffbh_u32_e32 v11, v9
	v_min_u32_e32 v11, 32, v11
	v_subrev_nc_u32_e32 v13, 28, v11
	v_sub_nc_u32_e32 v11, 29, v11
	v_lshlrev_b64 v[21:22], v13, v[9:10]
	v_and_b32_e32 v21, 7, v21
; %bb.3191:                             ;   in Loop: Header=BB214_1571 Depth=1
	s_or_b32 exec_lo, exec_lo, s19
	v_mov_b32_e32 v9, 24
	v_lshlrev_b32_e32 v13, 20, v21
	v_lshl_add_u32 v11, v11, 23, 0x3c000000
	v_lshlrev_b32_sdwa v9, v9, v92 dst_sel:DWORD dst_unused:UNUSED_PAD src0_sel:DWORD src1_sel:WORD_1
	v_and_b32_e32 v9, 0x80000000, v9
	v_or3_b32 v9, v13, v9, v11
	v_mov_b32_e32 v22, v10
	v_mov_b32_e32 v21, v9
.LBB214_3192:                           ;   in Loop: Header=BB214_1571 Depth=1
	s_or_b32 exec_lo, exec_lo, s18
.LBB214_3193:                           ;   in Loop: Header=BB214_1571 Depth=1
	s_or_b32 exec_lo, exec_lo, s17
.LBB214_3194:                           ;   in Loop: Header=BB214_1571 Depth=1
	s_or_b32 exec_lo, exec_lo, s15
	s_mov_b32 s15, exec_lo
	v_cmpx_lt_u32_e32 0xffffff, v92
	s_cbranch_execz .LBB214_3202
; %bb.3195:                             ;   in Loop: Header=BB214_1571 Depth=1
	v_mov_b32_e32 v11, v10
	v_mov_b32_e32 v20, v12
	v_cmp_ne_u32_sdwa s4, v92, v41 src0_sel:BYTE_3 src1_sel:DWORD
	v_mov_b32_e32 v19, v11
	s_and_saveexec_b32 s17, s4
	s_cbranch_execz .LBB214_3201
; %bb.3196:                             ;   in Loop: Header=BB214_1571 Depth=1
	v_mov_b32_e32 v13, v10
	v_mov_b32_e32 v20, v14
	v_bfe_u32 v48, v92, 24, 7
	s_mov_b32 s18, exec_lo
	v_mov_b32_e32 v19, v13
	v_cmpx_ne_u32_e32 0x7f, v48
	s_cbranch_execz .LBB214_3200
; %bb.3197:                             ;   in Loop: Header=BB214_1571 Depth=1
	v_mov_b32_e32 v9, 7
	v_lshrrev_b32_e32 v11, 3, v48
	s_mov_b32 s19, exec_lo
	v_and_b32_sdwa v9, v92, v9 dst_sel:DWORD dst_unused:UNUSED_PAD src0_sel:BYTE_3 src1_sel:DWORD
	v_mov_b32_e32 v20, v10
	v_mov_b32_e32 v19, v9
	v_cmpx_gt_u32_e32 8, v48
; %bb.3198:                             ;   in Loop: Header=BB214_1571 Depth=1
	v_ffbh_u32_e32 v11, v9
	v_min_u32_e32 v11, 32, v11
	v_subrev_nc_u32_e32 v13, 28, v11
	v_sub_nc_u32_e32 v11, 29, v11
	v_lshlrev_b64 v[19:20], v13, v[9:10]
	v_and_b32_e32 v19, 7, v19
; %bb.3199:                             ;   in Loop: Header=BB214_1571 Depth=1
	s_or_b32 exec_lo, exec_lo, s19
	v_mov_b32_e32 v9, 24
	v_lshlrev_b32_e32 v13, 20, v19
	v_lshl_add_u32 v11, v11, 23, 0x3c000000
	v_mov_b32_e32 v19, v10
	v_lshlrev_b32_sdwa v9, v9, v92 dst_sel:DWORD dst_unused:UNUSED_PAD src0_sel:DWORD src1_sel:BYTE_3
	v_and_b32_e32 v9, 0x80000000, v9
	v_or3_b32 v20, v13, v9, v11
.LBB214_3200:                           ;   in Loop: Header=BB214_1571 Depth=1
	s_or_b32 exec_lo, exec_lo, s18
	v_mov_b32_e32 v48, 0xffff
.LBB214_3201:                           ;   in Loop: Header=BB214_1571 Depth=1
	s_or_b32 exec_lo, exec_lo, s17
.LBB214_3202:                           ;   in Loop: Header=BB214_1571 Depth=1
	s_or_b32 exec_lo, exec_lo, s15
	v_or_b32_e32 v1, v18, v1
	v_or_b32_e32 v0, v17, v0
	;; [unrolled: 1-line block ×4, first 2 shown]
	v_mul_f32_e32 v11, v74, v1
	v_mul_f32_e32 v9, v74, v0
	;; [unrolled: 1-line block ×4, first 2 shown]
	s_and_saveexec_b32 s4, vcc_lo
	s_cbranch_execz .LBB214_1569
; %bb.3203:                             ;   in Loop: Header=BB214_1571 Depth=1
	buffer_load_dword v13, off, s[0:3], s32 offset:200 ; 4-byte Folded Reload
	s_waitcnt vmcnt(0)
	v_cmp_lt_i32_e32 vcc_lo, v79, v13
	v_cndmask_b32_e32 v9, 0, v9, vcc_lo
	v_cmp_lt_i32_e32 vcc_lo, v90, v13
	v_cndmask_b32_e32 v11, 0, v11, vcc_lo
	;; [unrolled: 2-line block ×4, first 2 shown]
	s_branch .LBB214_1569
.LBB214_3204:
	s_or_b32 exec_lo, exec_lo, s6
	s_clause 0x2a
	buffer_load_dword v102, off, s[0:3], s32 offset:1380
	buffer_load_dword v80, off, s[0:3], s32 offset:984
	;; [unrolled: 1-line block ×43, first 2 shown]
.LBB214_3205:
	s_or_b32 exec_lo, exec_lo, s5
	s_waitcnt vmcnt(1)
	ds_bpermute_b32 v0, v30, v31
	s_waitcnt vmcnt(0)
	ds_bpermute_b32 v1, v30, v32
	ds_bpermute_b32 v2, v30, v7
	;; [unrolled: 1-line block ×3, first 2 shown]
	v_mov_b32_e32 v27, v5
	ds_bpermute_b32 v5, v30, v18
	v_mov_b32_e32 v28, v7
	ds_bpermute_b32 v7, v30, v17
	ds_bpermute_b32 v8, v30, v16
	ds_bpermute_b32 v4, v30, v26
	ds_bpermute_b32 v13, v30, v21
	ds_bpermute_b32 v9, v30, v25
	ds_bpermute_b32 v11, v30, v23
	ds_bpermute_b32 v12, v30, v22
	ds_bpermute_b32 v10, v30, v24
	ds_bpermute_b32 v15, v30, v19
	v_mov_b32_e32 v68, v19
	ds_bpermute_b32 v14, v30, v20
	v_mov_b32_e32 v69, v20
	s_waitcnt lgkmcnt(0)
	s_waitcnt_vscnt null, 0x0
	v_add_f32_e32 v0, v31, v0
	v_add_f32_e32 v1, v32, v1
	v_add_f32_e32 v2, v28, v2
	v_add_f32_e32 v3, v27, v3
	v_mov_b32_e32 v32, v21
	v_add_f32_e32 v5, v18, v5
	ds_bpermute_b32 v28, v30, v54
	v_add_f32_e32 v7, v17, v7
	v_add_f32_e32 v8, v16, v8
	ds_bpermute_b32 v16, v29, v0
	ds_bpermute_b32 v17, v29, v1
	;; [unrolled: 1-line block ×4, first 2 shown]
	v_add_f32_e32 v4, v26, v4
	v_add_f32_e32 v13, v32, v13
	;; [unrolled: 1-line block ×5, first 2 shown]
	ds_bpermute_b32 v20, v29, v4
	ds_bpermute_b32 v21, v29, v5
	;; [unrolled: 1-line block ×4, first 2 shown]
	v_add_f32_e32 v10, v24, v10
	ds_bpermute_b32 v24, v29, v9
	ds_bpermute_b32 v31, v30, v34
	;; [unrolled: 1-line block ×6, first 2 shown]
	s_waitcnt lgkmcnt(13)
	v_add_f32_e32 v0, v0, v16
	s_waitcnt lgkmcnt(12)
	v_add_f32_e32 v1, v1, v17
	;; [unrolled: 2-line block ×3, first 2 shown]
	ds_bpermute_b32 v16, v29, v13
	s_waitcnt lgkmcnt(11)
	v_add_f32_e32 v3, v3, v19
	ds_bpermute_b32 v17, v6, v0
	ds_bpermute_b32 v18, v6, v1
	;; [unrolled: 1-line block ×3, first 2 shown]
	v_add_f32_e32 v14, v69, v14
	s_waitcnt lgkmcnt(13)
	v_add_f32_e32 v4, v4, v20
	s_waitcnt lgkmcnt(12)
	;; [unrolled: 2-line block ×4, first 2 shown]
	v_add_f32_e32 v8, v8, v23
	ds_bpermute_b32 v20, v6, v3
	s_waitcnt lgkmcnt(10)
	v_add_f32_e32 v9, v9, v24
	ds_bpermute_b32 v21, v6, v4
	ds_bpermute_b32 v22, v6, v5
	;; [unrolled: 1-line block ×4, first 2 shown]
	v_add_f32_e32 v15, v68, v15
	s_waitcnt lgkmcnt(12)
	v_add_f32_e32 v32, v39, v32
	s_waitcnt lgkmcnt(10)
	v_add_f32_e32 v10, v10, v25
	v_add_f32_e32 v11, v11, v26
	s_waitcnt lgkmcnt(8)
	v_add_f32_e32 v13, v13, v16
	;; [unrolled: 3-line block ×3, first 2 shown]
	s_waitcnt lgkmcnt(6)
	v_add_f32_e32 v1, v1, v18
	s_waitcnt lgkmcnt(5)
	v_add_f32_e32 v2, v2, v19
	ds_bpermute_b32 v18, v6, v13
	ds_bpermute_b32 v19, v29, v14
	v_add_f32_e32 v17, v34, v31
	v_add_f32_e32 v12, v12, v27
	ds_bpermute_b32 v28, v29, v15
	ds_bpermute_b32 v31, v29, v16
	s_waitcnt lgkmcnt(8)
	v_add_f32_e32 v3, v3, v20
	ds_bpermute_b32 v34, v29, v17
	ds_bpermute_b32 v20, v29, v32
	;; [unrolled: 1-line block ×6, first 2 shown]
	s_waitcnt lgkmcnt(13)
	v_add_f32_e32 v4, v4, v21
	s_waitcnt lgkmcnt(12)
	v_add_f32_e32 v5, v5, v22
	;; [unrolled: 2-line block ×4, first 2 shown]
	ds_bpermute_b32 v21, v30, v38
	ds_bpermute_b32 v22, v30, v37
	ds_bpermute_b32 v23, v30, v36
	ds_bpermute_b32 v24, v30, v35
	s_waitcnt lgkmcnt(13)
	v_add_f32_e32 v13, v13, v18
	s_waitcnt lgkmcnt(12)
	v_add_f32_e32 v14, v14, v19
	ds_bpermute_b32 v18, v30, v48
	s_waitcnt lgkmcnt(12)
	v_add_f32_e32 v15, v15, v28
	s_waitcnt lgkmcnt(11)
	v_add_f32_e32 v16, v16, v31
	ds_bpermute_b32 v28, v30, v53
	ds_bpermute_b32 v19, v6, v14
	s_waitcnt lgkmcnt(12)
	v_add_f32_e32 v17, v17, v34
	s_waitcnt lgkmcnt(11)
	v_add_f32_e32 v20, v32, v20
	s_waitcnt lgkmcnt(10)
	v_add_f32_e32 v9, v9, v25
	s_waitcnt lgkmcnt(9)
	v_add_f32_e32 v10, v10, v26
	s_waitcnt lgkmcnt(8)
	v_add_f32_e32 v11, v11, v27
	s_waitcnt lgkmcnt(7)
	v_add_f32_e32 v12, v12, v33
	ds_bpermute_b32 v25, v6, v15
	ds_bpermute_b32 v26, v6, v16
	;; [unrolled: 1-line block ×7, first 2 shown]
	s_waitcnt lgkmcnt(13)
	v_add_f32_e32 v21, v38, v21
	s_waitcnt lgkmcnt(12)
	v_add_f32_e32 v22, v37, v22
	;; [unrolled: 2-line block ×4, first 2 shown]
	ds_bpermute_b32 v35, v30, v49
	s_waitcnt lgkmcnt(10)
	v_add_f32_e32 v48, v48, v18
	ds_bpermute_b32 v36, v29, v21
	ds_bpermute_b32 v37, v29, v22
	;; [unrolled: 1-line block ×4, first 2 shown]
	s_waitcnt lgkmcnt(12)
	v_add_f32_e32 v14, v14, v19
	ds_bpermute_b32 v19, v29, v48
	ds_bpermute_b32 v68, v30, v71
	s_waitcnt lgkmcnt(13)
	v_add_f32_e32 v15, v15, v25
	s_waitcnt lgkmcnt(12)
	v_add_f32_e32 v16, v16, v26
	s_waitcnt lgkmcnt(11)
	v_add_f32_e32 v17, v17, v27
	v_add_f32_e32 v25, v53, v28
	s_waitcnt lgkmcnt(10)
	v_add_f32_e32 v26, v52, v31
	s_waitcnt lgkmcnt(9)
	;; [unrolled: 2-line block ×4, first 2 shown]
	v_add_f32_e32 v18, v20, v34
	ds_bpermute_b32 v20, v29, v25
	ds_bpermute_b32 v31, v29, v26
	ds_bpermute_b32 v32, v29, v27
	s_waitcnt lgkmcnt(9)
	v_add_f32_e32 v34, v49, v35
	ds_bpermute_b32 v33, v29, v28
	s_waitcnt lgkmcnt(9)
	v_add_f32_e32 v21, v21, v36
	s_waitcnt lgkmcnt(8)
	v_add_f32_e32 v22, v22, v37
	;; [unrolled: 2-line block ×4, first 2 shown]
	ds_bpermute_b32 v35, v29, v34
	ds_bpermute_b32 v36, v30, v66
	;; [unrolled: 1-line block ×5, first 2 shown]
	s_waitcnt lgkmcnt(10)
	v_add_f32_e32 v48, v48, v19
	ds_bpermute_b32 v19, v30, v67
	ds_bpermute_b32 v49, v6, v21
	;; [unrolled: 1-line block ×5, first 2 shown]
	s_waitcnt lgkmcnt(13)
	v_add_f32_e32 v25, v25, v20
	s_waitcnt lgkmcnt(12)
	v_add_f32_e32 v26, v26, v31
	;; [unrolled: 2-line block ×3, first 2 shown]
	ds_bpermute_b32 v31, v6, v48
	s_waitcnt lgkmcnt(11)
	v_add_f32_e32 v28, v28, v33
	ds_bpermute_b32 v32, v6, v25
	ds_bpermute_b32 v33, v6, v26
	;; [unrolled: 1-line block ×4, first 2 shown]
	s_waitcnt lgkmcnt(14)
	v_add_f32_e32 v34, v34, v35
	s_waitcnt lgkmcnt(13)
	v_add_f32_e32 v35, v66, v36
	;; [unrolled: 2-line block ×5, first 2 shown]
	ds_bpermute_b32 v54, v6, v28
	s_waitcnt lgkmcnt(10)
	v_add_f32_e32 v67, v67, v19
	ds_bpermute_b32 v39, v6, v34
	ds_bpermute_b32 v55, v29, v35
	;; [unrolled: 1-line block ×5, first 2 shown]
	s_waitcnt lgkmcnt(14)
	v_add_f32_e32 v19, v21, v49
	s_waitcnt lgkmcnt(13)
	v_add_f32_e32 v21, v23, v51
	ds_bpermute_b32 v49, v29, v67
	ds_bpermute_b32 v51, v30, v99
	s_waitcnt lgkmcnt(14)
	v_add_f32_e32 v20, v22, v50
	s_waitcnt lgkmcnt(13)
	v_add_f32_e32 v22, v24, v52
	ds_bpermute_b32 v50, v30, v100
	ds_bpermute_b32 v52, v30, v98
	s_waitcnt lgkmcnt(14)
	v_add_f32_e32 v23, v48, v31
	s_waitcnt lgkmcnt(13)
	v_add_f32_e32 v24, v25, v32
	;; [unrolled: 2-line block ×4, first 2 shown]
	s_barrier
	s_waitcnt lgkmcnt(9)
	v_add_f32_e32 v27, v28, v54
	s_waitcnt lgkmcnt(0)
	buffer_gl0_inv
	v_add_f32_e32 v28, v34, v39
	v_add_f32_e32 v31, v35, v55
	;; [unrolled: 1-line block ×5, first 2 shown]
	ds_bpermute_b32 v66, v30, v97
	ds_bpermute_b32 v34, v6, v31
	v_add_f32_e32 v39, v67, v49
	v_add_f32_e32 v49, v99, v51
	ds_bpermute_b32 v36, v6, v32
	ds_bpermute_b32 v37, v6, v33
	;; [unrolled: 1-line block ×3, first 2 shown]
	v_add_f32_e32 v48, v100, v50
	v_add_f32_e32 v50, v98, v52
	ds_bpermute_b32 v54, v29, v49
	ds_bpermute_b32 v67, v30, v96
	v_add_f32_e32 v51, v71, v68
	ds_bpermute_b32 v53, v29, v48
	ds_bpermute_b32 v55, v29, v50
	;; [unrolled: 1-line block ×3, first 2 shown]
	v_add_f32_e32 v52, v70, v69
	ds_bpermute_b32 v64, v29, v51
	ds_bpermute_b32 v69, v30, v86
	;; [unrolled: 1-line block ×5, first 2 shown]
	s_waitcnt lgkmcnt(13)
	v_add_f32_e32 v31, v31, v34
	s_load_dword s5, s[8:9], 0x0
	s_mov_b32 s6, exec_lo
	s_waitcnt lgkmcnt(0)
	v_add_f32_e32 v32, v32, v36
	v_add_f32_e32 v33, v33, v37
	;; [unrolled: 1-line block ×3, first 2 shown]
	ds_bpermute_b32 v36, v30, v84
	ds_bpermute_b32 v37, v30, v83
	ds_bpermute_b32 v38, v30, v82
	ds_bpermute_b32 v30, v30, v80
	v_add_f32_e32 v49, v49, v54
	v_add_f32_e32 v54, v96, v67
	;; [unrolled: 1-line block ×6, first 2 shown]
	ds_bpermute_b32 v67, v29, v54
	v_add_f32_e32 v51, v51, v64
	v_add_f32_e32 v64, v86, v69
	ds_bpermute_b32 v66, v29, v53
	ds_bpermute_b32 v68, v29, v55
	v_add_f32_e32 v52, v52, v65
	v_add_f32_e32 v65, v85, v70
	;; [unrolled: 1-line block ×3, first 2 shown]
	ds_bpermute_b32 v69, v29, v64
	ds_bpermute_b32 v35, v6, v39
	s_waitcnt lgkmcnt(8)
	v_add_f32_e32 v36, v84, v36
	s_waitcnt lgkmcnt(7)
	v_add_f32_e32 v37, v83, v37
	;; [unrolled: 2-line block ×4, first 2 shown]
	ds_bpermute_b32 v70, v29, v65
	ds_bpermute_b32 v80, v29, v36
	;; [unrolled: 1-line block ×6, first 2 shown]
	s_waitcnt lgkmcnt(10)
	v_add_f32_e32 v54, v54, v67
	ds_bpermute_b32 v84, v6, v48
	ds_bpermute_b32 v85, v6, v49
	s_waitcnt lgkmcnt(11)
	v_add_f32_e32 v53, v53, v66
	s_waitcnt lgkmcnt(10)
	v_add_f32_e32 v55, v55, v68
	ds_bpermute_b32 v67, v6, v54
	ds_bpermute_b32 v86, v6, v50
	;; [unrolled: 1-line block ×5, first 2 shown]
	s_waitcnt lgkmcnt(14)
	v_add_f32_e32 v64, v64, v69
	ds_bpermute_b32 v96, v6, v52
	v_cmp_eq_u32_e32 vcc_lo, 0, v102
	s_waitcnt lgkmcnt(13)
	v_add_f32_e32 v65, v65, v70
	s_waitcnt lgkmcnt(12)
	v_add_f32_e32 v80, v36, v80
	;; [unrolled: 2-line block ×6, first 2 shown]
	ds_bpermute_b32 v69, v6, v64
	ds_bpermute_b32 v70, v6, v65
	;; [unrolled: 1-line block ×7, first 2 shown]
	v_add_f32_e32 v6, v39, v35
	s_waitcnt lgkmcnt(12)
	v_add_f32_e32 v39, v54, v67
	buffer_load_dword v54, off, s[0:3], s32 offset:1576 ; 4-byte Folded Reload
	v_add_f32_e32 v29, v48, v84
	s_waitcnt lgkmcnt(9)
	v_add_f32_e32 v38, v53, v66
	s_waitcnt lgkmcnt(8)
	v_add_f32_e32 v48, v55, v68
	s_clause 0x1
	buffer_load_dword v55, off, s[0:3], s32 offset:1580
	buffer_load_dword v66, off, s[0:3], s32 offset:2388
	v_add_f32_e32 v30, v49, v85
	v_add_f32_e32 v35, v50, v86
	;; [unrolled: 1-line block ×3, first 2 shown]
	s_waitcnt lgkmcnt(7)
	v_add_f32_e32 v37, v52, v96
	s_waitcnt lgkmcnt(6)
	v_add_f32_e32 v49, v64, v69
	;; [unrolled: 2-line block ×6, first 2 shown]
	s_waitcnt vmcnt(2)
	v_lshrrev_b32_e32 v64, 3, v54
	s_waitcnt lgkmcnt(1)
	v_add_f32_e32 v54, v71, v100
	s_waitcnt vmcnt(1)
	v_and_b32_e32 v67, 0x3c0, v55
	s_waitcnt lgkmcnt(0)
	v_add_f32_e32 v55, v83, v101
	v_lshl_add_u32 v65, v64, 2, s5
	s_waitcnt vmcnt(0)
	v_mul_u32_u24_e32 v66, 0x300, v66
	v_cmpx_eq_u32_e32 64, v67
	s_cbranch_execz .LBB214_3208
; %bb.3206:
	s_and_b32 exec_lo, exec_lo, vcc_lo
	s_cbranch_execz .LBB214_3208
; %bb.3207:
	v_add_nc_u32_e32 v67, v65, v66
	v_add_nc_u32_e32 v68, 0xfffffa00, v67
	;; [unrolled: 1-line block ×8, first 2 shown]
	ds_write_b32 v68, v0
	ds_write_b32 v69, v1
	ds_write_b32 v70, v2
	v_add_nc_u32_e32 v68, 0xfffffa70, v67
	ds_write_b32 v71, v3
	ds_write_b32 v80, v4
	ds_write_b32 v81, v5
	ds_write_b32 v82, v7
	ds_write_b32 v68, v8
	v_add_nc_u32_e32 v68, 0xfffffa80, v67
	v_add_nc_u32_e32 v69, 0xfffffa90, v67
	v_add_nc_u32_e32 v70, 0xfffffaa0, v67
	v_add_nc_u32_e32 v71, 0xfffffab0, v67
	v_add_nc_u32_e32 v80, 0xfffffac0, v67
	ds_write_b32 v68, v9
	ds_write_b32 v69, v10
	ds_write_b32 v70, v11
	ds_write_b32 v71, v12
	ds_write_b32 v80, v13
	v_add_nc_u32_e32 v68, 0xfffffad0, v67
	v_add_nc_u32_e32 v69, 0xfffffae0, v67
	v_add_nc_u32_e32 v70, 0xfffffaf0, v67
	v_add_nc_u32_e32 v71, 0xfffffb00, v67
	v_add_nc_u32_e32 v80, 0xfffffb10, v67
	ds_write_b32 v68, v14
	ds_write_b32 v69, v15
	ds_write_b32 v70, v16
	ds_write_b32 v71, v17
	ds_write_b32 v80, v18
	v_add_nc_u32_e32 v68, 0xfffffb20, v67
	v_add_nc_u32_e32 v69, 0xfffffb30, v67
	v_add_nc_u32_e32 v70, 0xfffffb40, v67
	v_add_nc_u32_e32 v71, 0xfffffb50, v67
	v_add_nc_u32_e32 v80, 0xfffffb60, v67
	ds_write_b32 v68, v19
	ds_write_b32 v69, v20
	ds_write_b32 v70, v21
	ds_write_b32 v71, v22
	ds_write_b32 v80, v23
	v_add_nc_u32_e32 v68, 0xfffffb70, v67
	v_add_nc_u32_e32 v69, 0xfffffb80, v67
	v_add_nc_u32_e32 v70, 0xfffffb90, v67
	v_add_nc_u32_e32 v71, 0xfffffba0, v67
	v_add_nc_u32_e32 v80, 0xfffffbb0, v67
	ds_write_b32 v68, v24
	ds_write_b32 v69, v25
	ds_write_b32 v70, v26
	ds_write_b32 v71, v27
	ds_write_b32 v80, v28
	v_add_nc_u32_e32 v68, 0xfffffbc0, v67
	v_add_nc_u32_e32 v69, 0xfffffbd0, v67
	v_add_nc_u32_e32 v70, 0xfffffbe0, v67
	v_add_nc_u32_e32 v71, 0xfffffbf0, v67
	v_add_nc_u32_e32 v80, 0xfffffc00, v67
	ds_write_b32 v68, v31
	ds_write_b32 v69, v32
	ds_write_b32 v70, v33
	ds_write_b32 v71, v34
	ds_write_b32 v80, v6
	v_add_nc_u32_e32 v68, 0xfffffc10, v67
	v_add_nc_u32_e32 v69, 0xfffffc20, v67
	v_add_nc_u32_e32 v70, 0xfffffc30, v67
	v_add_nc_u32_e32 v71, 0xfffffc40, v67
	v_add_nc_u32_e32 v80, 0xfffffc50, v67
	ds_write_b32 v68, v29
	ds_write_b32 v69, v30
	ds_write_b32 v70, v35
	ds_write_b32 v71, v36
	ds_write_b32 v80, v37
	v_add_nc_u32_e32 v68, 0xfffffc60, v67
	v_add_nc_u32_e32 v69, 0xfffffc70, v67
	v_add_nc_u32_e32 v70, 0xfffffc80, v67
	v_add_nc_u32_e32 v71, 0xfffffc90, v67
	v_add_nc_u32_e32 v80, 0xfffffca0, v67
	ds_write_b32 v68, v38
	ds_write_b32 v69, v39
	ds_write_b32 v70, v48
	ds_write_b32 v71, v49
	ds_write_b32 v80, v50
	v_add_nc_u32_e32 v68, 0xfffffcb0, v67
	v_add_nc_u32_e32 v69, 0xfffffcc0, v67
	v_add_nc_u32_e32 v70, 0xfffffcd0, v67
	v_add_nc_u32_e32 v71, 0xfffffce0, v67
	v_add_nc_u32_e32 v67, 0xfffffcf0, v67
	ds_write_b32 v68, v51
	ds_write_b32 v69, v52
	;; [unrolled: 1-line block ×5, first 2 shown]
.LBB214_3208:
	s_or_b32 exec_lo, exec_lo, s6
	v_lshlrev_b32_e32 v64, 2, v64
	v_add3_u32 v64, s5, v66, v64
	buffer_load_dword v66, off, s[0:3], s32 offset:1580 ; 4-byte Folded Reload
	s_mov_b32 s5, exec_lo
	s_waitcnt vmcnt(0) lgkmcnt(0)
	s_barrier
	buffer_gl0_inv
	v_cmpx_gt_u32_e32 64, v66
	s_cbranch_execz .LBB214_3259
; %bb.3209:
	s_and_saveexec_b32 s4, vcc_lo
	s_cbranch_execnz .LBB214_3316
; %bb.3210:
	s_or_b32 exec_lo, exec_lo, s4
	s_and_saveexec_b32 s4, vcc_lo
	s_cbranch_execnz .LBB214_3317
.LBB214_3211:
	s_or_b32 exec_lo, exec_lo, s4
	s_and_saveexec_b32 s4, vcc_lo
	s_cbranch_execnz .LBB214_3318
.LBB214_3212:
	s_or_b32 exec_lo, exec_lo, s4
	s_and_saveexec_b32 s4, vcc_lo
	s_cbranch_execnz .LBB214_3319
.LBB214_3213:
	s_or_b32 exec_lo, exec_lo, s4
	s_and_saveexec_b32 s4, vcc_lo
	s_cbranch_execnz .LBB214_3320
.LBB214_3214:
	s_or_b32 exec_lo, exec_lo, s4
	s_and_saveexec_b32 s4, vcc_lo
	s_cbranch_execnz .LBB214_3321
.LBB214_3215:
	s_or_b32 exec_lo, exec_lo, s4
	s_and_saveexec_b32 s4, vcc_lo
	s_cbranch_execnz .LBB214_3322
.LBB214_3216:
	s_or_b32 exec_lo, exec_lo, s4
	s_and_saveexec_b32 s4, vcc_lo
	s_cbranch_execnz .LBB214_3323
.LBB214_3217:
	s_or_b32 exec_lo, exec_lo, s4
	s_and_saveexec_b32 s4, vcc_lo
	s_cbranch_execnz .LBB214_3324
.LBB214_3218:
	s_or_b32 exec_lo, exec_lo, s4
	s_and_saveexec_b32 s4, vcc_lo
	s_cbranch_execnz .LBB214_3325
.LBB214_3219:
	s_or_b32 exec_lo, exec_lo, s4
	s_and_saveexec_b32 s4, vcc_lo
	s_cbranch_execnz .LBB214_3326
.LBB214_3220:
	s_or_b32 exec_lo, exec_lo, s4
	s_and_saveexec_b32 s4, vcc_lo
	s_cbranch_execnz .LBB214_3327
.LBB214_3221:
	s_or_b32 exec_lo, exec_lo, s4
	s_and_saveexec_b32 s4, vcc_lo
	s_cbranch_execnz .LBB214_3328
.LBB214_3222:
	s_or_b32 exec_lo, exec_lo, s4
	s_and_saveexec_b32 s4, vcc_lo
	s_cbranch_execnz .LBB214_3329
.LBB214_3223:
	s_or_b32 exec_lo, exec_lo, s4
	s_and_saveexec_b32 s4, vcc_lo
	s_cbranch_execnz .LBB214_3330
.LBB214_3224:
	s_or_b32 exec_lo, exec_lo, s4
	s_and_saveexec_b32 s4, vcc_lo
	s_cbranch_execnz .LBB214_3331
.LBB214_3225:
	s_or_b32 exec_lo, exec_lo, s4
	s_and_saveexec_b32 s4, vcc_lo
	s_cbranch_execnz .LBB214_3332
.LBB214_3226:
	s_or_b32 exec_lo, exec_lo, s4
	s_and_saveexec_b32 s4, vcc_lo
	s_cbranch_execnz .LBB214_3333
.LBB214_3227:
	s_or_b32 exec_lo, exec_lo, s4
	s_and_saveexec_b32 s4, vcc_lo
	s_cbranch_execnz .LBB214_3334
.LBB214_3228:
	s_or_b32 exec_lo, exec_lo, s4
	s_and_saveexec_b32 s4, vcc_lo
	s_cbranch_execnz .LBB214_3335
.LBB214_3229:
	s_or_b32 exec_lo, exec_lo, s4
	s_and_saveexec_b32 s4, vcc_lo
	s_cbranch_execnz .LBB214_3336
.LBB214_3230:
	s_or_b32 exec_lo, exec_lo, s4
	s_and_saveexec_b32 s4, vcc_lo
	s_cbranch_execnz .LBB214_3337
.LBB214_3231:
	s_or_b32 exec_lo, exec_lo, s4
	s_and_saveexec_b32 s4, vcc_lo
	s_cbranch_execnz .LBB214_3338
.LBB214_3232:
	s_or_b32 exec_lo, exec_lo, s4
	s_and_saveexec_b32 s4, vcc_lo
	s_cbranch_execnz .LBB214_3339
.LBB214_3233:
	s_or_b32 exec_lo, exec_lo, s4
	s_and_saveexec_b32 s4, vcc_lo
	s_cbranch_execnz .LBB214_3340
.LBB214_3234:
	s_or_b32 exec_lo, exec_lo, s4
	s_and_saveexec_b32 s4, vcc_lo
	s_cbranch_execnz .LBB214_3341
.LBB214_3235:
	s_or_b32 exec_lo, exec_lo, s4
	s_and_saveexec_b32 s4, vcc_lo
	s_cbranch_execnz .LBB214_3342
.LBB214_3236:
	s_or_b32 exec_lo, exec_lo, s4
	s_and_saveexec_b32 s4, vcc_lo
	s_cbranch_execnz .LBB214_3343
.LBB214_3237:
	s_or_b32 exec_lo, exec_lo, s4
	s_and_saveexec_b32 s4, vcc_lo
	s_cbranch_execnz .LBB214_3344
.LBB214_3238:
	s_or_b32 exec_lo, exec_lo, s4
	s_and_saveexec_b32 s4, vcc_lo
	s_cbranch_execnz .LBB214_3345
.LBB214_3239:
	s_or_b32 exec_lo, exec_lo, s4
	s_and_saveexec_b32 s4, vcc_lo
	s_cbranch_execnz .LBB214_3346
.LBB214_3240:
	s_or_b32 exec_lo, exec_lo, s4
	s_and_saveexec_b32 s4, vcc_lo
	s_cbranch_execnz .LBB214_3347
.LBB214_3241:
	s_or_b32 exec_lo, exec_lo, s4
	s_and_saveexec_b32 s4, vcc_lo
	s_cbranch_execnz .LBB214_3348
.LBB214_3242:
	s_or_b32 exec_lo, exec_lo, s4
	s_and_saveexec_b32 s4, vcc_lo
	s_cbranch_execnz .LBB214_3349
.LBB214_3243:
	s_or_b32 exec_lo, exec_lo, s4
	s_and_saveexec_b32 s4, vcc_lo
	s_cbranch_execnz .LBB214_3350
.LBB214_3244:
	s_or_b32 exec_lo, exec_lo, s4
	s_and_saveexec_b32 s4, vcc_lo
	s_cbranch_execnz .LBB214_3351
.LBB214_3245:
	s_or_b32 exec_lo, exec_lo, s4
	s_and_saveexec_b32 s4, vcc_lo
	s_cbranch_execnz .LBB214_3352
.LBB214_3246:
	s_or_b32 exec_lo, exec_lo, s4
	s_and_saveexec_b32 s4, vcc_lo
	s_cbranch_execnz .LBB214_3353
.LBB214_3247:
	s_or_b32 exec_lo, exec_lo, s4
	s_and_saveexec_b32 s4, vcc_lo
	s_cbranch_execnz .LBB214_3354
.LBB214_3248:
	s_or_b32 exec_lo, exec_lo, s4
	s_and_saveexec_b32 s4, vcc_lo
	s_cbranch_execnz .LBB214_3355
.LBB214_3249:
	s_or_b32 exec_lo, exec_lo, s4
	s_and_saveexec_b32 s4, vcc_lo
	s_cbranch_execnz .LBB214_3356
.LBB214_3250:
	s_or_b32 exec_lo, exec_lo, s4
	s_and_saveexec_b32 s4, vcc_lo
	s_cbranch_execnz .LBB214_3357
.LBB214_3251:
	s_or_b32 exec_lo, exec_lo, s4
	s_and_saveexec_b32 s4, vcc_lo
	s_cbranch_execnz .LBB214_3358
.LBB214_3252:
	s_or_b32 exec_lo, exec_lo, s4
	s_and_saveexec_b32 s4, vcc_lo
	s_cbranch_execnz .LBB214_3359
.LBB214_3253:
	s_or_b32 exec_lo, exec_lo, s4
	s_and_saveexec_b32 s4, vcc_lo
	s_cbranch_execnz .LBB214_3360
.LBB214_3254:
	s_or_b32 exec_lo, exec_lo, s4
	s_and_saveexec_b32 s4, vcc_lo
	s_cbranch_execnz .LBB214_3361
.LBB214_3255:
	s_or_b32 exec_lo, exec_lo, s4
	s_and_saveexec_b32 s4, vcc_lo
	s_cbranch_execnz .LBB214_3362
.LBB214_3256:
	s_or_b32 exec_lo, exec_lo, s4
	s_and_saveexec_b32 s4, vcc_lo
	s_cbranch_execz .LBB214_3258
.LBB214_3257:
	ds_read_b32 v66, v64 offset:752
	s_waitcnt lgkmcnt(0)
	v_add_f32_e32 v55, v66, v55
.LBB214_3258:
	s_or_b32 exec_lo, exec_lo, s4
.LBB214_3259:
	s_or_b32 exec_lo, exec_lo, s5
	buffer_load_dword v66, off, s[0:3], s32 offset:1580 ; 4-byte Folded Reload
	s_mov_b32 s5, exec_lo
	s_waitcnt vmcnt(0)
	s_barrier
	buffer_gl0_inv
	v_and_b32_e32 v66, 0x3e7, v66
	v_cmpx_eq_u32_e32 32, v66
	s_cbranch_execz .LBB214_3261
; %bb.3260:
	ds_write2_b32 v65, v0, v1 offset1:4
	ds_write2_b32 v65, v2, v3 offset0:8 offset1:12
	ds_write2_b32 v65, v4, v5 offset0:16 offset1:20
	;; [unrolled: 1-line block ×23, first 2 shown]
.LBB214_3261:
	s_or_b32 exec_lo, exec_lo, s5
	buffer_load_dword v65, off, s[0:3], s32 offset:1580 ; 4-byte Folded Reload
	s_waitcnt vmcnt(0) lgkmcnt(0)
	s_barrier
	buffer_gl0_inv
	v_cmp_gt_u32_e64 s4, 32, v65
	s_and_saveexec_b32 s5, s4
	s_cbranch_execz .LBB214_3312
; %bb.3262:
	s_and_saveexec_b32 s6, vcc_lo
	s_cbranch_execnz .LBB214_3363
; %bb.3263:
	s_or_b32 exec_lo, exec_lo, s6
	s_and_saveexec_b32 s6, vcc_lo
	s_cbranch_execnz .LBB214_3364
.LBB214_3264:
	s_or_b32 exec_lo, exec_lo, s6
	s_and_saveexec_b32 s6, vcc_lo
	s_cbranch_execnz .LBB214_3365
.LBB214_3265:
	s_or_b32 exec_lo, exec_lo, s6
	s_and_saveexec_b32 s6, vcc_lo
	s_cbranch_execnz .LBB214_3366
.LBB214_3266:
	s_or_b32 exec_lo, exec_lo, s6
	s_and_saveexec_b32 s6, vcc_lo
	s_cbranch_execnz .LBB214_3367
.LBB214_3267:
	s_or_b32 exec_lo, exec_lo, s6
	s_and_saveexec_b32 s6, vcc_lo
	s_cbranch_execnz .LBB214_3368
.LBB214_3268:
	s_or_b32 exec_lo, exec_lo, s6
	s_and_saveexec_b32 s6, vcc_lo
	s_cbranch_execnz .LBB214_3369
.LBB214_3269:
	s_or_b32 exec_lo, exec_lo, s6
	s_and_saveexec_b32 s6, vcc_lo
	s_cbranch_execnz .LBB214_3370
.LBB214_3270:
	s_or_b32 exec_lo, exec_lo, s6
	s_and_saveexec_b32 s6, vcc_lo
	s_cbranch_execnz .LBB214_3371
.LBB214_3271:
	s_or_b32 exec_lo, exec_lo, s6
	s_and_saveexec_b32 s6, vcc_lo
	s_cbranch_execnz .LBB214_3372
.LBB214_3272:
	s_or_b32 exec_lo, exec_lo, s6
	s_and_saveexec_b32 s6, vcc_lo
	s_cbranch_execnz .LBB214_3373
.LBB214_3273:
	s_or_b32 exec_lo, exec_lo, s6
	s_and_saveexec_b32 s6, vcc_lo
	s_cbranch_execnz .LBB214_3374
.LBB214_3274:
	s_or_b32 exec_lo, exec_lo, s6
	s_and_saveexec_b32 s6, vcc_lo
	s_cbranch_execnz .LBB214_3375
.LBB214_3275:
	s_or_b32 exec_lo, exec_lo, s6
	s_and_saveexec_b32 s6, vcc_lo
	s_cbranch_execnz .LBB214_3376
.LBB214_3276:
	s_or_b32 exec_lo, exec_lo, s6
	s_and_saveexec_b32 s6, vcc_lo
	s_cbranch_execnz .LBB214_3377
.LBB214_3277:
	s_or_b32 exec_lo, exec_lo, s6
	s_and_saveexec_b32 s6, vcc_lo
	s_cbranch_execnz .LBB214_3378
.LBB214_3278:
	s_or_b32 exec_lo, exec_lo, s6
	s_and_saveexec_b32 s6, vcc_lo
	s_cbranch_execnz .LBB214_3379
.LBB214_3279:
	s_or_b32 exec_lo, exec_lo, s6
	s_and_saveexec_b32 s6, vcc_lo
	s_cbranch_execnz .LBB214_3380
.LBB214_3280:
	s_or_b32 exec_lo, exec_lo, s6
	s_and_saveexec_b32 s6, vcc_lo
	s_cbranch_execnz .LBB214_3381
.LBB214_3281:
	s_or_b32 exec_lo, exec_lo, s6
	s_and_saveexec_b32 s6, vcc_lo
	s_cbranch_execnz .LBB214_3382
.LBB214_3282:
	s_or_b32 exec_lo, exec_lo, s6
	s_and_saveexec_b32 s6, vcc_lo
	s_cbranch_execnz .LBB214_3383
.LBB214_3283:
	s_or_b32 exec_lo, exec_lo, s6
	s_and_saveexec_b32 s6, vcc_lo
	s_cbranch_execnz .LBB214_3384
.LBB214_3284:
	s_or_b32 exec_lo, exec_lo, s6
	s_and_saveexec_b32 s6, vcc_lo
	s_cbranch_execnz .LBB214_3385
.LBB214_3285:
	s_or_b32 exec_lo, exec_lo, s6
	s_and_saveexec_b32 s6, vcc_lo
	s_cbranch_execnz .LBB214_3386
.LBB214_3286:
	s_or_b32 exec_lo, exec_lo, s6
	s_and_saveexec_b32 s6, vcc_lo
	s_cbranch_execnz .LBB214_3387
.LBB214_3287:
	s_or_b32 exec_lo, exec_lo, s6
	s_and_saveexec_b32 s6, vcc_lo
	s_cbranch_execnz .LBB214_3388
.LBB214_3288:
	s_or_b32 exec_lo, exec_lo, s6
	s_and_saveexec_b32 s6, vcc_lo
	s_cbranch_execnz .LBB214_3389
.LBB214_3289:
	s_or_b32 exec_lo, exec_lo, s6
	s_and_saveexec_b32 s6, vcc_lo
	s_cbranch_execnz .LBB214_3390
.LBB214_3290:
	s_or_b32 exec_lo, exec_lo, s6
	s_and_saveexec_b32 s6, vcc_lo
	s_cbranch_execnz .LBB214_3391
.LBB214_3291:
	s_or_b32 exec_lo, exec_lo, s6
	s_and_saveexec_b32 s6, vcc_lo
	s_cbranch_execnz .LBB214_3392
.LBB214_3292:
	s_or_b32 exec_lo, exec_lo, s6
	s_and_saveexec_b32 s6, vcc_lo
	s_cbranch_execnz .LBB214_3393
.LBB214_3293:
	s_or_b32 exec_lo, exec_lo, s6
	s_and_saveexec_b32 s6, vcc_lo
	s_cbranch_execnz .LBB214_3394
.LBB214_3294:
	s_or_b32 exec_lo, exec_lo, s6
	s_and_saveexec_b32 s6, vcc_lo
	s_cbranch_execnz .LBB214_3395
.LBB214_3295:
	s_or_b32 exec_lo, exec_lo, s6
	s_and_saveexec_b32 s6, vcc_lo
	s_cbranch_execnz .LBB214_3396
.LBB214_3296:
	s_or_b32 exec_lo, exec_lo, s6
	s_and_saveexec_b32 s6, vcc_lo
	s_cbranch_execnz .LBB214_3397
.LBB214_3297:
	s_or_b32 exec_lo, exec_lo, s6
	s_and_saveexec_b32 s6, vcc_lo
	s_cbranch_execnz .LBB214_3398
.LBB214_3298:
	s_or_b32 exec_lo, exec_lo, s6
	s_and_saveexec_b32 s6, vcc_lo
	s_cbranch_execnz .LBB214_3399
.LBB214_3299:
	s_or_b32 exec_lo, exec_lo, s6
	s_and_saveexec_b32 s6, vcc_lo
	s_cbranch_execnz .LBB214_3400
.LBB214_3300:
	s_or_b32 exec_lo, exec_lo, s6
	s_and_saveexec_b32 s6, vcc_lo
	s_cbranch_execnz .LBB214_3401
.LBB214_3301:
	s_or_b32 exec_lo, exec_lo, s6
	s_and_saveexec_b32 s6, vcc_lo
	s_cbranch_execnz .LBB214_3402
.LBB214_3302:
	s_or_b32 exec_lo, exec_lo, s6
	s_and_saveexec_b32 s6, vcc_lo
	s_cbranch_execnz .LBB214_3403
.LBB214_3303:
	s_or_b32 exec_lo, exec_lo, s6
	s_and_saveexec_b32 s6, vcc_lo
	s_cbranch_execnz .LBB214_3404
.LBB214_3304:
	s_or_b32 exec_lo, exec_lo, s6
	s_and_saveexec_b32 s6, vcc_lo
	s_cbranch_execnz .LBB214_3405
.LBB214_3305:
	s_or_b32 exec_lo, exec_lo, s6
	s_and_saveexec_b32 s6, vcc_lo
	s_cbranch_execnz .LBB214_3406
.LBB214_3306:
	s_or_b32 exec_lo, exec_lo, s6
	s_and_saveexec_b32 s6, vcc_lo
	s_cbranch_execnz .LBB214_3407
.LBB214_3307:
	s_or_b32 exec_lo, exec_lo, s6
	s_and_saveexec_b32 s6, vcc_lo
	s_cbranch_execnz .LBB214_3408
.LBB214_3308:
	s_or_b32 exec_lo, exec_lo, s6
	s_and_saveexec_b32 s6, vcc_lo
	s_cbranch_execnz .LBB214_3409
.LBB214_3309:
	s_or_b32 exec_lo, exec_lo, s6
	s_and_saveexec_b32 s6, vcc_lo
	s_cbranch_execz .LBB214_3311
.LBB214_3310:
	ds_read_b32 v64, v64 offset:752
	s_waitcnt lgkmcnt(0)
	v_add_f32_e32 v55, v64, v55
.LBB214_3311:
	s_or_b32 exec_lo, exec_lo, s6
.LBB214_3312:
	s_or_b32 exec_lo, exec_lo, s5
	s_barrier
	buffer_gl0_inv
	s_and_saveexec_b32 s5, s4
	s_cbranch_execz .LBB214_3315
; %bb.3313:
	s_and_b32 exec_lo, exec_lo, vcc_lo
	s_cbranch_execz .LBB214_3315
; %bb.3314:
	s_clause 0x2
	buffer_load_dword v65, off, s[0:3], s32 offset:2440
	buffer_load_dword v64, off, s[0:3], s32 offset:1580
	buffer_load_dword v66, off, s[0:3], s32 offset:2436
	s_and_b32 s4, 0xffff, s13
	s_mul_i32 s6, s14, 0xc0
	s_cmp_lg_u32 s4, 0
	s_cselect_b32 s4, -1, 0
	s_cmp_lg_u32 s4, 0
	s_addc_u32 s4, s12, 0
	s_mul_i32 s7, s4, s10
	s_mul_i32 s10, s16, s4
	;; [unrolled: 1-line block ×3, first 2 shown]
	s_ashr_i32 s11, s10, 31
	s_mulk_i32 s8, 0xc0
	s_ashr_i32 s7, s6, 31
	s_ashr_i32 s9, s8, 31
	s_lshl_b64 s[6:7], s[6:7], 2
	s_lshl_b64 s[8:9], s[8:9], 2
	s_waitcnt vmcnt(2)
	v_add_co_u32 v65, vcc_lo, v65, s8
	s_waitcnt vmcnt(0)
	v_add_co_ci_u32_e64 v66, null, s9, v66, vcc_lo
	s_lshl_b64 s[8:9], s[10:11], 2
	v_lshrrev_b32_e32 v64, 1, v64
	v_add_co_u32 v65, vcc_lo, v65, s8
	v_add_co_ci_u32_e64 v66, null, s9, v66, vcc_lo
	v_and_b32_e32 v64, 0x1fc, v64
	v_add_co_u32 v65, vcc_lo, v65, s6
	v_add_co_ci_u32_e64 v66, null, s7, v66, vcc_lo
	v_add_co_u32 v64, vcc_lo, v65, v64
	v_add_co_ci_u32_e64 v65, null, 0, v66, vcc_lo
	flat_store_dword v[64:65], v0
	flat_store_dword v[64:65], v1 offset:16
	flat_store_dword v[64:65], v2 offset:32
	flat_store_dword v[64:65], v3 offset:48
	flat_store_dword v[64:65], v4 offset:64
	flat_store_dword v[64:65], v5 offset:80
	flat_store_dword v[64:65], v7 offset:96
	flat_store_dword v[64:65], v8 offset:112
	flat_store_dword v[64:65], v9 offset:128
	flat_store_dword v[64:65], v10 offset:144
	flat_store_dword v[64:65], v11 offset:160
	flat_store_dword v[64:65], v12 offset:176
	flat_store_dword v[64:65], v13 offset:192
	flat_store_dword v[64:65], v14 offset:208
	flat_store_dword v[64:65], v15 offset:224
	flat_store_dword v[64:65], v16 offset:240
	flat_store_dword v[64:65], v17 offset:256
	flat_store_dword v[64:65], v18 offset:272
	flat_store_dword v[64:65], v19 offset:288
	flat_store_dword v[64:65], v20 offset:304
	flat_store_dword v[64:65], v21 offset:320
	flat_store_dword v[64:65], v22 offset:336
	flat_store_dword v[64:65], v23 offset:352
	flat_store_dword v[64:65], v24 offset:368
	flat_store_dword v[64:65], v25 offset:384
	flat_store_dword v[64:65], v26 offset:400
	flat_store_dword v[64:65], v27 offset:416
	flat_store_dword v[64:65], v28 offset:432
	flat_store_dword v[64:65], v31 offset:448
	flat_store_dword v[64:65], v32 offset:464
	flat_store_dword v[64:65], v33 offset:480
	flat_store_dword v[64:65], v34 offset:496
	flat_store_dword v[64:65], v6 offset:512
	flat_store_dword v[64:65], v29 offset:528
	flat_store_dword v[64:65], v30 offset:544
	flat_store_dword v[64:65], v35 offset:560
	flat_store_dword v[64:65], v36 offset:576
	flat_store_dword v[64:65], v37 offset:592
	flat_store_dword v[64:65], v38 offset:608
	flat_store_dword v[64:65], v39 offset:624
	flat_store_dword v[64:65], v48 offset:640
	flat_store_dword v[64:65], v49 offset:656
	flat_store_dword v[64:65], v50 offset:672
	flat_store_dword v[64:65], v51 offset:688
	flat_store_dword v[64:65], v52 offset:704
	flat_store_dword v[64:65], v53 offset:720
	flat_store_dword v[64:65], v54 offset:736
	flat_store_dword v[64:65], v55 offset:752
.LBB214_3315:
	s_or_b32 exec_lo, exec_lo, s5
	s_clause 0x2f
	buffer_load_dword v127, off, s[0:3], s32
	buffer_load_dword v126, off, s[0:3], s32 offset:4
	buffer_load_dword v125, off, s[0:3], s32 offset:8
	buffer_load_dword v124, off, s[0:3], s32 offset:12
	buffer_load_dword v123, off, s[0:3], s32 offset:16
	buffer_load_dword v122, off, s[0:3], s32 offset:20
	buffer_load_dword v121, off, s[0:3], s32 offset:24
	buffer_load_dword v120, off, s[0:3], s32 offset:28
	buffer_load_dword v111, off, s[0:3], s32 offset:32
	buffer_load_dword v110, off, s[0:3], s32 offset:36
	buffer_load_dword v109, off, s[0:3], s32 offset:40
	buffer_load_dword v108, off, s[0:3], s32 offset:44
	buffer_load_dword v107, off, s[0:3], s32 offset:48
	buffer_load_dword v106, off, s[0:3], s32 offset:52
	buffer_load_dword v105, off, s[0:3], s32 offset:56
	buffer_load_dword v104, off, s[0:3], s32 offset:60
	buffer_load_dword v95, off, s[0:3], s32 offset:64
	buffer_load_dword v94, off, s[0:3], s32 offset:68
	buffer_load_dword v93, off, s[0:3], s32 offset:72
	buffer_load_dword v92, off, s[0:3], s32 offset:76
	buffer_load_dword v91, off, s[0:3], s32 offset:80
	buffer_load_dword v90, off, s[0:3], s32 offset:84
	buffer_load_dword v89, off, s[0:3], s32 offset:88
	buffer_load_dword v88, off, s[0:3], s32 offset:92
	buffer_load_dword v79, off, s[0:3], s32 offset:96
	buffer_load_dword v78, off, s[0:3], s32 offset:100
	buffer_load_dword v77, off, s[0:3], s32 offset:104
	buffer_load_dword v76, off, s[0:3], s32 offset:108
	buffer_load_dword v75, off, s[0:3], s32 offset:112
	buffer_load_dword v74, off, s[0:3], s32 offset:116
	buffer_load_dword v73, off, s[0:3], s32 offset:120
	buffer_load_dword v72, off, s[0:3], s32 offset:124
	buffer_load_dword v63, off, s[0:3], s32 offset:128
	buffer_load_dword v62, off, s[0:3], s32 offset:132
	buffer_load_dword v61, off, s[0:3], s32 offset:136
	buffer_load_dword v60, off, s[0:3], s32 offset:140
	buffer_load_dword v59, off, s[0:3], s32 offset:144
	buffer_load_dword v58, off, s[0:3], s32 offset:148
	buffer_load_dword v57, off, s[0:3], s32 offset:152
	buffer_load_dword v56, off, s[0:3], s32 offset:156
	buffer_load_dword v47, off, s[0:3], s32 offset:160
	buffer_load_dword v46, off, s[0:3], s32 offset:164
	buffer_load_dword v45, off, s[0:3], s32 offset:168
	buffer_load_dword v44, off, s[0:3], s32 offset:172
	buffer_load_dword v43, off, s[0:3], s32 offset:176
	buffer_load_dword v42, off, s[0:3], s32 offset:180
	buffer_load_dword v41, off, s[0:3], s32 offset:184
	buffer_load_dword v40, off, s[0:3], s32 offset:188
	s_waitcnt vmcnt(0) lgkmcnt(0)
	s_setpc_b64 s[30:31]
.LBB214_3316:
	ds_read_b32 v66, v64
	s_waitcnt lgkmcnt(0)
	v_add_f32_e32 v0, v66, v0
	s_or_b32 exec_lo, exec_lo, s4
	s_and_saveexec_b32 s4, vcc_lo
	s_cbranch_execz .LBB214_3211
.LBB214_3317:
	ds_read_b32 v66, v64 offset:16
	s_waitcnt lgkmcnt(0)
	v_add_f32_e32 v1, v66, v1
	s_or_b32 exec_lo, exec_lo, s4
	s_and_saveexec_b32 s4, vcc_lo
	s_cbranch_execz .LBB214_3212
.LBB214_3318:
	ds_read_b32 v66, v64 offset:32
	s_waitcnt lgkmcnt(0)
	v_add_f32_e32 v2, v66, v2
	s_or_b32 exec_lo, exec_lo, s4
	s_and_saveexec_b32 s4, vcc_lo
	s_cbranch_execz .LBB214_3213
.LBB214_3319:
	ds_read_b32 v66, v64 offset:48
	s_waitcnt lgkmcnt(0)
	v_add_f32_e32 v3, v66, v3
	s_or_b32 exec_lo, exec_lo, s4
	s_and_saveexec_b32 s4, vcc_lo
	s_cbranch_execz .LBB214_3214
.LBB214_3320:
	ds_read_b32 v66, v64 offset:64
	s_waitcnt lgkmcnt(0)
	v_add_f32_e32 v4, v66, v4
	s_or_b32 exec_lo, exec_lo, s4
	s_and_saveexec_b32 s4, vcc_lo
	s_cbranch_execz .LBB214_3215
.LBB214_3321:
	ds_read_b32 v66, v64 offset:80
	s_waitcnt lgkmcnt(0)
	v_add_f32_e32 v5, v66, v5
	s_or_b32 exec_lo, exec_lo, s4
	s_and_saveexec_b32 s4, vcc_lo
	s_cbranch_execz .LBB214_3216
.LBB214_3322:
	ds_read_b32 v66, v64 offset:96
	s_waitcnt lgkmcnt(0)
	v_add_f32_e32 v7, v66, v7
	s_or_b32 exec_lo, exec_lo, s4
	s_and_saveexec_b32 s4, vcc_lo
	s_cbranch_execz .LBB214_3217
.LBB214_3323:
	ds_read_b32 v66, v64 offset:112
	s_waitcnt lgkmcnt(0)
	v_add_f32_e32 v8, v66, v8
	s_or_b32 exec_lo, exec_lo, s4
	s_and_saveexec_b32 s4, vcc_lo
	s_cbranch_execz .LBB214_3218
.LBB214_3324:
	ds_read_b32 v66, v64 offset:128
	s_waitcnt lgkmcnt(0)
	v_add_f32_e32 v9, v66, v9
	s_or_b32 exec_lo, exec_lo, s4
	s_and_saveexec_b32 s4, vcc_lo
	s_cbranch_execz .LBB214_3219
.LBB214_3325:
	ds_read_b32 v66, v64 offset:144
	s_waitcnt lgkmcnt(0)
	v_add_f32_e32 v10, v66, v10
	s_or_b32 exec_lo, exec_lo, s4
	s_and_saveexec_b32 s4, vcc_lo
	s_cbranch_execz .LBB214_3220
.LBB214_3326:
	ds_read_b32 v66, v64 offset:160
	s_waitcnt lgkmcnt(0)
	v_add_f32_e32 v11, v66, v11
	s_or_b32 exec_lo, exec_lo, s4
	s_and_saveexec_b32 s4, vcc_lo
	s_cbranch_execz .LBB214_3221
.LBB214_3327:
	ds_read_b32 v66, v64 offset:176
	s_waitcnt lgkmcnt(0)
	v_add_f32_e32 v12, v66, v12
	s_or_b32 exec_lo, exec_lo, s4
	s_and_saveexec_b32 s4, vcc_lo
	s_cbranch_execz .LBB214_3222
.LBB214_3328:
	ds_read_b32 v66, v64 offset:192
	s_waitcnt lgkmcnt(0)
	v_add_f32_e32 v13, v66, v13
	s_or_b32 exec_lo, exec_lo, s4
	s_and_saveexec_b32 s4, vcc_lo
	s_cbranch_execz .LBB214_3223
.LBB214_3329:
	ds_read_b32 v66, v64 offset:208
	s_waitcnt lgkmcnt(0)
	v_add_f32_e32 v14, v66, v14
	s_or_b32 exec_lo, exec_lo, s4
	s_and_saveexec_b32 s4, vcc_lo
	s_cbranch_execz .LBB214_3224
.LBB214_3330:
	ds_read_b32 v66, v64 offset:224
	s_waitcnt lgkmcnt(0)
	v_add_f32_e32 v15, v66, v15
	s_or_b32 exec_lo, exec_lo, s4
	s_and_saveexec_b32 s4, vcc_lo
	s_cbranch_execz .LBB214_3225
.LBB214_3331:
	ds_read_b32 v66, v64 offset:240
	s_waitcnt lgkmcnt(0)
	v_add_f32_e32 v16, v66, v16
	s_or_b32 exec_lo, exec_lo, s4
	s_and_saveexec_b32 s4, vcc_lo
	s_cbranch_execz .LBB214_3226
.LBB214_3332:
	ds_read_b32 v66, v64 offset:256
	s_waitcnt lgkmcnt(0)
	v_add_f32_e32 v17, v66, v17
	s_or_b32 exec_lo, exec_lo, s4
	s_and_saveexec_b32 s4, vcc_lo
	s_cbranch_execz .LBB214_3227
.LBB214_3333:
	ds_read_b32 v66, v64 offset:272
	s_waitcnt lgkmcnt(0)
	v_add_f32_e32 v18, v66, v18
	s_or_b32 exec_lo, exec_lo, s4
	s_and_saveexec_b32 s4, vcc_lo
	s_cbranch_execz .LBB214_3228
.LBB214_3334:
	ds_read_b32 v66, v64 offset:288
	s_waitcnt lgkmcnt(0)
	v_add_f32_e32 v19, v66, v19
	s_or_b32 exec_lo, exec_lo, s4
	s_and_saveexec_b32 s4, vcc_lo
	s_cbranch_execz .LBB214_3229
.LBB214_3335:
	ds_read_b32 v66, v64 offset:304
	s_waitcnt lgkmcnt(0)
	v_add_f32_e32 v20, v66, v20
	s_or_b32 exec_lo, exec_lo, s4
	s_and_saveexec_b32 s4, vcc_lo
	s_cbranch_execz .LBB214_3230
.LBB214_3336:
	ds_read_b32 v66, v64 offset:320
	s_waitcnt lgkmcnt(0)
	v_add_f32_e32 v21, v66, v21
	s_or_b32 exec_lo, exec_lo, s4
	s_and_saveexec_b32 s4, vcc_lo
	s_cbranch_execz .LBB214_3231
.LBB214_3337:
	ds_read_b32 v66, v64 offset:336
	s_waitcnt lgkmcnt(0)
	v_add_f32_e32 v22, v66, v22
	s_or_b32 exec_lo, exec_lo, s4
	s_and_saveexec_b32 s4, vcc_lo
	s_cbranch_execz .LBB214_3232
.LBB214_3338:
	ds_read_b32 v66, v64 offset:352
	s_waitcnt lgkmcnt(0)
	v_add_f32_e32 v23, v66, v23
	s_or_b32 exec_lo, exec_lo, s4
	s_and_saveexec_b32 s4, vcc_lo
	s_cbranch_execz .LBB214_3233
.LBB214_3339:
	ds_read_b32 v66, v64 offset:368
	s_waitcnt lgkmcnt(0)
	v_add_f32_e32 v24, v66, v24
	s_or_b32 exec_lo, exec_lo, s4
	s_and_saveexec_b32 s4, vcc_lo
	s_cbranch_execz .LBB214_3234
.LBB214_3340:
	ds_read_b32 v66, v64 offset:384
	s_waitcnt lgkmcnt(0)
	v_add_f32_e32 v25, v66, v25
	s_or_b32 exec_lo, exec_lo, s4
	s_and_saveexec_b32 s4, vcc_lo
	s_cbranch_execz .LBB214_3235
.LBB214_3341:
	ds_read_b32 v66, v64 offset:400
	s_waitcnt lgkmcnt(0)
	v_add_f32_e32 v26, v66, v26
	s_or_b32 exec_lo, exec_lo, s4
	s_and_saveexec_b32 s4, vcc_lo
	s_cbranch_execz .LBB214_3236
.LBB214_3342:
	ds_read_b32 v66, v64 offset:416
	s_waitcnt lgkmcnt(0)
	v_add_f32_e32 v27, v66, v27
	s_or_b32 exec_lo, exec_lo, s4
	s_and_saveexec_b32 s4, vcc_lo
	s_cbranch_execz .LBB214_3237
.LBB214_3343:
	ds_read_b32 v66, v64 offset:432
	s_waitcnt lgkmcnt(0)
	v_add_f32_e32 v28, v66, v28
	s_or_b32 exec_lo, exec_lo, s4
	s_and_saveexec_b32 s4, vcc_lo
	s_cbranch_execz .LBB214_3238
.LBB214_3344:
	ds_read_b32 v66, v64 offset:448
	s_waitcnt lgkmcnt(0)
	v_add_f32_e32 v31, v66, v31
	s_or_b32 exec_lo, exec_lo, s4
	s_and_saveexec_b32 s4, vcc_lo
	s_cbranch_execz .LBB214_3239
.LBB214_3345:
	ds_read_b32 v66, v64 offset:464
	s_waitcnt lgkmcnt(0)
	v_add_f32_e32 v32, v66, v32
	s_or_b32 exec_lo, exec_lo, s4
	s_and_saveexec_b32 s4, vcc_lo
	s_cbranch_execz .LBB214_3240
.LBB214_3346:
	ds_read_b32 v66, v64 offset:480
	s_waitcnt lgkmcnt(0)
	v_add_f32_e32 v33, v66, v33
	s_or_b32 exec_lo, exec_lo, s4
	s_and_saveexec_b32 s4, vcc_lo
	s_cbranch_execz .LBB214_3241
.LBB214_3347:
	ds_read_b32 v66, v64 offset:496
	s_waitcnt lgkmcnt(0)
	v_add_f32_e32 v34, v66, v34
	s_or_b32 exec_lo, exec_lo, s4
	s_and_saveexec_b32 s4, vcc_lo
	s_cbranch_execz .LBB214_3242
.LBB214_3348:
	ds_read_b32 v66, v64 offset:512
	s_waitcnt lgkmcnt(0)
	v_add_f32_e32 v6, v66, v6
	s_or_b32 exec_lo, exec_lo, s4
	s_and_saveexec_b32 s4, vcc_lo
	s_cbranch_execz .LBB214_3243
.LBB214_3349:
	ds_read_b32 v66, v64 offset:528
	s_waitcnt lgkmcnt(0)
	v_add_f32_e32 v29, v66, v29
	s_or_b32 exec_lo, exec_lo, s4
	s_and_saveexec_b32 s4, vcc_lo
	s_cbranch_execz .LBB214_3244
.LBB214_3350:
	ds_read_b32 v66, v64 offset:544
	s_waitcnt lgkmcnt(0)
	v_add_f32_e32 v30, v66, v30
	s_or_b32 exec_lo, exec_lo, s4
	s_and_saveexec_b32 s4, vcc_lo
	s_cbranch_execz .LBB214_3245
.LBB214_3351:
	ds_read_b32 v66, v64 offset:560
	s_waitcnt lgkmcnt(0)
	v_add_f32_e32 v35, v66, v35
	s_or_b32 exec_lo, exec_lo, s4
	s_and_saveexec_b32 s4, vcc_lo
	s_cbranch_execz .LBB214_3246
.LBB214_3352:
	ds_read_b32 v66, v64 offset:576
	s_waitcnt lgkmcnt(0)
	v_add_f32_e32 v36, v66, v36
	s_or_b32 exec_lo, exec_lo, s4
	s_and_saveexec_b32 s4, vcc_lo
	s_cbranch_execz .LBB214_3247
.LBB214_3353:
	ds_read_b32 v66, v64 offset:592
	s_waitcnt lgkmcnt(0)
	v_add_f32_e32 v37, v66, v37
	s_or_b32 exec_lo, exec_lo, s4
	s_and_saveexec_b32 s4, vcc_lo
	s_cbranch_execz .LBB214_3248
.LBB214_3354:
	ds_read_b32 v66, v64 offset:608
	s_waitcnt lgkmcnt(0)
	v_add_f32_e32 v38, v66, v38
	s_or_b32 exec_lo, exec_lo, s4
	s_and_saveexec_b32 s4, vcc_lo
	s_cbranch_execz .LBB214_3249
.LBB214_3355:
	ds_read_b32 v66, v64 offset:624
	s_waitcnt lgkmcnt(0)
	v_add_f32_e32 v39, v66, v39
	s_or_b32 exec_lo, exec_lo, s4
	s_and_saveexec_b32 s4, vcc_lo
	s_cbranch_execz .LBB214_3250
.LBB214_3356:
	ds_read_b32 v66, v64 offset:640
	s_waitcnt lgkmcnt(0)
	v_add_f32_e32 v48, v66, v48
	s_or_b32 exec_lo, exec_lo, s4
	s_and_saveexec_b32 s4, vcc_lo
	s_cbranch_execz .LBB214_3251
.LBB214_3357:
	ds_read_b32 v66, v64 offset:656
	s_waitcnt lgkmcnt(0)
	v_add_f32_e32 v49, v66, v49
	s_or_b32 exec_lo, exec_lo, s4
	s_and_saveexec_b32 s4, vcc_lo
	s_cbranch_execz .LBB214_3252
.LBB214_3358:
	ds_read_b32 v66, v64 offset:672
	s_waitcnt lgkmcnt(0)
	v_add_f32_e32 v50, v66, v50
	s_or_b32 exec_lo, exec_lo, s4
	s_and_saveexec_b32 s4, vcc_lo
	s_cbranch_execz .LBB214_3253
.LBB214_3359:
	ds_read_b32 v66, v64 offset:688
	s_waitcnt lgkmcnt(0)
	v_add_f32_e32 v51, v66, v51
	s_or_b32 exec_lo, exec_lo, s4
	s_and_saveexec_b32 s4, vcc_lo
	s_cbranch_execz .LBB214_3254
.LBB214_3360:
	ds_read_b32 v66, v64 offset:704
	s_waitcnt lgkmcnt(0)
	v_add_f32_e32 v52, v66, v52
	s_or_b32 exec_lo, exec_lo, s4
	s_and_saveexec_b32 s4, vcc_lo
	s_cbranch_execz .LBB214_3255
.LBB214_3361:
	ds_read_b32 v66, v64 offset:720
	s_waitcnt lgkmcnt(0)
	v_add_f32_e32 v53, v66, v53
	s_or_b32 exec_lo, exec_lo, s4
	s_and_saveexec_b32 s4, vcc_lo
	s_cbranch_execz .LBB214_3256
.LBB214_3362:
	ds_read_b32 v66, v64 offset:736
	s_waitcnt lgkmcnt(0)
	v_add_f32_e32 v54, v66, v54
	s_or_b32 exec_lo, exec_lo, s4
	s_and_saveexec_b32 s4, vcc_lo
	s_cbranch_execnz .LBB214_3257
	s_branch .LBB214_3258
.LBB214_3363:
	ds_read_b32 v65, v64
	s_waitcnt lgkmcnt(0)
	v_add_f32_e32 v0, v65, v0
	s_or_b32 exec_lo, exec_lo, s6
	s_and_saveexec_b32 s6, vcc_lo
	s_cbranch_execz .LBB214_3264
.LBB214_3364:
	ds_read_b32 v65, v64 offset:16
	s_waitcnt lgkmcnt(0)
	v_add_f32_e32 v1, v65, v1
	s_or_b32 exec_lo, exec_lo, s6
	s_and_saveexec_b32 s6, vcc_lo
	s_cbranch_execz .LBB214_3265
.LBB214_3365:
	ds_read_b32 v65, v64 offset:32
	s_waitcnt lgkmcnt(0)
	v_add_f32_e32 v2, v65, v2
	s_or_b32 exec_lo, exec_lo, s6
	s_and_saveexec_b32 s6, vcc_lo
	s_cbranch_execz .LBB214_3266
.LBB214_3366:
	ds_read_b32 v65, v64 offset:48
	s_waitcnt lgkmcnt(0)
	v_add_f32_e32 v3, v65, v3
	s_or_b32 exec_lo, exec_lo, s6
	s_and_saveexec_b32 s6, vcc_lo
	s_cbranch_execz .LBB214_3267
.LBB214_3367:
	ds_read_b32 v65, v64 offset:64
	s_waitcnt lgkmcnt(0)
	v_add_f32_e32 v4, v65, v4
	s_or_b32 exec_lo, exec_lo, s6
	s_and_saveexec_b32 s6, vcc_lo
	s_cbranch_execz .LBB214_3268
.LBB214_3368:
	ds_read_b32 v65, v64 offset:80
	s_waitcnt lgkmcnt(0)
	v_add_f32_e32 v5, v65, v5
	s_or_b32 exec_lo, exec_lo, s6
	s_and_saveexec_b32 s6, vcc_lo
	s_cbranch_execz .LBB214_3269
.LBB214_3369:
	ds_read_b32 v65, v64 offset:96
	s_waitcnt lgkmcnt(0)
	v_add_f32_e32 v7, v65, v7
	s_or_b32 exec_lo, exec_lo, s6
	s_and_saveexec_b32 s6, vcc_lo
	s_cbranch_execz .LBB214_3270
.LBB214_3370:
	ds_read_b32 v65, v64 offset:112
	s_waitcnt lgkmcnt(0)
	v_add_f32_e32 v8, v65, v8
	s_or_b32 exec_lo, exec_lo, s6
	s_and_saveexec_b32 s6, vcc_lo
	s_cbranch_execz .LBB214_3271
.LBB214_3371:
	ds_read_b32 v65, v64 offset:128
	s_waitcnt lgkmcnt(0)
	v_add_f32_e32 v9, v65, v9
	s_or_b32 exec_lo, exec_lo, s6
	s_and_saveexec_b32 s6, vcc_lo
	s_cbranch_execz .LBB214_3272
.LBB214_3372:
	ds_read_b32 v65, v64 offset:144
	s_waitcnt lgkmcnt(0)
	v_add_f32_e32 v10, v65, v10
	s_or_b32 exec_lo, exec_lo, s6
	s_and_saveexec_b32 s6, vcc_lo
	s_cbranch_execz .LBB214_3273
.LBB214_3373:
	ds_read_b32 v65, v64 offset:160
	s_waitcnt lgkmcnt(0)
	v_add_f32_e32 v11, v65, v11
	s_or_b32 exec_lo, exec_lo, s6
	s_and_saveexec_b32 s6, vcc_lo
	s_cbranch_execz .LBB214_3274
.LBB214_3374:
	ds_read_b32 v65, v64 offset:176
	s_waitcnt lgkmcnt(0)
	v_add_f32_e32 v12, v65, v12
	s_or_b32 exec_lo, exec_lo, s6
	s_and_saveexec_b32 s6, vcc_lo
	s_cbranch_execz .LBB214_3275
.LBB214_3375:
	ds_read_b32 v65, v64 offset:192
	s_waitcnt lgkmcnt(0)
	v_add_f32_e32 v13, v65, v13
	s_or_b32 exec_lo, exec_lo, s6
	s_and_saveexec_b32 s6, vcc_lo
	s_cbranch_execz .LBB214_3276
.LBB214_3376:
	ds_read_b32 v65, v64 offset:208
	s_waitcnt lgkmcnt(0)
	v_add_f32_e32 v14, v65, v14
	s_or_b32 exec_lo, exec_lo, s6
	s_and_saveexec_b32 s6, vcc_lo
	s_cbranch_execz .LBB214_3277
.LBB214_3377:
	ds_read_b32 v65, v64 offset:224
	s_waitcnt lgkmcnt(0)
	v_add_f32_e32 v15, v65, v15
	s_or_b32 exec_lo, exec_lo, s6
	s_and_saveexec_b32 s6, vcc_lo
	s_cbranch_execz .LBB214_3278
.LBB214_3378:
	ds_read_b32 v65, v64 offset:240
	s_waitcnt lgkmcnt(0)
	v_add_f32_e32 v16, v65, v16
	s_or_b32 exec_lo, exec_lo, s6
	s_and_saveexec_b32 s6, vcc_lo
	s_cbranch_execz .LBB214_3279
.LBB214_3379:
	ds_read_b32 v65, v64 offset:256
	s_waitcnt lgkmcnt(0)
	v_add_f32_e32 v17, v65, v17
	s_or_b32 exec_lo, exec_lo, s6
	s_and_saveexec_b32 s6, vcc_lo
	s_cbranch_execz .LBB214_3280
.LBB214_3380:
	ds_read_b32 v65, v64 offset:272
	s_waitcnt lgkmcnt(0)
	v_add_f32_e32 v18, v65, v18
	s_or_b32 exec_lo, exec_lo, s6
	s_and_saveexec_b32 s6, vcc_lo
	s_cbranch_execz .LBB214_3281
.LBB214_3381:
	ds_read_b32 v65, v64 offset:288
	s_waitcnt lgkmcnt(0)
	v_add_f32_e32 v19, v65, v19
	s_or_b32 exec_lo, exec_lo, s6
	s_and_saveexec_b32 s6, vcc_lo
	s_cbranch_execz .LBB214_3282
.LBB214_3382:
	ds_read_b32 v65, v64 offset:304
	s_waitcnt lgkmcnt(0)
	v_add_f32_e32 v20, v65, v20
	s_or_b32 exec_lo, exec_lo, s6
	s_and_saveexec_b32 s6, vcc_lo
	s_cbranch_execz .LBB214_3283
.LBB214_3383:
	ds_read_b32 v65, v64 offset:320
	s_waitcnt lgkmcnt(0)
	v_add_f32_e32 v21, v65, v21
	s_or_b32 exec_lo, exec_lo, s6
	s_and_saveexec_b32 s6, vcc_lo
	s_cbranch_execz .LBB214_3284
.LBB214_3384:
	ds_read_b32 v65, v64 offset:336
	s_waitcnt lgkmcnt(0)
	v_add_f32_e32 v22, v65, v22
	s_or_b32 exec_lo, exec_lo, s6
	s_and_saveexec_b32 s6, vcc_lo
	s_cbranch_execz .LBB214_3285
.LBB214_3385:
	ds_read_b32 v65, v64 offset:352
	s_waitcnt lgkmcnt(0)
	v_add_f32_e32 v23, v65, v23
	s_or_b32 exec_lo, exec_lo, s6
	s_and_saveexec_b32 s6, vcc_lo
	s_cbranch_execz .LBB214_3286
.LBB214_3386:
	ds_read_b32 v65, v64 offset:368
	s_waitcnt lgkmcnt(0)
	v_add_f32_e32 v24, v65, v24
	s_or_b32 exec_lo, exec_lo, s6
	s_and_saveexec_b32 s6, vcc_lo
	s_cbranch_execz .LBB214_3287
.LBB214_3387:
	ds_read_b32 v65, v64 offset:384
	s_waitcnt lgkmcnt(0)
	v_add_f32_e32 v25, v65, v25
	s_or_b32 exec_lo, exec_lo, s6
	s_and_saveexec_b32 s6, vcc_lo
	s_cbranch_execz .LBB214_3288
.LBB214_3388:
	ds_read_b32 v65, v64 offset:400
	s_waitcnt lgkmcnt(0)
	v_add_f32_e32 v26, v65, v26
	s_or_b32 exec_lo, exec_lo, s6
	s_and_saveexec_b32 s6, vcc_lo
	s_cbranch_execz .LBB214_3289
.LBB214_3389:
	ds_read_b32 v65, v64 offset:416
	s_waitcnt lgkmcnt(0)
	v_add_f32_e32 v27, v65, v27
	s_or_b32 exec_lo, exec_lo, s6
	s_and_saveexec_b32 s6, vcc_lo
	s_cbranch_execz .LBB214_3290
.LBB214_3390:
	ds_read_b32 v65, v64 offset:432
	s_waitcnt lgkmcnt(0)
	v_add_f32_e32 v28, v65, v28
	s_or_b32 exec_lo, exec_lo, s6
	s_and_saveexec_b32 s6, vcc_lo
	s_cbranch_execz .LBB214_3291
.LBB214_3391:
	ds_read_b32 v65, v64 offset:448
	s_waitcnt lgkmcnt(0)
	v_add_f32_e32 v31, v65, v31
	s_or_b32 exec_lo, exec_lo, s6
	s_and_saveexec_b32 s6, vcc_lo
	s_cbranch_execz .LBB214_3292
.LBB214_3392:
	ds_read_b32 v65, v64 offset:464
	s_waitcnt lgkmcnt(0)
	v_add_f32_e32 v32, v65, v32
	s_or_b32 exec_lo, exec_lo, s6
	s_and_saveexec_b32 s6, vcc_lo
	s_cbranch_execz .LBB214_3293
.LBB214_3393:
	ds_read_b32 v65, v64 offset:480
	s_waitcnt lgkmcnt(0)
	v_add_f32_e32 v33, v65, v33
	s_or_b32 exec_lo, exec_lo, s6
	s_and_saveexec_b32 s6, vcc_lo
	s_cbranch_execz .LBB214_3294
.LBB214_3394:
	ds_read_b32 v65, v64 offset:496
	s_waitcnt lgkmcnt(0)
	v_add_f32_e32 v34, v65, v34
	s_or_b32 exec_lo, exec_lo, s6
	s_and_saveexec_b32 s6, vcc_lo
	s_cbranch_execz .LBB214_3295
.LBB214_3395:
	ds_read_b32 v65, v64 offset:512
	s_waitcnt lgkmcnt(0)
	v_add_f32_e32 v6, v65, v6
	s_or_b32 exec_lo, exec_lo, s6
	s_and_saveexec_b32 s6, vcc_lo
	s_cbranch_execz .LBB214_3296
.LBB214_3396:
	ds_read_b32 v65, v64 offset:528
	s_waitcnt lgkmcnt(0)
	v_add_f32_e32 v29, v65, v29
	s_or_b32 exec_lo, exec_lo, s6
	s_and_saveexec_b32 s6, vcc_lo
	s_cbranch_execz .LBB214_3297
.LBB214_3397:
	ds_read_b32 v65, v64 offset:544
	s_waitcnt lgkmcnt(0)
	v_add_f32_e32 v30, v65, v30
	s_or_b32 exec_lo, exec_lo, s6
	s_and_saveexec_b32 s6, vcc_lo
	s_cbranch_execz .LBB214_3298
.LBB214_3398:
	ds_read_b32 v65, v64 offset:560
	s_waitcnt lgkmcnt(0)
	v_add_f32_e32 v35, v65, v35
	s_or_b32 exec_lo, exec_lo, s6
	s_and_saveexec_b32 s6, vcc_lo
	s_cbranch_execz .LBB214_3299
.LBB214_3399:
	ds_read_b32 v65, v64 offset:576
	s_waitcnt lgkmcnt(0)
	v_add_f32_e32 v36, v65, v36
	s_or_b32 exec_lo, exec_lo, s6
	s_and_saveexec_b32 s6, vcc_lo
	s_cbranch_execz .LBB214_3300
.LBB214_3400:
	ds_read_b32 v65, v64 offset:592
	s_waitcnt lgkmcnt(0)
	v_add_f32_e32 v37, v65, v37
	s_or_b32 exec_lo, exec_lo, s6
	s_and_saveexec_b32 s6, vcc_lo
	s_cbranch_execz .LBB214_3301
.LBB214_3401:
	ds_read_b32 v65, v64 offset:608
	s_waitcnt lgkmcnt(0)
	v_add_f32_e32 v38, v65, v38
	s_or_b32 exec_lo, exec_lo, s6
	s_and_saveexec_b32 s6, vcc_lo
	s_cbranch_execz .LBB214_3302
.LBB214_3402:
	ds_read_b32 v65, v64 offset:624
	s_waitcnt lgkmcnt(0)
	v_add_f32_e32 v39, v65, v39
	s_or_b32 exec_lo, exec_lo, s6
	s_and_saveexec_b32 s6, vcc_lo
	s_cbranch_execz .LBB214_3303
.LBB214_3403:
	ds_read_b32 v65, v64 offset:640
	s_waitcnt lgkmcnt(0)
	v_add_f32_e32 v48, v65, v48
	s_or_b32 exec_lo, exec_lo, s6
	s_and_saveexec_b32 s6, vcc_lo
	s_cbranch_execz .LBB214_3304
.LBB214_3404:
	ds_read_b32 v65, v64 offset:656
	s_waitcnt lgkmcnt(0)
	v_add_f32_e32 v49, v65, v49
	s_or_b32 exec_lo, exec_lo, s6
	s_and_saveexec_b32 s6, vcc_lo
	s_cbranch_execz .LBB214_3305
.LBB214_3405:
	ds_read_b32 v65, v64 offset:672
	s_waitcnt lgkmcnt(0)
	v_add_f32_e32 v50, v65, v50
	s_or_b32 exec_lo, exec_lo, s6
	s_and_saveexec_b32 s6, vcc_lo
	s_cbranch_execz .LBB214_3306
.LBB214_3406:
	ds_read_b32 v65, v64 offset:688
	s_waitcnt lgkmcnt(0)
	v_add_f32_e32 v51, v65, v51
	s_or_b32 exec_lo, exec_lo, s6
	s_and_saveexec_b32 s6, vcc_lo
	s_cbranch_execz .LBB214_3307
.LBB214_3407:
	ds_read_b32 v65, v64 offset:704
	s_waitcnt lgkmcnt(0)
	v_add_f32_e32 v52, v65, v52
	s_or_b32 exec_lo, exec_lo, s6
	s_and_saveexec_b32 s6, vcc_lo
	s_cbranch_execz .LBB214_3308
.LBB214_3408:
	ds_read_b32 v65, v64 offset:720
	s_waitcnt lgkmcnt(0)
	v_add_f32_e32 v53, v65, v53
	s_or_b32 exec_lo, exec_lo, s6
	s_and_saveexec_b32 s6, vcc_lo
	s_cbranch_execz .LBB214_3309
.LBB214_3409:
	ds_read_b32 v65, v64 offset:736
	s_waitcnt lgkmcnt(0)
	v_add_f32_e32 v54, v65, v54
	s_or_b32 exec_lo, exec_lo, s6
	s_and_saveexec_b32 s6, vcc_lo
	s_cbranch_execnz .LBB214_3310
	s_branch .LBB214_3311
.Lfunc_end214:
	.size	_ZN4vllm22paged_attention_kernelIfhLi192ELi32ELi128ELNS_18Fp8KVCacheDataTypeE1ELb1ELi0EEEvPfS2_PT_PKS3_PKT0_S9_ifPKiSB_iPKfiiiSD_SD_iiiii, .Lfunc_end214-_ZN4vllm22paged_attention_kernelIfhLi192ELi32ELi128ELNS_18Fp8KVCacheDataTypeE1ELb1ELi0EEEvPfS2_PT_PKS3_PKT0_S9_ifPKiSB_iPKfiiiSD_SD_iiiii
                                        ; -- End function
	.set .L_ZN4vllm22paged_attention_kernelIfhLi192ELi32ELi128ELNS_18Fp8KVCacheDataTypeE1ELb1ELi0EEEvPfS2_PT_PKS3_PKT0_S9_ifPKiSB_iPKfiiiSD_SD_iiiii.num_vgpr, 128
	.set .L_ZN4vllm22paged_attention_kernelIfhLi192ELi32ELi128ELNS_18Fp8KVCacheDataTypeE1ELb1ELi0EEEvPfS2_PT_PKS3_PKT0_S9_ifPKiSB_iPKfiiiSD_SD_iiiii.num_agpr, 0
	.set .L_ZN4vllm22paged_attention_kernelIfhLi192ELi32ELi128ELNS_18Fp8KVCacheDataTypeE1ELb1ELi0EEEvPfS2_PT_PKS3_PKT0_S9_ifPKiSB_iPKfiiiSD_SD_iiiii.numbered_sgpr, 33
	.set .L_ZN4vllm22paged_attention_kernelIfhLi192ELi32ELi128ELNS_18Fp8KVCacheDataTypeE1ELb1ELi0EEEvPfS2_PT_PKS3_PKT0_S9_ifPKiSB_iPKfiiiSD_SD_iiiii.num_named_barrier, 0
	.set .L_ZN4vllm22paged_attention_kernelIfhLi192ELi32ELi128ELNS_18Fp8KVCacheDataTypeE1ELb1ELi0EEEvPfS2_PT_PKS3_PKT0_S9_ifPKiSB_iPKfiiiSD_SD_iiiii.private_seg_size, 2452
	.set .L_ZN4vllm22paged_attention_kernelIfhLi192ELi32ELi128ELNS_18Fp8KVCacheDataTypeE1ELb1ELi0EEEvPfS2_PT_PKS3_PKT0_S9_ifPKiSB_iPKfiiiSD_SD_iiiii.uses_vcc, 1
	.set .L_ZN4vllm22paged_attention_kernelIfhLi192ELi32ELi128ELNS_18Fp8KVCacheDataTypeE1ELb1ELi0EEEvPfS2_PT_PKS3_PKT0_S9_ifPKiSB_iPKfiiiSD_SD_iiiii.uses_flat_scratch, 0
	.set .L_ZN4vllm22paged_attention_kernelIfhLi192ELi32ELi128ELNS_18Fp8KVCacheDataTypeE1ELb1ELi0EEEvPfS2_PT_PKS3_PKT0_S9_ifPKiSB_iPKfiiiSD_SD_iiiii.has_dyn_sized_stack, 0
	.set .L_ZN4vllm22paged_attention_kernelIfhLi192ELi32ELi128ELNS_18Fp8KVCacheDataTypeE1ELb1ELi0EEEvPfS2_PT_PKS3_PKT0_S9_ifPKiSB_iPKfiiiSD_SD_iiiii.has_recursion, 0
	.set .L_ZN4vllm22paged_attention_kernelIfhLi192ELi32ELi128ELNS_18Fp8KVCacheDataTypeE1ELb1ELi0EEEvPfS2_PT_PKS3_PKT0_S9_ifPKiSB_iPKfiiiSD_SD_iiiii.has_indirect_call, 0
	.section	.AMDGPU.csdata,"",@progbits
; Function info:
; codeLenInByte = 127652
; TotalNumSgprs: 35
; NumVgprs: 128
; ScratchSize: 2452
; MemoryBound: 0
	.section	.text._ZN4vllm25paged_attention_v1_kernelIfhLi192ELi32ELi128ELNS_18Fp8KVCacheDataTypeE1ELb1EEEvPT_PKS2_PKT0_S8_ifPKiSA_iPKfiiiSC_SC_iiiii,"axG",@progbits,_ZN4vllm25paged_attention_v1_kernelIfhLi192ELi32ELi128ELNS_18Fp8KVCacheDataTypeE1ELb1EEEvPT_PKS2_PKT0_S8_ifPKiSA_iPKfiiiSC_SC_iiiii,comdat
	.protected	_ZN4vllm25paged_attention_v1_kernelIfhLi192ELi32ELi128ELNS_18Fp8KVCacheDataTypeE1ELb1EEEvPT_PKS2_PKT0_S8_ifPKiSA_iPKfiiiSC_SC_iiiii ; -- Begin function _ZN4vllm25paged_attention_v1_kernelIfhLi192ELi32ELi128ELNS_18Fp8KVCacheDataTypeE1ELb1EEEvPT_PKS2_PKT0_S8_ifPKiSA_iPKfiiiSC_SC_iiiii
	.globl	_ZN4vllm25paged_attention_v1_kernelIfhLi192ELi32ELi128ELNS_18Fp8KVCacheDataTypeE1ELb1EEEvPT_PKS2_PKT0_S8_ifPKiSA_iPKfiiiSC_SC_iiiii
	.p2align	8
	.type	_ZN4vllm25paged_attention_v1_kernelIfhLi192ELi32ELi128ELNS_18Fp8KVCacheDataTypeE1ELb1EEEvPT_PKS2_PKT0_S8_ifPKiSA_iPKfiiiSC_SC_iiiii,@function
_ZN4vllm25paged_attention_v1_kernelIfhLi192ELi32ELi128ELNS_18Fp8KVCacheDataTypeE1ELb1EEEvPT_PKS2_PKT0_S8_ifPKiSA_iPKfiiiSC_SC_iiiii: ; @_ZN4vllm25paged_attention_v1_kernelIfhLi192ELi32ELi128ELNS_18Fp8KVCacheDataTypeE1ELb1EEEvPT_PKS2_PKT0_S8_ifPKiSA_iPKfiiiSC_SC_iiiii
; %bb.0:
	s_clause 0x7
	s_load_dwordx8 s[16:23], s[4:5], 0x0
	s_load_dwordx4 s[36:39], s[4:5], 0x20
	s_load_dwordx2 s[10:11], s[4:5], 0x30
	s_load_dword s13, s[4:5], 0x38
	s_load_dwordx2 s[34:35], s[4:5], 0x40
	s_load_dwordx8 s[24:31], s[4:5], 0x48
	s_load_dword s15, s[4:5], 0x78
	s_load_dwordx4 s[40:43], s[4:5], 0x68
	s_add_u32 s0, s0, s9
	s_addc_u32 s1, s1, 0
	v_mov_b32_e32 v31, v0
	s_mov_b32 s14, s8
	s_add_u32 s8, s4, 0x80
	s_addc_u32 s9, s5, 0
	s_getpc_b64 s[4:5]
	s_add_u32 s4, s4, _ZN4vllm22paged_attention_kernelIfhLi192ELi32ELi128ELNS_18Fp8KVCacheDataTypeE1ELb1ELi0EEEvPfS2_PT_PKS3_PKT0_S9_ifPKiSB_iPKfiiiSD_SD_iiiii@rel32@lo+4
	s_addc_u32 s5, s5, _ZN4vllm22paged_attention_kernelIfhLi192ELi32ELi128ELNS_18Fp8KVCacheDataTypeE1ELb1ELi0EEEvPfS2_PT_PKS3_PKT0_S9_ifPKiSB_iPKfiiiSD_SD_iiiii@rel32@hi+12
	s_mov_b32 s12, s6
	s_mov_b32 s32, 0
	s_waitcnt lgkmcnt(0)
	v_mov_b32_e32 v0, s16
	v_mov_b32_e32 v1, s17
	;; [unrolled: 1-line block ×29, first 2 shown]
	s_mov_b32 s13, s7
	s_mov_b32 s15, 25
	s_swappc_b64 s[30:31], s[4:5]
	s_endpgm
	.section	.rodata,"a",@progbits
	.p2align	6, 0x0
	.amdhsa_kernel _ZN4vllm25paged_attention_v1_kernelIfhLi192ELi32ELi128ELNS_18Fp8KVCacheDataTypeE1ELb1EEEvPT_PKS2_PKT0_S8_ifPKiSA_iPKfiiiSC_SC_iiiii
		.amdhsa_group_segment_fixed_size 800
		.amdhsa_private_segment_fixed_size 2452
		.amdhsa_kernarg_size 384
		.amdhsa_user_sgpr_count 6
		.amdhsa_user_sgpr_private_segment_buffer 1
		.amdhsa_user_sgpr_dispatch_ptr 0
		.amdhsa_user_sgpr_queue_ptr 0
		.amdhsa_user_sgpr_kernarg_segment_ptr 1
		.amdhsa_user_sgpr_dispatch_id 0
		.amdhsa_user_sgpr_flat_scratch_init 0
		.amdhsa_user_sgpr_private_segment_size 0
		.amdhsa_wavefront_size32 1
		.amdhsa_uses_dynamic_stack 0
		.amdhsa_system_sgpr_private_segment_wavefront_offset 1
		.amdhsa_system_sgpr_workgroup_id_x 1
		.amdhsa_system_sgpr_workgroup_id_y 1
		.amdhsa_system_sgpr_workgroup_id_z 1
		.amdhsa_system_sgpr_workgroup_info 0
		.amdhsa_system_vgpr_workitem_id 0
		.amdhsa_next_free_vgpr 128
		.amdhsa_next_free_sgpr 44
		.amdhsa_reserve_vcc 1
		.amdhsa_reserve_flat_scratch 0
		.amdhsa_float_round_mode_32 0
		.amdhsa_float_round_mode_16_64 0
		.amdhsa_float_denorm_mode_32 3
		.amdhsa_float_denorm_mode_16_64 3
		.amdhsa_dx10_clamp 1
		.amdhsa_ieee_mode 1
		.amdhsa_fp16_overflow 0
		.amdhsa_workgroup_processor_mode 1
		.amdhsa_memory_ordered 1
		.amdhsa_forward_progress 1
		.amdhsa_shared_vgpr_count 0
		.amdhsa_exception_fp_ieee_invalid_op 0
		.amdhsa_exception_fp_denorm_src 0
		.amdhsa_exception_fp_ieee_div_zero 0
		.amdhsa_exception_fp_ieee_overflow 0
		.amdhsa_exception_fp_ieee_underflow 0
		.amdhsa_exception_fp_ieee_inexact 0
		.amdhsa_exception_int_div_zero 0
	.end_amdhsa_kernel
	.section	.text._ZN4vllm25paged_attention_v1_kernelIfhLi192ELi32ELi128ELNS_18Fp8KVCacheDataTypeE1ELb1EEEvPT_PKS2_PKT0_S8_ifPKiSA_iPKfiiiSC_SC_iiiii,"axG",@progbits,_ZN4vllm25paged_attention_v1_kernelIfhLi192ELi32ELi128ELNS_18Fp8KVCacheDataTypeE1ELb1EEEvPT_PKS2_PKT0_S8_ifPKiSA_iPKfiiiSC_SC_iiiii,comdat
.Lfunc_end215:
	.size	_ZN4vllm25paged_attention_v1_kernelIfhLi192ELi32ELi128ELNS_18Fp8KVCacheDataTypeE1ELb1EEEvPT_PKS2_PKT0_S8_ifPKiSA_iPKfiiiSC_SC_iiiii, .Lfunc_end215-_ZN4vllm25paged_attention_v1_kernelIfhLi192ELi32ELi128ELNS_18Fp8KVCacheDataTypeE1ELb1EEEvPT_PKS2_PKT0_S8_ifPKiSA_iPKfiiiSC_SC_iiiii
                                        ; -- End function
	.set _ZN4vllm25paged_attention_v1_kernelIfhLi192ELi32ELi128ELNS_18Fp8KVCacheDataTypeE1ELb1EEEvPT_PKS2_PKT0_S8_ifPKiSA_iPKfiiiSC_SC_iiiii.num_vgpr, max(32, .L_ZN4vllm22paged_attention_kernelIfhLi192ELi32ELi128ELNS_18Fp8KVCacheDataTypeE1ELb1ELi0EEEvPfS2_PT_PKS3_PKT0_S9_ifPKiSB_iPKfiiiSD_SD_iiiii.num_vgpr)
	.set _ZN4vllm25paged_attention_v1_kernelIfhLi192ELi32ELi128ELNS_18Fp8KVCacheDataTypeE1ELb1EEEvPT_PKS2_PKT0_S8_ifPKiSA_iPKfiiiSC_SC_iiiii.num_agpr, max(0, .L_ZN4vllm22paged_attention_kernelIfhLi192ELi32ELi128ELNS_18Fp8KVCacheDataTypeE1ELb1ELi0EEEvPfS2_PT_PKS3_PKT0_S9_ifPKiSB_iPKfiiiSD_SD_iiiii.num_agpr)
	.set _ZN4vllm25paged_attention_v1_kernelIfhLi192ELi32ELi128ELNS_18Fp8KVCacheDataTypeE1ELb1EEEvPT_PKS2_PKT0_S8_ifPKiSA_iPKfiiiSC_SC_iiiii.numbered_sgpr, max(44, .L_ZN4vllm22paged_attention_kernelIfhLi192ELi32ELi128ELNS_18Fp8KVCacheDataTypeE1ELb1ELi0EEEvPfS2_PT_PKS3_PKT0_S9_ifPKiSB_iPKfiiiSD_SD_iiiii.numbered_sgpr)
	.set _ZN4vllm25paged_attention_v1_kernelIfhLi192ELi32ELi128ELNS_18Fp8KVCacheDataTypeE1ELb1EEEvPT_PKS2_PKT0_S8_ifPKiSA_iPKfiiiSC_SC_iiiii.num_named_barrier, max(0, .L_ZN4vllm22paged_attention_kernelIfhLi192ELi32ELi128ELNS_18Fp8KVCacheDataTypeE1ELb1ELi0EEEvPfS2_PT_PKS3_PKT0_S9_ifPKiSB_iPKfiiiSD_SD_iiiii.num_named_barrier)
	.set _ZN4vllm25paged_attention_v1_kernelIfhLi192ELi32ELi128ELNS_18Fp8KVCacheDataTypeE1ELb1EEEvPT_PKS2_PKT0_S8_ifPKiSA_iPKfiiiSC_SC_iiiii.private_seg_size, 0+max(.L_ZN4vllm22paged_attention_kernelIfhLi192ELi32ELi128ELNS_18Fp8KVCacheDataTypeE1ELb1ELi0EEEvPfS2_PT_PKS3_PKT0_S9_ifPKiSB_iPKfiiiSD_SD_iiiii.private_seg_size)
	.set _ZN4vllm25paged_attention_v1_kernelIfhLi192ELi32ELi128ELNS_18Fp8KVCacheDataTypeE1ELb1EEEvPT_PKS2_PKT0_S8_ifPKiSA_iPKfiiiSC_SC_iiiii.uses_vcc, or(1, .L_ZN4vllm22paged_attention_kernelIfhLi192ELi32ELi128ELNS_18Fp8KVCacheDataTypeE1ELb1ELi0EEEvPfS2_PT_PKS3_PKT0_S9_ifPKiSB_iPKfiiiSD_SD_iiiii.uses_vcc)
	.set _ZN4vllm25paged_attention_v1_kernelIfhLi192ELi32ELi128ELNS_18Fp8KVCacheDataTypeE1ELb1EEEvPT_PKS2_PKT0_S8_ifPKiSA_iPKfiiiSC_SC_iiiii.uses_flat_scratch, or(0, .L_ZN4vllm22paged_attention_kernelIfhLi192ELi32ELi128ELNS_18Fp8KVCacheDataTypeE1ELb1ELi0EEEvPfS2_PT_PKS3_PKT0_S9_ifPKiSB_iPKfiiiSD_SD_iiiii.uses_flat_scratch)
	.set _ZN4vllm25paged_attention_v1_kernelIfhLi192ELi32ELi128ELNS_18Fp8KVCacheDataTypeE1ELb1EEEvPT_PKS2_PKT0_S8_ifPKiSA_iPKfiiiSC_SC_iiiii.has_dyn_sized_stack, or(0, .L_ZN4vllm22paged_attention_kernelIfhLi192ELi32ELi128ELNS_18Fp8KVCacheDataTypeE1ELb1ELi0EEEvPfS2_PT_PKS3_PKT0_S9_ifPKiSB_iPKfiiiSD_SD_iiiii.has_dyn_sized_stack)
	.set _ZN4vllm25paged_attention_v1_kernelIfhLi192ELi32ELi128ELNS_18Fp8KVCacheDataTypeE1ELb1EEEvPT_PKS2_PKT0_S8_ifPKiSA_iPKfiiiSC_SC_iiiii.has_recursion, or(0, .L_ZN4vllm22paged_attention_kernelIfhLi192ELi32ELi128ELNS_18Fp8KVCacheDataTypeE1ELb1ELi0EEEvPfS2_PT_PKS3_PKT0_S9_ifPKiSB_iPKfiiiSD_SD_iiiii.has_recursion)
	.set _ZN4vllm25paged_attention_v1_kernelIfhLi192ELi32ELi128ELNS_18Fp8KVCacheDataTypeE1ELb1EEEvPT_PKS2_PKT0_S8_ifPKiSA_iPKfiiiSC_SC_iiiii.has_indirect_call, or(0, .L_ZN4vllm22paged_attention_kernelIfhLi192ELi32ELi128ELNS_18Fp8KVCacheDataTypeE1ELb1ELi0EEEvPfS2_PT_PKS3_PKT0_S9_ifPKiSB_iPKfiiiSD_SD_iiiii.has_indirect_call)
	.section	.AMDGPU.csdata,"",@progbits
; Kernel info:
; codeLenInByte = 260
; TotalNumSgprs: 46
; NumVgprs: 128
; ScratchSize: 2452
; MemoryBound: 0
; FloatMode: 240
; IeeeMode: 1
; LDSByteSize: 800 bytes/workgroup (compile time only)
; SGPRBlocks: 0
; VGPRBlocks: 15
; NumSGPRsForWavesPerEU: 46
; NumVGPRsForWavesPerEU: 128
; Occupancy: 8
; WaveLimiterHint : 1
; COMPUTE_PGM_RSRC2:SCRATCH_EN: 1
; COMPUTE_PGM_RSRC2:USER_SGPR: 6
; COMPUTE_PGM_RSRC2:TRAP_HANDLER: 0
; COMPUTE_PGM_RSRC2:TGID_X_EN: 1
; COMPUTE_PGM_RSRC2:TGID_Y_EN: 1
; COMPUTE_PGM_RSRC2:TGID_Z_EN: 1
; COMPUTE_PGM_RSRC2:TIDIG_COMP_CNT: 0
	.text
	.p2align	2                               ; -- Begin function _ZN4vllm22paged_attention_kernelIfhLi256ELi32ELi128ELNS_18Fp8KVCacheDataTypeE1ELb1ELi0EEEvPfS2_PT_PKS3_PKT0_S9_ifPKiSB_iPKfiiiSD_SD_iiiii
	.type	_ZN4vllm22paged_attention_kernelIfhLi256ELi32ELi128ELNS_18Fp8KVCacheDataTypeE1ELb1ELi0EEEvPfS2_PT_PKS3_PKT0_S9_ifPKiSB_iPKfiiiSD_SD_iiiii,@function
_ZN4vllm22paged_attention_kernelIfhLi256ELi32ELi128ELNS_18Fp8KVCacheDataTypeE1ELb1ELi0EEEvPfS2_PT_PKS3_PKT0_S9_ifPKiSB_iPKfiiiSD_SD_iiiii: ; @_ZN4vllm22paged_attention_kernelIfhLi256ELi32ELi128ELNS_18Fp8KVCacheDataTypeE1ELb1ELi0EEEvPfS2_PT_PKS3_PKT0_S9_ifPKiSB_iPKfiiiSD_SD_iiiii
; %bb.0:
	s_waitcnt vmcnt(0) expcnt(0) lgkmcnt(0)
	buffer_store_dword v40, off, s[0:3], s32 offset:188 ; 4-byte Folded Spill
	buffer_store_dword v41, off, s[0:3], s32 offset:184 ; 4-byte Folded Spill
	;; [unrolled: 1-line block ×47, first 2 shown]
	buffer_store_dword v127, off, s[0:3], s32 ; 4-byte Folded Spill
	s_mov_b32 s10, s13
	s_ashr_i32 s11, s13, 31
	buffer_store_dword v22, off, s[0:3], s32 offset:2132 ; 4-byte Folded Spill
	buffer_store_dword v23, off, s[0:3], s32 offset:2136 ; 4-byte Folded Spill
	;; [unrolled: 1-line block ×12, first 2 shown]
	s_lshl_b64 s[6:7], s[10:11], 2
	s_load_dword s5, s[8:9], 0x10
	v_add_co_u32 v0, vcc_lo, v12, s6
	v_add_co_ci_u32_e64 v1, null, s7, v13, vcc_lo
	s_load_dword s6, s[8:9], 0x0
	s_mov_b32 s4, s15
	flat_load_dword v0, v[0:1]
	s_waitcnt lgkmcnt(0)
	s_lshr_b32 s5, s5, 16
	s_cmp_lg_u32 s5, 0
	s_cselect_b32 s5, -1, 0
	s_cmp_lg_u32 s5, 0
	s_addc_u32 s11, s6, 0
	s_mov_b32 s6, exec_lo
	s_abs_i32 s5, s11
	s_waitcnt vmcnt(0)
	buffer_store_dword v0, off, s[0:3], s32 offset:1852 ; 4-byte Folded Spill
	v_sub_nc_u32_e32 v0, 0, v8
	v_max_i32_e32 v0, v8, v0
	v_cvt_f32_u32_e32 v1, v0
	v_sub_nc_u32_e32 v6, 0, v0
	v_rcp_iflag_f32_e32 v1, v1
	v_mul_f32_e32 v1, 0x4f7ffffe, v1
	v_cvt_u32_f32_e32 v1, v1
	v_mul_lo_u32 v6, v6, v1
	v_mul_hi_u32 v6, v1, v6
	v_add_nc_u32_e32 v1, v1, v6
	v_mul_hi_u32 v1, s5, v1
	v_mul_lo_u32 v6, v1, v0
	v_add_nc_u32_e32 v7, 1, v1
	v_sub_nc_u32_e32 v6, s5, v6
	s_abs_i32 s5, s12
	v_sub_nc_u32_e32 v9, v6, v0
	v_cmp_ge_u32_e32 vcc_lo, v6, v0
	v_cndmask_b32_e32 v1, v1, v7, vcc_lo
	v_cndmask_b32_e32 v6, v6, v9, vcc_lo
	v_xor_b32_e32 v7, s11, v8
	v_add_nc_u32_e32 v9, 1, v1
	v_cmp_ge_u32_e32 vcc_lo, v6, v0
	v_ashrrev_i32_e32 v7, 31, v7
	v_cndmask_b32_e32 v0, v1, v9, vcc_lo
	v_xor_b32_e32 v0, v0, v7
	v_sub_nc_u32_e32 v7, v0, v7
	v_sub_nc_u32_e32 v0, 0, v7
	v_max_i32_e32 v6, v7, v0
	v_cvt_f32_u32_e32 v0, v6
	v_sub_nc_u32_e32 v1, 0, v6
	v_rcp_iflag_f32_e32 v0, v0
	v_mul_f32_e32 v0, 0x4f7ffffe, v0
	v_cvt_u32_f32_e32 v0, v0
	v_mul_lo_u32 v1, v1, v0
	v_mul_hi_u32 v1, v0, v1
	v_add_nc_u32_e32 v0, v0, v1
	v_mad_u64_u32 v[0:1], null, s5, v0, 0
	v_mov_b32_e32 v0, 0
	buffer_store_dword v0, off, s[0:3], s32 offset:2128 ; 4-byte Folded Spill
	v_cmpx_ne_u64_e32 0, v[15:16]
	s_cbranch_execz .LBB216_2
; %bb.1:
	s_ashr_i32 s13, s12, 31
	s_lshl_b64 s[16:17], s[12:13], 2
	v_add_co_u32 v9, vcc_lo, v15, s16
	v_add_co_ci_u32_e64 v10, null, s17, v16, vcc_lo
	flat_load_dword v0, v[9:10]
	s_waitcnt vmcnt(0) lgkmcnt(0)
	buffer_store_dword v0, off, s[0:3], s32 offset:2128 ; 4-byte Folded Spill
.LBB216_2:
	s_or_b32 exec_lo, exec_lo, s6
	v_and_b32_e32 v9, 0x3ff, v31
	v_ashrrev_i32_e32 v0, 31, v7
	s_ashr_i32 s6, s12, 31
	s_lshl_b32 s16, s12, 8
	s_mov_b32 s7, exec_lo
	buffer_store_dword v9, off, s[0:3], s32 offset:2124 ; 4-byte Folded Spill
	v_cmpx_gt_u32_e32 64, v9
	s_cbranch_execz .LBB216_4
; %bb.3:
	buffer_load_dword v7, off, s[0:3], s32 offset:2124 ; 4-byte Folded Reload
	v_mul_lo_u32 v9, v17, s10
	s_ashr_i32 s17, s16, 31
	s_lshl_b64 s[18:19], s[16:17], 2
	v_ashrrev_i32_e32 v10, 31, v9
	v_lshlrev_b64 v[9:10], 2, v[9:10]
	v_add_co_u32 v2, vcc_lo, v2, v9
	v_add_co_ci_u32_e64 v3, null, v3, v10, vcc_lo
	v_add_co_u32 v2, vcc_lo, v2, s18
	v_add_co_ci_u32_e64 v3, null, s19, v3, vcc_lo
	s_waitcnt vmcnt(0)
	v_lshlrev_b32_e32 v7, 4, v7
	v_add_co_u32 v2, vcc_lo, v2, v7
	v_add_co_ci_u32_e64 v3, null, 0, v3, vcc_lo
	flat_load_dwordx4 v[9:12], v[2:3]
	s_waitcnt vmcnt(0) lgkmcnt(0)
	ds_write_b128 v7, v[9:12]
.LBB216_4:
	s_or_b32 exec_lo, exec_lo, s7
	v_mul_lo_u32 v3, v1, v6
	v_sub_nc_u32_e32 v2, 0, v27
	v_xor_b32_e32 v12, s6, v0
	v_max_i32_e32 v10, v27, v2
	v_sub_nc_u32_e32 v7, s5, v3
	v_add_nc_u32_e32 v3, 1, v1
	s_mov_b32 s5, exec_lo
	v_cvt_f32_u32_e32 v2, v10
	buffer_store_dword v10, off, s[0:3], s32 offset:216 ; 4-byte Folded Spill
	v_cmp_ge_u32_e32 vcc_lo, v7, v6
	v_rcp_iflag_f32_e32 v2, v2
	v_cndmask_b32_e32 v1, v1, v3, vcc_lo
	buffer_load_dword v3, off, s[0:3], s32 offset:1852 ; 4-byte Folded Reload
	v_mul_f32_e32 v2, 0x4f7ffffe, v2
	v_cvt_u32_f32_e32 v9, v2
	v_sub_nc_u32_e32 v2, 0, v10
	v_sub_nc_u32_e32 v10, v7, v6
	v_mul_lo_u32 v2, v2, v9
	v_cndmask_b32_e32 v7, v7, v10, vcc_lo
	v_add_nc_u32_e32 v10, 1, v1
	v_cmp_ge_u32_e32 vcc_lo, v7, v6
	v_mul_hi_u32 v11, v9, v2
	v_cndmask_b32_e32 v0, v1, v10, vcc_lo
	v_xor_b32_e32 v6, v0, v12
	v_add_nc_u32_e32 v1, v9, v11
	buffer_store_dword v1, off, s[0:3], s32 offset:232 ; 4-byte Folded Spill
	s_waitcnt vmcnt(0) lgkmcnt(0)
	s_waitcnt_vscnt null, 0x0
	s_barrier
	buffer_gl0_inv
	v_add_nc_u32_e32 v3, -1, v3
	v_sub_nc_u32_e32 v2, 0, v3
	v_max_i32_e32 v2, v3, v2
	v_mad_u64_u32 v[0:1], null, v2, v1, 0
	v_sub_nc_u32_e32 v0, v6, v12
                                        ; implicit-def: $vgpr6
	buffer_store_dword v6, off, s[0:3], s32 offset:220 ; 4-byte Folded Spill
	buffer_store_dword v7, off, s[0:3], s32 offset:224 ; 4-byte Folded Spill
	v_cmpx_gt_i32_e32 0, v28
	s_xor_b32 s5, exec_lo, s5
	s_cbranch_execz .LBB216_6
; %bb.5:
	v_mad_u64_u32 v[6:7], null, v24, v8, v[0:1]
                                        ; implicit-def: $vgpr24
	v_mul_lo_u32 v6, v6, v28
                                        ; implicit-def: $vgpr28
	v_sub_nc_u32_e32 v6, 1, v6
	buffer_store_dword v6, off, s[0:3], s32 offset:220 ; 4-byte Folded Spill
	buffer_store_dword v7, off, s[0:3], s32 offset:224 ; 4-byte Folded Spill
.LBB216_6:
	s_or_saveexec_b32 s5, s5
	v_ashrrev_i32_e32 v3, 31, v3
	v_ashrrev_i32_e32 v6, 31, v27
	buffer_store_dword v6, off, s[0:3], s32 offset:228 ; 4-byte Folded Spill
	s_xor_b32 exec_lo, exec_lo, s5
	s_cbranch_execz .LBB216_8
; %bb.7:
	v_mad_u64_u32 v[6:7], null, s11, v24, s[12:13]
	v_mad_u64_u32 v[6:7], null, v6, v28, 1
	buffer_store_dword v6, off, s[0:3], s32 offset:220 ; 4-byte Folded Spill
	buffer_store_dword v7, off, s[0:3], s32 offset:224 ; 4-byte Folded Spill
.LBB216_8:
	s_or_b32 exec_lo, exec_lo, s5
	buffer_load_dword v13, off, s[0:3], s32 offset:216 ; 4-byte Folded Reload
	s_clause 0x1
	s_load_dword s7, s[8:9], 0x14
	s_load_dword s9, s[8:9], 0x8
	s_clause 0x1
	buffer_load_dword v8, off, s[0:3], s32 offset:228
	buffer_load_dword v10, off, s[0:3], s32 offset:2124
	v_add_nc_u32_e32 v7, 1, v1
	s_ashr_i32 s5, s4, 31
	s_getpc_b64 s[12:13]
	s_add_u32 s12, s12, llvm.amdgcn.dynlds.offset.table@rel32@lo+4
	s_addc_u32 s13, s13, llvm.amdgcn.dynlds.offset.table@rel32@hi+12
	v_mov_b32_e32 v71, 0xff7fffff
	s_lshl_b64 s[18:19], s[4:5], 2
	s_add_u32 s12, s12, s18
	s_addc_u32 s13, s13, s19
	s_waitcnt vmcnt(2)
	v_mul_lo_u32 v6, v1, v13
	s_waitcnt vmcnt(1)
	v_xor_b32_e32 v8, v3, v8
	buffer_load_dword v3, off, s[0:3], s32 offset:1852 ; 4-byte Folded Reload
	s_waitcnt vmcnt(1)
	v_lshrrev_b32_e32 v11, 5, v10
	v_and_b32_e32 v12, 31, v10
	v_sub_nc_u32_e32 v6, v2, v6
	v_mul_lo_u32 v2, v14, s10
	buffer_store_dword v12, off, s[0:3], s32 offset:2120 ; 4-byte Folded Spill
	v_lshlrev_b32_e32 v12, 2, v12
	v_sub_nc_u32_e32 v9, v6, v13
	v_cmp_ge_u32_e32 vcc_lo, v6, v13
	v_cndmask_b32_e32 v1, v1, v7, vcc_lo
	v_cndmask_b32_e32 v6, v6, v9, vcc_lo
	v_add_nc_u32_e32 v9, 1, v1
	v_cmp_ge_u32_e32 vcc_lo, v6, v13
	v_cndmask_b32_e32 v1, v1, v9, vcc_lo
	v_mul_lo_u32 v9, v0, v19
	v_sub_nc_u32_e32 v0, 0, v26
	v_xor_b32_e32 v1, v1, v8
	buffer_store_dword v0, off, s[0:3], s32 offset:3232 ; 4-byte Folded Spill
	buffer_store_dword v9, off, s[0:3], s32 offset:3208 ; 4-byte Folded Spill
	s_waitcnt vmcnt(0)
	v_add_nc_u32_e32 v3, 31, v3
	v_ashrrev_i32_e32 v7, 31, v3
	v_lshrrev_b32_e32 v7, 27, v7
	v_add_nc_u32_e32 v0, v3, v7
	v_lshlrev_b32_e32 v3, 5, v11
	v_ashrrev_i32_e32 v6, 5, v0
	buffer_store_dword v3, off, s[0:3], s32 offset:204 ; 4-byte Folded Spill
	v_ashrrev_i32_e32 v3, 31, v2
	v_sub_nc_u32_e32 v0, v1, v8
	v_ashrrev_i32_e32 v1, 31, v9
	v_cmp_lt_i32_e64 s4, v11, v6
	v_sub_nc_u32_e32 v0, v0, v25
	buffer_store_dword v1, off, s[0:3], s32 offset:3216 ; 4-byte Folded Spill
	v_lshlrev_b64 v[1:2], 2, v[2:3]
	buffer_store_dword v1, off, s[0:3], s32 offset:3200 ; 4-byte Folded Spill
	buffer_store_dword v2, off, s[0:3], s32 offset:3204 ; 4-byte Folded Spill
	;; [unrolled: 1-line block ×5, first 2 shown]
	v_lshrrev_b32_e32 v0, 3, v10
	buffer_store_dword v0, off, s[0:3], s32 offset:3212 ; 4-byte Folded Spill
	s_mov_b32 s8, exec_lo
	s_and_b32 s5, s8, s4
	buffer_store_dword v26, off, s[0:3], s32 offset:3220 ; 4-byte Folded Spill
	s_mov_b32 exec_lo, s5
	s_cbranch_execz .LBB216_2064
; %bb.9:
	s_clause 0x1
	buffer_load_dword v1, off, s[0:3], s32 offset:3208
	buffer_load_dword v2, off, s[0:3], s32 offset:3216
	v_sub_nc_u32_e32 v0, 0, v26
	v_mov_b32_e32 v8, 0x7f800001
	v_mov_b32_e32 v11, 0
	s_load_dword s15, s[12:13], 0x0
	buffer_store_dword v12, off, s[0:3], s32 offset:3244 ; 4-byte Folded Spill
	v_max_i32_e32 v6, v26, v0
	v_bfrev_b32_e32 v116, 1
	v_mov_b32_e32 v71, 0xff7fffff
	s_mov_b32 s17, 0
	buffer_load_dword v7, off, s[0:3], s32 offset:3188 ; 4-byte Folded Reload
	buffer_store_dword v6, off, s[0:3], s32 offset:1860 ; 4-byte Folded Spill
	v_cvt_f32_u32_e32 v0, v6
	v_sub_nc_u32_e32 v6, 0, v6
	v_rcp_iflag_f32_e32 v0, v0
	v_mul_f32_e32 v0, 0x4f7ffffe, v0
	v_cvt_u32_f32_e32 v0, v0
	v_mul_lo_u32 v6, v6, v0
	s_waitcnt vmcnt(2)
	v_add_co_u32 v1, vcc_lo, v4, v1
	s_waitcnt vmcnt(1)
	v_add_co_ci_u32_e64 v2, null, v5, v2, vcc_lo
	s_clause 0x1
	buffer_load_dword v4, off, s[0:3], s32 offset:2120
	buffer_load_dword v5, off, s[0:3], s32 offset:2128
	s_waitcnt vmcnt(2)
	v_lshlrev_b32_e32 v37, 5, v7
	v_lshl_or_b32 v51, v7, 7, v12
	s_waitcnt vmcnt(0)
	v_cmp_neq_f32_e32 vcc_lo, 0, v5
	buffer_load_dword v5, off, s[0:3], s32 offset:1852 ; 4-byte Folded Reload
	v_lshlrev_b32_e32 v3, 4, v4
	v_add_co_u32 v1, s5, v1, v3
	v_add_co_ci_u32_e64 v2, null, 0, v2, s5
	s_waitcnt vmcnt(0)
	v_sub_nc_u32_e32 v4, v4, v5
	buffer_load_dword v5, off, s[0:3], s32 offset:3212 ; 4-byte Folded Reload
	buffer_store_dword v7, off, s[0:3], s32 offset:192 ; 4-byte Folded Spill
	buffer_store_dword v8, off, s[0:3], s32 offset:196 ; 4-byte Folded Spill
	;; [unrolled: 1-line block ×4, first 2 shown]
	ds_read_b128 v[12:15], v11
	v_add_nc_u32_e32 v4, 1, v4
	v_mul_hi_u32 v1, v0, v6
	s_waitcnt lgkmcnt(0)
	buffer_store_dword v12, off, s[0:3], s32 offset:2160 ; 4-byte Folded Spill
	buffer_store_dword v13, off, s[0:3], s32 offset:2164 ; 4-byte Folded Spill
	;; [unrolled: 1-line block ×4, first 2 shown]
	ds_read_b128 v[12:15], v11 offset:16
	v_add_nc_u32_e32 v0, v0, v1
	s_waitcnt lgkmcnt(0)
	buffer_store_dword v12, off, s[0:3], s32 offset:2176 ; 4-byte Folded Spill
	buffer_store_dword v13, off, s[0:3], s32 offset:2180 ; 4-byte Folded Spill
	buffer_store_dword v14, off, s[0:3], s32 offset:2184 ; 4-byte Folded Spill
	buffer_store_dword v15, off, s[0:3], s32 offset:2188 ; 4-byte Folded Spill
	ds_read_b128 v[12:15], v11 offset:32
	s_waitcnt lgkmcnt(0)
	buffer_store_dword v12, off, s[0:3], s32 offset:2192 ; 4-byte Folded Spill
	buffer_store_dword v13, off, s[0:3], s32 offset:2196 ; 4-byte Folded Spill
	buffer_store_dword v14, off, s[0:3], s32 offset:2200 ; 4-byte Folded Spill
	buffer_store_dword v15, off, s[0:3], s32 offset:2204 ; 4-byte Folded Spill
	ds_read_b128 v[12:15], v11 offset:48
	;; [unrolled: 6-line block ×4, first 2 shown]
	s_waitcnt lgkmcnt(0)
	buffer_store_dword v12, off, s[0:3], s32 offset:2240 ; 4-byte Folded Spill
	buffer_store_dword v13, off, s[0:3], s32 offset:2244 ; 4-byte Folded Spill
	;; [unrolled: 1-line block ×4, first 2 shown]
	s_clause 0x1
	buffer_load_dword v2, off, s[0:3], s32 offset:3200
	buffer_load_dword v3, off, s[0:3], s32 offset:3204
	buffer_store_dword v4, off, s[0:3], s32 offset:2256 ; 4-byte Folded Spill
	buffer_load_dword v4, off, s[0:3], s32 offset:3196 ; 4-byte Folded Reload
	s_waitcnt vmcnt(3)
	v_and_b32_e32 v5, 0x7c, v5
	s_waitcnt vmcnt(2)
	v_add_co_u32 v2, s5, v5, v2
	s_waitcnt vmcnt(1)
	v_add_co_ci_u32_e64 v3, null, 0, v3, s5
	s_waitcnt vmcnt(0)
	v_add_co_u32 v4, s5, v4, v2
	buffer_load_dword v2, off, s[0:3], s32 offset:3192 ; 4-byte Folded Reload
	s_waitcnt vmcnt(0)
	v_add_co_ci_u32_e64 v5, null, v2, v3, s5
	buffer_store_dword v4, off, s[0:3], s32 offset:208 ; 4-byte Folded Spill
	buffer_store_dword v5, off, s[0:3], s32 offset:212 ; 4-byte Folded Spill
	buffer_store_dword v0, off, s[0:3], s32 offset:1864 ; 4-byte Folded Spill
	ds_read_b128 v[0:3], v11 offset:96
	s_waitcnt lgkmcnt(0)
	buffer_store_dword v0, off, s[0:3], s32 offset:2260 ; 4-byte Folded Spill
	buffer_store_dword v1, off, s[0:3], s32 offset:2264 ; 4-byte Folded Spill
	buffer_store_dword v2, off, s[0:3], s32 offset:2268 ; 4-byte Folded Spill
	buffer_store_dword v3, off, s[0:3], s32 offset:2272 ; 4-byte Folded Spill
	ds_read_b128 v[0:3], v11 offset:112
	s_waitcnt lgkmcnt(0)
	buffer_store_dword v0, off, s[0:3], s32 offset:2276 ; 4-byte Folded Spill
	;; [unrolled: 6-line block ×58, first 2 shown]
	buffer_store_dword v1, off, s[0:3], s32 offset:3176 ; 4-byte Folded Spill
	buffer_store_dword v2, off, s[0:3], s32 offset:3180 ; 4-byte Folded Spill
	;; [unrolled: 1-line block ×3, first 2 shown]
	s_branch .LBB216_15
.LBB216_10:                             ;   in Loop: Header=BB216_15 Depth=1
	s_or_b32 exec_lo, exec_lo, s21
	v_mov_b32_e32 v4, 24
	v_lshlrev_b32_e32 v38, 20, v84
	v_lshl_add_u32 v36, v36, 23, 0x3c000000
	v_lshlrev_b32_sdwa v10, v4, v40 dst_sel:DWORD dst_unused:UNUSED_PAD src0_sel:DWORD src1_sel:BYTE_3
	v_mov_b32_e32 v4, v11
	v_and_b32_e32 v10, 0x80000000, v10
	v_or3_b32 v5, v38, v10, v36
.LBB216_11:                             ;   in Loop: Header=BB216_15 Depth=1
	s_or_b32 exec_lo, exec_lo, s20
.LBB216_12:                             ;   in Loop: Header=BB216_15 Depth=1
	s_or_b32 exec_lo, exec_lo, s19
.LBB216_13:                             ;   in Loop: Header=BB216_15 Depth=1
	s_or_b32 exec_lo, exec_lo, s18
	v_or_b32_e32 v0, v0, v62
	v_or_b32_e32 v10, v119, v113
	;; [unrolled: 1-line block ×3, first 2 shown]
	buffer_store_dword v0, off, s[0:3], s32 offset:1904 ; 4-byte Folded Spill
	v_or_b32_e32 v0, v89, v19
	buffer_store_dword v10, off, s[0:3], s32 offset:1900 ; 4-byte Folded Spill
	v_or_b32_e32 v10, v118, v112
	buffer_store_dword v1, off, s[0:3], s32 offset:1896 ; 4-byte Folded Spill
	buffer_store_dword v0, off, s[0:3], s32 offset:1916 ; 4-byte Folded Spill
	v_or_b32_e32 v0, v88, v18
	buffer_store_dword v10, off, s[0:3], s32 offset:1908 ; 4-byte Folded Spill
	;; [unrolled: 3-line block ×3, first 2 shown]
	v_or_b32_e32 v0, v47, v110
	buffer_store_dword v0, off, s[0:3], s32 offset:1920 ; 4-byte Folded Spill
	v_or_b32_e32 v0, v13, v123
	buffer_store_dword v0, off, s[0:3], s32 offset:1932 ; 4-byte Folded Spill
	;; [unrolled: 2-line block ×41, first 2 shown]
	s_clause 0x3
	buffer_load_dword v0, off, s[0:3], s32 offset:1828
	buffer_load_dword v1, off, s[0:3], s32 offset:1832
	;; [unrolled: 1-line block ×4, first 2 shown]
	s_waitcnt vmcnt(1)
	v_or_b32_e32 v0, v6, v0
	s_waitcnt vmcnt(0)
	v_or_b32_e32 v1, v7, v1
	buffer_store_dword v0, off, s[0:3], s32 offset:2096 ; 4-byte Folded Spill
	buffer_store_dword v1, off, s[0:3], s32 offset:2092 ; 4-byte Folded Spill
	s_clause 0x1
	buffer_load_dword v0, off, s[0:3], s32 offset:1844
	buffer_load_dword v1, off, s[0:3], s32 offset:1848
	s_waitcnt vmcnt(1)
	v_or_b32_e32 v0, v124, v0
	s_waitcnt vmcnt(0)
	v_or_b32_e32 v1, v125, v1
	buffer_store_dword v0, off, s[0:3], s32 offset:1836 ; 4-byte Folded Spill
	buffer_store_dword v1, off, s[0:3], s32 offset:1828 ; 4-byte Folded Spill
	s_clause 0x3
	buffer_load_dword v0, off, s[0:3], s32 offset:1796
	buffer_load_dword v1, off, s[0:3], s32 offset:1800
	buffer_load_dword v6, off, s[0:3], s32 offset:1804
	buffer_load_dword v7, off, s[0:3], s32 offset:1808
	s_waitcnt vmcnt(1)
	v_or_b32_e32 v0, v6, v0
	s_waitcnt vmcnt(0)
	v_or_b32_e32 v1, v7, v1
	buffer_store_dword v0, off, s[0:3], s32 offset:2100 ; 4-byte Folded Spill
	buffer_store_dword v1, off, s[0:3], s32 offset:1844 ; 4-byte Folded Spill
	s_clause 0x3
	buffer_load_dword v0, off, s[0:3], s32 offset:1812
	buffer_load_dword v1, off, s[0:3], s32 offset:1816
	;; [unrolled: 11-line block ×41, first 2 shown]
	buffer_load_dword v6, off, s[0:3], s32 offset:1164
	buffer_load_dword v7, off, s[0:3], s32 offset:1168
	s_waitcnt vmcnt(1)
	v_or_b32_e32 v120, v6, v0
	s_waitcnt vmcnt(0)
	v_or_b32_e32 v1, v7, v1
	buffer_store_dword v1, off, s[0:3], s32 offset:1204 ; 4-byte Folded Spill
	s_clause 0x3
	buffer_load_dword v0, off, s[0:3], s32 offset:1172
	buffer_load_dword v1, off, s[0:3], s32 offset:1176
	;; [unrolled: 1-line block ×4, first 2 shown]
	s_waitcnt vmcnt(1)
	v_or_b32_e32 v0, v0, v6
	s_waitcnt vmcnt(0)
	v_or_b32_e32 v1, v1, v7
	buffer_store_dword v0, off, s[0:3], s32 offset:1164 ; 4-byte Folded Spill
	buffer_store_dword v1, off, s[0:3], s32 offset:1156 ; 4-byte Folded Spill
	s_clause 0x3
	buffer_load_dword v0, off, s[0:3], s32 offset:1124
	buffer_load_dword v1, off, s[0:3], s32 offset:1128
	buffer_load_dword v6, off, s[0:3], s32 offset:1132
	buffer_load_dword v7, off, s[0:3], s32 offset:1136
	s_waitcnt vmcnt(1)
	v_or_b32_e32 v104, v6, v0
	s_waitcnt vmcnt(0)
	v_or_b32_e32 v108, v7, v1
	s_clause 0x3
	buffer_load_dword v0, off, s[0:3], s32 offset:1140
	buffer_load_dword v1, off, s[0:3], s32 offset:1144
	buffer_load_dword v6, off, s[0:3], s32 offset:1148
	buffer_load_dword v7, off, s[0:3], s32 offset:1152
	s_waitcnt vmcnt(1)
	v_or_b32_e32 v106, v0, v6
	s_waitcnt vmcnt(0)
	v_or_b32_e32 v110, v1, v7
	;; [unrolled: 9-line block ×13, first 2 shown]
	buffer_store_dword v0, off, s[0:3], s32 offset:932 ; 4-byte Folded Spill
	s_clause 0x3
	buffer_load_dword v0, off, s[0:3], s32 offset:948
	buffer_load_dword v1, off, s[0:3], s32 offset:952
	buffer_load_dword v6, off, s[0:3], s32 offset:956
	buffer_load_dword v7, off, s[0:3], s32 offset:960
	s_waitcnt vmcnt(1)
	v_or_b32_e32 v98, v0, v6
	s_waitcnt vmcnt(0)
	v_or_b32_e32 v112, v1, v7
	s_clause 0x3
	buffer_load_dword v0, off, s[0:3], s32 offset:900
	buffer_load_dword v1, off, s[0:3], s32 offset:904
	;; [unrolled: 1-line block ×4, first 2 shown]
	s_waitcnt vmcnt(1)
	v_or_b32_e32 v70, v6, v0
	s_waitcnt vmcnt(0)
	v_or_b32_e32 v1, v7, v1
	buffer_store_dword v1, off, s[0:3], s32 offset:940 ; 4-byte Folded Spill
	s_clause 0x3
	buffer_load_dword v0, off, s[0:3], s32 offset:916
	buffer_load_dword v1, off, s[0:3], s32 offset:920
	buffer_load_dword v6, off, s[0:3], s32 offset:924
	buffer_load_dword v7, off, s[0:3], s32 offset:928
	s_waitcnt vmcnt(1)
	v_or_b32_e32 v86, v0, v6
	s_waitcnt vmcnt(0)
	v_or_b32_e32 v96, v1, v7
	s_clause 0x3
	buffer_load_dword v0, off, s[0:3], s32 offset:868
	buffer_load_dword v1, off, s[0:3], s32 offset:872
	buffer_load_dword v6, off, s[0:3], s32 offset:876
	buffer_load_dword v7, off, s[0:3], s32 offset:880
	s_waitcnt vmcnt(1)
	v_or_b32_e32 v52, v6, v0
	s_waitcnt vmcnt(0)
	v_or_b32_e32 v54, v7, v1
	;; [unrolled: 9-line block ×34, first 2 shown]
	s_clause 0x3
	buffer_load_dword v0, off, s[0:3], s32 offset:372
	buffer_load_dword v1, off, s[0:3], s32 offset:376
	buffer_load_dword v6, off, s[0:3], s32 offset:380
	buffer_load_dword v7, off, s[0:3], s32 offset:384
	v_mul_f32_e32 v29, v78, v29
	s_waitcnt vmcnt(1)
	v_or_b32_e32 v97, v0, v6
	s_waitcnt vmcnt(0)
	v_or_b32_e32 v9, v1, v7
	s_clause 0x3
	buffer_load_dword v0, off, s[0:3], s32 offset:324
	buffer_load_dword v1, off, s[0:3], s32 offset:328
	buffer_load_dword v6, off, s[0:3], s32 offset:332
	buffer_load_dword v7, off, s[0:3], s32 offset:336
	v_mul_f32_e32 v9, v78, v9
	s_waitcnt vmcnt(1)
	v_or_b32_e32 v87, v6, v0
	s_waitcnt vmcnt(0)
	v_or_b32_e32 v31, v7, v1
	;; [unrolled: 10-line block ×3, first 2 shown]
	s_clause 0x3
	buffer_load_dword v0, off, s[0:3], s32 offset:292
	buffer_load_dword v1, off, s[0:3], s32 offset:296
	buffer_load_dword v6, off, s[0:3], s32 offset:300
	buffer_load_dword v7, off, s[0:3], s32 offset:304
	s_waitcnt vmcnt(1)
	v_or_b32_e32 v89, v6, v0
	s_waitcnt vmcnt(0)
	v_or_b32_e32 v119, v7, v1
	s_clause 0x3
	buffer_load_dword v0, off, s[0:3], s32 offset:308
	buffer_load_dword v1, off, s[0:3], s32 offset:312
	buffer_load_dword v6, off, s[0:3], s32 offset:316
	buffer_load_dword v7, off, s[0:3], s32 offset:320
	s_waitcnt vmcnt(1)
	v_or_b32_e32 v45, v0, v6
	s_waitcnt vmcnt(0)
	v_or_b32_e32 v50, v1, v7
	;; [unrolled: 9-line block ×3, first 2 shown]
	s_clause 0x3
	buffer_load_dword v0, off, s[0:3], s32 offset:276
	buffer_load_dword v1, off, s[0:3], s32 offset:280
	;; [unrolled: 1-line block ×4, first 2 shown]
	v_mul_f32_e32 v67, v78, v100
	s_waitcnt vmcnt(1)
	v_or_b32_e32 v101, v0, v6
	s_waitcnt vmcnt(0)
	v_or_b32_e32 v47, v1, v7
	s_clause 0x3
	buffer_load_dword v0, off, s[0:3], s32 offset:1880
	buffer_load_dword v1, off, s[0:3], s32 offset:1884
	;; [unrolled: 1-line block ×4, first 2 shown]
	s_waitcnt vmcnt(1)
	v_or_b32_e32 v34, v6, v0
	s_waitcnt vmcnt(0)
	v_or_b32_e32 v126, v7, v1
	s_clause 0x3
	buffer_load_dword v0, off, s[0:3], s32 offset:244
	buffer_load_dword v1, off, s[0:3], s32 offset:248
	;; [unrolled: 1-line block ×4, first 2 shown]
	v_mul_f32_e32 v34, v78, v34
	s_waitcnt vmcnt(1)
	v_or_b32_e32 v123, v0, v6
	s_waitcnt vmcnt(0)
	v_or_b32_e32 v122, v1, v7
	s_clause 0x3
	buffer_load_dword v0, off, s[0:3], s32 offset:2104
	buffer_load_dword v1, off, s[0:3], s32 offset:2108
	;; [unrolled: 1-line block ×4, first 2 shown]
	s_waitcnt vmcnt(1)
	v_or_b32_e32 v0, v6, v0
	s_waitcnt vmcnt(0)
	v_or_b32_e32 v1, v7, v1
	buffer_store_dword v0, off, s[0:3], s32 offset:268 ; 4-byte Folded Spill
	v_or_b32_e32 v0, v5, v3
	buffer_store_dword v1, off, s[0:3], s32 offset:252 ; 4-byte Folded Spill
	buffer_store_dword v0, off, s[0:3], s32 offset:244 ; 4-byte Folded Spill
	v_or_b32_e32 v0, v4, v2
	buffer_store_dword v0, off, s[0:3], s32 offset:260 ; 4-byte Folded Spill
	s_clause 0x7
	buffer_load_dword v4, off, s[0:3], s32 offset:2176
	buffer_load_dword v5, off, s[0:3], s32 offset:2180
	;; [unrolled: 1-line block ×8, first 2 shown]
	s_waitcnt vmcnt(7)
	v_mul_f32_e32 v85, v4, v67
	v_mul_f32_e32 v67, v78, v126
	s_waitcnt vmcnt(3)
	v_fmac_f32_e32 v85, v0, v34
	v_mul_f32_e32 v34, v78, v61
	v_mul_f32_e32 v100, v5, v34
	v_mul_f32_e32 v34, v78, v101
	s_waitcnt vmcnt(2)
	v_fmac_f32_e32 v100, v1, v67
	v_mul_f32_e32 v67, v78, v123
	;; [unrolled: 5-line block ×3, first 2 shown]
	v_mul_f32_e32 v61, v7, v34
	v_mul_f32_e32 v34, v78, v89
	s_waitcnt vmcnt(0)
	v_fmac_f32_e32 v61, v3, v67
	s_clause 0x3
	buffer_load_dword v0, off, s[0:3], s32 offset:2192
	buffer_load_dword v1, off, s[0:3], s32 offset:2196
	;; [unrolled: 1-line block ×4, first 2 shown]
	s_waitcnt vmcnt(3)
	v_fmac_f32_e32 v85, v0, v34
	v_mul_f32_e32 v34, v78, v119
	s_waitcnt vmcnt(2)
	v_fmac_f32_e32 v100, v1, v34
	v_mul_f32_e32 v34, v78, v45
	;; [unrolled: 3-line block ×3, first 2 shown]
	s_waitcnt vmcnt(0)
	v_fmac_f32_e32 v61, v3, v34
	s_clause 0x3
	buffer_load_dword v0, off, s[0:3], s32 offset:2208
	buffer_load_dword v1, off, s[0:3], s32 offset:2212
	;; [unrolled: 1-line block ×4, first 2 shown]
	v_mul_f32_e32 v34, v78, v87
	s_waitcnt vmcnt(3)
	v_fmac_f32_e32 v85, v0, v34
	s_waitcnt vmcnt(2)
	v_fmac_f32_e32 v100, v1, v31
	v_mul_f32_e32 v31, v78, v51
	s_waitcnt vmcnt(1)
	v_fmac_f32_e32 v101, v2, v31
	v_mul_f32_e32 v31, v78, v111
	s_waitcnt vmcnt(0)
	v_fmac_f32_e32 v61, v3, v31
	s_clause 0x3
	buffer_load_dword v0, off, s[0:3], s32 offset:2224
	buffer_load_dword v1, off, s[0:3], s32 offset:2228
	;; [unrolled: 1-line block ×4, first 2 shown]
	s_waitcnt vmcnt(3)
	v_fmac_f32_e32 v85, v0, v29
	v_mul_f32_e32 v29, v78, v121
	s_waitcnt vmcnt(0)
	v_fmac_f32_e32 v61, v3, v9
	v_mul_f32_e32 v9, v78, v107
	v_fmac_f32_e32 v100, v1, v29
	v_mul_f32_e32 v29, v78, v97
	v_fmac_f32_e32 v101, v2, v29
	s_clause 0x3
	buffer_load_dword v0, off, s[0:3], s32 offset:2240
	buffer_load_dword v1, off, s[0:3], s32 offset:2244
	buffer_load_dword v2, off, s[0:3], s32 offset:2248
	buffer_load_dword v3, off, s[0:3], s32 offset:2252
	s_waitcnt vmcnt(3)
	v_fmac_f32_e32 v85, v0, v9
	v_mul_f32_e32 v9, v78, v59
	s_waitcnt vmcnt(2)
	v_fmac_f32_e32 v100, v1, v9
	v_mul_f32_e32 v9, v78, v17
	;; [unrolled: 3-line block ×3, first 2 shown]
	s_waitcnt vmcnt(0)
	v_fmac_f32_e32 v61, v3, v9
	s_clause 0x3
	buffer_load_dword v0, off, s[0:3], s32 offset:2260
	buffer_load_dword v1, off, s[0:3], s32 offset:2264
	;; [unrolled: 1-line block ×4, first 2 shown]
	v_mul_f32_e32 v9, v78, v93
	s_waitcnt vmcnt(3)
	v_fmac_f32_e32 v85, v0, v9
	v_mul_f32_e32 v9, v78, v77
	s_waitcnt vmcnt(2)
	v_fmac_f32_e32 v100, v1, v9
	;; [unrolled: 3-line block ×4, first 2 shown]
	s_clause 0x3
	buffer_load_dword v0, off, s[0:3], s32 offset:2276
	buffer_load_dword v1, off, s[0:3], s32 offset:2280
	;; [unrolled: 1-line block ×4, first 2 shown]
	v_mul_f32_e32 v9, v78, v103
	s_waitcnt vmcnt(3)
	v_fmac_f32_e32 v85, v0, v9
	v_mul_f32_e32 v9, v78, v99
	v_mul_f32_e32 v0, v78, v44
	s_waitcnt vmcnt(2)
	v_fmac_f32_e32 v100, v1, v9
	v_mul_f32_e32 v9, v78, v15
	s_waitcnt vmcnt(1)
	v_fmac_f32_e32 v101, v2, v9
	;; [unrolled: 3-line block ×3, first 2 shown]
	s_clause 0x3
	buffer_load_dword v1, off, s[0:3], s32 offset:2292
	buffer_load_dword v2, off, s[0:3], s32 offset:2296
	;; [unrolled: 1-line block ×4, first 2 shown]
	s_waitcnt vmcnt(3)
	v_fmac_f32_e32 v85, v1, v0
	v_mul_f32_e32 v0, v78, v71
	s_waitcnt vmcnt(2)
	v_fmac_f32_e32 v100, v2, v0
	v_mul_f32_e32 v0, v78, v105
	s_waitcnt vmcnt(1)
	v_fmac_f32_e32 v101, v3, v0
	v_mul_f32_e32 v0, v78, v19
	s_waitcnt vmcnt(0)
	v_fmac_f32_e32 v61, v4, v0
	s_clause 0x3
	buffer_load_dword v1, off, s[0:3], s32 offset:2308
	buffer_load_dword v2, off, s[0:3], s32 offset:2312
	buffer_load_dword v3, off, s[0:3], s32 offset:2316
	buffer_load_dword v4, off, s[0:3], s32 offset:2320
	v_mul_f32_e32 v0, v78, v48
	s_waitcnt vmcnt(3)
	v_fmac_f32_e32 v85, v1, v0
	v_mul_f32_e32 v0, v78, v21
	s_waitcnt vmcnt(2)
	v_fmac_f32_e32 v100, v2, v0
	v_mul_f32_e32 v0, v78, v20
	s_waitcnt vmcnt(1)
	v_fmac_f32_e32 v101, v3, v0
	v_mul_f32_e32 v0, v78, v22
	s_waitcnt vmcnt(0)
	v_fmac_f32_e32 v61, v4, v0
	s_clause 0x3
	buffer_load_dword v1, off, s[0:3], s32 offset:2324
	buffer_load_dword v2, off, s[0:3], s32 offset:2328
	buffer_load_dword v3, off, s[0:3], s32 offset:2332
	buffer_load_dword v4, off, s[0:3], s32 offset:2336
	v_mul_f32_e32 v0, v78, v33
	;; [unrolled: 17-line block ×13, first 2 shown]
	s_waitcnt vmcnt(3)
	v_fmac_f32_e32 v85, v1, v0
	buffer_load_dword v0, off, s[0:3], s32 offset:940 ; 4-byte Folded Reload
	s_waitcnt vmcnt(0)
	v_mul_f32_e32 v0, v78, v0
	v_fmac_f32_e32 v100, v2, v0
	v_mul_f32_e32 v0, v78, v86
	v_fmac_f32_e32 v101, v3, v0
	v_mul_f32_e32 v0, v78, v96
	v_fmac_f32_e32 v61, v4, v0
	s_clause 0x4
	buffer_load_dword v0, off, s[0:3], s32 offset:932
	buffer_load_dword v1, off, s[0:3], s32 offset:2516
	;; [unrolled: 1-line block ×5, first 2 shown]
	s_waitcnt vmcnt(4)
	v_mul_f32_e32 v0, v78, v0
	s_waitcnt vmcnt(3)
	v_fmac_f32_e32 v85, v1, v0
	v_mul_f32_e32 v0, v78, v102
	s_waitcnt vmcnt(2)
	v_fmac_f32_e32 v100, v2, v0
	v_mul_f32_e32 v0, v78, v98
	s_waitcnt vmcnt(1)
	v_fmac_f32_e32 v101, v3, v0
	v_mul_f32_e32 v0, v78, v112
	s_waitcnt vmcnt(0)
	v_fmac_f32_e32 v61, v4, v0
	s_clause 0x3
	buffer_load_dword v1, off, s[0:3], s32 offset:2532
	buffer_load_dword v2, off, s[0:3], s32 offset:2536
	buffer_load_dword v3, off, s[0:3], s32 offset:2540
	buffer_load_dword v4, off, s[0:3], s32 offset:2544
	v_mul_f32_e32 v0, v78, v113
	s_waitcnt vmcnt(3)
	v_fmac_f32_e32 v85, v1, v0
	v_mul_f32_e32 v0, v78, v118
	s_waitcnt vmcnt(2)
	v_fmac_f32_e32 v100, v2, v0
	v_mul_f32_e32 v0, v78, v114
	s_waitcnt vmcnt(1)
	v_fmac_f32_e32 v101, v3, v0
	v_mul_f32_e32 v0, v78, v40
	s_waitcnt vmcnt(0)
	v_fmac_f32_e32 v61, v4, v0
	s_clause 0x3
	buffer_load_dword v1, off, s[0:3], s32 offset:2548
	buffer_load_dword v2, off, s[0:3], s32 offset:2552
	buffer_load_dword v3, off, s[0:3], s32 offset:2556
	buffer_load_dword v4, off, s[0:3], s32 offset:2560
	;; [unrolled: 17-line block ×7, first 2 shown]
	v_mul_f32_e32 v0, v78, v120
	s_waitcnt vmcnt(3)
	v_fmac_f32_e32 v85, v1, v0
	buffer_load_dword v0, off, s[0:3], s32 offset:1204 ; 4-byte Folded Reload
	s_waitcnt vmcnt(0)
	v_mul_f32_e32 v0, v78, v0
	v_fmac_f32_e32 v100, v2, v0
	buffer_load_dword v0, off, s[0:3], s32 offset:1164 ; 4-byte Folded Reload
	s_waitcnt vmcnt(0)
	v_mul_f32_e32 v0, v78, v0
	v_fmac_f32_e32 v101, v3, v0
	buffer_load_dword v0, off, s[0:3], s32 offset:1156 ; 4-byte Folded Reload
	s_waitcnt vmcnt(0)
	v_mul_f32_e32 v0, v78, v0
	v_fmac_f32_e32 v61, v4, v0
	s_clause 0x4
	buffer_load_dword v0, off, s[0:3], s32 offset:1244
	buffer_load_dword v1, off, s[0:3], s32 offset:2644
	buffer_load_dword v2, off, s[0:3], s32 offset:2648
	buffer_load_dword v3, off, s[0:3], s32 offset:2652
	buffer_load_dword v4, off, s[0:3], s32 offset:2656
	s_waitcnt vmcnt(4)
	v_mul_f32_e32 v0, v78, v0
	s_waitcnt vmcnt(3)
	v_fmac_f32_e32 v85, v1, v0
	buffer_load_dword v0, off, s[0:3], s32 offset:1236 ; 4-byte Folded Reload
	s_waitcnt vmcnt(0)
	v_mul_f32_e32 v0, v78, v0
	v_fmac_f32_e32 v100, v2, v0
	buffer_load_dword v0, off, s[0:3], s32 offset:1196 ; 4-byte Folded Reload
	s_waitcnt vmcnt(0)
	v_mul_f32_e32 v0, v78, v0
	v_fmac_f32_e32 v101, v3, v0
	buffer_load_dword v0, off, s[0:3], s32 offset:1188 ; 4-byte Folded Reload
	s_waitcnt vmcnt(0)
	v_mul_f32_e32 v0, v78, v0
	v_fmac_f32_e32 v61, v4, v0
	s_clause 0x4
	buffer_load_dword v0, off, s[0:3], s32 offset:1276
	buffer_load_dword v1, off, s[0:3], s32 offset:2660
	buffer_load_dword v2, off, s[0:3], s32 offset:2664
	buffer_load_dword v3, off, s[0:3], s32 offset:2668
	buffer_load_dword v4, off, s[0:3], s32 offset:2672
	s_waitcnt vmcnt(4)
	;; [unrolled: 22-line block ×33, first 2 shown]
	v_mul_f32_e32 v0, v78, v0
	s_waitcnt vmcnt(3)
	v_fmac_f32_e32 v85, v1, v0
	buffer_load_dword v0, off, s[0:3], s32 offset:1900 ; 4-byte Folded Reload
	s_waitcnt vmcnt(0)
	v_mul_f32_e32 v0, v78, v0
	v_fmac_f32_e32 v100, v2, v0
	buffer_load_dword v0, off, s[0:3], s32 offset:1904 ; 4-byte Folded Reload
	s_waitcnt vmcnt(0)
	v_mul_f32_e32 v0, v78, v0
	v_fmac_f32_e32 v101, v3, v0
	s_clause 0x6
	buffer_load_dword v0, off, s[0:3], s32 offset:268
	buffer_load_dword v5, off, s[0:3], s32 offset:3172
	;; [unrolled: 1-line block ×7, first 2 shown]
	s_waitcnt vmcnt(6)
	v_mul_f32_e32 v0, v78, v0
	s_waitcnt vmcnt(1)
	v_mul_f32_e32 v1, v78, v1
	;; [unrolled: 2-line block ×3, first 2 shown]
	v_fmac_f32_e32 v85, v5, v0
	buffer_load_dword v0, off, s[0:3], s32 offset:252 ; 4-byte Folded Reload
	v_fmac_f32_e32 v101, v7, v1
	s_waitcnt vmcnt(0)
	v_mul_f32_e32 v0, v78, v0
	v_fmac_f32_e32 v100, v6, v0
	s_clause 0x2
	buffer_load_dword v0, off, s[0:3], s32 offset:1896
	buffer_load_dword v37, off, s[0:3], s32 offset:1868
	;; [unrolled: 1-line block ×3, first 2 shown]
	s_load_dword s18, s[12:13], 0x0
	s_clause 0x1
	buffer_load_dword v51, off, s[0:3], s32 offset:1872
	buffer_load_dword v71, off, s[0:3], s32 offset:1876
	s_waitcnt vmcnt(4)
	v_mul_f32_e32 v0, v78, v0
	s_waitcnt vmcnt(2)
	v_add_nc_u32_e32 v1, v1, v37
	v_fmac_f32_e32 v61, v4, v0
	v_cvt_f32_i32_e32 v1, v1
	v_add_f32_e32 v0, v85, v100
	v_fmac_f32_e32 v61, v8, v2
	buffer_load_dword v2, off, s[0:3], s32 offset:2128 ; 4-byte Folded Reload
	v_add_f32_e32 v0, v101, v0
	v_add_f32_e32 v0, v61, v0
	s_waitcnt vmcnt(0)
	v_mul_f32_e32 v1, v2, v1
	buffer_load_dword v2, off, s[0:3], s32 offset:2148 ; 4-byte Folded Reload
	v_cndmask_b32_e32 v1, 0, v1, vcc_lo
	s_waitcnt vmcnt(0)
	v_fmac_f32_e32 v1, v2, v0
	s_clause 0x1
	buffer_load_dword v0, off, s[0:3], s32 offset:2120
	buffer_load_dword v2, off, s[0:3], s32 offset:1852
	s_waitcnt vmcnt(1)
	v_add_nc_u32_e32 v0, v0, v37
	s_waitcnt vmcnt(0)
	v_cmp_lt_i32_e64 s5, v0, v2
	s_waitcnt lgkmcnt(0)
	v_add_nc_u32_e32 v0, s18, v51
	v_cndmask_b32_e64 v2, 0, v1, s5
	ds_write_b32 v0, v2
	v_max_f32_e32 v0, v71, v71
	v_max_f32_e32 v0, v0, v1
	v_cndmask_b32_e64 v71, v71, v0, s5
.LBB216_14:                             ;   in Loop: Header=BB216_15 Depth=1
	s_or_b32 exec_lo, exec_lo, s6
	s_clause 0x2
	buffer_load_dword v7, off, s[0:3], s32 offset:240
	buffer_load_dword v0, off, s[0:3], s32 offset:208
	;; [unrolled: 1-line block ×3, first 2 shown]
	v_add_nc_u32_e32 v37, 0x80, v37
	v_add_nc_u32_e32 v51, 0x200, v51
	s_waitcnt vmcnt(1)
	v_add_co_u32 v0, s5, v0, 16
	s_waitcnt vmcnt(0)
	v_add_co_ci_u32_e64 v1, null, 0, v1, s5
	v_add_nc_u32_e32 v7, 4, v7
	buffer_store_dword v0, off, s[0:3], s32 offset:208 ; 4-byte Folded Spill
	buffer_store_dword v1, off, s[0:3], s32 offset:212 ; 4-byte Folded Spill
	buffer_load_dword v0, off, s[0:3], s32 offset:200 ; 4-byte Folded Reload
	s_waitcnt vmcnt(0)
	v_cmp_ge_i32_e64 s5, v7, v0
	s_or_b32 s17, s5, s17
	s_andn2_b32 exec_lo, exec_lo, s17
	s_cbranch_execz .LBB216_2063
.LBB216_15:                             ; =>This Inner Loop Header: Depth=1
	s_clause 0x1
	buffer_load_dword v0, off, s[0:3], s32 offset:232
	buffer_load_dword v4, off, s[0:3], s32 offset:216
	buffer_store_dword v7, off, s[0:3], s32 offset:240 ; 4-byte Folded Spill
	s_waitcnt vmcnt(1)
	v_mul_hi_u32 v0, v37, v0
	s_waitcnt vmcnt(0)
	v_mul_lo_u32 v1, v0, v4
	v_add_nc_u32_e32 v2, 1, v0
	v_sub_nc_u32_e32 v1, v37, v1
	v_sub_nc_u32_e32 v3, v1, v4
	v_cmp_ge_u32_e64 s5, v1, v4
	v_cndmask_b32_e64 v1, v1, v3, s5
	v_cndmask_b32_e64 v0, v0, v2, s5
	v_cmp_ge_u32_e64 s5, v1, v4
	buffer_load_dword v1, off, s[0:3], s32 offset:228 ; 4-byte Folded Reload
	v_add_nc_u32_e32 v2, 1, v0
	v_cndmask_b32_e64 v0, v0, v2, s5
	s_waitcnt vmcnt(0)
	v_xor_b32_e32 v0, v0, v1
	v_sub_nc_u32_e32 v0, v0, v1
	s_clause 0x3
	buffer_load_dword v1, off, s[0:3], s32 offset:220
	buffer_load_dword v2, off, s[0:3], s32 offset:224
	;; [unrolled: 1-line block ×4, first 2 shown]
	s_waitcnt vmcnt(3)
	v_add_nc_u32_e32 v1, v0, v1
	s_waitcnt vmcnt(2)
	v_sub_nc_u32_e32 v2, 0, v1
	v_max_i32_e32 v2, v1, v2
	v_ashrrev_i32_e32 v1, 31, v1
	s_waitcnt vmcnt(1)
	v_mul_hi_u32 v3, v2, v3
	s_waitcnt vmcnt(0)
	v_mul_lo_u32 v3, v3, v4
	v_sub_nc_u32_e32 v2, v2, v3
	v_sub_nc_u32_e32 v3, v2, v4
	v_cmp_ge_u32_e64 s5, v2, v4
	v_cndmask_b32_e64 v2, v2, v3, s5
	v_sub_nc_u32_e32 v3, v2, v4
	v_cmp_ge_u32_e64 s5, v2, v4
	v_cndmask_b32_e64 v2, v2, v3, s5
	v_xor_b32_e32 v2, v2, v1
	v_sub_nc_u32_e32 v1, v2, v1
	v_cmp_ne_u32_e64 s5, 0, v1
	buffer_load_dword v1, off, s[0:3], s32 offset:236 ; 4-byte Folded Reload
	s_waitcnt vmcnt(0)
	v_cmp_le_i32_e64 s6, v0, v1
	s_and_b32 s5, s5, s6
	s_and_saveexec_b32 s6, s5
	s_xor_b32 s5, exec_lo, s6
; %bb.16:                               ;   in Loop: Header=BB216_15 Depth=1
	v_add_nc_u32_e32 v0, s15, v51
	v_mov_b32_e32 v1, 0xff7fffff
	ds_write_b32 v0, v1
; %bb.17:                               ;   in Loop: Header=BB216_15 Depth=1
	s_andn2_saveexec_b32 s6, s5
	s_cbranch_execz .LBB216_14
; %bb.18:                               ;   in Loop: Header=BB216_15 Depth=1
	s_clause 0x1
	buffer_load_dword v0, off, s[0:3], s32 offset:208
	buffer_load_dword v1, off, s[0:3], s32 offset:212
	v_mov_b32_e32 v69, 0
	v_mov_b32_e32 v38, 0
	;; [unrolled: 1-line block ×4, first 2 shown]
	s_waitcnt vmcnt(0)
	flat_load_dword v0, v[0:1]
	s_clause 0x2
	buffer_load_dword v1, off, s[0:3], s32 offset:1856
	buffer_load_dword v2, off, s[0:3], s32 offset:2152
	;; [unrolled: 1-line block ×3, first 2 shown]
	s_waitcnt vmcnt(0) lgkmcnt(0)
	v_mad_i64_i32 v[112:113], null, v0, v1, v[2:3]
	flat_load_dword v0, v[112:113]
	s_clause 0x1
	buffer_load_dword v1, off, s[0:3], s32 offset:2140
	buffer_load_dword v2, off, s[0:3], s32 offset:2144
	s_waitcnt vmcnt(2) lgkmcnt(0)
	v_cmp_ne_u16_sdwa s5, v0, v11 src0_sel:BYTE_0 src1_sel:DWORD
	s_waitcnt vmcnt(0)
	flat_load_dword v78, v[1:2]
	s_and_saveexec_b32 s18, s5
	s_cbranch_execz .LBB216_26
; %bb.19:                               ;   in Loop: Header=BB216_15 Depth=1
	v_mov_b32_e32 v1, 0x80
	v_bfrev_b32_e32 v38, 1
	v_mov_b32_e32 v39, 0
	v_cmp_ne_u16_sdwa s5, v0, v1 src0_sel:BYTE_0 src1_sel:DWORD
	s_and_saveexec_b32 s19, s5
	s_cbranch_execz .LBB216_25
; %bb.20:                               ;   in Loop: Header=BB216_15 Depth=1
	v_mov_b32_e32 v38, 0x7f800001
	v_and_b32_e32 v2, 0x7f, v0
	v_mov_b32_e32 v39, 0
	s_mov_b32 s20, exec_lo
	v_cmpx_ne_u32_e32 0x7f, v2
	s_cbranch_execz .LBB216_24
; %bb.21:                               ;   in Loop: Header=BB216_15 Depth=1
	v_and_b32_e32 v10, 7, v0
	v_lshrrev_b32_e32 v1, 3, v2
	s_mov_b32 s21, exec_lo
	v_cmpx_gt_u32_e32 8, v2
; %bb.22:                               ;   in Loop: Header=BB216_15 Depth=1
	v_ffbh_u32_e32 v1, v10
	v_min_u32_e32 v1, 32, v1
	v_subrev_nc_u32_e32 v2, 28, v1
	v_sub_nc_u32_e32 v1, 29, v1
	v_lshlrev_b64 v[2:3], v2, v[10:11]
	v_and_b32_e32 v10, 7, v2
; %bb.23:                               ;   in Loop: Header=BB216_15 Depth=1
	s_or_b32 exec_lo, exec_lo, s21
	v_lshlrev_b32_e32 v2, 24, v0
	v_lshlrev_b32_e32 v3, 20, v10
	v_lshl_add_u32 v1, v1, 23, 0x3c000000
	v_and_b32_e32 v2, 0x80000000, v2
	v_or3_b32 v10, v3, v2, v1
	v_mov_b32_e32 v39, v11
	v_mov_b32_e32 v38, v10
.LBB216_24:                             ;   in Loop: Header=BB216_15 Depth=1
	s_or_b32 exec_lo, exec_lo, s20
.LBB216_25:                             ;   in Loop: Header=BB216_15 Depth=1
	s_or_b32 exec_lo, exec_lo, s19
.LBB216_26:                             ;   in Loop: Header=BB216_15 Depth=1
	s_or_b32 exec_lo, exec_lo, s18
	v_cmp_ne_u16_sdwa s5, v0, v11 src0_sel:BYTE_1 src1_sel:DWORD
	s_and_saveexec_b32 s18, s5
	s_cbranch_execz .LBB216_34
; %bb.27:                               ;   in Loop: Header=BB216_15 Depth=1
	v_mov_b32_e32 v115, v11
	v_mov_b32_e32 v1, 0x80
	;; [unrolled: 1-line block ×3, first 2 shown]
	v_cmp_ne_u16_sdwa s5, v0, v1 src0_sel:BYTE_1 src1_sel:DWORD
	v_mov_b32_e32 v70, v116
	s_and_saveexec_b32 s19, s5
	s_cbranch_execz .LBB216_33
; %bb.28:                               ;   in Loop: Header=BB216_15 Depth=1
	s_clause 0x1
	buffer_load_dword v3, off, s[0:3], s32 offset:192
	buffer_load_dword v4, off, s[0:3], s32 offset:196
	v_mov_b32_e32 v1, 0xffff
	s_mov_b32 s20, exec_lo
	v_and_b32_sdwa v1, v1, v0 dst_sel:DWORD dst_unused:UNUSED_PAD src0_sel:DWORD src1_sel:BYTE_1
	v_and_b32_e32 v2, 0x7f, v1
	s_waitcnt vmcnt(0)
	v_mov_b32_e32 v5, v4
	v_mov_b32_e32 v4, v11
	;; [unrolled: 1-line block ×5, first 2 shown]
	buffer_store_dword v2, off, s[0:3], s32 offset:192 ; 4-byte Folded Spill
	buffer_store_dword v3, off, s[0:3], s32 offset:196 ; 4-byte Folded Spill
	v_cmpx_ne_u32_e32 0x7f, v2
	s_cbranch_execz .LBB216_32
; %bb.29:                               ;   in Loop: Header=BB216_15 Depth=1
	v_and_b32_e32 v10, 7, v1
	v_lshrrev_b32_e32 v1, 3, v2
	s_mov_b32 s21, exec_lo
	v_cmpx_gt_u32_e32 8, v2
; %bb.30:                               ;   in Loop: Header=BB216_15 Depth=1
	v_ffbh_u32_e32 v1, v10
	v_min_u32_e32 v1, 32, v1
	v_subrev_nc_u32_e32 v2, 28, v1
	v_sub_nc_u32_e32 v1, 29, v1
	v_lshlrev_b64 v[2:3], v2, v[10:11]
	v_and_b32_e32 v10, 7, v2
; %bb.31:                               ;   in Loop: Header=BB216_15 Depth=1
	s_or_b32 exec_lo, exec_lo, s21
	v_lshlrev_b32_e32 v2, 16, v0
	v_lshlrev_b32_e32 v3, 20, v10
	v_lshl_add_u32 v1, v1, 23, 0x3c000000
	v_mov_b32_e32 v69, v11
	v_and_b32_e32 v2, 0x80000000, v2
	v_or3_b32 v70, v3, v2, v1
.LBB216_32:                             ;   in Loop: Header=BB216_15 Depth=1
	s_or_b32 exec_lo, exec_lo, s20
.LBB216_33:                             ;   in Loop: Header=BB216_15 Depth=1
	s_or_b32 exec_lo, exec_lo, s19
.LBB216_34:                             ;   in Loop: Header=BB216_15 Depth=1
	s_or_b32 exec_lo, exec_lo, s18
	v_mov_b32_e32 v2, 0
	v_mov_b32_e32 v3, 0
	;; [unrolled: 1-line block ×3, first 2 shown]
	s_mov_b32 s18, exec_lo
	buffer_store_dword v2, off, s[0:3], s32 offset:244 ; 4-byte Folded Spill
	buffer_store_dword v3, off, s[0:3], s32 offset:248 ; 4-byte Folded Spill
	v_mov_b32_e32 v2, 0
	v_and_b32_sdwa v1, v0, v1 dst_sel:DWORD dst_unused:UNUSED_PAD src0_sel:WORD_1 src1_sel:DWORD
	v_mov_b32_e32 v3, 0
	buffer_store_dword v2, off, s[0:3], s32 offset:252 ; 4-byte Folded Spill
	buffer_store_dword v3, off, s[0:3], s32 offset:256 ; 4-byte Folded Spill
	v_cmpx_ne_u16_e32 0, v1
	s_cbranch_execz .LBB216_42
; %bb.35:                               ;   in Loop: Header=BB216_15 Depth=1
	v_cmp_ne_u16_e64 s5, 0x80, v1
	v_bfrev_b32_e32 v1, 1
	v_mov_b32_e32 v2, 0
	buffer_store_dword v1, off, s[0:3], s32 offset:252 ; 4-byte Folded Spill
	buffer_store_dword v2, off, s[0:3], s32 offset:256 ; 4-byte Folded Spill
	s_and_saveexec_b32 s19, s5
	s_cbranch_execz .LBB216_41
; %bb.36:                               ;   in Loop: Header=BB216_15 Depth=1
	v_mov_b32_e32 v3, 0x7f800001
	v_bfe_u32 v2, v0, 16, 7
	v_mov_b32_e32 v4, 0
	s_mov_b32 s20, exec_lo
	buffer_store_dword v3, off, s[0:3], s32 offset:252 ; 4-byte Folded Spill
	buffer_store_dword v4, off, s[0:3], s32 offset:256 ; 4-byte Folded Spill
	v_cmpx_ne_u32_e32 0x7f, v2
	s_cbranch_execz .LBB216_40
; %bb.37:                               ;   in Loop: Header=BB216_15 Depth=1
	v_mov_b32_e32 v1, 7
	s_mov_b32 s21, exec_lo
	v_and_b32_sdwa v10, v0, v1 dst_sel:DWORD dst_unused:UNUSED_PAD src0_sel:WORD_1 src1_sel:DWORD
	v_lshrrev_b32_e32 v1, 3, v2
	v_cmpx_gt_u32_e32 8, v2
; %bb.38:                               ;   in Loop: Header=BB216_15 Depth=1
	v_ffbh_u32_e32 v1, v10
	v_min_u32_e32 v1, 32, v1
	v_subrev_nc_u32_e32 v2, 28, v1
	v_sub_nc_u32_e32 v1, 29, v1
	v_lshlrev_b64 v[2:3], v2, v[10:11]
	v_and_b32_e32 v10, 7, v2
; %bb.39:                               ;   in Loop: Header=BB216_15 Depth=1
	s_or_b32 exec_lo, exec_lo, s21
	v_mov_b32_e32 v2, 24
	v_lshlrev_b32_e32 v3, 20, v10
	v_lshl_add_u32 v1, v1, 23, 0x3c000000
	v_lshlrev_b32_sdwa v2, v2, v0 dst_sel:DWORD dst_unused:UNUSED_PAD src0_sel:DWORD src1_sel:WORD_1
	v_and_b32_e32 v2, 0x80000000, v2
	v_or3_b32 v10, v3, v2, v1
	buffer_store_dword v10, off, s[0:3], s32 offset:252 ; 4-byte Folded Spill
	buffer_store_dword v11, off, s[0:3], s32 offset:256 ; 4-byte Folded Spill
.LBB216_40:                             ;   in Loop: Header=BB216_15 Depth=1
	s_or_b32 exec_lo, exec_lo, s20
.LBB216_41:                             ;   in Loop: Header=BB216_15 Depth=1
	s_or_b32 exec_lo, exec_lo, s19
.LBB216_42:                             ;   in Loop: Header=BB216_15 Depth=1
	s_or_b32 exec_lo, exec_lo, s18
	s_mov_b32 s18, exec_lo
	v_cmpx_lt_u32_e32 0xffffff, v0
	s_cbranch_execz .LBB216_50
; %bb.43:                               ;   in Loop: Header=BB216_15 Depth=1
	v_mov_b32_e32 v1, 0x80
	v_mov_b32_e32 v115, v11
	buffer_store_dword v115, off, s[0:3], s32 offset:244 ; 4-byte Folded Spill
	buffer_store_dword v116, off, s[0:3], s32 offset:248 ; 4-byte Folded Spill
	v_cmp_ne_u32_sdwa s5, v0, v1 src0_sel:BYTE_3 src1_sel:DWORD
	s_and_saveexec_b32 s19, s5
	s_cbranch_execz .LBB216_49
; %bb.44:                               ;   in Loop: Header=BB216_15 Depth=1
	s_clause 0x1
	buffer_load_dword v3, off, s[0:3], s32 offset:192
	buffer_load_dword v4, off, s[0:3], s32 offset:196
	v_bfe_u32 v2, v0, 24, 7
	s_waitcnt vmcnt(1)
	v_mov_b32_e32 v3, v11
	s_mov_b32 s20, exec_lo
	s_waitcnt vmcnt(0)
	v_mov_b32_e32 v1, v4
	buffer_store_dword v0, off, s[0:3], s32 offset:192 ; 4-byte Folded Spill
	buffer_store_dword v1, off, s[0:3], s32 offset:196 ; 4-byte Folded Spill
	;; [unrolled: 1-line block ×4, first 2 shown]
	v_cmpx_ne_u32_e32 0x7f, v2
	s_cbranch_execz .LBB216_48
; %bb.45:                               ;   in Loop: Header=BB216_15 Depth=1
	v_mov_b32_e32 v1, 7
	s_mov_b32 s21, exec_lo
	v_and_b32_sdwa v10, v0, v1 dst_sel:DWORD dst_unused:UNUSED_PAD src0_sel:BYTE_3 src1_sel:DWORD
	v_lshrrev_b32_e32 v1, 3, v2
	v_cmpx_gt_u32_e32 8, v2
; %bb.46:                               ;   in Loop: Header=BB216_15 Depth=1
	v_ffbh_u32_e32 v1, v10
	v_min_u32_e32 v1, 32, v1
	v_subrev_nc_u32_e32 v2, 28, v1
	v_sub_nc_u32_e32 v1, 29, v1
	v_lshlrev_b64 v[2:3], v2, v[10:11]
	v_and_b32_e32 v10, 7, v2
; %bb.47:                               ;   in Loop: Header=BB216_15 Depth=1
	s_or_b32 exec_lo, exec_lo, s21
	v_mov_b32_e32 v2, 24
	v_lshl_add_u32 v1, v1, 23, 0x3c000000
	v_lshlrev_b32_sdwa v0, v2, v0 dst_sel:DWORD dst_unused:UNUSED_PAD src0_sel:DWORD src1_sel:BYTE_3
	v_lshlrev_b32_e32 v2, 20, v10
	v_and_b32_e32 v0, 0x80000000, v0
	v_or3_b32 v1, v2, v0, v1
	v_mov_b32_e32 v0, v11
	buffer_store_dword v0, off, s[0:3], s32 offset:244 ; 4-byte Folded Spill
	buffer_store_dword v1, off, s[0:3], s32 offset:248 ; 4-byte Folded Spill
.LBB216_48:                             ;   in Loop: Header=BB216_15 Depth=1
	s_or_b32 exec_lo, exec_lo, s20
.LBB216_49:                             ;   in Loop: Header=BB216_15 Depth=1
	s_or_b32 exec_lo, exec_lo, s19
.LBB216_50:                             ;   in Loop: Header=BB216_15 Depth=1
	s_or_b32 exec_lo, exec_lo, s18
	flat_load_dword v0, v[112:113] offset:4
	v_mov_b32_e32 v1, 0
	v_mov_b32_e32 v2, 0
	buffer_store_dword v1, off, s[0:3], s32 offset:268 ; 4-byte Folded Spill
	buffer_store_dword v2, off, s[0:3], s32 offset:272 ; 4-byte Folded Spill
	v_mov_b32_e32 v1, 0
	v_mov_b32_e32 v2, 0
	buffer_store_dword v1, off, s[0:3], s32 offset:260 ; 4-byte Folded Spill
	buffer_store_dword v2, off, s[0:3], s32 offset:264 ; 4-byte Folded Spill
	s_waitcnt vmcnt(0) lgkmcnt(0)
	v_cmp_ne_u16_sdwa s5, v0, v11 src0_sel:BYTE_0 src1_sel:DWORD
	s_and_saveexec_b32 s18, s5
	s_cbranch_execz .LBB216_58
; %bb.51:                               ;   in Loop: Header=BB216_15 Depth=1
	v_bfrev_b32_e32 v1, 1
	v_mov_b32_e32 v2, 0
	buffer_store_dword v1, off, s[0:3], s32 offset:260 ; 4-byte Folded Spill
	buffer_store_dword v2, off, s[0:3], s32 offset:264 ; 4-byte Folded Spill
	v_mov_b32_e32 v1, 0x80
	v_cmp_ne_u16_sdwa s5, v0, v1 src0_sel:BYTE_0 src1_sel:DWORD
	s_and_saveexec_b32 s19, s5
	s_cbranch_execz .LBB216_57
; %bb.52:                               ;   in Loop: Header=BB216_15 Depth=1
	v_mov_b32_e32 v3, 0x7f800001
	v_and_b32_e32 v2, 0x7f, v0
	v_mov_b32_e32 v4, 0
	s_mov_b32 s20, exec_lo
	buffer_store_dword v3, off, s[0:3], s32 offset:260 ; 4-byte Folded Spill
	buffer_store_dword v4, off, s[0:3], s32 offset:264 ; 4-byte Folded Spill
	v_cmpx_ne_u32_e32 0x7f, v2
	s_cbranch_execz .LBB216_56
; %bb.53:                               ;   in Loop: Header=BB216_15 Depth=1
	v_and_b32_e32 v10, 7, v0
	v_lshrrev_b32_e32 v1, 3, v2
	s_mov_b32 s21, exec_lo
	v_cmpx_gt_u32_e32 8, v2
; %bb.54:                               ;   in Loop: Header=BB216_15 Depth=1
	v_ffbh_u32_e32 v1, v10
	v_min_u32_e32 v1, 32, v1
	v_subrev_nc_u32_e32 v2, 28, v1
	v_sub_nc_u32_e32 v1, 29, v1
	v_lshlrev_b64 v[2:3], v2, v[10:11]
	v_and_b32_e32 v10, 7, v2
; %bb.55:                               ;   in Loop: Header=BB216_15 Depth=1
	s_or_b32 exec_lo, exec_lo, s21
	v_lshlrev_b32_e32 v2, 24, v0
	v_lshlrev_b32_e32 v3, 20, v10
	v_lshl_add_u32 v1, v1, 23, 0x3c000000
	v_and_b32_e32 v2, 0x80000000, v2
	v_or3_b32 v10, v3, v2, v1
	buffer_store_dword v10, off, s[0:3], s32 offset:260 ; 4-byte Folded Spill
	buffer_store_dword v11, off, s[0:3], s32 offset:264 ; 4-byte Folded Spill
.LBB216_56:                             ;   in Loop: Header=BB216_15 Depth=1
	s_or_b32 exec_lo, exec_lo, s20
.LBB216_57:                             ;   in Loop: Header=BB216_15 Depth=1
	s_or_b32 exec_lo, exec_lo, s19
.LBB216_58:                             ;   in Loop: Header=BB216_15 Depth=1
	s_or_b32 exec_lo, exec_lo, s18
	v_cmp_ne_u16_sdwa s5, v0, v11 src0_sel:BYTE_1 src1_sel:DWORD
	s_and_saveexec_b32 s18, s5
	s_cbranch_execz .LBB216_66
; %bb.59:                               ;   in Loop: Header=BB216_15 Depth=1
	v_mov_b32_e32 v1, 0x80
	v_mov_b32_e32 v115, v11
	buffer_store_dword v115, off, s[0:3], s32 offset:268 ; 4-byte Folded Spill
	buffer_store_dword v116, off, s[0:3], s32 offset:272 ; 4-byte Folded Spill
	v_cmp_ne_u16_sdwa s5, v0, v1 src0_sel:BYTE_1 src1_sel:DWORD
	s_and_saveexec_b32 s19, s5
	s_cbranch_execz .LBB216_65
; %bb.60:                               ;   in Loop: Header=BB216_15 Depth=1
	s_clause 0x1
	buffer_load_dword v3, off, s[0:3], s32 offset:192
	buffer_load_dword v4, off, s[0:3], s32 offset:196
	v_mov_b32_e32 v1, 0xffff
	s_mov_b32 s20, exec_lo
	v_and_b32_sdwa v1, v1, v0 dst_sel:DWORD dst_unused:UNUSED_PAD src0_sel:DWORD src1_sel:BYTE_1
	v_and_b32_e32 v2, 0x7f, v1
	s_waitcnt vmcnt(0)
	v_mov_b32_e32 v5, v4
	v_mov_b32_e32 v4, v11
	;; [unrolled: 1-line block ×3, first 2 shown]
	buffer_store_dword v2, off, s[0:3], s32 offset:192 ; 4-byte Folded Spill
	buffer_store_dword v3, off, s[0:3], s32 offset:196 ; 4-byte Folded Spill
	buffer_store_dword v4, off, s[0:3], s32 offset:268 ; 4-byte Folded Spill
	buffer_store_dword v5, off, s[0:3], s32 offset:272 ; 4-byte Folded Spill
	v_cmpx_ne_u32_e32 0x7f, v2
	s_cbranch_execz .LBB216_64
; %bb.61:                               ;   in Loop: Header=BB216_15 Depth=1
	v_and_b32_e32 v10, 7, v1
	v_lshrrev_b32_e32 v1, 3, v2
	s_mov_b32 s21, exec_lo
	v_cmpx_gt_u32_e32 8, v2
; %bb.62:                               ;   in Loop: Header=BB216_15 Depth=1
	v_ffbh_u32_e32 v1, v10
	v_min_u32_e32 v1, 32, v1
	v_subrev_nc_u32_e32 v2, 28, v1
	v_sub_nc_u32_e32 v1, 29, v1
	v_lshlrev_b64 v[2:3], v2, v[10:11]
	v_and_b32_e32 v10, 7, v2
; %bb.63:                               ;   in Loop: Header=BB216_15 Depth=1
	s_or_b32 exec_lo, exec_lo, s21
	v_lshlrev_b32_e32 v2, 16, v0
	v_lshlrev_b32_e32 v3, 20, v10
	v_lshl_add_u32 v1, v1, 23, 0x3c000000
	v_and_b32_e32 v2, 0x80000000, v2
	v_or3_b32 v2, v3, v2, v1
	v_mov_b32_e32 v1, v11
	buffer_store_dword v1, off, s[0:3], s32 offset:268 ; 4-byte Folded Spill
	buffer_store_dword v2, off, s[0:3], s32 offset:272 ; 4-byte Folded Spill
.LBB216_64:                             ;   in Loop: Header=BB216_15 Depth=1
	s_or_b32 exec_lo, exec_lo, s20
.LBB216_65:                             ;   in Loop: Header=BB216_15 Depth=1
	s_or_b32 exec_lo, exec_lo, s19
.LBB216_66:                             ;   in Loop: Header=BB216_15 Depth=1
	s_or_b32 exec_lo, exec_lo, s18
	v_mov_b32_e32 v2, 0
	v_mov_b32_e32 v3, 0
	;; [unrolled: 1-line block ×3, first 2 shown]
	s_mov_b32 s18, exec_lo
	buffer_store_dword v2, off, s[0:3], s32 offset:276 ; 4-byte Folded Spill
	buffer_store_dword v3, off, s[0:3], s32 offset:280 ; 4-byte Folded Spill
	v_mov_b32_e32 v2, 0
	v_and_b32_sdwa v1, v0, v1 dst_sel:DWORD dst_unused:UNUSED_PAD src0_sel:WORD_1 src1_sel:DWORD
	v_mov_b32_e32 v3, 0
	buffer_store_dword v2, off, s[0:3], s32 offset:284 ; 4-byte Folded Spill
	buffer_store_dword v3, off, s[0:3], s32 offset:288 ; 4-byte Folded Spill
	v_cmpx_ne_u16_e32 0, v1
	s_cbranch_execz .LBB216_74
; %bb.67:                               ;   in Loop: Header=BB216_15 Depth=1
	v_cmp_ne_u16_e64 s5, 0x80, v1
	v_bfrev_b32_e32 v1, 1
	v_mov_b32_e32 v2, 0
	buffer_store_dword v1, off, s[0:3], s32 offset:284 ; 4-byte Folded Spill
	buffer_store_dword v2, off, s[0:3], s32 offset:288 ; 4-byte Folded Spill
	s_and_saveexec_b32 s19, s5
	s_cbranch_execz .LBB216_73
; %bb.68:                               ;   in Loop: Header=BB216_15 Depth=1
	v_mov_b32_e32 v3, 0x7f800001
	v_bfe_u32 v2, v0, 16, 7
	v_mov_b32_e32 v4, 0
	s_mov_b32 s20, exec_lo
	buffer_store_dword v3, off, s[0:3], s32 offset:284 ; 4-byte Folded Spill
	buffer_store_dword v4, off, s[0:3], s32 offset:288 ; 4-byte Folded Spill
	v_cmpx_ne_u32_e32 0x7f, v2
	s_cbranch_execz .LBB216_72
; %bb.69:                               ;   in Loop: Header=BB216_15 Depth=1
	v_mov_b32_e32 v1, 7
	s_mov_b32 s21, exec_lo
	v_and_b32_sdwa v10, v0, v1 dst_sel:DWORD dst_unused:UNUSED_PAD src0_sel:WORD_1 src1_sel:DWORD
	v_lshrrev_b32_e32 v1, 3, v2
	v_cmpx_gt_u32_e32 8, v2
; %bb.70:                               ;   in Loop: Header=BB216_15 Depth=1
	v_ffbh_u32_e32 v1, v10
	v_min_u32_e32 v1, 32, v1
	v_subrev_nc_u32_e32 v2, 28, v1
	v_sub_nc_u32_e32 v1, 29, v1
	v_lshlrev_b64 v[2:3], v2, v[10:11]
	v_and_b32_e32 v10, 7, v2
; %bb.71:                               ;   in Loop: Header=BB216_15 Depth=1
	s_or_b32 exec_lo, exec_lo, s21
	v_mov_b32_e32 v2, 24
	v_lshlrev_b32_e32 v3, 20, v10
	v_lshl_add_u32 v1, v1, 23, 0x3c000000
	v_lshlrev_b32_sdwa v2, v2, v0 dst_sel:DWORD dst_unused:UNUSED_PAD src0_sel:DWORD src1_sel:WORD_1
	v_and_b32_e32 v2, 0x80000000, v2
	v_or3_b32 v10, v3, v2, v1
	buffer_store_dword v10, off, s[0:3], s32 offset:284 ; 4-byte Folded Spill
	buffer_store_dword v11, off, s[0:3], s32 offset:288 ; 4-byte Folded Spill
.LBB216_72:                             ;   in Loop: Header=BB216_15 Depth=1
	s_or_b32 exec_lo, exec_lo, s20
.LBB216_73:                             ;   in Loop: Header=BB216_15 Depth=1
	s_or_b32 exec_lo, exec_lo, s19
.LBB216_74:                             ;   in Loop: Header=BB216_15 Depth=1
	s_or_b32 exec_lo, exec_lo, s18
	s_mov_b32 s18, exec_lo
	v_cmpx_lt_u32_e32 0xffffff, v0
	s_cbranch_execz .LBB216_82
; %bb.75:                               ;   in Loop: Header=BB216_15 Depth=1
	v_mov_b32_e32 v1, 0x80
	v_mov_b32_e32 v115, v11
	buffer_store_dword v115, off, s[0:3], s32 offset:276 ; 4-byte Folded Spill
	buffer_store_dword v116, off, s[0:3], s32 offset:280 ; 4-byte Folded Spill
	v_cmp_ne_u32_sdwa s5, v0, v1 src0_sel:BYTE_3 src1_sel:DWORD
	s_and_saveexec_b32 s19, s5
	s_cbranch_execz .LBB216_81
; %bb.76:                               ;   in Loop: Header=BB216_15 Depth=1
	s_clause 0x1
	buffer_load_dword v3, off, s[0:3], s32 offset:192
	buffer_load_dword v4, off, s[0:3], s32 offset:196
	v_bfe_u32 v2, v0, 24, 7
	s_waitcnt vmcnt(1)
	v_mov_b32_e32 v3, v11
	s_mov_b32 s20, exec_lo
	s_waitcnt vmcnt(0)
	v_mov_b32_e32 v1, v4
	buffer_store_dword v0, off, s[0:3], s32 offset:192 ; 4-byte Folded Spill
	buffer_store_dword v1, off, s[0:3], s32 offset:196 ; 4-byte Folded Spill
	;; [unrolled: 1-line block ×4, first 2 shown]
	v_cmpx_ne_u32_e32 0x7f, v2
	s_cbranch_execz .LBB216_80
; %bb.77:                               ;   in Loop: Header=BB216_15 Depth=1
	v_mov_b32_e32 v1, 7
	s_mov_b32 s21, exec_lo
	v_and_b32_sdwa v10, v0, v1 dst_sel:DWORD dst_unused:UNUSED_PAD src0_sel:BYTE_3 src1_sel:DWORD
	v_lshrrev_b32_e32 v1, 3, v2
	v_cmpx_gt_u32_e32 8, v2
; %bb.78:                               ;   in Loop: Header=BB216_15 Depth=1
	v_ffbh_u32_e32 v1, v10
	v_min_u32_e32 v1, 32, v1
	v_subrev_nc_u32_e32 v2, 28, v1
	v_sub_nc_u32_e32 v1, 29, v1
	v_lshlrev_b64 v[2:3], v2, v[10:11]
	v_and_b32_e32 v10, 7, v2
; %bb.79:                               ;   in Loop: Header=BB216_15 Depth=1
	s_or_b32 exec_lo, exec_lo, s21
	v_mov_b32_e32 v2, 24
	v_lshl_add_u32 v1, v1, 23, 0x3c000000
	v_lshlrev_b32_sdwa v0, v2, v0 dst_sel:DWORD dst_unused:UNUSED_PAD src0_sel:DWORD src1_sel:BYTE_3
	v_lshlrev_b32_e32 v2, 20, v10
	v_and_b32_e32 v0, 0x80000000, v0
	v_or3_b32 v1, v2, v0, v1
	v_mov_b32_e32 v0, v11
	buffer_store_dword v0, off, s[0:3], s32 offset:276 ; 4-byte Folded Spill
	buffer_store_dword v1, off, s[0:3], s32 offset:280 ; 4-byte Folded Spill
.LBB216_80:                             ;   in Loop: Header=BB216_15 Depth=1
	s_or_b32 exec_lo, exec_lo, s20
.LBB216_81:                             ;   in Loop: Header=BB216_15 Depth=1
	s_or_b32 exec_lo, exec_lo, s19
.LBB216_82:                             ;   in Loop: Header=BB216_15 Depth=1
	s_or_b32 exec_lo, exec_lo, s18
	flat_load_dword v0, v[112:113] offset:8
	v_mov_b32_e32 v1, 0
	v_mov_b32_e32 v2, 0
	buffer_store_dword v1, off, s[0:3], s32 offset:300 ; 4-byte Folded Spill
	buffer_store_dword v2, off, s[0:3], s32 offset:304 ; 4-byte Folded Spill
	v_mov_b32_e32 v1, 0
	v_mov_b32_e32 v2, 0
	buffer_store_dword v1, off, s[0:3], s32 offset:292 ; 4-byte Folded Spill
	buffer_store_dword v2, off, s[0:3], s32 offset:296 ; 4-byte Folded Spill
	s_waitcnt vmcnt(0) lgkmcnt(0)
	v_cmp_ne_u16_sdwa s5, v0, v11 src0_sel:BYTE_0 src1_sel:DWORD
	s_and_saveexec_b32 s18, s5
	s_cbranch_execz .LBB216_90
; %bb.83:                               ;   in Loop: Header=BB216_15 Depth=1
	v_bfrev_b32_e32 v1, 1
	v_mov_b32_e32 v2, 0
	buffer_store_dword v1, off, s[0:3], s32 offset:292 ; 4-byte Folded Spill
	buffer_store_dword v2, off, s[0:3], s32 offset:296 ; 4-byte Folded Spill
	v_mov_b32_e32 v1, 0x80
	v_cmp_ne_u16_sdwa s5, v0, v1 src0_sel:BYTE_0 src1_sel:DWORD
	s_and_saveexec_b32 s19, s5
	s_cbranch_execz .LBB216_89
; %bb.84:                               ;   in Loop: Header=BB216_15 Depth=1
	v_mov_b32_e32 v3, 0x7f800001
	v_and_b32_e32 v2, 0x7f, v0
	v_mov_b32_e32 v4, 0
	s_mov_b32 s20, exec_lo
	buffer_store_dword v3, off, s[0:3], s32 offset:292 ; 4-byte Folded Spill
	buffer_store_dword v4, off, s[0:3], s32 offset:296 ; 4-byte Folded Spill
	v_cmpx_ne_u32_e32 0x7f, v2
	s_cbranch_execz .LBB216_88
; %bb.85:                               ;   in Loop: Header=BB216_15 Depth=1
	v_and_b32_e32 v10, 7, v0
	v_lshrrev_b32_e32 v1, 3, v2
	s_mov_b32 s21, exec_lo
	v_cmpx_gt_u32_e32 8, v2
; %bb.86:                               ;   in Loop: Header=BB216_15 Depth=1
	v_ffbh_u32_e32 v1, v10
	v_min_u32_e32 v1, 32, v1
	v_subrev_nc_u32_e32 v2, 28, v1
	v_sub_nc_u32_e32 v1, 29, v1
	v_lshlrev_b64 v[2:3], v2, v[10:11]
	v_and_b32_e32 v10, 7, v2
; %bb.87:                               ;   in Loop: Header=BB216_15 Depth=1
	s_or_b32 exec_lo, exec_lo, s21
	v_lshlrev_b32_e32 v2, 24, v0
	v_lshlrev_b32_e32 v3, 20, v10
	v_lshl_add_u32 v1, v1, 23, 0x3c000000
	v_and_b32_e32 v2, 0x80000000, v2
	v_or3_b32 v10, v3, v2, v1
	buffer_store_dword v10, off, s[0:3], s32 offset:292 ; 4-byte Folded Spill
	buffer_store_dword v11, off, s[0:3], s32 offset:296 ; 4-byte Folded Spill
.LBB216_88:                             ;   in Loop: Header=BB216_15 Depth=1
	s_or_b32 exec_lo, exec_lo, s20
.LBB216_89:                             ;   in Loop: Header=BB216_15 Depth=1
	s_or_b32 exec_lo, exec_lo, s19
.LBB216_90:                             ;   in Loop: Header=BB216_15 Depth=1
	s_or_b32 exec_lo, exec_lo, s18
	v_cmp_ne_u16_sdwa s5, v0, v11 src0_sel:BYTE_1 src1_sel:DWORD
	s_and_saveexec_b32 s18, s5
	s_cbranch_execz .LBB216_98
; %bb.91:                               ;   in Loop: Header=BB216_15 Depth=1
	v_mov_b32_e32 v1, 0x80
	v_mov_b32_e32 v115, v11
	buffer_store_dword v115, off, s[0:3], s32 offset:300 ; 4-byte Folded Spill
	buffer_store_dword v116, off, s[0:3], s32 offset:304 ; 4-byte Folded Spill
	v_cmp_ne_u16_sdwa s5, v0, v1 src0_sel:BYTE_1 src1_sel:DWORD
	s_and_saveexec_b32 s19, s5
	s_cbranch_execz .LBB216_97
; %bb.92:                               ;   in Loop: Header=BB216_15 Depth=1
	s_clause 0x1
	buffer_load_dword v3, off, s[0:3], s32 offset:192
	buffer_load_dword v4, off, s[0:3], s32 offset:196
	v_mov_b32_e32 v1, 0xffff
	s_mov_b32 s20, exec_lo
	v_and_b32_sdwa v1, v1, v0 dst_sel:DWORD dst_unused:UNUSED_PAD src0_sel:DWORD src1_sel:BYTE_1
	v_and_b32_e32 v2, 0x7f, v1
	s_waitcnt vmcnt(0)
	v_mov_b32_e32 v5, v4
	v_mov_b32_e32 v4, v11
	;; [unrolled: 1-line block ×3, first 2 shown]
	buffer_store_dword v2, off, s[0:3], s32 offset:192 ; 4-byte Folded Spill
	buffer_store_dword v3, off, s[0:3], s32 offset:196 ; 4-byte Folded Spill
	;; [unrolled: 1-line block ×4, first 2 shown]
	v_cmpx_ne_u32_e32 0x7f, v2
	s_cbranch_execz .LBB216_96
; %bb.93:                               ;   in Loop: Header=BB216_15 Depth=1
	v_and_b32_e32 v10, 7, v1
	v_lshrrev_b32_e32 v1, 3, v2
	s_mov_b32 s21, exec_lo
	v_cmpx_gt_u32_e32 8, v2
; %bb.94:                               ;   in Loop: Header=BB216_15 Depth=1
	v_ffbh_u32_e32 v1, v10
	v_min_u32_e32 v1, 32, v1
	v_subrev_nc_u32_e32 v2, 28, v1
	v_sub_nc_u32_e32 v1, 29, v1
	v_lshlrev_b64 v[2:3], v2, v[10:11]
	v_and_b32_e32 v10, 7, v2
; %bb.95:                               ;   in Loop: Header=BB216_15 Depth=1
	s_or_b32 exec_lo, exec_lo, s21
	v_lshlrev_b32_e32 v2, 16, v0
	v_lshlrev_b32_e32 v3, 20, v10
	v_lshl_add_u32 v1, v1, 23, 0x3c000000
	v_and_b32_e32 v2, 0x80000000, v2
	v_or3_b32 v2, v3, v2, v1
	v_mov_b32_e32 v1, v11
	buffer_store_dword v1, off, s[0:3], s32 offset:300 ; 4-byte Folded Spill
	buffer_store_dword v2, off, s[0:3], s32 offset:304 ; 4-byte Folded Spill
.LBB216_96:                             ;   in Loop: Header=BB216_15 Depth=1
	s_or_b32 exec_lo, exec_lo, s20
.LBB216_97:                             ;   in Loop: Header=BB216_15 Depth=1
	s_or_b32 exec_lo, exec_lo, s19
.LBB216_98:                             ;   in Loop: Header=BB216_15 Depth=1
	s_or_b32 exec_lo, exec_lo, s18
	v_mov_b32_e32 v2, 0
	v_mov_b32_e32 v3, 0
	;; [unrolled: 1-line block ×3, first 2 shown]
	s_mov_b32 s18, exec_lo
	buffer_store_dword v2, off, s[0:3], s32 offset:308 ; 4-byte Folded Spill
	buffer_store_dword v3, off, s[0:3], s32 offset:312 ; 4-byte Folded Spill
	v_mov_b32_e32 v2, 0
	v_and_b32_sdwa v1, v0, v1 dst_sel:DWORD dst_unused:UNUSED_PAD src0_sel:WORD_1 src1_sel:DWORD
	v_mov_b32_e32 v3, 0
	buffer_store_dword v2, off, s[0:3], s32 offset:316 ; 4-byte Folded Spill
	buffer_store_dword v3, off, s[0:3], s32 offset:320 ; 4-byte Folded Spill
	v_cmpx_ne_u16_e32 0, v1
	s_cbranch_execz .LBB216_106
; %bb.99:                               ;   in Loop: Header=BB216_15 Depth=1
	v_cmp_ne_u16_e64 s5, 0x80, v1
	v_bfrev_b32_e32 v1, 1
	v_mov_b32_e32 v2, 0
	buffer_store_dword v1, off, s[0:3], s32 offset:316 ; 4-byte Folded Spill
	buffer_store_dword v2, off, s[0:3], s32 offset:320 ; 4-byte Folded Spill
	s_and_saveexec_b32 s19, s5
	s_cbranch_execz .LBB216_105
; %bb.100:                              ;   in Loop: Header=BB216_15 Depth=1
	v_mov_b32_e32 v3, 0x7f800001
	v_bfe_u32 v2, v0, 16, 7
	v_mov_b32_e32 v4, 0
	s_mov_b32 s20, exec_lo
	buffer_store_dword v3, off, s[0:3], s32 offset:316 ; 4-byte Folded Spill
	buffer_store_dword v4, off, s[0:3], s32 offset:320 ; 4-byte Folded Spill
	v_cmpx_ne_u32_e32 0x7f, v2
	s_cbranch_execz .LBB216_104
; %bb.101:                              ;   in Loop: Header=BB216_15 Depth=1
	v_mov_b32_e32 v1, 7
	s_mov_b32 s21, exec_lo
	v_and_b32_sdwa v10, v0, v1 dst_sel:DWORD dst_unused:UNUSED_PAD src0_sel:WORD_1 src1_sel:DWORD
	v_lshrrev_b32_e32 v1, 3, v2
	v_cmpx_gt_u32_e32 8, v2
; %bb.102:                              ;   in Loop: Header=BB216_15 Depth=1
	v_ffbh_u32_e32 v1, v10
	v_min_u32_e32 v1, 32, v1
	v_subrev_nc_u32_e32 v2, 28, v1
	v_sub_nc_u32_e32 v1, 29, v1
	v_lshlrev_b64 v[2:3], v2, v[10:11]
	v_and_b32_e32 v10, 7, v2
; %bb.103:                              ;   in Loop: Header=BB216_15 Depth=1
	s_or_b32 exec_lo, exec_lo, s21
	v_mov_b32_e32 v2, 24
	v_lshlrev_b32_e32 v3, 20, v10
	v_lshl_add_u32 v1, v1, 23, 0x3c000000
	v_lshlrev_b32_sdwa v2, v2, v0 dst_sel:DWORD dst_unused:UNUSED_PAD src0_sel:DWORD src1_sel:WORD_1
	v_and_b32_e32 v2, 0x80000000, v2
	v_or3_b32 v10, v3, v2, v1
	buffer_store_dword v10, off, s[0:3], s32 offset:316 ; 4-byte Folded Spill
	buffer_store_dword v11, off, s[0:3], s32 offset:320 ; 4-byte Folded Spill
.LBB216_104:                            ;   in Loop: Header=BB216_15 Depth=1
	s_or_b32 exec_lo, exec_lo, s20
.LBB216_105:                            ;   in Loop: Header=BB216_15 Depth=1
	s_or_b32 exec_lo, exec_lo, s19
.LBB216_106:                            ;   in Loop: Header=BB216_15 Depth=1
	s_or_b32 exec_lo, exec_lo, s18
	s_mov_b32 s18, exec_lo
	v_cmpx_lt_u32_e32 0xffffff, v0
	s_cbranch_execz .LBB216_114
; %bb.107:                              ;   in Loop: Header=BB216_15 Depth=1
	v_mov_b32_e32 v1, 0x80
	v_mov_b32_e32 v115, v11
	buffer_store_dword v115, off, s[0:3], s32 offset:308 ; 4-byte Folded Spill
	buffer_store_dword v116, off, s[0:3], s32 offset:312 ; 4-byte Folded Spill
	v_cmp_ne_u32_sdwa s5, v0, v1 src0_sel:BYTE_3 src1_sel:DWORD
	s_and_saveexec_b32 s19, s5
	s_cbranch_execz .LBB216_113
; %bb.108:                              ;   in Loop: Header=BB216_15 Depth=1
	s_clause 0x1
	buffer_load_dword v3, off, s[0:3], s32 offset:192
	buffer_load_dword v4, off, s[0:3], s32 offset:196
	v_bfe_u32 v2, v0, 24, 7
	s_waitcnt vmcnt(1)
	v_mov_b32_e32 v3, v11
	s_mov_b32 s20, exec_lo
	s_waitcnt vmcnt(0)
	v_mov_b32_e32 v1, v4
	buffer_store_dword v0, off, s[0:3], s32 offset:192 ; 4-byte Folded Spill
	buffer_store_dword v1, off, s[0:3], s32 offset:196 ; 4-byte Folded Spill
	;; [unrolled: 1-line block ×4, first 2 shown]
	v_cmpx_ne_u32_e32 0x7f, v2
	s_cbranch_execz .LBB216_112
; %bb.109:                              ;   in Loop: Header=BB216_15 Depth=1
	v_mov_b32_e32 v1, 7
	s_mov_b32 s21, exec_lo
	v_and_b32_sdwa v10, v0, v1 dst_sel:DWORD dst_unused:UNUSED_PAD src0_sel:BYTE_3 src1_sel:DWORD
	v_lshrrev_b32_e32 v1, 3, v2
	v_cmpx_gt_u32_e32 8, v2
; %bb.110:                              ;   in Loop: Header=BB216_15 Depth=1
	v_ffbh_u32_e32 v1, v10
	v_min_u32_e32 v1, 32, v1
	v_subrev_nc_u32_e32 v2, 28, v1
	v_sub_nc_u32_e32 v1, 29, v1
	v_lshlrev_b64 v[2:3], v2, v[10:11]
	v_and_b32_e32 v10, 7, v2
; %bb.111:                              ;   in Loop: Header=BB216_15 Depth=1
	s_or_b32 exec_lo, exec_lo, s21
	v_mov_b32_e32 v2, 24
	v_lshl_add_u32 v1, v1, 23, 0x3c000000
	v_lshlrev_b32_sdwa v0, v2, v0 dst_sel:DWORD dst_unused:UNUSED_PAD src0_sel:DWORD src1_sel:BYTE_3
	v_lshlrev_b32_e32 v2, 20, v10
	v_and_b32_e32 v0, 0x80000000, v0
	v_or3_b32 v1, v2, v0, v1
	v_mov_b32_e32 v0, v11
	buffer_store_dword v0, off, s[0:3], s32 offset:308 ; 4-byte Folded Spill
	buffer_store_dword v1, off, s[0:3], s32 offset:312 ; 4-byte Folded Spill
.LBB216_112:                            ;   in Loop: Header=BB216_15 Depth=1
	s_or_b32 exec_lo, exec_lo, s20
.LBB216_113:                            ;   in Loop: Header=BB216_15 Depth=1
	s_or_b32 exec_lo, exec_lo, s19
.LBB216_114:                            ;   in Loop: Header=BB216_15 Depth=1
	s_or_b32 exec_lo, exec_lo, s18
	flat_load_dword v0, v[112:113] offset:12
	v_mov_b32_e32 v1, 0
	v_mov_b32_e32 v2, 0
	buffer_store_dword v1, off, s[0:3], s32 offset:332 ; 4-byte Folded Spill
	buffer_store_dword v2, off, s[0:3], s32 offset:336 ; 4-byte Folded Spill
	v_mov_b32_e32 v1, 0
	v_mov_b32_e32 v2, 0
	buffer_store_dword v1, off, s[0:3], s32 offset:324 ; 4-byte Folded Spill
	buffer_store_dword v2, off, s[0:3], s32 offset:328 ; 4-byte Folded Spill
	s_waitcnt vmcnt(0) lgkmcnt(0)
	v_cmp_ne_u16_sdwa s5, v0, v11 src0_sel:BYTE_0 src1_sel:DWORD
	s_and_saveexec_b32 s18, s5
	s_cbranch_execz .LBB216_122
; %bb.115:                              ;   in Loop: Header=BB216_15 Depth=1
	v_bfrev_b32_e32 v1, 1
	v_mov_b32_e32 v2, 0
	buffer_store_dword v1, off, s[0:3], s32 offset:324 ; 4-byte Folded Spill
	buffer_store_dword v2, off, s[0:3], s32 offset:328 ; 4-byte Folded Spill
	v_mov_b32_e32 v1, 0x80
	v_cmp_ne_u16_sdwa s5, v0, v1 src0_sel:BYTE_0 src1_sel:DWORD
	s_and_saveexec_b32 s19, s5
	s_cbranch_execz .LBB216_121
; %bb.116:                              ;   in Loop: Header=BB216_15 Depth=1
	v_mov_b32_e32 v3, 0x7f800001
	v_and_b32_e32 v2, 0x7f, v0
	v_mov_b32_e32 v4, 0
	s_mov_b32 s20, exec_lo
	buffer_store_dword v3, off, s[0:3], s32 offset:324 ; 4-byte Folded Spill
	buffer_store_dword v4, off, s[0:3], s32 offset:328 ; 4-byte Folded Spill
	v_cmpx_ne_u32_e32 0x7f, v2
	s_cbranch_execz .LBB216_120
; %bb.117:                              ;   in Loop: Header=BB216_15 Depth=1
	v_and_b32_e32 v10, 7, v0
	v_lshrrev_b32_e32 v1, 3, v2
	s_mov_b32 s21, exec_lo
	v_cmpx_gt_u32_e32 8, v2
; %bb.118:                              ;   in Loop: Header=BB216_15 Depth=1
	v_ffbh_u32_e32 v1, v10
	v_min_u32_e32 v1, 32, v1
	v_subrev_nc_u32_e32 v2, 28, v1
	v_sub_nc_u32_e32 v1, 29, v1
	v_lshlrev_b64 v[2:3], v2, v[10:11]
	v_and_b32_e32 v10, 7, v2
; %bb.119:                              ;   in Loop: Header=BB216_15 Depth=1
	s_or_b32 exec_lo, exec_lo, s21
	v_lshlrev_b32_e32 v2, 24, v0
	v_lshlrev_b32_e32 v3, 20, v10
	v_lshl_add_u32 v1, v1, 23, 0x3c000000
	v_and_b32_e32 v2, 0x80000000, v2
	v_or3_b32 v10, v3, v2, v1
	buffer_store_dword v10, off, s[0:3], s32 offset:324 ; 4-byte Folded Spill
	buffer_store_dword v11, off, s[0:3], s32 offset:328 ; 4-byte Folded Spill
.LBB216_120:                            ;   in Loop: Header=BB216_15 Depth=1
	s_or_b32 exec_lo, exec_lo, s20
.LBB216_121:                            ;   in Loop: Header=BB216_15 Depth=1
	s_or_b32 exec_lo, exec_lo, s19
.LBB216_122:                            ;   in Loop: Header=BB216_15 Depth=1
	s_or_b32 exec_lo, exec_lo, s18
	v_cmp_ne_u16_sdwa s5, v0, v11 src0_sel:BYTE_1 src1_sel:DWORD
	s_and_saveexec_b32 s18, s5
	s_cbranch_execz .LBB216_130
; %bb.123:                              ;   in Loop: Header=BB216_15 Depth=1
	v_mov_b32_e32 v1, 0x80
	v_mov_b32_e32 v115, v11
	buffer_store_dword v115, off, s[0:3], s32 offset:332 ; 4-byte Folded Spill
	buffer_store_dword v116, off, s[0:3], s32 offset:336 ; 4-byte Folded Spill
	v_cmp_ne_u16_sdwa s5, v0, v1 src0_sel:BYTE_1 src1_sel:DWORD
	s_and_saveexec_b32 s19, s5
	s_cbranch_execz .LBB216_129
; %bb.124:                              ;   in Loop: Header=BB216_15 Depth=1
	s_clause 0x1
	buffer_load_dword v3, off, s[0:3], s32 offset:192
	buffer_load_dword v4, off, s[0:3], s32 offset:196
	v_mov_b32_e32 v1, 0xffff
	s_mov_b32 s20, exec_lo
	v_and_b32_sdwa v1, v1, v0 dst_sel:DWORD dst_unused:UNUSED_PAD src0_sel:DWORD src1_sel:BYTE_1
	v_and_b32_e32 v2, 0x7f, v1
	s_waitcnt vmcnt(0)
	v_mov_b32_e32 v5, v4
	v_mov_b32_e32 v4, v11
	v_mov_b32_e32 v3, v5
	buffer_store_dword v2, off, s[0:3], s32 offset:192 ; 4-byte Folded Spill
	buffer_store_dword v3, off, s[0:3], s32 offset:196 ; 4-byte Folded Spill
	;; [unrolled: 1-line block ×4, first 2 shown]
	v_cmpx_ne_u32_e32 0x7f, v2
	s_cbranch_execz .LBB216_128
; %bb.125:                              ;   in Loop: Header=BB216_15 Depth=1
	v_and_b32_e32 v10, 7, v1
	v_lshrrev_b32_e32 v1, 3, v2
	s_mov_b32 s21, exec_lo
	v_cmpx_gt_u32_e32 8, v2
; %bb.126:                              ;   in Loop: Header=BB216_15 Depth=1
	v_ffbh_u32_e32 v1, v10
	v_min_u32_e32 v1, 32, v1
	v_subrev_nc_u32_e32 v2, 28, v1
	v_sub_nc_u32_e32 v1, 29, v1
	v_lshlrev_b64 v[2:3], v2, v[10:11]
	v_and_b32_e32 v10, 7, v2
; %bb.127:                              ;   in Loop: Header=BB216_15 Depth=1
	s_or_b32 exec_lo, exec_lo, s21
	v_lshlrev_b32_e32 v2, 16, v0
	v_lshlrev_b32_e32 v3, 20, v10
	v_lshl_add_u32 v1, v1, 23, 0x3c000000
	v_and_b32_e32 v2, 0x80000000, v2
	v_or3_b32 v2, v3, v2, v1
	v_mov_b32_e32 v1, v11
	buffer_store_dword v1, off, s[0:3], s32 offset:332 ; 4-byte Folded Spill
	buffer_store_dword v2, off, s[0:3], s32 offset:336 ; 4-byte Folded Spill
.LBB216_128:                            ;   in Loop: Header=BB216_15 Depth=1
	s_or_b32 exec_lo, exec_lo, s20
.LBB216_129:                            ;   in Loop: Header=BB216_15 Depth=1
	s_or_b32 exec_lo, exec_lo, s19
.LBB216_130:                            ;   in Loop: Header=BB216_15 Depth=1
	s_or_b32 exec_lo, exec_lo, s18
	v_mov_b32_e32 v2, 0
	v_mov_b32_e32 v3, 0
	;; [unrolled: 1-line block ×3, first 2 shown]
	s_mov_b32 s18, exec_lo
	buffer_store_dword v2, off, s[0:3], s32 offset:340 ; 4-byte Folded Spill
	buffer_store_dword v3, off, s[0:3], s32 offset:344 ; 4-byte Folded Spill
	v_mov_b32_e32 v2, 0
	v_and_b32_sdwa v1, v0, v1 dst_sel:DWORD dst_unused:UNUSED_PAD src0_sel:WORD_1 src1_sel:DWORD
	v_mov_b32_e32 v3, 0
	buffer_store_dword v2, off, s[0:3], s32 offset:348 ; 4-byte Folded Spill
	buffer_store_dword v3, off, s[0:3], s32 offset:352 ; 4-byte Folded Spill
	v_cmpx_ne_u16_e32 0, v1
	s_cbranch_execz .LBB216_138
; %bb.131:                              ;   in Loop: Header=BB216_15 Depth=1
	v_cmp_ne_u16_e64 s5, 0x80, v1
	v_bfrev_b32_e32 v1, 1
	v_mov_b32_e32 v2, 0
	buffer_store_dword v1, off, s[0:3], s32 offset:348 ; 4-byte Folded Spill
	buffer_store_dword v2, off, s[0:3], s32 offset:352 ; 4-byte Folded Spill
	s_and_saveexec_b32 s19, s5
	s_cbranch_execz .LBB216_137
; %bb.132:                              ;   in Loop: Header=BB216_15 Depth=1
	v_mov_b32_e32 v3, 0x7f800001
	v_bfe_u32 v2, v0, 16, 7
	v_mov_b32_e32 v4, 0
	s_mov_b32 s20, exec_lo
	buffer_store_dword v3, off, s[0:3], s32 offset:348 ; 4-byte Folded Spill
	buffer_store_dword v4, off, s[0:3], s32 offset:352 ; 4-byte Folded Spill
	v_cmpx_ne_u32_e32 0x7f, v2
	s_cbranch_execz .LBB216_136
; %bb.133:                              ;   in Loop: Header=BB216_15 Depth=1
	v_mov_b32_e32 v1, 7
	s_mov_b32 s21, exec_lo
	v_and_b32_sdwa v10, v0, v1 dst_sel:DWORD dst_unused:UNUSED_PAD src0_sel:WORD_1 src1_sel:DWORD
	v_lshrrev_b32_e32 v1, 3, v2
	v_cmpx_gt_u32_e32 8, v2
; %bb.134:                              ;   in Loop: Header=BB216_15 Depth=1
	v_ffbh_u32_e32 v1, v10
	v_min_u32_e32 v1, 32, v1
	v_subrev_nc_u32_e32 v2, 28, v1
	v_sub_nc_u32_e32 v1, 29, v1
	v_lshlrev_b64 v[2:3], v2, v[10:11]
	v_and_b32_e32 v10, 7, v2
; %bb.135:                              ;   in Loop: Header=BB216_15 Depth=1
	s_or_b32 exec_lo, exec_lo, s21
	v_mov_b32_e32 v2, 24
	v_lshlrev_b32_e32 v3, 20, v10
	v_lshl_add_u32 v1, v1, 23, 0x3c000000
	v_lshlrev_b32_sdwa v2, v2, v0 dst_sel:DWORD dst_unused:UNUSED_PAD src0_sel:DWORD src1_sel:WORD_1
	v_and_b32_e32 v2, 0x80000000, v2
	v_or3_b32 v10, v3, v2, v1
	buffer_store_dword v10, off, s[0:3], s32 offset:348 ; 4-byte Folded Spill
	buffer_store_dword v11, off, s[0:3], s32 offset:352 ; 4-byte Folded Spill
.LBB216_136:                            ;   in Loop: Header=BB216_15 Depth=1
	s_or_b32 exec_lo, exec_lo, s20
.LBB216_137:                            ;   in Loop: Header=BB216_15 Depth=1
	s_or_b32 exec_lo, exec_lo, s19
.LBB216_138:                            ;   in Loop: Header=BB216_15 Depth=1
	s_or_b32 exec_lo, exec_lo, s18
	s_mov_b32 s18, exec_lo
	v_cmpx_lt_u32_e32 0xffffff, v0
	s_cbranch_execz .LBB216_146
; %bb.139:                              ;   in Loop: Header=BB216_15 Depth=1
	v_mov_b32_e32 v1, 0x80
	v_mov_b32_e32 v115, v11
	buffer_store_dword v115, off, s[0:3], s32 offset:340 ; 4-byte Folded Spill
	buffer_store_dword v116, off, s[0:3], s32 offset:344 ; 4-byte Folded Spill
	v_cmp_ne_u32_sdwa s5, v0, v1 src0_sel:BYTE_3 src1_sel:DWORD
	s_and_saveexec_b32 s19, s5
	s_cbranch_execz .LBB216_145
; %bb.140:                              ;   in Loop: Header=BB216_15 Depth=1
	s_clause 0x1
	buffer_load_dword v3, off, s[0:3], s32 offset:192
	buffer_load_dword v4, off, s[0:3], s32 offset:196
	v_bfe_u32 v2, v0, 24, 7
	s_waitcnt vmcnt(1)
	v_mov_b32_e32 v3, v11
	s_mov_b32 s20, exec_lo
	s_waitcnt vmcnt(0)
	v_mov_b32_e32 v1, v4
	buffer_store_dword v0, off, s[0:3], s32 offset:192 ; 4-byte Folded Spill
	buffer_store_dword v1, off, s[0:3], s32 offset:196 ; 4-byte Folded Spill
	buffer_store_dword v3, off, s[0:3], s32 offset:340 ; 4-byte Folded Spill
	buffer_store_dword v4, off, s[0:3], s32 offset:344 ; 4-byte Folded Spill
	v_cmpx_ne_u32_e32 0x7f, v2
	s_cbranch_execz .LBB216_144
; %bb.141:                              ;   in Loop: Header=BB216_15 Depth=1
	v_mov_b32_e32 v1, 7
	s_mov_b32 s21, exec_lo
	v_and_b32_sdwa v10, v0, v1 dst_sel:DWORD dst_unused:UNUSED_PAD src0_sel:BYTE_3 src1_sel:DWORD
	v_lshrrev_b32_e32 v1, 3, v2
	v_cmpx_gt_u32_e32 8, v2
; %bb.142:                              ;   in Loop: Header=BB216_15 Depth=1
	v_ffbh_u32_e32 v1, v10
	v_min_u32_e32 v1, 32, v1
	v_subrev_nc_u32_e32 v2, 28, v1
	v_sub_nc_u32_e32 v1, 29, v1
	v_lshlrev_b64 v[2:3], v2, v[10:11]
	v_and_b32_e32 v10, 7, v2
; %bb.143:                              ;   in Loop: Header=BB216_15 Depth=1
	s_or_b32 exec_lo, exec_lo, s21
	v_mov_b32_e32 v2, 24
	v_lshl_add_u32 v1, v1, 23, 0x3c000000
	v_lshlrev_b32_sdwa v0, v2, v0 dst_sel:DWORD dst_unused:UNUSED_PAD src0_sel:DWORD src1_sel:BYTE_3
	v_lshlrev_b32_e32 v2, 20, v10
	v_and_b32_e32 v0, 0x80000000, v0
	v_or3_b32 v1, v2, v0, v1
	v_mov_b32_e32 v0, v11
	buffer_store_dword v0, off, s[0:3], s32 offset:340 ; 4-byte Folded Spill
	buffer_store_dword v1, off, s[0:3], s32 offset:344 ; 4-byte Folded Spill
.LBB216_144:                            ;   in Loop: Header=BB216_15 Depth=1
	s_or_b32 exec_lo, exec_lo, s20
.LBB216_145:                            ;   in Loop: Header=BB216_15 Depth=1
	s_or_b32 exec_lo, exec_lo, s19
.LBB216_146:                            ;   in Loop: Header=BB216_15 Depth=1
	s_or_b32 exec_lo, exec_lo, s18
	flat_load_dword v0, v[112:113] offset:512
	v_mov_b32_e32 v1, 0
	v_mov_b32_e32 v2, 0
	buffer_store_dword v1, off, s[0:3], s32 offset:364 ; 4-byte Folded Spill
	buffer_store_dword v2, off, s[0:3], s32 offset:368 ; 4-byte Folded Spill
	v_mov_b32_e32 v1, 0
	v_mov_b32_e32 v2, 0
	buffer_store_dword v1, off, s[0:3], s32 offset:356 ; 4-byte Folded Spill
	buffer_store_dword v2, off, s[0:3], s32 offset:360 ; 4-byte Folded Spill
	s_waitcnt vmcnt(0) lgkmcnt(0)
	v_cmp_ne_u16_sdwa s5, v0, v11 src0_sel:BYTE_0 src1_sel:DWORD
	s_and_saveexec_b32 s18, s5
	s_cbranch_execz .LBB216_154
; %bb.147:                              ;   in Loop: Header=BB216_15 Depth=1
	v_bfrev_b32_e32 v1, 1
	v_mov_b32_e32 v2, 0
	buffer_store_dword v1, off, s[0:3], s32 offset:356 ; 4-byte Folded Spill
	buffer_store_dword v2, off, s[0:3], s32 offset:360 ; 4-byte Folded Spill
	v_mov_b32_e32 v1, 0x80
	v_cmp_ne_u16_sdwa s5, v0, v1 src0_sel:BYTE_0 src1_sel:DWORD
	s_and_saveexec_b32 s19, s5
	s_cbranch_execz .LBB216_153
; %bb.148:                              ;   in Loop: Header=BB216_15 Depth=1
	v_mov_b32_e32 v3, 0x7f800001
	v_and_b32_e32 v2, 0x7f, v0
	v_mov_b32_e32 v4, 0
	s_mov_b32 s20, exec_lo
	buffer_store_dword v3, off, s[0:3], s32 offset:356 ; 4-byte Folded Spill
	buffer_store_dword v4, off, s[0:3], s32 offset:360 ; 4-byte Folded Spill
	v_cmpx_ne_u32_e32 0x7f, v2
	s_cbranch_execz .LBB216_152
; %bb.149:                              ;   in Loop: Header=BB216_15 Depth=1
	v_and_b32_e32 v10, 7, v0
	v_lshrrev_b32_e32 v1, 3, v2
	s_mov_b32 s21, exec_lo
	v_cmpx_gt_u32_e32 8, v2
; %bb.150:                              ;   in Loop: Header=BB216_15 Depth=1
	v_ffbh_u32_e32 v1, v10
	v_min_u32_e32 v1, 32, v1
	v_subrev_nc_u32_e32 v2, 28, v1
	v_sub_nc_u32_e32 v1, 29, v1
	v_lshlrev_b64 v[2:3], v2, v[10:11]
	v_and_b32_e32 v10, 7, v2
; %bb.151:                              ;   in Loop: Header=BB216_15 Depth=1
	s_or_b32 exec_lo, exec_lo, s21
	v_lshlrev_b32_e32 v2, 24, v0
	v_lshlrev_b32_e32 v3, 20, v10
	v_lshl_add_u32 v1, v1, 23, 0x3c000000
	v_and_b32_e32 v2, 0x80000000, v2
	v_or3_b32 v10, v3, v2, v1
	buffer_store_dword v10, off, s[0:3], s32 offset:356 ; 4-byte Folded Spill
	buffer_store_dword v11, off, s[0:3], s32 offset:360 ; 4-byte Folded Spill
.LBB216_152:                            ;   in Loop: Header=BB216_15 Depth=1
	s_or_b32 exec_lo, exec_lo, s20
.LBB216_153:                            ;   in Loop: Header=BB216_15 Depth=1
	s_or_b32 exec_lo, exec_lo, s19
.LBB216_154:                            ;   in Loop: Header=BB216_15 Depth=1
	s_or_b32 exec_lo, exec_lo, s18
	v_cmp_ne_u16_sdwa s5, v0, v11 src0_sel:BYTE_1 src1_sel:DWORD
	s_and_saveexec_b32 s18, s5
	s_cbranch_execz .LBB216_162
; %bb.155:                              ;   in Loop: Header=BB216_15 Depth=1
	v_mov_b32_e32 v1, 0x80
	v_mov_b32_e32 v115, v11
	buffer_store_dword v115, off, s[0:3], s32 offset:364 ; 4-byte Folded Spill
	buffer_store_dword v116, off, s[0:3], s32 offset:368 ; 4-byte Folded Spill
	v_cmp_ne_u16_sdwa s5, v0, v1 src0_sel:BYTE_1 src1_sel:DWORD
	s_and_saveexec_b32 s19, s5
	s_cbranch_execz .LBB216_161
; %bb.156:                              ;   in Loop: Header=BB216_15 Depth=1
	s_clause 0x1
	buffer_load_dword v3, off, s[0:3], s32 offset:192
	buffer_load_dword v4, off, s[0:3], s32 offset:196
	v_mov_b32_e32 v1, 0xffff
	s_mov_b32 s20, exec_lo
	v_and_b32_sdwa v1, v1, v0 dst_sel:DWORD dst_unused:UNUSED_PAD src0_sel:DWORD src1_sel:BYTE_1
	v_and_b32_e32 v2, 0x7f, v1
	s_waitcnt vmcnt(0)
	v_mov_b32_e32 v5, v4
	v_mov_b32_e32 v4, v11
	;; [unrolled: 1-line block ×3, first 2 shown]
	buffer_store_dword v2, off, s[0:3], s32 offset:192 ; 4-byte Folded Spill
	buffer_store_dword v3, off, s[0:3], s32 offset:196 ; 4-byte Folded Spill
	buffer_store_dword v4, off, s[0:3], s32 offset:364 ; 4-byte Folded Spill
	buffer_store_dword v5, off, s[0:3], s32 offset:368 ; 4-byte Folded Spill
	v_cmpx_ne_u32_e32 0x7f, v2
	s_cbranch_execz .LBB216_160
; %bb.157:                              ;   in Loop: Header=BB216_15 Depth=1
	v_and_b32_e32 v10, 7, v1
	v_lshrrev_b32_e32 v1, 3, v2
	s_mov_b32 s21, exec_lo
	v_cmpx_gt_u32_e32 8, v2
; %bb.158:                              ;   in Loop: Header=BB216_15 Depth=1
	v_ffbh_u32_e32 v1, v10
	v_min_u32_e32 v1, 32, v1
	v_subrev_nc_u32_e32 v2, 28, v1
	v_sub_nc_u32_e32 v1, 29, v1
	v_lshlrev_b64 v[2:3], v2, v[10:11]
	v_and_b32_e32 v10, 7, v2
; %bb.159:                              ;   in Loop: Header=BB216_15 Depth=1
	s_or_b32 exec_lo, exec_lo, s21
	v_lshlrev_b32_e32 v2, 16, v0
	v_lshlrev_b32_e32 v3, 20, v10
	v_lshl_add_u32 v1, v1, 23, 0x3c000000
	v_and_b32_e32 v2, 0x80000000, v2
	v_or3_b32 v2, v3, v2, v1
	v_mov_b32_e32 v1, v11
	buffer_store_dword v1, off, s[0:3], s32 offset:364 ; 4-byte Folded Spill
	buffer_store_dword v2, off, s[0:3], s32 offset:368 ; 4-byte Folded Spill
.LBB216_160:                            ;   in Loop: Header=BB216_15 Depth=1
	s_or_b32 exec_lo, exec_lo, s20
.LBB216_161:                            ;   in Loop: Header=BB216_15 Depth=1
	s_or_b32 exec_lo, exec_lo, s19
.LBB216_162:                            ;   in Loop: Header=BB216_15 Depth=1
	s_or_b32 exec_lo, exec_lo, s18
	v_mov_b32_e32 v2, 0
	v_mov_b32_e32 v3, 0
	;; [unrolled: 1-line block ×3, first 2 shown]
	s_mov_b32 s18, exec_lo
	buffer_store_dword v2, off, s[0:3], s32 offset:372 ; 4-byte Folded Spill
	buffer_store_dword v3, off, s[0:3], s32 offset:376 ; 4-byte Folded Spill
	v_mov_b32_e32 v2, 0
	v_and_b32_sdwa v1, v0, v1 dst_sel:DWORD dst_unused:UNUSED_PAD src0_sel:WORD_1 src1_sel:DWORD
	v_mov_b32_e32 v3, 0
	buffer_store_dword v2, off, s[0:3], s32 offset:380 ; 4-byte Folded Spill
	buffer_store_dword v3, off, s[0:3], s32 offset:384 ; 4-byte Folded Spill
	v_cmpx_ne_u16_e32 0, v1
	s_cbranch_execz .LBB216_170
; %bb.163:                              ;   in Loop: Header=BB216_15 Depth=1
	v_cmp_ne_u16_e64 s5, 0x80, v1
	v_bfrev_b32_e32 v1, 1
	v_mov_b32_e32 v2, 0
	buffer_store_dword v1, off, s[0:3], s32 offset:380 ; 4-byte Folded Spill
	buffer_store_dword v2, off, s[0:3], s32 offset:384 ; 4-byte Folded Spill
	s_and_saveexec_b32 s19, s5
	s_cbranch_execz .LBB216_169
; %bb.164:                              ;   in Loop: Header=BB216_15 Depth=1
	v_mov_b32_e32 v3, 0x7f800001
	v_bfe_u32 v2, v0, 16, 7
	v_mov_b32_e32 v4, 0
	s_mov_b32 s20, exec_lo
	buffer_store_dword v3, off, s[0:3], s32 offset:380 ; 4-byte Folded Spill
	buffer_store_dword v4, off, s[0:3], s32 offset:384 ; 4-byte Folded Spill
	v_cmpx_ne_u32_e32 0x7f, v2
	s_cbranch_execz .LBB216_168
; %bb.165:                              ;   in Loop: Header=BB216_15 Depth=1
	v_mov_b32_e32 v1, 7
	s_mov_b32 s21, exec_lo
	v_and_b32_sdwa v10, v0, v1 dst_sel:DWORD dst_unused:UNUSED_PAD src0_sel:WORD_1 src1_sel:DWORD
	v_lshrrev_b32_e32 v1, 3, v2
	v_cmpx_gt_u32_e32 8, v2
; %bb.166:                              ;   in Loop: Header=BB216_15 Depth=1
	v_ffbh_u32_e32 v1, v10
	v_min_u32_e32 v1, 32, v1
	v_subrev_nc_u32_e32 v2, 28, v1
	v_sub_nc_u32_e32 v1, 29, v1
	v_lshlrev_b64 v[2:3], v2, v[10:11]
	v_and_b32_e32 v10, 7, v2
; %bb.167:                              ;   in Loop: Header=BB216_15 Depth=1
	s_or_b32 exec_lo, exec_lo, s21
	v_mov_b32_e32 v2, 24
	v_lshlrev_b32_e32 v3, 20, v10
	v_lshl_add_u32 v1, v1, 23, 0x3c000000
	v_lshlrev_b32_sdwa v2, v2, v0 dst_sel:DWORD dst_unused:UNUSED_PAD src0_sel:DWORD src1_sel:WORD_1
	v_and_b32_e32 v2, 0x80000000, v2
	v_or3_b32 v10, v3, v2, v1
	buffer_store_dword v10, off, s[0:3], s32 offset:380 ; 4-byte Folded Spill
	buffer_store_dword v11, off, s[0:3], s32 offset:384 ; 4-byte Folded Spill
.LBB216_168:                            ;   in Loop: Header=BB216_15 Depth=1
	s_or_b32 exec_lo, exec_lo, s20
.LBB216_169:                            ;   in Loop: Header=BB216_15 Depth=1
	s_or_b32 exec_lo, exec_lo, s19
.LBB216_170:                            ;   in Loop: Header=BB216_15 Depth=1
	s_or_b32 exec_lo, exec_lo, s18
	s_mov_b32 s18, exec_lo
	v_cmpx_lt_u32_e32 0xffffff, v0
	s_cbranch_execz .LBB216_178
; %bb.171:                              ;   in Loop: Header=BB216_15 Depth=1
	v_mov_b32_e32 v1, 0x80
	v_mov_b32_e32 v115, v11
	buffer_store_dword v115, off, s[0:3], s32 offset:372 ; 4-byte Folded Spill
	buffer_store_dword v116, off, s[0:3], s32 offset:376 ; 4-byte Folded Spill
	v_cmp_ne_u32_sdwa s5, v0, v1 src0_sel:BYTE_3 src1_sel:DWORD
	s_and_saveexec_b32 s19, s5
	s_cbranch_execz .LBB216_177
; %bb.172:                              ;   in Loop: Header=BB216_15 Depth=1
	s_clause 0x1
	buffer_load_dword v3, off, s[0:3], s32 offset:192
	buffer_load_dword v4, off, s[0:3], s32 offset:196
	v_bfe_u32 v2, v0, 24, 7
	s_waitcnt vmcnt(1)
	v_mov_b32_e32 v3, v11
	s_mov_b32 s20, exec_lo
	s_waitcnt vmcnt(0)
	v_mov_b32_e32 v1, v4
	buffer_store_dword v0, off, s[0:3], s32 offset:192 ; 4-byte Folded Spill
	buffer_store_dword v1, off, s[0:3], s32 offset:196 ; 4-byte Folded Spill
	;; [unrolled: 1-line block ×4, first 2 shown]
	v_cmpx_ne_u32_e32 0x7f, v2
	s_cbranch_execz .LBB216_176
; %bb.173:                              ;   in Loop: Header=BB216_15 Depth=1
	v_mov_b32_e32 v1, 7
	s_mov_b32 s21, exec_lo
	v_and_b32_sdwa v10, v0, v1 dst_sel:DWORD dst_unused:UNUSED_PAD src0_sel:BYTE_3 src1_sel:DWORD
	v_lshrrev_b32_e32 v1, 3, v2
	v_cmpx_gt_u32_e32 8, v2
; %bb.174:                              ;   in Loop: Header=BB216_15 Depth=1
	v_ffbh_u32_e32 v1, v10
	v_min_u32_e32 v1, 32, v1
	v_subrev_nc_u32_e32 v2, 28, v1
	v_sub_nc_u32_e32 v1, 29, v1
	v_lshlrev_b64 v[2:3], v2, v[10:11]
	v_and_b32_e32 v10, 7, v2
; %bb.175:                              ;   in Loop: Header=BB216_15 Depth=1
	s_or_b32 exec_lo, exec_lo, s21
	v_mov_b32_e32 v2, 24
	v_lshl_add_u32 v1, v1, 23, 0x3c000000
	v_lshlrev_b32_sdwa v0, v2, v0 dst_sel:DWORD dst_unused:UNUSED_PAD src0_sel:DWORD src1_sel:BYTE_3
	v_lshlrev_b32_e32 v2, 20, v10
	v_and_b32_e32 v0, 0x80000000, v0
	v_or3_b32 v1, v2, v0, v1
	v_mov_b32_e32 v0, v11
	buffer_store_dword v0, off, s[0:3], s32 offset:372 ; 4-byte Folded Spill
	buffer_store_dword v1, off, s[0:3], s32 offset:376 ; 4-byte Folded Spill
.LBB216_176:                            ;   in Loop: Header=BB216_15 Depth=1
	s_or_b32 exec_lo, exec_lo, s20
.LBB216_177:                            ;   in Loop: Header=BB216_15 Depth=1
	s_or_b32 exec_lo, exec_lo, s19
.LBB216_178:                            ;   in Loop: Header=BB216_15 Depth=1
	s_or_b32 exec_lo, exec_lo, s18
	flat_load_dword v0, v[112:113] offset:516
	v_mov_b32_e32 v1, 0
	v_mov_b32_e32 v2, 0
	buffer_store_dword v1, off, s[0:3], s32 offset:396 ; 4-byte Folded Spill
	buffer_store_dword v2, off, s[0:3], s32 offset:400 ; 4-byte Folded Spill
	v_mov_b32_e32 v1, 0
	v_mov_b32_e32 v2, 0
	buffer_store_dword v1, off, s[0:3], s32 offset:388 ; 4-byte Folded Spill
	buffer_store_dword v2, off, s[0:3], s32 offset:392 ; 4-byte Folded Spill
	s_waitcnt vmcnt(0) lgkmcnt(0)
	v_cmp_ne_u16_sdwa s5, v0, v11 src0_sel:BYTE_0 src1_sel:DWORD
	s_and_saveexec_b32 s18, s5
	s_cbranch_execz .LBB216_186
; %bb.179:                              ;   in Loop: Header=BB216_15 Depth=1
	v_bfrev_b32_e32 v1, 1
	v_mov_b32_e32 v2, 0
	buffer_store_dword v1, off, s[0:3], s32 offset:388 ; 4-byte Folded Spill
	buffer_store_dword v2, off, s[0:3], s32 offset:392 ; 4-byte Folded Spill
	v_mov_b32_e32 v1, 0x80
	v_cmp_ne_u16_sdwa s5, v0, v1 src0_sel:BYTE_0 src1_sel:DWORD
	s_and_saveexec_b32 s19, s5
	s_cbranch_execz .LBB216_185
; %bb.180:                              ;   in Loop: Header=BB216_15 Depth=1
	v_mov_b32_e32 v3, 0x7f800001
	v_and_b32_e32 v2, 0x7f, v0
	v_mov_b32_e32 v4, 0
	s_mov_b32 s20, exec_lo
	buffer_store_dword v3, off, s[0:3], s32 offset:388 ; 4-byte Folded Spill
	buffer_store_dword v4, off, s[0:3], s32 offset:392 ; 4-byte Folded Spill
	v_cmpx_ne_u32_e32 0x7f, v2
	s_cbranch_execz .LBB216_184
; %bb.181:                              ;   in Loop: Header=BB216_15 Depth=1
	v_and_b32_e32 v10, 7, v0
	v_lshrrev_b32_e32 v1, 3, v2
	s_mov_b32 s21, exec_lo
	v_cmpx_gt_u32_e32 8, v2
; %bb.182:                              ;   in Loop: Header=BB216_15 Depth=1
	v_ffbh_u32_e32 v1, v10
	v_min_u32_e32 v1, 32, v1
	v_subrev_nc_u32_e32 v2, 28, v1
	v_sub_nc_u32_e32 v1, 29, v1
	v_lshlrev_b64 v[2:3], v2, v[10:11]
	v_and_b32_e32 v10, 7, v2
; %bb.183:                              ;   in Loop: Header=BB216_15 Depth=1
	s_or_b32 exec_lo, exec_lo, s21
	v_lshlrev_b32_e32 v2, 24, v0
	v_lshlrev_b32_e32 v3, 20, v10
	v_lshl_add_u32 v1, v1, 23, 0x3c000000
	v_and_b32_e32 v2, 0x80000000, v2
	v_or3_b32 v10, v3, v2, v1
	buffer_store_dword v10, off, s[0:3], s32 offset:388 ; 4-byte Folded Spill
	buffer_store_dword v11, off, s[0:3], s32 offset:392 ; 4-byte Folded Spill
.LBB216_184:                            ;   in Loop: Header=BB216_15 Depth=1
	s_or_b32 exec_lo, exec_lo, s20
.LBB216_185:                            ;   in Loop: Header=BB216_15 Depth=1
	s_or_b32 exec_lo, exec_lo, s19
.LBB216_186:                            ;   in Loop: Header=BB216_15 Depth=1
	s_or_b32 exec_lo, exec_lo, s18
	v_cmp_ne_u16_sdwa s5, v0, v11 src0_sel:BYTE_1 src1_sel:DWORD
	s_and_saveexec_b32 s18, s5
	s_cbranch_execz .LBB216_194
; %bb.187:                              ;   in Loop: Header=BB216_15 Depth=1
	v_mov_b32_e32 v1, 0x80
	v_mov_b32_e32 v115, v11
	buffer_store_dword v115, off, s[0:3], s32 offset:396 ; 4-byte Folded Spill
	buffer_store_dword v116, off, s[0:3], s32 offset:400 ; 4-byte Folded Spill
	v_cmp_ne_u16_sdwa s5, v0, v1 src0_sel:BYTE_1 src1_sel:DWORD
	s_and_saveexec_b32 s19, s5
	s_cbranch_execz .LBB216_193
; %bb.188:                              ;   in Loop: Header=BB216_15 Depth=1
	s_clause 0x1
	buffer_load_dword v3, off, s[0:3], s32 offset:192
	buffer_load_dword v4, off, s[0:3], s32 offset:196
	v_mov_b32_e32 v1, 0xffff
	s_mov_b32 s20, exec_lo
	v_and_b32_sdwa v1, v1, v0 dst_sel:DWORD dst_unused:UNUSED_PAD src0_sel:DWORD src1_sel:BYTE_1
	v_and_b32_e32 v2, 0x7f, v1
	s_waitcnt vmcnt(0)
	v_mov_b32_e32 v5, v4
	v_mov_b32_e32 v4, v11
	;; [unrolled: 1-line block ×3, first 2 shown]
	buffer_store_dword v2, off, s[0:3], s32 offset:192 ; 4-byte Folded Spill
	buffer_store_dword v3, off, s[0:3], s32 offset:196 ; 4-byte Folded Spill
	;; [unrolled: 1-line block ×4, first 2 shown]
	v_cmpx_ne_u32_e32 0x7f, v2
	s_cbranch_execz .LBB216_192
; %bb.189:                              ;   in Loop: Header=BB216_15 Depth=1
	v_and_b32_e32 v10, 7, v1
	v_lshrrev_b32_e32 v1, 3, v2
	s_mov_b32 s21, exec_lo
	v_cmpx_gt_u32_e32 8, v2
; %bb.190:                              ;   in Loop: Header=BB216_15 Depth=1
	v_ffbh_u32_e32 v1, v10
	v_min_u32_e32 v1, 32, v1
	v_subrev_nc_u32_e32 v2, 28, v1
	v_sub_nc_u32_e32 v1, 29, v1
	v_lshlrev_b64 v[2:3], v2, v[10:11]
	v_and_b32_e32 v10, 7, v2
; %bb.191:                              ;   in Loop: Header=BB216_15 Depth=1
	s_or_b32 exec_lo, exec_lo, s21
	v_lshlrev_b32_e32 v2, 16, v0
	v_lshlrev_b32_e32 v3, 20, v10
	v_lshl_add_u32 v1, v1, 23, 0x3c000000
	v_and_b32_e32 v2, 0x80000000, v2
	v_or3_b32 v2, v3, v2, v1
	v_mov_b32_e32 v1, v11
	buffer_store_dword v1, off, s[0:3], s32 offset:396 ; 4-byte Folded Spill
	buffer_store_dword v2, off, s[0:3], s32 offset:400 ; 4-byte Folded Spill
.LBB216_192:                            ;   in Loop: Header=BB216_15 Depth=1
	s_or_b32 exec_lo, exec_lo, s20
.LBB216_193:                            ;   in Loop: Header=BB216_15 Depth=1
	s_or_b32 exec_lo, exec_lo, s19
.LBB216_194:                            ;   in Loop: Header=BB216_15 Depth=1
	s_or_b32 exec_lo, exec_lo, s18
	v_mov_b32_e32 v2, 0
	v_mov_b32_e32 v3, 0
	;; [unrolled: 1-line block ×3, first 2 shown]
	s_mov_b32 s18, exec_lo
	buffer_store_dword v2, off, s[0:3], s32 offset:404 ; 4-byte Folded Spill
	buffer_store_dword v3, off, s[0:3], s32 offset:408 ; 4-byte Folded Spill
	v_mov_b32_e32 v2, 0
	v_and_b32_sdwa v1, v0, v1 dst_sel:DWORD dst_unused:UNUSED_PAD src0_sel:WORD_1 src1_sel:DWORD
	v_mov_b32_e32 v3, 0
	buffer_store_dword v2, off, s[0:3], s32 offset:412 ; 4-byte Folded Spill
	buffer_store_dword v3, off, s[0:3], s32 offset:416 ; 4-byte Folded Spill
	v_cmpx_ne_u16_e32 0, v1
	s_cbranch_execz .LBB216_202
; %bb.195:                              ;   in Loop: Header=BB216_15 Depth=1
	v_cmp_ne_u16_e64 s5, 0x80, v1
	v_bfrev_b32_e32 v1, 1
	v_mov_b32_e32 v2, 0
	buffer_store_dword v1, off, s[0:3], s32 offset:412 ; 4-byte Folded Spill
	buffer_store_dword v2, off, s[0:3], s32 offset:416 ; 4-byte Folded Spill
	s_and_saveexec_b32 s19, s5
	s_cbranch_execz .LBB216_201
; %bb.196:                              ;   in Loop: Header=BB216_15 Depth=1
	v_mov_b32_e32 v3, 0x7f800001
	v_bfe_u32 v2, v0, 16, 7
	v_mov_b32_e32 v4, 0
	s_mov_b32 s20, exec_lo
	buffer_store_dword v3, off, s[0:3], s32 offset:412 ; 4-byte Folded Spill
	buffer_store_dword v4, off, s[0:3], s32 offset:416 ; 4-byte Folded Spill
	v_cmpx_ne_u32_e32 0x7f, v2
	s_cbranch_execz .LBB216_200
; %bb.197:                              ;   in Loop: Header=BB216_15 Depth=1
	v_mov_b32_e32 v1, 7
	s_mov_b32 s21, exec_lo
	v_and_b32_sdwa v10, v0, v1 dst_sel:DWORD dst_unused:UNUSED_PAD src0_sel:WORD_1 src1_sel:DWORD
	v_lshrrev_b32_e32 v1, 3, v2
	v_cmpx_gt_u32_e32 8, v2
; %bb.198:                              ;   in Loop: Header=BB216_15 Depth=1
	v_ffbh_u32_e32 v1, v10
	v_min_u32_e32 v1, 32, v1
	v_subrev_nc_u32_e32 v2, 28, v1
	v_sub_nc_u32_e32 v1, 29, v1
	v_lshlrev_b64 v[2:3], v2, v[10:11]
	v_and_b32_e32 v10, 7, v2
; %bb.199:                              ;   in Loop: Header=BB216_15 Depth=1
	s_or_b32 exec_lo, exec_lo, s21
	v_mov_b32_e32 v2, 24
	v_lshlrev_b32_e32 v3, 20, v10
	v_lshl_add_u32 v1, v1, 23, 0x3c000000
	v_lshlrev_b32_sdwa v2, v2, v0 dst_sel:DWORD dst_unused:UNUSED_PAD src0_sel:DWORD src1_sel:WORD_1
	v_and_b32_e32 v2, 0x80000000, v2
	v_or3_b32 v10, v3, v2, v1
	buffer_store_dword v10, off, s[0:3], s32 offset:412 ; 4-byte Folded Spill
	buffer_store_dword v11, off, s[0:3], s32 offset:416 ; 4-byte Folded Spill
.LBB216_200:                            ;   in Loop: Header=BB216_15 Depth=1
	s_or_b32 exec_lo, exec_lo, s20
.LBB216_201:                            ;   in Loop: Header=BB216_15 Depth=1
	s_or_b32 exec_lo, exec_lo, s19
.LBB216_202:                            ;   in Loop: Header=BB216_15 Depth=1
	s_or_b32 exec_lo, exec_lo, s18
	s_mov_b32 s18, exec_lo
	v_cmpx_lt_u32_e32 0xffffff, v0
	s_cbranch_execz .LBB216_210
; %bb.203:                              ;   in Loop: Header=BB216_15 Depth=1
	v_mov_b32_e32 v1, 0x80
	v_mov_b32_e32 v115, v11
	buffer_store_dword v115, off, s[0:3], s32 offset:404 ; 4-byte Folded Spill
	buffer_store_dword v116, off, s[0:3], s32 offset:408 ; 4-byte Folded Spill
	v_cmp_ne_u32_sdwa s5, v0, v1 src0_sel:BYTE_3 src1_sel:DWORD
	s_and_saveexec_b32 s19, s5
	s_cbranch_execz .LBB216_209
; %bb.204:                              ;   in Loop: Header=BB216_15 Depth=1
	s_clause 0x1
	buffer_load_dword v3, off, s[0:3], s32 offset:192
	buffer_load_dword v4, off, s[0:3], s32 offset:196
	v_bfe_u32 v2, v0, 24, 7
	s_waitcnt vmcnt(1)
	v_mov_b32_e32 v3, v11
	s_mov_b32 s20, exec_lo
	s_waitcnt vmcnt(0)
	v_mov_b32_e32 v1, v4
	buffer_store_dword v0, off, s[0:3], s32 offset:192 ; 4-byte Folded Spill
	buffer_store_dword v1, off, s[0:3], s32 offset:196 ; 4-byte Folded Spill
	;; [unrolled: 1-line block ×4, first 2 shown]
	v_cmpx_ne_u32_e32 0x7f, v2
	s_cbranch_execz .LBB216_208
; %bb.205:                              ;   in Loop: Header=BB216_15 Depth=1
	v_mov_b32_e32 v1, 7
	s_mov_b32 s21, exec_lo
	v_and_b32_sdwa v10, v0, v1 dst_sel:DWORD dst_unused:UNUSED_PAD src0_sel:BYTE_3 src1_sel:DWORD
	v_lshrrev_b32_e32 v1, 3, v2
	v_cmpx_gt_u32_e32 8, v2
; %bb.206:                              ;   in Loop: Header=BB216_15 Depth=1
	v_ffbh_u32_e32 v1, v10
	v_min_u32_e32 v1, 32, v1
	v_subrev_nc_u32_e32 v2, 28, v1
	v_sub_nc_u32_e32 v1, 29, v1
	v_lshlrev_b64 v[2:3], v2, v[10:11]
	v_and_b32_e32 v10, 7, v2
; %bb.207:                              ;   in Loop: Header=BB216_15 Depth=1
	s_or_b32 exec_lo, exec_lo, s21
	v_mov_b32_e32 v2, 24
	v_lshl_add_u32 v1, v1, 23, 0x3c000000
	v_lshlrev_b32_sdwa v0, v2, v0 dst_sel:DWORD dst_unused:UNUSED_PAD src0_sel:DWORD src1_sel:BYTE_3
	v_lshlrev_b32_e32 v2, 20, v10
	v_and_b32_e32 v0, 0x80000000, v0
	v_or3_b32 v1, v2, v0, v1
	v_mov_b32_e32 v0, v11
	buffer_store_dword v0, off, s[0:3], s32 offset:404 ; 4-byte Folded Spill
	buffer_store_dword v1, off, s[0:3], s32 offset:408 ; 4-byte Folded Spill
.LBB216_208:                            ;   in Loop: Header=BB216_15 Depth=1
	s_or_b32 exec_lo, exec_lo, s20
.LBB216_209:                            ;   in Loop: Header=BB216_15 Depth=1
	s_or_b32 exec_lo, exec_lo, s19
.LBB216_210:                            ;   in Loop: Header=BB216_15 Depth=1
	s_or_b32 exec_lo, exec_lo, s18
	flat_load_dword v0, v[112:113] offset:520
	v_mov_b32_e32 v1, 0
	v_mov_b32_e32 v2, 0
	buffer_store_dword v1, off, s[0:3], s32 offset:428 ; 4-byte Folded Spill
	buffer_store_dword v2, off, s[0:3], s32 offset:432 ; 4-byte Folded Spill
	v_mov_b32_e32 v1, 0
	v_mov_b32_e32 v2, 0
	buffer_store_dword v1, off, s[0:3], s32 offset:420 ; 4-byte Folded Spill
	buffer_store_dword v2, off, s[0:3], s32 offset:424 ; 4-byte Folded Spill
	s_waitcnt vmcnt(0) lgkmcnt(0)
	v_cmp_ne_u16_sdwa s5, v0, v11 src0_sel:BYTE_0 src1_sel:DWORD
	s_and_saveexec_b32 s18, s5
	s_cbranch_execz .LBB216_218
; %bb.211:                              ;   in Loop: Header=BB216_15 Depth=1
	v_bfrev_b32_e32 v1, 1
	v_mov_b32_e32 v2, 0
	buffer_store_dword v1, off, s[0:3], s32 offset:420 ; 4-byte Folded Spill
	buffer_store_dword v2, off, s[0:3], s32 offset:424 ; 4-byte Folded Spill
	v_mov_b32_e32 v1, 0x80
	v_cmp_ne_u16_sdwa s5, v0, v1 src0_sel:BYTE_0 src1_sel:DWORD
	s_and_saveexec_b32 s19, s5
	s_cbranch_execz .LBB216_217
; %bb.212:                              ;   in Loop: Header=BB216_15 Depth=1
	v_mov_b32_e32 v3, 0x7f800001
	v_and_b32_e32 v2, 0x7f, v0
	v_mov_b32_e32 v4, 0
	s_mov_b32 s20, exec_lo
	buffer_store_dword v3, off, s[0:3], s32 offset:420 ; 4-byte Folded Spill
	buffer_store_dword v4, off, s[0:3], s32 offset:424 ; 4-byte Folded Spill
	v_cmpx_ne_u32_e32 0x7f, v2
	s_cbranch_execz .LBB216_216
; %bb.213:                              ;   in Loop: Header=BB216_15 Depth=1
	v_and_b32_e32 v10, 7, v0
	v_lshrrev_b32_e32 v1, 3, v2
	s_mov_b32 s21, exec_lo
	v_cmpx_gt_u32_e32 8, v2
; %bb.214:                              ;   in Loop: Header=BB216_15 Depth=1
	v_ffbh_u32_e32 v1, v10
	v_min_u32_e32 v1, 32, v1
	v_subrev_nc_u32_e32 v2, 28, v1
	v_sub_nc_u32_e32 v1, 29, v1
	v_lshlrev_b64 v[2:3], v2, v[10:11]
	v_and_b32_e32 v10, 7, v2
; %bb.215:                              ;   in Loop: Header=BB216_15 Depth=1
	s_or_b32 exec_lo, exec_lo, s21
	v_lshlrev_b32_e32 v2, 24, v0
	v_lshlrev_b32_e32 v3, 20, v10
	v_lshl_add_u32 v1, v1, 23, 0x3c000000
	v_and_b32_e32 v2, 0x80000000, v2
	v_or3_b32 v10, v3, v2, v1
	buffer_store_dword v10, off, s[0:3], s32 offset:420 ; 4-byte Folded Spill
	buffer_store_dword v11, off, s[0:3], s32 offset:424 ; 4-byte Folded Spill
.LBB216_216:                            ;   in Loop: Header=BB216_15 Depth=1
	s_or_b32 exec_lo, exec_lo, s20
.LBB216_217:                            ;   in Loop: Header=BB216_15 Depth=1
	s_or_b32 exec_lo, exec_lo, s19
.LBB216_218:                            ;   in Loop: Header=BB216_15 Depth=1
	s_or_b32 exec_lo, exec_lo, s18
	v_cmp_ne_u16_sdwa s5, v0, v11 src0_sel:BYTE_1 src1_sel:DWORD
	s_and_saveexec_b32 s18, s5
	s_cbranch_execz .LBB216_226
; %bb.219:                              ;   in Loop: Header=BB216_15 Depth=1
	v_mov_b32_e32 v1, 0x80
	v_mov_b32_e32 v115, v11
	buffer_store_dword v115, off, s[0:3], s32 offset:428 ; 4-byte Folded Spill
	buffer_store_dword v116, off, s[0:3], s32 offset:432 ; 4-byte Folded Spill
	v_cmp_ne_u16_sdwa s5, v0, v1 src0_sel:BYTE_1 src1_sel:DWORD
	s_and_saveexec_b32 s19, s5
	s_cbranch_execz .LBB216_225
; %bb.220:                              ;   in Loop: Header=BB216_15 Depth=1
	s_clause 0x1
	buffer_load_dword v3, off, s[0:3], s32 offset:192
	buffer_load_dword v4, off, s[0:3], s32 offset:196
	v_mov_b32_e32 v1, 0xffff
	s_mov_b32 s20, exec_lo
	v_and_b32_sdwa v1, v1, v0 dst_sel:DWORD dst_unused:UNUSED_PAD src0_sel:DWORD src1_sel:BYTE_1
	v_and_b32_e32 v2, 0x7f, v1
	s_waitcnt vmcnt(0)
	v_mov_b32_e32 v5, v4
	v_mov_b32_e32 v4, v11
	;; [unrolled: 1-line block ×3, first 2 shown]
	buffer_store_dword v2, off, s[0:3], s32 offset:192 ; 4-byte Folded Spill
	buffer_store_dword v3, off, s[0:3], s32 offset:196 ; 4-byte Folded Spill
	;; [unrolled: 1-line block ×4, first 2 shown]
	v_cmpx_ne_u32_e32 0x7f, v2
	s_cbranch_execz .LBB216_224
; %bb.221:                              ;   in Loop: Header=BB216_15 Depth=1
	v_and_b32_e32 v10, 7, v1
	v_lshrrev_b32_e32 v1, 3, v2
	s_mov_b32 s21, exec_lo
	v_cmpx_gt_u32_e32 8, v2
; %bb.222:                              ;   in Loop: Header=BB216_15 Depth=1
	v_ffbh_u32_e32 v1, v10
	v_min_u32_e32 v1, 32, v1
	v_subrev_nc_u32_e32 v2, 28, v1
	v_sub_nc_u32_e32 v1, 29, v1
	v_lshlrev_b64 v[2:3], v2, v[10:11]
	v_and_b32_e32 v10, 7, v2
; %bb.223:                              ;   in Loop: Header=BB216_15 Depth=1
	s_or_b32 exec_lo, exec_lo, s21
	v_lshlrev_b32_e32 v2, 16, v0
	v_lshlrev_b32_e32 v3, 20, v10
	v_lshl_add_u32 v1, v1, 23, 0x3c000000
	v_and_b32_e32 v2, 0x80000000, v2
	v_or3_b32 v2, v3, v2, v1
	v_mov_b32_e32 v1, v11
	buffer_store_dword v1, off, s[0:3], s32 offset:428 ; 4-byte Folded Spill
	buffer_store_dword v2, off, s[0:3], s32 offset:432 ; 4-byte Folded Spill
.LBB216_224:                            ;   in Loop: Header=BB216_15 Depth=1
	s_or_b32 exec_lo, exec_lo, s20
.LBB216_225:                            ;   in Loop: Header=BB216_15 Depth=1
	s_or_b32 exec_lo, exec_lo, s19
.LBB216_226:                            ;   in Loop: Header=BB216_15 Depth=1
	s_or_b32 exec_lo, exec_lo, s18
	v_mov_b32_e32 v2, 0
	v_mov_b32_e32 v3, 0
	;; [unrolled: 1-line block ×3, first 2 shown]
	s_mov_b32 s18, exec_lo
	buffer_store_dword v2, off, s[0:3], s32 offset:436 ; 4-byte Folded Spill
	buffer_store_dword v3, off, s[0:3], s32 offset:440 ; 4-byte Folded Spill
	v_mov_b32_e32 v2, 0
	v_and_b32_sdwa v1, v0, v1 dst_sel:DWORD dst_unused:UNUSED_PAD src0_sel:WORD_1 src1_sel:DWORD
	v_mov_b32_e32 v3, 0
	buffer_store_dword v2, off, s[0:3], s32 offset:444 ; 4-byte Folded Spill
	buffer_store_dword v3, off, s[0:3], s32 offset:448 ; 4-byte Folded Spill
	v_cmpx_ne_u16_e32 0, v1
	s_cbranch_execz .LBB216_234
; %bb.227:                              ;   in Loop: Header=BB216_15 Depth=1
	v_cmp_ne_u16_e64 s5, 0x80, v1
	v_bfrev_b32_e32 v1, 1
	v_mov_b32_e32 v2, 0
	buffer_store_dword v1, off, s[0:3], s32 offset:444 ; 4-byte Folded Spill
	buffer_store_dword v2, off, s[0:3], s32 offset:448 ; 4-byte Folded Spill
	s_and_saveexec_b32 s19, s5
	s_cbranch_execz .LBB216_233
; %bb.228:                              ;   in Loop: Header=BB216_15 Depth=1
	v_mov_b32_e32 v3, 0x7f800001
	v_bfe_u32 v2, v0, 16, 7
	v_mov_b32_e32 v4, 0
	s_mov_b32 s20, exec_lo
	buffer_store_dword v3, off, s[0:3], s32 offset:444 ; 4-byte Folded Spill
	buffer_store_dword v4, off, s[0:3], s32 offset:448 ; 4-byte Folded Spill
	v_cmpx_ne_u32_e32 0x7f, v2
	s_cbranch_execz .LBB216_232
; %bb.229:                              ;   in Loop: Header=BB216_15 Depth=1
	v_mov_b32_e32 v1, 7
	s_mov_b32 s21, exec_lo
	v_and_b32_sdwa v10, v0, v1 dst_sel:DWORD dst_unused:UNUSED_PAD src0_sel:WORD_1 src1_sel:DWORD
	v_lshrrev_b32_e32 v1, 3, v2
	v_cmpx_gt_u32_e32 8, v2
; %bb.230:                              ;   in Loop: Header=BB216_15 Depth=1
	v_ffbh_u32_e32 v1, v10
	v_min_u32_e32 v1, 32, v1
	v_subrev_nc_u32_e32 v2, 28, v1
	v_sub_nc_u32_e32 v1, 29, v1
	v_lshlrev_b64 v[2:3], v2, v[10:11]
	v_and_b32_e32 v10, 7, v2
; %bb.231:                              ;   in Loop: Header=BB216_15 Depth=1
	s_or_b32 exec_lo, exec_lo, s21
	v_mov_b32_e32 v2, 24
	v_lshlrev_b32_e32 v3, 20, v10
	v_lshl_add_u32 v1, v1, 23, 0x3c000000
	v_lshlrev_b32_sdwa v2, v2, v0 dst_sel:DWORD dst_unused:UNUSED_PAD src0_sel:DWORD src1_sel:WORD_1
	v_and_b32_e32 v2, 0x80000000, v2
	v_or3_b32 v10, v3, v2, v1
	buffer_store_dword v10, off, s[0:3], s32 offset:444 ; 4-byte Folded Spill
	buffer_store_dword v11, off, s[0:3], s32 offset:448 ; 4-byte Folded Spill
.LBB216_232:                            ;   in Loop: Header=BB216_15 Depth=1
	s_or_b32 exec_lo, exec_lo, s20
.LBB216_233:                            ;   in Loop: Header=BB216_15 Depth=1
	s_or_b32 exec_lo, exec_lo, s19
.LBB216_234:                            ;   in Loop: Header=BB216_15 Depth=1
	s_or_b32 exec_lo, exec_lo, s18
	s_mov_b32 s18, exec_lo
	v_cmpx_lt_u32_e32 0xffffff, v0
	s_cbranch_execz .LBB216_242
; %bb.235:                              ;   in Loop: Header=BB216_15 Depth=1
	v_mov_b32_e32 v1, 0x80
	v_mov_b32_e32 v115, v11
	buffer_store_dword v115, off, s[0:3], s32 offset:436 ; 4-byte Folded Spill
	buffer_store_dword v116, off, s[0:3], s32 offset:440 ; 4-byte Folded Spill
	v_cmp_ne_u32_sdwa s5, v0, v1 src0_sel:BYTE_3 src1_sel:DWORD
	s_and_saveexec_b32 s19, s5
	s_cbranch_execz .LBB216_241
; %bb.236:                              ;   in Loop: Header=BB216_15 Depth=1
	s_clause 0x1
	buffer_load_dword v3, off, s[0:3], s32 offset:192
	buffer_load_dword v4, off, s[0:3], s32 offset:196
	v_bfe_u32 v2, v0, 24, 7
	s_waitcnt vmcnt(1)
	v_mov_b32_e32 v3, v11
	s_mov_b32 s20, exec_lo
	s_waitcnt vmcnt(0)
	v_mov_b32_e32 v1, v4
	buffer_store_dword v0, off, s[0:3], s32 offset:192 ; 4-byte Folded Spill
	buffer_store_dword v1, off, s[0:3], s32 offset:196 ; 4-byte Folded Spill
	;; [unrolled: 1-line block ×4, first 2 shown]
	v_cmpx_ne_u32_e32 0x7f, v2
	s_cbranch_execz .LBB216_240
; %bb.237:                              ;   in Loop: Header=BB216_15 Depth=1
	v_mov_b32_e32 v1, 7
	s_mov_b32 s21, exec_lo
	v_and_b32_sdwa v10, v0, v1 dst_sel:DWORD dst_unused:UNUSED_PAD src0_sel:BYTE_3 src1_sel:DWORD
	v_lshrrev_b32_e32 v1, 3, v2
	v_cmpx_gt_u32_e32 8, v2
; %bb.238:                              ;   in Loop: Header=BB216_15 Depth=1
	v_ffbh_u32_e32 v1, v10
	v_min_u32_e32 v1, 32, v1
	v_subrev_nc_u32_e32 v2, 28, v1
	v_sub_nc_u32_e32 v1, 29, v1
	v_lshlrev_b64 v[2:3], v2, v[10:11]
	v_and_b32_e32 v10, 7, v2
; %bb.239:                              ;   in Loop: Header=BB216_15 Depth=1
	s_or_b32 exec_lo, exec_lo, s21
	v_mov_b32_e32 v2, 24
	v_lshl_add_u32 v1, v1, 23, 0x3c000000
	v_lshlrev_b32_sdwa v0, v2, v0 dst_sel:DWORD dst_unused:UNUSED_PAD src0_sel:DWORD src1_sel:BYTE_3
	v_lshlrev_b32_e32 v2, 20, v10
	v_and_b32_e32 v0, 0x80000000, v0
	v_or3_b32 v1, v2, v0, v1
	v_mov_b32_e32 v0, v11
	buffer_store_dword v0, off, s[0:3], s32 offset:436 ; 4-byte Folded Spill
	buffer_store_dword v1, off, s[0:3], s32 offset:440 ; 4-byte Folded Spill
.LBB216_240:                            ;   in Loop: Header=BB216_15 Depth=1
	s_or_b32 exec_lo, exec_lo, s20
.LBB216_241:                            ;   in Loop: Header=BB216_15 Depth=1
	s_or_b32 exec_lo, exec_lo, s19
.LBB216_242:                            ;   in Loop: Header=BB216_15 Depth=1
	s_or_b32 exec_lo, exec_lo, s18
	flat_load_dword v0, v[112:113] offset:524
	v_mov_b32_e32 v1, 0
	v_mov_b32_e32 v2, 0
	buffer_store_dword v1, off, s[0:3], s32 offset:460 ; 4-byte Folded Spill
	buffer_store_dword v2, off, s[0:3], s32 offset:464 ; 4-byte Folded Spill
	v_mov_b32_e32 v1, 0
	v_mov_b32_e32 v2, 0
	buffer_store_dword v1, off, s[0:3], s32 offset:452 ; 4-byte Folded Spill
	buffer_store_dword v2, off, s[0:3], s32 offset:456 ; 4-byte Folded Spill
	s_waitcnt vmcnt(0) lgkmcnt(0)
	v_cmp_ne_u16_sdwa s5, v0, v11 src0_sel:BYTE_0 src1_sel:DWORD
	s_and_saveexec_b32 s18, s5
	s_cbranch_execz .LBB216_250
; %bb.243:                              ;   in Loop: Header=BB216_15 Depth=1
	v_bfrev_b32_e32 v1, 1
	v_mov_b32_e32 v2, 0
	buffer_store_dword v1, off, s[0:3], s32 offset:452 ; 4-byte Folded Spill
	buffer_store_dword v2, off, s[0:3], s32 offset:456 ; 4-byte Folded Spill
	v_mov_b32_e32 v1, 0x80
	v_cmp_ne_u16_sdwa s5, v0, v1 src0_sel:BYTE_0 src1_sel:DWORD
	s_and_saveexec_b32 s19, s5
	s_cbranch_execz .LBB216_249
; %bb.244:                              ;   in Loop: Header=BB216_15 Depth=1
	v_mov_b32_e32 v3, 0x7f800001
	v_and_b32_e32 v2, 0x7f, v0
	v_mov_b32_e32 v4, 0
	s_mov_b32 s20, exec_lo
	buffer_store_dword v3, off, s[0:3], s32 offset:452 ; 4-byte Folded Spill
	buffer_store_dword v4, off, s[0:3], s32 offset:456 ; 4-byte Folded Spill
	v_cmpx_ne_u32_e32 0x7f, v2
	s_cbranch_execz .LBB216_248
; %bb.245:                              ;   in Loop: Header=BB216_15 Depth=1
	v_and_b32_e32 v10, 7, v0
	v_lshrrev_b32_e32 v1, 3, v2
	s_mov_b32 s21, exec_lo
	v_cmpx_gt_u32_e32 8, v2
; %bb.246:                              ;   in Loop: Header=BB216_15 Depth=1
	v_ffbh_u32_e32 v1, v10
	v_min_u32_e32 v1, 32, v1
	v_subrev_nc_u32_e32 v2, 28, v1
	v_sub_nc_u32_e32 v1, 29, v1
	v_lshlrev_b64 v[2:3], v2, v[10:11]
	v_and_b32_e32 v10, 7, v2
; %bb.247:                              ;   in Loop: Header=BB216_15 Depth=1
	s_or_b32 exec_lo, exec_lo, s21
	v_lshlrev_b32_e32 v2, 24, v0
	v_lshlrev_b32_e32 v3, 20, v10
	v_lshl_add_u32 v1, v1, 23, 0x3c000000
	v_and_b32_e32 v2, 0x80000000, v2
	v_or3_b32 v10, v3, v2, v1
	buffer_store_dword v10, off, s[0:3], s32 offset:452 ; 4-byte Folded Spill
	buffer_store_dword v11, off, s[0:3], s32 offset:456 ; 4-byte Folded Spill
.LBB216_248:                            ;   in Loop: Header=BB216_15 Depth=1
	s_or_b32 exec_lo, exec_lo, s20
.LBB216_249:                            ;   in Loop: Header=BB216_15 Depth=1
	s_or_b32 exec_lo, exec_lo, s19
.LBB216_250:                            ;   in Loop: Header=BB216_15 Depth=1
	s_or_b32 exec_lo, exec_lo, s18
	v_cmp_ne_u16_sdwa s5, v0, v11 src0_sel:BYTE_1 src1_sel:DWORD
	s_and_saveexec_b32 s18, s5
	s_cbranch_execz .LBB216_258
; %bb.251:                              ;   in Loop: Header=BB216_15 Depth=1
	v_mov_b32_e32 v1, 0x80
	v_mov_b32_e32 v115, v11
	buffer_store_dword v115, off, s[0:3], s32 offset:460 ; 4-byte Folded Spill
	buffer_store_dword v116, off, s[0:3], s32 offset:464 ; 4-byte Folded Spill
	v_cmp_ne_u16_sdwa s5, v0, v1 src0_sel:BYTE_1 src1_sel:DWORD
	s_and_saveexec_b32 s19, s5
	s_cbranch_execz .LBB216_257
; %bb.252:                              ;   in Loop: Header=BB216_15 Depth=1
	s_clause 0x1
	buffer_load_dword v3, off, s[0:3], s32 offset:192
	buffer_load_dword v4, off, s[0:3], s32 offset:196
	v_mov_b32_e32 v1, 0xffff
	s_mov_b32 s20, exec_lo
	v_and_b32_sdwa v1, v1, v0 dst_sel:DWORD dst_unused:UNUSED_PAD src0_sel:DWORD src1_sel:BYTE_1
	v_and_b32_e32 v2, 0x7f, v1
	s_waitcnt vmcnt(0)
	v_mov_b32_e32 v5, v4
	v_mov_b32_e32 v4, v11
	;; [unrolled: 1-line block ×3, first 2 shown]
	buffer_store_dword v2, off, s[0:3], s32 offset:192 ; 4-byte Folded Spill
	buffer_store_dword v3, off, s[0:3], s32 offset:196 ; 4-byte Folded Spill
	;; [unrolled: 1-line block ×4, first 2 shown]
	v_cmpx_ne_u32_e32 0x7f, v2
	s_cbranch_execz .LBB216_256
; %bb.253:                              ;   in Loop: Header=BB216_15 Depth=1
	v_and_b32_e32 v10, 7, v1
	v_lshrrev_b32_e32 v1, 3, v2
	s_mov_b32 s21, exec_lo
	v_cmpx_gt_u32_e32 8, v2
; %bb.254:                              ;   in Loop: Header=BB216_15 Depth=1
	v_ffbh_u32_e32 v1, v10
	v_min_u32_e32 v1, 32, v1
	v_subrev_nc_u32_e32 v2, 28, v1
	v_sub_nc_u32_e32 v1, 29, v1
	v_lshlrev_b64 v[2:3], v2, v[10:11]
	v_and_b32_e32 v10, 7, v2
; %bb.255:                              ;   in Loop: Header=BB216_15 Depth=1
	s_or_b32 exec_lo, exec_lo, s21
	v_lshlrev_b32_e32 v2, 16, v0
	v_lshlrev_b32_e32 v3, 20, v10
	v_lshl_add_u32 v1, v1, 23, 0x3c000000
	v_and_b32_e32 v2, 0x80000000, v2
	v_or3_b32 v2, v3, v2, v1
	v_mov_b32_e32 v1, v11
	buffer_store_dword v1, off, s[0:3], s32 offset:460 ; 4-byte Folded Spill
	buffer_store_dword v2, off, s[0:3], s32 offset:464 ; 4-byte Folded Spill
.LBB216_256:                            ;   in Loop: Header=BB216_15 Depth=1
	s_or_b32 exec_lo, exec_lo, s20
.LBB216_257:                            ;   in Loop: Header=BB216_15 Depth=1
	s_or_b32 exec_lo, exec_lo, s19
.LBB216_258:                            ;   in Loop: Header=BB216_15 Depth=1
	s_or_b32 exec_lo, exec_lo, s18
	v_mov_b32_e32 v2, 0
	v_mov_b32_e32 v3, 0
	;; [unrolled: 1-line block ×3, first 2 shown]
	s_mov_b32 s18, exec_lo
	buffer_store_dword v2, off, s[0:3], s32 offset:468 ; 4-byte Folded Spill
	buffer_store_dword v3, off, s[0:3], s32 offset:472 ; 4-byte Folded Spill
	v_mov_b32_e32 v2, 0
	v_and_b32_sdwa v1, v0, v1 dst_sel:DWORD dst_unused:UNUSED_PAD src0_sel:WORD_1 src1_sel:DWORD
	v_mov_b32_e32 v3, 0
	buffer_store_dword v2, off, s[0:3], s32 offset:476 ; 4-byte Folded Spill
	buffer_store_dword v3, off, s[0:3], s32 offset:480 ; 4-byte Folded Spill
	v_cmpx_ne_u16_e32 0, v1
	s_cbranch_execz .LBB216_266
; %bb.259:                              ;   in Loop: Header=BB216_15 Depth=1
	v_cmp_ne_u16_e64 s5, 0x80, v1
	v_bfrev_b32_e32 v1, 1
	v_mov_b32_e32 v2, 0
	buffer_store_dword v1, off, s[0:3], s32 offset:476 ; 4-byte Folded Spill
	buffer_store_dword v2, off, s[0:3], s32 offset:480 ; 4-byte Folded Spill
	s_and_saveexec_b32 s19, s5
	s_cbranch_execz .LBB216_265
; %bb.260:                              ;   in Loop: Header=BB216_15 Depth=1
	v_mov_b32_e32 v3, 0x7f800001
	v_bfe_u32 v2, v0, 16, 7
	v_mov_b32_e32 v4, 0
	s_mov_b32 s20, exec_lo
	buffer_store_dword v3, off, s[0:3], s32 offset:476 ; 4-byte Folded Spill
	buffer_store_dword v4, off, s[0:3], s32 offset:480 ; 4-byte Folded Spill
	v_cmpx_ne_u32_e32 0x7f, v2
	s_cbranch_execz .LBB216_264
; %bb.261:                              ;   in Loop: Header=BB216_15 Depth=1
	v_mov_b32_e32 v1, 7
	s_mov_b32 s21, exec_lo
	v_and_b32_sdwa v10, v0, v1 dst_sel:DWORD dst_unused:UNUSED_PAD src0_sel:WORD_1 src1_sel:DWORD
	v_lshrrev_b32_e32 v1, 3, v2
	v_cmpx_gt_u32_e32 8, v2
; %bb.262:                              ;   in Loop: Header=BB216_15 Depth=1
	v_ffbh_u32_e32 v1, v10
	v_min_u32_e32 v1, 32, v1
	v_subrev_nc_u32_e32 v2, 28, v1
	v_sub_nc_u32_e32 v1, 29, v1
	v_lshlrev_b64 v[2:3], v2, v[10:11]
	v_and_b32_e32 v10, 7, v2
; %bb.263:                              ;   in Loop: Header=BB216_15 Depth=1
	s_or_b32 exec_lo, exec_lo, s21
	v_mov_b32_e32 v2, 24
	v_lshlrev_b32_e32 v3, 20, v10
	v_lshl_add_u32 v1, v1, 23, 0x3c000000
	v_lshlrev_b32_sdwa v2, v2, v0 dst_sel:DWORD dst_unused:UNUSED_PAD src0_sel:DWORD src1_sel:WORD_1
	v_and_b32_e32 v2, 0x80000000, v2
	v_or3_b32 v10, v3, v2, v1
	buffer_store_dword v10, off, s[0:3], s32 offset:476 ; 4-byte Folded Spill
	buffer_store_dword v11, off, s[0:3], s32 offset:480 ; 4-byte Folded Spill
.LBB216_264:                            ;   in Loop: Header=BB216_15 Depth=1
	s_or_b32 exec_lo, exec_lo, s20
.LBB216_265:                            ;   in Loop: Header=BB216_15 Depth=1
	s_or_b32 exec_lo, exec_lo, s19
.LBB216_266:                            ;   in Loop: Header=BB216_15 Depth=1
	s_or_b32 exec_lo, exec_lo, s18
	s_mov_b32 s18, exec_lo
	v_cmpx_lt_u32_e32 0xffffff, v0
	s_cbranch_execz .LBB216_274
; %bb.267:                              ;   in Loop: Header=BB216_15 Depth=1
	v_mov_b32_e32 v1, 0x80
	v_mov_b32_e32 v115, v11
	buffer_store_dword v115, off, s[0:3], s32 offset:468 ; 4-byte Folded Spill
	buffer_store_dword v116, off, s[0:3], s32 offset:472 ; 4-byte Folded Spill
	v_cmp_ne_u32_sdwa s5, v0, v1 src0_sel:BYTE_3 src1_sel:DWORD
	s_and_saveexec_b32 s19, s5
	s_cbranch_execz .LBB216_273
; %bb.268:                              ;   in Loop: Header=BB216_15 Depth=1
	s_clause 0x1
	buffer_load_dword v3, off, s[0:3], s32 offset:192
	buffer_load_dword v4, off, s[0:3], s32 offset:196
	v_bfe_u32 v2, v0, 24, 7
	s_waitcnt vmcnt(1)
	v_mov_b32_e32 v3, v11
	s_mov_b32 s20, exec_lo
	s_waitcnt vmcnt(0)
	v_mov_b32_e32 v1, v4
	buffer_store_dword v0, off, s[0:3], s32 offset:192 ; 4-byte Folded Spill
	buffer_store_dword v1, off, s[0:3], s32 offset:196 ; 4-byte Folded Spill
	;; [unrolled: 1-line block ×4, first 2 shown]
	v_cmpx_ne_u32_e32 0x7f, v2
	s_cbranch_execz .LBB216_272
; %bb.269:                              ;   in Loop: Header=BB216_15 Depth=1
	v_mov_b32_e32 v1, 7
	s_mov_b32 s21, exec_lo
	v_and_b32_sdwa v10, v0, v1 dst_sel:DWORD dst_unused:UNUSED_PAD src0_sel:BYTE_3 src1_sel:DWORD
	v_lshrrev_b32_e32 v1, 3, v2
	v_cmpx_gt_u32_e32 8, v2
; %bb.270:                              ;   in Loop: Header=BB216_15 Depth=1
	v_ffbh_u32_e32 v1, v10
	v_min_u32_e32 v1, 32, v1
	v_subrev_nc_u32_e32 v2, 28, v1
	v_sub_nc_u32_e32 v1, 29, v1
	v_lshlrev_b64 v[2:3], v2, v[10:11]
	v_and_b32_e32 v10, 7, v2
; %bb.271:                              ;   in Loop: Header=BB216_15 Depth=1
	s_or_b32 exec_lo, exec_lo, s21
	v_mov_b32_e32 v2, 24
	v_lshl_add_u32 v1, v1, 23, 0x3c000000
	v_lshlrev_b32_sdwa v0, v2, v0 dst_sel:DWORD dst_unused:UNUSED_PAD src0_sel:DWORD src1_sel:BYTE_3
	v_lshlrev_b32_e32 v2, 20, v10
	v_and_b32_e32 v0, 0x80000000, v0
	v_or3_b32 v1, v2, v0, v1
	v_mov_b32_e32 v0, v11
	buffer_store_dword v0, off, s[0:3], s32 offset:468 ; 4-byte Folded Spill
	buffer_store_dword v1, off, s[0:3], s32 offset:472 ; 4-byte Folded Spill
.LBB216_272:                            ;   in Loop: Header=BB216_15 Depth=1
	s_or_b32 exec_lo, exec_lo, s20
.LBB216_273:                            ;   in Loop: Header=BB216_15 Depth=1
	s_or_b32 exec_lo, exec_lo, s19
.LBB216_274:                            ;   in Loop: Header=BB216_15 Depth=1
	s_or_b32 exec_lo, exec_lo, s18
	flat_load_dword v0, v[112:113] offset:1024
	v_mov_b32_e32 v1, 0
	v_mov_b32_e32 v2, 0
	buffer_store_dword v1, off, s[0:3], s32 offset:492 ; 4-byte Folded Spill
	buffer_store_dword v2, off, s[0:3], s32 offset:496 ; 4-byte Folded Spill
	v_mov_b32_e32 v1, 0
	v_mov_b32_e32 v2, 0
	buffer_store_dword v1, off, s[0:3], s32 offset:484 ; 4-byte Folded Spill
	buffer_store_dword v2, off, s[0:3], s32 offset:488 ; 4-byte Folded Spill
	s_waitcnt vmcnt(0) lgkmcnt(0)
	v_cmp_ne_u16_sdwa s5, v0, v11 src0_sel:BYTE_0 src1_sel:DWORD
	s_and_saveexec_b32 s18, s5
	s_cbranch_execz .LBB216_282
; %bb.275:                              ;   in Loop: Header=BB216_15 Depth=1
	v_bfrev_b32_e32 v1, 1
	v_mov_b32_e32 v2, 0
	buffer_store_dword v1, off, s[0:3], s32 offset:484 ; 4-byte Folded Spill
	buffer_store_dword v2, off, s[0:3], s32 offset:488 ; 4-byte Folded Spill
	v_mov_b32_e32 v1, 0x80
	v_cmp_ne_u16_sdwa s5, v0, v1 src0_sel:BYTE_0 src1_sel:DWORD
	s_and_saveexec_b32 s19, s5
	s_cbranch_execz .LBB216_281
; %bb.276:                              ;   in Loop: Header=BB216_15 Depth=1
	v_mov_b32_e32 v3, 0x7f800001
	v_and_b32_e32 v2, 0x7f, v0
	v_mov_b32_e32 v4, 0
	s_mov_b32 s20, exec_lo
	buffer_store_dword v3, off, s[0:3], s32 offset:484 ; 4-byte Folded Spill
	buffer_store_dword v4, off, s[0:3], s32 offset:488 ; 4-byte Folded Spill
	v_cmpx_ne_u32_e32 0x7f, v2
	s_cbranch_execz .LBB216_280
; %bb.277:                              ;   in Loop: Header=BB216_15 Depth=1
	v_and_b32_e32 v10, 7, v0
	v_lshrrev_b32_e32 v1, 3, v2
	s_mov_b32 s21, exec_lo
	v_cmpx_gt_u32_e32 8, v2
; %bb.278:                              ;   in Loop: Header=BB216_15 Depth=1
	v_ffbh_u32_e32 v1, v10
	v_min_u32_e32 v1, 32, v1
	v_subrev_nc_u32_e32 v2, 28, v1
	v_sub_nc_u32_e32 v1, 29, v1
	v_lshlrev_b64 v[2:3], v2, v[10:11]
	v_and_b32_e32 v10, 7, v2
; %bb.279:                              ;   in Loop: Header=BB216_15 Depth=1
	s_or_b32 exec_lo, exec_lo, s21
	v_lshlrev_b32_e32 v2, 24, v0
	v_lshlrev_b32_e32 v3, 20, v10
	v_lshl_add_u32 v1, v1, 23, 0x3c000000
	v_and_b32_e32 v2, 0x80000000, v2
	v_or3_b32 v10, v3, v2, v1
	buffer_store_dword v10, off, s[0:3], s32 offset:484 ; 4-byte Folded Spill
	buffer_store_dword v11, off, s[0:3], s32 offset:488 ; 4-byte Folded Spill
.LBB216_280:                            ;   in Loop: Header=BB216_15 Depth=1
	s_or_b32 exec_lo, exec_lo, s20
.LBB216_281:                            ;   in Loop: Header=BB216_15 Depth=1
	s_or_b32 exec_lo, exec_lo, s19
.LBB216_282:                            ;   in Loop: Header=BB216_15 Depth=1
	s_or_b32 exec_lo, exec_lo, s18
	v_cmp_ne_u16_sdwa s5, v0, v11 src0_sel:BYTE_1 src1_sel:DWORD
	s_and_saveexec_b32 s18, s5
	s_cbranch_execz .LBB216_290
; %bb.283:                              ;   in Loop: Header=BB216_15 Depth=1
	v_mov_b32_e32 v1, 0x80
	v_mov_b32_e32 v115, v11
	buffer_store_dword v115, off, s[0:3], s32 offset:492 ; 4-byte Folded Spill
	buffer_store_dword v116, off, s[0:3], s32 offset:496 ; 4-byte Folded Spill
	v_cmp_ne_u16_sdwa s5, v0, v1 src0_sel:BYTE_1 src1_sel:DWORD
	s_and_saveexec_b32 s19, s5
	s_cbranch_execz .LBB216_289
; %bb.284:                              ;   in Loop: Header=BB216_15 Depth=1
	s_clause 0x1
	buffer_load_dword v3, off, s[0:3], s32 offset:192
	buffer_load_dword v4, off, s[0:3], s32 offset:196
	v_mov_b32_e32 v1, 0xffff
	s_mov_b32 s20, exec_lo
	v_and_b32_sdwa v1, v1, v0 dst_sel:DWORD dst_unused:UNUSED_PAD src0_sel:DWORD src1_sel:BYTE_1
	v_and_b32_e32 v2, 0x7f, v1
	s_waitcnt vmcnt(0)
	v_mov_b32_e32 v5, v4
	v_mov_b32_e32 v4, v11
	;; [unrolled: 1-line block ×3, first 2 shown]
	buffer_store_dword v2, off, s[0:3], s32 offset:192 ; 4-byte Folded Spill
	buffer_store_dword v3, off, s[0:3], s32 offset:196 ; 4-byte Folded Spill
	;; [unrolled: 1-line block ×4, first 2 shown]
	v_cmpx_ne_u32_e32 0x7f, v2
	s_cbranch_execz .LBB216_288
; %bb.285:                              ;   in Loop: Header=BB216_15 Depth=1
	v_and_b32_e32 v10, 7, v1
	v_lshrrev_b32_e32 v1, 3, v2
	s_mov_b32 s21, exec_lo
	v_cmpx_gt_u32_e32 8, v2
; %bb.286:                              ;   in Loop: Header=BB216_15 Depth=1
	v_ffbh_u32_e32 v1, v10
	v_min_u32_e32 v1, 32, v1
	v_subrev_nc_u32_e32 v2, 28, v1
	v_sub_nc_u32_e32 v1, 29, v1
	v_lshlrev_b64 v[2:3], v2, v[10:11]
	v_and_b32_e32 v10, 7, v2
; %bb.287:                              ;   in Loop: Header=BB216_15 Depth=1
	s_or_b32 exec_lo, exec_lo, s21
	v_lshlrev_b32_e32 v2, 16, v0
	v_lshlrev_b32_e32 v3, 20, v10
	v_lshl_add_u32 v1, v1, 23, 0x3c000000
	v_and_b32_e32 v2, 0x80000000, v2
	v_or3_b32 v2, v3, v2, v1
	v_mov_b32_e32 v1, v11
	buffer_store_dword v1, off, s[0:3], s32 offset:492 ; 4-byte Folded Spill
	buffer_store_dword v2, off, s[0:3], s32 offset:496 ; 4-byte Folded Spill
.LBB216_288:                            ;   in Loop: Header=BB216_15 Depth=1
	s_or_b32 exec_lo, exec_lo, s20
.LBB216_289:                            ;   in Loop: Header=BB216_15 Depth=1
	s_or_b32 exec_lo, exec_lo, s19
.LBB216_290:                            ;   in Loop: Header=BB216_15 Depth=1
	s_or_b32 exec_lo, exec_lo, s18
	v_mov_b32_e32 v2, 0
	v_mov_b32_e32 v3, 0
	;; [unrolled: 1-line block ×3, first 2 shown]
	s_mov_b32 s18, exec_lo
	buffer_store_dword v2, off, s[0:3], s32 offset:500 ; 4-byte Folded Spill
	buffer_store_dword v3, off, s[0:3], s32 offset:504 ; 4-byte Folded Spill
	v_mov_b32_e32 v2, 0
	v_and_b32_sdwa v1, v0, v1 dst_sel:DWORD dst_unused:UNUSED_PAD src0_sel:WORD_1 src1_sel:DWORD
	v_mov_b32_e32 v3, 0
	buffer_store_dword v2, off, s[0:3], s32 offset:508 ; 4-byte Folded Spill
	buffer_store_dword v3, off, s[0:3], s32 offset:512 ; 4-byte Folded Spill
	v_cmpx_ne_u16_e32 0, v1
	s_cbranch_execz .LBB216_298
; %bb.291:                              ;   in Loop: Header=BB216_15 Depth=1
	v_cmp_ne_u16_e64 s5, 0x80, v1
	v_bfrev_b32_e32 v1, 1
	v_mov_b32_e32 v2, 0
	buffer_store_dword v1, off, s[0:3], s32 offset:508 ; 4-byte Folded Spill
	buffer_store_dword v2, off, s[0:3], s32 offset:512 ; 4-byte Folded Spill
	s_and_saveexec_b32 s19, s5
	s_cbranch_execz .LBB216_297
; %bb.292:                              ;   in Loop: Header=BB216_15 Depth=1
	v_mov_b32_e32 v3, 0x7f800001
	v_bfe_u32 v2, v0, 16, 7
	v_mov_b32_e32 v4, 0
	s_mov_b32 s20, exec_lo
	buffer_store_dword v3, off, s[0:3], s32 offset:508 ; 4-byte Folded Spill
	buffer_store_dword v4, off, s[0:3], s32 offset:512 ; 4-byte Folded Spill
	v_cmpx_ne_u32_e32 0x7f, v2
	s_cbranch_execz .LBB216_296
; %bb.293:                              ;   in Loop: Header=BB216_15 Depth=1
	v_mov_b32_e32 v1, 7
	s_mov_b32 s21, exec_lo
	v_and_b32_sdwa v10, v0, v1 dst_sel:DWORD dst_unused:UNUSED_PAD src0_sel:WORD_1 src1_sel:DWORD
	v_lshrrev_b32_e32 v1, 3, v2
	v_cmpx_gt_u32_e32 8, v2
; %bb.294:                              ;   in Loop: Header=BB216_15 Depth=1
	v_ffbh_u32_e32 v1, v10
	v_min_u32_e32 v1, 32, v1
	v_subrev_nc_u32_e32 v2, 28, v1
	v_sub_nc_u32_e32 v1, 29, v1
	v_lshlrev_b64 v[2:3], v2, v[10:11]
	v_and_b32_e32 v10, 7, v2
; %bb.295:                              ;   in Loop: Header=BB216_15 Depth=1
	s_or_b32 exec_lo, exec_lo, s21
	v_mov_b32_e32 v2, 24
	v_lshlrev_b32_e32 v3, 20, v10
	v_lshl_add_u32 v1, v1, 23, 0x3c000000
	v_lshlrev_b32_sdwa v2, v2, v0 dst_sel:DWORD dst_unused:UNUSED_PAD src0_sel:DWORD src1_sel:WORD_1
	v_and_b32_e32 v2, 0x80000000, v2
	v_or3_b32 v10, v3, v2, v1
	buffer_store_dword v10, off, s[0:3], s32 offset:508 ; 4-byte Folded Spill
	buffer_store_dword v11, off, s[0:3], s32 offset:512 ; 4-byte Folded Spill
.LBB216_296:                            ;   in Loop: Header=BB216_15 Depth=1
	s_or_b32 exec_lo, exec_lo, s20
.LBB216_297:                            ;   in Loop: Header=BB216_15 Depth=1
	s_or_b32 exec_lo, exec_lo, s19
.LBB216_298:                            ;   in Loop: Header=BB216_15 Depth=1
	s_or_b32 exec_lo, exec_lo, s18
	s_mov_b32 s18, exec_lo
	v_cmpx_lt_u32_e32 0xffffff, v0
	s_cbranch_execz .LBB216_306
; %bb.299:                              ;   in Loop: Header=BB216_15 Depth=1
	v_mov_b32_e32 v1, 0x80
	v_mov_b32_e32 v115, v11
	buffer_store_dword v115, off, s[0:3], s32 offset:500 ; 4-byte Folded Spill
	buffer_store_dword v116, off, s[0:3], s32 offset:504 ; 4-byte Folded Spill
	v_cmp_ne_u32_sdwa s5, v0, v1 src0_sel:BYTE_3 src1_sel:DWORD
	s_and_saveexec_b32 s19, s5
	s_cbranch_execz .LBB216_305
; %bb.300:                              ;   in Loop: Header=BB216_15 Depth=1
	s_clause 0x1
	buffer_load_dword v3, off, s[0:3], s32 offset:192
	buffer_load_dword v4, off, s[0:3], s32 offset:196
	v_bfe_u32 v2, v0, 24, 7
	s_waitcnt vmcnt(1)
	v_mov_b32_e32 v3, v11
	s_mov_b32 s20, exec_lo
	s_waitcnt vmcnt(0)
	v_mov_b32_e32 v1, v4
	buffer_store_dword v0, off, s[0:3], s32 offset:192 ; 4-byte Folded Spill
	buffer_store_dword v1, off, s[0:3], s32 offset:196 ; 4-byte Folded Spill
	;; [unrolled: 1-line block ×4, first 2 shown]
	v_cmpx_ne_u32_e32 0x7f, v2
	s_cbranch_execz .LBB216_304
; %bb.301:                              ;   in Loop: Header=BB216_15 Depth=1
	v_mov_b32_e32 v1, 7
	s_mov_b32 s21, exec_lo
	v_and_b32_sdwa v10, v0, v1 dst_sel:DWORD dst_unused:UNUSED_PAD src0_sel:BYTE_3 src1_sel:DWORD
	v_lshrrev_b32_e32 v1, 3, v2
	v_cmpx_gt_u32_e32 8, v2
; %bb.302:                              ;   in Loop: Header=BB216_15 Depth=1
	v_ffbh_u32_e32 v1, v10
	v_min_u32_e32 v1, 32, v1
	v_subrev_nc_u32_e32 v2, 28, v1
	v_sub_nc_u32_e32 v1, 29, v1
	v_lshlrev_b64 v[2:3], v2, v[10:11]
	v_and_b32_e32 v10, 7, v2
; %bb.303:                              ;   in Loop: Header=BB216_15 Depth=1
	s_or_b32 exec_lo, exec_lo, s21
	v_mov_b32_e32 v2, 24
	v_lshl_add_u32 v1, v1, 23, 0x3c000000
	v_lshlrev_b32_sdwa v0, v2, v0 dst_sel:DWORD dst_unused:UNUSED_PAD src0_sel:DWORD src1_sel:BYTE_3
	v_lshlrev_b32_e32 v2, 20, v10
	v_and_b32_e32 v0, 0x80000000, v0
	v_or3_b32 v1, v2, v0, v1
	v_mov_b32_e32 v0, v11
	buffer_store_dword v0, off, s[0:3], s32 offset:500 ; 4-byte Folded Spill
	buffer_store_dword v1, off, s[0:3], s32 offset:504 ; 4-byte Folded Spill
.LBB216_304:                            ;   in Loop: Header=BB216_15 Depth=1
	s_or_b32 exec_lo, exec_lo, s20
.LBB216_305:                            ;   in Loop: Header=BB216_15 Depth=1
	s_or_b32 exec_lo, exec_lo, s19
.LBB216_306:                            ;   in Loop: Header=BB216_15 Depth=1
	s_or_b32 exec_lo, exec_lo, s18
	flat_load_dword v0, v[112:113] offset:1028
	v_mov_b32_e32 v1, 0
	v_mov_b32_e32 v2, 0
	buffer_store_dword v1, off, s[0:3], s32 offset:524 ; 4-byte Folded Spill
	buffer_store_dword v2, off, s[0:3], s32 offset:528 ; 4-byte Folded Spill
	v_mov_b32_e32 v1, 0
	v_mov_b32_e32 v2, 0
	buffer_store_dword v1, off, s[0:3], s32 offset:516 ; 4-byte Folded Spill
	buffer_store_dword v2, off, s[0:3], s32 offset:520 ; 4-byte Folded Spill
	s_waitcnt vmcnt(0) lgkmcnt(0)
	v_cmp_ne_u16_sdwa s5, v0, v11 src0_sel:BYTE_0 src1_sel:DWORD
	s_and_saveexec_b32 s18, s5
	s_cbranch_execz .LBB216_314
; %bb.307:                              ;   in Loop: Header=BB216_15 Depth=1
	v_bfrev_b32_e32 v1, 1
	v_mov_b32_e32 v2, 0
	buffer_store_dword v1, off, s[0:3], s32 offset:516 ; 4-byte Folded Spill
	buffer_store_dword v2, off, s[0:3], s32 offset:520 ; 4-byte Folded Spill
	v_mov_b32_e32 v1, 0x80
	v_cmp_ne_u16_sdwa s5, v0, v1 src0_sel:BYTE_0 src1_sel:DWORD
	s_and_saveexec_b32 s19, s5
	s_cbranch_execz .LBB216_313
; %bb.308:                              ;   in Loop: Header=BB216_15 Depth=1
	v_mov_b32_e32 v3, 0x7f800001
	v_and_b32_e32 v2, 0x7f, v0
	v_mov_b32_e32 v4, 0
	s_mov_b32 s20, exec_lo
	buffer_store_dword v3, off, s[0:3], s32 offset:516 ; 4-byte Folded Spill
	buffer_store_dword v4, off, s[0:3], s32 offset:520 ; 4-byte Folded Spill
	v_cmpx_ne_u32_e32 0x7f, v2
	s_cbranch_execz .LBB216_312
; %bb.309:                              ;   in Loop: Header=BB216_15 Depth=1
	v_and_b32_e32 v10, 7, v0
	v_lshrrev_b32_e32 v1, 3, v2
	s_mov_b32 s21, exec_lo
	v_cmpx_gt_u32_e32 8, v2
; %bb.310:                              ;   in Loop: Header=BB216_15 Depth=1
	v_ffbh_u32_e32 v1, v10
	v_min_u32_e32 v1, 32, v1
	v_subrev_nc_u32_e32 v2, 28, v1
	v_sub_nc_u32_e32 v1, 29, v1
	v_lshlrev_b64 v[2:3], v2, v[10:11]
	v_and_b32_e32 v10, 7, v2
; %bb.311:                              ;   in Loop: Header=BB216_15 Depth=1
	s_or_b32 exec_lo, exec_lo, s21
	v_lshlrev_b32_e32 v2, 24, v0
	v_lshlrev_b32_e32 v3, 20, v10
	v_lshl_add_u32 v1, v1, 23, 0x3c000000
	v_and_b32_e32 v2, 0x80000000, v2
	v_or3_b32 v10, v3, v2, v1
	buffer_store_dword v10, off, s[0:3], s32 offset:516 ; 4-byte Folded Spill
	buffer_store_dword v11, off, s[0:3], s32 offset:520 ; 4-byte Folded Spill
.LBB216_312:                            ;   in Loop: Header=BB216_15 Depth=1
	s_or_b32 exec_lo, exec_lo, s20
.LBB216_313:                            ;   in Loop: Header=BB216_15 Depth=1
	s_or_b32 exec_lo, exec_lo, s19
.LBB216_314:                            ;   in Loop: Header=BB216_15 Depth=1
	s_or_b32 exec_lo, exec_lo, s18
	v_cmp_ne_u16_sdwa s5, v0, v11 src0_sel:BYTE_1 src1_sel:DWORD
	s_and_saveexec_b32 s18, s5
	s_cbranch_execz .LBB216_322
; %bb.315:                              ;   in Loop: Header=BB216_15 Depth=1
	v_mov_b32_e32 v1, 0x80
	v_mov_b32_e32 v115, v11
	buffer_store_dword v115, off, s[0:3], s32 offset:524 ; 4-byte Folded Spill
	buffer_store_dword v116, off, s[0:3], s32 offset:528 ; 4-byte Folded Spill
	v_cmp_ne_u16_sdwa s5, v0, v1 src0_sel:BYTE_1 src1_sel:DWORD
	s_and_saveexec_b32 s19, s5
	s_cbranch_execz .LBB216_321
; %bb.316:                              ;   in Loop: Header=BB216_15 Depth=1
	s_clause 0x1
	buffer_load_dword v3, off, s[0:3], s32 offset:192
	buffer_load_dword v4, off, s[0:3], s32 offset:196
	v_mov_b32_e32 v1, 0xffff
	s_mov_b32 s20, exec_lo
	v_and_b32_sdwa v1, v1, v0 dst_sel:DWORD dst_unused:UNUSED_PAD src0_sel:DWORD src1_sel:BYTE_1
	v_and_b32_e32 v2, 0x7f, v1
	s_waitcnt vmcnt(0)
	v_mov_b32_e32 v5, v4
	v_mov_b32_e32 v4, v11
	;; [unrolled: 1-line block ×3, first 2 shown]
	buffer_store_dword v2, off, s[0:3], s32 offset:192 ; 4-byte Folded Spill
	buffer_store_dword v3, off, s[0:3], s32 offset:196 ; 4-byte Folded Spill
	;; [unrolled: 1-line block ×4, first 2 shown]
	v_cmpx_ne_u32_e32 0x7f, v2
	s_cbranch_execz .LBB216_320
; %bb.317:                              ;   in Loop: Header=BB216_15 Depth=1
	v_and_b32_e32 v10, 7, v1
	v_lshrrev_b32_e32 v1, 3, v2
	s_mov_b32 s21, exec_lo
	v_cmpx_gt_u32_e32 8, v2
; %bb.318:                              ;   in Loop: Header=BB216_15 Depth=1
	v_ffbh_u32_e32 v1, v10
	v_min_u32_e32 v1, 32, v1
	v_subrev_nc_u32_e32 v2, 28, v1
	v_sub_nc_u32_e32 v1, 29, v1
	v_lshlrev_b64 v[2:3], v2, v[10:11]
	v_and_b32_e32 v10, 7, v2
; %bb.319:                              ;   in Loop: Header=BB216_15 Depth=1
	s_or_b32 exec_lo, exec_lo, s21
	v_lshlrev_b32_e32 v2, 16, v0
	v_lshlrev_b32_e32 v3, 20, v10
	v_lshl_add_u32 v1, v1, 23, 0x3c000000
	v_and_b32_e32 v2, 0x80000000, v2
	v_or3_b32 v2, v3, v2, v1
	v_mov_b32_e32 v1, v11
	buffer_store_dword v1, off, s[0:3], s32 offset:524 ; 4-byte Folded Spill
	buffer_store_dword v2, off, s[0:3], s32 offset:528 ; 4-byte Folded Spill
.LBB216_320:                            ;   in Loop: Header=BB216_15 Depth=1
	s_or_b32 exec_lo, exec_lo, s20
.LBB216_321:                            ;   in Loop: Header=BB216_15 Depth=1
	s_or_b32 exec_lo, exec_lo, s19
.LBB216_322:                            ;   in Loop: Header=BB216_15 Depth=1
	s_or_b32 exec_lo, exec_lo, s18
	v_mov_b32_e32 v2, 0
	v_mov_b32_e32 v3, 0
	;; [unrolled: 1-line block ×3, first 2 shown]
	s_mov_b32 s18, exec_lo
	buffer_store_dword v2, off, s[0:3], s32 offset:532 ; 4-byte Folded Spill
	buffer_store_dword v3, off, s[0:3], s32 offset:536 ; 4-byte Folded Spill
	v_mov_b32_e32 v2, 0
	v_and_b32_sdwa v1, v0, v1 dst_sel:DWORD dst_unused:UNUSED_PAD src0_sel:WORD_1 src1_sel:DWORD
	v_mov_b32_e32 v3, 0
	buffer_store_dword v2, off, s[0:3], s32 offset:540 ; 4-byte Folded Spill
	buffer_store_dword v3, off, s[0:3], s32 offset:544 ; 4-byte Folded Spill
	v_cmpx_ne_u16_e32 0, v1
	s_cbranch_execz .LBB216_330
; %bb.323:                              ;   in Loop: Header=BB216_15 Depth=1
	v_cmp_ne_u16_e64 s5, 0x80, v1
	v_bfrev_b32_e32 v1, 1
	v_mov_b32_e32 v2, 0
	buffer_store_dword v1, off, s[0:3], s32 offset:540 ; 4-byte Folded Spill
	buffer_store_dword v2, off, s[0:3], s32 offset:544 ; 4-byte Folded Spill
	s_and_saveexec_b32 s19, s5
	s_cbranch_execz .LBB216_329
; %bb.324:                              ;   in Loop: Header=BB216_15 Depth=1
	v_mov_b32_e32 v3, 0x7f800001
	v_bfe_u32 v2, v0, 16, 7
	v_mov_b32_e32 v4, 0
	s_mov_b32 s20, exec_lo
	buffer_store_dword v3, off, s[0:3], s32 offset:540 ; 4-byte Folded Spill
	buffer_store_dword v4, off, s[0:3], s32 offset:544 ; 4-byte Folded Spill
	v_cmpx_ne_u32_e32 0x7f, v2
	s_cbranch_execz .LBB216_328
; %bb.325:                              ;   in Loop: Header=BB216_15 Depth=1
	v_mov_b32_e32 v1, 7
	s_mov_b32 s21, exec_lo
	v_and_b32_sdwa v10, v0, v1 dst_sel:DWORD dst_unused:UNUSED_PAD src0_sel:WORD_1 src1_sel:DWORD
	v_lshrrev_b32_e32 v1, 3, v2
	v_cmpx_gt_u32_e32 8, v2
; %bb.326:                              ;   in Loop: Header=BB216_15 Depth=1
	v_ffbh_u32_e32 v1, v10
	v_min_u32_e32 v1, 32, v1
	v_subrev_nc_u32_e32 v2, 28, v1
	v_sub_nc_u32_e32 v1, 29, v1
	v_lshlrev_b64 v[2:3], v2, v[10:11]
	v_and_b32_e32 v10, 7, v2
; %bb.327:                              ;   in Loop: Header=BB216_15 Depth=1
	s_or_b32 exec_lo, exec_lo, s21
	v_mov_b32_e32 v2, 24
	v_lshlrev_b32_e32 v3, 20, v10
	v_lshl_add_u32 v1, v1, 23, 0x3c000000
	v_lshlrev_b32_sdwa v2, v2, v0 dst_sel:DWORD dst_unused:UNUSED_PAD src0_sel:DWORD src1_sel:WORD_1
	v_and_b32_e32 v2, 0x80000000, v2
	v_or3_b32 v10, v3, v2, v1
	buffer_store_dword v10, off, s[0:3], s32 offset:540 ; 4-byte Folded Spill
	buffer_store_dword v11, off, s[0:3], s32 offset:544 ; 4-byte Folded Spill
.LBB216_328:                            ;   in Loop: Header=BB216_15 Depth=1
	s_or_b32 exec_lo, exec_lo, s20
.LBB216_329:                            ;   in Loop: Header=BB216_15 Depth=1
	s_or_b32 exec_lo, exec_lo, s19
.LBB216_330:                            ;   in Loop: Header=BB216_15 Depth=1
	s_or_b32 exec_lo, exec_lo, s18
	s_mov_b32 s18, exec_lo
	v_cmpx_lt_u32_e32 0xffffff, v0
	s_cbranch_execz .LBB216_338
; %bb.331:                              ;   in Loop: Header=BB216_15 Depth=1
	v_mov_b32_e32 v1, 0x80
	v_mov_b32_e32 v115, v11
	buffer_store_dword v115, off, s[0:3], s32 offset:532 ; 4-byte Folded Spill
	buffer_store_dword v116, off, s[0:3], s32 offset:536 ; 4-byte Folded Spill
	v_cmp_ne_u32_sdwa s5, v0, v1 src0_sel:BYTE_3 src1_sel:DWORD
	s_and_saveexec_b32 s19, s5
	s_cbranch_execz .LBB216_337
; %bb.332:                              ;   in Loop: Header=BB216_15 Depth=1
	s_clause 0x1
	buffer_load_dword v3, off, s[0:3], s32 offset:192
	buffer_load_dword v4, off, s[0:3], s32 offset:196
	v_bfe_u32 v2, v0, 24, 7
	s_waitcnt vmcnt(1)
	v_mov_b32_e32 v3, v11
	s_mov_b32 s20, exec_lo
	s_waitcnt vmcnt(0)
	v_mov_b32_e32 v1, v4
	buffer_store_dword v0, off, s[0:3], s32 offset:192 ; 4-byte Folded Spill
	buffer_store_dword v1, off, s[0:3], s32 offset:196 ; 4-byte Folded Spill
	;; [unrolled: 1-line block ×4, first 2 shown]
	v_cmpx_ne_u32_e32 0x7f, v2
	s_cbranch_execz .LBB216_336
; %bb.333:                              ;   in Loop: Header=BB216_15 Depth=1
	v_mov_b32_e32 v1, 7
	s_mov_b32 s21, exec_lo
	v_and_b32_sdwa v10, v0, v1 dst_sel:DWORD dst_unused:UNUSED_PAD src0_sel:BYTE_3 src1_sel:DWORD
	v_lshrrev_b32_e32 v1, 3, v2
	v_cmpx_gt_u32_e32 8, v2
; %bb.334:                              ;   in Loop: Header=BB216_15 Depth=1
	v_ffbh_u32_e32 v1, v10
	v_min_u32_e32 v1, 32, v1
	v_subrev_nc_u32_e32 v2, 28, v1
	v_sub_nc_u32_e32 v1, 29, v1
	v_lshlrev_b64 v[2:3], v2, v[10:11]
	v_and_b32_e32 v10, 7, v2
; %bb.335:                              ;   in Loop: Header=BB216_15 Depth=1
	s_or_b32 exec_lo, exec_lo, s21
	v_mov_b32_e32 v2, 24
	v_lshl_add_u32 v1, v1, 23, 0x3c000000
	v_lshlrev_b32_sdwa v0, v2, v0 dst_sel:DWORD dst_unused:UNUSED_PAD src0_sel:DWORD src1_sel:BYTE_3
	v_lshlrev_b32_e32 v2, 20, v10
	v_and_b32_e32 v0, 0x80000000, v0
	v_or3_b32 v1, v2, v0, v1
	v_mov_b32_e32 v0, v11
	buffer_store_dword v0, off, s[0:3], s32 offset:532 ; 4-byte Folded Spill
	buffer_store_dword v1, off, s[0:3], s32 offset:536 ; 4-byte Folded Spill
.LBB216_336:                            ;   in Loop: Header=BB216_15 Depth=1
	s_or_b32 exec_lo, exec_lo, s20
.LBB216_337:                            ;   in Loop: Header=BB216_15 Depth=1
	s_or_b32 exec_lo, exec_lo, s19
.LBB216_338:                            ;   in Loop: Header=BB216_15 Depth=1
	s_or_b32 exec_lo, exec_lo, s18
	flat_load_dword v0, v[112:113] offset:1032
	v_mov_b32_e32 v1, 0
	v_mov_b32_e32 v2, 0
	buffer_store_dword v1, off, s[0:3], s32 offset:556 ; 4-byte Folded Spill
	buffer_store_dword v2, off, s[0:3], s32 offset:560 ; 4-byte Folded Spill
	v_mov_b32_e32 v1, 0
	v_mov_b32_e32 v2, 0
	buffer_store_dword v1, off, s[0:3], s32 offset:548 ; 4-byte Folded Spill
	buffer_store_dword v2, off, s[0:3], s32 offset:552 ; 4-byte Folded Spill
	s_waitcnt vmcnt(0) lgkmcnt(0)
	v_cmp_ne_u16_sdwa s5, v0, v11 src0_sel:BYTE_0 src1_sel:DWORD
	s_and_saveexec_b32 s18, s5
	s_cbranch_execz .LBB216_346
; %bb.339:                              ;   in Loop: Header=BB216_15 Depth=1
	v_bfrev_b32_e32 v1, 1
	v_mov_b32_e32 v2, 0
	buffer_store_dword v1, off, s[0:3], s32 offset:548 ; 4-byte Folded Spill
	buffer_store_dword v2, off, s[0:3], s32 offset:552 ; 4-byte Folded Spill
	v_mov_b32_e32 v1, 0x80
	v_cmp_ne_u16_sdwa s5, v0, v1 src0_sel:BYTE_0 src1_sel:DWORD
	s_and_saveexec_b32 s19, s5
	s_cbranch_execz .LBB216_345
; %bb.340:                              ;   in Loop: Header=BB216_15 Depth=1
	v_mov_b32_e32 v3, 0x7f800001
	v_and_b32_e32 v2, 0x7f, v0
	v_mov_b32_e32 v4, 0
	s_mov_b32 s20, exec_lo
	buffer_store_dword v3, off, s[0:3], s32 offset:548 ; 4-byte Folded Spill
	buffer_store_dword v4, off, s[0:3], s32 offset:552 ; 4-byte Folded Spill
	v_cmpx_ne_u32_e32 0x7f, v2
	s_cbranch_execz .LBB216_344
; %bb.341:                              ;   in Loop: Header=BB216_15 Depth=1
	v_and_b32_e32 v10, 7, v0
	v_lshrrev_b32_e32 v1, 3, v2
	s_mov_b32 s21, exec_lo
	v_cmpx_gt_u32_e32 8, v2
; %bb.342:                              ;   in Loop: Header=BB216_15 Depth=1
	v_ffbh_u32_e32 v1, v10
	v_min_u32_e32 v1, 32, v1
	v_subrev_nc_u32_e32 v2, 28, v1
	v_sub_nc_u32_e32 v1, 29, v1
	v_lshlrev_b64 v[2:3], v2, v[10:11]
	v_and_b32_e32 v10, 7, v2
; %bb.343:                              ;   in Loop: Header=BB216_15 Depth=1
	s_or_b32 exec_lo, exec_lo, s21
	v_lshlrev_b32_e32 v2, 24, v0
	v_lshlrev_b32_e32 v3, 20, v10
	v_lshl_add_u32 v1, v1, 23, 0x3c000000
	v_and_b32_e32 v2, 0x80000000, v2
	v_or3_b32 v10, v3, v2, v1
	buffer_store_dword v10, off, s[0:3], s32 offset:548 ; 4-byte Folded Spill
	buffer_store_dword v11, off, s[0:3], s32 offset:552 ; 4-byte Folded Spill
.LBB216_344:                            ;   in Loop: Header=BB216_15 Depth=1
	s_or_b32 exec_lo, exec_lo, s20
.LBB216_345:                            ;   in Loop: Header=BB216_15 Depth=1
	s_or_b32 exec_lo, exec_lo, s19
.LBB216_346:                            ;   in Loop: Header=BB216_15 Depth=1
	s_or_b32 exec_lo, exec_lo, s18
	v_cmp_ne_u16_sdwa s5, v0, v11 src0_sel:BYTE_1 src1_sel:DWORD
	s_and_saveexec_b32 s18, s5
	s_cbranch_execz .LBB216_354
; %bb.347:                              ;   in Loop: Header=BB216_15 Depth=1
	v_mov_b32_e32 v1, 0x80
	v_mov_b32_e32 v115, v11
	buffer_store_dword v115, off, s[0:3], s32 offset:556 ; 4-byte Folded Spill
	buffer_store_dword v116, off, s[0:3], s32 offset:560 ; 4-byte Folded Spill
	v_cmp_ne_u16_sdwa s5, v0, v1 src0_sel:BYTE_1 src1_sel:DWORD
	s_and_saveexec_b32 s19, s5
	s_cbranch_execz .LBB216_353
; %bb.348:                              ;   in Loop: Header=BB216_15 Depth=1
	s_clause 0x1
	buffer_load_dword v3, off, s[0:3], s32 offset:192
	buffer_load_dword v4, off, s[0:3], s32 offset:196
	v_mov_b32_e32 v1, 0xffff
	s_mov_b32 s20, exec_lo
	v_and_b32_sdwa v1, v1, v0 dst_sel:DWORD dst_unused:UNUSED_PAD src0_sel:DWORD src1_sel:BYTE_1
	v_and_b32_e32 v2, 0x7f, v1
	s_waitcnt vmcnt(0)
	v_mov_b32_e32 v5, v4
	v_mov_b32_e32 v4, v11
	;; [unrolled: 1-line block ×3, first 2 shown]
	buffer_store_dword v2, off, s[0:3], s32 offset:192 ; 4-byte Folded Spill
	buffer_store_dword v3, off, s[0:3], s32 offset:196 ; 4-byte Folded Spill
	;; [unrolled: 1-line block ×4, first 2 shown]
	v_cmpx_ne_u32_e32 0x7f, v2
	s_cbranch_execz .LBB216_352
; %bb.349:                              ;   in Loop: Header=BB216_15 Depth=1
	v_and_b32_e32 v10, 7, v1
	v_lshrrev_b32_e32 v1, 3, v2
	s_mov_b32 s21, exec_lo
	v_cmpx_gt_u32_e32 8, v2
; %bb.350:                              ;   in Loop: Header=BB216_15 Depth=1
	v_ffbh_u32_e32 v1, v10
	v_min_u32_e32 v1, 32, v1
	v_subrev_nc_u32_e32 v2, 28, v1
	v_sub_nc_u32_e32 v1, 29, v1
	v_lshlrev_b64 v[2:3], v2, v[10:11]
	v_and_b32_e32 v10, 7, v2
; %bb.351:                              ;   in Loop: Header=BB216_15 Depth=1
	s_or_b32 exec_lo, exec_lo, s21
	v_lshlrev_b32_e32 v2, 16, v0
	v_lshlrev_b32_e32 v3, 20, v10
	v_lshl_add_u32 v1, v1, 23, 0x3c000000
	v_and_b32_e32 v2, 0x80000000, v2
	v_or3_b32 v2, v3, v2, v1
	v_mov_b32_e32 v1, v11
	buffer_store_dword v1, off, s[0:3], s32 offset:556 ; 4-byte Folded Spill
	buffer_store_dword v2, off, s[0:3], s32 offset:560 ; 4-byte Folded Spill
.LBB216_352:                            ;   in Loop: Header=BB216_15 Depth=1
	s_or_b32 exec_lo, exec_lo, s20
.LBB216_353:                            ;   in Loop: Header=BB216_15 Depth=1
	s_or_b32 exec_lo, exec_lo, s19
.LBB216_354:                            ;   in Loop: Header=BB216_15 Depth=1
	s_or_b32 exec_lo, exec_lo, s18
	v_mov_b32_e32 v2, 0
	v_mov_b32_e32 v3, 0
	;; [unrolled: 1-line block ×3, first 2 shown]
	s_mov_b32 s18, exec_lo
	buffer_store_dword v2, off, s[0:3], s32 offset:564 ; 4-byte Folded Spill
	buffer_store_dword v3, off, s[0:3], s32 offset:568 ; 4-byte Folded Spill
	v_mov_b32_e32 v2, 0
	v_and_b32_sdwa v1, v0, v1 dst_sel:DWORD dst_unused:UNUSED_PAD src0_sel:WORD_1 src1_sel:DWORD
	v_mov_b32_e32 v3, 0
	buffer_store_dword v2, off, s[0:3], s32 offset:572 ; 4-byte Folded Spill
	buffer_store_dword v3, off, s[0:3], s32 offset:576 ; 4-byte Folded Spill
	v_cmpx_ne_u16_e32 0, v1
	s_cbranch_execz .LBB216_362
; %bb.355:                              ;   in Loop: Header=BB216_15 Depth=1
	v_cmp_ne_u16_e64 s5, 0x80, v1
	v_bfrev_b32_e32 v1, 1
	v_mov_b32_e32 v2, 0
	buffer_store_dword v1, off, s[0:3], s32 offset:572 ; 4-byte Folded Spill
	buffer_store_dword v2, off, s[0:3], s32 offset:576 ; 4-byte Folded Spill
	s_and_saveexec_b32 s19, s5
	s_cbranch_execz .LBB216_361
; %bb.356:                              ;   in Loop: Header=BB216_15 Depth=1
	v_mov_b32_e32 v3, 0x7f800001
	v_bfe_u32 v2, v0, 16, 7
	v_mov_b32_e32 v4, 0
	s_mov_b32 s20, exec_lo
	buffer_store_dword v3, off, s[0:3], s32 offset:572 ; 4-byte Folded Spill
	buffer_store_dword v4, off, s[0:3], s32 offset:576 ; 4-byte Folded Spill
	v_cmpx_ne_u32_e32 0x7f, v2
	s_cbranch_execz .LBB216_360
; %bb.357:                              ;   in Loop: Header=BB216_15 Depth=1
	v_mov_b32_e32 v1, 7
	s_mov_b32 s21, exec_lo
	v_and_b32_sdwa v10, v0, v1 dst_sel:DWORD dst_unused:UNUSED_PAD src0_sel:WORD_1 src1_sel:DWORD
	v_lshrrev_b32_e32 v1, 3, v2
	v_cmpx_gt_u32_e32 8, v2
; %bb.358:                              ;   in Loop: Header=BB216_15 Depth=1
	v_ffbh_u32_e32 v1, v10
	v_min_u32_e32 v1, 32, v1
	v_subrev_nc_u32_e32 v2, 28, v1
	v_sub_nc_u32_e32 v1, 29, v1
	v_lshlrev_b64 v[2:3], v2, v[10:11]
	v_and_b32_e32 v10, 7, v2
; %bb.359:                              ;   in Loop: Header=BB216_15 Depth=1
	s_or_b32 exec_lo, exec_lo, s21
	v_mov_b32_e32 v2, 24
	v_lshlrev_b32_e32 v3, 20, v10
	v_lshl_add_u32 v1, v1, 23, 0x3c000000
	v_lshlrev_b32_sdwa v2, v2, v0 dst_sel:DWORD dst_unused:UNUSED_PAD src0_sel:DWORD src1_sel:WORD_1
	v_and_b32_e32 v2, 0x80000000, v2
	v_or3_b32 v10, v3, v2, v1
	buffer_store_dword v10, off, s[0:3], s32 offset:572 ; 4-byte Folded Spill
	buffer_store_dword v11, off, s[0:3], s32 offset:576 ; 4-byte Folded Spill
.LBB216_360:                            ;   in Loop: Header=BB216_15 Depth=1
	s_or_b32 exec_lo, exec_lo, s20
.LBB216_361:                            ;   in Loop: Header=BB216_15 Depth=1
	s_or_b32 exec_lo, exec_lo, s19
.LBB216_362:                            ;   in Loop: Header=BB216_15 Depth=1
	s_or_b32 exec_lo, exec_lo, s18
	s_mov_b32 s18, exec_lo
	v_cmpx_lt_u32_e32 0xffffff, v0
	s_cbranch_execz .LBB216_370
; %bb.363:                              ;   in Loop: Header=BB216_15 Depth=1
	v_mov_b32_e32 v1, 0x80
	v_mov_b32_e32 v115, v11
	buffer_store_dword v115, off, s[0:3], s32 offset:564 ; 4-byte Folded Spill
	buffer_store_dword v116, off, s[0:3], s32 offset:568 ; 4-byte Folded Spill
	v_cmp_ne_u32_sdwa s5, v0, v1 src0_sel:BYTE_3 src1_sel:DWORD
	s_and_saveexec_b32 s19, s5
	s_cbranch_execz .LBB216_369
; %bb.364:                              ;   in Loop: Header=BB216_15 Depth=1
	s_clause 0x1
	buffer_load_dword v3, off, s[0:3], s32 offset:192
	buffer_load_dword v4, off, s[0:3], s32 offset:196
	v_bfe_u32 v2, v0, 24, 7
	s_waitcnt vmcnt(1)
	v_mov_b32_e32 v3, v11
	s_mov_b32 s20, exec_lo
	s_waitcnt vmcnt(0)
	v_mov_b32_e32 v1, v4
	buffer_store_dword v0, off, s[0:3], s32 offset:192 ; 4-byte Folded Spill
	buffer_store_dword v1, off, s[0:3], s32 offset:196 ; 4-byte Folded Spill
	;; [unrolled: 1-line block ×4, first 2 shown]
	v_cmpx_ne_u32_e32 0x7f, v2
	s_cbranch_execz .LBB216_368
; %bb.365:                              ;   in Loop: Header=BB216_15 Depth=1
	v_mov_b32_e32 v1, 7
	s_mov_b32 s21, exec_lo
	v_and_b32_sdwa v10, v0, v1 dst_sel:DWORD dst_unused:UNUSED_PAD src0_sel:BYTE_3 src1_sel:DWORD
	v_lshrrev_b32_e32 v1, 3, v2
	v_cmpx_gt_u32_e32 8, v2
; %bb.366:                              ;   in Loop: Header=BB216_15 Depth=1
	v_ffbh_u32_e32 v1, v10
	v_min_u32_e32 v1, 32, v1
	v_subrev_nc_u32_e32 v2, 28, v1
	v_sub_nc_u32_e32 v1, 29, v1
	v_lshlrev_b64 v[2:3], v2, v[10:11]
	v_and_b32_e32 v10, 7, v2
; %bb.367:                              ;   in Loop: Header=BB216_15 Depth=1
	s_or_b32 exec_lo, exec_lo, s21
	v_mov_b32_e32 v2, 24
	v_lshl_add_u32 v1, v1, 23, 0x3c000000
	v_lshlrev_b32_sdwa v0, v2, v0 dst_sel:DWORD dst_unused:UNUSED_PAD src0_sel:DWORD src1_sel:BYTE_3
	v_lshlrev_b32_e32 v2, 20, v10
	v_and_b32_e32 v0, 0x80000000, v0
	v_or3_b32 v1, v2, v0, v1
	v_mov_b32_e32 v0, v11
	buffer_store_dword v0, off, s[0:3], s32 offset:564 ; 4-byte Folded Spill
	buffer_store_dword v1, off, s[0:3], s32 offset:568 ; 4-byte Folded Spill
.LBB216_368:                            ;   in Loop: Header=BB216_15 Depth=1
	s_or_b32 exec_lo, exec_lo, s20
.LBB216_369:                            ;   in Loop: Header=BB216_15 Depth=1
	s_or_b32 exec_lo, exec_lo, s19
.LBB216_370:                            ;   in Loop: Header=BB216_15 Depth=1
	s_or_b32 exec_lo, exec_lo, s18
	flat_load_dword v0, v[112:113] offset:1036
	v_mov_b32_e32 v1, 0
	v_mov_b32_e32 v2, 0
	buffer_store_dword v1, off, s[0:3], s32 offset:588 ; 4-byte Folded Spill
	buffer_store_dword v2, off, s[0:3], s32 offset:592 ; 4-byte Folded Spill
	v_mov_b32_e32 v1, 0
	v_mov_b32_e32 v2, 0
	buffer_store_dword v1, off, s[0:3], s32 offset:580 ; 4-byte Folded Spill
	buffer_store_dword v2, off, s[0:3], s32 offset:584 ; 4-byte Folded Spill
	s_waitcnt vmcnt(0) lgkmcnt(0)
	v_cmp_ne_u16_sdwa s5, v0, v11 src0_sel:BYTE_0 src1_sel:DWORD
	s_and_saveexec_b32 s18, s5
	s_cbranch_execz .LBB216_378
; %bb.371:                              ;   in Loop: Header=BB216_15 Depth=1
	v_bfrev_b32_e32 v1, 1
	v_mov_b32_e32 v2, 0
	buffer_store_dword v1, off, s[0:3], s32 offset:580 ; 4-byte Folded Spill
	buffer_store_dword v2, off, s[0:3], s32 offset:584 ; 4-byte Folded Spill
	v_mov_b32_e32 v1, 0x80
	v_cmp_ne_u16_sdwa s5, v0, v1 src0_sel:BYTE_0 src1_sel:DWORD
	s_and_saveexec_b32 s19, s5
	s_cbranch_execz .LBB216_377
; %bb.372:                              ;   in Loop: Header=BB216_15 Depth=1
	v_mov_b32_e32 v3, 0x7f800001
	v_and_b32_e32 v2, 0x7f, v0
	v_mov_b32_e32 v4, 0
	s_mov_b32 s20, exec_lo
	buffer_store_dword v3, off, s[0:3], s32 offset:580 ; 4-byte Folded Spill
	buffer_store_dword v4, off, s[0:3], s32 offset:584 ; 4-byte Folded Spill
	v_cmpx_ne_u32_e32 0x7f, v2
	s_cbranch_execz .LBB216_376
; %bb.373:                              ;   in Loop: Header=BB216_15 Depth=1
	v_and_b32_e32 v10, 7, v0
	v_lshrrev_b32_e32 v1, 3, v2
	s_mov_b32 s21, exec_lo
	v_cmpx_gt_u32_e32 8, v2
; %bb.374:                              ;   in Loop: Header=BB216_15 Depth=1
	v_ffbh_u32_e32 v1, v10
	v_min_u32_e32 v1, 32, v1
	v_subrev_nc_u32_e32 v2, 28, v1
	v_sub_nc_u32_e32 v1, 29, v1
	v_lshlrev_b64 v[2:3], v2, v[10:11]
	v_and_b32_e32 v10, 7, v2
; %bb.375:                              ;   in Loop: Header=BB216_15 Depth=1
	s_or_b32 exec_lo, exec_lo, s21
	v_lshlrev_b32_e32 v2, 24, v0
	v_lshlrev_b32_e32 v3, 20, v10
	v_lshl_add_u32 v1, v1, 23, 0x3c000000
	v_and_b32_e32 v2, 0x80000000, v2
	v_or3_b32 v10, v3, v2, v1
	buffer_store_dword v10, off, s[0:3], s32 offset:580 ; 4-byte Folded Spill
	buffer_store_dword v11, off, s[0:3], s32 offset:584 ; 4-byte Folded Spill
.LBB216_376:                            ;   in Loop: Header=BB216_15 Depth=1
	s_or_b32 exec_lo, exec_lo, s20
.LBB216_377:                            ;   in Loop: Header=BB216_15 Depth=1
	s_or_b32 exec_lo, exec_lo, s19
.LBB216_378:                            ;   in Loop: Header=BB216_15 Depth=1
	s_or_b32 exec_lo, exec_lo, s18
	v_cmp_ne_u16_sdwa s5, v0, v11 src0_sel:BYTE_1 src1_sel:DWORD
	s_and_saveexec_b32 s18, s5
	s_cbranch_execz .LBB216_386
; %bb.379:                              ;   in Loop: Header=BB216_15 Depth=1
	v_mov_b32_e32 v1, 0x80
	v_mov_b32_e32 v115, v11
	buffer_store_dword v115, off, s[0:3], s32 offset:588 ; 4-byte Folded Spill
	buffer_store_dword v116, off, s[0:3], s32 offset:592 ; 4-byte Folded Spill
	v_cmp_ne_u16_sdwa s5, v0, v1 src0_sel:BYTE_1 src1_sel:DWORD
	s_and_saveexec_b32 s19, s5
	s_cbranch_execz .LBB216_385
; %bb.380:                              ;   in Loop: Header=BB216_15 Depth=1
	s_clause 0x1
	buffer_load_dword v3, off, s[0:3], s32 offset:192
	buffer_load_dword v4, off, s[0:3], s32 offset:196
	v_mov_b32_e32 v1, 0xffff
	s_mov_b32 s20, exec_lo
	v_and_b32_sdwa v1, v1, v0 dst_sel:DWORD dst_unused:UNUSED_PAD src0_sel:DWORD src1_sel:BYTE_1
	v_and_b32_e32 v2, 0x7f, v1
	s_waitcnt vmcnt(0)
	v_mov_b32_e32 v5, v4
	v_mov_b32_e32 v4, v11
	;; [unrolled: 1-line block ×3, first 2 shown]
	buffer_store_dword v2, off, s[0:3], s32 offset:192 ; 4-byte Folded Spill
	buffer_store_dword v3, off, s[0:3], s32 offset:196 ; 4-byte Folded Spill
	;; [unrolled: 1-line block ×4, first 2 shown]
	v_cmpx_ne_u32_e32 0x7f, v2
	s_cbranch_execz .LBB216_384
; %bb.381:                              ;   in Loop: Header=BB216_15 Depth=1
	v_and_b32_e32 v10, 7, v1
	v_lshrrev_b32_e32 v1, 3, v2
	s_mov_b32 s21, exec_lo
	v_cmpx_gt_u32_e32 8, v2
; %bb.382:                              ;   in Loop: Header=BB216_15 Depth=1
	v_ffbh_u32_e32 v1, v10
	v_min_u32_e32 v1, 32, v1
	v_subrev_nc_u32_e32 v2, 28, v1
	v_sub_nc_u32_e32 v1, 29, v1
	v_lshlrev_b64 v[2:3], v2, v[10:11]
	v_and_b32_e32 v10, 7, v2
; %bb.383:                              ;   in Loop: Header=BB216_15 Depth=1
	s_or_b32 exec_lo, exec_lo, s21
	v_lshlrev_b32_e32 v2, 16, v0
	v_lshlrev_b32_e32 v3, 20, v10
	v_lshl_add_u32 v1, v1, 23, 0x3c000000
	v_and_b32_e32 v2, 0x80000000, v2
	v_or3_b32 v2, v3, v2, v1
	v_mov_b32_e32 v1, v11
	buffer_store_dword v1, off, s[0:3], s32 offset:588 ; 4-byte Folded Spill
	buffer_store_dword v2, off, s[0:3], s32 offset:592 ; 4-byte Folded Spill
.LBB216_384:                            ;   in Loop: Header=BB216_15 Depth=1
	s_or_b32 exec_lo, exec_lo, s20
.LBB216_385:                            ;   in Loop: Header=BB216_15 Depth=1
	s_or_b32 exec_lo, exec_lo, s19
.LBB216_386:                            ;   in Loop: Header=BB216_15 Depth=1
	s_or_b32 exec_lo, exec_lo, s18
	v_mov_b32_e32 v2, 0
	v_mov_b32_e32 v3, 0
	;; [unrolled: 1-line block ×3, first 2 shown]
	s_mov_b32 s18, exec_lo
	buffer_store_dword v2, off, s[0:3], s32 offset:596 ; 4-byte Folded Spill
	buffer_store_dword v3, off, s[0:3], s32 offset:600 ; 4-byte Folded Spill
	v_mov_b32_e32 v2, 0
	v_and_b32_sdwa v1, v0, v1 dst_sel:DWORD dst_unused:UNUSED_PAD src0_sel:WORD_1 src1_sel:DWORD
	v_mov_b32_e32 v3, 0
	buffer_store_dword v2, off, s[0:3], s32 offset:604 ; 4-byte Folded Spill
	buffer_store_dword v3, off, s[0:3], s32 offset:608 ; 4-byte Folded Spill
	v_cmpx_ne_u16_e32 0, v1
	s_cbranch_execz .LBB216_394
; %bb.387:                              ;   in Loop: Header=BB216_15 Depth=1
	v_cmp_ne_u16_e64 s5, 0x80, v1
	v_bfrev_b32_e32 v1, 1
	v_mov_b32_e32 v2, 0
	buffer_store_dword v1, off, s[0:3], s32 offset:604 ; 4-byte Folded Spill
	buffer_store_dword v2, off, s[0:3], s32 offset:608 ; 4-byte Folded Spill
	s_and_saveexec_b32 s19, s5
	s_cbranch_execz .LBB216_393
; %bb.388:                              ;   in Loop: Header=BB216_15 Depth=1
	v_mov_b32_e32 v3, 0x7f800001
	v_bfe_u32 v2, v0, 16, 7
	v_mov_b32_e32 v4, 0
	s_mov_b32 s20, exec_lo
	buffer_store_dword v3, off, s[0:3], s32 offset:604 ; 4-byte Folded Spill
	buffer_store_dword v4, off, s[0:3], s32 offset:608 ; 4-byte Folded Spill
	v_cmpx_ne_u32_e32 0x7f, v2
	s_cbranch_execz .LBB216_392
; %bb.389:                              ;   in Loop: Header=BB216_15 Depth=1
	v_mov_b32_e32 v1, 7
	s_mov_b32 s21, exec_lo
	v_and_b32_sdwa v10, v0, v1 dst_sel:DWORD dst_unused:UNUSED_PAD src0_sel:WORD_1 src1_sel:DWORD
	v_lshrrev_b32_e32 v1, 3, v2
	v_cmpx_gt_u32_e32 8, v2
; %bb.390:                              ;   in Loop: Header=BB216_15 Depth=1
	v_ffbh_u32_e32 v1, v10
	v_min_u32_e32 v1, 32, v1
	v_subrev_nc_u32_e32 v2, 28, v1
	v_sub_nc_u32_e32 v1, 29, v1
	v_lshlrev_b64 v[2:3], v2, v[10:11]
	v_and_b32_e32 v10, 7, v2
; %bb.391:                              ;   in Loop: Header=BB216_15 Depth=1
	s_or_b32 exec_lo, exec_lo, s21
	v_mov_b32_e32 v2, 24
	v_lshlrev_b32_e32 v3, 20, v10
	v_lshl_add_u32 v1, v1, 23, 0x3c000000
	v_lshlrev_b32_sdwa v2, v2, v0 dst_sel:DWORD dst_unused:UNUSED_PAD src0_sel:DWORD src1_sel:WORD_1
	v_and_b32_e32 v2, 0x80000000, v2
	v_or3_b32 v10, v3, v2, v1
	buffer_store_dword v10, off, s[0:3], s32 offset:604 ; 4-byte Folded Spill
	buffer_store_dword v11, off, s[0:3], s32 offset:608 ; 4-byte Folded Spill
.LBB216_392:                            ;   in Loop: Header=BB216_15 Depth=1
	s_or_b32 exec_lo, exec_lo, s20
.LBB216_393:                            ;   in Loop: Header=BB216_15 Depth=1
	s_or_b32 exec_lo, exec_lo, s19
.LBB216_394:                            ;   in Loop: Header=BB216_15 Depth=1
	s_or_b32 exec_lo, exec_lo, s18
	s_mov_b32 s18, exec_lo
	v_cmpx_lt_u32_e32 0xffffff, v0
	s_cbranch_execz .LBB216_402
; %bb.395:                              ;   in Loop: Header=BB216_15 Depth=1
	v_mov_b32_e32 v1, 0x80
	v_mov_b32_e32 v115, v11
	buffer_store_dword v115, off, s[0:3], s32 offset:596 ; 4-byte Folded Spill
	buffer_store_dword v116, off, s[0:3], s32 offset:600 ; 4-byte Folded Spill
	v_cmp_ne_u32_sdwa s5, v0, v1 src0_sel:BYTE_3 src1_sel:DWORD
	s_and_saveexec_b32 s19, s5
	s_cbranch_execz .LBB216_401
; %bb.396:                              ;   in Loop: Header=BB216_15 Depth=1
	s_clause 0x1
	buffer_load_dword v3, off, s[0:3], s32 offset:192
	buffer_load_dword v4, off, s[0:3], s32 offset:196
	v_bfe_u32 v2, v0, 24, 7
	s_waitcnt vmcnt(1)
	v_mov_b32_e32 v3, v11
	s_mov_b32 s20, exec_lo
	s_waitcnt vmcnt(0)
	v_mov_b32_e32 v1, v4
	buffer_store_dword v0, off, s[0:3], s32 offset:192 ; 4-byte Folded Spill
	buffer_store_dword v1, off, s[0:3], s32 offset:196 ; 4-byte Folded Spill
	;; [unrolled: 1-line block ×4, first 2 shown]
	v_cmpx_ne_u32_e32 0x7f, v2
	s_cbranch_execz .LBB216_400
; %bb.397:                              ;   in Loop: Header=BB216_15 Depth=1
	v_mov_b32_e32 v1, 7
	s_mov_b32 s21, exec_lo
	v_and_b32_sdwa v10, v0, v1 dst_sel:DWORD dst_unused:UNUSED_PAD src0_sel:BYTE_3 src1_sel:DWORD
	v_lshrrev_b32_e32 v1, 3, v2
	v_cmpx_gt_u32_e32 8, v2
; %bb.398:                              ;   in Loop: Header=BB216_15 Depth=1
	v_ffbh_u32_e32 v1, v10
	v_min_u32_e32 v1, 32, v1
	v_subrev_nc_u32_e32 v2, 28, v1
	v_sub_nc_u32_e32 v1, 29, v1
	v_lshlrev_b64 v[2:3], v2, v[10:11]
	v_and_b32_e32 v10, 7, v2
; %bb.399:                              ;   in Loop: Header=BB216_15 Depth=1
	s_or_b32 exec_lo, exec_lo, s21
	v_mov_b32_e32 v2, 24
	v_lshl_add_u32 v1, v1, 23, 0x3c000000
	v_lshlrev_b32_sdwa v0, v2, v0 dst_sel:DWORD dst_unused:UNUSED_PAD src0_sel:DWORD src1_sel:BYTE_3
	v_lshlrev_b32_e32 v2, 20, v10
	v_and_b32_e32 v0, 0x80000000, v0
	v_or3_b32 v1, v2, v0, v1
	v_mov_b32_e32 v0, v11
	buffer_store_dword v0, off, s[0:3], s32 offset:596 ; 4-byte Folded Spill
	buffer_store_dword v1, off, s[0:3], s32 offset:600 ; 4-byte Folded Spill
.LBB216_400:                            ;   in Loop: Header=BB216_15 Depth=1
	s_or_b32 exec_lo, exec_lo, s20
.LBB216_401:                            ;   in Loop: Header=BB216_15 Depth=1
	s_or_b32 exec_lo, exec_lo, s19
.LBB216_402:                            ;   in Loop: Header=BB216_15 Depth=1
	s_or_b32 exec_lo, exec_lo, s18
	flat_load_dword v0, v[112:113] offset:1536
	v_mov_b32_e32 v1, 0
	v_mov_b32_e32 v2, 0
	buffer_store_dword v1, off, s[0:3], s32 offset:620 ; 4-byte Folded Spill
	buffer_store_dword v2, off, s[0:3], s32 offset:624 ; 4-byte Folded Spill
	v_mov_b32_e32 v1, 0
	v_mov_b32_e32 v2, 0
	buffer_store_dword v1, off, s[0:3], s32 offset:612 ; 4-byte Folded Spill
	buffer_store_dword v2, off, s[0:3], s32 offset:616 ; 4-byte Folded Spill
	s_waitcnt vmcnt(0) lgkmcnt(0)
	v_cmp_ne_u16_sdwa s5, v0, v11 src0_sel:BYTE_0 src1_sel:DWORD
	s_and_saveexec_b32 s18, s5
	s_cbranch_execz .LBB216_410
; %bb.403:                              ;   in Loop: Header=BB216_15 Depth=1
	v_bfrev_b32_e32 v1, 1
	v_mov_b32_e32 v2, 0
	buffer_store_dword v1, off, s[0:3], s32 offset:612 ; 4-byte Folded Spill
	buffer_store_dword v2, off, s[0:3], s32 offset:616 ; 4-byte Folded Spill
	v_mov_b32_e32 v1, 0x80
	v_cmp_ne_u16_sdwa s5, v0, v1 src0_sel:BYTE_0 src1_sel:DWORD
	s_and_saveexec_b32 s19, s5
	s_cbranch_execz .LBB216_409
; %bb.404:                              ;   in Loop: Header=BB216_15 Depth=1
	v_mov_b32_e32 v3, 0x7f800001
	v_and_b32_e32 v2, 0x7f, v0
	v_mov_b32_e32 v4, 0
	s_mov_b32 s20, exec_lo
	buffer_store_dword v3, off, s[0:3], s32 offset:612 ; 4-byte Folded Spill
	buffer_store_dword v4, off, s[0:3], s32 offset:616 ; 4-byte Folded Spill
	v_cmpx_ne_u32_e32 0x7f, v2
	s_cbranch_execz .LBB216_408
; %bb.405:                              ;   in Loop: Header=BB216_15 Depth=1
	v_and_b32_e32 v10, 7, v0
	v_lshrrev_b32_e32 v1, 3, v2
	s_mov_b32 s21, exec_lo
	v_cmpx_gt_u32_e32 8, v2
; %bb.406:                              ;   in Loop: Header=BB216_15 Depth=1
	v_ffbh_u32_e32 v1, v10
	v_min_u32_e32 v1, 32, v1
	v_subrev_nc_u32_e32 v2, 28, v1
	v_sub_nc_u32_e32 v1, 29, v1
	v_lshlrev_b64 v[2:3], v2, v[10:11]
	v_and_b32_e32 v10, 7, v2
; %bb.407:                              ;   in Loop: Header=BB216_15 Depth=1
	s_or_b32 exec_lo, exec_lo, s21
	v_lshlrev_b32_e32 v2, 24, v0
	v_lshlrev_b32_e32 v3, 20, v10
	v_lshl_add_u32 v1, v1, 23, 0x3c000000
	v_and_b32_e32 v2, 0x80000000, v2
	v_or3_b32 v10, v3, v2, v1
	buffer_store_dword v10, off, s[0:3], s32 offset:612 ; 4-byte Folded Spill
	buffer_store_dword v11, off, s[0:3], s32 offset:616 ; 4-byte Folded Spill
.LBB216_408:                            ;   in Loop: Header=BB216_15 Depth=1
	s_or_b32 exec_lo, exec_lo, s20
.LBB216_409:                            ;   in Loop: Header=BB216_15 Depth=1
	s_or_b32 exec_lo, exec_lo, s19
.LBB216_410:                            ;   in Loop: Header=BB216_15 Depth=1
	s_or_b32 exec_lo, exec_lo, s18
	v_cmp_ne_u16_sdwa s5, v0, v11 src0_sel:BYTE_1 src1_sel:DWORD
	s_and_saveexec_b32 s18, s5
	s_cbranch_execz .LBB216_418
; %bb.411:                              ;   in Loop: Header=BB216_15 Depth=1
	v_mov_b32_e32 v1, 0x80
	v_mov_b32_e32 v115, v11
	buffer_store_dword v115, off, s[0:3], s32 offset:620 ; 4-byte Folded Spill
	buffer_store_dword v116, off, s[0:3], s32 offset:624 ; 4-byte Folded Spill
	v_cmp_ne_u16_sdwa s5, v0, v1 src0_sel:BYTE_1 src1_sel:DWORD
	s_and_saveexec_b32 s19, s5
	s_cbranch_execz .LBB216_417
; %bb.412:                              ;   in Loop: Header=BB216_15 Depth=1
	s_clause 0x1
	buffer_load_dword v3, off, s[0:3], s32 offset:192
	buffer_load_dword v4, off, s[0:3], s32 offset:196
	v_mov_b32_e32 v1, 0xffff
	s_mov_b32 s20, exec_lo
	v_and_b32_sdwa v1, v1, v0 dst_sel:DWORD dst_unused:UNUSED_PAD src0_sel:DWORD src1_sel:BYTE_1
	v_and_b32_e32 v2, 0x7f, v1
	s_waitcnt vmcnt(0)
	v_mov_b32_e32 v5, v4
	v_mov_b32_e32 v4, v11
	;; [unrolled: 1-line block ×3, first 2 shown]
	buffer_store_dword v2, off, s[0:3], s32 offset:192 ; 4-byte Folded Spill
	buffer_store_dword v3, off, s[0:3], s32 offset:196 ; 4-byte Folded Spill
	;; [unrolled: 1-line block ×4, first 2 shown]
	v_cmpx_ne_u32_e32 0x7f, v2
	s_cbranch_execz .LBB216_416
; %bb.413:                              ;   in Loop: Header=BB216_15 Depth=1
	v_and_b32_e32 v10, 7, v1
	v_lshrrev_b32_e32 v1, 3, v2
	s_mov_b32 s21, exec_lo
	v_cmpx_gt_u32_e32 8, v2
; %bb.414:                              ;   in Loop: Header=BB216_15 Depth=1
	v_ffbh_u32_e32 v1, v10
	v_min_u32_e32 v1, 32, v1
	v_subrev_nc_u32_e32 v2, 28, v1
	v_sub_nc_u32_e32 v1, 29, v1
	v_lshlrev_b64 v[2:3], v2, v[10:11]
	v_and_b32_e32 v10, 7, v2
; %bb.415:                              ;   in Loop: Header=BB216_15 Depth=1
	s_or_b32 exec_lo, exec_lo, s21
	v_lshlrev_b32_e32 v2, 16, v0
	v_lshlrev_b32_e32 v3, 20, v10
	v_lshl_add_u32 v1, v1, 23, 0x3c000000
	v_and_b32_e32 v2, 0x80000000, v2
	v_or3_b32 v2, v3, v2, v1
	v_mov_b32_e32 v1, v11
	buffer_store_dword v1, off, s[0:3], s32 offset:620 ; 4-byte Folded Spill
	buffer_store_dword v2, off, s[0:3], s32 offset:624 ; 4-byte Folded Spill
.LBB216_416:                            ;   in Loop: Header=BB216_15 Depth=1
	s_or_b32 exec_lo, exec_lo, s20
.LBB216_417:                            ;   in Loop: Header=BB216_15 Depth=1
	s_or_b32 exec_lo, exec_lo, s19
.LBB216_418:                            ;   in Loop: Header=BB216_15 Depth=1
	s_or_b32 exec_lo, exec_lo, s18
	v_mov_b32_e32 v2, 0
	v_mov_b32_e32 v3, 0
	;; [unrolled: 1-line block ×3, first 2 shown]
	s_mov_b32 s18, exec_lo
	buffer_store_dword v2, off, s[0:3], s32 offset:628 ; 4-byte Folded Spill
	buffer_store_dword v3, off, s[0:3], s32 offset:632 ; 4-byte Folded Spill
	v_mov_b32_e32 v2, 0
	v_and_b32_sdwa v1, v0, v1 dst_sel:DWORD dst_unused:UNUSED_PAD src0_sel:WORD_1 src1_sel:DWORD
	v_mov_b32_e32 v3, 0
	buffer_store_dword v2, off, s[0:3], s32 offset:636 ; 4-byte Folded Spill
	buffer_store_dword v3, off, s[0:3], s32 offset:640 ; 4-byte Folded Spill
	v_cmpx_ne_u16_e32 0, v1
	s_cbranch_execz .LBB216_426
; %bb.419:                              ;   in Loop: Header=BB216_15 Depth=1
	v_cmp_ne_u16_e64 s5, 0x80, v1
	v_bfrev_b32_e32 v1, 1
	v_mov_b32_e32 v2, 0
	buffer_store_dword v1, off, s[0:3], s32 offset:636 ; 4-byte Folded Spill
	buffer_store_dword v2, off, s[0:3], s32 offset:640 ; 4-byte Folded Spill
	s_and_saveexec_b32 s19, s5
	s_cbranch_execz .LBB216_425
; %bb.420:                              ;   in Loop: Header=BB216_15 Depth=1
	v_mov_b32_e32 v3, 0x7f800001
	v_bfe_u32 v2, v0, 16, 7
	v_mov_b32_e32 v4, 0
	s_mov_b32 s20, exec_lo
	buffer_store_dword v3, off, s[0:3], s32 offset:636 ; 4-byte Folded Spill
	buffer_store_dword v4, off, s[0:3], s32 offset:640 ; 4-byte Folded Spill
	v_cmpx_ne_u32_e32 0x7f, v2
	s_cbranch_execz .LBB216_424
; %bb.421:                              ;   in Loop: Header=BB216_15 Depth=1
	v_mov_b32_e32 v1, 7
	s_mov_b32 s21, exec_lo
	v_and_b32_sdwa v10, v0, v1 dst_sel:DWORD dst_unused:UNUSED_PAD src0_sel:WORD_1 src1_sel:DWORD
	v_lshrrev_b32_e32 v1, 3, v2
	v_cmpx_gt_u32_e32 8, v2
; %bb.422:                              ;   in Loop: Header=BB216_15 Depth=1
	v_ffbh_u32_e32 v1, v10
	v_min_u32_e32 v1, 32, v1
	v_subrev_nc_u32_e32 v2, 28, v1
	v_sub_nc_u32_e32 v1, 29, v1
	v_lshlrev_b64 v[2:3], v2, v[10:11]
	v_and_b32_e32 v10, 7, v2
; %bb.423:                              ;   in Loop: Header=BB216_15 Depth=1
	s_or_b32 exec_lo, exec_lo, s21
	v_mov_b32_e32 v2, 24
	v_lshlrev_b32_e32 v3, 20, v10
	v_lshl_add_u32 v1, v1, 23, 0x3c000000
	v_lshlrev_b32_sdwa v2, v2, v0 dst_sel:DWORD dst_unused:UNUSED_PAD src0_sel:DWORD src1_sel:WORD_1
	v_and_b32_e32 v2, 0x80000000, v2
	v_or3_b32 v10, v3, v2, v1
	buffer_store_dword v10, off, s[0:3], s32 offset:636 ; 4-byte Folded Spill
	buffer_store_dword v11, off, s[0:3], s32 offset:640 ; 4-byte Folded Spill
.LBB216_424:                            ;   in Loop: Header=BB216_15 Depth=1
	s_or_b32 exec_lo, exec_lo, s20
.LBB216_425:                            ;   in Loop: Header=BB216_15 Depth=1
	s_or_b32 exec_lo, exec_lo, s19
.LBB216_426:                            ;   in Loop: Header=BB216_15 Depth=1
	s_or_b32 exec_lo, exec_lo, s18
	s_mov_b32 s18, exec_lo
	v_cmpx_lt_u32_e32 0xffffff, v0
	s_cbranch_execz .LBB216_434
; %bb.427:                              ;   in Loop: Header=BB216_15 Depth=1
	v_mov_b32_e32 v1, 0x80
	v_mov_b32_e32 v115, v11
	buffer_store_dword v115, off, s[0:3], s32 offset:628 ; 4-byte Folded Spill
	buffer_store_dword v116, off, s[0:3], s32 offset:632 ; 4-byte Folded Spill
	v_cmp_ne_u32_sdwa s5, v0, v1 src0_sel:BYTE_3 src1_sel:DWORD
	s_and_saveexec_b32 s19, s5
	s_cbranch_execz .LBB216_433
; %bb.428:                              ;   in Loop: Header=BB216_15 Depth=1
	s_clause 0x1
	buffer_load_dword v3, off, s[0:3], s32 offset:192
	buffer_load_dword v4, off, s[0:3], s32 offset:196
	v_bfe_u32 v2, v0, 24, 7
	s_waitcnt vmcnt(1)
	v_mov_b32_e32 v3, v11
	s_mov_b32 s20, exec_lo
	s_waitcnt vmcnt(0)
	v_mov_b32_e32 v1, v4
	buffer_store_dword v0, off, s[0:3], s32 offset:192 ; 4-byte Folded Spill
	buffer_store_dword v1, off, s[0:3], s32 offset:196 ; 4-byte Folded Spill
	buffer_store_dword v3, off, s[0:3], s32 offset:628 ; 4-byte Folded Spill
	buffer_store_dword v4, off, s[0:3], s32 offset:632 ; 4-byte Folded Spill
	v_cmpx_ne_u32_e32 0x7f, v2
	s_cbranch_execz .LBB216_432
; %bb.429:                              ;   in Loop: Header=BB216_15 Depth=1
	v_mov_b32_e32 v1, 7
	s_mov_b32 s21, exec_lo
	v_and_b32_sdwa v10, v0, v1 dst_sel:DWORD dst_unused:UNUSED_PAD src0_sel:BYTE_3 src1_sel:DWORD
	v_lshrrev_b32_e32 v1, 3, v2
	v_cmpx_gt_u32_e32 8, v2
; %bb.430:                              ;   in Loop: Header=BB216_15 Depth=1
	v_ffbh_u32_e32 v1, v10
	v_min_u32_e32 v1, 32, v1
	v_subrev_nc_u32_e32 v2, 28, v1
	v_sub_nc_u32_e32 v1, 29, v1
	v_lshlrev_b64 v[2:3], v2, v[10:11]
	v_and_b32_e32 v10, 7, v2
; %bb.431:                              ;   in Loop: Header=BB216_15 Depth=1
	s_or_b32 exec_lo, exec_lo, s21
	v_mov_b32_e32 v2, 24
	v_lshl_add_u32 v1, v1, 23, 0x3c000000
	v_lshlrev_b32_sdwa v0, v2, v0 dst_sel:DWORD dst_unused:UNUSED_PAD src0_sel:DWORD src1_sel:BYTE_3
	v_lshlrev_b32_e32 v2, 20, v10
	v_and_b32_e32 v0, 0x80000000, v0
	v_or3_b32 v1, v2, v0, v1
	v_mov_b32_e32 v0, v11
	buffer_store_dword v0, off, s[0:3], s32 offset:628 ; 4-byte Folded Spill
	buffer_store_dword v1, off, s[0:3], s32 offset:632 ; 4-byte Folded Spill
.LBB216_432:                            ;   in Loop: Header=BB216_15 Depth=1
	s_or_b32 exec_lo, exec_lo, s20
.LBB216_433:                            ;   in Loop: Header=BB216_15 Depth=1
	s_or_b32 exec_lo, exec_lo, s19
.LBB216_434:                            ;   in Loop: Header=BB216_15 Depth=1
	s_or_b32 exec_lo, exec_lo, s18
	flat_load_dword v0, v[112:113] offset:1540
	v_mov_b32_e32 v1, 0
	v_mov_b32_e32 v2, 0
	buffer_store_dword v1, off, s[0:3], s32 offset:652 ; 4-byte Folded Spill
	buffer_store_dword v2, off, s[0:3], s32 offset:656 ; 4-byte Folded Spill
	v_mov_b32_e32 v1, 0
	v_mov_b32_e32 v2, 0
	buffer_store_dword v1, off, s[0:3], s32 offset:644 ; 4-byte Folded Spill
	buffer_store_dword v2, off, s[0:3], s32 offset:648 ; 4-byte Folded Spill
	s_waitcnt vmcnt(0) lgkmcnt(0)
	v_cmp_ne_u16_sdwa s5, v0, v11 src0_sel:BYTE_0 src1_sel:DWORD
	s_and_saveexec_b32 s18, s5
	s_cbranch_execz .LBB216_442
; %bb.435:                              ;   in Loop: Header=BB216_15 Depth=1
	v_bfrev_b32_e32 v1, 1
	v_mov_b32_e32 v2, 0
	buffer_store_dword v1, off, s[0:3], s32 offset:644 ; 4-byte Folded Spill
	buffer_store_dword v2, off, s[0:3], s32 offset:648 ; 4-byte Folded Spill
	v_mov_b32_e32 v1, 0x80
	v_cmp_ne_u16_sdwa s5, v0, v1 src0_sel:BYTE_0 src1_sel:DWORD
	s_and_saveexec_b32 s19, s5
	s_cbranch_execz .LBB216_441
; %bb.436:                              ;   in Loop: Header=BB216_15 Depth=1
	v_mov_b32_e32 v3, 0x7f800001
	v_and_b32_e32 v2, 0x7f, v0
	v_mov_b32_e32 v4, 0
	s_mov_b32 s20, exec_lo
	buffer_store_dword v3, off, s[0:3], s32 offset:644 ; 4-byte Folded Spill
	buffer_store_dword v4, off, s[0:3], s32 offset:648 ; 4-byte Folded Spill
	v_cmpx_ne_u32_e32 0x7f, v2
	s_cbranch_execz .LBB216_440
; %bb.437:                              ;   in Loop: Header=BB216_15 Depth=1
	v_and_b32_e32 v10, 7, v0
	v_lshrrev_b32_e32 v1, 3, v2
	s_mov_b32 s21, exec_lo
	v_cmpx_gt_u32_e32 8, v2
; %bb.438:                              ;   in Loop: Header=BB216_15 Depth=1
	v_ffbh_u32_e32 v1, v10
	v_min_u32_e32 v1, 32, v1
	v_subrev_nc_u32_e32 v2, 28, v1
	v_sub_nc_u32_e32 v1, 29, v1
	v_lshlrev_b64 v[2:3], v2, v[10:11]
	v_and_b32_e32 v10, 7, v2
; %bb.439:                              ;   in Loop: Header=BB216_15 Depth=1
	s_or_b32 exec_lo, exec_lo, s21
	v_lshlrev_b32_e32 v2, 24, v0
	v_lshlrev_b32_e32 v3, 20, v10
	v_lshl_add_u32 v1, v1, 23, 0x3c000000
	v_and_b32_e32 v2, 0x80000000, v2
	v_or3_b32 v10, v3, v2, v1
	buffer_store_dword v10, off, s[0:3], s32 offset:644 ; 4-byte Folded Spill
	buffer_store_dword v11, off, s[0:3], s32 offset:648 ; 4-byte Folded Spill
.LBB216_440:                            ;   in Loop: Header=BB216_15 Depth=1
	s_or_b32 exec_lo, exec_lo, s20
.LBB216_441:                            ;   in Loop: Header=BB216_15 Depth=1
	s_or_b32 exec_lo, exec_lo, s19
.LBB216_442:                            ;   in Loop: Header=BB216_15 Depth=1
	s_or_b32 exec_lo, exec_lo, s18
	v_cmp_ne_u16_sdwa s5, v0, v11 src0_sel:BYTE_1 src1_sel:DWORD
	s_and_saveexec_b32 s18, s5
	s_cbranch_execz .LBB216_450
; %bb.443:                              ;   in Loop: Header=BB216_15 Depth=1
	v_mov_b32_e32 v1, 0x80
	v_mov_b32_e32 v115, v11
	buffer_store_dword v115, off, s[0:3], s32 offset:652 ; 4-byte Folded Spill
	buffer_store_dword v116, off, s[0:3], s32 offset:656 ; 4-byte Folded Spill
	v_cmp_ne_u16_sdwa s5, v0, v1 src0_sel:BYTE_1 src1_sel:DWORD
	s_and_saveexec_b32 s19, s5
	s_cbranch_execz .LBB216_449
; %bb.444:                              ;   in Loop: Header=BB216_15 Depth=1
	s_clause 0x1
	buffer_load_dword v3, off, s[0:3], s32 offset:192
	buffer_load_dword v4, off, s[0:3], s32 offset:196
	v_mov_b32_e32 v1, 0xffff
	s_mov_b32 s20, exec_lo
	v_and_b32_sdwa v1, v1, v0 dst_sel:DWORD dst_unused:UNUSED_PAD src0_sel:DWORD src1_sel:BYTE_1
	v_and_b32_e32 v2, 0x7f, v1
	s_waitcnt vmcnt(0)
	v_mov_b32_e32 v5, v4
	v_mov_b32_e32 v4, v11
	;; [unrolled: 1-line block ×3, first 2 shown]
	buffer_store_dword v2, off, s[0:3], s32 offset:192 ; 4-byte Folded Spill
	buffer_store_dword v3, off, s[0:3], s32 offset:196 ; 4-byte Folded Spill
	;; [unrolled: 1-line block ×4, first 2 shown]
	v_cmpx_ne_u32_e32 0x7f, v2
	s_cbranch_execz .LBB216_448
; %bb.445:                              ;   in Loop: Header=BB216_15 Depth=1
	v_and_b32_e32 v10, 7, v1
	v_lshrrev_b32_e32 v1, 3, v2
	s_mov_b32 s21, exec_lo
	v_cmpx_gt_u32_e32 8, v2
; %bb.446:                              ;   in Loop: Header=BB216_15 Depth=1
	v_ffbh_u32_e32 v1, v10
	v_min_u32_e32 v1, 32, v1
	v_subrev_nc_u32_e32 v2, 28, v1
	v_sub_nc_u32_e32 v1, 29, v1
	v_lshlrev_b64 v[2:3], v2, v[10:11]
	v_and_b32_e32 v10, 7, v2
; %bb.447:                              ;   in Loop: Header=BB216_15 Depth=1
	s_or_b32 exec_lo, exec_lo, s21
	v_lshlrev_b32_e32 v2, 16, v0
	v_lshlrev_b32_e32 v3, 20, v10
	v_lshl_add_u32 v1, v1, 23, 0x3c000000
	v_and_b32_e32 v2, 0x80000000, v2
	v_or3_b32 v2, v3, v2, v1
	v_mov_b32_e32 v1, v11
	buffer_store_dword v1, off, s[0:3], s32 offset:652 ; 4-byte Folded Spill
	buffer_store_dword v2, off, s[0:3], s32 offset:656 ; 4-byte Folded Spill
.LBB216_448:                            ;   in Loop: Header=BB216_15 Depth=1
	s_or_b32 exec_lo, exec_lo, s20
.LBB216_449:                            ;   in Loop: Header=BB216_15 Depth=1
	s_or_b32 exec_lo, exec_lo, s19
.LBB216_450:                            ;   in Loop: Header=BB216_15 Depth=1
	s_or_b32 exec_lo, exec_lo, s18
	v_mov_b32_e32 v2, 0
	v_mov_b32_e32 v3, 0
	;; [unrolled: 1-line block ×3, first 2 shown]
	s_mov_b32 s18, exec_lo
	buffer_store_dword v2, off, s[0:3], s32 offset:660 ; 4-byte Folded Spill
	buffer_store_dword v3, off, s[0:3], s32 offset:664 ; 4-byte Folded Spill
	v_mov_b32_e32 v2, 0
	v_and_b32_sdwa v1, v0, v1 dst_sel:DWORD dst_unused:UNUSED_PAD src0_sel:WORD_1 src1_sel:DWORD
	v_mov_b32_e32 v3, 0
	buffer_store_dword v2, off, s[0:3], s32 offset:668 ; 4-byte Folded Spill
	buffer_store_dword v3, off, s[0:3], s32 offset:672 ; 4-byte Folded Spill
	v_cmpx_ne_u16_e32 0, v1
	s_cbranch_execz .LBB216_458
; %bb.451:                              ;   in Loop: Header=BB216_15 Depth=1
	v_cmp_ne_u16_e64 s5, 0x80, v1
	v_bfrev_b32_e32 v1, 1
	v_mov_b32_e32 v2, 0
	buffer_store_dword v1, off, s[0:3], s32 offset:668 ; 4-byte Folded Spill
	buffer_store_dword v2, off, s[0:3], s32 offset:672 ; 4-byte Folded Spill
	s_and_saveexec_b32 s19, s5
	s_cbranch_execz .LBB216_457
; %bb.452:                              ;   in Loop: Header=BB216_15 Depth=1
	v_mov_b32_e32 v3, 0x7f800001
	v_bfe_u32 v2, v0, 16, 7
	v_mov_b32_e32 v4, 0
	s_mov_b32 s20, exec_lo
	buffer_store_dword v3, off, s[0:3], s32 offset:668 ; 4-byte Folded Spill
	buffer_store_dword v4, off, s[0:3], s32 offset:672 ; 4-byte Folded Spill
	v_cmpx_ne_u32_e32 0x7f, v2
	s_cbranch_execz .LBB216_456
; %bb.453:                              ;   in Loop: Header=BB216_15 Depth=1
	v_mov_b32_e32 v1, 7
	s_mov_b32 s21, exec_lo
	v_and_b32_sdwa v10, v0, v1 dst_sel:DWORD dst_unused:UNUSED_PAD src0_sel:WORD_1 src1_sel:DWORD
	v_lshrrev_b32_e32 v1, 3, v2
	v_cmpx_gt_u32_e32 8, v2
; %bb.454:                              ;   in Loop: Header=BB216_15 Depth=1
	v_ffbh_u32_e32 v1, v10
	v_min_u32_e32 v1, 32, v1
	v_subrev_nc_u32_e32 v2, 28, v1
	v_sub_nc_u32_e32 v1, 29, v1
	v_lshlrev_b64 v[2:3], v2, v[10:11]
	v_and_b32_e32 v10, 7, v2
; %bb.455:                              ;   in Loop: Header=BB216_15 Depth=1
	s_or_b32 exec_lo, exec_lo, s21
	v_mov_b32_e32 v2, 24
	v_lshlrev_b32_e32 v3, 20, v10
	v_lshl_add_u32 v1, v1, 23, 0x3c000000
	v_lshlrev_b32_sdwa v2, v2, v0 dst_sel:DWORD dst_unused:UNUSED_PAD src0_sel:DWORD src1_sel:WORD_1
	v_and_b32_e32 v2, 0x80000000, v2
	v_or3_b32 v10, v3, v2, v1
	buffer_store_dword v10, off, s[0:3], s32 offset:668 ; 4-byte Folded Spill
	buffer_store_dword v11, off, s[0:3], s32 offset:672 ; 4-byte Folded Spill
.LBB216_456:                            ;   in Loop: Header=BB216_15 Depth=1
	s_or_b32 exec_lo, exec_lo, s20
.LBB216_457:                            ;   in Loop: Header=BB216_15 Depth=1
	s_or_b32 exec_lo, exec_lo, s19
.LBB216_458:                            ;   in Loop: Header=BB216_15 Depth=1
	s_or_b32 exec_lo, exec_lo, s18
	s_mov_b32 s18, exec_lo
	v_cmpx_lt_u32_e32 0xffffff, v0
	s_cbranch_execz .LBB216_466
; %bb.459:                              ;   in Loop: Header=BB216_15 Depth=1
	v_mov_b32_e32 v1, 0x80
	v_mov_b32_e32 v115, v11
	buffer_store_dword v115, off, s[0:3], s32 offset:660 ; 4-byte Folded Spill
	buffer_store_dword v116, off, s[0:3], s32 offset:664 ; 4-byte Folded Spill
	v_cmp_ne_u32_sdwa s5, v0, v1 src0_sel:BYTE_3 src1_sel:DWORD
	s_and_saveexec_b32 s19, s5
	s_cbranch_execz .LBB216_465
; %bb.460:                              ;   in Loop: Header=BB216_15 Depth=1
	s_clause 0x1
	buffer_load_dword v3, off, s[0:3], s32 offset:192
	buffer_load_dword v4, off, s[0:3], s32 offset:196
	v_bfe_u32 v2, v0, 24, 7
	s_waitcnt vmcnt(1)
	v_mov_b32_e32 v3, v11
	s_mov_b32 s20, exec_lo
	s_waitcnt vmcnt(0)
	v_mov_b32_e32 v1, v4
	buffer_store_dword v0, off, s[0:3], s32 offset:192 ; 4-byte Folded Spill
	buffer_store_dword v1, off, s[0:3], s32 offset:196 ; 4-byte Folded Spill
	;; [unrolled: 1-line block ×4, first 2 shown]
	v_cmpx_ne_u32_e32 0x7f, v2
	s_cbranch_execz .LBB216_464
; %bb.461:                              ;   in Loop: Header=BB216_15 Depth=1
	v_mov_b32_e32 v1, 7
	s_mov_b32 s21, exec_lo
	v_and_b32_sdwa v10, v0, v1 dst_sel:DWORD dst_unused:UNUSED_PAD src0_sel:BYTE_3 src1_sel:DWORD
	v_lshrrev_b32_e32 v1, 3, v2
	v_cmpx_gt_u32_e32 8, v2
; %bb.462:                              ;   in Loop: Header=BB216_15 Depth=1
	v_ffbh_u32_e32 v1, v10
	v_min_u32_e32 v1, 32, v1
	v_subrev_nc_u32_e32 v2, 28, v1
	v_sub_nc_u32_e32 v1, 29, v1
	v_lshlrev_b64 v[2:3], v2, v[10:11]
	v_and_b32_e32 v10, 7, v2
; %bb.463:                              ;   in Loop: Header=BB216_15 Depth=1
	s_or_b32 exec_lo, exec_lo, s21
	v_mov_b32_e32 v2, 24
	v_lshl_add_u32 v1, v1, 23, 0x3c000000
	v_lshlrev_b32_sdwa v0, v2, v0 dst_sel:DWORD dst_unused:UNUSED_PAD src0_sel:DWORD src1_sel:BYTE_3
	v_lshlrev_b32_e32 v2, 20, v10
	v_and_b32_e32 v0, 0x80000000, v0
	v_or3_b32 v1, v2, v0, v1
	v_mov_b32_e32 v0, v11
	buffer_store_dword v0, off, s[0:3], s32 offset:660 ; 4-byte Folded Spill
	buffer_store_dword v1, off, s[0:3], s32 offset:664 ; 4-byte Folded Spill
.LBB216_464:                            ;   in Loop: Header=BB216_15 Depth=1
	s_or_b32 exec_lo, exec_lo, s20
.LBB216_465:                            ;   in Loop: Header=BB216_15 Depth=1
	s_or_b32 exec_lo, exec_lo, s19
.LBB216_466:                            ;   in Loop: Header=BB216_15 Depth=1
	s_or_b32 exec_lo, exec_lo, s18
	flat_load_dword v0, v[112:113] offset:1544
	v_mov_b32_e32 v1, 0
	v_mov_b32_e32 v2, 0
	buffer_store_dword v1, off, s[0:3], s32 offset:684 ; 4-byte Folded Spill
	buffer_store_dword v2, off, s[0:3], s32 offset:688 ; 4-byte Folded Spill
	v_mov_b32_e32 v1, 0
	v_mov_b32_e32 v2, 0
	buffer_store_dword v1, off, s[0:3], s32 offset:676 ; 4-byte Folded Spill
	buffer_store_dword v2, off, s[0:3], s32 offset:680 ; 4-byte Folded Spill
	s_waitcnt vmcnt(0) lgkmcnt(0)
	v_cmp_ne_u16_sdwa s5, v0, v11 src0_sel:BYTE_0 src1_sel:DWORD
	s_and_saveexec_b32 s18, s5
	s_cbranch_execz .LBB216_474
; %bb.467:                              ;   in Loop: Header=BB216_15 Depth=1
	v_bfrev_b32_e32 v1, 1
	v_mov_b32_e32 v2, 0
	buffer_store_dword v1, off, s[0:3], s32 offset:676 ; 4-byte Folded Spill
	buffer_store_dword v2, off, s[0:3], s32 offset:680 ; 4-byte Folded Spill
	v_mov_b32_e32 v1, 0x80
	v_cmp_ne_u16_sdwa s5, v0, v1 src0_sel:BYTE_0 src1_sel:DWORD
	s_and_saveexec_b32 s19, s5
	s_cbranch_execz .LBB216_473
; %bb.468:                              ;   in Loop: Header=BB216_15 Depth=1
	v_mov_b32_e32 v3, 0x7f800001
	v_and_b32_e32 v2, 0x7f, v0
	v_mov_b32_e32 v4, 0
	s_mov_b32 s20, exec_lo
	buffer_store_dword v3, off, s[0:3], s32 offset:676 ; 4-byte Folded Spill
	buffer_store_dword v4, off, s[0:3], s32 offset:680 ; 4-byte Folded Spill
	v_cmpx_ne_u32_e32 0x7f, v2
	s_cbranch_execz .LBB216_472
; %bb.469:                              ;   in Loop: Header=BB216_15 Depth=1
	v_and_b32_e32 v10, 7, v0
	v_lshrrev_b32_e32 v1, 3, v2
	s_mov_b32 s21, exec_lo
	v_cmpx_gt_u32_e32 8, v2
; %bb.470:                              ;   in Loop: Header=BB216_15 Depth=1
	v_ffbh_u32_e32 v1, v10
	v_min_u32_e32 v1, 32, v1
	v_subrev_nc_u32_e32 v2, 28, v1
	v_sub_nc_u32_e32 v1, 29, v1
	v_lshlrev_b64 v[2:3], v2, v[10:11]
	v_and_b32_e32 v10, 7, v2
; %bb.471:                              ;   in Loop: Header=BB216_15 Depth=1
	s_or_b32 exec_lo, exec_lo, s21
	v_lshlrev_b32_e32 v2, 24, v0
	v_lshlrev_b32_e32 v3, 20, v10
	v_lshl_add_u32 v1, v1, 23, 0x3c000000
	v_and_b32_e32 v2, 0x80000000, v2
	v_or3_b32 v10, v3, v2, v1
	buffer_store_dword v10, off, s[0:3], s32 offset:676 ; 4-byte Folded Spill
	buffer_store_dword v11, off, s[0:3], s32 offset:680 ; 4-byte Folded Spill
.LBB216_472:                            ;   in Loop: Header=BB216_15 Depth=1
	s_or_b32 exec_lo, exec_lo, s20
.LBB216_473:                            ;   in Loop: Header=BB216_15 Depth=1
	s_or_b32 exec_lo, exec_lo, s19
.LBB216_474:                            ;   in Loop: Header=BB216_15 Depth=1
	s_or_b32 exec_lo, exec_lo, s18
	v_cmp_ne_u16_sdwa s5, v0, v11 src0_sel:BYTE_1 src1_sel:DWORD
	s_and_saveexec_b32 s18, s5
	s_cbranch_execz .LBB216_482
; %bb.475:                              ;   in Loop: Header=BB216_15 Depth=1
	v_mov_b32_e32 v1, 0x80
	v_mov_b32_e32 v115, v11
	buffer_store_dword v115, off, s[0:3], s32 offset:684 ; 4-byte Folded Spill
	buffer_store_dword v116, off, s[0:3], s32 offset:688 ; 4-byte Folded Spill
	v_cmp_ne_u16_sdwa s5, v0, v1 src0_sel:BYTE_1 src1_sel:DWORD
	s_and_saveexec_b32 s19, s5
	s_cbranch_execz .LBB216_481
; %bb.476:                              ;   in Loop: Header=BB216_15 Depth=1
	s_clause 0x1
	buffer_load_dword v3, off, s[0:3], s32 offset:192
	buffer_load_dword v4, off, s[0:3], s32 offset:196
	v_mov_b32_e32 v1, 0xffff
	s_mov_b32 s20, exec_lo
	v_and_b32_sdwa v1, v1, v0 dst_sel:DWORD dst_unused:UNUSED_PAD src0_sel:DWORD src1_sel:BYTE_1
	v_and_b32_e32 v2, 0x7f, v1
	s_waitcnt vmcnt(0)
	v_mov_b32_e32 v5, v4
	v_mov_b32_e32 v4, v11
	;; [unrolled: 1-line block ×3, first 2 shown]
	buffer_store_dword v2, off, s[0:3], s32 offset:192 ; 4-byte Folded Spill
	buffer_store_dword v3, off, s[0:3], s32 offset:196 ; 4-byte Folded Spill
	;; [unrolled: 1-line block ×4, first 2 shown]
	v_cmpx_ne_u32_e32 0x7f, v2
	s_cbranch_execz .LBB216_480
; %bb.477:                              ;   in Loop: Header=BB216_15 Depth=1
	v_and_b32_e32 v10, 7, v1
	v_lshrrev_b32_e32 v1, 3, v2
	s_mov_b32 s21, exec_lo
	v_cmpx_gt_u32_e32 8, v2
; %bb.478:                              ;   in Loop: Header=BB216_15 Depth=1
	v_ffbh_u32_e32 v1, v10
	v_min_u32_e32 v1, 32, v1
	v_subrev_nc_u32_e32 v2, 28, v1
	v_sub_nc_u32_e32 v1, 29, v1
	v_lshlrev_b64 v[2:3], v2, v[10:11]
	v_and_b32_e32 v10, 7, v2
; %bb.479:                              ;   in Loop: Header=BB216_15 Depth=1
	s_or_b32 exec_lo, exec_lo, s21
	v_lshlrev_b32_e32 v2, 16, v0
	v_lshlrev_b32_e32 v3, 20, v10
	v_lshl_add_u32 v1, v1, 23, 0x3c000000
	v_and_b32_e32 v2, 0x80000000, v2
	v_or3_b32 v2, v3, v2, v1
	v_mov_b32_e32 v1, v11
	buffer_store_dword v1, off, s[0:3], s32 offset:684 ; 4-byte Folded Spill
	buffer_store_dword v2, off, s[0:3], s32 offset:688 ; 4-byte Folded Spill
.LBB216_480:                            ;   in Loop: Header=BB216_15 Depth=1
	s_or_b32 exec_lo, exec_lo, s20
.LBB216_481:                            ;   in Loop: Header=BB216_15 Depth=1
	s_or_b32 exec_lo, exec_lo, s19
.LBB216_482:                            ;   in Loop: Header=BB216_15 Depth=1
	s_or_b32 exec_lo, exec_lo, s18
	v_mov_b32_e32 v2, 0
	v_mov_b32_e32 v3, 0
	;; [unrolled: 1-line block ×3, first 2 shown]
	s_mov_b32 s18, exec_lo
	buffer_store_dword v2, off, s[0:3], s32 offset:692 ; 4-byte Folded Spill
	buffer_store_dword v3, off, s[0:3], s32 offset:696 ; 4-byte Folded Spill
	v_mov_b32_e32 v2, 0
	v_and_b32_sdwa v1, v0, v1 dst_sel:DWORD dst_unused:UNUSED_PAD src0_sel:WORD_1 src1_sel:DWORD
	v_mov_b32_e32 v3, 0
	buffer_store_dword v2, off, s[0:3], s32 offset:700 ; 4-byte Folded Spill
	buffer_store_dword v3, off, s[0:3], s32 offset:704 ; 4-byte Folded Spill
	v_cmpx_ne_u16_e32 0, v1
	s_cbranch_execz .LBB216_490
; %bb.483:                              ;   in Loop: Header=BB216_15 Depth=1
	v_cmp_ne_u16_e64 s5, 0x80, v1
	v_bfrev_b32_e32 v1, 1
	v_mov_b32_e32 v2, 0
	buffer_store_dword v1, off, s[0:3], s32 offset:700 ; 4-byte Folded Spill
	buffer_store_dword v2, off, s[0:3], s32 offset:704 ; 4-byte Folded Spill
	s_and_saveexec_b32 s19, s5
	s_cbranch_execz .LBB216_489
; %bb.484:                              ;   in Loop: Header=BB216_15 Depth=1
	v_mov_b32_e32 v3, 0x7f800001
	v_bfe_u32 v2, v0, 16, 7
	v_mov_b32_e32 v4, 0
	s_mov_b32 s20, exec_lo
	buffer_store_dword v3, off, s[0:3], s32 offset:700 ; 4-byte Folded Spill
	buffer_store_dword v4, off, s[0:3], s32 offset:704 ; 4-byte Folded Spill
	v_cmpx_ne_u32_e32 0x7f, v2
	s_cbranch_execz .LBB216_488
; %bb.485:                              ;   in Loop: Header=BB216_15 Depth=1
	v_mov_b32_e32 v1, 7
	s_mov_b32 s21, exec_lo
	v_and_b32_sdwa v10, v0, v1 dst_sel:DWORD dst_unused:UNUSED_PAD src0_sel:WORD_1 src1_sel:DWORD
	v_lshrrev_b32_e32 v1, 3, v2
	v_cmpx_gt_u32_e32 8, v2
; %bb.486:                              ;   in Loop: Header=BB216_15 Depth=1
	v_ffbh_u32_e32 v1, v10
	v_min_u32_e32 v1, 32, v1
	v_subrev_nc_u32_e32 v2, 28, v1
	v_sub_nc_u32_e32 v1, 29, v1
	v_lshlrev_b64 v[2:3], v2, v[10:11]
	v_and_b32_e32 v10, 7, v2
; %bb.487:                              ;   in Loop: Header=BB216_15 Depth=1
	s_or_b32 exec_lo, exec_lo, s21
	v_mov_b32_e32 v2, 24
	v_lshlrev_b32_e32 v3, 20, v10
	v_lshl_add_u32 v1, v1, 23, 0x3c000000
	v_lshlrev_b32_sdwa v2, v2, v0 dst_sel:DWORD dst_unused:UNUSED_PAD src0_sel:DWORD src1_sel:WORD_1
	v_and_b32_e32 v2, 0x80000000, v2
	v_or3_b32 v10, v3, v2, v1
	buffer_store_dword v10, off, s[0:3], s32 offset:700 ; 4-byte Folded Spill
	buffer_store_dword v11, off, s[0:3], s32 offset:704 ; 4-byte Folded Spill
.LBB216_488:                            ;   in Loop: Header=BB216_15 Depth=1
	s_or_b32 exec_lo, exec_lo, s20
.LBB216_489:                            ;   in Loop: Header=BB216_15 Depth=1
	s_or_b32 exec_lo, exec_lo, s19
.LBB216_490:                            ;   in Loop: Header=BB216_15 Depth=1
	s_or_b32 exec_lo, exec_lo, s18
	s_mov_b32 s18, exec_lo
	v_cmpx_lt_u32_e32 0xffffff, v0
	s_cbranch_execz .LBB216_498
; %bb.491:                              ;   in Loop: Header=BB216_15 Depth=1
	v_mov_b32_e32 v1, 0x80
	v_mov_b32_e32 v115, v11
	buffer_store_dword v115, off, s[0:3], s32 offset:692 ; 4-byte Folded Spill
	buffer_store_dword v116, off, s[0:3], s32 offset:696 ; 4-byte Folded Spill
	v_cmp_ne_u32_sdwa s5, v0, v1 src0_sel:BYTE_3 src1_sel:DWORD
	s_and_saveexec_b32 s19, s5
	s_cbranch_execz .LBB216_497
; %bb.492:                              ;   in Loop: Header=BB216_15 Depth=1
	s_clause 0x1
	buffer_load_dword v3, off, s[0:3], s32 offset:192
	buffer_load_dword v4, off, s[0:3], s32 offset:196
	v_bfe_u32 v2, v0, 24, 7
	s_waitcnt vmcnt(1)
	v_mov_b32_e32 v3, v11
	s_mov_b32 s20, exec_lo
	s_waitcnt vmcnt(0)
	v_mov_b32_e32 v1, v4
	buffer_store_dword v0, off, s[0:3], s32 offset:192 ; 4-byte Folded Spill
	buffer_store_dword v1, off, s[0:3], s32 offset:196 ; 4-byte Folded Spill
	;; [unrolled: 1-line block ×4, first 2 shown]
	v_cmpx_ne_u32_e32 0x7f, v2
	s_cbranch_execz .LBB216_496
; %bb.493:                              ;   in Loop: Header=BB216_15 Depth=1
	v_mov_b32_e32 v1, 7
	s_mov_b32 s21, exec_lo
	v_and_b32_sdwa v10, v0, v1 dst_sel:DWORD dst_unused:UNUSED_PAD src0_sel:BYTE_3 src1_sel:DWORD
	v_lshrrev_b32_e32 v1, 3, v2
	v_cmpx_gt_u32_e32 8, v2
; %bb.494:                              ;   in Loop: Header=BB216_15 Depth=1
	v_ffbh_u32_e32 v1, v10
	v_min_u32_e32 v1, 32, v1
	v_subrev_nc_u32_e32 v2, 28, v1
	v_sub_nc_u32_e32 v1, 29, v1
	v_lshlrev_b64 v[2:3], v2, v[10:11]
	v_and_b32_e32 v10, 7, v2
; %bb.495:                              ;   in Loop: Header=BB216_15 Depth=1
	s_or_b32 exec_lo, exec_lo, s21
	v_mov_b32_e32 v2, 24
	v_lshl_add_u32 v1, v1, 23, 0x3c000000
	v_lshlrev_b32_sdwa v0, v2, v0 dst_sel:DWORD dst_unused:UNUSED_PAD src0_sel:DWORD src1_sel:BYTE_3
	v_lshlrev_b32_e32 v2, 20, v10
	v_and_b32_e32 v0, 0x80000000, v0
	v_or3_b32 v1, v2, v0, v1
	v_mov_b32_e32 v0, v11
	buffer_store_dword v0, off, s[0:3], s32 offset:692 ; 4-byte Folded Spill
	buffer_store_dword v1, off, s[0:3], s32 offset:696 ; 4-byte Folded Spill
.LBB216_496:                            ;   in Loop: Header=BB216_15 Depth=1
	s_or_b32 exec_lo, exec_lo, s20
.LBB216_497:                            ;   in Loop: Header=BB216_15 Depth=1
	s_or_b32 exec_lo, exec_lo, s19
.LBB216_498:                            ;   in Loop: Header=BB216_15 Depth=1
	s_or_b32 exec_lo, exec_lo, s18
	flat_load_dword v0, v[112:113] offset:1548
	v_mov_b32_e32 v1, 0
	v_mov_b32_e32 v2, 0
	buffer_store_dword v1, off, s[0:3], s32 offset:716 ; 4-byte Folded Spill
	buffer_store_dword v2, off, s[0:3], s32 offset:720 ; 4-byte Folded Spill
	v_mov_b32_e32 v1, 0
	v_mov_b32_e32 v2, 0
	buffer_store_dword v1, off, s[0:3], s32 offset:708 ; 4-byte Folded Spill
	buffer_store_dword v2, off, s[0:3], s32 offset:712 ; 4-byte Folded Spill
	s_waitcnt vmcnt(0) lgkmcnt(0)
	v_cmp_ne_u16_sdwa s5, v0, v11 src0_sel:BYTE_0 src1_sel:DWORD
	s_and_saveexec_b32 s18, s5
	s_cbranch_execz .LBB216_506
; %bb.499:                              ;   in Loop: Header=BB216_15 Depth=1
	v_bfrev_b32_e32 v1, 1
	v_mov_b32_e32 v2, 0
	buffer_store_dword v1, off, s[0:3], s32 offset:708 ; 4-byte Folded Spill
	buffer_store_dword v2, off, s[0:3], s32 offset:712 ; 4-byte Folded Spill
	v_mov_b32_e32 v1, 0x80
	v_cmp_ne_u16_sdwa s5, v0, v1 src0_sel:BYTE_0 src1_sel:DWORD
	s_and_saveexec_b32 s19, s5
	s_cbranch_execz .LBB216_505
; %bb.500:                              ;   in Loop: Header=BB216_15 Depth=1
	v_mov_b32_e32 v3, 0x7f800001
	v_and_b32_e32 v2, 0x7f, v0
	v_mov_b32_e32 v4, 0
	s_mov_b32 s20, exec_lo
	buffer_store_dword v3, off, s[0:3], s32 offset:708 ; 4-byte Folded Spill
	buffer_store_dword v4, off, s[0:3], s32 offset:712 ; 4-byte Folded Spill
	v_cmpx_ne_u32_e32 0x7f, v2
	s_cbranch_execz .LBB216_504
; %bb.501:                              ;   in Loop: Header=BB216_15 Depth=1
	v_and_b32_e32 v10, 7, v0
	v_lshrrev_b32_e32 v1, 3, v2
	s_mov_b32 s21, exec_lo
	v_cmpx_gt_u32_e32 8, v2
; %bb.502:                              ;   in Loop: Header=BB216_15 Depth=1
	v_ffbh_u32_e32 v1, v10
	v_min_u32_e32 v1, 32, v1
	v_subrev_nc_u32_e32 v2, 28, v1
	v_sub_nc_u32_e32 v1, 29, v1
	v_lshlrev_b64 v[2:3], v2, v[10:11]
	v_and_b32_e32 v10, 7, v2
; %bb.503:                              ;   in Loop: Header=BB216_15 Depth=1
	s_or_b32 exec_lo, exec_lo, s21
	v_lshlrev_b32_e32 v2, 24, v0
	v_lshlrev_b32_e32 v3, 20, v10
	v_lshl_add_u32 v1, v1, 23, 0x3c000000
	v_and_b32_e32 v2, 0x80000000, v2
	v_or3_b32 v10, v3, v2, v1
	buffer_store_dword v10, off, s[0:3], s32 offset:708 ; 4-byte Folded Spill
	buffer_store_dword v11, off, s[0:3], s32 offset:712 ; 4-byte Folded Spill
.LBB216_504:                            ;   in Loop: Header=BB216_15 Depth=1
	s_or_b32 exec_lo, exec_lo, s20
.LBB216_505:                            ;   in Loop: Header=BB216_15 Depth=1
	s_or_b32 exec_lo, exec_lo, s19
.LBB216_506:                            ;   in Loop: Header=BB216_15 Depth=1
	s_or_b32 exec_lo, exec_lo, s18
	v_cmp_ne_u16_sdwa s5, v0, v11 src0_sel:BYTE_1 src1_sel:DWORD
	s_and_saveexec_b32 s18, s5
	s_cbranch_execz .LBB216_514
; %bb.507:                              ;   in Loop: Header=BB216_15 Depth=1
	v_mov_b32_e32 v1, 0x80
	v_mov_b32_e32 v115, v11
	buffer_store_dword v115, off, s[0:3], s32 offset:716 ; 4-byte Folded Spill
	buffer_store_dword v116, off, s[0:3], s32 offset:720 ; 4-byte Folded Spill
	v_cmp_ne_u16_sdwa s5, v0, v1 src0_sel:BYTE_1 src1_sel:DWORD
	s_and_saveexec_b32 s19, s5
	s_cbranch_execz .LBB216_513
; %bb.508:                              ;   in Loop: Header=BB216_15 Depth=1
	s_clause 0x1
	buffer_load_dword v3, off, s[0:3], s32 offset:192
	buffer_load_dword v4, off, s[0:3], s32 offset:196
	v_mov_b32_e32 v1, 0xffff
	s_mov_b32 s20, exec_lo
	v_and_b32_sdwa v1, v1, v0 dst_sel:DWORD dst_unused:UNUSED_PAD src0_sel:DWORD src1_sel:BYTE_1
	v_and_b32_e32 v2, 0x7f, v1
	s_waitcnt vmcnt(0)
	v_mov_b32_e32 v5, v4
	v_mov_b32_e32 v4, v11
	;; [unrolled: 1-line block ×3, first 2 shown]
	buffer_store_dword v2, off, s[0:3], s32 offset:192 ; 4-byte Folded Spill
	buffer_store_dword v3, off, s[0:3], s32 offset:196 ; 4-byte Folded Spill
	;; [unrolled: 1-line block ×4, first 2 shown]
	v_cmpx_ne_u32_e32 0x7f, v2
	s_cbranch_execz .LBB216_512
; %bb.509:                              ;   in Loop: Header=BB216_15 Depth=1
	v_and_b32_e32 v10, 7, v1
	v_lshrrev_b32_e32 v1, 3, v2
	s_mov_b32 s21, exec_lo
	v_cmpx_gt_u32_e32 8, v2
; %bb.510:                              ;   in Loop: Header=BB216_15 Depth=1
	v_ffbh_u32_e32 v1, v10
	v_min_u32_e32 v1, 32, v1
	v_subrev_nc_u32_e32 v2, 28, v1
	v_sub_nc_u32_e32 v1, 29, v1
	v_lshlrev_b64 v[2:3], v2, v[10:11]
	v_and_b32_e32 v10, 7, v2
; %bb.511:                              ;   in Loop: Header=BB216_15 Depth=1
	s_or_b32 exec_lo, exec_lo, s21
	v_lshlrev_b32_e32 v2, 16, v0
	v_lshlrev_b32_e32 v3, 20, v10
	v_lshl_add_u32 v1, v1, 23, 0x3c000000
	v_and_b32_e32 v2, 0x80000000, v2
	v_or3_b32 v2, v3, v2, v1
	v_mov_b32_e32 v1, v11
	buffer_store_dword v1, off, s[0:3], s32 offset:716 ; 4-byte Folded Spill
	buffer_store_dword v2, off, s[0:3], s32 offset:720 ; 4-byte Folded Spill
.LBB216_512:                            ;   in Loop: Header=BB216_15 Depth=1
	s_or_b32 exec_lo, exec_lo, s20
.LBB216_513:                            ;   in Loop: Header=BB216_15 Depth=1
	s_or_b32 exec_lo, exec_lo, s19
.LBB216_514:                            ;   in Loop: Header=BB216_15 Depth=1
	s_or_b32 exec_lo, exec_lo, s18
	v_mov_b32_e32 v2, 0
	v_mov_b32_e32 v3, 0
	;; [unrolled: 1-line block ×3, first 2 shown]
	s_mov_b32 s18, exec_lo
	buffer_store_dword v2, off, s[0:3], s32 offset:724 ; 4-byte Folded Spill
	buffer_store_dword v3, off, s[0:3], s32 offset:728 ; 4-byte Folded Spill
	v_mov_b32_e32 v2, 0
	v_and_b32_sdwa v1, v0, v1 dst_sel:DWORD dst_unused:UNUSED_PAD src0_sel:WORD_1 src1_sel:DWORD
	v_mov_b32_e32 v3, 0
	buffer_store_dword v2, off, s[0:3], s32 offset:732 ; 4-byte Folded Spill
	buffer_store_dword v3, off, s[0:3], s32 offset:736 ; 4-byte Folded Spill
	v_cmpx_ne_u16_e32 0, v1
	s_cbranch_execz .LBB216_522
; %bb.515:                              ;   in Loop: Header=BB216_15 Depth=1
	v_cmp_ne_u16_e64 s5, 0x80, v1
	v_bfrev_b32_e32 v1, 1
	v_mov_b32_e32 v2, 0
	buffer_store_dword v1, off, s[0:3], s32 offset:732 ; 4-byte Folded Spill
	buffer_store_dword v2, off, s[0:3], s32 offset:736 ; 4-byte Folded Spill
	s_and_saveexec_b32 s19, s5
	s_cbranch_execz .LBB216_521
; %bb.516:                              ;   in Loop: Header=BB216_15 Depth=1
	v_mov_b32_e32 v3, 0x7f800001
	v_bfe_u32 v2, v0, 16, 7
	v_mov_b32_e32 v4, 0
	s_mov_b32 s20, exec_lo
	buffer_store_dword v3, off, s[0:3], s32 offset:732 ; 4-byte Folded Spill
	buffer_store_dword v4, off, s[0:3], s32 offset:736 ; 4-byte Folded Spill
	v_cmpx_ne_u32_e32 0x7f, v2
	s_cbranch_execz .LBB216_520
; %bb.517:                              ;   in Loop: Header=BB216_15 Depth=1
	v_mov_b32_e32 v1, 7
	s_mov_b32 s21, exec_lo
	v_and_b32_sdwa v10, v0, v1 dst_sel:DWORD dst_unused:UNUSED_PAD src0_sel:WORD_1 src1_sel:DWORD
	v_lshrrev_b32_e32 v1, 3, v2
	v_cmpx_gt_u32_e32 8, v2
; %bb.518:                              ;   in Loop: Header=BB216_15 Depth=1
	v_ffbh_u32_e32 v1, v10
	v_min_u32_e32 v1, 32, v1
	v_subrev_nc_u32_e32 v2, 28, v1
	v_sub_nc_u32_e32 v1, 29, v1
	v_lshlrev_b64 v[2:3], v2, v[10:11]
	v_and_b32_e32 v10, 7, v2
; %bb.519:                              ;   in Loop: Header=BB216_15 Depth=1
	s_or_b32 exec_lo, exec_lo, s21
	v_mov_b32_e32 v2, 24
	v_lshlrev_b32_e32 v3, 20, v10
	v_lshl_add_u32 v1, v1, 23, 0x3c000000
	v_lshlrev_b32_sdwa v2, v2, v0 dst_sel:DWORD dst_unused:UNUSED_PAD src0_sel:DWORD src1_sel:WORD_1
	v_and_b32_e32 v2, 0x80000000, v2
	v_or3_b32 v10, v3, v2, v1
	buffer_store_dword v10, off, s[0:3], s32 offset:732 ; 4-byte Folded Spill
	buffer_store_dword v11, off, s[0:3], s32 offset:736 ; 4-byte Folded Spill
.LBB216_520:                            ;   in Loop: Header=BB216_15 Depth=1
	s_or_b32 exec_lo, exec_lo, s20
.LBB216_521:                            ;   in Loop: Header=BB216_15 Depth=1
	s_or_b32 exec_lo, exec_lo, s19
.LBB216_522:                            ;   in Loop: Header=BB216_15 Depth=1
	s_or_b32 exec_lo, exec_lo, s18
	s_mov_b32 s18, exec_lo
	v_cmpx_lt_u32_e32 0xffffff, v0
	s_cbranch_execz .LBB216_530
; %bb.523:                              ;   in Loop: Header=BB216_15 Depth=1
	v_mov_b32_e32 v1, 0x80
	v_mov_b32_e32 v115, v11
	buffer_store_dword v115, off, s[0:3], s32 offset:724 ; 4-byte Folded Spill
	buffer_store_dword v116, off, s[0:3], s32 offset:728 ; 4-byte Folded Spill
	v_cmp_ne_u32_sdwa s5, v0, v1 src0_sel:BYTE_3 src1_sel:DWORD
	s_and_saveexec_b32 s19, s5
	s_cbranch_execz .LBB216_529
; %bb.524:                              ;   in Loop: Header=BB216_15 Depth=1
	s_clause 0x1
	buffer_load_dword v3, off, s[0:3], s32 offset:192
	buffer_load_dword v4, off, s[0:3], s32 offset:196
	v_bfe_u32 v2, v0, 24, 7
	s_waitcnt vmcnt(1)
	v_mov_b32_e32 v3, v11
	s_mov_b32 s20, exec_lo
	s_waitcnt vmcnt(0)
	v_mov_b32_e32 v1, v4
	buffer_store_dword v0, off, s[0:3], s32 offset:192 ; 4-byte Folded Spill
	buffer_store_dword v1, off, s[0:3], s32 offset:196 ; 4-byte Folded Spill
	;; [unrolled: 1-line block ×4, first 2 shown]
	v_cmpx_ne_u32_e32 0x7f, v2
	s_cbranch_execz .LBB216_528
; %bb.525:                              ;   in Loop: Header=BB216_15 Depth=1
	v_mov_b32_e32 v1, 7
	s_mov_b32 s21, exec_lo
	v_and_b32_sdwa v10, v0, v1 dst_sel:DWORD dst_unused:UNUSED_PAD src0_sel:BYTE_3 src1_sel:DWORD
	v_lshrrev_b32_e32 v1, 3, v2
	v_cmpx_gt_u32_e32 8, v2
; %bb.526:                              ;   in Loop: Header=BB216_15 Depth=1
	v_ffbh_u32_e32 v1, v10
	v_min_u32_e32 v1, 32, v1
	v_subrev_nc_u32_e32 v2, 28, v1
	v_sub_nc_u32_e32 v1, 29, v1
	v_lshlrev_b64 v[2:3], v2, v[10:11]
	v_and_b32_e32 v10, 7, v2
; %bb.527:                              ;   in Loop: Header=BB216_15 Depth=1
	s_or_b32 exec_lo, exec_lo, s21
	v_mov_b32_e32 v2, 24
	v_lshl_add_u32 v1, v1, 23, 0x3c000000
	v_lshlrev_b32_sdwa v0, v2, v0 dst_sel:DWORD dst_unused:UNUSED_PAD src0_sel:DWORD src1_sel:BYTE_3
	v_lshlrev_b32_e32 v2, 20, v10
	v_and_b32_e32 v0, 0x80000000, v0
	v_or3_b32 v1, v2, v0, v1
	v_mov_b32_e32 v0, v11
	buffer_store_dword v0, off, s[0:3], s32 offset:724 ; 4-byte Folded Spill
	buffer_store_dword v1, off, s[0:3], s32 offset:728 ; 4-byte Folded Spill
.LBB216_528:                            ;   in Loop: Header=BB216_15 Depth=1
	s_or_b32 exec_lo, exec_lo, s20
.LBB216_529:                            ;   in Loop: Header=BB216_15 Depth=1
	s_or_b32 exec_lo, exec_lo, s19
.LBB216_530:                            ;   in Loop: Header=BB216_15 Depth=1
	s_or_b32 exec_lo, exec_lo, s18
	v_add_co_u32 v2, s5, 0x800, v112
	v_add_co_ci_u32_e64 v3, null, 0, v113, s5
	v_mov_b32_e32 v4, 0
	v_mov_b32_e32 v5, 0
	flat_load_dword v0, v[2:3]
	buffer_store_dword v4, off, s[0:3], s32 offset:748 ; 4-byte Folded Spill
	buffer_store_dword v5, off, s[0:3], s32 offset:752 ; 4-byte Folded Spill
	v_mov_b32_e32 v4, 0
	v_mov_b32_e32 v5, 0
	buffer_store_dword v4, off, s[0:3], s32 offset:740 ; 4-byte Folded Spill
	buffer_store_dword v5, off, s[0:3], s32 offset:744 ; 4-byte Folded Spill
	s_waitcnt vmcnt(0) lgkmcnt(0)
	v_cmp_ne_u16_sdwa s5, v0, v11 src0_sel:BYTE_0 src1_sel:DWORD
	s_and_saveexec_b32 s18, s5
	s_cbranch_execz .LBB216_538
; %bb.531:                              ;   in Loop: Header=BB216_15 Depth=1
	v_mov_b32_e32 v1, 0x80
	v_bfrev_b32_e32 v4, 1
	v_mov_b32_e32 v5, 0
	buffer_store_dword v4, off, s[0:3], s32 offset:740 ; 4-byte Folded Spill
	buffer_store_dword v5, off, s[0:3], s32 offset:744 ; 4-byte Folded Spill
	v_cmp_ne_u16_sdwa s5, v0, v1 src0_sel:BYTE_0 src1_sel:DWORD
	s_and_saveexec_b32 s19, s5
	s_cbranch_execz .LBB216_537
; %bb.532:                              ;   in Loop: Header=BB216_15 Depth=1
	v_mov_b32_e32 v5, 0x7f800001
	v_and_b32_e32 v4, 0x7f, v0
	v_mov_b32_e32 v6, 0
	s_mov_b32 s20, exec_lo
	buffer_store_dword v5, off, s[0:3], s32 offset:740 ; 4-byte Folded Spill
	buffer_store_dword v6, off, s[0:3], s32 offset:744 ; 4-byte Folded Spill
	v_cmpx_ne_u32_e32 0x7f, v4
	s_cbranch_execz .LBB216_536
; %bb.533:                              ;   in Loop: Header=BB216_15 Depth=1
	v_and_b32_e32 v10, 7, v0
	v_lshrrev_b32_e32 v1, 3, v4
	s_mov_b32 s21, exec_lo
	v_cmpx_gt_u32_e32 8, v4
; %bb.534:                              ;   in Loop: Header=BB216_15 Depth=1
	v_ffbh_u32_e32 v1, v10
	v_min_u32_e32 v1, 32, v1
	v_subrev_nc_u32_e32 v4, 28, v1
	v_sub_nc_u32_e32 v1, 29, v1
	v_lshlrev_b64 v[4:5], v4, v[10:11]
	v_and_b32_e32 v10, 7, v4
; %bb.535:                              ;   in Loop: Header=BB216_15 Depth=1
	s_or_b32 exec_lo, exec_lo, s21
	v_lshlrev_b32_e32 v4, 24, v0
	v_lshlrev_b32_e32 v5, 20, v10
	v_lshl_add_u32 v1, v1, 23, 0x3c000000
	v_and_b32_e32 v4, 0x80000000, v4
	v_or3_b32 v10, v5, v4, v1
	buffer_store_dword v10, off, s[0:3], s32 offset:740 ; 4-byte Folded Spill
	buffer_store_dword v11, off, s[0:3], s32 offset:744 ; 4-byte Folded Spill
.LBB216_536:                            ;   in Loop: Header=BB216_15 Depth=1
	s_or_b32 exec_lo, exec_lo, s20
.LBB216_537:                            ;   in Loop: Header=BB216_15 Depth=1
	s_or_b32 exec_lo, exec_lo, s19
.LBB216_538:                            ;   in Loop: Header=BB216_15 Depth=1
	s_or_b32 exec_lo, exec_lo, s18
	v_cmp_ne_u16_sdwa s5, v0, v11 src0_sel:BYTE_1 src1_sel:DWORD
	s_and_saveexec_b32 s18, s5
	s_cbranch_execz .LBB216_546
; %bb.539:                              ;   in Loop: Header=BB216_15 Depth=1
	v_mov_b32_e32 v1, 0x80
	v_mov_b32_e32 v115, v11
	buffer_store_dword v115, off, s[0:3], s32 offset:748 ; 4-byte Folded Spill
	buffer_store_dword v116, off, s[0:3], s32 offset:752 ; 4-byte Folded Spill
	v_cmp_ne_u16_sdwa s5, v0, v1 src0_sel:BYTE_1 src1_sel:DWORD
	s_and_saveexec_b32 s19, s5
	s_cbranch_execz .LBB216_545
; %bb.540:                              ;   in Loop: Header=BB216_15 Depth=1
	s_clause 0x1
	buffer_load_dword v5, off, s[0:3], s32 offset:192
	buffer_load_dword v6, off, s[0:3], s32 offset:196
	v_mov_b32_e32 v1, 0xffff
	s_mov_b32 s20, exec_lo
	v_and_b32_sdwa v1, v1, v0 dst_sel:DWORD dst_unused:UNUSED_PAD src0_sel:DWORD src1_sel:BYTE_1
	v_and_b32_e32 v4, 0x7f, v1
	s_waitcnt vmcnt(0)
	v_mov_b32_e32 v7, v6
	v_mov_b32_e32 v6, v11
	;; [unrolled: 1-line block ×3, first 2 shown]
	buffer_store_dword v4, off, s[0:3], s32 offset:192 ; 4-byte Folded Spill
	buffer_store_dword v5, off, s[0:3], s32 offset:196 ; 4-byte Folded Spill
	;; [unrolled: 1-line block ×4, first 2 shown]
	v_cmpx_ne_u32_e32 0x7f, v4
	s_cbranch_execz .LBB216_544
; %bb.541:                              ;   in Loop: Header=BB216_15 Depth=1
	v_and_b32_e32 v10, 7, v1
	v_lshrrev_b32_e32 v1, 3, v4
	s_mov_b32 s21, exec_lo
	v_cmpx_gt_u32_e32 8, v4
; %bb.542:                              ;   in Loop: Header=BB216_15 Depth=1
	v_ffbh_u32_e32 v1, v10
	v_min_u32_e32 v1, 32, v1
	v_subrev_nc_u32_e32 v4, 28, v1
	v_sub_nc_u32_e32 v1, 29, v1
	v_lshlrev_b64 v[4:5], v4, v[10:11]
	v_and_b32_e32 v10, 7, v4
; %bb.543:                              ;   in Loop: Header=BB216_15 Depth=1
	s_or_b32 exec_lo, exec_lo, s21
	v_lshlrev_b32_e32 v4, 16, v0
	v_lshlrev_b32_e32 v5, 20, v10
	v_lshl_add_u32 v1, v1, 23, 0x3c000000
	v_and_b32_e32 v4, 0x80000000, v4
	v_or3_b32 v5, v5, v4, v1
	v_mov_b32_e32 v4, v11
	buffer_store_dword v4, off, s[0:3], s32 offset:748 ; 4-byte Folded Spill
	buffer_store_dword v5, off, s[0:3], s32 offset:752 ; 4-byte Folded Spill
.LBB216_544:                            ;   in Loop: Header=BB216_15 Depth=1
	s_or_b32 exec_lo, exec_lo, s20
.LBB216_545:                            ;   in Loop: Header=BB216_15 Depth=1
	s_or_b32 exec_lo, exec_lo, s19
.LBB216_546:                            ;   in Loop: Header=BB216_15 Depth=1
	s_or_b32 exec_lo, exec_lo, s18
	v_mov_b32_e32 v4, 0
	v_mov_b32_e32 v5, 0
	;; [unrolled: 1-line block ×3, first 2 shown]
	s_mov_b32 s18, exec_lo
	buffer_store_dword v4, off, s[0:3], s32 offset:756 ; 4-byte Folded Spill
	buffer_store_dword v5, off, s[0:3], s32 offset:760 ; 4-byte Folded Spill
	v_mov_b32_e32 v4, 0
	v_and_b32_sdwa v1, v0, v1 dst_sel:DWORD dst_unused:UNUSED_PAD src0_sel:WORD_1 src1_sel:DWORD
	v_mov_b32_e32 v5, 0
	buffer_store_dword v4, off, s[0:3], s32 offset:764 ; 4-byte Folded Spill
	buffer_store_dword v5, off, s[0:3], s32 offset:768 ; 4-byte Folded Spill
	v_cmpx_ne_u16_e32 0, v1
	s_cbranch_execz .LBB216_554
; %bb.547:                              ;   in Loop: Header=BB216_15 Depth=1
	v_bfrev_b32_e32 v4, 1
	v_mov_b32_e32 v5, 0
	s_mov_b32 s19, exec_lo
	buffer_store_dword v4, off, s[0:3], s32 offset:764 ; 4-byte Folded Spill
	buffer_store_dword v5, off, s[0:3], s32 offset:768 ; 4-byte Folded Spill
	v_cmpx_ne_u16_e32 0x80, v1
	s_cbranch_execz .LBB216_553
; %bb.548:                              ;   in Loop: Header=BB216_15 Depth=1
	v_mov_b32_e32 v5, 0x7f800001
	v_bfe_u32 v4, v0, 16, 7
	v_mov_b32_e32 v6, 0
	s_mov_b32 s20, exec_lo
	buffer_store_dword v5, off, s[0:3], s32 offset:764 ; 4-byte Folded Spill
	buffer_store_dword v6, off, s[0:3], s32 offset:768 ; 4-byte Folded Spill
	v_cmpx_ne_u32_e32 0x7f, v4
	s_cbranch_execz .LBB216_552
; %bb.549:                              ;   in Loop: Header=BB216_15 Depth=1
	v_mov_b32_e32 v1, 7
	s_mov_b32 s21, exec_lo
	v_and_b32_sdwa v10, v0, v1 dst_sel:DWORD dst_unused:UNUSED_PAD src0_sel:WORD_1 src1_sel:DWORD
	v_lshrrev_b32_e32 v1, 3, v4
	v_cmpx_gt_u32_e32 8, v4
; %bb.550:                              ;   in Loop: Header=BB216_15 Depth=1
	v_ffbh_u32_e32 v1, v10
	v_min_u32_e32 v1, 32, v1
	v_subrev_nc_u32_e32 v4, 28, v1
	v_sub_nc_u32_e32 v1, 29, v1
	v_lshlrev_b64 v[4:5], v4, v[10:11]
	v_and_b32_e32 v10, 7, v4
; %bb.551:                              ;   in Loop: Header=BB216_15 Depth=1
	s_or_b32 exec_lo, exec_lo, s21
	v_mov_b32_e32 v4, 24
	v_lshlrev_b32_e32 v5, 20, v10
	v_lshl_add_u32 v1, v1, 23, 0x3c000000
	v_lshlrev_b32_sdwa v4, v4, v0 dst_sel:DWORD dst_unused:UNUSED_PAD src0_sel:DWORD src1_sel:WORD_1
	v_and_b32_e32 v4, 0x80000000, v4
	v_or3_b32 v10, v5, v4, v1
	buffer_store_dword v10, off, s[0:3], s32 offset:764 ; 4-byte Folded Spill
	buffer_store_dword v11, off, s[0:3], s32 offset:768 ; 4-byte Folded Spill
.LBB216_552:                            ;   in Loop: Header=BB216_15 Depth=1
	s_or_b32 exec_lo, exec_lo, s20
.LBB216_553:                            ;   in Loop: Header=BB216_15 Depth=1
	s_or_b32 exec_lo, exec_lo, s19
.LBB216_554:                            ;   in Loop: Header=BB216_15 Depth=1
	s_or_b32 exec_lo, exec_lo, s18
	s_mov_b32 s18, exec_lo
	v_cmpx_lt_u32_e32 0xffffff, v0
	s_cbranch_execz .LBB216_562
; %bb.555:                              ;   in Loop: Header=BB216_15 Depth=1
	v_mov_b32_e32 v1, 0x80
	v_mov_b32_e32 v115, v11
	buffer_store_dword v115, off, s[0:3], s32 offset:756 ; 4-byte Folded Spill
	buffer_store_dword v116, off, s[0:3], s32 offset:760 ; 4-byte Folded Spill
	v_cmp_ne_u32_sdwa s5, v0, v1 src0_sel:BYTE_3 src1_sel:DWORD
	s_and_saveexec_b32 s19, s5
	s_cbranch_execz .LBB216_561
; %bb.556:                              ;   in Loop: Header=BB216_15 Depth=1
	s_clause 0x1
	buffer_load_dword v5, off, s[0:3], s32 offset:192
	buffer_load_dword v6, off, s[0:3], s32 offset:196
	v_bfe_u32 v4, v0, 24, 7
	s_waitcnt vmcnt(1)
	v_mov_b32_e32 v5, v11
	s_mov_b32 s20, exec_lo
	s_waitcnt vmcnt(0)
	v_mov_b32_e32 v1, v6
	buffer_store_dword v0, off, s[0:3], s32 offset:192 ; 4-byte Folded Spill
	buffer_store_dword v1, off, s[0:3], s32 offset:196 ; 4-byte Folded Spill
	;; [unrolled: 1-line block ×4, first 2 shown]
	v_cmpx_ne_u32_e32 0x7f, v4
	s_cbranch_execz .LBB216_560
; %bb.557:                              ;   in Loop: Header=BB216_15 Depth=1
	v_mov_b32_e32 v1, 7
	s_mov_b32 s21, exec_lo
	v_and_b32_sdwa v10, v0, v1 dst_sel:DWORD dst_unused:UNUSED_PAD src0_sel:BYTE_3 src1_sel:DWORD
	v_lshrrev_b32_e32 v1, 3, v4
	v_cmpx_gt_u32_e32 8, v4
; %bb.558:                              ;   in Loop: Header=BB216_15 Depth=1
	v_ffbh_u32_e32 v1, v10
	v_min_u32_e32 v1, 32, v1
	v_subrev_nc_u32_e32 v4, 28, v1
	v_sub_nc_u32_e32 v1, 29, v1
	v_lshlrev_b64 v[4:5], v4, v[10:11]
	v_and_b32_e32 v10, 7, v4
; %bb.559:                              ;   in Loop: Header=BB216_15 Depth=1
	s_or_b32 exec_lo, exec_lo, s21
	v_mov_b32_e32 v4, 24
	v_lshl_add_u32 v1, v1, 23, 0x3c000000
	v_lshlrev_b32_sdwa v0, v4, v0 dst_sel:DWORD dst_unused:UNUSED_PAD src0_sel:DWORD src1_sel:BYTE_3
	v_lshlrev_b32_e32 v4, 20, v10
	v_and_b32_e32 v0, 0x80000000, v0
	v_or3_b32 v1, v4, v0, v1
	v_mov_b32_e32 v0, v11
	buffer_store_dword v0, off, s[0:3], s32 offset:756 ; 4-byte Folded Spill
	buffer_store_dword v1, off, s[0:3], s32 offset:760 ; 4-byte Folded Spill
.LBB216_560:                            ;   in Loop: Header=BB216_15 Depth=1
	s_or_b32 exec_lo, exec_lo, s20
.LBB216_561:                            ;   in Loop: Header=BB216_15 Depth=1
	s_or_b32 exec_lo, exec_lo, s19
.LBB216_562:                            ;   in Loop: Header=BB216_15 Depth=1
	s_or_b32 exec_lo, exec_lo, s18
	flat_load_dword v0, v[2:3] offset:4
	v_mov_b32_e32 v4, 0
	v_mov_b32_e32 v5, 0
	buffer_store_dword v4, off, s[0:3], s32 offset:780 ; 4-byte Folded Spill
	buffer_store_dword v5, off, s[0:3], s32 offset:784 ; 4-byte Folded Spill
	v_mov_b32_e32 v4, 0
	v_mov_b32_e32 v5, 0
	buffer_store_dword v4, off, s[0:3], s32 offset:772 ; 4-byte Folded Spill
	buffer_store_dword v5, off, s[0:3], s32 offset:776 ; 4-byte Folded Spill
	s_waitcnt vmcnt(0) lgkmcnt(0)
	v_cmp_ne_u16_sdwa s5, v0, v11 src0_sel:BYTE_0 src1_sel:DWORD
	s_and_saveexec_b32 s18, s5
	s_cbranch_execz .LBB216_570
; %bb.563:                              ;   in Loop: Header=BB216_15 Depth=1
	v_mov_b32_e32 v1, 0x80
	v_bfrev_b32_e32 v4, 1
	v_mov_b32_e32 v5, 0
	buffer_store_dword v4, off, s[0:3], s32 offset:772 ; 4-byte Folded Spill
	buffer_store_dword v5, off, s[0:3], s32 offset:776 ; 4-byte Folded Spill
	v_cmp_ne_u16_sdwa s5, v0, v1 src0_sel:BYTE_0 src1_sel:DWORD
	s_and_saveexec_b32 s19, s5
	s_cbranch_execz .LBB216_569
; %bb.564:                              ;   in Loop: Header=BB216_15 Depth=1
	v_mov_b32_e32 v5, 0x7f800001
	v_and_b32_e32 v4, 0x7f, v0
	v_mov_b32_e32 v6, 0
	s_mov_b32 s20, exec_lo
	buffer_store_dword v5, off, s[0:3], s32 offset:772 ; 4-byte Folded Spill
	buffer_store_dword v6, off, s[0:3], s32 offset:776 ; 4-byte Folded Spill
	v_cmpx_ne_u32_e32 0x7f, v4
	s_cbranch_execz .LBB216_568
; %bb.565:                              ;   in Loop: Header=BB216_15 Depth=1
	v_and_b32_e32 v10, 7, v0
	v_lshrrev_b32_e32 v1, 3, v4
	s_mov_b32 s21, exec_lo
	v_cmpx_gt_u32_e32 8, v4
; %bb.566:                              ;   in Loop: Header=BB216_15 Depth=1
	v_ffbh_u32_e32 v1, v10
	v_min_u32_e32 v1, 32, v1
	v_subrev_nc_u32_e32 v4, 28, v1
	v_sub_nc_u32_e32 v1, 29, v1
	v_lshlrev_b64 v[4:5], v4, v[10:11]
	v_and_b32_e32 v10, 7, v4
; %bb.567:                              ;   in Loop: Header=BB216_15 Depth=1
	s_or_b32 exec_lo, exec_lo, s21
	v_lshlrev_b32_e32 v4, 24, v0
	v_lshlrev_b32_e32 v5, 20, v10
	v_lshl_add_u32 v1, v1, 23, 0x3c000000
	v_and_b32_e32 v4, 0x80000000, v4
	v_or3_b32 v10, v5, v4, v1
	buffer_store_dword v10, off, s[0:3], s32 offset:772 ; 4-byte Folded Spill
	buffer_store_dword v11, off, s[0:3], s32 offset:776 ; 4-byte Folded Spill
.LBB216_568:                            ;   in Loop: Header=BB216_15 Depth=1
	s_or_b32 exec_lo, exec_lo, s20
.LBB216_569:                            ;   in Loop: Header=BB216_15 Depth=1
	s_or_b32 exec_lo, exec_lo, s19
.LBB216_570:                            ;   in Loop: Header=BB216_15 Depth=1
	s_or_b32 exec_lo, exec_lo, s18
	v_cmp_ne_u16_sdwa s5, v0, v11 src0_sel:BYTE_1 src1_sel:DWORD
	s_and_saveexec_b32 s18, s5
	s_cbranch_execz .LBB216_578
; %bb.571:                              ;   in Loop: Header=BB216_15 Depth=1
	v_mov_b32_e32 v1, 0x80
	v_mov_b32_e32 v115, v11
	buffer_store_dword v115, off, s[0:3], s32 offset:780 ; 4-byte Folded Spill
	buffer_store_dword v116, off, s[0:3], s32 offset:784 ; 4-byte Folded Spill
	v_cmp_ne_u16_sdwa s5, v0, v1 src0_sel:BYTE_1 src1_sel:DWORD
	s_and_saveexec_b32 s19, s5
	s_cbranch_execz .LBB216_577
; %bb.572:                              ;   in Loop: Header=BB216_15 Depth=1
	s_clause 0x1
	buffer_load_dword v5, off, s[0:3], s32 offset:192
	buffer_load_dword v6, off, s[0:3], s32 offset:196
	v_mov_b32_e32 v1, 0xffff
	s_mov_b32 s20, exec_lo
	v_and_b32_sdwa v1, v1, v0 dst_sel:DWORD dst_unused:UNUSED_PAD src0_sel:DWORD src1_sel:BYTE_1
	v_and_b32_e32 v4, 0x7f, v1
	s_waitcnt vmcnt(0)
	v_mov_b32_e32 v7, v6
	v_mov_b32_e32 v6, v11
	;; [unrolled: 1-line block ×3, first 2 shown]
	buffer_store_dword v4, off, s[0:3], s32 offset:192 ; 4-byte Folded Spill
	buffer_store_dword v5, off, s[0:3], s32 offset:196 ; 4-byte Folded Spill
	;; [unrolled: 1-line block ×4, first 2 shown]
	v_cmpx_ne_u32_e32 0x7f, v4
	s_cbranch_execz .LBB216_576
; %bb.573:                              ;   in Loop: Header=BB216_15 Depth=1
	v_and_b32_e32 v10, 7, v1
	v_lshrrev_b32_e32 v1, 3, v4
	s_mov_b32 s21, exec_lo
	v_cmpx_gt_u32_e32 8, v4
; %bb.574:                              ;   in Loop: Header=BB216_15 Depth=1
	v_ffbh_u32_e32 v1, v10
	v_min_u32_e32 v1, 32, v1
	v_subrev_nc_u32_e32 v4, 28, v1
	v_sub_nc_u32_e32 v1, 29, v1
	v_lshlrev_b64 v[4:5], v4, v[10:11]
	v_and_b32_e32 v10, 7, v4
; %bb.575:                              ;   in Loop: Header=BB216_15 Depth=1
	s_or_b32 exec_lo, exec_lo, s21
	v_lshlrev_b32_e32 v4, 16, v0
	v_lshlrev_b32_e32 v5, 20, v10
	v_lshl_add_u32 v1, v1, 23, 0x3c000000
	v_and_b32_e32 v4, 0x80000000, v4
	v_or3_b32 v5, v5, v4, v1
	v_mov_b32_e32 v4, v11
	buffer_store_dword v4, off, s[0:3], s32 offset:780 ; 4-byte Folded Spill
	buffer_store_dword v5, off, s[0:3], s32 offset:784 ; 4-byte Folded Spill
.LBB216_576:                            ;   in Loop: Header=BB216_15 Depth=1
	s_or_b32 exec_lo, exec_lo, s20
.LBB216_577:                            ;   in Loop: Header=BB216_15 Depth=1
	s_or_b32 exec_lo, exec_lo, s19
.LBB216_578:                            ;   in Loop: Header=BB216_15 Depth=1
	s_or_b32 exec_lo, exec_lo, s18
	v_mov_b32_e32 v4, 0
	v_mov_b32_e32 v5, 0
	;; [unrolled: 1-line block ×3, first 2 shown]
	s_mov_b32 s18, exec_lo
	buffer_store_dword v4, off, s[0:3], s32 offset:788 ; 4-byte Folded Spill
	buffer_store_dword v5, off, s[0:3], s32 offset:792 ; 4-byte Folded Spill
	v_mov_b32_e32 v4, 0
	v_and_b32_sdwa v1, v0, v1 dst_sel:DWORD dst_unused:UNUSED_PAD src0_sel:WORD_1 src1_sel:DWORD
	v_mov_b32_e32 v5, 0
	buffer_store_dword v4, off, s[0:3], s32 offset:796 ; 4-byte Folded Spill
	buffer_store_dword v5, off, s[0:3], s32 offset:800 ; 4-byte Folded Spill
	v_cmpx_ne_u16_e32 0, v1
	s_cbranch_execz .LBB216_586
; %bb.579:                              ;   in Loop: Header=BB216_15 Depth=1
	v_bfrev_b32_e32 v4, 1
	v_mov_b32_e32 v5, 0
	s_mov_b32 s19, exec_lo
	buffer_store_dword v4, off, s[0:3], s32 offset:796 ; 4-byte Folded Spill
	buffer_store_dword v5, off, s[0:3], s32 offset:800 ; 4-byte Folded Spill
	v_cmpx_ne_u16_e32 0x80, v1
	s_cbranch_execz .LBB216_585
; %bb.580:                              ;   in Loop: Header=BB216_15 Depth=1
	v_mov_b32_e32 v5, 0x7f800001
	v_bfe_u32 v4, v0, 16, 7
	v_mov_b32_e32 v6, 0
	s_mov_b32 s20, exec_lo
	buffer_store_dword v5, off, s[0:3], s32 offset:796 ; 4-byte Folded Spill
	buffer_store_dword v6, off, s[0:3], s32 offset:800 ; 4-byte Folded Spill
	v_cmpx_ne_u32_e32 0x7f, v4
	s_cbranch_execz .LBB216_584
; %bb.581:                              ;   in Loop: Header=BB216_15 Depth=1
	v_mov_b32_e32 v1, 7
	s_mov_b32 s21, exec_lo
	v_and_b32_sdwa v10, v0, v1 dst_sel:DWORD dst_unused:UNUSED_PAD src0_sel:WORD_1 src1_sel:DWORD
	v_lshrrev_b32_e32 v1, 3, v4
	v_cmpx_gt_u32_e32 8, v4
; %bb.582:                              ;   in Loop: Header=BB216_15 Depth=1
	v_ffbh_u32_e32 v1, v10
	v_min_u32_e32 v1, 32, v1
	v_subrev_nc_u32_e32 v4, 28, v1
	v_sub_nc_u32_e32 v1, 29, v1
	v_lshlrev_b64 v[4:5], v4, v[10:11]
	v_and_b32_e32 v10, 7, v4
; %bb.583:                              ;   in Loop: Header=BB216_15 Depth=1
	s_or_b32 exec_lo, exec_lo, s21
	v_mov_b32_e32 v4, 24
	v_lshlrev_b32_e32 v5, 20, v10
	v_lshl_add_u32 v1, v1, 23, 0x3c000000
	v_lshlrev_b32_sdwa v4, v4, v0 dst_sel:DWORD dst_unused:UNUSED_PAD src0_sel:DWORD src1_sel:WORD_1
	v_and_b32_e32 v4, 0x80000000, v4
	v_or3_b32 v10, v5, v4, v1
	buffer_store_dword v10, off, s[0:3], s32 offset:796 ; 4-byte Folded Spill
	buffer_store_dword v11, off, s[0:3], s32 offset:800 ; 4-byte Folded Spill
.LBB216_584:                            ;   in Loop: Header=BB216_15 Depth=1
	s_or_b32 exec_lo, exec_lo, s20
.LBB216_585:                            ;   in Loop: Header=BB216_15 Depth=1
	s_or_b32 exec_lo, exec_lo, s19
.LBB216_586:                            ;   in Loop: Header=BB216_15 Depth=1
	s_or_b32 exec_lo, exec_lo, s18
	s_mov_b32 s18, exec_lo
	v_cmpx_lt_u32_e32 0xffffff, v0
	s_cbranch_execz .LBB216_594
; %bb.587:                              ;   in Loop: Header=BB216_15 Depth=1
	v_mov_b32_e32 v1, 0x80
	v_mov_b32_e32 v115, v11
	buffer_store_dword v115, off, s[0:3], s32 offset:788 ; 4-byte Folded Spill
	buffer_store_dword v116, off, s[0:3], s32 offset:792 ; 4-byte Folded Spill
	v_cmp_ne_u32_sdwa s5, v0, v1 src0_sel:BYTE_3 src1_sel:DWORD
	s_and_saveexec_b32 s19, s5
	s_cbranch_execz .LBB216_593
; %bb.588:                              ;   in Loop: Header=BB216_15 Depth=1
	s_clause 0x1
	buffer_load_dword v5, off, s[0:3], s32 offset:192
	buffer_load_dword v6, off, s[0:3], s32 offset:196
	v_bfe_u32 v4, v0, 24, 7
	s_waitcnt vmcnt(1)
	v_mov_b32_e32 v5, v11
	s_mov_b32 s20, exec_lo
	s_waitcnt vmcnt(0)
	v_mov_b32_e32 v1, v6
	buffer_store_dword v0, off, s[0:3], s32 offset:192 ; 4-byte Folded Spill
	buffer_store_dword v1, off, s[0:3], s32 offset:196 ; 4-byte Folded Spill
	;; [unrolled: 1-line block ×4, first 2 shown]
	v_cmpx_ne_u32_e32 0x7f, v4
	s_cbranch_execz .LBB216_592
; %bb.589:                              ;   in Loop: Header=BB216_15 Depth=1
	v_mov_b32_e32 v1, 7
	s_mov_b32 s21, exec_lo
	v_and_b32_sdwa v10, v0, v1 dst_sel:DWORD dst_unused:UNUSED_PAD src0_sel:BYTE_3 src1_sel:DWORD
	v_lshrrev_b32_e32 v1, 3, v4
	v_cmpx_gt_u32_e32 8, v4
; %bb.590:                              ;   in Loop: Header=BB216_15 Depth=1
	v_ffbh_u32_e32 v1, v10
	v_min_u32_e32 v1, 32, v1
	v_subrev_nc_u32_e32 v4, 28, v1
	v_sub_nc_u32_e32 v1, 29, v1
	v_lshlrev_b64 v[4:5], v4, v[10:11]
	v_and_b32_e32 v10, 7, v4
; %bb.591:                              ;   in Loop: Header=BB216_15 Depth=1
	s_or_b32 exec_lo, exec_lo, s21
	v_mov_b32_e32 v4, 24
	v_lshl_add_u32 v1, v1, 23, 0x3c000000
	v_lshlrev_b32_sdwa v0, v4, v0 dst_sel:DWORD dst_unused:UNUSED_PAD src0_sel:DWORD src1_sel:BYTE_3
	v_lshlrev_b32_e32 v4, 20, v10
	v_and_b32_e32 v0, 0x80000000, v0
	v_or3_b32 v1, v4, v0, v1
	v_mov_b32_e32 v0, v11
	buffer_store_dword v0, off, s[0:3], s32 offset:788 ; 4-byte Folded Spill
	buffer_store_dword v1, off, s[0:3], s32 offset:792 ; 4-byte Folded Spill
.LBB216_592:                            ;   in Loop: Header=BB216_15 Depth=1
	s_or_b32 exec_lo, exec_lo, s20
.LBB216_593:                            ;   in Loop: Header=BB216_15 Depth=1
	s_or_b32 exec_lo, exec_lo, s19
.LBB216_594:                            ;   in Loop: Header=BB216_15 Depth=1
	s_or_b32 exec_lo, exec_lo, s18
	flat_load_dword v0, v[2:3] offset:8
	v_mov_b32_e32 v4, 0
	v_mov_b32_e32 v5, 0
	buffer_store_dword v4, off, s[0:3], s32 offset:812 ; 4-byte Folded Spill
	buffer_store_dword v5, off, s[0:3], s32 offset:816 ; 4-byte Folded Spill
	v_mov_b32_e32 v4, 0
	v_mov_b32_e32 v5, 0
	buffer_store_dword v4, off, s[0:3], s32 offset:804 ; 4-byte Folded Spill
	buffer_store_dword v5, off, s[0:3], s32 offset:808 ; 4-byte Folded Spill
	s_waitcnt vmcnt(0) lgkmcnt(0)
	v_cmp_ne_u16_sdwa s5, v0, v11 src0_sel:BYTE_0 src1_sel:DWORD
	s_and_saveexec_b32 s18, s5
	s_cbranch_execz .LBB216_602
; %bb.595:                              ;   in Loop: Header=BB216_15 Depth=1
	v_mov_b32_e32 v1, 0x80
	v_bfrev_b32_e32 v4, 1
	v_mov_b32_e32 v5, 0
	buffer_store_dword v4, off, s[0:3], s32 offset:804 ; 4-byte Folded Spill
	buffer_store_dword v5, off, s[0:3], s32 offset:808 ; 4-byte Folded Spill
	v_cmp_ne_u16_sdwa s5, v0, v1 src0_sel:BYTE_0 src1_sel:DWORD
	s_and_saveexec_b32 s19, s5
	s_cbranch_execz .LBB216_601
; %bb.596:                              ;   in Loop: Header=BB216_15 Depth=1
	v_mov_b32_e32 v5, 0x7f800001
	v_and_b32_e32 v4, 0x7f, v0
	v_mov_b32_e32 v6, 0
	s_mov_b32 s20, exec_lo
	buffer_store_dword v5, off, s[0:3], s32 offset:804 ; 4-byte Folded Spill
	buffer_store_dword v6, off, s[0:3], s32 offset:808 ; 4-byte Folded Spill
	v_cmpx_ne_u32_e32 0x7f, v4
	s_cbranch_execz .LBB216_600
; %bb.597:                              ;   in Loop: Header=BB216_15 Depth=1
	v_and_b32_e32 v10, 7, v0
	v_lshrrev_b32_e32 v1, 3, v4
	s_mov_b32 s21, exec_lo
	v_cmpx_gt_u32_e32 8, v4
; %bb.598:                              ;   in Loop: Header=BB216_15 Depth=1
	v_ffbh_u32_e32 v1, v10
	v_min_u32_e32 v1, 32, v1
	v_subrev_nc_u32_e32 v4, 28, v1
	v_sub_nc_u32_e32 v1, 29, v1
	v_lshlrev_b64 v[4:5], v4, v[10:11]
	v_and_b32_e32 v10, 7, v4
; %bb.599:                              ;   in Loop: Header=BB216_15 Depth=1
	s_or_b32 exec_lo, exec_lo, s21
	v_lshlrev_b32_e32 v4, 24, v0
	v_lshlrev_b32_e32 v5, 20, v10
	v_lshl_add_u32 v1, v1, 23, 0x3c000000
	v_and_b32_e32 v4, 0x80000000, v4
	v_or3_b32 v10, v5, v4, v1
	buffer_store_dword v10, off, s[0:3], s32 offset:804 ; 4-byte Folded Spill
	buffer_store_dword v11, off, s[0:3], s32 offset:808 ; 4-byte Folded Spill
.LBB216_600:                            ;   in Loop: Header=BB216_15 Depth=1
	s_or_b32 exec_lo, exec_lo, s20
.LBB216_601:                            ;   in Loop: Header=BB216_15 Depth=1
	s_or_b32 exec_lo, exec_lo, s19
.LBB216_602:                            ;   in Loop: Header=BB216_15 Depth=1
	s_or_b32 exec_lo, exec_lo, s18
	v_cmp_ne_u16_sdwa s5, v0, v11 src0_sel:BYTE_1 src1_sel:DWORD
	s_and_saveexec_b32 s18, s5
	s_cbranch_execz .LBB216_610
; %bb.603:                              ;   in Loop: Header=BB216_15 Depth=1
	v_mov_b32_e32 v1, 0x80
	v_mov_b32_e32 v115, v11
	buffer_store_dword v115, off, s[0:3], s32 offset:812 ; 4-byte Folded Spill
	buffer_store_dword v116, off, s[0:3], s32 offset:816 ; 4-byte Folded Spill
	v_cmp_ne_u16_sdwa s5, v0, v1 src0_sel:BYTE_1 src1_sel:DWORD
	s_and_saveexec_b32 s19, s5
	s_cbranch_execz .LBB216_609
; %bb.604:                              ;   in Loop: Header=BB216_15 Depth=1
	s_clause 0x1
	buffer_load_dword v5, off, s[0:3], s32 offset:192
	buffer_load_dword v6, off, s[0:3], s32 offset:196
	v_mov_b32_e32 v1, 0xffff
	s_mov_b32 s20, exec_lo
	v_and_b32_sdwa v1, v1, v0 dst_sel:DWORD dst_unused:UNUSED_PAD src0_sel:DWORD src1_sel:BYTE_1
	v_and_b32_e32 v4, 0x7f, v1
	s_waitcnt vmcnt(0)
	v_mov_b32_e32 v7, v6
	v_mov_b32_e32 v6, v11
	;; [unrolled: 1-line block ×3, first 2 shown]
	buffer_store_dword v4, off, s[0:3], s32 offset:192 ; 4-byte Folded Spill
	buffer_store_dword v5, off, s[0:3], s32 offset:196 ; 4-byte Folded Spill
	;; [unrolled: 1-line block ×4, first 2 shown]
	v_cmpx_ne_u32_e32 0x7f, v4
	s_cbranch_execz .LBB216_608
; %bb.605:                              ;   in Loop: Header=BB216_15 Depth=1
	v_and_b32_e32 v10, 7, v1
	v_lshrrev_b32_e32 v1, 3, v4
	s_mov_b32 s21, exec_lo
	v_cmpx_gt_u32_e32 8, v4
; %bb.606:                              ;   in Loop: Header=BB216_15 Depth=1
	v_ffbh_u32_e32 v1, v10
	v_min_u32_e32 v1, 32, v1
	v_subrev_nc_u32_e32 v4, 28, v1
	v_sub_nc_u32_e32 v1, 29, v1
	v_lshlrev_b64 v[4:5], v4, v[10:11]
	v_and_b32_e32 v10, 7, v4
; %bb.607:                              ;   in Loop: Header=BB216_15 Depth=1
	s_or_b32 exec_lo, exec_lo, s21
	v_lshlrev_b32_e32 v4, 16, v0
	v_lshlrev_b32_e32 v5, 20, v10
	v_lshl_add_u32 v1, v1, 23, 0x3c000000
	v_and_b32_e32 v4, 0x80000000, v4
	v_or3_b32 v5, v5, v4, v1
	v_mov_b32_e32 v4, v11
	buffer_store_dword v4, off, s[0:3], s32 offset:812 ; 4-byte Folded Spill
	buffer_store_dword v5, off, s[0:3], s32 offset:816 ; 4-byte Folded Spill
.LBB216_608:                            ;   in Loop: Header=BB216_15 Depth=1
	s_or_b32 exec_lo, exec_lo, s20
.LBB216_609:                            ;   in Loop: Header=BB216_15 Depth=1
	s_or_b32 exec_lo, exec_lo, s19
.LBB216_610:                            ;   in Loop: Header=BB216_15 Depth=1
	s_or_b32 exec_lo, exec_lo, s18
	v_mov_b32_e32 v4, 0
	v_mov_b32_e32 v5, 0
	;; [unrolled: 1-line block ×3, first 2 shown]
	s_mov_b32 s18, exec_lo
	buffer_store_dword v4, off, s[0:3], s32 offset:820 ; 4-byte Folded Spill
	buffer_store_dword v5, off, s[0:3], s32 offset:824 ; 4-byte Folded Spill
	v_mov_b32_e32 v4, 0
	v_and_b32_sdwa v1, v0, v1 dst_sel:DWORD dst_unused:UNUSED_PAD src0_sel:WORD_1 src1_sel:DWORD
	v_mov_b32_e32 v5, 0
	buffer_store_dword v4, off, s[0:3], s32 offset:828 ; 4-byte Folded Spill
	buffer_store_dword v5, off, s[0:3], s32 offset:832 ; 4-byte Folded Spill
	v_cmpx_ne_u16_e32 0, v1
	s_cbranch_execz .LBB216_618
; %bb.611:                              ;   in Loop: Header=BB216_15 Depth=1
	v_bfrev_b32_e32 v4, 1
	v_mov_b32_e32 v5, 0
	s_mov_b32 s19, exec_lo
	buffer_store_dword v4, off, s[0:3], s32 offset:828 ; 4-byte Folded Spill
	buffer_store_dword v5, off, s[0:3], s32 offset:832 ; 4-byte Folded Spill
	v_cmpx_ne_u16_e32 0x80, v1
	s_cbranch_execz .LBB216_617
; %bb.612:                              ;   in Loop: Header=BB216_15 Depth=1
	v_mov_b32_e32 v5, 0x7f800001
	v_bfe_u32 v4, v0, 16, 7
	v_mov_b32_e32 v6, 0
	s_mov_b32 s20, exec_lo
	buffer_store_dword v5, off, s[0:3], s32 offset:828 ; 4-byte Folded Spill
	buffer_store_dword v6, off, s[0:3], s32 offset:832 ; 4-byte Folded Spill
	v_cmpx_ne_u32_e32 0x7f, v4
	s_cbranch_execz .LBB216_616
; %bb.613:                              ;   in Loop: Header=BB216_15 Depth=1
	v_mov_b32_e32 v1, 7
	s_mov_b32 s21, exec_lo
	v_and_b32_sdwa v10, v0, v1 dst_sel:DWORD dst_unused:UNUSED_PAD src0_sel:WORD_1 src1_sel:DWORD
	v_lshrrev_b32_e32 v1, 3, v4
	v_cmpx_gt_u32_e32 8, v4
; %bb.614:                              ;   in Loop: Header=BB216_15 Depth=1
	v_ffbh_u32_e32 v1, v10
	v_min_u32_e32 v1, 32, v1
	v_subrev_nc_u32_e32 v4, 28, v1
	v_sub_nc_u32_e32 v1, 29, v1
	v_lshlrev_b64 v[4:5], v4, v[10:11]
	v_and_b32_e32 v10, 7, v4
; %bb.615:                              ;   in Loop: Header=BB216_15 Depth=1
	s_or_b32 exec_lo, exec_lo, s21
	v_mov_b32_e32 v4, 24
	v_lshlrev_b32_e32 v5, 20, v10
	v_lshl_add_u32 v1, v1, 23, 0x3c000000
	v_lshlrev_b32_sdwa v4, v4, v0 dst_sel:DWORD dst_unused:UNUSED_PAD src0_sel:DWORD src1_sel:WORD_1
	v_and_b32_e32 v4, 0x80000000, v4
	v_or3_b32 v10, v5, v4, v1
	buffer_store_dword v10, off, s[0:3], s32 offset:828 ; 4-byte Folded Spill
	buffer_store_dword v11, off, s[0:3], s32 offset:832 ; 4-byte Folded Spill
.LBB216_616:                            ;   in Loop: Header=BB216_15 Depth=1
	s_or_b32 exec_lo, exec_lo, s20
.LBB216_617:                            ;   in Loop: Header=BB216_15 Depth=1
	s_or_b32 exec_lo, exec_lo, s19
.LBB216_618:                            ;   in Loop: Header=BB216_15 Depth=1
	s_or_b32 exec_lo, exec_lo, s18
	s_mov_b32 s18, exec_lo
	v_cmpx_lt_u32_e32 0xffffff, v0
	s_cbranch_execz .LBB216_626
; %bb.619:                              ;   in Loop: Header=BB216_15 Depth=1
	v_mov_b32_e32 v1, 0x80
	v_mov_b32_e32 v115, v11
	buffer_store_dword v115, off, s[0:3], s32 offset:820 ; 4-byte Folded Spill
	buffer_store_dword v116, off, s[0:3], s32 offset:824 ; 4-byte Folded Spill
	v_cmp_ne_u32_sdwa s5, v0, v1 src0_sel:BYTE_3 src1_sel:DWORD
	s_and_saveexec_b32 s19, s5
	s_cbranch_execz .LBB216_625
; %bb.620:                              ;   in Loop: Header=BB216_15 Depth=1
	s_clause 0x1
	buffer_load_dword v5, off, s[0:3], s32 offset:192
	buffer_load_dword v6, off, s[0:3], s32 offset:196
	v_bfe_u32 v4, v0, 24, 7
	s_waitcnt vmcnt(1)
	v_mov_b32_e32 v5, v11
	s_mov_b32 s20, exec_lo
	s_waitcnt vmcnt(0)
	v_mov_b32_e32 v1, v6
	buffer_store_dword v0, off, s[0:3], s32 offset:192 ; 4-byte Folded Spill
	buffer_store_dword v1, off, s[0:3], s32 offset:196 ; 4-byte Folded Spill
	;; [unrolled: 1-line block ×4, first 2 shown]
	v_cmpx_ne_u32_e32 0x7f, v4
	s_cbranch_execz .LBB216_624
; %bb.621:                              ;   in Loop: Header=BB216_15 Depth=1
	v_mov_b32_e32 v1, 7
	s_mov_b32 s21, exec_lo
	v_and_b32_sdwa v10, v0, v1 dst_sel:DWORD dst_unused:UNUSED_PAD src0_sel:BYTE_3 src1_sel:DWORD
	v_lshrrev_b32_e32 v1, 3, v4
	v_cmpx_gt_u32_e32 8, v4
; %bb.622:                              ;   in Loop: Header=BB216_15 Depth=1
	v_ffbh_u32_e32 v1, v10
	v_min_u32_e32 v1, 32, v1
	v_subrev_nc_u32_e32 v4, 28, v1
	v_sub_nc_u32_e32 v1, 29, v1
	v_lshlrev_b64 v[4:5], v4, v[10:11]
	v_and_b32_e32 v10, 7, v4
; %bb.623:                              ;   in Loop: Header=BB216_15 Depth=1
	s_or_b32 exec_lo, exec_lo, s21
	v_mov_b32_e32 v4, 24
	v_lshl_add_u32 v1, v1, 23, 0x3c000000
	v_lshlrev_b32_sdwa v0, v4, v0 dst_sel:DWORD dst_unused:UNUSED_PAD src0_sel:DWORD src1_sel:BYTE_3
	v_lshlrev_b32_e32 v4, 20, v10
	v_and_b32_e32 v0, 0x80000000, v0
	v_or3_b32 v1, v4, v0, v1
	v_mov_b32_e32 v0, v11
	buffer_store_dword v0, off, s[0:3], s32 offset:820 ; 4-byte Folded Spill
	buffer_store_dword v1, off, s[0:3], s32 offset:824 ; 4-byte Folded Spill
.LBB216_624:                            ;   in Loop: Header=BB216_15 Depth=1
	s_or_b32 exec_lo, exec_lo, s20
.LBB216_625:                            ;   in Loop: Header=BB216_15 Depth=1
	s_or_b32 exec_lo, exec_lo, s19
.LBB216_626:                            ;   in Loop: Header=BB216_15 Depth=1
	s_or_b32 exec_lo, exec_lo, s18
	flat_load_dword v0, v[2:3] offset:12
	v_mov_b32_e32 v4, 0
	v_mov_b32_e32 v5, 0
	buffer_store_dword v4, off, s[0:3], s32 offset:844 ; 4-byte Folded Spill
	buffer_store_dword v5, off, s[0:3], s32 offset:848 ; 4-byte Folded Spill
	v_mov_b32_e32 v4, 0
	v_mov_b32_e32 v5, 0
	buffer_store_dword v4, off, s[0:3], s32 offset:836 ; 4-byte Folded Spill
	buffer_store_dword v5, off, s[0:3], s32 offset:840 ; 4-byte Folded Spill
	s_waitcnt vmcnt(0) lgkmcnt(0)
	v_cmp_ne_u16_sdwa s5, v0, v11 src0_sel:BYTE_0 src1_sel:DWORD
	s_and_saveexec_b32 s18, s5
	s_cbranch_execz .LBB216_634
; %bb.627:                              ;   in Loop: Header=BB216_15 Depth=1
	v_mov_b32_e32 v1, 0x80
	v_bfrev_b32_e32 v4, 1
	v_mov_b32_e32 v5, 0
	buffer_store_dword v4, off, s[0:3], s32 offset:836 ; 4-byte Folded Spill
	buffer_store_dword v5, off, s[0:3], s32 offset:840 ; 4-byte Folded Spill
	v_cmp_ne_u16_sdwa s5, v0, v1 src0_sel:BYTE_0 src1_sel:DWORD
	s_and_saveexec_b32 s19, s5
	s_cbranch_execz .LBB216_633
; %bb.628:                              ;   in Loop: Header=BB216_15 Depth=1
	v_mov_b32_e32 v5, 0x7f800001
	v_and_b32_e32 v4, 0x7f, v0
	v_mov_b32_e32 v6, 0
	s_mov_b32 s20, exec_lo
	buffer_store_dword v5, off, s[0:3], s32 offset:836 ; 4-byte Folded Spill
	buffer_store_dword v6, off, s[0:3], s32 offset:840 ; 4-byte Folded Spill
	v_cmpx_ne_u32_e32 0x7f, v4
	s_cbranch_execz .LBB216_632
; %bb.629:                              ;   in Loop: Header=BB216_15 Depth=1
	v_and_b32_e32 v10, 7, v0
	v_lshrrev_b32_e32 v1, 3, v4
	s_mov_b32 s21, exec_lo
	v_cmpx_gt_u32_e32 8, v4
; %bb.630:                              ;   in Loop: Header=BB216_15 Depth=1
	v_ffbh_u32_e32 v1, v10
	v_min_u32_e32 v1, 32, v1
	v_subrev_nc_u32_e32 v4, 28, v1
	v_sub_nc_u32_e32 v1, 29, v1
	v_lshlrev_b64 v[4:5], v4, v[10:11]
	v_and_b32_e32 v10, 7, v4
; %bb.631:                              ;   in Loop: Header=BB216_15 Depth=1
	s_or_b32 exec_lo, exec_lo, s21
	v_lshlrev_b32_e32 v4, 24, v0
	v_lshlrev_b32_e32 v5, 20, v10
	v_lshl_add_u32 v1, v1, 23, 0x3c000000
	v_and_b32_e32 v4, 0x80000000, v4
	v_or3_b32 v10, v5, v4, v1
	buffer_store_dword v10, off, s[0:3], s32 offset:836 ; 4-byte Folded Spill
	buffer_store_dword v11, off, s[0:3], s32 offset:840 ; 4-byte Folded Spill
.LBB216_632:                            ;   in Loop: Header=BB216_15 Depth=1
	s_or_b32 exec_lo, exec_lo, s20
.LBB216_633:                            ;   in Loop: Header=BB216_15 Depth=1
	s_or_b32 exec_lo, exec_lo, s19
.LBB216_634:                            ;   in Loop: Header=BB216_15 Depth=1
	s_or_b32 exec_lo, exec_lo, s18
	v_cmp_ne_u16_sdwa s5, v0, v11 src0_sel:BYTE_1 src1_sel:DWORD
	s_and_saveexec_b32 s18, s5
	s_cbranch_execz .LBB216_642
; %bb.635:                              ;   in Loop: Header=BB216_15 Depth=1
	v_mov_b32_e32 v1, 0x80
	v_mov_b32_e32 v115, v11
	buffer_store_dword v115, off, s[0:3], s32 offset:844 ; 4-byte Folded Spill
	buffer_store_dword v116, off, s[0:3], s32 offset:848 ; 4-byte Folded Spill
	v_cmp_ne_u16_sdwa s5, v0, v1 src0_sel:BYTE_1 src1_sel:DWORD
	s_and_saveexec_b32 s19, s5
	s_cbranch_execz .LBB216_641
; %bb.636:                              ;   in Loop: Header=BB216_15 Depth=1
	s_clause 0x1
	buffer_load_dword v5, off, s[0:3], s32 offset:192
	buffer_load_dword v6, off, s[0:3], s32 offset:196
	v_mov_b32_e32 v1, 0xffff
	s_mov_b32 s20, exec_lo
	v_and_b32_sdwa v1, v1, v0 dst_sel:DWORD dst_unused:UNUSED_PAD src0_sel:DWORD src1_sel:BYTE_1
	v_and_b32_e32 v4, 0x7f, v1
	s_waitcnt vmcnt(0)
	v_mov_b32_e32 v7, v6
	v_mov_b32_e32 v6, v11
	;; [unrolled: 1-line block ×3, first 2 shown]
	buffer_store_dword v4, off, s[0:3], s32 offset:192 ; 4-byte Folded Spill
	buffer_store_dword v5, off, s[0:3], s32 offset:196 ; 4-byte Folded Spill
	;; [unrolled: 1-line block ×4, first 2 shown]
	v_cmpx_ne_u32_e32 0x7f, v4
	s_cbranch_execz .LBB216_640
; %bb.637:                              ;   in Loop: Header=BB216_15 Depth=1
	v_and_b32_e32 v10, 7, v1
	v_lshrrev_b32_e32 v1, 3, v4
	s_mov_b32 s21, exec_lo
	v_cmpx_gt_u32_e32 8, v4
; %bb.638:                              ;   in Loop: Header=BB216_15 Depth=1
	v_ffbh_u32_e32 v1, v10
	v_min_u32_e32 v1, 32, v1
	v_subrev_nc_u32_e32 v4, 28, v1
	v_sub_nc_u32_e32 v1, 29, v1
	v_lshlrev_b64 v[4:5], v4, v[10:11]
	v_and_b32_e32 v10, 7, v4
; %bb.639:                              ;   in Loop: Header=BB216_15 Depth=1
	s_or_b32 exec_lo, exec_lo, s21
	v_lshlrev_b32_e32 v4, 16, v0
	v_lshlrev_b32_e32 v5, 20, v10
	v_lshl_add_u32 v1, v1, 23, 0x3c000000
	v_and_b32_e32 v4, 0x80000000, v4
	v_or3_b32 v5, v5, v4, v1
	v_mov_b32_e32 v4, v11
	buffer_store_dword v4, off, s[0:3], s32 offset:844 ; 4-byte Folded Spill
	buffer_store_dword v5, off, s[0:3], s32 offset:848 ; 4-byte Folded Spill
.LBB216_640:                            ;   in Loop: Header=BB216_15 Depth=1
	s_or_b32 exec_lo, exec_lo, s20
.LBB216_641:                            ;   in Loop: Header=BB216_15 Depth=1
	s_or_b32 exec_lo, exec_lo, s19
.LBB216_642:                            ;   in Loop: Header=BB216_15 Depth=1
	s_or_b32 exec_lo, exec_lo, s18
	v_mov_b32_e32 v4, 0
	v_mov_b32_e32 v5, 0
	;; [unrolled: 1-line block ×3, first 2 shown]
	s_mov_b32 s18, exec_lo
	buffer_store_dword v4, off, s[0:3], s32 offset:852 ; 4-byte Folded Spill
	buffer_store_dword v5, off, s[0:3], s32 offset:856 ; 4-byte Folded Spill
	v_mov_b32_e32 v4, 0
	v_and_b32_sdwa v1, v0, v1 dst_sel:DWORD dst_unused:UNUSED_PAD src0_sel:WORD_1 src1_sel:DWORD
	v_mov_b32_e32 v5, 0
	buffer_store_dword v4, off, s[0:3], s32 offset:860 ; 4-byte Folded Spill
	buffer_store_dword v5, off, s[0:3], s32 offset:864 ; 4-byte Folded Spill
	v_cmpx_ne_u16_e32 0, v1
	s_cbranch_execz .LBB216_650
; %bb.643:                              ;   in Loop: Header=BB216_15 Depth=1
	v_bfrev_b32_e32 v4, 1
	v_mov_b32_e32 v5, 0
	s_mov_b32 s19, exec_lo
	buffer_store_dword v4, off, s[0:3], s32 offset:860 ; 4-byte Folded Spill
	buffer_store_dword v5, off, s[0:3], s32 offset:864 ; 4-byte Folded Spill
	v_cmpx_ne_u16_e32 0x80, v1
	s_cbranch_execz .LBB216_649
; %bb.644:                              ;   in Loop: Header=BB216_15 Depth=1
	v_mov_b32_e32 v5, 0x7f800001
	v_bfe_u32 v4, v0, 16, 7
	v_mov_b32_e32 v6, 0
	s_mov_b32 s20, exec_lo
	buffer_store_dword v5, off, s[0:3], s32 offset:860 ; 4-byte Folded Spill
	buffer_store_dword v6, off, s[0:3], s32 offset:864 ; 4-byte Folded Spill
	v_cmpx_ne_u32_e32 0x7f, v4
	s_cbranch_execz .LBB216_648
; %bb.645:                              ;   in Loop: Header=BB216_15 Depth=1
	v_mov_b32_e32 v1, 7
	s_mov_b32 s21, exec_lo
	v_and_b32_sdwa v10, v0, v1 dst_sel:DWORD dst_unused:UNUSED_PAD src0_sel:WORD_1 src1_sel:DWORD
	v_lshrrev_b32_e32 v1, 3, v4
	v_cmpx_gt_u32_e32 8, v4
; %bb.646:                              ;   in Loop: Header=BB216_15 Depth=1
	v_ffbh_u32_e32 v1, v10
	v_min_u32_e32 v1, 32, v1
	v_subrev_nc_u32_e32 v4, 28, v1
	v_sub_nc_u32_e32 v1, 29, v1
	v_lshlrev_b64 v[4:5], v4, v[10:11]
	v_and_b32_e32 v10, 7, v4
; %bb.647:                              ;   in Loop: Header=BB216_15 Depth=1
	s_or_b32 exec_lo, exec_lo, s21
	v_mov_b32_e32 v4, 24
	v_lshlrev_b32_e32 v5, 20, v10
	v_lshl_add_u32 v1, v1, 23, 0x3c000000
	v_lshlrev_b32_sdwa v4, v4, v0 dst_sel:DWORD dst_unused:UNUSED_PAD src0_sel:DWORD src1_sel:WORD_1
	v_and_b32_e32 v4, 0x80000000, v4
	v_or3_b32 v10, v5, v4, v1
	buffer_store_dword v10, off, s[0:3], s32 offset:860 ; 4-byte Folded Spill
	buffer_store_dword v11, off, s[0:3], s32 offset:864 ; 4-byte Folded Spill
.LBB216_648:                            ;   in Loop: Header=BB216_15 Depth=1
	s_or_b32 exec_lo, exec_lo, s20
.LBB216_649:                            ;   in Loop: Header=BB216_15 Depth=1
	s_or_b32 exec_lo, exec_lo, s19
.LBB216_650:                            ;   in Loop: Header=BB216_15 Depth=1
	s_or_b32 exec_lo, exec_lo, s18
	s_mov_b32 s18, exec_lo
	v_cmpx_lt_u32_e32 0xffffff, v0
	s_cbranch_execz .LBB216_658
; %bb.651:                              ;   in Loop: Header=BB216_15 Depth=1
	v_mov_b32_e32 v1, 0x80
	v_mov_b32_e32 v115, v11
	buffer_store_dword v115, off, s[0:3], s32 offset:852 ; 4-byte Folded Spill
	buffer_store_dword v116, off, s[0:3], s32 offset:856 ; 4-byte Folded Spill
	v_cmp_ne_u32_sdwa s5, v0, v1 src0_sel:BYTE_3 src1_sel:DWORD
	s_and_saveexec_b32 s19, s5
	s_cbranch_execz .LBB216_657
; %bb.652:                              ;   in Loop: Header=BB216_15 Depth=1
	s_clause 0x1
	buffer_load_dword v5, off, s[0:3], s32 offset:192
	buffer_load_dword v6, off, s[0:3], s32 offset:196
	v_bfe_u32 v4, v0, 24, 7
	s_waitcnt vmcnt(1)
	v_mov_b32_e32 v5, v11
	s_mov_b32 s20, exec_lo
	s_waitcnt vmcnt(0)
	v_mov_b32_e32 v1, v6
	buffer_store_dword v0, off, s[0:3], s32 offset:192 ; 4-byte Folded Spill
	buffer_store_dword v1, off, s[0:3], s32 offset:196 ; 4-byte Folded Spill
	;; [unrolled: 1-line block ×4, first 2 shown]
	v_cmpx_ne_u32_e32 0x7f, v4
	s_cbranch_execz .LBB216_656
; %bb.653:                              ;   in Loop: Header=BB216_15 Depth=1
	v_mov_b32_e32 v1, 7
	s_mov_b32 s21, exec_lo
	v_and_b32_sdwa v10, v0, v1 dst_sel:DWORD dst_unused:UNUSED_PAD src0_sel:BYTE_3 src1_sel:DWORD
	v_lshrrev_b32_e32 v1, 3, v4
	v_cmpx_gt_u32_e32 8, v4
; %bb.654:                              ;   in Loop: Header=BB216_15 Depth=1
	v_ffbh_u32_e32 v1, v10
	v_min_u32_e32 v1, 32, v1
	v_subrev_nc_u32_e32 v4, 28, v1
	v_sub_nc_u32_e32 v1, 29, v1
	v_lshlrev_b64 v[4:5], v4, v[10:11]
	v_and_b32_e32 v10, 7, v4
; %bb.655:                              ;   in Loop: Header=BB216_15 Depth=1
	s_or_b32 exec_lo, exec_lo, s21
	v_mov_b32_e32 v4, 24
	v_lshl_add_u32 v1, v1, 23, 0x3c000000
	v_lshlrev_b32_sdwa v0, v4, v0 dst_sel:DWORD dst_unused:UNUSED_PAD src0_sel:DWORD src1_sel:BYTE_3
	v_lshlrev_b32_e32 v4, 20, v10
	v_and_b32_e32 v0, 0x80000000, v0
	v_or3_b32 v1, v4, v0, v1
	v_mov_b32_e32 v0, v11
	buffer_store_dword v0, off, s[0:3], s32 offset:852 ; 4-byte Folded Spill
	buffer_store_dword v1, off, s[0:3], s32 offset:856 ; 4-byte Folded Spill
.LBB216_656:                            ;   in Loop: Header=BB216_15 Depth=1
	s_or_b32 exec_lo, exec_lo, s20
.LBB216_657:                            ;   in Loop: Header=BB216_15 Depth=1
	s_or_b32 exec_lo, exec_lo, s19
.LBB216_658:                            ;   in Loop: Header=BB216_15 Depth=1
	s_or_b32 exec_lo, exec_lo, s18
	flat_load_dword v0, v[2:3] offset:512
	v_mov_b32_e32 v4, 0
	v_mov_b32_e32 v5, 0
	buffer_store_dword v4, off, s[0:3], s32 offset:876 ; 4-byte Folded Spill
	buffer_store_dword v5, off, s[0:3], s32 offset:880 ; 4-byte Folded Spill
	v_mov_b32_e32 v4, 0
	v_mov_b32_e32 v5, 0
	buffer_store_dword v4, off, s[0:3], s32 offset:868 ; 4-byte Folded Spill
	buffer_store_dword v5, off, s[0:3], s32 offset:872 ; 4-byte Folded Spill
	s_waitcnt vmcnt(0) lgkmcnt(0)
	v_cmp_ne_u16_sdwa s5, v0, v11 src0_sel:BYTE_0 src1_sel:DWORD
	s_and_saveexec_b32 s18, s5
	s_cbranch_execz .LBB216_666
; %bb.659:                              ;   in Loop: Header=BB216_15 Depth=1
	v_mov_b32_e32 v1, 0x80
	v_bfrev_b32_e32 v4, 1
	v_mov_b32_e32 v5, 0
	buffer_store_dword v4, off, s[0:3], s32 offset:868 ; 4-byte Folded Spill
	buffer_store_dword v5, off, s[0:3], s32 offset:872 ; 4-byte Folded Spill
	v_cmp_ne_u16_sdwa s5, v0, v1 src0_sel:BYTE_0 src1_sel:DWORD
	s_and_saveexec_b32 s19, s5
	s_cbranch_execz .LBB216_665
; %bb.660:                              ;   in Loop: Header=BB216_15 Depth=1
	v_mov_b32_e32 v5, 0x7f800001
	v_and_b32_e32 v4, 0x7f, v0
	v_mov_b32_e32 v6, 0
	s_mov_b32 s20, exec_lo
	buffer_store_dword v5, off, s[0:3], s32 offset:868 ; 4-byte Folded Spill
	buffer_store_dword v6, off, s[0:3], s32 offset:872 ; 4-byte Folded Spill
	v_cmpx_ne_u32_e32 0x7f, v4
	s_cbranch_execz .LBB216_664
; %bb.661:                              ;   in Loop: Header=BB216_15 Depth=1
	v_and_b32_e32 v10, 7, v0
	v_lshrrev_b32_e32 v1, 3, v4
	s_mov_b32 s21, exec_lo
	v_cmpx_gt_u32_e32 8, v4
; %bb.662:                              ;   in Loop: Header=BB216_15 Depth=1
	v_ffbh_u32_e32 v1, v10
	v_min_u32_e32 v1, 32, v1
	v_subrev_nc_u32_e32 v4, 28, v1
	v_sub_nc_u32_e32 v1, 29, v1
	v_lshlrev_b64 v[4:5], v4, v[10:11]
	v_and_b32_e32 v10, 7, v4
; %bb.663:                              ;   in Loop: Header=BB216_15 Depth=1
	s_or_b32 exec_lo, exec_lo, s21
	v_lshlrev_b32_e32 v4, 24, v0
	v_lshlrev_b32_e32 v5, 20, v10
	v_lshl_add_u32 v1, v1, 23, 0x3c000000
	v_and_b32_e32 v4, 0x80000000, v4
	v_or3_b32 v10, v5, v4, v1
	buffer_store_dword v10, off, s[0:3], s32 offset:868 ; 4-byte Folded Spill
	buffer_store_dword v11, off, s[0:3], s32 offset:872 ; 4-byte Folded Spill
.LBB216_664:                            ;   in Loop: Header=BB216_15 Depth=1
	s_or_b32 exec_lo, exec_lo, s20
.LBB216_665:                            ;   in Loop: Header=BB216_15 Depth=1
	s_or_b32 exec_lo, exec_lo, s19
.LBB216_666:                            ;   in Loop: Header=BB216_15 Depth=1
	s_or_b32 exec_lo, exec_lo, s18
	v_cmp_ne_u16_sdwa s5, v0, v11 src0_sel:BYTE_1 src1_sel:DWORD
	s_and_saveexec_b32 s18, s5
	s_cbranch_execz .LBB216_674
; %bb.667:                              ;   in Loop: Header=BB216_15 Depth=1
	v_mov_b32_e32 v1, 0x80
	v_mov_b32_e32 v115, v11
	buffer_store_dword v115, off, s[0:3], s32 offset:876 ; 4-byte Folded Spill
	buffer_store_dword v116, off, s[0:3], s32 offset:880 ; 4-byte Folded Spill
	v_cmp_ne_u16_sdwa s5, v0, v1 src0_sel:BYTE_1 src1_sel:DWORD
	s_and_saveexec_b32 s19, s5
	s_cbranch_execz .LBB216_673
; %bb.668:                              ;   in Loop: Header=BB216_15 Depth=1
	s_clause 0x1
	buffer_load_dword v5, off, s[0:3], s32 offset:192
	buffer_load_dword v6, off, s[0:3], s32 offset:196
	v_mov_b32_e32 v1, 0xffff
	s_mov_b32 s20, exec_lo
	v_and_b32_sdwa v1, v1, v0 dst_sel:DWORD dst_unused:UNUSED_PAD src0_sel:DWORD src1_sel:BYTE_1
	v_and_b32_e32 v4, 0x7f, v1
	s_waitcnt vmcnt(0)
	v_mov_b32_e32 v7, v6
	v_mov_b32_e32 v6, v11
	;; [unrolled: 1-line block ×3, first 2 shown]
	buffer_store_dword v4, off, s[0:3], s32 offset:192 ; 4-byte Folded Spill
	buffer_store_dword v5, off, s[0:3], s32 offset:196 ; 4-byte Folded Spill
	;; [unrolled: 1-line block ×4, first 2 shown]
	v_cmpx_ne_u32_e32 0x7f, v4
	s_cbranch_execz .LBB216_672
; %bb.669:                              ;   in Loop: Header=BB216_15 Depth=1
	v_and_b32_e32 v10, 7, v1
	v_lshrrev_b32_e32 v1, 3, v4
	s_mov_b32 s21, exec_lo
	v_cmpx_gt_u32_e32 8, v4
; %bb.670:                              ;   in Loop: Header=BB216_15 Depth=1
	v_ffbh_u32_e32 v1, v10
	v_min_u32_e32 v1, 32, v1
	v_subrev_nc_u32_e32 v4, 28, v1
	v_sub_nc_u32_e32 v1, 29, v1
	v_lshlrev_b64 v[4:5], v4, v[10:11]
	v_and_b32_e32 v10, 7, v4
; %bb.671:                              ;   in Loop: Header=BB216_15 Depth=1
	s_or_b32 exec_lo, exec_lo, s21
	v_lshlrev_b32_e32 v4, 16, v0
	v_lshlrev_b32_e32 v5, 20, v10
	v_lshl_add_u32 v1, v1, 23, 0x3c000000
	v_and_b32_e32 v4, 0x80000000, v4
	v_or3_b32 v5, v5, v4, v1
	v_mov_b32_e32 v4, v11
	buffer_store_dword v4, off, s[0:3], s32 offset:876 ; 4-byte Folded Spill
	buffer_store_dword v5, off, s[0:3], s32 offset:880 ; 4-byte Folded Spill
.LBB216_672:                            ;   in Loop: Header=BB216_15 Depth=1
	s_or_b32 exec_lo, exec_lo, s20
.LBB216_673:                            ;   in Loop: Header=BB216_15 Depth=1
	s_or_b32 exec_lo, exec_lo, s19
.LBB216_674:                            ;   in Loop: Header=BB216_15 Depth=1
	s_or_b32 exec_lo, exec_lo, s18
	v_mov_b32_e32 v4, 0
	v_mov_b32_e32 v5, 0
	;; [unrolled: 1-line block ×3, first 2 shown]
	s_mov_b32 s18, exec_lo
	buffer_store_dword v4, off, s[0:3], s32 offset:884 ; 4-byte Folded Spill
	buffer_store_dword v5, off, s[0:3], s32 offset:888 ; 4-byte Folded Spill
	v_mov_b32_e32 v4, 0
	v_and_b32_sdwa v1, v0, v1 dst_sel:DWORD dst_unused:UNUSED_PAD src0_sel:WORD_1 src1_sel:DWORD
	v_mov_b32_e32 v5, 0
	buffer_store_dword v4, off, s[0:3], s32 offset:892 ; 4-byte Folded Spill
	buffer_store_dword v5, off, s[0:3], s32 offset:896 ; 4-byte Folded Spill
	v_cmpx_ne_u16_e32 0, v1
	s_cbranch_execz .LBB216_682
; %bb.675:                              ;   in Loop: Header=BB216_15 Depth=1
	v_bfrev_b32_e32 v4, 1
	v_mov_b32_e32 v5, 0
	s_mov_b32 s19, exec_lo
	buffer_store_dword v4, off, s[0:3], s32 offset:892 ; 4-byte Folded Spill
	buffer_store_dword v5, off, s[0:3], s32 offset:896 ; 4-byte Folded Spill
	v_cmpx_ne_u16_e32 0x80, v1
	s_cbranch_execz .LBB216_681
; %bb.676:                              ;   in Loop: Header=BB216_15 Depth=1
	v_mov_b32_e32 v5, 0x7f800001
	v_bfe_u32 v4, v0, 16, 7
	v_mov_b32_e32 v6, 0
	s_mov_b32 s20, exec_lo
	buffer_store_dword v5, off, s[0:3], s32 offset:892 ; 4-byte Folded Spill
	buffer_store_dword v6, off, s[0:3], s32 offset:896 ; 4-byte Folded Spill
	v_cmpx_ne_u32_e32 0x7f, v4
	s_cbranch_execz .LBB216_680
; %bb.677:                              ;   in Loop: Header=BB216_15 Depth=1
	v_mov_b32_e32 v1, 7
	s_mov_b32 s21, exec_lo
	v_and_b32_sdwa v10, v0, v1 dst_sel:DWORD dst_unused:UNUSED_PAD src0_sel:WORD_1 src1_sel:DWORD
	v_lshrrev_b32_e32 v1, 3, v4
	v_cmpx_gt_u32_e32 8, v4
; %bb.678:                              ;   in Loop: Header=BB216_15 Depth=1
	v_ffbh_u32_e32 v1, v10
	v_min_u32_e32 v1, 32, v1
	v_subrev_nc_u32_e32 v4, 28, v1
	v_sub_nc_u32_e32 v1, 29, v1
	v_lshlrev_b64 v[4:5], v4, v[10:11]
	v_and_b32_e32 v10, 7, v4
; %bb.679:                              ;   in Loop: Header=BB216_15 Depth=1
	s_or_b32 exec_lo, exec_lo, s21
	v_mov_b32_e32 v4, 24
	v_lshlrev_b32_e32 v5, 20, v10
	v_lshl_add_u32 v1, v1, 23, 0x3c000000
	v_lshlrev_b32_sdwa v4, v4, v0 dst_sel:DWORD dst_unused:UNUSED_PAD src0_sel:DWORD src1_sel:WORD_1
	v_and_b32_e32 v4, 0x80000000, v4
	v_or3_b32 v10, v5, v4, v1
	buffer_store_dword v10, off, s[0:3], s32 offset:892 ; 4-byte Folded Spill
	buffer_store_dword v11, off, s[0:3], s32 offset:896 ; 4-byte Folded Spill
.LBB216_680:                            ;   in Loop: Header=BB216_15 Depth=1
	s_or_b32 exec_lo, exec_lo, s20
.LBB216_681:                            ;   in Loop: Header=BB216_15 Depth=1
	s_or_b32 exec_lo, exec_lo, s19
.LBB216_682:                            ;   in Loop: Header=BB216_15 Depth=1
	s_or_b32 exec_lo, exec_lo, s18
	s_mov_b32 s18, exec_lo
	v_cmpx_lt_u32_e32 0xffffff, v0
	s_cbranch_execz .LBB216_690
; %bb.683:                              ;   in Loop: Header=BB216_15 Depth=1
	v_mov_b32_e32 v1, 0x80
	v_mov_b32_e32 v115, v11
	buffer_store_dword v115, off, s[0:3], s32 offset:884 ; 4-byte Folded Spill
	buffer_store_dword v116, off, s[0:3], s32 offset:888 ; 4-byte Folded Spill
	v_cmp_ne_u32_sdwa s5, v0, v1 src0_sel:BYTE_3 src1_sel:DWORD
	s_and_saveexec_b32 s19, s5
	s_cbranch_execz .LBB216_689
; %bb.684:                              ;   in Loop: Header=BB216_15 Depth=1
	s_clause 0x1
	buffer_load_dword v5, off, s[0:3], s32 offset:192
	buffer_load_dword v6, off, s[0:3], s32 offset:196
	v_bfe_u32 v4, v0, 24, 7
	s_waitcnt vmcnt(1)
	v_mov_b32_e32 v5, v11
	s_mov_b32 s20, exec_lo
	s_waitcnt vmcnt(0)
	v_mov_b32_e32 v1, v6
	buffer_store_dword v0, off, s[0:3], s32 offset:192 ; 4-byte Folded Spill
	buffer_store_dword v1, off, s[0:3], s32 offset:196 ; 4-byte Folded Spill
	;; [unrolled: 1-line block ×4, first 2 shown]
	v_cmpx_ne_u32_e32 0x7f, v4
	s_cbranch_execz .LBB216_688
; %bb.685:                              ;   in Loop: Header=BB216_15 Depth=1
	v_mov_b32_e32 v1, 7
	s_mov_b32 s21, exec_lo
	v_and_b32_sdwa v10, v0, v1 dst_sel:DWORD dst_unused:UNUSED_PAD src0_sel:BYTE_3 src1_sel:DWORD
	v_lshrrev_b32_e32 v1, 3, v4
	v_cmpx_gt_u32_e32 8, v4
; %bb.686:                              ;   in Loop: Header=BB216_15 Depth=1
	v_ffbh_u32_e32 v1, v10
	v_min_u32_e32 v1, 32, v1
	v_subrev_nc_u32_e32 v4, 28, v1
	v_sub_nc_u32_e32 v1, 29, v1
	v_lshlrev_b64 v[4:5], v4, v[10:11]
	v_and_b32_e32 v10, 7, v4
; %bb.687:                              ;   in Loop: Header=BB216_15 Depth=1
	s_or_b32 exec_lo, exec_lo, s21
	v_mov_b32_e32 v4, 24
	v_lshl_add_u32 v1, v1, 23, 0x3c000000
	v_lshlrev_b32_sdwa v0, v4, v0 dst_sel:DWORD dst_unused:UNUSED_PAD src0_sel:DWORD src1_sel:BYTE_3
	v_lshlrev_b32_e32 v4, 20, v10
	v_and_b32_e32 v0, 0x80000000, v0
	v_or3_b32 v1, v4, v0, v1
	v_mov_b32_e32 v0, v11
	buffer_store_dword v0, off, s[0:3], s32 offset:884 ; 4-byte Folded Spill
	buffer_store_dword v1, off, s[0:3], s32 offset:888 ; 4-byte Folded Spill
.LBB216_688:                            ;   in Loop: Header=BB216_15 Depth=1
	s_or_b32 exec_lo, exec_lo, s20
.LBB216_689:                            ;   in Loop: Header=BB216_15 Depth=1
	s_or_b32 exec_lo, exec_lo, s19
.LBB216_690:                            ;   in Loop: Header=BB216_15 Depth=1
	s_or_b32 exec_lo, exec_lo, s18
	flat_load_dword v0, v[2:3] offset:516
	v_mov_b32_e32 v4, 0
	v_mov_b32_e32 v5, 0
	buffer_store_dword v4, off, s[0:3], s32 offset:908 ; 4-byte Folded Spill
	buffer_store_dword v5, off, s[0:3], s32 offset:912 ; 4-byte Folded Spill
	v_mov_b32_e32 v4, 0
	v_mov_b32_e32 v5, 0
	buffer_store_dword v4, off, s[0:3], s32 offset:900 ; 4-byte Folded Spill
	buffer_store_dword v5, off, s[0:3], s32 offset:904 ; 4-byte Folded Spill
	s_waitcnt vmcnt(0) lgkmcnt(0)
	v_cmp_ne_u16_sdwa s5, v0, v11 src0_sel:BYTE_0 src1_sel:DWORD
	s_and_saveexec_b32 s18, s5
	s_cbranch_execz .LBB216_698
; %bb.691:                              ;   in Loop: Header=BB216_15 Depth=1
	v_mov_b32_e32 v1, 0x80
	v_bfrev_b32_e32 v4, 1
	v_mov_b32_e32 v5, 0
	buffer_store_dword v4, off, s[0:3], s32 offset:900 ; 4-byte Folded Spill
	buffer_store_dword v5, off, s[0:3], s32 offset:904 ; 4-byte Folded Spill
	v_cmp_ne_u16_sdwa s5, v0, v1 src0_sel:BYTE_0 src1_sel:DWORD
	s_and_saveexec_b32 s19, s5
	s_cbranch_execz .LBB216_697
; %bb.692:                              ;   in Loop: Header=BB216_15 Depth=1
	v_mov_b32_e32 v5, 0x7f800001
	v_and_b32_e32 v4, 0x7f, v0
	v_mov_b32_e32 v6, 0
	s_mov_b32 s20, exec_lo
	buffer_store_dword v5, off, s[0:3], s32 offset:900 ; 4-byte Folded Spill
	buffer_store_dword v6, off, s[0:3], s32 offset:904 ; 4-byte Folded Spill
	v_cmpx_ne_u32_e32 0x7f, v4
	s_cbranch_execz .LBB216_696
; %bb.693:                              ;   in Loop: Header=BB216_15 Depth=1
	v_and_b32_e32 v10, 7, v0
	v_lshrrev_b32_e32 v1, 3, v4
	s_mov_b32 s21, exec_lo
	v_cmpx_gt_u32_e32 8, v4
; %bb.694:                              ;   in Loop: Header=BB216_15 Depth=1
	v_ffbh_u32_e32 v1, v10
	v_min_u32_e32 v1, 32, v1
	v_subrev_nc_u32_e32 v4, 28, v1
	v_sub_nc_u32_e32 v1, 29, v1
	v_lshlrev_b64 v[4:5], v4, v[10:11]
	v_and_b32_e32 v10, 7, v4
; %bb.695:                              ;   in Loop: Header=BB216_15 Depth=1
	s_or_b32 exec_lo, exec_lo, s21
	v_lshlrev_b32_e32 v4, 24, v0
	v_lshlrev_b32_e32 v5, 20, v10
	v_lshl_add_u32 v1, v1, 23, 0x3c000000
	v_and_b32_e32 v4, 0x80000000, v4
	v_or3_b32 v10, v5, v4, v1
	buffer_store_dword v10, off, s[0:3], s32 offset:900 ; 4-byte Folded Spill
	buffer_store_dword v11, off, s[0:3], s32 offset:904 ; 4-byte Folded Spill
.LBB216_696:                            ;   in Loop: Header=BB216_15 Depth=1
	s_or_b32 exec_lo, exec_lo, s20
.LBB216_697:                            ;   in Loop: Header=BB216_15 Depth=1
	s_or_b32 exec_lo, exec_lo, s19
.LBB216_698:                            ;   in Loop: Header=BB216_15 Depth=1
	s_or_b32 exec_lo, exec_lo, s18
	v_cmp_ne_u16_sdwa s5, v0, v11 src0_sel:BYTE_1 src1_sel:DWORD
	s_and_saveexec_b32 s18, s5
	s_cbranch_execz .LBB216_706
; %bb.699:                              ;   in Loop: Header=BB216_15 Depth=1
	v_mov_b32_e32 v1, 0x80
	v_mov_b32_e32 v115, v11
	buffer_store_dword v115, off, s[0:3], s32 offset:908 ; 4-byte Folded Spill
	buffer_store_dword v116, off, s[0:3], s32 offset:912 ; 4-byte Folded Spill
	v_cmp_ne_u16_sdwa s5, v0, v1 src0_sel:BYTE_1 src1_sel:DWORD
	s_and_saveexec_b32 s19, s5
	s_cbranch_execz .LBB216_705
; %bb.700:                              ;   in Loop: Header=BB216_15 Depth=1
	s_clause 0x1
	buffer_load_dword v5, off, s[0:3], s32 offset:192
	buffer_load_dword v6, off, s[0:3], s32 offset:196
	v_mov_b32_e32 v1, 0xffff
	s_mov_b32 s20, exec_lo
	v_and_b32_sdwa v1, v1, v0 dst_sel:DWORD dst_unused:UNUSED_PAD src0_sel:DWORD src1_sel:BYTE_1
	v_and_b32_e32 v4, 0x7f, v1
	s_waitcnt vmcnt(0)
	v_mov_b32_e32 v7, v6
	v_mov_b32_e32 v6, v11
	;; [unrolled: 1-line block ×3, first 2 shown]
	buffer_store_dword v4, off, s[0:3], s32 offset:192 ; 4-byte Folded Spill
	buffer_store_dword v5, off, s[0:3], s32 offset:196 ; 4-byte Folded Spill
	;; [unrolled: 1-line block ×4, first 2 shown]
	v_cmpx_ne_u32_e32 0x7f, v4
	s_cbranch_execz .LBB216_704
; %bb.701:                              ;   in Loop: Header=BB216_15 Depth=1
	v_and_b32_e32 v10, 7, v1
	v_lshrrev_b32_e32 v1, 3, v4
	s_mov_b32 s21, exec_lo
	v_cmpx_gt_u32_e32 8, v4
; %bb.702:                              ;   in Loop: Header=BB216_15 Depth=1
	v_ffbh_u32_e32 v1, v10
	v_min_u32_e32 v1, 32, v1
	v_subrev_nc_u32_e32 v4, 28, v1
	v_sub_nc_u32_e32 v1, 29, v1
	v_lshlrev_b64 v[4:5], v4, v[10:11]
	v_and_b32_e32 v10, 7, v4
; %bb.703:                              ;   in Loop: Header=BB216_15 Depth=1
	s_or_b32 exec_lo, exec_lo, s21
	v_lshlrev_b32_e32 v4, 16, v0
	v_lshlrev_b32_e32 v5, 20, v10
	v_lshl_add_u32 v1, v1, 23, 0x3c000000
	v_and_b32_e32 v4, 0x80000000, v4
	v_or3_b32 v5, v5, v4, v1
	v_mov_b32_e32 v4, v11
	buffer_store_dword v4, off, s[0:3], s32 offset:908 ; 4-byte Folded Spill
	buffer_store_dword v5, off, s[0:3], s32 offset:912 ; 4-byte Folded Spill
.LBB216_704:                            ;   in Loop: Header=BB216_15 Depth=1
	s_or_b32 exec_lo, exec_lo, s20
.LBB216_705:                            ;   in Loop: Header=BB216_15 Depth=1
	s_or_b32 exec_lo, exec_lo, s19
.LBB216_706:                            ;   in Loop: Header=BB216_15 Depth=1
	s_or_b32 exec_lo, exec_lo, s18
	v_mov_b32_e32 v4, 0
	v_mov_b32_e32 v5, 0
	;; [unrolled: 1-line block ×3, first 2 shown]
	s_mov_b32 s18, exec_lo
	buffer_store_dword v4, off, s[0:3], s32 offset:916 ; 4-byte Folded Spill
	buffer_store_dword v5, off, s[0:3], s32 offset:920 ; 4-byte Folded Spill
	v_mov_b32_e32 v4, 0
	v_and_b32_sdwa v1, v0, v1 dst_sel:DWORD dst_unused:UNUSED_PAD src0_sel:WORD_1 src1_sel:DWORD
	v_mov_b32_e32 v5, 0
	buffer_store_dword v4, off, s[0:3], s32 offset:924 ; 4-byte Folded Spill
	buffer_store_dword v5, off, s[0:3], s32 offset:928 ; 4-byte Folded Spill
	v_cmpx_ne_u16_e32 0, v1
	s_cbranch_execz .LBB216_714
; %bb.707:                              ;   in Loop: Header=BB216_15 Depth=1
	v_bfrev_b32_e32 v4, 1
	v_mov_b32_e32 v5, 0
	s_mov_b32 s19, exec_lo
	buffer_store_dword v4, off, s[0:3], s32 offset:924 ; 4-byte Folded Spill
	buffer_store_dword v5, off, s[0:3], s32 offset:928 ; 4-byte Folded Spill
	v_cmpx_ne_u16_e32 0x80, v1
	s_cbranch_execz .LBB216_713
; %bb.708:                              ;   in Loop: Header=BB216_15 Depth=1
	v_mov_b32_e32 v5, 0x7f800001
	v_bfe_u32 v4, v0, 16, 7
	v_mov_b32_e32 v6, 0
	s_mov_b32 s20, exec_lo
	buffer_store_dword v5, off, s[0:3], s32 offset:924 ; 4-byte Folded Spill
	buffer_store_dword v6, off, s[0:3], s32 offset:928 ; 4-byte Folded Spill
	v_cmpx_ne_u32_e32 0x7f, v4
	s_cbranch_execz .LBB216_712
; %bb.709:                              ;   in Loop: Header=BB216_15 Depth=1
	v_mov_b32_e32 v1, 7
	s_mov_b32 s21, exec_lo
	v_and_b32_sdwa v10, v0, v1 dst_sel:DWORD dst_unused:UNUSED_PAD src0_sel:WORD_1 src1_sel:DWORD
	v_lshrrev_b32_e32 v1, 3, v4
	v_cmpx_gt_u32_e32 8, v4
; %bb.710:                              ;   in Loop: Header=BB216_15 Depth=1
	v_ffbh_u32_e32 v1, v10
	v_min_u32_e32 v1, 32, v1
	v_subrev_nc_u32_e32 v4, 28, v1
	v_sub_nc_u32_e32 v1, 29, v1
	v_lshlrev_b64 v[4:5], v4, v[10:11]
	v_and_b32_e32 v10, 7, v4
; %bb.711:                              ;   in Loop: Header=BB216_15 Depth=1
	s_or_b32 exec_lo, exec_lo, s21
	v_mov_b32_e32 v4, 24
	v_lshlrev_b32_e32 v5, 20, v10
	v_lshl_add_u32 v1, v1, 23, 0x3c000000
	v_lshlrev_b32_sdwa v4, v4, v0 dst_sel:DWORD dst_unused:UNUSED_PAD src0_sel:DWORD src1_sel:WORD_1
	v_and_b32_e32 v4, 0x80000000, v4
	v_or3_b32 v10, v5, v4, v1
	buffer_store_dword v10, off, s[0:3], s32 offset:924 ; 4-byte Folded Spill
	buffer_store_dword v11, off, s[0:3], s32 offset:928 ; 4-byte Folded Spill
.LBB216_712:                            ;   in Loop: Header=BB216_15 Depth=1
	s_or_b32 exec_lo, exec_lo, s20
.LBB216_713:                            ;   in Loop: Header=BB216_15 Depth=1
	s_or_b32 exec_lo, exec_lo, s19
.LBB216_714:                            ;   in Loop: Header=BB216_15 Depth=1
	s_or_b32 exec_lo, exec_lo, s18
	s_mov_b32 s18, exec_lo
	v_cmpx_lt_u32_e32 0xffffff, v0
	s_cbranch_execz .LBB216_722
; %bb.715:                              ;   in Loop: Header=BB216_15 Depth=1
	v_mov_b32_e32 v1, 0x80
	v_mov_b32_e32 v115, v11
	buffer_store_dword v115, off, s[0:3], s32 offset:916 ; 4-byte Folded Spill
	buffer_store_dword v116, off, s[0:3], s32 offset:920 ; 4-byte Folded Spill
	v_cmp_ne_u32_sdwa s5, v0, v1 src0_sel:BYTE_3 src1_sel:DWORD
	s_and_saveexec_b32 s19, s5
	s_cbranch_execz .LBB216_721
; %bb.716:                              ;   in Loop: Header=BB216_15 Depth=1
	s_clause 0x1
	buffer_load_dword v5, off, s[0:3], s32 offset:192
	buffer_load_dword v6, off, s[0:3], s32 offset:196
	v_bfe_u32 v4, v0, 24, 7
	s_waitcnt vmcnt(1)
	v_mov_b32_e32 v5, v11
	s_mov_b32 s20, exec_lo
	s_waitcnt vmcnt(0)
	v_mov_b32_e32 v1, v6
	buffer_store_dword v0, off, s[0:3], s32 offset:192 ; 4-byte Folded Spill
	buffer_store_dword v1, off, s[0:3], s32 offset:196 ; 4-byte Folded Spill
	;; [unrolled: 1-line block ×4, first 2 shown]
	v_cmpx_ne_u32_e32 0x7f, v4
	s_cbranch_execz .LBB216_720
; %bb.717:                              ;   in Loop: Header=BB216_15 Depth=1
	v_mov_b32_e32 v1, 7
	s_mov_b32 s21, exec_lo
	v_and_b32_sdwa v10, v0, v1 dst_sel:DWORD dst_unused:UNUSED_PAD src0_sel:BYTE_3 src1_sel:DWORD
	v_lshrrev_b32_e32 v1, 3, v4
	v_cmpx_gt_u32_e32 8, v4
; %bb.718:                              ;   in Loop: Header=BB216_15 Depth=1
	v_ffbh_u32_e32 v1, v10
	v_min_u32_e32 v1, 32, v1
	v_subrev_nc_u32_e32 v4, 28, v1
	v_sub_nc_u32_e32 v1, 29, v1
	v_lshlrev_b64 v[4:5], v4, v[10:11]
	v_and_b32_e32 v10, 7, v4
; %bb.719:                              ;   in Loop: Header=BB216_15 Depth=1
	s_or_b32 exec_lo, exec_lo, s21
	v_mov_b32_e32 v4, 24
	v_lshl_add_u32 v1, v1, 23, 0x3c000000
	v_lshlrev_b32_sdwa v0, v4, v0 dst_sel:DWORD dst_unused:UNUSED_PAD src0_sel:DWORD src1_sel:BYTE_3
	v_lshlrev_b32_e32 v4, 20, v10
	v_and_b32_e32 v0, 0x80000000, v0
	v_or3_b32 v1, v4, v0, v1
	v_mov_b32_e32 v0, v11
	buffer_store_dword v0, off, s[0:3], s32 offset:916 ; 4-byte Folded Spill
	buffer_store_dword v1, off, s[0:3], s32 offset:920 ; 4-byte Folded Spill
.LBB216_720:                            ;   in Loop: Header=BB216_15 Depth=1
	s_or_b32 exec_lo, exec_lo, s20
.LBB216_721:                            ;   in Loop: Header=BB216_15 Depth=1
	s_or_b32 exec_lo, exec_lo, s19
.LBB216_722:                            ;   in Loop: Header=BB216_15 Depth=1
	s_or_b32 exec_lo, exec_lo, s18
	flat_load_dword v0, v[2:3] offset:520
	v_mov_b32_e32 v4, 0
	v_mov_b32_e32 v5, 0
	buffer_store_dword v4, off, s[0:3], s32 offset:940 ; 4-byte Folded Spill
	buffer_store_dword v5, off, s[0:3], s32 offset:944 ; 4-byte Folded Spill
	v_mov_b32_e32 v4, 0
	v_mov_b32_e32 v5, 0
	buffer_store_dword v4, off, s[0:3], s32 offset:932 ; 4-byte Folded Spill
	buffer_store_dword v5, off, s[0:3], s32 offset:936 ; 4-byte Folded Spill
	s_waitcnt vmcnt(0) lgkmcnt(0)
	v_cmp_ne_u16_sdwa s5, v0, v11 src0_sel:BYTE_0 src1_sel:DWORD
	s_and_saveexec_b32 s18, s5
	s_cbranch_execz .LBB216_730
; %bb.723:                              ;   in Loop: Header=BB216_15 Depth=1
	v_mov_b32_e32 v1, 0x80
	v_bfrev_b32_e32 v4, 1
	v_mov_b32_e32 v5, 0
	buffer_store_dword v4, off, s[0:3], s32 offset:932 ; 4-byte Folded Spill
	buffer_store_dword v5, off, s[0:3], s32 offset:936 ; 4-byte Folded Spill
	v_cmp_ne_u16_sdwa s5, v0, v1 src0_sel:BYTE_0 src1_sel:DWORD
	s_and_saveexec_b32 s19, s5
	s_cbranch_execz .LBB216_729
; %bb.724:                              ;   in Loop: Header=BB216_15 Depth=1
	v_mov_b32_e32 v5, 0x7f800001
	v_and_b32_e32 v4, 0x7f, v0
	v_mov_b32_e32 v6, 0
	s_mov_b32 s20, exec_lo
	buffer_store_dword v5, off, s[0:3], s32 offset:932 ; 4-byte Folded Spill
	buffer_store_dword v6, off, s[0:3], s32 offset:936 ; 4-byte Folded Spill
	v_cmpx_ne_u32_e32 0x7f, v4
	s_cbranch_execz .LBB216_728
; %bb.725:                              ;   in Loop: Header=BB216_15 Depth=1
	v_and_b32_e32 v10, 7, v0
	v_lshrrev_b32_e32 v1, 3, v4
	s_mov_b32 s21, exec_lo
	v_cmpx_gt_u32_e32 8, v4
; %bb.726:                              ;   in Loop: Header=BB216_15 Depth=1
	v_ffbh_u32_e32 v1, v10
	v_min_u32_e32 v1, 32, v1
	v_subrev_nc_u32_e32 v4, 28, v1
	v_sub_nc_u32_e32 v1, 29, v1
	v_lshlrev_b64 v[4:5], v4, v[10:11]
	v_and_b32_e32 v10, 7, v4
; %bb.727:                              ;   in Loop: Header=BB216_15 Depth=1
	s_or_b32 exec_lo, exec_lo, s21
	v_lshlrev_b32_e32 v4, 24, v0
	v_lshlrev_b32_e32 v5, 20, v10
	v_lshl_add_u32 v1, v1, 23, 0x3c000000
	v_and_b32_e32 v4, 0x80000000, v4
	v_or3_b32 v10, v5, v4, v1
	buffer_store_dword v10, off, s[0:3], s32 offset:932 ; 4-byte Folded Spill
	buffer_store_dword v11, off, s[0:3], s32 offset:936 ; 4-byte Folded Spill
.LBB216_728:                            ;   in Loop: Header=BB216_15 Depth=1
	s_or_b32 exec_lo, exec_lo, s20
.LBB216_729:                            ;   in Loop: Header=BB216_15 Depth=1
	s_or_b32 exec_lo, exec_lo, s19
.LBB216_730:                            ;   in Loop: Header=BB216_15 Depth=1
	s_or_b32 exec_lo, exec_lo, s18
	v_cmp_ne_u16_sdwa s5, v0, v11 src0_sel:BYTE_1 src1_sel:DWORD
	s_and_saveexec_b32 s18, s5
	s_cbranch_execz .LBB216_738
; %bb.731:                              ;   in Loop: Header=BB216_15 Depth=1
	v_mov_b32_e32 v1, 0x80
	v_mov_b32_e32 v115, v11
	buffer_store_dword v115, off, s[0:3], s32 offset:940 ; 4-byte Folded Spill
	buffer_store_dword v116, off, s[0:3], s32 offset:944 ; 4-byte Folded Spill
	v_cmp_ne_u16_sdwa s5, v0, v1 src0_sel:BYTE_1 src1_sel:DWORD
	s_and_saveexec_b32 s19, s5
	s_cbranch_execz .LBB216_737
; %bb.732:                              ;   in Loop: Header=BB216_15 Depth=1
	s_clause 0x1
	buffer_load_dword v5, off, s[0:3], s32 offset:192
	buffer_load_dword v6, off, s[0:3], s32 offset:196
	v_mov_b32_e32 v1, 0xffff
	s_mov_b32 s20, exec_lo
	v_and_b32_sdwa v1, v1, v0 dst_sel:DWORD dst_unused:UNUSED_PAD src0_sel:DWORD src1_sel:BYTE_1
	v_and_b32_e32 v4, 0x7f, v1
	s_waitcnt vmcnt(0)
	v_mov_b32_e32 v7, v6
	v_mov_b32_e32 v6, v11
	;; [unrolled: 1-line block ×3, first 2 shown]
	buffer_store_dword v4, off, s[0:3], s32 offset:192 ; 4-byte Folded Spill
	buffer_store_dword v5, off, s[0:3], s32 offset:196 ; 4-byte Folded Spill
	;; [unrolled: 1-line block ×4, first 2 shown]
	v_cmpx_ne_u32_e32 0x7f, v4
	s_cbranch_execz .LBB216_736
; %bb.733:                              ;   in Loop: Header=BB216_15 Depth=1
	v_and_b32_e32 v10, 7, v1
	v_lshrrev_b32_e32 v1, 3, v4
	s_mov_b32 s21, exec_lo
	v_cmpx_gt_u32_e32 8, v4
; %bb.734:                              ;   in Loop: Header=BB216_15 Depth=1
	v_ffbh_u32_e32 v1, v10
	v_min_u32_e32 v1, 32, v1
	v_subrev_nc_u32_e32 v4, 28, v1
	v_sub_nc_u32_e32 v1, 29, v1
	v_lshlrev_b64 v[4:5], v4, v[10:11]
	v_and_b32_e32 v10, 7, v4
; %bb.735:                              ;   in Loop: Header=BB216_15 Depth=1
	s_or_b32 exec_lo, exec_lo, s21
	v_lshlrev_b32_e32 v4, 16, v0
	v_lshlrev_b32_e32 v5, 20, v10
	v_lshl_add_u32 v1, v1, 23, 0x3c000000
	v_and_b32_e32 v4, 0x80000000, v4
	v_or3_b32 v5, v5, v4, v1
	v_mov_b32_e32 v4, v11
	buffer_store_dword v4, off, s[0:3], s32 offset:940 ; 4-byte Folded Spill
	buffer_store_dword v5, off, s[0:3], s32 offset:944 ; 4-byte Folded Spill
.LBB216_736:                            ;   in Loop: Header=BB216_15 Depth=1
	s_or_b32 exec_lo, exec_lo, s20
.LBB216_737:                            ;   in Loop: Header=BB216_15 Depth=1
	s_or_b32 exec_lo, exec_lo, s19
.LBB216_738:                            ;   in Loop: Header=BB216_15 Depth=1
	s_or_b32 exec_lo, exec_lo, s18
	v_mov_b32_e32 v4, 0
	v_mov_b32_e32 v5, 0
	;; [unrolled: 1-line block ×3, first 2 shown]
	s_mov_b32 s18, exec_lo
	buffer_store_dword v4, off, s[0:3], s32 offset:948 ; 4-byte Folded Spill
	buffer_store_dword v5, off, s[0:3], s32 offset:952 ; 4-byte Folded Spill
	v_mov_b32_e32 v4, 0
	v_and_b32_sdwa v1, v0, v1 dst_sel:DWORD dst_unused:UNUSED_PAD src0_sel:WORD_1 src1_sel:DWORD
	v_mov_b32_e32 v5, 0
	buffer_store_dword v4, off, s[0:3], s32 offset:956 ; 4-byte Folded Spill
	buffer_store_dword v5, off, s[0:3], s32 offset:960 ; 4-byte Folded Spill
	v_cmpx_ne_u16_e32 0, v1
	s_cbranch_execz .LBB216_746
; %bb.739:                              ;   in Loop: Header=BB216_15 Depth=1
	v_bfrev_b32_e32 v4, 1
	v_mov_b32_e32 v5, 0
	s_mov_b32 s19, exec_lo
	buffer_store_dword v4, off, s[0:3], s32 offset:956 ; 4-byte Folded Spill
	buffer_store_dword v5, off, s[0:3], s32 offset:960 ; 4-byte Folded Spill
	v_cmpx_ne_u16_e32 0x80, v1
	s_cbranch_execz .LBB216_745
; %bb.740:                              ;   in Loop: Header=BB216_15 Depth=1
	v_mov_b32_e32 v5, 0x7f800001
	v_bfe_u32 v4, v0, 16, 7
	v_mov_b32_e32 v6, 0
	s_mov_b32 s20, exec_lo
	buffer_store_dword v5, off, s[0:3], s32 offset:956 ; 4-byte Folded Spill
	buffer_store_dword v6, off, s[0:3], s32 offset:960 ; 4-byte Folded Spill
	v_cmpx_ne_u32_e32 0x7f, v4
	s_cbranch_execz .LBB216_744
; %bb.741:                              ;   in Loop: Header=BB216_15 Depth=1
	v_mov_b32_e32 v1, 7
	s_mov_b32 s21, exec_lo
	v_and_b32_sdwa v10, v0, v1 dst_sel:DWORD dst_unused:UNUSED_PAD src0_sel:WORD_1 src1_sel:DWORD
	v_lshrrev_b32_e32 v1, 3, v4
	v_cmpx_gt_u32_e32 8, v4
; %bb.742:                              ;   in Loop: Header=BB216_15 Depth=1
	v_ffbh_u32_e32 v1, v10
	v_min_u32_e32 v1, 32, v1
	v_subrev_nc_u32_e32 v4, 28, v1
	v_sub_nc_u32_e32 v1, 29, v1
	v_lshlrev_b64 v[4:5], v4, v[10:11]
	v_and_b32_e32 v10, 7, v4
; %bb.743:                              ;   in Loop: Header=BB216_15 Depth=1
	s_or_b32 exec_lo, exec_lo, s21
	v_mov_b32_e32 v4, 24
	v_lshlrev_b32_e32 v5, 20, v10
	v_lshl_add_u32 v1, v1, 23, 0x3c000000
	v_lshlrev_b32_sdwa v4, v4, v0 dst_sel:DWORD dst_unused:UNUSED_PAD src0_sel:DWORD src1_sel:WORD_1
	v_and_b32_e32 v4, 0x80000000, v4
	v_or3_b32 v10, v5, v4, v1
	buffer_store_dword v10, off, s[0:3], s32 offset:956 ; 4-byte Folded Spill
	buffer_store_dword v11, off, s[0:3], s32 offset:960 ; 4-byte Folded Spill
.LBB216_744:                            ;   in Loop: Header=BB216_15 Depth=1
	s_or_b32 exec_lo, exec_lo, s20
.LBB216_745:                            ;   in Loop: Header=BB216_15 Depth=1
	s_or_b32 exec_lo, exec_lo, s19
.LBB216_746:                            ;   in Loop: Header=BB216_15 Depth=1
	s_or_b32 exec_lo, exec_lo, s18
	s_mov_b32 s18, exec_lo
	v_cmpx_lt_u32_e32 0xffffff, v0
	s_cbranch_execz .LBB216_754
; %bb.747:                              ;   in Loop: Header=BB216_15 Depth=1
	v_mov_b32_e32 v1, 0x80
	v_mov_b32_e32 v115, v11
	buffer_store_dword v115, off, s[0:3], s32 offset:948 ; 4-byte Folded Spill
	buffer_store_dword v116, off, s[0:3], s32 offset:952 ; 4-byte Folded Spill
	v_cmp_ne_u32_sdwa s5, v0, v1 src0_sel:BYTE_3 src1_sel:DWORD
	s_and_saveexec_b32 s19, s5
	s_cbranch_execz .LBB216_753
; %bb.748:                              ;   in Loop: Header=BB216_15 Depth=1
	s_clause 0x1
	buffer_load_dword v5, off, s[0:3], s32 offset:192
	buffer_load_dword v6, off, s[0:3], s32 offset:196
	v_bfe_u32 v4, v0, 24, 7
	s_waitcnt vmcnt(1)
	v_mov_b32_e32 v5, v11
	s_mov_b32 s20, exec_lo
	s_waitcnt vmcnt(0)
	v_mov_b32_e32 v1, v6
	buffer_store_dword v0, off, s[0:3], s32 offset:192 ; 4-byte Folded Spill
	buffer_store_dword v1, off, s[0:3], s32 offset:196 ; 4-byte Folded Spill
	;; [unrolled: 1-line block ×4, first 2 shown]
	v_cmpx_ne_u32_e32 0x7f, v4
	s_cbranch_execz .LBB216_752
; %bb.749:                              ;   in Loop: Header=BB216_15 Depth=1
	v_mov_b32_e32 v1, 7
	s_mov_b32 s21, exec_lo
	v_and_b32_sdwa v10, v0, v1 dst_sel:DWORD dst_unused:UNUSED_PAD src0_sel:BYTE_3 src1_sel:DWORD
	v_lshrrev_b32_e32 v1, 3, v4
	v_cmpx_gt_u32_e32 8, v4
; %bb.750:                              ;   in Loop: Header=BB216_15 Depth=1
	v_ffbh_u32_e32 v1, v10
	v_min_u32_e32 v1, 32, v1
	v_subrev_nc_u32_e32 v4, 28, v1
	v_sub_nc_u32_e32 v1, 29, v1
	v_lshlrev_b64 v[4:5], v4, v[10:11]
	v_and_b32_e32 v10, 7, v4
; %bb.751:                              ;   in Loop: Header=BB216_15 Depth=1
	s_or_b32 exec_lo, exec_lo, s21
	v_mov_b32_e32 v4, 24
	v_lshl_add_u32 v1, v1, 23, 0x3c000000
	v_lshlrev_b32_sdwa v0, v4, v0 dst_sel:DWORD dst_unused:UNUSED_PAD src0_sel:DWORD src1_sel:BYTE_3
	v_lshlrev_b32_e32 v4, 20, v10
	v_and_b32_e32 v0, 0x80000000, v0
	v_or3_b32 v1, v4, v0, v1
	v_mov_b32_e32 v0, v11
	buffer_store_dword v0, off, s[0:3], s32 offset:948 ; 4-byte Folded Spill
	buffer_store_dword v1, off, s[0:3], s32 offset:952 ; 4-byte Folded Spill
.LBB216_752:                            ;   in Loop: Header=BB216_15 Depth=1
	s_or_b32 exec_lo, exec_lo, s20
.LBB216_753:                            ;   in Loop: Header=BB216_15 Depth=1
	s_or_b32 exec_lo, exec_lo, s19
.LBB216_754:                            ;   in Loop: Header=BB216_15 Depth=1
	s_or_b32 exec_lo, exec_lo, s18
	flat_load_dword v0, v[2:3] offset:524
	v_mov_b32_e32 v4, 0
	v_mov_b32_e32 v5, 0
	buffer_store_dword v4, off, s[0:3], s32 offset:972 ; 4-byte Folded Spill
	buffer_store_dword v5, off, s[0:3], s32 offset:976 ; 4-byte Folded Spill
	v_mov_b32_e32 v4, 0
	v_mov_b32_e32 v5, 0
	buffer_store_dword v4, off, s[0:3], s32 offset:964 ; 4-byte Folded Spill
	buffer_store_dword v5, off, s[0:3], s32 offset:968 ; 4-byte Folded Spill
	s_waitcnt vmcnt(0) lgkmcnt(0)
	v_cmp_ne_u16_sdwa s5, v0, v11 src0_sel:BYTE_0 src1_sel:DWORD
	s_and_saveexec_b32 s18, s5
	s_cbranch_execz .LBB216_762
; %bb.755:                              ;   in Loop: Header=BB216_15 Depth=1
	v_mov_b32_e32 v1, 0x80
	v_bfrev_b32_e32 v4, 1
	v_mov_b32_e32 v5, 0
	buffer_store_dword v4, off, s[0:3], s32 offset:964 ; 4-byte Folded Spill
	buffer_store_dword v5, off, s[0:3], s32 offset:968 ; 4-byte Folded Spill
	v_cmp_ne_u16_sdwa s5, v0, v1 src0_sel:BYTE_0 src1_sel:DWORD
	s_and_saveexec_b32 s19, s5
	s_cbranch_execz .LBB216_761
; %bb.756:                              ;   in Loop: Header=BB216_15 Depth=1
	v_mov_b32_e32 v5, 0x7f800001
	v_and_b32_e32 v4, 0x7f, v0
	v_mov_b32_e32 v6, 0
	s_mov_b32 s20, exec_lo
	buffer_store_dword v5, off, s[0:3], s32 offset:964 ; 4-byte Folded Spill
	buffer_store_dword v6, off, s[0:3], s32 offset:968 ; 4-byte Folded Spill
	v_cmpx_ne_u32_e32 0x7f, v4
	s_cbranch_execz .LBB216_760
; %bb.757:                              ;   in Loop: Header=BB216_15 Depth=1
	v_and_b32_e32 v10, 7, v0
	v_lshrrev_b32_e32 v1, 3, v4
	s_mov_b32 s21, exec_lo
	v_cmpx_gt_u32_e32 8, v4
; %bb.758:                              ;   in Loop: Header=BB216_15 Depth=1
	v_ffbh_u32_e32 v1, v10
	v_min_u32_e32 v1, 32, v1
	v_subrev_nc_u32_e32 v4, 28, v1
	v_sub_nc_u32_e32 v1, 29, v1
	v_lshlrev_b64 v[4:5], v4, v[10:11]
	v_and_b32_e32 v10, 7, v4
; %bb.759:                              ;   in Loop: Header=BB216_15 Depth=1
	s_or_b32 exec_lo, exec_lo, s21
	v_lshlrev_b32_e32 v4, 24, v0
	v_lshlrev_b32_e32 v5, 20, v10
	v_lshl_add_u32 v1, v1, 23, 0x3c000000
	v_and_b32_e32 v4, 0x80000000, v4
	v_or3_b32 v10, v5, v4, v1
	buffer_store_dword v10, off, s[0:3], s32 offset:964 ; 4-byte Folded Spill
	buffer_store_dword v11, off, s[0:3], s32 offset:968 ; 4-byte Folded Spill
.LBB216_760:                            ;   in Loop: Header=BB216_15 Depth=1
	s_or_b32 exec_lo, exec_lo, s20
.LBB216_761:                            ;   in Loop: Header=BB216_15 Depth=1
	s_or_b32 exec_lo, exec_lo, s19
.LBB216_762:                            ;   in Loop: Header=BB216_15 Depth=1
	s_or_b32 exec_lo, exec_lo, s18
	v_cmp_ne_u16_sdwa s5, v0, v11 src0_sel:BYTE_1 src1_sel:DWORD
	s_and_saveexec_b32 s18, s5
	s_cbranch_execz .LBB216_770
; %bb.763:                              ;   in Loop: Header=BB216_15 Depth=1
	v_mov_b32_e32 v1, 0x80
	v_mov_b32_e32 v115, v11
	buffer_store_dword v115, off, s[0:3], s32 offset:972 ; 4-byte Folded Spill
	buffer_store_dword v116, off, s[0:3], s32 offset:976 ; 4-byte Folded Spill
	v_cmp_ne_u16_sdwa s5, v0, v1 src0_sel:BYTE_1 src1_sel:DWORD
	s_and_saveexec_b32 s19, s5
	s_cbranch_execz .LBB216_769
; %bb.764:                              ;   in Loop: Header=BB216_15 Depth=1
	s_clause 0x1
	buffer_load_dword v5, off, s[0:3], s32 offset:192
	buffer_load_dword v6, off, s[0:3], s32 offset:196
	v_mov_b32_e32 v1, 0xffff
	s_mov_b32 s20, exec_lo
	v_and_b32_sdwa v1, v1, v0 dst_sel:DWORD dst_unused:UNUSED_PAD src0_sel:DWORD src1_sel:BYTE_1
	v_and_b32_e32 v4, 0x7f, v1
	s_waitcnt vmcnt(0)
	v_mov_b32_e32 v7, v6
	v_mov_b32_e32 v6, v11
	;; [unrolled: 1-line block ×3, first 2 shown]
	buffer_store_dword v4, off, s[0:3], s32 offset:192 ; 4-byte Folded Spill
	buffer_store_dword v5, off, s[0:3], s32 offset:196 ; 4-byte Folded Spill
	buffer_store_dword v6, off, s[0:3], s32 offset:972 ; 4-byte Folded Spill
	buffer_store_dword v7, off, s[0:3], s32 offset:976 ; 4-byte Folded Spill
	v_cmpx_ne_u32_e32 0x7f, v4
	s_cbranch_execz .LBB216_768
; %bb.765:                              ;   in Loop: Header=BB216_15 Depth=1
	v_and_b32_e32 v10, 7, v1
	v_lshrrev_b32_e32 v1, 3, v4
	s_mov_b32 s21, exec_lo
	v_cmpx_gt_u32_e32 8, v4
; %bb.766:                              ;   in Loop: Header=BB216_15 Depth=1
	v_ffbh_u32_e32 v1, v10
	v_min_u32_e32 v1, 32, v1
	v_subrev_nc_u32_e32 v4, 28, v1
	v_sub_nc_u32_e32 v1, 29, v1
	v_lshlrev_b64 v[4:5], v4, v[10:11]
	v_and_b32_e32 v10, 7, v4
; %bb.767:                              ;   in Loop: Header=BB216_15 Depth=1
	s_or_b32 exec_lo, exec_lo, s21
	v_lshlrev_b32_e32 v4, 16, v0
	v_lshlrev_b32_e32 v5, 20, v10
	v_lshl_add_u32 v1, v1, 23, 0x3c000000
	v_and_b32_e32 v4, 0x80000000, v4
	v_or3_b32 v5, v5, v4, v1
	v_mov_b32_e32 v4, v11
	buffer_store_dword v4, off, s[0:3], s32 offset:972 ; 4-byte Folded Spill
	buffer_store_dword v5, off, s[0:3], s32 offset:976 ; 4-byte Folded Spill
.LBB216_768:                            ;   in Loop: Header=BB216_15 Depth=1
	s_or_b32 exec_lo, exec_lo, s20
.LBB216_769:                            ;   in Loop: Header=BB216_15 Depth=1
	s_or_b32 exec_lo, exec_lo, s19
.LBB216_770:                            ;   in Loop: Header=BB216_15 Depth=1
	s_or_b32 exec_lo, exec_lo, s18
	v_mov_b32_e32 v4, 0
	v_mov_b32_e32 v5, 0
	;; [unrolled: 1-line block ×3, first 2 shown]
	s_mov_b32 s18, exec_lo
	buffer_store_dword v4, off, s[0:3], s32 offset:980 ; 4-byte Folded Spill
	buffer_store_dword v5, off, s[0:3], s32 offset:984 ; 4-byte Folded Spill
	v_mov_b32_e32 v4, 0
	v_and_b32_sdwa v1, v0, v1 dst_sel:DWORD dst_unused:UNUSED_PAD src0_sel:WORD_1 src1_sel:DWORD
	v_mov_b32_e32 v5, 0
	buffer_store_dword v4, off, s[0:3], s32 offset:988 ; 4-byte Folded Spill
	buffer_store_dword v5, off, s[0:3], s32 offset:992 ; 4-byte Folded Spill
	v_cmpx_ne_u16_e32 0, v1
	s_cbranch_execz .LBB216_778
; %bb.771:                              ;   in Loop: Header=BB216_15 Depth=1
	v_bfrev_b32_e32 v4, 1
	v_mov_b32_e32 v5, 0
	s_mov_b32 s19, exec_lo
	buffer_store_dword v4, off, s[0:3], s32 offset:988 ; 4-byte Folded Spill
	buffer_store_dword v5, off, s[0:3], s32 offset:992 ; 4-byte Folded Spill
	v_cmpx_ne_u16_e32 0x80, v1
	s_cbranch_execz .LBB216_777
; %bb.772:                              ;   in Loop: Header=BB216_15 Depth=1
	v_mov_b32_e32 v5, 0x7f800001
	v_bfe_u32 v4, v0, 16, 7
	v_mov_b32_e32 v6, 0
	s_mov_b32 s20, exec_lo
	buffer_store_dword v5, off, s[0:3], s32 offset:988 ; 4-byte Folded Spill
	buffer_store_dword v6, off, s[0:3], s32 offset:992 ; 4-byte Folded Spill
	v_cmpx_ne_u32_e32 0x7f, v4
	s_cbranch_execz .LBB216_776
; %bb.773:                              ;   in Loop: Header=BB216_15 Depth=1
	v_mov_b32_e32 v1, 7
	s_mov_b32 s21, exec_lo
	v_and_b32_sdwa v10, v0, v1 dst_sel:DWORD dst_unused:UNUSED_PAD src0_sel:WORD_1 src1_sel:DWORD
	v_lshrrev_b32_e32 v1, 3, v4
	v_cmpx_gt_u32_e32 8, v4
; %bb.774:                              ;   in Loop: Header=BB216_15 Depth=1
	v_ffbh_u32_e32 v1, v10
	v_min_u32_e32 v1, 32, v1
	v_subrev_nc_u32_e32 v4, 28, v1
	v_sub_nc_u32_e32 v1, 29, v1
	v_lshlrev_b64 v[4:5], v4, v[10:11]
	v_and_b32_e32 v10, 7, v4
; %bb.775:                              ;   in Loop: Header=BB216_15 Depth=1
	s_or_b32 exec_lo, exec_lo, s21
	v_mov_b32_e32 v4, 24
	v_lshlrev_b32_e32 v5, 20, v10
	v_lshl_add_u32 v1, v1, 23, 0x3c000000
	v_lshlrev_b32_sdwa v4, v4, v0 dst_sel:DWORD dst_unused:UNUSED_PAD src0_sel:DWORD src1_sel:WORD_1
	v_and_b32_e32 v4, 0x80000000, v4
	v_or3_b32 v10, v5, v4, v1
	buffer_store_dword v10, off, s[0:3], s32 offset:988 ; 4-byte Folded Spill
	buffer_store_dword v11, off, s[0:3], s32 offset:992 ; 4-byte Folded Spill
.LBB216_776:                            ;   in Loop: Header=BB216_15 Depth=1
	s_or_b32 exec_lo, exec_lo, s20
.LBB216_777:                            ;   in Loop: Header=BB216_15 Depth=1
	s_or_b32 exec_lo, exec_lo, s19
.LBB216_778:                            ;   in Loop: Header=BB216_15 Depth=1
	s_or_b32 exec_lo, exec_lo, s18
	s_mov_b32 s18, exec_lo
	v_cmpx_lt_u32_e32 0xffffff, v0
	s_cbranch_execz .LBB216_786
; %bb.779:                              ;   in Loop: Header=BB216_15 Depth=1
	v_mov_b32_e32 v1, 0x80
	v_mov_b32_e32 v115, v11
	buffer_store_dword v115, off, s[0:3], s32 offset:980 ; 4-byte Folded Spill
	buffer_store_dword v116, off, s[0:3], s32 offset:984 ; 4-byte Folded Spill
	v_cmp_ne_u32_sdwa s5, v0, v1 src0_sel:BYTE_3 src1_sel:DWORD
	s_and_saveexec_b32 s19, s5
	s_cbranch_execz .LBB216_785
; %bb.780:                              ;   in Loop: Header=BB216_15 Depth=1
	s_clause 0x1
	buffer_load_dword v5, off, s[0:3], s32 offset:192
	buffer_load_dword v6, off, s[0:3], s32 offset:196
	v_bfe_u32 v4, v0, 24, 7
	s_waitcnt vmcnt(1)
	v_mov_b32_e32 v5, v11
	s_mov_b32 s20, exec_lo
	s_waitcnt vmcnt(0)
	v_mov_b32_e32 v1, v6
	buffer_store_dword v0, off, s[0:3], s32 offset:192 ; 4-byte Folded Spill
	buffer_store_dword v1, off, s[0:3], s32 offset:196 ; 4-byte Folded Spill
	;; [unrolled: 1-line block ×4, first 2 shown]
	v_cmpx_ne_u32_e32 0x7f, v4
	s_cbranch_execz .LBB216_784
; %bb.781:                              ;   in Loop: Header=BB216_15 Depth=1
	v_mov_b32_e32 v1, 7
	s_mov_b32 s21, exec_lo
	v_and_b32_sdwa v10, v0, v1 dst_sel:DWORD dst_unused:UNUSED_PAD src0_sel:BYTE_3 src1_sel:DWORD
	v_lshrrev_b32_e32 v1, 3, v4
	v_cmpx_gt_u32_e32 8, v4
; %bb.782:                              ;   in Loop: Header=BB216_15 Depth=1
	v_ffbh_u32_e32 v1, v10
	v_min_u32_e32 v1, 32, v1
	v_subrev_nc_u32_e32 v4, 28, v1
	v_sub_nc_u32_e32 v1, 29, v1
	v_lshlrev_b64 v[4:5], v4, v[10:11]
	v_and_b32_e32 v10, 7, v4
; %bb.783:                              ;   in Loop: Header=BB216_15 Depth=1
	s_or_b32 exec_lo, exec_lo, s21
	v_mov_b32_e32 v4, 24
	v_lshl_add_u32 v1, v1, 23, 0x3c000000
	v_lshlrev_b32_sdwa v0, v4, v0 dst_sel:DWORD dst_unused:UNUSED_PAD src0_sel:DWORD src1_sel:BYTE_3
	v_lshlrev_b32_e32 v4, 20, v10
	v_and_b32_e32 v0, 0x80000000, v0
	v_or3_b32 v1, v4, v0, v1
	v_mov_b32_e32 v0, v11
	buffer_store_dword v0, off, s[0:3], s32 offset:980 ; 4-byte Folded Spill
	buffer_store_dword v1, off, s[0:3], s32 offset:984 ; 4-byte Folded Spill
.LBB216_784:                            ;   in Loop: Header=BB216_15 Depth=1
	s_or_b32 exec_lo, exec_lo, s20
.LBB216_785:                            ;   in Loop: Header=BB216_15 Depth=1
	s_or_b32 exec_lo, exec_lo, s19
.LBB216_786:                            ;   in Loop: Header=BB216_15 Depth=1
	s_or_b32 exec_lo, exec_lo, s18
	flat_load_dword v0, v[2:3] offset:1024
	v_mov_b32_e32 v4, 0
	v_mov_b32_e32 v5, 0
	buffer_store_dword v4, off, s[0:3], s32 offset:1004 ; 4-byte Folded Spill
	buffer_store_dword v5, off, s[0:3], s32 offset:1008 ; 4-byte Folded Spill
	v_mov_b32_e32 v4, 0
	v_mov_b32_e32 v5, 0
	buffer_store_dword v4, off, s[0:3], s32 offset:996 ; 4-byte Folded Spill
	buffer_store_dword v5, off, s[0:3], s32 offset:1000 ; 4-byte Folded Spill
	s_waitcnt vmcnt(0) lgkmcnt(0)
	v_cmp_ne_u16_sdwa s5, v0, v11 src0_sel:BYTE_0 src1_sel:DWORD
	s_and_saveexec_b32 s18, s5
	s_cbranch_execz .LBB216_794
; %bb.787:                              ;   in Loop: Header=BB216_15 Depth=1
	v_mov_b32_e32 v1, 0x80
	v_bfrev_b32_e32 v4, 1
	v_mov_b32_e32 v5, 0
	buffer_store_dword v4, off, s[0:3], s32 offset:996 ; 4-byte Folded Spill
	buffer_store_dword v5, off, s[0:3], s32 offset:1000 ; 4-byte Folded Spill
	v_cmp_ne_u16_sdwa s5, v0, v1 src0_sel:BYTE_0 src1_sel:DWORD
	s_and_saveexec_b32 s19, s5
	s_cbranch_execz .LBB216_793
; %bb.788:                              ;   in Loop: Header=BB216_15 Depth=1
	v_mov_b32_e32 v5, 0x7f800001
	v_and_b32_e32 v4, 0x7f, v0
	v_mov_b32_e32 v6, 0
	s_mov_b32 s20, exec_lo
	buffer_store_dword v5, off, s[0:3], s32 offset:996 ; 4-byte Folded Spill
	buffer_store_dword v6, off, s[0:3], s32 offset:1000 ; 4-byte Folded Spill
	v_cmpx_ne_u32_e32 0x7f, v4
	s_cbranch_execz .LBB216_792
; %bb.789:                              ;   in Loop: Header=BB216_15 Depth=1
	v_and_b32_e32 v10, 7, v0
	v_lshrrev_b32_e32 v1, 3, v4
	s_mov_b32 s21, exec_lo
	v_cmpx_gt_u32_e32 8, v4
; %bb.790:                              ;   in Loop: Header=BB216_15 Depth=1
	v_ffbh_u32_e32 v1, v10
	v_min_u32_e32 v1, 32, v1
	v_subrev_nc_u32_e32 v4, 28, v1
	v_sub_nc_u32_e32 v1, 29, v1
	v_lshlrev_b64 v[4:5], v4, v[10:11]
	v_and_b32_e32 v10, 7, v4
; %bb.791:                              ;   in Loop: Header=BB216_15 Depth=1
	s_or_b32 exec_lo, exec_lo, s21
	v_lshlrev_b32_e32 v4, 24, v0
	v_lshlrev_b32_e32 v5, 20, v10
	v_lshl_add_u32 v1, v1, 23, 0x3c000000
	v_and_b32_e32 v4, 0x80000000, v4
	v_or3_b32 v10, v5, v4, v1
	buffer_store_dword v10, off, s[0:3], s32 offset:996 ; 4-byte Folded Spill
	buffer_store_dword v11, off, s[0:3], s32 offset:1000 ; 4-byte Folded Spill
.LBB216_792:                            ;   in Loop: Header=BB216_15 Depth=1
	s_or_b32 exec_lo, exec_lo, s20
.LBB216_793:                            ;   in Loop: Header=BB216_15 Depth=1
	s_or_b32 exec_lo, exec_lo, s19
.LBB216_794:                            ;   in Loop: Header=BB216_15 Depth=1
	s_or_b32 exec_lo, exec_lo, s18
	v_cmp_ne_u16_sdwa s5, v0, v11 src0_sel:BYTE_1 src1_sel:DWORD
	s_and_saveexec_b32 s18, s5
	s_cbranch_execz .LBB216_802
; %bb.795:                              ;   in Loop: Header=BB216_15 Depth=1
	v_mov_b32_e32 v1, 0x80
	v_mov_b32_e32 v115, v11
	buffer_store_dword v115, off, s[0:3], s32 offset:1004 ; 4-byte Folded Spill
	buffer_store_dword v116, off, s[0:3], s32 offset:1008 ; 4-byte Folded Spill
	v_cmp_ne_u16_sdwa s5, v0, v1 src0_sel:BYTE_1 src1_sel:DWORD
	s_and_saveexec_b32 s19, s5
	s_cbranch_execz .LBB216_801
; %bb.796:                              ;   in Loop: Header=BB216_15 Depth=1
	s_clause 0x1
	buffer_load_dword v5, off, s[0:3], s32 offset:192
	buffer_load_dword v6, off, s[0:3], s32 offset:196
	v_mov_b32_e32 v1, 0xffff
	s_mov_b32 s20, exec_lo
	v_and_b32_sdwa v1, v1, v0 dst_sel:DWORD dst_unused:UNUSED_PAD src0_sel:DWORD src1_sel:BYTE_1
	v_and_b32_e32 v4, 0x7f, v1
	s_waitcnt vmcnt(0)
	v_mov_b32_e32 v7, v6
	v_mov_b32_e32 v6, v11
	;; [unrolled: 1-line block ×3, first 2 shown]
	buffer_store_dword v4, off, s[0:3], s32 offset:192 ; 4-byte Folded Spill
	buffer_store_dword v5, off, s[0:3], s32 offset:196 ; 4-byte Folded Spill
	;; [unrolled: 1-line block ×4, first 2 shown]
	v_cmpx_ne_u32_e32 0x7f, v4
	s_cbranch_execz .LBB216_800
; %bb.797:                              ;   in Loop: Header=BB216_15 Depth=1
	v_and_b32_e32 v10, 7, v1
	v_lshrrev_b32_e32 v1, 3, v4
	s_mov_b32 s21, exec_lo
	v_cmpx_gt_u32_e32 8, v4
; %bb.798:                              ;   in Loop: Header=BB216_15 Depth=1
	v_ffbh_u32_e32 v1, v10
	v_min_u32_e32 v1, 32, v1
	v_subrev_nc_u32_e32 v4, 28, v1
	v_sub_nc_u32_e32 v1, 29, v1
	v_lshlrev_b64 v[4:5], v4, v[10:11]
	v_and_b32_e32 v10, 7, v4
; %bb.799:                              ;   in Loop: Header=BB216_15 Depth=1
	s_or_b32 exec_lo, exec_lo, s21
	v_lshlrev_b32_e32 v4, 16, v0
	v_lshlrev_b32_e32 v5, 20, v10
	v_lshl_add_u32 v1, v1, 23, 0x3c000000
	v_and_b32_e32 v4, 0x80000000, v4
	v_or3_b32 v5, v5, v4, v1
	v_mov_b32_e32 v4, v11
	buffer_store_dword v4, off, s[0:3], s32 offset:1004 ; 4-byte Folded Spill
	buffer_store_dword v5, off, s[0:3], s32 offset:1008 ; 4-byte Folded Spill
.LBB216_800:                            ;   in Loop: Header=BB216_15 Depth=1
	s_or_b32 exec_lo, exec_lo, s20
.LBB216_801:                            ;   in Loop: Header=BB216_15 Depth=1
	s_or_b32 exec_lo, exec_lo, s19
.LBB216_802:                            ;   in Loop: Header=BB216_15 Depth=1
	s_or_b32 exec_lo, exec_lo, s18
	v_mov_b32_e32 v4, 0
	v_mov_b32_e32 v5, 0
	;; [unrolled: 1-line block ×3, first 2 shown]
	s_mov_b32 s18, exec_lo
	buffer_store_dword v4, off, s[0:3], s32 offset:1012 ; 4-byte Folded Spill
	buffer_store_dword v5, off, s[0:3], s32 offset:1016 ; 4-byte Folded Spill
	v_mov_b32_e32 v4, 0
	v_and_b32_sdwa v1, v0, v1 dst_sel:DWORD dst_unused:UNUSED_PAD src0_sel:WORD_1 src1_sel:DWORD
	v_mov_b32_e32 v5, 0
	buffer_store_dword v4, off, s[0:3], s32 offset:1020 ; 4-byte Folded Spill
	buffer_store_dword v5, off, s[0:3], s32 offset:1024 ; 4-byte Folded Spill
	v_cmpx_ne_u16_e32 0, v1
	s_cbranch_execz .LBB216_810
; %bb.803:                              ;   in Loop: Header=BB216_15 Depth=1
	v_bfrev_b32_e32 v4, 1
	v_mov_b32_e32 v5, 0
	s_mov_b32 s19, exec_lo
	buffer_store_dword v4, off, s[0:3], s32 offset:1020 ; 4-byte Folded Spill
	buffer_store_dword v5, off, s[0:3], s32 offset:1024 ; 4-byte Folded Spill
	v_cmpx_ne_u16_e32 0x80, v1
	s_cbranch_execz .LBB216_809
; %bb.804:                              ;   in Loop: Header=BB216_15 Depth=1
	v_mov_b32_e32 v5, 0x7f800001
	v_bfe_u32 v4, v0, 16, 7
	v_mov_b32_e32 v6, 0
	s_mov_b32 s20, exec_lo
	buffer_store_dword v5, off, s[0:3], s32 offset:1020 ; 4-byte Folded Spill
	buffer_store_dword v6, off, s[0:3], s32 offset:1024 ; 4-byte Folded Spill
	v_cmpx_ne_u32_e32 0x7f, v4
	s_cbranch_execz .LBB216_808
; %bb.805:                              ;   in Loop: Header=BB216_15 Depth=1
	v_mov_b32_e32 v1, 7
	s_mov_b32 s21, exec_lo
	v_and_b32_sdwa v10, v0, v1 dst_sel:DWORD dst_unused:UNUSED_PAD src0_sel:WORD_1 src1_sel:DWORD
	v_lshrrev_b32_e32 v1, 3, v4
	v_cmpx_gt_u32_e32 8, v4
; %bb.806:                              ;   in Loop: Header=BB216_15 Depth=1
	v_ffbh_u32_e32 v1, v10
	v_min_u32_e32 v1, 32, v1
	v_subrev_nc_u32_e32 v4, 28, v1
	v_sub_nc_u32_e32 v1, 29, v1
	v_lshlrev_b64 v[4:5], v4, v[10:11]
	v_and_b32_e32 v10, 7, v4
; %bb.807:                              ;   in Loop: Header=BB216_15 Depth=1
	s_or_b32 exec_lo, exec_lo, s21
	v_mov_b32_e32 v4, 24
	v_lshlrev_b32_e32 v5, 20, v10
	v_lshl_add_u32 v1, v1, 23, 0x3c000000
	v_lshlrev_b32_sdwa v4, v4, v0 dst_sel:DWORD dst_unused:UNUSED_PAD src0_sel:DWORD src1_sel:WORD_1
	v_and_b32_e32 v4, 0x80000000, v4
	v_or3_b32 v10, v5, v4, v1
	buffer_store_dword v10, off, s[0:3], s32 offset:1020 ; 4-byte Folded Spill
	buffer_store_dword v11, off, s[0:3], s32 offset:1024 ; 4-byte Folded Spill
.LBB216_808:                            ;   in Loop: Header=BB216_15 Depth=1
	s_or_b32 exec_lo, exec_lo, s20
.LBB216_809:                            ;   in Loop: Header=BB216_15 Depth=1
	s_or_b32 exec_lo, exec_lo, s19
.LBB216_810:                            ;   in Loop: Header=BB216_15 Depth=1
	s_or_b32 exec_lo, exec_lo, s18
	s_mov_b32 s18, exec_lo
	v_cmpx_lt_u32_e32 0xffffff, v0
	s_cbranch_execz .LBB216_818
; %bb.811:                              ;   in Loop: Header=BB216_15 Depth=1
	v_mov_b32_e32 v1, 0x80
	v_mov_b32_e32 v115, v11
	buffer_store_dword v115, off, s[0:3], s32 offset:1012 ; 4-byte Folded Spill
	buffer_store_dword v116, off, s[0:3], s32 offset:1016 ; 4-byte Folded Spill
	v_cmp_ne_u32_sdwa s5, v0, v1 src0_sel:BYTE_3 src1_sel:DWORD
	s_and_saveexec_b32 s19, s5
	s_cbranch_execz .LBB216_817
; %bb.812:                              ;   in Loop: Header=BB216_15 Depth=1
	s_clause 0x1
	buffer_load_dword v5, off, s[0:3], s32 offset:192
	buffer_load_dword v6, off, s[0:3], s32 offset:196
	v_bfe_u32 v4, v0, 24, 7
	s_waitcnt vmcnt(1)
	v_mov_b32_e32 v5, v11
	s_mov_b32 s20, exec_lo
	s_waitcnt vmcnt(0)
	v_mov_b32_e32 v1, v6
	buffer_store_dword v0, off, s[0:3], s32 offset:192 ; 4-byte Folded Spill
	buffer_store_dword v1, off, s[0:3], s32 offset:196 ; 4-byte Folded Spill
	;; [unrolled: 1-line block ×4, first 2 shown]
	v_cmpx_ne_u32_e32 0x7f, v4
	s_cbranch_execz .LBB216_816
; %bb.813:                              ;   in Loop: Header=BB216_15 Depth=1
	v_mov_b32_e32 v1, 7
	s_mov_b32 s21, exec_lo
	v_and_b32_sdwa v10, v0, v1 dst_sel:DWORD dst_unused:UNUSED_PAD src0_sel:BYTE_3 src1_sel:DWORD
	v_lshrrev_b32_e32 v1, 3, v4
	v_cmpx_gt_u32_e32 8, v4
; %bb.814:                              ;   in Loop: Header=BB216_15 Depth=1
	v_ffbh_u32_e32 v1, v10
	v_min_u32_e32 v1, 32, v1
	v_subrev_nc_u32_e32 v4, 28, v1
	v_sub_nc_u32_e32 v1, 29, v1
	v_lshlrev_b64 v[4:5], v4, v[10:11]
	v_and_b32_e32 v10, 7, v4
; %bb.815:                              ;   in Loop: Header=BB216_15 Depth=1
	s_or_b32 exec_lo, exec_lo, s21
	v_mov_b32_e32 v4, 24
	v_lshl_add_u32 v1, v1, 23, 0x3c000000
	v_lshlrev_b32_sdwa v0, v4, v0 dst_sel:DWORD dst_unused:UNUSED_PAD src0_sel:DWORD src1_sel:BYTE_3
	v_lshlrev_b32_e32 v4, 20, v10
	v_and_b32_e32 v0, 0x80000000, v0
	v_or3_b32 v1, v4, v0, v1
	v_mov_b32_e32 v0, v11
	buffer_store_dword v0, off, s[0:3], s32 offset:1012 ; 4-byte Folded Spill
	buffer_store_dword v1, off, s[0:3], s32 offset:1016 ; 4-byte Folded Spill
.LBB216_816:                            ;   in Loop: Header=BB216_15 Depth=1
	s_or_b32 exec_lo, exec_lo, s20
.LBB216_817:                            ;   in Loop: Header=BB216_15 Depth=1
	s_or_b32 exec_lo, exec_lo, s19
.LBB216_818:                            ;   in Loop: Header=BB216_15 Depth=1
	s_or_b32 exec_lo, exec_lo, s18
	flat_load_dword v0, v[2:3] offset:1028
	v_mov_b32_e32 v4, 0
	v_mov_b32_e32 v5, 0
	buffer_store_dword v4, off, s[0:3], s32 offset:1036 ; 4-byte Folded Spill
	buffer_store_dword v5, off, s[0:3], s32 offset:1040 ; 4-byte Folded Spill
	v_mov_b32_e32 v4, 0
	v_mov_b32_e32 v5, 0
	buffer_store_dword v4, off, s[0:3], s32 offset:1028 ; 4-byte Folded Spill
	buffer_store_dword v5, off, s[0:3], s32 offset:1032 ; 4-byte Folded Spill
	s_waitcnt vmcnt(0) lgkmcnt(0)
	v_cmp_ne_u16_sdwa s5, v0, v11 src0_sel:BYTE_0 src1_sel:DWORD
	s_and_saveexec_b32 s18, s5
	s_cbranch_execz .LBB216_826
; %bb.819:                              ;   in Loop: Header=BB216_15 Depth=1
	v_mov_b32_e32 v1, 0x80
	v_bfrev_b32_e32 v4, 1
	v_mov_b32_e32 v5, 0
	buffer_store_dword v4, off, s[0:3], s32 offset:1028 ; 4-byte Folded Spill
	buffer_store_dword v5, off, s[0:3], s32 offset:1032 ; 4-byte Folded Spill
	v_cmp_ne_u16_sdwa s5, v0, v1 src0_sel:BYTE_0 src1_sel:DWORD
	s_and_saveexec_b32 s19, s5
	s_cbranch_execz .LBB216_825
; %bb.820:                              ;   in Loop: Header=BB216_15 Depth=1
	v_mov_b32_e32 v5, 0x7f800001
	v_and_b32_e32 v4, 0x7f, v0
	v_mov_b32_e32 v6, 0
	s_mov_b32 s20, exec_lo
	buffer_store_dword v5, off, s[0:3], s32 offset:1028 ; 4-byte Folded Spill
	buffer_store_dword v6, off, s[0:3], s32 offset:1032 ; 4-byte Folded Spill
	v_cmpx_ne_u32_e32 0x7f, v4
	s_cbranch_execz .LBB216_824
; %bb.821:                              ;   in Loop: Header=BB216_15 Depth=1
	v_and_b32_e32 v10, 7, v0
	v_lshrrev_b32_e32 v1, 3, v4
	s_mov_b32 s21, exec_lo
	v_cmpx_gt_u32_e32 8, v4
; %bb.822:                              ;   in Loop: Header=BB216_15 Depth=1
	v_ffbh_u32_e32 v1, v10
	v_min_u32_e32 v1, 32, v1
	v_subrev_nc_u32_e32 v4, 28, v1
	v_sub_nc_u32_e32 v1, 29, v1
	v_lshlrev_b64 v[4:5], v4, v[10:11]
	v_and_b32_e32 v10, 7, v4
; %bb.823:                              ;   in Loop: Header=BB216_15 Depth=1
	s_or_b32 exec_lo, exec_lo, s21
	v_lshlrev_b32_e32 v4, 24, v0
	v_lshlrev_b32_e32 v5, 20, v10
	v_lshl_add_u32 v1, v1, 23, 0x3c000000
	v_and_b32_e32 v4, 0x80000000, v4
	v_or3_b32 v10, v5, v4, v1
	buffer_store_dword v10, off, s[0:3], s32 offset:1028 ; 4-byte Folded Spill
	buffer_store_dword v11, off, s[0:3], s32 offset:1032 ; 4-byte Folded Spill
.LBB216_824:                            ;   in Loop: Header=BB216_15 Depth=1
	s_or_b32 exec_lo, exec_lo, s20
.LBB216_825:                            ;   in Loop: Header=BB216_15 Depth=1
	s_or_b32 exec_lo, exec_lo, s19
.LBB216_826:                            ;   in Loop: Header=BB216_15 Depth=1
	s_or_b32 exec_lo, exec_lo, s18
	v_cmp_ne_u16_sdwa s5, v0, v11 src0_sel:BYTE_1 src1_sel:DWORD
	s_and_saveexec_b32 s18, s5
	s_cbranch_execz .LBB216_834
; %bb.827:                              ;   in Loop: Header=BB216_15 Depth=1
	v_mov_b32_e32 v1, 0x80
	v_mov_b32_e32 v115, v11
	buffer_store_dword v115, off, s[0:3], s32 offset:1036 ; 4-byte Folded Spill
	buffer_store_dword v116, off, s[0:3], s32 offset:1040 ; 4-byte Folded Spill
	v_cmp_ne_u16_sdwa s5, v0, v1 src0_sel:BYTE_1 src1_sel:DWORD
	s_and_saveexec_b32 s19, s5
	s_cbranch_execz .LBB216_833
; %bb.828:                              ;   in Loop: Header=BB216_15 Depth=1
	s_clause 0x1
	buffer_load_dword v5, off, s[0:3], s32 offset:192
	buffer_load_dword v6, off, s[0:3], s32 offset:196
	v_mov_b32_e32 v1, 0xffff
	s_mov_b32 s20, exec_lo
	v_and_b32_sdwa v1, v1, v0 dst_sel:DWORD dst_unused:UNUSED_PAD src0_sel:DWORD src1_sel:BYTE_1
	v_and_b32_e32 v4, 0x7f, v1
	s_waitcnt vmcnt(0)
	v_mov_b32_e32 v7, v6
	v_mov_b32_e32 v6, v11
	;; [unrolled: 1-line block ×3, first 2 shown]
	buffer_store_dword v4, off, s[0:3], s32 offset:192 ; 4-byte Folded Spill
	buffer_store_dword v5, off, s[0:3], s32 offset:196 ; 4-byte Folded Spill
	buffer_store_dword v6, off, s[0:3], s32 offset:1036 ; 4-byte Folded Spill
	buffer_store_dword v7, off, s[0:3], s32 offset:1040 ; 4-byte Folded Spill
	v_cmpx_ne_u32_e32 0x7f, v4
	s_cbranch_execz .LBB216_832
; %bb.829:                              ;   in Loop: Header=BB216_15 Depth=1
	v_and_b32_e32 v10, 7, v1
	v_lshrrev_b32_e32 v1, 3, v4
	s_mov_b32 s21, exec_lo
	v_cmpx_gt_u32_e32 8, v4
; %bb.830:                              ;   in Loop: Header=BB216_15 Depth=1
	v_ffbh_u32_e32 v1, v10
	v_min_u32_e32 v1, 32, v1
	v_subrev_nc_u32_e32 v4, 28, v1
	v_sub_nc_u32_e32 v1, 29, v1
	v_lshlrev_b64 v[4:5], v4, v[10:11]
	v_and_b32_e32 v10, 7, v4
; %bb.831:                              ;   in Loop: Header=BB216_15 Depth=1
	s_or_b32 exec_lo, exec_lo, s21
	v_lshlrev_b32_e32 v4, 16, v0
	v_lshlrev_b32_e32 v5, 20, v10
	v_lshl_add_u32 v1, v1, 23, 0x3c000000
	v_and_b32_e32 v4, 0x80000000, v4
	v_or3_b32 v5, v5, v4, v1
	v_mov_b32_e32 v4, v11
	buffer_store_dword v4, off, s[0:3], s32 offset:1036 ; 4-byte Folded Spill
	buffer_store_dword v5, off, s[0:3], s32 offset:1040 ; 4-byte Folded Spill
.LBB216_832:                            ;   in Loop: Header=BB216_15 Depth=1
	s_or_b32 exec_lo, exec_lo, s20
.LBB216_833:                            ;   in Loop: Header=BB216_15 Depth=1
	s_or_b32 exec_lo, exec_lo, s19
.LBB216_834:                            ;   in Loop: Header=BB216_15 Depth=1
	s_or_b32 exec_lo, exec_lo, s18
	v_mov_b32_e32 v4, 0
	v_mov_b32_e32 v5, 0
	;; [unrolled: 1-line block ×3, first 2 shown]
	s_mov_b32 s18, exec_lo
	buffer_store_dword v4, off, s[0:3], s32 offset:1044 ; 4-byte Folded Spill
	buffer_store_dword v5, off, s[0:3], s32 offset:1048 ; 4-byte Folded Spill
	v_mov_b32_e32 v4, 0
	v_and_b32_sdwa v1, v0, v1 dst_sel:DWORD dst_unused:UNUSED_PAD src0_sel:WORD_1 src1_sel:DWORD
	v_mov_b32_e32 v5, 0
	buffer_store_dword v4, off, s[0:3], s32 offset:1052 ; 4-byte Folded Spill
	buffer_store_dword v5, off, s[0:3], s32 offset:1056 ; 4-byte Folded Spill
	v_cmpx_ne_u16_e32 0, v1
	s_cbranch_execz .LBB216_842
; %bb.835:                              ;   in Loop: Header=BB216_15 Depth=1
	v_bfrev_b32_e32 v4, 1
	v_mov_b32_e32 v5, 0
	s_mov_b32 s19, exec_lo
	buffer_store_dword v4, off, s[0:3], s32 offset:1052 ; 4-byte Folded Spill
	buffer_store_dword v5, off, s[0:3], s32 offset:1056 ; 4-byte Folded Spill
	v_cmpx_ne_u16_e32 0x80, v1
	s_cbranch_execz .LBB216_841
; %bb.836:                              ;   in Loop: Header=BB216_15 Depth=1
	v_mov_b32_e32 v5, 0x7f800001
	v_bfe_u32 v4, v0, 16, 7
	v_mov_b32_e32 v6, 0
	s_mov_b32 s20, exec_lo
	buffer_store_dword v5, off, s[0:3], s32 offset:1052 ; 4-byte Folded Spill
	buffer_store_dword v6, off, s[0:3], s32 offset:1056 ; 4-byte Folded Spill
	v_cmpx_ne_u32_e32 0x7f, v4
	s_cbranch_execz .LBB216_840
; %bb.837:                              ;   in Loop: Header=BB216_15 Depth=1
	v_mov_b32_e32 v1, 7
	s_mov_b32 s21, exec_lo
	v_and_b32_sdwa v10, v0, v1 dst_sel:DWORD dst_unused:UNUSED_PAD src0_sel:WORD_1 src1_sel:DWORD
	v_lshrrev_b32_e32 v1, 3, v4
	v_cmpx_gt_u32_e32 8, v4
; %bb.838:                              ;   in Loop: Header=BB216_15 Depth=1
	v_ffbh_u32_e32 v1, v10
	v_min_u32_e32 v1, 32, v1
	v_subrev_nc_u32_e32 v4, 28, v1
	v_sub_nc_u32_e32 v1, 29, v1
	v_lshlrev_b64 v[4:5], v4, v[10:11]
	v_and_b32_e32 v10, 7, v4
; %bb.839:                              ;   in Loop: Header=BB216_15 Depth=1
	s_or_b32 exec_lo, exec_lo, s21
	v_mov_b32_e32 v4, 24
	v_lshlrev_b32_e32 v5, 20, v10
	v_lshl_add_u32 v1, v1, 23, 0x3c000000
	v_lshlrev_b32_sdwa v4, v4, v0 dst_sel:DWORD dst_unused:UNUSED_PAD src0_sel:DWORD src1_sel:WORD_1
	v_and_b32_e32 v4, 0x80000000, v4
	v_or3_b32 v10, v5, v4, v1
	buffer_store_dword v10, off, s[0:3], s32 offset:1052 ; 4-byte Folded Spill
	buffer_store_dword v11, off, s[0:3], s32 offset:1056 ; 4-byte Folded Spill
.LBB216_840:                            ;   in Loop: Header=BB216_15 Depth=1
	s_or_b32 exec_lo, exec_lo, s20
.LBB216_841:                            ;   in Loop: Header=BB216_15 Depth=1
	s_or_b32 exec_lo, exec_lo, s19
.LBB216_842:                            ;   in Loop: Header=BB216_15 Depth=1
	s_or_b32 exec_lo, exec_lo, s18
	s_mov_b32 s18, exec_lo
	v_cmpx_lt_u32_e32 0xffffff, v0
	s_cbranch_execz .LBB216_850
; %bb.843:                              ;   in Loop: Header=BB216_15 Depth=1
	v_mov_b32_e32 v1, 0x80
	v_mov_b32_e32 v115, v11
	buffer_store_dword v115, off, s[0:3], s32 offset:1044 ; 4-byte Folded Spill
	buffer_store_dword v116, off, s[0:3], s32 offset:1048 ; 4-byte Folded Spill
	v_cmp_ne_u32_sdwa s5, v0, v1 src0_sel:BYTE_3 src1_sel:DWORD
	s_and_saveexec_b32 s19, s5
	s_cbranch_execz .LBB216_849
; %bb.844:                              ;   in Loop: Header=BB216_15 Depth=1
	s_clause 0x1
	buffer_load_dword v5, off, s[0:3], s32 offset:192
	buffer_load_dword v6, off, s[0:3], s32 offset:196
	v_bfe_u32 v4, v0, 24, 7
	s_waitcnt vmcnt(1)
	v_mov_b32_e32 v5, v11
	s_mov_b32 s20, exec_lo
	s_waitcnt vmcnt(0)
	v_mov_b32_e32 v1, v6
	buffer_store_dword v0, off, s[0:3], s32 offset:192 ; 4-byte Folded Spill
	buffer_store_dword v1, off, s[0:3], s32 offset:196 ; 4-byte Folded Spill
	;; [unrolled: 1-line block ×4, first 2 shown]
	v_cmpx_ne_u32_e32 0x7f, v4
	s_cbranch_execz .LBB216_848
; %bb.845:                              ;   in Loop: Header=BB216_15 Depth=1
	v_mov_b32_e32 v1, 7
	s_mov_b32 s21, exec_lo
	v_and_b32_sdwa v10, v0, v1 dst_sel:DWORD dst_unused:UNUSED_PAD src0_sel:BYTE_3 src1_sel:DWORD
	v_lshrrev_b32_e32 v1, 3, v4
	v_cmpx_gt_u32_e32 8, v4
; %bb.846:                              ;   in Loop: Header=BB216_15 Depth=1
	v_ffbh_u32_e32 v1, v10
	v_min_u32_e32 v1, 32, v1
	v_subrev_nc_u32_e32 v4, 28, v1
	v_sub_nc_u32_e32 v1, 29, v1
	v_lshlrev_b64 v[4:5], v4, v[10:11]
	v_and_b32_e32 v10, 7, v4
; %bb.847:                              ;   in Loop: Header=BB216_15 Depth=1
	s_or_b32 exec_lo, exec_lo, s21
	v_mov_b32_e32 v4, 24
	v_lshl_add_u32 v1, v1, 23, 0x3c000000
	v_lshlrev_b32_sdwa v0, v4, v0 dst_sel:DWORD dst_unused:UNUSED_PAD src0_sel:DWORD src1_sel:BYTE_3
	v_lshlrev_b32_e32 v4, 20, v10
	v_and_b32_e32 v0, 0x80000000, v0
	v_or3_b32 v1, v4, v0, v1
	v_mov_b32_e32 v0, v11
	buffer_store_dword v0, off, s[0:3], s32 offset:1044 ; 4-byte Folded Spill
	buffer_store_dword v1, off, s[0:3], s32 offset:1048 ; 4-byte Folded Spill
.LBB216_848:                            ;   in Loop: Header=BB216_15 Depth=1
	s_or_b32 exec_lo, exec_lo, s20
.LBB216_849:                            ;   in Loop: Header=BB216_15 Depth=1
	s_or_b32 exec_lo, exec_lo, s19
.LBB216_850:                            ;   in Loop: Header=BB216_15 Depth=1
	s_or_b32 exec_lo, exec_lo, s18
	flat_load_dword v0, v[2:3] offset:1032
	v_mov_b32_e32 v4, 0
	v_mov_b32_e32 v5, 0
	buffer_store_dword v4, off, s[0:3], s32 offset:1068 ; 4-byte Folded Spill
	buffer_store_dword v5, off, s[0:3], s32 offset:1072 ; 4-byte Folded Spill
	v_mov_b32_e32 v4, 0
	v_mov_b32_e32 v5, 0
	buffer_store_dword v4, off, s[0:3], s32 offset:1060 ; 4-byte Folded Spill
	buffer_store_dword v5, off, s[0:3], s32 offset:1064 ; 4-byte Folded Spill
	s_waitcnt vmcnt(0) lgkmcnt(0)
	v_cmp_ne_u16_sdwa s5, v0, v11 src0_sel:BYTE_0 src1_sel:DWORD
	s_and_saveexec_b32 s18, s5
	s_cbranch_execz .LBB216_858
; %bb.851:                              ;   in Loop: Header=BB216_15 Depth=1
	v_mov_b32_e32 v1, 0x80
	v_bfrev_b32_e32 v4, 1
	v_mov_b32_e32 v5, 0
	buffer_store_dword v4, off, s[0:3], s32 offset:1060 ; 4-byte Folded Spill
	buffer_store_dword v5, off, s[0:3], s32 offset:1064 ; 4-byte Folded Spill
	v_cmp_ne_u16_sdwa s5, v0, v1 src0_sel:BYTE_0 src1_sel:DWORD
	s_and_saveexec_b32 s19, s5
	s_cbranch_execz .LBB216_857
; %bb.852:                              ;   in Loop: Header=BB216_15 Depth=1
	v_mov_b32_e32 v5, 0x7f800001
	v_and_b32_e32 v4, 0x7f, v0
	v_mov_b32_e32 v6, 0
	s_mov_b32 s20, exec_lo
	buffer_store_dword v5, off, s[0:3], s32 offset:1060 ; 4-byte Folded Spill
	buffer_store_dword v6, off, s[0:3], s32 offset:1064 ; 4-byte Folded Spill
	v_cmpx_ne_u32_e32 0x7f, v4
	s_cbranch_execz .LBB216_856
; %bb.853:                              ;   in Loop: Header=BB216_15 Depth=1
	v_and_b32_e32 v10, 7, v0
	v_lshrrev_b32_e32 v1, 3, v4
	s_mov_b32 s21, exec_lo
	v_cmpx_gt_u32_e32 8, v4
; %bb.854:                              ;   in Loop: Header=BB216_15 Depth=1
	v_ffbh_u32_e32 v1, v10
	v_min_u32_e32 v1, 32, v1
	v_subrev_nc_u32_e32 v4, 28, v1
	v_sub_nc_u32_e32 v1, 29, v1
	v_lshlrev_b64 v[4:5], v4, v[10:11]
	v_and_b32_e32 v10, 7, v4
; %bb.855:                              ;   in Loop: Header=BB216_15 Depth=1
	s_or_b32 exec_lo, exec_lo, s21
	v_lshlrev_b32_e32 v4, 24, v0
	v_lshlrev_b32_e32 v5, 20, v10
	v_lshl_add_u32 v1, v1, 23, 0x3c000000
	v_and_b32_e32 v4, 0x80000000, v4
	v_or3_b32 v10, v5, v4, v1
	buffer_store_dword v10, off, s[0:3], s32 offset:1060 ; 4-byte Folded Spill
	buffer_store_dword v11, off, s[0:3], s32 offset:1064 ; 4-byte Folded Spill
.LBB216_856:                            ;   in Loop: Header=BB216_15 Depth=1
	s_or_b32 exec_lo, exec_lo, s20
.LBB216_857:                            ;   in Loop: Header=BB216_15 Depth=1
	s_or_b32 exec_lo, exec_lo, s19
.LBB216_858:                            ;   in Loop: Header=BB216_15 Depth=1
	s_or_b32 exec_lo, exec_lo, s18
	v_cmp_ne_u16_sdwa s5, v0, v11 src0_sel:BYTE_1 src1_sel:DWORD
	s_and_saveexec_b32 s18, s5
	s_cbranch_execz .LBB216_866
; %bb.859:                              ;   in Loop: Header=BB216_15 Depth=1
	v_mov_b32_e32 v1, 0x80
	v_mov_b32_e32 v115, v11
	buffer_store_dword v115, off, s[0:3], s32 offset:1068 ; 4-byte Folded Spill
	buffer_store_dword v116, off, s[0:3], s32 offset:1072 ; 4-byte Folded Spill
	v_cmp_ne_u16_sdwa s5, v0, v1 src0_sel:BYTE_1 src1_sel:DWORD
	s_and_saveexec_b32 s19, s5
	s_cbranch_execz .LBB216_865
; %bb.860:                              ;   in Loop: Header=BB216_15 Depth=1
	s_clause 0x1
	buffer_load_dword v5, off, s[0:3], s32 offset:192
	buffer_load_dword v6, off, s[0:3], s32 offset:196
	v_mov_b32_e32 v1, 0xffff
	s_mov_b32 s20, exec_lo
	v_and_b32_sdwa v1, v1, v0 dst_sel:DWORD dst_unused:UNUSED_PAD src0_sel:DWORD src1_sel:BYTE_1
	v_and_b32_e32 v4, 0x7f, v1
	s_waitcnt vmcnt(0)
	v_mov_b32_e32 v7, v6
	v_mov_b32_e32 v6, v11
	;; [unrolled: 1-line block ×3, first 2 shown]
	buffer_store_dword v4, off, s[0:3], s32 offset:192 ; 4-byte Folded Spill
	buffer_store_dword v5, off, s[0:3], s32 offset:196 ; 4-byte Folded Spill
	;; [unrolled: 1-line block ×4, first 2 shown]
	v_cmpx_ne_u32_e32 0x7f, v4
	s_cbranch_execz .LBB216_864
; %bb.861:                              ;   in Loop: Header=BB216_15 Depth=1
	v_and_b32_e32 v10, 7, v1
	v_lshrrev_b32_e32 v1, 3, v4
	s_mov_b32 s21, exec_lo
	v_cmpx_gt_u32_e32 8, v4
; %bb.862:                              ;   in Loop: Header=BB216_15 Depth=1
	v_ffbh_u32_e32 v1, v10
	v_min_u32_e32 v1, 32, v1
	v_subrev_nc_u32_e32 v4, 28, v1
	v_sub_nc_u32_e32 v1, 29, v1
	v_lshlrev_b64 v[4:5], v4, v[10:11]
	v_and_b32_e32 v10, 7, v4
; %bb.863:                              ;   in Loop: Header=BB216_15 Depth=1
	s_or_b32 exec_lo, exec_lo, s21
	v_lshlrev_b32_e32 v4, 16, v0
	v_lshlrev_b32_e32 v5, 20, v10
	v_lshl_add_u32 v1, v1, 23, 0x3c000000
	v_and_b32_e32 v4, 0x80000000, v4
	v_or3_b32 v5, v5, v4, v1
	v_mov_b32_e32 v4, v11
	buffer_store_dword v4, off, s[0:3], s32 offset:1068 ; 4-byte Folded Spill
	buffer_store_dword v5, off, s[0:3], s32 offset:1072 ; 4-byte Folded Spill
.LBB216_864:                            ;   in Loop: Header=BB216_15 Depth=1
	s_or_b32 exec_lo, exec_lo, s20
.LBB216_865:                            ;   in Loop: Header=BB216_15 Depth=1
	s_or_b32 exec_lo, exec_lo, s19
.LBB216_866:                            ;   in Loop: Header=BB216_15 Depth=1
	s_or_b32 exec_lo, exec_lo, s18
	v_mov_b32_e32 v4, 0
	v_mov_b32_e32 v5, 0
	;; [unrolled: 1-line block ×3, first 2 shown]
	s_mov_b32 s18, exec_lo
	buffer_store_dword v4, off, s[0:3], s32 offset:1076 ; 4-byte Folded Spill
	buffer_store_dword v5, off, s[0:3], s32 offset:1080 ; 4-byte Folded Spill
	v_mov_b32_e32 v4, 0
	v_and_b32_sdwa v1, v0, v1 dst_sel:DWORD dst_unused:UNUSED_PAD src0_sel:WORD_1 src1_sel:DWORD
	v_mov_b32_e32 v5, 0
	buffer_store_dword v4, off, s[0:3], s32 offset:1084 ; 4-byte Folded Spill
	buffer_store_dword v5, off, s[0:3], s32 offset:1088 ; 4-byte Folded Spill
	v_cmpx_ne_u16_e32 0, v1
	s_cbranch_execz .LBB216_874
; %bb.867:                              ;   in Loop: Header=BB216_15 Depth=1
	v_bfrev_b32_e32 v4, 1
	v_mov_b32_e32 v5, 0
	s_mov_b32 s19, exec_lo
	buffer_store_dword v4, off, s[0:3], s32 offset:1084 ; 4-byte Folded Spill
	buffer_store_dword v5, off, s[0:3], s32 offset:1088 ; 4-byte Folded Spill
	v_cmpx_ne_u16_e32 0x80, v1
	s_cbranch_execz .LBB216_873
; %bb.868:                              ;   in Loop: Header=BB216_15 Depth=1
	v_mov_b32_e32 v5, 0x7f800001
	v_bfe_u32 v4, v0, 16, 7
	v_mov_b32_e32 v6, 0
	s_mov_b32 s20, exec_lo
	buffer_store_dword v5, off, s[0:3], s32 offset:1084 ; 4-byte Folded Spill
	buffer_store_dword v6, off, s[0:3], s32 offset:1088 ; 4-byte Folded Spill
	v_cmpx_ne_u32_e32 0x7f, v4
	s_cbranch_execz .LBB216_872
; %bb.869:                              ;   in Loop: Header=BB216_15 Depth=1
	v_mov_b32_e32 v1, 7
	s_mov_b32 s21, exec_lo
	v_and_b32_sdwa v10, v0, v1 dst_sel:DWORD dst_unused:UNUSED_PAD src0_sel:WORD_1 src1_sel:DWORD
	v_lshrrev_b32_e32 v1, 3, v4
	v_cmpx_gt_u32_e32 8, v4
; %bb.870:                              ;   in Loop: Header=BB216_15 Depth=1
	v_ffbh_u32_e32 v1, v10
	v_min_u32_e32 v1, 32, v1
	v_subrev_nc_u32_e32 v4, 28, v1
	v_sub_nc_u32_e32 v1, 29, v1
	v_lshlrev_b64 v[4:5], v4, v[10:11]
	v_and_b32_e32 v10, 7, v4
; %bb.871:                              ;   in Loop: Header=BB216_15 Depth=1
	s_or_b32 exec_lo, exec_lo, s21
	v_mov_b32_e32 v4, 24
	v_lshlrev_b32_e32 v5, 20, v10
	v_lshl_add_u32 v1, v1, 23, 0x3c000000
	v_lshlrev_b32_sdwa v4, v4, v0 dst_sel:DWORD dst_unused:UNUSED_PAD src0_sel:DWORD src1_sel:WORD_1
	v_and_b32_e32 v4, 0x80000000, v4
	v_or3_b32 v10, v5, v4, v1
	buffer_store_dword v10, off, s[0:3], s32 offset:1084 ; 4-byte Folded Spill
	buffer_store_dword v11, off, s[0:3], s32 offset:1088 ; 4-byte Folded Spill
.LBB216_872:                            ;   in Loop: Header=BB216_15 Depth=1
	s_or_b32 exec_lo, exec_lo, s20
.LBB216_873:                            ;   in Loop: Header=BB216_15 Depth=1
	s_or_b32 exec_lo, exec_lo, s19
.LBB216_874:                            ;   in Loop: Header=BB216_15 Depth=1
	s_or_b32 exec_lo, exec_lo, s18
	s_mov_b32 s18, exec_lo
	v_cmpx_lt_u32_e32 0xffffff, v0
	s_cbranch_execz .LBB216_882
; %bb.875:                              ;   in Loop: Header=BB216_15 Depth=1
	v_mov_b32_e32 v1, 0x80
	v_mov_b32_e32 v115, v11
	buffer_store_dword v115, off, s[0:3], s32 offset:1076 ; 4-byte Folded Spill
	buffer_store_dword v116, off, s[0:3], s32 offset:1080 ; 4-byte Folded Spill
	v_cmp_ne_u32_sdwa s5, v0, v1 src0_sel:BYTE_3 src1_sel:DWORD
	s_and_saveexec_b32 s19, s5
	s_cbranch_execz .LBB216_881
; %bb.876:                              ;   in Loop: Header=BB216_15 Depth=1
	s_clause 0x1
	buffer_load_dword v5, off, s[0:3], s32 offset:192
	buffer_load_dword v6, off, s[0:3], s32 offset:196
	v_bfe_u32 v4, v0, 24, 7
	s_waitcnt vmcnt(1)
	v_mov_b32_e32 v5, v11
	s_mov_b32 s20, exec_lo
	s_waitcnt vmcnt(0)
	v_mov_b32_e32 v1, v6
	buffer_store_dword v0, off, s[0:3], s32 offset:192 ; 4-byte Folded Spill
	buffer_store_dword v1, off, s[0:3], s32 offset:196 ; 4-byte Folded Spill
	;; [unrolled: 1-line block ×4, first 2 shown]
	v_cmpx_ne_u32_e32 0x7f, v4
	s_cbranch_execz .LBB216_880
; %bb.877:                              ;   in Loop: Header=BB216_15 Depth=1
	v_mov_b32_e32 v1, 7
	s_mov_b32 s21, exec_lo
	v_and_b32_sdwa v10, v0, v1 dst_sel:DWORD dst_unused:UNUSED_PAD src0_sel:BYTE_3 src1_sel:DWORD
	v_lshrrev_b32_e32 v1, 3, v4
	v_cmpx_gt_u32_e32 8, v4
; %bb.878:                              ;   in Loop: Header=BB216_15 Depth=1
	v_ffbh_u32_e32 v1, v10
	v_min_u32_e32 v1, 32, v1
	v_subrev_nc_u32_e32 v4, 28, v1
	v_sub_nc_u32_e32 v1, 29, v1
	v_lshlrev_b64 v[4:5], v4, v[10:11]
	v_and_b32_e32 v10, 7, v4
; %bb.879:                              ;   in Loop: Header=BB216_15 Depth=1
	s_or_b32 exec_lo, exec_lo, s21
	v_mov_b32_e32 v4, 24
	v_lshl_add_u32 v1, v1, 23, 0x3c000000
	v_lshlrev_b32_sdwa v0, v4, v0 dst_sel:DWORD dst_unused:UNUSED_PAD src0_sel:DWORD src1_sel:BYTE_3
	v_lshlrev_b32_e32 v4, 20, v10
	v_and_b32_e32 v0, 0x80000000, v0
	v_or3_b32 v1, v4, v0, v1
	v_mov_b32_e32 v0, v11
	buffer_store_dword v0, off, s[0:3], s32 offset:1076 ; 4-byte Folded Spill
	buffer_store_dword v1, off, s[0:3], s32 offset:1080 ; 4-byte Folded Spill
.LBB216_880:                            ;   in Loop: Header=BB216_15 Depth=1
	s_or_b32 exec_lo, exec_lo, s20
.LBB216_881:                            ;   in Loop: Header=BB216_15 Depth=1
	s_or_b32 exec_lo, exec_lo, s19
.LBB216_882:                            ;   in Loop: Header=BB216_15 Depth=1
	s_or_b32 exec_lo, exec_lo, s18
	flat_load_dword v0, v[2:3] offset:1036
	v_mov_b32_e32 v4, 0
	v_mov_b32_e32 v5, 0
	buffer_store_dword v4, off, s[0:3], s32 offset:1100 ; 4-byte Folded Spill
	buffer_store_dword v5, off, s[0:3], s32 offset:1104 ; 4-byte Folded Spill
	v_mov_b32_e32 v4, 0
	v_mov_b32_e32 v5, 0
	buffer_store_dword v4, off, s[0:3], s32 offset:1092 ; 4-byte Folded Spill
	buffer_store_dword v5, off, s[0:3], s32 offset:1096 ; 4-byte Folded Spill
	s_waitcnt vmcnt(0) lgkmcnt(0)
	v_cmp_ne_u16_sdwa s5, v0, v11 src0_sel:BYTE_0 src1_sel:DWORD
	s_and_saveexec_b32 s18, s5
	s_cbranch_execz .LBB216_890
; %bb.883:                              ;   in Loop: Header=BB216_15 Depth=1
	v_mov_b32_e32 v1, 0x80
	v_bfrev_b32_e32 v4, 1
	v_mov_b32_e32 v5, 0
	buffer_store_dword v4, off, s[0:3], s32 offset:1092 ; 4-byte Folded Spill
	buffer_store_dword v5, off, s[0:3], s32 offset:1096 ; 4-byte Folded Spill
	v_cmp_ne_u16_sdwa s5, v0, v1 src0_sel:BYTE_0 src1_sel:DWORD
	s_and_saveexec_b32 s19, s5
	s_cbranch_execz .LBB216_889
; %bb.884:                              ;   in Loop: Header=BB216_15 Depth=1
	v_mov_b32_e32 v5, 0x7f800001
	v_and_b32_e32 v4, 0x7f, v0
	v_mov_b32_e32 v6, 0
	s_mov_b32 s20, exec_lo
	buffer_store_dword v5, off, s[0:3], s32 offset:1092 ; 4-byte Folded Spill
	buffer_store_dword v6, off, s[0:3], s32 offset:1096 ; 4-byte Folded Spill
	v_cmpx_ne_u32_e32 0x7f, v4
	s_cbranch_execz .LBB216_888
; %bb.885:                              ;   in Loop: Header=BB216_15 Depth=1
	v_and_b32_e32 v10, 7, v0
	v_lshrrev_b32_e32 v1, 3, v4
	s_mov_b32 s21, exec_lo
	v_cmpx_gt_u32_e32 8, v4
; %bb.886:                              ;   in Loop: Header=BB216_15 Depth=1
	v_ffbh_u32_e32 v1, v10
	v_min_u32_e32 v1, 32, v1
	v_subrev_nc_u32_e32 v4, 28, v1
	v_sub_nc_u32_e32 v1, 29, v1
	v_lshlrev_b64 v[4:5], v4, v[10:11]
	v_and_b32_e32 v10, 7, v4
; %bb.887:                              ;   in Loop: Header=BB216_15 Depth=1
	s_or_b32 exec_lo, exec_lo, s21
	v_lshlrev_b32_e32 v4, 24, v0
	v_lshlrev_b32_e32 v5, 20, v10
	v_lshl_add_u32 v1, v1, 23, 0x3c000000
	v_and_b32_e32 v4, 0x80000000, v4
	v_or3_b32 v10, v5, v4, v1
	buffer_store_dword v10, off, s[0:3], s32 offset:1092 ; 4-byte Folded Spill
	buffer_store_dword v11, off, s[0:3], s32 offset:1096 ; 4-byte Folded Spill
.LBB216_888:                            ;   in Loop: Header=BB216_15 Depth=1
	s_or_b32 exec_lo, exec_lo, s20
.LBB216_889:                            ;   in Loop: Header=BB216_15 Depth=1
	s_or_b32 exec_lo, exec_lo, s19
.LBB216_890:                            ;   in Loop: Header=BB216_15 Depth=1
	s_or_b32 exec_lo, exec_lo, s18
	v_cmp_ne_u16_sdwa s5, v0, v11 src0_sel:BYTE_1 src1_sel:DWORD
	s_and_saveexec_b32 s18, s5
	s_cbranch_execz .LBB216_898
; %bb.891:                              ;   in Loop: Header=BB216_15 Depth=1
	v_mov_b32_e32 v1, 0x80
	v_mov_b32_e32 v115, v11
	buffer_store_dword v115, off, s[0:3], s32 offset:1100 ; 4-byte Folded Spill
	buffer_store_dword v116, off, s[0:3], s32 offset:1104 ; 4-byte Folded Spill
	v_cmp_ne_u16_sdwa s5, v0, v1 src0_sel:BYTE_1 src1_sel:DWORD
	s_and_saveexec_b32 s19, s5
	s_cbranch_execz .LBB216_897
; %bb.892:                              ;   in Loop: Header=BB216_15 Depth=1
	s_clause 0x1
	buffer_load_dword v5, off, s[0:3], s32 offset:192
	buffer_load_dword v6, off, s[0:3], s32 offset:196
	v_mov_b32_e32 v1, 0xffff
	s_mov_b32 s20, exec_lo
	v_and_b32_sdwa v1, v1, v0 dst_sel:DWORD dst_unused:UNUSED_PAD src0_sel:DWORD src1_sel:BYTE_1
	v_and_b32_e32 v4, 0x7f, v1
	s_waitcnt vmcnt(0)
	v_mov_b32_e32 v7, v6
	v_mov_b32_e32 v6, v11
	;; [unrolled: 1-line block ×3, first 2 shown]
	buffer_store_dword v4, off, s[0:3], s32 offset:192 ; 4-byte Folded Spill
	buffer_store_dword v5, off, s[0:3], s32 offset:196 ; 4-byte Folded Spill
	;; [unrolled: 1-line block ×4, first 2 shown]
	v_cmpx_ne_u32_e32 0x7f, v4
	s_cbranch_execz .LBB216_896
; %bb.893:                              ;   in Loop: Header=BB216_15 Depth=1
	v_and_b32_e32 v10, 7, v1
	v_lshrrev_b32_e32 v1, 3, v4
	s_mov_b32 s21, exec_lo
	v_cmpx_gt_u32_e32 8, v4
; %bb.894:                              ;   in Loop: Header=BB216_15 Depth=1
	v_ffbh_u32_e32 v1, v10
	v_min_u32_e32 v1, 32, v1
	v_subrev_nc_u32_e32 v4, 28, v1
	v_sub_nc_u32_e32 v1, 29, v1
	v_lshlrev_b64 v[4:5], v4, v[10:11]
	v_and_b32_e32 v10, 7, v4
; %bb.895:                              ;   in Loop: Header=BB216_15 Depth=1
	s_or_b32 exec_lo, exec_lo, s21
	v_lshlrev_b32_e32 v4, 16, v0
	v_lshlrev_b32_e32 v5, 20, v10
	v_lshl_add_u32 v1, v1, 23, 0x3c000000
	v_and_b32_e32 v4, 0x80000000, v4
	v_or3_b32 v5, v5, v4, v1
	v_mov_b32_e32 v4, v11
	buffer_store_dword v4, off, s[0:3], s32 offset:1100 ; 4-byte Folded Spill
	buffer_store_dword v5, off, s[0:3], s32 offset:1104 ; 4-byte Folded Spill
.LBB216_896:                            ;   in Loop: Header=BB216_15 Depth=1
	s_or_b32 exec_lo, exec_lo, s20
.LBB216_897:                            ;   in Loop: Header=BB216_15 Depth=1
	s_or_b32 exec_lo, exec_lo, s19
.LBB216_898:                            ;   in Loop: Header=BB216_15 Depth=1
	s_or_b32 exec_lo, exec_lo, s18
	v_mov_b32_e32 v4, 0
	v_mov_b32_e32 v5, 0
	;; [unrolled: 1-line block ×3, first 2 shown]
	s_mov_b32 s18, exec_lo
	buffer_store_dword v4, off, s[0:3], s32 offset:1108 ; 4-byte Folded Spill
	buffer_store_dword v5, off, s[0:3], s32 offset:1112 ; 4-byte Folded Spill
	v_mov_b32_e32 v4, 0
	v_and_b32_sdwa v1, v0, v1 dst_sel:DWORD dst_unused:UNUSED_PAD src0_sel:WORD_1 src1_sel:DWORD
	v_mov_b32_e32 v5, 0
	buffer_store_dword v4, off, s[0:3], s32 offset:1116 ; 4-byte Folded Spill
	buffer_store_dword v5, off, s[0:3], s32 offset:1120 ; 4-byte Folded Spill
	v_cmpx_ne_u16_e32 0, v1
	s_cbranch_execz .LBB216_906
; %bb.899:                              ;   in Loop: Header=BB216_15 Depth=1
	v_bfrev_b32_e32 v4, 1
	v_mov_b32_e32 v5, 0
	s_mov_b32 s19, exec_lo
	buffer_store_dword v4, off, s[0:3], s32 offset:1116 ; 4-byte Folded Spill
	buffer_store_dword v5, off, s[0:3], s32 offset:1120 ; 4-byte Folded Spill
	v_cmpx_ne_u16_e32 0x80, v1
	s_cbranch_execz .LBB216_905
; %bb.900:                              ;   in Loop: Header=BB216_15 Depth=1
	v_mov_b32_e32 v5, 0x7f800001
	v_bfe_u32 v4, v0, 16, 7
	v_mov_b32_e32 v6, 0
	s_mov_b32 s20, exec_lo
	buffer_store_dword v5, off, s[0:3], s32 offset:1116 ; 4-byte Folded Spill
	buffer_store_dword v6, off, s[0:3], s32 offset:1120 ; 4-byte Folded Spill
	v_cmpx_ne_u32_e32 0x7f, v4
	s_cbranch_execz .LBB216_904
; %bb.901:                              ;   in Loop: Header=BB216_15 Depth=1
	v_mov_b32_e32 v1, 7
	s_mov_b32 s21, exec_lo
	v_and_b32_sdwa v10, v0, v1 dst_sel:DWORD dst_unused:UNUSED_PAD src0_sel:WORD_1 src1_sel:DWORD
	v_lshrrev_b32_e32 v1, 3, v4
	v_cmpx_gt_u32_e32 8, v4
; %bb.902:                              ;   in Loop: Header=BB216_15 Depth=1
	v_ffbh_u32_e32 v1, v10
	v_min_u32_e32 v1, 32, v1
	v_subrev_nc_u32_e32 v4, 28, v1
	v_sub_nc_u32_e32 v1, 29, v1
	v_lshlrev_b64 v[4:5], v4, v[10:11]
	v_and_b32_e32 v10, 7, v4
; %bb.903:                              ;   in Loop: Header=BB216_15 Depth=1
	s_or_b32 exec_lo, exec_lo, s21
	v_mov_b32_e32 v4, 24
	v_lshlrev_b32_e32 v5, 20, v10
	v_lshl_add_u32 v1, v1, 23, 0x3c000000
	v_lshlrev_b32_sdwa v4, v4, v0 dst_sel:DWORD dst_unused:UNUSED_PAD src0_sel:DWORD src1_sel:WORD_1
	v_and_b32_e32 v4, 0x80000000, v4
	v_or3_b32 v10, v5, v4, v1
	buffer_store_dword v10, off, s[0:3], s32 offset:1116 ; 4-byte Folded Spill
	buffer_store_dword v11, off, s[0:3], s32 offset:1120 ; 4-byte Folded Spill
.LBB216_904:                            ;   in Loop: Header=BB216_15 Depth=1
	s_or_b32 exec_lo, exec_lo, s20
.LBB216_905:                            ;   in Loop: Header=BB216_15 Depth=1
	s_or_b32 exec_lo, exec_lo, s19
.LBB216_906:                            ;   in Loop: Header=BB216_15 Depth=1
	s_or_b32 exec_lo, exec_lo, s18
	s_mov_b32 s18, exec_lo
	v_cmpx_lt_u32_e32 0xffffff, v0
	s_cbranch_execz .LBB216_914
; %bb.907:                              ;   in Loop: Header=BB216_15 Depth=1
	v_mov_b32_e32 v1, 0x80
	v_mov_b32_e32 v115, v11
	buffer_store_dword v115, off, s[0:3], s32 offset:1108 ; 4-byte Folded Spill
	buffer_store_dword v116, off, s[0:3], s32 offset:1112 ; 4-byte Folded Spill
	v_cmp_ne_u32_sdwa s5, v0, v1 src0_sel:BYTE_3 src1_sel:DWORD
	s_and_saveexec_b32 s19, s5
	s_cbranch_execz .LBB216_913
; %bb.908:                              ;   in Loop: Header=BB216_15 Depth=1
	s_clause 0x1
	buffer_load_dword v5, off, s[0:3], s32 offset:192
	buffer_load_dword v6, off, s[0:3], s32 offset:196
	v_bfe_u32 v4, v0, 24, 7
	s_waitcnt vmcnt(1)
	v_mov_b32_e32 v5, v11
	s_mov_b32 s20, exec_lo
	s_waitcnt vmcnt(0)
	v_mov_b32_e32 v1, v6
	buffer_store_dword v0, off, s[0:3], s32 offset:192 ; 4-byte Folded Spill
	buffer_store_dword v1, off, s[0:3], s32 offset:196 ; 4-byte Folded Spill
	;; [unrolled: 1-line block ×4, first 2 shown]
	v_cmpx_ne_u32_e32 0x7f, v4
	s_cbranch_execz .LBB216_912
; %bb.909:                              ;   in Loop: Header=BB216_15 Depth=1
	v_mov_b32_e32 v1, 7
	s_mov_b32 s21, exec_lo
	v_and_b32_sdwa v10, v0, v1 dst_sel:DWORD dst_unused:UNUSED_PAD src0_sel:BYTE_3 src1_sel:DWORD
	v_lshrrev_b32_e32 v1, 3, v4
	v_cmpx_gt_u32_e32 8, v4
; %bb.910:                              ;   in Loop: Header=BB216_15 Depth=1
	v_ffbh_u32_e32 v1, v10
	v_min_u32_e32 v1, 32, v1
	v_subrev_nc_u32_e32 v4, 28, v1
	v_sub_nc_u32_e32 v1, 29, v1
	v_lshlrev_b64 v[4:5], v4, v[10:11]
	v_and_b32_e32 v10, 7, v4
; %bb.911:                              ;   in Loop: Header=BB216_15 Depth=1
	s_or_b32 exec_lo, exec_lo, s21
	v_mov_b32_e32 v4, 24
	v_lshl_add_u32 v1, v1, 23, 0x3c000000
	v_lshlrev_b32_sdwa v0, v4, v0 dst_sel:DWORD dst_unused:UNUSED_PAD src0_sel:DWORD src1_sel:BYTE_3
	v_lshlrev_b32_e32 v4, 20, v10
	v_and_b32_e32 v0, 0x80000000, v0
	v_or3_b32 v1, v4, v0, v1
	v_mov_b32_e32 v0, v11
	buffer_store_dword v0, off, s[0:3], s32 offset:1108 ; 4-byte Folded Spill
	buffer_store_dword v1, off, s[0:3], s32 offset:1112 ; 4-byte Folded Spill
.LBB216_912:                            ;   in Loop: Header=BB216_15 Depth=1
	s_or_b32 exec_lo, exec_lo, s20
.LBB216_913:                            ;   in Loop: Header=BB216_15 Depth=1
	s_or_b32 exec_lo, exec_lo, s19
.LBB216_914:                            ;   in Loop: Header=BB216_15 Depth=1
	s_or_b32 exec_lo, exec_lo, s18
	flat_load_dword v0, v[2:3] offset:1536
	v_mov_b32_e32 v4, 0
	v_mov_b32_e32 v5, 0
	buffer_store_dword v4, off, s[0:3], s32 offset:1132 ; 4-byte Folded Spill
	buffer_store_dword v5, off, s[0:3], s32 offset:1136 ; 4-byte Folded Spill
	v_mov_b32_e32 v4, 0
	v_mov_b32_e32 v5, 0
	buffer_store_dword v4, off, s[0:3], s32 offset:1124 ; 4-byte Folded Spill
	buffer_store_dword v5, off, s[0:3], s32 offset:1128 ; 4-byte Folded Spill
	s_waitcnt vmcnt(0) lgkmcnt(0)
	v_cmp_ne_u16_sdwa s5, v0, v11 src0_sel:BYTE_0 src1_sel:DWORD
	s_and_saveexec_b32 s18, s5
	s_cbranch_execz .LBB216_922
; %bb.915:                              ;   in Loop: Header=BB216_15 Depth=1
	v_mov_b32_e32 v1, 0x80
	v_bfrev_b32_e32 v4, 1
	v_mov_b32_e32 v5, 0
	buffer_store_dword v4, off, s[0:3], s32 offset:1124 ; 4-byte Folded Spill
	buffer_store_dword v5, off, s[0:3], s32 offset:1128 ; 4-byte Folded Spill
	v_cmp_ne_u16_sdwa s5, v0, v1 src0_sel:BYTE_0 src1_sel:DWORD
	s_and_saveexec_b32 s19, s5
	s_cbranch_execz .LBB216_921
; %bb.916:                              ;   in Loop: Header=BB216_15 Depth=1
	v_mov_b32_e32 v5, 0x7f800001
	v_and_b32_e32 v4, 0x7f, v0
	v_mov_b32_e32 v6, 0
	s_mov_b32 s20, exec_lo
	buffer_store_dword v5, off, s[0:3], s32 offset:1124 ; 4-byte Folded Spill
	buffer_store_dword v6, off, s[0:3], s32 offset:1128 ; 4-byte Folded Spill
	v_cmpx_ne_u32_e32 0x7f, v4
	s_cbranch_execz .LBB216_920
; %bb.917:                              ;   in Loop: Header=BB216_15 Depth=1
	v_and_b32_e32 v10, 7, v0
	v_lshrrev_b32_e32 v1, 3, v4
	s_mov_b32 s21, exec_lo
	v_cmpx_gt_u32_e32 8, v4
; %bb.918:                              ;   in Loop: Header=BB216_15 Depth=1
	v_ffbh_u32_e32 v1, v10
	v_min_u32_e32 v1, 32, v1
	v_subrev_nc_u32_e32 v4, 28, v1
	v_sub_nc_u32_e32 v1, 29, v1
	v_lshlrev_b64 v[4:5], v4, v[10:11]
	v_and_b32_e32 v10, 7, v4
; %bb.919:                              ;   in Loop: Header=BB216_15 Depth=1
	s_or_b32 exec_lo, exec_lo, s21
	v_lshlrev_b32_e32 v4, 24, v0
	v_lshlrev_b32_e32 v5, 20, v10
	v_lshl_add_u32 v1, v1, 23, 0x3c000000
	v_and_b32_e32 v4, 0x80000000, v4
	v_or3_b32 v10, v5, v4, v1
	buffer_store_dword v10, off, s[0:3], s32 offset:1124 ; 4-byte Folded Spill
	buffer_store_dword v11, off, s[0:3], s32 offset:1128 ; 4-byte Folded Spill
.LBB216_920:                            ;   in Loop: Header=BB216_15 Depth=1
	s_or_b32 exec_lo, exec_lo, s20
.LBB216_921:                            ;   in Loop: Header=BB216_15 Depth=1
	s_or_b32 exec_lo, exec_lo, s19
.LBB216_922:                            ;   in Loop: Header=BB216_15 Depth=1
	s_or_b32 exec_lo, exec_lo, s18
	v_cmp_ne_u16_sdwa s5, v0, v11 src0_sel:BYTE_1 src1_sel:DWORD
	s_and_saveexec_b32 s18, s5
	s_cbranch_execz .LBB216_930
; %bb.923:                              ;   in Loop: Header=BB216_15 Depth=1
	v_mov_b32_e32 v1, 0x80
	v_mov_b32_e32 v115, v11
	buffer_store_dword v115, off, s[0:3], s32 offset:1132 ; 4-byte Folded Spill
	buffer_store_dword v116, off, s[0:3], s32 offset:1136 ; 4-byte Folded Spill
	v_cmp_ne_u16_sdwa s5, v0, v1 src0_sel:BYTE_1 src1_sel:DWORD
	s_and_saveexec_b32 s19, s5
	s_cbranch_execz .LBB216_929
; %bb.924:                              ;   in Loop: Header=BB216_15 Depth=1
	s_clause 0x1
	buffer_load_dword v5, off, s[0:3], s32 offset:192
	buffer_load_dword v6, off, s[0:3], s32 offset:196
	v_mov_b32_e32 v1, 0xffff
	s_mov_b32 s20, exec_lo
	v_and_b32_sdwa v1, v1, v0 dst_sel:DWORD dst_unused:UNUSED_PAD src0_sel:DWORD src1_sel:BYTE_1
	v_and_b32_e32 v4, 0x7f, v1
	s_waitcnt vmcnt(0)
	v_mov_b32_e32 v7, v6
	v_mov_b32_e32 v6, v11
	;; [unrolled: 1-line block ×3, first 2 shown]
	buffer_store_dword v4, off, s[0:3], s32 offset:192 ; 4-byte Folded Spill
	buffer_store_dword v5, off, s[0:3], s32 offset:196 ; 4-byte Folded Spill
	buffer_store_dword v6, off, s[0:3], s32 offset:1132 ; 4-byte Folded Spill
	buffer_store_dword v7, off, s[0:3], s32 offset:1136 ; 4-byte Folded Spill
	v_cmpx_ne_u32_e32 0x7f, v4
	s_cbranch_execz .LBB216_928
; %bb.925:                              ;   in Loop: Header=BB216_15 Depth=1
	v_and_b32_e32 v10, 7, v1
	v_lshrrev_b32_e32 v1, 3, v4
	s_mov_b32 s21, exec_lo
	v_cmpx_gt_u32_e32 8, v4
; %bb.926:                              ;   in Loop: Header=BB216_15 Depth=1
	v_ffbh_u32_e32 v1, v10
	v_min_u32_e32 v1, 32, v1
	v_subrev_nc_u32_e32 v4, 28, v1
	v_sub_nc_u32_e32 v1, 29, v1
	v_lshlrev_b64 v[4:5], v4, v[10:11]
	v_and_b32_e32 v10, 7, v4
; %bb.927:                              ;   in Loop: Header=BB216_15 Depth=1
	s_or_b32 exec_lo, exec_lo, s21
	v_lshlrev_b32_e32 v4, 16, v0
	v_lshlrev_b32_e32 v5, 20, v10
	v_lshl_add_u32 v1, v1, 23, 0x3c000000
	v_and_b32_e32 v4, 0x80000000, v4
	v_or3_b32 v5, v5, v4, v1
	v_mov_b32_e32 v4, v11
	buffer_store_dword v4, off, s[0:3], s32 offset:1132 ; 4-byte Folded Spill
	buffer_store_dword v5, off, s[0:3], s32 offset:1136 ; 4-byte Folded Spill
.LBB216_928:                            ;   in Loop: Header=BB216_15 Depth=1
	s_or_b32 exec_lo, exec_lo, s20
.LBB216_929:                            ;   in Loop: Header=BB216_15 Depth=1
	s_or_b32 exec_lo, exec_lo, s19
.LBB216_930:                            ;   in Loop: Header=BB216_15 Depth=1
	s_or_b32 exec_lo, exec_lo, s18
	v_mov_b32_e32 v4, 0
	v_mov_b32_e32 v5, 0
	;; [unrolled: 1-line block ×3, first 2 shown]
	s_mov_b32 s18, exec_lo
	buffer_store_dword v4, off, s[0:3], s32 offset:1140 ; 4-byte Folded Spill
	buffer_store_dword v5, off, s[0:3], s32 offset:1144 ; 4-byte Folded Spill
	v_mov_b32_e32 v4, 0
	v_and_b32_sdwa v1, v0, v1 dst_sel:DWORD dst_unused:UNUSED_PAD src0_sel:WORD_1 src1_sel:DWORD
	v_mov_b32_e32 v5, 0
	buffer_store_dword v4, off, s[0:3], s32 offset:1148 ; 4-byte Folded Spill
	buffer_store_dword v5, off, s[0:3], s32 offset:1152 ; 4-byte Folded Spill
	v_cmpx_ne_u16_e32 0, v1
	s_cbranch_execz .LBB216_938
; %bb.931:                              ;   in Loop: Header=BB216_15 Depth=1
	v_bfrev_b32_e32 v4, 1
	v_mov_b32_e32 v5, 0
	s_mov_b32 s19, exec_lo
	buffer_store_dword v4, off, s[0:3], s32 offset:1148 ; 4-byte Folded Spill
	buffer_store_dword v5, off, s[0:3], s32 offset:1152 ; 4-byte Folded Spill
	v_cmpx_ne_u16_e32 0x80, v1
	s_cbranch_execz .LBB216_937
; %bb.932:                              ;   in Loop: Header=BB216_15 Depth=1
	v_mov_b32_e32 v5, 0x7f800001
	v_bfe_u32 v4, v0, 16, 7
	v_mov_b32_e32 v6, 0
	s_mov_b32 s20, exec_lo
	buffer_store_dword v5, off, s[0:3], s32 offset:1148 ; 4-byte Folded Spill
	buffer_store_dword v6, off, s[0:3], s32 offset:1152 ; 4-byte Folded Spill
	v_cmpx_ne_u32_e32 0x7f, v4
	s_cbranch_execz .LBB216_936
; %bb.933:                              ;   in Loop: Header=BB216_15 Depth=1
	v_mov_b32_e32 v1, 7
	s_mov_b32 s21, exec_lo
	v_and_b32_sdwa v10, v0, v1 dst_sel:DWORD dst_unused:UNUSED_PAD src0_sel:WORD_1 src1_sel:DWORD
	v_lshrrev_b32_e32 v1, 3, v4
	v_cmpx_gt_u32_e32 8, v4
; %bb.934:                              ;   in Loop: Header=BB216_15 Depth=1
	v_ffbh_u32_e32 v1, v10
	v_min_u32_e32 v1, 32, v1
	v_subrev_nc_u32_e32 v4, 28, v1
	v_sub_nc_u32_e32 v1, 29, v1
	v_lshlrev_b64 v[4:5], v4, v[10:11]
	v_and_b32_e32 v10, 7, v4
; %bb.935:                              ;   in Loop: Header=BB216_15 Depth=1
	s_or_b32 exec_lo, exec_lo, s21
	v_mov_b32_e32 v4, 24
	v_lshlrev_b32_e32 v5, 20, v10
	v_lshl_add_u32 v1, v1, 23, 0x3c000000
	v_lshlrev_b32_sdwa v4, v4, v0 dst_sel:DWORD dst_unused:UNUSED_PAD src0_sel:DWORD src1_sel:WORD_1
	v_and_b32_e32 v4, 0x80000000, v4
	v_or3_b32 v10, v5, v4, v1
	buffer_store_dword v10, off, s[0:3], s32 offset:1148 ; 4-byte Folded Spill
	buffer_store_dword v11, off, s[0:3], s32 offset:1152 ; 4-byte Folded Spill
.LBB216_936:                            ;   in Loop: Header=BB216_15 Depth=1
	s_or_b32 exec_lo, exec_lo, s20
.LBB216_937:                            ;   in Loop: Header=BB216_15 Depth=1
	s_or_b32 exec_lo, exec_lo, s19
.LBB216_938:                            ;   in Loop: Header=BB216_15 Depth=1
	s_or_b32 exec_lo, exec_lo, s18
	s_mov_b32 s18, exec_lo
	v_cmpx_lt_u32_e32 0xffffff, v0
	s_cbranch_execz .LBB216_946
; %bb.939:                              ;   in Loop: Header=BB216_15 Depth=1
	v_mov_b32_e32 v1, 0x80
	v_mov_b32_e32 v115, v11
	buffer_store_dword v115, off, s[0:3], s32 offset:1140 ; 4-byte Folded Spill
	buffer_store_dword v116, off, s[0:3], s32 offset:1144 ; 4-byte Folded Spill
	v_cmp_ne_u32_sdwa s5, v0, v1 src0_sel:BYTE_3 src1_sel:DWORD
	s_and_saveexec_b32 s19, s5
	s_cbranch_execz .LBB216_945
; %bb.940:                              ;   in Loop: Header=BB216_15 Depth=1
	s_clause 0x1
	buffer_load_dword v5, off, s[0:3], s32 offset:192
	buffer_load_dword v6, off, s[0:3], s32 offset:196
	v_bfe_u32 v4, v0, 24, 7
	s_waitcnt vmcnt(1)
	v_mov_b32_e32 v5, v11
	s_mov_b32 s20, exec_lo
	s_waitcnt vmcnt(0)
	v_mov_b32_e32 v1, v6
	buffer_store_dword v0, off, s[0:3], s32 offset:192 ; 4-byte Folded Spill
	buffer_store_dword v1, off, s[0:3], s32 offset:196 ; 4-byte Folded Spill
	;; [unrolled: 1-line block ×4, first 2 shown]
	v_cmpx_ne_u32_e32 0x7f, v4
	s_cbranch_execz .LBB216_944
; %bb.941:                              ;   in Loop: Header=BB216_15 Depth=1
	v_mov_b32_e32 v1, 7
	s_mov_b32 s21, exec_lo
	v_and_b32_sdwa v10, v0, v1 dst_sel:DWORD dst_unused:UNUSED_PAD src0_sel:BYTE_3 src1_sel:DWORD
	v_lshrrev_b32_e32 v1, 3, v4
	v_cmpx_gt_u32_e32 8, v4
; %bb.942:                              ;   in Loop: Header=BB216_15 Depth=1
	v_ffbh_u32_e32 v1, v10
	v_min_u32_e32 v1, 32, v1
	v_subrev_nc_u32_e32 v4, 28, v1
	v_sub_nc_u32_e32 v1, 29, v1
	v_lshlrev_b64 v[4:5], v4, v[10:11]
	v_and_b32_e32 v10, 7, v4
; %bb.943:                              ;   in Loop: Header=BB216_15 Depth=1
	s_or_b32 exec_lo, exec_lo, s21
	v_mov_b32_e32 v4, 24
	v_lshl_add_u32 v1, v1, 23, 0x3c000000
	v_lshlrev_b32_sdwa v0, v4, v0 dst_sel:DWORD dst_unused:UNUSED_PAD src0_sel:DWORD src1_sel:BYTE_3
	v_lshlrev_b32_e32 v4, 20, v10
	v_and_b32_e32 v0, 0x80000000, v0
	v_or3_b32 v1, v4, v0, v1
	v_mov_b32_e32 v0, v11
	buffer_store_dword v0, off, s[0:3], s32 offset:1140 ; 4-byte Folded Spill
	buffer_store_dword v1, off, s[0:3], s32 offset:1144 ; 4-byte Folded Spill
.LBB216_944:                            ;   in Loop: Header=BB216_15 Depth=1
	s_or_b32 exec_lo, exec_lo, s20
.LBB216_945:                            ;   in Loop: Header=BB216_15 Depth=1
	s_or_b32 exec_lo, exec_lo, s19
.LBB216_946:                            ;   in Loop: Header=BB216_15 Depth=1
	s_or_b32 exec_lo, exec_lo, s18
	flat_load_dword v0, v[2:3] offset:1540
	v_mov_b32_e32 v4, 0
	v_mov_b32_e32 v5, 0
	buffer_store_dword v4, off, s[0:3], s32 offset:1164 ; 4-byte Folded Spill
	buffer_store_dword v5, off, s[0:3], s32 offset:1168 ; 4-byte Folded Spill
	v_mov_b32_e32 v4, 0
	v_mov_b32_e32 v5, 0
	buffer_store_dword v4, off, s[0:3], s32 offset:1156 ; 4-byte Folded Spill
	buffer_store_dword v5, off, s[0:3], s32 offset:1160 ; 4-byte Folded Spill
	s_waitcnt vmcnt(0) lgkmcnt(0)
	v_cmp_ne_u16_sdwa s5, v0, v11 src0_sel:BYTE_0 src1_sel:DWORD
	s_and_saveexec_b32 s18, s5
	s_cbranch_execz .LBB216_954
; %bb.947:                              ;   in Loop: Header=BB216_15 Depth=1
	v_mov_b32_e32 v1, 0x80
	v_bfrev_b32_e32 v4, 1
	v_mov_b32_e32 v5, 0
	buffer_store_dword v4, off, s[0:3], s32 offset:1156 ; 4-byte Folded Spill
	buffer_store_dword v5, off, s[0:3], s32 offset:1160 ; 4-byte Folded Spill
	v_cmp_ne_u16_sdwa s5, v0, v1 src0_sel:BYTE_0 src1_sel:DWORD
	s_and_saveexec_b32 s19, s5
	s_cbranch_execz .LBB216_953
; %bb.948:                              ;   in Loop: Header=BB216_15 Depth=1
	v_mov_b32_e32 v5, 0x7f800001
	v_and_b32_e32 v4, 0x7f, v0
	v_mov_b32_e32 v6, 0
	s_mov_b32 s20, exec_lo
	buffer_store_dword v5, off, s[0:3], s32 offset:1156 ; 4-byte Folded Spill
	buffer_store_dword v6, off, s[0:3], s32 offset:1160 ; 4-byte Folded Spill
	v_cmpx_ne_u32_e32 0x7f, v4
	s_cbranch_execz .LBB216_952
; %bb.949:                              ;   in Loop: Header=BB216_15 Depth=1
	v_and_b32_e32 v10, 7, v0
	v_lshrrev_b32_e32 v1, 3, v4
	s_mov_b32 s21, exec_lo
	v_cmpx_gt_u32_e32 8, v4
; %bb.950:                              ;   in Loop: Header=BB216_15 Depth=1
	v_ffbh_u32_e32 v1, v10
	v_min_u32_e32 v1, 32, v1
	v_subrev_nc_u32_e32 v4, 28, v1
	v_sub_nc_u32_e32 v1, 29, v1
	v_lshlrev_b64 v[4:5], v4, v[10:11]
	v_and_b32_e32 v10, 7, v4
; %bb.951:                              ;   in Loop: Header=BB216_15 Depth=1
	s_or_b32 exec_lo, exec_lo, s21
	v_lshlrev_b32_e32 v4, 24, v0
	v_lshlrev_b32_e32 v5, 20, v10
	v_lshl_add_u32 v1, v1, 23, 0x3c000000
	v_and_b32_e32 v4, 0x80000000, v4
	v_or3_b32 v10, v5, v4, v1
	buffer_store_dword v10, off, s[0:3], s32 offset:1156 ; 4-byte Folded Spill
	buffer_store_dword v11, off, s[0:3], s32 offset:1160 ; 4-byte Folded Spill
.LBB216_952:                            ;   in Loop: Header=BB216_15 Depth=1
	s_or_b32 exec_lo, exec_lo, s20
.LBB216_953:                            ;   in Loop: Header=BB216_15 Depth=1
	s_or_b32 exec_lo, exec_lo, s19
.LBB216_954:                            ;   in Loop: Header=BB216_15 Depth=1
	s_or_b32 exec_lo, exec_lo, s18
	v_cmp_ne_u16_sdwa s5, v0, v11 src0_sel:BYTE_1 src1_sel:DWORD
	s_and_saveexec_b32 s18, s5
	s_cbranch_execz .LBB216_962
; %bb.955:                              ;   in Loop: Header=BB216_15 Depth=1
	v_mov_b32_e32 v1, 0x80
	v_mov_b32_e32 v115, v11
	buffer_store_dword v115, off, s[0:3], s32 offset:1164 ; 4-byte Folded Spill
	buffer_store_dword v116, off, s[0:3], s32 offset:1168 ; 4-byte Folded Spill
	v_cmp_ne_u16_sdwa s5, v0, v1 src0_sel:BYTE_1 src1_sel:DWORD
	s_and_saveexec_b32 s19, s5
	s_cbranch_execz .LBB216_961
; %bb.956:                              ;   in Loop: Header=BB216_15 Depth=1
	s_clause 0x1
	buffer_load_dword v5, off, s[0:3], s32 offset:192
	buffer_load_dword v6, off, s[0:3], s32 offset:196
	v_mov_b32_e32 v1, 0xffff
	s_mov_b32 s20, exec_lo
	v_and_b32_sdwa v1, v1, v0 dst_sel:DWORD dst_unused:UNUSED_PAD src0_sel:DWORD src1_sel:BYTE_1
	v_and_b32_e32 v4, 0x7f, v1
	s_waitcnt vmcnt(0)
	v_mov_b32_e32 v7, v6
	v_mov_b32_e32 v6, v11
	;; [unrolled: 1-line block ×3, first 2 shown]
	buffer_store_dword v4, off, s[0:3], s32 offset:192 ; 4-byte Folded Spill
	buffer_store_dword v5, off, s[0:3], s32 offset:196 ; 4-byte Folded Spill
	;; [unrolled: 1-line block ×4, first 2 shown]
	v_cmpx_ne_u32_e32 0x7f, v4
	s_cbranch_execz .LBB216_960
; %bb.957:                              ;   in Loop: Header=BB216_15 Depth=1
	v_and_b32_e32 v10, 7, v1
	v_lshrrev_b32_e32 v1, 3, v4
	s_mov_b32 s21, exec_lo
	v_cmpx_gt_u32_e32 8, v4
; %bb.958:                              ;   in Loop: Header=BB216_15 Depth=1
	v_ffbh_u32_e32 v1, v10
	v_min_u32_e32 v1, 32, v1
	v_subrev_nc_u32_e32 v4, 28, v1
	v_sub_nc_u32_e32 v1, 29, v1
	v_lshlrev_b64 v[4:5], v4, v[10:11]
	v_and_b32_e32 v10, 7, v4
; %bb.959:                              ;   in Loop: Header=BB216_15 Depth=1
	s_or_b32 exec_lo, exec_lo, s21
	v_lshlrev_b32_e32 v4, 16, v0
	v_lshlrev_b32_e32 v5, 20, v10
	v_lshl_add_u32 v1, v1, 23, 0x3c000000
	v_and_b32_e32 v4, 0x80000000, v4
	v_or3_b32 v5, v5, v4, v1
	v_mov_b32_e32 v4, v11
	buffer_store_dword v4, off, s[0:3], s32 offset:1164 ; 4-byte Folded Spill
	buffer_store_dword v5, off, s[0:3], s32 offset:1168 ; 4-byte Folded Spill
.LBB216_960:                            ;   in Loop: Header=BB216_15 Depth=1
	s_or_b32 exec_lo, exec_lo, s20
.LBB216_961:                            ;   in Loop: Header=BB216_15 Depth=1
	s_or_b32 exec_lo, exec_lo, s19
.LBB216_962:                            ;   in Loop: Header=BB216_15 Depth=1
	s_or_b32 exec_lo, exec_lo, s18
	v_mov_b32_e32 v4, 0
	v_mov_b32_e32 v5, 0
	;; [unrolled: 1-line block ×3, first 2 shown]
	s_mov_b32 s18, exec_lo
	buffer_store_dword v4, off, s[0:3], s32 offset:1172 ; 4-byte Folded Spill
	buffer_store_dword v5, off, s[0:3], s32 offset:1176 ; 4-byte Folded Spill
	v_mov_b32_e32 v4, 0
	v_and_b32_sdwa v1, v0, v1 dst_sel:DWORD dst_unused:UNUSED_PAD src0_sel:WORD_1 src1_sel:DWORD
	v_mov_b32_e32 v5, 0
	buffer_store_dword v4, off, s[0:3], s32 offset:1180 ; 4-byte Folded Spill
	buffer_store_dword v5, off, s[0:3], s32 offset:1184 ; 4-byte Folded Spill
	v_cmpx_ne_u16_e32 0, v1
	s_cbranch_execz .LBB216_970
; %bb.963:                              ;   in Loop: Header=BB216_15 Depth=1
	v_bfrev_b32_e32 v4, 1
	v_mov_b32_e32 v5, 0
	s_mov_b32 s19, exec_lo
	buffer_store_dword v4, off, s[0:3], s32 offset:1180 ; 4-byte Folded Spill
	buffer_store_dword v5, off, s[0:3], s32 offset:1184 ; 4-byte Folded Spill
	v_cmpx_ne_u16_e32 0x80, v1
	s_cbranch_execz .LBB216_969
; %bb.964:                              ;   in Loop: Header=BB216_15 Depth=1
	v_mov_b32_e32 v5, 0x7f800001
	v_bfe_u32 v4, v0, 16, 7
	v_mov_b32_e32 v6, 0
	s_mov_b32 s20, exec_lo
	buffer_store_dword v5, off, s[0:3], s32 offset:1180 ; 4-byte Folded Spill
	buffer_store_dword v6, off, s[0:3], s32 offset:1184 ; 4-byte Folded Spill
	v_cmpx_ne_u32_e32 0x7f, v4
	s_cbranch_execz .LBB216_968
; %bb.965:                              ;   in Loop: Header=BB216_15 Depth=1
	v_mov_b32_e32 v1, 7
	s_mov_b32 s21, exec_lo
	v_and_b32_sdwa v10, v0, v1 dst_sel:DWORD dst_unused:UNUSED_PAD src0_sel:WORD_1 src1_sel:DWORD
	v_lshrrev_b32_e32 v1, 3, v4
	v_cmpx_gt_u32_e32 8, v4
; %bb.966:                              ;   in Loop: Header=BB216_15 Depth=1
	v_ffbh_u32_e32 v1, v10
	v_min_u32_e32 v1, 32, v1
	v_subrev_nc_u32_e32 v4, 28, v1
	v_sub_nc_u32_e32 v1, 29, v1
	v_lshlrev_b64 v[4:5], v4, v[10:11]
	v_and_b32_e32 v10, 7, v4
; %bb.967:                              ;   in Loop: Header=BB216_15 Depth=1
	s_or_b32 exec_lo, exec_lo, s21
	v_mov_b32_e32 v4, 24
	v_lshlrev_b32_e32 v5, 20, v10
	v_lshl_add_u32 v1, v1, 23, 0x3c000000
	v_lshlrev_b32_sdwa v4, v4, v0 dst_sel:DWORD dst_unused:UNUSED_PAD src0_sel:DWORD src1_sel:WORD_1
	v_and_b32_e32 v4, 0x80000000, v4
	v_or3_b32 v10, v5, v4, v1
	buffer_store_dword v10, off, s[0:3], s32 offset:1180 ; 4-byte Folded Spill
	buffer_store_dword v11, off, s[0:3], s32 offset:1184 ; 4-byte Folded Spill
.LBB216_968:                            ;   in Loop: Header=BB216_15 Depth=1
	s_or_b32 exec_lo, exec_lo, s20
.LBB216_969:                            ;   in Loop: Header=BB216_15 Depth=1
	s_or_b32 exec_lo, exec_lo, s19
.LBB216_970:                            ;   in Loop: Header=BB216_15 Depth=1
	s_or_b32 exec_lo, exec_lo, s18
	s_mov_b32 s18, exec_lo
	v_cmpx_lt_u32_e32 0xffffff, v0
	s_cbranch_execz .LBB216_978
; %bb.971:                              ;   in Loop: Header=BB216_15 Depth=1
	v_mov_b32_e32 v1, 0x80
	v_mov_b32_e32 v115, v11
	buffer_store_dword v115, off, s[0:3], s32 offset:1172 ; 4-byte Folded Spill
	buffer_store_dword v116, off, s[0:3], s32 offset:1176 ; 4-byte Folded Spill
	v_cmp_ne_u32_sdwa s5, v0, v1 src0_sel:BYTE_3 src1_sel:DWORD
	s_and_saveexec_b32 s19, s5
	s_cbranch_execz .LBB216_977
; %bb.972:                              ;   in Loop: Header=BB216_15 Depth=1
	s_clause 0x1
	buffer_load_dword v5, off, s[0:3], s32 offset:192
	buffer_load_dword v6, off, s[0:3], s32 offset:196
	v_bfe_u32 v4, v0, 24, 7
	s_waitcnt vmcnt(1)
	v_mov_b32_e32 v5, v11
	s_mov_b32 s20, exec_lo
	s_waitcnt vmcnt(0)
	v_mov_b32_e32 v1, v6
	buffer_store_dword v0, off, s[0:3], s32 offset:192 ; 4-byte Folded Spill
	buffer_store_dword v1, off, s[0:3], s32 offset:196 ; 4-byte Folded Spill
	;; [unrolled: 1-line block ×4, first 2 shown]
	v_cmpx_ne_u32_e32 0x7f, v4
	s_cbranch_execz .LBB216_976
; %bb.973:                              ;   in Loop: Header=BB216_15 Depth=1
	v_mov_b32_e32 v1, 7
	s_mov_b32 s21, exec_lo
	v_and_b32_sdwa v10, v0, v1 dst_sel:DWORD dst_unused:UNUSED_PAD src0_sel:BYTE_3 src1_sel:DWORD
	v_lshrrev_b32_e32 v1, 3, v4
	v_cmpx_gt_u32_e32 8, v4
; %bb.974:                              ;   in Loop: Header=BB216_15 Depth=1
	v_ffbh_u32_e32 v1, v10
	v_min_u32_e32 v1, 32, v1
	v_subrev_nc_u32_e32 v4, 28, v1
	v_sub_nc_u32_e32 v1, 29, v1
	v_lshlrev_b64 v[4:5], v4, v[10:11]
	v_and_b32_e32 v10, 7, v4
; %bb.975:                              ;   in Loop: Header=BB216_15 Depth=1
	s_or_b32 exec_lo, exec_lo, s21
	v_mov_b32_e32 v4, 24
	v_lshl_add_u32 v1, v1, 23, 0x3c000000
	v_lshlrev_b32_sdwa v0, v4, v0 dst_sel:DWORD dst_unused:UNUSED_PAD src0_sel:DWORD src1_sel:BYTE_3
	v_lshlrev_b32_e32 v4, 20, v10
	v_and_b32_e32 v0, 0x80000000, v0
	v_or3_b32 v1, v4, v0, v1
	v_mov_b32_e32 v0, v11
	buffer_store_dword v0, off, s[0:3], s32 offset:1172 ; 4-byte Folded Spill
	buffer_store_dword v1, off, s[0:3], s32 offset:1176 ; 4-byte Folded Spill
.LBB216_976:                            ;   in Loop: Header=BB216_15 Depth=1
	s_or_b32 exec_lo, exec_lo, s20
.LBB216_977:                            ;   in Loop: Header=BB216_15 Depth=1
	s_or_b32 exec_lo, exec_lo, s19
.LBB216_978:                            ;   in Loop: Header=BB216_15 Depth=1
	s_or_b32 exec_lo, exec_lo, s18
	flat_load_dword v0, v[2:3] offset:1544
	v_mov_b32_e32 v4, 0
	v_mov_b32_e32 v5, 0
	buffer_store_dword v4, off, s[0:3], s32 offset:1196 ; 4-byte Folded Spill
	buffer_store_dword v5, off, s[0:3], s32 offset:1200 ; 4-byte Folded Spill
	v_mov_b32_e32 v4, 0
	v_mov_b32_e32 v5, 0
	buffer_store_dword v4, off, s[0:3], s32 offset:1188 ; 4-byte Folded Spill
	buffer_store_dword v5, off, s[0:3], s32 offset:1192 ; 4-byte Folded Spill
	s_waitcnt vmcnt(0) lgkmcnt(0)
	v_cmp_ne_u16_sdwa s5, v0, v11 src0_sel:BYTE_0 src1_sel:DWORD
	s_and_saveexec_b32 s18, s5
	s_cbranch_execz .LBB216_986
; %bb.979:                              ;   in Loop: Header=BB216_15 Depth=1
	v_mov_b32_e32 v1, 0x80
	v_bfrev_b32_e32 v4, 1
	v_mov_b32_e32 v5, 0
	buffer_store_dword v4, off, s[0:3], s32 offset:1188 ; 4-byte Folded Spill
	buffer_store_dword v5, off, s[0:3], s32 offset:1192 ; 4-byte Folded Spill
	v_cmp_ne_u16_sdwa s5, v0, v1 src0_sel:BYTE_0 src1_sel:DWORD
	s_and_saveexec_b32 s19, s5
	s_cbranch_execz .LBB216_985
; %bb.980:                              ;   in Loop: Header=BB216_15 Depth=1
	v_mov_b32_e32 v5, 0x7f800001
	v_and_b32_e32 v4, 0x7f, v0
	v_mov_b32_e32 v6, 0
	s_mov_b32 s20, exec_lo
	buffer_store_dword v5, off, s[0:3], s32 offset:1188 ; 4-byte Folded Spill
	buffer_store_dword v6, off, s[0:3], s32 offset:1192 ; 4-byte Folded Spill
	v_cmpx_ne_u32_e32 0x7f, v4
	s_cbranch_execz .LBB216_984
; %bb.981:                              ;   in Loop: Header=BB216_15 Depth=1
	v_and_b32_e32 v10, 7, v0
	v_lshrrev_b32_e32 v1, 3, v4
	s_mov_b32 s21, exec_lo
	v_cmpx_gt_u32_e32 8, v4
; %bb.982:                              ;   in Loop: Header=BB216_15 Depth=1
	v_ffbh_u32_e32 v1, v10
	v_min_u32_e32 v1, 32, v1
	v_subrev_nc_u32_e32 v4, 28, v1
	v_sub_nc_u32_e32 v1, 29, v1
	v_lshlrev_b64 v[4:5], v4, v[10:11]
	v_and_b32_e32 v10, 7, v4
; %bb.983:                              ;   in Loop: Header=BB216_15 Depth=1
	s_or_b32 exec_lo, exec_lo, s21
	v_lshlrev_b32_e32 v4, 24, v0
	v_lshlrev_b32_e32 v5, 20, v10
	v_lshl_add_u32 v1, v1, 23, 0x3c000000
	v_and_b32_e32 v4, 0x80000000, v4
	v_or3_b32 v10, v5, v4, v1
	buffer_store_dword v10, off, s[0:3], s32 offset:1188 ; 4-byte Folded Spill
	buffer_store_dword v11, off, s[0:3], s32 offset:1192 ; 4-byte Folded Spill
.LBB216_984:                            ;   in Loop: Header=BB216_15 Depth=1
	s_or_b32 exec_lo, exec_lo, s20
.LBB216_985:                            ;   in Loop: Header=BB216_15 Depth=1
	s_or_b32 exec_lo, exec_lo, s19
.LBB216_986:                            ;   in Loop: Header=BB216_15 Depth=1
	s_or_b32 exec_lo, exec_lo, s18
	v_cmp_ne_u16_sdwa s5, v0, v11 src0_sel:BYTE_1 src1_sel:DWORD
	s_and_saveexec_b32 s18, s5
	s_cbranch_execz .LBB216_994
; %bb.987:                              ;   in Loop: Header=BB216_15 Depth=1
	v_mov_b32_e32 v1, 0x80
	v_mov_b32_e32 v115, v11
	buffer_store_dword v115, off, s[0:3], s32 offset:1196 ; 4-byte Folded Spill
	buffer_store_dword v116, off, s[0:3], s32 offset:1200 ; 4-byte Folded Spill
	v_cmp_ne_u16_sdwa s5, v0, v1 src0_sel:BYTE_1 src1_sel:DWORD
	s_and_saveexec_b32 s19, s5
	s_cbranch_execz .LBB216_993
; %bb.988:                              ;   in Loop: Header=BB216_15 Depth=1
	s_clause 0x1
	buffer_load_dword v5, off, s[0:3], s32 offset:192
	buffer_load_dword v6, off, s[0:3], s32 offset:196
	v_mov_b32_e32 v1, 0xffff
	s_mov_b32 s20, exec_lo
	v_and_b32_sdwa v1, v1, v0 dst_sel:DWORD dst_unused:UNUSED_PAD src0_sel:DWORD src1_sel:BYTE_1
	v_and_b32_e32 v4, 0x7f, v1
	s_waitcnt vmcnt(0)
	v_mov_b32_e32 v7, v6
	v_mov_b32_e32 v6, v11
	;; [unrolled: 1-line block ×3, first 2 shown]
	buffer_store_dword v4, off, s[0:3], s32 offset:192 ; 4-byte Folded Spill
	buffer_store_dword v5, off, s[0:3], s32 offset:196 ; 4-byte Folded Spill
	;; [unrolled: 1-line block ×4, first 2 shown]
	v_cmpx_ne_u32_e32 0x7f, v4
	s_cbranch_execz .LBB216_992
; %bb.989:                              ;   in Loop: Header=BB216_15 Depth=1
	v_and_b32_e32 v10, 7, v1
	v_lshrrev_b32_e32 v1, 3, v4
	s_mov_b32 s21, exec_lo
	v_cmpx_gt_u32_e32 8, v4
; %bb.990:                              ;   in Loop: Header=BB216_15 Depth=1
	v_ffbh_u32_e32 v1, v10
	v_min_u32_e32 v1, 32, v1
	v_subrev_nc_u32_e32 v4, 28, v1
	v_sub_nc_u32_e32 v1, 29, v1
	v_lshlrev_b64 v[4:5], v4, v[10:11]
	v_and_b32_e32 v10, 7, v4
; %bb.991:                              ;   in Loop: Header=BB216_15 Depth=1
	s_or_b32 exec_lo, exec_lo, s21
	v_lshlrev_b32_e32 v4, 16, v0
	v_lshlrev_b32_e32 v5, 20, v10
	v_lshl_add_u32 v1, v1, 23, 0x3c000000
	v_and_b32_e32 v4, 0x80000000, v4
	v_or3_b32 v5, v5, v4, v1
	v_mov_b32_e32 v4, v11
	buffer_store_dword v4, off, s[0:3], s32 offset:1196 ; 4-byte Folded Spill
	buffer_store_dword v5, off, s[0:3], s32 offset:1200 ; 4-byte Folded Spill
.LBB216_992:                            ;   in Loop: Header=BB216_15 Depth=1
	s_or_b32 exec_lo, exec_lo, s20
.LBB216_993:                            ;   in Loop: Header=BB216_15 Depth=1
	s_or_b32 exec_lo, exec_lo, s19
.LBB216_994:                            ;   in Loop: Header=BB216_15 Depth=1
	s_or_b32 exec_lo, exec_lo, s18
	v_mov_b32_e32 v4, 0
	v_mov_b32_e32 v5, 0
	;; [unrolled: 1-line block ×3, first 2 shown]
	s_mov_b32 s18, exec_lo
	buffer_store_dword v4, off, s[0:3], s32 offset:1204 ; 4-byte Folded Spill
	buffer_store_dword v5, off, s[0:3], s32 offset:1208 ; 4-byte Folded Spill
	v_mov_b32_e32 v4, 0
	v_and_b32_sdwa v1, v0, v1 dst_sel:DWORD dst_unused:UNUSED_PAD src0_sel:WORD_1 src1_sel:DWORD
	v_mov_b32_e32 v5, 0
	buffer_store_dword v4, off, s[0:3], s32 offset:1212 ; 4-byte Folded Spill
	buffer_store_dword v5, off, s[0:3], s32 offset:1216 ; 4-byte Folded Spill
	v_cmpx_ne_u16_e32 0, v1
	s_cbranch_execz .LBB216_1002
; %bb.995:                              ;   in Loop: Header=BB216_15 Depth=1
	v_bfrev_b32_e32 v4, 1
	v_mov_b32_e32 v5, 0
	s_mov_b32 s19, exec_lo
	buffer_store_dword v4, off, s[0:3], s32 offset:1212 ; 4-byte Folded Spill
	buffer_store_dword v5, off, s[0:3], s32 offset:1216 ; 4-byte Folded Spill
	v_cmpx_ne_u16_e32 0x80, v1
	s_cbranch_execz .LBB216_1001
; %bb.996:                              ;   in Loop: Header=BB216_15 Depth=1
	v_mov_b32_e32 v5, 0x7f800001
	v_bfe_u32 v4, v0, 16, 7
	v_mov_b32_e32 v6, 0
	s_mov_b32 s20, exec_lo
	buffer_store_dword v5, off, s[0:3], s32 offset:1212 ; 4-byte Folded Spill
	buffer_store_dword v6, off, s[0:3], s32 offset:1216 ; 4-byte Folded Spill
	v_cmpx_ne_u32_e32 0x7f, v4
	s_cbranch_execz .LBB216_1000
; %bb.997:                              ;   in Loop: Header=BB216_15 Depth=1
	v_mov_b32_e32 v1, 7
	s_mov_b32 s21, exec_lo
	v_and_b32_sdwa v10, v0, v1 dst_sel:DWORD dst_unused:UNUSED_PAD src0_sel:WORD_1 src1_sel:DWORD
	v_lshrrev_b32_e32 v1, 3, v4
	v_cmpx_gt_u32_e32 8, v4
; %bb.998:                              ;   in Loop: Header=BB216_15 Depth=1
	v_ffbh_u32_e32 v1, v10
	v_min_u32_e32 v1, 32, v1
	v_subrev_nc_u32_e32 v4, 28, v1
	v_sub_nc_u32_e32 v1, 29, v1
	v_lshlrev_b64 v[4:5], v4, v[10:11]
	v_and_b32_e32 v10, 7, v4
; %bb.999:                              ;   in Loop: Header=BB216_15 Depth=1
	s_or_b32 exec_lo, exec_lo, s21
	v_mov_b32_e32 v4, 24
	v_lshlrev_b32_e32 v5, 20, v10
	v_lshl_add_u32 v1, v1, 23, 0x3c000000
	v_lshlrev_b32_sdwa v4, v4, v0 dst_sel:DWORD dst_unused:UNUSED_PAD src0_sel:DWORD src1_sel:WORD_1
	v_and_b32_e32 v4, 0x80000000, v4
	v_or3_b32 v10, v5, v4, v1
	buffer_store_dword v10, off, s[0:3], s32 offset:1212 ; 4-byte Folded Spill
	buffer_store_dword v11, off, s[0:3], s32 offset:1216 ; 4-byte Folded Spill
.LBB216_1000:                           ;   in Loop: Header=BB216_15 Depth=1
	s_or_b32 exec_lo, exec_lo, s20
.LBB216_1001:                           ;   in Loop: Header=BB216_15 Depth=1
	s_or_b32 exec_lo, exec_lo, s19
.LBB216_1002:                           ;   in Loop: Header=BB216_15 Depth=1
	s_or_b32 exec_lo, exec_lo, s18
	s_mov_b32 s18, exec_lo
	v_cmpx_lt_u32_e32 0xffffff, v0
	s_cbranch_execz .LBB216_1010
; %bb.1003:                             ;   in Loop: Header=BB216_15 Depth=1
	v_mov_b32_e32 v1, 0x80
	v_mov_b32_e32 v115, v11
	buffer_store_dword v115, off, s[0:3], s32 offset:1204 ; 4-byte Folded Spill
	buffer_store_dword v116, off, s[0:3], s32 offset:1208 ; 4-byte Folded Spill
	v_cmp_ne_u32_sdwa s5, v0, v1 src0_sel:BYTE_3 src1_sel:DWORD
	s_and_saveexec_b32 s19, s5
	s_cbranch_execz .LBB216_1009
; %bb.1004:                             ;   in Loop: Header=BB216_15 Depth=1
	s_clause 0x1
	buffer_load_dword v5, off, s[0:3], s32 offset:192
	buffer_load_dword v6, off, s[0:3], s32 offset:196
	v_bfe_u32 v4, v0, 24, 7
	s_waitcnt vmcnt(1)
	v_mov_b32_e32 v5, v11
	s_mov_b32 s20, exec_lo
	s_waitcnt vmcnt(0)
	v_mov_b32_e32 v1, v6
	buffer_store_dword v0, off, s[0:3], s32 offset:192 ; 4-byte Folded Spill
	buffer_store_dword v1, off, s[0:3], s32 offset:196 ; 4-byte Folded Spill
	;; [unrolled: 1-line block ×4, first 2 shown]
	v_cmpx_ne_u32_e32 0x7f, v4
	s_cbranch_execz .LBB216_1008
; %bb.1005:                             ;   in Loop: Header=BB216_15 Depth=1
	v_mov_b32_e32 v1, 7
	s_mov_b32 s21, exec_lo
	v_and_b32_sdwa v10, v0, v1 dst_sel:DWORD dst_unused:UNUSED_PAD src0_sel:BYTE_3 src1_sel:DWORD
	v_lshrrev_b32_e32 v1, 3, v4
	v_cmpx_gt_u32_e32 8, v4
; %bb.1006:                             ;   in Loop: Header=BB216_15 Depth=1
	v_ffbh_u32_e32 v1, v10
	v_min_u32_e32 v1, 32, v1
	v_subrev_nc_u32_e32 v4, 28, v1
	v_sub_nc_u32_e32 v1, 29, v1
	v_lshlrev_b64 v[4:5], v4, v[10:11]
	v_and_b32_e32 v10, 7, v4
; %bb.1007:                             ;   in Loop: Header=BB216_15 Depth=1
	s_or_b32 exec_lo, exec_lo, s21
	v_mov_b32_e32 v4, 24
	v_lshl_add_u32 v1, v1, 23, 0x3c000000
	v_lshlrev_b32_sdwa v0, v4, v0 dst_sel:DWORD dst_unused:UNUSED_PAD src0_sel:DWORD src1_sel:BYTE_3
	v_lshlrev_b32_e32 v4, 20, v10
	v_and_b32_e32 v0, 0x80000000, v0
	v_or3_b32 v1, v4, v0, v1
	v_mov_b32_e32 v0, v11
	buffer_store_dword v0, off, s[0:3], s32 offset:1204 ; 4-byte Folded Spill
	buffer_store_dword v1, off, s[0:3], s32 offset:1208 ; 4-byte Folded Spill
.LBB216_1008:                           ;   in Loop: Header=BB216_15 Depth=1
	s_or_b32 exec_lo, exec_lo, s20
.LBB216_1009:                           ;   in Loop: Header=BB216_15 Depth=1
	s_or_b32 exec_lo, exec_lo, s19
.LBB216_1010:                           ;   in Loop: Header=BB216_15 Depth=1
	s_or_b32 exec_lo, exec_lo, s18
	flat_load_dword v0, v[2:3] offset:1548
	v_mov_b32_e32 v1, 0
	v_mov_b32_e32 v2, 0
	buffer_store_dword v1, off, s[0:3], s32 offset:1228 ; 4-byte Folded Spill
	buffer_store_dword v2, off, s[0:3], s32 offset:1232 ; 4-byte Folded Spill
	v_mov_b32_e32 v1, 0
	v_mov_b32_e32 v2, 0
	buffer_store_dword v1, off, s[0:3], s32 offset:1220 ; 4-byte Folded Spill
	buffer_store_dword v2, off, s[0:3], s32 offset:1224 ; 4-byte Folded Spill
	s_waitcnt vmcnt(0) lgkmcnt(0)
	v_cmp_ne_u16_sdwa s5, v0, v11 src0_sel:BYTE_0 src1_sel:DWORD
	s_and_saveexec_b32 s18, s5
	s_cbranch_execz .LBB216_1018
; %bb.1011:                             ;   in Loop: Header=BB216_15 Depth=1
	v_bfrev_b32_e32 v1, 1
	v_mov_b32_e32 v2, 0
	buffer_store_dword v1, off, s[0:3], s32 offset:1220 ; 4-byte Folded Spill
	buffer_store_dword v2, off, s[0:3], s32 offset:1224 ; 4-byte Folded Spill
	v_mov_b32_e32 v1, 0x80
	v_cmp_ne_u16_sdwa s5, v0, v1 src0_sel:BYTE_0 src1_sel:DWORD
	s_and_saveexec_b32 s19, s5
	s_cbranch_execz .LBB216_1017
; %bb.1012:                             ;   in Loop: Header=BB216_15 Depth=1
	v_mov_b32_e32 v3, 0x7f800001
	v_and_b32_e32 v2, 0x7f, v0
	v_mov_b32_e32 v4, 0
	s_mov_b32 s20, exec_lo
	buffer_store_dword v3, off, s[0:3], s32 offset:1220 ; 4-byte Folded Spill
	buffer_store_dword v4, off, s[0:3], s32 offset:1224 ; 4-byte Folded Spill
	v_cmpx_ne_u32_e32 0x7f, v2
	s_cbranch_execz .LBB216_1016
; %bb.1013:                             ;   in Loop: Header=BB216_15 Depth=1
	v_and_b32_e32 v10, 7, v0
	v_lshrrev_b32_e32 v1, 3, v2
	s_mov_b32 s21, exec_lo
	v_cmpx_gt_u32_e32 8, v2
; %bb.1014:                             ;   in Loop: Header=BB216_15 Depth=1
	v_ffbh_u32_e32 v1, v10
	v_min_u32_e32 v1, 32, v1
	v_subrev_nc_u32_e32 v2, 28, v1
	v_sub_nc_u32_e32 v1, 29, v1
	v_lshlrev_b64 v[2:3], v2, v[10:11]
	v_and_b32_e32 v10, 7, v2
; %bb.1015:                             ;   in Loop: Header=BB216_15 Depth=1
	s_or_b32 exec_lo, exec_lo, s21
	v_lshlrev_b32_e32 v2, 24, v0
	v_lshlrev_b32_e32 v3, 20, v10
	v_lshl_add_u32 v1, v1, 23, 0x3c000000
	v_and_b32_e32 v2, 0x80000000, v2
	v_or3_b32 v10, v3, v2, v1
	buffer_store_dword v10, off, s[0:3], s32 offset:1220 ; 4-byte Folded Spill
	buffer_store_dword v11, off, s[0:3], s32 offset:1224 ; 4-byte Folded Spill
.LBB216_1016:                           ;   in Loop: Header=BB216_15 Depth=1
	s_or_b32 exec_lo, exec_lo, s20
.LBB216_1017:                           ;   in Loop: Header=BB216_15 Depth=1
	s_or_b32 exec_lo, exec_lo, s19
.LBB216_1018:                           ;   in Loop: Header=BB216_15 Depth=1
	s_or_b32 exec_lo, exec_lo, s18
	v_cmp_ne_u16_sdwa s5, v0, v11 src0_sel:BYTE_1 src1_sel:DWORD
	s_and_saveexec_b32 s18, s5
	s_cbranch_execz .LBB216_1026
; %bb.1019:                             ;   in Loop: Header=BB216_15 Depth=1
	v_mov_b32_e32 v1, 0x80
	v_mov_b32_e32 v115, v11
	buffer_store_dword v115, off, s[0:3], s32 offset:1228 ; 4-byte Folded Spill
	buffer_store_dword v116, off, s[0:3], s32 offset:1232 ; 4-byte Folded Spill
	v_cmp_ne_u16_sdwa s5, v0, v1 src0_sel:BYTE_1 src1_sel:DWORD
	s_and_saveexec_b32 s19, s5
	s_cbranch_execz .LBB216_1025
; %bb.1020:                             ;   in Loop: Header=BB216_15 Depth=1
	s_clause 0x1
	buffer_load_dword v3, off, s[0:3], s32 offset:192
	buffer_load_dword v4, off, s[0:3], s32 offset:196
	v_mov_b32_e32 v1, 0xffff
	s_mov_b32 s20, exec_lo
	v_and_b32_sdwa v1, v1, v0 dst_sel:DWORD dst_unused:UNUSED_PAD src0_sel:DWORD src1_sel:BYTE_1
	v_and_b32_e32 v2, 0x7f, v1
	s_waitcnt vmcnt(0)
	v_mov_b32_e32 v5, v4
	v_mov_b32_e32 v4, v11
	;; [unrolled: 1-line block ×3, first 2 shown]
	buffer_store_dword v2, off, s[0:3], s32 offset:192 ; 4-byte Folded Spill
	buffer_store_dword v3, off, s[0:3], s32 offset:196 ; 4-byte Folded Spill
	buffer_store_dword v4, off, s[0:3], s32 offset:1228 ; 4-byte Folded Spill
	buffer_store_dword v5, off, s[0:3], s32 offset:1232 ; 4-byte Folded Spill
	v_cmpx_ne_u32_e32 0x7f, v2
	s_cbranch_execz .LBB216_1024
; %bb.1021:                             ;   in Loop: Header=BB216_15 Depth=1
	v_and_b32_e32 v10, 7, v1
	v_lshrrev_b32_e32 v1, 3, v2
	s_mov_b32 s21, exec_lo
	v_cmpx_gt_u32_e32 8, v2
; %bb.1022:                             ;   in Loop: Header=BB216_15 Depth=1
	v_ffbh_u32_e32 v1, v10
	v_min_u32_e32 v1, 32, v1
	v_subrev_nc_u32_e32 v2, 28, v1
	v_sub_nc_u32_e32 v1, 29, v1
	v_lshlrev_b64 v[2:3], v2, v[10:11]
	v_and_b32_e32 v10, 7, v2
; %bb.1023:                             ;   in Loop: Header=BB216_15 Depth=1
	s_or_b32 exec_lo, exec_lo, s21
	v_lshlrev_b32_e32 v2, 16, v0
	v_lshlrev_b32_e32 v3, 20, v10
	v_lshl_add_u32 v1, v1, 23, 0x3c000000
	v_and_b32_e32 v2, 0x80000000, v2
	v_or3_b32 v2, v3, v2, v1
	v_mov_b32_e32 v1, v11
	buffer_store_dword v1, off, s[0:3], s32 offset:1228 ; 4-byte Folded Spill
	buffer_store_dword v2, off, s[0:3], s32 offset:1232 ; 4-byte Folded Spill
.LBB216_1024:                           ;   in Loop: Header=BB216_15 Depth=1
	s_or_b32 exec_lo, exec_lo, s20
.LBB216_1025:                           ;   in Loop: Header=BB216_15 Depth=1
	s_or_b32 exec_lo, exec_lo, s19
.LBB216_1026:                           ;   in Loop: Header=BB216_15 Depth=1
	s_or_b32 exec_lo, exec_lo, s18
	v_mov_b32_e32 v2, 0
	v_mov_b32_e32 v3, 0
	;; [unrolled: 1-line block ×3, first 2 shown]
	s_mov_b32 s18, exec_lo
	buffer_store_dword v2, off, s[0:3], s32 offset:1236 ; 4-byte Folded Spill
	buffer_store_dword v3, off, s[0:3], s32 offset:1240 ; 4-byte Folded Spill
	v_mov_b32_e32 v2, 0
	v_and_b32_sdwa v1, v0, v1 dst_sel:DWORD dst_unused:UNUSED_PAD src0_sel:WORD_1 src1_sel:DWORD
	v_mov_b32_e32 v3, 0
	buffer_store_dword v2, off, s[0:3], s32 offset:1244 ; 4-byte Folded Spill
	buffer_store_dword v3, off, s[0:3], s32 offset:1248 ; 4-byte Folded Spill
	v_cmpx_ne_u16_e32 0, v1
	s_cbranch_execz .LBB216_1034
; %bb.1027:                             ;   in Loop: Header=BB216_15 Depth=1
	v_cmp_ne_u16_e64 s5, 0x80, v1
	v_bfrev_b32_e32 v1, 1
	v_mov_b32_e32 v2, 0
	buffer_store_dword v1, off, s[0:3], s32 offset:1244 ; 4-byte Folded Spill
	buffer_store_dword v2, off, s[0:3], s32 offset:1248 ; 4-byte Folded Spill
	s_and_saveexec_b32 s19, s5
	s_cbranch_execz .LBB216_1033
; %bb.1028:                             ;   in Loop: Header=BB216_15 Depth=1
	v_mov_b32_e32 v3, 0x7f800001
	v_bfe_u32 v2, v0, 16, 7
	v_mov_b32_e32 v4, 0
	s_mov_b32 s20, exec_lo
	buffer_store_dword v3, off, s[0:3], s32 offset:1244 ; 4-byte Folded Spill
	buffer_store_dword v4, off, s[0:3], s32 offset:1248 ; 4-byte Folded Spill
	v_cmpx_ne_u32_e32 0x7f, v2
	s_cbranch_execz .LBB216_1032
; %bb.1029:                             ;   in Loop: Header=BB216_15 Depth=1
	v_mov_b32_e32 v1, 7
	s_mov_b32 s21, exec_lo
	v_and_b32_sdwa v10, v0, v1 dst_sel:DWORD dst_unused:UNUSED_PAD src0_sel:WORD_1 src1_sel:DWORD
	v_lshrrev_b32_e32 v1, 3, v2
	v_cmpx_gt_u32_e32 8, v2
; %bb.1030:                             ;   in Loop: Header=BB216_15 Depth=1
	v_ffbh_u32_e32 v1, v10
	v_min_u32_e32 v1, 32, v1
	v_subrev_nc_u32_e32 v2, 28, v1
	v_sub_nc_u32_e32 v1, 29, v1
	v_lshlrev_b64 v[2:3], v2, v[10:11]
	v_and_b32_e32 v10, 7, v2
; %bb.1031:                             ;   in Loop: Header=BB216_15 Depth=1
	s_or_b32 exec_lo, exec_lo, s21
	v_mov_b32_e32 v2, 24
	v_lshlrev_b32_e32 v3, 20, v10
	v_lshl_add_u32 v1, v1, 23, 0x3c000000
	v_lshlrev_b32_sdwa v2, v2, v0 dst_sel:DWORD dst_unused:UNUSED_PAD src0_sel:DWORD src1_sel:WORD_1
	v_and_b32_e32 v2, 0x80000000, v2
	v_or3_b32 v10, v3, v2, v1
	buffer_store_dword v10, off, s[0:3], s32 offset:1244 ; 4-byte Folded Spill
	buffer_store_dword v11, off, s[0:3], s32 offset:1248 ; 4-byte Folded Spill
.LBB216_1032:                           ;   in Loop: Header=BB216_15 Depth=1
	s_or_b32 exec_lo, exec_lo, s20
.LBB216_1033:                           ;   in Loop: Header=BB216_15 Depth=1
	s_or_b32 exec_lo, exec_lo, s19
.LBB216_1034:                           ;   in Loop: Header=BB216_15 Depth=1
	s_or_b32 exec_lo, exec_lo, s18
	s_mov_b32 s18, exec_lo
	v_cmpx_lt_u32_e32 0xffffff, v0
	s_cbranch_execz .LBB216_1042
; %bb.1035:                             ;   in Loop: Header=BB216_15 Depth=1
	v_mov_b32_e32 v1, 0x80
	v_mov_b32_e32 v115, v11
	buffer_store_dword v115, off, s[0:3], s32 offset:1236 ; 4-byte Folded Spill
	buffer_store_dword v116, off, s[0:3], s32 offset:1240 ; 4-byte Folded Spill
	v_cmp_ne_u32_sdwa s5, v0, v1 src0_sel:BYTE_3 src1_sel:DWORD
	s_and_saveexec_b32 s19, s5
	s_cbranch_execz .LBB216_1041
; %bb.1036:                             ;   in Loop: Header=BB216_15 Depth=1
	s_clause 0x1
	buffer_load_dword v3, off, s[0:3], s32 offset:192
	buffer_load_dword v4, off, s[0:3], s32 offset:196
	v_bfe_u32 v2, v0, 24, 7
	s_waitcnt vmcnt(1)
	v_mov_b32_e32 v3, v11
	s_mov_b32 s20, exec_lo
	s_waitcnt vmcnt(0)
	v_mov_b32_e32 v1, v4
	buffer_store_dword v0, off, s[0:3], s32 offset:192 ; 4-byte Folded Spill
	buffer_store_dword v1, off, s[0:3], s32 offset:196 ; 4-byte Folded Spill
	;; [unrolled: 1-line block ×4, first 2 shown]
	v_cmpx_ne_u32_e32 0x7f, v2
	s_cbranch_execz .LBB216_1040
; %bb.1037:                             ;   in Loop: Header=BB216_15 Depth=1
	v_mov_b32_e32 v1, 7
	s_mov_b32 s21, exec_lo
	v_and_b32_sdwa v10, v0, v1 dst_sel:DWORD dst_unused:UNUSED_PAD src0_sel:BYTE_3 src1_sel:DWORD
	v_lshrrev_b32_e32 v1, 3, v2
	v_cmpx_gt_u32_e32 8, v2
; %bb.1038:                             ;   in Loop: Header=BB216_15 Depth=1
	v_ffbh_u32_e32 v1, v10
	v_min_u32_e32 v1, 32, v1
	v_subrev_nc_u32_e32 v2, 28, v1
	v_sub_nc_u32_e32 v1, 29, v1
	v_lshlrev_b64 v[2:3], v2, v[10:11]
	v_and_b32_e32 v10, 7, v2
; %bb.1039:                             ;   in Loop: Header=BB216_15 Depth=1
	s_or_b32 exec_lo, exec_lo, s21
	v_mov_b32_e32 v2, 24
	v_lshl_add_u32 v1, v1, 23, 0x3c000000
	v_lshlrev_b32_sdwa v0, v2, v0 dst_sel:DWORD dst_unused:UNUSED_PAD src0_sel:DWORD src1_sel:BYTE_3
	v_lshlrev_b32_e32 v2, 20, v10
	v_and_b32_e32 v0, 0x80000000, v0
	v_or3_b32 v1, v2, v0, v1
	v_mov_b32_e32 v0, v11
	buffer_store_dword v0, off, s[0:3], s32 offset:1236 ; 4-byte Folded Spill
	buffer_store_dword v1, off, s[0:3], s32 offset:1240 ; 4-byte Folded Spill
.LBB216_1040:                           ;   in Loop: Header=BB216_15 Depth=1
	s_or_b32 exec_lo, exec_lo, s20
.LBB216_1041:                           ;   in Loop: Header=BB216_15 Depth=1
	s_or_b32 exec_lo, exec_lo, s19
.LBB216_1042:                           ;   in Loop: Header=BB216_15 Depth=1
	s_or_b32 exec_lo, exec_lo, s18
	v_add_co_u32 v2, s5, 0x1000, v112
	v_add_co_ci_u32_e64 v3, null, 0, v113, s5
	v_mov_b32_e32 v4, 0
	v_mov_b32_e32 v5, 0
	flat_load_dword v0, v[2:3]
	buffer_store_dword v4, off, s[0:3], s32 offset:1260 ; 4-byte Folded Spill
	buffer_store_dword v5, off, s[0:3], s32 offset:1264 ; 4-byte Folded Spill
	v_mov_b32_e32 v4, 0
	v_mov_b32_e32 v5, 0
	buffer_store_dword v4, off, s[0:3], s32 offset:1252 ; 4-byte Folded Spill
	buffer_store_dword v5, off, s[0:3], s32 offset:1256 ; 4-byte Folded Spill
	s_waitcnt vmcnt(0) lgkmcnt(0)
	v_cmp_ne_u16_sdwa s5, v0, v11 src0_sel:BYTE_0 src1_sel:DWORD
	s_and_saveexec_b32 s18, s5
	s_cbranch_execz .LBB216_1050
; %bb.1043:                             ;   in Loop: Header=BB216_15 Depth=1
	v_mov_b32_e32 v1, 0x80
	v_bfrev_b32_e32 v4, 1
	v_mov_b32_e32 v5, 0
	buffer_store_dword v4, off, s[0:3], s32 offset:1252 ; 4-byte Folded Spill
	buffer_store_dword v5, off, s[0:3], s32 offset:1256 ; 4-byte Folded Spill
	v_cmp_ne_u16_sdwa s5, v0, v1 src0_sel:BYTE_0 src1_sel:DWORD
	s_and_saveexec_b32 s19, s5
	s_cbranch_execz .LBB216_1049
; %bb.1044:                             ;   in Loop: Header=BB216_15 Depth=1
	v_mov_b32_e32 v5, 0x7f800001
	v_and_b32_e32 v4, 0x7f, v0
	v_mov_b32_e32 v6, 0
	s_mov_b32 s20, exec_lo
	buffer_store_dword v5, off, s[0:3], s32 offset:1252 ; 4-byte Folded Spill
	buffer_store_dword v6, off, s[0:3], s32 offset:1256 ; 4-byte Folded Spill
	v_cmpx_ne_u32_e32 0x7f, v4
	s_cbranch_execz .LBB216_1048
; %bb.1045:                             ;   in Loop: Header=BB216_15 Depth=1
	v_and_b32_e32 v10, 7, v0
	v_lshrrev_b32_e32 v1, 3, v4
	s_mov_b32 s21, exec_lo
	v_cmpx_gt_u32_e32 8, v4
; %bb.1046:                             ;   in Loop: Header=BB216_15 Depth=1
	v_ffbh_u32_e32 v1, v10
	v_min_u32_e32 v1, 32, v1
	v_subrev_nc_u32_e32 v4, 28, v1
	v_sub_nc_u32_e32 v1, 29, v1
	v_lshlrev_b64 v[4:5], v4, v[10:11]
	v_and_b32_e32 v10, 7, v4
; %bb.1047:                             ;   in Loop: Header=BB216_15 Depth=1
	s_or_b32 exec_lo, exec_lo, s21
	v_lshlrev_b32_e32 v4, 24, v0
	v_lshlrev_b32_e32 v5, 20, v10
	v_lshl_add_u32 v1, v1, 23, 0x3c000000
	v_and_b32_e32 v4, 0x80000000, v4
	v_or3_b32 v10, v5, v4, v1
	buffer_store_dword v10, off, s[0:3], s32 offset:1252 ; 4-byte Folded Spill
	buffer_store_dword v11, off, s[0:3], s32 offset:1256 ; 4-byte Folded Spill
.LBB216_1048:                           ;   in Loop: Header=BB216_15 Depth=1
	s_or_b32 exec_lo, exec_lo, s20
.LBB216_1049:                           ;   in Loop: Header=BB216_15 Depth=1
	s_or_b32 exec_lo, exec_lo, s19
.LBB216_1050:                           ;   in Loop: Header=BB216_15 Depth=1
	s_or_b32 exec_lo, exec_lo, s18
	v_cmp_ne_u16_sdwa s5, v0, v11 src0_sel:BYTE_1 src1_sel:DWORD
	s_and_saveexec_b32 s18, s5
	s_cbranch_execz .LBB216_1058
; %bb.1051:                             ;   in Loop: Header=BB216_15 Depth=1
	v_mov_b32_e32 v1, 0x80
	v_mov_b32_e32 v115, v11
	buffer_store_dword v115, off, s[0:3], s32 offset:1260 ; 4-byte Folded Spill
	buffer_store_dword v116, off, s[0:3], s32 offset:1264 ; 4-byte Folded Spill
	v_cmp_ne_u16_sdwa s5, v0, v1 src0_sel:BYTE_1 src1_sel:DWORD
	s_and_saveexec_b32 s19, s5
	s_cbranch_execz .LBB216_1057
; %bb.1052:                             ;   in Loop: Header=BB216_15 Depth=1
	s_clause 0x1
	buffer_load_dword v5, off, s[0:3], s32 offset:192
	buffer_load_dword v6, off, s[0:3], s32 offset:196
	v_mov_b32_e32 v1, 0xffff
	s_mov_b32 s20, exec_lo
	v_and_b32_sdwa v1, v1, v0 dst_sel:DWORD dst_unused:UNUSED_PAD src0_sel:DWORD src1_sel:BYTE_1
	v_and_b32_e32 v4, 0x7f, v1
	s_waitcnt vmcnt(0)
	v_mov_b32_e32 v7, v6
	v_mov_b32_e32 v6, v11
	;; [unrolled: 1-line block ×3, first 2 shown]
	buffer_store_dword v4, off, s[0:3], s32 offset:192 ; 4-byte Folded Spill
	buffer_store_dword v5, off, s[0:3], s32 offset:196 ; 4-byte Folded Spill
	;; [unrolled: 1-line block ×4, first 2 shown]
	v_cmpx_ne_u32_e32 0x7f, v4
	s_cbranch_execz .LBB216_1056
; %bb.1053:                             ;   in Loop: Header=BB216_15 Depth=1
	v_and_b32_e32 v10, 7, v1
	v_lshrrev_b32_e32 v1, 3, v4
	s_mov_b32 s21, exec_lo
	v_cmpx_gt_u32_e32 8, v4
; %bb.1054:                             ;   in Loop: Header=BB216_15 Depth=1
	v_ffbh_u32_e32 v1, v10
	v_min_u32_e32 v1, 32, v1
	v_subrev_nc_u32_e32 v4, 28, v1
	v_sub_nc_u32_e32 v1, 29, v1
	v_lshlrev_b64 v[4:5], v4, v[10:11]
	v_and_b32_e32 v10, 7, v4
; %bb.1055:                             ;   in Loop: Header=BB216_15 Depth=1
	s_or_b32 exec_lo, exec_lo, s21
	v_lshlrev_b32_e32 v4, 16, v0
	v_lshlrev_b32_e32 v5, 20, v10
	v_lshl_add_u32 v1, v1, 23, 0x3c000000
	v_and_b32_e32 v4, 0x80000000, v4
	v_or3_b32 v5, v5, v4, v1
	v_mov_b32_e32 v4, v11
	buffer_store_dword v4, off, s[0:3], s32 offset:1260 ; 4-byte Folded Spill
	buffer_store_dword v5, off, s[0:3], s32 offset:1264 ; 4-byte Folded Spill
.LBB216_1056:                           ;   in Loop: Header=BB216_15 Depth=1
	s_or_b32 exec_lo, exec_lo, s20
.LBB216_1057:                           ;   in Loop: Header=BB216_15 Depth=1
	s_or_b32 exec_lo, exec_lo, s19
.LBB216_1058:                           ;   in Loop: Header=BB216_15 Depth=1
	s_or_b32 exec_lo, exec_lo, s18
	v_mov_b32_e32 v4, 0
	v_mov_b32_e32 v5, 0
	;; [unrolled: 1-line block ×3, first 2 shown]
	s_mov_b32 s18, exec_lo
	buffer_store_dword v4, off, s[0:3], s32 offset:1268 ; 4-byte Folded Spill
	buffer_store_dword v5, off, s[0:3], s32 offset:1272 ; 4-byte Folded Spill
	v_mov_b32_e32 v4, 0
	v_and_b32_sdwa v1, v0, v1 dst_sel:DWORD dst_unused:UNUSED_PAD src0_sel:WORD_1 src1_sel:DWORD
	v_mov_b32_e32 v5, 0
	buffer_store_dword v4, off, s[0:3], s32 offset:1276 ; 4-byte Folded Spill
	buffer_store_dword v5, off, s[0:3], s32 offset:1280 ; 4-byte Folded Spill
	v_cmpx_ne_u16_e32 0, v1
	s_cbranch_execz .LBB216_1066
; %bb.1059:                             ;   in Loop: Header=BB216_15 Depth=1
	v_bfrev_b32_e32 v4, 1
	v_mov_b32_e32 v5, 0
	s_mov_b32 s19, exec_lo
	buffer_store_dword v4, off, s[0:3], s32 offset:1276 ; 4-byte Folded Spill
	buffer_store_dword v5, off, s[0:3], s32 offset:1280 ; 4-byte Folded Spill
	v_cmpx_ne_u16_e32 0x80, v1
	s_cbranch_execz .LBB216_1065
; %bb.1060:                             ;   in Loop: Header=BB216_15 Depth=1
	v_mov_b32_e32 v5, 0x7f800001
	v_bfe_u32 v4, v0, 16, 7
	v_mov_b32_e32 v6, 0
	s_mov_b32 s20, exec_lo
	buffer_store_dword v5, off, s[0:3], s32 offset:1276 ; 4-byte Folded Spill
	buffer_store_dword v6, off, s[0:3], s32 offset:1280 ; 4-byte Folded Spill
	v_cmpx_ne_u32_e32 0x7f, v4
	s_cbranch_execz .LBB216_1064
; %bb.1061:                             ;   in Loop: Header=BB216_15 Depth=1
	v_mov_b32_e32 v1, 7
	s_mov_b32 s21, exec_lo
	v_and_b32_sdwa v10, v0, v1 dst_sel:DWORD dst_unused:UNUSED_PAD src0_sel:WORD_1 src1_sel:DWORD
	v_lshrrev_b32_e32 v1, 3, v4
	v_cmpx_gt_u32_e32 8, v4
; %bb.1062:                             ;   in Loop: Header=BB216_15 Depth=1
	v_ffbh_u32_e32 v1, v10
	v_min_u32_e32 v1, 32, v1
	v_subrev_nc_u32_e32 v4, 28, v1
	v_sub_nc_u32_e32 v1, 29, v1
	v_lshlrev_b64 v[4:5], v4, v[10:11]
	v_and_b32_e32 v10, 7, v4
; %bb.1063:                             ;   in Loop: Header=BB216_15 Depth=1
	s_or_b32 exec_lo, exec_lo, s21
	v_mov_b32_e32 v4, 24
	v_lshlrev_b32_e32 v5, 20, v10
	v_lshl_add_u32 v1, v1, 23, 0x3c000000
	v_lshlrev_b32_sdwa v4, v4, v0 dst_sel:DWORD dst_unused:UNUSED_PAD src0_sel:DWORD src1_sel:WORD_1
	v_and_b32_e32 v4, 0x80000000, v4
	v_or3_b32 v10, v5, v4, v1
	buffer_store_dword v10, off, s[0:3], s32 offset:1276 ; 4-byte Folded Spill
	buffer_store_dword v11, off, s[0:3], s32 offset:1280 ; 4-byte Folded Spill
.LBB216_1064:                           ;   in Loop: Header=BB216_15 Depth=1
	s_or_b32 exec_lo, exec_lo, s20
.LBB216_1065:                           ;   in Loop: Header=BB216_15 Depth=1
	s_or_b32 exec_lo, exec_lo, s19
.LBB216_1066:                           ;   in Loop: Header=BB216_15 Depth=1
	s_or_b32 exec_lo, exec_lo, s18
	s_mov_b32 s18, exec_lo
	v_cmpx_lt_u32_e32 0xffffff, v0
	s_cbranch_execz .LBB216_1074
; %bb.1067:                             ;   in Loop: Header=BB216_15 Depth=1
	v_mov_b32_e32 v1, 0x80
	v_mov_b32_e32 v115, v11
	buffer_store_dword v115, off, s[0:3], s32 offset:1268 ; 4-byte Folded Spill
	buffer_store_dword v116, off, s[0:3], s32 offset:1272 ; 4-byte Folded Spill
	v_cmp_ne_u32_sdwa s5, v0, v1 src0_sel:BYTE_3 src1_sel:DWORD
	s_and_saveexec_b32 s19, s5
	s_cbranch_execz .LBB216_1073
; %bb.1068:                             ;   in Loop: Header=BB216_15 Depth=1
	s_clause 0x1
	buffer_load_dword v5, off, s[0:3], s32 offset:192
	buffer_load_dword v6, off, s[0:3], s32 offset:196
	v_bfe_u32 v4, v0, 24, 7
	s_waitcnt vmcnt(1)
	v_mov_b32_e32 v5, v11
	s_mov_b32 s20, exec_lo
	s_waitcnt vmcnt(0)
	v_mov_b32_e32 v1, v6
	buffer_store_dword v0, off, s[0:3], s32 offset:192 ; 4-byte Folded Spill
	buffer_store_dword v1, off, s[0:3], s32 offset:196 ; 4-byte Folded Spill
	;; [unrolled: 1-line block ×4, first 2 shown]
	v_cmpx_ne_u32_e32 0x7f, v4
	s_cbranch_execz .LBB216_1072
; %bb.1069:                             ;   in Loop: Header=BB216_15 Depth=1
	v_mov_b32_e32 v1, 7
	s_mov_b32 s21, exec_lo
	v_and_b32_sdwa v10, v0, v1 dst_sel:DWORD dst_unused:UNUSED_PAD src0_sel:BYTE_3 src1_sel:DWORD
	v_lshrrev_b32_e32 v1, 3, v4
	v_cmpx_gt_u32_e32 8, v4
; %bb.1070:                             ;   in Loop: Header=BB216_15 Depth=1
	v_ffbh_u32_e32 v1, v10
	v_min_u32_e32 v1, 32, v1
	v_subrev_nc_u32_e32 v4, 28, v1
	v_sub_nc_u32_e32 v1, 29, v1
	v_lshlrev_b64 v[4:5], v4, v[10:11]
	v_and_b32_e32 v10, 7, v4
; %bb.1071:                             ;   in Loop: Header=BB216_15 Depth=1
	s_or_b32 exec_lo, exec_lo, s21
	v_mov_b32_e32 v4, 24
	v_lshl_add_u32 v1, v1, 23, 0x3c000000
	v_lshlrev_b32_sdwa v0, v4, v0 dst_sel:DWORD dst_unused:UNUSED_PAD src0_sel:DWORD src1_sel:BYTE_3
	v_lshlrev_b32_e32 v4, 20, v10
	v_and_b32_e32 v0, 0x80000000, v0
	v_or3_b32 v1, v4, v0, v1
	v_mov_b32_e32 v0, v11
	buffer_store_dword v0, off, s[0:3], s32 offset:1268 ; 4-byte Folded Spill
	buffer_store_dword v1, off, s[0:3], s32 offset:1272 ; 4-byte Folded Spill
.LBB216_1072:                           ;   in Loop: Header=BB216_15 Depth=1
	s_or_b32 exec_lo, exec_lo, s20
.LBB216_1073:                           ;   in Loop: Header=BB216_15 Depth=1
	s_or_b32 exec_lo, exec_lo, s19
.LBB216_1074:                           ;   in Loop: Header=BB216_15 Depth=1
	s_or_b32 exec_lo, exec_lo, s18
	flat_load_dword v0, v[2:3] offset:4
	v_mov_b32_e32 v4, 0
	v_mov_b32_e32 v5, 0
	buffer_store_dword v4, off, s[0:3], s32 offset:1292 ; 4-byte Folded Spill
	buffer_store_dword v5, off, s[0:3], s32 offset:1296 ; 4-byte Folded Spill
	v_mov_b32_e32 v4, 0
	v_mov_b32_e32 v5, 0
	buffer_store_dword v4, off, s[0:3], s32 offset:1284 ; 4-byte Folded Spill
	buffer_store_dword v5, off, s[0:3], s32 offset:1288 ; 4-byte Folded Spill
	s_waitcnt vmcnt(0) lgkmcnt(0)
	v_cmp_ne_u16_sdwa s5, v0, v11 src0_sel:BYTE_0 src1_sel:DWORD
	s_and_saveexec_b32 s18, s5
	s_cbranch_execz .LBB216_1082
; %bb.1075:                             ;   in Loop: Header=BB216_15 Depth=1
	v_mov_b32_e32 v1, 0x80
	v_bfrev_b32_e32 v4, 1
	v_mov_b32_e32 v5, 0
	buffer_store_dword v4, off, s[0:3], s32 offset:1284 ; 4-byte Folded Spill
	buffer_store_dword v5, off, s[0:3], s32 offset:1288 ; 4-byte Folded Spill
	v_cmp_ne_u16_sdwa s5, v0, v1 src0_sel:BYTE_0 src1_sel:DWORD
	s_and_saveexec_b32 s19, s5
	s_cbranch_execz .LBB216_1081
; %bb.1076:                             ;   in Loop: Header=BB216_15 Depth=1
	v_mov_b32_e32 v5, 0x7f800001
	v_and_b32_e32 v4, 0x7f, v0
	v_mov_b32_e32 v6, 0
	s_mov_b32 s20, exec_lo
	buffer_store_dword v5, off, s[0:3], s32 offset:1284 ; 4-byte Folded Spill
	buffer_store_dword v6, off, s[0:3], s32 offset:1288 ; 4-byte Folded Spill
	v_cmpx_ne_u32_e32 0x7f, v4
	s_cbranch_execz .LBB216_1080
; %bb.1077:                             ;   in Loop: Header=BB216_15 Depth=1
	v_and_b32_e32 v10, 7, v0
	v_lshrrev_b32_e32 v1, 3, v4
	s_mov_b32 s21, exec_lo
	v_cmpx_gt_u32_e32 8, v4
; %bb.1078:                             ;   in Loop: Header=BB216_15 Depth=1
	v_ffbh_u32_e32 v1, v10
	v_min_u32_e32 v1, 32, v1
	v_subrev_nc_u32_e32 v4, 28, v1
	v_sub_nc_u32_e32 v1, 29, v1
	v_lshlrev_b64 v[4:5], v4, v[10:11]
	v_and_b32_e32 v10, 7, v4
; %bb.1079:                             ;   in Loop: Header=BB216_15 Depth=1
	s_or_b32 exec_lo, exec_lo, s21
	v_lshlrev_b32_e32 v4, 24, v0
	v_lshlrev_b32_e32 v5, 20, v10
	v_lshl_add_u32 v1, v1, 23, 0x3c000000
	v_and_b32_e32 v4, 0x80000000, v4
	v_or3_b32 v10, v5, v4, v1
	buffer_store_dword v10, off, s[0:3], s32 offset:1284 ; 4-byte Folded Spill
	buffer_store_dword v11, off, s[0:3], s32 offset:1288 ; 4-byte Folded Spill
.LBB216_1080:                           ;   in Loop: Header=BB216_15 Depth=1
	s_or_b32 exec_lo, exec_lo, s20
.LBB216_1081:                           ;   in Loop: Header=BB216_15 Depth=1
	s_or_b32 exec_lo, exec_lo, s19
.LBB216_1082:                           ;   in Loop: Header=BB216_15 Depth=1
	s_or_b32 exec_lo, exec_lo, s18
	v_cmp_ne_u16_sdwa s5, v0, v11 src0_sel:BYTE_1 src1_sel:DWORD
	s_and_saveexec_b32 s18, s5
	s_cbranch_execz .LBB216_1090
; %bb.1083:                             ;   in Loop: Header=BB216_15 Depth=1
	v_mov_b32_e32 v1, 0x80
	v_mov_b32_e32 v115, v11
	buffer_store_dword v115, off, s[0:3], s32 offset:1292 ; 4-byte Folded Spill
	buffer_store_dword v116, off, s[0:3], s32 offset:1296 ; 4-byte Folded Spill
	v_cmp_ne_u16_sdwa s5, v0, v1 src0_sel:BYTE_1 src1_sel:DWORD
	s_and_saveexec_b32 s19, s5
	s_cbranch_execz .LBB216_1089
; %bb.1084:                             ;   in Loop: Header=BB216_15 Depth=1
	s_clause 0x1
	buffer_load_dword v5, off, s[0:3], s32 offset:192
	buffer_load_dword v6, off, s[0:3], s32 offset:196
	v_mov_b32_e32 v1, 0xffff
	s_mov_b32 s20, exec_lo
	v_and_b32_sdwa v1, v1, v0 dst_sel:DWORD dst_unused:UNUSED_PAD src0_sel:DWORD src1_sel:BYTE_1
	v_and_b32_e32 v4, 0x7f, v1
	s_waitcnt vmcnt(0)
	v_mov_b32_e32 v7, v6
	v_mov_b32_e32 v6, v11
	;; [unrolled: 1-line block ×3, first 2 shown]
	buffer_store_dword v4, off, s[0:3], s32 offset:192 ; 4-byte Folded Spill
	buffer_store_dword v5, off, s[0:3], s32 offset:196 ; 4-byte Folded Spill
	;; [unrolled: 1-line block ×4, first 2 shown]
	v_cmpx_ne_u32_e32 0x7f, v4
	s_cbranch_execz .LBB216_1088
; %bb.1085:                             ;   in Loop: Header=BB216_15 Depth=1
	v_and_b32_e32 v10, 7, v1
	v_lshrrev_b32_e32 v1, 3, v4
	s_mov_b32 s21, exec_lo
	v_cmpx_gt_u32_e32 8, v4
; %bb.1086:                             ;   in Loop: Header=BB216_15 Depth=1
	v_ffbh_u32_e32 v1, v10
	v_min_u32_e32 v1, 32, v1
	v_subrev_nc_u32_e32 v4, 28, v1
	v_sub_nc_u32_e32 v1, 29, v1
	v_lshlrev_b64 v[4:5], v4, v[10:11]
	v_and_b32_e32 v10, 7, v4
; %bb.1087:                             ;   in Loop: Header=BB216_15 Depth=1
	s_or_b32 exec_lo, exec_lo, s21
	v_lshlrev_b32_e32 v4, 16, v0
	v_lshlrev_b32_e32 v5, 20, v10
	v_lshl_add_u32 v1, v1, 23, 0x3c000000
	v_and_b32_e32 v4, 0x80000000, v4
	v_or3_b32 v5, v5, v4, v1
	v_mov_b32_e32 v4, v11
	buffer_store_dword v4, off, s[0:3], s32 offset:1292 ; 4-byte Folded Spill
	buffer_store_dword v5, off, s[0:3], s32 offset:1296 ; 4-byte Folded Spill
.LBB216_1088:                           ;   in Loop: Header=BB216_15 Depth=1
	s_or_b32 exec_lo, exec_lo, s20
.LBB216_1089:                           ;   in Loop: Header=BB216_15 Depth=1
	s_or_b32 exec_lo, exec_lo, s19
.LBB216_1090:                           ;   in Loop: Header=BB216_15 Depth=1
	s_or_b32 exec_lo, exec_lo, s18
	v_mov_b32_e32 v4, 0
	v_mov_b32_e32 v5, 0
	;; [unrolled: 1-line block ×3, first 2 shown]
	s_mov_b32 s18, exec_lo
	buffer_store_dword v4, off, s[0:3], s32 offset:1300 ; 4-byte Folded Spill
	buffer_store_dword v5, off, s[0:3], s32 offset:1304 ; 4-byte Folded Spill
	v_mov_b32_e32 v4, 0
	v_and_b32_sdwa v1, v0, v1 dst_sel:DWORD dst_unused:UNUSED_PAD src0_sel:WORD_1 src1_sel:DWORD
	v_mov_b32_e32 v5, 0
	buffer_store_dword v4, off, s[0:3], s32 offset:1308 ; 4-byte Folded Spill
	buffer_store_dword v5, off, s[0:3], s32 offset:1312 ; 4-byte Folded Spill
	v_cmpx_ne_u16_e32 0, v1
	s_cbranch_execz .LBB216_1098
; %bb.1091:                             ;   in Loop: Header=BB216_15 Depth=1
	v_bfrev_b32_e32 v4, 1
	v_mov_b32_e32 v5, 0
	s_mov_b32 s19, exec_lo
	buffer_store_dword v4, off, s[0:3], s32 offset:1308 ; 4-byte Folded Spill
	buffer_store_dword v5, off, s[0:3], s32 offset:1312 ; 4-byte Folded Spill
	v_cmpx_ne_u16_e32 0x80, v1
	s_cbranch_execz .LBB216_1097
; %bb.1092:                             ;   in Loop: Header=BB216_15 Depth=1
	v_mov_b32_e32 v5, 0x7f800001
	v_bfe_u32 v4, v0, 16, 7
	v_mov_b32_e32 v6, 0
	s_mov_b32 s20, exec_lo
	buffer_store_dword v5, off, s[0:3], s32 offset:1308 ; 4-byte Folded Spill
	buffer_store_dword v6, off, s[0:3], s32 offset:1312 ; 4-byte Folded Spill
	v_cmpx_ne_u32_e32 0x7f, v4
	s_cbranch_execz .LBB216_1096
; %bb.1093:                             ;   in Loop: Header=BB216_15 Depth=1
	v_mov_b32_e32 v1, 7
	s_mov_b32 s21, exec_lo
	v_and_b32_sdwa v10, v0, v1 dst_sel:DWORD dst_unused:UNUSED_PAD src0_sel:WORD_1 src1_sel:DWORD
	v_lshrrev_b32_e32 v1, 3, v4
	v_cmpx_gt_u32_e32 8, v4
; %bb.1094:                             ;   in Loop: Header=BB216_15 Depth=1
	v_ffbh_u32_e32 v1, v10
	v_min_u32_e32 v1, 32, v1
	v_subrev_nc_u32_e32 v4, 28, v1
	v_sub_nc_u32_e32 v1, 29, v1
	v_lshlrev_b64 v[4:5], v4, v[10:11]
	v_and_b32_e32 v10, 7, v4
; %bb.1095:                             ;   in Loop: Header=BB216_15 Depth=1
	s_or_b32 exec_lo, exec_lo, s21
	v_mov_b32_e32 v4, 24
	v_lshlrev_b32_e32 v5, 20, v10
	v_lshl_add_u32 v1, v1, 23, 0x3c000000
	v_lshlrev_b32_sdwa v4, v4, v0 dst_sel:DWORD dst_unused:UNUSED_PAD src0_sel:DWORD src1_sel:WORD_1
	v_and_b32_e32 v4, 0x80000000, v4
	v_or3_b32 v10, v5, v4, v1
	buffer_store_dword v10, off, s[0:3], s32 offset:1308 ; 4-byte Folded Spill
	buffer_store_dword v11, off, s[0:3], s32 offset:1312 ; 4-byte Folded Spill
.LBB216_1096:                           ;   in Loop: Header=BB216_15 Depth=1
	s_or_b32 exec_lo, exec_lo, s20
.LBB216_1097:                           ;   in Loop: Header=BB216_15 Depth=1
	s_or_b32 exec_lo, exec_lo, s19
.LBB216_1098:                           ;   in Loop: Header=BB216_15 Depth=1
	s_or_b32 exec_lo, exec_lo, s18
	s_mov_b32 s18, exec_lo
	v_cmpx_lt_u32_e32 0xffffff, v0
	s_cbranch_execz .LBB216_1106
; %bb.1099:                             ;   in Loop: Header=BB216_15 Depth=1
	v_mov_b32_e32 v1, 0x80
	v_mov_b32_e32 v115, v11
	buffer_store_dword v115, off, s[0:3], s32 offset:1300 ; 4-byte Folded Spill
	buffer_store_dword v116, off, s[0:3], s32 offset:1304 ; 4-byte Folded Spill
	v_cmp_ne_u32_sdwa s5, v0, v1 src0_sel:BYTE_3 src1_sel:DWORD
	s_and_saveexec_b32 s19, s5
	s_cbranch_execz .LBB216_1105
; %bb.1100:                             ;   in Loop: Header=BB216_15 Depth=1
	s_clause 0x1
	buffer_load_dword v5, off, s[0:3], s32 offset:192
	buffer_load_dword v6, off, s[0:3], s32 offset:196
	v_bfe_u32 v4, v0, 24, 7
	s_waitcnt vmcnt(1)
	v_mov_b32_e32 v5, v11
	s_mov_b32 s20, exec_lo
	s_waitcnt vmcnt(0)
	v_mov_b32_e32 v1, v6
	buffer_store_dword v0, off, s[0:3], s32 offset:192 ; 4-byte Folded Spill
	buffer_store_dword v1, off, s[0:3], s32 offset:196 ; 4-byte Folded Spill
	;; [unrolled: 1-line block ×4, first 2 shown]
	v_cmpx_ne_u32_e32 0x7f, v4
	s_cbranch_execz .LBB216_1104
; %bb.1101:                             ;   in Loop: Header=BB216_15 Depth=1
	v_mov_b32_e32 v1, 7
	s_mov_b32 s21, exec_lo
	v_and_b32_sdwa v10, v0, v1 dst_sel:DWORD dst_unused:UNUSED_PAD src0_sel:BYTE_3 src1_sel:DWORD
	v_lshrrev_b32_e32 v1, 3, v4
	v_cmpx_gt_u32_e32 8, v4
; %bb.1102:                             ;   in Loop: Header=BB216_15 Depth=1
	v_ffbh_u32_e32 v1, v10
	v_min_u32_e32 v1, 32, v1
	v_subrev_nc_u32_e32 v4, 28, v1
	v_sub_nc_u32_e32 v1, 29, v1
	v_lshlrev_b64 v[4:5], v4, v[10:11]
	v_and_b32_e32 v10, 7, v4
; %bb.1103:                             ;   in Loop: Header=BB216_15 Depth=1
	s_or_b32 exec_lo, exec_lo, s21
	v_mov_b32_e32 v4, 24
	v_lshl_add_u32 v1, v1, 23, 0x3c000000
	v_lshlrev_b32_sdwa v0, v4, v0 dst_sel:DWORD dst_unused:UNUSED_PAD src0_sel:DWORD src1_sel:BYTE_3
	v_lshlrev_b32_e32 v4, 20, v10
	v_and_b32_e32 v0, 0x80000000, v0
	v_or3_b32 v1, v4, v0, v1
	v_mov_b32_e32 v0, v11
	buffer_store_dword v0, off, s[0:3], s32 offset:1300 ; 4-byte Folded Spill
	buffer_store_dword v1, off, s[0:3], s32 offset:1304 ; 4-byte Folded Spill
.LBB216_1104:                           ;   in Loop: Header=BB216_15 Depth=1
	s_or_b32 exec_lo, exec_lo, s20
.LBB216_1105:                           ;   in Loop: Header=BB216_15 Depth=1
	s_or_b32 exec_lo, exec_lo, s19
.LBB216_1106:                           ;   in Loop: Header=BB216_15 Depth=1
	s_or_b32 exec_lo, exec_lo, s18
	flat_load_dword v0, v[2:3] offset:8
	v_mov_b32_e32 v4, 0
	v_mov_b32_e32 v5, 0
	buffer_store_dword v4, off, s[0:3], s32 offset:1324 ; 4-byte Folded Spill
	buffer_store_dword v5, off, s[0:3], s32 offset:1328 ; 4-byte Folded Spill
	v_mov_b32_e32 v4, 0
	v_mov_b32_e32 v5, 0
	buffer_store_dword v4, off, s[0:3], s32 offset:1316 ; 4-byte Folded Spill
	buffer_store_dword v5, off, s[0:3], s32 offset:1320 ; 4-byte Folded Spill
	s_waitcnt vmcnt(0) lgkmcnt(0)
	v_cmp_ne_u16_sdwa s5, v0, v11 src0_sel:BYTE_0 src1_sel:DWORD
	s_and_saveexec_b32 s18, s5
	s_cbranch_execz .LBB216_1114
; %bb.1107:                             ;   in Loop: Header=BB216_15 Depth=1
	v_mov_b32_e32 v1, 0x80
	v_bfrev_b32_e32 v4, 1
	v_mov_b32_e32 v5, 0
	buffer_store_dword v4, off, s[0:3], s32 offset:1316 ; 4-byte Folded Spill
	buffer_store_dword v5, off, s[0:3], s32 offset:1320 ; 4-byte Folded Spill
	v_cmp_ne_u16_sdwa s5, v0, v1 src0_sel:BYTE_0 src1_sel:DWORD
	s_and_saveexec_b32 s19, s5
	s_cbranch_execz .LBB216_1113
; %bb.1108:                             ;   in Loop: Header=BB216_15 Depth=1
	v_mov_b32_e32 v5, 0x7f800001
	v_and_b32_e32 v4, 0x7f, v0
	v_mov_b32_e32 v6, 0
	s_mov_b32 s20, exec_lo
	buffer_store_dword v5, off, s[0:3], s32 offset:1316 ; 4-byte Folded Spill
	buffer_store_dword v6, off, s[0:3], s32 offset:1320 ; 4-byte Folded Spill
	v_cmpx_ne_u32_e32 0x7f, v4
	s_cbranch_execz .LBB216_1112
; %bb.1109:                             ;   in Loop: Header=BB216_15 Depth=1
	v_and_b32_e32 v10, 7, v0
	v_lshrrev_b32_e32 v1, 3, v4
	s_mov_b32 s21, exec_lo
	v_cmpx_gt_u32_e32 8, v4
; %bb.1110:                             ;   in Loop: Header=BB216_15 Depth=1
	v_ffbh_u32_e32 v1, v10
	v_min_u32_e32 v1, 32, v1
	v_subrev_nc_u32_e32 v4, 28, v1
	v_sub_nc_u32_e32 v1, 29, v1
	v_lshlrev_b64 v[4:5], v4, v[10:11]
	v_and_b32_e32 v10, 7, v4
; %bb.1111:                             ;   in Loop: Header=BB216_15 Depth=1
	s_or_b32 exec_lo, exec_lo, s21
	v_lshlrev_b32_e32 v4, 24, v0
	v_lshlrev_b32_e32 v5, 20, v10
	v_lshl_add_u32 v1, v1, 23, 0x3c000000
	v_and_b32_e32 v4, 0x80000000, v4
	v_or3_b32 v10, v5, v4, v1
	buffer_store_dword v10, off, s[0:3], s32 offset:1316 ; 4-byte Folded Spill
	buffer_store_dword v11, off, s[0:3], s32 offset:1320 ; 4-byte Folded Spill
.LBB216_1112:                           ;   in Loop: Header=BB216_15 Depth=1
	s_or_b32 exec_lo, exec_lo, s20
.LBB216_1113:                           ;   in Loop: Header=BB216_15 Depth=1
	s_or_b32 exec_lo, exec_lo, s19
.LBB216_1114:                           ;   in Loop: Header=BB216_15 Depth=1
	s_or_b32 exec_lo, exec_lo, s18
	v_cmp_ne_u16_sdwa s5, v0, v11 src0_sel:BYTE_1 src1_sel:DWORD
	s_and_saveexec_b32 s18, s5
	s_cbranch_execz .LBB216_1122
; %bb.1115:                             ;   in Loop: Header=BB216_15 Depth=1
	v_mov_b32_e32 v1, 0x80
	v_mov_b32_e32 v115, v11
	buffer_store_dword v115, off, s[0:3], s32 offset:1324 ; 4-byte Folded Spill
	buffer_store_dword v116, off, s[0:3], s32 offset:1328 ; 4-byte Folded Spill
	v_cmp_ne_u16_sdwa s5, v0, v1 src0_sel:BYTE_1 src1_sel:DWORD
	s_and_saveexec_b32 s19, s5
	s_cbranch_execz .LBB216_1121
; %bb.1116:                             ;   in Loop: Header=BB216_15 Depth=1
	s_clause 0x1
	buffer_load_dword v5, off, s[0:3], s32 offset:192
	buffer_load_dword v6, off, s[0:3], s32 offset:196
	v_mov_b32_e32 v1, 0xffff
	s_mov_b32 s20, exec_lo
	v_and_b32_sdwa v1, v1, v0 dst_sel:DWORD dst_unused:UNUSED_PAD src0_sel:DWORD src1_sel:BYTE_1
	v_and_b32_e32 v4, 0x7f, v1
	s_waitcnt vmcnt(0)
	v_mov_b32_e32 v7, v6
	v_mov_b32_e32 v6, v11
	;; [unrolled: 1-line block ×3, first 2 shown]
	buffer_store_dword v4, off, s[0:3], s32 offset:192 ; 4-byte Folded Spill
	buffer_store_dword v5, off, s[0:3], s32 offset:196 ; 4-byte Folded Spill
	;; [unrolled: 1-line block ×4, first 2 shown]
	v_cmpx_ne_u32_e32 0x7f, v4
	s_cbranch_execz .LBB216_1120
; %bb.1117:                             ;   in Loop: Header=BB216_15 Depth=1
	v_and_b32_e32 v10, 7, v1
	v_lshrrev_b32_e32 v1, 3, v4
	s_mov_b32 s21, exec_lo
	v_cmpx_gt_u32_e32 8, v4
; %bb.1118:                             ;   in Loop: Header=BB216_15 Depth=1
	v_ffbh_u32_e32 v1, v10
	v_min_u32_e32 v1, 32, v1
	v_subrev_nc_u32_e32 v4, 28, v1
	v_sub_nc_u32_e32 v1, 29, v1
	v_lshlrev_b64 v[4:5], v4, v[10:11]
	v_and_b32_e32 v10, 7, v4
; %bb.1119:                             ;   in Loop: Header=BB216_15 Depth=1
	s_or_b32 exec_lo, exec_lo, s21
	v_lshlrev_b32_e32 v4, 16, v0
	v_lshlrev_b32_e32 v5, 20, v10
	v_lshl_add_u32 v1, v1, 23, 0x3c000000
	v_and_b32_e32 v4, 0x80000000, v4
	v_or3_b32 v5, v5, v4, v1
	v_mov_b32_e32 v4, v11
	buffer_store_dword v4, off, s[0:3], s32 offset:1324 ; 4-byte Folded Spill
	buffer_store_dword v5, off, s[0:3], s32 offset:1328 ; 4-byte Folded Spill
.LBB216_1120:                           ;   in Loop: Header=BB216_15 Depth=1
	s_or_b32 exec_lo, exec_lo, s20
.LBB216_1121:                           ;   in Loop: Header=BB216_15 Depth=1
	s_or_b32 exec_lo, exec_lo, s19
.LBB216_1122:                           ;   in Loop: Header=BB216_15 Depth=1
	s_or_b32 exec_lo, exec_lo, s18
	v_mov_b32_e32 v4, 0
	v_mov_b32_e32 v5, 0
	;; [unrolled: 1-line block ×3, first 2 shown]
	s_mov_b32 s18, exec_lo
	buffer_store_dword v4, off, s[0:3], s32 offset:1332 ; 4-byte Folded Spill
	buffer_store_dword v5, off, s[0:3], s32 offset:1336 ; 4-byte Folded Spill
	v_mov_b32_e32 v4, 0
	v_and_b32_sdwa v1, v0, v1 dst_sel:DWORD dst_unused:UNUSED_PAD src0_sel:WORD_1 src1_sel:DWORD
	v_mov_b32_e32 v5, 0
	buffer_store_dword v4, off, s[0:3], s32 offset:1340 ; 4-byte Folded Spill
	buffer_store_dword v5, off, s[0:3], s32 offset:1344 ; 4-byte Folded Spill
	v_cmpx_ne_u16_e32 0, v1
	s_cbranch_execz .LBB216_1130
; %bb.1123:                             ;   in Loop: Header=BB216_15 Depth=1
	v_bfrev_b32_e32 v4, 1
	v_mov_b32_e32 v5, 0
	s_mov_b32 s19, exec_lo
	buffer_store_dword v4, off, s[0:3], s32 offset:1340 ; 4-byte Folded Spill
	buffer_store_dword v5, off, s[0:3], s32 offset:1344 ; 4-byte Folded Spill
	v_cmpx_ne_u16_e32 0x80, v1
	s_cbranch_execz .LBB216_1129
; %bb.1124:                             ;   in Loop: Header=BB216_15 Depth=1
	v_mov_b32_e32 v5, 0x7f800001
	v_bfe_u32 v4, v0, 16, 7
	v_mov_b32_e32 v6, 0
	s_mov_b32 s20, exec_lo
	buffer_store_dword v5, off, s[0:3], s32 offset:1340 ; 4-byte Folded Spill
	buffer_store_dword v6, off, s[0:3], s32 offset:1344 ; 4-byte Folded Spill
	v_cmpx_ne_u32_e32 0x7f, v4
	s_cbranch_execz .LBB216_1128
; %bb.1125:                             ;   in Loop: Header=BB216_15 Depth=1
	v_mov_b32_e32 v1, 7
	s_mov_b32 s21, exec_lo
	v_and_b32_sdwa v10, v0, v1 dst_sel:DWORD dst_unused:UNUSED_PAD src0_sel:WORD_1 src1_sel:DWORD
	v_lshrrev_b32_e32 v1, 3, v4
	v_cmpx_gt_u32_e32 8, v4
; %bb.1126:                             ;   in Loop: Header=BB216_15 Depth=1
	v_ffbh_u32_e32 v1, v10
	v_min_u32_e32 v1, 32, v1
	v_subrev_nc_u32_e32 v4, 28, v1
	v_sub_nc_u32_e32 v1, 29, v1
	v_lshlrev_b64 v[4:5], v4, v[10:11]
	v_and_b32_e32 v10, 7, v4
; %bb.1127:                             ;   in Loop: Header=BB216_15 Depth=1
	s_or_b32 exec_lo, exec_lo, s21
	v_mov_b32_e32 v4, 24
	v_lshlrev_b32_e32 v5, 20, v10
	v_lshl_add_u32 v1, v1, 23, 0x3c000000
	v_lshlrev_b32_sdwa v4, v4, v0 dst_sel:DWORD dst_unused:UNUSED_PAD src0_sel:DWORD src1_sel:WORD_1
	v_and_b32_e32 v4, 0x80000000, v4
	v_or3_b32 v10, v5, v4, v1
	buffer_store_dword v10, off, s[0:3], s32 offset:1340 ; 4-byte Folded Spill
	buffer_store_dword v11, off, s[0:3], s32 offset:1344 ; 4-byte Folded Spill
.LBB216_1128:                           ;   in Loop: Header=BB216_15 Depth=1
	s_or_b32 exec_lo, exec_lo, s20
.LBB216_1129:                           ;   in Loop: Header=BB216_15 Depth=1
	s_or_b32 exec_lo, exec_lo, s19
.LBB216_1130:                           ;   in Loop: Header=BB216_15 Depth=1
	s_or_b32 exec_lo, exec_lo, s18
	s_mov_b32 s18, exec_lo
	v_cmpx_lt_u32_e32 0xffffff, v0
	s_cbranch_execz .LBB216_1138
; %bb.1131:                             ;   in Loop: Header=BB216_15 Depth=1
	v_mov_b32_e32 v1, 0x80
	v_mov_b32_e32 v115, v11
	buffer_store_dword v115, off, s[0:3], s32 offset:1332 ; 4-byte Folded Spill
	buffer_store_dword v116, off, s[0:3], s32 offset:1336 ; 4-byte Folded Spill
	v_cmp_ne_u32_sdwa s5, v0, v1 src0_sel:BYTE_3 src1_sel:DWORD
	s_and_saveexec_b32 s19, s5
	s_cbranch_execz .LBB216_1137
; %bb.1132:                             ;   in Loop: Header=BB216_15 Depth=1
	s_clause 0x1
	buffer_load_dword v5, off, s[0:3], s32 offset:192
	buffer_load_dword v6, off, s[0:3], s32 offset:196
	v_bfe_u32 v4, v0, 24, 7
	s_waitcnt vmcnt(1)
	v_mov_b32_e32 v5, v11
	s_mov_b32 s20, exec_lo
	s_waitcnt vmcnt(0)
	v_mov_b32_e32 v1, v6
	buffer_store_dword v0, off, s[0:3], s32 offset:192 ; 4-byte Folded Spill
	buffer_store_dword v1, off, s[0:3], s32 offset:196 ; 4-byte Folded Spill
	;; [unrolled: 1-line block ×4, first 2 shown]
	v_cmpx_ne_u32_e32 0x7f, v4
	s_cbranch_execz .LBB216_1136
; %bb.1133:                             ;   in Loop: Header=BB216_15 Depth=1
	v_mov_b32_e32 v1, 7
	s_mov_b32 s21, exec_lo
	v_and_b32_sdwa v10, v0, v1 dst_sel:DWORD dst_unused:UNUSED_PAD src0_sel:BYTE_3 src1_sel:DWORD
	v_lshrrev_b32_e32 v1, 3, v4
	v_cmpx_gt_u32_e32 8, v4
; %bb.1134:                             ;   in Loop: Header=BB216_15 Depth=1
	v_ffbh_u32_e32 v1, v10
	v_min_u32_e32 v1, 32, v1
	v_subrev_nc_u32_e32 v4, 28, v1
	v_sub_nc_u32_e32 v1, 29, v1
	v_lshlrev_b64 v[4:5], v4, v[10:11]
	v_and_b32_e32 v10, 7, v4
; %bb.1135:                             ;   in Loop: Header=BB216_15 Depth=1
	s_or_b32 exec_lo, exec_lo, s21
	v_mov_b32_e32 v4, 24
	v_lshl_add_u32 v1, v1, 23, 0x3c000000
	v_lshlrev_b32_sdwa v0, v4, v0 dst_sel:DWORD dst_unused:UNUSED_PAD src0_sel:DWORD src1_sel:BYTE_3
	v_lshlrev_b32_e32 v4, 20, v10
	v_and_b32_e32 v0, 0x80000000, v0
	v_or3_b32 v1, v4, v0, v1
	v_mov_b32_e32 v0, v11
	buffer_store_dword v0, off, s[0:3], s32 offset:1332 ; 4-byte Folded Spill
	buffer_store_dword v1, off, s[0:3], s32 offset:1336 ; 4-byte Folded Spill
.LBB216_1136:                           ;   in Loop: Header=BB216_15 Depth=1
	s_or_b32 exec_lo, exec_lo, s20
.LBB216_1137:                           ;   in Loop: Header=BB216_15 Depth=1
	s_or_b32 exec_lo, exec_lo, s19
.LBB216_1138:                           ;   in Loop: Header=BB216_15 Depth=1
	s_or_b32 exec_lo, exec_lo, s18
	flat_load_dword v0, v[2:3] offset:12
	v_mov_b32_e32 v4, 0
	v_mov_b32_e32 v5, 0
	buffer_store_dword v4, off, s[0:3], s32 offset:1356 ; 4-byte Folded Spill
	buffer_store_dword v5, off, s[0:3], s32 offset:1360 ; 4-byte Folded Spill
	v_mov_b32_e32 v4, 0
	v_mov_b32_e32 v5, 0
	buffer_store_dword v4, off, s[0:3], s32 offset:1348 ; 4-byte Folded Spill
	buffer_store_dword v5, off, s[0:3], s32 offset:1352 ; 4-byte Folded Spill
	s_waitcnt vmcnt(0) lgkmcnt(0)
	v_cmp_ne_u16_sdwa s5, v0, v11 src0_sel:BYTE_0 src1_sel:DWORD
	s_and_saveexec_b32 s18, s5
	s_cbranch_execz .LBB216_1146
; %bb.1139:                             ;   in Loop: Header=BB216_15 Depth=1
	v_mov_b32_e32 v1, 0x80
	v_bfrev_b32_e32 v4, 1
	v_mov_b32_e32 v5, 0
	buffer_store_dword v4, off, s[0:3], s32 offset:1348 ; 4-byte Folded Spill
	buffer_store_dword v5, off, s[0:3], s32 offset:1352 ; 4-byte Folded Spill
	v_cmp_ne_u16_sdwa s5, v0, v1 src0_sel:BYTE_0 src1_sel:DWORD
	s_and_saveexec_b32 s19, s5
	s_cbranch_execz .LBB216_1145
; %bb.1140:                             ;   in Loop: Header=BB216_15 Depth=1
	v_mov_b32_e32 v5, 0x7f800001
	v_and_b32_e32 v4, 0x7f, v0
	v_mov_b32_e32 v6, 0
	s_mov_b32 s20, exec_lo
	buffer_store_dword v5, off, s[0:3], s32 offset:1348 ; 4-byte Folded Spill
	buffer_store_dword v6, off, s[0:3], s32 offset:1352 ; 4-byte Folded Spill
	v_cmpx_ne_u32_e32 0x7f, v4
	s_cbranch_execz .LBB216_1144
; %bb.1141:                             ;   in Loop: Header=BB216_15 Depth=1
	v_and_b32_e32 v10, 7, v0
	v_lshrrev_b32_e32 v1, 3, v4
	s_mov_b32 s21, exec_lo
	v_cmpx_gt_u32_e32 8, v4
; %bb.1142:                             ;   in Loop: Header=BB216_15 Depth=1
	v_ffbh_u32_e32 v1, v10
	v_min_u32_e32 v1, 32, v1
	v_subrev_nc_u32_e32 v4, 28, v1
	v_sub_nc_u32_e32 v1, 29, v1
	v_lshlrev_b64 v[4:5], v4, v[10:11]
	v_and_b32_e32 v10, 7, v4
; %bb.1143:                             ;   in Loop: Header=BB216_15 Depth=1
	s_or_b32 exec_lo, exec_lo, s21
	v_lshlrev_b32_e32 v4, 24, v0
	v_lshlrev_b32_e32 v5, 20, v10
	v_lshl_add_u32 v1, v1, 23, 0x3c000000
	v_and_b32_e32 v4, 0x80000000, v4
	v_or3_b32 v10, v5, v4, v1
	buffer_store_dword v10, off, s[0:3], s32 offset:1348 ; 4-byte Folded Spill
	buffer_store_dword v11, off, s[0:3], s32 offset:1352 ; 4-byte Folded Spill
.LBB216_1144:                           ;   in Loop: Header=BB216_15 Depth=1
	s_or_b32 exec_lo, exec_lo, s20
.LBB216_1145:                           ;   in Loop: Header=BB216_15 Depth=1
	s_or_b32 exec_lo, exec_lo, s19
.LBB216_1146:                           ;   in Loop: Header=BB216_15 Depth=1
	s_or_b32 exec_lo, exec_lo, s18
	v_cmp_ne_u16_sdwa s5, v0, v11 src0_sel:BYTE_1 src1_sel:DWORD
	s_and_saveexec_b32 s18, s5
	s_cbranch_execz .LBB216_1154
; %bb.1147:                             ;   in Loop: Header=BB216_15 Depth=1
	v_mov_b32_e32 v1, 0x80
	v_mov_b32_e32 v115, v11
	buffer_store_dword v115, off, s[0:3], s32 offset:1356 ; 4-byte Folded Spill
	buffer_store_dword v116, off, s[0:3], s32 offset:1360 ; 4-byte Folded Spill
	v_cmp_ne_u16_sdwa s5, v0, v1 src0_sel:BYTE_1 src1_sel:DWORD
	s_and_saveexec_b32 s19, s5
	s_cbranch_execz .LBB216_1153
; %bb.1148:                             ;   in Loop: Header=BB216_15 Depth=1
	s_clause 0x1
	buffer_load_dword v5, off, s[0:3], s32 offset:192
	buffer_load_dword v6, off, s[0:3], s32 offset:196
	v_mov_b32_e32 v1, 0xffff
	s_mov_b32 s20, exec_lo
	v_and_b32_sdwa v1, v1, v0 dst_sel:DWORD dst_unused:UNUSED_PAD src0_sel:DWORD src1_sel:BYTE_1
	v_and_b32_e32 v4, 0x7f, v1
	s_waitcnt vmcnt(0)
	v_mov_b32_e32 v7, v6
	v_mov_b32_e32 v6, v11
	;; [unrolled: 1-line block ×3, first 2 shown]
	buffer_store_dword v4, off, s[0:3], s32 offset:192 ; 4-byte Folded Spill
	buffer_store_dword v5, off, s[0:3], s32 offset:196 ; 4-byte Folded Spill
	;; [unrolled: 1-line block ×4, first 2 shown]
	v_cmpx_ne_u32_e32 0x7f, v4
	s_cbranch_execz .LBB216_1152
; %bb.1149:                             ;   in Loop: Header=BB216_15 Depth=1
	v_and_b32_e32 v10, 7, v1
	v_lshrrev_b32_e32 v1, 3, v4
	s_mov_b32 s21, exec_lo
	v_cmpx_gt_u32_e32 8, v4
; %bb.1150:                             ;   in Loop: Header=BB216_15 Depth=1
	v_ffbh_u32_e32 v1, v10
	v_min_u32_e32 v1, 32, v1
	v_subrev_nc_u32_e32 v4, 28, v1
	v_sub_nc_u32_e32 v1, 29, v1
	v_lshlrev_b64 v[4:5], v4, v[10:11]
	v_and_b32_e32 v10, 7, v4
; %bb.1151:                             ;   in Loop: Header=BB216_15 Depth=1
	s_or_b32 exec_lo, exec_lo, s21
	v_lshlrev_b32_e32 v4, 16, v0
	v_lshlrev_b32_e32 v5, 20, v10
	v_lshl_add_u32 v1, v1, 23, 0x3c000000
	v_and_b32_e32 v4, 0x80000000, v4
	v_or3_b32 v5, v5, v4, v1
	v_mov_b32_e32 v4, v11
	buffer_store_dword v4, off, s[0:3], s32 offset:1356 ; 4-byte Folded Spill
	buffer_store_dword v5, off, s[0:3], s32 offset:1360 ; 4-byte Folded Spill
.LBB216_1152:                           ;   in Loop: Header=BB216_15 Depth=1
	s_or_b32 exec_lo, exec_lo, s20
.LBB216_1153:                           ;   in Loop: Header=BB216_15 Depth=1
	s_or_b32 exec_lo, exec_lo, s19
.LBB216_1154:                           ;   in Loop: Header=BB216_15 Depth=1
	s_or_b32 exec_lo, exec_lo, s18
	v_mov_b32_e32 v4, 0
	v_mov_b32_e32 v5, 0
	;; [unrolled: 1-line block ×3, first 2 shown]
	s_mov_b32 s18, exec_lo
	buffer_store_dword v4, off, s[0:3], s32 offset:1364 ; 4-byte Folded Spill
	buffer_store_dword v5, off, s[0:3], s32 offset:1368 ; 4-byte Folded Spill
	v_mov_b32_e32 v4, 0
	v_and_b32_sdwa v1, v0, v1 dst_sel:DWORD dst_unused:UNUSED_PAD src0_sel:WORD_1 src1_sel:DWORD
	v_mov_b32_e32 v5, 0
	buffer_store_dword v4, off, s[0:3], s32 offset:1372 ; 4-byte Folded Spill
	buffer_store_dword v5, off, s[0:3], s32 offset:1376 ; 4-byte Folded Spill
	v_cmpx_ne_u16_e32 0, v1
	s_cbranch_execz .LBB216_1162
; %bb.1155:                             ;   in Loop: Header=BB216_15 Depth=1
	v_bfrev_b32_e32 v4, 1
	v_mov_b32_e32 v5, 0
	s_mov_b32 s19, exec_lo
	buffer_store_dword v4, off, s[0:3], s32 offset:1372 ; 4-byte Folded Spill
	buffer_store_dword v5, off, s[0:3], s32 offset:1376 ; 4-byte Folded Spill
	v_cmpx_ne_u16_e32 0x80, v1
	s_cbranch_execz .LBB216_1161
; %bb.1156:                             ;   in Loop: Header=BB216_15 Depth=1
	v_mov_b32_e32 v5, 0x7f800001
	v_bfe_u32 v4, v0, 16, 7
	v_mov_b32_e32 v6, 0
	s_mov_b32 s20, exec_lo
	buffer_store_dword v5, off, s[0:3], s32 offset:1372 ; 4-byte Folded Spill
	buffer_store_dword v6, off, s[0:3], s32 offset:1376 ; 4-byte Folded Spill
	v_cmpx_ne_u32_e32 0x7f, v4
	s_cbranch_execz .LBB216_1160
; %bb.1157:                             ;   in Loop: Header=BB216_15 Depth=1
	v_mov_b32_e32 v1, 7
	s_mov_b32 s21, exec_lo
	v_and_b32_sdwa v10, v0, v1 dst_sel:DWORD dst_unused:UNUSED_PAD src0_sel:WORD_1 src1_sel:DWORD
	v_lshrrev_b32_e32 v1, 3, v4
	v_cmpx_gt_u32_e32 8, v4
; %bb.1158:                             ;   in Loop: Header=BB216_15 Depth=1
	v_ffbh_u32_e32 v1, v10
	v_min_u32_e32 v1, 32, v1
	v_subrev_nc_u32_e32 v4, 28, v1
	v_sub_nc_u32_e32 v1, 29, v1
	v_lshlrev_b64 v[4:5], v4, v[10:11]
	v_and_b32_e32 v10, 7, v4
; %bb.1159:                             ;   in Loop: Header=BB216_15 Depth=1
	s_or_b32 exec_lo, exec_lo, s21
	v_mov_b32_e32 v4, 24
	v_lshlrev_b32_e32 v5, 20, v10
	v_lshl_add_u32 v1, v1, 23, 0x3c000000
	v_lshlrev_b32_sdwa v4, v4, v0 dst_sel:DWORD dst_unused:UNUSED_PAD src0_sel:DWORD src1_sel:WORD_1
	v_and_b32_e32 v4, 0x80000000, v4
	v_or3_b32 v10, v5, v4, v1
	buffer_store_dword v10, off, s[0:3], s32 offset:1372 ; 4-byte Folded Spill
	buffer_store_dword v11, off, s[0:3], s32 offset:1376 ; 4-byte Folded Spill
.LBB216_1160:                           ;   in Loop: Header=BB216_15 Depth=1
	s_or_b32 exec_lo, exec_lo, s20
.LBB216_1161:                           ;   in Loop: Header=BB216_15 Depth=1
	s_or_b32 exec_lo, exec_lo, s19
.LBB216_1162:                           ;   in Loop: Header=BB216_15 Depth=1
	s_or_b32 exec_lo, exec_lo, s18
	s_mov_b32 s18, exec_lo
	v_cmpx_lt_u32_e32 0xffffff, v0
	s_cbranch_execz .LBB216_1170
; %bb.1163:                             ;   in Loop: Header=BB216_15 Depth=1
	v_mov_b32_e32 v1, 0x80
	v_mov_b32_e32 v115, v11
	buffer_store_dword v115, off, s[0:3], s32 offset:1364 ; 4-byte Folded Spill
	buffer_store_dword v116, off, s[0:3], s32 offset:1368 ; 4-byte Folded Spill
	v_cmp_ne_u32_sdwa s5, v0, v1 src0_sel:BYTE_3 src1_sel:DWORD
	s_and_saveexec_b32 s19, s5
	s_cbranch_execz .LBB216_1169
; %bb.1164:                             ;   in Loop: Header=BB216_15 Depth=1
	s_clause 0x1
	buffer_load_dword v5, off, s[0:3], s32 offset:192
	buffer_load_dword v6, off, s[0:3], s32 offset:196
	v_bfe_u32 v4, v0, 24, 7
	s_waitcnt vmcnt(1)
	v_mov_b32_e32 v5, v11
	s_mov_b32 s20, exec_lo
	s_waitcnt vmcnt(0)
	v_mov_b32_e32 v1, v6
	buffer_store_dword v0, off, s[0:3], s32 offset:192 ; 4-byte Folded Spill
	buffer_store_dword v1, off, s[0:3], s32 offset:196 ; 4-byte Folded Spill
	;; [unrolled: 1-line block ×4, first 2 shown]
	v_cmpx_ne_u32_e32 0x7f, v4
	s_cbranch_execz .LBB216_1168
; %bb.1165:                             ;   in Loop: Header=BB216_15 Depth=1
	v_mov_b32_e32 v1, 7
	s_mov_b32 s21, exec_lo
	v_and_b32_sdwa v10, v0, v1 dst_sel:DWORD dst_unused:UNUSED_PAD src0_sel:BYTE_3 src1_sel:DWORD
	v_lshrrev_b32_e32 v1, 3, v4
	v_cmpx_gt_u32_e32 8, v4
; %bb.1166:                             ;   in Loop: Header=BB216_15 Depth=1
	v_ffbh_u32_e32 v1, v10
	v_min_u32_e32 v1, 32, v1
	v_subrev_nc_u32_e32 v4, 28, v1
	v_sub_nc_u32_e32 v1, 29, v1
	v_lshlrev_b64 v[4:5], v4, v[10:11]
	v_and_b32_e32 v10, 7, v4
; %bb.1167:                             ;   in Loop: Header=BB216_15 Depth=1
	s_or_b32 exec_lo, exec_lo, s21
	v_mov_b32_e32 v4, 24
	v_lshl_add_u32 v1, v1, 23, 0x3c000000
	v_lshlrev_b32_sdwa v0, v4, v0 dst_sel:DWORD dst_unused:UNUSED_PAD src0_sel:DWORD src1_sel:BYTE_3
	v_lshlrev_b32_e32 v4, 20, v10
	v_and_b32_e32 v0, 0x80000000, v0
	v_or3_b32 v1, v4, v0, v1
	v_mov_b32_e32 v0, v11
	buffer_store_dword v0, off, s[0:3], s32 offset:1364 ; 4-byte Folded Spill
	buffer_store_dword v1, off, s[0:3], s32 offset:1368 ; 4-byte Folded Spill
.LBB216_1168:                           ;   in Loop: Header=BB216_15 Depth=1
	s_or_b32 exec_lo, exec_lo, s20
.LBB216_1169:                           ;   in Loop: Header=BB216_15 Depth=1
	s_or_b32 exec_lo, exec_lo, s19
.LBB216_1170:                           ;   in Loop: Header=BB216_15 Depth=1
	s_or_b32 exec_lo, exec_lo, s18
	flat_load_dword v0, v[2:3] offset:512
	v_mov_b32_e32 v4, 0
	v_mov_b32_e32 v5, 0
	buffer_store_dword v4, off, s[0:3], s32 offset:1388 ; 4-byte Folded Spill
	buffer_store_dword v5, off, s[0:3], s32 offset:1392 ; 4-byte Folded Spill
	v_mov_b32_e32 v4, 0
	v_mov_b32_e32 v5, 0
	buffer_store_dword v4, off, s[0:3], s32 offset:1380 ; 4-byte Folded Spill
	buffer_store_dword v5, off, s[0:3], s32 offset:1384 ; 4-byte Folded Spill
	s_waitcnt vmcnt(0) lgkmcnt(0)
	v_cmp_ne_u16_sdwa s5, v0, v11 src0_sel:BYTE_0 src1_sel:DWORD
	s_and_saveexec_b32 s18, s5
	s_cbranch_execz .LBB216_1178
; %bb.1171:                             ;   in Loop: Header=BB216_15 Depth=1
	v_mov_b32_e32 v1, 0x80
	v_bfrev_b32_e32 v4, 1
	v_mov_b32_e32 v5, 0
	buffer_store_dword v4, off, s[0:3], s32 offset:1380 ; 4-byte Folded Spill
	buffer_store_dword v5, off, s[0:3], s32 offset:1384 ; 4-byte Folded Spill
	v_cmp_ne_u16_sdwa s5, v0, v1 src0_sel:BYTE_0 src1_sel:DWORD
	s_and_saveexec_b32 s19, s5
	s_cbranch_execz .LBB216_1177
; %bb.1172:                             ;   in Loop: Header=BB216_15 Depth=1
	v_mov_b32_e32 v5, 0x7f800001
	v_and_b32_e32 v4, 0x7f, v0
	v_mov_b32_e32 v6, 0
	s_mov_b32 s20, exec_lo
	buffer_store_dword v5, off, s[0:3], s32 offset:1380 ; 4-byte Folded Spill
	buffer_store_dword v6, off, s[0:3], s32 offset:1384 ; 4-byte Folded Spill
	v_cmpx_ne_u32_e32 0x7f, v4
	s_cbranch_execz .LBB216_1176
; %bb.1173:                             ;   in Loop: Header=BB216_15 Depth=1
	v_and_b32_e32 v10, 7, v0
	v_lshrrev_b32_e32 v1, 3, v4
	s_mov_b32 s21, exec_lo
	v_cmpx_gt_u32_e32 8, v4
; %bb.1174:                             ;   in Loop: Header=BB216_15 Depth=1
	v_ffbh_u32_e32 v1, v10
	v_min_u32_e32 v1, 32, v1
	v_subrev_nc_u32_e32 v4, 28, v1
	v_sub_nc_u32_e32 v1, 29, v1
	v_lshlrev_b64 v[4:5], v4, v[10:11]
	v_and_b32_e32 v10, 7, v4
; %bb.1175:                             ;   in Loop: Header=BB216_15 Depth=1
	s_or_b32 exec_lo, exec_lo, s21
	v_lshlrev_b32_e32 v4, 24, v0
	v_lshlrev_b32_e32 v5, 20, v10
	v_lshl_add_u32 v1, v1, 23, 0x3c000000
	v_and_b32_e32 v4, 0x80000000, v4
	v_or3_b32 v10, v5, v4, v1
	buffer_store_dword v10, off, s[0:3], s32 offset:1380 ; 4-byte Folded Spill
	buffer_store_dword v11, off, s[0:3], s32 offset:1384 ; 4-byte Folded Spill
.LBB216_1176:                           ;   in Loop: Header=BB216_15 Depth=1
	s_or_b32 exec_lo, exec_lo, s20
.LBB216_1177:                           ;   in Loop: Header=BB216_15 Depth=1
	s_or_b32 exec_lo, exec_lo, s19
.LBB216_1178:                           ;   in Loop: Header=BB216_15 Depth=1
	s_or_b32 exec_lo, exec_lo, s18
	v_cmp_ne_u16_sdwa s5, v0, v11 src0_sel:BYTE_1 src1_sel:DWORD
	s_and_saveexec_b32 s18, s5
	s_cbranch_execz .LBB216_1186
; %bb.1179:                             ;   in Loop: Header=BB216_15 Depth=1
	v_mov_b32_e32 v1, 0x80
	v_mov_b32_e32 v115, v11
	buffer_store_dword v115, off, s[0:3], s32 offset:1388 ; 4-byte Folded Spill
	buffer_store_dword v116, off, s[0:3], s32 offset:1392 ; 4-byte Folded Spill
	v_cmp_ne_u16_sdwa s5, v0, v1 src0_sel:BYTE_1 src1_sel:DWORD
	s_and_saveexec_b32 s19, s5
	s_cbranch_execz .LBB216_1185
; %bb.1180:                             ;   in Loop: Header=BB216_15 Depth=1
	s_clause 0x1
	buffer_load_dword v5, off, s[0:3], s32 offset:192
	buffer_load_dword v6, off, s[0:3], s32 offset:196
	v_mov_b32_e32 v1, 0xffff
	s_mov_b32 s20, exec_lo
	v_and_b32_sdwa v1, v1, v0 dst_sel:DWORD dst_unused:UNUSED_PAD src0_sel:DWORD src1_sel:BYTE_1
	v_and_b32_e32 v4, 0x7f, v1
	s_waitcnt vmcnt(0)
	v_mov_b32_e32 v7, v6
	v_mov_b32_e32 v6, v11
	;; [unrolled: 1-line block ×3, first 2 shown]
	buffer_store_dword v4, off, s[0:3], s32 offset:192 ; 4-byte Folded Spill
	buffer_store_dword v5, off, s[0:3], s32 offset:196 ; 4-byte Folded Spill
	;; [unrolled: 1-line block ×4, first 2 shown]
	v_cmpx_ne_u32_e32 0x7f, v4
	s_cbranch_execz .LBB216_1184
; %bb.1181:                             ;   in Loop: Header=BB216_15 Depth=1
	v_and_b32_e32 v10, 7, v1
	v_lshrrev_b32_e32 v1, 3, v4
	s_mov_b32 s21, exec_lo
	v_cmpx_gt_u32_e32 8, v4
; %bb.1182:                             ;   in Loop: Header=BB216_15 Depth=1
	v_ffbh_u32_e32 v1, v10
	v_min_u32_e32 v1, 32, v1
	v_subrev_nc_u32_e32 v4, 28, v1
	v_sub_nc_u32_e32 v1, 29, v1
	v_lshlrev_b64 v[4:5], v4, v[10:11]
	v_and_b32_e32 v10, 7, v4
; %bb.1183:                             ;   in Loop: Header=BB216_15 Depth=1
	s_or_b32 exec_lo, exec_lo, s21
	v_lshlrev_b32_e32 v4, 16, v0
	v_lshlrev_b32_e32 v5, 20, v10
	v_lshl_add_u32 v1, v1, 23, 0x3c000000
	v_and_b32_e32 v4, 0x80000000, v4
	v_or3_b32 v5, v5, v4, v1
	v_mov_b32_e32 v4, v11
	buffer_store_dword v4, off, s[0:3], s32 offset:1388 ; 4-byte Folded Spill
	buffer_store_dword v5, off, s[0:3], s32 offset:1392 ; 4-byte Folded Spill
.LBB216_1184:                           ;   in Loop: Header=BB216_15 Depth=1
	s_or_b32 exec_lo, exec_lo, s20
.LBB216_1185:                           ;   in Loop: Header=BB216_15 Depth=1
	s_or_b32 exec_lo, exec_lo, s19
.LBB216_1186:                           ;   in Loop: Header=BB216_15 Depth=1
	s_or_b32 exec_lo, exec_lo, s18
	v_mov_b32_e32 v4, 0
	v_mov_b32_e32 v5, 0
	;; [unrolled: 1-line block ×3, first 2 shown]
	s_mov_b32 s18, exec_lo
	buffer_store_dword v4, off, s[0:3], s32 offset:1396 ; 4-byte Folded Spill
	buffer_store_dword v5, off, s[0:3], s32 offset:1400 ; 4-byte Folded Spill
	v_mov_b32_e32 v4, 0
	v_and_b32_sdwa v1, v0, v1 dst_sel:DWORD dst_unused:UNUSED_PAD src0_sel:WORD_1 src1_sel:DWORD
	v_mov_b32_e32 v5, 0
	buffer_store_dword v4, off, s[0:3], s32 offset:1404 ; 4-byte Folded Spill
	buffer_store_dword v5, off, s[0:3], s32 offset:1408 ; 4-byte Folded Spill
	v_cmpx_ne_u16_e32 0, v1
	s_cbranch_execz .LBB216_1194
; %bb.1187:                             ;   in Loop: Header=BB216_15 Depth=1
	v_bfrev_b32_e32 v4, 1
	v_mov_b32_e32 v5, 0
	s_mov_b32 s19, exec_lo
	buffer_store_dword v4, off, s[0:3], s32 offset:1404 ; 4-byte Folded Spill
	buffer_store_dword v5, off, s[0:3], s32 offset:1408 ; 4-byte Folded Spill
	v_cmpx_ne_u16_e32 0x80, v1
	s_cbranch_execz .LBB216_1193
; %bb.1188:                             ;   in Loop: Header=BB216_15 Depth=1
	v_mov_b32_e32 v5, 0x7f800001
	v_bfe_u32 v4, v0, 16, 7
	v_mov_b32_e32 v6, 0
	s_mov_b32 s20, exec_lo
	buffer_store_dword v5, off, s[0:3], s32 offset:1404 ; 4-byte Folded Spill
	buffer_store_dword v6, off, s[0:3], s32 offset:1408 ; 4-byte Folded Spill
	v_cmpx_ne_u32_e32 0x7f, v4
	s_cbranch_execz .LBB216_1192
; %bb.1189:                             ;   in Loop: Header=BB216_15 Depth=1
	v_mov_b32_e32 v1, 7
	s_mov_b32 s21, exec_lo
	v_and_b32_sdwa v10, v0, v1 dst_sel:DWORD dst_unused:UNUSED_PAD src0_sel:WORD_1 src1_sel:DWORD
	v_lshrrev_b32_e32 v1, 3, v4
	v_cmpx_gt_u32_e32 8, v4
; %bb.1190:                             ;   in Loop: Header=BB216_15 Depth=1
	v_ffbh_u32_e32 v1, v10
	v_min_u32_e32 v1, 32, v1
	v_subrev_nc_u32_e32 v4, 28, v1
	v_sub_nc_u32_e32 v1, 29, v1
	v_lshlrev_b64 v[4:5], v4, v[10:11]
	v_and_b32_e32 v10, 7, v4
; %bb.1191:                             ;   in Loop: Header=BB216_15 Depth=1
	s_or_b32 exec_lo, exec_lo, s21
	v_mov_b32_e32 v4, 24
	v_lshlrev_b32_e32 v5, 20, v10
	v_lshl_add_u32 v1, v1, 23, 0x3c000000
	v_lshlrev_b32_sdwa v4, v4, v0 dst_sel:DWORD dst_unused:UNUSED_PAD src0_sel:DWORD src1_sel:WORD_1
	v_and_b32_e32 v4, 0x80000000, v4
	v_or3_b32 v10, v5, v4, v1
	buffer_store_dword v10, off, s[0:3], s32 offset:1404 ; 4-byte Folded Spill
	buffer_store_dword v11, off, s[0:3], s32 offset:1408 ; 4-byte Folded Spill
.LBB216_1192:                           ;   in Loop: Header=BB216_15 Depth=1
	s_or_b32 exec_lo, exec_lo, s20
.LBB216_1193:                           ;   in Loop: Header=BB216_15 Depth=1
	s_or_b32 exec_lo, exec_lo, s19
.LBB216_1194:                           ;   in Loop: Header=BB216_15 Depth=1
	s_or_b32 exec_lo, exec_lo, s18
	s_mov_b32 s18, exec_lo
	v_cmpx_lt_u32_e32 0xffffff, v0
	s_cbranch_execz .LBB216_1202
; %bb.1195:                             ;   in Loop: Header=BB216_15 Depth=1
	v_mov_b32_e32 v1, 0x80
	v_mov_b32_e32 v115, v11
	buffer_store_dword v115, off, s[0:3], s32 offset:1396 ; 4-byte Folded Spill
	buffer_store_dword v116, off, s[0:3], s32 offset:1400 ; 4-byte Folded Spill
	v_cmp_ne_u32_sdwa s5, v0, v1 src0_sel:BYTE_3 src1_sel:DWORD
	s_and_saveexec_b32 s19, s5
	s_cbranch_execz .LBB216_1201
; %bb.1196:                             ;   in Loop: Header=BB216_15 Depth=1
	s_clause 0x1
	buffer_load_dword v5, off, s[0:3], s32 offset:192
	buffer_load_dword v6, off, s[0:3], s32 offset:196
	v_bfe_u32 v4, v0, 24, 7
	s_waitcnt vmcnt(1)
	v_mov_b32_e32 v5, v11
	s_mov_b32 s20, exec_lo
	s_waitcnt vmcnt(0)
	v_mov_b32_e32 v1, v6
	buffer_store_dword v0, off, s[0:3], s32 offset:192 ; 4-byte Folded Spill
	buffer_store_dword v1, off, s[0:3], s32 offset:196 ; 4-byte Folded Spill
	;; [unrolled: 1-line block ×4, first 2 shown]
	v_cmpx_ne_u32_e32 0x7f, v4
	s_cbranch_execz .LBB216_1200
; %bb.1197:                             ;   in Loop: Header=BB216_15 Depth=1
	v_mov_b32_e32 v1, 7
	s_mov_b32 s21, exec_lo
	v_and_b32_sdwa v10, v0, v1 dst_sel:DWORD dst_unused:UNUSED_PAD src0_sel:BYTE_3 src1_sel:DWORD
	v_lshrrev_b32_e32 v1, 3, v4
	v_cmpx_gt_u32_e32 8, v4
; %bb.1198:                             ;   in Loop: Header=BB216_15 Depth=1
	v_ffbh_u32_e32 v1, v10
	v_min_u32_e32 v1, 32, v1
	v_subrev_nc_u32_e32 v4, 28, v1
	v_sub_nc_u32_e32 v1, 29, v1
	v_lshlrev_b64 v[4:5], v4, v[10:11]
	v_and_b32_e32 v10, 7, v4
; %bb.1199:                             ;   in Loop: Header=BB216_15 Depth=1
	s_or_b32 exec_lo, exec_lo, s21
	v_mov_b32_e32 v4, 24
	v_lshl_add_u32 v1, v1, 23, 0x3c000000
	v_lshlrev_b32_sdwa v0, v4, v0 dst_sel:DWORD dst_unused:UNUSED_PAD src0_sel:DWORD src1_sel:BYTE_3
	v_lshlrev_b32_e32 v4, 20, v10
	v_and_b32_e32 v0, 0x80000000, v0
	v_or3_b32 v1, v4, v0, v1
	v_mov_b32_e32 v0, v11
	buffer_store_dword v0, off, s[0:3], s32 offset:1396 ; 4-byte Folded Spill
	buffer_store_dword v1, off, s[0:3], s32 offset:1400 ; 4-byte Folded Spill
.LBB216_1200:                           ;   in Loop: Header=BB216_15 Depth=1
	s_or_b32 exec_lo, exec_lo, s20
.LBB216_1201:                           ;   in Loop: Header=BB216_15 Depth=1
	s_or_b32 exec_lo, exec_lo, s19
.LBB216_1202:                           ;   in Loop: Header=BB216_15 Depth=1
	s_or_b32 exec_lo, exec_lo, s18
	flat_load_dword v0, v[2:3] offset:516
	v_mov_b32_e32 v4, 0
	v_mov_b32_e32 v5, 0
	buffer_store_dword v4, off, s[0:3], s32 offset:1420 ; 4-byte Folded Spill
	buffer_store_dword v5, off, s[0:3], s32 offset:1424 ; 4-byte Folded Spill
	v_mov_b32_e32 v4, 0
	v_mov_b32_e32 v5, 0
	buffer_store_dword v4, off, s[0:3], s32 offset:1412 ; 4-byte Folded Spill
	buffer_store_dword v5, off, s[0:3], s32 offset:1416 ; 4-byte Folded Spill
	s_waitcnt vmcnt(0) lgkmcnt(0)
	v_cmp_ne_u16_sdwa s5, v0, v11 src0_sel:BYTE_0 src1_sel:DWORD
	s_and_saveexec_b32 s18, s5
	s_cbranch_execz .LBB216_1210
; %bb.1203:                             ;   in Loop: Header=BB216_15 Depth=1
	v_mov_b32_e32 v1, 0x80
	v_bfrev_b32_e32 v4, 1
	v_mov_b32_e32 v5, 0
	buffer_store_dword v4, off, s[0:3], s32 offset:1412 ; 4-byte Folded Spill
	buffer_store_dword v5, off, s[0:3], s32 offset:1416 ; 4-byte Folded Spill
	v_cmp_ne_u16_sdwa s5, v0, v1 src0_sel:BYTE_0 src1_sel:DWORD
	s_and_saveexec_b32 s19, s5
	s_cbranch_execz .LBB216_1209
; %bb.1204:                             ;   in Loop: Header=BB216_15 Depth=1
	v_mov_b32_e32 v5, 0x7f800001
	v_and_b32_e32 v4, 0x7f, v0
	v_mov_b32_e32 v6, 0
	s_mov_b32 s20, exec_lo
	buffer_store_dword v5, off, s[0:3], s32 offset:1412 ; 4-byte Folded Spill
	buffer_store_dword v6, off, s[0:3], s32 offset:1416 ; 4-byte Folded Spill
	v_cmpx_ne_u32_e32 0x7f, v4
	s_cbranch_execz .LBB216_1208
; %bb.1205:                             ;   in Loop: Header=BB216_15 Depth=1
	v_and_b32_e32 v10, 7, v0
	v_lshrrev_b32_e32 v1, 3, v4
	s_mov_b32 s21, exec_lo
	v_cmpx_gt_u32_e32 8, v4
; %bb.1206:                             ;   in Loop: Header=BB216_15 Depth=1
	v_ffbh_u32_e32 v1, v10
	v_min_u32_e32 v1, 32, v1
	v_subrev_nc_u32_e32 v4, 28, v1
	v_sub_nc_u32_e32 v1, 29, v1
	v_lshlrev_b64 v[4:5], v4, v[10:11]
	v_and_b32_e32 v10, 7, v4
; %bb.1207:                             ;   in Loop: Header=BB216_15 Depth=1
	s_or_b32 exec_lo, exec_lo, s21
	v_lshlrev_b32_e32 v4, 24, v0
	v_lshlrev_b32_e32 v5, 20, v10
	v_lshl_add_u32 v1, v1, 23, 0x3c000000
	v_and_b32_e32 v4, 0x80000000, v4
	v_or3_b32 v10, v5, v4, v1
	buffer_store_dword v10, off, s[0:3], s32 offset:1412 ; 4-byte Folded Spill
	buffer_store_dword v11, off, s[0:3], s32 offset:1416 ; 4-byte Folded Spill
.LBB216_1208:                           ;   in Loop: Header=BB216_15 Depth=1
	s_or_b32 exec_lo, exec_lo, s20
.LBB216_1209:                           ;   in Loop: Header=BB216_15 Depth=1
	s_or_b32 exec_lo, exec_lo, s19
.LBB216_1210:                           ;   in Loop: Header=BB216_15 Depth=1
	s_or_b32 exec_lo, exec_lo, s18
	v_cmp_ne_u16_sdwa s5, v0, v11 src0_sel:BYTE_1 src1_sel:DWORD
	s_and_saveexec_b32 s18, s5
	s_cbranch_execz .LBB216_1218
; %bb.1211:                             ;   in Loop: Header=BB216_15 Depth=1
	v_mov_b32_e32 v1, 0x80
	v_mov_b32_e32 v115, v11
	buffer_store_dword v115, off, s[0:3], s32 offset:1420 ; 4-byte Folded Spill
	buffer_store_dword v116, off, s[0:3], s32 offset:1424 ; 4-byte Folded Spill
	v_cmp_ne_u16_sdwa s5, v0, v1 src0_sel:BYTE_1 src1_sel:DWORD
	s_and_saveexec_b32 s19, s5
	s_cbranch_execz .LBB216_1217
; %bb.1212:                             ;   in Loop: Header=BB216_15 Depth=1
	s_clause 0x1
	buffer_load_dword v5, off, s[0:3], s32 offset:192
	buffer_load_dword v6, off, s[0:3], s32 offset:196
	v_mov_b32_e32 v1, 0xffff
	s_mov_b32 s20, exec_lo
	v_and_b32_sdwa v1, v1, v0 dst_sel:DWORD dst_unused:UNUSED_PAD src0_sel:DWORD src1_sel:BYTE_1
	v_and_b32_e32 v4, 0x7f, v1
	s_waitcnt vmcnt(0)
	v_mov_b32_e32 v7, v6
	v_mov_b32_e32 v6, v11
	;; [unrolled: 1-line block ×3, first 2 shown]
	buffer_store_dword v4, off, s[0:3], s32 offset:192 ; 4-byte Folded Spill
	buffer_store_dword v5, off, s[0:3], s32 offset:196 ; 4-byte Folded Spill
	;; [unrolled: 1-line block ×4, first 2 shown]
	v_cmpx_ne_u32_e32 0x7f, v4
	s_cbranch_execz .LBB216_1216
; %bb.1213:                             ;   in Loop: Header=BB216_15 Depth=1
	v_and_b32_e32 v10, 7, v1
	v_lshrrev_b32_e32 v1, 3, v4
	s_mov_b32 s21, exec_lo
	v_cmpx_gt_u32_e32 8, v4
; %bb.1214:                             ;   in Loop: Header=BB216_15 Depth=1
	v_ffbh_u32_e32 v1, v10
	v_min_u32_e32 v1, 32, v1
	v_subrev_nc_u32_e32 v4, 28, v1
	v_sub_nc_u32_e32 v1, 29, v1
	v_lshlrev_b64 v[4:5], v4, v[10:11]
	v_and_b32_e32 v10, 7, v4
; %bb.1215:                             ;   in Loop: Header=BB216_15 Depth=1
	s_or_b32 exec_lo, exec_lo, s21
	v_lshlrev_b32_e32 v4, 16, v0
	v_lshlrev_b32_e32 v5, 20, v10
	v_lshl_add_u32 v1, v1, 23, 0x3c000000
	v_and_b32_e32 v4, 0x80000000, v4
	v_or3_b32 v5, v5, v4, v1
	v_mov_b32_e32 v4, v11
	buffer_store_dword v4, off, s[0:3], s32 offset:1420 ; 4-byte Folded Spill
	buffer_store_dword v5, off, s[0:3], s32 offset:1424 ; 4-byte Folded Spill
.LBB216_1216:                           ;   in Loop: Header=BB216_15 Depth=1
	s_or_b32 exec_lo, exec_lo, s20
.LBB216_1217:                           ;   in Loop: Header=BB216_15 Depth=1
	s_or_b32 exec_lo, exec_lo, s19
.LBB216_1218:                           ;   in Loop: Header=BB216_15 Depth=1
	s_or_b32 exec_lo, exec_lo, s18
	v_mov_b32_e32 v4, 0
	v_mov_b32_e32 v5, 0
	;; [unrolled: 1-line block ×3, first 2 shown]
	s_mov_b32 s18, exec_lo
	buffer_store_dword v4, off, s[0:3], s32 offset:1428 ; 4-byte Folded Spill
	buffer_store_dword v5, off, s[0:3], s32 offset:1432 ; 4-byte Folded Spill
	v_mov_b32_e32 v4, 0
	v_and_b32_sdwa v1, v0, v1 dst_sel:DWORD dst_unused:UNUSED_PAD src0_sel:WORD_1 src1_sel:DWORD
	v_mov_b32_e32 v5, 0
	buffer_store_dword v4, off, s[0:3], s32 offset:1436 ; 4-byte Folded Spill
	buffer_store_dword v5, off, s[0:3], s32 offset:1440 ; 4-byte Folded Spill
	v_cmpx_ne_u16_e32 0, v1
	s_cbranch_execz .LBB216_1226
; %bb.1219:                             ;   in Loop: Header=BB216_15 Depth=1
	v_bfrev_b32_e32 v4, 1
	v_mov_b32_e32 v5, 0
	s_mov_b32 s19, exec_lo
	buffer_store_dword v4, off, s[0:3], s32 offset:1436 ; 4-byte Folded Spill
	buffer_store_dword v5, off, s[0:3], s32 offset:1440 ; 4-byte Folded Spill
	v_cmpx_ne_u16_e32 0x80, v1
	s_cbranch_execz .LBB216_1225
; %bb.1220:                             ;   in Loop: Header=BB216_15 Depth=1
	v_mov_b32_e32 v5, 0x7f800001
	v_bfe_u32 v4, v0, 16, 7
	v_mov_b32_e32 v6, 0
	s_mov_b32 s20, exec_lo
	buffer_store_dword v5, off, s[0:3], s32 offset:1436 ; 4-byte Folded Spill
	buffer_store_dword v6, off, s[0:3], s32 offset:1440 ; 4-byte Folded Spill
	v_cmpx_ne_u32_e32 0x7f, v4
	s_cbranch_execz .LBB216_1224
; %bb.1221:                             ;   in Loop: Header=BB216_15 Depth=1
	v_mov_b32_e32 v1, 7
	s_mov_b32 s21, exec_lo
	v_and_b32_sdwa v10, v0, v1 dst_sel:DWORD dst_unused:UNUSED_PAD src0_sel:WORD_1 src1_sel:DWORD
	v_lshrrev_b32_e32 v1, 3, v4
	v_cmpx_gt_u32_e32 8, v4
; %bb.1222:                             ;   in Loop: Header=BB216_15 Depth=1
	v_ffbh_u32_e32 v1, v10
	v_min_u32_e32 v1, 32, v1
	v_subrev_nc_u32_e32 v4, 28, v1
	v_sub_nc_u32_e32 v1, 29, v1
	v_lshlrev_b64 v[4:5], v4, v[10:11]
	v_and_b32_e32 v10, 7, v4
; %bb.1223:                             ;   in Loop: Header=BB216_15 Depth=1
	s_or_b32 exec_lo, exec_lo, s21
	v_mov_b32_e32 v4, 24
	v_lshlrev_b32_e32 v5, 20, v10
	v_lshl_add_u32 v1, v1, 23, 0x3c000000
	v_lshlrev_b32_sdwa v4, v4, v0 dst_sel:DWORD dst_unused:UNUSED_PAD src0_sel:DWORD src1_sel:WORD_1
	v_and_b32_e32 v4, 0x80000000, v4
	v_or3_b32 v10, v5, v4, v1
	buffer_store_dword v10, off, s[0:3], s32 offset:1436 ; 4-byte Folded Spill
	buffer_store_dword v11, off, s[0:3], s32 offset:1440 ; 4-byte Folded Spill
.LBB216_1224:                           ;   in Loop: Header=BB216_15 Depth=1
	s_or_b32 exec_lo, exec_lo, s20
.LBB216_1225:                           ;   in Loop: Header=BB216_15 Depth=1
	s_or_b32 exec_lo, exec_lo, s19
.LBB216_1226:                           ;   in Loop: Header=BB216_15 Depth=1
	s_or_b32 exec_lo, exec_lo, s18
	s_mov_b32 s18, exec_lo
	v_cmpx_lt_u32_e32 0xffffff, v0
	s_cbranch_execz .LBB216_1234
; %bb.1227:                             ;   in Loop: Header=BB216_15 Depth=1
	v_mov_b32_e32 v1, 0x80
	v_mov_b32_e32 v115, v11
	buffer_store_dword v115, off, s[0:3], s32 offset:1428 ; 4-byte Folded Spill
	buffer_store_dword v116, off, s[0:3], s32 offset:1432 ; 4-byte Folded Spill
	v_cmp_ne_u32_sdwa s5, v0, v1 src0_sel:BYTE_3 src1_sel:DWORD
	s_and_saveexec_b32 s19, s5
	s_cbranch_execz .LBB216_1233
; %bb.1228:                             ;   in Loop: Header=BB216_15 Depth=1
	s_clause 0x1
	buffer_load_dword v5, off, s[0:3], s32 offset:192
	buffer_load_dword v6, off, s[0:3], s32 offset:196
	v_bfe_u32 v4, v0, 24, 7
	s_waitcnt vmcnt(1)
	v_mov_b32_e32 v5, v11
	s_mov_b32 s20, exec_lo
	s_waitcnt vmcnt(0)
	v_mov_b32_e32 v1, v6
	buffer_store_dword v0, off, s[0:3], s32 offset:192 ; 4-byte Folded Spill
	buffer_store_dword v1, off, s[0:3], s32 offset:196 ; 4-byte Folded Spill
	;; [unrolled: 1-line block ×4, first 2 shown]
	v_cmpx_ne_u32_e32 0x7f, v4
	s_cbranch_execz .LBB216_1232
; %bb.1229:                             ;   in Loop: Header=BB216_15 Depth=1
	v_mov_b32_e32 v1, 7
	s_mov_b32 s21, exec_lo
	v_and_b32_sdwa v10, v0, v1 dst_sel:DWORD dst_unused:UNUSED_PAD src0_sel:BYTE_3 src1_sel:DWORD
	v_lshrrev_b32_e32 v1, 3, v4
	v_cmpx_gt_u32_e32 8, v4
; %bb.1230:                             ;   in Loop: Header=BB216_15 Depth=1
	v_ffbh_u32_e32 v1, v10
	v_min_u32_e32 v1, 32, v1
	v_subrev_nc_u32_e32 v4, 28, v1
	v_sub_nc_u32_e32 v1, 29, v1
	v_lshlrev_b64 v[4:5], v4, v[10:11]
	v_and_b32_e32 v10, 7, v4
; %bb.1231:                             ;   in Loop: Header=BB216_15 Depth=1
	s_or_b32 exec_lo, exec_lo, s21
	v_mov_b32_e32 v4, 24
	v_lshl_add_u32 v1, v1, 23, 0x3c000000
	v_lshlrev_b32_sdwa v0, v4, v0 dst_sel:DWORD dst_unused:UNUSED_PAD src0_sel:DWORD src1_sel:BYTE_3
	v_lshlrev_b32_e32 v4, 20, v10
	v_and_b32_e32 v0, 0x80000000, v0
	v_or3_b32 v1, v4, v0, v1
	v_mov_b32_e32 v0, v11
	buffer_store_dword v0, off, s[0:3], s32 offset:1428 ; 4-byte Folded Spill
	buffer_store_dword v1, off, s[0:3], s32 offset:1432 ; 4-byte Folded Spill
.LBB216_1232:                           ;   in Loop: Header=BB216_15 Depth=1
	s_or_b32 exec_lo, exec_lo, s20
.LBB216_1233:                           ;   in Loop: Header=BB216_15 Depth=1
	s_or_b32 exec_lo, exec_lo, s19
.LBB216_1234:                           ;   in Loop: Header=BB216_15 Depth=1
	s_or_b32 exec_lo, exec_lo, s18
	flat_load_dword v0, v[2:3] offset:520
	v_mov_b32_e32 v4, 0
	v_mov_b32_e32 v5, 0
	buffer_store_dword v4, off, s[0:3], s32 offset:1452 ; 4-byte Folded Spill
	buffer_store_dword v5, off, s[0:3], s32 offset:1456 ; 4-byte Folded Spill
	v_mov_b32_e32 v4, 0
	v_mov_b32_e32 v5, 0
	buffer_store_dword v4, off, s[0:3], s32 offset:1444 ; 4-byte Folded Spill
	buffer_store_dword v5, off, s[0:3], s32 offset:1448 ; 4-byte Folded Spill
	s_waitcnt vmcnt(0) lgkmcnt(0)
	v_cmp_ne_u16_sdwa s5, v0, v11 src0_sel:BYTE_0 src1_sel:DWORD
	s_and_saveexec_b32 s18, s5
	s_cbranch_execz .LBB216_1242
; %bb.1235:                             ;   in Loop: Header=BB216_15 Depth=1
	v_mov_b32_e32 v1, 0x80
	v_bfrev_b32_e32 v4, 1
	v_mov_b32_e32 v5, 0
	buffer_store_dword v4, off, s[0:3], s32 offset:1444 ; 4-byte Folded Spill
	buffer_store_dword v5, off, s[0:3], s32 offset:1448 ; 4-byte Folded Spill
	v_cmp_ne_u16_sdwa s5, v0, v1 src0_sel:BYTE_0 src1_sel:DWORD
	s_and_saveexec_b32 s19, s5
	s_cbranch_execz .LBB216_1241
; %bb.1236:                             ;   in Loop: Header=BB216_15 Depth=1
	v_mov_b32_e32 v5, 0x7f800001
	v_and_b32_e32 v4, 0x7f, v0
	v_mov_b32_e32 v6, 0
	s_mov_b32 s20, exec_lo
	buffer_store_dword v5, off, s[0:3], s32 offset:1444 ; 4-byte Folded Spill
	buffer_store_dword v6, off, s[0:3], s32 offset:1448 ; 4-byte Folded Spill
	v_cmpx_ne_u32_e32 0x7f, v4
	s_cbranch_execz .LBB216_1240
; %bb.1237:                             ;   in Loop: Header=BB216_15 Depth=1
	v_and_b32_e32 v10, 7, v0
	v_lshrrev_b32_e32 v1, 3, v4
	s_mov_b32 s21, exec_lo
	v_cmpx_gt_u32_e32 8, v4
; %bb.1238:                             ;   in Loop: Header=BB216_15 Depth=1
	v_ffbh_u32_e32 v1, v10
	v_min_u32_e32 v1, 32, v1
	v_subrev_nc_u32_e32 v4, 28, v1
	v_sub_nc_u32_e32 v1, 29, v1
	v_lshlrev_b64 v[4:5], v4, v[10:11]
	v_and_b32_e32 v10, 7, v4
; %bb.1239:                             ;   in Loop: Header=BB216_15 Depth=1
	s_or_b32 exec_lo, exec_lo, s21
	v_lshlrev_b32_e32 v4, 24, v0
	v_lshlrev_b32_e32 v5, 20, v10
	v_lshl_add_u32 v1, v1, 23, 0x3c000000
	v_and_b32_e32 v4, 0x80000000, v4
	v_or3_b32 v10, v5, v4, v1
	buffer_store_dword v10, off, s[0:3], s32 offset:1444 ; 4-byte Folded Spill
	buffer_store_dword v11, off, s[0:3], s32 offset:1448 ; 4-byte Folded Spill
.LBB216_1240:                           ;   in Loop: Header=BB216_15 Depth=1
	s_or_b32 exec_lo, exec_lo, s20
.LBB216_1241:                           ;   in Loop: Header=BB216_15 Depth=1
	s_or_b32 exec_lo, exec_lo, s19
.LBB216_1242:                           ;   in Loop: Header=BB216_15 Depth=1
	s_or_b32 exec_lo, exec_lo, s18
	v_cmp_ne_u16_sdwa s5, v0, v11 src0_sel:BYTE_1 src1_sel:DWORD
	s_and_saveexec_b32 s18, s5
	s_cbranch_execz .LBB216_1250
; %bb.1243:                             ;   in Loop: Header=BB216_15 Depth=1
	v_mov_b32_e32 v1, 0x80
	v_mov_b32_e32 v115, v11
	buffer_store_dword v115, off, s[0:3], s32 offset:1452 ; 4-byte Folded Spill
	buffer_store_dword v116, off, s[0:3], s32 offset:1456 ; 4-byte Folded Spill
	v_cmp_ne_u16_sdwa s5, v0, v1 src0_sel:BYTE_1 src1_sel:DWORD
	s_and_saveexec_b32 s19, s5
	s_cbranch_execz .LBB216_1249
; %bb.1244:                             ;   in Loop: Header=BB216_15 Depth=1
	s_clause 0x1
	buffer_load_dword v5, off, s[0:3], s32 offset:192
	buffer_load_dword v6, off, s[0:3], s32 offset:196
	v_mov_b32_e32 v1, 0xffff
	s_mov_b32 s20, exec_lo
	v_and_b32_sdwa v1, v1, v0 dst_sel:DWORD dst_unused:UNUSED_PAD src0_sel:DWORD src1_sel:BYTE_1
	v_and_b32_e32 v4, 0x7f, v1
	s_waitcnt vmcnt(0)
	v_mov_b32_e32 v7, v6
	v_mov_b32_e32 v6, v11
	v_mov_b32_e32 v5, v7
	buffer_store_dword v4, off, s[0:3], s32 offset:192 ; 4-byte Folded Spill
	buffer_store_dword v5, off, s[0:3], s32 offset:196 ; 4-byte Folded Spill
	;; [unrolled: 1-line block ×4, first 2 shown]
	v_cmpx_ne_u32_e32 0x7f, v4
	s_cbranch_execz .LBB216_1248
; %bb.1245:                             ;   in Loop: Header=BB216_15 Depth=1
	v_and_b32_e32 v10, 7, v1
	v_lshrrev_b32_e32 v1, 3, v4
	s_mov_b32 s21, exec_lo
	v_cmpx_gt_u32_e32 8, v4
; %bb.1246:                             ;   in Loop: Header=BB216_15 Depth=1
	v_ffbh_u32_e32 v1, v10
	v_min_u32_e32 v1, 32, v1
	v_subrev_nc_u32_e32 v4, 28, v1
	v_sub_nc_u32_e32 v1, 29, v1
	v_lshlrev_b64 v[4:5], v4, v[10:11]
	v_and_b32_e32 v10, 7, v4
; %bb.1247:                             ;   in Loop: Header=BB216_15 Depth=1
	s_or_b32 exec_lo, exec_lo, s21
	v_lshlrev_b32_e32 v4, 16, v0
	v_lshlrev_b32_e32 v5, 20, v10
	v_lshl_add_u32 v1, v1, 23, 0x3c000000
	v_and_b32_e32 v4, 0x80000000, v4
	v_or3_b32 v5, v5, v4, v1
	v_mov_b32_e32 v4, v11
	buffer_store_dword v4, off, s[0:3], s32 offset:1452 ; 4-byte Folded Spill
	buffer_store_dword v5, off, s[0:3], s32 offset:1456 ; 4-byte Folded Spill
.LBB216_1248:                           ;   in Loop: Header=BB216_15 Depth=1
	s_or_b32 exec_lo, exec_lo, s20
.LBB216_1249:                           ;   in Loop: Header=BB216_15 Depth=1
	s_or_b32 exec_lo, exec_lo, s19
.LBB216_1250:                           ;   in Loop: Header=BB216_15 Depth=1
	s_or_b32 exec_lo, exec_lo, s18
	v_mov_b32_e32 v4, 0
	v_mov_b32_e32 v5, 0
	;; [unrolled: 1-line block ×3, first 2 shown]
	s_mov_b32 s18, exec_lo
	buffer_store_dword v4, off, s[0:3], s32 offset:1460 ; 4-byte Folded Spill
	buffer_store_dword v5, off, s[0:3], s32 offset:1464 ; 4-byte Folded Spill
	v_mov_b32_e32 v4, 0
	v_and_b32_sdwa v1, v0, v1 dst_sel:DWORD dst_unused:UNUSED_PAD src0_sel:WORD_1 src1_sel:DWORD
	v_mov_b32_e32 v5, 0
	buffer_store_dword v4, off, s[0:3], s32 offset:1468 ; 4-byte Folded Spill
	buffer_store_dword v5, off, s[0:3], s32 offset:1472 ; 4-byte Folded Spill
	v_cmpx_ne_u16_e32 0, v1
	s_cbranch_execz .LBB216_1258
; %bb.1251:                             ;   in Loop: Header=BB216_15 Depth=1
	v_bfrev_b32_e32 v4, 1
	v_mov_b32_e32 v5, 0
	s_mov_b32 s19, exec_lo
	buffer_store_dword v4, off, s[0:3], s32 offset:1468 ; 4-byte Folded Spill
	buffer_store_dword v5, off, s[0:3], s32 offset:1472 ; 4-byte Folded Spill
	v_cmpx_ne_u16_e32 0x80, v1
	s_cbranch_execz .LBB216_1257
; %bb.1252:                             ;   in Loop: Header=BB216_15 Depth=1
	v_mov_b32_e32 v5, 0x7f800001
	v_bfe_u32 v4, v0, 16, 7
	v_mov_b32_e32 v6, 0
	s_mov_b32 s20, exec_lo
	buffer_store_dword v5, off, s[0:3], s32 offset:1468 ; 4-byte Folded Spill
	buffer_store_dword v6, off, s[0:3], s32 offset:1472 ; 4-byte Folded Spill
	v_cmpx_ne_u32_e32 0x7f, v4
	s_cbranch_execz .LBB216_1256
; %bb.1253:                             ;   in Loop: Header=BB216_15 Depth=1
	v_mov_b32_e32 v1, 7
	s_mov_b32 s21, exec_lo
	v_and_b32_sdwa v10, v0, v1 dst_sel:DWORD dst_unused:UNUSED_PAD src0_sel:WORD_1 src1_sel:DWORD
	v_lshrrev_b32_e32 v1, 3, v4
	v_cmpx_gt_u32_e32 8, v4
; %bb.1254:                             ;   in Loop: Header=BB216_15 Depth=1
	v_ffbh_u32_e32 v1, v10
	v_min_u32_e32 v1, 32, v1
	v_subrev_nc_u32_e32 v4, 28, v1
	v_sub_nc_u32_e32 v1, 29, v1
	v_lshlrev_b64 v[4:5], v4, v[10:11]
	v_and_b32_e32 v10, 7, v4
; %bb.1255:                             ;   in Loop: Header=BB216_15 Depth=1
	s_or_b32 exec_lo, exec_lo, s21
	v_mov_b32_e32 v4, 24
	v_lshlrev_b32_e32 v5, 20, v10
	v_lshl_add_u32 v1, v1, 23, 0x3c000000
	v_lshlrev_b32_sdwa v4, v4, v0 dst_sel:DWORD dst_unused:UNUSED_PAD src0_sel:DWORD src1_sel:WORD_1
	v_and_b32_e32 v4, 0x80000000, v4
	v_or3_b32 v10, v5, v4, v1
	buffer_store_dword v10, off, s[0:3], s32 offset:1468 ; 4-byte Folded Spill
	buffer_store_dword v11, off, s[0:3], s32 offset:1472 ; 4-byte Folded Spill
.LBB216_1256:                           ;   in Loop: Header=BB216_15 Depth=1
	s_or_b32 exec_lo, exec_lo, s20
.LBB216_1257:                           ;   in Loop: Header=BB216_15 Depth=1
	s_or_b32 exec_lo, exec_lo, s19
.LBB216_1258:                           ;   in Loop: Header=BB216_15 Depth=1
	s_or_b32 exec_lo, exec_lo, s18
	s_mov_b32 s18, exec_lo
	v_cmpx_lt_u32_e32 0xffffff, v0
	s_cbranch_execz .LBB216_1266
; %bb.1259:                             ;   in Loop: Header=BB216_15 Depth=1
	v_mov_b32_e32 v1, 0x80
	v_mov_b32_e32 v115, v11
	buffer_store_dword v115, off, s[0:3], s32 offset:1460 ; 4-byte Folded Spill
	buffer_store_dword v116, off, s[0:3], s32 offset:1464 ; 4-byte Folded Spill
	v_cmp_ne_u32_sdwa s5, v0, v1 src0_sel:BYTE_3 src1_sel:DWORD
	s_and_saveexec_b32 s19, s5
	s_cbranch_execz .LBB216_1265
; %bb.1260:                             ;   in Loop: Header=BB216_15 Depth=1
	s_clause 0x1
	buffer_load_dword v5, off, s[0:3], s32 offset:192
	buffer_load_dword v6, off, s[0:3], s32 offset:196
	v_bfe_u32 v4, v0, 24, 7
	s_waitcnt vmcnt(1)
	v_mov_b32_e32 v5, v11
	s_mov_b32 s20, exec_lo
	s_waitcnt vmcnt(0)
	v_mov_b32_e32 v1, v6
	buffer_store_dword v0, off, s[0:3], s32 offset:192 ; 4-byte Folded Spill
	buffer_store_dword v1, off, s[0:3], s32 offset:196 ; 4-byte Folded Spill
	;; [unrolled: 1-line block ×4, first 2 shown]
	v_cmpx_ne_u32_e32 0x7f, v4
	s_cbranch_execz .LBB216_1264
; %bb.1261:                             ;   in Loop: Header=BB216_15 Depth=1
	v_mov_b32_e32 v1, 7
	s_mov_b32 s21, exec_lo
	v_and_b32_sdwa v10, v0, v1 dst_sel:DWORD dst_unused:UNUSED_PAD src0_sel:BYTE_3 src1_sel:DWORD
	v_lshrrev_b32_e32 v1, 3, v4
	v_cmpx_gt_u32_e32 8, v4
; %bb.1262:                             ;   in Loop: Header=BB216_15 Depth=1
	v_ffbh_u32_e32 v1, v10
	v_min_u32_e32 v1, 32, v1
	v_subrev_nc_u32_e32 v4, 28, v1
	v_sub_nc_u32_e32 v1, 29, v1
	v_lshlrev_b64 v[4:5], v4, v[10:11]
	v_and_b32_e32 v10, 7, v4
; %bb.1263:                             ;   in Loop: Header=BB216_15 Depth=1
	s_or_b32 exec_lo, exec_lo, s21
	v_mov_b32_e32 v4, 24
	v_lshl_add_u32 v1, v1, 23, 0x3c000000
	v_lshlrev_b32_sdwa v0, v4, v0 dst_sel:DWORD dst_unused:UNUSED_PAD src0_sel:DWORD src1_sel:BYTE_3
	v_lshlrev_b32_e32 v4, 20, v10
	v_and_b32_e32 v0, 0x80000000, v0
	v_or3_b32 v1, v4, v0, v1
	v_mov_b32_e32 v0, v11
	buffer_store_dword v0, off, s[0:3], s32 offset:1460 ; 4-byte Folded Spill
	buffer_store_dword v1, off, s[0:3], s32 offset:1464 ; 4-byte Folded Spill
.LBB216_1264:                           ;   in Loop: Header=BB216_15 Depth=1
	s_or_b32 exec_lo, exec_lo, s20
.LBB216_1265:                           ;   in Loop: Header=BB216_15 Depth=1
	s_or_b32 exec_lo, exec_lo, s19
.LBB216_1266:                           ;   in Loop: Header=BB216_15 Depth=1
	s_or_b32 exec_lo, exec_lo, s18
	flat_load_dword v0, v[2:3] offset:524
	v_mov_b32_e32 v4, 0
	v_mov_b32_e32 v5, 0
	buffer_store_dword v4, off, s[0:3], s32 offset:1484 ; 4-byte Folded Spill
	buffer_store_dword v5, off, s[0:3], s32 offset:1488 ; 4-byte Folded Spill
	v_mov_b32_e32 v4, 0
	v_mov_b32_e32 v5, 0
	buffer_store_dword v4, off, s[0:3], s32 offset:1476 ; 4-byte Folded Spill
	buffer_store_dword v5, off, s[0:3], s32 offset:1480 ; 4-byte Folded Spill
	s_waitcnt vmcnt(0) lgkmcnt(0)
	v_cmp_ne_u16_sdwa s5, v0, v11 src0_sel:BYTE_0 src1_sel:DWORD
	s_and_saveexec_b32 s18, s5
	s_cbranch_execz .LBB216_1274
; %bb.1267:                             ;   in Loop: Header=BB216_15 Depth=1
	v_mov_b32_e32 v1, 0x80
	v_bfrev_b32_e32 v4, 1
	v_mov_b32_e32 v5, 0
	buffer_store_dword v4, off, s[0:3], s32 offset:1476 ; 4-byte Folded Spill
	buffer_store_dword v5, off, s[0:3], s32 offset:1480 ; 4-byte Folded Spill
	v_cmp_ne_u16_sdwa s5, v0, v1 src0_sel:BYTE_0 src1_sel:DWORD
	s_and_saveexec_b32 s19, s5
	s_cbranch_execz .LBB216_1273
; %bb.1268:                             ;   in Loop: Header=BB216_15 Depth=1
	v_mov_b32_e32 v5, 0x7f800001
	v_and_b32_e32 v4, 0x7f, v0
	v_mov_b32_e32 v6, 0
	s_mov_b32 s20, exec_lo
	buffer_store_dword v5, off, s[0:3], s32 offset:1476 ; 4-byte Folded Spill
	buffer_store_dword v6, off, s[0:3], s32 offset:1480 ; 4-byte Folded Spill
	v_cmpx_ne_u32_e32 0x7f, v4
	s_cbranch_execz .LBB216_1272
; %bb.1269:                             ;   in Loop: Header=BB216_15 Depth=1
	v_and_b32_e32 v10, 7, v0
	v_lshrrev_b32_e32 v1, 3, v4
	s_mov_b32 s21, exec_lo
	v_cmpx_gt_u32_e32 8, v4
; %bb.1270:                             ;   in Loop: Header=BB216_15 Depth=1
	v_ffbh_u32_e32 v1, v10
	v_min_u32_e32 v1, 32, v1
	v_subrev_nc_u32_e32 v4, 28, v1
	v_sub_nc_u32_e32 v1, 29, v1
	v_lshlrev_b64 v[4:5], v4, v[10:11]
	v_and_b32_e32 v10, 7, v4
; %bb.1271:                             ;   in Loop: Header=BB216_15 Depth=1
	s_or_b32 exec_lo, exec_lo, s21
	v_lshlrev_b32_e32 v4, 24, v0
	v_lshlrev_b32_e32 v5, 20, v10
	v_lshl_add_u32 v1, v1, 23, 0x3c000000
	v_and_b32_e32 v4, 0x80000000, v4
	v_or3_b32 v10, v5, v4, v1
	buffer_store_dword v10, off, s[0:3], s32 offset:1476 ; 4-byte Folded Spill
	buffer_store_dword v11, off, s[0:3], s32 offset:1480 ; 4-byte Folded Spill
.LBB216_1272:                           ;   in Loop: Header=BB216_15 Depth=1
	s_or_b32 exec_lo, exec_lo, s20
.LBB216_1273:                           ;   in Loop: Header=BB216_15 Depth=1
	s_or_b32 exec_lo, exec_lo, s19
.LBB216_1274:                           ;   in Loop: Header=BB216_15 Depth=1
	s_or_b32 exec_lo, exec_lo, s18
	v_cmp_ne_u16_sdwa s5, v0, v11 src0_sel:BYTE_1 src1_sel:DWORD
	s_and_saveexec_b32 s18, s5
	s_cbranch_execz .LBB216_1282
; %bb.1275:                             ;   in Loop: Header=BB216_15 Depth=1
	v_mov_b32_e32 v1, 0x80
	v_mov_b32_e32 v115, v11
	buffer_store_dword v115, off, s[0:3], s32 offset:1484 ; 4-byte Folded Spill
	buffer_store_dword v116, off, s[0:3], s32 offset:1488 ; 4-byte Folded Spill
	v_cmp_ne_u16_sdwa s5, v0, v1 src0_sel:BYTE_1 src1_sel:DWORD
	s_and_saveexec_b32 s19, s5
	s_cbranch_execz .LBB216_1281
; %bb.1276:                             ;   in Loop: Header=BB216_15 Depth=1
	s_clause 0x1
	buffer_load_dword v5, off, s[0:3], s32 offset:192
	buffer_load_dword v6, off, s[0:3], s32 offset:196
	v_mov_b32_e32 v1, 0xffff
	s_mov_b32 s20, exec_lo
	v_and_b32_sdwa v1, v1, v0 dst_sel:DWORD dst_unused:UNUSED_PAD src0_sel:DWORD src1_sel:BYTE_1
	v_and_b32_e32 v4, 0x7f, v1
	s_waitcnt vmcnt(0)
	v_mov_b32_e32 v7, v6
	v_mov_b32_e32 v6, v11
	;; [unrolled: 1-line block ×3, first 2 shown]
	buffer_store_dword v4, off, s[0:3], s32 offset:192 ; 4-byte Folded Spill
	buffer_store_dword v5, off, s[0:3], s32 offset:196 ; 4-byte Folded Spill
	;; [unrolled: 1-line block ×4, first 2 shown]
	v_cmpx_ne_u32_e32 0x7f, v4
	s_cbranch_execz .LBB216_1280
; %bb.1277:                             ;   in Loop: Header=BB216_15 Depth=1
	v_and_b32_e32 v10, 7, v1
	v_lshrrev_b32_e32 v1, 3, v4
	s_mov_b32 s21, exec_lo
	v_cmpx_gt_u32_e32 8, v4
; %bb.1278:                             ;   in Loop: Header=BB216_15 Depth=1
	v_ffbh_u32_e32 v1, v10
	v_min_u32_e32 v1, 32, v1
	v_subrev_nc_u32_e32 v4, 28, v1
	v_sub_nc_u32_e32 v1, 29, v1
	v_lshlrev_b64 v[4:5], v4, v[10:11]
	v_and_b32_e32 v10, 7, v4
; %bb.1279:                             ;   in Loop: Header=BB216_15 Depth=1
	s_or_b32 exec_lo, exec_lo, s21
	v_lshlrev_b32_e32 v4, 16, v0
	v_lshlrev_b32_e32 v5, 20, v10
	v_lshl_add_u32 v1, v1, 23, 0x3c000000
	v_and_b32_e32 v4, 0x80000000, v4
	v_or3_b32 v5, v5, v4, v1
	v_mov_b32_e32 v4, v11
	buffer_store_dword v4, off, s[0:3], s32 offset:1484 ; 4-byte Folded Spill
	buffer_store_dword v5, off, s[0:3], s32 offset:1488 ; 4-byte Folded Spill
.LBB216_1280:                           ;   in Loop: Header=BB216_15 Depth=1
	s_or_b32 exec_lo, exec_lo, s20
.LBB216_1281:                           ;   in Loop: Header=BB216_15 Depth=1
	s_or_b32 exec_lo, exec_lo, s19
.LBB216_1282:                           ;   in Loop: Header=BB216_15 Depth=1
	s_or_b32 exec_lo, exec_lo, s18
	v_mov_b32_e32 v4, 0
	v_mov_b32_e32 v5, 0
	;; [unrolled: 1-line block ×3, first 2 shown]
	s_mov_b32 s18, exec_lo
	buffer_store_dword v4, off, s[0:3], s32 offset:1492 ; 4-byte Folded Spill
	buffer_store_dword v5, off, s[0:3], s32 offset:1496 ; 4-byte Folded Spill
	v_mov_b32_e32 v4, 0
	v_and_b32_sdwa v1, v0, v1 dst_sel:DWORD dst_unused:UNUSED_PAD src0_sel:WORD_1 src1_sel:DWORD
	v_mov_b32_e32 v5, 0
	buffer_store_dword v4, off, s[0:3], s32 offset:1500 ; 4-byte Folded Spill
	buffer_store_dword v5, off, s[0:3], s32 offset:1504 ; 4-byte Folded Spill
	v_cmpx_ne_u16_e32 0, v1
	s_cbranch_execz .LBB216_1290
; %bb.1283:                             ;   in Loop: Header=BB216_15 Depth=1
	v_bfrev_b32_e32 v4, 1
	v_mov_b32_e32 v5, 0
	s_mov_b32 s19, exec_lo
	buffer_store_dword v4, off, s[0:3], s32 offset:1500 ; 4-byte Folded Spill
	buffer_store_dword v5, off, s[0:3], s32 offset:1504 ; 4-byte Folded Spill
	v_cmpx_ne_u16_e32 0x80, v1
	s_cbranch_execz .LBB216_1289
; %bb.1284:                             ;   in Loop: Header=BB216_15 Depth=1
	v_mov_b32_e32 v5, 0x7f800001
	v_bfe_u32 v4, v0, 16, 7
	v_mov_b32_e32 v6, 0
	s_mov_b32 s20, exec_lo
	buffer_store_dword v5, off, s[0:3], s32 offset:1500 ; 4-byte Folded Spill
	buffer_store_dword v6, off, s[0:3], s32 offset:1504 ; 4-byte Folded Spill
	v_cmpx_ne_u32_e32 0x7f, v4
	s_cbranch_execz .LBB216_1288
; %bb.1285:                             ;   in Loop: Header=BB216_15 Depth=1
	v_mov_b32_e32 v1, 7
	s_mov_b32 s21, exec_lo
	v_and_b32_sdwa v10, v0, v1 dst_sel:DWORD dst_unused:UNUSED_PAD src0_sel:WORD_1 src1_sel:DWORD
	v_lshrrev_b32_e32 v1, 3, v4
	v_cmpx_gt_u32_e32 8, v4
; %bb.1286:                             ;   in Loop: Header=BB216_15 Depth=1
	v_ffbh_u32_e32 v1, v10
	v_min_u32_e32 v1, 32, v1
	v_subrev_nc_u32_e32 v4, 28, v1
	v_sub_nc_u32_e32 v1, 29, v1
	v_lshlrev_b64 v[4:5], v4, v[10:11]
	v_and_b32_e32 v10, 7, v4
; %bb.1287:                             ;   in Loop: Header=BB216_15 Depth=1
	s_or_b32 exec_lo, exec_lo, s21
	v_mov_b32_e32 v4, 24
	v_lshlrev_b32_e32 v5, 20, v10
	v_lshl_add_u32 v1, v1, 23, 0x3c000000
	v_lshlrev_b32_sdwa v4, v4, v0 dst_sel:DWORD dst_unused:UNUSED_PAD src0_sel:DWORD src1_sel:WORD_1
	v_and_b32_e32 v4, 0x80000000, v4
	v_or3_b32 v10, v5, v4, v1
	buffer_store_dword v10, off, s[0:3], s32 offset:1500 ; 4-byte Folded Spill
	buffer_store_dword v11, off, s[0:3], s32 offset:1504 ; 4-byte Folded Spill
.LBB216_1288:                           ;   in Loop: Header=BB216_15 Depth=1
	s_or_b32 exec_lo, exec_lo, s20
.LBB216_1289:                           ;   in Loop: Header=BB216_15 Depth=1
	s_or_b32 exec_lo, exec_lo, s19
.LBB216_1290:                           ;   in Loop: Header=BB216_15 Depth=1
	s_or_b32 exec_lo, exec_lo, s18
	s_mov_b32 s18, exec_lo
	v_cmpx_lt_u32_e32 0xffffff, v0
	s_cbranch_execz .LBB216_1298
; %bb.1291:                             ;   in Loop: Header=BB216_15 Depth=1
	v_mov_b32_e32 v1, 0x80
	v_mov_b32_e32 v115, v11
	buffer_store_dword v115, off, s[0:3], s32 offset:1492 ; 4-byte Folded Spill
	buffer_store_dword v116, off, s[0:3], s32 offset:1496 ; 4-byte Folded Spill
	v_cmp_ne_u32_sdwa s5, v0, v1 src0_sel:BYTE_3 src1_sel:DWORD
	s_and_saveexec_b32 s19, s5
	s_cbranch_execz .LBB216_1297
; %bb.1292:                             ;   in Loop: Header=BB216_15 Depth=1
	s_clause 0x1
	buffer_load_dword v5, off, s[0:3], s32 offset:192
	buffer_load_dword v6, off, s[0:3], s32 offset:196
	v_bfe_u32 v4, v0, 24, 7
	s_waitcnt vmcnt(1)
	v_mov_b32_e32 v5, v11
	s_mov_b32 s20, exec_lo
	s_waitcnt vmcnt(0)
	v_mov_b32_e32 v1, v6
	buffer_store_dword v0, off, s[0:3], s32 offset:192 ; 4-byte Folded Spill
	buffer_store_dword v1, off, s[0:3], s32 offset:196 ; 4-byte Folded Spill
	;; [unrolled: 1-line block ×4, first 2 shown]
	v_cmpx_ne_u32_e32 0x7f, v4
	s_cbranch_execz .LBB216_1296
; %bb.1293:                             ;   in Loop: Header=BB216_15 Depth=1
	v_mov_b32_e32 v1, 7
	s_mov_b32 s21, exec_lo
	v_and_b32_sdwa v10, v0, v1 dst_sel:DWORD dst_unused:UNUSED_PAD src0_sel:BYTE_3 src1_sel:DWORD
	v_lshrrev_b32_e32 v1, 3, v4
	v_cmpx_gt_u32_e32 8, v4
; %bb.1294:                             ;   in Loop: Header=BB216_15 Depth=1
	v_ffbh_u32_e32 v1, v10
	v_min_u32_e32 v1, 32, v1
	v_subrev_nc_u32_e32 v4, 28, v1
	v_sub_nc_u32_e32 v1, 29, v1
	v_lshlrev_b64 v[4:5], v4, v[10:11]
	v_and_b32_e32 v10, 7, v4
; %bb.1295:                             ;   in Loop: Header=BB216_15 Depth=1
	s_or_b32 exec_lo, exec_lo, s21
	v_mov_b32_e32 v4, 24
	v_lshl_add_u32 v1, v1, 23, 0x3c000000
	v_lshlrev_b32_sdwa v0, v4, v0 dst_sel:DWORD dst_unused:UNUSED_PAD src0_sel:DWORD src1_sel:BYTE_3
	v_lshlrev_b32_e32 v4, 20, v10
	v_and_b32_e32 v0, 0x80000000, v0
	v_or3_b32 v1, v4, v0, v1
	v_mov_b32_e32 v0, v11
	buffer_store_dword v0, off, s[0:3], s32 offset:1492 ; 4-byte Folded Spill
	buffer_store_dword v1, off, s[0:3], s32 offset:1496 ; 4-byte Folded Spill
.LBB216_1296:                           ;   in Loop: Header=BB216_15 Depth=1
	s_or_b32 exec_lo, exec_lo, s20
.LBB216_1297:                           ;   in Loop: Header=BB216_15 Depth=1
	s_or_b32 exec_lo, exec_lo, s19
.LBB216_1298:                           ;   in Loop: Header=BB216_15 Depth=1
	s_or_b32 exec_lo, exec_lo, s18
	flat_load_dword v0, v[2:3] offset:1024
	v_mov_b32_e32 v4, 0
	v_mov_b32_e32 v5, 0
	buffer_store_dword v4, off, s[0:3], s32 offset:1516 ; 4-byte Folded Spill
	buffer_store_dword v5, off, s[0:3], s32 offset:1520 ; 4-byte Folded Spill
	v_mov_b32_e32 v4, 0
	v_mov_b32_e32 v5, 0
	buffer_store_dword v4, off, s[0:3], s32 offset:1508 ; 4-byte Folded Spill
	buffer_store_dword v5, off, s[0:3], s32 offset:1512 ; 4-byte Folded Spill
	s_waitcnt vmcnt(0) lgkmcnt(0)
	v_cmp_ne_u16_sdwa s5, v0, v11 src0_sel:BYTE_0 src1_sel:DWORD
	s_and_saveexec_b32 s18, s5
	s_cbranch_execz .LBB216_1306
; %bb.1299:                             ;   in Loop: Header=BB216_15 Depth=1
	v_mov_b32_e32 v1, 0x80
	v_bfrev_b32_e32 v4, 1
	v_mov_b32_e32 v5, 0
	buffer_store_dword v4, off, s[0:3], s32 offset:1508 ; 4-byte Folded Spill
	buffer_store_dword v5, off, s[0:3], s32 offset:1512 ; 4-byte Folded Spill
	v_cmp_ne_u16_sdwa s5, v0, v1 src0_sel:BYTE_0 src1_sel:DWORD
	s_and_saveexec_b32 s19, s5
	s_cbranch_execz .LBB216_1305
; %bb.1300:                             ;   in Loop: Header=BB216_15 Depth=1
	v_mov_b32_e32 v5, 0x7f800001
	v_and_b32_e32 v4, 0x7f, v0
	v_mov_b32_e32 v6, 0
	s_mov_b32 s20, exec_lo
	buffer_store_dword v5, off, s[0:3], s32 offset:1508 ; 4-byte Folded Spill
	buffer_store_dword v6, off, s[0:3], s32 offset:1512 ; 4-byte Folded Spill
	v_cmpx_ne_u32_e32 0x7f, v4
	s_cbranch_execz .LBB216_1304
; %bb.1301:                             ;   in Loop: Header=BB216_15 Depth=1
	v_and_b32_e32 v10, 7, v0
	v_lshrrev_b32_e32 v1, 3, v4
	s_mov_b32 s21, exec_lo
	v_cmpx_gt_u32_e32 8, v4
; %bb.1302:                             ;   in Loop: Header=BB216_15 Depth=1
	v_ffbh_u32_e32 v1, v10
	v_min_u32_e32 v1, 32, v1
	v_subrev_nc_u32_e32 v4, 28, v1
	v_sub_nc_u32_e32 v1, 29, v1
	v_lshlrev_b64 v[4:5], v4, v[10:11]
	v_and_b32_e32 v10, 7, v4
; %bb.1303:                             ;   in Loop: Header=BB216_15 Depth=1
	s_or_b32 exec_lo, exec_lo, s21
	v_lshlrev_b32_e32 v4, 24, v0
	v_lshlrev_b32_e32 v5, 20, v10
	v_lshl_add_u32 v1, v1, 23, 0x3c000000
	v_and_b32_e32 v4, 0x80000000, v4
	v_or3_b32 v10, v5, v4, v1
	buffer_store_dword v10, off, s[0:3], s32 offset:1508 ; 4-byte Folded Spill
	buffer_store_dword v11, off, s[0:3], s32 offset:1512 ; 4-byte Folded Spill
.LBB216_1304:                           ;   in Loop: Header=BB216_15 Depth=1
	s_or_b32 exec_lo, exec_lo, s20
.LBB216_1305:                           ;   in Loop: Header=BB216_15 Depth=1
	s_or_b32 exec_lo, exec_lo, s19
.LBB216_1306:                           ;   in Loop: Header=BB216_15 Depth=1
	s_or_b32 exec_lo, exec_lo, s18
	v_cmp_ne_u16_sdwa s5, v0, v11 src0_sel:BYTE_1 src1_sel:DWORD
	s_and_saveexec_b32 s18, s5
	s_cbranch_execz .LBB216_1314
; %bb.1307:                             ;   in Loop: Header=BB216_15 Depth=1
	v_mov_b32_e32 v1, 0x80
	v_mov_b32_e32 v115, v11
	buffer_store_dword v115, off, s[0:3], s32 offset:1516 ; 4-byte Folded Spill
	buffer_store_dword v116, off, s[0:3], s32 offset:1520 ; 4-byte Folded Spill
	v_cmp_ne_u16_sdwa s5, v0, v1 src0_sel:BYTE_1 src1_sel:DWORD
	s_and_saveexec_b32 s19, s5
	s_cbranch_execz .LBB216_1313
; %bb.1308:                             ;   in Loop: Header=BB216_15 Depth=1
	s_clause 0x1
	buffer_load_dword v5, off, s[0:3], s32 offset:192
	buffer_load_dword v6, off, s[0:3], s32 offset:196
	v_mov_b32_e32 v1, 0xffff
	s_mov_b32 s20, exec_lo
	v_and_b32_sdwa v1, v1, v0 dst_sel:DWORD dst_unused:UNUSED_PAD src0_sel:DWORD src1_sel:BYTE_1
	v_and_b32_e32 v4, 0x7f, v1
	s_waitcnt vmcnt(0)
	v_mov_b32_e32 v7, v6
	v_mov_b32_e32 v6, v11
	;; [unrolled: 1-line block ×3, first 2 shown]
	buffer_store_dword v4, off, s[0:3], s32 offset:192 ; 4-byte Folded Spill
	buffer_store_dword v5, off, s[0:3], s32 offset:196 ; 4-byte Folded Spill
	;; [unrolled: 1-line block ×4, first 2 shown]
	v_cmpx_ne_u32_e32 0x7f, v4
	s_cbranch_execz .LBB216_1312
; %bb.1309:                             ;   in Loop: Header=BB216_15 Depth=1
	v_and_b32_e32 v10, 7, v1
	v_lshrrev_b32_e32 v1, 3, v4
	s_mov_b32 s21, exec_lo
	v_cmpx_gt_u32_e32 8, v4
; %bb.1310:                             ;   in Loop: Header=BB216_15 Depth=1
	v_ffbh_u32_e32 v1, v10
	v_min_u32_e32 v1, 32, v1
	v_subrev_nc_u32_e32 v4, 28, v1
	v_sub_nc_u32_e32 v1, 29, v1
	v_lshlrev_b64 v[4:5], v4, v[10:11]
	v_and_b32_e32 v10, 7, v4
; %bb.1311:                             ;   in Loop: Header=BB216_15 Depth=1
	s_or_b32 exec_lo, exec_lo, s21
	v_lshlrev_b32_e32 v4, 16, v0
	v_lshlrev_b32_e32 v5, 20, v10
	v_lshl_add_u32 v1, v1, 23, 0x3c000000
	v_and_b32_e32 v4, 0x80000000, v4
	v_or3_b32 v5, v5, v4, v1
	v_mov_b32_e32 v4, v11
	buffer_store_dword v4, off, s[0:3], s32 offset:1516 ; 4-byte Folded Spill
	buffer_store_dword v5, off, s[0:3], s32 offset:1520 ; 4-byte Folded Spill
.LBB216_1312:                           ;   in Loop: Header=BB216_15 Depth=1
	s_or_b32 exec_lo, exec_lo, s20
.LBB216_1313:                           ;   in Loop: Header=BB216_15 Depth=1
	s_or_b32 exec_lo, exec_lo, s19
.LBB216_1314:                           ;   in Loop: Header=BB216_15 Depth=1
	s_or_b32 exec_lo, exec_lo, s18
	v_mov_b32_e32 v4, 0
	v_mov_b32_e32 v5, 0
	;; [unrolled: 1-line block ×3, first 2 shown]
	s_mov_b32 s18, exec_lo
	buffer_store_dword v4, off, s[0:3], s32 offset:1524 ; 4-byte Folded Spill
	buffer_store_dword v5, off, s[0:3], s32 offset:1528 ; 4-byte Folded Spill
	v_mov_b32_e32 v4, 0
	v_and_b32_sdwa v1, v0, v1 dst_sel:DWORD dst_unused:UNUSED_PAD src0_sel:WORD_1 src1_sel:DWORD
	v_mov_b32_e32 v5, 0
	buffer_store_dword v4, off, s[0:3], s32 offset:1532 ; 4-byte Folded Spill
	buffer_store_dword v5, off, s[0:3], s32 offset:1536 ; 4-byte Folded Spill
	v_cmpx_ne_u16_e32 0, v1
	s_cbranch_execz .LBB216_1322
; %bb.1315:                             ;   in Loop: Header=BB216_15 Depth=1
	v_bfrev_b32_e32 v4, 1
	v_mov_b32_e32 v5, 0
	s_mov_b32 s19, exec_lo
	buffer_store_dword v4, off, s[0:3], s32 offset:1532 ; 4-byte Folded Spill
	buffer_store_dword v5, off, s[0:3], s32 offset:1536 ; 4-byte Folded Spill
	v_cmpx_ne_u16_e32 0x80, v1
	s_cbranch_execz .LBB216_1321
; %bb.1316:                             ;   in Loop: Header=BB216_15 Depth=1
	v_mov_b32_e32 v5, 0x7f800001
	v_bfe_u32 v4, v0, 16, 7
	v_mov_b32_e32 v6, 0
	s_mov_b32 s20, exec_lo
	buffer_store_dword v5, off, s[0:3], s32 offset:1532 ; 4-byte Folded Spill
	buffer_store_dword v6, off, s[0:3], s32 offset:1536 ; 4-byte Folded Spill
	v_cmpx_ne_u32_e32 0x7f, v4
	s_cbranch_execz .LBB216_1320
; %bb.1317:                             ;   in Loop: Header=BB216_15 Depth=1
	v_mov_b32_e32 v1, 7
	s_mov_b32 s21, exec_lo
	v_and_b32_sdwa v10, v0, v1 dst_sel:DWORD dst_unused:UNUSED_PAD src0_sel:WORD_1 src1_sel:DWORD
	v_lshrrev_b32_e32 v1, 3, v4
	v_cmpx_gt_u32_e32 8, v4
; %bb.1318:                             ;   in Loop: Header=BB216_15 Depth=1
	v_ffbh_u32_e32 v1, v10
	v_min_u32_e32 v1, 32, v1
	v_subrev_nc_u32_e32 v4, 28, v1
	v_sub_nc_u32_e32 v1, 29, v1
	v_lshlrev_b64 v[4:5], v4, v[10:11]
	v_and_b32_e32 v10, 7, v4
; %bb.1319:                             ;   in Loop: Header=BB216_15 Depth=1
	s_or_b32 exec_lo, exec_lo, s21
	v_mov_b32_e32 v4, 24
	v_lshlrev_b32_e32 v5, 20, v10
	v_lshl_add_u32 v1, v1, 23, 0x3c000000
	v_lshlrev_b32_sdwa v4, v4, v0 dst_sel:DWORD dst_unused:UNUSED_PAD src0_sel:DWORD src1_sel:WORD_1
	v_and_b32_e32 v4, 0x80000000, v4
	v_or3_b32 v10, v5, v4, v1
	buffer_store_dword v10, off, s[0:3], s32 offset:1532 ; 4-byte Folded Spill
	buffer_store_dword v11, off, s[0:3], s32 offset:1536 ; 4-byte Folded Spill
.LBB216_1320:                           ;   in Loop: Header=BB216_15 Depth=1
	s_or_b32 exec_lo, exec_lo, s20
.LBB216_1321:                           ;   in Loop: Header=BB216_15 Depth=1
	s_or_b32 exec_lo, exec_lo, s19
.LBB216_1322:                           ;   in Loop: Header=BB216_15 Depth=1
	s_or_b32 exec_lo, exec_lo, s18
	s_mov_b32 s18, exec_lo
	v_cmpx_lt_u32_e32 0xffffff, v0
	s_cbranch_execz .LBB216_1330
; %bb.1323:                             ;   in Loop: Header=BB216_15 Depth=1
	v_mov_b32_e32 v1, 0x80
	v_mov_b32_e32 v115, v11
	buffer_store_dword v115, off, s[0:3], s32 offset:1524 ; 4-byte Folded Spill
	buffer_store_dword v116, off, s[0:3], s32 offset:1528 ; 4-byte Folded Spill
	v_cmp_ne_u32_sdwa s5, v0, v1 src0_sel:BYTE_3 src1_sel:DWORD
	s_and_saveexec_b32 s19, s5
	s_cbranch_execz .LBB216_1329
; %bb.1324:                             ;   in Loop: Header=BB216_15 Depth=1
	s_clause 0x1
	buffer_load_dword v5, off, s[0:3], s32 offset:192
	buffer_load_dword v6, off, s[0:3], s32 offset:196
	v_bfe_u32 v4, v0, 24, 7
	s_waitcnt vmcnt(1)
	v_mov_b32_e32 v5, v11
	s_mov_b32 s20, exec_lo
	s_waitcnt vmcnt(0)
	v_mov_b32_e32 v1, v6
	buffer_store_dword v0, off, s[0:3], s32 offset:192 ; 4-byte Folded Spill
	buffer_store_dword v1, off, s[0:3], s32 offset:196 ; 4-byte Folded Spill
	;; [unrolled: 1-line block ×4, first 2 shown]
	v_cmpx_ne_u32_e32 0x7f, v4
	s_cbranch_execz .LBB216_1328
; %bb.1325:                             ;   in Loop: Header=BB216_15 Depth=1
	v_mov_b32_e32 v1, 7
	s_mov_b32 s21, exec_lo
	v_and_b32_sdwa v10, v0, v1 dst_sel:DWORD dst_unused:UNUSED_PAD src0_sel:BYTE_3 src1_sel:DWORD
	v_lshrrev_b32_e32 v1, 3, v4
	v_cmpx_gt_u32_e32 8, v4
; %bb.1326:                             ;   in Loop: Header=BB216_15 Depth=1
	v_ffbh_u32_e32 v1, v10
	v_min_u32_e32 v1, 32, v1
	v_subrev_nc_u32_e32 v4, 28, v1
	v_sub_nc_u32_e32 v1, 29, v1
	v_lshlrev_b64 v[4:5], v4, v[10:11]
	v_and_b32_e32 v10, 7, v4
; %bb.1327:                             ;   in Loop: Header=BB216_15 Depth=1
	s_or_b32 exec_lo, exec_lo, s21
	v_mov_b32_e32 v4, 24
	v_lshl_add_u32 v1, v1, 23, 0x3c000000
	v_lshlrev_b32_sdwa v0, v4, v0 dst_sel:DWORD dst_unused:UNUSED_PAD src0_sel:DWORD src1_sel:BYTE_3
	v_lshlrev_b32_e32 v4, 20, v10
	v_and_b32_e32 v0, 0x80000000, v0
	v_or3_b32 v1, v4, v0, v1
	v_mov_b32_e32 v0, v11
	buffer_store_dword v0, off, s[0:3], s32 offset:1524 ; 4-byte Folded Spill
	buffer_store_dword v1, off, s[0:3], s32 offset:1528 ; 4-byte Folded Spill
.LBB216_1328:                           ;   in Loop: Header=BB216_15 Depth=1
	s_or_b32 exec_lo, exec_lo, s20
.LBB216_1329:                           ;   in Loop: Header=BB216_15 Depth=1
	s_or_b32 exec_lo, exec_lo, s19
.LBB216_1330:                           ;   in Loop: Header=BB216_15 Depth=1
	s_or_b32 exec_lo, exec_lo, s18
	flat_load_dword v4, v[2:3] offset:1028
	v_mov_b32_e32 v0, 0
	v_mov_b32_e32 v1, 0
	buffer_store_dword v0, off, s[0:3], s32 offset:1548 ; 4-byte Folded Spill
	buffer_store_dword v1, off, s[0:3], s32 offset:1552 ; 4-byte Folded Spill
	v_mov_b32_e32 v0, 0
	v_mov_b32_e32 v1, 0
	buffer_store_dword v0, off, s[0:3], s32 offset:1540 ; 4-byte Folded Spill
	buffer_store_dword v1, off, s[0:3], s32 offset:1544 ; 4-byte Folded Spill
	s_waitcnt vmcnt(0) lgkmcnt(0)
	v_cmp_ne_u16_sdwa s5, v4, v11 src0_sel:BYTE_0 src1_sel:DWORD
	s_and_saveexec_b32 s18, s5
	s_cbranch_execz .LBB216_1338
; %bb.1331:                             ;   in Loop: Header=BB216_15 Depth=1
	v_bfrev_b32_e32 v0, 1
	v_mov_b32_e32 v1, 0
	buffer_store_dword v0, off, s[0:3], s32 offset:1540 ; 4-byte Folded Spill
	buffer_store_dword v1, off, s[0:3], s32 offset:1544 ; 4-byte Folded Spill
	v_mov_b32_e32 v0, 0x80
	v_cmp_ne_u16_sdwa s5, v4, v0 src0_sel:BYTE_0 src1_sel:DWORD
	s_and_saveexec_b32 s19, s5
	s_cbranch_execz .LBB216_1337
; %bb.1332:                             ;   in Loop: Header=BB216_15 Depth=1
	v_mov_b32_e32 v5, 0x7f800001
	v_and_b32_e32 v1, 0x7f, v4
	v_mov_b32_e32 v6, 0
	s_mov_b32 s20, exec_lo
	buffer_store_dword v5, off, s[0:3], s32 offset:1540 ; 4-byte Folded Spill
	buffer_store_dword v6, off, s[0:3], s32 offset:1544 ; 4-byte Folded Spill
	v_cmpx_ne_u32_e32 0x7f, v1
	s_cbranch_execz .LBB216_1336
; %bb.1333:                             ;   in Loop: Header=BB216_15 Depth=1
	v_and_b32_e32 v10, 7, v4
	v_lshrrev_b32_e32 v0, 3, v1
	s_mov_b32 s21, exec_lo
	v_cmpx_gt_u32_e32 8, v1
; %bb.1334:                             ;   in Loop: Header=BB216_15 Depth=1
	v_ffbh_u32_e32 v0, v10
	v_min_u32_e32 v0, 32, v0
	v_subrev_nc_u32_e32 v1, 28, v0
	v_sub_nc_u32_e32 v0, 29, v0
	v_lshlrev_b64 v[5:6], v1, v[10:11]
	v_and_b32_e32 v10, 7, v5
; %bb.1335:                             ;   in Loop: Header=BB216_15 Depth=1
	s_or_b32 exec_lo, exec_lo, s21
	v_lshlrev_b32_e32 v1, 24, v4
	v_lshlrev_b32_e32 v5, 20, v10
	v_lshl_add_u32 v0, v0, 23, 0x3c000000
	v_and_b32_e32 v1, 0x80000000, v1
	v_or3_b32 v10, v5, v1, v0
	buffer_store_dword v10, off, s[0:3], s32 offset:1540 ; 4-byte Folded Spill
	buffer_store_dword v11, off, s[0:3], s32 offset:1544 ; 4-byte Folded Spill
.LBB216_1336:                           ;   in Loop: Header=BB216_15 Depth=1
	s_or_b32 exec_lo, exec_lo, s20
.LBB216_1337:                           ;   in Loop: Header=BB216_15 Depth=1
	s_or_b32 exec_lo, exec_lo, s19
.LBB216_1338:                           ;   in Loop: Header=BB216_15 Depth=1
	s_or_b32 exec_lo, exec_lo, s18
	v_cmp_ne_u16_sdwa s5, v4, v11 src0_sel:BYTE_1 src1_sel:DWORD
	s_and_saveexec_b32 s18, s5
	s_cbranch_execz .LBB216_1346
; %bb.1339:                             ;   in Loop: Header=BB216_15 Depth=1
	v_mov_b32_e32 v0, 0x80
	v_mov_b32_e32 v115, v11
	buffer_store_dword v115, off, s[0:3], s32 offset:1548 ; 4-byte Folded Spill
	buffer_store_dword v116, off, s[0:3], s32 offset:1552 ; 4-byte Folded Spill
	v_cmp_ne_u16_sdwa s5, v4, v0 src0_sel:BYTE_1 src1_sel:DWORD
	s_and_saveexec_b32 s19, s5
	s_cbranch_execz .LBB216_1345
; %bb.1340:                             ;   in Loop: Header=BB216_15 Depth=1
	s_clause 0x1
	buffer_load_dword v5, off, s[0:3], s32 offset:192
	buffer_load_dword v6, off, s[0:3], s32 offset:196
	v_mov_b32_e32 v0, 0xffff
	s_mov_b32 s20, exec_lo
	v_and_b32_sdwa v0, v0, v4 dst_sel:DWORD dst_unused:UNUSED_PAD src0_sel:DWORD src1_sel:BYTE_1
	v_and_b32_e32 v1, 0x7f, v0
	s_waitcnt vmcnt(0)
	v_mov_b32_e32 v7, v6
	v_mov_b32_e32 v6, v11
	;; [unrolled: 1-line block ×3, first 2 shown]
	buffer_store_dword v4, off, s[0:3], s32 offset:192 ; 4-byte Folded Spill
	buffer_store_dword v5, off, s[0:3], s32 offset:196 ; 4-byte Folded Spill
	;; [unrolled: 1-line block ×4, first 2 shown]
	v_cmpx_ne_u32_e32 0x7f, v1
	s_cbranch_execz .LBB216_1344
; %bb.1341:                             ;   in Loop: Header=BB216_15 Depth=1
	v_and_b32_e32 v10, 7, v0
	v_lshrrev_b32_e32 v0, 3, v1
	s_mov_b32 s21, exec_lo
	v_cmpx_gt_u32_e32 8, v1
; %bb.1342:                             ;   in Loop: Header=BB216_15 Depth=1
	v_ffbh_u32_e32 v0, v10
	v_min_u32_e32 v0, 32, v0
	v_subrev_nc_u32_e32 v1, 28, v0
	v_sub_nc_u32_e32 v0, 29, v0
	v_lshlrev_b64 v[5:6], v1, v[10:11]
	v_and_b32_e32 v10, 7, v5
; %bb.1343:                             ;   in Loop: Header=BB216_15 Depth=1
	s_or_b32 exec_lo, exec_lo, s21
	v_lshlrev_b32_e32 v1, 16, v4
	v_lshlrev_b32_e32 v5, 20, v10
	v_lshl_add_u32 v0, v0, 23, 0x3c000000
	v_and_b32_e32 v1, 0x80000000, v1
	v_or3_b32 v1, v5, v1, v0
	v_mov_b32_e32 v0, v11
	buffer_store_dword v0, off, s[0:3], s32 offset:1548 ; 4-byte Folded Spill
	buffer_store_dword v1, off, s[0:3], s32 offset:1552 ; 4-byte Folded Spill
.LBB216_1344:                           ;   in Loop: Header=BB216_15 Depth=1
	s_or_b32 exec_lo, exec_lo, s20
.LBB216_1345:                           ;   in Loop: Header=BB216_15 Depth=1
	s_or_b32 exec_lo, exec_lo, s19
.LBB216_1346:                           ;   in Loop: Header=BB216_15 Depth=1
	s_or_b32 exec_lo, exec_lo, s18
	v_mov_b32_e32 v5, 0
	v_mov_b32_e32 v6, 0
	;; [unrolled: 1-line block ×3, first 2 shown]
	s_mov_b32 s18, exec_lo
	buffer_store_dword v5, off, s[0:3], s32 offset:1556 ; 4-byte Folded Spill
	buffer_store_dword v6, off, s[0:3], s32 offset:1560 ; 4-byte Folded Spill
	v_mov_b32_e32 v5, 0
	v_and_b32_sdwa v0, v4, v0 dst_sel:DWORD dst_unused:UNUSED_PAD src0_sel:WORD_1 src1_sel:DWORD
	v_mov_b32_e32 v6, 0
	buffer_store_dword v5, off, s[0:3], s32 offset:1564 ; 4-byte Folded Spill
	buffer_store_dword v6, off, s[0:3], s32 offset:1568 ; 4-byte Folded Spill
	v_cmpx_ne_u16_e32 0, v0
	s_cbranch_execz .LBB216_1354
; %bb.1347:                             ;   in Loop: Header=BB216_15 Depth=1
	v_cmp_ne_u16_e64 s5, 0x80, v0
	v_bfrev_b32_e32 v0, 1
	v_mov_b32_e32 v1, 0
	buffer_store_dword v0, off, s[0:3], s32 offset:1564 ; 4-byte Folded Spill
	buffer_store_dword v1, off, s[0:3], s32 offset:1568 ; 4-byte Folded Spill
	s_and_saveexec_b32 s19, s5
	s_cbranch_execz .LBB216_1353
; %bb.1348:                             ;   in Loop: Header=BB216_15 Depth=1
	v_mov_b32_e32 v5, 0x7f800001
	v_bfe_u32 v1, v4, 16, 7
	v_mov_b32_e32 v6, 0
	s_mov_b32 s20, exec_lo
	buffer_store_dword v5, off, s[0:3], s32 offset:1564 ; 4-byte Folded Spill
	buffer_store_dword v6, off, s[0:3], s32 offset:1568 ; 4-byte Folded Spill
	v_cmpx_ne_u32_e32 0x7f, v1
	s_cbranch_execz .LBB216_1352
; %bb.1349:                             ;   in Loop: Header=BB216_15 Depth=1
	v_mov_b32_e32 v0, 7
	s_mov_b32 s21, exec_lo
	v_and_b32_sdwa v10, v4, v0 dst_sel:DWORD dst_unused:UNUSED_PAD src0_sel:WORD_1 src1_sel:DWORD
	v_lshrrev_b32_e32 v0, 3, v1
	v_cmpx_gt_u32_e32 8, v1
; %bb.1350:                             ;   in Loop: Header=BB216_15 Depth=1
	v_ffbh_u32_e32 v0, v10
	v_min_u32_e32 v0, 32, v0
	v_subrev_nc_u32_e32 v1, 28, v0
	v_sub_nc_u32_e32 v0, 29, v0
	v_lshlrev_b64 v[5:6], v1, v[10:11]
	v_and_b32_e32 v10, 7, v5
; %bb.1351:                             ;   in Loop: Header=BB216_15 Depth=1
	s_or_b32 exec_lo, exec_lo, s21
	v_mov_b32_e32 v1, 24
	v_lshlrev_b32_e32 v5, 20, v10
	v_lshl_add_u32 v0, v0, 23, 0x3c000000
	v_lshlrev_b32_sdwa v1, v1, v4 dst_sel:DWORD dst_unused:UNUSED_PAD src0_sel:DWORD src1_sel:WORD_1
	v_and_b32_e32 v1, 0x80000000, v1
	v_or3_b32 v10, v5, v1, v0
	buffer_store_dword v10, off, s[0:3], s32 offset:1564 ; 4-byte Folded Spill
	buffer_store_dword v11, off, s[0:3], s32 offset:1568 ; 4-byte Folded Spill
.LBB216_1352:                           ;   in Loop: Header=BB216_15 Depth=1
	s_or_b32 exec_lo, exec_lo, s20
.LBB216_1353:                           ;   in Loop: Header=BB216_15 Depth=1
	s_or_b32 exec_lo, exec_lo, s19
.LBB216_1354:                           ;   in Loop: Header=BB216_15 Depth=1
	s_or_b32 exec_lo, exec_lo, s18
	s_mov_b32 s18, exec_lo
	v_cmpx_lt_u32_e32 0xffffff, v4
	s_cbranch_execz .LBB216_1362
; %bb.1355:                             ;   in Loop: Header=BB216_15 Depth=1
	v_mov_b32_e32 v0, 0x80
	v_mov_b32_e32 v115, v11
	buffer_store_dword v115, off, s[0:3], s32 offset:1556 ; 4-byte Folded Spill
	buffer_store_dword v116, off, s[0:3], s32 offset:1560 ; 4-byte Folded Spill
	v_cmp_ne_u32_sdwa s5, v4, v0 src0_sel:BYTE_3 src1_sel:DWORD
	s_and_saveexec_b32 s19, s5
	s_cbranch_execz .LBB216_1361
; %bb.1356:                             ;   in Loop: Header=BB216_15 Depth=1
	s_clause 0x1
	buffer_load_dword v5, off, s[0:3], s32 offset:192
	buffer_load_dword v6, off, s[0:3], s32 offset:196
	v_bfe_u32 v0, v4, 24, 7
	s_waitcnt vmcnt(1)
	v_mov_b32_e32 v5, v11
	s_mov_b32 s20, exec_lo
	s_waitcnt vmcnt(0)
	v_mov_b32_e32 v1, v6
	buffer_store_dword v0, off, s[0:3], s32 offset:192 ; 4-byte Folded Spill
	buffer_store_dword v1, off, s[0:3], s32 offset:196 ; 4-byte Folded Spill
	;; [unrolled: 1-line block ×4, first 2 shown]
	v_cmpx_ne_u32_e32 0x7f, v0
	s_cbranch_execz .LBB216_1360
; %bb.1357:                             ;   in Loop: Header=BB216_15 Depth=1
	v_mov_b32_e32 v1, 7
	v_lshrrev_b32_e32 v5, 3, v0
	v_cmp_gt_u32_e64 s5, 8, v0
	v_and_b32_sdwa v10, v4, v1 dst_sel:DWORD dst_unused:UNUSED_PAD src0_sel:BYTE_3 src1_sel:DWORD
	v_mov_b32_e32 v0, v10
	v_mov_b32_e32 v1, v11
	s_and_saveexec_b32 s21, s5
; %bb.1358:                             ;   in Loop: Header=BB216_15 Depth=1
	v_ffbh_u32_e32 v0, v10
	v_min_u32_e32 v5, 32, v0
	v_subrev_nc_u32_e32 v0, 28, v5
	v_sub_nc_u32_e32 v5, 29, v5
	v_lshlrev_b64 v[0:1], v0, v[10:11]
	v_and_b32_e32 v0, 7, v0
; %bb.1359:                             ;   in Loop: Header=BB216_15 Depth=1
	s_or_b32 exec_lo, exec_lo, s21
	v_mov_b32_e32 v1, 24
	v_lshlrev_b32_e32 v0, 20, v0
	v_lshlrev_b32_sdwa v1, v1, v4 dst_sel:DWORD dst_unused:UNUSED_PAD src0_sel:DWORD src1_sel:BYTE_3
	v_lshl_add_u32 v4, v5, 23, 0x3c000000
	v_and_b32_e32 v1, 0x80000000, v1
	v_or3_b32 v1, v0, v1, v4
	v_mov_b32_e32 v0, v11
	buffer_store_dword v0, off, s[0:3], s32 offset:1556 ; 4-byte Folded Spill
	buffer_store_dword v1, off, s[0:3], s32 offset:1560 ; 4-byte Folded Spill
.LBB216_1360:                           ;   in Loop: Header=BB216_15 Depth=1
	s_or_b32 exec_lo, exec_lo, s20
.LBB216_1361:                           ;   in Loop: Header=BB216_15 Depth=1
	s_or_b32 exec_lo, exec_lo, s19
.LBB216_1362:                           ;   in Loop: Header=BB216_15 Depth=1
	s_or_b32 exec_lo, exec_lo, s18
	flat_load_dword v4, v[2:3] offset:1032
	v_mov_b32_e32 v0, 0
	v_mov_b32_e32 v1, 0
	buffer_store_dword v0, off, s[0:3], s32 offset:1580 ; 4-byte Folded Spill
	buffer_store_dword v1, off, s[0:3], s32 offset:1584 ; 4-byte Folded Spill
	v_mov_b32_e32 v0, 0
	v_mov_b32_e32 v1, 0
	buffer_store_dword v0, off, s[0:3], s32 offset:1572 ; 4-byte Folded Spill
	buffer_store_dword v1, off, s[0:3], s32 offset:1576 ; 4-byte Folded Spill
	s_waitcnt vmcnt(0) lgkmcnt(0)
	v_cmp_ne_u16_sdwa s5, v4, v11 src0_sel:BYTE_0 src1_sel:DWORD
	s_and_saveexec_b32 s18, s5
	s_cbranch_execz .LBB216_1370
; %bb.1363:                             ;   in Loop: Header=BB216_15 Depth=1
	v_bfrev_b32_e32 v0, 1
	v_mov_b32_e32 v1, 0
	buffer_store_dword v0, off, s[0:3], s32 offset:1572 ; 4-byte Folded Spill
	buffer_store_dword v1, off, s[0:3], s32 offset:1576 ; 4-byte Folded Spill
	v_mov_b32_e32 v0, 0x80
	v_cmp_ne_u16_sdwa s5, v4, v0 src0_sel:BYTE_0 src1_sel:DWORD
	s_and_saveexec_b32 s19, s5
	s_cbranch_execz .LBB216_1369
; %bb.1364:                             ;   in Loop: Header=BB216_15 Depth=1
	v_mov_b32_e32 v5, 0x7f800001
	v_and_b32_e32 v0, 0x7f, v4
	v_mov_b32_e32 v6, 0
	s_mov_b32 s20, exec_lo
	buffer_store_dword v5, off, s[0:3], s32 offset:1572 ; 4-byte Folded Spill
	buffer_store_dword v6, off, s[0:3], s32 offset:1576 ; 4-byte Folded Spill
	v_cmpx_ne_u32_e32 0x7f, v0
	s_cbranch_execz .LBB216_1368
; %bb.1365:                             ;   in Loop: Header=BB216_15 Depth=1
	v_and_b32_e32 v10, 7, v4
	v_lshrrev_b32_e32 v5, 3, v0
	v_cmp_gt_u32_e64 s5, 8, v0
	v_mov_b32_e32 v0, v10
	v_mov_b32_e32 v1, v11
	s_and_saveexec_b32 s21, s5
; %bb.1366:                             ;   in Loop: Header=BB216_15 Depth=1
	v_ffbh_u32_e32 v0, v10
	v_min_u32_e32 v5, 32, v0
	v_subrev_nc_u32_e32 v0, 28, v5
	v_sub_nc_u32_e32 v5, 29, v5
	v_lshlrev_b64 v[0:1], v0, v[10:11]
	v_and_b32_e32 v0, 7, v0
; %bb.1367:                             ;   in Loop: Header=BB216_15 Depth=1
	s_or_b32 exec_lo, exec_lo, s21
	v_lshlrev_b32_e32 v1, 24, v4
	v_lshlrev_b32_e32 v0, 20, v0
	v_lshl_add_u32 v5, v5, 23, 0x3c000000
	v_and_b32_e32 v1, 0x80000000, v1
	v_or3_b32 v10, v0, v1, v5
	buffer_store_dword v10, off, s[0:3], s32 offset:1572 ; 4-byte Folded Spill
	buffer_store_dword v11, off, s[0:3], s32 offset:1576 ; 4-byte Folded Spill
.LBB216_1368:                           ;   in Loop: Header=BB216_15 Depth=1
	s_or_b32 exec_lo, exec_lo, s20
.LBB216_1369:                           ;   in Loop: Header=BB216_15 Depth=1
	s_or_b32 exec_lo, exec_lo, s19
.LBB216_1370:                           ;   in Loop: Header=BB216_15 Depth=1
	s_or_b32 exec_lo, exec_lo, s18
	v_cmp_ne_u16_sdwa s5, v4, v11 src0_sel:BYTE_1 src1_sel:DWORD
	s_and_saveexec_b32 s18, s5
	s_cbranch_execz .LBB216_1378
; %bb.1371:                             ;   in Loop: Header=BB216_15 Depth=1
	v_mov_b32_e32 v0, 0x80
	v_mov_b32_e32 v115, v11
	buffer_store_dword v115, off, s[0:3], s32 offset:1580 ; 4-byte Folded Spill
	buffer_store_dword v116, off, s[0:3], s32 offset:1584 ; 4-byte Folded Spill
	v_cmp_ne_u16_sdwa s5, v4, v0 src0_sel:BYTE_1 src1_sel:DWORD
	s_and_saveexec_b32 s19, s5
	s_cbranch_execz .LBB216_1377
; %bb.1372:                             ;   in Loop: Header=BB216_15 Depth=1
	s_clause 0x1
	buffer_load_dword v5, off, s[0:3], s32 offset:192
	buffer_load_dword v6, off, s[0:3], s32 offset:196
	v_mov_b32_e32 v0, 0xffff
	s_mov_b32 s20, exec_lo
	v_and_b32_sdwa v1, v0, v4 dst_sel:DWORD dst_unused:UNUSED_PAD src0_sel:DWORD src1_sel:BYTE_1
	v_and_b32_e32 v0, 0x7f, v1
	s_waitcnt vmcnt(0)
	v_mov_b32_e32 v7, v6
	v_mov_b32_e32 v6, v11
	;; [unrolled: 1-line block ×3, first 2 shown]
	buffer_store_dword v4, off, s[0:3], s32 offset:192 ; 4-byte Folded Spill
	buffer_store_dword v5, off, s[0:3], s32 offset:196 ; 4-byte Folded Spill
	;; [unrolled: 1-line block ×4, first 2 shown]
	v_cmpx_ne_u32_e32 0x7f, v0
	s_cbranch_execz .LBB216_1376
; %bb.1373:                             ;   in Loop: Header=BB216_15 Depth=1
	v_and_b32_e32 v10, 7, v1
	v_lshrrev_b32_e32 v5, 3, v0
	v_cmp_gt_u32_e64 s5, 8, v0
	v_mov_b32_e32 v0, v10
	v_mov_b32_e32 v1, v11
	s_and_saveexec_b32 s21, s5
; %bb.1374:                             ;   in Loop: Header=BB216_15 Depth=1
	v_ffbh_u32_e32 v0, v10
	v_min_u32_e32 v5, 32, v0
	v_subrev_nc_u32_e32 v0, 28, v5
	v_sub_nc_u32_e32 v5, 29, v5
	v_lshlrev_b64 v[0:1], v0, v[10:11]
	v_and_b32_e32 v0, 7, v0
; %bb.1375:                             ;   in Loop: Header=BB216_15 Depth=1
	s_or_b32 exec_lo, exec_lo, s21
	v_lshlrev_b32_e32 v1, 16, v4
	v_lshlrev_b32_e32 v0, 20, v0
	v_lshl_add_u32 v5, v5, 23, 0x3c000000
	v_and_b32_e32 v1, 0x80000000, v1
	v_or3_b32 v1, v0, v1, v5
	v_mov_b32_e32 v0, v11
	buffer_store_dword v0, off, s[0:3], s32 offset:1580 ; 4-byte Folded Spill
	buffer_store_dword v1, off, s[0:3], s32 offset:1584 ; 4-byte Folded Spill
.LBB216_1376:                           ;   in Loop: Header=BB216_15 Depth=1
	s_or_b32 exec_lo, exec_lo, s20
.LBB216_1377:                           ;   in Loop: Header=BB216_15 Depth=1
	s_or_b32 exec_lo, exec_lo, s19
.LBB216_1378:                           ;   in Loop: Header=BB216_15 Depth=1
	s_or_b32 exec_lo, exec_lo, s18
	v_mov_b32_e32 v5, 0
	v_mov_b32_e32 v6, 0
	;; [unrolled: 1-line block ×3, first 2 shown]
	s_mov_b32 s18, exec_lo
	buffer_store_dword v5, off, s[0:3], s32 offset:1588 ; 4-byte Folded Spill
	buffer_store_dword v6, off, s[0:3], s32 offset:1592 ; 4-byte Folded Spill
	v_mov_b32_e32 v5, 0
	v_and_b32_sdwa v0, v4, v0 dst_sel:DWORD dst_unused:UNUSED_PAD src0_sel:WORD_1 src1_sel:DWORD
	v_mov_b32_e32 v6, 0
	buffer_store_dword v5, off, s[0:3], s32 offset:1596 ; 4-byte Folded Spill
	buffer_store_dword v6, off, s[0:3], s32 offset:1600 ; 4-byte Folded Spill
	v_cmpx_ne_u16_e32 0, v0
	s_cbranch_execz .LBB216_1386
; %bb.1379:                             ;   in Loop: Header=BB216_15 Depth=1
	v_cmp_ne_u16_e64 s5, 0x80, v0
	v_bfrev_b32_e32 v0, 1
	v_mov_b32_e32 v1, 0
	buffer_store_dword v0, off, s[0:3], s32 offset:1596 ; 4-byte Folded Spill
	buffer_store_dword v1, off, s[0:3], s32 offset:1600 ; 4-byte Folded Spill
	s_and_saveexec_b32 s19, s5
	s_cbranch_execz .LBB216_1385
; %bb.1380:                             ;   in Loop: Header=BB216_15 Depth=1
	v_mov_b32_e32 v5, 0x7f800001
	v_bfe_u32 v0, v4, 16, 7
	v_mov_b32_e32 v6, 0
	s_mov_b32 s20, exec_lo
	buffer_store_dword v5, off, s[0:3], s32 offset:1596 ; 4-byte Folded Spill
	buffer_store_dword v6, off, s[0:3], s32 offset:1600 ; 4-byte Folded Spill
	v_cmpx_ne_u32_e32 0x7f, v0
	s_cbranch_execz .LBB216_1384
; %bb.1381:                             ;   in Loop: Header=BB216_15 Depth=1
	v_mov_b32_e32 v1, 7
	v_lshrrev_b32_e32 v5, 3, v0
	v_cmp_gt_u32_e64 s5, 8, v0
	v_and_b32_sdwa v10, v4, v1 dst_sel:DWORD dst_unused:UNUSED_PAD src0_sel:WORD_1 src1_sel:DWORD
	v_mov_b32_e32 v0, v10
	v_mov_b32_e32 v1, v11
	s_and_saveexec_b32 s21, s5
; %bb.1382:                             ;   in Loop: Header=BB216_15 Depth=1
	v_ffbh_u32_e32 v0, v10
	v_min_u32_e32 v5, 32, v0
	v_subrev_nc_u32_e32 v0, 28, v5
	v_sub_nc_u32_e32 v5, 29, v5
	v_lshlrev_b64 v[0:1], v0, v[10:11]
	v_and_b32_e32 v0, 7, v0
; %bb.1383:                             ;   in Loop: Header=BB216_15 Depth=1
	s_or_b32 exec_lo, exec_lo, s21
	v_mov_b32_e32 v1, 24
	v_lshlrev_b32_e32 v0, 20, v0
	v_lshl_add_u32 v5, v5, 23, 0x3c000000
	v_lshlrev_b32_sdwa v1, v1, v4 dst_sel:DWORD dst_unused:UNUSED_PAD src0_sel:DWORD src1_sel:WORD_1
	v_and_b32_e32 v1, 0x80000000, v1
	v_or3_b32 v10, v0, v1, v5
	buffer_store_dword v10, off, s[0:3], s32 offset:1596 ; 4-byte Folded Spill
	buffer_store_dword v11, off, s[0:3], s32 offset:1600 ; 4-byte Folded Spill
.LBB216_1384:                           ;   in Loop: Header=BB216_15 Depth=1
	s_or_b32 exec_lo, exec_lo, s20
.LBB216_1385:                           ;   in Loop: Header=BB216_15 Depth=1
	s_or_b32 exec_lo, exec_lo, s19
.LBB216_1386:                           ;   in Loop: Header=BB216_15 Depth=1
	s_or_b32 exec_lo, exec_lo, s18
	s_mov_b32 s18, exec_lo
	v_cmpx_lt_u32_e32 0xffffff, v4
	s_cbranch_execz .LBB216_1394
; %bb.1387:                             ;   in Loop: Header=BB216_15 Depth=1
	v_mov_b32_e32 v0, 0x80
	v_mov_b32_e32 v115, v11
	buffer_store_dword v115, off, s[0:3], s32 offset:1588 ; 4-byte Folded Spill
	buffer_store_dword v116, off, s[0:3], s32 offset:1592 ; 4-byte Folded Spill
	v_cmp_ne_u32_sdwa s5, v4, v0 src0_sel:BYTE_3 src1_sel:DWORD
	s_and_saveexec_b32 s19, s5
	s_cbranch_execz .LBB216_1393
; %bb.1388:                             ;   in Loop: Header=BB216_15 Depth=1
	s_clause 0x1
	buffer_load_dword v5, off, s[0:3], s32 offset:192
	buffer_load_dword v6, off, s[0:3], s32 offset:196
	v_bfe_u32 v0, v4, 24, 7
	s_waitcnt vmcnt(1)
	v_mov_b32_e32 v5, v11
	s_mov_b32 s20, exec_lo
	s_waitcnt vmcnt(0)
	v_mov_b32_e32 v1, v6
	buffer_store_dword v0, off, s[0:3], s32 offset:192 ; 4-byte Folded Spill
	buffer_store_dword v1, off, s[0:3], s32 offset:196 ; 4-byte Folded Spill
	;; [unrolled: 1-line block ×4, first 2 shown]
	v_cmpx_ne_u32_e32 0x7f, v0
	s_cbranch_execz .LBB216_1392
; %bb.1389:                             ;   in Loop: Header=BB216_15 Depth=1
	v_mov_b32_e32 v1, 7
	v_lshrrev_b32_e32 v5, 3, v0
	v_cmp_gt_u32_e64 s5, 8, v0
	v_and_b32_sdwa v10, v4, v1 dst_sel:DWORD dst_unused:UNUSED_PAD src0_sel:BYTE_3 src1_sel:DWORD
	v_mov_b32_e32 v0, v10
	v_mov_b32_e32 v1, v11
	s_and_saveexec_b32 s21, s5
; %bb.1390:                             ;   in Loop: Header=BB216_15 Depth=1
	v_ffbh_u32_e32 v0, v10
	v_min_u32_e32 v5, 32, v0
	v_subrev_nc_u32_e32 v0, 28, v5
	v_sub_nc_u32_e32 v5, 29, v5
	v_lshlrev_b64 v[0:1], v0, v[10:11]
	v_and_b32_e32 v0, 7, v0
; %bb.1391:                             ;   in Loop: Header=BB216_15 Depth=1
	s_or_b32 exec_lo, exec_lo, s21
	v_mov_b32_e32 v1, 24
	v_lshlrev_b32_e32 v0, 20, v0
	v_lshlrev_b32_sdwa v1, v1, v4 dst_sel:DWORD dst_unused:UNUSED_PAD src0_sel:DWORD src1_sel:BYTE_3
	v_lshl_add_u32 v4, v5, 23, 0x3c000000
	v_and_b32_e32 v1, 0x80000000, v1
	v_or3_b32 v1, v0, v1, v4
	v_mov_b32_e32 v0, v11
	buffer_store_dword v0, off, s[0:3], s32 offset:1588 ; 4-byte Folded Spill
	buffer_store_dword v1, off, s[0:3], s32 offset:1592 ; 4-byte Folded Spill
.LBB216_1392:                           ;   in Loop: Header=BB216_15 Depth=1
	s_or_b32 exec_lo, exec_lo, s20
.LBB216_1393:                           ;   in Loop: Header=BB216_15 Depth=1
	s_or_b32 exec_lo, exec_lo, s19
.LBB216_1394:                           ;   in Loop: Header=BB216_15 Depth=1
	s_or_b32 exec_lo, exec_lo, s18
	flat_load_dword v4, v[2:3] offset:1036
	v_mov_b32_e32 v0, 0
	v_mov_b32_e32 v1, 0
	buffer_store_dword v0, off, s[0:3], s32 offset:1612 ; 4-byte Folded Spill
	buffer_store_dword v1, off, s[0:3], s32 offset:1616 ; 4-byte Folded Spill
	v_mov_b32_e32 v0, 0
	v_mov_b32_e32 v1, 0
	buffer_store_dword v0, off, s[0:3], s32 offset:1604 ; 4-byte Folded Spill
	buffer_store_dword v1, off, s[0:3], s32 offset:1608 ; 4-byte Folded Spill
	s_waitcnt vmcnt(0) lgkmcnt(0)
	v_cmp_ne_u16_sdwa s5, v4, v11 src0_sel:BYTE_0 src1_sel:DWORD
	s_and_saveexec_b32 s18, s5
	s_cbranch_execz .LBB216_1402
; %bb.1395:                             ;   in Loop: Header=BB216_15 Depth=1
	v_bfrev_b32_e32 v0, 1
	v_mov_b32_e32 v1, 0
	buffer_store_dword v0, off, s[0:3], s32 offset:1604 ; 4-byte Folded Spill
	buffer_store_dword v1, off, s[0:3], s32 offset:1608 ; 4-byte Folded Spill
	v_mov_b32_e32 v0, 0x80
	v_cmp_ne_u16_sdwa s5, v4, v0 src0_sel:BYTE_0 src1_sel:DWORD
	s_and_saveexec_b32 s19, s5
	s_cbranch_execz .LBB216_1401
; %bb.1396:                             ;   in Loop: Header=BB216_15 Depth=1
	v_mov_b32_e32 v5, 0x7f800001
	v_and_b32_e32 v0, 0x7f, v4
	v_mov_b32_e32 v6, 0
	s_mov_b32 s20, exec_lo
	buffer_store_dword v5, off, s[0:3], s32 offset:1604 ; 4-byte Folded Spill
	buffer_store_dword v6, off, s[0:3], s32 offset:1608 ; 4-byte Folded Spill
	v_cmpx_ne_u32_e32 0x7f, v0
	s_cbranch_execz .LBB216_1400
; %bb.1397:                             ;   in Loop: Header=BB216_15 Depth=1
	v_and_b32_e32 v10, 7, v4
	v_lshrrev_b32_e32 v5, 3, v0
	v_cmp_gt_u32_e64 s5, 8, v0
	v_mov_b32_e32 v0, v10
	v_mov_b32_e32 v1, v11
	s_and_saveexec_b32 s21, s5
; %bb.1398:                             ;   in Loop: Header=BB216_15 Depth=1
	v_ffbh_u32_e32 v0, v10
	v_min_u32_e32 v5, 32, v0
	v_subrev_nc_u32_e32 v0, 28, v5
	v_sub_nc_u32_e32 v5, 29, v5
	v_lshlrev_b64 v[0:1], v0, v[10:11]
	v_and_b32_e32 v0, 7, v0
; %bb.1399:                             ;   in Loop: Header=BB216_15 Depth=1
	s_or_b32 exec_lo, exec_lo, s21
	v_lshlrev_b32_e32 v1, 24, v4
	v_lshlrev_b32_e32 v0, 20, v0
	v_lshl_add_u32 v5, v5, 23, 0x3c000000
	v_and_b32_e32 v1, 0x80000000, v1
	v_or3_b32 v10, v0, v1, v5
	buffer_store_dword v10, off, s[0:3], s32 offset:1604 ; 4-byte Folded Spill
	buffer_store_dword v11, off, s[0:3], s32 offset:1608 ; 4-byte Folded Spill
.LBB216_1400:                           ;   in Loop: Header=BB216_15 Depth=1
	s_or_b32 exec_lo, exec_lo, s20
.LBB216_1401:                           ;   in Loop: Header=BB216_15 Depth=1
	s_or_b32 exec_lo, exec_lo, s19
.LBB216_1402:                           ;   in Loop: Header=BB216_15 Depth=1
	s_or_b32 exec_lo, exec_lo, s18
	v_cmp_ne_u16_sdwa s5, v4, v11 src0_sel:BYTE_1 src1_sel:DWORD
	s_and_saveexec_b32 s18, s5
	s_cbranch_execz .LBB216_1410
; %bb.1403:                             ;   in Loop: Header=BB216_15 Depth=1
	v_mov_b32_e32 v0, 0x80
	v_mov_b32_e32 v115, v11
	buffer_store_dword v115, off, s[0:3], s32 offset:1612 ; 4-byte Folded Spill
	buffer_store_dword v116, off, s[0:3], s32 offset:1616 ; 4-byte Folded Spill
	v_cmp_ne_u16_sdwa s5, v4, v0 src0_sel:BYTE_1 src1_sel:DWORD
	s_and_saveexec_b32 s19, s5
	s_cbranch_execz .LBB216_1409
; %bb.1404:                             ;   in Loop: Header=BB216_15 Depth=1
	s_clause 0x1
	buffer_load_dword v5, off, s[0:3], s32 offset:192
	buffer_load_dword v6, off, s[0:3], s32 offset:196
	v_mov_b32_e32 v0, 0xffff
	s_mov_b32 s20, exec_lo
	v_and_b32_sdwa v1, v0, v4 dst_sel:DWORD dst_unused:UNUSED_PAD src0_sel:DWORD src1_sel:BYTE_1
	v_and_b32_e32 v0, 0x7f, v1
	s_waitcnt vmcnt(0)
	v_mov_b32_e32 v7, v6
	v_mov_b32_e32 v6, v11
	;; [unrolled: 1-line block ×3, first 2 shown]
	buffer_store_dword v4, off, s[0:3], s32 offset:192 ; 4-byte Folded Spill
	buffer_store_dword v5, off, s[0:3], s32 offset:196 ; 4-byte Folded Spill
	buffer_store_dword v6, off, s[0:3], s32 offset:1612 ; 4-byte Folded Spill
	buffer_store_dword v7, off, s[0:3], s32 offset:1616 ; 4-byte Folded Spill
	v_cmpx_ne_u32_e32 0x7f, v0
	s_cbranch_execz .LBB216_1408
; %bb.1405:                             ;   in Loop: Header=BB216_15 Depth=1
	v_and_b32_e32 v10, 7, v1
	v_lshrrev_b32_e32 v5, 3, v0
	v_cmp_gt_u32_e64 s5, 8, v0
	v_mov_b32_e32 v0, v10
	v_mov_b32_e32 v1, v11
	s_and_saveexec_b32 s21, s5
; %bb.1406:                             ;   in Loop: Header=BB216_15 Depth=1
	v_ffbh_u32_e32 v0, v10
	v_min_u32_e32 v5, 32, v0
	v_subrev_nc_u32_e32 v0, 28, v5
	v_sub_nc_u32_e32 v5, 29, v5
	v_lshlrev_b64 v[0:1], v0, v[10:11]
	v_and_b32_e32 v0, 7, v0
; %bb.1407:                             ;   in Loop: Header=BB216_15 Depth=1
	s_or_b32 exec_lo, exec_lo, s21
	v_lshlrev_b32_e32 v1, 16, v4
	v_lshlrev_b32_e32 v0, 20, v0
	v_lshl_add_u32 v5, v5, 23, 0x3c000000
	v_and_b32_e32 v1, 0x80000000, v1
	v_or3_b32 v1, v0, v1, v5
	v_mov_b32_e32 v0, v11
	buffer_store_dword v0, off, s[0:3], s32 offset:1612 ; 4-byte Folded Spill
	buffer_store_dword v1, off, s[0:3], s32 offset:1616 ; 4-byte Folded Spill
.LBB216_1408:                           ;   in Loop: Header=BB216_15 Depth=1
	s_or_b32 exec_lo, exec_lo, s20
.LBB216_1409:                           ;   in Loop: Header=BB216_15 Depth=1
	s_or_b32 exec_lo, exec_lo, s19
.LBB216_1410:                           ;   in Loop: Header=BB216_15 Depth=1
	s_or_b32 exec_lo, exec_lo, s18
	v_mov_b32_e32 v5, 0
	v_mov_b32_e32 v6, 0
	;; [unrolled: 1-line block ×3, first 2 shown]
	s_mov_b32 s18, exec_lo
	buffer_store_dword v5, off, s[0:3], s32 offset:1620 ; 4-byte Folded Spill
	buffer_store_dword v6, off, s[0:3], s32 offset:1624 ; 4-byte Folded Spill
	v_mov_b32_e32 v5, 0
	v_and_b32_sdwa v0, v4, v0 dst_sel:DWORD dst_unused:UNUSED_PAD src0_sel:WORD_1 src1_sel:DWORD
	v_mov_b32_e32 v6, 0
	buffer_store_dword v5, off, s[0:3], s32 offset:1628 ; 4-byte Folded Spill
	buffer_store_dword v6, off, s[0:3], s32 offset:1632 ; 4-byte Folded Spill
	v_cmpx_ne_u16_e32 0, v0
	s_cbranch_execz .LBB216_1418
; %bb.1411:                             ;   in Loop: Header=BB216_15 Depth=1
	v_cmp_ne_u16_e64 s5, 0x80, v0
	v_bfrev_b32_e32 v0, 1
	v_mov_b32_e32 v1, 0
	buffer_store_dword v0, off, s[0:3], s32 offset:1628 ; 4-byte Folded Spill
	buffer_store_dword v1, off, s[0:3], s32 offset:1632 ; 4-byte Folded Spill
	s_and_saveexec_b32 s19, s5
	s_cbranch_execz .LBB216_1417
; %bb.1412:                             ;   in Loop: Header=BB216_15 Depth=1
	v_mov_b32_e32 v5, 0x7f800001
	v_bfe_u32 v0, v4, 16, 7
	v_mov_b32_e32 v6, 0
	s_mov_b32 s20, exec_lo
	buffer_store_dword v5, off, s[0:3], s32 offset:1628 ; 4-byte Folded Spill
	buffer_store_dword v6, off, s[0:3], s32 offset:1632 ; 4-byte Folded Spill
	v_cmpx_ne_u32_e32 0x7f, v0
	s_cbranch_execz .LBB216_1416
; %bb.1413:                             ;   in Loop: Header=BB216_15 Depth=1
	v_mov_b32_e32 v1, 7
	v_lshrrev_b32_e32 v5, 3, v0
	v_cmp_gt_u32_e64 s5, 8, v0
	v_and_b32_sdwa v10, v4, v1 dst_sel:DWORD dst_unused:UNUSED_PAD src0_sel:WORD_1 src1_sel:DWORD
	v_mov_b32_e32 v0, v10
	v_mov_b32_e32 v1, v11
	s_and_saveexec_b32 s21, s5
; %bb.1414:                             ;   in Loop: Header=BB216_15 Depth=1
	v_ffbh_u32_e32 v0, v10
	v_min_u32_e32 v5, 32, v0
	v_subrev_nc_u32_e32 v0, 28, v5
	v_sub_nc_u32_e32 v5, 29, v5
	v_lshlrev_b64 v[0:1], v0, v[10:11]
	v_and_b32_e32 v0, 7, v0
; %bb.1415:                             ;   in Loop: Header=BB216_15 Depth=1
	s_or_b32 exec_lo, exec_lo, s21
	v_mov_b32_e32 v1, 24
	v_lshlrev_b32_e32 v0, 20, v0
	v_lshl_add_u32 v5, v5, 23, 0x3c000000
	v_lshlrev_b32_sdwa v1, v1, v4 dst_sel:DWORD dst_unused:UNUSED_PAD src0_sel:DWORD src1_sel:WORD_1
	v_and_b32_e32 v1, 0x80000000, v1
	v_or3_b32 v10, v0, v1, v5
	buffer_store_dword v10, off, s[0:3], s32 offset:1628 ; 4-byte Folded Spill
	buffer_store_dword v11, off, s[0:3], s32 offset:1632 ; 4-byte Folded Spill
.LBB216_1416:                           ;   in Loop: Header=BB216_15 Depth=1
	s_or_b32 exec_lo, exec_lo, s20
.LBB216_1417:                           ;   in Loop: Header=BB216_15 Depth=1
	s_or_b32 exec_lo, exec_lo, s19
.LBB216_1418:                           ;   in Loop: Header=BB216_15 Depth=1
	s_or_b32 exec_lo, exec_lo, s18
	s_mov_b32 s18, exec_lo
	v_cmpx_lt_u32_e32 0xffffff, v4
	s_cbranch_execz .LBB216_1426
; %bb.1419:                             ;   in Loop: Header=BB216_15 Depth=1
	v_mov_b32_e32 v0, 0x80
	v_mov_b32_e32 v115, v11
	buffer_store_dword v115, off, s[0:3], s32 offset:1620 ; 4-byte Folded Spill
	buffer_store_dword v116, off, s[0:3], s32 offset:1624 ; 4-byte Folded Spill
	v_cmp_ne_u32_sdwa s5, v4, v0 src0_sel:BYTE_3 src1_sel:DWORD
	s_and_saveexec_b32 s19, s5
	s_cbranch_execz .LBB216_1425
; %bb.1420:                             ;   in Loop: Header=BB216_15 Depth=1
	s_clause 0x1
	buffer_load_dword v5, off, s[0:3], s32 offset:192
	buffer_load_dword v6, off, s[0:3], s32 offset:196
	v_bfe_u32 v0, v4, 24, 7
	s_waitcnt vmcnt(1)
	v_mov_b32_e32 v5, v11
	s_mov_b32 s20, exec_lo
	s_waitcnt vmcnt(0)
	v_mov_b32_e32 v1, v6
	buffer_store_dword v0, off, s[0:3], s32 offset:192 ; 4-byte Folded Spill
	buffer_store_dword v1, off, s[0:3], s32 offset:196 ; 4-byte Folded Spill
	buffer_store_dword v5, off, s[0:3], s32 offset:1620 ; 4-byte Folded Spill
	buffer_store_dword v6, off, s[0:3], s32 offset:1624 ; 4-byte Folded Spill
	v_cmpx_ne_u32_e32 0x7f, v0
	s_cbranch_execz .LBB216_1424
; %bb.1421:                             ;   in Loop: Header=BB216_15 Depth=1
	v_mov_b32_e32 v1, 7
	v_lshrrev_b32_e32 v5, 3, v0
	v_cmp_gt_u32_e64 s5, 8, v0
	v_and_b32_sdwa v10, v4, v1 dst_sel:DWORD dst_unused:UNUSED_PAD src0_sel:BYTE_3 src1_sel:DWORD
	v_mov_b32_e32 v0, v10
	v_mov_b32_e32 v1, v11
	s_and_saveexec_b32 s21, s5
; %bb.1422:                             ;   in Loop: Header=BB216_15 Depth=1
	v_ffbh_u32_e32 v0, v10
	v_min_u32_e32 v5, 32, v0
	v_subrev_nc_u32_e32 v0, 28, v5
	v_sub_nc_u32_e32 v5, 29, v5
	v_lshlrev_b64 v[0:1], v0, v[10:11]
	v_and_b32_e32 v0, 7, v0
; %bb.1423:                             ;   in Loop: Header=BB216_15 Depth=1
	s_or_b32 exec_lo, exec_lo, s21
	v_mov_b32_e32 v1, 24
	v_lshlrev_b32_e32 v0, 20, v0
	v_lshlrev_b32_sdwa v1, v1, v4 dst_sel:DWORD dst_unused:UNUSED_PAD src0_sel:DWORD src1_sel:BYTE_3
	v_lshl_add_u32 v4, v5, 23, 0x3c000000
	v_and_b32_e32 v1, 0x80000000, v1
	v_or3_b32 v1, v0, v1, v4
	v_mov_b32_e32 v0, v11
	buffer_store_dword v0, off, s[0:3], s32 offset:1620 ; 4-byte Folded Spill
	buffer_store_dword v1, off, s[0:3], s32 offset:1624 ; 4-byte Folded Spill
.LBB216_1424:                           ;   in Loop: Header=BB216_15 Depth=1
	s_or_b32 exec_lo, exec_lo, s20
.LBB216_1425:                           ;   in Loop: Header=BB216_15 Depth=1
	s_or_b32 exec_lo, exec_lo, s19
.LBB216_1426:                           ;   in Loop: Header=BB216_15 Depth=1
	s_or_b32 exec_lo, exec_lo, s18
	flat_load_dword v4, v[2:3] offset:1536
	v_mov_b32_e32 v0, 0
	v_mov_b32_e32 v1, 0
	buffer_store_dword v0, off, s[0:3], s32 offset:1644 ; 4-byte Folded Spill
	buffer_store_dword v1, off, s[0:3], s32 offset:1648 ; 4-byte Folded Spill
	v_mov_b32_e32 v0, 0
	v_mov_b32_e32 v1, 0
	buffer_store_dword v0, off, s[0:3], s32 offset:1636 ; 4-byte Folded Spill
	buffer_store_dword v1, off, s[0:3], s32 offset:1640 ; 4-byte Folded Spill
	s_waitcnt vmcnt(0) lgkmcnt(0)
	v_cmp_ne_u16_sdwa s5, v4, v11 src0_sel:BYTE_0 src1_sel:DWORD
	s_and_saveexec_b32 s18, s5
	s_cbranch_execz .LBB216_1434
; %bb.1427:                             ;   in Loop: Header=BB216_15 Depth=1
	v_bfrev_b32_e32 v0, 1
	v_mov_b32_e32 v1, 0
	buffer_store_dword v0, off, s[0:3], s32 offset:1636 ; 4-byte Folded Spill
	buffer_store_dword v1, off, s[0:3], s32 offset:1640 ; 4-byte Folded Spill
	v_mov_b32_e32 v0, 0x80
	v_cmp_ne_u16_sdwa s5, v4, v0 src0_sel:BYTE_0 src1_sel:DWORD
	s_and_saveexec_b32 s19, s5
	s_cbranch_execz .LBB216_1433
; %bb.1428:                             ;   in Loop: Header=BB216_15 Depth=1
	v_mov_b32_e32 v5, 0x7f800001
	v_and_b32_e32 v0, 0x7f, v4
	v_mov_b32_e32 v6, 0
	s_mov_b32 s20, exec_lo
	buffer_store_dword v5, off, s[0:3], s32 offset:1636 ; 4-byte Folded Spill
	buffer_store_dword v6, off, s[0:3], s32 offset:1640 ; 4-byte Folded Spill
	v_cmpx_ne_u32_e32 0x7f, v0
	s_cbranch_execz .LBB216_1432
; %bb.1429:                             ;   in Loop: Header=BB216_15 Depth=1
	v_and_b32_e32 v10, 7, v4
	v_lshrrev_b32_e32 v5, 3, v0
	v_cmp_gt_u32_e64 s5, 8, v0
	v_mov_b32_e32 v0, v10
	v_mov_b32_e32 v1, v11
	s_and_saveexec_b32 s21, s5
; %bb.1430:                             ;   in Loop: Header=BB216_15 Depth=1
	v_ffbh_u32_e32 v0, v10
	v_min_u32_e32 v5, 32, v0
	v_subrev_nc_u32_e32 v0, 28, v5
	v_sub_nc_u32_e32 v5, 29, v5
	v_lshlrev_b64 v[0:1], v0, v[10:11]
	v_and_b32_e32 v0, 7, v0
; %bb.1431:                             ;   in Loop: Header=BB216_15 Depth=1
	s_or_b32 exec_lo, exec_lo, s21
	v_lshlrev_b32_e32 v1, 24, v4
	v_lshlrev_b32_e32 v0, 20, v0
	v_lshl_add_u32 v5, v5, 23, 0x3c000000
	v_and_b32_e32 v1, 0x80000000, v1
	v_or3_b32 v10, v0, v1, v5
	buffer_store_dword v10, off, s[0:3], s32 offset:1636 ; 4-byte Folded Spill
	buffer_store_dword v11, off, s[0:3], s32 offset:1640 ; 4-byte Folded Spill
.LBB216_1432:                           ;   in Loop: Header=BB216_15 Depth=1
	s_or_b32 exec_lo, exec_lo, s20
.LBB216_1433:                           ;   in Loop: Header=BB216_15 Depth=1
	s_or_b32 exec_lo, exec_lo, s19
.LBB216_1434:                           ;   in Loop: Header=BB216_15 Depth=1
	s_or_b32 exec_lo, exec_lo, s18
	v_cmp_ne_u16_sdwa s5, v4, v11 src0_sel:BYTE_1 src1_sel:DWORD
	s_and_saveexec_b32 s18, s5
	s_cbranch_execz .LBB216_1442
; %bb.1435:                             ;   in Loop: Header=BB216_15 Depth=1
	v_mov_b32_e32 v0, 0x80
	v_mov_b32_e32 v115, v11
	buffer_store_dword v115, off, s[0:3], s32 offset:1644 ; 4-byte Folded Spill
	buffer_store_dword v116, off, s[0:3], s32 offset:1648 ; 4-byte Folded Spill
	v_cmp_ne_u16_sdwa s5, v4, v0 src0_sel:BYTE_1 src1_sel:DWORD
	s_and_saveexec_b32 s19, s5
	s_cbranch_execz .LBB216_1441
; %bb.1436:                             ;   in Loop: Header=BB216_15 Depth=1
	s_clause 0x1
	buffer_load_dword v5, off, s[0:3], s32 offset:192
	buffer_load_dword v6, off, s[0:3], s32 offset:196
	v_mov_b32_e32 v0, 0xffff
	s_mov_b32 s20, exec_lo
	v_and_b32_sdwa v1, v0, v4 dst_sel:DWORD dst_unused:UNUSED_PAD src0_sel:DWORD src1_sel:BYTE_1
	v_and_b32_e32 v0, 0x7f, v1
	s_waitcnt vmcnt(0)
	v_mov_b32_e32 v7, v6
	v_mov_b32_e32 v6, v11
	;; [unrolled: 1-line block ×3, first 2 shown]
	buffer_store_dword v4, off, s[0:3], s32 offset:192 ; 4-byte Folded Spill
	buffer_store_dword v5, off, s[0:3], s32 offset:196 ; 4-byte Folded Spill
	;; [unrolled: 1-line block ×4, first 2 shown]
	v_cmpx_ne_u32_e32 0x7f, v0
	s_cbranch_execz .LBB216_1440
; %bb.1437:                             ;   in Loop: Header=BB216_15 Depth=1
	v_and_b32_e32 v10, 7, v1
	v_lshrrev_b32_e32 v5, 3, v0
	v_cmp_gt_u32_e64 s5, 8, v0
	v_mov_b32_e32 v0, v10
	v_mov_b32_e32 v1, v11
	s_and_saveexec_b32 s21, s5
; %bb.1438:                             ;   in Loop: Header=BB216_15 Depth=1
	v_ffbh_u32_e32 v0, v10
	v_min_u32_e32 v5, 32, v0
	v_subrev_nc_u32_e32 v0, 28, v5
	v_sub_nc_u32_e32 v5, 29, v5
	v_lshlrev_b64 v[0:1], v0, v[10:11]
	v_and_b32_e32 v0, 7, v0
; %bb.1439:                             ;   in Loop: Header=BB216_15 Depth=1
	s_or_b32 exec_lo, exec_lo, s21
	v_lshlrev_b32_e32 v1, 16, v4
	v_lshlrev_b32_e32 v0, 20, v0
	v_lshl_add_u32 v5, v5, 23, 0x3c000000
	v_and_b32_e32 v1, 0x80000000, v1
	v_or3_b32 v1, v0, v1, v5
	v_mov_b32_e32 v0, v11
	buffer_store_dword v0, off, s[0:3], s32 offset:1644 ; 4-byte Folded Spill
	buffer_store_dword v1, off, s[0:3], s32 offset:1648 ; 4-byte Folded Spill
.LBB216_1440:                           ;   in Loop: Header=BB216_15 Depth=1
	s_or_b32 exec_lo, exec_lo, s20
.LBB216_1441:                           ;   in Loop: Header=BB216_15 Depth=1
	s_or_b32 exec_lo, exec_lo, s19
.LBB216_1442:                           ;   in Loop: Header=BB216_15 Depth=1
	s_or_b32 exec_lo, exec_lo, s18
	v_mov_b32_e32 v5, 0
	v_mov_b32_e32 v6, 0
	;; [unrolled: 1-line block ×3, first 2 shown]
	s_mov_b32 s18, exec_lo
	buffer_store_dword v5, off, s[0:3], s32 offset:1652 ; 4-byte Folded Spill
	buffer_store_dword v6, off, s[0:3], s32 offset:1656 ; 4-byte Folded Spill
	v_mov_b32_e32 v5, 0
	v_and_b32_sdwa v0, v4, v0 dst_sel:DWORD dst_unused:UNUSED_PAD src0_sel:WORD_1 src1_sel:DWORD
	v_mov_b32_e32 v6, 0
	buffer_store_dword v5, off, s[0:3], s32 offset:1660 ; 4-byte Folded Spill
	buffer_store_dword v6, off, s[0:3], s32 offset:1664 ; 4-byte Folded Spill
	v_cmpx_ne_u16_e32 0, v0
	s_cbranch_execz .LBB216_1450
; %bb.1443:                             ;   in Loop: Header=BB216_15 Depth=1
	v_cmp_ne_u16_e64 s5, 0x80, v0
	v_bfrev_b32_e32 v0, 1
	v_mov_b32_e32 v1, 0
	buffer_store_dword v0, off, s[0:3], s32 offset:1660 ; 4-byte Folded Spill
	buffer_store_dword v1, off, s[0:3], s32 offset:1664 ; 4-byte Folded Spill
	s_and_saveexec_b32 s19, s5
	s_cbranch_execz .LBB216_1449
; %bb.1444:                             ;   in Loop: Header=BB216_15 Depth=1
	v_mov_b32_e32 v5, 0x7f800001
	v_bfe_u32 v0, v4, 16, 7
	v_mov_b32_e32 v6, 0
	s_mov_b32 s20, exec_lo
	buffer_store_dword v5, off, s[0:3], s32 offset:1660 ; 4-byte Folded Spill
	buffer_store_dword v6, off, s[0:3], s32 offset:1664 ; 4-byte Folded Spill
	v_cmpx_ne_u32_e32 0x7f, v0
	s_cbranch_execz .LBB216_1448
; %bb.1445:                             ;   in Loop: Header=BB216_15 Depth=1
	v_mov_b32_e32 v1, 7
	v_lshrrev_b32_e32 v5, 3, v0
	v_cmp_gt_u32_e64 s5, 8, v0
	v_and_b32_sdwa v10, v4, v1 dst_sel:DWORD dst_unused:UNUSED_PAD src0_sel:WORD_1 src1_sel:DWORD
	v_mov_b32_e32 v0, v10
	v_mov_b32_e32 v1, v11
	s_and_saveexec_b32 s21, s5
; %bb.1446:                             ;   in Loop: Header=BB216_15 Depth=1
	v_ffbh_u32_e32 v0, v10
	v_min_u32_e32 v5, 32, v0
	v_subrev_nc_u32_e32 v0, 28, v5
	v_sub_nc_u32_e32 v5, 29, v5
	v_lshlrev_b64 v[0:1], v0, v[10:11]
	v_and_b32_e32 v0, 7, v0
; %bb.1447:                             ;   in Loop: Header=BB216_15 Depth=1
	s_or_b32 exec_lo, exec_lo, s21
	v_mov_b32_e32 v1, 24
	v_lshlrev_b32_e32 v0, 20, v0
	v_lshl_add_u32 v5, v5, 23, 0x3c000000
	v_lshlrev_b32_sdwa v1, v1, v4 dst_sel:DWORD dst_unused:UNUSED_PAD src0_sel:DWORD src1_sel:WORD_1
	v_and_b32_e32 v1, 0x80000000, v1
	v_or3_b32 v10, v0, v1, v5
	buffer_store_dword v10, off, s[0:3], s32 offset:1660 ; 4-byte Folded Spill
	buffer_store_dword v11, off, s[0:3], s32 offset:1664 ; 4-byte Folded Spill
.LBB216_1448:                           ;   in Loop: Header=BB216_15 Depth=1
	s_or_b32 exec_lo, exec_lo, s20
.LBB216_1449:                           ;   in Loop: Header=BB216_15 Depth=1
	s_or_b32 exec_lo, exec_lo, s19
.LBB216_1450:                           ;   in Loop: Header=BB216_15 Depth=1
	s_or_b32 exec_lo, exec_lo, s18
	s_mov_b32 s18, exec_lo
	v_cmpx_lt_u32_e32 0xffffff, v4
	s_cbranch_execz .LBB216_1458
; %bb.1451:                             ;   in Loop: Header=BB216_15 Depth=1
	v_mov_b32_e32 v0, 0x80
	v_mov_b32_e32 v115, v11
	buffer_store_dword v115, off, s[0:3], s32 offset:1652 ; 4-byte Folded Spill
	buffer_store_dword v116, off, s[0:3], s32 offset:1656 ; 4-byte Folded Spill
	v_cmp_ne_u32_sdwa s5, v4, v0 src0_sel:BYTE_3 src1_sel:DWORD
	s_and_saveexec_b32 s19, s5
	s_cbranch_execz .LBB216_1457
; %bb.1452:                             ;   in Loop: Header=BB216_15 Depth=1
	s_clause 0x1
	buffer_load_dword v5, off, s[0:3], s32 offset:192
	buffer_load_dword v6, off, s[0:3], s32 offset:196
	v_bfe_u32 v0, v4, 24, 7
	s_waitcnt vmcnt(1)
	v_mov_b32_e32 v5, v11
	s_mov_b32 s20, exec_lo
	s_waitcnt vmcnt(0)
	v_mov_b32_e32 v1, v6
	buffer_store_dword v0, off, s[0:3], s32 offset:192 ; 4-byte Folded Spill
	buffer_store_dword v1, off, s[0:3], s32 offset:196 ; 4-byte Folded Spill
	;; [unrolled: 1-line block ×4, first 2 shown]
	v_cmpx_ne_u32_e32 0x7f, v0
	s_cbranch_execz .LBB216_1456
; %bb.1453:                             ;   in Loop: Header=BB216_15 Depth=1
	v_mov_b32_e32 v1, 7
	v_lshrrev_b32_e32 v5, 3, v0
	v_cmp_gt_u32_e64 s5, 8, v0
	v_and_b32_sdwa v10, v4, v1 dst_sel:DWORD dst_unused:UNUSED_PAD src0_sel:BYTE_3 src1_sel:DWORD
	v_mov_b32_e32 v0, v10
	v_mov_b32_e32 v1, v11
	s_and_saveexec_b32 s21, s5
; %bb.1454:                             ;   in Loop: Header=BB216_15 Depth=1
	v_ffbh_u32_e32 v0, v10
	v_min_u32_e32 v5, 32, v0
	v_subrev_nc_u32_e32 v0, 28, v5
	v_sub_nc_u32_e32 v5, 29, v5
	v_lshlrev_b64 v[0:1], v0, v[10:11]
	v_and_b32_e32 v0, 7, v0
; %bb.1455:                             ;   in Loop: Header=BB216_15 Depth=1
	s_or_b32 exec_lo, exec_lo, s21
	v_mov_b32_e32 v1, 24
	v_lshlrev_b32_e32 v0, 20, v0
	v_lshlrev_b32_sdwa v1, v1, v4 dst_sel:DWORD dst_unused:UNUSED_PAD src0_sel:DWORD src1_sel:BYTE_3
	v_lshl_add_u32 v4, v5, 23, 0x3c000000
	v_and_b32_e32 v1, 0x80000000, v1
	v_or3_b32 v1, v0, v1, v4
	v_mov_b32_e32 v0, v11
	buffer_store_dword v0, off, s[0:3], s32 offset:1652 ; 4-byte Folded Spill
	buffer_store_dword v1, off, s[0:3], s32 offset:1656 ; 4-byte Folded Spill
.LBB216_1456:                           ;   in Loop: Header=BB216_15 Depth=1
	s_or_b32 exec_lo, exec_lo, s20
.LBB216_1457:                           ;   in Loop: Header=BB216_15 Depth=1
	s_or_b32 exec_lo, exec_lo, s19
.LBB216_1458:                           ;   in Loop: Header=BB216_15 Depth=1
	s_or_b32 exec_lo, exec_lo, s18
	flat_load_dword v4, v[2:3] offset:1540
	v_mov_b32_e32 v0, 0
	v_mov_b32_e32 v1, 0
	buffer_store_dword v0, off, s[0:3], s32 offset:1676 ; 4-byte Folded Spill
	buffer_store_dword v1, off, s[0:3], s32 offset:1680 ; 4-byte Folded Spill
	v_mov_b32_e32 v0, 0
	v_mov_b32_e32 v1, 0
	buffer_store_dword v0, off, s[0:3], s32 offset:1668 ; 4-byte Folded Spill
	buffer_store_dword v1, off, s[0:3], s32 offset:1672 ; 4-byte Folded Spill
	s_waitcnt vmcnt(0) lgkmcnt(0)
	v_cmp_ne_u16_sdwa s5, v4, v11 src0_sel:BYTE_0 src1_sel:DWORD
	s_and_saveexec_b32 s18, s5
	s_cbranch_execz .LBB216_1466
; %bb.1459:                             ;   in Loop: Header=BB216_15 Depth=1
	v_bfrev_b32_e32 v0, 1
	v_mov_b32_e32 v1, 0
	buffer_store_dword v0, off, s[0:3], s32 offset:1668 ; 4-byte Folded Spill
	buffer_store_dword v1, off, s[0:3], s32 offset:1672 ; 4-byte Folded Spill
	v_mov_b32_e32 v0, 0x80
	v_cmp_ne_u16_sdwa s5, v4, v0 src0_sel:BYTE_0 src1_sel:DWORD
	s_and_saveexec_b32 s19, s5
	s_cbranch_execz .LBB216_1465
; %bb.1460:                             ;   in Loop: Header=BB216_15 Depth=1
	v_mov_b32_e32 v5, 0x7f800001
	v_and_b32_e32 v0, 0x7f, v4
	v_mov_b32_e32 v6, 0
	s_mov_b32 s20, exec_lo
	buffer_store_dword v5, off, s[0:3], s32 offset:1668 ; 4-byte Folded Spill
	buffer_store_dword v6, off, s[0:3], s32 offset:1672 ; 4-byte Folded Spill
	v_cmpx_ne_u32_e32 0x7f, v0
	s_cbranch_execz .LBB216_1464
; %bb.1461:                             ;   in Loop: Header=BB216_15 Depth=1
	v_and_b32_e32 v10, 7, v4
	v_lshrrev_b32_e32 v5, 3, v0
	v_cmp_gt_u32_e64 s5, 8, v0
	v_mov_b32_e32 v0, v10
	v_mov_b32_e32 v1, v11
	s_and_saveexec_b32 s21, s5
; %bb.1462:                             ;   in Loop: Header=BB216_15 Depth=1
	v_ffbh_u32_e32 v0, v10
	v_min_u32_e32 v5, 32, v0
	v_subrev_nc_u32_e32 v0, 28, v5
	v_sub_nc_u32_e32 v5, 29, v5
	v_lshlrev_b64 v[0:1], v0, v[10:11]
	v_and_b32_e32 v0, 7, v0
; %bb.1463:                             ;   in Loop: Header=BB216_15 Depth=1
	s_or_b32 exec_lo, exec_lo, s21
	v_lshlrev_b32_e32 v1, 24, v4
	v_lshlrev_b32_e32 v0, 20, v0
	v_lshl_add_u32 v5, v5, 23, 0x3c000000
	v_and_b32_e32 v1, 0x80000000, v1
	v_or3_b32 v10, v0, v1, v5
	buffer_store_dword v10, off, s[0:3], s32 offset:1668 ; 4-byte Folded Spill
	buffer_store_dword v11, off, s[0:3], s32 offset:1672 ; 4-byte Folded Spill
.LBB216_1464:                           ;   in Loop: Header=BB216_15 Depth=1
	s_or_b32 exec_lo, exec_lo, s20
.LBB216_1465:                           ;   in Loop: Header=BB216_15 Depth=1
	s_or_b32 exec_lo, exec_lo, s19
.LBB216_1466:                           ;   in Loop: Header=BB216_15 Depth=1
	s_or_b32 exec_lo, exec_lo, s18
	v_cmp_ne_u16_sdwa s5, v4, v11 src0_sel:BYTE_1 src1_sel:DWORD
	s_and_saveexec_b32 s18, s5
	s_cbranch_execz .LBB216_1474
; %bb.1467:                             ;   in Loop: Header=BB216_15 Depth=1
	v_mov_b32_e32 v0, 0x80
	v_mov_b32_e32 v115, v11
	buffer_store_dword v115, off, s[0:3], s32 offset:1676 ; 4-byte Folded Spill
	buffer_store_dword v116, off, s[0:3], s32 offset:1680 ; 4-byte Folded Spill
	v_cmp_ne_u16_sdwa s5, v4, v0 src0_sel:BYTE_1 src1_sel:DWORD
	s_and_saveexec_b32 s19, s5
	s_cbranch_execz .LBB216_1473
; %bb.1468:                             ;   in Loop: Header=BB216_15 Depth=1
	s_clause 0x1
	buffer_load_dword v5, off, s[0:3], s32 offset:192
	buffer_load_dword v6, off, s[0:3], s32 offset:196
	v_mov_b32_e32 v0, 0xffff
	s_mov_b32 s20, exec_lo
	v_and_b32_sdwa v1, v0, v4 dst_sel:DWORD dst_unused:UNUSED_PAD src0_sel:DWORD src1_sel:BYTE_1
	v_and_b32_e32 v0, 0x7f, v1
	s_waitcnt vmcnt(0)
	v_mov_b32_e32 v7, v6
	v_mov_b32_e32 v6, v11
	v_mov_b32_e32 v5, v7
	buffer_store_dword v4, off, s[0:3], s32 offset:192 ; 4-byte Folded Spill
	buffer_store_dword v5, off, s[0:3], s32 offset:196 ; 4-byte Folded Spill
	;; [unrolled: 1-line block ×4, first 2 shown]
	v_cmpx_ne_u32_e32 0x7f, v0
	s_cbranch_execz .LBB216_1472
; %bb.1469:                             ;   in Loop: Header=BB216_15 Depth=1
	v_and_b32_e32 v10, 7, v1
	v_lshrrev_b32_e32 v5, 3, v0
	v_cmp_gt_u32_e64 s5, 8, v0
	v_mov_b32_e32 v0, v10
	v_mov_b32_e32 v1, v11
	s_and_saveexec_b32 s21, s5
; %bb.1470:                             ;   in Loop: Header=BB216_15 Depth=1
	v_ffbh_u32_e32 v0, v10
	v_min_u32_e32 v5, 32, v0
	v_subrev_nc_u32_e32 v0, 28, v5
	v_sub_nc_u32_e32 v5, 29, v5
	v_lshlrev_b64 v[0:1], v0, v[10:11]
	v_and_b32_e32 v0, 7, v0
; %bb.1471:                             ;   in Loop: Header=BB216_15 Depth=1
	s_or_b32 exec_lo, exec_lo, s21
	v_lshlrev_b32_e32 v1, 16, v4
	v_lshlrev_b32_e32 v0, 20, v0
	v_lshl_add_u32 v5, v5, 23, 0x3c000000
	v_and_b32_e32 v1, 0x80000000, v1
	v_or3_b32 v1, v0, v1, v5
	v_mov_b32_e32 v0, v11
	buffer_store_dword v0, off, s[0:3], s32 offset:1676 ; 4-byte Folded Spill
	buffer_store_dword v1, off, s[0:3], s32 offset:1680 ; 4-byte Folded Spill
.LBB216_1472:                           ;   in Loop: Header=BB216_15 Depth=1
	s_or_b32 exec_lo, exec_lo, s20
.LBB216_1473:                           ;   in Loop: Header=BB216_15 Depth=1
	s_or_b32 exec_lo, exec_lo, s19
.LBB216_1474:                           ;   in Loop: Header=BB216_15 Depth=1
	s_or_b32 exec_lo, exec_lo, s18
	v_mov_b32_e32 v5, 0
	v_mov_b32_e32 v6, 0
	;; [unrolled: 1-line block ×3, first 2 shown]
	s_mov_b32 s18, exec_lo
	buffer_store_dword v5, off, s[0:3], s32 offset:1684 ; 4-byte Folded Spill
	buffer_store_dword v6, off, s[0:3], s32 offset:1688 ; 4-byte Folded Spill
	v_mov_b32_e32 v5, 0
	v_and_b32_sdwa v0, v4, v0 dst_sel:DWORD dst_unused:UNUSED_PAD src0_sel:WORD_1 src1_sel:DWORD
	v_mov_b32_e32 v6, 0
	buffer_store_dword v5, off, s[0:3], s32 offset:1692 ; 4-byte Folded Spill
	buffer_store_dword v6, off, s[0:3], s32 offset:1696 ; 4-byte Folded Spill
	v_cmpx_ne_u16_e32 0, v0
	s_cbranch_execz .LBB216_1482
; %bb.1475:                             ;   in Loop: Header=BB216_15 Depth=1
	v_cmp_ne_u16_e64 s5, 0x80, v0
	v_bfrev_b32_e32 v0, 1
	v_mov_b32_e32 v1, 0
	buffer_store_dword v0, off, s[0:3], s32 offset:1692 ; 4-byte Folded Spill
	buffer_store_dword v1, off, s[0:3], s32 offset:1696 ; 4-byte Folded Spill
	s_and_saveexec_b32 s19, s5
	s_cbranch_execz .LBB216_1481
; %bb.1476:                             ;   in Loop: Header=BB216_15 Depth=1
	v_mov_b32_e32 v5, 0x7f800001
	v_bfe_u32 v0, v4, 16, 7
	v_mov_b32_e32 v6, 0
	s_mov_b32 s20, exec_lo
	buffer_store_dword v5, off, s[0:3], s32 offset:1692 ; 4-byte Folded Spill
	buffer_store_dword v6, off, s[0:3], s32 offset:1696 ; 4-byte Folded Spill
	v_cmpx_ne_u32_e32 0x7f, v0
	s_cbranch_execz .LBB216_1480
; %bb.1477:                             ;   in Loop: Header=BB216_15 Depth=1
	v_mov_b32_e32 v1, 7
	v_lshrrev_b32_e32 v5, 3, v0
	v_cmp_gt_u32_e64 s5, 8, v0
	v_and_b32_sdwa v10, v4, v1 dst_sel:DWORD dst_unused:UNUSED_PAD src0_sel:WORD_1 src1_sel:DWORD
	v_mov_b32_e32 v0, v10
	v_mov_b32_e32 v1, v11
	s_and_saveexec_b32 s21, s5
; %bb.1478:                             ;   in Loop: Header=BB216_15 Depth=1
	v_ffbh_u32_e32 v0, v10
	v_min_u32_e32 v5, 32, v0
	v_subrev_nc_u32_e32 v0, 28, v5
	v_sub_nc_u32_e32 v5, 29, v5
	v_lshlrev_b64 v[0:1], v0, v[10:11]
	v_and_b32_e32 v0, 7, v0
; %bb.1479:                             ;   in Loop: Header=BB216_15 Depth=1
	s_or_b32 exec_lo, exec_lo, s21
	v_mov_b32_e32 v1, 24
	v_lshlrev_b32_e32 v0, 20, v0
	v_lshl_add_u32 v5, v5, 23, 0x3c000000
	v_lshlrev_b32_sdwa v1, v1, v4 dst_sel:DWORD dst_unused:UNUSED_PAD src0_sel:DWORD src1_sel:WORD_1
	v_and_b32_e32 v1, 0x80000000, v1
	v_or3_b32 v10, v0, v1, v5
	buffer_store_dword v10, off, s[0:3], s32 offset:1692 ; 4-byte Folded Spill
	buffer_store_dword v11, off, s[0:3], s32 offset:1696 ; 4-byte Folded Spill
.LBB216_1480:                           ;   in Loop: Header=BB216_15 Depth=1
	s_or_b32 exec_lo, exec_lo, s20
.LBB216_1481:                           ;   in Loop: Header=BB216_15 Depth=1
	s_or_b32 exec_lo, exec_lo, s19
.LBB216_1482:                           ;   in Loop: Header=BB216_15 Depth=1
	s_or_b32 exec_lo, exec_lo, s18
	s_mov_b32 s18, exec_lo
	v_cmpx_lt_u32_e32 0xffffff, v4
	s_cbranch_execz .LBB216_1490
; %bb.1483:                             ;   in Loop: Header=BB216_15 Depth=1
	v_mov_b32_e32 v0, 0x80
	v_mov_b32_e32 v115, v11
	buffer_store_dword v115, off, s[0:3], s32 offset:1684 ; 4-byte Folded Spill
	buffer_store_dword v116, off, s[0:3], s32 offset:1688 ; 4-byte Folded Spill
	v_cmp_ne_u32_sdwa s5, v4, v0 src0_sel:BYTE_3 src1_sel:DWORD
	s_and_saveexec_b32 s19, s5
	s_cbranch_execz .LBB216_1489
; %bb.1484:                             ;   in Loop: Header=BB216_15 Depth=1
	s_clause 0x1
	buffer_load_dword v5, off, s[0:3], s32 offset:192
	buffer_load_dword v6, off, s[0:3], s32 offset:196
	v_bfe_u32 v0, v4, 24, 7
	s_waitcnt vmcnt(1)
	v_mov_b32_e32 v5, v11
	s_mov_b32 s20, exec_lo
	s_waitcnt vmcnt(0)
	v_mov_b32_e32 v1, v6
	buffer_store_dword v0, off, s[0:3], s32 offset:192 ; 4-byte Folded Spill
	buffer_store_dword v1, off, s[0:3], s32 offset:196 ; 4-byte Folded Spill
	;; [unrolled: 1-line block ×4, first 2 shown]
	v_cmpx_ne_u32_e32 0x7f, v0
	s_cbranch_execz .LBB216_1488
; %bb.1485:                             ;   in Loop: Header=BB216_15 Depth=1
	v_mov_b32_e32 v1, 7
	v_lshrrev_b32_e32 v5, 3, v0
	v_cmp_gt_u32_e64 s5, 8, v0
	v_and_b32_sdwa v10, v4, v1 dst_sel:DWORD dst_unused:UNUSED_PAD src0_sel:BYTE_3 src1_sel:DWORD
	v_mov_b32_e32 v0, v10
	v_mov_b32_e32 v1, v11
	s_and_saveexec_b32 s21, s5
; %bb.1486:                             ;   in Loop: Header=BB216_15 Depth=1
	v_ffbh_u32_e32 v0, v10
	v_min_u32_e32 v5, 32, v0
	v_subrev_nc_u32_e32 v0, 28, v5
	v_sub_nc_u32_e32 v5, 29, v5
	v_lshlrev_b64 v[0:1], v0, v[10:11]
	v_and_b32_e32 v0, 7, v0
; %bb.1487:                             ;   in Loop: Header=BB216_15 Depth=1
	s_or_b32 exec_lo, exec_lo, s21
	v_mov_b32_e32 v1, 24
	v_lshlrev_b32_e32 v0, 20, v0
	v_lshlrev_b32_sdwa v1, v1, v4 dst_sel:DWORD dst_unused:UNUSED_PAD src0_sel:DWORD src1_sel:BYTE_3
	v_lshl_add_u32 v4, v5, 23, 0x3c000000
	v_and_b32_e32 v1, 0x80000000, v1
	v_or3_b32 v1, v0, v1, v4
	v_mov_b32_e32 v0, v11
	buffer_store_dword v0, off, s[0:3], s32 offset:1684 ; 4-byte Folded Spill
	buffer_store_dword v1, off, s[0:3], s32 offset:1688 ; 4-byte Folded Spill
.LBB216_1488:                           ;   in Loop: Header=BB216_15 Depth=1
	s_or_b32 exec_lo, exec_lo, s20
.LBB216_1489:                           ;   in Loop: Header=BB216_15 Depth=1
	s_or_b32 exec_lo, exec_lo, s19
.LBB216_1490:                           ;   in Loop: Header=BB216_15 Depth=1
	s_or_b32 exec_lo, exec_lo, s18
	flat_load_dword v4, v[2:3] offset:1544
	v_mov_b32_e32 v0, 0
	v_mov_b32_e32 v1, 0
	buffer_store_dword v0, off, s[0:3], s32 offset:1708 ; 4-byte Folded Spill
	buffer_store_dword v1, off, s[0:3], s32 offset:1712 ; 4-byte Folded Spill
	v_mov_b32_e32 v0, 0
	v_mov_b32_e32 v1, 0
	buffer_store_dword v0, off, s[0:3], s32 offset:1700 ; 4-byte Folded Spill
	buffer_store_dword v1, off, s[0:3], s32 offset:1704 ; 4-byte Folded Spill
	s_waitcnt vmcnt(0) lgkmcnt(0)
	v_cmp_ne_u16_sdwa s5, v4, v11 src0_sel:BYTE_0 src1_sel:DWORD
	s_and_saveexec_b32 s18, s5
	s_cbranch_execz .LBB216_1498
; %bb.1491:                             ;   in Loop: Header=BB216_15 Depth=1
	v_bfrev_b32_e32 v0, 1
	v_mov_b32_e32 v1, 0
	buffer_store_dword v0, off, s[0:3], s32 offset:1700 ; 4-byte Folded Spill
	buffer_store_dword v1, off, s[0:3], s32 offset:1704 ; 4-byte Folded Spill
	v_mov_b32_e32 v0, 0x80
	v_cmp_ne_u16_sdwa s5, v4, v0 src0_sel:BYTE_0 src1_sel:DWORD
	s_and_saveexec_b32 s19, s5
	s_cbranch_execz .LBB216_1497
; %bb.1492:                             ;   in Loop: Header=BB216_15 Depth=1
	v_mov_b32_e32 v5, 0x7f800001
	v_and_b32_e32 v0, 0x7f, v4
	v_mov_b32_e32 v6, 0
	s_mov_b32 s20, exec_lo
	buffer_store_dword v5, off, s[0:3], s32 offset:1700 ; 4-byte Folded Spill
	buffer_store_dword v6, off, s[0:3], s32 offset:1704 ; 4-byte Folded Spill
	v_cmpx_ne_u32_e32 0x7f, v0
	s_cbranch_execz .LBB216_1496
; %bb.1493:                             ;   in Loop: Header=BB216_15 Depth=1
	v_and_b32_e32 v10, 7, v4
	v_lshrrev_b32_e32 v5, 3, v0
	v_cmp_gt_u32_e64 s5, 8, v0
	v_mov_b32_e32 v0, v10
	v_mov_b32_e32 v1, v11
	s_and_saveexec_b32 s21, s5
; %bb.1494:                             ;   in Loop: Header=BB216_15 Depth=1
	v_ffbh_u32_e32 v0, v10
	v_min_u32_e32 v5, 32, v0
	v_subrev_nc_u32_e32 v0, 28, v5
	v_sub_nc_u32_e32 v5, 29, v5
	v_lshlrev_b64 v[0:1], v0, v[10:11]
	v_and_b32_e32 v0, 7, v0
; %bb.1495:                             ;   in Loop: Header=BB216_15 Depth=1
	s_or_b32 exec_lo, exec_lo, s21
	v_lshlrev_b32_e32 v1, 24, v4
	v_lshlrev_b32_e32 v0, 20, v0
	v_lshl_add_u32 v5, v5, 23, 0x3c000000
	v_and_b32_e32 v1, 0x80000000, v1
	v_or3_b32 v10, v0, v1, v5
	buffer_store_dword v10, off, s[0:3], s32 offset:1700 ; 4-byte Folded Spill
	buffer_store_dword v11, off, s[0:3], s32 offset:1704 ; 4-byte Folded Spill
.LBB216_1496:                           ;   in Loop: Header=BB216_15 Depth=1
	s_or_b32 exec_lo, exec_lo, s20
.LBB216_1497:                           ;   in Loop: Header=BB216_15 Depth=1
	s_or_b32 exec_lo, exec_lo, s19
.LBB216_1498:                           ;   in Loop: Header=BB216_15 Depth=1
	s_or_b32 exec_lo, exec_lo, s18
	v_cmp_ne_u16_sdwa s5, v4, v11 src0_sel:BYTE_1 src1_sel:DWORD
	s_and_saveexec_b32 s18, s5
	s_cbranch_execz .LBB216_1506
; %bb.1499:                             ;   in Loop: Header=BB216_15 Depth=1
	v_mov_b32_e32 v0, 0x80
	v_mov_b32_e32 v115, v11
	buffer_store_dword v115, off, s[0:3], s32 offset:1708 ; 4-byte Folded Spill
	buffer_store_dword v116, off, s[0:3], s32 offset:1712 ; 4-byte Folded Spill
	v_cmp_ne_u16_sdwa s5, v4, v0 src0_sel:BYTE_1 src1_sel:DWORD
	s_and_saveexec_b32 s19, s5
	s_cbranch_execz .LBB216_1505
; %bb.1500:                             ;   in Loop: Header=BB216_15 Depth=1
	s_clause 0x1
	buffer_load_dword v5, off, s[0:3], s32 offset:192
	buffer_load_dword v6, off, s[0:3], s32 offset:196
	v_mov_b32_e32 v0, 0xffff
	s_mov_b32 s20, exec_lo
	v_and_b32_sdwa v1, v0, v4 dst_sel:DWORD dst_unused:UNUSED_PAD src0_sel:DWORD src1_sel:BYTE_1
	v_and_b32_e32 v0, 0x7f, v1
	s_waitcnt vmcnt(0)
	v_mov_b32_e32 v7, v6
	v_mov_b32_e32 v6, v11
	;; [unrolled: 1-line block ×3, first 2 shown]
	buffer_store_dword v4, off, s[0:3], s32 offset:192 ; 4-byte Folded Spill
	buffer_store_dword v5, off, s[0:3], s32 offset:196 ; 4-byte Folded Spill
	;; [unrolled: 1-line block ×4, first 2 shown]
	v_cmpx_ne_u32_e32 0x7f, v0
	s_cbranch_execz .LBB216_1504
; %bb.1501:                             ;   in Loop: Header=BB216_15 Depth=1
	v_and_b32_e32 v10, 7, v1
	v_lshrrev_b32_e32 v5, 3, v0
	v_cmp_gt_u32_e64 s5, 8, v0
	v_mov_b32_e32 v0, v10
	v_mov_b32_e32 v1, v11
	s_and_saveexec_b32 s21, s5
; %bb.1502:                             ;   in Loop: Header=BB216_15 Depth=1
	v_ffbh_u32_e32 v0, v10
	v_min_u32_e32 v5, 32, v0
	v_subrev_nc_u32_e32 v0, 28, v5
	v_sub_nc_u32_e32 v5, 29, v5
	v_lshlrev_b64 v[0:1], v0, v[10:11]
	v_and_b32_e32 v0, 7, v0
; %bb.1503:                             ;   in Loop: Header=BB216_15 Depth=1
	s_or_b32 exec_lo, exec_lo, s21
	v_lshlrev_b32_e32 v1, 16, v4
	v_lshlrev_b32_e32 v0, 20, v0
	v_lshl_add_u32 v5, v5, 23, 0x3c000000
	v_and_b32_e32 v1, 0x80000000, v1
	v_or3_b32 v1, v0, v1, v5
	v_mov_b32_e32 v0, v11
	buffer_store_dword v0, off, s[0:3], s32 offset:1708 ; 4-byte Folded Spill
	buffer_store_dword v1, off, s[0:3], s32 offset:1712 ; 4-byte Folded Spill
.LBB216_1504:                           ;   in Loop: Header=BB216_15 Depth=1
	s_or_b32 exec_lo, exec_lo, s20
.LBB216_1505:                           ;   in Loop: Header=BB216_15 Depth=1
	s_or_b32 exec_lo, exec_lo, s19
.LBB216_1506:                           ;   in Loop: Header=BB216_15 Depth=1
	s_or_b32 exec_lo, exec_lo, s18
	v_mov_b32_e32 v5, 0
	v_mov_b32_e32 v6, 0
	v_mov_b32_e32 v0, 0xff
	s_mov_b32 s18, exec_lo
	buffer_store_dword v5, off, s[0:3], s32 offset:1716 ; 4-byte Folded Spill
	buffer_store_dword v6, off, s[0:3], s32 offset:1720 ; 4-byte Folded Spill
	v_mov_b32_e32 v5, 0
	v_and_b32_sdwa v0, v4, v0 dst_sel:DWORD dst_unused:UNUSED_PAD src0_sel:WORD_1 src1_sel:DWORD
	v_mov_b32_e32 v6, 0
	buffer_store_dword v5, off, s[0:3], s32 offset:1724 ; 4-byte Folded Spill
	buffer_store_dword v6, off, s[0:3], s32 offset:1728 ; 4-byte Folded Spill
	v_cmpx_ne_u16_e32 0, v0
	s_cbranch_execz .LBB216_1514
; %bb.1507:                             ;   in Loop: Header=BB216_15 Depth=1
	v_cmp_ne_u16_e64 s5, 0x80, v0
	v_bfrev_b32_e32 v0, 1
	v_mov_b32_e32 v1, 0
	buffer_store_dword v0, off, s[0:3], s32 offset:1724 ; 4-byte Folded Spill
	buffer_store_dword v1, off, s[0:3], s32 offset:1728 ; 4-byte Folded Spill
	s_and_saveexec_b32 s19, s5
	s_cbranch_execz .LBB216_1513
; %bb.1508:                             ;   in Loop: Header=BB216_15 Depth=1
	v_mov_b32_e32 v5, 0x7f800001
	v_bfe_u32 v0, v4, 16, 7
	v_mov_b32_e32 v6, 0
	s_mov_b32 s20, exec_lo
	buffer_store_dword v5, off, s[0:3], s32 offset:1724 ; 4-byte Folded Spill
	buffer_store_dword v6, off, s[0:3], s32 offset:1728 ; 4-byte Folded Spill
	v_cmpx_ne_u32_e32 0x7f, v0
	s_cbranch_execz .LBB216_1512
; %bb.1509:                             ;   in Loop: Header=BB216_15 Depth=1
	v_mov_b32_e32 v1, 7
	v_lshrrev_b32_e32 v5, 3, v0
	v_cmp_gt_u32_e64 s5, 8, v0
	v_and_b32_sdwa v10, v4, v1 dst_sel:DWORD dst_unused:UNUSED_PAD src0_sel:WORD_1 src1_sel:DWORD
	v_mov_b32_e32 v0, v10
	v_mov_b32_e32 v1, v11
	s_and_saveexec_b32 s21, s5
; %bb.1510:                             ;   in Loop: Header=BB216_15 Depth=1
	v_ffbh_u32_e32 v0, v10
	v_min_u32_e32 v5, 32, v0
	v_subrev_nc_u32_e32 v0, 28, v5
	v_sub_nc_u32_e32 v5, 29, v5
	v_lshlrev_b64 v[0:1], v0, v[10:11]
	v_and_b32_e32 v0, 7, v0
; %bb.1511:                             ;   in Loop: Header=BB216_15 Depth=1
	s_or_b32 exec_lo, exec_lo, s21
	v_mov_b32_e32 v1, 24
	v_lshlrev_b32_e32 v0, 20, v0
	v_lshl_add_u32 v5, v5, 23, 0x3c000000
	v_lshlrev_b32_sdwa v1, v1, v4 dst_sel:DWORD dst_unused:UNUSED_PAD src0_sel:DWORD src1_sel:WORD_1
	v_and_b32_e32 v1, 0x80000000, v1
	v_or3_b32 v10, v0, v1, v5
	buffer_store_dword v10, off, s[0:3], s32 offset:1724 ; 4-byte Folded Spill
	buffer_store_dword v11, off, s[0:3], s32 offset:1728 ; 4-byte Folded Spill
.LBB216_1512:                           ;   in Loop: Header=BB216_15 Depth=1
	s_or_b32 exec_lo, exec_lo, s20
.LBB216_1513:                           ;   in Loop: Header=BB216_15 Depth=1
	s_or_b32 exec_lo, exec_lo, s19
.LBB216_1514:                           ;   in Loop: Header=BB216_15 Depth=1
	s_or_b32 exec_lo, exec_lo, s18
	s_mov_b32 s18, exec_lo
	v_cmpx_lt_u32_e32 0xffffff, v4
	s_cbranch_execz .LBB216_1522
; %bb.1515:                             ;   in Loop: Header=BB216_15 Depth=1
	v_mov_b32_e32 v0, 0x80
	v_mov_b32_e32 v115, v11
	buffer_store_dword v115, off, s[0:3], s32 offset:1716 ; 4-byte Folded Spill
	buffer_store_dword v116, off, s[0:3], s32 offset:1720 ; 4-byte Folded Spill
	v_cmp_ne_u32_sdwa s5, v4, v0 src0_sel:BYTE_3 src1_sel:DWORD
	s_and_saveexec_b32 s19, s5
	s_cbranch_execz .LBB216_1521
; %bb.1516:                             ;   in Loop: Header=BB216_15 Depth=1
	s_clause 0x1
	buffer_load_dword v5, off, s[0:3], s32 offset:192
	buffer_load_dword v6, off, s[0:3], s32 offset:196
	v_bfe_u32 v0, v4, 24, 7
	s_waitcnt vmcnt(1)
	v_mov_b32_e32 v5, v11
	s_mov_b32 s20, exec_lo
	s_waitcnt vmcnt(0)
	v_mov_b32_e32 v1, v6
	buffer_store_dword v0, off, s[0:3], s32 offset:192 ; 4-byte Folded Spill
	buffer_store_dword v1, off, s[0:3], s32 offset:196 ; 4-byte Folded Spill
	;; [unrolled: 1-line block ×4, first 2 shown]
	v_cmpx_ne_u32_e32 0x7f, v0
	s_cbranch_execz .LBB216_1520
; %bb.1517:                             ;   in Loop: Header=BB216_15 Depth=1
	v_mov_b32_e32 v1, 7
	v_lshrrev_b32_e32 v5, 3, v0
	v_cmp_gt_u32_e64 s5, 8, v0
	v_and_b32_sdwa v10, v4, v1 dst_sel:DWORD dst_unused:UNUSED_PAD src0_sel:BYTE_3 src1_sel:DWORD
	v_mov_b32_e32 v0, v10
	v_mov_b32_e32 v1, v11
	s_and_saveexec_b32 s21, s5
; %bb.1518:                             ;   in Loop: Header=BB216_15 Depth=1
	v_ffbh_u32_e32 v0, v10
	v_min_u32_e32 v5, 32, v0
	v_subrev_nc_u32_e32 v0, 28, v5
	v_sub_nc_u32_e32 v5, 29, v5
	v_lshlrev_b64 v[0:1], v0, v[10:11]
	v_and_b32_e32 v0, 7, v0
; %bb.1519:                             ;   in Loop: Header=BB216_15 Depth=1
	s_or_b32 exec_lo, exec_lo, s21
	v_mov_b32_e32 v1, 24
	v_lshlrev_b32_e32 v0, 20, v0
	v_lshlrev_b32_sdwa v1, v1, v4 dst_sel:DWORD dst_unused:UNUSED_PAD src0_sel:DWORD src1_sel:BYTE_3
	v_lshl_add_u32 v4, v5, 23, 0x3c000000
	v_and_b32_e32 v1, 0x80000000, v1
	v_or3_b32 v1, v0, v1, v4
	v_mov_b32_e32 v0, v11
	buffer_store_dword v0, off, s[0:3], s32 offset:1716 ; 4-byte Folded Spill
	buffer_store_dword v1, off, s[0:3], s32 offset:1720 ; 4-byte Folded Spill
.LBB216_1520:                           ;   in Loop: Header=BB216_15 Depth=1
	s_or_b32 exec_lo, exec_lo, s20
.LBB216_1521:                           ;   in Loop: Header=BB216_15 Depth=1
	s_or_b32 exec_lo, exec_lo, s19
.LBB216_1522:                           ;   in Loop: Header=BB216_15 Depth=1
	s_or_b32 exec_lo, exec_lo, s18
	flat_load_dword v2, v[2:3] offset:1548
	v_mov_b32_e32 v0, 0
	v_mov_b32_e32 v1, 0
	buffer_store_dword v0, off, s[0:3], s32 offset:1740 ; 4-byte Folded Spill
	buffer_store_dword v1, off, s[0:3], s32 offset:1744 ; 4-byte Folded Spill
	v_mov_b32_e32 v0, 0
	v_mov_b32_e32 v1, 0
	buffer_store_dword v0, off, s[0:3], s32 offset:1732 ; 4-byte Folded Spill
	buffer_store_dword v1, off, s[0:3], s32 offset:1736 ; 4-byte Folded Spill
	s_waitcnt vmcnt(0) lgkmcnt(0)
	v_cmp_ne_u16_sdwa s5, v2, v11 src0_sel:BYTE_0 src1_sel:DWORD
	s_and_saveexec_b32 s18, s5
	s_cbranch_execz .LBB216_1530
; %bb.1523:                             ;   in Loop: Header=BB216_15 Depth=1
	v_bfrev_b32_e32 v0, 1
	v_mov_b32_e32 v1, 0
	buffer_store_dword v0, off, s[0:3], s32 offset:1732 ; 4-byte Folded Spill
	buffer_store_dword v1, off, s[0:3], s32 offset:1736 ; 4-byte Folded Spill
	v_mov_b32_e32 v0, 0x80
	v_cmp_ne_u16_sdwa s5, v2, v0 src0_sel:BYTE_0 src1_sel:DWORD
	s_and_saveexec_b32 s19, s5
	s_cbranch_execz .LBB216_1529
; %bb.1524:                             ;   in Loop: Header=BB216_15 Depth=1
	v_mov_b32_e32 v3, 0x7f800001
	v_and_b32_e32 v0, 0x7f, v2
	v_mov_b32_e32 v4, 0
	s_mov_b32 s20, exec_lo
	buffer_store_dword v3, off, s[0:3], s32 offset:1732 ; 4-byte Folded Spill
	buffer_store_dword v4, off, s[0:3], s32 offset:1736 ; 4-byte Folded Spill
	v_cmpx_ne_u32_e32 0x7f, v0
	s_cbranch_execz .LBB216_1528
; %bb.1525:                             ;   in Loop: Header=BB216_15 Depth=1
	v_and_b32_e32 v10, 7, v2
	v_lshrrev_b32_e32 v3, 3, v0
	v_cmp_gt_u32_e64 s5, 8, v0
	v_mov_b32_e32 v0, v10
	v_mov_b32_e32 v1, v11
	s_and_saveexec_b32 s21, s5
; %bb.1526:                             ;   in Loop: Header=BB216_15 Depth=1
	v_ffbh_u32_e32 v0, v10
	v_min_u32_e32 v3, 32, v0
	v_subrev_nc_u32_e32 v0, 28, v3
	v_sub_nc_u32_e32 v3, 29, v3
	v_lshlrev_b64 v[0:1], v0, v[10:11]
	v_and_b32_e32 v0, 7, v0
; %bb.1527:                             ;   in Loop: Header=BB216_15 Depth=1
	s_or_b32 exec_lo, exec_lo, s21
	v_lshlrev_b32_e32 v1, 24, v2
	v_lshlrev_b32_e32 v0, 20, v0
	v_lshl_add_u32 v3, v3, 23, 0x3c000000
	v_and_b32_e32 v1, 0x80000000, v1
	v_or3_b32 v10, v0, v1, v3
	buffer_store_dword v10, off, s[0:3], s32 offset:1732 ; 4-byte Folded Spill
	buffer_store_dword v11, off, s[0:3], s32 offset:1736 ; 4-byte Folded Spill
.LBB216_1528:                           ;   in Loop: Header=BB216_15 Depth=1
	s_or_b32 exec_lo, exec_lo, s20
.LBB216_1529:                           ;   in Loop: Header=BB216_15 Depth=1
	s_or_b32 exec_lo, exec_lo, s19
.LBB216_1530:                           ;   in Loop: Header=BB216_15 Depth=1
	s_or_b32 exec_lo, exec_lo, s18
	v_cmp_ne_u16_sdwa s5, v2, v11 src0_sel:BYTE_1 src1_sel:DWORD
	s_and_saveexec_b32 s18, s5
	s_cbranch_execz .LBB216_1538
; %bb.1531:                             ;   in Loop: Header=BB216_15 Depth=1
	v_mov_b32_e32 v0, 0x80
	v_mov_b32_e32 v115, v11
	buffer_store_dword v115, off, s[0:3], s32 offset:1740 ; 4-byte Folded Spill
	buffer_store_dword v116, off, s[0:3], s32 offset:1744 ; 4-byte Folded Spill
	v_cmp_ne_u16_sdwa s5, v2, v0 src0_sel:BYTE_1 src1_sel:DWORD
	s_and_saveexec_b32 s19, s5
	s_cbranch_execz .LBB216_1537
; %bb.1532:                             ;   in Loop: Header=BB216_15 Depth=1
	s_clause 0x1
	buffer_load_dword v3, off, s[0:3], s32 offset:192
	buffer_load_dword v4, off, s[0:3], s32 offset:196
	v_mov_b32_e32 v0, 0xffff
	s_mov_b32 s20, exec_lo
	v_and_b32_sdwa v1, v0, v2 dst_sel:DWORD dst_unused:UNUSED_PAD src0_sel:DWORD src1_sel:BYTE_1
	v_and_b32_e32 v0, 0x7f, v1
	s_waitcnt vmcnt(0)
	v_mov_b32_e32 v5, v4
	v_mov_b32_e32 v4, v11
	;; [unrolled: 1-line block ×3, first 2 shown]
	buffer_store_dword v2, off, s[0:3], s32 offset:192 ; 4-byte Folded Spill
	buffer_store_dword v3, off, s[0:3], s32 offset:196 ; 4-byte Folded Spill
	;; [unrolled: 1-line block ×4, first 2 shown]
	v_cmpx_ne_u32_e32 0x7f, v0
	s_cbranch_execz .LBB216_1536
; %bb.1533:                             ;   in Loop: Header=BB216_15 Depth=1
	v_and_b32_e32 v10, 7, v1
	v_lshrrev_b32_e32 v3, 3, v0
	v_cmp_gt_u32_e64 s5, 8, v0
	v_mov_b32_e32 v0, v10
	v_mov_b32_e32 v1, v11
	s_and_saveexec_b32 s21, s5
; %bb.1534:                             ;   in Loop: Header=BB216_15 Depth=1
	v_ffbh_u32_e32 v0, v10
	v_min_u32_e32 v3, 32, v0
	v_subrev_nc_u32_e32 v0, 28, v3
	v_sub_nc_u32_e32 v3, 29, v3
	v_lshlrev_b64 v[0:1], v0, v[10:11]
	v_and_b32_e32 v0, 7, v0
; %bb.1535:                             ;   in Loop: Header=BB216_15 Depth=1
	s_or_b32 exec_lo, exec_lo, s21
	v_lshlrev_b32_e32 v1, 16, v2
	v_lshlrev_b32_e32 v0, 20, v0
	v_lshl_add_u32 v3, v3, 23, 0x3c000000
	v_and_b32_e32 v1, 0x80000000, v1
	v_or3_b32 v1, v0, v1, v3
	v_mov_b32_e32 v0, v11
	buffer_store_dword v0, off, s[0:3], s32 offset:1740 ; 4-byte Folded Spill
	buffer_store_dword v1, off, s[0:3], s32 offset:1744 ; 4-byte Folded Spill
.LBB216_1536:                           ;   in Loop: Header=BB216_15 Depth=1
	s_or_b32 exec_lo, exec_lo, s20
.LBB216_1537:                           ;   in Loop: Header=BB216_15 Depth=1
	s_or_b32 exec_lo, exec_lo, s19
.LBB216_1538:                           ;   in Loop: Header=BB216_15 Depth=1
	s_or_b32 exec_lo, exec_lo, s18
	v_mov_b32_e32 v3, 0
	v_mov_b32_e32 v4, 0
	;; [unrolled: 1-line block ×3, first 2 shown]
	s_mov_b32 s18, exec_lo
	buffer_store_dword v3, off, s[0:3], s32 offset:1748 ; 4-byte Folded Spill
	buffer_store_dword v4, off, s[0:3], s32 offset:1752 ; 4-byte Folded Spill
	v_mov_b32_e32 v3, 0
	v_and_b32_sdwa v0, v2, v0 dst_sel:DWORD dst_unused:UNUSED_PAD src0_sel:WORD_1 src1_sel:DWORD
	v_mov_b32_e32 v4, 0
	buffer_store_dword v3, off, s[0:3], s32 offset:1756 ; 4-byte Folded Spill
	buffer_store_dword v4, off, s[0:3], s32 offset:1760 ; 4-byte Folded Spill
	v_cmpx_ne_u16_e32 0, v0
	s_cbranch_execz .LBB216_1546
; %bb.1539:                             ;   in Loop: Header=BB216_15 Depth=1
	v_cmp_ne_u16_e64 s5, 0x80, v0
	v_bfrev_b32_e32 v0, 1
	v_mov_b32_e32 v1, 0
	buffer_store_dword v0, off, s[0:3], s32 offset:1756 ; 4-byte Folded Spill
	buffer_store_dword v1, off, s[0:3], s32 offset:1760 ; 4-byte Folded Spill
	s_and_saveexec_b32 s19, s5
	s_cbranch_execz .LBB216_1545
; %bb.1540:                             ;   in Loop: Header=BB216_15 Depth=1
	v_mov_b32_e32 v3, 0x7f800001
	v_bfe_u32 v0, v2, 16, 7
	v_mov_b32_e32 v4, 0
	s_mov_b32 s20, exec_lo
	buffer_store_dword v3, off, s[0:3], s32 offset:1756 ; 4-byte Folded Spill
	buffer_store_dword v4, off, s[0:3], s32 offset:1760 ; 4-byte Folded Spill
	v_cmpx_ne_u32_e32 0x7f, v0
	s_cbranch_execz .LBB216_1544
; %bb.1541:                             ;   in Loop: Header=BB216_15 Depth=1
	v_mov_b32_e32 v1, 7
	v_lshrrev_b32_e32 v3, 3, v0
	v_cmp_gt_u32_e64 s5, 8, v0
	v_and_b32_sdwa v10, v2, v1 dst_sel:DWORD dst_unused:UNUSED_PAD src0_sel:WORD_1 src1_sel:DWORD
	v_mov_b32_e32 v0, v10
	v_mov_b32_e32 v1, v11
	s_and_saveexec_b32 s21, s5
; %bb.1542:                             ;   in Loop: Header=BB216_15 Depth=1
	v_ffbh_u32_e32 v0, v10
	v_min_u32_e32 v3, 32, v0
	v_subrev_nc_u32_e32 v0, 28, v3
	v_sub_nc_u32_e32 v3, 29, v3
	v_lshlrev_b64 v[0:1], v0, v[10:11]
	v_and_b32_e32 v0, 7, v0
; %bb.1543:                             ;   in Loop: Header=BB216_15 Depth=1
	s_or_b32 exec_lo, exec_lo, s21
	v_mov_b32_e32 v1, 24
	v_lshlrev_b32_e32 v0, 20, v0
	v_lshl_add_u32 v3, v3, 23, 0x3c000000
	v_lshlrev_b32_sdwa v1, v1, v2 dst_sel:DWORD dst_unused:UNUSED_PAD src0_sel:DWORD src1_sel:WORD_1
	v_and_b32_e32 v1, 0x80000000, v1
	v_or3_b32 v10, v0, v1, v3
	buffer_store_dword v10, off, s[0:3], s32 offset:1756 ; 4-byte Folded Spill
	buffer_store_dword v11, off, s[0:3], s32 offset:1760 ; 4-byte Folded Spill
.LBB216_1544:                           ;   in Loop: Header=BB216_15 Depth=1
	s_or_b32 exec_lo, exec_lo, s20
.LBB216_1545:                           ;   in Loop: Header=BB216_15 Depth=1
	s_or_b32 exec_lo, exec_lo, s19
.LBB216_1546:                           ;   in Loop: Header=BB216_15 Depth=1
	s_or_b32 exec_lo, exec_lo, s18
	s_mov_b32 s18, exec_lo
	v_cmpx_lt_u32_e32 0xffffff, v2
	s_cbranch_execz .LBB216_1554
; %bb.1547:                             ;   in Loop: Header=BB216_15 Depth=1
	v_mov_b32_e32 v0, 0x80
	v_mov_b32_e32 v115, v11
	buffer_store_dword v115, off, s[0:3], s32 offset:1748 ; 4-byte Folded Spill
	buffer_store_dword v116, off, s[0:3], s32 offset:1752 ; 4-byte Folded Spill
	v_cmp_ne_u32_sdwa s5, v2, v0 src0_sel:BYTE_3 src1_sel:DWORD
	s_and_saveexec_b32 s19, s5
	s_cbranch_execz .LBB216_1553
; %bb.1548:                             ;   in Loop: Header=BB216_15 Depth=1
	s_clause 0x1
	buffer_load_dword v3, off, s[0:3], s32 offset:192
	buffer_load_dword v4, off, s[0:3], s32 offset:196
	v_bfe_u32 v0, v2, 24, 7
	s_waitcnt vmcnt(1)
	v_mov_b32_e32 v3, v11
	s_mov_b32 s20, exec_lo
	s_waitcnt vmcnt(0)
	v_mov_b32_e32 v1, v4
	buffer_store_dword v0, off, s[0:3], s32 offset:192 ; 4-byte Folded Spill
	buffer_store_dword v1, off, s[0:3], s32 offset:196 ; 4-byte Folded Spill
	;; [unrolled: 1-line block ×4, first 2 shown]
	v_cmpx_ne_u32_e32 0x7f, v0
	s_cbranch_execz .LBB216_1552
; %bb.1549:                             ;   in Loop: Header=BB216_15 Depth=1
	v_mov_b32_e32 v1, 7
	v_lshrrev_b32_e32 v3, 3, v0
	v_cmp_gt_u32_e64 s5, 8, v0
	v_and_b32_sdwa v10, v2, v1 dst_sel:DWORD dst_unused:UNUSED_PAD src0_sel:BYTE_3 src1_sel:DWORD
	v_mov_b32_e32 v0, v10
	v_mov_b32_e32 v1, v11
	s_and_saveexec_b32 s21, s5
; %bb.1550:                             ;   in Loop: Header=BB216_15 Depth=1
	v_ffbh_u32_e32 v0, v10
	v_min_u32_e32 v3, 32, v0
	v_subrev_nc_u32_e32 v0, 28, v3
	v_sub_nc_u32_e32 v3, 29, v3
	v_lshlrev_b64 v[0:1], v0, v[10:11]
	v_and_b32_e32 v0, 7, v0
; %bb.1551:                             ;   in Loop: Header=BB216_15 Depth=1
	s_or_b32 exec_lo, exec_lo, s21
	v_mov_b32_e32 v1, 24
	v_lshlrev_b32_e32 v0, 20, v0
	v_lshlrev_b32_sdwa v1, v1, v2 dst_sel:DWORD dst_unused:UNUSED_PAD src0_sel:DWORD src1_sel:BYTE_3
	v_lshl_add_u32 v2, v3, 23, 0x3c000000
	v_and_b32_e32 v1, 0x80000000, v1
	v_or3_b32 v1, v0, v1, v2
	v_mov_b32_e32 v0, v11
	buffer_store_dword v0, off, s[0:3], s32 offset:1748 ; 4-byte Folded Spill
	buffer_store_dword v1, off, s[0:3], s32 offset:1752 ; 4-byte Folded Spill
.LBB216_1552:                           ;   in Loop: Header=BB216_15 Depth=1
	s_or_b32 exec_lo, exec_lo, s20
.LBB216_1553:                           ;   in Loop: Header=BB216_15 Depth=1
	s_or_b32 exec_lo, exec_lo, s19
.LBB216_1554:                           ;   in Loop: Header=BB216_15 Depth=1
	s_or_b32 exec_lo, exec_lo, s18
	v_add_co_u32 v60, s5, 0x1800, v112
	v_add_co_ci_u32_e64 v61, null, 0, v113, s5
	v_mov_b32_e32 v0, 0
	v_mov_b32_e32 v1, 0
	flat_load_dword v2, v[60:61]
	buffer_store_dword v0, off, s[0:3], s32 offset:1772 ; 4-byte Folded Spill
	buffer_store_dword v1, off, s[0:3], s32 offset:1776 ; 4-byte Folded Spill
	v_mov_b32_e32 v0, 0
	v_mov_b32_e32 v1, 0
	buffer_store_dword v0, off, s[0:3], s32 offset:1764 ; 4-byte Folded Spill
	buffer_store_dword v1, off, s[0:3], s32 offset:1768 ; 4-byte Folded Spill
	s_waitcnt vmcnt(0) lgkmcnt(0)
	v_cmp_ne_u16_sdwa s5, v2, v11 src0_sel:BYTE_0 src1_sel:DWORD
	s_and_saveexec_b32 s18, s5
	s_cbranch_execz .LBB216_1562
; %bb.1555:                             ;   in Loop: Header=BB216_15 Depth=1
	v_bfrev_b32_e32 v0, 1
	v_mov_b32_e32 v1, 0
	buffer_store_dword v0, off, s[0:3], s32 offset:1764 ; 4-byte Folded Spill
	buffer_store_dword v1, off, s[0:3], s32 offset:1768 ; 4-byte Folded Spill
	v_mov_b32_e32 v0, 0x80
	v_cmp_ne_u16_sdwa s5, v2, v0 src0_sel:BYTE_0 src1_sel:DWORD
	s_and_saveexec_b32 s19, s5
	s_cbranch_execz .LBB216_1561
; %bb.1556:                             ;   in Loop: Header=BB216_15 Depth=1
	v_mov_b32_e32 v3, 0x7f800001
	v_and_b32_e32 v0, 0x7f, v2
	v_mov_b32_e32 v4, 0
	s_mov_b32 s20, exec_lo
	buffer_store_dword v3, off, s[0:3], s32 offset:1764 ; 4-byte Folded Spill
	buffer_store_dword v4, off, s[0:3], s32 offset:1768 ; 4-byte Folded Spill
	v_cmpx_ne_u32_e32 0x7f, v0
	s_cbranch_execz .LBB216_1560
; %bb.1557:                             ;   in Loop: Header=BB216_15 Depth=1
	v_and_b32_e32 v10, 7, v2
	v_lshrrev_b32_e32 v3, 3, v0
	v_cmp_gt_u32_e64 s5, 8, v0
	v_mov_b32_e32 v0, v10
	v_mov_b32_e32 v1, v11
	s_and_saveexec_b32 s21, s5
; %bb.1558:                             ;   in Loop: Header=BB216_15 Depth=1
	v_ffbh_u32_e32 v0, v10
	v_min_u32_e32 v3, 32, v0
	v_subrev_nc_u32_e32 v0, 28, v3
	v_sub_nc_u32_e32 v3, 29, v3
	v_lshlrev_b64 v[0:1], v0, v[10:11]
	v_and_b32_e32 v0, 7, v0
; %bb.1559:                             ;   in Loop: Header=BB216_15 Depth=1
	s_or_b32 exec_lo, exec_lo, s21
	v_lshlrev_b32_e32 v1, 24, v2
	v_lshlrev_b32_e32 v0, 20, v0
	v_lshl_add_u32 v3, v3, 23, 0x3c000000
	v_and_b32_e32 v1, 0x80000000, v1
	v_or3_b32 v10, v0, v1, v3
	buffer_store_dword v10, off, s[0:3], s32 offset:1764 ; 4-byte Folded Spill
	buffer_store_dword v11, off, s[0:3], s32 offset:1768 ; 4-byte Folded Spill
.LBB216_1560:                           ;   in Loop: Header=BB216_15 Depth=1
	s_or_b32 exec_lo, exec_lo, s20
.LBB216_1561:                           ;   in Loop: Header=BB216_15 Depth=1
	s_or_b32 exec_lo, exec_lo, s19
.LBB216_1562:                           ;   in Loop: Header=BB216_15 Depth=1
	s_or_b32 exec_lo, exec_lo, s18
	v_cmp_ne_u16_sdwa s5, v2, v11 src0_sel:BYTE_1 src1_sel:DWORD
	s_and_saveexec_b32 s18, s5
	s_cbranch_execz .LBB216_1570
; %bb.1563:                             ;   in Loop: Header=BB216_15 Depth=1
	v_mov_b32_e32 v0, 0x80
	v_mov_b32_e32 v115, v11
	buffer_store_dword v115, off, s[0:3], s32 offset:1772 ; 4-byte Folded Spill
	buffer_store_dword v116, off, s[0:3], s32 offset:1776 ; 4-byte Folded Spill
	v_cmp_ne_u16_sdwa s5, v2, v0 src0_sel:BYTE_1 src1_sel:DWORD
	s_and_saveexec_b32 s19, s5
	s_cbranch_execz .LBB216_1569
; %bb.1564:                             ;   in Loop: Header=BB216_15 Depth=1
	s_clause 0x1
	buffer_load_dword v3, off, s[0:3], s32 offset:192
	buffer_load_dword v4, off, s[0:3], s32 offset:196
	v_mov_b32_e32 v0, 0xffff
	s_mov_b32 s20, exec_lo
	v_and_b32_sdwa v1, v0, v2 dst_sel:DWORD dst_unused:UNUSED_PAD src0_sel:DWORD src1_sel:BYTE_1
	v_and_b32_e32 v0, 0x7f, v1
	s_waitcnt vmcnt(0)
	v_mov_b32_e32 v5, v4
	v_mov_b32_e32 v4, v11
	v_mov_b32_e32 v3, v5
	buffer_store_dword v2, off, s[0:3], s32 offset:192 ; 4-byte Folded Spill
	buffer_store_dword v3, off, s[0:3], s32 offset:196 ; 4-byte Folded Spill
	buffer_store_dword v4, off, s[0:3], s32 offset:1772 ; 4-byte Folded Spill
	buffer_store_dword v5, off, s[0:3], s32 offset:1776 ; 4-byte Folded Spill
	v_cmpx_ne_u32_e32 0x7f, v0
	s_cbranch_execz .LBB216_1568
; %bb.1565:                             ;   in Loop: Header=BB216_15 Depth=1
	v_and_b32_e32 v10, 7, v1
	v_lshrrev_b32_e32 v3, 3, v0
	v_cmp_gt_u32_e64 s5, 8, v0
	v_mov_b32_e32 v0, v10
	v_mov_b32_e32 v1, v11
	s_and_saveexec_b32 s21, s5
; %bb.1566:                             ;   in Loop: Header=BB216_15 Depth=1
	v_ffbh_u32_e32 v0, v10
	v_min_u32_e32 v3, 32, v0
	v_subrev_nc_u32_e32 v0, 28, v3
	v_sub_nc_u32_e32 v3, 29, v3
	v_lshlrev_b64 v[0:1], v0, v[10:11]
	v_and_b32_e32 v0, 7, v0
; %bb.1567:                             ;   in Loop: Header=BB216_15 Depth=1
	s_or_b32 exec_lo, exec_lo, s21
	v_lshlrev_b32_e32 v1, 16, v2
	v_lshlrev_b32_e32 v0, 20, v0
	v_lshl_add_u32 v3, v3, 23, 0x3c000000
	v_and_b32_e32 v1, 0x80000000, v1
	v_or3_b32 v1, v0, v1, v3
	v_mov_b32_e32 v0, v11
	buffer_store_dword v0, off, s[0:3], s32 offset:1772 ; 4-byte Folded Spill
	buffer_store_dword v1, off, s[0:3], s32 offset:1776 ; 4-byte Folded Spill
.LBB216_1568:                           ;   in Loop: Header=BB216_15 Depth=1
	s_or_b32 exec_lo, exec_lo, s20
.LBB216_1569:                           ;   in Loop: Header=BB216_15 Depth=1
	s_or_b32 exec_lo, exec_lo, s19
.LBB216_1570:                           ;   in Loop: Header=BB216_15 Depth=1
	s_or_b32 exec_lo, exec_lo, s18
	v_mov_b32_e32 v3, 0
	v_mov_b32_e32 v4, 0
	;; [unrolled: 1-line block ×3, first 2 shown]
	s_mov_b32 s18, exec_lo
	buffer_store_dword v3, off, s[0:3], s32 offset:1780 ; 4-byte Folded Spill
	buffer_store_dword v4, off, s[0:3], s32 offset:1784 ; 4-byte Folded Spill
	v_mov_b32_e32 v3, 0
	v_and_b32_sdwa v0, v2, v0 dst_sel:DWORD dst_unused:UNUSED_PAD src0_sel:WORD_1 src1_sel:DWORD
	v_mov_b32_e32 v4, 0
	buffer_store_dword v3, off, s[0:3], s32 offset:1788 ; 4-byte Folded Spill
	buffer_store_dword v4, off, s[0:3], s32 offset:1792 ; 4-byte Folded Spill
	v_cmpx_ne_u16_e32 0, v0
	s_cbranch_execz .LBB216_1578
; %bb.1571:                             ;   in Loop: Header=BB216_15 Depth=1
	v_cmp_ne_u16_e64 s5, 0x80, v0
	v_bfrev_b32_e32 v0, 1
	v_mov_b32_e32 v1, 0
	buffer_store_dword v0, off, s[0:3], s32 offset:1788 ; 4-byte Folded Spill
	buffer_store_dword v1, off, s[0:3], s32 offset:1792 ; 4-byte Folded Spill
	s_and_saveexec_b32 s19, s5
	s_cbranch_execz .LBB216_1577
; %bb.1572:                             ;   in Loop: Header=BB216_15 Depth=1
	v_mov_b32_e32 v3, 0x7f800001
	v_bfe_u32 v0, v2, 16, 7
	v_mov_b32_e32 v4, 0
	s_mov_b32 s20, exec_lo
	buffer_store_dword v3, off, s[0:3], s32 offset:1788 ; 4-byte Folded Spill
	buffer_store_dword v4, off, s[0:3], s32 offset:1792 ; 4-byte Folded Spill
	v_cmpx_ne_u32_e32 0x7f, v0
	s_cbranch_execz .LBB216_1576
; %bb.1573:                             ;   in Loop: Header=BB216_15 Depth=1
	v_mov_b32_e32 v1, 7
	v_lshrrev_b32_e32 v3, 3, v0
	v_cmp_gt_u32_e64 s5, 8, v0
	v_and_b32_sdwa v10, v2, v1 dst_sel:DWORD dst_unused:UNUSED_PAD src0_sel:WORD_1 src1_sel:DWORD
	v_mov_b32_e32 v0, v10
	v_mov_b32_e32 v1, v11
	s_and_saveexec_b32 s21, s5
; %bb.1574:                             ;   in Loop: Header=BB216_15 Depth=1
	v_ffbh_u32_e32 v0, v10
	v_min_u32_e32 v3, 32, v0
	v_subrev_nc_u32_e32 v0, 28, v3
	v_sub_nc_u32_e32 v3, 29, v3
	v_lshlrev_b64 v[0:1], v0, v[10:11]
	v_and_b32_e32 v0, 7, v0
; %bb.1575:                             ;   in Loop: Header=BB216_15 Depth=1
	s_or_b32 exec_lo, exec_lo, s21
	v_mov_b32_e32 v1, 24
	v_lshlrev_b32_e32 v0, 20, v0
	v_lshl_add_u32 v3, v3, 23, 0x3c000000
	v_lshlrev_b32_sdwa v1, v1, v2 dst_sel:DWORD dst_unused:UNUSED_PAD src0_sel:DWORD src1_sel:WORD_1
	v_and_b32_e32 v1, 0x80000000, v1
	v_or3_b32 v10, v0, v1, v3
	buffer_store_dword v10, off, s[0:3], s32 offset:1788 ; 4-byte Folded Spill
	buffer_store_dword v11, off, s[0:3], s32 offset:1792 ; 4-byte Folded Spill
.LBB216_1576:                           ;   in Loop: Header=BB216_15 Depth=1
	s_or_b32 exec_lo, exec_lo, s20
.LBB216_1577:                           ;   in Loop: Header=BB216_15 Depth=1
	s_or_b32 exec_lo, exec_lo, s19
.LBB216_1578:                           ;   in Loop: Header=BB216_15 Depth=1
	s_or_b32 exec_lo, exec_lo, s18
	s_mov_b32 s18, exec_lo
	v_cmpx_lt_u32_e32 0xffffff, v2
	s_cbranch_execz .LBB216_1586
; %bb.1579:                             ;   in Loop: Header=BB216_15 Depth=1
	v_mov_b32_e32 v0, 0x80
	v_mov_b32_e32 v115, v11
	buffer_store_dword v115, off, s[0:3], s32 offset:1780 ; 4-byte Folded Spill
	buffer_store_dword v116, off, s[0:3], s32 offset:1784 ; 4-byte Folded Spill
	v_cmp_ne_u32_sdwa s5, v2, v0 src0_sel:BYTE_3 src1_sel:DWORD
	s_and_saveexec_b32 s19, s5
	s_cbranch_execz .LBB216_1585
; %bb.1580:                             ;   in Loop: Header=BB216_15 Depth=1
	s_clause 0x1
	buffer_load_dword v3, off, s[0:3], s32 offset:192
	buffer_load_dword v4, off, s[0:3], s32 offset:196
	v_bfe_u32 v0, v2, 24, 7
	s_waitcnt vmcnt(1)
	v_mov_b32_e32 v3, v11
	s_mov_b32 s20, exec_lo
	s_waitcnt vmcnt(0)
	v_mov_b32_e32 v1, v4
	buffer_store_dword v0, off, s[0:3], s32 offset:192 ; 4-byte Folded Spill
	buffer_store_dword v1, off, s[0:3], s32 offset:196 ; 4-byte Folded Spill
	;; [unrolled: 1-line block ×4, first 2 shown]
	v_cmpx_ne_u32_e32 0x7f, v0
	s_cbranch_execz .LBB216_1584
; %bb.1581:                             ;   in Loop: Header=BB216_15 Depth=1
	v_mov_b32_e32 v1, 7
	v_lshrrev_b32_e32 v3, 3, v0
	v_cmp_gt_u32_e64 s5, 8, v0
	v_and_b32_sdwa v10, v2, v1 dst_sel:DWORD dst_unused:UNUSED_PAD src0_sel:BYTE_3 src1_sel:DWORD
	v_mov_b32_e32 v0, v10
	v_mov_b32_e32 v1, v11
	s_and_saveexec_b32 s21, s5
; %bb.1582:                             ;   in Loop: Header=BB216_15 Depth=1
	v_ffbh_u32_e32 v0, v10
	v_min_u32_e32 v3, 32, v0
	v_subrev_nc_u32_e32 v0, 28, v3
	v_sub_nc_u32_e32 v3, 29, v3
	v_lshlrev_b64 v[0:1], v0, v[10:11]
	v_and_b32_e32 v0, 7, v0
; %bb.1583:                             ;   in Loop: Header=BB216_15 Depth=1
	s_or_b32 exec_lo, exec_lo, s21
	v_mov_b32_e32 v1, 24
	v_lshlrev_b32_e32 v0, 20, v0
	v_lshlrev_b32_sdwa v1, v1, v2 dst_sel:DWORD dst_unused:UNUSED_PAD src0_sel:DWORD src1_sel:BYTE_3
	v_lshl_add_u32 v2, v3, 23, 0x3c000000
	v_and_b32_e32 v1, 0x80000000, v1
	v_or3_b32 v1, v0, v1, v2
	v_mov_b32_e32 v0, v11
	buffer_store_dword v0, off, s[0:3], s32 offset:1780 ; 4-byte Folded Spill
	buffer_store_dword v1, off, s[0:3], s32 offset:1784 ; 4-byte Folded Spill
.LBB216_1584:                           ;   in Loop: Header=BB216_15 Depth=1
	s_or_b32 exec_lo, exec_lo, s20
.LBB216_1585:                           ;   in Loop: Header=BB216_15 Depth=1
	s_or_b32 exec_lo, exec_lo, s19
.LBB216_1586:                           ;   in Loop: Header=BB216_15 Depth=1
	s_or_b32 exec_lo, exec_lo, s18
	flat_load_dword v2, v[60:61] offset:4
	v_mov_b32_e32 v0, 0
	v_mov_b32_e32 v1, 0
	buffer_store_dword v0, off, s[0:3], s32 offset:1804 ; 4-byte Folded Spill
	buffer_store_dword v1, off, s[0:3], s32 offset:1808 ; 4-byte Folded Spill
	v_mov_b32_e32 v0, 0
	v_mov_b32_e32 v1, 0
	buffer_store_dword v0, off, s[0:3], s32 offset:1796 ; 4-byte Folded Spill
	buffer_store_dword v1, off, s[0:3], s32 offset:1800 ; 4-byte Folded Spill
	s_waitcnt vmcnt(0) lgkmcnt(0)
	v_cmp_ne_u16_sdwa s5, v2, v11 src0_sel:BYTE_0 src1_sel:DWORD
	s_and_saveexec_b32 s18, s5
	s_cbranch_execz .LBB216_1594
; %bb.1587:                             ;   in Loop: Header=BB216_15 Depth=1
	v_bfrev_b32_e32 v0, 1
	v_mov_b32_e32 v1, 0
	buffer_store_dword v0, off, s[0:3], s32 offset:1796 ; 4-byte Folded Spill
	buffer_store_dword v1, off, s[0:3], s32 offset:1800 ; 4-byte Folded Spill
	v_mov_b32_e32 v0, 0x80
	v_cmp_ne_u16_sdwa s5, v2, v0 src0_sel:BYTE_0 src1_sel:DWORD
	s_and_saveexec_b32 s19, s5
	s_cbranch_execz .LBB216_1593
; %bb.1588:                             ;   in Loop: Header=BB216_15 Depth=1
	v_mov_b32_e32 v3, 0x7f800001
	v_and_b32_e32 v0, 0x7f, v2
	v_mov_b32_e32 v4, 0
	s_mov_b32 s20, exec_lo
	buffer_store_dword v3, off, s[0:3], s32 offset:1796 ; 4-byte Folded Spill
	buffer_store_dword v4, off, s[0:3], s32 offset:1800 ; 4-byte Folded Spill
	v_cmpx_ne_u32_e32 0x7f, v0
	s_cbranch_execz .LBB216_1592
; %bb.1589:                             ;   in Loop: Header=BB216_15 Depth=1
	v_and_b32_e32 v10, 7, v2
	v_lshrrev_b32_e32 v3, 3, v0
	v_cmp_gt_u32_e64 s5, 8, v0
	v_mov_b32_e32 v0, v10
	v_mov_b32_e32 v1, v11
	s_and_saveexec_b32 s21, s5
; %bb.1590:                             ;   in Loop: Header=BB216_15 Depth=1
	v_ffbh_u32_e32 v0, v10
	v_min_u32_e32 v3, 32, v0
	v_subrev_nc_u32_e32 v0, 28, v3
	v_sub_nc_u32_e32 v3, 29, v3
	v_lshlrev_b64 v[0:1], v0, v[10:11]
	v_and_b32_e32 v0, 7, v0
; %bb.1591:                             ;   in Loop: Header=BB216_15 Depth=1
	s_or_b32 exec_lo, exec_lo, s21
	v_lshlrev_b32_e32 v1, 24, v2
	v_lshlrev_b32_e32 v0, 20, v0
	v_lshl_add_u32 v3, v3, 23, 0x3c000000
	v_and_b32_e32 v1, 0x80000000, v1
	v_or3_b32 v10, v0, v1, v3
	buffer_store_dword v10, off, s[0:3], s32 offset:1796 ; 4-byte Folded Spill
	buffer_store_dword v11, off, s[0:3], s32 offset:1800 ; 4-byte Folded Spill
.LBB216_1592:                           ;   in Loop: Header=BB216_15 Depth=1
	s_or_b32 exec_lo, exec_lo, s20
.LBB216_1593:                           ;   in Loop: Header=BB216_15 Depth=1
	s_or_b32 exec_lo, exec_lo, s19
.LBB216_1594:                           ;   in Loop: Header=BB216_15 Depth=1
	s_or_b32 exec_lo, exec_lo, s18
	v_cmp_ne_u16_sdwa s5, v2, v11 src0_sel:BYTE_1 src1_sel:DWORD
	s_and_saveexec_b32 s18, s5
	s_cbranch_execz .LBB216_1602
; %bb.1595:                             ;   in Loop: Header=BB216_15 Depth=1
	v_mov_b32_e32 v0, 0x80
	v_mov_b32_e32 v115, v11
	buffer_store_dword v115, off, s[0:3], s32 offset:1804 ; 4-byte Folded Spill
	buffer_store_dword v116, off, s[0:3], s32 offset:1808 ; 4-byte Folded Spill
	v_cmp_ne_u16_sdwa s5, v2, v0 src0_sel:BYTE_1 src1_sel:DWORD
	s_and_saveexec_b32 s19, s5
	s_cbranch_execz .LBB216_1601
; %bb.1596:                             ;   in Loop: Header=BB216_15 Depth=1
	s_clause 0x1
	buffer_load_dword v3, off, s[0:3], s32 offset:192
	buffer_load_dword v4, off, s[0:3], s32 offset:196
	v_mov_b32_e32 v0, 0xffff
	s_mov_b32 s20, exec_lo
	v_and_b32_sdwa v1, v0, v2 dst_sel:DWORD dst_unused:UNUSED_PAD src0_sel:DWORD src1_sel:BYTE_1
	v_and_b32_e32 v0, 0x7f, v1
	s_waitcnt vmcnt(0)
	v_mov_b32_e32 v5, v4
	v_mov_b32_e32 v4, v11
	;; [unrolled: 1-line block ×3, first 2 shown]
	buffer_store_dword v2, off, s[0:3], s32 offset:192 ; 4-byte Folded Spill
	buffer_store_dword v3, off, s[0:3], s32 offset:196 ; 4-byte Folded Spill
	;; [unrolled: 1-line block ×4, first 2 shown]
	v_cmpx_ne_u32_e32 0x7f, v0
	s_cbranch_execz .LBB216_1600
; %bb.1597:                             ;   in Loop: Header=BB216_15 Depth=1
	v_and_b32_e32 v10, 7, v1
	v_lshrrev_b32_e32 v3, 3, v0
	v_cmp_gt_u32_e64 s5, 8, v0
	v_mov_b32_e32 v0, v10
	v_mov_b32_e32 v1, v11
	s_and_saveexec_b32 s21, s5
; %bb.1598:                             ;   in Loop: Header=BB216_15 Depth=1
	v_ffbh_u32_e32 v0, v10
	v_min_u32_e32 v3, 32, v0
	v_subrev_nc_u32_e32 v0, 28, v3
	v_sub_nc_u32_e32 v3, 29, v3
	v_lshlrev_b64 v[0:1], v0, v[10:11]
	v_and_b32_e32 v0, 7, v0
; %bb.1599:                             ;   in Loop: Header=BB216_15 Depth=1
	s_or_b32 exec_lo, exec_lo, s21
	v_lshlrev_b32_e32 v1, 16, v2
	v_lshlrev_b32_e32 v0, 20, v0
	v_lshl_add_u32 v3, v3, 23, 0x3c000000
	v_and_b32_e32 v1, 0x80000000, v1
	v_or3_b32 v1, v0, v1, v3
	v_mov_b32_e32 v0, v11
	buffer_store_dword v0, off, s[0:3], s32 offset:1804 ; 4-byte Folded Spill
	buffer_store_dword v1, off, s[0:3], s32 offset:1808 ; 4-byte Folded Spill
.LBB216_1600:                           ;   in Loop: Header=BB216_15 Depth=1
	s_or_b32 exec_lo, exec_lo, s20
.LBB216_1601:                           ;   in Loop: Header=BB216_15 Depth=1
	s_or_b32 exec_lo, exec_lo, s19
.LBB216_1602:                           ;   in Loop: Header=BB216_15 Depth=1
	s_or_b32 exec_lo, exec_lo, s18
	v_mov_b32_e32 v3, 0
	v_mov_b32_e32 v4, 0
	v_mov_b32_e32 v0, 0xff
	s_mov_b32 s18, exec_lo
	buffer_store_dword v3, off, s[0:3], s32 offset:1812 ; 4-byte Folded Spill
	buffer_store_dword v4, off, s[0:3], s32 offset:1816 ; 4-byte Folded Spill
	v_mov_b32_e32 v3, 0
	v_and_b32_sdwa v0, v2, v0 dst_sel:DWORD dst_unused:UNUSED_PAD src0_sel:WORD_1 src1_sel:DWORD
	v_mov_b32_e32 v4, 0
	buffer_store_dword v3, off, s[0:3], s32 offset:1820 ; 4-byte Folded Spill
	buffer_store_dword v4, off, s[0:3], s32 offset:1824 ; 4-byte Folded Spill
	v_cmpx_ne_u16_e32 0, v0
	s_cbranch_execz .LBB216_1610
; %bb.1603:                             ;   in Loop: Header=BB216_15 Depth=1
	v_cmp_ne_u16_e64 s5, 0x80, v0
	v_bfrev_b32_e32 v0, 1
	v_mov_b32_e32 v1, 0
	buffer_store_dword v0, off, s[0:3], s32 offset:1820 ; 4-byte Folded Spill
	buffer_store_dword v1, off, s[0:3], s32 offset:1824 ; 4-byte Folded Spill
	s_and_saveexec_b32 s19, s5
	s_cbranch_execz .LBB216_1609
; %bb.1604:                             ;   in Loop: Header=BB216_15 Depth=1
	v_mov_b32_e32 v3, 0x7f800001
	v_bfe_u32 v0, v2, 16, 7
	v_mov_b32_e32 v4, 0
	s_mov_b32 s20, exec_lo
	buffer_store_dword v3, off, s[0:3], s32 offset:1820 ; 4-byte Folded Spill
	buffer_store_dword v4, off, s[0:3], s32 offset:1824 ; 4-byte Folded Spill
	v_cmpx_ne_u32_e32 0x7f, v0
	s_cbranch_execz .LBB216_1608
; %bb.1605:                             ;   in Loop: Header=BB216_15 Depth=1
	v_mov_b32_e32 v1, 7
	v_lshrrev_b32_e32 v3, 3, v0
	v_cmp_gt_u32_e64 s5, 8, v0
	v_and_b32_sdwa v10, v2, v1 dst_sel:DWORD dst_unused:UNUSED_PAD src0_sel:WORD_1 src1_sel:DWORD
	v_mov_b32_e32 v0, v10
	v_mov_b32_e32 v1, v11
	s_and_saveexec_b32 s21, s5
; %bb.1606:                             ;   in Loop: Header=BB216_15 Depth=1
	v_ffbh_u32_e32 v0, v10
	v_min_u32_e32 v3, 32, v0
	v_subrev_nc_u32_e32 v0, 28, v3
	v_sub_nc_u32_e32 v3, 29, v3
	v_lshlrev_b64 v[0:1], v0, v[10:11]
	v_and_b32_e32 v0, 7, v0
; %bb.1607:                             ;   in Loop: Header=BB216_15 Depth=1
	s_or_b32 exec_lo, exec_lo, s21
	v_mov_b32_e32 v1, 24
	v_lshlrev_b32_e32 v0, 20, v0
	v_lshl_add_u32 v3, v3, 23, 0x3c000000
	v_lshlrev_b32_sdwa v1, v1, v2 dst_sel:DWORD dst_unused:UNUSED_PAD src0_sel:DWORD src1_sel:WORD_1
	v_and_b32_e32 v1, 0x80000000, v1
	v_or3_b32 v10, v0, v1, v3
	buffer_store_dword v10, off, s[0:3], s32 offset:1820 ; 4-byte Folded Spill
	buffer_store_dword v11, off, s[0:3], s32 offset:1824 ; 4-byte Folded Spill
.LBB216_1608:                           ;   in Loop: Header=BB216_15 Depth=1
	s_or_b32 exec_lo, exec_lo, s20
.LBB216_1609:                           ;   in Loop: Header=BB216_15 Depth=1
	s_or_b32 exec_lo, exec_lo, s19
.LBB216_1610:                           ;   in Loop: Header=BB216_15 Depth=1
	s_or_b32 exec_lo, exec_lo, s18
	s_mov_b32 s18, exec_lo
	v_cmpx_lt_u32_e32 0xffffff, v2
	s_cbranch_execz .LBB216_1618
; %bb.1611:                             ;   in Loop: Header=BB216_15 Depth=1
	v_mov_b32_e32 v0, 0x80
	v_mov_b32_e32 v115, v11
	buffer_store_dword v115, off, s[0:3], s32 offset:1812 ; 4-byte Folded Spill
	buffer_store_dword v116, off, s[0:3], s32 offset:1816 ; 4-byte Folded Spill
	v_cmp_ne_u32_sdwa s5, v2, v0 src0_sel:BYTE_3 src1_sel:DWORD
	s_and_saveexec_b32 s19, s5
	s_cbranch_execz .LBB216_1617
; %bb.1612:                             ;   in Loop: Header=BB216_15 Depth=1
	s_clause 0x1
	buffer_load_dword v3, off, s[0:3], s32 offset:192
	buffer_load_dword v4, off, s[0:3], s32 offset:196
	v_bfe_u32 v0, v2, 24, 7
	s_waitcnt vmcnt(1)
	v_mov_b32_e32 v3, v11
	s_mov_b32 s20, exec_lo
	s_waitcnt vmcnt(0)
	v_mov_b32_e32 v1, v4
	buffer_store_dword v0, off, s[0:3], s32 offset:192 ; 4-byte Folded Spill
	buffer_store_dword v1, off, s[0:3], s32 offset:196 ; 4-byte Folded Spill
	;; [unrolled: 1-line block ×4, first 2 shown]
	v_cmpx_ne_u32_e32 0x7f, v0
	s_cbranch_execz .LBB216_1616
; %bb.1613:                             ;   in Loop: Header=BB216_15 Depth=1
	v_mov_b32_e32 v1, 7
	v_lshrrev_b32_e32 v3, 3, v0
	v_cmp_gt_u32_e64 s5, 8, v0
	v_and_b32_sdwa v10, v2, v1 dst_sel:DWORD dst_unused:UNUSED_PAD src0_sel:BYTE_3 src1_sel:DWORD
	v_mov_b32_e32 v0, v10
	v_mov_b32_e32 v1, v11
	s_and_saveexec_b32 s21, s5
; %bb.1614:                             ;   in Loop: Header=BB216_15 Depth=1
	v_ffbh_u32_e32 v0, v10
	v_min_u32_e32 v3, 32, v0
	v_subrev_nc_u32_e32 v0, 28, v3
	v_sub_nc_u32_e32 v3, 29, v3
	v_lshlrev_b64 v[0:1], v0, v[10:11]
	v_and_b32_e32 v0, 7, v0
; %bb.1615:                             ;   in Loop: Header=BB216_15 Depth=1
	s_or_b32 exec_lo, exec_lo, s21
	v_mov_b32_e32 v1, 24
	v_lshlrev_b32_e32 v0, 20, v0
	v_lshlrev_b32_sdwa v1, v1, v2 dst_sel:DWORD dst_unused:UNUSED_PAD src0_sel:DWORD src1_sel:BYTE_3
	v_lshl_add_u32 v2, v3, 23, 0x3c000000
	v_and_b32_e32 v1, 0x80000000, v1
	v_or3_b32 v1, v0, v1, v2
	v_mov_b32_e32 v0, v11
	buffer_store_dword v0, off, s[0:3], s32 offset:1812 ; 4-byte Folded Spill
	buffer_store_dword v1, off, s[0:3], s32 offset:1816 ; 4-byte Folded Spill
.LBB216_1616:                           ;   in Loop: Header=BB216_15 Depth=1
	s_or_b32 exec_lo, exec_lo, s20
.LBB216_1617:                           ;   in Loop: Header=BB216_15 Depth=1
	s_or_b32 exec_lo, exec_lo, s19
.LBB216_1618:                           ;   in Loop: Header=BB216_15 Depth=1
	s_or_b32 exec_lo, exec_lo, s18
	flat_load_dword v2, v[60:61] offset:8
	v_mov_b32_e32 v0, 0
	v_mov_b32_e32 v1, 0
	buffer_store_dword v0, off, s[0:3], s32 offset:1836 ; 4-byte Folded Spill
	buffer_store_dword v1, off, s[0:3], s32 offset:1840 ; 4-byte Folded Spill
	v_mov_b32_e32 v0, 0
	v_mov_b32_e32 v1, 0
	buffer_store_dword v0, off, s[0:3], s32 offset:1828 ; 4-byte Folded Spill
	buffer_store_dword v1, off, s[0:3], s32 offset:1832 ; 4-byte Folded Spill
	s_waitcnt vmcnt(0) lgkmcnt(0)
	v_cmp_ne_u16_sdwa s5, v2, v11 src0_sel:BYTE_0 src1_sel:DWORD
	s_and_saveexec_b32 s18, s5
	s_cbranch_execz .LBB216_1626
; %bb.1619:                             ;   in Loop: Header=BB216_15 Depth=1
	v_bfrev_b32_e32 v0, 1
	v_mov_b32_e32 v1, 0
	buffer_store_dword v0, off, s[0:3], s32 offset:1828 ; 4-byte Folded Spill
	buffer_store_dword v1, off, s[0:3], s32 offset:1832 ; 4-byte Folded Spill
	v_mov_b32_e32 v0, 0x80
	v_cmp_ne_u16_sdwa s5, v2, v0 src0_sel:BYTE_0 src1_sel:DWORD
	s_and_saveexec_b32 s19, s5
	s_cbranch_execz .LBB216_1625
; %bb.1620:                             ;   in Loop: Header=BB216_15 Depth=1
	v_mov_b32_e32 v3, 0x7f800001
	v_and_b32_e32 v0, 0x7f, v2
	v_mov_b32_e32 v4, 0
	s_mov_b32 s20, exec_lo
	buffer_store_dword v3, off, s[0:3], s32 offset:1828 ; 4-byte Folded Spill
	buffer_store_dword v4, off, s[0:3], s32 offset:1832 ; 4-byte Folded Spill
	v_cmpx_ne_u32_e32 0x7f, v0
	s_cbranch_execz .LBB216_1624
; %bb.1621:                             ;   in Loop: Header=BB216_15 Depth=1
	v_and_b32_e32 v10, 7, v2
	v_lshrrev_b32_e32 v3, 3, v0
	v_cmp_gt_u32_e64 s5, 8, v0
	v_mov_b32_e32 v0, v10
	v_mov_b32_e32 v1, v11
	s_and_saveexec_b32 s21, s5
; %bb.1622:                             ;   in Loop: Header=BB216_15 Depth=1
	v_ffbh_u32_e32 v0, v10
	v_min_u32_e32 v3, 32, v0
	v_subrev_nc_u32_e32 v0, 28, v3
	v_sub_nc_u32_e32 v3, 29, v3
	v_lshlrev_b64 v[0:1], v0, v[10:11]
	v_and_b32_e32 v0, 7, v0
; %bb.1623:                             ;   in Loop: Header=BB216_15 Depth=1
	s_or_b32 exec_lo, exec_lo, s21
	v_lshlrev_b32_e32 v1, 24, v2
	v_lshlrev_b32_e32 v0, 20, v0
	v_lshl_add_u32 v3, v3, 23, 0x3c000000
	v_and_b32_e32 v1, 0x80000000, v1
	v_or3_b32 v10, v0, v1, v3
	buffer_store_dword v10, off, s[0:3], s32 offset:1828 ; 4-byte Folded Spill
	buffer_store_dword v11, off, s[0:3], s32 offset:1832 ; 4-byte Folded Spill
.LBB216_1624:                           ;   in Loop: Header=BB216_15 Depth=1
	s_or_b32 exec_lo, exec_lo, s20
.LBB216_1625:                           ;   in Loop: Header=BB216_15 Depth=1
	s_or_b32 exec_lo, exec_lo, s19
.LBB216_1626:                           ;   in Loop: Header=BB216_15 Depth=1
	s_or_b32 exec_lo, exec_lo, s18
	v_cmp_ne_u16_sdwa s5, v2, v11 src0_sel:BYTE_1 src1_sel:DWORD
	s_and_saveexec_b32 s18, s5
	s_cbranch_execz .LBB216_1634
; %bb.1627:                             ;   in Loop: Header=BB216_15 Depth=1
	v_mov_b32_e32 v0, 0x80
	v_mov_b32_e32 v115, v11
	buffer_store_dword v115, off, s[0:3], s32 offset:1836 ; 4-byte Folded Spill
	buffer_store_dword v116, off, s[0:3], s32 offset:1840 ; 4-byte Folded Spill
	v_cmp_ne_u16_sdwa s5, v2, v0 src0_sel:BYTE_1 src1_sel:DWORD
	s_and_saveexec_b32 s19, s5
	s_cbranch_execz .LBB216_1633
; %bb.1628:                             ;   in Loop: Header=BB216_15 Depth=1
	s_clause 0x1
	buffer_load_dword v3, off, s[0:3], s32 offset:192
	buffer_load_dword v4, off, s[0:3], s32 offset:196
	v_mov_b32_e32 v0, 0xffff
	v_mov_b32_e32 v20, v11
	s_mov_b32 s20, exec_lo
	v_and_b32_sdwa v1, v0, v2 dst_sel:DWORD dst_unused:UNUSED_PAD src0_sel:DWORD src1_sel:BYTE_1
	v_and_b32_e32 v0, 0x7f, v1
	s_waitcnt vmcnt(0)
	v_mov_b32_e32 v3, v4
	v_mov_b32_e32 v21, v4
	buffer_store_dword v2, off, s[0:3], s32 offset:192 ; 4-byte Folded Spill
	buffer_store_dword v3, off, s[0:3], s32 offset:196 ; 4-byte Folded Spill
	;; [unrolled: 1-line block ×4, first 2 shown]
	v_cmpx_ne_u32_e32 0x7f, v0
	s_cbranch_execz .LBB216_1632
; %bb.1629:                             ;   in Loop: Header=BB216_15 Depth=1
	v_and_b32_e32 v10, 7, v1
	v_lshrrev_b32_e32 v3, 3, v0
	v_cmp_gt_u32_e64 s5, 8, v0
	v_mov_b32_e32 v0, v10
	v_mov_b32_e32 v1, v11
	s_and_saveexec_b32 s21, s5
; %bb.1630:                             ;   in Loop: Header=BB216_15 Depth=1
	v_ffbh_u32_e32 v0, v10
	v_min_u32_e32 v3, 32, v0
	v_subrev_nc_u32_e32 v0, 28, v3
	v_sub_nc_u32_e32 v3, 29, v3
	v_lshlrev_b64 v[0:1], v0, v[10:11]
	v_and_b32_e32 v0, 7, v0
; %bb.1631:                             ;   in Loop: Header=BB216_15 Depth=1
	s_or_b32 exec_lo, exec_lo, s21
	v_lshlrev_b32_e32 v1, 16, v2
	v_lshlrev_b32_e32 v0, 20, v0
	v_lshl_add_u32 v3, v3, 23, 0x3c000000
	v_and_b32_e32 v1, 0x80000000, v1
	v_or3_b32 v1, v0, v1, v3
	v_mov_b32_e32 v0, v11
	buffer_store_dword v0, off, s[0:3], s32 offset:1836 ; 4-byte Folded Spill
	buffer_store_dword v1, off, s[0:3], s32 offset:1840 ; 4-byte Folded Spill
.LBB216_1632:                           ;   in Loop: Header=BB216_15 Depth=1
	s_or_b32 exec_lo, exec_lo, s20
.LBB216_1633:                           ;   in Loop: Header=BB216_15 Depth=1
	s_or_b32 exec_lo, exec_lo, s19
.LBB216_1634:                           ;   in Loop: Header=BB216_15 Depth=1
	s_or_b32 exec_lo, exec_lo, s18
	v_mov_b32_e32 v0, 0xff
	v_mov_b32_e32 v124, 0
	;; [unrolled: 1-line block ×5, first 2 shown]
	v_and_b32_sdwa v0, v2, v0 dst_sel:DWORD dst_unused:UNUSED_PAD src0_sel:WORD_1 src1_sel:DWORD
	s_mov_b32 s18, exec_lo
	buffer_store_dword v3, off, s[0:3], s32 offset:1844 ; 4-byte Folded Spill
	buffer_store_dword v4, off, s[0:3], s32 offset:1848 ; 4-byte Folded Spill
	v_cmpx_ne_u16_e32 0, v0
	s_cbranch_execz .LBB216_1642
; %bb.1635:                             ;   in Loop: Header=BB216_15 Depth=1
	v_cmp_ne_u16_e64 s5, 0x80, v0
	v_bfrev_b32_e32 v0, 1
	v_mov_b32_e32 v1, 0
	buffer_store_dword v0, off, s[0:3], s32 offset:1844 ; 4-byte Folded Spill
	buffer_store_dword v1, off, s[0:3], s32 offset:1848 ; 4-byte Folded Spill
	s_and_saveexec_b32 s19, s5
	s_cbranch_execz .LBB216_1641
; %bb.1636:                             ;   in Loop: Header=BB216_15 Depth=1
	v_mov_b32_e32 v3, 0x7f800001
	v_bfe_u32 v0, v2, 16, 7
	v_mov_b32_e32 v4, 0
	s_mov_b32 s20, exec_lo
	buffer_store_dword v3, off, s[0:3], s32 offset:1844 ; 4-byte Folded Spill
	buffer_store_dword v4, off, s[0:3], s32 offset:1848 ; 4-byte Folded Spill
	v_cmpx_ne_u32_e32 0x7f, v0
	s_cbranch_execz .LBB216_1640
; %bb.1637:                             ;   in Loop: Header=BB216_15 Depth=1
	v_mov_b32_e32 v1, 7
	v_lshrrev_b32_e32 v3, 3, v0
	v_cmp_gt_u32_e64 s5, 8, v0
	v_and_b32_sdwa v10, v2, v1 dst_sel:DWORD dst_unused:UNUSED_PAD src0_sel:WORD_1 src1_sel:DWORD
	v_mov_b32_e32 v0, v10
	v_mov_b32_e32 v1, v11
	s_and_saveexec_b32 s21, s5
; %bb.1638:                             ;   in Loop: Header=BB216_15 Depth=1
	v_ffbh_u32_e32 v0, v10
	v_min_u32_e32 v3, 32, v0
	v_subrev_nc_u32_e32 v0, 28, v3
	v_sub_nc_u32_e32 v3, 29, v3
	v_lshlrev_b64 v[0:1], v0, v[10:11]
	v_and_b32_e32 v0, 7, v0
; %bb.1639:                             ;   in Loop: Header=BB216_15 Depth=1
	s_or_b32 exec_lo, exec_lo, s21
	v_mov_b32_e32 v1, 24
	v_lshlrev_b32_e32 v0, 20, v0
	v_lshl_add_u32 v3, v3, 23, 0x3c000000
	v_lshlrev_b32_sdwa v1, v1, v2 dst_sel:DWORD dst_unused:UNUSED_PAD src0_sel:DWORD src1_sel:WORD_1
	v_and_b32_e32 v1, 0x80000000, v1
	v_or3_b32 v10, v0, v1, v3
	buffer_store_dword v10, off, s[0:3], s32 offset:1844 ; 4-byte Folded Spill
	buffer_store_dword v11, off, s[0:3], s32 offset:1848 ; 4-byte Folded Spill
.LBB216_1640:                           ;   in Loop: Header=BB216_15 Depth=1
	s_or_b32 exec_lo, exec_lo, s20
.LBB216_1641:                           ;   in Loop: Header=BB216_15 Depth=1
	s_or_b32 exec_lo, exec_lo, s19
.LBB216_1642:                           ;   in Loop: Header=BB216_15 Depth=1
	s_or_b32 exec_lo, exec_lo, s18
	s_mov_b32 s18, exec_lo
	v_cmpx_lt_u32_e32 0xffffff, v2
	s_cbranch_execz .LBB216_1650
; %bb.1643:                             ;   in Loop: Header=BB216_15 Depth=1
	v_mov_b32_e32 v115, v11
	v_mov_b32_e32 v0, 0x80
	;; [unrolled: 1-line block ×4, first 2 shown]
	v_cmp_ne_u32_sdwa s5, v2, v0 src0_sel:BYTE_3 src1_sel:DWORD
	s_and_saveexec_b32 s19, s5
	s_cbranch_execz .LBB216_1649
; %bb.1644:                             ;   in Loop: Header=BB216_15 Depth=1
	s_clause 0x1
	buffer_load_dword v124, off, s[0:3], s32 offset:192
	buffer_load_dword v125, off, s[0:3], s32 offset:196
	v_bfe_u32 v0, v2, 24, 7
	s_waitcnt vmcnt(1)
	v_mov_b32_e32 v124, v11
	s_mov_b32 s20, exec_lo
	s_waitcnt vmcnt(0)
	v_mov_b32_e32 v1, v125
	buffer_store_dword v0, off, s[0:3], s32 offset:192 ; 4-byte Folded Spill
	buffer_store_dword v1, off, s[0:3], s32 offset:196 ; 4-byte Folded Spill
	v_cmpx_ne_u32_e32 0x7f, v0
	s_cbranch_execz .LBB216_1648
; %bb.1645:                             ;   in Loop: Header=BB216_15 Depth=1
	v_mov_b32_e32 v1, 7
	v_lshrrev_b32_e32 v3, 3, v0
	v_cmp_gt_u32_e64 s5, 8, v0
	v_and_b32_sdwa v10, v2, v1 dst_sel:DWORD dst_unused:UNUSED_PAD src0_sel:BYTE_3 src1_sel:DWORD
	v_mov_b32_e32 v0, v10
	v_mov_b32_e32 v1, v11
	s_and_saveexec_b32 s21, s5
; %bb.1646:                             ;   in Loop: Header=BB216_15 Depth=1
	v_ffbh_u32_e32 v0, v10
	v_min_u32_e32 v3, 32, v0
	v_subrev_nc_u32_e32 v0, 28, v3
	v_sub_nc_u32_e32 v3, 29, v3
	v_lshlrev_b64 v[0:1], v0, v[10:11]
	v_and_b32_e32 v0, 7, v0
; %bb.1647:                             ;   in Loop: Header=BB216_15 Depth=1
	s_or_b32 exec_lo, exec_lo, s21
	v_mov_b32_e32 v1, 24
	v_lshlrev_b32_e32 v0, 20, v0
	v_mov_b32_e32 v124, v11
	v_lshlrev_b32_sdwa v1, v1, v2 dst_sel:DWORD dst_unused:UNUSED_PAD src0_sel:DWORD src1_sel:BYTE_3
	v_lshl_add_u32 v2, v3, 23, 0x3c000000
	v_and_b32_e32 v1, 0x80000000, v1
	v_or3_b32 v125, v0, v1, v2
.LBB216_1648:                           ;   in Loop: Header=BB216_15 Depth=1
	s_or_b32 exec_lo, exec_lo, s20
.LBB216_1649:                           ;   in Loop: Header=BB216_15 Depth=1
	s_or_b32 exec_lo, exec_lo, s19
.LBB216_1650:                           ;   in Loop: Header=BB216_15 Depth=1
	s_or_b32 exec_lo, exec_lo, s18
	flat_load_dword v2, v[60:61] offset:12
	v_mov_b32_e32 v98, 0
	v_mov_b32_e32 v32, 0
	;; [unrolled: 1-line block ×4, first 2 shown]
	s_waitcnt vmcnt(0) lgkmcnt(0)
	v_cmp_ne_u16_sdwa s5, v2, v11 src0_sel:BYTE_0 src1_sel:DWORD
	s_and_saveexec_b32 s18, s5
	s_cbranch_execz .LBB216_1658
; %bb.1651:                             ;   in Loop: Header=BB216_15 Depth=1
	v_mov_b32_e32 v0, 0x80
	v_bfrev_b32_e32 v32, 1
	v_mov_b32_e32 v33, 0
	v_cmp_ne_u16_sdwa s5, v2, v0 src0_sel:BYTE_0 src1_sel:DWORD
	s_and_saveexec_b32 s19, s5
	s_cbranch_execz .LBB216_1657
; %bb.1652:                             ;   in Loop: Header=BB216_15 Depth=1
	v_mov_b32_e32 v32, 0x7f800001
	v_and_b32_e32 v0, 0x7f, v2
	v_mov_b32_e32 v33, 0
	s_mov_b32 s20, exec_lo
	v_cmpx_ne_u32_e32 0x7f, v0
	s_cbranch_execz .LBB216_1656
; %bb.1653:                             ;   in Loop: Header=BB216_15 Depth=1
	v_and_b32_e32 v10, 7, v2
	v_lshrrev_b32_e32 v3, 3, v0
	v_cmp_gt_u32_e64 s5, 8, v0
	v_mov_b32_e32 v0, v10
	v_mov_b32_e32 v1, v11
	s_and_saveexec_b32 s21, s5
; %bb.1654:                             ;   in Loop: Header=BB216_15 Depth=1
	v_ffbh_u32_e32 v0, v10
	v_min_u32_e32 v3, 32, v0
	v_subrev_nc_u32_e32 v0, 28, v3
	v_sub_nc_u32_e32 v3, 29, v3
	v_lshlrev_b64 v[0:1], v0, v[10:11]
	v_and_b32_e32 v0, 7, v0
; %bb.1655:                             ;   in Loop: Header=BB216_15 Depth=1
	s_or_b32 exec_lo, exec_lo, s21
	v_lshlrev_b32_e32 v1, 24, v2
	v_lshlrev_b32_e32 v0, 20, v0
	v_lshl_add_u32 v3, v3, 23, 0x3c000000
	v_and_b32_e32 v1, 0x80000000, v1
	v_or3_b32 v10, v0, v1, v3
	v_mov_b32_e32 v33, v11
	v_mov_b32_e32 v32, v10
.LBB216_1656:                           ;   in Loop: Header=BB216_15 Depth=1
	s_or_b32 exec_lo, exec_lo, s20
.LBB216_1657:                           ;   in Loop: Header=BB216_15 Depth=1
	s_or_b32 exec_lo, exec_lo, s19
.LBB216_1658:                           ;   in Loop: Header=BB216_15 Depth=1
	s_or_b32 exec_lo, exec_lo, s18
	v_cmp_ne_u16_sdwa s5, v2, v11 src0_sel:BYTE_1 src1_sel:DWORD
	s_and_saveexec_b32 s18, s5
	s_cbranch_execz .LBB216_1666
; %bb.1659:                             ;   in Loop: Header=BB216_15 Depth=1
	v_mov_b32_e32 v115, v11
	v_mov_b32_e32 v0, 0x80
	;; [unrolled: 1-line block ×3, first 2 shown]
	v_cmp_ne_u16_sdwa s5, v2, v0 src0_sel:BYTE_1 src1_sel:DWORD
	v_mov_b32_e32 v99, v116
	s_and_saveexec_b32 s19, s5
	s_cbranch_execz .LBB216_1665
; %bb.1660:                             ;   in Loop: Header=BB216_15 Depth=1
	s_clause 0x1
	buffer_load_dword v98, off, s[0:3], s32 offset:192
	buffer_load_dword v99, off, s[0:3], s32 offset:196
	v_mov_b32_e32 v0, 0xffff
	s_waitcnt vmcnt(1)
	v_mov_b32_e32 v98, v11
	s_mov_b32 s20, exec_lo
	v_and_b32_sdwa v1, v0, v2 dst_sel:DWORD dst_unused:UNUSED_PAD src0_sel:DWORD src1_sel:BYTE_1
	v_and_b32_e32 v0, 0x7f, v1
	s_waitcnt vmcnt(0)
	v_mov_b32_e32 v3, v99
	buffer_store_dword v2, off, s[0:3], s32 offset:192 ; 4-byte Folded Spill
	buffer_store_dword v3, off, s[0:3], s32 offset:196 ; 4-byte Folded Spill
	v_cmpx_ne_u32_e32 0x7f, v0
	s_cbranch_execz .LBB216_1664
; %bb.1661:                             ;   in Loop: Header=BB216_15 Depth=1
	v_and_b32_e32 v10, 7, v1
	v_lshrrev_b32_e32 v3, 3, v0
	v_cmp_gt_u32_e64 s5, 8, v0
	v_mov_b32_e32 v0, v10
	v_mov_b32_e32 v1, v11
	s_and_saveexec_b32 s21, s5
; %bb.1662:                             ;   in Loop: Header=BB216_15 Depth=1
	v_ffbh_u32_e32 v0, v10
	v_min_u32_e32 v3, 32, v0
	v_subrev_nc_u32_e32 v0, 28, v3
	v_sub_nc_u32_e32 v3, 29, v3
	v_lshlrev_b64 v[0:1], v0, v[10:11]
	v_and_b32_e32 v0, 7, v0
; %bb.1663:                             ;   in Loop: Header=BB216_15 Depth=1
	s_or_b32 exec_lo, exec_lo, s21
	v_lshlrev_b32_e32 v1, 16, v2
	v_lshlrev_b32_e32 v0, 20, v0
	v_lshl_add_u32 v3, v3, 23, 0x3c000000
	v_mov_b32_e32 v98, v11
	v_and_b32_e32 v1, 0x80000000, v1
	v_or3_b32 v99, v0, v1, v3
.LBB216_1664:                           ;   in Loop: Header=BB216_15 Depth=1
	s_or_b32 exec_lo, exec_lo, s20
.LBB216_1665:                           ;   in Loop: Header=BB216_15 Depth=1
	s_or_b32 exec_lo, exec_lo, s19
.LBB216_1666:                           ;   in Loop: Header=BB216_15 Depth=1
	s_or_b32 exec_lo, exec_lo, s18
	v_mov_b32_e32 v0, 0xff
	v_mov_b32_e32 v120, 0
	;; [unrolled: 1-line block ×5, first 2 shown]
	v_and_b32_sdwa v0, v2, v0 dst_sel:DWORD dst_unused:UNUSED_PAD src0_sel:WORD_1 src1_sel:DWORD
	s_mov_b32 s18, exec_lo
	v_cmpx_ne_u16_e32 0, v0
	s_cbranch_execz .LBB216_1674
; %bb.1667:                             ;   in Loop: Header=BB216_15 Depth=1
	v_bfrev_b32_e32 v43, 1
	v_mov_b32_e32 v44, 0
	s_mov_b32 s19, exec_lo
	v_cmpx_ne_u16_e32 0x80, v0
	s_cbranch_execz .LBB216_1673
; %bb.1668:                             ;   in Loop: Header=BB216_15 Depth=1
	v_mov_b32_e32 v43, 0x7f800001
	v_bfe_u32 v0, v2, 16, 7
	v_mov_b32_e32 v44, 0
	s_mov_b32 s20, exec_lo
	v_cmpx_ne_u32_e32 0x7f, v0
	s_cbranch_execz .LBB216_1672
; %bb.1669:                             ;   in Loop: Header=BB216_15 Depth=1
	v_mov_b32_e32 v1, 7
	v_lshrrev_b32_e32 v3, 3, v0
	v_cmp_gt_u32_e64 s5, 8, v0
	v_and_b32_sdwa v10, v2, v1 dst_sel:DWORD dst_unused:UNUSED_PAD src0_sel:WORD_1 src1_sel:DWORD
	v_mov_b32_e32 v0, v10
	v_mov_b32_e32 v1, v11
	s_and_saveexec_b32 s21, s5
; %bb.1670:                             ;   in Loop: Header=BB216_15 Depth=1
	v_ffbh_u32_e32 v0, v10
	v_min_u32_e32 v3, 32, v0
	v_subrev_nc_u32_e32 v0, 28, v3
	v_sub_nc_u32_e32 v3, 29, v3
	v_lshlrev_b64 v[0:1], v0, v[10:11]
	v_and_b32_e32 v0, 7, v0
; %bb.1671:                             ;   in Loop: Header=BB216_15 Depth=1
	s_or_b32 exec_lo, exec_lo, s21
	v_mov_b32_e32 v1, 24
	v_lshlrev_b32_e32 v0, 20, v0
	v_lshl_add_u32 v3, v3, 23, 0x3c000000
	v_lshlrev_b32_sdwa v1, v1, v2 dst_sel:DWORD dst_unused:UNUSED_PAD src0_sel:DWORD src1_sel:WORD_1
	v_and_b32_e32 v1, 0x80000000, v1
	v_or3_b32 v10, v0, v1, v3
	v_mov_b32_e32 v44, v11
	v_mov_b32_e32 v43, v10
.LBB216_1672:                           ;   in Loop: Header=BB216_15 Depth=1
	s_or_b32 exec_lo, exec_lo, s20
.LBB216_1673:                           ;   in Loop: Header=BB216_15 Depth=1
	s_or_b32 exec_lo, exec_lo, s19
.LBB216_1674:                           ;   in Loop: Header=BB216_15 Depth=1
	s_or_b32 exec_lo, exec_lo, s18
	s_mov_b32 s18, exec_lo
	v_cmpx_lt_u32_e32 0xffffff, v2
	s_cbranch_execz .LBB216_1682
; %bb.1675:                             ;   in Loop: Header=BB216_15 Depth=1
	v_mov_b32_e32 v115, v11
	v_mov_b32_e32 v0, 0x80
	;; [unrolled: 1-line block ×4, first 2 shown]
	v_cmp_ne_u32_sdwa s5, v2, v0 src0_sel:BYTE_3 src1_sel:DWORD
	s_and_saveexec_b32 s19, s5
	s_cbranch_execz .LBB216_1681
; %bb.1676:                             ;   in Loop: Header=BB216_15 Depth=1
	s_clause 0x1
	buffer_load_dword v120, off, s[0:3], s32 offset:192
	buffer_load_dword v121, off, s[0:3], s32 offset:196
	v_bfe_u32 v0, v2, 24, 7
	s_waitcnt vmcnt(1)
	v_mov_b32_e32 v120, v11
	s_mov_b32 s20, exec_lo
	s_waitcnt vmcnt(0)
	v_mov_b32_e32 v1, v121
	buffer_store_dword v0, off, s[0:3], s32 offset:192 ; 4-byte Folded Spill
	buffer_store_dword v1, off, s[0:3], s32 offset:196 ; 4-byte Folded Spill
	v_cmpx_ne_u32_e32 0x7f, v0
	s_cbranch_execz .LBB216_1680
; %bb.1677:                             ;   in Loop: Header=BB216_15 Depth=1
	v_mov_b32_e32 v1, 7
	v_lshrrev_b32_e32 v3, 3, v0
	v_cmp_gt_u32_e64 s5, 8, v0
	v_and_b32_sdwa v10, v2, v1 dst_sel:DWORD dst_unused:UNUSED_PAD src0_sel:BYTE_3 src1_sel:DWORD
	v_mov_b32_e32 v0, v10
	v_mov_b32_e32 v1, v11
	s_and_saveexec_b32 s21, s5
; %bb.1678:                             ;   in Loop: Header=BB216_15 Depth=1
	v_ffbh_u32_e32 v0, v10
	v_min_u32_e32 v3, 32, v0
	v_subrev_nc_u32_e32 v0, 28, v3
	v_sub_nc_u32_e32 v3, 29, v3
	v_lshlrev_b64 v[0:1], v0, v[10:11]
	v_and_b32_e32 v0, 7, v0
; %bb.1679:                             ;   in Loop: Header=BB216_15 Depth=1
	s_or_b32 exec_lo, exec_lo, s21
	v_mov_b32_e32 v1, 24
	v_lshlrev_b32_e32 v0, 20, v0
	v_mov_b32_e32 v120, v11
	v_lshlrev_b32_sdwa v1, v1, v2 dst_sel:DWORD dst_unused:UNUSED_PAD src0_sel:DWORD src1_sel:BYTE_3
	v_lshl_add_u32 v2, v3, 23, 0x3c000000
	v_and_b32_e32 v1, 0x80000000, v1
	v_or3_b32 v121, v0, v1, v2
.LBB216_1680:                           ;   in Loop: Header=BB216_15 Depth=1
	s_or_b32 exec_lo, exec_lo, s20
.LBB216_1681:                           ;   in Loop: Header=BB216_15 Depth=1
	s_or_b32 exec_lo, exec_lo, s19
.LBB216_1682:                           ;   in Loop: Header=BB216_15 Depth=1
	s_or_b32 exec_lo, exec_lo, s18
	flat_load_dword v2, v[60:61] offset:512
	v_mov_b32_e32 v14, 0
	v_mov_b32_e32 v126, 0
	;; [unrolled: 1-line block ×4, first 2 shown]
	s_waitcnt vmcnt(0) lgkmcnt(0)
	v_cmp_ne_u16_sdwa s5, v2, v11 src0_sel:BYTE_0 src1_sel:DWORD
	s_and_saveexec_b32 s18, s5
	s_cbranch_execz .LBB216_1690
; %bb.1683:                             ;   in Loop: Header=BB216_15 Depth=1
	v_mov_b32_e32 v0, 0x80
	v_bfrev_b32_e32 v126, 1
	v_mov_b32_e32 v127, 0
	v_cmp_ne_u16_sdwa s5, v2, v0 src0_sel:BYTE_0 src1_sel:DWORD
	s_and_saveexec_b32 s19, s5
	s_cbranch_execz .LBB216_1689
; %bb.1684:                             ;   in Loop: Header=BB216_15 Depth=1
	v_mov_b32_e32 v126, 0x7f800001
	v_and_b32_e32 v0, 0x7f, v2
	v_mov_b32_e32 v127, 0
	s_mov_b32 s20, exec_lo
	v_cmpx_ne_u32_e32 0x7f, v0
	s_cbranch_execz .LBB216_1688
; %bb.1685:                             ;   in Loop: Header=BB216_15 Depth=1
	v_and_b32_e32 v10, 7, v2
	v_lshrrev_b32_e32 v3, 3, v0
	v_cmp_gt_u32_e64 s5, 8, v0
	v_mov_b32_e32 v0, v10
	v_mov_b32_e32 v1, v11
	s_and_saveexec_b32 s21, s5
; %bb.1686:                             ;   in Loop: Header=BB216_15 Depth=1
	v_ffbh_u32_e32 v0, v10
	v_min_u32_e32 v3, 32, v0
	v_subrev_nc_u32_e32 v0, 28, v3
	v_sub_nc_u32_e32 v3, 29, v3
	v_lshlrev_b64 v[0:1], v0, v[10:11]
	v_and_b32_e32 v0, 7, v0
; %bb.1687:                             ;   in Loop: Header=BB216_15 Depth=1
	s_or_b32 exec_lo, exec_lo, s21
	v_lshlrev_b32_e32 v1, 24, v2
	v_lshlrev_b32_e32 v0, 20, v0
	v_lshl_add_u32 v3, v3, 23, 0x3c000000
	v_and_b32_e32 v1, 0x80000000, v1
	v_or3_b32 v10, v0, v1, v3
	v_mov_b32_e32 v127, v11
	v_mov_b32_e32 v126, v10
.LBB216_1688:                           ;   in Loop: Header=BB216_15 Depth=1
	s_or_b32 exec_lo, exec_lo, s20
.LBB216_1689:                           ;   in Loop: Header=BB216_15 Depth=1
	s_or_b32 exec_lo, exec_lo, s19
.LBB216_1690:                           ;   in Loop: Header=BB216_15 Depth=1
	s_or_b32 exec_lo, exec_lo, s18
	v_cmp_ne_u16_sdwa s5, v2, v11 src0_sel:BYTE_1 src1_sel:DWORD
	s_and_saveexec_b32 s18, s5
	s_cbranch_execz .LBB216_1698
; %bb.1691:                             ;   in Loop: Header=BB216_15 Depth=1
	v_mov_b32_e32 v115, v11
	v_mov_b32_e32 v0, 0x80
	;; [unrolled: 1-line block ×3, first 2 shown]
	v_cmp_ne_u16_sdwa s5, v2, v0 src0_sel:BYTE_1 src1_sel:DWORD
	v_mov_b32_e32 v15, v116
	s_and_saveexec_b32 s19, s5
	s_cbranch_execz .LBB216_1697
; %bb.1692:                             ;   in Loop: Header=BB216_15 Depth=1
	s_clause 0x1
	buffer_load_dword v14, off, s[0:3], s32 offset:192
	buffer_load_dword v15, off, s[0:3], s32 offset:196
	v_mov_b32_e32 v0, 0xffff
	s_waitcnt vmcnt(1)
	v_mov_b32_e32 v14, v11
	s_mov_b32 s20, exec_lo
	v_and_b32_sdwa v1, v0, v2 dst_sel:DWORD dst_unused:UNUSED_PAD src0_sel:DWORD src1_sel:BYTE_1
	v_and_b32_e32 v0, 0x7f, v1
	s_waitcnt vmcnt(0)
	v_mov_b32_e32 v3, v15
	buffer_store_dword v2, off, s[0:3], s32 offset:192 ; 4-byte Folded Spill
	buffer_store_dword v3, off, s[0:3], s32 offset:196 ; 4-byte Folded Spill
	v_cmpx_ne_u32_e32 0x7f, v0
	s_cbranch_execz .LBB216_1696
; %bb.1693:                             ;   in Loop: Header=BB216_15 Depth=1
	v_and_b32_e32 v10, 7, v1
	v_lshrrev_b32_e32 v3, 3, v0
	v_cmp_gt_u32_e64 s5, 8, v0
	v_mov_b32_e32 v0, v10
	v_mov_b32_e32 v1, v11
	s_and_saveexec_b32 s21, s5
; %bb.1694:                             ;   in Loop: Header=BB216_15 Depth=1
	v_ffbh_u32_e32 v0, v10
	v_min_u32_e32 v3, 32, v0
	v_subrev_nc_u32_e32 v0, 28, v3
	v_sub_nc_u32_e32 v3, 29, v3
	v_lshlrev_b64 v[0:1], v0, v[10:11]
	v_and_b32_e32 v0, 7, v0
; %bb.1695:                             ;   in Loop: Header=BB216_15 Depth=1
	s_or_b32 exec_lo, exec_lo, s21
	v_lshlrev_b32_e32 v1, 16, v2
	v_lshlrev_b32_e32 v0, 20, v0
	v_lshl_add_u32 v3, v3, 23, 0x3c000000
	v_mov_b32_e32 v14, v11
	v_and_b32_e32 v1, 0x80000000, v1
	v_or3_b32 v15, v0, v1, v3
.LBB216_1696:                           ;   in Loop: Header=BB216_15 Depth=1
	s_or_b32 exec_lo, exec_lo, s20
.LBB216_1697:                           ;   in Loop: Header=BB216_15 Depth=1
	s_or_b32 exec_lo, exec_lo, s19
.LBB216_1698:                           ;   in Loop: Header=BB216_15 Depth=1
	s_or_b32 exec_lo, exec_lo, s18
	v_mov_b32_e32 v0, 0xff
	v_mov_b32_e32 v76, 0
	;; [unrolled: 1-line block ×5, first 2 shown]
	v_and_b32_sdwa v0, v2, v0 dst_sel:DWORD dst_unused:UNUSED_PAD src0_sel:WORD_1 src1_sel:DWORD
	s_mov_b32 s18, exec_lo
	v_cmpx_ne_u16_e32 0, v0
	s_cbranch_execz .LBB216_1706
; %bb.1699:                             ;   in Loop: Header=BB216_15 Depth=1
	v_bfrev_b32_e32 v56, 1
	v_mov_b32_e32 v57, 0
	s_mov_b32 s19, exec_lo
	v_cmpx_ne_u16_e32 0x80, v0
	s_cbranch_execz .LBB216_1705
; %bb.1700:                             ;   in Loop: Header=BB216_15 Depth=1
	v_mov_b32_e32 v56, 0x7f800001
	v_bfe_u32 v0, v2, 16, 7
	v_mov_b32_e32 v57, 0
	s_mov_b32 s20, exec_lo
	v_cmpx_ne_u32_e32 0x7f, v0
	s_cbranch_execz .LBB216_1704
; %bb.1701:                             ;   in Loop: Header=BB216_15 Depth=1
	v_mov_b32_e32 v1, 7
	v_lshrrev_b32_e32 v3, 3, v0
	v_cmp_gt_u32_e64 s5, 8, v0
	v_and_b32_sdwa v10, v2, v1 dst_sel:DWORD dst_unused:UNUSED_PAD src0_sel:WORD_1 src1_sel:DWORD
	v_mov_b32_e32 v0, v10
	v_mov_b32_e32 v1, v11
	s_and_saveexec_b32 s21, s5
; %bb.1702:                             ;   in Loop: Header=BB216_15 Depth=1
	v_ffbh_u32_e32 v0, v10
	v_min_u32_e32 v3, 32, v0
	v_subrev_nc_u32_e32 v0, 28, v3
	v_sub_nc_u32_e32 v3, 29, v3
	v_lshlrev_b64 v[0:1], v0, v[10:11]
	v_and_b32_e32 v0, 7, v0
; %bb.1703:                             ;   in Loop: Header=BB216_15 Depth=1
	s_or_b32 exec_lo, exec_lo, s21
	v_mov_b32_e32 v1, 24
	v_lshlrev_b32_e32 v0, 20, v0
	v_lshl_add_u32 v3, v3, 23, 0x3c000000
	v_lshlrev_b32_sdwa v1, v1, v2 dst_sel:DWORD dst_unused:UNUSED_PAD src0_sel:DWORD src1_sel:WORD_1
	v_and_b32_e32 v1, 0x80000000, v1
	v_or3_b32 v10, v0, v1, v3
	v_mov_b32_e32 v57, v11
	v_mov_b32_e32 v56, v10
.LBB216_1704:                           ;   in Loop: Header=BB216_15 Depth=1
	s_or_b32 exec_lo, exec_lo, s20
.LBB216_1705:                           ;   in Loop: Header=BB216_15 Depth=1
	s_or_b32 exec_lo, exec_lo, s19
.LBB216_1706:                           ;   in Loop: Header=BB216_15 Depth=1
	s_or_b32 exec_lo, exec_lo, s18
	s_mov_b32 s18, exec_lo
	v_cmpx_lt_u32_e32 0xffffff, v2
	s_cbranch_execz .LBB216_1714
; %bb.1707:                             ;   in Loop: Header=BB216_15 Depth=1
	v_mov_b32_e32 v115, v11
	v_mov_b32_e32 v0, 0x80
	;; [unrolled: 1-line block ×3, first 2 shown]
	v_cmp_ne_u32_sdwa s5, v2, v0 src0_sel:BYTE_3 src1_sel:DWORD
	v_mov_b32_e32 v77, v116
	s_and_saveexec_b32 s19, s5
	s_cbranch_execz .LBB216_1713
; %bb.1708:                             ;   in Loop: Header=BB216_15 Depth=1
	s_clause 0x1
	buffer_load_dword v76, off, s[0:3], s32 offset:192
	buffer_load_dword v77, off, s[0:3], s32 offset:196
	v_bfe_u32 v0, v2, 24, 7
	s_waitcnt vmcnt(1)
	v_mov_b32_e32 v76, v11
	s_mov_b32 s20, exec_lo
	s_waitcnt vmcnt(0)
	v_mov_b32_e32 v1, v77
	buffer_store_dword v0, off, s[0:3], s32 offset:192 ; 4-byte Folded Spill
	buffer_store_dword v1, off, s[0:3], s32 offset:196 ; 4-byte Folded Spill
	v_cmpx_ne_u32_e32 0x7f, v0
	s_cbranch_execz .LBB216_1712
; %bb.1709:                             ;   in Loop: Header=BB216_15 Depth=1
	v_mov_b32_e32 v1, 7
	v_lshrrev_b32_e32 v3, 3, v0
	v_cmp_gt_u32_e64 s5, 8, v0
	v_and_b32_sdwa v10, v2, v1 dst_sel:DWORD dst_unused:UNUSED_PAD src0_sel:BYTE_3 src1_sel:DWORD
	v_mov_b32_e32 v0, v10
	v_mov_b32_e32 v1, v11
	s_and_saveexec_b32 s21, s5
; %bb.1710:                             ;   in Loop: Header=BB216_15 Depth=1
	v_ffbh_u32_e32 v0, v10
	v_min_u32_e32 v3, 32, v0
	v_subrev_nc_u32_e32 v0, 28, v3
	v_sub_nc_u32_e32 v3, 29, v3
	v_lshlrev_b64 v[0:1], v0, v[10:11]
	v_and_b32_e32 v0, 7, v0
; %bb.1711:                             ;   in Loop: Header=BB216_15 Depth=1
	s_or_b32 exec_lo, exec_lo, s21
	v_mov_b32_e32 v1, 24
	v_lshlrev_b32_e32 v0, 20, v0
	v_mov_b32_e32 v76, v11
	v_lshlrev_b32_sdwa v1, v1, v2 dst_sel:DWORD dst_unused:UNUSED_PAD src0_sel:DWORD src1_sel:BYTE_3
	v_lshl_add_u32 v2, v3, 23, 0x3c000000
	v_and_b32_e32 v1, 0x80000000, v1
	v_or3_b32 v77, v0, v1, v2
.LBB216_1712:                           ;   in Loop: Header=BB216_15 Depth=1
	s_or_b32 exec_lo, exec_lo, s20
.LBB216_1713:                           ;   in Loop: Header=BB216_15 Depth=1
	s_or_b32 exec_lo, exec_lo, s19
.LBB216_1714:                           ;   in Loop: Header=BB216_15 Depth=1
	s_or_b32 exec_lo, exec_lo, s18
	flat_load_dword v2, v[60:61] offset:516
	v_mov_b32_e32 v92, 0
	v_mov_b32_e32 v49, 0
	;; [unrolled: 1-line block ×4, first 2 shown]
	s_waitcnt vmcnt(0) lgkmcnt(0)
	v_cmp_ne_u16_sdwa s5, v2, v11 src0_sel:BYTE_0 src1_sel:DWORD
	s_and_saveexec_b32 s18, s5
	s_cbranch_execz .LBB216_1722
; %bb.1715:                             ;   in Loop: Header=BB216_15 Depth=1
	v_mov_b32_e32 v0, 0x80
	v_bfrev_b32_e32 v49, 1
	v_mov_b32_e32 v50, 0
	v_cmp_ne_u16_sdwa s5, v2, v0 src0_sel:BYTE_0 src1_sel:DWORD
	s_and_saveexec_b32 s19, s5
	s_cbranch_execz .LBB216_1721
; %bb.1716:                             ;   in Loop: Header=BB216_15 Depth=1
	v_mov_b32_e32 v49, 0x7f800001
	v_and_b32_e32 v0, 0x7f, v2
	v_mov_b32_e32 v50, 0
	s_mov_b32 s20, exec_lo
	v_cmpx_ne_u32_e32 0x7f, v0
	s_cbranch_execz .LBB216_1720
; %bb.1717:                             ;   in Loop: Header=BB216_15 Depth=1
	v_and_b32_e32 v10, 7, v2
	v_lshrrev_b32_e32 v3, 3, v0
	v_cmp_gt_u32_e64 s5, 8, v0
	v_mov_b32_e32 v0, v10
	v_mov_b32_e32 v1, v11
	s_and_saveexec_b32 s21, s5
; %bb.1718:                             ;   in Loop: Header=BB216_15 Depth=1
	v_ffbh_u32_e32 v0, v10
	v_min_u32_e32 v3, 32, v0
	v_subrev_nc_u32_e32 v0, 28, v3
	v_sub_nc_u32_e32 v3, 29, v3
	v_lshlrev_b64 v[0:1], v0, v[10:11]
	v_and_b32_e32 v0, 7, v0
; %bb.1719:                             ;   in Loop: Header=BB216_15 Depth=1
	s_or_b32 exec_lo, exec_lo, s21
	v_lshlrev_b32_e32 v1, 24, v2
	v_lshlrev_b32_e32 v0, 20, v0
	v_lshl_add_u32 v3, v3, 23, 0x3c000000
	v_and_b32_e32 v1, 0x80000000, v1
	v_or3_b32 v10, v0, v1, v3
	v_mov_b32_e32 v50, v11
	v_mov_b32_e32 v49, v10
.LBB216_1720:                           ;   in Loop: Header=BB216_15 Depth=1
	s_or_b32 exec_lo, exec_lo, s20
.LBB216_1721:                           ;   in Loop: Header=BB216_15 Depth=1
	s_or_b32 exec_lo, exec_lo, s19
.LBB216_1722:                           ;   in Loop: Header=BB216_15 Depth=1
	s_or_b32 exec_lo, exec_lo, s18
	v_cmp_ne_u16_sdwa s5, v2, v11 src0_sel:BYTE_1 src1_sel:DWORD
	s_and_saveexec_b32 s18, s5
	s_cbranch_execz .LBB216_1730
; %bb.1723:                             ;   in Loop: Header=BB216_15 Depth=1
	v_mov_b32_e32 v115, v11
	v_mov_b32_e32 v0, 0x80
	;; [unrolled: 1-line block ×3, first 2 shown]
	v_cmp_ne_u16_sdwa s5, v2, v0 src0_sel:BYTE_1 src1_sel:DWORD
	v_mov_b32_e32 v93, v116
	s_and_saveexec_b32 s19, s5
	s_cbranch_execz .LBB216_1729
; %bb.1724:                             ;   in Loop: Header=BB216_15 Depth=1
	s_clause 0x1
	buffer_load_dword v92, off, s[0:3], s32 offset:192
	buffer_load_dword v93, off, s[0:3], s32 offset:196
	v_mov_b32_e32 v0, 0xffff
	s_waitcnt vmcnt(1)
	v_mov_b32_e32 v92, v11
	s_mov_b32 s20, exec_lo
	v_and_b32_sdwa v1, v0, v2 dst_sel:DWORD dst_unused:UNUSED_PAD src0_sel:DWORD src1_sel:BYTE_1
	v_and_b32_e32 v0, 0x7f, v1
	s_waitcnt vmcnt(0)
	v_mov_b32_e32 v3, v93
	buffer_store_dword v2, off, s[0:3], s32 offset:192 ; 4-byte Folded Spill
	buffer_store_dword v3, off, s[0:3], s32 offset:196 ; 4-byte Folded Spill
	v_cmpx_ne_u32_e32 0x7f, v0
	s_cbranch_execz .LBB216_1728
; %bb.1725:                             ;   in Loop: Header=BB216_15 Depth=1
	v_and_b32_e32 v10, 7, v1
	v_lshrrev_b32_e32 v3, 3, v0
	v_cmp_gt_u32_e64 s5, 8, v0
	v_mov_b32_e32 v0, v10
	v_mov_b32_e32 v1, v11
	s_and_saveexec_b32 s21, s5
; %bb.1726:                             ;   in Loop: Header=BB216_15 Depth=1
	v_ffbh_u32_e32 v0, v10
	v_min_u32_e32 v3, 32, v0
	v_subrev_nc_u32_e32 v0, 28, v3
	v_sub_nc_u32_e32 v3, 29, v3
	v_lshlrev_b64 v[0:1], v0, v[10:11]
	v_and_b32_e32 v0, 7, v0
; %bb.1727:                             ;   in Loop: Header=BB216_15 Depth=1
	s_or_b32 exec_lo, exec_lo, s21
	v_lshlrev_b32_e32 v1, 16, v2
	v_lshlrev_b32_e32 v0, 20, v0
	v_lshl_add_u32 v3, v3, 23, 0x3c000000
	v_mov_b32_e32 v92, v11
	v_and_b32_e32 v1, 0x80000000, v1
	v_or3_b32 v93, v0, v1, v3
.LBB216_1728:                           ;   in Loop: Header=BB216_15 Depth=1
	s_or_b32 exec_lo, exec_lo, s20
.LBB216_1729:                           ;   in Loop: Header=BB216_15 Depth=1
	s_or_b32 exec_lo, exec_lo, s19
.LBB216_1730:                           ;   in Loop: Header=BB216_15 Depth=1
	s_or_b32 exec_lo, exec_lo, s18
	v_mov_b32_e32 v0, 0xff
	v_mov_b32_e32 v80, 0
	;; [unrolled: 1-line block ×5, first 2 shown]
	v_and_b32_sdwa v0, v2, v0 dst_sel:DWORD dst_unused:UNUSED_PAD src0_sel:WORD_1 src1_sel:DWORD
	s_mov_b32 s18, exec_lo
	v_cmpx_ne_u16_e32 0, v0
	s_cbranch_execz .LBB216_1738
; %bb.1731:                             ;   in Loop: Header=BB216_15 Depth=1
	v_bfrev_b32_e32 v74, 1
	v_mov_b32_e32 v75, 0
	s_mov_b32 s19, exec_lo
	v_cmpx_ne_u16_e32 0x80, v0
	s_cbranch_execz .LBB216_1737
; %bb.1732:                             ;   in Loop: Header=BB216_15 Depth=1
	v_mov_b32_e32 v74, 0x7f800001
	v_bfe_u32 v0, v2, 16, 7
	v_mov_b32_e32 v75, 0
	s_mov_b32 s20, exec_lo
	v_cmpx_ne_u32_e32 0x7f, v0
	s_cbranch_execz .LBB216_1736
; %bb.1733:                             ;   in Loop: Header=BB216_15 Depth=1
	v_mov_b32_e32 v1, 7
	v_lshrrev_b32_e32 v3, 3, v0
	v_cmp_gt_u32_e64 s5, 8, v0
	v_and_b32_sdwa v10, v2, v1 dst_sel:DWORD dst_unused:UNUSED_PAD src0_sel:WORD_1 src1_sel:DWORD
	v_mov_b32_e32 v0, v10
	v_mov_b32_e32 v1, v11
	s_and_saveexec_b32 s21, s5
; %bb.1734:                             ;   in Loop: Header=BB216_15 Depth=1
	v_ffbh_u32_e32 v0, v10
	v_min_u32_e32 v3, 32, v0
	v_subrev_nc_u32_e32 v0, 28, v3
	v_sub_nc_u32_e32 v3, 29, v3
	v_lshlrev_b64 v[0:1], v0, v[10:11]
	v_and_b32_e32 v0, 7, v0
; %bb.1735:                             ;   in Loop: Header=BB216_15 Depth=1
	s_or_b32 exec_lo, exec_lo, s21
	v_mov_b32_e32 v1, 24
	v_lshlrev_b32_e32 v0, 20, v0
	v_lshl_add_u32 v3, v3, 23, 0x3c000000
	v_lshlrev_b32_sdwa v1, v1, v2 dst_sel:DWORD dst_unused:UNUSED_PAD src0_sel:DWORD src1_sel:WORD_1
	v_and_b32_e32 v1, 0x80000000, v1
	v_or3_b32 v10, v0, v1, v3
	v_mov_b32_e32 v75, v11
	v_mov_b32_e32 v74, v10
.LBB216_1736:                           ;   in Loop: Header=BB216_15 Depth=1
	s_or_b32 exec_lo, exec_lo, s20
.LBB216_1737:                           ;   in Loop: Header=BB216_15 Depth=1
	s_or_b32 exec_lo, exec_lo, s19
.LBB216_1738:                           ;   in Loop: Header=BB216_15 Depth=1
	s_or_b32 exec_lo, exec_lo, s18
	s_mov_b32 s18, exec_lo
	v_cmpx_lt_u32_e32 0xffffff, v2
	s_cbranch_execz .LBB216_1746
; %bb.1739:                             ;   in Loop: Header=BB216_15 Depth=1
	v_mov_b32_e32 v115, v11
	v_mov_b32_e32 v0, 0x80
	;; [unrolled: 1-line block ×3, first 2 shown]
	v_cmp_ne_u32_sdwa s5, v2, v0 src0_sel:BYTE_3 src1_sel:DWORD
	v_mov_b32_e32 v81, v116
	s_and_saveexec_b32 s19, s5
	s_cbranch_execz .LBB216_1745
; %bb.1740:                             ;   in Loop: Header=BB216_15 Depth=1
	s_clause 0x1
	buffer_load_dword v80, off, s[0:3], s32 offset:192
	buffer_load_dword v81, off, s[0:3], s32 offset:196
	v_bfe_u32 v0, v2, 24, 7
	s_waitcnt vmcnt(1)
	v_mov_b32_e32 v80, v11
	s_mov_b32 s20, exec_lo
	s_waitcnt vmcnt(0)
	v_mov_b32_e32 v1, v81
	buffer_store_dword v0, off, s[0:3], s32 offset:192 ; 4-byte Folded Spill
	buffer_store_dword v1, off, s[0:3], s32 offset:196 ; 4-byte Folded Spill
	v_cmpx_ne_u32_e32 0x7f, v0
	s_cbranch_execz .LBB216_1744
; %bb.1741:                             ;   in Loop: Header=BB216_15 Depth=1
	v_mov_b32_e32 v1, 7
	v_lshrrev_b32_e32 v3, 3, v0
	v_cmp_gt_u32_e64 s5, 8, v0
	v_and_b32_sdwa v10, v2, v1 dst_sel:DWORD dst_unused:UNUSED_PAD src0_sel:BYTE_3 src1_sel:DWORD
	v_mov_b32_e32 v0, v10
	v_mov_b32_e32 v1, v11
	s_and_saveexec_b32 s21, s5
; %bb.1742:                             ;   in Loop: Header=BB216_15 Depth=1
	v_ffbh_u32_e32 v0, v10
	v_min_u32_e32 v3, 32, v0
	v_subrev_nc_u32_e32 v0, 28, v3
	v_sub_nc_u32_e32 v3, 29, v3
	v_lshlrev_b64 v[0:1], v0, v[10:11]
	v_and_b32_e32 v0, 7, v0
; %bb.1743:                             ;   in Loop: Header=BB216_15 Depth=1
	s_or_b32 exec_lo, exec_lo, s21
	v_mov_b32_e32 v1, 24
	v_lshlrev_b32_e32 v0, 20, v0
	v_mov_b32_e32 v80, v11
	v_lshlrev_b32_sdwa v1, v1, v2 dst_sel:DWORD dst_unused:UNUSED_PAD src0_sel:DWORD src1_sel:BYTE_3
	v_lshl_add_u32 v2, v3, 23, 0x3c000000
	v_and_b32_e32 v1, 0x80000000, v1
	v_or3_b32 v81, v0, v1, v2
.LBB216_1744:                           ;   in Loop: Header=BB216_15 Depth=1
	s_or_b32 exec_lo, exec_lo, s20
.LBB216_1745:                           ;   in Loop: Header=BB216_15 Depth=1
	s_or_b32 exec_lo, exec_lo, s19
.LBB216_1746:                           ;   in Loop: Header=BB216_15 Depth=1
	s_or_b32 exec_lo, exec_lo, s18
	flat_load_dword v2, v[60:61] offset:520
	v_mov_b32_e32 v90, 0
	v_mov_b32_e32 v82, 0
	;; [unrolled: 1-line block ×4, first 2 shown]
	s_waitcnt vmcnt(0) lgkmcnt(0)
	v_cmp_ne_u16_sdwa s5, v2, v11 src0_sel:BYTE_0 src1_sel:DWORD
	s_and_saveexec_b32 s18, s5
	s_cbranch_execz .LBB216_1754
; %bb.1747:                             ;   in Loop: Header=BB216_15 Depth=1
	v_mov_b32_e32 v0, 0x80
	v_bfrev_b32_e32 v82, 1
	v_mov_b32_e32 v83, 0
	v_cmp_ne_u16_sdwa s5, v2, v0 src0_sel:BYTE_0 src1_sel:DWORD
	s_and_saveexec_b32 s19, s5
	s_cbranch_execz .LBB216_1753
; %bb.1748:                             ;   in Loop: Header=BB216_15 Depth=1
	v_mov_b32_e32 v82, 0x7f800001
	v_and_b32_e32 v0, 0x7f, v2
	v_mov_b32_e32 v83, 0
	s_mov_b32 s20, exec_lo
	v_cmpx_ne_u32_e32 0x7f, v0
	s_cbranch_execz .LBB216_1752
; %bb.1749:                             ;   in Loop: Header=BB216_15 Depth=1
	v_and_b32_e32 v10, 7, v2
	v_lshrrev_b32_e32 v3, 3, v0
	v_cmp_gt_u32_e64 s5, 8, v0
	v_mov_b32_e32 v0, v10
	v_mov_b32_e32 v1, v11
	s_and_saveexec_b32 s21, s5
; %bb.1750:                             ;   in Loop: Header=BB216_15 Depth=1
	v_ffbh_u32_e32 v0, v10
	v_min_u32_e32 v3, 32, v0
	v_subrev_nc_u32_e32 v0, 28, v3
	v_sub_nc_u32_e32 v3, 29, v3
	v_lshlrev_b64 v[0:1], v0, v[10:11]
	v_and_b32_e32 v0, 7, v0
; %bb.1751:                             ;   in Loop: Header=BB216_15 Depth=1
	s_or_b32 exec_lo, exec_lo, s21
	v_lshlrev_b32_e32 v1, 24, v2
	v_lshlrev_b32_e32 v0, 20, v0
	v_lshl_add_u32 v3, v3, 23, 0x3c000000
	v_and_b32_e32 v1, 0x80000000, v1
	v_or3_b32 v10, v0, v1, v3
	v_mov_b32_e32 v83, v11
	v_mov_b32_e32 v82, v10
.LBB216_1752:                           ;   in Loop: Header=BB216_15 Depth=1
	s_or_b32 exec_lo, exec_lo, s20
.LBB216_1753:                           ;   in Loop: Header=BB216_15 Depth=1
	s_or_b32 exec_lo, exec_lo, s19
.LBB216_1754:                           ;   in Loop: Header=BB216_15 Depth=1
	s_or_b32 exec_lo, exec_lo, s18
	v_cmp_ne_u16_sdwa s5, v2, v11 src0_sel:BYTE_1 src1_sel:DWORD
	s_and_saveexec_b32 s18, s5
	s_cbranch_execz .LBB216_1762
; %bb.1755:                             ;   in Loop: Header=BB216_15 Depth=1
	v_mov_b32_e32 v115, v11
	v_mov_b32_e32 v0, 0x80
	;; [unrolled: 1-line block ×3, first 2 shown]
	v_cmp_ne_u16_sdwa s5, v2, v0 src0_sel:BYTE_1 src1_sel:DWORD
	v_mov_b32_e32 v91, v116
	s_and_saveexec_b32 s19, s5
	s_cbranch_execz .LBB216_1761
; %bb.1756:                             ;   in Loop: Header=BB216_15 Depth=1
	s_clause 0x1
	buffer_load_dword v90, off, s[0:3], s32 offset:192
	buffer_load_dword v91, off, s[0:3], s32 offset:196
	v_mov_b32_e32 v0, 0xffff
	s_waitcnt vmcnt(1)
	v_mov_b32_e32 v90, v11
	s_mov_b32 s20, exec_lo
	v_and_b32_sdwa v1, v0, v2 dst_sel:DWORD dst_unused:UNUSED_PAD src0_sel:DWORD src1_sel:BYTE_1
	v_and_b32_e32 v0, 0x7f, v1
	s_waitcnt vmcnt(0)
	v_mov_b32_e32 v3, v91
	buffer_store_dword v2, off, s[0:3], s32 offset:192 ; 4-byte Folded Spill
	buffer_store_dword v3, off, s[0:3], s32 offset:196 ; 4-byte Folded Spill
	v_cmpx_ne_u32_e32 0x7f, v0
	s_cbranch_execz .LBB216_1760
; %bb.1757:                             ;   in Loop: Header=BB216_15 Depth=1
	v_and_b32_e32 v10, 7, v1
	v_lshrrev_b32_e32 v3, 3, v0
	v_cmp_gt_u32_e64 s5, 8, v0
	v_mov_b32_e32 v0, v10
	v_mov_b32_e32 v1, v11
	s_and_saveexec_b32 s21, s5
; %bb.1758:                             ;   in Loop: Header=BB216_15 Depth=1
	v_ffbh_u32_e32 v0, v10
	v_min_u32_e32 v3, 32, v0
	v_subrev_nc_u32_e32 v0, 28, v3
	v_sub_nc_u32_e32 v3, 29, v3
	v_lshlrev_b64 v[0:1], v0, v[10:11]
	v_and_b32_e32 v0, 7, v0
; %bb.1759:                             ;   in Loop: Header=BB216_15 Depth=1
	s_or_b32 exec_lo, exec_lo, s21
	v_lshlrev_b32_e32 v1, 16, v2
	v_lshlrev_b32_e32 v0, 20, v0
	v_lshl_add_u32 v3, v3, 23, 0x3c000000
	v_mov_b32_e32 v90, v11
	v_and_b32_e32 v1, 0x80000000, v1
	v_or3_b32 v91, v0, v1, v3
.LBB216_1760:                           ;   in Loop: Header=BB216_15 Depth=1
	s_or_b32 exec_lo, exec_lo, s20
.LBB216_1761:                           ;   in Loop: Header=BB216_15 Depth=1
	s_or_b32 exec_lo, exec_lo, s19
.LBB216_1762:                           ;   in Loop: Header=BB216_15 Depth=1
	s_or_b32 exec_lo, exec_lo, s18
	v_mov_b32_e32 v0, 0xff
	v_mov_b32_e32 v58, 0
	;; [unrolled: 1-line block ×5, first 2 shown]
	v_and_b32_sdwa v0, v2, v0 dst_sel:DWORD dst_unused:UNUSED_PAD src0_sel:WORD_1 src1_sel:DWORD
	s_mov_b32 s18, exec_lo
	v_cmpx_ne_u16_e32 0, v0
	s_cbranch_execz .LBB216_1770
; %bb.1763:                             ;   in Loop: Header=BB216_15 Depth=1
	v_bfrev_b32_e32 v26, 1
	v_mov_b32_e32 v27, 0
	s_mov_b32 s19, exec_lo
	v_cmpx_ne_u16_e32 0x80, v0
	s_cbranch_execz .LBB216_1769
; %bb.1764:                             ;   in Loop: Header=BB216_15 Depth=1
	v_mov_b32_e32 v26, 0x7f800001
	v_bfe_u32 v0, v2, 16, 7
	v_mov_b32_e32 v27, 0
	s_mov_b32 s20, exec_lo
	v_cmpx_ne_u32_e32 0x7f, v0
	s_cbranch_execz .LBB216_1768
; %bb.1765:                             ;   in Loop: Header=BB216_15 Depth=1
	v_mov_b32_e32 v1, 7
	v_lshrrev_b32_e32 v3, 3, v0
	v_cmp_gt_u32_e64 s5, 8, v0
	v_and_b32_sdwa v10, v2, v1 dst_sel:DWORD dst_unused:UNUSED_PAD src0_sel:WORD_1 src1_sel:DWORD
	v_mov_b32_e32 v0, v10
	v_mov_b32_e32 v1, v11
	s_and_saveexec_b32 s21, s5
; %bb.1766:                             ;   in Loop: Header=BB216_15 Depth=1
	v_ffbh_u32_e32 v0, v10
	v_min_u32_e32 v3, 32, v0
	v_subrev_nc_u32_e32 v0, 28, v3
	v_sub_nc_u32_e32 v3, 29, v3
	v_lshlrev_b64 v[0:1], v0, v[10:11]
	v_and_b32_e32 v0, 7, v0
; %bb.1767:                             ;   in Loop: Header=BB216_15 Depth=1
	s_or_b32 exec_lo, exec_lo, s21
	v_mov_b32_e32 v1, 24
	v_lshlrev_b32_e32 v0, 20, v0
	v_lshl_add_u32 v3, v3, 23, 0x3c000000
	v_lshlrev_b32_sdwa v1, v1, v2 dst_sel:DWORD dst_unused:UNUSED_PAD src0_sel:DWORD src1_sel:WORD_1
	v_and_b32_e32 v1, 0x80000000, v1
	v_or3_b32 v10, v0, v1, v3
	v_mov_b32_e32 v27, v11
	v_mov_b32_e32 v26, v10
.LBB216_1768:                           ;   in Loop: Header=BB216_15 Depth=1
	s_or_b32 exec_lo, exec_lo, s20
.LBB216_1769:                           ;   in Loop: Header=BB216_15 Depth=1
	s_or_b32 exec_lo, exec_lo, s19
.LBB216_1770:                           ;   in Loop: Header=BB216_15 Depth=1
	s_or_b32 exec_lo, exec_lo, s18
	s_mov_b32 s18, exec_lo
	v_cmpx_lt_u32_e32 0xffffff, v2
	s_cbranch_execz .LBB216_1778
; %bb.1771:                             ;   in Loop: Header=BB216_15 Depth=1
	v_mov_b32_e32 v115, v11
	v_mov_b32_e32 v0, 0x80
	;; [unrolled: 1-line block ×3, first 2 shown]
	v_cmp_ne_u32_sdwa s5, v2, v0 src0_sel:BYTE_3 src1_sel:DWORD
	v_mov_b32_e32 v59, v116
	s_and_saveexec_b32 s19, s5
	s_cbranch_execz .LBB216_1777
; %bb.1772:                             ;   in Loop: Header=BB216_15 Depth=1
	s_clause 0x1
	buffer_load_dword v58, off, s[0:3], s32 offset:192
	buffer_load_dword v59, off, s[0:3], s32 offset:196
	v_bfe_u32 v0, v2, 24, 7
	s_waitcnt vmcnt(1)
	v_mov_b32_e32 v58, v11
	s_mov_b32 s20, exec_lo
	s_waitcnt vmcnt(0)
	v_mov_b32_e32 v1, v59
	buffer_store_dword v0, off, s[0:3], s32 offset:192 ; 4-byte Folded Spill
	buffer_store_dword v1, off, s[0:3], s32 offset:196 ; 4-byte Folded Spill
	v_cmpx_ne_u32_e32 0x7f, v0
	s_cbranch_execz .LBB216_1776
; %bb.1773:                             ;   in Loop: Header=BB216_15 Depth=1
	v_mov_b32_e32 v1, 7
	v_lshrrev_b32_e32 v3, 3, v0
	v_cmp_gt_u32_e64 s5, 8, v0
	v_and_b32_sdwa v10, v2, v1 dst_sel:DWORD dst_unused:UNUSED_PAD src0_sel:BYTE_3 src1_sel:DWORD
	v_mov_b32_e32 v0, v10
	v_mov_b32_e32 v1, v11
	s_and_saveexec_b32 s21, s5
; %bb.1774:                             ;   in Loop: Header=BB216_15 Depth=1
	v_ffbh_u32_e32 v0, v10
	v_min_u32_e32 v3, 32, v0
	v_subrev_nc_u32_e32 v0, 28, v3
	v_sub_nc_u32_e32 v3, 29, v3
	v_lshlrev_b64 v[0:1], v0, v[10:11]
	v_and_b32_e32 v0, 7, v0
; %bb.1775:                             ;   in Loop: Header=BB216_15 Depth=1
	s_or_b32 exec_lo, exec_lo, s21
	v_mov_b32_e32 v1, 24
	v_lshlrev_b32_e32 v0, 20, v0
	v_mov_b32_e32 v58, v11
	v_lshlrev_b32_sdwa v1, v1, v2 dst_sel:DWORD dst_unused:UNUSED_PAD src0_sel:DWORD src1_sel:BYTE_3
	v_lshl_add_u32 v2, v3, 23, 0x3c000000
	v_and_b32_e32 v1, 0x80000000, v1
	v_or3_b32 v59, v0, v1, v2
.LBB216_1776:                           ;   in Loop: Header=BB216_15 Depth=1
	s_or_b32 exec_lo, exec_lo, s20
.LBB216_1777:                           ;   in Loop: Header=BB216_15 Depth=1
	s_or_b32 exec_lo, exec_lo, s19
.LBB216_1778:                           ;   in Loop: Header=BB216_15 Depth=1
	s_or_b32 exec_lo, exec_lo, s18
	flat_load_dword v2, v[60:61] offset:524
	v_mov_b32_e32 v94, 0
	v_mov_b32_e32 v52, 0
	v_mov_b32_e32 v95, 0
	v_mov_b32_e32 v53, 0
	s_waitcnt vmcnt(0) lgkmcnt(0)
	v_cmp_ne_u16_sdwa s5, v2, v11 src0_sel:BYTE_0 src1_sel:DWORD
	s_and_saveexec_b32 s18, s5
	s_cbranch_execz .LBB216_1786
; %bb.1779:                             ;   in Loop: Header=BB216_15 Depth=1
	v_mov_b32_e32 v0, 0x80
	v_bfrev_b32_e32 v52, 1
	v_mov_b32_e32 v53, 0
	v_cmp_ne_u16_sdwa s5, v2, v0 src0_sel:BYTE_0 src1_sel:DWORD
	s_and_saveexec_b32 s19, s5
	s_cbranch_execz .LBB216_1785
; %bb.1780:                             ;   in Loop: Header=BB216_15 Depth=1
	v_mov_b32_e32 v52, 0x7f800001
	v_and_b32_e32 v0, 0x7f, v2
	v_mov_b32_e32 v53, 0
	s_mov_b32 s20, exec_lo
	v_cmpx_ne_u32_e32 0x7f, v0
	s_cbranch_execz .LBB216_1784
; %bb.1781:                             ;   in Loop: Header=BB216_15 Depth=1
	v_and_b32_e32 v10, 7, v2
	v_lshrrev_b32_e32 v3, 3, v0
	v_cmp_gt_u32_e64 s5, 8, v0
	v_mov_b32_e32 v0, v10
	v_mov_b32_e32 v1, v11
	s_and_saveexec_b32 s21, s5
; %bb.1782:                             ;   in Loop: Header=BB216_15 Depth=1
	v_ffbh_u32_e32 v0, v10
	v_min_u32_e32 v3, 32, v0
	v_subrev_nc_u32_e32 v0, 28, v3
	v_sub_nc_u32_e32 v3, 29, v3
	v_lshlrev_b64 v[0:1], v0, v[10:11]
	v_and_b32_e32 v0, 7, v0
; %bb.1783:                             ;   in Loop: Header=BB216_15 Depth=1
	s_or_b32 exec_lo, exec_lo, s21
	v_lshlrev_b32_e32 v1, 24, v2
	v_lshlrev_b32_e32 v0, 20, v0
	v_lshl_add_u32 v3, v3, 23, 0x3c000000
	v_and_b32_e32 v1, 0x80000000, v1
	v_or3_b32 v10, v0, v1, v3
	v_mov_b32_e32 v53, v11
	v_mov_b32_e32 v52, v10
.LBB216_1784:                           ;   in Loop: Header=BB216_15 Depth=1
	s_or_b32 exec_lo, exec_lo, s20
.LBB216_1785:                           ;   in Loop: Header=BB216_15 Depth=1
	s_or_b32 exec_lo, exec_lo, s19
.LBB216_1786:                           ;   in Loop: Header=BB216_15 Depth=1
	s_or_b32 exec_lo, exec_lo, s18
	v_cmp_ne_u16_sdwa s5, v2, v11 src0_sel:BYTE_1 src1_sel:DWORD
	s_and_saveexec_b32 s18, s5
	s_cbranch_execz .LBB216_1794
; %bb.1787:                             ;   in Loop: Header=BB216_15 Depth=1
	v_mov_b32_e32 v115, v11
	v_mov_b32_e32 v0, 0x80
	;; [unrolled: 1-line block ×3, first 2 shown]
	v_cmp_ne_u16_sdwa s5, v2, v0 src0_sel:BYTE_1 src1_sel:DWORD
	v_mov_b32_e32 v95, v116
	s_and_saveexec_b32 s19, s5
	s_cbranch_execz .LBB216_1793
; %bb.1788:                             ;   in Loop: Header=BB216_15 Depth=1
	s_clause 0x1
	buffer_load_dword v94, off, s[0:3], s32 offset:192
	buffer_load_dword v95, off, s[0:3], s32 offset:196
	v_mov_b32_e32 v0, 0xffff
	s_waitcnt vmcnt(1)
	v_mov_b32_e32 v94, v11
	s_mov_b32 s20, exec_lo
	v_and_b32_sdwa v1, v0, v2 dst_sel:DWORD dst_unused:UNUSED_PAD src0_sel:DWORD src1_sel:BYTE_1
	v_and_b32_e32 v0, 0x7f, v1
	s_waitcnt vmcnt(0)
	v_mov_b32_e32 v3, v95
	buffer_store_dword v2, off, s[0:3], s32 offset:192 ; 4-byte Folded Spill
	buffer_store_dword v3, off, s[0:3], s32 offset:196 ; 4-byte Folded Spill
	v_cmpx_ne_u32_e32 0x7f, v0
	s_cbranch_execz .LBB216_1792
; %bb.1789:                             ;   in Loop: Header=BB216_15 Depth=1
	v_and_b32_e32 v10, 7, v1
	v_lshrrev_b32_e32 v3, 3, v0
	v_cmp_gt_u32_e64 s5, 8, v0
	v_mov_b32_e32 v0, v10
	v_mov_b32_e32 v1, v11
	s_and_saveexec_b32 s21, s5
; %bb.1790:                             ;   in Loop: Header=BB216_15 Depth=1
	v_ffbh_u32_e32 v0, v10
	v_min_u32_e32 v3, 32, v0
	v_subrev_nc_u32_e32 v0, 28, v3
	v_sub_nc_u32_e32 v3, 29, v3
	v_lshlrev_b64 v[0:1], v0, v[10:11]
	v_and_b32_e32 v0, 7, v0
; %bb.1791:                             ;   in Loop: Header=BB216_15 Depth=1
	s_or_b32 exec_lo, exec_lo, s21
	v_lshlrev_b32_e32 v1, 16, v2
	v_lshlrev_b32_e32 v0, 20, v0
	v_lshl_add_u32 v3, v3, 23, 0x3c000000
	v_mov_b32_e32 v94, v11
	v_and_b32_e32 v1, 0x80000000, v1
	v_or3_b32 v95, v0, v1, v3
.LBB216_1792:                           ;   in Loop: Header=BB216_15 Depth=1
	s_or_b32 exec_lo, exec_lo, s20
.LBB216_1793:                           ;   in Loop: Header=BB216_15 Depth=1
	s_or_b32 exec_lo, exec_lo, s19
.LBB216_1794:                           ;   in Loop: Header=BB216_15 Depth=1
	s_or_b32 exec_lo, exec_lo, s18
	v_mov_b32_e32 v0, 0xff
	v_mov_b32_e32 v104, 0
	;; [unrolled: 1-line block ×5, first 2 shown]
	v_and_b32_sdwa v0, v2, v0 dst_sel:DWORD dst_unused:UNUSED_PAD src0_sel:WORD_1 src1_sel:DWORD
	s_mov_b32 s18, exec_lo
	v_cmpx_ne_u16_e32 0, v0
	s_cbranch_execz .LBB216_1802
; %bb.1795:                             ;   in Loop: Header=BB216_15 Depth=1
	v_bfrev_b32_e32 v102, 1
	v_mov_b32_e32 v103, 0
	s_mov_b32 s19, exec_lo
	v_cmpx_ne_u16_e32 0x80, v0
	s_cbranch_execz .LBB216_1801
; %bb.1796:                             ;   in Loop: Header=BB216_15 Depth=1
	v_mov_b32_e32 v102, 0x7f800001
	v_bfe_u32 v0, v2, 16, 7
	v_mov_b32_e32 v103, 0
	s_mov_b32 s20, exec_lo
	v_cmpx_ne_u32_e32 0x7f, v0
	s_cbranch_execz .LBB216_1800
; %bb.1797:                             ;   in Loop: Header=BB216_15 Depth=1
	v_mov_b32_e32 v1, 7
	v_lshrrev_b32_e32 v3, 3, v0
	v_cmp_gt_u32_e64 s5, 8, v0
	v_and_b32_sdwa v10, v2, v1 dst_sel:DWORD dst_unused:UNUSED_PAD src0_sel:WORD_1 src1_sel:DWORD
	v_mov_b32_e32 v0, v10
	v_mov_b32_e32 v1, v11
	s_and_saveexec_b32 s21, s5
; %bb.1798:                             ;   in Loop: Header=BB216_15 Depth=1
	v_ffbh_u32_e32 v0, v10
	v_min_u32_e32 v3, 32, v0
	v_subrev_nc_u32_e32 v0, 28, v3
	v_sub_nc_u32_e32 v3, 29, v3
	v_lshlrev_b64 v[0:1], v0, v[10:11]
	v_and_b32_e32 v0, 7, v0
; %bb.1799:                             ;   in Loop: Header=BB216_15 Depth=1
	s_or_b32 exec_lo, exec_lo, s21
	v_mov_b32_e32 v1, 24
	v_lshlrev_b32_e32 v0, 20, v0
	v_lshl_add_u32 v3, v3, 23, 0x3c000000
	v_lshlrev_b32_sdwa v1, v1, v2 dst_sel:DWORD dst_unused:UNUSED_PAD src0_sel:DWORD src1_sel:WORD_1
	v_and_b32_e32 v1, 0x80000000, v1
	v_or3_b32 v10, v0, v1, v3
	v_mov_b32_e32 v103, v11
	v_mov_b32_e32 v102, v10
.LBB216_1800:                           ;   in Loop: Header=BB216_15 Depth=1
	s_or_b32 exec_lo, exec_lo, s20
.LBB216_1801:                           ;   in Loop: Header=BB216_15 Depth=1
	s_or_b32 exec_lo, exec_lo, s19
.LBB216_1802:                           ;   in Loop: Header=BB216_15 Depth=1
	s_or_b32 exec_lo, exec_lo, s18
	s_mov_b32 s18, exec_lo
	v_cmpx_lt_u32_e32 0xffffff, v2
	s_cbranch_execz .LBB216_1810
; %bb.1803:                             ;   in Loop: Header=BB216_15 Depth=1
	v_mov_b32_e32 v115, v11
	v_mov_b32_e32 v0, 0x80
	;; [unrolled: 1-line block ×3, first 2 shown]
	v_cmp_ne_u32_sdwa s5, v2, v0 src0_sel:BYTE_3 src1_sel:DWORD
	v_mov_b32_e32 v105, v116
	s_and_saveexec_b32 s19, s5
	s_cbranch_execz .LBB216_1809
; %bb.1804:                             ;   in Loop: Header=BB216_15 Depth=1
	s_clause 0x1
	buffer_load_dword v104, off, s[0:3], s32 offset:192
	buffer_load_dword v105, off, s[0:3], s32 offset:196
	v_bfe_u32 v0, v2, 24, 7
	s_waitcnt vmcnt(1)
	v_mov_b32_e32 v104, v11
	s_mov_b32 s20, exec_lo
	s_waitcnt vmcnt(0)
	v_mov_b32_e32 v1, v105
	buffer_store_dword v0, off, s[0:3], s32 offset:192 ; 4-byte Folded Spill
	buffer_store_dword v1, off, s[0:3], s32 offset:196 ; 4-byte Folded Spill
	v_cmpx_ne_u32_e32 0x7f, v0
	s_cbranch_execz .LBB216_1808
; %bb.1805:                             ;   in Loop: Header=BB216_15 Depth=1
	v_mov_b32_e32 v1, 7
	v_lshrrev_b32_e32 v3, 3, v0
	v_cmp_gt_u32_e64 s5, 8, v0
	v_and_b32_sdwa v10, v2, v1 dst_sel:DWORD dst_unused:UNUSED_PAD src0_sel:BYTE_3 src1_sel:DWORD
	v_mov_b32_e32 v0, v10
	v_mov_b32_e32 v1, v11
	s_and_saveexec_b32 s21, s5
; %bb.1806:                             ;   in Loop: Header=BB216_15 Depth=1
	v_ffbh_u32_e32 v0, v10
	v_min_u32_e32 v3, 32, v0
	v_subrev_nc_u32_e32 v0, 28, v3
	v_sub_nc_u32_e32 v3, 29, v3
	v_lshlrev_b64 v[0:1], v0, v[10:11]
	v_and_b32_e32 v0, 7, v0
; %bb.1807:                             ;   in Loop: Header=BB216_15 Depth=1
	s_or_b32 exec_lo, exec_lo, s21
	v_mov_b32_e32 v1, 24
	v_lshlrev_b32_e32 v0, 20, v0
	v_mov_b32_e32 v104, v11
	v_lshlrev_b32_sdwa v1, v1, v2 dst_sel:DWORD dst_unused:UNUSED_PAD src0_sel:DWORD src1_sel:BYTE_3
	v_lshl_add_u32 v2, v3, 23, 0x3c000000
	v_and_b32_e32 v1, 0x80000000, v1
	v_or3_b32 v105, v0, v1, v2
.LBB216_1808:                           ;   in Loop: Header=BB216_15 Depth=1
	s_or_b32 exec_lo, exec_lo, s20
.LBB216_1809:                           ;   in Loop: Header=BB216_15 Depth=1
	s_or_b32 exec_lo, exec_lo, s19
.LBB216_1810:                           ;   in Loop: Header=BB216_15 Depth=1
	s_or_b32 exec_lo, exec_lo, s18
	flat_load_dword v2, v[60:61] offset:1024
	v_mov_b32_e32 v16, 0
	v_mov_b32_e32 v20, 0
	;; [unrolled: 1-line block ×4, first 2 shown]
	s_waitcnt vmcnt(0) lgkmcnt(0)
	v_cmp_ne_u16_sdwa s5, v2, v11 src0_sel:BYTE_0 src1_sel:DWORD
	s_and_saveexec_b32 s18, s5
	s_cbranch_execz .LBB216_1818
; %bb.1811:                             ;   in Loop: Header=BB216_15 Depth=1
	v_mov_b32_e32 v0, 0x80
	v_bfrev_b32_e32 v20, 1
	v_mov_b32_e32 v21, 0
	v_cmp_ne_u16_sdwa s5, v2, v0 src0_sel:BYTE_0 src1_sel:DWORD
	s_and_saveexec_b32 s19, s5
	s_cbranch_execz .LBB216_1817
; %bb.1812:                             ;   in Loop: Header=BB216_15 Depth=1
	v_mov_b32_e32 v20, 0x7f800001
	v_and_b32_e32 v0, 0x7f, v2
	v_mov_b32_e32 v21, 0
	s_mov_b32 s20, exec_lo
	v_cmpx_ne_u32_e32 0x7f, v0
	s_cbranch_execz .LBB216_1816
; %bb.1813:                             ;   in Loop: Header=BB216_15 Depth=1
	v_and_b32_e32 v10, 7, v2
	v_lshrrev_b32_e32 v3, 3, v0
	v_cmp_gt_u32_e64 s5, 8, v0
	v_mov_b32_e32 v0, v10
	v_mov_b32_e32 v1, v11
	s_and_saveexec_b32 s21, s5
; %bb.1814:                             ;   in Loop: Header=BB216_15 Depth=1
	v_ffbh_u32_e32 v0, v10
	v_min_u32_e32 v3, 32, v0
	v_subrev_nc_u32_e32 v0, 28, v3
	v_sub_nc_u32_e32 v3, 29, v3
	v_lshlrev_b64 v[0:1], v0, v[10:11]
	v_and_b32_e32 v0, 7, v0
; %bb.1815:                             ;   in Loop: Header=BB216_15 Depth=1
	s_or_b32 exec_lo, exec_lo, s21
	v_lshlrev_b32_e32 v1, 24, v2
	v_lshlrev_b32_e32 v0, 20, v0
	v_lshl_add_u32 v3, v3, 23, 0x3c000000
	v_and_b32_e32 v1, 0x80000000, v1
	v_or3_b32 v10, v0, v1, v3
	v_mov_b32_e32 v21, v11
	v_mov_b32_e32 v20, v10
.LBB216_1816:                           ;   in Loop: Header=BB216_15 Depth=1
	s_or_b32 exec_lo, exec_lo, s20
.LBB216_1817:                           ;   in Loop: Header=BB216_15 Depth=1
	s_or_b32 exec_lo, exec_lo, s19
.LBB216_1818:                           ;   in Loop: Header=BB216_15 Depth=1
	s_or_b32 exec_lo, exec_lo, s18
	v_cmp_ne_u16_sdwa s5, v2, v11 src0_sel:BYTE_1 src1_sel:DWORD
	s_and_saveexec_b32 s18, s5
	s_cbranch_execz .LBB216_1826
; %bb.1819:                             ;   in Loop: Header=BB216_15 Depth=1
	v_mov_b32_e32 v115, v11
	v_mov_b32_e32 v0, 0x80
	;; [unrolled: 1-line block ×3, first 2 shown]
	v_cmp_ne_u16_sdwa s5, v2, v0 src0_sel:BYTE_1 src1_sel:DWORD
	v_mov_b32_e32 v17, v116
	s_and_saveexec_b32 s19, s5
	s_cbranch_execz .LBB216_1825
; %bb.1820:                             ;   in Loop: Header=BB216_15 Depth=1
	s_clause 0x1
	buffer_load_dword v16, off, s[0:3], s32 offset:192
	buffer_load_dword v17, off, s[0:3], s32 offset:196
	v_mov_b32_e32 v0, 0xffff
	s_waitcnt vmcnt(1)
	v_mov_b32_e32 v16, v11
	s_mov_b32 s20, exec_lo
	v_and_b32_sdwa v1, v0, v2 dst_sel:DWORD dst_unused:UNUSED_PAD src0_sel:DWORD src1_sel:BYTE_1
	v_and_b32_e32 v0, 0x7f, v1
	s_waitcnt vmcnt(0)
	v_mov_b32_e32 v3, v17
	buffer_store_dword v2, off, s[0:3], s32 offset:192 ; 4-byte Folded Spill
	buffer_store_dword v3, off, s[0:3], s32 offset:196 ; 4-byte Folded Spill
	v_cmpx_ne_u32_e32 0x7f, v0
	s_cbranch_execz .LBB216_1824
; %bb.1821:                             ;   in Loop: Header=BB216_15 Depth=1
	v_and_b32_e32 v10, 7, v1
	v_lshrrev_b32_e32 v3, 3, v0
	v_cmp_gt_u32_e64 s5, 8, v0
	v_mov_b32_e32 v0, v10
	v_mov_b32_e32 v1, v11
	s_and_saveexec_b32 s21, s5
; %bb.1822:                             ;   in Loop: Header=BB216_15 Depth=1
	v_ffbh_u32_e32 v0, v10
	v_min_u32_e32 v3, 32, v0
	v_subrev_nc_u32_e32 v0, 28, v3
	v_sub_nc_u32_e32 v3, 29, v3
	v_lshlrev_b64 v[0:1], v0, v[10:11]
	v_and_b32_e32 v0, 7, v0
; %bb.1823:                             ;   in Loop: Header=BB216_15 Depth=1
	s_or_b32 exec_lo, exec_lo, s21
	v_lshlrev_b32_e32 v1, 16, v2
	v_lshlrev_b32_e32 v0, 20, v0
	v_lshl_add_u32 v3, v3, 23, 0x3c000000
	v_mov_b32_e32 v16, v11
	v_and_b32_e32 v1, 0x80000000, v1
	v_or3_b32 v17, v0, v1, v3
.LBB216_1824:                           ;   in Loop: Header=BB216_15 Depth=1
	s_or_b32 exec_lo, exec_lo, s20
.LBB216_1825:                           ;   in Loop: Header=BB216_15 Depth=1
	s_or_b32 exec_lo, exec_lo, s19
.LBB216_1826:                           ;   in Loop: Header=BB216_15 Depth=1
	s_or_b32 exec_lo, exec_lo, s18
	v_mov_b32_e32 v0, 0xff
	v_mov_b32_e32 v106, 0
	;; [unrolled: 1-line block ×5, first 2 shown]
	v_and_b32_sdwa v0, v2, v0 dst_sel:DWORD dst_unused:UNUSED_PAD src0_sel:WORD_1 src1_sel:DWORD
	s_mov_b32 s18, exec_lo
	v_cmpx_ne_u16_e32 0, v0
	s_cbranch_execz .LBB216_1834
; %bb.1827:                             ;   in Loop: Header=BB216_15 Depth=1
	v_bfrev_b32_e32 v22, 1
	v_mov_b32_e32 v23, 0
	s_mov_b32 s19, exec_lo
	v_cmpx_ne_u16_e32 0x80, v0
	s_cbranch_execz .LBB216_1833
; %bb.1828:                             ;   in Loop: Header=BB216_15 Depth=1
	v_mov_b32_e32 v22, 0x7f800001
	v_bfe_u32 v0, v2, 16, 7
	v_mov_b32_e32 v23, 0
	s_mov_b32 s20, exec_lo
	v_cmpx_ne_u32_e32 0x7f, v0
	s_cbranch_execz .LBB216_1832
; %bb.1829:                             ;   in Loop: Header=BB216_15 Depth=1
	v_mov_b32_e32 v1, 7
	v_lshrrev_b32_e32 v3, 3, v0
	v_cmp_gt_u32_e64 s5, 8, v0
	v_and_b32_sdwa v10, v2, v1 dst_sel:DWORD dst_unused:UNUSED_PAD src0_sel:WORD_1 src1_sel:DWORD
	v_mov_b32_e32 v0, v10
	v_mov_b32_e32 v1, v11
	s_and_saveexec_b32 s21, s5
; %bb.1830:                             ;   in Loop: Header=BB216_15 Depth=1
	v_ffbh_u32_e32 v0, v10
	v_min_u32_e32 v3, 32, v0
	v_subrev_nc_u32_e32 v0, 28, v3
	v_sub_nc_u32_e32 v3, 29, v3
	v_lshlrev_b64 v[0:1], v0, v[10:11]
	v_and_b32_e32 v0, 7, v0
; %bb.1831:                             ;   in Loop: Header=BB216_15 Depth=1
	s_or_b32 exec_lo, exec_lo, s21
	v_mov_b32_e32 v1, 24
	v_lshlrev_b32_e32 v0, 20, v0
	v_lshl_add_u32 v3, v3, 23, 0x3c000000
	v_lshlrev_b32_sdwa v1, v1, v2 dst_sel:DWORD dst_unused:UNUSED_PAD src0_sel:DWORD src1_sel:WORD_1
	v_and_b32_e32 v1, 0x80000000, v1
	v_or3_b32 v10, v0, v1, v3
	v_mov_b32_e32 v23, v11
	v_mov_b32_e32 v22, v10
.LBB216_1832:                           ;   in Loop: Header=BB216_15 Depth=1
	s_or_b32 exec_lo, exec_lo, s20
.LBB216_1833:                           ;   in Loop: Header=BB216_15 Depth=1
	s_or_b32 exec_lo, exec_lo, s19
.LBB216_1834:                           ;   in Loop: Header=BB216_15 Depth=1
	s_or_b32 exec_lo, exec_lo, s18
	s_mov_b32 s18, exec_lo
	v_cmpx_lt_u32_e32 0xffffff, v2
	s_cbranch_execz .LBB216_1842
; %bb.1835:                             ;   in Loop: Header=BB216_15 Depth=1
	v_mov_b32_e32 v115, v11
	v_mov_b32_e32 v0, 0x80
	;; [unrolled: 1-line block ×3, first 2 shown]
	v_cmp_ne_u32_sdwa s5, v2, v0 src0_sel:BYTE_3 src1_sel:DWORD
	v_mov_b32_e32 v107, v116
	s_and_saveexec_b32 s19, s5
	s_cbranch_execz .LBB216_1841
; %bb.1836:                             ;   in Loop: Header=BB216_15 Depth=1
	s_clause 0x1
	buffer_load_dword v106, off, s[0:3], s32 offset:192
	buffer_load_dword v107, off, s[0:3], s32 offset:196
	v_bfe_u32 v0, v2, 24, 7
	s_waitcnt vmcnt(1)
	v_mov_b32_e32 v106, v11
	s_mov_b32 s20, exec_lo
	s_waitcnt vmcnt(0)
	v_mov_b32_e32 v1, v107
	buffer_store_dword v0, off, s[0:3], s32 offset:192 ; 4-byte Folded Spill
	buffer_store_dword v1, off, s[0:3], s32 offset:196 ; 4-byte Folded Spill
	v_cmpx_ne_u32_e32 0x7f, v0
	s_cbranch_execz .LBB216_1840
; %bb.1837:                             ;   in Loop: Header=BB216_15 Depth=1
	v_mov_b32_e32 v1, 7
	v_lshrrev_b32_e32 v3, 3, v0
	v_cmp_gt_u32_e64 s5, 8, v0
	v_and_b32_sdwa v10, v2, v1 dst_sel:DWORD dst_unused:UNUSED_PAD src0_sel:BYTE_3 src1_sel:DWORD
	v_mov_b32_e32 v0, v10
	v_mov_b32_e32 v1, v11
	s_and_saveexec_b32 s21, s5
; %bb.1838:                             ;   in Loop: Header=BB216_15 Depth=1
	v_ffbh_u32_e32 v0, v10
	v_min_u32_e32 v3, 32, v0
	v_subrev_nc_u32_e32 v0, 28, v3
	v_sub_nc_u32_e32 v3, 29, v3
	v_lshlrev_b64 v[0:1], v0, v[10:11]
	v_and_b32_e32 v0, 7, v0
; %bb.1839:                             ;   in Loop: Header=BB216_15 Depth=1
	s_or_b32 exec_lo, exec_lo, s21
	v_mov_b32_e32 v1, 24
	v_lshlrev_b32_e32 v0, 20, v0
	v_mov_b32_e32 v106, v11
	v_lshlrev_b32_sdwa v1, v1, v2 dst_sel:DWORD dst_unused:UNUSED_PAD src0_sel:DWORD src1_sel:BYTE_3
	v_lshl_add_u32 v2, v3, 23, 0x3c000000
	v_and_b32_e32 v1, 0x80000000, v1
	v_or3_b32 v107, v0, v1, v2
.LBB216_1840:                           ;   in Loop: Header=BB216_15 Depth=1
	s_or_b32 exec_lo, exec_lo, s20
.LBB216_1841:                           ;   in Loop: Header=BB216_15 Depth=1
	s_or_b32 exec_lo, exec_lo, s19
.LBB216_1842:                           ;   in Loop: Header=BB216_15 Depth=1
	s_or_b32 exec_lo, exec_lo, s18
	flat_load_dword v2, v[60:61] offset:1028
	v_mov_b32_e32 v28, 0
	v_mov_b32_e32 v72, 0
	;; [unrolled: 1-line block ×4, first 2 shown]
	s_waitcnt vmcnt(0) lgkmcnt(0)
	v_cmp_ne_u16_sdwa s5, v2, v11 src0_sel:BYTE_0 src1_sel:DWORD
	s_and_saveexec_b32 s18, s5
	s_cbranch_execz .LBB216_1850
; %bb.1843:                             ;   in Loop: Header=BB216_15 Depth=1
	v_mov_b32_e32 v0, 0x80
	v_bfrev_b32_e32 v72, 1
	v_mov_b32_e32 v73, 0
	v_cmp_ne_u16_sdwa s5, v2, v0 src0_sel:BYTE_0 src1_sel:DWORD
	s_and_saveexec_b32 s19, s5
	s_cbranch_execz .LBB216_1849
; %bb.1844:                             ;   in Loop: Header=BB216_15 Depth=1
	v_mov_b32_e32 v72, 0x7f800001
	v_and_b32_e32 v0, 0x7f, v2
	v_mov_b32_e32 v73, 0
	s_mov_b32 s20, exec_lo
	v_cmpx_ne_u32_e32 0x7f, v0
	s_cbranch_execz .LBB216_1848
; %bb.1845:                             ;   in Loop: Header=BB216_15 Depth=1
	v_and_b32_e32 v10, 7, v2
	v_lshrrev_b32_e32 v3, 3, v0
	v_cmp_gt_u32_e64 s5, 8, v0
	v_mov_b32_e32 v0, v10
	v_mov_b32_e32 v1, v11
	s_and_saveexec_b32 s21, s5
; %bb.1846:                             ;   in Loop: Header=BB216_15 Depth=1
	v_ffbh_u32_e32 v0, v10
	v_min_u32_e32 v3, 32, v0
	v_subrev_nc_u32_e32 v0, 28, v3
	v_sub_nc_u32_e32 v3, 29, v3
	v_lshlrev_b64 v[0:1], v0, v[10:11]
	v_and_b32_e32 v0, 7, v0
; %bb.1847:                             ;   in Loop: Header=BB216_15 Depth=1
	s_or_b32 exec_lo, exec_lo, s21
	v_lshlrev_b32_e32 v1, 24, v2
	v_lshlrev_b32_e32 v0, 20, v0
	v_lshl_add_u32 v3, v3, 23, 0x3c000000
	v_and_b32_e32 v1, 0x80000000, v1
	v_or3_b32 v10, v0, v1, v3
	v_mov_b32_e32 v73, v11
	v_mov_b32_e32 v72, v10
.LBB216_1848:                           ;   in Loop: Header=BB216_15 Depth=1
	s_or_b32 exec_lo, exec_lo, s20
.LBB216_1849:                           ;   in Loop: Header=BB216_15 Depth=1
	s_or_b32 exec_lo, exec_lo, s19
.LBB216_1850:                           ;   in Loop: Header=BB216_15 Depth=1
	s_or_b32 exec_lo, exec_lo, s18
	v_cmp_ne_u16_sdwa s5, v2, v11 src0_sel:BYTE_1 src1_sel:DWORD
	s_and_saveexec_b32 s18, s5
	s_cbranch_execz .LBB216_1858
; %bb.1851:                             ;   in Loop: Header=BB216_15 Depth=1
	v_mov_b32_e32 v115, v11
	v_mov_b32_e32 v0, 0x80
	;; [unrolled: 1-line block ×3, first 2 shown]
	v_cmp_ne_u16_sdwa s5, v2, v0 src0_sel:BYTE_1 src1_sel:DWORD
	v_mov_b32_e32 v29, v116
	s_and_saveexec_b32 s19, s5
	s_cbranch_execz .LBB216_1857
; %bb.1852:                             ;   in Loop: Header=BB216_15 Depth=1
	s_clause 0x1
	buffer_load_dword v28, off, s[0:3], s32 offset:192
	buffer_load_dword v29, off, s[0:3], s32 offset:196
	v_mov_b32_e32 v0, 0xffff
	s_waitcnt vmcnt(1)
	v_mov_b32_e32 v28, v11
	s_mov_b32 s20, exec_lo
	v_and_b32_sdwa v1, v0, v2 dst_sel:DWORD dst_unused:UNUSED_PAD src0_sel:DWORD src1_sel:BYTE_1
	v_and_b32_e32 v0, 0x7f, v1
	s_waitcnt vmcnt(0)
	v_mov_b32_e32 v3, v29
	buffer_store_dword v2, off, s[0:3], s32 offset:192 ; 4-byte Folded Spill
	buffer_store_dword v3, off, s[0:3], s32 offset:196 ; 4-byte Folded Spill
	v_cmpx_ne_u32_e32 0x7f, v0
	s_cbranch_execz .LBB216_1856
; %bb.1853:                             ;   in Loop: Header=BB216_15 Depth=1
	v_and_b32_e32 v10, 7, v1
	v_lshrrev_b32_e32 v3, 3, v0
	v_cmp_gt_u32_e64 s5, 8, v0
	v_mov_b32_e32 v0, v10
	v_mov_b32_e32 v1, v11
	s_and_saveexec_b32 s21, s5
; %bb.1854:                             ;   in Loop: Header=BB216_15 Depth=1
	v_ffbh_u32_e32 v0, v10
	v_min_u32_e32 v3, 32, v0
	v_subrev_nc_u32_e32 v0, 28, v3
	v_sub_nc_u32_e32 v3, 29, v3
	v_lshlrev_b64 v[0:1], v0, v[10:11]
	v_and_b32_e32 v0, 7, v0
; %bb.1855:                             ;   in Loop: Header=BB216_15 Depth=1
	s_or_b32 exec_lo, exec_lo, s21
	v_lshlrev_b32_e32 v1, 16, v2
	v_lshlrev_b32_e32 v0, 20, v0
	v_lshl_add_u32 v3, v3, 23, 0x3c000000
	v_mov_b32_e32 v28, v11
	v_and_b32_e32 v1, 0x80000000, v1
	v_or3_b32 v29, v0, v1, v3
.LBB216_1856:                           ;   in Loop: Header=BB216_15 Depth=1
	s_or_b32 exec_lo, exec_lo, s20
.LBB216_1857:                           ;   in Loop: Header=BB216_15 Depth=1
	s_or_b32 exec_lo, exec_lo, s19
.LBB216_1858:                           ;   in Loop: Header=BB216_15 Depth=1
	s_or_b32 exec_lo, exec_lo, s18
	v_mov_b32_e32 v0, 0xff
	v_mov_b32_e32 v8, 0
	;; [unrolled: 1-line block ×5, first 2 shown]
	v_and_b32_sdwa v0, v2, v0 dst_sel:DWORD dst_unused:UNUSED_PAD src0_sel:WORD_1 src1_sel:DWORD
	s_mov_b32 s18, exec_lo
	v_cmpx_ne_u16_e32 0, v0
	s_cbranch_execz .LBB216_1866
; %bb.1859:                             ;   in Loop: Header=BB216_15 Depth=1
	v_bfrev_b32_e32 v24, 1
	v_mov_b32_e32 v25, 0
	s_mov_b32 s19, exec_lo
	v_cmpx_ne_u16_e32 0x80, v0
	s_cbranch_execz .LBB216_1865
; %bb.1860:                             ;   in Loop: Header=BB216_15 Depth=1
	v_mov_b32_e32 v24, 0x7f800001
	v_bfe_u32 v0, v2, 16, 7
	v_mov_b32_e32 v25, 0
	s_mov_b32 s20, exec_lo
	v_cmpx_ne_u32_e32 0x7f, v0
	s_cbranch_execz .LBB216_1864
; %bb.1861:                             ;   in Loop: Header=BB216_15 Depth=1
	v_mov_b32_e32 v1, 7
	v_lshrrev_b32_e32 v3, 3, v0
	v_cmp_gt_u32_e64 s5, 8, v0
	v_and_b32_sdwa v10, v2, v1 dst_sel:DWORD dst_unused:UNUSED_PAD src0_sel:WORD_1 src1_sel:DWORD
	v_mov_b32_e32 v0, v10
	v_mov_b32_e32 v1, v11
	s_and_saveexec_b32 s21, s5
; %bb.1862:                             ;   in Loop: Header=BB216_15 Depth=1
	v_ffbh_u32_e32 v0, v10
	v_min_u32_e32 v3, 32, v0
	v_subrev_nc_u32_e32 v0, 28, v3
	v_sub_nc_u32_e32 v3, 29, v3
	v_lshlrev_b64 v[0:1], v0, v[10:11]
	v_and_b32_e32 v0, 7, v0
; %bb.1863:                             ;   in Loop: Header=BB216_15 Depth=1
	s_or_b32 exec_lo, exec_lo, s21
	v_mov_b32_e32 v1, 24
	v_lshlrev_b32_e32 v0, 20, v0
	v_lshl_add_u32 v3, v3, 23, 0x3c000000
	v_lshlrev_b32_sdwa v1, v1, v2 dst_sel:DWORD dst_unused:UNUSED_PAD src0_sel:DWORD src1_sel:WORD_1
	v_and_b32_e32 v1, 0x80000000, v1
	v_or3_b32 v10, v0, v1, v3
	v_mov_b32_e32 v25, v11
	v_mov_b32_e32 v24, v10
.LBB216_1864:                           ;   in Loop: Header=BB216_15 Depth=1
	s_or_b32 exec_lo, exec_lo, s20
.LBB216_1865:                           ;   in Loop: Header=BB216_15 Depth=1
	s_or_b32 exec_lo, exec_lo, s19
.LBB216_1866:                           ;   in Loop: Header=BB216_15 Depth=1
	s_or_b32 exec_lo, exec_lo, s18
	s_mov_b32 s18, exec_lo
	v_cmpx_lt_u32_e32 0xffffff, v2
	s_cbranch_execz .LBB216_1874
; %bb.1867:                             ;   in Loop: Header=BB216_15 Depth=1
	v_mov_b32_e32 v115, v11
	v_mov_b32_e32 v0, 0x80
	;; [unrolled: 1-line block ×3, first 2 shown]
	v_cmp_ne_u32_sdwa s5, v2, v0 src0_sel:BYTE_3 src1_sel:DWORD
	v_mov_b32_e32 v9, v116
	s_and_saveexec_b32 s19, s5
	s_cbranch_execz .LBB216_1873
; %bb.1868:                             ;   in Loop: Header=BB216_15 Depth=1
	s_clause 0x1
	buffer_load_dword v8, off, s[0:3], s32 offset:192
	buffer_load_dword v9, off, s[0:3], s32 offset:196
	v_bfe_u32 v0, v2, 24, 7
	s_waitcnt vmcnt(1)
	v_mov_b32_e32 v8, v11
	s_mov_b32 s20, exec_lo
	s_waitcnt vmcnt(0)
	v_mov_b32_e32 v1, v9
	buffer_store_dword v0, off, s[0:3], s32 offset:192 ; 4-byte Folded Spill
	buffer_store_dword v1, off, s[0:3], s32 offset:196 ; 4-byte Folded Spill
	v_cmpx_ne_u32_e32 0x7f, v0
	s_cbranch_execz .LBB216_1872
; %bb.1869:                             ;   in Loop: Header=BB216_15 Depth=1
	v_mov_b32_e32 v1, 7
	v_lshrrev_b32_e32 v3, 3, v0
	v_cmp_gt_u32_e64 s5, 8, v0
	v_and_b32_sdwa v10, v2, v1 dst_sel:DWORD dst_unused:UNUSED_PAD src0_sel:BYTE_3 src1_sel:DWORD
	v_mov_b32_e32 v0, v10
	v_mov_b32_e32 v1, v11
	s_and_saveexec_b32 s21, s5
; %bb.1870:                             ;   in Loop: Header=BB216_15 Depth=1
	v_ffbh_u32_e32 v0, v10
	v_min_u32_e32 v3, 32, v0
	v_subrev_nc_u32_e32 v0, 28, v3
	v_sub_nc_u32_e32 v3, 29, v3
	v_lshlrev_b64 v[0:1], v0, v[10:11]
	v_and_b32_e32 v0, 7, v0
; %bb.1871:                             ;   in Loop: Header=BB216_15 Depth=1
	s_or_b32 exec_lo, exec_lo, s21
	v_mov_b32_e32 v1, 24
	v_lshlrev_b32_e32 v0, 20, v0
	v_mov_b32_e32 v8, v11
	v_lshlrev_b32_sdwa v1, v1, v2 dst_sel:DWORD dst_unused:UNUSED_PAD src0_sel:DWORD src1_sel:BYTE_3
	v_lshl_add_u32 v2, v3, 23, 0x3c000000
	v_and_b32_e32 v1, 0x80000000, v1
	v_or3_b32 v9, v0, v1, v2
.LBB216_1872:                           ;   in Loop: Header=BB216_15 Depth=1
	s_or_b32 exec_lo, exec_lo, s20
.LBB216_1873:                           ;   in Loop: Header=BB216_15 Depth=1
	s_or_b32 exec_lo, exec_lo, s19
.LBB216_1874:                           ;   in Loop: Header=BB216_15 Depth=1
	s_or_b32 exec_lo, exec_lo, s18
	flat_load_dword v6, v[60:61] offset:1032
	v_mov_b32_e32 v96, 0
	v_mov_b32_e32 v66, 0
	;; [unrolled: 1-line block ×4, first 2 shown]
	s_waitcnt vmcnt(0) lgkmcnt(0)
	v_cmp_ne_u16_sdwa s5, v6, v11 src0_sel:BYTE_0 src1_sel:DWORD
	s_and_saveexec_b32 s18, s5
	s_cbranch_execz .LBB216_1882
; %bb.1875:                             ;   in Loop: Header=BB216_15 Depth=1
	v_mov_b32_e32 v0, 0x80
	v_bfrev_b32_e32 v66, 1
	v_mov_b32_e32 v67, 0
	v_cmp_ne_u16_sdwa s5, v6, v0 src0_sel:BYTE_0 src1_sel:DWORD
	s_and_saveexec_b32 s19, s5
	s_cbranch_execz .LBB216_1881
; %bb.1876:                             ;   in Loop: Header=BB216_15 Depth=1
	v_mov_b32_e32 v66, 0x7f800001
	v_and_b32_e32 v0, 0x7f, v6
	v_mov_b32_e32 v67, 0
	s_mov_b32 s20, exec_lo
	v_cmpx_ne_u32_e32 0x7f, v0
	s_cbranch_execz .LBB216_1880
; %bb.1877:                             ;   in Loop: Header=BB216_15 Depth=1
	v_and_b32_e32 v10, 7, v6
	v_lshrrev_b32_e32 v2, 3, v0
	v_cmp_gt_u32_e64 s5, 8, v0
	v_mov_b32_e32 v0, v10
	v_mov_b32_e32 v1, v11
	s_and_saveexec_b32 s21, s5
; %bb.1878:                             ;   in Loop: Header=BB216_15 Depth=1
	v_ffbh_u32_e32 v0, v10
	v_min_u32_e32 v2, 32, v0
	v_subrev_nc_u32_e32 v0, 28, v2
	v_sub_nc_u32_e32 v2, 29, v2
	v_lshlrev_b64 v[0:1], v0, v[10:11]
	v_and_b32_e32 v0, 7, v0
; %bb.1879:                             ;   in Loop: Header=BB216_15 Depth=1
	s_or_b32 exec_lo, exec_lo, s21
	v_lshlrev_b32_e32 v1, 24, v6
	v_lshlrev_b32_e32 v0, 20, v0
	v_lshl_add_u32 v2, v2, 23, 0x3c000000
	v_and_b32_e32 v1, 0x80000000, v1
	v_or3_b32 v10, v0, v1, v2
	v_mov_b32_e32 v67, v11
	v_mov_b32_e32 v66, v10
.LBB216_1880:                           ;   in Loop: Header=BB216_15 Depth=1
	s_or_b32 exec_lo, exec_lo, s20
.LBB216_1881:                           ;   in Loop: Header=BB216_15 Depth=1
	s_or_b32 exec_lo, exec_lo, s19
.LBB216_1882:                           ;   in Loop: Header=BB216_15 Depth=1
	s_or_b32 exec_lo, exec_lo, s18
	v_cmp_ne_u16_sdwa s5, v6, v11 src0_sel:BYTE_1 src1_sel:DWORD
	s_and_saveexec_b32 s18, s5
	s_cbranch_execz .LBB216_1890
; %bb.1883:                             ;   in Loop: Header=BB216_15 Depth=1
	v_mov_b32_e32 v115, v11
	v_mov_b32_e32 v0, 0x80
	;; [unrolled: 1-line block ×3, first 2 shown]
	v_cmp_ne_u16_sdwa s5, v6, v0 src0_sel:BYTE_1 src1_sel:DWORD
	v_mov_b32_e32 v97, v116
	s_and_saveexec_b32 s19, s5
	s_cbranch_execz .LBB216_1889
; %bb.1884:                             ;   in Loop: Header=BB216_15 Depth=1
	s_clause 0x1
	buffer_load_dword v96, off, s[0:3], s32 offset:192
	buffer_load_dword v97, off, s[0:3], s32 offset:196
	v_mov_b32_e32 v0, 0xffff
	s_waitcnt vmcnt(1)
	v_mov_b32_e32 v96, v11
	s_mov_b32 s20, exec_lo
	v_and_b32_sdwa v1, v0, v6 dst_sel:DWORD dst_unused:UNUSED_PAD src0_sel:DWORD src1_sel:BYTE_1
	v_and_b32_e32 v0, 0x7f, v1
	s_waitcnt vmcnt(0)
	v_mov_b32_e32 v7, v97
	buffer_store_dword v6, off, s[0:3], s32 offset:192 ; 4-byte Folded Spill
	buffer_store_dword v7, off, s[0:3], s32 offset:196 ; 4-byte Folded Spill
	v_cmpx_ne_u32_e32 0x7f, v0
	s_cbranch_execz .LBB216_1888
; %bb.1885:                             ;   in Loop: Header=BB216_15 Depth=1
	v_and_b32_e32 v10, 7, v1
	v_lshrrev_b32_e32 v7, 3, v0
	v_cmp_gt_u32_e64 s5, 8, v0
	v_mov_b32_e32 v0, v10
	v_mov_b32_e32 v1, v11
	s_and_saveexec_b32 s21, s5
; %bb.1886:                             ;   in Loop: Header=BB216_15 Depth=1
	v_ffbh_u32_e32 v0, v10
	v_min_u32_e32 v7, 32, v0
	v_subrev_nc_u32_e32 v0, 28, v7
	v_sub_nc_u32_e32 v7, 29, v7
	v_lshlrev_b64 v[0:1], v0, v[10:11]
	v_and_b32_e32 v0, 7, v0
; %bb.1887:                             ;   in Loop: Header=BB216_15 Depth=1
	s_or_b32 exec_lo, exec_lo, s21
	v_lshlrev_b32_e32 v1, 16, v6
	v_lshlrev_b32_e32 v0, 20, v0
	v_lshl_add_u32 v7, v7, 23, 0x3c000000
	v_mov_b32_e32 v96, v11
	v_and_b32_e32 v1, 0x80000000, v1
	v_or3_b32 v97, v0, v1, v7
.LBB216_1888:                           ;   in Loop: Header=BB216_15 Depth=1
	s_or_b32 exec_lo, exec_lo, s20
.LBB216_1889:                           ;   in Loop: Header=BB216_15 Depth=1
	s_or_b32 exec_lo, exec_lo, s19
.LBB216_1890:                           ;   in Loop: Header=BB216_15 Depth=1
	s_or_b32 exec_lo, exec_lo, s18
	v_mov_b32_e32 v0, 0xff
	v_mov_b32_e32 v30, 0
	v_mov_b32_e32 v64, 0
	v_mov_b32_e32 v31, 0
	v_mov_b32_e32 v65, 0
	v_and_b32_sdwa v0, v6, v0 dst_sel:DWORD dst_unused:UNUSED_PAD src0_sel:WORD_1 src1_sel:DWORD
	s_mov_b32 s18, exec_lo
	v_cmpx_ne_u16_e32 0, v0
	s_cbranch_execz .LBB216_1898
; %bb.1891:                             ;   in Loop: Header=BB216_15 Depth=1
	v_bfrev_b32_e32 v64, 1
	v_mov_b32_e32 v65, 0
	s_mov_b32 s19, exec_lo
	v_cmpx_ne_u16_e32 0x80, v0
	s_cbranch_execz .LBB216_1897
; %bb.1892:                             ;   in Loop: Header=BB216_15 Depth=1
	v_mov_b32_e32 v64, 0x7f800001
	v_bfe_u32 v0, v6, 16, 7
	v_mov_b32_e32 v65, 0
	s_mov_b32 s20, exec_lo
	v_cmpx_ne_u32_e32 0x7f, v0
	s_cbranch_execz .LBB216_1896
; %bb.1893:                             ;   in Loop: Header=BB216_15 Depth=1
	v_mov_b32_e32 v1, 7
	v_lshrrev_b32_e32 v7, 3, v0
	v_cmp_gt_u32_e64 s5, 8, v0
	v_and_b32_sdwa v10, v6, v1 dst_sel:DWORD dst_unused:UNUSED_PAD src0_sel:WORD_1 src1_sel:DWORD
	v_mov_b32_e32 v0, v10
	v_mov_b32_e32 v1, v11
	s_and_saveexec_b32 s21, s5
; %bb.1894:                             ;   in Loop: Header=BB216_15 Depth=1
	v_ffbh_u32_e32 v0, v10
	v_min_u32_e32 v7, 32, v0
	v_subrev_nc_u32_e32 v0, 28, v7
	v_sub_nc_u32_e32 v7, 29, v7
	v_lshlrev_b64 v[0:1], v0, v[10:11]
	v_and_b32_e32 v0, 7, v0
; %bb.1895:                             ;   in Loop: Header=BB216_15 Depth=1
	s_or_b32 exec_lo, exec_lo, s21
	v_mov_b32_e32 v1, 24
	v_lshlrev_b32_e32 v0, 20, v0
	v_lshl_add_u32 v7, v7, 23, 0x3c000000
	v_lshlrev_b32_sdwa v1, v1, v6 dst_sel:DWORD dst_unused:UNUSED_PAD src0_sel:DWORD src1_sel:WORD_1
	v_and_b32_e32 v1, 0x80000000, v1
	v_or3_b32 v10, v0, v1, v7
	v_mov_b32_e32 v65, v11
	v_mov_b32_e32 v64, v10
.LBB216_1896:                           ;   in Loop: Header=BB216_15 Depth=1
	s_or_b32 exec_lo, exec_lo, s20
.LBB216_1897:                           ;   in Loop: Header=BB216_15 Depth=1
	s_or_b32 exec_lo, exec_lo, s19
.LBB216_1898:                           ;   in Loop: Header=BB216_15 Depth=1
	s_or_b32 exec_lo, exec_lo, s18
	s_mov_b32 s18, exec_lo
	v_cmpx_lt_u32_e32 0xffffff, v6
	s_cbranch_execz .LBB216_1906
; %bb.1899:                             ;   in Loop: Header=BB216_15 Depth=1
	v_mov_b32_e32 v115, v11
	v_mov_b32_e32 v0, 0x80
	;; [unrolled: 1-line block ×3, first 2 shown]
	v_cmp_ne_u32_sdwa s5, v6, v0 src0_sel:BYTE_3 src1_sel:DWORD
	v_mov_b32_e32 v31, v116
	s_and_saveexec_b32 s19, s5
	s_cbranch_execz .LBB216_1905
; %bb.1900:                             ;   in Loop: Header=BB216_15 Depth=1
	s_clause 0x1
	buffer_load_dword v30, off, s[0:3], s32 offset:192
	buffer_load_dword v31, off, s[0:3], s32 offset:196
	v_bfe_u32 v0, v6, 24, 7
	s_waitcnt vmcnt(1)
	v_mov_b32_e32 v30, v11
	s_mov_b32 s20, exec_lo
	s_waitcnt vmcnt(0)
	v_mov_b32_e32 v1, v31
	buffer_store_dword v0, off, s[0:3], s32 offset:192 ; 4-byte Folded Spill
	buffer_store_dword v1, off, s[0:3], s32 offset:196 ; 4-byte Folded Spill
	v_cmpx_ne_u32_e32 0x7f, v0
	s_cbranch_execz .LBB216_1904
; %bb.1901:                             ;   in Loop: Header=BB216_15 Depth=1
	v_mov_b32_e32 v1, 7
	v_lshrrev_b32_e32 v7, 3, v0
	v_cmp_gt_u32_e64 s5, 8, v0
	v_and_b32_sdwa v10, v6, v1 dst_sel:DWORD dst_unused:UNUSED_PAD src0_sel:BYTE_3 src1_sel:DWORD
	v_mov_b32_e32 v0, v10
	v_mov_b32_e32 v1, v11
	s_and_saveexec_b32 s21, s5
; %bb.1902:                             ;   in Loop: Header=BB216_15 Depth=1
	v_ffbh_u32_e32 v0, v10
	v_min_u32_e32 v7, 32, v0
	v_subrev_nc_u32_e32 v0, 28, v7
	v_sub_nc_u32_e32 v7, 29, v7
	v_lshlrev_b64 v[0:1], v0, v[10:11]
	v_and_b32_e32 v0, 7, v0
; %bb.1903:                             ;   in Loop: Header=BB216_15 Depth=1
	s_or_b32 exec_lo, exec_lo, s21
	v_mov_b32_e32 v1, 24
	v_lshlrev_b32_e32 v0, 20, v0
	v_mov_b32_e32 v30, v11
	v_lshlrev_b32_sdwa v1, v1, v6 dst_sel:DWORD dst_unused:UNUSED_PAD src0_sel:DWORD src1_sel:BYTE_3
	v_lshl_add_u32 v6, v7, 23, 0x3c000000
	v_and_b32_e32 v1, 0x80000000, v1
	v_or3_b32 v31, v0, v1, v6
.LBB216_1904:                           ;   in Loop: Header=BB216_15 Depth=1
	s_or_b32 exec_lo, exec_lo, s20
.LBB216_1905:                           ;   in Loop: Header=BB216_15 Depth=1
	s_or_b32 exec_lo, exec_lo, s19
.LBB216_1906:                           ;   in Loop: Header=BB216_15 Depth=1
	s_or_b32 exec_lo, exec_lo, s18
	flat_load_dword v12, v[60:61] offset:1036
	v_mov_b32_e32 v6, 0
	v_mov_b32_e32 v41, 0
	;; [unrolled: 1-line block ×4, first 2 shown]
	s_waitcnt vmcnt(0) lgkmcnt(0)
	v_cmp_ne_u16_sdwa s5, v12, v11 src0_sel:BYTE_0 src1_sel:DWORD
	s_and_saveexec_b32 s18, s5
	s_cbranch_execz .LBB216_1914
; %bb.1907:                             ;   in Loop: Header=BB216_15 Depth=1
	v_mov_b32_e32 v0, 0x80
	v_bfrev_b32_e32 v41, 1
	v_mov_b32_e32 v42, 0
	v_cmp_ne_u16_sdwa s5, v12, v0 src0_sel:BYTE_0 src1_sel:DWORD
	s_and_saveexec_b32 s19, s5
	s_cbranch_execz .LBB216_1913
; %bb.1908:                             ;   in Loop: Header=BB216_15 Depth=1
	v_mov_b32_e32 v41, 0x7f800001
	v_and_b32_e32 v0, 0x7f, v12
	v_mov_b32_e32 v42, 0
	s_mov_b32 s20, exec_lo
	v_cmpx_ne_u32_e32 0x7f, v0
	s_cbranch_execz .LBB216_1912
; %bb.1909:                             ;   in Loop: Header=BB216_15 Depth=1
	v_and_b32_e32 v10, 7, v12
	v_lshrrev_b32_e32 v13, 3, v0
	v_cmp_gt_u32_e64 s5, 8, v0
	v_mov_b32_e32 v0, v10
	v_mov_b32_e32 v1, v11
	s_and_saveexec_b32 s21, s5
; %bb.1910:                             ;   in Loop: Header=BB216_15 Depth=1
	v_ffbh_u32_e32 v0, v10
	v_min_u32_e32 v13, 32, v0
	v_subrev_nc_u32_e32 v0, 28, v13
	v_sub_nc_u32_e32 v13, 29, v13
	v_lshlrev_b64 v[0:1], v0, v[10:11]
	v_and_b32_e32 v0, 7, v0
; %bb.1911:                             ;   in Loop: Header=BB216_15 Depth=1
	s_or_b32 exec_lo, exec_lo, s21
	v_lshlrev_b32_e32 v1, 24, v12
	v_lshlrev_b32_e32 v0, 20, v0
	v_lshl_add_u32 v10, v13, 23, 0x3c000000
	v_and_b32_e32 v1, 0x80000000, v1
	v_or3_b32 v10, v0, v1, v10
	v_mov_b32_e32 v42, v11
	v_mov_b32_e32 v41, v10
.LBB216_1912:                           ;   in Loop: Header=BB216_15 Depth=1
	s_or_b32 exec_lo, exec_lo, s20
.LBB216_1913:                           ;   in Loop: Header=BB216_15 Depth=1
	s_or_b32 exec_lo, exec_lo, s19
.LBB216_1914:                           ;   in Loop: Header=BB216_15 Depth=1
	s_or_b32 exec_lo, exec_lo, s18
	v_cmp_ne_u16_sdwa s5, v12, v11 src0_sel:BYTE_1 src1_sel:DWORD
	s_and_saveexec_b32 s18, s5
	s_cbranch_execz .LBB216_1922
; %bb.1915:                             ;   in Loop: Header=BB216_15 Depth=1
	v_mov_b32_e32 v115, v11
	v_mov_b32_e32 v0, 0x80
	;; [unrolled: 1-line block ×3, first 2 shown]
	v_cmp_ne_u16_sdwa s5, v12, v0 src0_sel:BYTE_1 src1_sel:DWORD
	v_mov_b32_e32 v7, v116
	s_and_saveexec_b32 s19, s5
	s_cbranch_execz .LBB216_1921
; %bb.1916:                             ;   in Loop: Header=BB216_15 Depth=1
	s_clause 0x1
	buffer_load_dword v6, off, s[0:3], s32 offset:192
	buffer_load_dword v7, off, s[0:3], s32 offset:196
	v_mov_b32_e32 v0, 0xffff
	v_mov_b32_e32 v18, v11
	s_mov_b32 s20, exec_lo
	v_and_b32_sdwa v1, v0, v12 dst_sel:DWORD dst_unused:UNUSED_PAD src0_sel:DWORD src1_sel:BYTE_1
	v_and_b32_e32 v0, 0x7f, v1
	s_waitcnt vmcnt(0)
	v_mov_b32_e32 v6, v7
	v_mov_b32_e32 v19, v7
	buffer_store_dword v5, off, s[0:3], s32 offset:192 ; 4-byte Folded Spill
	buffer_store_dword v6, off, s[0:3], s32 offset:196 ; 4-byte Folded Spill
	v_mov_b32_e32 v6, v18
	v_mov_b32_e32 v7, v19
	v_cmpx_ne_u32_e32 0x7f, v0
	s_cbranch_execz .LBB216_1920
; %bb.1917:                             ;   in Loop: Header=BB216_15 Depth=1
	v_and_b32_e32 v10, 7, v1
	v_lshrrev_b32_e32 v6, 3, v0
	v_cmp_gt_u32_e64 s5, 8, v0
	v_mov_b32_e32 v0, v10
	v_mov_b32_e32 v1, v11
	s_and_saveexec_b32 s21, s5
; %bb.1918:                             ;   in Loop: Header=BB216_15 Depth=1
	v_ffbh_u32_e32 v0, v10
	v_min_u32_e32 v6, 32, v0
	v_subrev_nc_u32_e32 v0, 28, v6
	v_sub_nc_u32_e32 v6, 29, v6
	v_lshlrev_b64 v[0:1], v0, v[10:11]
	v_and_b32_e32 v0, 7, v0
; %bb.1919:                             ;   in Loop: Header=BB216_15 Depth=1
	s_or_b32 exec_lo, exec_lo, s21
	v_lshlrev_b32_e32 v1, 16, v12
	v_lshlrev_b32_e32 v0, 20, v0
	v_lshl_add_u32 v6, v6, 23, 0x3c000000
	v_and_b32_e32 v1, 0x80000000, v1
	v_or3_b32 v7, v0, v1, v6
	v_mov_b32_e32 v6, v11
.LBB216_1920:                           ;   in Loop: Header=BB216_15 Depth=1
	s_or_b32 exec_lo, exec_lo, s20
.LBB216_1921:                           ;   in Loop: Header=BB216_15 Depth=1
	s_or_b32 exec_lo, exec_lo, s19
.LBB216_1922:                           ;   in Loop: Header=BB216_15 Depth=1
	s_or_b32 exec_lo, exec_lo, s18
	v_mov_b32_e32 v0, 0xff
	v_mov_b32_e32 v86, 0
	;; [unrolled: 1-line block ×5, first 2 shown]
	v_and_b32_sdwa v0, v12, v0 dst_sel:DWORD dst_unused:UNUSED_PAD src0_sel:WORD_1 src1_sel:DWORD
	s_mov_b32 s18, exec_lo
	v_cmpx_ne_u16_e32 0, v0
	s_cbranch_execz .LBB216_1930
; %bb.1923:                             ;   in Loop: Header=BB216_15 Depth=1
	v_bfrev_b32_e32 v45, 1
	v_mov_b32_e32 v46, 0
	s_mov_b32 s19, exec_lo
	v_cmpx_ne_u16_e32 0x80, v0
	s_cbranch_execz .LBB216_1929
; %bb.1924:                             ;   in Loop: Header=BB216_15 Depth=1
	v_mov_b32_e32 v45, 0x7f800001
	v_bfe_u32 v0, v12, 16, 7
	v_mov_b32_e32 v46, 0
	s_mov_b32 s20, exec_lo
	v_cmpx_ne_u32_e32 0x7f, v0
	s_cbranch_execz .LBB216_1928
; %bb.1925:                             ;   in Loop: Header=BB216_15 Depth=1
	v_mov_b32_e32 v1, 7
	v_lshrrev_b32_e32 v13, 3, v0
	v_cmp_gt_u32_e64 s5, 8, v0
	v_and_b32_sdwa v10, v12, v1 dst_sel:DWORD dst_unused:UNUSED_PAD src0_sel:WORD_1 src1_sel:DWORD
	v_mov_b32_e32 v0, v10
	v_mov_b32_e32 v1, v11
	s_and_saveexec_b32 s21, s5
; %bb.1926:                             ;   in Loop: Header=BB216_15 Depth=1
	v_ffbh_u32_e32 v0, v10
	v_min_u32_e32 v13, 32, v0
	v_subrev_nc_u32_e32 v0, 28, v13
	v_sub_nc_u32_e32 v13, 29, v13
	v_lshlrev_b64 v[0:1], v0, v[10:11]
	v_and_b32_e32 v0, 7, v0
; %bb.1927:                             ;   in Loop: Header=BB216_15 Depth=1
	s_or_b32 exec_lo, exec_lo, s21
	v_mov_b32_e32 v1, 24
	v_lshlrev_b32_e32 v0, 20, v0
	v_lshl_add_u32 v10, v13, 23, 0x3c000000
	v_lshlrev_b32_sdwa v1, v1, v12 dst_sel:DWORD dst_unused:UNUSED_PAD src0_sel:DWORD src1_sel:WORD_1
	v_and_b32_e32 v1, 0x80000000, v1
	v_or3_b32 v10, v0, v1, v10
	v_mov_b32_e32 v46, v11
	v_mov_b32_e32 v45, v10
.LBB216_1928:                           ;   in Loop: Header=BB216_15 Depth=1
	s_or_b32 exec_lo, exec_lo, s20
.LBB216_1929:                           ;   in Loop: Header=BB216_15 Depth=1
	s_or_b32 exec_lo, exec_lo, s19
.LBB216_1930:                           ;   in Loop: Header=BB216_15 Depth=1
	s_or_b32 exec_lo, exec_lo, s18
	s_mov_b32 s18, exec_lo
	v_cmpx_lt_u32_e32 0xffffff, v12
	s_cbranch_execz .LBB216_1938
; %bb.1931:                             ;   in Loop: Header=BB216_15 Depth=1
	v_mov_b32_e32 v115, v11
	v_mov_b32_e32 v0, 0x80
	;; [unrolled: 1-line block ×3, first 2 shown]
	v_cmp_ne_u32_sdwa s5, v12, v0 src0_sel:BYTE_3 src1_sel:DWORD
	v_mov_b32_e32 v87, v116
	s_and_saveexec_b32 s19, s5
	s_cbranch_execz .LBB216_1937
; %bb.1932:                             ;   in Loop: Header=BB216_15 Depth=1
	s_clause 0x1
	buffer_load_dword v86, off, s[0:3], s32 offset:192
	buffer_load_dword v87, off, s[0:3], s32 offset:196
	v_bfe_u32 v0, v12, 24, 7
	s_waitcnt vmcnt(1)
	v_mov_b32_e32 v86, v11
	s_mov_b32 s20, exec_lo
	s_waitcnt vmcnt(0)
	v_mov_b32_e32 v1, v87
	buffer_store_dword v0, off, s[0:3], s32 offset:192 ; 4-byte Folded Spill
	buffer_store_dword v1, off, s[0:3], s32 offset:196 ; 4-byte Folded Spill
	v_cmpx_ne_u32_e32 0x7f, v0
	s_cbranch_execz .LBB216_1936
; %bb.1933:                             ;   in Loop: Header=BB216_15 Depth=1
	v_mov_b32_e32 v1, 7
	v_lshrrev_b32_e32 v13, 3, v0
	v_cmp_gt_u32_e64 s5, 8, v0
	v_and_b32_sdwa v10, v12, v1 dst_sel:DWORD dst_unused:UNUSED_PAD src0_sel:BYTE_3 src1_sel:DWORD
	v_mov_b32_e32 v0, v10
	v_mov_b32_e32 v1, v11
	s_and_saveexec_b32 s21, s5
; %bb.1934:                             ;   in Loop: Header=BB216_15 Depth=1
	v_ffbh_u32_e32 v0, v10
	v_min_u32_e32 v13, 32, v0
	v_subrev_nc_u32_e32 v0, 28, v13
	v_sub_nc_u32_e32 v13, 29, v13
	v_lshlrev_b64 v[0:1], v0, v[10:11]
	v_and_b32_e32 v0, 7, v0
; %bb.1935:                             ;   in Loop: Header=BB216_15 Depth=1
	s_or_b32 exec_lo, exec_lo, s21
	v_mov_b32_e32 v1, 24
	v_lshlrev_b32_e32 v0, 20, v0
	v_lshl_add_u32 v10, v13, 23, 0x3c000000
	v_mov_b32_e32 v86, v11
	v_lshlrev_b32_sdwa v1, v1, v12 dst_sel:DWORD dst_unused:UNUSED_PAD src0_sel:DWORD src1_sel:BYTE_3
	v_and_b32_e32 v1, 0x80000000, v1
	v_or3_b32 v87, v0, v1, v10
.LBB216_1936:                           ;   in Loop: Header=BB216_15 Depth=1
	s_or_b32 exec_lo, exec_lo, s20
.LBB216_1937:                           ;   in Loop: Header=BB216_15 Depth=1
	s_or_b32 exec_lo, exec_lo, s19
.LBB216_1938:                           ;   in Loop: Header=BB216_15 Depth=1
	s_or_b32 exec_lo, exec_lo, s18
	flat_load_dword v34, v[60:61] offset:1536
	v_mov_b32_e32 v12, 0
	v_mov_b32_e32 v122, 0
	;; [unrolled: 1-line block ×4, first 2 shown]
	s_waitcnt vmcnt(0) lgkmcnt(0)
	v_cmp_ne_u16_sdwa s5, v34, v11 src0_sel:BYTE_0 src1_sel:DWORD
	s_and_saveexec_b32 s18, s5
	s_cbranch_execz .LBB216_1946
; %bb.1939:                             ;   in Loop: Header=BB216_15 Depth=1
	v_mov_b32_e32 v0, 0x80
	v_bfrev_b32_e32 v122, 1
	v_mov_b32_e32 v123, 0
	v_cmp_ne_u16_sdwa s5, v34, v0 src0_sel:BYTE_0 src1_sel:DWORD
	s_and_saveexec_b32 s19, s5
	s_cbranch_execz .LBB216_1945
; %bb.1940:                             ;   in Loop: Header=BB216_15 Depth=1
	v_mov_b32_e32 v122, 0x7f800001
	v_and_b32_e32 v0, 0x7f, v34
	v_mov_b32_e32 v123, 0
	s_mov_b32 s20, exec_lo
	v_cmpx_ne_u32_e32 0x7f, v0
	s_cbranch_execz .LBB216_1944
; %bb.1941:                             ;   in Loop: Header=BB216_15 Depth=1
	v_and_b32_e32 v10, 7, v34
	v_lshrrev_b32_e32 v35, 3, v0
	v_cmp_gt_u32_e64 s5, 8, v0
	v_mov_b32_e32 v0, v10
	v_mov_b32_e32 v1, v11
	s_and_saveexec_b32 s21, s5
; %bb.1942:                             ;   in Loop: Header=BB216_15 Depth=1
	v_ffbh_u32_e32 v0, v10
	v_min_u32_e32 v35, 32, v0
	v_subrev_nc_u32_e32 v0, 28, v35
	v_sub_nc_u32_e32 v35, 29, v35
	v_lshlrev_b64 v[0:1], v0, v[10:11]
	v_and_b32_e32 v0, 7, v0
; %bb.1943:                             ;   in Loop: Header=BB216_15 Depth=1
	s_or_b32 exec_lo, exec_lo, s21
	v_lshlrev_b32_e32 v1, 24, v34
	v_lshlrev_b32_e32 v0, 20, v0
	v_lshl_add_u32 v10, v35, 23, 0x3c000000
	v_and_b32_e32 v1, 0x80000000, v1
	v_or3_b32 v10, v0, v1, v10
	v_mov_b32_e32 v123, v11
	v_mov_b32_e32 v122, v10
.LBB216_1944:                           ;   in Loop: Header=BB216_15 Depth=1
	s_or_b32 exec_lo, exec_lo, s20
.LBB216_1945:                           ;   in Loop: Header=BB216_15 Depth=1
	s_or_b32 exec_lo, exec_lo, s19
.LBB216_1946:                           ;   in Loop: Header=BB216_15 Depth=1
	s_or_b32 exec_lo, exec_lo, s18
	v_cmp_ne_u16_sdwa s5, v34, v11 src0_sel:BYTE_1 src1_sel:DWORD
	s_and_saveexec_b32 s18, s5
	s_cbranch_execz .LBB216_1954
; %bb.1947:                             ;   in Loop: Header=BB216_15 Depth=1
	v_mov_b32_e32 v115, v11
	v_mov_b32_e32 v0, 0x80
	v_mov_b32_e32 v12, v115
	v_cmp_ne_u16_sdwa s5, v34, v0 src0_sel:BYTE_1 src1_sel:DWORD
	v_mov_b32_e32 v13, v116
	s_and_saveexec_b32 s19, s5
	s_cbranch_execz .LBB216_1953
; %bb.1948:                             ;   in Loop: Header=BB216_15 Depth=1
	s_clause 0x1
	buffer_load_dword v12, off, s[0:3], s32 offset:192
	buffer_load_dword v13, off, s[0:3], s32 offset:196
	v_mov_b32_e32 v0, 0xffff
	s_waitcnt vmcnt(1)
	v_mov_b32_e32 v12, v11
	s_mov_b32 s20, exec_lo
	v_and_b32_sdwa v1, v0, v34 dst_sel:DWORD dst_unused:UNUSED_PAD src0_sel:DWORD src1_sel:BYTE_1
	v_and_b32_e32 v0, 0x7f, v1
	s_waitcnt vmcnt(0)
	v_mov_b32_e32 v10, v13
	buffer_store_dword v9, off, s[0:3], s32 offset:192 ; 4-byte Folded Spill
	buffer_store_dword v10, off, s[0:3], s32 offset:196 ; 4-byte Folded Spill
	v_cmpx_ne_u32_e32 0x7f, v0
	s_cbranch_execz .LBB216_1952
; %bb.1949:                             ;   in Loop: Header=BB216_15 Depth=1
	v_and_b32_e32 v10, 7, v1
	v_lshrrev_b32_e32 v12, 3, v0
	v_cmp_gt_u32_e64 s5, 8, v0
	v_mov_b32_e32 v0, v10
	v_mov_b32_e32 v1, v11
	s_and_saveexec_b32 s21, s5
; %bb.1950:                             ;   in Loop: Header=BB216_15 Depth=1
	v_ffbh_u32_e32 v0, v10
	v_min_u32_e32 v12, 32, v0
	v_subrev_nc_u32_e32 v0, 28, v12
	v_sub_nc_u32_e32 v12, 29, v12
	v_lshlrev_b64 v[0:1], v0, v[10:11]
	v_and_b32_e32 v0, 7, v0
; %bb.1951:                             ;   in Loop: Header=BB216_15 Depth=1
	s_or_b32 exec_lo, exec_lo, s21
	v_lshlrev_b32_e32 v1, 16, v34
	v_lshlrev_b32_e32 v0, 20, v0
	v_lshl_add_u32 v10, v12, 23, 0x3c000000
	v_mov_b32_e32 v12, v11
	v_and_b32_e32 v1, 0x80000000, v1
	v_or3_b32 v13, v0, v1, v10
.LBB216_1952:                           ;   in Loop: Header=BB216_15 Depth=1
	s_or_b32 exec_lo, exec_lo, s20
.LBB216_1953:                           ;   in Loop: Header=BB216_15 Depth=1
	s_or_b32 exec_lo, exec_lo, s19
.LBB216_1954:                           ;   in Loop: Header=BB216_15 Depth=1
	s_or_b32 exec_lo, exec_lo, s18
	v_mov_b32_e32 v0, 0xff
	v_mov_b32_e32 v108, 0
	v_mov_b32_e32 v54, 0
	v_mov_b32_e32 v109, 0
	v_mov_b32_e32 v55, 0
	v_and_b32_sdwa v0, v34, v0 dst_sel:DWORD dst_unused:UNUSED_PAD src0_sel:WORD_1 src1_sel:DWORD
	s_mov_b32 s18, exec_lo
	v_cmpx_ne_u16_e32 0, v0
	s_cbranch_execz .LBB216_1962
; %bb.1955:                             ;   in Loop: Header=BB216_15 Depth=1
	v_bfrev_b32_e32 v54, 1
	v_mov_b32_e32 v55, 0
	s_mov_b32 s19, exec_lo
	v_cmpx_ne_u16_e32 0x80, v0
	s_cbranch_execz .LBB216_1961
; %bb.1956:                             ;   in Loop: Header=BB216_15 Depth=1
	v_mov_b32_e32 v54, 0x7f800001
	v_bfe_u32 v0, v34, 16, 7
	v_mov_b32_e32 v55, 0
	s_mov_b32 s20, exec_lo
	v_cmpx_ne_u32_e32 0x7f, v0
	s_cbranch_execz .LBB216_1960
; %bb.1957:                             ;   in Loop: Header=BB216_15 Depth=1
	v_mov_b32_e32 v1, 7
	v_lshrrev_b32_e32 v35, 3, v0
	v_cmp_gt_u32_e64 s5, 8, v0
	v_and_b32_sdwa v10, v34, v1 dst_sel:DWORD dst_unused:UNUSED_PAD src0_sel:WORD_1 src1_sel:DWORD
	v_mov_b32_e32 v0, v10
	v_mov_b32_e32 v1, v11
	s_and_saveexec_b32 s21, s5
; %bb.1958:                             ;   in Loop: Header=BB216_15 Depth=1
	v_ffbh_u32_e32 v0, v10
	v_min_u32_e32 v35, 32, v0
	v_subrev_nc_u32_e32 v0, 28, v35
	v_sub_nc_u32_e32 v35, 29, v35
	v_lshlrev_b64 v[0:1], v0, v[10:11]
	v_and_b32_e32 v0, 7, v0
; %bb.1959:                             ;   in Loop: Header=BB216_15 Depth=1
	s_or_b32 exec_lo, exec_lo, s21
	v_mov_b32_e32 v1, 24
	v_lshlrev_b32_e32 v0, 20, v0
	v_lshl_add_u32 v10, v35, 23, 0x3c000000
	v_lshlrev_b32_sdwa v1, v1, v34 dst_sel:DWORD dst_unused:UNUSED_PAD src0_sel:DWORD src1_sel:WORD_1
	v_and_b32_e32 v1, 0x80000000, v1
	v_or3_b32 v10, v0, v1, v10
	v_mov_b32_e32 v55, v11
	v_mov_b32_e32 v54, v10
.LBB216_1960:                           ;   in Loop: Header=BB216_15 Depth=1
	s_or_b32 exec_lo, exec_lo, s20
.LBB216_1961:                           ;   in Loop: Header=BB216_15 Depth=1
	s_or_b32 exec_lo, exec_lo, s19
.LBB216_1962:                           ;   in Loop: Header=BB216_15 Depth=1
	s_or_b32 exec_lo, exec_lo, s18
	s_mov_b32 s18, exec_lo
	v_cmpx_lt_u32_e32 0xffffff, v34
	s_cbranch_execz .LBB216_1970
; %bb.1963:                             ;   in Loop: Header=BB216_15 Depth=1
	v_mov_b32_e32 v115, v11
	v_mov_b32_e32 v0, 0x80
	;; [unrolled: 1-line block ×3, first 2 shown]
	v_cmp_ne_u32_sdwa s5, v34, v0 src0_sel:BYTE_3 src1_sel:DWORD
	v_mov_b32_e32 v109, v116
	s_and_saveexec_b32 s19, s5
	s_cbranch_execz .LBB216_1969
; %bb.1964:                             ;   in Loop: Header=BB216_15 Depth=1
	s_clause 0x1
	buffer_load_dword v108, off, s[0:3], s32 offset:192
	buffer_load_dword v109, off, s[0:3], s32 offset:196
	v_bfe_u32 v0, v34, 24, 7
	s_waitcnt vmcnt(1)
	v_mov_b32_e32 v108, v11
	s_mov_b32 s20, exec_lo
	s_waitcnt vmcnt(0)
	v_mov_b32_e32 v1, v109
	buffer_store_dword v0, off, s[0:3], s32 offset:192 ; 4-byte Folded Spill
	buffer_store_dword v1, off, s[0:3], s32 offset:196 ; 4-byte Folded Spill
	v_cmpx_ne_u32_e32 0x7f, v0
	s_cbranch_execz .LBB216_1968
; %bb.1965:                             ;   in Loop: Header=BB216_15 Depth=1
	v_mov_b32_e32 v1, 7
	v_lshrrev_b32_e32 v35, 3, v0
	v_cmp_gt_u32_e64 s5, 8, v0
	v_and_b32_sdwa v10, v34, v1 dst_sel:DWORD dst_unused:UNUSED_PAD src0_sel:BYTE_3 src1_sel:DWORD
	v_mov_b32_e32 v0, v10
	v_mov_b32_e32 v1, v11
	s_and_saveexec_b32 s21, s5
; %bb.1966:                             ;   in Loop: Header=BB216_15 Depth=1
	v_ffbh_u32_e32 v0, v10
	v_min_u32_e32 v35, 32, v0
	v_subrev_nc_u32_e32 v0, 28, v35
	v_sub_nc_u32_e32 v35, 29, v35
	v_lshlrev_b64 v[0:1], v0, v[10:11]
	v_and_b32_e32 v0, 7, v0
; %bb.1967:                             ;   in Loop: Header=BB216_15 Depth=1
	s_or_b32 exec_lo, exec_lo, s21
	v_mov_b32_e32 v1, 24
	v_lshlrev_b32_e32 v0, 20, v0
	v_lshl_add_u32 v10, v35, 23, 0x3c000000
	v_mov_b32_e32 v108, v11
	v_lshlrev_b32_sdwa v1, v1, v34 dst_sel:DWORD dst_unused:UNUSED_PAD src0_sel:DWORD src1_sel:BYTE_3
	v_and_b32_e32 v1, 0x80000000, v1
	v_or3_b32 v109, v0, v1, v10
.LBB216_1968:                           ;   in Loop: Header=BB216_15 Depth=1
	s_or_b32 exec_lo, exec_lo, s20
.LBB216_1969:                           ;   in Loop: Header=BB216_15 Depth=1
	s_or_b32 exec_lo, exec_lo, s19
.LBB216_1970:                           ;   in Loop: Header=BB216_15 Depth=1
	s_or_b32 exec_lo, exec_lo, s18
	flat_load_dword v68, v[60:61] offset:1540
	v_mov_b32_e32 v88, 0
	v_mov_b32_e32 v18, 0
	v_mov_b32_e32 v89, 0
	v_mov_b32_e32 v19, 0
	s_waitcnt vmcnt(0) lgkmcnt(0)
	v_cmp_ne_u16_sdwa s5, v68, v11 src0_sel:BYTE_0 src1_sel:DWORD
	s_and_saveexec_b32 s18, s5
	s_cbranch_execz .LBB216_1978
; %bb.1971:                             ;   in Loop: Header=BB216_15 Depth=1
	v_mov_b32_e32 v0, 0x80
	v_bfrev_b32_e32 v18, 1
	v_mov_b32_e32 v19, 0
	v_cmp_ne_u16_sdwa s5, v68, v0 src0_sel:BYTE_0 src1_sel:DWORD
	s_and_saveexec_b32 s19, s5
	s_cbranch_execz .LBB216_1977
; %bb.1972:                             ;   in Loop: Header=BB216_15 Depth=1
	v_mov_b32_e32 v18, 0x7f800001
	v_and_b32_e32 v0, 0x7f, v68
	v_mov_b32_e32 v19, 0
	s_mov_b32 s20, exec_lo
	v_cmpx_ne_u32_e32 0x7f, v0
	s_cbranch_execz .LBB216_1976
; %bb.1973:                             ;   in Loop: Header=BB216_15 Depth=1
	v_and_b32_e32 v10, 7, v68
	v_lshrrev_b32_e32 v34, 3, v0
	v_cmp_gt_u32_e64 s5, 8, v0
	v_mov_b32_e32 v0, v10
	v_mov_b32_e32 v1, v11
	s_and_saveexec_b32 s21, s5
; %bb.1974:                             ;   in Loop: Header=BB216_15 Depth=1
	v_ffbh_u32_e32 v0, v10
	v_min_u32_e32 v34, 32, v0
	v_subrev_nc_u32_e32 v0, 28, v34
	v_sub_nc_u32_e32 v34, 29, v34
	v_lshlrev_b64 v[0:1], v0, v[10:11]
	v_and_b32_e32 v0, 7, v0
; %bb.1975:                             ;   in Loop: Header=BB216_15 Depth=1
	s_or_b32 exec_lo, exec_lo, s21
	v_lshlrev_b32_e32 v1, 24, v68
	v_lshlrev_b32_e32 v0, 20, v0
	v_lshl_add_u32 v10, v34, 23, 0x3c000000
	v_and_b32_e32 v1, 0x80000000, v1
	v_or3_b32 v10, v0, v1, v10
	v_mov_b32_e32 v19, v11
	v_mov_b32_e32 v18, v10
.LBB216_1976:                           ;   in Loop: Header=BB216_15 Depth=1
	s_or_b32 exec_lo, exec_lo, s20
.LBB216_1977:                           ;   in Loop: Header=BB216_15 Depth=1
	s_or_b32 exec_lo, exec_lo, s19
.LBB216_1978:                           ;   in Loop: Header=BB216_15 Depth=1
	s_or_b32 exec_lo, exec_lo, s18
	v_cmp_ne_u16_sdwa s5, v68, v11 src0_sel:BYTE_1 src1_sel:DWORD
	s_and_saveexec_b32 s18, s5
	s_cbranch_execz .LBB216_1986
; %bb.1979:                             ;   in Loop: Header=BB216_15 Depth=1
	v_mov_b32_e32 v115, v11
	v_mov_b32_e32 v0, 0x80
	;; [unrolled: 1-line block ×3, first 2 shown]
	v_cmp_ne_u16_sdwa s5, v68, v0 src0_sel:BYTE_1 src1_sel:DWORD
	v_mov_b32_e32 v89, v116
	s_and_saveexec_b32 s19, s5
	s_cbranch_execz .LBB216_1985
; %bb.1980:                             ;   in Loop: Header=BB216_15 Depth=1
	s_clause 0x1
	buffer_load_dword v88, off, s[0:3], s32 offset:192
	buffer_load_dword v89, off, s[0:3], s32 offset:196
	v_mov_b32_e32 v0, 0xffff
	s_waitcnt vmcnt(1)
	v_mov_b32_e32 v88, v11
	s_mov_b32 s20, exec_lo
	v_and_b32_sdwa v1, v0, v68 dst_sel:DWORD dst_unused:UNUSED_PAD src0_sel:DWORD src1_sel:BYTE_1
	v_and_b32_e32 v0, 0x7f, v1
	s_waitcnt vmcnt(0)
	v_mov_b32_e32 v10, v89
	buffer_store_dword v9, off, s[0:3], s32 offset:192 ; 4-byte Folded Spill
	buffer_store_dword v10, off, s[0:3], s32 offset:196 ; 4-byte Folded Spill
	v_cmpx_ne_u32_e32 0x7f, v0
	s_cbranch_execz .LBB216_1984
; %bb.1981:                             ;   in Loop: Header=BB216_15 Depth=1
	v_and_b32_e32 v10, 7, v1
	v_lshrrev_b32_e32 v34, 3, v0
	v_cmp_gt_u32_e64 s5, 8, v0
	v_mov_b32_e32 v0, v10
	v_mov_b32_e32 v1, v11
	s_and_saveexec_b32 s21, s5
; %bb.1982:                             ;   in Loop: Header=BB216_15 Depth=1
	v_ffbh_u32_e32 v0, v10
	v_min_u32_e32 v34, 32, v0
	v_subrev_nc_u32_e32 v0, 28, v34
	v_sub_nc_u32_e32 v34, 29, v34
	v_lshlrev_b64 v[0:1], v0, v[10:11]
	v_and_b32_e32 v0, 7, v0
; %bb.1983:                             ;   in Loop: Header=BB216_15 Depth=1
	s_or_b32 exec_lo, exec_lo, s21
	v_lshlrev_b32_e32 v1, 16, v68
	v_lshlrev_b32_e32 v0, 20, v0
	v_lshl_add_u32 v10, v34, 23, 0x3c000000
	v_mov_b32_e32 v88, v11
	v_and_b32_e32 v1, 0x80000000, v1
	v_or3_b32 v89, v0, v1, v10
.LBB216_1984:                           ;   in Loop: Header=BB216_15 Depth=1
	s_or_b32 exec_lo, exec_lo, s20
.LBB216_1985:                           ;   in Loop: Header=BB216_15 Depth=1
	s_or_b32 exec_lo, exec_lo, s19
.LBB216_1986:                           ;   in Loop: Header=BB216_15 Depth=1
	s_or_b32 exec_lo, exec_lo, s18
	v_mov_b32_e32 v0, 0xff
	v_mov_b32_e32 v47, 0
	;; [unrolled: 1-line block ×5, first 2 shown]
	v_and_b32_sdwa v0, v68, v0 dst_sel:DWORD dst_unused:UNUSED_PAD src0_sel:WORD_1 src1_sel:DWORD
	s_mov_b32 s18, exec_lo
	v_cmpx_ne_u16_e32 0, v0
	s_cbranch_execz .LBB216_1994
; %bb.1987:                             ;   in Loop: Header=BB216_15 Depth=1
	v_bfrev_b32_e32 v110, 1
	v_mov_b32_e32 v111, 0
	s_mov_b32 s19, exec_lo
	v_cmpx_ne_u16_e32 0x80, v0
	s_cbranch_execz .LBB216_1993
; %bb.1988:                             ;   in Loop: Header=BB216_15 Depth=1
	v_mov_b32_e32 v110, 0x7f800001
	v_bfe_u32 v0, v68, 16, 7
	v_mov_b32_e32 v111, 0
	s_mov_b32 s20, exec_lo
	v_cmpx_ne_u32_e32 0x7f, v0
	s_cbranch_execz .LBB216_1992
; %bb.1989:                             ;   in Loop: Header=BB216_15 Depth=1
	v_mov_b32_e32 v1, 7
	v_lshrrev_b32_e32 v36, 3, v0
	v_cmp_gt_u32_e64 s5, 8, v0
	v_and_b32_sdwa v10, v68, v1 dst_sel:DWORD dst_unused:UNUSED_PAD src0_sel:WORD_1 src1_sel:DWORD
	v_mov_b32_e32 v0, v10
	v_mov_b32_e32 v1, v11
	s_and_saveexec_b32 s21, s5
; %bb.1990:                             ;   in Loop: Header=BB216_15 Depth=1
	v_ffbh_u32_e32 v0, v10
	v_min_u32_e32 v36, 32, v0
	v_subrev_nc_u32_e32 v0, 28, v36
	v_sub_nc_u32_e32 v36, 29, v36
	v_lshlrev_b64 v[0:1], v0, v[10:11]
	v_and_b32_e32 v0, 7, v0
; %bb.1991:                             ;   in Loop: Header=BB216_15 Depth=1
	s_or_b32 exec_lo, exec_lo, s21
	v_mov_b32_e32 v1, 24
	v_lshlrev_b32_e32 v0, 20, v0
	v_lshl_add_u32 v10, v36, 23, 0x3c000000
	v_lshlrev_b32_sdwa v1, v1, v68 dst_sel:DWORD dst_unused:UNUSED_PAD src0_sel:DWORD src1_sel:WORD_1
	v_and_b32_e32 v1, 0x80000000, v1
	v_or3_b32 v10, v0, v1, v10
	v_mov_b32_e32 v111, v11
	v_mov_b32_e32 v110, v10
.LBB216_1992:                           ;   in Loop: Header=BB216_15 Depth=1
	s_or_b32 exec_lo, exec_lo, s20
.LBB216_1993:                           ;   in Loop: Header=BB216_15 Depth=1
	s_or_b32 exec_lo, exec_lo, s19
.LBB216_1994:                           ;   in Loop: Header=BB216_15 Depth=1
	s_or_b32 exec_lo, exec_lo, s18
	s_mov_b32 s18, exec_lo
	v_cmpx_lt_u32_e32 0xffffff, v68
	s_cbranch_execz .LBB216_2002
; %bb.1995:                             ;   in Loop: Header=BB216_15 Depth=1
	v_mov_b32_e32 v115, v11
	v_mov_b32_e32 v0, 0x80
	v_mov_b32_e32 v47, v115
	v_cmp_ne_u32_sdwa s5, v68, v0 src0_sel:BYTE_3 src1_sel:DWORD
	v_mov_b32_e32 v48, v116
	s_and_saveexec_b32 s19, s5
	s_cbranch_execz .LBB216_2001
; %bb.1996:                             ;   in Loop: Header=BB216_15 Depth=1
	s_clause 0x1
	buffer_load_dword v47, off, s[0:3], s32 offset:192
	buffer_load_dword v48, off, s[0:3], s32 offset:196
	v_bfe_u32 v0, v68, 24, 7
	s_waitcnt vmcnt(1)
	v_mov_b32_e32 v47, v11
	s_mov_b32 s20, exec_lo
	s_waitcnt vmcnt(0)
	v_mov_b32_e32 v1, v48
	buffer_store_dword v0, off, s[0:3], s32 offset:192 ; 4-byte Folded Spill
	buffer_store_dword v1, off, s[0:3], s32 offset:196 ; 4-byte Folded Spill
	v_cmpx_ne_u32_e32 0x7f, v0
	s_cbranch_execz .LBB216_2000
; %bb.1997:                             ;   in Loop: Header=BB216_15 Depth=1
	v_mov_b32_e32 v1, 7
	v_lshrrev_b32_e32 v34, 3, v0
	v_cmp_gt_u32_e64 s5, 8, v0
	v_and_b32_sdwa v10, v68, v1 dst_sel:DWORD dst_unused:UNUSED_PAD src0_sel:BYTE_3 src1_sel:DWORD
	v_mov_b32_e32 v0, v10
	v_mov_b32_e32 v1, v11
	s_and_saveexec_b32 s21, s5
; %bb.1998:                             ;   in Loop: Header=BB216_15 Depth=1
	v_ffbh_u32_e32 v0, v10
	v_min_u32_e32 v34, 32, v0
	v_subrev_nc_u32_e32 v0, 28, v34
	v_sub_nc_u32_e32 v34, 29, v34
	v_lshlrev_b64 v[0:1], v0, v[10:11]
	v_and_b32_e32 v0, 7, v0
; %bb.1999:                             ;   in Loop: Header=BB216_15 Depth=1
	s_or_b32 exec_lo, exec_lo, s21
	v_mov_b32_e32 v1, 24
	v_lshlrev_b32_e32 v0, 20, v0
	v_lshl_add_u32 v10, v34, 23, 0x3c000000
	v_mov_b32_e32 v47, v11
	v_lshlrev_b32_sdwa v1, v1, v68 dst_sel:DWORD dst_unused:UNUSED_PAD src0_sel:DWORD src1_sel:BYTE_3
	v_and_b32_e32 v1, 0x80000000, v1
	v_or3_b32 v48, v0, v1, v10
.LBB216_2000:                           ;   in Loop: Header=BB216_15 Depth=1
	s_or_b32 exec_lo, exec_lo, s20
.LBB216_2001:                           ;   in Loop: Header=BB216_15 Depth=1
	s_or_b32 exec_lo, exec_lo, s19
.LBB216_2002:                           ;   in Loop: Header=BB216_15 Depth=1
	s_or_b32 exec_lo, exec_lo, s18
	flat_load_dword v84, v[60:61] offset:1544
	v_mov_b32_e32 v118, 0
	v_mov_b32_e32 v112, 0
	;; [unrolled: 1-line block ×4, first 2 shown]
	s_waitcnt vmcnt(0) lgkmcnt(0)
	v_cmp_ne_u16_sdwa s5, v84, v11 src0_sel:BYTE_0 src1_sel:DWORD
	s_and_saveexec_b32 s18, s5
	s_cbranch_execz .LBB216_2010
; %bb.2003:                             ;   in Loop: Header=BB216_15 Depth=1
	v_mov_b32_e32 v0, 0x80
	v_bfrev_b32_e32 v112, 1
	v_mov_b32_e32 v113, 0
	v_cmp_ne_u16_sdwa s5, v84, v0 src0_sel:BYTE_0 src1_sel:DWORD
	s_and_saveexec_b32 s19, s5
	s_cbranch_execz .LBB216_2009
; %bb.2004:                             ;   in Loop: Header=BB216_15 Depth=1
	v_mov_b32_e32 v112, 0x7f800001
	v_and_b32_e32 v0, 0x7f, v84
	v_mov_b32_e32 v113, 0
	s_mov_b32 s20, exec_lo
	v_cmpx_ne_u32_e32 0x7f, v0
	s_cbranch_execz .LBB216_2008
; %bb.2005:                             ;   in Loop: Header=BB216_15 Depth=1
	v_and_b32_e32 v10, 7, v84
	v_lshrrev_b32_e32 v36, 3, v0
	v_cmp_gt_u32_e64 s5, 8, v0
	v_mov_b32_e32 v0, v10
	v_mov_b32_e32 v1, v11
	s_and_saveexec_b32 s21, s5
; %bb.2006:                             ;   in Loop: Header=BB216_15 Depth=1
	v_ffbh_u32_e32 v0, v10
	v_min_u32_e32 v36, 32, v0
	v_subrev_nc_u32_e32 v0, 28, v36
	v_sub_nc_u32_e32 v36, 29, v36
	v_lshlrev_b64 v[0:1], v0, v[10:11]
	v_and_b32_e32 v0, 7, v0
; %bb.2007:                             ;   in Loop: Header=BB216_15 Depth=1
	s_or_b32 exec_lo, exec_lo, s21
	v_lshlrev_b32_e32 v1, 24, v84
	v_lshlrev_b32_e32 v0, 20, v0
	v_lshl_add_u32 v10, v36, 23, 0x3c000000
	v_and_b32_e32 v1, 0x80000000, v1
	v_or3_b32 v10, v0, v1, v10
	v_mov_b32_e32 v113, v11
	v_mov_b32_e32 v112, v10
.LBB216_2008:                           ;   in Loop: Header=BB216_15 Depth=1
	s_or_b32 exec_lo, exec_lo, s20
.LBB216_2009:                           ;   in Loop: Header=BB216_15 Depth=1
	s_or_b32 exec_lo, exec_lo, s19
.LBB216_2010:                           ;   in Loop: Header=BB216_15 Depth=1
	s_or_b32 exec_lo, exec_lo, s18
	v_cmp_ne_u16_sdwa s5, v84, v11 src0_sel:BYTE_1 src1_sel:DWORD
	s_and_saveexec_b32 s18, s5
	s_cbranch_execz .LBB216_2018
; %bb.2011:                             ;   in Loop: Header=BB216_15 Depth=1
	v_mov_b32_e32 v115, v11
	v_mov_b32_e32 v0, 0x80
	v_mov_b32_e32 v119, v116
	v_mov_b32_e32 v118, v115
	v_cmp_ne_u16_sdwa s5, v84, v0 src0_sel:BYTE_1 src1_sel:DWORD
	s_and_saveexec_b32 s19, s5
	s_cbranch_execz .LBB216_2017
; %bb.2012:                             ;   in Loop: Header=BB216_15 Depth=1
	s_clause 0x1
	buffer_load_dword v118, off, s[0:3], s32 offset:192
	buffer_load_dword v119, off, s[0:3], s32 offset:196
	v_mov_b32_e32 v0, 0xffff
	s_waitcnt vmcnt(1)
	v_mov_b32_e32 v118, v11
	s_mov_b32 s20, exec_lo
	v_and_b32_sdwa v1, v0, v84 dst_sel:DWORD dst_unused:UNUSED_PAD src0_sel:DWORD src1_sel:BYTE_1
	v_and_b32_e32 v0, 0x7f, v1
	s_waitcnt vmcnt(0)
	v_mov_b32_e32 v10, v119
	buffer_store_dword v9, off, s[0:3], s32 offset:192 ; 4-byte Folded Spill
	buffer_store_dword v10, off, s[0:3], s32 offset:196 ; 4-byte Folded Spill
	v_cmpx_ne_u32_e32 0x7f, v0
	s_cbranch_execz .LBB216_2016
; %bb.2013:                             ;   in Loop: Header=BB216_15 Depth=1
	v_and_b32_e32 v10, 7, v1
	v_lshrrev_b32_e32 v36, 3, v0
	v_cmp_gt_u32_e64 s5, 8, v0
	v_mov_b32_e32 v0, v10
	v_mov_b32_e32 v1, v11
	s_and_saveexec_b32 s21, s5
; %bb.2014:                             ;   in Loop: Header=BB216_15 Depth=1
	v_ffbh_u32_e32 v0, v10
	v_min_u32_e32 v36, 32, v0
	v_subrev_nc_u32_e32 v0, 28, v36
	v_sub_nc_u32_e32 v36, 29, v36
	v_lshlrev_b64 v[0:1], v0, v[10:11]
	v_and_b32_e32 v0, 7, v0
; %bb.2015:                             ;   in Loop: Header=BB216_15 Depth=1
	s_or_b32 exec_lo, exec_lo, s21
	v_lshlrev_b32_e32 v1, 16, v84
	v_lshlrev_b32_e32 v0, 20, v0
	v_lshl_add_u32 v10, v36, 23, 0x3c000000
	v_mov_b32_e32 v118, v11
	v_and_b32_e32 v1, 0x80000000, v1
	v_or3_b32 v119, v0, v1, v10
.LBB216_2016:                           ;   in Loop: Header=BB216_15 Depth=1
	s_or_b32 exec_lo, exec_lo, s20
.LBB216_2017:                           ;   in Loop: Header=BB216_15 Depth=1
	s_or_b32 exec_lo, exec_lo, s19
.LBB216_2018:                           ;   in Loop: Header=BB216_15 Depth=1
	s_or_b32 exec_lo, exec_lo, s18
	v_mov_b32_e32 v0, 0xff
	v_mov_b32_e32 v62, 0
	;; [unrolled: 1-line block ×3, first 2 shown]
	v_and_b32_sdwa v10, v84, v0 dst_sel:DWORD dst_unused:UNUSED_PAD src0_sel:WORD_1 src1_sel:DWORD
	v_mov_b32_e32 v0, 0
	v_mov_b32_e32 v1, 0
	v_cmp_ne_u16_e64 s5, 0, v10
	s_mov_b32 s18, exec_lo
	s_and_b32 s5, s18, s5
	buffer_store_dword v38, off, s[0:3], s32 offset:1880 ; 4-byte Folded Spill
	buffer_store_dword v39, off, s[0:3], s32 offset:1884 ; 4-byte Folded Spill
	;; [unrolled: 1-line block ×4, first 2 shown]
	s_mov_b32 exec_lo, s5
	s_cbranch_execz .LBB216_2026
; %bb.2019:                             ;   in Loop: Header=BB216_15 Depth=1
	v_bfrev_b32_e32 v62, 1
	v_mov_b32_e32 v63, 0
	s_mov_b32 s19, exec_lo
	v_cmpx_ne_u16_e32 0x80, v10
	s_cbranch_execz .LBB216_2025
; %bb.2020:                             ;   in Loop: Header=BB216_15 Depth=1
	v_mov_b32_e32 v62, 0x7f800001
	v_bfe_u32 v38, v84, 16, 7
	v_mov_b32_e32 v63, 0
	s_mov_b32 s20, exec_lo
	v_cmpx_ne_u32_e32 0x7f, v38
	s_cbranch_execz .LBB216_2024
; %bb.2021:                             ;   in Loop: Header=BB216_15 Depth=1
	v_mov_b32_e32 v2, 7
	v_lshrrev_b32_e32 v36, 3, v38
	s_mov_b32 s21, exec_lo
	v_and_b32_sdwa v10, v84, v2 dst_sel:DWORD dst_unused:UNUSED_PAD src0_sel:WORD_1 src1_sel:DWORD
	v_mov_b32_e32 v69, v11
	v_mov_b32_e32 v68, v10
	v_cmpx_gt_u32_e32 8, v38
; %bb.2022:                             ;   in Loop: Header=BB216_15 Depth=1
	v_ffbh_u32_e32 v36, v10
	v_min_u32_e32 v36, 32, v36
	v_subrev_nc_u32_e32 v38, 28, v36
	v_sub_nc_u32_e32 v36, 29, v36
	v_lshlrev_b64 v[38:39], v38, v[10:11]
	v_and_b32_e32 v68, 7, v38
; %bb.2023:                             ;   in Loop: Header=BB216_15 Depth=1
	s_or_b32 exec_lo, exec_lo, s21
	v_mov_b32_e32 v2, 24
	v_lshlrev_b32_e32 v38, 20, v68
	v_lshl_add_u32 v36, v36, 23, 0x3c000000
	v_lshlrev_b32_sdwa v10, v2, v84 dst_sel:DWORD dst_unused:UNUSED_PAD src0_sel:DWORD src1_sel:WORD_1
	v_and_b32_e32 v10, 0x80000000, v10
	v_or3_b32 v10, v38, v10, v36
	v_mov_b32_e32 v63, v11
	v_mov_b32_e32 v62, v10
.LBB216_2024:                           ;   in Loop: Header=BB216_15 Depth=1
	s_or_b32 exec_lo, exec_lo, s20
.LBB216_2025:                           ;   in Loop: Header=BB216_15 Depth=1
	s_or_b32 exec_lo, exec_lo, s19
.LBB216_2026:                           ;   in Loop: Header=BB216_15 Depth=1
	s_or_b32 exec_lo, exec_lo, s18
	s_mov_b32 s18, exec_lo
	v_cmpx_lt_u32_e32 0xffffff, v84
	s_cbranch_execz .LBB216_2034
; %bb.2027:                             ;   in Loop: Header=BB216_15 Depth=1
	v_mov_b32_e32 v115, v11
	v_mov_b32_e32 v0, 0x80
	v_cmp_ne_u32_sdwa s5, v84, v0 src0_sel:BYTE_3 src1_sel:DWORD
	v_mov_b32_e32 v0, v115
	v_mov_b32_e32 v1, v116
	s_and_saveexec_b32 s19, s5
	s_cbranch_execz .LBB216_2033
; %bb.2028:                             ;   in Loop: Header=BB216_15 Depth=1
	s_clause 0x1
	buffer_load_dword v0, off, s[0:3], s32 offset:192
	buffer_load_dword v1, off, s[0:3], s32 offset:196
	v_mov_b32_e32 v34, v11
	v_bfe_u32 v38, v84, 24, 7
	s_mov_b32 s20, exec_lo
	s_waitcnt vmcnt(0)
	v_mov_b32_e32 v35, v1
	buffer_store_dword v0, off, s[0:3], s32 offset:192 ; 4-byte Folded Spill
	buffer_store_dword v1, off, s[0:3], s32 offset:196 ; 4-byte Folded Spill
	v_mov_b32_e32 v0, v34
	v_mov_b32_e32 v1, v35
	v_cmpx_ne_u32_e32 0x7f, v38
	s_cbranch_execz .LBB216_2032
; %bb.2029:                             ;   in Loop: Header=BB216_15 Depth=1
	v_mov_b32_e32 v0, 7
	v_lshrrev_b32_e32 v36, 3, v38
	s_mov_b32 s21, exec_lo
	v_and_b32_sdwa v10, v84, v0 dst_sel:DWORD dst_unused:UNUSED_PAD src0_sel:BYTE_3 src1_sel:DWORD
	v_mov_b32_e32 v0, v10
	v_mov_b32_e32 v1, v11
	v_cmpx_gt_u32_e32 8, v38
; %bb.2030:                             ;   in Loop: Header=BB216_15 Depth=1
	v_ffbh_u32_e32 v0, v10
	v_min_u32_e32 v36, 32, v0
	v_subrev_nc_u32_e32 v0, 28, v36
	v_sub_nc_u32_e32 v36, 29, v36
	v_lshlrev_b64 v[0:1], v0, v[10:11]
	v_and_b32_e32 v0, 7, v0
; %bb.2031:                             ;   in Loop: Header=BB216_15 Depth=1
	s_or_b32 exec_lo, exec_lo, s21
	v_mov_b32_e32 v1, 24
	v_lshlrev_b32_e32 v0, 20, v0
	v_lshl_add_u32 v10, v36, 23, 0x3c000000
	v_lshlrev_b32_sdwa v1, v1, v84 dst_sel:DWORD dst_unused:UNUSED_PAD src0_sel:DWORD src1_sel:BYTE_3
	v_and_b32_e32 v1, 0x80000000, v1
	v_or3_b32 v1, v0, v1, v10
	v_mov_b32_e32 v0, v11
.LBB216_2032:                           ;   in Loop: Header=BB216_15 Depth=1
	s_or_b32 exec_lo, exec_lo, s20
.LBB216_2033:                           ;   in Loop: Header=BB216_15 Depth=1
	s_or_b32 exec_lo, exec_lo, s19
.LBB216_2034:                           ;   in Loop: Header=BB216_15 Depth=1
	s_or_b32 exec_lo, exec_lo, s18
	flat_load_dword v40, v[60:61] offset:1548
	v_mov_b32_e32 v69, 0
	v_mov_b32_e32 v84, 0
	;; [unrolled: 1-line block ×4, first 2 shown]
	s_waitcnt vmcnt(0) lgkmcnt(0)
	v_cmp_ne_u16_sdwa s5, v40, v11 src0_sel:BYTE_0 src1_sel:DWORD
	s_and_saveexec_b32 s18, s5
	s_cbranch_execz .LBB216_2042
; %bb.2035:                             ;   in Loop: Header=BB216_15 Depth=1
	v_mov_b32_e32 v10, 0x80
	v_bfrev_b32_e32 v84, 1
	v_mov_b32_e32 v85, 0
	v_cmp_ne_u16_sdwa s5, v40, v10 src0_sel:BYTE_0 src1_sel:DWORD
	s_and_saveexec_b32 s19, s5
	s_cbranch_execz .LBB216_2041
; %bb.2036:                             ;   in Loop: Header=BB216_15 Depth=1
	v_mov_b32_e32 v84, 0x7f800001
	v_and_b32_e32 v38, 0x7f, v40
	v_mov_b32_e32 v85, 0
	s_mov_b32 s20, exec_lo
	v_cmpx_ne_u32_e32 0x7f, v38
	s_cbranch_execz .LBB216_2040
; %bb.2037:                             ;   in Loop: Header=BB216_15 Depth=1
	v_and_b32_e32 v10, 7, v40
	v_mov_b32_e32 v85, v11
	v_lshrrev_b32_e32 v36, 3, v38
	s_mov_b32 s21, exec_lo
	v_mov_b32_e32 v84, v10
	v_cmpx_gt_u32_e32 8, v38
; %bb.2038:                             ;   in Loop: Header=BB216_15 Depth=1
	v_ffbh_u32_e32 v36, v10
	v_min_u32_e32 v36, 32, v36
	v_subrev_nc_u32_e32 v38, 28, v36
	v_sub_nc_u32_e32 v36, 29, v36
	v_lshlrev_b64 v[38:39], v38, v[10:11]
	v_and_b32_e32 v84, 7, v38
; %bb.2039:                             ;   in Loop: Header=BB216_15 Depth=1
	s_or_b32 exec_lo, exec_lo, s21
	v_lshlrev_b32_e32 v10, 24, v40
	v_lshlrev_b32_e32 v38, 20, v84
	v_lshl_add_u32 v36, v36, 23, 0x3c000000
	v_and_b32_e32 v10, 0x80000000, v10
	v_or3_b32 v10, v38, v10, v36
	v_mov_b32_e32 v85, v11
	v_mov_b32_e32 v84, v10
.LBB216_2040:                           ;   in Loop: Header=BB216_15 Depth=1
	s_or_b32 exec_lo, exec_lo, s20
.LBB216_2041:                           ;   in Loop: Header=BB216_15 Depth=1
	s_or_b32 exec_lo, exec_lo, s19
.LBB216_2042:                           ;   in Loop: Header=BB216_15 Depth=1
	s_or_b32 exec_lo, exec_lo, s18
	v_cmp_ne_u16_sdwa s5, v40, v11 src0_sel:BYTE_1 src1_sel:DWORD
	s_and_saveexec_b32 s18, s5
	s_cbranch_execz .LBB216_2050
; %bb.2043:                             ;   in Loop: Header=BB216_15 Depth=1
	v_mov_b32_e32 v115, v11
	v_mov_b32_e32 v10, 0x80
	;; [unrolled: 1-line block ×3, first 2 shown]
	v_cmp_ne_u16_sdwa s5, v40, v10 src0_sel:BYTE_1 src1_sel:DWORD
	v_mov_b32_e32 v70, v116
	s_and_saveexec_b32 s19, s5
	s_cbranch_execz .LBB216_2049
; %bb.2044:                             ;   in Loop: Header=BB216_15 Depth=1
	s_clause 0x1
	buffer_load_dword v34, off, s[0:3], s32 offset:192
	buffer_load_dword v35, off, s[0:3], s32 offset:196
	v_mov_b32_e32 v10, 0xffff
	v_mov_b32_e32 v69, v11
	s_mov_b32 s20, exec_lo
	v_and_b32_sdwa v10, v10, v40 dst_sel:DWORD dst_unused:UNUSED_PAD src0_sel:DWORD src1_sel:BYTE_1
	v_and_b32_e32 v38, 0x7f, v10
	s_waitcnt vmcnt(0)
	v_mov_b32_e32 v70, v35
	v_mov_b32_e32 v34, v35
	buffer_store_dword v33, off, s[0:3], s32 offset:192 ; 4-byte Folded Spill
	buffer_store_dword v34, off, s[0:3], s32 offset:196 ; 4-byte Folded Spill
	v_cmpx_ne_u32_e32 0x7f, v38
	s_cbranch_execz .LBB216_2048
; %bb.2045:                             ;   in Loop: Header=BB216_15 Depth=1
	v_and_b32_e32 v10, 7, v10
	v_mov_b32_e32 v69, v11
	v_lshrrev_b32_e32 v36, 3, v38
	s_mov_b32 s21, exec_lo
	v_mov_b32_e32 v68, v10
	v_cmpx_gt_u32_e32 8, v38
; %bb.2046:                             ;   in Loop: Header=BB216_15 Depth=1
	v_ffbh_u32_e32 v36, v10
	v_min_u32_e32 v36, 32, v36
	v_subrev_nc_u32_e32 v38, 28, v36
	v_sub_nc_u32_e32 v36, 29, v36
	v_lshlrev_b64 v[38:39], v38, v[10:11]
	v_and_b32_e32 v68, 7, v38
; %bb.2047:                             ;   in Loop: Header=BB216_15 Depth=1
	s_or_b32 exec_lo, exec_lo, s21
	v_lshlrev_b32_e32 v10, 16, v40
	v_lshlrev_b32_e32 v38, 20, v68
	v_lshl_add_u32 v36, v36, 23, 0x3c000000
	v_mov_b32_e32 v69, v11
	v_and_b32_e32 v10, 0x80000000, v10
	v_or3_b32 v70, v38, v10, v36
.LBB216_2048:                           ;   in Loop: Header=BB216_15 Depth=1
	s_or_b32 exec_lo, exec_lo, s20
.LBB216_2049:                           ;   in Loop: Header=BB216_15 Depth=1
	s_or_b32 exec_lo, exec_lo, s19
.LBB216_2050:                           ;   in Loop: Header=BB216_15 Depth=1
	s_or_b32 exec_lo, exec_lo, s18
	v_mov_b32_e32 v10, 0xff
	v_mov_b32_e32 v4, 0
	;; [unrolled: 1-line block ×5, first 2 shown]
	v_and_b32_sdwa v10, v40, v10 dst_sel:DWORD dst_unused:UNUSED_PAD src0_sel:WORD_1 src1_sel:DWORD
	s_mov_b32 s18, exec_lo
	v_cmpx_ne_u16_e32 0, v10
	s_cbranch_execz .LBB216_2058
; %bb.2051:                             ;   in Loop: Header=BB216_15 Depth=1
	v_bfrev_b32_e32 v2, 1
	v_mov_b32_e32 v3, 0
	s_mov_b32 s19, exec_lo
	v_cmpx_ne_u16_e32 0x80, v10
	s_cbranch_execz .LBB216_2057
; %bb.2052:                             ;   in Loop: Header=BB216_15 Depth=1
	v_mov_b32_e32 v2, 0x7f800001
	v_bfe_u32 v38, v40, 16, 7
	v_mov_b32_e32 v3, 0
	s_mov_b32 s20, exec_lo
	v_cmpx_ne_u32_e32 0x7f, v38
	s_cbranch_execz .LBB216_2056
; %bb.2053:                             ;   in Loop: Header=BB216_15 Depth=1
	v_mov_b32_e32 v2, 7
	v_lshrrev_b32_e32 v36, 3, v38
	s_mov_b32 s21, exec_lo
	v_and_b32_sdwa v10, v40, v2 dst_sel:DWORD dst_unused:UNUSED_PAD src0_sel:WORD_1 src1_sel:DWORD
	v_mov_b32_e32 v101, v11
	v_mov_b32_e32 v100, v10
	v_cmpx_gt_u32_e32 8, v38
; %bb.2054:                             ;   in Loop: Header=BB216_15 Depth=1
	v_ffbh_u32_e32 v36, v10
	v_min_u32_e32 v36, 32, v36
	v_subrev_nc_u32_e32 v38, 28, v36
	v_sub_nc_u32_e32 v36, 29, v36
	v_lshlrev_b64 v[38:39], v38, v[10:11]
	v_and_b32_e32 v100, 7, v38
; %bb.2055:                             ;   in Loop: Header=BB216_15 Depth=1
	s_or_b32 exec_lo, exec_lo, s21
	v_mov_b32_e32 v2, 24
	v_lshlrev_b32_e32 v38, 20, v100
	v_lshl_add_u32 v36, v36, 23, 0x3c000000
	v_lshlrev_b32_sdwa v10, v2, v40 dst_sel:DWORD dst_unused:UNUSED_PAD src0_sel:DWORD src1_sel:WORD_1
	v_and_b32_e32 v10, 0x80000000, v10
	v_or3_b32 v10, v38, v10, v36
	v_mov_b32_e32 v2, v10
	v_mov_b32_e32 v3, v11
.LBB216_2056:                           ;   in Loop: Header=BB216_15 Depth=1
	s_or_b32 exec_lo, exec_lo, s20
.LBB216_2057:                           ;   in Loop: Header=BB216_15 Depth=1
	s_or_b32 exec_lo, exec_lo, s19
.LBB216_2058:                           ;   in Loop: Header=BB216_15 Depth=1
	s_or_b32 exec_lo, exec_lo, s18
	s_mov_b32 s18, exec_lo
	buffer_store_dword v69, off, s[0:3], s32 offset:2112 ; 4-byte Folded Spill
	buffer_store_dword v70, off, s[0:3], s32 offset:2116 ; 4-byte Folded Spill
	;; [unrolled: 1-line block ×7, first 2 shown]
	v_cmpx_lt_u32_e32 0xffffff, v40
	s_cbranch_execz .LBB216_13
; %bb.2059:                             ;   in Loop: Header=BB216_15 Depth=1
	v_mov_b32_e32 v115, v11
	v_mov_b32_e32 v10, 0x80
	;; [unrolled: 1-line block ×3, first 2 shown]
	v_cmp_ne_u32_sdwa s5, v40, v10 src0_sel:BYTE_3 src1_sel:DWORD
	v_mov_b32_e32 v5, v116
	s_and_saveexec_b32 s19, s5
	s_cbranch_execz .LBB216_12
; %bb.2060:                             ;   in Loop: Header=BB216_15 Depth=1
	s_clause 0x1
	buffer_load_dword v4, off, s[0:3], s32 offset:192
	buffer_load_dword v5, off, s[0:3], s32 offset:196
	v_bfe_u32 v38, v40, 24, 7
	s_waitcnt vmcnt(1)
	v_mov_b32_e32 v4, v11
	s_mov_b32 s20, exec_lo
	s_waitcnt vmcnt(0)
	v_mov_b32_e32 v10, v5
	buffer_store_dword v9, off, s[0:3], s32 offset:192 ; 4-byte Folded Spill
	buffer_store_dword v10, off, s[0:3], s32 offset:196 ; 4-byte Folded Spill
	v_cmpx_ne_u32_e32 0x7f, v38
	s_cbranch_execz .LBB216_11
; %bb.2061:                             ;   in Loop: Header=BB216_15 Depth=1
	v_mov_b32_e32 v4, 7
	v_lshrrev_b32_e32 v36, 3, v38
	s_mov_b32 s21, exec_lo
	v_and_b32_sdwa v10, v40, v4 dst_sel:DWORD dst_unused:UNUSED_PAD src0_sel:BYTE_3 src1_sel:DWORD
	v_mov_b32_e32 v85, v11
	v_mov_b32_e32 v84, v10
	v_cmpx_gt_u32_e32 8, v38
	s_cbranch_execz .LBB216_10
; %bb.2062:                             ;   in Loop: Header=BB216_15 Depth=1
	v_ffbh_u32_e32 v36, v10
	v_min_u32_e32 v36, 32, v36
	v_subrev_nc_u32_e32 v38, 28, v36
	v_sub_nc_u32_e32 v36, 29, v36
	v_lshlrev_b64 v[38:39], v38, v[10:11]
	v_and_b32_e32 v84, 7, v38
	s_branch .LBB216_10
.LBB216_2063:
	s_or_b32 exec_lo, exec_lo, s17
	buffer_load_dword v12, off, s[0:3], s32 offset:3244 ; 4-byte Folded Reload
.LBB216_2064:
	s_or_b32 exec_lo, exec_lo, s8
	v_mbcnt_lo_u32_b32 v0, -1, 0
	v_max_f32_e32 v4, v71, v71
	s_waitcnt lgkmcnt(0)
	s_lshr_b32 s15, s7, 16
	v_xor_b32_e32 v1, 16, v0
	v_xor_b32_e32 v3, 8, v0
	v_cmp_gt_i32_e32 vcc_lo, 32, v1
	v_cndmask_b32_e32 v1, v0, v1, vcc_lo
	v_cmp_gt_i32_e32 vcc_lo, 32, v3
	v_lshlrev_b32_e32 v1, 2, v1
	v_cndmask_b32_e32 v3, v0, v3, vcc_lo
	ds_bpermute_b32 v2, v1, v71
	s_waitcnt lgkmcnt(0)
	v_max_f32_e32 v5, v2, v2
	v_lshlrev_b32_e32 v2, 2, v3
	v_max_f32_e32 v3, v4, v5
	v_xor_b32_e32 v5, 4, v0
	ds_bpermute_b32 v4, v2, v3
	v_cmp_gt_i32_e32 vcc_lo, 32, v5
	v_cndmask_b32_e32 v5, v0, v5, vcc_lo
	v_lshlrev_b32_e32 v112, 2, v5
	v_xor_b32_e32 v5, 2, v0
	v_cmp_gt_i32_e32 vcc_lo, 32, v5
	s_waitcnt lgkmcnt(0)
	v_max_f32_e32 v4, v4, v4
	v_cndmask_b32_e32 v5, v0, v5, vcc_lo
	v_max_f32_e32 v3, v3, v4
	v_lshlrev_b32_e32 v28, 2, v5
	v_xor_b32_e32 v5, 1, v0
	ds_bpermute_b32 v4, v112, v3
	v_cmp_gt_i32_e32 vcc_lo, 32, v5
	v_cndmask_b32_e32 v5, v0, v5, vcc_lo
	v_lshlrev_b32_e32 v27, 2, v5
	s_waitcnt lgkmcnt(0)
	v_max_f32_e32 v4, v4, v4
	v_max_f32_e32 v3, v3, v4
	ds_bpermute_b32 v4, v28, v3
	s_waitcnt lgkmcnt(0)
	v_max_f32_e32 v4, v4, v4
	v_max_f32_e32 v0, v3, v4
	buffer_load_dword v3, off, s[0:3], s32 offset:2120 ; 4-byte Folded Reload
	ds_bpermute_b32 v4, v27, v0
	s_waitcnt vmcnt(0)
	v_cmp_eq_u32_e32 vcc_lo, 0, v3
	buffer_load_dword v3, off, s[0:3], s32 offset:3188 ; 4-byte Folded Reload
	s_waitcnt vmcnt(0)
	v_lshlrev_b32_e32 v3, 2, v3
	s_and_saveexec_b32 s5, vcc_lo
	s_cbranch_execz .LBB216_2066
; %bb.2065:
	s_waitcnt lgkmcnt(0)
	v_max_f32_e32 v4, v4, v4
	v_max_f32_e32 v0, v0, v0
	v_max_f32_e32 v0, v0, v4
	ds_write_b32 v3, v0 offset:1024
.LBB216_2066:
	s_or_b32 exec_lo, exec_lo, s5
	buffer_load_dword v0, off, s[0:3], s32 offset:2120 ; 4-byte Folded Reload
	s_waitcnt vmcnt(0) lgkmcnt(0)
	s_waitcnt_vscnt null, 0x0
	s_barrier
	buffer_gl0_inv
	v_cmp_gt_u32_e64 s5, 4, v0
	v_mov_b32_e32 v0, 0xff7fffff
	s_and_saveexec_b32 s6, s5
; %bb.2067:
	ds_read_b32 v0, v12 offset:1024
; %bb.2068:
	s_or_b32 exec_lo, exec_lo, s6
	s_waitcnt lgkmcnt(0)
	ds_bpermute_b32 v4, v28, v0
	v_max_f32_e32 v0, v0, v0
	buffer_load_dword v6, off, s[0:3], s32 offset:1852 ; 4-byte Folded Reload
	s_waitcnt lgkmcnt(0)
	v_max_f32_e32 v4, v4, v4
	v_max_f32_e32 v0, v0, v4
	ds_bpermute_b32 v4, v27, v0
	s_waitcnt lgkmcnt(0)
	v_max_f32_e32 v4, v4, v4
	v_max_f32_e32 v0, v0, v4
	v_mov_b32_e32 v4, 0
	ds_bpermute_b32 v5, v4, v0
	buffer_load_dword v0, off, s[0:3], s32 offset:200 ; 4-byte Folded Reload
	s_waitcnt vmcnt(0)
	v_lshlrev_b32_e32 v0, 5, v0
	v_min_i32_e32 v0, v0, v6
	buffer_load_dword v6, off, s[0:3], s32 offset:2124 ; 4-byte Folded Reload
	s_waitcnt vmcnt(0)
	v_cmp_lt_i32_e64 s6, v6, v0
	s_and_saveexec_b32 s8, s6
	s_cbranch_execz .LBB216_2072
; %bb.2069:
	buffer_load_dword v7, off, s[0:3], s32 offset:2124 ; 4-byte Folded Reload
	s_load_dword s7, s[12:13], 0x0
	v_mov_b32_e32 v4, 0
	s_mov_b32 s17, 0
	s_waitcnt vmcnt(0) lgkmcnt(0)
	v_lshl_add_u32 v6, v7, 2, s7
	.p2align	6
.LBB216_2070:                           ; =>This Inner Loop Header: Depth=1
	ds_read_b32 v8, v6
	v_add_nc_u32_e32 v7, 0x80, v7
	v_cmp_ge_i32_e64 s7, v7, v0
	s_or_b32 s17, s7, s17
	s_waitcnt lgkmcnt(0)
	v_sub_f32_e32 v8, v8, v5
	v_mul_f32_e32 v8, 0x3fb8aa3b, v8
	v_exp_f32_e32 v8, v8
	ds_write_b32 v6, v8
	v_add_f32_e32 v4, v4, v8
	v_add_nc_u32_e32 v6, 0x200, v6
	s_andn2_b32 exec_lo, exec_lo, s17
	s_cbranch_execnz .LBB216_2070
; %bb.2071:
	s_or_b32 exec_lo, exec_lo, s17
.LBB216_2072:
	s_or_b32 exec_lo, exec_lo, s8
	ds_bpermute_b32 v1, v1, v4
	s_waitcnt lgkmcnt(0)
	v_add_f32_e32 v1, v4, v1
	ds_bpermute_b32 v2, v2, v1
	s_waitcnt lgkmcnt(0)
	v_add_f32_e32 v1, v1, v2
	;; [unrolled: 3-line block ×5, first 2 shown]
	s_and_saveexec_b32 s7, vcc_lo
; %bb.2073:
	ds_write_b32 v3, v1 offset:1040
; %bb.2074:
	s_or_b32 exec_lo, exec_lo, s7
	s_waitcnt lgkmcnt(0)
	s_barrier
	buffer_gl0_inv
	s_and_saveexec_b32 s7, s5
; %bb.2075:
	ds_read_b32 v1, v12 offset:1040
; %bb.2076:
	s_or_b32 exec_lo, exec_lo, s7
	s_waitcnt lgkmcnt(0)
	ds_bpermute_b32 v2, v28, v1
	s_waitcnt lgkmcnt(0)
	v_add_f32_e32 v1, v1, v2
	ds_bpermute_b32 v2, v27, v1
	s_waitcnt lgkmcnt(0)
	v_add_f32_e32 v1, v1, v2
	v_mov_b32_e32 v2, 0
	ds_bpermute_b32 v1, v2, v1
	s_and_saveexec_b32 s5, s6
	s_cbranch_execz .LBB216_2079
; %bb.2077:
	s_waitcnt lgkmcnt(0)
	v_add_f32_e32 v2, 0x358637bd, v1
	s_load_dword s6, s[12:13], 0x0
	v_div_scale_f32 v1, null, v2, v2, 1.0
	v_div_scale_f32 v5, vcc_lo, 1.0, v2, 1.0
	v_rcp_f32_e32 v3, v1
	v_fma_f32 v4, -v1, v3, 1.0
	v_fmac_f32_e32 v3, v4, v3
	v_mul_f32_e32 v4, v5, v3
	v_fma_f32 v6, -v1, v4, v5
	v_fmac_f32_e32 v4, v6, v3
	v_fma_f32 v1, -v1, v4, v5
	v_div_fmas_f32 v3, v1, v3, v4
	buffer_load_dword v4, off, s[0:3], s32 offset:2124 ; 4-byte Folded Reload
	v_div_fixup_f32 v2, v3, v2, 1.0
	s_waitcnt vmcnt(0) lgkmcnt(0)
	v_lshl_add_u32 v1, v4, 2, s6
	v_mov_b32_e32 v3, v4
	s_mov_b32 s6, 0
.LBB216_2078:                           ; =>This Inner Loop Header: Depth=1
	ds_read_b32 v4, v1
	v_add_nc_u32_e32 v3, 0x80, v3
	v_cmp_ge_i32_e32 vcc_lo, v3, v0
	s_or_b32 s6, vcc_lo, s6
	s_waitcnt lgkmcnt(0)
	v_mul_f32_e32 v4, v2, v4
	ds_write_b32 v1, v4
	v_add_nc_u32_e32 v1, 0x200, v1
	s_andn2_b32 exec_lo, exec_lo, s6
	s_cbranch_execnz .LBB216_2078
.LBB216_2079:
	s_or_b32 exec_lo, exec_lo, s5
	buffer_load_dword v0, off, s[0:3], s32 offset:2124 ; 4-byte Folded Reload
	v_mov_b32_e32 v34, 0
	v_mov_b32_e32 v35, 0
	;; [unrolled: 1-line block ×64, first 2 shown]
	s_waitcnt vmcnt(0) lgkmcnt(0)
	s_barrier
	buffer_gl0_inv
	v_and_b32_e32 v56, 7, v0
	s_and_saveexec_b32 s17, s4
	s_cbranch_execz .LBB216_4261
; %bb.2080:
	buffer_store_dword v112, off, s[0:3], s32 offset:1960 ; 4-byte Folded Spill
	s_clause 0x1
	buffer_load_dword v0, off, s[0:3], s32 offset:3220
	buffer_load_dword v1, off, s[0:3], s32 offset:3232
	v_mov_b32_e32 v5, 0
	v_mov_b32_e32 v9, 0
	;; [unrolled: 1-line block ×3, first 2 shown]
	v_bfrev_b32_e32 v12, 1
	v_mov_b32_e32 v75, 0xffff
	v_mov_b32_e32 v14, 0x7f800001
	;; [unrolled: 1-line block ×12, first 2 shown]
	s_mov_b32 s18, 0
	s_waitcnt vmcnt(0)
	v_max_i32_e32 v73, v0, v1
	s_clause 0x2
	buffer_load_dword v0, off, s[0:3], s32 offset:2124
	buffer_load_dword v2, off, s[0:3], s32 offset:3228
	;; [unrolled: 1-line block ×3, first 2 shown]
	v_cvt_f32_u32_e32 v1, v73
	v_rcp_iflag_f32_e32 v1, v1
	v_mul_f32_e32 v1, 0x4f7ffffe, v1
	v_cvt_u32_f32_e32 v1, v1
	s_waitcnt vmcnt(2)
	v_lshlrev_b32_e32 v0, 2, v0
	s_waitcnt vmcnt(0)
	v_add_co_u32 v2, vcc_lo, v2, v3
	s_clause 0x1
	buffer_load_dword v3, off, s[0:3], s32 offset:3224
	buffer_load_dword v4, off, s[0:3], s32 offset:3216
	s_waitcnt vmcnt(0)
	v_add_co_ci_u32_e64 v3, null, v3, v4, vcc_lo
	buffer_store_dword v2, off, s[0:3], s32 offset:1936 ; 4-byte Folded Spill
	buffer_store_dword v3, off, s[0:3], s32 offset:1940 ; 4-byte Folded Spill
	;; [unrolled: 1-line block ×3, first 2 shown]
	v_mov_b32_e32 v5, 0
	v_mov_b32_e32 v4, 0
	buffer_store_dword v56, off, s[0:3], s32 offset:1964 ; 4-byte Folded Spill
	buffer_load_dword v3, off, s[0:3], s32 offset:3212 ; 4-byte Folded Reload
	v_lshlrev_b32_e32 v2, 4, v56
	buffer_store_dword v5, off, s[0:3], s32 offset:1500 ; 4-byte Folded Spill
	v_mov_b32_e32 v5, 0
	buffer_store_dword v4, off, s[0:3], s32 offset:1468 ; 4-byte Folded Spill
	v_mov_b32_e32 v4, 0
	;; [unrolled: 2-line block ×5, first 2 shown]
	buffer_store_dword v4, off, s[0:3], s32 offset:1484 ; 4-byte Folded Spill
	v_sub_nc_u32_e32 v4, 0, v73
	buffer_store_dword v5, off, s[0:3], s32 offset:1524 ; 4-byte Folded Spill
	v_mov_b32_e32 v5, 0
	v_mul_lo_u32 v4, v4, v1
	buffer_store_dword v5, off, s[0:3], s32 offset:1532 ; 4-byte Folded Spill
	v_mov_b32_e32 v5, 0
	buffer_store_dword v5, off, s[0:3], s32 offset:1540 ; 4-byte Folded Spill
	v_and_b32_e32 v5, 28, v0
	buffer_store_dword v5, off, s[0:3], s32 offset:1944 ; 4-byte Folded Spill
	v_and_b32_e32 v5, 0x7c, v0
	buffer_store_dword v5, off, s[0:3], s32 offset:1948 ; 4-byte Folded Spill
	v_or_b32_e32 v5, 0xf80, v0
	v_or_b32_e32 v0, 0x1f80, v0
	buffer_store_dword v5, off, s[0:3], s32 offset:1952 ; 4-byte Folded Spill
	buffer_store_dword v0, off, s[0:3], s32 offset:1956 ; 4-byte Folded Spill
	v_mul_hi_u32 v0, v1, v4
	s_clause 0x2
	buffer_load_dword v4, off, s[0:3], s32 offset:3200
	buffer_load_dword v5, off, s[0:3], s32 offset:3204
	;; [unrolled: 1-line block ×3, first 2 shown]
	v_add_nc_u32_e32 v0, v1, v0
	buffer_store_dword v0, off, s[0:3], s32 offset:1900 ; 4-byte Folded Spill
	v_mov_b32_e32 v0, 0
	buffer_store_dword v0, off, s[0:3], s32 offset:1548 ; 4-byte Folded Spill
	v_mov_b32_e32 v0, 0
	;; [unrolled: 2-line block ×43, first 2 shown]
	s_waitcnt vmcnt(3)
	v_and_b32_e32 v3, 0x7c, v3
	buffer_store_dword v0, off, s[0:3], s32 offset:1876 ; 4-byte Folded Spill
	v_mov_b32_e32 v0, 0
	buffer_store_dword v0, off, s[0:3], s32 offset:1880 ; 4-byte Folded Spill
	v_mov_b32_e32 v0, 0
	buffer_store_dword v0, off, s[0:3], s32 offset:1896 ; 4-byte Folded Spill
	v_mov_b32_e32 v0, 0
	buffer_store_dword v0, off, s[0:3], s32 offset:1888 ; 4-byte Folded Spill
	s_waitcnt vmcnt(2)
	v_add_co_u32 v3, vcc_lo, v3, v4
	s_waitcnt vmcnt(0)
	v_lshl_or_b32 v91, v93, 7, v2
	buffer_load_dword v2, off, s[0:3], s32 offset:3196 ; 4-byte Folded Reload
	v_add_co_ci_u32_e64 v4, null, 0, v5, vcc_lo
	v_mov_b32_e32 v5, 0
	s_waitcnt vmcnt(0)
	v_add_co_u32 v15, vcc_lo, v2, v3
	buffer_load_dword v2, off, s[0:3], s32 offset:3192 ; 4-byte Folded Reload
	s_waitcnt vmcnt(0)
	v_add_co_ci_u32_e64 v16, null, v2, v4, vcc_lo
	buffer_load_dword v2, off, s[0:3], s32 offset:204 ; 4-byte Folded Reload
	s_branch .LBB216_2083
.LBB216_2081:                           ;   in Loop: Header=BB216_2083 Depth=1
	s_or_b32 exec_lo, exec_lo, s8
	s_clause 0x1
	buffer_load_dword v19, off, s[0:3], s32 offset:1476
	buffer_load_dword v20, off, s[0:3], s32 offset:1508
	v_mul_f32_e32 v11, v3, v100
	v_mul_f32_e32 v13, v3, v98
	;; [unrolled: 1-line block ×4, first 2 shown]
	v_fmac_f32_e32 v11, v2, v99
	v_fmac_f32_e32 v13, v2, v97
	;; [unrolled: 1-line block ×8, first 2 shown]
	buffer_load_dword v22, off, s[0:3], s32 offset:1920 ; 4-byte Folded Reload
	v_fmac_f32_e32 v11, v5, v21
	v_fmac_f32_e32 v13, v5, v23
	;; [unrolled: 1-line block ×4, first 2 shown]
	s_clause 0x1
	buffer_load_dword v21, off, s[0:3], s32 offset:524
	buffer_load_dword v23, off, s[0:3], s32 offset:492
	s_waitcnt vmcnt(4)
	v_add_f32_e32 v19, v19, v11
	buffer_load_dword v11, off, s[0:3], s32 offset:1484 ; 4-byte Folded Reload
	buffer_store_dword v19, off, s[0:3], s32 offset:1476 ; 4-byte Folded Spill
	v_mul_f32_e32 v19, v3, v48
	v_fmac_f32_e32 v19, v2, v39
	v_fmac_f32_e32 v19, v4, v38
	;; [unrolled: 1-line block ×3, first 2 shown]
	s_waitcnt vmcnt(0)
	v_add_f32_e32 v11, v11, v13
	v_mul_f32_e32 v13, v3, v68
	buffer_store_dword v11, off, s[0:3], s32 offset:1484 ; 4-byte Folded Spill
	buffer_load_dword v11, off, s[0:3], s32 offset:1492 ; 4-byte Folded Reload
	v_fmac_f32_e32 v13, v2, v67
	v_fmac_f32_e32 v13, v4, v66
	;; [unrolled: 1-line block ×3, first 2 shown]
	s_waitcnt vmcnt(0)
	v_add_f32_e32 v11, v11, v17
	v_mul_f32_e32 v17, v3, v64
	buffer_store_dword v11, off, s[0:3], s32 offset:1492 ; 4-byte Folded Spill
	buffer_load_dword v11, off, s[0:3], s32 offset:1500 ; 4-byte Folded Reload
	v_fmac_f32_e32 v17, v2, v55
	v_fmac_f32_e32 v17, v4, v54
	;; [unrolled: 1-line block ×3, first 2 shown]
	s_waitcnt vmcnt(0)
	v_add_f32_e32 v11, v11, v18
	v_mul_f32_e32 v18, v3, v52
	buffer_store_dword v11, off, s[0:3], s32 offset:1500 ; 4-byte Folded Spill
	v_mul_f32_e32 v11, v3, v80
	v_fmac_f32_e32 v18, v2, v51
	v_fmac_f32_e32 v11, v2, v71
	;; [unrolled: 1-line block ×6, first 2 shown]
	v_add_f32_e32 v20, v20, v11
	buffer_load_dword v11, off, s[0:3], s32 offset:1516 ; 4-byte Folded Reload
	buffer_store_dword v20, off, s[0:3], s32 offset:1508 ; 4-byte Folded Spill
	buffer_load_dword v20, off, s[0:3], s32 offset:1912 ; 4-byte Folded Reload
	s_waitcnt vmcnt(1)
	v_add_f32_e32 v11, v11, v13
	v_mul_f32_e32 v13, v3, v31
	buffer_store_dword v11, off, s[0:3], s32 offset:1516 ; 4-byte Folded Spill
	buffer_load_dword v11, off, s[0:3], s32 offset:1524 ; 4-byte Folded Reload
	v_fmac_f32_e32 v13, v2, v92
	v_fmac_f32_e32 v13, v4, v7
	v_mul_f32_e32 v7, v3, v110
	v_fmac_f32_e32 v13, v5, v6
	buffer_load_dword v6, off, s[0:3], s32 offset:1548 ; 4-byte Folded Reload
	v_fmac_f32_e32 v7, v2, v109
	v_fmac_f32_e32 v7, v4, v108
	v_fmac_f32_e32 v7, v5, v107
	s_waitcnt vmcnt(1)
	v_add_f32_e32 v11, v11, v17
	v_mul_f32_e32 v17, v3, v90
	buffer_store_dword v11, off, s[0:3], s32 offset:1524 ; 4-byte Folded Spill
	buffer_load_dword v11, off, s[0:3], s32 offset:1532 ; 4-byte Folded Reload
	v_fmac_f32_e32 v17, v2, v89
	v_fmac_f32_e32 v17, v4, v88
	v_fmac_f32_e32 v17, v5, v79
	s_waitcnt vmcnt(0)
	v_add_f32_e32 v11, v11, v18
	v_mul_f32_e32 v18, v3, v30
	buffer_store_dword v11, off, s[0:3], s32 offset:1532 ; 4-byte Folded Spill
	;; [unrolled: 8-line block ×3, first 2 shown]
	v_mul_f32_e32 v11, v3, v35
	v_fmac_f32_e32 v19, v2, v123
	v_fmac_f32_e32 v11, v2, v34
	;; [unrolled: 1-line block ×6, first 2 shown]
	v_add_f32_e32 v6, v6, v11
	v_mul_f32_e32 v11, v3, v105
	buffer_store_dword v6, off, s[0:3], s32 offset:1548 ; 4-byte Folded Spill
	buffer_load_dword v6, off, s[0:3], s32 offset:1556 ; 4-byte Folded Reload
	v_fmac_f32_e32 v11, v2, v104
	v_fmac_f32_e32 v11, v4, v26
	v_fmac_f32_e32 v11, v5, v25
	s_waitcnt vmcnt(0)
	v_add_f32_e32 v6, v6, v13
	v_mul_f32_e32 v13, v3, v95
	buffer_store_dword v6, off, s[0:3], s32 offset:1556 ; 4-byte Folded Spill
	buffer_load_dword v6, off, s[0:3], s32 offset:1564 ; 4-byte Folded Reload
	v_fmac_f32_e32 v13, v2, v94
	v_fmac_f32_e32 v13, v4, v72
	v_fmac_f32_e32 v13, v5, v63
	s_waitcnt vmcnt(0)
	;; [unrolled: 8-line block ×3, first 2 shown]
	v_add_f32_e32 v6, v6, v18
	buffer_load_dword v18, off, s[0:3], s32 offset:1588 ; 4-byte Folded Reload
	buffer_store_dword v6, off, s[0:3], s32 offset:1572 ; 4-byte Folded Spill
	buffer_load_dword v6, off, s[0:3], s32 offset:1580 ; 4-byte Folded Reload
	s_waitcnt vmcnt(0)
	v_add_f32_e32 v6, v6, v19
	buffer_load_dword v19, off, s[0:3], s32 offset:1908 ; 4-byte Folded Reload
	buffer_store_dword v6, off, s[0:3], s32 offset:1580 ; 4-byte Folded Spill
	v_mul_f32_e32 v6, v3, v122
	v_fmac_f32_e32 v6, v2, v121
	v_fmac_f32_e32 v6, v4, v120
	;; [unrolled: 1-line block ×3, first 2 shown]
	v_add_f32_e32 v18, v18, v6
	buffer_load_dword v6, off, s[0:3], s32 offset:1596 ; 4-byte Folded Reload
	buffer_store_dword v18, off, s[0:3], s32 offset:1588 ; 4-byte Folded Spill
	buffer_load_dword v18, off, s[0:3], s32 offset:1628 ; 4-byte Folded Reload
	s_waitcnt vmcnt(1)
	v_add_f32_e32 v6, v6, v7
	v_mul_f32_e32 v7, v3, v45
	buffer_store_dword v6, off, s[0:3], s32 offset:1596 ; 4-byte Folded Spill
	buffer_load_dword v6, off, s[0:3], s32 offset:1604 ; 4-byte Folded Reload
	v_fmac_f32_e32 v7, v2, v44
	v_fmac_f32_e32 v7, v4, v43
	v_fmac_f32_e32 v7, v5, v42
	s_waitcnt vmcnt(0)
	v_add_f32_e32 v6, v6, v11
	v_mul_f32_e32 v11, v3, v41
	buffer_store_dword v6, off, s[0:3], s32 offset:1604 ; 4-byte Folded Spill
	buffer_load_dword v6, off, s[0:3], s32 offset:1612 ; 4-byte Folded Reload
	v_fmac_f32_e32 v11, v2, v40
	v_fmac_f32_e32 v11, v4, v119
	v_fmac_f32_e32 v11, v5, v118
	;; [unrolled: 8-line block ×3, first 2 shown]
	s_waitcnt vmcnt(0)
	v_add_f32_e32 v6, v6, v17
	v_mul_f32_e32 v17, v3, v113
	buffer_store_dword v6, off, s[0:3], s32 offset:1620 ; 4-byte Folded Spill
	v_mul_f32_e32 v6, v3, v58
	v_fmac_f32_e32 v17, v2, v112
	v_fmac_f32_e32 v6, v2, v57
	v_fmac_f32_e32 v17, v4, v103
	v_fmac_f32_e32 v6, v4, v56
	v_fmac_f32_e32 v17, v5, v102
	v_fmac_f32_e32 v6, v5, v46
	v_add_f32_e32 v18, v18, v6
	buffer_load_dword v6, off, s[0:3], s32 offset:1636 ; 4-byte Folded Reload
	buffer_store_dword v18, off, s[0:3], s32 offset:1628 ; 4-byte Folded Spill
	buffer_load_dword v18, off, s[0:3], s32 offset:1324 ; 4-byte Folded Reload
	s_waitcnt vmcnt(1)
	v_add_f32_e32 v6, v6, v7
	buffer_load_dword v7, off, s[0:3], s32 offset:1452 ; 4-byte Folded Reload
	buffer_store_dword v6, off, s[0:3], s32 offset:1636 ; 4-byte Folded Spill
	buffer_load_dword v6, off, s[0:3], s32 offset:1644 ; 4-byte Folded Reload
	s_waitcnt vmcnt(0)
	;; [unrolled: 5-line block ×5, first 2 shown]
	v_mul_f32_e32 v6, v3, v6
	v_fmac_f32_e32 v6, v2, v7
	buffer_load_dword v7, off, s[0:3], s32 offset:1428 ; 4-byte Folded Reload
	s_waitcnt vmcnt(0)
	v_mul_f32_e32 v7, v3, v7
	v_fmac_f32_e32 v7, v2, v11
	buffer_load_dword v11, off, s[0:3], s32 offset:1396 ; 4-byte Folded Reload
	s_waitcnt vmcnt(0)
	;; [unrolled: 4-line block ×5, first 2 shown]
	v_fmac_f32_e32 v6, v4, v18
	buffer_load_dword v18, off, s[0:3], s32 offset:1412 ; 4-byte Folded Reload
	s_waitcnt vmcnt(0)
	v_fmac_f32_e32 v7, v4, v18
	buffer_load_dword v18, off, s[0:3], s32 offset:1380 ; 4-byte Folded Reload
	s_waitcnt vmcnt(0)
	;; [unrolled: 3-line block ×10, first 2 shown]
	v_add_f32_e32 v18, v18, v6
	buffer_load_dword v6, off, s[0:3], s32 offset:1676 ; 4-byte Folded Reload
	buffer_store_dword v18, off, s[0:3], s32 offset:1668 ; 4-byte Folded Spill
	buffer_load_dword v18, off, s[0:3], s32 offset:1164 ; 4-byte Folded Reload
	s_waitcnt vmcnt(1)
	v_add_f32_e32 v6, v6, v7
	buffer_load_dword v7, off, s[0:3], s32 offset:1292 ; 4-byte Folded Reload
	buffer_store_dword v6, off, s[0:3], s32 offset:1676 ; 4-byte Folded Spill
	buffer_load_dword v6, off, s[0:3], s32 offset:1684 ; 4-byte Folded Reload
	s_waitcnt vmcnt(0)
	;; [unrolled: 5-line block ×5, first 2 shown]
	v_mul_f32_e32 v6, v3, v6
	v_fmac_f32_e32 v6, v2, v7
	buffer_load_dword v7, off, s[0:3], s32 offset:1268 ; 4-byte Folded Reload
	s_waitcnt vmcnt(0)
	v_mul_f32_e32 v7, v3, v7
	v_fmac_f32_e32 v7, v2, v11
	buffer_load_dword v11, off, s[0:3], s32 offset:1236 ; 4-byte Folded Reload
	s_waitcnt vmcnt(0)
	;; [unrolled: 4-line block ×5, first 2 shown]
	v_fmac_f32_e32 v6, v4, v18
	buffer_load_dword v18, off, s[0:3], s32 offset:1252 ; 4-byte Folded Reload
	s_waitcnt vmcnt(0)
	v_fmac_f32_e32 v7, v4, v18
	buffer_load_dword v18, off, s[0:3], s32 offset:1220 ; 4-byte Folded Reload
	s_waitcnt vmcnt(0)
	v_fmac_f32_e32 v11, v4, v18
	buffer_load_dword v18, off, s[0:3], s32 offset:1188 ; 4-byte Folded Reload
	s_waitcnt vmcnt(0)
	v_fmac_f32_e32 v13, v4, v18
	buffer_load_dword v18, off, s[0:3], s32 offset:1156 ; 4-byte Folded Reload
	s_waitcnt vmcnt(0)
	v_fmac_f32_e32 v17, v4, v18
	buffer_load_dword v18, off, s[0:3], s32 offset:1276 ; 4-byte Folded Reload
	s_waitcnt vmcnt(0)
	v_fmac_f32_e32 v6, v5, v18
	buffer_load_dword v18, off, s[0:3], s32 offset:1244 ; 4-byte Folded Reload
	s_waitcnt vmcnt(0)
	v_fmac_f32_e32 v7, v5, v18
	buffer_load_dword v18, off, s[0:3], s32 offset:1212 ; 4-byte Folded Reload
	s_waitcnt vmcnt(0)
	v_fmac_f32_e32 v11, v5, v18
	buffer_load_dword v18, off, s[0:3], s32 offset:1180 ; 4-byte Folded Reload
	s_waitcnt vmcnt(0)
	v_fmac_f32_e32 v13, v5, v18
	buffer_load_dword v18, off, s[0:3], s32 offset:1148 ; 4-byte Folded Reload
	s_waitcnt vmcnt(0)
	v_fmac_f32_e32 v17, v5, v18
	buffer_load_dword v18, off, s[0:3], s32 offset:1708 ; 4-byte Folded Reload
	s_waitcnt vmcnt(0)
	v_add_f32_e32 v18, v18, v6
	buffer_load_dword v6, off, s[0:3], s32 offset:1716 ; 4-byte Folded Reload
	buffer_store_dword v18, off, s[0:3], s32 offset:1708 ; 4-byte Folded Spill
	buffer_load_dword v18, off, s[0:3], s32 offset:1004 ; 4-byte Folded Reload
	s_waitcnt vmcnt(1)
	v_add_f32_e32 v6, v6, v7
	buffer_load_dword v7, off, s[0:3], s32 offset:1132 ; 4-byte Folded Reload
	buffer_store_dword v6, off, s[0:3], s32 offset:1716 ; 4-byte Folded Spill
	buffer_load_dword v6, off, s[0:3], s32 offset:1724 ; 4-byte Folded Reload
	s_waitcnt vmcnt(0)
	;; [unrolled: 5-line block ×5, first 2 shown]
	v_mul_f32_e32 v6, v3, v6
	v_fmac_f32_e32 v6, v2, v7
	buffer_load_dword v7, off, s[0:3], s32 offset:1108 ; 4-byte Folded Reload
	s_waitcnt vmcnt(0)
	v_mul_f32_e32 v7, v3, v7
	v_fmac_f32_e32 v7, v2, v11
	buffer_load_dword v11, off, s[0:3], s32 offset:1076 ; 4-byte Folded Reload
	s_waitcnt vmcnt(0)
	;; [unrolled: 4-line block ×5, first 2 shown]
	v_fmac_f32_e32 v6, v4, v18
	buffer_load_dword v18, off, s[0:3], s32 offset:1092 ; 4-byte Folded Reload
	s_waitcnt vmcnt(0)
	v_fmac_f32_e32 v7, v4, v18
	buffer_load_dword v18, off, s[0:3], s32 offset:1060 ; 4-byte Folded Reload
	s_waitcnt vmcnt(0)
	;; [unrolled: 3-line block ×10, first 2 shown]
	v_add_f32_e32 v18, v18, v6
	buffer_load_dword v6, off, s[0:3], s32 offset:1756 ; 4-byte Folded Reload
	buffer_store_dword v18, off, s[0:3], s32 offset:1748 ; 4-byte Folded Spill
	buffer_load_dword v18, off, s[0:3], s32 offset:844 ; 4-byte Folded Reload
	s_waitcnt vmcnt(1)
	v_add_f32_e32 v6, v6, v7
	buffer_load_dword v7, off, s[0:3], s32 offset:972 ; 4-byte Folded Reload
	buffer_store_dword v6, off, s[0:3], s32 offset:1756 ; 4-byte Folded Spill
	buffer_load_dword v6, off, s[0:3], s32 offset:1764 ; 4-byte Folded Reload
	s_waitcnt vmcnt(0)
	v_add_f32_e32 v6, v6, v11
	buffer_load_dword v11, off, s[0:3], s32 offset:940 ; 4-byte Folded Reload
	buffer_store_dword v6, off, s[0:3], s32 offset:1764 ; 4-byte Folded Spill
	buffer_load_dword v6, off, s[0:3], s32 offset:1772 ; 4-byte Folded Reload
	s_waitcnt vmcnt(0)
	v_add_f32_e32 v6, v6, v13
	buffer_load_dword v13, off, s[0:3], s32 offset:908 ; 4-byte Folded Reload
	buffer_store_dword v6, off, s[0:3], s32 offset:1772 ; 4-byte Folded Spill
	buffer_load_dword v6, off, s[0:3], s32 offset:1780 ; 4-byte Folded Reload
	s_waitcnt vmcnt(0)
	v_add_f32_e32 v6, v6, v17
	buffer_load_dword v17, off, s[0:3], s32 offset:876 ; 4-byte Folded Reload
	buffer_store_dword v6, off, s[0:3], s32 offset:1780 ; 4-byte Folded Spill
	buffer_load_dword v6, off, s[0:3], s32 offset:980 ; 4-byte Folded Reload
	s_waitcnt vmcnt(0)
	v_mul_f32_e32 v6, v3, v6
	v_fmac_f32_e32 v6, v2, v7
	buffer_load_dword v7, off, s[0:3], s32 offset:948 ; 4-byte Folded Reload
	s_waitcnt vmcnt(0)
	v_mul_f32_e32 v7, v3, v7
	v_fmac_f32_e32 v7, v2, v11
	buffer_load_dword v11, off, s[0:3], s32 offset:916 ; 4-byte Folded Reload
	s_waitcnt vmcnt(0)
	;; [unrolled: 4-line block ×5, first 2 shown]
	v_fmac_f32_e32 v6, v4, v18
	buffer_load_dword v18, off, s[0:3], s32 offset:932 ; 4-byte Folded Reload
	s_waitcnt vmcnt(0)
	v_fmac_f32_e32 v7, v4, v18
	buffer_load_dword v18, off, s[0:3], s32 offset:900 ; 4-byte Folded Reload
	s_waitcnt vmcnt(0)
	;; [unrolled: 3-line block ×10, first 2 shown]
	v_add_f32_e32 v18, v18, v6
	buffer_load_dword v6, off, s[0:3], s32 offset:1796 ; 4-byte Folded Reload
	buffer_store_dword v18, off, s[0:3], s32 offset:1788 ; 4-byte Folded Spill
	buffer_load_dword v18, off, s[0:3], s32 offset:684 ; 4-byte Folded Reload
	s_waitcnt vmcnt(1)
	v_add_f32_e32 v6, v6, v7
	buffer_load_dword v7, off, s[0:3], s32 offset:812 ; 4-byte Folded Reload
	buffer_store_dword v6, off, s[0:3], s32 offset:1796 ; 4-byte Folded Spill
	buffer_load_dword v6, off, s[0:3], s32 offset:1804 ; 4-byte Folded Reload
	s_waitcnt vmcnt(0)
	;; [unrolled: 5-line block ×5, first 2 shown]
	v_mul_f32_e32 v6, v3, v6
	v_fmac_f32_e32 v6, v2, v7
	buffer_load_dword v7, off, s[0:3], s32 offset:788 ; 4-byte Folded Reload
	s_waitcnt vmcnt(0)
	v_mul_f32_e32 v7, v3, v7
	v_fmac_f32_e32 v7, v2, v11
	buffer_load_dword v11, off, s[0:3], s32 offset:756 ; 4-byte Folded Reload
	s_waitcnt vmcnt(0)
	v_mul_f32_e32 v11, v3, v11
	v_fmac_f32_e32 v11, v2, v13
	buffer_load_dword v13, off, s[0:3], s32 offset:724 ; 4-byte Folded Reload
	s_waitcnt vmcnt(0)
	v_mul_f32_e32 v13, v3, v13
	v_fmac_f32_e32 v13, v2, v17
	buffer_load_dword v17, off, s[0:3], s32 offset:692 ; 4-byte Folded Reload
	s_waitcnt vmcnt(0)
	v_mul_f32_e32 v17, v3, v17
	v_fmac_f32_e32 v17, v2, v18
	buffer_load_dword v18, off, s[0:3], s32 offset:804 ; 4-byte Folded Reload
	s_waitcnt vmcnt(0)
	v_fmac_f32_e32 v6, v4, v18
	buffer_load_dword v18, off, s[0:3], s32 offset:772 ; 4-byte Folded Reload
	s_waitcnt vmcnt(0)
	v_fmac_f32_e32 v7, v4, v18
	buffer_load_dword v18, off, s[0:3], s32 offset:740 ; 4-byte Folded Reload
	s_waitcnt vmcnt(0)
	;; [unrolled: 3-line block ×10, first 2 shown]
	v_add_f32_e32 v18, v18, v6
	buffer_load_dword v6, off, s[0:3], s32 offset:1836 ; 4-byte Folded Reload
	buffer_store_dword v18, off, s[0:3], s32 offset:1828 ; 4-byte Folded Spill
	buffer_load_dword v18, off, s[0:3], s32 offset:1904 ; 4-byte Folded Reload
	s_waitcnt vmcnt(1)
	v_add_f32_e32 v6, v6, v7
	buffer_load_dword v7, off, s[0:3], s32 offset:652 ; 4-byte Folded Reload
	buffer_store_dword v6, off, s[0:3], s32 offset:1836 ; 4-byte Folded Spill
	buffer_load_dword v6, off, s[0:3], s32 offset:660 ; 4-byte Folded Reload
	s_waitcnt vmcnt(0)
	v_mul_f32_e32 v6, v3, v6
	v_fmac_f32_e32 v6, v2, v7
	buffer_load_dword v7, off, s[0:3], s32 offset:628 ; 4-byte Folded Reload
	v_add_f32_e32 v18, v18, v11
	buffer_load_dword v11, off, s[0:3], s32 offset:620 ; 4-byte Folded Reload
	s_waitcnt vmcnt(1)
	v_mul_f32_e32 v7, v3, v7
	s_waitcnt vmcnt(0)
	v_fmac_f32_e32 v7, v2, v11
	buffer_load_dword v11, off, s[0:3], s32 offset:596 ; 4-byte Folded Reload
	v_add_f32_e32 v19, v19, v13
	buffer_load_dword v13, off, s[0:3], s32 offset:588 ; 4-byte Folded Reload
	s_waitcnt vmcnt(1)
	v_mul_f32_e32 v11, v3, v11
	s_waitcnt vmcnt(0)
	;; [unrolled: 7-line block ×3, first 2 shown]
	v_fmac_f32_e32 v13, v2, v17
	buffer_load_dword v17, off, s[0:3], s32 offset:532 ; 4-byte Folded Reload
	s_waitcnt vmcnt(0)
	v_mul_f32_e32 v17, v3, v17
	v_fmac_f32_e32 v17, v2, v21
	buffer_load_dword v21, off, s[0:3], s32 offset:644 ; 4-byte Folded Reload
	s_waitcnt vmcnt(0)
	v_fmac_f32_e32 v6, v4, v21
	buffer_load_dword v21, off, s[0:3], s32 offset:612 ; 4-byte Folded Reload
	s_waitcnt vmcnt(0)
	;; [unrolled: 3-line block ×11, first 2 shown]
	v_add_f32_e32 v21, v21, v6
	buffer_load_dword v6, off, s[0:3], s32 offset:1844 ; 4-byte Folded Reload
	s_waitcnt vmcnt(0)
	v_add_f32_e32 v6, v6, v11
	buffer_load_dword v11, off, s[0:3], s32 offset:436 ; 4-byte Folded Reload
	buffer_store_dword v6, off, s[0:3], s32 offset:1844 ; 4-byte Folded Spill
	buffer_load_dword v6, off, s[0:3], s32 offset:1860 ; 4-byte Folded Reload
	s_waitcnt vmcnt(0)
	v_add_f32_e32 v6, v6, v13
	buffer_load_dword v13, off, s[0:3], s32 offset:404 ; 4-byte Folded Reload
	buffer_store_dword v6, off, s[0:3], s32 offset:1860 ; 4-byte Folded Spill
	;; [unrolled: 5-line block ×3, first 2 shown]
	buffer_load_dword v6, off, s[0:3], s32 offset:500 ; 4-byte Folded Reload
	v_add_f32_e32 v22, v22, v7
	buffer_load_dword v7, off, s[0:3], s32 offset:468 ; 4-byte Folded Reload
	s_waitcnt vmcnt(1)
	v_mul_f32_e32 v6, v3, v6
	v_fmac_f32_e32 v6, v2, v23
	buffer_load_dword v23, off, s[0:3], s32 offset:460 ; 4-byte Folded Reload
	s_waitcnt vmcnt(1)
	v_mul_f32_e32 v7, v3, v7
	s_waitcnt vmcnt(0)
	v_fmac_f32_e32 v7, v2, v23
	buffer_load_dword v23, off, s[0:3], s32 offset:428 ; 4-byte Folded Reload
	v_mul_f32_e32 v11, v3, v11
	s_waitcnt vmcnt(0)
	v_fmac_f32_e32 v11, v2, v23
	buffer_load_dword v23, off, s[0:3], s32 offset:396 ; 4-byte Folded Reload
	;; [unrolled: 4-line block ×4, first 2 shown]
	s_waitcnt vmcnt(0)
	v_fmac_f32_e32 v6, v4, v23
	buffer_load_dword v23, off, s[0:3], s32 offset:452 ; 4-byte Folded Reload
	s_waitcnt vmcnt(0)
	v_fmac_f32_e32 v7, v4, v23
	buffer_load_dword v23, off, s[0:3], s32 offset:420 ; 4-byte Folded Reload
	s_waitcnt vmcnt(0)
	v_fmac_f32_e32 v11, v4, v23
	buffer_load_dword v23, off, s[0:3], s32 offset:388 ; 4-byte Folded Reload
	s_waitcnt vmcnt(0)
	v_fmac_f32_e32 v13, v4, v23
	buffer_load_dword v23, off, s[0:3], s32 offset:356 ; 4-byte Folded Reload
	s_waitcnt vmcnt(0)
	v_fmac_f32_e32 v17, v4, v23
	buffer_load_dword v23, off, s[0:3], s32 offset:476 ; 4-byte Folded Reload
	s_waitcnt vmcnt(0)
	v_fmac_f32_e32 v6, v5, v23
	buffer_load_dword v23, off, s[0:3], s32 offset:444 ; 4-byte Folded Reload
	s_waitcnt vmcnt(0)
	v_fmac_f32_e32 v7, v5, v23
	buffer_load_dword v23, off, s[0:3], s32 offset:412 ; 4-byte Folded Reload
	s_waitcnt vmcnt(0)
	v_fmac_f32_e32 v11, v5, v23
	buffer_load_dword v23, off, s[0:3], s32 offset:380 ; 4-byte Folded Reload
	s_waitcnt vmcnt(0)
	v_fmac_f32_e32 v13, v5, v23
	buffer_load_dword v23, off, s[0:3], s32 offset:348 ; 4-byte Folded Reload
	s_waitcnt vmcnt(0)
	v_fmac_f32_e32 v17, v5, v23
	buffer_load_dword v23, off, s[0:3], s32 offset:1868 ; 4-byte Folded Reload
	s_waitcnt vmcnt(0)
	v_add_f32_e32 v23, v23, v6
	buffer_load_dword v6, off, s[0:3], s32 offset:1872 ; 4-byte Folded Reload
	buffer_store_dword v23, off, s[0:3], s32 offset:1868 ; 4-byte Folded Spill
	s_waitcnt vmcnt(0)
	v_add_f32_e32 v6, v6, v7
	buffer_load_dword v7, off, s[0:3], s32 offset:308 ; 4-byte Folded Reload
	buffer_store_dword v6, off, s[0:3], s32 offset:1872 ; 4-byte Folded Spill
	buffer_load_dword v6, off, s[0:3], s32 offset:1876 ; 4-byte Folded Reload
	s_waitcnt vmcnt(0)
	v_add_f32_e32 v6, v6, v11
	buffer_load_dword v11, off, s[0:3], s32 offset:276 ; 4-byte Folded Reload
	v_mul_f32_e32 v7, v3, v7
	buffer_store_dword v6, off, s[0:3], s32 offset:1876 ; 4-byte Folded Spill
	buffer_load_dword v6, off, s[0:3], s32 offset:1880 ; 4-byte Folded Reload
	s_waitcnt vmcnt(0)
	v_add_f32_e32 v6, v6, v13
	buffer_load_dword v13, off, s[0:3], s32 offset:244 ; 4-byte Folded Reload
	v_mul_f32_e32 v11, v3, v11
	buffer_store_dword v6, off, s[0:3], s32 offset:1880 ; 4-byte Folded Spill
	buffer_load_dword v6, off, s[0:3], s32 offset:1924 ; 4-byte Folded Reload
	s_waitcnt vmcnt(1)
	v_mul_f32_e32 v13, v3, v13
	s_waitcnt vmcnt(0)
	v_add_f32_e32 v17, v6, v17
	buffer_load_dword v6, off, s[0:3], s32 offset:340 ; 4-byte Folded Reload
	s_waitcnt vmcnt(0)
	v_mul_f32_e32 v6, v3, v6
	v_mul_f32_e32 v3, v3, v10
	buffer_load_dword v10, off, s[0:3], s32 offset:332 ; 4-byte Folded Reload
	v_fmac_f32_e32 v3, v2, v8
	v_fmac_f32_e32 v3, v4, v1
	buffer_load_dword v1, off, s[0:3], s32 offset:316 ; 4-byte Folded Reload
	v_fmac_f32_e32 v3, v5, v0
	buffer_load_dword v0, off, s[0:3], s32 offset:1896 ; 4-byte Folded Reload
	s_waitcnt vmcnt(2)
	v_fmac_f32_e32 v6, v2, v10
	buffer_load_dword v10, off, s[0:3], s32 offset:300 ; 4-byte Folded Reload
	s_waitcnt vmcnt(0)
	;; [unrolled: 3-line block ×5, first 2 shown]
	v_fmac_f32_e32 v6, v4, v2
	buffer_load_dword v2, off, s[0:3], s32 offset:292 ; 4-byte Folded Reload
	v_fmac_f32_e32 v6, v5, v1
	buffer_load_dword v1, off, s[0:3], s32 offset:284 ; 4-byte Folded Reload
	s_waitcnt vmcnt(1)
	v_fmac_f32_e32 v7, v4, v2
	buffer_load_dword v2, off, s[0:3], s32 offset:260 ; 4-byte Folded Reload
	s_waitcnt vmcnt(1)
	;; [unrolled: 3-line block ×4, first 2 shown]
	v_fmac_f32_e32 v11, v5, v1
	buffer_load_dword v1, off, s[0:3], s32 offset:192 ; 4-byte Folded Reload
	v_add_f32_e32 v0, v0, v11
	buffer_store_dword v0, off, s[0:3], s32 offset:1896 ; 4-byte Folded Spill
	buffer_load_dword v0, off, s[0:3], s32 offset:1888 ; 4-byte Folded Reload
	s_waitcnt vmcnt(2)
	v_fmac_f32_e32 v13, v4, v2
	s_waitcnt vmcnt(1)
	v_fmac_f32_e32 v13, v5, v1
	buffer_load_dword v5, off, s[0:3], s32 offset:1928 ; 4-byte Folded Reload
	s_waitcnt vmcnt(1)
	v_add_f32_e32 v0, v0, v13
	buffer_store_dword v0, off, s[0:3], s32 offset:1888 ; 4-byte Folded Spill
	buffer_load_dword v0, off, s[0:3], s32 offset:1468 ; 4-byte Folded Reload
	s_waitcnt vmcnt(1)
	v_add_f32_e32 v5, v5, v6
	buffer_load_dword v6, off, s[0:3], s32 offset:1932 ; 4-byte Folded Reload
	s_waitcnt vmcnt(1)
	v_add_f32_e32 v0, v0, v3
	buffer_store_dword v0, off, s[0:3], s32 offset:1468 ; 4-byte Folded Spill
	s_waitcnt vmcnt(0)
	v_add_f32_e32 v6, v6, v7
.LBB216_2082:                           ;   in Loop: Header=BB216_2083 Depth=1
	s_or_b32 exec_lo, exec_lo, s19
	s_clause 0x1
	buffer_load_dword v2, off, s[0:3], s32 offset:204
	buffer_load_dword v0, off, s[0:3], s32 offset:200
	v_add_nc_u32_e32 v93, 4, v93
	v_add_co_u32 v15, s4, v15, 16
	v_add_nc_u32_e32 v91, 0x200, v91
	v_add_co_ci_u32_e64 v16, null, 0, v16, s4
	s_waitcnt vmcnt(1)
	v_add_nc_u32_e32 v2, 0x80, v2
	s_waitcnt vmcnt(0)
	v_cmp_ge_i32_e32 vcc_lo, v93, v0
	s_or_b32 s18, vcc_lo, s18
	s_andn2_b32 exec_lo, exec_lo, s18
	s_cbranch_execz .LBB216_4260
.LBB216_2083:                           ; =>This Inner Loop Header: Depth=1
	s_clause 0x1
	buffer_load_dword v0, off, s[0:3], s32 offset:232
	buffer_load_dword v4, off, s[0:3], s32 offset:216
	s_waitcnt vmcnt(2)
	buffer_store_dword v2, off, s[0:3], s32 offset:204 ; 4-byte Folded Spill
	s_waitcnt vmcnt(1)
	v_mul_hi_u32 v0, v2, v0
	s_waitcnt vmcnt(0)
	v_mul_lo_u32 v1, v0, v4
	v_sub_nc_u32_e32 v1, v2, v1
	v_add_nc_u32_e32 v2, 1, v0
	v_sub_nc_u32_e32 v3, v1, v4
	v_cmp_ge_u32_e32 vcc_lo, v1, v4
	v_cndmask_b32_e32 v1, v1, v3, vcc_lo
	v_cndmask_b32_e32 v0, v0, v2, vcc_lo
	v_cmp_ge_u32_e32 vcc_lo, v1, v4
	buffer_load_dword v1, off, s[0:3], s32 offset:228 ; 4-byte Folded Reload
	v_add_nc_u32_e32 v2, 1, v0
	v_cndmask_b32_e32 v0, v0, v2, vcc_lo
	s_waitcnt vmcnt(0)
	v_xor_b32_e32 v0, v0, v1
	v_sub_nc_u32_e32 v0, v0, v1
	s_clause 0x2
	buffer_load_dword v1, off, s[0:3], s32 offset:220
	buffer_load_dword v2, off, s[0:3], s32 offset:224
	;; [unrolled: 1-line block ×3, first 2 shown]
	s_waitcnt vmcnt(2)
	v_add_nc_u32_e32 v1, v0, v1
	s_waitcnt vmcnt(1)
	v_sub_nc_u32_e32 v2, 0, v1
	v_max_i32_e32 v2, v1, v2
	v_ashrrev_i32_e32 v1, 31, v1
	s_waitcnt vmcnt(0)
	v_mul_hi_u32 v3, v2, v3
	v_mul_lo_u32 v3, v3, v73
	v_sub_nc_u32_e32 v2, v2, v3
	v_sub_nc_u32_e32 v3, v2, v73
	v_cmp_ge_u32_e32 vcc_lo, v2, v73
	v_cndmask_b32_e32 v2, v2, v3, vcc_lo
	v_sub_nc_u32_e32 v3, v2, v73
	v_cmp_ge_u32_e32 vcc_lo, v2, v73
	v_cndmask_b32_e32 v2, v2, v3, vcc_lo
	v_xor_b32_e32 v2, v2, v1
	v_sub_nc_u32_e32 v1, v2, v1
	v_cmp_eq_u32_e32 vcc_lo, 0, v1
	buffer_load_dword v1, off, s[0:3], s32 offset:236 ; 4-byte Folded Reload
	s_waitcnt vmcnt(0)
	v_cmp_gt_i32_e64 s4, v0, v1
	s_or_b32 s4, vcc_lo, s4
	s_and_saveexec_b32 s19, s4
	s_cbranch_execz .LBB216_2082
; %bb.2084:                             ;   in Loop: Header=BB216_2083 Depth=1
	buffer_store_dword v6, off, s[0:3], s32 offset:1932 ; 4-byte Folded Spill
	buffer_store_dword v5, off, s[0:3], s32 offset:1928 ; 4-byte Folded Spill
	;; [unrolled: 1-line block ×8, first 2 shown]
	flat_load_dword v0, v[15:16]
	s_clause 0x2
	buffer_load_dword v1, off, s[0:3], s32 offset:1856
	buffer_load_dword v2, off, s[0:3], s32 offset:1936
	;; [unrolled: 1-line block ×3, first 2 shown]
	v_mov_b32_e32 v21, 0
	v_mov_b32_e32 v19, 0
	;; [unrolled: 1-line block ×4, first 2 shown]
	s_waitcnt vmcnt(0) lgkmcnt(0)
	v_mad_i64_i32 v[17:18], null, v0, v1, v[2:3]
	buffer_load_dword v0, off, s[0:3], s32 offset:1948 ; 4-byte Folded Reload
	s_waitcnt vmcnt(0)
	v_add_co_u32 v0, vcc_lo, v17, v0
	v_add_co_ci_u32_e64 v1, null, 0, v18, vcc_lo
	flat_load_dword v6, v[0:1]
	s_clause 0x1
	buffer_load_dword v2, off, s[0:3], s32 offset:2132
	buffer_load_dword v3, off, s[0:3], s32 offset:2136
	s_load_dword s4, s[12:13], 0x0
	s_waitcnt vmcnt(2) lgkmcnt(0)
	v_cmp_ne_u16_sdwa s5, v6, v9 src0_sel:BYTE_0 src1_sel:DWORD
	s_waitcnt vmcnt(0)
	flat_load_dword v106, v[2:3]
	v_add_nc_u32_e32 v2, s4, v91
	ds_read_b128 v[2:5], v2
	s_and_saveexec_b32 s4, s5
	s_cbranch_execz .LBB216_2092
; %bb.2085:                             ;   in Loop: Header=BB216_2083 Depth=1
	v_bfrev_b32_e32 v19, 1
	v_mov_b32_e32 v20, 0
	v_cmp_ne_u16_sdwa s6, v6, v74 src0_sel:BYTE_0 src1_sel:DWORD
	s_and_saveexec_b32 s5, s6
	s_cbranch_execz .LBB216_2091
; %bb.2086:                             ;   in Loop: Header=BB216_2083 Depth=1
	v_mov_b32_e32 v19, 0x7f800001
	v_and_b32_e32 v10, 0x7f, v6
	v_mov_b32_e32 v20, 0
	s_mov_b32 s6, exec_lo
	v_cmpx_ne_u32_e32 0x7f, v10
	s_cbranch_execz .LBB216_2090
; %bb.2087:                             ;   in Loop: Header=BB216_2083 Depth=1
	v_and_b32_e32 v8, 7, v6
	v_lshrrev_b32_e32 v7, 3, v10
	s_mov_b32 s7, exec_lo
	v_cmpx_gt_u32_e32 8, v10
; %bb.2088:                             ;   in Loop: Header=BB216_2083 Depth=1
	v_ffbh_u32_e32 v7, v8
	v_min_u32_e32 v7, 32, v7
	v_subrev_nc_u32_e32 v10, 28, v7
	v_sub_nc_u32_e32 v7, 29, v7
	v_lshlrev_b64 v[10:11], v10, v[8:9]
	v_and_b32_e32 v8, 7, v10
; %bb.2089:                             ;   in Loop: Header=BB216_2083 Depth=1
	s_or_b32 exec_lo, exec_lo, s7
	v_lshlrev_b32_e32 v10, 24, v6
	v_lshlrev_b32_e32 v8, 20, v8
	v_lshl_add_u32 v7, v7, 23, 0x3c000000
	v_and_b32_e32 v10, 0x80000000, v10
	v_or3_b32 v8, v8, v10, v7
	v_mov_b32_e32 v20, v9
	v_mov_b32_e32 v19, v8
.LBB216_2090:                           ;   in Loop: Header=BB216_2083 Depth=1
	s_or_b32 exec_lo, exec_lo, s6
.LBB216_2091:                           ;   in Loop: Header=BB216_2083 Depth=1
	s_or_b32 exec_lo, exec_lo, s5
.LBB216_2092:                           ;   in Loop: Header=BB216_2083 Depth=1
	s_or_b32 exec_lo, exec_lo, s4
	v_cmp_ne_u16_sdwa s5, v6, v9 src0_sel:BYTE_1 src1_sel:DWORD
	s_and_saveexec_b32 s4, s5
	s_cbranch_execz .LBB216_2100
; %bb.2093:                             ;   in Loop: Header=BB216_2083 Depth=1
	v_mov_b32_e32 v11, v9
	v_mov_b32_e32 v22, v12
	v_cmp_ne_u16_sdwa s6, v6, v74 src0_sel:BYTE_1 src1_sel:DWORD
	v_mov_b32_e32 v21, v11
	s_and_saveexec_b32 s5, s6
	s_cbranch_execz .LBB216_2099
; %bb.2094:                             ;   in Loop: Header=BB216_2083 Depth=1
	v_and_b32_sdwa v7, v75, v6 dst_sel:DWORD dst_unused:UNUSED_PAD src0_sel:DWORD src1_sel:BYTE_1
	v_mov_b32_e32 v13, v9
	v_mov_b32_e32 v22, v14
	s_mov_b32 s6, exec_lo
	v_and_b32_e32 v10, 0x7f, v7
	v_mov_b32_e32 v21, v13
	v_cmpx_ne_u32_e32 0x7f, v10
	s_cbranch_execz .LBB216_2098
; %bb.2095:                             ;   in Loop: Header=BB216_2083 Depth=1
	v_and_b32_e32 v8, 7, v7
	v_lshrrev_b32_e32 v7, 3, v10
	s_mov_b32 s7, exec_lo
	v_cmpx_gt_u32_e32 8, v10
; %bb.2096:                             ;   in Loop: Header=BB216_2083 Depth=1
	v_ffbh_u32_e32 v7, v8
	v_min_u32_e32 v7, 32, v7
	v_subrev_nc_u32_e32 v10, 28, v7
	v_sub_nc_u32_e32 v7, 29, v7
	v_lshlrev_b64 v[10:11], v10, v[8:9]
	v_and_b32_e32 v8, 7, v10
; %bb.2097:                             ;   in Loop: Header=BB216_2083 Depth=1
	s_or_b32 exec_lo, exec_lo, s7
	v_lshlrev_b32_e32 v10, 16, v6
	v_lshlrev_b32_e32 v8, 20, v8
	v_lshl_add_u32 v7, v7, 23, 0x3c000000
	v_mov_b32_e32 v21, v9
	v_and_b32_e32 v10, 0x80000000, v10
	v_or3_b32 v22, v8, v10, v7
.LBB216_2098:                           ;   in Loop: Header=BB216_2083 Depth=1
	s_or_b32 exec_lo, exec_lo, s6
.LBB216_2099:                           ;   in Loop: Header=BB216_2083 Depth=1
	s_or_b32 exec_lo, exec_lo, s5
.LBB216_2100:                           ;   in Loop: Header=BB216_2083 Depth=1
	s_or_b32 exec_lo, exec_lo, s4
	v_mov_b32_e32 v10, 0
	v_mov_b32_e32 v23, 0
	v_and_b32_sdwa v7, v6, v76 dst_sel:DWORD dst_unused:UNUSED_PAD src0_sel:WORD_1 src1_sel:DWORD
	v_mov_b32_e32 v11, 0
	v_mov_b32_e32 v24, 0
	s_mov_b32 s4, exec_lo
	v_cmpx_ne_u16_e32 0, v7
	s_cbranch_execz .LBB216_2108
; %bb.2101:                             ;   in Loop: Header=BB216_2083 Depth=1
	v_bfrev_b32_e32 v23, 1
	v_mov_b32_e32 v24, 0
	s_mov_b32 s5, exec_lo
	v_cmpx_ne_u16_e32 0x80, v7
	s_cbranch_execz .LBB216_2107
; %bb.2102:                             ;   in Loop: Header=BB216_2083 Depth=1
	v_mov_b32_e32 v23, 0x7f800001
	v_bfe_u32 v13, v6, 16, 7
	v_mov_b32_e32 v24, 0
	s_mov_b32 s6, exec_lo
	v_cmpx_ne_u32_e32 0x7f, v13
	s_cbranch_execz .LBB216_2106
; %bb.2103:                             ;   in Loop: Header=BB216_2083 Depth=1
	v_and_b32_sdwa v8, v6, v77 dst_sel:DWORD dst_unused:UNUSED_PAD src0_sel:WORD_1 src1_sel:DWORD
	v_lshrrev_b32_e32 v7, 3, v13
	s_mov_b32 s7, exec_lo
	v_cmpx_gt_u32_e32 8, v13
; %bb.2104:                             ;   in Loop: Header=BB216_2083 Depth=1
	v_ffbh_u32_e32 v7, v8
	v_min_u32_e32 v7, 32, v7
	v_subrev_nc_u32_e32 v13, 28, v7
	v_sub_nc_u32_e32 v7, 29, v7
	v_lshlrev_b64 v[23:24], v13, v[8:9]
	v_and_b32_e32 v8, 7, v23
; %bb.2105:                             ;   in Loop: Header=BB216_2083 Depth=1
	s_or_b32 exec_lo, exec_lo, s7
	v_lshlrev_b32_sdwa v13, v78, v6 dst_sel:DWORD dst_unused:UNUSED_PAD src0_sel:DWORD src1_sel:WORD_1
	v_lshlrev_b32_e32 v8, 20, v8
	v_lshl_add_u32 v7, v7, 23, 0x3c000000
	v_and_b32_e32 v13, 0x80000000, v13
	v_or3_b32 v8, v8, v13, v7
	v_mov_b32_e32 v24, v9
	v_mov_b32_e32 v23, v8
.LBB216_2106:                           ;   in Loop: Header=BB216_2083 Depth=1
	s_or_b32 exec_lo, exec_lo, s6
.LBB216_2107:                           ;   in Loop: Header=BB216_2083 Depth=1
	s_or_b32 exec_lo, exec_lo, s5
.LBB216_2108:                           ;   in Loop: Header=BB216_2083 Depth=1
	s_or_b32 exec_lo, exec_lo, s4
	s_mov_b32 s4, exec_lo
	v_cmpx_lt_u32_e32 0xffffff, v6
	s_cbranch_execz .LBB216_2116
; %bb.2109:                             ;   in Loop: Header=BB216_2083 Depth=1
	v_mov_b32_e32 v11, v9
	v_cmp_ne_u32_sdwa s6, v6, v74 src0_sel:BYTE_3 src1_sel:DWORD
	v_mov_b32_e32 v10, v11
	v_mov_b32_e32 v11, v12
	s_and_saveexec_b32 s5, s6
	s_cbranch_execz .LBB216_2115
; %bb.2110:                             ;   in Loop: Header=BB216_2083 Depth=1
	v_mov_b32_e32 v13, v9
	v_bfe_u32 v25, v6, 24, 7
	s_mov_b32 s6, exec_lo
	v_mov_b32_e32 v10, v13
	v_mov_b32_e32 v11, v14
	v_cmpx_ne_u32_e32 0x7f, v25
	s_cbranch_execz .LBB216_2114
; %bb.2111:                             ;   in Loop: Header=BB216_2083 Depth=1
	v_and_b32_sdwa v8, v6, v77 dst_sel:DWORD dst_unused:UNUSED_PAD src0_sel:BYTE_3 src1_sel:DWORD
	v_lshrrev_b32_e32 v7, 3, v25
	s_mov_b32 s7, exec_lo
	v_cmpx_gt_u32_e32 8, v25
; %bb.2112:                             ;   in Loop: Header=BB216_2083 Depth=1
	v_ffbh_u32_e32 v7, v8
	v_min_u32_e32 v7, 32, v7
	v_subrev_nc_u32_e32 v10, 28, v7
	v_sub_nc_u32_e32 v7, 29, v7
	v_lshlrev_b64 v[10:11], v10, v[8:9]
	v_and_b32_e32 v8, 7, v10
; %bb.2113:                             ;   in Loop: Header=BB216_2083 Depth=1
	s_or_b32 exec_lo, exec_lo, s7
	v_lshlrev_b32_sdwa v6, v78, v6 dst_sel:DWORD dst_unused:UNUSED_PAD src0_sel:DWORD src1_sel:BYTE_3
	v_lshlrev_b32_e32 v8, 20, v8
	v_lshl_add_u32 v7, v7, 23, 0x3c000000
	v_mov_b32_e32 v10, v9
	v_and_b32_e32 v6, 0x80000000, v6
	v_or3_b32 v11, v8, v6, v7
.LBB216_2114:                           ;   in Loop: Header=BB216_2083 Depth=1
	s_or_b32 exec_lo, exec_lo, s6
.LBB216_2115:                           ;   in Loop: Header=BB216_2083 Depth=1
	s_or_b32 exec_lo, exec_lo, s5
.LBB216_2116:                           ;   in Loop: Header=BB216_2083 Depth=1
	s_or_b32 exec_lo, exec_lo, s4
	s_clause 0x1
	buffer_load_dword v6, off, s[0:3], s32 offset:204
	buffer_load_dword v7, off, s[0:3], s32 offset:1944
	v_or_b32_e32 v13, v21, v19
	v_or_b32_e32 v8, v22, v20
	;; [unrolled: 1-line block ×3, first 2 shown]
	buffer_load_dword v21, off, s[0:3], s32 offset:1852 ; 4-byte Folded Reload
	s_waitcnt vmcnt(1)
	v_add_nc_u32_e32 v6, v7, v6
	buffer_load_dword v7, off, s[0:3], s32 offset:200 ; 4-byte Folded Reload
	v_add_nc_u32_e32 v19, 1, v6
	v_add_nc_u32_e32 v20, 2, v6
	s_waitcnt vmcnt(1)
	v_cmp_lt_i32_e32 vcc_lo, v6, v21
	v_cmp_lt_i32_e64 s4, v19, v21
	v_cmp_lt_i32_e64 s5, v20, v21
	s_waitcnt vmcnt(0)
	v_add_nc_u32_e32 v7, -1, v7
	v_cmp_eq_u32_e64 s7, v7, v93
	v_add_nc_u32_e32 v7, 3, v6
	v_or_b32_e32 v6, v11, v24
	v_cmp_lt_i32_e64 s6, v7, v21
	s_waitcnt lgkmcnt(1)
	v_mul_f32_e32 v7, v106, v8
	v_mul_f32_e32 v6, v106, v6
	buffer_store_dword v7, off, s[0:3], s32 offset:244 ; 4-byte Folded Spill
	v_mul_f32_e32 v7, v106, v13
	buffer_store_dword v6, off, s[0:3], s32 offset:192 ; 4-byte Folded Spill
	buffer_store_dword v7, off, s[0:3], s32 offset:240 ; 4-byte Folded Spill
	v_mul_f32_e32 v7, v106, v10
	buffer_store_dword v7, off, s[0:3], s32 offset:208 ; 4-byte Folded Spill
	s_and_saveexec_b32 s8, s7
	s_cbranch_execz .LBB216_2118
; %bb.2117:                             ;   in Loop: Header=BB216_2083 Depth=1
	buffer_load_dword v6, off, s[0:3], s32 offset:240 ; 4-byte Folded Reload
	s_waitcnt vmcnt(0)
	v_cndmask_b32_e32 v6, 0, v6, vcc_lo
	buffer_store_dword v6, off, s[0:3], s32 offset:240 ; 4-byte Folded Spill
	buffer_load_dword v6, off, s[0:3], s32 offset:244 ; 4-byte Folded Reload
	s_waitcnt vmcnt(0)
	v_cndmask_b32_e64 v6, 0, v6, s4
	buffer_store_dword v6, off, s[0:3], s32 offset:244 ; 4-byte Folded Spill
	buffer_load_dword v6, off, s[0:3], s32 offset:208 ; 4-byte Folded Reload
	s_waitcnt vmcnt(0)
	v_cndmask_b32_e64 v6, 0, v6, s5
	;; [unrolled: 4-line block ×3, first 2 shown]
	buffer_store_dword v6, off, s[0:3], s32 offset:192 ; 4-byte Folded Spill
.LBB216_2118:                           ;   in Loop: Header=BB216_2083 Depth=1
	s_or_b32 exec_lo, exec_lo, s8
	flat_load_dword v6, v[0:1] offset:128
	v_mov_b32_e32 v21, 0
	v_mov_b32_e32 v19, 0
	;; [unrolled: 1-line block ×4, first 2 shown]
	s_waitcnt vmcnt(0) lgkmcnt(0)
	v_cmp_ne_u16_sdwa s8, v6, v9 src0_sel:BYTE_0 src1_sel:DWORD
	s_and_saveexec_b32 s20, s8
	s_cbranch_execz .LBB216_2126
; %bb.2119:                             ;   in Loop: Header=BB216_2083 Depth=1
	v_bfrev_b32_e32 v19, 1
	v_mov_b32_e32 v20, 0
	v_cmp_ne_u16_sdwa s8, v6, v74 src0_sel:BYTE_0 src1_sel:DWORD
	s_and_saveexec_b32 s21, s8
	s_cbranch_execz .LBB216_2125
; %bb.2120:                             ;   in Loop: Header=BB216_2083 Depth=1
	v_mov_b32_e32 v19, 0x7f800001
	v_and_b32_e32 v10, 0x7f, v6
	v_mov_b32_e32 v20, 0
	s_mov_b32 s22, exec_lo
	v_cmpx_ne_u32_e32 0x7f, v10
	s_cbranch_execz .LBB216_2124
; %bb.2121:                             ;   in Loop: Header=BB216_2083 Depth=1
	v_and_b32_e32 v8, 7, v6
	v_lshrrev_b32_e32 v7, 3, v10
	s_mov_b32 s23, exec_lo
	v_cmpx_gt_u32_e32 8, v10
; %bb.2122:                             ;   in Loop: Header=BB216_2083 Depth=1
	v_ffbh_u32_e32 v7, v8
	v_min_u32_e32 v7, 32, v7
	v_subrev_nc_u32_e32 v10, 28, v7
	v_sub_nc_u32_e32 v7, 29, v7
	v_lshlrev_b64 v[10:11], v10, v[8:9]
	v_and_b32_e32 v8, 7, v10
; %bb.2123:                             ;   in Loop: Header=BB216_2083 Depth=1
	s_or_b32 exec_lo, exec_lo, s23
	v_lshlrev_b32_e32 v10, 24, v6
	v_lshlrev_b32_e32 v8, 20, v8
	v_lshl_add_u32 v7, v7, 23, 0x3c000000
	v_and_b32_e32 v10, 0x80000000, v10
	v_or3_b32 v8, v8, v10, v7
	v_mov_b32_e32 v20, v9
	v_mov_b32_e32 v19, v8
.LBB216_2124:                           ;   in Loop: Header=BB216_2083 Depth=1
	s_or_b32 exec_lo, exec_lo, s22
.LBB216_2125:                           ;   in Loop: Header=BB216_2083 Depth=1
	s_or_b32 exec_lo, exec_lo, s21
.LBB216_2126:                           ;   in Loop: Header=BB216_2083 Depth=1
	s_or_b32 exec_lo, exec_lo, s20
	v_cmp_ne_u16_sdwa s8, v6, v9 src0_sel:BYTE_1 src1_sel:DWORD
	s_and_saveexec_b32 s20, s8
	s_cbranch_execz .LBB216_2134
; %bb.2127:                             ;   in Loop: Header=BB216_2083 Depth=1
	v_mov_b32_e32 v11, v9
	v_mov_b32_e32 v22, v12
	v_cmp_ne_u16_sdwa s8, v6, v74 src0_sel:BYTE_1 src1_sel:DWORD
	v_mov_b32_e32 v21, v11
	s_and_saveexec_b32 s21, s8
	s_cbranch_execz .LBB216_2133
; %bb.2128:                             ;   in Loop: Header=BB216_2083 Depth=1
	v_and_b32_sdwa v7, v75, v6 dst_sel:DWORD dst_unused:UNUSED_PAD src0_sel:DWORD src1_sel:BYTE_1
	v_mov_b32_e32 v13, v9
	v_mov_b32_e32 v22, v14
	s_mov_b32 s22, exec_lo
	v_and_b32_e32 v10, 0x7f, v7
	v_mov_b32_e32 v21, v13
	v_cmpx_ne_u32_e32 0x7f, v10
	s_cbranch_execz .LBB216_2132
; %bb.2129:                             ;   in Loop: Header=BB216_2083 Depth=1
	v_and_b32_e32 v8, 7, v7
	v_lshrrev_b32_e32 v7, 3, v10
	s_mov_b32 s23, exec_lo
	v_cmpx_gt_u32_e32 8, v10
; %bb.2130:                             ;   in Loop: Header=BB216_2083 Depth=1
	v_ffbh_u32_e32 v7, v8
	v_min_u32_e32 v7, 32, v7
	v_subrev_nc_u32_e32 v10, 28, v7
	v_sub_nc_u32_e32 v7, 29, v7
	v_lshlrev_b64 v[10:11], v10, v[8:9]
	v_and_b32_e32 v8, 7, v10
; %bb.2131:                             ;   in Loop: Header=BB216_2083 Depth=1
	s_or_b32 exec_lo, exec_lo, s23
	v_lshlrev_b32_e32 v10, 16, v6
	v_lshlrev_b32_e32 v8, 20, v8
	v_lshl_add_u32 v7, v7, 23, 0x3c000000
	v_mov_b32_e32 v21, v9
	v_and_b32_e32 v10, 0x80000000, v10
	v_or3_b32 v22, v8, v10, v7
.LBB216_2132:                           ;   in Loop: Header=BB216_2083 Depth=1
	s_or_b32 exec_lo, exec_lo, s22
.LBB216_2133:                           ;   in Loop: Header=BB216_2083 Depth=1
	s_or_b32 exec_lo, exec_lo, s21
.LBB216_2134:                           ;   in Loop: Header=BB216_2083 Depth=1
	s_or_b32 exec_lo, exec_lo, s20
	v_mov_b32_e32 v10, 0
	v_mov_b32_e32 v23, 0
	v_and_b32_sdwa v7, v6, v76 dst_sel:DWORD dst_unused:UNUSED_PAD src0_sel:WORD_1 src1_sel:DWORD
	v_mov_b32_e32 v11, 0
	v_mov_b32_e32 v24, 0
	s_mov_b32 s20, exec_lo
	v_cmpx_ne_u16_e32 0, v7
	s_cbranch_execz .LBB216_2142
; %bb.2135:                             ;   in Loop: Header=BB216_2083 Depth=1
	v_bfrev_b32_e32 v23, 1
	v_mov_b32_e32 v24, 0
	s_mov_b32 s21, exec_lo
	v_cmpx_ne_u16_e32 0x80, v7
	s_cbranch_execz .LBB216_2141
; %bb.2136:                             ;   in Loop: Header=BB216_2083 Depth=1
	v_mov_b32_e32 v23, 0x7f800001
	v_bfe_u32 v13, v6, 16, 7
	v_mov_b32_e32 v24, 0
	s_mov_b32 s22, exec_lo
	v_cmpx_ne_u32_e32 0x7f, v13
	s_cbranch_execz .LBB216_2140
; %bb.2137:                             ;   in Loop: Header=BB216_2083 Depth=1
	v_and_b32_sdwa v8, v6, v77 dst_sel:DWORD dst_unused:UNUSED_PAD src0_sel:WORD_1 src1_sel:DWORD
	v_lshrrev_b32_e32 v7, 3, v13
	s_mov_b32 s23, exec_lo
	v_cmpx_gt_u32_e32 8, v13
; %bb.2138:                             ;   in Loop: Header=BB216_2083 Depth=1
	v_ffbh_u32_e32 v7, v8
	v_min_u32_e32 v7, 32, v7
	v_subrev_nc_u32_e32 v13, 28, v7
	v_sub_nc_u32_e32 v7, 29, v7
	v_lshlrev_b64 v[23:24], v13, v[8:9]
	v_and_b32_e32 v8, 7, v23
; %bb.2139:                             ;   in Loop: Header=BB216_2083 Depth=1
	s_or_b32 exec_lo, exec_lo, s23
	v_lshlrev_b32_sdwa v13, v78, v6 dst_sel:DWORD dst_unused:UNUSED_PAD src0_sel:DWORD src1_sel:WORD_1
	v_lshlrev_b32_e32 v8, 20, v8
	v_lshl_add_u32 v7, v7, 23, 0x3c000000
	v_and_b32_e32 v13, 0x80000000, v13
	v_or3_b32 v8, v8, v13, v7
	v_mov_b32_e32 v24, v9
	v_mov_b32_e32 v23, v8
.LBB216_2140:                           ;   in Loop: Header=BB216_2083 Depth=1
	s_or_b32 exec_lo, exec_lo, s22
.LBB216_2141:                           ;   in Loop: Header=BB216_2083 Depth=1
	s_or_b32 exec_lo, exec_lo, s21
.LBB216_2142:                           ;   in Loop: Header=BB216_2083 Depth=1
	s_or_b32 exec_lo, exec_lo, s20
	s_mov_b32 s20, exec_lo
	v_cmpx_lt_u32_e32 0xffffff, v6
	s_cbranch_execz .LBB216_2150
; %bb.2143:                             ;   in Loop: Header=BB216_2083 Depth=1
	v_mov_b32_e32 v11, v9
	v_cmp_ne_u32_sdwa s8, v6, v74 src0_sel:BYTE_3 src1_sel:DWORD
	v_mov_b32_e32 v10, v11
	v_mov_b32_e32 v11, v12
	s_and_saveexec_b32 s21, s8
	s_cbranch_execz .LBB216_2149
; %bb.2144:                             ;   in Loop: Header=BB216_2083 Depth=1
	v_mov_b32_e32 v13, v9
	v_bfe_u32 v25, v6, 24, 7
	s_mov_b32 s22, exec_lo
	v_mov_b32_e32 v10, v13
	v_mov_b32_e32 v11, v14
	v_cmpx_ne_u32_e32 0x7f, v25
	s_cbranch_execz .LBB216_2148
; %bb.2145:                             ;   in Loop: Header=BB216_2083 Depth=1
	v_and_b32_sdwa v8, v6, v77 dst_sel:DWORD dst_unused:UNUSED_PAD src0_sel:BYTE_3 src1_sel:DWORD
	v_lshrrev_b32_e32 v7, 3, v25
	s_mov_b32 s23, exec_lo
	v_cmpx_gt_u32_e32 8, v25
; %bb.2146:                             ;   in Loop: Header=BB216_2083 Depth=1
	v_ffbh_u32_e32 v7, v8
	v_min_u32_e32 v7, 32, v7
	v_subrev_nc_u32_e32 v10, 28, v7
	v_sub_nc_u32_e32 v7, 29, v7
	v_lshlrev_b64 v[10:11], v10, v[8:9]
	v_and_b32_e32 v8, 7, v10
; %bb.2147:                             ;   in Loop: Header=BB216_2083 Depth=1
	s_or_b32 exec_lo, exec_lo, s23
	v_lshlrev_b32_sdwa v6, v78, v6 dst_sel:DWORD dst_unused:UNUSED_PAD src0_sel:DWORD src1_sel:BYTE_3
	v_lshlrev_b32_e32 v8, 20, v8
	v_lshl_add_u32 v7, v7, 23, 0x3c000000
	v_mov_b32_e32 v10, v9
	v_and_b32_e32 v6, 0x80000000, v6
	v_or3_b32 v11, v8, v6, v7
.LBB216_2148:                           ;   in Loop: Header=BB216_2083 Depth=1
	s_or_b32 exec_lo, exec_lo, s22
.LBB216_2149:                           ;   in Loop: Header=BB216_2083 Depth=1
	s_or_b32 exec_lo, exec_lo, s21
.LBB216_2150:                           ;   in Loop: Header=BB216_2083 Depth=1
	s_or_b32 exec_lo, exec_lo, s20
	v_or_b32_e32 v6, v22, v20
	v_or_b32_e32 v7, v21, v19
	;; [unrolled: 1-line block ×4, first 2 shown]
	v_mul_f32_e32 v6, v106, v6
	buffer_store_dword v6, off, s[0:3], s32 offset:276 ; 4-byte Folded Spill
	v_mul_f32_e32 v6, v106, v7
	buffer_store_dword v6, off, s[0:3], s32 offset:268 ; 4-byte Folded Spill
	;; [unrolled: 2-line block ×4, first 2 shown]
	s_and_saveexec_b32 s8, s7
	s_cbranch_execz .LBB216_2152
; %bb.2151:                             ;   in Loop: Header=BB216_2083 Depth=1
	buffer_load_dword v6, off, s[0:3], s32 offset:268 ; 4-byte Folded Reload
	s_waitcnt vmcnt(0)
	v_cndmask_b32_e32 v6, 0, v6, vcc_lo
	buffer_store_dword v6, off, s[0:3], s32 offset:268 ; 4-byte Folded Spill
	buffer_load_dword v6, off, s[0:3], s32 offset:276 ; 4-byte Folded Reload
	s_waitcnt vmcnt(0)
	v_cndmask_b32_e64 v6, 0, v6, s4
	buffer_store_dword v6, off, s[0:3], s32 offset:276 ; 4-byte Folded Spill
	buffer_load_dword v6, off, s[0:3], s32 offset:260 ; 4-byte Folded Reload
	s_waitcnt vmcnt(0)
	v_cndmask_b32_e64 v6, 0, v6, s5
	;; [unrolled: 4-line block ×3, first 2 shown]
	buffer_store_dword v6, off, s[0:3], s32 offset:252 ; 4-byte Folded Spill
.LBB216_2152:                           ;   in Loop: Header=BB216_2083 Depth=1
	s_or_b32 exec_lo, exec_lo, s8
	flat_load_dword v6, v[0:1] offset:256
	v_mov_b32_e32 v21, 0
	v_mov_b32_e32 v19, 0
	;; [unrolled: 1-line block ×4, first 2 shown]
	s_waitcnt vmcnt(0) lgkmcnt(0)
	v_cmp_ne_u16_sdwa s8, v6, v9 src0_sel:BYTE_0 src1_sel:DWORD
	s_and_saveexec_b32 s20, s8
	s_cbranch_execz .LBB216_2160
; %bb.2153:                             ;   in Loop: Header=BB216_2083 Depth=1
	v_bfrev_b32_e32 v19, 1
	v_mov_b32_e32 v20, 0
	v_cmp_ne_u16_sdwa s8, v6, v74 src0_sel:BYTE_0 src1_sel:DWORD
	s_and_saveexec_b32 s21, s8
	s_cbranch_execz .LBB216_2159
; %bb.2154:                             ;   in Loop: Header=BB216_2083 Depth=1
	v_mov_b32_e32 v19, 0x7f800001
	v_and_b32_e32 v10, 0x7f, v6
	v_mov_b32_e32 v20, 0
	s_mov_b32 s22, exec_lo
	v_cmpx_ne_u32_e32 0x7f, v10
	s_cbranch_execz .LBB216_2158
; %bb.2155:                             ;   in Loop: Header=BB216_2083 Depth=1
	v_and_b32_e32 v8, 7, v6
	v_lshrrev_b32_e32 v7, 3, v10
	s_mov_b32 s23, exec_lo
	v_cmpx_gt_u32_e32 8, v10
; %bb.2156:                             ;   in Loop: Header=BB216_2083 Depth=1
	v_ffbh_u32_e32 v7, v8
	v_min_u32_e32 v7, 32, v7
	v_subrev_nc_u32_e32 v10, 28, v7
	v_sub_nc_u32_e32 v7, 29, v7
	v_lshlrev_b64 v[10:11], v10, v[8:9]
	v_and_b32_e32 v8, 7, v10
; %bb.2157:                             ;   in Loop: Header=BB216_2083 Depth=1
	s_or_b32 exec_lo, exec_lo, s23
	v_lshlrev_b32_e32 v10, 24, v6
	v_lshlrev_b32_e32 v8, 20, v8
	v_lshl_add_u32 v7, v7, 23, 0x3c000000
	v_and_b32_e32 v10, 0x80000000, v10
	v_or3_b32 v8, v8, v10, v7
	v_mov_b32_e32 v20, v9
	v_mov_b32_e32 v19, v8
.LBB216_2158:                           ;   in Loop: Header=BB216_2083 Depth=1
	s_or_b32 exec_lo, exec_lo, s22
.LBB216_2159:                           ;   in Loop: Header=BB216_2083 Depth=1
	s_or_b32 exec_lo, exec_lo, s21
.LBB216_2160:                           ;   in Loop: Header=BB216_2083 Depth=1
	s_or_b32 exec_lo, exec_lo, s20
	v_cmp_ne_u16_sdwa s8, v6, v9 src0_sel:BYTE_1 src1_sel:DWORD
	s_and_saveexec_b32 s20, s8
	s_cbranch_execz .LBB216_2168
; %bb.2161:                             ;   in Loop: Header=BB216_2083 Depth=1
	v_mov_b32_e32 v11, v9
	v_mov_b32_e32 v22, v12
	v_cmp_ne_u16_sdwa s8, v6, v74 src0_sel:BYTE_1 src1_sel:DWORD
	v_mov_b32_e32 v21, v11
	s_and_saveexec_b32 s21, s8
	s_cbranch_execz .LBB216_2167
; %bb.2162:                             ;   in Loop: Header=BB216_2083 Depth=1
	v_and_b32_sdwa v7, v75, v6 dst_sel:DWORD dst_unused:UNUSED_PAD src0_sel:DWORD src1_sel:BYTE_1
	v_mov_b32_e32 v13, v9
	v_mov_b32_e32 v22, v14
	s_mov_b32 s22, exec_lo
	v_and_b32_e32 v10, 0x7f, v7
	v_mov_b32_e32 v21, v13
	v_cmpx_ne_u32_e32 0x7f, v10
	s_cbranch_execz .LBB216_2166
; %bb.2163:                             ;   in Loop: Header=BB216_2083 Depth=1
	v_and_b32_e32 v8, 7, v7
	v_lshrrev_b32_e32 v7, 3, v10
	s_mov_b32 s23, exec_lo
	v_cmpx_gt_u32_e32 8, v10
; %bb.2164:                             ;   in Loop: Header=BB216_2083 Depth=1
	v_ffbh_u32_e32 v7, v8
	v_min_u32_e32 v7, 32, v7
	v_subrev_nc_u32_e32 v10, 28, v7
	v_sub_nc_u32_e32 v7, 29, v7
	v_lshlrev_b64 v[10:11], v10, v[8:9]
	v_and_b32_e32 v8, 7, v10
; %bb.2165:                             ;   in Loop: Header=BB216_2083 Depth=1
	s_or_b32 exec_lo, exec_lo, s23
	v_lshlrev_b32_e32 v10, 16, v6
	v_lshlrev_b32_e32 v8, 20, v8
	v_lshl_add_u32 v7, v7, 23, 0x3c000000
	v_mov_b32_e32 v21, v9
	v_and_b32_e32 v10, 0x80000000, v10
	v_or3_b32 v22, v8, v10, v7
.LBB216_2166:                           ;   in Loop: Header=BB216_2083 Depth=1
	s_or_b32 exec_lo, exec_lo, s22
.LBB216_2167:                           ;   in Loop: Header=BB216_2083 Depth=1
	s_or_b32 exec_lo, exec_lo, s21
.LBB216_2168:                           ;   in Loop: Header=BB216_2083 Depth=1
	s_or_b32 exec_lo, exec_lo, s20
	v_mov_b32_e32 v10, 0
	v_mov_b32_e32 v23, 0
	v_and_b32_sdwa v7, v6, v76 dst_sel:DWORD dst_unused:UNUSED_PAD src0_sel:WORD_1 src1_sel:DWORD
	v_mov_b32_e32 v11, 0
	v_mov_b32_e32 v24, 0
	s_mov_b32 s20, exec_lo
	v_cmpx_ne_u16_e32 0, v7
	s_cbranch_execz .LBB216_2176
; %bb.2169:                             ;   in Loop: Header=BB216_2083 Depth=1
	v_bfrev_b32_e32 v23, 1
	v_mov_b32_e32 v24, 0
	s_mov_b32 s21, exec_lo
	v_cmpx_ne_u16_e32 0x80, v7
	s_cbranch_execz .LBB216_2175
; %bb.2170:                             ;   in Loop: Header=BB216_2083 Depth=1
	v_mov_b32_e32 v23, 0x7f800001
	v_bfe_u32 v13, v6, 16, 7
	v_mov_b32_e32 v24, 0
	s_mov_b32 s22, exec_lo
	v_cmpx_ne_u32_e32 0x7f, v13
	s_cbranch_execz .LBB216_2174
; %bb.2171:                             ;   in Loop: Header=BB216_2083 Depth=1
	v_and_b32_sdwa v8, v6, v77 dst_sel:DWORD dst_unused:UNUSED_PAD src0_sel:WORD_1 src1_sel:DWORD
	v_lshrrev_b32_e32 v7, 3, v13
	s_mov_b32 s23, exec_lo
	v_cmpx_gt_u32_e32 8, v13
; %bb.2172:                             ;   in Loop: Header=BB216_2083 Depth=1
	v_ffbh_u32_e32 v7, v8
	v_min_u32_e32 v7, 32, v7
	v_subrev_nc_u32_e32 v13, 28, v7
	v_sub_nc_u32_e32 v7, 29, v7
	v_lshlrev_b64 v[23:24], v13, v[8:9]
	v_and_b32_e32 v8, 7, v23
; %bb.2173:                             ;   in Loop: Header=BB216_2083 Depth=1
	s_or_b32 exec_lo, exec_lo, s23
	v_lshlrev_b32_sdwa v13, v78, v6 dst_sel:DWORD dst_unused:UNUSED_PAD src0_sel:DWORD src1_sel:WORD_1
	v_lshlrev_b32_e32 v8, 20, v8
	v_lshl_add_u32 v7, v7, 23, 0x3c000000
	v_and_b32_e32 v13, 0x80000000, v13
	v_or3_b32 v8, v8, v13, v7
	v_mov_b32_e32 v24, v9
	v_mov_b32_e32 v23, v8
.LBB216_2174:                           ;   in Loop: Header=BB216_2083 Depth=1
	s_or_b32 exec_lo, exec_lo, s22
.LBB216_2175:                           ;   in Loop: Header=BB216_2083 Depth=1
	s_or_b32 exec_lo, exec_lo, s21
.LBB216_2176:                           ;   in Loop: Header=BB216_2083 Depth=1
	s_or_b32 exec_lo, exec_lo, s20
	s_mov_b32 s20, exec_lo
	v_cmpx_lt_u32_e32 0xffffff, v6
	s_cbranch_execz .LBB216_2184
; %bb.2177:                             ;   in Loop: Header=BB216_2083 Depth=1
	v_mov_b32_e32 v11, v9
	v_cmp_ne_u32_sdwa s8, v6, v74 src0_sel:BYTE_3 src1_sel:DWORD
	v_mov_b32_e32 v10, v11
	v_mov_b32_e32 v11, v12
	s_and_saveexec_b32 s21, s8
	s_cbranch_execz .LBB216_2183
; %bb.2178:                             ;   in Loop: Header=BB216_2083 Depth=1
	v_mov_b32_e32 v13, v9
	v_bfe_u32 v25, v6, 24, 7
	s_mov_b32 s22, exec_lo
	v_mov_b32_e32 v10, v13
	v_mov_b32_e32 v11, v14
	v_cmpx_ne_u32_e32 0x7f, v25
	s_cbranch_execz .LBB216_2182
; %bb.2179:                             ;   in Loop: Header=BB216_2083 Depth=1
	v_and_b32_sdwa v8, v6, v77 dst_sel:DWORD dst_unused:UNUSED_PAD src0_sel:BYTE_3 src1_sel:DWORD
	v_lshrrev_b32_e32 v7, 3, v25
	s_mov_b32 s23, exec_lo
	v_cmpx_gt_u32_e32 8, v25
; %bb.2180:                             ;   in Loop: Header=BB216_2083 Depth=1
	v_ffbh_u32_e32 v7, v8
	v_min_u32_e32 v7, 32, v7
	v_subrev_nc_u32_e32 v10, 28, v7
	v_sub_nc_u32_e32 v7, 29, v7
	v_lshlrev_b64 v[10:11], v10, v[8:9]
	v_and_b32_e32 v8, 7, v10
; %bb.2181:                             ;   in Loop: Header=BB216_2083 Depth=1
	s_or_b32 exec_lo, exec_lo, s23
	v_lshlrev_b32_sdwa v6, v78, v6 dst_sel:DWORD dst_unused:UNUSED_PAD src0_sel:DWORD src1_sel:BYTE_3
	v_lshlrev_b32_e32 v8, 20, v8
	v_lshl_add_u32 v7, v7, 23, 0x3c000000
	v_mov_b32_e32 v10, v9
	v_and_b32_e32 v6, 0x80000000, v6
	v_or3_b32 v11, v8, v6, v7
.LBB216_2182:                           ;   in Loop: Header=BB216_2083 Depth=1
	s_or_b32 exec_lo, exec_lo, s22
.LBB216_2183:                           ;   in Loop: Header=BB216_2083 Depth=1
	s_or_b32 exec_lo, exec_lo, s21
.LBB216_2184:                           ;   in Loop: Header=BB216_2083 Depth=1
	s_or_b32 exec_lo, exec_lo, s20
	v_or_b32_e32 v6, v22, v20
	v_or_b32_e32 v7, v21, v19
	;; [unrolled: 1-line block ×4, first 2 shown]
	v_mul_f32_e32 v6, v106, v6
	buffer_store_dword v6, off, s[0:3], s32 offset:308 ; 4-byte Folded Spill
	v_mul_f32_e32 v6, v106, v7
	buffer_store_dword v6, off, s[0:3], s32 offset:300 ; 4-byte Folded Spill
	;; [unrolled: 2-line block ×4, first 2 shown]
	s_and_saveexec_b32 s8, s7
	s_cbranch_execz .LBB216_2186
; %bb.2185:                             ;   in Loop: Header=BB216_2083 Depth=1
	buffer_load_dword v6, off, s[0:3], s32 offset:300 ; 4-byte Folded Reload
	s_waitcnt vmcnt(0)
	v_cndmask_b32_e32 v6, 0, v6, vcc_lo
	buffer_store_dword v6, off, s[0:3], s32 offset:300 ; 4-byte Folded Spill
	buffer_load_dword v6, off, s[0:3], s32 offset:308 ; 4-byte Folded Reload
	s_waitcnt vmcnt(0)
	v_cndmask_b32_e64 v6, 0, v6, s4
	buffer_store_dword v6, off, s[0:3], s32 offset:308 ; 4-byte Folded Spill
	buffer_load_dword v6, off, s[0:3], s32 offset:292 ; 4-byte Folded Reload
	s_waitcnt vmcnt(0)
	v_cndmask_b32_e64 v6, 0, v6, s5
	buffer_store_dword v6, off, s[0:3], s32 offset:292 ; 4-byte Folded Spill
	buffer_load_dword v6, off, s[0:3], s32 offset:284 ; 4-byte Folded Reload
	s_waitcnt vmcnt(0)
	v_cndmask_b32_e64 v6, 0, v6, s6
	buffer_store_dword v6, off, s[0:3], s32 offset:284 ; 4-byte Folded Spill
.LBB216_2186:                           ;   in Loop: Header=BB216_2083 Depth=1
	s_or_b32 exec_lo, exec_lo, s8
	flat_load_dword v6, v[0:1] offset:384
	v_mov_b32_e32 v21, 0
	v_mov_b32_e32 v19, 0
	;; [unrolled: 1-line block ×4, first 2 shown]
	s_waitcnt vmcnt(0) lgkmcnt(0)
	v_cmp_ne_u16_sdwa s8, v6, v9 src0_sel:BYTE_0 src1_sel:DWORD
	s_and_saveexec_b32 s20, s8
	s_cbranch_execz .LBB216_2194
; %bb.2187:                             ;   in Loop: Header=BB216_2083 Depth=1
	v_bfrev_b32_e32 v19, 1
	v_mov_b32_e32 v20, 0
	v_cmp_ne_u16_sdwa s8, v6, v74 src0_sel:BYTE_0 src1_sel:DWORD
	s_and_saveexec_b32 s21, s8
	s_cbranch_execz .LBB216_2193
; %bb.2188:                             ;   in Loop: Header=BB216_2083 Depth=1
	v_mov_b32_e32 v19, 0x7f800001
	v_and_b32_e32 v10, 0x7f, v6
	v_mov_b32_e32 v20, 0
	s_mov_b32 s22, exec_lo
	v_cmpx_ne_u32_e32 0x7f, v10
	s_cbranch_execz .LBB216_2192
; %bb.2189:                             ;   in Loop: Header=BB216_2083 Depth=1
	v_and_b32_e32 v8, 7, v6
	v_lshrrev_b32_e32 v7, 3, v10
	s_mov_b32 s23, exec_lo
	v_cmpx_gt_u32_e32 8, v10
; %bb.2190:                             ;   in Loop: Header=BB216_2083 Depth=1
	v_ffbh_u32_e32 v7, v8
	v_min_u32_e32 v7, 32, v7
	v_subrev_nc_u32_e32 v10, 28, v7
	v_sub_nc_u32_e32 v7, 29, v7
	v_lshlrev_b64 v[10:11], v10, v[8:9]
	v_and_b32_e32 v8, 7, v10
; %bb.2191:                             ;   in Loop: Header=BB216_2083 Depth=1
	s_or_b32 exec_lo, exec_lo, s23
	v_lshlrev_b32_e32 v10, 24, v6
	v_lshlrev_b32_e32 v8, 20, v8
	v_lshl_add_u32 v7, v7, 23, 0x3c000000
	v_and_b32_e32 v10, 0x80000000, v10
	v_or3_b32 v8, v8, v10, v7
	v_mov_b32_e32 v20, v9
	v_mov_b32_e32 v19, v8
.LBB216_2192:                           ;   in Loop: Header=BB216_2083 Depth=1
	s_or_b32 exec_lo, exec_lo, s22
.LBB216_2193:                           ;   in Loop: Header=BB216_2083 Depth=1
	s_or_b32 exec_lo, exec_lo, s21
.LBB216_2194:                           ;   in Loop: Header=BB216_2083 Depth=1
	s_or_b32 exec_lo, exec_lo, s20
	v_cmp_ne_u16_sdwa s8, v6, v9 src0_sel:BYTE_1 src1_sel:DWORD
	s_and_saveexec_b32 s20, s8
	s_cbranch_execz .LBB216_2202
; %bb.2195:                             ;   in Loop: Header=BB216_2083 Depth=1
	v_mov_b32_e32 v11, v9
	v_mov_b32_e32 v22, v12
	v_cmp_ne_u16_sdwa s8, v6, v74 src0_sel:BYTE_1 src1_sel:DWORD
	v_mov_b32_e32 v21, v11
	s_and_saveexec_b32 s21, s8
	s_cbranch_execz .LBB216_2201
; %bb.2196:                             ;   in Loop: Header=BB216_2083 Depth=1
	v_and_b32_sdwa v7, v75, v6 dst_sel:DWORD dst_unused:UNUSED_PAD src0_sel:DWORD src1_sel:BYTE_1
	v_mov_b32_e32 v13, v9
	v_mov_b32_e32 v22, v14
	s_mov_b32 s22, exec_lo
	v_and_b32_e32 v10, 0x7f, v7
	v_mov_b32_e32 v21, v13
	v_cmpx_ne_u32_e32 0x7f, v10
	s_cbranch_execz .LBB216_2200
; %bb.2197:                             ;   in Loop: Header=BB216_2083 Depth=1
	v_and_b32_e32 v8, 7, v7
	v_lshrrev_b32_e32 v7, 3, v10
	s_mov_b32 s23, exec_lo
	v_cmpx_gt_u32_e32 8, v10
; %bb.2198:                             ;   in Loop: Header=BB216_2083 Depth=1
	v_ffbh_u32_e32 v7, v8
	v_min_u32_e32 v7, 32, v7
	v_subrev_nc_u32_e32 v10, 28, v7
	v_sub_nc_u32_e32 v7, 29, v7
	v_lshlrev_b64 v[10:11], v10, v[8:9]
	v_and_b32_e32 v8, 7, v10
; %bb.2199:                             ;   in Loop: Header=BB216_2083 Depth=1
	s_or_b32 exec_lo, exec_lo, s23
	v_lshlrev_b32_e32 v10, 16, v6
	v_lshlrev_b32_e32 v8, 20, v8
	v_lshl_add_u32 v7, v7, 23, 0x3c000000
	v_mov_b32_e32 v21, v9
	v_and_b32_e32 v10, 0x80000000, v10
	v_or3_b32 v22, v8, v10, v7
.LBB216_2200:                           ;   in Loop: Header=BB216_2083 Depth=1
	s_or_b32 exec_lo, exec_lo, s22
.LBB216_2201:                           ;   in Loop: Header=BB216_2083 Depth=1
	s_or_b32 exec_lo, exec_lo, s21
.LBB216_2202:                           ;   in Loop: Header=BB216_2083 Depth=1
	s_or_b32 exec_lo, exec_lo, s20
	v_mov_b32_e32 v10, 0
	v_mov_b32_e32 v23, 0
	v_and_b32_sdwa v7, v6, v76 dst_sel:DWORD dst_unused:UNUSED_PAD src0_sel:WORD_1 src1_sel:DWORD
	v_mov_b32_e32 v11, 0
	v_mov_b32_e32 v24, 0
	s_mov_b32 s20, exec_lo
	v_cmpx_ne_u16_e32 0, v7
	s_cbranch_execz .LBB216_2210
; %bb.2203:                             ;   in Loop: Header=BB216_2083 Depth=1
	v_bfrev_b32_e32 v23, 1
	v_mov_b32_e32 v24, 0
	s_mov_b32 s21, exec_lo
	v_cmpx_ne_u16_e32 0x80, v7
	s_cbranch_execz .LBB216_2209
; %bb.2204:                             ;   in Loop: Header=BB216_2083 Depth=1
	v_mov_b32_e32 v23, 0x7f800001
	v_bfe_u32 v13, v6, 16, 7
	v_mov_b32_e32 v24, 0
	s_mov_b32 s22, exec_lo
	v_cmpx_ne_u32_e32 0x7f, v13
	s_cbranch_execz .LBB216_2208
; %bb.2205:                             ;   in Loop: Header=BB216_2083 Depth=1
	v_and_b32_sdwa v8, v6, v77 dst_sel:DWORD dst_unused:UNUSED_PAD src0_sel:WORD_1 src1_sel:DWORD
	v_lshrrev_b32_e32 v7, 3, v13
	s_mov_b32 s23, exec_lo
	v_cmpx_gt_u32_e32 8, v13
; %bb.2206:                             ;   in Loop: Header=BB216_2083 Depth=1
	v_ffbh_u32_e32 v7, v8
	v_min_u32_e32 v7, 32, v7
	v_subrev_nc_u32_e32 v13, 28, v7
	v_sub_nc_u32_e32 v7, 29, v7
	v_lshlrev_b64 v[23:24], v13, v[8:9]
	v_and_b32_e32 v8, 7, v23
; %bb.2207:                             ;   in Loop: Header=BB216_2083 Depth=1
	s_or_b32 exec_lo, exec_lo, s23
	v_lshlrev_b32_sdwa v13, v78, v6 dst_sel:DWORD dst_unused:UNUSED_PAD src0_sel:DWORD src1_sel:WORD_1
	v_lshlrev_b32_e32 v8, 20, v8
	v_lshl_add_u32 v7, v7, 23, 0x3c000000
	v_and_b32_e32 v13, 0x80000000, v13
	v_or3_b32 v8, v8, v13, v7
	v_mov_b32_e32 v24, v9
	v_mov_b32_e32 v23, v8
.LBB216_2208:                           ;   in Loop: Header=BB216_2083 Depth=1
	s_or_b32 exec_lo, exec_lo, s22
.LBB216_2209:                           ;   in Loop: Header=BB216_2083 Depth=1
	s_or_b32 exec_lo, exec_lo, s21
.LBB216_2210:                           ;   in Loop: Header=BB216_2083 Depth=1
	s_or_b32 exec_lo, exec_lo, s20
	s_mov_b32 s20, exec_lo
	v_cmpx_lt_u32_e32 0xffffff, v6
	s_cbranch_execz .LBB216_2218
; %bb.2211:                             ;   in Loop: Header=BB216_2083 Depth=1
	v_mov_b32_e32 v11, v9
	v_cmp_ne_u32_sdwa s8, v6, v74 src0_sel:BYTE_3 src1_sel:DWORD
	v_mov_b32_e32 v10, v11
	v_mov_b32_e32 v11, v12
	s_and_saveexec_b32 s21, s8
	s_cbranch_execz .LBB216_2217
; %bb.2212:                             ;   in Loop: Header=BB216_2083 Depth=1
	v_mov_b32_e32 v13, v9
	v_bfe_u32 v25, v6, 24, 7
	s_mov_b32 s22, exec_lo
	v_mov_b32_e32 v10, v13
	v_mov_b32_e32 v11, v14
	v_cmpx_ne_u32_e32 0x7f, v25
	s_cbranch_execz .LBB216_2216
; %bb.2213:                             ;   in Loop: Header=BB216_2083 Depth=1
	v_and_b32_sdwa v8, v6, v77 dst_sel:DWORD dst_unused:UNUSED_PAD src0_sel:BYTE_3 src1_sel:DWORD
	v_lshrrev_b32_e32 v7, 3, v25
	s_mov_b32 s23, exec_lo
	v_cmpx_gt_u32_e32 8, v25
; %bb.2214:                             ;   in Loop: Header=BB216_2083 Depth=1
	v_ffbh_u32_e32 v7, v8
	v_min_u32_e32 v7, 32, v7
	v_subrev_nc_u32_e32 v10, 28, v7
	v_sub_nc_u32_e32 v7, 29, v7
	v_lshlrev_b64 v[10:11], v10, v[8:9]
	v_and_b32_e32 v8, 7, v10
; %bb.2215:                             ;   in Loop: Header=BB216_2083 Depth=1
	s_or_b32 exec_lo, exec_lo, s23
	v_lshlrev_b32_sdwa v6, v78, v6 dst_sel:DWORD dst_unused:UNUSED_PAD src0_sel:DWORD src1_sel:BYTE_3
	v_lshlrev_b32_e32 v8, 20, v8
	v_lshl_add_u32 v7, v7, 23, 0x3c000000
	v_mov_b32_e32 v10, v9
	v_and_b32_e32 v6, 0x80000000, v6
	v_or3_b32 v11, v8, v6, v7
.LBB216_2216:                           ;   in Loop: Header=BB216_2083 Depth=1
	s_or_b32 exec_lo, exec_lo, s22
.LBB216_2217:                           ;   in Loop: Header=BB216_2083 Depth=1
	s_or_b32 exec_lo, exec_lo, s21
.LBB216_2218:                           ;   in Loop: Header=BB216_2083 Depth=1
	s_or_b32 exec_lo, exec_lo, s20
	v_or_b32_e32 v6, v22, v20
	v_or_b32_e32 v7, v21, v19
	;; [unrolled: 1-line block ×4, first 2 shown]
	v_mul_f32_e32 v6, v106, v6
	buffer_store_dword v6, off, s[0:3], s32 offset:340 ; 4-byte Folded Spill
	v_mul_f32_e32 v6, v106, v7
	buffer_store_dword v6, off, s[0:3], s32 offset:332 ; 4-byte Folded Spill
	;; [unrolled: 2-line block ×4, first 2 shown]
	s_and_saveexec_b32 s8, s7
	s_cbranch_execz .LBB216_2220
; %bb.2219:                             ;   in Loop: Header=BB216_2083 Depth=1
	buffer_load_dword v6, off, s[0:3], s32 offset:332 ; 4-byte Folded Reload
	s_waitcnt vmcnt(0)
	v_cndmask_b32_e32 v6, 0, v6, vcc_lo
	buffer_store_dword v6, off, s[0:3], s32 offset:332 ; 4-byte Folded Spill
	buffer_load_dword v6, off, s[0:3], s32 offset:340 ; 4-byte Folded Reload
	s_waitcnt vmcnt(0)
	v_cndmask_b32_e64 v6, 0, v6, s4
	buffer_store_dword v6, off, s[0:3], s32 offset:340 ; 4-byte Folded Spill
	buffer_load_dword v6, off, s[0:3], s32 offset:324 ; 4-byte Folded Reload
	s_waitcnt vmcnt(0)
	v_cndmask_b32_e64 v6, 0, v6, s5
	;; [unrolled: 4-line block ×3, first 2 shown]
	buffer_store_dword v6, off, s[0:3], s32 offset:316 ; 4-byte Folded Spill
.LBB216_2220:                           ;   in Loop: Header=BB216_2083 Depth=1
	s_or_b32 exec_lo, exec_lo, s8
	flat_load_dword v6, v[0:1] offset:512
	v_mov_b32_e32 v21, 0
	v_mov_b32_e32 v19, 0
	;; [unrolled: 1-line block ×4, first 2 shown]
	s_waitcnt vmcnt(0) lgkmcnt(0)
	v_cmp_ne_u16_sdwa s8, v6, v9 src0_sel:BYTE_0 src1_sel:DWORD
	s_and_saveexec_b32 s20, s8
	s_cbranch_execz .LBB216_2228
; %bb.2221:                             ;   in Loop: Header=BB216_2083 Depth=1
	v_bfrev_b32_e32 v19, 1
	v_mov_b32_e32 v20, 0
	v_cmp_ne_u16_sdwa s8, v6, v74 src0_sel:BYTE_0 src1_sel:DWORD
	s_and_saveexec_b32 s21, s8
	s_cbranch_execz .LBB216_2227
; %bb.2222:                             ;   in Loop: Header=BB216_2083 Depth=1
	v_mov_b32_e32 v19, 0x7f800001
	v_and_b32_e32 v10, 0x7f, v6
	v_mov_b32_e32 v20, 0
	s_mov_b32 s22, exec_lo
	v_cmpx_ne_u32_e32 0x7f, v10
	s_cbranch_execz .LBB216_2226
; %bb.2223:                             ;   in Loop: Header=BB216_2083 Depth=1
	v_and_b32_e32 v8, 7, v6
	v_lshrrev_b32_e32 v7, 3, v10
	s_mov_b32 s23, exec_lo
	v_cmpx_gt_u32_e32 8, v10
; %bb.2224:                             ;   in Loop: Header=BB216_2083 Depth=1
	v_ffbh_u32_e32 v7, v8
	v_min_u32_e32 v7, 32, v7
	v_subrev_nc_u32_e32 v10, 28, v7
	v_sub_nc_u32_e32 v7, 29, v7
	v_lshlrev_b64 v[10:11], v10, v[8:9]
	v_and_b32_e32 v8, 7, v10
; %bb.2225:                             ;   in Loop: Header=BB216_2083 Depth=1
	s_or_b32 exec_lo, exec_lo, s23
	v_lshlrev_b32_e32 v10, 24, v6
	v_lshlrev_b32_e32 v8, 20, v8
	v_lshl_add_u32 v7, v7, 23, 0x3c000000
	v_and_b32_e32 v10, 0x80000000, v10
	v_or3_b32 v8, v8, v10, v7
	v_mov_b32_e32 v20, v9
	v_mov_b32_e32 v19, v8
.LBB216_2226:                           ;   in Loop: Header=BB216_2083 Depth=1
	s_or_b32 exec_lo, exec_lo, s22
.LBB216_2227:                           ;   in Loop: Header=BB216_2083 Depth=1
	s_or_b32 exec_lo, exec_lo, s21
.LBB216_2228:                           ;   in Loop: Header=BB216_2083 Depth=1
	s_or_b32 exec_lo, exec_lo, s20
	v_cmp_ne_u16_sdwa s8, v6, v9 src0_sel:BYTE_1 src1_sel:DWORD
	s_and_saveexec_b32 s20, s8
	s_cbranch_execz .LBB216_2236
; %bb.2229:                             ;   in Loop: Header=BB216_2083 Depth=1
	v_mov_b32_e32 v11, v9
	v_mov_b32_e32 v22, v12
	v_cmp_ne_u16_sdwa s8, v6, v74 src0_sel:BYTE_1 src1_sel:DWORD
	v_mov_b32_e32 v21, v11
	s_and_saveexec_b32 s21, s8
	s_cbranch_execz .LBB216_2235
; %bb.2230:                             ;   in Loop: Header=BB216_2083 Depth=1
	v_and_b32_sdwa v7, v75, v6 dst_sel:DWORD dst_unused:UNUSED_PAD src0_sel:DWORD src1_sel:BYTE_1
	v_mov_b32_e32 v13, v9
	v_mov_b32_e32 v22, v14
	s_mov_b32 s22, exec_lo
	v_and_b32_e32 v10, 0x7f, v7
	v_mov_b32_e32 v21, v13
	v_cmpx_ne_u32_e32 0x7f, v10
	s_cbranch_execz .LBB216_2234
; %bb.2231:                             ;   in Loop: Header=BB216_2083 Depth=1
	v_and_b32_e32 v8, 7, v7
	v_lshrrev_b32_e32 v7, 3, v10
	s_mov_b32 s23, exec_lo
	v_cmpx_gt_u32_e32 8, v10
; %bb.2232:                             ;   in Loop: Header=BB216_2083 Depth=1
	v_ffbh_u32_e32 v7, v8
	v_min_u32_e32 v7, 32, v7
	v_subrev_nc_u32_e32 v10, 28, v7
	v_sub_nc_u32_e32 v7, 29, v7
	v_lshlrev_b64 v[10:11], v10, v[8:9]
	v_and_b32_e32 v8, 7, v10
; %bb.2233:                             ;   in Loop: Header=BB216_2083 Depth=1
	s_or_b32 exec_lo, exec_lo, s23
	v_lshlrev_b32_e32 v10, 16, v6
	v_lshlrev_b32_e32 v8, 20, v8
	v_lshl_add_u32 v7, v7, 23, 0x3c000000
	v_mov_b32_e32 v21, v9
	v_and_b32_e32 v10, 0x80000000, v10
	v_or3_b32 v22, v8, v10, v7
.LBB216_2234:                           ;   in Loop: Header=BB216_2083 Depth=1
	s_or_b32 exec_lo, exec_lo, s22
.LBB216_2235:                           ;   in Loop: Header=BB216_2083 Depth=1
	s_or_b32 exec_lo, exec_lo, s21
.LBB216_2236:                           ;   in Loop: Header=BB216_2083 Depth=1
	s_or_b32 exec_lo, exec_lo, s20
	v_mov_b32_e32 v10, 0
	v_mov_b32_e32 v23, 0
	v_and_b32_sdwa v7, v6, v76 dst_sel:DWORD dst_unused:UNUSED_PAD src0_sel:WORD_1 src1_sel:DWORD
	v_mov_b32_e32 v11, 0
	v_mov_b32_e32 v24, 0
	s_mov_b32 s20, exec_lo
	v_cmpx_ne_u16_e32 0, v7
	s_cbranch_execz .LBB216_2244
; %bb.2237:                             ;   in Loop: Header=BB216_2083 Depth=1
	v_bfrev_b32_e32 v23, 1
	v_mov_b32_e32 v24, 0
	s_mov_b32 s21, exec_lo
	v_cmpx_ne_u16_e32 0x80, v7
	s_cbranch_execz .LBB216_2243
; %bb.2238:                             ;   in Loop: Header=BB216_2083 Depth=1
	v_mov_b32_e32 v23, 0x7f800001
	v_bfe_u32 v13, v6, 16, 7
	v_mov_b32_e32 v24, 0
	s_mov_b32 s22, exec_lo
	v_cmpx_ne_u32_e32 0x7f, v13
	s_cbranch_execz .LBB216_2242
; %bb.2239:                             ;   in Loop: Header=BB216_2083 Depth=1
	v_and_b32_sdwa v8, v6, v77 dst_sel:DWORD dst_unused:UNUSED_PAD src0_sel:WORD_1 src1_sel:DWORD
	v_lshrrev_b32_e32 v7, 3, v13
	s_mov_b32 s23, exec_lo
	v_cmpx_gt_u32_e32 8, v13
; %bb.2240:                             ;   in Loop: Header=BB216_2083 Depth=1
	v_ffbh_u32_e32 v7, v8
	v_min_u32_e32 v7, 32, v7
	v_subrev_nc_u32_e32 v13, 28, v7
	v_sub_nc_u32_e32 v7, 29, v7
	v_lshlrev_b64 v[23:24], v13, v[8:9]
	v_and_b32_e32 v8, 7, v23
; %bb.2241:                             ;   in Loop: Header=BB216_2083 Depth=1
	s_or_b32 exec_lo, exec_lo, s23
	v_lshlrev_b32_sdwa v13, v78, v6 dst_sel:DWORD dst_unused:UNUSED_PAD src0_sel:DWORD src1_sel:WORD_1
	v_lshlrev_b32_e32 v8, 20, v8
	v_lshl_add_u32 v7, v7, 23, 0x3c000000
	v_and_b32_e32 v13, 0x80000000, v13
	v_or3_b32 v8, v8, v13, v7
	v_mov_b32_e32 v24, v9
	v_mov_b32_e32 v23, v8
.LBB216_2242:                           ;   in Loop: Header=BB216_2083 Depth=1
	s_or_b32 exec_lo, exec_lo, s22
.LBB216_2243:                           ;   in Loop: Header=BB216_2083 Depth=1
	s_or_b32 exec_lo, exec_lo, s21
.LBB216_2244:                           ;   in Loop: Header=BB216_2083 Depth=1
	s_or_b32 exec_lo, exec_lo, s20
	s_mov_b32 s20, exec_lo
	v_cmpx_lt_u32_e32 0xffffff, v6
	s_cbranch_execz .LBB216_2252
; %bb.2245:                             ;   in Loop: Header=BB216_2083 Depth=1
	v_mov_b32_e32 v11, v9
	v_cmp_ne_u32_sdwa s8, v6, v74 src0_sel:BYTE_3 src1_sel:DWORD
	v_mov_b32_e32 v10, v11
	v_mov_b32_e32 v11, v12
	s_and_saveexec_b32 s21, s8
	s_cbranch_execz .LBB216_2251
; %bb.2246:                             ;   in Loop: Header=BB216_2083 Depth=1
	v_mov_b32_e32 v13, v9
	v_bfe_u32 v25, v6, 24, 7
	s_mov_b32 s22, exec_lo
	v_mov_b32_e32 v10, v13
	v_mov_b32_e32 v11, v14
	v_cmpx_ne_u32_e32 0x7f, v25
	s_cbranch_execz .LBB216_2250
; %bb.2247:                             ;   in Loop: Header=BB216_2083 Depth=1
	v_and_b32_sdwa v8, v6, v77 dst_sel:DWORD dst_unused:UNUSED_PAD src0_sel:BYTE_3 src1_sel:DWORD
	v_lshrrev_b32_e32 v7, 3, v25
	s_mov_b32 s23, exec_lo
	v_cmpx_gt_u32_e32 8, v25
; %bb.2248:                             ;   in Loop: Header=BB216_2083 Depth=1
	v_ffbh_u32_e32 v7, v8
	v_min_u32_e32 v7, 32, v7
	v_subrev_nc_u32_e32 v10, 28, v7
	v_sub_nc_u32_e32 v7, 29, v7
	v_lshlrev_b64 v[10:11], v10, v[8:9]
	v_and_b32_e32 v8, 7, v10
; %bb.2249:                             ;   in Loop: Header=BB216_2083 Depth=1
	s_or_b32 exec_lo, exec_lo, s23
	v_lshlrev_b32_sdwa v6, v78, v6 dst_sel:DWORD dst_unused:UNUSED_PAD src0_sel:DWORD src1_sel:BYTE_3
	v_lshlrev_b32_e32 v8, 20, v8
	v_lshl_add_u32 v7, v7, 23, 0x3c000000
	v_mov_b32_e32 v10, v9
	v_and_b32_e32 v6, 0x80000000, v6
	v_or3_b32 v11, v8, v6, v7
.LBB216_2250:                           ;   in Loop: Header=BB216_2083 Depth=1
	s_or_b32 exec_lo, exec_lo, s22
.LBB216_2251:                           ;   in Loop: Header=BB216_2083 Depth=1
	s_or_b32 exec_lo, exec_lo, s21
.LBB216_2252:                           ;   in Loop: Header=BB216_2083 Depth=1
	s_or_b32 exec_lo, exec_lo, s20
	v_or_b32_e32 v6, v22, v20
	v_or_b32_e32 v7, v21, v19
	;; [unrolled: 1-line block ×4, first 2 shown]
	v_mul_f32_e32 v6, v106, v6
	buffer_store_dword v6, off, s[0:3], s32 offset:372 ; 4-byte Folded Spill
	v_mul_f32_e32 v6, v106, v7
	buffer_store_dword v6, off, s[0:3], s32 offset:364 ; 4-byte Folded Spill
	;; [unrolled: 2-line block ×4, first 2 shown]
	s_and_saveexec_b32 s8, s7
	s_cbranch_execz .LBB216_2254
; %bb.2253:                             ;   in Loop: Header=BB216_2083 Depth=1
	buffer_load_dword v6, off, s[0:3], s32 offset:364 ; 4-byte Folded Reload
	s_waitcnt vmcnt(0)
	v_cndmask_b32_e32 v6, 0, v6, vcc_lo
	buffer_store_dword v6, off, s[0:3], s32 offset:364 ; 4-byte Folded Spill
	buffer_load_dword v6, off, s[0:3], s32 offset:372 ; 4-byte Folded Reload
	s_waitcnt vmcnt(0)
	v_cndmask_b32_e64 v6, 0, v6, s4
	buffer_store_dword v6, off, s[0:3], s32 offset:372 ; 4-byte Folded Spill
	buffer_load_dword v6, off, s[0:3], s32 offset:356 ; 4-byte Folded Reload
	s_waitcnt vmcnt(0)
	v_cndmask_b32_e64 v6, 0, v6, s5
	;; [unrolled: 4-line block ×3, first 2 shown]
	buffer_store_dword v6, off, s[0:3], s32 offset:348 ; 4-byte Folded Spill
.LBB216_2254:                           ;   in Loop: Header=BB216_2083 Depth=1
	s_or_b32 exec_lo, exec_lo, s8
	flat_load_dword v6, v[0:1] offset:640
	v_mov_b32_e32 v21, 0
	v_mov_b32_e32 v19, 0
	;; [unrolled: 1-line block ×4, first 2 shown]
	s_waitcnt vmcnt(0) lgkmcnt(0)
	v_cmp_ne_u16_sdwa s8, v6, v9 src0_sel:BYTE_0 src1_sel:DWORD
	s_and_saveexec_b32 s20, s8
	s_cbranch_execz .LBB216_2262
; %bb.2255:                             ;   in Loop: Header=BB216_2083 Depth=1
	v_bfrev_b32_e32 v19, 1
	v_mov_b32_e32 v20, 0
	v_cmp_ne_u16_sdwa s8, v6, v74 src0_sel:BYTE_0 src1_sel:DWORD
	s_and_saveexec_b32 s21, s8
	s_cbranch_execz .LBB216_2261
; %bb.2256:                             ;   in Loop: Header=BB216_2083 Depth=1
	v_mov_b32_e32 v19, 0x7f800001
	v_and_b32_e32 v10, 0x7f, v6
	v_mov_b32_e32 v20, 0
	s_mov_b32 s22, exec_lo
	v_cmpx_ne_u32_e32 0x7f, v10
	s_cbranch_execz .LBB216_2260
; %bb.2257:                             ;   in Loop: Header=BB216_2083 Depth=1
	v_and_b32_e32 v8, 7, v6
	v_lshrrev_b32_e32 v7, 3, v10
	s_mov_b32 s23, exec_lo
	v_cmpx_gt_u32_e32 8, v10
; %bb.2258:                             ;   in Loop: Header=BB216_2083 Depth=1
	v_ffbh_u32_e32 v7, v8
	v_min_u32_e32 v7, 32, v7
	v_subrev_nc_u32_e32 v10, 28, v7
	v_sub_nc_u32_e32 v7, 29, v7
	v_lshlrev_b64 v[10:11], v10, v[8:9]
	v_and_b32_e32 v8, 7, v10
; %bb.2259:                             ;   in Loop: Header=BB216_2083 Depth=1
	s_or_b32 exec_lo, exec_lo, s23
	v_lshlrev_b32_e32 v10, 24, v6
	v_lshlrev_b32_e32 v8, 20, v8
	v_lshl_add_u32 v7, v7, 23, 0x3c000000
	v_and_b32_e32 v10, 0x80000000, v10
	v_or3_b32 v8, v8, v10, v7
	v_mov_b32_e32 v20, v9
	v_mov_b32_e32 v19, v8
.LBB216_2260:                           ;   in Loop: Header=BB216_2083 Depth=1
	s_or_b32 exec_lo, exec_lo, s22
.LBB216_2261:                           ;   in Loop: Header=BB216_2083 Depth=1
	s_or_b32 exec_lo, exec_lo, s21
.LBB216_2262:                           ;   in Loop: Header=BB216_2083 Depth=1
	s_or_b32 exec_lo, exec_lo, s20
	v_cmp_ne_u16_sdwa s8, v6, v9 src0_sel:BYTE_1 src1_sel:DWORD
	s_and_saveexec_b32 s20, s8
	s_cbranch_execz .LBB216_2270
; %bb.2263:                             ;   in Loop: Header=BB216_2083 Depth=1
	v_mov_b32_e32 v11, v9
	v_mov_b32_e32 v22, v12
	v_cmp_ne_u16_sdwa s8, v6, v74 src0_sel:BYTE_1 src1_sel:DWORD
	v_mov_b32_e32 v21, v11
	s_and_saveexec_b32 s21, s8
	s_cbranch_execz .LBB216_2269
; %bb.2264:                             ;   in Loop: Header=BB216_2083 Depth=1
	v_and_b32_sdwa v7, v75, v6 dst_sel:DWORD dst_unused:UNUSED_PAD src0_sel:DWORD src1_sel:BYTE_1
	v_mov_b32_e32 v13, v9
	v_mov_b32_e32 v22, v14
	s_mov_b32 s22, exec_lo
	v_and_b32_e32 v10, 0x7f, v7
	v_mov_b32_e32 v21, v13
	v_cmpx_ne_u32_e32 0x7f, v10
	s_cbranch_execz .LBB216_2268
; %bb.2265:                             ;   in Loop: Header=BB216_2083 Depth=1
	v_and_b32_e32 v8, 7, v7
	v_lshrrev_b32_e32 v7, 3, v10
	s_mov_b32 s23, exec_lo
	v_cmpx_gt_u32_e32 8, v10
; %bb.2266:                             ;   in Loop: Header=BB216_2083 Depth=1
	v_ffbh_u32_e32 v7, v8
	v_min_u32_e32 v7, 32, v7
	v_subrev_nc_u32_e32 v10, 28, v7
	v_sub_nc_u32_e32 v7, 29, v7
	v_lshlrev_b64 v[10:11], v10, v[8:9]
	v_and_b32_e32 v8, 7, v10
; %bb.2267:                             ;   in Loop: Header=BB216_2083 Depth=1
	s_or_b32 exec_lo, exec_lo, s23
	v_lshlrev_b32_e32 v10, 16, v6
	v_lshlrev_b32_e32 v8, 20, v8
	v_lshl_add_u32 v7, v7, 23, 0x3c000000
	v_mov_b32_e32 v21, v9
	v_and_b32_e32 v10, 0x80000000, v10
	v_or3_b32 v22, v8, v10, v7
.LBB216_2268:                           ;   in Loop: Header=BB216_2083 Depth=1
	s_or_b32 exec_lo, exec_lo, s22
.LBB216_2269:                           ;   in Loop: Header=BB216_2083 Depth=1
	s_or_b32 exec_lo, exec_lo, s21
.LBB216_2270:                           ;   in Loop: Header=BB216_2083 Depth=1
	s_or_b32 exec_lo, exec_lo, s20
	v_mov_b32_e32 v10, 0
	v_mov_b32_e32 v23, 0
	v_and_b32_sdwa v7, v6, v76 dst_sel:DWORD dst_unused:UNUSED_PAD src0_sel:WORD_1 src1_sel:DWORD
	v_mov_b32_e32 v11, 0
	v_mov_b32_e32 v24, 0
	s_mov_b32 s20, exec_lo
	v_cmpx_ne_u16_e32 0, v7
	s_cbranch_execz .LBB216_2278
; %bb.2271:                             ;   in Loop: Header=BB216_2083 Depth=1
	v_bfrev_b32_e32 v23, 1
	v_mov_b32_e32 v24, 0
	s_mov_b32 s21, exec_lo
	v_cmpx_ne_u16_e32 0x80, v7
	s_cbranch_execz .LBB216_2277
; %bb.2272:                             ;   in Loop: Header=BB216_2083 Depth=1
	v_mov_b32_e32 v23, 0x7f800001
	v_bfe_u32 v13, v6, 16, 7
	v_mov_b32_e32 v24, 0
	s_mov_b32 s22, exec_lo
	v_cmpx_ne_u32_e32 0x7f, v13
	s_cbranch_execz .LBB216_2276
; %bb.2273:                             ;   in Loop: Header=BB216_2083 Depth=1
	v_and_b32_sdwa v8, v6, v77 dst_sel:DWORD dst_unused:UNUSED_PAD src0_sel:WORD_1 src1_sel:DWORD
	v_lshrrev_b32_e32 v7, 3, v13
	s_mov_b32 s23, exec_lo
	v_cmpx_gt_u32_e32 8, v13
; %bb.2274:                             ;   in Loop: Header=BB216_2083 Depth=1
	v_ffbh_u32_e32 v7, v8
	v_min_u32_e32 v7, 32, v7
	v_subrev_nc_u32_e32 v13, 28, v7
	v_sub_nc_u32_e32 v7, 29, v7
	v_lshlrev_b64 v[23:24], v13, v[8:9]
	v_and_b32_e32 v8, 7, v23
; %bb.2275:                             ;   in Loop: Header=BB216_2083 Depth=1
	s_or_b32 exec_lo, exec_lo, s23
	v_lshlrev_b32_sdwa v13, v78, v6 dst_sel:DWORD dst_unused:UNUSED_PAD src0_sel:DWORD src1_sel:WORD_1
	v_lshlrev_b32_e32 v8, 20, v8
	v_lshl_add_u32 v7, v7, 23, 0x3c000000
	v_and_b32_e32 v13, 0x80000000, v13
	v_or3_b32 v8, v8, v13, v7
	v_mov_b32_e32 v24, v9
	v_mov_b32_e32 v23, v8
.LBB216_2276:                           ;   in Loop: Header=BB216_2083 Depth=1
	s_or_b32 exec_lo, exec_lo, s22
.LBB216_2277:                           ;   in Loop: Header=BB216_2083 Depth=1
	s_or_b32 exec_lo, exec_lo, s21
.LBB216_2278:                           ;   in Loop: Header=BB216_2083 Depth=1
	s_or_b32 exec_lo, exec_lo, s20
	s_mov_b32 s20, exec_lo
	v_cmpx_lt_u32_e32 0xffffff, v6
	s_cbranch_execz .LBB216_2286
; %bb.2279:                             ;   in Loop: Header=BB216_2083 Depth=1
	v_mov_b32_e32 v11, v9
	v_cmp_ne_u32_sdwa s8, v6, v74 src0_sel:BYTE_3 src1_sel:DWORD
	v_mov_b32_e32 v10, v11
	v_mov_b32_e32 v11, v12
	s_and_saveexec_b32 s21, s8
	s_cbranch_execz .LBB216_2285
; %bb.2280:                             ;   in Loop: Header=BB216_2083 Depth=1
	v_mov_b32_e32 v13, v9
	v_bfe_u32 v25, v6, 24, 7
	s_mov_b32 s22, exec_lo
	v_mov_b32_e32 v10, v13
	v_mov_b32_e32 v11, v14
	v_cmpx_ne_u32_e32 0x7f, v25
	s_cbranch_execz .LBB216_2284
; %bb.2281:                             ;   in Loop: Header=BB216_2083 Depth=1
	v_and_b32_sdwa v8, v6, v77 dst_sel:DWORD dst_unused:UNUSED_PAD src0_sel:BYTE_3 src1_sel:DWORD
	v_lshrrev_b32_e32 v7, 3, v25
	s_mov_b32 s23, exec_lo
	v_cmpx_gt_u32_e32 8, v25
; %bb.2282:                             ;   in Loop: Header=BB216_2083 Depth=1
	v_ffbh_u32_e32 v7, v8
	v_min_u32_e32 v7, 32, v7
	v_subrev_nc_u32_e32 v10, 28, v7
	v_sub_nc_u32_e32 v7, 29, v7
	v_lshlrev_b64 v[10:11], v10, v[8:9]
	v_and_b32_e32 v8, 7, v10
; %bb.2283:                             ;   in Loop: Header=BB216_2083 Depth=1
	s_or_b32 exec_lo, exec_lo, s23
	v_lshlrev_b32_sdwa v6, v78, v6 dst_sel:DWORD dst_unused:UNUSED_PAD src0_sel:DWORD src1_sel:BYTE_3
	v_lshlrev_b32_e32 v8, 20, v8
	v_lshl_add_u32 v7, v7, 23, 0x3c000000
	v_mov_b32_e32 v10, v9
	v_and_b32_e32 v6, 0x80000000, v6
	v_or3_b32 v11, v8, v6, v7
.LBB216_2284:                           ;   in Loop: Header=BB216_2083 Depth=1
	s_or_b32 exec_lo, exec_lo, s22
.LBB216_2285:                           ;   in Loop: Header=BB216_2083 Depth=1
	s_or_b32 exec_lo, exec_lo, s21
.LBB216_2286:                           ;   in Loop: Header=BB216_2083 Depth=1
	s_or_b32 exec_lo, exec_lo, s20
	v_or_b32_e32 v6, v22, v20
	v_or_b32_e32 v7, v21, v19
	;; [unrolled: 1-line block ×4, first 2 shown]
	v_mul_f32_e32 v6, v106, v6
	buffer_store_dword v6, off, s[0:3], s32 offset:404 ; 4-byte Folded Spill
	v_mul_f32_e32 v6, v106, v7
	buffer_store_dword v6, off, s[0:3], s32 offset:396 ; 4-byte Folded Spill
	;; [unrolled: 2-line block ×4, first 2 shown]
	s_and_saveexec_b32 s8, s7
	s_cbranch_execz .LBB216_2288
; %bb.2287:                             ;   in Loop: Header=BB216_2083 Depth=1
	buffer_load_dword v6, off, s[0:3], s32 offset:396 ; 4-byte Folded Reload
	s_waitcnt vmcnt(0)
	v_cndmask_b32_e32 v6, 0, v6, vcc_lo
	buffer_store_dword v6, off, s[0:3], s32 offset:396 ; 4-byte Folded Spill
	buffer_load_dword v6, off, s[0:3], s32 offset:404 ; 4-byte Folded Reload
	s_waitcnt vmcnt(0)
	v_cndmask_b32_e64 v6, 0, v6, s4
	buffer_store_dword v6, off, s[0:3], s32 offset:404 ; 4-byte Folded Spill
	buffer_load_dword v6, off, s[0:3], s32 offset:388 ; 4-byte Folded Reload
	s_waitcnt vmcnt(0)
	v_cndmask_b32_e64 v6, 0, v6, s5
	;; [unrolled: 4-line block ×3, first 2 shown]
	buffer_store_dword v6, off, s[0:3], s32 offset:380 ; 4-byte Folded Spill
.LBB216_2288:                           ;   in Loop: Header=BB216_2083 Depth=1
	s_or_b32 exec_lo, exec_lo, s8
	flat_load_dword v6, v[0:1] offset:768
	v_mov_b32_e32 v21, 0
	v_mov_b32_e32 v19, 0
	;; [unrolled: 1-line block ×4, first 2 shown]
	s_waitcnt vmcnt(0) lgkmcnt(0)
	v_cmp_ne_u16_sdwa s8, v6, v9 src0_sel:BYTE_0 src1_sel:DWORD
	s_and_saveexec_b32 s20, s8
	s_cbranch_execz .LBB216_2296
; %bb.2289:                             ;   in Loop: Header=BB216_2083 Depth=1
	v_bfrev_b32_e32 v19, 1
	v_mov_b32_e32 v20, 0
	v_cmp_ne_u16_sdwa s8, v6, v74 src0_sel:BYTE_0 src1_sel:DWORD
	s_and_saveexec_b32 s21, s8
	s_cbranch_execz .LBB216_2295
; %bb.2290:                             ;   in Loop: Header=BB216_2083 Depth=1
	v_mov_b32_e32 v19, 0x7f800001
	v_and_b32_e32 v10, 0x7f, v6
	v_mov_b32_e32 v20, 0
	s_mov_b32 s22, exec_lo
	v_cmpx_ne_u32_e32 0x7f, v10
	s_cbranch_execz .LBB216_2294
; %bb.2291:                             ;   in Loop: Header=BB216_2083 Depth=1
	v_and_b32_e32 v8, 7, v6
	v_lshrrev_b32_e32 v7, 3, v10
	s_mov_b32 s23, exec_lo
	v_cmpx_gt_u32_e32 8, v10
; %bb.2292:                             ;   in Loop: Header=BB216_2083 Depth=1
	v_ffbh_u32_e32 v7, v8
	v_min_u32_e32 v7, 32, v7
	v_subrev_nc_u32_e32 v10, 28, v7
	v_sub_nc_u32_e32 v7, 29, v7
	v_lshlrev_b64 v[10:11], v10, v[8:9]
	v_and_b32_e32 v8, 7, v10
; %bb.2293:                             ;   in Loop: Header=BB216_2083 Depth=1
	s_or_b32 exec_lo, exec_lo, s23
	v_lshlrev_b32_e32 v10, 24, v6
	v_lshlrev_b32_e32 v8, 20, v8
	v_lshl_add_u32 v7, v7, 23, 0x3c000000
	v_and_b32_e32 v10, 0x80000000, v10
	v_or3_b32 v8, v8, v10, v7
	v_mov_b32_e32 v20, v9
	v_mov_b32_e32 v19, v8
.LBB216_2294:                           ;   in Loop: Header=BB216_2083 Depth=1
	s_or_b32 exec_lo, exec_lo, s22
.LBB216_2295:                           ;   in Loop: Header=BB216_2083 Depth=1
	s_or_b32 exec_lo, exec_lo, s21
.LBB216_2296:                           ;   in Loop: Header=BB216_2083 Depth=1
	s_or_b32 exec_lo, exec_lo, s20
	v_cmp_ne_u16_sdwa s8, v6, v9 src0_sel:BYTE_1 src1_sel:DWORD
	s_and_saveexec_b32 s20, s8
	s_cbranch_execz .LBB216_2304
; %bb.2297:                             ;   in Loop: Header=BB216_2083 Depth=1
	v_mov_b32_e32 v11, v9
	v_mov_b32_e32 v22, v12
	v_cmp_ne_u16_sdwa s8, v6, v74 src0_sel:BYTE_1 src1_sel:DWORD
	v_mov_b32_e32 v21, v11
	s_and_saveexec_b32 s21, s8
	s_cbranch_execz .LBB216_2303
; %bb.2298:                             ;   in Loop: Header=BB216_2083 Depth=1
	v_and_b32_sdwa v7, v75, v6 dst_sel:DWORD dst_unused:UNUSED_PAD src0_sel:DWORD src1_sel:BYTE_1
	v_mov_b32_e32 v13, v9
	v_mov_b32_e32 v22, v14
	s_mov_b32 s22, exec_lo
	v_and_b32_e32 v10, 0x7f, v7
	v_mov_b32_e32 v21, v13
	v_cmpx_ne_u32_e32 0x7f, v10
	s_cbranch_execz .LBB216_2302
; %bb.2299:                             ;   in Loop: Header=BB216_2083 Depth=1
	v_and_b32_e32 v8, 7, v7
	v_lshrrev_b32_e32 v7, 3, v10
	s_mov_b32 s23, exec_lo
	v_cmpx_gt_u32_e32 8, v10
; %bb.2300:                             ;   in Loop: Header=BB216_2083 Depth=1
	v_ffbh_u32_e32 v7, v8
	v_min_u32_e32 v7, 32, v7
	v_subrev_nc_u32_e32 v10, 28, v7
	v_sub_nc_u32_e32 v7, 29, v7
	v_lshlrev_b64 v[10:11], v10, v[8:9]
	v_and_b32_e32 v8, 7, v10
; %bb.2301:                             ;   in Loop: Header=BB216_2083 Depth=1
	s_or_b32 exec_lo, exec_lo, s23
	v_lshlrev_b32_e32 v10, 16, v6
	v_lshlrev_b32_e32 v8, 20, v8
	v_lshl_add_u32 v7, v7, 23, 0x3c000000
	v_mov_b32_e32 v21, v9
	v_and_b32_e32 v10, 0x80000000, v10
	v_or3_b32 v22, v8, v10, v7
.LBB216_2302:                           ;   in Loop: Header=BB216_2083 Depth=1
	s_or_b32 exec_lo, exec_lo, s22
.LBB216_2303:                           ;   in Loop: Header=BB216_2083 Depth=1
	s_or_b32 exec_lo, exec_lo, s21
.LBB216_2304:                           ;   in Loop: Header=BB216_2083 Depth=1
	s_or_b32 exec_lo, exec_lo, s20
	v_mov_b32_e32 v10, 0
	v_mov_b32_e32 v23, 0
	v_and_b32_sdwa v7, v6, v76 dst_sel:DWORD dst_unused:UNUSED_PAD src0_sel:WORD_1 src1_sel:DWORD
	v_mov_b32_e32 v11, 0
	v_mov_b32_e32 v24, 0
	s_mov_b32 s20, exec_lo
	v_cmpx_ne_u16_e32 0, v7
	s_cbranch_execz .LBB216_2312
; %bb.2305:                             ;   in Loop: Header=BB216_2083 Depth=1
	v_bfrev_b32_e32 v23, 1
	v_mov_b32_e32 v24, 0
	s_mov_b32 s21, exec_lo
	v_cmpx_ne_u16_e32 0x80, v7
	s_cbranch_execz .LBB216_2311
; %bb.2306:                             ;   in Loop: Header=BB216_2083 Depth=1
	v_mov_b32_e32 v23, 0x7f800001
	v_bfe_u32 v13, v6, 16, 7
	v_mov_b32_e32 v24, 0
	s_mov_b32 s22, exec_lo
	v_cmpx_ne_u32_e32 0x7f, v13
	s_cbranch_execz .LBB216_2310
; %bb.2307:                             ;   in Loop: Header=BB216_2083 Depth=1
	v_and_b32_sdwa v8, v6, v77 dst_sel:DWORD dst_unused:UNUSED_PAD src0_sel:WORD_1 src1_sel:DWORD
	v_lshrrev_b32_e32 v7, 3, v13
	s_mov_b32 s23, exec_lo
	v_cmpx_gt_u32_e32 8, v13
; %bb.2308:                             ;   in Loop: Header=BB216_2083 Depth=1
	v_ffbh_u32_e32 v7, v8
	v_min_u32_e32 v7, 32, v7
	v_subrev_nc_u32_e32 v13, 28, v7
	v_sub_nc_u32_e32 v7, 29, v7
	v_lshlrev_b64 v[23:24], v13, v[8:9]
	v_and_b32_e32 v8, 7, v23
; %bb.2309:                             ;   in Loop: Header=BB216_2083 Depth=1
	s_or_b32 exec_lo, exec_lo, s23
	v_lshlrev_b32_sdwa v13, v78, v6 dst_sel:DWORD dst_unused:UNUSED_PAD src0_sel:DWORD src1_sel:WORD_1
	v_lshlrev_b32_e32 v8, 20, v8
	v_lshl_add_u32 v7, v7, 23, 0x3c000000
	v_and_b32_e32 v13, 0x80000000, v13
	v_or3_b32 v8, v8, v13, v7
	v_mov_b32_e32 v24, v9
	v_mov_b32_e32 v23, v8
.LBB216_2310:                           ;   in Loop: Header=BB216_2083 Depth=1
	s_or_b32 exec_lo, exec_lo, s22
.LBB216_2311:                           ;   in Loop: Header=BB216_2083 Depth=1
	s_or_b32 exec_lo, exec_lo, s21
.LBB216_2312:                           ;   in Loop: Header=BB216_2083 Depth=1
	s_or_b32 exec_lo, exec_lo, s20
	s_mov_b32 s20, exec_lo
	v_cmpx_lt_u32_e32 0xffffff, v6
	s_cbranch_execz .LBB216_2320
; %bb.2313:                             ;   in Loop: Header=BB216_2083 Depth=1
	v_mov_b32_e32 v11, v9
	v_cmp_ne_u32_sdwa s8, v6, v74 src0_sel:BYTE_3 src1_sel:DWORD
	v_mov_b32_e32 v10, v11
	v_mov_b32_e32 v11, v12
	s_and_saveexec_b32 s21, s8
	s_cbranch_execz .LBB216_2319
; %bb.2314:                             ;   in Loop: Header=BB216_2083 Depth=1
	v_mov_b32_e32 v13, v9
	v_bfe_u32 v25, v6, 24, 7
	s_mov_b32 s22, exec_lo
	v_mov_b32_e32 v10, v13
	v_mov_b32_e32 v11, v14
	v_cmpx_ne_u32_e32 0x7f, v25
	s_cbranch_execz .LBB216_2318
; %bb.2315:                             ;   in Loop: Header=BB216_2083 Depth=1
	v_and_b32_sdwa v8, v6, v77 dst_sel:DWORD dst_unused:UNUSED_PAD src0_sel:BYTE_3 src1_sel:DWORD
	v_lshrrev_b32_e32 v7, 3, v25
	s_mov_b32 s23, exec_lo
	v_cmpx_gt_u32_e32 8, v25
; %bb.2316:                             ;   in Loop: Header=BB216_2083 Depth=1
	v_ffbh_u32_e32 v7, v8
	v_min_u32_e32 v7, 32, v7
	v_subrev_nc_u32_e32 v10, 28, v7
	v_sub_nc_u32_e32 v7, 29, v7
	v_lshlrev_b64 v[10:11], v10, v[8:9]
	v_and_b32_e32 v8, 7, v10
; %bb.2317:                             ;   in Loop: Header=BB216_2083 Depth=1
	s_or_b32 exec_lo, exec_lo, s23
	v_lshlrev_b32_sdwa v6, v78, v6 dst_sel:DWORD dst_unused:UNUSED_PAD src0_sel:DWORD src1_sel:BYTE_3
	v_lshlrev_b32_e32 v8, 20, v8
	v_lshl_add_u32 v7, v7, 23, 0x3c000000
	v_mov_b32_e32 v10, v9
	v_and_b32_e32 v6, 0x80000000, v6
	v_or3_b32 v11, v8, v6, v7
.LBB216_2318:                           ;   in Loop: Header=BB216_2083 Depth=1
	s_or_b32 exec_lo, exec_lo, s22
.LBB216_2319:                           ;   in Loop: Header=BB216_2083 Depth=1
	s_or_b32 exec_lo, exec_lo, s21
.LBB216_2320:                           ;   in Loop: Header=BB216_2083 Depth=1
	s_or_b32 exec_lo, exec_lo, s20
	v_or_b32_e32 v6, v22, v20
	v_or_b32_e32 v7, v21, v19
	v_or_b32_e32 v8, v10, v23
	v_or_b32_e32 v10, v11, v24
	v_mul_f32_e32 v6, v106, v6
	buffer_store_dword v6, off, s[0:3], s32 offset:436 ; 4-byte Folded Spill
	v_mul_f32_e32 v6, v106, v7
	buffer_store_dword v6, off, s[0:3], s32 offset:428 ; 4-byte Folded Spill
	;; [unrolled: 2-line block ×4, first 2 shown]
	s_and_saveexec_b32 s8, s7
	s_cbranch_execz .LBB216_2322
; %bb.2321:                             ;   in Loop: Header=BB216_2083 Depth=1
	buffer_load_dword v6, off, s[0:3], s32 offset:428 ; 4-byte Folded Reload
	s_waitcnt vmcnt(0)
	v_cndmask_b32_e32 v6, 0, v6, vcc_lo
	buffer_store_dword v6, off, s[0:3], s32 offset:428 ; 4-byte Folded Spill
	buffer_load_dword v6, off, s[0:3], s32 offset:436 ; 4-byte Folded Reload
	s_waitcnt vmcnt(0)
	v_cndmask_b32_e64 v6, 0, v6, s4
	buffer_store_dword v6, off, s[0:3], s32 offset:436 ; 4-byte Folded Spill
	buffer_load_dword v6, off, s[0:3], s32 offset:420 ; 4-byte Folded Reload
	s_waitcnt vmcnt(0)
	v_cndmask_b32_e64 v6, 0, v6, s5
	;; [unrolled: 4-line block ×3, first 2 shown]
	buffer_store_dword v6, off, s[0:3], s32 offset:412 ; 4-byte Folded Spill
.LBB216_2322:                           ;   in Loop: Header=BB216_2083 Depth=1
	s_or_b32 exec_lo, exec_lo, s8
	flat_load_dword v6, v[0:1] offset:896
	v_mov_b32_e32 v21, 0
	v_mov_b32_e32 v19, 0
	v_mov_b32_e32 v22, 0
	v_mov_b32_e32 v20, 0
	s_waitcnt vmcnt(0) lgkmcnt(0)
	v_cmp_ne_u16_sdwa s8, v6, v9 src0_sel:BYTE_0 src1_sel:DWORD
	s_and_saveexec_b32 s20, s8
	s_cbranch_execz .LBB216_2330
; %bb.2323:                             ;   in Loop: Header=BB216_2083 Depth=1
	v_bfrev_b32_e32 v19, 1
	v_mov_b32_e32 v20, 0
	v_cmp_ne_u16_sdwa s8, v6, v74 src0_sel:BYTE_0 src1_sel:DWORD
	s_and_saveexec_b32 s21, s8
	s_cbranch_execz .LBB216_2329
; %bb.2324:                             ;   in Loop: Header=BB216_2083 Depth=1
	v_mov_b32_e32 v19, 0x7f800001
	v_and_b32_e32 v10, 0x7f, v6
	v_mov_b32_e32 v20, 0
	s_mov_b32 s22, exec_lo
	v_cmpx_ne_u32_e32 0x7f, v10
	s_cbranch_execz .LBB216_2328
; %bb.2325:                             ;   in Loop: Header=BB216_2083 Depth=1
	v_and_b32_e32 v8, 7, v6
	v_lshrrev_b32_e32 v7, 3, v10
	s_mov_b32 s23, exec_lo
	v_cmpx_gt_u32_e32 8, v10
; %bb.2326:                             ;   in Loop: Header=BB216_2083 Depth=1
	v_ffbh_u32_e32 v7, v8
	v_min_u32_e32 v7, 32, v7
	v_subrev_nc_u32_e32 v10, 28, v7
	v_sub_nc_u32_e32 v7, 29, v7
	v_lshlrev_b64 v[10:11], v10, v[8:9]
	v_and_b32_e32 v8, 7, v10
; %bb.2327:                             ;   in Loop: Header=BB216_2083 Depth=1
	s_or_b32 exec_lo, exec_lo, s23
	v_lshlrev_b32_e32 v10, 24, v6
	v_lshlrev_b32_e32 v8, 20, v8
	v_lshl_add_u32 v7, v7, 23, 0x3c000000
	v_and_b32_e32 v10, 0x80000000, v10
	v_or3_b32 v8, v8, v10, v7
	v_mov_b32_e32 v20, v9
	v_mov_b32_e32 v19, v8
.LBB216_2328:                           ;   in Loop: Header=BB216_2083 Depth=1
	s_or_b32 exec_lo, exec_lo, s22
.LBB216_2329:                           ;   in Loop: Header=BB216_2083 Depth=1
	s_or_b32 exec_lo, exec_lo, s21
.LBB216_2330:                           ;   in Loop: Header=BB216_2083 Depth=1
	s_or_b32 exec_lo, exec_lo, s20
	v_cmp_ne_u16_sdwa s8, v6, v9 src0_sel:BYTE_1 src1_sel:DWORD
	s_and_saveexec_b32 s20, s8
	s_cbranch_execz .LBB216_2338
; %bb.2331:                             ;   in Loop: Header=BB216_2083 Depth=1
	v_mov_b32_e32 v11, v9
	v_mov_b32_e32 v22, v12
	v_cmp_ne_u16_sdwa s8, v6, v74 src0_sel:BYTE_1 src1_sel:DWORD
	v_mov_b32_e32 v21, v11
	s_and_saveexec_b32 s21, s8
	s_cbranch_execz .LBB216_2337
; %bb.2332:                             ;   in Loop: Header=BB216_2083 Depth=1
	v_and_b32_sdwa v7, v75, v6 dst_sel:DWORD dst_unused:UNUSED_PAD src0_sel:DWORD src1_sel:BYTE_1
	v_mov_b32_e32 v13, v9
	v_mov_b32_e32 v22, v14
	s_mov_b32 s22, exec_lo
	v_and_b32_e32 v10, 0x7f, v7
	v_mov_b32_e32 v21, v13
	v_cmpx_ne_u32_e32 0x7f, v10
	s_cbranch_execz .LBB216_2336
; %bb.2333:                             ;   in Loop: Header=BB216_2083 Depth=1
	v_and_b32_e32 v8, 7, v7
	v_lshrrev_b32_e32 v7, 3, v10
	s_mov_b32 s23, exec_lo
	v_cmpx_gt_u32_e32 8, v10
; %bb.2334:                             ;   in Loop: Header=BB216_2083 Depth=1
	v_ffbh_u32_e32 v7, v8
	v_min_u32_e32 v7, 32, v7
	v_subrev_nc_u32_e32 v10, 28, v7
	v_sub_nc_u32_e32 v7, 29, v7
	v_lshlrev_b64 v[10:11], v10, v[8:9]
	v_and_b32_e32 v8, 7, v10
; %bb.2335:                             ;   in Loop: Header=BB216_2083 Depth=1
	s_or_b32 exec_lo, exec_lo, s23
	v_lshlrev_b32_e32 v10, 16, v6
	v_lshlrev_b32_e32 v8, 20, v8
	v_lshl_add_u32 v7, v7, 23, 0x3c000000
	v_mov_b32_e32 v21, v9
	v_and_b32_e32 v10, 0x80000000, v10
	v_or3_b32 v22, v8, v10, v7
.LBB216_2336:                           ;   in Loop: Header=BB216_2083 Depth=1
	s_or_b32 exec_lo, exec_lo, s22
.LBB216_2337:                           ;   in Loop: Header=BB216_2083 Depth=1
	s_or_b32 exec_lo, exec_lo, s21
.LBB216_2338:                           ;   in Loop: Header=BB216_2083 Depth=1
	s_or_b32 exec_lo, exec_lo, s20
	v_mov_b32_e32 v10, 0
	v_mov_b32_e32 v23, 0
	v_and_b32_sdwa v7, v6, v76 dst_sel:DWORD dst_unused:UNUSED_PAD src0_sel:WORD_1 src1_sel:DWORD
	v_mov_b32_e32 v11, 0
	v_mov_b32_e32 v24, 0
	s_mov_b32 s20, exec_lo
	v_cmpx_ne_u16_e32 0, v7
	s_cbranch_execz .LBB216_2346
; %bb.2339:                             ;   in Loop: Header=BB216_2083 Depth=1
	v_bfrev_b32_e32 v23, 1
	v_mov_b32_e32 v24, 0
	s_mov_b32 s21, exec_lo
	v_cmpx_ne_u16_e32 0x80, v7
	s_cbranch_execz .LBB216_2345
; %bb.2340:                             ;   in Loop: Header=BB216_2083 Depth=1
	v_mov_b32_e32 v23, 0x7f800001
	v_bfe_u32 v13, v6, 16, 7
	v_mov_b32_e32 v24, 0
	s_mov_b32 s22, exec_lo
	v_cmpx_ne_u32_e32 0x7f, v13
	s_cbranch_execz .LBB216_2344
; %bb.2341:                             ;   in Loop: Header=BB216_2083 Depth=1
	v_and_b32_sdwa v8, v6, v77 dst_sel:DWORD dst_unused:UNUSED_PAD src0_sel:WORD_1 src1_sel:DWORD
	v_lshrrev_b32_e32 v7, 3, v13
	s_mov_b32 s23, exec_lo
	v_cmpx_gt_u32_e32 8, v13
; %bb.2342:                             ;   in Loop: Header=BB216_2083 Depth=1
	v_ffbh_u32_e32 v7, v8
	v_min_u32_e32 v7, 32, v7
	v_subrev_nc_u32_e32 v13, 28, v7
	v_sub_nc_u32_e32 v7, 29, v7
	v_lshlrev_b64 v[23:24], v13, v[8:9]
	v_and_b32_e32 v8, 7, v23
; %bb.2343:                             ;   in Loop: Header=BB216_2083 Depth=1
	s_or_b32 exec_lo, exec_lo, s23
	v_lshlrev_b32_sdwa v13, v78, v6 dst_sel:DWORD dst_unused:UNUSED_PAD src0_sel:DWORD src1_sel:WORD_1
	v_lshlrev_b32_e32 v8, 20, v8
	v_lshl_add_u32 v7, v7, 23, 0x3c000000
	v_and_b32_e32 v13, 0x80000000, v13
	v_or3_b32 v8, v8, v13, v7
	v_mov_b32_e32 v24, v9
	v_mov_b32_e32 v23, v8
.LBB216_2344:                           ;   in Loop: Header=BB216_2083 Depth=1
	s_or_b32 exec_lo, exec_lo, s22
.LBB216_2345:                           ;   in Loop: Header=BB216_2083 Depth=1
	s_or_b32 exec_lo, exec_lo, s21
.LBB216_2346:                           ;   in Loop: Header=BB216_2083 Depth=1
	s_or_b32 exec_lo, exec_lo, s20
	s_mov_b32 s20, exec_lo
	v_cmpx_lt_u32_e32 0xffffff, v6
	s_cbranch_execz .LBB216_2354
; %bb.2347:                             ;   in Loop: Header=BB216_2083 Depth=1
	v_mov_b32_e32 v11, v9
	v_cmp_ne_u32_sdwa s8, v6, v74 src0_sel:BYTE_3 src1_sel:DWORD
	v_mov_b32_e32 v10, v11
	v_mov_b32_e32 v11, v12
	s_and_saveexec_b32 s21, s8
	s_cbranch_execz .LBB216_2353
; %bb.2348:                             ;   in Loop: Header=BB216_2083 Depth=1
	v_mov_b32_e32 v13, v9
	v_bfe_u32 v25, v6, 24, 7
	s_mov_b32 s22, exec_lo
	v_mov_b32_e32 v10, v13
	v_mov_b32_e32 v11, v14
	v_cmpx_ne_u32_e32 0x7f, v25
	s_cbranch_execz .LBB216_2352
; %bb.2349:                             ;   in Loop: Header=BB216_2083 Depth=1
	v_and_b32_sdwa v8, v6, v77 dst_sel:DWORD dst_unused:UNUSED_PAD src0_sel:BYTE_3 src1_sel:DWORD
	v_lshrrev_b32_e32 v7, 3, v25
	s_mov_b32 s23, exec_lo
	v_cmpx_gt_u32_e32 8, v25
; %bb.2350:                             ;   in Loop: Header=BB216_2083 Depth=1
	v_ffbh_u32_e32 v7, v8
	v_min_u32_e32 v7, 32, v7
	v_subrev_nc_u32_e32 v10, 28, v7
	v_sub_nc_u32_e32 v7, 29, v7
	v_lshlrev_b64 v[10:11], v10, v[8:9]
	v_and_b32_e32 v8, 7, v10
; %bb.2351:                             ;   in Loop: Header=BB216_2083 Depth=1
	s_or_b32 exec_lo, exec_lo, s23
	v_lshlrev_b32_sdwa v6, v78, v6 dst_sel:DWORD dst_unused:UNUSED_PAD src0_sel:DWORD src1_sel:BYTE_3
	v_lshlrev_b32_e32 v8, 20, v8
	v_lshl_add_u32 v7, v7, 23, 0x3c000000
	v_mov_b32_e32 v10, v9
	v_and_b32_e32 v6, 0x80000000, v6
	v_or3_b32 v11, v8, v6, v7
.LBB216_2352:                           ;   in Loop: Header=BB216_2083 Depth=1
	s_or_b32 exec_lo, exec_lo, s22
.LBB216_2353:                           ;   in Loop: Header=BB216_2083 Depth=1
	s_or_b32 exec_lo, exec_lo, s21
.LBB216_2354:                           ;   in Loop: Header=BB216_2083 Depth=1
	s_or_b32 exec_lo, exec_lo, s20
	v_or_b32_e32 v6, v22, v20
	v_or_b32_e32 v7, v21, v19
	;; [unrolled: 1-line block ×4, first 2 shown]
	v_mul_f32_e32 v6, v106, v6
	buffer_store_dword v6, off, s[0:3], s32 offset:468 ; 4-byte Folded Spill
	v_mul_f32_e32 v6, v106, v7
	buffer_store_dword v6, off, s[0:3], s32 offset:460 ; 4-byte Folded Spill
	;; [unrolled: 2-line block ×4, first 2 shown]
	s_and_saveexec_b32 s8, s7
	s_cbranch_execz .LBB216_2356
; %bb.2355:                             ;   in Loop: Header=BB216_2083 Depth=1
	buffer_load_dword v6, off, s[0:3], s32 offset:460 ; 4-byte Folded Reload
	s_waitcnt vmcnt(0)
	v_cndmask_b32_e32 v6, 0, v6, vcc_lo
	buffer_store_dword v6, off, s[0:3], s32 offset:460 ; 4-byte Folded Spill
	buffer_load_dword v6, off, s[0:3], s32 offset:468 ; 4-byte Folded Reload
	s_waitcnt vmcnt(0)
	v_cndmask_b32_e64 v6, 0, v6, s4
	buffer_store_dword v6, off, s[0:3], s32 offset:468 ; 4-byte Folded Spill
	buffer_load_dword v6, off, s[0:3], s32 offset:452 ; 4-byte Folded Reload
	s_waitcnt vmcnt(0)
	v_cndmask_b32_e64 v6, 0, v6, s5
	;; [unrolled: 4-line block ×3, first 2 shown]
	buffer_store_dword v6, off, s[0:3], s32 offset:444 ; 4-byte Folded Spill
.LBB216_2356:                           ;   in Loop: Header=BB216_2083 Depth=1
	s_or_b32 exec_lo, exec_lo, s8
	flat_load_dword v6, v[0:1] offset:1024
	v_mov_b32_e32 v21, 0
	v_mov_b32_e32 v19, 0
	;; [unrolled: 1-line block ×4, first 2 shown]
	s_waitcnt vmcnt(0) lgkmcnt(0)
	v_cmp_ne_u16_sdwa s8, v6, v9 src0_sel:BYTE_0 src1_sel:DWORD
	s_and_saveexec_b32 s20, s8
	s_cbranch_execz .LBB216_2364
; %bb.2357:                             ;   in Loop: Header=BB216_2083 Depth=1
	v_bfrev_b32_e32 v19, 1
	v_mov_b32_e32 v20, 0
	v_cmp_ne_u16_sdwa s8, v6, v74 src0_sel:BYTE_0 src1_sel:DWORD
	s_and_saveexec_b32 s21, s8
	s_cbranch_execz .LBB216_2363
; %bb.2358:                             ;   in Loop: Header=BB216_2083 Depth=1
	v_mov_b32_e32 v19, 0x7f800001
	v_and_b32_e32 v10, 0x7f, v6
	v_mov_b32_e32 v20, 0
	s_mov_b32 s22, exec_lo
	v_cmpx_ne_u32_e32 0x7f, v10
	s_cbranch_execz .LBB216_2362
; %bb.2359:                             ;   in Loop: Header=BB216_2083 Depth=1
	v_and_b32_e32 v8, 7, v6
	v_lshrrev_b32_e32 v7, 3, v10
	s_mov_b32 s23, exec_lo
	v_cmpx_gt_u32_e32 8, v10
; %bb.2360:                             ;   in Loop: Header=BB216_2083 Depth=1
	v_ffbh_u32_e32 v7, v8
	v_min_u32_e32 v7, 32, v7
	v_subrev_nc_u32_e32 v10, 28, v7
	v_sub_nc_u32_e32 v7, 29, v7
	v_lshlrev_b64 v[10:11], v10, v[8:9]
	v_and_b32_e32 v8, 7, v10
; %bb.2361:                             ;   in Loop: Header=BB216_2083 Depth=1
	s_or_b32 exec_lo, exec_lo, s23
	v_lshlrev_b32_e32 v10, 24, v6
	v_lshlrev_b32_e32 v8, 20, v8
	v_lshl_add_u32 v7, v7, 23, 0x3c000000
	v_and_b32_e32 v10, 0x80000000, v10
	v_or3_b32 v8, v8, v10, v7
	v_mov_b32_e32 v20, v9
	v_mov_b32_e32 v19, v8
.LBB216_2362:                           ;   in Loop: Header=BB216_2083 Depth=1
	s_or_b32 exec_lo, exec_lo, s22
.LBB216_2363:                           ;   in Loop: Header=BB216_2083 Depth=1
	s_or_b32 exec_lo, exec_lo, s21
.LBB216_2364:                           ;   in Loop: Header=BB216_2083 Depth=1
	s_or_b32 exec_lo, exec_lo, s20
	v_cmp_ne_u16_sdwa s8, v6, v9 src0_sel:BYTE_1 src1_sel:DWORD
	s_and_saveexec_b32 s20, s8
	s_cbranch_execz .LBB216_2372
; %bb.2365:                             ;   in Loop: Header=BB216_2083 Depth=1
	v_mov_b32_e32 v11, v9
	v_mov_b32_e32 v22, v12
	v_cmp_ne_u16_sdwa s8, v6, v74 src0_sel:BYTE_1 src1_sel:DWORD
	v_mov_b32_e32 v21, v11
	s_and_saveexec_b32 s21, s8
	s_cbranch_execz .LBB216_2371
; %bb.2366:                             ;   in Loop: Header=BB216_2083 Depth=1
	v_and_b32_sdwa v7, v75, v6 dst_sel:DWORD dst_unused:UNUSED_PAD src0_sel:DWORD src1_sel:BYTE_1
	v_mov_b32_e32 v13, v9
	v_mov_b32_e32 v22, v14
	s_mov_b32 s22, exec_lo
	v_and_b32_e32 v10, 0x7f, v7
	v_mov_b32_e32 v21, v13
	v_cmpx_ne_u32_e32 0x7f, v10
	s_cbranch_execz .LBB216_2370
; %bb.2367:                             ;   in Loop: Header=BB216_2083 Depth=1
	v_and_b32_e32 v8, 7, v7
	v_lshrrev_b32_e32 v7, 3, v10
	s_mov_b32 s23, exec_lo
	v_cmpx_gt_u32_e32 8, v10
; %bb.2368:                             ;   in Loop: Header=BB216_2083 Depth=1
	v_ffbh_u32_e32 v7, v8
	v_min_u32_e32 v7, 32, v7
	v_subrev_nc_u32_e32 v10, 28, v7
	v_sub_nc_u32_e32 v7, 29, v7
	v_lshlrev_b64 v[10:11], v10, v[8:9]
	v_and_b32_e32 v8, 7, v10
; %bb.2369:                             ;   in Loop: Header=BB216_2083 Depth=1
	s_or_b32 exec_lo, exec_lo, s23
	v_lshlrev_b32_e32 v10, 16, v6
	v_lshlrev_b32_e32 v8, 20, v8
	v_lshl_add_u32 v7, v7, 23, 0x3c000000
	v_mov_b32_e32 v21, v9
	v_and_b32_e32 v10, 0x80000000, v10
	v_or3_b32 v22, v8, v10, v7
.LBB216_2370:                           ;   in Loop: Header=BB216_2083 Depth=1
	s_or_b32 exec_lo, exec_lo, s22
.LBB216_2371:                           ;   in Loop: Header=BB216_2083 Depth=1
	s_or_b32 exec_lo, exec_lo, s21
.LBB216_2372:                           ;   in Loop: Header=BB216_2083 Depth=1
	s_or_b32 exec_lo, exec_lo, s20
	v_mov_b32_e32 v10, 0
	v_mov_b32_e32 v23, 0
	v_and_b32_sdwa v7, v6, v76 dst_sel:DWORD dst_unused:UNUSED_PAD src0_sel:WORD_1 src1_sel:DWORD
	v_mov_b32_e32 v11, 0
	v_mov_b32_e32 v24, 0
	s_mov_b32 s20, exec_lo
	v_cmpx_ne_u16_e32 0, v7
	s_cbranch_execz .LBB216_2380
; %bb.2373:                             ;   in Loop: Header=BB216_2083 Depth=1
	v_bfrev_b32_e32 v23, 1
	v_mov_b32_e32 v24, 0
	s_mov_b32 s21, exec_lo
	v_cmpx_ne_u16_e32 0x80, v7
	s_cbranch_execz .LBB216_2379
; %bb.2374:                             ;   in Loop: Header=BB216_2083 Depth=1
	v_mov_b32_e32 v23, 0x7f800001
	v_bfe_u32 v13, v6, 16, 7
	v_mov_b32_e32 v24, 0
	s_mov_b32 s22, exec_lo
	v_cmpx_ne_u32_e32 0x7f, v13
	s_cbranch_execz .LBB216_2378
; %bb.2375:                             ;   in Loop: Header=BB216_2083 Depth=1
	v_and_b32_sdwa v8, v6, v77 dst_sel:DWORD dst_unused:UNUSED_PAD src0_sel:WORD_1 src1_sel:DWORD
	v_lshrrev_b32_e32 v7, 3, v13
	s_mov_b32 s23, exec_lo
	v_cmpx_gt_u32_e32 8, v13
; %bb.2376:                             ;   in Loop: Header=BB216_2083 Depth=1
	v_ffbh_u32_e32 v7, v8
	v_min_u32_e32 v7, 32, v7
	v_subrev_nc_u32_e32 v13, 28, v7
	v_sub_nc_u32_e32 v7, 29, v7
	v_lshlrev_b64 v[23:24], v13, v[8:9]
	v_and_b32_e32 v8, 7, v23
; %bb.2377:                             ;   in Loop: Header=BB216_2083 Depth=1
	s_or_b32 exec_lo, exec_lo, s23
	v_lshlrev_b32_sdwa v13, v78, v6 dst_sel:DWORD dst_unused:UNUSED_PAD src0_sel:DWORD src1_sel:WORD_1
	v_lshlrev_b32_e32 v8, 20, v8
	v_lshl_add_u32 v7, v7, 23, 0x3c000000
	v_and_b32_e32 v13, 0x80000000, v13
	v_or3_b32 v8, v8, v13, v7
	v_mov_b32_e32 v24, v9
	v_mov_b32_e32 v23, v8
.LBB216_2378:                           ;   in Loop: Header=BB216_2083 Depth=1
	s_or_b32 exec_lo, exec_lo, s22
.LBB216_2379:                           ;   in Loop: Header=BB216_2083 Depth=1
	s_or_b32 exec_lo, exec_lo, s21
.LBB216_2380:                           ;   in Loop: Header=BB216_2083 Depth=1
	s_or_b32 exec_lo, exec_lo, s20
	s_mov_b32 s20, exec_lo
	v_cmpx_lt_u32_e32 0xffffff, v6
	s_cbranch_execz .LBB216_2388
; %bb.2381:                             ;   in Loop: Header=BB216_2083 Depth=1
	v_mov_b32_e32 v11, v9
	v_cmp_ne_u32_sdwa s8, v6, v74 src0_sel:BYTE_3 src1_sel:DWORD
	v_mov_b32_e32 v10, v11
	v_mov_b32_e32 v11, v12
	s_and_saveexec_b32 s21, s8
	s_cbranch_execz .LBB216_2387
; %bb.2382:                             ;   in Loop: Header=BB216_2083 Depth=1
	v_mov_b32_e32 v13, v9
	v_bfe_u32 v25, v6, 24, 7
	s_mov_b32 s22, exec_lo
	v_mov_b32_e32 v10, v13
	v_mov_b32_e32 v11, v14
	v_cmpx_ne_u32_e32 0x7f, v25
	s_cbranch_execz .LBB216_2386
; %bb.2383:                             ;   in Loop: Header=BB216_2083 Depth=1
	v_and_b32_sdwa v8, v6, v77 dst_sel:DWORD dst_unused:UNUSED_PAD src0_sel:BYTE_3 src1_sel:DWORD
	v_lshrrev_b32_e32 v7, 3, v25
	s_mov_b32 s23, exec_lo
	v_cmpx_gt_u32_e32 8, v25
; %bb.2384:                             ;   in Loop: Header=BB216_2083 Depth=1
	v_ffbh_u32_e32 v7, v8
	v_min_u32_e32 v7, 32, v7
	v_subrev_nc_u32_e32 v10, 28, v7
	v_sub_nc_u32_e32 v7, 29, v7
	v_lshlrev_b64 v[10:11], v10, v[8:9]
	v_and_b32_e32 v8, 7, v10
; %bb.2385:                             ;   in Loop: Header=BB216_2083 Depth=1
	s_or_b32 exec_lo, exec_lo, s23
	v_lshlrev_b32_sdwa v6, v78, v6 dst_sel:DWORD dst_unused:UNUSED_PAD src0_sel:DWORD src1_sel:BYTE_3
	v_lshlrev_b32_e32 v8, 20, v8
	v_lshl_add_u32 v7, v7, 23, 0x3c000000
	v_mov_b32_e32 v10, v9
	v_and_b32_e32 v6, 0x80000000, v6
	v_or3_b32 v11, v8, v6, v7
.LBB216_2386:                           ;   in Loop: Header=BB216_2083 Depth=1
	s_or_b32 exec_lo, exec_lo, s22
.LBB216_2387:                           ;   in Loop: Header=BB216_2083 Depth=1
	s_or_b32 exec_lo, exec_lo, s21
.LBB216_2388:                           ;   in Loop: Header=BB216_2083 Depth=1
	s_or_b32 exec_lo, exec_lo, s20
	v_or_b32_e32 v6, v22, v20
	v_or_b32_e32 v7, v21, v19
	;; [unrolled: 1-line block ×4, first 2 shown]
	v_mul_f32_e32 v6, v106, v6
	buffer_store_dword v6, off, s[0:3], s32 offset:500 ; 4-byte Folded Spill
	v_mul_f32_e32 v6, v106, v7
	buffer_store_dword v6, off, s[0:3], s32 offset:492 ; 4-byte Folded Spill
	;; [unrolled: 2-line block ×4, first 2 shown]
	s_and_saveexec_b32 s8, s7
	s_cbranch_execz .LBB216_2390
; %bb.2389:                             ;   in Loop: Header=BB216_2083 Depth=1
	buffer_load_dword v6, off, s[0:3], s32 offset:492 ; 4-byte Folded Reload
	s_waitcnt vmcnt(0)
	v_cndmask_b32_e32 v6, 0, v6, vcc_lo
	buffer_store_dword v6, off, s[0:3], s32 offset:492 ; 4-byte Folded Spill
	buffer_load_dword v6, off, s[0:3], s32 offset:500 ; 4-byte Folded Reload
	s_waitcnt vmcnt(0)
	v_cndmask_b32_e64 v6, 0, v6, s4
	buffer_store_dword v6, off, s[0:3], s32 offset:500 ; 4-byte Folded Spill
	buffer_load_dword v6, off, s[0:3], s32 offset:484 ; 4-byte Folded Reload
	s_waitcnt vmcnt(0)
	v_cndmask_b32_e64 v6, 0, v6, s5
	;; [unrolled: 4-line block ×3, first 2 shown]
	buffer_store_dword v6, off, s[0:3], s32 offset:476 ; 4-byte Folded Spill
.LBB216_2390:                           ;   in Loop: Header=BB216_2083 Depth=1
	s_or_b32 exec_lo, exec_lo, s8
	flat_load_dword v6, v[0:1] offset:1152
	v_mov_b32_e32 v21, 0
	v_mov_b32_e32 v19, 0
	;; [unrolled: 1-line block ×4, first 2 shown]
	s_waitcnt vmcnt(0) lgkmcnt(0)
	v_cmp_ne_u16_sdwa s8, v6, v9 src0_sel:BYTE_0 src1_sel:DWORD
	s_and_saveexec_b32 s20, s8
	s_cbranch_execz .LBB216_2398
; %bb.2391:                             ;   in Loop: Header=BB216_2083 Depth=1
	v_bfrev_b32_e32 v19, 1
	v_mov_b32_e32 v20, 0
	v_cmp_ne_u16_sdwa s8, v6, v74 src0_sel:BYTE_0 src1_sel:DWORD
	s_and_saveexec_b32 s21, s8
	s_cbranch_execz .LBB216_2397
; %bb.2392:                             ;   in Loop: Header=BB216_2083 Depth=1
	v_mov_b32_e32 v19, 0x7f800001
	v_and_b32_e32 v10, 0x7f, v6
	v_mov_b32_e32 v20, 0
	s_mov_b32 s22, exec_lo
	v_cmpx_ne_u32_e32 0x7f, v10
	s_cbranch_execz .LBB216_2396
; %bb.2393:                             ;   in Loop: Header=BB216_2083 Depth=1
	v_and_b32_e32 v8, 7, v6
	v_lshrrev_b32_e32 v7, 3, v10
	s_mov_b32 s23, exec_lo
	v_cmpx_gt_u32_e32 8, v10
; %bb.2394:                             ;   in Loop: Header=BB216_2083 Depth=1
	v_ffbh_u32_e32 v7, v8
	v_min_u32_e32 v7, 32, v7
	v_subrev_nc_u32_e32 v10, 28, v7
	v_sub_nc_u32_e32 v7, 29, v7
	v_lshlrev_b64 v[10:11], v10, v[8:9]
	v_and_b32_e32 v8, 7, v10
; %bb.2395:                             ;   in Loop: Header=BB216_2083 Depth=1
	s_or_b32 exec_lo, exec_lo, s23
	v_lshlrev_b32_e32 v10, 24, v6
	v_lshlrev_b32_e32 v8, 20, v8
	v_lshl_add_u32 v7, v7, 23, 0x3c000000
	v_and_b32_e32 v10, 0x80000000, v10
	v_or3_b32 v8, v8, v10, v7
	v_mov_b32_e32 v20, v9
	v_mov_b32_e32 v19, v8
.LBB216_2396:                           ;   in Loop: Header=BB216_2083 Depth=1
	s_or_b32 exec_lo, exec_lo, s22
.LBB216_2397:                           ;   in Loop: Header=BB216_2083 Depth=1
	s_or_b32 exec_lo, exec_lo, s21
.LBB216_2398:                           ;   in Loop: Header=BB216_2083 Depth=1
	s_or_b32 exec_lo, exec_lo, s20
	v_cmp_ne_u16_sdwa s8, v6, v9 src0_sel:BYTE_1 src1_sel:DWORD
	s_and_saveexec_b32 s20, s8
	s_cbranch_execz .LBB216_2406
; %bb.2399:                             ;   in Loop: Header=BB216_2083 Depth=1
	v_mov_b32_e32 v11, v9
	v_mov_b32_e32 v22, v12
	v_cmp_ne_u16_sdwa s8, v6, v74 src0_sel:BYTE_1 src1_sel:DWORD
	v_mov_b32_e32 v21, v11
	s_and_saveexec_b32 s21, s8
	s_cbranch_execz .LBB216_2405
; %bb.2400:                             ;   in Loop: Header=BB216_2083 Depth=1
	v_and_b32_sdwa v7, v75, v6 dst_sel:DWORD dst_unused:UNUSED_PAD src0_sel:DWORD src1_sel:BYTE_1
	v_mov_b32_e32 v13, v9
	v_mov_b32_e32 v22, v14
	s_mov_b32 s22, exec_lo
	v_and_b32_e32 v10, 0x7f, v7
	v_mov_b32_e32 v21, v13
	v_cmpx_ne_u32_e32 0x7f, v10
	s_cbranch_execz .LBB216_2404
; %bb.2401:                             ;   in Loop: Header=BB216_2083 Depth=1
	v_and_b32_e32 v8, 7, v7
	v_lshrrev_b32_e32 v7, 3, v10
	s_mov_b32 s23, exec_lo
	v_cmpx_gt_u32_e32 8, v10
; %bb.2402:                             ;   in Loop: Header=BB216_2083 Depth=1
	v_ffbh_u32_e32 v7, v8
	v_min_u32_e32 v7, 32, v7
	v_subrev_nc_u32_e32 v10, 28, v7
	v_sub_nc_u32_e32 v7, 29, v7
	v_lshlrev_b64 v[10:11], v10, v[8:9]
	v_and_b32_e32 v8, 7, v10
; %bb.2403:                             ;   in Loop: Header=BB216_2083 Depth=1
	s_or_b32 exec_lo, exec_lo, s23
	v_lshlrev_b32_e32 v10, 16, v6
	v_lshlrev_b32_e32 v8, 20, v8
	v_lshl_add_u32 v7, v7, 23, 0x3c000000
	v_mov_b32_e32 v21, v9
	v_and_b32_e32 v10, 0x80000000, v10
	v_or3_b32 v22, v8, v10, v7
.LBB216_2404:                           ;   in Loop: Header=BB216_2083 Depth=1
	s_or_b32 exec_lo, exec_lo, s22
.LBB216_2405:                           ;   in Loop: Header=BB216_2083 Depth=1
	s_or_b32 exec_lo, exec_lo, s21
.LBB216_2406:                           ;   in Loop: Header=BB216_2083 Depth=1
	s_or_b32 exec_lo, exec_lo, s20
	v_mov_b32_e32 v10, 0
	v_mov_b32_e32 v23, 0
	v_and_b32_sdwa v7, v6, v76 dst_sel:DWORD dst_unused:UNUSED_PAD src0_sel:WORD_1 src1_sel:DWORD
	v_mov_b32_e32 v11, 0
	v_mov_b32_e32 v24, 0
	s_mov_b32 s20, exec_lo
	v_cmpx_ne_u16_e32 0, v7
	s_cbranch_execz .LBB216_2414
; %bb.2407:                             ;   in Loop: Header=BB216_2083 Depth=1
	v_bfrev_b32_e32 v23, 1
	v_mov_b32_e32 v24, 0
	s_mov_b32 s21, exec_lo
	v_cmpx_ne_u16_e32 0x80, v7
	s_cbranch_execz .LBB216_2413
; %bb.2408:                             ;   in Loop: Header=BB216_2083 Depth=1
	v_mov_b32_e32 v23, 0x7f800001
	v_bfe_u32 v13, v6, 16, 7
	v_mov_b32_e32 v24, 0
	s_mov_b32 s22, exec_lo
	v_cmpx_ne_u32_e32 0x7f, v13
	s_cbranch_execz .LBB216_2412
; %bb.2409:                             ;   in Loop: Header=BB216_2083 Depth=1
	v_and_b32_sdwa v8, v6, v77 dst_sel:DWORD dst_unused:UNUSED_PAD src0_sel:WORD_1 src1_sel:DWORD
	v_lshrrev_b32_e32 v7, 3, v13
	s_mov_b32 s23, exec_lo
	v_cmpx_gt_u32_e32 8, v13
; %bb.2410:                             ;   in Loop: Header=BB216_2083 Depth=1
	v_ffbh_u32_e32 v7, v8
	v_min_u32_e32 v7, 32, v7
	v_subrev_nc_u32_e32 v13, 28, v7
	v_sub_nc_u32_e32 v7, 29, v7
	v_lshlrev_b64 v[23:24], v13, v[8:9]
	v_and_b32_e32 v8, 7, v23
; %bb.2411:                             ;   in Loop: Header=BB216_2083 Depth=1
	s_or_b32 exec_lo, exec_lo, s23
	v_lshlrev_b32_sdwa v13, v78, v6 dst_sel:DWORD dst_unused:UNUSED_PAD src0_sel:DWORD src1_sel:WORD_1
	v_lshlrev_b32_e32 v8, 20, v8
	v_lshl_add_u32 v7, v7, 23, 0x3c000000
	v_and_b32_e32 v13, 0x80000000, v13
	v_or3_b32 v8, v8, v13, v7
	v_mov_b32_e32 v24, v9
	v_mov_b32_e32 v23, v8
.LBB216_2412:                           ;   in Loop: Header=BB216_2083 Depth=1
	s_or_b32 exec_lo, exec_lo, s22
.LBB216_2413:                           ;   in Loop: Header=BB216_2083 Depth=1
	s_or_b32 exec_lo, exec_lo, s21
.LBB216_2414:                           ;   in Loop: Header=BB216_2083 Depth=1
	s_or_b32 exec_lo, exec_lo, s20
	s_mov_b32 s20, exec_lo
	v_cmpx_lt_u32_e32 0xffffff, v6
	s_cbranch_execz .LBB216_2422
; %bb.2415:                             ;   in Loop: Header=BB216_2083 Depth=1
	v_mov_b32_e32 v11, v9
	v_cmp_ne_u32_sdwa s8, v6, v74 src0_sel:BYTE_3 src1_sel:DWORD
	v_mov_b32_e32 v10, v11
	v_mov_b32_e32 v11, v12
	s_and_saveexec_b32 s21, s8
	s_cbranch_execz .LBB216_2421
; %bb.2416:                             ;   in Loop: Header=BB216_2083 Depth=1
	v_mov_b32_e32 v13, v9
	v_bfe_u32 v25, v6, 24, 7
	s_mov_b32 s22, exec_lo
	v_mov_b32_e32 v10, v13
	v_mov_b32_e32 v11, v14
	v_cmpx_ne_u32_e32 0x7f, v25
	s_cbranch_execz .LBB216_2420
; %bb.2417:                             ;   in Loop: Header=BB216_2083 Depth=1
	v_and_b32_sdwa v8, v6, v77 dst_sel:DWORD dst_unused:UNUSED_PAD src0_sel:BYTE_3 src1_sel:DWORD
	v_lshrrev_b32_e32 v7, 3, v25
	s_mov_b32 s23, exec_lo
	v_cmpx_gt_u32_e32 8, v25
; %bb.2418:                             ;   in Loop: Header=BB216_2083 Depth=1
	v_ffbh_u32_e32 v7, v8
	v_min_u32_e32 v7, 32, v7
	v_subrev_nc_u32_e32 v10, 28, v7
	v_sub_nc_u32_e32 v7, 29, v7
	v_lshlrev_b64 v[10:11], v10, v[8:9]
	v_and_b32_e32 v8, 7, v10
; %bb.2419:                             ;   in Loop: Header=BB216_2083 Depth=1
	s_or_b32 exec_lo, exec_lo, s23
	v_lshlrev_b32_sdwa v6, v78, v6 dst_sel:DWORD dst_unused:UNUSED_PAD src0_sel:DWORD src1_sel:BYTE_3
	v_lshlrev_b32_e32 v8, 20, v8
	v_lshl_add_u32 v7, v7, 23, 0x3c000000
	v_mov_b32_e32 v10, v9
	v_and_b32_e32 v6, 0x80000000, v6
	v_or3_b32 v11, v8, v6, v7
.LBB216_2420:                           ;   in Loop: Header=BB216_2083 Depth=1
	s_or_b32 exec_lo, exec_lo, s22
.LBB216_2421:                           ;   in Loop: Header=BB216_2083 Depth=1
	s_or_b32 exec_lo, exec_lo, s21
.LBB216_2422:                           ;   in Loop: Header=BB216_2083 Depth=1
	s_or_b32 exec_lo, exec_lo, s20
	v_or_b32_e32 v6, v22, v20
	v_or_b32_e32 v7, v21, v19
	v_or_b32_e32 v8, v10, v23
	v_or_b32_e32 v10, v11, v24
	v_mul_f32_e32 v6, v106, v6
	buffer_store_dword v6, off, s[0:3], s32 offset:532 ; 4-byte Folded Spill
	v_mul_f32_e32 v6, v106, v7
	buffer_store_dword v6, off, s[0:3], s32 offset:524 ; 4-byte Folded Spill
	;; [unrolled: 2-line block ×4, first 2 shown]
	s_and_saveexec_b32 s8, s7
	s_cbranch_execz .LBB216_2424
; %bb.2423:                             ;   in Loop: Header=BB216_2083 Depth=1
	buffer_load_dword v6, off, s[0:3], s32 offset:524 ; 4-byte Folded Reload
	s_waitcnt vmcnt(0)
	v_cndmask_b32_e32 v6, 0, v6, vcc_lo
	buffer_store_dword v6, off, s[0:3], s32 offset:524 ; 4-byte Folded Spill
	buffer_load_dword v6, off, s[0:3], s32 offset:532 ; 4-byte Folded Reload
	s_waitcnt vmcnt(0)
	v_cndmask_b32_e64 v6, 0, v6, s4
	buffer_store_dword v6, off, s[0:3], s32 offset:532 ; 4-byte Folded Spill
	buffer_load_dword v6, off, s[0:3], s32 offset:516 ; 4-byte Folded Reload
	s_waitcnt vmcnt(0)
	v_cndmask_b32_e64 v6, 0, v6, s5
	;; [unrolled: 4-line block ×3, first 2 shown]
	buffer_store_dword v6, off, s[0:3], s32 offset:508 ; 4-byte Folded Spill
.LBB216_2424:                           ;   in Loop: Header=BB216_2083 Depth=1
	s_or_b32 exec_lo, exec_lo, s8
	flat_load_dword v6, v[0:1] offset:1280
	v_mov_b32_e32 v21, 0
	v_mov_b32_e32 v19, 0
	;; [unrolled: 1-line block ×4, first 2 shown]
	s_waitcnt vmcnt(0) lgkmcnt(0)
	v_cmp_ne_u16_sdwa s8, v6, v9 src0_sel:BYTE_0 src1_sel:DWORD
	s_and_saveexec_b32 s20, s8
	s_cbranch_execz .LBB216_2432
; %bb.2425:                             ;   in Loop: Header=BB216_2083 Depth=1
	v_bfrev_b32_e32 v19, 1
	v_mov_b32_e32 v20, 0
	v_cmp_ne_u16_sdwa s8, v6, v74 src0_sel:BYTE_0 src1_sel:DWORD
	s_and_saveexec_b32 s21, s8
	s_cbranch_execz .LBB216_2431
; %bb.2426:                             ;   in Loop: Header=BB216_2083 Depth=1
	v_mov_b32_e32 v19, 0x7f800001
	v_and_b32_e32 v10, 0x7f, v6
	v_mov_b32_e32 v20, 0
	s_mov_b32 s22, exec_lo
	v_cmpx_ne_u32_e32 0x7f, v10
	s_cbranch_execz .LBB216_2430
; %bb.2427:                             ;   in Loop: Header=BB216_2083 Depth=1
	v_and_b32_e32 v8, 7, v6
	v_lshrrev_b32_e32 v7, 3, v10
	s_mov_b32 s23, exec_lo
	v_cmpx_gt_u32_e32 8, v10
; %bb.2428:                             ;   in Loop: Header=BB216_2083 Depth=1
	v_ffbh_u32_e32 v7, v8
	v_min_u32_e32 v7, 32, v7
	v_subrev_nc_u32_e32 v10, 28, v7
	v_sub_nc_u32_e32 v7, 29, v7
	v_lshlrev_b64 v[10:11], v10, v[8:9]
	v_and_b32_e32 v8, 7, v10
; %bb.2429:                             ;   in Loop: Header=BB216_2083 Depth=1
	s_or_b32 exec_lo, exec_lo, s23
	v_lshlrev_b32_e32 v10, 24, v6
	v_lshlrev_b32_e32 v8, 20, v8
	v_lshl_add_u32 v7, v7, 23, 0x3c000000
	v_and_b32_e32 v10, 0x80000000, v10
	v_or3_b32 v8, v8, v10, v7
	v_mov_b32_e32 v20, v9
	v_mov_b32_e32 v19, v8
.LBB216_2430:                           ;   in Loop: Header=BB216_2083 Depth=1
	s_or_b32 exec_lo, exec_lo, s22
.LBB216_2431:                           ;   in Loop: Header=BB216_2083 Depth=1
	s_or_b32 exec_lo, exec_lo, s21
.LBB216_2432:                           ;   in Loop: Header=BB216_2083 Depth=1
	s_or_b32 exec_lo, exec_lo, s20
	v_cmp_ne_u16_sdwa s8, v6, v9 src0_sel:BYTE_1 src1_sel:DWORD
	s_and_saveexec_b32 s20, s8
	s_cbranch_execz .LBB216_2440
; %bb.2433:                             ;   in Loop: Header=BB216_2083 Depth=1
	v_mov_b32_e32 v11, v9
	v_mov_b32_e32 v22, v12
	v_cmp_ne_u16_sdwa s8, v6, v74 src0_sel:BYTE_1 src1_sel:DWORD
	v_mov_b32_e32 v21, v11
	s_and_saveexec_b32 s21, s8
	s_cbranch_execz .LBB216_2439
; %bb.2434:                             ;   in Loop: Header=BB216_2083 Depth=1
	v_and_b32_sdwa v7, v75, v6 dst_sel:DWORD dst_unused:UNUSED_PAD src0_sel:DWORD src1_sel:BYTE_1
	v_mov_b32_e32 v13, v9
	v_mov_b32_e32 v22, v14
	s_mov_b32 s22, exec_lo
	v_and_b32_e32 v10, 0x7f, v7
	v_mov_b32_e32 v21, v13
	v_cmpx_ne_u32_e32 0x7f, v10
	s_cbranch_execz .LBB216_2438
; %bb.2435:                             ;   in Loop: Header=BB216_2083 Depth=1
	v_and_b32_e32 v8, 7, v7
	v_lshrrev_b32_e32 v7, 3, v10
	s_mov_b32 s23, exec_lo
	v_cmpx_gt_u32_e32 8, v10
; %bb.2436:                             ;   in Loop: Header=BB216_2083 Depth=1
	v_ffbh_u32_e32 v7, v8
	v_min_u32_e32 v7, 32, v7
	v_subrev_nc_u32_e32 v10, 28, v7
	v_sub_nc_u32_e32 v7, 29, v7
	v_lshlrev_b64 v[10:11], v10, v[8:9]
	v_and_b32_e32 v8, 7, v10
; %bb.2437:                             ;   in Loop: Header=BB216_2083 Depth=1
	s_or_b32 exec_lo, exec_lo, s23
	v_lshlrev_b32_e32 v10, 16, v6
	v_lshlrev_b32_e32 v8, 20, v8
	v_lshl_add_u32 v7, v7, 23, 0x3c000000
	v_mov_b32_e32 v21, v9
	v_and_b32_e32 v10, 0x80000000, v10
	v_or3_b32 v22, v8, v10, v7
.LBB216_2438:                           ;   in Loop: Header=BB216_2083 Depth=1
	s_or_b32 exec_lo, exec_lo, s22
.LBB216_2439:                           ;   in Loop: Header=BB216_2083 Depth=1
	s_or_b32 exec_lo, exec_lo, s21
.LBB216_2440:                           ;   in Loop: Header=BB216_2083 Depth=1
	s_or_b32 exec_lo, exec_lo, s20
	v_mov_b32_e32 v10, 0
	v_mov_b32_e32 v23, 0
	v_and_b32_sdwa v7, v6, v76 dst_sel:DWORD dst_unused:UNUSED_PAD src0_sel:WORD_1 src1_sel:DWORD
	v_mov_b32_e32 v11, 0
	v_mov_b32_e32 v24, 0
	s_mov_b32 s20, exec_lo
	v_cmpx_ne_u16_e32 0, v7
	s_cbranch_execz .LBB216_2448
; %bb.2441:                             ;   in Loop: Header=BB216_2083 Depth=1
	v_bfrev_b32_e32 v23, 1
	v_mov_b32_e32 v24, 0
	s_mov_b32 s21, exec_lo
	v_cmpx_ne_u16_e32 0x80, v7
	s_cbranch_execz .LBB216_2447
; %bb.2442:                             ;   in Loop: Header=BB216_2083 Depth=1
	v_mov_b32_e32 v23, 0x7f800001
	v_bfe_u32 v13, v6, 16, 7
	v_mov_b32_e32 v24, 0
	s_mov_b32 s22, exec_lo
	v_cmpx_ne_u32_e32 0x7f, v13
	s_cbranch_execz .LBB216_2446
; %bb.2443:                             ;   in Loop: Header=BB216_2083 Depth=1
	v_and_b32_sdwa v8, v6, v77 dst_sel:DWORD dst_unused:UNUSED_PAD src0_sel:WORD_1 src1_sel:DWORD
	v_lshrrev_b32_e32 v7, 3, v13
	s_mov_b32 s23, exec_lo
	v_cmpx_gt_u32_e32 8, v13
; %bb.2444:                             ;   in Loop: Header=BB216_2083 Depth=1
	v_ffbh_u32_e32 v7, v8
	v_min_u32_e32 v7, 32, v7
	v_subrev_nc_u32_e32 v13, 28, v7
	v_sub_nc_u32_e32 v7, 29, v7
	v_lshlrev_b64 v[23:24], v13, v[8:9]
	v_and_b32_e32 v8, 7, v23
; %bb.2445:                             ;   in Loop: Header=BB216_2083 Depth=1
	s_or_b32 exec_lo, exec_lo, s23
	v_lshlrev_b32_sdwa v13, v78, v6 dst_sel:DWORD dst_unused:UNUSED_PAD src0_sel:DWORD src1_sel:WORD_1
	v_lshlrev_b32_e32 v8, 20, v8
	v_lshl_add_u32 v7, v7, 23, 0x3c000000
	v_and_b32_e32 v13, 0x80000000, v13
	v_or3_b32 v8, v8, v13, v7
	v_mov_b32_e32 v24, v9
	v_mov_b32_e32 v23, v8
.LBB216_2446:                           ;   in Loop: Header=BB216_2083 Depth=1
	s_or_b32 exec_lo, exec_lo, s22
.LBB216_2447:                           ;   in Loop: Header=BB216_2083 Depth=1
	s_or_b32 exec_lo, exec_lo, s21
.LBB216_2448:                           ;   in Loop: Header=BB216_2083 Depth=1
	s_or_b32 exec_lo, exec_lo, s20
	s_mov_b32 s20, exec_lo
	v_cmpx_lt_u32_e32 0xffffff, v6
	s_cbranch_execz .LBB216_2456
; %bb.2449:                             ;   in Loop: Header=BB216_2083 Depth=1
	v_mov_b32_e32 v11, v9
	v_cmp_ne_u32_sdwa s8, v6, v74 src0_sel:BYTE_3 src1_sel:DWORD
	v_mov_b32_e32 v10, v11
	v_mov_b32_e32 v11, v12
	s_and_saveexec_b32 s21, s8
	s_cbranch_execz .LBB216_2455
; %bb.2450:                             ;   in Loop: Header=BB216_2083 Depth=1
	v_mov_b32_e32 v13, v9
	v_bfe_u32 v25, v6, 24, 7
	s_mov_b32 s22, exec_lo
	v_mov_b32_e32 v10, v13
	v_mov_b32_e32 v11, v14
	v_cmpx_ne_u32_e32 0x7f, v25
	s_cbranch_execz .LBB216_2454
; %bb.2451:                             ;   in Loop: Header=BB216_2083 Depth=1
	v_and_b32_sdwa v8, v6, v77 dst_sel:DWORD dst_unused:UNUSED_PAD src0_sel:BYTE_3 src1_sel:DWORD
	v_lshrrev_b32_e32 v7, 3, v25
	s_mov_b32 s23, exec_lo
	v_cmpx_gt_u32_e32 8, v25
; %bb.2452:                             ;   in Loop: Header=BB216_2083 Depth=1
	v_ffbh_u32_e32 v7, v8
	v_min_u32_e32 v7, 32, v7
	v_subrev_nc_u32_e32 v10, 28, v7
	v_sub_nc_u32_e32 v7, 29, v7
	v_lshlrev_b64 v[10:11], v10, v[8:9]
	v_and_b32_e32 v8, 7, v10
; %bb.2453:                             ;   in Loop: Header=BB216_2083 Depth=1
	s_or_b32 exec_lo, exec_lo, s23
	v_lshlrev_b32_sdwa v6, v78, v6 dst_sel:DWORD dst_unused:UNUSED_PAD src0_sel:DWORD src1_sel:BYTE_3
	v_lshlrev_b32_e32 v8, 20, v8
	v_lshl_add_u32 v7, v7, 23, 0x3c000000
	v_mov_b32_e32 v10, v9
	v_and_b32_e32 v6, 0x80000000, v6
	v_or3_b32 v11, v8, v6, v7
.LBB216_2454:                           ;   in Loop: Header=BB216_2083 Depth=1
	s_or_b32 exec_lo, exec_lo, s22
.LBB216_2455:                           ;   in Loop: Header=BB216_2083 Depth=1
	s_or_b32 exec_lo, exec_lo, s21
.LBB216_2456:                           ;   in Loop: Header=BB216_2083 Depth=1
	s_or_b32 exec_lo, exec_lo, s20
	v_or_b32_e32 v6, v22, v20
	v_or_b32_e32 v7, v21, v19
	;; [unrolled: 1-line block ×4, first 2 shown]
	v_mul_f32_e32 v6, v106, v6
	buffer_store_dword v6, off, s[0:3], s32 offset:564 ; 4-byte Folded Spill
	v_mul_f32_e32 v6, v106, v7
	buffer_store_dword v6, off, s[0:3], s32 offset:556 ; 4-byte Folded Spill
	;; [unrolled: 2-line block ×4, first 2 shown]
	s_and_saveexec_b32 s8, s7
	s_cbranch_execz .LBB216_2458
; %bb.2457:                             ;   in Loop: Header=BB216_2083 Depth=1
	buffer_load_dword v6, off, s[0:3], s32 offset:556 ; 4-byte Folded Reload
	s_waitcnt vmcnt(0)
	v_cndmask_b32_e32 v6, 0, v6, vcc_lo
	buffer_store_dword v6, off, s[0:3], s32 offset:556 ; 4-byte Folded Spill
	buffer_load_dword v6, off, s[0:3], s32 offset:564 ; 4-byte Folded Reload
	s_waitcnt vmcnt(0)
	v_cndmask_b32_e64 v6, 0, v6, s4
	buffer_store_dword v6, off, s[0:3], s32 offset:564 ; 4-byte Folded Spill
	buffer_load_dword v6, off, s[0:3], s32 offset:548 ; 4-byte Folded Reload
	s_waitcnt vmcnt(0)
	v_cndmask_b32_e64 v6, 0, v6, s5
	;; [unrolled: 4-line block ×3, first 2 shown]
	buffer_store_dword v6, off, s[0:3], s32 offset:540 ; 4-byte Folded Spill
.LBB216_2458:                           ;   in Loop: Header=BB216_2083 Depth=1
	s_or_b32 exec_lo, exec_lo, s8
	flat_load_dword v6, v[0:1] offset:1408
	v_mov_b32_e32 v21, 0
	v_mov_b32_e32 v19, 0
	v_mov_b32_e32 v22, 0
	v_mov_b32_e32 v20, 0
	s_waitcnt vmcnt(0) lgkmcnt(0)
	v_cmp_ne_u16_sdwa s8, v6, v9 src0_sel:BYTE_0 src1_sel:DWORD
	s_and_saveexec_b32 s20, s8
	s_cbranch_execz .LBB216_2466
; %bb.2459:                             ;   in Loop: Header=BB216_2083 Depth=1
	v_bfrev_b32_e32 v19, 1
	v_mov_b32_e32 v20, 0
	v_cmp_ne_u16_sdwa s8, v6, v74 src0_sel:BYTE_0 src1_sel:DWORD
	s_and_saveexec_b32 s21, s8
	s_cbranch_execz .LBB216_2465
; %bb.2460:                             ;   in Loop: Header=BB216_2083 Depth=1
	v_mov_b32_e32 v19, 0x7f800001
	v_and_b32_e32 v10, 0x7f, v6
	v_mov_b32_e32 v20, 0
	s_mov_b32 s22, exec_lo
	v_cmpx_ne_u32_e32 0x7f, v10
	s_cbranch_execz .LBB216_2464
; %bb.2461:                             ;   in Loop: Header=BB216_2083 Depth=1
	v_and_b32_e32 v8, 7, v6
	v_lshrrev_b32_e32 v7, 3, v10
	s_mov_b32 s23, exec_lo
	v_cmpx_gt_u32_e32 8, v10
; %bb.2462:                             ;   in Loop: Header=BB216_2083 Depth=1
	v_ffbh_u32_e32 v7, v8
	v_min_u32_e32 v7, 32, v7
	v_subrev_nc_u32_e32 v10, 28, v7
	v_sub_nc_u32_e32 v7, 29, v7
	v_lshlrev_b64 v[10:11], v10, v[8:9]
	v_and_b32_e32 v8, 7, v10
; %bb.2463:                             ;   in Loop: Header=BB216_2083 Depth=1
	s_or_b32 exec_lo, exec_lo, s23
	v_lshlrev_b32_e32 v10, 24, v6
	v_lshlrev_b32_e32 v8, 20, v8
	v_lshl_add_u32 v7, v7, 23, 0x3c000000
	v_and_b32_e32 v10, 0x80000000, v10
	v_or3_b32 v8, v8, v10, v7
	v_mov_b32_e32 v20, v9
	v_mov_b32_e32 v19, v8
.LBB216_2464:                           ;   in Loop: Header=BB216_2083 Depth=1
	s_or_b32 exec_lo, exec_lo, s22
.LBB216_2465:                           ;   in Loop: Header=BB216_2083 Depth=1
	s_or_b32 exec_lo, exec_lo, s21
.LBB216_2466:                           ;   in Loop: Header=BB216_2083 Depth=1
	s_or_b32 exec_lo, exec_lo, s20
	v_cmp_ne_u16_sdwa s8, v6, v9 src0_sel:BYTE_1 src1_sel:DWORD
	s_and_saveexec_b32 s20, s8
	s_cbranch_execz .LBB216_2474
; %bb.2467:                             ;   in Loop: Header=BB216_2083 Depth=1
	v_mov_b32_e32 v11, v9
	v_mov_b32_e32 v22, v12
	v_cmp_ne_u16_sdwa s8, v6, v74 src0_sel:BYTE_1 src1_sel:DWORD
	v_mov_b32_e32 v21, v11
	s_and_saveexec_b32 s21, s8
	s_cbranch_execz .LBB216_2473
; %bb.2468:                             ;   in Loop: Header=BB216_2083 Depth=1
	v_and_b32_sdwa v7, v75, v6 dst_sel:DWORD dst_unused:UNUSED_PAD src0_sel:DWORD src1_sel:BYTE_1
	v_mov_b32_e32 v13, v9
	v_mov_b32_e32 v22, v14
	s_mov_b32 s22, exec_lo
	v_and_b32_e32 v10, 0x7f, v7
	v_mov_b32_e32 v21, v13
	v_cmpx_ne_u32_e32 0x7f, v10
	s_cbranch_execz .LBB216_2472
; %bb.2469:                             ;   in Loop: Header=BB216_2083 Depth=1
	v_and_b32_e32 v8, 7, v7
	v_lshrrev_b32_e32 v7, 3, v10
	s_mov_b32 s23, exec_lo
	v_cmpx_gt_u32_e32 8, v10
; %bb.2470:                             ;   in Loop: Header=BB216_2083 Depth=1
	v_ffbh_u32_e32 v7, v8
	v_min_u32_e32 v7, 32, v7
	v_subrev_nc_u32_e32 v10, 28, v7
	v_sub_nc_u32_e32 v7, 29, v7
	v_lshlrev_b64 v[10:11], v10, v[8:9]
	v_and_b32_e32 v8, 7, v10
; %bb.2471:                             ;   in Loop: Header=BB216_2083 Depth=1
	s_or_b32 exec_lo, exec_lo, s23
	v_lshlrev_b32_e32 v10, 16, v6
	v_lshlrev_b32_e32 v8, 20, v8
	v_lshl_add_u32 v7, v7, 23, 0x3c000000
	v_mov_b32_e32 v21, v9
	v_and_b32_e32 v10, 0x80000000, v10
	v_or3_b32 v22, v8, v10, v7
.LBB216_2472:                           ;   in Loop: Header=BB216_2083 Depth=1
	s_or_b32 exec_lo, exec_lo, s22
.LBB216_2473:                           ;   in Loop: Header=BB216_2083 Depth=1
	s_or_b32 exec_lo, exec_lo, s21
.LBB216_2474:                           ;   in Loop: Header=BB216_2083 Depth=1
	s_or_b32 exec_lo, exec_lo, s20
	v_mov_b32_e32 v10, 0
	v_mov_b32_e32 v23, 0
	v_and_b32_sdwa v7, v6, v76 dst_sel:DWORD dst_unused:UNUSED_PAD src0_sel:WORD_1 src1_sel:DWORD
	v_mov_b32_e32 v11, 0
	v_mov_b32_e32 v24, 0
	s_mov_b32 s20, exec_lo
	v_cmpx_ne_u16_e32 0, v7
	s_cbranch_execz .LBB216_2482
; %bb.2475:                             ;   in Loop: Header=BB216_2083 Depth=1
	v_bfrev_b32_e32 v23, 1
	v_mov_b32_e32 v24, 0
	s_mov_b32 s21, exec_lo
	v_cmpx_ne_u16_e32 0x80, v7
	s_cbranch_execz .LBB216_2481
; %bb.2476:                             ;   in Loop: Header=BB216_2083 Depth=1
	v_mov_b32_e32 v23, 0x7f800001
	v_bfe_u32 v13, v6, 16, 7
	v_mov_b32_e32 v24, 0
	s_mov_b32 s22, exec_lo
	v_cmpx_ne_u32_e32 0x7f, v13
	s_cbranch_execz .LBB216_2480
; %bb.2477:                             ;   in Loop: Header=BB216_2083 Depth=1
	v_and_b32_sdwa v8, v6, v77 dst_sel:DWORD dst_unused:UNUSED_PAD src0_sel:WORD_1 src1_sel:DWORD
	v_lshrrev_b32_e32 v7, 3, v13
	s_mov_b32 s23, exec_lo
	v_cmpx_gt_u32_e32 8, v13
; %bb.2478:                             ;   in Loop: Header=BB216_2083 Depth=1
	v_ffbh_u32_e32 v7, v8
	v_min_u32_e32 v7, 32, v7
	v_subrev_nc_u32_e32 v13, 28, v7
	v_sub_nc_u32_e32 v7, 29, v7
	v_lshlrev_b64 v[23:24], v13, v[8:9]
	v_and_b32_e32 v8, 7, v23
; %bb.2479:                             ;   in Loop: Header=BB216_2083 Depth=1
	s_or_b32 exec_lo, exec_lo, s23
	v_lshlrev_b32_sdwa v13, v78, v6 dst_sel:DWORD dst_unused:UNUSED_PAD src0_sel:DWORD src1_sel:WORD_1
	v_lshlrev_b32_e32 v8, 20, v8
	v_lshl_add_u32 v7, v7, 23, 0x3c000000
	v_and_b32_e32 v13, 0x80000000, v13
	v_or3_b32 v8, v8, v13, v7
	v_mov_b32_e32 v24, v9
	v_mov_b32_e32 v23, v8
.LBB216_2480:                           ;   in Loop: Header=BB216_2083 Depth=1
	s_or_b32 exec_lo, exec_lo, s22
.LBB216_2481:                           ;   in Loop: Header=BB216_2083 Depth=1
	s_or_b32 exec_lo, exec_lo, s21
.LBB216_2482:                           ;   in Loop: Header=BB216_2083 Depth=1
	s_or_b32 exec_lo, exec_lo, s20
	s_mov_b32 s20, exec_lo
	v_cmpx_lt_u32_e32 0xffffff, v6
	s_cbranch_execz .LBB216_2490
; %bb.2483:                             ;   in Loop: Header=BB216_2083 Depth=1
	v_mov_b32_e32 v11, v9
	v_cmp_ne_u32_sdwa s8, v6, v74 src0_sel:BYTE_3 src1_sel:DWORD
	v_mov_b32_e32 v10, v11
	v_mov_b32_e32 v11, v12
	s_and_saveexec_b32 s21, s8
	s_cbranch_execz .LBB216_2489
; %bb.2484:                             ;   in Loop: Header=BB216_2083 Depth=1
	v_mov_b32_e32 v13, v9
	v_bfe_u32 v25, v6, 24, 7
	s_mov_b32 s22, exec_lo
	v_mov_b32_e32 v10, v13
	v_mov_b32_e32 v11, v14
	v_cmpx_ne_u32_e32 0x7f, v25
	s_cbranch_execz .LBB216_2488
; %bb.2485:                             ;   in Loop: Header=BB216_2083 Depth=1
	v_and_b32_sdwa v8, v6, v77 dst_sel:DWORD dst_unused:UNUSED_PAD src0_sel:BYTE_3 src1_sel:DWORD
	v_lshrrev_b32_e32 v7, 3, v25
	s_mov_b32 s23, exec_lo
	v_cmpx_gt_u32_e32 8, v25
; %bb.2486:                             ;   in Loop: Header=BB216_2083 Depth=1
	v_ffbh_u32_e32 v7, v8
	v_min_u32_e32 v7, 32, v7
	v_subrev_nc_u32_e32 v10, 28, v7
	v_sub_nc_u32_e32 v7, 29, v7
	v_lshlrev_b64 v[10:11], v10, v[8:9]
	v_and_b32_e32 v8, 7, v10
; %bb.2487:                             ;   in Loop: Header=BB216_2083 Depth=1
	s_or_b32 exec_lo, exec_lo, s23
	v_lshlrev_b32_sdwa v6, v78, v6 dst_sel:DWORD dst_unused:UNUSED_PAD src0_sel:DWORD src1_sel:BYTE_3
	v_lshlrev_b32_e32 v8, 20, v8
	v_lshl_add_u32 v7, v7, 23, 0x3c000000
	v_mov_b32_e32 v10, v9
	v_and_b32_e32 v6, 0x80000000, v6
	v_or3_b32 v11, v8, v6, v7
.LBB216_2488:                           ;   in Loop: Header=BB216_2083 Depth=1
	s_or_b32 exec_lo, exec_lo, s22
.LBB216_2489:                           ;   in Loop: Header=BB216_2083 Depth=1
	s_or_b32 exec_lo, exec_lo, s21
.LBB216_2490:                           ;   in Loop: Header=BB216_2083 Depth=1
	s_or_b32 exec_lo, exec_lo, s20
	v_or_b32_e32 v6, v22, v20
	v_or_b32_e32 v7, v21, v19
	;; [unrolled: 1-line block ×4, first 2 shown]
	v_mul_f32_e32 v6, v106, v6
	buffer_store_dword v6, off, s[0:3], s32 offset:596 ; 4-byte Folded Spill
	v_mul_f32_e32 v6, v106, v7
	buffer_store_dword v6, off, s[0:3], s32 offset:588 ; 4-byte Folded Spill
	;; [unrolled: 2-line block ×4, first 2 shown]
	s_and_saveexec_b32 s8, s7
	s_cbranch_execz .LBB216_2492
; %bb.2491:                             ;   in Loop: Header=BB216_2083 Depth=1
	buffer_load_dword v6, off, s[0:3], s32 offset:588 ; 4-byte Folded Reload
	s_waitcnt vmcnt(0)
	v_cndmask_b32_e32 v6, 0, v6, vcc_lo
	buffer_store_dword v6, off, s[0:3], s32 offset:588 ; 4-byte Folded Spill
	buffer_load_dword v6, off, s[0:3], s32 offset:596 ; 4-byte Folded Reload
	s_waitcnt vmcnt(0)
	v_cndmask_b32_e64 v6, 0, v6, s4
	buffer_store_dword v6, off, s[0:3], s32 offset:596 ; 4-byte Folded Spill
	buffer_load_dword v6, off, s[0:3], s32 offset:580 ; 4-byte Folded Reload
	s_waitcnt vmcnt(0)
	v_cndmask_b32_e64 v6, 0, v6, s5
	;; [unrolled: 4-line block ×3, first 2 shown]
	buffer_store_dword v6, off, s[0:3], s32 offset:572 ; 4-byte Folded Spill
.LBB216_2492:                           ;   in Loop: Header=BB216_2083 Depth=1
	s_or_b32 exec_lo, exec_lo, s8
	flat_load_dword v6, v[0:1] offset:1536
	v_mov_b32_e32 v21, 0
	v_mov_b32_e32 v19, 0
	;; [unrolled: 1-line block ×4, first 2 shown]
	s_waitcnt vmcnt(0) lgkmcnt(0)
	v_cmp_ne_u16_sdwa s8, v6, v9 src0_sel:BYTE_0 src1_sel:DWORD
	s_and_saveexec_b32 s20, s8
	s_cbranch_execz .LBB216_2500
; %bb.2493:                             ;   in Loop: Header=BB216_2083 Depth=1
	v_bfrev_b32_e32 v19, 1
	v_mov_b32_e32 v20, 0
	v_cmp_ne_u16_sdwa s8, v6, v74 src0_sel:BYTE_0 src1_sel:DWORD
	s_and_saveexec_b32 s21, s8
	s_cbranch_execz .LBB216_2499
; %bb.2494:                             ;   in Loop: Header=BB216_2083 Depth=1
	v_mov_b32_e32 v19, 0x7f800001
	v_and_b32_e32 v10, 0x7f, v6
	v_mov_b32_e32 v20, 0
	s_mov_b32 s22, exec_lo
	v_cmpx_ne_u32_e32 0x7f, v10
	s_cbranch_execz .LBB216_2498
; %bb.2495:                             ;   in Loop: Header=BB216_2083 Depth=1
	v_and_b32_e32 v8, 7, v6
	v_lshrrev_b32_e32 v7, 3, v10
	s_mov_b32 s23, exec_lo
	v_cmpx_gt_u32_e32 8, v10
; %bb.2496:                             ;   in Loop: Header=BB216_2083 Depth=1
	v_ffbh_u32_e32 v7, v8
	v_min_u32_e32 v7, 32, v7
	v_subrev_nc_u32_e32 v10, 28, v7
	v_sub_nc_u32_e32 v7, 29, v7
	v_lshlrev_b64 v[10:11], v10, v[8:9]
	v_and_b32_e32 v8, 7, v10
; %bb.2497:                             ;   in Loop: Header=BB216_2083 Depth=1
	s_or_b32 exec_lo, exec_lo, s23
	v_lshlrev_b32_e32 v10, 24, v6
	v_lshlrev_b32_e32 v8, 20, v8
	v_lshl_add_u32 v7, v7, 23, 0x3c000000
	v_and_b32_e32 v10, 0x80000000, v10
	v_or3_b32 v8, v8, v10, v7
	v_mov_b32_e32 v20, v9
	v_mov_b32_e32 v19, v8
.LBB216_2498:                           ;   in Loop: Header=BB216_2083 Depth=1
	s_or_b32 exec_lo, exec_lo, s22
.LBB216_2499:                           ;   in Loop: Header=BB216_2083 Depth=1
	s_or_b32 exec_lo, exec_lo, s21
.LBB216_2500:                           ;   in Loop: Header=BB216_2083 Depth=1
	s_or_b32 exec_lo, exec_lo, s20
	v_cmp_ne_u16_sdwa s8, v6, v9 src0_sel:BYTE_1 src1_sel:DWORD
	s_and_saveexec_b32 s20, s8
	s_cbranch_execz .LBB216_2508
; %bb.2501:                             ;   in Loop: Header=BB216_2083 Depth=1
	v_mov_b32_e32 v11, v9
	v_mov_b32_e32 v22, v12
	v_cmp_ne_u16_sdwa s8, v6, v74 src0_sel:BYTE_1 src1_sel:DWORD
	v_mov_b32_e32 v21, v11
	s_and_saveexec_b32 s21, s8
	s_cbranch_execz .LBB216_2507
; %bb.2502:                             ;   in Loop: Header=BB216_2083 Depth=1
	v_and_b32_sdwa v7, v75, v6 dst_sel:DWORD dst_unused:UNUSED_PAD src0_sel:DWORD src1_sel:BYTE_1
	v_mov_b32_e32 v13, v9
	v_mov_b32_e32 v22, v14
	s_mov_b32 s22, exec_lo
	v_and_b32_e32 v10, 0x7f, v7
	v_mov_b32_e32 v21, v13
	v_cmpx_ne_u32_e32 0x7f, v10
	s_cbranch_execz .LBB216_2506
; %bb.2503:                             ;   in Loop: Header=BB216_2083 Depth=1
	v_and_b32_e32 v8, 7, v7
	v_lshrrev_b32_e32 v7, 3, v10
	s_mov_b32 s23, exec_lo
	v_cmpx_gt_u32_e32 8, v10
; %bb.2504:                             ;   in Loop: Header=BB216_2083 Depth=1
	v_ffbh_u32_e32 v7, v8
	v_min_u32_e32 v7, 32, v7
	v_subrev_nc_u32_e32 v10, 28, v7
	v_sub_nc_u32_e32 v7, 29, v7
	v_lshlrev_b64 v[10:11], v10, v[8:9]
	v_and_b32_e32 v8, 7, v10
; %bb.2505:                             ;   in Loop: Header=BB216_2083 Depth=1
	s_or_b32 exec_lo, exec_lo, s23
	v_lshlrev_b32_e32 v10, 16, v6
	v_lshlrev_b32_e32 v8, 20, v8
	v_lshl_add_u32 v7, v7, 23, 0x3c000000
	v_mov_b32_e32 v21, v9
	v_and_b32_e32 v10, 0x80000000, v10
	v_or3_b32 v22, v8, v10, v7
.LBB216_2506:                           ;   in Loop: Header=BB216_2083 Depth=1
	s_or_b32 exec_lo, exec_lo, s22
.LBB216_2507:                           ;   in Loop: Header=BB216_2083 Depth=1
	s_or_b32 exec_lo, exec_lo, s21
.LBB216_2508:                           ;   in Loop: Header=BB216_2083 Depth=1
	s_or_b32 exec_lo, exec_lo, s20
	v_mov_b32_e32 v10, 0
	v_mov_b32_e32 v23, 0
	v_and_b32_sdwa v7, v6, v76 dst_sel:DWORD dst_unused:UNUSED_PAD src0_sel:WORD_1 src1_sel:DWORD
	v_mov_b32_e32 v11, 0
	v_mov_b32_e32 v24, 0
	s_mov_b32 s20, exec_lo
	v_cmpx_ne_u16_e32 0, v7
	s_cbranch_execz .LBB216_2516
; %bb.2509:                             ;   in Loop: Header=BB216_2083 Depth=1
	v_bfrev_b32_e32 v23, 1
	v_mov_b32_e32 v24, 0
	s_mov_b32 s21, exec_lo
	v_cmpx_ne_u16_e32 0x80, v7
	s_cbranch_execz .LBB216_2515
; %bb.2510:                             ;   in Loop: Header=BB216_2083 Depth=1
	v_mov_b32_e32 v23, 0x7f800001
	v_bfe_u32 v13, v6, 16, 7
	v_mov_b32_e32 v24, 0
	s_mov_b32 s22, exec_lo
	v_cmpx_ne_u32_e32 0x7f, v13
	s_cbranch_execz .LBB216_2514
; %bb.2511:                             ;   in Loop: Header=BB216_2083 Depth=1
	v_and_b32_sdwa v8, v6, v77 dst_sel:DWORD dst_unused:UNUSED_PAD src0_sel:WORD_1 src1_sel:DWORD
	v_lshrrev_b32_e32 v7, 3, v13
	s_mov_b32 s23, exec_lo
	v_cmpx_gt_u32_e32 8, v13
; %bb.2512:                             ;   in Loop: Header=BB216_2083 Depth=1
	v_ffbh_u32_e32 v7, v8
	v_min_u32_e32 v7, 32, v7
	v_subrev_nc_u32_e32 v13, 28, v7
	v_sub_nc_u32_e32 v7, 29, v7
	v_lshlrev_b64 v[23:24], v13, v[8:9]
	v_and_b32_e32 v8, 7, v23
; %bb.2513:                             ;   in Loop: Header=BB216_2083 Depth=1
	s_or_b32 exec_lo, exec_lo, s23
	v_lshlrev_b32_sdwa v13, v78, v6 dst_sel:DWORD dst_unused:UNUSED_PAD src0_sel:DWORD src1_sel:WORD_1
	v_lshlrev_b32_e32 v8, 20, v8
	v_lshl_add_u32 v7, v7, 23, 0x3c000000
	v_and_b32_e32 v13, 0x80000000, v13
	v_or3_b32 v8, v8, v13, v7
	v_mov_b32_e32 v24, v9
	v_mov_b32_e32 v23, v8
.LBB216_2514:                           ;   in Loop: Header=BB216_2083 Depth=1
	s_or_b32 exec_lo, exec_lo, s22
.LBB216_2515:                           ;   in Loop: Header=BB216_2083 Depth=1
	s_or_b32 exec_lo, exec_lo, s21
.LBB216_2516:                           ;   in Loop: Header=BB216_2083 Depth=1
	s_or_b32 exec_lo, exec_lo, s20
	s_mov_b32 s20, exec_lo
	v_cmpx_lt_u32_e32 0xffffff, v6
	s_cbranch_execz .LBB216_2524
; %bb.2517:                             ;   in Loop: Header=BB216_2083 Depth=1
	v_mov_b32_e32 v11, v9
	v_cmp_ne_u32_sdwa s8, v6, v74 src0_sel:BYTE_3 src1_sel:DWORD
	v_mov_b32_e32 v10, v11
	v_mov_b32_e32 v11, v12
	s_and_saveexec_b32 s21, s8
	s_cbranch_execz .LBB216_2523
; %bb.2518:                             ;   in Loop: Header=BB216_2083 Depth=1
	v_mov_b32_e32 v13, v9
	v_bfe_u32 v25, v6, 24, 7
	s_mov_b32 s22, exec_lo
	v_mov_b32_e32 v10, v13
	v_mov_b32_e32 v11, v14
	v_cmpx_ne_u32_e32 0x7f, v25
	s_cbranch_execz .LBB216_2522
; %bb.2519:                             ;   in Loop: Header=BB216_2083 Depth=1
	v_and_b32_sdwa v8, v6, v77 dst_sel:DWORD dst_unused:UNUSED_PAD src0_sel:BYTE_3 src1_sel:DWORD
	v_lshrrev_b32_e32 v7, 3, v25
	s_mov_b32 s23, exec_lo
	v_cmpx_gt_u32_e32 8, v25
; %bb.2520:                             ;   in Loop: Header=BB216_2083 Depth=1
	v_ffbh_u32_e32 v7, v8
	v_min_u32_e32 v7, 32, v7
	v_subrev_nc_u32_e32 v10, 28, v7
	v_sub_nc_u32_e32 v7, 29, v7
	v_lshlrev_b64 v[10:11], v10, v[8:9]
	v_and_b32_e32 v8, 7, v10
; %bb.2521:                             ;   in Loop: Header=BB216_2083 Depth=1
	s_or_b32 exec_lo, exec_lo, s23
	v_lshlrev_b32_sdwa v6, v78, v6 dst_sel:DWORD dst_unused:UNUSED_PAD src0_sel:DWORD src1_sel:BYTE_3
	v_lshlrev_b32_e32 v8, 20, v8
	v_lshl_add_u32 v7, v7, 23, 0x3c000000
	v_mov_b32_e32 v10, v9
	v_and_b32_e32 v6, 0x80000000, v6
	v_or3_b32 v11, v8, v6, v7
.LBB216_2522:                           ;   in Loop: Header=BB216_2083 Depth=1
	s_or_b32 exec_lo, exec_lo, s22
.LBB216_2523:                           ;   in Loop: Header=BB216_2083 Depth=1
	s_or_b32 exec_lo, exec_lo, s21
.LBB216_2524:                           ;   in Loop: Header=BB216_2083 Depth=1
	s_or_b32 exec_lo, exec_lo, s20
	v_or_b32_e32 v6, v22, v20
	v_or_b32_e32 v7, v21, v19
	;; [unrolled: 1-line block ×4, first 2 shown]
	v_mul_f32_e32 v6, v106, v6
	buffer_store_dword v6, off, s[0:3], s32 offset:628 ; 4-byte Folded Spill
	v_mul_f32_e32 v6, v106, v7
	buffer_store_dword v6, off, s[0:3], s32 offset:620 ; 4-byte Folded Spill
	v_mul_f32_e32 v6, v106, v8
	buffer_store_dword v6, off, s[0:3], s32 offset:612 ; 4-byte Folded Spill
	v_mul_f32_e32 v6, v106, v10
	buffer_store_dword v6, off, s[0:3], s32 offset:604 ; 4-byte Folded Spill
	s_and_saveexec_b32 s8, s7
	s_cbranch_execz .LBB216_2526
; %bb.2525:                             ;   in Loop: Header=BB216_2083 Depth=1
	buffer_load_dword v6, off, s[0:3], s32 offset:620 ; 4-byte Folded Reload
	s_waitcnt vmcnt(0)
	v_cndmask_b32_e32 v6, 0, v6, vcc_lo
	buffer_store_dword v6, off, s[0:3], s32 offset:620 ; 4-byte Folded Spill
	buffer_load_dword v6, off, s[0:3], s32 offset:628 ; 4-byte Folded Reload
	s_waitcnt vmcnt(0)
	v_cndmask_b32_e64 v6, 0, v6, s4
	buffer_store_dword v6, off, s[0:3], s32 offset:628 ; 4-byte Folded Spill
	buffer_load_dword v6, off, s[0:3], s32 offset:612 ; 4-byte Folded Reload
	s_waitcnt vmcnt(0)
	v_cndmask_b32_e64 v6, 0, v6, s5
	;; [unrolled: 4-line block ×3, first 2 shown]
	buffer_store_dword v6, off, s[0:3], s32 offset:604 ; 4-byte Folded Spill
.LBB216_2526:                           ;   in Loop: Header=BB216_2083 Depth=1
	s_or_b32 exec_lo, exec_lo, s8
	flat_load_dword v6, v[0:1] offset:1664
	v_mov_b32_e32 v21, 0
	v_mov_b32_e32 v19, 0
	;; [unrolled: 1-line block ×4, first 2 shown]
	s_waitcnt vmcnt(0) lgkmcnt(0)
	v_cmp_ne_u16_sdwa s8, v6, v9 src0_sel:BYTE_0 src1_sel:DWORD
	s_and_saveexec_b32 s20, s8
	s_cbranch_execz .LBB216_2534
; %bb.2527:                             ;   in Loop: Header=BB216_2083 Depth=1
	v_bfrev_b32_e32 v19, 1
	v_mov_b32_e32 v20, 0
	v_cmp_ne_u16_sdwa s8, v6, v74 src0_sel:BYTE_0 src1_sel:DWORD
	s_and_saveexec_b32 s21, s8
	s_cbranch_execz .LBB216_2533
; %bb.2528:                             ;   in Loop: Header=BB216_2083 Depth=1
	v_mov_b32_e32 v19, 0x7f800001
	v_and_b32_e32 v10, 0x7f, v6
	v_mov_b32_e32 v20, 0
	s_mov_b32 s22, exec_lo
	v_cmpx_ne_u32_e32 0x7f, v10
	s_cbranch_execz .LBB216_2532
; %bb.2529:                             ;   in Loop: Header=BB216_2083 Depth=1
	v_and_b32_e32 v8, 7, v6
	v_lshrrev_b32_e32 v7, 3, v10
	s_mov_b32 s23, exec_lo
	v_cmpx_gt_u32_e32 8, v10
; %bb.2530:                             ;   in Loop: Header=BB216_2083 Depth=1
	v_ffbh_u32_e32 v7, v8
	v_min_u32_e32 v7, 32, v7
	v_subrev_nc_u32_e32 v10, 28, v7
	v_sub_nc_u32_e32 v7, 29, v7
	v_lshlrev_b64 v[10:11], v10, v[8:9]
	v_and_b32_e32 v8, 7, v10
; %bb.2531:                             ;   in Loop: Header=BB216_2083 Depth=1
	s_or_b32 exec_lo, exec_lo, s23
	v_lshlrev_b32_e32 v10, 24, v6
	v_lshlrev_b32_e32 v8, 20, v8
	v_lshl_add_u32 v7, v7, 23, 0x3c000000
	v_and_b32_e32 v10, 0x80000000, v10
	v_or3_b32 v8, v8, v10, v7
	v_mov_b32_e32 v20, v9
	v_mov_b32_e32 v19, v8
.LBB216_2532:                           ;   in Loop: Header=BB216_2083 Depth=1
	s_or_b32 exec_lo, exec_lo, s22
.LBB216_2533:                           ;   in Loop: Header=BB216_2083 Depth=1
	s_or_b32 exec_lo, exec_lo, s21
.LBB216_2534:                           ;   in Loop: Header=BB216_2083 Depth=1
	s_or_b32 exec_lo, exec_lo, s20
	v_cmp_ne_u16_sdwa s8, v6, v9 src0_sel:BYTE_1 src1_sel:DWORD
	s_and_saveexec_b32 s20, s8
	s_cbranch_execz .LBB216_2542
; %bb.2535:                             ;   in Loop: Header=BB216_2083 Depth=1
	v_mov_b32_e32 v11, v9
	v_mov_b32_e32 v22, v12
	v_cmp_ne_u16_sdwa s8, v6, v74 src0_sel:BYTE_1 src1_sel:DWORD
	v_mov_b32_e32 v21, v11
	s_and_saveexec_b32 s21, s8
	s_cbranch_execz .LBB216_2541
; %bb.2536:                             ;   in Loop: Header=BB216_2083 Depth=1
	v_and_b32_sdwa v7, v75, v6 dst_sel:DWORD dst_unused:UNUSED_PAD src0_sel:DWORD src1_sel:BYTE_1
	v_mov_b32_e32 v13, v9
	v_mov_b32_e32 v22, v14
	s_mov_b32 s22, exec_lo
	v_and_b32_e32 v10, 0x7f, v7
	v_mov_b32_e32 v21, v13
	v_cmpx_ne_u32_e32 0x7f, v10
	s_cbranch_execz .LBB216_2540
; %bb.2537:                             ;   in Loop: Header=BB216_2083 Depth=1
	v_and_b32_e32 v8, 7, v7
	v_lshrrev_b32_e32 v7, 3, v10
	s_mov_b32 s23, exec_lo
	v_cmpx_gt_u32_e32 8, v10
; %bb.2538:                             ;   in Loop: Header=BB216_2083 Depth=1
	v_ffbh_u32_e32 v7, v8
	v_min_u32_e32 v7, 32, v7
	v_subrev_nc_u32_e32 v10, 28, v7
	v_sub_nc_u32_e32 v7, 29, v7
	v_lshlrev_b64 v[10:11], v10, v[8:9]
	v_and_b32_e32 v8, 7, v10
; %bb.2539:                             ;   in Loop: Header=BB216_2083 Depth=1
	s_or_b32 exec_lo, exec_lo, s23
	v_lshlrev_b32_e32 v10, 16, v6
	v_lshlrev_b32_e32 v8, 20, v8
	v_lshl_add_u32 v7, v7, 23, 0x3c000000
	v_mov_b32_e32 v21, v9
	v_and_b32_e32 v10, 0x80000000, v10
	v_or3_b32 v22, v8, v10, v7
.LBB216_2540:                           ;   in Loop: Header=BB216_2083 Depth=1
	s_or_b32 exec_lo, exec_lo, s22
.LBB216_2541:                           ;   in Loop: Header=BB216_2083 Depth=1
	s_or_b32 exec_lo, exec_lo, s21
.LBB216_2542:                           ;   in Loop: Header=BB216_2083 Depth=1
	s_or_b32 exec_lo, exec_lo, s20
	v_mov_b32_e32 v10, 0
	v_mov_b32_e32 v23, 0
	v_and_b32_sdwa v7, v6, v76 dst_sel:DWORD dst_unused:UNUSED_PAD src0_sel:WORD_1 src1_sel:DWORD
	v_mov_b32_e32 v11, 0
	v_mov_b32_e32 v24, 0
	s_mov_b32 s20, exec_lo
	v_cmpx_ne_u16_e32 0, v7
	s_cbranch_execz .LBB216_2550
; %bb.2543:                             ;   in Loop: Header=BB216_2083 Depth=1
	v_bfrev_b32_e32 v23, 1
	v_mov_b32_e32 v24, 0
	s_mov_b32 s21, exec_lo
	v_cmpx_ne_u16_e32 0x80, v7
	s_cbranch_execz .LBB216_2549
; %bb.2544:                             ;   in Loop: Header=BB216_2083 Depth=1
	v_mov_b32_e32 v23, 0x7f800001
	v_bfe_u32 v13, v6, 16, 7
	v_mov_b32_e32 v24, 0
	s_mov_b32 s22, exec_lo
	v_cmpx_ne_u32_e32 0x7f, v13
	s_cbranch_execz .LBB216_2548
; %bb.2545:                             ;   in Loop: Header=BB216_2083 Depth=1
	v_and_b32_sdwa v8, v6, v77 dst_sel:DWORD dst_unused:UNUSED_PAD src0_sel:WORD_1 src1_sel:DWORD
	v_lshrrev_b32_e32 v7, 3, v13
	s_mov_b32 s23, exec_lo
	v_cmpx_gt_u32_e32 8, v13
; %bb.2546:                             ;   in Loop: Header=BB216_2083 Depth=1
	v_ffbh_u32_e32 v7, v8
	v_min_u32_e32 v7, 32, v7
	v_subrev_nc_u32_e32 v13, 28, v7
	v_sub_nc_u32_e32 v7, 29, v7
	v_lshlrev_b64 v[23:24], v13, v[8:9]
	v_and_b32_e32 v8, 7, v23
; %bb.2547:                             ;   in Loop: Header=BB216_2083 Depth=1
	s_or_b32 exec_lo, exec_lo, s23
	v_lshlrev_b32_sdwa v13, v78, v6 dst_sel:DWORD dst_unused:UNUSED_PAD src0_sel:DWORD src1_sel:WORD_1
	v_lshlrev_b32_e32 v8, 20, v8
	v_lshl_add_u32 v7, v7, 23, 0x3c000000
	v_and_b32_e32 v13, 0x80000000, v13
	v_or3_b32 v8, v8, v13, v7
	v_mov_b32_e32 v24, v9
	v_mov_b32_e32 v23, v8
.LBB216_2548:                           ;   in Loop: Header=BB216_2083 Depth=1
	s_or_b32 exec_lo, exec_lo, s22
.LBB216_2549:                           ;   in Loop: Header=BB216_2083 Depth=1
	s_or_b32 exec_lo, exec_lo, s21
.LBB216_2550:                           ;   in Loop: Header=BB216_2083 Depth=1
	s_or_b32 exec_lo, exec_lo, s20
	s_mov_b32 s20, exec_lo
	v_cmpx_lt_u32_e32 0xffffff, v6
	s_cbranch_execz .LBB216_2558
; %bb.2551:                             ;   in Loop: Header=BB216_2083 Depth=1
	v_mov_b32_e32 v11, v9
	v_cmp_ne_u32_sdwa s8, v6, v74 src0_sel:BYTE_3 src1_sel:DWORD
	v_mov_b32_e32 v10, v11
	v_mov_b32_e32 v11, v12
	s_and_saveexec_b32 s21, s8
	s_cbranch_execz .LBB216_2557
; %bb.2552:                             ;   in Loop: Header=BB216_2083 Depth=1
	v_mov_b32_e32 v13, v9
	v_bfe_u32 v25, v6, 24, 7
	s_mov_b32 s22, exec_lo
	v_mov_b32_e32 v10, v13
	v_mov_b32_e32 v11, v14
	v_cmpx_ne_u32_e32 0x7f, v25
	s_cbranch_execz .LBB216_2556
; %bb.2553:                             ;   in Loop: Header=BB216_2083 Depth=1
	v_and_b32_sdwa v8, v6, v77 dst_sel:DWORD dst_unused:UNUSED_PAD src0_sel:BYTE_3 src1_sel:DWORD
	v_lshrrev_b32_e32 v7, 3, v25
	s_mov_b32 s23, exec_lo
	v_cmpx_gt_u32_e32 8, v25
; %bb.2554:                             ;   in Loop: Header=BB216_2083 Depth=1
	v_ffbh_u32_e32 v7, v8
	v_min_u32_e32 v7, 32, v7
	v_subrev_nc_u32_e32 v10, 28, v7
	v_sub_nc_u32_e32 v7, 29, v7
	v_lshlrev_b64 v[10:11], v10, v[8:9]
	v_and_b32_e32 v8, 7, v10
; %bb.2555:                             ;   in Loop: Header=BB216_2083 Depth=1
	s_or_b32 exec_lo, exec_lo, s23
	v_lshlrev_b32_sdwa v6, v78, v6 dst_sel:DWORD dst_unused:UNUSED_PAD src0_sel:DWORD src1_sel:BYTE_3
	v_lshlrev_b32_e32 v8, 20, v8
	v_lshl_add_u32 v7, v7, 23, 0x3c000000
	v_mov_b32_e32 v10, v9
	v_and_b32_e32 v6, 0x80000000, v6
	v_or3_b32 v11, v8, v6, v7
.LBB216_2556:                           ;   in Loop: Header=BB216_2083 Depth=1
	s_or_b32 exec_lo, exec_lo, s22
.LBB216_2557:                           ;   in Loop: Header=BB216_2083 Depth=1
	s_or_b32 exec_lo, exec_lo, s21
.LBB216_2558:                           ;   in Loop: Header=BB216_2083 Depth=1
	s_or_b32 exec_lo, exec_lo, s20
	v_or_b32_e32 v6, v22, v20
	v_or_b32_e32 v7, v21, v19
	;; [unrolled: 1-line block ×4, first 2 shown]
	v_mul_f32_e32 v6, v106, v6
	buffer_store_dword v6, off, s[0:3], s32 offset:660 ; 4-byte Folded Spill
	v_mul_f32_e32 v6, v106, v7
	buffer_store_dword v6, off, s[0:3], s32 offset:652 ; 4-byte Folded Spill
	;; [unrolled: 2-line block ×4, first 2 shown]
	s_and_saveexec_b32 s8, s7
	s_cbranch_execz .LBB216_2560
; %bb.2559:                             ;   in Loop: Header=BB216_2083 Depth=1
	buffer_load_dword v6, off, s[0:3], s32 offset:652 ; 4-byte Folded Reload
	s_waitcnt vmcnt(0)
	v_cndmask_b32_e32 v6, 0, v6, vcc_lo
	buffer_store_dword v6, off, s[0:3], s32 offset:652 ; 4-byte Folded Spill
	buffer_load_dword v6, off, s[0:3], s32 offset:660 ; 4-byte Folded Reload
	s_waitcnt vmcnt(0)
	v_cndmask_b32_e64 v6, 0, v6, s4
	buffer_store_dword v6, off, s[0:3], s32 offset:660 ; 4-byte Folded Spill
	buffer_load_dword v6, off, s[0:3], s32 offset:644 ; 4-byte Folded Reload
	s_waitcnt vmcnt(0)
	v_cndmask_b32_e64 v6, 0, v6, s5
	buffer_store_dword v6, off, s[0:3], s32 offset:644 ; 4-byte Folded Spill
	buffer_load_dword v6, off, s[0:3], s32 offset:636 ; 4-byte Folded Reload
	s_waitcnt vmcnt(0)
	v_cndmask_b32_e64 v6, 0, v6, s6
	buffer_store_dword v6, off, s[0:3], s32 offset:636 ; 4-byte Folded Spill
.LBB216_2560:                           ;   in Loop: Header=BB216_2083 Depth=1
	s_or_b32 exec_lo, exec_lo, s8
	flat_load_dword v6, v[0:1] offset:1792
	v_mov_b32_e32 v21, 0
	v_mov_b32_e32 v19, 0
	v_mov_b32_e32 v22, 0
	v_mov_b32_e32 v20, 0
	s_waitcnt vmcnt(0) lgkmcnt(0)
	v_cmp_ne_u16_sdwa s8, v6, v9 src0_sel:BYTE_0 src1_sel:DWORD
	s_and_saveexec_b32 s20, s8
	s_cbranch_execz .LBB216_2568
; %bb.2561:                             ;   in Loop: Header=BB216_2083 Depth=1
	v_bfrev_b32_e32 v19, 1
	v_mov_b32_e32 v20, 0
	v_cmp_ne_u16_sdwa s8, v6, v74 src0_sel:BYTE_0 src1_sel:DWORD
	s_and_saveexec_b32 s21, s8
	s_cbranch_execz .LBB216_2567
; %bb.2562:                             ;   in Loop: Header=BB216_2083 Depth=1
	v_mov_b32_e32 v19, 0x7f800001
	v_and_b32_e32 v10, 0x7f, v6
	v_mov_b32_e32 v20, 0
	s_mov_b32 s22, exec_lo
	v_cmpx_ne_u32_e32 0x7f, v10
	s_cbranch_execz .LBB216_2566
; %bb.2563:                             ;   in Loop: Header=BB216_2083 Depth=1
	v_and_b32_e32 v8, 7, v6
	v_lshrrev_b32_e32 v7, 3, v10
	s_mov_b32 s23, exec_lo
	v_cmpx_gt_u32_e32 8, v10
; %bb.2564:                             ;   in Loop: Header=BB216_2083 Depth=1
	v_ffbh_u32_e32 v7, v8
	v_min_u32_e32 v7, 32, v7
	v_subrev_nc_u32_e32 v10, 28, v7
	v_sub_nc_u32_e32 v7, 29, v7
	v_lshlrev_b64 v[10:11], v10, v[8:9]
	v_and_b32_e32 v8, 7, v10
; %bb.2565:                             ;   in Loop: Header=BB216_2083 Depth=1
	s_or_b32 exec_lo, exec_lo, s23
	v_lshlrev_b32_e32 v10, 24, v6
	v_lshlrev_b32_e32 v8, 20, v8
	v_lshl_add_u32 v7, v7, 23, 0x3c000000
	v_and_b32_e32 v10, 0x80000000, v10
	v_or3_b32 v8, v8, v10, v7
	v_mov_b32_e32 v20, v9
	v_mov_b32_e32 v19, v8
.LBB216_2566:                           ;   in Loop: Header=BB216_2083 Depth=1
	s_or_b32 exec_lo, exec_lo, s22
.LBB216_2567:                           ;   in Loop: Header=BB216_2083 Depth=1
	s_or_b32 exec_lo, exec_lo, s21
.LBB216_2568:                           ;   in Loop: Header=BB216_2083 Depth=1
	s_or_b32 exec_lo, exec_lo, s20
	v_cmp_ne_u16_sdwa s8, v6, v9 src0_sel:BYTE_1 src1_sel:DWORD
	s_and_saveexec_b32 s20, s8
	s_cbranch_execz .LBB216_2576
; %bb.2569:                             ;   in Loop: Header=BB216_2083 Depth=1
	v_mov_b32_e32 v11, v9
	v_mov_b32_e32 v22, v12
	v_cmp_ne_u16_sdwa s8, v6, v74 src0_sel:BYTE_1 src1_sel:DWORD
	v_mov_b32_e32 v21, v11
	s_and_saveexec_b32 s21, s8
	s_cbranch_execz .LBB216_2575
; %bb.2570:                             ;   in Loop: Header=BB216_2083 Depth=1
	v_and_b32_sdwa v7, v75, v6 dst_sel:DWORD dst_unused:UNUSED_PAD src0_sel:DWORD src1_sel:BYTE_1
	v_mov_b32_e32 v13, v9
	v_mov_b32_e32 v22, v14
	s_mov_b32 s22, exec_lo
	v_and_b32_e32 v10, 0x7f, v7
	v_mov_b32_e32 v21, v13
	v_cmpx_ne_u32_e32 0x7f, v10
	s_cbranch_execz .LBB216_2574
; %bb.2571:                             ;   in Loop: Header=BB216_2083 Depth=1
	v_and_b32_e32 v8, 7, v7
	v_lshrrev_b32_e32 v7, 3, v10
	s_mov_b32 s23, exec_lo
	v_cmpx_gt_u32_e32 8, v10
; %bb.2572:                             ;   in Loop: Header=BB216_2083 Depth=1
	v_ffbh_u32_e32 v7, v8
	v_min_u32_e32 v7, 32, v7
	v_subrev_nc_u32_e32 v10, 28, v7
	v_sub_nc_u32_e32 v7, 29, v7
	v_lshlrev_b64 v[10:11], v10, v[8:9]
	v_and_b32_e32 v8, 7, v10
; %bb.2573:                             ;   in Loop: Header=BB216_2083 Depth=1
	s_or_b32 exec_lo, exec_lo, s23
	v_lshlrev_b32_e32 v10, 16, v6
	v_lshlrev_b32_e32 v8, 20, v8
	v_lshl_add_u32 v7, v7, 23, 0x3c000000
	v_mov_b32_e32 v21, v9
	v_and_b32_e32 v10, 0x80000000, v10
	v_or3_b32 v22, v8, v10, v7
.LBB216_2574:                           ;   in Loop: Header=BB216_2083 Depth=1
	s_or_b32 exec_lo, exec_lo, s22
.LBB216_2575:                           ;   in Loop: Header=BB216_2083 Depth=1
	s_or_b32 exec_lo, exec_lo, s21
.LBB216_2576:                           ;   in Loop: Header=BB216_2083 Depth=1
	s_or_b32 exec_lo, exec_lo, s20
	v_mov_b32_e32 v10, 0
	v_mov_b32_e32 v23, 0
	v_and_b32_sdwa v7, v6, v76 dst_sel:DWORD dst_unused:UNUSED_PAD src0_sel:WORD_1 src1_sel:DWORD
	v_mov_b32_e32 v11, 0
	v_mov_b32_e32 v24, 0
	s_mov_b32 s20, exec_lo
	v_cmpx_ne_u16_e32 0, v7
	s_cbranch_execz .LBB216_2584
; %bb.2577:                             ;   in Loop: Header=BB216_2083 Depth=1
	v_bfrev_b32_e32 v23, 1
	v_mov_b32_e32 v24, 0
	s_mov_b32 s21, exec_lo
	v_cmpx_ne_u16_e32 0x80, v7
	s_cbranch_execz .LBB216_2583
; %bb.2578:                             ;   in Loop: Header=BB216_2083 Depth=1
	v_mov_b32_e32 v23, 0x7f800001
	v_bfe_u32 v13, v6, 16, 7
	v_mov_b32_e32 v24, 0
	s_mov_b32 s22, exec_lo
	v_cmpx_ne_u32_e32 0x7f, v13
	s_cbranch_execz .LBB216_2582
; %bb.2579:                             ;   in Loop: Header=BB216_2083 Depth=1
	v_and_b32_sdwa v8, v6, v77 dst_sel:DWORD dst_unused:UNUSED_PAD src0_sel:WORD_1 src1_sel:DWORD
	v_lshrrev_b32_e32 v7, 3, v13
	s_mov_b32 s23, exec_lo
	v_cmpx_gt_u32_e32 8, v13
; %bb.2580:                             ;   in Loop: Header=BB216_2083 Depth=1
	v_ffbh_u32_e32 v7, v8
	v_min_u32_e32 v7, 32, v7
	v_subrev_nc_u32_e32 v13, 28, v7
	v_sub_nc_u32_e32 v7, 29, v7
	v_lshlrev_b64 v[23:24], v13, v[8:9]
	v_and_b32_e32 v8, 7, v23
; %bb.2581:                             ;   in Loop: Header=BB216_2083 Depth=1
	s_or_b32 exec_lo, exec_lo, s23
	v_lshlrev_b32_sdwa v13, v78, v6 dst_sel:DWORD dst_unused:UNUSED_PAD src0_sel:DWORD src1_sel:WORD_1
	v_lshlrev_b32_e32 v8, 20, v8
	v_lshl_add_u32 v7, v7, 23, 0x3c000000
	v_and_b32_e32 v13, 0x80000000, v13
	v_or3_b32 v8, v8, v13, v7
	v_mov_b32_e32 v24, v9
	v_mov_b32_e32 v23, v8
.LBB216_2582:                           ;   in Loop: Header=BB216_2083 Depth=1
	s_or_b32 exec_lo, exec_lo, s22
.LBB216_2583:                           ;   in Loop: Header=BB216_2083 Depth=1
	s_or_b32 exec_lo, exec_lo, s21
.LBB216_2584:                           ;   in Loop: Header=BB216_2083 Depth=1
	s_or_b32 exec_lo, exec_lo, s20
	s_mov_b32 s20, exec_lo
	v_cmpx_lt_u32_e32 0xffffff, v6
	s_cbranch_execz .LBB216_2592
; %bb.2585:                             ;   in Loop: Header=BB216_2083 Depth=1
	v_mov_b32_e32 v11, v9
	v_cmp_ne_u32_sdwa s8, v6, v74 src0_sel:BYTE_3 src1_sel:DWORD
	v_mov_b32_e32 v10, v11
	v_mov_b32_e32 v11, v12
	s_and_saveexec_b32 s21, s8
	s_cbranch_execz .LBB216_2591
; %bb.2586:                             ;   in Loop: Header=BB216_2083 Depth=1
	v_mov_b32_e32 v13, v9
	v_bfe_u32 v25, v6, 24, 7
	s_mov_b32 s22, exec_lo
	v_mov_b32_e32 v10, v13
	v_mov_b32_e32 v11, v14
	v_cmpx_ne_u32_e32 0x7f, v25
	s_cbranch_execz .LBB216_2590
; %bb.2587:                             ;   in Loop: Header=BB216_2083 Depth=1
	v_and_b32_sdwa v8, v6, v77 dst_sel:DWORD dst_unused:UNUSED_PAD src0_sel:BYTE_3 src1_sel:DWORD
	v_lshrrev_b32_e32 v7, 3, v25
	s_mov_b32 s23, exec_lo
	v_cmpx_gt_u32_e32 8, v25
; %bb.2588:                             ;   in Loop: Header=BB216_2083 Depth=1
	v_ffbh_u32_e32 v7, v8
	v_min_u32_e32 v7, 32, v7
	v_subrev_nc_u32_e32 v10, 28, v7
	v_sub_nc_u32_e32 v7, 29, v7
	v_lshlrev_b64 v[10:11], v10, v[8:9]
	v_and_b32_e32 v8, 7, v10
; %bb.2589:                             ;   in Loop: Header=BB216_2083 Depth=1
	s_or_b32 exec_lo, exec_lo, s23
	v_lshlrev_b32_sdwa v6, v78, v6 dst_sel:DWORD dst_unused:UNUSED_PAD src0_sel:DWORD src1_sel:BYTE_3
	v_lshlrev_b32_e32 v8, 20, v8
	v_lshl_add_u32 v7, v7, 23, 0x3c000000
	v_mov_b32_e32 v10, v9
	v_and_b32_e32 v6, 0x80000000, v6
	v_or3_b32 v11, v8, v6, v7
.LBB216_2590:                           ;   in Loop: Header=BB216_2083 Depth=1
	s_or_b32 exec_lo, exec_lo, s22
.LBB216_2591:                           ;   in Loop: Header=BB216_2083 Depth=1
	s_or_b32 exec_lo, exec_lo, s21
.LBB216_2592:                           ;   in Loop: Header=BB216_2083 Depth=1
	s_or_b32 exec_lo, exec_lo, s20
	v_or_b32_e32 v6, v22, v20
	v_or_b32_e32 v7, v21, v19
	;; [unrolled: 1-line block ×4, first 2 shown]
	v_mul_f32_e32 v6, v106, v6
	buffer_store_dword v6, off, s[0:3], s32 offset:692 ; 4-byte Folded Spill
	v_mul_f32_e32 v6, v106, v7
	buffer_store_dword v6, off, s[0:3], s32 offset:684 ; 4-byte Folded Spill
	;; [unrolled: 2-line block ×4, first 2 shown]
	s_and_saveexec_b32 s8, s7
	s_cbranch_execz .LBB216_2594
; %bb.2593:                             ;   in Loop: Header=BB216_2083 Depth=1
	buffer_load_dword v6, off, s[0:3], s32 offset:684 ; 4-byte Folded Reload
	s_waitcnt vmcnt(0)
	v_cndmask_b32_e32 v6, 0, v6, vcc_lo
	buffer_store_dword v6, off, s[0:3], s32 offset:684 ; 4-byte Folded Spill
	buffer_load_dword v6, off, s[0:3], s32 offset:692 ; 4-byte Folded Reload
	s_waitcnt vmcnt(0)
	v_cndmask_b32_e64 v6, 0, v6, s4
	buffer_store_dword v6, off, s[0:3], s32 offset:692 ; 4-byte Folded Spill
	buffer_load_dword v6, off, s[0:3], s32 offset:676 ; 4-byte Folded Reload
	s_waitcnt vmcnt(0)
	v_cndmask_b32_e64 v6, 0, v6, s5
	buffer_store_dword v6, off, s[0:3], s32 offset:676 ; 4-byte Folded Spill
	buffer_load_dword v6, off, s[0:3], s32 offset:668 ; 4-byte Folded Reload
	s_waitcnt vmcnt(0)
	v_cndmask_b32_e64 v6, 0, v6, s6
	buffer_store_dword v6, off, s[0:3], s32 offset:668 ; 4-byte Folded Spill
.LBB216_2594:                           ;   in Loop: Header=BB216_2083 Depth=1
	s_or_b32 exec_lo, exec_lo, s8
	flat_load_dword v6, v[0:1] offset:1920
	v_mov_b32_e32 v21, 0
	v_mov_b32_e32 v19, 0
	;; [unrolled: 1-line block ×4, first 2 shown]
	s_waitcnt vmcnt(0) lgkmcnt(0)
	v_cmp_ne_u16_sdwa s8, v6, v9 src0_sel:BYTE_0 src1_sel:DWORD
	s_and_saveexec_b32 s20, s8
	s_cbranch_execz .LBB216_2602
; %bb.2595:                             ;   in Loop: Header=BB216_2083 Depth=1
	v_bfrev_b32_e32 v19, 1
	v_mov_b32_e32 v20, 0
	v_cmp_ne_u16_sdwa s8, v6, v74 src0_sel:BYTE_0 src1_sel:DWORD
	s_and_saveexec_b32 s21, s8
	s_cbranch_execz .LBB216_2601
; %bb.2596:                             ;   in Loop: Header=BB216_2083 Depth=1
	v_mov_b32_e32 v19, 0x7f800001
	v_and_b32_e32 v10, 0x7f, v6
	v_mov_b32_e32 v20, 0
	s_mov_b32 s22, exec_lo
	v_cmpx_ne_u32_e32 0x7f, v10
	s_cbranch_execz .LBB216_2600
; %bb.2597:                             ;   in Loop: Header=BB216_2083 Depth=1
	v_and_b32_e32 v8, 7, v6
	v_lshrrev_b32_e32 v7, 3, v10
	s_mov_b32 s23, exec_lo
	v_cmpx_gt_u32_e32 8, v10
; %bb.2598:                             ;   in Loop: Header=BB216_2083 Depth=1
	v_ffbh_u32_e32 v7, v8
	v_min_u32_e32 v7, 32, v7
	v_subrev_nc_u32_e32 v10, 28, v7
	v_sub_nc_u32_e32 v7, 29, v7
	v_lshlrev_b64 v[10:11], v10, v[8:9]
	v_and_b32_e32 v8, 7, v10
; %bb.2599:                             ;   in Loop: Header=BB216_2083 Depth=1
	s_or_b32 exec_lo, exec_lo, s23
	v_lshlrev_b32_e32 v10, 24, v6
	v_lshlrev_b32_e32 v8, 20, v8
	v_lshl_add_u32 v7, v7, 23, 0x3c000000
	v_and_b32_e32 v10, 0x80000000, v10
	v_or3_b32 v8, v8, v10, v7
	v_mov_b32_e32 v20, v9
	v_mov_b32_e32 v19, v8
.LBB216_2600:                           ;   in Loop: Header=BB216_2083 Depth=1
	s_or_b32 exec_lo, exec_lo, s22
.LBB216_2601:                           ;   in Loop: Header=BB216_2083 Depth=1
	s_or_b32 exec_lo, exec_lo, s21
.LBB216_2602:                           ;   in Loop: Header=BB216_2083 Depth=1
	s_or_b32 exec_lo, exec_lo, s20
	v_cmp_ne_u16_sdwa s8, v6, v9 src0_sel:BYTE_1 src1_sel:DWORD
	s_and_saveexec_b32 s20, s8
	s_cbranch_execz .LBB216_2610
; %bb.2603:                             ;   in Loop: Header=BB216_2083 Depth=1
	v_mov_b32_e32 v11, v9
	v_mov_b32_e32 v22, v12
	v_cmp_ne_u16_sdwa s8, v6, v74 src0_sel:BYTE_1 src1_sel:DWORD
	v_mov_b32_e32 v21, v11
	s_and_saveexec_b32 s21, s8
	s_cbranch_execz .LBB216_2609
; %bb.2604:                             ;   in Loop: Header=BB216_2083 Depth=1
	v_and_b32_sdwa v7, v75, v6 dst_sel:DWORD dst_unused:UNUSED_PAD src0_sel:DWORD src1_sel:BYTE_1
	v_mov_b32_e32 v13, v9
	v_mov_b32_e32 v22, v14
	s_mov_b32 s22, exec_lo
	v_and_b32_e32 v10, 0x7f, v7
	v_mov_b32_e32 v21, v13
	v_cmpx_ne_u32_e32 0x7f, v10
	s_cbranch_execz .LBB216_2608
; %bb.2605:                             ;   in Loop: Header=BB216_2083 Depth=1
	v_and_b32_e32 v8, 7, v7
	v_lshrrev_b32_e32 v7, 3, v10
	s_mov_b32 s23, exec_lo
	v_cmpx_gt_u32_e32 8, v10
; %bb.2606:                             ;   in Loop: Header=BB216_2083 Depth=1
	v_ffbh_u32_e32 v7, v8
	v_min_u32_e32 v7, 32, v7
	v_subrev_nc_u32_e32 v10, 28, v7
	v_sub_nc_u32_e32 v7, 29, v7
	v_lshlrev_b64 v[10:11], v10, v[8:9]
	v_and_b32_e32 v8, 7, v10
; %bb.2607:                             ;   in Loop: Header=BB216_2083 Depth=1
	s_or_b32 exec_lo, exec_lo, s23
	v_lshlrev_b32_e32 v10, 16, v6
	v_lshlrev_b32_e32 v8, 20, v8
	v_lshl_add_u32 v7, v7, 23, 0x3c000000
	v_mov_b32_e32 v21, v9
	v_and_b32_e32 v10, 0x80000000, v10
	v_or3_b32 v22, v8, v10, v7
.LBB216_2608:                           ;   in Loop: Header=BB216_2083 Depth=1
	s_or_b32 exec_lo, exec_lo, s22
.LBB216_2609:                           ;   in Loop: Header=BB216_2083 Depth=1
	s_or_b32 exec_lo, exec_lo, s21
.LBB216_2610:                           ;   in Loop: Header=BB216_2083 Depth=1
	s_or_b32 exec_lo, exec_lo, s20
	v_mov_b32_e32 v10, 0
	v_mov_b32_e32 v23, 0
	v_and_b32_sdwa v7, v6, v76 dst_sel:DWORD dst_unused:UNUSED_PAD src0_sel:WORD_1 src1_sel:DWORD
	v_mov_b32_e32 v11, 0
	v_mov_b32_e32 v24, 0
	s_mov_b32 s20, exec_lo
	v_cmpx_ne_u16_e32 0, v7
	s_cbranch_execz .LBB216_2618
; %bb.2611:                             ;   in Loop: Header=BB216_2083 Depth=1
	v_bfrev_b32_e32 v23, 1
	v_mov_b32_e32 v24, 0
	s_mov_b32 s21, exec_lo
	v_cmpx_ne_u16_e32 0x80, v7
	s_cbranch_execz .LBB216_2617
; %bb.2612:                             ;   in Loop: Header=BB216_2083 Depth=1
	v_mov_b32_e32 v23, 0x7f800001
	v_bfe_u32 v13, v6, 16, 7
	v_mov_b32_e32 v24, 0
	s_mov_b32 s22, exec_lo
	v_cmpx_ne_u32_e32 0x7f, v13
	s_cbranch_execz .LBB216_2616
; %bb.2613:                             ;   in Loop: Header=BB216_2083 Depth=1
	v_and_b32_sdwa v8, v6, v77 dst_sel:DWORD dst_unused:UNUSED_PAD src0_sel:WORD_1 src1_sel:DWORD
	v_lshrrev_b32_e32 v7, 3, v13
	s_mov_b32 s23, exec_lo
	v_cmpx_gt_u32_e32 8, v13
; %bb.2614:                             ;   in Loop: Header=BB216_2083 Depth=1
	v_ffbh_u32_e32 v7, v8
	v_min_u32_e32 v7, 32, v7
	v_subrev_nc_u32_e32 v13, 28, v7
	v_sub_nc_u32_e32 v7, 29, v7
	v_lshlrev_b64 v[23:24], v13, v[8:9]
	v_and_b32_e32 v8, 7, v23
; %bb.2615:                             ;   in Loop: Header=BB216_2083 Depth=1
	s_or_b32 exec_lo, exec_lo, s23
	v_lshlrev_b32_sdwa v13, v78, v6 dst_sel:DWORD dst_unused:UNUSED_PAD src0_sel:DWORD src1_sel:WORD_1
	v_lshlrev_b32_e32 v8, 20, v8
	v_lshl_add_u32 v7, v7, 23, 0x3c000000
	v_and_b32_e32 v13, 0x80000000, v13
	v_or3_b32 v8, v8, v13, v7
	v_mov_b32_e32 v24, v9
	v_mov_b32_e32 v23, v8
.LBB216_2616:                           ;   in Loop: Header=BB216_2083 Depth=1
	s_or_b32 exec_lo, exec_lo, s22
.LBB216_2617:                           ;   in Loop: Header=BB216_2083 Depth=1
	s_or_b32 exec_lo, exec_lo, s21
.LBB216_2618:                           ;   in Loop: Header=BB216_2083 Depth=1
	s_or_b32 exec_lo, exec_lo, s20
	s_mov_b32 s20, exec_lo
	v_cmpx_lt_u32_e32 0xffffff, v6
	s_cbranch_execz .LBB216_2626
; %bb.2619:                             ;   in Loop: Header=BB216_2083 Depth=1
	v_mov_b32_e32 v11, v9
	v_cmp_ne_u32_sdwa s8, v6, v74 src0_sel:BYTE_3 src1_sel:DWORD
	v_mov_b32_e32 v10, v11
	v_mov_b32_e32 v11, v12
	s_and_saveexec_b32 s21, s8
	s_cbranch_execz .LBB216_2625
; %bb.2620:                             ;   in Loop: Header=BB216_2083 Depth=1
	v_mov_b32_e32 v13, v9
	v_bfe_u32 v25, v6, 24, 7
	s_mov_b32 s22, exec_lo
	v_mov_b32_e32 v10, v13
	v_mov_b32_e32 v11, v14
	v_cmpx_ne_u32_e32 0x7f, v25
	s_cbranch_execz .LBB216_2624
; %bb.2621:                             ;   in Loop: Header=BB216_2083 Depth=1
	v_and_b32_sdwa v8, v6, v77 dst_sel:DWORD dst_unused:UNUSED_PAD src0_sel:BYTE_3 src1_sel:DWORD
	v_lshrrev_b32_e32 v7, 3, v25
	s_mov_b32 s23, exec_lo
	v_cmpx_gt_u32_e32 8, v25
; %bb.2622:                             ;   in Loop: Header=BB216_2083 Depth=1
	v_ffbh_u32_e32 v7, v8
	v_min_u32_e32 v7, 32, v7
	v_subrev_nc_u32_e32 v10, 28, v7
	v_sub_nc_u32_e32 v7, 29, v7
	v_lshlrev_b64 v[10:11], v10, v[8:9]
	v_and_b32_e32 v8, 7, v10
; %bb.2623:                             ;   in Loop: Header=BB216_2083 Depth=1
	s_or_b32 exec_lo, exec_lo, s23
	v_lshlrev_b32_sdwa v6, v78, v6 dst_sel:DWORD dst_unused:UNUSED_PAD src0_sel:DWORD src1_sel:BYTE_3
	v_lshlrev_b32_e32 v8, 20, v8
	v_lshl_add_u32 v7, v7, 23, 0x3c000000
	v_mov_b32_e32 v10, v9
	v_and_b32_e32 v6, 0x80000000, v6
	v_or3_b32 v11, v8, v6, v7
.LBB216_2624:                           ;   in Loop: Header=BB216_2083 Depth=1
	s_or_b32 exec_lo, exec_lo, s22
.LBB216_2625:                           ;   in Loop: Header=BB216_2083 Depth=1
	s_or_b32 exec_lo, exec_lo, s21
.LBB216_2626:                           ;   in Loop: Header=BB216_2083 Depth=1
	s_or_b32 exec_lo, exec_lo, s20
	v_or_b32_e32 v6, v22, v20
	v_or_b32_e32 v7, v21, v19
	;; [unrolled: 1-line block ×4, first 2 shown]
	v_mul_f32_e32 v6, v106, v6
	buffer_store_dword v6, off, s[0:3], s32 offset:724 ; 4-byte Folded Spill
	v_mul_f32_e32 v6, v106, v7
	buffer_store_dword v6, off, s[0:3], s32 offset:716 ; 4-byte Folded Spill
	;; [unrolled: 2-line block ×4, first 2 shown]
	s_and_saveexec_b32 s8, s7
	s_cbranch_execz .LBB216_2628
; %bb.2627:                             ;   in Loop: Header=BB216_2083 Depth=1
	buffer_load_dword v6, off, s[0:3], s32 offset:716 ; 4-byte Folded Reload
	s_waitcnt vmcnt(0)
	v_cndmask_b32_e32 v6, 0, v6, vcc_lo
	buffer_store_dword v6, off, s[0:3], s32 offset:716 ; 4-byte Folded Spill
	buffer_load_dword v6, off, s[0:3], s32 offset:724 ; 4-byte Folded Reload
	s_waitcnt vmcnt(0)
	v_cndmask_b32_e64 v6, 0, v6, s4
	buffer_store_dword v6, off, s[0:3], s32 offset:724 ; 4-byte Folded Spill
	buffer_load_dword v6, off, s[0:3], s32 offset:708 ; 4-byte Folded Reload
	s_waitcnt vmcnt(0)
	v_cndmask_b32_e64 v6, 0, v6, s5
	;; [unrolled: 4-line block ×3, first 2 shown]
	buffer_store_dword v6, off, s[0:3], s32 offset:700 ; 4-byte Folded Spill
.LBB216_2628:                           ;   in Loop: Header=BB216_2083 Depth=1
	s_or_b32 exec_lo, exec_lo, s8
	v_add_co_u32 v19, s8, 0x800, v0
	v_add_co_ci_u32_e64 v20, null, 0, v1, s8
	v_mov_b32_e32 v23, 0
	v_mov_b32_e32 v21, 0
	;; [unrolled: 1-line block ×3, first 2 shown]
	flat_load_dword v6, v[19:20]
	v_mov_b32_e32 v22, 0
	s_waitcnt vmcnt(0) lgkmcnt(0)
	v_cmp_ne_u16_sdwa s8, v6, v9 src0_sel:BYTE_0 src1_sel:DWORD
	s_and_saveexec_b32 s20, s8
	s_cbranch_execz .LBB216_2636
; %bb.2629:                             ;   in Loop: Header=BB216_2083 Depth=1
	v_bfrev_b32_e32 v21, 1
	v_mov_b32_e32 v22, 0
	v_cmp_ne_u16_sdwa s8, v6, v74 src0_sel:BYTE_0 src1_sel:DWORD
	s_and_saveexec_b32 s21, s8
	s_cbranch_execz .LBB216_2635
; %bb.2630:                             ;   in Loop: Header=BB216_2083 Depth=1
	v_mov_b32_e32 v21, 0x7f800001
	v_and_b32_e32 v10, 0x7f, v6
	v_mov_b32_e32 v22, 0
	s_mov_b32 s22, exec_lo
	v_cmpx_ne_u32_e32 0x7f, v10
	s_cbranch_execz .LBB216_2634
; %bb.2631:                             ;   in Loop: Header=BB216_2083 Depth=1
	v_and_b32_e32 v8, 7, v6
	v_lshrrev_b32_e32 v7, 3, v10
	s_mov_b32 s23, exec_lo
	v_cmpx_gt_u32_e32 8, v10
; %bb.2632:                             ;   in Loop: Header=BB216_2083 Depth=1
	v_ffbh_u32_e32 v7, v8
	v_min_u32_e32 v7, 32, v7
	v_subrev_nc_u32_e32 v10, 28, v7
	v_sub_nc_u32_e32 v7, 29, v7
	v_lshlrev_b64 v[10:11], v10, v[8:9]
	v_and_b32_e32 v8, 7, v10
; %bb.2633:                             ;   in Loop: Header=BB216_2083 Depth=1
	s_or_b32 exec_lo, exec_lo, s23
	v_lshlrev_b32_e32 v10, 24, v6
	v_lshlrev_b32_e32 v8, 20, v8
	v_lshl_add_u32 v7, v7, 23, 0x3c000000
	v_and_b32_e32 v10, 0x80000000, v10
	v_or3_b32 v8, v8, v10, v7
	v_mov_b32_e32 v22, v9
	v_mov_b32_e32 v21, v8
.LBB216_2634:                           ;   in Loop: Header=BB216_2083 Depth=1
	s_or_b32 exec_lo, exec_lo, s22
.LBB216_2635:                           ;   in Loop: Header=BB216_2083 Depth=1
	s_or_b32 exec_lo, exec_lo, s21
.LBB216_2636:                           ;   in Loop: Header=BB216_2083 Depth=1
	s_or_b32 exec_lo, exec_lo, s20
	v_cmp_ne_u16_sdwa s8, v6, v9 src0_sel:BYTE_1 src1_sel:DWORD
	s_and_saveexec_b32 s20, s8
	s_cbranch_execz .LBB216_2644
; %bb.2637:                             ;   in Loop: Header=BB216_2083 Depth=1
	v_mov_b32_e32 v11, v9
	v_mov_b32_e32 v24, v12
	v_cmp_ne_u16_sdwa s8, v6, v74 src0_sel:BYTE_1 src1_sel:DWORD
	v_mov_b32_e32 v23, v11
	s_and_saveexec_b32 s21, s8
	s_cbranch_execz .LBB216_2643
; %bb.2638:                             ;   in Loop: Header=BB216_2083 Depth=1
	v_and_b32_sdwa v7, v75, v6 dst_sel:DWORD dst_unused:UNUSED_PAD src0_sel:DWORD src1_sel:BYTE_1
	v_mov_b32_e32 v13, v9
	v_mov_b32_e32 v24, v14
	s_mov_b32 s22, exec_lo
	v_and_b32_e32 v10, 0x7f, v7
	v_mov_b32_e32 v23, v13
	v_cmpx_ne_u32_e32 0x7f, v10
	s_cbranch_execz .LBB216_2642
; %bb.2639:                             ;   in Loop: Header=BB216_2083 Depth=1
	v_and_b32_e32 v8, 7, v7
	v_lshrrev_b32_e32 v7, 3, v10
	s_mov_b32 s23, exec_lo
	v_cmpx_gt_u32_e32 8, v10
; %bb.2640:                             ;   in Loop: Header=BB216_2083 Depth=1
	v_ffbh_u32_e32 v7, v8
	v_min_u32_e32 v7, 32, v7
	v_subrev_nc_u32_e32 v10, 28, v7
	v_sub_nc_u32_e32 v7, 29, v7
	v_lshlrev_b64 v[10:11], v10, v[8:9]
	v_and_b32_e32 v8, 7, v10
; %bb.2641:                             ;   in Loop: Header=BB216_2083 Depth=1
	s_or_b32 exec_lo, exec_lo, s23
	v_lshlrev_b32_e32 v10, 16, v6
	v_lshlrev_b32_e32 v8, 20, v8
	v_lshl_add_u32 v7, v7, 23, 0x3c000000
	v_mov_b32_e32 v23, v9
	v_and_b32_e32 v10, 0x80000000, v10
	v_or3_b32 v24, v8, v10, v7
.LBB216_2642:                           ;   in Loop: Header=BB216_2083 Depth=1
	s_or_b32 exec_lo, exec_lo, s22
.LBB216_2643:                           ;   in Loop: Header=BB216_2083 Depth=1
	s_or_b32 exec_lo, exec_lo, s21
.LBB216_2644:                           ;   in Loop: Header=BB216_2083 Depth=1
	s_or_b32 exec_lo, exec_lo, s20
	v_mov_b32_e32 v10, 0
	v_mov_b32_e32 v25, 0
	v_and_b32_sdwa v7, v6, v76 dst_sel:DWORD dst_unused:UNUSED_PAD src0_sel:WORD_1 src1_sel:DWORD
	v_mov_b32_e32 v11, 0
	v_mov_b32_e32 v26, 0
	s_mov_b32 s20, exec_lo
	v_cmpx_ne_u16_e32 0, v7
	s_cbranch_execz .LBB216_2652
; %bb.2645:                             ;   in Loop: Header=BB216_2083 Depth=1
	v_bfrev_b32_e32 v25, 1
	v_mov_b32_e32 v26, 0
	s_mov_b32 s21, exec_lo
	v_cmpx_ne_u16_e32 0x80, v7
	s_cbranch_execz .LBB216_2651
; %bb.2646:                             ;   in Loop: Header=BB216_2083 Depth=1
	v_mov_b32_e32 v25, 0x7f800001
	v_bfe_u32 v13, v6, 16, 7
	v_mov_b32_e32 v26, 0
	s_mov_b32 s22, exec_lo
	v_cmpx_ne_u32_e32 0x7f, v13
	s_cbranch_execz .LBB216_2650
; %bb.2647:                             ;   in Loop: Header=BB216_2083 Depth=1
	v_and_b32_sdwa v8, v6, v77 dst_sel:DWORD dst_unused:UNUSED_PAD src0_sel:WORD_1 src1_sel:DWORD
	v_lshrrev_b32_e32 v7, 3, v13
	s_mov_b32 s23, exec_lo
	v_cmpx_gt_u32_e32 8, v13
; %bb.2648:                             ;   in Loop: Header=BB216_2083 Depth=1
	v_ffbh_u32_e32 v7, v8
	v_min_u32_e32 v7, 32, v7
	v_subrev_nc_u32_e32 v13, 28, v7
	v_sub_nc_u32_e32 v7, 29, v7
	v_lshlrev_b64 v[25:26], v13, v[8:9]
	v_and_b32_e32 v8, 7, v25
; %bb.2649:                             ;   in Loop: Header=BB216_2083 Depth=1
	s_or_b32 exec_lo, exec_lo, s23
	v_lshlrev_b32_sdwa v13, v78, v6 dst_sel:DWORD dst_unused:UNUSED_PAD src0_sel:DWORD src1_sel:WORD_1
	v_lshlrev_b32_e32 v8, 20, v8
	v_lshl_add_u32 v7, v7, 23, 0x3c000000
	v_and_b32_e32 v13, 0x80000000, v13
	v_or3_b32 v8, v8, v13, v7
	v_mov_b32_e32 v26, v9
	v_mov_b32_e32 v25, v8
.LBB216_2650:                           ;   in Loop: Header=BB216_2083 Depth=1
	s_or_b32 exec_lo, exec_lo, s22
.LBB216_2651:                           ;   in Loop: Header=BB216_2083 Depth=1
	s_or_b32 exec_lo, exec_lo, s21
.LBB216_2652:                           ;   in Loop: Header=BB216_2083 Depth=1
	s_or_b32 exec_lo, exec_lo, s20
	s_mov_b32 s20, exec_lo
	v_cmpx_lt_u32_e32 0xffffff, v6
	s_cbranch_execz .LBB216_2660
; %bb.2653:                             ;   in Loop: Header=BB216_2083 Depth=1
	v_mov_b32_e32 v11, v9
	v_cmp_ne_u32_sdwa s8, v6, v74 src0_sel:BYTE_3 src1_sel:DWORD
	v_mov_b32_e32 v10, v11
	v_mov_b32_e32 v11, v12
	s_and_saveexec_b32 s21, s8
	s_cbranch_execz .LBB216_2659
; %bb.2654:                             ;   in Loop: Header=BB216_2083 Depth=1
	v_mov_b32_e32 v13, v9
	v_bfe_u32 v30, v6, 24, 7
	s_mov_b32 s22, exec_lo
	v_mov_b32_e32 v10, v13
	v_mov_b32_e32 v11, v14
	v_cmpx_ne_u32_e32 0x7f, v30
	s_cbranch_execz .LBB216_2658
; %bb.2655:                             ;   in Loop: Header=BB216_2083 Depth=1
	v_and_b32_sdwa v8, v6, v77 dst_sel:DWORD dst_unused:UNUSED_PAD src0_sel:BYTE_3 src1_sel:DWORD
	v_lshrrev_b32_e32 v7, 3, v30
	s_mov_b32 s23, exec_lo
	v_cmpx_gt_u32_e32 8, v30
; %bb.2656:                             ;   in Loop: Header=BB216_2083 Depth=1
	v_ffbh_u32_e32 v7, v8
	v_min_u32_e32 v7, 32, v7
	v_subrev_nc_u32_e32 v10, 28, v7
	v_sub_nc_u32_e32 v7, 29, v7
	v_lshlrev_b64 v[10:11], v10, v[8:9]
	v_and_b32_e32 v8, 7, v10
; %bb.2657:                             ;   in Loop: Header=BB216_2083 Depth=1
	s_or_b32 exec_lo, exec_lo, s23
	v_lshlrev_b32_sdwa v6, v78, v6 dst_sel:DWORD dst_unused:UNUSED_PAD src0_sel:DWORD src1_sel:BYTE_3
	v_lshlrev_b32_e32 v8, 20, v8
	v_lshl_add_u32 v7, v7, 23, 0x3c000000
	v_mov_b32_e32 v10, v9
	v_and_b32_e32 v6, 0x80000000, v6
	v_or3_b32 v11, v8, v6, v7
.LBB216_2658:                           ;   in Loop: Header=BB216_2083 Depth=1
	s_or_b32 exec_lo, exec_lo, s22
.LBB216_2659:                           ;   in Loop: Header=BB216_2083 Depth=1
	s_or_b32 exec_lo, exec_lo, s21
.LBB216_2660:                           ;   in Loop: Header=BB216_2083 Depth=1
	s_or_b32 exec_lo, exec_lo, s20
	v_or_b32_e32 v6, v24, v22
	v_or_b32_e32 v7, v23, v21
	;; [unrolled: 1-line block ×4, first 2 shown]
	v_mul_f32_e32 v6, v106, v6
	buffer_store_dword v6, off, s[0:3], s32 offset:756 ; 4-byte Folded Spill
	v_mul_f32_e32 v6, v106, v7
	buffer_store_dword v6, off, s[0:3], s32 offset:748 ; 4-byte Folded Spill
	;; [unrolled: 2-line block ×4, first 2 shown]
	s_and_saveexec_b32 s8, s7
	s_cbranch_execz .LBB216_2662
; %bb.2661:                             ;   in Loop: Header=BB216_2083 Depth=1
	buffer_load_dword v6, off, s[0:3], s32 offset:748 ; 4-byte Folded Reload
	s_waitcnt vmcnt(0)
	v_cndmask_b32_e32 v6, 0, v6, vcc_lo
	buffer_store_dword v6, off, s[0:3], s32 offset:748 ; 4-byte Folded Spill
	buffer_load_dword v6, off, s[0:3], s32 offset:756 ; 4-byte Folded Reload
	s_waitcnt vmcnt(0)
	v_cndmask_b32_e64 v6, 0, v6, s4
	buffer_store_dword v6, off, s[0:3], s32 offset:756 ; 4-byte Folded Spill
	buffer_load_dword v6, off, s[0:3], s32 offset:740 ; 4-byte Folded Reload
	s_waitcnt vmcnt(0)
	v_cndmask_b32_e64 v6, 0, v6, s5
	;; [unrolled: 4-line block ×3, first 2 shown]
	buffer_store_dword v6, off, s[0:3], s32 offset:732 ; 4-byte Folded Spill
.LBB216_2662:                           ;   in Loop: Header=BB216_2083 Depth=1
	s_or_b32 exec_lo, exec_lo, s8
	flat_load_dword v6, v[19:20] offset:128
	v_mov_b32_e32 v23, 0
	v_mov_b32_e32 v21, 0
	;; [unrolled: 1-line block ×4, first 2 shown]
	s_waitcnt vmcnt(0) lgkmcnt(0)
	v_cmp_ne_u16_sdwa s8, v6, v9 src0_sel:BYTE_0 src1_sel:DWORD
	s_and_saveexec_b32 s20, s8
	s_cbranch_execz .LBB216_2670
; %bb.2663:                             ;   in Loop: Header=BB216_2083 Depth=1
	v_bfrev_b32_e32 v21, 1
	v_mov_b32_e32 v22, 0
	v_cmp_ne_u16_sdwa s8, v6, v74 src0_sel:BYTE_0 src1_sel:DWORD
	s_and_saveexec_b32 s21, s8
	s_cbranch_execz .LBB216_2669
; %bb.2664:                             ;   in Loop: Header=BB216_2083 Depth=1
	v_mov_b32_e32 v21, 0x7f800001
	v_and_b32_e32 v10, 0x7f, v6
	v_mov_b32_e32 v22, 0
	s_mov_b32 s22, exec_lo
	v_cmpx_ne_u32_e32 0x7f, v10
	s_cbranch_execz .LBB216_2668
; %bb.2665:                             ;   in Loop: Header=BB216_2083 Depth=1
	v_and_b32_e32 v8, 7, v6
	v_lshrrev_b32_e32 v7, 3, v10
	s_mov_b32 s23, exec_lo
	v_cmpx_gt_u32_e32 8, v10
; %bb.2666:                             ;   in Loop: Header=BB216_2083 Depth=1
	v_ffbh_u32_e32 v7, v8
	v_min_u32_e32 v7, 32, v7
	v_subrev_nc_u32_e32 v10, 28, v7
	v_sub_nc_u32_e32 v7, 29, v7
	v_lshlrev_b64 v[10:11], v10, v[8:9]
	v_and_b32_e32 v8, 7, v10
; %bb.2667:                             ;   in Loop: Header=BB216_2083 Depth=1
	s_or_b32 exec_lo, exec_lo, s23
	v_lshlrev_b32_e32 v10, 24, v6
	v_lshlrev_b32_e32 v8, 20, v8
	v_lshl_add_u32 v7, v7, 23, 0x3c000000
	v_and_b32_e32 v10, 0x80000000, v10
	v_or3_b32 v8, v8, v10, v7
	v_mov_b32_e32 v22, v9
	v_mov_b32_e32 v21, v8
.LBB216_2668:                           ;   in Loop: Header=BB216_2083 Depth=1
	s_or_b32 exec_lo, exec_lo, s22
.LBB216_2669:                           ;   in Loop: Header=BB216_2083 Depth=1
	s_or_b32 exec_lo, exec_lo, s21
.LBB216_2670:                           ;   in Loop: Header=BB216_2083 Depth=1
	s_or_b32 exec_lo, exec_lo, s20
	v_cmp_ne_u16_sdwa s8, v6, v9 src0_sel:BYTE_1 src1_sel:DWORD
	s_and_saveexec_b32 s20, s8
	s_cbranch_execz .LBB216_2678
; %bb.2671:                             ;   in Loop: Header=BB216_2083 Depth=1
	v_mov_b32_e32 v11, v9
	v_mov_b32_e32 v24, v12
	v_cmp_ne_u16_sdwa s8, v6, v74 src0_sel:BYTE_1 src1_sel:DWORD
	v_mov_b32_e32 v23, v11
	s_and_saveexec_b32 s21, s8
	s_cbranch_execz .LBB216_2677
; %bb.2672:                             ;   in Loop: Header=BB216_2083 Depth=1
	v_and_b32_sdwa v7, v75, v6 dst_sel:DWORD dst_unused:UNUSED_PAD src0_sel:DWORD src1_sel:BYTE_1
	v_mov_b32_e32 v13, v9
	v_mov_b32_e32 v24, v14
	s_mov_b32 s22, exec_lo
	v_and_b32_e32 v10, 0x7f, v7
	v_mov_b32_e32 v23, v13
	v_cmpx_ne_u32_e32 0x7f, v10
	s_cbranch_execz .LBB216_2676
; %bb.2673:                             ;   in Loop: Header=BB216_2083 Depth=1
	v_and_b32_e32 v8, 7, v7
	v_lshrrev_b32_e32 v7, 3, v10
	s_mov_b32 s23, exec_lo
	v_cmpx_gt_u32_e32 8, v10
; %bb.2674:                             ;   in Loop: Header=BB216_2083 Depth=1
	v_ffbh_u32_e32 v7, v8
	v_min_u32_e32 v7, 32, v7
	v_subrev_nc_u32_e32 v10, 28, v7
	v_sub_nc_u32_e32 v7, 29, v7
	v_lshlrev_b64 v[10:11], v10, v[8:9]
	v_and_b32_e32 v8, 7, v10
; %bb.2675:                             ;   in Loop: Header=BB216_2083 Depth=1
	s_or_b32 exec_lo, exec_lo, s23
	v_lshlrev_b32_e32 v10, 16, v6
	v_lshlrev_b32_e32 v8, 20, v8
	v_lshl_add_u32 v7, v7, 23, 0x3c000000
	v_mov_b32_e32 v23, v9
	v_and_b32_e32 v10, 0x80000000, v10
	v_or3_b32 v24, v8, v10, v7
.LBB216_2676:                           ;   in Loop: Header=BB216_2083 Depth=1
	s_or_b32 exec_lo, exec_lo, s22
.LBB216_2677:                           ;   in Loop: Header=BB216_2083 Depth=1
	s_or_b32 exec_lo, exec_lo, s21
.LBB216_2678:                           ;   in Loop: Header=BB216_2083 Depth=1
	s_or_b32 exec_lo, exec_lo, s20
	v_mov_b32_e32 v10, 0
	v_mov_b32_e32 v25, 0
	v_and_b32_sdwa v7, v6, v76 dst_sel:DWORD dst_unused:UNUSED_PAD src0_sel:WORD_1 src1_sel:DWORD
	v_mov_b32_e32 v11, 0
	v_mov_b32_e32 v26, 0
	s_mov_b32 s20, exec_lo
	v_cmpx_ne_u16_e32 0, v7
	s_cbranch_execz .LBB216_2686
; %bb.2679:                             ;   in Loop: Header=BB216_2083 Depth=1
	v_bfrev_b32_e32 v25, 1
	v_mov_b32_e32 v26, 0
	s_mov_b32 s21, exec_lo
	v_cmpx_ne_u16_e32 0x80, v7
	s_cbranch_execz .LBB216_2685
; %bb.2680:                             ;   in Loop: Header=BB216_2083 Depth=1
	v_mov_b32_e32 v25, 0x7f800001
	v_bfe_u32 v13, v6, 16, 7
	v_mov_b32_e32 v26, 0
	s_mov_b32 s22, exec_lo
	v_cmpx_ne_u32_e32 0x7f, v13
	s_cbranch_execz .LBB216_2684
; %bb.2681:                             ;   in Loop: Header=BB216_2083 Depth=1
	v_and_b32_sdwa v8, v6, v77 dst_sel:DWORD dst_unused:UNUSED_PAD src0_sel:WORD_1 src1_sel:DWORD
	v_lshrrev_b32_e32 v7, 3, v13
	s_mov_b32 s23, exec_lo
	v_cmpx_gt_u32_e32 8, v13
; %bb.2682:                             ;   in Loop: Header=BB216_2083 Depth=1
	v_ffbh_u32_e32 v7, v8
	v_min_u32_e32 v7, 32, v7
	v_subrev_nc_u32_e32 v13, 28, v7
	v_sub_nc_u32_e32 v7, 29, v7
	v_lshlrev_b64 v[25:26], v13, v[8:9]
	v_and_b32_e32 v8, 7, v25
; %bb.2683:                             ;   in Loop: Header=BB216_2083 Depth=1
	s_or_b32 exec_lo, exec_lo, s23
	v_lshlrev_b32_sdwa v13, v78, v6 dst_sel:DWORD dst_unused:UNUSED_PAD src0_sel:DWORD src1_sel:WORD_1
	v_lshlrev_b32_e32 v8, 20, v8
	v_lshl_add_u32 v7, v7, 23, 0x3c000000
	v_and_b32_e32 v13, 0x80000000, v13
	v_or3_b32 v8, v8, v13, v7
	v_mov_b32_e32 v26, v9
	v_mov_b32_e32 v25, v8
.LBB216_2684:                           ;   in Loop: Header=BB216_2083 Depth=1
	s_or_b32 exec_lo, exec_lo, s22
.LBB216_2685:                           ;   in Loop: Header=BB216_2083 Depth=1
	s_or_b32 exec_lo, exec_lo, s21
.LBB216_2686:                           ;   in Loop: Header=BB216_2083 Depth=1
	s_or_b32 exec_lo, exec_lo, s20
	s_mov_b32 s20, exec_lo
	v_cmpx_lt_u32_e32 0xffffff, v6
	s_cbranch_execz .LBB216_2694
; %bb.2687:                             ;   in Loop: Header=BB216_2083 Depth=1
	v_mov_b32_e32 v11, v9
	v_cmp_ne_u32_sdwa s8, v6, v74 src0_sel:BYTE_3 src1_sel:DWORD
	v_mov_b32_e32 v10, v11
	v_mov_b32_e32 v11, v12
	s_and_saveexec_b32 s21, s8
	s_cbranch_execz .LBB216_2693
; %bb.2688:                             ;   in Loop: Header=BB216_2083 Depth=1
	v_mov_b32_e32 v13, v9
	v_bfe_u32 v30, v6, 24, 7
	s_mov_b32 s22, exec_lo
	v_mov_b32_e32 v10, v13
	v_mov_b32_e32 v11, v14
	v_cmpx_ne_u32_e32 0x7f, v30
	s_cbranch_execz .LBB216_2692
; %bb.2689:                             ;   in Loop: Header=BB216_2083 Depth=1
	v_and_b32_sdwa v8, v6, v77 dst_sel:DWORD dst_unused:UNUSED_PAD src0_sel:BYTE_3 src1_sel:DWORD
	v_lshrrev_b32_e32 v7, 3, v30
	s_mov_b32 s23, exec_lo
	v_cmpx_gt_u32_e32 8, v30
; %bb.2690:                             ;   in Loop: Header=BB216_2083 Depth=1
	v_ffbh_u32_e32 v7, v8
	v_min_u32_e32 v7, 32, v7
	v_subrev_nc_u32_e32 v10, 28, v7
	v_sub_nc_u32_e32 v7, 29, v7
	v_lshlrev_b64 v[10:11], v10, v[8:9]
	v_and_b32_e32 v8, 7, v10
; %bb.2691:                             ;   in Loop: Header=BB216_2083 Depth=1
	s_or_b32 exec_lo, exec_lo, s23
	v_lshlrev_b32_sdwa v6, v78, v6 dst_sel:DWORD dst_unused:UNUSED_PAD src0_sel:DWORD src1_sel:BYTE_3
	v_lshlrev_b32_e32 v8, 20, v8
	v_lshl_add_u32 v7, v7, 23, 0x3c000000
	v_mov_b32_e32 v10, v9
	v_and_b32_e32 v6, 0x80000000, v6
	v_or3_b32 v11, v8, v6, v7
.LBB216_2692:                           ;   in Loop: Header=BB216_2083 Depth=1
	s_or_b32 exec_lo, exec_lo, s22
.LBB216_2693:                           ;   in Loop: Header=BB216_2083 Depth=1
	s_or_b32 exec_lo, exec_lo, s21
.LBB216_2694:                           ;   in Loop: Header=BB216_2083 Depth=1
	s_or_b32 exec_lo, exec_lo, s20
	v_or_b32_e32 v6, v24, v22
	v_or_b32_e32 v7, v23, v21
	;; [unrolled: 1-line block ×4, first 2 shown]
	v_mul_f32_e32 v6, v106, v6
	buffer_store_dword v6, off, s[0:3], s32 offset:788 ; 4-byte Folded Spill
	v_mul_f32_e32 v6, v106, v7
	buffer_store_dword v6, off, s[0:3], s32 offset:780 ; 4-byte Folded Spill
	;; [unrolled: 2-line block ×4, first 2 shown]
	s_and_saveexec_b32 s8, s7
	s_cbranch_execz .LBB216_2696
; %bb.2695:                             ;   in Loop: Header=BB216_2083 Depth=1
	buffer_load_dword v6, off, s[0:3], s32 offset:780 ; 4-byte Folded Reload
	s_waitcnt vmcnt(0)
	v_cndmask_b32_e32 v6, 0, v6, vcc_lo
	buffer_store_dword v6, off, s[0:3], s32 offset:780 ; 4-byte Folded Spill
	buffer_load_dword v6, off, s[0:3], s32 offset:788 ; 4-byte Folded Reload
	s_waitcnt vmcnt(0)
	v_cndmask_b32_e64 v6, 0, v6, s4
	buffer_store_dword v6, off, s[0:3], s32 offset:788 ; 4-byte Folded Spill
	buffer_load_dword v6, off, s[0:3], s32 offset:772 ; 4-byte Folded Reload
	s_waitcnt vmcnt(0)
	v_cndmask_b32_e64 v6, 0, v6, s5
	;; [unrolled: 4-line block ×3, first 2 shown]
	buffer_store_dword v6, off, s[0:3], s32 offset:764 ; 4-byte Folded Spill
.LBB216_2696:                           ;   in Loop: Header=BB216_2083 Depth=1
	s_or_b32 exec_lo, exec_lo, s8
	flat_load_dword v6, v[19:20] offset:256
	v_mov_b32_e32 v23, 0
	v_mov_b32_e32 v21, 0
	;; [unrolled: 1-line block ×4, first 2 shown]
	s_waitcnt vmcnt(0) lgkmcnt(0)
	v_cmp_ne_u16_sdwa s8, v6, v9 src0_sel:BYTE_0 src1_sel:DWORD
	s_and_saveexec_b32 s20, s8
	s_cbranch_execz .LBB216_2704
; %bb.2697:                             ;   in Loop: Header=BB216_2083 Depth=1
	v_bfrev_b32_e32 v21, 1
	v_mov_b32_e32 v22, 0
	v_cmp_ne_u16_sdwa s8, v6, v74 src0_sel:BYTE_0 src1_sel:DWORD
	s_and_saveexec_b32 s21, s8
	s_cbranch_execz .LBB216_2703
; %bb.2698:                             ;   in Loop: Header=BB216_2083 Depth=1
	v_mov_b32_e32 v21, 0x7f800001
	v_and_b32_e32 v10, 0x7f, v6
	v_mov_b32_e32 v22, 0
	s_mov_b32 s22, exec_lo
	v_cmpx_ne_u32_e32 0x7f, v10
	s_cbranch_execz .LBB216_2702
; %bb.2699:                             ;   in Loop: Header=BB216_2083 Depth=1
	v_and_b32_e32 v8, 7, v6
	v_lshrrev_b32_e32 v7, 3, v10
	s_mov_b32 s23, exec_lo
	v_cmpx_gt_u32_e32 8, v10
; %bb.2700:                             ;   in Loop: Header=BB216_2083 Depth=1
	v_ffbh_u32_e32 v7, v8
	v_min_u32_e32 v7, 32, v7
	v_subrev_nc_u32_e32 v10, 28, v7
	v_sub_nc_u32_e32 v7, 29, v7
	v_lshlrev_b64 v[10:11], v10, v[8:9]
	v_and_b32_e32 v8, 7, v10
; %bb.2701:                             ;   in Loop: Header=BB216_2083 Depth=1
	s_or_b32 exec_lo, exec_lo, s23
	v_lshlrev_b32_e32 v10, 24, v6
	v_lshlrev_b32_e32 v8, 20, v8
	v_lshl_add_u32 v7, v7, 23, 0x3c000000
	v_and_b32_e32 v10, 0x80000000, v10
	v_or3_b32 v8, v8, v10, v7
	v_mov_b32_e32 v22, v9
	v_mov_b32_e32 v21, v8
.LBB216_2702:                           ;   in Loop: Header=BB216_2083 Depth=1
	s_or_b32 exec_lo, exec_lo, s22
.LBB216_2703:                           ;   in Loop: Header=BB216_2083 Depth=1
	s_or_b32 exec_lo, exec_lo, s21
.LBB216_2704:                           ;   in Loop: Header=BB216_2083 Depth=1
	s_or_b32 exec_lo, exec_lo, s20
	v_cmp_ne_u16_sdwa s8, v6, v9 src0_sel:BYTE_1 src1_sel:DWORD
	s_and_saveexec_b32 s20, s8
	s_cbranch_execz .LBB216_2712
; %bb.2705:                             ;   in Loop: Header=BB216_2083 Depth=1
	v_mov_b32_e32 v11, v9
	v_mov_b32_e32 v24, v12
	v_cmp_ne_u16_sdwa s8, v6, v74 src0_sel:BYTE_1 src1_sel:DWORD
	v_mov_b32_e32 v23, v11
	s_and_saveexec_b32 s21, s8
	s_cbranch_execz .LBB216_2711
; %bb.2706:                             ;   in Loop: Header=BB216_2083 Depth=1
	v_and_b32_sdwa v7, v75, v6 dst_sel:DWORD dst_unused:UNUSED_PAD src0_sel:DWORD src1_sel:BYTE_1
	v_mov_b32_e32 v13, v9
	v_mov_b32_e32 v24, v14
	s_mov_b32 s22, exec_lo
	v_and_b32_e32 v10, 0x7f, v7
	v_mov_b32_e32 v23, v13
	v_cmpx_ne_u32_e32 0x7f, v10
	s_cbranch_execz .LBB216_2710
; %bb.2707:                             ;   in Loop: Header=BB216_2083 Depth=1
	v_and_b32_e32 v8, 7, v7
	v_lshrrev_b32_e32 v7, 3, v10
	s_mov_b32 s23, exec_lo
	v_cmpx_gt_u32_e32 8, v10
; %bb.2708:                             ;   in Loop: Header=BB216_2083 Depth=1
	v_ffbh_u32_e32 v7, v8
	v_min_u32_e32 v7, 32, v7
	v_subrev_nc_u32_e32 v10, 28, v7
	v_sub_nc_u32_e32 v7, 29, v7
	v_lshlrev_b64 v[10:11], v10, v[8:9]
	v_and_b32_e32 v8, 7, v10
; %bb.2709:                             ;   in Loop: Header=BB216_2083 Depth=1
	s_or_b32 exec_lo, exec_lo, s23
	v_lshlrev_b32_e32 v10, 16, v6
	v_lshlrev_b32_e32 v8, 20, v8
	v_lshl_add_u32 v7, v7, 23, 0x3c000000
	v_mov_b32_e32 v23, v9
	v_and_b32_e32 v10, 0x80000000, v10
	v_or3_b32 v24, v8, v10, v7
.LBB216_2710:                           ;   in Loop: Header=BB216_2083 Depth=1
	s_or_b32 exec_lo, exec_lo, s22
.LBB216_2711:                           ;   in Loop: Header=BB216_2083 Depth=1
	s_or_b32 exec_lo, exec_lo, s21
.LBB216_2712:                           ;   in Loop: Header=BB216_2083 Depth=1
	s_or_b32 exec_lo, exec_lo, s20
	v_mov_b32_e32 v10, 0
	v_mov_b32_e32 v25, 0
	v_and_b32_sdwa v7, v6, v76 dst_sel:DWORD dst_unused:UNUSED_PAD src0_sel:WORD_1 src1_sel:DWORD
	v_mov_b32_e32 v11, 0
	v_mov_b32_e32 v26, 0
	s_mov_b32 s20, exec_lo
	v_cmpx_ne_u16_e32 0, v7
	s_cbranch_execz .LBB216_2720
; %bb.2713:                             ;   in Loop: Header=BB216_2083 Depth=1
	v_bfrev_b32_e32 v25, 1
	v_mov_b32_e32 v26, 0
	s_mov_b32 s21, exec_lo
	v_cmpx_ne_u16_e32 0x80, v7
	s_cbranch_execz .LBB216_2719
; %bb.2714:                             ;   in Loop: Header=BB216_2083 Depth=1
	v_mov_b32_e32 v25, 0x7f800001
	v_bfe_u32 v13, v6, 16, 7
	v_mov_b32_e32 v26, 0
	s_mov_b32 s22, exec_lo
	v_cmpx_ne_u32_e32 0x7f, v13
	s_cbranch_execz .LBB216_2718
; %bb.2715:                             ;   in Loop: Header=BB216_2083 Depth=1
	v_and_b32_sdwa v8, v6, v77 dst_sel:DWORD dst_unused:UNUSED_PAD src0_sel:WORD_1 src1_sel:DWORD
	v_lshrrev_b32_e32 v7, 3, v13
	s_mov_b32 s23, exec_lo
	v_cmpx_gt_u32_e32 8, v13
; %bb.2716:                             ;   in Loop: Header=BB216_2083 Depth=1
	v_ffbh_u32_e32 v7, v8
	v_min_u32_e32 v7, 32, v7
	v_subrev_nc_u32_e32 v13, 28, v7
	v_sub_nc_u32_e32 v7, 29, v7
	v_lshlrev_b64 v[25:26], v13, v[8:9]
	v_and_b32_e32 v8, 7, v25
; %bb.2717:                             ;   in Loop: Header=BB216_2083 Depth=1
	s_or_b32 exec_lo, exec_lo, s23
	v_lshlrev_b32_sdwa v13, v78, v6 dst_sel:DWORD dst_unused:UNUSED_PAD src0_sel:DWORD src1_sel:WORD_1
	v_lshlrev_b32_e32 v8, 20, v8
	v_lshl_add_u32 v7, v7, 23, 0x3c000000
	v_and_b32_e32 v13, 0x80000000, v13
	v_or3_b32 v8, v8, v13, v7
	v_mov_b32_e32 v26, v9
	v_mov_b32_e32 v25, v8
.LBB216_2718:                           ;   in Loop: Header=BB216_2083 Depth=1
	s_or_b32 exec_lo, exec_lo, s22
.LBB216_2719:                           ;   in Loop: Header=BB216_2083 Depth=1
	s_or_b32 exec_lo, exec_lo, s21
.LBB216_2720:                           ;   in Loop: Header=BB216_2083 Depth=1
	s_or_b32 exec_lo, exec_lo, s20
	s_mov_b32 s20, exec_lo
	v_cmpx_lt_u32_e32 0xffffff, v6
	s_cbranch_execz .LBB216_2728
; %bb.2721:                             ;   in Loop: Header=BB216_2083 Depth=1
	v_mov_b32_e32 v11, v9
	v_cmp_ne_u32_sdwa s8, v6, v74 src0_sel:BYTE_3 src1_sel:DWORD
	v_mov_b32_e32 v10, v11
	v_mov_b32_e32 v11, v12
	s_and_saveexec_b32 s21, s8
	s_cbranch_execz .LBB216_2727
; %bb.2722:                             ;   in Loop: Header=BB216_2083 Depth=1
	v_mov_b32_e32 v13, v9
	v_bfe_u32 v30, v6, 24, 7
	s_mov_b32 s22, exec_lo
	v_mov_b32_e32 v10, v13
	v_mov_b32_e32 v11, v14
	v_cmpx_ne_u32_e32 0x7f, v30
	s_cbranch_execz .LBB216_2726
; %bb.2723:                             ;   in Loop: Header=BB216_2083 Depth=1
	v_and_b32_sdwa v8, v6, v77 dst_sel:DWORD dst_unused:UNUSED_PAD src0_sel:BYTE_3 src1_sel:DWORD
	v_lshrrev_b32_e32 v7, 3, v30
	s_mov_b32 s23, exec_lo
	v_cmpx_gt_u32_e32 8, v30
; %bb.2724:                             ;   in Loop: Header=BB216_2083 Depth=1
	v_ffbh_u32_e32 v7, v8
	v_min_u32_e32 v7, 32, v7
	v_subrev_nc_u32_e32 v10, 28, v7
	v_sub_nc_u32_e32 v7, 29, v7
	v_lshlrev_b64 v[10:11], v10, v[8:9]
	v_and_b32_e32 v8, 7, v10
; %bb.2725:                             ;   in Loop: Header=BB216_2083 Depth=1
	s_or_b32 exec_lo, exec_lo, s23
	v_lshlrev_b32_sdwa v6, v78, v6 dst_sel:DWORD dst_unused:UNUSED_PAD src0_sel:DWORD src1_sel:BYTE_3
	v_lshlrev_b32_e32 v8, 20, v8
	v_lshl_add_u32 v7, v7, 23, 0x3c000000
	v_mov_b32_e32 v10, v9
	v_and_b32_e32 v6, 0x80000000, v6
	v_or3_b32 v11, v8, v6, v7
.LBB216_2726:                           ;   in Loop: Header=BB216_2083 Depth=1
	s_or_b32 exec_lo, exec_lo, s22
.LBB216_2727:                           ;   in Loop: Header=BB216_2083 Depth=1
	s_or_b32 exec_lo, exec_lo, s21
.LBB216_2728:                           ;   in Loop: Header=BB216_2083 Depth=1
	s_or_b32 exec_lo, exec_lo, s20
	v_or_b32_e32 v6, v24, v22
	v_or_b32_e32 v7, v23, v21
	;; [unrolled: 1-line block ×4, first 2 shown]
	v_mul_f32_e32 v6, v106, v6
	buffer_store_dword v6, off, s[0:3], s32 offset:820 ; 4-byte Folded Spill
	v_mul_f32_e32 v6, v106, v7
	buffer_store_dword v6, off, s[0:3], s32 offset:812 ; 4-byte Folded Spill
	v_mul_f32_e32 v6, v106, v8
	buffer_store_dword v6, off, s[0:3], s32 offset:804 ; 4-byte Folded Spill
	v_mul_f32_e32 v6, v106, v10
	buffer_store_dword v6, off, s[0:3], s32 offset:796 ; 4-byte Folded Spill
	s_and_saveexec_b32 s8, s7
	s_cbranch_execz .LBB216_2730
; %bb.2729:                             ;   in Loop: Header=BB216_2083 Depth=1
	buffer_load_dword v6, off, s[0:3], s32 offset:812 ; 4-byte Folded Reload
	s_waitcnt vmcnt(0)
	v_cndmask_b32_e32 v6, 0, v6, vcc_lo
	buffer_store_dword v6, off, s[0:3], s32 offset:812 ; 4-byte Folded Spill
	buffer_load_dword v6, off, s[0:3], s32 offset:820 ; 4-byte Folded Reload
	s_waitcnt vmcnt(0)
	v_cndmask_b32_e64 v6, 0, v6, s4
	buffer_store_dword v6, off, s[0:3], s32 offset:820 ; 4-byte Folded Spill
	buffer_load_dword v6, off, s[0:3], s32 offset:804 ; 4-byte Folded Reload
	s_waitcnt vmcnt(0)
	v_cndmask_b32_e64 v6, 0, v6, s5
	buffer_store_dword v6, off, s[0:3], s32 offset:804 ; 4-byte Folded Spill
	buffer_load_dword v6, off, s[0:3], s32 offset:796 ; 4-byte Folded Reload
	s_waitcnt vmcnt(0)
	v_cndmask_b32_e64 v6, 0, v6, s6
	buffer_store_dword v6, off, s[0:3], s32 offset:796 ; 4-byte Folded Spill
.LBB216_2730:                           ;   in Loop: Header=BB216_2083 Depth=1
	s_or_b32 exec_lo, exec_lo, s8
	flat_load_dword v6, v[19:20] offset:384
	v_mov_b32_e32 v23, 0
	v_mov_b32_e32 v21, 0
	;; [unrolled: 1-line block ×4, first 2 shown]
	s_waitcnt vmcnt(0) lgkmcnt(0)
	v_cmp_ne_u16_sdwa s8, v6, v9 src0_sel:BYTE_0 src1_sel:DWORD
	s_and_saveexec_b32 s20, s8
	s_cbranch_execz .LBB216_2738
; %bb.2731:                             ;   in Loop: Header=BB216_2083 Depth=1
	v_bfrev_b32_e32 v21, 1
	v_mov_b32_e32 v22, 0
	v_cmp_ne_u16_sdwa s8, v6, v74 src0_sel:BYTE_0 src1_sel:DWORD
	s_and_saveexec_b32 s21, s8
	s_cbranch_execz .LBB216_2737
; %bb.2732:                             ;   in Loop: Header=BB216_2083 Depth=1
	v_mov_b32_e32 v21, 0x7f800001
	v_and_b32_e32 v10, 0x7f, v6
	v_mov_b32_e32 v22, 0
	s_mov_b32 s22, exec_lo
	v_cmpx_ne_u32_e32 0x7f, v10
	s_cbranch_execz .LBB216_2736
; %bb.2733:                             ;   in Loop: Header=BB216_2083 Depth=1
	v_and_b32_e32 v8, 7, v6
	v_lshrrev_b32_e32 v7, 3, v10
	s_mov_b32 s23, exec_lo
	v_cmpx_gt_u32_e32 8, v10
; %bb.2734:                             ;   in Loop: Header=BB216_2083 Depth=1
	v_ffbh_u32_e32 v7, v8
	v_min_u32_e32 v7, 32, v7
	v_subrev_nc_u32_e32 v10, 28, v7
	v_sub_nc_u32_e32 v7, 29, v7
	v_lshlrev_b64 v[10:11], v10, v[8:9]
	v_and_b32_e32 v8, 7, v10
; %bb.2735:                             ;   in Loop: Header=BB216_2083 Depth=1
	s_or_b32 exec_lo, exec_lo, s23
	v_lshlrev_b32_e32 v10, 24, v6
	v_lshlrev_b32_e32 v8, 20, v8
	v_lshl_add_u32 v7, v7, 23, 0x3c000000
	v_and_b32_e32 v10, 0x80000000, v10
	v_or3_b32 v8, v8, v10, v7
	v_mov_b32_e32 v22, v9
	v_mov_b32_e32 v21, v8
.LBB216_2736:                           ;   in Loop: Header=BB216_2083 Depth=1
	s_or_b32 exec_lo, exec_lo, s22
.LBB216_2737:                           ;   in Loop: Header=BB216_2083 Depth=1
	s_or_b32 exec_lo, exec_lo, s21
.LBB216_2738:                           ;   in Loop: Header=BB216_2083 Depth=1
	s_or_b32 exec_lo, exec_lo, s20
	v_cmp_ne_u16_sdwa s8, v6, v9 src0_sel:BYTE_1 src1_sel:DWORD
	s_and_saveexec_b32 s20, s8
	s_cbranch_execz .LBB216_2746
; %bb.2739:                             ;   in Loop: Header=BB216_2083 Depth=1
	v_mov_b32_e32 v11, v9
	v_mov_b32_e32 v24, v12
	v_cmp_ne_u16_sdwa s8, v6, v74 src0_sel:BYTE_1 src1_sel:DWORD
	v_mov_b32_e32 v23, v11
	s_and_saveexec_b32 s21, s8
	s_cbranch_execz .LBB216_2745
; %bb.2740:                             ;   in Loop: Header=BB216_2083 Depth=1
	v_and_b32_sdwa v7, v75, v6 dst_sel:DWORD dst_unused:UNUSED_PAD src0_sel:DWORD src1_sel:BYTE_1
	v_mov_b32_e32 v13, v9
	v_mov_b32_e32 v24, v14
	s_mov_b32 s22, exec_lo
	v_and_b32_e32 v10, 0x7f, v7
	v_mov_b32_e32 v23, v13
	v_cmpx_ne_u32_e32 0x7f, v10
	s_cbranch_execz .LBB216_2744
; %bb.2741:                             ;   in Loop: Header=BB216_2083 Depth=1
	v_and_b32_e32 v8, 7, v7
	v_lshrrev_b32_e32 v7, 3, v10
	s_mov_b32 s23, exec_lo
	v_cmpx_gt_u32_e32 8, v10
; %bb.2742:                             ;   in Loop: Header=BB216_2083 Depth=1
	v_ffbh_u32_e32 v7, v8
	v_min_u32_e32 v7, 32, v7
	v_subrev_nc_u32_e32 v10, 28, v7
	v_sub_nc_u32_e32 v7, 29, v7
	v_lshlrev_b64 v[10:11], v10, v[8:9]
	v_and_b32_e32 v8, 7, v10
; %bb.2743:                             ;   in Loop: Header=BB216_2083 Depth=1
	s_or_b32 exec_lo, exec_lo, s23
	v_lshlrev_b32_e32 v10, 16, v6
	v_lshlrev_b32_e32 v8, 20, v8
	v_lshl_add_u32 v7, v7, 23, 0x3c000000
	v_mov_b32_e32 v23, v9
	v_and_b32_e32 v10, 0x80000000, v10
	v_or3_b32 v24, v8, v10, v7
.LBB216_2744:                           ;   in Loop: Header=BB216_2083 Depth=1
	s_or_b32 exec_lo, exec_lo, s22
.LBB216_2745:                           ;   in Loop: Header=BB216_2083 Depth=1
	s_or_b32 exec_lo, exec_lo, s21
.LBB216_2746:                           ;   in Loop: Header=BB216_2083 Depth=1
	s_or_b32 exec_lo, exec_lo, s20
	v_mov_b32_e32 v10, 0
	v_mov_b32_e32 v25, 0
	v_and_b32_sdwa v7, v6, v76 dst_sel:DWORD dst_unused:UNUSED_PAD src0_sel:WORD_1 src1_sel:DWORD
	v_mov_b32_e32 v11, 0
	v_mov_b32_e32 v26, 0
	s_mov_b32 s20, exec_lo
	v_cmpx_ne_u16_e32 0, v7
	s_cbranch_execz .LBB216_2754
; %bb.2747:                             ;   in Loop: Header=BB216_2083 Depth=1
	v_bfrev_b32_e32 v25, 1
	v_mov_b32_e32 v26, 0
	s_mov_b32 s21, exec_lo
	v_cmpx_ne_u16_e32 0x80, v7
	s_cbranch_execz .LBB216_2753
; %bb.2748:                             ;   in Loop: Header=BB216_2083 Depth=1
	v_mov_b32_e32 v25, 0x7f800001
	v_bfe_u32 v13, v6, 16, 7
	v_mov_b32_e32 v26, 0
	s_mov_b32 s22, exec_lo
	v_cmpx_ne_u32_e32 0x7f, v13
	s_cbranch_execz .LBB216_2752
; %bb.2749:                             ;   in Loop: Header=BB216_2083 Depth=1
	v_and_b32_sdwa v8, v6, v77 dst_sel:DWORD dst_unused:UNUSED_PAD src0_sel:WORD_1 src1_sel:DWORD
	v_lshrrev_b32_e32 v7, 3, v13
	s_mov_b32 s23, exec_lo
	v_cmpx_gt_u32_e32 8, v13
; %bb.2750:                             ;   in Loop: Header=BB216_2083 Depth=1
	v_ffbh_u32_e32 v7, v8
	v_min_u32_e32 v7, 32, v7
	v_subrev_nc_u32_e32 v13, 28, v7
	v_sub_nc_u32_e32 v7, 29, v7
	v_lshlrev_b64 v[25:26], v13, v[8:9]
	v_and_b32_e32 v8, 7, v25
; %bb.2751:                             ;   in Loop: Header=BB216_2083 Depth=1
	s_or_b32 exec_lo, exec_lo, s23
	v_lshlrev_b32_sdwa v13, v78, v6 dst_sel:DWORD dst_unused:UNUSED_PAD src0_sel:DWORD src1_sel:WORD_1
	v_lshlrev_b32_e32 v8, 20, v8
	v_lshl_add_u32 v7, v7, 23, 0x3c000000
	v_and_b32_e32 v13, 0x80000000, v13
	v_or3_b32 v8, v8, v13, v7
	v_mov_b32_e32 v26, v9
	v_mov_b32_e32 v25, v8
.LBB216_2752:                           ;   in Loop: Header=BB216_2083 Depth=1
	s_or_b32 exec_lo, exec_lo, s22
.LBB216_2753:                           ;   in Loop: Header=BB216_2083 Depth=1
	s_or_b32 exec_lo, exec_lo, s21
.LBB216_2754:                           ;   in Loop: Header=BB216_2083 Depth=1
	s_or_b32 exec_lo, exec_lo, s20
	s_mov_b32 s20, exec_lo
	v_cmpx_lt_u32_e32 0xffffff, v6
	s_cbranch_execz .LBB216_2762
; %bb.2755:                             ;   in Loop: Header=BB216_2083 Depth=1
	v_mov_b32_e32 v11, v9
	v_cmp_ne_u32_sdwa s8, v6, v74 src0_sel:BYTE_3 src1_sel:DWORD
	v_mov_b32_e32 v10, v11
	v_mov_b32_e32 v11, v12
	s_and_saveexec_b32 s21, s8
	s_cbranch_execz .LBB216_2761
; %bb.2756:                             ;   in Loop: Header=BB216_2083 Depth=1
	v_mov_b32_e32 v13, v9
	v_bfe_u32 v30, v6, 24, 7
	s_mov_b32 s22, exec_lo
	v_mov_b32_e32 v10, v13
	v_mov_b32_e32 v11, v14
	v_cmpx_ne_u32_e32 0x7f, v30
	s_cbranch_execz .LBB216_2760
; %bb.2757:                             ;   in Loop: Header=BB216_2083 Depth=1
	v_and_b32_sdwa v8, v6, v77 dst_sel:DWORD dst_unused:UNUSED_PAD src0_sel:BYTE_3 src1_sel:DWORD
	v_lshrrev_b32_e32 v7, 3, v30
	s_mov_b32 s23, exec_lo
	v_cmpx_gt_u32_e32 8, v30
; %bb.2758:                             ;   in Loop: Header=BB216_2083 Depth=1
	v_ffbh_u32_e32 v7, v8
	v_min_u32_e32 v7, 32, v7
	v_subrev_nc_u32_e32 v10, 28, v7
	v_sub_nc_u32_e32 v7, 29, v7
	v_lshlrev_b64 v[10:11], v10, v[8:9]
	v_and_b32_e32 v8, 7, v10
; %bb.2759:                             ;   in Loop: Header=BB216_2083 Depth=1
	s_or_b32 exec_lo, exec_lo, s23
	v_lshlrev_b32_sdwa v6, v78, v6 dst_sel:DWORD dst_unused:UNUSED_PAD src0_sel:DWORD src1_sel:BYTE_3
	v_lshlrev_b32_e32 v8, 20, v8
	v_lshl_add_u32 v7, v7, 23, 0x3c000000
	v_mov_b32_e32 v10, v9
	v_and_b32_e32 v6, 0x80000000, v6
	v_or3_b32 v11, v8, v6, v7
.LBB216_2760:                           ;   in Loop: Header=BB216_2083 Depth=1
	s_or_b32 exec_lo, exec_lo, s22
.LBB216_2761:                           ;   in Loop: Header=BB216_2083 Depth=1
	s_or_b32 exec_lo, exec_lo, s21
.LBB216_2762:                           ;   in Loop: Header=BB216_2083 Depth=1
	s_or_b32 exec_lo, exec_lo, s20
	v_or_b32_e32 v6, v24, v22
	v_or_b32_e32 v7, v23, v21
	;; [unrolled: 1-line block ×4, first 2 shown]
	v_mul_f32_e32 v6, v106, v6
	buffer_store_dword v6, off, s[0:3], s32 offset:852 ; 4-byte Folded Spill
	v_mul_f32_e32 v6, v106, v7
	buffer_store_dword v6, off, s[0:3], s32 offset:844 ; 4-byte Folded Spill
	;; [unrolled: 2-line block ×4, first 2 shown]
	s_and_saveexec_b32 s8, s7
	s_cbranch_execz .LBB216_2764
; %bb.2763:                             ;   in Loop: Header=BB216_2083 Depth=1
	buffer_load_dword v6, off, s[0:3], s32 offset:844 ; 4-byte Folded Reload
	s_waitcnt vmcnt(0)
	v_cndmask_b32_e32 v6, 0, v6, vcc_lo
	buffer_store_dword v6, off, s[0:3], s32 offset:844 ; 4-byte Folded Spill
	buffer_load_dword v6, off, s[0:3], s32 offset:852 ; 4-byte Folded Reload
	s_waitcnt vmcnt(0)
	v_cndmask_b32_e64 v6, 0, v6, s4
	buffer_store_dword v6, off, s[0:3], s32 offset:852 ; 4-byte Folded Spill
	buffer_load_dword v6, off, s[0:3], s32 offset:836 ; 4-byte Folded Reload
	s_waitcnt vmcnt(0)
	v_cndmask_b32_e64 v6, 0, v6, s5
	;; [unrolled: 4-line block ×3, first 2 shown]
	buffer_store_dword v6, off, s[0:3], s32 offset:828 ; 4-byte Folded Spill
.LBB216_2764:                           ;   in Loop: Header=BB216_2083 Depth=1
	s_or_b32 exec_lo, exec_lo, s8
	flat_load_dword v6, v[19:20] offset:512
	v_mov_b32_e32 v23, 0
	v_mov_b32_e32 v21, 0
	;; [unrolled: 1-line block ×4, first 2 shown]
	s_waitcnt vmcnt(0) lgkmcnt(0)
	v_cmp_ne_u16_sdwa s8, v6, v9 src0_sel:BYTE_0 src1_sel:DWORD
	s_and_saveexec_b32 s20, s8
	s_cbranch_execz .LBB216_2772
; %bb.2765:                             ;   in Loop: Header=BB216_2083 Depth=1
	v_bfrev_b32_e32 v21, 1
	v_mov_b32_e32 v22, 0
	v_cmp_ne_u16_sdwa s8, v6, v74 src0_sel:BYTE_0 src1_sel:DWORD
	s_and_saveexec_b32 s21, s8
	s_cbranch_execz .LBB216_2771
; %bb.2766:                             ;   in Loop: Header=BB216_2083 Depth=1
	v_mov_b32_e32 v21, 0x7f800001
	v_and_b32_e32 v10, 0x7f, v6
	v_mov_b32_e32 v22, 0
	s_mov_b32 s22, exec_lo
	v_cmpx_ne_u32_e32 0x7f, v10
	s_cbranch_execz .LBB216_2770
; %bb.2767:                             ;   in Loop: Header=BB216_2083 Depth=1
	v_and_b32_e32 v8, 7, v6
	v_lshrrev_b32_e32 v7, 3, v10
	s_mov_b32 s23, exec_lo
	v_cmpx_gt_u32_e32 8, v10
; %bb.2768:                             ;   in Loop: Header=BB216_2083 Depth=1
	v_ffbh_u32_e32 v7, v8
	v_min_u32_e32 v7, 32, v7
	v_subrev_nc_u32_e32 v10, 28, v7
	v_sub_nc_u32_e32 v7, 29, v7
	v_lshlrev_b64 v[10:11], v10, v[8:9]
	v_and_b32_e32 v8, 7, v10
; %bb.2769:                             ;   in Loop: Header=BB216_2083 Depth=1
	s_or_b32 exec_lo, exec_lo, s23
	v_lshlrev_b32_e32 v10, 24, v6
	v_lshlrev_b32_e32 v8, 20, v8
	v_lshl_add_u32 v7, v7, 23, 0x3c000000
	v_and_b32_e32 v10, 0x80000000, v10
	v_or3_b32 v8, v8, v10, v7
	v_mov_b32_e32 v22, v9
	v_mov_b32_e32 v21, v8
.LBB216_2770:                           ;   in Loop: Header=BB216_2083 Depth=1
	s_or_b32 exec_lo, exec_lo, s22
.LBB216_2771:                           ;   in Loop: Header=BB216_2083 Depth=1
	s_or_b32 exec_lo, exec_lo, s21
.LBB216_2772:                           ;   in Loop: Header=BB216_2083 Depth=1
	s_or_b32 exec_lo, exec_lo, s20
	v_cmp_ne_u16_sdwa s8, v6, v9 src0_sel:BYTE_1 src1_sel:DWORD
	s_and_saveexec_b32 s20, s8
	s_cbranch_execz .LBB216_2780
; %bb.2773:                             ;   in Loop: Header=BB216_2083 Depth=1
	v_mov_b32_e32 v11, v9
	v_mov_b32_e32 v24, v12
	v_cmp_ne_u16_sdwa s8, v6, v74 src0_sel:BYTE_1 src1_sel:DWORD
	v_mov_b32_e32 v23, v11
	s_and_saveexec_b32 s21, s8
	s_cbranch_execz .LBB216_2779
; %bb.2774:                             ;   in Loop: Header=BB216_2083 Depth=1
	v_and_b32_sdwa v7, v75, v6 dst_sel:DWORD dst_unused:UNUSED_PAD src0_sel:DWORD src1_sel:BYTE_1
	v_mov_b32_e32 v13, v9
	v_mov_b32_e32 v24, v14
	s_mov_b32 s22, exec_lo
	v_and_b32_e32 v10, 0x7f, v7
	v_mov_b32_e32 v23, v13
	v_cmpx_ne_u32_e32 0x7f, v10
	s_cbranch_execz .LBB216_2778
; %bb.2775:                             ;   in Loop: Header=BB216_2083 Depth=1
	v_and_b32_e32 v8, 7, v7
	v_lshrrev_b32_e32 v7, 3, v10
	s_mov_b32 s23, exec_lo
	v_cmpx_gt_u32_e32 8, v10
; %bb.2776:                             ;   in Loop: Header=BB216_2083 Depth=1
	v_ffbh_u32_e32 v7, v8
	v_min_u32_e32 v7, 32, v7
	v_subrev_nc_u32_e32 v10, 28, v7
	v_sub_nc_u32_e32 v7, 29, v7
	v_lshlrev_b64 v[10:11], v10, v[8:9]
	v_and_b32_e32 v8, 7, v10
; %bb.2777:                             ;   in Loop: Header=BB216_2083 Depth=1
	s_or_b32 exec_lo, exec_lo, s23
	v_lshlrev_b32_e32 v10, 16, v6
	v_lshlrev_b32_e32 v8, 20, v8
	v_lshl_add_u32 v7, v7, 23, 0x3c000000
	v_mov_b32_e32 v23, v9
	v_and_b32_e32 v10, 0x80000000, v10
	v_or3_b32 v24, v8, v10, v7
.LBB216_2778:                           ;   in Loop: Header=BB216_2083 Depth=1
	s_or_b32 exec_lo, exec_lo, s22
.LBB216_2779:                           ;   in Loop: Header=BB216_2083 Depth=1
	s_or_b32 exec_lo, exec_lo, s21
.LBB216_2780:                           ;   in Loop: Header=BB216_2083 Depth=1
	s_or_b32 exec_lo, exec_lo, s20
	v_mov_b32_e32 v10, 0
	v_mov_b32_e32 v25, 0
	v_and_b32_sdwa v7, v6, v76 dst_sel:DWORD dst_unused:UNUSED_PAD src0_sel:WORD_1 src1_sel:DWORD
	v_mov_b32_e32 v11, 0
	v_mov_b32_e32 v26, 0
	s_mov_b32 s20, exec_lo
	v_cmpx_ne_u16_e32 0, v7
	s_cbranch_execz .LBB216_2788
; %bb.2781:                             ;   in Loop: Header=BB216_2083 Depth=1
	v_bfrev_b32_e32 v25, 1
	v_mov_b32_e32 v26, 0
	s_mov_b32 s21, exec_lo
	v_cmpx_ne_u16_e32 0x80, v7
	s_cbranch_execz .LBB216_2787
; %bb.2782:                             ;   in Loop: Header=BB216_2083 Depth=1
	v_mov_b32_e32 v25, 0x7f800001
	v_bfe_u32 v13, v6, 16, 7
	v_mov_b32_e32 v26, 0
	s_mov_b32 s22, exec_lo
	v_cmpx_ne_u32_e32 0x7f, v13
	s_cbranch_execz .LBB216_2786
; %bb.2783:                             ;   in Loop: Header=BB216_2083 Depth=1
	v_and_b32_sdwa v8, v6, v77 dst_sel:DWORD dst_unused:UNUSED_PAD src0_sel:WORD_1 src1_sel:DWORD
	v_lshrrev_b32_e32 v7, 3, v13
	s_mov_b32 s23, exec_lo
	v_cmpx_gt_u32_e32 8, v13
; %bb.2784:                             ;   in Loop: Header=BB216_2083 Depth=1
	v_ffbh_u32_e32 v7, v8
	v_min_u32_e32 v7, 32, v7
	v_subrev_nc_u32_e32 v13, 28, v7
	v_sub_nc_u32_e32 v7, 29, v7
	v_lshlrev_b64 v[25:26], v13, v[8:9]
	v_and_b32_e32 v8, 7, v25
; %bb.2785:                             ;   in Loop: Header=BB216_2083 Depth=1
	s_or_b32 exec_lo, exec_lo, s23
	v_lshlrev_b32_sdwa v13, v78, v6 dst_sel:DWORD dst_unused:UNUSED_PAD src0_sel:DWORD src1_sel:WORD_1
	v_lshlrev_b32_e32 v8, 20, v8
	v_lshl_add_u32 v7, v7, 23, 0x3c000000
	v_and_b32_e32 v13, 0x80000000, v13
	v_or3_b32 v8, v8, v13, v7
	v_mov_b32_e32 v26, v9
	v_mov_b32_e32 v25, v8
.LBB216_2786:                           ;   in Loop: Header=BB216_2083 Depth=1
	s_or_b32 exec_lo, exec_lo, s22
.LBB216_2787:                           ;   in Loop: Header=BB216_2083 Depth=1
	s_or_b32 exec_lo, exec_lo, s21
.LBB216_2788:                           ;   in Loop: Header=BB216_2083 Depth=1
	s_or_b32 exec_lo, exec_lo, s20
	s_mov_b32 s20, exec_lo
	v_cmpx_lt_u32_e32 0xffffff, v6
	s_cbranch_execz .LBB216_2796
; %bb.2789:                             ;   in Loop: Header=BB216_2083 Depth=1
	v_mov_b32_e32 v11, v9
	v_cmp_ne_u32_sdwa s8, v6, v74 src0_sel:BYTE_3 src1_sel:DWORD
	v_mov_b32_e32 v10, v11
	v_mov_b32_e32 v11, v12
	s_and_saveexec_b32 s21, s8
	s_cbranch_execz .LBB216_2795
; %bb.2790:                             ;   in Loop: Header=BB216_2083 Depth=1
	v_mov_b32_e32 v13, v9
	v_bfe_u32 v30, v6, 24, 7
	s_mov_b32 s22, exec_lo
	v_mov_b32_e32 v10, v13
	v_mov_b32_e32 v11, v14
	v_cmpx_ne_u32_e32 0x7f, v30
	s_cbranch_execz .LBB216_2794
; %bb.2791:                             ;   in Loop: Header=BB216_2083 Depth=1
	v_and_b32_sdwa v8, v6, v77 dst_sel:DWORD dst_unused:UNUSED_PAD src0_sel:BYTE_3 src1_sel:DWORD
	v_lshrrev_b32_e32 v7, 3, v30
	s_mov_b32 s23, exec_lo
	v_cmpx_gt_u32_e32 8, v30
; %bb.2792:                             ;   in Loop: Header=BB216_2083 Depth=1
	v_ffbh_u32_e32 v7, v8
	v_min_u32_e32 v7, 32, v7
	v_subrev_nc_u32_e32 v10, 28, v7
	v_sub_nc_u32_e32 v7, 29, v7
	v_lshlrev_b64 v[10:11], v10, v[8:9]
	v_and_b32_e32 v8, 7, v10
; %bb.2793:                             ;   in Loop: Header=BB216_2083 Depth=1
	s_or_b32 exec_lo, exec_lo, s23
	v_lshlrev_b32_sdwa v6, v78, v6 dst_sel:DWORD dst_unused:UNUSED_PAD src0_sel:DWORD src1_sel:BYTE_3
	v_lshlrev_b32_e32 v8, 20, v8
	v_lshl_add_u32 v7, v7, 23, 0x3c000000
	v_mov_b32_e32 v10, v9
	v_and_b32_e32 v6, 0x80000000, v6
	v_or3_b32 v11, v8, v6, v7
.LBB216_2794:                           ;   in Loop: Header=BB216_2083 Depth=1
	s_or_b32 exec_lo, exec_lo, s22
.LBB216_2795:                           ;   in Loop: Header=BB216_2083 Depth=1
	s_or_b32 exec_lo, exec_lo, s21
.LBB216_2796:                           ;   in Loop: Header=BB216_2083 Depth=1
	s_or_b32 exec_lo, exec_lo, s20
	v_or_b32_e32 v6, v24, v22
	v_or_b32_e32 v7, v23, v21
	v_or_b32_e32 v8, v10, v25
	v_or_b32_e32 v10, v11, v26
	v_mul_f32_e32 v6, v106, v6
	buffer_store_dword v6, off, s[0:3], s32 offset:884 ; 4-byte Folded Spill
	v_mul_f32_e32 v6, v106, v7
	buffer_store_dword v6, off, s[0:3], s32 offset:876 ; 4-byte Folded Spill
	;; [unrolled: 2-line block ×4, first 2 shown]
	s_and_saveexec_b32 s8, s7
	s_cbranch_execz .LBB216_2798
; %bb.2797:                             ;   in Loop: Header=BB216_2083 Depth=1
	buffer_load_dword v6, off, s[0:3], s32 offset:876 ; 4-byte Folded Reload
	s_waitcnt vmcnt(0)
	v_cndmask_b32_e32 v6, 0, v6, vcc_lo
	buffer_store_dword v6, off, s[0:3], s32 offset:876 ; 4-byte Folded Spill
	buffer_load_dword v6, off, s[0:3], s32 offset:884 ; 4-byte Folded Reload
	s_waitcnt vmcnt(0)
	v_cndmask_b32_e64 v6, 0, v6, s4
	buffer_store_dword v6, off, s[0:3], s32 offset:884 ; 4-byte Folded Spill
	buffer_load_dword v6, off, s[0:3], s32 offset:868 ; 4-byte Folded Reload
	s_waitcnt vmcnt(0)
	v_cndmask_b32_e64 v6, 0, v6, s5
	;; [unrolled: 4-line block ×3, first 2 shown]
	buffer_store_dword v6, off, s[0:3], s32 offset:860 ; 4-byte Folded Spill
.LBB216_2798:                           ;   in Loop: Header=BB216_2083 Depth=1
	s_or_b32 exec_lo, exec_lo, s8
	flat_load_dword v6, v[19:20] offset:640
	v_mov_b32_e32 v23, 0
	v_mov_b32_e32 v21, 0
	;; [unrolled: 1-line block ×4, first 2 shown]
	s_waitcnt vmcnt(0) lgkmcnt(0)
	v_cmp_ne_u16_sdwa s8, v6, v9 src0_sel:BYTE_0 src1_sel:DWORD
	s_and_saveexec_b32 s20, s8
	s_cbranch_execz .LBB216_2806
; %bb.2799:                             ;   in Loop: Header=BB216_2083 Depth=1
	v_bfrev_b32_e32 v21, 1
	v_mov_b32_e32 v22, 0
	v_cmp_ne_u16_sdwa s8, v6, v74 src0_sel:BYTE_0 src1_sel:DWORD
	s_and_saveexec_b32 s21, s8
	s_cbranch_execz .LBB216_2805
; %bb.2800:                             ;   in Loop: Header=BB216_2083 Depth=1
	v_mov_b32_e32 v21, 0x7f800001
	v_and_b32_e32 v10, 0x7f, v6
	v_mov_b32_e32 v22, 0
	s_mov_b32 s22, exec_lo
	v_cmpx_ne_u32_e32 0x7f, v10
	s_cbranch_execz .LBB216_2804
; %bb.2801:                             ;   in Loop: Header=BB216_2083 Depth=1
	v_and_b32_e32 v8, 7, v6
	v_lshrrev_b32_e32 v7, 3, v10
	s_mov_b32 s23, exec_lo
	v_cmpx_gt_u32_e32 8, v10
; %bb.2802:                             ;   in Loop: Header=BB216_2083 Depth=1
	v_ffbh_u32_e32 v7, v8
	v_min_u32_e32 v7, 32, v7
	v_subrev_nc_u32_e32 v10, 28, v7
	v_sub_nc_u32_e32 v7, 29, v7
	v_lshlrev_b64 v[10:11], v10, v[8:9]
	v_and_b32_e32 v8, 7, v10
; %bb.2803:                             ;   in Loop: Header=BB216_2083 Depth=1
	s_or_b32 exec_lo, exec_lo, s23
	v_lshlrev_b32_e32 v10, 24, v6
	v_lshlrev_b32_e32 v8, 20, v8
	v_lshl_add_u32 v7, v7, 23, 0x3c000000
	v_and_b32_e32 v10, 0x80000000, v10
	v_or3_b32 v8, v8, v10, v7
	v_mov_b32_e32 v22, v9
	v_mov_b32_e32 v21, v8
.LBB216_2804:                           ;   in Loop: Header=BB216_2083 Depth=1
	s_or_b32 exec_lo, exec_lo, s22
.LBB216_2805:                           ;   in Loop: Header=BB216_2083 Depth=1
	s_or_b32 exec_lo, exec_lo, s21
.LBB216_2806:                           ;   in Loop: Header=BB216_2083 Depth=1
	s_or_b32 exec_lo, exec_lo, s20
	v_cmp_ne_u16_sdwa s8, v6, v9 src0_sel:BYTE_1 src1_sel:DWORD
	s_and_saveexec_b32 s20, s8
	s_cbranch_execz .LBB216_2814
; %bb.2807:                             ;   in Loop: Header=BB216_2083 Depth=1
	v_mov_b32_e32 v11, v9
	v_mov_b32_e32 v24, v12
	v_cmp_ne_u16_sdwa s8, v6, v74 src0_sel:BYTE_1 src1_sel:DWORD
	v_mov_b32_e32 v23, v11
	s_and_saveexec_b32 s21, s8
	s_cbranch_execz .LBB216_2813
; %bb.2808:                             ;   in Loop: Header=BB216_2083 Depth=1
	v_and_b32_sdwa v7, v75, v6 dst_sel:DWORD dst_unused:UNUSED_PAD src0_sel:DWORD src1_sel:BYTE_1
	v_mov_b32_e32 v13, v9
	v_mov_b32_e32 v24, v14
	s_mov_b32 s22, exec_lo
	v_and_b32_e32 v10, 0x7f, v7
	v_mov_b32_e32 v23, v13
	v_cmpx_ne_u32_e32 0x7f, v10
	s_cbranch_execz .LBB216_2812
; %bb.2809:                             ;   in Loop: Header=BB216_2083 Depth=1
	v_and_b32_e32 v8, 7, v7
	v_lshrrev_b32_e32 v7, 3, v10
	s_mov_b32 s23, exec_lo
	v_cmpx_gt_u32_e32 8, v10
; %bb.2810:                             ;   in Loop: Header=BB216_2083 Depth=1
	v_ffbh_u32_e32 v7, v8
	v_min_u32_e32 v7, 32, v7
	v_subrev_nc_u32_e32 v10, 28, v7
	v_sub_nc_u32_e32 v7, 29, v7
	v_lshlrev_b64 v[10:11], v10, v[8:9]
	v_and_b32_e32 v8, 7, v10
; %bb.2811:                             ;   in Loop: Header=BB216_2083 Depth=1
	s_or_b32 exec_lo, exec_lo, s23
	v_lshlrev_b32_e32 v10, 16, v6
	v_lshlrev_b32_e32 v8, 20, v8
	v_lshl_add_u32 v7, v7, 23, 0x3c000000
	v_mov_b32_e32 v23, v9
	v_and_b32_e32 v10, 0x80000000, v10
	v_or3_b32 v24, v8, v10, v7
.LBB216_2812:                           ;   in Loop: Header=BB216_2083 Depth=1
	s_or_b32 exec_lo, exec_lo, s22
.LBB216_2813:                           ;   in Loop: Header=BB216_2083 Depth=1
	s_or_b32 exec_lo, exec_lo, s21
.LBB216_2814:                           ;   in Loop: Header=BB216_2083 Depth=1
	s_or_b32 exec_lo, exec_lo, s20
	v_mov_b32_e32 v10, 0
	v_mov_b32_e32 v25, 0
	v_and_b32_sdwa v7, v6, v76 dst_sel:DWORD dst_unused:UNUSED_PAD src0_sel:WORD_1 src1_sel:DWORD
	v_mov_b32_e32 v11, 0
	v_mov_b32_e32 v26, 0
	s_mov_b32 s20, exec_lo
	v_cmpx_ne_u16_e32 0, v7
	s_cbranch_execz .LBB216_2822
; %bb.2815:                             ;   in Loop: Header=BB216_2083 Depth=1
	v_bfrev_b32_e32 v25, 1
	v_mov_b32_e32 v26, 0
	s_mov_b32 s21, exec_lo
	v_cmpx_ne_u16_e32 0x80, v7
	s_cbranch_execz .LBB216_2821
; %bb.2816:                             ;   in Loop: Header=BB216_2083 Depth=1
	v_mov_b32_e32 v25, 0x7f800001
	v_bfe_u32 v13, v6, 16, 7
	v_mov_b32_e32 v26, 0
	s_mov_b32 s22, exec_lo
	v_cmpx_ne_u32_e32 0x7f, v13
	s_cbranch_execz .LBB216_2820
; %bb.2817:                             ;   in Loop: Header=BB216_2083 Depth=1
	v_and_b32_sdwa v8, v6, v77 dst_sel:DWORD dst_unused:UNUSED_PAD src0_sel:WORD_1 src1_sel:DWORD
	v_lshrrev_b32_e32 v7, 3, v13
	s_mov_b32 s23, exec_lo
	v_cmpx_gt_u32_e32 8, v13
; %bb.2818:                             ;   in Loop: Header=BB216_2083 Depth=1
	v_ffbh_u32_e32 v7, v8
	v_min_u32_e32 v7, 32, v7
	v_subrev_nc_u32_e32 v13, 28, v7
	v_sub_nc_u32_e32 v7, 29, v7
	v_lshlrev_b64 v[25:26], v13, v[8:9]
	v_and_b32_e32 v8, 7, v25
; %bb.2819:                             ;   in Loop: Header=BB216_2083 Depth=1
	s_or_b32 exec_lo, exec_lo, s23
	v_lshlrev_b32_sdwa v13, v78, v6 dst_sel:DWORD dst_unused:UNUSED_PAD src0_sel:DWORD src1_sel:WORD_1
	v_lshlrev_b32_e32 v8, 20, v8
	v_lshl_add_u32 v7, v7, 23, 0x3c000000
	v_and_b32_e32 v13, 0x80000000, v13
	v_or3_b32 v8, v8, v13, v7
	v_mov_b32_e32 v26, v9
	v_mov_b32_e32 v25, v8
.LBB216_2820:                           ;   in Loop: Header=BB216_2083 Depth=1
	s_or_b32 exec_lo, exec_lo, s22
.LBB216_2821:                           ;   in Loop: Header=BB216_2083 Depth=1
	s_or_b32 exec_lo, exec_lo, s21
.LBB216_2822:                           ;   in Loop: Header=BB216_2083 Depth=1
	s_or_b32 exec_lo, exec_lo, s20
	s_mov_b32 s20, exec_lo
	v_cmpx_lt_u32_e32 0xffffff, v6
	s_cbranch_execz .LBB216_2830
; %bb.2823:                             ;   in Loop: Header=BB216_2083 Depth=1
	v_mov_b32_e32 v11, v9
	v_cmp_ne_u32_sdwa s8, v6, v74 src0_sel:BYTE_3 src1_sel:DWORD
	v_mov_b32_e32 v10, v11
	v_mov_b32_e32 v11, v12
	s_and_saveexec_b32 s21, s8
	s_cbranch_execz .LBB216_2829
; %bb.2824:                             ;   in Loop: Header=BB216_2083 Depth=1
	v_mov_b32_e32 v13, v9
	v_bfe_u32 v30, v6, 24, 7
	s_mov_b32 s22, exec_lo
	v_mov_b32_e32 v10, v13
	v_mov_b32_e32 v11, v14
	v_cmpx_ne_u32_e32 0x7f, v30
	s_cbranch_execz .LBB216_2828
; %bb.2825:                             ;   in Loop: Header=BB216_2083 Depth=1
	v_and_b32_sdwa v8, v6, v77 dst_sel:DWORD dst_unused:UNUSED_PAD src0_sel:BYTE_3 src1_sel:DWORD
	v_lshrrev_b32_e32 v7, 3, v30
	s_mov_b32 s23, exec_lo
	v_cmpx_gt_u32_e32 8, v30
; %bb.2826:                             ;   in Loop: Header=BB216_2083 Depth=1
	v_ffbh_u32_e32 v7, v8
	v_min_u32_e32 v7, 32, v7
	v_subrev_nc_u32_e32 v10, 28, v7
	v_sub_nc_u32_e32 v7, 29, v7
	v_lshlrev_b64 v[10:11], v10, v[8:9]
	v_and_b32_e32 v8, 7, v10
; %bb.2827:                             ;   in Loop: Header=BB216_2083 Depth=1
	s_or_b32 exec_lo, exec_lo, s23
	v_lshlrev_b32_sdwa v6, v78, v6 dst_sel:DWORD dst_unused:UNUSED_PAD src0_sel:DWORD src1_sel:BYTE_3
	v_lshlrev_b32_e32 v8, 20, v8
	v_lshl_add_u32 v7, v7, 23, 0x3c000000
	v_mov_b32_e32 v10, v9
	v_and_b32_e32 v6, 0x80000000, v6
	v_or3_b32 v11, v8, v6, v7
.LBB216_2828:                           ;   in Loop: Header=BB216_2083 Depth=1
	s_or_b32 exec_lo, exec_lo, s22
.LBB216_2829:                           ;   in Loop: Header=BB216_2083 Depth=1
	s_or_b32 exec_lo, exec_lo, s21
.LBB216_2830:                           ;   in Loop: Header=BB216_2083 Depth=1
	s_or_b32 exec_lo, exec_lo, s20
	v_or_b32_e32 v6, v24, v22
	v_or_b32_e32 v7, v23, v21
	v_or_b32_e32 v8, v10, v25
	v_or_b32_e32 v10, v11, v26
	v_mul_f32_e32 v6, v106, v6
	buffer_store_dword v6, off, s[0:3], s32 offset:916 ; 4-byte Folded Spill
	v_mul_f32_e32 v6, v106, v7
	buffer_store_dword v6, off, s[0:3], s32 offset:908 ; 4-byte Folded Spill
	;; [unrolled: 2-line block ×4, first 2 shown]
	s_and_saveexec_b32 s8, s7
	s_cbranch_execz .LBB216_2832
; %bb.2831:                             ;   in Loop: Header=BB216_2083 Depth=1
	buffer_load_dword v6, off, s[0:3], s32 offset:908 ; 4-byte Folded Reload
	s_waitcnt vmcnt(0)
	v_cndmask_b32_e32 v6, 0, v6, vcc_lo
	buffer_store_dword v6, off, s[0:3], s32 offset:908 ; 4-byte Folded Spill
	buffer_load_dword v6, off, s[0:3], s32 offset:916 ; 4-byte Folded Reload
	s_waitcnt vmcnt(0)
	v_cndmask_b32_e64 v6, 0, v6, s4
	buffer_store_dword v6, off, s[0:3], s32 offset:916 ; 4-byte Folded Spill
	buffer_load_dword v6, off, s[0:3], s32 offset:900 ; 4-byte Folded Reload
	s_waitcnt vmcnt(0)
	v_cndmask_b32_e64 v6, 0, v6, s5
	buffer_store_dword v6, off, s[0:3], s32 offset:900 ; 4-byte Folded Spill
	buffer_load_dword v6, off, s[0:3], s32 offset:892 ; 4-byte Folded Reload
	s_waitcnt vmcnt(0)
	v_cndmask_b32_e64 v6, 0, v6, s6
	buffer_store_dword v6, off, s[0:3], s32 offset:892 ; 4-byte Folded Spill
.LBB216_2832:                           ;   in Loop: Header=BB216_2083 Depth=1
	s_or_b32 exec_lo, exec_lo, s8
	flat_load_dword v6, v[19:20] offset:768
	v_mov_b32_e32 v23, 0
	v_mov_b32_e32 v21, 0
	v_mov_b32_e32 v24, 0
	v_mov_b32_e32 v22, 0
	s_waitcnt vmcnt(0) lgkmcnt(0)
	v_cmp_ne_u16_sdwa s8, v6, v9 src0_sel:BYTE_0 src1_sel:DWORD
	s_and_saveexec_b32 s20, s8
	s_cbranch_execz .LBB216_2840
; %bb.2833:                             ;   in Loop: Header=BB216_2083 Depth=1
	v_bfrev_b32_e32 v21, 1
	v_mov_b32_e32 v22, 0
	v_cmp_ne_u16_sdwa s8, v6, v74 src0_sel:BYTE_0 src1_sel:DWORD
	s_and_saveexec_b32 s21, s8
	s_cbranch_execz .LBB216_2839
; %bb.2834:                             ;   in Loop: Header=BB216_2083 Depth=1
	v_mov_b32_e32 v21, 0x7f800001
	v_and_b32_e32 v10, 0x7f, v6
	v_mov_b32_e32 v22, 0
	s_mov_b32 s22, exec_lo
	v_cmpx_ne_u32_e32 0x7f, v10
	s_cbranch_execz .LBB216_2838
; %bb.2835:                             ;   in Loop: Header=BB216_2083 Depth=1
	v_and_b32_e32 v8, 7, v6
	v_lshrrev_b32_e32 v7, 3, v10
	s_mov_b32 s23, exec_lo
	v_cmpx_gt_u32_e32 8, v10
; %bb.2836:                             ;   in Loop: Header=BB216_2083 Depth=1
	v_ffbh_u32_e32 v7, v8
	v_min_u32_e32 v7, 32, v7
	v_subrev_nc_u32_e32 v10, 28, v7
	v_sub_nc_u32_e32 v7, 29, v7
	v_lshlrev_b64 v[10:11], v10, v[8:9]
	v_and_b32_e32 v8, 7, v10
; %bb.2837:                             ;   in Loop: Header=BB216_2083 Depth=1
	s_or_b32 exec_lo, exec_lo, s23
	v_lshlrev_b32_e32 v10, 24, v6
	v_lshlrev_b32_e32 v8, 20, v8
	v_lshl_add_u32 v7, v7, 23, 0x3c000000
	v_and_b32_e32 v10, 0x80000000, v10
	v_or3_b32 v8, v8, v10, v7
	v_mov_b32_e32 v22, v9
	v_mov_b32_e32 v21, v8
.LBB216_2838:                           ;   in Loop: Header=BB216_2083 Depth=1
	s_or_b32 exec_lo, exec_lo, s22
.LBB216_2839:                           ;   in Loop: Header=BB216_2083 Depth=1
	s_or_b32 exec_lo, exec_lo, s21
.LBB216_2840:                           ;   in Loop: Header=BB216_2083 Depth=1
	s_or_b32 exec_lo, exec_lo, s20
	v_cmp_ne_u16_sdwa s8, v6, v9 src0_sel:BYTE_1 src1_sel:DWORD
	s_and_saveexec_b32 s20, s8
	s_cbranch_execz .LBB216_2848
; %bb.2841:                             ;   in Loop: Header=BB216_2083 Depth=1
	v_mov_b32_e32 v11, v9
	v_mov_b32_e32 v24, v12
	v_cmp_ne_u16_sdwa s8, v6, v74 src0_sel:BYTE_1 src1_sel:DWORD
	v_mov_b32_e32 v23, v11
	s_and_saveexec_b32 s21, s8
	s_cbranch_execz .LBB216_2847
; %bb.2842:                             ;   in Loop: Header=BB216_2083 Depth=1
	v_and_b32_sdwa v7, v75, v6 dst_sel:DWORD dst_unused:UNUSED_PAD src0_sel:DWORD src1_sel:BYTE_1
	v_mov_b32_e32 v13, v9
	v_mov_b32_e32 v24, v14
	s_mov_b32 s22, exec_lo
	v_and_b32_e32 v10, 0x7f, v7
	v_mov_b32_e32 v23, v13
	v_cmpx_ne_u32_e32 0x7f, v10
	s_cbranch_execz .LBB216_2846
; %bb.2843:                             ;   in Loop: Header=BB216_2083 Depth=1
	v_and_b32_e32 v8, 7, v7
	v_lshrrev_b32_e32 v7, 3, v10
	s_mov_b32 s23, exec_lo
	v_cmpx_gt_u32_e32 8, v10
; %bb.2844:                             ;   in Loop: Header=BB216_2083 Depth=1
	v_ffbh_u32_e32 v7, v8
	v_min_u32_e32 v7, 32, v7
	v_subrev_nc_u32_e32 v10, 28, v7
	v_sub_nc_u32_e32 v7, 29, v7
	v_lshlrev_b64 v[10:11], v10, v[8:9]
	v_and_b32_e32 v8, 7, v10
; %bb.2845:                             ;   in Loop: Header=BB216_2083 Depth=1
	s_or_b32 exec_lo, exec_lo, s23
	v_lshlrev_b32_e32 v10, 16, v6
	v_lshlrev_b32_e32 v8, 20, v8
	v_lshl_add_u32 v7, v7, 23, 0x3c000000
	v_mov_b32_e32 v23, v9
	v_and_b32_e32 v10, 0x80000000, v10
	v_or3_b32 v24, v8, v10, v7
.LBB216_2846:                           ;   in Loop: Header=BB216_2083 Depth=1
	s_or_b32 exec_lo, exec_lo, s22
.LBB216_2847:                           ;   in Loop: Header=BB216_2083 Depth=1
	s_or_b32 exec_lo, exec_lo, s21
.LBB216_2848:                           ;   in Loop: Header=BB216_2083 Depth=1
	s_or_b32 exec_lo, exec_lo, s20
	v_mov_b32_e32 v10, 0
	v_mov_b32_e32 v25, 0
	v_and_b32_sdwa v7, v6, v76 dst_sel:DWORD dst_unused:UNUSED_PAD src0_sel:WORD_1 src1_sel:DWORD
	v_mov_b32_e32 v11, 0
	v_mov_b32_e32 v26, 0
	s_mov_b32 s20, exec_lo
	v_cmpx_ne_u16_e32 0, v7
	s_cbranch_execz .LBB216_2856
; %bb.2849:                             ;   in Loop: Header=BB216_2083 Depth=1
	v_bfrev_b32_e32 v25, 1
	v_mov_b32_e32 v26, 0
	s_mov_b32 s21, exec_lo
	v_cmpx_ne_u16_e32 0x80, v7
	s_cbranch_execz .LBB216_2855
; %bb.2850:                             ;   in Loop: Header=BB216_2083 Depth=1
	v_mov_b32_e32 v25, 0x7f800001
	v_bfe_u32 v13, v6, 16, 7
	v_mov_b32_e32 v26, 0
	s_mov_b32 s22, exec_lo
	v_cmpx_ne_u32_e32 0x7f, v13
	s_cbranch_execz .LBB216_2854
; %bb.2851:                             ;   in Loop: Header=BB216_2083 Depth=1
	v_and_b32_sdwa v8, v6, v77 dst_sel:DWORD dst_unused:UNUSED_PAD src0_sel:WORD_1 src1_sel:DWORD
	v_lshrrev_b32_e32 v7, 3, v13
	s_mov_b32 s23, exec_lo
	v_cmpx_gt_u32_e32 8, v13
; %bb.2852:                             ;   in Loop: Header=BB216_2083 Depth=1
	v_ffbh_u32_e32 v7, v8
	v_min_u32_e32 v7, 32, v7
	v_subrev_nc_u32_e32 v13, 28, v7
	v_sub_nc_u32_e32 v7, 29, v7
	v_lshlrev_b64 v[25:26], v13, v[8:9]
	v_and_b32_e32 v8, 7, v25
; %bb.2853:                             ;   in Loop: Header=BB216_2083 Depth=1
	s_or_b32 exec_lo, exec_lo, s23
	v_lshlrev_b32_sdwa v13, v78, v6 dst_sel:DWORD dst_unused:UNUSED_PAD src0_sel:DWORD src1_sel:WORD_1
	v_lshlrev_b32_e32 v8, 20, v8
	v_lshl_add_u32 v7, v7, 23, 0x3c000000
	v_and_b32_e32 v13, 0x80000000, v13
	v_or3_b32 v8, v8, v13, v7
	v_mov_b32_e32 v26, v9
	v_mov_b32_e32 v25, v8
.LBB216_2854:                           ;   in Loop: Header=BB216_2083 Depth=1
	s_or_b32 exec_lo, exec_lo, s22
.LBB216_2855:                           ;   in Loop: Header=BB216_2083 Depth=1
	s_or_b32 exec_lo, exec_lo, s21
.LBB216_2856:                           ;   in Loop: Header=BB216_2083 Depth=1
	s_or_b32 exec_lo, exec_lo, s20
	s_mov_b32 s20, exec_lo
	v_cmpx_lt_u32_e32 0xffffff, v6
	s_cbranch_execz .LBB216_2864
; %bb.2857:                             ;   in Loop: Header=BB216_2083 Depth=1
	v_mov_b32_e32 v11, v9
	v_cmp_ne_u32_sdwa s8, v6, v74 src0_sel:BYTE_3 src1_sel:DWORD
	v_mov_b32_e32 v10, v11
	v_mov_b32_e32 v11, v12
	s_and_saveexec_b32 s21, s8
	s_cbranch_execz .LBB216_2863
; %bb.2858:                             ;   in Loop: Header=BB216_2083 Depth=1
	v_mov_b32_e32 v13, v9
	v_bfe_u32 v30, v6, 24, 7
	s_mov_b32 s22, exec_lo
	v_mov_b32_e32 v10, v13
	v_mov_b32_e32 v11, v14
	v_cmpx_ne_u32_e32 0x7f, v30
	s_cbranch_execz .LBB216_2862
; %bb.2859:                             ;   in Loop: Header=BB216_2083 Depth=1
	v_and_b32_sdwa v8, v6, v77 dst_sel:DWORD dst_unused:UNUSED_PAD src0_sel:BYTE_3 src1_sel:DWORD
	v_lshrrev_b32_e32 v7, 3, v30
	s_mov_b32 s23, exec_lo
	v_cmpx_gt_u32_e32 8, v30
; %bb.2860:                             ;   in Loop: Header=BB216_2083 Depth=1
	v_ffbh_u32_e32 v7, v8
	v_min_u32_e32 v7, 32, v7
	v_subrev_nc_u32_e32 v10, 28, v7
	v_sub_nc_u32_e32 v7, 29, v7
	v_lshlrev_b64 v[10:11], v10, v[8:9]
	v_and_b32_e32 v8, 7, v10
; %bb.2861:                             ;   in Loop: Header=BB216_2083 Depth=1
	s_or_b32 exec_lo, exec_lo, s23
	v_lshlrev_b32_sdwa v6, v78, v6 dst_sel:DWORD dst_unused:UNUSED_PAD src0_sel:DWORD src1_sel:BYTE_3
	v_lshlrev_b32_e32 v8, 20, v8
	v_lshl_add_u32 v7, v7, 23, 0x3c000000
	v_mov_b32_e32 v10, v9
	v_and_b32_e32 v6, 0x80000000, v6
	v_or3_b32 v11, v8, v6, v7
.LBB216_2862:                           ;   in Loop: Header=BB216_2083 Depth=1
	s_or_b32 exec_lo, exec_lo, s22
.LBB216_2863:                           ;   in Loop: Header=BB216_2083 Depth=1
	s_or_b32 exec_lo, exec_lo, s21
.LBB216_2864:                           ;   in Loop: Header=BB216_2083 Depth=1
	s_or_b32 exec_lo, exec_lo, s20
	v_or_b32_e32 v6, v24, v22
	v_or_b32_e32 v7, v23, v21
	;; [unrolled: 1-line block ×4, first 2 shown]
	v_mul_f32_e32 v6, v106, v6
	buffer_store_dword v6, off, s[0:3], s32 offset:948 ; 4-byte Folded Spill
	v_mul_f32_e32 v6, v106, v7
	buffer_store_dword v6, off, s[0:3], s32 offset:940 ; 4-byte Folded Spill
	;; [unrolled: 2-line block ×4, first 2 shown]
	s_and_saveexec_b32 s8, s7
	s_cbranch_execz .LBB216_2866
; %bb.2865:                             ;   in Loop: Header=BB216_2083 Depth=1
	buffer_load_dword v6, off, s[0:3], s32 offset:940 ; 4-byte Folded Reload
	s_waitcnt vmcnt(0)
	v_cndmask_b32_e32 v6, 0, v6, vcc_lo
	buffer_store_dword v6, off, s[0:3], s32 offset:940 ; 4-byte Folded Spill
	buffer_load_dword v6, off, s[0:3], s32 offset:948 ; 4-byte Folded Reload
	s_waitcnt vmcnt(0)
	v_cndmask_b32_e64 v6, 0, v6, s4
	buffer_store_dword v6, off, s[0:3], s32 offset:948 ; 4-byte Folded Spill
	buffer_load_dword v6, off, s[0:3], s32 offset:932 ; 4-byte Folded Reload
	s_waitcnt vmcnt(0)
	v_cndmask_b32_e64 v6, 0, v6, s5
	;; [unrolled: 4-line block ×3, first 2 shown]
	buffer_store_dword v6, off, s[0:3], s32 offset:924 ; 4-byte Folded Spill
.LBB216_2866:                           ;   in Loop: Header=BB216_2083 Depth=1
	s_or_b32 exec_lo, exec_lo, s8
	flat_load_dword v6, v[19:20] offset:896
	v_mov_b32_e32 v23, 0
	v_mov_b32_e32 v21, 0
	;; [unrolled: 1-line block ×4, first 2 shown]
	s_waitcnt vmcnt(0) lgkmcnt(0)
	v_cmp_ne_u16_sdwa s8, v6, v9 src0_sel:BYTE_0 src1_sel:DWORD
	s_and_saveexec_b32 s20, s8
	s_cbranch_execz .LBB216_2874
; %bb.2867:                             ;   in Loop: Header=BB216_2083 Depth=1
	v_bfrev_b32_e32 v21, 1
	v_mov_b32_e32 v22, 0
	v_cmp_ne_u16_sdwa s8, v6, v74 src0_sel:BYTE_0 src1_sel:DWORD
	s_and_saveexec_b32 s21, s8
	s_cbranch_execz .LBB216_2873
; %bb.2868:                             ;   in Loop: Header=BB216_2083 Depth=1
	v_mov_b32_e32 v21, 0x7f800001
	v_and_b32_e32 v10, 0x7f, v6
	v_mov_b32_e32 v22, 0
	s_mov_b32 s22, exec_lo
	v_cmpx_ne_u32_e32 0x7f, v10
	s_cbranch_execz .LBB216_2872
; %bb.2869:                             ;   in Loop: Header=BB216_2083 Depth=1
	v_and_b32_e32 v8, 7, v6
	v_lshrrev_b32_e32 v7, 3, v10
	s_mov_b32 s23, exec_lo
	v_cmpx_gt_u32_e32 8, v10
; %bb.2870:                             ;   in Loop: Header=BB216_2083 Depth=1
	v_ffbh_u32_e32 v7, v8
	v_min_u32_e32 v7, 32, v7
	v_subrev_nc_u32_e32 v10, 28, v7
	v_sub_nc_u32_e32 v7, 29, v7
	v_lshlrev_b64 v[10:11], v10, v[8:9]
	v_and_b32_e32 v8, 7, v10
; %bb.2871:                             ;   in Loop: Header=BB216_2083 Depth=1
	s_or_b32 exec_lo, exec_lo, s23
	v_lshlrev_b32_e32 v10, 24, v6
	v_lshlrev_b32_e32 v8, 20, v8
	v_lshl_add_u32 v7, v7, 23, 0x3c000000
	v_and_b32_e32 v10, 0x80000000, v10
	v_or3_b32 v8, v8, v10, v7
	v_mov_b32_e32 v22, v9
	v_mov_b32_e32 v21, v8
.LBB216_2872:                           ;   in Loop: Header=BB216_2083 Depth=1
	s_or_b32 exec_lo, exec_lo, s22
.LBB216_2873:                           ;   in Loop: Header=BB216_2083 Depth=1
	s_or_b32 exec_lo, exec_lo, s21
.LBB216_2874:                           ;   in Loop: Header=BB216_2083 Depth=1
	s_or_b32 exec_lo, exec_lo, s20
	v_cmp_ne_u16_sdwa s8, v6, v9 src0_sel:BYTE_1 src1_sel:DWORD
	s_and_saveexec_b32 s20, s8
	s_cbranch_execz .LBB216_2882
; %bb.2875:                             ;   in Loop: Header=BB216_2083 Depth=1
	v_mov_b32_e32 v11, v9
	v_mov_b32_e32 v24, v12
	v_cmp_ne_u16_sdwa s8, v6, v74 src0_sel:BYTE_1 src1_sel:DWORD
	v_mov_b32_e32 v23, v11
	s_and_saveexec_b32 s21, s8
	s_cbranch_execz .LBB216_2881
; %bb.2876:                             ;   in Loop: Header=BB216_2083 Depth=1
	v_and_b32_sdwa v7, v75, v6 dst_sel:DWORD dst_unused:UNUSED_PAD src0_sel:DWORD src1_sel:BYTE_1
	v_mov_b32_e32 v13, v9
	v_mov_b32_e32 v24, v14
	s_mov_b32 s22, exec_lo
	v_and_b32_e32 v10, 0x7f, v7
	v_mov_b32_e32 v23, v13
	v_cmpx_ne_u32_e32 0x7f, v10
	s_cbranch_execz .LBB216_2880
; %bb.2877:                             ;   in Loop: Header=BB216_2083 Depth=1
	v_and_b32_e32 v8, 7, v7
	v_lshrrev_b32_e32 v7, 3, v10
	s_mov_b32 s23, exec_lo
	v_cmpx_gt_u32_e32 8, v10
; %bb.2878:                             ;   in Loop: Header=BB216_2083 Depth=1
	v_ffbh_u32_e32 v7, v8
	v_min_u32_e32 v7, 32, v7
	v_subrev_nc_u32_e32 v10, 28, v7
	v_sub_nc_u32_e32 v7, 29, v7
	v_lshlrev_b64 v[10:11], v10, v[8:9]
	v_and_b32_e32 v8, 7, v10
; %bb.2879:                             ;   in Loop: Header=BB216_2083 Depth=1
	s_or_b32 exec_lo, exec_lo, s23
	v_lshlrev_b32_e32 v10, 16, v6
	v_lshlrev_b32_e32 v8, 20, v8
	v_lshl_add_u32 v7, v7, 23, 0x3c000000
	v_mov_b32_e32 v23, v9
	v_and_b32_e32 v10, 0x80000000, v10
	v_or3_b32 v24, v8, v10, v7
.LBB216_2880:                           ;   in Loop: Header=BB216_2083 Depth=1
	s_or_b32 exec_lo, exec_lo, s22
.LBB216_2881:                           ;   in Loop: Header=BB216_2083 Depth=1
	s_or_b32 exec_lo, exec_lo, s21
.LBB216_2882:                           ;   in Loop: Header=BB216_2083 Depth=1
	s_or_b32 exec_lo, exec_lo, s20
	v_mov_b32_e32 v10, 0
	v_mov_b32_e32 v25, 0
	v_and_b32_sdwa v7, v6, v76 dst_sel:DWORD dst_unused:UNUSED_PAD src0_sel:WORD_1 src1_sel:DWORD
	v_mov_b32_e32 v11, 0
	v_mov_b32_e32 v26, 0
	s_mov_b32 s20, exec_lo
	v_cmpx_ne_u16_e32 0, v7
	s_cbranch_execz .LBB216_2890
; %bb.2883:                             ;   in Loop: Header=BB216_2083 Depth=1
	v_bfrev_b32_e32 v25, 1
	v_mov_b32_e32 v26, 0
	s_mov_b32 s21, exec_lo
	v_cmpx_ne_u16_e32 0x80, v7
	s_cbranch_execz .LBB216_2889
; %bb.2884:                             ;   in Loop: Header=BB216_2083 Depth=1
	v_mov_b32_e32 v25, 0x7f800001
	v_bfe_u32 v13, v6, 16, 7
	v_mov_b32_e32 v26, 0
	s_mov_b32 s22, exec_lo
	v_cmpx_ne_u32_e32 0x7f, v13
	s_cbranch_execz .LBB216_2888
; %bb.2885:                             ;   in Loop: Header=BB216_2083 Depth=1
	v_and_b32_sdwa v8, v6, v77 dst_sel:DWORD dst_unused:UNUSED_PAD src0_sel:WORD_1 src1_sel:DWORD
	v_lshrrev_b32_e32 v7, 3, v13
	s_mov_b32 s23, exec_lo
	v_cmpx_gt_u32_e32 8, v13
; %bb.2886:                             ;   in Loop: Header=BB216_2083 Depth=1
	v_ffbh_u32_e32 v7, v8
	v_min_u32_e32 v7, 32, v7
	v_subrev_nc_u32_e32 v13, 28, v7
	v_sub_nc_u32_e32 v7, 29, v7
	v_lshlrev_b64 v[25:26], v13, v[8:9]
	v_and_b32_e32 v8, 7, v25
; %bb.2887:                             ;   in Loop: Header=BB216_2083 Depth=1
	s_or_b32 exec_lo, exec_lo, s23
	v_lshlrev_b32_sdwa v13, v78, v6 dst_sel:DWORD dst_unused:UNUSED_PAD src0_sel:DWORD src1_sel:WORD_1
	v_lshlrev_b32_e32 v8, 20, v8
	v_lshl_add_u32 v7, v7, 23, 0x3c000000
	v_and_b32_e32 v13, 0x80000000, v13
	v_or3_b32 v8, v8, v13, v7
	v_mov_b32_e32 v26, v9
	v_mov_b32_e32 v25, v8
.LBB216_2888:                           ;   in Loop: Header=BB216_2083 Depth=1
	s_or_b32 exec_lo, exec_lo, s22
.LBB216_2889:                           ;   in Loop: Header=BB216_2083 Depth=1
	s_or_b32 exec_lo, exec_lo, s21
.LBB216_2890:                           ;   in Loop: Header=BB216_2083 Depth=1
	s_or_b32 exec_lo, exec_lo, s20
	s_mov_b32 s20, exec_lo
	v_cmpx_lt_u32_e32 0xffffff, v6
	s_cbranch_execz .LBB216_2898
; %bb.2891:                             ;   in Loop: Header=BB216_2083 Depth=1
	v_mov_b32_e32 v11, v9
	v_cmp_ne_u32_sdwa s8, v6, v74 src0_sel:BYTE_3 src1_sel:DWORD
	v_mov_b32_e32 v10, v11
	v_mov_b32_e32 v11, v12
	s_and_saveexec_b32 s21, s8
	s_cbranch_execz .LBB216_2897
; %bb.2892:                             ;   in Loop: Header=BB216_2083 Depth=1
	v_mov_b32_e32 v13, v9
	v_bfe_u32 v30, v6, 24, 7
	s_mov_b32 s22, exec_lo
	v_mov_b32_e32 v10, v13
	v_mov_b32_e32 v11, v14
	v_cmpx_ne_u32_e32 0x7f, v30
	s_cbranch_execz .LBB216_2896
; %bb.2893:                             ;   in Loop: Header=BB216_2083 Depth=1
	v_and_b32_sdwa v8, v6, v77 dst_sel:DWORD dst_unused:UNUSED_PAD src0_sel:BYTE_3 src1_sel:DWORD
	v_lshrrev_b32_e32 v7, 3, v30
	s_mov_b32 s23, exec_lo
	v_cmpx_gt_u32_e32 8, v30
; %bb.2894:                             ;   in Loop: Header=BB216_2083 Depth=1
	v_ffbh_u32_e32 v7, v8
	v_min_u32_e32 v7, 32, v7
	v_subrev_nc_u32_e32 v10, 28, v7
	v_sub_nc_u32_e32 v7, 29, v7
	v_lshlrev_b64 v[10:11], v10, v[8:9]
	v_and_b32_e32 v8, 7, v10
; %bb.2895:                             ;   in Loop: Header=BB216_2083 Depth=1
	s_or_b32 exec_lo, exec_lo, s23
	v_lshlrev_b32_sdwa v6, v78, v6 dst_sel:DWORD dst_unused:UNUSED_PAD src0_sel:DWORD src1_sel:BYTE_3
	v_lshlrev_b32_e32 v8, 20, v8
	v_lshl_add_u32 v7, v7, 23, 0x3c000000
	v_mov_b32_e32 v10, v9
	v_and_b32_e32 v6, 0x80000000, v6
	v_or3_b32 v11, v8, v6, v7
.LBB216_2896:                           ;   in Loop: Header=BB216_2083 Depth=1
	s_or_b32 exec_lo, exec_lo, s22
.LBB216_2897:                           ;   in Loop: Header=BB216_2083 Depth=1
	s_or_b32 exec_lo, exec_lo, s21
.LBB216_2898:                           ;   in Loop: Header=BB216_2083 Depth=1
	s_or_b32 exec_lo, exec_lo, s20
	v_or_b32_e32 v6, v24, v22
	v_or_b32_e32 v7, v23, v21
	v_or_b32_e32 v8, v10, v25
	v_or_b32_e32 v10, v11, v26
	v_mul_f32_e32 v6, v106, v6
	buffer_store_dword v6, off, s[0:3], s32 offset:980 ; 4-byte Folded Spill
	v_mul_f32_e32 v6, v106, v7
	buffer_store_dword v6, off, s[0:3], s32 offset:972 ; 4-byte Folded Spill
	;; [unrolled: 2-line block ×4, first 2 shown]
	s_and_saveexec_b32 s8, s7
	s_cbranch_execz .LBB216_2900
; %bb.2899:                             ;   in Loop: Header=BB216_2083 Depth=1
	buffer_load_dword v6, off, s[0:3], s32 offset:972 ; 4-byte Folded Reload
	s_waitcnt vmcnt(0)
	v_cndmask_b32_e32 v6, 0, v6, vcc_lo
	buffer_store_dword v6, off, s[0:3], s32 offset:972 ; 4-byte Folded Spill
	buffer_load_dword v6, off, s[0:3], s32 offset:980 ; 4-byte Folded Reload
	s_waitcnt vmcnt(0)
	v_cndmask_b32_e64 v6, 0, v6, s4
	buffer_store_dword v6, off, s[0:3], s32 offset:980 ; 4-byte Folded Spill
	buffer_load_dword v6, off, s[0:3], s32 offset:964 ; 4-byte Folded Reload
	s_waitcnt vmcnt(0)
	v_cndmask_b32_e64 v6, 0, v6, s5
	;; [unrolled: 4-line block ×3, first 2 shown]
	buffer_store_dword v6, off, s[0:3], s32 offset:956 ; 4-byte Folded Spill
.LBB216_2900:                           ;   in Loop: Header=BB216_2083 Depth=1
	s_or_b32 exec_lo, exec_lo, s8
	flat_load_dword v6, v[19:20] offset:1024
	v_mov_b32_e32 v23, 0
	v_mov_b32_e32 v21, 0
	;; [unrolled: 1-line block ×4, first 2 shown]
	s_waitcnt vmcnt(0) lgkmcnt(0)
	v_cmp_ne_u16_sdwa s8, v6, v9 src0_sel:BYTE_0 src1_sel:DWORD
	s_and_saveexec_b32 s20, s8
	s_cbranch_execz .LBB216_2908
; %bb.2901:                             ;   in Loop: Header=BB216_2083 Depth=1
	v_bfrev_b32_e32 v21, 1
	v_mov_b32_e32 v22, 0
	v_cmp_ne_u16_sdwa s8, v6, v74 src0_sel:BYTE_0 src1_sel:DWORD
	s_and_saveexec_b32 s21, s8
	s_cbranch_execz .LBB216_2907
; %bb.2902:                             ;   in Loop: Header=BB216_2083 Depth=1
	v_mov_b32_e32 v21, 0x7f800001
	v_and_b32_e32 v10, 0x7f, v6
	v_mov_b32_e32 v22, 0
	s_mov_b32 s22, exec_lo
	v_cmpx_ne_u32_e32 0x7f, v10
	s_cbranch_execz .LBB216_2906
; %bb.2903:                             ;   in Loop: Header=BB216_2083 Depth=1
	v_and_b32_e32 v8, 7, v6
	v_lshrrev_b32_e32 v7, 3, v10
	s_mov_b32 s23, exec_lo
	v_cmpx_gt_u32_e32 8, v10
; %bb.2904:                             ;   in Loop: Header=BB216_2083 Depth=1
	v_ffbh_u32_e32 v7, v8
	v_min_u32_e32 v7, 32, v7
	v_subrev_nc_u32_e32 v10, 28, v7
	v_sub_nc_u32_e32 v7, 29, v7
	v_lshlrev_b64 v[10:11], v10, v[8:9]
	v_and_b32_e32 v8, 7, v10
; %bb.2905:                             ;   in Loop: Header=BB216_2083 Depth=1
	s_or_b32 exec_lo, exec_lo, s23
	v_lshlrev_b32_e32 v10, 24, v6
	v_lshlrev_b32_e32 v8, 20, v8
	v_lshl_add_u32 v7, v7, 23, 0x3c000000
	v_and_b32_e32 v10, 0x80000000, v10
	v_or3_b32 v8, v8, v10, v7
	v_mov_b32_e32 v22, v9
	v_mov_b32_e32 v21, v8
.LBB216_2906:                           ;   in Loop: Header=BB216_2083 Depth=1
	s_or_b32 exec_lo, exec_lo, s22
.LBB216_2907:                           ;   in Loop: Header=BB216_2083 Depth=1
	s_or_b32 exec_lo, exec_lo, s21
.LBB216_2908:                           ;   in Loop: Header=BB216_2083 Depth=1
	s_or_b32 exec_lo, exec_lo, s20
	v_cmp_ne_u16_sdwa s8, v6, v9 src0_sel:BYTE_1 src1_sel:DWORD
	s_and_saveexec_b32 s20, s8
	s_cbranch_execz .LBB216_2916
; %bb.2909:                             ;   in Loop: Header=BB216_2083 Depth=1
	v_mov_b32_e32 v11, v9
	v_mov_b32_e32 v24, v12
	v_cmp_ne_u16_sdwa s8, v6, v74 src0_sel:BYTE_1 src1_sel:DWORD
	v_mov_b32_e32 v23, v11
	s_and_saveexec_b32 s21, s8
	s_cbranch_execz .LBB216_2915
; %bb.2910:                             ;   in Loop: Header=BB216_2083 Depth=1
	v_and_b32_sdwa v7, v75, v6 dst_sel:DWORD dst_unused:UNUSED_PAD src0_sel:DWORD src1_sel:BYTE_1
	v_mov_b32_e32 v13, v9
	v_mov_b32_e32 v24, v14
	s_mov_b32 s22, exec_lo
	v_and_b32_e32 v10, 0x7f, v7
	v_mov_b32_e32 v23, v13
	v_cmpx_ne_u32_e32 0x7f, v10
	s_cbranch_execz .LBB216_2914
; %bb.2911:                             ;   in Loop: Header=BB216_2083 Depth=1
	v_and_b32_e32 v8, 7, v7
	v_lshrrev_b32_e32 v7, 3, v10
	s_mov_b32 s23, exec_lo
	v_cmpx_gt_u32_e32 8, v10
; %bb.2912:                             ;   in Loop: Header=BB216_2083 Depth=1
	v_ffbh_u32_e32 v7, v8
	v_min_u32_e32 v7, 32, v7
	v_subrev_nc_u32_e32 v10, 28, v7
	v_sub_nc_u32_e32 v7, 29, v7
	v_lshlrev_b64 v[10:11], v10, v[8:9]
	v_and_b32_e32 v8, 7, v10
; %bb.2913:                             ;   in Loop: Header=BB216_2083 Depth=1
	s_or_b32 exec_lo, exec_lo, s23
	v_lshlrev_b32_e32 v10, 16, v6
	v_lshlrev_b32_e32 v8, 20, v8
	v_lshl_add_u32 v7, v7, 23, 0x3c000000
	v_mov_b32_e32 v23, v9
	v_and_b32_e32 v10, 0x80000000, v10
	v_or3_b32 v24, v8, v10, v7
.LBB216_2914:                           ;   in Loop: Header=BB216_2083 Depth=1
	s_or_b32 exec_lo, exec_lo, s22
.LBB216_2915:                           ;   in Loop: Header=BB216_2083 Depth=1
	s_or_b32 exec_lo, exec_lo, s21
.LBB216_2916:                           ;   in Loop: Header=BB216_2083 Depth=1
	s_or_b32 exec_lo, exec_lo, s20
	v_mov_b32_e32 v10, 0
	v_mov_b32_e32 v25, 0
	v_and_b32_sdwa v7, v6, v76 dst_sel:DWORD dst_unused:UNUSED_PAD src0_sel:WORD_1 src1_sel:DWORD
	v_mov_b32_e32 v11, 0
	v_mov_b32_e32 v26, 0
	s_mov_b32 s20, exec_lo
	v_cmpx_ne_u16_e32 0, v7
	s_cbranch_execz .LBB216_2924
; %bb.2917:                             ;   in Loop: Header=BB216_2083 Depth=1
	v_bfrev_b32_e32 v25, 1
	v_mov_b32_e32 v26, 0
	s_mov_b32 s21, exec_lo
	v_cmpx_ne_u16_e32 0x80, v7
	s_cbranch_execz .LBB216_2923
; %bb.2918:                             ;   in Loop: Header=BB216_2083 Depth=1
	v_mov_b32_e32 v25, 0x7f800001
	v_bfe_u32 v13, v6, 16, 7
	v_mov_b32_e32 v26, 0
	s_mov_b32 s22, exec_lo
	v_cmpx_ne_u32_e32 0x7f, v13
	s_cbranch_execz .LBB216_2922
; %bb.2919:                             ;   in Loop: Header=BB216_2083 Depth=1
	v_and_b32_sdwa v8, v6, v77 dst_sel:DWORD dst_unused:UNUSED_PAD src0_sel:WORD_1 src1_sel:DWORD
	v_lshrrev_b32_e32 v7, 3, v13
	s_mov_b32 s23, exec_lo
	v_cmpx_gt_u32_e32 8, v13
; %bb.2920:                             ;   in Loop: Header=BB216_2083 Depth=1
	v_ffbh_u32_e32 v7, v8
	v_min_u32_e32 v7, 32, v7
	v_subrev_nc_u32_e32 v13, 28, v7
	v_sub_nc_u32_e32 v7, 29, v7
	v_lshlrev_b64 v[25:26], v13, v[8:9]
	v_and_b32_e32 v8, 7, v25
; %bb.2921:                             ;   in Loop: Header=BB216_2083 Depth=1
	s_or_b32 exec_lo, exec_lo, s23
	v_lshlrev_b32_sdwa v13, v78, v6 dst_sel:DWORD dst_unused:UNUSED_PAD src0_sel:DWORD src1_sel:WORD_1
	v_lshlrev_b32_e32 v8, 20, v8
	v_lshl_add_u32 v7, v7, 23, 0x3c000000
	v_and_b32_e32 v13, 0x80000000, v13
	v_or3_b32 v8, v8, v13, v7
	v_mov_b32_e32 v26, v9
	v_mov_b32_e32 v25, v8
.LBB216_2922:                           ;   in Loop: Header=BB216_2083 Depth=1
	s_or_b32 exec_lo, exec_lo, s22
.LBB216_2923:                           ;   in Loop: Header=BB216_2083 Depth=1
	s_or_b32 exec_lo, exec_lo, s21
.LBB216_2924:                           ;   in Loop: Header=BB216_2083 Depth=1
	s_or_b32 exec_lo, exec_lo, s20
	s_mov_b32 s20, exec_lo
	v_cmpx_lt_u32_e32 0xffffff, v6
	s_cbranch_execz .LBB216_2932
; %bb.2925:                             ;   in Loop: Header=BB216_2083 Depth=1
	v_mov_b32_e32 v11, v9
	v_cmp_ne_u32_sdwa s8, v6, v74 src0_sel:BYTE_3 src1_sel:DWORD
	v_mov_b32_e32 v10, v11
	v_mov_b32_e32 v11, v12
	s_and_saveexec_b32 s21, s8
	s_cbranch_execz .LBB216_2931
; %bb.2926:                             ;   in Loop: Header=BB216_2083 Depth=1
	v_mov_b32_e32 v13, v9
	v_bfe_u32 v30, v6, 24, 7
	s_mov_b32 s22, exec_lo
	v_mov_b32_e32 v10, v13
	v_mov_b32_e32 v11, v14
	v_cmpx_ne_u32_e32 0x7f, v30
	s_cbranch_execz .LBB216_2930
; %bb.2927:                             ;   in Loop: Header=BB216_2083 Depth=1
	v_and_b32_sdwa v8, v6, v77 dst_sel:DWORD dst_unused:UNUSED_PAD src0_sel:BYTE_3 src1_sel:DWORD
	v_lshrrev_b32_e32 v7, 3, v30
	s_mov_b32 s23, exec_lo
	v_cmpx_gt_u32_e32 8, v30
; %bb.2928:                             ;   in Loop: Header=BB216_2083 Depth=1
	v_ffbh_u32_e32 v7, v8
	v_min_u32_e32 v7, 32, v7
	v_subrev_nc_u32_e32 v10, 28, v7
	v_sub_nc_u32_e32 v7, 29, v7
	v_lshlrev_b64 v[10:11], v10, v[8:9]
	v_and_b32_e32 v8, 7, v10
; %bb.2929:                             ;   in Loop: Header=BB216_2083 Depth=1
	s_or_b32 exec_lo, exec_lo, s23
	v_lshlrev_b32_sdwa v6, v78, v6 dst_sel:DWORD dst_unused:UNUSED_PAD src0_sel:DWORD src1_sel:BYTE_3
	v_lshlrev_b32_e32 v8, 20, v8
	v_lshl_add_u32 v7, v7, 23, 0x3c000000
	v_mov_b32_e32 v10, v9
	v_and_b32_e32 v6, 0x80000000, v6
	v_or3_b32 v11, v8, v6, v7
.LBB216_2930:                           ;   in Loop: Header=BB216_2083 Depth=1
	s_or_b32 exec_lo, exec_lo, s22
.LBB216_2931:                           ;   in Loop: Header=BB216_2083 Depth=1
	s_or_b32 exec_lo, exec_lo, s21
.LBB216_2932:                           ;   in Loop: Header=BB216_2083 Depth=1
	s_or_b32 exec_lo, exec_lo, s20
	v_or_b32_e32 v6, v24, v22
	v_or_b32_e32 v7, v23, v21
	;; [unrolled: 1-line block ×4, first 2 shown]
	v_mul_f32_e32 v6, v106, v6
	buffer_store_dword v6, off, s[0:3], s32 offset:1012 ; 4-byte Folded Spill
	v_mul_f32_e32 v6, v106, v7
	buffer_store_dword v6, off, s[0:3], s32 offset:1004 ; 4-byte Folded Spill
	;; [unrolled: 2-line block ×4, first 2 shown]
	s_and_saveexec_b32 s8, s7
	s_cbranch_execz .LBB216_2934
; %bb.2933:                             ;   in Loop: Header=BB216_2083 Depth=1
	buffer_load_dword v6, off, s[0:3], s32 offset:1004 ; 4-byte Folded Reload
	s_waitcnt vmcnt(0)
	v_cndmask_b32_e32 v6, 0, v6, vcc_lo
	buffer_store_dword v6, off, s[0:3], s32 offset:1004 ; 4-byte Folded Spill
	buffer_load_dword v6, off, s[0:3], s32 offset:1012 ; 4-byte Folded Reload
	s_waitcnt vmcnt(0)
	v_cndmask_b32_e64 v6, 0, v6, s4
	buffer_store_dword v6, off, s[0:3], s32 offset:1012 ; 4-byte Folded Spill
	buffer_load_dword v6, off, s[0:3], s32 offset:996 ; 4-byte Folded Reload
	s_waitcnt vmcnt(0)
	v_cndmask_b32_e64 v6, 0, v6, s5
	;; [unrolled: 4-line block ×3, first 2 shown]
	buffer_store_dword v6, off, s[0:3], s32 offset:988 ; 4-byte Folded Spill
.LBB216_2934:                           ;   in Loop: Header=BB216_2083 Depth=1
	s_or_b32 exec_lo, exec_lo, s8
	flat_load_dword v6, v[19:20] offset:1152
	v_mov_b32_e32 v23, 0
	v_mov_b32_e32 v21, 0
	;; [unrolled: 1-line block ×4, first 2 shown]
	s_waitcnt vmcnt(0) lgkmcnt(0)
	v_cmp_ne_u16_sdwa s8, v6, v9 src0_sel:BYTE_0 src1_sel:DWORD
	s_and_saveexec_b32 s20, s8
	s_cbranch_execz .LBB216_2942
; %bb.2935:                             ;   in Loop: Header=BB216_2083 Depth=1
	v_bfrev_b32_e32 v21, 1
	v_mov_b32_e32 v22, 0
	v_cmp_ne_u16_sdwa s8, v6, v74 src0_sel:BYTE_0 src1_sel:DWORD
	s_and_saveexec_b32 s21, s8
	s_cbranch_execz .LBB216_2941
; %bb.2936:                             ;   in Loop: Header=BB216_2083 Depth=1
	v_mov_b32_e32 v21, 0x7f800001
	v_and_b32_e32 v10, 0x7f, v6
	v_mov_b32_e32 v22, 0
	s_mov_b32 s22, exec_lo
	v_cmpx_ne_u32_e32 0x7f, v10
	s_cbranch_execz .LBB216_2940
; %bb.2937:                             ;   in Loop: Header=BB216_2083 Depth=1
	v_and_b32_e32 v8, 7, v6
	v_lshrrev_b32_e32 v7, 3, v10
	s_mov_b32 s23, exec_lo
	v_cmpx_gt_u32_e32 8, v10
; %bb.2938:                             ;   in Loop: Header=BB216_2083 Depth=1
	v_ffbh_u32_e32 v7, v8
	v_min_u32_e32 v7, 32, v7
	v_subrev_nc_u32_e32 v10, 28, v7
	v_sub_nc_u32_e32 v7, 29, v7
	v_lshlrev_b64 v[10:11], v10, v[8:9]
	v_and_b32_e32 v8, 7, v10
; %bb.2939:                             ;   in Loop: Header=BB216_2083 Depth=1
	s_or_b32 exec_lo, exec_lo, s23
	v_lshlrev_b32_e32 v10, 24, v6
	v_lshlrev_b32_e32 v8, 20, v8
	v_lshl_add_u32 v7, v7, 23, 0x3c000000
	v_and_b32_e32 v10, 0x80000000, v10
	v_or3_b32 v8, v8, v10, v7
	v_mov_b32_e32 v22, v9
	v_mov_b32_e32 v21, v8
.LBB216_2940:                           ;   in Loop: Header=BB216_2083 Depth=1
	s_or_b32 exec_lo, exec_lo, s22
.LBB216_2941:                           ;   in Loop: Header=BB216_2083 Depth=1
	s_or_b32 exec_lo, exec_lo, s21
.LBB216_2942:                           ;   in Loop: Header=BB216_2083 Depth=1
	s_or_b32 exec_lo, exec_lo, s20
	v_cmp_ne_u16_sdwa s8, v6, v9 src0_sel:BYTE_1 src1_sel:DWORD
	s_and_saveexec_b32 s20, s8
	s_cbranch_execz .LBB216_2950
; %bb.2943:                             ;   in Loop: Header=BB216_2083 Depth=1
	v_mov_b32_e32 v11, v9
	v_mov_b32_e32 v24, v12
	v_cmp_ne_u16_sdwa s8, v6, v74 src0_sel:BYTE_1 src1_sel:DWORD
	v_mov_b32_e32 v23, v11
	s_and_saveexec_b32 s21, s8
	s_cbranch_execz .LBB216_2949
; %bb.2944:                             ;   in Loop: Header=BB216_2083 Depth=1
	v_and_b32_sdwa v7, v75, v6 dst_sel:DWORD dst_unused:UNUSED_PAD src0_sel:DWORD src1_sel:BYTE_1
	v_mov_b32_e32 v13, v9
	v_mov_b32_e32 v24, v14
	s_mov_b32 s22, exec_lo
	v_and_b32_e32 v10, 0x7f, v7
	v_mov_b32_e32 v23, v13
	v_cmpx_ne_u32_e32 0x7f, v10
	s_cbranch_execz .LBB216_2948
; %bb.2945:                             ;   in Loop: Header=BB216_2083 Depth=1
	v_and_b32_e32 v8, 7, v7
	v_lshrrev_b32_e32 v7, 3, v10
	s_mov_b32 s23, exec_lo
	v_cmpx_gt_u32_e32 8, v10
; %bb.2946:                             ;   in Loop: Header=BB216_2083 Depth=1
	v_ffbh_u32_e32 v7, v8
	v_min_u32_e32 v7, 32, v7
	v_subrev_nc_u32_e32 v10, 28, v7
	v_sub_nc_u32_e32 v7, 29, v7
	v_lshlrev_b64 v[10:11], v10, v[8:9]
	v_and_b32_e32 v8, 7, v10
; %bb.2947:                             ;   in Loop: Header=BB216_2083 Depth=1
	s_or_b32 exec_lo, exec_lo, s23
	v_lshlrev_b32_e32 v10, 16, v6
	v_lshlrev_b32_e32 v8, 20, v8
	v_lshl_add_u32 v7, v7, 23, 0x3c000000
	v_mov_b32_e32 v23, v9
	v_and_b32_e32 v10, 0x80000000, v10
	v_or3_b32 v24, v8, v10, v7
.LBB216_2948:                           ;   in Loop: Header=BB216_2083 Depth=1
	s_or_b32 exec_lo, exec_lo, s22
.LBB216_2949:                           ;   in Loop: Header=BB216_2083 Depth=1
	s_or_b32 exec_lo, exec_lo, s21
.LBB216_2950:                           ;   in Loop: Header=BB216_2083 Depth=1
	s_or_b32 exec_lo, exec_lo, s20
	v_mov_b32_e32 v10, 0
	v_mov_b32_e32 v25, 0
	v_and_b32_sdwa v7, v6, v76 dst_sel:DWORD dst_unused:UNUSED_PAD src0_sel:WORD_1 src1_sel:DWORD
	v_mov_b32_e32 v11, 0
	v_mov_b32_e32 v26, 0
	s_mov_b32 s20, exec_lo
	v_cmpx_ne_u16_e32 0, v7
	s_cbranch_execz .LBB216_2958
; %bb.2951:                             ;   in Loop: Header=BB216_2083 Depth=1
	v_bfrev_b32_e32 v25, 1
	v_mov_b32_e32 v26, 0
	s_mov_b32 s21, exec_lo
	v_cmpx_ne_u16_e32 0x80, v7
	s_cbranch_execz .LBB216_2957
; %bb.2952:                             ;   in Loop: Header=BB216_2083 Depth=1
	v_mov_b32_e32 v25, 0x7f800001
	v_bfe_u32 v13, v6, 16, 7
	v_mov_b32_e32 v26, 0
	s_mov_b32 s22, exec_lo
	v_cmpx_ne_u32_e32 0x7f, v13
	s_cbranch_execz .LBB216_2956
; %bb.2953:                             ;   in Loop: Header=BB216_2083 Depth=1
	v_and_b32_sdwa v8, v6, v77 dst_sel:DWORD dst_unused:UNUSED_PAD src0_sel:WORD_1 src1_sel:DWORD
	v_lshrrev_b32_e32 v7, 3, v13
	s_mov_b32 s23, exec_lo
	v_cmpx_gt_u32_e32 8, v13
; %bb.2954:                             ;   in Loop: Header=BB216_2083 Depth=1
	v_ffbh_u32_e32 v7, v8
	v_min_u32_e32 v7, 32, v7
	v_subrev_nc_u32_e32 v13, 28, v7
	v_sub_nc_u32_e32 v7, 29, v7
	v_lshlrev_b64 v[25:26], v13, v[8:9]
	v_and_b32_e32 v8, 7, v25
; %bb.2955:                             ;   in Loop: Header=BB216_2083 Depth=1
	s_or_b32 exec_lo, exec_lo, s23
	v_lshlrev_b32_sdwa v13, v78, v6 dst_sel:DWORD dst_unused:UNUSED_PAD src0_sel:DWORD src1_sel:WORD_1
	v_lshlrev_b32_e32 v8, 20, v8
	v_lshl_add_u32 v7, v7, 23, 0x3c000000
	v_and_b32_e32 v13, 0x80000000, v13
	v_or3_b32 v8, v8, v13, v7
	v_mov_b32_e32 v26, v9
	v_mov_b32_e32 v25, v8
.LBB216_2956:                           ;   in Loop: Header=BB216_2083 Depth=1
	s_or_b32 exec_lo, exec_lo, s22
.LBB216_2957:                           ;   in Loop: Header=BB216_2083 Depth=1
	s_or_b32 exec_lo, exec_lo, s21
.LBB216_2958:                           ;   in Loop: Header=BB216_2083 Depth=1
	s_or_b32 exec_lo, exec_lo, s20
	s_mov_b32 s20, exec_lo
	v_cmpx_lt_u32_e32 0xffffff, v6
	s_cbranch_execz .LBB216_2966
; %bb.2959:                             ;   in Loop: Header=BB216_2083 Depth=1
	v_mov_b32_e32 v11, v9
	v_cmp_ne_u32_sdwa s8, v6, v74 src0_sel:BYTE_3 src1_sel:DWORD
	v_mov_b32_e32 v10, v11
	v_mov_b32_e32 v11, v12
	s_and_saveexec_b32 s21, s8
	s_cbranch_execz .LBB216_2965
; %bb.2960:                             ;   in Loop: Header=BB216_2083 Depth=1
	v_mov_b32_e32 v13, v9
	v_bfe_u32 v30, v6, 24, 7
	s_mov_b32 s22, exec_lo
	v_mov_b32_e32 v10, v13
	v_mov_b32_e32 v11, v14
	v_cmpx_ne_u32_e32 0x7f, v30
	s_cbranch_execz .LBB216_2964
; %bb.2961:                             ;   in Loop: Header=BB216_2083 Depth=1
	v_and_b32_sdwa v8, v6, v77 dst_sel:DWORD dst_unused:UNUSED_PAD src0_sel:BYTE_3 src1_sel:DWORD
	v_lshrrev_b32_e32 v7, 3, v30
	s_mov_b32 s23, exec_lo
	v_cmpx_gt_u32_e32 8, v30
; %bb.2962:                             ;   in Loop: Header=BB216_2083 Depth=1
	v_ffbh_u32_e32 v7, v8
	v_min_u32_e32 v7, 32, v7
	v_subrev_nc_u32_e32 v10, 28, v7
	v_sub_nc_u32_e32 v7, 29, v7
	v_lshlrev_b64 v[10:11], v10, v[8:9]
	v_and_b32_e32 v8, 7, v10
; %bb.2963:                             ;   in Loop: Header=BB216_2083 Depth=1
	s_or_b32 exec_lo, exec_lo, s23
	v_lshlrev_b32_sdwa v6, v78, v6 dst_sel:DWORD dst_unused:UNUSED_PAD src0_sel:DWORD src1_sel:BYTE_3
	v_lshlrev_b32_e32 v8, 20, v8
	v_lshl_add_u32 v7, v7, 23, 0x3c000000
	v_mov_b32_e32 v10, v9
	v_and_b32_e32 v6, 0x80000000, v6
	v_or3_b32 v11, v8, v6, v7
.LBB216_2964:                           ;   in Loop: Header=BB216_2083 Depth=1
	s_or_b32 exec_lo, exec_lo, s22
.LBB216_2965:                           ;   in Loop: Header=BB216_2083 Depth=1
	s_or_b32 exec_lo, exec_lo, s21
.LBB216_2966:                           ;   in Loop: Header=BB216_2083 Depth=1
	s_or_b32 exec_lo, exec_lo, s20
	v_or_b32_e32 v6, v24, v22
	v_or_b32_e32 v7, v23, v21
	;; [unrolled: 1-line block ×4, first 2 shown]
	v_mul_f32_e32 v6, v106, v6
	buffer_store_dword v6, off, s[0:3], s32 offset:1044 ; 4-byte Folded Spill
	v_mul_f32_e32 v6, v106, v7
	buffer_store_dword v6, off, s[0:3], s32 offset:1036 ; 4-byte Folded Spill
	;; [unrolled: 2-line block ×4, first 2 shown]
	s_and_saveexec_b32 s8, s7
	s_cbranch_execz .LBB216_2968
; %bb.2967:                             ;   in Loop: Header=BB216_2083 Depth=1
	buffer_load_dword v6, off, s[0:3], s32 offset:1036 ; 4-byte Folded Reload
	s_waitcnt vmcnt(0)
	v_cndmask_b32_e32 v6, 0, v6, vcc_lo
	buffer_store_dword v6, off, s[0:3], s32 offset:1036 ; 4-byte Folded Spill
	buffer_load_dword v6, off, s[0:3], s32 offset:1044 ; 4-byte Folded Reload
	s_waitcnt vmcnt(0)
	v_cndmask_b32_e64 v6, 0, v6, s4
	buffer_store_dword v6, off, s[0:3], s32 offset:1044 ; 4-byte Folded Spill
	buffer_load_dword v6, off, s[0:3], s32 offset:1028 ; 4-byte Folded Reload
	s_waitcnt vmcnt(0)
	v_cndmask_b32_e64 v6, 0, v6, s5
	;; [unrolled: 4-line block ×3, first 2 shown]
	buffer_store_dword v6, off, s[0:3], s32 offset:1020 ; 4-byte Folded Spill
.LBB216_2968:                           ;   in Loop: Header=BB216_2083 Depth=1
	s_or_b32 exec_lo, exec_lo, s8
	flat_load_dword v6, v[19:20] offset:1280
	v_mov_b32_e32 v23, 0
	v_mov_b32_e32 v21, 0
	;; [unrolled: 1-line block ×4, first 2 shown]
	s_waitcnt vmcnt(0) lgkmcnt(0)
	v_cmp_ne_u16_sdwa s8, v6, v9 src0_sel:BYTE_0 src1_sel:DWORD
	s_and_saveexec_b32 s20, s8
	s_cbranch_execz .LBB216_2976
; %bb.2969:                             ;   in Loop: Header=BB216_2083 Depth=1
	v_bfrev_b32_e32 v21, 1
	v_mov_b32_e32 v22, 0
	v_cmp_ne_u16_sdwa s8, v6, v74 src0_sel:BYTE_0 src1_sel:DWORD
	s_and_saveexec_b32 s21, s8
	s_cbranch_execz .LBB216_2975
; %bb.2970:                             ;   in Loop: Header=BB216_2083 Depth=1
	v_mov_b32_e32 v21, 0x7f800001
	v_and_b32_e32 v10, 0x7f, v6
	v_mov_b32_e32 v22, 0
	s_mov_b32 s22, exec_lo
	v_cmpx_ne_u32_e32 0x7f, v10
	s_cbranch_execz .LBB216_2974
; %bb.2971:                             ;   in Loop: Header=BB216_2083 Depth=1
	v_and_b32_e32 v8, 7, v6
	v_lshrrev_b32_e32 v7, 3, v10
	s_mov_b32 s23, exec_lo
	v_cmpx_gt_u32_e32 8, v10
; %bb.2972:                             ;   in Loop: Header=BB216_2083 Depth=1
	v_ffbh_u32_e32 v7, v8
	v_min_u32_e32 v7, 32, v7
	v_subrev_nc_u32_e32 v10, 28, v7
	v_sub_nc_u32_e32 v7, 29, v7
	v_lshlrev_b64 v[10:11], v10, v[8:9]
	v_and_b32_e32 v8, 7, v10
; %bb.2973:                             ;   in Loop: Header=BB216_2083 Depth=1
	s_or_b32 exec_lo, exec_lo, s23
	v_lshlrev_b32_e32 v10, 24, v6
	v_lshlrev_b32_e32 v8, 20, v8
	v_lshl_add_u32 v7, v7, 23, 0x3c000000
	v_and_b32_e32 v10, 0x80000000, v10
	v_or3_b32 v8, v8, v10, v7
	v_mov_b32_e32 v22, v9
	v_mov_b32_e32 v21, v8
.LBB216_2974:                           ;   in Loop: Header=BB216_2083 Depth=1
	s_or_b32 exec_lo, exec_lo, s22
.LBB216_2975:                           ;   in Loop: Header=BB216_2083 Depth=1
	s_or_b32 exec_lo, exec_lo, s21
.LBB216_2976:                           ;   in Loop: Header=BB216_2083 Depth=1
	s_or_b32 exec_lo, exec_lo, s20
	v_cmp_ne_u16_sdwa s8, v6, v9 src0_sel:BYTE_1 src1_sel:DWORD
	s_and_saveexec_b32 s20, s8
	s_cbranch_execz .LBB216_2984
; %bb.2977:                             ;   in Loop: Header=BB216_2083 Depth=1
	v_mov_b32_e32 v11, v9
	v_mov_b32_e32 v24, v12
	v_cmp_ne_u16_sdwa s8, v6, v74 src0_sel:BYTE_1 src1_sel:DWORD
	v_mov_b32_e32 v23, v11
	s_and_saveexec_b32 s21, s8
	s_cbranch_execz .LBB216_2983
; %bb.2978:                             ;   in Loop: Header=BB216_2083 Depth=1
	v_and_b32_sdwa v7, v75, v6 dst_sel:DWORD dst_unused:UNUSED_PAD src0_sel:DWORD src1_sel:BYTE_1
	v_mov_b32_e32 v13, v9
	v_mov_b32_e32 v24, v14
	s_mov_b32 s22, exec_lo
	v_and_b32_e32 v10, 0x7f, v7
	v_mov_b32_e32 v23, v13
	v_cmpx_ne_u32_e32 0x7f, v10
	s_cbranch_execz .LBB216_2982
; %bb.2979:                             ;   in Loop: Header=BB216_2083 Depth=1
	v_and_b32_e32 v8, 7, v7
	v_lshrrev_b32_e32 v7, 3, v10
	s_mov_b32 s23, exec_lo
	v_cmpx_gt_u32_e32 8, v10
; %bb.2980:                             ;   in Loop: Header=BB216_2083 Depth=1
	v_ffbh_u32_e32 v7, v8
	v_min_u32_e32 v7, 32, v7
	v_subrev_nc_u32_e32 v10, 28, v7
	v_sub_nc_u32_e32 v7, 29, v7
	v_lshlrev_b64 v[10:11], v10, v[8:9]
	v_and_b32_e32 v8, 7, v10
; %bb.2981:                             ;   in Loop: Header=BB216_2083 Depth=1
	s_or_b32 exec_lo, exec_lo, s23
	v_lshlrev_b32_e32 v10, 16, v6
	v_lshlrev_b32_e32 v8, 20, v8
	v_lshl_add_u32 v7, v7, 23, 0x3c000000
	v_mov_b32_e32 v23, v9
	v_and_b32_e32 v10, 0x80000000, v10
	v_or3_b32 v24, v8, v10, v7
.LBB216_2982:                           ;   in Loop: Header=BB216_2083 Depth=1
	s_or_b32 exec_lo, exec_lo, s22
.LBB216_2983:                           ;   in Loop: Header=BB216_2083 Depth=1
	s_or_b32 exec_lo, exec_lo, s21
.LBB216_2984:                           ;   in Loop: Header=BB216_2083 Depth=1
	s_or_b32 exec_lo, exec_lo, s20
	v_mov_b32_e32 v10, 0
	v_mov_b32_e32 v25, 0
	v_and_b32_sdwa v7, v6, v76 dst_sel:DWORD dst_unused:UNUSED_PAD src0_sel:WORD_1 src1_sel:DWORD
	v_mov_b32_e32 v11, 0
	v_mov_b32_e32 v26, 0
	s_mov_b32 s20, exec_lo
	v_cmpx_ne_u16_e32 0, v7
	s_cbranch_execz .LBB216_2992
; %bb.2985:                             ;   in Loop: Header=BB216_2083 Depth=1
	v_bfrev_b32_e32 v25, 1
	v_mov_b32_e32 v26, 0
	s_mov_b32 s21, exec_lo
	v_cmpx_ne_u16_e32 0x80, v7
	s_cbranch_execz .LBB216_2991
; %bb.2986:                             ;   in Loop: Header=BB216_2083 Depth=1
	v_mov_b32_e32 v25, 0x7f800001
	v_bfe_u32 v13, v6, 16, 7
	v_mov_b32_e32 v26, 0
	s_mov_b32 s22, exec_lo
	v_cmpx_ne_u32_e32 0x7f, v13
	s_cbranch_execz .LBB216_2990
; %bb.2987:                             ;   in Loop: Header=BB216_2083 Depth=1
	v_and_b32_sdwa v8, v6, v77 dst_sel:DWORD dst_unused:UNUSED_PAD src0_sel:WORD_1 src1_sel:DWORD
	v_lshrrev_b32_e32 v7, 3, v13
	s_mov_b32 s23, exec_lo
	v_cmpx_gt_u32_e32 8, v13
; %bb.2988:                             ;   in Loop: Header=BB216_2083 Depth=1
	v_ffbh_u32_e32 v7, v8
	v_min_u32_e32 v7, 32, v7
	v_subrev_nc_u32_e32 v13, 28, v7
	v_sub_nc_u32_e32 v7, 29, v7
	v_lshlrev_b64 v[25:26], v13, v[8:9]
	v_and_b32_e32 v8, 7, v25
; %bb.2989:                             ;   in Loop: Header=BB216_2083 Depth=1
	s_or_b32 exec_lo, exec_lo, s23
	v_lshlrev_b32_sdwa v13, v78, v6 dst_sel:DWORD dst_unused:UNUSED_PAD src0_sel:DWORD src1_sel:WORD_1
	v_lshlrev_b32_e32 v8, 20, v8
	v_lshl_add_u32 v7, v7, 23, 0x3c000000
	v_and_b32_e32 v13, 0x80000000, v13
	v_or3_b32 v8, v8, v13, v7
	v_mov_b32_e32 v26, v9
	v_mov_b32_e32 v25, v8
.LBB216_2990:                           ;   in Loop: Header=BB216_2083 Depth=1
	s_or_b32 exec_lo, exec_lo, s22
.LBB216_2991:                           ;   in Loop: Header=BB216_2083 Depth=1
	s_or_b32 exec_lo, exec_lo, s21
.LBB216_2992:                           ;   in Loop: Header=BB216_2083 Depth=1
	s_or_b32 exec_lo, exec_lo, s20
	s_mov_b32 s20, exec_lo
	v_cmpx_lt_u32_e32 0xffffff, v6
	s_cbranch_execz .LBB216_3000
; %bb.2993:                             ;   in Loop: Header=BB216_2083 Depth=1
	v_mov_b32_e32 v11, v9
	v_cmp_ne_u32_sdwa s8, v6, v74 src0_sel:BYTE_3 src1_sel:DWORD
	v_mov_b32_e32 v10, v11
	v_mov_b32_e32 v11, v12
	s_and_saveexec_b32 s21, s8
	s_cbranch_execz .LBB216_2999
; %bb.2994:                             ;   in Loop: Header=BB216_2083 Depth=1
	v_mov_b32_e32 v13, v9
	v_bfe_u32 v30, v6, 24, 7
	s_mov_b32 s22, exec_lo
	v_mov_b32_e32 v10, v13
	v_mov_b32_e32 v11, v14
	v_cmpx_ne_u32_e32 0x7f, v30
	s_cbranch_execz .LBB216_2998
; %bb.2995:                             ;   in Loop: Header=BB216_2083 Depth=1
	v_and_b32_sdwa v8, v6, v77 dst_sel:DWORD dst_unused:UNUSED_PAD src0_sel:BYTE_3 src1_sel:DWORD
	v_lshrrev_b32_e32 v7, 3, v30
	s_mov_b32 s23, exec_lo
	v_cmpx_gt_u32_e32 8, v30
; %bb.2996:                             ;   in Loop: Header=BB216_2083 Depth=1
	v_ffbh_u32_e32 v7, v8
	v_min_u32_e32 v7, 32, v7
	v_subrev_nc_u32_e32 v10, 28, v7
	v_sub_nc_u32_e32 v7, 29, v7
	v_lshlrev_b64 v[10:11], v10, v[8:9]
	v_and_b32_e32 v8, 7, v10
; %bb.2997:                             ;   in Loop: Header=BB216_2083 Depth=1
	s_or_b32 exec_lo, exec_lo, s23
	v_lshlrev_b32_sdwa v6, v78, v6 dst_sel:DWORD dst_unused:UNUSED_PAD src0_sel:DWORD src1_sel:BYTE_3
	v_lshlrev_b32_e32 v8, 20, v8
	v_lshl_add_u32 v7, v7, 23, 0x3c000000
	v_mov_b32_e32 v10, v9
	v_and_b32_e32 v6, 0x80000000, v6
	v_or3_b32 v11, v8, v6, v7
.LBB216_2998:                           ;   in Loop: Header=BB216_2083 Depth=1
	s_or_b32 exec_lo, exec_lo, s22
.LBB216_2999:                           ;   in Loop: Header=BB216_2083 Depth=1
	s_or_b32 exec_lo, exec_lo, s21
.LBB216_3000:                           ;   in Loop: Header=BB216_2083 Depth=1
	s_or_b32 exec_lo, exec_lo, s20
	v_or_b32_e32 v6, v24, v22
	v_or_b32_e32 v7, v23, v21
	;; [unrolled: 1-line block ×4, first 2 shown]
	v_mul_f32_e32 v6, v106, v6
	buffer_store_dword v6, off, s[0:3], s32 offset:1076 ; 4-byte Folded Spill
	v_mul_f32_e32 v6, v106, v7
	buffer_store_dword v6, off, s[0:3], s32 offset:1068 ; 4-byte Folded Spill
	v_mul_f32_e32 v6, v106, v8
	buffer_store_dword v6, off, s[0:3], s32 offset:1060 ; 4-byte Folded Spill
	v_mul_f32_e32 v6, v106, v10
	buffer_store_dword v6, off, s[0:3], s32 offset:1052 ; 4-byte Folded Spill
	s_and_saveexec_b32 s8, s7
	s_cbranch_execz .LBB216_3002
; %bb.3001:                             ;   in Loop: Header=BB216_2083 Depth=1
	buffer_load_dword v6, off, s[0:3], s32 offset:1068 ; 4-byte Folded Reload
	s_waitcnt vmcnt(0)
	v_cndmask_b32_e32 v6, 0, v6, vcc_lo
	buffer_store_dword v6, off, s[0:3], s32 offset:1068 ; 4-byte Folded Spill
	buffer_load_dword v6, off, s[0:3], s32 offset:1076 ; 4-byte Folded Reload
	s_waitcnt vmcnt(0)
	v_cndmask_b32_e64 v6, 0, v6, s4
	buffer_store_dword v6, off, s[0:3], s32 offset:1076 ; 4-byte Folded Spill
	buffer_load_dword v6, off, s[0:3], s32 offset:1060 ; 4-byte Folded Reload
	s_waitcnt vmcnt(0)
	v_cndmask_b32_e64 v6, 0, v6, s5
	;; [unrolled: 4-line block ×3, first 2 shown]
	buffer_store_dword v6, off, s[0:3], s32 offset:1052 ; 4-byte Folded Spill
.LBB216_3002:                           ;   in Loop: Header=BB216_2083 Depth=1
	s_or_b32 exec_lo, exec_lo, s8
	flat_load_dword v6, v[19:20] offset:1408
	v_mov_b32_e32 v23, 0
	v_mov_b32_e32 v21, 0
	v_mov_b32_e32 v24, 0
	v_mov_b32_e32 v22, 0
	s_waitcnt vmcnt(0) lgkmcnt(0)
	v_cmp_ne_u16_sdwa s8, v6, v9 src0_sel:BYTE_0 src1_sel:DWORD
	s_and_saveexec_b32 s20, s8
	s_cbranch_execz .LBB216_3010
; %bb.3003:                             ;   in Loop: Header=BB216_2083 Depth=1
	v_bfrev_b32_e32 v21, 1
	v_mov_b32_e32 v22, 0
	v_cmp_ne_u16_sdwa s8, v6, v74 src0_sel:BYTE_0 src1_sel:DWORD
	s_and_saveexec_b32 s21, s8
	s_cbranch_execz .LBB216_3009
; %bb.3004:                             ;   in Loop: Header=BB216_2083 Depth=1
	v_mov_b32_e32 v21, 0x7f800001
	v_and_b32_e32 v10, 0x7f, v6
	v_mov_b32_e32 v22, 0
	s_mov_b32 s22, exec_lo
	v_cmpx_ne_u32_e32 0x7f, v10
	s_cbranch_execz .LBB216_3008
; %bb.3005:                             ;   in Loop: Header=BB216_2083 Depth=1
	v_and_b32_e32 v8, 7, v6
	v_lshrrev_b32_e32 v7, 3, v10
	s_mov_b32 s23, exec_lo
	v_cmpx_gt_u32_e32 8, v10
; %bb.3006:                             ;   in Loop: Header=BB216_2083 Depth=1
	v_ffbh_u32_e32 v7, v8
	v_min_u32_e32 v7, 32, v7
	v_subrev_nc_u32_e32 v10, 28, v7
	v_sub_nc_u32_e32 v7, 29, v7
	v_lshlrev_b64 v[10:11], v10, v[8:9]
	v_and_b32_e32 v8, 7, v10
; %bb.3007:                             ;   in Loop: Header=BB216_2083 Depth=1
	s_or_b32 exec_lo, exec_lo, s23
	v_lshlrev_b32_e32 v10, 24, v6
	v_lshlrev_b32_e32 v8, 20, v8
	v_lshl_add_u32 v7, v7, 23, 0x3c000000
	v_and_b32_e32 v10, 0x80000000, v10
	v_or3_b32 v8, v8, v10, v7
	v_mov_b32_e32 v22, v9
	v_mov_b32_e32 v21, v8
.LBB216_3008:                           ;   in Loop: Header=BB216_2083 Depth=1
	s_or_b32 exec_lo, exec_lo, s22
.LBB216_3009:                           ;   in Loop: Header=BB216_2083 Depth=1
	s_or_b32 exec_lo, exec_lo, s21
.LBB216_3010:                           ;   in Loop: Header=BB216_2083 Depth=1
	s_or_b32 exec_lo, exec_lo, s20
	v_cmp_ne_u16_sdwa s8, v6, v9 src0_sel:BYTE_1 src1_sel:DWORD
	s_and_saveexec_b32 s20, s8
	s_cbranch_execz .LBB216_3018
; %bb.3011:                             ;   in Loop: Header=BB216_2083 Depth=1
	v_mov_b32_e32 v11, v9
	v_mov_b32_e32 v24, v12
	v_cmp_ne_u16_sdwa s8, v6, v74 src0_sel:BYTE_1 src1_sel:DWORD
	v_mov_b32_e32 v23, v11
	s_and_saveexec_b32 s21, s8
	s_cbranch_execz .LBB216_3017
; %bb.3012:                             ;   in Loop: Header=BB216_2083 Depth=1
	v_and_b32_sdwa v7, v75, v6 dst_sel:DWORD dst_unused:UNUSED_PAD src0_sel:DWORD src1_sel:BYTE_1
	v_mov_b32_e32 v13, v9
	v_mov_b32_e32 v24, v14
	s_mov_b32 s22, exec_lo
	v_and_b32_e32 v10, 0x7f, v7
	v_mov_b32_e32 v23, v13
	v_cmpx_ne_u32_e32 0x7f, v10
	s_cbranch_execz .LBB216_3016
; %bb.3013:                             ;   in Loop: Header=BB216_2083 Depth=1
	v_and_b32_e32 v8, 7, v7
	v_lshrrev_b32_e32 v7, 3, v10
	s_mov_b32 s23, exec_lo
	v_cmpx_gt_u32_e32 8, v10
; %bb.3014:                             ;   in Loop: Header=BB216_2083 Depth=1
	v_ffbh_u32_e32 v7, v8
	v_min_u32_e32 v7, 32, v7
	v_subrev_nc_u32_e32 v10, 28, v7
	v_sub_nc_u32_e32 v7, 29, v7
	v_lshlrev_b64 v[10:11], v10, v[8:9]
	v_and_b32_e32 v8, 7, v10
; %bb.3015:                             ;   in Loop: Header=BB216_2083 Depth=1
	s_or_b32 exec_lo, exec_lo, s23
	v_lshlrev_b32_e32 v10, 16, v6
	v_lshlrev_b32_e32 v8, 20, v8
	v_lshl_add_u32 v7, v7, 23, 0x3c000000
	v_mov_b32_e32 v23, v9
	v_and_b32_e32 v10, 0x80000000, v10
	v_or3_b32 v24, v8, v10, v7
.LBB216_3016:                           ;   in Loop: Header=BB216_2083 Depth=1
	s_or_b32 exec_lo, exec_lo, s22
.LBB216_3017:                           ;   in Loop: Header=BB216_2083 Depth=1
	s_or_b32 exec_lo, exec_lo, s21
.LBB216_3018:                           ;   in Loop: Header=BB216_2083 Depth=1
	s_or_b32 exec_lo, exec_lo, s20
	v_mov_b32_e32 v10, 0
	v_mov_b32_e32 v25, 0
	v_and_b32_sdwa v7, v6, v76 dst_sel:DWORD dst_unused:UNUSED_PAD src0_sel:WORD_1 src1_sel:DWORD
	v_mov_b32_e32 v11, 0
	v_mov_b32_e32 v26, 0
	s_mov_b32 s20, exec_lo
	v_cmpx_ne_u16_e32 0, v7
	s_cbranch_execz .LBB216_3026
; %bb.3019:                             ;   in Loop: Header=BB216_2083 Depth=1
	v_bfrev_b32_e32 v25, 1
	v_mov_b32_e32 v26, 0
	s_mov_b32 s21, exec_lo
	v_cmpx_ne_u16_e32 0x80, v7
	s_cbranch_execz .LBB216_3025
; %bb.3020:                             ;   in Loop: Header=BB216_2083 Depth=1
	v_mov_b32_e32 v25, 0x7f800001
	v_bfe_u32 v13, v6, 16, 7
	v_mov_b32_e32 v26, 0
	s_mov_b32 s22, exec_lo
	v_cmpx_ne_u32_e32 0x7f, v13
	s_cbranch_execz .LBB216_3024
; %bb.3021:                             ;   in Loop: Header=BB216_2083 Depth=1
	v_and_b32_sdwa v8, v6, v77 dst_sel:DWORD dst_unused:UNUSED_PAD src0_sel:WORD_1 src1_sel:DWORD
	v_lshrrev_b32_e32 v7, 3, v13
	s_mov_b32 s23, exec_lo
	v_cmpx_gt_u32_e32 8, v13
; %bb.3022:                             ;   in Loop: Header=BB216_2083 Depth=1
	v_ffbh_u32_e32 v7, v8
	v_min_u32_e32 v7, 32, v7
	v_subrev_nc_u32_e32 v13, 28, v7
	v_sub_nc_u32_e32 v7, 29, v7
	v_lshlrev_b64 v[25:26], v13, v[8:9]
	v_and_b32_e32 v8, 7, v25
; %bb.3023:                             ;   in Loop: Header=BB216_2083 Depth=1
	s_or_b32 exec_lo, exec_lo, s23
	v_lshlrev_b32_sdwa v13, v78, v6 dst_sel:DWORD dst_unused:UNUSED_PAD src0_sel:DWORD src1_sel:WORD_1
	v_lshlrev_b32_e32 v8, 20, v8
	v_lshl_add_u32 v7, v7, 23, 0x3c000000
	v_and_b32_e32 v13, 0x80000000, v13
	v_or3_b32 v8, v8, v13, v7
	v_mov_b32_e32 v26, v9
	v_mov_b32_e32 v25, v8
.LBB216_3024:                           ;   in Loop: Header=BB216_2083 Depth=1
	s_or_b32 exec_lo, exec_lo, s22
.LBB216_3025:                           ;   in Loop: Header=BB216_2083 Depth=1
	s_or_b32 exec_lo, exec_lo, s21
.LBB216_3026:                           ;   in Loop: Header=BB216_2083 Depth=1
	s_or_b32 exec_lo, exec_lo, s20
	s_mov_b32 s20, exec_lo
	v_cmpx_lt_u32_e32 0xffffff, v6
	s_cbranch_execz .LBB216_3034
; %bb.3027:                             ;   in Loop: Header=BB216_2083 Depth=1
	v_mov_b32_e32 v11, v9
	v_cmp_ne_u32_sdwa s8, v6, v74 src0_sel:BYTE_3 src1_sel:DWORD
	v_mov_b32_e32 v10, v11
	v_mov_b32_e32 v11, v12
	s_and_saveexec_b32 s21, s8
	s_cbranch_execz .LBB216_3033
; %bb.3028:                             ;   in Loop: Header=BB216_2083 Depth=1
	v_mov_b32_e32 v13, v9
	v_bfe_u32 v30, v6, 24, 7
	s_mov_b32 s22, exec_lo
	v_mov_b32_e32 v10, v13
	v_mov_b32_e32 v11, v14
	v_cmpx_ne_u32_e32 0x7f, v30
	s_cbranch_execz .LBB216_3032
; %bb.3029:                             ;   in Loop: Header=BB216_2083 Depth=1
	v_and_b32_sdwa v8, v6, v77 dst_sel:DWORD dst_unused:UNUSED_PAD src0_sel:BYTE_3 src1_sel:DWORD
	v_lshrrev_b32_e32 v7, 3, v30
	s_mov_b32 s23, exec_lo
	v_cmpx_gt_u32_e32 8, v30
; %bb.3030:                             ;   in Loop: Header=BB216_2083 Depth=1
	v_ffbh_u32_e32 v7, v8
	v_min_u32_e32 v7, 32, v7
	v_subrev_nc_u32_e32 v10, 28, v7
	v_sub_nc_u32_e32 v7, 29, v7
	v_lshlrev_b64 v[10:11], v10, v[8:9]
	v_and_b32_e32 v8, 7, v10
; %bb.3031:                             ;   in Loop: Header=BB216_2083 Depth=1
	s_or_b32 exec_lo, exec_lo, s23
	v_lshlrev_b32_sdwa v6, v78, v6 dst_sel:DWORD dst_unused:UNUSED_PAD src0_sel:DWORD src1_sel:BYTE_3
	v_lshlrev_b32_e32 v8, 20, v8
	v_lshl_add_u32 v7, v7, 23, 0x3c000000
	v_mov_b32_e32 v10, v9
	v_and_b32_e32 v6, 0x80000000, v6
	v_or3_b32 v11, v8, v6, v7
.LBB216_3032:                           ;   in Loop: Header=BB216_2083 Depth=1
	s_or_b32 exec_lo, exec_lo, s22
.LBB216_3033:                           ;   in Loop: Header=BB216_2083 Depth=1
	s_or_b32 exec_lo, exec_lo, s21
.LBB216_3034:                           ;   in Loop: Header=BB216_2083 Depth=1
	s_or_b32 exec_lo, exec_lo, s20
	v_or_b32_e32 v6, v24, v22
	v_or_b32_e32 v7, v23, v21
	;; [unrolled: 1-line block ×4, first 2 shown]
	v_mul_f32_e32 v6, v106, v6
	buffer_store_dword v6, off, s[0:3], s32 offset:1108 ; 4-byte Folded Spill
	v_mul_f32_e32 v6, v106, v7
	buffer_store_dword v6, off, s[0:3], s32 offset:1100 ; 4-byte Folded Spill
	;; [unrolled: 2-line block ×4, first 2 shown]
	s_and_saveexec_b32 s8, s7
	s_cbranch_execz .LBB216_3036
; %bb.3035:                             ;   in Loop: Header=BB216_2083 Depth=1
	buffer_load_dword v6, off, s[0:3], s32 offset:1100 ; 4-byte Folded Reload
	s_waitcnt vmcnt(0)
	v_cndmask_b32_e32 v6, 0, v6, vcc_lo
	buffer_store_dword v6, off, s[0:3], s32 offset:1100 ; 4-byte Folded Spill
	buffer_load_dword v6, off, s[0:3], s32 offset:1108 ; 4-byte Folded Reload
	s_waitcnt vmcnt(0)
	v_cndmask_b32_e64 v6, 0, v6, s4
	buffer_store_dword v6, off, s[0:3], s32 offset:1108 ; 4-byte Folded Spill
	buffer_load_dword v6, off, s[0:3], s32 offset:1092 ; 4-byte Folded Reload
	s_waitcnt vmcnt(0)
	v_cndmask_b32_e64 v6, 0, v6, s5
	;; [unrolled: 4-line block ×3, first 2 shown]
	buffer_store_dword v6, off, s[0:3], s32 offset:1084 ; 4-byte Folded Spill
.LBB216_3036:                           ;   in Loop: Header=BB216_2083 Depth=1
	s_or_b32 exec_lo, exec_lo, s8
	flat_load_dword v6, v[19:20] offset:1536
	v_mov_b32_e32 v23, 0
	v_mov_b32_e32 v21, 0
	;; [unrolled: 1-line block ×4, first 2 shown]
	s_waitcnt vmcnt(0) lgkmcnt(0)
	v_cmp_ne_u16_sdwa s8, v6, v9 src0_sel:BYTE_0 src1_sel:DWORD
	s_and_saveexec_b32 s20, s8
	s_cbranch_execz .LBB216_3044
; %bb.3037:                             ;   in Loop: Header=BB216_2083 Depth=1
	v_bfrev_b32_e32 v21, 1
	v_mov_b32_e32 v22, 0
	v_cmp_ne_u16_sdwa s8, v6, v74 src0_sel:BYTE_0 src1_sel:DWORD
	s_and_saveexec_b32 s21, s8
	s_cbranch_execz .LBB216_3043
; %bb.3038:                             ;   in Loop: Header=BB216_2083 Depth=1
	v_mov_b32_e32 v21, 0x7f800001
	v_and_b32_e32 v10, 0x7f, v6
	v_mov_b32_e32 v22, 0
	s_mov_b32 s22, exec_lo
	v_cmpx_ne_u32_e32 0x7f, v10
	s_cbranch_execz .LBB216_3042
; %bb.3039:                             ;   in Loop: Header=BB216_2083 Depth=1
	v_and_b32_e32 v8, 7, v6
	v_lshrrev_b32_e32 v7, 3, v10
	s_mov_b32 s23, exec_lo
	v_cmpx_gt_u32_e32 8, v10
; %bb.3040:                             ;   in Loop: Header=BB216_2083 Depth=1
	v_ffbh_u32_e32 v7, v8
	v_min_u32_e32 v7, 32, v7
	v_subrev_nc_u32_e32 v10, 28, v7
	v_sub_nc_u32_e32 v7, 29, v7
	v_lshlrev_b64 v[10:11], v10, v[8:9]
	v_and_b32_e32 v8, 7, v10
; %bb.3041:                             ;   in Loop: Header=BB216_2083 Depth=1
	s_or_b32 exec_lo, exec_lo, s23
	v_lshlrev_b32_e32 v10, 24, v6
	v_lshlrev_b32_e32 v8, 20, v8
	v_lshl_add_u32 v7, v7, 23, 0x3c000000
	v_and_b32_e32 v10, 0x80000000, v10
	v_or3_b32 v8, v8, v10, v7
	v_mov_b32_e32 v22, v9
	v_mov_b32_e32 v21, v8
.LBB216_3042:                           ;   in Loop: Header=BB216_2083 Depth=1
	s_or_b32 exec_lo, exec_lo, s22
.LBB216_3043:                           ;   in Loop: Header=BB216_2083 Depth=1
	s_or_b32 exec_lo, exec_lo, s21
.LBB216_3044:                           ;   in Loop: Header=BB216_2083 Depth=1
	s_or_b32 exec_lo, exec_lo, s20
	v_cmp_ne_u16_sdwa s8, v6, v9 src0_sel:BYTE_1 src1_sel:DWORD
	s_and_saveexec_b32 s20, s8
	s_cbranch_execz .LBB216_3052
; %bb.3045:                             ;   in Loop: Header=BB216_2083 Depth=1
	v_mov_b32_e32 v11, v9
	v_mov_b32_e32 v24, v12
	v_cmp_ne_u16_sdwa s8, v6, v74 src0_sel:BYTE_1 src1_sel:DWORD
	v_mov_b32_e32 v23, v11
	s_and_saveexec_b32 s21, s8
	s_cbranch_execz .LBB216_3051
; %bb.3046:                             ;   in Loop: Header=BB216_2083 Depth=1
	v_and_b32_sdwa v7, v75, v6 dst_sel:DWORD dst_unused:UNUSED_PAD src0_sel:DWORD src1_sel:BYTE_1
	v_mov_b32_e32 v13, v9
	v_mov_b32_e32 v24, v14
	s_mov_b32 s22, exec_lo
	v_and_b32_e32 v10, 0x7f, v7
	v_mov_b32_e32 v23, v13
	v_cmpx_ne_u32_e32 0x7f, v10
	s_cbranch_execz .LBB216_3050
; %bb.3047:                             ;   in Loop: Header=BB216_2083 Depth=1
	v_and_b32_e32 v8, 7, v7
	v_lshrrev_b32_e32 v7, 3, v10
	s_mov_b32 s23, exec_lo
	v_cmpx_gt_u32_e32 8, v10
; %bb.3048:                             ;   in Loop: Header=BB216_2083 Depth=1
	v_ffbh_u32_e32 v7, v8
	v_min_u32_e32 v7, 32, v7
	v_subrev_nc_u32_e32 v10, 28, v7
	v_sub_nc_u32_e32 v7, 29, v7
	v_lshlrev_b64 v[10:11], v10, v[8:9]
	v_and_b32_e32 v8, 7, v10
; %bb.3049:                             ;   in Loop: Header=BB216_2083 Depth=1
	s_or_b32 exec_lo, exec_lo, s23
	v_lshlrev_b32_e32 v10, 16, v6
	v_lshlrev_b32_e32 v8, 20, v8
	v_lshl_add_u32 v7, v7, 23, 0x3c000000
	v_mov_b32_e32 v23, v9
	v_and_b32_e32 v10, 0x80000000, v10
	v_or3_b32 v24, v8, v10, v7
.LBB216_3050:                           ;   in Loop: Header=BB216_2083 Depth=1
	s_or_b32 exec_lo, exec_lo, s22
.LBB216_3051:                           ;   in Loop: Header=BB216_2083 Depth=1
	s_or_b32 exec_lo, exec_lo, s21
.LBB216_3052:                           ;   in Loop: Header=BB216_2083 Depth=1
	s_or_b32 exec_lo, exec_lo, s20
	v_mov_b32_e32 v10, 0
	v_mov_b32_e32 v25, 0
	v_and_b32_sdwa v7, v6, v76 dst_sel:DWORD dst_unused:UNUSED_PAD src0_sel:WORD_1 src1_sel:DWORD
	v_mov_b32_e32 v11, 0
	v_mov_b32_e32 v26, 0
	s_mov_b32 s20, exec_lo
	v_cmpx_ne_u16_e32 0, v7
	s_cbranch_execz .LBB216_3060
; %bb.3053:                             ;   in Loop: Header=BB216_2083 Depth=1
	v_bfrev_b32_e32 v25, 1
	v_mov_b32_e32 v26, 0
	s_mov_b32 s21, exec_lo
	v_cmpx_ne_u16_e32 0x80, v7
	s_cbranch_execz .LBB216_3059
; %bb.3054:                             ;   in Loop: Header=BB216_2083 Depth=1
	v_mov_b32_e32 v25, 0x7f800001
	v_bfe_u32 v13, v6, 16, 7
	v_mov_b32_e32 v26, 0
	s_mov_b32 s22, exec_lo
	v_cmpx_ne_u32_e32 0x7f, v13
	s_cbranch_execz .LBB216_3058
; %bb.3055:                             ;   in Loop: Header=BB216_2083 Depth=1
	v_and_b32_sdwa v8, v6, v77 dst_sel:DWORD dst_unused:UNUSED_PAD src0_sel:WORD_1 src1_sel:DWORD
	v_lshrrev_b32_e32 v7, 3, v13
	s_mov_b32 s23, exec_lo
	v_cmpx_gt_u32_e32 8, v13
; %bb.3056:                             ;   in Loop: Header=BB216_2083 Depth=1
	v_ffbh_u32_e32 v7, v8
	v_min_u32_e32 v7, 32, v7
	v_subrev_nc_u32_e32 v13, 28, v7
	v_sub_nc_u32_e32 v7, 29, v7
	v_lshlrev_b64 v[25:26], v13, v[8:9]
	v_and_b32_e32 v8, 7, v25
; %bb.3057:                             ;   in Loop: Header=BB216_2083 Depth=1
	s_or_b32 exec_lo, exec_lo, s23
	v_lshlrev_b32_sdwa v13, v78, v6 dst_sel:DWORD dst_unused:UNUSED_PAD src0_sel:DWORD src1_sel:WORD_1
	v_lshlrev_b32_e32 v8, 20, v8
	v_lshl_add_u32 v7, v7, 23, 0x3c000000
	v_and_b32_e32 v13, 0x80000000, v13
	v_or3_b32 v8, v8, v13, v7
	v_mov_b32_e32 v26, v9
	v_mov_b32_e32 v25, v8
.LBB216_3058:                           ;   in Loop: Header=BB216_2083 Depth=1
	s_or_b32 exec_lo, exec_lo, s22
.LBB216_3059:                           ;   in Loop: Header=BB216_2083 Depth=1
	s_or_b32 exec_lo, exec_lo, s21
.LBB216_3060:                           ;   in Loop: Header=BB216_2083 Depth=1
	s_or_b32 exec_lo, exec_lo, s20
	s_mov_b32 s20, exec_lo
	v_cmpx_lt_u32_e32 0xffffff, v6
	s_cbranch_execz .LBB216_3068
; %bb.3061:                             ;   in Loop: Header=BB216_2083 Depth=1
	v_mov_b32_e32 v11, v9
	v_cmp_ne_u32_sdwa s8, v6, v74 src0_sel:BYTE_3 src1_sel:DWORD
	v_mov_b32_e32 v10, v11
	v_mov_b32_e32 v11, v12
	s_and_saveexec_b32 s21, s8
	s_cbranch_execz .LBB216_3067
; %bb.3062:                             ;   in Loop: Header=BB216_2083 Depth=1
	v_mov_b32_e32 v13, v9
	v_bfe_u32 v30, v6, 24, 7
	s_mov_b32 s22, exec_lo
	v_mov_b32_e32 v10, v13
	v_mov_b32_e32 v11, v14
	v_cmpx_ne_u32_e32 0x7f, v30
	s_cbranch_execz .LBB216_3066
; %bb.3063:                             ;   in Loop: Header=BB216_2083 Depth=1
	v_and_b32_sdwa v8, v6, v77 dst_sel:DWORD dst_unused:UNUSED_PAD src0_sel:BYTE_3 src1_sel:DWORD
	v_lshrrev_b32_e32 v7, 3, v30
	s_mov_b32 s23, exec_lo
	v_cmpx_gt_u32_e32 8, v30
; %bb.3064:                             ;   in Loop: Header=BB216_2083 Depth=1
	v_ffbh_u32_e32 v7, v8
	v_min_u32_e32 v7, 32, v7
	v_subrev_nc_u32_e32 v10, 28, v7
	v_sub_nc_u32_e32 v7, 29, v7
	v_lshlrev_b64 v[10:11], v10, v[8:9]
	v_and_b32_e32 v8, 7, v10
; %bb.3065:                             ;   in Loop: Header=BB216_2083 Depth=1
	s_or_b32 exec_lo, exec_lo, s23
	v_lshlrev_b32_sdwa v6, v78, v6 dst_sel:DWORD dst_unused:UNUSED_PAD src0_sel:DWORD src1_sel:BYTE_3
	v_lshlrev_b32_e32 v8, 20, v8
	v_lshl_add_u32 v7, v7, 23, 0x3c000000
	v_mov_b32_e32 v10, v9
	v_and_b32_e32 v6, 0x80000000, v6
	v_or3_b32 v11, v8, v6, v7
.LBB216_3066:                           ;   in Loop: Header=BB216_2083 Depth=1
	s_or_b32 exec_lo, exec_lo, s22
.LBB216_3067:                           ;   in Loop: Header=BB216_2083 Depth=1
	s_or_b32 exec_lo, exec_lo, s21
.LBB216_3068:                           ;   in Loop: Header=BB216_2083 Depth=1
	s_or_b32 exec_lo, exec_lo, s20
	v_or_b32_e32 v6, v24, v22
	v_or_b32_e32 v7, v23, v21
	;; [unrolled: 1-line block ×4, first 2 shown]
	v_mul_f32_e32 v6, v106, v6
	buffer_store_dword v6, off, s[0:3], s32 offset:1140 ; 4-byte Folded Spill
	v_mul_f32_e32 v6, v106, v7
	buffer_store_dword v6, off, s[0:3], s32 offset:1132 ; 4-byte Folded Spill
	;; [unrolled: 2-line block ×4, first 2 shown]
	s_and_saveexec_b32 s8, s7
	s_cbranch_execz .LBB216_3070
; %bb.3069:                             ;   in Loop: Header=BB216_2083 Depth=1
	buffer_load_dword v6, off, s[0:3], s32 offset:1132 ; 4-byte Folded Reload
	s_waitcnt vmcnt(0)
	v_cndmask_b32_e32 v6, 0, v6, vcc_lo
	buffer_store_dword v6, off, s[0:3], s32 offset:1132 ; 4-byte Folded Spill
	buffer_load_dword v6, off, s[0:3], s32 offset:1140 ; 4-byte Folded Reload
	s_waitcnt vmcnt(0)
	v_cndmask_b32_e64 v6, 0, v6, s4
	buffer_store_dword v6, off, s[0:3], s32 offset:1140 ; 4-byte Folded Spill
	buffer_load_dword v6, off, s[0:3], s32 offset:1124 ; 4-byte Folded Reload
	s_waitcnt vmcnt(0)
	v_cndmask_b32_e64 v6, 0, v6, s5
	;; [unrolled: 4-line block ×3, first 2 shown]
	buffer_store_dword v6, off, s[0:3], s32 offset:1116 ; 4-byte Folded Spill
.LBB216_3070:                           ;   in Loop: Header=BB216_2083 Depth=1
	s_or_b32 exec_lo, exec_lo, s8
	flat_load_dword v6, v[19:20] offset:1664
	v_mov_b32_e32 v23, 0
	v_mov_b32_e32 v21, 0
	;; [unrolled: 1-line block ×4, first 2 shown]
	s_waitcnt vmcnt(0) lgkmcnt(0)
	v_cmp_ne_u16_sdwa s8, v6, v9 src0_sel:BYTE_0 src1_sel:DWORD
	s_and_saveexec_b32 s20, s8
	s_cbranch_execz .LBB216_3078
; %bb.3071:                             ;   in Loop: Header=BB216_2083 Depth=1
	v_bfrev_b32_e32 v21, 1
	v_mov_b32_e32 v22, 0
	v_cmp_ne_u16_sdwa s8, v6, v74 src0_sel:BYTE_0 src1_sel:DWORD
	s_and_saveexec_b32 s21, s8
	s_cbranch_execz .LBB216_3077
; %bb.3072:                             ;   in Loop: Header=BB216_2083 Depth=1
	v_mov_b32_e32 v21, 0x7f800001
	v_and_b32_e32 v10, 0x7f, v6
	v_mov_b32_e32 v22, 0
	s_mov_b32 s22, exec_lo
	v_cmpx_ne_u32_e32 0x7f, v10
	s_cbranch_execz .LBB216_3076
; %bb.3073:                             ;   in Loop: Header=BB216_2083 Depth=1
	v_and_b32_e32 v8, 7, v6
	v_lshrrev_b32_e32 v7, 3, v10
	s_mov_b32 s23, exec_lo
	v_cmpx_gt_u32_e32 8, v10
; %bb.3074:                             ;   in Loop: Header=BB216_2083 Depth=1
	v_ffbh_u32_e32 v7, v8
	v_min_u32_e32 v7, 32, v7
	v_subrev_nc_u32_e32 v10, 28, v7
	v_sub_nc_u32_e32 v7, 29, v7
	v_lshlrev_b64 v[10:11], v10, v[8:9]
	v_and_b32_e32 v8, 7, v10
; %bb.3075:                             ;   in Loop: Header=BB216_2083 Depth=1
	s_or_b32 exec_lo, exec_lo, s23
	v_lshlrev_b32_e32 v10, 24, v6
	v_lshlrev_b32_e32 v8, 20, v8
	v_lshl_add_u32 v7, v7, 23, 0x3c000000
	v_and_b32_e32 v10, 0x80000000, v10
	v_or3_b32 v8, v8, v10, v7
	v_mov_b32_e32 v22, v9
	v_mov_b32_e32 v21, v8
.LBB216_3076:                           ;   in Loop: Header=BB216_2083 Depth=1
	s_or_b32 exec_lo, exec_lo, s22
.LBB216_3077:                           ;   in Loop: Header=BB216_2083 Depth=1
	s_or_b32 exec_lo, exec_lo, s21
.LBB216_3078:                           ;   in Loop: Header=BB216_2083 Depth=1
	s_or_b32 exec_lo, exec_lo, s20
	v_cmp_ne_u16_sdwa s8, v6, v9 src0_sel:BYTE_1 src1_sel:DWORD
	s_and_saveexec_b32 s20, s8
	s_cbranch_execz .LBB216_3086
; %bb.3079:                             ;   in Loop: Header=BB216_2083 Depth=1
	v_mov_b32_e32 v11, v9
	v_mov_b32_e32 v24, v12
	v_cmp_ne_u16_sdwa s8, v6, v74 src0_sel:BYTE_1 src1_sel:DWORD
	v_mov_b32_e32 v23, v11
	s_and_saveexec_b32 s21, s8
	s_cbranch_execz .LBB216_3085
; %bb.3080:                             ;   in Loop: Header=BB216_2083 Depth=1
	v_and_b32_sdwa v7, v75, v6 dst_sel:DWORD dst_unused:UNUSED_PAD src0_sel:DWORD src1_sel:BYTE_1
	v_mov_b32_e32 v13, v9
	v_mov_b32_e32 v24, v14
	s_mov_b32 s22, exec_lo
	v_and_b32_e32 v10, 0x7f, v7
	v_mov_b32_e32 v23, v13
	v_cmpx_ne_u32_e32 0x7f, v10
	s_cbranch_execz .LBB216_3084
; %bb.3081:                             ;   in Loop: Header=BB216_2083 Depth=1
	v_and_b32_e32 v8, 7, v7
	v_lshrrev_b32_e32 v7, 3, v10
	s_mov_b32 s23, exec_lo
	v_cmpx_gt_u32_e32 8, v10
; %bb.3082:                             ;   in Loop: Header=BB216_2083 Depth=1
	v_ffbh_u32_e32 v7, v8
	v_min_u32_e32 v7, 32, v7
	v_subrev_nc_u32_e32 v10, 28, v7
	v_sub_nc_u32_e32 v7, 29, v7
	v_lshlrev_b64 v[10:11], v10, v[8:9]
	v_and_b32_e32 v8, 7, v10
; %bb.3083:                             ;   in Loop: Header=BB216_2083 Depth=1
	s_or_b32 exec_lo, exec_lo, s23
	v_lshlrev_b32_e32 v10, 16, v6
	v_lshlrev_b32_e32 v8, 20, v8
	v_lshl_add_u32 v7, v7, 23, 0x3c000000
	v_mov_b32_e32 v23, v9
	v_and_b32_e32 v10, 0x80000000, v10
	v_or3_b32 v24, v8, v10, v7
.LBB216_3084:                           ;   in Loop: Header=BB216_2083 Depth=1
	s_or_b32 exec_lo, exec_lo, s22
.LBB216_3085:                           ;   in Loop: Header=BB216_2083 Depth=1
	s_or_b32 exec_lo, exec_lo, s21
.LBB216_3086:                           ;   in Loop: Header=BB216_2083 Depth=1
	s_or_b32 exec_lo, exec_lo, s20
	v_mov_b32_e32 v10, 0
	v_mov_b32_e32 v25, 0
	v_and_b32_sdwa v7, v6, v76 dst_sel:DWORD dst_unused:UNUSED_PAD src0_sel:WORD_1 src1_sel:DWORD
	v_mov_b32_e32 v11, 0
	v_mov_b32_e32 v26, 0
	s_mov_b32 s20, exec_lo
	v_cmpx_ne_u16_e32 0, v7
	s_cbranch_execz .LBB216_3094
; %bb.3087:                             ;   in Loop: Header=BB216_2083 Depth=1
	v_bfrev_b32_e32 v25, 1
	v_mov_b32_e32 v26, 0
	s_mov_b32 s21, exec_lo
	v_cmpx_ne_u16_e32 0x80, v7
	s_cbranch_execz .LBB216_3093
; %bb.3088:                             ;   in Loop: Header=BB216_2083 Depth=1
	v_mov_b32_e32 v25, 0x7f800001
	v_bfe_u32 v13, v6, 16, 7
	v_mov_b32_e32 v26, 0
	s_mov_b32 s22, exec_lo
	v_cmpx_ne_u32_e32 0x7f, v13
	s_cbranch_execz .LBB216_3092
; %bb.3089:                             ;   in Loop: Header=BB216_2083 Depth=1
	v_and_b32_sdwa v8, v6, v77 dst_sel:DWORD dst_unused:UNUSED_PAD src0_sel:WORD_1 src1_sel:DWORD
	v_lshrrev_b32_e32 v7, 3, v13
	s_mov_b32 s23, exec_lo
	v_cmpx_gt_u32_e32 8, v13
; %bb.3090:                             ;   in Loop: Header=BB216_2083 Depth=1
	v_ffbh_u32_e32 v7, v8
	v_min_u32_e32 v7, 32, v7
	v_subrev_nc_u32_e32 v13, 28, v7
	v_sub_nc_u32_e32 v7, 29, v7
	v_lshlrev_b64 v[25:26], v13, v[8:9]
	v_and_b32_e32 v8, 7, v25
; %bb.3091:                             ;   in Loop: Header=BB216_2083 Depth=1
	s_or_b32 exec_lo, exec_lo, s23
	v_lshlrev_b32_sdwa v13, v78, v6 dst_sel:DWORD dst_unused:UNUSED_PAD src0_sel:DWORD src1_sel:WORD_1
	v_lshlrev_b32_e32 v8, 20, v8
	v_lshl_add_u32 v7, v7, 23, 0x3c000000
	v_and_b32_e32 v13, 0x80000000, v13
	v_or3_b32 v8, v8, v13, v7
	v_mov_b32_e32 v26, v9
	v_mov_b32_e32 v25, v8
.LBB216_3092:                           ;   in Loop: Header=BB216_2083 Depth=1
	s_or_b32 exec_lo, exec_lo, s22
.LBB216_3093:                           ;   in Loop: Header=BB216_2083 Depth=1
	s_or_b32 exec_lo, exec_lo, s21
.LBB216_3094:                           ;   in Loop: Header=BB216_2083 Depth=1
	s_or_b32 exec_lo, exec_lo, s20
	s_mov_b32 s20, exec_lo
	v_cmpx_lt_u32_e32 0xffffff, v6
	s_cbranch_execz .LBB216_3102
; %bb.3095:                             ;   in Loop: Header=BB216_2083 Depth=1
	v_mov_b32_e32 v11, v9
	v_cmp_ne_u32_sdwa s8, v6, v74 src0_sel:BYTE_3 src1_sel:DWORD
	v_mov_b32_e32 v10, v11
	v_mov_b32_e32 v11, v12
	s_and_saveexec_b32 s21, s8
	s_cbranch_execz .LBB216_3101
; %bb.3096:                             ;   in Loop: Header=BB216_2083 Depth=1
	v_mov_b32_e32 v13, v9
	v_bfe_u32 v30, v6, 24, 7
	s_mov_b32 s22, exec_lo
	v_mov_b32_e32 v10, v13
	v_mov_b32_e32 v11, v14
	v_cmpx_ne_u32_e32 0x7f, v30
	s_cbranch_execz .LBB216_3100
; %bb.3097:                             ;   in Loop: Header=BB216_2083 Depth=1
	v_and_b32_sdwa v8, v6, v77 dst_sel:DWORD dst_unused:UNUSED_PAD src0_sel:BYTE_3 src1_sel:DWORD
	v_lshrrev_b32_e32 v7, 3, v30
	s_mov_b32 s23, exec_lo
	v_cmpx_gt_u32_e32 8, v30
; %bb.3098:                             ;   in Loop: Header=BB216_2083 Depth=1
	v_ffbh_u32_e32 v7, v8
	v_min_u32_e32 v7, 32, v7
	v_subrev_nc_u32_e32 v10, 28, v7
	v_sub_nc_u32_e32 v7, 29, v7
	v_lshlrev_b64 v[10:11], v10, v[8:9]
	v_and_b32_e32 v8, 7, v10
; %bb.3099:                             ;   in Loop: Header=BB216_2083 Depth=1
	s_or_b32 exec_lo, exec_lo, s23
	v_lshlrev_b32_sdwa v6, v78, v6 dst_sel:DWORD dst_unused:UNUSED_PAD src0_sel:DWORD src1_sel:BYTE_3
	v_lshlrev_b32_e32 v8, 20, v8
	v_lshl_add_u32 v7, v7, 23, 0x3c000000
	v_mov_b32_e32 v10, v9
	v_and_b32_e32 v6, 0x80000000, v6
	v_or3_b32 v11, v8, v6, v7
.LBB216_3100:                           ;   in Loop: Header=BB216_2083 Depth=1
	s_or_b32 exec_lo, exec_lo, s22
.LBB216_3101:                           ;   in Loop: Header=BB216_2083 Depth=1
	s_or_b32 exec_lo, exec_lo, s21
.LBB216_3102:                           ;   in Loop: Header=BB216_2083 Depth=1
	s_or_b32 exec_lo, exec_lo, s20
	v_or_b32_e32 v6, v24, v22
	v_or_b32_e32 v7, v23, v21
	;; [unrolled: 1-line block ×4, first 2 shown]
	v_mul_f32_e32 v6, v106, v6
	buffer_store_dword v6, off, s[0:3], s32 offset:1172 ; 4-byte Folded Spill
	v_mul_f32_e32 v6, v106, v7
	buffer_store_dword v6, off, s[0:3], s32 offset:1164 ; 4-byte Folded Spill
	;; [unrolled: 2-line block ×4, first 2 shown]
	s_and_saveexec_b32 s8, s7
	s_cbranch_execz .LBB216_3104
; %bb.3103:                             ;   in Loop: Header=BB216_2083 Depth=1
	buffer_load_dword v6, off, s[0:3], s32 offset:1164 ; 4-byte Folded Reload
	s_waitcnt vmcnt(0)
	v_cndmask_b32_e32 v6, 0, v6, vcc_lo
	buffer_store_dword v6, off, s[0:3], s32 offset:1164 ; 4-byte Folded Spill
	buffer_load_dword v6, off, s[0:3], s32 offset:1172 ; 4-byte Folded Reload
	s_waitcnt vmcnt(0)
	v_cndmask_b32_e64 v6, 0, v6, s4
	buffer_store_dword v6, off, s[0:3], s32 offset:1172 ; 4-byte Folded Spill
	buffer_load_dword v6, off, s[0:3], s32 offset:1156 ; 4-byte Folded Reload
	s_waitcnt vmcnt(0)
	v_cndmask_b32_e64 v6, 0, v6, s5
	;; [unrolled: 4-line block ×3, first 2 shown]
	buffer_store_dword v6, off, s[0:3], s32 offset:1148 ; 4-byte Folded Spill
.LBB216_3104:                           ;   in Loop: Header=BB216_2083 Depth=1
	s_or_b32 exec_lo, exec_lo, s8
	flat_load_dword v6, v[19:20] offset:1792
	v_mov_b32_e32 v21, 0
	v_mov_b32_e32 v19, 0
	;; [unrolled: 1-line block ×4, first 2 shown]
	s_waitcnt vmcnt(0) lgkmcnt(0)
	v_cmp_ne_u16_sdwa s8, v6, v9 src0_sel:BYTE_0 src1_sel:DWORD
	s_and_saveexec_b32 s20, s8
	s_cbranch_execz .LBB216_3112
; %bb.3105:                             ;   in Loop: Header=BB216_2083 Depth=1
	v_bfrev_b32_e32 v19, 1
	v_mov_b32_e32 v20, 0
	v_cmp_ne_u16_sdwa s8, v6, v74 src0_sel:BYTE_0 src1_sel:DWORD
	s_and_saveexec_b32 s21, s8
	s_cbranch_execz .LBB216_3111
; %bb.3106:                             ;   in Loop: Header=BB216_2083 Depth=1
	v_mov_b32_e32 v19, 0x7f800001
	v_and_b32_e32 v10, 0x7f, v6
	v_mov_b32_e32 v20, 0
	s_mov_b32 s22, exec_lo
	v_cmpx_ne_u32_e32 0x7f, v10
	s_cbranch_execz .LBB216_3110
; %bb.3107:                             ;   in Loop: Header=BB216_2083 Depth=1
	v_and_b32_e32 v8, 7, v6
	v_lshrrev_b32_e32 v7, 3, v10
	s_mov_b32 s23, exec_lo
	v_cmpx_gt_u32_e32 8, v10
; %bb.3108:                             ;   in Loop: Header=BB216_2083 Depth=1
	v_ffbh_u32_e32 v7, v8
	v_min_u32_e32 v7, 32, v7
	v_subrev_nc_u32_e32 v10, 28, v7
	v_sub_nc_u32_e32 v7, 29, v7
	v_lshlrev_b64 v[10:11], v10, v[8:9]
	v_and_b32_e32 v8, 7, v10
; %bb.3109:                             ;   in Loop: Header=BB216_2083 Depth=1
	s_or_b32 exec_lo, exec_lo, s23
	v_lshlrev_b32_e32 v10, 24, v6
	v_lshlrev_b32_e32 v8, 20, v8
	v_lshl_add_u32 v7, v7, 23, 0x3c000000
	v_and_b32_e32 v10, 0x80000000, v10
	v_or3_b32 v8, v8, v10, v7
	v_mov_b32_e32 v20, v9
	v_mov_b32_e32 v19, v8
.LBB216_3110:                           ;   in Loop: Header=BB216_2083 Depth=1
	s_or_b32 exec_lo, exec_lo, s22
.LBB216_3111:                           ;   in Loop: Header=BB216_2083 Depth=1
	s_or_b32 exec_lo, exec_lo, s21
.LBB216_3112:                           ;   in Loop: Header=BB216_2083 Depth=1
	s_or_b32 exec_lo, exec_lo, s20
	v_cmp_ne_u16_sdwa s8, v6, v9 src0_sel:BYTE_1 src1_sel:DWORD
	s_and_saveexec_b32 s20, s8
	s_cbranch_execz .LBB216_3120
; %bb.3113:                             ;   in Loop: Header=BB216_2083 Depth=1
	v_mov_b32_e32 v11, v9
	v_mov_b32_e32 v22, v12
	v_cmp_ne_u16_sdwa s8, v6, v74 src0_sel:BYTE_1 src1_sel:DWORD
	v_mov_b32_e32 v21, v11
	s_and_saveexec_b32 s21, s8
	s_cbranch_execz .LBB216_3119
; %bb.3114:                             ;   in Loop: Header=BB216_2083 Depth=1
	v_and_b32_sdwa v7, v75, v6 dst_sel:DWORD dst_unused:UNUSED_PAD src0_sel:DWORD src1_sel:BYTE_1
	v_mov_b32_e32 v13, v9
	v_mov_b32_e32 v22, v14
	s_mov_b32 s22, exec_lo
	v_and_b32_e32 v10, 0x7f, v7
	v_mov_b32_e32 v21, v13
	v_cmpx_ne_u32_e32 0x7f, v10
	s_cbranch_execz .LBB216_3118
; %bb.3115:                             ;   in Loop: Header=BB216_2083 Depth=1
	v_and_b32_e32 v8, 7, v7
	v_lshrrev_b32_e32 v7, 3, v10
	s_mov_b32 s23, exec_lo
	v_cmpx_gt_u32_e32 8, v10
; %bb.3116:                             ;   in Loop: Header=BB216_2083 Depth=1
	v_ffbh_u32_e32 v7, v8
	v_min_u32_e32 v7, 32, v7
	v_subrev_nc_u32_e32 v10, 28, v7
	v_sub_nc_u32_e32 v7, 29, v7
	v_lshlrev_b64 v[10:11], v10, v[8:9]
	v_and_b32_e32 v8, 7, v10
; %bb.3117:                             ;   in Loop: Header=BB216_2083 Depth=1
	s_or_b32 exec_lo, exec_lo, s23
	v_lshlrev_b32_e32 v10, 16, v6
	v_lshlrev_b32_e32 v8, 20, v8
	v_lshl_add_u32 v7, v7, 23, 0x3c000000
	v_mov_b32_e32 v21, v9
	v_and_b32_e32 v10, 0x80000000, v10
	v_or3_b32 v22, v8, v10, v7
.LBB216_3118:                           ;   in Loop: Header=BB216_2083 Depth=1
	s_or_b32 exec_lo, exec_lo, s22
.LBB216_3119:                           ;   in Loop: Header=BB216_2083 Depth=1
	s_or_b32 exec_lo, exec_lo, s21
.LBB216_3120:                           ;   in Loop: Header=BB216_2083 Depth=1
	s_or_b32 exec_lo, exec_lo, s20
	v_mov_b32_e32 v10, 0
	v_mov_b32_e32 v23, 0
	v_and_b32_sdwa v7, v6, v76 dst_sel:DWORD dst_unused:UNUSED_PAD src0_sel:WORD_1 src1_sel:DWORD
	v_mov_b32_e32 v11, 0
	v_mov_b32_e32 v24, 0
	s_mov_b32 s20, exec_lo
	v_cmpx_ne_u16_e32 0, v7
	s_cbranch_execz .LBB216_3128
; %bb.3121:                             ;   in Loop: Header=BB216_2083 Depth=1
	v_bfrev_b32_e32 v23, 1
	v_mov_b32_e32 v24, 0
	s_mov_b32 s21, exec_lo
	v_cmpx_ne_u16_e32 0x80, v7
	s_cbranch_execz .LBB216_3127
; %bb.3122:                             ;   in Loop: Header=BB216_2083 Depth=1
	v_mov_b32_e32 v23, 0x7f800001
	v_bfe_u32 v13, v6, 16, 7
	v_mov_b32_e32 v24, 0
	s_mov_b32 s22, exec_lo
	v_cmpx_ne_u32_e32 0x7f, v13
	s_cbranch_execz .LBB216_3126
; %bb.3123:                             ;   in Loop: Header=BB216_2083 Depth=1
	v_and_b32_sdwa v8, v6, v77 dst_sel:DWORD dst_unused:UNUSED_PAD src0_sel:WORD_1 src1_sel:DWORD
	v_lshrrev_b32_e32 v7, 3, v13
	s_mov_b32 s23, exec_lo
	v_cmpx_gt_u32_e32 8, v13
; %bb.3124:                             ;   in Loop: Header=BB216_2083 Depth=1
	v_ffbh_u32_e32 v7, v8
	v_min_u32_e32 v7, 32, v7
	v_subrev_nc_u32_e32 v13, 28, v7
	v_sub_nc_u32_e32 v7, 29, v7
	v_lshlrev_b64 v[23:24], v13, v[8:9]
	v_and_b32_e32 v8, 7, v23
; %bb.3125:                             ;   in Loop: Header=BB216_2083 Depth=1
	s_or_b32 exec_lo, exec_lo, s23
	v_lshlrev_b32_sdwa v13, v78, v6 dst_sel:DWORD dst_unused:UNUSED_PAD src0_sel:DWORD src1_sel:WORD_1
	v_lshlrev_b32_e32 v8, 20, v8
	v_lshl_add_u32 v7, v7, 23, 0x3c000000
	v_and_b32_e32 v13, 0x80000000, v13
	v_or3_b32 v8, v8, v13, v7
	v_mov_b32_e32 v24, v9
	v_mov_b32_e32 v23, v8
.LBB216_3126:                           ;   in Loop: Header=BB216_2083 Depth=1
	s_or_b32 exec_lo, exec_lo, s22
.LBB216_3127:                           ;   in Loop: Header=BB216_2083 Depth=1
	s_or_b32 exec_lo, exec_lo, s21
.LBB216_3128:                           ;   in Loop: Header=BB216_2083 Depth=1
	s_or_b32 exec_lo, exec_lo, s20
	s_mov_b32 s20, exec_lo
	v_cmpx_lt_u32_e32 0xffffff, v6
	s_cbranch_execz .LBB216_3136
; %bb.3129:                             ;   in Loop: Header=BB216_2083 Depth=1
	v_mov_b32_e32 v11, v9
	v_cmp_ne_u32_sdwa s8, v6, v74 src0_sel:BYTE_3 src1_sel:DWORD
	v_mov_b32_e32 v10, v11
	v_mov_b32_e32 v11, v12
	s_and_saveexec_b32 s21, s8
	s_cbranch_execz .LBB216_3135
; %bb.3130:                             ;   in Loop: Header=BB216_2083 Depth=1
	v_mov_b32_e32 v13, v9
	v_bfe_u32 v25, v6, 24, 7
	s_mov_b32 s22, exec_lo
	v_mov_b32_e32 v10, v13
	v_mov_b32_e32 v11, v14
	v_cmpx_ne_u32_e32 0x7f, v25
	s_cbranch_execz .LBB216_3134
; %bb.3131:                             ;   in Loop: Header=BB216_2083 Depth=1
	v_and_b32_sdwa v8, v6, v77 dst_sel:DWORD dst_unused:UNUSED_PAD src0_sel:BYTE_3 src1_sel:DWORD
	v_lshrrev_b32_e32 v7, 3, v25
	s_mov_b32 s23, exec_lo
	v_cmpx_gt_u32_e32 8, v25
; %bb.3132:                             ;   in Loop: Header=BB216_2083 Depth=1
	v_ffbh_u32_e32 v7, v8
	v_min_u32_e32 v7, 32, v7
	v_subrev_nc_u32_e32 v10, 28, v7
	v_sub_nc_u32_e32 v7, 29, v7
	v_lshlrev_b64 v[10:11], v10, v[8:9]
	v_and_b32_e32 v8, 7, v10
; %bb.3133:                             ;   in Loop: Header=BB216_2083 Depth=1
	s_or_b32 exec_lo, exec_lo, s23
	v_lshlrev_b32_sdwa v6, v78, v6 dst_sel:DWORD dst_unused:UNUSED_PAD src0_sel:DWORD src1_sel:BYTE_3
	v_lshlrev_b32_e32 v8, 20, v8
	v_lshl_add_u32 v7, v7, 23, 0x3c000000
	v_mov_b32_e32 v10, v9
	v_and_b32_e32 v6, 0x80000000, v6
	v_or3_b32 v11, v8, v6, v7
.LBB216_3134:                           ;   in Loop: Header=BB216_2083 Depth=1
	s_or_b32 exec_lo, exec_lo, s22
.LBB216_3135:                           ;   in Loop: Header=BB216_2083 Depth=1
	s_or_b32 exec_lo, exec_lo, s21
.LBB216_3136:                           ;   in Loop: Header=BB216_2083 Depth=1
	s_or_b32 exec_lo, exec_lo, s20
	v_or_b32_e32 v6, v22, v20
	v_or_b32_e32 v7, v21, v19
	v_or_b32_e32 v8, v10, v23
	v_or_b32_e32 v10, v11, v24
	v_mul_f32_e32 v6, v106, v6
	buffer_store_dword v6, off, s[0:3], s32 offset:1204 ; 4-byte Folded Spill
	v_mul_f32_e32 v6, v106, v7
	buffer_store_dword v6, off, s[0:3], s32 offset:1196 ; 4-byte Folded Spill
	;; [unrolled: 2-line block ×4, first 2 shown]
	s_and_saveexec_b32 s8, s7
	s_cbranch_execz .LBB216_3138
; %bb.3137:                             ;   in Loop: Header=BB216_2083 Depth=1
	buffer_load_dword v6, off, s[0:3], s32 offset:1196 ; 4-byte Folded Reload
	s_waitcnt vmcnt(0)
	v_cndmask_b32_e32 v6, 0, v6, vcc_lo
	buffer_store_dword v6, off, s[0:3], s32 offset:1196 ; 4-byte Folded Spill
	buffer_load_dword v6, off, s[0:3], s32 offset:1204 ; 4-byte Folded Reload
	s_waitcnt vmcnt(0)
	v_cndmask_b32_e64 v6, 0, v6, s4
	buffer_store_dword v6, off, s[0:3], s32 offset:1204 ; 4-byte Folded Spill
	buffer_load_dword v6, off, s[0:3], s32 offset:1188 ; 4-byte Folded Reload
	s_waitcnt vmcnt(0)
	v_cndmask_b32_e64 v6, 0, v6, s5
	;; [unrolled: 4-line block ×3, first 2 shown]
	buffer_store_dword v6, off, s[0:3], s32 offset:1180 ; 4-byte Folded Spill
.LBB216_3138:                           ;   in Loop: Header=BB216_2083 Depth=1
	s_or_b32 exec_lo, exec_lo, s8
	buffer_load_dword v6, off, s[0:3], s32 offset:1952 ; 4-byte Folded Reload
	v_mov_b32_e32 v21, 0
	v_mov_b32_e32 v19, 0
	;; [unrolled: 1-line block ×4, first 2 shown]
	s_waitcnt vmcnt(0)
	v_add_co_u32 v6, s8, v17, v6
	v_add_co_ci_u32_e64 v7, null, 0, v18, s8
	flat_load_dword v6, v[6:7]
	s_waitcnt vmcnt(0) lgkmcnt(0)
	v_cmp_ne_u16_sdwa s8, v6, v9 src0_sel:BYTE_0 src1_sel:DWORD
	s_and_saveexec_b32 s20, s8
	s_cbranch_execz .LBB216_3146
; %bb.3139:                             ;   in Loop: Header=BB216_2083 Depth=1
	v_bfrev_b32_e32 v19, 1
	v_mov_b32_e32 v20, 0
	v_cmp_ne_u16_sdwa s8, v6, v74 src0_sel:BYTE_0 src1_sel:DWORD
	s_and_saveexec_b32 s21, s8
	s_cbranch_execz .LBB216_3145
; %bb.3140:                             ;   in Loop: Header=BB216_2083 Depth=1
	v_mov_b32_e32 v19, 0x7f800001
	v_and_b32_e32 v10, 0x7f, v6
	v_mov_b32_e32 v20, 0
	s_mov_b32 s22, exec_lo
	v_cmpx_ne_u32_e32 0x7f, v10
	s_cbranch_execz .LBB216_3144
; %bb.3141:                             ;   in Loop: Header=BB216_2083 Depth=1
	v_and_b32_e32 v8, 7, v6
	v_lshrrev_b32_e32 v7, 3, v10
	s_mov_b32 s23, exec_lo
	v_cmpx_gt_u32_e32 8, v10
; %bb.3142:                             ;   in Loop: Header=BB216_2083 Depth=1
	v_ffbh_u32_e32 v7, v8
	v_min_u32_e32 v7, 32, v7
	v_subrev_nc_u32_e32 v10, 28, v7
	v_sub_nc_u32_e32 v7, 29, v7
	v_lshlrev_b64 v[10:11], v10, v[8:9]
	v_and_b32_e32 v8, 7, v10
; %bb.3143:                             ;   in Loop: Header=BB216_2083 Depth=1
	s_or_b32 exec_lo, exec_lo, s23
	v_lshlrev_b32_e32 v10, 24, v6
	v_lshlrev_b32_e32 v8, 20, v8
	v_lshl_add_u32 v7, v7, 23, 0x3c000000
	v_and_b32_e32 v10, 0x80000000, v10
	v_or3_b32 v8, v8, v10, v7
	v_mov_b32_e32 v20, v9
	v_mov_b32_e32 v19, v8
.LBB216_3144:                           ;   in Loop: Header=BB216_2083 Depth=1
	s_or_b32 exec_lo, exec_lo, s22
.LBB216_3145:                           ;   in Loop: Header=BB216_2083 Depth=1
	s_or_b32 exec_lo, exec_lo, s21
.LBB216_3146:                           ;   in Loop: Header=BB216_2083 Depth=1
	s_or_b32 exec_lo, exec_lo, s20
	v_cmp_ne_u16_sdwa s8, v6, v9 src0_sel:BYTE_1 src1_sel:DWORD
	s_and_saveexec_b32 s20, s8
	s_cbranch_execz .LBB216_3154
; %bb.3147:                             ;   in Loop: Header=BB216_2083 Depth=1
	v_mov_b32_e32 v11, v9
	v_mov_b32_e32 v22, v12
	v_cmp_ne_u16_sdwa s8, v6, v74 src0_sel:BYTE_1 src1_sel:DWORD
	v_mov_b32_e32 v21, v11
	s_and_saveexec_b32 s21, s8
	s_cbranch_execz .LBB216_3153
; %bb.3148:                             ;   in Loop: Header=BB216_2083 Depth=1
	v_and_b32_sdwa v7, v75, v6 dst_sel:DWORD dst_unused:UNUSED_PAD src0_sel:DWORD src1_sel:BYTE_1
	v_mov_b32_e32 v13, v9
	v_mov_b32_e32 v22, v14
	s_mov_b32 s22, exec_lo
	v_and_b32_e32 v10, 0x7f, v7
	v_mov_b32_e32 v21, v13
	v_cmpx_ne_u32_e32 0x7f, v10
	s_cbranch_execz .LBB216_3152
; %bb.3149:                             ;   in Loop: Header=BB216_2083 Depth=1
	v_and_b32_e32 v8, 7, v7
	v_lshrrev_b32_e32 v7, 3, v10
	v_cmp_gt_u32_e64 s8, 8, v10
	v_mov_b32_e32 v11, v9
	v_mov_b32_e32 v10, v8
	s_and_saveexec_b32 s23, s8
; %bb.3150:                             ;   in Loop: Header=BB216_2083 Depth=1
	v_ffbh_u32_e32 v7, v8
	v_min_u32_e32 v7, 32, v7
	v_subrev_nc_u32_e32 v10, 28, v7
	v_sub_nc_u32_e32 v7, 29, v7
	v_lshlrev_b64 v[10:11], v10, v[8:9]
	v_and_b32_e32 v10, 7, v10
; %bb.3151:                             ;   in Loop: Header=BB216_2083 Depth=1
	s_or_b32 exec_lo, exec_lo, s23
	v_lshlrev_b32_e32 v8, 16, v6
	v_lshlrev_b32_e32 v10, 20, v10
	v_lshl_add_u32 v7, v7, 23, 0x3c000000
	v_mov_b32_e32 v21, v9
	v_and_b32_e32 v8, 0x80000000, v8
	v_or3_b32 v22, v10, v8, v7
.LBB216_3152:                           ;   in Loop: Header=BB216_2083 Depth=1
	s_or_b32 exec_lo, exec_lo, s22
.LBB216_3153:                           ;   in Loop: Header=BB216_2083 Depth=1
	s_or_b32 exec_lo, exec_lo, s21
.LBB216_3154:                           ;   in Loop: Header=BB216_2083 Depth=1
	s_or_b32 exec_lo, exec_lo, s20
	v_mov_b32_e32 v10, 0
	v_mov_b32_e32 v23, 0
	v_and_b32_sdwa v7, v6, v76 dst_sel:DWORD dst_unused:UNUSED_PAD src0_sel:WORD_1 src1_sel:DWORD
	v_mov_b32_e32 v11, 0
	v_mov_b32_e32 v24, 0
	s_mov_b32 s20, exec_lo
	v_cmpx_ne_u16_e32 0, v7
	s_cbranch_execz .LBB216_3162
; %bb.3155:                             ;   in Loop: Header=BB216_2083 Depth=1
	v_bfrev_b32_e32 v23, 1
	v_mov_b32_e32 v24, 0
	s_mov_b32 s21, exec_lo
	v_cmpx_ne_u16_e32 0x80, v7
	s_cbranch_execz .LBB216_3161
; %bb.3156:                             ;   in Loop: Header=BB216_2083 Depth=1
	v_mov_b32_e32 v23, 0x7f800001
	v_bfe_u32 v13, v6, 16, 7
	v_mov_b32_e32 v24, 0
	s_mov_b32 s22, exec_lo
	v_cmpx_ne_u32_e32 0x7f, v13
	s_cbranch_execz .LBB216_3160
; %bb.3157:                             ;   in Loop: Header=BB216_2083 Depth=1
	v_and_b32_sdwa v8, v6, v77 dst_sel:DWORD dst_unused:UNUSED_PAD src0_sel:WORD_1 src1_sel:DWORD
	v_mov_b32_e32 v24, v9
	v_lshrrev_b32_e32 v7, 3, v13
	s_mov_b32 s23, exec_lo
	v_mov_b32_e32 v23, v8
	v_cmpx_gt_u32_e32 8, v13
; %bb.3158:                             ;   in Loop: Header=BB216_2083 Depth=1
	v_ffbh_u32_e32 v7, v8
	v_min_u32_e32 v7, 32, v7
	v_subrev_nc_u32_e32 v13, 28, v7
	v_sub_nc_u32_e32 v7, 29, v7
	v_lshlrev_b64 v[23:24], v13, v[8:9]
	v_and_b32_e32 v23, 7, v23
; %bb.3159:                             ;   in Loop: Header=BB216_2083 Depth=1
	s_or_b32 exec_lo, exec_lo, s23
	v_lshlrev_b32_sdwa v8, v78, v6 dst_sel:DWORD dst_unused:UNUSED_PAD src0_sel:DWORD src1_sel:WORD_1
	v_lshlrev_b32_e32 v13, 20, v23
	v_lshl_add_u32 v7, v7, 23, 0x3c000000
	v_and_b32_e32 v8, 0x80000000, v8
	v_or3_b32 v8, v13, v8, v7
	v_mov_b32_e32 v24, v9
	v_mov_b32_e32 v23, v8
.LBB216_3160:                           ;   in Loop: Header=BB216_2083 Depth=1
	s_or_b32 exec_lo, exec_lo, s22
.LBB216_3161:                           ;   in Loop: Header=BB216_2083 Depth=1
	s_or_b32 exec_lo, exec_lo, s21
.LBB216_3162:                           ;   in Loop: Header=BB216_2083 Depth=1
	s_or_b32 exec_lo, exec_lo, s20
	s_mov_b32 s20, exec_lo
	v_cmpx_lt_u32_e32 0xffffff, v6
	s_cbranch_execz .LBB216_3170
; %bb.3163:                             ;   in Loop: Header=BB216_2083 Depth=1
	v_mov_b32_e32 v11, v9
	v_cmp_ne_u32_sdwa s8, v6, v74 src0_sel:BYTE_3 src1_sel:DWORD
	v_mov_b32_e32 v10, v11
	v_mov_b32_e32 v11, v12
	s_and_saveexec_b32 s21, s8
	s_cbranch_execz .LBB216_3169
; %bb.3164:                             ;   in Loop: Header=BB216_2083 Depth=1
	v_mov_b32_e32 v13, v9
	v_bfe_u32 v25, v6, 24, 7
	s_mov_b32 s22, exec_lo
	v_mov_b32_e32 v10, v13
	v_mov_b32_e32 v11, v14
	v_cmpx_ne_u32_e32 0x7f, v25
	s_cbranch_execz .LBB216_3168
; %bb.3165:                             ;   in Loop: Header=BB216_2083 Depth=1
	v_and_b32_sdwa v8, v6, v77 dst_sel:DWORD dst_unused:UNUSED_PAD src0_sel:BYTE_3 src1_sel:DWORD
	v_mov_b32_e32 v11, v9
	v_lshrrev_b32_e32 v7, 3, v25
	s_mov_b32 s23, exec_lo
	v_mov_b32_e32 v10, v8
	v_cmpx_gt_u32_e32 8, v25
; %bb.3166:                             ;   in Loop: Header=BB216_2083 Depth=1
	v_ffbh_u32_e32 v7, v8
	v_min_u32_e32 v7, 32, v7
	v_subrev_nc_u32_e32 v10, 28, v7
	v_sub_nc_u32_e32 v7, 29, v7
	v_lshlrev_b64 v[10:11], v10, v[8:9]
	v_and_b32_e32 v10, 7, v10
; %bb.3167:                             ;   in Loop: Header=BB216_2083 Depth=1
	s_or_b32 exec_lo, exec_lo, s23
	v_lshlrev_b32_sdwa v6, v78, v6 dst_sel:DWORD dst_unused:UNUSED_PAD src0_sel:DWORD src1_sel:BYTE_3
	v_lshlrev_b32_e32 v8, 20, v10
	v_lshl_add_u32 v7, v7, 23, 0x3c000000
	v_mov_b32_e32 v10, v9
	v_and_b32_e32 v6, 0x80000000, v6
	v_or3_b32 v11, v8, v6, v7
.LBB216_3168:                           ;   in Loop: Header=BB216_2083 Depth=1
	s_or_b32 exec_lo, exec_lo, s22
.LBB216_3169:                           ;   in Loop: Header=BB216_2083 Depth=1
	s_or_b32 exec_lo, exec_lo, s21
.LBB216_3170:                           ;   in Loop: Header=BB216_2083 Depth=1
	s_or_b32 exec_lo, exec_lo, s20
	v_or_b32_e32 v6, v22, v20
	v_or_b32_e32 v7, v21, v19
	;; [unrolled: 1-line block ×4, first 2 shown]
	v_mul_f32_e32 v6, v106, v6
	buffer_store_dword v6, off, s[0:3], s32 offset:1236 ; 4-byte Folded Spill
	v_mul_f32_e32 v6, v106, v7
	buffer_store_dword v6, off, s[0:3], s32 offset:1228 ; 4-byte Folded Spill
	;; [unrolled: 2-line block ×4, first 2 shown]
	s_and_saveexec_b32 s8, s7
	s_cbranch_execz .LBB216_3172
; %bb.3171:                             ;   in Loop: Header=BB216_2083 Depth=1
	buffer_load_dword v6, off, s[0:3], s32 offset:1228 ; 4-byte Folded Reload
	s_waitcnt vmcnt(0)
	v_cndmask_b32_e32 v6, 0, v6, vcc_lo
	buffer_store_dword v6, off, s[0:3], s32 offset:1228 ; 4-byte Folded Spill
	buffer_load_dword v6, off, s[0:3], s32 offset:1236 ; 4-byte Folded Reload
	s_waitcnt vmcnt(0)
	v_cndmask_b32_e64 v6, 0, v6, s4
	buffer_store_dword v6, off, s[0:3], s32 offset:1236 ; 4-byte Folded Spill
	buffer_load_dword v6, off, s[0:3], s32 offset:1220 ; 4-byte Folded Reload
	s_waitcnt vmcnt(0)
	v_cndmask_b32_e64 v6, 0, v6, s5
	;; [unrolled: 4-line block ×3, first 2 shown]
	buffer_store_dword v6, off, s[0:3], s32 offset:1212 ; 4-byte Folded Spill
.LBB216_3172:                           ;   in Loop: Header=BB216_2083 Depth=1
	s_or_b32 exec_lo, exec_lo, s8
	v_add_co_u32 v19, s8, 0x1000, v0
	v_add_co_ci_u32_e64 v20, null, 0, v1, s8
	v_mov_b32_e32 v23, 0
	v_mov_b32_e32 v21, 0
	;; [unrolled: 1-line block ×3, first 2 shown]
	flat_load_dword v6, v[19:20]
	v_mov_b32_e32 v22, 0
	s_waitcnt vmcnt(0) lgkmcnt(0)
	v_cmp_ne_u16_sdwa s8, v6, v9 src0_sel:BYTE_0 src1_sel:DWORD
	s_and_saveexec_b32 s20, s8
	s_cbranch_execz .LBB216_3180
; %bb.3173:                             ;   in Loop: Header=BB216_2083 Depth=1
	v_bfrev_b32_e32 v21, 1
	v_mov_b32_e32 v22, 0
	v_cmp_ne_u16_sdwa s8, v6, v74 src0_sel:BYTE_0 src1_sel:DWORD
	s_and_saveexec_b32 s21, s8
	s_cbranch_execz .LBB216_3179
; %bb.3174:                             ;   in Loop: Header=BB216_2083 Depth=1
	v_mov_b32_e32 v21, 0x7f800001
	v_and_b32_e32 v10, 0x7f, v6
	v_mov_b32_e32 v22, 0
	s_mov_b32 s22, exec_lo
	v_cmpx_ne_u32_e32 0x7f, v10
	s_cbranch_execz .LBB216_3178
; %bb.3175:                             ;   in Loop: Header=BB216_2083 Depth=1
	v_and_b32_e32 v8, 7, v6
	v_lshrrev_b32_e32 v7, 3, v10
	v_cmp_gt_u32_e64 s8, 8, v10
	v_mov_b32_e32 v11, v9
	v_mov_b32_e32 v10, v8
	s_and_saveexec_b32 s23, s8
; %bb.3176:                             ;   in Loop: Header=BB216_2083 Depth=1
	v_ffbh_u32_e32 v7, v8
	v_min_u32_e32 v7, 32, v7
	v_subrev_nc_u32_e32 v10, 28, v7
	v_sub_nc_u32_e32 v7, 29, v7
	v_lshlrev_b64 v[10:11], v10, v[8:9]
	v_and_b32_e32 v10, 7, v10
; %bb.3177:                             ;   in Loop: Header=BB216_2083 Depth=1
	s_or_b32 exec_lo, exec_lo, s23
	v_lshlrev_b32_e32 v8, 24, v6
	v_lshlrev_b32_e32 v10, 20, v10
	v_lshl_add_u32 v7, v7, 23, 0x3c000000
	v_and_b32_e32 v8, 0x80000000, v8
	v_or3_b32 v8, v10, v8, v7
	v_mov_b32_e32 v22, v9
	v_mov_b32_e32 v21, v8
.LBB216_3178:                           ;   in Loop: Header=BB216_2083 Depth=1
	s_or_b32 exec_lo, exec_lo, s22
.LBB216_3179:                           ;   in Loop: Header=BB216_2083 Depth=1
	s_or_b32 exec_lo, exec_lo, s21
.LBB216_3180:                           ;   in Loop: Header=BB216_2083 Depth=1
	s_or_b32 exec_lo, exec_lo, s20
	v_cmp_ne_u16_sdwa s8, v6, v9 src0_sel:BYTE_1 src1_sel:DWORD
	s_and_saveexec_b32 s20, s8
	s_cbranch_execz .LBB216_3188
; %bb.3181:                             ;   in Loop: Header=BB216_2083 Depth=1
	v_mov_b32_e32 v11, v9
	v_mov_b32_e32 v24, v12
	v_cmp_ne_u16_sdwa s8, v6, v74 src0_sel:BYTE_1 src1_sel:DWORD
	v_mov_b32_e32 v23, v11
	s_and_saveexec_b32 s21, s8
	s_cbranch_execz .LBB216_3187
; %bb.3182:                             ;   in Loop: Header=BB216_2083 Depth=1
	v_and_b32_sdwa v7, v75, v6 dst_sel:DWORD dst_unused:UNUSED_PAD src0_sel:DWORD src1_sel:BYTE_1
	v_mov_b32_e32 v13, v9
	v_mov_b32_e32 v24, v14
	s_mov_b32 s22, exec_lo
	v_and_b32_e32 v10, 0x7f, v7
	v_mov_b32_e32 v23, v13
	v_cmpx_ne_u32_e32 0x7f, v10
	s_cbranch_execz .LBB216_3186
; %bb.3183:                             ;   in Loop: Header=BB216_2083 Depth=1
	v_and_b32_e32 v8, 7, v7
	v_lshrrev_b32_e32 v7, 3, v10
	v_cmp_gt_u32_e64 s8, 8, v10
	v_mov_b32_e32 v11, v9
	v_mov_b32_e32 v10, v8
	s_and_saveexec_b32 s23, s8
; %bb.3184:                             ;   in Loop: Header=BB216_2083 Depth=1
	v_ffbh_u32_e32 v7, v8
	v_min_u32_e32 v7, 32, v7
	v_subrev_nc_u32_e32 v10, 28, v7
	v_sub_nc_u32_e32 v7, 29, v7
	v_lshlrev_b64 v[10:11], v10, v[8:9]
	v_and_b32_e32 v10, 7, v10
; %bb.3185:                             ;   in Loop: Header=BB216_2083 Depth=1
	s_or_b32 exec_lo, exec_lo, s23
	v_lshlrev_b32_e32 v8, 16, v6
	v_lshlrev_b32_e32 v10, 20, v10
	v_lshl_add_u32 v7, v7, 23, 0x3c000000
	v_mov_b32_e32 v23, v9
	v_and_b32_e32 v8, 0x80000000, v8
	v_or3_b32 v24, v10, v8, v7
.LBB216_3186:                           ;   in Loop: Header=BB216_2083 Depth=1
	s_or_b32 exec_lo, exec_lo, s22
.LBB216_3187:                           ;   in Loop: Header=BB216_2083 Depth=1
	s_or_b32 exec_lo, exec_lo, s21
.LBB216_3188:                           ;   in Loop: Header=BB216_2083 Depth=1
	s_or_b32 exec_lo, exec_lo, s20
	v_mov_b32_e32 v10, 0
	v_mov_b32_e32 v25, 0
	v_and_b32_sdwa v7, v6, v76 dst_sel:DWORD dst_unused:UNUSED_PAD src0_sel:WORD_1 src1_sel:DWORD
	v_mov_b32_e32 v11, 0
	v_mov_b32_e32 v26, 0
	s_mov_b32 s20, exec_lo
	v_cmpx_ne_u16_e32 0, v7
	s_cbranch_execz .LBB216_3196
; %bb.3189:                             ;   in Loop: Header=BB216_2083 Depth=1
	v_bfrev_b32_e32 v25, 1
	v_mov_b32_e32 v26, 0
	s_mov_b32 s21, exec_lo
	v_cmpx_ne_u16_e32 0x80, v7
	s_cbranch_execz .LBB216_3195
; %bb.3190:                             ;   in Loop: Header=BB216_2083 Depth=1
	v_mov_b32_e32 v25, 0x7f800001
	v_bfe_u32 v13, v6, 16, 7
	v_mov_b32_e32 v26, 0
	s_mov_b32 s22, exec_lo
	v_cmpx_ne_u32_e32 0x7f, v13
	s_cbranch_execz .LBB216_3194
; %bb.3191:                             ;   in Loop: Header=BB216_2083 Depth=1
	v_and_b32_sdwa v8, v6, v77 dst_sel:DWORD dst_unused:UNUSED_PAD src0_sel:WORD_1 src1_sel:DWORD
	v_mov_b32_e32 v26, v9
	v_lshrrev_b32_e32 v7, 3, v13
	s_mov_b32 s23, exec_lo
	v_mov_b32_e32 v25, v8
	v_cmpx_gt_u32_e32 8, v13
; %bb.3192:                             ;   in Loop: Header=BB216_2083 Depth=1
	v_ffbh_u32_e32 v7, v8
	v_min_u32_e32 v7, 32, v7
	v_subrev_nc_u32_e32 v13, 28, v7
	v_sub_nc_u32_e32 v7, 29, v7
	v_lshlrev_b64 v[25:26], v13, v[8:9]
	v_and_b32_e32 v25, 7, v25
; %bb.3193:                             ;   in Loop: Header=BB216_2083 Depth=1
	s_or_b32 exec_lo, exec_lo, s23
	v_lshlrev_b32_sdwa v8, v78, v6 dst_sel:DWORD dst_unused:UNUSED_PAD src0_sel:DWORD src1_sel:WORD_1
	v_lshlrev_b32_e32 v13, 20, v25
	v_lshl_add_u32 v7, v7, 23, 0x3c000000
	v_and_b32_e32 v8, 0x80000000, v8
	v_or3_b32 v8, v13, v8, v7
	v_mov_b32_e32 v26, v9
	v_mov_b32_e32 v25, v8
.LBB216_3194:                           ;   in Loop: Header=BB216_2083 Depth=1
	s_or_b32 exec_lo, exec_lo, s22
.LBB216_3195:                           ;   in Loop: Header=BB216_2083 Depth=1
	s_or_b32 exec_lo, exec_lo, s21
.LBB216_3196:                           ;   in Loop: Header=BB216_2083 Depth=1
	s_or_b32 exec_lo, exec_lo, s20
	s_mov_b32 s20, exec_lo
	v_cmpx_lt_u32_e32 0xffffff, v6
	s_cbranch_execz .LBB216_3204
; %bb.3197:                             ;   in Loop: Header=BB216_2083 Depth=1
	v_mov_b32_e32 v11, v9
	v_cmp_ne_u32_sdwa s8, v6, v74 src0_sel:BYTE_3 src1_sel:DWORD
	v_mov_b32_e32 v10, v11
	v_mov_b32_e32 v11, v12
	s_and_saveexec_b32 s21, s8
	s_cbranch_execz .LBB216_3203
; %bb.3198:                             ;   in Loop: Header=BB216_2083 Depth=1
	v_mov_b32_e32 v13, v9
	v_bfe_u32 v30, v6, 24, 7
	s_mov_b32 s22, exec_lo
	v_mov_b32_e32 v10, v13
	v_mov_b32_e32 v11, v14
	v_cmpx_ne_u32_e32 0x7f, v30
	s_cbranch_execz .LBB216_3202
; %bb.3199:                             ;   in Loop: Header=BB216_2083 Depth=1
	v_and_b32_sdwa v8, v6, v77 dst_sel:DWORD dst_unused:UNUSED_PAD src0_sel:BYTE_3 src1_sel:DWORD
	v_mov_b32_e32 v11, v9
	v_lshrrev_b32_e32 v7, 3, v30
	s_mov_b32 s23, exec_lo
	v_mov_b32_e32 v10, v8
	v_cmpx_gt_u32_e32 8, v30
; %bb.3200:                             ;   in Loop: Header=BB216_2083 Depth=1
	v_ffbh_u32_e32 v7, v8
	v_min_u32_e32 v7, 32, v7
	v_subrev_nc_u32_e32 v10, 28, v7
	v_sub_nc_u32_e32 v7, 29, v7
	v_lshlrev_b64 v[10:11], v10, v[8:9]
	v_and_b32_e32 v10, 7, v10
; %bb.3201:                             ;   in Loop: Header=BB216_2083 Depth=1
	s_or_b32 exec_lo, exec_lo, s23
	v_lshlrev_b32_sdwa v6, v78, v6 dst_sel:DWORD dst_unused:UNUSED_PAD src0_sel:DWORD src1_sel:BYTE_3
	v_lshlrev_b32_e32 v8, 20, v10
	v_lshl_add_u32 v7, v7, 23, 0x3c000000
	v_mov_b32_e32 v10, v9
	v_and_b32_e32 v6, 0x80000000, v6
	v_or3_b32 v11, v8, v6, v7
.LBB216_3202:                           ;   in Loop: Header=BB216_2083 Depth=1
	s_or_b32 exec_lo, exec_lo, s22
.LBB216_3203:                           ;   in Loop: Header=BB216_2083 Depth=1
	s_or_b32 exec_lo, exec_lo, s21
.LBB216_3204:                           ;   in Loop: Header=BB216_2083 Depth=1
	s_or_b32 exec_lo, exec_lo, s20
	v_or_b32_e32 v6, v24, v22
	v_or_b32_e32 v7, v23, v21
	;; [unrolled: 1-line block ×4, first 2 shown]
	v_mul_f32_e32 v6, v106, v6
	buffer_store_dword v6, off, s[0:3], s32 offset:1268 ; 4-byte Folded Spill
	v_mul_f32_e32 v6, v106, v7
	buffer_store_dword v6, off, s[0:3], s32 offset:1260 ; 4-byte Folded Spill
	;; [unrolled: 2-line block ×4, first 2 shown]
	s_and_saveexec_b32 s8, s7
	s_cbranch_execz .LBB216_3206
; %bb.3205:                             ;   in Loop: Header=BB216_2083 Depth=1
	buffer_load_dword v6, off, s[0:3], s32 offset:1260 ; 4-byte Folded Reload
	s_waitcnt vmcnt(0)
	v_cndmask_b32_e32 v6, 0, v6, vcc_lo
	buffer_store_dword v6, off, s[0:3], s32 offset:1260 ; 4-byte Folded Spill
	buffer_load_dword v6, off, s[0:3], s32 offset:1268 ; 4-byte Folded Reload
	s_waitcnt vmcnt(0)
	v_cndmask_b32_e64 v6, 0, v6, s4
	buffer_store_dword v6, off, s[0:3], s32 offset:1268 ; 4-byte Folded Spill
	buffer_load_dword v6, off, s[0:3], s32 offset:1252 ; 4-byte Folded Reload
	s_waitcnt vmcnt(0)
	v_cndmask_b32_e64 v6, 0, v6, s5
	;; [unrolled: 4-line block ×3, first 2 shown]
	buffer_store_dword v6, off, s[0:3], s32 offset:1244 ; 4-byte Folded Spill
.LBB216_3206:                           ;   in Loop: Header=BB216_2083 Depth=1
	s_or_b32 exec_lo, exec_lo, s8
	flat_load_dword v6, v[19:20] offset:128
	v_mov_b32_e32 v23, 0
	v_mov_b32_e32 v21, 0
	v_mov_b32_e32 v24, 0
	v_mov_b32_e32 v22, 0
	s_waitcnt vmcnt(0) lgkmcnt(0)
	v_cmp_ne_u16_sdwa s8, v6, v9 src0_sel:BYTE_0 src1_sel:DWORD
	s_and_saveexec_b32 s20, s8
	s_cbranch_execz .LBB216_3214
; %bb.3207:                             ;   in Loop: Header=BB216_2083 Depth=1
	v_bfrev_b32_e32 v21, 1
	v_mov_b32_e32 v22, 0
	v_cmp_ne_u16_sdwa s8, v6, v74 src0_sel:BYTE_0 src1_sel:DWORD
	s_and_saveexec_b32 s21, s8
	s_cbranch_execz .LBB216_3213
; %bb.3208:                             ;   in Loop: Header=BB216_2083 Depth=1
	v_mov_b32_e32 v21, 0x7f800001
	v_and_b32_e32 v10, 0x7f, v6
	v_mov_b32_e32 v22, 0
	s_mov_b32 s22, exec_lo
	v_cmpx_ne_u32_e32 0x7f, v10
	s_cbranch_execz .LBB216_3212
; %bb.3209:                             ;   in Loop: Header=BB216_2083 Depth=1
	v_and_b32_e32 v8, 7, v6
	v_lshrrev_b32_e32 v7, 3, v10
	v_cmp_gt_u32_e64 s8, 8, v10
	v_mov_b32_e32 v11, v9
	v_mov_b32_e32 v10, v8
	s_and_saveexec_b32 s23, s8
; %bb.3210:                             ;   in Loop: Header=BB216_2083 Depth=1
	v_ffbh_u32_e32 v7, v8
	v_min_u32_e32 v7, 32, v7
	v_subrev_nc_u32_e32 v10, 28, v7
	v_sub_nc_u32_e32 v7, 29, v7
	v_lshlrev_b64 v[10:11], v10, v[8:9]
	v_and_b32_e32 v10, 7, v10
; %bb.3211:                             ;   in Loop: Header=BB216_2083 Depth=1
	s_or_b32 exec_lo, exec_lo, s23
	v_lshlrev_b32_e32 v8, 24, v6
	v_lshlrev_b32_e32 v10, 20, v10
	v_lshl_add_u32 v7, v7, 23, 0x3c000000
	v_and_b32_e32 v8, 0x80000000, v8
	v_or3_b32 v8, v10, v8, v7
	v_mov_b32_e32 v22, v9
	v_mov_b32_e32 v21, v8
.LBB216_3212:                           ;   in Loop: Header=BB216_2083 Depth=1
	s_or_b32 exec_lo, exec_lo, s22
.LBB216_3213:                           ;   in Loop: Header=BB216_2083 Depth=1
	s_or_b32 exec_lo, exec_lo, s21
.LBB216_3214:                           ;   in Loop: Header=BB216_2083 Depth=1
	s_or_b32 exec_lo, exec_lo, s20
	v_cmp_ne_u16_sdwa s8, v6, v9 src0_sel:BYTE_1 src1_sel:DWORD
	s_and_saveexec_b32 s20, s8
	s_cbranch_execz .LBB216_3222
; %bb.3215:                             ;   in Loop: Header=BB216_2083 Depth=1
	v_mov_b32_e32 v11, v9
	v_mov_b32_e32 v24, v12
	v_cmp_ne_u16_sdwa s8, v6, v74 src0_sel:BYTE_1 src1_sel:DWORD
	v_mov_b32_e32 v23, v11
	s_and_saveexec_b32 s21, s8
	s_cbranch_execz .LBB216_3221
; %bb.3216:                             ;   in Loop: Header=BB216_2083 Depth=1
	v_and_b32_sdwa v7, v75, v6 dst_sel:DWORD dst_unused:UNUSED_PAD src0_sel:DWORD src1_sel:BYTE_1
	v_mov_b32_e32 v13, v9
	v_mov_b32_e32 v24, v14
	s_mov_b32 s22, exec_lo
	v_and_b32_e32 v10, 0x7f, v7
	v_mov_b32_e32 v23, v13
	v_cmpx_ne_u32_e32 0x7f, v10
	s_cbranch_execz .LBB216_3220
; %bb.3217:                             ;   in Loop: Header=BB216_2083 Depth=1
	v_and_b32_e32 v8, 7, v7
	v_lshrrev_b32_e32 v7, 3, v10
	v_cmp_gt_u32_e64 s8, 8, v10
	v_mov_b32_e32 v11, v9
	v_mov_b32_e32 v10, v8
	s_and_saveexec_b32 s23, s8
; %bb.3218:                             ;   in Loop: Header=BB216_2083 Depth=1
	v_ffbh_u32_e32 v7, v8
	v_min_u32_e32 v7, 32, v7
	v_subrev_nc_u32_e32 v10, 28, v7
	v_sub_nc_u32_e32 v7, 29, v7
	v_lshlrev_b64 v[10:11], v10, v[8:9]
	v_and_b32_e32 v10, 7, v10
; %bb.3219:                             ;   in Loop: Header=BB216_2083 Depth=1
	s_or_b32 exec_lo, exec_lo, s23
	v_lshlrev_b32_e32 v8, 16, v6
	v_lshlrev_b32_e32 v10, 20, v10
	v_lshl_add_u32 v7, v7, 23, 0x3c000000
	v_mov_b32_e32 v23, v9
	v_and_b32_e32 v8, 0x80000000, v8
	v_or3_b32 v24, v10, v8, v7
.LBB216_3220:                           ;   in Loop: Header=BB216_2083 Depth=1
	s_or_b32 exec_lo, exec_lo, s22
.LBB216_3221:                           ;   in Loop: Header=BB216_2083 Depth=1
	s_or_b32 exec_lo, exec_lo, s21
.LBB216_3222:                           ;   in Loop: Header=BB216_2083 Depth=1
	s_or_b32 exec_lo, exec_lo, s20
	v_mov_b32_e32 v10, 0
	v_mov_b32_e32 v25, 0
	v_and_b32_sdwa v7, v6, v76 dst_sel:DWORD dst_unused:UNUSED_PAD src0_sel:WORD_1 src1_sel:DWORD
	v_mov_b32_e32 v11, 0
	v_mov_b32_e32 v26, 0
	s_mov_b32 s20, exec_lo
	v_cmpx_ne_u16_e32 0, v7
	s_cbranch_execz .LBB216_3230
; %bb.3223:                             ;   in Loop: Header=BB216_2083 Depth=1
	v_bfrev_b32_e32 v25, 1
	v_mov_b32_e32 v26, 0
	s_mov_b32 s21, exec_lo
	v_cmpx_ne_u16_e32 0x80, v7
	s_cbranch_execz .LBB216_3229
; %bb.3224:                             ;   in Loop: Header=BB216_2083 Depth=1
	v_mov_b32_e32 v25, 0x7f800001
	v_bfe_u32 v13, v6, 16, 7
	v_mov_b32_e32 v26, 0
	s_mov_b32 s22, exec_lo
	v_cmpx_ne_u32_e32 0x7f, v13
	s_cbranch_execz .LBB216_3228
; %bb.3225:                             ;   in Loop: Header=BB216_2083 Depth=1
	v_and_b32_sdwa v8, v6, v77 dst_sel:DWORD dst_unused:UNUSED_PAD src0_sel:WORD_1 src1_sel:DWORD
	v_mov_b32_e32 v26, v9
	v_lshrrev_b32_e32 v7, 3, v13
	s_mov_b32 s23, exec_lo
	v_mov_b32_e32 v25, v8
	v_cmpx_gt_u32_e32 8, v13
; %bb.3226:                             ;   in Loop: Header=BB216_2083 Depth=1
	v_ffbh_u32_e32 v7, v8
	v_min_u32_e32 v7, 32, v7
	v_subrev_nc_u32_e32 v13, 28, v7
	v_sub_nc_u32_e32 v7, 29, v7
	v_lshlrev_b64 v[25:26], v13, v[8:9]
	v_and_b32_e32 v25, 7, v25
; %bb.3227:                             ;   in Loop: Header=BB216_2083 Depth=1
	s_or_b32 exec_lo, exec_lo, s23
	v_lshlrev_b32_sdwa v8, v78, v6 dst_sel:DWORD dst_unused:UNUSED_PAD src0_sel:DWORD src1_sel:WORD_1
	v_lshlrev_b32_e32 v13, 20, v25
	v_lshl_add_u32 v7, v7, 23, 0x3c000000
	v_and_b32_e32 v8, 0x80000000, v8
	v_or3_b32 v8, v13, v8, v7
	v_mov_b32_e32 v26, v9
	v_mov_b32_e32 v25, v8
.LBB216_3228:                           ;   in Loop: Header=BB216_2083 Depth=1
	s_or_b32 exec_lo, exec_lo, s22
.LBB216_3229:                           ;   in Loop: Header=BB216_2083 Depth=1
	s_or_b32 exec_lo, exec_lo, s21
.LBB216_3230:                           ;   in Loop: Header=BB216_2083 Depth=1
	s_or_b32 exec_lo, exec_lo, s20
	s_mov_b32 s20, exec_lo
	v_cmpx_lt_u32_e32 0xffffff, v6
	s_cbranch_execz .LBB216_3238
; %bb.3231:                             ;   in Loop: Header=BB216_2083 Depth=1
	v_mov_b32_e32 v11, v9
	v_cmp_ne_u32_sdwa s8, v6, v74 src0_sel:BYTE_3 src1_sel:DWORD
	v_mov_b32_e32 v10, v11
	v_mov_b32_e32 v11, v12
	s_and_saveexec_b32 s21, s8
	s_cbranch_execz .LBB216_3237
; %bb.3232:                             ;   in Loop: Header=BB216_2083 Depth=1
	v_mov_b32_e32 v13, v9
	v_bfe_u32 v30, v6, 24, 7
	s_mov_b32 s22, exec_lo
	v_mov_b32_e32 v10, v13
	v_mov_b32_e32 v11, v14
	v_cmpx_ne_u32_e32 0x7f, v30
	s_cbranch_execz .LBB216_3236
; %bb.3233:                             ;   in Loop: Header=BB216_2083 Depth=1
	v_and_b32_sdwa v8, v6, v77 dst_sel:DWORD dst_unused:UNUSED_PAD src0_sel:BYTE_3 src1_sel:DWORD
	v_mov_b32_e32 v11, v9
	v_lshrrev_b32_e32 v7, 3, v30
	s_mov_b32 s23, exec_lo
	v_mov_b32_e32 v10, v8
	v_cmpx_gt_u32_e32 8, v30
; %bb.3234:                             ;   in Loop: Header=BB216_2083 Depth=1
	v_ffbh_u32_e32 v7, v8
	v_min_u32_e32 v7, 32, v7
	v_subrev_nc_u32_e32 v10, 28, v7
	v_sub_nc_u32_e32 v7, 29, v7
	v_lshlrev_b64 v[10:11], v10, v[8:9]
	v_and_b32_e32 v10, 7, v10
; %bb.3235:                             ;   in Loop: Header=BB216_2083 Depth=1
	s_or_b32 exec_lo, exec_lo, s23
	v_lshlrev_b32_sdwa v6, v78, v6 dst_sel:DWORD dst_unused:UNUSED_PAD src0_sel:DWORD src1_sel:BYTE_3
	v_lshlrev_b32_e32 v8, 20, v10
	v_lshl_add_u32 v7, v7, 23, 0x3c000000
	v_mov_b32_e32 v10, v9
	v_and_b32_e32 v6, 0x80000000, v6
	v_or3_b32 v11, v8, v6, v7
.LBB216_3236:                           ;   in Loop: Header=BB216_2083 Depth=1
	s_or_b32 exec_lo, exec_lo, s22
.LBB216_3237:                           ;   in Loop: Header=BB216_2083 Depth=1
	s_or_b32 exec_lo, exec_lo, s21
.LBB216_3238:                           ;   in Loop: Header=BB216_2083 Depth=1
	s_or_b32 exec_lo, exec_lo, s20
	v_or_b32_e32 v6, v24, v22
	v_or_b32_e32 v7, v23, v21
	;; [unrolled: 1-line block ×4, first 2 shown]
	v_mul_f32_e32 v6, v106, v6
	buffer_store_dword v6, off, s[0:3], s32 offset:1300 ; 4-byte Folded Spill
	v_mul_f32_e32 v6, v106, v7
	buffer_store_dword v6, off, s[0:3], s32 offset:1292 ; 4-byte Folded Spill
	;; [unrolled: 2-line block ×4, first 2 shown]
	s_and_saveexec_b32 s8, s7
	s_cbranch_execz .LBB216_3240
; %bb.3239:                             ;   in Loop: Header=BB216_2083 Depth=1
	buffer_load_dword v6, off, s[0:3], s32 offset:1292 ; 4-byte Folded Reload
	s_waitcnt vmcnt(0)
	v_cndmask_b32_e32 v6, 0, v6, vcc_lo
	buffer_store_dword v6, off, s[0:3], s32 offset:1292 ; 4-byte Folded Spill
	buffer_load_dword v6, off, s[0:3], s32 offset:1300 ; 4-byte Folded Reload
	s_waitcnt vmcnt(0)
	v_cndmask_b32_e64 v6, 0, v6, s4
	buffer_store_dword v6, off, s[0:3], s32 offset:1300 ; 4-byte Folded Spill
	buffer_load_dword v6, off, s[0:3], s32 offset:1284 ; 4-byte Folded Reload
	s_waitcnt vmcnt(0)
	v_cndmask_b32_e64 v6, 0, v6, s5
	;; [unrolled: 4-line block ×3, first 2 shown]
	buffer_store_dword v6, off, s[0:3], s32 offset:1276 ; 4-byte Folded Spill
.LBB216_3240:                           ;   in Loop: Header=BB216_2083 Depth=1
	s_or_b32 exec_lo, exec_lo, s8
	flat_load_dword v6, v[19:20] offset:256
	v_mov_b32_e32 v23, 0
	v_mov_b32_e32 v21, 0
	;; [unrolled: 1-line block ×4, first 2 shown]
	s_waitcnt vmcnt(0) lgkmcnt(0)
	v_cmp_ne_u16_sdwa s8, v6, v9 src0_sel:BYTE_0 src1_sel:DWORD
	s_and_saveexec_b32 s20, s8
	s_cbranch_execz .LBB216_3248
; %bb.3241:                             ;   in Loop: Header=BB216_2083 Depth=1
	v_bfrev_b32_e32 v21, 1
	v_mov_b32_e32 v22, 0
	v_cmp_ne_u16_sdwa s8, v6, v74 src0_sel:BYTE_0 src1_sel:DWORD
	s_and_saveexec_b32 s21, s8
	s_cbranch_execz .LBB216_3247
; %bb.3242:                             ;   in Loop: Header=BB216_2083 Depth=1
	v_mov_b32_e32 v21, 0x7f800001
	v_and_b32_e32 v10, 0x7f, v6
	v_mov_b32_e32 v22, 0
	s_mov_b32 s22, exec_lo
	v_cmpx_ne_u32_e32 0x7f, v10
	s_cbranch_execz .LBB216_3246
; %bb.3243:                             ;   in Loop: Header=BB216_2083 Depth=1
	v_and_b32_e32 v8, 7, v6
	v_lshrrev_b32_e32 v7, 3, v10
	v_cmp_gt_u32_e64 s8, 8, v10
	v_mov_b32_e32 v11, v9
	v_mov_b32_e32 v10, v8
	s_and_saveexec_b32 s23, s8
; %bb.3244:                             ;   in Loop: Header=BB216_2083 Depth=1
	v_ffbh_u32_e32 v7, v8
	v_min_u32_e32 v7, 32, v7
	v_subrev_nc_u32_e32 v10, 28, v7
	v_sub_nc_u32_e32 v7, 29, v7
	v_lshlrev_b64 v[10:11], v10, v[8:9]
	v_and_b32_e32 v10, 7, v10
; %bb.3245:                             ;   in Loop: Header=BB216_2083 Depth=1
	s_or_b32 exec_lo, exec_lo, s23
	v_lshlrev_b32_e32 v8, 24, v6
	v_lshlrev_b32_e32 v10, 20, v10
	v_lshl_add_u32 v7, v7, 23, 0x3c000000
	v_and_b32_e32 v8, 0x80000000, v8
	v_or3_b32 v8, v10, v8, v7
	v_mov_b32_e32 v22, v9
	v_mov_b32_e32 v21, v8
.LBB216_3246:                           ;   in Loop: Header=BB216_2083 Depth=1
	s_or_b32 exec_lo, exec_lo, s22
.LBB216_3247:                           ;   in Loop: Header=BB216_2083 Depth=1
	s_or_b32 exec_lo, exec_lo, s21
.LBB216_3248:                           ;   in Loop: Header=BB216_2083 Depth=1
	s_or_b32 exec_lo, exec_lo, s20
	v_cmp_ne_u16_sdwa s8, v6, v9 src0_sel:BYTE_1 src1_sel:DWORD
	s_and_saveexec_b32 s20, s8
	s_cbranch_execz .LBB216_3256
; %bb.3249:                             ;   in Loop: Header=BB216_2083 Depth=1
	v_mov_b32_e32 v11, v9
	v_mov_b32_e32 v24, v12
	v_cmp_ne_u16_sdwa s8, v6, v74 src0_sel:BYTE_1 src1_sel:DWORD
	v_mov_b32_e32 v23, v11
	s_and_saveexec_b32 s21, s8
	s_cbranch_execz .LBB216_3255
; %bb.3250:                             ;   in Loop: Header=BB216_2083 Depth=1
	v_and_b32_sdwa v7, v75, v6 dst_sel:DWORD dst_unused:UNUSED_PAD src0_sel:DWORD src1_sel:BYTE_1
	v_mov_b32_e32 v13, v9
	v_mov_b32_e32 v24, v14
	s_mov_b32 s22, exec_lo
	v_and_b32_e32 v10, 0x7f, v7
	v_mov_b32_e32 v23, v13
	v_cmpx_ne_u32_e32 0x7f, v10
	s_cbranch_execz .LBB216_3254
; %bb.3251:                             ;   in Loop: Header=BB216_2083 Depth=1
	v_and_b32_e32 v8, 7, v7
	v_lshrrev_b32_e32 v7, 3, v10
	v_cmp_gt_u32_e64 s8, 8, v10
	v_mov_b32_e32 v11, v9
	v_mov_b32_e32 v10, v8
	s_and_saveexec_b32 s23, s8
; %bb.3252:                             ;   in Loop: Header=BB216_2083 Depth=1
	v_ffbh_u32_e32 v7, v8
	v_min_u32_e32 v7, 32, v7
	v_subrev_nc_u32_e32 v10, 28, v7
	v_sub_nc_u32_e32 v7, 29, v7
	v_lshlrev_b64 v[10:11], v10, v[8:9]
	v_and_b32_e32 v10, 7, v10
; %bb.3253:                             ;   in Loop: Header=BB216_2083 Depth=1
	s_or_b32 exec_lo, exec_lo, s23
	v_lshlrev_b32_e32 v8, 16, v6
	v_lshlrev_b32_e32 v10, 20, v10
	v_lshl_add_u32 v7, v7, 23, 0x3c000000
	v_mov_b32_e32 v23, v9
	v_and_b32_e32 v8, 0x80000000, v8
	v_or3_b32 v24, v10, v8, v7
.LBB216_3254:                           ;   in Loop: Header=BB216_2083 Depth=1
	s_or_b32 exec_lo, exec_lo, s22
.LBB216_3255:                           ;   in Loop: Header=BB216_2083 Depth=1
	s_or_b32 exec_lo, exec_lo, s21
.LBB216_3256:                           ;   in Loop: Header=BB216_2083 Depth=1
	s_or_b32 exec_lo, exec_lo, s20
	v_mov_b32_e32 v10, 0
	v_mov_b32_e32 v25, 0
	v_and_b32_sdwa v7, v6, v76 dst_sel:DWORD dst_unused:UNUSED_PAD src0_sel:WORD_1 src1_sel:DWORD
	v_mov_b32_e32 v11, 0
	v_mov_b32_e32 v26, 0
	s_mov_b32 s20, exec_lo
	v_cmpx_ne_u16_e32 0, v7
	s_cbranch_execz .LBB216_3264
; %bb.3257:                             ;   in Loop: Header=BB216_2083 Depth=1
	v_bfrev_b32_e32 v25, 1
	v_mov_b32_e32 v26, 0
	s_mov_b32 s21, exec_lo
	v_cmpx_ne_u16_e32 0x80, v7
	s_cbranch_execz .LBB216_3263
; %bb.3258:                             ;   in Loop: Header=BB216_2083 Depth=1
	v_mov_b32_e32 v25, 0x7f800001
	v_bfe_u32 v13, v6, 16, 7
	v_mov_b32_e32 v26, 0
	s_mov_b32 s22, exec_lo
	v_cmpx_ne_u32_e32 0x7f, v13
	s_cbranch_execz .LBB216_3262
; %bb.3259:                             ;   in Loop: Header=BB216_2083 Depth=1
	v_and_b32_sdwa v8, v6, v77 dst_sel:DWORD dst_unused:UNUSED_PAD src0_sel:WORD_1 src1_sel:DWORD
	v_mov_b32_e32 v26, v9
	v_lshrrev_b32_e32 v7, 3, v13
	s_mov_b32 s23, exec_lo
	v_mov_b32_e32 v25, v8
	v_cmpx_gt_u32_e32 8, v13
; %bb.3260:                             ;   in Loop: Header=BB216_2083 Depth=1
	v_ffbh_u32_e32 v7, v8
	v_min_u32_e32 v7, 32, v7
	v_subrev_nc_u32_e32 v13, 28, v7
	v_sub_nc_u32_e32 v7, 29, v7
	v_lshlrev_b64 v[25:26], v13, v[8:9]
	v_and_b32_e32 v25, 7, v25
; %bb.3261:                             ;   in Loop: Header=BB216_2083 Depth=1
	s_or_b32 exec_lo, exec_lo, s23
	v_lshlrev_b32_sdwa v8, v78, v6 dst_sel:DWORD dst_unused:UNUSED_PAD src0_sel:DWORD src1_sel:WORD_1
	v_lshlrev_b32_e32 v13, 20, v25
	v_lshl_add_u32 v7, v7, 23, 0x3c000000
	v_and_b32_e32 v8, 0x80000000, v8
	v_or3_b32 v8, v13, v8, v7
	v_mov_b32_e32 v26, v9
	v_mov_b32_e32 v25, v8
.LBB216_3262:                           ;   in Loop: Header=BB216_2083 Depth=1
	s_or_b32 exec_lo, exec_lo, s22
.LBB216_3263:                           ;   in Loop: Header=BB216_2083 Depth=1
	s_or_b32 exec_lo, exec_lo, s21
.LBB216_3264:                           ;   in Loop: Header=BB216_2083 Depth=1
	s_or_b32 exec_lo, exec_lo, s20
	s_mov_b32 s20, exec_lo
	v_cmpx_lt_u32_e32 0xffffff, v6
	s_cbranch_execz .LBB216_3272
; %bb.3265:                             ;   in Loop: Header=BB216_2083 Depth=1
	v_mov_b32_e32 v11, v9
	v_cmp_ne_u32_sdwa s8, v6, v74 src0_sel:BYTE_3 src1_sel:DWORD
	v_mov_b32_e32 v10, v11
	v_mov_b32_e32 v11, v12
	s_and_saveexec_b32 s21, s8
	s_cbranch_execz .LBB216_3271
; %bb.3266:                             ;   in Loop: Header=BB216_2083 Depth=1
	v_mov_b32_e32 v13, v9
	v_bfe_u32 v30, v6, 24, 7
	s_mov_b32 s22, exec_lo
	v_mov_b32_e32 v10, v13
	v_mov_b32_e32 v11, v14
	v_cmpx_ne_u32_e32 0x7f, v30
	s_cbranch_execz .LBB216_3270
; %bb.3267:                             ;   in Loop: Header=BB216_2083 Depth=1
	v_and_b32_sdwa v8, v6, v77 dst_sel:DWORD dst_unused:UNUSED_PAD src0_sel:BYTE_3 src1_sel:DWORD
	v_mov_b32_e32 v11, v9
	v_lshrrev_b32_e32 v7, 3, v30
	s_mov_b32 s23, exec_lo
	v_mov_b32_e32 v10, v8
	v_cmpx_gt_u32_e32 8, v30
; %bb.3268:                             ;   in Loop: Header=BB216_2083 Depth=1
	v_ffbh_u32_e32 v7, v8
	v_min_u32_e32 v7, 32, v7
	v_subrev_nc_u32_e32 v10, 28, v7
	v_sub_nc_u32_e32 v7, 29, v7
	v_lshlrev_b64 v[10:11], v10, v[8:9]
	v_and_b32_e32 v10, 7, v10
; %bb.3269:                             ;   in Loop: Header=BB216_2083 Depth=1
	s_or_b32 exec_lo, exec_lo, s23
	v_lshlrev_b32_sdwa v6, v78, v6 dst_sel:DWORD dst_unused:UNUSED_PAD src0_sel:DWORD src1_sel:BYTE_3
	v_lshlrev_b32_e32 v8, 20, v10
	v_lshl_add_u32 v7, v7, 23, 0x3c000000
	v_mov_b32_e32 v10, v9
	v_and_b32_e32 v6, 0x80000000, v6
	v_or3_b32 v11, v8, v6, v7
.LBB216_3270:                           ;   in Loop: Header=BB216_2083 Depth=1
	s_or_b32 exec_lo, exec_lo, s22
.LBB216_3271:                           ;   in Loop: Header=BB216_2083 Depth=1
	s_or_b32 exec_lo, exec_lo, s21
.LBB216_3272:                           ;   in Loop: Header=BB216_2083 Depth=1
	s_or_b32 exec_lo, exec_lo, s20
	v_or_b32_e32 v6, v24, v22
	v_or_b32_e32 v7, v23, v21
	;; [unrolled: 1-line block ×4, first 2 shown]
	v_mul_f32_e32 v6, v106, v6
	buffer_store_dword v6, off, s[0:3], s32 offset:1332 ; 4-byte Folded Spill
	v_mul_f32_e32 v6, v106, v7
	buffer_store_dword v6, off, s[0:3], s32 offset:1324 ; 4-byte Folded Spill
	;; [unrolled: 2-line block ×4, first 2 shown]
	s_and_saveexec_b32 s8, s7
	s_cbranch_execz .LBB216_3274
; %bb.3273:                             ;   in Loop: Header=BB216_2083 Depth=1
	buffer_load_dword v6, off, s[0:3], s32 offset:1324 ; 4-byte Folded Reload
	s_waitcnt vmcnt(0)
	v_cndmask_b32_e32 v6, 0, v6, vcc_lo
	buffer_store_dword v6, off, s[0:3], s32 offset:1324 ; 4-byte Folded Spill
	buffer_load_dword v6, off, s[0:3], s32 offset:1332 ; 4-byte Folded Reload
	s_waitcnt vmcnt(0)
	v_cndmask_b32_e64 v6, 0, v6, s4
	buffer_store_dword v6, off, s[0:3], s32 offset:1332 ; 4-byte Folded Spill
	buffer_load_dword v6, off, s[0:3], s32 offset:1316 ; 4-byte Folded Reload
	s_waitcnt vmcnt(0)
	v_cndmask_b32_e64 v6, 0, v6, s5
	buffer_store_dword v6, off, s[0:3], s32 offset:1316 ; 4-byte Folded Spill
	buffer_load_dword v6, off, s[0:3], s32 offset:1308 ; 4-byte Folded Reload
	s_waitcnt vmcnt(0)
	v_cndmask_b32_e64 v6, 0, v6, s6
	buffer_store_dword v6, off, s[0:3], s32 offset:1308 ; 4-byte Folded Spill
.LBB216_3274:                           ;   in Loop: Header=BB216_2083 Depth=1
	s_or_b32 exec_lo, exec_lo, s8
	flat_load_dword v6, v[19:20] offset:384
	v_mov_b32_e32 v23, 0
	v_mov_b32_e32 v21, 0
	;; [unrolled: 1-line block ×4, first 2 shown]
	s_waitcnt vmcnt(0) lgkmcnt(0)
	v_cmp_ne_u16_sdwa s8, v6, v9 src0_sel:BYTE_0 src1_sel:DWORD
	s_and_saveexec_b32 s20, s8
	s_cbranch_execz .LBB216_3282
; %bb.3275:                             ;   in Loop: Header=BB216_2083 Depth=1
	v_bfrev_b32_e32 v21, 1
	v_mov_b32_e32 v22, 0
	v_cmp_ne_u16_sdwa s8, v6, v74 src0_sel:BYTE_0 src1_sel:DWORD
	s_and_saveexec_b32 s21, s8
	s_cbranch_execz .LBB216_3281
; %bb.3276:                             ;   in Loop: Header=BB216_2083 Depth=1
	v_mov_b32_e32 v21, 0x7f800001
	v_and_b32_e32 v10, 0x7f, v6
	v_mov_b32_e32 v22, 0
	s_mov_b32 s22, exec_lo
	v_cmpx_ne_u32_e32 0x7f, v10
	s_cbranch_execz .LBB216_3280
; %bb.3277:                             ;   in Loop: Header=BB216_2083 Depth=1
	v_and_b32_e32 v8, 7, v6
	v_lshrrev_b32_e32 v7, 3, v10
	v_cmp_gt_u32_e64 s8, 8, v10
	v_mov_b32_e32 v11, v9
	v_mov_b32_e32 v10, v8
	s_and_saveexec_b32 s23, s8
; %bb.3278:                             ;   in Loop: Header=BB216_2083 Depth=1
	v_ffbh_u32_e32 v7, v8
	v_min_u32_e32 v7, 32, v7
	v_subrev_nc_u32_e32 v10, 28, v7
	v_sub_nc_u32_e32 v7, 29, v7
	v_lshlrev_b64 v[10:11], v10, v[8:9]
	v_and_b32_e32 v10, 7, v10
; %bb.3279:                             ;   in Loop: Header=BB216_2083 Depth=1
	s_or_b32 exec_lo, exec_lo, s23
	v_lshlrev_b32_e32 v8, 24, v6
	v_lshlrev_b32_e32 v10, 20, v10
	v_lshl_add_u32 v7, v7, 23, 0x3c000000
	v_and_b32_e32 v8, 0x80000000, v8
	v_or3_b32 v8, v10, v8, v7
	v_mov_b32_e32 v22, v9
	v_mov_b32_e32 v21, v8
.LBB216_3280:                           ;   in Loop: Header=BB216_2083 Depth=1
	s_or_b32 exec_lo, exec_lo, s22
.LBB216_3281:                           ;   in Loop: Header=BB216_2083 Depth=1
	s_or_b32 exec_lo, exec_lo, s21
.LBB216_3282:                           ;   in Loop: Header=BB216_2083 Depth=1
	s_or_b32 exec_lo, exec_lo, s20
	v_cmp_ne_u16_sdwa s8, v6, v9 src0_sel:BYTE_1 src1_sel:DWORD
	s_and_saveexec_b32 s20, s8
	s_cbranch_execz .LBB216_3290
; %bb.3283:                             ;   in Loop: Header=BB216_2083 Depth=1
	v_mov_b32_e32 v11, v9
	v_mov_b32_e32 v24, v12
	v_cmp_ne_u16_sdwa s8, v6, v74 src0_sel:BYTE_1 src1_sel:DWORD
	v_mov_b32_e32 v23, v11
	s_and_saveexec_b32 s21, s8
	s_cbranch_execz .LBB216_3289
; %bb.3284:                             ;   in Loop: Header=BB216_2083 Depth=1
	v_and_b32_sdwa v7, v75, v6 dst_sel:DWORD dst_unused:UNUSED_PAD src0_sel:DWORD src1_sel:BYTE_1
	v_mov_b32_e32 v13, v9
	v_mov_b32_e32 v24, v14
	s_mov_b32 s22, exec_lo
	v_and_b32_e32 v10, 0x7f, v7
	v_mov_b32_e32 v23, v13
	v_cmpx_ne_u32_e32 0x7f, v10
	s_cbranch_execz .LBB216_3288
; %bb.3285:                             ;   in Loop: Header=BB216_2083 Depth=1
	v_and_b32_e32 v8, 7, v7
	v_lshrrev_b32_e32 v7, 3, v10
	v_cmp_gt_u32_e64 s8, 8, v10
	v_mov_b32_e32 v11, v9
	v_mov_b32_e32 v10, v8
	s_and_saveexec_b32 s23, s8
; %bb.3286:                             ;   in Loop: Header=BB216_2083 Depth=1
	v_ffbh_u32_e32 v7, v8
	v_min_u32_e32 v7, 32, v7
	v_subrev_nc_u32_e32 v10, 28, v7
	v_sub_nc_u32_e32 v7, 29, v7
	v_lshlrev_b64 v[10:11], v10, v[8:9]
	v_and_b32_e32 v10, 7, v10
; %bb.3287:                             ;   in Loop: Header=BB216_2083 Depth=1
	s_or_b32 exec_lo, exec_lo, s23
	v_lshlrev_b32_e32 v8, 16, v6
	v_lshlrev_b32_e32 v10, 20, v10
	v_lshl_add_u32 v7, v7, 23, 0x3c000000
	v_mov_b32_e32 v23, v9
	v_and_b32_e32 v8, 0x80000000, v8
	v_or3_b32 v24, v10, v8, v7
.LBB216_3288:                           ;   in Loop: Header=BB216_2083 Depth=1
	s_or_b32 exec_lo, exec_lo, s22
.LBB216_3289:                           ;   in Loop: Header=BB216_2083 Depth=1
	s_or_b32 exec_lo, exec_lo, s21
.LBB216_3290:                           ;   in Loop: Header=BB216_2083 Depth=1
	s_or_b32 exec_lo, exec_lo, s20
	v_mov_b32_e32 v10, 0
	v_mov_b32_e32 v25, 0
	v_and_b32_sdwa v7, v6, v76 dst_sel:DWORD dst_unused:UNUSED_PAD src0_sel:WORD_1 src1_sel:DWORD
	v_mov_b32_e32 v11, 0
	v_mov_b32_e32 v26, 0
	s_mov_b32 s20, exec_lo
	v_cmpx_ne_u16_e32 0, v7
	s_cbranch_execz .LBB216_3298
; %bb.3291:                             ;   in Loop: Header=BB216_2083 Depth=1
	v_bfrev_b32_e32 v25, 1
	v_mov_b32_e32 v26, 0
	s_mov_b32 s21, exec_lo
	v_cmpx_ne_u16_e32 0x80, v7
	s_cbranch_execz .LBB216_3297
; %bb.3292:                             ;   in Loop: Header=BB216_2083 Depth=1
	v_mov_b32_e32 v25, 0x7f800001
	v_bfe_u32 v13, v6, 16, 7
	v_mov_b32_e32 v26, 0
	s_mov_b32 s22, exec_lo
	v_cmpx_ne_u32_e32 0x7f, v13
	s_cbranch_execz .LBB216_3296
; %bb.3293:                             ;   in Loop: Header=BB216_2083 Depth=1
	v_and_b32_sdwa v8, v6, v77 dst_sel:DWORD dst_unused:UNUSED_PAD src0_sel:WORD_1 src1_sel:DWORD
	v_mov_b32_e32 v26, v9
	v_lshrrev_b32_e32 v7, 3, v13
	s_mov_b32 s23, exec_lo
	v_mov_b32_e32 v25, v8
	v_cmpx_gt_u32_e32 8, v13
; %bb.3294:                             ;   in Loop: Header=BB216_2083 Depth=1
	v_ffbh_u32_e32 v7, v8
	v_min_u32_e32 v7, 32, v7
	v_subrev_nc_u32_e32 v13, 28, v7
	v_sub_nc_u32_e32 v7, 29, v7
	v_lshlrev_b64 v[25:26], v13, v[8:9]
	v_and_b32_e32 v25, 7, v25
; %bb.3295:                             ;   in Loop: Header=BB216_2083 Depth=1
	s_or_b32 exec_lo, exec_lo, s23
	v_lshlrev_b32_sdwa v8, v78, v6 dst_sel:DWORD dst_unused:UNUSED_PAD src0_sel:DWORD src1_sel:WORD_1
	v_lshlrev_b32_e32 v13, 20, v25
	v_lshl_add_u32 v7, v7, 23, 0x3c000000
	v_and_b32_e32 v8, 0x80000000, v8
	v_or3_b32 v8, v13, v8, v7
	v_mov_b32_e32 v26, v9
	v_mov_b32_e32 v25, v8
.LBB216_3296:                           ;   in Loop: Header=BB216_2083 Depth=1
	s_or_b32 exec_lo, exec_lo, s22
.LBB216_3297:                           ;   in Loop: Header=BB216_2083 Depth=1
	s_or_b32 exec_lo, exec_lo, s21
.LBB216_3298:                           ;   in Loop: Header=BB216_2083 Depth=1
	s_or_b32 exec_lo, exec_lo, s20
	s_mov_b32 s20, exec_lo
	v_cmpx_lt_u32_e32 0xffffff, v6
	s_cbranch_execz .LBB216_3306
; %bb.3299:                             ;   in Loop: Header=BB216_2083 Depth=1
	v_mov_b32_e32 v11, v9
	v_cmp_ne_u32_sdwa s8, v6, v74 src0_sel:BYTE_3 src1_sel:DWORD
	v_mov_b32_e32 v10, v11
	v_mov_b32_e32 v11, v12
	s_and_saveexec_b32 s21, s8
	s_cbranch_execz .LBB216_3305
; %bb.3300:                             ;   in Loop: Header=BB216_2083 Depth=1
	v_mov_b32_e32 v13, v9
	v_bfe_u32 v30, v6, 24, 7
	s_mov_b32 s22, exec_lo
	v_mov_b32_e32 v10, v13
	v_mov_b32_e32 v11, v14
	v_cmpx_ne_u32_e32 0x7f, v30
	s_cbranch_execz .LBB216_3304
; %bb.3301:                             ;   in Loop: Header=BB216_2083 Depth=1
	v_and_b32_sdwa v8, v6, v77 dst_sel:DWORD dst_unused:UNUSED_PAD src0_sel:BYTE_3 src1_sel:DWORD
	v_mov_b32_e32 v11, v9
	v_lshrrev_b32_e32 v7, 3, v30
	s_mov_b32 s23, exec_lo
	v_mov_b32_e32 v10, v8
	v_cmpx_gt_u32_e32 8, v30
; %bb.3302:                             ;   in Loop: Header=BB216_2083 Depth=1
	v_ffbh_u32_e32 v7, v8
	v_min_u32_e32 v7, 32, v7
	v_subrev_nc_u32_e32 v10, 28, v7
	v_sub_nc_u32_e32 v7, 29, v7
	v_lshlrev_b64 v[10:11], v10, v[8:9]
	v_and_b32_e32 v10, 7, v10
; %bb.3303:                             ;   in Loop: Header=BB216_2083 Depth=1
	s_or_b32 exec_lo, exec_lo, s23
	v_lshlrev_b32_sdwa v6, v78, v6 dst_sel:DWORD dst_unused:UNUSED_PAD src0_sel:DWORD src1_sel:BYTE_3
	v_lshlrev_b32_e32 v8, 20, v10
	v_lshl_add_u32 v7, v7, 23, 0x3c000000
	v_mov_b32_e32 v10, v9
	v_and_b32_e32 v6, 0x80000000, v6
	v_or3_b32 v11, v8, v6, v7
.LBB216_3304:                           ;   in Loop: Header=BB216_2083 Depth=1
	s_or_b32 exec_lo, exec_lo, s22
.LBB216_3305:                           ;   in Loop: Header=BB216_2083 Depth=1
	s_or_b32 exec_lo, exec_lo, s21
.LBB216_3306:                           ;   in Loop: Header=BB216_2083 Depth=1
	s_or_b32 exec_lo, exec_lo, s20
	v_or_b32_e32 v6, v24, v22
	v_or_b32_e32 v7, v23, v21
	;; [unrolled: 1-line block ×4, first 2 shown]
	v_mul_f32_e32 v6, v106, v6
	buffer_store_dword v6, off, s[0:3], s32 offset:1364 ; 4-byte Folded Spill
	v_mul_f32_e32 v6, v106, v7
	buffer_store_dword v6, off, s[0:3], s32 offset:1356 ; 4-byte Folded Spill
	;; [unrolled: 2-line block ×4, first 2 shown]
	s_and_saveexec_b32 s8, s7
	s_cbranch_execz .LBB216_3308
; %bb.3307:                             ;   in Loop: Header=BB216_2083 Depth=1
	buffer_load_dword v6, off, s[0:3], s32 offset:1356 ; 4-byte Folded Reload
	s_waitcnt vmcnt(0)
	v_cndmask_b32_e32 v6, 0, v6, vcc_lo
	buffer_store_dword v6, off, s[0:3], s32 offset:1356 ; 4-byte Folded Spill
	buffer_load_dword v6, off, s[0:3], s32 offset:1364 ; 4-byte Folded Reload
	s_waitcnt vmcnt(0)
	v_cndmask_b32_e64 v6, 0, v6, s4
	buffer_store_dword v6, off, s[0:3], s32 offset:1364 ; 4-byte Folded Spill
	buffer_load_dword v6, off, s[0:3], s32 offset:1348 ; 4-byte Folded Reload
	s_waitcnt vmcnt(0)
	v_cndmask_b32_e64 v6, 0, v6, s5
	;; [unrolled: 4-line block ×3, first 2 shown]
	buffer_store_dword v6, off, s[0:3], s32 offset:1340 ; 4-byte Folded Spill
.LBB216_3308:                           ;   in Loop: Header=BB216_2083 Depth=1
	s_or_b32 exec_lo, exec_lo, s8
	flat_load_dword v6, v[19:20] offset:512
	v_mov_b32_e32 v23, 0
	v_mov_b32_e32 v21, 0
	;; [unrolled: 1-line block ×4, first 2 shown]
	s_waitcnt vmcnt(0) lgkmcnt(0)
	v_cmp_ne_u16_sdwa s8, v6, v9 src0_sel:BYTE_0 src1_sel:DWORD
	s_and_saveexec_b32 s20, s8
	s_cbranch_execz .LBB216_3316
; %bb.3309:                             ;   in Loop: Header=BB216_2083 Depth=1
	v_bfrev_b32_e32 v21, 1
	v_mov_b32_e32 v22, 0
	v_cmp_ne_u16_sdwa s8, v6, v74 src0_sel:BYTE_0 src1_sel:DWORD
	s_and_saveexec_b32 s21, s8
	s_cbranch_execz .LBB216_3315
; %bb.3310:                             ;   in Loop: Header=BB216_2083 Depth=1
	v_mov_b32_e32 v21, 0x7f800001
	v_and_b32_e32 v10, 0x7f, v6
	v_mov_b32_e32 v22, 0
	s_mov_b32 s22, exec_lo
	v_cmpx_ne_u32_e32 0x7f, v10
	s_cbranch_execz .LBB216_3314
; %bb.3311:                             ;   in Loop: Header=BB216_2083 Depth=1
	v_and_b32_e32 v8, 7, v6
	v_lshrrev_b32_e32 v7, 3, v10
	v_cmp_gt_u32_e64 s8, 8, v10
	v_mov_b32_e32 v11, v9
	v_mov_b32_e32 v10, v8
	s_and_saveexec_b32 s23, s8
; %bb.3312:                             ;   in Loop: Header=BB216_2083 Depth=1
	v_ffbh_u32_e32 v7, v8
	v_min_u32_e32 v7, 32, v7
	v_subrev_nc_u32_e32 v10, 28, v7
	v_sub_nc_u32_e32 v7, 29, v7
	v_lshlrev_b64 v[10:11], v10, v[8:9]
	v_and_b32_e32 v10, 7, v10
; %bb.3313:                             ;   in Loop: Header=BB216_2083 Depth=1
	s_or_b32 exec_lo, exec_lo, s23
	v_lshlrev_b32_e32 v8, 24, v6
	v_lshlrev_b32_e32 v10, 20, v10
	v_lshl_add_u32 v7, v7, 23, 0x3c000000
	v_and_b32_e32 v8, 0x80000000, v8
	v_or3_b32 v8, v10, v8, v7
	v_mov_b32_e32 v22, v9
	v_mov_b32_e32 v21, v8
.LBB216_3314:                           ;   in Loop: Header=BB216_2083 Depth=1
	s_or_b32 exec_lo, exec_lo, s22
.LBB216_3315:                           ;   in Loop: Header=BB216_2083 Depth=1
	s_or_b32 exec_lo, exec_lo, s21
.LBB216_3316:                           ;   in Loop: Header=BB216_2083 Depth=1
	s_or_b32 exec_lo, exec_lo, s20
	v_cmp_ne_u16_sdwa s8, v6, v9 src0_sel:BYTE_1 src1_sel:DWORD
	s_and_saveexec_b32 s20, s8
	s_cbranch_execz .LBB216_3324
; %bb.3317:                             ;   in Loop: Header=BB216_2083 Depth=1
	v_mov_b32_e32 v11, v9
	v_mov_b32_e32 v24, v12
	v_cmp_ne_u16_sdwa s8, v6, v74 src0_sel:BYTE_1 src1_sel:DWORD
	v_mov_b32_e32 v23, v11
	s_and_saveexec_b32 s21, s8
	s_cbranch_execz .LBB216_3323
; %bb.3318:                             ;   in Loop: Header=BB216_2083 Depth=1
	v_and_b32_sdwa v7, v75, v6 dst_sel:DWORD dst_unused:UNUSED_PAD src0_sel:DWORD src1_sel:BYTE_1
	v_mov_b32_e32 v13, v9
	v_mov_b32_e32 v24, v14
	s_mov_b32 s22, exec_lo
	v_and_b32_e32 v10, 0x7f, v7
	v_mov_b32_e32 v23, v13
	v_cmpx_ne_u32_e32 0x7f, v10
	s_cbranch_execz .LBB216_3322
; %bb.3319:                             ;   in Loop: Header=BB216_2083 Depth=1
	v_and_b32_e32 v8, 7, v7
	v_lshrrev_b32_e32 v7, 3, v10
	v_cmp_gt_u32_e64 s8, 8, v10
	v_mov_b32_e32 v11, v9
	v_mov_b32_e32 v10, v8
	s_and_saveexec_b32 s23, s8
; %bb.3320:                             ;   in Loop: Header=BB216_2083 Depth=1
	v_ffbh_u32_e32 v7, v8
	v_min_u32_e32 v7, 32, v7
	v_subrev_nc_u32_e32 v10, 28, v7
	v_sub_nc_u32_e32 v7, 29, v7
	v_lshlrev_b64 v[10:11], v10, v[8:9]
	v_and_b32_e32 v10, 7, v10
; %bb.3321:                             ;   in Loop: Header=BB216_2083 Depth=1
	s_or_b32 exec_lo, exec_lo, s23
	v_lshlrev_b32_e32 v8, 16, v6
	v_lshlrev_b32_e32 v10, 20, v10
	v_lshl_add_u32 v7, v7, 23, 0x3c000000
	v_mov_b32_e32 v23, v9
	v_and_b32_e32 v8, 0x80000000, v8
	v_or3_b32 v24, v10, v8, v7
.LBB216_3322:                           ;   in Loop: Header=BB216_2083 Depth=1
	s_or_b32 exec_lo, exec_lo, s22
.LBB216_3323:                           ;   in Loop: Header=BB216_2083 Depth=1
	s_or_b32 exec_lo, exec_lo, s21
.LBB216_3324:                           ;   in Loop: Header=BB216_2083 Depth=1
	s_or_b32 exec_lo, exec_lo, s20
	v_mov_b32_e32 v10, 0
	v_mov_b32_e32 v25, 0
	v_and_b32_sdwa v7, v6, v76 dst_sel:DWORD dst_unused:UNUSED_PAD src0_sel:WORD_1 src1_sel:DWORD
	v_mov_b32_e32 v11, 0
	v_mov_b32_e32 v26, 0
	s_mov_b32 s20, exec_lo
	v_cmpx_ne_u16_e32 0, v7
	s_cbranch_execz .LBB216_3332
; %bb.3325:                             ;   in Loop: Header=BB216_2083 Depth=1
	v_bfrev_b32_e32 v25, 1
	v_mov_b32_e32 v26, 0
	s_mov_b32 s21, exec_lo
	v_cmpx_ne_u16_e32 0x80, v7
	s_cbranch_execz .LBB216_3331
; %bb.3326:                             ;   in Loop: Header=BB216_2083 Depth=1
	v_mov_b32_e32 v25, 0x7f800001
	v_bfe_u32 v13, v6, 16, 7
	v_mov_b32_e32 v26, 0
	s_mov_b32 s22, exec_lo
	v_cmpx_ne_u32_e32 0x7f, v13
	s_cbranch_execz .LBB216_3330
; %bb.3327:                             ;   in Loop: Header=BB216_2083 Depth=1
	v_and_b32_sdwa v8, v6, v77 dst_sel:DWORD dst_unused:UNUSED_PAD src0_sel:WORD_1 src1_sel:DWORD
	v_mov_b32_e32 v26, v9
	v_lshrrev_b32_e32 v7, 3, v13
	s_mov_b32 s23, exec_lo
	v_mov_b32_e32 v25, v8
	v_cmpx_gt_u32_e32 8, v13
; %bb.3328:                             ;   in Loop: Header=BB216_2083 Depth=1
	v_ffbh_u32_e32 v7, v8
	v_min_u32_e32 v7, 32, v7
	v_subrev_nc_u32_e32 v13, 28, v7
	v_sub_nc_u32_e32 v7, 29, v7
	v_lshlrev_b64 v[25:26], v13, v[8:9]
	v_and_b32_e32 v25, 7, v25
; %bb.3329:                             ;   in Loop: Header=BB216_2083 Depth=1
	s_or_b32 exec_lo, exec_lo, s23
	v_lshlrev_b32_sdwa v8, v78, v6 dst_sel:DWORD dst_unused:UNUSED_PAD src0_sel:DWORD src1_sel:WORD_1
	v_lshlrev_b32_e32 v13, 20, v25
	v_lshl_add_u32 v7, v7, 23, 0x3c000000
	v_and_b32_e32 v8, 0x80000000, v8
	v_or3_b32 v8, v13, v8, v7
	v_mov_b32_e32 v26, v9
	v_mov_b32_e32 v25, v8
.LBB216_3330:                           ;   in Loop: Header=BB216_2083 Depth=1
	s_or_b32 exec_lo, exec_lo, s22
.LBB216_3331:                           ;   in Loop: Header=BB216_2083 Depth=1
	s_or_b32 exec_lo, exec_lo, s21
.LBB216_3332:                           ;   in Loop: Header=BB216_2083 Depth=1
	s_or_b32 exec_lo, exec_lo, s20
	s_mov_b32 s20, exec_lo
	v_cmpx_lt_u32_e32 0xffffff, v6
	s_cbranch_execz .LBB216_3340
; %bb.3333:                             ;   in Loop: Header=BB216_2083 Depth=1
	v_mov_b32_e32 v11, v9
	v_cmp_ne_u32_sdwa s8, v6, v74 src0_sel:BYTE_3 src1_sel:DWORD
	v_mov_b32_e32 v10, v11
	v_mov_b32_e32 v11, v12
	s_and_saveexec_b32 s21, s8
	s_cbranch_execz .LBB216_3339
; %bb.3334:                             ;   in Loop: Header=BB216_2083 Depth=1
	v_mov_b32_e32 v13, v9
	v_bfe_u32 v30, v6, 24, 7
	s_mov_b32 s22, exec_lo
	v_mov_b32_e32 v10, v13
	v_mov_b32_e32 v11, v14
	v_cmpx_ne_u32_e32 0x7f, v30
	s_cbranch_execz .LBB216_3338
; %bb.3335:                             ;   in Loop: Header=BB216_2083 Depth=1
	v_and_b32_sdwa v8, v6, v77 dst_sel:DWORD dst_unused:UNUSED_PAD src0_sel:BYTE_3 src1_sel:DWORD
	v_mov_b32_e32 v11, v9
	v_lshrrev_b32_e32 v7, 3, v30
	s_mov_b32 s23, exec_lo
	v_mov_b32_e32 v10, v8
	v_cmpx_gt_u32_e32 8, v30
; %bb.3336:                             ;   in Loop: Header=BB216_2083 Depth=1
	v_ffbh_u32_e32 v7, v8
	v_min_u32_e32 v7, 32, v7
	v_subrev_nc_u32_e32 v10, 28, v7
	v_sub_nc_u32_e32 v7, 29, v7
	v_lshlrev_b64 v[10:11], v10, v[8:9]
	v_and_b32_e32 v10, 7, v10
; %bb.3337:                             ;   in Loop: Header=BB216_2083 Depth=1
	s_or_b32 exec_lo, exec_lo, s23
	v_lshlrev_b32_sdwa v6, v78, v6 dst_sel:DWORD dst_unused:UNUSED_PAD src0_sel:DWORD src1_sel:BYTE_3
	v_lshlrev_b32_e32 v8, 20, v10
	v_lshl_add_u32 v7, v7, 23, 0x3c000000
	v_mov_b32_e32 v10, v9
	v_and_b32_e32 v6, 0x80000000, v6
	v_or3_b32 v11, v8, v6, v7
.LBB216_3338:                           ;   in Loop: Header=BB216_2083 Depth=1
	s_or_b32 exec_lo, exec_lo, s22
.LBB216_3339:                           ;   in Loop: Header=BB216_2083 Depth=1
	s_or_b32 exec_lo, exec_lo, s21
.LBB216_3340:                           ;   in Loop: Header=BB216_2083 Depth=1
	s_or_b32 exec_lo, exec_lo, s20
	v_or_b32_e32 v6, v24, v22
	v_or_b32_e32 v7, v23, v21
	;; [unrolled: 1-line block ×4, first 2 shown]
	v_mul_f32_e32 v6, v106, v6
	buffer_store_dword v6, off, s[0:3], s32 offset:1396 ; 4-byte Folded Spill
	v_mul_f32_e32 v6, v106, v7
	buffer_store_dword v6, off, s[0:3], s32 offset:1388 ; 4-byte Folded Spill
	;; [unrolled: 2-line block ×4, first 2 shown]
	s_and_saveexec_b32 s8, s7
	s_cbranch_execz .LBB216_3342
; %bb.3341:                             ;   in Loop: Header=BB216_2083 Depth=1
	buffer_load_dword v6, off, s[0:3], s32 offset:1388 ; 4-byte Folded Reload
	s_waitcnt vmcnt(0)
	v_cndmask_b32_e32 v6, 0, v6, vcc_lo
	buffer_store_dword v6, off, s[0:3], s32 offset:1388 ; 4-byte Folded Spill
	buffer_load_dword v6, off, s[0:3], s32 offset:1396 ; 4-byte Folded Reload
	s_waitcnt vmcnt(0)
	v_cndmask_b32_e64 v6, 0, v6, s4
	buffer_store_dword v6, off, s[0:3], s32 offset:1396 ; 4-byte Folded Spill
	buffer_load_dword v6, off, s[0:3], s32 offset:1380 ; 4-byte Folded Reload
	s_waitcnt vmcnt(0)
	v_cndmask_b32_e64 v6, 0, v6, s5
	buffer_store_dword v6, off, s[0:3], s32 offset:1380 ; 4-byte Folded Spill
	buffer_load_dword v6, off, s[0:3], s32 offset:1372 ; 4-byte Folded Reload
	s_waitcnt vmcnt(0)
	v_cndmask_b32_e64 v6, 0, v6, s6
	buffer_store_dword v6, off, s[0:3], s32 offset:1372 ; 4-byte Folded Spill
.LBB216_3342:                           ;   in Loop: Header=BB216_2083 Depth=1
	s_or_b32 exec_lo, exec_lo, s8
	flat_load_dword v6, v[19:20] offset:640
	v_mov_b32_e32 v23, 0
	v_mov_b32_e32 v21, 0
	;; [unrolled: 1-line block ×4, first 2 shown]
	s_waitcnt vmcnt(0) lgkmcnt(0)
	v_cmp_ne_u16_sdwa s8, v6, v9 src0_sel:BYTE_0 src1_sel:DWORD
	s_and_saveexec_b32 s20, s8
	s_cbranch_execz .LBB216_3350
; %bb.3343:                             ;   in Loop: Header=BB216_2083 Depth=1
	v_bfrev_b32_e32 v21, 1
	v_mov_b32_e32 v22, 0
	v_cmp_ne_u16_sdwa s8, v6, v74 src0_sel:BYTE_0 src1_sel:DWORD
	s_and_saveexec_b32 s21, s8
	s_cbranch_execz .LBB216_3349
; %bb.3344:                             ;   in Loop: Header=BB216_2083 Depth=1
	v_mov_b32_e32 v21, 0x7f800001
	v_and_b32_e32 v10, 0x7f, v6
	v_mov_b32_e32 v22, 0
	s_mov_b32 s22, exec_lo
	v_cmpx_ne_u32_e32 0x7f, v10
	s_cbranch_execz .LBB216_3348
; %bb.3345:                             ;   in Loop: Header=BB216_2083 Depth=1
	v_and_b32_e32 v8, 7, v6
	v_lshrrev_b32_e32 v7, 3, v10
	v_cmp_gt_u32_e64 s8, 8, v10
	v_mov_b32_e32 v11, v9
	v_mov_b32_e32 v10, v8
	s_and_saveexec_b32 s23, s8
; %bb.3346:                             ;   in Loop: Header=BB216_2083 Depth=1
	v_ffbh_u32_e32 v7, v8
	v_min_u32_e32 v7, 32, v7
	v_subrev_nc_u32_e32 v10, 28, v7
	v_sub_nc_u32_e32 v7, 29, v7
	v_lshlrev_b64 v[10:11], v10, v[8:9]
	v_and_b32_e32 v10, 7, v10
; %bb.3347:                             ;   in Loop: Header=BB216_2083 Depth=1
	s_or_b32 exec_lo, exec_lo, s23
	v_lshlrev_b32_e32 v8, 24, v6
	v_lshlrev_b32_e32 v10, 20, v10
	v_lshl_add_u32 v7, v7, 23, 0x3c000000
	v_and_b32_e32 v8, 0x80000000, v8
	v_or3_b32 v8, v10, v8, v7
	v_mov_b32_e32 v22, v9
	v_mov_b32_e32 v21, v8
.LBB216_3348:                           ;   in Loop: Header=BB216_2083 Depth=1
	s_or_b32 exec_lo, exec_lo, s22
.LBB216_3349:                           ;   in Loop: Header=BB216_2083 Depth=1
	s_or_b32 exec_lo, exec_lo, s21
.LBB216_3350:                           ;   in Loop: Header=BB216_2083 Depth=1
	s_or_b32 exec_lo, exec_lo, s20
	v_cmp_ne_u16_sdwa s8, v6, v9 src0_sel:BYTE_1 src1_sel:DWORD
	s_and_saveexec_b32 s20, s8
	s_cbranch_execz .LBB216_3358
; %bb.3351:                             ;   in Loop: Header=BB216_2083 Depth=1
	v_mov_b32_e32 v11, v9
	v_mov_b32_e32 v24, v12
	v_cmp_ne_u16_sdwa s8, v6, v74 src0_sel:BYTE_1 src1_sel:DWORD
	v_mov_b32_e32 v23, v11
	s_and_saveexec_b32 s21, s8
	s_cbranch_execz .LBB216_3357
; %bb.3352:                             ;   in Loop: Header=BB216_2083 Depth=1
	v_and_b32_sdwa v7, v75, v6 dst_sel:DWORD dst_unused:UNUSED_PAD src0_sel:DWORD src1_sel:BYTE_1
	v_mov_b32_e32 v13, v9
	v_mov_b32_e32 v24, v14
	s_mov_b32 s22, exec_lo
	v_and_b32_e32 v10, 0x7f, v7
	v_mov_b32_e32 v23, v13
	v_cmpx_ne_u32_e32 0x7f, v10
	s_cbranch_execz .LBB216_3356
; %bb.3353:                             ;   in Loop: Header=BB216_2083 Depth=1
	v_and_b32_e32 v8, 7, v7
	v_lshrrev_b32_e32 v7, 3, v10
	v_cmp_gt_u32_e64 s8, 8, v10
	v_mov_b32_e32 v11, v9
	v_mov_b32_e32 v10, v8
	s_and_saveexec_b32 s23, s8
; %bb.3354:                             ;   in Loop: Header=BB216_2083 Depth=1
	v_ffbh_u32_e32 v7, v8
	v_min_u32_e32 v7, 32, v7
	v_subrev_nc_u32_e32 v10, 28, v7
	v_sub_nc_u32_e32 v7, 29, v7
	v_lshlrev_b64 v[10:11], v10, v[8:9]
	v_and_b32_e32 v10, 7, v10
; %bb.3355:                             ;   in Loop: Header=BB216_2083 Depth=1
	s_or_b32 exec_lo, exec_lo, s23
	v_lshlrev_b32_e32 v8, 16, v6
	v_lshlrev_b32_e32 v10, 20, v10
	v_lshl_add_u32 v7, v7, 23, 0x3c000000
	v_mov_b32_e32 v23, v9
	v_and_b32_e32 v8, 0x80000000, v8
	v_or3_b32 v24, v10, v8, v7
.LBB216_3356:                           ;   in Loop: Header=BB216_2083 Depth=1
	s_or_b32 exec_lo, exec_lo, s22
.LBB216_3357:                           ;   in Loop: Header=BB216_2083 Depth=1
	s_or_b32 exec_lo, exec_lo, s21
.LBB216_3358:                           ;   in Loop: Header=BB216_2083 Depth=1
	s_or_b32 exec_lo, exec_lo, s20
	v_mov_b32_e32 v10, 0
	v_mov_b32_e32 v25, 0
	v_and_b32_sdwa v7, v6, v76 dst_sel:DWORD dst_unused:UNUSED_PAD src0_sel:WORD_1 src1_sel:DWORD
	v_mov_b32_e32 v11, 0
	v_mov_b32_e32 v26, 0
	s_mov_b32 s20, exec_lo
	v_cmpx_ne_u16_e32 0, v7
	s_cbranch_execz .LBB216_3366
; %bb.3359:                             ;   in Loop: Header=BB216_2083 Depth=1
	v_bfrev_b32_e32 v25, 1
	v_mov_b32_e32 v26, 0
	s_mov_b32 s21, exec_lo
	v_cmpx_ne_u16_e32 0x80, v7
	s_cbranch_execz .LBB216_3365
; %bb.3360:                             ;   in Loop: Header=BB216_2083 Depth=1
	v_mov_b32_e32 v25, 0x7f800001
	v_bfe_u32 v13, v6, 16, 7
	v_mov_b32_e32 v26, 0
	s_mov_b32 s22, exec_lo
	v_cmpx_ne_u32_e32 0x7f, v13
	s_cbranch_execz .LBB216_3364
; %bb.3361:                             ;   in Loop: Header=BB216_2083 Depth=1
	v_and_b32_sdwa v8, v6, v77 dst_sel:DWORD dst_unused:UNUSED_PAD src0_sel:WORD_1 src1_sel:DWORD
	v_mov_b32_e32 v26, v9
	v_lshrrev_b32_e32 v7, 3, v13
	s_mov_b32 s23, exec_lo
	v_mov_b32_e32 v25, v8
	v_cmpx_gt_u32_e32 8, v13
; %bb.3362:                             ;   in Loop: Header=BB216_2083 Depth=1
	v_ffbh_u32_e32 v7, v8
	v_min_u32_e32 v7, 32, v7
	v_subrev_nc_u32_e32 v13, 28, v7
	v_sub_nc_u32_e32 v7, 29, v7
	v_lshlrev_b64 v[25:26], v13, v[8:9]
	v_and_b32_e32 v25, 7, v25
; %bb.3363:                             ;   in Loop: Header=BB216_2083 Depth=1
	s_or_b32 exec_lo, exec_lo, s23
	v_lshlrev_b32_sdwa v8, v78, v6 dst_sel:DWORD dst_unused:UNUSED_PAD src0_sel:DWORD src1_sel:WORD_1
	v_lshlrev_b32_e32 v13, 20, v25
	v_lshl_add_u32 v7, v7, 23, 0x3c000000
	v_and_b32_e32 v8, 0x80000000, v8
	v_or3_b32 v8, v13, v8, v7
	v_mov_b32_e32 v26, v9
	v_mov_b32_e32 v25, v8
.LBB216_3364:                           ;   in Loop: Header=BB216_2083 Depth=1
	s_or_b32 exec_lo, exec_lo, s22
.LBB216_3365:                           ;   in Loop: Header=BB216_2083 Depth=1
	s_or_b32 exec_lo, exec_lo, s21
.LBB216_3366:                           ;   in Loop: Header=BB216_2083 Depth=1
	s_or_b32 exec_lo, exec_lo, s20
	s_mov_b32 s20, exec_lo
	v_cmpx_lt_u32_e32 0xffffff, v6
	s_cbranch_execz .LBB216_3374
; %bb.3367:                             ;   in Loop: Header=BB216_2083 Depth=1
	v_mov_b32_e32 v11, v9
	v_cmp_ne_u32_sdwa s8, v6, v74 src0_sel:BYTE_3 src1_sel:DWORD
	v_mov_b32_e32 v10, v11
	v_mov_b32_e32 v11, v12
	s_and_saveexec_b32 s21, s8
	s_cbranch_execz .LBB216_3373
; %bb.3368:                             ;   in Loop: Header=BB216_2083 Depth=1
	v_mov_b32_e32 v13, v9
	v_bfe_u32 v30, v6, 24, 7
	s_mov_b32 s22, exec_lo
	v_mov_b32_e32 v10, v13
	v_mov_b32_e32 v11, v14
	v_cmpx_ne_u32_e32 0x7f, v30
	s_cbranch_execz .LBB216_3372
; %bb.3369:                             ;   in Loop: Header=BB216_2083 Depth=1
	v_and_b32_sdwa v8, v6, v77 dst_sel:DWORD dst_unused:UNUSED_PAD src0_sel:BYTE_3 src1_sel:DWORD
	v_mov_b32_e32 v11, v9
	v_lshrrev_b32_e32 v7, 3, v30
	s_mov_b32 s23, exec_lo
	v_mov_b32_e32 v10, v8
	v_cmpx_gt_u32_e32 8, v30
; %bb.3370:                             ;   in Loop: Header=BB216_2083 Depth=1
	v_ffbh_u32_e32 v7, v8
	v_min_u32_e32 v7, 32, v7
	v_subrev_nc_u32_e32 v10, 28, v7
	v_sub_nc_u32_e32 v7, 29, v7
	v_lshlrev_b64 v[10:11], v10, v[8:9]
	v_and_b32_e32 v10, 7, v10
; %bb.3371:                             ;   in Loop: Header=BB216_2083 Depth=1
	s_or_b32 exec_lo, exec_lo, s23
	v_lshlrev_b32_sdwa v6, v78, v6 dst_sel:DWORD dst_unused:UNUSED_PAD src0_sel:DWORD src1_sel:BYTE_3
	v_lshlrev_b32_e32 v8, 20, v10
	v_lshl_add_u32 v7, v7, 23, 0x3c000000
	v_mov_b32_e32 v10, v9
	v_and_b32_e32 v6, 0x80000000, v6
	v_or3_b32 v11, v8, v6, v7
.LBB216_3372:                           ;   in Loop: Header=BB216_2083 Depth=1
	s_or_b32 exec_lo, exec_lo, s22
.LBB216_3373:                           ;   in Loop: Header=BB216_2083 Depth=1
	s_or_b32 exec_lo, exec_lo, s21
.LBB216_3374:                           ;   in Loop: Header=BB216_2083 Depth=1
	s_or_b32 exec_lo, exec_lo, s20
	v_or_b32_e32 v6, v24, v22
	v_or_b32_e32 v7, v23, v21
	;; [unrolled: 1-line block ×4, first 2 shown]
	v_mul_f32_e32 v6, v106, v6
	buffer_store_dword v6, off, s[0:3], s32 offset:1428 ; 4-byte Folded Spill
	v_mul_f32_e32 v6, v106, v7
	buffer_store_dword v6, off, s[0:3], s32 offset:1420 ; 4-byte Folded Spill
	;; [unrolled: 2-line block ×4, first 2 shown]
	s_and_saveexec_b32 s8, s7
	s_cbranch_execz .LBB216_3376
; %bb.3375:                             ;   in Loop: Header=BB216_2083 Depth=1
	buffer_load_dword v6, off, s[0:3], s32 offset:1420 ; 4-byte Folded Reload
	s_waitcnt vmcnt(0)
	v_cndmask_b32_e32 v6, 0, v6, vcc_lo
	buffer_store_dword v6, off, s[0:3], s32 offset:1420 ; 4-byte Folded Spill
	buffer_load_dword v6, off, s[0:3], s32 offset:1428 ; 4-byte Folded Reload
	s_waitcnt vmcnt(0)
	v_cndmask_b32_e64 v6, 0, v6, s4
	buffer_store_dword v6, off, s[0:3], s32 offset:1428 ; 4-byte Folded Spill
	buffer_load_dword v6, off, s[0:3], s32 offset:1412 ; 4-byte Folded Reload
	s_waitcnt vmcnt(0)
	v_cndmask_b32_e64 v6, 0, v6, s5
	;; [unrolled: 4-line block ×3, first 2 shown]
	buffer_store_dword v6, off, s[0:3], s32 offset:1404 ; 4-byte Folded Spill
.LBB216_3376:                           ;   in Loop: Header=BB216_2083 Depth=1
	s_or_b32 exec_lo, exec_lo, s8
	flat_load_dword v6, v[19:20] offset:768
	v_mov_b32_e32 v23, 0
	v_mov_b32_e32 v21, 0
	;; [unrolled: 1-line block ×4, first 2 shown]
	s_waitcnt vmcnt(0) lgkmcnt(0)
	v_cmp_ne_u16_sdwa s8, v6, v9 src0_sel:BYTE_0 src1_sel:DWORD
	s_and_saveexec_b32 s20, s8
	s_cbranch_execz .LBB216_3384
; %bb.3377:                             ;   in Loop: Header=BB216_2083 Depth=1
	v_bfrev_b32_e32 v21, 1
	v_mov_b32_e32 v22, 0
	v_cmp_ne_u16_sdwa s8, v6, v74 src0_sel:BYTE_0 src1_sel:DWORD
	s_and_saveexec_b32 s21, s8
	s_cbranch_execz .LBB216_3383
; %bb.3378:                             ;   in Loop: Header=BB216_2083 Depth=1
	v_mov_b32_e32 v21, 0x7f800001
	v_and_b32_e32 v10, 0x7f, v6
	v_mov_b32_e32 v22, 0
	s_mov_b32 s22, exec_lo
	v_cmpx_ne_u32_e32 0x7f, v10
	s_cbranch_execz .LBB216_3382
; %bb.3379:                             ;   in Loop: Header=BB216_2083 Depth=1
	v_and_b32_e32 v8, 7, v6
	v_lshrrev_b32_e32 v7, 3, v10
	v_cmp_gt_u32_e64 s8, 8, v10
	v_mov_b32_e32 v11, v9
	v_mov_b32_e32 v10, v8
	s_and_saveexec_b32 s23, s8
; %bb.3380:                             ;   in Loop: Header=BB216_2083 Depth=1
	v_ffbh_u32_e32 v7, v8
	v_min_u32_e32 v7, 32, v7
	v_subrev_nc_u32_e32 v10, 28, v7
	v_sub_nc_u32_e32 v7, 29, v7
	v_lshlrev_b64 v[10:11], v10, v[8:9]
	v_and_b32_e32 v10, 7, v10
; %bb.3381:                             ;   in Loop: Header=BB216_2083 Depth=1
	s_or_b32 exec_lo, exec_lo, s23
	v_lshlrev_b32_e32 v8, 24, v6
	v_lshlrev_b32_e32 v10, 20, v10
	v_lshl_add_u32 v7, v7, 23, 0x3c000000
	v_and_b32_e32 v8, 0x80000000, v8
	v_or3_b32 v8, v10, v8, v7
	v_mov_b32_e32 v22, v9
	v_mov_b32_e32 v21, v8
.LBB216_3382:                           ;   in Loop: Header=BB216_2083 Depth=1
	s_or_b32 exec_lo, exec_lo, s22
.LBB216_3383:                           ;   in Loop: Header=BB216_2083 Depth=1
	s_or_b32 exec_lo, exec_lo, s21
.LBB216_3384:                           ;   in Loop: Header=BB216_2083 Depth=1
	s_or_b32 exec_lo, exec_lo, s20
	v_cmp_ne_u16_sdwa s8, v6, v9 src0_sel:BYTE_1 src1_sel:DWORD
	s_and_saveexec_b32 s20, s8
	s_cbranch_execz .LBB216_3392
; %bb.3385:                             ;   in Loop: Header=BB216_2083 Depth=1
	v_mov_b32_e32 v11, v9
	v_mov_b32_e32 v24, v12
	v_cmp_ne_u16_sdwa s8, v6, v74 src0_sel:BYTE_1 src1_sel:DWORD
	v_mov_b32_e32 v23, v11
	s_and_saveexec_b32 s21, s8
	s_cbranch_execz .LBB216_3391
; %bb.3386:                             ;   in Loop: Header=BB216_2083 Depth=1
	v_and_b32_sdwa v7, v75, v6 dst_sel:DWORD dst_unused:UNUSED_PAD src0_sel:DWORD src1_sel:BYTE_1
	v_mov_b32_e32 v13, v9
	v_mov_b32_e32 v24, v14
	s_mov_b32 s22, exec_lo
	v_and_b32_e32 v10, 0x7f, v7
	v_mov_b32_e32 v23, v13
	v_cmpx_ne_u32_e32 0x7f, v10
	s_cbranch_execz .LBB216_3390
; %bb.3387:                             ;   in Loop: Header=BB216_2083 Depth=1
	v_and_b32_e32 v8, 7, v7
	v_lshrrev_b32_e32 v7, 3, v10
	v_cmp_gt_u32_e64 s8, 8, v10
	v_mov_b32_e32 v11, v9
	v_mov_b32_e32 v10, v8
	s_and_saveexec_b32 s23, s8
; %bb.3388:                             ;   in Loop: Header=BB216_2083 Depth=1
	v_ffbh_u32_e32 v7, v8
	v_min_u32_e32 v7, 32, v7
	v_subrev_nc_u32_e32 v10, 28, v7
	v_sub_nc_u32_e32 v7, 29, v7
	v_lshlrev_b64 v[10:11], v10, v[8:9]
	v_and_b32_e32 v10, 7, v10
; %bb.3389:                             ;   in Loop: Header=BB216_2083 Depth=1
	s_or_b32 exec_lo, exec_lo, s23
	v_lshlrev_b32_e32 v8, 16, v6
	v_lshlrev_b32_e32 v10, 20, v10
	v_lshl_add_u32 v7, v7, 23, 0x3c000000
	v_mov_b32_e32 v23, v9
	v_and_b32_e32 v8, 0x80000000, v8
	v_or3_b32 v24, v10, v8, v7
.LBB216_3390:                           ;   in Loop: Header=BB216_2083 Depth=1
	s_or_b32 exec_lo, exec_lo, s22
.LBB216_3391:                           ;   in Loop: Header=BB216_2083 Depth=1
	s_or_b32 exec_lo, exec_lo, s21
.LBB216_3392:                           ;   in Loop: Header=BB216_2083 Depth=1
	s_or_b32 exec_lo, exec_lo, s20
	v_mov_b32_e32 v10, 0
	v_mov_b32_e32 v25, 0
	v_and_b32_sdwa v7, v6, v76 dst_sel:DWORD dst_unused:UNUSED_PAD src0_sel:WORD_1 src1_sel:DWORD
	v_mov_b32_e32 v11, 0
	v_mov_b32_e32 v26, 0
	s_mov_b32 s20, exec_lo
	v_cmpx_ne_u16_e32 0, v7
	s_cbranch_execz .LBB216_3400
; %bb.3393:                             ;   in Loop: Header=BB216_2083 Depth=1
	v_bfrev_b32_e32 v25, 1
	v_mov_b32_e32 v26, 0
	s_mov_b32 s21, exec_lo
	v_cmpx_ne_u16_e32 0x80, v7
	s_cbranch_execz .LBB216_3399
; %bb.3394:                             ;   in Loop: Header=BB216_2083 Depth=1
	v_mov_b32_e32 v25, 0x7f800001
	v_bfe_u32 v13, v6, 16, 7
	v_mov_b32_e32 v26, 0
	s_mov_b32 s22, exec_lo
	v_cmpx_ne_u32_e32 0x7f, v13
	s_cbranch_execz .LBB216_3398
; %bb.3395:                             ;   in Loop: Header=BB216_2083 Depth=1
	v_and_b32_sdwa v8, v6, v77 dst_sel:DWORD dst_unused:UNUSED_PAD src0_sel:WORD_1 src1_sel:DWORD
	v_mov_b32_e32 v26, v9
	v_lshrrev_b32_e32 v7, 3, v13
	s_mov_b32 s23, exec_lo
	v_mov_b32_e32 v25, v8
	v_cmpx_gt_u32_e32 8, v13
; %bb.3396:                             ;   in Loop: Header=BB216_2083 Depth=1
	v_ffbh_u32_e32 v7, v8
	v_min_u32_e32 v7, 32, v7
	v_subrev_nc_u32_e32 v13, 28, v7
	v_sub_nc_u32_e32 v7, 29, v7
	v_lshlrev_b64 v[25:26], v13, v[8:9]
	v_and_b32_e32 v25, 7, v25
; %bb.3397:                             ;   in Loop: Header=BB216_2083 Depth=1
	s_or_b32 exec_lo, exec_lo, s23
	v_lshlrev_b32_sdwa v8, v78, v6 dst_sel:DWORD dst_unused:UNUSED_PAD src0_sel:DWORD src1_sel:WORD_1
	v_lshlrev_b32_e32 v13, 20, v25
	v_lshl_add_u32 v7, v7, 23, 0x3c000000
	v_and_b32_e32 v8, 0x80000000, v8
	v_or3_b32 v8, v13, v8, v7
	v_mov_b32_e32 v26, v9
	v_mov_b32_e32 v25, v8
.LBB216_3398:                           ;   in Loop: Header=BB216_2083 Depth=1
	s_or_b32 exec_lo, exec_lo, s22
.LBB216_3399:                           ;   in Loop: Header=BB216_2083 Depth=1
	s_or_b32 exec_lo, exec_lo, s21
.LBB216_3400:                           ;   in Loop: Header=BB216_2083 Depth=1
	s_or_b32 exec_lo, exec_lo, s20
	s_mov_b32 s20, exec_lo
	v_cmpx_lt_u32_e32 0xffffff, v6
	s_cbranch_execz .LBB216_3408
; %bb.3401:                             ;   in Loop: Header=BB216_2083 Depth=1
	v_mov_b32_e32 v11, v9
	v_cmp_ne_u32_sdwa s8, v6, v74 src0_sel:BYTE_3 src1_sel:DWORD
	v_mov_b32_e32 v10, v11
	v_mov_b32_e32 v11, v12
	s_and_saveexec_b32 s21, s8
	s_cbranch_execz .LBB216_3407
; %bb.3402:                             ;   in Loop: Header=BB216_2083 Depth=1
	v_mov_b32_e32 v13, v9
	v_bfe_u32 v30, v6, 24, 7
	s_mov_b32 s22, exec_lo
	v_mov_b32_e32 v10, v13
	v_mov_b32_e32 v11, v14
	v_cmpx_ne_u32_e32 0x7f, v30
	s_cbranch_execz .LBB216_3406
; %bb.3403:                             ;   in Loop: Header=BB216_2083 Depth=1
	v_and_b32_sdwa v8, v6, v77 dst_sel:DWORD dst_unused:UNUSED_PAD src0_sel:BYTE_3 src1_sel:DWORD
	v_mov_b32_e32 v11, v9
	v_lshrrev_b32_e32 v7, 3, v30
	s_mov_b32 s23, exec_lo
	v_mov_b32_e32 v10, v8
	v_cmpx_gt_u32_e32 8, v30
; %bb.3404:                             ;   in Loop: Header=BB216_2083 Depth=1
	v_ffbh_u32_e32 v7, v8
	v_min_u32_e32 v7, 32, v7
	v_subrev_nc_u32_e32 v10, 28, v7
	v_sub_nc_u32_e32 v7, 29, v7
	v_lshlrev_b64 v[10:11], v10, v[8:9]
	v_and_b32_e32 v10, 7, v10
; %bb.3405:                             ;   in Loop: Header=BB216_2083 Depth=1
	s_or_b32 exec_lo, exec_lo, s23
	v_lshlrev_b32_sdwa v6, v78, v6 dst_sel:DWORD dst_unused:UNUSED_PAD src0_sel:DWORD src1_sel:BYTE_3
	v_lshlrev_b32_e32 v8, 20, v10
	v_lshl_add_u32 v7, v7, 23, 0x3c000000
	v_mov_b32_e32 v10, v9
	v_and_b32_e32 v6, 0x80000000, v6
	v_or3_b32 v11, v8, v6, v7
.LBB216_3406:                           ;   in Loop: Header=BB216_2083 Depth=1
	s_or_b32 exec_lo, exec_lo, s22
.LBB216_3407:                           ;   in Loop: Header=BB216_2083 Depth=1
	s_or_b32 exec_lo, exec_lo, s21
.LBB216_3408:                           ;   in Loop: Header=BB216_2083 Depth=1
	s_or_b32 exec_lo, exec_lo, s20
	v_or_b32_e32 v6, v24, v22
	v_or_b32_e32 v7, v23, v21
	;; [unrolled: 1-line block ×4, first 2 shown]
	v_mul_f32_e32 v6, v106, v6
	buffer_store_dword v6, off, s[0:3], s32 offset:1460 ; 4-byte Folded Spill
	v_mul_f32_e32 v6, v106, v7
	buffer_store_dword v6, off, s[0:3], s32 offset:1452 ; 4-byte Folded Spill
	;; [unrolled: 2-line block ×4, first 2 shown]
	s_and_saveexec_b32 s8, s7
	s_cbranch_execz .LBB216_3410
; %bb.3409:                             ;   in Loop: Header=BB216_2083 Depth=1
	buffer_load_dword v6, off, s[0:3], s32 offset:1452 ; 4-byte Folded Reload
	s_waitcnt vmcnt(0)
	v_cndmask_b32_e32 v6, 0, v6, vcc_lo
	buffer_store_dword v6, off, s[0:3], s32 offset:1452 ; 4-byte Folded Spill
	buffer_load_dword v6, off, s[0:3], s32 offset:1460 ; 4-byte Folded Reload
	s_waitcnt vmcnt(0)
	v_cndmask_b32_e64 v6, 0, v6, s4
	buffer_store_dword v6, off, s[0:3], s32 offset:1460 ; 4-byte Folded Spill
	buffer_load_dword v6, off, s[0:3], s32 offset:1444 ; 4-byte Folded Reload
	s_waitcnt vmcnt(0)
	v_cndmask_b32_e64 v6, 0, v6, s5
	;; [unrolled: 4-line block ×3, first 2 shown]
	buffer_store_dword v6, off, s[0:3], s32 offset:1436 ; 4-byte Folded Spill
.LBB216_3410:                           ;   in Loop: Header=BB216_2083 Depth=1
	s_or_b32 exec_lo, exec_lo, s8
	flat_load_dword v6, v[19:20] offset:896
	v_mov_b32_e32 v23, 0
	v_mov_b32_e32 v21, 0
	;; [unrolled: 1-line block ×4, first 2 shown]
	s_waitcnt vmcnt(0) lgkmcnt(0)
	v_cmp_ne_u16_sdwa s8, v6, v9 src0_sel:BYTE_0 src1_sel:DWORD
	s_and_saveexec_b32 s20, s8
	s_cbranch_execz .LBB216_3418
; %bb.3411:                             ;   in Loop: Header=BB216_2083 Depth=1
	v_bfrev_b32_e32 v21, 1
	v_mov_b32_e32 v22, 0
	v_cmp_ne_u16_sdwa s8, v6, v74 src0_sel:BYTE_0 src1_sel:DWORD
	s_and_saveexec_b32 s21, s8
	s_cbranch_execz .LBB216_3417
; %bb.3412:                             ;   in Loop: Header=BB216_2083 Depth=1
	v_mov_b32_e32 v21, 0x7f800001
	v_and_b32_e32 v10, 0x7f, v6
	v_mov_b32_e32 v22, 0
	s_mov_b32 s22, exec_lo
	v_cmpx_ne_u32_e32 0x7f, v10
	s_cbranch_execz .LBB216_3416
; %bb.3413:                             ;   in Loop: Header=BB216_2083 Depth=1
	v_and_b32_e32 v8, 7, v6
	v_lshrrev_b32_e32 v7, 3, v10
	v_cmp_gt_u32_e64 s8, 8, v10
	v_mov_b32_e32 v11, v9
	v_mov_b32_e32 v10, v8
	s_and_saveexec_b32 s23, s8
; %bb.3414:                             ;   in Loop: Header=BB216_2083 Depth=1
	v_ffbh_u32_e32 v7, v8
	v_min_u32_e32 v7, 32, v7
	v_subrev_nc_u32_e32 v10, 28, v7
	v_sub_nc_u32_e32 v7, 29, v7
	v_lshlrev_b64 v[10:11], v10, v[8:9]
	v_and_b32_e32 v10, 7, v10
; %bb.3415:                             ;   in Loop: Header=BB216_2083 Depth=1
	s_or_b32 exec_lo, exec_lo, s23
	v_lshlrev_b32_e32 v8, 24, v6
	v_lshlrev_b32_e32 v10, 20, v10
	v_lshl_add_u32 v7, v7, 23, 0x3c000000
	v_and_b32_e32 v8, 0x80000000, v8
	v_or3_b32 v8, v10, v8, v7
	v_mov_b32_e32 v22, v9
	v_mov_b32_e32 v21, v8
.LBB216_3416:                           ;   in Loop: Header=BB216_2083 Depth=1
	s_or_b32 exec_lo, exec_lo, s22
.LBB216_3417:                           ;   in Loop: Header=BB216_2083 Depth=1
	s_or_b32 exec_lo, exec_lo, s21
.LBB216_3418:                           ;   in Loop: Header=BB216_2083 Depth=1
	s_or_b32 exec_lo, exec_lo, s20
	v_cmp_ne_u16_sdwa s8, v6, v9 src0_sel:BYTE_1 src1_sel:DWORD
	s_and_saveexec_b32 s20, s8
	s_cbranch_execz .LBB216_3426
; %bb.3419:                             ;   in Loop: Header=BB216_2083 Depth=1
	v_mov_b32_e32 v11, v9
	v_mov_b32_e32 v24, v12
	v_cmp_ne_u16_sdwa s8, v6, v74 src0_sel:BYTE_1 src1_sel:DWORD
	v_mov_b32_e32 v23, v11
	s_and_saveexec_b32 s21, s8
	s_cbranch_execz .LBB216_3425
; %bb.3420:                             ;   in Loop: Header=BB216_2083 Depth=1
	v_and_b32_sdwa v7, v75, v6 dst_sel:DWORD dst_unused:UNUSED_PAD src0_sel:DWORD src1_sel:BYTE_1
	v_mov_b32_e32 v13, v9
	v_mov_b32_e32 v24, v14
	s_mov_b32 s22, exec_lo
	v_and_b32_e32 v10, 0x7f, v7
	v_mov_b32_e32 v23, v13
	v_cmpx_ne_u32_e32 0x7f, v10
	s_cbranch_execz .LBB216_3424
; %bb.3421:                             ;   in Loop: Header=BB216_2083 Depth=1
	v_and_b32_e32 v8, 7, v7
	v_lshrrev_b32_e32 v7, 3, v10
	v_cmp_gt_u32_e64 s8, 8, v10
	v_mov_b32_e32 v11, v9
	v_mov_b32_e32 v10, v8
	s_and_saveexec_b32 s23, s8
; %bb.3422:                             ;   in Loop: Header=BB216_2083 Depth=1
	v_ffbh_u32_e32 v7, v8
	v_min_u32_e32 v7, 32, v7
	v_subrev_nc_u32_e32 v10, 28, v7
	v_sub_nc_u32_e32 v7, 29, v7
	v_lshlrev_b64 v[10:11], v10, v[8:9]
	v_and_b32_e32 v10, 7, v10
; %bb.3423:                             ;   in Loop: Header=BB216_2083 Depth=1
	s_or_b32 exec_lo, exec_lo, s23
	v_lshlrev_b32_e32 v8, 16, v6
	v_lshlrev_b32_e32 v10, 20, v10
	v_lshl_add_u32 v7, v7, 23, 0x3c000000
	v_mov_b32_e32 v23, v9
	v_and_b32_e32 v8, 0x80000000, v8
	v_or3_b32 v24, v10, v8, v7
.LBB216_3424:                           ;   in Loop: Header=BB216_2083 Depth=1
	s_or_b32 exec_lo, exec_lo, s22
.LBB216_3425:                           ;   in Loop: Header=BB216_2083 Depth=1
	s_or_b32 exec_lo, exec_lo, s21
.LBB216_3426:                           ;   in Loop: Header=BB216_2083 Depth=1
	s_or_b32 exec_lo, exec_lo, s20
	v_mov_b32_e32 v10, 0
	v_mov_b32_e32 v25, 0
	v_and_b32_sdwa v7, v6, v76 dst_sel:DWORD dst_unused:UNUSED_PAD src0_sel:WORD_1 src1_sel:DWORD
	v_mov_b32_e32 v11, 0
	v_mov_b32_e32 v26, 0
	s_mov_b32 s20, exec_lo
	v_cmpx_ne_u16_e32 0, v7
	s_cbranch_execz .LBB216_3434
; %bb.3427:                             ;   in Loop: Header=BB216_2083 Depth=1
	v_bfrev_b32_e32 v25, 1
	v_mov_b32_e32 v26, 0
	s_mov_b32 s21, exec_lo
	v_cmpx_ne_u16_e32 0x80, v7
	s_cbranch_execz .LBB216_3433
; %bb.3428:                             ;   in Loop: Header=BB216_2083 Depth=1
	v_mov_b32_e32 v25, 0x7f800001
	v_bfe_u32 v13, v6, 16, 7
	v_mov_b32_e32 v26, 0
	s_mov_b32 s22, exec_lo
	v_cmpx_ne_u32_e32 0x7f, v13
	s_cbranch_execz .LBB216_3432
; %bb.3429:                             ;   in Loop: Header=BB216_2083 Depth=1
	v_and_b32_sdwa v8, v6, v77 dst_sel:DWORD dst_unused:UNUSED_PAD src0_sel:WORD_1 src1_sel:DWORD
	v_mov_b32_e32 v26, v9
	v_lshrrev_b32_e32 v7, 3, v13
	s_mov_b32 s23, exec_lo
	v_mov_b32_e32 v25, v8
	v_cmpx_gt_u32_e32 8, v13
; %bb.3430:                             ;   in Loop: Header=BB216_2083 Depth=1
	v_ffbh_u32_e32 v7, v8
	v_min_u32_e32 v7, 32, v7
	v_subrev_nc_u32_e32 v13, 28, v7
	v_sub_nc_u32_e32 v7, 29, v7
	v_lshlrev_b64 v[25:26], v13, v[8:9]
	v_and_b32_e32 v25, 7, v25
; %bb.3431:                             ;   in Loop: Header=BB216_2083 Depth=1
	s_or_b32 exec_lo, exec_lo, s23
	v_lshlrev_b32_sdwa v8, v78, v6 dst_sel:DWORD dst_unused:UNUSED_PAD src0_sel:DWORD src1_sel:WORD_1
	v_lshlrev_b32_e32 v13, 20, v25
	v_lshl_add_u32 v7, v7, 23, 0x3c000000
	v_and_b32_e32 v8, 0x80000000, v8
	v_or3_b32 v8, v13, v8, v7
	v_mov_b32_e32 v26, v9
	v_mov_b32_e32 v25, v8
.LBB216_3432:                           ;   in Loop: Header=BB216_2083 Depth=1
	s_or_b32 exec_lo, exec_lo, s22
.LBB216_3433:                           ;   in Loop: Header=BB216_2083 Depth=1
	s_or_b32 exec_lo, exec_lo, s21
.LBB216_3434:                           ;   in Loop: Header=BB216_2083 Depth=1
	s_or_b32 exec_lo, exec_lo, s20
	s_mov_b32 s20, exec_lo
	v_cmpx_lt_u32_e32 0xffffff, v6
	s_cbranch_execz .LBB216_3442
; %bb.3435:                             ;   in Loop: Header=BB216_2083 Depth=1
	v_mov_b32_e32 v11, v9
	v_cmp_ne_u32_sdwa s8, v6, v74 src0_sel:BYTE_3 src1_sel:DWORD
	v_mov_b32_e32 v10, v11
	v_mov_b32_e32 v11, v12
	s_and_saveexec_b32 s21, s8
	s_cbranch_execz .LBB216_3441
; %bb.3436:                             ;   in Loop: Header=BB216_2083 Depth=1
	v_mov_b32_e32 v13, v9
	v_bfe_u32 v30, v6, 24, 7
	s_mov_b32 s22, exec_lo
	v_mov_b32_e32 v10, v13
	v_mov_b32_e32 v11, v14
	v_cmpx_ne_u32_e32 0x7f, v30
	s_cbranch_execz .LBB216_3440
; %bb.3437:                             ;   in Loop: Header=BB216_2083 Depth=1
	v_and_b32_sdwa v8, v6, v77 dst_sel:DWORD dst_unused:UNUSED_PAD src0_sel:BYTE_3 src1_sel:DWORD
	v_mov_b32_e32 v11, v9
	v_lshrrev_b32_e32 v7, 3, v30
	s_mov_b32 s23, exec_lo
	v_mov_b32_e32 v10, v8
	v_cmpx_gt_u32_e32 8, v30
; %bb.3438:                             ;   in Loop: Header=BB216_2083 Depth=1
	v_ffbh_u32_e32 v7, v8
	v_min_u32_e32 v7, 32, v7
	v_subrev_nc_u32_e32 v10, 28, v7
	v_sub_nc_u32_e32 v7, 29, v7
	v_lshlrev_b64 v[10:11], v10, v[8:9]
	v_and_b32_e32 v10, 7, v10
; %bb.3439:                             ;   in Loop: Header=BB216_2083 Depth=1
	s_or_b32 exec_lo, exec_lo, s23
	v_lshlrev_b32_sdwa v6, v78, v6 dst_sel:DWORD dst_unused:UNUSED_PAD src0_sel:DWORD src1_sel:BYTE_3
	v_lshlrev_b32_e32 v8, 20, v10
	v_lshl_add_u32 v7, v7, 23, 0x3c000000
	v_mov_b32_e32 v10, v9
	v_and_b32_e32 v6, 0x80000000, v6
	v_or3_b32 v11, v8, v6, v7
.LBB216_3440:                           ;   in Loop: Header=BB216_2083 Depth=1
	s_or_b32 exec_lo, exec_lo, s22
.LBB216_3441:                           ;   in Loop: Header=BB216_2083 Depth=1
	s_or_b32 exec_lo, exec_lo, s21
.LBB216_3442:                           ;   in Loop: Header=BB216_2083 Depth=1
	s_or_b32 exec_lo, exec_lo, s20
	v_or_b32_e32 v6, v24, v22
	v_or_b32_e32 v7, v23, v21
	;; [unrolled: 1-line block ×4, first 2 shown]
	v_mul_f32_e32 v113, v106, v6
	v_mul_f32_e32 v112, v106, v7
	;; [unrolled: 1-line block ×4, first 2 shown]
	s_and_saveexec_b32 s8, s7
; %bb.3443:                             ;   in Loop: Header=BB216_2083 Depth=1
	v_cndmask_b32_e32 v112, 0, v112, vcc_lo
	v_cndmask_b32_e64 v113, 0, v113, s4
	v_cndmask_b32_e64 v103, 0, v103, s5
	;; [unrolled: 1-line block ×3, first 2 shown]
; %bb.3444:                             ;   in Loop: Header=BB216_2083 Depth=1
	s_or_b32 exec_lo, exec_lo, s8
	flat_load_dword v6, v[19:20] offset:1024
	v_mov_b32_e32 v23, 0
	v_mov_b32_e32 v21, 0
	v_mov_b32_e32 v24, 0
	v_mov_b32_e32 v22, 0
	s_waitcnt vmcnt(0) lgkmcnt(0)
	v_cmp_ne_u16_sdwa s8, v6, v9 src0_sel:BYTE_0 src1_sel:DWORD
	s_and_saveexec_b32 s20, s8
	s_cbranch_execz .LBB216_3452
; %bb.3445:                             ;   in Loop: Header=BB216_2083 Depth=1
	v_bfrev_b32_e32 v21, 1
	v_mov_b32_e32 v22, 0
	v_cmp_ne_u16_sdwa s8, v6, v74 src0_sel:BYTE_0 src1_sel:DWORD
	s_and_saveexec_b32 s21, s8
	s_cbranch_execz .LBB216_3451
; %bb.3446:                             ;   in Loop: Header=BB216_2083 Depth=1
	v_mov_b32_e32 v21, 0x7f800001
	v_and_b32_e32 v10, 0x7f, v6
	v_mov_b32_e32 v22, 0
	s_mov_b32 s22, exec_lo
	v_cmpx_ne_u32_e32 0x7f, v10
	s_cbranch_execz .LBB216_3450
; %bb.3447:                             ;   in Loop: Header=BB216_2083 Depth=1
	v_and_b32_e32 v8, 7, v6
	v_lshrrev_b32_e32 v7, 3, v10
	v_cmp_gt_u32_e64 s8, 8, v10
	v_mov_b32_e32 v11, v9
	v_mov_b32_e32 v10, v8
	s_and_saveexec_b32 s23, s8
; %bb.3448:                             ;   in Loop: Header=BB216_2083 Depth=1
	v_ffbh_u32_e32 v7, v8
	v_min_u32_e32 v7, 32, v7
	v_subrev_nc_u32_e32 v10, 28, v7
	v_sub_nc_u32_e32 v7, 29, v7
	v_lshlrev_b64 v[10:11], v10, v[8:9]
	v_and_b32_e32 v10, 7, v10
; %bb.3449:                             ;   in Loop: Header=BB216_2083 Depth=1
	s_or_b32 exec_lo, exec_lo, s23
	v_lshlrev_b32_e32 v8, 24, v6
	v_lshlrev_b32_e32 v10, 20, v10
	v_lshl_add_u32 v7, v7, 23, 0x3c000000
	v_and_b32_e32 v8, 0x80000000, v8
	v_or3_b32 v8, v10, v8, v7
	v_mov_b32_e32 v22, v9
	v_mov_b32_e32 v21, v8
.LBB216_3450:                           ;   in Loop: Header=BB216_2083 Depth=1
	s_or_b32 exec_lo, exec_lo, s22
.LBB216_3451:                           ;   in Loop: Header=BB216_2083 Depth=1
	s_or_b32 exec_lo, exec_lo, s21
.LBB216_3452:                           ;   in Loop: Header=BB216_2083 Depth=1
	s_or_b32 exec_lo, exec_lo, s20
	v_cmp_ne_u16_sdwa s8, v6, v9 src0_sel:BYTE_1 src1_sel:DWORD
	s_and_saveexec_b32 s20, s8
	s_cbranch_execz .LBB216_3460
; %bb.3453:                             ;   in Loop: Header=BB216_2083 Depth=1
	v_mov_b32_e32 v11, v9
	v_mov_b32_e32 v24, v12
	v_cmp_ne_u16_sdwa s8, v6, v74 src0_sel:BYTE_1 src1_sel:DWORD
	v_mov_b32_e32 v23, v11
	s_and_saveexec_b32 s21, s8
	s_cbranch_execz .LBB216_3459
; %bb.3454:                             ;   in Loop: Header=BB216_2083 Depth=1
	v_and_b32_sdwa v7, v75, v6 dst_sel:DWORD dst_unused:UNUSED_PAD src0_sel:DWORD src1_sel:BYTE_1
	v_mov_b32_e32 v13, v9
	v_mov_b32_e32 v24, v14
	s_mov_b32 s22, exec_lo
	v_and_b32_e32 v10, 0x7f, v7
	v_mov_b32_e32 v23, v13
	v_cmpx_ne_u32_e32 0x7f, v10
	s_cbranch_execz .LBB216_3458
; %bb.3455:                             ;   in Loop: Header=BB216_2083 Depth=1
	v_and_b32_e32 v8, 7, v7
	v_lshrrev_b32_e32 v7, 3, v10
	v_cmp_gt_u32_e64 s8, 8, v10
	v_mov_b32_e32 v11, v9
	v_mov_b32_e32 v10, v8
	s_and_saveexec_b32 s23, s8
; %bb.3456:                             ;   in Loop: Header=BB216_2083 Depth=1
	v_ffbh_u32_e32 v7, v8
	v_min_u32_e32 v7, 32, v7
	v_subrev_nc_u32_e32 v10, 28, v7
	v_sub_nc_u32_e32 v7, 29, v7
	v_lshlrev_b64 v[10:11], v10, v[8:9]
	v_and_b32_e32 v10, 7, v10
; %bb.3457:                             ;   in Loop: Header=BB216_2083 Depth=1
	s_or_b32 exec_lo, exec_lo, s23
	v_lshlrev_b32_e32 v8, 16, v6
	v_lshlrev_b32_e32 v10, 20, v10
	v_lshl_add_u32 v7, v7, 23, 0x3c000000
	v_mov_b32_e32 v23, v9
	v_and_b32_e32 v8, 0x80000000, v8
	v_or3_b32 v24, v10, v8, v7
.LBB216_3458:                           ;   in Loop: Header=BB216_2083 Depth=1
	s_or_b32 exec_lo, exec_lo, s22
.LBB216_3459:                           ;   in Loop: Header=BB216_2083 Depth=1
	s_or_b32 exec_lo, exec_lo, s21
.LBB216_3460:                           ;   in Loop: Header=BB216_2083 Depth=1
	s_or_b32 exec_lo, exec_lo, s20
	v_mov_b32_e32 v10, 0
	v_mov_b32_e32 v25, 0
	v_and_b32_sdwa v7, v6, v76 dst_sel:DWORD dst_unused:UNUSED_PAD src0_sel:WORD_1 src1_sel:DWORD
	v_mov_b32_e32 v11, 0
	v_mov_b32_e32 v26, 0
	s_mov_b32 s20, exec_lo
	v_cmpx_ne_u16_e32 0, v7
	s_cbranch_execz .LBB216_3468
; %bb.3461:                             ;   in Loop: Header=BB216_2083 Depth=1
	v_bfrev_b32_e32 v25, 1
	v_mov_b32_e32 v26, 0
	s_mov_b32 s21, exec_lo
	v_cmpx_ne_u16_e32 0x80, v7
	s_cbranch_execz .LBB216_3467
; %bb.3462:                             ;   in Loop: Header=BB216_2083 Depth=1
	v_mov_b32_e32 v25, 0x7f800001
	v_bfe_u32 v13, v6, 16, 7
	v_mov_b32_e32 v26, 0
	s_mov_b32 s22, exec_lo
	v_cmpx_ne_u32_e32 0x7f, v13
	s_cbranch_execz .LBB216_3466
; %bb.3463:                             ;   in Loop: Header=BB216_2083 Depth=1
	v_and_b32_sdwa v8, v6, v77 dst_sel:DWORD dst_unused:UNUSED_PAD src0_sel:WORD_1 src1_sel:DWORD
	v_mov_b32_e32 v26, v9
	v_lshrrev_b32_e32 v7, 3, v13
	s_mov_b32 s23, exec_lo
	v_mov_b32_e32 v25, v8
	v_cmpx_gt_u32_e32 8, v13
; %bb.3464:                             ;   in Loop: Header=BB216_2083 Depth=1
	v_ffbh_u32_e32 v7, v8
	v_min_u32_e32 v7, 32, v7
	v_subrev_nc_u32_e32 v13, 28, v7
	v_sub_nc_u32_e32 v7, 29, v7
	v_lshlrev_b64 v[25:26], v13, v[8:9]
	v_and_b32_e32 v25, 7, v25
; %bb.3465:                             ;   in Loop: Header=BB216_2083 Depth=1
	s_or_b32 exec_lo, exec_lo, s23
	v_lshlrev_b32_sdwa v8, v78, v6 dst_sel:DWORD dst_unused:UNUSED_PAD src0_sel:DWORD src1_sel:WORD_1
	v_lshlrev_b32_e32 v13, 20, v25
	v_lshl_add_u32 v7, v7, 23, 0x3c000000
	v_and_b32_e32 v8, 0x80000000, v8
	v_or3_b32 v8, v13, v8, v7
	v_mov_b32_e32 v26, v9
	v_mov_b32_e32 v25, v8
.LBB216_3466:                           ;   in Loop: Header=BB216_2083 Depth=1
	s_or_b32 exec_lo, exec_lo, s22
.LBB216_3467:                           ;   in Loop: Header=BB216_2083 Depth=1
	s_or_b32 exec_lo, exec_lo, s21
.LBB216_3468:                           ;   in Loop: Header=BB216_2083 Depth=1
	s_or_b32 exec_lo, exec_lo, s20
	s_mov_b32 s20, exec_lo
	v_cmpx_lt_u32_e32 0xffffff, v6
	s_cbranch_execz .LBB216_3476
; %bb.3469:                             ;   in Loop: Header=BB216_2083 Depth=1
	v_mov_b32_e32 v11, v9
	v_cmp_ne_u32_sdwa s8, v6, v74 src0_sel:BYTE_3 src1_sel:DWORD
	v_mov_b32_e32 v10, v11
	v_mov_b32_e32 v11, v12
	s_and_saveexec_b32 s21, s8
	s_cbranch_execz .LBB216_3475
; %bb.3470:                             ;   in Loop: Header=BB216_2083 Depth=1
	v_mov_b32_e32 v13, v9
	v_bfe_u32 v30, v6, 24, 7
	s_mov_b32 s22, exec_lo
	v_mov_b32_e32 v10, v13
	v_mov_b32_e32 v11, v14
	v_cmpx_ne_u32_e32 0x7f, v30
	s_cbranch_execz .LBB216_3474
; %bb.3471:                             ;   in Loop: Header=BB216_2083 Depth=1
	v_and_b32_sdwa v8, v6, v77 dst_sel:DWORD dst_unused:UNUSED_PAD src0_sel:BYTE_3 src1_sel:DWORD
	v_mov_b32_e32 v11, v9
	v_lshrrev_b32_e32 v7, 3, v30
	s_mov_b32 s23, exec_lo
	v_mov_b32_e32 v10, v8
	v_cmpx_gt_u32_e32 8, v30
; %bb.3472:                             ;   in Loop: Header=BB216_2083 Depth=1
	v_ffbh_u32_e32 v7, v8
	v_min_u32_e32 v7, 32, v7
	v_subrev_nc_u32_e32 v10, 28, v7
	v_sub_nc_u32_e32 v7, 29, v7
	v_lshlrev_b64 v[10:11], v10, v[8:9]
	v_and_b32_e32 v10, 7, v10
; %bb.3473:                             ;   in Loop: Header=BB216_2083 Depth=1
	s_or_b32 exec_lo, exec_lo, s23
	v_lshlrev_b32_sdwa v6, v78, v6 dst_sel:DWORD dst_unused:UNUSED_PAD src0_sel:DWORD src1_sel:BYTE_3
	v_lshlrev_b32_e32 v8, 20, v10
	v_lshl_add_u32 v7, v7, 23, 0x3c000000
	v_mov_b32_e32 v10, v9
	v_and_b32_e32 v6, 0x80000000, v6
	v_or3_b32 v11, v8, v6, v7
.LBB216_3474:                           ;   in Loop: Header=BB216_2083 Depth=1
	s_or_b32 exec_lo, exec_lo, s22
.LBB216_3475:                           ;   in Loop: Header=BB216_2083 Depth=1
	s_or_b32 exec_lo, exec_lo, s21
.LBB216_3476:                           ;   in Loop: Header=BB216_2083 Depth=1
	s_or_b32 exec_lo, exec_lo, s20
	v_or_b32_e32 v6, v24, v22
	v_or_b32_e32 v7, v23, v21
	;; [unrolled: 1-line block ×4, first 2 shown]
	v_mul_f32_e32 v117, v106, v6
	v_mul_f32_e32 v116, v106, v7
	v_mul_f32_e32 v115, v106, v8
	v_mul_f32_e32 v114, v106, v10
	s_and_saveexec_b32 s8, s7
; %bb.3477:                             ;   in Loop: Header=BB216_2083 Depth=1
	v_cndmask_b32_e32 v116, 0, v116, vcc_lo
	v_cndmask_b32_e64 v117, 0, v117, s4
	v_cndmask_b32_e64 v115, 0, v115, s5
	;; [unrolled: 1-line block ×3, first 2 shown]
; %bb.3478:                             ;   in Loop: Header=BB216_2083 Depth=1
	s_or_b32 exec_lo, exec_lo, s8
	flat_load_dword v6, v[19:20] offset:1152
	v_mov_b32_e32 v23, 0
	v_mov_b32_e32 v21, 0
	;; [unrolled: 1-line block ×4, first 2 shown]
	s_waitcnt vmcnt(0) lgkmcnt(0)
	v_cmp_ne_u16_sdwa s8, v6, v9 src0_sel:BYTE_0 src1_sel:DWORD
	s_and_saveexec_b32 s20, s8
	s_cbranch_execz .LBB216_3486
; %bb.3479:                             ;   in Loop: Header=BB216_2083 Depth=1
	v_bfrev_b32_e32 v21, 1
	v_mov_b32_e32 v22, 0
	v_cmp_ne_u16_sdwa s8, v6, v74 src0_sel:BYTE_0 src1_sel:DWORD
	s_and_saveexec_b32 s21, s8
	s_cbranch_execz .LBB216_3485
; %bb.3480:                             ;   in Loop: Header=BB216_2083 Depth=1
	v_mov_b32_e32 v21, 0x7f800001
	v_and_b32_e32 v10, 0x7f, v6
	v_mov_b32_e32 v22, 0
	s_mov_b32 s22, exec_lo
	v_cmpx_ne_u32_e32 0x7f, v10
	s_cbranch_execz .LBB216_3484
; %bb.3481:                             ;   in Loop: Header=BB216_2083 Depth=1
	v_and_b32_e32 v8, 7, v6
	v_lshrrev_b32_e32 v7, 3, v10
	v_cmp_gt_u32_e64 s8, 8, v10
	v_mov_b32_e32 v11, v9
	v_mov_b32_e32 v10, v8
	s_and_saveexec_b32 s23, s8
; %bb.3482:                             ;   in Loop: Header=BB216_2083 Depth=1
	v_ffbh_u32_e32 v7, v8
	v_min_u32_e32 v7, 32, v7
	v_subrev_nc_u32_e32 v10, 28, v7
	v_sub_nc_u32_e32 v7, 29, v7
	v_lshlrev_b64 v[10:11], v10, v[8:9]
	v_and_b32_e32 v10, 7, v10
; %bb.3483:                             ;   in Loop: Header=BB216_2083 Depth=1
	s_or_b32 exec_lo, exec_lo, s23
	v_lshlrev_b32_e32 v8, 24, v6
	v_lshlrev_b32_e32 v10, 20, v10
	v_lshl_add_u32 v7, v7, 23, 0x3c000000
	v_and_b32_e32 v8, 0x80000000, v8
	v_or3_b32 v8, v10, v8, v7
	v_mov_b32_e32 v22, v9
	v_mov_b32_e32 v21, v8
.LBB216_3484:                           ;   in Loop: Header=BB216_2083 Depth=1
	s_or_b32 exec_lo, exec_lo, s22
.LBB216_3485:                           ;   in Loop: Header=BB216_2083 Depth=1
	s_or_b32 exec_lo, exec_lo, s21
.LBB216_3486:                           ;   in Loop: Header=BB216_2083 Depth=1
	s_or_b32 exec_lo, exec_lo, s20
	v_cmp_ne_u16_sdwa s8, v6, v9 src0_sel:BYTE_1 src1_sel:DWORD
	s_and_saveexec_b32 s20, s8
	s_cbranch_execz .LBB216_3494
; %bb.3487:                             ;   in Loop: Header=BB216_2083 Depth=1
	v_mov_b32_e32 v11, v9
	v_mov_b32_e32 v24, v12
	v_cmp_ne_u16_sdwa s8, v6, v74 src0_sel:BYTE_1 src1_sel:DWORD
	v_mov_b32_e32 v23, v11
	s_and_saveexec_b32 s21, s8
	s_cbranch_execz .LBB216_3493
; %bb.3488:                             ;   in Loop: Header=BB216_2083 Depth=1
	v_and_b32_sdwa v7, v75, v6 dst_sel:DWORD dst_unused:UNUSED_PAD src0_sel:DWORD src1_sel:BYTE_1
	v_mov_b32_e32 v13, v9
	v_mov_b32_e32 v24, v14
	s_mov_b32 s22, exec_lo
	v_and_b32_e32 v10, 0x7f, v7
	v_mov_b32_e32 v23, v13
	v_cmpx_ne_u32_e32 0x7f, v10
	s_cbranch_execz .LBB216_3492
; %bb.3489:                             ;   in Loop: Header=BB216_2083 Depth=1
	v_and_b32_e32 v8, 7, v7
	v_lshrrev_b32_e32 v7, 3, v10
	v_cmp_gt_u32_e64 s8, 8, v10
	v_mov_b32_e32 v11, v9
	v_mov_b32_e32 v10, v8
	s_and_saveexec_b32 s23, s8
; %bb.3490:                             ;   in Loop: Header=BB216_2083 Depth=1
	v_ffbh_u32_e32 v7, v8
	v_min_u32_e32 v7, 32, v7
	v_subrev_nc_u32_e32 v10, 28, v7
	v_sub_nc_u32_e32 v7, 29, v7
	v_lshlrev_b64 v[10:11], v10, v[8:9]
	v_and_b32_e32 v10, 7, v10
; %bb.3491:                             ;   in Loop: Header=BB216_2083 Depth=1
	s_or_b32 exec_lo, exec_lo, s23
	v_lshlrev_b32_e32 v8, 16, v6
	v_lshlrev_b32_e32 v10, 20, v10
	v_lshl_add_u32 v7, v7, 23, 0x3c000000
	v_mov_b32_e32 v23, v9
	v_and_b32_e32 v8, 0x80000000, v8
	v_or3_b32 v24, v10, v8, v7
.LBB216_3492:                           ;   in Loop: Header=BB216_2083 Depth=1
	s_or_b32 exec_lo, exec_lo, s22
.LBB216_3493:                           ;   in Loop: Header=BB216_2083 Depth=1
	s_or_b32 exec_lo, exec_lo, s21
.LBB216_3494:                           ;   in Loop: Header=BB216_2083 Depth=1
	s_or_b32 exec_lo, exec_lo, s20
	v_mov_b32_e32 v10, 0
	v_mov_b32_e32 v25, 0
	v_and_b32_sdwa v7, v6, v76 dst_sel:DWORD dst_unused:UNUSED_PAD src0_sel:WORD_1 src1_sel:DWORD
	v_mov_b32_e32 v11, 0
	v_mov_b32_e32 v26, 0
	s_mov_b32 s20, exec_lo
	v_cmpx_ne_u16_e32 0, v7
	s_cbranch_execz .LBB216_3502
; %bb.3495:                             ;   in Loop: Header=BB216_2083 Depth=1
	v_bfrev_b32_e32 v25, 1
	v_mov_b32_e32 v26, 0
	s_mov_b32 s21, exec_lo
	v_cmpx_ne_u16_e32 0x80, v7
	s_cbranch_execz .LBB216_3501
; %bb.3496:                             ;   in Loop: Header=BB216_2083 Depth=1
	v_mov_b32_e32 v25, 0x7f800001
	v_bfe_u32 v13, v6, 16, 7
	v_mov_b32_e32 v26, 0
	s_mov_b32 s22, exec_lo
	v_cmpx_ne_u32_e32 0x7f, v13
	s_cbranch_execz .LBB216_3500
; %bb.3497:                             ;   in Loop: Header=BB216_2083 Depth=1
	v_and_b32_sdwa v8, v6, v77 dst_sel:DWORD dst_unused:UNUSED_PAD src0_sel:WORD_1 src1_sel:DWORD
	v_mov_b32_e32 v26, v9
	v_lshrrev_b32_e32 v7, 3, v13
	s_mov_b32 s23, exec_lo
	v_mov_b32_e32 v25, v8
	v_cmpx_gt_u32_e32 8, v13
; %bb.3498:                             ;   in Loop: Header=BB216_2083 Depth=1
	v_ffbh_u32_e32 v7, v8
	v_min_u32_e32 v7, 32, v7
	v_subrev_nc_u32_e32 v13, 28, v7
	v_sub_nc_u32_e32 v7, 29, v7
	v_lshlrev_b64 v[25:26], v13, v[8:9]
	v_and_b32_e32 v25, 7, v25
; %bb.3499:                             ;   in Loop: Header=BB216_2083 Depth=1
	s_or_b32 exec_lo, exec_lo, s23
	v_lshlrev_b32_sdwa v8, v78, v6 dst_sel:DWORD dst_unused:UNUSED_PAD src0_sel:DWORD src1_sel:WORD_1
	v_lshlrev_b32_e32 v13, 20, v25
	v_lshl_add_u32 v7, v7, 23, 0x3c000000
	v_and_b32_e32 v8, 0x80000000, v8
	v_or3_b32 v8, v13, v8, v7
	v_mov_b32_e32 v26, v9
	v_mov_b32_e32 v25, v8
.LBB216_3500:                           ;   in Loop: Header=BB216_2083 Depth=1
	s_or_b32 exec_lo, exec_lo, s22
.LBB216_3501:                           ;   in Loop: Header=BB216_2083 Depth=1
	s_or_b32 exec_lo, exec_lo, s21
.LBB216_3502:                           ;   in Loop: Header=BB216_2083 Depth=1
	s_or_b32 exec_lo, exec_lo, s20
	s_mov_b32 s20, exec_lo
	v_cmpx_lt_u32_e32 0xffffff, v6
	s_cbranch_execz .LBB216_3510
; %bb.3503:                             ;   in Loop: Header=BB216_2083 Depth=1
	v_mov_b32_e32 v11, v9
	v_cmp_ne_u32_sdwa s8, v6, v74 src0_sel:BYTE_3 src1_sel:DWORD
	v_mov_b32_e32 v10, v11
	v_mov_b32_e32 v11, v12
	s_and_saveexec_b32 s21, s8
	s_cbranch_execz .LBB216_3509
; %bb.3504:                             ;   in Loop: Header=BB216_2083 Depth=1
	v_mov_b32_e32 v13, v9
	v_bfe_u32 v30, v6, 24, 7
	s_mov_b32 s22, exec_lo
	v_mov_b32_e32 v10, v13
	v_mov_b32_e32 v11, v14
	v_cmpx_ne_u32_e32 0x7f, v30
	s_cbranch_execz .LBB216_3508
; %bb.3505:                             ;   in Loop: Header=BB216_2083 Depth=1
	v_and_b32_sdwa v8, v6, v77 dst_sel:DWORD dst_unused:UNUSED_PAD src0_sel:BYTE_3 src1_sel:DWORD
	v_mov_b32_e32 v11, v9
	v_lshrrev_b32_e32 v7, 3, v30
	s_mov_b32 s23, exec_lo
	v_mov_b32_e32 v10, v8
	v_cmpx_gt_u32_e32 8, v30
; %bb.3506:                             ;   in Loop: Header=BB216_2083 Depth=1
	v_ffbh_u32_e32 v7, v8
	v_min_u32_e32 v7, 32, v7
	v_subrev_nc_u32_e32 v10, 28, v7
	v_sub_nc_u32_e32 v7, 29, v7
	v_lshlrev_b64 v[10:11], v10, v[8:9]
	v_and_b32_e32 v10, 7, v10
; %bb.3507:                             ;   in Loop: Header=BB216_2083 Depth=1
	s_or_b32 exec_lo, exec_lo, s23
	v_lshlrev_b32_sdwa v6, v78, v6 dst_sel:DWORD dst_unused:UNUSED_PAD src0_sel:DWORD src1_sel:BYTE_3
	v_lshlrev_b32_e32 v8, 20, v10
	v_lshl_add_u32 v7, v7, 23, 0x3c000000
	v_mov_b32_e32 v10, v9
	v_and_b32_e32 v6, 0x80000000, v6
	v_or3_b32 v11, v8, v6, v7
.LBB216_3508:                           ;   in Loop: Header=BB216_2083 Depth=1
	s_or_b32 exec_lo, exec_lo, s22
.LBB216_3509:                           ;   in Loop: Header=BB216_2083 Depth=1
	s_or_b32 exec_lo, exec_lo, s21
.LBB216_3510:                           ;   in Loop: Header=BB216_2083 Depth=1
	s_or_b32 exec_lo, exec_lo, s20
	v_or_b32_e32 v6, v24, v22
	v_or_b32_e32 v7, v23, v21
	;; [unrolled: 1-line block ×4, first 2 shown]
	v_mul_f32_e32 v41, v106, v6
	v_mul_f32_e32 v40, v106, v7
	;; [unrolled: 1-line block ×4, first 2 shown]
	s_and_saveexec_b32 s8, s7
; %bb.3511:                             ;   in Loop: Header=BB216_2083 Depth=1
	v_cndmask_b32_e32 v40, 0, v40, vcc_lo
	v_cndmask_b32_e64 v41, 0, v41, s4
	v_cndmask_b32_e64 v119, 0, v119, s5
	;; [unrolled: 1-line block ×3, first 2 shown]
; %bb.3512:                             ;   in Loop: Header=BB216_2083 Depth=1
	s_or_b32 exec_lo, exec_lo, s8
	flat_load_dword v6, v[19:20] offset:1280
	v_mov_b32_e32 v23, 0
	v_mov_b32_e32 v21, 0
	;; [unrolled: 1-line block ×4, first 2 shown]
	s_waitcnt vmcnt(0) lgkmcnt(0)
	v_cmp_ne_u16_sdwa s8, v6, v9 src0_sel:BYTE_0 src1_sel:DWORD
	s_and_saveexec_b32 s20, s8
	s_cbranch_execz .LBB216_3520
; %bb.3513:                             ;   in Loop: Header=BB216_2083 Depth=1
	v_bfrev_b32_e32 v21, 1
	v_mov_b32_e32 v22, 0
	v_cmp_ne_u16_sdwa s8, v6, v74 src0_sel:BYTE_0 src1_sel:DWORD
	s_and_saveexec_b32 s21, s8
	s_cbranch_execz .LBB216_3519
; %bb.3514:                             ;   in Loop: Header=BB216_2083 Depth=1
	v_mov_b32_e32 v21, 0x7f800001
	v_and_b32_e32 v10, 0x7f, v6
	v_mov_b32_e32 v22, 0
	s_mov_b32 s22, exec_lo
	v_cmpx_ne_u32_e32 0x7f, v10
	s_cbranch_execz .LBB216_3518
; %bb.3515:                             ;   in Loop: Header=BB216_2083 Depth=1
	v_and_b32_e32 v8, 7, v6
	v_lshrrev_b32_e32 v7, 3, v10
	v_cmp_gt_u32_e64 s8, 8, v10
	v_mov_b32_e32 v11, v9
	v_mov_b32_e32 v10, v8
	s_and_saveexec_b32 s23, s8
; %bb.3516:                             ;   in Loop: Header=BB216_2083 Depth=1
	v_ffbh_u32_e32 v7, v8
	v_min_u32_e32 v7, 32, v7
	v_subrev_nc_u32_e32 v10, 28, v7
	v_sub_nc_u32_e32 v7, 29, v7
	v_lshlrev_b64 v[10:11], v10, v[8:9]
	v_and_b32_e32 v10, 7, v10
; %bb.3517:                             ;   in Loop: Header=BB216_2083 Depth=1
	s_or_b32 exec_lo, exec_lo, s23
	v_lshlrev_b32_e32 v8, 24, v6
	v_lshlrev_b32_e32 v10, 20, v10
	v_lshl_add_u32 v7, v7, 23, 0x3c000000
	v_and_b32_e32 v8, 0x80000000, v8
	v_or3_b32 v8, v10, v8, v7
	v_mov_b32_e32 v22, v9
	v_mov_b32_e32 v21, v8
.LBB216_3518:                           ;   in Loop: Header=BB216_2083 Depth=1
	s_or_b32 exec_lo, exec_lo, s22
.LBB216_3519:                           ;   in Loop: Header=BB216_2083 Depth=1
	s_or_b32 exec_lo, exec_lo, s21
.LBB216_3520:                           ;   in Loop: Header=BB216_2083 Depth=1
	s_or_b32 exec_lo, exec_lo, s20
	v_cmp_ne_u16_sdwa s8, v6, v9 src0_sel:BYTE_1 src1_sel:DWORD
	s_and_saveexec_b32 s20, s8
	s_cbranch_execz .LBB216_3528
; %bb.3521:                             ;   in Loop: Header=BB216_2083 Depth=1
	v_mov_b32_e32 v11, v9
	v_mov_b32_e32 v24, v12
	v_cmp_ne_u16_sdwa s8, v6, v74 src0_sel:BYTE_1 src1_sel:DWORD
	v_mov_b32_e32 v23, v11
	s_and_saveexec_b32 s21, s8
	s_cbranch_execz .LBB216_3527
; %bb.3522:                             ;   in Loop: Header=BB216_2083 Depth=1
	v_and_b32_sdwa v7, v75, v6 dst_sel:DWORD dst_unused:UNUSED_PAD src0_sel:DWORD src1_sel:BYTE_1
	v_mov_b32_e32 v13, v9
	v_mov_b32_e32 v24, v14
	s_mov_b32 s22, exec_lo
	v_and_b32_e32 v10, 0x7f, v7
	v_mov_b32_e32 v23, v13
	v_cmpx_ne_u32_e32 0x7f, v10
	s_cbranch_execz .LBB216_3526
; %bb.3523:                             ;   in Loop: Header=BB216_2083 Depth=1
	v_and_b32_e32 v8, 7, v7
	v_lshrrev_b32_e32 v7, 3, v10
	v_cmp_gt_u32_e64 s8, 8, v10
	v_mov_b32_e32 v11, v9
	v_mov_b32_e32 v10, v8
	s_and_saveexec_b32 s23, s8
; %bb.3524:                             ;   in Loop: Header=BB216_2083 Depth=1
	v_ffbh_u32_e32 v7, v8
	v_min_u32_e32 v7, 32, v7
	v_subrev_nc_u32_e32 v10, 28, v7
	v_sub_nc_u32_e32 v7, 29, v7
	v_lshlrev_b64 v[10:11], v10, v[8:9]
	v_and_b32_e32 v10, 7, v10
; %bb.3525:                             ;   in Loop: Header=BB216_2083 Depth=1
	s_or_b32 exec_lo, exec_lo, s23
	v_lshlrev_b32_e32 v8, 16, v6
	v_lshlrev_b32_e32 v10, 20, v10
	v_lshl_add_u32 v7, v7, 23, 0x3c000000
	v_mov_b32_e32 v23, v9
	v_and_b32_e32 v8, 0x80000000, v8
	v_or3_b32 v24, v10, v8, v7
.LBB216_3526:                           ;   in Loop: Header=BB216_2083 Depth=1
	s_or_b32 exec_lo, exec_lo, s22
.LBB216_3527:                           ;   in Loop: Header=BB216_2083 Depth=1
	s_or_b32 exec_lo, exec_lo, s21
.LBB216_3528:                           ;   in Loop: Header=BB216_2083 Depth=1
	s_or_b32 exec_lo, exec_lo, s20
	v_mov_b32_e32 v10, 0
	v_mov_b32_e32 v25, 0
	v_and_b32_sdwa v7, v6, v76 dst_sel:DWORD dst_unused:UNUSED_PAD src0_sel:WORD_1 src1_sel:DWORD
	v_mov_b32_e32 v11, 0
	v_mov_b32_e32 v26, 0
	s_mov_b32 s20, exec_lo
	v_cmpx_ne_u16_e32 0, v7
	s_cbranch_execz .LBB216_3536
; %bb.3529:                             ;   in Loop: Header=BB216_2083 Depth=1
	v_bfrev_b32_e32 v25, 1
	v_mov_b32_e32 v26, 0
	s_mov_b32 s21, exec_lo
	v_cmpx_ne_u16_e32 0x80, v7
	s_cbranch_execz .LBB216_3535
; %bb.3530:                             ;   in Loop: Header=BB216_2083 Depth=1
	v_mov_b32_e32 v25, 0x7f800001
	v_bfe_u32 v13, v6, 16, 7
	v_mov_b32_e32 v26, 0
	s_mov_b32 s22, exec_lo
	v_cmpx_ne_u32_e32 0x7f, v13
	s_cbranch_execz .LBB216_3534
; %bb.3531:                             ;   in Loop: Header=BB216_2083 Depth=1
	v_and_b32_sdwa v8, v6, v77 dst_sel:DWORD dst_unused:UNUSED_PAD src0_sel:WORD_1 src1_sel:DWORD
	v_mov_b32_e32 v26, v9
	v_lshrrev_b32_e32 v7, 3, v13
	s_mov_b32 s23, exec_lo
	v_mov_b32_e32 v25, v8
	v_cmpx_gt_u32_e32 8, v13
; %bb.3532:                             ;   in Loop: Header=BB216_2083 Depth=1
	v_ffbh_u32_e32 v7, v8
	v_min_u32_e32 v7, 32, v7
	v_subrev_nc_u32_e32 v13, 28, v7
	v_sub_nc_u32_e32 v7, 29, v7
	v_lshlrev_b64 v[25:26], v13, v[8:9]
	v_and_b32_e32 v25, 7, v25
; %bb.3533:                             ;   in Loop: Header=BB216_2083 Depth=1
	s_or_b32 exec_lo, exec_lo, s23
	v_lshlrev_b32_sdwa v8, v78, v6 dst_sel:DWORD dst_unused:UNUSED_PAD src0_sel:DWORD src1_sel:WORD_1
	v_lshlrev_b32_e32 v13, 20, v25
	v_lshl_add_u32 v7, v7, 23, 0x3c000000
	v_and_b32_e32 v8, 0x80000000, v8
	v_or3_b32 v8, v13, v8, v7
	v_mov_b32_e32 v26, v9
	v_mov_b32_e32 v25, v8
.LBB216_3534:                           ;   in Loop: Header=BB216_2083 Depth=1
	s_or_b32 exec_lo, exec_lo, s22
.LBB216_3535:                           ;   in Loop: Header=BB216_2083 Depth=1
	s_or_b32 exec_lo, exec_lo, s21
.LBB216_3536:                           ;   in Loop: Header=BB216_2083 Depth=1
	s_or_b32 exec_lo, exec_lo, s20
	s_mov_b32 s20, exec_lo
	v_cmpx_lt_u32_e32 0xffffff, v6
	s_cbranch_execz .LBB216_3544
; %bb.3537:                             ;   in Loop: Header=BB216_2083 Depth=1
	v_mov_b32_e32 v11, v9
	v_cmp_ne_u32_sdwa s8, v6, v74 src0_sel:BYTE_3 src1_sel:DWORD
	v_mov_b32_e32 v10, v11
	v_mov_b32_e32 v11, v12
	s_and_saveexec_b32 s21, s8
	s_cbranch_execz .LBB216_3543
; %bb.3538:                             ;   in Loop: Header=BB216_2083 Depth=1
	v_mov_b32_e32 v13, v9
	v_bfe_u32 v30, v6, 24, 7
	s_mov_b32 s22, exec_lo
	v_mov_b32_e32 v10, v13
	v_mov_b32_e32 v11, v14
	v_cmpx_ne_u32_e32 0x7f, v30
	s_cbranch_execz .LBB216_3542
; %bb.3539:                             ;   in Loop: Header=BB216_2083 Depth=1
	v_and_b32_sdwa v8, v6, v77 dst_sel:DWORD dst_unused:UNUSED_PAD src0_sel:BYTE_3 src1_sel:DWORD
	v_mov_b32_e32 v11, v9
	v_lshrrev_b32_e32 v7, 3, v30
	s_mov_b32 s23, exec_lo
	v_mov_b32_e32 v10, v8
	v_cmpx_gt_u32_e32 8, v30
; %bb.3540:                             ;   in Loop: Header=BB216_2083 Depth=1
	v_ffbh_u32_e32 v7, v8
	v_min_u32_e32 v7, 32, v7
	v_subrev_nc_u32_e32 v10, 28, v7
	v_sub_nc_u32_e32 v7, 29, v7
	v_lshlrev_b64 v[10:11], v10, v[8:9]
	v_and_b32_e32 v10, 7, v10
; %bb.3541:                             ;   in Loop: Header=BB216_2083 Depth=1
	s_or_b32 exec_lo, exec_lo, s23
	v_lshlrev_b32_sdwa v6, v78, v6 dst_sel:DWORD dst_unused:UNUSED_PAD src0_sel:DWORD src1_sel:BYTE_3
	v_lshlrev_b32_e32 v8, 20, v10
	v_lshl_add_u32 v7, v7, 23, 0x3c000000
	v_mov_b32_e32 v10, v9
	v_and_b32_e32 v6, 0x80000000, v6
	v_or3_b32 v11, v8, v6, v7
.LBB216_3542:                           ;   in Loop: Header=BB216_2083 Depth=1
	s_or_b32 exec_lo, exec_lo, s22
.LBB216_3543:                           ;   in Loop: Header=BB216_2083 Depth=1
	s_or_b32 exec_lo, exec_lo, s21
.LBB216_3544:                           ;   in Loop: Header=BB216_2083 Depth=1
	s_or_b32 exec_lo, exec_lo, s20
	v_or_b32_e32 v6, v24, v22
	v_or_b32_e32 v7, v23, v21
	;; [unrolled: 1-line block ×4, first 2 shown]
	v_mul_f32_e32 v45, v106, v6
	v_mul_f32_e32 v44, v106, v7
	;; [unrolled: 1-line block ×4, first 2 shown]
	s_and_saveexec_b32 s8, s7
; %bb.3545:                             ;   in Loop: Header=BB216_2083 Depth=1
	v_cndmask_b32_e32 v44, 0, v44, vcc_lo
	v_cndmask_b32_e64 v45, 0, v45, s4
	v_cndmask_b32_e64 v43, 0, v43, s5
	v_cndmask_b32_e64 v42, 0, v42, s6
; %bb.3546:                             ;   in Loop: Header=BB216_2083 Depth=1
	s_or_b32 exec_lo, exec_lo, s8
	flat_load_dword v6, v[19:20] offset:1408
	v_mov_b32_e32 v23, 0
	v_mov_b32_e32 v21, 0
	;; [unrolled: 1-line block ×4, first 2 shown]
	s_waitcnt vmcnt(0) lgkmcnt(0)
	v_cmp_ne_u16_sdwa s8, v6, v9 src0_sel:BYTE_0 src1_sel:DWORD
	s_and_saveexec_b32 s20, s8
	s_cbranch_execz .LBB216_3554
; %bb.3547:                             ;   in Loop: Header=BB216_2083 Depth=1
	v_bfrev_b32_e32 v21, 1
	v_mov_b32_e32 v22, 0
	v_cmp_ne_u16_sdwa s8, v6, v74 src0_sel:BYTE_0 src1_sel:DWORD
	s_and_saveexec_b32 s21, s8
	s_cbranch_execz .LBB216_3553
; %bb.3548:                             ;   in Loop: Header=BB216_2083 Depth=1
	v_mov_b32_e32 v21, 0x7f800001
	v_and_b32_e32 v10, 0x7f, v6
	v_mov_b32_e32 v22, 0
	s_mov_b32 s22, exec_lo
	v_cmpx_ne_u32_e32 0x7f, v10
	s_cbranch_execz .LBB216_3552
; %bb.3549:                             ;   in Loop: Header=BB216_2083 Depth=1
	v_and_b32_e32 v8, 7, v6
	v_lshrrev_b32_e32 v7, 3, v10
	v_cmp_gt_u32_e64 s8, 8, v10
	v_mov_b32_e32 v11, v9
	v_mov_b32_e32 v10, v8
	s_and_saveexec_b32 s23, s8
; %bb.3550:                             ;   in Loop: Header=BB216_2083 Depth=1
	v_ffbh_u32_e32 v7, v8
	v_min_u32_e32 v7, 32, v7
	v_subrev_nc_u32_e32 v10, 28, v7
	v_sub_nc_u32_e32 v7, 29, v7
	v_lshlrev_b64 v[10:11], v10, v[8:9]
	v_and_b32_e32 v10, 7, v10
; %bb.3551:                             ;   in Loop: Header=BB216_2083 Depth=1
	s_or_b32 exec_lo, exec_lo, s23
	v_lshlrev_b32_e32 v8, 24, v6
	v_lshlrev_b32_e32 v10, 20, v10
	v_lshl_add_u32 v7, v7, 23, 0x3c000000
	v_and_b32_e32 v8, 0x80000000, v8
	v_or3_b32 v8, v10, v8, v7
	v_mov_b32_e32 v22, v9
	v_mov_b32_e32 v21, v8
.LBB216_3552:                           ;   in Loop: Header=BB216_2083 Depth=1
	s_or_b32 exec_lo, exec_lo, s22
.LBB216_3553:                           ;   in Loop: Header=BB216_2083 Depth=1
	s_or_b32 exec_lo, exec_lo, s21
.LBB216_3554:                           ;   in Loop: Header=BB216_2083 Depth=1
	s_or_b32 exec_lo, exec_lo, s20
	v_cmp_ne_u16_sdwa s8, v6, v9 src0_sel:BYTE_1 src1_sel:DWORD
	s_and_saveexec_b32 s20, s8
	s_cbranch_execz .LBB216_3562
; %bb.3555:                             ;   in Loop: Header=BB216_2083 Depth=1
	v_mov_b32_e32 v11, v9
	v_mov_b32_e32 v24, v12
	v_cmp_ne_u16_sdwa s8, v6, v74 src0_sel:BYTE_1 src1_sel:DWORD
	v_mov_b32_e32 v23, v11
	s_and_saveexec_b32 s21, s8
	s_cbranch_execz .LBB216_3561
; %bb.3556:                             ;   in Loop: Header=BB216_2083 Depth=1
	v_and_b32_sdwa v7, v75, v6 dst_sel:DWORD dst_unused:UNUSED_PAD src0_sel:DWORD src1_sel:BYTE_1
	v_mov_b32_e32 v13, v9
	v_mov_b32_e32 v24, v14
	s_mov_b32 s22, exec_lo
	v_and_b32_e32 v10, 0x7f, v7
	v_mov_b32_e32 v23, v13
	v_cmpx_ne_u32_e32 0x7f, v10
	s_cbranch_execz .LBB216_3560
; %bb.3557:                             ;   in Loop: Header=BB216_2083 Depth=1
	v_and_b32_e32 v8, 7, v7
	v_lshrrev_b32_e32 v7, 3, v10
	v_cmp_gt_u32_e64 s8, 8, v10
	v_mov_b32_e32 v11, v9
	v_mov_b32_e32 v10, v8
	s_and_saveexec_b32 s23, s8
; %bb.3558:                             ;   in Loop: Header=BB216_2083 Depth=1
	v_ffbh_u32_e32 v7, v8
	v_min_u32_e32 v7, 32, v7
	v_subrev_nc_u32_e32 v10, 28, v7
	v_sub_nc_u32_e32 v7, 29, v7
	v_lshlrev_b64 v[10:11], v10, v[8:9]
	v_and_b32_e32 v10, 7, v10
; %bb.3559:                             ;   in Loop: Header=BB216_2083 Depth=1
	s_or_b32 exec_lo, exec_lo, s23
	v_lshlrev_b32_e32 v8, 16, v6
	v_lshlrev_b32_e32 v10, 20, v10
	v_lshl_add_u32 v7, v7, 23, 0x3c000000
	v_mov_b32_e32 v23, v9
	v_and_b32_e32 v8, 0x80000000, v8
	v_or3_b32 v24, v10, v8, v7
.LBB216_3560:                           ;   in Loop: Header=BB216_2083 Depth=1
	s_or_b32 exec_lo, exec_lo, s22
.LBB216_3561:                           ;   in Loop: Header=BB216_2083 Depth=1
	s_or_b32 exec_lo, exec_lo, s21
.LBB216_3562:                           ;   in Loop: Header=BB216_2083 Depth=1
	s_or_b32 exec_lo, exec_lo, s20
	v_mov_b32_e32 v10, 0
	v_mov_b32_e32 v25, 0
	v_and_b32_sdwa v7, v6, v76 dst_sel:DWORD dst_unused:UNUSED_PAD src0_sel:WORD_1 src1_sel:DWORD
	v_mov_b32_e32 v11, 0
	v_mov_b32_e32 v26, 0
	s_mov_b32 s20, exec_lo
	v_cmpx_ne_u16_e32 0, v7
	s_cbranch_execz .LBB216_3570
; %bb.3563:                             ;   in Loop: Header=BB216_2083 Depth=1
	v_bfrev_b32_e32 v25, 1
	v_mov_b32_e32 v26, 0
	s_mov_b32 s21, exec_lo
	v_cmpx_ne_u16_e32 0x80, v7
	s_cbranch_execz .LBB216_3569
; %bb.3564:                             ;   in Loop: Header=BB216_2083 Depth=1
	v_mov_b32_e32 v25, 0x7f800001
	v_bfe_u32 v13, v6, 16, 7
	v_mov_b32_e32 v26, 0
	s_mov_b32 s22, exec_lo
	v_cmpx_ne_u32_e32 0x7f, v13
	s_cbranch_execz .LBB216_3568
; %bb.3565:                             ;   in Loop: Header=BB216_2083 Depth=1
	v_and_b32_sdwa v8, v6, v77 dst_sel:DWORD dst_unused:UNUSED_PAD src0_sel:WORD_1 src1_sel:DWORD
	v_mov_b32_e32 v26, v9
	v_lshrrev_b32_e32 v7, 3, v13
	s_mov_b32 s23, exec_lo
	v_mov_b32_e32 v25, v8
	v_cmpx_gt_u32_e32 8, v13
; %bb.3566:                             ;   in Loop: Header=BB216_2083 Depth=1
	v_ffbh_u32_e32 v7, v8
	v_min_u32_e32 v7, 32, v7
	v_subrev_nc_u32_e32 v13, 28, v7
	v_sub_nc_u32_e32 v7, 29, v7
	v_lshlrev_b64 v[25:26], v13, v[8:9]
	v_and_b32_e32 v25, 7, v25
; %bb.3567:                             ;   in Loop: Header=BB216_2083 Depth=1
	s_or_b32 exec_lo, exec_lo, s23
	v_lshlrev_b32_sdwa v8, v78, v6 dst_sel:DWORD dst_unused:UNUSED_PAD src0_sel:DWORD src1_sel:WORD_1
	v_lshlrev_b32_e32 v13, 20, v25
	v_lshl_add_u32 v7, v7, 23, 0x3c000000
	v_and_b32_e32 v8, 0x80000000, v8
	v_or3_b32 v8, v13, v8, v7
	v_mov_b32_e32 v26, v9
	v_mov_b32_e32 v25, v8
.LBB216_3568:                           ;   in Loop: Header=BB216_2083 Depth=1
	s_or_b32 exec_lo, exec_lo, s22
.LBB216_3569:                           ;   in Loop: Header=BB216_2083 Depth=1
	s_or_b32 exec_lo, exec_lo, s21
.LBB216_3570:                           ;   in Loop: Header=BB216_2083 Depth=1
	s_or_b32 exec_lo, exec_lo, s20
	s_mov_b32 s20, exec_lo
	v_cmpx_lt_u32_e32 0xffffff, v6
	s_cbranch_execz .LBB216_3578
; %bb.3571:                             ;   in Loop: Header=BB216_2083 Depth=1
	v_mov_b32_e32 v11, v9
	v_cmp_ne_u32_sdwa s8, v6, v74 src0_sel:BYTE_3 src1_sel:DWORD
	v_mov_b32_e32 v10, v11
	v_mov_b32_e32 v11, v12
	s_and_saveexec_b32 s21, s8
	s_cbranch_execz .LBB216_3577
; %bb.3572:                             ;   in Loop: Header=BB216_2083 Depth=1
	v_mov_b32_e32 v13, v9
	v_bfe_u32 v30, v6, 24, 7
	s_mov_b32 s22, exec_lo
	v_mov_b32_e32 v10, v13
	v_mov_b32_e32 v11, v14
	v_cmpx_ne_u32_e32 0x7f, v30
	s_cbranch_execz .LBB216_3576
; %bb.3573:                             ;   in Loop: Header=BB216_2083 Depth=1
	v_and_b32_sdwa v8, v6, v77 dst_sel:DWORD dst_unused:UNUSED_PAD src0_sel:BYTE_3 src1_sel:DWORD
	v_mov_b32_e32 v11, v9
	v_lshrrev_b32_e32 v7, 3, v30
	s_mov_b32 s23, exec_lo
	v_mov_b32_e32 v10, v8
	v_cmpx_gt_u32_e32 8, v30
; %bb.3574:                             ;   in Loop: Header=BB216_2083 Depth=1
	v_ffbh_u32_e32 v7, v8
	v_min_u32_e32 v7, 32, v7
	v_subrev_nc_u32_e32 v10, 28, v7
	v_sub_nc_u32_e32 v7, 29, v7
	v_lshlrev_b64 v[10:11], v10, v[8:9]
	v_and_b32_e32 v10, 7, v10
; %bb.3575:                             ;   in Loop: Header=BB216_2083 Depth=1
	s_or_b32 exec_lo, exec_lo, s23
	v_lshlrev_b32_sdwa v6, v78, v6 dst_sel:DWORD dst_unused:UNUSED_PAD src0_sel:DWORD src1_sel:BYTE_3
	v_lshlrev_b32_e32 v8, 20, v10
	v_lshl_add_u32 v7, v7, 23, 0x3c000000
	v_mov_b32_e32 v10, v9
	v_and_b32_e32 v6, 0x80000000, v6
	v_or3_b32 v11, v8, v6, v7
.LBB216_3576:                           ;   in Loop: Header=BB216_2083 Depth=1
	s_or_b32 exec_lo, exec_lo, s22
.LBB216_3577:                           ;   in Loop: Header=BB216_2083 Depth=1
	s_or_b32 exec_lo, exec_lo, s21
.LBB216_3578:                           ;   in Loop: Header=BB216_2083 Depth=1
	s_or_b32 exec_lo, exec_lo, s20
	v_or_b32_e32 v6, v24, v22
	v_or_b32_e32 v7, v23, v21
	;; [unrolled: 1-line block ×4, first 2 shown]
	v_mul_f32_e32 v58, v106, v6
	v_mul_f32_e32 v57, v106, v7
	;; [unrolled: 1-line block ×4, first 2 shown]
	s_and_saveexec_b32 s8, s7
; %bb.3579:                             ;   in Loop: Header=BB216_2083 Depth=1
	v_cndmask_b32_e32 v57, 0, v57, vcc_lo
	v_cndmask_b32_e64 v58, 0, v58, s4
	v_cndmask_b32_e64 v56, 0, v56, s5
	;; [unrolled: 1-line block ×3, first 2 shown]
; %bb.3580:                             ;   in Loop: Header=BB216_2083 Depth=1
	s_or_b32 exec_lo, exec_lo, s8
	flat_load_dword v6, v[19:20] offset:1536
	v_mov_b32_e32 v23, 0
	v_mov_b32_e32 v21, 0
	;; [unrolled: 1-line block ×4, first 2 shown]
	s_waitcnt vmcnt(0) lgkmcnt(0)
	v_cmp_ne_u16_sdwa s8, v6, v9 src0_sel:BYTE_0 src1_sel:DWORD
	s_and_saveexec_b32 s20, s8
	s_cbranch_execz .LBB216_3588
; %bb.3581:                             ;   in Loop: Header=BB216_2083 Depth=1
	v_bfrev_b32_e32 v21, 1
	v_mov_b32_e32 v22, 0
	v_cmp_ne_u16_sdwa s8, v6, v74 src0_sel:BYTE_0 src1_sel:DWORD
	s_and_saveexec_b32 s21, s8
	s_cbranch_execz .LBB216_3587
; %bb.3582:                             ;   in Loop: Header=BB216_2083 Depth=1
	v_mov_b32_e32 v21, 0x7f800001
	v_and_b32_e32 v10, 0x7f, v6
	v_mov_b32_e32 v22, 0
	s_mov_b32 s22, exec_lo
	v_cmpx_ne_u32_e32 0x7f, v10
	s_cbranch_execz .LBB216_3586
; %bb.3583:                             ;   in Loop: Header=BB216_2083 Depth=1
	v_and_b32_e32 v8, 7, v6
	v_lshrrev_b32_e32 v7, 3, v10
	v_cmp_gt_u32_e64 s8, 8, v10
	v_mov_b32_e32 v11, v9
	v_mov_b32_e32 v10, v8
	s_and_saveexec_b32 s23, s8
; %bb.3584:                             ;   in Loop: Header=BB216_2083 Depth=1
	v_ffbh_u32_e32 v7, v8
	v_min_u32_e32 v7, 32, v7
	v_subrev_nc_u32_e32 v10, 28, v7
	v_sub_nc_u32_e32 v7, 29, v7
	v_lshlrev_b64 v[10:11], v10, v[8:9]
	v_and_b32_e32 v10, 7, v10
; %bb.3585:                             ;   in Loop: Header=BB216_2083 Depth=1
	s_or_b32 exec_lo, exec_lo, s23
	v_lshlrev_b32_e32 v8, 24, v6
	v_lshlrev_b32_e32 v10, 20, v10
	v_lshl_add_u32 v7, v7, 23, 0x3c000000
	v_and_b32_e32 v8, 0x80000000, v8
	v_or3_b32 v8, v10, v8, v7
	v_mov_b32_e32 v22, v9
	v_mov_b32_e32 v21, v8
.LBB216_3586:                           ;   in Loop: Header=BB216_2083 Depth=1
	s_or_b32 exec_lo, exec_lo, s22
.LBB216_3587:                           ;   in Loop: Header=BB216_2083 Depth=1
	s_or_b32 exec_lo, exec_lo, s21
.LBB216_3588:                           ;   in Loop: Header=BB216_2083 Depth=1
	s_or_b32 exec_lo, exec_lo, s20
	v_cmp_ne_u16_sdwa s8, v6, v9 src0_sel:BYTE_1 src1_sel:DWORD
	s_and_saveexec_b32 s20, s8
	s_cbranch_execz .LBB216_3596
; %bb.3589:                             ;   in Loop: Header=BB216_2083 Depth=1
	v_mov_b32_e32 v11, v9
	v_mov_b32_e32 v24, v12
	v_cmp_ne_u16_sdwa s8, v6, v74 src0_sel:BYTE_1 src1_sel:DWORD
	v_mov_b32_e32 v23, v11
	s_and_saveexec_b32 s21, s8
	s_cbranch_execz .LBB216_3595
; %bb.3590:                             ;   in Loop: Header=BB216_2083 Depth=1
	v_and_b32_sdwa v7, v75, v6 dst_sel:DWORD dst_unused:UNUSED_PAD src0_sel:DWORD src1_sel:BYTE_1
	v_mov_b32_e32 v13, v9
	v_mov_b32_e32 v24, v14
	s_mov_b32 s22, exec_lo
	v_and_b32_e32 v10, 0x7f, v7
	v_mov_b32_e32 v23, v13
	v_cmpx_ne_u32_e32 0x7f, v10
	s_cbranch_execz .LBB216_3594
; %bb.3591:                             ;   in Loop: Header=BB216_2083 Depth=1
	v_and_b32_e32 v8, 7, v7
	v_lshrrev_b32_e32 v7, 3, v10
	v_cmp_gt_u32_e64 s8, 8, v10
	v_mov_b32_e32 v11, v9
	v_mov_b32_e32 v10, v8
	s_and_saveexec_b32 s23, s8
; %bb.3592:                             ;   in Loop: Header=BB216_2083 Depth=1
	v_ffbh_u32_e32 v7, v8
	v_min_u32_e32 v7, 32, v7
	v_subrev_nc_u32_e32 v10, 28, v7
	v_sub_nc_u32_e32 v7, 29, v7
	v_lshlrev_b64 v[10:11], v10, v[8:9]
	v_and_b32_e32 v10, 7, v10
; %bb.3593:                             ;   in Loop: Header=BB216_2083 Depth=1
	s_or_b32 exec_lo, exec_lo, s23
	v_lshlrev_b32_e32 v8, 16, v6
	v_lshlrev_b32_e32 v10, 20, v10
	v_lshl_add_u32 v7, v7, 23, 0x3c000000
	v_mov_b32_e32 v23, v9
	v_and_b32_e32 v8, 0x80000000, v8
	v_or3_b32 v24, v10, v8, v7
.LBB216_3594:                           ;   in Loop: Header=BB216_2083 Depth=1
	s_or_b32 exec_lo, exec_lo, s22
.LBB216_3595:                           ;   in Loop: Header=BB216_2083 Depth=1
	s_or_b32 exec_lo, exec_lo, s21
.LBB216_3596:                           ;   in Loop: Header=BB216_2083 Depth=1
	s_or_b32 exec_lo, exec_lo, s20
	v_mov_b32_e32 v10, 0
	v_mov_b32_e32 v25, 0
	v_and_b32_sdwa v7, v6, v76 dst_sel:DWORD dst_unused:UNUSED_PAD src0_sel:WORD_1 src1_sel:DWORD
	v_mov_b32_e32 v11, 0
	v_mov_b32_e32 v26, 0
	s_mov_b32 s20, exec_lo
	v_cmpx_ne_u16_e32 0, v7
	s_cbranch_execz .LBB216_3604
; %bb.3597:                             ;   in Loop: Header=BB216_2083 Depth=1
	v_bfrev_b32_e32 v25, 1
	v_mov_b32_e32 v26, 0
	s_mov_b32 s21, exec_lo
	v_cmpx_ne_u16_e32 0x80, v7
	s_cbranch_execz .LBB216_3603
; %bb.3598:                             ;   in Loop: Header=BB216_2083 Depth=1
	v_mov_b32_e32 v25, 0x7f800001
	v_bfe_u32 v13, v6, 16, 7
	v_mov_b32_e32 v26, 0
	s_mov_b32 s22, exec_lo
	v_cmpx_ne_u32_e32 0x7f, v13
	s_cbranch_execz .LBB216_3602
; %bb.3599:                             ;   in Loop: Header=BB216_2083 Depth=1
	v_and_b32_sdwa v8, v6, v77 dst_sel:DWORD dst_unused:UNUSED_PAD src0_sel:WORD_1 src1_sel:DWORD
	v_mov_b32_e32 v26, v9
	v_lshrrev_b32_e32 v7, 3, v13
	s_mov_b32 s23, exec_lo
	v_mov_b32_e32 v25, v8
	v_cmpx_gt_u32_e32 8, v13
; %bb.3600:                             ;   in Loop: Header=BB216_2083 Depth=1
	v_ffbh_u32_e32 v7, v8
	v_min_u32_e32 v7, 32, v7
	v_subrev_nc_u32_e32 v13, 28, v7
	v_sub_nc_u32_e32 v7, 29, v7
	v_lshlrev_b64 v[25:26], v13, v[8:9]
	v_and_b32_e32 v25, 7, v25
; %bb.3601:                             ;   in Loop: Header=BB216_2083 Depth=1
	s_or_b32 exec_lo, exec_lo, s23
	v_lshlrev_b32_sdwa v8, v78, v6 dst_sel:DWORD dst_unused:UNUSED_PAD src0_sel:DWORD src1_sel:WORD_1
	v_lshlrev_b32_e32 v13, 20, v25
	v_lshl_add_u32 v7, v7, 23, 0x3c000000
	v_and_b32_e32 v8, 0x80000000, v8
	v_or3_b32 v8, v13, v8, v7
	v_mov_b32_e32 v26, v9
	v_mov_b32_e32 v25, v8
.LBB216_3602:                           ;   in Loop: Header=BB216_2083 Depth=1
	s_or_b32 exec_lo, exec_lo, s22
.LBB216_3603:                           ;   in Loop: Header=BB216_2083 Depth=1
	s_or_b32 exec_lo, exec_lo, s21
.LBB216_3604:                           ;   in Loop: Header=BB216_2083 Depth=1
	s_or_b32 exec_lo, exec_lo, s20
	s_mov_b32 s20, exec_lo
	v_cmpx_lt_u32_e32 0xffffff, v6
	s_cbranch_execz .LBB216_3612
; %bb.3605:                             ;   in Loop: Header=BB216_2083 Depth=1
	v_mov_b32_e32 v11, v9
	v_cmp_ne_u32_sdwa s8, v6, v74 src0_sel:BYTE_3 src1_sel:DWORD
	v_mov_b32_e32 v10, v11
	v_mov_b32_e32 v11, v12
	s_and_saveexec_b32 s21, s8
	s_cbranch_execz .LBB216_3611
; %bb.3606:                             ;   in Loop: Header=BB216_2083 Depth=1
	v_mov_b32_e32 v13, v9
	v_bfe_u32 v30, v6, 24, 7
	s_mov_b32 s22, exec_lo
	v_mov_b32_e32 v10, v13
	v_mov_b32_e32 v11, v14
	v_cmpx_ne_u32_e32 0x7f, v30
	s_cbranch_execz .LBB216_3610
; %bb.3607:                             ;   in Loop: Header=BB216_2083 Depth=1
	v_and_b32_sdwa v8, v6, v77 dst_sel:DWORD dst_unused:UNUSED_PAD src0_sel:BYTE_3 src1_sel:DWORD
	v_mov_b32_e32 v11, v9
	v_lshrrev_b32_e32 v7, 3, v30
	s_mov_b32 s23, exec_lo
	v_mov_b32_e32 v10, v8
	v_cmpx_gt_u32_e32 8, v30
; %bb.3608:                             ;   in Loop: Header=BB216_2083 Depth=1
	v_ffbh_u32_e32 v7, v8
	v_min_u32_e32 v7, 32, v7
	v_subrev_nc_u32_e32 v10, 28, v7
	v_sub_nc_u32_e32 v7, 29, v7
	v_lshlrev_b64 v[10:11], v10, v[8:9]
	v_and_b32_e32 v10, 7, v10
; %bb.3609:                             ;   in Loop: Header=BB216_2083 Depth=1
	s_or_b32 exec_lo, exec_lo, s23
	v_lshlrev_b32_sdwa v6, v78, v6 dst_sel:DWORD dst_unused:UNUSED_PAD src0_sel:DWORD src1_sel:BYTE_3
	v_lshlrev_b32_e32 v8, 20, v10
	v_lshl_add_u32 v7, v7, 23, 0x3c000000
	v_mov_b32_e32 v10, v9
	v_and_b32_e32 v6, 0x80000000, v6
	v_or3_b32 v11, v8, v6, v7
.LBB216_3610:                           ;   in Loop: Header=BB216_2083 Depth=1
	s_or_b32 exec_lo, exec_lo, s22
.LBB216_3611:                           ;   in Loop: Header=BB216_2083 Depth=1
	s_or_b32 exec_lo, exec_lo, s21
.LBB216_3612:                           ;   in Loop: Header=BB216_2083 Depth=1
	s_or_b32 exec_lo, exec_lo, s20
	v_or_b32_e32 v6, v24, v22
	v_or_b32_e32 v7, v23, v21
	v_or_b32_e32 v8, v10, v25
	v_or_b32_e32 v10, v11, v26
	v_mul_f32_e32 v62, v106, v6
	v_mul_f32_e32 v61, v106, v7
	;; [unrolled: 1-line block ×4, first 2 shown]
	s_and_saveexec_b32 s8, s7
; %bb.3613:                             ;   in Loop: Header=BB216_2083 Depth=1
	v_cndmask_b32_e32 v61, 0, v61, vcc_lo
	v_cndmask_b32_e64 v62, 0, v62, s4
	v_cndmask_b32_e64 v60, 0, v60, s5
	;; [unrolled: 1-line block ×3, first 2 shown]
; %bb.3614:                             ;   in Loop: Header=BB216_2083 Depth=1
	s_or_b32 exec_lo, exec_lo, s8
	flat_load_dword v6, v[19:20] offset:1664
	v_mov_b32_e32 v23, 0
	v_mov_b32_e32 v21, 0
	;; [unrolled: 1-line block ×4, first 2 shown]
	s_waitcnt vmcnt(0) lgkmcnt(0)
	v_cmp_ne_u16_sdwa s8, v6, v9 src0_sel:BYTE_0 src1_sel:DWORD
	s_and_saveexec_b32 s20, s8
	s_cbranch_execz .LBB216_3622
; %bb.3615:                             ;   in Loop: Header=BB216_2083 Depth=1
	v_bfrev_b32_e32 v21, 1
	v_mov_b32_e32 v22, 0
	v_cmp_ne_u16_sdwa s8, v6, v74 src0_sel:BYTE_0 src1_sel:DWORD
	s_and_saveexec_b32 s21, s8
	s_cbranch_execz .LBB216_3621
; %bb.3616:                             ;   in Loop: Header=BB216_2083 Depth=1
	v_mov_b32_e32 v21, 0x7f800001
	v_and_b32_e32 v10, 0x7f, v6
	v_mov_b32_e32 v22, 0
	s_mov_b32 s22, exec_lo
	v_cmpx_ne_u32_e32 0x7f, v10
	s_cbranch_execz .LBB216_3620
; %bb.3617:                             ;   in Loop: Header=BB216_2083 Depth=1
	v_and_b32_e32 v8, 7, v6
	v_lshrrev_b32_e32 v7, 3, v10
	v_cmp_gt_u32_e64 s8, 8, v10
	v_mov_b32_e32 v11, v9
	v_mov_b32_e32 v10, v8
	s_and_saveexec_b32 s23, s8
; %bb.3618:                             ;   in Loop: Header=BB216_2083 Depth=1
	v_ffbh_u32_e32 v7, v8
	v_min_u32_e32 v7, 32, v7
	v_subrev_nc_u32_e32 v10, 28, v7
	v_sub_nc_u32_e32 v7, 29, v7
	v_lshlrev_b64 v[10:11], v10, v[8:9]
	v_and_b32_e32 v10, 7, v10
; %bb.3619:                             ;   in Loop: Header=BB216_2083 Depth=1
	s_or_b32 exec_lo, exec_lo, s23
	v_lshlrev_b32_e32 v8, 24, v6
	v_lshlrev_b32_e32 v10, 20, v10
	v_lshl_add_u32 v7, v7, 23, 0x3c000000
	v_and_b32_e32 v8, 0x80000000, v8
	v_or3_b32 v8, v10, v8, v7
	v_mov_b32_e32 v22, v9
	v_mov_b32_e32 v21, v8
.LBB216_3620:                           ;   in Loop: Header=BB216_2083 Depth=1
	s_or_b32 exec_lo, exec_lo, s22
.LBB216_3621:                           ;   in Loop: Header=BB216_2083 Depth=1
	s_or_b32 exec_lo, exec_lo, s21
.LBB216_3622:                           ;   in Loop: Header=BB216_2083 Depth=1
	s_or_b32 exec_lo, exec_lo, s20
	v_cmp_ne_u16_sdwa s8, v6, v9 src0_sel:BYTE_1 src1_sel:DWORD
	s_and_saveexec_b32 s20, s8
	s_cbranch_execz .LBB216_3630
; %bb.3623:                             ;   in Loop: Header=BB216_2083 Depth=1
	v_mov_b32_e32 v11, v9
	v_mov_b32_e32 v24, v12
	v_cmp_ne_u16_sdwa s8, v6, v74 src0_sel:BYTE_1 src1_sel:DWORD
	v_mov_b32_e32 v23, v11
	s_and_saveexec_b32 s21, s8
	s_cbranch_execz .LBB216_3629
; %bb.3624:                             ;   in Loop: Header=BB216_2083 Depth=1
	v_and_b32_sdwa v7, v75, v6 dst_sel:DWORD dst_unused:UNUSED_PAD src0_sel:DWORD src1_sel:BYTE_1
	v_mov_b32_e32 v13, v9
	v_mov_b32_e32 v24, v14
	s_mov_b32 s22, exec_lo
	v_and_b32_e32 v10, 0x7f, v7
	v_mov_b32_e32 v23, v13
	v_cmpx_ne_u32_e32 0x7f, v10
	s_cbranch_execz .LBB216_3628
; %bb.3625:                             ;   in Loop: Header=BB216_2083 Depth=1
	v_and_b32_e32 v8, 7, v7
	v_lshrrev_b32_e32 v7, 3, v10
	v_cmp_gt_u32_e64 s8, 8, v10
	v_mov_b32_e32 v11, v9
	v_mov_b32_e32 v10, v8
	s_and_saveexec_b32 s23, s8
; %bb.3626:                             ;   in Loop: Header=BB216_2083 Depth=1
	v_ffbh_u32_e32 v7, v8
	v_min_u32_e32 v7, 32, v7
	v_subrev_nc_u32_e32 v10, 28, v7
	v_sub_nc_u32_e32 v7, 29, v7
	v_lshlrev_b64 v[10:11], v10, v[8:9]
	v_and_b32_e32 v10, 7, v10
; %bb.3627:                             ;   in Loop: Header=BB216_2083 Depth=1
	s_or_b32 exec_lo, exec_lo, s23
	v_lshlrev_b32_e32 v8, 16, v6
	v_lshlrev_b32_e32 v10, 20, v10
	v_lshl_add_u32 v7, v7, 23, 0x3c000000
	v_mov_b32_e32 v23, v9
	v_and_b32_e32 v8, 0x80000000, v8
	v_or3_b32 v24, v10, v8, v7
.LBB216_3628:                           ;   in Loop: Header=BB216_2083 Depth=1
	s_or_b32 exec_lo, exec_lo, s22
.LBB216_3629:                           ;   in Loop: Header=BB216_2083 Depth=1
	s_or_b32 exec_lo, exec_lo, s21
.LBB216_3630:                           ;   in Loop: Header=BB216_2083 Depth=1
	s_or_b32 exec_lo, exec_lo, s20
	v_mov_b32_e32 v10, 0
	v_mov_b32_e32 v25, 0
	v_and_b32_sdwa v7, v6, v76 dst_sel:DWORD dst_unused:UNUSED_PAD src0_sel:WORD_1 src1_sel:DWORD
	v_mov_b32_e32 v11, 0
	v_mov_b32_e32 v26, 0
	s_mov_b32 s20, exec_lo
	v_cmpx_ne_u16_e32 0, v7
	s_cbranch_execz .LBB216_3638
; %bb.3631:                             ;   in Loop: Header=BB216_2083 Depth=1
	v_bfrev_b32_e32 v25, 1
	v_mov_b32_e32 v26, 0
	s_mov_b32 s21, exec_lo
	v_cmpx_ne_u16_e32 0x80, v7
	s_cbranch_execz .LBB216_3637
; %bb.3632:                             ;   in Loop: Header=BB216_2083 Depth=1
	v_mov_b32_e32 v25, 0x7f800001
	v_bfe_u32 v13, v6, 16, 7
	v_mov_b32_e32 v26, 0
	s_mov_b32 s22, exec_lo
	v_cmpx_ne_u32_e32 0x7f, v13
	s_cbranch_execz .LBB216_3636
; %bb.3633:                             ;   in Loop: Header=BB216_2083 Depth=1
	v_and_b32_sdwa v8, v6, v77 dst_sel:DWORD dst_unused:UNUSED_PAD src0_sel:WORD_1 src1_sel:DWORD
	v_mov_b32_e32 v26, v9
	v_lshrrev_b32_e32 v7, 3, v13
	s_mov_b32 s23, exec_lo
	v_mov_b32_e32 v25, v8
	v_cmpx_gt_u32_e32 8, v13
; %bb.3634:                             ;   in Loop: Header=BB216_2083 Depth=1
	v_ffbh_u32_e32 v7, v8
	v_min_u32_e32 v7, 32, v7
	v_subrev_nc_u32_e32 v13, 28, v7
	v_sub_nc_u32_e32 v7, 29, v7
	v_lshlrev_b64 v[25:26], v13, v[8:9]
	v_and_b32_e32 v25, 7, v25
; %bb.3635:                             ;   in Loop: Header=BB216_2083 Depth=1
	s_or_b32 exec_lo, exec_lo, s23
	v_lshlrev_b32_sdwa v8, v78, v6 dst_sel:DWORD dst_unused:UNUSED_PAD src0_sel:DWORD src1_sel:WORD_1
	v_lshlrev_b32_e32 v13, 20, v25
	v_lshl_add_u32 v7, v7, 23, 0x3c000000
	v_and_b32_e32 v8, 0x80000000, v8
	v_or3_b32 v8, v13, v8, v7
	v_mov_b32_e32 v26, v9
	v_mov_b32_e32 v25, v8
.LBB216_3636:                           ;   in Loop: Header=BB216_2083 Depth=1
	s_or_b32 exec_lo, exec_lo, s22
.LBB216_3637:                           ;   in Loop: Header=BB216_2083 Depth=1
	s_or_b32 exec_lo, exec_lo, s21
.LBB216_3638:                           ;   in Loop: Header=BB216_2083 Depth=1
	s_or_b32 exec_lo, exec_lo, s20
	s_mov_b32 s20, exec_lo
	v_cmpx_lt_u32_e32 0xffffff, v6
	s_cbranch_execz .LBB216_3646
; %bb.3639:                             ;   in Loop: Header=BB216_2083 Depth=1
	v_mov_b32_e32 v11, v9
	v_cmp_ne_u32_sdwa s8, v6, v74 src0_sel:BYTE_3 src1_sel:DWORD
	v_mov_b32_e32 v10, v11
	v_mov_b32_e32 v11, v12
	s_and_saveexec_b32 s21, s8
	s_cbranch_execz .LBB216_3645
; %bb.3640:                             ;   in Loop: Header=BB216_2083 Depth=1
	v_mov_b32_e32 v13, v9
	v_bfe_u32 v30, v6, 24, 7
	s_mov_b32 s22, exec_lo
	v_mov_b32_e32 v10, v13
	v_mov_b32_e32 v11, v14
	v_cmpx_ne_u32_e32 0x7f, v30
	s_cbranch_execz .LBB216_3644
; %bb.3641:                             ;   in Loop: Header=BB216_2083 Depth=1
	v_and_b32_sdwa v8, v6, v77 dst_sel:DWORD dst_unused:UNUSED_PAD src0_sel:BYTE_3 src1_sel:DWORD
	v_mov_b32_e32 v11, v9
	v_lshrrev_b32_e32 v7, 3, v30
	s_mov_b32 s23, exec_lo
	v_mov_b32_e32 v10, v8
	v_cmpx_gt_u32_e32 8, v30
; %bb.3642:                             ;   in Loop: Header=BB216_2083 Depth=1
	v_ffbh_u32_e32 v7, v8
	v_min_u32_e32 v7, 32, v7
	v_subrev_nc_u32_e32 v10, 28, v7
	v_sub_nc_u32_e32 v7, 29, v7
	v_lshlrev_b64 v[10:11], v10, v[8:9]
	v_and_b32_e32 v10, 7, v10
; %bb.3643:                             ;   in Loop: Header=BB216_2083 Depth=1
	s_or_b32 exec_lo, exec_lo, s23
	v_lshlrev_b32_sdwa v6, v78, v6 dst_sel:DWORD dst_unused:UNUSED_PAD src0_sel:DWORD src1_sel:BYTE_3
	v_lshlrev_b32_e32 v8, 20, v10
	v_lshl_add_u32 v7, v7, 23, 0x3c000000
	v_mov_b32_e32 v10, v9
	v_and_b32_e32 v6, 0x80000000, v6
	v_or3_b32 v11, v8, v6, v7
.LBB216_3644:                           ;   in Loop: Header=BB216_2083 Depth=1
	s_or_b32 exec_lo, exec_lo, s22
.LBB216_3645:                           ;   in Loop: Header=BB216_2083 Depth=1
	s_or_b32 exec_lo, exec_lo, s21
.LBB216_3646:                           ;   in Loop: Header=BB216_2083 Depth=1
	s_or_b32 exec_lo, exec_lo, s20
	v_or_b32_e32 v6, v24, v22
	v_or_b32_e32 v7, v23, v21
	;; [unrolled: 1-line block ×4, first 2 shown]
	v_mul_f32_e32 v95, v106, v6
	v_mul_f32_e32 v94, v106, v7
	;; [unrolled: 1-line block ×4, first 2 shown]
	s_and_saveexec_b32 s8, s7
; %bb.3647:                             ;   in Loop: Header=BB216_2083 Depth=1
	v_cndmask_b32_e32 v94, 0, v94, vcc_lo
	v_cndmask_b32_e64 v95, 0, v95, s4
	v_cndmask_b32_e64 v72, 0, v72, s5
	;; [unrolled: 1-line block ×3, first 2 shown]
; %bb.3648:                             ;   in Loop: Header=BB216_2083 Depth=1
	s_or_b32 exec_lo, exec_lo, s8
	flat_load_dword v6, v[19:20] offset:1792
	v_mov_b32_e32 v23, 0
	v_mov_b32_e32 v21, 0
	;; [unrolled: 1-line block ×4, first 2 shown]
	s_waitcnt vmcnt(0) lgkmcnt(0)
	v_cmp_ne_u16_sdwa s8, v6, v9 src0_sel:BYTE_0 src1_sel:DWORD
	s_and_saveexec_b32 s20, s8
	s_cbranch_execz .LBB216_3656
; %bb.3649:                             ;   in Loop: Header=BB216_2083 Depth=1
	v_bfrev_b32_e32 v21, 1
	v_mov_b32_e32 v22, 0
	v_cmp_ne_u16_sdwa s8, v6, v74 src0_sel:BYTE_0 src1_sel:DWORD
	s_and_saveexec_b32 s21, s8
	s_cbranch_execz .LBB216_3655
; %bb.3650:                             ;   in Loop: Header=BB216_2083 Depth=1
	v_mov_b32_e32 v21, 0x7f800001
	v_and_b32_e32 v10, 0x7f, v6
	v_mov_b32_e32 v22, 0
	s_mov_b32 s22, exec_lo
	v_cmpx_ne_u32_e32 0x7f, v10
	s_cbranch_execz .LBB216_3654
; %bb.3651:                             ;   in Loop: Header=BB216_2083 Depth=1
	v_and_b32_e32 v8, 7, v6
	v_lshrrev_b32_e32 v7, 3, v10
	v_cmp_gt_u32_e64 s8, 8, v10
	v_mov_b32_e32 v11, v9
	v_mov_b32_e32 v10, v8
	s_and_saveexec_b32 s23, s8
; %bb.3652:                             ;   in Loop: Header=BB216_2083 Depth=1
	v_ffbh_u32_e32 v7, v8
	v_min_u32_e32 v7, 32, v7
	v_subrev_nc_u32_e32 v10, 28, v7
	v_sub_nc_u32_e32 v7, 29, v7
	v_lshlrev_b64 v[10:11], v10, v[8:9]
	v_and_b32_e32 v10, 7, v10
; %bb.3653:                             ;   in Loop: Header=BB216_2083 Depth=1
	s_or_b32 exec_lo, exec_lo, s23
	v_lshlrev_b32_e32 v8, 24, v6
	v_lshlrev_b32_e32 v10, 20, v10
	v_lshl_add_u32 v7, v7, 23, 0x3c000000
	v_and_b32_e32 v8, 0x80000000, v8
	v_or3_b32 v8, v10, v8, v7
	v_mov_b32_e32 v22, v9
	v_mov_b32_e32 v21, v8
.LBB216_3654:                           ;   in Loop: Header=BB216_2083 Depth=1
	s_or_b32 exec_lo, exec_lo, s22
.LBB216_3655:                           ;   in Loop: Header=BB216_2083 Depth=1
	s_or_b32 exec_lo, exec_lo, s21
.LBB216_3656:                           ;   in Loop: Header=BB216_2083 Depth=1
	s_or_b32 exec_lo, exec_lo, s20
	v_cmp_ne_u16_sdwa s8, v6, v9 src0_sel:BYTE_1 src1_sel:DWORD
	s_and_saveexec_b32 s20, s8
	s_cbranch_execz .LBB216_3664
; %bb.3657:                             ;   in Loop: Header=BB216_2083 Depth=1
	v_mov_b32_e32 v11, v9
	v_mov_b32_e32 v24, v12
	v_cmp_ne_u16_sdwa s8, v6, v74 src0_sel:BYTE_1 src1_sel:DWORD
	v_mov_b32_e32 v23, v11
	s_and_saveexec_b32 s21, s8
	s_cbranch_execz .LBB216_3663
; %bb.3658:                             ;   in Loop: Header=BB216_2083 Depth=1
	v_and_b32_sdwa v7, v75, v6 dst_sel:DWORD dst_unused:UNUSED_PAD src0_sel:DWORD src1_sel:BYTE_1
	v_mov_b32_e32 v13, v9
	v_mov_b32_e32 v24, v14
	s_mov_b32 s22, exec_lo
	v_and_b32_e32 v10, 0x7f, v7
	v_mov_b32_e32 v23, v13
	v_cmpx_ne_u32_e32 0x7f, v10
	s_cbranch_execz .LBB216_3662
; %bb.3659:                             ;   in Loop: Header=BB216_2083 Depth=1
	v_and_b32_e32 v8, 7, v7
	v_lshrrev_b32_e32 v7, 3, v10
	v_cmp_gt_u32_e64 s8, 8, v10
	v_mov_b32_e32 v11, v9
	v_mov_b32_e32 v10, v8
	s_and_saveexec_b32 s23, s8
; %bb.3660:                             ;   in Loop: Header=BB216_2083 Depth=1
	v_ffbh_u32_e32 v7, v8
	v_min_u32_e32 v7, 32, v7
	v_subrev_nc_u32_e32 v10, 28, v7
	v_sub_nc_u32_e32 v7, 29, v7
	v_lshlrev_b64 v[10:11], v10, v[8:9]
	v_and_b32_e32 v10, 7, v10
; %bb.3661:                             ;   in Loop: Header=BB216_2083 Depth=1
	s_or_b32 exec_lo, exec_lo, s23
	v_lshlrev_b32_e32 v8, 16, v6
	v_lshlrev_b32_e32 v10, 20, v10
	v_lshl_add_u32 v7, v7, 23, 0x3c000000
	v_mov_b32_e32 v23, v9
	v_and_b32_e32 v8, 0x80000000, v8
	v_or3_b32 v24, v10, v8, v7
.LBB216_3662:                           ;   in Loop: Header=BB216_2083 Depth=1
	s_or_b32 exec_lo, exec_lo, s22
.LBB216_3663:                           ;   in Loop: Header=BB216_2083 Depth=1
	s_or_b32 exec_lo, exec_lo, s21
.LBB216_3664:                           ;   in Loop: Header=BB216_2083 Depth=1
	s_or_b32 exec_lo, exec_lo, s20
	v_mov_b32_e32 v10, 0
	v_mov_b32_e32 v25, 0
	v_and_b32_sdwa v7, v6, v76 dst_sel:DWORD dst_unused:UNUSED_PAD src0_sel:WORD_1 src1_sel:DWORD
	v_mov_b32_e32 v11, 0
	v_mov_b32_e32 v26, 0
	s_mov_b32 s20, exec_lo
	v_cmpx_ne_u16_e32 0, v7
	s_cbranch_execz .LBB216_3672
; %bb.3665:                             ;   in Loop: Header=BB216_2083 Depth=1
	v_bfrev_b32_e32 v25, 1
	v_mov_b32_e32 v26, 0
	s_mov_b32 s21, exec_lo
	v_cmpx_ne_u16_e32 0x80, v7
	s_cbranch_execz .LBB216_3671
; %bb.3666:                             ;   in Loop: Header=BB216_2083 Depth=1
	v_mov_b32_e32 v25, 0x7f800001
	v_bfe_u32 v13, v6, 16, 7
	v_mov_b32_e32 v26, 0
	s_mov_b32 s22, exec_lo
	v_cmpx_ne_u32_e32 0x7f, v13
	s_cbranch_execz .LBB216_3670
; %bb.3667:                             ;   in Loop: Header=BB216_2083 Depth=1
	v_and_b32_sdwa v8, v6, v77 dst_sel:DWORD dst_unused:UNUSED_PAD src0_sel:WORD_1 src1_sel:DWORD
	v_mov_b32_e32 v26, v9
	v_lshrrev_b32_e32 v7, 3, v13
	s_mov_b32 s23, exec_lo
	v_mov_b32_e32 v25, v8
	v_cmpx_gt_u32_e32 8, v13
; %bb.3668:                             ;   in Loop: Header=BB216_2083 Depth=1
	v_ffbh_u32_e32 v7, v8
	v_min_u32_e32 v7, 32, v7
	v_subrev_nc_u32_e32 v13, 28, v7
	v_sub_nc_u32_e32 v7, 29, v7
	v_lshlrev_b64 v[25:26], v13, v[8:9]
	v_and_b32_e32 v25, 7, v25
; %bb.3669:                             ;   in Loop: Header=BB216_2083 Depth=1
	s_or_b32 exec_lo, exec_lo, s23
	v_lshlrev_b32_sdwa v8, v78, v6 dst_sel:DWORD dst_unused:UNUSED_PAD src0_sel:DWORD src1_sel:WORD_1
	v_lshlrev_b32_e32 v13, 20, v25
	v_lshl_add_u32 v7, v7, 23, 0x3c000000
	v_and_b32_e32 v8, 0x80000000, v8
	v_or3_b32 v8, v13, v8, v7
	v_mov_b32_e32 v26, v9
	v_mov_b32_e32 v25, v8
.LBB216_3670:                           ;   in Loop: Header=BB216_2083 Depth=1
	s_or_b32 exec_lo, exec_lo, s22
.LBB216_3671:                           ;   in Loop: Header=BB216_2083 Depth=1
	s_or_b32 exec_lo, exec_lo, s21
.LBB216_3672:                           ;   in Loop: Header=BB216_2083 Depth=1
	s_or_b32 exec_lo, exec_lo, s20
	s_mov_b32 s20, exec_lo
	v_cmpx_lt_u32_e32 0xffffff, v6
	s_cbranch_execz .LBB216_3680
; %bb.3673:                             ;   in Loop: Header=BB216_2083 Depth=1
	v_mov_b32_e32 v11, v9
	v_cmp_ne_u32_sdwa s8, v6, v74 src0_sel:BYTE_3 src1_sel:DWORD
	v_mov_b32_e32 v10, v11
	v_mov_b32_e32 v11, v12
	s_and_saveexec_b32 s21, s8
	s_cbranch_execz .LBB216_3679
; %bb.3674:                             ;   in Loop: Header=BB216_2083 Depth=1
	v_mov_b32_e32 v13, v9
	v_bfe_u32 v30, v6, 24, 7
	s_mov_b32 s22, exec_lo
	v_mov_b32_e32 v10, v13
	v_mov_b32_e32 v11, v14
	v_cmpx_ne_u32_e32 0x7f, v30
	s_cbranch_execz .LBB216_3678
; %bb.3675:                             ;   in Loop: Header=BB216_2083 Depth=1
	v_and_b32_sdwa v8, v6, v77 dst_sel:DWORD dst_unused:UNUSED_PAD src0_sel:BYTE_3 src1_sel:DWORD
	v_mov_b32_e32 v11, v9
	v_lshrrev_b32_e32 v7, 3, v30
	s_mov_b32 s23, exec_lo
	v_mov_b32_e32 v10, v8
	v_cmpx_gt_u32_e32 8, v30
; %bb.3676:                             ;   in Loop: Header=BB216_2083 Depth=1
	v_ffbh_u32_e32 v7, v8
	v_min_u32_e32 v7, 32, v7
	v_subrev_nc_u32_e32 v10, 28, v7
	v_sub_nc_u32_e32 v7, 29, v7
	v_lshlrev_b64 v[10:11], v10, v[8:9]
	v_and_b32_e32 v10, 7, v10
; %bb.3677:                             ;   in Loop: Header=BB216_2083 Depth=1
	s_or_b32 exec_lo, exec_lo, s23
	v_lshlrev_b32_sdwa v6, v78, v6 dst_sel:DWORD dst_unused:UNUSED_PAD src0_sel:DWORD src1_sel:BYTE_3
	v_lshlrev_b32_e32 v8, 20, v10
	v_lshl_add_u32 v7, v7, 23, 0x3c000000
	v_mov_b32_e32 v10, v9
	v_and_b32_e32 v6, 0x80000000, v6
	v_or3_b32 v11, v8, v6, v7
.LBB216_3678:                           ;   in Loop: Header=BB216_2083 Depth=1
	s_or_b32 exec_lo, exec_lo, s22
.LBB216_3679:                           ;   in Loop: Header=BB216_2083 Depth=1
	s_or_b32 exec_lo, exec_lo, s21
.LBB216_3680:                           ;   in Loop: Header=BB216_2083 Depth=1
	s_or_b32 exec_lo, exec_lo, s20
	v_or_b32_e32 v6, v24, v22
	v_or_b32_e32 v7, v23, v21
	;; [unrolled: 1-line block ×4, first 2 shown]
	v_mul_f32_e32 v105, v106, v6
	v_mul_f32_e32 v104, v106, v7
	v_mul_f32_e32 v26, v106, v8
	v_mul_f32_e32 v25, v106, v10
	s_and_saveexec_b32 s8, s7
; %bb.3681:                             ;   in Loop: Header=BB216_2083 Depth=1
	v_cndmask_b32_e32 v104, 0, v104, vcc_lo
	v_cndmask_b32_e64 v105, 0, v105, s4
	v_cndmask_b32_e64 v26, 0, v26, s5
	;; [unrolled: 1-line block ×3, first 2 shown]
; %bb.3682:                             ;   in Loop: Header=BB216_2083 Depth=1
	s_or_b32 exec_lo, exec_lo, s8
	flat_load_dword v6, v[19:20] offset:1920
	v_mov_b32_e32 v21, 0
	v_mov_b32_e32 v19, 0
	;; [unrolled: 1-line block ×4, first 2 shown]
	s_waitcnt vmcnt(0) lgkmcnt(0)
	v_cmp_ne_u16_sdwa s8, v6, v9 src0_sel:BYTE_0 src1_sel:DWORD
	s_and_saveexec_b32 s20, s8
	s_cbranch_execz .LBB216_3690
; %bb.3683:                             ;   in Loop: Header=BB216_2083 Depth=1
	v_bfrev_b32_e32 v19, 1
	v_mov_b32_e32 v20, 0
	v_cmp_ne_u16_sdwa s8, v6, v74 src0_sel:BYTE_0 src1_sel:DWORD
	s_and_saveexec_b32 s21, s8
	s_cbranch_execz .LBB216_3689
; %bb.3684:                             ;   in Loop: Header=BB216_2083 Depth=1
	v_mov_b32_e32 v19, 0x7f800001
	v_and_b32_e32 v10, 0x7f, v6
	v_mov_b32_e32 v20, 0
	s_mov_b32 s22, exec_lo
	v_cmpx_ne_u32_e32 0x7f, v10
	s_cbranch_execz .LBB216_3688
; %bb.3685:                             ;   in Loop: Header=BB216_2083 Depth=1
	v_and_b32_e32 v8, 7, v6
	v_lshrrev_b32_e32 v7, 3, v10
	v_cmp_gt_u32_e64 s8, 8, v10
	v_mov_b32_e32 v11, v9
	v_mov_b32_e32 v10, v8
	s_and_saveexec_b32 s23, s8
; %bb.3686:                             ;   in Loop: Header=BB216_2083 Depth=1
	v_ffbh_u32_e32 v7, v8
	v_min_u32_e32 v7, 32, v7
	v_subrev_nc_u32_e32 v10, 28, v7
	v_sub_nc_u32_e32 v7, 29, v7
	v_lshlrev_b64 v[10:11], v10, v[8:9]
	v_and_b32_e32 v10, 7, v10
; %bb.3687:                             ;   in Loop: Header=BB216_2083 Depth=1
	s_or_b32 exec_lo, exec_lo, s23
	v_lshlrev_b32_e32 v8, 24, v6
	v_lshlrev_b32_e32 v10, 20, v10
	v_lshl_add_u32 v7, v7, 23, 0x3c000000
	v_and_b32_e32 v8, 0x80000000, v8
	v_or3_b32 v8, v10, v8, v7
	v_mov_b32_e32 v20, v9
	v_mov_b32_e32 v19, v8
.LBB216_3688:                           ;   in Loop: Header=BB216_2083 Depth=1
	s_or_b32 exec_lo, exec_lo, s22
.LBB216_3689:                           ;   in Loop: Header=BB216_2083 Depth=1
	s_or_b32 exec_lo, exec_lo, s21
.LBB216_3690:                           ;   in Loop: Header=BB216_2083 Depth=1
	s_or_b32 exec_lo, exec_lo, s20
	v_cmp_ne_u16_sdwa s8, v6, v9 src0_sel:BYTE_1 src1_sel:DWORD
	s_and_saveexec_b32 s20, s8
	s_cbranch_execz .LBB216_3698
; %bb.3691:                             ;   in Loop: Header=BB216_2083 Depth=1
	v_mov_b32_e32 v11, v9
	v_mov_b32_e32 v22, v12
	v_cmp_ne_u16_sdwa s8, v6, v74 src0_sel:BYTE_1 src1_sel:DWORD
	v_mov_b32_e32 v21, v11
	s_and_saveexec_b32 s21, s8
	s_cbranch_execz .LBB216_3697
; %bb.3692:                             ;   in Loop: Header=BB216_2083 Depth=1
	v_and_b32_sdwa v7, v75, v6 dst_sel:DWORD dst_unused:UNUSED_PAD src0_sel:DWORD src1_sel:BYTE_1
	v_mov_b32_e32 v13, v9
	v_mov_b32_e32 v22, v14
	s_mov_b32 s22, exec_lo
	v_and_b32_e32 v10, 0x7f, v7
	v_mov_b32_e32 v21, v13
	v_cmpx_ne_u32_e32 0x7f, v10
	s_cbranch_execz .LBB216_3696
; %bb.3693:                             ;   in Loop: Header=BB216_2083 Depth=1
	v_and_b32_e32 v8, 7, v7
	v_lshrrev_b32_e32 v7, 3, v10
	v_cmp_gt_u32_e64 s8, 8, v10
	v_mov_b32_e32 v11, v9
	v_mov_b32_e32 v10, v8
	s_and_saveexec_b32 s23, s8
; %bb.3694:                             ;   in Loop: Header=BB216_2083 Depth=1
	v_ffbh_u32_e32 v7, v8
	v_min_u32_e32 v7, 32, v7
	v_subrev_nc_u32_e32 v10, 28, v7
	v_sub_nc_u32_e32 v7, 29, v7
	v_lshlrev_b64 v[10:11], v10, v[8:9]
	v_and_b32_e32 v10, 7, v10
; %bb.3695:                             ;   in Loop: Header=BB216_2083 Depth=1
	s_or_b32 exec_lo, exec_lo, s23
	v_lshlrev_b32_e32 v8, 16, v6
	v_lshlrev_b32_e32 v10, 20, v10
	v_lshl_add_u32 v7, v7, 23, 0x3c000000
	v_mov_b32_e32 v21, v9
	v_and_b32_e32 v8, 0x80000000, v8
	v_or3_b32 v22, v10, v8, v7
.LBB216_3696:                           ;   in Loop: Header=BB216_2083 Depth=1
	s_or_b32 exec_lo, exec_lo, s22
.LBB216_3697:                           ;   in Loop: Header=BB216_2083 Depth=1
	s_or_b32 exec_lo, exec_lo, s21
.LBB216_3698:                           ;   in Loop: Header=BB216_2083 Depth=1
	s_or_b32 exec_lo, exec_lo, s20
	v_mov_b32_e32 v10, 0
	v_mov_b32_e32 v23, 0
	v_and_b32_sdwa v7, v6, v76 dst_sel:DWORD dst_unused:UNUSED_PAD src0_sel:WORD_1 src1_sel:DWORD
	v_mov_b32_e32 v11, 0
	v_mov_b32_e32 v24, 0
	s_mov_b32 s20, exec_lo
	v_cmpx_ne_u16_e32 0, v7
	s_cbranch_execz .LBB216_3706
; %bb.3699:                             ;   in Loop: Header=BB216_2083 Depth=1
	v_bfrev_b32_e32 v23, 1
	v_mov_b32_e32 v24, 0
	s_mov_b32 s21, exec_lo
	v_cmpx_ne_u16_e32 0x80, v7
	s_cbranch_execz .LBB216_3705
; %bb.3700:                             ;   in Loop: Header=BB216_2083 Depth=1
	v_mov_b32_e32 v23, 0x7f800001
	v_bfe_u32 v13, v6, 16, 7
	v_mov_b32_e32 v24, 0
	s_mov_b32 s22, exec_lo
	v_cmpx_ne_u32_e32 0x7f, v13
	s_cbranch_execz .LBB216_3704
; %bb.3701:                             ;   in Loop: Header=BB216_2083 Depth=1
	v_and_b32_sdwa v8, v6, v77 dst_sel:DWORD dst_unused:UNUSED_PAD src0_sel:WORD_1 src1_sel:DWORD
	v_mov_b32_e32 v24, v9
	v_lshrrev_b32_e32 v7, 3, v13
	s_mov_b32 s23, exec_lo
	v_mov_b32_e32 v23, v8
	v_cmpx_gt_u32_e32 8, v13
; %bb.3702:                             ;   in Loop: Header=BB216_2083 Depth=1
	v_ffbh_u32_e32 v7, v8
	v_min_u32_e32 v7, 32, v7
	v_subrev_nc_u32_e32 v13, 28, v7
	v_sub_nc_u32_e32 v7, 29, v7
	v_lshlrev_b64 v[23:24], v13, v[8:9]
	v_and_b32_e32 v23, 7, v23
; %bb.3703:                             ;   in Loop: Header=BB216_2083 Depth=1
	s_or_b32 exec_lo, exec_lo, s23
	v_lshlrev_b32_sdwa v8, v78, v6 dst_sel:DWORD dst_unused:UNUSED_PAD src0_sel:DWORD src1_sel:WORD_1
	v_lshlrev_b32_e32 v13, 20, v23
	v_lshl_add_u32 v7, v7, 23, 0x3c000000
	v_and_b32_e32 v8, 0x80000000, v8
	v_or3_b32 v8, v13, v8, v7
	v_mov_b32_e32 v24, v9
	v_mov_b32_e32 v23, v8
.LBB216_3704:                           ;   in Loop: Header=BB216_2083 Depth=1
	s_or_b32 exec_lo, exec_lo, s22
.LBB216_3705:                           ;   in Loop: Header=BB216_2083 Depth=1
	s_or_b32 exec_lo, exec_lo, s21
.LBB216_3706:                           ;   in Loop: Header=BB216_2083 Depth=1
	s_or_b32 exec_lo, exec_lo, s20
	s_mov_b32 s20, exec_lo
	v_cmpx_lt_u32_e32 0xffffff, v6
	s_cbranch_execz .LBB216_3714
; %bb.3707:                             ;   in Loop: Header=BB216_2083 Depth=1
	v_mov_b32_e32 v11, v9
	v_cmp_ne_u32_sdwa s8, v6, v74 src0_sel:BYTE_3 src1_sel:DWORD
	v_mov_b32_e32 v10, v11
	v_mov_b32_e32 v11, v12
	s_and_saveexec_b32 s21, s8
	s_cbranch_execz .LBB216_3713
; %bb.3708:                             ;   in Loop: Header=BB216_2083 Depth=1
	v_mov_b32_e32 v13, v9
	v_bfe_u32 v30, v6, 24, 7
	s_mov_b32 s22, exec_lo
	v_mov_b32_e32 v10, v13
	v_mov_b32_e32 v11, v14
	v_cmpx_ne_u32_e32 0x7f, v30
	s_cbranch_execz .LBB216_3712
; %bb.3709:                             ;   in Loop: Header=BB216_2083 Depth=1
	v_and_b32_sdwa v8, v6, v77 dst_sel:DWORD dst_unused:UNUSED_PAD src0_sel:BYTE_3 src1_sel:DWORD
	v_mov_b32_e32 v11, v9
	v_lshrrev_b32_e32 v7, 3, v30
	s_mov_b32 s23, exec_lo
	v_mov_b32_e32 v10, v8
	v_cmpx_gt_u32_e32 8, v30
; %bb.3710:                             ;   in Loop: Header=BB216_2083 Depth=1
	v_ffbh_u32_e32 v7, v8
	v_min_u32_e32 v7, 32, v7
	v_subrev_nc_u32_e32 v10, 28, v7
	v_sub_nc_u32_e32 v7, 29, v7
	v_lshlrev_b64 v[10:11], v10, v[8:9]
	v_and_b32_e32 v10, 7, v10
; %bb.3711:                             ;   in Loop: Header=BB216_2083 Depth=1
	s_or_b32 exec_lo, exec_lo, s23
	v_lshlrev_b32_sdwa v6, v78, v6 dst_sel:DWORD dst_unused:UNUSED_PAD src0_sel:DWORD src1_sel:BYTE_3
	v_lshlrev_b32_e32 v8, 20, v10
	v_lshl_add_u32 v7, v7, 23, 0x3c000000
	v_mov_b32_e32 v10, v9
	v_and_b32_e32 v6, 0x80000000, v6
	v_or3_b32 v11, v8, v6, v7
.LBB216_3712:                           ;   in Loop: Header=BB216_2083 Depth=1
	s_or_b32 exec_lo, exec_lo, s22
.LBB216_3713:                           ;   in Loop: Header=BB216_2083 Depth=1
	s_or_b32 exec_lo, exec_lo, s21
.LBB216_3714:                           ;   in Loop: Header=BB216_2083 Depth=1
	s_or_b32 exec_lo, exec_lo, s20
	v_or_b32_e32 v6, v22, v20
	v_or_b32_e32 v7, v21, v19
	;; [unrolled: 1-line block ×4, first 2 shown]
	v_mul_f32_e32 v110, v106, v6
	v_mul_f32_e32 v109, v106, v7
	;; [unrolled: 1-line block ×4, first 2 shown]
	s_and_saveexec_b32 s8, s7
; %bb.3715:                             ;   in Loop: Header=BB216_2083 Depth=1
	v_cndmask_b32_e32 v109, 0, v109, vcc_lo
	v_cndmask_b32_e64 v110, 0, v110, s4
	v_cndmask_b32_e64 v108, 0, v108, s5
	;; [unrolled: 1-line block ×3, first 2 shown]
; %bb.3716:                             ;   in Loop: Header=BB216_2083 Depth=1
	s_or_b32 exec_lo, exec_lo, s8
	v_add_co_u32 v0, s8, 0x1800, v0
	v_add_co_ci_u32_e64 v1, null, 0, v1, s8
	v_mov_b32_e32 v21, 0
	v_mov_b32_e32 v19, 0
	;; [unrolled: 1-line block ×3, first 2 shown]
	flat_load_dword v6, v[0:1]
	v_mov_b32_e32 v20, 0
	s_waitcnt vmcnt(0) lgkmcnt(0)
	v_cmp_ne_u16_sdwa s8, v6, v9 src0_sel:BYTE_0 src1_sel:DWORD
	s_and_saveexec_b32 s20, s8
	s_cbranch_execz .LBB216_3724
; %bb.3717:                             ;   in Loop: Header=BB216_2083 Depth=1
	v_bfrev_b32_e32 v19, 1
	v_mov_b32_e32 v20, 0
	v_cmp_ne_u16_sdwa s8, v6, v74 src0_sel:BYTE_0 src1_sel:DWORD
	s_and_saveexec_b32 s21, s8
	s_cbranch_execz .LBB216_3723
; %bb.3718:                             ;   in Loop: Header=BB216_2083 Depth=1
	v_mov_b32_e32 v19, 0x7f800001
	v_and_b32_e32 v10, 0x7f, v6
	v_mov_b32_e32 v20, 0
	s_mov_b32 s22, exec_lo
	v_cmpx_ne_u32_e32 0x7f, v10
	s_cbranch_execz .LBB216_3722
; %bb.3719:                             ;   in Loop: Header=BB216_2083 Depth=1
	v_and_b32_e32 v8, 7, v6
	v_lshrrev_b32_e32 v7, 3, v10
	v_cmp_gt_u32_e64 s8, 8, v10
	v_mov_b32_e32 v11, v9
	v_mov_b32_e32 v10, v8
	s_and_saveexec_b32 s23, s8
; %bb.3720:                             ;   in Loop: Header=BB216_2083 Depth=1
	v_ffbh_u32_e32 v7, v8
	v_min_u32_e32 v7, 32, v7
	v_subrev_nc_u32_e32 v10, 28, v7
	v_sub_nc_u32_e32 v7, 29, v7
	v_lshlrev_b64 v[10:11], v10, v[8:9]
	v_and_b32_e32 v10, 7, v10
; %bb.3721:                             ;   in Loop: Header=BB216_2083 Depth=1
	s_or_b32 exec_lo, exec_lo, s23
	v_lshlrev_b32_e32 v8, 24, v6
	v_lshlrev_b32_e32 v10, 20, v10
	v_lshl_add_u32 v7, v7, 23, 0x3c000000
	v_and_b32_e32 v8, 0x80000000, v8
	v_or3_b32 v8, v10, v8, v7
	v_mov_b32_e32 v20, v9
	v_mov_b32_e32 v19, v8
.LBB216_3722:                           ;   in Loop: Header=BB216_2083 Depth=1
	s_or_b32 exec_lo, exec_lo, s22
.LBB216_3723:                           ;   in Loop: Header=BB216_2083 Depth=1
	s_or_b32 exec_lo, exec_lo, s21
.LBB216_3724:                           ;   in Loop: Header=BB216_2083 Depth=1
	s_or_b32 exec_lo, exec_lo, s20
	v_cmp_ne_u16_sdwa s8, v6, v9 src0_sel:BYTE_1 src1_sel:DWORD
	s_and_saveexec_b32 s20, s8
	s_cbranch_execz .LBB216_3732
; %bb.3725:                             ;   in Loop: Header=BB216_2083 Depth=1
	v_mov_b32_e32 v11, v9
	v_mov_b32_e32 v22, v12
	v_cmp_ne_u16_sdwa s8, v6, v74 src0_sel:BYTE_1 src1_sel:DWORD
	v_mov_b32_e32 v21, v11
	s_and_saveexec_b32 s21, s8
	s_cbranch_execz .LBB216_3731
; %bb.3726:                             ;   in Loop: Header=BB216_2083 Depth=1
	v_and_b32_sdwa v7, v75, v6 dst_sel:DWORD dst_unused:UNUSED_PAD src0_sel:DWORD src1_sel:BYTE_1
	v_mov_b32_e32 v13, v9
	v_mov_b32_e32 v22, v14
	s_mov_b32 s22, exec_lo
	v_and_b32_e32 v10, 0x7f, v7
	v_mov_b32_e32 v21, v13
	v_cmpx_ne_u32_e32 0x7f, v10
	s_cbranch_execz .LBB216_3730
; %bb.3727:                             ;   in Loop: Header=BB216_2083 Depth=1
	v_and_b32_e32 v8, 7, v7
	v_lshrrev_b32_e32 v7, 3, v10
	v_cmp_gt_u32_e64 s8, 8, v10
	v_mov_b32_e32 v11, v9
	v_mov_b32_e32 v10, v8
	s_and_saveexec_b32 s23, s8
; %bb.3728:                             ;   in Loop: Header=BB216_2083 Depth=1
	v_ffbh_u32_e32 v7, v8
	v_min_u32_e32 v7, 32, v7
	v_subrev_nc_u32_e32 v10, 28, v7
	v_sub_nc_u32_e32 v7, 29, v7
	v_lshlrev_b64 v[10:11], v10, v[8:9]
	v_and_b32_e32 v10, 7, v10
; %bb.3729:                             ;   in Loop: Header=BB216_2083 Depth=1
	s_or_b32 exec_lo, exec_lo, s23
	v_lshlrev_b32_e32 v8, 16, v6
	v_lshlrev_b32_e32 v10, 20, v10
	v_lshl_add_u32 v7, v7, 23, 0x3c000000
	v_mov_b32_e32 v21, v9
	v_and_b32_e32 v8, 0x80000000, v8
	v_or3_b32 v22, v10, v8, v7
.LBB216_3730:                           ;   in Loop: Header=BB216_2083 Depth=1
	s_or_b32 exec_lo, exec_lo, s22
.LBB216_3731:                           ;   in Loop: Header=BB216_2083 Depth=1
	s_or_b32 exec_lo, exec_lo, s21
.LBB216_3732:                           ;   in Loop: Header=BB216_2083 Depth=1
	s_or_b32 exec_lo, exec_lo, s20
	v_mov_b32_e32 v10, 0
	v_mov_b32_e32 v23, 0
	v_and_b32_sdwa v7, v6, v76 dst_sel:DWORD dst_unused:UNUSED_PAD src0_sel:WORD_1 src1_sel:DWORD
	v_mov_b32_e32 v11, 0
	v_mov_b32_e32 v24, 0
	s_mov_b32 s20, exec_lo
	v_cmpx_ne_u16_e32 0, v7
	s_cbranch_execz .LBB216_3740
; %bb.3733:                             ;   in Loop: Header=BB216_2083 Depth=1
	v_bfrev_b32_e32 v23, 1
	v_mov_b32_e32 v24, 0
	s_mov_b32 s21, exec_lo
	v_cmpx_ne_u16_e32 0x80, v7
	s_cbranch_execz .LBB216_3739
; %bb.3734:                             ;   in Loop: Header=BB216_2083 Depth=1
	v_mov_b32_e32 v23, 0x7f800001
	v_bfe_u32 v13, v6, 16, 7
	v_mov_b32_e32 v24, 0
	s_mov_b32 s22, exec_lo
	v_cmpx_ne_u32_e32 0x7f, v13
	s_cbranch_execz .LBB216_3738
; %bb.3735:                             ;   in Loop: Header=BB216_2083 Depth=1
	v_and_b32_sdwa v8, v6, v77 dst_sel:DWORD dst_unused:UNUSED_PAD src0_sel:WORD_1 src1_sel:DWORD
	v_mov_b32_e32 v24, v9
	v_lshrrev_b32_e32 v7, 3, v13
	s_mov_b32 s23, exec_lo
	v_mov_b32_e32 v23, v8
	v_cmpx_gt_u32_e32 8, v13
; %bb.3736:                             ;   in Loop: Header=BB216_2083 Depth=1
	v_ffbh_u32_e32 v7, v8
	v_min_u32_e32 v7, 32, v7
	v_subrev_nc_u32_e32 v13, 28, v7
	v_sub_nc_u32_e32 v7, 29, v7
	v_lshlrev_b64 v[23:24], v13, v[8:9]
	v_and_b32_e32 v23, 7, v23
; %bb.3737:                             ;   in Loop: Header=BB216_2083 Depth=1
	s_or_b32 exec_lo, exec_lo, s23
	v_lshlrev_b32_sdwa v8, v78, v6 dst_sel:DWORD dst_unused:UNUSED_PAD src0_sel:DWORD src1_sel:WORD_1
	v_lshlrev_b32_e32 v13, 20, v23
	v_lshl_add_u32 v7, v7, 23, 0x3c000000
	v_and_b32_e32 v8, 0x80000000, v8
	v_or3_b32 v8, v13, v8, v7
	v_mov_b32_e32 v24, v9
	v_mov_b32_e32 v23, v8
.LBB216_3738:                           ;   in Loop: Header=BB216_2083 Depth=1
	s_or_b32 exec_lo, exec_lo, s22
.LBB216_3739:                           ;   in Loop: Header=BB216_2083 Depth=1
	s_or_b32 exec_lo, exec_lo, s21
.LBB216_3740:                           ;   in Loop: Header=BB216_2083 Depth=1
	s_or_b32 exec_lo, exec_lo, s20
	s_mov_b32 s20, exec_lo
	v_cmpx_lt_u32_e32 0xffffff, v6
	s_cbranch_execz .LBB216_3748
; %bb.3741:                             ;   in Loop: Header=BB216_2083 Depth=1
	v_mov_b32_e32 v11, v9
	v_cmp_ne_u32_sdwa s8, v6, v74 src0_sel:BYTE_3 src1_sel:DWORD
	v_mov_b32_e32 v10, v11
	v_mov_b32_e32 v11, v12
	s_and_saveexec_b32 s21, s8
	s_cbranch_execz .LBB216_3747
; %bb.3742:                             ;   in Loop: Header=BB216_2083 Depth=1
	v_mov_b32_e32 v13, v9
	v_bfe_u32 v30, v6, 24, 7
	s_mov_b32 s22, exec_lo
	v_mov_b32_e32 v10, v13
	v_mov_b32_e32 v11, v14
	v_cmpx_ne_u32_e32 0x7f, v30
	s_cbranch_execz .LBB216_3746
; %bb.3743:                             ;   in Loop: Header=BB216_2083 Depth=1
	v_and_b32_sdwa v8, v6, v77 dst_sel:DWORD dst_unused:UNUSED_PAD src0_sel:BYTE_3 src1_sel:DWORD
	v_mov_b32_e32 v11, v9
	v_lshrrev_b32_e32 v7, 3, v30
	s_mov_b32 s23, exec_lo
	v_mov_b32_e32 v10, v8
	v_cmpx_gt_u32_e32 8, v30
; %bb.3744:                             ;   in Loop: Header=BB216_2083 Depth=1
	v_ffbh_u32_e32 v7, v8
	v_min_u32_e32 v7, 32, v7
	v_subrev_nc_u32_e32 v10, 28, v7
	v_sub_nc_u32_e32 v7, 29, v7
	v_lshlrev_b64 v[10:11], v10, v[8:9]
	v_and_b32_e32 v10, 7, v10
; %bb.3745:                             ;   in Loop: Header=BB216_2083 Depth=1
	s_or_b32 exec_lo, exec_lo, s23
	v_lshlrev_b32_sdwa v6, v78, v6 dst_sel:DWORD dst_unused:UNUSED_PAD src0_sel:DWORD src1_sel:BYTE_3
	v_lshlrev_b32_e32 v8, 20, v10
	v_lshl_add_u32 v7, v7, 23, 0x3c000000
	v_mov_b32_e32 v10, v9
	v_and_b32_e32 v6, 0x80000000, v6
	v_or3_b32 v11, v8, v6, v7
.LBB216_3746:                           ;   in Loop: Header=BB216_2083 Depth=1
	s_or_b32 exec_lo, exec_lo, s22
.LBB216_3747:                           ;   in Loop: Header=BB216_2083 Depth=1
	s_or_b32 exec_lo, exec_lo, s21
.LBB216_3748:                           ;   in Loop: Header=BB216_2083 Depth=1
	s_or_b32 exec_lo, exec_lo, s20
	v_or_b32_e32 v6, v22, v20
	v_or_b32_e32 v7, v21, v19
	;; [unrolled: 1-line block ×4, first 2 shown]
	v_mul_f32_e32 v122, v106, v6
	v_mul_f32_e32 v121, v106, v7
	;; [unrolled: 1-line block ×4, first 2 shown]
	s_and_saveexec_b32 s8, s7
; %bb.3749:                             ;   in Loop: Header=BB216_2083 Depth=1
	v_cndmask_b32_e32 v121, 0, v121, vcc_lo
	v_cndmask_b32_e64 v122, 0, v122, s4
	v_cndmask_b32_e64 v120, 0, v120, s5
	;; [unrolled: 1-line block ×3, first 2 shown]
; %bb.3750:                             ;   in Loop: Header=BB216_2083 Depth=1
	s_or_b32 exec_lo, exec_lo, s8
	flat_load_dword v6, v[0:1] offset:128
	v_mov_b32_e32 v21, 0
	v_mov_b32_e32 v19, 0
	;; [unrolled: 1-line block ×4, first 2 shown]
	s_waitcnt vmcnt(0) lgkmcnt(0)
	v_cmp_ne_u16_sdwa s8, v6, v9 src0_sel:BYTE_0 src1_sel:DWORD
	s_and_saveexec_b32 s20, s8
	s_cbranch_execz .LBB216_3758
; %bb.3751:                             ;   in Loop: Header=BB216_2083 Depth=1
	v_bfrev_b32_e32 v19, 1
	v_mov_b32_e32 v20, 0
	v_cmp_ne_u16_sdwa s8, v6, v74 src0_sel:BYTE_0 src1_sel:DWORD
	s_and_saveexec_b32 s21, s8
	s_cbranch_execz .LBB216_3757
; %bb.3752:                             ;   in Loop: Header=BB216_2083 Depth=1
	v_mov_b32_e32 v19, 0x7f800001
	v_and_b32_e32 v10, 0x7f, v6
	v_mov_b32_e32 v20, 0
	s_mov_b32 s22, exec_lo
	v_cmpx_ne_u32_e32 0x7f, v10
	s_cbranch_execz .LBB216_3756
; %bb.3753:                             ;   in Loop: Header=BB216_2083 Depth=1
	v_and_b32_e32 v8, 7, v6
	v_lshrrev_b32_e32 v7, 3, v10
	v_cmp_gt_u32_e64 s8, 8, v10
	v_mov_b32_e32 v11, v9
	v_mov_b32_e32 v10, v8
	s_and_saveexec_b32 s23, s8
; %bb.3754:                             ;   in Loop: Header=BB216_2083 Depth=1
	v_ffbh_u32_e32 v7, v8
	v_min_u32_e32 v7, 32, v7
	v_subrev_nc_u32_e32 v10, 28, v7
	v_sub_nc_u32_e32 v7, 29, v7
	v_lshlrev_b64 v[10:11], v10, v[8:9]
	v_and_b32_e32 v10, 7, v10
; %bb.3755:                             ;   in Loop: Header=BB216_2083 Depth=1
	s_or_b32 exec_lo, exec_lo, s23
	v_lshlrev_b32_e32 v8, 24, v6
	v_lshlrev_b32_e32 v10, 20, v10
	v_lshl_add_u32 v7, v7, 23, 0x3c000000
	v_and_b32_e32 v8, 0x80000000, v8
	v_or3_b32 v8, v10, v8, v7
	v_mov_b32_e32 v20, v9
	v_mov_b32_e32 v19, v8
.LBB216_3756:                           ;   in Loop: Header=BB216_2083 Depth=1
	s_or_b32 exec_lo, exec_lo, s22
.LBB216_3757:                           ;   in Loop: Header=BB216_2083 Depth=1
	s_or_b32 exec_lo, exec_lo, s21
.LBB216_3758:                           ;   in Loop: Header=BB216_2083 Depth=1
	s_or_b32 exec_lo, exec_lo, s20
	v_cmp_ne_u16_sdwa s8, v6, v9 src0_sel:BYTE_1 src1_sel:DWORD
	s_and_saveexec_b32 s20, s8
	s_cbranch_execz .LBB216_3766
; %bb.3759:                             ;   in Loop: Header=BB216_2083 Depth=1
	v_mov_b32_e32 v11, v9
	v_mov_b32_e32 v22, v12
	v_cmp_ne_u16_sdwa s8, v6, v74 src0_sel:BYTE_1 src1_sel:DWORD
	v_mov_b32_e32 v21, v11
	s_and_saveexec_b32 s21, s8
	s_cbranch_execz .LBB216_3765
; %bb.3760:                             ;   in Loop: Header=BB216_2083 Depth=1
	v_and_b32_sdwa v7, v75, v6 dst_sel:DWORD dst_unused:UNUSED_PAD src0_sel:DWORD src1_sel:BYTE_1
	v_mov_b32_e32 v13, v9
	v_mov_b32_e32 v22, v14
	s_mov_b32 s22, exec_lo
	v_and_b32_e32 v10, 0x7f, v7
	v_mov_b32_e32 v21, v13
	v_cmpx_ne_u32_e32 0x7f, v10
	s_cbranch_execz .LBB216_3764
; %bb.3761:                             ;   in Loop: Header=BB216_2083 Depth=1
	v_and_b32_e32 v8, 7, v7
	v_lshrrev_b32_e32 v7, 3, v10
	v_cmp_gt_u32_e64 s8, 8, v10
	v_mov_b32_e32 v11, v9
	v_mov_b32_e32 v10, v8
	s_and_saveexec_b32 s23, s8
; %bb.3762:                             ;   in Loop: Header=BB216_2083 Depth=1
	v_ffbh_u32_e32 v7, v8
	v_min_u32_e32 v7, 32, v7
	v_subrev_nc_u32_e32 v10, 28, v7
	v_sub_nc_u32_e32 v7, 29, v7
	v_lshlrev_b64 v[10:11], v10, v[8:9]
	v_and_b32_e32 v10, 7, v10
; %bb.3763:                             ;   in Loop: Header=BB216_2083 Depth=1
	s_or_b32 exec_lo, exec_lo, s23
	v_lshlrev_b32_e32 v8, 16, v6
	v_lshlrev_b32_e32 v10, 20, v10
	v_lshl_add_u32 v7, v7, 23, 0x3c000000
	v_mov_b32_e32 v21, v9
	v_and_b32_e32 v8, 0x80000000, v8
	v_or3_b32 v22, v10, v8, v7
.LBB216_3764:                           ;   in Loop: Header=BB216_2083 Depth=1
	s_or_b32 exec_lo, exec_lo, s22
.LBB216_3765:                           ;   in Loop: Header=BB216_2083 Depth=1
	s_or_b32 exec_lo, exec_lo, s21
.LBB216_3766:                           ;   in Loop: Header=BB216_2083 Depth=1
	s_or_b32 exec_lo, exec_lo, s20
	v_mov_b32_e32 v10, 0
	v_mov_b32_e32 v23, 0
	v_and_b32_sdwa v7, v6, v76 dst_sel:DWORD dst_unused:UNUSED_PAD src0_sel:WORD_1 src1_sel:DWORD
	v_mov_b32_e32 v11, 0
	v_mov_b32_e32 v24, 0
	s_mov_b32 s20, exec_lo
	v_cmpx_ne_u16_e32 0, v7
	s_cbranch_execz .LBB216_3774
; %bb.3767:                             ;   in Loop: Header=BB216_2083 Depth=1
	v_bfrev_b32_e32 v23, 1
	v_mov_b32_e32 v24, 0
	s_mov_b32 s21, exec_lo
	v_cmpx_ne_u16_e32 0x80, v7
	s_cbranch_execz .LBB216_3773
; %bb.3768:                             ;   in Loop: Header=BB216_2083 Depth=1
	v_mov_b32_e32 v23, 0x7f800001
	v_bfe_u32 v13, v6, 16, 7
	v_mov_b32_e32 v24, 0
	s_mov_b32 s22, exec_lo
	v_cmpx_ne_u32_e32 0x7f, v13
	s_cbranch_execz .LBB216_3772
; %bb.3769:                             ;   in Loop: Header=BB216_2083 Depth=1
	v_and_b32_sdwa v8, v6, v77 dst_sel:DWORD dst_unused:UNUSED_PAD src0_sel:WORD_1 src1_sel:DWORD
	v_mov_b32_e32 v24, v9
	v_lshrrev_b32_e32 v7, 3, v13
	s_mov_b32 s23, exec_lo
	v_mov_b32_e32 v23, v8
	v_cmpx_gt_u32_e32 8, v13
; %bb.3770:                             ;   in Loop: Header=BB216_2083 Depth=1
	v_ffbh_u32_e32 v7, v8
	v_min_u32_e32 v7, 32, v7
	v_subrev_nc_u32_e32 v13, 28, v7
	v_sub_nc_u32_e32 v7, 29, v7
	v_lshlrev_b64 v[23:24], v13, v[8:9]
	v_and_b32_e32 v23, 7, v23
; %bb.3771:                             ;   in Loop: Header=BB216_2083 Depth=1
	s_or_b32 exec_lo, exec_lo, s23
	v_lshlrev_b32_sdwa v8, v78, v6 dst_sel:DWORD dst_unused:UNUSED_PAD src0_sel:DWORD src1_sel:WORD_1
	v_lshlrev_b32_e32 v13, 20, v23
	v_lshl_add_u32 v7, v7, 23, 0x3c000000
	v_and_b32_e32 v8, 0x80000000, v8
	v_or3_b32 v8, v13, v8, v7
	v_mov_b32_e32 v24, v9
	v_mov_b32_e32 v23, v8
.LBB216_3772:                           ;   in Loop: Header=BB216_2083 Depth=1
	s_or_b32 exec_lo, exec_lo, s22
.LBB216_3773:                           ;   in Loop: Header=BB216_2083 Depth=1
	s_or_b32 exec_lo, exec_lo, s21
.LBB216_3774:                           ;   in Loop: Header=BB216_2083 Depth=1
	s_or_b32 exec_lo, exec_lo, s20
	s_mov_b32 s20, exec_lo
	v_cmpx_lt_u32_e32 0xffffff, v6
	s_cbranch_execz .LBB216_3782
; %bb.3775:                             ;   in Loop: Header=BB216_2083 Depth=1
	v_mov_b32_e32 v11, v9
	v_cmp_ne_u32_sdwa s8, v6, v74 src0_sel:BYTE_3 src1_sel:DWORD
	v_mov_b32_e32 v10, v11
	v_mov_b32_e32 v11, v12
	s_and_saveexec_b32 s21, s8
	s_cbranch_execz .LBB216_3781
; %bb.3776:                             ;   in Loop: Header=BB216_2083 Depth=1
	v_mov_b32_e32 v13, v9
	v_bfe_u32 v30, v6, 24, 7
	s_mov_b32 s22, exec_lo
	v_mov_b32_e32 v10, v13
	v_mov_b32_e32 v11, v14
	v_cmpx_ne_u32_e32 0x7f, v30
	s_cbranch_execz .LBB216_3780
; %bb.3777:                             ;   in Loop: Header=BB216_2083 Depth=1
	v_and_b32_sdwa v8, v6, v77 dst_sel:DWORD dst_unused:UNUSED_PAD src0_sel:BYTE_3 src1_sel:DWORD
	v_mov_b32_e32 v11, v9
	v_lshrrev_b32_e32 v7, 3, v30
	s_mov_b32 s23, exec_lo
	v_mov_b32_e32 v10, v8
	v_cmpx_gt_u32_e32 8, v30
; %bb.3778:                             ;   in Loop: Header=BB216_2083 Depth=1
	v_ffbh_u32_e32 v7, v8
	v_min_u32_e32 v7, 32, v7
	v_subrev_nc_u32_e32 v10, 28, v7
	v_sub_nc_u32_e32 v7, 29, v7
	v_lshlrev_b64 v[10:11], v10, v[8:9]
	v_and_b32_e32 v10, 7, v10
; %bb.3779:                             ;   in Loop: Header=BB216_2083 Depth=1
	s_or_b32 exec_lo, exec_lo, s23
	v_lshlrev_b32_sdwa v6, v78, v6 dst_sel:DWORD dst_unused:UNUSED_PAD src0_sel:DWORD src1_sel:BYTE_3
	v_lshlrev_b32_e32 v8, 20, v10
	v_lshl_add_u32 v7, v7, 23, 0x3c000000
	v_mov_b32_e32 v10, v9
	v_and_b32_e32 v6, 0x80000000, v6
	v_or3_b32 v11, v8, v6, v7
.LBB216_3780:                           ;   in Loop: Header=BB216_2083 Depth=1
	s_or_b32 exec_lo, exec_lo, s22
.LBB216_3781:                           ;   in Loop: Header=BB216_2083 Depth=1
	s_or_b32 exec_lo, exec_lo, s21
.LBB216_3782:                           ;   in Loop: Header=BB216_2083 Depth=1
	s_or_b32 exec_lo, exec_lo, s20
	v_or_b32_e32 v6, v22, v20
	v_or_b32_e32 v7, v21, v19
	;; [unrolled: 1-line block ×4, first 2 shown]
	v_mul_f32_e32 v124, v106, v6
	v_mul_f32_e32 v123, v106, v7
	;; [unrolled: 1-line block ×4, first 2 shown]
	s_and_saveexec_b32 s8, s7
; %bb.3783:                             ;   in Loop: Header=BB216_2083 Depth=1
	v_cndmask_b32_e32 v123, 0, v123, vcc_lo
	v_cndmask_b32_e64 v124, 0, v124, s4
	v_cndmask_b32_e64 v47, 0, v47, s5
	;; [unrolled: 1-line block ×3, first 2 shown]
; %bb.3784:                             ;   in Loop: Header=BB216_2083 Depth=1
	s_or_b32 exec_lo, exec_lo, s8
	flat_load_dword v6, v[0:1] offset:256
	v_mov_b32_e32 v21, 0
	v_mov_b32_e32 v19, 0
	;; [unrolled: 1-line block ×4, first 2 shown]
	s_waitcnt vmcnt(0) lgkmcnt(0)
	v_cmp_ne_u16_sdwa s8, v6, v9 src0_sel:BYTE_0 src1_sel:DWORD
	s_and_saveexec_b32 s20, s8
	s_cbranch_execz .LBB216_3792
; %bb.3785:                             ;   in Loop: Header=BB216_2083 Depth=1
	v_bfrev_b32_e32 v19, 1
	v_mov_b32_e32 v20, 0
	v_cmp_ne_u16_sdwa s8, v6, v74 src0_sel:BYTE_0 src1_sel:DWORD
	s_and_saveexec_b32 s21, s8
	s_cbranch_execz .LBB216_3791
; %bb.3786:                             ;   in Loop: Header=BB216_2083 Depth=1
	v_mov_b32_e32 v19, 0x7f800001
	v_and_b32_e32 v10, 0x7f, v6
	v_mov_b32_e32 v20, 0
	s_mov_b32 s22, exec_lo
	v_cmpx_ne_u32_e32 0x7f, v10
	s_cbranch_execz .LBB216_3790
; %bb.3787:                             ;   in Loop: Header=BB216_2083 Depth=1
	v_and_b32_e32 v8, 7, v6
	v_lshrrev_b32_e32 v7, 3, v10
	v_cmp_gt_u32_e64 s8, 8, v10
	v_mov_b32_e32 v11, v9
	v_mov_b32_e32 v10, v8
	s_and_saveexec_b32 s23, s8
; %bb.3788:                             ;   in Loop: Header=BB216_2083 Depth=1
	v_ffbh_u32_e32 v7, v8
	v_min_u32_e32 v7, 32, v7
	v_subrev_nc_u32_e32 v10, 28, v7
	v_sub_nc_u32_e32 v7, 29, v7
	v_lshlrev_b64 v[10:11], v10, v[8:9]
	v_and_b32_e32 v10, 7, v10
; %bb.3789:                             ;   in Loop: Header=BB216_2083 Depth=1
	s_or_b32 exec_lo, exec_lo, s23
	v_lshlrev_b32_e32 v8, 24, v6
	v_lshlrev_b32_e32 v10, 20, v10
	v_lshl_add_u32 v7, v7, 23, 0x3c000000
	v_and_b32_e32 v8, 0x80000000, v8
	v_or3_b32 v8, v10, v8, v7
	v_mov_b32_e32 v20, v9
	v_mov_b32_e32 v19, v8
.LBB216_3790:                           ;   in Loop: Header=BB216_2083 Depth=1
	s_or_b32 exec_lo, exec_lo, s22
.LBB216_3791:                           ;   in Loop: Header=BB216_2083 Depth=1
	s_or_b32 exec_lo, exec_lo, s21
.LBB216_3792:                           ;   in Loop: Header=BB216_2083 Depth=1
	s_or_b32 exec_lo, exec_lo, s20
	v_cmp_ne_u16_sdwa s8, v6, v9 src0_sel:BYTE_1 src1_sel:DWORD
	s_and_saveexec_b32 s20, s8
	s_cbranch_execz .LBB216_3800
; %bb.3793:                             ;   in Loop: Header=BB216_2083 Depth=1
	v_mov_b32_e32 v11, v9
	v_mov_b32_e32 v22, v12
	v_cmp_ne_u16_sdwa s8, v6, v74 src0_sel:BYTE_1 src1_sel:DWORD
	v_mov_b32_e32 v21, v11
	s_and_saveexec_b32 s21, s8
	s_cbranch_execz .LBB216_3799
; %bb.3794:                             ;   in Loop: Header=BB216_2083 Depth=1
	v_and_b32_sdwa v7, v75, v6 dst_sel:DWORD dst_unused:UNUSED_PAD src0_sel:DWORD src1_sel:BYTE_1
	v_mov_b32_e32 v13, v9
	v_mov_b32_e32 v22, v14
	s_mov_b32 s22, exec_lo
	v_and_b32_e32 v10, 0x7f, v7
	v_mov_b32_e32 v21, v13
	v_cmpx_ne_u32_e32 0x7f, v10
	s_cbranch_execz .LBB216_3798
; %bb.3795:                             ;   in Loop: Header=BB216_2083 Depth=1
	v_and_b32_e32 v8, 7, v7
	v_lshrrev_b32_e32 v7, 3, v10
	v_cmp_gt_u32_e64 s8, 8, v10
	v_mov_b32_e32 v11, v9
	v_mov_b32_e32 v10, v8
	s_and_saveexec_b32 s23, s8
; %bb.3796:                             ;   in Loop: Header=BB216_2083 Depth=1
	v_ffbh_u32_e32 v7, v8
	v_min_u32_e32 v7, 32, v7
	v_subrev_nc_u32_e32 v10, 28, v7
	v_sub_nc_u32_e32 v7, 29, v7
	v_lshlrev_b64 v[10:11], v10, v[8:9]
	v_and_b32_e32 v10, 7, v10
; %bb.3797:                             ;   in Loop: Header=BB216_2083 Depth=1
	s_or_b32 exec_lo, exec_lo, s23
	v_lshlrev_b32_e32 v8, 16, v6
	v_lshlrev_b32_e32 v10, 20, v10
	v_lshl_add_u32 v7, v7, 23, 0x3c000000
	v_mov_b32_e32 v21, v9
	v_and_b32_e32 v8, 0x80000000, v8
	v_or3_b32 v22, v10, v8, v7
.LBB216_3798:                           ;   in Loop: Header=BB216_2083 Depth=1
	s_or_b32 exec_lo, exec_lo, s22
.LBB216_3799:                           ;   in Loop: Header=BB216_2083 Depth=1
	s_or_b32 exec_lo, exec_lo, s21
.LBB216_3800:                           ;   in Loop: Header=BB216_2083 Depth=1
	s_or_b32 exec_lo, exec_lo, s20
	v_mov_b32_e32 v10, 0
	v_mov_b32_e32 v23, 0
	v_and_b32_sdwa v7, v6, v76 dst_sel:DWORD dst_unused:UNUSED_PAD src0_sel:WORD_1 src1_sel:DWORD
	v_mov_b32_e32 v11, 0
	v_mov_b32_e32 v24, 0
	s_mov_b32 s20, exec_lo
	v_cmpx_ne_u16_e32 0, v7
	s_cbranch_execz .LBB216_3808
; %bb.3801:                             ;   in Loop: Header=BB216_2083 Depth=1
	v_bfrev_b32_e32 v23, 1
	v_mov_b32_e32 v24, 0
	s_mov_b32 s21, exec_lo
	v_cmpx_ne_u16_e32 0x80, v7
	s_cbranch_execz .LBB216_3807
; %bb.3802:                             ;   in Loop: Header=BB216_2083 Depth=1
	v_mov_b32_e32 v23, 0x7f800001
	v_bfe_u32 v13, v6, 16, 7
	v_mov_b32_e32 v24, 0
	s_mov_b32 s22, exec_lo
	v_cmpx_ne_u32_e32 0x7f, v13
	s_cbranch_execz .LBB216_3806
; %bb.3803:                             ;   in Loop: Header=BB216_2083 Depth=1
	v_and_b32_sdwa v8, v6, v77 dst_sel:DWORD dst_unused:UNUSED_PAD src0_sel:WORD_1 src1_sel:DWORD
	v_mov_b32_e32 v24, v9
	v_lshrrev_b32_e32 v7, 3, v13
	s_mov_b32 s23, exec_lo
	v_mov_b32_e32 v23, v8
	v_cmpx_gt_u32_e32 8, v13
; %bb.3804:                             ;   in Loop: Header=BB216_2083 Depth=1
	v_ffbh_u32_e32 v7, v8
	v_min_u32_e32 v7, 32, v7
	v_subrev_nc_u32_e32 v13, 28, v7
	v_sub_nc_u32_e32 v7, 29, v7
	v_lshlrev_b64 v[23:24], v13, v[8:9]
	v_and_b32_e32 v23, 7, v23
; %bb.3805:                             ;   in Loop: Header=BB216_2083 Depth=1
	s_or_b32 exec_lo, exec_lo, s23
	v_lshlrev_b32_sdwa v8, v78, v6 dst_sel:DWORD dst_unused:UNUSED_PAD src0_sel:DWORD src1_sel:WORD_1
	v_lshlrev_b32_e32 v13, 20, v23
	v_lshl_add_u32 v7, v7, 23, 0x3c000000
	v_and_b32_e32 v8, 0x80000000, v8
	v_or3_b32 v8, v13, v8, v7
	v_mov_b32_e32 v24, v9
	v_mov_b32_e32 v23, v8
.LBB216_3806:                           ;   in Loop: Header=BB216_2083 Depth=1
	s_or_b32 exec_lo, exec_lo, s22
.LBB216_3807:                           ;   in Loop: Header=BB216_2083 Depth=1
	s_or_b32 exec_lo, exec_lo, s21
.LBB216_3808:                           ;   in Loop: Header=BB216_2083 Depth=1
	s_or_b32 exec_lo, exec_lo, s20
	s_mov_b32 s20, exec_lo
	v_cmpx_lt_u32_e32 0xffffff, v6
	s_cbranch_execz .LBB216_3816
; %bb.3809:                             ;   in Loop: Header=BB216_2083 Depth=1
	v_mov_b32_e32 v11, v9
	v_cmp_ne_u32_sdwa s8, v6, v74 src0_sel:BYTE_3 src1_sel:DWORD
	v_mov_b32_e32 v10, v11
	v_mov_b32_e32 v11, v12
	s_and_saveexec_b32 s21, s8
	s_cbranch_execz .LBB216_3815
; %bb.3810:                             ;   in Loop: Header=BB216_2083 Depth=1
	v_mov_b32_e32 v13, v9
	v_bfe_u32 v30, v6, 24, 7
	s_mov_b32 s22, exec_lo
	v_mov_b32_e32 v10, v13
	v_mov_b32_e32 v11, v14
	v_cmpx_ne_u32_e32 0x7f, v30
	s_cbranch_execz .LBB216_3814
; %bb.3811:                             ;   in Loop: Header=BB216_2083 Depth=1
	v_and_b32_sdwa v8, v6, v77 dst_sel:DWORD dst_unused:UNUSED_PAD src0_sel:BYTE_3 src1_sel:DWORD
	v_mov_b32_e32 v11, v9
	v_lshrrev_b32_e32 v7, 3, v30
	s_mov_b32 s23, exec_lo
	v_mov_b32_e32 v10, v8
	v_cmpx_gt_u32_e32 8, v30
; %bb.3812:                             ;   in Loop: Header=BB216_2083 Depth=1
	v_ffbh_u32_e32 v7, v8
	v_min_u32_e32 v7, 32, v7
	v_subrev_nc_u32_e32 v10, 28, v7
	v_sub_nc_u32_e32 v7, 29, v7
	v_lshlrev_b64 v[10:11], v10, v[8:9]
	v_and_b32_e32 v10, 7, v10
; %bb.3813:                             ;   in Loop: Header=BB216_2083 Depth=1
	s_or_b32 exec_lo, exec_lo, s23
	v_lshlrev_b32_sdwa v6, v78, v6 dst_sel:DWORD dst_unused:UNUSED_PAD src0_sel:DWORD src1_sel:BYTE_3
	v_lshlrev_b32_e32 v8, 20, v10
	v_lshl_add_u32 v7, v7, 23, 0x3c000000
	v_mov_b32_e32 v10, v9
	v_and_b32_e32 v6, 0x80000000, v6
	v_or3_b32 v11, v8, v6, v7
.LBB216_3814:                           ;   in Loop: Header=BB216_2083 Depth=1
	s_or_b32 exec_lo, exec_lo, s22
.LBB216_3815:                           ;   in Loop: Header=BB216_2083 Depth=1
	s_or_b32 exec_lo, exec_lo, s21
.LBB216_3816:                           ;   in Loop: Header=BB216_2083 Depth=1
	s_or_b32 exec_lo, exec_lo, s20
	v_or_b32_e32 v6, v22, v20
	v_or_b32_e32 v7, v21, v19
	;; [unrolled: 1-line block ×4, first 2 shown]
	v_mul_f32_e32 v30, v106, v6
	v_mul_f32_e32 v127, v106, v7
	;; [unrolled: 1-line block ×4, first 2 shown]
	s_and_saveexec_b32 s8, s7
; %bb.3817:                             ;   in Loop: Header=BB216_2083 Depth=1
	v_cndmask_b32_e32 v127, 0, v127, vcc_lo
	v_cndmask_b32_e64 v30, 0, v30, s4
	v_cndmask_b32_e64 v126, 0, v126, s5
	;; [unrolled: 1-line block ×3, first 2 shown]
; %bb.3818:                             ;   in Loop: Header=BB216_2083 Depth=1
	s_or_b32 exec_lo, exec_lo, s8
	flat_load_dword v6, v[0:1] offset:384
	v_mov_b32_e32 v21, 0
	v_mov_b32_e32 v19, 0
	;; [unrolled: 1-line block ×4, first 2 shown]
	s_waitcnt vmcnt(0) lgkmcnt(0)
	v_cmp_ne_u16_sdwa s8, v6, v9 src0_sel:BYTE_0 src1_sel:DWORD
	s_and_saveexec_b32 s20, s8
	s_cbranch_execz .LBB216_3826
; %bb.3819:                             ;   in Loop: Header=BB216_2083 Depth=1
	v_bfrev_b32_e32 v19, 1
	v_mov_b32_e32 v20, 0
	v_cmp_ne_u16_sdwa s8, v6, v74 src0_sel:BYTE_0 src1_sel:DWORD
	s_and_saveexec_b32 s21, s8
	s_cbranch_execz .LBB216_3825
; %bb.3820:                             ;   in Loop: Header=BB216_2083 Depth=1
	v_mov_b32_e32 v19, 0x7f800001
	v_and_b32_e32 v10, 0x7f, v6
	v_mov_b32_e32 v20, 0
	s_mov_b32 s22, exec_lo
	v_cmpx_ne_u32_e32 0x7f, v10
	s_cbranch_execz .LBB216_3824
; %bb.3821:                             ;   in Loop: Header=BB216_2083 Depth=1
	v_and_b32_e32 v8, 7, v6
	v_lshrrev_b32_e32 v7, 3, v10
	v_cmp_gt_u32_e64 s8, 8, v10
	v_mov_b32_e32 v11, v9
	v_mov_b32_e32 v10, v8
	s_and_saveexec_b32 s23, s8
; %bb.3822:                             ;   in Loop: Header=BB216_2083 Depth=1
	v_ffbh_u32_e32 v7, v8
	v_min_u32_e32 v7, 32, v7
	v_subrev_nc_u32_e32 v10, 28, v7
	v_sub_nc_u32_e32 v7, 29, v7
	v_lshlrev_b64 v[10:11], v10, v[8:9]
	v_and_b32_e32 v10, 7, v10
; %bb.3823:                             ;   in Loop: Header=BB216_2083 Depth=1
	s_or_b32 exec_lo, exec_lo, s23
	v_lshlrev_b32_e32 v8, 24, v6
	v_lshlrev_b32_e32 v10, 20, v10
	v_lshl_add_u32 v7, v7, 23, 0x3c000000
	v_and_b32_e32 v8, 0x80000000, v8
	v_or3_b32 v8, v10, v8, v7
	v_mov_b32_e32 v20, v9
	v_mov_b32_e32 v19, v8
.LBB216_3824:                           ;   in Loop: Header=BB216_2083 Depth=1
	s_or_b32 exec_lo, exec_lo, s22
.LBB216_3825:                           ;   in Loop: Header=BB216_2083 Depth=1
	s_or_b32 exec_lo, exec_lo, s21
.LBB216_3826:                           ;   in Loop: Header=BB216_2083 Depth=1
	s_or_b32 exec_lo, exec_lo, s20
	v_cmp_ne_u16_sdwa s8, v6, v9 src0_sel:BYTE_1 src1_sel:DWORD
	s_and_saveexec_b32 s20, s8
	s_cbranch_execz .LBB216_3834
; %bb.3827:                             ;   in Loop: Header=BB216_2083 Depth=1
	v_mov_b32_e32 v11, v9
	v_mov_b32_e32 v22, v12
	v_cmp_ne_u16_sdwa s8, v6, v74 src0_sel:BYTE_1 src1_sel:DWORD
	v_mov_b32_e32 v21, v11
	s_and_saveexec_b32 s21, s8
	s_cbranch_execz .LBB216_3833
; %bb.3828:                             ;   in Loop: Header=BB216_2083 Depth=1
	v_and_b32_sdwa v7, v75, v6 dst_sel:DWORD dst_unused:UNUSED_PAD src0_sel:DWORD src1_sel:BYTE_1
	v_mov_b32_e32 v13, v9
	v_mov_b32_e32 v22, v14
	s_mov_b32 s22, exec_lo
	v_and_b32_e32 v10, 0x7f, v7
	v_mov_b32_e32 v21, v13
	v_cmpx_ne_u32_e32 0x7f, v10
	s_cbranch_execz .LBB216_3832
; %bb.3829:                             ;   in Loop: Header=BB216_2083 Depth=1
	v_and_b32_e32 v8, 7, v7
	v_lshrrev_b32_e32 v7, 3, v10
	v_cmp_gt_u32_e64 s8, 8, v10
	v_mov_b32_e32 v11, v9
	v_mov_b32_e32 v10, v8
	s_and_saveexec_b32 s23, s8
; %bb.3830:                             ;   in Loop: Header=BB216_2083 Depth=1
	v_ffbh_u32_e32 v7, v8
	v_min_u32_e32 v7, 32, v7
	v_subrev_nc_u32_e32 v10, 28, v7
	v_sub_nc_u32_e32 v7, 29, v7
	v_lshlrev_b64 v[10:11], v10, v[8:9]
	v_and_b32_e32 v10, 7, v10
; %bb.3831:                             ;   in Loop: Header=BB216_2083 Depth=1
	s_or_b32 exec_lo, exec_lo, s23
	v_lshlrev_b32_e32 v8, 16, v6
	v_lshlrev_b32_e32 v10, 20, v10
	v_lshl_add_u32 v7, v7, 23, 0x3c000000
	v_mov_b32_e32 v21, v9
	v_and_b32_e32 v8, 0x80000000, v8
	v_or3_b32 v22, v10, v8, v7
.LBB216_3832:                           ;   in Loop: Header=BB216_2083 Depth=1
	s_or_b32 exec_lo, exec_lo, s22
.LBB216_3833:                           ;   in Loop: Header=BB216_2083 Depth=1
	s_or_b32 exec_lo, exec_lo, s21
.LBB216_3834:                           ;   in Loop: Header=BB216_2083 Depth=1
	s_or_b32 exec_lo, exec_lo, s20
	v_mov_b32_e32 v10, 0
	v_mov_b32_e32 v23, 0
	v_and_b32_sdwa v7, v6, v76 dst_sel:DWORD dst_unused:UNUSED_PAD src0_sel:WORD_1 src1_sel:DWORD
	v_mov_b32_e32 v11, 0
	v_mov_b32_e32 v24, 0
	s_mov_b32 s20, exec_lo
	v_cmpx_ne_u16_e32 0, v7
	s_cbranch_execz .LBB216_3842
; %bb.3835:                             ;   in Loop: Header=BB216_2083 Depth=1
	v_bfrev_b32_e32 v23, 1
	v_mov_b32_e32 v24, 0
	s_mov_b32 s21, exec_lo
	v_cmpx_ne_u16_e32 0x80, v7
	s_cbranch_execz .LBB216_3841
; %bb.3836:                             ;   in Loop: Header=BB216_2083 Depth=1
	v_mov_b32_e32 v23, 0x7f800001
	v_bfe_u32 v13, v6, 16, 7
	v_mov_b32_e32 v24, 0
	s_mov_b32 s22, exec_lo
	v_cmpx_ne_u32_e32 0x7f, v13
	s_cbranch_execz .LBB216_3840
; %bb.3837:                             ;   in Loop: Header=BB216_2083 Depth=1
	v_and_b32_sdwa v8, v6, v77 dst_sel:DWORD dst_unused:UNUSED_PAD src0_sel:WORD_1 src1_sel:DWORD
	v_mov_b32_e32 v24, v9
	v_lshrrev_b32_e32 v7, 3, v13
	s_mov_b32 s23, exec_lo
	v_mov_b32_e32 v23, v8
	v_cmpx_gt_u32_e32 8, v13
; %bb.3838:                             ;   in Loop: Header=BB216_2083 Depth=1
	v_ffbh_u32_e32 v7, v8
	v_min_u32_e32 v7, 32, v7
	v_subrev_nc_u32_e32 v13, 28, v7
	v_sub_nc_u32_e32 v7, 29, v7
	v_lshlrev_b64 v[23:24], v13, v[8:9]
	v_and_b32_e32 v23, 7, v23
; %bb.3839:                             ;   in Loop: Header=BB216_2083 Depth=1
	s_or_b32 exec_lo, exec_lo, s23
	v_lshlrev_b32_sdwa v8, v78, v6 dst_sel:DWORD dst_unused:UNUSED_PAD src0_sel:DWORD src1_sel:WORD_1
	v_lshlrev_b32_e32 v13, 20, v23
	v_lshl_add_u32 v7, v7, 23, 0x3c000000
	v_and_b32_e32 v8, 0x80000000, v8
	v_or3_b32 v8, v13, v8, v7
	v_mov_b32_e32 v24, v9
	v_mov_b32_e32 v23, v8
.LBB216_3840:                           ;   in Loop: Header=BB216_2083 Depth=1
	s_or_b32 exec_lo, exec_lo, s22
.LBB216_3841:                           ;   in Loop: Header=BB216_2083 Depth=1
	s_or_b32 exec_lo, exec_lo, s21
.LBB216_3842:                           ;   in Loop: Header=BB216_2083 Depth=1
	s_or_b32 exec_lo, exec_lo, s20
	s_mov_b32 s20, exec_lo
	v_cmpx_lt_u32_e32 0xffffff, v6
	s_cbranch_execz .LBB216_3850
; %bb.3843:                             ;   in Loop: Header=BB216_2083 Depth=1
	v_mov_b32_e32 v11, v9
	v_cmp_ne_u32_sdwa s8, v6, v74 src0_sel:BYTE_3 src1_sel:DWORD
	v_mov_b32_e32 v10, v11
	v_mov_b32_e32 v11, v12
	s_and_saveexec_b32 s21, s8
	s_cbranch_execz .LBB216_3849
; %bb.3844:                             ;   in Loop: Header=BB216_2083 Depth=1
	v_mov_b32_e32 v13, v9
	v_bfe_u32 v31, v6, 24, 7
	s_mov_b32 s22, exec_lo
	v_mov_b32_e32 v10, v13
	v_mov_b32_e32 v11, v14
	v_cmpx_ne_u32_e32 0x7f, v31
	s_cbranch_execz .LBB216_3848
; %bb.3845:                             ;   in Loop: Header=BB216_2083 Depth=1
	v_and_b32_sdwa v8, v6, v77 dst_sel:DWORD dst_unused:UNUSED_PAD src0_sel:BYTE_3 src1_sel:DWORD
	v_mov_b32_e32 v11, v9
	v_lshrrev_b32_e32 v7, 3, v31
	s_mov_b32 s23, exec_lo
	v_mov_b32_e32 v10, v8
	v_cmpx_gt_u32_e32 8, v31
; %bb.3846:                             ;   in Loop: Header=BB216_2083 Depth=1
	v_ffbh_u32_e32 v7, v8
	v_min_u32_e32 v7, 32, v7
	v_subrev_nc_u32_e32 v10, 28, v7
	v_sub_nc_u32_e32 v7, 29, v7
	v_lshlrev_b64 v[10:11], v10, v[8:9]
	v_and_b32_e32 v10, 7, v10
; %bb.3847:                             ;   in Loop: Header=BB216_2083 Depth=1
	s_or_b32 exec_lo, exec_lo, s23
	v_lshlrev_b32_sdwa v6, v78, v6 dst_sel:DWORD dst_unused:UNUSED_PAD src0_sel:DWORD src1_sel:BYTE_3
	v_lshlrev_b32_e32 v8, 20, v10
	v_lshl_add_u32 v7, v7, 23, 0x3c000000
	v_mov_b32_e32 v10, v9
	v_and_b32_e32 v6, 0x80000000, v6
	v_or3_b32 v11, v8, v6, v7
.LBB216_3848:                           ;   in Loop: Header=BB216_2083 Depth=1
	s_or_b32 exec_lo, exec_lo, s22
.LBB216_3849:                           ;   in Loop: Header=BB216_2083 Depth=1
	s_or_b32 exec_lo, exec_lo, s21
.LBB216_3850:                           ;   in Loop: Header=BB216_2083 Depth=1
	s_or_b32 exec_lo, exec_lo, s20
	v_or_b32_e32 v6, v22, v20
	v_or_b32_e32 v7, v21, v19
	;; [unrolled: 1-line block ×4, first 2 shown]
	v_mul_f32_e32 v90, v106, v6
	v_mul_f32_e32 v89, v106, v7
	;; [unrolled: 1-line block ×4, first 2 shown]
	s_and_saveexec_b32 s8, s7
; %bb.3851:                             ;   in Loop: Header=BB216_2083 Depth=1
	v_cndmask_b32_e32 v89, 0, v89, vcc_lo
	v_cndmask_b32_e64 v90, 0, v90, s4
	v_cndmask_b32_e64 v88, 0, v88, s5
	;; [unrolled: 1-line block ×3, first 2 shown]
; %bb.3852:                             ;   in Loop: Header=BB216_2083 Depth=1
	s_or_b32 exec_lo, exec_lo, s8
	flat_load_dword v6, v[0:1] offset:512
	v_mov_b32_e32 v21, 0
	v_mov_b32_e32 v19, 0
	v_mov_b32_e32 v22, 0
	v_mov_b32_e32 v20, 0
	s_waitcnt vmcnt(0) lgkmcnt(0)
	v_cmp_ne_u16_sdwa s8, v6, v9 src0_sel:BYTE_0 src1_sel:DWORD
	s_and_saveexec_b32 s20, s8
	s_cbranch_execz .LBB216_3860
; %bb.3853:                             ;   in Loop: Header=BB216_2083 Depth=1
	v_bfrev_b32_e32 v19, 1
	v_mov_b32_e32 v20, 0
	v_cmp_ne_u16_sdwa s8, v6, v74 src0_sel:BYTE_0 src1_sel:DWORD
	s_and_saveexec_b32 s21, s8
	s_cbranch_execz .LBB216_3859
; %bb.3854:                             ;   in Loop: Header=BB216_2083 Depth=1
	v_mov_b32_e32 v19, 0x7f800001
	v_and_b32_e32 v10, 0x7f, v6
	v_mov_b32_e32 v20, 0
	s_mov_b32 s22, exec_lo
	v_cmpx_ne_u32_e32 0x7f, v10
	s_cbranch_execz .LBB216_3858
; %bb.3855:                             ;   in Loop: Header=BB216_2083 Depth=1
	v_and_b32_e32 v8, 7, v6
	v_lshrrev_b32_e32 v7, 3, v10
	v_cmp_gt_u32_e64 s8, 8, v10
	v_mov_b32_e32 v11, v9
	v_mov_b32_e32 v10, v8
	s_and_saveexec_b32 s23, s8
; %bb.3856:                             ;   in Loop: Header=BB216_2083 Depth=1
	v_ffbh_u32_e32 v7, v8
	v_min_u32_e32 v7, 32, v7
	v_subrev_nc_u32_e32 v10, 28, v7
	v_sub_nc_u32_e32 v7, 29, v7
	v_lshlrev_b64 v[10:11], v10, v[8:9]
	v_and_b32_e32 v10, 7, v10
; %bb.3857:                             ;   in Loop: Header=BB216_2083 Depth=1
	s_or_b32 exec_lo, exec_lo, s23
	v_lshlrev_b32_e32 v8, 24, v6
	v_lshlrev_b32_e32 v10, 20, v10
	v_lshl_add_u32 v7, v7, 23, 0x3c000000
	v_and_b32_e32 v8, 0x80000000, v8
	v_or3_b32 v8, v10, v8, v7
	v_mov_b32_e32 v20, v9
	v_mov_b32_e32 v19, v8
.LBB216_3858:                           ;   in Loop: Header=BB216_2083 Depth=1
	s_or_b32 exec_lo, exec_lo, s22
.LBB216_3859:                           ;   in Loop: Header=BB216_2083 Depth=1
	s_or_b32 exec_lo, exec_lo, s21
.LBB216_3860:                           ;   in Loop: Header=BB216_2083 Depth=1
	s_or_b32 exec_lo, exec_lo, s20
	v_cmp_ne_u16_sdwa s8, v6, v9 src0_sel:BYTE_1 src1_sel:DWORD
	s_and_saveexec_b32 s20, s8
	s_cbranch_execz .LBB216_3868
; %bb.3861:                             ;   in Loop: Header=BB216_2083 Depth=1
	v_mov_b32_e32 v11, v9
	v_mov_b32_e32 v22, v12
	v_cmp_ne_u16_sdwa s8, v6, v74 src0_sel:BYTE_1 src1_sel:DWORD
	v_mov_b32_e32 v21, v11
	s_and_saveexec_b32 s21, s8
	s_cbranch_execz .LBB216_3867
; %bb.3862:                             ;   in Loop: Header=BB216_2083 Depth=1
	v_and_b32_sdwa v7, v75, v6 dst_sel:DWORD dst_unused:UNUSED_PAD src0_sel:DWORD src1_sel:BYTE_1
	v_mov_b32_e32 v13, v9
	v_mov_b32_e32 v22, v14
	s_mov_b32 s22, exec_lo
	v_and_b32_e32 v10, 0x7f, v7
	v_mov_b32_e32 v21, v13
	v_cmpx_ne_u32_e32 0x7f, v10
	s_cbranch_execz .LBB216_3866
; %bb.3863:                             ;   in Loop: Header=BB216_2083 Depth=1
	v_and_b32_e32 v8, 7, v7
	v_lshrrev_b32_e32 v7, 3, v10
	v_cmp_gt_u32_e64 s8, 8, v10
	v_mov_b32_e32 v11, v9
	v_mov_b32_e32 v10, v8
	s_and_saveexec_b32 s23, s8
; %bb.3864:                             ;   in Loop: Header=BB216_2083 Depth=1
	v_ffbh_u32_e32 v7, v8
	v_min_u32_e32 v7, 32, v7
	v_subrev_nc_u32_e32 v10, 28, v7
	v_sub_nc_u32_e32 v7, 29, v7
	v_lshlrev_b64 v[10:11], v10, v[8:9]
	v_and_b32_e32 v10, 7, v10
; %bb.3865:                             ;   in Loop: Header=BB216_2083 Depth=1
	s_or_b32 exec_lo, exec_lo, s23
	v_lshlrev_b32_e32 v8, 16, v6
	v_lshlrev_b32_e32 v10, 20, v10
	v_lshl_add_u32 v7, v7, 23, 0x3c000000
	v_mov_b32_e32 v21, v9
	v_and_b32_e32 v8, 0x80000000, v8
	v_or3_b32 v22, v10, v8, v7
.LBB216_3866:                           ;   in Loop: Header=BB216_2083 Depth=1
	s_or_b32 exec_lo, exec_lo, s22
.LBB216_3867:                           ;   in Loop: Header=BB216_2083 Depth=1
	s_or_b32 exec_lo, exec_lo, s21
.LBB216_3868:                           ;   in Loop: Header=BB216_2083 Depth=1
	s_or_b32 exec_lo, exec_lo, s20
	v_mov_b32_e32 v10, 0
	v_mov_b32_e32 v23, 0
	v_and_b32_sdwa v7, v6, v76 dst_sel:DWORD dst_unused:UNUSED_PAD src0_sel:WORD_1 src1_sel:DWORD
	v_mov_b32_e32 v11, 0
	v_mov_b32_e32 v24, 0
	s_mov_b32 s20, exec_lo
	v_cmpx_ne_u16_e32 0, v7
	s_cbranch_execz .LBB216_3876
; %bb.3869:                             ;   in Loop: Header=BB216_2083 Depth=1
	v_bfrev_b32_e32 v23, 1
	v_mov_b32_e32 v24, 0
	s_mov_b32 s21, exec_lo
	v_cmpx_ne_u16_e32 0x80, v7
	s_cbranch_execz .LBB216_3875
; %bb.3870:                             ;   in Loop: Header=BB216_2083 Depth=1
	v_mov_b32_e32 v23, 0x7f800001
	v_bfe_u32 v13, v6, 16, 7
	v_mov_b32_e32 v24, 0
	s_mov_b32 s22, exec_lo
	v_cmpx_ne_u32_e32 0x7f, v13
	s_cbranch_execz .LBB216_3874
; %bb.3871:                             ;   in Loop: Header=BB216_2083 Depth=1
	v_and_b32_sdwa v8, v6, v77 dst_sel:DWORD dst_unused:UNUSED_PAD src0_sel:WORD_1 src1_sel:DWORD
	v_mov_b32_e32 v24, v9
	v_lshrrev_b32_e32 v7, 3, v13
	s_mov_b32 s23, exec_lo
	v_mov_b32_e32 v23, v8
	v_cmpx_gt_u32_e32 8, v13
; %bb.3872:                             ;   in Loop: Header=BB216_2083 Depth=1
	v_ffbh_u32_e32 v7, v8
	v_min_u32_e32 v7, 32, v7
	v_subrev_nc_u32_e32 v13, 28, v7
	v_sub_nc_u32_e32 v7, 29, v7
	v_lshlrev_b64 v[23:24], v13, v[8:9]
	v_and_b32_e32 v23, 7, v23
; %bb.3873:                             ;   in Loop: Header=BB216_2083 Depth=1
	s_or_b32 exec_lo, exec_lo, s23
	v_lshlrev_b32_sdwa v8, v78, v6 dst_sel:DWORD dst_unused:UNUSED_PAD src0_sel:DWORD src1_sel:WORD_1
	v_lshlrev_b32_e32 v13, 20, v23
	v_lshl_add_u32 v7, v7, 23, 0x3c000000
	v_and_b32_e32 v8, 0x80000000, v8
	v_or3_b32 v8, v13, v8, v7
	v_mov_b32_e32 v24, v9
	v_mov_b32_e32 v23, v8
.LBB216_3874:                           ;   in Loop: Header=BB216_2083 Depth=1
	s_or_b32 exec_lo, exec_lo, s22
.LBB216_3875:                           ;   in Loop: Header=BB216_2083 Depth=1
	s_or_b32 exec_lo, exec_lo, s21
.LBB216_3876:                           ;   in Loop: Header=BB216_2083 Depth=1
	s_or_b32 exec_lo, exec_lo, s20
	s_mov_b32 s20, exec_lo
	v_cmpx_lt_u32_e32 0xffffff, v6
	s_cbranch_execz .LBB216_3884
; %bb.3877:                             ;   in Loop: Header=BB216_2083 Depth=1
	v_mov_b32_e32 v11, v9
	v_cmp_ne_u32_sdwa s8, v6, v74 src0_sel:BYTE_3 src1_sel:DWORD
	v_mov_b32_e32 v10, v11
	v_mov_b32_e32 v11, v12
	s_and_saveexec_b32 s21, s8
	s_cbranch_execz .LBB216_3883
; %bb.3878:                             ;   in Loop: Header=BB216_2083 Depth=1
	v_mov_b32_e32 v13, v9
	v_bfe_u32 v31, v6, 24, 7
	s_mov_b32 s22, exec_lo
	v_mov_b32_e32 v10, v13
	v_mov_b32_e32 v11, v14
	v_cmpx_ne_u32_e32 0x7f, v31
	s_cbranch_execz .LBB216_3882
; %bb.3879:                             ;   in Loop: Header=BB216_2083 Depth=1
	v_and_b32_sdwa v8, v6, v77 dst_sel:DWORD dst_unused:UNUSED_PAD src0_sel:BYTE_3 src1_sel:DWORD
	v_mov_b32_e32 v11, v9
	v_lshrrev_b32_e32 v7, 3, v31
	s_mov_b32 s23, exec_lo
	v_mov_b32_e32 v10, v8
	v_cmpx_gt_u32_e32 8, v31
; %bb.3880:                             ;   in Loop: Header=BB216_2083 Depth=1
	v_ffbh_u32_e32 v7, v8
	v_min_u32_e32 v7, 32, v7
	v_subrev_nc_u32_e32 v10, 28, v7
	v_sub_nc_u32_e32 v7, 29, v7
	v_lshlrev_b64 v[10:11], v10, v[8:9]
	v_and_b32_e32 v10, 7, v10
; %bb.3881:                             ;   in Loop: Header=BB216_2083 Depth=1
	s_or_b32 exec_lo, exec_lo, s23
	v_lshlrev_b32_sdwa v6, v78, v6 dst_sel:DWORD dst_unused:UNUSED_PAD src0_sel:DWORD src1_sel:BYTE_3
	v_lshlrev_b32_e32 v8, 20, v10
	v_lshl_add_u32 v7, v7, 23, 0x3c000000
	v_mov_b32_e32 v10, v9
	v_and_b32_e32 v6, 0x80000000, v6
	v_or3_b32 v11, v8, v6, v7
.LBB216_3882:                           ;   in Loop: Header=BB216_2083 Depth=1
	s_or_b32 exec_lo, exec_lo, s22
.LBB216_3883:                           ;   in Loop: Header=BB216_2083 Depth=1
	s_or_b32 exec_lo, exec_lo, s21
.LBB216_3884:                           ;   in Loop: Header=BB216_2083 Depth=1
	s_or_b32 exec_lo, exec_lo, s20
	v_or_b32_e32 v6, v22, v20
	v_or_b32_e32 v7, v21, v19
	;; [unrolled: 1-line block ×4, first 2 shown]
	v_mul_f32_e32 v31, v106, v6
	v_mul_f32_e32 v92, v106, v7
	;; [unrolled: 1-line block ×4, first 2 shown]
	s_and_saveexec_b32 s8, s7
; %bb.3885:                             ;   in Loop: Header=BB216_2083 Depth=1
	v_cndmask_b32_e32 v92, 0, v92, vcc_lo
	v_cndmask_b32_e64 v31, 0, v31, s4
	v_cndmask_b32_e64 v7, 0, v7, s5
	;; [unrolled: 1-line block ×3, first 2 shown]
; %bb.3886:                             ;   in Loop: Header=BB216_2083 Depth=1
	s_or_b32 exec_lo, exec_lo, s8
	flat_load_dword v32, v[0:1] offset:640
	v_mov_b32_e32 v21, 0
	v_mov_b32_e32 v19, 0
	v_mov_b32_e32 v22, 0
	v_mov_b32_e32 v20, 0
	s_waitcnt vmcnt(0) lgkmcnt(0)
	v_cmp_ne_u16_sdwa s8, v32, v9 src0_sel:BYTE_0 src1_sel:DWORD
	s_and_saveexec_b32 s20, s8
	s_cbranch_execz .LBB216_3894
; %bb.3887:                             ;   in Loop: Header=BB216_2083 Depth=1
	v_bfrev_b32_e32 v19, 1
	v_mov_b32_e32 v20, 0
	v_cmp_ne_u16_sdwa s8, v32, v74 src0_sel:BYTE_0 src1_sel:DWORD
	s_and_saveexec_b32 s21, s8
	s_cbranch_execz .LBB216_3893
; %bb.3888:                             ;   in Loop: Header=BB216_2083 Depth=1
	v_mov_b32_e32 v19, 0x7f800001
	v_and_b32_e32 v10, 0x7f, v32
	v_mov_b32_e32 v20, 0
	s_mov_b32 s22, exec_lo
	v_cmpx_ne_u32_e32 0x7f, v10
	s_cbranch_execz .LBB216_3892
; %bb.3889:                             ;   in Loop: Header=BB216_2083 Depth=1
	v_and_b32_e32 v8, 7, v32
	v_lshrrev_b32_e32 v13, 3, v10
	v_cmp_gt_u32_e64 s8, 8, v10
	v_mov_b32_e32 v11, v9
	v_mov_b32_e32 v10, v8
	s_and_saveexec_b32 s23, s8
; %bb.3890:                             ;   in Loop: Header=BB216_2083 Depth=1
	v_ffbh_u32_e32 v10, v8
	v_min_u32_e32 v13, 32, v10
	v_subrev_nc_u32_e32 v10, 28, v13
	v_sub_nc_u32_e32 v13, 29, v13
	v_lshlrev_b64 v[10:11], v10, v[8:9]
	v_and_b32_e32 v10, 7, v10
; %bb.3891:                             ;   in Loop: Header=BB216_2083 Depth=1
	s_or_b32 exec_lo, exec_lo, s23
	v_lshlrev_b32_e32 v8, 24, v32
	v_lshlrev_b32_e32 v10, 20, v10
	v_lshl_add_u32 v11, v13, 23, 0x3c000000
	v_and_b32_e32 v8, 0x80000000, v8
	v_or3_b32 v8, v10, v8, v11
	v_mov_b32_e32 v20, v9
	v_mov_b32_e32 v19, v8
.LBB216_3892:                           ;   in Loop: Header=BB216_2083 Depth=1
	s_or_b32 exec_lo, exec_lo, s22
.LBB216_3893:                           ;   in Loop: Header=BB216_2083 Depth=1
	s_or_b32 exec_lo, exec_lo, s21
.LBB216_3894:                           ;   in Loop: Header=BB216_2083 Depth=1
	s_or_b32 exec_lo, exec_lo, s20
	v_cmp_ne_u16_sdwa s8, v32, v9 src0_sel:BYTE_1 src1_sel:DWORD
	s_and_saveexec_b32 s20, s8
	s_cbranch_execz .LBB216_3902
; %bb.3895:                             ;   in Loop: Header=BB216_2083 Depth=1
	v_mov_b32_e32 v11, v9
	v_mov_b32_e32 v22, v12
	v_cmp_ne_u16_sdwa s8, v32, v74 src0_sel:BYTE_1 src1_sel:DWORD
	v_mov_b32_e32 v21, v11
	s_and_saveexec_b32 s21, s8
	s_cbranch_execz .LBB216_3901
; %bb.3896:                             ;   in Loop: Header=BB216_2083 Depth=1
	v_and_b32_sdwa v8, v75, v32 dst_sel:DWORD dst_unused:UNUSED_PAD src0_sel:DWORD src1_sel:BYTE_1
	v_mov_b32_e32 v13, v9
	v_mov_b32_e32 v22, v14
	s_mov_b32 s22, exec_lo
	v_and_b32_e32 v10, 0x7f, v8
	v_mov_b32_e32 v21, v13
	v_cmpx_ne_u32_e32 0x7f, v10
	s_cbranch_execz .LBB216_3900
; %bb.3897:                             ;   in Loop: Header=BB216_2083 Depth=1
	v_and_b32_e32 v8, 7, v8
	v_lshrrev_b32_e32 v13, 3, v10
	v_cmp_gt_u32_e64 s8, 8, v10
	v_mov_b32_e32 v11, v9
	v_mov_b32_e32 v10, v8
	s_and_saveexec_b32 s23, s8
; %bb.3898:                             ;   in Loop: Header=BB216_2083 Depth=1
	v_ffbh_u32_e32 v10, v8
	v_min_u32_e32 v13, 32, v10
	v_subrev_nc_u32_e32 v10, 28, v13
	v_sub_nc_u32_e32 v13, 29, v13
	v_lshlrev_b64 v[10:11], v10, v[8:9]
	v_and_b32_e32 v10, 7, v10
; %bb.3899:                             ;   in Loop: Header=BB216_2083 Depth=1
	s_or_b32 exec_lo, exec_lo, s23
	v_lshlrev_b32_e32 v8, 16, v32
	v_lshlrev_b32_e32 v10, 20, v10
	v_lshl_add_u32 v11, v13, 23, 0x3c000000
	v_mov_b32_e32 v21, v9
	v_and_b32_e32 v8, 0x80000000, v8
	v_or3_b32 v22, v10, v8, v11
.LBB216_3900:                           ;   in Loop: Header=BB216_2083 Depth=1
	s_or_b32 exec_lo, exec_lo, s22
.LBB216_3901:                           ;   in Loop: Header=BB216_2083 Depth=1
	s_or_b32 exec_lo, exec_lo, s21
.LBB216_3902:                           ;   in Loop: Header=BB216_2083 Depth=1
	s_or_b32 exec_lo, exec_lo, s20
	v_mov_b32_e32 v10, 0
	v_mov_b32_e32 v23, 0
	v_and_b32_sdwa v8, v32, v76 dst_sel:DWORD dst_unused:UNUSED_PAD src0_sel:WORD_1 src1_sel:DWORD
	v_mov_b32_e32 v11, 0
	v_mov_b32_e32 v24, 0
	s_mov_b32 s20, exec_lo
	v_cmpx_ne_u16_e32 0, v8
	s_cbranch_execz .LBB216_3910
; %bb.3903:                             ;   in Loop: Header=BB216_2083 Depth=1
	v_bfrev_b32_e32 v23, 1
	v_mov_b32_e32 v24, 0
	s_mov_b32 s21, exec_lo
	v_cmpx_ne_u16_e32 0x80, v8
	s_cbranch_execz .LBB216_3909
; %bb.3904:                             ;   in Loop: Header=BB216_2083 Depth=1
	v_mov_b32_e32 v23, 0x7f800001
	v_bfe_u32 v29, v32, 16, 7
	v_mov_b32_e32 v24, 0
	s_mov_b32 s22, exec_lo
	v_cmpx_ne_u32_e32 0x7f, v29
	s_cbranch_execz .LBB216_3908
; %bb.3905:                             ;   in Loop: Header=BB216_2083 Depth=1
	v_and_b32_sdwa v8, v32, v77 dst_sel:DWORD dst_unused:UNUSED_PAD src0_sel:WORD_1 src1_sel:DWORD
	v_mov_b32_e32 v24, v9
	v_lshrrev_b32_e32 v13, 3, v29
	s_mov_b32 s23, exec_lo
	v_mov_b32_e32 v23, v8
	v_cmpx_gt_u32_e32 8, v29
; %bb.3906:                             ;   in Loop: Header=BB216_2083 Depth=1
	v_ffbh_u32_e32 v13, v8
	v_min_u32_e32 v13, 32, v13
	v_subrev_nc_u32_e32 v23, 28, v13
	v_sub_nc_u32_e32 v13, 29, v13
	v_lshlrev_b64 v[23:24], v23, v[8:9]
	v_and_b32_e32 v23, 7, v23
; %bb.3907:                             ;   in Loop: Header=BB216_2083 Depth=1
	s_or_b32 exec_lo, exec_lo, s23
	v_lshlrev_b32_sdwa v8, v78, v32 dst_sel:DWORD dst_unused:UNUSED_PAD src0_sel:DWORD src1_sel:WORD_1
	v_lshlrev_b32_e32 v23, 20, v23
	v_lshl_add_u32 v13, v13, 23, 0x3c000000
	v_and_b32_e32 v8, 0x80000000, v8
	v_or3_b32 v8, v23, v8, v13
	v_mov_b32_e32 v24, v9
	v_mov_b32_e32 v23, v8
.LBB216_3908:                           ;   in Loop: Header=BB216_2083 Depth=1
	s_or_b32 exec_lo, exec_lo, s22
.LBB216_3909:                           ;   in Loop: Header=BB216_2083 Depth=1
	s_or_b32 exec_lo, exec_lo, s21
.LBB216_3910:                           ;   in Loop: Header=BB216_2083 Depth=1
	s_or_b32 exec_lo, exec_lo, s20
	s_mov_b32 s20, exec_lo
	v_cmpx_lt_u32_e32 0xffffff, v32
	s_cbranch_execz .LBB216_3918
; %bb.3911:                             ;   in Loop: Header=BB216_2083 Depth=1
	v_mov_b32_e32 v11, v9
	v_cmp_ne_u32_sdwa s8, v32, v74 src0_sel:BYTE_3 src1_sel:DWORD
	v_mov_b32_e32 v10, v11
	v_mov_b32_e32 v11, v12
	s_and_saveexec_b32 s21, s8
	s_cbranch_execz .LBB216_3917
; %bb.3912:                             ;   in Loop: Header=BB216_2083 Depth=1
	v_mov_b32_e32 v13, v9
	v_bfe_u32 v33, v32, 24, 7
	s_mov_b32 s22, exec_lo
	v_mov_b32_e32 v10, v13
	v_mov_b32_e32 v11, v14
	v_cmpx_ne_u32_e32 0x7f, v33
	s_cbranch_execz .LBB216_3916
; %bb.3913:                             ;   in Loop: Header=BB216_2083 Depth=1
	v_and_b32_sdwa v8, v32, v77 dst_sel:DWORD dst_unused:UNUSED_PAD src0_sel:BYTE_3 src1_sel:DWORD
	v_mov_b32_e32 v11, v9
	v_lshrrev_b32_e32 v13, 3, v33
	s_mov_b32 s23, exec_lo
	v_mov_b32_e32 v10, v8
	v_cmpx_gt_u32_e32 8, v33
; %bb.3914:                             ;   in Loop: Header=BB216_2083 Depth=1
	v_ffbh_u32_e32 v10, v8
	v_min_u32_e32 v13, 32, v10
	v_subrev_nc_u32_e32 v10, 28, v13
	v_sub_nc_u32_e32 v13, 29, v13
	v_lshlrev_b64 v[10:11], v10, v[8:9]
	v_and_b32_e32 v10, 7, v10
; %bb.3915:                             ;   in Loop: Header=BB216_2083 Depth=1
	s_or_b32 exec_lo, exec_lo, s23
	v_lshlrev_b32_sdwa v8, v78, v32 dst_sel:DWORD dst_unused:UNUSED_PAD src0_sel:DWORD src1_sel:BYTE_3
	v_lshlrev_b32_e32 v10, 20, v10
	v_lshl_add_u32 v11, v13, 23, 0x3c000000
	v_and_b32_e32 v8, 0x80000000, v8
	v_or3_b32 v11, v10, v8, v11
	v_mov_b32_e32 v10, v9
.LBB216_3916:                           ;   in Loop: Header=BB216_2083 Depth=1
	s_or_b32 exec_lo, exec_lo, s22
.LBB216_3917:                           ;   in Loop: Header=BB216_2083 Depth=1
	s_or_b32 exec_lo, exec_lo, s21
.LBB216_3918:                           ;   in Loop: Header=BB216_2083 Depth=1
	s_or_b32 exec_lo, exec_lo, s20
	v_or_b32_e32 v8, v22, v20
	v_or_b32_e32 v13, v21, v19
	;; [unrolled: 1-line block ×4, first 2 shown]
	v_mul_f32_e32 v35, v106, v8
	v_mul_f32_e32 v34, v106, v13
	;; [unrolled: 1-line block ×4, first 2 shown]
	s_and_saveexec_b32 s8, s7
; %bb.3919:                             ;   in Loop: Header=BB216_2083 Depth=1
	v_cndmask_b32_e32 v34, 0, v34, vcc_lo
	v_cndmask_b32_e64 v35, 0, v35, s4
	v_cndmask_b32_e64 v33, 0, v33, s5
	;; [unrolled: 1-line block ×3, first 2 shown]
; %bb.3920:                             ;   in Loop: Header=BB216_2083 Depth=1
	s_or_b32 exec_lo, exec_lo, s8
	flat_load_dword v37, v[0:1] offset:768
	v_mov_b32_e32 v21, 0
	v_mov_b32_e32 v19, 0
	;; [unrolled: 1-line block ×4, first 2 shown]
	s_waitcnt vmcnt(0) lgkmcnt(0)
	v_cmp_ne_u16_sdwa s8, v37, v9 src0_sel:BYTE_0 src1_sel:DWORD
	s_and_saveexec_b32 s20, s8
	s_cbranch_execz .LBB216_3928
; %bb.3921:                             ;   in Loop: Header=BB216_2083 Depth=1
	v_bfrev_b32_e32 v19, 1
	v_mov_b32_e32 v20, 0
	v_cmp_ne_u16_sdwa s8, v37, v74 src0_sel:BYTE_0 src1_sel:DWORD
	s_and_saveexec_b32 s21, s8
	s_cbranch_execz .LBB216_3927
; %bb.3922:                             ;   in Loop: Header=BB216_2083 Depth=1
	v_mov_b32_e32 v19, 0x7f800001
	v_and_b32_e32 v10, 0x7f, v37
	v_mov_b32_e32 v20, 0
	s_mov_b32 s22, exec_lo
	v_cmpx_ne_u32_e32 0x7f, v10
	s_cbranch_execz .LBB216_3926
; %bb.3923:                             ;   in Loop: Header=BB216_2083 Depth=1
	v_and_b32_e32 v8, 7, v37
	v_lshrrev_b32_e32 v13, 3, v10
	v_cmp_gt_u32_e64 s8, 8, v10
	v_mov_b32_e32 v11, v9
	v_mov_b32_e32 v10, v8
	s_and_saveexec_b32 s23, s8
; %bb.3924:                             ;   in Loop: Header=BB216_2083 Depth=1
	v_ffbh_u32_e32 v10, v8
	v_min_u32_e32 v13, 32, v10
	v_subrev_nc_u32_e32 v10, 28, v13
	v_sub_nc_u32_e32 v13, 29, v13
	v_lshlrev_b64 v[10:11], v10, v[8:9]
	v_and_b32_e32 v10, 7, v10
; %bb.3925:                             ;   in Loop: Header=BB216_2083 Depth=1
	s_or_b32 exec_lo, exec_lo, s23
	v_lshlrev_b32_e32 v8, 24, v37
	v_lshlrev_b32_e32 v10, 20, v10
	v_lshl_add_u32 v11, v13, 23, 0x3c000000
	v_and_b32_e32 v8, 0x80000000, v8
	v_or3_b32 v8, v10, v8, v11
	v_mov_b32_e32 v20, v9
	v_mov_b32_e32 v19, v8
.LBB216_3926:                           ;   in Loop: Header=BB216_2083 Depth=1
	s_or_b32 exec_lo, exec_lo, s22
.LBB216_3927:                           ;   in Loop: Header=BB216_2083 Depth=1
	s_or_b32 exec_lo, exec_lo, s21
.LBB216_3928:                           ;   in Loop: Header=BB216_2083 Depth=1
	s_or_b32 exec_lo, exec_lo, s20
	v_cmp_ne_u16_sdwa s8, v37, v9 src0_sel:BYTE_1 src1_sel:DWORD
	s_and_saveexec_b32 s20, s8
	s_cbranch_execz .LBB216_3936
; %bb.3929:                             ;   in Loop: Header=BB216_2083 Depth=1
	v_mov_b32_e32 v11, v9
	v_mov_b32_e32 v22, v12
	v_cmp_ne_u16_sdwa s8, v37, v74 src0_sel:BYTE_1 src1_sel:DWORD
	v_mov_b32_e32 v21, v11
	s_and_saveexec_b32 s21, s8
	s_cbranch_execz .LBB216_3935
; %bb.3930:                             ;   in Loop: Header=BB216_2083 Depth=1
	v_and_b32_sdwa v8, v75, v37 dst_sel:DWORD dst_unused:UNUSED_PAD src0_sel:DWORD src1_sel:BYTE_1
	v_mov_b32_e32 v13, v9
	v_mov_b32_e32 v22, v14
	s_mov_b32 s22, exec_lo
	v_and_b32_e32 v10, 0x7f, v8
	v_mov_b32_e32 v21, v13
	v_cmpx_ne_u32_e32 0x7f, v10
	s_cbranch_execz .LBB216_3934
; %bb.3931:                             ;   in Loop: Header=BB216_2083 Depth=1
	v_and_b32_e32 v8, 7, v8
	v_lshrrev_b32_e32 v13, 3, v10
	v_cmp_gt_u32_e64 s8, 8, v10
	v_mov_b32_e32 v11, v9
	v_mov_b32_e32 v10, v8
	s_and_saveexec_b32 s23, s8
; %bb.3932:                             ;   in Loop: Header=BB216_2083 Depth=1
	v_ffbh_u32_e32 v10, v8
	v_min_u32_e32 v13, 32, v10
	v_subrev_nc_u32_e32 v10, 28, v13
	v_sub_nc_u32_e32 v13, 29, v13
	v_lshlrev_b64 v[10:11], v10, v[8:9]
	v_and_b32_e32 v10, 7, v10
; %bb.3933:                             ;   in Loop: Header=BB216_2083 Depth=1
	s_or_b32 exec_lo, exec_lo, s23
	v_lshlrev_b32_e32 v8, 16, v37
	v_lshlrev_b32_e32 v10, 20, v10
	v_lshl_add_u32 v11, v13, 23, 0x3c000000
	v_mov_b32_e32 v21, v9
	v_and_b32_e32 v8, 0x80000000, v8
	v_or3_b32 v22, v10, v8, v11
.LBB216_3934:                           ;   in Loop: Header=BB216_2083 Depth=1
	s_or_b32 exec_lo, exec_lo, s22
.LBB216_3935:                           ;   in Loop: Header=BB216_2083 Depth=1
	s_or_b32 exec_lo, exec_lo, s21
.LBB216_3936:                           ;   in Loop: Header=BB216_2083 Depth=1
	s_or_b32 exec_lo, exec_lo, s20
	v_mov_b32_e32 v10, 0
	v_mov_b32_e32 v23, 0
	v_and_b32_sdwa v8, v37, v76 dst_sel:DWORD dst_unused:UNUSED_PAD src0_sel:WORD_1 src1_sel:DWORD
	v_mov_b32_e32 v11, 0
	v_mov_b32_e32 v24, 0
	s_mov_b32 s20, exec_lo
	v_cmpx_ne_u16_e32 0, v8
	s_cbranch_execz .LBB216_3944
; %bb.3937:                             ;   in Loop: Header=BB216_2083 Depth=1
	v_bfrev_b32_e32 v23, 1
	v_mov_b32_e32 v24, 0
	s_mov_b32 s21, exec_lo
	v_cmpx_ne_u16_e32 0x80, v8
	s_cbranch_execz .LBB216_3943
; %bb.3938:                             ;   in Loop: Header=BB216_2083 Depth=1
	v_mov_b32_e32 v23, 0x7f800001
	v_bfe_u32 v29, v37, 16, 7
	v_mov_b32_e32 v24, 0
	s_mov_b32 s22, exec_lo
	v_cmpx_ne_u32_e32 0x7f, v29
	s_cbranch_execz .LBB216_3942
; %bb.3939:                             ;   in Loop: Header=BB216_2083 Depth=1
	v_and_b32_sdwa v8, v37, v77 dst_sel:DWORD dst_unused:UNUSED_PAD src0_sel:WORD_1 src1_sel:DWORD
	v_mov_b32_e32 v24, v9
	v_lshrrev_b32_e32 v13, 3, v29
	s_mov_b32 s23, exec_lo
	v_mov_b32_e32 v23, v8
	v_cmpx_gt_u32_e32 8, v29
; %bb.3940:                             ;   in Loop: Header=BB216_2083 Depth=1
	v_ffbh_u32_e32 v13, v8
	v_min_u32_e32 v13, 32, v13
	v_subrev_nc_u32_e32 v23, 28, v13
	v_sub_nc_u32_e32 v13, 29, v13
	v_lshlrev_b64 v[23:24], v23, v[8:9]
	v_and_b32_e32 v23, 7, v23
; %bb.3941:                             ;   in Loop: Header=BB216_2083 Depth=1
	s_or_b32 exec_lo, exec_lo, s23
	v_lshlrev_b32_sdwa v8, v78, v37 dst_sel:DWORD dst_unused:UNUSED_PAD src0_sel:DWORD src1_sel:WORD_1
	v_lshlrev_b32_e32 v23, 20, v23
	v_lshl_add_u32 v13, v13, 23, 0x3c000000
	v_and_b32_e32 v8, 0x80000000, v8
	v_or3_b32 v8, v23, v8, v13
	v_mov_b32_e32 v24, v9
	v_mov_b32_e32 v23, v8
.LBB216_3942:                           ;   in Loop: Header=BB216_2083 Depth=1
	s_or_b32 exec_lo, exec_lo, s22
.LBB216_3943:                           ;   in Loop: Header=BB216_2083 Depth=1
	s_or_b32 exec_lo, exec_lo, s21
.LBB216_3944:                           ;   in Loop: Header=BB216_2083 Depth=1
	s_or_b32 exec_lo, exec_lo, s20
	s_mov_b32 s20, exec_lo
	v_cmpx_lt_u32_e32 0xffffff, v37
	s_cbranch_execz .LBB216_3952
; %bb.3945:                             ;   in Loop: Header=BB216_2083 Depth=1
	v_mov_b32_e32 v11, v9
	v_cmp_ne_u32_sdwa s8, v37, v74 src0_sel:BYTE_3 src1_sel:DWORD
	v_mov_b32_e32 v10, v11
	v_mov_b32_e32 v11, v12
	s_and_saveexec_b32 s21, s8
	s_cbranch_execz .LBB216_3951
; %bb.3946:                             ;   in Loop: Header=BB216_2083 Depth=1
	v_mov_b32_e32 v13, v9
	v_bfe_u32 v38, v37, 24, 7
	s_mov_b32 s22, exec_lo
	v_mov_b32_e32 v10, v13
	v_mov_b32_e32 v11, v14
	v_cmpx_ne_u32_e32 0x7f, v38
	s_cbranch_execz .LBB216_3950
; %bb.3947:                             ;   in Loop: Header=BB216_2083 Depth=1
	v_and_b32_sdwa v8, v37, v77 dst_sel:DWORD dst_unused:UNUSED_PAD src0_sel:BYTE_3 src1_sel:DWORD
	v_mov_b32_e32 v11, v9
	v_lshrrev_b32_e32 v13, 3, v38
	s_mov_b32 s23, exec_lo
	v_mov_b32_e32 v10, v8
	v_cmpx_gt_u32_e32 8, v38
; %bb.3948:                             ;   in Loop: Header=BB216_2083 Depth=1
	v_ffbh_u32_e32 v10, v8
	v_min_u32_e32 v13, 32, v10
	v_subrev_nc_u32_e32 v10, 28, v13
	v_sub_nc_u32_e32 v13, 29, v13
	v_lshlrev_b64 v[10:11], v10, v[8:9]
	v_and_b32_e32 v10, 7, v10
; %bb.3949:                             ;   in Loop: Header=BB216_2083 Depth=1
	s_or_b32 exec_lo, exec_lo, s23
	v_lshlrev_b32_sdwa v8, v78, v37 dst_sel:DWORD dst_unused:UNUSED_PAD src0_sel:DWORD src1_sel:BYTE_3
	v_lshlrev_b32_e32 v10, 20, v10
	v_lshl_add_u32 v11, v13, 23, 0x3c000000
	v_and_b32_e32 v8, 0x80000000, v8
	v_or3_b32 v11, v10, v8, v11
	v_mov_b32_e32 v10, v9
.LBB216_3950:                           ;   in Loop: Header=BB216_2083 Depth=1
	s_or_b32 exec_lo, exec_lo, s22
.LBB216_3951:                           ;   in Loop: Header=BB216_2083 Depth=1
	s_or_b32 exec_lo, exec_lo, s21
.LBB216_3952:                           ;   in Loop: Header=BB216_2083 Depth=1
	s_or_b32 exec_lo, exec_lo, s20
	v_or_b32_e32 v8, v22, v20
	v_or_b32_e32 v13, v21, v19
	;; [unrolled: 1-line block ×4, first 2 shown]
	v_mul_f32_e32 v48, v106, v8
	v_mul_f32_e32 v39, v106, v13
	;; [unrolled: 1-line block ×4, first 2 shown]
	s_and_saveexec_b32 s8, s7
; %bb.3953:                             ;   in Loop: Header=BB216_2083 Depth=1
	v_cndmask_b32_e32 v39, 0, v39, vcc_lo
	v_cndmask_b32_e64 v48, 0, v48, s4
	v_cndmask_b32_e64 v38, 0, v38, s5
	;; [unrolled: 1-line block ×3, first 2 shown]
; %bb.3954:                             ;   in Loop: Header=BB216_2083 Depth=1
	s_or_b32 exec_lo, exec_lo, s8
	flat_load_dword v49, v[0:1] offset:896
	v_mov_b32_e32 v21, 0
	v_mov_b32_e32 v19, 0
	;; [unrolled: 1-line block ×4, first 2 shown]
	s_waitcnt vmcnt(0) lgkmcnt(0)
	v_cmp_ne_u16_sdwa s8, v49, v9 src0_sel:BYTE_0 src1_sel:DWORD
	s_and_saveexec_b32 s20, s8
	s_cbranch_execz .LBB216_3962
; %bb.3955:                             ;   in Loop: Header=BB216_2083 Depth=1
	v_bfrev_b32_e32 v19, 1
	v_mov_b32_e32 v20, 0
	v_cmp_ne_u16_sdwa s8, v49, v74 src0_sel:BYTE_0 src1_sel:DWORD
	s_and_saveexec_b32 s21, s8
	s_cbranch_execz .LBB216_3961
; %bb.3956:                             ;   in Loop: Header=BB216_2083 Depth=1
	v_mov_b32_e32 v19, 0x7f800001
	v_and_b32_e32 v10, 0x7f, v49
	v_mov_b32_e32 v20, 0
	s_mov_b32 s22, exec_lo
	v_cmpx_ne_u32_e32 0x7f, v10
	s_cbranch_execz .LBB216_3960
; %bb.3957:                             ;   in Loop: Header=BB216_2083 Depth=1
	v_and_b32_e32 v8, 7, v49
	v_lshrrev_b32_e32 v13, 3, v10
	v_cmp_gt_u32_e64 s8, 8, v10
	v_mov_b32_e32 v11, v9
	v_mov_b32_e32 v10, v8
	s_and_saveexec_b32 s23, s8
; %bb.3958:                             ;   in Loop: Header=BB216_2083 Depth=1
	v_ffbh_u32_e32 v10, v8
	v_min_u32_e32 v13, 32, v10
	v_subrev_nc_u32_e32 v10, 28, v13
	v_sub_nc_u32_e32 v13, 29, v13
	v_lshlrev_b64 v[10:11], v10, v[8:9]
	v_and_b32_e32 v10, 7, v10
; %bb.3959:                             ;   in Loop: Header=BB216_2083 Depth=1
	s_or_b32 exec_lo, exec_lo, s23
	v_lshlrev_b32_e32 v8, 24, v49
	v_lshlrev_b32_e32 v10, 20, v10
	v_lshl_add_u32 v11, v13, 23, 0x3c000000
	v_and_b32_e32 v8, 0x80000000, v8
	v_or3_b32 v8, v10, v8, v11
	v_mov_b32_e32 v20, v9
	v_mov_b32_e32 v19, v8
.LBB216_3960:                           ;   in Loop: Header=BB216_2083 Depth=1
	s_or_b32 exec_lo, exec_lo, s22
.LBB216_3961:                           ;   in Loop: Header=BB216_2083 Depth=1
	s_or_b32 exec_lo, exec_lo, s21
.LBB216_3962:                           ;   in Loop: Header=BB216_2083 Depth=1
	s_or_b32 exec_lo, exec_lo, s20
	v_cmp_ne_u16_sdwa s8, v49, v9 src0_sel:BYTE_1 src1_sel:DWORD
	s_and_saveexec_b32 s20, s8
	s_cbranch_execz .LBB216_3970
; %bb.3963:                             ;   in Loop: Header=BB216_2083 Depth=1
	v_mov_b32_e32 v11, v9
	v_mov_b32_e32 v22, v12
	v_cmp_ne_u16_sdwa s8, v49, v74 src0_sel:BYTE_1 src1_sel:DWORD
	v_mov_b32_e32 v21, v11
	s_and_saveexec_b32 s21, s8
	s_cbranch_execz .LBB216_3969
; %bb.3964:                             ;   in Loop: Header=BB216_2083 Depth=1
	v_and_b32_sdwa v8, v75, v49 dst_sel:DWORD dst_unused:UNUSED_PAD src0_sel:DWORD src1_sel:BYTE_1
	v_mov_b32_e32 v13, v9
	v_mov_b32_e32 v22, v14
	s_mov_b32 s22, exec_lo
	v_and_b32_e32 v10, 0x7f, v8
	v_mov_b32_e32 v21, v13
	v_cmpx_ne_u32_e32 0x7f, v10
	s_cbranch_execz .LBB216_3968
; %bb.3965:                             ;   in Loop: Header=BB216_2083 Depth=1
	v_and_b32_e32 v8, 7, v8
	v_lshrrev_b32_e32 v13, 3, v10
	v_cmp_gt_u32_e64 s8, 8, v10
	v_mov_b32_e32 v11, v9
	v_mov_b32_e32 v10, v8
	s_and_saveexec_b32 s23, s8
; %bb.3966:                             ;   in Loop: Header=BB216_2083 Depth=1
	v_ffbh_u32_e32 v10, v8
	v_min_u32_e32 v13, 32, v10
	v_subrev_nc_u32_e32 v10, 28, v13
	v_sub_nc_u32_e32 v13, 29, v13
	v_lshlrev_b64 v[10:11], v10, v[8:9]
	v_and_b32_e32 v10, 7, v10
; %bb.3967:                             ;   in Loop: Header=BB216_2083 Depth=1
	s_or_b32 exec_lo, exec_lo, s23
	v_lshlrev_b32_e32 v8, 16, v49
	v_lshlrev_b32_e32 v10, 20, v10
	v_lshl_add_u32 v11, v13, 23, 0x3c000000
	v_mov_b32_e32 v21, v9
	v_and_b32_e32 v8, 0x80000000, v8
	v_or3_b32 v22, v10, v8, v11
.LBB216_3968:                           ;   in Loop: Header=BB216_2083 Depth=1
	s_or_b32 exec_lo, exec_lo, s22
.LBB216_3969:                           ;   in Loop: Header=BB216_2083 Depth=1
	s_or_b32 exec_lo, exec_lo, s21
.LBB216_3970:                           ;   in Loop: Header=BB216_2083 Depth=1
	s_or_b32 exec_lo, exec_lo, s20
	v_mov_b32_e32 v10, 0
	v_mov_b32_e32 v23, 0
	v_and_b32_sdwa v8, v49, v76 dst_sel:DWORD dst_unused:UNUSED_PAD src0_sel:WORD_1 src1_sel:DWORD
	v_mov_b32_e32 v11, 0
	v_mov_b32_e32 v24, 0
	s_mov_b32 s20, exec_lo
	v_cmpx_ne_u16_e32 0, v8
	s_cbranch_execz .LBB216_3978
; %bb.3971:                             ;   in Loop: Header=BB216_2083 Depth=1
	v_bfrev_b32_e32 v23, 1
	v_mov_b32_e32 v24, 0
	s_mov_b32 s21, exec_lo
	v_cmpx_ne_u16_e32 0x80, v8
	s_cbranch_execz .LBB216_3977
; %bb.3972:                             ;   in Loop: Header=BB216_2083 Depth=1
	v_mov_b32_e32 v23, 0x7f800001
	v_bfe_u32 v29, v49, 16, 7
	v_mov_b32_e32 v24, 0
	s_mov_b32 s22, exec_lo
	v_cmpx_ne_u32_e32 0x7f, v29
	s_cbranch_execz .LBB216_3976
; %bb.3973:                             ;   in Loop: Header=BB216_2083 Depth=1
	v_and_b32_sdwa v8, v49, v77 dst_sel:DWORD dst_unused:UNUSED_PAD src0_sel:WORD_1 src1_sel:DWORD
	v_mov_b32_e32 v24, v9
	v_lshrrev_b32_e32 v13, 3, v29
	s_mov_b32 s23, exec_lo
	v_mov_b32_e32 v23, v8
	v_cmpx_gt_u32_e32 8, v29
; %bb.3974:                             ;   in Loop: Header=BB216_2083 Depth=1
	v_ffbh_u32_e32 v13, v8
	v_min_u32_e32 v13, 32, v13
	v_subrev_nc_u32_e32 v23, 28, v13
	v_sub_nc_u32_e32 v13, 29, v13
	v_lshlrev_b64 v[23:24], v23, v[8:9]
	v_and_b32_e32 v23, 7, v23
; %bb.3975:                             ;   in Loop: Header=BB216_2083 Depth=1
	s_or_b32 exec_lo, exec_lo, s23
	v_lshlrev_b32_sdwa v8, v78, v49 dst_sel:DWORD dst_unused:UNUSED_PAD src0_sel:DWORD src1_sel:WORD_1
	v_lshlrev_b32_e32 v23, 20, v23
	v_lshl_add_u32 v13, v13, 23, 0x3c000000
	v_and_b32_e32 v8, 0x80000000, v8
	v_or3_b32 v8, v23, v8, v13
	v_mov_b32_e32 v24, v9
	v_mov_b32_e32 v23, v8
.LBB216_3976:                           ;   in Loop: Header=BB216_2083 Depth=1
	s_or_b32 exec_lo, exec_lo, s22
.LBB216_3977:                           ;   in Loop: Header=BB216_2083 Depth=1
	s_or_b32 exec_lo, exec_lo, s21
.LBB216_3978:                           ;   in Loop: Header=BB216_2083 Depth=1
	s_or_b32 exec_lo, exec_lo, s20
	s_mov_b32 s20, exec_lo
	v_cmpx_lt_u32_e32 0xffffff, v49
	s_cbranch_execz .LBB216_3986
; %bb.3979:                             ;   in Loop: Header=BB216_2083 Depth=1
	v_mov_b32_e32 v11, v9
	v_cmp_ne_u32_sdwa s8, v49, v74 src0_sel:BYTE_3 src1_sel:DWORD
	v_mov_b32_e32 v10, v11
	v_mov_b32_e32 v11, v12
	s_and_saveexec_b32 s21, s8
	s_cbranch_execz .LBB216_3985
; %bb.3980:                             ;   in Loop: Header=BB216_2083 Depth=1
	v_mov_b32_e32 v13, v9
	v_bfe_u32 v50, v49, 24, 7
	s_mov_b32 s22, exec_lo
	v_mov_b32_e32 v10, v13
	v_mov_b32_e32 v11, v14
	v_cmpx_ne_u32_e32 0x7f, v50
	s_cbranch_execz .LBB216_3984
; %bb.3981:                             ;   in Loop: Header=BB216_2083 Depth=1
	v_and_b32_sdwa v8, v49, v77 dst_sel:DWORD dst_unused:UNUSED_PAD src0_sel:BYTE_3 src1_sel:DWORD
	v_mov_b32_e32 v11, v9
	v_lshrrev_b32_e32 v13, 3, v50
	s_mov_b32 s23, exec_lo
	v_mov_b32_e32 v10, v8
	v_cmpx_gt_u32_e32 8, v50
; %bb.3982:                             ;   in Loop: Header=BB216_2083 Depth=1
	v_ffbh_u32_e32 v10, v8
	v_min_u32_e32 v13, 32, v10
	v_subrev_nc_u32_e32 v10, 28, v13
	v_sub_nc_u32_e32 v13, 29, v13
	v_lshlrev_b64 v[10:11], v10, v[8:9]
	v_and_b32_e32 v10, 7, v10
; %bb.3983:                             ;   in Loop: Header=BB216_2083 Depth=1
	s_or_b32 exec_lo, exec_lo, s23
	v_lshlrev_b32_sdwa v8, v78, v49 dst_sel:DWORD dst_unused:UNUSED_PAD src0_sel:DWORD src1_sel:BYTE_3
	v_lshlrev_b32_e32 v10, 20, v10
	v_lshl_add_u32 v11, v13, 23, 0x3c000000
	v_and_b32_e32 v8, 0x80000000, v8
	v_or3_b32 v11, v10, v8, v11
	v_mov_b32_e32 v10, v9
.LBB216_3984:                           ;   in Loop: Header=BB216_2083 Depth=1
	s_or_b32 exec_lo, exec_lo, s22
.LBB216_3985:                           ;   in Loop: Header=BB216_2083 Depth=1
	s_or_b32 exec_lo, exec_lo, s21
.LBB216_3986:                           ;   in Loop: Header=BB216_2083 Depth=1
	s_or_b32 exec_lo, exec_lo, s20
	v_or_b32_e32 v8, v22, v20
	v_or_b32_e32 v13, v21, v19
	;; [unrolled: 1-line block ×4, first 2 shown]
	v_mul_f32_e32 v52, v106, v8
	v_mul_f32_e32 v51, v106, v13
	;; [unrolled: 1-line block ×4, first 2 shown]
	s_and_saveexec_b32 s8, s7
; %bb.3987:                             ;   in Loop: Header=BB216_2083 Depth=1
	v_cndmask_b32_e32 v51, 0, v51, vcc_lo
	v_cndmask_b32_e64 v52, 0, v52, s4
	v_cndmask_b32_e64 v50, 0, v50, s5
	;; [unrolled: 1-line block ×3, first 2 shown]
; %bb.3988:                             ;   in Loop: Header=BB216_2083 Depth=1
	s_or_b32 exec_lo, exec_lo, s8
	flat_load_dword v53, v[0:1] offset:1024
	v_mov_b32_e32 v21, 0
	v_mov_b32_e32 v19, 0
	;; [unrolled: 1-line block ×4, first 2 shown]
	s_waitcnt vmcnt(0) lgkmcnt(0)
	v_cmp_ne_u16_sdwa s8, v53, v9 src0_sel:BYTE_0 src1_sel:DWORD
	s_and_saveexec_b32 s20, s8
	s_cbranch_execz .LBB216_3996
; %bb.3989:                             ;   in Loop: Header=BB216_2083 Depth=1
	v_bfrev_b32_e32 v19, 1
	v_mov_b32_e32 v20, 0
	v_cmp_ne_u16_sdwa s8, v53, v74 src0_sel:BYTE_0 src1_sel:DWORD
	s_and_saveexec_b32 s21, s8
	s_cbranch_execz .LBB216_3995
; %bb.3990:                             ;   in Loop: Header=BB216_2083 Depth=1
	v_mov_b32_e32 v19, 0x7f800001
	v_and_b32_e32 v10, 0x7f, v53
	v_mov_b32_e32 v20, 0
	s_mov_b32 s22, exec_lo
	v_cmpx_ne_u32_e32 0x7f, v10
	s_cbranch_execz .LBB216_3994
; %bb.3991:                             ;   in Loop: Header=BB216_2083 Depth=1
	v_and_b32_e32 v8, 7, v53
	v_lshrrev_b32_e32 v13, 3, v10
	v_cmp_gt_u32_e64 s8, 8, v10
	v_mov_b32_e32 v11, v9
	v_mov_b32_e32 v10, v8
	s_and_saveexec_b32 s23, s8
; %bb.3992:                             ;   in Loop: Header=BB216_2083 Depth=1
	v_ffbh_u32_e32 v10, v8
	v_min_u32_e32 v13, 32, v10
	v_subrev_nc_u32_e32 v10, 28, v13
	v_sub_nc_u32_e32 v13, 29, v13
	v_lshlrev_b64 v[10:11], v10, v[8:9]
	v_and_b32_e32 v10, 7, v10
; %bb.3993:                             ;   in Loop: Header=BB216_2083 Depth=1
	s_or_b32 exec_lo, exec_lo, s23
	v_lshlrev_b32_e32 v8, 24, v53
	v_lshlrev_b32_e32 v10, 20, v10
	v_lshl_add_u32 v11, v13, 23, 0x3c000000
	v_and_b32_e32 v8, 0x80000000, v8
	v_or3_b32 v8, v10, v8, v11
	v_mov_b32_e32 v20, v9
	v_mov_b32_e32 v19, v8
.LBB216_3994:                           ;   in Loop: Header=BB216_2083 Depth=1
	s_or_b32 exec_lo, exec_lo, s22
.LBB216_3995:                           ;   in Loop: Header=BB216_2083 Depth=1
	s_or_b32 exec_lo, exec_lo, s21
.LBB216_3996:                           ;   in Loop: Header=BB216_2083 Depth=1
	s_or_b32 exec_lo, exec_lo, s20
	v_cmp_ne_u16_sdwa s8, v53, v9 src0_sel:BYTE_1 src1_sel:DWORD
	s_and_saveexec_b32 s20, s8
	s_cbranch_execz .LBB216_4004
; %bb.3997:                             ;   in Loop: Header=BB216_2083 Depth=1
	v_mov_b32_e32 v11, v9
	v_mov_b32_e32 v22, v12
	v_cmp_ne_u16_sdwa s8, v53, v74 src0_sel:BYTE_1 src1_sel:DWORD
	v_mov_b32_e32 v21, v11
	s_and_saveexec_b32 s21, s8
	s_cbranch_execz .LBB216_4003
; %bb.3998:                             ;   in Loop: Header=BB216_2083 Depth=1
	v_and_b32_sdwa v8, v75, v53 dst_sel:DWORD dst_unused:UNUSED_PAD src0_sel:DWORD src1_sel:BYTE_1
	v_mov_b32_e32 v13, v9
	v_mov_b32_e32 v22, v14
	s_mov_b32 s22, exec_lo
	v_and_b32_e32 v10, 0x7f, v8
	v_mov_b32_e32 v21, v13
	v_cmpx_ne_u32_e32 0x7f, v10
	s_cbranch_execz .LBB216_4002
; %bb.3999:                             ;   in Loop: Header=BB216_2083 Depth=1
	v_and_b32_e32 v8, 7, v8
	v_lshrrev_b32_e32 v13, 3, v10
	v_cmp_gt_u32_e64 s8, 8, v10
	v_mov_b32_e32 v11, v9
	v_mov_b32_e32 v10, v8
	s_and_saveexec_b32 s23, s8
; %bb.4000:                             ;   in Loop: Header=BB216_2083 Depth=1
	v_ffbh_u32_e32 v10, v8
	v_min_u32_e32 v13, 32, v10
	v_subrev_nc_u32_e32 v10, 28, v13
	v_sub_nc_u32_e32 v13, 29, v13
	v_lshlrev_b64 v[10:11], v10, v[8:9]
	v_and_b32_e32 v10, 7, v10
; %bb.4001:                             ;   in Loop: Header=BB216_2083 Depth=1
	s_or_b32 exec_lo, exec_lo, s23
	v_lshlrev_b32_e32 v8, 16, v53
	v_lshlrev_b32_e32 v10, 20, v10
	v_lshl_add_u32 v11, v13, 23, 0x3c000000
	v_mov_b32_e32 v21, v9
	v_and_b32_e32 v8, 0x80000000, v8
	v_or3_b32 v22, v10, v8, v11
.LBB216_4002:                           ;   in Loop: Header=BB216_2083 Depth=1
	s_or_b32 exec_lo, exec_lo, s22
.LBB216_4003:                           ;   in Loop: Header=BB216_2083 Depth=1
	s_or_b32 exec_lo, exec_lo, s21
.LBB216_4004:                           ;   in Loop: Header=BB216_2083 Depth=1
	s_or_b32 exec_lo, exec_lo, s20
	v_mov_b32_e32 v10, 0
	v_mov_b32_e32 v23, 0
	v_and_b32_sdwa v8, v53, v76 dst_sel:DWORD dst_unused:UNUSED_PAD src0_sel:WORD_1 src1_sel:DWORD
	v_mov_b32_e32 v11, 0
	v_mov_b32_e32 v24, 0
	s_mov_b32 s20, exec_lo
	v_cmpx_ne_u16_e32 0, v8
	s_cbranch_execz .LBB216_4012
; %bb.4005:                             ;   in Loop: Header=BB216_2083 Depth=1
	v_bfrev_b32_e32 v23, 1
	v_mov_b32_e32 v24, 0
	s_mov_b32 s21, exec_lo
	v_cmpx_ne_u16_e32 0x80, v8
	s_cbranch_execz .LBB216_4011
; %bb.4006:                             ;   in Loop: Header=BB216_2083 Depth=1
	v_mov_b32_e32 v23, 0x7f800001
	v_bfe_u32 v29, v53, 16, 7
	v_mov_b32_e32 v24, 0
	s_mov_b32 s22, exec_lo
	v_cmpx_ne_u32_e32 0x7f, v29
	s_cbranch_execz .LBB216_4010
; %bb.4007:                             ;   in Loop: Header=BB216_2083 Depth=1
	v_and_b32_sdwa v8, v53, v77 dst_sel:DWORD dst_unused:UNUSED_PAD src0_sel:WORD_1 src1_sel:DWORD
	v_mov_b32_e32 v24, v9
	v_lshrrev_b32_e32 v13, 3, v29
	s_mov_b32 s23, exec_lo
	v_mov_b32_e32 v23, v8
	v_cmpx_gt_u32_e32 8, v29
; %bb.4008:                             ;   in Loop: Header=BB216_2083 Depth=1
	v_ffbh_u32_e32 v13, v8
	v_min_u32_e32 v13, 32, v13
	v_subrev_nc_u32_e32 v23, 28, v13
	v_sub_nc_u32_e32 v13, 29, v13
	v_lshlrev_b64 v[23:24], v23, v[8:9]
	v_and_b32_e32 v23, 7, v23
; %bb.4009:                             ;   in Loop: Header=BB216_2083 Depth=1
	s_or_b32 exec_lo, exec_lo, s23
	v_lshlrev_b32_sdwa v8, v78, v53 dst_sel:DWORD dst_unused:UNUSED_PAD src0_sel:DWORD src1_sel:WORD_1
	v_lshlrev_b32_e32 v23, 20, v23
	v_lshl_add_u32 v13, v13, 23, 0x3c000000
	v_and_b32_e32 v8, 0x80000000, v8
	v_or3_b32 v8, v23, v8, v13
	v_mov_b32_e32 v24, v9
	v_mov_b32_e32 v23, v8
.LBB216_4010:                           ;   in Loop: Header=BB216_2083 Depth=1
	s_or_b32 exec_lo, exec_lo, s22
.LBB216_4011:                           ;   in Loop: Header=BB216_2083 Depth=1
	s_or_b32 exec_lo, exec_lo, s21
.LBB216_4012:                           ;   in Loop: Header=BB216_2083 Depth=1
	s_or_b32 exec_lo, exec_lo, s20
	s_mov_b32 s20, exec_lo
	v_cmpx_lt_u32_e32 0xffffff, v53
	s_cbranch_execz .LBB216_4020
; %bb.4013:                             ;   in Loop: Header=BB216_2083 Depth=1
	v_mov_b32_e32 v11, v9
	v_cmp_ne_u32_sdwa s8, v53, v74 src0_sel:BYTE_3 src1_sel:DWORD
	v_mov_b32_e32 v10, v11
	v_mov_b32_e32 v11, v12
	s_and_saveexec_b32 s21, s8
	s_cbranch_execz .LBB216_4019
; %bb.4014:                             ;   in Loop: Header=BB216_2083 Depth=1
	v_mov_b32_e32 v13, v9
	v_bfe_u32 v54, v53, 24, 7
	s_mov_b32 s22, exec_lo
	v_mov_b32_e32 v10, v13
	v_mov_b32_e32 v11, v14
	v_cmpx_ne_u32_e32 0x7f, v54
	s_cbranch_execz .LBB216_4018
; %bb.4015:                             ;   in Loop: Header=BB216_2083 Depth=1
	v_and_b32_sdwa v8, v53, v77 dst_sel:DWORD dst_unused:UNUSED_PAD src0_sel:BYTE_3 src1_sel:DWORD
	v_mov_b32_e32 v11, v9
	v_lshrrev_b32_e32 v13, 3, v54
	s_mov_b32 s23, exec_lo
	v_mov_b32_e32 v10, v8
	v_cmpx_gt_u32_e32 8, v54
; %bb.4016:                             ;   in Loop: Header=BB216_2083 Depth=1
	v_ffbh_u32_e32 v10, v8
	v_min_u32_e32 v13, 32, v10
	v_subrev_nc_u32_e32 v10, 28, v13
	v_sub_nc_u32_e32 v13, 29, v13
	v_lshlrev_b64 v[10:11], v10, v[8:9]
	v_and_b32_e32 v10, 7, v10
; %bb.4017:                             ;   in Loop: Header=BB216_2083 Depth=1
	s_or_b32 exec_lo, exec_lo, s23
	v_lshlrev_b32_sdwa v8, v78, v53 dst_sel:DWORD dst_unused:UNUSED_PAD src0_sel:DWORD src1_sel:BYTE_3
	v_lshlrev_b32_e32 v10, 20, v10
	v_lshl_add_u32 v11, v13, 23, 0x3c000000
	v_and_b32_e32 v8, 0x80000000, v8
	v_or3_b32 v11, v10, v8, v11
	v_mov_b32_e32 v10, v9
.LBB216_4018:                           ;   in Loop: Header=BB216_2083 Depth=1
	s_or_b32 exec_lo, exec_lo, s22
.LBB216_4019:                           ;   in Loop: Header=BB216_2083 Depth=1
	s_or_b32 exec_lo, exec_lo, s21
.LBB216_4020:                           ;   in Loop: Header=BB216_2083 Depth=1
	s_or_b32 exec_lo, exec_lo, s20
	v_or_b32_e32 v8, v22, v20
	v_or_b32_e32 v13, v21, v19
	;; [unrolled: 1-line block ×4, first 2 shown]
	v_mul_f32_e32 v64, v106, v8
	v_mul_f32_e32 v55, v106, v13
	;; [unrolled: 1-line block ×4, first 2 shown]
	s_and_saveexec_b32 s8, s7
; %bb.4021:                             ;   in Loop: Header=BB216_2083 Depth=1
	v_cndmask_b32_e32 v55, 0, v55, vcc_lo
	v_cndmask_b32_e64 v64, 0, v64, s4
	v_cndmask_b32_e64 v54, 0, v54, s5
	;; [unrolled: 1-line block ×3, first 2 shown]
; %bb.4022:                             ;   in Loop: Header=BB216_2083 Depth=1
	s_or_b32 exec_lo, exec_lo, s8
	flat_load_dword v65, v[0:1] offset:1152
	v_mov_b32_e32 v21, 0
	v_mov_b32_e32 v19, 0
	;; [unrolled: 1-line block ×4, first 2 shown]
	s_waitcnt vmcnt(0) lgkmcnt(0)
	v_cmp_ne_u16_sdwa s8, v65, v9 src0_sel:BYTE_0 src1_sel:DWORD
	s_and_saveexec_b32 s20, s8
	s_cbranch_execz .LBB216_4030
; %bb.4023:                             ;   in Loop: Header=BB216_2083 Depth=1
	v_bfrev_b32_e32 v19, 1
	v_mov_b32_e32 v20, 0
	v_cmp_ne_u16_sdwa s8, v65, v74 src0_sel:BYTE_0 src1_sel:DWORD
	s_and_saveexec_b32 s21, s8
	s_cbranch_execz .LBB216_4029
; %bb.4024:                             ;   in Loop: Header=BB216_2083 Depth=1
	v_mov_b32_e32 v19, 0x7f800001
	v_and_b32_e32 v10, 0x7f, v65
	v_mov_b32_e32 v20, 0
	s_mov_b32 s22, exec_lo
	v_cmpx_ne_u32_e32 0x7f, v10
	s_cbranch_execz .LBB216_4028
; %bb.4025:                             ;   in Loop: Header=BB216_2083 Depth=1
	v_and_b32_e32 v8, 7, v65
	v_lshrrev_b32_e32 v13, 3, v10
	v_cmp_gt_u32_e64 s8, 8, v10
	v_mov_b32_e32 v11, v9
	v_mov_b32_e32 v10, v8
	s_and_saveexec_b32 s23, s8
; %bb.4026:                             ;   in Loop: Header=BB216_2083 Depth=1
	v_ffbh_u32_e32 v10, v8
	v_min_u32_e32 v13, 32, v10
	v_subrev_nc_u32_e32 v10, 28, v13
	v_sub_nc_u32_e32 v13, 29, v13
	v_lshlrev_b64 v[10:11], v10, v[8:9]
	v_and_b32_e32 v10, 7, v10
; %bb.4027:                             ;   in Loop: Header=BB216_2083 Depth=1
	s_or_b32 exec_lo, exec_lo, s23
	v_lshlrev_b32_e32 v8, 24, v65
	v_lshlrev_b32_e32 v10, 20, v10
	v_lshl_add_u32 v11, v13, 23, 0x3c000000
	v_and_b32_e32 v8, 0x80000000, v8
	v_or3_b32 v8, v10, v8, v11
	v_mov_b32_e32 v20, v9
	v_mov_b32_e32 v19, v8
.LBB216_4028:                           ;   in Loop: Header=BB216_2083 Depth=1
	s_or_b32 exec_lo, exec_lo, s22
.LBB216_4029:                           ;   in Loop: Header=BB216_2083 Depth=1
	s_or_b32 exec_lo, exec_lo, s21
.LBB216_4030:                           ;   in Loop: Header=BB216_2083 Depth=1
	s_or_b32 exec_lo, exec_lo, s20
	v_cmp_ne_u16_sdwa s8, v65, v9 src0_sel:BYTE_1 src1_sel:DWORD
	s_and_saveexec_b32 s20, s8
	s_cbranch_execz .LBB216_4038
; %bb.4031:                             ;   in Loop: Header=BB216_2083 Depth=1
	v_mov_b32_e32 v11, v9
	v_mov_b32_e32 v22, v12
	v_cmp_ne_u16_sdwa s8, v65, v74 src0_sel:BYTE_1 src1_sel:DWORD
	v_mov_b32_e32 v21, v11
	s_and_saveexec_b32 s21, s8
	s_cbranch_execz .LBB216_4037
; %bb.4032:                             ;   in Loop: Header=BB216_2083 Depth=1
	v_and_b32_sdwa v8, v75, v65 dst_sel:DWORD dst_unused:UNUSED_PAD src0_sel:DWORD src1_sel:BYTE_1
	v_mov_b32_e32 v13, v9
	v_mov_b32_e32 v22, v14
	s_mov_b32 s22, exec_lo
	v_and_b32_e32 v10, 0x7f, v8
	v_mov_b32_e32 v21, v13
	v_cmpx_ne_u32_e32 0x7f, v10
	s_cbranch_execz .LBB216_4036
; %bb.4033:                             ;   in Loop: Header=BB216_2083 Depth=1
	v_and_b32_e32 v8, 7, v8
	v_lshrrev_b32_e32 v13, 3, v10
	v_cmp_gt_u32_e64 s8, 8, v10
	v_mov_b32_e32 v11, v9
	v_mov_b32_e32 v10, v8
	s_and_saveexec_b32 s23, s8
; %bb.4034:                             ;   in Loop: Header=BB216_2083 Depth=1
	v_ffbh_u32_e32 v10, v8
	v_min_u32_e32 v13, 32, v10
	v_subrev_nc_u32_e32 v10, 28, v13
	v_sub_nc_u32_e32 v13, 29, v13
	v_lshlrev_b64 v[10:11], v10, v[8:9]
	v_and_b32_e32 v10, 7, v10
; %bb.4035:                             ;   in Loop: Header=BB216_2083 Depth=1
	s_or_b32 exec_lo, exec_lo, s23
	v_lshlrev_b32_e32 v8, 16, v65
	v_lshlrev_b32_e32 v10, 20, v10
	v_lshl_add_u32 v11, v13, 23, 0x3c000000
	v_mov_b32_e32 v21, v9
	v_and_b32_e32 v8, 0x80000000, v8
	v_or3_b32 v22, v10, v8, v11
.LBB216_4036:                           ;   in Loop: Header=BB216_2083 Depth=1
	s_or_b32 exec_lo, exec_lo, s22
.LBB216_4037:                           ;   in Loop: Header=BB216_2083 Depth=1
	s_or_b32 exec_lo, exec_lo, s21
.LBB216_4038:                           ;   in Loop: Header=BB216_2083 Depth=1
	s_or_b32 exec_lo, exec_lo, s20
	v_mov_b32_e32 v10, 0
	v_mov_b32_e32 v23, 0
	v_and_b32_sdwa v8, v65, v76 dst_sel:DWORD dst_unused:UNUSED_PAD src0_sel:WORD_1 src1_sel:DWORD
	v_mov_b32_e32 v11, 0
	v_mov_b32_e32 v24, 0
	s_mov_b32 s20, exec_lo
	v_cmpx_ne_u16_e32 0, v8
	s_cbranch_execz .LBB216_4046
; %bb.4039:                             ;   in Loop: Header=BB216_2083 Depth=1
	v_bfrev_b32_e32 v23, 1
	v_mov_b32_e32 v24, 0
	s_mov_b32 s21, exec_lo
	v_cmpx_ne_u16_e32 0x80, v8
	s_cbranch_execz .LBB216_4045
; %bb.4040:                             ;   in Loop: Header=BB216_2083 Depth=1
	v_mov_b32_e32 v23, 0x7f800001
	v_bfe_u32 v29, v65, 16, 7
	v_mov_b32_e32 v24, 0
	s_mov_b32 s22, exec_lo
	v_cmpx_ne_u32_e32 0x7f, v29
	s_cbranch_execz .LBB216_4044
; %bb.4041:                             ;   in Loop: Header=BB216_2083 Depth=1
	v_and_b32_sdwa v8, v65, v77 dst_sel:DWORD dst_unused:UNUSED_PAD src0_sel:WORD_1 src1_sel:DWORD
	v_mov_b32_e32 v24, v9
	v_lshrrev_b32_e32 v13, 3, v29
	s_mov_b32 s23, exec_lo
	v_mov_b32_e32 v23, v8
	v_cmpx_gt_u32_e32 8, v29
; %bb.4042:                             ;   in Loop: Header=BB216_2083 Depth=1
	v_ffbh_u32_e32 v13, v8
	v_min_u32_e32 v13, 32, v13
	v_subrev_nc_u32_e32 v23, 28, v13
	v_sub_nc_u32_e32 v13, 29, v13
	v_lshlrev_b64 v[23:24], v23, v[8:9]
	v_and_b32_e32 v23, 7, v23
; %bb.4043:                             ;   in Loop: Header=BB216_2083 Depth=1
	s_or_b32 exec_lo, exec_lo, s23
	v_lshlrev_b32_sdwa v8, v78, v65 dst_sel:DWORD dst_unused:UNUSED_PAD src0_sel:DWORD src1_sel:WORD_1
	v_lshlrev_b32_e32 v23, 20, v23
	v_lshl_add_u32 v13, v13, 23, 0x3c000000
	v_and_b32_e32 v8, 0x80000000, v8
	v_or3_b32 v8, v23, v8, v13
	v_mov_b32_e32 v24, v9
	v_mov_b32_e32 v23, v8
.LBB216_4044:                           ;   in Loop: Header=BB216_2083 Depth=1
	s_or_b32 exec_lo, exec_lo, s22
.LBB216_4045:                           ;   in Loop: Header=BB216_2083 Depth=1
	s_or_b32 exec_lo, exec_lo, s21
.LBB216_4046:                           ;   in Loop: Header=BB216_2083 Depth=1
	s_or_b32 exec_lo, exec_lo, s20
	s_mov_b32 s20, exec_lo
	v_cmpx_lt_u32_e32 0xffffff, v65
	s_cbranch_execz .LBB216_4054
; %bb.4047:                             ;   in Loop: Header=BB216_2083 Depth=1
	v_mov_b32_e32 v11, v9
	v_cmp_ne_u32_sdwa s8, v65, v74 src0_sel:BYTE_3 src1_sel:DWORD
	v_mov_b32_e32 v10, v11
	v_mov_b32_e32 v11, v12
	s_and_saveexec_b32 s21, s8
	s_cbranch_execz .LBB216_4053
; %bb.4048:                             ;   in Loop: Header=BB216_2083 Depth=1
	v_mov_b32_e32 v13, v9
	v_bfe_u32 v66, v65, 24, 7
	s_mov_b32 s22, exec_lo
	v_mov_b32_e32 v10, v13
	v_mov_b32_e32 v11, v14
	v_cmpx_ne_u32_e32 0x7f, v66
	s_cbranch_execz .LBB216_4052
; %bb.4049:                             ;   in Loop: Header=BB216_2083 Depth=1
	v_and_b32_sdwa v8, v65, v77 dst_sel:DWORD dst_unused:UNUSED_PAD src0_sel:BYTE_3 src1_sel:DWORD
	v_mov_b32_e32 v11, v9
	v_lshrrev_b32_e32 v13, 3, v66
	s_mov_b32 s23, exec_lo
	v_mov_b32_e32 v10, v8
	v_cmpx_gt_u32_e32 8, v66
; %bb.4050:                             ;   in Loop: Header=BB216_2083 Depth=1
	v_ffbh_u32_e32 v10, v8
	v_min_u32_e32 v13, 32, v10
	v_subrev_nc_u32_e32 v10, 28, v13
	v_sub_nc_u32_e32 v13, 29, v13
	v_lshlrev_b64 v[10:11], v10, v[8:9]
	v_and_b32_e32 v10, 7, v10
; %bb.4051:                             ;   in Loop: Header=BB216_2083 Depth=1
	s_or_b32 exec_lo, exec_lo, s23
	v_lshlrev_b32_sdwa v8, v78, v65 dst_sel:DWORD dst_unused:UNUSED_PAD src0_sel:DWORD src1_sel:BYTE_3
	v_lshlrev_b32_e32 v10, 20, v10
	v_lshl_add_u32 v11, v13, 23, 0x3c000000
	v_and_b32_e32 v8, 0x80000000, v8
	v_or3_b32 v11, v10, v8, v11
	v_mov_b32_e32 v10, v9
.LBB216_4052:                           ;   in Loop: Header=BB216_2083 Depth=1
	s_or_b32 exec_lo, exec_lo, s22
.LBB216_4053:                           ;   in Loop: Header=BB216_2083 Depth=1
	s_or_b32 exec_lo, exec_lo, s21
.LBB216_4054:                           ;   in Loop: Header=BB216_2083 Depth=1
	s_or_b32 exec_lo, exec_lo, s20
	v_or_b32_e32 v8, v22, v20
	v_or_b32_e32 v13, v21, v19
	;; [unrolled: 1-line block ×4, first 2 shown]
	v_mul_f32_e32 v68, v106, v8
	v_mul_f32_e32 v67, v106, v13
	;; [unrolled: 1-line block ×4, first 2 shown]
	s_and_saveexec_b32 s8, s7
; %bb.4055:                             ;   in Loop: Header=BB216_2083 Depth=1
	v_cndmask_b32_e32 v67, 0, v67, vcc_lo
	v_cndmask_b32_e64 v68, 0, v68, s4
	v_cndmask_b32_e64 v66, 0, v66, s5
	;; [unrolled: 1-line block ×3, first 2 shown]
; %bb.4056:                             ;   in Loop: Header=BB216_2083 Depth=1
	s_or_b32 exec_lo, exec_lo, s8
	flat_load_dword v69, v[0:1] offset:1280
	v_mov_b32_e32 v21, 0
	v_mov_b32_e32 v19, 0
	v_mov_b32_e32 v22, 0
	v_mov_b32_e32 v20, 0
	s_waitcnt vmcnt(0) lgkmcnt(0)
	v_cmp_ne_u16_sdwa s8, v69, v9 src0_sel:BYTE_0 src1_sel:DWORD
	s_and_saveexec_b32 s20, s8
	s_cbranch_execz .LBB216_4064
; %bb.4057:                             ;   in Loop: Header=BB216_2083 Depth=1
	v_bfrev_b32_e32 v19, 1
	v_mov_b32_e32 v20, 0
	v_cmp_ne_u16_sdwa s8, v69, v74 src0_sel:BYTE_0 src1_sel:DWORD
	s_and_saveexec_b32 s21, s8
	s_cbranch_execz .LBB216_4063
; %bb.4058:                             ;   in Loop: Header=BB216_2083 Depth=1
	v_mov_b32_e32 v19, 0x7f800001
	v_and_b32_e32 v10, 0x7f, v69
	v_mov_b32_e32 v20, 0
	s_mov_b32 s22, exec_lo
	v_cmpx_ne_u32_e32 0x7f, v10
	s_cbranch_execz .LBB216_4062
; %bb.4059:                             ;   in Loop: Header=BB216_2083 Depth=1
	v_and_b32_e32 v8, 7, v69
	v_lshrrev_b32_e32 v13, 3, v10
	v_cmp_gt_u32_e64 s8, 8, v10
	v_mov_b32_e32 v11, v9
	v_mov_b32_e32 v10, v8
	s_and_saveexec_b32 s23, s8
; %bb.4060:                             ;   in Loop: Header=BB216_2083 Depth=1
	v_ffbh_u32_e32 v10, v8
	v_min_u32_e32 v13, 32, v10
	v_subrev_nc_u32_e32 v10, 28, v13
	v_sub_nc_u32_e32 v13, 29, v13
	v_lshlrev_b64 v[10:11], v10, v[8:9]
	v_and_b32_e32 v10, 7, v10
; %bb.4061:                             ;   in Loop: Header=BB216_2083 Depth=1
	s_or_b32 exec_lo, exec_lo, s23
	v_lshlrev_b32_e32 v8, 24, v69
	v_lshlrev_b32_e32 v10, 20, v10
	v_lshl_add_u32 v11, v13, 23, 0x3c000000
	v_and_b32_e32 v8, 0x80000000, v8
	v_or3_b32 v8, v10, v8, v11
	v_mov_b32_e32 v20, v9
	v_mov_b32_e32 v19, v8
.LBB216_4062:                           ;   in Loop: Header=BB216_2083 Depth=1
	s_or_b32 exec_lo, exec_lo, s22
.LBB216_4063:                           ;   in Loop: Header=BB216_2083 Depth=1
	s_or_b32 exec_lo, exec_lo, s21
.LBB216_4064:                           ;   in Loop: Header=BB216_2083 Depth=1
	s_or_b32 exec_lo, exec_lo, s20
	v_cmp_ne_u16_sdwa s8, v69, v9 src0_sel:BYTE_1 src1_sel:DWORD
	s_and_saveexec_b32 s20, s8
	s_cbranch_execz .LBB216_4072
; %bb.4065:                             ;   in Loop: Header=BB216_2083 Depth=1
	v_mov_b32_e32 v11, v9
	v_mov_b32_e32 v22, v12
	v_cmp_ne_u16_sdwa s8, v69, v74 src0_sel:BYTE_1 src1_sel:DWORD
	v_mov_b32_e32 v21, v11
	s_and_saveexec_b32 s21, s8
	s_cbranch_execz .LBB216_4071
; %bb.4066:                             ;   in Loop: Header=BB216_2083 Depth=1
	v_and_b32_sdwa v8, v75, v69 dst_sel:DWORD dst_unused:UNUSED_PAD src0_sel:DWORD src1_sel:BYTE_1
	v_mov_b32_e32 v13, v9
	v_mov_b32_e32 v22, v14
	s_mov_b32 s22, exec_lo
	v_and_b32_e32 v10, 0x7f, v8
	v_mov_b32_e32 v21, v13
	v_cmpx_ne_u32_e32 0x7f, v10
	s_cbranch_execz .LBB216_4070
; %bb.4067:                             ;   in Loop: Header=BB216_2083 Depth=1
	v_and_b32_e32 v8, 7, v8
	v_lshrrev_b32_e32 v13, 3, v10
	v_cmp_gt_u32_e64 s8, 8, v10
	v_mov_b32_e32 v11, v9
	v_mov_b32_e32 v10, v8
	s_and_saveexec_b32 s23, s8
; %bb.4068:                             ;   in Loop: Header=BB216_2083 Depth=1
	v_ffbh_u32_e32 v10, v8
	v_min_u32_e32 v13, 32, v10
	v_subrev_nc_u32_e32 v10, 28, v13
	v_sub_nc_u32_e32 v13, 29, v13
	v_lshlrev_b64 v[10:11], v10, v[8:9]
	v_and_b32_e32 v10, 7, v10
; %bb.4069:                             ;   in Loop: Header=BB216_2083 Depth=1
	s_or_b32 exec_lo, exec_lo, s23
	v_lshlrev_b32_e32 v8, 16, v69
	v_lshlrev_b32_e32 v10, 20, v10
	v_lshl_add_u32 v11, v13, 23, 0x3c000000
	v_mov_b32_e32 v21, v9
	v_and_b32_e32 v8, 0x80000000, v8
	v_or3_b32 v22, v10, v8, v11
.LBB216_4070:                           ;   in Loop: Header=BB216_2083 Depth=1
	s_or_b32 exec_lo, exec_lo, s22
.LBB216_4071:                           ;   in Loop: Header=BB216_2083 Depth=1
	s_or_b32 exec_lo, exec_lo, s21
.LBB216_4072:                           ;   in Loop: Header=BB216_2083 Depth=1
	s_or_b32 exec_lo, exec_lo, s20
	v_mov_b32_e32 v10, 0
	v_mov_b32_e32 v23, 0
	v_and_b32_sdwa v8, v69, v76 dst_sel:DWORD dst_unused:UNUSED_PAD src0_sel:WORD_1 src1_sel:DWORD
	v_mov_b32_e32 v11, 0
	v_mov_b32_e32 v24, 0
	s_mov_b32 s20, exec_lo
	v_cmpx_ne_u16_e32 0, v8
	s_cbranch_execz .LBB216_4080
; %bb.4073:                             ;   in Loop: Header=BB216_2083 Depth=1
	v_bfrev_b32_e32 v23, 1
	v_mov_b32_e32 v24, 0
	s_mov_b32 s21, exec_lo
	v_cmpx_ne_u16_e32 0x80, v8
	s_cbranch_execz .LBB216_4079
; %bb.4074:                             ;   in Loop: Header=BB216_2083 Depth=1
	v_mov_b32_e32 v23, 0x7f800001
	v_bfe_u32 v29, v69, 16, 7
	v_mov_b32_e32 v24, 0
	s_mov_b32 s22, exec_lo
	v_cmpx_ne_u32_e32 0x7f, v29
	s_cbranch_execz .LBB216_4078
; %bb.4075:                             ;   in Loop: Header=BB216_2083 Depth=1
	v_and_b32_sdwa v8, v69, v77 dst_sel:DWORD dst_unused:UNUSED_PAD src0_sel:WORD_1 src1_sel:DWORD
	v_mov_b32_e32 v24, v9
	v_lshrrev_b32_e32 v13, 3, v29
	s_mov_b32 s23, exec_lo
	v_mov_b32_e32 v23, v8
	v_cmpx_gt_u32_e32 8, v29
; %bb.4076:                             ;   in Loop: Header=BB216_2083 Depth=1
	v_ffbh_u32_e32 v13, v8
	v_min_u32_e32 v13, 32, v13
	v_subrev_nc_u32_e32 v23, 28, v13
	v_sub_nc_u32_e32 v13, 29, v13
	v_lshlrev_b64 v[23:24], v23, v[8:9]
	v_and_b32_e32 v23, 7, v23
; %bb.4077:                             ;   in Loop: Header=BB216_2083 Depth=1
	s_or_b32 exec_lo, exec_lo, s23
	v_lshlrev_b32_sdwa v8, v78, v69 dst_sel:DWORD dst_unused:UNUSED_PAD src0_sel:DWORD src1_sel:WORD_1
	v_lshlrev_b32_e32 v23, 20, v23
	v_lshl_add_u32 v13, v13, 23, 0x3c000000
	v_and_b32_e32 v8, 0x80000000, v8
	v_or3_b32 v8, v23, v8, v13
	v_mov_b32_e32 v24, v9
	v_mov_b32_e32 v23, v8
.LBB216_4078:                           ;   in Loop: Header=BB216_2083 Depth=1
	s_or_b32 exec_lo, exec_lo, s22
.LBB216_4079:                           ;   in Loop: Header=BB216_2083 Depth=1
	s_or_b32 exec_lo, exec_lo, s21
.LBB216_4080:                           ;   in Loop: Header=BB216_2083 Depth=1
	s_or_b32 exec_lo, exec_lo, s20
	s_mov_b32 s20, exec_lo
	v_cmpx_lt_u32_e32 0xffffff, v69
	s_cbranch_execz .LBB216_4088
; %bb.4081:                             ;   in Loop: Header=BB216_2083 Depth=1
	v_mov_b32_e32 v11, v9
	v_cmp_ne_u32_sdwa s8, v69, v74 src0_sel:BYTE_3 src1_sel:DWORD
	v_mov_b32_e32 v10, v11
	v_mov_b32_e32 v11, v12
	s_and_saveexec_b32 s21, s8
	s_cbranch_execz .LBB216_4087
; %bb.4082:                             ;   in Loop: Header=BB216_2083 Depth=1
	v_mov_b32_e32 v13, v9
	v_bfe_u32 v70, v69, 24, 7
	s_mov_b32 s22, exec_lo
	v_mov_b32_e32 v10, v13
	v_mov_b32_e32 v11, v14
	v_cmpx_ne_u32_e32 0x7f, v70
	s_cbranch_execz .LBB216_4086
; %bb.4083:                             ;   in Loop: Header=BB216_2083 Depth=1
	v_and_b32_sdwa v8, v69, v77 dst_sel:DWORD dst_unused:UNUSED_PAD src0_sel:BYTE_3 src1_sel:DWORD
	v_mov_b32_e32 v11, v9
	v_lshrrev_b32_e32 v13, 3, v70
	s_mov_b32 s23, exec_lo
	v_mov_b32_e32 v10, v8
	v_cmpx_gt_u32_e32 8, v70
; %bb.4084:                             ;   in Loop: Header=BB216_2083 Depth=1
	v_ffbh_u32_e32 v10, v8
	v_min_u32_e32 v13, 32, v10
	v_subrev_nc_u32_e32 v10, 28, v13
	v_sub_nc_u32_e32 v13, 29, v13
	v_lshlrev_b64 v[10:11], v10, v[8:9]
	v_and_b32_e32 v10, 7, v10
; %bb.4085:                             ;   in Loop: Header=BB216_2083 Depth=1
	s_or_b32 exec_lo, exec_lo, s23
	v_lshlrev_b32_sdwa v8, v78, v69 dst_sel:DWORD dst_unused:UNUSED_PAD src0_sel:DWORD src1_sel:BYTE_3
	v_lshlrev_b32_e32 v10, 20, v10
	v_lshl_add_u32 v11, v13, 23, 0x3c000000
	v_and_b32_e32 v8, 0x80000000, v8
	v_or3_b32 v11, v10, v8, v11
	v_mov_b32_e32 v10, v9
.LBB216_4086:                           ;   in Loop: Header=BB216_2083 Depth=1
	s_or_b32 exec_lo, exec_lo, s22
.LBB216_4087:                           ;   in Loop: Header=BB216_2083 Depth=1
	s_or_b32 exec_lo, exec_lo, s21
.LBB216_4088:                           ;   in Loop: Header=BB216_2083 Depth=1
	s_or_b32 exec_lo, exec_lo, s20
	v_or_b32_e32 v8, v22, v20
	v_or_b32_e32 v13, v21, v19
	;; [unrolled: 1-line block ×4, first 2 shown]
	v_mul_f32_e32 v80, v106, v8
	v_mul_f32_e32 v71, v106, v13
	;; [unrolled: 1-line block ×4, first 2 shown]
	s_and_saveexec_b32 s8, s7
; %bb.4089:                             ;   in Loop: Header=BB216_2083 Depth=1
	v_cndmask_b32_e32 v71, 0, v71, vcc_lo
	v_cndmask_b32_e64 v80, 0, v80, s4
	v_cndmask_b32_e64 v70, 0, v70, s5
	;; [unrolled: 1-line block ×3, first 2 shown]
; %bb.4090:                             ;   in Loop: Header=BB216_2083 Depth=1
	s_or_b32 exec_lo, exec_lo, s8
	flat_load_dword v81, v[0:1] offset:1408
	v_mov_b32_e32 v21, 0
	v_mov_b32_e32 v19, 0
	v_mov_b32_e32 v22, 0
	v_mov_b32_e32 v20, 0
	s_waitcnt vmcnt(0) lgkmcnt(0)
	v_cmp_ne_u16_sdwa s8, v81, v9 src0_sel:BYTE_0 src1_sel:DWORD
	s_and_saveexec_b32 s20, s8
	s_cbranch_execz .LBB216_4098
; %bb.4091:                             ;   in Loop: Header=BB216_2083 Depth=1
	v_bfrev_b32_e32 v19, 1
	v_mov_b32_e32 v20, 0
	v_cmp_ne_u16_sdwa s8, v81, v74 src0_sel:BYTE_0 src1_sel:DWORD
	s_and_saveexec_b32 s21, s8
	s_cbranch_execz .LBB216_4097
; %bb.4092:                             ;   in Loop: Header=BB216_2083 Depth=1
	v_mov_b32_e32 v19, 0x7f800001
	v_and_b32_e32 v10, 0x7f, v81
	v_mov_b32_e32 v20, 0
	s_mov_b32 s22, exec_lo
	v_cmpx_ne_u32_e32 0x7f, v10
	s_cbranch_execz .LBB216_4096
; %bb.4093:                             ;   in Loop: Header=BB216_2083 Depth=1
	v_and_b32_e32 v8, 7, v81
	v_lshrrev_b32_e32 v13, 3, v10
	v_cmp_gt_u32_e64 s8, 8, v10
	v_mov_b32_e32 v11, v9
	v_mov_b32_e32 v10, v8
	s_and_saveexec_b32 s23, s8
; %bb.4094:                             ;   in Loop: Header=BB216_2083 Depth=1
	v_ffbh_u32_e32 v10, v8
	v_min_u32_e32 v13, 32, v10
	v_subrev_nc_u32_e32 v10, 28, v13
	v_sub_nc_u32_e32 v13, 29, v13
	v_lshlrev_b64 v[10:11], v10, v[8:9]
	v_and_b32_e32 v10, 7, v10
; %bb.4095:                             ;   in Loop: Header=BB216_2083 Depth=1
	s_or_b32 exec_lo, exec_lo, s23
	v_lshlrev_b32_e32 v8, 24, v81
	v_lshlrev_b32_e32 v10, 20, v10
	v_lshl_add_u32 v11, v13, 23, 0x3c000000
	v_and_b32_e32 v8, 0x80000000, v8
	v_or3_b32 v8, v10, v8, v11
	v_mov_b32_e32 v20, v9
	v_mov_b32_e32 v19, v8
.LBB216_4096:                           ;   in Loop: Header=BB216_2083 Depth=1
	s_or_b32 exec_lo, exec_lo, s22
.LBB216_4097:                           ;   in Loop: Header=BB216_2083 Depth=1
	s_or_b32 exec_lo, exec_lo, s21
.LBB216_4098:                           ;   in Loop: Header=BB216_2083 Depth=1
	s_or_b32 exec_lo, exec_lo, s20
	v_cmp_ne_u16_sdwa s8, v81, v9 src0_sel:BYTE_1 src1_sel:DWORD
	s_and_saveexec_b32 s20, s8
	s_cbranch_execz .LBB216_4106
; %bb.4099:                             ;   in Loop: Header=BB216_2083 Depth=1
	v_mov_b32_e32 v11, v9
	v_mov_b32_e32 v22, v12
	v_cmp_ne_u16_sdwa s8, v81, v74 src0_sel:BYTE_1 src1_sel:DWORD
	v_mov_b32_e32 v21, v11
	s_and_saveexec_b32 s21, s8
	s_cbranch_execz .LBB216_4105
; %bb.4100:                             ;   in Loop: Header=BB216_2083 Depth=1
	v_and_b32_sdwa v8, v75, v81 dst_sel:DWORD dst_unused:UNUSED_PAD src0_sel:DWORD src1_sel:BYTE_1
	v_mov_b32_e32 v13, v9
	v_mov_b32_e32 v22, v14
	s_mov_b32 s22, exec_lo
	v_and_b32_e32 v10, 0x7f, v8
	v_mov_b32_e32 v21, v13
	v_cmpx_ne_u32_e32 0x7f, v10
	s_cbranch_execz .LBB216_4104
; %bb.4101:                             ;   in Loop: Header=BB216_2083 Depth=1
	v_and_b32_e32 v8, 7, v8
	v_lshrrev_b32_e32 v13, 3, v10
	v_cmp_gt_u32_e64 s8, 8, v10
	v_mov_b32_e32 v11, v9
	v_mov_b32_e32 v10, v8
	s_and_saveexec_b32 s23, s8
; %bb.4102:                             ;   in Loop: Header=BB216_2083 Depth=1
	v_ffbh_u32_e32 v10, v8
	v_min_u32_e32 v13, 32, v10
	v_subrev_nc_u32_e32 v10, 28, v13
	v_sub_nc_u32_e32 v13, 29, v13
	v_lshlrev_b64 v[10:11], v10, v[8:9]
	v_and_b32_e32 v10, 7, v10
; %bb.4103:                             ;   in Loop: Header=BB216_2083 Depth=1
	s_or_b32 exec_lo, exec_lo, s23
	v_lshlrev_b32_e32 v8, 16, v81
	v_lshlrev_b32_e32 v10, 20, v10
	v_lshl_add_u32 v11, v13, 23, 0x3c000000
	v_mov_b32_e32 v21, v9
	v_and_b32_e32 v8, 0x80000000, v8
	v_or3_b32 v22, v10, v8, v11
.LBB216_4104:                           ;   in Loop: Header=BB216_2083 Depth=1
	s_or_b32 exec_lo, exec_lo, s22
.LBB216_4105:                           ;   in Loop: Header=BB216_2083 Depth=1
	s_or_b32 exec_lo, exec_lo, s21
.LBB216_4106:                           ;   in Loop: Header=BB216_2083 Depth=1
	s_or_b32 exec_lo, exec_lo, s20
	v_mov_b32_e32 v10, 0
	v_mov_b32_e32 v23, 0
	v_and_b32_sdwa v8, v81, v76 dst_sel:DWORD dst_unused:UNUSED_PAD src0_sel:WORD_1 src1_sel:DWORD
	v_mov_b32_e32 v11, 0
	v_mov_b32_e32 v24, 0
	s_mov_b32 s20, exec_lo
	v_cmpx_ne_u16_e32 0, v8
	s_cbranch_execz .LBB216_4114
; %bb.4107:                             ;   in Loop: Header=BB216_2083 Depth=1
	v_bfrev_b32_e32 v23, 1
	v_mov_b32_e32 v24, 0
	s_mov_b32 s21, exec_lo
	v_cmpx_ne_u16_e32 0x80, v8
	s_cbranch_execz .LBB216_4113
; %bb.4108:                             ;   in Loop: Header=BB216_2083 Depth=1
	v_mov_b32_e32 v23, 0x7f800001
	v_bfe_u32 v29, v81, 16, 7
	v_mov_b32_e32 v24, 0
	s_mov_b32 s22, exec_lo
	v_cmpx_ne_u32_e32 0x7f, v29
	s_cbranch_execz .LBB216_4112
; %bb.4109:                             ;   in Loop: Header=BB216_2083 Depth=1
	v_and_b32_sdwa v8, v81, v77 dst_sel:DWORD dst_unused:UNUSED_PAD src0_sel:WORD_1 src1_sel:DWORD
	v_mov_b32_e32 v24, v9
	v_lshrrev_b32_e32 v13, 3, v29
	s_mov_b32 s23, exec_lo
	v_mov_b32_e32 v23, v8
	v_cmpx_gt_u32_e32 8, v29
; %bb.4110:                             ;   in Loop: Header=BB216_2083 Depth=1
	v_ffbh_u32_e32 v13, v8
	v_min_u32_e32 v13, 32, v13
	v_subrev_nc_u32_e32 v23, 28, v13
	v_sub_nc_u32_e32 v13, 29, v13
	v_lshlrev_b64 v[23:24], v23, v[8:9]
	v_and_b32_e32 v23, 7, v23
; %bb.4111:                             ;   in Loop: Header=BB216_2083 Depth=1
	s_or_b32 exec_lo, exec_lo, s23
	v_lshlrev_b32_sdwa v8, v78, v81 dst_sel:DWORD dst_unused:UNUSED_PAD src0_sel:DWORD src1_sel:WORD_1
	v_lshlrev_b32_e32 v23, 20, v23
	v_lshl_add_u32 v13, v13, 23, 0x3c000000
	v_and_b32_e32 v8, 0x80000000, v8
	v_or3_b32 v8, v23, v8, v13
	v_mov_b32_e32 v24, v9
	v_mov_b32_e32 v23, v8
.LBB216_4112:                           ;   in Loop: Header=BB216_2083 Depth=1
	s_or_b32 exec_lo, exec_lo, s22
.LBB216_4113:                           ;   in Loop: Header=BB216_2083 Depth=1
	s_or_b32 exec_lo, exec_lo, s21
.LBB216_4114:                           ;   in Loop: Header=BB216_2083 Depth=1
	s_or_b32 exec_lo, exec_lo, s20
	s_mov_b32 s20, exec_lo
	v_cmpx_lt_u32_e32 0xffffff, v81
	s_cbranch_execz .LBB216_4122
; %bb.4115:                             ;   in Loop: Header=BB216_2083 Depth=1
	v_mov_b32_e32 v11, v9
	v_cmp_ne_u32_sdwa s8, v81, v74 src0_sel:BYTE_3 src1_sel:DWORD
	v_mov_b32_e32 v10, v11
	v_mov_b32_e32 v11, v12
	s_and_saveexec_b32 s21, s8
	s_cbranch_execz .LBB216_4121
; %bb.4116:                             ;   in Loop: Header=BB216_2083 Depth=1
	v_mov_b32_e32 v13, v9
	v_bfe_u32 v82, v81, 24, 7
	s_mov_b32 s22, exec_lo
	v_mov_b32_e32 v10, v13
	v_mov_b32_e32 v11, v14
	v_cmpx_ne_u32_e32 0x7f, v82
	s_cbranch_execz .LBB216_4120
; %bb.4117:                             ;   in Loop: Header=BB216_2083 Depth=1
	v_and_b32_sdwa v8, v81, v77 dst_sel:DWORD dst_unused:UNUSED_PAD src0_sel:BYTE_3 src1_sel:DWORD
	v_mov_b32_e32 v11, v9
	v_lshrrev_b32_e32 v13, 3, v82
	s_mov_b32 s23, exec_lo
	v_mov_b32_e32 v10, v8
	v_cmpx_gt_u32_e32 8, v82
; %bb.4118:                             ;   in Loop: Header=BB216_2083 Depth=1
	v_ffbh_u32_e32 v10, v8
	v_min_u32_e32 v13, 32, v10
	v_subrev_nc_u32_e32 v10, 28, v13
	v_sub_nc_u32_e32 v13, 29, v13
	v_lshlrev_b64 v[10:11], v10, v[8:9]
	v_and_b32_e32 v10, 7, v10
; %bb.4119:                             ;   in Loop: Header=BB216_2083 Depth=1
	s_or_b32 exec_lo, exec_lo, s23
	v_lshlrev_b32_sdwa v8, v78, v81 dst_sel:DWORD dst_unused:UNUSED_PAD src0_sel:DWORD src1_sel:BYTE_3
	v_lshlrev_b32_e32 v10, 20, v10
	v_lshl_add_u32 v11, v13, 23, 0x3c000000
	v_and_b32_e32 v8, 0x80000000, v8
	v_or3_b32 v11, v10, v8, v11
	v_mov_b32_e32 v10, v9
.LBB216_4120:                           ;   in Loop: Header=BB216_2083 Depth=1
	s_or_b32 exec_lo, exec_lo, s22
.LBB216_4121:                           ;   in Loop: Header=BB216_2083 Depth=1
	s_or_b32 exec_lo, exec_lo, s21
.LBB216_4122:                           ;   in Loop: Header=BB216_2083 Depth=1
	s_or_b32 exec_lo, exec_lo, s20
	v_or_b32_e32 v8, v22, v20
	v_or_b32_e32 v13, v21, v19
	;; [unrolled: 1-line block ×4, first 2 shown]
	v_mul_f32_e32 v84, v106, v8
	v_mul_f32_e32 v83, v106, v13
	;; [unrolled: 1-line block ×4, first 2 shown]
	s_and_saveexec_b32 s8, s7
; %bb.4123:                             ;   in Loop: Header=BB216_2083 Depth=1
	v_cndmask_b32_e32 v83, 0, v83, vcc_lo
	v_cndmask_b32_e64 v84, 0, v84, s4
	v_cndmask_b32_e64 v82, 0, v82, s5
	;; [unrolled: 1-line block ×3, first 2 shown]
; %bb.4124:                             ;   in Loop: Header=BB216_2083 Depth=1
	s_or_b32 exec_lo, exec_lo, s8
	flat_load_dword v85, v[0:1] offset:1536
	v_mov_b32_e32 v21, 0
	v_mov_b32_e32 v19, 0
	;; [unrolled: 1-line block ×4, first 2 shown]
	s_waitcnt vmcnt(0) lgkmcnt(0)
	v_cmp_ne_u16_sdwa s8, v85, v9 src0_sel:BYTE_0 src1_sel:DWORD
	s_and_saveexec_b32 s20, s8
	s_cbranch_execz .LBB216_4132
; %bb.4125:                             ;   in Loop: Header=BB216_2083 Depth=1
	v_bfrev_b32_e32 v19, 1
	v_mov_b32_e32 v20, 0
	v_cmp_ne_u16_sdwa s8, v85, v74 src0_sel:BYTE_0 src1_sel:DWORD
	s_and_saveexec_b32 s21, s8
	s_cbranch_execz .LBB216_4131
; %bb.4126:                             ;   in Loop: Header=BB216_2083 Depth=1
	v_mov_b32_e32 v19, 0x7f800001
	v_and_b32_e32 v10, 0x7f, v85
	v_mov_b32_e32 v20, 0
	s_mov_b32 s22, exec_lo
	v_cmpx_ne_u32_e32 0x7f, v10
	s_cbranch_execz .LBB216_4130
; %bb.4127:                             ;   in Loop: Header=BB216_2083 Depth=1
	v_and_b32_e32 v8, 7, v85
	v_lshrrev_b32_e32 v13, 3, v10
	v_cmp_gt_u32_e64 s8, 8, v10
	v_mov_b32_e32 v11, v9
	v_mov_b32_e32 v10, v8
	s_and_saveexec_b32 s23, s8
; %bb.4128:                             ;   in Loop: Header=BB216_2083 Depth=1
	v_ffbh_u32_e32 v10, v8
	v_min_u32_e32 v13, 32, v10
	v_subrev_nc_u32_e32 v10, 28, v13
	v_sub_nc_u32_e32 v13, 29, v13
	v_lshlrev_b64 v[10:11], v10, v[8:9]
	v_and_b32_e32 v10, 7, v10
; %bb.4129:                             ;   in Loop: Header=BB216_2083 Depth=1
	s_or_b32 exec_lo, exec_lo, s23
	v_lshlrev_b32_e32 v8, 24, v85
	v_lshlrev_b32_e32 v10, 20, v10
	v_lshl_add_u32 v11, v13, 23, 0x3c000000
	v_and_b32_e32 v8, 0x80000000, v8
	v_or3_b32 v8, v10, v8, v11
	v_mov_b32_e32 v20, v9
	v_mov_b32_e32 v19, v8
.LBB216_4130:                           ;   in Loop: Header=BB216_2083 Depth=1
	s_or_b32 exec_lo, exec_lo, s22
.LBB216_4131:                           ;   in Loop: Header=BB216_2083 Depth=1
	s_or_b32 exec_lo, exec_lo, s21
.LBB216_4132:                           ;   in Loop: Header=BB216_2083 Depth=1
	s_or_b32 exec_lo, exec_lo, s20
	v_cmp_ne_u16_sdwa s8, v85, v9 src0_sel:BYTE_1 src1_sel:DWORD
	s_and_saveexec_b32 s20, s8
	s_cbranch_execz .LBB216_4140
; %bb.4133:                             ;   in Loop: Header=BB216_2083 Depth=1
	v_mov_b32_e32 v11, v9
	v_mov_b32_e32 v22, v12
	v_cmp_ne_u16_sdwa s8, v85, v74 src0_sel:BYTE_1 src1_sel:DWORD
	v_mov_b32_e32 v21, v11
	s_and_saveexec_b32 s21, s8
	s_cbranch_execz .LBB216_4139
; %bb.4134:                             ;   in Loop: Header=BB216_2083 Depth=1
	v_and_b32_sdwa v8, v75, v85 dst_sel:DWORD dst_unused:UNUSED_PAD src0_sel:DWORD src1_sel:BYTE_1
	v_mov_b32_e32 v13, v9
	v_mov_b32_e32 v22, v14
	s_mov_b32 s22, exec_lo
	v_and_b32_e32 v10, 0x7f, v8
	v_mov_b32_e32 v21, v13
	v_cmpx_ne_u32_e32 0x7f, v10
	s_cbranch_execz .LBB216_4138
; %bb.4135:                             ;   in Loop: Header=BB216_2083 Depth=1
	v_and_b32_e32 v8, 7, v8
	v_lshrrev_b32_e32 v13, 3, v10
	v_cmp_gt_u32_e64 s8, 8, v10
	v_mov_b32_e32 v11, v9
	v_mov_b32_e32 v10, v8
	s_and_saveexec_b32 s23, s8
; %bb.4136:                             ;   in Loop: Header=BB216_2083 Depth=1
	v_ffbh_u32_e32 v10, v8
	v_min_u32_e32 v13, 32, v10
	v_subrev_nc_u32_e32 v10, 28, v13
	v_sub_nc_u32_e32 v13, 29, v13
	v_lshlrev_b64 v[10:11], v10, v[8:9]
	v_and_b32_e32 v10, 7, v10
; %bb.4137:                             ;   in Loop: Header=BB216_2083 Depth=1
	s_or_b32 exec_lo, exec_lo, s23
	v_lshlrev_b32_e32 v8, 16, v85
	v_lshlrev_b32_e32 v10, 20, v10
	v_lshl_add_u32 v11, v13, 23, 0x3c000000
	v_mov_b32_e32 v21, v9
	v_and_b32_e32 v8, 0x80000000, v8
	v_or3_b32 v22, v10, v8, v11
.LBB216_4138:                           ;   in Loop: Header=BB216_2083 Depth=1
	s_or_b32 exec_lo, exec_lo, s22
.LBB216_4139:                           ;   in Loop: Header=BB216_2083 Depth=1
	s_or_b32 exec_lo, exec_lo, s21
.LBB216_4140:                           ;   in Loop: Header=BB216_2083 Depth=1
	s_or_b32 exec_lo, exec_lo, s20
	v_mov_b32_e32 v10, 0
	v_mov_b32_e32 v23, 0
	v_and_b32_sdwa v8, v85, v76 dst_sel:DWORD dst_unused:UNUSED_PAD src0_sel:WORD_1 src1_sel:DWORD
	v_mov_b32_e32 v11, 0
	v_mov_b32_e32 v24, 0
	s_mov_b32 s20, exec_lo
	v_cmpx_ne_u16_e32 0, v8
	s_cbranch_execz .LBB216_4148
; %bb.4141:                             ;   in Loop: Header=BB216_2083 Depth=1
	v_bfrev_b32_e32 v23, 1
	v_mov_b32_e32 v24, 0
	s_mov_b32 s21, exec_lo
	v_cmpx_ne_u16_e32 0x80, v8
	s_cbranch_execz .LBB216_4147
; %bb.4142:                             ;   in Loop: Header=BB216_2083 Depth=1
	v_mov_b32_e32 v23, 0x7f800001
	v_bfe_u32 v29, v85, 16, 7
	v_mov_b32_e32 v24, 0
	s_mov_b32 s22, exec_lo
	v_cmpx_ne_u32_e32 0x7f, v29
	s_cbranch_execz .LBB216_4146
; %bb.4143:                             ;   in Loop: Header=BB216_2083 Depth=1
	v_and_b32_sdwa v8, v85, v77 dst_sel:DWORD dst_unused:UNUSED_PAD src0_sel:WORD_1 src1_sel:DWORD
	v_mov_b32_e32 v24, v9
	v_lshrrev_b32_e32 v13, 3, v29
	s_mov_b32 s23, exec_lo
	v_mov_b32_e32 v23, v8
	v_cmpx_gt_u32_e32 8, v29
; %bb.4144:                             ;   in Loop: Header=BB216_2083 Depth=1
	v_ffbh_u32_e32 v13, v8
	v_min_u32_e32 v13, 32, v13
	v_subrev_nc_u32_e32 v23, 28, v13
	v_sub_nc_u32_e32 v13, 29, v13
	v_lshlrev_b64 v[23:24], v23, v[8:9]
	v_and_b32_e32 v23, 7, v23
; %bb.4145:                             ;   in Loop: Header=BB216_2083 Depth=1
	s_or_b32 exec_lo, exec_lo, s23
	v_lshlrev_b32_sdwa v8, v78, v85 dst_sel:DWORD dst_unused:UNUSED_PAD src0_sel:DWORD src1_sel:WORD_1
	v_lshlrev_b32_e32 v23, 20, v23
	v_lshl_add_u32 v13, v13, 23, 0x3c000000
	v_and_b32_e32 v8, 0x80000000, v8
	v_or3_b32 v8, v23, v8, v13
	v_mov_b32_e32 v24, v9
	v_mov_b32_e32 v23, v8
.LBB216_4146:                           ;   in Loop: Header=BB216_2083 Depth=1
	s_or_b32 exec_lo, exec_lo, s22
.LBB216_4147:                           ;   in Loop: Header=BB216_2083 Depth=1
	s_or_b32 exec_lo, exec_lo, s21
.LBB216_4148:                           ;   in Loop: Header=BB216_2083 Depth=1
	s_or_b32 exec_lo, exec_lo, s20
	s_mov_b32 s20, exec_lo
	v_cmpx_lt_u32_e32 0xffffff, v85
	s_cbranch_execz .LBB216_4156
; %bb.4149:                             ;   in Loop: Header=BB216_2083 Depth=1
	v_mov_b32_e32 v11, v9
	v_cmp_ne_u32_sdwa s8, v85, v74 src0_sel:BYTE_3 src1_sel:DWORD
	v_mov_b32_e32 v10, v11
	v_mov_b32_e32 v11, v12
	s_and_saveexec_b32 s21, s8
	s_cbranch_execz .LBB216_4155
; %bb.4150:                             ;   in Loop: Header=BB216_2083 Depth=1
	v_mov_b32_e32 v13, v9
	v_bfe_u32 v86, v85, 24, 7
	s_mov_b32 s22, exec_lo
	v_mov_b32_e32 v10, v13
	v_mov_b32_e32 v11, v14
	v_cmpx_ne_u32_e32 0x7f, v86
	s_cbranch_execz .LBB216_4154
; %bb.4151:                             ;   in Loop: Header=BB216_2083 Depth=1
	v_and_b32_sdwa v8, v85, v77 dst_sel:DWORD dst_unused:UNUSED_PAD src0_sel:BYTE_3 src1_sel:DWORD
	v_mov_b32_e32 v11, v9
	v_lshrrev_b32_e32 v13, 3, v86
	s_mov_b32 s23, exec_lo
	v_mov_b32_e32 v10, v8
	v_cmpx_gt_u32_e32 8, v86
; %bb.4152:                             ;   in Loop: Header=BB216_2083 Depth=1
	v_ffbh_u32_e32 v10, v8
	v_min_u32_e32 v13, 32, v10
	v_subrev_nc_u32_e32 v10, 28, v13
	v_sub_nc_u32_e32 v13, 29, v13
	v_lshlrev_b64 v[10:11], v10, v[8:9]
	v_and_b32_e32 v10, 7, v10
; %bb.4153:                             ;   in Loop: Header=BB216_2083 Depth=1
	s_or_b32 exec_lo, exec_lo, s23
	v_lshlrev_b32_sdwa v8, v78, v85 dst_sel:DWORD dst_unused:UNUSED_PAD src0_sel:DWORD src1_sel:BYTE_3
	v_lshlrev_b32_e32 v10, 20, v10
	v_lshl_add_u32 v11, v13, 23, 0x3c000000
	v_and_b32_e32 v8, 0x80000000, v8
	v_or3_b32 v11, v10, v8, v11
	v_mov_b32_e32 v10, v9
.LBB216_4154:                           ;   in Loop: Header=BB216_2083 Depth=1
	s_or_b32 exec_lo, exec_lo, s22
.LBB216_4155:                           ;   in Loop: Header=BB216_2083 Depth=1
	s_or_b32 exec_lo, exec_lo, s21
.LBB216_4156:                           ;   in Loop: Header=BB216_2083 Depth=1
	s_or_b32 exec_lo, exec_lo, s20
	v_or_b32_e32 v8, v22, v20
	v_or_b32_e32 v13, v21, v19
	;; [unrolled: 1-line block ×4, first 2 shown]
	v_mul_f32_e32 v96, v106, v8
	v_mul_f32_e32 v87, v106, v13
	;; [unrolled: 1-line block ×4, first 2 shown]
	s_and_saveexec_b32 s8, s7
; %bb.4157:                             ;   in Loop: Header=BB216_2083 Depth=1
	v_cndmask_b32_e32 v87, 0, v87, vcc_lo
	v_cndmask_b32_e64 v96, 0, v96, s4
	v_cndmask_b32_e64 v86, 0, v86, s5
	;; [unrolled: 1-line block ×3, first 2 shown]
; %bb.4158:                             ;   in Loop: Header=BB216_2083 Depth=1
	s_or_b32 exec_lo, exec_lo, s8
	flat_load_dword v97, v[0:1] offset:1664
	v_mov_b32_e32 v21, 0
	v_mov_b32_e32 v19, 0
	;; [unrolled: 1-line block ×4, first 2 shown]
	s_waitcnt vmcnt(0) lgkmcnt(0)
	v_cmp_ne_u16_sdwa s8, v97, v9 src0_sel:BYTE_0 src1_sel:DWORD
	s_and_saveexec_b32 s20, s8
	s_cbranch_execz .LBB216_4166
; %bb.4159:                             ;   in Loop: Header=BB216_2083 Depth=1
	v_bfrev_b32_e32 v19, 1
	v_mov_b32_e32 v20, 0
	v_cmp_ne_u16_sdwa s8, v97, v74 src0_sel:BYTE_0 src1_sel:DWORD
	s_and_saveexec_b32 s21, s8
	s_cbranch_execz .LBB216_4165
; %bb.4160:                             ;   in Loop: Header=BB216_2083 Depth=1
	v_mov_b32_e32 v19, 0x7f800001
	v_and_b32_e32 v10, 0x7f, v97
	v_mov_b32_e32 v20, 0
	s_mov_b32 s22, exec_lo
	v_cmpx_ne_u32_e32 0x7f, v10
	s_cbranch_execz .LBB216_4164
; %bb.4161:                             ;   in Loop: Header=BB216_2083 Depth=1
	v_and_b32_e32 v8, 7, v97
	v_lshrrev_b32_e32 v13, 3, v10
	v_cmp_gt_u32_e64 s8, 8, v10
	v_mov_b32_e32 v11, v9
	v_mov_b32_e32 v10, v8
	s_and_saveexec_b32 s23, s8
; %bb.4162:                             ;   in Loop: Header=BB216_2083 Depth=1
	v_ffbh_u32_e32 v10, v8
	v_min_u32_e32 v13, 32, v10
	v_subrev_nc_u32_e32 v10, 28, v13
	v_sub_nc_u32_e32 v13, 29, v13
	v_lshlrev_b64 v[10:11], v10, v[8:9]
	v_and_b32_e32 v10, 7, v10
; %bb.4163:                             ;   in Loop: Header=BB216_2083 Depth=1
	s_or_b32 exec_lo, exec_lo, s23
	v_lshlrev_b32_e32 v8, 24, v97
	v_lshlrev_b32_e32 v10, 20, v10
	v_lshl_add_u32 v11, v13, 23, 0x3c000000
	v_and_b32_e32 v8, 0x80000000, v8
	v_or3_b32 v8, v10, v8, v11
	v_mov_b32_e32 v20, v9
	v_mov_b32_e32 v19, v8
.LBB216_4164:                           ;   in Loop: Header=BB216_2083 Depth=1
	s_or_b32 exec_lo, exec_lo, s22
.LBB216_4165:                           ;   in Loop: Header=BB216_2083 Depth=1
	s_or_b32 exec_lo, exec_lo, s21
.LBB216_4166:                           ;   in Loop: Header=BB216_2083 Depth=1
	s_or_b32 exec_lo, exec_lo, s20
	v_cmp_ne_u16_sdwa s8, v97, v9 src0_sel:BYTE_1 src1_sel:DWORD
	s_and_saveexec_b32 s20, s8
	s_cbranch_execz .LBB216_4174
; %bb.4167:                             ;   in Loop: Header=BB216_2083 Depth=1
	v_mov_b32_e32 v11, v9
	v_mov_b32_e32 v22, v12
	v_cmp_ne_u16_sdwa s8, v97, v74 src0_sel:BYTE_1 src1_sel:DWORD
	v_mov_b32_e32 v21, v11
	s_and_saveexec_b32 s21, s8
	s_cbranch_execz .LBB216_4173
; %bb.4168:                             ;   in Loop: Header=BB216_2083 Depth=1
	v_and_b32_sdwa v8, v75, v97 dst_sel:DWORD dst_unused:UNUSED_PAD src0_sel:DWORD src1_sel:BYTE_1
	v_mov_b32_e32 v13, v9
	v_mov_b32_e32 v22, v14
	s_mov_b32 s22, exec_lo
	v_and_b32_e32 v10, 0x7f, v8
	v_mov_b32_e32 v21, v13
	v_cmpx_ne_u32_e32 0x7f, v10
	s_cbranch_execz .LBB216_4172
; %bb.4169:                             ;   in Loop: Header=BB216_2083 Depth=1
	v_and_b32_e32 v8, 7, v8
	v_lshrrev_b32_e32 v13, 3, v10
	v_cmp_gt_u32_e64 s8, 8, v10
	v_mov_b32_e32 v11, v9
	v_mov_b32_e32 v10, v8
	s_and_saveexec_b32 s23, s8
; %bb.4170:                             ;   in Loop: Header=BB216_2083 Depth=1
	v_ffbh_u32_e32 v10, v8
	v_min_u32_e32 v13, 32, v10
	v_subrev_nc_u32_e32 v10, 28, v13
	v_sub_nc_u32_e32 v13, 29, v13
	v_lshlrev_b64 v[10:11], v10, v[8:9]
	v_and_b32_e32 v10, 7, v10
; %bb.4171:                             ;   in Loop: Header=BB216_2083 Depth=1
	s_or_b32 exec_lo, exec_lo, s23
	v_lshlrev_b32_e32 v8, 16, v97
	v_lshlrev_b32_e32 v10, 20, v10
	v_lshl_add_u32 v11, v13, 23, 0x3c000000
	v_mov_b32_e32 v21, v9
	v_and_b32_e32 v8, 0x80000000, v8
	v_or3_b32 v22, v10, v8, v11
.LBB216_4172:                           ;   in Loop: Header=BB216_2083 Depth=1
	s_or_b32 exec_lo, exec_lo, s22
.LBB216_4173:                           ;   in Loop: Header=BB216_2083 Depth=1
	s_or_b32 exec_lo, exec_lo, s21
.LBB216_4174:                           ;   in Loop: Header=BB216_2083 Depth=1
	s_or_b32 exec_lo, exec_lo, s20
	v_mov_b32_e32 v10, 0
	v_mov_b32_e32 v23, 0
	v_and_b32_sdwa v8, v97, v76 dst_sel:DWORD dst_unused:UNUSED_PAD src0_sel:WORD_1 src1_sel:DWORD
	v_mov_b32_e32 v11, 0
	v_mov_b32_e32 v24, 0
	s_mov_b32 s20, exec_lo
	v_cmpx_ne_u16_e32 0, v8
	s_cbranch_execz .LBB216_4182
; %bb.4175:                             ;   in Loop: Header=BB216_2083 Depth=1
	v_bfrev_b32_e32 v23, 1
	v_mov_b32_e32 v24, 0
	s_mov_b32 s21, exec_lo
	v_cmpx_ne_u16_e32 0x80, v8
	s_cbranch_execz .LBB216_4181
; %bb.4176:                             ;   in Loop: Header=BB216_2083 Depth=1
	v_mov_b32_e32 v23, 0x7f800001
	v_bfe_u32 v29, v97, 16, 7
	v_mov_b32_e32 v24, 0
	s_mov_b32 s22, exec_lo
	v_cmpx_ne_u32_e32 0x7f, v29
	s_cbranch_execz .LBB216_4180
; %bb.4177:                             ;   in Loop: Header=BB216_2083 Depth=1
	v_and_b32_sdwa v8, v97, v77 dst_sel:DWORD dst_unused:UNUSED_PAD src0_sel:WORD_1 src1_sel:DWORD
	v_mov_b32_e32 v24, v9
	v_lshrrev_b32_e32 v13, 3, v29
	s_mov_b32 s23, exec_lo
	v_mov_b32_e32 v23, v8
	v_cmpx_gt_u32_e32 8, v29
; %bb.4178:                             ;   in Loop: Header=BB216_2083 Depth=1
	v_ffbh_u32_e32 v13, v8
	v_min_u32_e32 v13, 32, v13
	v_subrev_nc_u32_e32 v23, 28, v13
	v_sub_nc_u32_e32 v13, 29, v13
	v_lshlrev_b64 v[23:24], v23, v[8:9]
	v_and_b32_e32 v23, 7, v23
; %bb.4179:                             ;   in Loop: Header=BB216_2083 Depth=1
	s_or_b32 exec_lo, exec_lo, s23
	v_lshlrev_b32_sdwa v8, v78, v97 dst_sel:DWORD dst_unused:UNUSED_PAD src0_sel:DWORD src1_sel:WORD_1
	v_lshlrev_b32_e32 v23, 20, v23
	v_lshl_add_u32 v13, v13, 23, 0x3c000000
	v_and_b32_e32 v8, 0x80000000, v8
	v_or3_b32 v8, v23, v8, v13
	v_mov_b32_e32 v24, v9
	v_mov_b32_e32 v23, v8
.LBB216_4180:                           ;   in Loop: Header=BB216_2083 Depth=1
	s_or_b32 exec_lo, exec_lo, s22
.LBB216_4181:                           ;   in Loop: Header=BB216_2083 Depth=1
	s_or_b32 exec_lo, exec_lo, s21
.LBB216_4182:                           ;   in Loop: Header=BB216_2083 Depth=1
	s_or_b32 exec_lo, exec_lo, s20
	s_mov_b32 s20, exec_lo
	v_cmpx_lt_u32_e32 0xffffff, v97
	s_cbranch_execz .LBB216_4190
; %bb.4183:                             ;   in Loop: Header=BB216_2083 Depth=1
	v_mov_b32_e32 v11, v9
	v_cmp_ne_u32_sdwa s8, v97, v74 src0_sel:BYTE_3 src1_sel:DWORD
	v_mov_b32_e32 v10, v11
	v_mov_b32_e32 v11, v12
	s_and_saveexec_b32 s21, s8
	s_cbranch_execz .LBB216_4189
; %bb.4184:                             ;   in Loop: Header=BB216_2083 Depth=1
	v_mov_b32_e32 v13, v9
	v_bfe_u32 v98, v97, 24, 7
	s_mov_b32 s22, exec_lo
	v_mov_b32_e32 v10, v13
	v_mov_b32_e32 v11, v14
	v_cmpx_ne_u32_e32 0x7f, v98
	s_cbranch_execz .LBB216_4188
; %bb.4185:                             ;   in Loop: Header=BB216_2083 Depth=1
	v_and_b32_sdwa v8, v97, v77 dst_sel:DWORD dst_unused:UNUSED_PAD src0_sel:BYTE_3 src1_sel:DWORD
	v_mov_b32_e32 v11, v9
	v_lshrrev_b32_e32 v13, 3, v98
	s_mov_b32 s23, exec_lo
	v_mov_b32_e32 v10, v8
	v_cmpx_gt_u32_e32 8, v98
; %bb.4186:                             ;   in Loop: Header=BB216_2083 Depth=1
	v_ffbh_u32_e32 v10, v8
	v_min_u32_e32 v13, 32, v10
	v_subrev_nc_u32_e32 v10, 28, v13
	v_sub_nc_u32_e32 v13, 29, v13
	v_lshlrev_b64 v[10:11], v10, v[8:9]
	v_and_b32_e32 v10, 7, v10
; %bb.4187:                             ;   in Loop: Header=BB216_2083 Depth=1
	s_or_b32 exec_lo, exec_lo, s23
	v_lshlrev_b32_sdwa v8, v78, v97 dst_sel:DWORD dst_unused:UNUSED_PAD src0_sel:DWORD src1_sel:BYTE_3
	v_lshlrev_b32_e32 v10, 20, v10
	v_lshl_add_u32 v11, v13, 23, 0x3c000000
	v_and_b32_e32 v8, 0x80000000, v8
	v_or3_b32 v11, v10, v8, v11
	v_mov_b32_e32 v10, v9
.LBB216_4188:                           ;   in Loop: Header=BB216_2083 Depth=1
	s_or_b32 exec_lo, exec_lo, s22
.LBB216_4189:                           ;   in Loop: Header=BB216_2083 Depth=1
	s_or_b32 exec_lo, exec_lo, s21
.LBB216_4190:                           ;   in Loop: Header=BB216_2083 Depth=1
	s_or_b32 exec_lo, exec_lo, s20
	v_or_b32_e32 v8, v22, v20
	v_or_b32_e32 v13, v21, v19
	;; [unrolled: 1-line block ×4, first 2 shown]
	v_mul_f32_e32 v98, v106, v8
	v_mul_f32_e32 v97, v106, v13
	;; [unrolled: 1-line block ×4, first 2 shown]
	s_and_saveexec_b32 s8, s7
; %bb.4191:                             ;   in Loop: Header=BB216_2083 Depth=1
	v_cndmask_b32_e32 v97, 0, v97, vcc_lo
	v_cndmask_b32_e64 v98, 0, v98, s4
	v_cndmask_b32_e64 v24, 0, v24, s5
	;; [unrolled: 1-line block ×3, first 2 shown]
; %bb.4192:                             ;   in Loop: Header=BB216_2083 Depth=1
	s_or_b32 exec_lo, exec_lo, s8
	flat_load_dword v99, v[0:1] offset:1792
	v_mov_b32_e32 v19, 0
	v_mov_b32_e32 v0, 0
	;; [unrolled: 1-line block ×4, first 2 shown]
	s_waitcnt vmcnt(0) lgkmcnt(0)
	v_cmp_ne_u16_sdwa s8, v99, v9 src0_sel:BYTE_0 src1_sel:DWORD
	s_and_saveexec_b32 s20, s8
	s_cbranch_execz .LBB216_4200
; %bb.4193:                             ;   in Loop: Header=BB216_2083 Depth=1
	v_bfrev_b32_e32 v0, 1
	v_mov_b32_e32 v1, 0
	v_cmp_ne_u16_sdwa s8, v99, v74 src0_sel:BYTE_0 src1_sel:DWORD
	s_and_saveexec_b32 s21, s8
	s_cbranch_execz .LBB216_4199
; %bb.4194:                             ;   in Loop: Header=BB216_2083 Depth=1
	v_mov_b32_e32 v0, 0x7f800001
	v_and_b32_e32 v11, 0x7f, v99
	v_mov_b32_e32 v1, 0
	s_mov_b32 s22, exec_lo
	v_cmpx_ne_u32_e32 0x7f, v11
	s_cbranch_execz .LBB216_4198
; %bb.4195:                             ;   in Loop: Header=BB216_2083 Depth=1
	v_and_b32_e32 v8, 7, v99
	v_lshrrev_b32_e32 v10, 3, v11
	s_mov_b32 s23, exec_lo
	v_mov_b32_e32 v0, v8
	v_mov_b32_e32 v1, v9
	v_cmpx_gt_u32_e32 8, v11
; %bb.4196:                             ;   in Loop: Header=BB216_2083 Depth=1
	v_ffbh_u32_e32 v0, v8
	v_min_u32_e32 v10, 32, v0
	v_subrev_nc_u32_e32 v0, 28, v10
	v_sub_nc_u32_e32 v10, 29, v10
	v_lshlrev_b64 v[0:1], v0, v[8:9]
	v_and_b32_e32 v0, 7, v0
; %bb.4197:                             ;   in Loop: Header=BB216_2083 Depth=1
	s_or_b32 exec_lo, exec_lo, s23
	v_lshlrev_b32_e32 v1, 24, v99
	v_lshlrev_b32_e32 v0, 20, v0
	v_lshl_add_u32 v8, v10, 23, 0x3c000000
	v_and_b32_e32 v1, 0x80000000, v1
	v_or3_b32 v8, v0, v1, v8
	v_mov_b32_e32 v0, v8
	v_mov_b32_e32 v1, v9
.LBB216_4198:                           ;   in Loop: Header=BB216_2083 Depth=1
	s_or_b32 exec_lo, exec_lo, s22
.LBB216_4199:                           ;   in Loop: Header=BB216_2083 Depth=1
	s_or_b32 exec_lo, exec_lo, s21
.LBB216_4200:                           ;   in Loop: Header=BB216_2083 Depth=1
	s_or_b32 exec_lo, exec_lo, s20
	v_cmp_ne_u16_sdwa s8, v99, v9 src0_sel:BYTE_1 src1_sel:DWORD
	s_and_saveexec_b32 s20, s8
	s_cbranch_execz .LBB216_4208
; %bb.4201:                             ;   in Loop: Header=BB216_2083 Depth=1
	v_mov_b32_e32 v11, v9
	v_mov_b32_e32 v20, v12
	v_cmp_ne_u16_sdwa s8, v99, v74 src0_sel:BYTE_1 src1_sel:DWORD
	v_mov_b32_e32 v19, v11
	s_and_saveexec_b32 s21, s8
	s_cbranch_execz .LBB216_4207
; %bb.4202:                             ;   in Loop: Header=BB216_2083 Depth=1
	v_and_b32_sdwa v8, v75, v99 dst_sel:DWORD dst_unused:UNUSED_PAD src0_sel:DWORD src1_sel:BYTE_1
	v_mov_b32_e32 v13, v9
	v_mov_b32_e32 v20, v14
	s_mov_b32 s22, exec_lo
	v_and_b32_e32 v10, 0x7f, v8
	v_mov_b32_e32 v19, v13
	v_cmpx_ne_u32_e32 0x7f, v10
	s_cbranch_execz .LBB216_4206
; %bb.4203:                             ;   in Loop: Header=BB216_2083 Depth=1
	v_and_b32_e32 v8, 7, v8
	v_lshrrev_b32_e32 v13, 3, v10
	v_cmp_gt_u32_e64 s8, 8, v10
	v_mov_b32_e32 v11, v9
	v_mov_b32_e32 v10, v8
	s_and_saveexec_b32 s23, s8
; %bb.4204:                             ;   in Loop: Header=BB216_2083 Depth=1
	v_ffbh_u32_e32 v10, v8
	v_min_u32_e32 v13, 32, v10
	v_subrev_nc_u32_e32 v10, 28, v13
	v_sub_nc_u32_e32 v13, 29, v13
	v_lshlrev_b64 v[10:11], v10, v[8:9]
	v_and_b32_e32 v10, 7, v10
; %bb.4205:                             ;   in Loop: Header=BB216_2083 Depth=1
	s_or_b32 exec_lo, exec_lo, s23
	v_lshlrev_b32_e32 v8, 16, v99
	v_lshlrev_b32_e32 v10, 20, v10
	v_lshl_add_u32 v11, v13, 23, 0x3c000000
	v_mov_b32_e32 v19, v9
	v_and_b32_e32 v8, 0x80000000, v8
	v_or3_b32 v20, v10, v8, v11
.LBB216_4206:                           ;   in Loop: Header=BB216_2083 Depth=1
	s_or_b32 exec_lo, exec_lo, s22
.LBB216_4207:                           ;   in Loop: Header=BB216_2083 Depth=1
	s_or_b32 exec_lo, exec_lo, s21
.LBB216_4208:                           ;   in Loop: Header=BB216_2083 Depth=1
	s_or_b32 exec_lo, exec_lo, s20
	v_mov_b32_e32 v10, 0
	v_mov_b32_e32 v21, 0
	v_and_b32_sdwa v8, v99, v76 dst_sel:DWORD dst_unused:UNUSED_PAD src0_sel:WORD_1 src1_sel:DWORD
	v_mov_b32_e32 v11, 0
	v_mov_b32_e32 v22, 0
	s_mov_b32 s20, exec_lo
	v_cmpx_ne_u16_e32 0, v8
	s_cbranch_execz .LBB216_4216
; %bb.4209:                             ;   in Loop: Header=BB216_2083 Depth=1
	v_bfrev_b32_e32 v21, 1
	v_mov_b32_e32 v22, 0
	s_mov_b32 s21, exec_lo
	v_cmpx_ne_u16_e32 0x80, v8
	s_cbranch_execz .LBB216_4215
; %bb.4210:                             ;   in Loop: Header=BB216_2083 Depth=1
	v_mov_b32_e32 v21, 0x7f800001
	v_bfe_u32 v29, v99, 16, 7
	v_mov_b32_e32 v22, 0
	s_mov_b32 s22, exec_lo
	v_cmpx_ne_u32_e32 0x7f, v29
	s_cbranch_execz .LBB216_4214
; %bb.4211:                             ;   in Loop: Header=BB216_2083 Depth=1
	v_and_b32_sdwa v8, v99, v77 dst_sel:DWORD dst_unused:UNUSED_PAD src0_sel:WORD_1 src1_sel:DWORD
	v_mov_b32_e32 v22, v9
	v_lshrrev_b32_e32 v13, 3, v29
	s_mov_b32 s23, exec_lo
	v_mov_b32_e32 v21, v8
	v_cmpx_gt_u32_e32 8, v29
; %bb.4212:                             ;   in Loop: Header=BB216_2083 Depth=1
	v_ffbh_u32_e32 v13, v8
	v_min_u32_e32 v13, 32, v13
	v_subrev_nc_u32_e32 v21, 28, v13
	v_sub_nc_u32_e32 v13, 29, v13
	v_lshlrev_b64 v[21:22], v21, v[8:9]
	v_and_b32_e32 v21, 7, v21
; %bb.4213:                             ;   in Loop: Header=BB216_2083 Depth=1
	s_or_b32 exec_lo, exec_lo, s23
	v_lshlrev_b32_sdwa v8, v78, v99 dst_sel:DWORD dst_unused:UNUSED_PAD src0_sel:DWORD src1_sel:WORD_1
	v_lshlrev_b32_e32 v21, 20, v21
	v_lshl_add_u32 v13, v13, 23, 0x3c000000
	v_and_b32_e32 v8, 0x80000000, v8
	v_or3_b32 v8, v21, v8, v13
	v_mov_b32_e32 v22, v9
	v_mov_b32_e32 v21, v8
.LBB216_4214:                           ;   in Loop: Header=BB216_2083 Depth=1
	s_or_b32 exec_lo, exec_lo, s22
.LBB216_4215:                           ;   in Loop: Header=BB216_2083 Depth=1
	s_or_b32 exec_lo, exec_lo, s21
.LBB216_4216:                           ;   in Loop: Header=BB216_2083 Depth=1
	s_or_b32 exec_lo, exec_lo, s20
	s_mov_b32 s20, exec_lo
	v_cmpx_lt_u32_e32 0xffffff, v99
	s_cbranch_execz .LBB216_4224
; %bb.4217:                             ;   in Loop: Header=BB216_2083 Depth=1
	v_mov_b32_e32 v11, v9
	v_cmp_ne_u32_sdwa s8, v99, v74 src0_sel:BYTE_3 src1_sel:DWORD
	v_mov_b32_e32 v10, v11
	v_mov_b32_e32 v11, v12
	s_and_saveexec_b32 s21, s8
	s_cbranch_execz .LBB216_4223
; %bb.4218:                             ;   in Loop: Header=BB216_2083 Depth=1
	v_mov_b32_e32 v13, v9
	v_bfe_u32 v100, v99, 24, 7
	s_mov_b32 s22, exec_lo
	v_mov_b32_e32 v10, v13
	v_mov_b32_e32 v11, v14
	v_cmpx_ne_u32_e32 0x7f, v100
	s_cbranch_execz .LBB216_4222
; %bb.4219:                             ;   in Loop: Header=BB216_2083 Depth=1
	v_and_b32_sdwa v8, v99, v77 dst_sel:DWORD dst_unused:UNUSED_PAD src0_sel:BYTE_3 src1_sel:DWORD
	v_mov_b32_e32 v11, v9
	v_lshrrev_b32_e32 v13, 3, v100
	s_mov_b32 s23, exec_lo
	v_mov_b32_e32 v10, v8
	v_cmpx_gt_u32_e32 8, v100
; %bb.4220:                             ;   in Loop: Header=BB216_2083 Depth=1
	v_ffbh_u32_e32 v10, v8
	v_min_u32_e32 v13, 32, v10
	v_subrev_nc_u32_e32 v10, 28, v13
	v_sub_nc_u32_e32 v13, 29, v13
	v_lshlrev_b64 v[10:11], v10, v[8:9]
	v_and_b32_e32 v10, 7, v10
; %bb.4221:                             ;   in Loop: Header=BB216_2083 Depth=1
	s_or_b32 exec_lo, exec_lo, s23
	v_lshlrev_b32_sdwa v8, v78, v99 dst_sel:DWORD dst_unused:UNUSED_PAD src0_sel:DWORD src1_sel:BYTE_3
	v_lshlrev_b32_e32 v10, 20, v10
	v_lshl_add_u32 v11, v13, 23, 0x3c000000
	v_and_b32_e32 v8, 0x80000000, v8
	v_or3_b32 v11, v10, v8, v11
	v_mov_b32_e32 v10, v9
.LBB216_4222:                           ;   in Loop: Header=BB216_2083 Depth=1
	s_or_b32 exec_lo, exec_lo, s22
.LBB216_4223:                           ;   in Loop: Header=BB216_2083 Depth=1
	s_or_b32 exec_lo, exec_lo, s21
.LBB216_4224:                           ;   in Loop: Header=BB216_2083 Depth=1
	s_or_b32 exec_lo, exec_lo, s20
	v_or_b32_e32 v1, v20, v1
	v_or_b32_e32 v0, v19, v0
	;; [unrolled: 1-line block ×4, first 2 shown]
	v_mul_f32_e32 v100, v106, v1
	v_mul_f32_e32 v99, v106, v0
	;; [unrolled: 1-line block ×4, first 2 shown]
	s_and_saveexec_b32 s8, s7
; %bb.4225:                             ;   in Loop: Header=BB216_2083 Depth=1
	v_cndmask_b32_e32 v99, 0, v99, vcc_lo
	v_cndmask_b32_e64 v100, 0, v100, s4
	v_cndmask_b32_e64 v22, 0, v22, s5
	;; [unrolled: 1-line block ×3, first 2 shown]
; %bb.4226:                             ;   in Loop: Header=BB216_2083 Depth=1
	s_or_b32 exec_lo, exec_lo, s8
	buffer_load_dword v0, off, s[0:3], s32 offset:1956 ; 4-byte Folded Reload
	s_waitcnt vmcnt(0)
	v_add_co_u32 v0, s8, v17, v0
	v_add_co_ci_u32_e64 v1, null, 0, v18, s8
	v_mov_b32_e32 v17, 0
	v_mov_b32_e32 v18, 0
	flat_load_dword v101, v[0:1]
	v_mov_b32_e32 v0, 0
	v_mov_b32_e32 v1, 0
	s_waitcnt vmcnt(0) lgkmcnt(0)
	v_cmp_ne_u16_sdwa s8, v101, v9 src0_sel:BYTE_0 src1_sel:DWORD
	s_and_saveexec_b32 s20, s8
	s_cbranch_execz .LBB216_4234
; %bb.4227:                             ;   in Loop: Header=BB216_2083 Depth=1
	v_bfrev_b32_e32 v0, 1
	v_mov_b32_e32 v1, 0
	v_cmp_ne_u16_sdwa s8, v101, v74 src0_sel:BYTE_0 src1_sel:DWORD
	s_and_saveexec_b32 s21, s8
	s_cbranch_execz .LBB216_4233
; %bb.4228:                             ;   in Loop: Header=BB216_2083 Depth=1
	v_mov_b32_e32 v0, 0x7f800001
	v_and_b32_e32 v11, 0x7f, v101
	v_mov_b32_e32 v1, 0
	s_mov_b32 s22, exec_lo
	v_cmpx_ne_u32_e32 0x7f, v11
	s_cbranch_execz .LBB216_4232
; %bb.4229:                             ;   in Loop: Header=BB216_2083 Depth=1
	v_and_b32_e32 v8, 7, v101
	v_lshrrev_b32_e32 v10, 3, v11
	s_mov_b32 s23, exec_lo
	v_mov_b32_e32 v0, v8
	v_mov_b32_e32 v1, v9
	v_cmpx_gt_u32_e32 8, v11
; %bb.4230:                             ;   in Loop: Header=BB216_2083 Depth=1
	v_ffbh_u32_e32 v0, v8
	v_min_u32_e32 v10, 32, v0
	v_subrev_nc_u32_e32 v0, 28, v10
	v_sub_nc_u32_e32 v10, 29, v10
	v_lshlrev_b64 v[0:1], v0, v[8:9]
	v_and_b32_e32 v0, 7, v0
; %bb.4231:                             ;   in Loop: Header=BB216_2083 Depth=1
	s_or_b32 exec_lo, exec_lo, s23
	v_lshlrev_b32_e32 v1, 24, v101
	v_lshlrev_b32_e32 v0, 20, v0
	v_lshl_add_u32 v8, v10, 23, 0x3c000000
	v_and_b32_e32 v1, 0x80000000, v1
	v_or3_b32 v8, v0, v1, v8
	v_mov_b32_e32 v0, v8
	v_mov_b32_e32 v1, v9
.LBB216_4232:                           ;   in Loop: Header=BB216_2083 Depth=1
	s_or_b32 exec_lo, exec_lo, s22
.LBB216_4233:                           ;   in Loop: Header=BB216_2083 Depth=1
	s_or_b32 exec_lo, exec_lo, s21
.LBB216_4234:                           ;   in Loop: Header=BB216_2083 Depth=1
	s_or_b32 exec_lo, exec_lo, s20
	v_cmp_ne_u16_sdwa s8, v101, v9 src0_sel:BYTE_1 src1_sel:DWORD
	s_and_saveexec_b32 s20, s8
	s_cbranch_execz .LBB216_4242
; %bb.4235:                             ;   in Loop: Header=BB216_2083 Depth=1
	v_mov_b32_e32 v11, v9
	v_mov_b32_e32 v18, v12
	v_cmp_ne_u16_sdwa s8, v101, v74 src0_sel:BYTE_1 src1_sel:DWORD
	v_mov_b32_e32 v17, v11
	s_and_saveexec_b32 s21, s8
	s_cbranch_execz .LBB216_4241
; %bb.4236:                             ;   in Loop: Header=BB216_2083 Depth=1
	v_and_b32_sdwa v8, v75, v101 dst_sel:DWORD dst_unused:UNUSED_PAD src0_sel:DWORD src1_sel:BYTE_1
	v_mov_b32_e32 v13, v9
	v_mov_b32_e32 v18, v14
	s_mov_b32 s22, exec_lo
	v_and_b32_e32 v10, 0x7f, v8
	v_mov_b32_e32 v17, v13
	v_cmpx_ne_u32_e32 0x7f, v10
	s_cbranch_execz .LBB216_4240
; %bb.4237:                             ;   in Loop: Header=BB216_2083 Depth=1
	v_and_b32_e32 v8, 7, v8
	v_lshrrev_b32_e32 v13, 3, v10
	v_cmp_gt_u32_e64 s8, 8, v10
	v_mov_b32_e32 v11, v9
	v_mov_b32_e32 v10, v8
	s_and_saveexec_b32 s23, s8
; %bb.4238:                             ;   in Loop: Header=BB216_2083 Depth=1
	v_ffbh_u32_e32 v10, v8
	v_min_u32_e32 v13, 32, v10
	v_subrev_nc_u32_e32 v10, 28, v13
	v_sub_nc_u32_e32 v13, 29, v13
	v_lshlrev_b64 v[10:11], v10, v[8:9]
	v_and_b32_e32 v10, 7, v10
; %bb.4239:                             ;   in Loop: Header=BB216_2083 Depth=1
	s_or_b32 exec_lo, exec_lo, s23
	v_lshlrev_b32_e32 v8, 16, v101
	v_lshlrev_b32_e32 v10, 20, v10
	v_lshl_add_u32 v11, v13, 23, 0x3c000000
	v_mov_b32_e32 v17, v9
	v_and_b32_e32 v8, 0x80000000, v8
	v_or3_b32 v18, v10, v8, v11
.LBB216_4240:                           ;   in Loop: Header=BB216_2083 Depth=1
	s_or_b32 exec_lo, exec_lo, s22
.LBB216_4241:                           ;   in Loop: Header=BB216_2083 Depth=1
	s_or_b32 exec_lo, exec_lo, s21
.LBB216_4242:                           ;   in Loop: Header=BB216_2083 Depth=1
	s_or_b32 exec_lo, exec_lo, s20
	v_mov_b32_e32 v10, 0
	v_mov_b32_e32 v19, 0
	v_and_b32_sdwa v8, v101, v76 dst_sel:DWORD dst_unused:UNUSED_PAD src0_sel:WORD_1 src1_sel:DWORD
	v_mov_b32_e32 v11, 0
	v_mov_b32_e32 v20, 0
	s_mov_b32 s20, exec_lo
	v_cmpx_ne_u16_e32 0, v8
	s_cbranch_execz .LBB216_4250
; %bb.4243:                             ;   in Loop: Header=BB216_2083 Depth=1
	v_bfrev_b32_e32 v19, 1
	v_mov_b32_e32 v20, 0
	s_mov_b32 s21, exec_lo
	v_cmpx_ne_u16_e32 0x80, v8
	s_cbranch_execz .LBB216_4249
; %bb.4244:                             ;   in Loop: Header=BB216_2083 Depth=1
	v_mov_b32_e32 v19, 0x7f800001
	v_bfe_u32 v29, v101, 16, 7
	v_mov_b32_e32 v20, 0
	s_mov_b32 s22, exec_lo
	v_cmpx_ne_u32_e32 0x7f, v29
	s_cbranch_execz .LBB216_4248
; %bb.4245:                             ;   in Loop: Header=BB216_2083 Depth=1
	v_and_b32_sdwa v8, v101, v77 dst_sel:DWORD dst_unused:UNUSED_PAD src0_sel:WORD_1 src1_sel:DWORD
	v_mov_b32_e32 v20, v9
	v_lshrrev_b32_e32 v13, 3, v29
	s_mov_b32 s23, exec_lo
	v_mov_b32_e32 v19, v8
	v_cmpx_gt_u32_e32 8, v29
; %bb.4246:                             ;   in Loop: Header=BB216_2083 Depth=1
	v_ffbh_u32_e32 v13, v8
	v_min_u32_e32 v13, 32, v13
	v_subrev_nc_u32_e32 v19, 28, v13
	v_sub_nc_u32_e32 v13, 29, v13
	v_lshlrev_b64 v[19:20], v19, v[8:9]
	v_and_b32_e32 v19, 7, v19
; %bb.4247:                             ;   in Loop: Header=BB216_2083 Depth=1
	s_or_b32 exec_lo, exec_lo, s23
	v_lshlrev_b32_sdwa v8, v78, v101 dst_sel:DWORD dst_unused:UNUSED_PAD src0_sel:DWORD src1_sel:WORD_1
	v_lshlrev_b32_e32 v19, 20, v19
	v_lshl_add_u32 v13, v13, 23, 0x3c000000
	v_and_b32_e32 v8, 0x80000000, v8
	v_or3_b32 v8, v19, v8, v13
	v_mov_b32_e32 v20, v9
	v_mov_b32_e32 v19, v8
.LBB216_4248:                           ;   in Loop: Header=BB216_2083 Depth=1
	s_or_b32 exec_lo, exec_lo, s22
.LBB216_4249:                           ;   in Loop: Header=BB216_2083 Depth=1
	s_or_b32 exec_lo, exec_lo, s21
.LBB216_4250:                           ;   in Loop: Header=BB216_2083 Depth=1
	s_or_b32 exec_lo, exec_lo, s20
	s_mov_b32 s20, exec_lo
	v_cmpx_lt_u32_e32 0xffffff, v101
	s_cbranch_execz .LBB216_4258
; %bb.4251:                             ;   in Loop: Header=BB216_2083 Depth=1
	v_mov_b32_e32 v11, v9
	v_cmp_ne_u32_sdwa s8, v101, v74 src0_sel:BYTE_3 src1_sel:DWORD
	v_mov_b32_e32 v10, v11
	v_mov_b32_e32 v11, v12
	s_and_saveexec_b32 s21, s8
	s_cbranch_execz .LBB216_4257
; %bb.4252:                             ;   in Loop: Header=BB216_2083 Depth=1
	v_mov_b32_e32 v13, v9
	v_bfe_u32 v29, v101, 24, 7
	s_mov_b32 s22, exec_lo
	v_mov_b32_e32 v10, v13
	v_mov_b32_e32 v11, v14
	v_cmpx_ne_u32_e32 0x7f, v29
	s_cbranch_execz .LBB216_4256
; %bb.4253:                             ;   in Loop: Header=BB216_2083 Depth=1
	v_and_b32_sdwa v8, v101, v77 dst_sel:DWORD dst_unused:UNUSED_PAD src0_sel:BYTE_3 src1_sel:DWORD
	v_mov_b32_e32 v11, v9
	v_lshrrev_b32_e32 v13, 3, v29
	s_mov_b32 s23, exec_lo
	v_mov_b32_e32 v10, v8
	v_cmpx_gt_u32_e32 8, v29
; %bb.4254:                             ;   in Loop: Header=BB216_2083 Depth=1
	v_ffbh_u32_e32 v10, v8
	v_min_u32_e32 v13, 32, v10
	v_subrev_nc_u32_e32 v10, 28, v13
	v_sub_nc_u32_e32 v13, 29, v13
	v_lshlrev_b64 v[10:11], v10, v[8:9]
	v_and_b32_e32 v10, 7, v10
; %bb.4255:                             ;   in Loop: Header=BB216_2083 Depth=1
	s_or_b32 exec_lo, exec_lo, s23
	v_lshlrev_b32_sdwa v8, v78, v101 dst_sel:DWORD dst_unused:UNUSED_PAD src0_sel:DWORD src1_sel:BYTE_3
	v_lshlrev_b32_e32 v10, 20, v10
	v_lshl_add_u32 v11, v13, 23, 0x3c000000
	v_and_b32_e32 v8, 0x80000000, v8
	v_or3_b32 v11, v10, v8, v11
	v_mov_b32_e32 v10, v9
.LBB216_4256:                           ;   in Loop: Header=BB216_2083 Depth=1
	s_or_b32 exec_lo, exec_lo, s22
.LBB216_4257:                           ;   in Loop: Header=BB216_2083 Depth=1
	s_or_b32 exec_lo, exec_lo, s21
.LBB216_4258:                           ;   in Loop: Header=BB216_2083 Depth=1
	s_or_b32 exec_lo, exec_lo, s20
	v_or_b32_e32 v1, v18, v1
	v_or_b32_e32 v0, v17, v0
	;; [unrolled: 1-line block ×4, first 2 shown]
	v_mul_f32_e32 v10, v106, v1
	v_mul_f32_e32 v8, v106, v0
	;; [unrolled: 1-line block ×4, first 2 shown]
	s_and_saveexec_b32 s8, s7
	s_cbranch_execz .LBB216_2081
; %bb.4259:                             ;   in Loop: Header=BB216_2083 Depth=1
	v_cndmask_b32_e32 v8, 0, v8, vcc_lo
	v_cndmask_b32_e64 v10, 0, v10, s4
	v_cndmask_b32_e64 v1, 0, v1, s5
	;; [unrolled: 1-line block ×3, first 2 shown]
	s_branch .LBB216_2081
.LBB216_4260:
	s_or_b32 exec_lo, exec_lo, s18
	s_clause 0x39
	buffer_load_dword v112, off, s[0:3], s32 offset:1960
	buffer_load_dword v56, off, s[0:3], s32 offset:1964
	;; [unrolled: 1-line block ×58, first 2 shown]
.LBB216_4261:
	s_or_b32 exec_lo, exec_lo, s17
	s_waitcnt vmcnt(1)
	ds_bpermute_b32 v0, v112, v34
	s_waitcnt vmcnt(0)
	ds_bpermute_b32 v1, v112, v35
	ds_bpermute_b32 v2, v112, v6
	;; [unrolled: 1-line block ×4, first 2 shown]
	v_mov_b32_e32 v33, v6
	v_mov_b32_e32 v32, v5
	ds_bpermute_b32 v5, v112, v31
	ds_bpermute_b32 v6, v112, v30
	;; [unrolled: 1-line block ×8, first 2 shown]
	v_mov_b32_e32 v68, v18
	v_mov_b32_e32 v100, v19
	ds_bpermute_b32 v7, v112, v29
	ds_bpermute_b32 v10, v112, v24
	;; [unrolled: 1-line block ×3, first 2 shown]
	s_waitcnt lgkmcnt(15)
	v_add_f32_e32 v0, v34, v0
	s_waitcnt lgkmcnt(14)
	v_add_f32_e32 v1, v35, v1
	;; [unrolled: 2-line block ×5, first 2 shown]
	ds_bpermute_b32 v17, v28, v0
	ds_bpermute_b32 v18, v28, v1
	;; [unrolled: 1-line block ×3, first 2 shown]
	v_mov_b32_e32 v46, v20
	ds_bpermute_b32 v20, v28, v3
	ds_bpermute_b32 v13, v112, v21
	s_waitcnt lgkmcnt(15)
	v_add_f32_e32 v5, v31, v5
	s_waitcnt lgkmcnt(14)
	v_add_f32_e32 v6, v30, v6
	;; [unrolled: 2-line block ×8, first 2 shown]
	v_mov_b32_e32 v31, v21
	ds_bpermute_b32 v21, v28, v4
	ds_bpermute_b32 v22, v28, v5
	;; [unrolled: 1-line block ×5, first 2 shown]
	s_waitcnt lgkmcnt(9)
	v_add_f32_e32 v0, v0, v17
	s_waitcnt lgkmcnt(8)
	v_add_f32_e32 v1, v1, v18
	;; [unrolled: 2-line block ×3, first 2 shown]
	ds_bpermute_b32 v30, v28, v11
	s_waitcnt lgkmcnt(7)
	v_add_f32_e32 v18, v3, v20
	ds_bpermute_b32 v2, v27, v0
	ds_bpermute_b32 v19, v27, v1
	ds_bpermute_b32 v20, v27, v17
	ds_bpermute_b32 v32, v28, v12
	ds_bpermute_b32 v24, v28, v7
	ds_bpermute_b32 v29, v28, v10
	s_waitcnt lgkmcnt(12)
	v_add_f32_e32 v13, v31, v13
	ds_bpermute_b32 v31, v27, v18
	ds_bpermute_b32 v33, v112, v49
	;; [unrolled: 1-line block ×3, first 2 shown]
	s_waitcnt lgkmcnt(14)
	v_add_f32_e32 v4, v4, v21
	ds_bpermute_b32 v35, v28, v13
	s_waitcnt lgkmcnt(14)
	v_add_f32_e32 v5, v5, v22
	s_waitcnt lgkmcnt(13)
	v_add_f32_e32 v21, v6, v23
	s_waitcnt lgkmcnt(12)
	v_add_f32_e32 v8, v8, v25
	s_waitcnt lgkmcnt(11)
	v_add_f32_e32 v9, v9, v26
	v_add_f32_e32 v14, v46, v14
	v_add_f32_e32 v15, v100, v15
	s_waitcnt lgkmcnt(10)
	v_add_f32_e32 v23, v11, v30
	ds_bpermute_b32 v6, v27, v4
	s_waitcnt lgkmcnt(10)
	v_add_f32_e32 v3, v0, v2
	s_waitcnt lgkmcnt(9)
	v_add_f32_e32 v2, v1, v19
	;; [unrolled: 2-line block ×6, first 2 shown]
	ds_bpermute_b32 v11, v27, v5
	ds_bpermute_b32 v24, v27, v21
	s_waitcnt lgkmcnt(6)
	v_add_f32_e32 v0, v18, v31
	ds_bpermute_b32 v12, v27, v8
	ds_bpermute_b32 v18, v27, v9
	;; [unrolled: 1-line block ×4, first 2 shown]
	v_add_f32_e32 v16, v68, v16
	s_waitcnt lgkmcnt(9)
	v_add_f32_e32 v29, v49, v33
	ds_bpermute_b32 v31, v28, v14
	ds_bpermute_b32 v32, v28, v15
	ds_bpermute_b32 v25, v27, v22
	ds_bpermute_b32 v19, v27, v10
	s_waitcnt lgkmcnt(11)
	v_add_f32_e32 v13, v13, v35
	ds_bpermute_b32 v33, v28, v16
	ds_bpermute_b32 v35, v28, v29
	v_add_f32_e32 v34, v48, v34
	s_waitcnt lgkmcnt(12)
	v_add_f32_e32 v7, v4, v6
	ds_bpermute_b32 v30, v27, v13
	s_waitcnt lgkmcnt(0)
	s_waitcnt_vscnt null, 0x0
	v_add_f32_e32 v6, v5, v11
	v_add_f32_e32 v5, v21, v24
	ds_bpermute_b32 v21, v28, v34
	v_add_f32_e32 v12, v8, v12
	v_add_f32_e32 v11, v9, v18
	;; [unrolled: 1-line block ×4, first 2 shown]
	ds_bpermute_b32 v17, v112, v39
	ds_bpermute_b32 v18, v112, v36
	;; [unrolled: 1-line block ×3, first 2 shown]
	v_add_f32_e32 v14, v14, v31
	v_add_f32_e32 v15, v15, v32
	;; [unrolled: 1-line block ×4, first 2 shown]
	ds_bpermute_b32 v19, v112, v38
	v_add_f32_e32 v22, v16, v33
	v_add_f32_e32 v23, v29, v35
	ds_bpermute_b32 v16, v112, v50
	ds_bpermute_b32 v24, v27, v14
	;; [unrolled: 1-line block ×5, first 2 shown]
	v_add_f32_e32 v13, v13, v30
	ds_bpermute_b32 v26, v27, v22
	ds_bpermute_b32 v29, v27, v23
	;; [unrolled: 1-line block ×3, first 2 shown]
	s_waitcnt lgkmcnt(12)
	v_add_f32_e32 v21, v34, v21
	ds_bpermute_b32 v33, v112, v52
	s_waitcnt lgkmcnt(12)
	v_add_f32_e32 v35, v39, v17
	s_waitcnt lgkmcnt(11)
	v_add_f32_e32 v36, v36, v18
	;; [unrolled: 2-line block ×3, first 2 shown]
	ds_bpermute_b32 v37, v112, v51
	ds_bpermute_b32 v34, v27, v21
	s_barrier
	s_waitcnt lgkmcnt(11)
	v_add_f32_e32 v19, v38, v19
	ds_bpermute_b32 v38, v28, v35
	ds_bpermute_b32 v39, v28, v36
	;; [unrolled: 1-line block ×3, first 2 shown]
	s_waitcnt lgkmcnt(13)
	v_add_f32_e32 v50, v50, v16
	s_waitcnt lgkmcnt(12)
	v_add_f32_e32 v17, v14, v24
	s_waitcnt lgkmcnt(11)
	v_add_f32_e32 v16, v15, v25
	s_waitcnt lgkmcnt(10)
	v_add_f32_e32 v24, v54, v31
	s_waitcnt lgkmcnt(9)
	v_add_f32_e32 v25, v53, v32
	ds_bpermute_b32 v48, v28, v19
	s_waitcnt lgkmcnt(9)
	v_add_f32_e32 v15, v22, v26
	s_waitcnt lgkmcnt(8)
	v_add_f32_e32 v14, v23, v29
	ds_bpermute_b32 v22, v28, v50
	s_waitcnt lgkmcnt(8)
	v_add_f32_e32 v23, v55, v30
	ds_bpermute_b32 v29, v28, v24
	ds_bpermute_b32 v30, v28, v25
	s_waitcnt lgkmcnt(9)
	v_add_f32_e32 v26, v52, v33
	s_waitcnt lgkmcnt(8)
	v_add_f32_e32 v32, v51, v37
	;; [unrolled: 2-line block ×3, first 2 shown]
	ds_bpermute_b32 v21, v28, v23
	ds_bpermute_b32 v37, v112, v66
	;; [unrolled: 1-line block ×3, first 2 shown]
	s_waitcnt lgkmcnt(9)
	v_add_f32_e32 v33, v35, v38
	s_waitcnt lgkmcnt(8)
	v_add_f32_e32 v34, v36, v39
	;; [unrolled: 2-line block ×3, first 2 shown]
	ds_bpermute_b32 v20, v28, v32
	ds_bpermute_b32 v36, v112, v67
	;; [unrolled: 1-line block ×4, first 2 shown]
	s_waitcnt lgkmcnt(10)
	v_add_f32_e32 v19, v19, v48
	ds_bpermute_b32 v48, v27, v33
	ds_bpermute_b32 v49, v27, v34
	s_waitcnt lgkmcnt(11)
	v_add_f32_e32 v50, v50, v22
	ds_bpermute_b32 v22, v112, v69
	s_waitcnt lgkmcnt(11)
	v_add_f32_e32 v24, v24, v29
	s_waitcnt lgkmcnt(10)
	v_add_f32_e32 v29, v25, v30
	ds_bpermute_b32 v51, v27, v19
	ds_bpermute_b32 v52, v27, v35
	ds_bpermute_b32 v25, v27, v50
	ds_bpermute_b32 v53, v27, v24
	ds_bpermute_b32 v54, v27, v29
	s_waitcnt lgkmcnt(14)
	v_add_f32_e32 v23, v23, v21
	s_waitcnt lgkmcnt(12)
	v_add_f32_e32 v31, v26, v31
	v_add_f32_e32 v37, v66, v37
	s_waitcnt lgkmcnt(0)
	buffer_gl0_inv
	v_add_f32_e32 v32, v32, v20
	v_add_f32_e32 v36, v67, v36
	v_add_f32_e32 v38, v65, v38
	v_add_f32_e32 v39, v64, v39
	ds_bpermute_b32 v26, v27, v23
	ds_bpermute_b32 v55, v27, v31
	;; [unrolled: 1-line block ×7, first 2 shown]
	v_add_f32_e32 v69, v69, v22
	v_add_f32_e32 v22, v33, v48
	;; [unrolled: 1-line block ×5, first 2 shown]
	ds_bpermute_b32 v33, v28, v69
	v_add_f32_e32 v30, v50, v25
	v_add_f32_e32 v25, v24, v53
	;; [unrolled: 1-line block ×3, first 2 shown]
	ds_bpermute_b32 v29, v112, v81
	ds_bpermute_b32 v34, v112, v80
	ds_bpermute_b32 v35, v112, v71
	ds_bpermute_b32 v48, v112, v70
	s_waitcnt lgkmcnt(11)
	v_add_f32_e32 v26, v23, v26
	s_waitcnt lgkmcnt(10)
	v_add_f32_e32 v23, v31, v55
	;; [unrolled: 2-line block ×7, first 2 shown]
	ds_bpermute_b32 v39, v112, v87
	ds_bpermute_b32 v49, v27, v32
	;; [unrolled: 1-line block ×5, first 2 shown]
	s_waitcnt lgkmcnt(9)
	v_add_f32_e32 v53, v69, v33
	ds_bpermute_b32 v50, v27, v36
	ds_bpermute_b32 v51, v27, v37
	;; [unrolled: 1-line block ×3, first 2 shown]
	s_waitcnt lgkmcnt(11)
	v_add_f32_e32 v29, v81, v29
	s_waitcnt lgkmcnt(10)
	v_add_f32_e32 v67, v80, v34
	;; [unrolled: 2-line block ×3, first 2 shown]
	ds_bpermute_b32 v65, v112, v83
	ds_bpermute_b32 v66, v27, v53
	s_waitcnt lgkmcnt(10)
	v_add_f32_e32 v48, v70, v48
	ds_bpermute_b32 v69, v112, v82
	ds_bpermute_b32 v70, v28, v29
	;; [unrolled: 1-line block ×5, first 2 shown]
	s_waitcnt lgkmcnt(14)
	v_add_f32_e32 v39, v87, v39
	s_waitcnt lgkmcnt(13)
	v_add_f32_e32 v35, v32, v49
	s_load_dword s5, s[12:13], 0x0
	s_waitcnt lgkmcnt(0)
	v_add_f32_e32 v49, v85, v55
	v_add_f32_e32 v32, v38, v52
	;; [unrolled: 1-line block ×5, first 2 shown]
	ds_bpermute_b32 v37, v28, v39
	v_add_f32_e32 v50, v84, v64
	ds_bpermute_b32 v52, v28, v38
	s_mov_b32 s6, exec_lo
	v_add_f32_e32 v51, v83, v65
	v_add_f32_e32 v36, v53, v66
	ds_bpermute_b32 v53, v28, v49
	v_add_f32_e32 v64, v82, v69
	v_add_f32_e32 v29, v29, v70
	v_add_f32_e32 v65, v67, v71
	v_add_f32_e32 v66, v68, v80
	ds_bpermute_b32 v68, v112, v99
	ds_bpermute_b32 v69, v112, v98
	;; [unrolled: 1-line block ×6, first 2 shown]
	v_add_f32_e32 v67, v48, v81
	ds_bpermute_b32 v48, v28, v64
	ds_bpermute_b32 v81, v27, v65
	;; [unrolled: 1-line block ×4, first 2 shown]
	s_waitcnt lgkmcnt(12)
	v_add_f32_e32 v84, v39, v37
	s_waitcnt lgkmcnt(11)
	v_add_f32_e32 v52, v38, v52
	ds_bpermute_b32 v83, v27, v67
	ds_bpermute_b32 v37, v112, v101
	s_waitcnt lgkmcnt(12)
	v_add_f32_e32 v49, v49, v53
	v_cmp_eq_u32_e32 vcc_lo, 0, v56
	s_waitcnt lgkmcnt(11)
	v_add_f32_e32 v68, v99, v68
	s_waitcnt lgkmcnt(10)
	v_add_f32_e32 v69, v98, v69
	;; [unrolled: 2-line block ×6, first 2 shown]
	ds_bpermute_b32 v51, v27, v84
	ds_bpermute_b32 v55, v27, v52
	;; [unrolled: 1-line block ×3, first 2 shown]
	s_waitcnt lgkmcnt(8)
	v_add_f32_e32 v64, v64, v48
	ds_bpermute_b32 v97, v28, v68
	ds_bpermute_b32 v98, v28, v69
	;; [unrolled: 1-line block ×4, first 2 shown]
	s_waitcnt lgkmcnt(11)
	v_add_f32_e32 v39, v65, v81
	s_waitcnt lgkmcnt(10)
	v_add_f32_e32 v38, v66, v82
	ds_bpermute_b32 v65, v112, v45
	ds_bpermute_b32 v66, v112, v44
	;; [unrolled: 1-line block ×6, first 2 shown]
	s_waitcnt lgkmcnt(15)
	v_add_f32_e32 v48, v29, v80
	ds_bpermute_b32 v80, v112, v103
	s_waitcnt lgkmcnt(14)
	v_add_f32_e32 v101, v101, v37
	v_add_f32_e32 v37, v67, v83
	ds_bpermute_b32 v67, v112, v43
	s_waitcnt lgkmcnt(14)
	v_add_f32_e32 v53, v84, v51
	s_waitcnt lgkmcnt(13)
	v_add_f32_e32 v52, v52, v55
	;; [unrolled: 2-line block ×7, first 2 shown]
	ds_bpermute_b32 v29, v28, v101
	ds_bpermute_b32 v99, v112, v42
	s_waitcnt lgkmcnt(9)
	v_add_f32_e32 v84, v45, v65
	s_waitcnt lgkmcnt(8)
	v_add_f32_e32 v85, v44, v66
	;; [unrolled: 2-line block ×6, first 2 shown]
	ds_bpermute_b32 v64, v27, v55
	ds_bpermute_b32 v71, v27, v68
	;; [unrolled: 1-line block ×4, first 2 shown]
	s_waitcnt lgkmcnt(7)
	v_add_f32_e32 v80, v103, v80
	ds_bpermute_b32 v86, v28, v84
	ds_bpermute_b32 v87, v28, v85
	;; [unrolled: 1-line block ×4, first 2 shown]
	s_waitcnt lgkmcnt(10)
	v_add_f32_e32 v67, v43, v67
	ds_bpermute_b32 v97, v28, v80
	ds_bpermute_b32 v100, v112, v41
	s_waitcnt lgkmcnt(11)
	v_add_f32_e32 v29, v101, v29
	ds_bpermute_b32 v101, v112, v40
	ds_bpermute_b32 v96, v28, v67
	;; [unrolled: 1-line block ×3, first 2 shown]
	s_waitcnt lgkmcnt(12)
	v_add_f32_e32 v66, v55, v64
	s_waitcnt lgkmcnt(11)
	v_add_f32_e32 v65, v68, v71
	;; [unrolled: 2-line block ×4, first 2 shown]
	ds_bpermute_b32 v69, v112, v117
	ds_bpermute_b32 v70, v112, v116
	;; [unrolled: 1-line block ×5, first 2 shown]
	s_waitcnt lgkmcnt(13)
	v_add_f32_e32 v84, v84, v86
	s_waitcnt lgkmcnt(12)
	v_add_f32_e32 v86, v85, v87
	;; [unrolled: 2-line block ×6, first 2 shown]
	v_add_f32_e32 v81, v42, v99
	v_add_f32_e32 v85, v41, v100
	ds_bpermute_b32 v103, v28, v98
	v_add_f32_e32 v96, v40, v101
	s_waitcnt lgkmcnt(6)
	v_add_f32_e32 v97, v119, v102
	ds_bpermute_b32 v99, v28, v81
	ds_bpermute_b32 v100, v28, v85
	;; [unrolled: 1-line block ×4, first 2 shown]
	s_waitcnt lgkmcnt(9)
	v_add_f32_e32 v69, v117, v69
	s_waitcnt lgkmcnt(8)
	v_add_f32_e32 v70, v116, v70
	s_waitcnt lgkmcnt(7)
	v_add_f32_e32 v71, v115, v71
	s_waitcnt lgkmcnt(6)
	v_add_f32_e32 v82, v114, v82
	s_waitcnt lgkmcnt(5)
	v_add_f32_e32 v83, v113, v83
	ds_bpermute_b32 v102, v28, v97
	ds_bpermute_b32 v112, v28, v69
	;; [unrolled: 1-line block ×8, first 2 shown]
	s_waitcnt lgkmcnt(12)
	v_add_f32_e32 v98, v98, v103
	ds_bpermute_b32 v40, v27, v87
	ds_bpermute_b32 v68, v27, v29
	s_waitcnt lgkmcnt(13)
	v_add_f32_e32 v99, v81, v99
	s_waitcnt lgkmcnt(12)
	v_add_f32_e32 v100, v85, v100
	ds_bpermute_b32 v42, v27, v98
	s_waitcnt lgkmcnt(11)
	v_add_f32_e32 v96, v96, v101
	ds_bpermute_b32 v116, v27, v84
	ds_bpermute_b32 v101, v27, v99
	;; [unrolled: 1-line block ×3, first 2 shown]
	s_waitcnt lgkmcnt(13)
	v_add_f32_e32 v97, v97, v102
	s_waitcnt lgkmcnt(12)
	v_add_f32_e32 v112, v69, v112
	;; [unrolled: 2-line block ×7, first 2 shown]
	buffer_load_dword v86, off, s[0:3], s32 offset:2120 ; 4-byte Folded Reload
	v_add_f32_e32 v82, v67, v118
	s_waitcnt lgkmcnt(6)
	v_add_f32_e32 v81, v80, v119
	s_waitcnt lgkmcnt(5)
	v_add_f32_e32 v80, v87, v40
	buffer_load_dword v87, off, s[0:3], s32 offset:2124 ; 4-byte Folded Reload
	ds_bpermute_b32 v102, v27, v100
	s_waitcnt lgkmcnt(4)
	v_add_f32_e32 v67, v98, v42
	buffer_load_dword v98, off, s[0:3], s32 offset:3188 ; 4-byte Folded Reload
	ds_bpermute_b32 v41, v27, v97
	ds_bpermute_b32 v28, v27, v112
	;; [unrolled: 1-line block ×6, first 2 shown]
	s_waitcnt lgkmcnt(7)
	v_add_f32_e32 v69, v96, v103
	v_add_f32_e32 v85, v29, v68
	;; [unrolled: 1-line block ×4, first 2 shown]
	s_waitcnt lgkmcnt(6)
	v_add_f32_e32 v70, v100, v102
	s_waitcnt lgkmcnt(5)
	v_add_f32_e32 v68, v97, v41
	;; [unrolled: 2-line block ×5, first 2 shown]
	s_waitcnt vmcnt(2)
	v_lshrrev_b32_e32 v96, 3, v86
	s_waitcnt lgkmcnt(1)
	v_add_f32_e32 v86, v115, v46
	s_waitcnt vmcnt(1)
	v_and_b32_e32 v99, 0x3c0, v87
	s_waitcnt lgkmcnt(0)
	v_add_f32_e32 v87, v43, v47
	v_lshl_add_u32 v97, v96, 2, s5
	s_waitcnt vmcnt(0)
	v_lshlrev_b32_e32 v98, 10, v98
	v_cmpx_eq_u32_e32 64, v99
	s_cbranch_execz .LBB216_4264
; %bb.4262:
	s_and_b32 exec_lo, exec_lo, vcc_lo
	s_cbranch_execz .LBB216_4264
; %bb.4263:
	v_add_nc_u32_e32 v99, v97, v98
	v_add_nc_u32_e32 v100, 0xfffff800, v99
	;; [unrolled: 1-line block ×7, first 2 shown]
	ds_write_b32 v100, v3
	ds_write_b32 v101, v2
	;; [unrolled: 1-line block ×4, first 2 shown]
	v_add_nc_u32_e32 v100, 0xfffff860, v99
	v_add_nc_u32_e32 v101, 0xfffff870, v99
	v_add_nc_u32_e32 v102, 0xfffff880, v99
	ds_write_b32 v112, v7
	ds_write_b32 v113, v6
	ds_write_b32 v100, v5
	ds_write_b32 v101, v4
	ds_write_b32 v102, v12
	v_add_nc_u32_e32 v100, 0xfffff890, v99
	v_add_nc_u32_e32 v101, 0xfffff8a0, v99
	v_add_nc_u32_e32 v102, 0xfffff8b0, v99
	v_add_nc_u32_e32 v103, 0xfffff8c0, v99
	v_add_nc_u32_e32 v112, 0xfffff8d0, v99
	ds_write_b32 v100, v11
	ds_write_b32 v101, v10
	ds_write_b32 v102, v9
	ds_write_b32 v103, v8
	ds_write_b32 v112, v13
	v_add_nc_u32_e32 v100, 0xfffff8e0, v99
	v_add_nc_u32_e32 v101, 0xfffff8f0, v99
	;; [unrolled: 10-line block ×11, first 2 shown]
	v_add_nc_u32_e32 v102, 0xfffffbd0, v99
	v_add_nc_u32_e32 v103, 0xfffffbe0, v99
	;; [unrolled: 1-line block ×3, first 2 shown]
	ds_write_b32 v100, v29
	ds_write_b32 v101, v28
	;; [unrolled: 1-line block ×5, first 2 shown]
.LBB216_4264:
	s_or_b32 exec_lo, exec_lo, s6
	buffer_load_dword v99, off, s[0:3], s32 offset:2124 ; 4-byte Folded Reload
	v_lshlrev_b32_e32 v96, 2, v96
	s_waitcnt vmcnt(0) lgkmcnt(0)
	s_barrier
	buffer_gl0_inv
	v_add3_u32 v96, s5, v98, v96
	s_mov_b32 s5, exec_lo
	v_and_b32_e32 v99, 0x3c7, v99
	v_cmpx_eq_u32_e32 0, v99
	s_cbranch_execz .LBB216_4266
; %bb.4265:
	ds_read2_b32 v[98:99], v96 offset1:4
	ds_read2_b32 v[100:101], v96 offset0:8 offset1:12
	ds_read2_b32 v[102:103], v96 offset0:16 offset1:20
	ds_read2_b32 v[112:113], v96 offset0:24 offset1:28
	ds_read2_b32 v[114:115], v96 offset0:32 offset1:36
	ds_read2_b32 v[116:117], v96 offset0:40 offset1:44
	ds_read2_b32 v[118:119], v96 offset0:48 offset1:52
	ds_read2_b32 v[40:41], v96 offset0:56 offset1:60
	ds_read2_b32 v[42:43], v96 offset0:64 offset1:68
	ds_read2_b32 v[44:45], v96 offset0:72 offset1:76
	ds_read2_b32 v[46:47], v96 offset0:80 offset1:84
	ds_read2_b32 v[56:57], v96 offset0:88 offset1:92
	s_waitcnt lgkmcnt(11)
	v_add_f32_e32 v3, v98, v3
	v_add_f32_e32 v2, v99, v2
	s_waitcnt lgkmcnt(10)
	v_add_f32_e32 v1, v100, v1
	v_add_f32_e32 v0, v101, v0
	ds_read2_b32 v[98:99], v96 offset0:96 offset1:100
	ds_read2_b32 v[100:101], v96 offset0:104 offset1:108
	s_waitcnt lgkmcnt(11)
	v_add_f32_e32 v7, v102, v7
	v_add_f32_e32 v6, v103, v6
	s_waitcnt lgkmcnt(10)
	v_add_f32_e32 v5, v112, v5
	v_add_f32_e32 v4, v113, v4
	;; [unrolled: 3-line block ×5, first 2 shown]
	ds_read2_b32 v[102:103], v96 offset0:112 offset1:116
	ds_read2_b32 v[112:113], v96 offset0:120 offset1:124
	;; [unrolled: 1-line block ×5, first 2 shown]
	s_waitcnt lgkmcnt(11)
	v_add_f32_e32 v17, v40, v17
	v_add_f32_e32 v16, v41, v16
	s_waitcnt lgkmcnt(10)
	v_add_f32_e32 v15, v42, v15
	s_waitcnt lgkmcnt(6)
	v_add_f32_e32 v26, v98, v26
	v_add_f32_e32 v25, v99, v25
	ds_read2_b32 v[98:99], v96 offset0:152 offset1:156
	s_waitcnt lgkmcnt(6)
	v_add_f32_e32 v24, v100, v24
	v_add_f32_e32 v23, v101, v23
	ds_read2_b32 v[100:101], v96 offset0:160 offset1:164
	v_add_f32_e32 v14, v43, v14
	v_add_f32_e32 v18, v44, v18
	v_add_f32_e32 v22, v45, v22
	v_add_f32_e32 v21, v46, v21
	v_add_f32_e32 v20, v47, v20
	ds_read2_b32 v[40:41], v96 offset0:200 offset1:204
	s_waitcnt lgkmcnt(7)
	v_add_f32_e32 v31, v102, v31
	v_add_f32_e32 v35, v103, v35
	s_waitcnt lgkmcnt(6)
	v_add_f32_e32 v34, v112, v34
	v_add_f32_e32 v33, v113, v33
	ds_read2_b32 v[102:103], v96 offset0:168 offset1:172
	s_waitcnt lgkmcnt(6)
	v_add_f32_e32 v32, v114, v32
	v_add_f32_e32 v36, v115, v36
	ds_read2_b32 v[112:113], v96 offset0:176 offset1:180
	s_waitcnt lgkmcnt(6)
	v_add_f32_e32 v48, v116, v48
	ds_read2_b32 v[114:115], v96 offset0:184 offset1:188
	v_add_f32_e32 v39, v117, v39
	ds_read2_b32 v[116:117], v96 offset0:192 offset1:196
	s_waitcnt lgkmcnt(7)
	v_add_f32_e32 v38, v118, v38
	v_add_f32_e32 v37, v119, v37
	ds_read2_b32 v[118:119], v96 offset0:208 offset1:212
	s_waitcnt lgkmcnt(7)
	v_add_f32_e32 v53, v98, v53
	ds_read2_b32 v[42:43], v96 offset0:216 offset1:220
	v_add_f32_e32 v52, v99, v52
	ds_read2_b32 v[98:99], v96 offset0:224 offset1:228
	s_waitcnt lgkmcnt(8)
	v_add_f32_e32 v51, v100, v51
	ds_read2_b32 v[44:45], v96 offset0:232 offset1:236
	v_add_f32_e32 v50, v101, v50
	ds_read2_b32 v[100:101], v96 offset0:240 offset1:244
	ds_read2_b32 v[46:47], v96 offset0:248 offset1:252
	v_add_f32_e32 v19, v56, v19
	v_add_f32_e32 v30, v57, v30
	s_waitcnt lgkmcnt(9)
	v_add_f32_e32 v49, v102, v49
	v_add_f32_e32 v54, v103, v54
	s_waitcnt lgkmcnt(8)
	;; [unrolled: 3-line block ×4, first 2 shown]
	v_add_f32_e32 v85, v116, v85
	v_add_f32_e32 v84, v117, v84
	;; [unrolled: 1-line block ×4, first 2 shown]
	s_waitcnt lgkmcnt(5)
	v_add_f32_e32 v81, v118, v81
	v_add_f32_e32 v80, v119, v80
	s_waitcnt lgkmcnt(4)
	v_add_f32_e32 v71, v42, v71
	v_add_f32_e32 v70, v43, v70
	;; [unrolled: 3-line block ×6, first 2 shown]
.LBB216_4266:
	s_or_b32 exec_lo, exec_lo, s5
	buffer_load_dword v98, off, s[0:3], s32 offset:2124 ; 4-byte Folded Reload
	s_mov_b32 s5, exec_lo
	s_waitcnt vmcnt(0)
	s_barrier
	buffer_gl0_inv
	v_and_b32_e32 v98, 0x3e7, v98
	v_cmpx_eq_u32_e32 32, v98
	s_cbranch_execz .LBB216_4268
; %bb.4267:
	ds_write2_b32 v97, v3, v2 offset1:4
	ds_write2_b32 v97, v1, v0 offset0:8 offset1:12
	ds_write2_b32 v97, v7, v6 offset0:16 offset1:20
	;; [unrolled: 1-line block ×31, first 2 shown]
.LBB216_4268:
	s_or_b32 exec_lo, exec_lo, s5
	s_mov_b32 s5, exec_lo
	s_waitcnt lgkmcnt(0)
	s_barrier
	buffer_gl0_inv
	v_cmpx_eq_u32_e32 0, v98
	s_cbranch_execz .LBB216_4270
; %bb.4269:
	ds_read2_b32 v[97:98], v96 offset1:4
	ds_read2_b32 v[99:100], v96 offset0:8 offset1:12
	ds_read2_b32 v[101:102], v96 offset0:16 offset1:20
	;; [unrolled: 1-line block ×11, first 2 shown]
	s_waitcnt lgkmcnt(11)
	v_add_f32_e32 v3, v97, v3
	v_add_f32_e32 v2, v98, v2
	s_waitcnt lgkmcnt(10)
	v_add_f32_e32 v1, v99, v1
	v_add_f32_e32 v0, v100, v0
	ds_read2_b32 v[97:98], v96 offset0:96 offset1:100
	ds_read2_b32 v[99:100], v96 offset0:104 offset1:108
	s_waitcnt lgkmcnt(11)
	v_add_f32_e32 v7, v101, v7
	v_add_f32_e32 v6, v102, v6
	s_waitcnt lgkmcnt(10)
	v_add_f32_e32 v5, v112, v5
	v_add_f32_e32 v4, v113, v4
	;; [unrolled: 3-line block ×5, first 2 shown]
	ds_read2_b32 v[101:102], v96 offset0:112 offset1:116
	ds_read2_b32 v[112:113], v96 offset0:120 offset1:124
	ds_read2_b32 v[114:115], v96 offset0:128 offset1:132
	ds_read2_b32 v[116:117], v96 offset0:136 offset1:140
	ds_read2_b32 v[118:119], v96 offset0:144 offset1:148
	s_waitcnt lgkmcnt(11)
	v_add_f32_e32 v17, v40, v17
	v_add_f32_e32 v16, v41, v16
	s_waitcnt lgkmcnt(10)
	v_add_f32_e32 v15, v42, v15
	s_waitcnt lgkmcnt(6)
	v_add_f32_e32 v26, v97, v26
	v_add_f32_e32 v25, v98, v25
	ds_read2_b32 v[97:98], v96 offset0:152 offset1:156
	s_waitcnt lgkmcnt(6)
	v_add_f32_e32 v24, v99, v24
	v_add_f32_e32 v23, v100, v23
	ds_read2_b32 v[99:100], v96 offset0:160 offset1:164
	v_add_f32_e32 v14, v43, v14
	v_add_f32_e32 v18, v44, v18
	;; [unrolled: 1-line block ×5, first 2 shown]
	ds_read2_b32 v[40:41], v96 offset0:200 offset1:204
	s_waitcnt lgkmcnt(7)
	v_add_f32_e32 v31, v101, v31
	v_add_f32_e32 v35, v102, v35
	s_waitcnt lgkmcnt(6)
	v_add_f32_e32 v34, v112, v34
	v_add_f32_e32 v33, v113, v33
	ds_read2_b32 v[101:102], v96 offset0:168 offset1:172
	s_waitcnt lgkmcnt(6)
	v_add_f32_e32 v32, v114, v32
	v_add_f32_e32 v36, v115, v36
	ds_read2_b32 v[112:113], v96 offset0:176 offset1:180
	s_waitcnt lgkmcnt(6)
	v_add_f32_e32 v48, v116, v48
	ds_read2_b32 v[114:115], v96 offset0:184 offset1:188
	v_add_f32_e32 v39, v117, v39
	ds_read2_b32 v[116:117], v96 offset0:192 offset1:196
	s_waitcnt lgkmcnt(7)
	v_add_f32_e32 v38, v118, v38
	v_add_f32_e32 v37, v119, v37
	ds_read2_b32 v[118:119], v96 offset0:208 offset1:212
	s_waitcnt lgkmcnt(7)
	v_add_f32_e32 v53, v97, v53
	ds_read2_b32 v[42:43], v96 offset0:216 offset1:220
	v_add_f32_e32 v52, v98, v52
	ds_read2_b32 v[97:98], v96 offset0:224 offset1:228
	s_waitcnt lgkmcnt(8)
	v_add_f32_e32 v51, v99, v51
	ds_read2_b32 v[44:45], v96 offset0:232 offset1:236
	v_add_f32_e32 v50, v100, v50
	ds_read2_b32 v[99:100], v96 offset0:240 offset1:244
	ds_read2_b32 v[46:47], v96 offset0:248 offset1:252
	v_add_f32_e32 v19, v56, v19
	v_add_f32_e32 v30, v57, v30
	s_waitcnt lgkmcnt(9)
	v_add_f32_e32 v49, v101, v49
	v_add_f32_e32 v54, v102, v54
	s_waitcnt lgkmcnt(8)
	;; [unrolled: 3-line block ×4, first 2 shown]
	v_add_f32_e32 v85, v116, v85
	v_add_f32_e32 v84, v117, v84
	;; [unrolled: 1-line block ×4, first 2 shown]
	s_waitcnt lgkmcnt(5)
	v_add_f32_e32 v81, v118, v81
	v_add_f32_e32 v80, v119, v80
	s_waitcnt lgkmcnt(4)
	v_add_f32_e32 v71, v42, v71
	v_add_f32_e32 v70, v43, v70
	;; [unrolled: 3-line block ×6, first 2 shown]
.LBB216_4270:
	s_or_b32 exec_lo, exec_lo, s5
	buffer_load_dword v96, off, s[0:3], s32 offset:2124 ; 4-byte Folded Reload
	s_mov_b32 s5, exec_lo
	s_waitcnt vmcnt(0)
	s_barrier
	buffer_gl0_inv
	v_cmpx_gt_u32_e32 32, v96
	s_cbranch_execz .LBB216_4273
; %bb.4271:
	s_and_b32 exec_lo, exec_lo, vcc_lo
	s_cbranch_execz .LBB216_4273
; %bb.4272:
	s_clause 0x2
	buffer_load_dword v97, off, s[0:3], s32 offset:3240
	buffer_load_dword v96, off, s[0:3], s32 offset:2124
	;; [unrolled: 1-line block ×3, first 2 shown]
	s_and_b32 s4, 0xffff, s15
	s_cmp_lg_u32 s4, 0
	s_cselect_b32 s4, -1, 0
	s_cmp_lg_u32 s4, 0
	s_addc_u32 s4, s9, 0
	s_lshl_b32 s6, s14, 8
	s_mul_i32 s7, s10, s4
	s_mul_i32 s8, s16, s4
	;; [unrolled: 1-line block ×3, first 2 shown]
	s_ashr_i32 s9, s8, 31
	s_lshl_b32 s10, s7, 8
	s_lshl_b64 s[8:9], s[8:9], 2
	s_ashr_i32 s11, s10, 31
	s_ashr_i32 s7, s6, 31
	s_lshl_b64 s[10:11], s[10:11], 2
	s_lshl_b64 s[6:7], s[6:7], 2
	s_waitcnt vmcnt(2)
	v_add_co_u32 v97, vcc_lo, v97, s10
	s_waitcnt vmcnt(0)
	v_add_co_ci_u32_e64 v98, null, s11, v98, vcc_lo
	v_lshrrev_b32_e32 v96, 1, v96
	v_add_co_u32 v97, vcc_lo, v97, s8
	v_add_co_ci_u32_e64 v98, null, s9, v98, vcc_lo
	v_and_b32_e32 v96, 0x1fc, v96
	v_add_co_u32 v97, vcc_lo, v97, s6
	v_add_co_ci_u32_e64 v98, null, s7, v98, vcc_lo
	v_add_co_u32 v96, vcc_lo, v97, v96
	v_add_co_ci_u32_e64 v97, null, 0, v98, vcc_lo
	flat_store_dword v[96:97], v3
	flat_store_dword v[96:97], v2 offset:16
	flat_store_dword v[96:97], v1 offset:32
	;; [unrolled: 1-line block ×63, first 2 shown]
.LBB216_4273:
	s_or_b32 exec_lo, exec_lo, s5
	s_clause 0x2f
	buffer_load_dword v127, off, s[0:3], s32
	buffer_load_dword v126, off, s[0:3], s32 offset:4
	buffer_load_dword v125, off, s[0:3], s32 offset:8
	;; [unrolled: 1-line block ×47, first 2 shown]
	s_waitcnt vmcnt(0) lgkmcnt(0)
	s_setpc_b64 s[30:31]
.Lfunc_end216:
	.size	_ZN4vllm22paged_attention_kernelIfhLi256ELi32ELi128ELNS_18Fp8KVCacheDataTypeE1ELb1ELi0EEEvPfS2_PT_PKS3_PKT0_S9_ifPKiSB_iPKfiiiSD_SD_iiiii, .Lfunc_end216-_ZN4vllm22paged_attention_kernelIfhLi256ELi32ELi128ELNS_18Fp8KVCacheDataTypeE1ELb1ELi0EEEvPfS2_PT_PKS3_PKT0_S9_ifPKiSB_iPKfiiiSD_SD_iiiii
                                        ; -- End function
	.set .L_ZN4vllm22paged_attention_kernelIfhLi256ELi32ELi128ELNS_18Fp8KVCacheDataTypeE1ELb1ELi0EEEvPfS2_PT_PKS3_PKT0_S9_ifPKiSB_iPKfiiiSD_SD_iiiii.num_vgpr, 128
	.set .L_ZN4vllm22paged_attention_kernelIfhLi256ELi32ELi128ELNS_18Fp8KVCacheDataTypeE1ELb1ELi0EEEvPfS2_PT_PKS3_PKT0_S9_ifPKiSB_iPKfiiiSD_SD_iiiii.num_agpr, 0
	.set .L_ZN4vllm22paged_attention_kernelIfhLi256ELi32ELi128ELNS_18Fp8KVCacheDataTypeE1ELb1ELi0EEEvPfS2_PT_PKS3_PKT0_S9_ifPKiSB_iPKfiiiSD_SD_iiiii.numbered_sgpr, 33
	.set .L_ZN4vllm22paged_attention_kernelIfhLi256ELi32ELi128ELNS_18Fp8KVCacheDataTypeE1ELb1ELi0EEEvPfS2_PT_PKS3_PKT0_S9_ifPKiSB_iPKfiiiSD_SD_iiiii.num_named_barrier, 0
	.set .L_ZN4vllm22paged_attention_kernelIfhLi256ELi32ELi128ELNS_18Fp8KVCacheDataTypeE1ELb1ELi0EEEvPfS2_PT_PKS3_PKT0_S9_ifPKiSB_iPKfiiiSD_SD_iiiii.private_seg_size, 3252
	.set .L_ZN4vllm22paged_attention_kernelIfhLi256ELi32ELi128ELNS_18Fp8KVCacheDataTypeE1ELb1ELi0EEEvPfS2_PT_PKS3_PKT0_S9_ifPKiSB_iPKfiiiSD_SD_iiiii.uses_vcc, 1
	.set .L_ZN4vllm22paged_attention_kernelIfhLi256ELi32ELi128ELNS_18Fp8KVCacheDataTypeE1ELb1ELi0EEEvPfS2_PT_PKS3_PKT0_S9_ifPKiSB_iPKfiiiSD_SD_iiiii.uses_flat_scratch, 0
	.set .L_ZN4vllm22paged_attention_kernelIfhLi256ELi32ELi128ELNS_18Fp8KVCacheDataTypeE1ELb1ELi0EEEvPfS2_PT_PKS3_PKT0_S9_ifPKiSB_iPKfiiiSD_SD_iiiii.has_dyn_sized_stack, 0
	.set .L_ZN4vllm22paged_attention_kernelIfhLi256ELi32ELi128ELNS_18Fp8KVCacheDataTypeE1ELb1ELi0EEEvPfS2_PT_PKS3_PKT0_S9_ifPKiSB_iPKfiiiSD_SD_iiiii.has_recursion, 0
	.set .L_ZN4vllm22paged_attention_kernelIfhLi256ELi32ELi128ELNS_18Fp8KVCacheDataTypeE1ELb1ELi0EEEvPfS2_PT_PKS3_PKT0_S9_ifPKiSB_iPKfiiiSD_SD_iiiii.has_indirect_call, 0
	.section	.AMDGPU.csdata,"",@progbits
; Function info:
; codeLenInByte = 166416
; TotalNumSgprs: 35
; NumVgprs: 128
; ScratchSize: 3252
; MemoryBound: 0
	.section	.text._ZN4vllm25paged_attention_v1_kernelIfhLi256ELi32ELi128ELNS_18Fp8KVCacheDataTypeE1ELb1EEEvPT_PKS2_PKT0_S8_ifPKiSA_iPKfiiiSC_SC_iiiii,"axG",@progbits,_ZN4vllm25paged_attention_v1_kernelIfhLi256ELi32ELi128ELNS_18Fp8KVCacheDataTypeE1ELb1EEEvPT_PKS2_PKT0_S8_ifPKiSA_iPKfiiiSC_SC_iiiii,comdat
	.protected	_ZN4vllm25paged_attention_v1_kernelIfhLi256ELi32ELi128ELNS_18Fp8KVCacheDataTypeE1ELb1EEEvPT_PKS2_PKT0_S8_ifPKiSA_iPKfiiiSC_SC_iiiii ; -- Begin function _ZN4vllm25paged_attention_v1_kernelIfhLi256ELi32ELi128ELNS_18Fp8KVCacheDataTypeE1ELb1EEEvPT_PKS2_PKT0_S8_ifPKiSA_iPKfiiiSC_SC_iiiii
	.globl	_ZN4vllm25paged_attention_v1_kernelIfhLi256ELi32ELi128ELNS_18Fp8KVCacheDataTypeE1ELb1EEEvPT_PKS2_PKT0_S8_ifPKiSA_iPKfiiiSC_SC_iiiii
	.p2align	8
	.type	_ZN4vllm25paged_attention_v1_kernelIfhLi256ELi32ELi128ELNS_18Fp8KVCacheDataTypeE1ELb1EEEvPT_PKS2_PKT0_S8_ifPKiSA_iPKfiiiSC_SC_iiiii,@function
_ZN4vllm25paged_attention_v1_kernelIfhLi256ELi32ELi128ELNS_18Fp8KVCacheDataTypeE1ELb1EEEvPT_PKS2_PKT0_S8_ifPKiSA_iPKfiiiSC_SC_iiiii: ; @_ZN4vllm25paged_attention_v1_kernelIfhLi256ELi32ELi128ELNS_18Fp8KVCacheDataTypeE1ELb1EEEvPT_PKS2_PKT0_S8_ifPKiSA_iPKfiiiSC_SC_iiiii
; %bb.0:
	s_clause 0x7
	s_load_dwordx8 s[16:23], s[4:5], 0x0
	s_load_dwordx4 s[36:39], s[4:5], 0x20
	s_load_dwordx2 s[10:11], s[4:5], 0x30
	s_load_dword s13, s[4:5], 0x38
	s_load_dwordx2 s[34:35], s[4:5], 0x40
	s_load_dwordx8 s[24:31], s[4:5], 0x48
	s_load_dword s15, s[4:5], 0x78
	s_load_dwordx4 s[40:43], s[4:5], 0x68
	s_add_u32 s0, s0, s9
	s_addc_u32 s1, s1, 0
	v_mov_b32_e32 v31, v0
	s_mov_b32 s14, s8
	s_add_u32 s8, s4, 0x80
	s_addc_u32 s9, s5, 0
	s_getpc_b64 s[4:5]
	s_add_u32 s4, s4, _ZN4vllm22paged_attention_kernelIfhLi256ELi32ELi128ELNS_18Fp8KVCacheDataTypeE1ELb1ELi0EEEvPfS2_PT_PKS3_PKT0_S9_ifPKiSB_iPKfiiiSD_SD_iiiii@rel32@lo+4
	s_addc_u32 s5, s5, _ZN4vllm22paged_attention_kernelIfhLi256ELi32ELi128ELNS_18Fp8KVCacheDataTypeE1ELb1ELi0EEEvPfS2_PT_PKS3_PKT0_S9_ifPKiSB_iPKfiiiSD_SD_iiiii@rel32@hi+12
	s_mov_b32 s12, s6
	s_mov_b32 s32, 0
	s_waitcnt lgkmcnt(0)
	v_mov_b32_e32 v0, s16
	v_mov_b32_e32 v1, s17
	;; [unrolled: 1-line block ×29, first 2 shown]
	s_mov_b32 s13, s7
	s_mov_b32 s15, 29
	s_swappc_b64 s[30:31], s[4:5]
	s_endpgm
	.section	.rodata,"a",@progbits
	.p2align	6, 0x0
	.amdhsa_kernel _ZN4vllm25paged_attention_v1_kernelIfhLi256ELi32ELi128ELNS_18Fp8KVCacheDataTypeE1ELb1EEEvPT_PKS2_PKT0_S8_ifPKiSA_iPKfiiiSC_SC_iiiii
		.amdhsa_group_segment_fixed_size 1056
		.amdhsa_private_segment_fixed_size 3252
		.amdhsa_kernarg_size 384
		.amdhsa_user_sgpr_count 6
		.amdhsa_user_sgpr_private_segment_buffer 1
		.amdhsa_user_sgpr_dispatch_ptr 0
		.amdhsa_user_sgpr_queue_ptr 0
		.amdhsa_user_sgpr_kernarg_segment_ptr 1
		.amdhsa_user_sgpr_dispatch_id 0
		.amdhsa_user_sgpr_flat_scratch_init 0
		.amdhsa_user_sgpr_private_segment_size 0
		.amdhsa_wavefront_size32 1
		.amdhsa_uses_dynamic_stack 0
		.amdhsa_system_sgpr_private_segment_wavefront_offset 1
		.amdhsa_system_sgpr_workgroup_id_x 1
		.amdhsa_system_sgpr_workgroup_id_y 1
		.amdhsa_system_sgpr_workgroup_id_z 1
		.amdhsa_system_sgpr_workgroup_info 0
		.amdhsa_system_vgpr_workitem_id 0
		.amdhsa_next_free_vgpr 128
		.amdhsa_next_free_sgpr 44
		.amdhsa_reserve_vcc 1
		.amdhsa_reserve_flat_scratch 0
		.amdhsa_float_round_mode_32 0
		.amdhsa_float_round_mode_16_64 0
		.amdhsa_float_denorm_mode_32 3
		.amdhsa_float_denorm_mode_16_64 3
		.amdhsa_dx10_clamp 1
		.amdhsa_ieee_mode 1
		.amdhsa_fp16_overflow 0
		.amdhsa_workgroup_processor_mode 1
		.amdhsa_memory_ordered 1
		.amdhsa_forward_progress 1
		.amdhsa_shared_vgpr_count 0
		.amdhsa_exception_fp_ieee_invalid_op 0
		.amdhsa_exception_fp_denorm_src 0
		.amdhsa_exception_fp_ieee_div_zero 0
		.amdhsa_exception_fp_ieee_overflow 0
		.amdhsa_exception_fp_ieee_underflow 0
		.amdhsa_exception_fp_ieee_inexact 0
		.amdhsa_exception_int_div_zero 0
	.end_amdhsa_kernel
	.section	.text._ZN4vllm25paged_attention_v1_kernelIfhLi256ELi32ELi128ELNS_18Fp8KVCacheDataTypeE1ELb1EEEvPT_PKS2_PKT0_S8_ifPKiSA_iPKfiiiSC_SC_iiiii,"axG",@progbits,_ZN4vllm25paged_attention_v1_kernelIfhLi256ELi32ELi128ELNS_18Fp8KVCacheDataTypeE1ELb1EEEvPT_PKS2_PKT0_S8_ifPKiSA_iPKfiiiSC_SC_iiiii,comdat
.Lfunc_end217:
	.size	_ZN4vllm25paged_attention_v1_kernelIfhLi256ELi32ELi128ELNS_18Fp8KVCacheDataTypeE1ELb1EEEvPT_PKS2_PKT0_S8_ifPKiSA_iPKfiiiSC_SC_iiiii, .Lfunc_end217-_ZN4vllm25paged_attention_v1_kernelIfhLi256ELi32ELi128ELNS_18Fp8KVCacheDataTypeE1ELb1EEEvPT_PKS2_PKT0_S8_ifPKiSA_iPKfiiiSC_SC_iiiii
                                        ; -- End function
	.set _ZN4vllm25paged_attention_v1_kernelIfhLi256ELi32ELi128ELNS_18Fp8KVCacheDataTypeE1ELb1EEEvPT_PKS2_PKT0_S8_ifPKiSA_iPKfiiiSC_SC_iiiii.num_vgpr, max(32, .L_ZN4vllm22paged_attention_kernelIfhLi256ELi32ELi128ELNS_18Fp8KVCacheDataTypeE1ELb1ELi0EEEvPfS2_PT_PKS3_PKT0_S9_ifPKiSB_iPKfiiiSD_SD_iiiii.num_vgpr)
	.set _ZN4vllm25paged_attention_v1_kernelIfhLi256ELi32ELi128ELNS_18Fp8KVCacheDataTypeE1ELb1EEEvPT_PKS2_PKT0_S8_ifPKiSA_iPKfiiiSC_SC_iiiii.num_agpr, max(0, .L_ZN4vllm22paged_attention_kernelIfhLi256ELi32ELi128ELNS_18Fp8KVCacheDataTypeE1ELb1ELi0EEEvPfS2_PT_PKS3_PKT0_S9_ifPKiSB_iPKfiiiSD_SD_iiiii.num_agpr)
	.set _ZN4vllm25paged_attention_v1_kernelIfhLi256ELi32ELi128ELNS_18Fp8KVCacheDataTypeE1ELb1EEEvPT_PKS2_PKT0_S8_ifPKiSA_iPKfiiiSC_SC_iiiii.numbered_sgpr, max(44, .L_ZN4vllm22paged_attention_kernelIfhLi256ELi32ELi128ELNS_18Fp8KVCacheDataTypeE1ELb1ELi0EEEvPfS2_PT_PKS3_PKT0_S9_ifPKiSB_iPKfiiiSD_SD_iiiii.numbered_sgpr)
	.set _ZN4vllm25paged_attention_v1_kernelIfhLi256ELi32ELi128ELNS_18Fp8KVCacheDataTypeE1ELb1EEEvPT_PKS2_PKT0_S8_ifPKiSA_iPKfiiiSC_SC_iiiii.num_named_barrier, max(0, .L_ZN4vllm22paged_attention_kernelIfhLi256ELi32ELi128ELNS_18Fp8KVCacheDataTypeE1ELb1ELi0EEEvPfS2_PT_PKS3_PKT0_S9_ifPKiSB_iPKfiiiSD_SD_iiiii.num_named_barrier)
	.set _ZN4vllm25paged_attention_v1_kernelIfhLi256ELi32ELi128ELNS_18Fp8KVCacheDataTypeE1ELb1EEEvPT_PKS2_PKT0_S8_ifPKiSA_iPKfiiiSC_SC_iiiii.private_seg_size, 0+max(.L_ZN4vllm22paged_attention_kernelIfhLi256ELi32ELi128ELNS_18Fp8KVCacheDataTypeE1ELb1ELi0EEEvPfS2_PT_PKS3_PKT0_S9_ifPKiSB_iPKfiiiSD_SD_iiiii.private_seg_size)
	.set _ZN4vllm25paged_attention_v1_kernelIfhLi256ELi32ELi128ELNS_18Fp8KVCacheDataTypeE1ELb1EEEvPT_PKS2_PKT0_S8_ifPKiSA_iPKfiiiSC_SC_iiiii.uses_vcc, or(1, .L_ZN4vllm22paged_attention_kernelIfhLi256ELi32ELi128ELNS_18Fp8KVCacheDataTypeE1ELb1ELi0EEEvPfS2_PT_PKS3_PKT0_S9_ifPKiSB_iPKfiiiSD_SD_iiiii.uses_vcc)
	.set _ZN4vllm25paged_attention_v1_kernelIfhLi256ELi32ELi128ELNS_18Fp8KVCacheDataTypeE1ELb1EEEvPT_PKS2_PKT0_S8_ifPKiSA_iPKfiiiSC_SC_iiiii.uses_flat_scratch, or(0, .L_ZN4vllm22paged_attention_kernelIfhLi256ELi32ELi128ELNS_18Fp8KVCacheDataTypeE1ELb1ELi0EEEvPfS2_PT_PKS3_PKT0_S9_ifPKiSB_iPKfiiiSD_SD_iiiii.uses_flat_scratch)
	.set _ZN4vllm25paged_attention_v1_kernelIfhLi256ELi32ELi128ELNS_18Fp8KVCacheDataTypeE1ELb1EEEvPT_PKS2_PKT0_S8_ifPKiSA_iPKfiiiSC_SC_iiiii.has_dyn_sized_stack, or(0, .L_ZN4vllm22paged_attention_kernelIfhLi256ELi32ELi128ELNS_18Fp8KVCacheDataTypeE1ELb1ELi0EEEvPfS2_PT_PKS3_PKT0_S9_ifPKiSB_iPKfiiiSD_SD_iiiii.has_dyn_sized_stack)
	.set _ZN4vllm25paged_attention_v1_kernelIfhLi256ELi32ELi128ELNS_18Fp8KVCacheDataTypeE1ELb1EEEvPT_PKS2_PKT0_S8_ifPKiSA_iPKfiiiSC_SC_iiiii.has_recursion, or(0, .L_ZN4vllm22paged_attention_kernelIfhLi256ELi32ELi128ELNS_18Fp8KVCacheDataTypeE1ELb1ELi0EEEvPfS2_PT_PKS3_PKT0_S9_ifPKiSB_iPKfiiiSD_SD_iiiii.has_recursion)
	.set _ZN4vllm25paged_attention_v1_kernelIfhLi256ELi32ELi128ELNS_18Fp8KVCacheDataTypeE1ELb1EEEvPT_PKS2_PKT0_S8_ifPKiSA_iPKfiiiSC_SC_iiiii.has_indirect_call, or(0, .L_ZN4vllm22paged_attention_kernelIfhLi256ELi32ELi128ELNS_18Fp8KVCacheDataTypeE1ELb1ELi0EEEvPfS2_PT_PKS3_PKT0_S9_ifPKiSB_iPKfiiiSD_SD_iiiii.has_indirect_call)
	.section	.AMDGPU.csdata,"",@progbits
; Kernel info:
; codeLenInByte = 260
; TotalNumSgprs: 46
; NumVgprs: 128
; ScratchSize: 3252
; MemoryBound: 0
; FloatMode: 240
; IeeeMode: 1
; LDSByteSize: 1056 bytes/workgroup (compile time only)
; SGPRBlocks: 0
; VGPRBlocks: 15
; NumSGPRsForWavesPerEU: 46
; NumVGPRsForWavesPerEU: 128
; Occupancy: 8
; WaveLimiterHint : 1
; COMPUTE_PGM_RSRC2:SCRATCH_EN: 1
; COMPUTE_PGM_RSRC2:USER_SGPR: 6
; COMPUTE_PGM_RSRC2:TRAP_HANDLER: 0
; COMPUTE_PGM_RSRC2:TGID_X_EN: 1
; COMPUTE_PGM_RSRC2:TGID_Y_EN: 1
; COMPUTE_PGM_RSRC2:TGID_Z_EN: 1
; COMPUTE_PGM_RSRC2:TIDIG_COMP_CNT: 0
	.section	.text._ZN4vllm25paged_attention_v1_kernelIfhLi32ELi32ELi128ELNS_18Fp8KVCacheDataTypeE1ELb0EEEvPT_PKS2_PKT0_S8_ifPKiSA_iPKfiiiSC_SC_iiiii,"axG",@progbits,_ZN4vllm25paged_attention_v1_kernelIfhLi32ELi32ELi128ELNS_18Fp8KVCacheDataTypeE1ELb0EEEvPT_PKS2_PKT0_S8_ifPKiSA_iPKfiiiSC_SC_iiiii,comdat
	.protected	_ZN4vllm25paged_attention_v1_kernelIfhLi32ELi32ELi128ELNS_18Fp8KVCacheDataTypeE1ELb0EEEvPT_PKS2_PKT0_S8_ifPKiSA_iPKfiiiSC_SC_iiiii ; -- Begin function _ZN4vllm25paged_attention_v1_kernelIfhLi32ELi32ELi128ELNS_18Fp8KVCacheDataTypeE1ELb0EEEvPT_PKS2_PKT0_S8_ifPKiSA_iPKfiiiSC_SC_iiiii
	.globl	_ZN4vllm25paged_attention_v1_kernelIfhLi32ELi32ELi128ELNS_18Fp8KVCacheDataTypeE1ELb0EEEvPT_PKS2_PKT0_S8_ifPKiSA_iPKfiiiSC_SC_iiiii
	.p2align	8
	.type	_ZN4vllm25paged_attention_v1_kernelIfhLi32ELi32ELi128ELNS_18Fp8KVCacheDataTypeE1ELb0EEEvPT_PKS2_PKT0_S8_ifPKiSA_iPKfiiiSC_SC_iiiii,@function
_ZN4vllm25paged_attention_v1_kernelIfhLi32ELi32ELi128ELNS_18Fp8KVCacheDataTypeE1ELb0EEEvPT_PKS2_PKT0_S8_ifPKiSA_iPKfiiiSC_SC_iiiii: ; @_ZN4vllm25paged_attention_v1_kernelIfhLi32ELi32ELi128ELNS_18Fp8KVCacheDataTypeE1ELb0EEEvPT_PKS2_PKT0_S8_ifPKiSA_iPKfiiiSC_SC_iiiii
; %bb.0:
	s_clause 0x2
	s_load_dword s9, s[4:5], 0x80
	s_load_dwordx2 s[0:1], s[4:5], 0x30
	s_load_dwordx2 s[2:3], s[4:5], 0x20
	s_mov_b32 s10, s7
	s_ashr_i32 s11, s7, 31
	s_mov_b32 s28, 0
	s_lshl_b64 s[12:13], s[10:11], 2
	s_waitcnt lgkmcnt(0)
	s_add_u32 s0, s0, s12
	s_addc_u32 s1, s1, s13
	s_abs_i32 s7, s2
	s_abs_i32 s13, s9
	v_cvt_f32_u32_e32 v1, s7
	s_sub_i32 s12, 0, s7
	s_xor_b32 s2, s9, s2
	s_ashr_i32 s2, s2, 31
	v_rcp_iflag_f32_e32 v1, v1
	v_mul_f32_e32 v1, 0x4f7ffffe, v1
	v_cvt_u32_f32_e32 v1, v1
	v_readfirstlane_b32 s11, v1
	s_mul_i32 s12, s12, s11
	s_mul_hi_u32 s12, s11, s12
	s_add_i32 s11, s11, s12
	s_mul_hi_u32 s11, s13, s11
	s_mul_i32 s12, s11, s7
	s_sub_i32 s12, s13, s12
	s_add_i32 s13, s11, 1
	s_sub_i32 s14, s12, s7
	s_cmp_ge_u32 s12, s7
	s_cselect_b32 s11, s13, s11
	s_cselect_b32 s12, s14, s12
	s_add_i32 s13, s11, 1
	s_cmp_ge_u32 s12, s7
	s_cselect_b32 s7, s13, s11
	s_load_dwordx2 s[12:13], s[4:5], 0x40
	s_xor_b32 s7, s7, s2
	s_abs_i32 s16, s6
	s_sub_i32 s17, s7, s2
	s_abs_i32 s2, s17
	v_cvt_f32_u32_e32 v1, s2
	s_sub_i32 s11, 0, s2
	v_rcp_iflag_f32_e32 v1, v1
	v_mul_f32_e32 v1, 0x4f7ffffe, v1
	v_cvt_u32_f32_e32 v1, v1
	v_readfirstlane_b32 s7, v1
	s_mul_i32 s11, s11, s7
	s_mul_hi_u32 s11, s7, s11
	s_add_i32 s7, s7, s11
	s_waitcnt lgkmcnt(0)
	s_cmp_eq_u64 s[12:13], 0
	s_mul_hi_u32 s26, s16, s7
	s_cbranch_scc1 .LBB218_2
; %bb.1:
	s_ashr_i32 s7, s6, 31
	s_lshl_b64 s[14:15], s[6:7], 2
	s_add_u32 s12, s12, s14
	s_addc_u32 s13, s13, s15
	s_load_dword s28, s[12:13], 0x0
.LBB218_2:
	s_load_dword s11, s[0:1], 0x0
	s_clause 0x1
	s_load_dwordx2 s[22:23], s[4:5], 0x28
	s_load_dwordx4 s[12:15], s[4:5], 0x48
	s_ashr_i32 s0, s6, 31
	s_ashr_i32 s1, s17, 31
	s_lshl_b32 s6, s6, 5
	s_waitcnt lgkmcnt(0)
	s_mov_b32 s15, exec_lo
	v_cmpx_gt_u32_e32 8, v0
	s_cbranch_execz .LBB218_4
; %bb.3:
	s_load_dwordx2 s[18:19], s[4:5], 0x8
	s_mul_i32 s20, s12, s10
	v_lshlrev_b32_e32 v5, 4, v0
	s_ashr_i32 s21, s20, 31
	s_lshl_b64 s[20:21], s[20:21], 2
	s_waitcnt lgkmcnt(0)
	s_add_u32 s12, s18, s20
	s_addc_u32 s17, s19, s21
	s_ashr_i32 s7, s6, 31
	s_lshl_b64 s[18:19], s[6:7], 2
	s_add_u32 s18, s12, s18
	s_addc_u32 s19, s17, s19
	global_load_dwordx4 v[1:4], v5, s[18:19]
	s_waitcnt vmcnt(0)
	ds_write_b128 v5, v[1:4]
.LBB218_4:
	s_or_b32 exec_lo, exec_lo, s15
	s_add_i32 s7, s11, 31
	s_clause 0x2
	s_load_dwordx2 s[20:21], s[4:5], 0x0
	s_load_dwordx2 s[24:25], s[4:5], 0x18
	s_load_dword s15, s[4:5], 0x38
	s_ashr_i32 s12, s7, 31
	s_mul_i32 s17, s26, s2
	s_lshr_b32 s12, s12, 27
	s_xor_b32 s0, s0, s1
	s_add_i32 s7, s7, s12
	s_sub_i32 s1, s16, s17
	s_ashr_i32 s12, s7, 5
	s_clause 0x1
	s_load_dword s7, s[4:5], 0x88
	s_load_dwordx4 s[16:19], s[4:5], 0x58
	s_add_i32 s27, s26, 1
	s_sub_i32 s29, s1, s2
	s_cmp_ge_u32 s1, s2
	v_lshrrev_b32_e32 v107, 5, v0
	s_cselect_b32 s26, s27, s26
	s_cselect_b32 s1, s29, s1
	s_add_i32 s27, s26, 1
	s_cmp_ge_u32 s1, s2
	v_and_b32_e32 v108, 31, v0
	s_cselect_b32 s1, s27, s26
	v_mov_b32_e32 v111, 0xff7fffff
	s_xor_b32 s1, s1, s0
	v_lshrrev_b32_e32 v109, 3, v0
	s_sub_i32 s1, s1, s0
	v_cmp_gt_i32_e64 s0, s12, v107
	v_lshlrev_b32_e32 v110, 2, v108
	s_waitcnt lgkmcnt(0)
	s_mul_i32 s26, s15, s10
	s_mul_i32 s14, s1, s14
	s_ashr_i32 s27, s26, 31
	s_barrier
	buffer_gl0_inv
	s_and_saveexec_b32 s15, s0
	s_cbranch_execz .LBB218_264
; %bb.5:
	s_load_dwordx2 s[30:31], s[4:5], 0x10
	v_mov_b32_e32 v34, 0
	s_load_dword s4, s[16:17], 0x0
	v_lshlrev_b32_e32 v33, 4, v108
	s_ashr_i32 s1, s14, 31
	ds_read_b128 v[1:4], v34
	ds_read_b128 v[5:8], v34 offset:16
	ds_read_b128 v[9:12], v34 offset:32
	;; [unrolled: 1-line block ×7, first 2 shown]
	v_lshl_or_b32 v37, v107, 7, v110
	v_and_b32_e32 v38, 0x7c, v109
	v_cmp_neq_f32_e64 vcc_lo, s28, 0
	v_lshl_or_b32 v112, v107, 5, v108
	v_mov_b32_e32 v111, 0xff7fffff
	v_add_nc_u32_e32 v113, 0xa0, v37
	v_mov_b32_e32 v114, 0x80
	v_bfrev_b32_e32 v40, 1
	v_mov_b32_e32 v115, 0xffff
	v_mov_b32_e32 v42, 0x7f800001
	;; [unrolled: 1-line block ×5, first 2 shown]
	s_waitcnt lgkmcnt(0)
	s_add_u32 s2, s30, s14
	s_addc_u32 s1, s31, s1
	v_add_co_u32 v35, s2, s2, v33
	s_lshl_b64 s[16:17], s[26:27], 2
	s_sub_i32 s5, 1, s11
	v_add_co_ci_u32_e64 v36, null, s1, 0, s2
	s_add_u32 s1, s22, s16
	s_addc_u32 s2, s23, s17
	v_add_co_u32 v37, s1, s1, v38
	v_add_co_ci_u32_e64 v38, null, s2, 0, s1
	v_mov_b32_e32 v119, v107
	s_mov_b32 s17, s13
	s_mov_b32 s16, 0
	s_mov_b32 s29, s4
	s_branch .LBB218_10
.LBB218_6:                              ;   in Loop: Header=BB218_10 Depth=1
	s_or_b32 exec_lo, exec_lo, s33
	v_lshlrev_b32_sdwa v41, v118, v120 dst_sel:DWORD dst_unused:UNUSED_PAD src0_sel:DWORD src1_sel:BYTE_3
	v_lshlrev_b32_e32 v33, 20, v33
	v_lshl_add_u32 v39, v39, 23, 0x3c000000
	v_mov_b32_e32 v105, v34
	v_and_b32_e32 v41, 0x80000000, v41
	v_or3_b32 v106, v33, v41, v39
.LBB218_7:                              ;   in Loop: Header=BB218_10 Depth=1
	s_or_b32 exec_lo, exec_lo, s31
.LBB218_8:                              ;   in Loop: Header=BB218_10 Depth=1
	s_or_b32 exec_lo, exec_lo, s30
.LBB218_9:                              ;   in Loop: Header=BB218_10 Depth=1
	s_or_b32 exec_lo, exec_lo, s2
	v_or_b32_e32 v52, v54, v52
	v_or_b32_e32 v51, v53, v51
	;; [unrolled: 1-line block ×5, first 2 shown]
	v_mul_f32_e32 v52, s29, v52
	v_mul_f32_e32 v51, s4, v51
	v_or_b32_e32 v62, v64, v62
	v_or_b32_e32 v61, v63, v61
	;; [unrolled: 1-line block ×5, first 2 shown]
	v_mul_f32_e32 v47, s4, v57
	v_mul_f32_e32 v44, s29, v44
	v_mul_f32_e32 v43, s4, v43
	v_mul_f32_e32 v48, v5, v51
	v_mul_f32_e32 v49, v6, v52
	v_or_b32_e32 v70, v72, v70
	v_or_b32_e32 v69, v71, v69
	v_mul_f32_e32 v62, s29, v62
	v_mul_f32_e32 v61, s4, v61
	v_or_b32_e32 v65, v67, v65
	v_mul_f32_e32 v54, s29, v54
	v_mul_f32_e32 v46, s4, v46
	;; [unrolled: 1-line block ×3, first 2 shown]
	v_fmac_f32_e32 v48, v1, v43
	v_fmac_f32_e32 v49, v2, v44
	v_or_b32_e32 v78, v80, v78
	v_or_b32_e32 v77, v79, v77
	v_mul_f32_e32 v70, s29, v70
	v_or_b32_e32 v73, v75, v73
	v_mul_f32_e32 v64, s4, v69
	;; [unrolled: 2-line block ×3, first 2 shown]
	v_mul_f32_e32 v45, s29, v45
	v_mul_f32_e32 v44, v8, v54
	v_fmac_f32_e32 v47, v3, v46
	v_fmac_f32_e32 v48, v9, v61
	;; [unrolled: 1-line block ×3, first 2 shown]
	v_or_b32_e32 v86, v88, v86
	v_or_b32_e32 v85, v87, v85
	;; [unrolled: 1-line block ×4, first 2 shown]
	v_mul_f32_e32 v78, s29, v78
	v_mul_f32_e32 v72, s4, v77
	v_or_b32_e32 v71, v76, v74
	v_mul_f32_e32 v69, s4, v73
	v_mul_f32_e32 v53, s29, v66
	v_fmac_f32_e32 v44, v4, v45
	v_fmac_f32_e32 v47, v11, v58
	;; [unrolled: 1-line block ×4, first 2 shown]
	v_or_b32_e32 v33, v96, v94
	v_or_b32_e32 v39, v95, v93
	v_or_b32_e32 v89, v91, v89
	v_mul_f32_e32 v86, s29, v86
	v_mul_f32_e32 v85, s4, v85
	v_mul_f32_e32 v77, s29, v79
	v_mul_f32_e32 v79, s4, v81
	v_mul_f32_e32 v63, s29, v71
	v_fmac_f32_e32 v44, v12, v53
	v_fmac_f32_e32 v47, v15, v69
	v_fmac_f32_e32 v48, v17, v72
	v_fmac_f32_e32 v49, v18, v78
	v_or_b32_e32 v93, v99, v97
	v_mul_f32_e32 v33, s29, v33
	v_mul_f32_e32 v39, s4, v39
	v_or_b32_e32 v87, v92, v90
	v_mul_f32_e32 v80, s4, v89
	v_or_b32_e32 v51, v102, v56
	v_or_b32_e32 v43, v101, v55
	v_fmac_f32_e32 v44, v16, v63
	v_fmac_f32_e32 v47, v19, v79
	;; [unrolled: 1-line block ×4, first 2 shown]
	v_or_b32_e32 v41, v100, v98
	v_mul_f32_e32 v88, s4, v93
	v_mul_f32_e32 v87, s29, v87
	;; [unrolled: 1-line block ×4, first 2 shown]
	v_or_b32_e32 v51, v105, v103
	v_fmac_f32_e32 v44, v20, v77
	v_fmac_f32_e32 v47, v23, v80
	;; [unrolled: 1-line block ×4, first 2 shown]
	v_mul_f32_e32 v41, s29, v41
	v_add_nc_u32_e32 v50, s5, v112
	v_or_b32_e32 v45, v106, v104
	v_mul_f32_e32 v33, s4, v51
	v_fmac_f32_e32 v44, v24, v87
	v_fmac_f32_e32 v47, v27, v88
	;; [unrolled: 1-line block ×4, first 2 shown]
	v_cvt_f32_i32_e32 v39, v50
	v_mul_f32_e32 v43, s29, v45
	v_fmac_f32_e32 v44, v28, v41
	v_fmac_f32_e32 v47, v31, v33
	v_add_f32_e32 v33, v48, v49
	v_mul_f32_e32 v39, s28, v39
	v_cmp_gt_i32_e64 s1, s11, v112
	v_fmac_f32_e32 v44, v32, v43
	v_add_nc_u32_e32 v119, 4, v119
	v_add_f32_e32 v33, v33, v47
	v_cndmask_b32_e32 v39, 0, v39, vcc_lo
	v_add_co_u32 v37, s2, v37, 16
	v_add_nc_u32_e32 v112, 0x80, v112
	v_add_f32_e32 v33, v44, v33
	v_add_co_ci_u32_e64 v38, null, 0, v38, s2
	v_fmac_f32_e32 v39, s3, v33
	v_max_f32_e32 v33, v111, v111
	v_cndmask_b32_e64 v41, 0, v39, s1
	v_max_f32_e32 v33, v33, v39
	ds_write_b32 v113, v41
	v_cndmask_b32_e64 v111, v111, v33, s1
	v_cmp_le_i32_e64 s1, s12, v119
	v_add_nc_u32_e32 v113, 0x200, v113
	s_or_b32 s16, s1, s16
	s_andn2_b32 exec_lo, exec_lo, s16
	s_cbranch_execz .LBB218_263
.LBB218_10:                             ; =>This Inner Loop Header: Depth=1
	global_load_dword v33, v[37:38], off
	v_mov_b32_e32 v45, 0
	v_mov_b32_e32 v43, 0
	;; [unrolled: 1-line block ×4, first 2 shown]
	s_waitcnt vmcnt(0)
	v_mad_i64_i32 v[55:56], null, v33, s17, v[35:36]
	global_load_dword v51, v[55:56], off
	s_waitcnt vmcnt(0)
	v_cmp_ne_u16_sdwa s1, v51, v34 src0_sel:BYTE_0 src1_sel:DWORD
	s_and_saveexec_b32 s2, s1
	s_cbranch_execz .LBB218_18
; %bb.11:                               ;   in Loop: Header=BB218_10 Depth=1
	v_bfrev_b32_e32 v43, 1
	v_mov_b32_e32 v44, 0
	v_cmp_ne_u16_sdwa s1, v51, v114 src0_sel:BYTE_0 src1_sel:DWORD
	s_and_saveexec_b32 s30, s1
	s_cbranch_execz .LBB218_17
; %bb.12:                               ;   in Loop: Header=BB218_10 Depth=1
	v_mov_b32_e32 v43, 0x7f800001
	v_and_b32_e32 v41, 0x7f, v51
	v_mov_b32_e32 v44, 0
	s_mov_b32 s31, exec_lo
	v_cmpx_ne_u32_e32 0x7f, v41
	s_cbranch_execz .LBB218_16
; %bb.13:                               ;   in Loop: Header=BB218_10 Depth=1
	v_and_b32_e32 v33, 7, v51
	v_lshrrev_b32_e32 v39, 3, v41
	s_mov_b32 s33, exec_lo
	v_cmpx_gt_u32_e32 8, v41
; %bb.14:                               ;   in Loop: Header=BB218_10 Depth=1
	v_ffbh_u32_e32 v39, v33
	v_min_u32_e32 v39, 32, v39
	v_subrev_nc_u32_e32 v41, 28, v39
	v_sub_nc_u32_e32 v39, 29, v39
	v_lshlrev_b64 v[43:44], v41, v[33:34]
	v_and_b32_e32 v33, 7, v43
; %bb.15:                               ;   in Loop: Header=BB218_10 Depth=1
	s_or_b32 exec_lo, exec_lo, s33
	v_lshlrev_b32_e32 v41, 24, v51
	v_lshlrev_b32_e32 v33, 20, v33
	v_lshl_add_u32 v39, v39, 23, 0x3c000000
	v_and_b32_e32 v41, 0x80000000, v41
	v_or3_b32 v33, v33, v41, v39
	v_mov_b32_e32 v44, v34
	v_mov_b32_e32 v43, v33
.LBB218_16:                             ;   in Loop: Header=BB218_10 Depth=1
	s_or_b32 exec_lo, exec_lo, s31
.LBB218_17:                             ;   in Loop: Header=BB218_10 Depth=1
	s_or_b32 exec_lo, exec_lo, s30
.LBB218_18:                             ;   in Loop: Header=BB218_10 Depth=1
	s_or_b32 exec_lo, exec_lo, s2
	v_cmp_ne_u16_sdwa s1, v51, v34 src0_sel:BYTE_1 src1_sel:DWORD
	s_and_saveexec_b32 s2, s1
	s_cbranch_execz .LBB218_26
; %bb.19:                               ;   in Loop: Header=BB218_10 Depth=1
	v_mov_b32_e32 v39, v34
	v_mov_b32_e32 v46, v40
	v_cmp_ne_u16_sdwa s1, v51, v114 src0_sel:BYTE_1 src1_sel:DWORD
	v_mov_b32_e32 v45, v39
	s_and_saveexec_b32 s30, s1
	s_cbranch_execz .LBB218_25
; %bb.20:                               ;   in Loop: Header=BB218_10 Depth=1
	v_and_b32_sdwa v33, v115, v51 dst_sel:DWORD dst_unused:UNUSED_PAD src0_sel:DWORD src1_sel:BYTE_1
	v_mov_b32_e32 v41, v34
	v_mov_b32_e32 v46, v42
	s_mov_b32 s31, exec_lo
	v_and_b32_e32 v47, 0x7f, v33
	v_mov_b32_e32 v45, v41
	v_cmpx_ne_u32_e32 0x7f, v47
	s_cbranch_execz .LBB218_24
; %bb.21:                               ;   in Loop: Header=BB218_10 Depth=1
	v_and_b32_e32 v33, 7, v33
	v_lshrrev_b32_e32 v39, 3, v47
	s_mov_b32 s33, exec_lo
	v_cmpx_gt_u32_e32 8, v47
; %bb.22:                               ;   in Loop: Header=BB218_10 Depth=1
	v_ffbh_u32_e32 v39, v33
	v_min_u32_e32 v39, 32, v39
	v_subrev_nc_u32_e32 v41, 28, v39
	v_sub_nc_u32_e32 v39, 29, v39
	v_lshlrev_b64 v[45:46], v41, v[33:34]
	v_and_b32_e32 v33, 7, v45
; %bb.23:                               ;   in Loop: Header=BB218_10 Depth=1
	s_or_b32 exec_lo, exec_lo, s33
	v_lshlrev_b32_e32 v41, 16, v51
	v_lshlrev_b32_e32 v33, 20, v33
	v_lshl_add_u32 v39, v39, 23, 0x3c000000
	v_mov_b32_e32 v45, v34
	v_and_b32_e32 v41, 0x80000000, v41
	v_or3_b32 v46, v33, v41, v39
.LBB218_24:                             ;   in Loop: Header=BB218_10 Depth=1
	s_or_b32 exec_lo, exec_lo, s31
.LBB218_25:                             ;   in Loop: Header=BB218_10 Depth=1
	s_or_b32 exec_lo, exec_lo, s30
.LBB218_26:                             ;   in Loop: Header=BB218_10 Depth=1
	s_or_b32 exec_lo, exec_lo, s2
	v_mov_b32_e32 v49, 0
	v_mov_b32_e32 v47, 0
	v_and_b32_sdwa v33, v51, v116 dst_sel:DWORD dst_unused:UNUSED_PAD src0_sel:WORD_1 src1_sel:DWORD
	v_mov_b32_e32 v50, 0
	v_mov_b32_e32 v48, 0
	s_mov_b32 s2, exec_lo
	v_cmpx_ne_u16_e32 0, v33
	s_cbranch_execz .LBB218_34
; %bb.27:                               ;   in Loop: Header=BB218_10 Depth=1
	v_bfrev_b32_e32 v47, 1
	v_mov_b32_e32 v48, 0
	s_mov_b32 s30, exec_lo
	v_cmpx_ne_u16_e32 0x80, v33
	s_cbranch_execz .LBB218_33
; %bb.28:                               ;   in Loop: Header=BB218_10 Depth=1
	v_mov_b32_e32 v47, 0x7f800001
	v_bfe_u32 v41, v51, 16, 7
	v_mov_b32_e32 v48, 0
	s_mov_b32 s31, exec_lo
	v_cmpx_ne_u32_e32 0x7f, v41
	s_cbranch_execz .LBB218_32
; %bb.29:                               ;   in Loop: Header=BB218_10 Depth=1
	v_and_b32_sdwa v33, v51, v117 dst_sel:DWORD dst_unused:UNUSED_PAD src0_sel:WORD_1 src1_sel:DWORD
	v_lshrrev_b32_e32 v39, 3, v41
	s_mov_b32 s33, exec_lo
	v_cmpx_gt_u32_e32 8, v41
; %bb.30:                               ;   in Loop: Header=BB218_10 Depth=1
	v_ffbh_u32_e32 v39, v33
	v_min_u32_e32 v39, 32, v39
	v_subrev_nc_u32_e32 v41, 28, v39
	v_sub_nc_u32_e32 v39, 29, v39
	v_lshlrev_b64 v[47:48], v41, v[33:34]
	v_and_b32_e32 v33, 7, v47
; %bb.31:                               ;   in Loop: Header=BB218_10 Depth=1
	s_or_b32 exec_lo, exec_lo, s33
	v_lshlrev_b32_sdwa v41, v118, v51 dst_sel:DWORD dst_unused:UNUSED_PAD src0_sel:DWORD src1_sel:WORD_1
	v_lshlrev_b32_e32 v33, 20, v33
	v_lshl_add_u32 v39, v39, 23, 0x3c000000
	v_and_b32_e32 v41, 0x80000000, v41
	v_or3_b32 v33, v33, v41, v39
	v_mov_b32_e32 v48, v34
	v_mov_b32_e32 v47, v33
.LBB218_32:                             ;   in Loop: Header=BB218_10 Depth=1
	s_or_b32 exec_lo, exec_lo, s31
.LBB218_33:                             ;   in Loop: Header=BB218_10 Depth=1
	s_or_b32 exec_lo, exec_lo, s30
.LBB218_34:                             ;   in Loop: Header=BB218_10 Depth=1
	s_or_b32 exec_lo, exec_lo, s2
	s_mov_b32 s2, exec_lo
	v_cmpx_lt_u32_e32 0xffffff, v51
	s_cbranch_execz .LBB218_42
; %bb.35:                               ;   in Loop: Header=BB218_10 Depth=1
	v_mov_b32_e32 v39, v34
	v_mov_b32_e32 v50, v40
	v_cmp_ne_u32_sdwa s1, v51, v114 src0_sel:BYTE_3 src1_sel:DWORD
	v_mov_b32_e32 v49, v39
	s_and_saveexec_b32 s30, s1
	s_cbranch_execz .LBB218_41
; %bb.36:                               ;   in Loop: Header=BB218_10 Depth=1
	v_mov_b32_e32 v41, v34
	v_mov_b32_e32 v50, v42
	v_bfe_u32 v52, v51, 24, 7
	s_mov_b32 s31, exec_lo
	v_mov_b32_e32 v49, v41
	v_cmpx_ne_u32_e32 0x7f, v52
	s_cbranch_execz .LBB218_40
; %bb.37:                               ;   in Loop: Header=BB218_10 Depth=1
	v_and_b32_sdwa v33, v51, v117 dst_sel:DWORD dst_unused:UNUSED_PAD src0_sel:BYTE_3 src1_sel:DWORD
	v_lshrrev_b32_e32 v39, 3, v52
	s_mov_b32 s33, exec_lo
	v_cmpx_gt_u32_e32 8, v52
; %bb.38:                               ;   in Loop: Header=BB218_10 Depth=1
	v_ffbh_u32_e32 v39, v33
	v_min_u32_e32 v39, 32, v39
	v_subrev_nc_u32_e32 v41, 28, v39
	v_sub_nc_u32_e32 v39, 29, v39
	v_lshlrev_b64 v[49:50], v41, v[33:34]
	v_and_b32_e32 v33, 7, v49
; %bb.39:                               ;   in Loop: Header=BB218_10 Depth=1
	s_or_b32 exec_lo, exec_lo, s33
	v_lshlrev_b32_sdwa v41, v118, v51 dst_sel:DWORD dst_unused:UNUSED_PAD src0_sel:DWORD src1_sel:BYTE_3
	v_lshlrev_b32_e32 v33, 20, v33
	v_lshl_add_u32 v39, v39, 23, 0x3c000000
	v_mov_b32_e32 v49, v34
	v_and_b32_e32 v41, 0x80000000, v41
	v_or3_b32 v50, v33, v41, v39
.LBB218_40:                             ;   in Loop: Header=BB218_10 Depth=1
	s_or_b32 exec_lo, exec_lo, s31
.LBB218_41:                             ;   in Loop: Header=BB218_10 Depth=1
	s_or_b32 exec_lo, exec_lo, s30
.LBB218_42:                             ;   in Loop: Header=BB218_10 Depth=1
	s_or_b32 exec_lo, exec_lo, s2
	global_load_dword v61, v[55:56], off offset:4
	v_mov_b32_e32 v53, 0
	v_mov_b32_e32 v51, 0
	v_mov_b32_e32 v54, 0
	v_mov_b32_e32 v52, 0
	s_waitcnt vmcnt(0)
	v_cmp_ne_u16_sdwa s1, v61, v34 src0_sel:BYTE_0 src1_sel:DWORD
	s_and_saveexec_b32 s2, s1
	s_cbranch_execz .LBB218_50
; %bb.43:                               ;   in Loop: Header=BB218_10 Depth=1
	v_bfrev_b32_e32 v51, 1
	v_mov_b32_e32 v52, 0
	v_cmp_ne_u16_sdwa s1, v61, v114 src0_sel:BYTE_0 src1_sel:DWORD
	s_and_saveexec_b32 s30, s1
	s_cbranch_execz .LBB218_49
; %bb.44:                               ;   in Loop: Header=BB218_10 Depth=1
	v_mov_b32_e32 v51, 0x7f800001
	v_and_b32_e32 v41, 0x7f, v61
	v_mov_b32_e32 v52, 0
	s_mov_b32 s31, exec_lo
	v_cmpx_ne_u32_e32 0x7f, v41
	s_cbranch_execz .LBB218_48
; %bb.45:                               ;   in Loop: Header=BB218_10 Depth=1
	v_and_b32_e32 v33, 7, v61
	v_lshrrev_b32_e32 v39, 3, v41
	s_mov_b32 s33, exec_lo
	v_cmpx_gt_u32_e32 8, v41
; %bb.46:                               ;   in Loop: Header=BB218_10 Depth=1
	v_ffbh_u32_e32 v39, v33
	v_min_u32_e32 v39, 32, v39
	v_subrev_nc_u32_e32 v41, 28, v39
	v_sub_nc_u32_e32 v39, 29, v39
	v_lshlrev_b64 v[51:52], v41, v[33:34]
	v_and_b32_e32 v33, 7, v51
; %bb.47:                               ;   in Loop: Header=BB218_10 Depth=1
	s_or_b32 exec_lo, exec_lo, s33
	v_lshlrev_b32_e32 v41, 24, v61
	v_lshlrev_b32_e32 v33, 20, v33
	v_lshl_add_u32 v39, v39, 23, 0x3c000000
	v_and_b32_e32 v41, 0x80000000, v41
	v_or3_b32 v33, v33, v41, v39
	v_mov_b32_e32 v52, v34
	v_mov_b32_e32 v51, v33
.LBB218_48:                             ;   in Loop: Header=BB218_10 Depth=1
	s_or_b32 exec_lo, exec_lo, s31
.LBB218_49:                             ;   in Loop: Header=BB218_10 Depth=1
	s_or_b32 exec_lo, exec_lo, s30
.LBB218_50:                             ;   in Loop: Header=BB218_10 Depth=1
	s_or_b32 exec_lo, exec_lo, s2
	v_cmp_ne_u16_sdwa s1, v61, v34 src0_sel:BYTE_1 src1_sel:DWORD
	s_and_saveexec_b32 s2, s1
	s_cbranch_execz .LBB218_58
; %bb.51:                               ;   in Loop: Header=BB218_10 Depth=1
	v_mov_b32_e32 v39, v34
	v_mov_b32_e32 v54, v40
	v_cmp_ne_u16_sdwa s1, v61, v114 src0_sel:BYTE_1 src1_sel:DWORD
	v_mov_b32_e32 v53, v39
	s_and_saveexec_b32 s30, s1
	s_cbranch_execz .LBB218_57
; %bb.52:                               ;   in Loop: Header=BB218_10 Depth=1
	v_and_b32_sdwa v33, v115, v61 dst_sel:DWORD dst_unused:UNUSED_PAD src0_sel:DWORD src1_sel:BYTE_1
	v_mov_b32_e32 v41, v34
	v_mov_b32_e32 v54, v42
	s_mov_b32 s31, exec_lo
	v_and_b32_e32 v57, 0x7f, v33
	v_mov_b32_e32 v53, v41
	v_cmpx_ne_u32_e32 0x7f, v57
	s_cbranch_execz .LBB218_56
; %bb.53:                               ;   in Loop: Header=BB218_10 Depth=1
	v_and_b32_e32 v33, 7, v33
	v_lshrrev_b32_e32 v39, 3, v57
	s_mov_b32 s33, exec_lo
	v_cmpx_gt_u32_e32 8, v57
; %bb.54:                               ;   in Loop: Header=BB218_10 Depth=1
	v_ffbh_u32_e32 v39, v33
	v_min_u32_e32 v39, 32, v39
	v_subrev_nc_u32_e32 v41, 28, v39
	v_sub_nc_u32_e32 v39, 29, v39
	v_lshlrev_b64 v[53:54], v41, v[33:34]
	v_and_b32_e32 v33, 7, v53
; %bb.55:                               ;   in Loop: Header=BB218_10 Depth=1
	s_or_b32 exec_lo, exec_lo, s33
	v_lshlrev_b32_e32 v41, 16, v61
	v_lshlrev_b32_e32 v33, 20, v33
	v_lshl_add_u32 v39, v39, 23, 0x3c000000
	v_mov_b32_e32 v53, v34
	v_and_b32_e32 v41, 0x80000000, v41
	v_or3_b32 v54, v33, v41, v39
.LBB218_56:                             ;   in Loop: Header=BB218_10 Depth=1
	s_or_b32 exec_lo, exec_lo, s31
.LBB218_57:                             ;   in Loop: Header=BB218_10 Depth=1
	s_or_b32 exec_lo, exec_lo, s30
.LBB218_58:                             ;   in Loop: Header=BB218_10 Depth=1
	s_or_b32 exec_lo, exec_lo, s2
	v_mov_b32_e32 v59, 0
	v_mov_b32_e32 v57, 0
	v_and_b32_sdwa v33, v61, v116 dst_sel:DWORD dst_unused:UNUSED_PAD src0_sel:WORD_1 src1_sel:DWORD
	v_mov_b32_e32 v60, 0
	v_mov_b32_e32 v58, 0
	s_mov_b32 s2, exec_lo
	v_cmpx_ne_u16_e32 0, v33
	s_cbranch_execz .LBB218_66
; %bb.59:                               ;   in Loop: Header=BB218_10 Depth=1
	v_bfrev_b32_e32 v57, 1
	v_mov_b32_e32 v58, 0
	s_mov_b32 s30, exec_lo
	v_cmpx_ne_u16_e32 0x80, v33
	s_cbranch_execz .LBB218_65
; %bb.60:                               ;   in Loop: Header=BB218_10 Depth=1
	v_mov_b32_e32 v57, 0x7f800001
	v_bfe_u32 v41, v61, 16, 7
	v_mov_b32_e32 v58, 0
	s_mov_b32 s31, exec_lo
	v_cmpx_ne_u32_e32 0x7f, v41
	s_cbranch_execz .LBB218_64
; %bb.61:                               ;   in Loop: Header=BB218_10 Depth=1
	v_and_b32_sdwa v33, v61, v117 dst_sel:DWORD dst_unused:UNUSED_PAD src0_sel:WORD_1 src1_sel:DWORD
	v_lshrrev_b32_e32 v39, 3, v41
	s_mov_b32 s33, exec_lo
	v_cmpx_gt_u32_e32 8, v41
; %bb.62:                               ;   in Loop: Header=BB218_10 Depth=1
	v_ffbh_u32_e32 v39, v33
	v_min_u32_e32 v39, 32, v39
	v_subrev_nc_u32_e32 v41, 28, v39
	v_sub_nc_u32_e32 v39, 29, v39
	v_lshlrev_b64 v[57:58], v41, v[33:34]
	v_and_b32_e32 v33, 7, v57
; %bb.63:                               ;   in Loop: Header=BB218_10 Depth=1
	s_or_b32 exec_lo, exec_lo, s33
	v_lshlrev_b32_sdwa v41, v118, v61 dst_sel:DWORD dst_unused:UNUSED_PAD src0_sel:DWORD src1_sel:WORD_1
	v_lshlrev_b32_e32 v33, 20, v33
	v_lshl_add_u32 v39, v39, 23, 0x3c000000
	v_and_b32_e32 v41, 0x80000000, v41
	v_or3_b32 v33, v33, v41, v39
	v_mov_b32_e32 v58, v34
	v_mov_b32_e32 v57, v33
.LBB218_64:                             ;   in Loop: Header=BB218_10 Depth=1
	s_or_b32 exec_lo, exec_lo, s31
.LBB218_65:                             ;   in Loop: Header=BB218_10 Depth=1
	s_or_b32 exec_lo, exec_lo, s30
.LBB218_66:                             ;   in Loop: Header=BB218_10 Depth=1
	s_or_b32 exec_lo, exec_lo, s2
	s_mov_b32 s2, exec_lo
	v_cmpx_lt_u32_e32 0xffffff, v61
	s_cbranch_execz .LBB218_74
; %bb.67:                               ;   in Loop: Header=BB218_10 Depth=1
	v_mov_b32_e32 v39, v34
	v_mov_b32_e32 v60, v40
	v_cmp_ne_u32_sdwa s1, v61, v114 src0_sel:BYTE_3 src1_sel:DWORD
	v_mov_b32_e32 v59, v39
	s_and_saveexec_b32 s30, s1
	s_cbranch_execz .LBB218_73
; %bb.68:                               ;   in Loop: Header=BB218_10 Depth=1
	v_mov_b32_e32 v41, v34
	v_mov_b32_e32 v60, v42
	v_bfe_u32 v62, v61, 24, 7
	s_mov_b32 s31, exec_lo
	v_mov_b32_e32 v59, v41
	v_cmpx_ne_u32_e32 0x7f, v62
	s_cbranch_execz .LBB218_72
; %bb.69:                               ;   in Loop: Header=BB218_10 Depth=1
	v_and_b32_sdwa v33, v61, v117 dst_sel:DWORD dst_unused:UNUSED_PAD src0_sel:BYTE_3 src1_sel:DWORD
	v_lshrrev_b32_e32 v39, 3, v62
	s_mov_b32 s33, exec_lo
	v_cmpx_gt_u32_e32 8, v62
; %bb.70:                               ;   in Loop: Header=BB218_10 Depth=1
	v_ffbh_u32_e32 v39, v33
	v_min_u32_e32 v39, 32, v39
	v_subrev_nc_u32_e32 v41, 28, v39
	v_sub_nc_u32_e32 v39, 29, v39
	v_lshlrev_b64 v[59:60], v41, v[33:34]
	v_and_b32_e32 v33, 7, v59
; %bb.71:                               ;   in Loop: Header=BB218_10 Depth=1
	s_or_b32 exec_lo, exec_lo, s33
	v_lshlrev_b32_sdwa v41, v118, v61 dst_sel:DWORD dst_unused:UNUSED_PAD src0_sel:DWORD src1_sel:BYTE_3
	v_lshlrev_b32_e32 v33, 20, v33
	v_lshl_add_u32 v39, v39, 23, 0x3c000000
	v_mov_b32_e32 v59, v34
	v_and_b32_e32 v41, 0x80000000, v41
	v_or3_b32 v60, v33, v41, v39
.LBB218_72:                             ;   in Loop: Header=BB218_10 Depth=1
	s_or_b32 exec_lo, exec_lo, s31
.LBB218_73:                             ;   in Loop: Header=BB218_10 Depth=1
	s_or_b32 exec_lo, exec_lo, s30
.LBB218_74:                             ;   in Loop: Header=BB218_10 Depth=1
	s_or_b32 exec_lo, exec_lo, s2
	global_load_dword v69, v[55:56], off offset:8
	v_mov_b32_e32 v63, 0
	v_mov_b32_e32 v61, 0
	;; [unrolled: 1-line block ×4, first 2 shown]
	s_waitcnt vmcnt(0)
	v_cmp_ne_u16_sdwa s1, v69, v34 src0_sel:BYTE_0 src1_sel:DWORD
	s_and_saveexec_b32 s2, s1
	s_cbranch_execz .LBB218_82
; %bb.75:                               ;   in Loop: Header=BB218_10 Depth=1
	v_bfrev_b32_e32 v61, 1
	v_mov_b32_e32 v62, 0
	v_cmp_ne_u16_sdwa s1, v69, v114 src0_sel:BYTE_0 src1_sel:DWORD
	s_and_saveexec_b32 s30, s1
	s_cbranch_execz .LBB218_81
; %bb.76:                               ;   in Loop: Header=BB218_10 Depth=1
	v_mov_b32_e32 v61, 0x7f800001
	v_and_b32_e32 v41, 0x7f, v69
	v_mov_b32_e32 v62, 0
	s_mov_b32 s31, exec_lo
	v_cmpx_ne_u32_e32 0x7f, v41
	s_cbranch_execz .LBB218_80
; %bb.77:                               ;   in Loop: Header=BB218_10 Depth=1
	v_and_b32_e32 v33, 7, v69
	v_lshrrev_b32_e32 v39, 3, v41
	s_mov_b32 s33, exec_lo
	v_cmpx_gt_u32_e32 8, v41
; %bb.78:                               ;   in Loop: Header=BB218_10 Depth=1
	v_ffbh_u32_e32 v39, v33
	v_min_u32_e32 v39, 32, v39
	v_subrev_nc_u32_e32 v41, 28, v39
	v_sub_nc_u32_e32 v39, 29, v39
	v_lshlrev_b64 v[61:62], v41, v[33:34]
	v_and_b32_e32 v33, 7, v61
; %bb.79:                               ;   in Loop: Header=BB218_10 Depth=1
	s_or_b32 exec_lo, exec_lo, s33
	v_lshlrev_b32_e32 v41, 24, v69
	v_lshlrev_b32_e32 v33, 20, v33
	v_lshl_add_u32 v39, v39, 23, 0x3c000000
	v_and_b32_e32 v41, 0x80000000, v41
	v_or3_b32 v33, v33, v41, v39
	v_mov_b32_e32 v62, v34
	v_mov_b32_e32 v61, v33
.LBB218_80:                             ;   in Loop: Header=BB218_10 Depth=1
	s_or_b32 exec_lo, exec_lo, s31
.LBB218_81:                             ;   in Loop: Header=BB218_10 Depth=1
	s_or_b32 exec_lo, exec_lo, s30
.LBB218_82:                             ;   in Loop: Header=BB218_10 Depth=1
	s_or_b32 exec_lo, exec_lo, s2
	v_cmp_ne_u16_sdwa s1, v69, v34 src0_sel:BYTE_1 src1_sel:DWORD
	s_and_saveexec_b32 s2, s1
	s_cbranch_execz .LBB218_90
; %bb.83:                               ;   in Loop: Header=BB218_10 Depth=1
	v_mov_b32_e32 v39, v34
	v_mov_b32_e32 v64, v40
	v_cmp_ne_u16_sdwa s1, v69, v114 src0_sel:BYTE_1 src1_sel:DWORD
	v_mov_b32_e32 v63, v39
	s_and_saveexec_b32 s30, s1
	s_cbranch_execz .LBB218_89
; %bb.84:                               ;   in Loop: Header=BB218_10 Depth=1
	v_and_b32_sdwa v33, v115, v69 dst_sel:DWORD dst_unused:UNUSED_PAD src0_sel:DWORD src1_sel:BYTE_1
	v_mov_b32_e32 v41, v34
	v_mov_b32_e32 v64, v42
	s_mov_b32 s31, exec_lo
	v_and_b32_e32 v65, 0x7f, v33
	v_mov_b32_e32 v63, v41
	v_cmpx_ne_u32_e32 0x7f, v65
	s_cbranch_execz .LBB218_88
; %bb.85:                               ;   in Loop: Header=BB218_10 Depth=1
	v_and_b32_e32 v33, 7, v33
	v_lshrrev_b32_e32 v39, 3, v65
	s_mov_b32 s33, exec_lo
	v_cmpx_gt_u32_e32 8, v65
; %bb.86:                               ;   in Loop: Header=BB218_10 Depth=1
	v_ffbh_u32_e32 v39, v33
	v_min_u32_e32 v39, 32, v39
	v_subrev_nc_u32_e32 v41, 28, v39
	v_sub_nc_u32_e32 v39, 29, v39
	v_lshlrev_b64 v[63:64], v41, v[33:34]
	v_and_b32_e32 v33, 7, v63
; %bb.87:                               ;   in Loop: Header=BB218_10 Depth=1
	s_or_b32 exec_lo, exec_lo, s33
	v_lshlrev_b32_e32 v41, 16, v69
	v_lshlrev_b32_e32 v33, 20, v33
	v_lshl_add_u32 v39, v39, 23, 0x3c000000
	v_mov_b32_e32 v63, v34
	v_and_b32_e32 v41, 0x80000000, v41
	v_or3_b32 v64, v33, v41, v39
.LBB218_88:                             ;   in Loop: Header=BB218_10 Depth=1
	s_or_b32 exec_lo, exec_lo, s31
.LBB218_89:                             ;   in Loop: Header=BB218_10 Depth=1
	s_or_b32 exec_lo, exec_lo, s30
.LBB218_90:                             ;   in Loop: Header=BB218_10 Depth=1
	s_or_b32 exec_lo, exec_lo, s2
	v_mov_b32_e32 v67, 0
	v_mov_b32_e32 v65, 0
	v_and_b32_sdwa v33, v69, v116 dst_sel:DWORD dst_unused:UNUSED_PAD src0_sel:WORD_1 src1_sel:DWORD
	v_mov_b32_e32 v68, 0
	v_mov_b32_e32 v66, 0
	s_mov_b32 s2, exec_lo
	v_cmpx_ne_u16_e32 0, v33
	s_cbranch_execz .LBB218_98
; %bb.91:                               ;   in Loop: Header=BB218_10 Depth=1
	v_bfrev_b32_e32 v65, 1
	v_mov_b32_e32 v66, 0
	s_mov_b32 s30, exec_lo
	v_cmpx_ne_u16_e32 0x80, v33
	s_cbranch_execz .LBB218_97
; %bb.92:                               ;   in Loop: Header=BB218_10 Depth=1
	v_mov_b32_e32 v65, 0x7f800001
	v_bfe_u32 v41, v69, 16, 7
	v_mov_b32_e32 v66, 0
	s_mov_b32 s31, exec_lo
	v_cmpx_ne_u32_e32 0x7f, v41
	s_cbranch_execz .LBB218_96
; %bb.93:                               ;   in Loop: Header=BB218_10 Depth=1
	v_and_b32_sdwa v33, v69, v117 dst_sel:DWORD dst_unused:UNUSED_PAD src0_sel:WORD_1 src1_sel:DWORD
	v_lshrrev_b32_e32 v39, 3, v41
	s_mov_b32 s33, exec_lo
	v_cmpx_gt_u32_e32 8, v41
; %bb.94:                               ;   in Loop: Header=BB218_10 Depth=1
	v_ffbh_u32_e32 v39, v33
	v_min_u32_e32 v39, 32, v39
	v_subrev_nc_u32_e32 v41, 28, v39
	v_sub_nc_u32_e32 v39, 29, v39
	v_lshlrev_b64 v[65:66], v41, v[33:34]
	v_and_b32_e32 v33, 7, v65
; %bb.95:                               ;   in Loop: Header=BB218_10 Depth=1
	s_or_b32 exec_lo, exec_lo, s33
	v_lshlrev_b32_sdwa v41, v118, v69 dst_sel:DWORD dst_unused:UNUSED_PAD src0_sel:DWORD src1_sel:WORD_1
	v_lshlrev_b32_e32 v33, 20, v33
	v_lshl_add_u32 v39, v39, 23, 0x3c000000
	v_and_b32_e32 v41, 0x80000000, v41
	v_or3_b32 v33, v33, v41, v39
	v_mov_b32_e32 v66, v34
	v_mov_b32_e32 v65, v33
.LBB218_96:                             ;   in Loop: Header=BB218_10 Depth=1
	s_or_b32 exec_lo, exec_lo, s31
.LBB218_97:                             ;   in Loop: Header=BB218_10 Depth=1
	s_or_b32 exec_lo, exec_lo, s30
.LBB218_98:                             ;   in Loop: Header=BB218_10 Depth=1
	s_or_b32 exec_lo, exec_lo, s2
	s_mov_b32 s2, exec_lo
	v_cmpx_lt_u32_e32 0xffffff, v69
	s_cbranch_execz .LBB218_106
; %bb.99:                               ;   in Loop: Header=BB218_10 Depth=1
	v_mov_b32_e32 v39, v34
	v_mov_b32_e32 v68, v40
	v_cmp_ne_u32_sdwa s1, v69, v114 src0_sel:BYTE_3 src1_sel:DWORD
	v_mov_b32_e32 v67, v39
	s_and_saveexec_b32 s30, s1
	s_cbranch_execz .LBB218_105
; %bb.100:                              ;   in Loop: Header=BB218_10 Depth=1
	v_mov_b32_e32 v41, v34
	v_mov_b32_e32 v68, v42
	v_bfe_u32 v70, v69, 24, 7
	s_mov_b32 s31, exec_lo
	v_mov_b32_e32 v67, v41
	v_cmpx_ne_u32_e32 0x7f, v70
	s_cbranch_execz .LBB218_104
; %bb.101:                              ;   in Loop: Header=BB218_10 Depth=1
	v_and_b32_sdwa v33, v69, v117 dst_sel:DWORD dst_unused:UNUSED_PAD src0_sel:BYTE_3 src1_sel:DWORD
	v_lshrrev_b32_e32 v39, 3, v70
	s_mov_b32 s33, exec_lo
	v_cmpx_gt_u32_e32 8, v70
; %bb.102:                              ;   in Loop: Header=BB218_10 Depth=1
	v_ffbh_u32_e32 v39, v33
	v_min_u32_e32 v39, 32, v39
	v_subrev_nc_u32_e32 v41, 28, v39
	v_sub_nc_u32_e32 v39, 29, v39
	v_lshlrev_b64 v[67:68], v41, v[33:34]
	v_and_b32_e32 v33, 7, v67
; %bb.103:                              ;   in Loop: Header=BB218_10 Depth=1
	s_or_b32 exec_lo, exec_lo, s33
	v_lshlrev_b32_sdwa v41, v118, v69 dst_sel:DWORD dst_unused:UNUSED_PAD src0_sel:DWORD src1_sel:BYTE_3
	v_lshlrev_b32_e32 v33, 20, v33
	v_lshl_add_u32 v39, v39, 23, 0x3c000000
	v_mov_b32_e32 v67, v34
	v_and_b32_e32 v41, 0x80000000, v41
	v_or3_b32 v68, v33, v41, v39
.LBB218_104:                            ;   in Loop: Header=BB218_10 Depth=1
	s_or_b32 exec_lo, exec_lo, s31
.LBB218_105:                            ;   in Loop: Header=BB218_10 Depth=1
	s_or_b32 exec_lo, exec_lo, s30
.LBB218_106:                            ;   in Loop: Header=BB218_10 Depth=1
	s_or_b32 exec_lo, exec_lo, s2
	global_load_dword v77, v[55:56], off offset:12
	v_mov_b32_e32 v71, 0
	v_mov_b32_e32 v69, 0
	v_mov_b32_e32 v72, 0
	v_mov_b32_e32 v70, 0
	s_waitcnt vmcnt(0)
	v_cmp_ne_u16_sdwa s1, v77, v34 src0_sel:BYTE_0 src1_sel:DWORD
	s_and_saveexec_b32 s2, s1
	s_cbranch_execz .LBB218_114
; %bb.107:                              ;   in Loop: Header=BB218_10 Depth=1
	v_bfrev_b32_e32 v69, 1
	v_mov_b32_e32 v70, 0
	v_cmp_ne_u16_sdwa s1, v77, v114 src0_sel:BYTE_0 src1_sel:DWORD
	s_and_saveexec_b32 s30, s1
	s_cbranch_execz .LBB218_113
; %bb.108:                              ;   in Loop: Header=BB218_10 Depth=1
	v_mov_b32_e32 v69, 0x7f800001
	v_and_b32_e32 v41, 0x7f, v77
	v_mov_b32_e32 v70, 0
	s_mov_b32 s31, exec_lo
	v_cmpx_ne_u32_e32 0x7f, v41
	s_cbranch_execz .LBB218_112
; %bb.109:                              ;   in Loop: Header=BB218_10 Depth=1
	v_and_b32_e32 v33, 7, v77
	v_lshrrev_b32_e32 v39, 3, v41
	s_mov_b32 s33, exec_lo
	v_cmpx_gt_u32_e32 8, v41
; %bb.110:                              ;   in Loop: Header=BB218_10 Depth=1
	v_ffbh_u32_e32 v39, v33
	v_min_u32_e32 v39, 32, v39
	v_subrev_nc_u32_e32 v41, 28, v39
	v_sub_nc_u32_e32 v39, 29, v39
	v_lshlrev_b64 v[69:70], v41, v[33:34]
	v_and_b32_e32 v33, 7, v69
; %bb.111:                              ;   in Loop: Header=BB218_10 Depth=1
	s_or_b32 exec_lo, exec_lo, s33
	v_lshlrev_b32_e32 v41, 24, v77
	v_lshlrev_b32_e32 v33, 20, v33
	v_lshl_add_u32 v39, v39, 23, 0x3c000000
	v_and_b32_e32 v41, 0x80000000, v41
	v_or3_b32 v33, v33, v41, v39
	v_mov_b32_e32 v70, v34
	v_mov_b32_e32 v69, v33
.LBB218_112:                            ;   in Loop: Header=BB218_10 Depth=1
	s_or_b32 exec_lo, exec_lo, s31
.LBB218_113:                            ;   in Loop: Header=BB218_10 Depth=1
	s_or_b32 exec_lo, exec_lo, s30
.LBB218_114:                            ;   in Loop: Header=BB218_10 Depth=1
	s_or_b32 exec_lo, exec_lo, s2
	v_cmp_ne_u16_sdwa s1, v77, v34 src0_sel:BYTE_1 src1_sel:DWORD
	s_and_saveexec_b32 s2, s1
	s_cbranch_execz .LBB218_122
; %bb.115:                              ;   in Loop: Header=BB218_10 Depth=1
	v_mov_b32_e32 v39, v34
	v_mov_b32_e32 v72, v40
	v_cmp_ne_u16_sdwa s1, v77, v114 src0_sel:BYTE_1 src1_sel:DWORD
	v_mov_b32_e32 v71, v39
	s_and_saveexec_b32 s30, s1
	s_cbranch_execz .LBB218_121
; %bb.116:                              ;   in Loop: Header=BB218_10 Depth=1
	v_and_b32_sdwa v33, v115, v77 dst_sel:DWORD dst_unused:UNUSED_PAD src0_sel:DWORD src1_sel:BYTE_1
	v_mov_b32_e32 v41, v34
	v_mov_b32_e32 v72, v42
	s_mov_b32 s31, exec_lo
	v_and_b32_e32 v73, 0x7f, v33
	v_mov_b32_e32 v71, v41
	v_cmpx_ne_u32_e32 0x7f, v73
	s_cbranch_execz .LBB218_120
; %bb.117:                              ;   in Loop: Header=BB218_10 Depth=1
	v_and_b32_e32 v33, 7, v33
	v_lshrrev_b32_e32 v39, 3, v73
	s_mov_b32 s33, exec_lo
	v_cmpx_gt_u32_e32 8, v73
; %bb.118:                              ;   in Loop: Header=BB218_10 Depth=1
	v_ffbh_u32_e32 v39, v33
	v_min_u32_e32 v39, 32, v39
	v_subrev_nc_u32_e32 v41, 28, v39
	v_sub_nc_u32_e32 v39, 29, v39
	v_lshlrev_b64 v[71:72], v41, v[33:34]
	v_and_b32_e32 v33, 7, v71
; %bb.119:                              ;   in Loop: Header=BB218_10 Depth=1
	s_or_b32 exec_lo, exec_lo, s33
	v_lshlrev_b32_e32 v41, 16, v77
	v_lshlrev_b32_e32 v33, 20, v33
	v_lshl_add_u32 v39, v39, 23, 0x3c000000
	v_mov_b32_e32 v71, v34
	v_and_b32_e32 v41, 0x80000000, v41
	v_or3_b32 v72, v33, v41, v39
.LBB218_120:                            ;   in Loop: Header=BB218_10 Depth=1
	s_or_b32 exec_lo, exec_lo, s31
.LBB218_121:                            ;   in Loop: Header=BB218_10 Depth=1
	s_or_b32 exec_lo, exec_lo, s30
.LBB218_122:                            ;   in Loop: Header=BB218_10 Depth=1
	s_or_b32 exec_lo, exec_lo, s2
	v_mov_b32_e32 v75, 0
	v_mov_b32_e32 v73, 0
	v_and_b32_sdwa v33, v77, v116 dst_sel:DWORD dst_unused:UNUSED_PAD src0_sel:WORD_1 src1_sel:DWORD
	v_mov_b32_e32 v76, 0
	v_mov_b32_e32 v74, 0
	s_mov_b32 s2, exec_lo
	v_cmpx_ne_u16_e32 0, v33
	s_cbranch_execz .LBB218_130
; %bb.123:                              ;   in Loop: Header=BB218_10 Depth=1
	v_bfrev_b32_e32 v73, 1
	v_mov_b32_e32 v74, 0
	s_mov_b32 s30, exec_lo
	v_cmpx_ne_u16_e32 0x80, v33
	s_cbranch_execz .LBB218_129
; %bb.124:                              ;   in Loop: Header=BB218_10 Depth=1
	v_mov_b32_e32 v73, 0x7f800001
	v_bfe_u32 v41, v77, 16, 7
	v_mov_b32_e32 v74, 0
	s_mov_b32 s31, exec_lo
	v_cmpx_ne_u32_e32 0x7f, v41
	s_cbranch_execz .LBB218_128
; %bb.125:                              ;   in Loop: Header=BB218_10 Depth=1
	v_and_b32_sdwa v33, v77, v117 dst_sel:DWORD dst_unused:UNUSED_PAD src0_sel:WORD_1 src1_sel:DWORD
	v_lshrrev_b32_e32 v39, 3, v41
	s_mov_b32 s33, exec_lo
	v_cmpx_gt_u32_e32 8, v41
; %bb.126:                              ;   in Loop: Header=BB218_10 Depth=1
	v_ffbh_u32_e32 v39, v33
	v_min_u32_e32 v39, 32, v39
	v_subrev_nc_u32_e32 v41, 28, v39
	v_sub_nc_u32_e32 v39, 29, v39
	v_lshlrev_b64 v[73:74], v41, v[33:34]
	v_and_b32_e32 v33, 7, v73
; %bb.127:                              ;   in Loop: Header=BB218_10 Depth=1
	s_or_b32 exec_lo, exec_lo, s33
	v_lshlrev_b32_sdwa v41, v118, v77 dst_sel:DWORD dst_unused:UNUSED_PAD src0_sel:DWORD src1_sel:WORD_1
	v_lshlrev_b32_e32 v33, 20, v33
	v_lshl_add_u32 v39, v39, 23, 0x3c000000
	v_and_b32_e32 v41, 0x80000000, v41
	v_or3_b32 v33, v33, v41, v39
	v_mov_b32_e32 v74, v34
	v_mov_b32_e32 v73, v33
.LBB218_128:                            ;   in Loop: Header=BB218_10 Depth=1
	s_or_b32 exec_lo, exec_lo, s31
.LBB218_129:                            ;   in Loop: Header=BB218_10 Depth=1
	s_or_b32 exec_lo, exec_lo, s30
.LBB218_130:                            ;   in Loop: Header=BB218_10 Depth=1
	s_or_b32 exec_lo, exec_lo, s2
	s_mov_b32 s2, exec_lo
	v_cmpx_lt_u32_e32 0xffffff, v77
	s_cbranch_execz .LBB218_138
; %bb.131:                              ;   in Loop: Header=BB218_10 Depth=1
	v_mov_b32_e32 v39, v34
	v_mov_b32_e32 v76, v40
	v_cmp_ne_u32_sdwa s1, v77, v114 src0_sel:BYTE_3 src1_sel:DWORD
	v_mov_b32_e32 v75, v39
	s_and_saveexec_b32 s30, s1
	s_cbranch_execz .LBB218_137
; %bb.132:                              ;   in Loop: Header=BB218_10 Depth=1
	v_mov_b32_e32 v41, v34
	v_mov_b32_e32 v76, v42
	v_bfe_u32 v78, v77, 24, 7
	s_mov_b32 s31, exec_lo
	v_mov_b32_e32 v75, v41
	v_cmpx_ne_u32_e32 0x7f, v78
	s_cbranch_execz .LBB218_136
; %bb.133:                              ;   in Loop: Header=BB218_10 Depth=1
	v_and_b32_sdwa v33, v77, v117 dst_sel:DWORD dst_unused:UNUSED_PAD src0_sel:BYTE_3 src1_sel:DWORD
	v_lshrrev_b32_e32 v39, 3, v78
	s_mov_b32 s33, exec_lo
	v_cmpx_gt_u32_e32 8, v78
; %bb.134:                              ;   in Loop: Header=BB218_10 Depth=1
	v_ffbh_u32_e32 v39, v33
	v_min_u32_e32 v39, 32, v39
	v_subrev_nc_u32_e32 v41, 28, v39
	v_sub_nc_u32_e32 v39, 29, v39
	v_lshlrev_b64 v[75:76], v41, v[33:34]
	v_and_b32_e32 v33, 7, v75
; %bb.135:                              ;   in Loop: Header=BB218_10 Depth=1
	s_or_b32 exec_lo, exec_lo, s33
	v_lshlrev_b32_sdwa v41, v118, v77 dst_sel:DWORD dst_unused:UNUSED_PAD src0_sel:DWORD src1_sel:BYTE_3
	v_lshlrev_b32_e32 v33, 20, v33
	v_lshl_add_u32 v39, v39, 23, 0x3c000000
	v_mov_b32_e32 v75, v34
	v_and_b32_e32 v41, 0x80000000, v41
	v_or3_b32 v76, v33, v41, v39
.LBB218_136:                            ;   in Loop: Header=BB218_10 Depth=1
	s_or_b32 exec_lo, exec_lo, s31
.LBB218_137:                            ;   in Loop: Header=BB218_10 Depth=1
	s_or_b32 exec_lo, exec_lo, s30
.LBB218_138:                            ;   in Loop: Header=BB218_10 Depth=1
	s_or_b32 exec_lo, exec_lo, s2
	global_load_dword v85, v[55:56], off offset:512
	v_mov_b32_e32 v79, 0
	v_mov_b32_e32 v77, 0
	;; [unrolled: 1-line block ×4, first 2 shown]
	s_waitcnt vmcnt(0)
	v_cmp_ne_u16_sdwa s1, v85, v34 src0_sel:BYTE_0 src1_sel:DWORD
	s_and_saveexec_b32 s2, s1
	s_cbranch_execz .LBB218_146
; %bb.139:                              ;   in Loop: Header=BB218_10 Depth=1
	v_bfrev_b32_e32 v77, 1
	v_mov_b32_e32 v78, 0
	v_cmp_ne_u16_sdwa s1, v85, v114 src0_sel:BYTE_0 src1_sel:DWORD
	s_and_saveexec_b32 s30, s1
	s_cbranch_execz .LBB218_145
; %bb.140:                              ;   in Loop: Header=BB218_10 Depth=1
	v_mov_b32_e32 v77, 0x7f800001
	v_and_b32_e32 v41, 0x7f, v85
	v_mov_b32_e32 v78, 0
	s_mov_b32 s31, exec_lo
	v_cmpx_ne_u32_e32 0x7f, v41
	s_cbranch_execz .LBB218_144
; %bb.141:                              ;   in Loop: Header=BB218_10 Depth=1
	v_and_b32_e32 v33, 7, v85
	v_lshrrev_b32_e32 v39, 3, v41
	s_mov_b32 s33, exec_lo
	v_cmpx_gt_u32_e32 8, v41
; %bb.142:                              ;   in Loop: Header=BB218_10 Depth=1
	v_ffbh_u32_e32 v39, v33
	v_min_u32_e32 v39, 32, v39
	v_subrev_nc_u32_e32 v41, 28, v39
	v_sub_nc_u32_e32 v39, 29, v39
	v_lshlrev_b64 v[77:78], v41, v[33:34]
	v_and_b32_e32 v33, 7, v77
; %bb.143:                              ;   in Loop: Header=BB218_10 Depth=1
	s_or_b32 exec_lo, exec_lo, s33
	v_lshlrev_b32_e32 v41, 24, v85
	v_lshlrev_b32_e32 v33, 20, v33
	v_lshl_add_u32 v39, v39, 23, 0x3c000000
	v_and_b32_e32 v41, 0x80000000, v41
	v_or3_b32 v33, v33, v41, v39
	v_mov_b32_e32 v78, v34
	v_mov_b32_e32 v77, v33
.LBB218_144:                            ;   in Loop: Header=BB218_10 Depth=1
	s_or_b32 exec_lo, exec_lo, s31
.LBB218_145:                            ;   in Loop: Header=BB218_10 Depth=1
	s_or_b32 exec_lo, exec_lo, s30
.LBB218_146:                            ;   in Loop: Header=BB218_10 Depth=1
	s_or_b32 exec_lo, exec_lo, s2
	v_cmp_ne_u16_sdwa s1, v85, v34 src0_sel:BYTE_1 src1_sel:DWORD
	s_and_saveexec_b32 s2, s1
	s_cbranch_execz .LBB218_154
; %bb.147:                              ;   in Loop: Header=BB218_10 Depth=1
	v_mov_b32_e32 v39, v34
	v_mov_b32_e32 v80, v40
	v_cmp_ne_u16_sdwa s1, v85, v114 src0_sel:BYTE_1 src1_sel:DWORD
	v_mov_b32_e32 v79, v39
	s_and_saveexec_b32 s30, s1
	s_cbranch_execz .LBB218_153
; %bb.148:                              ;   in Loop: Header=BB218_10 Depth=1
	v_and_b32_sdwa v33, v115, v85 dst_sel:DWORD dst_unused:UNUSED_PAD src0_sel:DWORD src1_sel:BYTE_1
	v_mov_b32_e32 v41, v34
	v_mov_b32_e32 v80, v42
	s_mov_b32 s31, exec_lo
	v_and_b32_e32 v81, 0x7f, v33
	v_mov_b32_e32 v79, v41
	v_cmpx_ne_u32_e32 0x7f, v81
	s_cbranch_execz .LBB218_152
; %bb.149:                              ;   in Loop: Header=BB218_10 Depth=1
	v_and_b32_e32 v33, 7, v33
	v_lshrrev_b32_e32 v39, 3, v81
	s_mov_b32 s33, exec_lo
	v_cmpx_gt_u32_e32 8, v81
; %bb.150:                              ;   in Loop: Header=BB218_10 Depth=1
	v_ffbh_u32_e32 v39, v33
	v_min_u32_e32 v39, 32, v39
	v_subrev_nc_u32_e32 v41, 28, v39
	v_sub_nc_u32_e32 v39, 29, v39
	v_lshlrev_b64 v[79:80], v41, v[33:34]
	v_and_b32_e32 v33, 7, v79
; %bb.151:                              ;   in Loop: Header=BB218_10 Depth=1
	s_or_b32 exec_lo, exec_lo, s33
	v_lshlrev_b32_e32 v41, 16, v85
	v_lshlrev_b32_e32 v33, 20, v33
	v_lshl_add_u32 v39, v39, 23, 0x3c000000
	v_mov_b32_e32 v79, v34
	v_and_b32_e32 v41, 0x80000000, v41
	v_or3_b32 v80, v33, v41, v39
.LBB218_152:                            ;   in Loop: Header=BB218_10 Depth=1
	s_or_b32 exec_lo, exec_lo, s31
.LBB218_153:                            ;   in Loop: Header=BB218_10 Depth=1
	s_or_b32 exec_lo, exec_lo, s30
.LBB218_154:                            ;   in Loop: Header=BB218_10 Depth=1
	s_or_b32 exec_lo, exec_lo, s2
	v_mov_b32_e32 v83, 0
	v_mov_b32_e32 v81, 0
	v_and_b32_sdwa v33, v85, v116 dst_sel:DWORD dst_unused:UNUSED_PAD src0_sel:WORD_1 src1_sel:DWORD
	v_mov_b32_e32 v84, 0
	v_mov_b32_e32 v82, 0
	s_mov_b32 s2, exec_lo
	v_cmpx_ne_u16_e32 0, v33
	s_cbranch_execz .LBB218_162
; %bb.155:                              ;   in Loop: Header=BB218_10 Depth=1
	v_bfrev_b32_e32 v81, 1
	v_mov_b32_e32 v82, 0
	s_mov_b32 s30, exec_lo
	v_cmpx_ne_u16_e32 0x80, v33
	s_cbranch_execz .LBB218_161
; %bb.156:                              ;   in Loop: Header=BB218_10 Depth=1
	v_mov_b32_e32 v81, 0x7f800001
	v_bfe_u32 v41, v85, 16, 7
	v_mov_b32_e32 v82, 0
	s_mov_b32 s31, exec_lo
	v_cmpx_ne_u32_e32 0x7f, v41
	s_cbranch_execz .LBB218_160
; %bb.157:                              ;   in Loop: Header=BB218_10 Depth=1
	v_and_b32_sdwa v33, v85, v117 dst_sel:DWORD dst_unused:UNUSED_PAD src0_sel:WORD_1 src1_sel:DWORD
	v_lshrrev_b32_e32 v39, 3, v41
	s_mov_b32 s33, exec_lo
	v_cmpx_gt_u32_e32 8, v41
; %bb.158:                              ;   in Loop: Header=BB218_10 Depth=1
	v_ffbh_u32_e32 v39, v33
	v_min_u32_e32 v39, 32, v39
	v_subrev_nc_u32_e32 v41, 28, v39
	v_sub_nc_u32_e32 v39, 29, v39
	v_lshlrev_b64 v[81:82], v41, v[33:34]
	v_and_b32_e32 v33, 7, v81
; %bb.159:                              ;   in Loop: Header=BB218_10 Depth=1
	s_or_b32 exec_lo, exec_lo, s33
	v_lshlrev_b32_sdwa v41, v118, v85 dst_sel:DWORD dst_unused:UNUSED_PAD src0_sel:DWORD src1_sel:WORD_1
	v_lshlrev_b32_e32 v33, 20, v33
	v_lshl_add_u32 v39, v39, 23, 0x3c000000
	v_and_b32_e32 v41, 0x80000000, v41
	v_or3_b32 v33, v33, v41, v39
	v_mov_b32_e32 v82, v34
	v_mov_b32_e32 v81, v33
.LBB218_160:                            ;   in Loop: Header=BB218_10 Depth=1
	s_or_b32 exec_lo, exec_lo, s31
.LBB218_161:                            ;   in Loop: Header=BB218_10 Depth=1
	s_or_b32 exec_lo, exec_lo, s30
.LBB218_162:                            ;   in Loop: Header=BB218_10 Depth=1
	s_or_b32 exec_lo, exec_lo, s2
	s_mov_b32 s2, exec_lo
	v_cmpx_lt_u32_e32 0xffffff, v85
	s_cbranch_execz .LBB218_170
; %bb.163:                              ;   in Loop: Header=BB218_10 Depth=1
	v_mov_b32_e32 v39, v34
	v_mov_b32_e32 v84, v40
	v_cmp_ne_u32_sdwa s1, v85, v114 src0_sel:BYTE_3 src1_sel:DWORD
	v_mov_b32_e32 v83, v39
	s_and_saveexec_b32 s30, s1
	s_cbranch_execz .LBB218_169
; %bb.164:                              ;   in Loop: Header=BB218_10 Depth=1
	v_mov_b32_e32 v41, v34
	v_mov_b32_e32 v84, v42
	v_bfe_u32 v86, v85, 24, 7
	s_mov_b32 s31, exec_lo
	v_mov_b32_e32 v83, v41
	v_cmpx_ne_u32_e32 0x7f, v86
	s_cbranch_execz .LBB218_168
; %bb.165:                              ;   in Loop: Header=BB218_10 Depth=1
	v_and_b32_sdwa v33, v85, v117 dst_sel:DWORD dst_unused:UNUSED_PAD src0_sel:BYTE_3 src1_sel:DWORD
	v_lshrrev_b32_e32 v39, 3, v86
	s_mov_b32 s33, exec_lo
	v_cmpx_gt_u32_e32 8, v86
; %bb.166:                              ;   in Loop: Header=BB218_10 Depth=1
	v_ffbh_u32_e32 v39, v33
	v_min_u32_e32 v39, 32, v39
	v_subrev_nc_u32_e32 v41, 28, v39
	v_sub_nc_u32_e32 v39, 29, v39
	v_lshlrev_b64 v[83:84], v41, v[33:34]
	v_and_b32_e32 v33, 7, v83
; %bb.167:                              ;   in Loop: Header=BB218_10 Depth=1
	s_or_b32 exec_lo, exec_lo, s33
	v_lshlrev_b32_sdwa v41, v118, v85 dst_sel:DWORD dst_unused:UNUSED_PAD src0_sel:DWORD src1_sel:BYTE_3
	v_lshlrev_b32_e32 v33, 20, v33
	v_lshl_add_u32 v39, v39, 23, 0x3c000000
	v_mov_b32_e32 v83, v34
	v_and_b32_e32 v41, 0x80000000, v41
	v_or3_b32 v84, v33, v41, v39
.LBB218_168:                            ;   in Loop: Header=BB218_10 Depth=1
	s_or_b32 exec_lo, exec_lo, s31
.LBB218_169:                            ;   in Loop: Header=BB218_10 Depth=1
	s_or_b32 exec_lo, exec_lo, s30
.LBB218_170:                            ;   in Loop: Header=BB218_10 Depth=1
	s_or_b32 exec_lo, exec_lo, s2
	global_load_dword v93, v[55:56], off offset:516
	v_mov_b32_e32 v87, 0
	v_mov_b32_e32 v85, 0
	;; [unrolled: 1-line block ×4, first 2 shown]
	s_waitcnt vmcnt(0)
	v_cmp_ne_u16_sdwa s1, v93, v34 src0_sel:BYTE_0 src1_sel:DWORD
	s_and_saveexec_b32 s2, s1
	s_cbranch_execz .LBB218_178
; %bb.171:                              ;   in Loop: Header=BB218_10 Depth=1
	v_bfrev_b32_e32 v85, 1
	v_mov_b32_e32 v86, 0
	v_cmp_ne_u16_sdwa s1, v93, v114 src0_sel:BYTE_0 src1_sel:DWORD
	s_and_saveexec_b32 s30, s1
	s_cbranch_execz .LBB218_177
; %bb.172:                              ;   in Loop: Header=BB218_10 Depth=1
	v_mov_b32_e32 v85, 0x7f800001
	v_and_b32_e32 v41, 0x7f, v93
	v_mov_b32_e32 v86, 0
	s_mov_b32 s31, exec_lo
	v_cmpx_ne_u32_e32 0x7f, v41
	s_cbranch_execz .LBB218_176
; %bb.173:                              ;   in Loop: Header=BB218_10 Depth=1
	v_and_b32_e32 v33, 7, v93
	v_lshrrev_b32_e32 v39, 3, v41
	s_mov_b32 s33, exec_lo
	v_cmpx_gt_u32_e32 8, v41
; %bb.174:                              ;   in Loop: Header=BB218_10 Depth=1
	v_ffbh_u32_e32 v39, v33
	v_min_u32_e32 v39, 32, v39
	v_subrev_nc_u32_e32 v41, 28, v39
	v_sub_nc_u32_e32 v39, 29, v39
	v_lshlrev_b64 v[85:86], v41, v[33:34]
	v_and_b32_e32 v33, 7, v85
; %bb.175:                              ;   in Loop: Header=BB218_10 Depth=1
	s_or_b32 exec_lo, exec_lo, s33
	v_lshlrev_b32_e32 v41, 24, v93
	v_lshlrev_b32_e32 v33, 20, v33
	v_lshl_add_u32 v39, v39, 23, 0x3c000000
	v_and_b32_e32 v41, 0x80000000, v41
	v_or3_b32 v33, v33, v41, v39
	v_mov_b32_e32 v86, v34
	v_mov_b32_e32 v85, v33
.LBB218_176:                            ;   in Loop: Header=BB218_10 Depth=1
	s_or_b32 exec_lo, exec_lo, s31
.LBB218_177:                            ;   in Loop: Header=BB218_10 Depth=1
	s_or_b32 exec_lo, exec_lo, s30
.LBB218_178:                            ;   in Loop: Header=BB218_10 Depth=1
	s_or_b32 exec_lo, exec_lo, s2
	v_cmp_ne_u16_sdwa s1, v93, v34 src0_sel:BYTE_1 src1_sel:DWORD
	s_and_saveexec_b32 s2, s1
	s_cbranch_execz .LBB218_186
; %bb.179:                              ;   in Loop: Header=BB218_10 Depth=1
	v_mov_b32_e32 v39, v34
	v_mov_b32_e32 v88, v40
	v_cmp_ne_u16_sdwa s1, v93, v114 src0_sel:BYTE_1 src1_sel:DWORD
	v_mov_b32_e32 v87, v39
	s_and_saveexec_b32 s30, s1
	s_cbranch_execz .LBB218_185
; %bb.180:                              ;   in Loop: Header=BB218_10 Depth=1
	v_and_b32_sdwa v33, v115, v93 dst_sel:DWORD dst_unused:UNUSED_PAD src0_sel:DWORD src1_sel:BYTE_1
	v_mov_b32_e32 v41, v34
	v_mov_b32_e32 v88, v42
	s_mov_b32 s31, exec_lo
	v_and_b32_e32 v89, 0x7f, v33
	v_mov_b32_e32 v87, v41
	v_cmpx_ne_u32_e32 0x7f, v89
	s_cbranch_execz .LBB218_184
; %bb.181:                              ;   in Loop: Header=BB218_10 Depth=1
	v_and_b32_e32 v33, 7, v33
	v_lshrrev_b32_e32 v39, 3, v89
	s_mov_b32 s33, exec_lo
	v_cmpx_gt_u32_e32 8, v89
; %bb.182:                              ;   in Loop: Header=BB218_10 Depth=1
	v_ffbh_u32_e32 v39, v33
	v_min_u32_e32 v39, 32, v39
	v_subrev_nc_u32_e32 v41, 28, v39
	v_sub_nc_u32_e32 v39, 29, v39
	v_lshlrev_b64 v[87:88], v41, v[33:34]
	v_and_b32_e32 v33, 7, v87
; %bb.183:                              ;   in Loop: Header=BB218_10 Depth=1
	s_or_b32 exec_lo, exec_lo, s33
	v_lshlrev_b32_e32 v41, 16, v93
	v_lshlrev_b32_e32 v33, 20, v33
	v_lshl_add_u32 v39, v39, 23, 0x3c000000
	v_mov_b32_e32 v87, v34
	v_and_b32_e32 v41, 0x80000000, v41
	v_or3_b32 v88, v33, v41, v39
.LBB218_184:                            ;   in Loop: Header=BB218_10 Depth=1
	s_or_b32 exec_lo, exec_lo, s31
.LBB218_185:                            ;   in Loop: Header=BB218_10 Depth=1
	s_or_b32 exec_lo, exec_lo, s30
.LBB218_186:                            ;   in Loop: Header=BB218_10 Depth=1
	s_or_b32 exec_lo, exec_lo, s2
	v_mov_b32_e32 v91, 0
	v_mov_b32_e32 v89, 0
	v_and_b32_sdwa v33, v93, v116 dst_sel:DWORD dst_unused:UNUSED_PAD src0_sel:WORD_1 src1_sel:DWORD
	v_mov_b32_e32 v92, 0
	v_mov_b32_e32 v90, 0
	s_mov_b32 s2, exec_lo
	v_cmpx_ne_u16_e32 0, v33
	s_cbranch_execz .LBB218_194
; %bb.187:                              ;   in Loop: Header=BB218_10 Depth=1
	v_bfrev_b32_e32 v89, 1
	v_mov_b32_e32 v90, 0
	s_mov_b32 s30, exec_lo
	v_cmpx_ne_u16_e32 0x80, v33
	s_cbranch_execz .LBB218_193
; %bb.188:                              ;   in Loop: Header=BB218_10 Depth=1
	v_mov_b32_e32 v89, 0x7f800001
	v_bfe_u32 v41, v93, 16, 7
	v_mov_b32_e32 v90, 0
	s_mov_b32 s31, exec_lo
	v_cmpx_ne_u32_e32 0x7f, v41
	s_cbranch_execz .LBB218_192
; %bb.189:                              ;   in Loop: Header=BB218_10 Depth=1
	v_and_b32_sdwa v33, v93, v117 dst_sel:DWORD dst_unused:UNUSED_PAD src0_sel:WORD_1 src1_sel:DWORD
	v_lshrrev_b32_e32 v39, 3, v41
	s_mov_b32 s33, exec_lo
	v_cmpx_gt_u32_e32 8, v41
; %bb.190:                              ;   in Loop: Header=BB218_10 Depth=1
	v_ffbh_u32_e32 v39, v33
	v_min_u32_e32 v39, 32, v39
	v_subrev_nc_u32_e32 v41, 28, v39
	v_sub_nc_u32_e32 v39, 29, v39
	v_lshlrev_b64 v[89:90], v41, v[33:34]
	v_and_b32_e32 v33, 7, v89
; %bb.191:                              ;   in Loop: Header=BB218_10 Depth=1
	s_or_b32 exec_lo, exec_lo, s33
	v_lshlrev_b32_sdwa v41, v118, v93 dst_sel:DWORD dst_unused:UNUSED_PAD src0_sel:DWORD src1_sel:WORD_1
	v_lshlrev_b32_e32 v33, 20, v33
	v_lshl_add_u32 v39, v39, 23, 0x3c000000
	v_and_b32_e32 v41, 0x80000000, v41
	v_or3_b32 v33, v33, v41, v39
	v_mov_b32_e32 v90, v34
	v_mov_b32_e32 v89, v33
.LBB218_192:                            ;   in Loop: Header=BB218_10 Depth=1
	s_or_b32 exec_lo, exec_lo, s31
.LBB218_193:                            ;   in Loop: Header=BB218_10 Depth=1
	s_or_b32 exec_lo, exec_lo, s30
.LBB218_194:                            ;   in Loop: Header=BB218_10 Depth=1
	s_or_b32 exec_lo, exec_lo, s2
	s_mov_b32 s2, exec_lo
	v_cmpx_lt_u32_e32 0xffffff, v93
	s_cbranch_execz .LBB218_202
; %bb.195:                              ;   in Loop: Header=BB218_10 Depth=1
	v_mov_b32_e32 v39, v34
	v_mov_b32_e32 v92, v40
	v_cmp_ne_u32_sdwa s1, v93, v114 src0_sel:BYTE_3 src1_sel:DWORD
	v_mov_b32_e32 v91, v39
	s_and_saveexec_b32 s30, s1
	s_cbranch_execz .LBB218_201
; %bb.196:                              ;   in Loop: Header=BB218_10 Depth=1
	v_mov_b32_e32 v41, v34
	v_mov_b32_e32 v92, v42
	v_bfe_u32 v94, v93, 24, 7
	s_mov_b32 s31, exec_lo
	v_mov_b32_e32 v91, v41
	v_cmpx_ne_u32_e32 0x7f, v94
	s_cbranch_execz .LBB218_200
; %bb.197:                              ;   in Loop: Header=BB218_10 Depth=1
	v_and_b32_sdwa v33, v93, v117 dst_sel:DWORD dst_unused:UNUSED_PAD src0_sel:BYTE_3 src1_sel:DWORD
	v_lshrrev_b32_e32 v39, 3, v94
	s_mov_b32 s33, exec_lo
	v_cmpx_gt_u32_e32 8, v94
; %bb.198:                              ;   in Loop: Header=BB218_10 Depth=1
	v_ffbh_u32_e32 v39, v33
	v_min_u32_e32 v39, 32, v39
	v_subrev_nc_u32_e32 v41, 28, v39
	v_sub_nc_u32_e32 v39, 29, v39
	v_lshlrev_b64 v[91:92], v41, v[33:34]
	v_and_b32_e32 v33, 7, v91
; %bb.199:                              ;   in Loop: Header=BB218_10 Depth=1
	s_or_b32 exec_lo, exec_lo, s33
	v_lshlrev_b32_sdwa v41, v118, v93 dst_sel:DWORD dst_unused:UNUSED_PAD src0_sel:DWORD src1_sel:BYTE_3
	v_lshlrev_b32_e32 v33, 20, v33
	v_lshl_add_u32 v39, v39, 23, 0x3c000000
	v_mov_b32_e32 v91, v34
	v_and_b32_e32 v41, 0x80000000, v41
	v_or3_b32 v92, v33, v41, v39
.LBB218_200:                            ;   in Loop: Header=BB218_10 Depth=1
	s_or_b32 exec_lo, exec_lo, s31
.LBB218_201:                            ;   in Loop: Header=BB218_10 Depth=1
	s_or_b32 exec_lo, exec_lo, s30
.LBB218_202:                            ;   in Loop: Header=BB218_10 Depth=1
	s_or_b32 exec_lo, exec_lo, s2
	global_load_dword v101, v[55:56], off offset:520
	v_mov_b32_e32 v95, 0
	v_mov_b32_e32 v93, 0
	;; [unrolled: 1-line block ×4, first 2 shown]
	s_waitcnt vmcnt(0)
	v_cmp_ne_u16_sdwa s1, v101, v34 src0_sel:BYTE_0 src1_sel:DWORD
	s_and_saveexec_b32 s2, s1
	s_cbranch_execz .LBB218_210
; %bb.203:                              ;   in Loop: Header=BB218_10 Depth=1
	v_bfrev_b32_e32 v93, 1
	v_mov_b32_e32 v94, 0
	v_cmp_ne_u16_sdwa s1, v101, v114 src0_sel:BYTE_0 src1_sel:DWORD
	s_and_saveexec_b32 s30, s1
	s_cbranch_execz .LBB218_209
; %bb.204:                              ;   in Loop: Header=BB218_10 Depth=1
	v_mov_b32_e32 v93, 0x7f800001
	v_and_b32_e32 v41, 0x7f, v101
	v_mov_b32_e32 v94, 0
	s_mov_b32 s31, exec_lo
	v_cmpx_ne_u32_e32 0x7f, v41
	s_cbranch_execz .LBB218_208
; %bb.205:                              ;   in Loop: Header=BB218_10 Depth=1
	v_and_b32_e32 v33, 7, v101
	v_lshrrev_b32_e32 v39, 3, v41
	s_mov_b32 s33, exec_lo
	v_cmpx_gt_u32_e32 8, v41
; %bb.206:                              ;   in Loop: Header=BB218_10 Depth=1
	v_ffbh_u32_e32 v39, v33
	v_min_u32_e32 v39, 32, v39
	v_subrev_nc_u32_e32 v41, 28, v39
	v_sub_nc_u32_e32 v39, 29, v39
	v_lshlrev_b64 v[93:94], v41, v[33:34]
	v_and_b32_e32 v33, 7, v93
; %bb.207:                              ;   in Loop: Header=BB218_10 Depth=1
	s_or_b32 exec_lo, exec_lo, s33
	v_lshlrev_b32_e32 v41, 24, v101
	v_lshlrev_b32_e32 v33, 20, v33
	v_lshl_add_u32 v39, v39, 23, 0x3c000000
	v_and_b32_e32 v41, 0x80000000, v41
	v_or3_b32 v33, v33, v41, v39
	v_mov_b32_e32 v94, v34
	v_mov_b32_e32 v93, v33
.LBB218_208:                            ;   in Loop: Header=BB218_10 Depth=1
	s_or_b32 exec_lo, exec_lo, s31
.LBB218_209:                            ;   in Loop: Header=BB218_10 Depth=1
	s_or_b32 exec_lo, exec_lo, s30
.LBB218_210:                            ;   in Loop: Header=BB218_10 Depth=1
	s_or_b32 exec_lo, exec_lo, s2
	v_cmp_ne_u16_sdwa s1, v101, v34 src0_sel:BYTE_1 src1_sel:DWORD
	s_and_saveexec_b32 s2, s1
	s_cbranch_execz .LBB218_218
; %bb.211:                              ;   in Loop: Header=BB218_10 Depth=1
	v_mov_b32_e32 v39, v34
	v_mov_b32_e32 v96, v40
	v_cmp_ne_u16_sdwa s1, v101, v114 src0_sel:BYTE_1 src1_sel:DWORD
	v_mov_b32_e32 v95, v39
	s_and_saveexec_b32 s30, s1
	s_cbranch_execz .LBB218_217
; %bb.212:                              ;   in Loop: Header=BB218_10 Depth=1
	v_and_b32_sdwa v33, v115, v101 dst_sel:DWORD dst_unused:UNUSED_PAD src0_sel:DWORD src1_sel:BYTE_1
	v_mov_b32_e32 v41, v34
	v_mov_b32_e32 v96, v42
	s_mov_b32 s31, exec_lo
	v_and_b32_e32 v97, 0x7f, v33
	v_mov_b32_e32 v95, v41
	v_cmpx_ne_u32_e32 0x7f, v97
	s_cbranch_execz .LBB218_216
; %bb.213:                              ;   in Loop: Header=BB218_10 Depth=1
	v_and_b32_e32 v33, 7, v33
	v_lshrrev_b32_e32 v39, 3, v97
	s_mov_b32 s33, exec_lo
	v_cmpx_gt_u32_e32 8, v97
; %bb.214:                              ;   in Loop: Header=BB218_10 Depth=1
	v_ffbh_u32_e32 v39, v33
	v_min_u32_e32 v39, 32, v39
	v_subrev_nc_u32_e32 v41, 28, v39
	v_sub_nc_u32_e32 v39, 29, v39
	v_lshlrev_b64 v[95:96], v41, v[33:34]
	v_and_b32_e32 v33, 7, v95
; %bb.215:                              ;   in Loop: Header=BB218_10 Depth=1
	s_or_b32 exec_lo, exec_lo, s33
	v_lshlrev_b32_e32 v41, 16, v101
	v_lshlrev_b32_e32 v33, 20, v33
	v_lshl_add_u32 v39, v39, 23, 0x3c000000
	v_mov_b32_e32 v95, v34
	v_and_b32_e32 v41, 0x80000000, v41
	v_or3_b32 v96, v33, v41, v39
.LBB218_216:                            ;   in Loop: Header=BB218_10 Depth=1
	s_or_b32 exec_lo, exec_lo, s31
.LBB218_217:                            ;   in Loop: Header=BB218_10 Depth=1
	s_or_b32 exec_lo, exec_lo, s30
.LBB218_218:                            ;   in Loop: Header=BB218_10 Depth=1
	s_or_b32 exec_lo, exec_lo, s2
	v_mov_b32_e32 v99, 0
	v_mov_b32_e32 v97, 0
	v_and_b32_sdwa v33, v101, v116 dst_sel:DWORD dst_unused:UNUSED_PAD src0_sel:WORD_1 src1_sel:DWORD
	v_mov_b32_e32 v100, 0
	v_mov_b32_e32 v98, 0
	s_mov_b32 s2, exec_lo
	v_cmpx_ne_u16_e32 0, v33
	s_cbranch_execz .LBB218_226
; %bb.219:                              ;   in Loop: Header=BB218_10 Depth=1
	v_bfrev_b32_e32 v97, 1
	v_mov_b32_e32 v98, 0
	s_mov_b32 s30, exec_lo
	v_cmpx_ne_u16_e32 0x80, v33
	s_cbranch_execz .LBB218_225
; %bb.220:                              ;   in Loop: Header=BB218_10 Depth=1
	v_mov_b32_e32 v97, 0x7f800001
	v_bfe_u32 v41, v101, 16, 7
	v_mov_b32_e32 v98, 0
	s_mov_b32 s31, exec_lo
	v_cmpx_ne_u32_e32 0x7f, v41
	s_cbranch_execz .LBB218_224
; %bb.221:                              ;   in Loop: Header=BB218_10 Depth=1
	v_and_b32_sdwa v33, v101, v117 dst_sel:DWORD dst_unused:UNUSED_PAD src0_sel:WORD_1 src1_sel:DWORD
	v_lshrrev_b32_e32 v39, 3, v41
	s_mov_b32 s33, exec_lo
	v_cmpx_gt_u32_e32 8, v41
; %bb.222:                              ;   in Loop: Header=BB218_10 Depth=1
	v_ffbh_u32_e32 v39, v33
	v_min_u32_e32 v39, 32, v39
	v_subrev_nc_u32_e32 v41, 28, v39
	v_sub_nc_u32_e32 v39, 29, v39
	v_lshlrev_b64 v[97:98], v41, v[33:34]
	v_and_b32_e32 v33, 7, v97
; %bb.223:                              ;   in Loop: Header=BB218_10 Depth=1
	s_or_b32 exec_lo, exec_lo, s33
	v_lshlrev_b32_sdwa v41, v118, v101 dst_sel:DWORD dst_unused:UNUSED_PAD src0_sel:DWORD src1_sel:WORD_1
	v_lshlrev_b32_e32 v33, 20, v33
	v_lshl_add_u32 v39, v39, 23, 0x3c000000
	v_and_b32_e32 v41, 0x80000000, v41
	v_or3_b32 v33, v33, v41, v39
	v_mov_b32_e32 v98, v34
	v_mov_b32_e32 v97, v33
.LBB218_224:                            ;   in Loop: Header=BB218_10 Depth=1
	s_or_b32 exec_lo, exec_lo, s31
.LBB218_225:                            ;   in Loop: Header=BB218_10 Depth=1
	s_or_b32 exec_lo, exec_lo, s30
.LBB218_226:                            ;   in Loop: Header=BB218_10 Depth=1
	s_or_b32 exec_lo, exec_lo, s2
	s_mov_b32 s2, exec_lo
	v_cmpx_lt_u32_e32 0xffffff, v101
	s_cbranch_execz .LBB218_234
; %bb.227:                              ;   in Loop: Header=BB218_10 Depth=1
	v_mov_b32_e32 v39, v34
	v_mov_b32_e32 v100, v40
	v_cmp_ne_u32_sdwa s1, v101, v114 src0_sel:BYTE_3 src1_sel:DWORD
	v_mov_b32_e32 v99, v39
	s_and_saveexec_b32 s30, s1
	s_cbranch_execz .LBB218_233
; %bb.228:                              ;   in Loop: Header=BB218_10 Depth=1
	v_mov_b32_e32 v41, v34
	v_mov_b32_e32 v100, v42
	v_bfe_u32 v102, v101, 24, 7
	s_mov_b32 s31, exec_lo
	v_mov_b32_e32 v99, v41
	v_cmpx_ne_u32_e32 0x7f, v102
	s_cbranch_execz .LBB218_232
; %bb.229:                              ;   in Loop: Header=BB218_10 Depth=1
	v_and_b32_sdwa v33, v101, v117 dst_sel:DWORD dst_unused:UNUSED_PAD src0_sel:BYTE_3 src1_sel:DWORD
	v_lshrrev_b32_e32 v39, 3, v102
	s_mov_b32 s33, exec_lo
	v_cmpx_gt_u32_e32 8, v102
; %bb.230:                              ;   in Loop: Header=BB218_10 Depth=1
	v_ffbh_u32_e32 v39, v33
	v_min_u32_e32 v39, 32, v39
	v_subrev_nc_u32_e32 v41, 28, v39
	v_sub_nc_u32_e32 v39, 29, v39
	v_lshlrev_b64 v[99:100], v41, v[33:34]
	v_and_b32_e32 v33, 7, v99
; %bb.231:                              ;   in Loop: Header=BB218_10 Depth=1
	s_or_b32 exec_lo, exec_lo, s33
	v_lshlrev_b32_sdwa v41, v118, v101 dst_sel:DWORD dst_unused:UNUSED_PAD src0_sel:DWORD src1_sel:BYTE_3
	v_lshlrev_b32_e32 v33, 20, v33
	v_lshl_add_u32 v39, v39, 23, 0x3c000000
	v_mov_b32_e32 v99, v34
	v_and_b32_e32 v41, 0x80000000, v41
	v_or3_b32 v100, v33, v41, v39
.LBB218_232:                            ;   in Loop: Header=BB218_10 Depth=1
	s_or_b32 exec_lo, exec_lo, s31
.LBB218_233:                            ;   in Loop: Header=BB218_10 Depth=1
	s_or_b32 exec_lo, exec_lo, s30
.LBB218_234:                            ;   in Loop: Header=BB218_10 Depth=1
	s_or_b32 exec_lo, exec_lo, s2
	global_load_dword v120, v[55:56], off offset:524
	v_mov_b32_e32 v101, 0
	v_mov_b32_e32 v55, 0
	;; [unrolled: 1-line block ×4, first 2 shown]
	s_waitcnt vmcnt(0)
	v_cmp_ne_u16_sdwa s1, v120, v34 src0_sel:BYTE_0 src1_sel:DWORD
	s_and_saveexec_b32 s2, s1
	s_cbranch_execz .LBB218_242
; %bb.235:                              ;   in Loop: Header=BB218_10 Depth=1
	v_bfrev_b32_e32 v55, 1
	v_mov_b32_e32 v56, 0
	v_cmp_ne_u16_sdwa s1, v120, v114 src0_sel:BYTE_0 src1_sel:DWORD
	s_and_saveexec_b32 s30, s1
	s_cbranch_execz .LBB218_241
; %bb.236:                              ;   in Loop: Header=BB218_10 Depth=1
	v_mov_b32_e32 v55, 0x7f800001
	v_and_b32_e32 v41, 0x7f, v120
	v_mov_b32_e32 v56, 0
	s_mov_b32 s31, exec_lo
	v_cmpx_ne_u32_e32 0x7f, v41
	s_cbranch_execz .LBB218_240
; %bb.237:                              ;   in Loop: Header=BB218_10 Depth=1
	v_and_b32_e32 v33, 7, v120
	v_lshrrev_b32_e32 v39, 3, v41
	s_mov_b32 s33, exec_lo
	v_cmpx_gt_u32_e32 8, v41
; %bb.238:                              ;   in Loop: Header=BB218_10 Depth=1
	v_ffbh_u32_e32 v39, v33
	v_min_u32_e32 v39, 32, v39
	v_subrev_nc_u32_e32 v41, 28, v39
	v_sub_nc_u32_e32 v39, 29, v39
	v_lshlrev_b64 v[55:56], v41, v[33:34]
	v_and_b32_e32 v33, 7, v55
; %bb.239:                              ;   in Loop: Header=BB218_10 Depth=1
	s_or_b32 exec_lo, exec_lo, s33
	v_lshlrev_b32_e32 v41, 24, v120
	v_lshlrev_b32_e32 v33, 20, v33
	v_lshl_add_u32 v39, v39, 23, 0x3c000000
	v_and_b32_e32 v41, 0x80000000, v41
	v_or3_b32 v33, v33, v41, v39
	v_mov_b32_e32 v56, v34
	v_mov_b32_e32 v55, v33
.LBB218_240:                            ;   in Loop: Header=BB218_10 Depth=1
	s_or_b32 exec_lo, exec_lo, s31
.LBB218_241:                            ;   in Loop: Header=BB218_10 Depth=1
	s_or_b32 exec_lo, exec_lo, s30
.LBB218_242:                            ;   in Loop: Header=BB218_10 Depth=1
	s_or_b32 exec_lo, exec_lo, s2
	v_cmp_ne_u16_sdwa s1, v120, v34 src0_sel:BYTE_1 src1_sel:DWORD
	s_and_saveexec_b32 s2, s1
	s_cbranch_execz .LBB218_250
; %bb.243:                              ;   in Loop: Header=BB218_10 Depth=1
	v_mov_b32_e32 v39, v34
	v_mov_b32_e32 v102, v40
	v_cmp_ne_u16_sdwa s1, v120, v114 src0_sel:BYTE_1 src1_sel:DWORD
	v_mov_b32_e32 v101, v39
	s_and_saveexec_b32 s30, s1
	s_cbranch_execz .LBB218_249
; %bb.244:                              ;   in Loop: Header=BB218_10 Depth=1
	v_and_b32_sdwa v33, v115, v120 dst_sel:DWORD dst_unused:UNUSED_PAD src0_sel:DWORD src1_sel:BYTE_1
	v_mov_b32_e32 v41, v34
	v_mov_b32_e32 v102, v42
	s_mov_b32 s31, exec_lo
	v_and_b32_e32 v103, 0x7f, v33
	v_mov_b32_e32 v101, v41
	v_cmpx_ne_u32_e32 0x7f, v103
	s_cbranch_execz .LBB218_248
; %bb.245:                              ;   in Loop: Header=BB218_10 Depth=1
	v_and_b32_e32 v33, 7, v33
	v_lshrrev_b32_e32 v39, 3, v103
	s_mov_b32 s33, exec_lo
	v_cmpx_gt_u32_e32 8, v103
; %bb.246:                              ;   in Loop: Header=BB218_10 Depth=1
	v_ffbh_u32_e32 v39, v33
	v_min_u32_e32 v39, 32, v39
	v_subrev_nc_u32_e32 v41, 28, v39
	v_sub_nc_u32_e32 v39, 29, v39
	v_lshlrev_b64 v[101:102], v41, v[33:34]
	v_and_b32_e32 v33, 7, v101
; %bb.247:                              ;   in Loop: Header=BB218_10 Depth=1
	s_or_b32 exec_lo, exec_lo, s33
	v_lshlrev_b32_e32 v41, 16, v120
	v_lshlrev_b32_e32 v33, 20, v33
	v_lshl_add_u32 v39, v39, 23, 0x3c000000
	v_mov_b32_e32 v101, v34
	v_and_b32_e32 v41, 0x80000000, v41
	v_or3_b32 v102, v33, v41, v39
.LBB218_248:                            ;   in Loop: Header=BB218_10 Depth=1
	s_or_b32 exec_lo, exec_lo, s31
.LBB218_249:                            ;   in Loop: Header=BB218_10 Depth=1
	s_or_b32 exec_lo, exec_lo, s30
.LBB218_250:                            ;   in Loop: Header=BB218_10 Depth=1
	s_or_b32 exec_lo, exec_lo, s2
	v_mov_b32_e32 v105, 0
	v_mov_b32_e32 v103, 0
	v_and_b32_sdwa v33, v120, v116 dst_sel:DWORD dst_unused:UNUSED_PAD src0_sel:WORD_1 src1_sel:DWORD
	v_mov_b32_e32 v106, 0
	v_mov_b32_e32 v104, 0
	s_mov_b32 s2, exec_lo
	v_cmpx_ne_u16_e32 0, v33
	s_cbranch_execz .LBB218_258
; %bb.251:                              ;   in Loop: Header=BB218_10 Depth=1
	v_bfrev_b32_e32 v103, 1
	v_mov_b32_e32 v104, 0
	s_mov_b32 s30, exec_lo
	v_cmpx_ne_u16_e32 0x80, v33
	s_cbranch_execz .LBB218_257
; %bb.252:                              ;   in Loop: Header=BB218_10 Depth=1
	v_mov_b32_e32 v103, 0x7f800001
	v_bfe_u32 v41, v120, 16, 7
	v_mov_b32_e32 v104, 0
	s_mov_b32 s31, exec_lo
	v_cmpx_ne_u32_e32 0x7f, v41
	s_cbranch_execz .LBB218_256
; %bb.253:                              ;   in Loop: Header=BB218_10 Depth=1
	v_and_b32_sdwa v33, v120, v117 dst_sel:DWORD dst_unused:UNUSED_PAD src0_sel:WORD_1 src1_sel:DWORD
	v_lshrrev_b32_e32 v39, 3, v41
	s_mov_b32 s33, exec_lo
	v_cmpx_gt_u32_e32 8, v41
; %bb.254:                              ;   in Loop: Header=BB218_10 Depth=1
	v_ffbh_u32_e32 v39, v33
	v_min_u32_e32 v39, 32, v39
	v_subrev_nc_u32_e32 v41, 28, v39
	v_sub_nc_u32_e32 v39, 29, v39
	v_lshlrev_b64 v[103:104], v41, v[33:34]
	v_and_b32_e32 v33, 7, v103
; %bb.255:                              ;   in Loop: Header=BB218_10 Depth=1
	s_or_b32 exec_lo, exec_lo, s33
	v_lshlrev_b32_sdwa v41, v118, v120 dst_sel:DWORD dst_unused:UNUSED_PAD src0_sel:DWORD src1_sel:WORD_1
	v_lshlrev_b32_e32 v33, 20, v33
	v_lshl_add_u32 v39, v39, 23, 0x3c000000
	v_and_b32_e32 v41, 0x80000000, v41
	v_or3_b32 v33, v33, v41, v39
	v_mov_b32_e32 v104, v34
	v_mov_b32_e32 v103, v33
.LBB218_256:                            ;   in Loop: Header=BB218_10 Depth=1
	s_or_b32 exec_lo, exec_lo, s31
.LBB218_257:                            ;   in Loop: Header=BB218_10 Depth=1
	s_or_b32 exec_lo, exec_lo, s30
.LBB218_258:                            ;   in Loop: Header=BB218_10 Depth=1
	s_or_b32 exec_lo, exec_lo, s2
	s_mov_b32 s2, exec_lo
	v_cmpx_lt_u32_e32 0xffffff, v120
	s_cbranch_execz .LBB218_9
; %bb.259:                              ;   in Loop: Header=BB218_10 Depth=1
	v_mov_b32_e32 v39, v34
	v_mov_b32_e32 v106, v40
	v_cmp_ne_u32_sdwa s1, v120, v114 src0_sel:BYTE_3 src1_sel:DWORD
	v_mov_b32_e32 v105, v39
	s_and_saveexec_b32 s30, s1
	s_cbranch_execz .LBB218_8
; %bb.260:                              ;   in Loop: Header=BB218_10 Depth=1
	v_mov_b32_e32 v41, v34
	v_mov_b32_e32 v106, v42
	v_bfe_u32 v121, v120, 24, 7
	s_mov_b32 s31, exec_lo
	v_mov_b32_e32 v105, v41
	v_cmpx_ne_u32_e32 0x7f, v121
	s_cbranch_execz .LBB218_7
; %bb.261:                              ;   in Loop: Header=BB218_10 Depth=1
	v_and_b32_sdwa v33, v120, v117 dst_sel:DWORD dst_unused:UNUSED_PAD src0_sel:BYTE_3 src1_sel:DWORD
	v_lshrrev_b32_e32 v39, 3, v121
	s_mov_b32 s33, exec_lo
	v_cmpx_gt_u32_e32 8, v121
	s_cbranch_execz .LBB218_6
; %bb.262:                              ;   in Loop: Header=BB218_10 Depth=1
	v_ffbh_u32_e32 v39, v33
	v_min_u32_e32 v39, 32, v39
	v_subrev_nc_u32_e32 v41, 28, v39
	v_sub_nc_u32_e32 v39, 29, v39
	v_lshlrev_b64 v[105:106], v41, v[33:34]
	v_and_b32_e32 v33, 7, v105
	s_branch .LBB218_6
.LBB218_263:
	s_or_b32 exec_lo, exec_lo, s16
.LBB218_264:
	s_or_b32 exec_lo, exec_lo, s15
	v_mbcnt_lo_u32_b32 v2, -1, 0
	v_max_f32_e32 v5, v111, v111
	v_xor_b32_e32 v1, 16, v2
	v_xor_b32_e32 v4, 8, v2
	v_cmp_gt_i32_e32 vcc_lo, 32, v1
	v_cndmask_b32_e32 v1, v2, v1, vcc_lo
	v_cmp_gt_i32_e32 vcc_lo, 32, v4
	v_lshlrev_b32_e32 v1, 2, v1
	v_cndmask_b32_e32 v4, v2, v4, vcc_lo
	ds_bpermute_b32 v3, v1, v111
	s_waitcnt lgkmcnt(0)
	v_max_f32_e32 v6, v3, v3
	v_lshlrev_b32_e32 v3, 2, v4
	v_max_f32_e32 v4, v5, v6
	v_xor_b32_e32 v6, 4, v2
	ds_bpermute_b32 v5, v3, v4
	v_cmp_gt_i32_e32 vcc_lo, 32, v6
	v_cndmask_b32_e32 v6, v2, v6, vcc_lo
	v_lshlrev_b32_e32 v27, 2, v6
	v_xor_b32_e32 v6, 2, v2
	v_cmp_gt_i32_e32 vcc_lo, 32, v6
	s_waitcnt lgkmcnt(0)
	v_max_f32_e32 v5, v5, v5
	v_cndmask_b32_e32 v6, v2, v6, vcc_lo
	v_max_f32_e32 v4, v4, v5
	v_lshlrev_b32_e32 v26, 2, v6
	v_xor_b32_e32 v6, 1, v2
	ds_bpermute_b32 v5, v27, v4
	v_cmp_gt_i32_e32 vcc_lo, 32, v6
	v_cndmask_b32_e32 v6, v2, v6, vcc_lo
	v_cmp_eq_u32_e32 vcc_lo, 0, v108
	v_lshlrev_b32_e32 v25, 2, v6
	s_waitcnt lgkmcnt(0)
	v_max_f32_e32 v5, v5, v5
	v_max_f32_e32 v4, v4, v5
	ds_bpermute_b32 v5, v26, v4
	s_waitcnt lgkmcnt(0)
	v_max_f32_e32 v5, v5, v5
	v_max_f32_e32 v2, v4, v5
	v_lshlrev_b32_e32 v4, 2, v107
	ds_bpermute_b32 v5, v25, v2
	s_and_saveexec_b32 s1, vcc_lo
	s_cbranch_execz .LBB218_266
; %bb.265:
	s_waitcnt lgkmcnt(0)
	v_max_f32_e32 v5, v5, v5
	v_max_f32_e32 v2, v2, v2
	;; [unrolled: 1-line block ×3, first 2 shown]
	ds_write_b32 v4, v2 offset:128
.LBB218_266:
	s_or_b32 exec_lo, exec_lo, s1
	v_cmp_gt_u32_e64 s1, 4, v108
	v_mov_b32_e32 v2, 0xff7fffff
	s_waitcnt lgkmcnt(0)
	s_barrier
	buffer_gl0_inv
	s_and_saveexec_b32 s2, s1
; %bb.267:
	ds_read_b32 v2, v110 offset:128
; %bb.268:
	s_or_b32 exec_lo, exec_lo, s2
	s_waitcnt lgkmcnt(0)
	ds_bpermute_b32 v5, v26, v2
	v_max_f32_e32 v2, v2, v2
	s_lshl_b32 s2, s12, 5
	s_min_i32 s4, s2, s11
	v_cmp_gt_i32_e64 s2, s4, v0
	s_waitcnt lgkmcnt(0)
	v_max_f32_e32 v5, v5, v5
	v_max_f32_e32 v2, v2, v5
	ds_bpermute_b32 v5, v25, v2
	s_waitcnt lgkmcnt(0)
	v_max_f32_e32 v5, v5, v5
	v_max_f32_e32 v2, v2, v5
	v_mov_b32_e32 v5, 0
	ds_bpermute_b32 v6, v5, v2
	v_lshl_add_u32 v2, v0, 2, 0xa0
	s_and_saveexec_b32 s5, s2
	s_cbranch_execz .LBB218_272
; %bb.269:
	v_lshl_add_u32 v7, v0, 2, 0xa0
	v_mov_b32_e32 v5, 0
	v_mov_b32_e32 v8, v0
	s_mov_b32 s15, 0
	.p2align	6
.LBB218_270:                            ; =>This Inner Loop Header: Depth=1
	ds_read_b32 v9, v7
	v_add_nc_u32_e32 v8, 0x80, v8
	v_cmp_le_i32_e64 s3, s4, v8
	s_or_b32 s15, s3, s15
	s_waitcnt lgkmcnt(0)
	v_sub_f32_e32 v9, v9, v6
	v_mul_f32_e32 v9, 0x3fb8aa3b, v9
	v_exp_f32_e32 v9, v9
	ds_write_b32 v7, v9
	v_add_f32_e32 v5, v5, v9
	v_add_nc_u32_e32 v7, 0x200, v7
	s_andn2_b32 exec_lo, exec_lo, s15
	s_cbranch_execnz .LBB218_270
; %bb.271:
	s_or_b32 exec_lo, exec_lo, s15
.LBB218_272:
	s_or_b32 exec_lo, exec_lo, s5
	ds_bpermute_b32 v1, v1, v5
	s_waitcnt lgkmcnt(0)
	v_add_f32_e32 v1, v5, v1
	ds_bpermute_b32 v3, v3, v1
	s_waitcnt lgkmcnt(0)
	v_add_f32_e32 v1, v1, v3
	;; [unrolled: 3-line block ×5, first 2 shown]
	s_and_saveexec_b32 s3, vcc_lo
; %bb.273:
	ds_write_b32 v4, v1 offset:144
; %bb.274:
	s_or_b32 exec_lo, exec_lo, s3
	s_waitcnt lgkmcnt(0)
	s_barrier
	buffer_gl0_inv
	s_and_saveexec_b32 s3, s1
; %bb.275:
	ds_read_b32 v1, v110 offset:144
; %bb.276:
	s_or_b32 exec_lo, exec_lo, s3
	s_waitcnt lgkmcnt(0)
	ds_bpermute_b32 v3, v26, v1
	s_waitcnt lgkmcnt(0)
	v_add_f32_e32 v1, v1, v3
	ds_bpermute_b32 v3, v25, v1
	s_waitcnt lgkmcnt(0)
	v_add_f32_e32 v1, v1, v3
	v_mov_b32_e32 v3, 0
	ds_bpermute_b32 v1, v3, v1
	s_and_saveexec_b32 s1, s2
	s_cbranch_execz .LBB218_279
; %bb.277:
	s_waitcnt lgkmcnt(0)
	v_add_f32_e32 v1, 0x358637bd, v1
	s_mov_b32 s2, 0
	v_div_scale_f32 v3, null, v1, v1, 1.0
	v_div_scale_f32 v6, vcc_lo, 1.0, v1, 1.0
	v_rcp_f32_e32 v4, v3
	v_fma_f32 v5, -v3, v4, 1.0
	v_fmac_f32_e32 v4, v5, v4
	v_mul_f32_e32 v5, v6, v4
	v_fma_f32 v7, -v3, v5, v6
	v_fmac_f32_e32 v5, v7, v4
	v_fma_f32 v3, -v3, v5, v6
	v_div_fmas_f32 v3, v3, v4, v5
	v_div_fixup_f32 v1, v3, v1, 1.0
	v_mov_b32_e32 v3, v0
.LBB218_278:                            ; =>This Inner Loop Header: Depth=1
	ds_read_b32 v4, v2
	v_add_nc_u32_e32 v3, 0x80, v3
	v_cmp_le_i32_e32 vcc_lo, s4, v3
	s_or_b32 s2, vcc_lo, s2
	s_waitcnt lgkmcnt(0)
	v_mul_f32_e32 v4, v1, v4
	ds_write_b32 v2, v4
	v_add_nc_u32_e32 v2, 0x200, v2
	s_andn2_b32 exec_lo, exec_lo, s2
	s_cbranch_execnz .LBB218_278
.LBB218_279:
	s_or_b32 exec_lo, exec_lo, s1
	v_mov_b32_e32 v34, 0
	v_and_b32_e32 v28, 7, v0
	v_mov_b32_e32 v36, 0
	v_mov_b32_e32 v35, 0
	;; [unrolled: 1-line block ×7, first 2 shown]
	s_waitcnt lgkmcnt(0)
	s_barrier
	buffer_gl0_inv
	s_and_saveexec_b32 s1, s0
	s_cbranch_execz .LBB218_555
; %bb.280:
	v_lshlrev_b32_e32 v1, 2, v0
	s_load_dword s2, s[18:19], 0x0
	s_ashr_i32 s0, s14, 31
	s_add_u32 s4, s24, s14
	v_lshlrev_b32_e32 v3, 4, v28
	v_and_b32_e32 v2, 28, v1
	v_and_b32_e32 v1, 0x7c, v1
	s_addc_u32 s0, s25, s0
	s_add_i32 s3, s12, -1
	v_lshlrev_b32_e32 v4, 5, v107
	v_lshl_or_b32 v3, v107, 7, v3
	v_add_co_u32 v7, s4, s4, v1
	v_and_b32_e32 v1, 0x7c, v109
	v_add_co_ci_u32_e64 v8, null, s0, 0, s4
	s_lshl_b64 s[4:5], s[26:27], 2
	v_mov_b32_e32 v6, 0
	s_add_u32 s0, s22, s4
	s_addc_u32 s4, s23, s5
	v_add_co_u32 v9, s0, s0, v1
	v_or3_b32 v37, v4, v2, 3
	v_add_nc_u32_e32 v38, 0xa0, v3
	v_add_co_ci_u32_e64 v10, null, s4, 0, s0
	v_mov_b32_e32 v39, 0x80
	v_bfrev_b32_e32 v12, 1
	v_mov_b32_e32 v40, 0xffff
	v_mov_b32_e32 v14, 0x7f800001
	;; [unrolled: 1-line block ×14, first 2 shown]
	s_mov_b32 s4, s13
	s_waitcnt lgkmcnt(0)
	s_mov_b32 s13, s2
	s_mov_b32 s5, 0
	s_branch .LBB218_282
.LBB218_281:                            ;   in Loop: Header=BB218_282 Depth=1
	s_or_b32 exec_lo, exec_lo, s0
	s_waitcnt lgkmcnt(0)
	v_mul_f32_e32 v16, v1, v73
	v_mul_f32_e32 v17, v1, v71
	;; [unrolled: 1-line block ×8, first 2 shown]
	v_fmac_f32_e32 v16, v2, v72
	v_fmac_f32_e32 v17, v2, v70
	;; [unrolled: 1-line block ×16, first 2 shown]
	v_add_nc_u32_e32 v44, 4, v44
	v_fmac_f32_e32 v16, v4, v23
	v_fmac_f32_e32 v17, v4, v68
	;; [unrolled: 1-line block ×8, first 2 shown]
	v_cmp_le_i32_e32 vcc_lo, s12, v44
	v_add_co_u32 v9, s0, v9, 16
	v_add_f32_e32 v30, v30, v16
	v_add_f32_e32 v31, v31, v17
	;; [unrolled: 1-line block ×8, first 2 shown]
	v_add_nc_u32_e32 v37, 0x80, v37
	v_add_nc_u32_e32 v38, 0x200, v38
	v_add_co_ci_u32_e64 v10, null, 0, v10, s0
	s_or_b32 s5, vcc_lo, s5
	s_andn2_b32 exec_lo, exec_lo, s5
	s_cbranch_execz .LBB218_554
.LBB218_282:                            ; =>This Inner Loop Header: Depth=1
	global_load_dword v1, v[9:10], off
	v_mov_b32_e32 v19, 0
	v_mov_b32_e32 v17, 0
	;; [unrolled: 1-line block ×4, first 2 shown]
	s_waitcnt vmcnt(0)
	v_mad_i64_i32 v[15:16], null, v1, s4, v[7:8]
	ds_read_b128 v[1:4], v38
	global_load_dword v45, v[15:16], off
	s_waitcnt vmcnt(0)
	v_cmp_ne_u16_sdwa s14, v45, v6 src0_sel:BYTE_0 src1_sel:DWORD
	s_and_saveexec_b32 s0, s14
	s_cbranch_execz .LBB218_290
; %bb.283:                              ;   in Loop: Header=BB218_282 Depth=1
	v_bfrev_b32_e32 v17, 1
	v_mov_b32_e32 v18, 0
	v_cmp_ne_u16_sdwa s15, v45, v39 src0_sel:BYTE_0 src1_sel:DWORD
	s_and_saveexec_b32 s14, s15
	s_cbranch_execz .LBB218_289
; %bb.284:                              ;   in Loop: Header=BB218_282 Depth=1
	v_mov_b32_e32 v17, 0x7f800001
	v_and_b32_e32 v13, 0x7f, v45
	v_mov_b32_e32 v18, 0
	s_mov_b32 s15, exec_lo
	v_cmpx_ne_u32_e32 0x7f, v13
	s_cbranch_execz .LBB218_288
; %bb.285:                              ;   in Loop: Header=BB218_282 Depth=1
	v_and_b32_e32 v5, 7, v45
	v_lshrrev_b32_e32 v11, 3, v13
	s_mov_b32 s16, exec_lo
	v_cmpx_gt_u32_e32 8, v13
; %bb.286:                              ;   in Loop: Header=BB218_282 Depth=1
	v_ffbh_u32_e32 v11, v5
	v_min_u32_e32 v11, 32, v11
	v_subrev_nc_u32_e32 v13, 28, v11
	v_sub_nc_u32_e32 v11, 29, v11
	v_lshlrev_b64 v[17:18], v13, v[5:6]
	v_and_b32_e32 v5, 7, v17
; %bb.287:                              ;   in Loop: Header=BB218_282 Depth=1
	s_or_b32 exec_lo, exec_lo, s16
	v_lshlrev_b32_e32 v13, 24, v45
	v_lshlrev_b32_e32 v5, 20, v5
	v_lshl_add_u32 v11, v11, 23, 0x3c000000
	v_and_b32_e32 v13, 0x80000000, v13
	v_or3_b32 v5, v5, v13, v11
	v_mov_b32_e32 v18, v6
	v_mov_b32_e32 v17, v5
.LBB218_288:                            ;   in Loop: Header=BB218_282 Depth=1
	s_or_b32 exec_lo, exec_lo, s15
.LBB218_289:                            ;   in Loop: Header=BB218_282 Depth=1
	s_or_b32 exec_lo, exec_lo, s14
.LBB218_290:                            ;   in Loop: Header=BB218_282 Depth=1
	s_or_b32 exec_lo, exec_lo, s0
	v_cmp_ne_u16_sdwa s14, v45, v6 src0_sel:BYTE_1 src1_sel:DWORD
	s_and_saveexec_b32 s0, s14
	s_cbranch_execz .LBB218_298
; %bb.291:                              ;   in Loop: Header=BB218_282 Depth=1
	v_mov_b32_e32 v11, v6
	v_mov_b32_e32 v20, v12
	v_cmp_ne_u16_sdwa s15, v45, v39 src0_sel:BYTE_1 src1_sel:DWORD
	v_mov_b32_e32 v19, v11
	s_and_saveexec_b32 s14, s15
	s_cbranch_execz .LBB218_297
; %bb.292:                              ;   in Loop: Header=BB218_282 Depth=1
	v_and_b32_sdwa v5, v40, v45 dst_sel:DWORD dst_unused:UNUSED_PAD src0_sel:DWORD src1_sel:BYTE_1
	v_mov_b32_e32 v13, v6
	v_mov_b32_e32 v20, v14
	s_mov_b32 s15, exec_lo
	v_and_b32_e32 v21, 0x7f, v5
	v_mov_b32_e32 v19, v13
	v_cmpx_ne_u32_e32 0x7f, v21
	s_cbranch_execz .LBB218_296
; %bb.293:                              ;   in Loop: Header=BB218_282 Depth=1
	v_and_b32_e32 v5, 7, v5
	v_lshrrev_b32_e32 v11, 3, v21
	s_mov_b32 s16, exec_lo
	v_cmpx_gt_u32_e32 8, v21
; %bb.294:                              ;   in Loop: Header=BB218_282 Depth=1
	v_ffbh_u32_e32 v11, v5
	v_min_u32_e32 v11, 32, v11
	v_subrev_nc_u32_e32 v13, 28, v11
	v_sub_nc_u32_e32 v11, 29, v11
	v_lshlrev_b64 v[19:20], v13, v[5:6]
	v_and_b32_e32 v5, 7, v19
; %bb.295:                              ;   in Loop: Header=BB218_282 Depth=1
	s_or_b32 exec_lo, exec_lo, s16
	v_lshlrev_b32_e32 v13, 16, v45
	v_lshlrev_b32_e32 v5, 20, v5
	v_lshl_add_u32 v11, v11, 23, 0x3c000000
	v_mov_b32_e32 v19, v6
	v_and_b32_e32 v13, 0x80000000, v13
	v_or3_b32 v20, v5, v13, v11
.LBB218_296:                            ;   in Loop: Header=BB218_282 Depth=1
	s_or_b32 exec_lo, exec_lo, s15
.LBB218_297:                            ;   in Loop: Header=BB218_282 Depth=1
	s_or_b32 exec_lo, exec_lo, s14
.LBB218_298:                            ;   in Loop: Header=BB218_282 Depth=1
	s_or_b32 exec_lo, exec_lo, s0
	v_mov_b32_e32 v23, 0
	v_mov_b32_e32 v21, 0
	v_and_b32_sdwa v5, v45, v41 dst_sel:DWORD dst_unused:UNUSED_PAD src0_sel:WORD_1 src1_sel:DWORD
	v_mov_b32_e32 v24, 0
	v_mov_b32_e32 v22, 0
	s_mov_b32 s0, exec_lo
	v_cmpx_ne_u16_e32 0, v5
	s_cbranch_execz .LBB218_306
; %bb.299:                              ;   in Loop: Header=BB218_282 Depth=1
	v_bfrev_b32_e32 v21, 1
	v_mov_b32_e32 v22, 0
	s_mov_b32 s14, exec_lo
	v_cmpx_ne_u16_e32 0x80, v5
	s_cbranch_execz .LBB218_305
; %bb.300:                              ;   in Loop: Header=BB218_282 Depth=1
	v_mov_b32_e32 v21, 0x7f800001
	v_bfe_u32 v13, v45, 16, 7
	v_mov_b32_e32 v22, 0
	s_mov_b32 s15, exec_lo
	v_cmpx_ne_u32_e32 0x7f, v13
	s_cbranch_execz .LBB218_304
; %bb.301:                              ;   in Loop: Header=BB218_282 Depth=1
	v_and_b32_sdwa v5, v45, v42 dst_sel:DWORD dst_unused:UNUSED_PAD src0_sel:WORD_1 src1_sel:DWORD
	v_lshrrev_b32_e32 v11, 3, v13
	s_mov_b32 s16, exec_lo
	v_cmpx_gt_u32_e32 8, v13
; %bb.302:                              ;   in Loop: Header=BB218_282 Depth=1
	v_ffbh_u32_e32 v11, v5
	v_min_u32_e32 v11, 32, v11
	v_subrev_nc_u32_e32 v13, 28, v11
	v_sub_nc_u32_e32 v11, 29, v11
	v_lshlrev_b64 v[21:22], v13, v[5:6]
	v_and_b32_e32 v5, 7, v21
; %bb.303:                              ;   in Loop: Header=BB218_282 Depth=1
	s_or_b32 exec_lo, exec_lo, s16
	v_lshlrev_b32_sdwa v13, v43, v45 dst_sel:DWORD dst_unused:UNUSED_PAD src0_sel:DWORD src1_sel:WORD_1
	v_lshlrev_b32_e32 v5, 20, v5
	v_lshl_add_u32 v11, v11, 23, 0x3c000000
	v_and_b32_e32 v13, 0x80000000, v13
	v_or3_b32 v5, v5, v13, v11
	v_mov_b32_e32 v22, v6
	v_mov_b32_e32 v21, v5
.LBB218_304:                            ;   in Loop: Header=BB218_282 Depth=1
	s_or_b32 exec_lo, exec_lo, s15
.LBB218_305:                            ;   in Loop: Header=BB218_282 Depth=1
	s_or_b32 exec_lo, exec_lo, s14
.LBB218_306:                            ;   in Loop: Header=BB218_282 Depth=1
	s_or_b32 exec_lo, exec_lo, s0
	s_mov_b32 s0, exec_lo
	v_cmpx_lt_u32_e32 0xffffff, v45
	s_cbranch_execz .LBB218_314
; %bb.307:                              ;   in Loop: Header=BB218_282 Depth=1
	v_mov_b32_e32 v11, v6
	v_mov_b32_e32 v24, v12
	v_cmp_ne_u32_sdwa s15, v45, v39 src0_sel:BYTE_3 src1_sel:DWORD
	v_mov_b32_e32 v23, v11
	s_and_saveexec_b32 s14, s15
	s_cbranch_execz .LBB218_313
; %bb.308:                              ;   in Loop: Header=BB218_282 Depth=1
	v_mov_b32_e32 v13, v6
	v_mov_b32_e32 v24, v14
	v_bfe_u32 v46, v45, 24, 7
	s_mov_b32 s15, exec_lo
	v_mov_b32_e32 v23, v13
	v_cmpx_ne_u32_e32 0x7f, v46
	s_cbranch_execz .LBB218_312
; %bb.309:                              ;   in Loop: Header=BB218_282 Depth=1
	v_and_b32_sdwa v5, v45, v42 dst_sel:DWORD dst_unused:UNUSED_PAD src0_sel:BYTE_3 src1_sel:DWORD
	v_lshrrev_b32_e32 v11, 3, v46
	s_mov_b32 s16, exec_lo
	v_cmpx_gt_u32_e32 8, v46
; %bb.310:                              ;   in Loop: Header=BB218_282 Depth=1
	v_ffbh_u32_e32 v11, v5
	v_min_u32_e32 v11, 32, v11
	v_subrev_nc_u32_e32 v13, 28, v11
	v_sub_nc_u32_e32 v11, 29, v11
	v_lshlrev_b64 v[23:24], v13, v[5:6]
	v_and_b32_e32 v5, 7, v23
; %bb.311:                              ;   in Loop: Header=BB218_282 Depth=1
	s_or_b32 exec_lo, exec_lo, s16
	v_lshlrev_b32_sdwa v13, v43, v45 dst_sel:DWORD dst_unused:UNUSED_PAD src0_sel:DWORD src1_sel:BYTE_3
	v_lshlrev_b32_e32 v5, 20, v5
	v_lshl_add_u32 v11, v11, 23, 0x3c000000
	v_mov_b32_e32 v23, v6
	v_and_b32_e32 v13, 0x80000000, v13
	v_or3_b32 v24, v5, v13, v11
.LBB218_312:                            ;   in Loop: Header=BB218_282 Depth=1
	s_or_b32 exec_lo, exec_lo, s15
.LBB218_313:                            ;   in Loop: Header=BB218_282 Depth=1
	s_or_b32 exec_lo, exec_lo, s14
.LBB218_314:                            ;   in Loop: Header=BB218_282 Depth=1
	s_or_b32 exec_lo, exec_lo, s0
	v_or_b32_e32 v5, v20, v18
	v_or_b32_e32 v11, v19, v17
	;; [unrolled: 1-line block ×4, first 2 shown]
	v_add_nc_u32_e32 v49, -3, v37
	v_cmp_eq_u32_e32 vcc_lo, s3, v44
	v_mul_f32_e32 v47, s13, v5
	v_mul_f32_e32 v48, s2, v11
	;; [unrolled: 1-line block ×4, first 2 shown]
	v_add_nc_u32_e32 v51, -2, v37
	v_add_nc_u32_e32 v50, -1, v37
	s_and_saveexec_b32 s14, vcc_lo
	s_cbranch_execz .LBB218_316
; %bb.315:                              ;   in Loop: Header=BB218_282 Depth=1
	v_cmp_gt_i32_e64 s0, s11, v49
	v_cndmask_b32_e64 v48, 0, v48, s0
	v_cmp_gt_i32_e64 s0, s11, v51
	v_cndmask_b32_e64 v47, 0, v47, s0
	;; [unrolled: 2-line block ×4, first 2 shown]
.LBB218_316:                            ;   in Loop: Header=BB218_282 Depth=1
	s_or_b32 exec_lo, exec_lo, s14
	global_load_dword v52, v[15:16], off offset:128
	v_mov_b32_e32 v19, 0
	v_mov_b32_e32 v17, 0
	;; [unrolled: 1-line block ×4, first 2 shown]
	s_waitcnt vmcnt(0)
	v_cmp_ne_u16_sdwa s0, v52, v6 src0_sel:BYTE_0 src1_sel:DWORD
	s_and_saveexec_b32 s14, s0
	s_cbranch_execz .LBB218_324
; %bb.317:                              ;   in Loop: Header=BB218_282 Depth=1
	v_bfrev_b32_e32 v17, 1
	v_mov_b32_e32 v18, 0
	v_cmp_ne_u16_sdwa s0, v52, v39 src0_sel:BYTE_0 src1_sel:DWORD
	s_and_saveexec_b32 s15, s0
	s_cbranch_execz .LBB218_323
; %bb.318:                              ;   in Loop: Header=BB218_282 Depth=1
	v_mov_b32_e32 v17, 0x7f800001
	v_and_b32_e32 v13, 0x7f, v52
	v_mov_b32_e32 v18, 0
	s_mov_b32 s16, exec_lo
	v_cmpx_ne_u32_e32 0x7f, v13
	s_cbranch_execz .LBB218_322
; %bb.319:                              ;   in Loop: Header=BB218_282 Depth=1
	v_and_b32_e32 v5, 7, v52
	v_lshrrev_b32_e32 v11, 3, v13
	s_mov_b32 s17, exec_lo
	v_cmpx_gt_u32_e32 8, v13
; %bb.320:                              ;   in Loop: Header=BB218_282 Depth=1
	v_ffbh_u32_e32 v11, v5
	v_min_u32_e32 v11, 32, v11
	v_subrev_nc_u32_e32 v13, 28, v11
	v_sub_nc_u32_e32 v11, 29, v11
	v_lshlrev_b64 v[17:18], v13, v[5:6]
	v_and_b32_e32 v5, 7, v17
; %bb.321:                              ;   in Loop: Header=BB218_282 Depth=1
	s_or_b32 exec_lo, exec_lo, s17
	v_lshlrev_b32_e32 v13, 24, v52
	v_lshlrev_b32_e32 v5, 20, v5
	v_lshl_add_u32 v11, v11, 23, 0x3c000000
	v_and_b32_e32 v13, 0x80000000, v13
	v_or3_b32 v5, v5, v13, v11
	v_mov_b32_e32 v18, v6
	v_mov_b32_e32 v17, v5
.LBB218_322:                            ;   in Loop: Header=BB218_282 Depth=1
	s_or_b32 exec_lo, exec_lo, s16
.LBB218_323:                            ;   in Loop: Header=BB218_282 Depth=1
	s_or_b32 exec_lo, exec_lo, s15
.LBB218_324:                            ;   in Loop: Header=BB218_282 Depth=1
	s_or_b32 exec_lo, exec_lo, s14
	v_cmp_ne_u16_sdwa s0, v52, v6 src0_sel:BYTE_1 src1_sel:DWORD
	s_and_saveexec_b32 s14, s0
	s_cbranch_execz .LBB218_332
; %bb.325:                              ;   in Loop: Header=BB218_282 Depth=1
	v_mov_b32_e32 v11, v6
	v_mov_b32_e32 v20, v12
	v_cmp_ne_u16_sdwa s0, v52, v39 src0_sel:BYTE_1 src1_sel:DWORD
	v_mov_b32_e32 v19, v11
	s_and_saveexec_b32 s15, s0
	s_cbranch_execz .LBB218_331
; %bb.326:                              ;   in Loop: Header=BB218_282 Depth=1
	v_and_b32_sdwa v5, v40, v52 dst_sel:DWORD dst_unused:UNUSED_PAD src0_sel:DWORD src1_sel:BYTE_1
	v_mov_b32_e32 v13, v6
	v_mov_b32_e32 v20, v14
	s_mov_b32 s16, exec_lo
	v_and_b32_e32 v21, 0x7f, v5
	v_mov_b32_e32 v19, v13
	v_cmpx_ne_u32_e32 0x7f, v21
	s_cbranch_execz .LBB218_330
; %bb.327:                              ;   in Loop: Header=BB218_282 Depth=1
	v_and_b32_e32 v5, 7, v5
	v_lshrrev_b32_e32 v11, 3, v21
	s_mov_b32 s17, exec_lo
	v_cmpx_gt_u32_e32 8, v21
; %bb.328:                              ;   in Loop: Header=BB218_282 Depth=1
	v_ffbh_u32_e32 v11, v5
	v_min_u32_e32 v11, 32, v11
	v_subrev_nc_u32_e32 v13, 28, v11
	v_sub_nc_u32_e32 v11, 29, v11
	v_lshlrev_b64 v[19:20], v13, v[5:6]
	v_and_b32_e32 v5, 7, v19
; %bb.329:                              ;   in Loop: Header=BB218_282 Depth=1
	s_or_b32 exec_lo, exec_lo, s17
	v_lshlrev_b32_e32 v13, 16, v52
	v_lshlrev_b32_e32 v5, 20, v5
	v_lshl_add_u32 v11, v11, 23, 0x3c000000
	v_mov_b32_e32 v19, v6
	v_and_b32_e32 v13, 0x80000000, v13
	v_or3_b32 v20, v5, v13, v11
.LBB218_330:                            ;   in Loop: Header=BB218_282 Depth=1
	s_or_b32 exec_lo, exec_lo, s16
.LBB218_331:                            ;   in Loop: Header=BB218_282 Depth=1
	s_or_b32 exec_lo, exec_lo, s15
.LBB218_332:                            ;   in Loop: Header=BB218_282 Depth=1
	s_or_b32 exec_lo, exec_lo, s14
	v_mov_b32_e32 v23, 0
	v_mov_b32_e32 v21, 0
	v_and_b32_sdwa v5, v52, v41 dst_sel:DWORD dst_unused:UNUSED_PAD src0_sel:WORD_1 src1_sel:DWORD
	v_mov_b32_e32 v24, 0
	v_mov_b32_e32 v22, 0
	s_mov_b32 s14, exec_lo
	v_cmpx_ne_u16_e32 0, v5
	s_cbranch_execz .LBB218_340
; %bb.333:                              ;   in Loop: Header=BB218_282 Depth=1
	v_bfrev_b32_e32 v21, 1
	v_mov_b32_e32 v22, 0
	s_mov_b32 s15, exec_lo
	v_cmpx_ne_u16_e32 0x80, v5
	s_cbranch_execz .LBB218_339
; %bb.334:                              ;   in Loop: Header=BB218_282 Depth=1
	v_mov_b32_e32 v21, 0x7f800001
	v_bfe_u32 v13, v52, 16, 7
	v_mov_b32_e32 v22, 0
	s_mov_b32 s16, exec_lo
	v_cmpx_ne_u32_e32 0x7f, v13
	s_cbranch_execz .LBB218_338
; %bb.335:                              ;   in Loop: Header=BB218_282 Depth=1
	v_and_b32_sdwa v5, v52, v42 dst_sel:DWORD dst_unused:UNUSED_PAD src0_sel:WORD_1 src1_sel:DWORD
	v_lshrrev_b32_e32 v11, 3, v13
	s_mov_b32 s17, exec_lo
	v_cmpx_gt_u32_e32 8, v13
; %bb.336:                              ;   in Loop: Header=BB218_282 Depth=1
	v_ffbh_u32_e32 v11, v5
	v_min_u32_e32 v11, 32, v11
	v_subrev_nc_u32_e32 v13, 28, v11
	v_sub_nc_u32_e32 v11, 29, v11
	v_lshlrev_b64 v[21:22], v13, v[5:6]
	v_and_b32_e32 v5, 7, v21
; %bb.337:                              ;   in Loop: Header=BB218_282 Depth=1
	s_or_b32 exec_lo, exec_lo, s17
	v_lshlrev_b32_sdwa v13, v43, v52 dst_sel:DWORD dst_unused:UNUSED_PAD src0_sel:DWORD src1_sel:WORD_1
	v_lshlrev_b32_e32 v5, 20, v5
	v_lshl_add_u32 v11, v11, 23, 0x3c000000
	v_and_b32_e32 v13, 0x80000000, v13
	v_or3_b32 v5, v5, v13, v11
	v_mov_b32_e32 v22, v6
	v_mov_b32_e32 v21, v5
.LBB218_338:                            ;   in Loop: Header=BB218_282 Depth=1
	s_or_b32 exec_lo, exec_lo, s16
.LBB218_339:                            ;   in Loop: Header=BB218_282 Depth=1
	s_or_b32 exec_lo, exec_lo, s15
.LBB218_340:                            ;   in Loop: Header=BB218_282 Depth=1
	s_or_b32 exec_lo, exec_lo, s14
	s_mov_b32 s14, exec_lo
	v_cmpx_lt_u32_e32 0xffffff, v52
	s_cbranch_execz .LBB218_348
; %bb.341:                              ;   in Loop: Header=BB218_282 Depth=1
	v_mov_b32_e32 v11, v6
	v_mov_b32_e32 v24, v12
	v_cmp_ne_u32_sdwa s0, v52, v39 src0_sel:BYTE_3 src1_sel:DWORD
	v_mov_b32_e32 v23, v11
	s_and_saveexec_b32 s15, s0
	s_cbranch_execz .LBB218_347
; %bb.342:                              ;   in Loop: Header=BB218_282 Depth=1
	v_mov_b32_e32 v13, v6
	v_mov_b32_e32 v24, v14
	v_bfe_u32 v53, v52, 24, 7
	s_mov_b32 s16, exec_lo
	v_mov_b32_e32 v23, v13
	v_cmpx_ne_u32_e32 0x7f, v53
	s_cbranch_execz .LBB218_346
; %bb.343:                              ;   in Loop: Header=BB218_282 Depth=1
	v_and_b32_sdwa v5, v52, v42 dst_sel:DWORD dst_unused:UNUSED_PAD src0_sel:BYTE_3 src1_sel:DWORD
	v_lshrrev_b32_e32 v11, 3, v53
	s_mov_b32 s17, exec_lo
	v_cmpx_gt_u32_e32 8, v53
; %bb.344:                              ;   in Loop: Header=BB218_282 Depth=1
	v_ffbh_u32_e32 v11, v5
	v_min_u32_e32 v11, 32, v11
	v_subrev_nc_u32_e32 v13, 28, v11
	v_sub_nc_u32_e32 v11, 29, v11
	v_lshlrev_b64 v[23:24], v13, v[5:6]
	v_and_b32_e32 v5, 7, v23
; %bb.345:                              ;   in Loop: Header=BB218_282 Depth=1
	s_or_b32 exec_lo, exec_lo, s17
	v_lshlrev_b32_sdwa v13, v43, v52 dst_sel:DWORD dst_unused:UNUSED_PAD src0_sel:DWORD src1_sel:BYTE_3
	v_lshlrev_b32_e32 v5, 20, v5
	v_lshl_add_u32 v11, v11, 23, 0x3c000000
	v_mov_b32_e32 v23, v6
	v_and_b32_e32 v13, 0x80000000, v13
	v_or3_b32 v24, v5, v13, v11
.LBB218_346:                            ;   in Loop: Header=BB218_282 Depth=1
	s_or_b32 exec_lo, exec_lo, s16
.LBB218_347:                            ;   in Loop: Header=BB218_282 Depth=1
	s_or_b32 exec_lo, exec_lo, s15
.LBB218_348:                            ;   in Loop: Header=BB218_282 Depth=1
	s_or_b32 exec_lo, exec_lo, s14
	v_or_b32_e32 v5, v20, v18
	v_or_b32_e32 v11, v19, v17
	;; [unrolled: 1-line block ×4, first 2 shown]
	v_mul_f32_e32 v54, s13, v5
	v_mul_f32_e32 v55, s2, v11
	;; [unrolled: 1-line block ×4, first 2 shown]
	s_and_saveexec_b32 s14, vcc_lo
	s_cbranch_execz .LBB218_350
; %bb.349:                              ;   in Loop: Header=BB218_282 Depth=1
	v_cmp_gt_i32_e64 s0, s11, v49
	v_cndmask_b32_e64 v55, 0, v55, s0
	v_cmp_gt_i32_e64 s0, s11, v51
	v_cndmask_b32_e64 v54, 0, v54, s0
	;; [unrolled: 2-line block ×4, first 2 shown]
.LBB218_350:                            ;   in Loop: Header=BB218_282 Depth=1
	s_or_b32 exec_lo, exec_lo, s14
	global_load_dword v56, v[15:16], off offset:256
	v_mov_b32_e32 v19, 0
	v_mov_b32_e32 v17, 0
	;; [unrolled: 1-line block ×4, first 2 shown]
	s_waitcnt vmcnt(0)
	v_cmp_ne_u16_sdwa s0, v56, v6 src0_sel:BYTE_0 src1_sel:DWORD
	s_and_saveexec_b32 s14, s0
	s_cbranch_execz .LBB218_358
; %bb.351:                              ;   in Loop: Header=BB218_282 Depth=1
	v_bfrev_b32_e32 v17, 1
	v_mov_b32_e32 v18, 0
	v_cmp_ne_u16_sdwa s0, v56, v39 src0_sel:BYTE_0 src1_sel:DWORD
	s_and_saveexec_b32 s15, s0
	s_cbranch_execz .LBB218_357
; %bb.352:                              ;   in Loop: Header=BB218_282 Depth=1
	v_mov_b32_e32 v17, 0x7f800001
	v_and_b32_e32 v13, 0x7f, v56
	v_mov_b32_e32 v18, 0
	s_mov_b32 s16, exec_lo
	v_cmpx_ne_u32_e32 0x7f, v13
	s_cbranch_execz .LBB218_356
; %bb.353:                              ;   in Loop: Header=BB218_282 Depth=1
	v_and_b32_e32 v5, 7, v56
	v_lshrrev_b32_e32 v11, 3, v13
	s_mov_b32 s17, exec_lo
	v_cmpx_gt_u32_e32 8, v13
; %bb.354:                              ;   in Loop: Header=BB218_282 Depth=1
	v_ffbh_u32_e32 v11, v5
	v_min_u32_e32 v11, 32, v11
	v_subrev_nc_u32_e32 v13, 28, v11
	v_sub_nc_u32_e32 v11, 29, v11
	v_lshlrev_b64 v[17:18], v13, v[5:6]
	v_and_b32_e32 v5, 7, v17
; %bb.355:                              ;   in Loop: Header=BB218_282 Depth=1
	s_or_b32 exec_lo, exec_lo, s17
	v_lshlrev_b32_e32 v13, 24, v56
	v_lshlrev_b32_e32 v5, 20, v5
	v_lshl_add_u32 v11, v11, 23, 0x3c000000
	v_and_b32_e32 v13, 0x80000000, v13
	v_or3_b32 v5, v5, v13, v11
	v_mov_b32_e32 v18, v6
	v_mov_b32_e32 v17, v5
.LBB218_356:                            ;   in Loop: Header=BB218_282 Depth=1
	s_or_b32 exec_lo, exec_lo, s16
.LBB218_357:                            ;   in Loop: Header=BB218_282 Depth=1
	s_or_b32 exec_lo, exec_lo, s15
.LBB218_358:                            ;   in Loop: Header=BB218_282 Depth=1
	s_or_b32 exec_lo, exec_lo, s14
	v_cmp_ne_u16_sdwa s0, v56, v6 src0_sel:BYTE_1 src1_sel:DWORD
	s_and_saveexec_b32 s14, s0
	s_cbranch_execz .LBB218_366
; %bb.359:                              ;   in Loop: Header=BB218_282 Depth=1
	v_mov_b32_e32 v11, v6
	v_mov_b32_e32 v20, v12
	v_cmp_ne_u16_sdwa s0, v56, v39 src0_sel:BYTE_1 src1_sel:DWORD
	v_mov_b32_e32 v19, v11
	s_and_saveexec_b32 s15, s0
	s_cbranch_execz .LBB218_365
; %bb.360:                              ;   in Loop: Header=BB218_282 Depth=1
	v_and_b32_sdwa v5, v40, v56 dst_sel:DWORD dst_unused:UNUSED_PAD src0_sel:DWORD src1_sel:BYTE_1
	v_mov_b32_e32 v13, v6
	v_mov_b32_e32 v20, v14
	s_mov_b32 s16, exec_lo
	v_and_b32_e32 v21, 0x7f, v5
	v_mov_b32_e32 v19, v13
	v_cmpx_ne_u32_e32 0x7f, v21
	s_cbranch_execz .LBB218_364
; %bb.361:                              ;   in Loop: Header=BB218_282 Depth=1
	v_and_b32_e32 v5, 7, v5
	v_lshrrev_b32_e32 v11, 3, v21
	s_mov_b32 s17, exec_lo
	v_cmpx_gt_u32_e32 8, v21
; %bb.362:                              ;   in Loop: Header=BB218_282 Depth=1
	v_ffbh_u32_e32 v11, v5
	v_min_u32_e32 v11, 32, v11
	v_subrev_nc_u32_e32 v13, 28, v11
	v_sub_nc_u32_e32 v11, 29, v11
	v_lshlrev_b64 v[19:20], v13, v[5:6]
	v_and_b32_e32 v5, 7, v19
; %bb.363:                              ;   in Loop: Header=BB218_282 Depth=1
	s_or_b32 exec_lo, exec_lo, s17
	v_lshlrev_b32_e32 v13, 16, v56
	v_lshlrev_b32_e32 v5, 20, v5
	v_lshl_add_u32 v11, v11, 23, 0x3c000000
	v_mov_b32_e32 v19, v6
	v_and_b32_e32 v13, 0x80000000, v13
	v_or3_b32 v20, v5, v13, v11
.LBB218_364:                            ;   in Loop: Header=BB218_282 Depth=1
	s_or_b32 exec_lo, exec_lo, s16
.LBB218_365:                            ;   in Loop: Header=BB218_282 Depth=1
	s_or_b32 exec_lo, exec_lo, s15
.LBB218_366:                            ;   in Loop: Header=BB218_282 Depth=1
	s_or_b32 exec_lo, exec_lo, s14
	v_mov_b32_e32 v23, 0
	v_mov_b32_e32 v21, 0
	v_and_b32_sdwa v5, v56, v41 dst_sel:DWORD dst_unused:UNUSED_PAD src0_sel:WORD_1 src1_sel:DWORD
	v_mov_b32_e32 v24, 0
	v_mov_b32_e32 v22, 0
	s_mov_b32 s14, exec_lo
	v_cmpx_ne_u16_e32 0, v5
	s_cbranch_execz .LBB218_374
; %bb.367:                              ;   in Loop: Header=BB218_282 Depth=1
	v_bfrev_b32_e32 v21, 1
	v_mov_b32_e32 v22, 0
	s_mov_b32 s15, exec_lo
	v_cmpx_ne_u16_e32 0x80, v5
	s_cbranch_execz .LBB218_373
; %bb.368:                              ;   in Loop: Header=BB218_282 Depth=1
	v_mov_b32_e32 v21, 0x7f800001
	v_bfe_u32 v13, v56, 16, 7
	v_mov_b32_e32 v22, 0
	s_mov_b32 s16, exec_lo
	v_cmpx_ne_u32_e32 0x7f, v13
	s_cbranch_execz .LBB218_372
; %bb.369:                              ;   in Loop: Header=BB218_282 Depth=1
	v_and_b32_sdwa v5, v56, v42 dst_sel:DWORD dst_unused:UNUSED_PAD src0_sel:WORD_1 src1_sel:DWORD
	v_lshrrev_b32_e32 v11, 3, v13
	s_mov_b32 s17, exec_lo
	v_cmpx_gt_u32_e32 8, v13
; %bb.370:                              ;   in Loop: Header=BB218_282 Depth=1
	v_ffbh_u32_e32 v11, v5
	v_min_u32_e32 v11, 32, v11
	v_subrev_nc_u32_e32 v13, 28, v11
	v_sub_nc_u32_e32 v11, 29, v11
	v_lshlrev_b64 v[21:22], v13, v[5:6]
	v_and_b32_e32 v5, 7, v21
; %bb.371:                              ;   in Loop: Header=BB218_282 Depth=1
	s_or_b32 exec_lo, exec_lo, s17
	v_lshlrev_b32_sdwa v13, v43, v56 dst_sel:DWORD dst_unused:UNUSED_PAD src0_sel:DWORD src1_sel:WORD_1
	v_lshlrev_b32_e32 v5, 20, v5
	v_lshl_add_u32 v11, v11, 23, 0x3c000000
	v_and_b32_e32 v13, 0x80000000, v13
	v_or3_b32 v5, v5, v13, v11
	v_mov_b32_e32 v22, v6
	v_mov_b32_e32 v21, v5
.LBB218_372:                            ;   in Loop: Header=BB218_282 Depth=1
	s_or_b32 exec_lo, exec_lo, s16
.LBB218_373:                            ;   in Loop: Header=BB218_282 Depth=1
	s_or_b32 exec_lo, exec_lo, s15
.LBB218_374:                            ;   in Loop: Header=BB218_282 Depth=1
	s_or_b32 exec_lo, exec_lo, s14
	s_mov_b32 s14, exec_lo
	v_cmpx_lt_u32_e32 0xffffff, v56
	s_cbranch_execz .LBB218_382
; %bb.375:                              ;   in Loop: Header=BB218_282 Depth=1
	v_mov_b32_e32 v11, v6
	v_mov_b32_e32 v24, v12
	v_cmp_ne_u32_sdwa s0, v56, v39 src0_sel:BYTE_3 src1_sel:DWORD
	v_mov_b32_e32 v23, v11
	s_and_saveexec_b32 s15, s0
	s_cbranch_execz .LBB218_381
; %bb.376:                              ;   in Loop: Header=BB218_282 Depth=1
	v_mov_b32_e32 v13, v6
	v_mov_b32_e32 v24, v14
	v_bfe_u32 v57, v56, 24, 7
	s_mov_b32 s16, exec_lo
	v_mov_b32_e32 v23, v13
	v_cmpx_ne_u32_e32 0x7f, v57
	s_cbranch_execz .LBB218_380
; %bb.377:                              ;   in Loop: Header=BB218_282 Depth=1
	v_and_b32_sdwa v5, v56, v42 dst_sel:DWORD dst_unused:UNUSED_PAD src0_sel:BYTE_3 src1_sel:DWORD
	v_lshrrev_b32_e32 v11, 3, v57
	s_mov_b32 s17, exec_lo
	v_cmpx_gt_u32_e32 8, v57
; %bb.378:                              ;   in Loop: Header=BB218_282 Depth=1
	v_ffbh_u32_e32 v11, v5
	v_min_u32_e32 v11, 32, v11
	v_subrev_nc_u32_e32 v13, 28, v11
	v_sub_nc_u32_e32 v11, 29, v11
	v_lshlrev_b64 v[23:24], v13, v[5:6]
	v_and_b32_e32 v5, 7, v23
; %bb.379:                              ;   in Loop: Header=BB218_282 Depth=1
	s_or_b32 exec_lo, exec_lo, s17
	v_lshlrev_b32_sdwa v13, v43, v56 dst_sel:DWORD dst_unused:UNUSED_PAD src0_sel:DWORD src1_sel:BYTE_3
	v_lshlrev_b32_e32 v5, 20, v5
	v_lshl_add_u32 v11, v11, 23, 0x3c000000
	v_mov_b32_e32 v23, v6
	v_and_b32_e32 v13, 0x80000000, v13
	v_or3_b32 v24, v5, v13, v11
.LBB218_380:                            ;   in Loop: Header=BB218_282 Depth=1
	s_or_b32 exec_lo, exec_lo, s16
.LBB218_381:                            ;   in Loop: Header=BB218_282 Depth=1
	s_or_b32 exec_lo, exec_lo, s15
.LBB218_382:                            ;   in Loop: Header=BB218_282 Depth=1
	s_or_b32 exec_lo, exec_lo, s14
	v_or_b32_e32 v5, v20, v18
	v_or_b32_e32 v11, v19, v17
	;; [unrolled: 1-line block ×4, first 2 shown]
	v_mul_f32_e32 v58, s13, v5
	v_mul_f32_e32 v59, s2, v11
	;; [unrolled: 1-line block ×4, first 2 shown]
	s_and_saveexec_b32 s14, vcc_lo
	s_cbranch_execz .LBB218_384
; %bb.383:                              ;   in Loop: Header=BB218_282 Depth=1
	v_cmp_gt_i32_e64 s0, s11, v49
	v_cndmask_b32_e64 v59, 0, v59, s0
	v_cmp_gt_i32_e64 s0, s11, v51
	v_cndmask_b32_e64 v58, 0, v58, s0
	v_cmp_gt_i32_e64 s0, s11, v50
	v_cndmask_b32_e64 v57, 0, v57, s0
	v_cmp_gt_i32_e64 s0, s11, v37
	v_cndmask_b32_e64 v56, 0, v56, s0
.LBB218_384:                            ;   in Loop: Header=BB218_282 Depth=1
	s_or_b32 exec_lo, exec_lo, s14
	global_load_dword v60, v[15:16], off offset:384
	v_mov_b32_e32 v19, 0
	v_mov_b32_e32 v17, 0
	;; [unrolled: 1-line block ×4, first 2 shown]
	s_waitcnt vmcnt(0)
	v_cmp_ne_u16_sdwa s0, v60, v6 src0_sel:BYTE_0 src1_sel:DWORD
	s_and_saveexec_b32 s14, s0
	s_cbranch_execz .LBB218_392
; %bb.385:                              ;   in Loop: Header=BB218_282 Depth=1
	v_bfrev_b32_e32 v17, 1
	v_mov_b32_e32 v18, 0
	v_cmp_ne_u16_sdwa s0, v60, v39 src0_sel:BYTE_0 src1_sel:DWORD
	s_and_saveexec_b32 s15, s0
	s_cbranch_execz .LBB218_391
; %bb.386:                              ;   in Loop: Header=BB218_282 Depth=1
	v_mov_b32_e32 v17, 0x7f800001
	v_and_b32_e32 v13, 0x7f, v60
	v_mov_b32_e32 v18, 0
	s_mov_b32 s16, exec_lo
	v_cmpx_ne_u32_e32 0x7f, v13
	s_cbranch_execz .LBB218_390
; %bb.387:                              ;   in Loop: Header=BB218_282 Depth=1
	v_and_b32_e32 v5, 7, v60
	v_lshrrev_b32_e32 v11, 3, v13
	s_mov_b32 s17, exec_lo
	v_cmpx_gt_u32_e32 8, v13
; %bb.388:                              ;   in Loop: Header=BB218_282 Depth=1
	v_ffbh_u32_e32 v11, v5
	v_min_u32_e32 v11, 32, v11
	v_subrev_nc_u32_e32 v13, 28, v11
	v_sub_nc_u32_e32 v11, 29, v11
	v_lshlrev_b64 v[17:18], v13, v[5:6]
	v_and_b32_e32 v5, 7, v17
; %bb.389:                              ;   in Loop: Header=BB218_282 Depth=1
	s_or_b32 exec_lo, exec_lo, s17
	v_lshlrev_b32_e32 v13, 24, v60
	v_lshlrev_b32_e32 v5, 20, v5
	v_lshl_add_u32 v11, v11, 23, 0x3c000000
	v_and_b32_e32 v13, 0x80000000, v13
	v_or3_b32 v5, v5, v13, v11
	v_mov_b32_e32 v18, v6
	v_mov_b32_e32 v17, v5
.LBB218_390:                            ;   in Loop: Header=BB218_282 Depth=1
	s_or_b32 exec_lo, exec_lo, s16
.LBB218_391:                            ;   in Loop: Header=BB218_282 Depth=1
	s_or_b32 exec_lo, exec_lo, s15
.LBB218_392:                            ;   in Loop: Header=BB218_282 Depth=1
	s_or_b32 exec_lo, exec_lo, s14
	v_cmp_ne_u16_sdwa s0, v60, v6 src0_sel:BYTE_1 src1_sel:DWORD
	s_and_saveexec_b32 s14, s0
	s_cbranch_execz .LBB218_400
; %bb.393:                              ;   in Loop: Header=BB218_282 Depth=1
	v_mov_b32_e32 v11, v6
	v_mov_b32_e32 v20, v12
	v_cmp_ne_u16_sdwa s0, v60, v39 src0_sel:BYTE_1 src1_sel:DWORD
	v_mov_b32_e32 v19, v11
	s_and_saveexec_b32 s15, s0
	s_cbranch_execz .LBB218_399
; %bb.394:                              ;   in Loop: Header=BB218_282 Depth=1
	v_and_b32_sdwa v5, v40, v60 dst_sel:DWORD dst_unused:UNUSED_PAD src0_sel:DWORD src1_sel:BYTE_1
	v_mov_b32_e32 v13, v6
	v_mov_b32_e32 v20, v14
	s_mov_b32 s16, exec_lo
	v_and_b32_e32 v21, 0x7f, v5
	v_mov_b32_e32 v19, v13
	v_cmpx_ne_u32_e32 0x7f, v21
	s_cbranch_execz .LBB218_398
; %bb.395:                              ;   in Loop: Header=BB218_282 Depth=1
	v_and_b32_e32 v5, 7, v5
	v_lshrrev_b32_e32 v11, 3, v21
	s_mov_b32 s17, exec_lo
	v_cmpx_gt_u32_e32 8, v21
; %bb.396:                              ;   in Loop: Header=BB218_282 Depth=1
	v_ffbh_u32_e32 v11, v5
	v_min_u32_e32 v11, 32, v11
	v_subrev_nc_u32_e32 v13, 28, v11
	v_sub_nc_u32_e32 v11, 29, v11
	v_lshlrev_b64 v[19:20], v13, v[5:6]
	v_and_b32_e32 v5, 7, v19
; %bb.397:                              ;   in Loop: Header=BB218_282 Depth=1
	s_or_b32 exec_lo, exec_lo, s17
	v_lshlrev_b32_e32 v13, 16, v60
	v_lshlrev_b32_e32 v5, 20, v5
	v_lshl_add_u32 v11, v11, 23, 0x3c000000
	v_mov_b32_e32 v19, v6
	v_and_b32_e32 v13, 0x80000000, v13
	v_or3_b32 v20, v5, v13, v11
.LBB218_398:                            ;   in Loop: Header=BB218_282 Depth=1
	s_or_b32 exec_lo, exec_lo, s16
.LBB218_399:                            ;   in Loop: Header=BB218_282 Depth=1
	s_or_b32 exec_lo, exec_lo, s15
.LBB218_400:                            ;   in Loop: Header=BB218_282 Depth=1
	s_or_b32 exec_lo, exec_lo, s14
	v_mov_b32_e32 v23, 0
	v_mov_b32_e32 v21, 0
	v_and_b32_sdwa v5, v60, v41 dst_sel:DWORD dst_unused:UNUSED_PAD src0_sel:WORD_1 src1_sel:DWORD
	v_mov_b32_e32 v24, 0
	v_mov_b32_e32 v22, 0
	s_mov_b32 s14, exec_lo
	v_cmpx_ne_u16_e32 0, v5
	s_cbranch_execz .LBB218_408
; %bb.401:                              ;   in Loop: Header=BB218_282 Depth=1
	v_bfrev_b32_e32 v21, 1
	v_mov_b32_e32 v22, 0
	s_mov_b32 s15, exec_lo
	v_cmpx_ne_u16_e32 0x80, v5
	s_cbranch_execz .LBB218_407
; %bb.402:                              ;   in Loop: Header=BB218_282 Depth=1
	v_mov_b32_e32 v21, 0x7f800001
	v_bfe_u32 v13, v60, 16, 7
	v_mov_b32_e32 v22, 0
	s_mov_b32 s16, exec_lo
	v_cmpx_ne_u32_e32 0x7f, v13
	s_cbranch_execz .LBB218_406
; %bb.403:                              ;   in Loop: Header=BB218_282 Depth=1
	v_and_b32_sdwa v5, v60, v42 dst_sel:DWORD dst_unused:UNUSED_PAD src0_sel:WORD_1 src1_sel:DWORD
	v_lshrrev_b32_e32 v11, 3, v13
	s_mov_b32 s17, exec_lo
	v_cmpx_gt_u32_e32 8, v13
; %bb.404:                              ;   in Loop: Header=BB218_282 Depth=1
	v_ffbh_u32_e32 v11, v5
	v_min_u32_e32 v11, 32, v11
	v_subrev_nc_u32_e32 v13, 28, v11
	v_sub_nc_u32_e32 v11, 29, v11
	v_lshlrev_b64 v[21:22], v13, v[5:6]
	v_and_b32_e32 v5, 7, v21
; %bb.405:                              ;   in Loop: Header=BB218_282 Depth=1
	s_or_b32 exec_lo, exec_lo, s17
	v_lshlrev_b32_sdwa v13, v43, v60 dst_sel:DWORD dst_unused:UNUSED_PAD src0_sel:DWORD src1_sel:WORD_1
	v_lshlrev_b32_e32 v5, 20, v5
	v_lshl_add_u32 v11, v11, 23, 0x3c000000
	v_and_b32_e32 v13, 0x80000000, v13
	v_or3_b32 v5, v5, v13, v11
	v_mov_b32_e32 v22, v6
	v_mov_b32_e32 v21, v5
.LBB218_406:                            ;   in Loop: Header=BB218_282 Depth=1
	s_or_b32 exec_lo, exec_lo, s16
.LBB218_407:                            ;   in Loop: Header=BB218_282 Depth=1
	s_or_b32 exec_lo, exec_lo, s15
.LBB218_408:                            ;   in Loop: Header=BB218_282 Depth=1
	s_or_b32 exec_lo, exec_lo, s14
	s_mov_b32 s14, exec_lo
	v_cmpx_lt_u32_e32 0xffffff, v60
	s_cbranch_execz .LBB218_416
; %bb.409:                              ;   in Loop: Header=BB218_282 Depth=1
	v_mov_b32_e32 v11, v6
	v_mov_b32_e32 v24, v12
	v_cmp_ne_u32_sdwa s0, v60, v39 src0_sel:BYTE_3 src1_sel:DWORD
	v_mov_b32_e32 v23, v11
	s_and_saveexec_b32 s15, s0
	s_cbranch_execz .LBB218_415
; %bb.410:                              ;   in Loop: Header=BB218_282 Depth=1
	v_mov_b32_e32 v13, v6
	v_mov_b32_e32 v24, v14
	v_bfe_u32 v61, v60, 24, 7
	s_mov_b32 s16, exec_lo
	v_mov_b32_e32 v23, v13
	v_cmpx_ne_u32_e32 0x7f, v61
	s_cbranch_execz .LBB218_414
; %bb.411:                              ;   in Loop: Header=BB218_282 Depth=1
	v_and_b32_sdwa v5, v60, v42 dst_sel:DWORD dst_unused:UNUSED_PAD src0_sel:BYTE_3 src1_sel:DWORD
	v_lshrrev_b32_e32 v11, 3, v61
	s_mov_b32 s17, exec_lo
	v_cmpx_gt_u32_e32 8, v61
; %bb.412:                              ;   in Loop: Header=BB218_282 Depth=1
	v_ffbh_u32_e32 v11, v5
	v_min_u32_e32 v11, 32, v11
	v_subrev_nc_u32_e32 v13, 28, v11
	v_sub_nc_u32_e32 v11, 29, v11
	v_lshlrev_b64 v[23:24], v13, v[5:6]
	v_and_b32_e32 v5, 7, v23
; %bb.413:                              ;   in Loop: Header=BB218_282 Depth=1
	s_or_b32 exec_lo, exec_lo, s17
	v_lshlrev_b32_sdwa v13, v43, v60 dst_sel:DWORD dst_unused:UNUSED_PAD src0_sel:DWORD src1_sel:BYTE_3
	v_lshlrev_b32_e32 v5, 20, v5
	v_lshl_add_u32 v11, v11, 23, 0x3c000000
	v_mov_b32_e32 v23, v6
	v_and_b32_e32 v13, 0x80000000, v13
	v_or3_b32 v24, v5, v13, v11
.LBB218_414:                            ;   in Loop: Header=BB218_282 Depth=1
	s_or_b32 exec_lo, exec_lo, s16
.LBB218_415:                            ;   in Loop: Header=BB218_282 Depth=1
	s_or_b32 exec_lo, exec_lo, s15
.LBB218_416:                            ;   in Loop: Header=BB218_282 Depth=1
	s_or_b32 exec_lo, exec_lo, s14
	v_or_b32_e32 v5, v20, v18
	v_or_b32_e32 v11, v19, v17
	;; [unrolled: 1-line block ×4, first 2 shown]
	v_mul_f32_e32 v62, s13, v5
	v_mul_f32_e32 v63, s2, v11
	;; [unrolled: 1-line block ×4, first 2 shown]
	s_and_saveexec_b32 s14, vcc_lo
	s_cbranch_execz .LBB218_418
; %bb.417:                              ;   in Loop: Header=BB218_282 Depth=1
	v_cmp_gt_i32_e64 s0, s11, v49
	v_cndmask_b32_e64 v63, 0, v63, s0
	v_cmp_gt_i32_e64 s0, s11, v51
	v_cndmask_b32_e64 v62, 0, v62, s0
	;; [unrolled: 2-line block ×4, first 2 shown]
.LBB218_418:                            ;   in Loop: Header=BB218_282 Depth=1
	s_or_b32 exec_lo, exec_lo, s14
	global_load_dword v64, v[15:16], off offset:512
	v_mov_b32_e32 v19, 0
	v_mov_b32_e32 v17, 0
	v_mov_b32_e32 v20, 0
	v_mov_b32_e32 v18, 0
	s_waitcnt vmcnt(0)
	v_cmp_ne_u16_sdwa s0, v64, v6 src0_sel:BYTE_0 src1_sel:DWORD
	s_and_saveexec_b32 s14, s0
	s_cbranch_execz .LBB218_426
; %bb.419:                              ;   in Loop: Header=BB218_282 Depth=1
	v_bfrev_b32_e32 v17, 1
	v_mov_b32_e32 v18, 0
	v_cmp_ne_u16_sdwa s0, v64, v39 src0_sel:BYTE_0 src1_sel:DWORD
	s_and_saveexec_b32 s15, s0
	s_cbranch_execz .LBB218_425
; %bb.420:                              ;   in Loop: Header=BB218_282 Depth=1
	v_mov_b32_e32 v17, 0x7f800001
	v_and_b32_e32 v13, 0x7f, v64
	v_mov_b32_e32 v18, 0
	s_mov_b32 s16, exec_lo
	v_cmpx_ne_u32_e32 0x7f, v13
	s_cbranch_execz .LBB218_424
; %bb.421:                              ;   in Loop: Header=BB218_282 Depth=1
	v_and_b32_e32 v5, 7, v64
	v_lshrrev_b32_e32 v11, 3, v13
	s_mov_b32 s17, exec_lo
	v_cmpx_gt_u32_e32 8, v13
; %bb.422:                              ;   in Loop: Header=BB218_282 Depth=1
	v_ffbh_u32_e32 v11, v5
	v_min_u32_e32 v11, 32, v11
	v_subrev_nc_u32_e32 v13, 28, v11
	v_sub_nc_u32_e32 v11, 29, v11
	v_lshlrev_b64 v[17:18], v13, v[5:6]
	v_and_b32_e32 v5, 7, v17
; %bb.423:                              ;   in Loop: Header=BB218_282 Depth=1
	s_or_b32 exec_lo, exec_lo, s17
	v_lshlrev_b32_e32 v13, 24, v64
	v_lshlrev_b32_e32 v5, 20, v5
	v_lshl_add_u32 v11, v11, 23, 0x3c000000
	v_and_b32_e32 v13, 0x80000000, v13
	v_or3_b32 v5, v5, v13, v11
	v_mov_b32_e32 v18, v6
	v_mov_b32_e32 v17, v5
.LBB218_424:                            ;   in Loop: Header=BB218_282 Depth=1
	s_or_b32 exec_lo, exec_lo, s16
.LBB218_425:                            ;   in Loop: Header=BB218_282 Depth=1
	s_or_b32 exec_lo, exec_lo, s15
.LBB218_426:                            ;   in Loop: Header=BB218_282 Depth=1
	s_or_b32 exec_lo, exec_lo, s14
	v_cmp_ne_u16_sdwa s0, v64, v6 src0_sel:BYTE_1 src1_sel:DWORD
	s_and_saveexec_b32 s14, s0
	s_cbranch_execz .LBB218_434
; %bb.427:                              ;   in Loop: Header=BB218_282 Depth=1
	v_mov_b32_e32 v11, v6
	v_mov_b32_e32 v20, v12
	v_cmp_ne_u16_sdwa s0, v64, v39 src0_sel:BYTE_1 src1_sel:DWORD
	v_mov_b32_e32 v19, v11
	s_and_saveexec_b32 s15, s0
	s_cbranch_execz .LBB218_433
; %bb.428:                              ;   in Loop: Header=BB218_282 Depth=1
	v_and_b32_sdwa v5, v40, v64 dst_sel:DWORD dst_unused:UNUSED_PAD src0_sel:DWORD src1_sel:BYTE_1
	v_mov_b32_e32 v13, v6
	v_mov_b32_e32 v20, v14
	s_mov_b32 s16, exec_lo
	v_and_b32_e32 v21, 0x7f, v5
	v_mov_b32_e32 v19, v13
	v_cmpx_ne_u32_e32 0x7f, v21
	s_cbranch_execz .LBB218_432
; %bb.429:                              ;   in Loop: Header=BB218_282 Depth=1
	v_and_b32_e32 v5, 7, v5
	v_lshrrev_b32_e32 v11, 3, v21
	s_mov_b32 s17, exec_lo
	v_cmpx_gt_u32_e32 8, v21
; %bb.430:                              ;   in Loop: Header=BB218_282 Depth=1
	v_ffbh_u32_e32 v11, v5
	v_min_u32_e32 v11, 32, v11
	v_subrev_nc_u32_e32 v13, 28, v11
	v_sub_nc_u32_e32 v11, 29, v11
	v_lshlrev_b64 v[19:20], v13, v[5:6]
	v_and_b32_e32 v5, 7, v19
; %bb.431:                              ;   in Loop: Header=BB218_282 Depth=1
	s_or_b32 exec_lo, exec_lo, s17
	v_lshlrev_b32_e32 v13, 16, v64
	v_lshlrev_b32_e32 v5, 20, v5
	v_lshl_add_u32 v11, v11, 23, 0x3c000000
	v_mov_b32_e32 v19, v6
	v_and_b32_e32 v13, 0x80000000, v13
	v_or3_b32 v20, v5, v13, v11
.LBB218_432:                            ;   in Loop: Header=BB218_282 Depth=1
	s_or_b32 exec_lo, exec_lo, s16
.LBB218_433:                            ;   in Loop: Header=BB218_282 Depth=1
	s_or_b32 exec_lo, exec_lo, s15
.LBB218_434:                            ;   in Loop: Header=BB218_282 Depth=1
	s_or_b32 exec_lo, exec_lo, s14
	v_mov_b32_e32 v23, 0
	v_mov_b32_e32 v21, 0
	v_and_b32_sdwa v5, v64, v41 dst_sel:DWORD dst_unused:UNUSED_PAD src0_sel:WORD_1 src1_sel:DWORD
	v_mov_b32_e32 v24, 0
	v_mov_b32_e32 v22, 0
	s_mov_b32 s14, exec_lo
	v_cmpx_ne_u16_e32 0, v5
	s_cbranch_execz .LBB218_442
; %bb.435:                              ;   in Loop: Header=BB218_282 Depth=1
	v_bfrev_b32_e32 v21, 1
	v_mov_b32_e32 v22, 0
	s_mov_b32 s15, exec_lo
	v_cmpx_ne_u16_e32 0x80, v5
	s_cbranch_execz .LBB218_441
; %bb.436:                              ;   in Loop: Header=BB218_282 Depth=1
	v_mov_b32_e32 v21, 0x7f800001
	v_bfe_u32 v13, v64, 16, 7
	v_mov_b32_e32 v22, 0
	s_mov_b32 s16, exec_lo
	v_cmpx_ne_u32_e32 0x7f, v13
	s_cbranch_execz .LBB218_440
; %bb.437:                              ;   in Loop: Header=BB218_282 Depth=1
	v_and_b32_sdwa v5, v64, v42 dst_sel:DWORD dst_unused:UNUSED_PAD src0_sel:WORD_1 src1_sel:DWORD
	v_lshrrev_b32_e32 v11, 3, v13
	s_mov_b32 s17, exec_lo
	v_cmpx_gt_u32_e32 8, v13
; %bb.438:                              ;   in Loop: Header=BB218_282 Depth=1
	v_ffbh_u32_e32 v11, v5
	v_min_u32_e32 v11, 32, v11
	v_subrev_nc_u32_e32 v13, 28, v11
	v_sub_nc_u32_e32 v11, 29, v11
	v_lshlrev_b64 v[21:22], v13, v[5:6]
	v_and_b32_e32 v5, 7, v21
; %bb.439:                              ;   in Loop: Header=BB218_282 Depth=1
	s_or_b32 exec_lo, exec_lo, s17
	v_lshlrev_b32_sdwa v13, v43, v64 dst_sel:DWORD dst_unused:UNUSED_PAD src0_sel:DWORD src1_sel:WORD_1
	v_lshlrev_b32_e32 v5, 20, v5
	v_lshl_add_u32 v11, v11, 23, 0x3c000000
	v_and_b32_e32 v13, 0x80000000, v13
	v_or3_b32 v5, v5, v13, v11
	v_mov_b32_e32 v22, v6
	v_mov_b32_e32 v21, v5
.LBB218_440:                            ;   in Loop: Header=BB218_282 Depth=1
	s_or_b32 exec_lo, exec_lo, s16
.LBB218_441:                            ;   in Loop: Header=BB218_282 Depth=1
	s_or_b32 exec_lo, exec_lo, s15
.LBB218_442:                            ;   in Loop: Header=BB218_282 Depth=1
	s_or_b32 exec_lo, exec_lo, s14
	s_mov_b32 s14, exec_lo
	v_cmpx_lt_u32_e32 0xffffff, v64
	s_cbranch_execz .LBB218_450
; %bb.443:                              ;   in Loop: Header=BB218_282 Depth=1
	v_mov_b32_e32 v11, v6
	v_mov_b32_e32 v24, v12
	v_cmp_ne_u32_sdwa s0, v64, v39 src0_sel:BYTE_3 src1_sel:DWORD
	v_mov_b32_e32 v23, v11
	s_and_saveexec_b32 s15, s0
	s_cbranch_execz .LBB218_449
; %bb.444:                              ;   in Loop: Header=BB218_282 Depth=1
	v_mov_b32_e32 v13, v6
	v_mov_b32_e32 v24, v14
	v_bfe_u32 v65, v64, 24, 7
	s_mov_b32 s16, exec_lo
	v_mov_b32_e32 v23, v13
	v_cmpx_ne_u32_e32 0x7f, v65
	s_cbranch_execz .LBB218_448
; %bb.445:                              ;   in Loop: Header=BB218_282 Depth=1
	v_and_b32_sdwa v5, v64, v42 dst_sel:DWORD dst_unused:UNUSED_PAD src0_sel:BYTE_3 src1_sel:DWORD
	v_lshrrev_b32_e32 v11, 3, v65
	s_mov_b32 s17, exec_lo
	v_cmpx_gt_u32_e32 8, v65
; %bb.446:                              ;   in Loop: Header=BB218_282 Depth=1
	v_ffbh_u32_e32 v11, v5
	v_min_u32_e32 v11, 32, v11
	v_subrev_nc_u32_e32 v13, 28, v11
	v_sub_nc_u32_e32 v11, 29, v11
	v_lshlrev_b64 v[23:24], v13, v[5:6]
	v_and_b32_e32 v5, 7, v23
; %bb.447:                              ;   in Loop: Header=BB218_282 Depth=1
	s_or_b32 exec_lo, exec_lo, s17
	v_lshlrev_b32_sdwa v13, v43, v64 dst_sel:DWORD dst_unused:UNUSED_PAD src0_sel:DWORD src1_sel:BYTE_3
	v_lshlrev_b32_e32 v5, 20, v5
	v_lshl_add_u32 v11, v11, 23, 0x3c000000
	v_mov_b32_e32 v23, v6
	v_and_b32_e32 v13, 0x80000000, v13
	v_or3_b32 v24, v5, v13, v11
.LBB218_448:                            ;   in Loop: Header=BB218_282 Depth=1
	s_or_b32 exec_lo, exec_lo, s16
.LBB218_449:                            ;   in Loop: Header=BB218_282 Depth=1
	s_or_b32 exec_lo, exec_lo, s15
.LBB218_450:                            ;   in Loop: Header=BB218_282 Depth=1
	s_or_b32 exec_lo, exec_lo, s14
	v_or_b32_e32 v5, v20, v18
	v_or_b32_e32 v11, v19, v17
	;; [unrolled: 1-line block ×4, first 2 shown]
	v_mul_f32_e32 v66, s13, v5
	v_mul_f32_e32 v67, s2, v11
	;; [unrolled: 1-line block ×4, first 2 shown]
	s_and_saveexec_b32 s14, vcc_lo
	s_cbranch_execz .LBB218_452
; %bb.451:                              ;   in Loop: Header=BB218_282 Depth=1
	v_cmp_gt_i32_e64 s0, s11, v49
	v_cndmask_b32_e64 v67, 0, v67, s0
	v_cmp_gt_i32_e64 s0, s11, v51
	v_cndmask_b32_e64 v66, 0, v66, s0
	;; [unrolled: 2-line block ×4, first 2 shown]
.LBB218_452:                            ;   in Loop: Header=BB218_282 Depth=1
	s_or_b32 exec_lo, exec_lo, s14
	global_load_dword v68, v[15:16], off offset:640
	v_mov_b32_e32 v19, 0
	v_mov_b32_e32 v17, 0
	;; [unrolled: 1-line block ×4, first 2 shown]
	s_waitcnt vmcnt(0)
	v_cmp_ne_u16_sdwa s0, v68, v6 src0_sel:BYTE_0 src1_sel:DWORD
	s_and_saveexec_b32 s14, s0
	s_cbranch_execz .LBB218_460
; %bb.453:                              ;   in Loop: Header=BB218_282 Depth=1
	v_bfrev_b32_e32 v17, 1
	v_mov_b32_e32 v18, 0
	v_cmp_ne_u16_sdwa s0, v68, v39 src0_sel:BYTE_0 src1_sel:DWORD
	s_and_saveexec_b32 s15, s0
	s_cbranch_execz .LBB218_459
; %bb.454:                              ;   in Loop: Header=BB218_282 Depth=1
	v_mov_b32_e32 v17, 0x7f800001
	v_and_b32_e32 v13, 0x7f, v68
	v_mov_b32_e32 v18, 0
	s_mov_b32 s16, exec_lo
	v_cmpx_ne_u32_e32 0x7f, v13
	s_cbranch_execz .LBB218_458
; %bb.455:                              ;   in Loop: Header=BB218_282 Depth=1
	v_and_b32_e32 v5, 7, v68
	v_lshrrev_b32_e32 v11, 3, v13
	s_mov_b32 s17, exec_lo
	v_cmpx_gt_u32_e32 8, v13
; %bb.456:                              ;   in Loop: Header=BB218_282 Depth=1
	v_ffbh_u32_e32 v11, v5
	v_min_u32_e32 v11, 32, v11
	v_subrev_nc_u32_e32 v13, 28, v11
	v_sub_nc_u32_e32 v11, 29, v11
	v_lshlrev_b64 v[17:18], v13, v[5:6]
	v_and_b32_e32 v5, 7, v17
; %bb.457:                              ;   in Loop: Header=BB218_282 Depth=1
	s_or_b32 exec_lo, exec_lo, s17
	v_lshlrev_b32_e32 v13, 24, v68
	v_lshlrev_b32_e32 v5, 20, v5
	v_lshl_add_u32 v11, v11, 23, 0x3c000000
	v_and_b32_e32 v13, 0x80000000, v13
	v_or3_b32 v5, v5, v13, v11
	v_mov_b32_e32 v18, v6
	v_mov_b32_e32 v17, v5
.LBB218_458:                            ;   in Loop: Header=BB218_282 Depth=1
	s_or_b32 exec_lo, exec_lo, s16
.LBB218_459:                            ;   in Loop: Header=BB218_282 Depth=1
	s_or_b32 exec_lo, exec_lo, s15
.LBB218_460:                            ;   in Loop: Header=BB218_282 Depth=1
	s_or_b32 exec_lo, exec_lo, s14
	v_cmp_ne_u16_sdwa s0, v68, v6 src0_sel:BYTE_1 src1_sel:DWORD
	s_and_saveexec_b32 s14, s0
	s_cbranch_execz .LBB218_468
; %bb.461:                              ;   in Loop: Header=BB218_282 Depth=1
	v_mov_b32_e32 v11, v6
	v_mov_b32_e32 v20, v12
	v_cmp_ne_u16_sdwa s0, v68, v39 src0_sel:BYTE_1 src1_sel:DWORD
	v_mov_b32_e32 v19, v11
	s_and_saveexec_b32 s15, s0
	s_cbranch_execz .LBB218_467
; %bb.462:                              ;   in Loop: Header=BB218_282 Depth=1
	v_and_b32_sdwa v5, v40, v68 dst_sel:DWORD dst_unused:UNUSED_PAD src0_sel:DWORD src1_sel:BYTE_1
	v_mov_b32_e32 v13, v6
	v_mov_b32_e32 v20, v14
	s_mov_b32 s16, exec_lo
	v_and_b32_e32 v21, 0x7f, v5
	v_mov_b32_e32 v19, v13
	v_cmpx_ne_u32_e32 0x7f, v21
	s_cbranch_execz .LBB218_466
; %bb.463:                              ;   in Loop: Header=BB218_282 Depth=1
	v_and_b32_e32 v5, 7, v5
	v_lshrrev_b32_e32 v11, 3, v21
	s_mov_b32 s17, exec_lo
	v_cmpx_gt_u32_e32 8, v21
; %bb.464:                              ;   in Loop: Header=BB218_282 Depth=1
	v_ffbh_u32_e32 v11, v5
	v_min_u32_e32 v11, 32, v11
	v_subrev_nc_u32_e32 v13, 28, v11
	v_sub_nc_u32_e32 v11, 29, v11
	v_lshlrev_b64 v[19:20], v13, v[5:6]
	v_and_b32_e32 v5, 7, v19
; %bb.465:                              ;   in Loop: Header=BB218_282 Depth=1
	s_or_b32 exec_lo, exec_lo, s17
	v_lshlrev_b32_e32 v13, 16, v68
	v_lshlrev_b32_e32 v5, 20, v5
	v_lshl_add_u32 v11, v11, 23, 0x3c000000
	v_mov_b32_e32 v19, v6
	v_and_b32_e32 v13, 0x80000000, v13
	v_or3_b32 v20, v5, v13, v11
.LBB218_466:                            ;   in Loop: Header=BB218_282 Depth=1
	s_or_b32 exec_lo, exec_lo, s16
.LBB218_467:                            ;   in Loop: Header=BB218_282 Depth=1
	s_or_b32 exec_lo, exec_lo, s15
.LBB218_468:                            ;   in Loop: Header=BB218_282 Depth=1
	s_or_b32 exec_lo, exec_lo, s14
	v_mov_b32_e32 v23, 0
	v_mov_b32_e32 v21, 0
	v_and_b32_sdwa v5, v68, v41 dst_sel:DWORD dst_unused:UNUSED_PAD src0_sel:WORD_1 src1_sel:DWORD
	v_mov_b32_e32 v24, 0
	v_mov_b32_e32 v22, 0
	s_mov_b32 s14, exec_lo
	v_cmpx_ne_u16_e32 0, v5
	s_cbranch_execz .LBB218_476
; %bb.469:                              ;   in Loop: Header=BB218_282 Depth=1
	v_bfrev_b32_e32 v21, 1
	v_mov_b32_e32 v22, 0
	s_mov_b32 s15, exec_lo
	v_cmpx_ne_u16_e32 0x80, v5
	s_cbranch_execz .LBB218_475
; %bb.470:                              ;   in Loop: Header=BB218_282 Depth=1
	v_mov_b32_e32 v21, 0x7f800001
	v_bfe_u32 v13, v68, 16, 7
	v_mov_b32_e32 v22, 0
	s_mov_b32 s16, exec_lo
	v_cmpx_ne_u32_e32 0x7f, v13
	s_cbranch_execz .LBB218_474
; %bb.471:                              ;   in Loop: Header=BB218_282 Depth=1
	v_and_b32_sdwa v5, v68, v42 dst_sel:DWORD dst_unused:UNUSED_PAD src0_sel:WORD_1 src1_sel:DWORD
	v_lshrrev_b32_e32 v11, 3, v13
	s_mov_b32 s17, exec_lo
	v_cmpx_gt_u32_e32 8, v13
; %bb.472:                              ;   in Loop: Header=BB218_282 Depth=1
	v_ffbh_u32_e32 v11, v5
	v_min_u32_e32 v11, 32, v11
	v_subrev_nc_u32_e32 v13, 28, v11
	v_sub_nc_u32_e32 v11, 29, v11
	v_lshlrev_b64 v[21:22], v13, v[5:6]
	v_and_b32_e32 v5, 7, v21
; %bb.473:                              ;   in Loop: Header=BB218_282 Depth=1
	s_or_b32 exec_lo, exec_lo, s17
	v_lshlrev_b32_sdwa v13, v43, v68 dst_sel:DWORD dst_unused:UNUSED_PAD src0_sel:DWORD src1_sel:WORD_1
	v_lshlrev_b32_e32 v5, 20, v5
	v_lshl_add_u32 v11, v11, 23, 0x3c000000
	v_and_b32_e32 v13, 0x80000000, v13
	v_or3_b32 v5, v5, v13, v11
	v_mov_b32_e32 v22, v6
	v_mov_b32_e32 v21, v5
.LBB218_474:                            ;   in Loop: Header=BB218_282 Depth=1
	s_or_b32 exec_lo, exec_lo, s16
.LBB218_475:                            ;   in Loop: Header=BB218_282 Depth=1
	s_or_b32 exec_lo, exec_lo, s15
.LBB218_476:                            ;   in Loop: Header=BB218_282 Depth=1
	s_or_b32 exec_lo, exec_lo, s14
	s_mov_b32 s14, exec_lo
	v_cmpx_lt_u32_e32 0xffffff, v68
	s_cbranch_execz .LBB218_484
; %bb.477:                              ;   in Loop: Header=BB218_282 Depth=1
	v_mov_b32_e32 v11, v6
	v_mov_b32_e32 v24, v12
	v_cmp_ne_u32_sdwa s0, v68, v39 src0_sel:BYTE_3 src1_sel:DWORD
	v_mov_b32_e32 v23, v11
	s_and_saveexec_b32 s15, s0
	s_cbranch_execz .LBB218_483
; %bb.478:                              ;   in Loop: Header=BB218_282 Depth=1
	v_mov_b32_e32 v13, v6
	v_mov_b32_e32 v24, v14
	v_bfe_u32 v69, v68, 24, 7
	s_mov_b32 s16, exec_lo
	v_mov_b32_e32 v23, v13
	v_cmpx_ne_u32_e32 0x7f, v69
	s_cbranch_execz .LBB218_482
; %bb.479:                              ;   in Loop: Header=BB218_282 Depth=1
	v_and_b32_sdwa v5, v68, v42 dst_sel:DWORD dst_unused:UNUSED_PAD src0_sel:BYTE_3 src1_sel:DWORD
	v_lshrrev_b32_e32 v11, 3, v69
	s_mov_b32 s17, exec_lo
	v_cmpx_gt_u32_e32 8, v69
; %bb.480:                              ;   in Loop: Header=BB218_282 Depth=1
	v_ffbh_u32_e32 v11, v5
	v_min_u32_e32 v11, 32, v11
	v_subrev_nc_u32_e32 v13, 28, v11
	v_sub_nc_u32_e32 v11, 29, v11
	v_lshlrev_b64 v[23:24], v13, v[5:6]
	v_and_b32_e32 v5, 7, v23
; %bb.481:                              ;   in Loop: Header=BB218_282 Depth=1
	s_or_b32 exec_lo, exec_lo, s17
	v_lshlrev_b32_sdwa v13, v43, v68 dst_sel:DWORD dst_unused:UNUSED_PAD src0_sel:DWORD src1_sel:BYTE_3
	v_lshlrev_b32_e32 v5, 20, v5
	v_lshl_add_u32 v11, v11, 23, 0x3c000000
	v_mov_b32_e32 v23, v6
	v_and_b32_e32 v13, 0x80000000, v13
	v_or3_b32 v24, v5, v13, v11
.LBB218_482:                            ;   in Loop: Header=BB218_282 Depth=1
	s_or_b32 exec_lo, exec_lo, s16
.LBB218_483:                            ;   in Loop: Header=BB218_282 Depth=1
	s_or_b32 exec_lo, exec_lo, s15
.LBB218_484:                            ;   in Loop: Header=BB218_282 Depth=1
	s_or_b32 exec_lo, exec_lo, s14
	v_or_b32_e32 v5, v20, v18
	v_or_b32_e32 v11, v19, v17
	;; [unrolled: 1-line block ×4, first 2 shown]
	v_mul_f32_e32 v70, s13, v5
	v_mul_f32_e32 v71, s2, v11
	;; [unrolled: 1-line block ×4, first 2 shown]
	s_and_saveexec_b32 s14, vcc_lo
	s_cbranch_execz .LBB218_486
; %bb.485:                              ;   in Loop: Header=BB218_282 Depth=1
	v_cmp_gt_i32_e64 s0, s11, v49
	v_cndmask_b32_e64 v71, 0, v71, s0
	v_cmp_gt_i32_e64 s0, s11, v51
	v_cndmask_b32_e64 v70, 0, v70, s0
	;; [unrolled: 2-line block ×4, first 2 shown]
.LBB218_486:                            ;   in Loop: Header=BB218_282 Depth=1
	s_or_b32 exec_lo, exec_lo, s14
	global_load_dword v72, v[15:16], off offset:768
	v_mov_b32_e32 v19, 0
	v_mov_b32_e32 v17, 0
	;; [unrolled: 1-line block ×4, first 2 shown]
	s_waitcnt vmcnt(0)
	v_cmp_ne_u16_sdwa s0, v72, v6 src0_sel:BYTE_0 src1_sel:DWORD
	s_and_saveexec_b32 s14, s0
	s_cbranch_execz .LBB218_494
; %bb.487:                              ;   in Loop: Header=BB218_282 Depth=1
	v_bfrev_b32_e32 v17, 1
	v_mov_b32_e32 v18, 0
	v_cmp_ne_u16_sdwa s0, v72, v39 src0_sel:BYTE_0 src1_sel:DWORD
	s_and_saveexec_b32 s15, s0
	s_cbranch_execz .LBB218_493
; %bb.488:                              ;   in Loop: Header=BB218_282 Depth=1
	v_mov_b32_e32 v17, 0x7f800001
	v_and_b32_e32 v13, 0x7f, v72
	v_mov_b32_e32 v18, 0
	s_mov_b32 s16, exec_lo
	v_cmpx_ne_u32_e32 0x7f, v13
	s_cbranch_execz .LBB218_492
; %bb.489:                              ;   in Loop: Header=BB218_282 Depth=1
	v_and_b32_e32 v5, 7, v72
	v_lshrrev_b32_e32 v11, 3, v13
	s_mov_b32 s17, exec_lo
	v_cmpx_gt_u32_e32 8, v13
; %bb.490:                              ;   in Loop: Header=BB218_282 Depth=1
	v_ffbh_u32_e32 v11, v5
	v_min_u32_e32 v11, 32, v11
	v_subrev_nc_u32_e32 v13, 28, v11
	v_sub_nc_u32_e32 v11, 29, v11
	v_lshlrev_b64 v[17:18], v13, v[5:6]
	v_and_b32_e32 v5, 7, v17
; %bb.491:                              ;   in Loop: Header=BB218_282 Depth=1
	s_or_b32 exec_lo, exec_lo, s17
	v_lshlrev_b32_e32 v13, 24, v72
	v_lshlrev_b32_e32 v5, 20, v5
	v_lshl_add_u32 v11, v11, 23, 0x3c000000
	v_and_b32_e32 v13, 0x80000000, v13
	v_or3_b32 v5, v5, v13, v11
	v_mov_b32_e32 v18, v6
	v_mov_b32_e32 v17, v5
.LBB218_492:                            ;   in Loop: Header=BB218_282 Depth=1
	s_or_b32 exec_lo, exec_lo, s16
.LBB218_493:                            ;   in Loop: Header=BB218_282 Depth=1
	s_or_b32 exec_lo, exec_lo, s15
.LBB218_494:                            ;   in Loop: Header=BB218_282 Depth=1
	s_or_b32 exec_lo, exec_lo, s14
	v_cmp_ne_u16_sdwa s0, v72, v6 src0_sel:BYTE_1 src1_sel:DWORD
	s_and_saveexec_b32 s14, s0
	s_cbranch_execz .LBB218_502
; %bb.495:                              ;   in Loop: Header=BB218_282 Depth=1
	v_mov_b32_e32 v11, v6
	v_mov_b32_e32 v20, v12
	v_cmp_ne_u16_sdwa s0, v72, v39 src0_sel:BYTE_1 src1_sel:DWORD
	v_mov_b32_e32 v19, v11
	s_and_saveexec_b32 s15, s0
	s_cbranch_execz .LBB218_501
; %bb.496:                              ;   in Loop: Header=BB218_282 Depth=1
	v_and_b32_sdwa v5, v40, v72 dst_sel:DWORD dst_unused:UNUSED_PAD src0_sel:DWORD src1_sel:BYTE_1
	v_mov_b32_e32 v13, v6
	v_mov_b32_e32 v20, v14
	s_mov_b32 s16, exec_lo
	v_and_b32_e32 v21, 0x7f, v5
	v_mov_b32_e32 v19, v13
	v_cmpx_ne_u32_e32 0x7f, v21
	s_cbranch_execz .LBB218_500
; %bb.497:                              ;   in Loop: Header=BB218_282 Depth=1
	v_and_b32_e32 v5, 7, v5
	v_lshrrev_b32_e32 v11, 3, v21
	s_mov_b32 s17, exec_lo
	v_cmpx_gt_u32_e32 8, v21
; %bb.498:                              ;   in Loop: Header=BB218_282 Depth=1
	v_ffbh_u32_e32 v11, v5
	v_min_u32_e32 v11, 32, v11
	v_subrev_nc_u32_e32 v13, 28, v11
	v_sub_nc_u32_e32 v11, 29, v11
	v_lshlrev_b64 v[19:20], v13, v[5:6]
	v_and_b32_e32 v5, 7, v19
; %bb.499:                              ;   in Loop: Header=BB218_282 Depth=1
	s_or_b32 exec_lo, exec_lo, s17
	v_lshlrev_b32_e32 v13, 16, v72
	v_lshlrev_b32_e32 v5, 20, v5
	v_lshl_add_u32 v11, v11, 23, 0x3c000000
	v_mov_b32_e32 v19, v6
	v_and_b32_e32 v13, 0x80000000, v13
	v_or3_b32 v20, v5, v13, v11
.LBB218_500:                            ;   in Loop: Header=BB218_282 Depth=1
	s_or_b32 exec_lo, exec_lo, s16
.LBB218_501:                            ;   in Loop: Header=BB218_282 Depth=1
	s_or_b32 exec_lo, exec_lo, s15
.LBB218_502:                            ;   in Loop: Header=BB218_282 Depth=1
	s_or_b32 exec_lo, exec_lo, s14
	v_mov_b32_e32 v23, 0
	v_mov_b32_e32 v21, 0
	v_and_b32_sdwa v5, v72, v41 dst_sel:DWORD dst_unused:UNUSED_PAD src0_sel:WORD_1 src1_sel:DWORD
	v_mov_b32_e32 v24, 0
	v_mov_b32_e32 v22, 0
	s_mov_b32 s14, exec_lo
	v_cmpx_ne_u16_e32 0, v5
	s_cbranch_execz .LBB218_510
; %bb.503:                              ;   in Loop: Header=BB218_282 Depth=1
	v_bfrev_b32_e32 v21, 1
	v_mov_b32_e32 v22, 0
	s_mov_b32 s15, exec_lo
	v_cmpx_ne_u16_e32 0x80, v5
	s_cbranch_execz .LBB218_509
; %bb.504:                              ;   in Loop: Header=BB218_282 Depth=1
	v_mov_b32_e32 v21, 0x7f800001
	v_bfe_u32 v13, v72, 16, 7
	v_mov_b32_e32 v22, 0
	s_mov_b32 s16, exec_lo
	v_cmpx_ne_u32_e32 0x7f, v13
	s_cbranch_execz .LBB218_508
; %bb.505:                              ;   in Loop: Header=BB218_282 Depth=1
	v_and_b32_sdwa v5, v72, v42 dst_sel:DWORD dst_unused:UNUSED_PAD src0_sel:WORD_1 src1_sel:DWORD
	v_lshrrev_b32_e32 v11, 3, v13
	s_mov_b32 s17, exec_lo
	v_cmpx_gt_u32_e32 8, v13
; %bb.506:                              ;   in Loop: Header=BB218_282 Depth=1
	v_ffbh_u32_e32 v11, v5
	v_min_u32_e32 v11, 32, v11
	v_subrev_nc_u32_e32 v13, 28, v11
	v_sub_nc_u32_e32 v11, 29, v11
	v_lshlrev_b64 v[21:22], v13, v[5:6]
	v_and_b32_e32 v5, 7, v21
; %bb.507:                              ;   in Loop: Header=BB218_282 Depth=1
	s_or_b32 exec_lo, exec_lo, s17
	v_lshlrev_b32_sdwa v13, v43, v72 dst_sel:DWORD dst_unused:UNUSED_PAD src0_sel:DWORD src1_sel:WORD_1
	v_lshlrev_b32_e32 v5, 20, v5
	v_lshl_add_u32 v11, v11, 23, 0x3c000000
	v_and_b32_e32 v13, 0x80000000, v13
	v_or3_b32 v5, v5, v13, v11
	v_mov_b32_e32 v22, v6
	v_mov_b32_e32 v21, v5
.LBB218_508:                            ;   in Loop: Header=BB218_282 Depth=1
	s_or_b32 exec_lo, exec_lo, s16
.LBB218_509:                            ;   in Loop: Header=BB218_282 Depth=1
	s_or_b32 exec_lo, exec_lo, s15
.LBB218_510:                            ;   in Loop: Header=BB218_282 Depth=1
	s_or_b32 exec_lo, exec_lo, s14
	s_mov_b32 s14, exec_lo
	v_cmpx_lt_u32_e32 0xffffff, v72
	s_cbranch_execz .LBB218_518
; %bb.511:                              ;   in Loop: Header=BB218_282 Depth=1
	v_mov_b32_e32 v11, v6
	v_mov_b32_e32 v24, v12
	v_cmp_ne_u32_sdwa s0, v72, v39 src0_sel:BYTE_3 src1_sel:DWORD
	v_mov_b32_e32 v23, v11
	s_and_saveexec_b32 s15, s0
	s_cbranch_execz .LBB218_517
; %bb.512:                              ;   in Loop: Header=BB218_282 Depth=1
	v_mov_b32_e32 v13, v6
	v_mov_b32_e32 v24, v14
	v_bfe_u32 v73, v72, 24, 7
	s_mov_b32 s16, exec_lo
	v_mov_b32_e32 v23, v13
	v_cmpx_ne_u32_e32 0x7f, v73
	s_cbranch_execz .LBB218_516
; %bb.513:                              ;   in Loop: Header=BB218_282 Depth=1
	v_and_b32_sdwa v5, v72, v42 dst_sel:DWORD dst_unused:UNUSED_PAD src0_sel:BYTE_3 src1_sel:DWORD
	v_lshrrev_b32_e32 v11, 3, v73
	s_mov_b32 s17, exec_lo
	v_cmpx_gt_u32_e32 8, v73
; %bb.514:                              ;   in Loop: Header=BB218_282 Depth=1
	v_ffbh_u32_e32 v11, v5
	v_min_u32_e32 v11, 32, v11
	v_subrev_nc_u32_e32 v13, 28, v11
	v_sub_nc_u32_e32 v11, 29, v11
	v_lshlrev_b64 v[23:24], v13, v[5:6]
	v_and_b32_e32 v5, 7, v23
; %bb.515:                              ;   in Loop: Header=BB218_282 Depth=1
	s_or_b32 exec_lo, exec_lo, s17
	v_lshlrev_b32_sdwa v13, v43, v72 dst_sel:DWORD dst_unused:UNUSED_PAD src0_sel:DWORD src1_sel:BYTE_3
	v_lshlrev_b32_e32 v5, 20, v5
	v_lshl_add_u32 v11, v11, 23, 0x3c000000
	v_mov_b32_e32 v23, v6
	v_and_b32_e32 v13, 0x80000000, v13
	v_or3_b32 v24, v5, v13, v11
.LBB218_516:                            ;   in Loop: Header=BB218_282 Depth=1
	s_or_b32 exec_lo, exec_lo, s16
.LBB218_517:                            ;   in Loop: Header=BB218_282 Depth=1
	s_or_b32 exec_lo, exec_lo, s15
.LBB218_518:                            ;   in Loop: Header=BB218_282 Depth=1
	s_or_b32 exec_lo, exec_lo, s14
	v_or_b32_e32 v5, v20, v18
	v_or_b32_e32 v11, v19, v17
	;; [unrolled: 1-line block ×4, first 2 shown]
	v_mul_f32_e32 v72, s13, v5
	v_mul_f32_e32 v73, s2, v11
	v_mul_f32_e32 v24, s2, v13
	v_mul_f32_e32 v23, s13, v17
	s_and_saveexec_b32 s14, vcc_lo
	s_cbranch_execz .LBB218_520
; %bb.519:                              ;   in Loop: Header=BB218_282 Depth=1
	v_cmp_gt_i32_e64 s0, s11, v49
	v_cndmask_b32_e64 v73, 0, v73, s0
	v_cmp_gt_i32_e64 s0, s11, v51
	v_cndmask_b32_e64 v72, 0, v72, s0
	;; [unrolled: 2-line block ×4, first 2 shown]
.LBB218_520:                            ;   in Loop: Header=BB218_282 Depth=1
	s_or_b32 exec_lo, exec_lo, s14
	global_load_dword v74, v[15:16], off offset:896
	v_mov_b32_e32 v17, 0
	v_mov_b32_e32 v15, 0
	;; [unrolled: 1-line block ×4, first 2 shown]
	s_waitcnt vmcnt(0)
	v_cmp_ne_u16_sdwa s0, v74, v6 src0_sel:BYTE_0 src1_sel:DWORD
	s_and_saveexec_b32 s14, s0
	s_cbranch_execz .LBB218_528
; %bb.521:                              ;   in Loop: Header=BB218_282 Depth=1
	v_bfrev_b32_e32 v15, 1
	v_mov_b32_e32 v16, 0
	v_cmp_ne_u16_sdwa s0, v74, v39 src0_sel:BYTE_0 src1_sel:DWORD
	s_and_saveexec_b32 s15, s0
	s_cbranch_execz .LBB218_527
; %bb.522:                              ;   in Loop: Header=BB218_282 Depth=1
	v_mov_b32_e32 v15, 0x7f800001
	v_and_b32_e32 v13, 0x7f, v74
	v_mov_b32_e32 v16, 0
	s_mov_b32 s16, exec_lo
	v_cmpx_ne_u32_e32 0x7f, v13
	s_cbranch_execz .LBB218_526
; %bb.523:                              ;   in Loop: Header=BB218_282 Depth=1
	v_and_b32_e32 v5, 7, v74
	v_lshrrev_b32_e32 v11, 3, v13
	s_mov_b32 s17, exec_lo
	v_cmpx_gt_u32_e32 8, v13
; %bb.524:                              ;   in Loop: Header=BB218_282 Depth=1
	v_ffbh_u32_e32 v11, v5
	v_min_u32_e32 v11, 32, v11
	v_subrev_nc_u32_e32 v13, 28, v11
	v_sub_nc_u32_e32 v11, 29, v11
	v_lshlrev_b64 v[15:16], v13, v[5:6]
	v_and_b32_e32 v5, 7, v15
; %bb.525:                              ;   in Loop: Header=BB218_282 Depth=1
	s_or_b32 exec_lo, exec_lo, s17
	v_lshlrev_b32_e32 v13, 24, v74
	v_lshlrev_b32_e32 v5, 20, v5
	v_lshl_add_u32 v11, v11, 23, 0x3c000000
	v_and_b32_e32 v13, 0x80000000, v13
	v_or3_b32 v5, v5, v13, v11
	v_mov_b32_e32 v16, v6
	v_mov_b32_e32 v15, v5
.LBB218_526:                            ;   in Loop: Header=BB218_282 Depth=1
	s_or_b32 exec_lo, exec_lo, s16
.LBB218_527:                            ;   in Loop: Header=BB218_282 Depth=1
	s_or_b32 exec_lo, exec_lo, s15
.LBB218_528:                            ;   in Loop: Header=BB218_282 Depth=1
	s_or_b32 exec_lo, exec_lo, s14
	v_cmp_ne_u16_sdwa s0, v74, v6 src0_sel:BYTE_1 src1_sel:DWORD
	s_and_saveexec_b32 s14, s0
	s_cbranch_execz .LBB218_536
; %bb.529:                              ;   in Loop: Header=BB218_282 Depth=1
	v_mov_b32_e32 v11, v6
	v_mov_b32_e32 v18, v12
	v_cmp_ne_u16_sdwa s0, v74, v39 src0_sel:BYTE_1 src1_sel:DWORD
	v_mov_b32_e32 v17, v11
	s_and_saveexec_b32 s15, s0
	s_cbranch_execz .LBB218_535
; %bb.530:                              ;   in Loop: Header=BB218_282 Depth=1
	v_and_b32_sdwa v5, v40, v74 dst_sel:DWORD dst_unused:UNUSED_PAD src0_sel:DWORD src1_sel:BYTE_1
	v_mov_b32_e32 v13, v6
	v_mov_b32_e32 v18, v14
	s_mov_b32 s16, exec_lo
	v_and_b32_e32 v19, 0x7f, v5
	v_mov_b32_e32 v17, v13
	v_cmpx_ne_u32_e32 0x7f, v19
	s_cbranch_execz .LBB218_534
; %bb.531:                              ;   in Loop: Header=BB218_282 Depth=1
	v_and_b32_e32 v5, 7, v5
	v_lshrrev_b32_e32 v11, 3, v19
	s_mov_b32 s17, exec_lo
	v_cmpx_gt_u32_e32 8, v19
; %bb.532:                              ;   in Loop: Header=BB218_282 Depth=1
	v_ffbh_u32_e32 v11, v5
	v_min_u32_e32 v11, 32, v11
	v_subrev_nc_u32_e32 v13, 28, v11
	v_sub_nc_u32_e32 v11, 29, v11
	v_lshlrev_b64 v[17:18], v13, v[5:6]
	v_and_b32_e32 v5, 7, v17
; %bb.533:                              ;   in Loop: Header=BB218_282 Depth=1
	s_or_b32 exec_lo, exec_lo, s17
	v_lshlrev_b32_e32 v13, 16, v74
	v_lshlrev_b32_e32 v5, 20, v5
	v_lshl_add_u32 v11, v11, 23, 0x3c000000
	v_mov_b32_e32 v17, v6
	v_and_b32_e32 v13, 0x80000000, v13
	v_or3_b32 v18, v5, v13, v11
.LBB218_534:                            ;   in Loop: Header=BB218_282 Depth=1
	s_or_b32 exec_lo, exec_lo, s16
.LBB218_535:                            ;   in Loop: Header=BB218_282 Depth=1
	s_or_b32 exec_lo, exec_lo, s15
.LBB218_536:                            ;   in Loop: Header=BB218_282 Depth=1
	s_or_b32 exec_lo, exec_lo, s14
	v_mov_b32_e32 v21, 0
	v_mov_b32_e32 v19, 0
	v_and_b32_sdwa v5, v74, v41 dst_sel:DWORD dst_unused:UNUSED_PAD src0_sel:WORD_1 src1_sel:DWORD
	v_mov_b32_e32 v22, 0
	v_mov_b32_e32 v20, 0
	s_mov_b32 s14, exec_lo
	v_cmpx_ne_u16_e32 0, v5
	s_cbranch_execz .LBB218_544
; %bb.537:                              ;   in Loop: Header=BB218_282 Depth=1
	v_bfrev_b32_e32 v19, 1
	v_mov_b32_e32 v20, 0
	s_mov_b32 s15, exec_lo
	v_cmpx_ne_u16_e32 0x80, v5
	s_cbranch_execz .LBB218_543
; %bb.538:                              ;   in Loop: Header=BB218_282 Depth=1
	v_mov_b32_e32 v19, 0x7f800001
	v_bfe_u32 v13, v74, 16, 7
	v_mov_b32_e32 v20, 0
	s_mov_b32 s16, exec_lo
	v_cmpx_ne_u32_e32 0x7f, v13
	s_cbranch_execz .LBB218_542
; %bb.539:                              ;   in Loop: Header=BB218_282 Depth=1
	v_and_b32_sdwa v5, v74, v42 dst_sel:DWORD dst_unused:UNUSED_PAD src0_sel:WORD_1 src1_sel:DWORD
	v_lshrrev_b32_e32 v11, 3, v13
	s_mov_b32 s17, exec_lo
	v_cmpx_gt_u32_e32 8, v13
; %bb.540:                              ;   in Loop: Header=BB218_282 Depth=1
	v_ffbh_u32_e32 v11, v5
	v_min_u32_e32 v11, 32, v11
	v_subrev_nc_u32_e32 v13, 28, v11
	v_sub_nc_u32_e32 v11, 29, v11
	v_lshlrev_b64 v[19:20], v13, v[5:6]
	v_and_b32_e32 v5, 7, v19
; %bb.541:                              ;   in Loop: Header=BB218_282 Depth=1
	s_or_b32 exec_lo, exec_lo, s17
	v_lshlrev_b32_sdwa v13, v43, v74 dst_sel:DWORD dst_unused:UNUSED_PAD src0_sel:DWORD src1_sel:WORD_1
	v_lshlrev_b32_e32 v5, 20, v5
	v_lshl_add_u32 v11, v11, 23, 0x3c000000
	v_and_b32_e32 v13, 0x80000000, v13
	v_or3_b32 v5, v5, v13, v11
	v_mov_b32_e32 v20, v6
	v_mov_b32_e32 v19, v5
.LBB218_542:                            ;   in Loop: Header=BB218_282 Depth=1
	s_or_b32 exec_lo, exec_lo, s16
.LBB218_543:                            ;   in Loop: Header=BB218_282 Depth=1
	s_or_b32 exec_lo, exec_lo, s15
.LBB218_544:                            ;   in Loop: Header=BB218_282 Depth=1
	s_or_b32 exec_lo, exec_lo, s14
	s_mov_b32 s14, exec_lo
	v_cmpx_lt_u32_e32 0xffffff, v74
	s_cbranch_execz .LBB218_552
; %bb.545:                              ;   in Loop: Header=BB218_282 Depth=1
	v_mov_b32_e32 v11, v6
	v_mov_b32_e32 v22, v12
	v_cmp_ne_u32_sdwa s0, v74, v39 src0_sel:BYTE_3 src1_sel:DWORD
	v_mov_b32_e32 v21, v11
	s_and_saveexec_b32 s15, s0
	s_cbranch_execz .LBB218_551
; %bb.546:                              ;   in Loop: Header=BB218_282 Depth=1
	v_mov_b32_e32 v13, v6
	v_mov_b32_e32 v22, v14
	v_bfe_u32 v75, v74, 24, 7
	s_mov_b32 s16, exec_lo
	v_mov_b32_e32 v21, v13
	v_cmpx_ne_u32_e32 0x7f, v75
	s_cbranch_execz .LBB218_550
; %bb.547:                              ;   in Loop: Header=BB218_282 Depth=1
	v_and_b32_sdwa v5, v74, v42 dst_sel:DWORD dst_unused:UNUSED_PAD src0_sel:BYTE_3 src1_sel:DWORD
	v_lshrrev_b32_e32 v11, 3, v75
	s_mov_b32 s17, exec_lo
	v_cmpx_gt_u32_e32 8, v75
; %bb.548:                              ;   in Loop: Header=BB218_282 Depth=1
	v_ffbh_u32_e32 v11, v5
	v_min_u32_e32 v11, 32, v11
	v_subrev_nc_u32_e32 v13, 28, v11
	v_sub_nc_u32_e32 v11, 29, v11
	v_lshlrev_b64 v[21:22], v13, v[5:6]
	v_and_b32_e32 v5, 7, v21
; %bb.549:                              ;   in Loop: Header=BB218_282 Depth=1
	s_or_b32 exec_lo, exec_lo, s17
	v_lshlrev_b32_sdwa v13, v43, v74 dst_sel:DWORD dst_unused:UNUSED_PAD src0_sel:DWORD src1_sel:BYTE_3
	v_lshlrev_b32_e32 v5, 20, v5
	v_lshl_add_u32 v11, v11, 23, 0x3c000000
	v_mov_b32_e32 v21, v6
	v_and_b32_e32 v13, 0x80000000, v13
	v_or3_b32 v22, v5, v13, v11
.LBB218_550:                            ;   in Loop: Header=BB218_282 Depth=1
	s_or_b32 exec_lo, exec_lo, s16
.LBB218_551:                            ;   in Loop: Header=BB218_282 Depth=1
	s_or_b32 exec_lo, exec_lo, s15
.LBB218_552:                            ;   in Loop: Header=BB218_282 Depth=1
	s_or_b32 exec_lo, exec_lo, s14
	v_or_b32_e32 v5, v18, v16
	v_or_b32_e32 v11, v17, v15
	;; [unrolled: 1-line block ×4, first 2 shown]
	v_mul_f32_e32 v13, s13, v5
	v_mul_f32_e32 v15, s2, v11
	;; [unrolled: 1-line block ×4, first 2 shown]
	s_and_saveexec_b32 s0, vcc_lo
	s_cbranch_execz .LBB218_281
; %bb.553:                              ;   in Loop: Header=BB218_282 Depth=1
	v_cmp_gt_i32_e32 vcc_lo, s11, v49
	v_cndmask_b32_e32 v15, 0, v15, vcc_lo
	v_cmp_gt_i32_e32 vcc_lo, s11, v51
	v_cndmask_b32_e32 v13, 0, v13, vcc_lo
	;; [unrolled: 2-line block ×4, first 2 shown]
	s_branch .LBB218_281
.LBB218_554:
	s_or_b32 exec_lo, exec_lo, s5
.LBB218_555:
	s_or_b32 exec_lo, exec_lo, s1
	ds_bpermute_b32 v1, v27, v34
	ds_bpermute_b32 v2, v27, v36
	;; [unrolled: 1-line block ×8, first 2 shown]
	v_and_b32_e32 v19, 0x3c7, v0
	s_mov_b32 s0, exec_lo
	s_waitcnt lgkmcnt(0)
	s_barrier
	buffer_gl0_inv
	v_add_f32_e32 v1, v34, v1
	v_add_f32_e32 v2, v36, v2
	;; [unrolled: 1-line block ×8, first 2 shown]
	ds_bpermute_b32 v9, v26, v1
	ds_bpermute_b32 v10, v26, v2
	;; [unrolled: 1-line block ×8, first 2 shown]
	s_waitcnt lgkmcnt(7)
	v_add_f32_e32 v1, v1, v9
	s_waitcnt lgkmcnt(6)
	v_add_f32_e32 v2, v2, v10
	;; [unrolled: 2-line block ×8, first 2 shown]
	ds_bpermute_b32 v11, v25, v1
	ds_bpermute_b32 v12, v25, v2
	;; [unrolled: 1-line block ×8, first 2 shown]
	v_lshrrev_b32_e32 v9, 3, v108
	v_lshl_add_u32 v10, v9, 2, 0xa0
	s_waitcnt lgkmcnt(7)
	v_add_f32_e32 v1, v1, v11
	s_waitcnt lgkmcnt(6)
	v_add_f32_e32 v2, v2, v12
	s_waitcnt lgkmcnt(5)
	v_add_f32_e32 v3, v3, v13
	s_waitcnt lgkmcnt(4)
	v_add_f32_e32 v4, v4, v14
	s_waitcnt lgkmcnt(3)
	v_add_f32_e32 v5, v5, v15
	s_waitcnt lgkmcnt(2)
	v_add_f32_e32 v6, v6, v16
	s_waitcnt lgkmcnt(1)
	v_add_f32_e32 v7, v7, v17
	s_waitcnt lgkmcnt(0)
	v_add_f32_e32 v8, v8, v18
	v_cmpx_eq_u32_e32 64, v19
	s_cbranch_execz .LBB218_557
; %bb.556:
	v_lshl_add_u32 v11, v107, 7, v10
	v_add_nc_u32_e32 v12, 0xffffff00, v11
	v_add_nc_u32_e32 v15, 0xffffff30, v11
	;; [unrolled: 1-line block ×8, first 2 shown]
	ds_write_b32 v12, v1
	ds_write_b32 v13, v2
	;; [unrolled: 1-line block ×8, first 2 shown]
.LBB218_557:
	s_or_b32 exec_lo, exec_lo, s0
	v_and_b32_e32 v11, 0x3e0, v0
	v_lshlrev_b32_e32 v9, 2, v9
	s_mov_b32 s1, exec_lo
	v_cmp_eq_u32_e32 vcc_lo, 0, v28
	s_waitcnt lgkmcnt(0)
	v_lshlrev_b32_e32 v11, 2, v11
	s_barrier
	buffer_gl0_inv
	v_add3_u32 v9, 0xa0, v11, v9
	v_cmpx_gt_u32_e32 64, v0
	s_cbranch_execz .LBB218_568
; %bb.558:
	s_and_saveexec_b32 s0, vcc_lo
	s_cbranch_execnz .LBB218_584
; %bb.559:
	s_or_b32 exec_lo, exec_lo, s0
	s_and_saveexec_b32 s0, vcc_lo
	s_cbranch_execnz .LBB218_585
.LBB218_560:
	s_or_b32 exec_lo, exec_lo, s0
	s_and_saveexec_b32 s0, vcc_lo
	s_cbranch_execnz .LBB218_586
.LBB218_561:
	s_or_b32 exec_lo, exec_lo, s0
	s_and_saveexec_b32 s0, vcc_lo
	s_cbranch_execnz .LBB218_587
.LBB218_562:
	s_or_b32 exec_lo, exec_lo, s0
	s_and_saveexec_b32 s0, vcc_lo
	s_cbranch_execnz .LBB218_588
.LBB218_563:
	s_or_b32 exec_lo, exec_lo, s0
	s_and_saveexec_b32 s0, vcc_lo
	s_cbranch_execnz .LBB218_589
.LBB218_564:
	s_or_b32 exec_lo, exec_lo, s0
	s_and_saveexec_b32 s0, vcc_lo
	s_cbranch_execnz .LBB218_590
.LBB218_565:
	s_or_b32 exec_lo, exec_lo, s0
	s_and_saveexec_b32 s0, vcc_lo
	s_cbranch_execz .LBB218_567
.LBB218_566:
	ds_read_b32 v11, v9 offset:112
	s_waitcnt lgkmcnt(0)
	v_add_f32_e32 v8, v8, v11
.LBB218_567:
	s_or_b32 exec_lo, exec_lo, s0
.LBB218_568:
	s_or_b32 exec_lo, exec_lo, s1
	v_and_b32_e32 v11, 0x3e7, v0
	s_mov_b32 s1, exec_lo
	s_barrier
	buffer_gl0_inv
	v_cmpx_eq_u32_e32 32, v11
	s_cbranch_execz .LBB218_570
; %bb.569:
	ds_write2_b32 v10, v1, v2 offset1:4
	ds_write2_b32 v10, v3, v4 offset0:8 offset1:12
	ds_write2_b32 v10, v5, v6 offset0:16 offset1:20
	;; [unrolled: 1-line block ×3, first 2 shown]
.LBB218_570:
	s_or_b32 exec_lo, exec_lo, s1
	s_mov_b32 s1, exec_lo
	s_waitcnt lgkmcnt(0)
	s_barrier
	buffer_gl0_inv
	v_cmpx_gt_u32_e32 32, v0
	s_cbranch_execz .LBB218_581
; %bb.571:
	s_and_saveexec_b32 s0, vcc_lo
	s_cbranch_execnz .LBB218_591
; %bb.572:
	s_or_b32 exec_lo, exec_lo, s0
	s_and_saveexec_b32 s0, vcc_lo
	s_cbranch_execnz .LBB218_592
.LBB218_573:
	s_or_b32 exec_lo, exec_lo, s0
	s_and_saveexec_b32 s0, vcc_lo
	s_cbranch_execnz .LBB218_593
.LBB218_574:
	s_or_b32 exec_lo, exec_lo, s0
	s_and_saveexec_b32 s0, vcc_lo
	s_cbranch_execnz .LBB218_594
.LBB218_575:
	s_or_b32 exec_lo, exec_lo, s0
	s_and_saveexec_b32 s0, vcc_lo
	s_cbranch_execnz .LBB218_595
.LBB218_576:
	s_or_b32 exec_lo, exec_lo, s0
	s_and_saveexec_b32 s0, vcc_lo
	s_cbranch_execnz .LBB218_596
.LBB218_577:
	s_or_b32 exec_lo, exec_lo, s0
	s_and_saveexec_b32 s0, vcc_lo
	s_cbranch_execnz .LBB218_597
.LBB218_578:
	s_or_b32 exec_lo, exec_lo, s0
	s_and_saveexec_b32 s0, vcc_lo
	s_cbranch_execz .LBB218_580
.LBB218_579:
	ds_read_b32 v9, v9 offset:112
	s_waitcnt lgkmcnt(0)
	v_add_f32_e32 v8, v8, v9
.LBB218_580:
	s_or_b32 exec_lo, exec_lo, s0
.LBB218_581:
	s_or_b32 exec_lo, exec_lo, s1
	s_barrier
	buffer_gl0_inv
	s_mov_b32 s0, exec_lo
	v_cmpx_eq_u32_e32 0, v11
	s_cbranch_execz .LBB218_583
; %bb.582:
	s_mul_i32 s0, s10, s7
	s_mul_i32 s2, s7, s6
	;; [unrolled: 1-line block ×3, first 2 shown]
	v_lshrrev_b32_e32 v0, 1, v0
	s_lshl_b32 s0, s0, 5
	s_ashr_i32 s1, s0, 31
	s_lshl_b64 s[0:1], s[0:1], 2
	s_add_u32 s4, s20, s0
	s_addc_u32 s5, s21, s1
	s_ashr_i32 s3, s2, 31
	s_lshl_b64 s[0:1], s[2:3], 2
	s_add_u32 s2, s4, s0
	s_addc_u32 s3, s5, s1
	s_lshl_b32 s0, s8, 5
	s_ashr_i32 s1, s0, 31
	s_lshl_b64 s[0:1], s[0:1], 2
	s_add_u32 s0, s2, s0
	s_addc_u32 s1, s3, s1
	global_store_dword v0, v1, s[0:1]
	global_store_dword v0, v2, s[0:1] offset:16
	global_store_dword v0, v3, s[0:1] offset:32
	;; [unrolled: 1-line block ×7, first 2 shown]
.LBB218_583:
	s_endpgm
.LBB218_584:
	ds_read_b32 v11, v9
	s_waitcnt lgkmcnt(0)
	v_add_f32_e32 v1, v1, v11
	s_or_b32 exec_lo, exec_lo, s0
	s_and_saveexec_b32 s0, vcc_lo
	s_cbranch_execz .LBB218_560
.LBB218_585:
	ds_read_b32 v11, v9 offset:16
	s_waitcnt lgkmcnt(0)
	v_add_f32_e32 v2, v2, v11
	s_or_b32 exec_lo, exec_lo, s0
	s_and_saveexec_b32 s0, vcc_lo
	s_cbranch_execz .LBB218_561
.LBB218_586:
	ds_read_b32 v11, v9 offset:32
	s_waitcnt lgkmcnt(0)
	v_add_f32_e32 v3, v3, v11
	s_or_b32 exec_lo, exec_lo, s0
	s_and_saveexec_b32 s0, vcc_lo
	s_cbranch_execz .LBB218_562
.LBB218_587:
	ds_read_b32 v11, v9 offset:48
	s_waitcnt lgkmcnt(0)
	v_add_f32_e32 v4, v4, v11
	s_or_b32 exec_lo, exec_lo, s0
	s_and_saveexec_b32 s0, vcc_lo
	s_cbranch_execz .LBB218_563
.LBB218_588:
	ds_read_b32 v11, v9 offset:64
	s_waitcnt lgkmcnt(0)
	v_add_f32_e32 v5, v5, v11
	s_or_b32 exec_lo, exec_lo, s0
	s_and_saveexec_b32 s0, vcc_lo
	s_cbranch_execz .LBB218_564
.LBB218_589:
	ds_read_b32 v11, v9 offset:80
	s_waitcnt lgkmcnt(0)
	v_add_f32_e32 v6, v6, v11
	s_or_b32 exec_lo, exec_lo, s0
	s_and_saveexec_b32 s0, vcc_lo
	s_cbranch_execz .LBB218_565
.LBB218_590:
	ds_read_b32 v11, v9 offset:96
	s_waitcnt lgkmcnt(0)
	v_add_f32_e32 v7, v7, v11
	s_or_b32 exec_lo, exec_lo, s0
	s_and_saveexec_b32 s0, vcc_lo
	s_cbranch_execnz .LBB218_566
	s_branch .LBB218_567
.LBB218_591:
	ds_read_b32 v10, v9
	s_waitcnt lgkmcnt(0)
	v_add_f32_e32 v1, v1, v10
	s_or_b32 exec_lo, exec_lo, s0
	s_and_saveexec_b32 s0, vcc_lo
	s_cbranch_execz .LBB218_573
.LBB218_592:
	ds_read_b32 v10, v9 offset:16
	s_waitcnt lgkmcnt(0)
	v_add_f32_e32 v2, v2, v10
	s_or_b32 exec_lo, exec_lo, s0
	s_and_saveexec_b32 s0, vcc_lo
	s_cbranch_execz .LBB218_574
.LBB218_593:
	ds_read_b32 v10, v9 offset:32
	s_waitcnt lgkmcnt(0)
	v_add_f32_e32 v3, v3, v10
	s_or_b32 exec_lo, exec_lo, s0
	s_and_saveexec_b32 s0, vcc_lo
	s_cbranch_execz .LBB218_575
.LBB218_594:
	ds_read_b32 v10, v9 offset:48
	s_waitcnt lgkmcnt(0)
	v_add_f32_e32 v4, v4, v10
	s_or_b32 exec_lo, exec_lo, s0
	s_and_saveexec_b32 s0, vcc_lo
	s_cbranch_execz .LBB218_576
.LBB218_595:
	ds_read_b32 v10, v9 offset:64
	s_waitcnt lgkmcnt(0)
	v_add_f32_e32 v5, v5, v10
	s_or_b32 exec_lo, exec_lo, s0
	s_and_saveexec_b32 s0, vcc_lo
	s_cbranch_execz .LBB218_577
.LBB218_596:
	ds_read_b32 v10, v9 offset:80
	s_waitcnt lgkmcnt(0)
	v_add_f32_e32 v6, v6, v10
	s_or_b32 exec_lo, exec_lo, s0
	s_and_saveexec_b32 s0, vcc_lo
	s_cbranch_execz .LBB218_578
.LBB218_597:
	ds_read_b32 v10, v9 offset:96
	s_waitcnt lgkmcnt(0)
	v_add_f32_e32 v7, v7, v10
	s_or_b32 exec_lo, exec_lo, s0
	s_and_saveexec_b32 s0, vcc_lo
	s_cbranch_execnz .LBB218_579
	s_branch .LBB218_580
	.section	.rodata,"a",@progbits
	.p2align	6, 0x0
	.amdhsa_kernel _ZN4vllm25paged_attention_v1_kernelIfhLi32ELi32ELi128ELNS_18Fp8KVCacheDataTypeE1ELb0EEEvPT_PKS2_PKT0_S8_ifPKiSA_iPKfiiiSC_SC_iiiii
		.amdhsa_group_segment_fixed_size 160
		.amdhsa_private_segment_fixed_size 0
		.amdhsa_kernarg_size 384
		.amdhsa_user_sgpr_count 6
		.amdhsa_user_sgpr_private_segment_buffer 1
		.amdhsa_user_sgpr_dispatch_ptr 0
		.amdhsa_user_sgpr_queue_ptr 0
		.amdhsa_user_sgpr_kernarg_segment_ptr 1
		.amdhsa_user_sgpr_dispatch_id 0
		.amdhsa_user_sgpr_flat_scratch_init 0
		.amdhsa_user_sgpr_private_segment_size 0
		.amdhsa_wavefront_size32 1
		.amdhsa_uses_dynamic_stack 0
		.amdhsa_system_sgpr_private_segment_wavefront_offset 0
		.amdhsa_system_sgpr_workgroup_id_x 1
		.amdhsa_system_sgpr_workgroup_id_y 1
		.amdhsa_system_sgpr_workgroup_id_z 1
		.amdhsa_system_sgpr_workgroup_info 0
		.amdhsa_system_vgpr_workitem_id 0
		.amdhsa_next_free_vgpr 122
		.amdhsa_next_free_sgpr 34
		.amdhsa_reserve_vcc 1
		.amdhsa_reserve_flat_scratch 0
		.amdhsa_float_round_mode_32 0
		.amdhsa_float_round_mode_16_64 0
		.amdhsa_float_denorm_mode_32 3
		.amdhsa_float_denorm_mode_16_64 3
		.amdhsa_dx10_clamp 1
		.amdhsa_ieee_mode 1
		.amdhsa_fp16_overflow 0
		.amdhsa_workgroup_processor_mode 1
		.amdhsa_memory_ordered 1
		.amdhsa_forward_progress 1
		.amdhsa_shared_vgpr_count 0
		.amdhsa_exception_fp_ieee_invalid_op 0
		.amdhsa_exception_fp_denorm_src 0
		.amdhsa_exception_fp_ieee_div_zero 0
		.amdhsa_exception_fp_ieee_overflow 0
		.amdhsa_exception_fp_ieee_underflow 0
		.amdhsa_exception_fp_ieee_inexact 0
		.amdhsa_exception_int_div_zero 0
	.end_amdhsa_kernel
	.section	.text._ZN4vllm25paged_attention_v1_kernelIfhLi32ELi32ELi128ELNS_18Fp8KVCacheDataTypeE1ELb0EEEvPT_PKS2_PKT0_S8_ifPKiSA_iPKfiiiSC_SC_iiiii,"axG",@progbits,_ZN4vllm25paged_attention_v1_kernelIfhLi32ELi32ELi128ELNS_18Fp8KVCacheDataTypeE1ELb0EEEvPT_PKS2_PKT0_S8_ifPKiSA_iPKfiiiSC_SC_iiiii,comdat
.Lfunc_end218:
	.size	_ZN4vllm25paged_attention_v1_kernelIfhLi32ELi32ELi128ELNS_18Fp8KVCacheDataTypeE1ELb0EEEvPT_PKS2_PKT0_S8_ifPKiSA_iPKfiiiSC_SC_iiiii, .Lfunc_end218-_ZN4vllm25paged_attention_v1_kernelIfhLi32ELi32ELi128ELNS_18Fp8KVCacheDataTypeE1ELb0EEEvPT_PKS2_PKT0_S8_ifPKiSA_iPKfiiiSC_SC_iiiii
                                        ; -- End function
	.set _ZN4vllm25paged_attention_v1_kernelIfhLi32ELi32ELi128ELNS_18Fp8KVCacheDataTypeE1ELb0EEEvPT_PKS2_PKT0_S8_ifPKiSA_iPKfiiiSC_SC_iiiii.num_vgpr, 122
	.set _ZN4vllm25paged_attention_v1_kernelIfhLi32ELi32ELi128ELNS_18Fp8KVCacheDataTypeE1ELb0EEEvPT_PKS2_PKT0_S8_ifPKiSA_iPKfiiiSC_SC_iiiii.num_agpr, 0
	.set _ZN4vllm25paged_attention_v1_kernelIfhLi32ELi32ELi128ELNS_18Fp8KVCacheDataTypeE1ELb0EEEvPT_PKS2_PKT0_S8_ifPKiSA_iPKfiiiSC_SC_iiiii.numbered_sgpr, 34
	.set _ZN4vllm25paged_attention_v1_kernelIfhLi32ELi32ELi128ELNS_18Fp8KVCacheDataTypeE1ELb0EEEvPT_PKS2_PKT0_S8_ifPKiSA_iPKfiiiSC_SC_iiiii.num_named_barrier, 0
	.set _ZN4vllm25paged_attention_v1_kernelIfhLi32ELi32ELi128ELNS_18Fp8KVCacheDataTypeE1ELb0EEEvPT_PKS2_PKT0_S8_ifPKiSA_iPKfiiiSC_SC_iiiii.private_seg_size, 0
	.set _ZN4vllm25paged_attention_v1_kernelIfhLi32ELi32ELi128ELNS_18Fp8KVCacheDataTypeE1ELb0EEEvPT_PKS2_PKT0_S8_ifPKiSA_iPKfiiiSC_SC_iiiii.uses_vcc, 1
	.set _ZN4vllm25paged_attention_v1_kernelIfhLi32ELi32ELi128ELNS_18Fp8KVCacheDataTypeE1ELb0EEEvPT_PKS2_PKT0_S8_ifPKiSA_iPKfiiiSC_SC_iiiii.uses_flat_scratch, 0
	.set _ZN4vllm25paged_attention_v1_kernelIfhLi32ELi32ELi128ELNS_18Fp8KVCacheDataTypeE1ELb0EEEvPT_PKS2_PKT0_S8_ifPKiSA_iPKfiiiSC_SC_iiiii.has_dyn_sized_stack, 0
	.set _ZN4vllm25paged_attention_v1_kernelIfhLi32ELi32ELi128ELNS_18Fp8KVCacheDataTypeE1ELb0EEEvPT_PKS2_PKT0_S8_ifPKiSA_iPKfiiiSC_SC_iiiii.has_recursion, 0
	.set _ZN4vllm25paged_attention_v1_kernelIfhLi32ELi32ELi128ELNS_18Fp8KVCacheDataTypeE1ELb0EEEvPT_PKS2_PKT0_S8_ifPKiSA_iPKfiiiSC_SC_iiiii.has_indirect_call, 0
	.section	.AMDGPU.csdata,"",@progbits
; Kernel info:
; codeLenInByte = 17772
; TotalNumSgprs: 36
; NumVgprs: 122
; ScratchSize: 0
; MemoryBound: 0
; FloatMode: 240
; IeeeMode: 1
; LDSByteSize: 160 bytes/workgroup (compile time only)
; SGPRBlocks: 0
; VGPRBlocks: 15
; NumSGPRsForWavesPerEU: 36
; NumVGPRsForWavesPerEU: 122
; Occupancy: 8
; WaveLimiterHint : 1
; COMPUTE_PGM_RSRC2:SCRATCH_EN: 0
; COMPUTE_PGM_RSRC2:USER_SGPR: 6
; COMPUTE_PGM_RSRC2:TRAP_HANDLER: 0
; COMPUTE_PGM_RSRC2:TGID_X_EN: 1
; COMPUTE_PGM_RSRC2:TGID_Y_EN: 1
; COMPUTE_PGM_RSRC2:TGID_Z_EN: 1
; COMPUTE_PGM_RSRC2:TIDIG_COMP_CNT: 0
	.section	.text._ZN4vllm25paged_attention_v1_kernelIfhLi64ELi32ELi128ELNS_18Fp8KVCacheDataTypeE1ELb0EEEvPT_PKS2_PKT0_S8_ifPKiSA_iPKfiiiSC_SC_iiiii,"axG",@progbits,_ZN4vllm25paged_attention_v1_kernelIfhLi64ELi32ELi128ELNS_18Fp8KVCacheDataTypeE1ELb0EEEvPT_PKS2_PKT0_S8_ifPKiSA_iPKfiiiSC_SC_iiiii,comdat
	.protected	_ZN4vllm25paged_attention_v1_kernelIfhLi64ELi32ELi128ELNS_18Fp8KVCacheDataTypeE1ELb0EEEvPT_PKS2_PKT0_S8_ifPKiSA_iPKfiiiSC_SC_iiiii ; -- Begin function _ZN4vllm25paged_attention_v1_kernelIfhLi64ELi32ELi128ELNS_18Fp8KVCacheDataTypeE1ELb0EEEvPT_PKS2_PKT0_S8_ifPKiSA_iPKfiiiSC_SC_iiiii
	.globl	_ZN4vllm25paged_attention_v1_kernelIfhLi64ELi32ELi128ELNS_18Fp8KVCacheDataTypeE1ELb0EEEvPT_PKS2_PKT0_S8_ifPKiSA_iPKfiiiSC_SC_iiiii
	.p2align	8
	.type	_ZN4vllm25paged_attention_v1_kernelIfhLi64ELi32ELi128ELNS_18Fp8KVCacheDataTypeE1ELb0EEEvPT_PKS2_PKT0_S8_ifPKiSA_iPKfiiiSC_SC_iiiii,@function
_ZN4vllm25paged_attention_v1_kernelIfhLi64ELi32ELi128ELNS_18Fp8KVCacheDataTypeE1ELb0EEEvPT_PKS2_PKT0_S8_ifPKiSA_iPKfiiiSC_SC_iiiii: ; @_ZN4vllm25paged_attention_v1_kernelIfhLi64ELi32ELi128ELNS_18Fp8KVCacheDataTypeE1ELb0EEEvPT_PKS2_PKT0_S8_ifPKiSA_iPKfiiiSC_SC_iiiii
; %bb.0:
	s_mov_b64 s[38:39], s[2:3]
	s_mov_b64 s[36:37], s[0:1]
	s_mov_b32 s10, s7
	s_add_u32 s36, s36, s9
	s_clause 0x2
	s_load_dword s9, s[4:5], 0x80
	s_load_dwordx2 s[0:1], s[4:5], 0x30
	s_load_dwordx2 s[2:3], s[4:5], 0x20
	s_addc_u32 s37, s37, 0
	s_ashr_i32 s11, s7, 31
	v_mov_b32_e32 v115, v0
	s_lshl_b64 s[12:13], s[10:11], 2
	s_waitcnt lgkmcnt(0)
	s_add_u32 s0, s0, s12
	s_addc_u32 s1, s1, s13
	s_abs_i32 s7, s2
	s_abs_i32 s13, s9
	v_cvt_f32_u32_e32 v0, s7
	s_sub_i32 s12, 0, s7
	s_xor_b32 s2, s9, s2
	s_ashr_i32 s2, s2, 31
	v_rcp_iflag_f32_e32 v0, v0
	v_mul_f32_e32 v0, 0x4f7ffffe, v0
	v_cvt_u32_f32_e32 v0, v0
	v_readfirstlane_b32 s11, v0
	s_mul_i32 s12, s12, s11
	s_mul_hi_u32 s12, s11, s12
	s_add_i32 s11, s11, s12
	s_mul_hi_u32 s11, s13, s11
	s_mul_i32 s12, s11, s7
	s_sub_i32 s12, s13, s12
	s_add_i32 s13, s11, 1
	s_sub_i32 s14, s12, s7
	s_cmp_ge_u32 s12, s7
	s_cselect_b32 s11, s13, s11
	s_cselect_b32 s12, s14, s12
	s_add_i32 s13, s11, 1
	s_cmp_ge_u32 s12, s7
	s_cselect_b32 s7, s13, s11
	s_load_dwordx2 s[12:13], s[4:5], 0x40
	s_xor_b32 s7, s7, s2
	s_abs_i32 s16, s6
	s_sub_i32 s17, s7, s2
	s_abs_i32 s26, s17
	v_cvt_f32_u32_e32 v0, s26
	s_sub_i32 s2, 0, s26
	v_rcp_iflag_f32_e32 v0, v0
	v_mul_f32_e32 v0, 0x4f7ffffe, v0
	v_cvt_u32_f32_e32 v0, v0
	v_readfirstlane_b32 s7, v0
	s_mul_i32 s11, s2, s7
	s_mov_b32 s2, 0
	s_mul_hi_u32 s11, s7, s11
	s_add_i32 s7, s7, s11
	s_waitcnt lgkmcnt(0)
	s_cmp_eq_u64 s[12:13], 0
	s_mul_hi_u32 s27, s16, s7
	s_cbranch_scc1 .LBB219_2
; %bb.1:
	s_ashr_i32 s7, s6, 31
	s_lshl_b64 s[14:15], s[6:7], 2
	s_add_u32 s12, s12, s14
	s_addc_u32 s13, s13, s15
	s_load_dword s2, s[12:13], 0x0
.LBB219_2:
	s_load_dword s11, s[0:1], 0x0
	s_clause 0x1
	s_load_dwordx2 s[22:23], s[4:5], 0x28
	s_load_dwordx4 s[12:15], s[4:5], 0x48
	s_ashr_i32 s0, s6, 31
	s_ashr_i32 s1, s17, 31
	s_lshl_b32 s6, s6, 6
	s_waitcnt lgkmcnt(0)
	s_mov_b32 s15, exec_lo
	v_cmpx_gt_u32_e32 16, v115
	s_cbranch_execz .LBB219_4
; %bb.3:
	s_load_dwordx2 s[18:19], s[4:5], 0x8
	s_mul_i32 s20, s12, s10
	v_lshlrev_b32_e32 v4, 4, v115
	s_ashr_i32 s21, s20, 31
	s_lshl_b64 s[20:21], s[20:21], 2
	s_waitcnt lgkmcnt(0)
	s_add_u32 s12, s18, s20
	s_addc_u32 s17, s19, s21
	s_ashr_i32 s7, s6, 31
	s_lshl_b64 s[18:19], s[6:7], 2
	s_add_u32 s18, s12, s18
	s_addc_u32 s19, s17, s19
	global_load_dwordx4 v[0:3], v4, s[18:19]
	s_waitcnt vmcnt(0)
	ds_write_b128 v4, v[0:3]
.LBB219_4:
	s_or_b32 exec_lo, exec_lo, s15
	s_add_i32 s7, s11, 31
	s_clause 0x2
	s_load_dwordx2 s[20:21], s[4:5], 0x0
	s_load_dwordx2 s[24:25], s[4:5], 0x18
	s_load_dword s15, s[4:5], 0x38
	s_ashr_i32 s12, s7, 31
	s_mul_i32 s17, s27, s26
	s_lshr_b32 s12, s12, 27
	s_xor_b32 s0, s0, s1
	s_add_i32 s7, s7, s12
	s_sub_i32 s1, s16, s17
	s_ashr_i32 s12, s7, 5
	s_clause 0x1
	s_load_dword s7, s[4:5], 0x88
	s_load_dwordx4 s[16:19], s[4:5], 0x58
	s_add_i32 s28, s27, 1
	s_sub_i32 s29, s1, s26
	s_cmp_ge_u32 s1, s26
	v_lshrrev_b32_e32 v116, 5, v115
	s_cselect_b32 s27, s28, s27
	s_cselect_b32 s1, s29, s1
	s_add_i32 s28, s27, 1
	s_cmp_ge_u32 s1, s26
	v_and_b32_e32 v117, 31, v115
	s_cselect_b32 s1, s28, s27
	v_mov_b32_e32 v87, 0xff7fffff
	s_xor_b32 s1, s1, s0
	v_lshrrev_b32_e32 v9, 3, v115
	s_sub_i32 s1, s1, s0
	v_cmp_gt_i32_e64 s0, s12, v116
	v_lshlrev_b32_e32 v10, 2, v117
	s_waitcnt lgkmcnt(0)
	s_mul_i32 s26, s15, s10
	s_mul_i32 s14, s1, s14
	s_ashr_i32 s27, s26, 31
	s_barrier
	buffer_gl0_inv
	s_and_saveexec_b32 s15, s0
	s_cbranch_execz .LBB219_520
; %bb.5:
	v_mov_b32_e32 v66, 0
	buffer_store_dword v115, off, s[36:39], 0 offset:328 ; 4-byte Folded Spill
	s_load_dwordx2 s[28:29], s[4:5], 0x10
	s_load_dword s4, s[16:17], 0x0
	buffer_store_dword v10, off, s[36:39], 0 offset:340 ; 4-byte Folded Spill
	buffer_store_dword v117, off, s[36:39], 0 offset:332 ; 4-byte Folded Spill
	ds_read_b128 v[3:6], v66
	buffer_store_dword v9, off, s[36:39], 0 offset:336 ; 4-byte Folded Spill
	v_lshlrev_b32_e32 v0, 4, v117
	s_ashr_i32 s1, s14, 31
	v_and_b32_e32 v2, 0x7c, v9
	v_lshl_or_b32 v1, v116, 7, v10
	v_cmp_neq_f32_e64 vcc_lo, s2, 0
	v_lshl_or_b32 v127, v116, 5, v117
	v_mov_b32_e32 v87, 0xff7fffff
	v_mov_b32_e32 v85, 0x80
	v_add_nc_u32_e32 v88, 0x120, v1
	v_bfrev_b32_e32 v82, 1
	v_mov_b32_e32 v58, 0x7f800001
	v_mov_b32_e32 v86, 0xff
	;; [unrolled: 1-line block ×3, first 2 shown]
	s_waitcnt lgkmcnt(0)
	buffer_store_dword v3, off, s[36:39], 0 offset:64 ; 4-byte Folded Spill
	buffer_store_dword v4, off, s[36:39], 0 offset:68 ; 4-byte Folded Spill
	;; [unrolled: 1-line block ×4, first 2 shown]
	ds_read_b128 v[3:6], v66 offset:16
	s_add_u32 s16, s28, s14
	s_addc_u32 s1, s29, s1
	s_sub_i32 s5, 1, s11
	s_mov_b32 s28, s4
	s_waitcnt lgkmcnt(0)
	buffer_store_dword v3, off, s[36:39], 0 offset:80 ; 4-byte Folded Spill
	buffer_store_dword v4, off, s[36:39], 0 offset:84 ; 4-byte Folded Spill
	buffer_store_dword v5, off, s[36:39], 0 offset:88 ; 4-byte Folded Spill
	buffer_store_dword v6, off, s[36:39], 0 offset:92 ; 4-byte Folded Spill
	ds_read_b128 v[3:6], v66 offset:32
	s_waitcnt lgkmcnt(0)
	buffer_store_dword v3, off, s[36:39], 0 offset:96 ; 4-byte Folded Spill
	buffer_store_dword v4, off, s[36:39], 0 offset:100 ; 4-byte Folded Spill
	buffer_store_dword v5, off, s[36:39], 0 offset:104 ; 4-byte Folded Spill
	buffer_store_dword v6, off, s[36:39], 0 offset:108 ; 4-byte Folded Spill
	ds_read_b128 v[3:6], v66 offset:48
	;; [unrolled: 6-line block ×6, first 2 shown]
	s_waitcnt lgkmcnt(0)
	buffer_store_dword v3, off, s[36:39], 0 offset:176 ; 4-byte Folded Spill
	buffer_store_dword v4, off, s[36:39], 0 offset:180 ; 4-byte Folded Spill
	;; [unrolled: 1-line block ×4, first 2 shown]
	v_add_co_u32 v3, s16, s16, v0
	v_add_co_ci_u32_e64 v4, null, s1, 0, s16
	s_lshl_b64 s[16:17], s[26:27], 2
	v_mov_b32_e32 v0, v116
	s_add_u32 s1, s22, s16
	buffer_store_dword v3, off, s[36:39], 0 offset:192 ; 4-byte Folded Spill
	buffer_store_dword v4, off, s[36:39], 0 offset:196 ; 4-byte Folded Spill
	ds_read_b128 v[3:6], v66 offset:128
	s_addc_u32 s16, s23, s17
	v_add_co_u32 v69, s1, s1, v2
	v_add_co_ci_u32_e64 v70, null, s16, 0, s1
	s_mov_b32 s17, s13
	s_mov_b32 s16, 0
	s_waitcnt lgkmcnt(0)
	buffer_store_dword v3, off, s[36:39], 0 offset:200 ; 4-byte Folded Spill
	buffer_store_dword v4, off, s[36:39], 0 offset:204 ; 4-byte Folded Spill
	buffer_store_dword v5, off, s[36:39], 0 offset:208 ; 4-byte Folded Spill
	buffer_store_dword v6, off, s[36:39], 0 offset:212 ; 4-byte Folded Spill
	ds_read_b128 v[3:6], v66 offset:144
	s_waitcnt lgkmcnt(0)
	buffer_store_dword v3, off, s[36:39], 0 offset:216 ; 4-byte Folded Spill
	buffer_store_dword v4, off, s[36:39], 0 offset:220 ; 4-byte Folded Spill
	buffer_store_dword v5, off, s[36:39], 0 offset:224 ; 4-byte Folded Spill
	buffer_store_dword v6, off, s[36:39], 0 offset:228 ; 4-byte Folded Spill
	ds_read_b128 v[3:6], v66 offset:160
	;; [unrolled: 6-line block ×7, first 2 shown]
	s_waitcnt lgkmcnt(0)
	buffer_store_dword v3, off, s[36:39], 0 offset:312 ; 4-byte Folded Spill
	buffer_store_dword v4, off, s[36:39], 0 offset:316 ; 4-byte Folded Spill
	;; [unrolled: 1-line block ×4, first 2 shown]
	s_branch .LBB219_10
.LBB219_6:                              ;   in Loop: Header=BB219_10 Depth=1
	s_or_b32 exec_lo, exec_lo, s33
	v_mov_b32_e32 v75, 24
	v_lshlrev_b32_e32 v65, 20, v65
	v_lshl_add_u32 v57, v57, 23, 0x3c000000
	v_lshlrev_b32_sdwa v75, v75, v93 dst_sel:DWORD dst_unused:UNUSED_PAD src0_sel:DWORD src1_sel:BYTE_3
	v_and_b32_e32 v75, 0x80000000, v75
	v_or3_b32 v76, v65, v75, v57
	v_mov_b32_e32 v75, v66
.LBB219_7:                              ;   in Loop: Header=BB219_10 Depth=1
	s_or_b32 exec_lo, exec_lo, s31
.LBB219_8:                              ;   in Loop: Header=BB219_10 Depth=1
	s_or_b32 exec_lo, exec_lo, s30
.LBB219_9:                              ;   in Loop: Header=BB219_10 Depth=1
	s_or_b32 exec_lo, exec_lo, s29
	v_or_b32_e32 v6, v8, v6
	v_or_b32_e32 v8, v9, v11
	;; [unrolled: 1-line block ×7, first 2 shown]
	v_mul_f32_e32 v17, s4, v11
	v_mul_f32_e32 v11, s28, v2
	v_or_b32_e32 v2, v119, v117
	v_or_b32_e32 v23, v23, v21
	v_mul_f32_e32 v21, s28, v22
	v_or_b32_e32 v22, v26, v28
	v_or_b32_e32 v30, v32, v30
	;; [unrolled: 3-line block ×3, first 2 shown]
	v_or_b32_e32 v38, v40, v38
	v_or_b32_e32 v40, v41, v43
	;; [unrolled: 1-line block ×3, first 2 shown]
	v_mul_f32_e32 v33, s4, v2
	v_or_b32_e32 v2, v111, v109
	v_or_b32_e32 v48, v49, v51
	;; [unrolled: 1-line block ×4, first 2 shown]
	v_mul_f32_e32 v13, s28, v14
	v_mul_f32_e32 v41, s4, v2
	v_or_b32_e32 v2, v113, v115
	v_or_b32_e32 v14, v18, v20
	v_mul_f32_e32 v18, s4, v1
	v_or_b32_e32 v1, v120, v118
	v_or_b32_e32 v24, v25, v27
	v_mul_f32_e32 v35, s4, v2
	v_or_b32_e32 v2, v103, v101
	v_or_b32_e32 v31, v31, v29
	v_mul_f32_e32 v26, s28, v1
	v_or_b32_e32 v1, v122, v124
	v_mul_f32_e32 v29, s28, v30
	v_mul_f32_e32 v43, s4, v2
	v_or_b32_e32 v2, v107, v105
	v_or_b32_e32 v30, v34, v36
	v_mul_f32_e32 v27, s28, v1
	v_or_b32_e32 v1, v112, v110
	v_or_b32_e32 v39, v39, v37
	v_mul_f32_e32 v49, s4, v2
	s_clause 0x1
	buffer_load_dword v2, off, s[36:39], 0 offset:56
	buffer_load_dword v3, off, s[36:39], 0 offset:60
	v_mul_f32_e32 v37, s28, v38
	v_mul_f32_e32 v36, s28, v1
	v_or_b32_e32 v1, v114, v116
	v_or_b32_e32 v38, v42, v44
	;; [unrolled: 1-line block ×5, first 2 shown]
	v_mul_f32_e32 v34, s28, v1
	v_or_b32_e32 v1, v104, v102
	v_mul_f32_e32 v45, s28, v46
	v_or_b32_e32 v46, v50, v52
	v_or_b32_e32 v7, v7, v5
	v_mul_f32_e32 v5, s28, v6
	v_mul_f32_e32 v42, s28, v1
	v_or_b32_e32 v1, v108, v106
	v_or_b32_e32 v6, v10, v12
	;; [unrolled: 1-line block ×5, first 2 shown]
	v_mul_f32_e32 v44, s28, v1
	v_mul_f32_e32 v53, s28, v54
	v_or_b32_e32 v54, v74, v60
	v_mul_f32_e32 v10, s28, v9
	v_or_b32_e32 v4, v75, v83
	v_or_b32_e32 v61, v63, v61
	;; [unrolled: 1-line block ×3, first 2 shown]
	v_mul_f32_e32 v7, s4, v7
	v_mul_f32_e32 v6, s28, v6
	;; [unrolled: 1-line block ×4, first 2 shown]
	v_or_b32_e32 v61, v72, v80
	v_mul_f32_e32 v15, s4, v15
	v_mul_f32_e32 v14, s28, v14
	;; [unrolled: 1-line block ×22, first 2 shown]
	v_cmp_gt_i32_e64 s1, s11, v127
	v_add_nc_u32_e32 v0, 4, v0
	s_waitcnt vmcnt(1)
	v_or_b32_e32 v2, v95, v2
	s_waitcnt vmcnt(0)
	v_or_b32_e32 v1, v96, v3
	v_mul_f32_e32 v51, s4, v2
	v_or_b32_e32 v2, v99, v97
	v_mul_f32_e32 v50, s28, v1
	;; [unrolled: 2-line block ×3, first 2 shown]
	s_clause 0x3
	buffer_load_dword v2, off, s[36:39], 0 offset:32
	buffer_load_dword v3, off, s[36:39], 0 offset:36
	;; [unrolled: 1-line block ×4, first 2 shown]
	v_mul_f32_e32 v52, s28, v1
	s_waitcnt vmcnt(1)
	v_or_b32_e32 v2, v19, v2
	s_waitcnt vmcnt(0)
	v_or_b32_e32 v1, v20, v3
	v_mul_f32_e32 v12, s4, v2
	s_clause 0x1
	buffer_load_dword v2, off, s[36:39], 0 offset:48
	buffer_load_dword v3, off, s[36:39], 0 offset:52
	v_mul_f32_e32 v19, s28, v1
	s_waitcnt vmcnt(1)
	v_or_b32_e32 v2, v89, v2
	s_waitcnt vmcnt(0)
	v_or_b32_e32 v1, v90, v3
	v_mul_f32_e32 v20, s4, v2
	s_clause 0x3
	buffer_load_dword v2, off, s[36:39], 0
	buffer_load_dword v3, off, s[36:39], 0 offset:4
	buffer_load_dword v64, off, s[36:39], 0 offset:8
	;; [unrolled: 1-line block ×3, first 2 shown]
	v_mul_f32_e32 v25, s28, v1
	s_waitcnt vmcnt(1)
	v_or_b32_e32 v2, v64, v2
	s_waitcnt vmcnt(0)
	v_or_b32_e32 v1, v65, v3
	v_mul_f32_e32 v64, s4, v2
	s_clause 0x3
	buffer_load_dword v2, off, s[36:39], 0 offset:16
	buffer_load_dword v3, off, s[36:39], 0 offset:20
	;; [unrolled: 1-line block ×4, first 2 shown]
	v_mul_f32_e32 v60, s28, v1
	s_waitcnt vmcnt(1)
	v_or_b32_e32 v2, v67, v2
	s_waitcnt vmcnt(0)
	v_or_b32_e32 v1, v68, v3
	v_or_b32_e32 v3, v77, v91
	v_mul_f32_e32 v67, s4, v2
	v_mul_f32_e32 v65, s28, v1
	;; [unrolled: 1-line block ×3, first 2 shown]
	v_or_b32_e32 v3, v76, v84
	s_clause 0x3
	buffer_load_dword v74, off, s[36:39], 0 offset:80
	buffer_load_dword v75, off, s[36:39], 0 offset:84
	;; [unrolled: 1-line block ×4, first 2 shown]
	v_or_b32_e32 v2, v78, v92
	v_add_nc_u32_e32 v1, s5, v127
	v_add_nc_u32_e32 v127, 0x80, v127
	v_mul_f32_e32 v3, s28, v3
	v_mul_f32_e32 v2, s28, v2
	v_cvt_f32_i32_e32 v1, v1
	v_mul_f32_e32 v1, s2, v1
	v_cndmask_b32_e32 v1, 0, v1, vcc_lo
	s_waitcnt vmcnt(3)
	v_mul_f32_e32 v12, v74, v12
	s_clause 0x3
	buffer_load_dword v71, off, s[36:39], 0 offset:64
	buffer_load_dword v72, off, s[36:39], 0 offset:68
	;; [unrolled: 1-line block ×4, first 2 shown]
	s_waitcnt vmcnt(6)
	v_mul_f32_e32 v19, v75, v19
	s_waitcnt vmcnt(5)
	v_mul_f32_e32 v20, v76, v20
	;; [unrolled: 2-line block ×3, first 2 shown]
	s_waitcnt vmcnt(3)
	v_fmac_f32_e32 v12, v71, v64
	s_waitcnt vmcnt(2)
	v_fmac_f32_e32 v19, v72, v60
	;; [unrolled: 2-line block ×4, first 2 shown]
	s_clause 0x3
	buffer_load_dword v71, off, s[36:39], 0 offset:96
	buffer_load_dword v72, off, s[36:39], 0 offset:100
	;; [unrolled: 1-line block ×4, first 2 shown]
	s_waitcnt vmcnt(3)
	v_fmac_f32_e32 v12, v71, v51
	s_waitcnt vmcnt(2)
	v_fmac_f32_e32 v19, v72, v50
	;; [unrolled: 2-line block ×4, first 2 shown]
	s_clause 0x3
	buffer_load_dword v71, off, s[36:39], 0 offset:112
	buffer_load_dword v72, off, s[36:39], 0 offset:116
	;; [unrolled: 1-line block ×4, first 2 shown]
	s_waitcnt vmcnt(3)
	v_fmac_f32_e32 v12, v71, v43
	s_waitcnt vmcnt(2)
	v_fmac_f32_e32 v19, v72, v42
	;; [unrolled: 2-line block ×3, first 2 shown]
	s_clause 0x3
	buffer_load_dword v49, off, s[36:39], 0 offset:128
	buffer_load_dword v50, off, s[36:39], 0 offset:132
	;; [unrolled: 1-line block ×4, first 2 shown]
	s_waitcnt vmcnt(4)
	v_fmac_f32_e32 v25, v74, v44
	s_waitcnt vmcnt(3)
	v_fmac_f32_e32 v12, v49, v41
	s_clause 0x3
	buffer_load_dword v41, off, s[36:39], 0 offset:144
	buffer_load_dword v42, off, s[36:39], 0 offset:148
	;; [unrolled: 1-line block ×4, first 2 shown]
	s_waitcnt vmcnt(5)
	v_fmac_f32_e32 v20, v51, v35
	v_fmac_f32_e32 v19, v50, v36
	s_waitcnt vmcnt(4)
	v_fmac_f32_e32 v25, v52, v34
	s_waitcnt vmcnt(3)
	;; [unrolled: 2-line block ×4, first 2 shown]
	v_fmac_f32_e32 v20, v43, v33
	s_clause 0x3
	buffer_load_dword v33, off, s[36:39], 0 offset:160
	buffer_load_dword v34, off, s[36:39], 0 offset:164
	;; [unrolled: 1-line block ×4, first 2 shown]
	s_waitcnt vmcnt(4)
	v_fmac_f32_e32 v25, v44, v27
	s_waitcnt vmcnt(3)
	v_fmac_f32_e32 v12, v33, v17
	;; [unrolled: 2-line block ×5, first 2 shown]
	s_clause 0x3
	buffer_load_dword v33, off, s[36:39], 0 offset:176
	buffer_load_dword v34, off, s[36:39], 0 offset:180
	buffer_load_dword v35, off, s[36:39], 0 offset:184
	buffer_load_dword v36, off, s[36:39], 0 offset:188
	s_waitcnt vmcnt(3)
	v_fmac_f32_e32 v12, v33, v7
	s_waitcnt vmcnt(2)
	v_fmac_f32_e32 v19, v34, v5
	s_waitcnt vmcnt(1)
	v_fmac_f32_e32 v20, v35, v8
	s_waitcnt vmcnt(0)
	v_fmac_f32_e32 v25, v36, v6
	s_clause 0x3
	buffer_load_dword v5, off, s[36:39], 0 offset:200
	buffer_load_dword v6, off, s[36:39], 0 offset:204
	buffer_load_dword v7, off, s[36:39], 0 offset:208
	buffer_load_dword v8, off, s[36:39], 0 offset:212
	s_waitcnt vmcnt(3)
	v_fmac_f32_e32 v12, v5, v15
	s_waitcnt vmcnt(2)
	v_fmac_f32_e32 v19, v6, v13
	s_waitcnt vmcnt(1)
	v_fmac_f32_e32 v20, v7, v16
	s_waitcnt vmcnt(0)
	v_fmac_f32_e32 v25, v8, v14
	;; [unrolled: 13-line block ×9, first 2 shown]
	v_add_f32_e32 v2, v12, v19
	v_add_f32_e32 v2, v2, v20
	;; [unrolled: 1-line block ×3, first 2 shown]
	v_fmac_f32_e32 v1, s3, v2
	v_cndmask_b32_e64 v2, 0, v1, s1
	ds_write_b32 v88, v2
	v_max_f32_e32 v2, v87, v87
	v_add_nc_u32_e32 v88, 0x200, v88
	v_max_f32_e32 v1, v2, v1
	v_cndmask_b32_e64 v87, v87, v1, s1
	v_add_co_u32 v69, s1, v69, 16
	v_add_co_ci_u32_e64 v70, null, 0, v70, s1
	v_cmp_le_i32_e64 s1, s12, v0
	s_or_b32 s16, s1, s16
	s_andn2_b32 exec_lo, exec_lo, s16
	s_cbranch_execz .LBB219_519
.LBB219_10:                             ; =>This Inner Loop Header: Depth=1
	global_load_dword v1, v[69:70], off
	s_clause 0x1
	buffer_load_dword v2, off, s[36:39], 0 offset:192
	buffer_load_dword v3, off, s[36:39], 0 offset:196
	s_waitcnt vmcnt(0)
	v_mad_i64_i32 v[91:92], null, v1, s17, v[2:3]
	v_mov_b32_e32 v2, 0
	v_mov_b32_e32 v3, 0
	global_load_dword v1, v[91:92], off
	buffer_store_dword v2, off, s[36:39], 0 offset:8 ; 4-byte Folded Spill
	buffer_store_dword v3, off, s[36:39], 0 offset:12 ; 4-byte Folded Spill
	v_mov_b32_e32 v2, 0
	v_mov_b32_e32 v3, 0
	buffer_store_dword v2, off, s[36:39], 0 ; 4-byte Folded Spill
	buffer_store_dword v3, off, s[36:39], 0 offset:4 ; 4-byte Folded Spill
	s_waitcnt vmcnt(0)
	v_cmp_ne_u16_sdwa s1, v1, v66 src0_sel:BYTE_0 src1_sel:DWORD
	s_and_saveexec_b32 s29, s1
	s_cbranch_execz .LBB219_18
; %bb.11:                               ;   in Loop: Header=BB219_10 Depth=1
	v_bfrev_b32_e32 v2, 1
	v_mov_b32_e32 v3, 0
	v_cmp_ne_u16_sdwa s1, v1, v85 src0_sel:BYTE_0 src1_sel:DWORD
	buffer_store_dword v2, off, s[36:39], 0 ; 4-byte Folded Spill
	buffer_store_dword v3, off, s[36:39], 0 offset:4 ; 4-byte Folded Spill
	s_and_saveexec_b32 s30, s1
	s_cbranch_execz .LBB219_17
; %bb.12:                               ;   in Loop: Header=BB219_10 Depth=1
	v_mov_b32_e32 v4, 0x7f800001
	v_and_b32_e32 v3, 0x7f, v1
	v_mov_b32_e32 v5, 0
	s_mov_b32 s31, exec_lo
	buffer_store_dword v4, off, s[36:39], 0 ; 4-byte Folded Spill
	buffer_store_dword v5, off, s[36:39], 0 offset:4 ; 4-byte Folded Spill
	v_cmpx_ne_u32_e32 0x7f, v3
	s_cbranch_execz .LBB219_16
; %bb.13:                               ;   in Loop: Header=BB219_10 Depth=1
	v_and_b32_e32 v65, 7, v1
	v_lshrrev_b32_e32 v2, 3, v3
	s_mov_b32 s33, exec_lo
	v_cmpx_gt_u32_e32 8, v3
; %bb.14:                               ;   in Loop: Header=BB219_10 Depth=1
	v_ffbh_u32_e32 v2, v65
	v_min_u32_e32 v2, 32, v2
	v_subrev_nc_u32_e32 v3, 28, v2
	v_sub_nc_u32_e32 v2, 29, v2
	v_lshlrev_b64 v[3:4], v3, v[65:66]
	v_and_b32_e32 v65, 7, v3
; %bb.15:                               ;   in Loop: Header=BB219_10 Depth=1
	s_or_b32 exec_lo, exec_lo, s33
	v_lshlrev_b32_e32 v3, 24, v1
	v_lshlrev_b32_e32 v4, 20, v65
	v_lshl_add_u32 v2, v2, 23, 0x3c000000
	v_and_b32_e32 v3, 0x80000000, v3
	v_or3_b32 v65, v4, v3, v2
	buffer_store_dword v65, off, s[36:39], 0 ; 4-byte Folded Spill
	buffer_store_dword v66, off, s[36:39], 0 offset:4 ; 4-byte Folded Spill
.LBB219_16:                             ;   in Loop: Header=BB219_10 Depth=1
	s_or_b32 exec_lo, exec_lo, s31
.LBB219_17:                             ;   in Loop: Header=BB219_10 Depth=1
	s_or_b32 exec_lo, exec_lo, s30
.LBB219_18:                             ;   in Loop: Header=BB219_10 Depth=1
	s_or_b32 exec_lo, exec_lo, s29
	v_cmp_ne_u16_sdwa s1, v1, v66 src0_sel:BYTE_1 src1_sel:DWORD
	s_and_saveexec_b32 s29, s1
	s_cbranch_execz .LBB219_26
; %bb.19:                               ;   in Loop: Header=BB219_10 Depth=1
	v_mov_b32_e32 v81, v66
	v_cmp_ne_u16_sdwa s1, v1, v85 src0_sel:BYTE_1 src1_sel:DWORD
	buffer_store_dword v81, off, s[36:39], 0 offset:8 ; 4-byte Folded Spill
	buffer_store_dword v82, off, s[36:39], 0 offset:12 ; 4-byte Folded Spill
	s_and_saveexec_b32 s30, s1
	s_cbranch_execz .LBB219_25
; %bb.20:                               ;   in Loop: Header=BB219_10 Depth=1
	v_mov_b32_e32 v2, 0xffff
	v_mov_b32_e32 v57, v66
	s_mov_b32 s31, exec_lo
	buffer_store_dword v57, off, s[36:39], 0 offset:8 ; 4-byte Folded Spill
	buffer_store_dword v58, off, s[36:39], 0 offset:12 ; 4-byte Folded Spill
	v_and_b32_sdwa v2, v2, v1 dst_sel:DWORD dst_unused:UNUSED_PAD src0_sel:DWORD src1_sel:BYTE_1
	v_and_b32_e32 v3, 0x7f, v2
	v_cmpx_ne_u32_e32 0x7f, v3
	s_cbranch_execz .LBB219_24
; %bb.21:                               ;   in Loop: Header=BB219_10 Depth=1
	v_and_b32_e32 v65, 7, v2
	v_lshrrev_b32_e32 v2, 3, v3
	s_mov_b32 s33, exec_lo
	v_cmpx_gt_u32_e32 8, v3
; %bb.22:                               ;   in Loop: Header=BB219_10 Depth=1
	v_ffbh_u32_e32 v2, v65
	v_min_u32_e32 v2, 32, v2
	v_subrev_nc_u32_e32 v3, 28, v2
	v_sub_nc_u32_e32 v2, 29, v2
	v_lshlrev_b64 v[3:4], v3, v[65:66]
	v_and_b32_e32 v65, 7, v3
; %bb.23:                               ;   in Loop: Header=BB219_10 Depth=1
	s_or_b32 exec_lo, exec_lo, s33
	v_lshlrev_b32_e32 v3, 16, v1
	v_lshlrev_b32_e32 v4, 20, v65
	v_lshl_add_u32 v2, v2, 23, 0x3c000000
	v_and_b32_e32 v3, 0x80000000, v3
	v_or3_b32 v3, v4, v3, v2
	v_mov_b32_e32 v2, v66
	buffer_store_dword v2, off, s[36:39], 0 offset:8 ; 4-byte Folded Spill
	buffer_store_dword v3, off, s[36:39], 0 offset:12 ; 4-byte Folded Spill
.LBB219_24:                             ;   in Loop: Header=BB219_10 Depth=1
	s_or_b32 exec_lo, exec_lo, s31
.LBB219_25:                             ;   in Loop: Header=BB219_10 Depth=1
	s_or_b32 exec_lo, exec_lo, s30
.LBB219_26:                             ;   in Loop: Header=BB219_10 Depth=1
	s_or_b32 exec_lo, exec_lo, s29
	v_mov_b32_e32 v3, 0
	v_mov_b32_e32 v4, 0
	v_and_b32_sdwa v2, v1, v86 dst_sel:DWORD dst_unused:UNUSED_PAD src0_sel:WORD_1 src1_sel:DWORD
	s_mov_b32 s29, exec_lo
	buffer_store_dword v3, off, s[36:39], 0 offset:24 ; 4-byte Folded Spill
	buffer_store_dword v4, off, s[36:39], 0 offset:28 ; 4-byte Folded Spill
	v_mov_b32_e32 v3, 0
	v_mov_b32_e32 v4, 0
	buffer_store_dword v3, off, s[36:39], 0 offset:16 ; 4-byte Folded Spill
	buffer_store_dword v4, off, s[36:39], 0 offset:20 ; 4-byte Folded Spill
	v_cmpx_ne_u16_e32 0, v2
	s_cbranch_execz .LBB219_34
; %bb.27:                               ;   in Loop: Header=BB219_10 Depth=1
	v_bfrev_b32_e32 v3, 1
	v_mov_b32_e32 v4, 0
	s_mov_b32 s30, exec_lo
	buffer_store_dword v3, off, s[36:39], 0 offset:16 ; 4-byte Folded Spill
	buffer_store_dword v4, off, s[36:39], 0 offset:20 ; 4-byte Folded Spill
	v_cmpx_ne_u16_e32 0x80, v2
	s_cbranch_execz .LBB219_33
; %bb.28:                               ;   in Loop: Header=BB219_10 Depth=1
	v_mov_b32_e32 v4, 0x7f800001
	v_bfe_u32 v3, v1, 16, 7
	v_mov_b32_e32 v5, 0
	s_mov_b32 s31, exec_lo
	buffer_store_dword v4, off, s[36:39], 0 offset:16 ; 4-byte Folded Spill
	buffer_store_dword v5, off, s[36:39], 0 offset:20 ; 4-byte Folded Spill
	v_cmpx_ne_u32_e32 0x7f, v3
	s_cbranch_execz .LBB219_32
; %bb.29:                               ;   in Loop: Header=BB219_10 Depth=1
	v_mov_b32_e32 v2, 7
	s_mov_b32 s33, exec_lo
	v_and_b32_sdwa v65, v1, v2 dst_sel:DWORD dst_unused:UNUSED_PAD src0_sel:WORD_1 src1_sel:DWORD
	v_lshrrev_b32_e32 v2, 3, v3
	v_cmpx_gt_u32_e32 8, v3
; %bb.30:                               ;   in Loop: Header=BB219_10 Depth=1
	v_ffbh_u32_e32 v2, v65
	v_min_u32_e32 v2, 32, v2
	v_subrev_nc_u32_e32 v3, 28, v2
	v_sub_nc_u32_e32 v2, 29, v2
	v_lshlrev_b64 v[3:4], v3, v[65:66]
	v_and_b32_e32 v65, 7, v3
; %bb.31:                               ;   in Loop: Header=BB219_10 Depth=1
	s_or_b32 exec_lo, exec_lo, s33
	v_mov_b32_e32 v3, 24
	v_lshlrev_b32_e32 v4, 20, v65
	v_lshl_add_u32 v2, v2, 23, 0x3c000000
	v_lshlrev_b32_sdwa v3, v3, v1 dst_sel:DWORD dst_unused:UNUSED_PAD src0_sel:DWORD src1_sel:WORD_1
	v_and_b32_e32 v3, 0x80000000, v3
	v_or3_b32 v65, v4, v3, v2
	buffer_store_dword v65, off, s[36:39], 0 offset:16 ; 4-byte Folded Spill
	buffer_store_dword v66, off, s[36:39], 0 offset:20 ; 4-byte Folded Spill
.LBB219_32:                             ;   in Loop: Header=BB219_10 Depth=1
	s_or_b32 exec_lo, exec_lo, s31
.LBB219_33:                             ;   in Loop: Header=BB219_10 Depth=1
	s_or_b32 exec_lo, exec_lo, s30
.LBB219_34:                             ;   in Loop: Header=BB219_10 Depth=1
	s_or_b32 exec_lo, exec_lo, s29
	s_mov_b32 s29, exec_lo
	v_cmpx_lt_u32_e32 0xffffff, v1
	s_cbranch_execz .LBB219_42
; %bb.35:                               ;   in Loop: Header=BB219_10 Depth=1
	v_mov_b32_e32 v81, v66
	v_cmp_ne_u32_sdwa s1, v1, v85 src0_sel:BYTE_3 src1_sel:DWORD
	buffer_store_dword v81, off, s[36:39], 0 offset:24 ; 4-byte Folded Spill
	buffer_store_dword v82, off, s[36:39], 0 offset:28 ; 4-byte Folded Spill
	s_and_saveexec_b32 s30, s1
	s_cbranch_execz .LBB219_41
; %bb.36:                               ;   in Loop: Header=BB219_10 Depth=1
	v_bfe_u32 v3, v1, 24, 7
	v_mov_b32_e32 v57, v66
	s_mov_b32 s31, exec_lo
	buffer_store_dword v57, off, s[36:39], 0 offset:24 ; 4-byte Folded Spill
	buffer_store_dword v58, off, s[36:39], 0 offset:28 ; 4-byte Folded Spill
	v_cmpx_ne_u32_e32 0x7f, v3
	s_cbranch_execz .LBB219_40
; %bb.37:                               ;   in Loop: Header=BB219_10 Depth=1
	v_mov_b32_e32 v2, 7
	s_mov_b32 s33, exec_lo
	v_and_b32_sdwa v65, v1, v2 dst_sel:DWORD dst_unused:UNUSED_PAD src0_sel:BYTE_3 src1_sel:DWORD
	v_lshrrev_b32_e32 v2, 3, v3
	v_cmpx_gt_u32_e32 8, v3
; %bb.38:                               ;   in Loop: Header=BB219_10 Depth=1
	v_ffbh_u32_e32 v2, v65
	v_min_u32_e32 v2, 32, v2
	v_subrev_nc_u32_e32 v3, 28, v2
	v_sub_nc_u32_e32 v2, 29, v2
	v_lshlrev_b64 v[3:4], v3, v[65:66]
	v_and_b32_e32 v65, 7, v3
; %bb.39:                               ;   in Loop: Header=BB219_10 Depth=1
	s_or_b32 exec_lo, exec_lo, s33
	v_mov_b32_e32 v3, 24
	v_lshl_add_u32 v2, v2, 23, 0x3c000000
	v_lshlrev_b32_sdwa v1, v3, v1 dst_sel:DWORD dst_unused:UNUSED_PAD src0_sel:DWORD src1_sel:BYTE_3
	v_lshlrev_b32_e32 v3, 20, v65
	v_and_b32_e32 v1, 0x80000000, v1
	v_or3_b32 v2, v3, v1, v2
	v_mov_b32_e32 v1, v66
	buffer_store_dword v1, off, s[36:39], 0 offset:24 ; 4-byte Folded Spill
	buffer_store_dword v2, off, s[36:39], 0 offset:28 ; 4-byte Folded Spill
.LBB219_40:                             ;   in Loop: Header=BB219_10 Depth=1
	s_or_b32 exec_lo, exec_lo, s31
.LBB219_41:                             ;   in Loop: Header=BB219_10 Depth=1
	s_or_b32 exec_lo, exec_lo, s30
.LBB219_42:                             ;   in Loop: Header=BB219_10 Depth=1
	s_or_b32 exec_lo, exec_lo, s29
	global_load_dword v1, v[91:92], off offset:4
	v_mov_b32_e32 v2, 0
	v_mov_b32_e32 v3, 0
	buffer_store_dword v2, off, s[36:39], 0 offset:40 ; 4-byte Folded Spill
	buffer_store_dword v3, off, s[36:39], 0 offset:44 ; 4-byte Folded Spill
	v_mov_b32_e32 v2, 0
	v_mov_b32_e32 v3, 0
	buffer_store_dword v2, off, s[36:39], 0 offset:32 ; 4-byte Folded Spill
	buffer_store_dword v3, off, s[36:39], 0 offset:36 ; 4-byte Folded Spill
	s_waitcnt vmcnt(0)
	v_cmp_ne_u16_sdwa s1, v1, v66 src0_sel:BYTE_0 src1_sel:DWORD
	s_and_saveexec_b32 s29, s1
	s_cbranch_execz .LBB219_50
; %bb.43:                               ;   in Loop: Header=BB219_10 Depth=1
	v_bfrev_b32_e32 v2, 1
	v_mov_b32_e32 v3, 0
	v_cmp_ne_u16_sdwa s1, v1, v85 src0_sel:BYTE_0 src1_sel:DWORD
	buffer_store_dword v2, off, s[36:39], 0 offset:32 ; 4-byte Folded Spill
	buffer_store_dword v3, off, s[36:39], 0 offset:36 ; 4-byte Folded Spill
	s_and_saveexec_b32 s30, s1
	s_cbranch_execz .LBB219_49
; %bb.44:                               ;   in Loop: Header=BB219_10 Depth=1
	v_mov_b32_e32 v4, 0x7f800001
	v_and_b32_e32 v3, 0x7f, v1
	v_mov_b32_e32 v5, 0
	s_mov_b32 s31, exec_lo
	buffer_store_dword v4, off, s[36:39], 0 offset:32 ; 4-byte Folded Spill
	buffer_store_dword v5, off, s[36:39], 0 offset:36 ; 4-byte Folded Spill
	v_cmpx_ne_u32_e32 0x7f, v3
	s_cbranch_execz .LBB219_48
; %bb.45:                               ;   in Loop: Header=BB219_10 Depth=1
	v_and_b32_e32 v65, 7, v1
	v_lshrrev_b32_e32 v2, 3, v3
	s_mov_b32 s33, exec_lo
	v_cmpx_gt_u32_e32 8, v3
; %bb.46:                               ;   in Loop: Header=BB219_10 Depth=1
	v_ffbh_u32_e32 v2, v65
	v_min_u32_e32 v2, 32, v2
	v_subrev_nc_u32_e32 v3, 28, v2
	v_sub_nc_u32_e32 v2, 29, v2
	v_lshlrev_b64 v[3:4], v3, v[65:66]
	v_and_b32_e32 v65, 7, v3
; %bb.47:                               ;   in Loop: Header=BB219_10 Depth=1
	s_or_b32 exec_lo, exec_lo, s33
	v_lshlrev_b32_e32 v3, 24, v1
	v_lshlrev_b32_e32 v4, 20, v65
	v_lshl_add_u32 v2, v2, 23, 0x3c000000
	v_and_b32_e32 v3, 0x80000000, v3
	v_or3_b32 v65, v4, v3, v2
	buffer_store_dword v65, off, s[36:39], 0 offset:32 ; 4-byte Folded Spill
	buffer_store_dword v66, off, s[36:39], 0 offset:36 ; 4-byte Folded Spill
.LBB219_48:                             ;   in Loop: Header=BB219_10 Depth=1
	s_or_b32 exec_lo, exec_lo, s31
.LBB219_49:                             ;   in Loop: Header=BB219_10 Depth=1
	s_or_b32 exec_lo, exec_lo, s30
.LBB219_50:                             ;   in Loop: Header=BB219_10 Depth=1
	s_or_b32 exec_lo, exec_lo, s29
	v_cmp_ne_u16_sdwa s1, v1, v66 src0_sel:BYTE_1 src1_sel:DWORD
	s_and_saveexec_b32 s29, s1
	s_cbranch_execz .LBB219_58
; %bb.51:                               ;   in Loop: Header=BB219_10 Depth=1
	v_mov_b32_e32 v81, v66
	v_cmp_ne_u16_sdwa s1, v1, v85 src0_sel:BYTE_1 src1_sel:DWORD
	buffer_store_dword v81, off, s[36:39], 0 offset:40 ; 4-byte Folded Spill
	buffer_store_dword v82, off, s[36:39], 0 offset:44 ; 4-byte Folded Spill
	s_and_saveexec_b32 s30, s1
	s_cbranch_execz .LBB219_57
; %bb.52:                               ;   in Loop: Header=BB219_10 Depth=1
	v_mov_b32_e32 v2, 0xffff
	v_mov_b32_e32 v57, v66
	s_mov_b32 s31, exec_lo
	buffer_store_dword v57, off, s[36:39], 0 offset:40 ; 4-byte Folded Spill
	buffer_store_dword v58, off, s[36:39], 0 offset:44 ; 4-byte Folded Spill
	v_and_b32_sdwa v2, v2, v1 dst_sel:DWORD dst_unused:UNUSED_PAD src0_sel:DWORD src1_sel:BYTE_1
	v_and_b32_e32 v3, 0x7f, v2
	v_cmpx_ne_u32_e32 0x7f, v3
	s_cbranch_execz .LBB219_56
; %bb.53:                               ;   in Loop: Header=BB219_10 Depth=1
	v_and_b32_e32 v65, 7, v2
	v_lshrrev_b32_e32 v2, 3, v3
	s_mov_b32 s33, exec_lo
	v_cmpx_gt_u32_e32 8, v3
; %bb.54:                               ;   in Loop: Header=BB219_10 Depth=1
	v_ffbh_u32_e32 v2, v65
	v_min_u32_e32 v2, 32, v2
	v_subrev_nc_u32_e32 v3, 28, v2
	v_sub_nc_u32_e32 v2, 29, v2
	v_lshlrev_b64 v[3:4], v3, v[65:66]
	v_and_b32_e32 v65, 7, v3
; %bb.55:                               ;   in Loop: Header=BB219_10 Depth=1
	s_or_b32 exec_lo, exec_lo, s33
	v_lshlrev_b32_e32 v3, 16, v1
	v_lshlrev_b32_e32 v4, 20, v65
	v_lshl_add_u32 v2, v2, 23, 0x3c000000
	v_and_b32_e32 v3, 0x80000000, v3
	v_or3_b32 v3, v4, v3, v2
	v_mov_b32_e32 v2, v66
	buffer_store_dword v2, off, s[36:39], 0 offset:40 ; 4-byte Folded Spill
	buffer_store_dword v3, off, s[36:39], 0 offset:44 ; 4-byte Folded Spill
.LBB219_56:                             ;   in Loop: Header=BB219_10 Depth=1
	s_or_b32 exec_lo, exec_lo, s31
.LBB219_57:                             ;   in Loop: Header=BB219_10 Depth=1
	s_or_b32 exec_lo, exec_lo, s30
.LBB219_58:                             ;   in Loop: Header=BB219_10 Depth=1
	s_or_b32 exec_lo, exec_lo, s29
	v_mov_b32_e32 v89, 0
	v_mov_b32_e32 v3, 0
	v_and_b32_sdwa v2, v1, v86 dst_sel:DWORD dst_unused:UNUSED_PAD src0_sel:WORD_1 src1_sel:DWORD
	v_mov_b32_e32 v90, 0
	v_mov_b32_e32 v4, 0
	s_mov_b32 s29, exec_lo
	buffer_store_dword v3, off, s[36:39], 0 offset:48 ; 4-byte Folded Spill
	buffer_store_dword v4, off, s[36:39], 0 offset:52 ; 4-byte Folded Spill
	v_cmpx_ne_u16_e32 0, v2
	s_cbranch_execz .LBB219_66
; %bb.59:                               ;   in Loop: Header=BB219_10 Depth=1
	v_bfrev_b32_e32 v3, 1
	v_mov_b32_e32 v4, 0
	s_mov_b32 s30, exec_lo
	buffer_store_dword v3, off, s[36:39], 0 offset:48 ; 4-byte Folded Spill
	buffer_store_dword v4, off, s[36:39], 0 offset:52 ; 4-byte Folded Spill
	v_cmpx_ne_u16_e32 0x80, v2
	s_cbranch_execz .LBB219_65
; %bb.60:                               ;   in Loop: Header=BB219_10 Depth=1
	v_mov_b32_e32 v4, 0x7f800001
	v_bfe_u32 v3, v1, 16, 7
	v_mov_b32_e32 v5, 0
	s_mov_b32 s31, exec_lo
	buffer_store_dword v4, off, s[36:39], 0 offset:48 ; 4-byte Folded Spill
	buffer_store_dword v5, off, s[36:39], 0 offset:52 ; 4-byte Folded Spill
	v_cmpx_ne_u32_e32 0x7f, v3
	s_cbranch_execz .LBB219_64
; %bb.61:                               ;   in Loop: Header=BB219_10 Depth=1
	v_mov_b32_e32 v2, 7
	s_mov_b32 s33, exec_lo
	v_and_b32_sdwa v65, v1, v2 dst_sel:DWORD dst_unused:UNUSED_PAD src0_sel:WORD_1 src1_sel:DWORD
	v_lshrrev_b32_e32 v2, 3, v3
	v_cmpx_gt_u32_e32 8, v3
; %bb.62:                               ;   in Loop: Header=BB219_10 Depth=1
	v_ffbh_u32_e32 v2, v65
	v_min_u32_e32 v2, 32, v2
	v_subrev_nc_u32_e32 v3, 28, v2
	v_sub_nc_u32_e32 v2, 29, v2
	v_lshlrev_b64 v[3:4], v3, v[65:66]
	v_and_b32_e32 v65, 7, v3
; %bb.63:                               ;   in Loop: Header=BB219_10 Depth=1
	s_or_b32 exec_lo, exec_lo, s33
	v_mov_b32_e32 v3, 24
	v_lshlrev_b32_e32 v4, 20, v65
	v_lshl_add_u32 v2, v2, 23, 0x3c000000
	v_lshlrev_b32_sdwa v3, v3, v1 dst_sel:DWORD dst_unused:UNUSED_PAD src0_sel:DWORD src1_sel:WORD_1
	v_and_b32_e32 v3, 0x80000000, v3
	v_or3_b32 v65, v4, v3, v2
	buffer_store_dword v65, off, s[36:39], 0 offset:48 ; 4-byte Folded Spill
	buffer_store_dword v66, off, s[36:39], 0 offset:52 ; 4-byte Folded Spill
.LBB219_64:                             ;   in Loop: Header=BB219_10 Depth=1
	s_or_b32 exec_lo, exec_lo, s31
.LBB219_65:                             ;   in Loop: Header=BB219_10 Depth=1
	s_or_b32 exec_lo, exec_lo, s30
.LBB219_66:                             ;   in Loop: Header=BB219_10 Depth=1
	s_or_b32 exec_lo, exec_lo, s29
	s_mov_b32 s29, exec_lo
	v_cmpx_lt_u32_e32 0xffffff, v1
	s_cbranch_execz .LBB219_74
; %bb.67:                               ;   in Loop: Header=BB219_10 Depth=1
	v_mov_b32_e32 v81, v66
	v_mov_b32_e32 v90, v82
	v_cmp_ne_u32_sdwa s1, v1, v85 src0_sel:BYTE_3 src1_sel:DWORD
	v_mov_b32_e32 v89, v81
	s_and_saveexec_b32 s30, s1
	s_cbranch_execz .LBB219_73
; %bb.68:                               ;   in Loop: Header=BB219_10 Depth=1
	v_mov_b32_e32 v57, v66
	v_mov_b32_e32 v90, v58
	v_bfe_u32 v3, v1, 24, 7
	s_mov_b32 s31, exec_lo
	v_mov_b32_e32 v89, v57
	v_cmpx_ne_u32_e32 0x7f, v3
	s_cbranch_execz .LBB219_72
; %bb.69:                               ;   in Loop: Header=BB219_10 Depth=1
	v_mov_b32_e32 v2, 7
	s_mov_b32 s33, exec_lo
	v_and_b32_sdwa v65, v1, v2 dst_sel:DWORD dst_unused:UNUSED_PAD src0_sel:BYTE_3 src1_sel:DWORD
	v_lshrrev_b32_e32 v2, 3, v3
	v_cmpx_gt_u32_e32 8, v3
; %bb.70:                               ;   in Loop: Header=BB219_10 Depth=1
	v_ffbh_u32_e32 v2, v65
	v_min_u32_e32 v2, 32, v2
	v_subrev_nc_u32_e32 v3, 28, v2
	v_sub_nc_u32_e32 v2, 29, v2
	v_lshlrev_b64 v[3:4], v3, v[65:66]
	v_and_b32_e32 v65, 7, v3
; %bb.71:                               ;   in Loop: Header=BB219_10 Depth=1
	s_or_b32 exec_lo, exec_lo, s33
	v_mov_b32_e32 v3, 24
	v_lshl_add_u32 v2, v2, 23, 0x3c000000
	v_mov_b32_e32 v89, v66
	v_lshlrev_b32_sdwa v1, v3, v1 dst_sel:DWORD dst_unused:UNUSED_PAD src0_sel:DWORD src1_sel:BYTE_3
	v_lshlrev_b32_e32 v3, 20, v65
	v_and_b32_e32 v1, 0x80000000, v1
	v_or3_b32 v90, v3, v1, v2
.LBB219_72:                             ;   in Loop: Header=BB219_10 Depth=1
	s_or_b32 exec_lo, exec_lo, s31
.LBB219_73:                             ;   in Loop: Header=BB219_10 Depth=1
	s_or_b32 exec_lo, exec_lo, s30
.LBB219_74:                             ;   in Loop: Header=BB219_10 Depth=1
	s_or_b32 exec_lo, exec_lo, s29
	global_load_dword v1, v[91:92], off offset:8
	v_mov_b32_e32 v95, 0
	v_mov_b32_e32 v2, 0
	v_mov_b32_e32 v96, 0
	v_mov_b32_e32 v3, 0
	buffer_store_dword v2, off, s[36:39], 0 offset:56 ; 4-byte Folded Spill
	buffer_store_dword v3, off, s[36:39], 0 offset:60 ; 4-byte Folded Spill
	s_waitcnt vmcnt(0)
	v_cmp_ne_u16_sdwa s1, v1, v66 src0_sel:BYTE_0 src1_sel:DWORD
	s_and_saveexec_b32 s29, s1
	s_cbranch_execz .LBB219_82
; %bb.75:                               ;   in Loop: Header=BB219_10 Depth=1
	v_bfrev_b32_e32 v2, 1
	v_mov_b32_e32 v3, 0
	v_cmp_ne_u16_sdwa s1, v1, v85 src0_sel:BYTE_0 src1_sel:DWORD
	buffer_store_dword v2, off, s[36:39], 0 offset:56 ; 4-byte Folded Spill
	buffer_store_dword v3, off, s[36:39], 0 offset:60 ; 4-byte Folded Spill
	s_and_saveexec_b32 s30, s1
	s_cbranch_execz .LBB219_81
; %bb.76:                               ;   in Loop: Header=BB219_10 Depth=1
	v_mov_b32_e32 v4, 0x7f800001
	v_and_b32_e32 v3, 0x7f, v1
	v_mov_b32_e32 v5, 0
	s_mov_b32 s31, exec_lo
	buffer_store_dword v4, off, s[36:39], 0 offset:56 ; 4-byte Folded Spill
	buffer_store_dword v5, off, s[36:39], 0 offset:60 ; 4-byte Folded Spill
	v_cmpx_ne_u32_e32 0x7f, v3
	s_cbranch_execz .LBB219_80
; %bb.77:                               ;   in Loop: Header=BB219_10 Depth=1
	v_and_b32_e32 v65, 7, v1
	v_lshrrev_b32_e32 v2, 3, v3
	s_mov_b32 s33, exec_lo
	v_cmpx_gt_u32_e32 8, v3
; %bb.78:                               ;   in Loop: Header=BB219_10 Depth=1
	v_ffbh_u32_e32 v2, v65
	v_min_u32_e32 v2, 32, v2
	v_subrev_nc_u32_e32 v3, 28, v2
	v_sub_nc_u32_e32 v2, 29, v2
	v_lshlrev_b64 v[3:4], v3, v[65:66]
	v_and_b32_e32 v65, 7, v3
; %bb.79:                               ;   in Loop: Header=BB219_10 Depth=1
	s_or_b32 exec_lo, exec_lo, s33
	v_lshlrev_b32_e32 v3, 24, v1
	v_lshlrev_b32_e32 v4, 20, v65
	v_lshl_add_u32 v2, v2, 23, 0x3c000000
	v_and_b32_e32 v3, 0x80000000, v3
	v_or3_b32 v65, v4, v3, v2
	buffer_store_dword v65, off, s[36:39], 0 offset:56 ; 4-byte Folded Spill
	buffer_store_dword v66, off, s[36:39], 0 offset:60 ; 4-byte Folded Spill
.LBB219_80:                             ;   in Loop: Header=BB219_10 Depth=1
	s_or_b32 exec_lo, exec_lo, s31
.LBB219_81:                             ;   in Loop: Header=BB219_10 Depth=1
	s_or_b32 exec_lo, exec_lo, s30
.LBB219_82:                             ;   in Loop: Header=BB219_10 Depth=1
	s_or_b32 exec_lo, exec_lo, s29
	v_cmp_ne_u16_sdwa s1, v1, v66 src0_sel:BYTE_1 src1_sel:DWORD
	s_and_saveexec_b32 s29, s1
	s_cbranch_execz .LBB219_90
; %bb.83:                               ;   in Loop: Header=BB219_10 Depth=1
	v_mov_b32_e32 v81, v66
	v_mov_b32_e32 v96, v82
	v_cmp_ne_u16_sdwa s1, v1, v85 src0_sel:BYTE_1 src1_sel:DWORD
	v_mov_b32_e32 v95, v81
	s_and_saveexec_b32 s30, s1
	s_cbranch_execz .LBB219_89
; %bb.84:                               ;   in Loop: Header=BB219_10 Depth=1
	v_mov_b32_e32 v2, 0xffff
	v_mov_b32_e32 v57, v66
	;; [unrolled: 1-line block ×3, first 2 shown]
	s_mov_b32 s31, exec_lo
	v_and_b32_sdwa v2, v2, v1 dst_sel:DWORD dst_unused:UNUSED_PAD src0_sel:DWORD src1_sel:BYTE_1
	v_mov_b32_e32 v95, v57
	v_and_b32_e32 v3, 0x7f, v2
	v_cmpx_ne_u32_e32 0x7f, v3
	s_cbranch_execz .LBB219_88
; %bb.85:                               ;   in Loop: Header=BB219_10 Depth=1
	v_and_b32_e32 v65, 7, v2
	v_lshrrev_b32_e32 v2, 3, v3
	s_mov_b32 s33, exec_lo
	v_cmpx_gt_u32_e32 8, v3
; %bb.86:                               ;   in Loop: Header=BB219_10 Depth=1
	v_ffbh_u32_e32 v2, v65
	v_min_u32_e32 v2, 32, v2
	v_subrev_nc_u32_e32 v3, 28, v2
	v_sub_nc_u32_e32 v2, 29, v2
	v_lshlrev_b64 v[3:4], v3, v[65:66]
	v_and_b32_e32 v65, 7, v3
; %bb.87:                               ;   in Loop: Header=BB219_10 Depth=1
	s_or_b32 exec_lo, exec_lo, s33
	v_lshlrev_b32_e32 v3, 16, v1
	v_lshlrev_b32_e32 v4, 20, v65
	v_lshl_add_u32 v2, v2, 23, 0x3c000000
	v_mov_b32_e32 v95, v66
	v_and_b32_e32 v3, 0x80000000, v3
	v_or3_b32 v96, v4, v3, v2
.LBB219_88:                             ;   in Loop: Header=BB219_10 Depth=1
	s_or_b32 exec_lo, exec_lo, s31
.LBB219_89:                             ;   in Loop: Header=BB219_10 Depth=1
	s_or_b32 exec_lo, exec_lo, s30
.LBB219_90:                             ;   in Loop: Header=BB219_10 Depth=1
	s_or_b32 exec_lo, exec_lo, s29
	v_mov_b32_e32 v99, 0
	v_mov_b32_e32 v97, 0
	v_and_b32_sdwa v2, v1, v86 dst_sel:DWORD dst_unused:UNUSED_PAD src0_sel:WORD_1 src1_sel:DWORD
	v_mov_b32_e32 v100, 0
	v_mov_b32_e32 v98, 0
	s_mov_b32 s29, exec_lo
	v_cmpx_ne_u16_e32 0, v2
	s_cbranch_execz .LBB219_98
; %bb.91:                               ;   in Loop: Header=BB219_10 Depth=1
	v_bfrev_b32_e32 v97, 1
	v_mov_b32_e32 v98, 0
	s_mov_b32 s30, exec_lo
	v_cmpx_ne_u16_e32 0x80, v2
	s_cbranch_execz .LBB219_97
; %bb.92:                               ;   in Loop: Header=BB219_10 Depth=1
	v_mov_b32_e32 v97, 0x7f800001
	v_bfe_u32 v3, v1, 16, 7
	v_mov_b32_e32 v98, 0
	s_mov_b32 s31, exec_lo
	v_cmpx_ne_u32_e32 0x7f, v3
	s_cbranch_execz .LBB219_96
; %bb.93:                               ;   in Loop: Header=BB219_10 Depth=1
	v_mov_b32_e32 v2, 7
	s_mov_b32 s33, exec_lo
	v_and_b32_sdwa v65, v1, v2 dst_sel:DWORD dst_unused:UNUSED_PAD src0_sel:WORD_1 src1_sel:DWORD
	v_lshrrev_b32_e32 v2, 3, v3
	v_cmpx_gt_u32_e32 8, v3
; %bb.94:                               ;   in Loop: Header=BB219_10 Depth=1
	v_ffbh_u32_e32 v2, v65
	v_min_u32_e32 v2, 32, v2
	v_subrev_nc_u32_e32 v3, 28, v2
	v_sub_nc_u32_e32 v2, 29, v2
	v_lshlrev_b64 v[3:4], v3, v[65:66]
	v_and_b32_e32 v65, 7, v3
; %bb.95:                               ;   in Loop: Header=BB219_10 Depth=1
	s_or_b32 exec_lo, exec_lo, s33
	v_mov_b32_e32 v3, 24
	v_lshlrev_b32_e32 v4, 20, v65
	v_lshl_add_u32 v2, v2, 23, 0x3c000000
	v_lshlrev_b32_sdwa v3, v3, v1 dst_sel:DWORD dst_unused:UNUSED_PAD src0_sel:DWORD src1_sel:WORD_1
	v_and_b32_e32 v3, 0x80000000, v3
	v_or3_b32 v65, v4, v3, v2
	v_mov_b32_e32 v98, v66
	v_mov_b32_e32 v97, v65
.LBB219_96:                             ;   in Loop: Header=BB219_10 Depth=1
	s_or_b32 exec_lo, exec_lo, s31
.LBB219_97:                             ;   in Loop: Header=BB219_10 Depth=1
	s_or_b32 exec_lo, exec_lo, s30
.LBB219_98:                             ;   in Loop: Header=BB219_10 Depth=1
	s_or_b32 exec_lo, exec_lo, s29
	s_mov_b32 s29, exec_lo
	v_cmpx_lt_u32_e32 0xffffff, v1
	s_cbranch_execz .LBB219_106
; %bb.99:                               ;   in Loop: Header=BB219_10 Depth=1
	v_mov_b32_e32 v81, v66
	v_mov_b32_e32 v100, v82
	v_cmp_ne_u32_sdwa s1, v1, v85 src0_sel:BYTE_3 src1_sel:DWORD
	v_mov_b32_e32 v99, v81
	s_and_saveexec_b32 s30, s1
	s_cbranch_execz .LBB219_105
; %bb.100:                              ;   in Loop: Header=BB219_10 Depth=1
	v_mov_b32_e32 v57, v66
	v_mov_b32_e32 v100, v58
	v_bfe_u32 v3, v1, 24, 7
	s_mov_b32 s31, exec_lo
	v_mov_b32_e32 v99, v57
	v_cmpx_ne_u32_e32 0x7f, v3
	s_cbranch_execz .LBB219_104
; %bb.101:                              ;   in Loop: Header=BB219_10 Depth=1
	v_mov_b32_e32 v2, 7
	s_mov_b32 s33, exec_lo
	v_and_b32_sdwa v65, v1, v2 dst_sel:DWORD dst_unused:UNUSED_PAD src0_sel:BYTE_3 src1_sel:DWORD
	v_lshrrev_b32_e32 v2, 3, v3
	v_cmpx_gt_u32_e32 8, v3
; %bb.102:                              ;   in Loop: Header=BB219_10 Depth=1
	v_ffbh_u32_e32 v2, v65
	v_min_u32_e32 v2, 32, v2
	v_subrev_nc_u32_e32 v3, 28, v2
	v_sub_nc_u32_e32 v2, 29, v2
	v_lshlrev_b64 v[3:4], v3, v[65:66]
	v_and_b32_e32 v65, 7, v3
; %bb.103:                              ;   in Loop: Header=BB219_10 Depth=1
	s_or_b32 exec_lo, exec_lo, s33
	v_mov_b32_e32 v3, 24
	v_lshl_add_u32 v2, v2, 23, 0x3c000000
	v_mov_b32_e32 v99, v66
	v_lshlrev_b32_sdwa v1, v3, v1 dst_sel:DWORD dst_unused:UNUSED_PAD src0_sel:DWORD src1_sel:BYTE_3
	v_lshlrev_b32_e32 v3, 20, v65
	v_and_b32_e32 v1, 0x80000000, v1
	v_or3_b32 v100, v3, v1, v2
.LBB219_104:                            ;   in Loop: Header=BB219_10 Depth=1
	s_or_b32 exec_lo, exec_lo, s31
.LBB219_105:                            ;   in Loop: Header=BB219_10 Depth=1
	s_or_b32 exec_lo, exec_lo, s30
.LBB219_106:                            ;   in Loop: Header=BB219_10 Depth=1
	s_or_b32 exec_lo, exec_lo, s29
	global_load_dword v1, v[91:92], off offset:12
	v_mov_b32_e32 v103, 0
	v_mov_b32_e32 v101, 0
	;; [unrolled: 1-line block ×4, first 2 shown]
	s_waitcnt vmcnt(0)
	v_cmp_ne_u16_sdwa s1, v1, v66 src0_sel:BYTE_0 src1_sel:DWORD
	s_and_saveexec_b32 s29, s1
	s_cbranch_execz .LBB219_114
; %bb.107:                              ;   in Loop: Header=BB219_10 Depth=1
	v_bfrev_b32_e32 v101, 1
	v_mov_b32_e32 v102, 0
	v_cmp_ne_u16_sdwa s1, v1, v85 src0_sel:BYTE_0 src1_sel:DWORD
	s_and_saveexec_b32 s30, s1
	s_cbranch_execz .LBB219_113
; %bb.108:                              ;   in Loop: Header=BB219_10 Depth=1
	v_mov_b32_e32 v101, 0x7f800001
	v_and_b32_e32 v3, 0x7f, v1
	v_mov_b32_e32 v102, 0
	s_mov_b32 s31, exec_lo
	v_cmpx_ne_u32_e32 0x7f, v3
	s_cbranch_execz .LBB219_112
; %bb.109:                              ;   in Loop: Header=BB219_10 Depth=1
	v_and_b32_e32 v65, 7, v1
	v_lshrrev_b32_e32 v2, 3, v3
	s_mov_b32 s33, exec_lo
	v_cmpx_gt_u32_e32 8, v3
; %bb.110:                              ;   in Loop: Header=BB219_10 Depth=1
	v_ffbh_u32_e32 v2, v65
	v_min_u32_e32 v2, 32, v2
	v_subrev_nc_u32_e32 v3, 28, v2
	v_sub_nc_u32_e32 v2, 29, v2
	v_lshlrev_b64 v[3:4], v3, v[65:66]
	v_and_b32_e32 v65, 7, v3
; %bb.111:                              ;   in Loop: Header=BB219_10 Depth=1
	s_or_b32 exec_lo, exec_lo, s33
	v_lshlrev_b32_e32 v3, 24, v1
	v_lshlrev_b32_e32 v4, 20, v65
	v_lshl_add_u32 v2, v2, 23, 0x3c000000
	v_and_b32_e32 v3, 0x80000000, v3
	v_or3_b32 v65, v4, v3, v2
	v_mov_b32_e32 v102, v66
	v_mov_b32_e32 v101, v65
.LBB219_112:                            ;   in Loop: Header=BB219_10 Depth=1
	s_or_b32 exec_lo, exec_lo, s31
.LBB219_113:                            ;   in Loop: Header=BB219_10 Depth=1
	s_or_b32 exec_lo, exec_lo, s30
.LBB219_114:                            ;   in Loop: Header=BB219_10 Depth=1
	s_or_b32 exec_lo, exec_lo, s29
	v_cmp_ne_u16_sdwa s1, v1, v66 src0_sel:BYTE_1 src1_sel:DWORD
	s_and_saveexec_b32 s29, s1
	s_cbranch_execz .LBB219_122
; %bb.115:                              ;   in Loop: Header=BB219_10 Depth=1
	v_mov_b32_e32 v81, v66
	v_mov_b32_e32 v104, v82
	v_cmp_ne_u16_sdwa s1, v1, v85 src0_sel:BYTE_1 src1_sel:DWORD
	v_mov_b32_e32 v103, v81
	s_and_saveexec_b32 s30, s1
	s_cbranch_execz .LBB219_121
; %bb.116:                              ;   in Loop: Header=BB219_10 Depth=1
	v_mov_b32_e32 v2, 0xffff
	v_mov_b32_e32 v57, v66
	;; [unrolled: 1-line block ×3, first 2 shown]
	s_mov_b32 s31, exec_lo
	v_and_b32_sdwa v2, v2, v1 dst_sel:DWORD dst_unused:UNUSED_PAD src0_sel:DWORD src1_sel:BYTE_1
	v_mov_b32_e32 v103, v57
	v_and_b32_e32 v3, 0x7f, v2
	v_cmpx_ne_u32_e32 0x7f, v3
	s_cbranch_execz .LBB219_120
; %bb.117:                              ;   in Loop: Header=BB219_10 Depth=1
	v_and_b32_e32 v65, 7, v2
	v_lshrrev_b32_e32 v2, 3, v3
	s_mov_b32 s33, exec_lo
	v_cmpx_gt_u32_e32 8, v3
; %bb.118:                              ;   in Loop: Header=BB219_10 Depth=1
	v_ffbh_u32_e32 v2, v65
	v_min_u32_e32 v2, 32, v2
	v_subrev_nc_u32_e32 v3, 28, v2
	v_sub_nc_u32_e32 v2, 29, v2
	v_lshlrev_b64 v[3:4], v3, v[65:66]
	v_and_b32_e32 v65, 7, v3
; %bb.119:                              ;   in Loop: Header=BB219_10 Depth=1
	s_or_b32 exec_lo, exec_lo, s33
	v_lshlrev_b32_e32 v3, 16, v1
	v_lshlrev_b32_e32 v4, 20, v65
	v_lshl_add_u32 v2, v2, 23, 0x3c000000
	v_mov_b32_e32 v103, v66
	v_and_b32_e32 v3, 0x80000000, v3
	v_or3_b32 v104, v4, v3, v2
.LBB219_120:                            ;   in Loop: Header=BB219_10 Depth=1
	s_or_b32 exec_lo, exec_lo, s31
.LBB219_121:                            ;   in Loop: Header=BB219_10 Depth=1
	s_or_b32 exec_lo, exec_lo, s30
.LBB219_122:                            ;   in Loop: Header=BB219_10 Depth=1
	s_or_b32 exec_lo, exec_lo, s29
	v_mov_b32_e32 v107, 0
	v_mov_b32_e32 v105, 0
	v_and_b32_sdwa v2, v1, v86 dst_sel:DWORD dst_unused:UNUSED_PAD src0_sel:WORD_1 src1_sel:DWORD
	v_mov_b32_e32 v108, 0
	v_mov_b32_e32 v106, 0
	s_mov_b32 s29, exec_lo
	v_cmpx_ne_u16_e32 0, v2
	s_cbranch_execz .LBB219_130
; %bb.123:                              ;   in Loop: Header=BB219_10 Depth=1
	v_bfrev_b32_e32 v105, 1
	v_mov_b32_e32 v106, 0
	s_mov_b32 s30, exec_lo
	v_cmpx_ne_u16_e32 0x80, v2
	s_cbranch_execz .LBB219_129
; %bb.124:                              ;   in Loop: Header=BB219_10 Depth=1
	v_mov_b32_e32 v105, 0x7f800001
	v_bfe_u32 v3, v1, 16, 7
	v_mov_b32_e32 v106, 0
	s_mov_b32 s31, exec_lo
	v_cmpx_ne_u32_e32 0x7f, v3
	s_cbranch_execz .LBB219_128
; %bb.125:                              ;   in Loop: Header=BB219_10 Depth=1
	v_mov_b32_e32 v2, 7
	s_mov_b32 s33, exec_lo
	v_and_b32_sdwa v65, v1, v2 dst_sel:DWORD dst_unused:UNUSED_PAD src0_sel:WORD_1 src1_sel:DWORD
	v_lshrrev_b32_e32 v2, 3, v3
	v_cmpx_gt_u32_e32 8, v3
; %bb.126:                              ;   in Loop: Header=BB219_10 Depth=1
	v_ffbh_u32_e32 v2, v65
	v_min_u32_e32 v2, 32, v2
	v_subrev_nc_u32_e32 v3, 28, v2
	v_sub_nc_u32_e32 v2, 29, v2
	v_lshlrev_b64 v[3:4], v3, v[65:66]
	v_and_b32_e32 v65, 7, v3
; %bb.127:                              ;   in Loop: Header=BB219_10 Depth=1
	s_or_b32 exec_lo, exec_lo, s33
	v_mov_b32_e32 v3, 24
	v_lshlrev_b32_e32 v4, 20, v65
	v_lshl_add_u32 v2, v2, 23, 0x3c000000
	v_lshlrev_b32_sdwa v3, v3, v1 dst_sel:DWORD dst_unused:UNUSED_PAD src0_sel:DWORD src1_sel:WORD_1
	v_and_b32_e32 v3, 0x80000000, v3
	v_or3_b32 v65, v4, v3, v2
	v_mov_b32_e32 v106, v66
	v_mov_b32_e32 v105, v65
.LBB219_128:                            ;   in Loop: Header=BB219_10 Depth=1
	s_or_b32 exec_lo, exec_lo, s31
.LBB219_129:                            ;   in Loop: Header=BB219_10 Depth=1
	s_or_b32 exec_lo, exec_lo, s30
.LBB219_130:                            ;   in Loop: Header=BB219_10 Depth=1
	s_or_b32 exec_lo, exec_lo, s29
	s_mov_b32 s29, exec_lo
	v_cmpx_lt_u32_e32 0xffffff, v1
	s_cbranch_execz .LBB219_138
; %bb.131:                              ;   in Loop: Header=BB219_10 Depth=1
	v_mov_b32_e32 v81, v66
	v_mov_b32_e32 v108, v82
	v_cmp_ne_u32_sdwa s1, v1, v85 src0_sel:BYTE_3 src1_sel:DWORD
	v_mov_b32_e32 v107, v81
	s_and_saveexec_b32 s30, s1
	s_cbranch_execz .LBB219_137
; %bb.132:                              ;   in Loop: Header=BB219_10 Depth=1
	v_mov_b32_e32 v57, v66
	v_mov_b32_e32 v108, v58
	v_bfe_u32 v3, v1, 24, 7
	s_mov_b32 s31, exec_lo
	v_mov_b32_e32 v107, v57
	v_cmpx_ne_u32_e32 0x7f, v3
	s_cbranch_execz .LBB219_136
; %bb.133:                              ;   in Loop: Header=BB219_10 Depth=1
	v_mov_b32_e32 v2, 7
	s_mov_b32 s33, exec_lo
	v_and_b32_sdwa v65, v1, v2 dst_sel:DWORD dst_unused:UNUSED_PAD src0_sel:BYTE_3 src1_sel:DWORD
	v_lshrrev_b32_e32 v2, 3, v3
	v_cmpx_gt_u32_e32 8, v3
; %bb.134:                              ;   in Loop: Header=BB219_10 Depth=1
	v_ffbh_u32_e32 v2, v65
	v_min_u32_e32 v2, 32, v2
	v_subrev_nc_u32_e32 v3, 28, v2
	v_sub_nc_u32_e32 v2, 29, v2
	v_lshlrev_b64 v[3:4], v3, v[65:66]
	v_and_b32_e32 v65, 7, v3
; %bb.135:                              ;   in Loop: Header=BB219_10 Depth=1
	s_or_b32 exec_lo, exec_lo, s33
	v_mov_b32_e32 v3, 24
	v_lshl_add_u32 v2, v2, 23, 0x3c000000
	v_mov_b32_e32 v107, v66
	v_lshlrev_b32_sdwa v1, v3, v1 dst_sel:DWORD dst_unused:UNUSED_PAD src0_sel:DWORD src1_sel:BYTE_3
	v_lshlrev_b32_e32 v3, 20, v65
	v_and_b32_e32 v1, 0x80000000, v1
	v_or3_b32 v108, v3, v1, v2
.LBB219_136:                            ;   in Loop: Header=BB219_10 Depth=1
	s_or_b32 exec_lo, exec_lo, s31
.LBB219_137:                            ;   in Loop: Header=BB219_10 Depth=1
	s_or_b32 exec_lo, exec_lo, s30
.LBB219_138:                            ;   in Loop: Header=BB219_10 Depth=1
	s_or_b32 exec_lo, exec_lo, s29
	global_load_dword v1, v[91:92], off offset:512
	v_mov_b32_e32 v111, 0
	v_mov_b32_e32 v109, 0
	;; [unrolled: 1-line block ×4, first 2 shown]
	s_waitcnt vmcnt(0)
	v_cmp_ne_u16_sdwa s1, v1, v66 src0_sel:BYTE_0 src1_sel:DWORD
	s_and_saveexec_b32 s29, s1
	s_cbranch_execz .LBB219_146
; %bb.139:                              ;   in Loop: Header=BB219_10 Depth=1
	v_bfrev_b32_e32 v109, 1
	v_mov_b32_e32 v110, 0
	v_cmp_ne_u16_sdwa s1, v1, v85 src0_sel:BYTE_0 src1_sel:DWORD
	s_and_saveexec_b32 s30, s1
	s_cbranch_execz .LBB219_145
; %bb.140:                              ;   in Loop: Header=BB219_10 Depth=1
	v_mov_b32_e32 v109, 0x7f800001
	v_and_b32_e32 v3, 0x7f, v1
	v_mov_b32_e32 v110, 0
	s_mov_b32 s31, exec_lo
	v_cmpx_ne_u32_e32 0x7f, v3
	s_cbranch_execz .LBB219_144
; %bb.141:                              ;   in Loop: Header=BB219_10 Depth=1
	v_and_b32_e32 v65, 7, v1
	v_lshrrev_b32_e32 v2, 3, v3
	s_mov_b32 s33, exec_lo
	v_cmpx_gt_u32_e32 8, v3
; %bb.142:                              ;   in Loop: Header=BB219_10 Depth=1
	v_ffbh_u32_e32 v2, v65
	v_min_u32_e32 v2, 32, v2
	v_subrev_nc_u32_e32 v3, 28, v2
	v_sub_nc_u32_e32 v2, 29, v2
	v_lshlrev_b64 v[3:4], v3, v[65:66]
	v_and_b32_e32 v65, 7, v3
; %bb.143:                              ;   in Loop: Header=BB219_10 Depth=1
	s_or_b32 exec_lo, exec_lo, s33
	v_lshlrev_b32_e32 v3, 24, v1
	v_lshlrev_b32_e32 v4, 20, v65
	v_lshl_add_u32 v2, v2, 23, 0x3c000000
	v_and_b32_e32 v3, 0x80000000, v3
	v_or3_b32 v65, v4, v3, v2
	v_mov_b32_e32 v110, v66
	v_mov_b32_e32 v109, v65
.LBB219_144:                            ;   in Loop: Header=BB219_10 Depth=1
	s_or_b32 exec_lo, exec_lo, s31
.LBB219_145:                            ;   in Loop: Header=BB219_10 Depth=1
	s_or_b32 exec_lo, exec_lo, s30
.LBB219_146:                            ;   in Loop: Header=BB219_10 Depth=1
	s_or_b32 exec_lo, exec_lo, s29
	v_cmp_ne_u16_sdwa s1, v1, v66 src0_sel:BYTE_1 src1_sel:DWORD
	s_and_saveexec_b32 s29, s1
	s_cbranch_execz .LBB219_154
; %bb.147:                              ;   in Loop: Header=BB219_10 Depth=1
	v_mov_b32_e32 v81, v66
	v_mov_b32_e32 v112, v82
	v_cmp_ne_u16_sdwa s1, v1, v85 src0_sel:BYTE_1 src1_sel:DWORD
	v_mov_b32_e32 v111, v81
	s_and_saveexec_b32 s30, s1
	s_cbranch_execz .LBB219_153
; %bb.148:                              ;   in Loop: Header=BB219_10 Depth=1
	v_mov_b32_e32 v2, 0xffff
	v_mov_b32_e32 v57, v66
	;; [unrolled: 1-line block ×3, first 2 shown]
	s_mov_b32 s31, exec_lo
	v_and_b32_sdwa v2, v2, v1 dst_sel:DWORD dst_unused:UNUSED_PAD src0_sel:DWORD src1_sel:BYTE_1
	v_mov_b32_e32 v111, v57
	v_and_b32_e32 v3, 0x7f, v2
	v_cmpx_ne_u32_e32 0x7f, v3
	s_cbranch_execz .LBB219_152
; %bb.149:                              ;   in Loop: Header=BB219_10 Depth=1
	v_and_b32_e32 v65, 7, v2
	v_lshrrev_b32_e32 v2, 3, v3
	s_mov_b32 s33, exec_lo
	v_cmpx_gt_u32_e32 8, v3
; %bb.150:                              ;   in Loop: Header=BB219_10 Depth=1
	v_ffbh_u32_e32 v2, v65
	v_min_u32_e32 v2, 32, v2
	v_subrev_nc_u32_e32 v3, 28, v2
	v_sub_nc_u32_e32 v2, 29, v2
	v_lshlrev_b64 v[3:4], v3, v[65:66]
	v_and_b32_e32 v65, 7, v3
; %bb.151:                              ;   in Loop: Header=BB219_10 Depth=1
	s_or_b32 exec_lo, exec_lo, s33
	v_lshlrev_b32_e32 v3, 16, v1
	v_lshlrev_b32_e32 v4, 20, v65
	v_lshl_add_u32 v2, v2, 23, 0x3c000000
	v_mov_b32_e32 v111, v66
	v_and_b32_e32 v3, 0x80000000, v3
	v_or3_b32 v112, v4, v3, v2
.LBB219_152:                            ;   in Loop: Header=BB219_10 Depth=1
	s_or_b32 exec_lo, exec_lo, s31
.LBB219_153:                            ;   in Loop: Header=BB219_10 Depth=1
	s_or_b32 exec_lo, exec_lo, s30
.LBB219_154:                            ;   in Loop: Header=BB219_10 Depth=1
	s_or_b32 exec_lo, exec_lo, s29
	v_mov_b32_e32 v113, 0
	v_mov_b32_e32 v115, 0
	v_and_b32_sdwa v2, v1, v86 dst_sel:DWORD dst_unused:UNUSED_PAD src0_sel:WORD_1 src1_sel:DWORD
	v_mov_b32_e32 v114, 0
	v_mov_b32_e32 v116, 0
	s_mov_b32 s29, exec_lo
	v_cmpx_ne_u16_e32 0, v2
	s_cbranch_execz .LBB219_162
; %bb.155:                              ;   in Loop: Header=BB219_10 Depth=1
	v_bfrev_b32_e32 v115, 1
	v_mov_b32_e32 v116, 0
	s_mov_b32 s30, exec_lo
	v_cmpx_ne_u16_e32 0x80, v2
	s_cbranch_execz .LBB219_161
; %bb.156:                              ;   in Loop: Header=BB219_10 Depth=1
	v_mov_b32_e32 v115, 0x7f800001
	v_bfe_u32 v3, v1, 16, 7
	v_mov_b32_e32 v116, 0
	s_mov_b32 s31, exec_lo
	v_cmpx_ne_u32_e32 0x7f, v3
	s_cbranch_execz .LBB219_160
; %bb.157:                              ;   in Loop: Header=BB219_10 Depth=1
	v_mov_b32_e32 v2, 7
	s_mov_b32 s33, exec_lo
	v_and_b32_sdwa v65, v1, v2 dst_sel:DWORD dst_unused:UNUSED_PAD src0_sel:WORD_1 src1_sel:DWORD
	v_lshrrev_b32_e32 v2, 3, v3
	v_cmpx_gt_u32_e32 8, v3
; %bb.158:                              ;   in Loop: Header=BB219_10 Depth=1
	v_ffbh_u32_e32 v2, v65
	v_min_u32_e32 v2, 32, v2
	v_subrev_nc_u32_e32 v3, 28, v2
	v_sub_nc_u32_e32 v2, 29, v2
	v_lshlrev_b64 v[3:4], v3, v[65:66]
	v_and_b32_e32 v65, 7, v3
; %bb.159:                              ;   in Loop: Header=BB219_10 Depth=1
	s_or_b32 exec_lo, exec_lo, s33
	v_mov_b32_e32 v3, 24
	v_lshlrev_b32_e32 v4, 20, v65
	v_lshl_add_u32 v2, v2, 23, 0x3c000000
	v_lshlrev_b32_sdwa v3, v3, v1 dst_sel:DWORD dst_unused:UNUSED_PAD src0_sel:DWORD src1_sel:WORD_1
	v_and_b32_e32 v3, 0x80000000, v3
	v_or3_b32 v65, v4, v3, v2
	v_mov_b32_e32 v116, v66
	v_mov_b32_e32 v115, v65
.LBB219_160:                            ;   in Loop: Header=BB219_10 Depth=1
	s_or_b32 exec_lo, exec_lo, s31
.LBB219_161:                            ;   in Loop: Header=BB219_10 Depth=1
	s_or_b32 exec_lo, exec_lo, s30
.LBB219_162:                            ;   in Loop: Header=BB219_10 Depth=1
	s_or_b32 exec_lo, exec_lo, s29
	s_mov_b32 s29, exec_lo
	v_cmpx_lt_u32_e32 0xffffff, v1
	s_cbranch_execz .LBB219_170
; %bb.163:                              ;   in Loop: Header=BB219_10 Depth=1
	v_mov_b32_e32 v81, v66
	v_mov_b32_e32 v114, v82
	v_cmp_ne_u32_sdwa s1, v1, v85 src0_sel:BYTE_3 src1_sel:DWORD
	v_mov_b32_e32 v113, v81
	s_and_saveexec_b32 s30, s1
	s_cbranch_execz .LBB219_169
; %bb.164:                              ;   in Loop: Header=BB219_10 Depth=1
	v_mov_b32_e32 v57, v66
	v_mov_b32_e32 v114, v58
	v_bfe_u32 v3, v1, 24, 7
	s_mov_b32 s31, exec_lo
	v_mov_b32_e32 v113, v57
	v_cmpx_ne_u32_e32 0x7f, v3
	s_cbranch_execz .LBB219_168
; %bb.165:                              ;   in Loop: Header=BB219_10 Depth=1
	v_mov_b32_e32 v2, 7
	s_mov_b32 s33, exec_lo
	v_and_b32_sdwa v65, v1, v2 dst_sel:DWORD dst_unused:UNUSED_PAD src0_sel:BYTE_3 src1_sel:DWORD
	v_lshrrev_b32_e32 v2, 3, v3
	v_cmpx_gt_u32_e32 8, v3
; %bb.166:                              ;   in Loop: Header=BB219_10 Depth=1
	v_ffbh_u32_e32 v2, v65
	v_min_u32_e32 v2, 32, v2
	v_subrev_nc_u32_e32 v3, 28, v2
	v_sub_nc_u32_e32 v2, 29, v2
	v_lshlrev_b64 v[3:4], v3, v[65:66]
	v_and_b32_e32 v65, 7, v3
; %bb.167:                              ;   in Loop: Header=BB219_10 Depth=1
	s_or_b32 exec_lo, exec_lo, s33
	v_mov_b32_e32 v3, 24
	v_lshl_add_u32 v2, v2, 23, 0x3c000000
	v_mov_b32_e32 v113, v66
	v_lshlrev_b32_sdwa v1, v3, v1 dst_sel:DWORD dst_unused:UNUSED_PAD src0_sel:DWORD src1_sel:BYTE_3
	v_lshlrev_b32_e32 v3, 20, v65
	v_and_b32_e32 v1, 0x80000000, v1
	v_or3_b32 v114, v3, v1, v2
.LBB219_168:                            ;   in Loop: Header=BB219_10 Depth=1
	s_or_b32 exec_lo, exec_lo, s31
.LBB219_169:                            ;   in Loop: Header=BB219_10 Depth=1
	s_or_b32 exec_lo, exec_lo, s30
.LBB219_170:                            ;   in Loop: Header=BB219_10 Depth=1
	s_or_b32 exec_lo, exec_lo, s29
	global_load_dword v1, v[91:92], off offset:516
	v_mov_b32_e32 v119, 0
	v_mov_b32_e32 v117, 0
	;; [unrolled: 1-line block ×4, first 2 shown]
	s_waitcnt vmcnt(0)
	v_cmp_ne_u16_sdwa s1, v1, v66 src0_sel:BYTE_0 src1_sel:DWORD
	s_and_saveexec_b32 s29, s1
	s_cbranch_execz .LBB219_178
; %bb.171:                              ;   in Loop: Header=BB219_10 Depth=1
	v_bfrev_b32_e32 v117, 1
	v_mov_b32_e32 v118, 0
	v_cmp_ne_u16_sdwa s1, v1, v85 src0_sel:BYTE_0 src1_sel:DWORD
	s_and_saveexec_b32 s30, s1
	s_cbranch_execz .LBB219_177
; %bb.172:                              ;   in Loop: Header=BB219_10 Depth=1
	v_mov_b32_e32 v117, 0x7f800001
	v_and_b32_e32 v3, 0x7f, v1
	v_mov_b32_e32 v118, 0
	s_mov_b32 s31, exec_lo
	v_cmpx_ne_u32_e32 0x7f, v3
	s_cbranch_execz .LBB219_176
; %bb.173:                              ;   in Loop: Header=BB219_10 Depth=1
	v_and_b32_e32 v65, 7, v1
	v_lshrrev_b32_e32 v2, 3, v3
	s_mov_b32 s33, exec_lo
	v_cmpx_gt_u32_e32 8, v3
; %bb.174:                              ;   in Loop: Header=BB219_10 Depth=1
	v_ffbh_u32_e32 v2, v65
	v_min_u32_e32 v2, 32, v2
	v_subrev_nc_u32_e32 v3, 28, v2
	v_sub_nc_u32_e32 v2, 29, v2
	v_lshlrev_b64 v[3:4], v3, v[65:66]
	v_and_b32_e32 v65, 7, v3
; %bb.175:                              ;   in Loop: Header=BB219_10 Depth=1
	s_or_b32 exec_lo, exec_lo, s33
	v_lshlrev_b32_e32 v3, 24, v1
	v_lshlrev_b32_e32 v4, 20, v65
	v_lshl_add_u32 v2, v2, 23, 0x3c000000
	v_and_b32_e32 v3, 0x80000000, v3
	v_or3_b32 v65, v4, v3, v2
	v_mov_b32_e32 v118, v66
	v_mov_b32_e32 v117, v65
.LBB219_176:                            ;   in Loop: Header=BB219_10 Depth=1
	s_or_b32 exec_lo, exec_lo, s31
.LBB219_177:                            ;   in Loop: Header=BB219_10 Depth=1
	s_or_b32 exec_lo, exec_lo, s30
.LBB219_178:                            ;   in Loop: Header=BB219_10 Depth=1
	s_or_b32 exec_lo, exec_lo, s29
	v_cmp_ne_u16_sdwa s1, v1, v66 src0_sel:BYTE_1 src1_sel:DWORD
	s_and_saveexec_b32 s29, s1
	s_cbranch_execz .LBB219_186
; %bb.179:                              ;   in Loop: Header=BB219_10 Depth=1
	v_mov_b32_e32 v81, v66
	v_mov_b32_e32 v120, v82
	v_cmp_ne_u16_sdwa s1, v1, v85 src0_sel:BYTE_1 src1_sel:DWORD
	v_mov_b32_e32 v119, v81
	s_and_saveexec_b32 s30, s1
	s_cbranch_execz .LBB219_185
; %bb.180:                              ;   in Loop: Header=BB219_10 Depth=1
	v_mov_b32_e32 v2, 0xffff
	v_mov_b32_e32 v57, v66
	;; [unrolled: 1-line block ×3, first 2 shown]
	s_mov_b32 s31, exec_lo
	v_and_b32_sdwa v2, v2, v1 dst_sel:DWORD dst_unused:UNUSED_PAD src0_sel:DWORD src1_sel:BYTE_1
	v_mov_b32_e32 v119, v57
	v_and_b32_e32 v3, 0x7f, v2
	v_cmpx_ne_u32_e32 0x7f, v3
	s_cbranch_execz .LBB219_184
; %bb.181:                              ;   in Loop: Header=BB219_10 Depth=1
	v_and_b32_e32 v65, 7, v2
	v_lshrrev_b32_e32 v2, 3, v3
	s_mov_b32 s33, exec_lo
	v_cmpx_gt_u32_e32 8, v3
; %bb.182:                              ;   in Loop: Header=BB219_10 Depth=1
	v_ffbh_u32_e32 v2, v65
	v_min_u32_e32 v2, 32, v2
	v_subrev_nc_u32_e32 v3, 28, v2
	v_sub_nc_u32_e32 v2, 29, v2
	v_lshlrev_b64 v[3:4], v3, v[65:66]
	v_and_b32_e32 v65, 7, v3
; %bb.183:                              ;   in Loop: Header=BB219_10 Depth=1
	s_or_b32 exec_lo, exec_lo, s33
	v_lshlrev_b32_e32 v3, 16, v1
	v_lshlrev_b32_e32 v4, 20, v65
	v_lshl_add_u32 v2, v2, 23, 0x3c000000
	v_mov_b32_e32 v119, v66
	v_and_b32_e32 v3, 0x80000000, v3
	v_or3_b32 v120, v4, v3, v2
.LBB219_184:                            ;   in Loop: Header=BB219_10 Depth=1
	s_or_b32 exec_lo, exec_lo, s31
.LBB219_185:                            ;   in Loop: Header=BB219_10 Depth=1
	s_or_b32 exec_lo, exec_lo, s30
.LBB219_186:                            ;   in Loop: Header=BB219_10 Depth=1
	s_or_b32 exec_lo, exec_lo, s29
	v_mov_b32_e32 v121, 0
	v_mov_b32_e32 v123, 0
	v_and_b32_sdwa v2, v1, v86 dst_sel:DWORD dst_unused:UNUSED_PAD src0_sel:WORD_1 src1_sel:DWORD
	v_mov_b32_e32 v122, 0
	v_mov_b32_e32 v124, 0
	s_mov_b32 s29, exec_lo
	v_cmpx_ne_u16_e32 0, v2
	s_cbranch_execz .LBB219_194
; %bb.187:                              ;   in Loop: Header=BB219_10 Depth=1
	v_bfrev_b32_e32 v123, 1
	v_mov_b32_e32 v124, 0
	s_mov_b32 s30, exec_lo
	v_cmpx_ne_u16_e32 0x80, v2
	s_cbranch_execz .LBB219_193
; %bb.188:                              ;   in Loop: Header=BB219_10 Depth=1
	v_mov_b32_e32 v123, 0x7f800001
	v_bfe_u32 v3, v1, 16, 7
	v_mov_b32_e32 v124, 0
	s_mov_b32 s31, exec_lo
	v_cmpx_ne_u32_e32 0x7f, v3
	s_cbranch_execz .LBB219_192
; %bb.189:                              ;   in Loop: Header=BB219_10 Depth=1
	v_mov_b32_e32 v2, 7
	s_mov_b32 s33, exec_lo
	v_and_b32_sdwa v65, v1, v2 dst_sel:DWORD dst_unused:UNUSED_PAD src0_sel:WORD_1 src1_sel:DWORD
	v_lshrrev_b32_e32 v2, 3, v3
	v_cmpx_gt_u32_e32 8, v3
; %bb.190:                              ;   in Loop: Header=BB219_10 Depth=1
	v_ffbh_u32_e32 v2, v65
	v_min_u32_e32 v2, 32, v2
	v_subrev_nc_u32_e32 v3, 28, v2
	v_sub_nc_u32_e32 v2, 29, v2
	v_lshlrev_b64 v[3:4], v3, v[65:66]
	v_and_b32_e32 v65, 7, v3
; %bb.191:                              ;   in Loop: Header=BB219_10 Depth=1
	s_or_b32 exec_lo, exec_lo, s33
	v_mov_b32_e32 v3, 24
	v_lshlrev_b32_e32 v4, 20, v65
	v_lshl_add_u32 v2, v2, 23, 0x3c000000
	v_lshlrev_b32_sdwa v3, v3, v1 dst_sel:DWORD dst_unused:UNUSED_PAD src0_sel:DWORD src1_sel:WORD_1
	v_and_b32_e32 v3, 0x80000000, v3
	v_or3_b32 v65, v4, v3, v2
	v_mov_b32_e32 v124, v66
	v_mov_b32_e32 v123, v65
.LBB219_192:                            ;   in Loop: Header=BB219_10 Depth=1
	s_or_b32 exec_lo, exec_lo, s31
.LBB219_193:                            ;   in Loop: Header=BB219_10 Depth=1
	s_or_b32 exec_lo, exec_lo, s30
.LBB219_194:                            ;   in Loop: Header=BB219_10 Depth=1
	s_or_b32 exec_lo, exec_lo, s29
	s_mov_b32 s29, exec_lo
	v_cmpx_lt_u32_e32 0xffffff, v1
	s_cbranch_execz .LBB219_202
; %bb.195:                              ;   in Loop: Header=BB219_10 Depth=1
	v_mov_b32_e32 v81, v66
	v_mov_b32_e32 v122, v82
	v_cmp_ne_u32_sdwa s1, v1, v85 src0_sel:BYTE_3 src1_sel:DWORD
	v_mov_b32_e32 v121, v81
	s_and_saveexec_b32 s30, s1
	s_cbranch_execz .LBB219_201
; %bb.196:                              ;   in Loop: Header=BB219_10 Depth=1
	v_mov_b32_e32 v57, v66
	v_mov_b32_e32 v122, v58
	v_bfe_u32 v3, v1, 24, 7
	s_mov_b32 s31, exec_lo
	v_mov_b32_e32 v121, v57
	v_cmpx_ne_u32_e32 0x7f, v3
	s_cbranch_execz .LBB219_200
; %bb.197:                              ;   in Loop: Header=BB219_10 Depth=1
	v_mov_b32_e32 v2, 7
	s_mov_b32 s33, exec_lo
	v_and_b32_sdwa v65, v1, v2 dst_sel:DWORD dst_unused:UNUSED_PAD src0_sel:BYTE_3 src1_sel:DWORD
	v_lshrrev_b32_e32 v2, 3, v3
	v_cmpx_gt_u32_e32 8, v3
; %bb.198:                              ;   in Loop: Header=BB219_10 Depth=1
	v_ffbh_u32_e32 v2, v65
	v_min_u32_e32 v2, 32, v2
	v_subrev_nc_u32_e32 v3, 28, v2
	v_sub_nc_u32_e32 v2, 29, v2
	v_lshlrev_b64 v[3:4], v3, v[65:66]
	v_and_b32_e32 v65, 7, v3
; %bb.199:                              ;   in Loop: Header=BB219_10 Depth=1
	s_or_b32 exec_lo, exec_lo, s33
	v_mov_b32_e32 v3, 24
	v_lshl_add_u32 v2, v2, 23, 0x3c000000
	v_mov_b32_e32 v121, v66
	v_lshlrev_b32_sdwa v1, v3, v1 dst_sel:DWORD dst_unused:UNUSED_PAD src0_sel:DWORD src1_sel:BYTE_3
	v_lshlrev_b32_e32 v3, 20, v65
	v_and_b32_e32 v1, 0x80000000, v1
	v_or3_b32 v122, v3, v1, v2
.LBB219_200:                            ;   in Loop: Header=BB219_10 Depth=1
	s_or_b32 exec_lo, exec_lo, s31
.LBB219_201:                            ;   in Loop: Header=BB219_10 Depth=1
	s_or_b32 exec_lo, exec_lo, s30
.LBB219_202:                            ;   in Loop: Header=BB219_10 Depth=1
	s_or_b32 exec_lo, exec_lo, s29
	global_load_dword v5, v[91:92], off offset:520
	v_mov_b32_e32 v67, 0
	v_mov_b32_e32 v125, 0
	;; [unrolled: 1-line block ×4, first 2 shown]
	s_waitcnt vmcnt(0)
	v_cmp_ne_u16_sdwa s1, v5, v66 src0_sel:BYTE_0 src1_sel:DWORD
	s_and_saveexec_b32 s29, s1
	s_cbranch_execz .LBB219_210
; %bb.203:                              ;   in Loop: Header=BB219_10 Depth=1
	v_bfrev_b32_e32 v125, 1
	v_mov_b32_e32 v126, 0
	v_cmp_ne_u16_sdwa s1, v5, v85 src0_sel:BYTE_0 src1_sel:DWORD
	s_and_saveexec_b32 s30, s1
	s_cbranch_execz .LBB219_209
; %bb.204:                              ;   in Loop: Header=BB219_10 Depth=1
	v_mov_b32_e32 v125, 0x7f800001
	v_and_b32_e32 v2, 0x7f, v5
	v_mov_b32_e32 v126, 0
	s_mov_b32 s31, exec_lo
	v_cmpx_ne_u32_e32 0x7f, v2
	s_cbranch_execz .LBB219_208
; %bb.205:                              ;   in Loop: Header=BB219_10 Depth=1
	v_and_b32_e32 v65, 7, v5
	v_lshrrev_b32_e32 v1, 3, v2
	s_mov_b32 s33, exec_lo
	v_cmpx_gt_u32_e32 8, v2
; %bb.206:                              ;   in Loop: Header=BB219_10 Depth=1
	v_ffbh_u32_e32 v1, v65
	v_min_u32_e32 v1, 32, v1
	v_subrev_nc_u32_e32 v2, 28, v1
	v_sub_nc_u32_e32 v1, 29, v1
	v_lshlrev_b64 v[2:3], v2, v[65:66]
	v_and_b32_e32 v65, 7, v2
; %bb.207:                              ;   in Loop: Header=BB219_10 Depth=1
	s_or_b32 exec_lo, exec_lo, s33
	v_lshlrev_b32_e32 v2, 24, v5
	v_lshlrev_b32_e32 v3, 20, v65
	v_lshl_add_u32 v1, v1, 23, 0x3c000000
	v_and_b32_e32 v2, 0x80000000, v2
	v_or3_b32 v65, v3, v2, v1
	v_mov_b32_e32 v126, v66
	v_mov_b32_e32 v125, v65
.LBB219_208:                            ;   in Loop: Header=BB219_10 Depth=1
	s_or_b32 exec_lo, exec_lo, s31
.LBB219_209:                            ;   in Loop: Header=BB219_10 Depth=1
	s_or_b32 exec_lo, exec_lo, s30
.LBB219_210:                            ;   in Loop: Header=BB219_10 Depth=1
	s_or_b32 exec_lo, exec_lo, s29
	v_cmp_ne_u16_sdwa s1, v5, v66 src0_sel:BYTE_1 src1_sel:DWORD
	s_and_saveexec_b32 s29, s1
	s_cbranch_execz .LBB219_218
; %bb.211:                              ;   in Loop: Header=BB219_10 Depth=1
	v_mov_b32_e32 v81, v66
	v_cmp_ne_u16_sdwa s1, v5, v85 src0_sel:BYTE_1 src1_sel:DWORD
	v_mov_b32_e32 v67, v81
	v_mov_b32_e32 v68, v82
	s_and_saveexec_b32 s30, s1
	s_cbranch_execz .LBB219_217
; %bb.212:                              ;   in Loop: Header=BB219_10 Depth=1
	v_mov_b32_e32 v1, 0xffff
	v_mov_b32_e32 v57, v66
	;; [unrolled: 1-line block ×3, first 2 shown]
	s_mov_b32 s31, exec_lo
	v_and_b32_sdwa v1, v1, v5 dst_sel:DWORD dst_unused:UNUSED_PAD src0_sel:DWORD src1_sel:BYTE_1
	v_mov_b32_e32 v67, v57
	v_and_b32_e32 v2, 0x7f, v1
	v_cmpx_ne_u32_e32 0x7f, v2
	s_cbranch_execz .LBB219_216
; %bb.213:                              ;   in Loop: Header=BB219_10 Depth=1
	v_and_b32_e32 v65, 7, v1
	v_lshrrev_b32_e32 v1, 3, v2
	s_mov_b32 s33, exec_lo
	v_cmpx_gt_u32_e32 8, v2
; %bb.214:                              ;   in Loop: Header=BB219_10 Depth=1
	v_ffbh_u32_e32 v1, v65
	v_min_u32_e32 v1, 32, v1
	v_subrev_nc_u32_e32 v2, 28, v1
	v_sub_nc_u32_e32 v1, 29, v1
	v_lshlrev_b64 v[2:3], v2, v[65:66]
	v_and_b32_e32 v65, 7, v2
; %bb.215:                              ;   in Loop: Header=BB219_10 Depth=1
	s_or_b32 exec_lo, exec_lo, s33
	v_lshlrev_b32_e32 v2, 16, v5
	v_lshlrev_b32_e32 v3, 20, v65
	v_lshl_add_u32 v1, v1, 23, 0x3c000000
	v_mov_b32_e32 v67, v66
	v_and_b32_e32 v2, 0x80000000, v2
	v_or3_b32 v68, v3, v2, v1
.LBB219_216:                            ;   in Loop: Header=BB219_10 Depth=1
	s_or_b32 exec_lo, exec_lo, s31
.LBB219_217:                            ;   in Loop: Header=BB219_10 Depth=1
	s_or_b32 exec_lo, exec_lo, s30
.LBB219_218:                            ;   in Loop: Header=BB219_10 Depth=1
	s_or_b32 exec_lo, exec_lo, s29
	v_mov_b32_e32 v1, 0
	v_mov_b32_e32 v3, 0
	v_and_b32_sdwa v6, v5, v86 dst_sel:DWORD dst_unused:UNUSED_PAD src0_sel:WORD_1 src1_sel:DWORD
	v_mov_b32_e32 v2, 0
	v_mov_b32_e32 v4, 0
	s_mov_b32 s29, exec_lo
	v_cmpx_ne_u16_e32 0, v6
	s_cbranch_execz .LBB219_226
; %bb.219:                              ;   in Loop: Header=BB219_10 Depth=1
	v_bfrev_b32_e32 v3, 1
	v_mov_b32_e32 v4, 0
	s_mov_b32 s30, exec_lo
	v_cmpx_ne_u16_e32 0x80, v6
	s_cbranch_execz .LBB219_225
; %bb.220:                              ;   in Loop: Header=BB219_10 Depth=1
	v_mov_b32_e32 v3, 0x7f800001
	v_bfe_u32 v6, v5, 16, 7
	v_mov_b32_e32 v4, 0
	s_mov_b32 s31, exec_lo
	v_cmpx_ne_u32_e32 0x7f, v6
	s_cbranch_execz .LBB219_224
; %bb.221:                              ;   in Loop: Header=BB219_10 Depth=1
	v_mov_b32_e32 v3, 7
	s_mov_b32 s33, exec_lo
	v_and_b32_sdwa v65, v5, v3 dst_sel:DWORD dst_unused:UNUSED_PAD src0_sel:WORD_1 src1_sel:DWORD
	v_lshrrev_b32_e32 v3, 3, v6
	v_cmpx_gt_u32_e32 8, v6
; %bb.222:                              ;   in Loop: Header=BB219_10 Depth=1
	v_ffbh_u32_e32 v3, v65
	v_min_u32_e32 v3, 32, v3
	v_subrev_nc_u32_e32 v4, 28, v3
	v_sub_nc_u32_e32 v3, 29, v3
	v_lshlrev_b64 v[6:7], v4, v[65:66]
	v_and_b32_e32 v65, 7, v6
; %bb.223:                              ;   in Loop: Header=BB219_10 Depth=1
	s_or_b32 exec_lo, exec_lo, s33
	v_mov_b32_e32 v4, 24
	v_lshlrev_b32_e32 v6, 20, v65
	v_lshl_add_u32 v3, v3, 23, 0x3c000000
	v_lshlrev_b32_sdwa v4, v4, v5 dst_sel:DWORD dst_unused:UNUSED_PAD src0_sel:DWORD src1_sel:WORD_1
	v_and_b32_e32 v4, 0x80000000, v4
	v_or3_b32 v65, v6, v4, v3
	v_mov_b32_e32 v3, v65
	v_mov_b32_e32 v4, v66
.LBB219_224:                            ;   in Loop: Header=BB219_10 Depth=1
	s_or_b32 exec_lo, exec_lo, s31
.LBB219_225:                            ;   in Loop: Header=BB219_10 Depth=1
	s_or_b32 exec_lo, exec_lo, s30
.LBB219_226:                            ;   in Loop: Header=BB219_10 Depth=1
	s_or_b32 exec_lo, exec_lo, s29
	s_mov_b32 s29, exec_lo
	v_cmpx_lt_u32_e32 0xffffff, v5
	s_cbranch_execz .LBB219_234
; %bb.227:                              ;   in Loop: Header=BB219_10 Depth=1
	v_mov_b32_e32 v81, v66
	v_cmp_ne_u32_sdwa s1, v5, v85 src0_sel:BYTE_3 src1_sel:DWORD
	v_mov_b32_e32 v1, v81
	v_mov_b32_e32 v2, v82
	s_and_saveexec_b32 s30, s1
	s_cbranch_execz .LBB219_233
; %bb.228:                              ;   in Loop: Header=BB219_10 Depth=1
	v_mov_b32_e32 v57, v66
	v_bfe_u32 v6, v5, 24, 7
	s_mov_b32 s31, exec_lo
	v_mov_b32_e32 v1, v57
	v_mov_b32_e32 v2, v58
	v_cmpx_ne_u32_e32 0x7f, v6
	s_cbranch_execz .LBB219_232
; %bb.229:                              ;   in Loop: Header=BB219_10 Depth=1
	v_mov_b32_e32 v1, 7
	s_mov_b32 s33, exec_lo
	v_and_b32_sdwa v65, v5, v1 dst_sel:DWORD dst_unused:UNUSED_PAD src0_sel:BYTE_3 src1_sel:DWORD
	v_lshrrev_b32_e32 v1, 3, v6
	v_cmpx_gt_u32_e32 8, v6
; %bb.230:                              ;   in Loop: Header=BB219_10 Depth=1
	v_ffbh_u32_e32 v1, v65
	v_min_u32_e32 v1, 32, v1
	v_subrev_nc_u32_e32 v2, 28, v1
	v_sub_nc_u32_e32 v1, 29, v1
	v_lshlrev_b64 v[6:7], v2, v[65:66]
	v_and_b32_e32 v65, 7, v6
; %bb.231:                              ;   in Loop: Header=BB219_10 Depth=1
	s_or_b32 exec_lo, exec_lo, s33
	v_mov_b32_e32 v2, 24
	v_lshl_add_u32 v1, v1, 23, 0x3c000000
	v_lshlrev_b32_sdwa v2, v2, v5 dst_sel:DWORD dst_unused:UNUSED_PAD src0_sel:DWORD src1_sel:BYTE_3
	v_lshlrev_b32_e32 v5, 20, v65
	v_and_b32_e32 v2, 0x80000000, v2
	v_or3_b32 v2, v5, v2, v1
	v_mov_b32_e32 v1, v66
.LBB219_232:                            ;   in Loop: Header=BB219_10 Depth=1
	s_or_b32 exec_lo, exec_lo, s31
.LBB219_233:                            ;   in Loop: Header=BB219_10 Depth=1
	s_or_b32 exec_lo, exec_lo, s30
.LBB219_234:                            ;   in Loop: Header=BB219_10 Depth=1
	s_or_b32 exec_lo, exec_lo, s29
	global_load_dword v13, v[91:92], off offset:524
	v_mov_b32_e32 v7, 0
	v_mov_b32_e32 v5, 0
	;; [unrolled: 1-line block ×4, first 2 shown]
	s_waitcnt vmcnt(0)
	v_cmp_ne_u16_sdwa s1, v13, v66 src0_sel:BYTE_0 src1_sel:DWORD
	s_and_saveexec_b32 s29, s1
	s_cbranch_execz .LBB219_242
; %bb.235:                              ;   in Loop: Header=BB219_10 Depth=1
	v_bfrev_b32_e32 v5, 1
	v_mov_b32_e32 v6, 0
	v_cmp_ne_u16_sdwa s1, v13, v85 src0_sel:BYTE_0 src1_sel:DWORD
	s_and_saveexec_b32 s30, s1
	s_cbranch_execz .LBB219_241
; %bb.236:                              ;   in Loop: Header=BB219_10 Depth=1
	v_mov_b32_e32 v5, 0x7f800001
	v_and_b32_e32 v9, 0x7f, v13
	v_mov_b32_e32 v6, 0
	s_mov_b32 s31, exec_lo
	v_cmpx_ne_u32_e32 0x7f, v9
	s_cbranch_execz .LBB219_240
; %bb.237:                              ;   in Loop: Header=BB219_10 Depth=1
	v_and_b32_e32 v65, 7, v13
	v_lshrrev_b32_e32 v5, 3, v9
	s_mov_b32 s33, exec_lo
	v_cmpx_gt_u32_e32 8, v9
; %bb.238:                              ;   in Loop: Header=BB219_10 Depth=1
	v_ffbh_u32_e32 v5, v65
	v_min_u32_e32 v5, 32, v5
	v_subrev_nc_u32_e32 v6, 28, v5
	v_sub_nc_u32_e32 v5, 29, v5
	v_lshlrev_b64 v[9:10], v6, v[65:66]
	v_and_b32_e32 v65, 7, v9
; %bb.239:                              ;   in Loop: Header=BB219_10 Depth=1
	s_or_b32 exec_lo, exec_lo, s33
	v_lshlrev_b32_e32 v6, 24, v13
	v_lshlrev_b32_e32 v9, 20, v65
	v_lshl_add_u32 v5, v5, 23, 0x3c000000
	v_and_b32_e32 v6, 0x80000000, v6
	v_or3_b32 v65, v9, v6, v5
	v_mov_b32_e32 v5, v65
	v_mov_b32_e32 v6, v66
.LBB219_240:                            ;   in Loop: Header=BB219_10 Depth=1
	s_or_b32 exec_lo, exec_lo, s31
.LBB219_241:                            ;   in Loop: Header=BB219_10 Depth=1
	s_or_b32 exec_lo, exec_lo, s30
.LBB219_242:                            ;   in Loop: Header=BB219_10 Depth=1
	s_or_b32 exec_lo, exec_lo, s29
	v_cmp_ne_u16_sdwa s1, v13, v66 src0_sel:BYTE_1 src1_sel:DWORD
	s_and_saveexec_b32 s29, s1
	s_cbranch_execz .LBB219_250
; %bb.243:                              ;   in Loop: Header=BB219_10 Depth=1
	v_mov_b32_e32 v81, v66
	v_cmp_ne_u16_sdwa s1, v13, v85 src0_sel:BYTE_1 src1_sel:DWORD
	v_mov_b32_e32 v7, v81
	v_mov_b32_e32 v8, v82
	s_and_saveexec_b32 s30, s1
	s_cbranch_execz .LBB219_249
; %bb.244:                              ;   in Loop: Header=BB219_10 Depth=1
	v_mov_b32_e32 v7, 0xffff
	v_mov_b32_e32 v57, v66
	s_mov_b32 s31, exec_lo
	v_and_b32_sdwa v10, v7, v13 dst_sel:DWORD dst_unused:UNUSED_PAD src0_sel:DWORD src1_sel:BYTE_1
	v_mov_b32_e32 v7, v57
	v_mov_b32_e32 v8, v58
	v_and_b32_e32 v9, 0x7f, v10
	v_cmpx_ne_u32_e32 0x7f, v9
	s_cbranch_execz .LBB219_248
; %bb.245:                              ;   in Loop: Header=BB219_10 Depth=1
	v_and_b32_e32 v65, 7, v10
	v_lshrrev_b32_e32 v7, 3, v9
	s_mov_b32 s33, exec_lo
	v_cmpx_gt_u32_e32 8, v9
; %bb.246:                              ;   in Loop: Header=BB219_10 Depth=1
	v_ffbh_u32_e32 v7, v65
	v_min_u32_e32 v7, 32, v7
	v_subrev_nc_u32_e32 v8, 28, v7
	v_sub_nc_u32_e32 v7, 29, v7
	v_lshlrev_b64 v[8:9], v8, v[65:66]
	v_and_b32_e32 v65, 7, v8
; %bb.247:                              ;   in Loop: Header=BB219_10 Depth=1
	s_or_b32 exec_lo, exec_lo, s33
	v_lshlrev_b32_e32 v8, 16, v13
	v_lshlrev_b32_e32 v9, 20, v65
	v_lshl_add_u32 v7, v7, 23, 0x3c000000
	v_and_b32_e32 v8, 0x80000000, v8
	v_or3_b32 v8, v9, v8, v7
	v_mov_b32_e32 v7, v66
.LBB219_248:                            ;   in Loop: Header=BB219_10 Depth=1
	s_or_b32 exec_lo, exec_lo, s31
.LBB219_249:                            ;   in Loop: Header=BB219_10 Depth=1
	s_or_b32 exec_lo, exec_lo, s30
.LBB219_250:                            ;   in Loop: Header=BB219_10 Depth=1
	s_or_b32 exec_lo, exec_lo, s29
	v_mov_b32_e32 v9, 0
	v_mov_b32_e32 v11, 0
	v_and_b32_sdwa v14, v13, v86 dst_sel:DWORD dst_unused:UNUSED_PAD src0_sel:WORD_1 src1_sel:DWORD
	v_mov_b32_e32 v10, 0
	v_mov_b32_e32 v12, 0
	s_mov_b32 s29, exec_lo
	v_cmpx_ne_u16_e32 0, v14
	s_cbranch_execz .LBB219_258
; %bb.251:                              ;   in Loop: Header=BB219_10 Depth=1
	v_bfrev_b32_e32 v11, 1
	v_mov_b32_e32 v12, 0
	s_mov_b32 s30, exec_lo
	v_cmpx_ne_u16_e32 0x80, v14
	s_cbranch_execz .LBB219_257
; %bb.252:                              ;   in Loop: Header=BB219_10 Depth=1
	v_mov_b32_e32 v11, 0x7f800001
	v_bfe_u32 v14, v13, 16, 7
	v_mov_b32_e32 v12, 0
	s_mov_b32 s31, exec_lo
	v_cmpx_ne_u32_e32 0x7f, v14
	s_cbranch_execz .LBB219_256
; %bb.253:                              ;   in Loop: Header=BB219_10 Depth=1
	v_mov_b32_e32 v11, 7
	s_mov_b32 s33, exec_lo
	v_and_b32_sdwa v65, v13, v11 dst_sel:DWORD dst_unused:UNUSED_PAD src0_sel:WORD_1 src1_sel:DWORD
	v_lshrrev_b32_e32 v11, 3, v14
	v_cmpx_gt_u32_e32 8, v14
; %bb.254:                              ;   in Loop: Header=BB219_10 Depth=1
	v_ffbh_u32_e32 v11, v65
	v_min_u32_e32 v11, 32, v11
	v_subrev_nc_u32_e32 v12, 28, v11
	v_sub_nc_u32_e32 v11, 29, v11
	v_lshlrev_b64 v[14:15], v12, v[65:66]
	v_and_b32_e32 v65, 7, v14
; %bb.255:                              ;   in Loop: Header=BB219_10 Depth=1
	s_or_b32 exec_lo, exec_lo, s33
	v_mov_b32_e32 v12, 24
	v_lshlrev_b32_e32 v14, 20, v65
	v_lshl_add_u32 v11, v11, 23, 0x3c000000
	v_lshlrev_b32_sdwa v12, v12, v13 dst_sel:DWORD dst_unused:UNUSED_PAD src0_sel:DWORD src1_sel:WORD_1
	v_and_b32_e32 v12, 0x80000000, v12
	v_or3_b32 v65, v14, v12, v11
	v_mov_b32_e32 v11, v65
	v_mov_b32_e32 v12, v66
.LBB219_256:                            ;   in Loop: Header=BB219_10 Depth=1
	s_or_b32 exec_lo, exec_lo, s31
.LBB219_257:                            ;   in Loop: Header=BB219_10 Depth=1
	s_or_b32 exec_lo, exec_lo, s30
.LBB219_258:                            ;   in Loop: Header=BB219_10 Depth=1
	s_or_b32 exec_lo, exec_lo, s29
	s_mov_b32 s29, exec_lo
	v_cmpx_lt_u32_e32 0xffffff, v13
	s_cbranch_execz .LBB219_266
; %bb.259:                              ;   in Loop: Header=BB219_10 Depth=1
	v_mov_b32_e32 v81, v66
	v_cmp_ne_u32_sdwa s1, v13, v85 src0_sel:BYTE_3 src1_sel:DWORD
	v_mov_b32_e32 v9, v81
	v_mov_b32_e32 v10, v82
	s_and_saveexec_b32 s30, s1
	s_cbranch_execz .LBB219_265
; %bb.260:                              ;   in Loop: Header=BB219_10 Depth=1
	v_mov_b32_e32 v57, v66
	v_bfe_u32 v14, v13, 24, 7
	s_mov_b32 s31, exec_lo
	v_mov_b32_e32 v9, v57
	v_mov_b32_e32 v10, v58
	v_cmpx_ne_u32_e32 0x7f, v14
	s_cbranch_execz .LBB219_264
; %bb.261:                              ;   in Loop: Header=BB219_10 Depth=1
	v_mov_b32_e32 v9, 7
	s_mov_b32 s33, exec_lo
	v_and_b32_sdwa v65, v13, v9 dst_sel:DWORD dst_unused:UNUSED_PAD src0_sel:BYTE_3 src1_sel:DWORD
	v_lshrrev_b32_e32 v9, 3, v14
	v_cmpx_gt_u32_e32 8, v14
; %bb.262:                              ;   in Loop: Header=BB219_10 Depth=1
	v_ffbh_u32_e32 v9, v65
	v_min_u32_e32 v9, 32, v9
	v_subrev_nc_u32_e32 v10, 28, v9
	v_sub_nc_u32_e32 v9, 29, v9
	v_lshlrev_b64 v[14:15], v10, v[65:66]
	v_and_b32_e32 v65, 7, v14
; %bb.263:                              ;   in Loop: Header=BB219_10 Depth=1
	s_or_b32 exec_lo, exec_lo, s33
	v_mov_b32_e32 v10, 24
	v_lshl_add_u32 v9, v9, 23, 0x3c000000
	v_lshlrev_b32_sdwa v10, v10, v13 dst_sel:DWORD dst_unused:UNUSED_PAD src0_sel:DWORD src1_sel:BYTE_3
	v_lshlrev_b32_e32 v13, 20, v65
	v_and_b32_e32 v10, 0x80000000, v10
	v_or3_b32 v10, v13, v10, v9
	v_mov_b32_e32 v9, v66
.LBB219_264:                            ;   in Loop: Header=BB219_10 Depth=1
	s_or_b32 exec_lo, exec_lo, s31
.LBB219_265:                            ;   in Loop: Header=BB219_10 Depth=1
	s_or_b32 exec_lo, exec_lo, s30
.LBB219_266:                            ;   in Loop: Header=BB219_10 Depth=1
	s_or_b32 exec_lo, exec_lo, s29
	global_load_dword v21, v[91:92], off offset:1024
	v_mov_b32_e32 v15, 0
	v_mov_b32_e32 v13, 0
	;; [unrolled: 1-line block ×4, first 2 shown]
	s_waitcnt vmcnt(0)
	v_cmp_ne_u16_sdwa s1, v21, v66 src0_sel:BYTE_0 src1_sel:DWORD
	s_and_saveexec_b32 s29, s1
	s_cbranch_execz .LBB219_274
; %bb.267:                              ;   in Loop: Header=BB219_10 Depth=1
	v_bfrev_b32_e32 v13, 1
	v_mov_b32_e32 v14, 0
	v_cmp_ne_u16_sdwa s1, v21, v85 src0_sel:BYTE_0 src1_sel:DWORD
	s_and_saveexec_b32 s30, s1
	s_cbranch_execz .LBB219_273
; %bb.268:                              ;   in Loop: Header=BB219_10 Depth=1
	v_mov_b32_e32 v13, 0x7f800001
	v_and_b32_e32 v17, 0x7f, v21
	v_mov_b32_e32 v14, 0
	s_mov_b32 s31, exec_lo
	v_cmpx_ne_u32_e32 0x7f, v17
	s_cbranch_execz .LBB219_272
; %bb.269:                              ;   in Loop: Header=BB219_10 Depth=1
	v_and_b32_e32 v65, 7, v21
	v_lshrrev_b32_e32 v13, 3, v17
	s_mov_b32 s33, exec_lo
	v_cmpx_gt_u32_e32 8, v17
; %bb.270:                              ;   in Loop: Header=BB219_10 Depth=1
	v_ffbh_u32_e32 v13, v65
	v_min_u32_e32 v13, 32, v13
	v_subrev_nc_u32_e32 v14, 28, v13
	v_sub_nc_u32_e32 v13, 29, v13
	v_lshlrev_b64 v[17:18], v14, v[65:66]
	v_and_b32_e32 v65, 7, v17
; %bb.271:                              ;   in Loop: Header=BB219_10 Depth=1
	s_or_b32 exec_lo, exec_lo, s33
	v_lshlrev_b32_e32 v14, 24, v21
	v_lshlrev_b32_e32 v17, 20, v65
	v_lshl_add_u32 v13, v13, 23, 0x3c000000
	v_and_b32_e32 v14, 0x80000000, v14
	v_or3_b32 v65, v17, v14, v13
	v_mov_b32_e32 v13, v65
	v_mov_b32_e32 v14, v66
.LBB219_272:                            ;   in Loop: Header=BB219_10 Depth=1
	s_or_b32 exec_lo, exec_lo, s31
.LBB219_273:                            ;   in Loop: Header=BB219_10 Depth=1
	s_or_b32 exec_lo, exec_lo, s30
.LBB219_274:                            ;   in Loop: Header=BB219_10 Depth=1
	s_or_b32 exec_lo, exec_lo, s29
	v_cmp_ne_u16_sdwa s1, v21, v66 src0_sel:BYTE_1 src1_sel:DWORD
	s_and_saveexec_b32 s29, s1
	s_cbranch_execz .LBB219_282
; %bb.275:                              ;   in Loop: Header=BB219_10 Depth=1
	v_mov_b32_e32 v81, v66
	v_cmp_ne_u16_sdwa s1, v21, v85 src0_sel:BYTE_1 src1_sel:DWORD
	v_mov_b32_e32 v15, v81
	v_mov_b32_e32 v16, v82
	s_and_saveexec_b32 s30, s1
	s_cbranch_execz .LBB219_281
; %bb.276:                              ;   in Loop: Header=BB219_10 Depth=1
	v_mov_b32_e32 v15, 0xffff
	v_mov_b32_e32 v57, v66
	s_mov_b32 s31, exec_lo
	v_and_b32_sdwa v18, v15, v21 dst_sel:DWORD dst_unused:UNUSED_PAD src0_sel:DWORD src1_sel:BYTE_1
	v_mov_b32_e32 v15, v57
	v_mov_b32_e32 v16, v58
	v_and_b32_e32 v17, 0x7f, v18
	v_cmpx_ne_u32_e32 0x7f, v17
	s_cbranch_execz .LBB219_280
; %bb.277:                              ;   in Loop: Header=BB219_10 Depth=1
	v_and_b32_e32 v65, 7, v18
	v_lshrrev_b32_e32 v15, 3, v17
	s_mov_b32 s33, exec_lo
	v_cmpx_gt_u32_e32 8, v17
; %bb.278:                              ;   in Loop: Header=BB219_10 Depth=1
	v_ffbh_u32_e32 v15, v65
	v_min_u32_e32 v15, 32, v15
	v_subrev_nc_u32_e32 v16, 28, v15
	v_sub_nc_u32_e32 v15, 29, v15
	v_lshlrev_b64 v[16:17], v16, v[65:66]
	v_and_b32_e32 v65, 7, v16
; %bb.279:                              ;   in Loop: Header=BB219_10 Depth=1
	s_or_b32 exec_lo, exec_lo, s33
	v_lshlrev_b32_e32 v16, 16, v21
	v_lshlrev_b32_e32 v17, 20, v65
	v_lshl_add_u32 v15, v15, 23, 0x3c000000
	v_and_b32_e32 v16, 0x80000000, v16
	v_or3_b32 v16, v17, v16, v15
	v_mov_b32_e32 v15, v66
.LBB219_280:                            ;   in Loop: Header=BB219_10 Depth=1
	s_or_b32 exec_lo, exec_lo, s31
.LBB219_281:                            ;   in Loop: Header=BB219_10 Depth=1
	s_or_b32 exec_lo, exec_lo, s30
.LBB219_282:                            ;   in Loop: Header=BB219_10 Depth=1
	s_or_b32 exec_lo, exec_lo, s29
	v_mov_b32_e32 v17, 0
	v_mov_b32_e32 v19, 0
	v_and_b32_sdwa v22, v21, v86 dst_sel:DWORD dst_unused:UNUSED_PAD src0_sel:WORD_1 src1_sel:DWORD
	v_mov_b32_e32 v18, 0
	v_mov_b32_e32 v20, 0
	s_mov_b32 s29, exec_lo
	v_cmpx_ne_u16_e32 0, v22
	s_cbranch_execz .LBB219_290
; %bb.283:                              ;   in Loop: Header=BB219_10 Depth=1
	v_bfrev_b32_e32 v19, 1
	v_mov_b32_e32 v20, 0
	s_mov_b32 s30, exec_lo
	v_cmpx_ne_u16_e32 0x80, v22
	s_cbranch_execz .LBB219_289
; %bb.284:                              ;   in Loop: Header=BB219_10 Depth=1
	v_mov_b32_e32 v19, 0x7f800001
	v_bfe_u32 v22, v21, 16, 7
	v_mov_b32_e32 v20, 0
	s_mov_b32 s31, exec_lo
	v_cmpx_ne_u32_e32 0x7f, v22
	s_cbranch_execz .LBB219_288
; %bb.285:                              ;   in Loop: Header=BB219_10 Depth=1
	v_mov_b32_e32 v19, 7
	s_mov_b32 s33, exec_lo
	v_and_b32_sdwa v65, v21, v19 dst_sel:DWORD dst_unused:UNUSED_PAD src0_sel:WORD_1 src1_sel:DWORD
	v_lshrrev_b32_e32 v19, 3, v22
	v_cmpx_gt_u32_e32 8, v22
; %bb.286:                              ;   in Loop: Header=BB219_10 Depth=1
	v_ffbh_u32_e32 v19, v65
	v_min_u32_e32 v19, 32, v19
	v_subrev_nc_u32_e32 v20, 28, v19
	v_sub_nc_u32_e32 v19, 29, v19
	v_lshlrev_b64 v[22:23], v20, v[65:66]
	v_and_b32_e32 v65, 7, v22
; %bb.287:                              ;   in Loop: Header=BB219_10 Depth=1
	s_or_b32 exec_lo, exec_lo, s33
	v_mov_b32_e32 v20, 24
	v_lshlrev_b32_e32 v22, 20, v65
	v_lshl_add_u32 v19, v19, 23, 0x3c000000
	v_lshlrev_b32_sdwa v20, v20, v21 dst_sel:DWORD dst_unused:UNUSED_PAD src0_sel:DWORD src1_sel:WORD_1
	v_and_b32_e32 v20, 0x80000000, v20
	v_or3_b32 v65, v22, v20, v19
	v_mov_b32_e32 v19, v65
	v_mov_b32_e32 v20, v66
.LBB219_288:                            ;   in Loop: Header=BB219_10 Depth=1
	s_or_b32 exec_lo, exec_lo, s31
.LBB219_289:                            ;   in Loop: Header=BB219_10 Depth=1
	s_or_b32 exec_lo, exec_lo, s30
.LBB219_290:                            ;   in Loop: Header=BB219_10 Depth=1
	s_or_b32 exec_lo, exec_lo, s29
	s_mov_b32 s29, exec_lo
	v_cmpx_lt_u32_e32 0xffffff, v21
	s_cbranch_execz .LBB219_298
; %bb.291:                              ;   in Loop: Header=BB219_10 Depth=1
	v_mov_b32_e32 v81, v66
	v_cmp_ne_u32_sdwa s1, v21, v85 src0_sel:BYTE_3 src1_sel:DWORD
	v_mov_b32_e32 v17, v81
	v_mov_b32_e32 v18, v82
	s_and_saveexec_b32 s30, s1
	s_cbranch_execz .LBB219_297
; %bb.292:                              ;   in Loop: Header=BB219_10 Depth=1
	v_mov_b32_e32 v57, v66
	v_bfe_u32 v22, v21, 24, 7
	s_mov_b32 s31, exec_lo
	v_mov_b32_e32 v17, v57
	v_mov_b32_e32 v18, v58
	v_cmpx_ne_u32_e32 0x7f, v22
	s_cbranch_execz .LBB219_296
; %bb.293:                              ;   in Loop: Header=BB219_10 Depth=1
	v_mov_b32_e32 v17, 7
	s_mov_b32 s33, exec_lo
	v_and_b32_sdwa v65, v21, v17 dst_sel:DWORD dst_unused:UNUSED_PAD src0_sel:BYTE_3 src1_sel:DWORD
	v_lshrrev_b32_e32 v17, 3, v22
	v_cmpx_gt_u32_e32 8, v22
; %bb.294:                              ;   in Loop: Header=BB219_10 Depth=1
	v_ffbh_u32_e32 v17, v65
	v_min_u32_e32 v17, 32, v17
	v_subrev_nc_u32_e32 v18, 28, v17
	v_sub_nc_u32_e32 v17, 29, v17
	v_lshlrev_b64 v[22:23], v18, v[65:66]
	v_and_b32_e32 v65, 7, v22
; %bb.295:                              ;   in Loop: Header=BB219_10 Depth=1
	s_or_b32 exec_lo, exec_lo, s33
	v_mov_b32_e32 v18, 24
	v_lshl_add_u32 v17, v17, 23, 0x3c000000
	v_lshlrev_b32_sdwa v18, v18, v21 dst_sel:DWORD dst_unused:UNUSED_PAD src0_sel:DWORD src1_sel:BYTE_3
	v_lshlrev_b32_e32 v21, 20, v65
	v_and_b32_e32 v18, 0x80000000, v18
	v_or3_b32 v18, v21, v18, v17
	v_mov_b32_e32 v17, v66
.LBB219_296:                            ;   in Loop: Header=BB219_10 Depth=1
	s_or_b32 exec_lo, exec_lo, s31
.LBB219_297:                            ;   in Loop: Header=BB219_10 Depth=1
	s_or_b32 exec_lo, exec_lo, s30
.LBB219_298:                            ;   in Loop: Header=BB219_10 Depth=1
	s_or_b32 exec_lo, exec_lo, s29
	global_load_dword v29, v[91:92], off offset:1028
	v_mov_b32_e32 v23, 0
	v_mov_b32_e32 v21, 0
	v_mov_b32_e32 v24, 0
	v_mov_b32_e32 v22, 0
	s_waitcnt vmcnt(0)
	v_cmp_ne_u16_sdwa s1, v29, v66 src0_sel:BYTE_0 src1_sel:DWORD
	s_and_saveexec_b32 s29, s1
	s_cbranch_execz .LBB219_306
; %bb.299:                              ;   in Loop: Header=BB219_10 Depth=1
	v_bfrev_b32_e32 v21, 1
	v_mov_b32_e32 v22, 0
	v_cmp_ne_u16_sdwa s1, v29, v85 src0_sel:BYTE_0 src1_sel:DWORD
	s_and_saveexec_b32 s30, s1
	s_cbranch_execz .LBB219_305
; %bb.300:                              ;   in Loop: Header=BB219_10 Depth=1
	v_mov_b32_e32 v21, 0x7f800001
	v_and_b32_e32 v25, 0x7f, v29
	v_mov_b32_e32 v22, 0
	s_mov_b32 s31, exec_lo
	v_cmpx_ne_u32_e32 0x7f, v25
	s_cbranch_execz .LBB219_304
; %bb.301:                              ;   in Loop: Header=BB219_10 Depth=1
	v_and_b32_e32 v65, 7, v29
	v_lshrrev_b32_e32 v21, 3, v25
	s_mov_b32 s33, exec_lo
	v_cmpx_gt_u32_e32 8, v25
; %bb.302:                              ;   in Loop: Header=BB219_10 Depth=1
	v_ffbh_u32_e32 v21, v65
	v_min_u32_e32 v21, 32, v21
	v_subrev_nc_u32_e32 v22, 28, v21
	v_sub_nc_u32_e32 v21, 29, v21
	v_lshlrev_b64 v[25:26], v22, v[65:66]
	v_and_b32_e32 v65, 7, v25
; %bb.303:                              ;   in Loop: Header=BB219_10 Depth=1
	s_or_b32 exec_lo, exec_lo, s33
	v_lshlrev_b32_e32 v22, 24, v29
	v_lshlrev_b32_e32 v25, 20, v65
	v_lshl_add_u32 v21, v21, 23, 0x3c000000
	v_and_b32_e32 v22, 0x80000000, v22
	v_or3_b32 v65, v25, v22, v21
	v_mov_b32_e32 v21, v65
	v_mov_b32_e32 v22, v66
.LBB219_304:                            ;   in Loop: Header=BB219_10 Depth=1
	s_or_b32 exec_lo, exec_lo, s31
.LBB219_305:                            ;   in Loop: Header=BB219_10 Depth=1
	s_or_b32 exec_lo, exec_lo, s30
.LBB219_306:                            ;   in Loop: Header=BB219_10 Depth=1
	s_or_b32 exec_lo, exec_lo, s29
	v_cmp_ne_u16_sdwa s1, v29, v66 src0_sel:BYTE_1 src1_sel:DWORD
	s_and_saveexec_b32 s29, s1
	s_cbranch_execz .LBB219_314
; %bb.307:                              ;   in Loop: Header=BB219_10 Depth=1
	v_mov_b32_e32 v81, v66
	v_cmp_ne_u16_sdwa s1, v29, v85 src0_sel:BYTE_1 src1_sel:DWORD
	v_mov_b32_e32 v23, v81
	v_mov_b32_e32 v24, v82
	s_and_saveexec_b32 s30, s1
	s_cbranch_execz .LBB219_313
; %bb.308:                              ;   in Loop: Header=BB219_10 Depth=1
	v_mov_b32_e32 v23, 0xffff
	v_mov_b32_e32 v57, v66
	s_mov_b32 s31, exec_lo
	v_and_b32_sdwa v26, v23, v29 dst_sel:DWORD dst_unused:UNUSED_PAD src0_sel:DWORD src1_sel:BYTE_1
	v_mov_b32_e32 v23, v57
	v_mov_b32_e32 v24, v58
	v_and_b32_e32 v25, 0x7f, v26
	v_cmpx_ne_u32_e32 0x7f, v25
	s_cbranch_execz .LBB219_312
; %bb.309:                              ;   in Loop: Header=BB219_10 Depth=1
	v_and_b32_e32 v65, 7, v26
	v_lshrrev_b32_e32 v23, 3, v25
	s_mov_b32 s33, exec_lo
	v_cmpx_gt_u32_e32 8, v25
; %bb.310:                              ;   in Loop: Header=BB219_10 Depth=1
	v_ffbh_u32_e32 v23, v65
	v_min_u32_e32 v23, 32, v23
	v_subrev_nc_u32_e32 v24, 28, v23
	v_sub_nc_u32_e32 v23, 29, v23
	v_lshlrev_b64 v[24:25], v24, v[65:66]
	v_and_b32_e32 v65, 7, v24
; %bb.311:                              ;   in Loop: Header=BB219_10 Depth=1
	s_or_b32 exec_lo, exec_lo, s33
	v_lshlrev_b32_e32 v24, 16, v29
	v_lshlrev_b32_e32 v25, 20, v65
	v_lshl_add_u32 v23, v23, 23, 0x3c000000
	v_and_b32_e32 v24, 0x80000000, v24
	v_or3_b32 v24, v25, v24, v23
	v_mov_b32_e32 v23, v66
.LBB219_312:                            ;   in Loop: Header=BB219_10 Depth=1
	s_or_b32 exec_lo, exec_lo, s31
.LBB219_313:                            ;   in Loop: Header=BB219_10 Depth=1
	s_or_b32 exec_lo, exec_lo, s30
.LBB219_314:                            ;   in Loop: Header=BB219_10 Depth=1
	s_or_b32 exec_lo, exec_lo, s29
	v_mov_b32_e32 v25, 0
	v_mov_b32_e32 v27, 0
	v_and_b32_sdwa v30, v29, v86 dst_sel:DWORD dst_unused:UNUSED_PAD src0_sel:WORD_1 src1_sel:DWORD
	v_mov_b32_e32 v26, 0
	v_mov_b32_e32 v28, 0
	s_mov_b32 s29, exec_lo
	v_cmpx_ne_u16_e32 0, v30
	s_cbranch_execz .LBB219_322
; %bb.315:                              ;   in Loop: Header=BB219_10 Depth=1
	v_bfrev_b32_e32 v27, 1
	v_mov_b32_e32 v28, 0
	s_mov_b32 s30, exec_lo
	v_cmpx_ne_u16_e32 0x80, v30
	s_cbranch_execz .LBB219_321
; %bb.316:                              ;   in Loop: Header=BB219_10 Depth=1
	v_mov_b32_e32 v27, 0x7f800001
	v_bfe_u32 v30, v29, 16, 7
	v_mov_b32_e32 v28, 0
	s_mov_b32 s31, exec_lo
	v_cmpx_ne_u32_e32 0x7f, v30
	s_cbranch_execz .LBB219_320
; %bb.317:                              ;   in Loop: Header=BB219_10 Depth=1
	v_mov_b32_e32 v27, 7
	s_mov_b32 s33, exec_lo
	v_and_b32_sdwa v65, v29, v27 dst_sel:DWORD dst_unused:UNUSED_PAD src0_sel:WORD_1 src1_sel:DWORD
	v_lshrrev_b32_e32 v27, 3, v30
	v_cmpx_gt_u32_e32 8, v30
; %bb.318:                              ;   in Loop: Header=BB219_10 Depth=1
	v_ffbh_u32_e32 v27, v65
	v_min_u32_e32 v27, 32, v27
	v_subrev_nc_u32_e32 v28, 28, v27
	v_sub_nc_u32_e32 v27, 29, v27
	v_lshlrev_b64 v[30:31], v28, v[65:66]
	v_and_b32_e32 v65, 7, v30
; %bb.319:                              ;   in Loop: Header=BB219_10 Depth=1
	s_or_b32 exec_lo, exec_lo, s33
	v_mov_b32_e32 v28, 24
	v_lshlrev_b32_e32 v30, 20, v65
	v_lshl_add_u32 v27, v27, 23, 0x3c000000
	v_lshlrev_b32_sdwa v28, v28, v29 dst_sel:DWORD dst_unused:UNUSED_PAD src0_sel:DWORD src1_sel:WORD_1
	v_and_b32_e32 v28, 0x80000000, v28
	v_or3_b32 v65, v30, v28, v27
	v_mov_b32_e32 v27, v65
	v_mov_b32_e32 v28, v66
.LBB219_320:                            ;   in Loop: Header=BB219_10 Depth=1
	s_or_b32 exec_lo, exec_lo, s31
.LBB219_321:                            ;   in Loop: Header=BB219_10 Depth=1
	s_or_b32 exec_lo, exec_lo, s30
.LBB219_322:                            ;   in Loop: Header=BB219_10 Depth=1
	s_or_b32 exec_lo, exec_lo, s29
	s_mov_b32 s29, exec_lo
	v_cmpx_lt_u32_e32 0xffffff, v29
	s_cbranch_execz .LBB219_330
; %bb.323:                              ;   in Loop: Header=BB219_10 Depth=1
	v_mov_b32_e32 v81, v66
	v_cmp_ne_u32_sdwa s1, v29, v85 src0_sel:BYTE_3 src1_sel:DWORD
	v_mov_b32_e32 v25, v81
	v_mov_b32_e32 v26, v82
	s_and_saveexec_b32 s30, s1
	s_cbranch_execz .LBB219_329
; %bb.324:                              ;   in Loop: Header=BB219_10 Depth=1
	v_mov_b32_e32 v57, v66
	v_bfe_u32 v30, v29, 24, 7
	s_mov_b32 s31, exec_lo
	v_mov_b32_e32 v25, v57
	v_mov_b32_e32 v26, v58
	v_cmpx_ne_u32_e32 0x7f, v30
	s_cbranch_execz .LBB219_328
; %bb.325:                              ;   in Loop: Header=BB219_10 Depth=1
	v_mov_b32_e32 v25, 7
	s_mov_b32 s33, exec_lo
	v_and_b32_sdwa v65, v29, v25 dst_sel:DWORD dst_unused:UNUSED_PAD src0_sel:BYTE_3 src1_sel:DWORD
	v_lshrrev_b32_e32 v25, 3, v30
	v_cmpx_gt_u32_e32 8, v30
; %bb.326:                              ;   in Loop: Header=BB219_10 Depth=1
	v_ffbh_u32_e32 v25, v65
	v_min_u32_e32 v25, 32, v25
	v_subrev_nc_u32_e32 v26, 28, v25
	v_sub_nc_u32_e32 v25, 29, v25
	v_lshlrev_b64 v[30:31], v26, v[65:66]
	v_and_b32_e32 v65, 7, v30
; %bb.327:                              ;   in Loop: Header=BB219_10 Depth=1
	s_or_b32 exec_lo, exec_lo, s33
	v_mov_b32_e32 v26, 24
	v_lshl_add_u32 v25, v25, 23, 0x3c000000
	v_lshlrev_b32_sdwa v26, v26, v29 dst_sel:DWORD dst_unused:UNUSED_PAD src0_sel:DWORD src1_sel:BYTE_3
	v_lshlrev_b32_e32 v29, 20, v65
	v_and_b32_e32 v26, 0x80000000, v26
	v_or3_b32 v26, v29, v26, v25
	v_mov_b32_e32 v25, v66
.LBB219_328:                            ;   in Loop: Header=BB219_10 Depth=1
	s_or_b32 exec_lo, exec_lo, s31
.LBB219_329:                            ;   in Loop: Header=BB219_10 Depth=1
	s_or_b32 exec_lo, exec_lo, s30
.LBB219_330:                            ;   in Loop: Header=BB219_10 Depth=1
	s_or_b32 exec_lo, exec_lo, s29
	global_load_dword v37, v[91:92], off offset:1032
	v_mov_b32_e32 v31, 0
	v_mov_b32_e32 v29, 0
	;; [unrolled: 1-line block ×4, first 2 shown]
	s_waitcnt vmcnt(0)
	v_cmp_ne_u16_sdwa s1, v37, v66 src0_sel:BYTE_0 src1_sel:DWORD
	s_and_saveexec_b32 s29, s1
	s_cbranch_execz .LBB219_338
; %bb.331:                              ;   in Loop: Header=BB219_10 Depth=1
	v_bfrev_b32_e32 v29, 1
	v_mov_b32_e32 v30, 0
	v_cmp_ne_u16_sdwa s1, v37, v85 src0_sel:BYTE_0 src1_sel:DWORD
	s_and_saveexec_b32 s30, s1
	s_cbranch_execz .LBB219_337
; %bb.332:                              ;   in Loop: Header=BB219_10 Depth=1
	v_mov_b32_e32 v29, 0x7f800001
	v_and_b32_e32 v33, 0x7f, v37
	v_mov_b32_e32 v30, 0
	s_mov_b32 s31, exec_lo
	v_cmpx_ne_u32_e32 0x7f, v33
	s_cbranch_execz .LBB219_336
; %bb.333:                              ;   in Loop: Header=BB219_10 Depth=1
	v_and_b32_e32 v65, 7, v37
	v_lshrrev_b32_e32 v29, 3, v33
	s_mov_b32 s33, exec_lo
	v_cmpx_gt_u32_e32 8, v33
; %bb.334:                              ;   in Loop: Header=BB219_10 Depth=1
	v_ffbh_u32_e32 v29, v65
	v_min_u32_e32 v29, 32, v29
	v_subrev_nc_u32_e32 v30, 28, v29
	v_sub_nc_u32_e32 v29, 29, v29
	v_lshlrev_b64 v[33:34], v30, v[65:66]
	v_and_b32_e32 v65, 7, v33
; %bb.335:                              ;   in Loop: Header=BB219_10 Depth=1
	s_or_b32 exec_lo, exec_lo, s33
	v_lshlrev_b32_e32 v30, 24, v37
	v_lshlrev_b32_e32 v33, 20, v65
	v_lshl_add_u32 v29, v29, 23, 0x3c000000
	v_and_b32_e32 v30, 0x80000000, v30
	v_or3_b32 v65, v33, v30, v29
	v_mov_b32_e32 v29, v65
	v_mov_b32_e32 v30, v66
.LBB219_336:                            ;   in Loop: Header=BB219_10 Depth=1
	s_or_b32 exec_lo, exec_lo, s31
.LBB219_337:                            ;   in Loop: Header=BB219_10 Depth=1
	s_or_b32 exec_lo, exec_lo, s30
.LBB219_338:                            ;   in Loop: Header=BB219_10 Depth=1
	s_or_b32 exec_lo, exec_lo, s29
	v_cmp_ne_u16_sdwa s1, v37, v66 src0_sel:BYTE_1 src1_sel:DWORD
	s_and_saveexec_b32 s29, s1
	s_cbranch_execz .LBB219_346
; %bb.339:                              ;   in Loop: Header=BB219_10 Depth=1
	v_mov_b32_e32 v81, v66
	v_cmp_ne_u16_sdwa s1, v37, v85 src0_sel:BYTE_1 src1_sel:DWORD
	v_mov_b32_e32 v31, v81
	v_mov_b32_e32 v32, v82
	s_and_saveexec_b32 s30, s1
	s_cbranch_execz .LBB219_345
; %bb.340:                              ;   in Loop: Header=BB219_10 Depth=1
	v_mov_b32_e32 v31, 0xffff
	v_mov_b32_e32 v57, v66
	s_mov_b32 s31, exec_lo
	v_and_b32_sdwa v34, v31, v37 dst_sel:DWORD dst_unused:UNUSED_PAD src0_sel:DWORD src1_sel:BYTE_1
	v_mov_b32_e32 v31, v57
	v_mov_b32_e32 v32, v58
	v_and_b32_e32 v33, 0x7f, v34
	v_cmpx_ne_u32_e32 0x7f, v33
	s_cbranch_execz .LBB219_344
; %bb.341:                              ;   in Loop: Header=BB219_10 Depth=1
	v_and_b32_e32 v65, 7, v34
	v_lshrrev_b32_e32 v31, 3, v33
	s_mov_b32 s33, exec_lo
	v_cmpx_gt_u32_e32 8, v33
; %bb.342:                              ;   in Loop: Header=BB219_10 Depth=1
	v_ffbh_u32_e32 v31, v65
	v_min_u32_e32 v31, 32, v31
	v_subrev_nc_u32_e32 v32, 28, v31
	v_sub_nc_u32_e32 v31, 29, v31
	v_lshlrev_b64 v[32:33], v32, v[65:66]
	v_and_b32_e32 v65, 7, v32
; %bb.343:                              ;   in Loop: Header=BB219_10 Depth=1
	s_or_b32 exec_lo, exec_lo, s33
	v_lshlrev_b32_e32 v32, 16, v37
	v_lshlrev_b32_e32 v33, 20, v65
	v_lshl_add_u32 v31, v31, 23, 0x3c000000
	v_and_b32_e32 v32, 0x80000000, v32
	v_or3_b32 v32, v33, v32, v31
	v_mov_b32_e32 v31, v66
.LBB219_344:                            ;   in Loop: Header=BB219_10 Depth=1
	s_or_b32 exec_lo, exec_lo, s31
.LBB219_345:                            ;   in Loop: Header=BB219_10 Depth=1
	s_or_b32 exec_lo, exec_lo, s30
.LBB219_346:                            ;   in Loop: Header=BB219_10 Depth=1
	s_or_b32 exec_lo, exec_lo, s29
	v_mov_b32_e32 v33, 0
	v_mov_b32_e32 v35, 0
	v_and_b32_sdwa v38, v37, v86 dst_sel:DWORD dst_unused:UNUSED_PAD src0_sel:WORD_1 src1_sel:DWORD
	v_mov_b32_e32 v34, 0
	v_mov_b32_e32 v36, 0
	s_mov_b32 s29, exec_lo
	v_cmpx_ne_u16_e32 0, v38
	s_cbranch_execz .LBB219_354
; %bb.347:                              ;   in Loop: Header=BB219_10 Depth=1
	v_bfrev_b32_e32 v35, 1
	v_mov_b32_e32 v36, 0
	s_mov_b32 s30, exec_lo
	v_cmpx_ne_u16_e32 0x80, v38
	s_cbranch_execz .LBB219_353
; %bb.348:                              ;   in Loop: Header=BB219_10 Depth=1
	v_mov_b32_e32 v35, 0x7f800001
	v_bfe_u32 v38, v37, 16, 7
	v_mov_b32_e32 v36, 0
	s_mov_b32 s31, exec_lo
	v_cmpx_ne_u32_e32 0x7f, v38
	s_cbranch_execz .LBB219_352
; %bb.349:                              ;   in Loop: Header=BB219_10 Depth=1
	v_mov_b32_e32 v35, 7
	s_mov_b32 s33, exec_lo
	v_and_b32_sdwa v65, v37, v35 dst_sel:DWORD dst_unused:UNUSED_PAD src0_sel:WORD_1 src1_sel:DWORD
	v_lshrrev_b32_e32 v35, 3, v38
	v_cmpx_gt_u32_e32 8, v38
; %bb.350:                              ;   in Loop: Header=BB219_10 Depth=1
	v_ffbh_u32_e32 v35, v65
	v_min_u32_e32 v35, 32, v35
	v_subrev_nc_u32_e32 v36, 28, v35
	v_sub_nc_u32_e32 v35, 29, v35
	v_lshlrev_b64 v[38:39], v36, v[65:66]
	v_and_b32_e32 v65, 7, v38
; %bb.351:                              ;   in Loop: Header=BB219_10 Depth=1
	s_or_b32 exec_lo, exec_lo, s33
	v_mov_b32_e32 v36, 24
	v_lshlrev_b32_e32 v38, 20, v65
	v_lshl_add_u32 v35, v35, 23, 0x3c000000
	v_lshlrev_b32_sdwa v36, v36, v37 dst_sel:DWORD dst_unused:UNUSED_PAD src0_sel:DWORD src1_sel:WORD_1
	v_and_b32_e32 v36, 0x80000000, v36
	v_or3_b32 v65, v38, v36, v35
	v_mov_b32_e32 v35, v65
	v_mov_b32_e32 v36, v66
.LBB219_352:                            ;   in Loop: Header=BB219_10 Depth=1
	s_or_b32 exec_lo, exec_lo, s31
.LBB219_353:                            ;   in Loop: Header=BB219_10 Depth=1
	s_or_b32 exec_lo, exec_lo, s30
.LBB219_354:                            ;   in Loop: Header=BB219_10 Depth=1
	s_or_b32 exec_lo, exec_lo, s29
	s_mov_b32 s29, exec_lo
	v_cmpx_lt_u32_e32 0xffffff, v37
	s_cbranch_execz .LBB219_362
; %bb.355:                              ;   in Loop: Header=BB219_10 Depth=1
	v_mov_b32_e32 v81, v66
	v_cmp_ne_u32_sdwa s1, v37, v85 src0_sel:BYTE_3 src1_sel:DWORD
	v_mov_b32_e32 v33, v81
	v_mov_b32_e32 v34, v82
	s_and_saveexec_b32 s30, s1
	s_cbranch_execz .LBB219_361
; %bb.356:                              ;   in Loop: Header=BB219_10 Depth=1
	v_mov_b32_e32 v57, v66
	v_bfe_u32 v38, v37, 24, 7
	s_mov_b32 s31, exec_lo
	v_mov_b32_e32 v33, v57
	v_mov_b32_e32 v34, v58
	v_cmpx_ne_u32_e32 0x7f, v38
	s_cbranch_execz .LBB219_360
; %bb.357:                              ;   in Loop: Header=BB219_10 Depth=1
	v_mov_b32_e32 v33, 7
	s_mov_b32 s33, exec_lo
	v_and_b32_sdwa v65, v37, v33 dst_sel:DWORD dst_unused:UNUSED_PAD src0_sel:BYTE_3 src1_sel:DWORD
	v_lshrrev_b32_e32 v33, 3, v38
	v_cmpx_gt_u32_e32 8, v38
; %bb.358:                              ;   in Loop: Header=BB219_10 Depth=1
	v_ffbh_u32_e32 v33, v65
	v_min_u32_e32 v33, 32, v33
	v_subrev_nc_u32_e32 v34, 28, v33
	v_sub_nc_u32_e32 v33, 29, v33
	v_lshlrev_b64 v[38:39], v34, v[65:66]
	v_and_b32_e32 v65, 7, v38
; %bb.359:                              ;   in Loop: Header=BB219_10 Depth=1
	s_or_b32 exec_lo, exec_lo, s33
	v_mov_b32_e32 v34, 24
	v_lshl_add_u32 v33, v33, 23, 0x3c000000
	v_lshlrev_b32_sdwa v34, v34, v37 dst_sel:DWORD dst_unused:UNUSED_PAD src0_sel:DWORD src1_sel:BYTE_3
	v_lshlrev_b32_e32 v37, 20, v65
	v_and_b32_e32 v34, 0x80000000, v34
	v_or3_b32 v34, v37, v34, v33
	v_mov_b32_e32 v33, v66
.LBB219_360:                            ;   in Loop: Header=BB219_10 Depth=1
	s_or_b32 exec_lo, exec_lo, s31
.LBB219_361:                            ;   in Loop: Header=BB219_10 Depth=1
	s_or_b32 exec_lo, exec_lo, s30
.LBB219_362:                            ;   in Loop: Header=BB219_10 Depth=1
	s_or_b32 exec_lo, exec_lo, s29
	global_load_dword v45, v[91:92], off offset:1036
	v_mov_b32_e32 v39, 0
	v_mov_b32_e32 v37, 0
	;; [unrolled: 1-line block ×4, first 2 shown]
	s_waitcnt vmcnt(0)
	v_cmp_ne_u16_sdwa s1, v45, v66 src0_sel:BYTE_0 src1_sel:DWORD
	s_and_saveexec_b32 s29, s1
	s_cbranch_execz .LBB219_370
; %bb.363:                              ;   in Loop: Header=BB219_10 Depth=1
	v_bfrev_b32_e32 v37, 1
	v_mov_b32_e32 v38, 0
	v_cmp_ne_u16_sdwa s1, v45, v85 src0_sel:BYTE_0 src1_sel:DWORD
	s_and_saveexec_b32 s30, s1
	s_cbranch_execz .LBB219_369
; %bb.364:                              ;   in Loop: Header=BB219_10 Depth=1
	v_mov_b32_e32 v37, 0x7f800001
	v_and_b32_e32 v41, 0x7f, v45
	v_mov_b32_e32 v38, 0
	s_mov_b32 s31, exec_lo
	v_cmpx_ne_u32_e32 0x7f, v41
	s_cbranch_execz .LBB219_368
; %bb.365:                              ;   in Loop: Header=BB219_10 Depth=1
	v_and_b32_e32 v65, 7, v45
	v_lshrrev_b32_e32 v37, 3, v41
	s_mov_b32 s33, exec_lo
	v_cmpx_gt_u32_e32 8, v41
; %bb.366:                              ;   in Loop: Header=BB219_10 Depth=1
	v_ffbh_u32_e32 v37, v65
	v_min_u32_e32 v37, 32, v37
	v_subrev_nc_u32_e32 v38, 28, v37
	v_sub_nc_u32_e32 v37, 29, v37
	v_lshlrev_b64 v[41:42], v38, v[65:66]
	v_and_b32_e32 v65, 7, v41
; %bb.367:                              ;   in Loop: Header=BB219_10 Depth=1
	s_or_b32 exec_lo, exec_lo, s33
	v_lshlrev_b32_e32 v38, 24, v45
	v_lshlrev_b32_e32 v41, 20, v65
	v_lshl_add_u32 v37, v37, 23, 0x3c000000
	v_and_b32_e32 v38, 0x80000000, v38
	v_or3_b32 v65, v41, v38, v37
	v_mov_b32_e32 v37, v65
	v_mov_b32_e32 v38, v66
.LBB219_368:                            ;   in Loop: Header=BB219_10 Depth=1
	s_or_b32 exec_lo, exec_lo, s31
.LBB219_369:                            ;   in Loop: Header=BB219_10 Depth=1
	s_or_b32 exec_lo, exec_lo, s30
.LBB219_370:                            ;   in Loop: Header=BB219_10 Depth=1
	s_or_b32 exec_lo, exec_lo, s29
	v_cmp_ne_u16_sdwa s1, v45, v66 src0_sel:BYTE_1 src1_sel:DWORD
	s_and_saveexec_b32 s29, s1
	s_cbranch_execz .LBB219_378
; %bb.371:                              ;   in Loop: Header=BB219_10 Depth=1
	v_mov_b32_e32 v81, v66
	v_cmp_ne_u16_sdwa s1, v45, v85 src0_sel:BYTE_1 src1_sel:DWORD
	v_mov_b32_e32 v39, v81
	v_mov_b32_e32 v40, v82
	s_and_saveexec_b32 s30, s1
	s_cbranch_execz .LBB219_377
; %bb.372:                              ;   in Loop: Header=BB219_10 Depth=1
	v_mov_b32_e32 v39, 0xffff
	v_mov_b32_e32 v57, v66
	s_mov_b32 s31, exec_lo
	v_and_b32_sdwa v42, v39, v45 dst_sel:DWORD dst_unused:UNUSED_PAD src0_sel:DWORD src1_sel:BYTE_1
	v_mov_b32_e32 v39, v57
	v_mov_b32_e32 v40, v58
	v_and_b32_e32 v41, 0x7f, v42
	v_cmpx_ne_u32_e32 0x7f, v41
	s_cbranch_execz .LBB219_376
; %bb.373:                              ;   in Loop: Header=BB219_10 Depth=1
	v_and_b32_e32 v65, 7, v42
	v_lshrrev_b32_e32 v39, 3, v41
	s_mov_b32 s33, exec_lo
	v_cmpx_gt_u32_e32 8, v41
; %bb.374:                              ;   in Loop: Header=BB219_10 Depth=1
	v_ffbh_u32_e32 v39, v65
	v_min_u32_e32 v39, 32, v39
	v_subrev_nc_u32_e32 v40, 28, v39
	v_sub_nc_u32_e32 v39, 29, v39
	v_lshlrev_b64 v[40:41], v40, v[65:66]
	v_and_b32_e32 v65, 7, v40
; %bb.375:                              ;   in Loop: Header=BB219_10 Depth=1
	s_or_b32 exec_lo, exec_lo, s33
	v_lshlrev_b32_e32 v40, 16, v45
	v_lshlrev_b32_e32 v41, 20, v65
	v_lshl_add_u32 v39, v39, 23, 0x3c000000
	v_and_b32_e32 v40, 0x80000000, v40
	v_or3_b32 v40, v41, v40, v39
	v_mov_b32_e32 v39, v66
.LBB219_376:                            ;   in Loop: Header=BB219_10 Depth=1
	s_or_b32 exec_lo, exec_lo, s31
.LBB219_377:                            ;   in Loop: Header=BB219_10 Depth=1
	s_or_b32 exec_lo, exec_lo, s30
.LBB219_378:                            ;   in Loop: Header=BB219_10 Depth=1
	s_or_b32 exec_lo, exec_lo, s29
	v_mov_b32_e32 v41, 0
	v_mov_b32_e32 v43, 0
	v_and_b32_sdwa v46, v45, v86 dst_sel:DWORD dst_unused:UNUSED_PAD src0_sel:WORD_1 src1_sel:DWORD
	v_mov_b32_e32 v42, 0
	v_mov_b32_e32 v44, 0
	s_mov_b32 s29, exec_lo
	v_cmpx_ne_u16_e32 0, v46
	s_cbranch_execz .LBB219_386
; %bb.379:                              ;   in Loop: Header=BB219_10 Depth=1
	v_bfrev_b32_e32 v43, 1
	v_mov_b32_e32 v44, 0
	s_mov_b32 s30, exec_lo
	v_cmpx_ne_u16_e32 0x80, v46
	s_cbranch_execz .LBB219_385
; %bb.380:                              ;   in Loop: Header=BB219_10 Depth=1
	v_mov_b32_e32 v43, 0x7f800001
	v_bfe_u32 v46, v45, 16, 7
	v_mov_b32_e32 v44, 0
	s_mov_b32 s31, exec_lo
	v_cmpx_ne_u32_e32 0x7f, v46
	s_cbranch_execz .LBB219_384
; %bb.381:                              ;   in Loop: Header=BB219_10 Depth=1
	v_mov_b32_e32 v43, 7
	s_mov_b32 s33, exec_lo
	v_and_b32_sdwa v65, v45, v43 dst_sel:DWORD dst_unused:UNUSED_PAD src0_sel:WORD_1 src1_sel:DWORD
	v_lshrrev_b32_e32 v43, 3, v46
	v_cmpx_gt_u32_e32 8, v46
; %bb.382:                              ;   in Loop: Header=BB219_10 Depth=1
	v_ffbh_u32_e32 v43, v65
	v_min_u32_e32 v43, 32, v43
	v_subrev_nc_u32_e32 v44, 28, v43
	v_sub_nc_u32_e32 v43, 29, v43
	v_lshlrev_b64 v[46:47], v44, v[65:66]
	v_and_b32_e32 v65, 7, v46
; %bb.383:                              ;   in Loop: Header=BB219_10 Depth=1
	s_or_b32 exec_lo, exec_lo, s33
	v_mov_b32_e32 v44, 24
	v_lshlrev_b32_e32 v46, 20, v65
	v_lshl_add_u32 v43, v43, 23, 0x3c000000
	v_lshlrev_b32_sdwa v44, v44, v45 dst_sel:DWORD dst_unused:UNUSED_PAD src0_sel:DWORD src1_sel:WORD_1
	v_and_b32_e32 v44, 0x80000000, v44
	v_or3_b32 v65, v46, v44, v43
	v_mov_b32_e32 v43, v65
	v_mov_b32_e32 v44, v66
.LBB219_384:                            ;   in Loop: Header=BB219_10 Depth=1
	s_or_b32 exec_lo, exec_lo, s31
.LBB219_385:                            ;   in Loop: Header=BB219_10 Depth=1
	s_or_b32 exec_lo, exec_lo, s30
.LBB219_386:                            ;   in Loop: Header=BB219_10 Depth=1
	s_or_b32 exec_lo, exec_lo, s29
	s_mov_b32 s29, exec_lo
	v_cmpx_lt_u32_e32 0xffffff, v45
	s_cbranch_execz .LBB219_394
; %bb.387:                              ;   in Loop: Header=BB219_10 Depth=1
	v_mov_b32_e32 v81, v66
	v_cmp_ne_u32_sdwa s1, v45, v85 src0_sel:BYTE_3 src1_sel:DWORD
	v_mov_b32_e32 v41, v81
	v_mov_b32_e32 v42, v82
	s_and_saveexec_b32 s30, s1
	s_cbranch_execz .LBB219_393
; %bb.388:                              ;   in Loop: Header=BB219_10 Depth=1
	v_mov_b32_e32 v57, v66
	v_bfe_u32 v46, v45, 24, 7
	s_mov_b32 s31, exec_lo
	v_mov_b32_e32 v41, v57
	v_mov_b32_e32 v42, v58
	v_cmpx_ne_u32_e32 0x7f, v46
	s_cbranch_execz .LBB219_392
; %bb.389:                              ;   in Loop: Header=BB219_10 Depth=1
	v_mov_b32_e32 v41, 7
	s_mov_b32 s33, exec_lo
	v_and_b32_sdwa v65, v45, v41 dst_sel:DWORD dst_unused:UNUSED_PAD src0_sel:BYTE_3 src1_sel:DWORD
	v_lshrrev_b32_e32 v41, 3, v46
	v_cmpx_gt_u32_e32 8, v46
; %bb.390:                              ;   in Loop: Header=BB219_10 Depth=1
	v_ffbh_u32_e32 v41, v65
	v_min_u32_e32 v41, 32, v41
	v_subrev_nc_u32_e32 v42, 28, v41
	v_sub_nc_u32_e32 v41, 29, v41
	v_lshlrev_b64 v[46:47], v42, v[65:66]
	v_and_b32_e32 v65, 7, v46
; %bb.391:                              ;   in Loop: Header=BB219_10 Depth=1
	s_or_b32 exec_lo, exec_lo, s33
	v_mov_b32_e32 v42, 24
	v_lshl_add_u32 v41, v41, 23, 0x3c000000
	v_lshlrev_b32_sdwa v42, v42, v45 dst_sel:DWORD dst_unused:UNUSED_PAD src0_sel:DWORD src1_sel:BYTE_3
	v_lshlrev_b32_e32 v45, 20, v65
	v_and_b32_e32 v42, 0x80000000, v42
	v_or3_b32 v42, v45, v42, v41
	v_mov_b32_e32 v41, v66
.LBB219_392:                            ;   in Loop: Header=BB219_10 Depth=1
	s_or_b32 exec_lo, exec_lo, s31
.LBB219_393:                            ;   in Loop: Header=BB219_10 Depth=1
	s_or_b32 exec_lo, exec_lo, s30
.LBB219_394:                            ;   in Loop: Header=BB219_10 Depth=1
	s_or_b32 exec_lo, exec_lo, s29
	global_load_dword v53, v[91:92], off offset:1536
	v_mov_b32_e32 v47, 0
	v_mov_b32_e32 v45, 0
	;; [unrolled: 1-line block ×4, first 2 shown]
	s_waitcnt vmcnt(0)
	v_cmp_ne_u16_sdwa s1, v53, v66 src0_sel:BYTE_0 src1_sel:DWORD
	s_and_saveexec_b32 s29, s1
	s_cbranch_execz .LBB219_402
; %bb.395:                              ;   in Loop: Header=BB219_10 Depth=1
	v_bfrev_b32_e32 v45, 1
	v_mov_b32_e32 v46, 0
	v_cmp_ne_u16_sdwa s1, v53, v85 src0_sel:BYTE_0 src1_sel:DWORD
	s_and_saveexec_b32 s30, s1
	s_cbranch_execz .LBB219_401
; %bb.396:                              ;   in Loop: Header=BB219_10 Depth=1
	v_mov_b32_e32 v45, 0x7f800001
	v_and_b32_e32 v49, 0x7f, v53
	v_mov_b32_e32 v46, 0
	s_mov_b32 s31, exec_lo
	v_cmpx_ne_u32_e32 0x7f, v49
	s_cbranch_execz .LBB219_400
; %bb.397:                              ;   in Loop: Header=BB219_10 Depth=1
	v_and_b32_e32 v65, 7, v53
	v_lshrrev_b32_e32 v45, 3, v49
	s_mov_b32 s33, exec_lo
	v_cmpx_gt_u32_e32 8, v49
; %bb.398:                              ;   in Loop: Header=BB219_10 Depth=1
	v_ffbh_u32_e32 v45, v65
	v_min_u32_e32 v45, 32, v45
	v_subrev_nc_u32_e32 v46, 28, v45
	v_sub_nc_u32_e32 v45, 29, v45
	v_lshlrev_b64 v[49:50], v46, v[65:66]
	v_and_b32_e32 v65, 7, v49
; %bb.399:                              ;   in Loop: Header=BB219_10 Depth=1
	s_or_b32 exec_lo, exec_lo, s33
	v_lshlrev_b32_e32 v46, 24, v53
	v_lshlrev_b32_e32 v49, 20, v65
	v_lshl_add_u32 v45, v45, 23, 0x3c000000
	v_and_b32_e32 v46, 0x80000000, v46
	v_or3_b32 v65, v49, v46, v45
	v_mov_b32_e32 v45, v65
	v_mov_b32_e32 v46, v66
.LBB219_400:                            ;   in Loop: Header=BB219_10 Depth=1
	s_or_b32 exec_lo, exec_lo, s31
.LBB219_401:                            ;   in Loop: Header=BB219_10 Depth=1
	s_or_b32 exec_lo, exec_lo, s30
.LBB219_402:                            ;   in Loop: Header=BB219_10 Depth=1
	s_or_b32 exec_lo, exec_lo, s29
	v_cmp_ne_u16_sdwa s1, v53, v66 src0_sel:BYTE_1 src1_sel:DWORD
	s_and_saveexec_b32 s29, s1
	s_cbranch_execz .LBB219_410
; %bb.403:                              ;   in Loop: Header=BB219_10 Depth=1
	v_mov_b32_e32 v81, v66
	v_cmp_ne_u16_sdwa s1, v53, v85 src0_sel:BYTE_1 src1_sel:DWORD
	v_mov_b32_e32 v47, v81
	v_mov_b32_e32 v48, v82
	s_and_saveexec_b32 s30, s1
	s_cbranch_execz .LBB219_409
; %bb.404:                              ;   in Loop: Header=BB219_10 Depth=1
	v_mov_b32_e32 v47, 0xffff
	v_mov_b32_e32 v57, v66
	s_mov_b32 s31, exec_lo
	v_and_b32_sdwa v50, v47, v53 dst_sel:DWORD dst_unused:UNUSED_PAD src0_sel:DWORD src1_sel:BYTE_1
	v_mov_b32_e32 v47, v57
	v_mov_b32_e32 v48, v58
	v_and_b32_e32 v49, 0x7f, v50
	v_cmpx_ne_u32_e32 0x7f, v49
	s_cbranch_execz .LBB219_408
; %bb.405:                              ;   in Loop: Header=BB219_10 Depth=1
	v_and_b32_e32 v65, 7, v50
	v_lshrrev_b32_e32 v47, 3, v49
	s_mov_b32 s33, exec_lo
	v_cmpx_gt_u32_e32 8, v49
; %bb.406:                              ;   in Loop: Header=BB219_10 Depth=1
	v_ffbh_u32_e32 v47, v65
	v_min_u32_e32 v47, 32, v47
	v_subrev_nc_u32_e32 v48, 28, v47
	v_sub_nc_u32_e32 v47, 29, v47
	v_lshlrev_b64 v[48:49], v48, v[65:66]
	v_and_b32_e32 v65, 7, v48
; %bb.407:                              ;   in Loop: Header=BB219_10 Depth=1
	s_or_b32 exec_lo, exec_lo, s33
	v_lshlrev_b32_e32 v48, 16, v53
	v_lshlrev_b32_e32 v49, 20, v65
	v_lshl_add_u32 v47, v47, 23, 0x3c000000
	v_and_b32_e32 v48, 0x80000000, v48
	v_or3_b32 v48, v49, v48, v47
	v_mov_b32_e32 v47, v66
.LBB219_408:                            ;   in Loop: Header=BB219_10 Depth=1
	s_or_b32 exec_lo, exec_lo, s31
.LBB219_409:                            ;   in Loop: Header=BB219_10 Depth=1
	s_or_b32 exec_lo, exec_lo, s30
.LBB219_410:                            ;   in Loop: Header=BB219_10 Depth=1
	s_or_b32 exec_lo, exec_lo, s29
	v_mov_b32_e32 v49, 0
	v_mov_b32_e32 v51, 0
	v_and_b32_sdwa v54, v53, v86 dst_sel:DWORD dst_unused:UNUSED_PAD src0_sel:WORD_1 src1_sel:DWORD
	v_mov_b32_e32 v50, 0
	v_mov_b32_e32 v52, 0
	s_mov_b32 s29, exec_lo
	v_cmpx_ne_u16_e32 0, v54
	s_cbranch_execz .LBB219_418
; %bb.411:                              ;   in Loop: Header=BB219_10 Depth=1
	v_bfrev_b32_e32 v51, 1
	v_mov_b32_e32 v52, 0
	s_mov_b32 s30, exec_lo
	v_cmpx_ne_u16_e32 0x80, v54
	s_cbranch_execz .LBB219_417
; %bb.412:                              ;   in Loop: Header=BB219_10 Depth=1
	v_mov_b32_e32 v51, 0x7f800001
	v_bfe_u32 v54, v53, 16, 7
	v_mov_b32_e32 v52, 0
	s_mov_b32 s31, exec_lo
	v_cmpx_ne_u32_e32 0x7f, v54
	s_cbranch_execz .LBB219_416
; %bb.413:                              ;   in Loop: Header=BB219_10 Depth=1
	v_mov_b32_e32 v51, 7
	s_mov_b32 s33, exec_lo
	v_and_b32_sdwa v65, v53, v51 dst_sel:DWORD dst_unused:UNUSED_PAD src0_sel:WORD_1 src1_sel:DWORD
	v_lshrrev_b32_e32 v51, 3, v54
	v_cmpx_gt_u32_e32 8, v54
; %bb.414:                              ;   in Loop: Header=BB219_10 Depth=1
	v_ffbh_u32_e32 v51, v65
	v_min_u32_e32 v51, 32, v51
	v_subrev_nc_u32_e32 v52, 28, v51
	v_sub_nc_u32_e32 v51, 29, v51
	v_lshlrev_b64 v[54:55], v52, v[65:66]
	v_and_b32_e32 v65, 7, v54
; %bb.415:                              ;   in Loop: Header=BB219_10 Depth=1
	s_or_b32 exec_lo, exec_lo, s33
	v_mov_b32_e32 v52, 24
	v_lshlrev_b32_e32 v54, 20, v65
	v_lshl_add_u32 v51, v51, 23, 0x3c000000
	v_lshlrev_b32_sdwa v52, v52, v53 dst_sel:DWORD dst_unused:UNUSED_PAD src0_sel:DWORD src1_sel:WORD_1
	v_and_b32_e32 v52, 0x80000000, v52
	v_or3_b32 v65, v54, v52, v51
	v_mov_b32_e32 v51, v65
	v_mov_b32_e32 v52, v66
.LBB219_416:                            ;   in Loop: Header=BB219_10 Depth=1
	s_or_b32 exec_lo, exec_lo, s31
.LBB219_417:                            ;   in Loop: Header=BB219_10 Depth=1
	s_or_b32 exec_lo, exec_lo, s30
.LBB219_418:                            ;   in Loop: Header=BB219_10 Depth=1
	s_or_b32 exec_lo, exec_lo, s29
	s_mov_b32 s29, exec_lo
	v_cmpx_lt_u32_e32 0xffffff, v53
	s_cbranch_execz .LBB219_426
; %bb.419:                              ;   in Loop: Header=BB219_10 Depth=1
	v_mov_b32_e32 v81, v66
	v_cmp_ne_u32_sdwa s1, v53, v85 src0_sel:BYTE_3 src1_sel:DWORD
	v_mov_b32_e32 v49, v81
	v_mov_b32_e32 v50, v82
	s_and_saveexec_b32 s30, s1
	s_cbranch_execz .LBB219_425
; %bb.420:                              ;   in Loop: Header=BB219_10 Depth=1
	v_mov_b32_e32 v57, v66
	v_bfe_u32 v54, v53, 24, 7
	s_mov_b32 s31, exec_lo
	v_mov_b32_e32 v49, v57
	v_mov_b32_e32 v50, v58
	v_cmpx_ne_u32_e32 0x7f, v54
	s_cbranch_execz .LBB219_424
; %bb.421:                              ;   in Loop: Header=BB219_10 Depth=1
	v_mov_b32_e32 v49, 7
	s_mov_b32 s33, exec_lo
	v_and_b32_sdwa v65, v53, v49 dst_sel:DWORD dst_unused:UNUSED_PAD src0_sel:BYTE_3 src1_sel:DWORD
	v_lshrrev_b32_e32 v49, 3, v54
	v_cmpx_gt_u32_e32 8, v54
; %bb.422:                              ;   in Loop: Header=BB219_10 Depth=1
	v_ffbh_u32_e32 v49, v65
	v_min_u32_e32 v49, 32, v49
	v_subrev_nc_u32_e32 v50, 28, v49
	v_sub_nc_u32_e32 v49, 29, v49
	v_lshlrev_b64 v[54:55], v50, v[65:66]
	v_and_b32_e32 v65, 7, v54
; %bb.423:                              ;   in Loop: Header=BB219_10 Depth=1
	s_or_b32 exec_lo, exec_lo, s33
	v_mov_b32_e32 v50, 24
	v_lshl_add_u32 v49, v49, 23, 0x3c000000
	v_lshlrev_b32_sdwa v50, v50, v53 dst_sel:DWORD dst_unused:UNUSED_PAD src0_sel:DWORD src1_sel:BYTE_3
	v_lshlrev_b32_e32 v53, 20, v65
	v_and_b32_e32 v50, 0x80000000, v50
	v_or3_b32 v50, v53, v50, v49
	v_mov_b32_e32 v49, v66
.LBB219_424:                            ;   in Loop: Header=BB219_10 Depth=1
	s_or_b32 exec_lo, exec_lo, s31
.LBB219_425:                            ;   in Loop: Header=BB219_10 Depth=1
	s_or_b32 exec_lo, exec_lo, s30
.LBB219_426:                            ;   in Loop: Header=BB219_10 Depth=1
	s_or_b32 exec_lo, exec_lo, s29
	global_load_dword v61, v[91:92], off offset:1540
	v_mov_b32_e32 v55, 0
	v_mov_b32_e32 v53, 0
	;; [unrolled: 1-line block ×4, first 2 shown]
	s_waitcnt vmcnt(0)
	v_cmp_ne_u16_sdwa s1, v61, v66 src0_sel:BYTE_0 src1_sel:DWORD
	s_and_saveexec_b32 s29, s1
	s_cbranch_execz .LBB219_434
; %bb.427:                              ;   in Loop: Header=BB219_10 Depth=1
	v_bfrev_b32_e32 v53, 1
	v_mov_b32_e32 v54, 0
	v_cmp_ne_u16_sdwa s1, v61, v85 src0_sel:BYTE_0 src1_sel:DWORD
	s_and_saveexec_b32 s30, s1
	s_cbranch_execz .LBB219_433
; %bb.428:                              ;   in Loop: Header=BB219_10 Depth=1
	v_mov_b32_e32 v53, 0x7f800001
	v_and_b32_e32 v57, 0x7f, v61
	v_mov_b32_e32 v54, 0
	s_mov_b32 s31, exec_lo
	v_cmpx_ne_u32_e32 0x7f, v57
	s_cbranch_execz .LBB219_432
; %bb.429:                              ;   in Loop: Header=BB219_10 Depth=1
	v_and_b32_e32 v65, 7, v61
	v_lshrrev_b32_e32 v53, 3, v57
	s_mov_b32 s33, exec_lo
	v_cmpx_gt_u32_e32 8, v57
; %bb.430:                              ;   in Loop: Header=BB219_10 Depth=1
	v_ffbh_u32_e32 v53, v65
	v_min_u32_e32 v53, 32, v53
	v_subrev_nc_u32_e32 v54, 28, v53
	v_sub_nc_u32_e32 v53, 29, v53
	v_lshlrev_b64 v[59:60], v54, v[65:66]
	v_and_b32_e32 v65, 7, v59
; %bb.431:                              ;   in Loop: Header=BB219_10 Depth=1
	s_or_b32 exec_lo, exec_lo, s33
	v_lshlrev_b32_e32 v54, 24, v61
	v_lshlrev_b32_e32 v57, 20, v65
	v_lshl_add_u32 v53, v53, 23, 0x3c000000
	v_and_b32_e32 v54, 0x80000000, v54
	v_or3_b32 v65, v57, v54, v53
	v_mov_b32_e32 v53, v65
	v_mov_b32_e32 v54, v66
.LBB219_432:                            ;   in Loop: Header=BB219_10 Depth=1
	s_or_b32 exec_lo, exec_lo, s31
.LBB219_433:                            ;   in Loop: Header=BB219_10 Depth=1
	s_or_b32 exec_lo, exec_lo, s30
.LBB219_434:                            ;   in Loop: Header=BB219_10 Depth=1
	s_or_b32 exec_lo, exec_lo, s29
	v_cmp_ne_u16_sdwa s1, v61, v66 src0_sel:BYTE_1 src1_sel:DWORD
	s_and_saveexec_b32 s29, s1
	s_cbranch_execz .LBB219_442
; %bb.435:                              ;   in Loop: Header=BB219_10 Depth=1
	v_mov_b32_e32 v81, v66
	v_cmp_ne_u16_sdwa s1, v61, v85 src0_sel:BYTE_1 src1_sel:DWORD
	v_mov_b32_e32 v55, v81
	v_mov_b32_e32 v56, v82
	s_and_saveexec_b32 s30, s1
	s_cbranch_execz .LBB219_441
; %bb.436:                              ;   in Loop: Header=BB219_10 Depth=1
	v_mov_b32_e32 v55, 0xffff
	v_mov_b32_e32 v57, v66
	s_mov_b32 s31, exec_lo
	v_and_b32_sdwa v60, v55, v61 dst_sel:DWORD dst_unused:UNUSED_PAD src0_sel:DWORD src1_sel:BYTE_1
	v_mov_b32_e32 v55, v57
	v_mov_b32_e32 v56, v58
	v_and_b32_e32 v59, 0x7f, v60
	v_cmpx_ne_u32_e32 0x7f, v59
	s_cbranch_execz .LBB219_440
; %bb.437:                              ;   in Loop: Header=BB219_10 Depth=1
	v_and_b32_e32 v65, 7, v60
	v_lshrrev_b32_e32 v55, 3, v59
	s_mov_b32 s33, exec_lo
	v_cmpx_gt_u32_e32 8, v59
; %bb.438:                              ;   in Loop: Header=BB219_10 Depth=1
	v_ffbh_u32_e32 v55, v65
	v_min_u32_e32 v55, 32, v55
	v_subrev_nc_u32_e32 v56, 28, v55
	v_sub_nc_u32_e32 v55, 29, v55
	v_lshlrev_b64 v[56:57], v56, v[65:66]
	v_and_b32_e32 v65, 7, v56
; %bb.439:                              ;   in Loop: Header=BB219_10 Depth=1
	s_or_b32 exec_lo, exec_lo, s33
	v_lshlrev_b32_e32 v56, 16, v61
	v_lshlrev_b32_e32 v57, 20, v65
	v_lshl_add_u32 v55, v55, 23, 0x3c000000
	v_and_b32_e32 v56, 0x80000000, v56
	v_or3_b32 v56, v57, v56, v55
	v_mov_b32_e32 v55, v66
.LBB219_440:                            ;   in Loop: Header=BB219_10 Depth=1
	s_or_b32 exec_lo, exec_lo, s31
.LBB219_441:                            ;   in Loop: Header=BB219_10 Depth=1
	s_or_b32 exec_lo, exec_lo, s30
.LBB219_442:                            ;   in Loop: Header=BB219_10 Depth=1
	s_or_b32 exec_lo, exec_lo, s29
	v_mov_b32_e32 v73, 0
	v_mov_b32_e32 v59, 0
	v_and_b32_sdwa v57, v61, v86 dst_sel:DWORD dst_unused:UNUSED_PAD src0_sel:WORD_1 src1_sel:DWORD
	v_mov_b32_e32 v74, 0
	v_mov_b32_e32 v60, 0
	s_mov_b32 s29, exec_lo
	v_cmpx_ne_u16_e32 0, v57
	s_cbranch_execz .LBB219_450
; %bb.443:                              ;   in Loop: Header=BB219_10 Depth=1
	v_bfrev_b32_e32 v59, 1
	v_mov_b32_e32 v60, 0
	s_mov_b32 s30, exec_lo
	v_cmpx_ne_u16_e32 0x80, v57
	s_cbranch_execz .LBB219_449
; %bb.444:                              ;   in Loop: Header=BB219_10 Depth=1
	v_mov_b32_e32 v59, 0x7f800001
	v_bfe_u32 v62, v61, 16, 7
	v_mov_b32_e32 v60, 0
	s_mov_b32 s31, exec_lo
	v_cmpx_ne_u32_e32 0x7f, v62
	s_cbranch_execz .LBB219_448
; %bb.445:                              ;   in Loop: Header=BB219_10 Depth=1
	v_mov_b32_e32 v57, 7
	s_mov_b32 s33, exec_lo
	v_and_b32_sdwa v65, v61, v57 dst_sel:DWORD dst_unused:UNUSED_PAD src0_sel:WORD_1 src1_sel:DWORD
	v_lshrrev_b32_e32 v57, 3, v62
	v_cmpx_gt_u32_e32 8, v62
; %bb.446:                              ;   in Loop: Header=BB219_10 Depth=1
	v_ffbh_u32_e32 v57, v65
	v_min_u32_e32 v57, 32, v57
	v_subrev_nc_u32_e32 v59, 28, v57
	v_sub_nc_u32_e32 v57, 29, v57
	v_lshlrev_b64 v[59:60], v59, v[65:66]
	v_and_b32_e32 v65, 7, v59
; %bb.447:                              ;   in Loop: Header=BB219_10 Depth=1
	s_or_b32 exec_lo, exec_lo, s33
	v_mov_b32_e32 v59, 24
	v_lshlrev_b32_e32 v60, 20, v65
	v_lshl_add_u32 v57, v57, 23, 0x3c000000
	v_lshlrev_b32_sdwa v59, v59, v61 dst_sel:DWORD dst_unused:UNUSED_PAD src0_sel:DWORD src1_sel:WORD_1
	v_and_b32_e32 v59, 0x80000000, v59
	v_or3_b32 v65, v60, v59, v57
	v_mov_b32_e32 v59, v65
	v_mov_b32_e32 v60, v66
.LBB219_448:                            ;   in Loop: Header=BB219_10 Depth=1
	s_or_b32 exec_lo, exec_lo, s31
.LBB219_449:                            ;   in Loop: Header=BB219_10 Depth=1
	s_or_b32 exec_lo, exec_lo, s30
.LBB219_450:                            ;   in Loop: Header=BB219_10 Depth=1
	s_or_b32 exec_lo, exec_lo, s29
	s_mov_b32 s29, exec_lo
	v_cmpx_lt_u32_e32 0xffffff, v61
	s_cbranch_execz .LBB219_458
; %bb.451:                              ;   in Loop: Header=BB219_10 Depth=1
	v_mov_b32_e32 v81, v66
	v_cmp_ne_u32_sdwa s1, v61, v85 src0_sel:BYTE_3 src1_sel:DWORD
	v_mov_b32_e32 v73, v81
	v_mov_b32_e32 v74, v82
	s_and_saveexec_b32 s30, s1
	s_cbranch_execz .LBB219_457
; %bb.452:                              ;   in Loop: Header=BB219_10 Depth=1
	v_mov_b32_e32 v57, v66
	v_mov_b32_e32 v74, v58
	v_bfe_u32 v62, v61, 24, 7
	s_mov_b32 s31, exec_lo
	v_mov_b32_e32 v73, v57
	v_cmpx_ne_u32_e32 0x7f, v62
	s_cbranch_execz .LBB219_456
; %bb.453:                              ;   in Loop: Header=BB219_10 Depth=1
	v_mov_b32_e32 v57, 7
	s_mov_b32 s33, exec_lo
	v_and_b32_sdwa v65, v61, v57 dst_sel:DWORD dst_unused:UNUSED_PAD src0_sel:BYTE_3 src1_sel:DWORD
	v_lshrrev_b32_e32 v57, 3, v62
	v_cmpx_gt_u32_e32 8, v62
; %bb.454:                              ;   in Loop: Header=BB219_10 Depth=1
	v_ffbh_u32_e32 v57, v65
	v_min_u32_e32 v57, 32, v57
	v_subrev_nc_u32_e32 v62, 28, v57
	v_sub_nc_u32_e32 v57, 29, v57
	v_lshlrev_b64 v[62:63], v62, v[65:66]
	v_and_b32_e32 v65, 7, v62
; %bb.455:                              ;   in Loop: Header=BB219_10 Depth=1
	s_or_b32 exec_lo, exec_lo, s33
	v_mov_b32_e32 v62, 24
	v_lshl_add_u32 v57, v57, 23, 0x3c000000
	v_mov_b32_e32 v73, v66
	v_lshlrev_b32_sdwa v61, v62, v61 dst_sel:DWORD dst_unused:UNUSED_PAD src0_sel:DWORD src1_sel:BYTE_3
	v_lshlrev_b32_e32 v62, 20, v65
	v_and_b32_e32 v61, 0x80000000, v61
	v_or3_b32 v74, v62, v61, v57
.LBB219_456:                            ;   in Loop: Header=BB219_10 Depth=1
	s_or_b32 exec_lo, exec_lo, s31
.LBB219_457:                            ;   in Loop: Header=BB219_10 Depth=1
	s_or_b32 exec_lo, exec_lo, s30
.LBB219_458:                            ;   in Loop: Header=BB219_10 Depth=1
	s_or_b32 exec_lo, exec_lo, s29
	global_load_dword v75, v[91:92], off offset:1544
	v_mov_b32_e32 v63, 0
	v_mov_b32_e32 v61, 0
	;; [unrolled: 1-line block ×4, first 2 shown]
	s_waitcnt vmcnt(0)
	v_cmp_ne_u16_sdwa s1, v75, v66 src0_sel:BYTE_0 src1_sel:DWORD
	s_and_saveexec_b32 s29, s1
	s_cbranch_execz .LBB219_466
; %bb.459:                              ;   in Loop: Header=BB219_10 Depth=1
	v_bfrev_b32_e32 v61, 1
	v_mov_b32_e32 v62, 0
	v_cmp_ne_u16_sdwa s1, v75, v85 src0_sel:BYTE_0 src1_sel:DWORD
	s_and_saveexec_b32 s30, s1
	s_cbranch_execz .LBB219_465
; %bb.460:                              ;   in Loop: Header=BB219_10 Depth=1
	v_mov_b32_e32 v61, 0x7f800001
	v_and_b32_e32 v71, 0x7f, v75
	v_mov_b32_e32 v62, 0
	s_mov_b32 s31, exec_lo
	v_cmpx_ne_u32_e32 0x7f, v71
	s_cbranch_execz .LBB219_464
; %bb.461:                              ;   in Loop: Header=BB219_10 Depth=1
	v_and_b32_e32 v65, 7, v75
	v_lshrrev_b32_e32 v57, 3, v71
	s_mov_b32 s33, exec_lo
	v_cmpx_gt_u32_e32 8, v71
; %bb.462:                              ;   in Loop: Header=BB219_10 Depth=1
	v_ffbh_u32_e32 v57, v65
	v_min_u32_e32 v57, 32, v57
	v_subrev_nc_u32_e32 v61, 28, v57
	v_sub_nc_u32_e32 v57, 29, v57
	v_lshlrev_b64 v[61:62], v61, v[65:66]
	v_and_b32_e32 v65, 7, v61
; %bb.463:                              ;   in Loop: Header=BB219_10 Depth=1
	s_or_b32 exec_lo, exec_lo, s33
	v_lshlrev_b32_e32 v61, 24, v75
	v_lshlrev_b32_e32 v62, 20, v65
	v_lshl_add_u32 v57, v57, 23, 0x3c000000
	v_and_b32_e32 v61, 0x80000000, v61
	v_or3_b32 v65, v62, v61, v57
	v_mov_b32_e32 v61, v65
	v_mov_b32_e32 v62, v66
.LBB219_464:                            ;   in Loop: Header=BB219_10 Depth=1
	s_or_b32 exec_lo, exec_lo, s31
.LBB219_465:                            ;   in Loop: Header=BB219_10 Depth=1
	s_or_b32 exec_lo, exec_lo, s30
.LBB219_466:                            ;   in Loop: Header=BB219_10 Depth=1
	s_or_b32 exec_lo, exec_lo, s29
	v_cmp_ne_u16_sdwa s1, v75, v66 src0_sel:BYTE_1 src1_sel:DWORD
	s_and_saveexec_b32 s29, s1
	s_cbranch_execz .LBB219_474
; %bb.467:                              ;   in Loop: Header=BB219_10 Depth=1
	v_mov_b32_e32 v81, v66
	v_cmp_ne_u16_sdwa s1, v75, v85 src0_sel:BYTE_1 src1_sel:DWORD
	v_mov_b32_e32 v63, v81
	v_mov_b32_e32 v64, v82
	s_and_saveexec_b32 s30, s1
	s_cbranch_execz .LBB219_473
; %bb.468:                              ;   in Loop: Header=BB219_10 Depth=1
	v_mov_b32_e32 v57, 0xffff
	s_mov_b32 s31, exec_lo
	v_and_b32_sdwa v65, v57, v75 dst_sel:DWORD dst_unused:UNUSED_PAD src0_sel:DWORD src1_sel:BYTE_1
	v_mov_b32_e32 v57, v66
	v_mov_b32_e32 v64, v58
	v_and_b32_e32 v71, 0x7f, v65
	v_mov_b32_e32 v63, v57
	v_cmpx_ne_u32_e32 0x7f, v71
	s_cbranch_execz .LBB219_472
; %bb.469:                              ;   in Loop: Header=BB219_10 Depth=1
	v_and_b32_e32 v65, 7, v65
	v_lshrrev_b32_e32 v57, 3, v71
	s_mov_b32 s33, exec_lo
	v_cmpx_gt_u32_e32 8, v71
; %bb.470:                              ;   in Loop: Header=BB219_10 Depth=1
	v_ffbh_u32_e32 v57, v65
	v_min_u32_e32 v57, 32, v57
	v_subrev_nc_u32_e32 v63, 28, v57
	v_sub_nc_u32_e32 v57, 29, v57
	v_lshlrev_b64 v[63:64], v63, v[65:66]
	v_and_b32_e32 v65, 7, v63
; %bb.471:                              ;   in Loop: Header=BB219_10 Depth=1
	s_or_b32 exec_lo, exec_lo, s33
	v_lshlrev_b32_e32 v63, 16, v75
	v_lshlrev_b32_e32 v64, 20, v65
	v_lshl_add_u32 v57, v57, 23, 0x3c000000
	v_and_b32_e32 v63, 0x80000000, v63
	v_or3_b32 v64, v64, v63, v57
	v_mov_b32_e32 v63, v66
.LBB219_472:                            ;   in Loop: Header=BB219_10 Depth=1
	s_or_b32 exec_lo, exec_lo, s31
.LBB219_473:                            ;   in Loop: Header=BB219_10 Depth=1
	s_or_b32 exec_lo, exec_lo, s30
.LBB219_474:                            ;   in Loop: Header=BB219_10 Depth=1
	s_or_b32 exec_lo, exec_lo, s29
	v_mov_b32_e32 v71, 0
	v_mov_b32_e32 v79, 0
	v_and_b32_sdwa v57, v75, v86 dst_sel:DWORD dst_unused:UNUSED_PAD src0_sel:WORD_1 src1_sel:DWORD
	v_mov_b32_e32 v72, 0
	v_mov_b32_e32 v80, 0
	s_mov_b32 s29, exec_lo
	v_cmpx_ne_u16_e32 0, v57
	s_cbranch_execz .LBB219_482
; %bb.475:                              ;   in Loop: Header=BB219_10 Depth=1
	v_bfrev_b32_e32 v79, 1
	v_mov_b32_e32 v80, 0
	s_mov_b32 s30, exec_lo
	v_cmpx_ne_u16_e32 0x80, v57
	s_cbranch_execz .LBB219_481
; %bb.476:                              ;   in Loop: Header=BB219_10 Depth=1
	v_mov_b32_e32 v79, 0x7f800001
	v_bfe_u32 v76, v75, 16, 7
	v_mov_b32_e32 v80, 0
	s_mov_b32 s31, exec_lo
	v_cmpx_ne_u32_e32 0x7f, v76
	s_cbranch_execz .LBB219_480
; %bb.477:                              ;   in Loop: Header=BB219_10 Depth=1
	v_mov_b32_e32 v57, 7
	s_mov_b32 s33, exec_lo
	v_and_b32_sdwa v65, v75, v57 dst_sel:DWORD dst_unused:UNUSED_PAD src0_sel:WORD_1 src1_sel:DWORD
	v_lshrrev_b32_e32 v57, 3, v76
	v_cmpx_gt_u32_e32 8, v76
; %bb.478:                              ;   in Loop: Header=BB219_10 Depth=1
	v_ffbh_u32_e32 v57, v65
	v_min_u32_e32 v57, 32, v57
	v_subrev_nc_u32_e32 v76, 28, v57
	v_sub_nc_u32_e32 v57, 29, v57
	v_lshlrev_b64 v[76:77], v76, v[65:66]
	v_and_b32_e32 v65, 7, v76
; %bb.479:                              ;   in Loop: Header=BB219_10 Depth=1
	s_or_b32 exec_lo, exec_lo, s33
	v_mov_b32_e32 v76, 24
	v_lshlrev_b32_e32 v65, 20, v65
	v_lshl_add_u32 v57, v57, 23, 0x3c000000
	v_lshlrev_b32_sdwa v76, v76, v75 dst_sel:DWORD dst_unused:UNUSED_PAD src0_sel:DWORD src1_sel:WORD_1
	v_and_b32_e32 v76, 0x80000000, v76
	v_or3_b32 v65, v65, v76, v57
	v_mov_b32_e32 v80, v66
	v_mov_b32_e32 v79, v65
.LBB219_480:                            ;   in Loop: Header=BB219_10 Depth=1
	s_or_b32 exec_lo, exec_lo, s31
.LBB219_481:                            ;   in Loop: Header=BB219_10 Depth=1
	s_or_b32 exec_lo, exec_lo, s30
.LBB219_482:                            ;   in Loop: Header=BB219_10 Depth=1
	s_or_b32 exec_lo, exec_lo, s29
	s_mov_b32 s29, exec_lo
	v_cmpx_lt_u32_e32 0xffffff, v75
	s_cbranch_execz .LBB219_490
; %bb.483:                              ;   in Loop: Header=BB219_10 Depth=1
	v_mov_b32_e32 v81, v66
	v_cmp_ne_u32_sdwa s1, v75, v85 src0_sel:BYTE_3 src1_sel:DWORD
	v_mov_b32_e32 v71, v81
	v_mov_b32_e32 v72, v82
	s_and_saveexec_b32 s30, s1
	s_cbranch_execz .LBB219_489
; %bb.484:                              ;   in Loop: Header=BB219_10 Depth=1
	v_mov_b32_e32 v57, v66
	v_mov_b32_e32 v72, v58
	v_bfe_u32 v76, v75, 24, 7
	s_mov_b32 s31, exec_lo
	v_mov_b32_e32 v71, v57
	v_cmpx_ne_u32_e32 0x7f, v76
	s_cbranch_execz .LBB219_488
; %bb.485:                              ;   in Loop: Header=BB219_10 Depth=1
	v_mov_b32_e32 v57, 7
	s_mov_b32 s33, exec_lo
	v_and_b32_sdwa v65, v75, v57 dst_sel:DWORD dst_unused:UNUSED_PAD src0_sel:BYTE_3 src1_sel:DWORD
	v_lshrrev_b32_e32 v57, 3, v76
	v_cmpx_gt_u32_e32 8, v76
; %bb.486:                              ;   in Loop: Header=BB219_10 Depth=1
	v_ffbh_u32_e32 v57, v65
	v_min_u32_e32 v57, 32, v57
	v_subrev_nc_u32_e32 v71, 28, v57
	v_sub_nc_u32_e32 v57, 29, v57
	v_lshlrev_b64 v[71:72], v71, v[65:66]
	v_and_b32_e32 v65, 7, v71
; %bb.487:                              ;   in Loop: Header=BB219_10 Depth=1
	s_or_b32 exec_lo, exec_lo, s33
	v_mov_b32_e32 v71, 24
	v_lshlrev_b32_e32 v65, 20, v65
	v_lshl_add_u32 v57, v57, 23, 0x3c000000
	v_lshlrev_b32_sdwa v71, v71, v75 dst_sel:DWORD dst_unused:UNUSED_PAD src0_sel:DWORD src1_sel:BYTE_3
	v_and_b32_e32 v71, 0x80000000, v71
	v_or3_b32 v72, v65, v71, v57
	v_mov_b32_e32 v71, v66
.LBB219_488:                            ;   in Loop: Header=BB219_10 Depth=1
	s_or_b32 exec_lo, exec_lo, s31
.LBB219_489:                            ;   in Loop: Header=BB219_10 Depth=1
	s_or_b32 exec_lo, exec_lo, s30
.LBB219_490:                            ;   in Loop: Header=BB219_10 Depth=1
	s_or_b32 exec_lo, exec_lo, s29
	global_load_dword v93, v[91:92], off offset:1548
	v_mov_b32_e32 v77, 0
	v_mov_b32_e32 v91, 0
	;; [unrolled: 1-line block ×4, first 2 shown]
	s_waitcnt vmcnt(0)
	v_cmp_ne_u16_sdwa s1, v93, v66 src0_sel:BYTE_0 src1_sel:DWORD
	s_and_saveexec_b32 s29, s1
	s_cbranch_execz .LBB219_498
; %bb.491:                              ;   in Loop: Header=BB219_10 Depth=1
	v_bfrev_b32_e32 v91, 1
	v_mov_b32_e32 v92, 0
	v_cmp_ne_u16_sdwa s1, v93, v85 src0_sel:BYTE_0 src1_sel:DWORD
	s_and_saveexec_b32 s30, s1
	s_cbranch_execz .LBB219_497
; %bb.492:                              ;   in Loop: Header=BB219_10 Depth=1
	v_mov_b32_e32 v91, 0x7f800001
	v_and_b32_e32 v75, 0x7f, v93
	v_mov_b32_e32 v92, 0
	s_mov_b32 s31, exec_lo
	v_cmpx_ne_u32_e32 0x7f, v75
	s_cbranch_execz .LBB219_496
; %bb.493:                              ;   in Loop: Header=BB219_10 Depth=1
	v_and_b32_e32 v65, 7, v93
	v_lshrrev_b32_e32 v57, 3, v75
	s_mov_b32 s33, exec_lo
	v_cmpx_gt_u32_e32 8, v75
; %bb.494:                              ;   in Loop: Header=BB219_10 Depth=1
	v_ffbh_u32_e32 v57, v65
	v_min_u32_e32 v57, 32, v57
	v_subrev_nc_u32_e32 v75, 28, v57
	v_sub_nc_u32_e32 v57, 29, v57
	v_lshlrev_b64 v[75:76], v75, v[65:66]
	v_and_b32_e32 v65, 7, v75
; %bb.495:                              ;   in Loop: Header=BB219_10 Depth=1
	s_or_b32 exec_lo, exec_lo, s33
	v_lshlrev_b32_e32 v75, 24, v93
	v_lshlrev_b32_e32 v65, 20, v65
	v_lshl_add_u32 v57, v57, 23, 0x3c000000
	v_and_b32_e32 v75, 0x80000000, v75
	v_or3_b32 v65, v65, v75, v57
	v_mov_b32_e32 v92, v66
	v_mov_b32_e32 v91, v65
.LBB219_496:                            ;   in Loop: Header=BB219_10 Depth=1
	s_or_b32 exec_lo, exec_lo, s31
.LBB219_497:                            ;   in Loop: Header=BB219_10 Depth=1
	s_or_b32 exec_lo, exec_lo, s30
.LBB219_498:                            ;   in Loop: Header=BB219_10 Depth=1
	s_or_b32 exec_lo, exec_lo, s29
	v_cmp_ne_u16_sdwa s1, v93, v66 src0_sel:BYTE_1 src1_sel:DWORD
	s_and_saveexec_b32 s29, s1
	s_cbranch_execz .LBB219_506
; %bb.499:                              ;   in Loop: Header=BB219_10 Depth=1
	v_mov_b32_e32 v81, v66
	v_cmp_ne_u16_sdwa s1, v93, v85 src0_sel:BYTE_1 src1_sel:DWORD
	v_mov_b32_e32 v77, v81
	v_mov_b32_e32 v78, v82
	s_and_saveexec_b32 s30, s1
	s_cbranch_execz .LBB219_505
; %bb.500:                              ;   in Loop: Header=BB219_10 Depth=1
	v_mov_b32_e32 v57, 0xffff
	s_mov_b32 s31, exec_lo
	v_and_b32_sdwa v65, v57, v93 dst_sel:DWORD dst_unused:UNUSED_PAD src0_sel:DWORD src1_sel:BYTE_1
	v_mov_b32_e32 v57, v66
	v_mov_b32_e32 v78, v58
	v_and_b32_e32 v75, 0x7f, v65
	v_mov_b32_e32 v77, v57
	v_cmpx_ne_u32_e32 0x7f, v75
	s_cbranch_execz .LBB219_504
; %bb.501:                              ;   in Loop: Header=BB219_10 Depth=1
	v_and_b32_e32 v65, 7, v65
	v_lshrrev_b32_e32 v57, 3, v75
	s_mov_b32 s33, exec_lo
	v_cmpx_gt_u32_e32 8, v75
; %bb.502:                              ;   in Loop: Header=BB219_10 Depth=1
	v_ffbh_u32_e32 v57, v65
	v_min_u32_e32 v57, 32, v57
	v_subrev_nc_u32_e32 v75, 28, v57
	v_sub_nc_u32_e32 v57, 29, v57
	v_lshlrev_b64 v[75:76], v75, v[65:66]
	v_and_b32_e32 v65, 7, v75
; %bb.503:                              ;   in Loop: Header=BB219_10 Depth=1
	s_or_b32 exec_lo, exec_lo, s33
	v_lshlrev_b32_e32 v75, 16, v93
	v_lshlrev_b32_e32 v65, 20, v65
	v_lshl_add_u32 v57, v57, 23, 0x3c000000
	v_mov_b32_e32 v77, v66
	v_and_b32_e32 v75, 0x80000000, v75
	v_or3_b32 v78, v65, v75, v57
.LBB219_504:                            ;   in Loop: Header=BB219_10 Depth=1
	s_or_b32 exec_lo, exec_lo, s31
.LBB219_505:                            ;   in Loop: Header=BB219_10 Depth=1
	s_or_b32 exec_lo, exec_lo, s30
.LBB219_506:                            ;   in Loop: Header=BB219_10 Depth=1
	s_or_b32 exec_lo, exec_lo, s29
	v_mov_b32_e32 v75, 0
	v_mov_b32_e32 v83, 0
	v_and_b32_sdwa v57, v93, v86 dst_sel:DWORD dst_unused:UNUSED_PAD src0_sel:WORD_1 src1_sel:DWORD
	v_mov_b32_e32 v76, 0
	v_mov_b32_e32 v84, 0
	s_mov_b32 s29, exec_lo
	v_cmpx_ne_u16_e32 0, v57
	s_cbranch_execz .LBB219_514
; %bb.507:                              ;   in Loop: Header=BB219_10 Depth=1
	v_bfrev_b32_e32 v83, 1
	v_mov_b32_e32 v84, 0
	s_mov_b32 s30, exec_lo
	v_cmpx_ne_u16_e32 0x80, v57
	s_cbranch_execz .LBB219_513
; %bb.508:                              ;   in Loop: Header=BB219_10 Depth=1
	v_mov_b32_e32 v83, 0x7f800001
	v_bfe_u32 v81, v93, 16, 7
	v_mov_b32_e32 v84, 0
	s_mov_b32 s31, exec_lo
	v_cmpx_ne_u32_e32 0x7f, v81
	s_cbranch_execz .LBB219_512
; %bb.509:                              ;   in Loop: Header=BB219_10 Depth=1
	v_mov_b32_e32 v57, 7
	s_mov_b32 s33, exec_lo
	v_and_b32_sdwa v65, v93, v57 dst_sel:DWORD dst_unused:UNUSED_PAD src0_sel:WORD_1 src1_sel:DWORD
	v_lshrrev_b32_e32 v57, 3, v81
	v_cmpx_gt_u32_e32 8, v81
; %bb.510:                              ;   in Loop: Header=BB219_10 Depth=1
	v_ffbh_u32_e32 v57, v65
	v_min_u32_e32 v57, 32, v57
	v_subrev_nc_u32_e32 v81, 28, v57
	v_sub_nc_u32_e32 v57, 29, v57
	v_lshlrev_b64 v[83:84], v81, v[65:66]
	v_and_b32_e32 v65, 7, v83
; %bb.511:                              ;   in Loop: Header=BB219_10 Depth=1
	s_or_b32 exec_lo, exec_lo, s33
	v_mov_b32_e32 v81, 24
	v_lshlrev_b32_e32 v65, 20, v65
	v_lshl_add_u32 v57, v57, 23, 0x3c000000
	v_lshlrev_b32_sdwa v81, v81, v93 dst_sel:DWORD dst_unused:UNUSED_PAD src0_sel:DWORD src1_sel:WORD_1
	v_and_b32_e32 v81, 0x80000000, v81
	v_or3_b32 v65, v65, v81, v57
	v_mov_b32_e32 v84, v66
	v_mov_b32_e32 v83, v65
.LBB219_512:                            ;   in Loop: Header=BB219_10 Depth=1
	s_or_b32 exec_lo, exec_lo, s31
.LBB219_513:                            ;   in Loop: Header=BB219_10 Depth=1
	s_or_b32 exec_lo, exec_lo, s30
.LBB219_514:                            ;   in Loop: Header=BB219_10 Depth=1
	s_or_b32 exec_lo, exec_lo, s29
	s_mov_b32 s29, exec_lo
	v_cmpx_lt_u32_e32 0xffffff, v93
	s_cbranch_execz .LBB219_9
; %bb.515:                              ;   in Loop: Header=BB219_10 Depth=1
	v_mov_b32_e32 v81, v66
	v_cmp_ne_u32_sdwa s1, v93, v85 src0_sel:BYTE_3 src1_sel:DWORD
	v_mov_b32_e32 v75, v81
	v_mov_b32_e32 v76, v82
	s_and_saveexec_b32 s30, s1
	s_cbranch_execz .LBB219_8
; %bb.516:                              ;   in Loop: Header=BB219_10 Depth=1
	v_mov_b32_e32 v57, v66
	v_mov_b32_e32 v76, v58
	v_bfe_u32 v81, v93, 24, 7
	s_mov_b32 s31, exec_lo
	v_mov_b32_e32 v75, v57
	v_cmpx_ne_u32_e32 0x7f, v81
	s_cbranch_execz .LBB219_7
; %bb.517:                              ;   in Loop: Header=BB219_10 Depth=1
	v_mov_b32_e32 v57, 7
	s_mov_b32 s33, exec_lo
	v_and_b32_sdwa v65, v93, v57 dst_sel:DWORD dst_unused:UNUSED_PAD src0_sel:BYTE_3 src1_sel:DWORD
	v_lshrrev_b32_e32 v57, 3, v81
	v_cmpx_gt_u32_e32 8, v81
	s_cbranch_execz .LBB219_6
; %bb.518:                              ;   in Loop: Header=BB219_10 Depth=1
	v_ffbh_u32_e32 v57, v65
	v_min_u32_e32 v57, 32, v57
	v_subrev_nc_u32_e32 v75, 28, v57
	v_sub_nc_u32_e32 v57, 29, v57
	v_lshlrev_b64 v[75:76], v75, v[65:66]
	v_and_b32_e32 v65, 7, v75
	s_branch .LBB219_6
.LBB219_519:
	s_or_b32 exec_lo, exec_lo, s16
	s_clause 0x3
	buffer_load_dword v115, off, s[36:39], 0 offset:328
	buffer_load_dword v117, off, s[36:39], 0 offset:332
	;; [unrolled: 1-line block ×4, first 2 shown]
	v_mov_b32_e32 v116, v94
.LBB219_520:
	s_or_b32 exec_lo, exec_lo, s15
	v_mbcnt_lo_u32_b32 v1, -1, 0
	v_max_f32_e32 v4, v87, v87
	v_xor_b32_e32 v0, 16, v1
	v_xor_b32_e32 v3, 8, v1
	v_cmp_gt_i32_e32 vcc_lo, 32, v0
	v_cndmask_b32_e32 v0, v1, v0, vcc_lo
	v_cmp_gt_i32_e32 vcc_lo, 32, v3
	v_lshlrev_b32_e32 v0, 2, v0
	v_cndmask_b32_e32 v3, v1, v3, vcc_lo
	ds_bpermute_b32 v2, v0, v87
	s_waitcnt lgkmcnt(0)
	v_max_f32_e32 v5, v2, v2
	v_lshlrev_b32_e32 v2, 2, v3
	v_max_f32_e32 v3, v4, v5
	v_xor_b32_e32 v5, 4, v1
	ds_bpermute_b32 v4, v2, v3
	v_cmp_gt_i32_e32 vcc_lo, 32, v5
	v_cndmask_b32_e32 v5, v1, v5, vcc_lo
	v_lshlrev_b32_e32 v27, 2, v5
	v_xor_b32_e32 v5, 2, v1
	v_cmp_gt_i32_e32 vcc_lo, 32, v5
	s_waitcnt lgkmcnt(0)
	v_max_f32_e32 v4, v4, v4
	v_cndmask_b32_e32 v5, v1, v5, vcc_lo
	v_max_f32_e32 v3, v3, v4
	v_lshlrev_b32_e32 v26, 2, v5
	v_xor_b32_e32 v5, 1, v1
	ds_bpermute_b32 v4, v27, v3
	v_cmp_gt_i32_e32 vcc_lo, 32, v5
	v_cndmask_b32_e32 v5, v1, v5, vcc_lo
	s_waitcnt vmcnt(2)
	v_cmp_eq_u32_e32 vcc_lo, 0, v117
	v_lshlrev_b32_e32 v25, 2, v5
	s_waitcnt lgkmcnt(0)
	v_max_f32_e32 v4, v4, v4
	v_max_f32_e32 v3, v3, v4
	ds_bpermute_b32 v4, v26, v3
	s_waitcnt lgkmcnt(0)
	v_max_f32_e32 v4, v4, v4
	v_max_f32_e32 v1, v3, v4
	v_lshlrev_b32_e32 v3, 2, v116
	ds_bpermute_b32 v4, v25, v1
	s_and_saveexec_b32 s1, vcc_lo
	s_cbranch_execz .LBB219_522
; %bb.521:
	s_waitcnt lgkmcnt(0)
	v_max_f32_e32 v4, v4, v4
	v_max_f32_e32 v1, v1, v1
	;; [unrolled: 1-line block ×3, first 2 shown]
	ds_write_b32 v3, v1 offset:256
.LBB219_522:
	s_or_b32 exec_lo, exec_lo, s1
	v_cmp_gt_u32_e64 s1, 4, v117
	v_mov_b32_e32 v1, 0xff7fffff
	s_waitcnt vmcnt(0) lgkmcnt(0)
	s_waitcnt_vscnt null, 0x0
	s_barrier
	buffer_gl0_inv
	s_and_saveexec_b32 s2, s1
; %bb.523:
	ds_read_b32 v1, v10 offset:256
; %bb.524:
	s_or_b32 exec_lo, exec_lo, s2
	s_waitcnt lgkmcnt(0)
	ds_bpermute_b32 v4, v26, v1
	v_max_f32_e32 v1, v1, v1
	s_lshl_b32 s2, s12, 5
	s_min_i32 s4, s2, s11
	v_cmp_gt_i32_e64 s2, s4, v115
	s_waitcnt lgkmcnt(0)
	v_max_f32_e32 v4, v4, v4
	v_max_f32_e32 v1, v1, v4
	ds_bpermute_b32 v4, v25, v1
	s_waitcnt lgkmcnt(0)
	v_max_f32_e32 v4, v4, v4
	v_max_f32_e32 v1, v1, v4
	v_mov_b32_e32 v4, 0
	ds_bpermute_b32 v5, v4, v1
	v_lshl_add_u32 v1, v115, 2, 0x120
	s_and_saveexec_b32 s5, s2
	s_cbranch_execz .LBB219_528
; %bb.525:
	v_lshl_add_u32 v6, v115, 2, 0x120
	v_mov_b32_e32 v4, 0
	v_mov_b32_e32 v7, v115
	s_mov_b32 s15, 0
	.p2align	6
.LBB219_526:                            ; =>This Inner Loop Header: Depth=1
	ds_read_b32 v8, v6
	v_add_nc_u32_e32 v7, 0x80, v7
	v_cmp_le_i32_e64 s3, s4, v7
	s_or_b32 s15, s3, s15
	s_waitcnt lgkmcnt(0)
	v_sub_f32_e32 v8, v8, v5
	v_mul_f32_e32 v8, 0x3fb8aa3b, v8
	v_exp_f32_e32 v8, v8
	ds_write_b32 v6, v8
	v_add_f32_e32 v4, v4, v8
	v_add_nc_u32_e32 v6, 0x200, v6
	s_andn2_b32 exec_lo, exec_lo, s15
	s_cbranch_execnz .LBB219_526
; %bb.527:
	s_or_b32 exec_lo, exec_lo, s15
.LBB219_528:
	s_or_b32 exec_lo, exec_lo, s5
	ds_bpermute_b32 v0, v0, v4
	s_waitcnt lgkmcnt(0)
	v_add_f32_e32 v0, v4, v0
	ds_bpermute_b32 v2, v2, v0
	s_waitcnt lgkmcnt(0)
	v_add_f32_e32 v0, v0, v2
	;; [unrolled: 3-line block ×5, first 2 shown]
	s_and_saveexec_b32 s3, vcc_lo
; %bb.529:
	ds_write_b32 v3, v0 offset:272
; %bb.530:
	s_or_b32 exec_lo, exec_lo, s3
	s_waitcnt lgkmcnt(0)
	s_barrier
	buffer_gl0_inv
	s_and_saveexec_b32 s3, s1
; %bb.531:
	ds_read_b32 v0, v10 offset:272
; %bb.532:
	s_or_b32 exec_lo, exec_lo, s3
	s_waitcnt lgkmcnt(0)
	ds_bpermute_b32 v2, v26, v0
	s_waitcnt lgkmcnt(0)
	v_add_f32_e32 v0, v0, v2
	ds_bpermute_b32 v2, v25, v0
	s_waitcnt lgkmcnt(0)
	v_add_f32_e32 v0, v0, v2
	v_mov_b32_e32 v2, 0
	ds_bpermute_b32 v0, v2, v0
	s_and_saveexec_b32 s1, s2
	s_cbranch_execz .LBB219_535
; %bb.533:
	s_waitcnt lgkmcnt(0)
	v_add_f32_e32 v0, 0x358637bd, v0
	s_mov_b32 s2, 0
	v_div_scale_f32 v2, null, v0, v0, 1.0
	v_div_scale_f32 v5, vcc_lo, 1.0, v0, 1.0
	v_rcp_f32_e32 v3, v2
	v_fma_f32 v4, -v2, v3, 1.0
	v_fmac_f32_e32 v3, v4, v3
	v_mul_f32_e32 v4, v5, v3
	v_fma_f32 v6, -v2, v4, v5
	v_fmac_f32_e32 v4, v6, v3
	v_fma_f32 v2, -v2, v4, v5
	v_div_fmas_f32 v2, v2, v3, v4
	v_div_fixup_f32 v0, v2, v0, 1.0
	v_mov_b32_e32 v2, v115
.LBB219_534:                            ; =>This Inner Loop Header: Depth=1
	ds_read_b32 v3, v1
	v_add_nc_u32_e32 v2, 0x80, v2
	v_cmp_le_i32_e32 vcc_lo, s4, v2
	s_or_b32 s2, vcc_lo, s2
	s_waitcnt lgkmcnt(0)
	v_mul_f32_e32 v3, v0, v3
	ds_write_b32 v1, v3
	v_add_nc_u32_e32 v1, 0x200, v1
	s_andn2_b32 exec_lo, exec_lo, s2
	s_cbranch_execnz .LBB219_534
.LBB219_535:
	s_or_b32 exec_lo, exec_lo, s1
	v_mov_b32_e32 v42, 0
	v_and_b32_e32 v28, 7, v115
	v_mov_b32_e32 v44, 0
	v_mov_b32_e32 v43, 0
	v_mov_b32_e32 v41, 0
	v_mov_b32_e32 v40, 0
	v_mov_b32_e32 v39, 0
	v_mov_b32_e32 v38, 0
	v_mov_b32_e32 v37, 0
	v_mov_b32_e32 v36, 0
	v_mov_b32_e32 v35, 0
	v_mov_b32_e32 v34, 0
	v_mov_b32_e32 v33, 0
	v_mov_b32_e32 v32, 0
	v_mov_b32_e32 v31, 0
	v_mov_b32_e32 v30, 0
	v_mov_b32_e32 v29, 0
	s_waitcnt lgkmcnt(0)
	s_barrier
	buffer_gl0_inv
	s_and_saveexec_b32 s1, s0
	s_cbranch_execz .LBB219_1083
; %bb.536:
	v_lshlrev_b32_e32 v0, 2, v115
	s_load_dword s2, s[18:19], 0x0
	s_ashr_i32 s0, s14, 31
	s_add_u32 s4, s24, s14
	v_lshlrev_b32_e32 v2, 4, v28
	v_and_b32_e32 v1, 28, v0
	v_and_b32_e32 v0, 0x7c, v0
	s_addc_u32 s0, s25, s0
	s_add_i32 s3, s12, -1
	v_lshlrev_b32_e32 v3, 5, v116
	v_lshl_or_b32 v2, v116, 7, v2
	v_add_co_u32 v7, s4, s4, v0
	v_and_b32_e32 v0, 0x7c, v9
	v_add_co_ci_u32_e64 v8, null, s0, 0, s4
	s_lshl_b64 s[4:5], s[26:27], 2
	v_mov_b32_e32 v6, 0
	s_add_u32 s0, s22, s4
	s_addc_u32 s4, s23, s5
	v_add_co_u32 v9, s0, s0, v0
	v_or3_b32 v45, v3, v1, 3
	v_add_nc_u32_e32 v46, 0x120, v2
	v_add_co_ci_u32_e64 v10, null, s4, 0, s0
	v_mov_b32_e32 v47, 0x80
	v_bfrev_b32_e32 v12, 1
	v_mov_b32_e32 v48, 0xffff
	v_mov_b32_e32 v14, 0x7f800001
	;; [unrolled: 1-line block ×22, first 2 shown]
	s_mov_b32 s4, s13
	s_waitcnt lgkmcnt(0)
	s_mov_b32 s13, s2
	s_mov_b32 s5, 0
	s_branch .LBB219_538
.LBB219_537:                            ;   in Loop: Header=BB219_538 Depth=1
	s_or_b32 exec_lo, exec_lo, s0
	s_waitcnt lgkmcnt(0)
	v_mul_f32_e32 v16, v1, v112
	v_mul_f32_e32 v17, v1, v110
	;; [unrolled: 1-line block ×5, first 2 shown]
	v_fmac_f32_e32 v16, v2, v111
	v_fmac_f32_e32 v17, v2, v109
	;; [unrolled: 1-line block ×15, first 2 shown]
	v_add_f32_e32 v30, v30, v16
	v_add_f32_e32 v31, v31, v17
	v_add_f32_e32 v32, v32, v18
	v_add_f32_e32 v33, v33, v19
	v_mul_f32_e32 v16, v1, v90
	v_mul_f32_e32 v17, v1, v86
	v_mul_f32_e32 v18, v1, v82
	v_mul_f32_e32 v19, v1, v78
	v_mul_f32_e32 v21, v1, v94
	v_fmac_f32_e32 v16, v2, v89
	v_fmac_f32_e32 v17, v2, v85
	;; [unrolled: 1-line block ×4, first 2 shown]
	v_add_f32_e32 v34, v34, v20
	v_fmac_f32_e32 v16, v3, v88
	v_fmac_f32_e32 v17, v3, v84
	;; [unrolled: 1-line block ×4, first 2 shown]
	v_mul_f32_e32 v20, v1, v74
	v_fmac_f32_e32 v16, v4, v87
	v_fmac_f32_e32 v17, v4, v83
	;; [unrolled: 1-line block ×5, first 2 shown]
	v_add_f32_e32 v36, v36, v16
	v_add_f32_e32 v37, v37, v17
	;; [unrolled: 1-line block ×3, first 2 shown]
	v_mul_f32_e32 v16, v1, v70
	v_add_f32_e32 v39, v39, v19
	v_mul_f32_e32 v17, v1, v66
	v_mul_f32_e32 v18, v1, v62
	;; [unrolled: 1-line block ×4, first 2 shown]
	v_fmac_f32_e32 v20, v2, v73
	v_fmac_f32_e32 v16, v2, v69
	;; [unrolled: 1-line block ×13, first 2 shown]
	v_add_nc_u32_e32 v52, 4, v52
	v_fmac_f32_e32 v21, v4, v91
	v_fmac_f32_e32 v20, v4, v71
	;; [unrolled: 1-line block ×7, first 2 shown]
	v_cmp_le_i32_e32 vcc_lo, s12, v52
	v_add_co_u32 v9, s0, v9, 16
	v_add_f32_e32 v35, v35, v21
	v_add_f32_e32 v40, v40, v20
	;; [unrolled: 1-line block ×7, first 2 shown]
	v_add_nc_u32_e32 v45, 0x80, v45
	v_add_nc_u32_e32 v46, 0x200, v46
	v_add_co_ci_u32_e64 v10, null, 0, v10, s0
	s_or_b32 s5, vcc_lo, s5
	s_andn2_b32 exec_lo, exec_lo, s5
	s_cbranch_execz .LBB219_1082
.LBB219_538:                            ; =>This Inner Loop Header: Depth=1
	global_load_dword v0, v[9:10], off
	ds_read_b128 v[1:4], v46
	v_mov_b32_e32 v19, 0
	v_mov_b32_e32 v17, 0
	;; [unrolled: 1-line block ×4, first 2 shown]
	s_waitcnt vmcnt(0)
	v_mad_i64_i32 v[15:16], null, v0, s4, v[7:8]
	global_load_dword v0, v[15:16], off
	s_waitcnt vmcnt(0)
	v_cmp_ne_u16_sdwa s14, v0, v6 src0_sel:BYTE_0 src1_sel:DWORD
	s_and_saveexec_b32 s0, s14
	s_cbranch_execz .LBB219_546
; %bb.539:                              ;   in Loop: Header=BB219_538 Depth=1
	v_bfrev_b32_e32 v17, 1
	v_mov_b32_e32 v18, 0
	v_cmp_ne_u16_sdwa s15, v0, v47 src0_sel:BYTE_0 src1_sel:DWORD
	s_and_saveexec_b32 s14, s15
	s_cbranch_execz .LBB219_545
; %bb.540:                              ;   in Loop: Header=BB219_538 Depth=1
	v_mov_b32_e32 v17, 0x7f800001
	v_and_b32_e32 v13, 0x7f, v0
	v_mov_b32_e32 v18, 0
	s_mov_b32 s15, exec_lo
	v_cmpx_ne_u32_e32 0x7f, v13
	s_cbranch_execz .LBB219_544
; %bb.541:                              ;   in Loop: Header=BB219_538 Depth=1
	v_and_b32_e32 v5, 7, v0
	v_lshrrev_b32_e32 v11, 3, v13
	s_mov_b32 s16, exec_lo
	v_cmpx_gt_u32_e32 8, v13
; %bb.542:                              ;   in Loop: Header=BB219_538 Depth=1
	v_ffbh_u32_e32 v11, v5
	v_min_u32_e32 v11, 32, v11
	v_subrev_nc_u32_e32 v13, 28, v11
	v_sub_nc_u32_e32 v11, 29, v11
	v_lshlrev_b64 v[17:18], v13, v[5:6]
	v_and_b32_e32 v5, 7, v17
; %bb.543:                              ;   in Loop: Header=BB219_538 Depth=1
	s_or_b32 exec_lo, exec_lo, s16
	v_lshlrev_b32_e32 v13, 24, v0
	v_lshlrev_b32_e32 v5, 20, v5
	v_lshl_add_u32 v11, v11, 23, 0x3c000000
	v_and_b32_e32 v13, 0x80000000, v13
	v_or3_b32 v5, v5, v13, v11
	v_mov_b32_e32 v18, v6
	v_mov_b32_e32 v17, v5
.LBB219_544:                            ;   in Loop: Header=BB219_538 Depth=1
	s_or_b32 exec_lo, exec_lo, s15
.LBB219_545:                            ;   in Loop: Header=BB219_538 Depth=1
	s_or_b32 exec_lo, exec_lo, s14
.LBB219_546:                            ;   in Loop: Header=BB219_538 Depth=1
	s_or_b32 exec_lo, exec_lo, s0
	v_cmp_ne_u16_sdwa s14, v0, v6 src0_sel:BYTE_1 src1_sel:DWORD
	s_and_saveexec_b32 s0, s14
	s_cbranch_execz .LBB219_554
; %bb.547:                              ;   in Loop: Header=BB219_538 Depth=1
	v_mov_b32_e32 v11, v6
	v_mov_b32_e32 v20, v12
	v_cmp_ne_u16_sdwa s15, v0, v47 src0_sel:BYTE_1 src1_sel:DWORD
	v_mov_b32_e32 v19, v11
	s_and_saveexec_b32 s14, s15
	s_cbranch_execz .LBB219_553
; %bb.548:                              ;   in Loop: Header=BB219_538 Depth=1
	v_and_b32_sdwa v5, v48, v0 dst_sel:DWORD dst_unused:UNUSED_PAD src0_sel:DWORD src1_sel:BYTE_1
	v_mov_b32_e32 v13, v6
	v_mov_b32_e32 v20, v14
	s_mov_b32 s15, exec_lo
	v_and_b32_e32 v21, 0x7f, v5
	v_mov_b32_e32 v19, v13
	v_cmpx_ne_u32_e32 0x7f, v21
	s_cbranch_execz .LBB219_552
; %bb.549:                              ;   in Loop: Header=BB219_538 Depth=1
	v_and_b32_e32 v5, 7, v5
	v_lshrrev_b32_e32 v11, 3, v21
	s_mov_b32 s16, exec_lo
	v_cmpx_gt_u32_e32 8, v21
; %bb.550:                              ;   in Loop: Header=BB219_538 Depth=1
	v_ffbh_u32_e32 v11, v5
	v_min_u32_e32 v11, 32, v11
	v_subrev_nc_u32_e32 v13, 28, v11
	v_sub_nc_u32_e32 v11, 29, v11
	v_lshlrev_b64 v[19:20], v13, v[5:6]
	v_and_b32_e32 v5, 7, v19
; %bb.551:                              ;   in Loop: Header=BB219_538 Depth=1
	s_or_b32 exec_lo, exec_lo, s16
	v_lshlrev_b32_e32 v13, 16, v0
	v_lshlrev_b32_e32 v5, 20, v5
	v_lshl_add_u32 v11, v11, 23, 0x3c000000
	v_mov_b32_e32 v19, v6
	v_and_b32_e32 v13, 0x80000000, v13
	v_or3_b32 v20, v5, v13, v11
.LBB219_552:                            ;   in Loop: Header=BB219_538 Depth=1
	s_or_b32 exec_lo, exec_lo, s15
.LBB219_553:                            ;   in Loop: Header=BB219_538 Depth=1
	s_or_b32 exec_lo, exec_lo, s14
.LBB219_554:                            ;   in Loop: Header=BB219_538 Depth=1
	s_or_b32 exec_lo, exec_lo, s0
	v_mov_b32_e32 v23, 0
	v_mov_b32_e32 v21, 0
	v_and_b32_sdwa v5, v0, v49 dst_sel:DWORD dst_unused:UNUSED_PAD src0_sel:WORD_1 src1_sel:DWORD
	v_mov_b32_e32 v24, 0
	v_mov_b32_e32 v22, 0
	s_mov_b32 s0, exec_lo
	v_cmpx_ne_u16_e32 0, v5
	s_cbranch_execz .LBB219_562
; %bb.555:                              ;   in Loop: Header=BB219_538 Depth=1
	v_bfrev_b32_e32 v21, 1
	v_mov_b32_e32 v22, 0
	s_mov_b32 s14, exec_lo
	v_cmpx_ne_u16_e32 0x80, v5
	s_cbranch_execz .LBB219_561
; %bb.556:                              ;   in Loop: Header=BB219_538 Depth=1
	v_mov_b32_e32 v21, 0x7f800001
	v_bfe_u32 v13, v0, 16, 7
	v_mov_b32_e32 v22, 0
	s_mov_b32 s15, exec_lo
	v_cmpx_ne_u32_e32 0x7f, v13
	s_cbranch_execz .LBB219_560
; %bb.557:                              ;   in Loop: Header=BB219_538 Depth=1
	v_and_b32_sdwa v5, v0, v50 dst_sel:DWORD dst_unused:UNUSED_PAD src0_sel:WORD_1 src1_sel:DWORD
	v_lshrrev_b32_e32 v11, 3, v13
	s_mov_b32 s16, exec_lo
	v_cmpx_gt_u32_e32 8, v13
; %bb.558:                              ;   in Loop: Header=BB219_538 Depth=1
	v_ffbh_u32_e32 v11, v5
	v_min_u32_e32 v11, 32, v11
	v_subrev_nc_u32_e32 v13, 28, v11
	v_sub_nc_u32_e32 v11, 29, v11
	v_lshlrev_b64 v[21:22], v13, v[5:6]
	v_and_b32_e32 v5, 7, v21
; %bb.559:                              ;   in Loop: Header=BB219_538 Depth=1
	s_or_b32 exec_lo, exec_lo, s16
	v_lshlrev_b32_sdwa v13, v51, v0 dst_sel:DWORD dst_unused:UNUSED_PAD src0_sel:DWORD src1_sel:WORD_1
	v_lshlrev_b32_e32 v5, 20, v5
	v_lshl_add_u32 v11, v11, 23, 0x3c000000
	v_and_b32_e32 v13, 0x80000000, v13
	v_or3_b32 v5, v5, v13, v11
	v_mov_b32_e32 v22, v6
	v_mov_b32_e32 v21, v5
.LBB219_560:                            ;   in Loop: Header=BB219_538 Depth=1
	s_or_b32 exec_lo, exec_lo, s15
.LBB219_561:                            ;   in Loop: Header=BB219_538 Depth=1
	s_or_b32 exec_lo, exec_lo, s14
.LBB219_562:                            ;   in Loop: Header=BB219_538 Depth=1
	s_or_b32 exec_lo, exec_lo, s0
	s_mov_b32 s0, exec_lo
	v_cmpx_lt_u32_e32 0xffffff, v0
	s_cbranch_execz .LBB219_570
; %bb.563:                              ;   in Loop: Header=BB219_538 Depth=1
	v_mov_b32_e32 v11, v6
	v_mov_b32_e32 v24, v12
	v_cmp_ne_u32_sdwa s15, v0, v47 src0_sel:BYTE_3 src1_sel:DWORD
	v_mov_b32_e32 v23, v11
	s_and_saveexec_b32 s14, s15
	s_cbranch_execz .LBB219_569
; %bb.564:                              ;   in Loop: Header=BB219_538 Depth=1
	v_mov_b32_e32 v13, v6
	v_mov_b32_e32 v24, v14
	v_bfe_u32 v53, v0, 24, 7
	s_mov_b32 s15, exec_lo
	v_mov_b32_e32 v23, v13
	v_cmpx_ne_u32_e32 0x7f, v53
	s_cbranch_execz .LBB219_568
; %bb.565:                              ;   in Loop: Header=BB219_538 Depth=1
	v_and_b32_sdwa v5, v0, v50 dst_sel:DWORD dst_unused:UNUSED_PAD src0_sel:BYTE_3 src1_sel:DWORD
	v_lshrrev_b32_e32 v11, 3, v53
	s_mov_b32 s16, exec_lo
	v_cmpx_gt_u32_e32 8, v53
; %bb.566:                              ;   in Loop: Header=BB219_538 Depth=1
	v_ffbh_u32_e32 v11, v5
	v_min_u32_e32 v11, 32, v11
	v_subrev_nc_u32_e32 v13, 28, v11
	v_sub_nc_u32_e32 v11, 29, v11
	v_lshlrev_b64 v[23:24], v13, v[5:6]
	v_and_b32_e32 v5, 7, v23
; %bb.567:                              ;   in Loop: Header=BB219_538 Depth=1
	s_or_b32 exec_lo, exec_lo, s16
	v_lshlrev_b32_sdwa v0, v51, v0 dst_sel:DWORD dst_unused:UNUSED_PAD src0_sel:DWORD src1_sel:BYTE_3
	v_lshlrev_b32_e32 v5, 20, v5
	v_lshl_add_u32 v11, v11, 23, 0x3c000000
	v_mov_b32_e32 v23, v6
	v_and_b32_e32 v0, 0x80000000, v0
	v_or3_b32 v24, v5, v0, v11
.LBB219_568:                            ;   in Loop: Header=BB219_538 Depth=1
	s_or_b32 exec_lo, exec_lo, s15
.LBB219_569:                            ;   in Loop: Header=BB219_538 Depth=1
	s_or_b32 exec_lo, exec_lo, s14
.LBB219_570:                            ;   in Loop: Header=BB219_538 Depth=1
	s_or_b32 exec_lo, exec_lo, s0
	v_or_b32_e32 v0, v20, v18
	v_or_b32_e32 v5, v19, v17
	;; [unrolled: 1-line block ×4, first 2 shown]
	v_add_nc_u32_e32 v56, -3, v45
	v_cmp_eq_u32_e32 vcc_lo, s3, v52
	v_mul_f32_e32 v54, s13, v0
	v_mul_f32_e32 v55, s2, v5
	;; [unrolled: 1-line block ×4, first 2 shown]
	v_add_nc_u32_e32 v58, -2, v45
	v_add_nc_u32_e32 v57, -1, v45
	s_and_saveexec_b32 s14, vcc_lo
	s_cbranch_execz .LBB219_572
; %bb.571:                              ;   in Loop: Header=BB219_538 Depth=1
	v_cmp_gt_i32_e64 s0, s11, v56
	v_cndmask_b32_e64 v55, 0, v55, s0
	v_cmp_gt_i32_e64 s0, s11, v58
	v_cndmask_b32_e64 v54, 0, v54, s0
	;; [unrolled: 2-line block ×4, first 2 shown]
.LBB219_572:                            ;   in Loop: Header=BB219_538 Depth=1
	s_or_b32 exec_lo, exec_lo, s14
	global_load_dword v59, v[15:16], off offset:128
	v_mov_b32_e32 v19, 0
	v_mov_b32_e32 v17, 0
	;; [unrolled: 1-line block ×4, first 2 shown]
	s_waitcnt vmcnt(0)
	v_cmp_ne_u16_sdwa s0, v59, v6 src0_sel:BYTE_0 src1_sel:DWORD
	s_and_saveexec_b32 s14, s0
	s_cbranch_execz .LBB219_580
; %bb.573:                              ;   in Loop: Header=BB219_538 Depth=1
	v_bfrev_b32_e32 v17, 1
	v_mov_b32_e32 v18, 0
	v_cmp_ne_u16_sdwa s0, v59, v47 src0_sel:BYTE_0 src1_sel:DWORD
	s_and_saveexec_b32 s15, s0
	s_cbranch_execz .LBB219_579
; %bb.574:                              ;   in Loop: Header=BB219_538 Depth=1
	v_mov_b32_e32 v17, 0x7f800001
	v_and_b32_e32 v13, 0x7f, v59
	v_mov_b32_e32 v18, 0
	s_mov_b32 s16, exec_lo
	v_cmpx_ne_u32_e32 0x7f, v13
	s_cbranch_execz .LBB219_578
; %bb.575:                              ;   in Loop: Header=BB219_538 Depth=1
	v_and_b32_e32 v5, 7, v59
	v_lshrrev_b32_e32 v11, 3, v13
	s_mov_b32 s17, exec_lo
	v_cmpx_gt_u32_e32 8, v13
; %bb.576:                              ;   in Loop: Header=BB219_538 Depth=1
	v_ffbh_u32_e32 v11, v5
	v_min_u32_e32 v11, 32, v11
	v_subrev_nc_u32_e32 v13, 28, v11
	v_sub_nc_u32_e32 v11, 29, v11
	v_lshlrev_b64 v[17:18], v13, v[5:6]
	v_and_b32_e32 v5, 7, v17
; %bb.577:                              ;   in Loop: Header=BB219_538 Depth=1
	s_or_b32 exec_lo, exec_lo, s17
	v_lshlrev_b32_e32 v13, 24, v59
	v_lshlrev_b32_e32 v5, 20, v5
	v_lshl_add_u32 v11, v11, 23, 0x3c000000
	v_and_b32_e32 v13, 0x80000000, v13
	v_or3_b32 v5, v5, v13, v11
	v_mov_b32_e32 v18, v6
	v_mov_b32_e32 v17, v5
.LBB219_578:                            ;   in Loop: Header=BB219_538 Depth=1
	s_or_b32 exec_lo, exec_lo, s16
.LBB219_579:                            ;   in Loop: Header=BB219_538 Depth=1
	s_or_b32 exec_lo, exec_lo, s15
.LBB219_580:                            ;   in Loop: Header=BB219_538 Depth=1
	s_or_b32 exec_lo, exec_lo, s14
	v_cmp_ne_u16_sdwa s0, v59, v6 src0_sel:BYTE_1 src1_sel:DWORD
	s_and_saveexec_b32 s14, s0
	s_cbranch_execz .LBB219_588
; %bb.581:                              ;   in Loop: Header=BB219_538 Depth=1
	v_mov_b32_e32 v11, v6
	v_mov_b32_e32 v20, v12
	v_cmp_ne_u16_sdwa s0, v59, v47 src0_sel:BYTE_1 src1_sel:DWORD
	v_mov_b32_e32 v19, v11
	s_and_saveexec_b32 s15, s0
	s_cbranch_execz .LBB219_587
; %bb.582:                              ;   in Loop: Header=BB219_538 Depth=1
	v_and_b32_sdwa v5, v48, v59 dst_sel:DWORD dst_unused:UNUSED_PAD src0_sel:DWORD src1_sel:BYTE_1
	v_mov_b32_e32 v13, v6
	v_mov_b32_e32 v20, v14
	s_mov_b32 s16, exec_lo
	v_and_b32_e32 v21, 0x7f, v5
	v_mov_b32_e32 v19, v13
	v_cmpx_ne_u32_e32 0x7f, v21
	s_cbranch_execz .LBB219_586
; %bb.583:                              ;   in Loop: Header=BB219_538 Depth=1
	v_and_b32_e32 v5, 7, v5
	v_lshrrev_b32_e32 v11, 3, v21
	s_mov_b32 s17, exec_lo
	v_cmpx_gt_u32_e32 8, v21
; %bb.584:                              ;   in Loop: Header=BB219_538 Depth=1
	v_ffbh_u32_e32 v11, v5
	v_min_u32_e32 v11, 32, v11
	v_subrev_nc_u32_e32 v13, 28, v11
	v_sub_nc_u32_e32 v11, 29, v11
	v_lshlrev_b64 v[19:20], v13, v[5:6]
	v_and_b32_e32 v5, 7, v19
; %bb.585:                              ;   in Loop: Header=BB219_538 Depth=1
	s_or_b32 exec_lo, exec_lo, s17
	v_lshlrev_b32_e32 v13, 16, v59
	v_lshlrev_b32_e32 v5, 20, v5
	v_lshl_add_u32 v11, v11, 23, 0x3c000000
	v_mov_b32_e32 v19, v6
	v_and_b32_e32 v13, 0x80000000, v13
	v_or3_b32 v20, v5, v13, v11
.LBB219_586:                            ;   in Loop: Header=BB219_538 Depth=1
	s_or_b32 exec_lo, exec_lo, s16
.LBB219_587:                            ;   in Loop: Header=BB219_538 Depth=1
	s_or_b32 exec_lo, exec_lo, s15
.LBB219_588:                            ;   in Loop: Header=BB219_538 Depth=1
	s_or_b32 exec_lo, exec_lo, s14
	v_mov_b32_e32 v23, 0
	v_mov_b32_e32 v21, 0
	v_and_b32_sdwa v5, v59, v49 dst_sel:DWORD dst_unused:UNUSED_PAD src0_sel:WORD_1 src1_sel:DWORD
	v_mov_b32_e32 v24, 0
	v_mov_b32_e32 v22, 0
	s_mov_b32 s14, exec_lo
	v_cmpx_ne_u16_e32 0, v5
	s_cbranch_execz .LBB219_596
; %bb.589:                              ;   in Loop: Header=BB219_538 Depth=1
	v_bfrev_b32_e32 v21, 1
	v_mov_b32_e32 v22, 0
	s_mov_b32 s15, exec_lo
	v_cmpx_ne_u16_e32 0x80, v5
	s_cbranch_execz .LBB219_595
; %bb.590:                              ;   in Loop: Header=BB219_538 Depth=1
	v_mov_b32_e32 v21, 0x7f800001
	v_bfe_u32 v13, v59, 16, 7
	v_mov_b32_e32 v22, 0
	s_mov_b32 s16, exec_lo
	v_cmpx_ne_u32_e32 0x7f, v13
	s_cbranch_execz .LBB219_594
; %bb.591:                              ;   in Loop: Header=BB219_538 Depth=1
	v_and_b32_sdwa v5, v59, v50 dst_sel:DWORD dst_unused:UNUSED_PAD src0_sel:WORD_1 src1_sel:DWORD
	v_lshrrev_b32_e32 v11, 3, v13
	s_mov_b32 s17, exec_lo
	v_cmpx_gt_u32_e32 8, v13
; %bb.592:                              ;   in Loop: Header=BB219_538 Depth=1
	v_ffbh_u32_e32 v11, v5
	v_min_u32_e32 v11, 32, v11
	v_subrev_nc_u32_e32 v13, 28, v11
	v_sub_nc_u32_e32 v11, 29, v11
	v_lshlrev_b64 v[21:22], v13, v[5:6]
	v_and_b32_e32 v5, 7, v21
; %bb.593:                              ;   in Loop: Header=BB219_538 Depth=1
	s_or_b32 exec_lo, exec_lo, s17
	v_lshlrev_b32_sdwa v13, v51, v59 dst_sel:DWORD dst_unused:UNUSED_PAD src0_sel:DWORD src1_sel:WORD_1
	v_lshlrev_b32_e32 v5, 20, v5
	v_lshl_add_u32 v11, v11, 23, 0x3c000000
	v_and_b32_e32 v13, 0x80000000, v13
	v_or3_b32 v5, v5, v13, v11
	v_mov_b32_e32 v22, v6
	v_mov_b32_e32 v21, v5
.LBB219_594:                            ;   in Loop: Header=BB219_538 Depth=1
	s_or_b32 exec_lo, exec_lo, s16
.LBB219_595:                            ;   in Loop: Header=BB219_538 Depth=1
	s_or_b32 exec_lo, exec_lo, s15
.LBB219_596:                            ;   in Loop: Header=BB219_538 Depth=1
	s_or_b32 exec_lo, exec_lo, s14
	s_mov_b32 s14, exec_lo
	v_cmpx_lt_u32_e32 0xffffff, v59
	s_cbranch_execz .LBB219_604
; %bb.597:                              ;   in Loop: Header=BB219_538 Depth=1
	v_mov_b32_e32 v11, v6
	v_mov_b32_e32 v24, v12
	v_cmp_ne_u32_sdwa s0, v59, v47 src0_sel:BYTE_3 src1_sel:DWORD
	v_mov_b32_e32 v23, v11
	s_and_saveexec_b32 s15, s0
	s_cbranch_execz .LBB219_603
; %bb.598:                              ;   in Loop: Header=BB219_538 Depth=1
	v_mov_b32_e32 v13, v6
	v_mov_b32_e32 v24, v14
	v_bfe_u32 v60, v59, 24, 7
	s_mov_b32 s16, exec_lo
	v_mov_b32_e32 v23, v13
	v_cmpx_ne_u32_e32 0x7f, v60
	s_cbranch_execz .LBB219_602
; %bb.599:                              ;   in Loop: Header=BB219_538 Depth=1
	v_and_b32_sdwa v5, v59, v50 dst_sel:DWORD dst_unused:UNUSED_PAD src0_sel:BYTE_3 src1_sel:DWORD
	v_lshrrev_b32_e32 v11, 3, v60
	s_mov_b32 s17, exec_lo
	v_cmpx_gt_u32_e32 8, v60
; %bb.600:                              ;   in Loop: Header=BB219_538 Depth=1
	v_ffbh_u32_e32 v11, v5
	v_min_u32_e32 v11, 32, v11
	v_subrev_nc_u32_e32 v13, 28, v11
	v_sub_nc_u32_e32 v11, 29, v11
	v_lshlrev_b64 v[23:24], v13, v[5:6]
	v_and_b32_e32 v5, 7, v23
; %bb.601:                              ;   in Loop: Header=BB219_538 Depth=1
	s_or_b32 exec_lo, exec_lo, s17
	v_lshlrev_b32_sdwa v13, v51, v59 dst_sel:DWORD dst_unused:UNUSED_PAD src0_sel:DWORD src1_sel:BYTE_3
	v_lshlrev_b32_e32 v5, 20, v5
	v_lshl_add_u32 v11, v11, 23, 0x3c000000
	v_mov_b32_e32 v23, v6
	v_and_b32_e32 v13, 0x80000000, v13
	v_or3_b32 v24, v5, v13, v11
.LBB219_602:                            ;   in Loop: Header=BB219_538 Depth=1
	s_or_b32 exec_lo, exec_lo, s16
.LBB219_603:                            ;   in Loop: Header=BB219_538 Depth=1
	s_or_b32 exec_lo, exec_lo, s15
.LBB219_604:                            ;   in Loop: Header=BB219_538 Depth=1
	s_or_b32 exec_lo, exec_lo, s14
	v_or_b32_e32 v5, v20, v18
	v_or_b32_e32 v11, v19, v17
	;; [unrolled: 1-line block ×4, first 2 shown]
	v_mul_f32_e32 v61, s13, v5
	v_mul_f32_e32 v62, s2, v11
	;; [unrolled: 1-line block ×4, first 2 shown]
	s_and_saveexec_b32 s14, vcc_lo
	s_cbranch_execz .LBB219_606
; %bb.605:                              ;   in Loop: Header=BB219_538 Depth=1
	v_cmp_gt_i32_e64 s0, s11, v56
	v_cndmask_b32_e64 v62, 0, v62, s0
	v_cmp_gt_i32_e64 s0, s11, v58
	v_cndmask_b32_e64 v61, 0, v61, s0
	;; [unrolled: 2-line block ×4, first 2 shown]
.LBB219_606:                            ;   in Loop: Header=BB219_538 Depth=1
	s_or_b32 exec_lo, exec_lo, s14
	global_load_dword v63, v[15:16], off offset:256
	v_mov_b32_e32 v19, 0
	v_mov_b32_e32 v17, 0
	;; [unrolled: 1-line block ×4, first 2 shown]
	s_waitcnt vmcnt(0)
	v_cmp_ne_u16_sdwa s0, v63, v6 src0_sel:BYTE_0 src1_sel:DWORD
	s_and_saveexec_b32 s14, s0
	s_cbranch_execz .LBB219_614
; %bb.607:                              ;   in Loop: Header=BB219_538 Depth=1
	v_bfrev_b32_e32 v17, 1
	v_mov_b32_e32 v18, 0
	v_cmp_ne_u16_sdwa s0, v63, v47 src0_sel:BYTE_0 src1_sel:DWORD
	s_and_saveexec_b32 s15, s0
	s_cbranch_execz .LBB219_613
; %bb.608:                              ;   in Loop: Header=BB219_538 Depth=1
	v_mov_b32_e32 v17, 0x7f800001
	v_and_b32_e32 v13, 0x7f, v63
	v_mov_b32_e32 v18, 0
	s_mov_b32 s16, exec_lo
	v_cmpx_ne_u32_e32 0x7f, v13
	s_cbranch_execz .LBB219_612
; %bb.609:                              ;   in Loop: Header=BB219_538 Depth=1
	v_and_b32_e32 v5, 7, v63
	v_lshrrev_b32_e32 v11, 3, v13
	s_mov_b32 s17, exec_lo
	v_cmpx_gt_u32_e32 8, v13
; %bb.610:                              ;   in Loop: Header=BB219_538 Depth=1
	v_ffbh_u32_e32 v11, v5
	v_min_u32_e32 v11, 32, v11
	v_subrev_nc_u32_e32 v13, 28, v11
	v_sub_nc_u32_e32 v11, 29, v11
	v_lshlrev_b64 v[17:18], v13, v[5:6]
	v_and_b32_e32 v5, 7, v17
; %bb.611:                              ;   in Loop: Header=BB219_538 Depth=1
	s_or_b32 exec_lo, exec_lo, s17
	v_lshlrev_b32_e32 v13, 24, v63
	v_lshlrev_b32_e32 v5, 20, v5
	v_lshl_add_u32 v11, v11, 23, 0x3c000000
	v_and_b32_e32 v13, 0x80000000, v13
	v_or3_b32 v5, v5, v13, v11
	v_mov_b32_e32 v18, v6
	v_mov_b32_e32 v17, v5
.LBB219_612:                            ;   in Loop: Header=BB219_538 Depth=1
	s_or_b32 exec_lo, exec_lo, s16
.LBB219_613:                            ;   in Loop: Header=BB219_538 Depth=1
	s_or_b32 exec_lo, exec_lo, s15
.LBB219_614:                            ;   in Loop: Header=BB219_538 Depth=1
	s_or_b32 exec_lo, exec_lo, s14
	v_cmp_ne_u16_sdwa s0, v63, v6 src0_sel:BYTE_1 src1_sel:DWORD
	s_and_saveexec_b32 s14, s0
	s_cbranch_execz .LBB219_622
; %bb.615:                              ;   in Loop: Header=BB219_538 Depth=1
	v_mov_b32_e32 v11, v6
	v_mov_b32_e32 v20, v12
	v_cmp_ne_u16_sdwa s0, v63, v47 src0_sel:BYTE_1 src1_sel:DWORD
	v_mov_b32_e32 v19, v11
	s_and_saveexec_b32 s15, s0
	s_cbranch_execz .LBB219_621
; %bb.616:                              ;   in Loop: Header=BB219_538 Depth=1
	v_and_b32_sdwa v5, v48, v63 dst_sel:DWORD dst_unused:UNUSED_PAD src0_sel:DWORD src1_sel:BYTE_1
	v_mov_b32_e32 v13, v6
	v_mov_b32_e32 v20, v14
	s_mov_b32 s16, exec_lo
	v_and_b32_e32 v21, 0x7f, v5
	v_mov_b32_e32 v19, v13
	v_cmpx_ne_u32_e32 0x7f, v21
	s_cbranch_execz .LBB219_620
; %bb.617:                              ;   in Loop: Header=BB219_538 Depth=1
	v_and_b32_e32 v5, 7, v5
	v_lshrrev_b32_e32 v11, 3, v21
	s_mov_b32 s17, exec_lo
	v_cmpx_gt_u32_e32 8, v21
; %bb.618:                              ;   in Loop: Header=BB219_538 Depth=1
	v_ffbh_u32_e32 v11, v5
	v_min_u32_e32 v11, 32, v11
	v_subrev_nc_u32_e32 v13, 28, v11
	v_sub_nc_u32_e32 v11, 29, v11
	v_lshlrev_b64 v[19:20], v13, v[5:6]
	v_and_b32_e32 v5, 7, v19
; %bb.619:                              ;   in Loop: Header=BB219_538 Depth=1
	s_or_b32 exec_lo, exec_lo, s17
	v_lshlrev_b32_e32 v13, 16, v63
	v_lshlrev_b32_e32 v5, 20, v5
	v_lshl_add_u32 v11, v11, 23, 0x3c000000
	v_mov_b32_e32 v19, v6
	v_and_b32_e32 v13, 0x80000000, v13
	v_or3_b32 v20, v5, v13, v11
.LBB219_620:                            ;   in Loop: Header=BB219_538 Depth=1
	s_or_b32 exec_lo, exec_lo, s16
.LBB219_621:                            ;   in Loop: Header=BB219_538 Depth=1
	s_or_b32 exec_lo, exec_lo, s15
.LBB219_622:                            ;   in Loop: Header=BB219_538 Depth=1
	s_or_b32 exec_lo, exec_lo, s14
	v_mov_b32_e32 v23, 0
	v_mov_b32_e32 v21, 0
	v_and_b32_sdwa v5, v63, v49 dst_sel:DWORD dst_unused:UNUSED_PAD src0_sel:WORD_1 src1_sel:DWORD
	v_mov_b32_e32 v24, 0
	v_mov_b32_e32 v22, 0
	s_mov_b32 s14, exec_lo
	v_cmpx_ne_u16_e32 0, v5
	s_cbranch_execz .LBB219_630
; %bb.623:                              ;   in Loop: Header=BB219_538 Depth=1
	v_bfrev_b32_e32 v21, 1
	v_mov_b32_e32 v22, 0
	s_mov_b32 s15, exec_lo
	v_cmpx_ne_u16_e32 0x80, v5
	s_cbranch_execz .LBB219_629
; %bb.624:                              ;   in Loop: Header=BB219_538 Depth=1
	v_mov_b32_e32 v21, 0x7f800001
	v_bfe_u32 v13, v63, 16, 7
	v_mov_b32_e32 v22, 0
	s_mov_b32 s16, exec_lo
	v_cmpx_ne_u32_e32 0x7f, v13
	s_cbranch_execz .LBB219_628
; %bb.625:                              ;   in Loop: Header=BB219_538 Depth=1
	v_and_b32_sdwa v5, v63, v50 dst_sel:DWORD dst_unused:UNUSED_PAD src0_sel:WORD_1 src1_sel:DWORD
	v_lshrrev_b32_e32 v11, 3, v13
	s_mov_b32 s17, exec_lo
	v_cmpx_gt_u32_e32 8, v13
; %bb.626:                              ;   in Loop: Header=BB219_538 Depth=1
	v_ffbh_u32_e32 v11, v5
	v_min_u32_e32 v11, 32, v11
	v_subrev_nc_u32_e32 v13, 28, v11
	v_sub_nc_u32_e32 v11, 29, v11
	v_lshlrev_b64 v[21:22], v13, v[5:6]
	v_and_b32_e32 v5, 7, v21
; %bb.627:                              ;   in Loop: Header=BB219_538 Depth=1
	s_or_b32 exec_lo, exec_lo, s17
	v_lshlrev_b32_sdwa v13, v51, v63 dst_sel:DWORD dst_unused:UNUSED_PAD src0_sel:DWORD src1_sel:WORD_1
	v_lshlrev_b32_e32 v5, 20, v5
	v_lshl_add_u32 v11, v11, 23, 0x3c000000
	v_and_b32_e32 v13, 0x80000000, v13
	v_or3_b32 v5, v5, v13, v11
	v_mov_b32_e32 v22, v6
	v_mov_b32_e32 v21, v5
.LBB219_628:                            ;   in Loop: Header=BB219_538 Depth=1
	s_or_b32 exec_lo, exec_lo, s16
.LBB219_629:                            ;   in Loop: Header=BB219_538 Depth=1
	s_or_b32 exec_lo, exec_lo, s15
.LBB219_630:                            ;   in Loop: Header=BB219_538 Depth=1
	s_or_b32 exec_lo, exec_lo, s14
	s_mov_b32 s14, exec_lo
	v_cmpx_lt_u32_e32 0xffffff, v63
	s_cbranch_execz .LBB219_638
; %bb.631:                              ;   in Loop: Header=BB219_538 Depth=1
	v_mov_b32_e32 v11, v6
	v_mov_b32_e32 v24, v12
	v_cmp_ne_u32_sdwa s0, v63, v47 src0_sel:BYTE_3 src1_sel:DWORD
	v_mov_b32_e32 v23, v11
	s_and_saveexec_b32 s15, s0
	s_cbranch_execz .LBB219_637
; %bb.632:                              ;   in Loop: Header=BB219_538 Depth=1
	v_mov_b32_e32 v13, v6
	v_mov_b32_e32 v24, v14
	v_bfe_u32 v64, v63, 24, 7
	s_mov_b32 s16, exec_lo
	v_mov_b32_e32 v23, v13
	v_cmpx_ne_u32_e32 0x7f, v64
	s_cbranch_execz .LBB219_636
; %bb.633:                              ;   in Loop: Header=BB219_538 Depth=1
	v_and_b32_sdwa v5, v63, v50 dst_sel:DWORD dst_unused:UNUSED_PAD src0_sel:BYTE_3 src1_sel:DWORD
	v_lshrrev_b32_e32 v11, 3, v64
	s_mov_b32 s17, exec_lo
	v_cmpx_gt_u32_e32 8, v64
; %bb.634:                              ;   in Loop: Header=BB219_538 Depth=1
	v_ffbh_u32_e32 v11, v5
	v_min_u32_e32 v11, 32, v11
	v_subrev_nc_u32_e32 v13, 28, v11
	v_sub_nc_u32_e32 v11, 29, v11
	v_lshlrev_b64 v[23:24], v13, v[5:6]
	v_and_b32_e32 v5, 7, v23
; %bb.635:                              ;   in Loop: Header=BB219_538 Depth=1
	s_or_b32 exec_lo, exec_lo, s17
	v_lshlrev_b32_sdwa v13, v51, v63 dst_sel:DWORD dst_unused:UNUSED_PAD src0_sel:DWORD src1_sel:BYTE_3
	v_lshlrev_b32_e32 v5, 20, v5
	v_lshl_add_u32 v11, v11, 23, 0x3c000000
	v_mov_b32_e32 v23, v6
	v_and_b32_e32 v13, 0x80000000, v13
	v_or3_b32 v24, v5, v13, v11
.LBB219_636:                            ;   in Loop: Header=BB219_538 Depth=1
	s_or_b32 exec_lo, exec_lo, s16
.LBB219_637:                            ;   in Loop: Header=BB219_538 Depth=1
	s_or_b32 exec_lo, exec_lo, s15
.LBB219_638:                            ;   in Loop: Header=BB219_538 Depth=1
	s_or_b32 exec_lo, exec_lo, s14
	v_or_b32_e32 v5, v20, v18
	v_or_b32_e32 v11, v19, v17
	;; [unrolled: 1-line block ×4, first 2 shown]
	v_mul_f32_e32 v65, s13, v5
	v_mul_f32_e32 v66, s2, v11
	;; [unrolled: 1-line block ×4, first 2 shown]
	s_and_saveexec_b32 s14, vcc_lo
	s_cbranch_execz .LBB219_640
; %bb.639:                              ;   in Loop: Header=BB219_538 Depth=1
	v_cmp_gt_i32_e64 s0, s11, v56
	v_cndmask_b32_e64 v66, 0, v66, s0
	v_cmp_gt_i32_e64 s0, s11, v58
	v_cndmask_b32_e64 v65, 0, v65, s0
	;; [unrolled: 2-line block ×4, first 2 shown]
.LBB219_640:                            ;   in Loop: Header=BB219_538 Depth=1
	s_or_b32 exec_lo, exec_lo, s14
	global_load_dword v67, v[15:16], off offset:384
	v_mov_b32_e32 v19, 0
	v_mov_b32_e32 v17, 0
	;; [unrolled: 1-line block ×4, first 2 shown]
	s_waitcnt vmcnt(0)
	v_cmp_ne_u16_sdwa s0, v67, v6 src0_sel:BYTE_0 src1_sel:DWORD
	s_and_saveexec_b32 s14, s0
	s_cbranch_execz .LBB219_648
; %bb.641:                              ;   in Loop: Header=BB219_538 Depth=1
	v_bfrev_b32_e32 v17, 1
	v_mov_b32_e32 v18, 0
	v_cmp_ne_u16_sdwa s0, v67, v47 src0_sel:BYTE_0 src1_sel:DWORD
	s_and_saveexec_b32 s15, s0
	s_cbranch_execz .LBB219_647
; %bb.642:                              ;   in Loop: Header=BB219_538 Depth=1
	v_mov_b32_e32 v17, 0x7f800001
	v_and_b32_e32 v13, 0x7f, v67
	v_mov_b32_e32 v18, 0
	s_mov_b32 s16, exec_lo
	v_cmpx_ne_u32_e32 0x7f, v13
	s_cbranch_execz .LBB219_646
; %bb.643:                              ;   in Loop: Header=BB219_538 Depth=1
	v_and_b32_e32 v5, 7, v67
	v_lshrrev_b32_e32 v11, 3, v13
	s_mov_b32 s17, exec_lo
	v_cmpx_gt_u32_e32 8, v13
; %bb.644:                              ;   in Loop: Header=BB219_538 Depth=1
	v_ffbh_u32_e32 v11, v5
	v_min_u32_e32 v11, 32, v11
	v_subrev_nc_u32_e32 v13, 28, v11
	v_sub_nc_u32_e32 v11, 29, v11
	v_lshlrev_b64 v[17:18], v13, v[5:6]
	v_and_b32_e32 v5, 7, v17
; %bb.645:                              ;   in Loop: Header=BB219_538 Depth=1
	s_or_b32 exec_lo, exec_lo, s17
	v_lshlrev_b32_e32 v13, 24, v67
	v_lshlrev_b32_e32 v5, 20, v5
	v_lshl_add_u32 v11, v11, 23, 0x3c000000
	v_and_b32_e32 v13, 0x80000000, v13
	v_or3_b32 v5, v5, v13, v11
	v_mov_b32_e32 v18, v6
	v_mov_b32_e32 v17, v5
.LBB219_646:                            ;   in Loop: Header=BB219_538 Depth=1
	s_or_b32 exec_lo, exec_lo, s16
.LBB219_647:                            ;   in Loop: Header=BB219_538 Depth=1
	s_or_b32 exec_lo, exec_lo, s15
.LBB219_648:                            ;   in Loop: Header=BB219_538 Depth=1
	s_or_b32 exec_lo, exec_lo, s14
	v_cmp_ne_u16_sdwa s0, v67, v6 src0_sel:BYTE_1 src1_sel:DWORD
	s_and_saveexec_b32 s14, s0
	s_cbranch_execz .LBB219_656
; %bb.649:                              ;   in Loop: Header=BB219_538 Depth=1
	v_mov_b32_e32 v11, v6
	v_mov_b32_e32 v20, v12
	v_cmp_ne_u16_sdwa s0, v67, v47 src0_sel:BYTE_1 src1_sel:DWORD
	v_mov_b32_e32 v19, v11
	s_and_saveexec_b32 s15, s0
	s_cbranch_execz .LBB219_655
; %bb.650:                              ;   in Loop: Header=BB219_538 Depth=1
	v_and_b32_sdwa v5, v48, v67 dst_sel:DWORD dst_unused:UNUSED_PAD src0_sel:DWORD src1_sel:BYTE_1
	v_mov_b32_e32 v13, v6
	v_mov_b32_e32 v20, v14
	s_mov_b32 s16, exec_lo
	v_and_b32_e32 v21, 0x7f, v5
	v_mov_b32_e32 v19, v13
	v_cmpx_ne_u32_e32 0x7f, v21
	s_cbranch_execz .LBB219_654
; %bb.651:                              ;   in Loop: Header=BB219_538 Depth=1
	v_and_b32_e32 v5, 7, v5
	v_lshrrev_b32_e32 v11, 3, v21
	s_mov_b32 s17, exec_lo
	v_cmpx_gt_u32_e32 8, v21
; %bb.652:                              ;   in Loop: Header=BB219_538 Depth=1
	v_ffbh_u32_e32 v11, v5
	v_min_u32_e32 v11, 32, v11
	v_subrev_nc_u32_e32 v13, 28, v11
	v_sub_nc_u32_e32 v11, 29, v11
	v_lshlrev_b64 v[19:20], v13, v[5:6]
	v_and_b32_e32 v5, 7, v19
; %bb.653:                              ;   in Loop: Header=BB219_538 Depth=1
	s_or_b32 exec_lo, exec_lo, s17
	v_lshlrev_b32_e32 v13, 16, v67
	v_lshlrev_b32_e32 v5, 20, v5
	v_lshl_add_u32 v11, v11, 23, 0x3c000000
	v_mov_b32_e32 v19, v6
	v_and_b32_e32 v13, 0x80000000, v13
	v_or3_b32 v20, v5, v13, v11
.LBB219_654:                            ;   in Loop: Header=BB219_538 Depth=1
	s_or_b32 exec_lo, exec_lo, s16
.LBB219_655:                            ;   in Loop: Header=BB219_538 Depth=1
	s_or_b32 exec_lo, exec_lo, s15
.LBB219_656:                            ;   in Loop: Header=BB219_538 Depth=1
	s_or_b32 exec_lo, exec_lo, s14
	v_mov_b32_e32 v23, 0
	v_mov_b32_e32 v21, 0
	v_and_b32_sdwa v5, v67, v49 dst_sel:DWORD dst_unused:UNUSED_PAD src0_sel:WORD_1 src1_sel:DWORD
	v_mov_b32_e32 v24, 0
	v_mov_b32_e32 v22, 0
	s_mov_b32 s14, exec_lo
	v_cmpx_ne_u16_e32 0, v5
	s_cbranch_execz .LBB219_664
; %bb.657:                              ;   in Loop: Header=BB219_538 Depth=1
	v_bfrev_b32_e32 v21, 1
	v_mov_b32_e32 v22, 0
	s_mov_b32 s15, exec_lo
	v_cmpx_ne_u16_e32 0x80, v5
	s_cbranch_execz .LBB219_663
; %bb.658:                              ;   in Loop: Header=BB219_538 Depth=1
	v_mov_b32_e32 v21, 0x7f800001
	v_bfe_u32 v13, v67, 16, 7
	v_mov_b32_e32 v22, 0
	s_mov_b32 s16, exec_lo
	v_cmpx_ne_u32_e32 0x7f, v13
	s_cbranch_execz .LBB219_662
; %bb.659:                              ;   in Loop: Header=BB219_538 Depth=1
	v_and_b32_sdwa v5, v67, v50 dst_sel:DWORD dst_unused:UNUSED_PAD src0_sel:WORD_1 src1_sel:DWORD
	v_lshrrev_b32_e32 v11, 3, v13
	s_mov_b32 s17, exec_lo
	v_cmpx_gt_u32_e32 8, v13
; %bb.660:                              ;   in Loop: Header=BB219_538 Depth=1
	v_ffbh_u32_e32 v11, v5
	v_min_u32_e32 v11, 32, v11
	v_subrev_nc_u32_e32 v13, 28, v11
	v_sub_nc_u32_e32 v11, 29, v11
	v_lshlrev_b64 v[21:22], v13, v[5:6]
	v_and_b32_e32 v5, 7, v21
; %bb.661:                              ;   in Loop: Header=BB219_538 Depth=1
	s_or_b32 exec_lo, exec_lo, s17
	v_lshlrev_b32_sdwa v13, v51, v67 dst_sel:DWORD dst_unused:UNUSED_PAD src0_sel:DWORD src1_sel:WORD_1
	v_lshlrev_b32_e32 v5, 20, v5
	v_lshl_add_u32 v11, v11, 23, 0x3c000000
	v_and_b32_e32 v13, 0x80000000, v13
	v_or3_b32 v5, v5, v13, v11
	v_mov_b32_e32 v22, v6
	v_mov_b32_e32 v21, v5
.LBB219_662:                            ;   in Loop: Header=BB219_538 Depth=1
	s_or_b32 exec_lo, exec_lo, s16
.LBB219_663:                            ;   in Loop: Header=BB219_538 Depth=1
	s_or_b32 exec_lo, exec_lo, s15
.LBB219_664:                            ;   in Loop: Header=BB219_538 Depth=1
	s_or_b32 exec_lo, exec_lo, s14
	s_mov_b32 s14, exec_lo
	v_cmpx_lt_u32_e32 0xffffff, v67
	s_cbranch_execz .LBB219_672
; %bb.665:                              ;   in Loop: Header=BB219_538 Depth=1
	v_mov_b32_e32 v11, v6
	v_mov_b32_e32 v24, v12
	v_cmp_ne_u32_sdwa s0, v67, v47 src0_sel:BYTE_3 src1_sel:DWORD
	v_mov_b32_e32 v23, v11
	s_and_saveexec_b32 s15, s0
	s_cbranch_execz .LBB219_671
; %bb.666:                              ;   in Loop: Header=BB219_538 Depth=1
	v_mov_b32_e32 v13, v6
	v_mov_b32_e32 v24, v14
	v_bfe_u32 v68, v67, 24, 7
	s_mov_b32 s16, exec_lo
	v_mov_b32_e32 v23, v13
	v_cmpx_ne_u32_e32 0x7f, v68
	s_cbranch_execz .LBB219_670
; %bb.667:                              ;   in Loop: Header=BB219_538 Depth=1
	v_and_b32_sdwa v5, v67, v50 dst_sel:DWORD dst_unused:UNUSED_PAD src0_sel:BYTE_3 src1_sel:DWORD
	v_lshrrev_b32_e32 v11, 3, v68
	s_mov_b32 s17, exec_lo
	v_cmpx_gt_u32_e32 8, v68
; %bb.668:                              ;   in Loop: Header=BB219_538 Depth=1
	v_ffbh_u32_e32 v11, v5
	v_min_u32_e32 v11, 32, v11
	v_subrev_nc_u32_e32 v13, 28, v11
	v_sub_nc_u32_e32 v11, 29, v11
	v_lshlrev_b64 v[23:24], v13, v[5:6]
	v_and_b32_e32 v5, 7, v23
; %bb.669:                              ;   in Loop: Header=BB219_538 Depth=1
	s_or_b32 exec_lo, exec_lo, s17
	v_lshlrev_b32_sdwa v13, v51, v67 dst_sel:DWORD dst_unused:UNUSED_PAD src0_sel:DWORD src1_sel:BYTE_3
	v_lshlrev_b32_e32 v5, 20, v5
	v_lshl_add_u32 v11, v11, 23, 0x3c000000
	v_mov_b32_e32 v23, v6
	v_and_b32_e32 v13, 0x80000000, v13
	v_or3_b32 v24, v5, v13, v11
.LBB219_670:                            ;   in Loop: Header=BB219_538 Depth=1
	s_or_b32 exec_lo, exec_lo, s16
.LBB219_671:                            ;   in Loop: Header=BB219_538 Depth=1
	s_or_b32 exec_lo, exec_lo, s15
.LBB219_672:                            ;   in Loop: Header=BB219_538 Depth=1
	s_or_b32 exec_lo, exec_lo, s14
	v_or_b32_e32 v5, v20, v18
	v_or_b32_e32 v11, v19, v17
	;; [unrolled: 1-line block ×4, first 2 shown]
	v_mul_f32_e32 v69, s13, v5
	v_mul_f32_e32 v70, s2, v11
	;; [unrolled: 1-line block ×4, first 2 shown]
	s_and_saveexec_b32 s14, vcc_lo
	s_cbranch_execz .LBB219_674
; %bb.673:                              ;   in Loop: Header=BB219_538 Depth=1
	v_cmp_gt_i32_e64 s0, s11, v56
	v_cndmask_b32_e64 v70, 0, v70, s0
	v_cmp_gt_i32_e64 s0, s11, v58
	v_cndmask_b32_e64 v69, 0, v69, s0
	;; [unrolled: 2-line block ×4, first 2 shown]
.LBB219_674:                            ;   in Loop: Header=BB219_538 Depth=1
	s_or_b32 exec_lo, exec_lo, s14
	global_load_dword v71, v[15:16], off offset:512
	v_mov_b32_e32 v19, 0
	v_mov_b32_e32 v17, 0
	;; [unrolled: 1-line block ×4, first 2 shown]
	s_waitcnt vmcnt(0)
	v_cmp_ne_u16_sdwa s0, v71, v6 src0_sel:BYTE_0 src1_sel:DWORD
	s_and_saveexec_b32 s14, s0
	s_cbranch_execz .LBB219_682
; %bb.675:                              ;   in Loop: Header=BB219_538 Depth=1
	v_bfrev_b32_e32 v17, 1
	v_mov_b32_e32 v18, 0
	v_cmp_ne_u16_sdwa s0, v71, v47 src0_sel:BYTE_0 src1_sel:DWORD
	s_and_saveexec_b32 s15, s0
	s_cbranch_execz .LBB219_681
; %bb.676:                              ;   in Loop: Header=BB219_538 Depth=1
	v_mov_b32_e32 v17, 0x7f800001
	v_and_b32_e32 v13, 0x7f, v71
	v_mov_b32_e32 v18, 0
	s_mov_b32 s16, exec_lo
	v_cmpx_ne_u32_e32 0x7f, v13
	s_cbranch_execz .LBB219_680
; %bb.677:                              ;   in Loop: Header=BB219_538 Depth=1
	v_and_b32_e32 v5, 7, v71
	v_lshrrev_b32_e32 v11, 3, v13
	s_mov_b32 s17, exec_lo
	v_cmpx_gt_u32_e32 8, v13
; %bb.678:                              ;   in Loop: Header=BB219_538 Depth=1
	v_ffbh_u32_e32 v11, v5
	v_min_u32_e32 v11, 32, v11
	v_subrev_nc_u32_e32 v13, 28, v11
	v_sub_nc_u32_e32 v11, 29, v11
	v_lshlrev_b64 v[17:18], v13, v[5:6]
	v_and_b32_e32 v5, 7, v17
; %bb.679:                              ;   in Loop: Header=BB219_538 Depth=1
	s_or_b32 exec_lo, exec_lo, s17
	v_lshlrev_b32_e32 v13, 24, v71
	v_lshlrev_b32_e32 v5, 20, v5
	v_lshl_add_u32 v11, v11, 23, 0x3c000000
	v_and_b32_e32 v13, 0x80000000, v13
	v_or3_b32 v5, v5, v13, v11
	v_mov_b32_e32 v18, v6
	v_mov_b32_e32 v17, v5
.LBB219_680:                            ;   in Loop: Header=BB219_538 Depth=1
	s_or_b32 exec_lo, exec_lo, s16
.LBB219_681:                            ;   in Loop: Header=BB219_538 Depth=1
	s_or_b32 exec_lo, exec_lo, s15
.LBB219_682:                            ;   in Loop: Header=BB219_538 Depth=1
	s_or_b32 exec_lo, exec_lo, s14
	v_cmp_ne_u16_sdwa s0, v71, v6 src0_sel:BYTE_1 src1_sel:DWORD
	s_and_saveexec_b32 s14, s0
	s_cbranch_execz .LBB219_690
; %bb.683:                              ;   in Loop: Header=BB219_538 Depth=1
	v_mov_b32_e32 v11, v6
	v_mov_b32_e32 v20, v12
	v_cmp_ne_u16_sdwa s0, v71, v47 src0_sel:BYTE_1 src1_sel:DWORD
	v_mov_b32_e32 v19, v11
	s_and_saveexec_b32 s15, s0
	s_cbranch_execz .LBB219_689
; %bb.684:                              ;   in Loop: Header=BB219_538 Depth=1
	v_and_b32_sdwa v5, v48, v71 dst_sel:DWORD dst_unused:UNUSED_PAD src0_sel:DWORD src1_sel:BYTE_1
	v_mov_b32_e32 v13, v6
	v_mov_b32_e32 v20, v14
	s_mov_b32 s16, exec_lo
	v_and_b32_e32 v21, 0x7f, v5
	v_mov_b32_e32 v19, v13
	v_cmpx_ne_u32_e32 0x7f, v21
	s_cbranch_execz .LBB219_688
; %bb.685:                              ;   in Loop: Header=BB219_538 Depth=1
	v_and_b32_e32 v5, 7, v5
	v_lshrrev_b32_e32 v11, 3, v21
	s_mov_b32 s17, exec_lo
	v_cmpx_gt_u32_e32 8, v21
; %bb.686:                              ;   in Loop: Header=BB219_538 Depth=1
	v_ffbh_u32_e32 v11, v5
	v_min_u32_e32 v11, 32, v11
	v_subrev_nc_u32_e32 v13, 28, v11
	v_sub_nc_u32_e32 v11, 29, v11
	v_lshlrev_b64 v[19:20], v13, v[5:6]
	v_and_b32_e32 v5, 7, v19
; %bb.687:                              ;   in Loop: Header=BB219_538 Depth=1
	s_or_b32 exec_lo, exec_lo, s17
	v_lshlrev_b32_e32 v13, 16, v71
	v_lshlrev_b32_e32 v5, 20, v5
	v_lshl_add_u32 v11, v11, 23, 0x3c000000
	v_mov_b32_e32 v19, v6
	v_and_b32_e32 v13, 0x80000000, v13
	v_or3_b32 v20, v5, v13, v11
.LBB219_688:                            ;   in Loop: Header=BB219_538 Depth=1
	s_or_b32 exec_lo, exec_lo, s16
.LBB219_689:                            ;   in Loop: Header=BB219_538 Depth=1
	s_or_b32 exec_lo, exec_lo, s15
.LBB219_690:                            ;   in Loop: Header=BB219_538 Depth=1
	s_or_b32 exec_lo, exec_lo, s14
	v_mov_b32_e32 v23, 0
	v_mov_b32_e32 v21, 0
	v_and_b32_sdwa v5, v71, v49 dst_sel:DWORD dst_unused:UNUSED_PAD src0_sel:WORD_1 src1_sel:DWORD
	v_mov_b32_e32 v24, 0
	v_mov_b32_e32 v22, 0
	s_mov_b32 s14, exec_lo
	v_cmpx_ne_u16_e32 0, v5
	s_cbranch_execz .LBB219_698
; %bb.691:                              ;   in Loop: Header=BB219_538 Depth=1
	v_bfrev_b32_e32 v21, 1
	v_mov_b32_e32 v22, 0
	s_mov_b32 s15, exec_lo
	v_cmpx_ne_u16_e32 0x80, v5
	s_cbranch_execz .LBB219_697
; %bb.692:                              ;   in Loop: Header=BB219_538 Depth=1
	v_mov_b32_e32 v21, 0x7f800001
	v_bfe_u32 v13, v71, 16, 7
	v_mov_b32_e32 v22, 0
	s_mov_b32 s16, exec_lo
	v_cmpx_ne_u32_e32 0x7f, v13
	s_cbranch_execz .LBB219_696
; %bb.693:                              ;   in Loop: Header=BB219_538 Depth=1
	v_and_b32_sdwa v5, v71, v50 dst_sel:DWORD dst_unused:UNUSED_PAD src0_sel:WORD_1 src1_sel:DWORD
	v_lshrrev_b32_e32 v11, 3, v13
	s_mov_b32 s17, exec_lo
	v_cmpx_gt_u32_e32 8, v13
; %bb.694:                              ;   in Loop: Header=BB219_538 Depth=1
	v_ffbh_u32_e32 v11, v5
	v_min_u32_e32 v11, 32, v11
	v_subrev_nc_u32_e32 v13, 28, v11
	v_sub_nc_u32_e32 v11, 29, v11
	v_lshlrev_b64 v[21:22], v13, v[5:6]
	v_and_b32_e32 v5, 7, v21
; %bb.695:                              ;   in Loop: Header=BB219_538 Depth=1
	s_or_b32 exec_lo, exec_lo, s17
	v_lshlrev_b32_sdwa v13, v51, v71 dst_sel:DWORD dst_unused:UNUSED_PAD src0_sel:DWORD src1_sel:WORD_1
	v_lshlrev_b32_e32 v5, 20, v5
	v_lshl_add_u32 v11, v11, 23, 0x3c000000
	v_and_b32_e32 v13, 0x80000000, v13
	v_or3_b32 v5, v5, v13, v11
	v_mov_b32_e32 v22, v6
	v_mov_b32_e32 v21, v5
.LBB219_696:                            ;   in Loop: Header=BB219_538 Depth=1
	s_or_b32 exec_lo, exec_lo, s16
.LBB219_697:                            ;   in Loop: Header=BB219_538 Depth=1
	s_or_b32 exec_lo, exec_lo, s15
.LBB219_698:                            ;   in Loop: Header=BB219_538 Depth=1
	s_or_b32 exec_lo, exec_lo, s14
	s_mov_b32 s14, exec_lo
	v_cmpx_lt_u32_e32 0xffffff, v71
	s_cbranch_execz .LBB219_706
; %bb.699:                              ;   in Loop: Header=BB219_538 Depth=1
	v_mov_b32_e32 v11, v6
	v_mov_b32_e32 v24, v12
	v_cmp_ne_u32_sdwa s0, v71, v47 src0_sel:BYTE_3 src1_sel:DWORD
	v_mov_b32_e32 v23, v11
	s_and_saveexec_b32 s15, s0
	s_cbranch_execz .LBB219_705
; %bb.700:                              ;   in Loop: Header=BB219_538 Depth=1
	v_mov_b32_e32 v13, v6
	v_mov_b32_e32 v24, v14
	v_bfe_u32 v72, v71, 24, 7
	s_mov_b32 s16, exec_lo
	v_mov_b32_e32 v23, v13
	v_cmpx_ne_u32_e32 0x7f, v72
	s_cbranch_execz .LBB219_704
; %bb.701:                              ;   in Loop: Header=BB219_538 Depth=1
	v_and_b32_sdwa v5, v71, v50 dst_sel:DWORD dst_unused:UNUSED_PAD src0_sel:BYTE_3 src1_sel:DWORD
	v_lshrrev_b32_e32 v11, 3, v72
	s_mov_b32 s17, exec_lo
	v_cmpx_gt_u32_e32 8, v72
; %bb.702:                              ;   in Loop: Header=BB219_538 Depth=1
	v_ffbh_u32_e32 v11, v5
	v_min_u32_e32 v11, 32, v11
	v_subrev_nc_u32_e32 v13, 28, v11
	v_sub_nc_u32_e32 v11, 29, v11
	v_lshlrev_b64 v[23:24], v13, v[5:6]
	v_and_b32_e32 v5, 7, v23
; %bb.703:                              ;   in Loop: Header=BB219_538 Depth=1
	s_or_b32 exec_lo, exec_lo, s17
	v_lshlrev_b32_sdwa v13, v51, v71 dst_sel:DWORD dst_unused:UNUSED_PAD src0_sel:DWORD src1_sel:BYTE_3
	v_lshlrev_b32_e32 v5, 20, v5
	v_lshl_add_u32 v11, v11, 23, 0x3c000000
	v_mov_b32_e32 v23, v6
	v_and_b32_e32 v13, 0x80000000, v13
	v_or3_b32 v24, v5, v13, v11
.LBB219_704:                            ;   in Loop: Header=BB219_538 Depth=1
	s_or_b32 exec_lo, exec_lo, s16
.LBB219_705:                            ;   in Loop: Header=BB219_538 Depth=1
	s_or_b32 exec_lo, exec_lo, s15
.LBB219_706:                            ;   in Loop: Header=BB219_538 Depth=1
	s_or_b32 exec_lo, exec_lo, s14
	v_or_b32_e32 v5, v20, v18
	v_or_b32_e32 v11, v19, v17
	;; [unrolled: 1-line block ×4, first 2 shown]
	v_mul_f32_e32 v73, s13, v5
	v_mul_f32_e32 v74, s2, v11
	;; [unrolled: 1-line block ×4, first 2 shown]
	s_and_saveexec_b32 s14, vcc_lo
	s_cbranch_execz .LBB219_708
; %bb.707:                              ;   in Loop: Header=BB219_538 Depth=1
	v_cmp_gt_i32_e64 s0, s11, v56
	v_cndmask_b32_e64 v74, 0, v74, s0
	v_cmp_gt_i32_e64 s0, s11, v58
	v_cndmask_b32_e64 v73, 0, v73, s0
	;; [unrolled: 2-line block ×4, first 2 shown]
.LBB219_708:                            ;   in Loop: Header=BB219_538 Depth=1
	s_or_b32 exec_lo, exec_lo, s14
	global_load_dword v75, v[15:16], off offset:640
	v_mov_b32_e32 v19, 0
	v_mov_b32_e32 v17, 0
	;; [unrolled: 1-line block ×4, first 2 shown]
	s_waitcnt vmcnt(0)
	v_cmp_ne_u16_sdwa s0, v75, v6 src0_sel:BYTE_0 src1_sel:DWORD
	s_and_saveexec_b32 s14, s0
	s_cbranch_execz .LBB219_716
; %bb.709:                              ;   in Loop: Header=BB219_538 Depth=1
	v_bfrev_b32_e32 v17, 1
	v_mov_b32_e32 v18, 0
	v_cmp_ne_u16_sdwa s0, v75, v47 src0_sel:BYTE_0 src1_sel:DWORD
	s_and_saveexec_b32 s15, s0
	s_cbranch_execz .LBB219_715
; %bb.710:                              ;   in Loop: Header=BB219_538 Depth=1
	v_mov_b32_e32 v17, 0x7f800001
	v_and_b32_e32 v13, 0x7f, v75
	v_mov_b32_e32 v18, 0
	s_mov_b32 s16, exec_lo
	v_cmpx_ne_u32_e32 0x7f, v13
	s_cbranch_execz .LBB219_714
; %bb.711:                              ;   in Loop: Header=BB219_538 Depth=1
	v_and_b32_e32 v5, 7, v75
	v_lshrrev_b32_e32 v11, 3, v13
	s_mov_b32 s17, exec_lo
	v_cmpx_gt_u32_e32 8, v13
; %bb.712:                              ;   in Loop: Header=BB219_538 Depth=1
	v_ffbh_u32_e32 v11, v5
	v_min_u32_e32 v11, 32, v11
	v_subrev_nc_u32_e32 v13, 28, v11
	v_sub_nc_u32_e32 v11, 29, v11
	v_lshlrev_b64 v[17:18], v13, v[5:6]
	v_and_b32_e32 v5, 7, v17
; %bb.713:                              ;   in Loop: Header=BB219_538 Depth=1
	s_or_b32 exec_lo, exec_lo, s17
	v_lshlrev_b32_e32 v13, 24, v75
	v_lshlrev_b32_e32 v5, 20, v5
	v_lshl_add_u32 v11, v11, 23, 0x3c000000
	v_and_b32_e32 v13, 0x80000000, v13
	v_or3_b32 v5, v5, v13, v11
	v_mov_b32_e32 v18, v6
	v_mov_b32_e32 v17, v5
.LBB219_714:                            ;   in Loop: Header=BB219_538 Depth=1
	s_or_b32 exec_lo, exec_lo, s16
.LBB219_715:                            ;   in Loop: Header=BB219_538 Depth=1
	s_or_b32 exec_lo, exec_lo, s15
.LBB219_716:                            ;   in Loop: Header=BB219_538 Depth=1
	s_or_b32 exec_lo, exec_lo, s14
	v_cmp_ne_u16_sdwa s0, v75, v6 src0_sel:BYTE_1 src1_sel:DWORD
	s_and_saveexec_b32 s14, s0
	s_cbranch_execz .LBB219_724
; %bb.717:                              ;   in Loop: Header=BB219_538 Depth=1
	v_mov_b32_e32 v11, v6
	v_mov_b32_e32 v20, v12
	v_cmp_ne_u16_sdwa s0, v75, v47 src0_sel:BYTE_1 src1_sel:DWORD
	v_mov_b32_e32 v19, v11
	s_and_saveexec_b32 s15, s0
	s_cbranch_execz .LBB219_723
; %bb.718:                              ;   in Loop: Header=BB219_538 Depth=1
	v_and_b32_sdwa v5, v48, v75 dst_sel:DWORD dst_unused:UNUSED_PAD src0_sel:DWORD src1_sel:BYTE_1
	v_mov_b32_e32 v13, v6
	v_mov_b32_e32 v20, v14
	s_mov_b32 s16, exec_lo
	v_and_b32_e32 v21, 0x7f, v5
	v_mov_b32_e32 v19, v13
	v_cmpx_ne_u32_e32 0x7f, v21
	s_cbranch_execz .LBB219_722
; %bb.719:                              ;   in Loop: Header=BB219_538 Depth=1
	v_and_b32_e32 v5, 7, v5
	v_lshrrev_b32_e32 v11, 3, v21
	s_mov_b32 s17, exec_lo
	v_cmpx_gt_u32_e32 8, v21
; %bb.720:                              ;   in Loop: Header=BB219_538 Depth=1
	v_ffbh_u32_e32 v11, v5
	v_min_u32_e32 v11, 32, v11
	v_subrev_nc_u32_e32 v13, 28, v11
	v_sub_nc_u32_e32 v11, 29, v11
	v_lshlrev_b64 v[19:20], v13, v[5:6]
	v_and_b32_e32 v5, 7, v19
; %bb.721:                              ;   in Loop: Header=BB219_538 Depth=1
	s_or_b32 exec_lo, exec_lo, s17
	v_lshlrev_b32_e32 v13, 16, v75
	v_lshlrev_b32_e32 v5, 20, v5
	v_lshl_add_u32 v11, v11, 23, 0x3c000000
	v_mov_b32_e32 v19, v6
	v_and_b32_e32 v13, 0x80000000, v13
	v_or3_b32 v20, v5, v13, v11
.LBB219_722:                            ;   in Loop: Header=BB219_538 Depth=1
	s_or_b32 exec_lo, exec_lo, s16
.LBB219_723:                            ;   in Loop: Header=BB219_538 Depth=1
	s_or_b32 exec_lo, exec_lo, s15
.LBB219_724:                            ;   in Loop: Header=BB219_538 Depth=1
	s_or_b32 exec_lo, exec_lo, s14
	v_mov_b32_e32 v23, 0
	v_mov_b32_e32 v21, 0
	v_and_b32_sdwa v5, v75, v49 dst_sel:DWORD dst_unused:UNUSED_PAD src0_sel:WORD_1 src1_sel:DWORD
	v_mov_b32_e32 v24, 0
	v_mov_b32_e32 v22, 0
	s_mov_b32 s14, exec_lo
	v_cmpx_ne_u16_e32 0, v5
	s_cbranch_execz .LBB219_732
; %bb.725:                              ;   in Loop: Header=BB219_538 Depth=1
	v_bfrev_b32_e32 v21, 1
	v_mov_b32_e32 v22, 0
	s_mov_b32 s15, exec_lo
	v_cmpx_ne_u16_e32 0x80, v5
	s_cbranch_execz .LBB219_731
; %bb.726:                              ;   in Loop: Header=BB219_538 Depth=1
	v_mov_b32_e32 v21, 0x7f800001
	v_bfe_u32 v13, v75, 16, 7
	v_mov_b32_e32 v22, 0
	s_mov_b32 s16, exec_lo
	v_cmpx_ne_u32_e32 0x7f, v13
	s_cbranch_execz .LBB219_730
; %bb.727:                              ;   in Loop: Header=BB219_538 Depth=1
	v_and_b32_sdwa v5, v75, v50 dst_sel:DWORD dst_unused:UNUSED_PAD src0_sel:WORD_1 src1_sel:DWORD
	v_lshrrev_b32_e32 v11, 3, v13
	s_mov_b32 s17, exec_lo
	v_cmpx_gt_u32_e32 8, v13
; %bb.728:                              ;   in Loop: Header=BB219_538 Depth=1
	v_ffbh_u32_e32 v11, v5
	v_min_u32_e32 v11, 32, v11
	v_subrev_nc_u32_e32 v13, 28, v11
	v_sub_nc_u32_e32 v11, 29, v11
	v_lshlrev_b64 v[21:22], v13, v[5:6]
	v_and_b32_e32 v5, 7, v21
; %bb.729:                              ;   in Loop: Header=BB219_538 Depth=1
	s_or_b32 exec_lo, exec_lo, s17
	v_lshlrev_b32_sdwa v13, v51, v75 dst_sel:DWORD dst_unused:UNUSED_PAD src0_sel:DWORD src1_sel:WORD_1
	v_lshlrev_b32_e32 v5, 20, v5
	v_lshl_add_u32 v11, v11, 23, 0x3c000000
	v_and_b32_e32 v13, 0x80000000, v13
	v_or3_b32 v5, v5, v13, v11
	v_mov_b32_e32 v22, v6
	v_mov_b32_e32 v21, v5
.LBB219_730:                            ;   in Loop: Header=BB219_538 Depth=1
	s_or_b32 exec_lo, exec_lo, s16
.LBB219_731:                            ;   in Loop: Header=BB219_538 Depth=1
	s_or_b32 exec_lo, exec_lo, s15
.LBB219_732:                            ;   in Loop: Header=BB219_538 Depth=1
	s_or_b32 exec_lo, exec_lo, s14
	s_mov_b32 s14, exec_lo
	v_cmpx_lt_u32_e32 0xffffff, v75
	s_cbranch_execz .LBB219_740
; %bb.733:                              ;   in Loop: Header=BB219_538 Depth=1
	v_mov_b32_e32 v11, v6
	v_mov_b32_e32 v24, v12
	v_cmp_ne_u32_sdwa s0, v75, v47 src0_sel:BYTE_3 src1_sel:DWORD
	v_mov_b32_e32 v23, v11
	s_and_saveexec_b32 s15, s0
	s_cbranch_execz .LBB219_739
; %bb.734:                              ;   in Loop: Header=BB219_538 Depth=1
	v_mov_b32_e32 v13, v6
	v_mov_b32_e32 v24, v14
	v_bfe_u32 v76, v75, 24, 7
	s_mov_b32 s16, exec_lo
	v_mov_b32_e32 v23, v13
	v_cmpx_ne_u32_e32 0x7f, v76
	s_cbranch_execz .LBB219_738
; %bb.735:                              ;   in Loop: Header=BB219_538 Depth=1
	v_and_b32_sdwa v5, v75, v50 dst_sel:DWORD dst_unused:UNUSED_PAD src0_sel:BYTE_3 src1_sel:DWORD
	v_lshrrev_b32_e32 v11, 3, v76
	s_mov_b32 s17, exec_lo
	v_cmpx_gt_u32_e32 8, v76
; %bb.736:                              ;   in Loop: Header=BB219_538 Depth=1
	v_ffbh_u32_e32 v11, v5
	v_min_u32_e32 v11, 32, v11
	v_subrev_nc_u32_e32 v13, 28, v11
	v_sub_nc_u32_e32 v11, 29, v11
	v_lshlrev_b64 v[23:24], v13, v[5:6]
	v_and_b32_e32 v5, 7, v23
; %bb.737:                              ;   in Loop: Header=BB219_538 Depth=1
	s_or_b32 exec_lo, exec_lo, s17
	v_lshlrev_b32_sdwa v13, v51, v75 dst_sel:DWORD dst_unused:UNUSED_PAD src0_sel:DWORD src1_sel:BYTE_3
	v_lshlrev_b32_e32 v5, 20, v5
	v_lshl_add_u32 v11, v11, 23, 0x3c000000
	v_mov_b32_e32 v23, v6
	v_and_b32_e32 v13, 0x80000000, v13
	v_or3_b32 v24, v5, v13, v11
.LBB219_738:                            ;   in Loop: Header=BB219_538 Depth=1
	s_or_b32 exec_lo, exec_lo, s16
.LBB219_739:                            ;   in Loop: Header=BB219_538 Depth=1
	s_or_b32 exec_lo, exec_lo, s15
.LBB219_740:                            ;   in Loop: Header=BB219_538 Depth=1
	s_or_b32 exec_lo, exec_lo, s14
	v_or_b32_e32 v5, v20, v18
	v_or_b32_e32 v11, v19, v17
	v_or_b32_e32 v13, v23, v21
	v_or_b32_e32 v17, v24, v22
	v_mul_f32_e32 v77, s13, v5
	v_mul_f32_e32 v78, s2, v11
	;; [unrolled: 1-line block ×4, first 2 shown]
	s_and_saveexec_b32 s14, vcc_lo
	s_cbranch_execz .LBB219_742
; %bb.741:                              ;   in Loop: Header=BB219_538 Depth=1
	v_cmp_gt_i32_e64 s0, s11, v56
	v_cndmask_b32_e64 v78, 0, v78, s0
	v_cmp_gt_i32_e64 s0, s11, v58
	v_cndmask_b32_e64 v77, 0, v77, s0
	;; [unrolled: 2-line block ×4, first 2 shown]
.LBB219_742:                            ;   in Loop: Header=BB219_538 Depth=1
	s_or_b32 exec_lo, exec_lo, s14
	global_load_dword v79, v[15:16], off offset:768
	v_mov_b32_e32 v19, 0
	v_mov_b32_e32 v17, 0
	;; [unrolled: 1-line block ×4, first 2 shown]
	s_waitcnt vmcnt(0)
	v_cmp_ne_u16_sdwa s0, v79, v6 src0_sel:BYTE_0 src1_sel:DWORD
	s_and_saveexec_b32 s14, s0
	s_cbranch_execz .LBB219_750
; %bb.743:                              ;   in Loop: Header=BB219_538 Depth=1
	v_bfrev_b32_e32 v17, 1
	v_mov_b32_e32 v18, 0
	v_cmp_ne_u16_sdwa s0, v79, v47 src0_sel:BYTE_0 src1_sel:DWORD
	s_and_saveexec_b32 s15, s0
	s_cbranch_execz .LBB219_749
; %bb.744:                              ;   in Loop: Header=BB219_538 Depth=1
	v_mov_b32_e32 v17, 0x7f800001
	v_and_b32_e32 v13, 0x7f, v79
	v_mov_b32_e32 v18, 0
	s_mov_b32 s16, exec_lo
	v_cmpx_ne_u32_e32 0x7f, v13
	s_cbranch_execz .LBB219_748
; %bb.745:                              ;   in Loop: Header=BB219_538 Depth=1
	v_and_b32_e32 v5, 7, v79
	v_lshrrev_b32_e32 v11, 3, v13
	s_mov_b32 s17, exec_lo
	v_cmpx_gt_u32_e32 8, v13
; %bb.746:                              ;   in Loop: Header=BB219_538 Depth=1
	v_ffbh_u32_e32 v11, v5
	v_min_u32_e32 v11, 32, v11
	v_subrev_nc_u32_e32 v13, 28, v11
	v_sub_nc_u32_e32 v11, 29, v11
	v_lshlrev_b64 v[17:18], v13, v[5:6]
	v_and_b32_e32 v5, 7, v17
; %bb.747:                              ;   in Loop: Header=BB219_538 Depth=1
	s_or_b32 exec_lo, exec_lo, s17
	v_lshlrev_b32_e32 v13, 24, v79
	v_lshlrev_b32_e32 v5, 20, v5
	v_lshl_add_u32 v11, v11, 23, 0x3c000000
	v_and_b32_e32 v13, 0x80000000, v13
	v_or3_b32 v5, v5, v13, v11
	v_mov_b32_e32 v18, v6
	v_mov_b32_e32 v17, v5
.LBB219_748:                            ;   in Loop: Header=BB219_538 Depth=1
	s_or_b32 exec_lo, exec_lo, s16
.LBB219_749:                            ;   in Loop: Header=BB219_538 Depth=1
	s_or_b32 exec_lo, exec_lo, s15
.LBB219_750:                            ;   in Loop: Header=BB219_538 Depth=1
	s_or_b32 exec_lo, exec_lo, s14
	v_cmp_ne_u16_sdwa s0, v79, v6 src0_sel:BYTE_1 src1_sel:DWORD
	s_and_saveexec_b32 s14, s0
	s_cbranch_execz .LBB219_758
; %bb.751:                              ;   in Loop: Header=BB219_538 Depth=1
	v_mov_b32_e32 v11, v6
	v_mov_b32_e32 v20, v12
	v_cmp_ne_u16_sdwa s0, v79, v47 src0_sel:BYTE_1 src1_sel:DWORD
	v_mov_b32_e32 v19, v11
	s_and_saveexec_b32 s15, s0
	s_cbranch_execz .LBB219_757
; %bb.752:                              ;   in Loop: Header=BB219_538 Depth=1
	v_and_b32_sdwa v5, v48, v79 dst_sel:DWORD dst_unused:UNUSED_PAD src0_sel:DWORD src1_sel:BYTE_1
	v_mov_b32_e32 v13, v6
	v_mov_b32_e32 v20, v14
	s_mov_b32 s16, exec_lo
	v_and_b32_e32 v21, 0x7f, v5
	v_mov_b32_e32 v19, v13
	v_cmpx_ne_u32_e32 0x7f, v21
	s_cbranch_execz .LBB219_756
; %bb.753:                              ;   in Loop: Header=BB219_538 Depth=1
	v_and_b32_e32 v5, 7, v5
	v_lshrrev_b32_e32 v11, 3, v21
	s_mov_b32 s17, exec_lo
	v_cmpx_gt_u32_e32 8, v21
; %bb.754:                              ;   in Loop: Header=BB219_538 Depth=1
	v_ffbh_u32_e32 v11, v5
	v_min_u32_e32 v11, 32, v11
	v_subrev_nc_u32_e32 v13, 28, v11
	v_sub_nc_u32_e32 v11, 29, v11
	v_lshlrev_b64 v[19:20], v13, v[5:6]
	v_and_b32_e32 v5, 7, v19
; %bb.755:                              ;   in Loop: Header=BB219_538 Depth=1
	s_or_b32 exec_lo, exec_lo, s17
	v_lshlrev_b32_e32 v13, 16, v79
	v_lshlrev_b32_e32 v5, 20, v5
	v_lshl_add_u32 v11, v11, 23, 0x3c000000
	v_mov_b32_e32 v19, v6
	v_and_b32_e32 v13, 0x80000000, v13
	v_or3_b32 v20, v5, v13, v11
.LBB219_756:                            ;   in Loop: Header=BB219_538 Depth=1
	s_or_b32 exec_lo, exec_lo, s16
.LBB219_757:                            ;   in Loop: Header=BB219_538 Depth=1
	s_or_b32 exec_lo, exec_lo, s15
.LBB219_758:                            ;   in Loop: Header=BB219_538 Depth=1
	s_or_b32 exec_lo, exec_lo, s14
	v_mov_b32_e32 v23, 0
	v_mov_b32_e32 v21, 0
	v_and_b32_sdwa v5, v79, v49 dst_sel:DWORD dst_unused:UNUSED_PAD src0_sel:WORD_1 src1_sel:DWORD
	v_mov_b32_e32 v24, 0
	v_mov_b32_e32 v22, 0
	s_mov_b32 s14, exec_lo
	v_cmpx_ne_u16_e32 0, v5
	s_cbranch_execz .LBB219_766
; %bb.759:                              ;   in Loop: Header=BB219_538 Depth=1
	v_bfrev_b32_e32 v21, 1
	v_mov_b32_e32 v22, 0
	s_mov_b32 s15, exec_lo
	v_cmpx_ne_u16_e32 0x80, v5
	s_cbranch_execz .LBB219_765
; %bb.760:                              ;   in Loop: Header=BB219_538 Depth=1
	v_mov_b32_e32 v21, 0x7f800001
	v_bfe_u32 v13, v79, 16, 7
	v_mov_b32_e32 v22, 0
	s_mov_b32 s16, exec_lo
	v_cmpx_ne_u32_e32 0x7f, v13
	s_cbranch_execz .LBB219_764
; %bb.761:                              ;   in Loop: Header=BB219_538 Depth=1
	v_and_b32_sdwa v5, v79, v50 dst_sel:DWORD dst_unused:UNUSED_PAD src0_sel:WORD_1 src1_sel:DWORD
	v_lshrrev_b32_e32 v11, 3, v13
	s_mov_b32 s17, exec_lo
	v_cmpx_gt_u32_e32 8, v13
; %bb.762:                              ;   in Loop: Header=BB219_538 Depth=1
	v_ffbh_u32_e32 v11, v5
	v_min_u32_e32 v11, 32, v11
	v_subrev_nc_u32_e32 v13, 28, v11
	v_sub_nc_u32_e32 v11, 29, v11
	v_lshlrev_b64 v[21:22], v13, v[5:6]
	v_and_b32_e32 v5, 7, v21
; %bb.763:                              ;   in Loop: Header=BB219_538 Depth=1
	s_or_b32 exec_lo, exec_lo, s17
	v_lshlrev_b32_sdwa v13, v51, v79 dst_sel:DWORD dst_unused:UNUSED_PAD src0_sel:DWORD src1_sel:WORD_1
	v_lshlrev_b32_e32 v5, 20, v5
	v_lshl_add_u32 v11, v11, 23, 0x3c000000
	v_and_b32_e32 v13, 0x80000000, v13
	v_or3_b32 v5, v5, v13, v11
	v_mov_b32_e32 v22, v6
	v_mov_b32_e32 v21, v5
.LBB219_764:                            ;   in Loop: Header=BB219_538 Depth=1
	s_or_b32 exec_lo, exec_lo, s16
.LBB219_765:                            ;   in Loop: Header=BB219_538 Depth=1
	s_or_b32 exec_lo, exec_lo, s15
.LBB219_766:                            ;   in Loop: Header=BB219_538 Depth=1
	s_or_b32 exec_lo, exec_lo, s14
	s_mov_b32 s14, exec_lo
	v_cmpx_lt_u32_e32 0xffffff, v79
	s_cbranch_execz .LBB219_774
; %bb.767:                              ;   in Loop: Header=BB219_538 Depth=1
	v_mov_b32_e32 v11, v6
	v_mov_b32_e32 v24, v12
	v_cmp_ne_u32_sdwa s0, v79, v47 src0_sel:BYTE_3 src1_sel:DWORD
	v_mov_b32_e32 v23, v11
	s_and_saveexec_b32 s15, s0
	s_cbranch_execz .LBB219_773
; %bb.768:                              ;   in Loop: Header=BB219_538 Depth=1
	v_mov_b32_e32 v13, v6
	v_mov_b32_e32 v24, v14
	v_bfe_u32 v80, v79, 24, 7
	s_mov_b32 s16, exec_lo
	v_mov_b32_e32 v23, v13
	v_cmpx_ne_u32_e32 0x7f, v80
	s_cbranch_execz .LBB219_772
; %bb.769:                              ;   in Loop: Header=BB219_538 Depth=1
	v_and_b32_sdwa v5, v79, v50 dst_sel:DWORD dst_unused:UNUSED_PAD src0_sel:BYTE_3 src1_sel:DWORD
	v_lshrrev_b32_e32 v11, 3, v80
	s_mov_b32 s17, exec_lo
	v_cmpx_gt_u32_e32 8, v80
; %bb.770:                              ;   in Loop: Header=BB219_538 Depth=1
	v_ffbh_u32_e32 v11, v5
	v_min_u32_e32 v11, 32, v11
	v_subrev_nc_u32_e32 v13, 28, v11
	v_sub_nc_u32_e32 v11, 29, v11
	v_lshlrev_b64 v[23:24], v13, v[5:6]
	v_and_b32_e32 v5, 7, v23
; %bb.771:                              ;   in Loop: Header=BB219_538 Depth=1
	s_or_b32 exec_lo, exec_lo, s17
	v_lshlrev_b32_sdwa v13, v51, v79 dst_sel:DWORD dst_unused:UNUSED_PAD src0_sel:DWORD src1_sel:BYTE_3
	v_lshlrev_b32_e32 v5, 20, v5
	v_lshl_add_u32 v11, v11, 23, 0x3c000000
	v_mov_b32_e32 v23, v6
	v_and_b32_e32 v13, 0x80000000, v13
	v_or3_b32 v24, v5, v13, v11
.LBB219_772:                            ;   in Loop: Header=BB219_538 Depth=1
	s_or_b32 exec_lo, exec_lo, s16
.LBB219_773:                            ;   in Loop: Header=BB219_538 Depth=1
	s_or_b32 exec_lo, exec_lo, s15
.LBB219_774:                            ;   in Loop: Header=BB219_538 Depth=1
	s_or_b32 exec_lo, exec_lo, s14
	v_or_b32_e32 v5, v20, v18
	v_or_b32_e32 v11, v19, v17
	;; [unrolled: 1-line block ×4, first 2 shown]
	v_mul_f32_e32 v81, s13, v5
	v_mul_f32_e32 v82, s2, v11
	;; [unrolled: 1-line block ×4, first 2 shown]
	s_and_saveexec_b32 s14, vcc_lo
	s_cbranch_execz .LBB219_776
; %bb.775:                              ;   in Loop: Header=BB219_538 Depth=1
	v_cmp_gt_i32_e64 s0, s11, v56
	v_cndmask_b32_e64 v82, 0, v82, s0
	v_cmp_gt_i32_e64 s0, s11, v58
	v_cndmask_b32_e64 v81, 0, v81, s0
	;; [unrolled: 2-line block ×4, first 2 shown]
.LBB219_776:                            ;   in Loop: Header=BB219_538 Depth=1
	s_or_b32 exec_lo, exec_lo, s14
	global_load_dword v83, v[15:16], off offset:896
	v_mov_b32_e32 v19, 0
	v_mov_b32_e32 v17, 0
	;; [unrolled: 1-line block ×4, first 2 shown]
	s_waitcnt vmcnt(0)
	v_cmp_ne_u16_sdwa s0, v83, v6 src0_sel:BYTE_0 src1_sel:DWORD
	s_and_saveexec_b32 s14, s0
	s_cbranch_execz .LBB219_784
; %bb.777:                              ;   in Loop: Header=BB219_538 Depth=1
	v_bfrev_b32_e32 v17, 1
	v_mov_b32_e32 v18, 0
	v_cmp_ne_u16_sdwa s0, v83, v47 src0_sel:BYTE_0 src1_sel:DWORD
	s_and_saveexec_b32 s15, s0
	s_cbranch_execz .LBB219_783
; %bb.778:                              ;   in Loop: Header=BB219_538 Depth=1
	v_mov_b32_e32 v17, 0x7f800001
	v_and_b32_e32 v13, 0x7f, v83
	v_mov_b32_e32 v18, 0
	s_mov_b32 s16, exec_lo
	v_cmpx_ne_u32_e32 0x7f, v13
	s_cbranch_execz .LBB219_782
; %bb.779:                              ;   in Loop: Header=BB219_538 Depth=1
	v_and_b32_e32 v5, 7, v83
	v_lshrrev_b32_e32 v11, 3, v13
	s_mov_b32 s17, exec_lo
	v_cmpx_gt_u32_e32 8, v13
; %bb.780:                              ;   in Loop: Header=BB219_538 Depth=1
	v_ffbh_u32_e32 v11, v5
	v_min_u32_e32 v11, 32, v11
	v_subrev_nc_u32_e32 v13, 28, v11
	v_sub_nc_u32_e32 v11, 29, v11
	v_lshlrev_b64 v[17:18], v13, v[5:6]
	v_and_b32_e32 v5, 7, v17
; %bb.781:                              ;   in Loop: Header=BB219_538 Depth=1
	s_or_b32 exec_lo, exec_lo, s17
	v_lshlrev_b32_e32 v13, 24, v83
	v_lshlrev_b32_e32 v5, 20, v5
	v_lshl_add_u32 v11, v11, 23, 0x3c000000
	v_and_b32_e32 v13, 0x80000000, v13
	v_or3_b32 v5, v5, v13, v11
	v_mov_b32_e32 v18, v6
	v_mov_b32_e32 v17, v5
.LBB219_782:                            ;   in Loop: Header=BB219_538 Depth=1
	s_or_b32 exec_lo, exec_lo, s16
.LBB219_783:                            ;   in Loop: Header=BB219_538 Depth=1
	s_or_b32 exec_lo, exec_lo, s15
.LBB219_784:                            ;   in Loop: Header=BB219_538 Depth=1
	s_or_b32 exec_lo, exec_lo, s14
	v_cmp_ne_u16_sdwa s0, v83, v6 src0_sel:BYTE_1 src1_sel:DWORD
	s_and_saveexec_b32 s14, s0
	s_cbranch_execz .LBB219_792
; %bb.785:                              ;   in Loop: Header=BB219_538 Depth=1
	v_mov_b32_e32 v11, v6
	v_mov_b32_e32 v20, v12
	v_cmp_ne_u16_sdwa s0, v83, v47 src0_sel:BYTE_1 src1_sel:DWORD
	v_mov_b32_e32 v19, v11
	s_and_saveexec_b32 s15, s0
	s_cbranch_execz .LBB219_791
; %bb.786:                              ;   in Loop: Header=BB219_538 Depth=1
	v_and_b32_sdwa v5, v48, v83 dst_sel:DWORD dst_unused:UNUSED_PAD src0_sel:DWORD src1_sel:BYTE_1
	v_mov_b32_e32 v13, v6
	v_mov_b32_e32 v20, v14
	s_mov_b32 s16, exec_lo
	v_and_b32_e32 v21, 0x7f, v5
	v_mov_b32_e32 v19, v13
	v_cmpx_ne_u32_e32 0x7f, v21
	s_cbranch_execz .LBB219_790
; %bb.787:                              ;   in Loop: Header=BB219_538 Depth=1
	v_and_b32_e32 v5, 7, v5
	v_lshrrev_b32_e32 v11, 3, v21
	s_mov_b32 s17, exec_lo
	v_cmpx_gt_u32_e32 8, v21
; %bb.788:                              ;   in Loop: Header=BB219_538 Depth=1
	v_ffbh_u32_e32 v11, v5
	v_min_u32_e32 v11, 32, v11
	v_subrev_nc_u32_e32 v13, 28, v11
	v_sub_nc_u32_e32 v11, 29, v11
	v_lshlrev_b64 v[19:20], v13, v[5:6]
	v_and_b32_e32 v5, 7, v19
; %bb.789:                              ;   in Loop: Header=BB219_538 Depth=1
	s_or_b32 exec_lo, exec_lo, s17
	v_lshlrev_b32_e32 v13, 16, v83
	v_lshlrev_b32_e32 v5, 20, v5
	v_lshl_add_u32 v11, v11, 23, 0x3c000000
	v_mov_b32_e32 v19, v6
	v_and_b32_e32 v13, 0x80000000, v13
	v_or3_b32 v20, v5, v13, v11
.LBB219_790:                            ;   in Loop: Header=BB219_538 Depth=1
	s_or_b32 exec_lo, exec_lo, s16
.LBB219_791:                            ;   in Loop: Header=BB219_538 Depth=1
	s_or_b32 exec_lo, exec_lo, s15
.LBB219_792:                            ;   in Loop: Header=BB219_538 Depth=1
	s_or_b32 exec_lo, exec_lo, s14
	v_mov_b32_e32 v23, 0
	v_mov_b32_e32 v21, 0
	v_and_b32_sdwa v5, v83, v49 dst_sel:DWORD dst_unused:UNUSED_PAD src0_sel:WORD_1 src1_sel:DWORD
	v_mov_b32_e32 v24, 0
	v_mov_b32_e32 v22, 0
	s_mov_b32 s14, exec_lo
	v_cmpx_ne_u16_e32 0, v5
	s_cbranch_execz .LBB219_800
; %bb.793:                              ;   in Loop: Header=BB219_538 Depth=1
	v_bfrev_b32_e32 v21, 1
	v_mov_b32_e32 v22, 0
	s_mov_b32 s15, exec_lo
	v_cmpx_ne_u16_e32 0x80, v5
	s_cbranch_execz .LBB219_799
; %bb.794:                              ;   in Loop: Header=BB219_538 Depth=1
	v_mov_b32_e32 v21, 0x7f800001
	v_bfe_u32 v13, v83, 16, 7
	v_mov_b32_e32 v22, 0
	s_mov_b32 s16, exec_lo
	v_cmpx_ne_u32_e32 0x7f, v13
	s_cbranch_execz .LBB219_798
; %bb.795:                              ;   in Loop: Header=BB219_538 Depth=1
	v_and_b32_sdwa v5, v83, v50 dst_sel:DWORD dst_unused:UNUSED_PAD src0_sel:WORD_1 src1_sel:DWORD
	v_lshrrev_b32_e32 v11, 3, v13
	s_mov_b32 s17, exec_lo
	v_cmpx_gt_u32_e32 8, v13
; %bb.796:                              ;   in Loop: Header=BB219_538 Depth=1
	v_ffbh_u32_e32 v11, v5
	v_min_u32_e32 v11, 32, v11
	v_subrev_nc_u32_e32 v13, 28, v11
	v_sub_nc_u32_e32 v11, 29, v11
	v_lshlrev_b64 v[21:22], v13, v[5:6]
	v_and_b32_e32 v5, 7, v21
; %bb.797:                              ;   in Loop: Header=BB219_538 Depth=1
	s_or_b32 exec_lo, exec_lo, s17
	v_lshlrev_b32_sdwa v13, v51, v83 dst_sel:DWORD dst_unused:UNUSED_PAD src0_sel:DWORD src1_sel:WORD_1
	v_lshlrev_b32_e32 v5, 20, v5
	v_lshl_add_u32 v11, v11, 23, 0x3c000000
	v_and_b32_e32 v13, 0x80000000, v13
	v_or3_b32 v5, v5, v13, v11
	v_mov_b32_e32 v22, v6
	v_mov_b32_e32 v21, v5
.LBB219_798:                            ;   in Loop: Header=BB219_538 Depth=1
	s_or_b32 exec_lo, exec_lo, s16
.LBB219_799:                            ;   in Loop: Header=BB219_538 Depth=1
	s_or_b32 exec_lo, exec_lo, s15
.LBB219_800:                            ;   in Loop: Header=BB219_538 Depth=1
	s_or_b32 exec_lo, exec_lo, s14
	s_mov_b32 s14, exec_lo
	v_cmpx_lt_u32_e32 0xffffff, v83
	s_cbranch_execz .LBB219_808
; %bb.801:                              ;   in Loop: Header=BB219_538 Depth=1
	v_mov_b32_e32 v11, v6
	v_mov_b32_e32 v24, v12
	v_cmp_ne_u32_sdwa s0, v83, v47 src0_sel:BYTE_3 src1_sel:DWORD
	v_mov_b32_e32 v23, v11
	s_and_saveexec_b32 s15, s0
	s_cbranch_execz .LBB219_807
; %bb.802:                              ;   in Loop: Header=BB219_538 Depth=1
	v_mov_b32_e32 v13, v6
	v_mov_b32_e32 v24, v14
	v_bfe_u32 v84, v83, 24, 7
	s_mov_b32 s16, exec_lo
	v_mov_b32_e32 v23, v13
	v_cmpx_ne_u32_e32 0x7f, v84
	s_cbranch_execz .LBB219_806
; %bb.803:                              ;   in Loop: Header=BB219_538 Depth=1
	v_and_b32_sdwa v5, v83, v50 dst_sel:DWORD dst_unused:UNUSED_PAD src0_sel:BYTE_3 src1_sel:DWORD
	v_lshrrev_b32_e32 v11, 3, v84
	s_mov_b32 s17, exec_lo
	v_cmpx_gt_u32_e32 8, v84
; %bb.804:                              ;   in Loop: Header=BB219_538 Depth=1
	v_ffbh_u32_e32 v11, v5
	v_min_u32_e32 v11, 32, v11
	v_subrev_nc_u32_e32 v13, 28, v11
	v_sub_nc_u32_e32 v11, 29, v11
	v_lshlrev_b64 v[23:24], v13, v[5:6]
	v_and_b32_e32 v5, 7, v23
; %bb.805:                              ;   in Loop: Header=BB219_538 Depth=1
	s_or_b32 exec_lo, exec_lo, s17
	v_lshlrev_b32_sdwa v13, v51, v83 dst_sel:DWORD dst_unused:UNUSED_PAD src0_sel:DWORD src1_sel:BYTE_3
	v_lshlrev_b32_e32 v5, 20, v5
	v_lshl_add_u32 v11, v11, 23, 0x3c000000
	v_mov_b32_e32 v23, v6
	v_and_b32_e32 v13, 0x80000000, v13
	v_or3_b32 v24, v5, v13, v11
.LBB219_806:                            ;   in Loop: Header=BB219_538 Depth=1
	s_or_b32 exec_lo, exec_lo, s16
.LBB219_807:                            ;   in Loop: Header=BB219_538 Depth=1
	s_or_b32 exec_lo, exec_lo, s15
.LBB219_808:                            ;   in Loop: Header=BB219_538 Depth=1
	s_or_b32 exec_lo, exec_lo, s14
	v_or_b32_e32 v5, v20, v18
	v_or_b32_e32 v11, v19, v17
	;; [unrolled: 1-line block ×4, first 2 shown]
	v_mul_f32_e32 v85, s13, v5
	v_mul_f32_e32 v86, s2, v11
	;; [unrolled: 1-line block ×4, first 2 shown]
	s_and_saveexec_b32 s14, vcc_lo
	s_cbranch_execz .LBB219_810
; %bb.809:                              ;   in Loop: Header=BB219_538 Depth=1
	v_cmp_gt_i32_e64 s0, s11, v56
	v_cndmask_b32_e64 v86, 0, v86, s0
	v_cmp_gt_i32_e64 s0, s11, v58
	v_cndmask_b32_e64 v85, 0, v85, s0
	;; [unrolled: 2-line block ×4, first 2 shown]
.LBB219_810:                            ;   in Loop: Header=BB219_538 Depth=1
	s_or_b32 exec_lo, exec_lo, s14
	global_load_dword v87, v[15:16], off offset:1024
	v_mov_b32_e32 v19, 0
	v_mov_b32_e32 v17, 0
	v_mov_b32_e32 v20, 0
	v_mov_b32_e32 v18, 0
	s_waitcnt vmcnt(0)
	v_cmp_ne_u16_sdwa s0, v87, v6 src0_sel:BYTE_0 src1_sel:DWORD
	s_and_saveexec_b32 s14, s0
	s_cbranch_execz .LBB219_818
; %bb.811:                              ;   in Loop: Header=BB219_538 Depth=1
	v_bfrev_b32_e32 v17, 1
	v_mov_b32_e32 v18, 0
	v_cmp_ne_u16_sdwa s0, v87, v47 src0_sel:BYTE_0 src1_sel:DWORD
	s_and_saveexec_b32 s15, s0
	s_cbranch_execz .LBB219_817
; %bb.812:                              ;   in Loop: Header=BB219_538 Depth=1
	v_mov_b32_e32 v17, 0x7f800001
	v_and_b32_e32 v13, 0x7f, v87
	v_mov_b32_e32 v18, 0
	s_mov_b32 s16, exec_lo
	v_cmpx_ne_u32_e32 0x7f, v13
	s_cbranch_execz .LBB219_816
; %bb.813:                              ;   in Loop: Header=BB219_538 Depth=1
	v_and_b32_e32 v5, 7, v87
	v_lshrrev_b32_e32 v11, 3, v13
	s_mov_b32 s17, exec_lo
	v_cmpx_gt_u32_e32 8, v13
; %bb.814:                              ;   in Loop: Header=BB219_538 Depth=1
	v_ffbh_u32_e32 v11, v5
	v_min_u32_e32 v11, 32, v11
	v_subrev_nc_u32_e32 v13, 28, v11
	v_sub_nc_u32_e32 v11, 29, v11
	v_lshlrev_b64 v[17:18], v13, v[5:6]
	v_and_b32_e32 v5, 7, v17
; %bb.815:                              ;   in Loop: Header=BB219_538 Depth=1
	s_or_b32 exec_lo, exec_lo, s17
	v_lshlrev_b32_e32 v13, 24, v87
	v_lshlrev_b32_e32 v5, 20, v5
	v_lshl_add_u32 v11, v11, 23, 0x3c000000
	v_and_b32_e32 v13, 0x80000000, v13
	v_or3_b32 v5, v5, v13, v11
	v_mov_b32_e32 v18, v6
	v_mov_b32_e32 v17, v5
.LBB219_816:                            ;   in Loop: Header=BB219_538 Depth=1
	s_or_b32 exec_lo, exec_lo, s16
.LBB219_817:                            ;   in Loop: Header=BB219_538 Depth=1
	s_or_b32 exec_lo, exec_lo, s15
.LBB219_818:                            ;   in Loop: Header=BB219_538 Depth=1
	s_or_b32 exec_lo, exec_lo, s14
	v_cmp_ne_u16_sdwa s0, v87, v6 src0_sel:BYTE_1 src1_sel:DWORD
	s_and_saveexec_b32 s14, s0
	s_cbranch_execz .LBB219_826
; %bb.819:                              ;   in Loop: Header=BB219_538 Depth=1
	v_mov_b32_e32 v11, v6
	v_mov_b32_e32 v20, v12
	v_cmp_ne_u16_sdwa s0, v87, v47 src0_sel:BYTE_1 src1_sel:DWORD
	v_mov_b32_e32 v19, v11
	s_and_saveexec_b32 s15, s0
	s_cbranch_execz .LBB219_825
; %bb.820:                              ;   in Loop: Header=BB219_538 Depth=1
	v_and_b32_sdwa v5, v48, v87 dst_sel:DWORD dst_unused:UNUSED_PAD src0_sel:DWORD src1_sel:BYTE_1
	v_mov_b32_e32 v13, v6
	v_mov_b32_e32 v20, v14
	s_mov_b32 s16, exec_lo
	v_and_b32_e32 v21, 0x7f, v5
	v_mov_b32_e32 v19, v13
	v_cmpx_ne_u32_e32 0x7f, v21
	s_cbranch_execz .LBB219_824
; %bb.821:                              ;   in Loop: Header=BB219_538 Depth=1
	v_and_b32_e32 v5, 7, v5
	v_lshrrev_b32_e32 v11, 3, v21
	s_mov_b32 s17, exec_lo
	v_cmpx_gt_u32_e32 8, v21
; %bb.822:                              ;   in Loop: Header=BB219_538 Depth=1
	v_ffbh_u32_e32 v11, v5
	v_min_u32_e32 v11, 32, v11
	v_subrev_nc_u32_e32 v13, 28, v11
	v_sub_nc_u32_e32 v11, 29, v11
	v_lshlrev_b64 v[19:20], v13, v[5:6]
	v_and_b32_e32 v5, 7, v19
; %bb.823:                              ;   in Loop: Header=BB219_538 Depth=1
	s_or_b32 exec_lo, exec_lo, s17
	v_lshlrev_b32_e32 v13, 16, v87
	v_lshlrev_b32_e32 v5, 20, v5
	v_lshl_add_u32 v11, v11, 23, 0x3c000000
	v_mov_b32_e32 v19, v6
	v_and_b32_e32 v13, 0x80000000, v13
	v_or3_b32 v20, v5, v13, v11
.LBB219_824:                            ;   in Loop: Header=BB219_538 Depth=1
	s_or_b32 exec_lo, exec_lo, s16
.LBB219_825:                            ;   in Loop: Header=BB219_538 Depth=1
	s_or_b32 exec_lo, exec_lo, s15
.LBB219_826:                            ;   in Loop: Header=BB219_538 Depth=1
	s_or_b32 exec_lo, exec_lo, s14
	v_mov_b32_e32 v23, 0
	v_mov_b32_e32 v21, 0
	v_and_b32_sdwa v5, v87, v49 dst_sel:DWORD dst_unused:UNUSED_PAD src0_sel:WORD_1 src1_sel:DWORD
	v_mov_b32_e32 v24, 0
	v_mov_b32_e32 v22, 0
	s_mov_b32 s14, exec_lo
	v_cmpx_ne_u16_e32 0, v5
	s_cbranch_execz .LBB219_834
; %bb.827:                              ;   in Loop: Header=BB219_538 Depth=1
	v_bfrev_b32_e32 v21, 1
	v_mov_b32_e32 v22, 0
	s_mov_b32 s15, exec_lo
	v_cmpx_ne_u16_e32 0x80, v5
	s_cbranch_execz .LBB219_833
; %bb.828:                              ;   in Loop: Header=BB219_538 Depth=1
	v_mov_b32_e32 v21, 0x7f800001
	v_bfe_u32 v13, v87, 16, 7
	v_mov_b32_e32 v22, 0
	s_mov_b32 s16, exec_lo
	v_cmpx_ne_u32_e32 0x7f, v13
	s_cbranch_execz .LBB219_832
; %bb.829:                              ;   in Loop: Header=BB219_538 Depth=1
	v_and_b32_sdwa v5, v87, v50 dst_sel:DWORD dst_unused:UNUSED_PAD src0_sel:WORD_1 src1_sel:DWORD
	v_lshrrev_b32_e32 v11, 3, v13
	s_mov_b32 s17, exec_lo
	v_cmpx_gt_u32_e32 8, v13
; %bb.830:                              ;   in Loop: Header=BB219_538 Depth=1
	v_ffbh_u32_e32 v11, v5
	v_min_u32_e32 v11, 32, v11
	v_subrev_nc_u32_e32 v13, 28, v11
	v_sub_nc_u32_e32 v11, 29, v11
	v_lshlrev_b64 v[21:22], v13, v[5:6]
	v_and_b32_e32 v5, 7, v21
; %bb.831:                              ;   in Loop: Header=BB219_538 Depth=1
	s_or_b32 exec_lo, exec_lo, s17
	v_lshlrev_b32_sdwa v13, v51, v87 dst_sel:DWORD dst_unused:UNUSED_PAD src0_sel:DWORD src1_sel:WORD_1
	v_lshlrev_b32_e32 v5, 20, v5
	v_lshl_add_u32 v11, v11, 23, 0x3c000000
	v_and_b32_e32 v13, 0x80000000, v13
	v_or3_b32 v5, v5, v13, v11
	v_mov_b32_e32 v22, v6
	v_mov_b32_e32 v21, v5
.LBB219_832:                            ;   in Loop: Header=BB219_538 Depth=1
	s_or_b32 exec_lo, exec_lo, s16
.LBB219_833:                            ;   in Loop: Header=BB219_538 Depth=1
	s_or_b32 exec_lo, exec_lo, s15
.LBB219_834:                            ;   in Loop: Header=BB219_538 Depth=1
	s_or_b32 exec_lo, exec_lo, s14
	s_mov_b32 s14, exec_lo
	v_cmpx_lt_u32_e32 0xffffff, v87
	s_cbranch_execz .LBB219_842
; %bb.835:                              ;   in Loop: Header=BB219_538 Depth=1
	v_mov_b32_e32 v11, v6
	v_mov_b32_e32 v24, v12
	v_cmp_ne_u32_sdwa s0, v87, v47 src0_sel:BYTE_3 src1_sel:DWORD
	v_mov_b32_e32 v23, v11
	s_and_saveexec_b32 s15, s0
	s_cbranch_execz .LBB219_841
; %bb.836:                              ;   in Loop: Header=BB219_538 Depth=1
	v_mov_b32_e32 v13, v6
	v_mov_b32_e32 v24, v14
	v_bfe_u32 v88, v87, 24, 7
	s_mov_b32 s16, exec_lo
	v_mov_b32_e32 v23, v13
	v_cmpx_ne_u32_e32 0x7f, v88
	s_cbranch_execz .LBB219_840
; %bb.837:                              ;   in Loop: Header=BB219_538 Depth=1
	v_and_b32_sdwa v5, v87, v50 dst_sel:DWORD dst_unused:UNUSED_PAD src0_sel:BYTE_3 src1_sel:DWORD
	v_lshrrev_b32_e32 v11, 3, v88
	s_mov_b32 s17, exec_lo
	v_cmpx_gt_u32_e32 8, v88
; %bb.838:                              ;   in Loop: Header=BB219_538 Depth=1
	v_ffbh_u32_e32 v11, v5
	v_min_u32_e32 v11, 32, v11
	v_subrev_nc_u32_e32 v13, 28, v11
	v_sub_nc_u32_e32 v11, 29, v11
	v_lshlrev_b64 v[23:24], v13, v[5:6]
	v_and_b32_e32 v5, 7, v23
; %bb.839:                              ;   in Loop: Header=BB219_538 Depth=1
	s_or_b32 exec_lo, exec_lo, s17
	v_lshlrev_b32_sdwa v13, v51, v87 dst_sel:DWORD dst_unused:UNUSED_PAD src0_sel:DWORD src1_sel:BYTE_3
	v_lshlrev_b32_e32 v5, 20, v5
	v_lshl_add_u32 v11, v11, 23, 0x3c000000
	v_mov_b32_e32 v23, v6
	v_and_b32_e32 v13, 0x80000000, v13
	v_or3_b32 v24, v5, v13, v11
.LBB219_840:                            ;   in Loop: Header=BB219_538 Depth=1
	s_or_b32 exec_lo, exec_lo, s16
.LBB219_841:                            ;   in Loop: Header=BB219_538 Depth=1
	s_or_b32 exec_lo, exec_lo, s15
.LBB219_842:                            ;   in Loop: Header=BB219_538 Depth=1
	s_or_b32 exec_lo, exec_lo, s14
	v_or_b32_e32 v5, v20, v18
	v_or_b32_e32 v11, v19, v17
	;; [unrolled: 1-line block ×4, first 2 shown]
	v_mul_f32_e32 v89, s13, v5
	v_mul_f32_e32 v90, s2, v11
	;; [unrolled: 1-line block ×4, first 2 shown]
	s_and_saveexec_b32 s14, vcc_lo
	s_cbranch_execz .LBB219_844
; %bb.843:                              ;   in Loop: Header=BB219_538 Depth=1
	v_cmp_gt_i32_e64 s0, s11, v56
	v_cndmask_b32_e64 v90, 0, v90, s0
	v_cmp_gt_i32_e64 s0, s11, v58
	v_cndmask_b32_e64 v89, 0, v89, s0
	;; [unrolled: 2-line block ×4, first 2 shown]
.LBB219_844:                            ;   in Loop: Header=BB219_538 Depth=1
	s_or_b32 exec_lo, exec_lo, s14
	global_load_dword v91, v[15:16], off offset:1152
	v_mov_b32_e32 v19, 0
	v_mov_b32_e32 v17, 0
	;; [unrolled: 1-line block ×4, first 2 shown]
	s_waitcnt vmcnt(0)
	v_cmp_ne_u16_sdwa s0, v91, v6 src0_sel:BYTE_0 src1_sel:DWORD
	s_and_saveexec_b32 s14, s0
	s_cbranch_execz .LBB219_852
; %bb.845:                              ;   in Loop: Header=BB219_538 Depth=1
	v_bfrev_b32_e32 v17, 1
	v_mov_b32_e32 v18, 0
	v_cmp_ne_u16_sdwa s0, v91, v47 src0_sel:BYTE_0 src1_sel:DWORD
	s_and_saveexec_b32 s15, s0
	s_cbranch_execz .LBB219_851
; %bb.846:                              ;   in Loop: Header=BB219_538 Depth=1
	v_mov_b32_e32 v17, 0x7f800001
	v_and_b32_e32 v13, 0x7f, v91
	v_mov_b32_e32 v18, 0
	s_mov_b32 s16, exec_lo
	v_cmpx_ne_u32_e32 0x7f, v13
	s_cbranch_execz .LBB219_850
; %bb.847:                              ;   in Loop: Header=BB219_538 Depth=1
	v_and_b32_e32 v5, 7, v91
	v_lshrrev_b32_e32 v11, 3, v13
	s_mov_b32 s17, exec_lo
	v_cmpx_gt_u32_e32 8, v13
; %bb.848:                              ;   in Loop: Header=BB219_538 Depth=1
	v_ffbh_u32_e32 v11, v5
	v_min_u32_e32 v11, 32, v11
	v_subrev_nc_u32_e32 v13, 28, v11
	v_sub_nc_u32_e32 v11, 29, v11
	v_lshlrev_b64 v[17:18], v13, v[5:6]
	v_and_b32_e32 v5, 7, v17
; %bb.849:                              ;   in Loop: Header=BB219_538 Depth=1
	s_or_b32 exec_lo, exec_lo, s17
	v_lshlrev_b32_e32 v13, 24, v91
	v_lshlrev_b32_e32 v5, 20, v5
	v_lshl_add_u32 v11, v11, 23, 0x3c000000
	v_and_b32_e32 v13, 0x80000000, v13
	v_or3_b32 v5, v5, v13, v11
	v_mov_b32_e32 v18, v6
	v_mov_b32_e32 v17, v5
.LBB219_850:                            ;   in Loop: Header=BB219_538 Depth=1
	s_or_b32 exec_lo, exec_lo, s16
.LBB219_851:                            ;   in Loop: Header=BB219_538 Depth=1
	s_or_b32 exec_lo, exec_lo, s15
.LBB219_852:                            ;   in Loop: Header=BB219_538 Depth=1
	s_or_b32 exec_lo, exec_lo, s14
	v_cmp_ne_u16_sdwa s0, v91, v6 src0_sel:BYTE_1 src1_sel:DWORD
	s_and_saveexec_b32 s14, s0
	s_cbranch_execz .LBB219_860
; %bb.853:                              ;   in Loop: Header=BB219_538 Depth=1
	v_mov_b32_e32 v11, v6
	v_mov_b32_e32 v20, v12
	v_cmp_ne_u16_sdwa s0, v91, v47 src0_sel:BYTE_1 src1_sel:DWORD
	v_mov_b32_e32 v19, v11
	s_and_saveexec_b32 s15, s0
	s_cbranch_execz .LBB219_859
; %bb.854:                              ;   in Loop: Header=BB219_538 Depth=1
	v_and_b32_sdwa v5, v48, v91 dst_sel:DWORD dst_unused:UNUSED_PAD src0_sel:DWORD src1_sel:BYTE_1
	v_mov_b32_e32 v13, v6
	v_mov_b32_e32 v20, v14
	s_mov_b32 s16, exec_lo
	v_and_b32_e32 v21, 0x7f, v5
	v_mov_b32_e32 v19, v13
	v_cmpx_ne_u32_e32 0x7f, v21
	s_cbranch_execz .LBB219_858
; %bb.855:                              ;   in Loop: Header=BB219_538 Depth=1
	v_and_b32_e32 v5, 7, v5
	v_lshrrev_b32_e32 v11, 3, v21
	s_mov_b32 s17, exec_lo
	v_cmpx_gt_u32_e32 8, v21
; %bb.856:                              ;   in Loop: Header=BB219_538 Depth=1
	v_ffbh_u32_e32 v11, v5
	v_min_u32_e32 v11, 32, v11
	v_subrev_nc_u32_e32 v13, 28, v11
	v_sub_nc_u32_e32 v11, 29, v11
	v_lshlrev_b64 v[19:20], v13, v[5:6]
	v_and_b32_e32 v5, 7, v19
; %bb.857:                              ;   in Loop: Header=BB219_538 Depth=1
	s_or_b32 exec_lo, exec_lo, s17
	v_lshlrev_b32_e32 v13, 16, v91
	v_lshlrev_b32_e32 v5, 20, v5
	v_lshl_add_u32 v11, v11, 23, 0x3c000000
	v_mov_b32_e32 v19, v6
	v_and_b32_e32 v13, 0x80000000, v13
	v_or3_b32 v20, v5, v13, v11
.LBB219_858:                            ;   in Loop: Header=BB219_538 Depth=1
	s_or_b32 exec_lo, exec_lo, s16
.LBB219_859:                            ;   in Loop: Header=BB219_538 Depth=1
	s_or_b32 exec_lo, exec_lo, s15
.LBB219_860:                            ;   in Loop: Header=BB219_538 Depth=1
	s_or_b32 exec_lo, exec_lo, s14
	v_mov_b32_e32 v23, 0
	v_mov_b32_e32 v21, 0
	v_and_b32_sdwa v5, v91, v49 dst_sel:DWORD dst_unused:UNUSED_PAD src0_sel:WORD_1 src1_sel:DWORD
	v_mov_b32_e32 v24, 0
	v_mov_b32_e32 v22, 0
	s_mov_b32 s14, exec_lo
	v_cmpx_ne_u16_e32 0, v5
	s_cbranch_execz .LBB219_868
; %bb.861:                              ;   in Loop: Header=BB219_538 Depth=1
	v_bfrev_b32_e32 v21, 1
	v_mov_b32_e32 v22, 0
	s_mov_b32 s15, exec_lo
	v_cmpx_ne_u16_e32 0x80, v5
	s_cbranch_execz .LBB219_867
; %bb.862:                              ;   in Loop: Header=BB219_538 Depth=1
	v_mov_b32_e32 v21, 0x7f800001
	v_bfe_u32 v13, v91, 16, 7
	v_mov_b32_e32 v22, 0
	s_mov_b32 s16, exec_lo
	v_cmpx_ne_u32_e32 0x7f, v13
	s_cbranch_execz .LBB219_866
; %bb.863:                              ;   in Loop: Header=BB219_538 Depth=1
	v_and_b32_sdwa v5, v91, v50 dst_sel:DWORD dst_unused:UNUSED_PAD src0_sel:WORD_1 src1_sel:DWORD
	v_lshrrev_b32_e32 v11, 3, v13
	s_mov_b32 s17, exec_lo
	v_cmpx_gt_u32_e32 8, v13
; %bb.864:                              ;   in Loop: Header=BB219_538 Depth=1
	v_ffbh_u32_e32 v11, v5
	v_min_u32_e32 v11, 32, v11
	v_subrev_nc_u32_e32 v13, 28, v11
	v_sub_nc_u32_e32 v11, 29, v11
	v_lshlrev_b64 v[21:22], v13, v[5:6]
	v_and_b32_e32 v5, 7, v21
; %bb.865:                              ;   in Loop: Header=BB219_538 Depth=1
	s_or_b32 exec_lo, exec_lo, s17
	v_lshlrev_b32_sdwa v13, v51, v91 dst_sel:DWORD dst_unused:UNUSED_PAD src0_sel:DWORD src1_sel:WORD_1
	v_lshlrev_b32_e32 v5, 20, v5
	v_lshl_add_u32 v11, v11, 23, 0x3c000000
	v_and_b32_e32 v13, 0x80000000, v13
	v_or3_b32 v5, v5, v13, v11
	v_mov_b32_e32 v22, v6
	v_mov_b32_e32 v21, v5
.LBB219_866:                            ;   in Loop: Header=BB219_538 Depth=1
	s_or_b32 exec_lo, exec_lo, s16
.LBB219_867:                            ;   in Loop: Header=BB219_538 Depth=1
	s_or_b32 exec_lo, exec_lo, s15
.LBB219_868:                            ;   in Loop: Header=BB219_538 Depth=1
	s_or_b32 exec_lo, exec_lo, s14
	s_mov_b32 s14, exec_lo
	v_cmpx_lt_u32_e32 0xffffff, v91
	s_cbranch_execz .LBB219_876
; %bb.869:                              ;   in Loop: Header=BB219_538 Depth=1
	v_mov_b32_e32 v11, v6
	v_mov_b32_e32 v24, v12
	v_cmp_ne_u32_sdwa s0, v91, v47 src0_sel:BYTE_3 src1_sel:DWORD
	v_mov_b32_e32 v23, v11
	s_and_saveexec_b32 s15, s0
	s_cbranch_execz .LBB219_875
; %bb.870:                              ;   in Loop: Header=BB219_538 Depth=1
	v_mov_b32_e32 v13, v6
	v_mov_b32_e32 v24, v14
	v_bfe_u32 v92, v91, 24, 7
	s_mov_b32 s16, exec_lo
	v_mov_b32_e32 v23, v13
	v_cmpx_ne_u32_e32 0x7f, v92
	s_cbranch_execz .LBB219_874
; %bb.871:                              ;   in Loop: Header=BB219_538 Depth=1
	v_and_b32_sdwa v5, v91, v50 dst_sel:DWORD dst_unused:UNUSED_PAD src0_sel:BYTE_3 src1_sel:DWORD
	v_lshrrev_b32_e32 v11, 3, v92
	s_mov_b32 s17, exec_lo
	v_cmpx_gt_u32_e32 8, v92
; %bb.872:                              ;   in Loop: Header=BB219_538 Depth=1
	v_ffbh_u32_e32 v11, v5
	v_min_u32_e32 v11, 32, v11
	v_subrev_nc_u32_e32 v13, 28, v11
	v_sub_nc_u32_e32 v11, 29, v11
	v_lshlrev_b64 v[23:24], v13, v[5:6]
	v_and_b32_e32 v5, 7, v23
; %bb.873:                              ;   in Loop: Header=BB219_538 Depth=1
	s_or_b32 exec_lo, exec_lo, s17
	v_lshlrev_b32_sdwa v13, v51, v91 dst_sel:DWORD dst_unused:UNUSED_PAD src0_sel:DWORD src1_sel:BYTE_3
	v_lshlrev_b32_e32 v5, 20, v5
	v_lshl_add_u32 v11, v11, 23, 0x3c000000
	v_mov_b32_e32 v23, v6
	v_and_b32_e32 v13, 0x80000000, v13
	v_or3_b32 v24, v5, v13, v11
.LBB219_874:                            ;   in Loop: Header=BB219_538 Depth=1
	s_or_b32 exec_lo, exec_lo, s16
.LBB219_875:                            ;   in Loop: Header=BB219_538 Depth=1
	s_or_b32 exec_lo, exec_lo, s15
.LBB219_876:                            ;   in Loop: Header=BB219_538 Depth=1
	s_or_b32 exec_lo, exec_lo, s14
	v_or_b32_e32 v5, v20, v18
	v_or_b32_e32 v11, v19, v17
	v_or_b32_e32 v13, v23, v21
	v_or_b32_e32 v17, v24, v22
	v_mul_f32_e32 v93, s13, v5
	v_mul_f32_e32 v94, s2, v11
	;; [unrolled: 1-line block ×4, first 2 shown]
	s_and_saveexec_b32 s14, vcc_lo
	s_cbranch_execz .LBB219_878
; %bb.877:                              ;   in Loop: Header=BB219_538 Depth=1
	v_cmp_gt_i32_e64 s0, s11, v56
	v_cndmask_b32_e64 v94, 0, v94, s0
	v_cmp_gt_i32_e64 s0, s11, v58
	v_cndmask_b32_e64 v93, 0, v93, s0
	v_cmp_gt_i32_e64 s0, s11, v57
	v_cndmask_b32_e64 v92, 0, v92, s0
	v_cmp_gt_i32_e64 s0, s11, v45
	v_cndmask_b32_e64 v91, 0, v91, s0
.LBB219_878:                            ;   in Loop: Header=BB219_538 Depth=1
	s_or_b32 exec_lo, exec_lo, s14
	global_load_dword v95, v[15:16], off offset:1280
	v_mov_b32_e32 v19, 0
	v_mov_b32_e32 v17, 0
	;; [unrolled: 1-line block ×4, first 2 shown]
	s_waitcnt vmcnt(0)
	v_cmp_ne_u16_sdwa s0, v95, v6 src0_sel:BYTE_0 src1_sel:DWORD
	s_and_saveexec_b32 s14, s0
	s_cbranch_execz .LBB219_886
; %bb.879:                              ;   in Loop: Header=BB219_538 Depth=1
	v_bfrev_b32_e32 v17, 1
	v_mov_b32_e32 v18, 0
	v_cmp_ne_u16_sdwa s0, v95, v47 src0_sel:BYTE_0 src1_sel:DWORD
	s_and_saveexec_b32 s15, s0
	s_cbranch_execz .LBB219_885
; %bb.880:                              ;   in Loop: Header=BB219_538 Depth=1
	v_mov_b32_e32 v17, 0x7f800001
	v_and_b32_e32 v13, 0x7f, v95
	v_mov_b32_e32 v18, 0
	s_mov_b32 s16, exec_lo
	v_cmpx_ne_u32_e32 0x7f, v13
	s_cbranch_execz .LBB219_884
; %bb.881:                              ;   in Loop: Header=BB219_538 Depth=1
	v_and_b32_e32 v5, 7, v95
	v_lshrrev_b32_e32 v11, 3, v13
	s_mov_b32 s17, exec_lo
	v_cmpx_gt_u32_e32 8, v13
; %bb.882:                              ;   in Loop: Header=BB219_538 Depth=1
	v_ffbh_u32_e32 v11, v5
	v_min_u32_e32 v11, 32, v11
	v_subrev_nc_u32_e32 v13, 28, v11
	v_sub_nc_u32_e32 v11, 29, v11
	v_lshlrev_b64 v[17:18], v13, v[5:6]
	v_and_b32_e32 v5, 7, v17
; %bb.883:                              ;   in Loop: Header=BB219_538 Depth=1
	s_or_b32 exec_lo, exec_lo, s17
	v_lshlrev_b32_e32 v13, 24, v95
	v_lshlrev_b32_e32 v5, 20, v5
	v_lshl_add_u32 v11, v11, 23, 0x3c000000
	v_and_b32_e32 v13, 0x80000000, v13
	v_or3_b32 v5, v5, v13, v11
	v_mov_b32_e32 v18, v6
	v_mov_b32_e32 v17, v5
.LBB219_884:                            ;   in Loop: Header=BB219_538 Depth=1
	s_or_b32 exec_lo, exec_lo, s16
.LBB219_885:                            ;   in Loop: Header=BB219_538 Depth=1
	s_or_b32 exec_lo, exec_lo, s15
.LBB219_886:                            ;   in Loop: Header=BB219_538 Depth=1
	s_or_b32 exec_lo, exec_lo, s14
	v_cmp_ne_u16_sdwa s0, v95, v6 src0_sel:BYTE_1 src1_sel:DWORD
	s_and_saveexec_b32 s14, s0
	s_cbranch_execz .LBB219_894
; %bb.887:                              ;   in Loop: Header=BB219_538 Depth=1
	v_mov_b32_e32 v11, v6
	v_mov_b32_e32 v20, v12
	v_cmp_ne_u16_sdwa s0, v95, v47 src0_sel:BYTE_1 src1_sel:DWORD
	v_mov_b32_e32 v19, v11
	s_and_saveexec_b32 s15, s0
	s_cbranch_execz .LBB219_893
; %bb.888:                              ;   in Loop: Header=BB219_538 Depth=1
	v_and_b32_sdwa v5, v48, v95 dst_sel:DWORD dst_unused:UNUSED_PAD src0_sel:DWORD src1_sel:BYTE_1
	v_mov_b32_e32 v13, v6
	v_mov_b32_e32 v20, v14
	s_mov_b32 s16, exec_lo
	v_and_b32_e32 v21, 0x7f, v5
	v_mov_b32_e32 v19, v13
	v_cmpx_ne_u32_e32 0x7f, v21
	s_cbranch_execz .LBB219_892
; %bb.889:                              ;   in Loop: Header=BB219_538 Depth=1
	v_and_b32_e32 v5, 7, v5
	v_lshrrev_b32_e32 v11, 3, v21
	s_mov_b32 s17, exec_lo
	v_cmpx_gt_u32_e32 8, v21
; %bb.890:                              ;   in Loop: Header=BB219_538 Depth=1
	v_ffbh_u32_e32 v11, v5
	v_min_u32_e32 v11, 32, v11
	v_subrev_nc_u32_e32 v13, 28, v11
	v_sub_nc_u32_e32 v11, 29, v11
	v_lshlrev_b64 v[19:20], v13, v[5:6]
	v_and_b32_e32 v5, 7, v19
; %bb.891:                              ;   in Loop: Header=BB219_538 Depth=1
	s_or_b32 exec_lo, exec_lo, s17
	v_lshlrev_b32_e32 v13, 16, v95
	v_lshlrev_b32_e32 v5, 20, v5
	v_lshl_add_u32 v11, v11, 23, 0x3c000000
	v_mov_b32_e32 v19, v6
	v_and_b32_e32 v13, 0x80000000, v13
	v_or3_b32 v20, v5, v13, v11
.LBB219_892:                            ;   in Loop: Header=BB219_538 Depth=1
	s_or_b32 exec_lo, exec_lo, s16
.LBB219_893:                            ;   in Loop: Header=BB219_538 Depth=1
	s_or_b32 exec_lo, exec_lo, s15
.LBB219_894:                            ;   in Loop: Header=BB219_538 Depth=1
	s_or_b32 exec_lo, exec_lo, s14
	v_mov_b32_e32 v23, 0
	v_mov_b32_e32 v21, 0
	v_and_b32_sdwa v5, v95, v49 dst_sel:DWORD dst_unused:UNUSED_PAD src0_sel:WORD_1 src1_sel:DWORD
	v_mov_b32_e32 v24, 0
	v_mov_b32_e32 v22, 0
	s_mov_b32 s14, exec_lo
	v_cmpx_ne_u16_e32 0, v5
	s_cbranch_execz .LBB219_902
; %bb.895:                              ;   in Loop: Header=BB219_538 Depth=1
	v_bfrev_b32_e32 v21, 1
	v_mov_b32_e32 v22, 0
	s_mov_b32 s15, exec_lo
	v_cmpx_ne_u16_e32 0x80, v5
	s_cbranch_execz .LBB219_901
; %bb.896:                              ;   in Loop: Header=BB219_538 Depth=1
	v_mov_b32_e32 v21, 0x7f800001
	v_bfe_u32 v13, v95, 16, 7
	v_mov_b32_e32 v22, 0
	s_mov_b32 s16, exec_lo
	v_cmpx_ne_u32_e32 0x7f, v13
	s_cbranch_execz .LBB219_900
; %bb.897:                              ;   in Loop: Header=BB219_538 Depth=1
	v_and_b32_sdwa v5, v95, v50 dst_sel:DWORD dst_unused:UNUSED_PAD src0_sel:WORD_1 src1_sel:DWORD
	v_lshrrev_b32_e32 v11, 3, v13
	s_mov_b32 s17, exec_lo
	v_cmpx_gt_u32_e32 8, v13
; %bb.898:                              ;   in Loop: Header=BB219_538 Depth=1
	v_ffbh_u32_e32 v11, v5
	v_min_u32_e32 v11, 32, v11
	v_subrev_nc_u32_e32 v13, 28, v11
	v_sub_nc_u32_e32 v11, 29, v11
	v_lshlrev_b64 v[21:22], v13, v[5:6]
	v_and_b32_e32 v5, 7, v21
; %bb.899:                              ;   in Loop: Header=BB219_538 Depth=1
	s_or_b32 exec_lo, exec_lo, s17
	v_lshlrev_b32_sdwa v13, v51, v95 dst_sel:DWORD dst_unused:UNUSED_PAD src0_sel:DWORD src1_sel:WORD_1
	v_lshlrev_b32_e32 v5, 20, v5
	v_lshl_add_u32 v11, v11, 23, 0x3c000000
	v_and_b32_e32 v13, 0x80000000, v13
	v_or3_b32 v5, v5, v13, v11
	v_mov_b32_e32 v22, v6
	v_mov_b32_e32 v21, v5
.LBB219_900:                            ;   in Loop: Header=BB219_538 Depth=1
	s_or_b32 exec_lo, exec_lo, s16
.LBB219_901:                            ;   in Loop: Header=BB219_538 Depth=1
	s_or_b32 exec_lo, exec_lo, s15
.LBB219_902:                            ;   in Loop: Header=BB219_538 Depth=1
	s_or_b32 exec_lo, exec_lo, s14
	s_mov_b32 s14, exec_lo
	v_cmpx_lt_u32_e32 0xffffff, v95
	s_cbranch_execz .LBB219_910
; %bb.903:                              ;   in Loop: Header=BB219_538 Depth=1
	v_mov_b32_e32 v11, v6
	v_mov_b32_e32 v24, v12
	v_cmp_ne_u32_sdwa s0, v95, v47 src0_sel:BYTE_3 src1_sel:DWORD
	v_mov_b32_e32 v23, v11
	s_and_saveexec_b32 s15, s0
	s_cbranch_execz .LBB219_909
; %bb.904:                              ;   in Loop: Header=BB219_538 Depth=1
	v_mov_b32_e32 v13, v6
	v_mov_b32_e32 v24, v14
	v_bfe_u32 v96, v95, 24, 7
	s_mov_b32 s16, exec_lo
	v_mov_b32_e32 v23, v13
	v_cmpx_ne_u32_e32 0x7f, v96
	s_cbranch_execz .LBB219_908
; %bb.905:                              ;   in Loop: Header=BB219_538 Depth=1
	v_and_b32_sdwa v5, v95, v50 dst_sel:DWORD dst_unused:UNUSED_PAD src0_sel:BYTE_3 src1_sel:DWORD
	v_lshrrev_b32_e32 v11, 3, v96
	s_mov_b32 s17, exec_lo
	v_cmpx_gt_u32_e32 8, v96
; %bb.906:                              ;   in Loop: Header=BB219_538 Depth=1
	v_ffbh_u32_e32 v11, v5
	v_min_u32_e32 v11, 32, v11
	v_subrev_nc_u32_e32 v13, 28, v11
	v_sub_nc_u32_e32 v11, 29, v11
	v_lshlrev_b64 v[23:24], v13, v[5:6]
	v_and_b32_e32 v5, 7, v23
; %bb.907:                              ;   in Loop: Header=BB219_538 Depth=1
	s_or_b32 exec_lo, exec_lo, s17
	v_lshlrev_b32_sdwa v13, v51, v95 dst_sel:DWORD dst_unused:UNUSED_PAD src0_sel:DWORD src1_sel:BYTE_3
	v_lshlrev_b32_e32 v5, 20, v5
	v_lshl_add_u32 v11, v11, 23, 0x3c000000
	v_mov_b32_e32 v23, v6
	v_and_b32_e32 v13, 0x80000000, v13
	v_or3_b32 v24, v5, v13, v11
.LBB219_908:                            ;   in Loop: Header=BB219_538 Depth=1
	s_or_b32 exec_lo, exec_lo, s16
.LBB219_909:                            ;   in Loop: Header=BB219_538 Depth=1
	s_or_b32 exec_lo, exec_lo, s15
.LBB219_910:                            ;   in Loop: Header=BB219_538 Depth=1
	s_or_b32 exec_lo, exec_lo, s14
	v_or_b32_e32 v5, v20, v18
	v_or_b32_e32 v11, v19, v17
	;; [unrolled: 1-line block ×4, first 2 shown]
	v_mul_f32_e32 v97, s13, v5
	v_mul_f32_e32 v98, s2, v11
	;; [unrolled: 1-line block ×4, first 2 shown]
	s_and_saveexec_b32 s14, vcc_lo
	s_cbranch_execz .LBB219_912
; %bb.911:                              ;   in Loop: Header=BB219_538 Depth=1
	v_cmp_gt_i32_e64 s0, s11, v56
	v_cndmask_b32_e64 v98, 0, v98, s0
	v_cmp_gt_i32_e64 s0, s11, v58
	v_cndmask_b32_e64 v97, 0, v97, s0
	;; [unrolled: 2-line block ×4, first 2 shown]
.LBB219_912:                            ;   in Loop: Header=BB219_538 Depth=1
	s_or_b32 exec_lo, exec_lo, s14
	global_load_dword v99, v[15:16], off offset:1408
	v_mov_b32_e32 v19, 0
	v_mov_b32_e32 v17, 0
	v_mov_b32_e32 v20, 0
	v_mov_b32_e32 v18, 0
	s_waitcnt vmcnt(0)
	v_cmp_ne_u16_sdwa s0, v99, v6 src0_sel:BYTE_0 src1_sel:DWORD
	s_and_saveexec_b32 s14, s0
	s_cbranch_execz .LBB219_920
; %bb.913:                              ;   in Loop: Header=BB219_538 Depth=1
	v_bfrev_b32_e32 v17, 1
	v_mov_b32_e32 v18, 0
	v_cmp_ne_u16_sdwa s0, v99, v47 src0_sel:BYTE_0 src1_sel:DWORD
	s_and_saveexec_b32 s15, s0
	s_cbranch_execz .LBB219_919
; %bb.914:                              ;   in Loop: Header=BB219_538 Depth=1
	v_mov_b32_e32 v17, 0x7f800001
	v_and_b32_e32 v13, 0x7f, v99
	v_mov_b32_e32 v18, 0
	s_mov_b32 s16, exec_lo
	v_cmpx_ne_u32_e32 0x7f, v13
	s_cbranch_execz .LBB219_918
; %bb.915:                              ;   in Loop: Header=BB219_538 Depth=1
	v_and_b32_e32 v5, 7, v99
	v_lshrrev_b32_e32 v11, 3, v13
	s_mov_b32 s17, exec_lo
	v_cmpx_gt_u32_e32 8, v13
; %bb.916:                              ;   in Loop: Header=BB219_538 Depth=1
	v_ffbh_u32_e32 v11, v5
	v_min_u32_e32 v11, 32, v11
	v_subrev_nc_u32_e32 v13, 28, v11
	v_sub_nc_u32_e32 v11, 29, v11
	v_lshlrev_b64 v[17:18], v13, v[5:6]
	v_and_b32_e32 v5, 7, v17
; %bb.917:                              ;   in Loop: Header=BB219_538 Depth=1
	s_or_b32 exec_lo, exec_lo, s17
	v_lshlrev_b32_e32 v13, 24, v99
	v_lshlrev_b32_e32 v5, 20, v5
	v_lshl_add_u32 v11, v11, 23, 0x3c000000
	v_and_b32_e32 v13, 0x80000000, v13
	v_or3_b32 v5, v5, v13, v11
	v_mov_b32_e32 v18, v6
	v_mov_b32_e32 v17, v5
.LBB219_918:                            ;   in Loop: Header=BB219_538 Depth=1
	s_or_b32 exec_lo, exec_lo, s16
.LBB219_919:                            ;   in Loop: Header=BB219_538 Depth=1
	s_or_b32 exec_lo, exec_lo, s15
.LBB219_920:                            ;   in Loop: Header=BB219_538 Depth=1
	s_or_b32 exec_lo, exec_lo, s14
	v_cmp_ne_u16_sdwa s0, v99, v6 src0_sel:BYTE_1 src1_sel:DWORD
	s_and_saveexec_b32 s14, s0
	s_cbranch_execz .LBB219_928
; %bb.921:                              ;   in Loop: Header=BB219_538 Depth=1
	v_mov_b32_e32 v11, v6
	v_mov_b32_e32 v20, v12
	v_cmp_ne_u16_sdwa s0, v99, v47 src0_sel:BYTE_1 src1_sel:DWORD
	v_mov_b32_e32 v19, v11
	s_and_saveexec_b32 s15, s0
	s_cbranch_execz .LBB219_927
; %bb.922:                              ;   in Loop: Header=BB219_538 Depth=1
	v_and_b32_sdwa v5, v48, v99 dst_sel:DWORD dst_unused:UNUSED_PAD src0_sel:DWORD src1_sel:BYTE_1
	v_mov_b32_e32 v13, v6
	v_mov_b32_e32 v20, v14
	s_mov_b32 s16, exec_lo
	v_and_b32_e32 v21, 0x7f, v5
	v_mov_b32_e32 v19, v13
	v_cmpx_ne_u32_e32 0x7f, v21
	s_cbranch_execz .LBB219_926
; %bb.923:                              ;   in Loop: Header=BB219_538 Depth=1
	v_and_b32_e32 v5, 7, v5
	v_lshrrev_b32_e32 v11, 3, v21
	s_mov_b32 s17, exec_lo
	v_cmpx_gt_u32_e32 8, v21
; %bb.924:                              ;   in Loop: Header=BB219_538 Depth=1
	v_ffbh_u32_e32 v11, v5
	v_min_u32_e32 v11, 32, v11
	v_subrev_nc_u32_e32 v13, 28, v11
	v_sub_nc_u32_e32 v11, 29, v11
	v_lshlrev_b64 v[19:20], v13, v[5:6]
	v_and_b32_e32 v5, 7, v19
; %bb.925:                              ;   in Loop: Header=BB219_538 Depth=1
	s_or_b32 exec_lo, exec_lo, s17
	v_lshlrev_b32_e32 v13, 16, v99
	v_lshlrev_b32_e32 v5, 20, v5
	v_lshl_add_u32 v11, v11, 23, 0x3c000000
	v_mov_b32_e32 v19, v6
	v_and_b32_e32 v13, 0x80000000, v13
	v_or3_b32 v20, v5, v13, v11
.LBB219_926:                            ;   in Loop: Header=BB219_538 Depth=1
	s_or_b32 exec_lo, exec_lo, s16
.LBB219_927:                            ;   in Loop: Header=BB219_538 Depth=1
	s_or_b32 exec_lo, exec_lo, s15
.LBB219_928:                            ;   in Loop: Header=BB219_538 Depth=1
	s_or_b32 exec_lo, exec_lo, s14
	v_mov_b32_e32 v23, 0
	v_mov_b32_e32 v21, 0
	v_and_b32_sdwa v5, v99, v49 dst_sel:DWORD dst_unused:UNUSED_PAD src0_sel:WORD_1 src1_sel:DWORD
	v_mov_b32_e32 v24, 0
	v_mov_b32_e32 v22, 0
	s_mov_b32 s14, exec_lo
	v_cmpx_ne_u16_e32 0, v5
	s_cbranch_execz .LBB219_936
; %bb.929:                              ;   in Loop: Header=BB219_538 Depth=1
	v_bfrev_b32_e32 v21, 1
	v_mov_b32_e32 v22, 0
	s_mov_b32 s15, exec_lo
	v_cmpx_ne_u16_e32 0x80, v5
	s_cbranch_execz .LBB219_935
; %bb.930:                              ;   in Loop: Header=BB219_538 Depth=1
	v_mov_b32_e32 v21, 0x7f800001
	v_bfe_u32 v13, v99, 16, 7
	v_mov_b32_e32 v22, 0
	s_mov_b32 s16, exec_lo
	v_cmpx_ne_u32_e32 0x7f, v13
	s_cbranch_execz .LBB219_934
; %bb.931:                              ;   in Loop: Header=BB219_538 Depth=1
	v_and_b32_sdwa v5, v99, v50 dst_sel:DWORD dst_unused:UNUSED_PAD src0_sel:WORD_1 src1_sel:DWORD
	v_lshrrev_b32_e32 v11, 3, v13
	s_mov_b32 s17, exec_lo
	v_cmpx_gt_u32_e32 8, v13
; %bb.932:                              ;   in Loop: Header=BB219_538 Depth=1
	v_ffbh_u32_e32 v11, v5
	v_min_u32_e32 v11, 32, v11
	v_subrev_nc_u32_e32 v13, 28, v11
	v_sub_nc_u32_e32 v11, 29, v11
	v_lshlrev_b64 v[21:22], v13, v[5:6]
	v_and_b32_e32 v5, 7, v21
; %bb.933:                              ;   in Loop: Header=BB219_538 Depth=1
	s_or_b32 exec_lo, exec_lo, s17
	v_lshlrev_b32_sdwa v13, v51, v99 dst_sel:DWORD dst_unused:UNUSED_PAD src0_sel:DWORD src1_sel:WORD_1
	v_lshlrev_b32_e32 v5, 20, v5
	v_lshl_add_u32 v11, v11, 23, 0x3c000000
	v_and_b32_e32 v13, 0x80000000, v13
	v_or3_b32 v5, v5, v13, v11
	v_mov_b32_e32 v22, v6
	v_mov_b32_e32 v21, v5
.LBB219_934:                            ;   in Loop: Header=BB219_538 Depth=1
	s_or_b32 exec_lo, exec_lo, s16
.LBB219_935:                            ;   in Loop: Header=BB219_538 Depth=1
	s_or_b32 exec_lo, exec_lo, s15
.LBB219_936:                            ;   in Loop: Header=BB219_538 Depth=1
	s_or_b32 exec_lo, exec_lo, s14
	s_mov_b32 s14, exec_lo
	v_cmpx_lt_u32_e32 0xffffff, v99
	s_cbranch_execz .LBB219_944
; %bb.937:                              ;   in Loop: Header=BB219_538 Depth=1
	v_mov_b32_e32 v11, v6
	v_mov_b32_e32 v24, v12
	v_cmp_ne_u32_sdwa s0, v99, v47 src0_sel:BYTE_3 src1_sel:DWORD
	v_mov_b32_e32 v23, v11
	s_and_saveexec_b32 s15, s0
	s_cbranch_execz .LBB219_943
; %bb.938:                              ;   in Loop: Header=BB219_538 Depth=1
	v_mov_b32_e32 v13, v6
	v_mov_b32_e32 v24, v14
	v_bfe_u32 v100, v99, 24, 7
	s_mov_b32 s16, exec_lo
	v_mov_b32_e32 v23, v13
	v_cmpx_ne_u32_e32 0x7f, v100
	s_cbranch_execz .LBB219_942
; %bb.939:                              ;   in Loop: Header=BB219_538 Depth=1
	v_and_b32_sdwa v5, v99, v50 dst_sel:DWORD dst_unused:UNUSED_PAD src0_sel:BYTE_3 src1_sel:DWORD
	v_lshrrev_b32_e32 v11, 3, v100
	s_mov_b32 s17, exec_lo
	v_cmpx_gt_u32_e32 8, v100
; %bb.940:                              ;   in Loop: Header=BB219_538 Depth=1
	v_ffbh_u32_e32 v11, v5
	v_min_u32_e32 v11, 32, v11
	v_subrev_nc_u32_e32 v13, 28, v11
	v_sub_nc_u32_e32 v11, 29, v11
	v_lshlrev_b64 v[23:24], v13, v[5:6]
	v_and_b32_e32 v5, 7, v23
; %bb.941:                              ;   in Loop: Header=BB219_538 Depth=1
	s_or_b32 exec_lo, exec_lo, s17
	v_lshlrev_b32_sdwa v13, v51, v99 dst_sel:DWORD dst_unused:UNUSED_PAD src0_sel:DWORD src1_sel:BYTE_3
	v_lshlrev_b32_e32 v5, 20, v5
	v_lshl_add_u32 v11, v11, 23, 0x3c000000
	v_mov_b32_e32 v23, v6
	v_and_b32_e32 v13, 0x80000000, v13
	v_or3_b32 v24, v5, v13, v11
.LBB219_942:                            ;   in Loop: Header=BB219_538 Depth=1
	s_or_b32 exec_lo, exec_lo, s16
.LBB219_943:                            ;   in Loop: Header=BB219_538 Depth=1
	s_or_b32 exec_lo, exec_lo, s15
.LBB219_944:                            ;   in Loop: Header=BB219_538 Depth=1
	s_or_b32 exec_lo, exec_lo, s14
	v_or_b32_e32 v5, v20, v18
	v_or_b32_e32 v11, v19, v17
	;; [unrolled: 1-line block ×4, first 2 shown]
	v_mul_f32_e32 v101, s13, v5
	v_mul_f32_e32 v102, s2, v11
	;; [unrolled: 1-line block ×4, first 2 shown]
	s_and_saveexec_b32 s14, vcc_lo
	s_cbranch_execz .LBB219_946
; %bb.945:                              ;   in Loop: Header=BB219_538 Depth=1
	v_cmp_gt_i32_e64 s0, s11, v56
	v_cndmask_b32_e64 v102, 0, v102, s0
	v_cmp_gt_i32_e64 s0, s11, v58
	v_cndmask_b32_e64 v101, 0, v101, s0
	;; [unrolled: 2-line block ×4, first 2 shown]
.LBB219_946:                            ;   in Loop: Header=BB219_538 Depth=1
	s_or_b32 exec_lo, exec_lo, s14
	global_load_dword v103, v[15:16], off offset:1536
	v_mov_b32_e32 v19, 0
	v_mov_b32_e32 v17, 0
	;; [unrolled: 1-line block ×4, first 2 shown]
	s_waitcnt vmcnt(0)
	v_cmp_ne_u16_sdwa s0, v103, v6 src0_sel:BYTE_0 src1_sel:DWORD
	s_and_saveexec_b32 s14, s0
	s_cbranch_execz .LBB219_954
; %bb.947:                              ;   in Loop: Header=BB219_538 Depth=1
	v_bfrev_b32_e32 v17, 1
	v_mov_b32_e32 v18, 0
	v_cmp_ne_u16_sdwa s0, v103, v47 src0_sel:BYTE_0 src1_sel:DWORD
	s_and_saveexec_b32 s15, s0
	s_cbranch_execz .LBB219_953
; %bb.948:                              ;   in Loop: Header=BB219_538 Depth=1
	v_mov_b32_e32 v17, 0x7f800001
	v_and_b32_e32 v13, 0x7f, v103
	v_mov_b32_e32 v18, 0
	s_mov_b32 s16, exec_lo
	v_cmpx_ne_u32_e32 0x7f, v13
	s_cbranch_execz .LBB219_952
; %bb.949:                              ;   in Loop: Header=BB219_538 Depth=1
	v_and_b32_e32 v5, 7, v103
	v_lshrrev_b32_e32 v11, 3, v13
	s_mov_b32 s17, exec_lo
	v_cmpx_gt_u32_e32 8, v13
; %bb.950:                              ;   in Loop: Header=BB219_538 Depth=1
	v_ffbh_u32_e32 v11, v5
	v_min_u32_e32 v11, 32, v11
	v_subrev_nc_u32_e32 v13, 28, v11
	v_sub_nc_u32_e32 v11, 29, v11
	v_lshlrev_b64 v[17:18], v13, v[5:6]
	v_and_b32_e32 v5, 7, v17
; %bb.951:                              ;   in Loop: Header=BB219_538 Depth=1
	s_or_b32 exec_lo, exec_lo, s17
	v_lshlrev_b32_e32 v13, 24, v103
	v_lshlrev_b32_e32 v5, 20, v5
	v_lshl_add_u32 v11, v11, 23, 0x3c000000
	v_and_b32_e32 v13, 0x80000000, v13
	v_or3_b32 v5, v5, v13, v11
	v_mov_b32_e32 v18, v6
	v_mov_b32_e32 v17, v5
.LBB219_952:                            ;   in Loop: Header=BB219_538 Depth=1
	s_or_b32 exec_lo, exec_lo, s16
.LBB219_953:                            ;   in Loop: Header=BB219_538 Depth=1
	s_or_b32 exec_lo, exec_lo, s15
.LBB219_954:                            ;   in Loop: Header=BB219_538 Depth=1
	s_or_b32 exec_lo, exec_lo, s14
	v_cmp_ne_u16_sdwa s0, v103, v6 src0_sel:BYTE_1 src1_sel:DWORD
	s_and_saveexec_b32 s14, s0
	s_cbranch_execz .LBB219_962
; %bb.955:                              ;   in Loop: Header=BB219_538 Depth=1
	v_mov_b32_e32 v11, v6
	v_mov_b32_e32 v20, v12
	v_cmp_ne_u16_sdwa s0, v103, v47 src0_sel:BYTE_1 src1_sel:DWORD
	v_mov_b32_e32 v19, v11
	s_and_saveexec_b32 s15, s0
	s_cbranch_execz .LBB219_961
; %bb.956:                              ;   in Loop: Header=BB219_538 Depth=1
	v_and_b32_sdwa v5, v48, v103 dst_sel:DWORD dst_unused:UNUSED_PAD src0_sel:DWORD src1_sel:BYTE_1
	v_mov_b32_e32 v13, v6
	v_mov_b32_e32 v20, v14
	s_mov_b32 s16, exec_lo
	v_and_b32_e32 v21, 0x7f, v5
	v_mov_b32_e32 v19, v13
	v_cmpx_ne_u32_e32 0x7f, v21
	s_cbranch_execz .LBB219_960
; %bb.957:                              ;   in Loop: Header=BB219_538 Depth=1
	v_and_b32_e32 v5, 7, v5
	v_lshrrev_b32_e32 v11, 3, v21
	s_mov_b32 s17, exec_lo
	v_cmpx_gt_u32_e32 8, v21
; %bb.958:                              ;   in Loop: Header=BB219_538 Depth=1
	v_ffbh_u32_e32 v11, v5
	v_min_u32_e32 v11, 32, v11
	v_subrev_nc_u32_e32 v13, 28, v11
	v_sub_nc_u32_e32 v11, 29, v11
	v_lshlrev_b64 v[19:20], v13, v[5:6]
	v_and_b32_e32 v5, 7, v19
; %bb.959:                              ;   in Loop: Header=BB219_538 Depth=1
	s_or_b32 exec_lo, exec_lo, s17
	v_lshlrev_b32_e32 v13, 16, v103
	v_lshlrev_b32_e32 v5, 20, v5
	v_lshl_add_u32 v11, v11, 23, 0x3c000000
	v_mov_b32_e32 v19, v6
	v_and_b32_e32 v13, 0x80000000, v13
	v_or3_b32 v20, v5, v13, v11
.LBB219_960:                            ;   in Loop: Header=BB219_538 Depth=1
	s_or_b32 exec_lo, exec_lo, s16
.LBB219_961:                            ;   in Loop: Header=BB219_538 Depth=1
	s_or_b32 exec_lo, exec_lo, s15
.LBB219_962:                            ;   in Loop: Header=BB219_538 Depth=1
	s_or_b32 exec_lo, exec_lo, s14
	v_mov_b32_e32 v23, 0
	v_mov_b32_e32 v21, 0
	v_and_b32_sdwa v5, v103, v49 dst_sel:DWORD dst_unused:UNUSED_PAD src0_sel:WORD_1 src1_sel:DWORD
	v_mov_b32_e32 v24, 0
	v_mov_b32_e32 v22, 0
	s_mov_b32 s14, exec_lo
	v_cmpx_ne_u16_e32 0, v5
	s_cbranch_execz .LBB219_970
; %bb.963:                              ;   in Loop: Header=BB219_538 Depth=1
	v_bfrev_b32_e32 v21, 1
	v_mov_b32_e32 v22, 0
	s_mov_b32 s15, exec_lo
	v_cmpx_ne_u16_e32 0x80, v5
	s_cbranch_execz .LBB219_969
; %bb.964:                              ;   in Loop: Header=BB219_538 Depth=1
	v_mov_b32_e32 v21, 0x7f800001
	v_bfe_u32 v13, v103, 16, 7
	v_mov_b32_e32 v22, 0
	s_mov_b32 s16, exec_lo
	v_cmpx_ne_u32_e32 0x7f, v13
	s_cbranch_execz .LBB219_968
; %bb.965:                              ;   in Loop: Header=BB219_538 Depth=1
	v_and_b32_sdwa v5, v103, v50 dst_sel:DWORD dst_unused:UNUSED_PAD src0_sel:WORD_1 src1_sel:DWORD
	v_lshrrev_b32_e32 v11, 3, v13
	s_mov_b32 s17, exec_lo
	v_cmpx_gt_u32_e32 8, v13
; %bb.966:                              ;   in Loop: Header=BB219_538 Depth=1
	v_ffbh_u32_e32 v11, v5
	v_min_u32_e32 v11, 32, v11
	v_subrev_nc_u32_e32 v13, 28, v11
	v_sub_nc_u32_e32 v11, 29, v11
	v_lshlrev_b64 v[21:22], v13, v[5:6]
	v_and_b32_e32 v5, 7, v21
; %bb.967:                              ;   in Loop: Header=BB219_538 Depth=1
	s_or_b32 exec_lo, exec_lo, s17
	v_lshlrev_b32_sdwa v13, v51, v103 dst_sel:DWORD dst_unused:UNUSED_PAD src0_sel:DWORD src1_sel:WORD_1
	v_lshlrev_b32_e32 v5, 20, v5
	v_lshl_add_u32 v11, v11, 23, 0x3c000000
	v_and_b32_e32 v13, 0x80000000, v13
	v_or3_b32 v5, v5, v13, v11
	v_mov_b32_e32 v22, v6
	v_mov_b32_e32 v21, v5
.LBB219_968:                            ;   in Loop: Header=BB219_538 Depth=1
	s_or_b32 exec_lo, exec_lo, s16
.LBB219_969:                            ;   in Loop: Header=BB219_538 Depth=1
	s_or_b32 exec_lo, exec_lo, s15
.LBB219_970:                            ;   in Loop: Header=BB219_538 Depth=1
	s_or_b32 exec_lo, exec_lo, s14
	s_mov_b32 s14, exec_lo
	v_cmpx_lt_u32_e32 0xffffff, v103
	s_cbranch_execz .LBB219_978
; %bb.971:                              ;   in Loop: Header=BB219_538 Depth=1
	v_mov_b32_e32 v11, v6
	v_mov_b32_e32 v24, v12
	v_cmp_ne_u32_sdwa s0, v103, v47 src0_sel:BYTE_3 src1_sel:DWORD
	v_mov_b32_e32 v23, v11
	s_and_saveexec_b32 s15, s0
	s_cbranch_execz .LBB219_977
; %bb.972:                              ;   in Loop: Header=BB219_538 Depth=1
	v_mov_b32_e32 v13, v6
	v_mov_b32_e32 v24, v14
	v_bfe_u32 v104, v103, 24, 7
	s_mov_b32 s16, exec_lo
	v_mov_b32_e32 v23, v13
	v_cmpx_ne_u32_e32 0x7f, v104
	s_cbranch_execz .LBB219_976
; %bb.973:                              ;   in Loop: Header=BB219_538 Depth=1
	v_and_b32_sdwa v5, v103, v50 dst_sel:DWORD dst_unused:UNUSED_PAD src0_sel:BYTE_3 src1_sel:DWORD
	v_lshrrev_b32_e32 v11, 3, v104
	s_mov_b32 s17, exec_lo
	v_cmpx_gt_u32_e32 8, v104
; %bb.974:                              ;   in Loop: Header=BB219_538 Depth=1
	v_ffbh_u32_e32 v11, v5
	v_min_u32_e32 v11, 32, v11
	v_subrev_nc_u32_e32 v13, 28, v11
	v_sub_nc_u32_e32 v11, 29, v11
	v_lshlrev_b64 v[23:24], v13, v[5:6]
	v_and_b32_e32 v5, 7, v23
; %bb.975:                              ;   in Loop: Header=BB219_538 Depth=1
	s_or_b32 exec_lo, exec_lo, s17
	v_lshlrev_b32_sdwa v13, v51, v103 dst_sel:DWORD dst_unused:UNUSED_PAD src0_sel:DWORD src1_sel:BYTE_3
	v_lshlrev_b32_e32 v5, 20, v5
	v_lshl_add_u32 v11, v11, 23, 0x3c000000
	v_mov_b32_e32 v23, v6
	v_and_b32_e32 v13, 0x80000000, v13
	v_or3_b32 v24, v5, v13, v11
.LBB219_976:                            ;   in Loop: Header=BB219_538 Depth=1
	s_or_b32 exec_lo, exec_lo, s16
.LBB219_977:                            ;   in Loop: Header=BB219_538 Depth=1
	s_or_b32 exec_lo, exec_lo, s15
.LBB219_978:                            ;   in Loop: Header=BB219_538 Depth=1
	s_or_b32 exec_lo, exec_lo, s14
	v_or_b32_e32 v5, v20, v18
	v_or_b32_e32 v11, v19, v17
	;; [unrolled: 1-line block ×4, first 2 shown]
	v_mul_f32_e32 v105, s13, v5
	v_mul_f32_e32 v106, s2, v11
	;; [unrolled: 1-line block ×4, first 2 shown]
	s_and_saveexec_b32 s14, vcc_lo
	s_cbranch_execz .LBB219_980
; %bb.979:                              ;   in Loop: Header=BB219_538 Depth=1
	v_cmp_gt_i32_e64 s0, s11, v56
	v_cndmask_b32_e64 v106, 0, v106, s0
	v_cmp_gt_i32_e64 s0, s11, v58
	v_cndmask_b32_e64 v105, 0, v105, s0
	;; [unrolled: 2-line block ×4, first 2 shown]
.LBB219_980:                            ;   in Loop: Header=BB219_538 Depth=1
	s_or_b32 exec_lo, exec_lo, s14
	global_load_dword v107, v[15:16], off offset:1664
	v_mov_b32_e32 v19, 0
	v_mov_b32_e32 v17, 0
	;; [unrolled: 1-line block ×4, first 2 shown]
	s_waitcnt vmcnt(0)
	v_cmp_ne_u16_sdwa s0, v107, v6 src0_sel:BYTE_0 src1_sel:DWORD
	s_and_saveexec_b32 s14, s0
	s_cbranch_execz .LBB219_988
; %bb.981:                              ;   in Loop: Header=BB219_538 Depth=1
	v_bfrev_b32_e32 v17, 1
	v_mov_b32_e32 v18, 0
	v_cmp_ne_u16_sdwa s0, v107, v47 src0_sel:BYTE_0 src1_sel:DWORD
	s_and_saveexec_b32 s15, s0
	s_cbranch_execz .LBB219_987
; %bb.982:                              ;   in Loop: Header=BB219_538 Depth=1
	v_mov_b32_e32 v17, 0x7f800001
	v_and_b32_e32 v13, 0x7f, v107
	v_mov_b32_e32 v18, 0
	s_mov_b32 s16, exec_lo
	v_cmpx_ne_u32_e32 0x7f, v13
	s_cbranch_execz .LBB219_986
; %bb.983:                              ;   in Loop: Header=BB219_538 Depth=1
	v_and_b32_e32 v5, 7, v107
	v_lshrrev_b32_e32 v11, 3, v13
	s_mov_b32 s17, exec_lo
	v_cmpx_gt_u32_e32 8, v13
; %bb.984:                              ;   in Loop: Header=BB219_538 Depth=1
	v_ffbh_u32_e32 v11, v5
	v_min_u32_e32 v11, 32, v11
	v_subrev_nc_u32_e32 v13, 28, v11
	v_sub_nc_u32_e32 v11, 29, v11
	v_lshlrev_b64 v[17:18], v13, v[5:6]
	v_and_b32_e32 v5, 7, v17
; %bb.985:                              ;   in Loop: Header=BB219_538 Depth=1
	s_or_b32 exec_lo, exec_lo, s17
	v_lshlrev_b32_e32 v13, 24, v107
	v_lshlrev_b32_e32 v5, 20, v5
	v_lshl_add_u32 v11, v11, 23, 0x3c000000
	v_and_b32_e32 v13, 0x80000000, v13
	v_or3_b32 v5, v5, v13, v11
	v_mov_b32_e32 v18, v6
	v_mov_b32_e32 v17, v5
.LBB219_986:                            ;   in Loop: Header=BB219_538 Depth=1
	s_or_b32 exec_lo, exec_lo, s16
.LBB219_987:                            ;   in Loop: Header=BB219_538 Depth=1
	s_or_b32 exec_lo, exec_lo, s15
.LBB219_988:                            ;   in Loop: Header=BB219_538 Depth=1
	s_or_b32 exec_lo, exec_lo, s14
	v_cmp_ne_u16_sdwa s0, v107, v6 src0_sel:BYTE_1 src1_sel:DWORD
	s_and_saveexec_b32 s14, s0
	s_cbranch_execz .LBB219_996
; %bb.989:                              ;   in Loop: Header=BB219_538 Depth=1
	v_mov_b32_e32 v11, v6
	v_mov_b32_e32 v20, v12
	v_cmp_ne_u16_sdwa s0, v107, v47 src0_sel:BYTE_1 src1_sel:DWORD
	v_mov_b32_e32 v19, v11
	s_and_saveexec_b32 s15, s0
	s_cbranch_execz .LBB219_995
; %bb.990:                              ;   in Loop: Header=BB219_538 Depth=1
	v_and_b32_sdwa v5, v48, v107 dst_sel:DWORD dst_unused:UNUSED_PAD src0_sel:DWORD src1_sel:BYTE_1
	v_mov_b32_e32 v13, v6
	v_mov_b32_e32 v20, v14
	s_mov_b32 s16, exec_lo
	v_and_b32_e32 v21, 0x7f, v5
	v_mov_b32_e32 v19, v13
	v_cmpx_ne_u32_e32 0x7f, v21
	s_cbranch_execz .LBB219_994
; %bb.991:                              ;   in Loop: Header=BB219_538 Depth=1
	v_and_b32_e32 v5, 7, v5
	v_lshrrev_b32_e32 v11, 3, v21
	s_mov_b32 s17, exec_lo
	v_cmpx_gt_u32_e32 8, v21
; %bb.992:                              ;   in Loop: Header=BB219_538 Depth=1
	v_ffbh_u32_e32 v11, v5
	v_min_u32_e32 v11, 32, v11
	v_subrev_nc_u32_e32 v13, 28, v11
	v_sub_nc_u32_e32 v11, 29, v11
	v_lshlrev_b64 v[19:20], v13, v[5:6]
	v_and_b32_e32 v5, 7, v19
; %bb.993:                              ;   in Loop: Header=BB219_538 Depth=1
	s_or_b32 exec_lo, exec_lo, s17
	v_lshlrev_b32_e32 v13, 16, v107
	v_lshlrev_b32_e32 v5, 20, v5
	v_lshl_add_u32 v11, v11, 23, 0x3c000000
	v_mov_b32_e32 v19, v6
	v_and_b32_e32 v13, 0x80000000, v13
	v_or3_b32 v20, v5, v13, v11
.LBB219_994:                            ;   in Loop: Header=BB219_538 Depth=1
	s_or_b32 exec_lo, exec_lo, s16
.LBB219_995:                            ;   in Loop: Header=BB219_538 Depth=1
	s_or_b32 exec_lo, exec_lo, s15
.LBB219_996:                            ;   in Loop: Header=BB219_538 Depth=1
	s_or_b32 exec_lo, exec_lo, s14
	v_mov_b32_e32 v23, 0
	v_mov_b32_e32 v21, 0
	v_and_b32_sdwa v5, v107, v49 dst_sel:DWORD dst_unused:UNUSED_PAD src0_sel:WORD_1 src1_sel:DWORD
	v_mov_b32_e32 v24, 0
	v_mov_b32_e32 v22, 0
	s_mov_b32 s14, exec_lo
	v_cmpx_ne_u16_e32 0, v5
	s_cbranch_execz .LBB219_1004
; %bb.997:                              ;   in Loop: Header=BB219_538 Depth=1
	v_bfrev_b32_e32 v21, 1
	v_mov_b32_e32 v22, 0
	s_mov_b32 s15, exec_lo
	v_cmpx_ne_u16_e32 0x80, v5
	s_cbranch_execz .LBB219_1003
; %bb.998:                              ;   in Loop: Header=BB219_538 Depth=1
	v_mov_b32_e32 v21, 0x7f800001
	v_bfe_u32 v13, v107, 16, 7
	v_mov_b32_e32 v22, 0
	s_mov_b32 s16, exec_lo
	v_cmpx_ne_u32_e32 0x7f, v13
	s_cbranch_execz .LBB219_1002
; %bb.999:                              ;   in Loop: Header=BB219_538 Depth=1
	v_and_b32_sdwa v5, v107, v50 dst_sel:DWORD dst_unused:UNUSED_PAD src0_sel:WORD_1 src1_sel:DWORD
	v_lshrrev_b32_e32 v11, 3, v13
	s_mov_b32 s17, exec_lo
	v_cmpx_gt_u32_e32 8, v13
; %bb.1000:                             ;   in Loop: Header=BB219_538 Depth=1
	v_ffbh_u32_e32 v11, v5
	v_min_u32_e32 v11, 32, v11
	v_subrev_nc_u32_e32 v13, 28, v11
	v_sub_nc_u32_e32 v11, 29, v11
	v_lshlrev_b64 v[21:22], v13, v[5:6]
	v_and_b32_e32 v5, 7, v21
; %bb.1001:                             ;   in Loop: Header=BB219_538 Depth=1
	s_or_b32 exec_lo, exec_lo, s17
	v_lshlrev_b32_sdwa v13, v51, v107 dst_sel:DWORD dst_unused:UNUSED_PAD src0_sel:DWORD src1_sel:WORD_1
	v_lshlrev_b32_e32 v5, 20, v5
	v_lshl_add_u32 v11, v11, 23, 0x3c000000
	v_and_b32_e32 v13, 0x80000000, v13
	v_or3_b32 v5, v5, v13, v11
	v_mov_b32_e32 v22, v6
	v_mov_b32_e32 v21, v5
.LBB219_1002:                           ;   in Loop: Header=BB219_538 Depth=1
	s_or_b32 exec_lo, exec_lo, s16
.LBB219_1003:                           ;   in Loop: Header=BB219_538 Depth=1
	s_or_b32 exec_lo, exec_lo, s15
.LBB219_1004:                           ;   in Loop: Header=BB219_538 Depth=1
	s_or_b32 exec_lo, exec_lo, s14
	s_mov_b32 s14, exec_lo
	v_cmpx_lt_u32_e32 0xffffff, v107
	s_cbranch_execz .LBB219_1012
; %bb.1005:                             ;   in Loop: Header=BB219_538 Depth=1
	v_mov_b32_e32 v11, v6
	v_mov_b32_e32 v24, v12
	v_cmp_ne_u32_sdwa s0, v107, v47 src0_sel:BYTE_3 src1_sel:DWORD
	v_mov_b32_e32 v23, v11
	s_and_saveexec_b32 s15, s0
	s_cbranch_execz .LBB219_1011
; %bb.1006:                             ;   in Loop: Header=BB219_538 Depth=1
	v_mov_b32_e32 v13, v6
	v_mov_b32_e32 v24, v14
	v_bfe_u32 v108, v107, 24, 7
	s_mov_b32 s16, exec_lo
	v_mov_b32_e32 v23, v13
	v_cmpx_ne_u32_e32 0x7f, v108
	s_cbranch_execz .LBB219_1010
; %bb.1007:                             ;   in Loop: Header=BB219_538 Depth=1
	v_and_b32_sdwa v5, v107, v50 dst_sel:DWORD dst_unused:UNUSED_PAD src0_sel:BYTE_3 src1_sel:DWORD
	v_lshrrev_b32_e32 v11, 3, v108
	s_mov_b32 s17, exec_lo
	v_cmpx_gt_u32_e32 8, v108
; %bb.1008:                             ;   in Loop: Header=BB219_538 Depth=1
	v_ffbh_u32_e32 v11, v5
	v_min_u32_e32 v11, 32, v11
	v_subrev_nc_u32_e32 v13, 28, v11
	v_sub_nc_u32_e32 v11, 29, v11
	v_lshlrev_b64 v[23:24], v13, v[5:6]
	v_and_b32_e32 v5, 7, v23
; %bb.1009:                             ;   in Loop: Header=BB219_538 Depth=1
	s_or_b32 exec_lo, exec_lo, s17
	v_lshlrev_b32_sdwa v13, v51, v107 dst_sel:DWORD dst_unused:UNUSED_PAD src0_sel:DWORD src1_sel:BYTE_3
	v_lshlrev_b32_e32 v5, 20, v5
	v_lshl_add_u32 v11, v11, 23, 0x3c000000
	v_mov_b32_e32 v23, v6
	v_and_b32_e32 v13, 0x80000000, v13
	v_or3_b32 v24, v5, v13, v11
.LBB219_1010:                           ;   in Loop: Header=BB219_538 Depth=1
	s_or_b32 exec_lo, exec_lo, s16
.LBB219_1011:                           ;   in Loop: Header=BB219_538 Depth=1
	s_or_b32 exec_lo, exec_lo, s15
.LBB219_1012:                           ;   in Loop: Header=BB219_538 Depth=1
	s_or_b32 exec_lo, exec_lo, s14
	v_or_b32_e32 v5, v20, v18
	v_or_b32_e32 v11, v19, v17
	;; [unrolled: 1-line block ×4, first 2 shown]
	v_mul_f32_e32 v109, s13, v5
	v_mul_f32_e32 v110, s2, v11
	;; [unrolled: 1-line block ×4, first 2 shown]
	s_and_saveexec_b32 s14, vcc_lo
	s_cbranch_execz .LBB219_1014
; %bb.1013:                             ;   in Loop: Header=BB219_538 Depth=1
	v_cmp_gt_i32_e64 s0, s11, v56
	v_cndmask_b32_e64 v110, 0, v110, s0
	v_cmp_gt_i32_e64 s0, s11, v58
	v_cndmask_b32_e64 v109, 0, v109, s0
	;; [unrolled: 2-line block ×4, first 2 shown]
.LBB219_1014:                           ;   in Loop: Header=BB219_538 Depth=1
	s_or_b32 exec_lo, exec_lo, s14
	global_load_dword v111, v[15:16], off offset:1792
	v_mov_b32_e32 v19, 0
	v_mov_b32_e32 v17, 0
	;; [unrolled: 1-line block ×4, first 2 shown]
	s_waitcnt vmcnt(0)
	v_cmp_ne_u16_sdwa s0, v111, v6 src0_sel:BYTE_0 src1_sel:DWORD
	s_and_saveexec_b32 s14, s0
	s_cbranch_execz .LBB219_1022
; %bb.1015:                             ;   in Loop: Header=BB219_538 Depth=1
	v_bfrev_b32_e32 v17, 1
	v_mov_b32_e32 v18, 0
	v_cmp_ne_u16_sdwa s0, v111, v47 src0_sel:BYTE_0 src1_sel:DWORD
	s_and_saveexec_b32 s15, s0
	s_cbranch_execz .LBB219_1021
; %bb.1016:                             ;   in Loop: Header=BB219_538 Depth=1
	v_mov_b32_e32 v17, 0x7f800001
	v_and_b32_e32 v13, 0x7f, v111
	v_mov_b32_e32 v18, 0
	s_mov_b32 s16, exec_lo
	v_cmpx_ne_u32_e32 0x7f, v13
	s_cbranch_execz .LBB219_1020
; %bb.1017:                             ;   in Loop: Header=BB219_538 Depth=1
	v_and_b32_e32 v5, 7, v111
	v_lshrrev_b32_e32 v11, 3, v13
	s_mov_b32 s17, exec_lo
	v_cmpx_gt_u32_e32 8, v13
; %bb.1018:                             ;   in Loop: Header=BB219_538 Depth=1
	v_ffbh_u32_e32 v11, v5
	v_min_u32_e32 v11, 32, v11
	v_subrev_nc_u32_e32 v13, 28, v11
	v_sub_nc_u32_e32 v11, 29, v11
	v_lshlrev_b64 v[17:18], v13, v[5:6]
	v_and_b32_e32 v5, 7, v17
; %bb.1019:                             ;   in Loop: Header=BB219_538 Depth=1
	s_or_b32 exec_lo, exec_lo, s17
	v_lshlrev_b32_e32 v13, 24, v111
	v_lshlrev_b32_e32 v5, 20, v5
	v_lshl_add_u32 v11, v11, 23, 0x3c000000
	v_and_b32_e32 v13, 0x80000000, v13
	v_or3_b32 v5, v5, v13, v11
	v_mov_b32_e32 v18, v6
	v_mov_b32_e32 v17, v5
.LBB219_1020:                           ;   in Loop: Header=BB219_538 Depth=1
	s_or_b32 exec_lo, exec_lo, s16
.LBB219_1021:                           ;   in Loop: Header=BB219_538 Depth=1
	s_or_b32 exec_lo, exec_lo, s15
.LBB219_1022:                           ;   in Loop: Header=BB219_538 Depth=1
	s_or_b32 exec_lo, exec_lo, s14
	v_cmp_ne_u16_sdwa s0, v111, v6 src0_sel:BYTE_1 src1_sel:DWORD
	s_and_saveexec_b32 s14, s0
	s_cbranch_execz .LBB219_1030
; %bb.1023:                             ;   in Loop: Header=BB219_538 Depth=1
	v_mov_b32_e32 v11, v6
	v_mov_b32_e32 v20, v12
	v_cmp_ne_u16_sdwa s0, v111, v47 src0_sel:BYTE_1 src1_sel:DWORD
	v_mov_b32_e32 v19, v11
	s_and_saveexec_b32 s15, s0
	s_cbranch_execz .LBB219_1029
; %bb.1024:                             ;   in Loop: Header=BB219_538 Depth=1
	v_and_b32_sdwa v5, v48, v111 dst_sel:DWORD dst_unused:UNUSED_PAD src0_sel:DWORD src1_sel:BYTE_1
	v_mov_b32_e32 v13, v6
	v_mov_b32_e32 v20, v14
	s_mov_b32 s16, exec_lo
	v_and_b32_e32 v21, 0x7f, v5
	v_mov_b32_e32 v19, v13
	v_cmpx_ne_u32_e32 0x7f, v21
	s_cbranch_execz .LBB219_1028
; %bb.1025:                             ;   in Loop: Header=BB219_538 Depth=1
	v_and_b32_e32 v5, 7, v5
	v_lshrrev_b32_e32 v11, 3, v21
	s_mov_b32 s17, exec_lo
	v_cmpx_gt_u32_e32 8, v21
; %bb.1026:                             ;   in Loop: Header=BB219_538 Depth=1
	v_ffbh_u32_e32 v11, v5
	v_min_u32_e32 v11, 32, v11
	v_subrev_nc_u32_e32 v13, 28, v11
	v_sub_nc_u32_e32 v11, 29, v11
	v_lshlrev_b64 v[19:20], v13, v[5:6]
	v_and_b32_e32 v5, 7, v19
; %bb.1027:                             ;   in Loop: Header=BB219_538 Depth=1
	s_or_b32 exec_lo, exec_lo, s17
	v_lshlrev_b32_e32 v13, 16, v111
	v_lshlrev_b32_e32 v5, 20, v5
	v_lshl_add_u32 v11, v11, 23, 0x3c000000
	v_mov_b32_e32 v19, v6
	v_and_b32_e32 v13, 0x80000000, v13
	v_or3_b32 v20, v5, v13, v11
.LBB219_1028:                           ;   in Loop: Header=BB219_538 Depth=1
	s_or_b32 exec_lo, exec_lo, s16
.LBB219_1029:                           ;   in Loop: Header=BB219_538 Depth=1
	s_or_b32 exec_lo, exec_lo, s15
.LBB219_1030:                           ;   in Loop: Header=BB219_538 Depth=1
	s_or_b32 exec_lo, exec_lo, s14
	v_mov_b32_e32 v23, 0
	v_mov_b32_e32 v21, 0
	v_and_b32_sdwa v5, v111, v49 dst_sel:DWORD dst_unused:UNUSED_PAD src0_sel:WORD_1 src1_sel:DWORD
	v_mov_b32_e32 v24, 0
	v_mov_b32_e32 v22, 0
	s_mov_b32 s14, exec_lo
	v_cmpx_ne_u16_e32 0, v5
	s_cbranch_execz .LBB219_1038
; %bb.1031:                             ;   in Loop: Header=BB219_538 Depth=1
	v_bfrev_b32_e32 v21, 1
	v_mov_b32_e32 v22, 0
	s_mov_b32 s15, exec_lo
	v_cmpx_ne_u16_e32 0x80, v5
	s_cbranch_execz .LBB219_1037
; %bb.1032:                             ;   in Loop: Header=BB219_538 Depth=1
	v_mov_b32_e32 v21, 0x7f800001
	v_bfe_u32 v13, v111, 16, 7
	v_mov_b32_e32 v22, 0
	s_mov_b32 s16, exec_lo
	v_cmpx_ne_u32_e32 0x7f, v13
	s_cbranch_execz .LBB219_1036
; %bb.1033:                             ;   in Loop: Header=BB219_538 Depth=1
	v_and_b32_sdwa v5, v111, v50 dst_sel:DWORD dst_unused:UNUSED_PAD src0_sel:WORD_1 src1_sel:DWORD
	v_lshrrev_b32_e32 v11, 3, v13
	s_mov_b32 s17, exec_lo
	v_cmpx_gt_u32_e32 8, v13
; %bb.1034:                             ;   in Loop: Header=BB219_538 Depth=1
	v_ffbh_u32_e32 v11, v5
	v_min_u32_e32 v11, 32, v11
	v_subrev_nc_u32_e32 v13, 28, v11
	v_sub_nc_u32_e32 v11, 29, v11
	v_lshlrev_b64 v[21:22], v13, v[5:6]
	v_and_b32_e32 v5, 7, v21
; %bb.1035:                             ;   in Loop: Header=BB219_538 Depth=1
	s_or_b32 exec_lo, exec_lo, s17
	v_lshlrev_b32_sdwa v13, v51, v111 dst_sel:DWORD dst_unused:UNUSED_PAD src0_sel:DWORD src1_sel:WORD_1
	v_lshlrev_b32_e32 v5, 20, v5
	v_lshl_add_u32 v11, v11, 23, 0x3c000000
	v_and_b32_e32 v13, 0x80000000, v13
	v_or3_b32 v5, v5, v13, v11
	v_mov_b32_e32 v22, v6
	v_mov_b32_e32 v21, v5
.LBB219_1036:                           ;   in Loop: Header=BB219_538 Depth=1
	s_or_b32 exec_lo, exec_lo, s16
.LBB219_1037:                           ;   in Loop: Header=BB219_538 Depth=1
	s_or_b32 exec_lo, exec_lo, s15
.LBB219_1038:                           ;   in Loop: Header=BB219_538 Depth=1
	s_or_b32 exec_lo, exec_lo, s14
	s_mov_b32 s14, exec_lo
	v_cmpx_lt_u32_e32 0xffffff, v111
	s_cbranch_execz .LBB219_1046
; %bb.1039:                             ;   in Loop: Header=BB219_538 Depth=1
	v_mov_b32_e32 v11, v6
	v_mov_b32_e32 v24, v12
	v_cmp_ne_u32_sdwa s0, v111, v47 src0_sel:BYTE_3 src1_sel:DWORD
	v_mov_b32_e32 v23, v11
	s_and_saveexec_b32 s15, s0
	s_cbranch_execz .LBB219_1045
; %bb.1040:                             ;   in Loop: Header=BB219_538 Depth=1
	v_mov_b32_e32 v13, v6
	v_mov_b32_e32 v24, v14
	v_bfe_u32 v112, v111, 24, 7
	s_mov_b32 s16, exec_lo
	v_mov_b32_e32 v23, v13
	v_cmpx_ne_u32_e32 0x7f, v112
	s_cbranch_execz .LBB219_1044
; %bb.1041:                             ;   in Loop: Header=BB219_538 Depth=1
	v_and_b32_sdwa v5, v111, v50 dst_sel:DWORD dst_unused:UNUSED_PAD src0_sel:BYTE_3 src1_sel:DWORD
	v_lshrrev_b32_e32 v11, 3, v112
	s_mov_b32 s17, exec_lo
	v_cmpx_gt_u32_e32 8, v112
; %bb.1042:                             ;   in Loop: Header=BB219_538 Depth=1
	v_ffbh_u32_e32 v11, v5
	v_min_u32_e32 v11, 32, v11
	v_subrev_nc_u32_e32 v13, 28, v11
	v_sub_nc_u32_e32 v11, 29, v11
	v_lshlrev_b64 v[23:24], v13, v[5:6]
	v_and_b32_e32 v5, 7, v23
; %bb.1043:                             ;   in Loop: Header=BB219_538 Depth=1
	s_or_b32 exec_lo, exec_lo, s17
	v_lshlrev_b32_sdwa v13, v51, v111 dst_sel:DWORD dst_unused:UNUSED_PAD src0_sel:DWORD src1_sel:BYTE_3
	v_lshlrev_b32_e32 v5, 20, v5
	v_lshl_add_u32 v11, v11, 23, 0x3c000000
	v_mov_b32_e32 v23, v6
	v_and_b32_e32 v13, 0x80000000, v13
	v_or3_b32 v24, v5, v13, v11
.LBB219_1044:                           ;   in Loop: Header=BB219_538 Depth=1
	s_or_b32 exec_lo, exec_lo, s16
.LBB219_1045:                           ;   in Loop: Header=BB219_538 Depth=1
	s_or_b32 exec_lo, exec_lo, s15
.LBB219_1046:                           ;   in Loop: Header=BB219_538 Depth=1
	s_or_b32 exec_lo, exec_lo, s14
	v_or_b32_e32 v5, v20, v18
	v_or_b32_e32 v11, v19, v17
	;; [unrolled: 1-line block ×4, first 2 shown]
	v_mul_f32_e32 v111, s13, v5
	v_mul_f32_e32 v112, s2, v11
	;; [unrolled: 1-line block ×4, first 2 shown]
	s_and_saveexec_b32 s14, vcc_lo
	s_cbranch_execz .LBB219_1048
; %bb.1047:                             ;   in Loop: Header=BB219_538 Depth=1
	v_cmp_gt_i32_e64 s0, s11, v56
	v_cndmask_b32_e64 v112, 0, v112, s0
	v_cmp_gt_i32_e64 s0, s11, v58
	v_cndmask_b32_e64 v111, 0, v111, s0
	;; [unrolled: 2-line block ×4, first 2 shown]
.LBB219_1048:                           ;   in Loop: Header=BB219_538 Depth=1
	s_or_b32 exec_lo, exec_lo, s14
	global_load_dword v113, v[15:16], off offset:1920
	v_mov_b32_e32 v17, 0
	v_mov_b32_e32 v15, 0
	;; [unrolled: 1-line block ×4, first 2 shown]
	s_waitcnt vmcnt(0)
	v_cmp_ne_u16_sdwa s0, v113, v6 src0_sel:BYTE_0 src1_sel:DWORD
	s_and_saveexec_b32 s14, s0
	s_cbranch_execz .LBB219_1056
; %bb.1049:                             ;   in Loop: Header=BB219_538 Depth=1
	v_bfrev_b32_e32 v15, 1
	v_mov_b32_e32 v16, 0
	v_cmp_ne_u16_sdwa s0, v113, v47 src0_sel:BYTE_0 src1_sel:DWORD
	s_and_saveexec_b32 s15, s0
	s_cbranch_execz .LBB219_1055
; %bb.1050:                             ;   in Loop: Header=BB219_538 Depth=1
	v_mov_b32_e32 v15, 0x7f800001
	v_and_b32_e32 v13, 0x7f, v113
	v_mov_b32_e32 v16, 0
	s_mov_b32 s16, exec_lo
	v_cmpx_ne_u32_e32 0x7f, v13
	s_cbranch_execz .LBB219_1054
; %bb.1051:                             ;   in Loop: Header=BB219_538 Depth=1
	v_and_b32_e32 v5, 7, v113
	v_lshrrev_b32_e32 v11, 3, v13
	s_mov_b32 s17, exec_lo
	v_cmpx_gt_u32_e32 8, v13
; %bb.1052:                             ;   in Loop: Header=BB219_538 Depth=1
	v_ffbh_u32_e32 v11, v5
	v_min_u32_e32 v11, 32, v11
	v_subrev_nc_u32_e32 v13, 28, v11
	v_sub_nc_u32_e32 v11, 29, v11
	v_lshlrev_b64 v[15:16], v13, v[5:6]
	v_and_b32_e32 v5, 7, v15
; %bb.1053:                             ;   in Loop: Header=BB219_538 Depth=1
	s_or_b32 exec_lo, exec_lo, s17
	v_lshlrev_b32_e32 v13, 24, v113
	v_lshlrev_b32_e32 v5, 20, v5
	v_lshl_add_u32 v11, v11, 23, 0x3c000000
	v_and_b32_e32 v13, 0x80000000, v13
	v_or3_b32 v5, v5, v13, v11
	v_mov_b32_e32 v16, v6
	v_mov_b32_e32 v15, v5
.LBB219_1054:                           ;   in Loop: Header=BB219_538 Depth=1
	s_or_b32 exec_lo, exec_lo, s16
.LBB219_1055:                           ;   in Loop: Header=BB219_538 Depth=1
	s_or_b32 exec_lo, exec_lo, s15
.LBB219_1056:                           ;   in Loop: Header=BB219_538 Depth=1
	s_or_b32 exec_lo, exec_lo, s14
	v_cmp_ne_u16_sdwa s0, v113, v6 src0_sel:BYTE_1 src1_sel:DWORD
	s_and_saveexec_b32 s14, s0
	s_cbranch_execz .LBB219_1064
; %bb.1057:                             ;   in Loop: Header=BB219_538 Depth=1
	v_mov_b32_e32 v11, v6
	v_mov_b32_e32 v18, v12
	v_cmp_ne_u16_sdwa s0, v113, v47 src0_sel:BYTE_1 src1_sel:DWORD
	v_mov_b32_e32 v17, v11
	s_and_saveexec_b32 s15, s0
	s_cbranch_execz .LBB219_1063
; %bb.1058:                             ;   in Loop: Header=BB219_538 Depth=1
	v_and_b32_sdwa v5, v48, v113 dst_sel:DWORD dst_unused:UNUSED_PAD src0_sel:DWORD src1_sel:BYTE_1
	v_mov_b32_e32 v13, v6
	v_mov_b32_e32 v18, v14
	s_mov_b32 s16, exec_lo
	v_and_b32_e32 v19, 0x7f, v5
	v_mov_b32_e32 v17, v13
	v_cmpx_ne_u32_e32 0x7f, v19
	s_cbranch_execz .LBB219_1062
; %bb.1059:                             ;   in Loop: Header=BB219_538 Depth=1
	v_and_b32_e32 v5, 7, v5
	v_lshrrev_b32_e32 v11, 3, v19
	s_mov_b32 s17, exec_lo
	v_cmpx_gt_u32_e32 8, v19
; %bb.1060:                             ;   in Loop: Header=BB219_538 Depth=1
	v_ffbh_u32_e32 v11, v5
	v_min_u32_e32 v11, 32, v11
	v_subrev_nc_u32_e32 v13, 28, v11
	v_sub_nc_u32_e32 v11, 29, v11
	v_lshlrev_b64 v[17:18], v13, v[5:6]
	v_and_b32_e32 v5, 7, v17
; %bb.1061:                             ;   in Loop: Header=BB219_538 Depth=1
	s_or_b32 exec_lo, exec_lo, s17
	v_lshlrev_b32_e32 v13, 16, v113
	v_lshlrev_b32_e32 v5, 20, v5
	v_lshl_add_u32 v11, v11, 23, 0x3c000000
	v_mov_b32_e32 v17, v6
	v_and_b32_e32 v13, 0x80000000, v13
	v_or3_b32 v18, v5, v13, v11
.LBB219_1062:                           ;   in Loop: Header=BB219_538 Depth=1
	s_or_b32 exec_lo, exec_lo, s16
.LBB219_1063:                           ;   in Loop: Header=BB219_538 Depth=1
	s_or_b32 exec_lo, exec_lo, s15
.LBB219_1064:                           ;   in Loop: Header=BB219_538 Depth=1
	s_or_b32 exec_lo, exec_lo, s14
	v_mov_b32_e32 v21, 0
	v_mov_b32_e32 v19, 0
	v_and_b32_sdwa v5, v113, v49 dst_sel:DWORD dst_unused:UNUSED_PAD src0_sel:WORD_1 src1_sel:DWORD
	v_mov_b32_e32 v22, 0
	v_mov_b32_e32 v20, 0
	s_mov_b32 s14, exec_lo
	v_cmpx_ne_u16_e32 0, v5
	s_cbranch_execz .LBB219_1072
; %bb.1065:                             ;   in Loop: Header=BB219_538 Depth=1
	v_bfrev_b32_e32 v19, 1
	v_mov_b32_e32 v20, 0
	s_mov_b32 s15, exec_lo
	v_cmpx_ne_u16_e32 0x80, v5
	s_cbranch_execz .LBB219_1071
; %bb.1066:                             ;   in Loop: Header=BB219_538 Depth=1
	v_mov_b32_e32 v19, 0x7f800001
	v_bfe_u32 v13, v113, 16, 7
	v_mov_b32_e32 v20, 0
	s_mov_b32 s16, exec_lo
	v_cmpx_ne_u32_e32 0x7f, v13
	s_cbranch_execz .LBB219_1070
; %bb.1067:                             ;   in Loop: Header=BB219_538 Depth=1
	v_and_b32_sdwa v5, v113, v50 dst_sel:DWORD dst_unused:UNUSED_PAD src0_sel:WORD_1 src1_sel:DWORD
	v_lshrrev_b32_e32 v11, 3, v13
	s_mov_b32 s17, exec_lo
	v_cmpx_gt_u32_e32 8, v13
; %bb.1068:                             ;   in Loop: Header=BB219_538 Depth=1
	v_ffbh_u32_e32 v11, v5
	v_min_u32_e32 v11, 32, v11
	v_subrev_nc_u32_e32 v13, 28, v11
	v_sub_nc_u32_e32 v11, 29, v11
	v_lshlrev_b64 v[19:20], v13, v[5:6]
	v_and_b32_e32 v5, 7, v19
; %bb.1069:                             ;   in Loop: Header=BB219_538 Depth=1
	s_or_b32 exec_lo, exec_lo, s17
	v_lshlrev_b32_sdwa v13, v51, v113 dst_sel:DWORD dst_unused:UNUSED_PAD src0_sel:DWORD src1_sel:WORD_1
	v_lshlrev_b32_e32 v5, 20, v5
	v_lshl_add_u32 v11, v11, 23, 0x3c000000
	v_and_b32_e32 v13, 0x80000000, v13
	v_or3_b32 v5, v5, v13, v11
	v_mov_b32_e32 v20, v6
	v_mov_b32_e32 v19, v5
.LBB219_1070:                           ;   in Loop: Header=BB219_538 Depth=1
	s_or_b32 exec_lo, exec_lo, s16
.LBB219_1071:                           ;   in Loop: Header=BB219_538 Depth=1
	s_or_b32 exec_lo, exec_lo, s15
.LBB219_1072:                           ;   in Loop: Header=BB219_538 Depth=1
	s_or_b32 exec_lo, exec_lo, s14
	s_mov_b32 s14, exec_lo
	v_cmpx_lt_u32_e32 0xffffff, v113
	s_cbranch_execz .LBB219_1080
; %bb.1073:                             ;   in Loop: Header=BB219_538 Depth=1
	v_mov_b32_e32 v11, v6
	v_mov_b32_e32 v22, v12
	v_cmp_ne_u32_sdwa s0, v113, v47 src0_sel:BYTE_3 src1_sel:DWORD
	v_mov_b32_e32 v21, v11
	s_and_saveexec_b32 s15, s0
	s_cbranch_execz .LBB219_1079
; %bb.1074:                             ;   in Loop: Header=BB219_538 Depth=1
	v_mov_b32_e32 v13, v6
	v_mov_b32_e32 v22, v14
	v_bfe_u32 v114, v113, 24, 7
	s_mov_b32 s16, exec_lo
	v_mov_b32_e32 v21, v13
	v_cmpx_ne_u32_e32 0x7f, v114
	s_cbranch_execz .LBB219_1078
; %bb.1075:                             ;   in Loop: Header=BB219_538 Depth=1
	v_and_b32_sdwa v5, v113, v50 dst_sel:DWORD dst_unused:UNUSED_PAD src0_sel:BYTE_3 src1_sel:DWORD
	v_lshrrev_b32_e32 v11, 3, v114
	s_mov_b32 s17, exec_lo
	v_cmpx_gt_u32_e32 8, v114
; %bb.1076:                             ;   in Loop: Header=BB219_538 Depth=1
	v_ffbh_u32_e32 v11, v5
	v_min_u32_e32 v11, 32, v11
	v_subrev_nc_u32_e32 v13, 28, v11
	v_sub_nc_u32_e32 v11, 29, v11
	v_lshlrev_b64 v[21:22], v13, v[5:6]
	v_and_b32_e32 v5, 7, v21
; %bb.1077:                             ;   in Loop: Header=BB219_538 Depth=1
	s_or_b32 exec_lo, exec_lo, s17
	v_lshlrev_b32_sdwa v13, v51, v113 dst_sel:DWORD dst_unused:UNUSED_PAD src0_sel:DWORD src1_sel:BYTE_3
	v_lshlrev_b32_e32 v5, 20, v5
	v_lshl_add_u32 v11, v11, 23, 0x3c000000
	v_mov_b32_e32 v21, v6
	v_and_b32_e32 v13, 0x80000000, v13
	v_or3_b32 v22, v5, v13, v11
.LBB219_1078:                           ;   in Loop: Header=BB219_538 Depth=1
	s_or_b32 exec_lo, exec_lo, s16
.LBB219_1079:                           ;   in Loop: Header=BB219_538 Depth=1
	s_or_b32 exec_lo, exec_lo, s15
.LBB219_1080:                           ;   in Loop: Header=BB219_538 Depth=1
	s_or_b32 exec_lo, exec_lo, s14
	v_or_b32_e32 v5, v18, v16
	v_or_b32_e32 v11, v17, v15
	;; [unrolled: 1-line block ×4, first 2 shown]
	v_mul_f32_e32 v13, s13, v5
	v_mul_f32_e32 v15, s2, v11
	;; [unrolled: 1-line block ×4, first 2 shown]
	s_and_saveexec_b32 s0, vcc_lo
	s_cbranch_execz .LBB219_537
; %bb.1081:                             ;   in Loop: Header=BB219_538 Depth=1
	v_cmp_gt_i32_e32 vcc_lo, s11, v56
	v_cndmask_b32_e32 v15, 0, v15, vcc_lo
	v_cmp_gt_i32_e32 vcc_lo, s11, v58
	v_cndmask_b32_e32 v13, 0, v13, vcc_lo
	;; [unrolled: 2-line block ×4, first 2 shown]
	s_branch .LBB219_537
.LBB219_1082:
	s_or_b32 exec_lo, exec_lo, s5
.LBB219_1083:
	s_or_b32 exec_lo, exec_lo, s1
	ds_bpermute_b32 v0, v27, v42
	ds_bpermute_b32 v4, v27, v40
	;; [unrolled: 1-line block ×16, first 2 shown]
	s_mov_b32 s0, exec_lo
	s_waitcnt lgkmcnt(0)
	s_barrier
	buffer_gl0_inv
	v_add_f32_e32 v0, v42, v0
	v_add_f32_e32 v4, v40, v4
	;; [unrolled: 1-line block ×5, first 2 shown]
	ds_bpermute_b32 v16, v26, v0
	ds_bpermute_b32 v20, v26, v4
	;; [unrolled: 1-line block ×3, first 2 shown]
	v_add_f32_e32 v2, v43, v2
	v_add_f32_e32 v3, v41, v3
	;; [unrolled: 1-line block ×10, first 2 shown]
	ds_bpermute_b32 v27, v26, v9
	v_add_f32_e32 v15, v29, v15
	ds_bpermute_b32 v17, v26, v1
	ds_bpermute_b32 v18, v26, v2
	;; [unrolled: 1-line block ×8, first 2 shown]
	s_waitcnt lgkmcnt(11)
	v_add_f32_e32 v0, v0, v16
	ds_bpermute_b32 v16, v26, v12
	s_waitcnt lgkmcnt(11)
	v_add_f32_e32 v4, v4, v20
	ds_bpermute_b32 v20, v26, v13
	;; [unrolled: 3-line block ×3, first 2 shown]
	ds_bpermute_b32 v26, v26, v15
	ds_bpermute_b32 v29, v25, v5
	s_waitcnt lgkmcnt(13)
	v_add_f32_e32 v9, v9, v27
	s_waitcnt lgkmcnt(12)
	v_add_f32_e32 v1, v1, v17
	;; [unrolled: 2-line block ×9, first 2 shown]
	ds_bpermute_b32 v17, v25, v0
	s_waitcnt lgkmcnt(5)
	v_add_f32_e32 v12, v12, v16
	ds_bpermute_b32 v16, v25, v9
	s_waitcnt lgkmcnt(5)
	v_add_f32_e32 v13, v13, v20
	;; [unrolled: 3-line block ×3, first 2 shown]
	s_waitcnt lgkmcnt(4)
	v_add_f32_e32 v15, v15, v26
	ds_bpermute_b32 v19, v25, v2
	ds_bpermute_b32 v22, v25, v3
	;; [unrolled: 1-line block ×12, first 2 shown]
	s_waitcnt lgkmcnt(15)
	v_add_f32_e32 v5, v5, v29
	s_waitcnt lgkmcnt(14)
	v_add_f32_e32 v0, v0, v17
	;; [unrolled: 2-line block ×3, first 2 shown]
	v_lshrrev_b32_e32 v16, 3, v117
	s_waitcnt lgkmcnt(12)
	v_add_f32_e32 v1, v1, v18
	v_lshlrev_b32_e32 v18, 8, v116
	s_waitcnt lgkmcnt(11)
	v_add_f32_e32 v2, v2, v19
	s_waitcnt lgkmcnt(10)
	v_add_f32_e32 v3, v3, v22
	;; [unrolled: 2-line block ×10, first 2 shown]
	v_and_b32_e32 v19, 0x3c7, v115
	s_waitcnt lgkmcnt(1)
	v_add_f32_e32 v14, v14, v26
	s_waitcnt lgkmcnt(0)
	v_add_f32_e32 v15, v15, v25
	v_lshl_add_u32 v17, v16, 2, 0x120
	v_cmpx_eq_u32_e32 64, v19
	s_cbranch_execz .LBB219_1085
; %bb.1084:
	v_add_nc_u32_e32 v19, v17, v18
	v_add_nc_u32_e32 v20, 0xfffffe00, v19
	;; [unrolled: 1-line block ×7, first 2 shown]
	ds_write_b32 v20, v0
	ds_write_b32 v21, v1
	ds_write_b32 v22, v2
	ds_write_b32 v23, v3
	ds_write_b32 v24, v4
	ds_write_b32 v25, v5
	v_add_nc_u32_e32 v20, 0xfffffe60, v19
	v_add_nc_u32_e32 v21, 0xfffffe70, v19
	;; [unrolled: 1-line block ×5, first 2 shown]
	ds_write_b32 v20, v6
	ds_write_b32 v21, v7
	;; [unrolled: 1-line block ×5, first 2 shown]
	v_add_nc_u32_e32 v20, 0xfffffeb0, v19
	v_add_nc_u32_e32 v21, 0xfffffec0, v19
	;; [unrolled: 1-line block ×5, first 2 shown]
	ds_write_b32 v20, v11
	ds_write_b32 v21, v12
	;; [unrolled: 1-line block ×5, first 2 shown]
.LBB219_1085:
	s_or_b32 exec_lo, exec_lo, s0
	v_lshlrev_b32_e32 v16, 2, v16
	s_mov_b32 s1, exec_lo
	v_cmp_eq_u32_e32 vcc_lo, 0, v28
	s_waitcnt lgkmcnt(0)
	s_barrier
	v_add3_u32 v16, 0x120, v18, v16
	buffer_gl0_inv
	v_cmpx_gt_u32_e32 64, v115
	s_cbranch_execz .LBB219_1104
; %bb.1086:
	s_and_saveexec_b32 s0, vcc_lo
	s_cbranch_execnz .LBB219_1128
; %bb.1087:
	s_or_b32 exec_lo, exec_lo, s0
	s_and_saveexec_b32 s0, vcc_lo
	s_cbranch_execnz .LBB219_1129
.LBB219_1088:
	s_or_b32 exec_lo, exec_lo, s0
	s_and_saveexec_b32 s0, vcc_lo
	s_cbranch_execnz .LBB219_1130
.LBB219_1089:
	s_or_b32 exec_lo, exec_lo, s0
	s_and_saveexec_b32 s0, vcc_lo
	s_cbranch_execnz .LBB219_1131
.LBB219_1090:
	s_or_b32 exec_lo, exec_lo, s0
	s_and_saveexec_b32 s0, vcc_lo
	s_cbranch_execnz .LBB219_1132
.LBB219_1091:
	s_or_b32 exec_lo, exec_lo, s0
	s_and_saveexec_b32 s0, vcc_lo
	s_cbranch_execnz .LBB219_1133
.LBB219_1092:
	s_or_b32 exec_lo, exec_lo, s0
	s_and_saveexec_b32 s0, vcc_lo
	s_cbranch_execnz .LBB219_1134
.LBB219_1093:
	s_or_b32 exec_lo, exec_lo, s0
	s_and_saveexec_b32 s0, vcc_lo
	s_cbranch_execnz .LBB219_1135
.LBB219_1094:
	s_or_b32 exec_lo, exec_lo, s0
	s_and_saveexec_b32 s0, vcc_lo
	s_cbranch_execnz .LBB219_1136
.LBB219_1095:
	s_or_b32 exec_lo, exec_lo, s0
	s_and_saveexec_b32 s0, vcc_lo
	s_cbranch_execnz .LBB219_1137
.LBB219_1096:
	s_or_b32 exec_lo, exec_lo, s0
	s_and_saveexec_b32 s0, vcc_lo
	s_cbranch_execnz .LBB219_1138
.LBB219_1097:
	s_or_b32 exec_lo, exec_lo, s0
	s_and_saveexec_b32 s0, vcc_lo
	s_cbranch_execnz .LBB219_1139
.LBB219_1098:
	s_or_b32 exec_lo, exec_lo, s0
	s_and_saveexec_b32 s0, vcc_lo
	s_cbranch_execnz .LBB219_1140
.LBB219_1099:
	s_or_b32 exec_lo, exec_lo, s0
	s_and_saveexec_b32 s0, vcc_lo
	s_cbranch_execnz .LBB219_1141
.LBB219_1100:
	s_or_b32 exec_lo, exec_lo, s0
	s_and_saveexec_b32 s0, vcc_lo
	s_cbranch_execnz .LBB219_1142
.LBB219_1101:
	s_or_b32 exec_lo, exec_lo, s0
	s_and_saveexec_b32 s0, vcc_lo
	s_cbranch_execz .LBB219_1103
.LBB219_1102:
	ds_read_b32 v18, v16 offset:240
	s_waitcnt lgkmcnt(0)
	v_add_f32_e32 v15, v15, v18
.LBB219_1103:
	s_or_b32 exec_lo, exec_lo, s0
.LBB219_1104:
	s_or_b32 exec_lo, exec_lo, s1
	v_and_b32_e32 v18, 0x3e7, v115
	s_mov_b32 s1, exec_lo
	s_barrier
	buffer_gl0_inv
	v_cmpx_eq_u32_e32 32, v18
	s_cbranch_execz .LBB219_1106
; %bb.1105:
	ds_write2_b32 v17, v0, v1 offset1:4
	ds_write2_b32 v17, v2, v3 offset0:8 offset1:12
	ds_write2_b32 v17, v4, v5 offset0:16 offset1:20
	;; [unrolled: 1-line block ×7, first 2 shown]
.LBB219_1106:
	s_or_b32 exec_lo, exec_lo, s1
	s_mov_b32 s1, exec_lo
	s_waitcnt lgkmcnt(0)
	s_barrier
	buffer_gl0_inv
	v_cmpx_gt_u32_e32 32, v115
	s_cbranch_execz .LBB219_1125
; %bb.1107:
	s_and_saveexec_b32 s0, vcc_lo
	s_cbranch_execnz .LBB219_1143
; %bb.1108:
	s_or_b32 exec_lo, exec_lo, s0
	s_and_saveexec_b32 s0, vcc_lo
	s_cbranch_execnz .LBB219_1144
.LBB219_1109:
	s_or_b32 exec_lo, exec_lo, s0
	s_and_saveexec_b32 s0, vcc_lo
	s_cbranch_execnz .LBB219_1145
.LBB219_1110:
	s_or_b32 exec_lo, exec_lo, s0
	s_and_saveexec_b32 s0, vcc_lo
	s_cbranch_execnz .LBB219_1146
.LBB219_1111:
	s_or_b32 exec_lo, exec_lo, s0
	s_and_saveexec_b32 s0, vcc_lo
	s_cbranch_execnz .LBB219_1147
.LBB219_1112:
	s_or_b32 exec_lo, exec_lo, s0
	s_and_saveexec_b32 s0, vcc_lo
	s_cbranch_execnz .LBB219_1148
.LBB219_1113:
	s_or_b32 exec_lo, exec_lo, s0
	s_and_saveexec_b32 s0, vcc_lo
	s_cbranch_execnz .LBB219_1149
.LBB219_1114:
	s_or_b32 exec_lo, exec_lo, s0
	s_and_saveexec_b32 s0, vcc_lo
	s_cbranch_execnz .LBB219_1150
.LBB219_1115:
	s_or_b32 exec_lo, exec_lo, s0
	s_and_saveexec_b32 s0, vcc_lo
	s_cbranch_execnz .LBB219_1151
.LBB219_1116:
	s_or_b32 exec_lo, exec_lo, s0
	s_and_saveexec_b32 s0, vcc_lo
	s_cbranch_execnz .LBB219_1152
.LBB219_1117:
	s_or_b32 exec_lo, exec_lo, s0
	s_and_saveexec_b32 s0, vcc_lo
	s_cbranch_execnz .LBB219_1153
.LBB219_1118:
	s_or_b32 exec_lo, exec_lo, s0
	s_and_saveexec_b32 s0, vcc_lo
	s_cbranch_execnz .LBB219_1154
.LBB219_1119:
	s_or_b32 exec_lo, exec_lo, s0
	s_and_saveexec_b32 s0, vcc_lo
	s_cbranch_execnz .LBB219_1155
.LBB219_1120:
	s_or_b32 exec_lo, exec_lo, s0
	s_and_saveexec_b32 s0, vcc_lo
	s_cbranch_execnz .LBB219_1156
.LBB219_1121:
	s_or_b32 exec_lo, exec_lo, s0
	s_and_saveexec_b32 s0, vcc_lo
	s_cbranch_execnz .LBB219_1157
.LBB219_1122:
	s_or_b32 exec_lo, exec_lo, s0
	s_and_saveexec_b32 s0, vcc_lo
	s_cbranch_execz .LBB219_1124
.LBB219_1123:
	ds_read_b32 v16, v16 offset:240
	s_waitcnt lgkmcnt(0)
	v_add_f32_e32 v15, v15, v16
.LBB219_1124:
	s_or_b32 exec_lo, exec_lo, s0
.LBB219_1125:
	s_or_b32 exec_lo, exec_lo, s1
	s_barrier
	buffer_gl0_inv
	s_mov_b32 s0, exec_lo
	v_cmpx_eq_u32_e32 0, v18
	s_cbranch_execz .LBB219_1127
; %bb.1126:
	s_mul_i32 s0, s10, s7
	s_mul_i32 s2, s7, s6
	;; [unrolled: 1-line block ×3, first 2 shown]
	v_lshrrev_b32_e32 v16, 1, v115
	s_lshl_b32 s0, s0, 6
	s_ashr_i32 s1, s0, 31
	s_lshl_b64 s[0:1], s[0:1], 2
	s_add_u32 s4, s20, s0
	s_addc_u32 s5, s21, s1
	s_ashr_i32 s3, s2, 31
	s_lshl_b64 s[0:1], s[2:3], 2
	s_add_u32 s2, s4, s0
	s_addc_u32 s3, s5, s1
	s_lshl_b32 s0, s8, 6
	s_ashr_i32 s1, s0, 31
	s_lshl_b64 s[0:1], s[0:1], 2
	s_add_u32 s0, s2, s0
	s_addc_u32 s1, s3, s1
	global_store_dword v16, v0, s[0:1]
	global_store_dword v16, v1, s[0:1] offset:16
	global_store_dword v16, v2, s[0:1] offset:32
	;; [unrolled: 1-line block ×15, first 2 shown]
.LBB219_1127:
	s_endpgm
.LBB219_1128:
	ds_read_b32 v18, v16
	s_waitcnt lgkmcnt(0)
	v_add_f32_e32 v0, v0, v18
	s_or_b32 exec_lo, exec_lo, s0
	s_and_saveexec_b32 s0, vcc_lo
	s_cbranch_execz .LBB219_1088
.LBB219_1129:
	ds_read_b32 v18, v16 offset:16
	s_waitcnt lgkmcnt(0)
	v_add_f32_e32 v1, v1, v18
	s_or_b32 exec_lo, exec_lo, s0
	s_and_saveexec_b32 s0, vcc_lo
	s_cbranch_execz .LBB219_1089
.LBB219_1130:
	ds_read_b32 v18, v16 offset:32
	s_waitcnt lgkmcnt(0)
	v_add_f32_e32 v2, v2, v18
	s_or_b32 exec_lo, exec_lo, s0
	s_and_saveexec_b32 s0, vcc_lo
	s_cbranch_execz .LBB219_1090
.LBB219_1131:
	ds_read_b32 v18, v16 offset:48
	s_waitcnt lgkmcnt(0)
	v_add_f32_e32 v3, v3, v18
	s_or_b32 exec_lo, exec_lo, s0
	s_and_saveexec_b32 s0, vcc_lo
	s_cbranch_execz .LBB219_1091
.LBB219_1132:
	ds_read_b32 v18, v16 offset:64
	s_waitcnt lgkmcnt(0)
	v_add_f32_e32 v4, v4, v18
	s_or_b32 exec_lo, exec_lo, s0
	s_and_saveexec_b32 s0, vcc_lo
	s_cbranch_execz .LBB219_1092
.LBB219_1133:
	ds_read_b32 v18, v16 offset:80
	s_waitcnt lgkmcnt(0)
	v_add_f32_e32 v5, v5, v18
	s_or_b32 exec_lo, exec_lo, s0
	s_and_saveexec_b32 s0, vcc_lo
	s_cbranch_execz .LBB219_1093
.LBB219_1134:
	ds_read_b32 v18, v16 offset:96
	s_waitcnt lgkmcnt(0)
	v_add_f32_e32 v6, v6, v18
	s_or_b32 exec_lo, exec_lo, s0
	s_and_saveexec_b32 s0, vcc_lo
	s_cbranch_execz .LBB219_1094
.LBB219_1135:
	ds_read_b32 v18, v16 offset:112
	s_waitcnt lgkmcnt(0)
	v_add_f32_e32 v7, v7, v18
	s_or_b32 exec_lo, exec_lo, s0
	s_and_saveexec_b32 s0, vcc_lo
	s_cbranch_execz .LBB219_1095
.LBB219_1136:
	ds_read_b32 v18, v16 offset:128
	s_waitcnt lgkmcnt(0)
	v_add_f32_e32 v8, v8, v18
	s_or_b32 exec_lo, exec_lo, s0
	s_and_saveexec_b32 s0, vcc_lo
	s_cbranch_execz .LBB219_1096
.LBB219_1137:
	ds_read_b32 v18, v16 offset:144
	s_waitcnt lgkmcnt(0)
	v_add_f32_e32 v9, v9, v18
	s_or_b32 exec_lo, exec_lo, s0
	s_and_saveexec_b32 s0, vcc_lo
	s_cbranch_execz .LBB219_1097
.LBB219_1138:
	ds_read_b32 v18, v16 offset:160
	s_waitcnt lgkmcnt(0)
	v_add_f32_e32 v10, v10, v18
	s_or_b32 exec_lo, exec_lo, s0
	s_and_saveexec_b32 s0, vcc_lo
	s_cbranch_execz .LBB219_1098
.LBB219_1139:
	ds_read_b32 v18, v16 offset:176
	s_waitcnt lgkmcnt(0)
	v_add_f32_e32 v11, v11, v18
	s_or_b32 exec_lo, exec_lo, s0
	s_and_saveexec_b32 s0, vcc_lo
	s_cbranch_execz .LBB219_1099
.LBB219_1140:
	ds_read_b32 v18, v16 offset:192
	s_waitcnt lgkmcnt(0)
	v_add_f32_e32 v12, v12, v18
	s_or_b32 exec_lo, exec_lo, s0
	s_and_saveexec_b32 s0, vcc_lo
	s_cbranch_execz .LBB219_1100
.LBB219_1141:
	ds_read_b32 v18, v16 offset:208
	s_waitcnt lgkmcnt(0)
	v_add_f32_e32 v13, v13, v18
	s_or_b32 exec_lo, exec_lo, s0
	s_and_saveexec_b32 s0, vcc_lo
	s_cbranch_execz .LBB219_1101
.LBB219_1142:
	ds_read_b32 v18, v16 offset:224
	s_waitcnt lgkmcnt(0)
	v_add_f32_e32 v14, v14, v18
	s_or_b32 exec_lo, exec_lo, s0
	s_and_saveexec_b32 s0, vcc_lo
	s_cbranch_execnz .LBB219_1102
	s_branch .LBB219_1103
.LBB219_1143:
	ds_read_b32 v17, v16
	s_waitcnt lgkmcnt(0)
	v_add_f32_e32 v0, v0, v17
	s_or_b32 exec_lo, exec_lo, s0
	s_and_saveexec_b32 s0, vcc_lo
	s_cbranch_execz .LBB219_1109
.LBB219_1144:
	ds_read_b32 v17, v16 offset:16
	s_waitcnt lgkmcnt(0)
	v_add_f32_e32 v1, v1, v17
	s_or_b32 exec_lo, exec_lo, s0
	s_and_saveexec_b32 s0, vcc_lo
	s_cbranch_execz .LBB219_1110
.LBB219_1145:
	ds_read_b32 v17, v16 offset:32
	s_waitcnt lgkmcnt(0)
	v_add_f32_e32 v2, v2, v17
	s_or_b32 exec_lo, exec_lo, s0
	s_and_saveexec_b32 s0, vcc_lo
	s_cbranch_execz .LBB219_1111
.LBB219_1146:
	ds_read_b32 v17, v16 offset:48
	s_waitcnt lgkmcnt(0)
	v_add_f32_e32 v3, v3, v17
	s_or_b32 exec_lo, exec_lo, s0
	s_and_saveexec_b32 s0, vcc_lo
	s_cbranch_execz .LBB219_1112
.LBB219_1147:
	ds_read_b32 v17, v16 offset:64
	s_waitcnt lgkmcnt(0)
	v_add_f32_e32 v4, v4, v17
	s_or_b32 exec_lo, exec_lo, s0
	s_and_saveexec_b32 s0, vcc_lo
	s_cbranch_execz .LBB219_1113
.LBB219_1148:
	ds_read_b32 v17, v16 offset:80
	s_waitcnt lgkmcnt(0)
	v_add_f32_e32 v5, v5, v17
	s_or_b32 exec_lo, exec_lo, s0
	s_and_saveexec_b32 s0, vcc_lo
	s_cbranch_execz .LBB219_1114
.LBB219_1149:
	ds_read_b32 v17, v16 offset:96
	s_waitcnt lgkmcnt(0)
	v_add_f32_e32 v6, v6, v17
	s_or_b32 exec_lo, exec_lo, s0
	s_and_saveexec_b32 s0, vcc_lo
	s_cbranch_execz .LBB219_1115
.LBB219_1150:
	ds_read_b32 v17, v16 offset:112
	s_waitcnt lgkmcnt(0)
	v_add_f32_e32 v7, v7, v17
	s_or_b32 exec_lo, exec_lo, s0
	s_and_saveexec_b32 s0, vcc_lo
	s_cbranch_execz .LBB219_1116
.LBB219_1151:
	ds_read_b32 v17, v16 offset:128
	s_waitcnt lgkmcnt(0)
	v_add_f32_e32 v8, v8, v17
	s_or_b32 exec_lo, exec_lo, s0
	s_and_saveexec_b32 s0, vcc_lo
	s_cbranch_execz .LBB219_1117
.LBB219_1152:
	ds_read_b32 v17, v16 offset:144
	s_waitcnt lgkmcnt(0)
	v_add_f32_e32 v9, v9, v17
	s_or_b32 exec_lo, exec_lo, s0
	s_and_saveexec_b32 s0, vcc_lo
	s_cbranch_execz .LBB219_1118
.LBB219_1153:
	ds_read_b32 v17, v16 offset:160
	s_waitcnt lgkmcnt(0)
	v_add_f32_e32 v10, v10, v17
	s_or_b32 exec_lo, exec_lo, s0
	s_and_saveexec_b32 s0, vcc_lo
	s_cbranch_execz .LBB219_1119
.LBB219_1154:
	ds_read_b32 v17, v16 offset:176
	s_waitcnt lgkmcnt(0)
	v_add_f32_e32 v11, v11, v17
	s_or_b32 exec_lo, exec_lo, s0
	s_and_saveexec_b32 s0, vcc_lo
	s_cbranch_execz .LBB219_1120
.LBB219_1155:
	ds_read_b32 v17, v16 offset:192
	s_waitcnt lgkmcnt(0)
	v_add_f32_e32 v12, v12, v17
	s_or_b32 exec_lo, exec_lo, s0
	s_and_saveexec_b32 s0, vcc_lo
	s_cbranch_execz .LBB219_1121
.LBB219_1156:
	ds_read_b32 v17, v16 offset:208
	s_waitcnt lgkmcnt(0)
	v_add_f32_e32 v13, v13, v17
	s_or_b32 exec_lo, exec_lo, s0
	s_and_saveexec_b32 s0, vcc_lo
	s_cbranch_execz .LBB219_1122
.LBB219_1157:
	ds_read_b32 v17, v16 offset:224
	s_waitcnt lgkmcnt(0)
	v_add_f32_e32 v14, v14, v17
	s_or_b32 exec_lo, exec_lo, s0
	s_and_saveexec_b32 s0, vcc_lo
	s_cbranch_execnz .LBB219_1123
	s_branch .LBB219_1124
	.section	.rodata,"a",@progbits
	.p2align	6, 0x0
	.amdhsa_kernel _ZN4vllm25paged_attention_v1_kernelIfhLi64ELi32ELi128ELNS_18Fp8KVCacheDataTypeE1ELb0EEEvPT_PKS2_PKT0_S8_ifPKiSA_iPKfiiiSC_SC_iiiii
		.amdhsa_group_segment_fixed_size 288
		.amdhsa_private_segment_fixed_size 348
		.amdhsa_kernarg_size 384
		.amdhsa_user_sgpr_count 6
		.amdhsa_user_sgpr_private_segment_buffer 1
		.amdhsa_user_sgpr_dispatch_ptr 0
		.amdhsa_user_sgpr_queue_ptr 0
		.amdhsa_user_sgpr_kernarg_segment_ptr 1
		.amdhsa_user_sgpr_dispatch_id 0
		.amdhsa_user_sgpr_flat_scratch_init 0
		.amdhsa_user_sgpr_private_segment_size 0
		.amdhsa_wavefront_size32 1
		.amdhsa_uses_dynamic_stack 0
		.amdhsa_system_sgpr_private_segment_wavefront_offset 1
		.amdhsa_system_sgpr_workgroup_id_x 1
		.amdhsa_system_sgpr_workgroup_id_y 1
		.amdhsa_system_sgpr_workgroup_id_z 1
		.amdhsa_system_sgpr_workgroup_info 0
		.amdhsa_system_vgpr_workitem_id 0
		.amdhsa_next_free_vgpr 128
		.amdhsa_next_free_sgpr 40
		.amdhsa_reserve_vcc 1
		.amdhsa_reserve_flat_scratch 0
		.amdhsa_float_round_mode_32 0
		.amdhsa_float_round_mode_16_64 0
		.amdhsa_float_denorm_mode_32 3
		.amdhsa_float_denorm_mode_16_64 3
		.amdhsa_dx10_clamp 1
		.amdhsa_ieee_mode 1
		.amdhsa_fp16_overflow 0
		.amdhsa_workgroup_processor_mode 1
		.amdhsa_memory_ordered 1
		.amdhsa_forward_progress 1
		.amdhsa_shared_vgpr_count 0
		.amdhsa_exception_fp_ieee_invalid_op 0
		.amdhsa_exception_fp_denorm_src 0
		.amdhsa_exception_fp_ieee_div_zero 0
		.amdhsa_exception_fp_ieee_overflow 0
		.amdhsa_exception_fp_ieee_underflow 0
		.amdhsa_exception_fp_ieee_inexact 0
		.amdhsa_exception_int_div_zero 0
	.end_amdhsa_kernel
	.section	.text._ZN4vllm25paged_attention_v1_kernelIfhLi64ELi32ELi128ELNS_18Fp8KVCacheDataTypeE1ELb0EEEvPT_PKS2_PKT0_S8_ifPKiSA_iPKfiiiSC_SC_iiiii,"axG",@progbits,_ZN4vllm25paged_attention_v1_kernelIfhLi64ELi32ELi128ELNS_18Fp8KVCacheDataTypeE1ELb0EEEvPT_PKS2_PKT0_S8_ifPKiSA_iPKfiiiSC_SC_iiiii,comdat
.Lfunc_end219:
	.size	_ZN4vllm25paged_attention_v1_kernelIfhLi64ELi32ELi128ELNS_18Fp8KVCacheDataTypeE1ELb0EEEvPT_PKS2_PKT0_S8_ifPKiSA_iPKfiiiSC_SC_iiiii, .Lfunc_end219-_ZN4vllm25paged_attention_v1_kernelIfhLi64ELi32ELi128ELNS_18Fp8KVCacheDataTypeE1ELb0EEEvPT_PKS2_PKT0_S8_ifPKiSA_iPKfiiiSC_SC_iiiii
                                        ; -- End function
	.set _ZN4vllm25paged_attention_v1_kernelIfhLi64ELi32ELi128ELNS_18Fp8KVCacheDataTypeE1ELb0EEEvPT_PKS2_PKT0_S8_ifPKiSA_iPKfiiiSC_SC_iiiii.num_vgpr, 128
	.set _ZN4vllm25paged_attention_v1_kernelIfhLi64ELi32ELi128ELNS_18Fp8KVCacheDataTypeE1ELb0EEEvPT_PKS2_PKT0_S8_ifPKiSA_iPKfiiiSC_SC_iiiii.num_agpr, 0
	.set _ZN4vllm25paged_attention_v1_kernelIfhLi64ELi32ELi128ELNS_18Fp8KVCacheDataTypeE1ELb0EEEvPT_PKS2_PKT0_S8_ifPKiSA_iPKfiiiSC_SC_iiiii.numbered_sgpr, 40
	.set _ZN4vllm25paged_attention_v1_kernelIfhLi64ELi32ELi128ELNS_18Fp8KVCacheDataTypeE1ELb0EEEvPT_PKS2_PKT0_S8_ifPKiSA_iPKfiiiSC_SC_iiiii.num_named_barrier, 0
	.set _ZN4vllm25paged_attention_v1_kernelIfhLi64ELi32ELi128ELNS_18Fp8KVCacheDataTypeE1ELb0EEEvPT_PKS2_PKT0_S8_ifPKiSA_iPKfiiiSC_SC_iiiii.private_seg_size, 348
	.set _ZN4vllm25paged_attention_v1_kernelIfhLi64ELi32ELi128ELNS_18Fp8KVCacheDataTypeE1ELb0EEEvPT_PKS2_PKT0_S8_ifPKiSA_iPKfiiiSC_SC_iiiii.uses_vcc, 1
	.set _ZN4vllm25paged_attention_v1_kernelIfhLi64ELi32ELi128ELNS_18Fp8KVCacheDataTypeE1ELb0EEEvPT_PKS2_PKT0_S8_ifPKiSA_iPKfiiiSC_SC_iiiii.uses_flat_scratch, 0
	.set _ZN4vllm25paged_attention_v1_kernelIfhLi64ELi32ELi128ELNS_18Fp8KVCacheDataTypeE1ELb0EEEvPT_PKS2_PKT0_S8_ifPKiSA_iPKfiiiSC_SC_iiiii.has_dyn_sized_stack, 0
	.set _ZN4vllm25paged_attention_v1_kernelIfhLi64ELi32ELi128ELNS_18Fp8KVCacheDataTypeE1ELb0EEEvPT_PKS2_PKT0_S8_ifPKiSA_iPKfiiiSC_SC_iiiii.has_recursion, 0
	.set _ZN4vllm25paged_attention_v1_kernelIfhLi64ELi32ELi128ELNS_18Fp8KVCacheDataTypeE1ELb0EEEvPT_PKS2_PKT0_S8_ifPKiSA_iPKfiiiSC_SC_iiiii.has_indirect_call, 0
	.section	.AMDGPU.csdata,"",@progbits
; Kernel info:
; codeLenInByte = 35744
; TotalNumSgprs: 42
; NumVgprs: 128
; ScratchSize: 348
; MemoryBound: 0
; FloatMode: 240
; IeeeMode: 1
; LDSByteSize: 288 bytes/workgroup (compile time only)
; SGPRBlocks: 0
; VGPRBlocks: 15
; NumSGPRsForWavesPerEU: 42
; NumVGPRsForWavesPerEU: 128
; Occupancy: 8
; WaveLimiterHint : 1
; COMPUTE_PGM_RSRC2:SCRATCH_EN: 1
; COMPUTE_PGM_RSRC2:USER_SGPR: 6
; COMPUTE_PGM_RSRC2:TRAP_HANDLER: 0
; COMPUTE_PGM_RSRC2:TGID_X_EN: 1
; COMPUTE_PGM_RSRC2:TGID_Y_EN: 1
; COMPUTE_PGM_RSRC2:TGID_Z_EN: 1
; COMPUTE_PGM_RSRC2:TIDIG_COMP_CNT: 0
	.text
	.p2align	2                               ; -- Begin function _ZN4vllm22paged_attention_kernelIfhLi80ELi32ELi128ELNS_18Fp8KVCacheDataTypeE1ELb0ELi0EEEvPfS2_PT_PKS3_PKT0_S9_ifPKiSB_iPKfiiiSD_SD_iiiii
	.type	_ZN4vllm22paged_attention_kernelIfhLi80ELi32ELi128ELNS_18Fp8KVCacheDataTypeE1ELb0ELi0EEEvPfS2_PT_PKS3_PKT0_S9_ifPKiSB_iPKfiiiSD_SD_iiiii,@function
_ZN4vllm22paged_attention_kernelIfhLi80ELi32ELi128ELNS_18Fp8KVCacheDataTypeE1ELb0ELi0EEEvPfS2_PT_PKS3_PKT0_S9_ifPKiSB_iPKfiiiSD_SD_iiiii: ; @_ZN4vllm22paged_attention_kernelIfhLi80ELi32ELi128ELNS_18Fp8KVCacheDataTypeE1ELb0ELi0EEEvPfS2_PT_PKS3_PKT0_S9_ifPKiSB_iPKfiiiSD_SD_iiiii
; %bb.0:
	s_waitcnt vmcnt(0) expcnt(0) lgkmcnt(0)
	buffer_store_dword v40, off, s[0:3], s32 offset:188 ; 4-byte Folded Spill
	buffer_store_dword v41, off, s[0:3], s32 offset:184 ; 4-byte Folded Spill
	;; [unrolled: 1-line block ×47, first 2 shown]
	buffer_store_dword v127, off, s[0:3], s32 ; 4-byte Folded Spill
	s_mov_b32 s10, s13
	s_ashr_i32 s11, s13, 31
	buffer_store_dword v20, off, s[0:3], s32 offset:404 ; 4-byte Folded Spill
	buffer_store_dword v21, off, s[0:3], s32 offset:408 ; 4-byte Folded Spill
	;; [unrolled: 1-line block ×4, first 2 shown]
	s_lshl_b64 s[4:5], s[10:11], 2
	buffer_store_dword v1, off, s[0:3], s32 offset:756 ; 4-byte Folded Spill
	buffer_store_dword v0, off, s[0:3], s32 offset:760 ; 4-byte Folded Spill
	v_add_co_u32 v0, vcc_lo, v12, s4
	v_add_co_ci_u32_e64 v1, null, s5, v13, vcc_lo
	s_clause 0x1
	s_load_dword s4, s[8:9], 0x10
	s_load_dword s5, s[8:9], 0x0
	v_mov_b32_e32 v21, v6
	flat_load_dword v28, v[0:1]
	v_sub_nc_u32_e32 v0, 0, v8
	v_mov_b32_e32 v20, v7
	s_mov_b32 s16, s15
	v_max_i32_e32 v0, v8, v0
	v_cvt_f32_u32_e32 v1, v0
	v_sub_nc_u32_e32 v6, 0, v0
	v_rcp_iflag_f32_e32 v1, v1
	s_waitcnt lgkmcnt(0)
	s_lshr_b32 s4, s4, 16
	s_cmp_lg_u32 s4, 0
	s_cselect_b32 s4, -1, 0
	s_cmp_lg_u32 s4, 0
	s_addc_u32 s11, s5, 0
	v_mul_f32_e32 v1, 0x4f7ffffe, v1
	s_abs_i32 s4, s11
	s_mov_b32 s5, exec_lo
	v_cvt_u32_f32_e32 v1, v1
	v_mul_lo_u32 v6, v6, v1
	v_mul_hi_u32 v6, v1, v6
	v_add_nc_u32_e32 v1, v1, v6
	v_mul_hi_u32 v1, s4, v1
	v_mul_lo_u32 v6, v1, v0
	v_add_nc_u32_e32 v7, 1, v1
	v_sub_nc_u32_e32 v6, s4, v6
	s_abs_i32 s4, s12
	v_sub_nc_u32_e32 v9, v6, v0
	v_cmp_ge_u32_e32 vcc_lo, v6, v0
	v_cndmask_b32_e32 v1, v1, v7, vcc_lo
	v_cndmask_b32_e32 v6, v6, v9, vcc_lo
	v_xor_b32_e32 v7, s11, v8
	v_add_nc_u32_e32 v8, 1, v1
	v_cmp_ge_u32_e32 vcc_lo, v6, v0
	v_ashrrev_i32_e32 v7, 31, v7
	v_cndmask_b32_e32 v0, v1, v8, vcc_lo
	v_xor_b32_e32 v0, v0, v7
	v_sub_nc_u32_e32 v7, v0, v7
	v_sub_nc_u32_e32 v0, 0, v7
	v_max_i32_e32 v6, v7, v0
	v_cvt_f32_u32_e32 v0, v6
	v_sub_nc_u32_e32 v1, 0, v6
	v_rcp_iflag_f32_e32 v0, v0
	v_mul_f32_e32 v0, 0x4f7ffffe, v0
	v_cvt_u32_f32_e32 v0, v0
	v_mul_lo_u32 v1, v1, v0
	v_mul_hi_u32 v1, v0, v1
	v_add_nc_u32_e32 v0, v0, v1
	v_mad_u64_u32 v[0:1], null, s4, v0, 0
	v_mov_b32_e32 v0, 0
	buffer_store_dword v0, off, s[0:3], s32 offset:400 ; 4-byte Folded Spill
	v_cmpx_ne_u64_e32 0, v[15:16]
	s_cbranch_execz .LBB220_2
; %bb.1:
	s_ashr_i32 s13, s12, 31
	s_lshl_b64 s[6:7], s[12:13], 2
	v_add_co_u32 v8, vcc_lo, v15, s6
	v_add_co_ci_u32_e64 v9, null, s7, v16, vcc_lo
	flat_load_dword v0, v[8:9]
	s_waitcnt vmcnt(0) lgkmcnt(0)
	buffer_store_dword v0, off, s[0:3], s32 offset:400 ; 4-byte Folded Spill
.LBB220_2:
	s_or_b32 exec_lo, exec_lo, s5
	v_and_b32_e32 v12, 0x3ff, v31
	v_ashrrev_i32_e32 v0, 31, v7
	s_ashr_i32 s5, s12, 31
	s_mulk_i32 s12, 0x50
	s_mov_b32 s6, exec_lo
	v_cmpx_gt_u32_e32 20, v12
	s_cbranch_execz .LBB220_4
; %bb.3:
	v_mul_lo_u32 v7, v17, s10
	s_ashr_i32 s13, s12, 31
	v_lshlrev_b32_e32 v13, 4, v12
	s_lshl_b64 s[18:19], s[12:13], 2
	v_ashrrev_i32_e32 v8, 31, v7
	v_lshlrev_b64 v[7:8], 2, v[7:8]
	v_add_co_u32 v2, vcc_lo, v2, v7
	v_add_co_ci_u32_e64 v3, null, v3, v8, vcc_lo
	v_add_co_u32 v2, vcc_lo, v2, s18
	v_add_co_ci_u32_e64 v3, null, s19, v3, vcc_lo
	;; [unrolled: 2-line block ×3, first 2 shown]
	flat_load_dwordx4 v[15:18], v[2:3]
	s_waitcnt vmcnt(0) lgkmcnt(0)
	ds_write_b128 v13, v[15:18]
.LBB220_4:
	s_or_b32 exec_lo, exec_lo, s6
	v_mul_lo_u32 v2, v1, v6
	v_add_nc_u32_e32 v3, 1, v1
	v_xor_b32_e32 v8, s5, v0
	s_clause 0x1
	s_load_dword s6, s[8:9], 0x14
	s_load_dword s8, s[8:9], 0x8
	v_mul_lo_u32 v0, v14, s10
	v_lshrrev_b32_e32 v9, 3, v12
	v_sub_nc_u32_e32 v2, s4, v2
	v_sub_nc_u32_e32 v7, v2, v6
	v_cmp_ge_u32_e32 vcc_lo, v2, v6
	v_cndmask_b32_e32 v1, v1, v3, vcc_lo
	v_cndmask_b32_e32 v2, v2, v7, vcc_lo
	s_waitcnt vmcnt(0)
	v_add_nc_u32_e32 v7, 31, v28
	v_add_nc_u32_e32 v3, 1, v1
	v_cmp_ge_u32_e32 vcc_lo, v2, v6
	v_ashrrev_i32_e32 v2, 31, v7
	v_mov_b32_e32 v6, 0xff7fffff
	v_cndmask_b32_e32 v1, v1, v3, vcc_lo
	v_lshrrev_b32_e32 v2, 27, v2
	v_xor_b32_e32 v1, v1, v8
	v_add_nc_u32_e32 v2, v7, v2
	v_lshrrev_b32_e32 v7, 5, v12
	v_sub_nc_u32_e32 v3, v1, v8
	v_ashrrev_i32_e32 v1, 31, v0
	v_ashrrev_i32_e32 v2, 5, v2
	v_and_b32_e32 v8, 31, v12
	buffer_store_dword v7, off, s[0:3], s32 offset:748 ; 4-byte Folded Spill
	buffer_store_dword v2, off, s[0:3], s32 offset:192 ; 4-byte Folded Spill
	v_mul_lo_u32 v15, v3, v19
	v_lshlrev_b64 v[13:14], 2, v[0:1]
	v_cmp_ge_i32_e64 s4, v7, v2
	v_lshlrev_b32_e32 v17, 2, v8
	v_cmp_lt_i32_e32 vcc_lo, v7, v2
	s_waitcnt lgkmcnt(0)
	s_waitcnt_vscnt null, 0x0
	s_barrier
	buffer_gl0_inv
	v_ashrrev_i32_e32 v16, 31, v15
	s_mov_b32 s7, exec_lo
	s_and_b32 s5, s7, vcc_lo
	buffer_store_dword v8, off, s[0:3], s32 offset:752 ; 4-byte Folded Spill
	buffer_store_dword v12, off, s[0:3], s32 offset:744 ; 4-byte Folded Spill
	s_mov_b32 exec_lo, s5
	s_cbranch_execz .LBB220_648
; %bb.5:
	v_add_co_u32 v0, vcc_lo, v4, v15
	v_lshlrev_b32_e32 v2, 4, v8
	v_add_co_ci_u32_e64 v1, null, v5, v16, vcc_lo
	v_mov_b32_e32 v73, 0
	buffer_store_dword v21, off, s[0:3], s32 offset:784 ; 4-byte Folded Spill
	buffer_store_dword v20, off, s[0:3], s32 offset:780 ; 4-byte Folded Spill
	;; [unrolled: 1-line block ×5, first 2 shown]
	v_add_co_u32 v0, vcc_lo, v0, v2
	v_add_co_ci_u32_e64 v1, null, 0, v1, vcc_lo
	buffer_store_dword v16, off, s[0:3], s32 offset:804 ; 4-byte Folded Spill
	buffer_store_dword v0, off, s[0:3], s32 offset:416 ; 4-byte Folded Spill
	;; [unrolled: 1-line block ×3, first 2 shown]
	ds_read_b128 v[0:3], v73
	s_getpc_b64 s[18:19]
	s_add_u32 s18, s18, llvm.amdgcn.dynlds.offset.table@rel32@lo+4
	s_addc_u32 s19, s19, llvm.amdgcn.dynlds.offset.table@rel32@hi+12
	s_ashr_i32 s17, s16, 31
	v_mov_b32_e32 v24, 0x80
	s_lshl_b64 s[20:21], s[16:17], 2
	v_mov_b32_e32 v19, 0x7f800001
	s_add_u32 s18, s18, s20
	s_addc_u32 s19, s19, s21
	v_mov_b32_e32 v25, 0xff
	s_load_dword s9, s[18:19], 0x0
	s_waitcnt lgkmcnt(0)
	buffer_store_dword v0, off, s[0:3], s32 offset:424 ; 4-byte Folded Spill
	buffer_store_dword v1, off, s[0:3], s32 offset:428 ; 4-byte Folded Spill
	buffer_store_dword v2, off, s[0:3], s32 offset:432 ; 4-byte Folded Spill
	buffer_store_dword v3, off, s[0:3], s32 offset:436 ; 4-byte Folded Spill
	ds_read_b128 v[0:3], v73 offset:16
	s_waitcnt lgkmcnt(0)
	buffer_store_dword v0, off, s[0:3], s32 offset:440 ; 4-byte Folded Spill
	buffer_store_dword v1, off, s[0:3], s32 offset:444 ; 4-byte Folded Spill
	buffer_store_dword v2, off, s[0:3], s32 offset:448 ; 4-byte Folded Spill
	buffer_store_dword v3, off, s[0:3], s32 offset:452 ; 4-byte Folded Spill
	ds_read_b128 v[0:3], v73 offset:32
	;; [unrolled: 6-line block ×3, first 2 shown]
	s_waitcnt lgkmcnt(0)
	buffer_store_dword v0, off, s[0:3], s32 offset:472 ; 4-byte Folded Spill
	buffer_store_dword v1, off, s[0:3], s32 offset:476 ; 4-byte Folded Spill
	;; [unrolled: 1-line block ×5, first 2 shown]
	ds_read_b128 v[1:4], v73 offset:64
	v_and_b32_e32 v0, 0x7c, v9
	s_waitcnt lgkmcnt(0)
	buffer_store_dword v1, off, s[0:3], s32 offset:488 ; 4-byte Folded Spill
	buffer_store_dword v2, off, s[0:3], s32 offset:492 ; 4-byte Folded Spill
	;; [unrolled: 1-line block ×4, first 2 shown]
	ds_read_b128 v[1:4], v73 offset:80
	v_add_co_u32 v0, s5, v0, v13
	s_waitcnt lgkmcnt(0)
	buffer_store_dword v1, off, s[0:3], s32 offset:504 ; 4-byte Folded Spill
	buffer_store_dword v2, off, s[0:3], s32 offset:508 ; 4-byte Folded Spill
	;; [unrolled: 1-line block ×4, first 2 shown]
	buffer_load_dword v1, off, s[0:3], s32 offset:400 ; 4-byte Folded Reload
	buffer_store_dword v13, off, s[0:3], s32 offset:788 ; 4-byte Folded Spill
	buffer_store_dword v14, off, s[0:3], s32 offset:792 ; 4-byte Folded Spill
	buffer_load_dword v30, off, s[0:3], s32 offset:748 ; 4-byte Folded Reload
	ds_read_b128 v[3:6], v73 offset:96
	buffer_store_dword v17, off, s[0:3], s32 offset:808 ; 4-byte Folded Spill
	s_waitcnt lgkmcnt(0)
	buffer_store_dword v3, off, s[0:3], s32 offset:520 ; 4-byte Folded Spill
	buffer_store_dword v4, off, s[0:3], s32 offset:524 ; 4-byte Folded Spill
	buffer_store_dword v5, off, s[0:3], s32 offset:528 ; 4-byte Folded Spill
	buffer_store_dword v6, off, s[0:3], s32 offset:532 ; 4-byte Folded Spill
	ds_read_b128 v[3:6], v73 offset:112
	s_waitcnt lgkmcnt(0)
	buffer_store_dword v3, off, s[0:3], s32 offset:536 ; 4-byte Folded Spill
	buffer_store_dword v4, off, s[0:3], s32 offset:540 ; 4-byte Folded Spill
	buffer_store_dword v5, off, s[0:3], s32 offset:544 ; 4-byte Folded Spill
	buffer_store_dword v6, off, s[0:3], s32 offset:548 ; 4-byte Folded Spill
	ds_read_b128 v[3:6], v73 offset:128
	;; [unrolled: 6-line block ×13, first 2 shown]
	s_waitcnt lgkmcnt(0)
	buffer_store_dword v3, off, s[0:3], s32 offset:728 ; 4-byte Folded Spill
	buffer_store_dword v4, off, s[0:3], s32 offset:732 ; 4-byte Folded Spill
	;; [unrolled: 1-line block ×5, first 2 shown]
	v_mov_b32_e32 v6, 0xff7fffff
	v_bfrev_b32_e32 v3, 1
	buffer_store_dword v11, off, s[0:3], s32 offset:764 ; 4-byte Folded Spill
	s_waitcnt vmcnt(1)
	v_cmp_neq_f32_e32 vcc_lo, 0, v1
	v_add_co_ci_u32_e64 v1, null, 0, v14, s5
	s_waitcnt vmcnt(0)
	v_lshl_or_b32 v2, v30, 7, v17
	v_add_co_u32 v76, s5, v10, v0
	v_add_co_ci_u32_e64 v77, null, v11, v1, s5
	v_lshl_or_b32 v9, v30, 5, v8
	v_add_nc_u32_e32 v29, s9, v2
	s_mov_b32 s9, 0
	s_branch .LBB220_10
.LBB220_6:                              ;   in Loop: Header=BB220_10 Depth=1
	s_or_b32 exec_lo, exec_lo, s18
	v_mov_b32_e32 v18, 24
	v_lshl_add_u32 v2, v2, 23, 0x3c000000
	v_mov_b32_e32 v74, v73
	v_lshlrev_b32_sdwa v18, v18, v26 dst_sel:DWORD dst_unused:UNUSED_PAD src0_sel:DWORD src1_sel:BYTE_3
	v_lshlrev_b32_e32 v26, 20, v72
	v_and_b32_e32 v18, 0x80000000, v18
	v_or3_b32 v75, v26, v18, v2
.LBB220_7:                              ;   in Loop: Header=BB220_10 Depth=1
	s_or_b32 exec_lo, exec_lo, s17
.LBB220_8:                              ;   in Loop: Header=BB220_10 Depth=1
	s_or_b32 exec_lo, exec_lo, s15
.LBB220_9:                              ;   in Loop: Header=BB220_10 Depth=1
	s_or_b32 exec_lo, exec_lo, s13
	v_or_b32_e32 v26, v91, v63
	v_or_b32_e32 v27, v90, v62
	;; [unrolled: 1-line block ×5, first 2 shown]
	v_mul_f32_e32 v62, v31, v26
	v_or_b32_e32 v26, v20, v104
	v_mul_f32_e32 v63, v31, v27
	v_mul_f32_e32 v20, v31, v21
	v_or_b32_e32 v27, v56, v46
	v_mul_f32_e32 v11, v31, v10
	v_mul_f32_e32 v21, v31, v26
	v_or_b32_e32 v26, v57, v47
	v_or_b32_e32 v10, v79, v15
	v_mul_f32_e32 v57, v31, v27
	v_or_b32_e32 v27, v58, v60
	v_or_b32_e32 v1, v89, v1
	;; [unrolled: 3-line block ×6, first 2 shown]
	v_mul_f32_e32 v118, v31, v26
	v_or_b32_e32 v26, v43, v45
	v_mul_f32_e32 v0, v31, v1
	v_mul_f32_e32 v41, v31, v27
	v_or_b32_e32 v27, v112, v102
	v_or_b32_e32 v1, v125, v8
	v_mul_f32_e32 v119, v31, v26
	v_or_b32_e32 v26, v113, v103
	v_or_b32_e32 v7, v124, v7
	v_mul_f32_e32 v112, v31, v27
	v_or_b32_e32 v27, v114, v116
	v_or_b32_e32 v8, v123, v13
	v_mul_f32_e32 v102, v31, v26
	v_or_b32_e32 v26, v115, v117
	v_mul_f32_e32 v13, v31, v12
	v_mul_f32_e32 v113, v31, v27
	v_or_b32_e32 v27, v96, v86
	v_or_b32_e32 v12, v109, v17
	v_mul_f32_e32 v103, v31, v26
	v_or_b32_e32 v26, v97, v87
	v_or_b32_e32 v16, v108, v16
	v_mul_f32_e32 v96, v31, v27
	v_or_b32_e32 v27, v98, v100
	v_or_b32_e32 v17, v93, v107
	;; [unrolled: 12-line block ×3, first 2 shown]
	v_mul_f32_e32 v70, v31, v26
	v_or_b32_e32 v26, v83, v85
	v_or_b32_e32 v4, v74, v4
	v_mul_f32_e32 v81, v31, v27
	v_or_b32_e32 v27, v64, v54
	v_mul_f32_e32 v2, v31, v2
	v_mul_f32_e32 v71, v31, v26
	v_or_b32_e32 v26, v65, v55
	v_mul_f32_e32 v10, v31, v10
	;; [unrolled: 3-line block ×7, first 2 shown]
	v_mul_f32_e32 v38, v31, v26
	v_or_b32_e32 v26, v51, v53
	s_clause 0x1
	buffer_load_dword v50, off, s[0:3], s32 offset:388
	buffer_load_dword v51, off, s[0:3], s32 offset:392
	v_mul_f32_e32 v49, v31, v27
	v_mul_f32_e32 v12, v31, v12
	;; [unrolled: 1-line block ×8, first 2 shown]
	v_cmp_lt_i32_e64 s5, v9, v28
	v_add_nc_u32_e32 v30, 4, v30
	s_waitcnt vmcnt(1)
	v_or_b32_e32 v27, v32, v50
	s_waitcnt vmcnt(0)
	v_or_b32_e32 v26, v33, v51
	v_mul_f32_e32 v51, v31, v27
	v_mul_f32_e32 v50, v31, v26
	v_or_b32_e32 v26, v35, v37
	v_or_b32_e32 v27, v34, v36
	s_clause 0x3
	buffer_load_dword v32, off, s[0:3], s32 offset:356
	buffer_load_dword v33, off, s[0:3], s32 offset:360
	buffer_load_dword v34, off, s[0:3], s32 offset:364
	buffer_load_dword v35, off, s[0:3], s32 offset:368
	v_mul_f32_e32 v36, v31, v26
	v_mul_f32_e32 v37, v31, v27
	s_waitcnt vmcnt(1)
	v_or_b32_e32 v27, v34, v32
	s_waitcnt vmcnt(0)
	v_or_b32_e32 v26, v35, v33
	s_clause 0x3
	buffer_load_dword v32, off, s[0:3], s32 offset:372
	buffer_load_dword v33, off, s[0:3], s32 offset:376
	buffer_load_dword v34, off, s[0:3], s32 offset:380
	buffer_load_dword v35, off, s[0:3], s32 offset:384
	v_mul_f32_e32 v66, v31, v27
	v_mul_f32_e32 v52, v31, v26
	s_waitcnt vmcnt(1)
	v_or_b32_e32 v27, v32, v34
	s_waitcnt vmcnt(0)
	;; [unrolled: 11-line block ×8, first 2 shown]
	v_or_b32_e32 v26, v33, v35
	s_clause 0x7
	buffer_load_dword v32, off, s[0:3], s32 offset:228
	buffer_load_dword v33, off, s[0:3], s32 offset:232
	;; [unrolled: 1-line block ×8, first 2 shown]
	v_mul_f32_e32 v115, v31, v27
	v_mul_f32_e32 v114, v31, v26
	s_waitcnt vmcnt(5)
	v_or_b32_e32 v27, v34, v32
	s_waitcnt vmcnt(4)
	v_or_b32_e32 v26, v35, v33
	v_or_b32_e32 v32, v126, v110
	v_mul_f32_e32 v34, v31, v27
	v_mul_f32_e32 v33, v31, v26
	s_waitcnt vmcnt(0)
	v_or_b32_e32 v26, v117, v43
	v_or_b32_e32 v27, v116, v42
	s_clause 0x3
	buffer_load_dword v42, off, s[0:3], s32 offset:196
	buffer_load_dword v43, off, s[0:3], s32 offset:200
	;; [unrolled: 1-line block ×4, first 2 shown]
	v_mul_f32_e32 v32, v31, v32
	v_mul_f32_e32 v35, v31, v26
	;; [unrolled: 1-line block ×3, first 2 shown]
	s_waitcnt vmcnt(1)
	v_or_b32_e32 v27, v44, v42
	s_waitcnt vmcnt(0)
	v_or_b32_e32 v26, v45, v43
	s_clause 0x3
	buffer_load_dword v43, off, s[0:3], s32 offset:212
	buffer_load_dword v44, off, s[0:3], s32 offset:216
	;; [unrolled: 1-line block ×4, first 2 shown]
	v_mul_f32_e32 v42, v31, v27
	v_mul_f32_e32 v117, v31, v26
	s_waitcnt vmcnt(1)
	v_or_b32_e32 v27, v43, v58
	s_waitcnt vmcnt(0)
	v_or_b32_e32 v26, v44, v59
	v_mul_f32_e32 v44, v31, v27
	s_clause 0x8
	buffer_load_dword v27, off, s[0:3], s32 offset:400
	buffer_load_dword v88, off, s[0:3], s32 offset:440
	;; [unrolled: 1-line block ×9, first 2 shown]
	v_mul_f32_e32 v43, v31, v26
	v_sub_nc_u32_e32 v26, 1, v28
	v_add_nc_u32_e32 v26, v26, v9
	v_add_nc_u32_e32 v9, 0x80, v9
	v_cvt_f32_i32_e32 v26, v26
	s_waitcnt vmcnt(6)
	v_mul_f32_e32 v33, v89, v33
	v_mul_f32_e32 v45, v27, v26
	v_or_b32_e32 v26, v127, v111
	s_waitcnt vmcnt(4)
	v_mul_f32_e32 v35, v91, v35
	s_waitcnt vmcnt(2)
	v_fmac_f32_e32 v33, v59, v117
	v_mul_f32_e32 v27, v31, v26
	v_mul_f32_e32 v26, v31, v4
	;; [unrolled: 1-line block ×4, first 2 shown]
	v_cndmask_b32_e32 v4, 0, v45, vcc_lo
	s_waitcnt vmcnt(0)
	v_fmac_f32_e32 v35, v61, v43
	v_fmac_f32_e32 v31, v58, v42
	;; [unrolled: 1-line block ×3, first 2 shown]
	s_clause 0x3
	buffer_load_dword v42, off, s[0:3], s32 offset:456
	buffer_load_dword v43, off, s[0:3], s32 offset:460
	;; [unrolled: 1-line block ×4, first 2 shown]
	s_waitcnt vmcnt(3)
	v_fmac_f32_e32 v31, v42, v101
	s_waitcnt vmcnt(2)
	v_fmac_f32_e32 v33, v43, v100
	;; [unrolled: 2-line block ×4, first 2 shown]
	s_clause 0x3
	buffer_load_dword v114, off, s[0:3], s32 offset:472
	buffer_load_dword v115, off, s[0:3], s32 offset:476
	;; [unrolled: 1-line block ×4, first 2 shown]
	s_waitcnt vmcnt(3)
	v_fmac_f32_e32 v31, v114, v85
	s_waitcnt vmcnt(2)
	v_fmac_f32_e32 v33, v115, v84
	;; [unrolled: 2-line block ×4, first 2 shown]
	s_clause 0x3
	buffer_load_dword v98, off, s[0:3], s32 offset:488
	buffer_load_dword v99, off, s[0:3], s32 offset:492
	;; [unrolled: 1-line block ×4, first 2 shown]
	s_waitcnt vmcnt(3)
	v_fmac_f32_e32 v31, v98, v82
	s_waitcnt vmcnt(2)
	v_fmac_f32_e32 v33, v99, v68
	;; [unrolled: 2-line block ×3, first 2 shown]
	s_clause 0x3
	buffer_load_dword v82, off, s[0:3], s32 offset:504
	buffer_load_dword v83, off, s[0:3], s32 offset:508
	;; [unrolled: 1-line block ×4, first 2 shown]
	s_waitcnt vmcnt(4)
	v_fmac_f32_e32 v35, v101, v69
	s_waitcnt vmcnt(3)
	v_fmac_f32_e32 v31, v82, v66
	;; [unrolled: 2-line block ×4, first 2 shown]
	s_clause 0x3
	buffer_load_dword v66, off, s[0:3], s32 offset:520
	buffer_load_dword v67, off, s[0:3], s32 offset:524
	;; [unrolled: 1-line block ×4, first 2 shown]
	s_waitcnt vmcnt(4)
	v_fmac_f32_e32 v35, v85, v53
	s_waitcnt vmcnt(3)
	v_fmac_f32_e32 v31, v66, v51
	;; [unrolled: 2-line block ×3, first 2 shown]
	s_clause 0x3
	buffer_load_dword v50, off, s[0:3], s32 offset:536
	buffer_load_dword v51, off, s[0:3], s32 offset:540
	;; [unrolled: 1-line block ×4, first 2 shown]
	s_waitcnt vmcnt(4)
	v_fmac_f32_e32 v35, v69, v36
	v_fmac_f32_e32 v34, v68, v37
	s_waitcnt vmcnt(3)
	v_fmac_f32_e32 v31, v50, v48
	s_waitcnt vmcnt(2)
	;; [unrolled: 2-line block ×4, first 2 shown]
	v_fmac_f32_e32 v35, v53, v39
	s_clause 0x3
	buffer_load_dword v36, off, s[0:3], s32 offset:552
	buffer_load_dword v37, off, s[0:3], s32 offset:556
	buffer_load_dword v38, off, s[0:3], s32 offset:560
	buffer_load_dword v39, off, s[0:3], s32 offset:564
	s_waitcnt vmcnt(3)
	v_fmac_f32_e32 v31, v36, v64
	s_waitcnt vmcnt(2)
	v_fmac_f32_e32 v33, v37, v54
	s_waitcnt vmcnt(1)
	v_fmac_f32_e32 v34, v38, v65
	s_waitcnt vmcnt(0)
	v_fmac_f32_e32 v35, v39, v55
	s_clause 0x3
	buffer_load_dword v36, off, s[0:3], s32 offset:568
	buffer_load_dword v37, off, s[0:3], s32 offset:572
	buffer_load_dword v38, off, s[0:3], s32 offset:576
	buffer_load_dword v39, off, s[0:3], s32 offset:580
	s_waitcnt vmcnt(3)
	v_fmac_f32_e32 v31, v36, v80
	s_waitcnt vmcnt(2)
	v_fmac_f32_e32 v33, v37, v70
	s_waitcnt vmcnt(1)
	v_fmac_f32_e32 v34, v38, v81
	s_waitcnt vmcnt(0)
	;; [unrolled: 13-line block ×7, first 2 shown]
	v_fmac_f32_e32 v35, v39, v20
	s_clause 0x3
	buffer_load_dword v36, off, s[0:3], s32 offset:664
	buffer_load_dword v37, off, s[0:3], s32 offset:668
	;; [unrolled: 1-line block ×4, first 2 shown]
	s_waitcnt vmcnt(3)
	v_fmac_f32_e32 v31, v36, v22
	s_waitcnt vmcnt(2)
	v_fmac_f32_e32 v33, v37, v17
	;; [unrolled: 2-line block ×3, first 2 shown]
	s_clause 0x3
	buffer_load_dword v20, off, s[0:3], s32 offset:680
	buffer_load_dword v21, off, s[0:3], s32 offset:684
	;; [unrolled: 1-line block ×4, first 2 shown]
	s_waitcnt vmcnt(4)
	v_fmac_f32_e32 v35, v39, v18
	s_waitcnt vmcnt(3)
	v_fmac_f32_e32 v31, v20, v13
	;; [unrolled: 2-line block ×5, first 2 shown]
	s_clause 0x3
	buffer_load_dword v20, off, s[0:3], s32 offset:696
	buffer_load_dword v21, off, s[0:3], s32 offset:700
	buffer_load_dword v22, off, s[0:3], s32 offset:704
	buffer_load_dword v23, off, s[0:3], s32 offset:708
	s_waitcnt vmcnt(3)
	v_fmac_f32_e32 v31, v20, v15
	s_clause 0x3
	buffer_load_dword v15, off, s[0:3], s32 offset:712
	buffer_load_dword v16, off, s[0:3], s32 offset:716
	buffer_load_dword v17, off, s[0:3], s32 offset:720
	buffer_load_dword v18, off, s[0:3], s32 offset:724
	s_waitcnt vmcnt(6)
	v_fmac_f32_e32 v33, v21, v0
	s_waitcnt vmcnt(4)
	v_fmac_f32_e32 v35, v23, v1
	v_fmac_f32_e32 v34, v22, v7
	s_waitcnt vmcnt(3)
	v_fmac_f32_e32 v31, v15, v11
	s_waitcnt vmcnt(2)
	;; [unrolled: 2-line block ×4, first 2 shown]
	v_fmac_f32_e32 v35, v18, v10
	s_clause 0x4
	buffer_load_dword v10, off, s[0:3], s32 offset:728
	buffer_load_dword v11, off, s[0:3], s32 offset:732
	;; [unrolled: 1-line block ×5, first 2 shown]
	s_waitcnt vmcnt(4)
	v_fmac_f32_e32 v31, v10, v32
	s_waitcnt vmcnt(3)
	v_fmac_f32_e32 v33, v11, v27
	;; [unrolled: 2-line block ×4, first 2 shown]
	v_add_f32_e32 v0, v31, v33
	v_add_f32_e32 v0, v34, v0
	;; [unrolled: 1-line block ×3, first 2 shown]
	s_waitcnt vmcnt(0)
	v_fmac_f32_e32 v4, v1, v0
	v_cndmask_b32_e64 v0, 0, v4, s5
	ds_write_b32 v29, v0
	v_max_f32_e32 v0, v6, v6
	v_add_nc_u32_e32 v29, 0x200, v29
	v_max_f32_e32 v0, v0, v4
	v_cndmask_b32_e64 v6, v6, v0, s5
	buffer_load_dword v0, off, s[0:3], s32 offset:192 ; 4-byte Folded Reload
	v_add_co_u32 v76, s5, v76, 16
	v_add_co_ci_u32_e64 v77, null, 0, v77, s5
	s_waitcnt vmcnt(0)
	v_cmp_ge_i32_e64 s5, v30, v0
	s_or_b32 s9, s5, s9
	s_andn2_b32 exec_lo, exec_lo, s9
	s_cbranch_execz .LBB220_647
.LBB220_10:                             ; =>This Inner Loop Header: Depth=1
	flat_load_dword v0, v[76:77]
	s_clause 0x2
	buffer_load_dword v1, off, s[0:3], s32 offset:396
	buffer_load_dword v4, off, s[0:3], s32 offset:416
	;; [unrolled: 1-line block ×3, first 2 shown]
	s_waitcnt vmcnt(0) lgkmcnt(0)
	v_mad_i64_i32 v[12:13], null, v0, v1, v[4:5]
	flat_load_dword v0, v[12:13]
	s_clause 0x1
	buffer_load_dword v1, off, s[0:3], s32 offset:404
	buffer_load_dword v2, off, s[0:3], s32 offset:408
	s_waitcnt vmcnt(2) lgkmcnt(0)
	v_cmp_ne_u16_sdwa s5, v0, v73 src0_sel:BYTE_0 src1_sel:DWORD
	s_waitcnt vmcnt(0)
	flat_load_dword v31, v[1:2]
	v_mov_b32_e32 v1, 0
	v_mov_b32_e32 v2, 0
	buffer_store_dword v1, off, s[0:3], s32 offset:204 ; 4-byte Folded Spill
	buffer_store_dword v2, off, s[0:3], s32 offset:208 ; 4-byte Folded Spill
	v_mov_b32_e32 v1, 0
	v_mov_b32_e32 v2, 0
	buffer_store_dword v1, off, s[0:3], s32 offset:196 ; 4-byte Folded Spill
	buffer_store_dword v2, off, s[0:3], s32 offset:200 ; 4-byte Folded Spill
	s_and_saveexec_b32 s13, s5
	s_cbranch_execz .LBB220_18
; %bb.11:                               ;   in Loop: Header=BB220_10 Depth=1
	v_bfrev_b32_e32 v1, 1
	v_mov_b32_e32 v2, 0
	v_cmp_ne_u16_sdwa s5, v0, v24 src0_sel:BYTE_0 src1_sel:DWORD
	buffer_store_dword v1, off, s[0:3], s32 offset:196 ; 4-byte Folded Spill
	buffer_store_dword v2, off, s[0:3], s32 offset:200 ; 4-byte Folded Spill
	s_and_saveexec_b32 s15, s5
	s_cbranch_execz .LBB220_17
; %bb.12:                               ;   in Loop: Header=BB220_10 Depth=1
	v_mov_b32_e32 v4, 0x7f800001
	v_and_b32_e32 v2, 0x7f, v0
	v_mov_b32_e32 v5, 0
	s_mov_b32 s17, exec_lo
	buffer_store_dword v4, off, s[0:3], s32 offset:196 ; 4-byte Folded Spill
	buffer_store_dword v5, off, s[0:3], s32 offset:200 ; 4-byte Folded Spill
	v_cmpx_ne_u32_e32 0x7f, v2
	s_cbranch_execz .LBB220_16
; %bb.13:                               ;   in Loop: Header=BB220_10 Depth=1
	v_and_b32_e32 v72, 7, v0
	v_lshrrev_b32_e32 v1, 3, v2
	s_mov_b32 s18, exec_lo
	v_cmpx_gt_u32_e32 8, v2
; %bb.14:                               ;   in Loop: Header=BB220_10 Depth=1
	v_ffbh_u32_e32 v1, v72
	v_min_u32_e32 v1, 32, v1
	v_subrev_nc_u32_e32 v2, 28, v1
	v_sub_nc_u32_e32 v1, 29, v1
	v_lshlrev_b64 v[4:5], v2, v[72:73]
	v_and_b32_e32 v72, 7, v4
; %bb.15:                               ;   in Loop: Header=BB220_10 Depth=1
	s_or_b32 exec_lo, exec_lo, s18
	v_lshlrev_b32_e32 v2, 24, v0
	v_lshlrev_b32_e32 v4, 20, v72
	v_lshl_add_u32 v1, v1, 23, 0x3c000000
	v_and_b32_e32 v2, 0x80000000, v2
	v_or3_b32 v72, v4, v2, v1
	buffer_store_dword v72, off, s[0:3], s32 offset:196 ; 4-byte Folded Spill
	buffer_store_dword v73, off, s[0:3], s32 offset:200 ; 4-byte Folded Spill
.LBB220_16:                             ;   in Loop: Header=BB220_10 Depth=1
	s_or_b32 exec_lo, exec_lo, s17
.LBB220_17:                             ;   in Loop: Header=BB220_10 Depth=1
	s_or_b32 exec_lo, exec_lo, s15
.LBB220_18:                             ;   in Loop: Header=BB220_10 Depth=1
	s_or_b32 exec_lo, exec_lo, s13
	v_cmp_ne_u16_sdwa s5, v0, v73 src0_sel:BYTE_1 src1_sel:DWORD
	s_and_saveexec_b32 s13, s5
	s_cbranch_execz .LBB220_26
; %bb.19:                               ;   in Loop: Header=BB220_10 Depth=1
	v_mov_b32_e32 v2, v73
	v_cmp_ne_u16_sdwa s5, v0, v24 src0_sel:BYTE_1 src1_sel:DWORD
	buffer_store_dword v2, off, s[0:3], s32 offset:204 ; 4-byte Folded Spill
	buffer_store_dword v3, off, s[0:3], s32 offset:208 ; 4-byte Folded Spill
	s_and_saveexec_b32 s15, s5
	s_cbranch_execz .LBB220_25
; %bb.20:                               ;   in Loop: Header=BB220_10 Depth=1
	v_mov_b32_e32 v1, 0xffff
	v_mov_b32_e32 v18, v73
	s_mov_b32 s17, exec_lo
	buffer_store_dword v18, off, s[0:3], s32 offset:204 ; 4-byte Folded Spill
	buffer_store_dword v19, off, s[0:3], s32 offset:208 ; 4-byte Folded Spill
	v_and_b32_sdwa v1, v1, v0 dst_sel:DWORD dst_unused:UNUSED_PAD src0_sel:DWORD src1_sel:BYTE_1
	v_and_b32_e32 v2, 0x7f, v1
	v_cmpx_ne_u32_e32 0x7f, v2
	s_cbranch_execz .LBB220_24
; %bb.21:                               ;   in Loop: Header=BB220_10 Depth=1
	v_and_b32_e32 v72, 7, v1
	v_lshrrev_b32_e32 v1, 3, v2
	s_mov_b32 s18, exec_lo
	v_cmpx_gt_u32_e32 8, v2
; %bb.22:                               ;   in Loop: Header=BB220_10 Depth=1
	v_ffbh_u32_e32 v1, v72
	v_min_u32_e32 v1, 32, v1
	v_subrev_nc_u32_e32 v2, 28, v1
	v_sub_nc_u32_e32 v1, 29, v1
	v_lshlrev_b64 v[4:5], v2, v[72:73]
	v_and_b32_e32 v72, 7, v4
; %bb.23:                               ;   in Loop: Header=BB220_10 Depth=1
	s_or_b32 exec_lo, exec_lo, s18
	v_lshlrev_b32_e32 v2, 16, v0
	v_lshlrev_b32_e32 v4, 20, v72
	v_lshl_add_u32 v1, v1, 23, 0x3c000000
	v_and_b32_e32 v2, 0x80000000, v2
	v_or3_b32 v2, v4, v2, v1
	v_mov_b32_e32 v1, v73
	buffer_store_dword v1, off, s[0:3], s32 offset:204 ; 4-byte Folded Spill
	buffer_store_dword v2, off, s[0:3], s32 offset:208 ; 4-byte Folded Spill
.LBB220_24:                             ;   in Loop: Header=BB220_10 Depth=1
	s_or_b32 exec_lo, exec_lo, s17
.LBB220_25:                             ;   in Loop: Header=BB220_10 Depth=1
	s_or_b32 exec_lo, exec_lo, s15
.LBB220_26:                             ;   in Loop: Header=BB220_10 Depth=1
	s_or_b32 exec_lo, exec_lo, s13
	v_mov_b32_e32 v4, 0
	v_mov_b32_e32 v5, 0
	v_and_b32_sdwa v1, v0, v25 dst_sel:DWORD dst_unused:UNUSED_PAD src0_sel:WORD_1 src1_sel:DWORD
	s_mov_b32 s13, exec_lo
	buffer_store_dword v4, off, s[0:3], s32 offset:212 ; 4-byte Folded Spill
	buffer_store_dword v5, off, s[0:3], s32 offset:216 ; 4-byte Folded Spill
	v_mov_b32_e32 v4, 0
	v_mov_b32_e32 v5, 0
	buffer_store_dword v4, off, s[0:3], s32 offset:220 ; 4-byte Folded Spill
	buffer_store_dword v5, off, s[0:3], s32 offset:224 ; 4-byte Folded Spill
	v_cmpx_ne_u16_e32 0, v1
	s_cbranch_execz .LBB220_34
; %bb.27:                               ;   in Loop: Header=BB220_10 Depth=1
	v_cmp_ne_u16_e64 s5, 0x80, v1
	v_bfrev_b32_e32 v1, 1
	v_mov_b32_e32 v2, 0
	buffer_store_dword v1, off, s[0:3], s32 offset:220 ; 4-byte Folded Spill
	buffer_store_dword v2, off, s[0:3], s32 offset:224 ; 4-byte Folded Spill
	s_and_saveexec_b32 s15, s5
	s_cbranch_execz .LBB220_33
; %bb.28:                               ;   in Loop: Header=BB220_10 Depth=1
	v_mov_b32_e32 v4, 0x7f800001
	v_bfe_u32 v2, v0, 16, 7
	v_mov_b32_e32 v5, 0
	s_mov_b32 s17, exec_lo
	buffer_store_dword v4, off, s[0:3], s32 offset:220 ; 4-byte Folded Spill
	buffer_store_dword v5, off, s[0:3], s32 offset:224 ; 4-byte Folded Spill
	v_cmpx_ne_u32_e32 0x7f, v2
	s_cbranch_execz .LBB220_32
; %bb.29:                               ;   in Loop: Header=BB220_10 Depth=1
	v_mov_b32_e32 v1, 7
	s_mov_b32 s18, exec_lo
	v_and_b32_sdwa v72, v0, v1 dst_sel:DWORD dst_unused:UNUSED_PAD src0_sel:WORD_1 src1_sel:DWORD
	v_lshrrev_b32_e32 v1, 3, v2
	v_cmpx_gt_u32_e32 8, v2
; %bb.30:                               ;   in Loop: Header=BB220_10 Depth=1
	v_ffbh_u32_e32 v1, v72
	v_min_u32_e32 v1, 32, v1
	v_subrev_nc_u32_e32 v2, 28, v1
	v_sub_nc_u32_e32 v1, 29, v1
	v_lshlrev_b64 v[4:5], v2, v[72:73]
	v_and_b32_e32 v72, 7, v4
; %bb.31:                               ;   in Loop: Header=BB220_10 Depth=1
	s_or_b32 exec_lo, exec_lo, s18
	v_mov_b32_e32 v2, 24
	v_lshlrev_b32_e32 v4, 20, v72
	v_lshl_add_u32 v1, v1, 23, 0x3c000000
	v_lshlrev_b32_sdwa v2, v2, v0 dst_sel:DWORD dst_unused:UNUSED_PAD src0_sel:DWORD src1_sel:WORD_1
	v_and_b32_e32 v2, 0x80000000, v2
	v_or3_b32 v72, v4, v2, v1
	buffer_store_dword v72, off, s[0:3], s32 offset:220 ; 4-byte Folded Spill
	buffer_store_dword v73, off, s[0:3], s32 offset:224 ; 4-byte Folded Spill
.LBB220_32:                             ;   in Loop: Header=BB220_10 Depth=1
	s_or_b32 exec_lo, exec_lo, s17
.LBB220_33:                             ;   in Loop: Header=BB220_10 Depth=1
	s_or_b32 exec_lo, exec_lo, s15
.LBB220_34:                             ;   in Loop: Header=BB220_10 Depth=1
	s_or_b32 exec_lo, exec_lo, s13
	s_mov_b32 s13, exec_lo
	v_cmpx_lt_u32_e32 0xffffff, v0
	s_cbranch_execz .LBB220_42
; %bb.35:                               ;   in Loop: Header=BB220_10 Depth=1
	v_mov_b32_e32 v2, v73
	v_cmp_ne_u32_sdwa s5, v0, v24 src0_sel:BYTE_3 src1_sel:DWORD
	buffer_store_dword v2, off, s[0:3], s32 offset:212 ; 4-byte Folded Spill
	buffer_store_dword v3, off, s[0:3], s32 offset:216 ; 4-byte Folded Spill
	s_and_saveexec_b32 s15, s5
	s_cbranch_execz .LBB220_41
; %bb.36:                               ;   in Loop: Header=BB220_10 Depth=1
	v_bfe_u32 v2, v0, 24, 7
	v_mov_b32_e32 v18, v73
	s_mov_b32 s17, exec_lo
	buffer_store_dword v18, off, s[0:3], s32 offset:212 ; 4-byte Folded Spill
	buffer_store_dword v19, off, s[0:3], s32 offset:216 ; 4-byte Folded Spill
	v_cmpx_ne_u32_e32 0x7f, v2
	s_cbranch_execz .LBB220_40
; %bb.37:                               ;   in Loop: Header=BB220_10 Depth=1
	v_mov_b32_e32 v1, 7
	s_mov_b32 s18, exec_lo
	v_and_b32_sdwa v72, v0, v1 dst_sel:DWORD dst_unused:UNUSED_PAD src0_sel:BYTE_3 src1_sel:DWORD
	v_lshrrev_b32_e32 v1, 3, v2
	v_cmpx_gt_u32_e32 8, v2
; %bb.38:                               ;   in Loop: Header=BB220_10 Depth=1
	v_ffbh_u32_e32 v1, v72
	v_min_u32_e32 v1, 32, v1
	v_subrev_nc_u32_e32 v2, 28, v1
	v_sub_nc_u32_e32 v1, 29, v1
	v_lshlrev_b64 v[4:5], v2, v[72:73]
	v_and_b32_e32 v72, 7, v4
; %bb.39:                               ;   in Loop: Header=BB220_10 Depth=1
	s_or_b32 exec_lo, exec_lo, s18
	v_mov_b32_e32 v2, 24
	v_lshl_add_u32 v1, v1, 23, 0x3c000000
	v_lshlrev_b32_sdwa v0, v2, v0 dst_sel:DWORD dst_unused:UNUSED_PAD src0_sel:DWORD src1_sel:BYTE_3
	v_lshlrev_b32_e32 v2, 20, v72
	v_and_b32_e32 v0, 0x80000000, v0
	v_or3_b32 v1, v2, v0, v1
	v_mov_b32_e32 v0, v73
	buffer_store_dword v0, off, s[0:3], s32 offset:212 ; 4-byte Folded Spill
	buffer_store_dword v1, off, s[0:3], s32 offset:216 ; 4-byte Folded Spill
.LBB220_40:                             ;   in Loop: Header=BB220_10 Depth=1
	s_or_b32 exec_lo, exec_lo, s17
.LBB220_41:                             ;   in Loop: Header=BB220_10 Depth=1
	s_or_b32 exec_lo, exec_lo, s15
.LBB220_42:                             ;   in Loop: Header=BB220_10 Depth=1
	s_or_b32 exec_lo, exec_lo, s13
	flat_load_dword v0, v[12:13] offset:4
	v_mov_b32_e32 v1, 0
	v_mov_b32_e32 v2, 0
	buffer_store_dword v1, off, s[0:3], s32 offset:236 ; 4-byte Folded Spill
	buffer_store_dword v2, off, s[0:3], s32 offset:240 ; 4-byte Folded Spill
	v_mov_b32_e32 v1, 0
	v_mov_b32_e32 v2, 0
	buffer_store_dword v1, off, s[0:3], s32 offset:228 ; 4-byte Folded Spill
	buffer_store_dword v2, off, s[0:3], s32 offset:232 ; 4-byte Folded Spill
	s_waitcnt vmcnt(0) lgkmcnt(0)
	v_cmp_ne_u16_sdwa s5, v0, v73 src0_sel:BYTE_0 src1_sel:DWORD
	s_and_saveexec_b32 s13, s5
	s_cbranch_execz .LBB220_50
; %bb.43:                               ;   in Loop: Header=BB220_10 Depth=1
	v_bfrev_b32_e32 v1, 1
	v_mov_b32_e32 v2, 0
	v_cmp_ne_u16_sdwa s5, v0, v24 src0_sel:BYTE_0 src1_sel:DWORD
	buffer_store_dword v1, off, s[0:3], s32 offset:228 ; 4-byte Folded Spill
	buffer_store_dword v2, off, s[0:3], s32 offset:232 ; 4-byte Folded Spill
	s_and_saveexec_b32 s15, s5
	s_cbranch_execz .LBB220_49
; %bb.44:                               ;   in Loop: Header=BB220_10 Depth=1
	v_mov_b32_e32 v4, 0x7f800001
	v_and_b32_e32 v2, 0x7f, v0
	v_mov_b32_e32 v5, 0
	s_mov_b32 s17, exec_lo
	buffer_store_dword v4, off, s[0:3], s32 offset:228 ; 4-byte Folded Spill
	buffer_store_dword v5, off, s[0:3], s32 offset:232 ; 4-byte Folded Spill
	v_cmpx_ne_u32_e32 0x7f, v2
	s_cbranch_execz .LBB220_48
; %bb.45:                               ;   in Loop: Header=BB220_10 Depth=1
	v_and_b32_e32 v72, 7, v0
	v_lshrrev_b32_e32 v1, 3, v2
	s_mov_b32 s18, exec_lo
	v_cmpx_gt_u32_e32 8, v2
; %bb.46:                               ;   in Loop: Header=BB220_10 Depth=1
	v_ffbh_u32_e32 v1, v72
	v_min_u32_e32 v1, 32, v1
	v_subrev_nc_u32_e32 v2, 28, v1
	v_sub_nc_u32_e32 v1, 29, v1
	v_lshlrev_b64 v[4:5], v2, v[72:73]
	v_and_b32_e32 v72, 7, v4
; %bb.47:                               ;   in Loop: Header=BB220_10 Depth=1
	s_or_b32 exec_lo, exec_lo, s18
	v_lshlrev_b32_e32 v2, 24, v0
	v_lshlrev_b32_e32 v4, 20, v72
	v_lshl_add_u32 v1, v1, 23, 0x3c000000
	v_and_b32_e32 v2, 0x80000000, v2
	v_or3_b32 v72, v4, v2, v1
	buffer_store_dword v72, off, s[0:3], s32 offset:228 ; 4-byte Folded Spill
	buffer_store_dword v73, off, s[0:3], s32 offset:232 ; 4-byte Folded Spill
.LBB220_48:                             ;   in Loop: Header=BB220_10 Depth=1
	s_or_b32 exec_lo, exec_lo, s17
.LBB220_49:                             ;   in Loop: Header=BB220_10 Depth=1
	s_or_b32 exec_lo, exec_lo, s15
.LBB220_50:                             ;   in Loop: Header=BB220_10 Depth=1
	s_or_b32 exec_lo, exec_lo, s13
	v_cmp_ne_u16_sdwa s5, v0, v73 src0_sel:BYTE_1 src1_sel:DWORD
	s_and_saveexec_b32 s13, s5
	s_cbranch_execz .LBB220_58
; %bb.51:                               ;   in Loop: Header=BB220_10 Depth=1
	v_mov_b32_e32 v2, v73
	v_cmp_ne_u16_sdwa s5, v0, v24 src0_sel:BYTE_1 src1_sel:DWORD
	buffer_store_dword v2, off, s[0:3], s32 offset:236 ; 4-byte Folded Spill
	buffer_store_dword v3, off, s[0:3], s32 offset:240 ; 4-byte Folded Spill
	s_and_saveexec_b32 s15, s5
	s_cbranch_execz .LBB220_57
; %bb.52:                               ;   in Loop: Header=BB220_10 Depth=1
	v_mov_b32_e32 v1, 0xffff
	v_mov_b32_e32 v18, v73
	s_mov_b32 s17, exec_lo
	buffer_store_dword v18, off, s[0:3], s32 offset:236 ; 4-byte Folded Spill
	buffer_store_dword v19, off, s[0:3], s32 offset:240 ; 4-byte Folded Spill
	v_and_b32_sdwa v1, v1, v0 dst_sel:DWORD dst_unused:UNUSED_PAD src0_sel:DWORD src1_sel:BYTE_1
	v_and_b32_e32 v2, 0x7f, v1
	v_cmpx_ne_u32_e32 0x7f, v2
	s_cbranch_execz .LBB220_56
; %bb.53:                               ;   in Loop: Header=BB220_10 Depth=1
	v_and_b32_e32 v72, 7, v1
	v_lshrrev_b32_e32 v1, 3, v2
	s_mov_b32 s18, exec_lo
	v_cmpx_gt_u32_e32 8, v2
; %bb.54:                               ;   in Loop: Header=BB220_10 Depth=1
	v_ffbh_u32_e32 v1, v72
	v_min_u32_e32 v1, 32, v1
	v_subrev_nc_u32_e32 v2, 28, v1
	v_sub_nc_u32_e32 v1, 29, v1
	v_lshlrev_b64 v[4:5], v2, v[72:73]
	v_and_b32_e32 v72, 7, v4
; %bb.55:                               ;   in Loop: Header=BB220_10 Depth=1
	s_or_b32 exec_lo, exec_lo, s18
	v_lshlrev_b32_e32 v2, 16, v0
	v_lshlrev_b32_e32 v4, 20, v72
	v_lshl_add_u32 v1, v1, 23, 0x3c000000
	v_and_b32_e32 v2, 0x80000000, v2
	v_or3_b32 v2, v4, v2, v1
	v_mov_b32_e32 v1, v73
	buffer_store_dword v1, off, s[0:3], s32 offset:236 ; 4-byte Folded Spill
	buffer_store_dword v2, off, s[0:3], s32 offset:240 ; 4-byte Folded Spill
.LBB220_56:                             ;   in Loop: Header=BB220_10 Depth=1
	s_or_b32 exec_lo, exec_lo, s17
.LBB220_57:                             ;   in Loop: Header=BB220_10 Depth=1
	s_or_b32 exec_lo, exec_lo, s15
.LBB220_58:                             ;   in Loop: Header=BB220_10 Depth=1
	s_or_b32 exec_lo, exec_lo, s13
	v_mov_b32_e32 v4, 0
	v_mov_b32_e32 v5, 0
	v_and_b32_sdwa v1, v0, v25 dst_sel:DWORD dst_unused:UNUSED_PAD src0_sel:WORD_1 src1_sel:DWORD
	s_mov_b32 s13, exec_lo
	buffer_store_dword v4, off, s[0:3], s32 offset:244 ; 4-byte Folded Spill
	buffer_store_dword v5, off, s[0:3], s32 offset:248 ; 4-byte Folded Spill
	v_mov_b32_e32 v4, 0
	v_mov_b32_e32 v5, 0
	buffer_store_dword v4, off, s[0:3], s32 offset:252 ; 4-byte Folded Spill
	buffer_store_dword v5, off, s[0:3], s32 offset:256 ; 4-byte Folded Spill
	v_cmpx_ne_u16_e32 0, v1
	s_cbranch_execz .LBB220_66
; %bb.59:                               ;   in Loop: Header=BB220_10 Depth=1
	v_cmp_ne_u16_e64 s5, 0x80, v1
	v_bfrev_b32_e32 v1, 1
	v_mov_b32_e32 v2, 0
	buffer_store_dword v1, off, s[0:3], s32 offset:252 ; 4-byte Folded Spill
	buffer_store_dword v2, off, s[0:3], s32 offset:256 ; 4-byte Folded Spill
	s_and_saveexec_b32 s15, s5
	s_cbranch_execz .LBB220_65
; %bb.60:                               ;   in Loop: Header=BB220_10 Depth=1
	v_mov_b32_e32 v4, 0x7f800001
	v_bfe_u32 v2, v0, 16, 7
	v_mov_b32_e32 v5, 0
	s_mov_b32 s17, exec_lo
	buffer_store_dword v4, off, s[0:3], s32 offset:252 ; 4-byte Folded Spill
	buffer_store_dword v5, off, s[0:3], s32 offset:256 ; 4-byte Folded Spill
	v_cmpx_ne_u32_e32 0x7f, v2
	s_cbranch_execz .LBB220_64
; %bb.61:                               ;   in Loop: Header=BB220_10 Depth=1
	v_mov_b32_e32 v1, 7
	s_mov_b32 s18, exec_lo
	v_and_b32_sdwa v72, v0, v1 dst_sel:DWORD dst_unused:UNUSED_PAD src0_sel:WORD_1 src1_sel:DWORD
	v_lshrrev_b32_e32 v1, 3, v2
	v_cmpx_gt_u32_e32 8, v2
; %bb.62:                               ;   in Loop: Header=BB220_10 Depth=1
	v_ffbh_u32_e32 v1, v72
	v_min_u32_e32 v1, 32, v1
	v_subrev_nc_u32_e32 v2, 28, v1
	v_sub_nc_u32_e32 v1, 29, v1
	v_lshlrev_b64 v[4:5], v2, v[72:73]
	v_and_b32_e32 v72, 7, v4
; %bb.63:                               ;   in Loop: Header=BB220_10 Depth=1
	s_or_b32 exec_lo, exec_lo, s18
	v_mov_b32_e32 v2, 24
	v_lshlrev_b32_e32 v4, 20, v72
	v_lshl_add_u32 v1, v1, 23, 0x3c000000
	v_lshlrev_b32_sdwa v2, v2, v0 dst_sel:DWORD dst_unused:UNUSED_PAD src0_sel:DWORD src1_sel:WORD_1
	v_and_b32_e32 v2, 0x80000000, v2
	v_or3_b32 v72, v4, v2, v1
	buffer_store_dword v72, off, s[0:3], s32 offset:252 ; 4-byte Folded Spill
	buffer_store_dword v73, off, s[0:3], s32 offset:256 ; 4-byte Folded Spill
.LBB220_64:                             ;   in Loop: Header=BB220_10 Depth=1
	s_or_b32 exec_lo, exec_lo, s17
.LBB220_65:                             ;   in Loop: Header=BB220_10 Depth=1
	s_or_b32 exec_lo, exec_lo, s15
.LBB220_66:                             ;   in Loop: Header=BB220_10 Depth=1
	s_or_b32 exec_lo, exec_lo, s13
	s_mov_b32 s13, exec_lo
	v_cmpx_lt_u32_e32 0xffffff, v0
	s_cbranch_execz .LBB220_74
; %bb.67:                               ;   in Loop: Header=BB220_10 Depth=1
	v_mov_b32_e32 v2, v73
	v_cmp_ne_u32_sdwa s5, v0, v24 src0_sel:BYTE_3 src1_sel:DWORD
	buffer_store_dword v2, off, s[0:3], s32 offset:244 ; 4-byte Folded Spill
	buffer_store_dword v3, off, s[0:3], s32 offset:248 ; 4-byte Folded Spill
	s_and_saveexec_b32 s15, s5
	s_cbranch_execz .LBB220_73
; %bb.68:                               ;   in Loop: Header=BB220_10 Depth=1
	v_bfe_u32 v2, v0, 24, 7
	v_mov_b32_e32 v18, v73
	s_mov_b32 s17, exec_lo
	buffer_store_dword v18, off, s[0:3], s32 offset:244 ; 4-byte Folded Spill
	buffer_store_dword v19, off, s[0:3], s32 offset:248 ; 4-byte Folded Spill
	v_cmpx_ne_u32_e32 0x7f, v2
	s_cbranch_execz .LBB220_72
; %bb.69:                               ;   in Loop: Header=BB220_10 Depth=1
	v_mov_b32_e32 v1, 7
	s_mov_b32 s18, exec_lo
	v_and_b32_sdwa v72, v0, v1 dst_sel:DWORD dst_unused:UNUSED_PAD src0_sel:BYTE_3 src1_sel:DWORD
	v_lshrrev_b32_e32 v1, 3, v2
	v_cmpx_gt_u32_e32 8, v2
; %bb.70:                               ;   in Loop: Header=BB220_10 Depth=1
	v_ffbh_u32_e32 v1, v72
	v_min_u32_e32 v1, 32, v1
	v_subrev_nc_u32_e32 v2, 28, v1
	v_sub_nc_u32_e32 v1, 29, v1
	v_lshlrev_b64 v[4:5], v2, v[72:73]
	v_and_b32_e32 v72, 7, v4
; %bb.71:                               ;   in Loop: Header=BB220_10 Depth=1
	s_or_b32 exec_lo, exec_lo, s18
	v_mov_b32_e32 v2, 24
	v_lshl_add_u32 v1, v1, 23, 0x3c000000
	v_lshlrev_b32_sdwa v0, v2, v0 dst_sel:DWORD dst_unused:UNUSED_PAD src0_sel:DWORD src1_sel:BYTE_3
	v_lshlrev_b32_e32 v2, 20, v72
	v_and_b32_e32 v0, 0x80000000, v0
	v_or3_b32 v1, v2, v0, v1
	v_mov_b32_e32 v0, v73
	buffer_store_dword v0, off, s[0:3], s32 offset:244 ; 4-byte Folded Spill
	buffer_store_dword v1, off, s[0:3], s32 offset:248 ; 4-byte Folded Spill
.LBB220_72:                             ;   in Loop: Header=BB220_10 Depth=1
	s_or_b32 exec_lo, exec_lo, s17
.LBB220_73:                             ;   in Loop: Header=BB220_10 Depth=1
	s_or_b32 exec_lo, exec_lo, s15
.LBB220_74:                             ;   in Loop: Header=BB220_10 Depth=1
	s_or_b32 exec_lo, exec_lo, s13
	flat_load_dword v0, v[12:13] offset:8
	v_mov_b32_e32 v1, 0
	v_mov_b32_e32 v2, 0
	buffer_store_dword v1, off, s[0:3], s32 offset:268 ; 4-byte Folded Spill
	buffer_store_dword v2, off, s[0:3], s32 offset:272 ; 4-byte Folded Spill
	v_mov_b32_e32 v1, 0
	v_mov_b32_e32 v2, 0
	buffer_store_dword v1, off, s[0:3], s32 offset:260 ; 4-byte Folded Spill
	buffer_store_dword v2, off, s[0:3], s32 offset:264 ; 4-byte Folded Spill
	s_waitcnt vmcnt(0) lgkmcnt(0)
	v_cmp_ne_u16_sdwa s5, v0, v73 src0_sel:BYTE_0 src1_sel:DWORD
	s_and_saveexec_b32 s13, s5
	s_cbranch_execz .LBB220_82
; %bb.75:                               ;   in Loop: Header=BB220_10 Depth=1
	v_bfrev_b32_e32 v1, 1
	v_mov_b32_e32 v2, 0
	v_cmp_ne_u16_sdwa s5, v0, v24 src0_sel:BYTE_0 src1_sel:DWORD
	buffer_store_dword v1, off, s[0:3], s32 offset:260 ; 4-byte Folded Spill
	buffer_store_dword v2, off, s[0:3], s32 offset:264 ; 4-byte Folded Spill
	s_and_saveexec_b32 s15, s5
	s_cbranch_execz .LBB220_81
; %bb.76:                               ;   in Loop: Header=BB220_10 Depth=1
	v_mov_b32_e32 v4, 0x7f800001
	v_and_b32_e32 v2, 0x7f, v0
	v_mov_b32_e32 v5, 0
	s_mov_b32 s17, exec_lo
	buffer_store_dword v4, off, s[0:3], s32 offset:260 ; 4-byte Folded Spill
	buffer_store_dword v5, off, s[0:3], s32 offset:264 ; 4-byte Folded Spill
	v_cmpx_ne_u32_e32 0x7f, v2
	s_cbranch_execz .LBB220_80
; %bb.77:                               ;   in Loop: Header=BB220_10 Depth=1
	v_and_b32_e32 v72, 7, v0
	v_lshrrev_b32_e32 v1, 3, v2
	s_mov_b32 s18, exec_lo
	v_cmpx_gt_u32_e32 8, v2
; %bb.78:                               ;   in Loop: Header=BB220_10 Depth=1
	v_ffbh_u32_e32 v1, v72
	v_min_u32_e32 v1, 32, v1
	v_subrev_nc_u32_e32 v2, 28, v1
	v_sub_nc_u32_e32 v1, 29, v1
	v_lshlrev_b64 v[4:5], v2, v[72:73]
	v_and_b32_e32 v72, 7, v4
; %bb.79:                               ;   in Loop: Header=BB220_10 Depth=1
	s_or_b32 exec_lo, exec_lo, s18
	v_lshlrev_b32_e32 v2, 24, v0
	v_lshlrev_b32_e32 v4, 20, v72
	v_lshl_add_u32 v1, v1, 23, 0x3c000000
	v_and_b32_e32 v2, 0x80000000, v2
	v_or3_b32 v72, v4, v2, v1
	buffer_store_dword v72, off, s[0:3], s32 offset:260 ; 4-byte Folded Spill
	buffer_store_dword v73, off, s[0:3], s32 offset:264 ; 4-byte Folded Spill
.LBB220_80:                             ;   in Loop: Header=BB220_10 Depth=1
	s_or_b32 exec_lo, exec_lo, s17
.LBB220_81:                             ;   in Loop: Header=BB220_10 Depth=1
	s_or_b32 exec_lo, exec_lo, s15
.LBB220_82:                             ;   in Loop: Header=BB220_10 Depth=1
	s_or_b32 exec_lo, exec_lo, s13
	v_cmp_ne_u16_sdwa s5, v0, v73 src0_sel:BYTE_1 src1_sel:DWORD
	s_and_saveexec_b32 s13, s5
	s_cbranch_execz .LBB220_90
; %bb.83:                               ;   in Loop: Header=BB220_10 Depth=1
	v_mov_b32_e32 v2, v73
	v_cmp_ne_u16_sdwa s5, v0, v24 src0_sel:BYTE_1 src1_sel:DWORD
	buffer_store_dword v2, off, s[0:3], s32 offset:268 ; 4-byte Folded Spill
	buffer_store_dword v3, off, s[0:3], s32 offset:272 ; 4-byte Folded Spill
	s_and_saveexec_b32 s15, s5
	s_cbranch_execz .LBB220_89
; %bb.84:                               ;   in Loop: Header=BB220_10 Depth=1
	v_mov_b32_e32 v1, 0xffff
	v_mov_b32_e32 v18, v73
	s_mov_b32 s17, exec_lo
	buffer_store_dword v18, off, s[0:3], s32 offset:268 ; 4-byte Folded Spill
	buffer_store_dword v19, off, s[0:3], s32 offset:272 ; 4-byte Folded Spill
	v_and_b32_sdwa v1, v1, v0 dst_sel:DWORD dst_unused:UNUSED_PAD src0_sel:DWORD src1_sel:BYTE_1
	v_and_b32_e32 v2, 0x7f, v1
	v_cmpx_ne_u32_e32 0x7f, v2
	s_cbranch_execz .LBB220_88
; %bb.85:                               ;   in Loop: Header=BB220_10 Depth=1
	v_and_b32_e32 v72, 7, v1
	v_lshrrev_b32_e32 v1, 3, v2
	s_mov_b32 s18, exec_lo
	v_cmpx_gt_u32_e32 8, v2
; %bb.86:                               ;   in Loop: Header=BB220_10 Depth=1
	v_ffbh_u32_e32 v1, v72
	v_min_u32_e32 v1, 32, v1
	v_subrev_nc_u32_e32 v2, 28, v1
	v_sub_nc_u32_e32 v1, 29, v1
	v_lshlrev_b64 v[4:5], v2, v[72:73]
	v_and_b32_e32 v72, 7, v4
; %bb.87:                               ;   in Loop: Header=BB220_10 Depth=1
	s_or_b32 exec_lo, exec_lo, s18
	v_lshlrev_b32_e32 v2, 16, v0
	v_lshlrev_b32_e32 v4, 20, v72
	v_lshl_add_u32 v1, v1, 23, 0x3c000000
	v_and_b32_e32 v2, 0x80000000, v2
	v_or3_b32 v2, v4, v2, v1
	v_mov_b32_e32 v1, v73
	buffer_store_dword v1, off, s[0:3], s32 offset:268 ; 4-byte Folded Spill
	buffer_store_dword v2, off, s[0:3], s32 offset:272 ; 4-byte Folded Spill
.LBB220_88:                             ;   in Loop: Header=BB220_10 Depth=1
	s_or_b32 exec_lo, exec_lo, s17
.LBB220_89:                             ;   in Loop: Header=BB220_10 Depth=1
	s_or_b32 exec_lo, exec_lo, s15
.LBB220_90:                             ;   in Loop: Header=BB220_10 Depth=1
	s_or_b32 exec_lo, exec_lo, s13
	v_mov_b32_e32 v4, 0
	v_mov_b32_e32 v5, 0
	v_and_b32_sdwa v1, v0, v25 dst_sel:DWORD dst_unused:UNUSED_PAD src0_sel:WORD_1 src1_sel:DWORD
	s_mov_b32 s13, exec_lo
	buffer_store_dword v4, off, s[0:3], s32 offset:276 ; 4-byte Folded Spill
	buffer_store_dword v5, off, s[0:3], s32 offset:280 ; 4-byte Folded Spill
	v_mov_b32_e32 v4, 0
	v_mov_b32_e32 v5, 0
	buffer_store_dword v4, off, s[0:3], s32 offset:284 ; 4-byte Folded Spill
	buffer_store_dword v5, off, s[0:3], s32 offset:288 ; 4-byte Folded Spill
	v_cmpx_ne_u16_e32 0, v1
	s_cbranch_execz .LBB220_98
; %bb.91:                               ;   in Loop: Header=BB220_10 Depth=1
	v_cmp_ne_u16_e64 s5, 0x80, v1
	v_bfrev_b32_e32 v1, 1
	v_mov_b32_e32 v2, 0
	buffer_store_dword v1, off, s[0:3], s32 offset:284 ; 4-byte Folded Spill
	buffer_store_dword v2, off, s[0:3], s32 offset:288 ; 4-byte Folded Spill
	s_and_saveexec_b32 s15, s5
	s_cbranch_execz .LBB220_97
; %bb.92:                               ;   in Loop: Header=BB220_10 Depth=1
	v_mov_b32_e32 v4, 0x7f800001
	v_bfe_u32 v2, v0, 16, 7
	v_mov_b32_e32 v5, 0
	s_mov_b32 s17, exec_lo
	buffer_store_dword v4, off, s[0:3], s32 offset:284 ; 4-byte Folded Spill
	buffer_store_dword v5, off, s[0:3], s32 offset:288 ; 4-byte Folded Spill
	v_cmpx_ne_u32_e32 0x7f, v2
	s_cbranch_execz .LBB220_96
; %bb.93:                               ;   in Loop: Header=BB220_10 Depth=1
	v_mov_b32_e32 v1, 7
	s_mov_b32 s18, exec_lo
	v_and_b32_sdwa v72, v0, v1 dst_sel:DWORD dst_unused:UNUSED_PAD src0_sel:WORD_1 src1_sel:DWORD
	v_lshrrev_b32_e32 v1, 3, v2
	v_cmpx_gt_u32_e32 8, v2
; %bb.94:                               ;   in Loop: Header=BB220_10 Depth=1
	v_ffbh_u32_e32 v1, v72
	v_min_u32_e32 v1, 32, v1
	v_subrev_nc_u32_e32 v2, 28, v1
	v_sub_nc_u32_e32 v1, 29, v1
	v_lshlrev_b64 v[4:5], v2, v[72:73]
	v_and_b32_e32 v72, 7, v4
; %bb.95:                               ;   in Loop: Header=BB220_10 Depth=1
	s_or_b32 exec_lo, exec_lo, s18
	v_mov_b32_e32 v2, 24
	v_lshlrev_b32_e32 v4, 20, v72
	v_lshl_add_u32 v1, v1, 23, 0x3c000000
	v_lshlrev_b32_sdwa v2, v2, v0 dst_sel:DWORD dst_unused:UNUSED_PAD src0_sel:DWORD src1_sel:WORD_1
	v_and_b32_e32 v2, 0x80000000, v2
	v_or3_b32 v72, v4, v2, v1
	buffer_store_dword v72, off, s[0:3], s32 offset:284 ; 4-byte Folded Spill
	buffer_store_dword v73, off, s[0:3], s32 offset:288 ; 4-byte Folded Spill
.LBB220_96:                             ;   in Loop: Header=BB220_10 Depth=1
	s_or_b32 exec_lo, exec_lo, s17
.LBB220_97:                             ;   in Loop: Header=BB220_10 Depth=1
	s_or_b32 exec_lo, exec_lo, s15
.LBB220_98:                             ;   in Loop: Header=BB220_10 Depth=1
	s_or_b32 exec_lo, exec_lo, s13
	s_mov_b32 s13, exec_lo
	v_cmpx_lt_u32_e32 0xffffff, v0
	s_cbranch_execz .LBB220_106
; %bb.99:                               ;   in Loop: Header=BB220_10 Depth=1
	v_mov_b32_e32 v2, v73
	v_cmp_ne_u32_sdwa s5, v0, v24 src0_sel:BYTE_3 src1_sel:DWORD
	buffer_store_dword v2, off, s[0:3], s32 offset:276 ; 4-byte Folded Spill
	buffer_store_dword v3, off, s[0:3], s32 offset:280 ; 4-byte Folded Spill
	s_and_saveexec_b32 s15, s5
	s_cbranch_execz .LBB220_105
; %bb.100:                              ;   in Loop: Header=BB220_10 Depth=1
	v_bfe_u32 v2, v0, 24, 7
	v_mov_b32_e32 v18, v73
	s_mov_b32 s17, exec_lo
	buffer_store_dword v18, off, s[0:3], s32 offset:276 ; 4-byte Folded Spill
	buffer_store_dword v19, off, s[0:3], s32 offset:280 ; 4-byte Folded Spill
	v_cmpx_ne_u32_e32 0x7f, v2
	s_cbranch_execz .LBB220_104
; %bb.101:                              ;   in Loop: Header=BB220_10 Depth=1
	v_mov_b32_e32 v1, 7
	s_mov_b32 s18, exec_lo
	v_and_b32_sdwa v72, v0, v1 dst_sel:DWORD dst_unused:UNUSED_PAD src0_sel:BYTE_3 src1_sel:DWORD
	v_lshrrev_b32_e32 v1, 3, v2
	v_cmpx_gt_u32_e32 8, v2
; %bb.102:                              ;   in Loop: Header=BB220_10 Depth=1
	v_ffbh_u32_e32 v1, v72
	v_min_u32_e32 v1, 32, v1
	v_subrev_nc_u32_e32 v2, 28, v1
	v_sub_nc_u32_e32 v1, 29, v1
	v_lshlrev_b64 v[4:5], v2, v[72:73]
	v_and_b32_e32 v72, 7, v4
; %bb.103:                              ;   in Loop: Header=BB220_10 Depth=1
	s_or_b32 exec_lo, exec_lo, s18
	v_mov_b32_e32 v2, 24
	v_lshl_add_u32 v1, v1, 23, 0x3c000000
	v_lshlrev_b32_sdwa v0, v2, v0 dst_sel:DWORD dst_unused:UNUSED_PAD src0_sel:DWORD src1_sel:BYTE_3
	v_lshlrev_b32_e32 v2, 20, v72
	v_and_b32_e32 v0, 0x80000000, v0
	v_or3_b32 v1, v2, v0, v1
	v_mov_b32_e32 v0, v73
	buffer_store_dword v0, off, s[0:3], s32 offset:276 ; 4-byte Folded Spill
	buffer_store_dword v1, off, s[0:3], s32 offset:280 ; 4-byte Folded Spill
.LBB220_104:                            ;   in Loop: Header=BB220_10 Depth=1
	s_or_b32 exec_lo, exec_lo, s17
.LBB220_105:                            ;   in Loop: Header=BB220_10 Depth=1
	s_or_b32 exec_lo, exec_lo, s15
.LBB220_106:                            ;   in Loop: Header=BB220_10 Depth=1
	s_or_b32 exec_lo, exec_lo, s13
	flat_load_dword v0, v[12:13] offset:12
	v_mov_b32_e32 v1, 0
	v_mov_b32_e32 v2, 0
	buffer_store_dword v1, off, s[0:3], s32 offset:300 ; 4-byte Folded Spill
	buffer_store_dword v2, off, s[0:3], s32 offset:304 ; 4-byte Folded Spill
	v_mov_b32_e32 v1, 0
	v_mov_b32_e32 v2, 0
	buffer_store_dword v1, off, s[0:3], s32 offset:292 ; 4-byte Folded Spill
	buffer_store_dword v2, off, s[0:3], s32 offset:296 ; 4-byte Folded Spill
	s_waitcnt vmcnt(0) lgkmcnt(0)
	v_cmp_ne_u16_sdwa s5, v0, v73 src0_sel:BYTE_0 src1_sel:DWORD
	s_and_saveexec_b32 s13, s5
	s_cbranch_execz .LBB220_114
; %bb.107:                              ;   in Loop: Header=BB220_10 Depth=1
	v_bfrev_b32_e32 v1, 1
	v_mov_b32_e32 v2, 0
	v_cmp_ne_u16_sdwa s5, v0, v24 src0_sel:BYTE_0 src1_sel:DWORD
	buffer_store_dword v1, off, s[0:3], s32 offset:292 ; 4-byte Folded Spill
	buffer_store_dword v2, off, s[0:3], s32 offset:296 ; 4-byte Folded Spill
	s_and_saveexec_b32 s15, s5
	s_cbranch_execz .LBB220_113
; %bb.108:                              ;   in Loop: Header=BB220_10 Depth=1
	v_mov_b32_e32 v4, 0x7f800001
	v_and_b32_e32 v2, 0x7f, v0
	v_mov_b32_e32 v5, 0
	s_mov_b32 s17, exec_lo
	buffer_store_dword v4, off, s[0:3], s32 offset:292 ; 4-byte Folded Spill
	buffer_store_dword v5, off, s[0:3], s32 offset:296 ; 4-byte Folded Spill
	v_cmpx_ne_u32_e32 0x7f, v2
	s_cbranch_execz .LBB220_112
; %bb.109:                              ;   in Loop: Header=BB220_10 Depth=1
	v_and_b32_e32 v72, 7, v0
	v_lshrrev_b32_e32 v1, 3, v2
	s_mov_b32 s18, exec_lo
	v_cmpx_gt_u32_e32 8, v2
; %bb.110:                              ;   in Loop: Header=BB220_10 Depth=1
	v_ffbh_u32_e32 v1, v72
	v_min_u32_e32 v1, 32, v1
	v_subrev_nc_u32_e32 v2, 28, v1
	v_sub_nc_u32_e32 v1, 29, v1
	v_lshlrev_b64 v[4:5], v2, v[72:73]
	v_and_b32_e32 v72, 7, v4
; %bb.111:                              ;   in Loop: Header=BB220_10 Depth=1
	s_or_b32 exec_lo, exec_lo, s18
	v_lshlrev_b32_e32 v2, 24, v0
	v_lshlrev_b32_e32 v4, 20, v72
	v_lshl_add_u32 v1, v1, 23, 0x3c000000
	v_and_b32_e32 v2, 0x80000000, v2
	v_or3_b32 v72, v4, v2, v1
	buffer_store_dword v72, off, s[0:3], s32 offset:292 ; 4-byte Folded Spill
	buffer_store_dword v73, off, s[0:3], s32 offset:296 ; 4-byte Folded Spill
.LBB220_112:                            ;   in Loop: Header=BB220_10 Depth=1
	s_or_b32 exec_lo, exec_lo, s17
.LBB220_113:                            ;   in Loop: Header=BB220_10 Depth=1
	s_or_b32 exec_lo, exec_lo, s15
.LBB220_114:                            ;   in Loop: Header=BB220_10 Depth=1
	s_or_b32 exec_lo, exec_lo, s13
	v_cmp_ne_u16_sdwa s5, v0, v73 src0_sel:BYTE_1 src1_sel:DWORD
	s_and_saveexec_b32 s13, s5
	s_cbranch_execz .LBB220_122
; %bb.115:                              ;   in Loop: Header=BB220_10 Depth=1
	v_mov_b32_e32 v2, v73
	v_cmp_ne_u16_sdwa s5, v0, v24 src0_sel:BYTE_1 src1_sel:DWORD
	buffer_store_dword v2, off, s[0:3], s32 offset:300 ; 4-byte Folded Spill
	buffer_store_dword v3, off, s[0:3], s32 offset:304 ; 4-byte Folded Spill
	s_and_saveexec_b32 s15, s5
	s_cbranch_execz .LBB220_121
; %bb.116:                              ;   in Loop: Header=BB220_10 Depth=1
	v_mov_b32_e32 v1, 0xffff
	v_mov_b32_e32 v18, v73
	s_mov_b32 s17, exec_lo
	buffer_store_dword v18, off, s[0:3], s32 offset:300 ; 4-byte Folded Spill
	buffer_store_dword v19, off, s[0:3], s32 offset:304 ; 4-byte Folded Spill
	v_and_b32_sdwa v1, v1, v0 dst_sel:DWORD dst_unused:UNUSED_PAD src0_sel:DWORD src1_sel:BYTE_1
	v_and_b32_e32 v2, 0x7f, v1
	v_cmpx_ne_u32_e32 0x7f, v2
	s_cbranch_execz .LBB220_120
; %bb.117:                              ;   in Loop: Header=BB220_10 Depth=1
	v_and_b32_e32 v72, 7, v1
	v_lshrrev_b32_e32 v1, 3, v2
	s_mov_b32 s18, exec_lo
	v_cmpx_gt_u32_e32 8, v2
; %bb.118:                              ;   in Loop: Header=BB220_10 Depth=1
	v_ffbh_u32_e32 v1, v72
	v_min_u32_e32 v1, 32, v1
	v_subrev_nc_u32_e32 v2, 28, v1
	v_sub_nc_u32_e32 v1, 29, v1
	v_lshlrev_b64 v[4:5], v2, v[72:73]
	v_and_b32_e32 v72, 7, v4
; %bb.119:                              ;   in Loop: Header=BB220_10 Depth=1
	s_or_b32 exec_lo, exec_lo, s18
	v_lshlrev_b32_e32 v2, 16, v0
	v_lshlrev_b32_e32 v4, 20, v72
	v_lshl_add_u32 v1, v1, 23, 0x3c000000
	v_and_b32_e32 v2, 0x80000000, v2
	v_or3_b32 v2, v4, v2, v1
	v_mov_b32_e32 v1, v73
	buffer_store_dword v1, off, s[0:3], s32 offset:300 ; 4-byte Folded Spill
	buffer_store_dword v2, off, s[0:3], s32 offset:304 ; 4-byte Folded Spill
.LBB220_120:                            ;   in Loop: Header=BB220_10 Depth=1
	s_or_b32 exec_lo, exec_lo, s17
.LBB220_121:                            ;   in Loop: Header=BB220_10 Depth=1
	s_or_b32 exec_lo, exec_lo, s15
.LBB220_122:                            ;   in Loop: Header=BB220_10 Depth=1
	s_or_b32 exec_lo, exec_lo, s13
	v_mov_b32_e32 v4, 0
	v_mov_b32_e32 v5, 0
	v_and_b32_sdwa v1, v0, v25 dst_sel:DWORD dst_unused:UNUSED_PAD src0_sel:WORD_1 src1_sel:DWORD
	s_mov_b32 s13, exec_lo
	buffer_store_dword v4, off, s[0:3], s32 offset:308 ; 4-byte Folded Spill
	buffer_store_dword v5, off, s[0:3], s32 offset:312 ; 4-byte Folded Spill
	v_mov_b32_e32 v4, 0
	v_mov_b32_e32 v5, 0
	buffer_store_dword v4, off, s[0:3], s32 offset:316 ; 4-byte Folded Spill
	buffer_store_dword v5, off, s[0:3], s32 offset:320 ; 4-byte Folded Spill
	v_cmpx_ne_u16_e32 0, v1
	s_cbranch_execz .LBB220_130
; %bb.123:                              ;   in Loop: Header=BB220_10 Depth=1
	v_cmp_ne_u16_e64 s5, 0x80, v1
	v_bfrev_b32_e32 v1, 1
	v_mov_b32_e32 v2, 0
	buffer_store_dword v1, off, s[0:3], s32 offset:316 ; 4-byte Folded Spill
	buffer_store_dword v2, off, s[0:3], s32 offset:320 ; 4-byte Folded Spill
	s_and_saveexec_b32 s15, s5
	s_cbranch_execz .LBB220_129
; %bb.124:                              ;   in Loop: Header=BB220_10 Depth=1
	v_mov_b32_e32 v4, 0x7f800001
	v_bfe_u32 v2, v0, 16, 7
	v_mov_b32_e32 v5, 0
	s_mov_b32 s17, exec_lo
	buffer_store_dword v4, off, s[0:3], s32 offset:316 ; 4-byte Folded Spill
	buffer_store_dword v5, off, s[0:3], s32 offset:320 ; 4-byte Folded Spill
	v_cmpx_ne_u32_e32 0x7f, v2
	s_cbranch_execz .LBB220_128
; %bb.125:                              ;   in Loop: Header=BB220_10 Depth=1
	v_mov_b32_e32 v1, 7
	s_mov_b32 s18, exec_lo
	v_and_b32_sdwa v72, v0, v1 dst_sel:DWORD dst_unused:UNUSED_PAD src0_sel:WORD_1 src1_sel:DWORD
	v_lshrrev_b32_e32 v1, 3, v2
	v_cmpx_gt_u32_e32 8, v2
; %bb.126:                              ;   in Loop: Header=BB220_10 Depth=1
	v_ffbh_u32_e32 v1, v72
	v_min_u32_e32 v1, 32, v1
	v_subrev_nc_u32_e32 v2, 28, v1
	v_sub_nc_u32_e32 v1, 29, v1
	v_lshlrev_b64 v[4:5], v2, v[72:73]
	v_and_b32_e32 v72, 7, v4
; %bb.127:                              ;   in Loop: Header=BB220_10 Depth=1
	s_or_b32 exec_lo, exec_lo, s18
	v_mov_b32_e32 v2, 24
	v_lshlrev_b32_e32 v4, 20, v72
	v_lshl_add_u32 v1, v1, 23, 0x3c000000
	v_lshlrev_b32_sdwa v2, v2, v0 dst_sel:DWORD dst_unused:UNUSED_PAD src0_sel:DWORD src1_sel:WORD_1
	v_and_b32_e32 v2, 0x80000000, v2
	v_or3_b32 v72, v4, v2, v1
	buffer_store_dword v72, off, s[0:3], s32 offset:316 ; 4-byte Folded Spill
	buffer_store_dword v73, off, s[0:3], s32 offset:320 ; 4-byte Folded Spill
.LBB220_128:                            ;   in Loop: Header=BB220_10 Depth=1
	s_or_b32 exec_lo, exec_lo, s17
.LBB220_129:                            ;   in Loop: Header=BB220_10 Depth=1
	s_or_b32 exec_lo, exec_lo, s15
.LBB220_130:                            ;   in Loop: Header=BB220_10 Depth=1
	s_or_b32 exec_lo, exec_lo, s13
	s_mov_b32 s13, exec_lo
	v_cmpx_lt_u32_e32 0xffffff, v0
	s_cbranch_execz .LBB220_138
; %bb.131:                              ;   in Loop: Header=BB220_10 Depth=1
	v_mov_b32_e32 v2, v73
	v_cmp_ne_u32_sdwa s5, v0, v24 src0_sel:BYTE_3 src1_sel:DWORD
	buffer_store_dword v2, off, s[0:3], s32 offset:308 ; 4-byte Folded Spill
	buffer_store_dword v3, off, s[0:3], s32 offset:312 ; 4-byte Folded Spill
	s_and_saveexec_b32 s15, s5
	s_cbranch_execz .LBB220_137
; %bb.132:                              ;   in Loop: Header=BB220_10 Depth=1
	v_bfe_u32 v2, v0, 24, 7
	v_mov_b32_e32 v18, v73
	s_mov_b32 s17, exec_lo
	buffer_store_dword v18, off, s[0:3], s32 offset:308 ; 4-byte Folded Spill
	buffer_store_dword v19, off, s[0:3], s32 offset:312 ; 4-byte Folded Spill
	v_cmpx_ne_u32_e32 0x7f, v2
	s_cbranch_execz .LBB220_136
; %bb.133:                              ;   in Loop: Header=BB220_10 Depth=1
	v_mov_b32_e32 v1, 7
	s_mov_b32 s18, exec_lo
	v_and_b32_sdwa v72, v0, v1 dst_sel:DWORD dst_unused:UNUSED_PAD src0_sel:BYTE_3 src1_sel:DWORD
	v_lshrrev_b32_e32 v1, 3, v2
	v_cmpx_gt_u32_e32 8, v2
; %bb.134:                              ;   in Loop: Header=BB220_10 Depth=1
	v_ffbh_u32_e32 v1, v72
	v_min_u32_e32 v1, 32, v1
	v_subrev_nc_u32_e32 v2, 28, v1
	v_sub_nc_u32_e32 v1, 29, v1
	v_lshlrev_b64 v[4:5], v2, v[72:73]
	v_and_b32_e32 v72, 7, v4
; %bb.135:                              ;   in Loop: Header=BB220_10 Depth=1
	s_or_b32 exec_lo, exec_lo, s18
	v_mov_b32_e32 v2, 24
	v_lshl_add_u32 v1, v1, 23, 0x3c000000
	v_lshlrev_b32_sdwa v0, v2, v0 dst_sel:DWORD dst_unused:UNUSED_PAD src0_sel:DWORD src1_sel:BYTE_3
	v_lshlrev_b32_e32 v2, 20, v72
	v_and_b32_e32 v0, 0x80000000, v0
	v_or3_b32 v1, v2, v0, v1
	v_mov_b32_e32 v0, v73
	buffer_store_dword v0, off, s[0:3], s32 offset:308 ; 4-byte Folded Spill
	buffer_store_dword v1, off, s[0:3], s32 offset:312 ; 4-byte Folded Spill
.LBB220_136:                            ;   in Loop: Header=BB220_10 Depth=1
	s_or_b32 exec_lo, exec_lo, s17
.LBB220_137:                            ;   in Loop: Header=BB220_10 Depth=1
	s_or_b32 exec_lo, exec_lo, s15
.LBB220_138:                            ;   in Loop: Header=BB220_10 Depth=1
	s_or_b32 exec_lo, exec_lo, s13
	flat_load_dword v0, v[12:13] offset:512
	v_mov_b32_e32 v1, 0
	v_mov_b32_e32 v2, 0
	buffer_store_dword v1, off, s[0:3], s32 offset:332 ; 4-byte Folded Spill
	buffer_store_dword v2, off, s[0:3], s32 offset:336 ; 4-byte Folded Spill
	v_mov_b32_e32 v1, 0
	v_mov_b32_e32 v2, 0
	buffer_store_dword v1, off, s[0:3], s32 offset:324 ; 4-byte Folded Spill
	buffer_store_dword v2, off, s[0:3], s32 offset:328 ; 4-byte Folded Spill
	s_waitcnt vmcnt(0) lgkmcnt(0)
	v_cmp_ne_u16_sdwa s5, v0, v73 src0_sel:BYTE_0 src1_sel:DWORD
	s_and_saveexec_b32 s13, s5
	s_cbranch_execz .LBB220_146
; %bb.139:                              ;   in Loop: Header=BB220_10 Depth=1
	v_bfrev_b32_e32 v1, 1
	v_mov_b32_e32 v2, 0
	v_cmp_ne_u16_sdwa s5, v0, v24 src0_sel:BYTE_0 src1_sel:DWORD
	buffer_store_dword v1, off, s[0:3], s32 offset:324 ; 4-byte Folded Spill
	buffer_store_dword v2, off, s[0:3], s32 offset:328 ; 4-byte Folded Spill
	s_and_saveexec_b32 s15, s5
	s_cbranch_execz .LBB220_145
; %bb.140:                              ;   in Loop: Header=BB220_10 Depth=1
	v_mov_b32_e32 v4, 0x7f800001
	v_and_b32_e32 v2, 0x7f, v0
	v_mov_b32_e32 v5, 0
	s_mov_b32 s17, exec_lo
	buffer_store_dword v4, off, s[0:3], s32 offset:324 ; 4-byte Folded Spill
	buffer_store_dword v5, off, s[0:3], s32 offset:328 ; 4-byte Folded Spill
	v_cmpx_ne_u32_e32 0x7f, v2
	s_cbranch_execz .LBB220_144
; %bb.141:                              ;   in Loop: Header=BB220_10 Depth=1
	v_and_b32_e32 v72, 7, v0
	v_lshrrev_b32_e32 v1, 3, v2
	s_mov_b32 s18, exec_lo
	v_cmpx_gt_u32_e32 8, v2
; %bb.142:                              ;   in Loop: Header=BB220_10 Depth=1
	v_ffbh_u32_e32 v1, v72
	v_min_u32_e32 v1, 32, v1
	v_subrev_nc_u32_e32 v2, 28, v1
	v_sub_nc_u32_e32 v1, 29, v1
	v_lshlrev_b64 v[4:5], v2, v[72:73]
	v_and_b32_e32 v72, 7, v4
; %bb.143:                              ;   in Loop: Header=BB220_10 Depth=1
	s_or_b32 exec_lo, exec_lo, s18
	v_lshlrev_b32_e32 v2, 24, v0
	v_lshlrev_b32_e32 v4, 20, v72
	v_lshl_add_u32 v1, v1, 23, 0x3c000000
	v_and_b32_e32 v2, 0x80000000, v2
	v_or3_b32 v72, v4, v2, v1
	buffer_store_dword v72, off, s[0:3], s32 offset:324 ; 4-byte Folded Spill
	buffer_store_dword v73, off, s[0:3], s32 offset:328 ; 4-byte Folded Spill
.LBB220_144:                            ;   in Loop: Header=BB220_10 Depth=1
	s_or_b32 exec_lo, exec_lo, s17
.LBB220_145:                            ;   in Loop: Header=BB220_10 Depth=1
	s_or_b32 exec_lo, exec_lo, s15
.LBB220_146:                            ;   in Loop: Header=BB220_10 Depth=1
	s_or_b32 exec_lo, exec_lo, s13
	v_cmp_ne_u16_sdwa s5, v0, v73 src0_sel:BYTE_1 src1_sel:DWORD
	s_and_saveexec_b32 s13, s5
	s_cbranch_execz .LBB220_154
; %bb.147:                              ;   in Loop: Header=BB220_10 Depth=1
	v_mov_b32_e32 v2, v73
	v_cmp_ne_u16_sdwa s5, v0, v24 src0_sel:BYTE_1 src1_sel:DWORD
	buffer_store_dword v2, off, s[0:3], s32 offset:332 ; 4-byte Folded Spill
	buffer_store_dword v3, off, s[0:3], s32 offset:336 ; 4-byte Folded Spill
	s_and_saveexec_b32 s15, s5
	s_cbranch_execz .LBB220_153
; %bb.148:                              ;   in Loop: Header=BB220_10 Depth=1
	v_mov_b32_e32 v1, 0xffff
	v_mov_b32_e32 v18, v73
	s_mov_b32 s17, exec_lo
	buffer_store_dword v18, off, s[0:3], s32 offset:332 ; 4-byte Folded Spill
	buffer_store_dword v19, off, s[0:3], s32 offset:336 ; 4-byte Folded Spill
	v_and_b32_sdwa v1, v1, v0 dst_sel:DWORD dst_unused:UNUSED_PAD src0_sel:DWORD src1_sel:BYTE_1
	v_and_b32_e32 v2, 0x7f, v1
	v_cmpx_ne_u32_e32 0x7f, v2
	s_cbranch_execz .LBB220_152
; %bb.149:                              ;   in Loop: Header=BB220_10 Depth=1
	v_and_b32_e32 v72, 7, v1
	v_lshrrev_b32_e32 v1, 3, v2
	s_mov_b32 s18, exec_lo
	v_cmpx_gt_u32_e32 8, v2
; %bb.150:                              ;   in Loop: Header=BB220_10 Depth=1
	v_ffbh_u32_e32 v1, v72
	v_min_u32_e32 v1, 32, v1
	v_subrev_nc_u32_e32 v2, 28, v1
	v_sub_nc_u32_e32 v1, 29, v1
	v_lshlrev_b64 v[4:5], v2, v[72:73]
	v_and_b32_e32 v72, 7, v4
; %bb.151:                              ;   in Loop: Header=BB220_10 Depth=1
	s_or_b32 exec_lo, exec_lo, s18
	v_lshlrev_b32_e32 v2, 16, v0
	v_lshlrev_b32_e32 v4, 20, v72
	v_lshl_add_u32 v1, v1, 23, 0x3c000000
	v_and_b32_e32 v2, 0x80000000, v2
	v_or3_b32 v2, v4, v2, v1
	v_mov_b32_e32 v1, v73
	buffer_store_dword v1, off, s[0:3], s32 offset:332 ; 4-byte Folded Spill
	buffer_store_dword v2, off, s[0:3], s32 offset:336 ; 4-byte Folded Spill
.LBB220_152:                            ;   in Loop: Header=BB220_10 Depth=1
	s_or_b32 exec_lo, exec_lo, s17
.LBB220_153:                            ;   in Loop: Header=BB220_10 Depth=1
	s_or_b32 exec_lo, exec_lo, s15
.LBB220_154:                            ;   in Loop: Header=BB220_10 Depth=1
	s_or_b32 exec_lo, exec_lo, s13
	v_mov_b32_e32 v4, 0
	v_mov_b32_e32 v5, 0
	v_and_b32_sdwa v1, v0, v25 dst_sel:DWORD dst_unused:UNUSED_PAD src0_sel:WORD_1 src1_sel:DWORD
	s_mov_b32 s13, exec_lo
	buffer_store_dword v4, off, s[0:3], s32 offset:340 ; 4-byte Folded Spill
	buffer_store_dword v5, off, s[0:3], s32 offset:344 ; 4-byte Folded Spill
	v_mov_b32_e32 v4, 0
	v_mov_b32_e32 v5, 0
	buffer_store_dword v4, off, s[0:3], s32 offset:348 ; 4-byte Folded Spill
	buffer_store_dword v5, off, s[0:3], s32 offset:352 ; 4-byte Folded Spill
	v_cmpx_ne_u16_e32 0, v1
	s_cbranch_execz .LBB220_162
; %bb.155:                              ;   in Loop: Header=BB220_10 Depth=1
	v_cmp_ne_u16_e64 s5, 0x80, v1
	v_bfrev_b32_e32 v1, 1
	v_mov_b32_e32 v2, 0
	buffer_store_dword v1, off, s[0:3], s32 offset:348 ; 4-byte Folded Spill
	buffer_store_dword v2, off, s[0:3], s32 offset:352 ; 4-byte Folded Spill
	s_and_saveexec_b32 s15, s5
	s_cbranch_execz .LBB220_161
; %bb.156:                              ;   in Loop: Header=BB220_10 Depth=1
	v_mov_b32_e32 v4, 0x7f800001
	v_bfe_u32 v2, v0, 16, 7
	v_mov_b32_e32 v5, 0
	s_mov_b32 s17, exec_lo
	buffer_store_dword v4, off, s[0:3], s32 offset:348 ; 4-byte Folded Spill
	buffer_store_dword v5, off, s[0:3], s32 offset:352 ; 4-byte Folded Spill
	v_cmpx_ne_u32_e32 0x7f, v2
	s_cbranch_execz .LBB220_160
; %bb.157:                              ;   in Loop: Header=BB220_10 Depth=1
	v_mov_b32_e32 v1, 7
	s_mov_b32 s18, exec_lo
	v_and_b32_sdwa v72, v0, v1 dst_sel:DWORD dst_unused:UNUSED_PAD src0_sel:WORD_1 src1_sel:DWORD
	v_lshrrev_b32_e32 v1, 3, v2
	v_cmpx_gt_u32_e32 8, v2
; %bb.158:                              ;   in Loop: Header=BB220_10 Depth=1
	v_ffbh_u32_e32 v1, v72
	v_min_u32_e32 v1, 32, v1
	v_subrev_nc_u32_e32 v2, 28, v1
	v_sub_nc_u32_e32 v1, 29, v1
	v_lshlrev_b64 v[4:5], v2, v[72:73]
	v_and_b32_e32 v72, 7, v4
; %bb.159:                              ;   in Loop: Header=BB220_10 Depth=1
	s_or_b32 exec_lo, exec_lo, s18
	v_mov_b32_e32 v2, 24
	v_lshlrev_b32_e32 v4, 20, v72
	v_lshl_add_u32 v1, v1, 23, 0x3c000000
	v_lshlrev_b32_sdwa v2, v2, v0 dst_sel:DWORD dst_unused:UNUSED_PAD src0_sel:DWORD src1_sel:WORD_1
	v_and_b32_e32 v2, 0x80000000, v2
	v_or3_b32 v72, v4, v2, v1
	buffer_store_dword v72, off, s[0:3], s32 offset:348 ; 4-byte Folded Spill
	buffer_store_dword v73, off, s[0:3], s32 offset:352 ; 4-byte Folded Spill
.LBB220_160:                            ;   in Loop: Header=BB220_10 Depth=1
	s_or_b32 exec_lo, exec_lo, s17
.LBB220_161:                            ;   in Loop: Header=BB220_10 Depth=1
	s_or_b32 exec_lo, exec_lo, s15
.LBB220_162:                            ;   in Loop: Header=BB220_10 Depth=1
	s_or_b32 exec_lo, exec_lo, s13
	s_mov_b32 s13, exec_lo
	v_cmpx_lt_u32_e32 0xffffff, v0
	s_cbranch_execz .LBB220_170
; %bb.163:                              ;   in Loop: Header=BB220_10 Depth=1
	v_mov_b32_e32 v2, v73
	v_cmp_ne_u32_sdwa s5, v0, v24 src0_sel:BYTE_3 src1_sel:DWORD
	buffer_store_dword v2, off, s[0:3], s32 offset:340 ; 4-byte Folded Spill
	buffer_store_dword v3, off, s[0:3], s32 offset:344 ; 4-byte Folded Spill
	s_and_saveexec_b32 s15, s5
	s_cbranch_execz .LBB220_169
; %bb.164:                              ;   in Loop: Header=BB220_10 Depth=1
	v_bfe_u32 v2, v0, 24, 7
	v_mov_b32_e32 v18, v73
	s_mov_b32 s17, exec_lo
	buffer_store_dword v18, off, s[0:3], s32 offset:340 ; 4-byte Folded Spill
	buffer_store_dword v19, off, s[0:3], s32 offset:344 ; 4-byte Folded Spill
	v_cmpx_ne_u32_e32 0x7f, v2
	s_cbranch_execz .LBB220_168
; %bb.165:                              ;   in Loop: Header=BB220_10 Depth=1
	v_mov_b32_e32 v1, 7
	s_mov_b32 s18, exec_lo
	v_and_b32_sdwa v72, v0, v1 dst_sel:DWORD dst_unused:UNUSED_PAD src0_sel:BYTE_3 src1_sel:DWORD
	v_lshrrev_b32_e32 v1, 3, v2
	v_cmpx_gt_u32_e32 8, v2
; %bb.166:                              ;   in Loop: Header=BB220_10 Depth=1
	v_ffbh_u32_e32 v1, v72
	v_min_u32_e32 v1, 32, v1
	v_subrev_nc_u32_e32 v2, 28, v1
	v_sub_nc_u32_e32 v1, 29, v1
	v_lshlrev_b64 v[4:5], v2, v[72:73]
	v_and_b32_e32 v72, 7, v4
; %bb.167:                              ;   in Loop: Header=BB220_10 Depth=1
	s_or_b32 exec_lo, exec_lo, s18
	v_mov_b32_e32 v2, 24
	v_lshl_add_u32 v1, v1, 23, 0x3c000000
	v_lshlrev_b32_sdwa v0, v2, v0 dst_sel:DWORD dst_unused:UNUSED_PAD src0_sel:DWORD src1_sel:BYTE_3
	v_lshlrev_b32_e32 v2, 20, v72
	v_and_b32_e32 v0, 0x80000000, v0
	v_or3_b32 v1, v2, v0, v1
	v_mov_b32_e32 v0, v73
	buffer_store_dword v0, off, s[0:3], s32 offset:340 ; 4-byte Folded Spill
	buffer_store_dword v1, off, s[0:3], s32 offset:344 ; 4-byte Folded Spill
.LBB220_168:                            ;   in Loop: Header=BB220_10 Depth=1
	s_or_b32 exec_lo, exec_lo, s17
.LBB220_169:                            ;   in Loop: Header=BB220_10 Depth=1
	s_or_b32 exec_lo, exec_lo, s15
.LBB220_170:                            ;   in Loop: Header=BB220_10 Depth=1
	s_or_b32 exec_lo, exec_lo, s13
	flat_load_dword v0, v[12:13] offset:516
	v_mov_b32_e32 v1, 0
	v_mov_b32_e32 v2, 0
	buffer_store_dword v1, off, s[0:3], s32 offset:364 ; 4-byte Folded Spill
	buffer_store_dword v2, off, s[0:3], s32 offset:368 ; 4-byte Folded Spill
	v_mov_b32_e32 v1, 0
	v_mov_b32_e32 v2, 0
	buffer_store_dword v1, off, s[0:3], s32 offset:356 ; 4-byte Folded Spill
	buffer_store_dword v2, off, s[0:3], s32 offset:360 ; 4-byte Folded Spill
	s_waitcnt vmcnt(0) lgkmcnt(0)
	v_cmp_ne_u16_sdwa s5, v0, v73 src0_sel:BYTE_0 src1_sel:DWORD
	s_and_saveexec_b32 s13, s5
	s_cbranch_execz .LBB220_178
; %bb.171:                              ;   in Loop: Header=BB220_10 Depth=1
	v_bfrev_b32_e32 v1, 1
	v_mov_b32_e32 v2, 0
	v_cmp_ne_u16_sdwa s5, v0, v24 src0_sel:BYTE_0 src1_sel:DWORD
	buffer_store_dword v1, off, s[0:3], s32 offset:356 ; 4-byte Folded Spill
	buffer_store_dword v2, off, s[0:3], s32 offset:360 ; 4-byte Folded Spill
	s_and_saveexec_b32 s15, s5
	s_cbranch_execz .LBB220_177
; %bb.172:                              ;   in Loop: Header=BB220_10 Depth=1
	v_mov_b32_e32 v4, 0x7f800001
	v_and_b32_e32 v2, 0x7f, v0
	v_mov_b32_e32 v5, 0
	s_mov_b32 s17, exec_lo
	buffer_store_dword v4, off, s[0:3], s32 offset:356 ; 4-byte Folded Spill
	buffer_store_dword v5, off, s[0:3], s32 offset:360 ; 4-byte Folded Spill
	v_cmpx_ne_u32_e32 0x7f, v2
	s_cbranch_execz .LBB220_176
; %bb.173:                              ;   in Loop: Header=BB220_10 Depth=1
	v_and_b32_e32 v72, 7, v0
	v_lshrrev_b32_e32 v1, 3, v2
	s_mov_b32 s18, exec_lo
	v_cmpx_gt_u32_e32 8, v2
; %bb.174:                              ;   in Loop: Header=BB220_10 Depth=1
	v_ffbh_u32_e32 v1, v72
	v_min_u32_e32 v1, 32, v1
	v_subrev_nc_u32_e32 v2, 28, v1
	v_sub_nc_u32_e32 v1, 29, v1
	v_lshlrev_b64 v[4:5], v2, v[72:73]
	v_and_b32_e32 v72, 7, v4
; %bb.175:                              ;   in Loop: Header=BB220_10 Depth=1
	s_or_b32 exec_lo, exec_lo, s18
	v_lshlrev_b32_e32 v2, 24, v0
	v_lshlrev_b32_e32 v4, 20, v72
	v_lshl_add_u32 v1, v1, 23, 0x3c000000
	v_and_b32_e32 v2, 0x80000000, v2
	v_or3_b32 v72, v4, v2, v1
	buffer_store_dword v72, off, s[0:3], s32 offset:356 ; 4-byte Folded Spill
	buffer_store_dword v73, off, s[0:3], s32 offset:360 ; 4-byte Folded Spill
.LBB220_176:                            ;   in Loop: Header=BB220_10 Depth=1
	s_or_b32 exec_lo, exec_lo, s17
.LBB220_177:                            ;   in Loop: Header=BB220_10 Depth=1
	s_or_b32 exec_lo, exec_lo, s15
.LBB220_178:                            ;   in Loop: Header=BB220_10 Depth=1
	s_or_b32 exec_lo, exec_lo, s13
	v_cmp_ne_u16_sdwa s5, v0, v73 src0_sel:BYTE_1 src1_sel:DWORD
	s_and_saveexec_b32 s13, s5
	s_cbranch_execz .LBB220_186
; %bb.179:                              ;   in Loop: Header=BB220_10 Depth=1
	v_mov_b32_e32 v2, v73
	v_cmp_ne_u16_sdwa s5, v0, v24 src0_sel:BYTE_1 src1_sel:DWORD
	buffer_store_dword v2, off, s[0:3], s32 offset:364 ; 4-byte Folded Spill
	buffer_store_dword v3, off, s[0:3], s32 offset:368 ; 4-byte Folded Spill
	s_and_saveexec_b32 s15, s5
	s_cbranch_execz .LBB220_185
; %bb.180:                              ;   in Loop: Header=BB220_10 Depth=1
	v_mov_b32_e32 v1, 0xffff
	v_mov_b32_e32 v18, v73
	s_mov_b32 s17, exec_lo
	buffer_store_dword v18, off, s[0:3], s32 offset:364 ; 4-byte Folded Spill
	buffer_store_dword v19, off, s[0:3], s32 offset:368 ; 4-byte Folded Spill
	v_and_b32_sdwa v1, v1, v0 dst_sel:DWORD dst_unused:UNUSED_PAD src0_sel:DWORD src1_sel:BYTE_1
	v_and_b32_e32 v2, 0x7f, v1
	v_cmpx_ne_u32_e32 0x7f, v2
	s_cbranch_execz .LBB220_184
; %bb.181:                              ;   in Loop: Header=BB220_10 Depth=1
	v_and_b32_e32 v72, 7, v1
	v_lshrrev_b32_e32 v1, 3, v2
	s_mov_b32 s18, exec_lo
	v_cmpx_gt_u32_e32 8, v2
; %bb.182:                              ;   in Loop: Header=BB220_10 Depth=1
	v_ffbh_u32_e32 v1, v72
	v_min_u32_e32 v1, 32, v1
	v_subrev_nc_u32_e32 v2, 28, v1
	v_sub_nc_u32_e32 v1, 29, v1
	v_lshlrev_b64 v[4:5], v2, v[72:73]
	v_and_b32_e32 v72, 7, v4
; %bb.183:                              ;   in Loop: Header=BB220_10 Depth=1
	s_or_b32 exec_lo, exec_lo, s18
	v_lshlrev_b32_e32 v2, 16, v0
	v_lshlrev_b32_e32 v4, 20, v72
	v_lshl_add_u32 v1, v1, 23, 0x3c000000
	v_and_b32_e32 v2, 0x80000000, v2
	v_or3_b32 v2, v4, v2, v1
	v_mov_b32_e32 v1, v73
	buffer_store_dword v1, off, s[0:3], s32 offset:364 ; 4-byte Folded Spill
	buffer_store_dword v2, off, s[0:3], s32 offset:368 ; 4-byte Folded Spill
.LBB220_184:                            ;   in Loop: Header=BB220_10 Depth=1
	s_or_b32 exec_lo, exec_lo, s17
.LBB220_185:                            ;   in Loop: Header=BB220_10 Depth=1
	s_or_b32 exec_lo, exec_lo, s15
.LBB220_186:                            ;   in Loop: Header=BB220_10 Depth=1
	s_or_b32 exec_lo, exec_lo, s13
	v_mov_b32_e32 v4, 0
	v_mov_b32_e32 v5, 0
	v_and_b32_sdwa v1, v0, v25 dst_sel:DWORD dst_unused:UNUSED_PAD src0_sel:WORD_1 src1_sel:DWORD
	s_mov_b32 s13, exec_lo
	buffer_store_dword v4, off, s[0:3], s32 offset:372 ; 4-byte Folded Spill
	buffer_store_dword v5, off, s[0:3], s32 offset:376 ; 4-byte Folded Spill
	v_mov_b32_e32 v4, 0
	v_mov_b32_e32 v5, 0
	buffer_store_dword v4, off, s[0:3], s32 offset:380 ; 4-byte Folded Spill
	buffer_store_dword v5, off, s[0:3], s32 offset:384 ; 4-byte Folded Spill
	v_cmpx_ne_u16_e32 0, v1
	s_cbranch_execz .LBB220_194
; %bb.187:                              ;   in Loop: Header=BB220_10 Depth=1
	v_cmp_ne_u16_e64 s5, 0x80, v1
	v_bfrev_b32_e32 v1, 1
	v_mov_b32_e32 v2, 0
	buffer_store_dword v1, off, s[0:3], s32 offset:380 ; 4-byte Folded Spill
	buffer_store_dword v2, off, s[0:3], s32 offset:384 ; 4-byte Folded Spill
	s_and_saveexec_b32 s15, s5
	s_cbranch_execz .LBB220_193
; %bb.188:                              ;   in Loop: Header=BB220_10 Depth=1
	v_mov_b32_e32 v4, 0x7f800001
	v_bfe_u32 v2, v0, 16, 7
	v_mov_b32_e32 v5, 0
	s_mov_b32 s17, exec_lo
	buffer_store_dword v4, off, s[0:3], s32 offset:380 ; 4-byte Folded Spill
	buffer_store_dword v5, off, s[0:3], s32 offset:384 ; 4-byte Folded Spill
	v_cmpx_ne_u32_e32 0x7f, v2
	s_cbranch_execz .LBB220_192
; %bb.189:                              ;   in Loop: Header=BB220_10 Depth=1
	v_mov_b32_e32 v1, 7
	s_mov_b32 s18, exec_lo
	v_and_b32_sdwa v72, v0, v1 dst_sel:DWORD dst_unused:UNUSED_PAD src0_sel:WORD_1 src1_sel:DWORD
	v_lshrrev_b32_e32 v1, 3, v2
	v_cmpx_gt_u32_e32 8, v2
; %bb.190:                              ;   in Loop: Header=BB220_10 Depth=1
	v_ffbh_u32_e32 v1, v72
	v_min_u32_e32 v1, 32, v1
	v_subrev_nc_u32_e32 v2, 28, v1
	v_sub_nc_u32_e32 v1, 29, v1
	v_lshlrev_b64 v[4:5], v2, v[72:73]
	v_and_b32_e32 v72, 7, v4
; %bb.191:                              ;   in Loop: Header=BB220_10 Depth=1
	s_or_b32 exec_lo, exec_lo, s18
	v_mov_b32_e32 v2, 24
	v_lshlrev_b32_e32 v4, 20, v72
	v_lshl_add_u32 v1, v1, 23, 0x3c000000
	v_lshlrev_b32_sdwa v2, v2, v0 dst_sel:DWORD dst_unused:UNUSED_PAD src0_sel:DWORD src1_sel:WORD_1
	v_and_b32_e32 v2, 0x80000000, v2
	v_or3_b32 v72, v4, v2, v1
	buffer_store_dword v72, off, s[0:3], s32 offset:380 ; 4-byte Folded Spill
	buffer_store_dword v73, off, s[0:3], s32 offset:384 ; 4-byte Folded Spill
.LBB220_192:                            ;   in Loop: Header=BB220_10 Depth=1
	s_or_b32 exec_lo, exec_lo, s17
.LBB220_193:                            ;   in Loop: Header=BB220_10 Depth=1
	s_or_b32 exec_lo, exec_lo, s15
.LBB220_194:                            ;   in Loop: Header=BB220_10 Depth=1
	s_or_b32 exec_lo, exec_lo, s13
	s_mov_b32 s13, exec_lo
	v_cmpx_lt_u32_e32 0xffffff, v0
	s_cbranch_execz .LBB220_202
; %bb.195:                              ;   in Loop: Header=BB220_10 Depth=1
	v_mov_b32_e32 v2, v73
	v_cmp_ne_u32_sdwa s5, v0, v24 src0_sel:BYTE_3 src1_sel:DWORD
	buffer_store_dword v2, off, s[0:3], s32 offset:372 ; 4-byte Folded Spill
	buffer_store_dword v3, off, s[0:3], s32 offset:376 ; 4-byte Folded Spill
	s_and_saveexec_b32 s15, s5
	s_cbranch_execz .LBB220_201
; %bb.196:                              ;   in Loop: Header=BB220_10 Depth=1
	v_bfe_u32 v2, v0, 24, 7
	v_mov_b32_e32 v18, v73
	s_mov_b32 s17, exec_lo
	buffer_store_dword v18, off, s[0:3], s32 offset:372 ; 4-byte Folded Spill
	buffer_store_dword v19, off, s[0:3], s32 offset:376 ; 4-byte Folded Spill
	v_cmpx_ne_u32_e32 0x7f, v2
	s_cbranch_execz .LBB220_200
; %bb.197:                              ;   in Loop: Header=BB220_10 Depth=1
	v_mov_b32_e32 v1, 7
	s_mov_b32 s18, exec_lo
	v_and_b32_sdwa v72, v0, v1 dst_sel:DWORD dst_unused:UNUSED_PAD src0_sel:BYTE_3 src1_sel:DWORD
	v_lshrrev_b32_e32 v1, 3, v2
	v_cmpx_gt_u32_e32 8, v2
; %bb.198:                              ;   in Loop: Header=BB220_10 Depth=1
	v_ffbh_u32_e32 v1, v72
	v_min_u32_e32 v1, 32, v1
	v_subrev_nc_u32_e32 v2, 28, v1
	v_sub_nc_u32_e32 v1, 29, v1
	v_lshlrev_b64 v[4:5], v2, v[72:73]
	v_and_b32_e32 v72, 7, v4
; %bb.199:                              ;   in Loop: Header=BB220_10 Depth=1
	s_or_b32 exec_lo, exec_lo, s18
	v_mov_b32_e32 v2, 24
	v_lshl_add_u32 v1, v1, 23, 0x3c000000
	v_lshlrev_b32_sdwa v0, v2, v0 dst_sel:DWORD dst_unused:UNUSED_PAD src0_sel:DWORD src1_sel:BYTE_3
	v_lshlrev_b32_e32 v2, 20, v72
	v_and_b32_e32 v0, 0x80000000, v0
	v_or3_b32 v1, v2, v0, v1
	v_mov_b32_e32 v0, v73
	buffer_store_dword v0, off, s[0:3], s32 offset:372 ; 4-byte Folded Spill
	buffer_store_dword v1, off, s[0:3], s32 offset:376 ; 4-byte Folded Spill
.LBB220_200:                            ;   in Loop: Header=BB220_10 Depth=1
	s_or_b32 exec_lo, exec_lo, s17
.LBB220_201:                            ;   in Loop: Header=BB220_10 Depth=1
	s_or_b32 exec_lo, exec_lo, s15
.LBB220_202:                            ;   in Loop: Header=BB220_10 Depth=1
	s_or_b32 exec_lo, exec_lo, s13
	flat_load_dword v0, v[12:13] offset:520
	v_mov_b32_e32 v32, 0
	v_mov_b32_e32 v1, 0
	;; [unrolled: 1-line block ×4, first 2 shown]
	buffer_store_dword v1, off, s[0:3], s32 offset:388 ; 4-byte Folded Spill
	buffer_store_dword v2, off, s[0:3], s32 offset:392 ; 4-byte Folded Spill
	s_waitcnt vmcnt(0) lgkmcnt(0)
	v_cmp_ne_u16_sdwa s5, v0, v73 src0_sel:BYTE_0 src1_sel:DWORD
	s_and_saveexec_b32 s13, s5
	s_cbranch_execz .LBB220_210
; %bb.203:                              ;   in Loop: Header=BB220_10 Depth=1
	v_bfrev_b32_e32 v1, 1
	v_mov_b32_e32 v2, 0
	v_cmp_ne_u16_sdwa s5, v0, v24 src0_sel:BYTE_0 src1_sel:DWORD
	buffer_store_dword v1, off, s[0:3], s32 offset:388 ; 4-byte Folded Spill
	buffer_store_dword v2, off, s[0:3], s32 offset:392 ; 4-byte Folded Spill
	s_and_saveexec_b32 s15, s5
	s_cbranch_execz .LBB220_209
; %bb.204:                              ;   in Loop: Header=BB220_10 Depth=1
	v_mov_b32_e32 v4, 0x7f800001
	v_and_b32_e32 v2, 0x7f, v0
	v_mov_b32_e32 v5, 0
	s_mov_b32 s17, exec_lo
	buffer_store_dword v4, off, s[0:3], s32 offset:388 ; 4-byte Folded Spill
	buffer_store_dword v5, off, s[0:3], s32 offset:392 ; 4-byte Folded Spill
	v_cmpx_ne_u32_e32 0x7f, v2
	s_cbranch_execz .LBB220_208
; %bb.205:                              ;   in Loop: Header=BB220_10 Depth=1
	v_and_b32_e32 v72, 7, v0
	v_lshrrev_b32_e32 v1, 3, v2
	s_mov_b32 s18, exec_lo
	v_cmpx_gt_u32_e32 8, v2
; %bb.206:                              ;   in Loop: Header=BB220_10 Depth=1
	v_ffbh_u32_e32 v1, v72
	v_min_u32_e32 v1, 32, v1
	v_subrev_nc_u32_e32 v2, 28, v1
	v_sub_nc_u32_e32 v1, 29, v1
	v_lshlrev_b64 v[4:5], v2, v[72:73]
	v_and_b32_e32 v72, 7, v4
; %bb.207:                              ;   in Loop: Header=BB220_10 Depth=1
	s_or_b32 exec_lo, exec_lo, s18
	v_lshlrev_b32_e32 v2, 24, v0
	v_lshlrev_b32_e32 v4, 20, v72
	v_lshl_add_u32 v1, v1, 23, 0x3c000000
	v_and_b32_e32 v2, 0x80000000, v2
	v_or3_b32 v72, v4, v2, v1
	buffer_store_dword v72, off, s[0:3], s32 offset:388 ; 4-byte Folded Spill
	buffer_store_dword v73, off, s[0:3], s32 offset:392 ; 4-byte Folded Spill
.LBB220_208:                            ;   in Loop: Header=BB220_10 Depth=1
	s_or_b32 exec_lo, exec_lo, s17
.LBB220_209:                            ;   in Loop: Header=BB220_10 Depth=1
	s_or_b32 exec_lo, exec_lo, s15
.LBB220_210:                            ;   in Loop: Header=BB220_10 Depth=1
	s_or_b32 exec_lo, exec_lo, s13
	v_cmp_ne_u16_sdwa s5, v0, v73 src0_sel:BYTE_1 src1_sel:DWORD
	s_and_saveexec_b32 s13, s5
	s_cbranch_execz .LBB220_218
; %bb.211:                              ;   in Loop: Header=BB220_10 Depth=1
	v_mov_b32_e32 v2, v73
	v_mov_b32_e32 v33, v3
	v_cmp_ne_u16_sdwa s5, v0, v24 src0_sel:BYTE_1 src1_sel:DWORD
	v_mov_b32_e32 v32, v2
	s_and_saveexec_b32 s15, s5
	s_cbranch_execz .LBB220_217
; %bb.212:                              ;   in Loop: Header=BB220_10 Depth=1
	v_mov_b32_e32 v1, 0xffff
	v_mov_b32_e32 v18, v73
	;; [unrolled: 1-line block ×3, first 2 shown]
	s_mov_b32 s17, exec_lo
	v_and_b32_sdwa v1, v1, v0 dst_sel:DWORD dst_unused:UNUSED_PAD src0_sel:DWORD src1_sel:BYTE_1
	v_mov_b32_e32 v32, v18
	v_and_b32_e32 v2, 0x7f, v1
	v_cmpx_ne_u32_e32 0x7f, v2
	s_cbranch_execz .LBB220_216
; %bb.213:                              ;   in Loop: Header=BB220_10 Depth=1
	v_and_b32_e32 v72, 7, v1
	v_lshrrev_b32_e32 v1, 3, v2
	s_mov_b32 s18, exec_lo
	v_cmpx_gt_u32_e32 8, v2
; %bb.214:                              ;   in Loop: Header=BB220_10 Depth=1
	v_ffbh_u32_e32 v1, v72
	v_min_u32_e32 v1, 32, v1
	v_subrev_nc_u32_e32 v2, 28, v1
	v_sub_nc_u32_e32 v1, 29, v1
	v_lshlrev_b64 v[4:5], v2, v[72:73]
	v_and_b32_e32 v72, 7, v4
; %bb.215:                              ;   in Loop: Header=BB220_10 Depth=1
	s_or_b32 exec_lo, exec_lo, s18
	v_lshlrev_b32_e32 v2, 16, v0
	v_lshlrev_b32_e32 v4, 20, v72
	v_lshl_add_u32 v1, v1, 23, 0x3c000000
	v_mov_b32_e32 v32, v73
	v_and_b32_e32 v2, 0x80000000, v2
	v_or3_b32 v33, v4, v2, v1
.LBB220_216:                            ;   in Loop: Header=BB220_10 Depth=1
	s_or_b32 exec_lo, exec_lo, s17
.LBB220_217:                            ;   in Loop: Header=BB220_10 Depth=1
	s_or_b32 exec_lo, exec_lo, s15
.LBB220_218:                            ;   in Loop: Header=BB220_10 Depth=1
	s_or_b32 exec_lo, exec_lo, s13
	v_mov_b32_e32 v34, 0
	v_mov_b32_e32 v36, 0
	v_and_b32_sdwa v1, v0, v25 dst_sel:DWORD dst_unused:UNUSED_PAD src0_sel:WORD_1 src1_sel:DWORD
	v_mov_b32_e32 v35, 0
	v_mov_b32_e32 v37, 0
	s_mov_b32 s13, exec_lo
	v_cmpx_ne_u16_e32 0, v1
	s_cbranch_execz .LBB220_226
; %bb.219:                              ;   in Loop: Header=BB220_10 Depth=1
	v_bfrev_b32_e32 v36, 1
	v_mov_b32_e32 v37, 0
	s_mov_b32 s15, exec_lo
	v_cmpx_ne_u16_e32 0x80, v1
	s_cbranch_execz .LBB220_225
; %bb.220:                              ;   in Loop: Header=BB220_10 Depth=1
	v_mov_b32_e32 v36, 0x7f800001
	v_bfe_u32 v2, v0, 16, 7
	v_mov_b32_e32 v37, 0
	s_mov_b32 s17, exec_lo
	v_cmpx_ne_u32_e32 0x7f, v2
	s_cbranch_execz .LBB220_224
; %bb.221:                              ;   in Loop: Header=BB220_10 Depth=1
	v_mov_b32_e32 v1, 7
	s_mov_b32 s18, exec_lo
	v_and_b32_sdwa v72, v0, v1 dst_sel:DWORD dst_unused:UNUSED_PAD src0_sel:WORD_1 src1_sel:DWORD
	v_lshrrev_b32_e32 v1, 3, v2
	v_cmpx_gt_u32_e32 8, v2
; %bb.222:                              ;   in Loop: Header=BB220_10 Depth=1
	v_ffbh_u32_e32 v1, v72
	v_min_u32_e32 v1, 32, v1
	v_subrev_nc_u32_e32 v2, 28, v1
	v_sub_nc_u32_e32 v1, 29, v1
	v_lshlrev_b64 v[4:5], v2, v[72:73]
	v_and_b32_e32 v72, 7, v4
; %bb.223:                              ;   in Loop: Header=BB220_10 Depth=1
	s_or_b32 exec_lo, exec_lo, s18
	v_mov_b32_e32 v2, 24
	v_lshlrev_b32_e32 v4, 20, v72
	v_lshl_add_u32 v1, v1, 23, 0x3c000000
	v_lshlrev_b32_sdwa v2, v2, v0 dst_sel:DWORD dst_unused:UNUSED_PAD src0_sel:DWORD src1_sel:WORD_1
	v_and_b32_e32 v2, 0x80000000, v2
	v_or3_b32 v72, v4, v2, v1
	v_mov_b32_e32 v36, v72
	v_mov_b32_e32 v37, v73
.LBB220_224:                            ;   in Loop: Header=BB220_10 Depth=1
	s_or_b32 exec_lo, exec_lo, s17
.LBB220_225:                            ;   in Loop: Header=BB220_10 Depth=1
	s_or_b32 exec_lo, exec_lo, s15
.LBB220_226:                            ;   in Loop: Header=BB220_10 Depth=1
	s_or_b32 exec_lo, exec_lo, s13
	s_mov_b32 s13, exec_lo
	v_cmpx_lt_u32_e32 0xffffff, v0
	s_cbranch_execz .LBB220_234
; %bb.227:                              ;   in Loop: Header=BB220_10 Depth=1
	v_mov_b32_e32 v2, v73
	v_mov_b32_e32 v35, v3
	v_cmp_ne_u32_sdwa s5, v0, v24 src0_sel:BYTE_3 src1_sel:DWORD
	v_mov_b32_e32 v34, v2
	s_and_saveexec_b32 s15, s5
	s_cbranch_execz .LBB220_233
; %bb.228:                              ;   in Loop: Header=BB220_10 Depth=1
	v_mov_b32_e32 v18, v73
	v_mov_b32_e32 v35, v19
	v_bfe_u32 v2, v0, 24, 7
	s_mov_b32 s17, exec_lo
	v_mov_b32_e32 v34, v18
	v_cmpx_ne_u32_e32 0x7f, v2
	s_cbranch_execz .LBB220_232
; %bb.229:                              ;   in Loop: Header=BB220_10 Depth=1
	v_mov_b32_e32 v1, 7
	s_mov_b32 s18, exec_lo
	v_and_b32_sdwa v72, v0, v1 dst_sel:DWORD dst_unused:UNUSED_PAD src0_sel:BYTE_3 src1_sel:DWORD
	v_lshrrev_b32_e32 v1, 3, v2
	v_cmpx_gt_u32_e32 8, v2
; %bb.230:                              ;   in Loop: Header=BB220_10 Depth=1
	v_ffbh_u32_e32 v1, v72
	v_min_u32_e32 v1, 32, v1
	v_subrev_nc_u32_e32 v2, 28, v1
	v_sub_nc_u32_e32 v1, 29, v1
	v_lshlrev_b64 v[4:5], v2, v[72:73]
	v_and_b32_e32 v72, 7, v4
; %bb.231:                              ;   in Loop: Header=BB220_10 Depth=1
	s_or_b32 exec_lo, exec_lo, s18
	v_mov_b32_e32 v2, 24
	v_lshl_add_u32 v1, v1, 23, 0x3c000000
	v_mov_b32_e32 v34, v73
	v_lshlrev_b32_sdwa v0, v2, v0 dst_sel:DWORD dst_unused:UNUSED_PAD src0_sel:DWORD src1_sel:BYTE_3
	v_lshlrev_b32_e32 v2, 20, v72
	v_and_b32_e32 v0, 0x80000000, v0
	v_or3_b32 v35, v2, v0, v1
.LBB220_232:                            ;   in Loop: Header=BB220_10 Depth=1
	s_or_b32 exec_lo, exec_lo, s17
.LBB220_233:                            ;   in Loop: Header=BB220_10 Depth=1
	s_or_b32 exec_lo, exec_lo, s15
.LBB220_234:                            ;   in Loop: Header=BB220_10 Depth=1
	s_or_b32 exec_lo, exec_lo, s13
	flat_load_dword v0, v[12:13] offset:524
	v_mov_b32_e32 v48, 0
	v_mov_b32_e32 v38, 0
	;; [unrolled: 1-line block ×4, first 2 shown]
	s_waitcnt vmcnt(0) lgkmcnt(0)
	v_cmp_ne_u16_sdwa s5, v0, v73 src0_sel:BYTE_0 src1_sel:DWORD
	s_and_saveexec_b32 s13, s5
	s_cbranch_execz .LBB220_242
; %bb.235:                              ;   in Loop: Header=BB220_10 Depth=1
	v_bfrev_b32_e32 v38, 1
	v_mov_b32_e32 v39, 0
	v_cmp_ne_u16_sdwa s5, v0, v24 src0_sel:BYTE_0 src1_sel:DWORD
	s_and_saveexec_b32 s15, s5
	s_cbranch_execz .LBB220_241
; %bb.236:                              ;   in Loop: Header=BB220_10 Depth=1
	v_mov_b32_e32 v38, 0x7f800001
	v_and_b32_e32 v2, 0x7f, v0
	v_mov_b32_e32 v39, 0
	s_mov_b32 s17, exec_lo
	v_cmpx_ne_u32_e32 0x7f, v2
	s_cbranch_execz .LBB220_240
; %bb.237:                              ;   in Loop: Header=BB220_10 Depth=1
	v_and_b32_e32 v72, 7, v0
	v_lshrrev_b32_e32 v1, 3, v2
	s_mov_b32 s18, exec_lo
	v_cmpx_gt_u32_e32 8, v2
; %bb.238:                              ;   in Loop: Header=BB220_10 Depth=1
	v_ffbh_u32_e32 v1, v72
	v_min_u32_e32 v1, 32, v1
	v_subrev_nc_u32_e32 v2, 28, v1
	v_sub_nc_u32_e32 v1, 29, v1
	v_lshlrev_b64 v[4:5], v2, v[72:73]
	v_and_b32_e32 v72, 7, v4
; %bb.239:                              ;   in Loop: Header=BB220_10 Depth=1
	s_or_b32 exec_lo, exec_lo, s18
	v_lshlrev_b32_e32 v2, 24, v0
	v_lshlrev_b32_e32 v4, 20, v72
	v_lshl_add_u32 v1, v1, 23, 0x3c000000
	v_and_b32_e32 v2, 0x80000000, v2
	v_or3_b32 v72, v4, v2, v1
	v_mov_b32_e32 v38, v72
	v_mov_b32_e32 v39, v73
.LBB220_240:                            ;   in Loop: Header=BB220_10 Depth=1
	s_or_b32 exec_lo, exec_lo, s17
.LBB220_241:                            ;   in Loop: Header=BB220_10 Depth=1
	s_or_b32 exec_lo, exec_lo, s15
.LBB220_242:                            ;   in Loop: Header=BB220_10 Depth=1
	s_or_b32 exec_lo, exec_lo, s13
	v_cmp_ne_u16_sdwa s5, v0, v73 src0_sel:BYTE_1 src1_sel:DWORD
	s_and_saveexec_b32 s13, s5
	s_cbranch_execz .LBB220_250
; %bb.243:                              ;   in Loop: Header=BB220_10 Depth=1
	v_mov_b32_e32 v2, v73
	v_mov_b32_e32 v49, v3
	v_cmp_ne_u16_sdwa s5, v0, v24 src0_sel:BYTE_1 src1_sel:DWORD
	v_mov_b32_e32 v48, v2
	s_and_saveexec_b32 s15, s5
	s_cbranch_execz .LBB220_249
; %bb.244:                              ;   in Loop: Header=BB220_10 Depth=1
	v_mov_b32_e32 v1, 0xffff
	v_mov_b32_e32 v18, v73
	;; [unrolled: 1-line block ×3, first 2 shown]
	s_mov_b32 s17, exec_lo
	v_and_b32_sdwa v1, v1, v0 dst_sel:DWORD dst_unused:UNUSED_PAD src0_sel:DWORD src1_sel:BYTE_1
	v_mov_b32_e32 v48, v18
	v_and_b32_e32 v2, 0x7f, v1
	v_cmpx_ne_u32_e32 0x7f, v2
	s_cbranch_execz .LBB220_248
; %bb.245:                              ;   in Loop: Header=BB220_10 Depth=1
	v_and_b32_e32 v72, 7, v1
	v_lshrrev_b32_e32 v1, 3, v2
	s_mov_b32 s18, exec_lo
	v_cmpx_gt_u32_e32 8, v2
; %bb.246:                              ;   in Loop: Header=BB220_10 Depth=1
	v_ffbh_u32_e32 v1, v72
	v_min_u32_e32 v1, 32, v1
	v_subrev_nc_u32_e32 v2, 28, v1
	v_sub_nc_u32_e32 v1, 29, v1
	v_lshlrev_b64 v[4:5], v2, v[72:73]
	v_and_b32_e32 v72, 7, v4
; %bb.247:                              ;   in Loop: Header=BB220_10 Depth=1
	s_or_b32 exec_lo, exec_lo, s18
	v_lshlrev_b32_e32 v2, 16, v0
	v_lshlrev_b32_e32 v4, 20, v72
	v_lshl_add_u32 v1, v1, 23, 0x3c000000
	v_mov_b32_e32 v48, v73
	v_and_b32_e32 v2, 0x80000000, v2
	v_or3_b32 v49, v4, v2, v1
.LBB220_248:                            ;   in Loop: Header=BB220_10 Depth=1
	s_or_b32 exec_lo, exec_lo, s17
.LBB220_249:                            ;   in Loop: Header=BB220_10 Depth=1
	s_or_b32 exec_lo, exec_lo, s15
.LBB220_250:                            ;   in Loop: Header=BB220_10 Depth=1
	s_or_b32 exec_lo, exec_lo, s13
	v_mov_b32_e32 v50, 0
	v_mov_b32_e32 v52, 0
	v_and_b32_sdwa v1, v0, v25 dst_sel:DWORD dst_unused:UNUSED_PAD src0_sel:WORD_1 src1_sel:DWORD
	v_mov_b32_e32 v51, 0
	v_mov_b32_e32 v53, 0
	s_mov_b32 s13, exec_lo
	v_cmpx_ne_u16_e32 0, v1
	s_cbranch_execz .LBB220_258
; %bb.251:                              ;   in Loop: Header=BB220_10 Depth=1
	v_bfrev_b32_e32 v52, 1
	v_mov_b32_e32 v53, 0
	s_mov_b32 s15, exec_lo
	v_cmpx_ne_u16_e32 0x80, v1
	s_cbranch_execz .LBB220_257
; %bb.252:                              ;   in Loop: Header=BB220_10 Depth=1
	v_mov_b32_e32 v52, 0x7f800001
	v_bfe_u32 v2, v0, 16, 7
	v_mov_b32_e32 v53, 0
	s_mov_b32 s17, exec_lo
	v_cmpx_ne_u32_e32 0x7f, v2
	s_cbranch_execz .LBB220_256
; %bb.253:                              ;   in Loop: Header=BB220_10 Depth=1
	v_mov_b32_e32 v1, 7
	s_mov_b32 s18, exec_lo
	v_and_b32_sdwa v72, v0, v1 dst_sel:DWORD dst_unused:UNUSED_PAD src0_sel:WORD_1 src1_sel:DWORD
	v_lshrrev_b32_e32 v1, 3, v2
	v_cmpx_gt_u32_e32 8, v2
; %bb.254:                              ;   in Loop: Header=BB220_10 Depth=1
	v_ffbh_u32_e32 v1, v72
	v_min_u32_e32 v1, 32, v1
	v_subrev_nc_u32_e32 v2, 28, v1
	v_sub_nc_u32_e32 v1, 29, v1
	v_lshlrev_b64 v[4:5], v2, v[72:73]
	v_and_b32_e32 v72, 7, v4
; %bb.255:                              ;   in Loop: Header=BB220_10 Depth=1
	s_or_b32 exec_lo, exec_lo, s18
	v_mov_b32_e32 v2, 24
	v_lshlrev_b32_e32 v4, 20, v72
	v_lshl_add_u32 v1, v1, 23, 0x3c000000
	v_lshlrev_b32_sdwa v2, v2, v0 dst_sel:DWORD dst_unused:UNUSED_PAD src0_sel:DWORD src1_sel:WORD_1
	v_and_b32_e32 v2, 0x80000000, v2
	v_or3_b32 v72, v4, v2, v1
	v_mov_b32_e32 v52, v72
	v_mov_b32_e32 v53, v73
.LBB220_256:                            ;   in Loop: Header=BB220_10 Depth=1
	s_or_b32 exec_lo, exec_lo, s17
.LBB220_257:                            ;   in Loop: Header=BB220_10 Depth=1
	s_or_b32 exec_lo, exec_lo, s15
.LBB220_258:                            ;   in Loop: Header=BB220_10 Depth=1
	s_or_b32 exec_lo, exec_lo, s13
	s_mov_b32 s13, exec_lo
	v_cmpx_lt_u32_e32 0xffffff, v0
	s_cbranch_execz .LBB220_266
; %bb.259:                              ;   in Loop: Header=BB220_10 Depth=1
	v_mov_b32_e32 v2, v73
	v_mov_b32_e32 v51, v3
	v_cmp_ne_u32_sdwa s5, v0, v24 src0_sel:BYTE_3 src1_sel:DWORD
	v_mov_b32_e32 v50, v2
	s_and_saveexec_b32 s15, s5
	s_cbranch_execz .LBB220_265
; %bb.260:                              ;   in Loop: Header=BB220_10 Depth=1
	v_mov_b32_e32 v18, v73
	v_mov_b32_e32 v51, v19
	v_bfe_u32 v2, v0, 24, 7
	s_mov_b32 s17, exec_lo
	v_mov_b32_e32 v50, v18
	v_cmpx_ne_u32_e32 0x7f, v2
	s_cbranch_execz .LBB220_264
; %bb.261:                              ;   in Loop: Header=BB220_10 Depth=1
	v_mov_b32_e32 v1, 7
	s_mov_b32 s18, exec_lo
	v_and_b32_sdwa v72, v0, v1 dst_sel:DWORD dst_unused:UNUSED_PAD src0_sel:BYTE_3 src1_sel:DWORD
	v_lshrrev_b32_e32 v1, 3, v2
	v_cmpx_gt_u32_e32 8, v2
; %bb.262:                              ;   in Loop: Header=BB220_10 Depth=1
	v_ffbh_u32_e32 v1, v72
	v_min_u32_e32 v1, 32, v1
	v_subrev_nc_u32_e32 v2, 28, v1
	v_sub_nc_u32_e32 v1, 29, v1
	v_lshlrev_b64 v[4:5], v2, v[72:73]
	v_and_b32_e32 v72, 7, v4
; %bb.263:                              ;   in Loop: Header=BB220_10 Depth=1
	s_or_b32 exec_lo, exec_lo, s18
	v_mov_b32_e32 v2, 24
	v_lshl_add_u32 v1, v1, 23, 0x3c000000
	v_mov_b32_e32 v50, v73
	v_lshlrev_b32_sdwa v0, v2, v0 dst_sel:DWORD dst_unused:UNUSED_PAD src0_sel:DWORD src1_sel:BYTE_3
	v_lshlrev_b32_e32 v2, 20, v72
	v_and_b32_e32 v0, 0x80000000, v0
	v_or3_b32 v51, v2, v0, v1
.LBB220_264:                            ;   in Loop: Header=BB220_10 Depth=1
	s_or_b32 exec_lo, exec_lo, s17
.LBB220_265:                            ;   in Loop: Header=BB220_10 Depth=1
	s_or_b32 exec_lo, exec_lo, s15
.LBB220_266:                            ;   in Loop: Header=BB220_10 Depth=1
	s_or_b32 exec_lo, exec_lo, s13
	flat_load_dword v0, v[12:13] offset:1024
	v_mov_b32_e32 v64, 0
	v_mov_b32_e32 v54, 0
	v_mov_b32_e32 v65, 0
	v_mov_b32_e32 v55, 0
	s_waitcnt vmcnt(0) lgkmcnt(0)
	v_cmp_ne_u16_sdwa s5, v0, v73 src0_sel:BYTE_0 src1_sel:DWORD
	s_and_saveexec_b32 s13, s5
	s_cbranch_execz .LBB220_274
; %bb.267:                              ;   in Loop: Header=BB220_10 Depth=1
	v_bfrev_b32_e32 v54, 1
	v_mov_b32_e32 v55, 0
	v_cmp_ne_u16_sdwa s5, v0, v24 src0_sel:BYTE_0 src1_sel:DWORD
	s_and_saveexec_b32 s15, s5
	s_cbranch_execz .LBB220_273
; %bb.268:                              ;   in Loop: Header=BB220_10 Depth=1
	v_mov_b32_e32 v54, 0x7f800001
	v_and_b32_e32 v2, 0x7f, v0
	v_mov_b32_e32 v55, 0
	s_mov_b32 s17, exec_lo
	v_cmpx_ne_u32_e32 0x7f, v2
	s_cbranch_execz .LBB220_272
; %bb.269:                              ;   in Loop: Header=BB220_10 Depth=1
	v_and_b32_e32 v72, 7, v0
	v_lshrrev_b32_e32 v1, 3, v2
	s_mov_b32 s18, exec_lo
	v_cmpx_gt_u32_e32 8, v2
; %bb.270:                              ;   in Loop: Header=BB220_10 Depth=1
	v_ffbh_u32_e32 v1, v72
	v_min_u32_e32 v1, 32, v1
	v_subrev_nc_u32_e32 v2, 28, v1
	v_sub_nc_u32_e32 v1, 29, v1
	v_lshlrev_b64 v[4:5], v2, v[72:73]
	v_and_b32_e32 v72, 7, v4
; %bb.271:                              ;   in Loop: Header=BB220_10 Depth=1
	s_or_b32 exec_lo, exec_lo, s18
	v_lshlrev_b32_e32 v2, 24, v0
	v_lshlrev_b32_e32 v4, 20, v72
	v_lshl_add_u32 v1, v1, 23, 0x3c000000
	v_and_b32_e32 v2, 0x80000000, v2
	v_or3_b32 v72, v4, v2, v1
	v_mov_b32_e32 v54, v72
	v_mov_b32_e32 v55, v73
.LBB220_272:                            ;   in Loop: Header=BB220_10 Depth=1
	s_or_b32 exec_lo, exec_lo, s17
.LBB220_273:                            ;   in Loop: Header=BB220_10 Depth=1
	s_or_b32 exec_lo, exec_lo, s15
.LBB220_274:                            ;   in Loop: Header=BB220_10 Depth=1
	s_or_b32 exec_lo, exec_lo, s13
	v_cmp_ne_u16_sdwa s5, v0, v73 src0_sel:BYTE_1 src1_sel:DWORD
	s_and_saveexec_b32 s13, s5
	s_cbranch_execz .LBB220_282
; %bb.275:                              ;   in Loop: Header=BB220_10 Depth=1
	v_mov_b32_e32 v2, v73
	v_mov_b32_e32 v65, v3
	v_cmp_ne_u16_sdwa s5, v0, v24 src0_sel:BYTE_1 src1_sel:DWORD
	v_mov_b32_e32 v64, v2
	s_and_saveexec_b32 s15, s5
	s_cbranch_execz .LBB220_281
; %bb.276:                              ;   in Loop: Header=BB220_10 Depth=1
	v_mov_b32_e32 v1, 0xffff
	v_mov_b32_e32 v18, v73
	;; [unrolled: 1-line block ×3, first 2 shown]
	s_mov_b32 s17, exec_lo
	v_and_b32_sdwa v1, v1, v0 dst_sel:DWORD dst_unused:UNUSED_PAD src0_sel:DWORD src1_sel:BYTE_1
	v_mov_b32_e32 v64, v18
	v_and_b32_e32 v2, 0x7f, v1
	v_cmpx_ne_u32_e32 0x7f, v2
	s_cbranch_execz .LBB220_280
; %bb.277:                              ;   in Loop: Header=BB220_10 Depth=1
	v_and_b32_e32 v72, 7, v1
	v_lshrrev_b32_e32 v1, 3, v2
	s_mov_b32 s18, exec_lo
	v_cmpx_gt_u32_e32 8, v2
; %bb.278:                              ;   in Loop: Header=BB220_10 Depth=1
	v_ffbh_u32_e32 v1, v72
	v_min_u32_e32 v1, 32, v1
	v_subrev_nc_u32_e32 v2, 28, v1
	v_sub_nc_u32_e32 v1, 29, v1
	v_lshlrev_b64 v[4:5], v2, v[72:73]
	v_and_b32_e32 v72, 7, v4
; %bb.279:                              ;   in Loop: Header=BB220_10 Depth=1
	s_or_b32 exec_lo, exec_lo, s18
	v_lshlrev_b32_e32 v2, 16, v0
	v_lshlrev_b32_e32 v4, 20, v72
	v_lshl_add_u32 v1, v1, 23, 0x3c000000
	v_mov_b32_e32 v64, v73
	v_and_b32_e32 v2, 0x80000000, v2
	v_or3_b32 v65, v4, v2, v1
.LBB220_280:                            ;   in Loop: Header=BB220_10 Depth=1
	s_or_b32 exec_lo, exec_lo, s17
.LBB220_281:                            ;   in Loop: Header=BB220_10 Depth=1
	s_or_b32 exec_lo, exec_lo, s15
.LBB220_282:                            ;   in Loop: Header=BB220_10 Depth=1
	s_or_b32 exec_lo, exec_lo, s13
	v_mov_b32_e32 v66, 0
	v_mov_b32_e32 v68, 0
	v_and_b32_sdwa v1, v0, v25 dst_sel:DWORD dst_unused:UNUSED_PAD src0_sel:WORD_1 src1_sel:DWORD
	v_mov_b32_e32 v67, 0
	v_mov_b32_e32 v69, 0
	s_mov_b32 s13, exec_lo
	v_cmpx_ne_u16_e32 0, v1
	s_cbranch_execz .LBB220_290
; %bb.283:                              ;   in Loop: Header=BB220_10 Depth=1
	v_bfrev_b32_e32 v68, 1
	v_mov_b32_e32 v69, 0
	s_mov_b32 s15, exec_lo
	v_cmpx_ne_u16_e32 0x80, v1
	s_cbranch_execz .LBB220_289
; %bb.284:                              ;   in Loop: Header=BB220_10 Depth=1
	v_mov_b32_e32 v68, 0x7f800001
	v_bfe_u32 v2, v0, 16, 7
	v_mov_b32_e32 v69, 0
	s_mov_b32 s17, exec_lo
	v_cmpx_ne_u32_e32 0x7f, v2
	s_cbranch_execz .LBB220_288
; %bb.285:                              ;   in Loop: Header=BB220_10 Depth=1
	v_mov_b32_e32 v1, 7
	s_mov_b32 s18, exec_lo
	v_and_b32_sdwa v72, v0, v1 dst_sel:DWORD dst_unused:UNUSED_PAD src0_sel:WORD_1 src1_sel:DWORD
	v_lshrrev_b32_e32 v1, 3, v2
	v_cmpx_gt_u32_e32 8, v2
; %bb.286:                              ;   in Loop: Header=BB220_10 Depth=1
	v_ffbh_u32_e32 v1, v72
	v_min_u32_e32 v1, 32, v1
	v_subrev_nc_u32_e32 v2, 28, v1
	v_sub_nc_u32_e32 v1, 29, v1
	v_lshlrev_b64 v[4:5], v2, v[72:73]
	v_and_b32_e32 v72, 7, v4
; %bb.287:                              ;   in Loop: Header=BB220_10 Depth=1
	s_or_b32 exec_lo, exec_lo, s18
	v_mov_b32_e32 v2, 24
	v_lshlrev_b32_e32 v4, 20, v72
	v_lshl_add_u32 v1, v1, 23, 0x3c000000
	v_lshlrev_b32_sdwa v2, v2, v0 dst_sel:DWORD dst_unused:UNUSED_PAD src0_sel:DWORD src1_sel:WORD_1
	v_and_b32_e32 v2, 0x80000000, v2
	v_or3_b32 v72, v4, v2, v1
	v_mov_b32_e32 v68, v72
	v_mov_b32_e32 v69, v73
.LBB220_288:                            ;   in Loop: Header=BB220_10 Depth=1
	s_or_b32 exec_lo, exec_lo, s17
.LBB220_289:                            ;   in Loop: Header=BB220_10 Depth=1
	s_or_b32 exec_lo, exec_lo, s15
.LBB220_290:                            ;   in Loop: Header=BB220_10 Depth=1
	s_or_b32 exec_lo, exec_lo, s13
	s_mov_b32 s13, exec_lo
	v_cmpx_lt_u32_e32 0xffffff, v0
	s_cbranch_execz .LBB220_298
; %bb.291:                              ;   in Loop: Header=BB220_10 Depth=1
	v_mov_b32_e32 v2, v73
	v_mov_b32_e32 v67, v3
	v_cmp_ne_u32_sdwa s5, v0, v24 src0_sel:BYTE_3 src1_sel:DWORD
	v_mov_b32_e32 v66, v2
	s_and_saveexec_b32 s15, s5
	s_cbranch_execz .LBB220_297
; %bb.292:                              ;   in Loop: Header=BB220_10 Depth=1
	v_mov_b32_e32 v18, v73
	v_mov_b32_e32 v67, v19
	v_bfe_u32 v2, v0, 24, 7
	s_mov_b32 s17, exec_lo
	v_mov_b32_e32 v66, v18
	v_cmpx_ne_u32_e32 0x7f, v2
	s_cbranch_execz .LBB220_296
; %bb.293:                              ;   in Loop: Header=BB220_10 Depth=1
	v_mov_b32_e32 v1, 7
	s_mov_b32 s18, exec_lo
	v_and_b32_sdwa v72, v0, v1 dst_sel:DWORD dst_unused:UNUSED_PAD src0_sel:BYTE_3 src1_sel:DWORD
	v_lshrrev_b32_e32 v1, 3, v2
	v_cmpx_gt_u32_e32 8, v2
; %bb.294:                              ;   in Loop: Header=BB220_10 Depth=1
	v_ffbh_u32_e32 v1, v72
	v_min_u32_e32 v1, 32, v1
	v_subrev_nc_u32_e32 v2, 28, v1
	v_sub_nc_u32_e32 v1, 29, v1
	v_lshlrev_b64 v[4:5], v2, v[72:73]
	v_and_b32_e32 v72, 7, v4
; %bb.295:                              ;   in Loop: Header=BB220_10 Depth=1
	s_or_b32 exec_lo, exec_lo, s18
	v_mov_b32_e32 v2, 24
	v_lshl_add_u32 v1, v1, 23, 0x3c000000
	v_mov_b32_e32 v66, v73
	v_lshlrev_b32_sdwa v0, v2, v0 dst_sel:DWORD dst_unused:UNUSED_PAD src0_sel:DWORD src1_sel:BYTE_3
	v_lshlrev_b32_e32 v2, 20, v72
	v_and_b32_e32 v0, 0x80000000, v0
	v_or3_b32 v67, v2, v0, v1
.LBB220_296:                            ;   in Loop: Header=BB220_10 Depth=1
	s_or_b32 exec_lo, exec_lo, s17
.LBB220_297:                            ;   in Loop: Header=BB220_10 Depth=1
	s_or_b32 exec_lo, exec_lo, s15
.LBB220_298:                            ;   in Loop: Header=BB220_10 Depth=1
	s_or_b32 exec_lo, exec_lo, s13
	flat_load_dword v0, v[12:13] offset:1028
	v_mov_b32_e32 v80, 0
	v_mov_b32_e32 v70, 0
	;; [unrolled: 1-line block ×4, first 2 shown]
	s_waitcnt vmcnt(0) lgkmcnt(0)
	v_cmp_ne_u16_sdwa s5, v0, v73 src0_sel:BYTE_0 src1_sel:DWORD
	s_and_saveexec_b32 s13, s5
	s_cbranch_execz .LBB220_306
; %bb.299:                              ;   in Loop: Header=BB220_10 Depth=1
	v_bfrev_b32_e32 v70, 1
	v_mov_b32_e32 v71, 0
	v_cmp_ne_u16_sdwa s5, v0, v24 src0_sel:BYTE_0 src1_sel:DWORD
	s_and_saveexec_b32 s15, s5
	s_cbranch_execz .LBB220_305
; %bb.300:                              ;   in Loop: Header=BB220_10 Depth=1
	v_mov_b32_e32 v70, 0x7f800001
	v_and_b32_e32 v2, 0x7f, v0
	v_mov_b32_e32 v71, 0
	s_mov_b32 s17, exec_lo
	v_cmpx_ne_u32_e32 0x7f, v2
	s_cbranch_execz .LBB220_304
; %bb.301:                              ;   in Loop: Header=BB220_10 Depth=1
	v_and_b32_e32 v72, 7, v0
	v_lshrrev_b32_e32 v1, 3, v2
	s_mov_b32 s18, exec_lo
	v_cmpx_gt_u32_e32 8, v2
; %bb.302:                              ;   in Loop: Header=BB220_10 Depth=1
	v_ffbh_u32_e32 v1, v72
	v_min_u32_e32 v1, 32, v1
	v_subrev_nc_u32_e32 v2, 28, v1
	v_sub_nc_u32_e32 v1, 29, v1
	v_lshlrev_b64 v[4:5], v2, v[72:73]
	v_and_b32_e32 v72, 7, v4
; %bb.303:                              ;   in Loop: Header=BB220_10 Depth=1
	s_or_b32 exec_lo, exec_lo, s18
	v_lshlrev_b32_e32 v2, 24, v0
	v_lshlrev_b32_e32 v4, 20, v72
	v_lshl_add_u32 v1, v1, 23, 0x3c000000
	v_and_b32_e32 v2, 0x80000000, v2
	v_or3_b32 v72, v4, v2, v1
	v_mov_b32_e32 v70, v72
	v_mov_b32_e32 v71, v73
.LBB220_304:                            ;   in Loop: Header=BB220_10 Depth=1
	s_or_b32 exec_lo, exec_lo, s17
.LBB220_305:                            ;   in Loop: Header=BB220_10 Depth=1
	s_or_b32 exec_lo, exec_lo, s15
.LBB220_306:                            ;   in Loop: Header=BB220_10 Depth=1
	s_or_b32 exec_lo, exec_lo, s13
	v_cmp_ne_u16_sdwa s5, v0, v73 src0_sel:BYTE_1 src1_sel:DWORD
	s_and_saveexec_b32 s13, s5
	s_cbranch_execz .LBB220_314
; %bb.307:                              ;   in Loop: Header=BB220_10 Depth=1
	v_mov_b32_e32 v2, v73
	v_mov_b32_e32 v81, v3
	v_cmp_ne_u16_sdwa s5, v0, v24 src0_sel:BYTE_1 src1_sel:DWORD
	v_mov_b32_e32 v80, v2
	s_and_saveexec_b32 s15, s5
	s_cbranch_execz .LBB220_313
; %bb.308:                              ;   in Loop: Header=BB220_10 Depth=1
	v_mov_b32_e32 v1, 0xffff
	v_mov_b32_e32 v18, v73
	;; [unrolled: 1-line block ×3, first 2 shown]
	s_mov_b32 s17, exec_lo
	v_and_b32_sdwa v1, v1, v0 dst_sel:DWORD dst_unused:UNUSED_PAD src0_sel:DWORD src1_sel:BYTE_1
	v_mov_b32_e32 v80, v18
	v_and_b32_e32 v2, 0x7f, v1
	v_cmpx_ne_u32_e32 0x7f, v2
	s_cbranch_execz .LBB220_312
; %bb.309:                              ;   in Loop: Header=BB220_10 Depth=1
	v_and_b32_e32 v72, 7, v1
	v_lshrrev_b32_e32 v1, 3, v2
	s_mov_b32 s18, exec_lo
	v_cmpx_gt_u32_e32 8, v2
; %bb.310:                              ;   in Loop: Header=BB220_10 Depth=1
	v_ffbh_u32_e32 v1, v72
	v_min_u32_e32 v1, 32, v1
	v_subrev_nc_u32_e32 v2, 28, v1
	v_sub_nc_u32_e32 v1, 29, v1
	v_lshlrev_b64 v[4:5], v2, v[72:73]
	v_and_b32_e32 v72, 7, v4
; %bb.311:                              ;   in Loop: Header=BB220_10 Depth=1
	s_or_b32 exec_lo, exec_lo, s18
	v_lshlrev_b32_e32 v2, 16, v0
	v_lshlrev_b32_e32 v4, 20, v72
	v_lshl_add_u32 v1, v1, 23, 0x3c000000
	v_mov_b32_e32 v80, v73
	v_and_b32_e32 v2, 0x80000000, v2
	v_or3_b32 v81, v4, v2, v1
.LBB220_312:                            ;   in Loop: Header=BB220_10 Depth=1
	s_or_b32 exec_lo, exec_lo, s17
.LBB220_313:                            ;   in Loop: Header=BB220_10 Depth=1
	s_or_b32 exec_lo, exec_lo, s15
.LBB220_314:                            ;   in Loop: Header=BB220_10 Depth=1
	s_or_b32 exec_lo, exec_lo, s13
	v_mov_b32_e32 v82, 0
	v_mov_b32_e32 v84, 0
	v_and_b32_sdwa v1, v0, v25 dst_sel:DWORD dst_unused:UNUSED_PAD src0_sel:WORD_1 src1_sel:DWORD
	v_mov_b32_e32 v83, 0
	v_mov_b32_e32 v85, 0
	s_mov_b32 s13, exec_lo
	v_cmpx_ne_u16_e32 0, v1
	s_cbranch_execz .LBB220_322
; %bb.315:                              ;   in Loop: Header=BB220_10 Depth=1
	v_bfrev_b32_e32 v84, 1
	v_mov_b32_e32 v85, 0
	s_mov_b32 s15, exec_lo
	v_cmpx_ne_u16_e32 0x80, v1
	s_cbranch_execz .LBB220_321
; %bb.316:                              ;   in Loop: Header=BB220_10 Depth=1
	v_mov_b32_e32 v84, 0x7f800001
	v_bfe_u32 v2, v0, 16, 7
	v_mov_b32_e32 v85, 0
	s_mov_b32 s17, exec_lo
	v_cmpx_ne_u32_e32 0x7f, v2
	s_cbranch_execz .LBB220_320
; %bb.317:                              ;   in Loop: Header=BB220_10 Depth=1
	v_mov_b32_e32 v1, 7
	s_mov_b32 s18, exec_lo
	v_and_b32_sdwa v72, v0, v1 dst_sel:DWORD dst_unused:UNUSED_PAD src0_sel:WORD_1 src1_sel:DWORD
	v_lshrrev_b32_e32 v1, 3, v2
	v_cmpx_gt_u32_e32 8, v2
; %bb.318:                              ;   in Loop: Header=BB220_10 Depth=1
	v_ffbh_u32_e32 v1, v72
	v_min_u32_e32 v1, 32, v1
	v_subrev_nc_u32_e32 v2, 28, v1
	v_sub_nc_u32_e32 v1, 29, v1
	v_lshlrev_b64 v[4:5], v2, v[72:73]
	v_and_b32_e32 v72, 7, v4
; %bb.319:                              ;   in Loop: Header=BB220_10 Depth=1
	s_or_b32 exec_lo, exec_lo, s18
	v_mov_b32_e32 v2, 24
	v_lshlrev_b32_e32 v4, 20, v72
	v_lshl_add_u32 v1, v1, 23, 0x3c000000
	v_lshlrev_b32_sdwa v2, v2, v0 dst_sel:DWORD dst_unused:UNUSED_PAD src0_sel:DWORD src1_sel:WORD_1
	v_and_b32_e32 v2, 0x80000000, v2
	v_or3_b32 v72, v4, v2, v1
	v_mov_b32_e32 v85, v73
	v_mov_b32_e32 v84, v72
.LBB220_320:                            ;   in Loop: Header=BB220_10 Depth=1
	s_or_b32 exec_lo, exec_lo, s17
.LBB220_321:                            ;   in Loop: Header=BB220_10 Depth=1
	s_or_b32 exec_lo, exec_lo, s15
.LBB220_322:                            ;   in Loop: Header=BB220_10 Depth=1
	s_or_b32 exec_lo, exec_lo, s13
	s_mov_b32 s13, exec_lo
	v_cmpx_lt_u32_e32 0xffffff, v0
	s_cbranch_execz .LBB220_330
; %bb.323:                              ;   in Loop: Header=BB220_10 Depth=1
	v_mov_b32_e32 v2, v73
	v_mov_b32_e32 v83, v3
	v_cmp_ne_u32_sdwa s5, v0, v24 src0_sel:BYTE_3 src1_sel:DWORD
	v_mov_b32_e32 v82, v2
	s_and_saveexec_b32 s15, s5
	s_cbranch_execz .LBB220_329
; %bb.324:                              ;   in Loop: Header=BB220_10 Depth=1
	v_mov_b32_e32 v18, v73
	v_mov_b32_e32 v83, v19
	v_bfe_u32 v2, v0, 24, 7
	s_mov_b32 s17, exec_lo
	v_mov_b32_e32 v82, v18
	v_cmpx_ne_u32_e32 0x7f, v2
	s_cbranch_execz .LBB220_328
; %bb.325:                              ;   in Loop: Header=BB220_10 Depth=1
	v_mov_b32_e32 v1, 7
	s_mov_b32 s18, exec_lo
	v_and_b32_sdwa v72, v0, v1 dst_sel:DWORD dst_unused:UNUSED_PAD src0_sel:BYTE_3 src1_sel:DWORD
	v_lshrrev_b32_e32 v1, 3, v2
	v_cmpx_gt_u32_e32 8, v2
; %bb.326:                              ;   in Loop: Header=BB220_10 Depth=1
	v_ffbh_u32_e32 v1, v72
	v_min_u32_e32 v1, 32, v1
	v_subrev_nc_u32_e32 v2, 28, v1
	v_sub_nc_u32_e32 v1, 29, v1
	v_lshlrev_b64 v[4:5], v2, v[72:73]
	v_and_b32_e32 v72, 7, v4
; %bb.327:                              ;   in Loop: Header=BB220_10 Depth=1
	s_or_b32 exec_lo, exec_lo, s18
	v_mov_b32_e32 v2, 24
	v_lshl_add_u32 v1, v1, 23, 0x3c000000
	v_mov_b32_e32 v82, v73
	v_lshlrev_b32_sdwa v0, v2, v0 dst_sel:DWORD dst_unused:UNUSED_PAD src0_sel:DWORD src1_sel:BYTE_3
	v_lshlrev_b32_e32 v2, 20, v72
	v_and_b32_e32 v0, 0x80000000, v0
	v_or3_b32 v83, v2, v0, v1
.LBB220_328:                            ;   in Loop: Header=BB220_10 Depth=1
	s_or_b32 exec_lo, exec_lo, s17
.LBB220_329:                            ;   in Loop: Header=BB220_10 Depth=1
	s_or_b32 exec_lo, exec_lo, s15
.LBB220_330:                            ;   in Loop: Header=BB220_10 Depth=1
	s_or_b32 exec_lo, exec_lo, s13
	flat_load_dword v0, v[12:13] offset:1032
	v_mov_b32_e32 v96, 0
	v_mov_b32_e32 v86, 0
	v_mov_b32_e32 v97, 0
	v_mov_b32_e32 v87, 0
	s_waitcnt vmcnt(0) lgkmcnt(0)
	v_cmp_ne_u16_sdwa s5, v0, v73 src0_sel:BYTE_0 src1_sel:DWORD
	s_and_saveexec_b32 s13, s5
	s_cbranch_execz .LBB220_338
; %bb.331:                              ;   in Loop: Header=BB220_10 Depth=1
	v_bfrev_b32_e32 v86, 1
	v_mov_b32_e32 v87, 0
	v_cmp_ne_u16_sdwa s5, v0, v24 src0_sel:BYTE_0 src1_sel:DWORD
	s_and_saveexec_b32 s15, s5
	s_cbranch_execz .LBB220_337
; %bb.332:                              ;   in Loop: Header=BB220_10 Depth=1
	v_mov_b32_e32 v86, 0x7f800001
	v_and_b32_e32 v2, 0x7f, v0
	v_mov_b32_e32 v87, 0
	s_mov_b32 s17, exec_lo
	v_cmpx_ne_u32_e32 0x7f, v2
	s_cbranch_execz .LBB220_336
; %bb.333:                              ;   in Loop: Header=BB220_10 Depth=1
	v_and_b32_e32 v72, 7, v0
	v_lshrrev_b32_e32 v1, 3, v2
	s_mov_b32 s18, exec_lo
	v_cmpx_gt_u32_e32 8, v2
; %bb.334:                              ;   in Loop: Header=BB220_10 Depth=1
	v_ffbh_u32_e32 v1, v72
	v_min_u32_e32 v1, 32, v1
	v_subrev_nc_u32_e32 v2, 28, v1
	v_sub_nc_u32_e32 v1, 29, v1
	v_lshlrev_b64 v[4:5], v2, v[72:73]
	v_and_b32_e32 v72, 7, v4
; %bb.335:                              ;   in Loop: Header=BB220_10 Depth=1
	s_or_b32 exec_lo, exec_lo, s18
	v_lshlrev_b32_e32 v2, 24, v0
	v_lshlrev_b32_e32 v4, 20, v72
	v_lshl_add_u32 v1, v1, 23, 0x3c000000
	v_and_b32_e32 v2, 0x80000000, v2
	v_or3_b32 v72, v4, v2, v1
	v_mov_b32_e32 v87, v73
	v_mov_b32_e32 v86, v72
.LBB220_336:                            ;   in Loop: Header=BB220_10 Depth=1
	s_or_b32 exec_lo, exec_lo, s17
.LBB220_337:                            ;   in Loop: Header=BB220_10 Depth=1
	s_or_b32 exec_lo, exec_lo, s15
.LBB220_338:                            ;   in Loop: Header=BB220_10 Depth=1
	s_or_b32 exec_lo, exec_lo, s13
	v_cmp_ne_u16_sdwa s5, v0, v73 src0_sel:BYTE_1 src1_sel:DWORD
	s_and_saveexec_b32 s13, s5
	s_cbranch_execz .LBB220_346
; %bb.339:                              ;   in Loop: Header=BB220_10 Depth=1
	v_mov_b32_e32 v2, v73
	v_mov_b32_e32 v97, v3
	v_cmp_ne_u16_sdwa s5, v0, v24 src0_sel:BYTE_1 src1_sel:DWORD
	v_mov_b32_e32 v96, v2
	s_and_saveexec_b32 s15, s5
	s_cbranch_execz .LBB220_345
; %bb.340:                              ;   in Loop: Header=BB220_10 Depth=1
	v_mov_b32_e32 v1, 0xffff
	v_mov_b32_e32 v18, v73
	;; [unrolled: 1-line block ×3, first 2 shown]
	s_mov_b32 s17, exec_lo
	v_and_b32_sdwa v1, v1, v0 dst_sel:DWORD dst_unused:UNUSED_PAD src0_sel:DWORD src1_sel:BYTE_1
	v_mov_b32_e32 v96, v18
	v_and_b32_e32 v2, 0x7f, v1
	v_cmpx_ne_u32_e32 0x7f, v2
	s_cbranch_execz .LBB220_344
; %bb.341:                              ;   in Loop: Header=BB220_10 Depth=1
	v_and_b32_e32 v72, 7, v1
	v_lshrrev_b32_e32 v1, 3, v2
	s_mov_b32 s18, exec_lo
	v_cmpx_gt_u32_e32 8, v2
; %bb.342:                              ;   in Loop: Header=BB220_10 Depth=1
	v_ffbh_u32_e32 v1, v72
	v_min_u32_e32 v1, 32, v1
	v_subrev_nc_u32_e32 v2, 28, v1
	v_sub_nc_u32_e32 v1, 29, v1
	v_lshlrev_b64 v[4:5], v2, v[72:73]
	v_and_b32_e32 v72, 7, v4
; %bb.343:                              ;   in Loop: Header=BB220_10 Depth=1
	s_or_b32 exec_lo, exec_lo, s18
	v_lshlrev_b32_e32 v2, 16, v0
	v_lshlrev_b32_e32 v4, 20, v72
	v_lshl_add_u32 v1, v1, 23, 0x3c000000
	v_mov_b32_e32 v96, v73
	v_and_b32_e32 v2, 0x80000000, v2
	v_or3_b32 v97, v4, v2, v1
.LBB220_344:                            ;   in Loop: Header=BB220_10 Depth=1
	s_or_b32 exec_lo, exec_lo, s17
.LBB220_345:                            ;   in Loop: Header=BB220_10 Depth=1
	s_or_b32 exec_lo, exec_lo, s15
.LBB220_346:                            ;   in Loop: Header=BB220_10 Depth=1
	s_or_b32 exec_lo, exec_lo, s13
	v_mov_b32_e32 v98, 0
	v_mov_b32_e32 v100, 0
	v_and_b32_sdwa v1, v0, v25 dst_sel:DWORD dst_unused:UNUSED_PAD src0_sel:WORD_1 src1_sel:DWORD
	v_mov_b32_e32 v99, 0
	v_mov_b32_e32 v101, 0
	s_mov_b32 s13, exec_lo
	v_cmpx_ne_u16_e32 0, v1
	s_cbranch_execz .LBB220_354
; %bb.347:                              ;   in Loop: Header=BB220_10 Depth=1
	v_bfrev_b32_e32 v100, 1
	v_mov_b32_e32 v101, 0
	s_mov_b32 s15, exec_lo
	v_cmpx_ne_u16_e32 0x80, v1
	s_cbranch_execz .LBB220_353
; %bb.348:                              ;   in Loop: Header=BB220_10 Depth=1
	v_mov_b32_e32 v100, 0x7f800001
	v_bfe_u32 v2, v0, 16, 7
	v_mov_b32_e32 v101, 0
	s_mov_b32 s17, exec_lo
	v_cmpx_ne_u32_e32 0x7f, v2
	s_cbranch_execz .LBB220_352
; %bb.349:                              ;   in Loop: Header=BB220_10 Depth=1
	v_mov_b32_e32 v1, 7
	s_mov_b32 s18, exec_lo
	v_and_b32_sdwa v72, v0, v1 dst_sel:DWORD dst_unused:UNUSED_PAD src0_sel:WORD_1 src1_sel:DWORD
	v_lshrrev_b32_e32 v1, 3, v2
	v_cmpx_gt_u32_e32 8, v2
; %bb.350:                              ;   in Loop: Header=BB220_10 Depth=1
	v_ffbh_u32_e32 v1, v72
	v_min_u32_e32 v1, 32, v1
	v_subrev_nc_u32_e32 v2, 28, v1
	v_sub_nc_u32_e32 v1, 29, v1
	v_lshlrev_b64 v[4:5], v2, v[72:73]
	v_and_b32_e32 v72, 7, v4
; %bb.351:                              ;   in Loop: Header=BB220_10 Depth=1
	s_or_b32 exec_lo, exec_lo, s18
	v_mov_b32_e32 v2, 24
	v_lshlrev_b32_e32 v4, 20, v72
	v_lshl_add_u32 v1, v1, 23, 0x3c000000
	v_lshlrev_b32_sdwa v2, v2, v0 dst_sel:DWORD dst_unused:UNUSED_PAD src0_sel:DWORD src1_sel:WORD_1
	v_and_b32_e32 v2, 0x80000000, v2
	v_or3_b32 v72, v4, v2, v1
	v_mov_b32_e32 v101, v73
	v_mov_b32_e32 v100, v72
.LBB220_352:                            ;   in Loop: Header=BB220_10 Depth=1
	s_or_b32 exec_lo, exec_lo, s17
.LBB220_353:                            ;   in Loop: Header=BB220_10 Depth=1
	s_or_b32 exec_lo, exec_lo, s15
.LBB220_354:                            ;   in Loop: Header=BB220_10 Depth=1
	s_or_b32 exec_lo, exec_lo, s13
	s_mov_b32 s13, exec_lo
	v_cmpx_lt_u32_e32 0xffffff, v0
	s_cbranch_execz .LBB220_362
; %bb.355:                              ;   in Loop: Header=BB220_10 Depth=1
	v_mov_b32_e32 v2, v73
	v_mov_b32_e32 v99, v3
	v_cmp_ne_u32_sdwa s5, v0, v24 src0_sel:BYTE_3 src1_sel:DWORD
	v_mov_b32_e32 v98, v2
	s_and_saveexec_b32 s15, s5
	s_cbranch_execz .LBB220_361
; %bb.356:                              ;   in Loop: Header=BB220_10 Depth=1
	v_mov_b32_e32 v18, v73
	v_mov_b32_e32 v99, v19
	v_bfe_u32 v2, v0, 24, 7
	s_mov_b32 s17, exec_lo
	v_mov_b32_e32 v98, v18
	v_cmpx_ne_u32_e32 0x7f, v2
	s_cbranch_execz .LBB220_360
; %bb.357:                              ;   in Loop: Header=BB220_10 Depth=1
	v_mov_b32_e32 v1, 7
	s_mov_b32 s18, exec_lo
	v_and_b32_sdwa v72, v0, v1 dst_sel:DWORD dst_unused:UNUSED_PAD src0_sel:BYTE_3 src1_sel:DWORD
	v_lshrrev_b32_e32 v1, 3, v2
	v_cmpx_gt_u32_e32 8, v2
; %bb.358:                              ;   in Loop: Header=BB220_10 Depth=1
	v_ffbh_u32_e32 v1, v72
	v_min_u32_e32 v1, 32, v1
	v_subrev_nc_u32_e32 v2, 28, v1
	v_sub_nc_u32_e32 v1, 29, v1
	v_lshlrev_b64 v[4:5], v2, v[72:73]
	v_and_b32_e32 v72, 7, v4
; %bb.359:                              ;   in Loop: Header=BB220_10 Depth=1
	s_or_b32 exec_lo, exec_lo, s18
	v_mov_b32_e32 v2, 24
	v_lshl_add_u32 v1, v1, 23, 0x3c000000
	v_mov_b32_e32 v98, v73
	v_lshlrev_b32_sdwa v0, v2, v0 dst_sel:DWORD dst_unused:UNUSED_PAD src0_sel:DWORD src1_sel:BYTE_3
	v_lshlrev_b32_e32 v2, 20, v72
	v_and_b32_e32 v0, 0x80000000, v0
	v_or3_b32 v99, v2, v0, v1
.LBB220_360:                            ;   in Loop: Header=BB220_10 Depth=1
	s_or_b32 exec_lo, exec_lo, s17
.LBB220_361:                            ;   in Loop: Header=BB220_10 Depth=1
	s_or_b32 exec_lo, exec_lo, s15
.LBB220_362:                            ;   in Loop: Header=BB220_10 Depth=1
	s_or_b32 exec_lo, exec_lo, s13
	flat_load_dword v0, v[12:13] offset:1036
	v_mov_b32_e32 v112, 0
	v_mov_b32_e32 v102, 0
	;; [unrolled: 1-line block ×4, first 2 shown]
	s_waitcnt vmcnt(0) lgkmcnt(0)
	v_cmp_ne_u16_sdwa s5, v0, v73 src0_sel:BYTE_0 src1_sel:DWORD
	s_and_saveexec_b32 s13, s5
	s_cbranch_execz .LBB220_370
; %bb.363:                              ;   in Loop: Header=BB220_10 Depth=1
	v_bfrev_b32_e32 v102, 1
	v_mov_b32_e32 v103, 0
	v_cmp_ne_u16_sdwa s5, v0, v24 src0_sel:BYTE_0 src1_sel:DWORD
	s_and_saveexec_b32 s15, s5
	s_cbranch_execz .LBB220_369
; %bb.364:                              ;   in Loop: Header=BB220_10 Depth=1
	v_mov_b32_e32 v102, 0x7f800001
	v_and_b32_e32 v2, 0x7f, v0
	v_mov_b32_e32 v103, 0
	s_mov_b32 s17, exec_lo
	v_cmpx_ne_u32_e32 0x7f, v2
	s_cbranch_execz .LBB220_368
; %bb.365:                              ;   in Loop: Header=BB220_10 Depth=1
	v_and_b32_e32 v72, 7, v0
	v_lshrrev_b32_e32 v1, 3, v2
	s_mov_b32 s18, exec_lo
	v_cmpx_gt_u32_e32 8, v2
; %bb.366:                              ;   in Loop: Header=BB220_10 Depth=1
	v_ffbh_u32_e32 v1, v72
	v_min_u32_e32 v1, 32, v1
	v_subrev_nc_u32_e32 v2, 28, v1
	v_sub_nc_u32_e32 v1, 29, v1
	v_lshlrev_b64 v[4:5], v2, v[72:73]
	v_and_b32_e32 v72, 7, v4
; %bb.367:                              ;   in Loop: Header=BB220_10 Depth=1
	s_or_b32 exec_lo, exec_lo, s18
	v_lshlrev_b32_e32 v2, 24, v0
	v_lshlrev_b32_e32 v4, 20, v72
	v_lshl_add_u32 v1, v1, 23, 0x3c000000
	v_and_b32_e32 v2, 0x80000000, v2
	v_or3_b32 v72, v4, v2, v1
	v_mov_b32_e32 v103, v73
	v_mov_b32_e32 v102, v72
.LBB220_368:                            ;   in Loop: Header=BB220_10 Depth=1
	s_or_b32 exec_lo, exec_lo, s17
.LBB220_369:                            ;   in Loop: Header=BB220_10 Depth=1
	s_or_b32 exec_lo, exec_lo, s15
.LBB220_370:                            ;   in Loop: Header=BB220_10 Depth=1
	s_or_b32 exec_lo, exec_lo, s13
	v_cmp_ne_u16_sdwa s5, v0, v73 src0_sel:BYTE_1 src1_sel:DWORD
	s_and_saveexec_b32 s13, s5
	s_cbranch_execz .LBB220_378
; %bb.371:                              ;   in Loop: Header=BB220_10 Depth=1
	v_mov_b32_e32 v2, v73
	v_mov_b32_e32 v113, v3
	v_cmp_ne_u16_sdwa s5, v0, v24 src0_sel:BYTE_1 src1_sel:DWORD
	v_mov_b32_e32 v112, v2
	s_and_saveexec_b32 s15, s5
	s_cbranch_execz .LBB220_377
; %bb.372:                              ;   in Loop: Header=BB220_10 Depth=1
	v_mov_b32_e32 v1, 0xffff
	v_mov_b32_e32 v18, v73
	;; [unrolled: 1-line block ×3, first 2 shown]
	s_mov_b32 s17, exec_lo
	v_and_b32_sdwa v1, v1, v0 dst_sel:DWORD dst_unused:UNUSED_PAD src0_sel:DWORD src1_sel:BYTE_1
	v_mov_b32_e32 v112, v18
	v_and_b32_e32 v2, 0x7f, v1
	v_cmpx_ne_u32_e32 0x7f, v2
	s_cbranch_execz .LBB220_376
; %bb.373:                              ;   in Loop: Header=BB220_10 Depth=1
	v_and_b32_e32 v72, 7, v1
	v_lshrrev_b32_e32 v1, 3, v2
	s_mov_b32 s18, exec_lo
	v_cmpx_gt_u32_e32 8, v2
; %bb.374:                              ;   in Loop: Header=BB220_10 Depth=1
	v_ffbh_u32_e32 v1, v72
	v_min_u32_e32 v1, 32, v1
	v_subrev_nc_u32_e32 v2, 28, v1
	v_sub_nc_u32_e32 v1, 29, v1
	v_lshlrev_b64 v[4:5], v2, v[72:73]
	v_and_b32_e32 v72, 7, v4
; %bb.375:                              ;   in Loop: Header=BB220_10 Depth=1
	s_or_b32 exec_lo, exec_lo, s18
	v_lshlrev_b32_e32 v2, 16, v0
	v_lshlrev_b32_e32 v4, 20, v72
	v_lshl_add_u32 v1, v1, 23, 0x3c000000
	v_mov_b32_e32 v112, v73
	v_and_b32_e32 v2, 0x80000000, v2
	v_or3_b32 v113, v4, v2, v1
.LBB220_376:                            ;   in Loop: Header=BB220_10 Depth=1
	s_or_b32 exec_lo, exec_lo, s17
.LBB220_377:                            ;   in Loop: Header=BB220_10 Depth=1
	s_or_b32 exec_lo, exec_lo, s15
.LBB220_378:                            ;   in Loop: Header=BB220_10 Depth=1
	s_or_b32 exec_lo, exec_lo, s13
	v_mov_b32_e32 v114, 0
	v_mov_b32_e32 v116, 0
	v_and_b32_sdwa v1, v0, v25 dst_sel:DWORD dst_unused:UNUSED_PAD src0_sel:WORD_1 src1_sel:DWORD
	v_mov_b32_e32 v115, 0
	v_mov_b32_e32 v117, 0
	s_mov_b32 s13, exec_lo
	v_cmpx_ne_u16_e32 0, v1
	s_cbranch_execz .LBB220_386
; %bb.379:                              ;   in Loop: Header=BB220_10 Depth=1
	v_bfrev_b32_e32 v116, 1
	v_mov_b32_e32 v117, 0
	s_mov_b32 s15, exec_lo
	v_cmpx_ne_u16_e32 0x80, v1
	s_cbranch_execz .LBB220_385
; %bb.380:                              ;   in Loop: Header=BB220_10 Depth=1
	v_mov_b32_e32 v116, 0x7f800001
	v_bfe_u32 v2, v0, 16, 7
	v_mov_b32_e32 v117, 0
	s_mov_b32 s17, exec_lo
	v_cmpx_ne_u32_e32 0x7f, v2
	s_cbranch_execz .LBB220_384
; %bb.381:                              ;   in Loop: Header=BB220_10 Depth=1
	v_mov_b32_e32 v1, 7
	s_mov_b32 s18, exec_lo
	v_and_b32_sdwa v72, v0, v1 dst_sel:DWORD dst_unused:UNUSED_PAD src0_sel:WORD_1 src1_sel:DWORD
	v_lshrrev_b32_e32 v1, 3, v2
	v_cmpx_gt_u32_e32 8, v2
; %bb.382:                              ;   in Loop: Header=BB220_10 Depth=1
	v_ffbh_u32_e32 v1, v72
	v_min_u32_e32 v1, 32, v1
	v_subrev_nc_u32_e32 v2, 28, v1
	v_sub_nc_u32_e32 v1, 29, v1
	v_lshlrev_b64 v[4:5], v2, v[72:73]
	v_and_b32_e32 v72, 7, v4
; %bb.383:                              ;   in Loop: Header=BB220_10 Depth=1
	s_or_b32 exec_lo, exec_lo, s18
	v_mov_b32_e32 v2, 24
	v_lshlrev_b32_e32 v4, 20, v72
	v_lshl_add_u32 v1, v1, 23, 0x3c000000
	v_lshlrev_b32_sdwa v2, v2, v0 dst_sel:DWORD dst_unused:UNUSED_PAD src0_sel:DWORD src1_sel:WORD_1
	v_and_b32_e32 v2, 0x80000000, v2
	v_or3_b32 v72, v4, v2, v1
	v_mov_b32_e32 v117, v73
	v_mov_b32_e32 v116, v72
.LBB220_384:                            ;   in Loop: Header=BB220_10 Depth=1
	s_or_b32 exec_lo, exec_lo, s17
.LBB220_385:                            ;   in Loop: Header=BB220_10 Depth=1
	s_or_b32 exec_lo, exec_lo, s15
.LBB220_386:                            ;   in Loop: Header=BB220_10 Depth=1
	s_or_b32 exec_lo, exec_lo, s13
	s_mov_b32 s13, exec_lo
	v_cmpx_lt_u32_e32 0xffffff, v0
	s_cbranch_execz .LBB220_394
; %bb.387:                              ;   in Loop: Header=BB220_10 Depth=1
	v_mov_b32_e32 v2, v73
	v_mov_b32_e32 v115, v3
	v_cmp_ne_u32_sdwa s5, v0, v24 src0_sel:BYTE_3 src1_sel:DWORD
	v_mov_b32_e32 v114, v2
	s_and_saveexec_b32 s15, s5
	s_cbranch_execz .LBB220_393
; %bb.388:                              ;   in Loop: Header=BB220_10 Depth=1
	v_mov_b32_e32 v18, v73
	v_mov_b32_e32 v115, v19
	v_bfe_u32 v2, v0, 24, 7
	s_mov_b32 s17, exec_lo
	v_mov_b32_e32 v114, v18
	v_cmpx_ne_u32_e32 0x7f, v2
	s_cbranch_execz .LBB220_392
; %bb.389:                              ;   in Loop: Header=BB220_10 Depth=1
	v_mov_b32_e32 v1, 7
	s_mov_b32 s18, exec_lo
	v_and_b32_sdwa v72, v0, v1 dst_sel:DWORD dst_unused:UNUSED_PAD src0_sel:BYTE_3 src1_sel:DWORD
	v_lshrrev_b32_e32 v1, 3, v2
	v_cmpx_gt_u32_e32 8, v2
; %bb.390:                              ;   in Loop: Header=BB220_10 Depth=1
	v_ffbh_u32_e32 v1, v72
	v_min_u32_e32 v1, 32, v1
	v_subrev_nc_u32_e32 v2, 28, v1
	v_sub_nc_u32_e32 v1, 29, v1
	v_lshlrev_b64 v[4:5], v2, v[72:73]
	v_and_b32_e32 v72, 7, v4
; %bb.391:                              ;   in Loop: Header=BB220_10 Depth=1
	s_or_b32 exec_lo, exec_lo, s18
	v_mov_b32_e32 v2, 24
	v_lshl_add_u32 v1, v1, 23, 0x3c000000
	v_mov_b32_e32 v114, v73
	v_lshlrev_b32_sdwa v0, v2, v0 dst_sel:DWORD dst_unused:UNUSED_PAD src0_sel:DWORD src1_sel:BYTE_3
	v_lshlrev_b32_e32 v2, 20, v72
	v_and_b32_e32 v0, 0x80000000, v0
	v_or3_b32 v115, v2, v0, v1
.LBB220_392:                            ;   in Loop: Header=BB220_10 Depth=1
	s_or_b32 exec_lo, exec_lo, s17
.LBB220_393:                            ;   in Loop: Header=BB220_10 Depth=1
	s_or_b32 exec_lo, exec_lo, s15
.LBB220_394:                            ;   in Loop: Header=BB220_10 Depth=1
	s_or_b32 exec_lo, exec_lo, s13
	flat_load_dword v0, v[12:13] offset:1536
	v_mov_b32_e32 v40, 0
	v_mov_b32_e32 v118, 0
	;; [unrolled: 1-line block ×4, first 2 shown]
	s_waitcnt vmcnt(0) lgkmcnt(0)
	v_cmp_ne_u16_sdwa s5, v0, v73 src0_sel:BYTE_0 src1_sel:DWORD
	s_and_saveexec_b32 s13, s5
	s_cbranch_execz .LBB220_402
; %bb.395:                              ;   in Loop: Header=BB220_10 Depth=1
	v_bfrev_b32_e32 v118, 1
	v_mov_b32_e32 v119, 0
	v_cmp_ne_u16_sdwa s5, v0, v24 src0_sel:BYTE_0 src1_sel:DWORD
	s_and_saveexec_b32 s15, s5
	s_cbranch_execz .LBB220_401
; %bb.396:                              ;   in Loop: Header=BB220_10 Depth=1
	v_mov_b32_e32 v118, 0x7f800001
	v_and_b32_e32 v2, 0x7f, v0
	v_mov_b32_e32 v119, 0
	s_mov_b32 s17, exec_lo
	v_cmpx_ne_u32_e32 0x7f, v2
	s_cbranch_execz .LBB220_400
; %bb.397:                              ;   in Loop: Header=BB220_10 Depth=1
	v_and_b32_e32 v72, 7, v0
	v_lshrrev_b32_e32 v1, 3, v2
	s_mov_b32 s18, exec_lo
	v_cmpx_gt_u32_e32 8, v2
; %bb.398:                              ;   in Loop: Header=BB220_10 Depth=1
	v_ffbh_u32_e32 v1, v72
	v_min_u32_e32 v1, 32, v1
	v_subrev_nc_u32_e32 v2, 28, v1
	v_sub_nc_u32_e32 v1, 29, v1
	v_lshlrev_b64 v[4:5], v2, v[72:73]
	v_and_b32_e32 v72, 7, v4
; %bb.399:                              ;   in Loop: Header=BB220_10 Depth=1
	s_or_b32 exec_lo, exec_lo, s18
	v_lshlrev_b32_e32 v2, 24, v0
	v_lshlrev_b32_e32 v4, 20, v72
	v_lshl_add_u32 v1, v1, 23, 0x3c000000
	v_and_b32_e32 v2, 0x80000000, v2
	v_or3_b32 v72, v4, v2, v1
	v_mov_b32_e32 v119, v73
	v_mov_b32_e32 v118, v72
.LBB220_400:                            ;   in Loop: Header=BB220_10 Depth=1
	s_or_b32 exec_lo, exec_lo, s17
.LBB220_401:                            ;   in Loop: Header=BB220_10 Depth=1
	s_or_b32 exec_lo, exec_lo, s15
.LBB220_402:                            ;   in Loop: Header=BB220_10 Depth=1
	s_or_b32 exec_lo, exec_lo, s13
	v_cmp_ne_u16_sdwa s5, v0, v73 src0_sel:BYTE_1 src1_sel:DWORD
	s_and_saveexec_b32 s13, s5
	s_cbranch_execz .LBB220_410
; %bb.403:                              ;   in Loop: Header=BB220_10 Depth=1
	v_mov_b32_e32 v2, v73
	v_mov_b32_e32 v41, v3
	v_cmp_ne_u16_sdwa s5, v0, v24 src0_sel:BYTE_1 src1_sel:DWORD
	v_mov_b32_e32 v40, v2
	s_and_saveexec_b32 s15, s5
	s_cbranch_execz .LBB220_409
; %bb.404:                              ;   in Loop: Header=BB220_10 Depth=1
	v_mov_b32_e32 v1, 0xffff
	v_mov_b32_e32 v18, v73
	;; [unrolled: 1-line block ×3, first 2 shown]
	s_mov_b32 s17, exec_lo
	v_and_b32_sdwa v1, v1, v0 dst_sel:DWORD dst_unused:UNUSED_PAD src0_sel:DWORD src1_sel:BYTE_1
	v_mov_b32_e32 v40, v18
	v_and_b32_e32 v2, 0x7f, v1
	v_cmpx_ne_u32_e32 0x7f, v2
	s_cbranch_execz .LBB220_408
; %bb.405:                              ;   in Loop: Header=BB220_10 Depth=1
	v_and_b32_e32 v72, 7, v1
	v_lshrrev_b32_e32 v1, 3, v2
	s_mov_b32 s18, exec_lo
	v_cmpx_gt_u32_e32 8, v2
; %bb.406:                              ;   in Loop: Header=BB220_10 Depth=1
	v_ffbh_u32_e32 v1, v72
	v_min_u32_e32 v1, 32, v1
	v_subrev_nc_u32_e32 v2, 28, v1
	v_sub_nc_u32_e32 v1, 29, v1
	v_lshlrev_b64 v[4:5], v2, v[72:73]
	v_and_b32_e32 v72, 7, v4
; %bb.407:                              ;   in Loop: Header=BB220_10 Depth=1
	s_or_b32 exec_lo, exec_lo, s18
	v_lshlrev_b32_e32 v2, 16, v0
	v_lshlrev_b32_e32 v4, 20, v72
	v_lshl_add_u32 v1, v1, 23, 0x3c000000
	v_mov_b32_e32 v40, v73
	v_and_b32_e32 v2, 0x80000000, v2
	v_or3_b32 v41, v4, v2, v1
.LBB220_408:                            ;   in Loop: Header=BB220_10 Depth=1
	s_or_b32 exec_lo, exec_lo, s17
.LBB220_409:                            ;   in Loop: Header=BB220_10 Depth=1
	s_or_b32 exec_lo, exec_lo, s15
.LBB220_410:                            ;   in Loop: Header=BB220_10 Depth=1
	s_or_b32 exec_lo, exec_lo, s13
	v_mov_b32_e32 v42, 0
	v_mov_b32_e32 v44, 0
	v_and_b32_sdwa v1, v0, v25 dst_sel:DWORD dst_unused:UNUSED_PAD src0_sel:WORD_1 src1_sel:DWORD
	v_mov_b32_e32 v43, 0
	v_mov_b32_e32 v45, 0
	s_mov_b32 s13, exec_lo
	v_cmpx_ne_u16_e32 0, v1
	s_cbranch_execz .LBB220_418
; %bb.411:                              ;   in Loop: Header=BB220_10 Depth=1
	v_bfrev_b32_e32 v44, 1
	v_mov_b32_e32 v45, 0
	s_mov_b32 s15, exec_lo
	v_cmpx_ne_u16_e32 0x80, v1
	s_cbranch_execz .LBB220_417
; %bb.412:                              ;   in Loop: Header=BB220_10 Depth=1
	v_mov_b32_e32 v44, 0x7f800001
	v_bfe_u32 v2, v0, 16, 7
	v_mov_b32_e32 v45, 0
	s_mov_b32 s17, exec_lo
	v_cmpx_ne_u32_e32 0x7f, v2
	s_cbranch_execz .LBB220_416
; %bb.413:                              ;   in Loop: Header=BB220_10 Depth=1
	v_mov_b32_e32 v1, 7
	s_mov_b32 s18, exec_lo
	v_and_b32_sdwa v72, v0, v1 dst_sel:DWORD dst_unused:UNUSED_PAD src0_sel:WORD_1 src1_sel:DWORD
	v_lshrrev_b32_e32 v1, 3, v2
	v_cmpx_gt_u32_e32 8, v2
; %bb.414:                              ;   in Loop: Header=BB220_10 Depth=1
	v_ffbh_u32_e32 v1, v72
	v_min_u32_e32 v1, 32, v1
	v_subrev_nc_u32_e32 v2, 28, v1
	v_sub_nc_u32_e32 v1, 29, v1
	v_lshlrev_b64 v[4:5], v2, v[72:73]
	v_and_b32_e32 v72, 7, v4
; %bb.415:                              ;   in Loop: Header=BB220_10 Depth=1
	s_or_b32 exec_lo, exec_lo, s18
	v_mov_b32_e32 v2, 24
	v_lshlrev_b32_e32 v4, 20, v72
	v_lshl_add_u32 v1, v1, 23, 0x3c000000
	v_lshlrev_b32_sdwa v2, v2, v0 dst_sel:DWORD dst_unused:UNUSED_PAD src0_sel:DWORD src1_sel:WORD_1
	v_and_b32_e32 v2, 0x80000000, v2
	v_or3_b32 v72, v4, v2, v1
	v_mov_b32_e32 v44, v72
	v_mov_b32_e32 v45, v73
.LBB220_416:                            ;   in Loop: Header=BB220_10 Depth=1
	s_or_b32 exec_lo, exec_lo, s17
.LBB220_417:                            ;   in Loop: Header=BB220_10 Depth=1
	s_or_b32 exec_lo, exec_lo, s15
.LBB220_418:                            ;   in Loop: Header=BB220_10 Depth=1
	s_or_b32 exec_lo, exec_lo, s13
	s_mov_b32 s13, exec_lo
	v_cmpx_lt_u32_e32 0xffffff, v0
	s_cbranch_execz .LBB220_426
; %bb.419:                              ;   in Loop: Header=BB220_10 Depth=1
	v_mov_b32_e32 v2, v73
	v_mov_b32_e32 v43, v3
	v_cmp_ne_u32_sdwa s5, v0, v24 src0_sel:BYTE_3 src1_sel:DWORD
	v_mov_b32_e32 v42, v2
	s_and_saveexec_b32 s15, s5
	s_cbranch_execz .LBB220_425
; %bb.420:                              ;   in Loop: Header=BB220_10 Depth=1
	v_mov_b32_e32 v18, v73
	v_mov_b32_e32 v43, v19
	v_bfe_u32 v2, v0, 24, 7
	s_mov_b32 s17, exec_lo
	v_mov_b32_e32 v42, v18
	v_cmpx_ne_u32_e32 0x7f, v2
	s_cbranch_execz .LBB220_424
; %bb.421:                              ;   in Loop: Header=BB220_10 Depth=1
	v_mov_b32_e32 v1, 7
	s_mov_b32 s18, exec_lo
	v_and_b32_sdwa v72, v0, v1 dst_sel:DWORD dst_unused:UNUSED_PAD src0_sel:BYTE_3 src1_sel:DWORD
	v_lshrrev_b32_e32 v1, 3, v2
	v_cmpx_gt_u32_e32 8, v2
; %bb.422:                              ;   in Loop: Header=BB220_10 Depth=1
	v_ffbh_u32_e32 v1, v72
	v_min_u32_e32 v1, 32, v1
	v_subrev_nc_u32_e32 v2, 28, v1
	v_sub_nc_u32_e32 v1, 29, v1
	v_lshlrev_b64 v[4:5], v2, v[72:73]
	v_and_b32_e32 v72, 7, v4
; %bb.423:                              ;   in Loop: Header=BB220_10 Depth=1
	s_or_b32 exec_lo, exec_lo, s18
	v_mov_b32_e32 v2, 24
	v_lshl_add_u32 v1, v1, 23, 0x3c000000
	v_mov_b32_e32 v42, v73
	v_lshlrev_b32_sdwa v0, v2, v0 dst_sel:DWORD dst_unused:UNUSED_PAD src0_sel:DWORD src1_sel:BYTE_3
	v_lshlrev_b32_e32 v2, 20, v72
	v_and_b32_e32 v0, 0x80000000, v0
	v_or3_b32 v43, v2, v0, v1
.LBB220_424:                            ;   in Loop: Header=BB220_10 Depth=1
	s_or_b32 exec_lo, exec_lo, s17
.LBB220_425:                            ;   in Loop: Header=BB220_10 Depth=1
	s_or_b32 exec_lo, exec_lo, s15
.LBB220_426:                            ;   in Loop: Header=BB220_10 Depth=1
	s_or_b32 exec_lo, exec_lo, s13
	flat_load_dword v0, v[12:13] offset:1540
	v_mov_b32_e32 v56, 0
	v_mov_b32_e32 v46, 0
	;; [unrolled: 1-line block ×4, first 2 shown]
	s_waitcnt vmcnt(0) lgkmcnt(0)
	v_cmp_ne_u16_sdwa s5, v0, v73 src0_sel:BYTE_0 src1_sel:DWORD
	s_and_saveexec_b32 s13, s5
	s_cbranch_execz .LBB220_434
; %bb.427:                              ;   in Loop: Header=BB220_10 Depth=1
	v_bfrev_b32_e32 v46, 1
	v_mov_b32_e32 v47, 0
	v_cmp_ne_u16_sdwa s5, v0, v24 src0_sel:BYTE_0 src1_sel:DWORD
	s_and_saveexec_b32 s15, s5
	s_cbranch_execz .LBB220_433
; %bb.428:                              ;   in Loop: Header=BB220_10 Depth=1
	v_mov_b32_e32 v46, 0x7f800001
	v_and_b32_e32 v2, 0x7f, v0
	v_mov_b32_e32 v47, 0
	s_mov_b32 s17, exec_lo
	v_cmpx_ne_u32_e32 0x7f, v2
	s_cbranch_execz .LBB220_432
; %bb.429:                              ;   in Loop: Header=BB220_10 Depth=1
	v_and_b32_e32 v72, 7, v0
	v_lshrrev_b32_e32 v1, 3, v2
	s_mov_b32 s18, exec_lo
	v_cmpx_gt_u32_e32 8, v2
; %bb.430:                              ;   in Loop: Header=BB220_10 Depth=1
	v_ffbh_u32_e32 v1, v72
	v_min_u32_e32 v1, 32, v1
	v_subrev_nc_u32_e32 v2, 28, v1
	v_sub_nc_u32_e32 v1, 29, v1
	v_lshlrev_b64 v[4:5], v2, v[72:73]
	v_and_b32_e32 v72, 7, v4
; %bb.431:                              ;   in Loop: Header=BB220_10 Depth=1
	s_or_b32 exec_lo, exec_lo, s18
	v_lshlrev_b32_e32 v2, 24, v0
	v_lshlrev_b32_e32 v4, 20, v72
	v_lshl_add_u32 v1, v1, 23, 0x3c000000
	v_and_b32_e32 v2, 0x80000000, v2
	v_or3_b32 v72, v4, v2, v1
	v_mov_b32_e32 v46, v72
	v_mov_b32_e32 v47, v73
.LBB220_432:                            ;   in Loop: Header=BB220_10 Depth=1
	s_or_b32 exec_lo, exec_lo, s17
.LBB220_433:                            ;   in Loop: Header=BB220_10 Depth=1
	s_or_b32 exec_lo, exec_lo, s15
.LBB220_434:                            ;   in Loop: Header=BB220_10 Depth=1
	s_or_b32 exec_lo, exec_lo, s13
	v_cmp_ne_u16_sdwa s5, v0, v73 src0_sel:BYTE_1 src1_sel:DWORD
	s_and_saveexec_b32 s13, s5
	s_cbranch_execz .LBB220_442
; %bb.435:                              ;   in Loop: Header=BB220_10 Depth=1
	v_mov_b32_e32 v2, v73
	v_mov_b32_e32 v57, v3
	v_cmp_ne_u16_sdwa s5, v0, v24 src0_sel:BYTE_1 src1_sel:DWORD
	v_mov_b32_e32 v56, v2
	s_and_saveexec_b32 s15, s5
	s_cbranch_execz .LBB220_441
; %bb.436:                              ;   in Loop: Header=BB220_10 Depth=1
	v_mov_b32_e32 v1, 0xffff
	v_mov_b32_e32 v18, v73
	v_mov_b32_e32 v57, v19
	s_mov_b32 s17, exec_lo
	v_and_b32_sdwa v1, v1, v0 dst_sel:DWORD dst_unused:UNUSED_PAD src0_sel:DWORD src1_sel:BYTE_1
	v_mov_b32_e32 v56, v18
	v_and_b32_e32 v2, 0x7f, v1
	v_cmpx_ne_u32_e32 0x7f, v2
	s_cbranch_execz .LBB220_440
; %bb.437:                              ;   in Loop: Header=BB220_10 Depth=1
	v_and_b32_e32 v72, 7, v1
	v_lshrrev_b32_e32 v1, 3, v2
	s_mov_b32 s18, exec_lo
	v_cmpx_gt_u32_e32 8, v2
; %bb.438:                              ;   in Loop: Header=BB220_10 Depth=1
	v_ffbh_u32_e32 v1, v72
	v_min_u32_e32 v1, 32, v1
	v_subrev_nc_u32_e32 v2, 28, v1
	v_sub_nc_u32_e32 v1, 29, v1
	v_lshlrev_b64 v[4:5], v2, v[72:73]
	v_and_b32_e32 v72, 7, v4
; %bb.439:                              ;   in Loop: Header=BB220_10 Depth=1
	s_or_b32 exec_lo, exec_lo, s18
	v_lshlrev_b32_e32 v2, 16, v0
	v_lshlrev_b32_e32 v4, 20, v72
	v_lshl_add_u32 v1, v1, 23, 0x3c000000
	v_mov_b32_e32 v56, v73
	v_and_b32_e32 v2, 0x80000000, v2
	v_or3_b32 v57, v4, v2, v1
.LBB220_440:                            ;   in Loop: Header=BB220_10 Depth=1
	s_or_b32 exec_lo, exec_lo, s17
.LBB220_441:                            ;   in Loop: Header=BB220_10 Depth=1
	s_or_b32 exec_lo, exec_lo, s15
.LBB220_442:                            ;   in Loop: Header=BB220_10 Depth=1
	s_or_b32 exec_lo, exec_lo, s13
	v_mov_b32_e32 v58, 0
	v_mov_b32_e32 v60, 0
	v_and_b32_sdwa v1, v0, v25 dst_sel:DWORD dst_unused:UNUSED_PAD src0_sel:WORD_1 src1_sel:DWORD
	v_mov_b32_e32 v59, 0
	v_mov_b32_e32 v61, 0
	s_mov_b32 s13, exec_lo
	v_cmpx_ne_u16_e32 0, v1
	s_cbranch_execz .LBB220_450
; %bb.443:                              ;   in Loop: Header=BB220_10 Depth=1
	v_bfrev_b32_e32 v60, 1
	v_mov_b32_e32 v61, 0
	s_mov_b32 s15, exec_lo
	v_cmpx_ne_u16_e32 0x80, v1
	s_cbranch_execz .LBB220_449
; %bb.444:                              ;   in Loop: Header=BB220_10 Depth=1
	v_mov_b32_e32 v60, 0x7f800001
	v_bfe_u32 v2, v0, 16, 7
	v_mov_b32_e32 v61, 0
	s_mov_b32 s17, exec_lo
	v_cmpx_ne_u32_e32 0x7f, v2
	s_cbranch_execz .LBB220_448
; %bb.445:                              ;   in Loop: Header=BB220_10 Depth=1
	v_mov_b32_e32 v1, 7
	s_mov_b32 s18, exec_lo
	v_and_b32_sdwa v72, v0, v1 dst_sel:DWORD dst_unused:UNUSED_PAD src0_sel:WORD_1 src1_sel:DWORD
	v_lshrrev_b32_e32 v1, 3, v2
	v_cmpx_gt_u32_e32 8, v2
; %bb.446:                              ;   in Loop: Header=BB220_10 Depth=1
	v_ffbh_u32_e32 v1, v72
	v_min_u32_e32 v1, 32, v1
	v_subrev_nc_u32_e32 v2, 28, v1
	v_sub_nc_u32_e32 v1, 29, v1
	v_lshlrev_b64 v[4:5], v2, v[72:73]
	v_and_b32_e32 v72, 7, v4
; %bb.447:                              ;   in Loop: Header=BB220_10 Depth=1
	s_or_b32 exec_lo, exec_lo, s18
	v_mov_b32_e32 v2, 24
	v_lshlrev_b32_e32 v4, 20, v72
	v_lshl_add_u32 v1, v1, 23, 0x3c000000
	v_lshlrev_b32_sdwa v2, v2, v0 dst_sel:DWORD dst_unused:UNUSED_PAD src0_sel:DWORD src1_sel:WORD_1
	v_and_b32_e32 v2, 0x80000000, v2
	v_or3_b32 v72, v4, v2, v1
	v_mov_b32_e32 v60, v72
	v_mov_b32_e32 v61, v73
.LBB220_448:                            ;   in Loop: Header=BB220_10 Depth=1
	s_or_b32 exec_lo, exec_lo, s17
.LBB220_449:                            ;   in Loop: Header=BB220_10 Depth=1
	s_or_b32 exec_lo, exec_lo, s15
.LBB220_450:                            ;   in Loop: Header=BB220_10 Depth=1
	s_or_b32 exec_lo, exec_lo, s13
	s_mov_b32 s13, exec_lo
	v_cmpx_lt_u32_e32 0xffffff, v0
	s_cbranch_execz .LBB220_458
; %bb.451:                              ;   in Loop: Header=BB220_10 Depth=1
	v_mov_b32_e32 v2, v73
	v_mov_b32_e32 v59, v3
	v_cmp_ne_u32_sdwa s5, v0, v24 src0_sel:BYTE_3 src1_sel:DWORD
	v_mov_b32_e32 v58, v2
	s_and_saveexec_b32 s15, s5
	s_cbranch_execz .LBB220_457
; %bb.452:                              ;   in Loop: Header=BB220_10 Depth=1
	v_mov_b32_e32 v18, v73
	v_mov_b32_e32 v59, v19
	v_bfe_u32 v2, v0, 24, 7
	s_mov_b32 s17, exec_lo
	v_mov_b32_e32 v58, v18
	v_cmpx_ne_u32_e32 0x7f, v2
	s_cbranch_execz .LBB220_456
; %bb.453:                              ;   in Loop: Header=BB220_10 Depth=1
	v_mov_b32_e32 v1, 7
	s_mov_b32 s18, exec_lo
	v_and_b32_sdwa v72, v0, v1 dst_sel:DWORD dst_unused:UNUSED_PAD src0_sel:BYTE_3 src1_sel:DWORD
	v_lshrrev_b32_e32 v1, 3, v2
	v_cmpx_gt_u32_e32 8, v2
; %bb.454:                              ;   in Loop: Header=BB220_10 Depth=1
	v_ffbh_u32_e32 v1, v72
	v_min_u32_e32 v1, 32, v1
	v_subrev_nc_u32_e32 v2, 28, v1
	v_sub_nc_u32_e32 v1, 29, v1
	v_lshlrev_b64 v[4:5], v2, v[72:73]
	v_and_b32_e32 v72, 7, v4
; %bb.455:                              ;   in Loop: Header=BB220_10 Depth=1
	s_or_b32 exec_lo, exec_lo, s18
	v_mov_b32_e32 v2, 24
	v_lshl_add_u32 v1, v1, 23, 0x3c000000
	v_mov_b32_e32 v58, v73
	v_lshlrev_b32_sdwa v0, v2, v0 dst_sel:DWORD dst_unused:UNUSED_PAD src0_sel:DWORD src1_sel:BYTE_3
	v_lshlrev_b32_e32 v2, 20, v72
	v_and_b32_e32 v0, 0x80000000, v0
	v_or3_b32 v59, v2, v0, v1
.LBB220_456:                            ;   in Loop: Header=BB220_10 Depth=1
	s_or_b32 exec_lo, exec_lo, s17
.LBB220_457:                            ;   in Loop: Header=BB220_10 Depth=1
	s_or_b32 exec_lo, exec_lo, s15
.LBB220_458:                            ;   in Loop: Header=BB220_10 Depth=1
	s_or_b32 exec_lo, exec_lo, s13
	flat_load_dword v0, v[12:13] offset:1544
	v_mov_b32_e32 v90, 0
	v_mov_b32_e32 v62, 0
	;; [unrolled: 1-line block ×4, first 2 shown]
	s_waitcnt vmcnt(0) lgkmcnt(0)
	v_cmp_ne_u16_sdwa s5, v0, v73 src0_sel:BYTE_0 src1_sel:DWORD
	s_and_saveexec_b32 s13, s5
	s_cbranch_execz .LBB220_466
; %bb.459:                              ;   in Loop: Header=BB220_10 Depth=1
	v_bfrev_b32_e32 v62, 1
	v_mov_b32_e32 v63, 0
	v_cmp_ne_u16_sdwa s5, v0, v24 src0_sel:BYTE_0 src1_sel:DWORD
	s_and_saveexec_b32 s15, s5
	s_cbranch_execz .LBB220_465
; %bb.460:                              ;   in Loop: Header=BB220_10 Depth=1
	v_mov_b32_e32 v62, 0x7f800001
	v_and_b32_e32 v2, 0x7f, v0
	v_mov_b32_e32 v63, 0
	s_mov_b32 s17, exec_lo
	v_cmpx_ne_u32_e32 0x7f, v2
	s_cbranch_execz .LBB220_464
; %bb.461:                              ;   in Loop: Header=BB220_10 Depth=1
	v_and_b32_e32 v72, 7, v0
	v_lshrrev_b32_e32 v1, 3, v2
	s_mov_b32 s18, exec_lo
	v_cmpx_gt_u32_e32 8, v2
; %bb.462:                              ;   in Loop: Header=BB220_10 Depth=1
	v_ffbh_u32_e32 v1, v72
	v_min_u32_e32 v1, 32, v1
	v_subrev_nc_u32_e32 v2, 28, v1
	v_sub_nc_u32_e32 v1, 29, v1
	v_lshlrev_b64 v[4:5], v2, v[72:73]
	v_and_b32_e32 v72, 7, v4
; %bb.463:                              ;   in Loop: Header=BB220_10 Depth=1
	s_or_b32 exec_lo, exec_lo, s18
	v_lshlrev_b32_e32 v2, 24, v0
	v_lshlrev_b32_e32 v4, 20, v72
	v_lshl_add_u32 v1, v1, 23, 0x3c000000
	v_and_b32_e32 v2, 0x80000000, v2
	v_or3_b32 v72, v4, v2, v1
	v_mov_b32_e32 v62, v72
	v_mov_b32_e32 v63, v73
.LBB220_464:                            ;   in Loop: Header=BB220_10 Depth=1
	s_or_b32 exec_lo, exec_lo, s17
.LBB220_465:                            ;   in Loop: Header=BB220_10 Depth=1
	s_or_b32 exec_lo, exec_lo, s15
.LBB220_466:                            ;   in Loop: Header=BB220_10 Depth=1
	s_or_b32 exec_lo, exec_lo, s13
	v_cmp_ne_u16_sdwa s5, v0, v73 src0_sel:BYTE_1 src1_sel:DWORD
	s_and_saveexec_b32 s13, s5
	s_cbranch_execz .LBB220_474
; %bb.467:                              ;   in Loop: Header=BB220_10 Depth=1
	v_mov_b32_e32 v2, v73
	v_mov_b32_e32 v91, v3
	v_cmp_ne_u16_sdwa s5, v0, v24 src0_sel:BYTE_1 src1_sel:DWORD
	v_mov_b32_e32 v90, v2
	s_and_saveexec_b32 s15, s5
	s_cbranch_execz .LBB220_473
; %bb.468:                              ;   in Loop: Header=BB220_10 Depth=1
	v_mov_b32_e32 v1, 0xffff
	v_mov_b32_e32 v18, v73
	;; [unrolled: 1-line block ×3, first 2 shown]
	s_mov_b32 s17, exec_lo
	v_and_b32_sdwa v1, v1, v0 dst_sel:DWORD dst_unused:UNUSED_PAD src0_sel:DWORD src1_sel:BYTE_1
	v_mov_b32_e32 v90, v18
	v_and_b32_e32 v2, 0x7f, v1
	v_cmpx_ne_u32_e32 0x7f, v2
	s_cbranch_execz .LBB220_472
; %bb.469:                              ;   in Loop: Header=BB220_10 Depth=1
	v_and_b32_e32 v72, 7, v1
	v_lshrrev_b32_e32 v1, 3, v2
	s_mov_b32 s18, exec_lo
	v_cmpx_gt_u32_e32 8, v2
; %bb.470:                              ;   in Loop: Header=BB220_10 Depth=1
	v_ffbh_u32_e32 v1, v72
	v_min_u32_e32 v1, 32, v1
	v_subrev_nc_u32_e32 v2, 28, v1
	v_sub_nc_u32_e32 v1, 29, v1
	v_lshlrev_b64 v[4:5], v2, v[72:73]
	v_and_b32_e32 v72, 7, v4
; %bb.471:                              ;   in Loop: Header=BB220_10 Depth=1
	s_or_b32 exec_lo, exec_lo, s18
	v_lshlrev_b32_e32 v2, 16, v0
	v_lshlrev_b32_e32 v4, 20, v72
	v_lshl_add_u32 v1, v1, 23, 0x3c000000
	v_mov_b32_e32 v90, v73
	v_and_b32_e32 v2, 0x80000000, v2
	v_or3_b32 v91, v4, v2, v1
.LBB220_472:                            ;   in Loop: Header=BB220_10 Depth=1
	s_or_b32 exec_lo, exec_lo, s17
.LBB220_473:                            ;   in Loop: Header=BB220_10 Depth=1
	s_or_b32 exec_lo, exec_lo, s15
.LBB220_474:                            ;   in Loop: Header=BB220_10 Depth=1
	s_or_b32 exec_lo, exec_lo, s13
	v_mov_b32_e32 v20, 0
	v_mov_b32_e32 v104, 0
	v_and_b32_sdwa v1, v0, v25 dst_sel:DWORD dst_unused:UNUSED_PAD src0_sel:WORD_1 src1_sel:DWORD
	v_mov_b32_e32 v21, 0
	v_mov_b32_e32 v105, 0
	s_mov_b32 s13, exec_lo
	v_cmpx_ne_u16_e32 0, v1
	s_cbranch_execz .LBB220_482
; %bb.475:                              ;   in Loop: Header=BB220_10 Depth=1
	v_bfrev_b32_e32 v104, 1
	v_mov_b32_e32 v105, 0
	s_mov_b32 s15, exec_lo
	v_cmpx_ne_u16_e32 0x80, v1
	s_cbranch_execz .LBB220_481
; %bb.476:                              ;   in Loop: Header=BB220_10 Depth=1
	v_mov_b32_e32 v104, 0x7f800001
	v_bfe_u32 v2, v0, 16, 7
	v_mov_b32_e32 v105, 0
	s_mov_b32 s17, exec_lo
	v_cmpx_ne_u32_e32 0x7f, v2
	s_cbranch_execz .LBB220_480
; %bb.477:                              ;   in Loop: Header=BB220_10 Depth=1
	v_mov_b32_e32 v1, 7
	s_mov_b32 s18, exec_lo
	v_and_b32_sdwa v72, v0, v1 dst_sel:DWORD dst_unused:UNUSED_PAD src0_sel:WORD_1 src1_sel:DWORD
	v_lshrrev_b32_e32 v1, 3, v2
	v_cmpx_gt_u32_e32 8, v2
; %bb.478:                              ;   in Loop: Header=BB220_10 Depth=1
	v_ffbh_u32_e32 v1, v72
	v_min_u32_e32 v1, 32, v1
	v_subrev_nc_u32_e32 v2, 28, v1
	v_sub_nc_u32_e32 v1, 29, v1
	v_lshlrev_b64 v[4:5], v2, v[72:73]
	v_and_b32_e32 v72, 7, v4
; %bb.479:                              ;   in Loop: Header=BB220_10 Depth=1
	s_or_b32 exec_lo, exec_lo, s18
	v_mov_b32_e32 v2, 24
	v_lshlrev_b32_e32 v4, 20, v72
	v_lshl_add_u32 v1, v1, 23, 0x3c000000
	v_lshlrev_b32_sdwa v2, v2, v0 dst_sel:DWORD dst_unused:UNUSED_PAD src0_sel:DWORD src1_sel:WORD_1
	v_and_b32_e32 v2, 0x80000000, v2
	v_or3_b32 v72, v4, v2, v1
	v_mov_b32_e32 v105, v73
	v_mov_b32_e32 v104, v72
.LBB220_480:                            ;   in Loop: Header=BB220_10 Depth=1
	s_or_b32 exec_lo, exec_lo, s17
.LBB220_481:                            ;   in Loop: Header=BB220_10 Depth=1
	s_or_b32 exec_lo, exec_lo, s15
.LBB220_482:                            ;   in Loop: Header=BB220_10 Depth=1
	s_or_b32 exec_lo, exec_lo, s13
	s_mov_b32 s13, exec_lo
	v_cmpx_lt_u32_e32 0xffffff, v0
	s_cbranch_execz .LBB220_490
; %bb.483:                              ;   in Loop: Header=BB220_10 Depth=1
	v_mov_b32_e32 v2, v73
	v_mov_b32_e32 v21, v3
	v_cmp_ne_u32_sdwa s5, v0, v24 src0_sel:BYTE_3 src1_sel:DWORD
	v_mov_b32_e32 v20, v2
	s_and_saveexec_b32 s15, s5
	s_cbranch_execz .LBB220_489
; %bb.484:                              ;   in Loop: Header=BB220_10 Depth=1
	v_mov_b32_e32 v18, v73
	v_mov_b32_e32 v21, v19
	v_bfe_u32 v2, v0, 24, 7
	s_mov_b32 s17, exec_lo
	v_mov_b32_e32 v20, v18
	v_cmpx_ne_u32_e32 0x7f, v2
	s_cbranch_execz .LBB220_488
; %bb.485:                              ;   in Loop: Header=BB220_10 Depth=1
	v_mov_b32_e32 v1, 7
	s_mov_b32 s18, exec_lo
	v_and_b32_sdwa v72, v0, v1 dst_sel:DWORD dst_unused:UNUSED_PAD src0_sel:BYTE_3 src1_sel:DWORD
	v_lshrrev_b32_e32 v1, 3, v2
	v_cmpx_gt_u32_e32 8, v2
; %bb.486:                              ;   in Loop: Header=BB220_10 Depth=1
	v_ffbh_u32_e32 v1, v72
	v_min_u32_e32 v1, 32, v1
	v_subrev_nc_u32_e32 v2, 28, v1
	v_sub_nc_u32_e32 v1, 29, v1
	v_lshlrev_b64 v[4:5], v2, v[72:73]
	v_and_b32_e32 v72, 7, v4
; %bb.487:                              ;   in Loop: Header=BB220_10 Depth=1
	s_or_b32 exec_lo, exec_lo, s18
	v_mov_b32_e32 v2, 24
	v_lshl_add_u32 v1, v1, 23, 0x3c000000
	v_mov_b32_e32 v20, v73
	v_lshlrev_b32_sdwa v0, v2, v0 dst_sel:DWORD dst_unused:UNUSED_PAD src0_sel:DWORD src1_sel:BYTE_3
	v_lshlrev_b32_e32 v2, 20, v72
	v_and_b32_e32 v0, 0x80000000, v0
	v_or3_b32 v21, v2, v0, v1
.LBB220_488:                            ;   in Loop: Header=BB220_10 Depth=1
	s_or_b32 exec_lo, exec_lo, s17
.LBB220_489:                            ;   in Loop: Header=BB220_10 Depth=1
	s_or_b32 exec_lo, exec_lo, s15
.LBB220_490:                            ;   in Loop: Header=BB220_10 Depth=1
	s_or_b32 exec_lo, exec_lo, s13
	flat_load_dword v0, v[12:13] offset:1548
	v_mov_b32_e32 v92, 0
	v_mov_b32_e32 v106, 0
	;; [unrolled: 1-line block ×4, first 2 shown]
	s_waitcnt vmcnt(0) lgkmcnt(0)
	v_cmp_ne_u16_sdwa s5, v0, v73 src0_sel:BYTE_0 src1_sel:DWORD
	s_and_saveexec_b32 s13, s5
	s_cbranch_execz .LBB220_498
; %bb.491:                              ;   in Loop: Header=BB220_10 Depth=1
	v_bfrev_b32_e32 v106, 1
	v_mov_b32_e32 v107, 0
	v_cmp_ne_u16_sdwa s5, v0, v24 src0_sel:BYTE_0 src1_sel:DWORD
	s_and_saveexec_b32 s15, s5
	s_cbranch_execz .LBB220_497
; %bb.492:                              ;   in Loop: Header=BB220_10 Depth=1
	v_mov_b32_e32 v106, 0x7f800001
	v_and_b32_e32 v2, 0x7f, v0
	v_mov_b32_e32 v107, 0
	s_mov_b32 s17, exec_lo
	v_cmpx_ne_u32_e32 0x7f, v2
	s_cbranch_execz .LBB220_496
; %bb.493:                              ;   in Loop: Header=BB220_10 Depth=1
	v_and_b32_e32 v72, 7, v0
	v_lshrrev_b32_e32 v1, 3, v2
	s_mov_b32 s18, exec_lo
	v_cmpx_gt_u32_e32 8, v2
; %bb.494:                              ;   in Loop: Header=BB220_10 Depth=1
	v_ffbh_u32_e32 v1, v72
	v_min_u32_e32 v1, 32, v1
	v_subrev_nc_u32_e32 v2, 28, v1
	v_sub_nc_u32_e32 v1, 29, v1
	v_lshlrev_b64 v[4:5], v2, v[72:73]
	v_and_b32_e32 v72, 7, v4
; %bb.495:                              ;   in Loop: Header=BB220_10 Depth=1
	s_or_b32 exec_lo, exec_lo, s18
	v_lshlrev_b32_e32 v2, 24, v0
	v_lshlrev_b32_e32 v4, 20, v72
	v_lshl_add_u32 v1, v1, 23, 0x3c000000
	v_and_b32_e32 v2, 0x80000000, v2
	v_or3_b32 v72, v4, v2, v1
	v_mov_b32_e32 v107, v73
	v_mov_b32_e32 v106, v72
.LBB220_496:                            ;   in Loop: Header=BB220_10 Depth=1
	s_or_b32 exec_lo, exec_lo, s17
.LBB220_497:                            ;   in Loop: Header=BB220_10 Depth=1
	s_or_b32 exec_lo, exec_lo, s15
.LBB220_498:                            ;   in Loop: Header=BB220_10 Depth=1
	s_or_b32 exec_lo, exec_lo, s13
	v_cmp_ne_u16_sdwa s5, v0, v73 src0_sel:BYTE_1 src1_sel:DWORD
	s_and_saveexec_b32 s13, s5
	s_cbranch_execz .LBB220_506
; %bb.499:                              ;   in Loop: Header=BB220_10 Depth=1
	v_mov_b32_e32 v2, v73
	v_mov_b32_e32 v93, v3
	v_cmp_ne_u16_sdwa s5, v0, v24 src0_sel:BYTE_1 src1_sel:DWORD
	v_mov_b32_e32 v92, v2
	s_and_saveexec_b32 s15, s5
	s_cbranch_execz .LBB220_505
; %bb.500:                              ;   in Loop: Header=BB220_10 Depth=1
	v_mov_b32_e32 v1, 0xffff
	v_mov_b32_e32 v18, v73
	;; [unrolled: 1-line block ×3, first 2 shown]
	s_mov_b32 s17, exec_lo
	v_and_b32_sdwa v1, v1, v0 dst_sel:DWORD dst_unused:UNUSED_PAD src0_sel:DWORD src1_sel:BYTE_1
	v_mov_b32_e32 v92, v18
	v_and_b32_e32 v2, 0x7f, v1
	v_cmpx_ne_u32_e32 0x7f, v2
	s_cbranch_execz .LBB220_504
; %bb.501:                              ;   in Loop: Header=BB220_10 Depth=1
	v_and_b32_e32 v72, 7, v1
	v_lshrrev_b32_e32 v1, 3, v2
	s_mov_b32 s18, exec_lo
	v_cmpx_gt_u32_e32 8, v2
; %bb.502:                              ;   in Loop: Header=BB220_10 Depth=1
	v_ffbh_u32_e32 v1, v72
	v_min_u32_e32 v1, 32, v1
	v_subrev_nc_u32_e32 v2, 28, v1
	v_sub_nc_u32_e32 v1, 29, v1
	v_lshlrev_b64 v[4:5], v2, v[72:73]
	v_and_b32_e32 v72, 7, v4
; %bb.503:                              ;   in Loop: Header=BB220_10 Depth=1
	s_or_b32 exec_lo, exec_lo, s18
	v_lshlrev_b32_e32 v2, 16, v0
	v_lshlrev_b32_e32 v4, 20, v72
	v_lshl_add_u32 v1, v1, 23, 0x3c000000
	v_mov_b32_e32 v92, v73
	v_and_b32_e32 v2, 0x80000000, v2
	v_or3_b32 v93, v4, v2, v1
.LBB220_504:                            ;   in Loop: Header=BB220_10 Depth=1
	s_or_b32 exec_lo, exec_lo, s17
.LBB220_505:                            ;   in Loop: Header=BB220_10 Depth=1
	s_or_b32 exec_lo, exec_lo, s15
.LBB220_506:                            ;   in Loop: Header=BB220_10 Depth=1
	s_or_b32 exec_lo, exec_lo, s13
	v_mov_b32_e32 v120, 0
	v_mov_b32_e32 v94, 0
	v_and_b32_sdwa v1, v0, v25 dst_sel:DWORD dst_unused:UNUSED_PAD src0_sel:WORD_1 src1_sel:DWORD
	v_mov_b32_e32 v121, 0
	v_mov_b32_e32 v95, 0
	s_mov_b32 s13, exec_lo
	v_cmpx_ne_u16_e32 0, v1
	s_cbranch_execz .LBB220_514
; %bb.507:                              ;   in Loop: Header=BB220_10 Depth=1
	v_bfrev_b32_e32 v94, 1
	v_mov_b32_e32 v95, 0
	s_mov_b32 s15, exec_lo
	v_cmpx_ne_u16_e32 0x80, v1
	s_cbranch_execz .LBB220_513
; %bb.508:                              ;   in Loop: Header=BB220_10 Depth=1
	v_mov_b32_e32 v94, 0x7f800001
	v_bfe_u32 v2, v0, 16, 7
	v_mov_b32_e32 v95, 0
	s_mov_b32 s17, exec_lo
	v_cmpx_ne_u32_e32 0x7f, v2
	s_cbranch_execz .LBB220_512
; %bb.509:                              ;   in Loop: Header=BB220_10 Depth=1
	v_mov_b32_e32 v1, 7
	s_mov_b32 s18, exec_lo
	v_and_b32_sdwa v72, v0, v1 dst_sel:DWORD dst_unused:UNUSED_PAD src0_sel:WORD_1 src1_sel:DWORD
	v_lshrrev_b32_e32 v1, 3, v2
	v_cmpx_gt_u32_e32 8, v2
; %bb.510:                              ;   in Loop: Header=BB220_10 Depth=1
	v_ffbh_u32_e32 v1, v72
	v_min_u32_e32 v1, 32, v1
	v_subrev_nc_u32_e32 v2, 28, v1
	v_sub_nc_u32_e32 v1, 29, v1
	v_lshlrev_b64 v[4:5], v2, v[72:73]
	v_and_b32_e32 v72, 7, v4
; %bb.511:                              ;   in Loop: Header=BB220_10 Depth=1
	s_or_b32 exec_lo, exec_lo, s18
	v_mov_b32_e32 v2, 24
	v_lshlrev_b32_e32 v4, 20, v72
	v_lshl_add_u32 v1, v1, 23, 0x3c000000
	v_lshlrev_b32_sdwa v2, v2, v0 dst_sel:DWORD dst_unused:UNUSED_PAD src0_sel:DWORD src1_sel:WORD_1
	v_and_b32_e32 v2, 0x80000000, v2
	v_or3_b32 v72, v4, v2, v1
	v_mov_b32_e32 v95, v73
	v_mov_b32_e32 v94, v72
.LBB220_512:                            ;   in Loop: Header=BB220_10 Depth=1
	s_or_b32 exec_lo, exec_lo, s17
.LBB220_513:                            ;   in Loop: Header=BB220_10 Depth=1
	s_or_b32 exec_lo, exec_lo, s15
.LBB220_514:                            ;   in Loop: Header=BB220_10 Depth=1
	s_or_b32 exec_lo, exec_lo, s13
	s_mov_b32 s13, exec_lo
	v_cmpx_lt_u32_e32 0xffffff, v0
	s_cbranch_execz .LBB220_522
; %bb.515:                              ;   in Loop: Header=BB220_10 Depth=1
	v_mov_b32_e32 v2, v73
	v_mov_b32_e32 v121, v3
	v_cmp_ne_u32_sdwa s5, v0, v24 src0_sel:BYTE_3 src1_sel:DWORD
	v_mov_b32_e32 v120, v2
	s_and_saveexec_b32 s15, s5
	s_cbranch_execz .LBB220_521
; %bb.516:                              ;   in Loop: Header=BB220_10 Depth=1
	v_mov_b32_e32 v18, v73
	v_mov_b32_e32 v121, v19
	v_bfe_u32 v2, v0, 24, 7
	s_mov_b32 s17, exec_lo
	v_mov_b32_e32 v120, v18
	v_cmpx_ne_u32_e32 0x7f, v2
	s_cbranch_execz .LBB220_520
; %bb.517:                              ;   in Loop: Header=BB220_10 Depth=1
	v_mov_b32_e32 v1, 7
	s_mov_b32 s18, exec_lo
	v_and_b32_sdwa v72, v0, v1 dst_sel:DWORD dst_unused:UNUSED_PAD src0_sel:BYTE_3 src1_sel:DWORD
	v_lshrrev_b32_e32 v1, 3, v2
	v_cmpx_gt_u32_e32 8, v2
; %bb.518:                              ;   in Loop: Header=BB220_10 Depth=1
	v_ffbh_u32_e32 v1, v72
	v_min_u32_e32 v1, 32, v1
	v_subrev_nc_u32_e32 v2, 28, v1
	v_sub_nc_u32_e32 v1, 29, v1
	v_lshlrev_b64 v[4:5], v2, v[72:73]
	v_and_b32_e32 v72, 7, v4
; %bb.519:                              ;   in Loop: Header=BB220_10 Depth=1
	s_or_b32 exec_lo, exec_lo, s18
	v_mov_b32_e32 v2, 24
	v_lshl_add_u32 v1, v1, 23, 0x3c000000
	v_mov_b32_e32 v120, v73
	v_lshlrev_b32_sdwa v0, v2, v0 dst_sel:DWORD dst_unused:UNUSED_PAD src0_sel:DWORD src1_sel:BYTE_3
	v_lshlrev_b32_e32 v2, 20, v72
	v_and_b32_e32 v0, 0x80000000, v0
	v_or3_b32 v121, v2, v0, v1
.LBB220_520:                            ;   in Loop: Header=BB220_10 Depth=1
	s_or_b32 exec_lo, exec_lo, s17
.LBB220_521:                            ;   in Loop: Header=BB220_10 Depth=1
	s_or_b32 exec_lo, exec_lo, s15
.LBB220_522:                            ;   in Loop: Header=BB220_10 Depth=1
	s_or_b32 exec_lo, exec_lo, s13
	v_add_co_u32 v110, s5, 0x800, v12
	v_add_co_ci_u32_e64 v111, null, 0, v13, s5
	v_mov_b32_e32 v122, 0
	v_mov_b32_e32 v12, 0
	;; [unrolled: 1-line block ×3, first 2 shown]
	flat_load_dword v0, v[110:111]
	v_mov_b32_e32 v13, 0
	s_waitcnt vmcnt(0) lgkmcnt(0)
	v_cmp_ne_u16_sdwa s5, v0, v73 src0_sel:BYTE_0 src1_sel:DWORD
	s_and_saveexec_b32 s13, s5
	s_cbranch_execz .LBB220_530
; %bb.523:                              ;   in Loop: Header=BB220_10 Depth=1
	v_bfrev_b32_e32 v12, 1
	v_mov_b32_e32 v13, 0
	v_cmp_ne_u16_sdwa s5, v0, v24 src0_sel:BYTE_0 src1_sel:DWORD
	s_and_saveexec_b32 s15, s5
	s_cbranch_execz .LBB220_529
; %bb.524:                              ;   in Loop: Header=BB220_10 Depth=1
	v_mov_b32_e32 v12, 0x7f800001
	v_and_b32_e32 v2, 0x7f, v0
	v_mov_b32_e32 v13, 0
	s_mov_b32 s17, exec_lo
	v_cmpx_ne_u32_e32 0x7f, v2
	s_cbranch_execz .LBB220_528
; %bb.525:                              ;   in Loop: Header=BB220_10 Depth=1
	v_and_b32_e32 v72, 7, v0
	v_lshrrev_b32_e32 v1, 3, v2
	s_mov_b32 s18, exec_lo
	v_cmpx_gt_u32_e32 8, v2
; %bb.526:                              ;   in Loop: Header=BB220_10 Depth=1
	v_ffbh_u32_e32 v1, v72
	v_min_u32_e32 v1, 32, v1
	v_subrev_nc_u32_e32 v2, 28, v1
	v_sub_nc_u32_e32 v1, 29, v1
	v_lshlrev_b64 v[4:5], v2, v[72:73]
	v_and_b32_e32 v72, 7, v4
; %bb.527:                              ;   in Loop: Header=BB220_10 Depth=1
	s_or_b32 exec_lo, exec_lo, s18
	v_lshlrev_b32_e32 v2, 24, v0
	v_lshlrev_b32_e32 v4, 20, v72
	v_lshl_add_u32 v1, v1, 23, 0x3c000000
	v_and_b32_e32 v2, 0x80000000, v2
	v_or3_b32 v72, v4, v2, v1
	v_mov_b32_e32 v12, v72
	v_mov_b32_e32 v13, v73
.LBB220_528:                            ;   in Loop: Header=BB220_10 Depth=1
	s_or_b32 exec_lo, exec_lo, s17
.LBB220_529:                            ;   in Loop: Header=BB220_10 Depth=1
	s_or_b32 exec_lo, exec_lo, s15
.LBB220_530:                            ;   in Loop: Header=BB220_10 Depth=1
	s_or_b32 exec_lo, exec_lo, s13
	v_cmp_ne_u16_sdwa s5, v0, v73 src0_sel:BYTE_1 src1_sel:DWORD
	s_and_saveexec_b32 s13, s5
	s_cbranch_execz .LBB220_538
; %bb.531:                              ;   in Loop: Header=BB220_10 Depth=1
	v_mov_b32_e32 v2, v73
	v_mov_b32_e32 v123, v3
	v_cmp_ne_u16_sdwa s5, v0, v24 src0_sel:BYTE_1 src1_sel:DWORD
	v_mov_b32_e32 v122, v2
	s_and_saveexec_b32 s15, s5
	s_cbranch_execz .LBB220_537
; %bb.532:                              ;   in Loop: Header=BB220_10 Depth=1
	v_mov_b32_e32 v1, 0xffff
	v_mov_b32_e32 v18, v73
	;; [unrolled: 1-line block ×3, first 2 shown]
	s_mov_b32 s17, exec_lo
	v_and_b32_sdwa v1, v1, v0 dst_sel:DWORD dst_unused:UNUSED_PAD src0_sel:DWORD src1_sel:BYTE_1
	v_mov_b32_e32 v122, v18
	v_and_b32_e32 v2, 0x7f, v1
	v_cmpx_ne_u32_e32 0x7f, v2
	s_cbranch_execz .LBB220_536
; %bb.533:                              ;   in Loop: Header=BB220_10 Depth=1
	v_and_b32_e32 v72, 7, v1
	v_lshrrev_b32_e32 v1, 3, v2
	s_mov_b32 s18, exec_lo
	v_cmpx_gt_u32_e32 8, v2
; %bb.534:                              ;   in Loop: Header=BB220_10 Depth=1
	v_ffbh_u32_e32 v1, v72
	v_min_u32_e32 v1, 32, v1
	v_subrev_nc_u32_e32 v2, 28, v1
	v_sub_nc_u32_e32 v1, 29, v1
	v_lshlrev_b64 v[4:5], v2, v[72:73]
	v_and_b32_e32 v72, 7, v4
; %bb.535:                              ;   in Loop: Header=BB220_10 Depth=1
	s_or_b32 exec_lo, exec_lo, s18
	v_lshlrev_b32_e32 v2, 16, v0
	v_lshlrev_b32_e32 v4, 20, v72
	v_lshl_add_u32 v1, v1, 23, 0x3c000000
	v_mov_b32_e32 v122, v73
	v_and_b32_e32 v2, 0x80000000, v2
	v_or3_b32 v123, v4, v2, v1
.LBB220_536:                            ;   in Loop: Header=BB220_10 Depth=1
	s_or_b32 exec_lo, exec_lo, s17
.LBB220_537:                            ;   in Loop: Header=BB220_10 Depth=1
	s_or_b32 exec_lo, exec_lo, s15
.LBB220_538:                            ;   in Loop: Header=BB220_10 Depth=1
	s_or_b32 exec_lo, exec_lo, s13
	v_mov_b32_e32 v108, 0
	v_mov_b32_e32 v16, 0
	v_and_b32_sdwa v1, v0, v25 dst_sel:DWORD dst_unused:UNUSED_PAD src0_sel:WORD_1 src1_sel:DWORD
	v_mov_b32_e32 v109, 0
	v_mov_b32_e32 v17, 0
	s_mov_b32 s13, exec_lo
	v_cmpx_ne_u16_e32 0, v1
	s_cbranch_execz .LBB220_546
; %bb.539:                              ;   in Loop: Header=BB220_10 Depth=1
	v_bfrev_b32_e32 v16, 1
	v_mov_b32_e32 v17, 0
	s_mov_b32 s15, exec_lo
	v_cmpx_ne_u16_e32 0x80, v1
	s_cbranch_execz .LBB220_545
; %bb.540:                              ;   in Loop: Header=BB220_10 Depth=1
	v_mov_b32_e32 v16, 0x7f800001
	v_bfe_u32 v2, v0, 16, 7
	v_mov_b32_e32 v17, 0
	s_mov_b32 s17, exec_lo
	v_cmpx_ne_u32_e32 0x7f, v2
	s_cbranch_execz .LBB220_544
; %bb.541:                              ;   in Loop: Header=BB220_10 Depth=1
	v_mov_b32_e32 v1, 7
	s_mov_b32 s18, exec_lo
	v_and_b32_sdwa v72, v0, v1 dst_sel:DWORD dst_unused:UNUSED_PAD src0_sel:WORD_1 src1_sel:DWORD
	v_lshrrev_b32_e32 v1, 3, v2
	v_cmpx_gt_u32_e32 8, v2
; %bb.542:                              ;   in Loop: Header=BB220_10 Depth=1
	v_ffbh_u32_e32 v1, v72
	v_min_u32_e32 v1, 32, v1
	v_subrev_nc_u32_e32 v2, 28, v1
	v_sub_nc_u32_e32 v1, 29, v1
	v_lshlrev_b64 v[4:5], v2, v[72:73]
	v_and_b32_e32 v72, 7, v4
; %bb.543:                              ;   in Loop: Header=BB220_10 Depth=1
	s_or_b32 exec_lo, exec_lo, s18
	v_mov_b32_e32 v2, 24
	v_lshlrev_b32_e32 v4, 20, v72
	v_lshl_add_u32 v1, v1, 23, 0x3c000000
	v_lshlrev_b32_sdwa v2, v2, v0 dst_sel:DWORD dst_unused:UNUSED_PAD src0_sel:DWORD src1_sel:WORD_1
	v_and_b32_e32 v2, 0x80000000, v2
	v_or3_b32 v72, v4, v2, v1
	v_mov_b32_e32 v16, v72
	v_mov_b32_e32 v17, v73
.LBB220_544:                            ;   in Loop: Header=BB220_10 Depth=1
	s_or_b32 exec_lo, exec_lo, s17
.LBB220_545:                            ;   in Loop: Header=BB220_10 Depth=1
	s_or_b32 exec_lo, exec_lo, s15
.LBB220_546:                            ;   in Loop: Header=BB220_10 Depth=1
	s_or_b32 exec_lo, exec_lo, s13
	s_mov_b32 s13, exec_lo
	v_cmpx_lt_u32_e32 0xffffff, v0
	s_cbranch_execz .LBB220_554
; %bb.547:                              ;   in Loop: Header=BB220_10 Depth=1
	v_mov_b32_e32 v2, v73
	v_mov_b32_e32 v109, v3
	v_cmp_ne_u32_sdwa s5, v0, v24 src0_sel:BYTE_3 src1_sel:DWORD
	v_mov_b32_e32 v108, v2
	s_and_saveexec_b32 s15, s5
	s_cbranch_execz .LBB220_553
; %bb.548:                              ;   in Loop: Header=BB220_10 Depth=1
	v_mov_b32_e32 v18, v73
	v_mov_b32_e32 v109, v19
	v_bfe_u32 v2, v0, 24, 7
	s_mov_b32 s17, exec_lo
	v_mov_b32_e32 v108, v18
	v_cmpx_ne_u32_e32 0x7f, v2
	s_cbranch_execz .LBB220_552
; %bb.549:                              ;   in Loop: Header=BB220_10 Depth=1
	v_mov_b32_e32 v1, 7
	s_mov_b32 s18, exec_lo
	v_and_b32_sdwa v72, v0, v1 dst_sel:DWORD dst_unused:UNUSED_PAD src0_sel:BYTE_3 src1_sel:DWORD
	v_lshrrev_b32_e32 v1, 3, v2
	v_cmpx_gt_u32_e32 8, v2
; %bb.550:                              ;   in Loop: Header=BB220_10 Depth=1
	v_ffbh_u32_e32 v1, v72
	v_min_u32_e32 v1, 32, v1
	v_subrev_nc_u32_e32 v2, 28, v1
	v_sub_nc_u32_e32 v1, 29, v1
	v_lshlrev_b64 v[4:5], v2, v[72:73]
	v_and_b32_e32 v72, 7, v4
; %bb.551:                              ;   in Loop: Header=BB220_10 Depth=1
	s_or_b32 exec_lo, exec_lo, s18
	v_mov_b32_e32 v2, 24
	v_lshl_add_u32 v1, v1, 23, 0x3c000000
	v_mov_b32_e32 v108, v73
	v_lshlrev_b32_sdwa v0, v2, v0 dst_sel:DWORD dst_unused:UNUSED_PAD src0_sel:DWORD src1_sel:BYTE_3
	v_lshlrev_b32_e32 v2, 20, v72
	v_and_b32_e32 v0, 0x80000000, v0
	v_or3_b32 v109, v2, v0, v1
.LBB220_552:                            ;   in Loop: Header=BB220_10 Depth=1
	s_or_b32 exec_lo, exec_lo, s17
.LBB220_553:                            ;   in Loop: Header=BB220_10 Depth=1
	s_or_b32 exec_lo, exec_lo, s15
.LBB220_554:                            ;   in Loop: Header=BB220_10 Depth=1
	s_or_b32 exec_lo, exec_lo, s13
	flat_load_dword v4, v[110:111] offset:4
	v_mov_b32_e32 v88, 0
	v_mov_b32_e32 v0, 0
	;; [unrolled: 1-line block ×4, first 2 shown]
	s_waitcnt vmcnt(0) lgkmcnt(0)
	v_cmp_ne_u16_sdwa s5, v4, v73 src0_sel:BYTE_0 src1_sel:DWORD
	s_and_saveexec_b32 s13, s5
	s_cbranch_execz .LBB220_562
; %bb.555:                              ;   in Loop: Header=BB220_10 Depth=1
	v_bfrev_b32_e32 v0, 1
	v_mov_b32_e32 v1, 0
	v_cmp_ne_u16_sdwa s5, v4, v24 src0_sel:BYTE_0 src1_sel:DWORD
	s_and_saveexec_b32 s15, s5
	s_cbranch_execz .LBB220_561
; %bb.556:                              ;   in Loop: Header=BB220_10 Depth=1
	v_mov_b32_e32 v0, 0x7f800001
	v_and_b32_e32 v2, 0x7f, v4
	v_mov_b32_e32 v1, 0
	s_mov_b32 s17, exec_lo
	v_cmpx_ne_u32_e32 0x7f, v2
	s_cbranch_execz .LBB220_560
; %bb.557:                              ;   in Loop: Header=BB220_10 Depth=1
	v_and_b32_e32 v72, 7, v4
	v_lshrrev_b32_e32 v0, 3, v2
	s_mov_b32 s18, exec_lo
	v_cmpx_gt_u32_e32 8, v2
; %bb.558:                              ;   in Loop: Header=BB220_10 Depth=1
	v_ffbh_u32_e32 v0, v72
	v_min_u32_e32 v0, 32, v0
	v_subrev_nc_u32_e32 v1, 28, v0
	v_sub_nc_u32_e32 v0, 29, v0
	v_lshlrev_b64 v[1:2], v1, v[72:73]
	v_and_b32_e32 v72, 7, v1
; %bb.559:                              ;   in Loop: Header=BB220_10 Depth=1
	s_or_b32 exec_lo, exec_lo, s18
	v_lshlrev_b32_e32 v1, 24, v4
	v_lshlrev_b32_e32 v2, 20, v72
	v_lshl_add_u32 v0, v0, 23, 0x3c000000
	v_and_b32_e32 v1, 0x80000000, v1
	v_or3_b32 v72, v2, v1, v0
	v_mov_b32_e32 v0, v72
	v_mov_b32_e32 v1, v73
.LBB220_560:                            ;   in Loop: Header=BB220_10 Depth=1
	s_or_b32 exec_lo, exec_lo, s17
.LBB220_561:                            ;   in Loop: Header=BB220_10 Depth=1
	s_or_b32 exec_lo, exec_lo, s15
.LBB220_562:                            ;   in Loop: Header=BB220_10 Depth=1
	s_or_b32 exec_lo, exec_lo, s13
	v_cmp_ne_u16_sdwa s5, v4, v73 src0_sel:BYTE_1 src1_sel:DWORD
	s_and_saveexec_b32 s13, s5
	s_cbranch_execz .LBB220_570
; %bb.563:                              ;   in Loop: Header=BB220_10 Depth=1
	v_mov_b32_e32 v2, v73
	v_mov_b32_e32 v89, v3
	v_cmp_ne_u16_sdwa s5, v4, v24 src0_sel:BYTE_1 src1_sel:DWORD
	v_mov_b32_e32 v88, v2
	s_and_saveexec_b32 s15, s5
	s_cbranch_execz .LBB220_569
; %bb.564:                              ;   in Loop: Header=BB220_10 Depth=1
	v_mov_b32_e32 v2, 0xffff
	v_mov_b32_e32 v18, v73
	v_mov_b32_e32 v89, v19
	s_mov_b32 s17, exec_lo
	v_and_b32_sdwa v2, v2, v4 dst_sel:DWORD dst_unused:UNUSED_PAD src0_sel:DWORD src1_sel:BYTE_1
	v_mov_b32_e32 v88, v18
	v_and_b32_e32 v5, 0x7f, v2
	v_cmpx_ne_u32_e32 0x7f, v5
	s_cbranch_execz .LBB220_568
; %bb.565:                              ;   in Loop: Header=BB220_10 Depth=1
	v_and_b32_e32 v72, 7, v2
	v_lshrrev_b32_e32 v2, 3, v5
	s_mov_b32 s18, exec_lo
	v_cmpx_gt_u32_e32 8, v5
; %bb.566:                              ;   in Loop: Header=BB220_10 Depth=1
	v_ffbh_u32_e32 v2, v72
	v_min_u32_e32 v2, 32, v2
	v_subrev_nc_u32_e32 v5, 28, v2
	v_sub_nc_u32_e32 v2, 29, v2
	v_lshlrev_b64 v[7:8], v5, v[72:73]
	v_and_b32_e32 v72, 7, v7
; %bb.567:                              ;   in Loop: Header=BB220_10 Depth=1
	s_or_b32 exec_lo, exec_lo, s18
	v_lshlrev_b32_e32 v5, 16, v4
	v_lshlrev_b32_e32 v7, 20, v72
	v_lshl_add_u32 v2, v2, 23, 0x3c000000
	v_mov_b32_e32 v88, v73
	v_and_b32_e32 v5, 0x80000000, v5
	v_or3_b32 v89, v7, v5, v2
.LBB220_568:                            ;   in Loop: Header=BB220_10 Depth=1
	s_or_b32 exec_lo, exec_lo, s17
.LBB220_569:                            ;   in Loop: Header=BB220_10 Depth=1
	s_or_b32 exec_lo, exec_lo, s15
.LBB220_570:                            ;   in Loop: Header=BB220_10 Depth=1
	s_or_b32 exec_lo, exec_lo, s13
	v_mov_b32_e32 v124, 0
	v_mov_b32_e32 v7, 0
	v_and_b32_sdwa v2, v4, v25 dst_sel:DWORD dst_unused:UNUSED_PAD src0_sel:WORD_1 src1_sel:DWORD
	v_mov_b32_e32 v125, 0
	v_mov_b32_e32 v8, 0
	s_mov_b32 s13, exec_lo
	v_cmpx_ne_u16_e32 0, v2
	s_cbranch_execz .LBB220_578
; %bb.571:                              ;   in Loop: Header=BB220_10 Depth=1
	v_bfrev_b32_e32 v7, 1
	v_mov_b32_e32 v8, 0
	s_mov_b32 s15, exec_lo
	v_cmpx_ne_u16_e32 0x80, v2
	s_cbranch_execz .LBB220_577
; %bb.572:                              ;   in Loop: Header=BB220_10 Depth=1
	v_mov_b32_e32 v7, 0x7f800001
	v_bfe_u32 v5, v4, 16, 7
	v_mov_b32_e32 v8, 0
	s_mov_b32 s17, exec_lo
	v_cmpx_ne_u32_e32 0x7f, v5
	s_cbranch_execz .LBB220_576
; %bb.573:                              ;   in Loop: Header=BB220_10 Depth=1
	v_mov_b32_e32 v2, 7
	s_mov_b32 s18, exec_lo
	v_and_b32_sdwa v72, v4, v2 dst_sel:DWORD dst_unused:UNUSED_PAD src0_sel:WORD_1 src1_sel:DWORD
	v_lshrrev_b32_e32 v2, 3, v5
	v_cmpx_gt_u32_e32 8, v5
; %bb.574:                              ;   in Loop: Header=BB220_10 Depth=1
	v_ffbh_u32_e32 v2, v72
	v_min_u32_e32 v2, 32, v2
	v_subrev_nc_u32_e32 v5, 28, v2
	v_sub_nc_u32_e32 v2, 29, v2
	v_lshlrev_b64 v[7:8], v5, v[72:73]
	v_and_b32_e32 v72, 7, v7
; %bb.575:                              ;   in Loop: Header=BB220_10 Depth=1
	s_or_b32 exec_lo, exec_lo, s18
	v_mov_b32_e32 v5, 24
	v_lshlrev_b32_e32 v7, 20, v72
	v_lshl_add_u32 v2, v2, 23, 0x3c000000
	v_lshlrev_b32_sdwa v5, v5, v4 dst_sel:DWORD dst_unused:UNUSED_PAD src0_sel:DWORD src1_sel:WORD_1
	v_and_b32_e32 v5, 0x80000000, v5
	v_or3_b32 v72, v7, v5, v2
	v_mov_b32_e32 v7, v72
	v_mov_b32_e32 v8, v73
.LBB220_576:                            ;   in Loop: Header=BB220_10 Depth=1
	s_or_b32 exec_lo, exec_lo, s17
.LBB220_577:                            ;   in Loop: Header=BB220_10 Depth=1
	s_or_b32 exec_lo, exec_lo, s15
.LBB220_578:                            ;   in Loop: Header=BB220_10 Depth=1
	s_or_b32 exec_lo, exec_lo, s13
	s_mov_b32 s13, exec_lo
	v_cmpx_lt_u32_e32 0xffffff, v4
	s_cbranch_execz .LBB220_586
; %bb.579:                              ;   in Loop: Header=BB220_10 Depth=1
	v_mov_b32_e32 v2, v73
	v_mov_b32_e32 v125, v3
	v_cmp_ne_u32_sdwa s5, v4, v24 src0_sel:BYTE_3 src1_sel:DWORD
	v_mov_b32_e32 v124, v2
	s_and_saveexec_b32 s15, s5
	s_cbranch_execz .LBB220_585
; %bb.580:                              ;   in Loop: Header=BB220_10 Depth=1
	v_mov_b32_e32 v18, v73
	v_mov_b32_e32 v125, v19
	v_bfe_u32 v5, v4, 24, 7
	s_mov_b32 s17, exec_lo
	v_mov_b32_e32 v124, v18
	v_cmpx_ne_u32_e32 0x7f, v5
	s_cbranch_execz .LBB220_584
; %bb.581:                              ;   in Loop: Header=BB220_10 Depth=1
	v_mov_b32_e32 v2, 7
	s_mov_b32 s18, exec_lo
	v_and_b32_sdwa v72, v4, v2 dst_sel:DWORD dst_unused:UNUSED_PAD src0_sel:BYTE_3 src1_sel:DWORD
	v_lshrrev_b32_e32 v2, 3, v5
	v_cmpx_gt_u32_e32 8, v5
; %bb.582:                              ;   in Loop: Header=BB220_10 Depth=1
	v_ffbh_u32_e32 v2, v72
	v_min_u32_e32 v2, 32, v2
	v_subrev_nc_u32_e32 v5, 28, v2
	v_sub_nc_u32_e32 v2, 29, v2
	v_lshlrev_b64 v[10:11], v5, v[72:73]
	v_and_b32_e32 v72, 7, v10
; %bb.583:                              ;   in Loop: Header=BB220_10 Depth=1
	s_or_b32 exec_lo, exec_lo, s18
	v_mov_b32_e32 v5, 24
	v_lshl_add_u32 v2, v2, 23, 0x3c000000
	v_mov_b32_e32 v124, v73
	v_lshlrev_b32_sdwa v4, v5, v4 dst_sel:DWORD dst_unused:UNUSED_PAD src0_sel:DWORD src1_sel:BYTE_3
	v_lshlrev_b32_e32 v5, 20, v72
	v_and_b32_e32 v4, 0x80000000, v4
	v_or3_b32 v125, v5, v4, v2
.LBB220_584:                            ;   in Loop: Header=BB220_10 Depth=1
	s_or_b32 exec_lo, exec_lo, s17
.LBB220_585:                            ;   in Loop: Header=BB220_10 Depth=1
	s_or_b32 exec_lo, exec_lo, s15
.LBB220_586:                            ;   in Loop: Header=BB220_10 Depth=1
	s_or_b32 exec_lo, exec_lo, s13
	flat_load_dword v4, v[110:111] offset:8
	v_mov_b32_e32 v10, 0
	v_mov_b32_e32 v22, 0
	;; [unrolled: 1-line block ×4, first 2 shown]
	s_waitcnt vmcnt(0) lgkmcnt(0)
	v_cmp_ne_u16_sdwa s5, v4, v73 src0_sel:BYTE_0 src1_sel:DWORD
	s_and_saveexec_b32 s13, s5
	s_cbranch_execz .LBB220_594
; %bb.587:                              ;   in Loop: Header=BB220_10 Depth=1
	v_bfrev_b32_e32 v22, 1
	v_mov_b32_e32 v23, 0
	v_cmp_ne_u16_sdwa s5, v4, v24 src0_sel:BYTE_0 src1_sel:DWORD
	s_and_saveexec_b32 s15, s5
	s_cbranch_execz .LBB220_593
; %bb.588:                              ;   in Loop: Header=BB220_10 Depth=1
	v_mov_b32_e32 v22, 0x7f800001
	v_and_b32_e32 v5, 0x7f, v4
	v_mov_b32_e32 v23, 0
	s_mov_b32 s17, exec_lo
	v_cmpx_ne_u32_e32 0x7f, v5
	s_cbranch_execz .LBB220_592
; %bb.589:                              ;   in Loop: Header=BB220_10 Depth=1
	v_and_b32_e32 v72, 7, v4
	v_lshrrev_b32_e32 v2, 3, v5
	s_mov_b32 s18, exec_lo
	v_cmpx_gt_u32_e32 8, v5
; %bb.590:                              ;   in Loop: Header=BB220_10 Depth=1
	v_ffbh_u32_e32 v2, v72
	v_min_u32_e32 v2, 32, v2
	v_subrev_nc_u32_e32 v5, 28, v2
	v_sub_nc_u32_e32 v2, 29, v2
	v_lshlrev_b64 v[14:15], v5, v[72:73]
	v_and_b32_e32 v72, 7, v14
; %bb.591:                              ;   in Loop: Header=BB220_10 Depth=1
	s_or_b32 exec_lo, exec_lo, s18
	v_lshlrev_b32_e32 v5, 24, v4
	v_lshlrev_b32_e32 v14, 20, v72
	v_lshl_add_u32 v2, v2, 23, 0x3c000000
	v_and_b32_e32 v5, 0x80000000, v5
	v_or3_b32 v72, v14, v5, v2
	v_mov_b32_e32 v22, v72
	v_mov_b32_e32 v23, v73
.LBB220_592:                            ;   in Loop: Header=BB220_10 Depth=1
	s_or_b32 exec_lo, exec_lo, s17
.LBB220_593:                            ;   in Loop: Header=BB220_10 Depth=1
	s_or_b32 exec_lo, exec_lo, s15
.LBB220_594:                            ;   in Loop: Header=BB220_10 Depth=1
	s_or_b32 exec_lo, exec_lo, s13
	v_cmp_ne_u16_sdwa s5, v4, v73 src0_sel:BYTE_1 src1_sel:DWORD
	s_and_saveexec_b32 s13, s5
	s_cbranch_execz .LBB220_602
; %bb.595:                              ;   in Loop: Header=BB220_10 Depth=1
	v_mov_b32_e32 v2, v73
	v_mov_b32_e32 v11, v3
	v_cmp_ne_u16_sdwa s5, v4, v24 src0_sel:BYTE_1 src1_sel:DWORD
	v_mov_b32_e32 v10, v2
	s_and_saveexec_b32 s15, s5
	s_cbranch_execz .LBB220_601
; %bb.596:                              ;   in Loop: Header=BB220_10 Depth=1
	v_mov_b32_e32 v2, 0xffff
	v_mov_b32_e32 v18, v73
	s_mov_b32 s17, exec_lo
	v_and_b32_sdwa v2, v2, v4 dst_sel:DWORD dst_unused:UNUSED_PAD src0_sel:DWORD src1_sel:BYTE_1
	v_mov_b32_e32 v10, v18
	v_mov_b32_e32 v11, v19
	v_and_b32_e32 v5, 0x7f, v2
	v_cmpx_ne_u32_e32 0x7f, v5
	s_cbranch_execz .LBB220_600
; %bb.597:                              ;   in Loop: Header=BB220_10 Depth=1
	v_and_b32_e32 v72, 7, v2
	v_lshrrev_b32_e32 v2, 3, v5
	s_mov_b32 s18, exec_lo
	v_cmpx_gt_u32_e32 8, v5
; %bb.598:                              ;   in Loop: Header=BB220_10 Depth=1
	v_ffbh_u32_e32 v2, v72
	v_min_u32_e32 v2, 32, v2
	v_subrev_nc_u32_e32 v5, 28, v2
	v_sub_nc_u32_e32 v2, 29, v2
	v_lshlrev_b64 v[10:11], v5, v[72:73]
	v_and_b32_e32 v72, 7, v10
; %bb.599:                              ;   in Loop: Header=BB220_10 Depth=1
	s_or_b32 exec_lo, exec_lo, s18
	v_lshlrev_b32_e32 v5, 16, v4
	v_lshlrev_b32_e32 v10, 20, v72
	v_lshl_add_u32 v2, v2, 23, 0x3c000000
	v_and_b32_e32 v5, 0x80000000, v5
	v_or3_b32 v11, v10, v5, v2
	v_mov_b32_e32 v10, v73
.LBB220_600:                            ;   in Loop: Header=BB220_10 Depth=1
	s_or_b32 exec_lo, exec_lo, s17
.LBB220_601:                            ;   in Loop: Header=BB220_10 Depth=1
	s_or_b32 exec_lo, exec_lo, s15
.LBB220_602:                            ;   in Loop: Header=BB220_10 Depth=1
	s_or_b32 exec_lo, exec_lo, s13
	v_mov_b32_e32 v78, 0
	v_mov_b32_e32 v14, 0
	v_and_b32_sdwa v2, v4, v25 dst_sel:DWORD dst_unused:UNUSED_PAD src0_sel:WORD_1 src1_sel:DWORD
	v_mov_b32_e32 v79, 0
	v_mov_b32_e32 v15, 0
	s_mov_b32 s13, exec_lo
	v_cmpx_ne_u16_e32 0, v2
	s_cbranch_execz .LBB220_610
; %bb.603:                              ;   in Loop: Header=BB220_10 Depth=1
	v_bfrev_b32_e32 v14, 1
	v_mov_b32_e32 v15, 0
	s_mov_b32 s15, exec_lo
	v_cmpx_ne_u16_e32 0x80, v2
	s_cbranch_execz .LBB220_609
; %bb.604:                              ;   in Loop: Header=BB220_10 Depth=1
	v_mov_b32_e32 v14, 0x7f800001
	v_bfe_u32 v5, v4, 16, 7
	v_mov_b32_e32 v15, 0
	s_mov_b32 s17, exec_lo
	v_cmpx_ne_u32_e32 0x7f, v5
	s_cbranch_execz .LBB220_608
; %bb.605:                              ;   in Loop: Header=BB220_10 Depth=1
	v_mov_b32_e32 v2, 7
	s_mov_b32 s18, exec_lo
	v_and_b32_sdwa v72, v4, v2 dst_sel:DWORD dst_unused:UNUSED_PAD src0_sel:WORD_1 src1_sel:DWORD
	v_lshrrev_b32_e32 v2, 3, v5
	v_cmpx_gt_u32_e32 8, v5
; %bb.606:                              ;   in Loop: Header=BB220_10 Depth=1
	v_ffbh_u32_e32 v2, v72
	v_min_u32_e32 v2, 32, v2
	v_subrev_nc_u32_e32 v5, 28, v2
	v_sub_nc_u32_e32 v2, 29, v2
	v_lshlrev_b64 v[14:15], v5, v[72:73]
	v_and_b32_e32 v72, 7, v14
; %bb.607:                              ;   in Loop: Header=BB220_10 Depth=1
	s_or_b32 exec_lo, exec_lo, s18
	v_mov_b32_e32 v5, 24
	v_lshlrev_b32_e32 v14, 20, v72
	v_lshl_add_u32 v2, v2, 23, 0x3c000000
	v_lshlrev_b32_sdwa v5, v5, v4 dst_sel:DWORD dst_unused:UNUSED_PAD src0_sel:DWORD src1_sel:WORD_1
	v_and_b32_e32 v5, 0x80000000, v5
	v_or3_b32 v72, v14, v5, v2
	v_mov_b32_e32 v14, v72
	v_mov_b32_e32 v15, v73
.LBB220_608:                            ;   in Loop: Header=BB220_10 Depth=1
	s_or_b32 exec_lo, exec_lo, s17
.LBB220_609:                            ;   in Loop: Header=BB220_10 Depth=1
	s_or_b32 exec_lo, exec_lo, s15
.LBB220_610:                            ;   in Loop: Header=BB220_10 Depth=1
	s_or_b32 exec_lo, exec_lo, s13
	s_mov_b32 s13, exec_lo
	v_cmpx_lt_u32_e32 0xffffff, v4
	s_cbranch_execz .LBB220_618
; %bb.611:                              ;   in Loop: Header=BB220_10 Depth=1
	v_mov_b32_e32 v2, v73
	v_mov_b32_e32 v79, v3
	v_cmp_ne_u32_sdwa s5, v4, v24 src0_sel:BYTE_3 src1_sel:DWORD
	v_mov_b32_e32 v78, v2
	s_and_saveexec_b32 s15, s5
	s_cbranch_execz .LBB220_617
; %bb.612:                              ;   in Loop: Header=BB220_10 Depth=1
	v_mov_b32_e32 v18, v73
	v_mov_b32_e32 v79, v19
	v_bfe_u32 v5, v4, 24, 7
	s_mov_b32 s17, exec_lo
	v_mov_b32_e32 v78, v18
	v_cmpx_ne_u32_e32 0x7f, v5
	s_cbranch_execz .LBB220_616
; %bb.613:                              ;   in Loop: Header=BB220_10 Depth=1
	v_mov_b32_e32 v2, 7
	s_mov_b32 s18, exec_lo
	v_and_b32_sdwa v72, v4, v2 dst_sel:DWORD dst_unused:UNUSED_PAD src0_sel:BYTE_3 src1_sel:DWORD
	v_lshrrev_b32_e32 v2, 3, v5
	v_cmpx_gt_u32_e32 8, v5
; %bb.614:                              ;   in Loop: Header=BB220_10 Depth=1
	v_ffbh_u32_e32 v2, v72
	v_min_u32_e32 v2, 32, v2
	v_subrev_nc_u32_e32 v5, 28, v2
	v_sub_nc_u32_e32 v2, 29, v2
	v_lshlrev_b64 v[26:27], v5, v[72:73]
	v_and_b32_e32 v72, 7, v26
; %bb.615:                              ;   in Loop: Header=BB220_10 Depth=1
	s_or_b32 exec_lo, exec_lo, s18
	v_mov_b32_e32 v5, 24
	v_lshl_add_u32 v2, v2, 23, 0x3c000000
	v_mov_b32_e32 v78, v73
	v_lshlrev_b32_sdwa v4, v5, v4 dst_sel:DWORD dst_unused:UNUSED_PAD src0_sel:DWORD src1_sel:BYTE_3
	v_lshlrev_b32_e32 v5, 20, v72
	v_and_b32_e32 v4, 0x80000000, v4
	v_or3_b32 v79, v5, v4, v2
.LBB220_616:                            ;   in Loop: Header=BB220_10 Depth=1
	s_or_b32 exec_lo, exec_lo, s17
.LBB220_617:                            ;   in Loop: Header=BB220_10 Depth=1
	s_or_b32 exec_lo, exec_lo, s15
.LBB220_618:                            ;   in Loop: Header=BB220_10 Depth=1
	s_or_b32 exec_lo, exec_lo, s13
	flat_load_dword v26, v[110:111] offset:12
	v_mov_b32_e32 v126, 0
	v_mov_b32_e32 v110, 0
	;; [unrolled: 1-line block ×4, first 2 shown]
	s_waitcnt vmcnt(0) lgkmcnt(0)
	v_cmp_ne_u16_sdwa s5, v26, v73 src0_sel:BYTE_0 src1_sel:DWORD
	s_and_saveexec_b32 s13, s5
	s_cbranch_execz .LBB220_626
; %bb.619:                              ;   in Loop: Header=BB220_10 Depth=1
	v_bfrev_b32_e32 v110, 1
	v_mov_b32_e32 v111, 0
	v_cmp_ne_u16_sdwa s5, v26, v24 src0_sel:BYTE_0 src1_sel:DWORD
	s_and_saveexec_b32 s15, s5
	s_cbranch_execz .LBB220_625
; %bb.620:                              ;   in Loop: Header=BB220_10 Depth=1
	v_mov_b32_e32 v110, 0x7f800001
	v_and_b32_e32 v4, 0x7f, v26
	v_mov_b32_e32 v111, 0
	s_mov_b32 s17, exec_lo
	v_cmpx_ne_u32_e32 0x7f, v4
	s_cbranch_execz .LBB220_624
; %bb.621:                              ;   in Loop: Header=BB220_10 Depth=1
	v_and_b32_e32 v72, 7, v26
	v_lshrrev_b32_e32 v2, 3, v4
	s_mov_b32 s18, exec_lo
	v_cmpx_gt_u32_e32 8, v4
; %bb.622:                              ;   in Loop: Header=BB220_10 Depth=1
	v_ffbh_u32_e32 v2, v72
	v_min_u32_e32 v2, 32, v2
	v_subrev_nc_u32_e32 v4, 28, v2
	v_sub_nc_u32_e32 v2, 29, v2
	v_lshlrev_b64 v[4:5], v4, v[72:73]
	v_and_b32_e32 v72, 7, v4
; %bb.623:                              ;   in Loop: Header=BB220_10 Depth=1
	s_or_b32 exec_lo, exec_lo, s18
	v_lshlrev_b32_e32 v4, 24, v26
	v_lshlrev_b32_e32 v5, 20, v72
	v_lshl_add_u32 v2, v2, 23, 0x3c000000
	v_and_b32_e32 v4, 0x80000000, v4
	v_or3_b32 v72, v5, v4, v2
	v_mov_b32_e32 v111, v73
	v_mov_b32_e32 v110, v72
.LBB220_624:                            ;   in Loop: Header=BB220_10 Depth=1
	s_or_b32 exec_lo, exec_lo, s17
.LBB220_625:                            ;   in Loop: Header=BB220_10 Depth=1
	s_or_b32 exec_lo, exec_lo, s15
.LBB220_626:                            ;   in Loop: Header=BB220_10 Depth=1
	s_or_b32 exec_lo, exec_lo, s13
	v_cmp_ne_u16_sdwa s5, v26, v73 src0_sel:BYTE_1 src1_sel:DWORD
	s_and_saveexec_b32 s13, s5
	s_cbranch_execz .LBB220_634
; %bb.627:                              ;   in Loop: Header=BB220_10 Depth=1
	v_mov_b32_e32 v2, v73
	v_mov_b32_e32 v127, v3
	v_cmp_ne_u16_sdwa s5, v26, v24 src0_sel:BYTE_1 src1_sel:DWORD
	v_mov_b32_e32 v126, v2
	s_and_saveexec_b32 s15, s5
	s_cbranch_execz .LBB220_633
; %bb.628:                              ;   in Loop: Header=BB220_10 Depth=1
	v_mov_b32_e32 v2, 0xffff
	v_mov_b32_e32 v18, v73
	v_mov_b32_e32 v127, v19
	s_mov_b32 s17, exec_lo
	v_and_b32_sdwa v2, v2, v26 dst_sel:DWORD dst_unused:UNUSED_PAD src0_sel:DWORD src1_sel:BYTE_1
	v_mov_b32_e32 v126, v18
	v_and_b32_e32 v4, 0x7f, v2
	v_cmpx_ne_u32_e32 0x7f, v4
	s_cbranch_execz .LBB220_632
; %bb.629:                              ;   in Loop: Header=BB220_10 Depth=1
	v_and_b32_e32 v72, 7, v2
	v_lshrrev_b32_e32 v2, 3, v4
	s_mov_b32 s18, exec_lo
	v_cmpx_gt_u32_e32 8, v4
; %bb.630:                              ;   in Loop: Header=BB220_10 Depth=1
	v_ffbh_u32_e32 v2, v72
	v_min_u32_e32 v2, 32, v2
	v_subrev_nc_u32_e32 v4, 28, v2
	v_sub_nc_u32_e32 v2, 29, v2
	v_lshlrev_b64 v[4:5], v4, v[72:73]
	v_and_b32_e32 v72, 7, v4
; %bb.631:                              ;   in Loop: Header=BB220_10 Depth=1
	s_or_b32 exec_lo, exec_lo, s18
	v_lshlrev_b32_e32 v4, 16, v26
	v_lshlrev_b32_e32 v5, 20, v72
	v_lshl_add_u32 v2, v2, 23, 0x3c000000
	v_mov_b32_e32 v126, v73
	v_and_b32_e32 v4, 0x80000000, v4
	v_or3_b32 v127, v5, v4, v2
.LBB220_632:                            ;   in Loop: Header=BB220_10 Depth=1
	s_or_b32 exec_lo, exec_lo, s17
.LBB220_633:                            ;   in Loop: Header=BB220_10 Depth=1
	s_or_b32 exec_lo, exec_lo, s15
.LBB220_634:                            ;   in Loop: Header=BB220_10 Depth=1
	s_or_b32 exec_lo, exec_lo, s13
	v_mov_b32_e32 v74, 0
	v_mov_b32_e32 v4, 0
	v_and_b32_sdwa v2, v26, v25 dst_sel:DWORD dst_unused:UNUSED_PAD src0_sel:WORD_1 src1_sel:DWORD
	v_mov_b32_e32 v75, 0
	v_mov_b32_e32 v5, 0
	s_mov_b32 s13, exec_lo
	v_cmpx_ne_u16_e32 0, v2
	s_cbranch_execz .LBB220_642
; %bb.635:                              ;   in Loop: Header=BB220_10 Depth=1
	v_bfrev_b32_e32 v4, 1
	v_mov_b32_e32 v5, 0
	s_mov_b32 s15, exec_lo
	v_cmpx_ne_u16_e32 0x80, v2
	s_cbranch_execz .LBB220_641
; %bb.636:                              ;   in Loop: Header=BB220_10 Depth=1
	v_mov_b32_e32 v4, 0x7f800001
	v_bfe_u32 v18, v26, 16, 7
	v_mov_b32_e32 v5, 0
	s_mov_b32 s17, exec_lo
	v_cmpx_ne_u32_e32 0x7f, v18
	s_cbranch_execz .LBB220_640
; %bb.637:                              ;   in Loop: Header=BB220_10 Depth=1
	v_mov_b32_e32 v2, 7
	s_mov_b32 s18, exec_lo
	v_and_b32_sdwa v72, v26, v2 dst_sel:DWORD dst_unused:UNUSED_PAD src0_sel:WORD_1 src1_sel:DWORD
	v_lshrrev_b32_e32 v2, 3, v18
	v_cmpx_gt_u32_e32 8, v18
; %bb.638:                              ;   in Loop: Header=BB220_10 Depth=1
	v_ffbh_u32_e32 v2, v72
	v_min_u32_e32 v2, 32, v2
	v_subrev_nc_u32_e32 v4, 28, v2
	v_sub_nc_u32_e32 v2, 29, v2
	v_lshlrev_b64 v[4:5], v4, v[72:73]
	v_and_b32_e32 v72, 7, v4
; %bb.639:                              ;   in Loop: Header=BB220_10 Depth=1
	s_or_b32 exec_lo, exec_lo, s18
	v_mov_b32_e32 v4, 24
	v_lshlrev_b32_e32 v5, 20, v72
	v_lshl_add_u32 v2, v2, 23, 0x3c000000
	v_lshlrev_b32_sdwa v4, v4, v26 dst_sel:DWORD dst_unused:UNUSED_PAD src0_sel:DWORD src1_sel:WORD_1
	v_and_b32_e32 v4, 0x80000000, v4
	v_or3_b32 v72, v5, v4, v2
	v_mov_b32_e32 v4, v72
	v_mov_b32_e32 v5, v73
.LBB220_640:                            ;   in Loop: Header=BB220_10 Depth=1
	s_or_b32 exec_lo, exec_lo, s17
.LBB220_641:                            ;   in Loop: Header=BB220_10 Depth=1
	s_or_b32 exec_lo, exec_lo, s15
.LBB220_642:                            ;   in Loop: Header=BB220_10 Depth=1
	s_or_b32 exec_lo, exec_lo, s13
	s_mov_b32 s13, exec_lo
	v_cmpx_lt_u32_e32 0xffffff, v26
	s_cbranch_execz .LBB220_9
; %bb.643:                              ;   in Loop: Header=BB220_10 Depth=1
	v_mov_b32_e32 v2, v73
	v_mov_b32_e32 v75, v3
	v_cmp_ne_u32_sdwa s5, v26, v24 src0_sel:BYTE_3 src1_sel:DWORD
	v_mov_b32_e32 v74, v2
	s_and_saveexec_b32 s15, s5
	s_cbranch_execz .LBB220_8
; %bb.644:                              ;   in Loop: Header=BB220_10 Depth=1
	v_mov_b32_e32 v18, v73
	v_mov_b32_e32 v75, v19
	v_bfe_u32 v27, v26, 24, 7
	s_mov_b32 s17, exec_lo
	v_mov_b32_e32 v74, v18
	v_cmpx_ne_u32_e32 0x7f, v27
	s_cbranch_execz .LBB220_7
; %bb.645:                              ;   in Loop: Header=BB220_10 Depth=1
	v_mov_b32_e32 v2, 7
	s_mov_b32 s18, exec_lo
	v_and_b32_sdwa v72, v26, v2 dst_sel:DWORD dst_unused:UNUSED_PAD src0_sel:BYTE_3 src1_sel:DWORD
	v_lshrrev_b32_e32 v2, 3, v27
	v_cmpx_gt_u32_e32 8, v27
	s_cbranch_execz .LBB220_6
; %bb.646:                              ;   in Loop: Header=BB220_10 Depth=1
	v_ffbh_u32_e32 v2, v72
	v_min_u32_e32 v2, 32, v2
	v_subrev_nc_u32_e32 v18, 28, v2
	v_sub_nc_u32_e32 v2, 29, v2
	v_lshlrev_b64 v[74:75], v18, v[72:73]
	v_and_b32_e32 v72, 7, v74
	s_branch .LBB220_6
.LBB220_647:
	s_or_b32 exec_lo, exec_lo, s9
	s_clause 0xd
	buffer_load_dword v12, off, s[0:3], s32 offset:744
	buffer_load_dword v8, off, s[0:3], s32 offset:752
	;; [unrolled: 1-line block ×14, first 2 shown]
.LBB220_648:
	s_or_b32 exec_lo, exec_lo, s7
	v_mbcnt_lo_u32_b32 v0, -1, 0
	v_max_f32_e32 v4, v6, v6
	s_lshr_b32 s9, s6, 16
	v_xor_b32_e32 v1, 16, v0
	v_xor_b32_e32 v3, 8, v0
	v_cmp_gt_i32_e32 vcc_lo, 32, v1
	v_cndmask_b32_e32 v1, v0, v1, vcc_lo
	v_cmp_gt_i32_e32 vcc_lo, 32, v3
	v_lshlrev_b32_e32 v1, 2, v1
	v_cndmask_b32_e32 v3, v0, v3, vcc_lo
	ds_bpermute_b32 v2, v1, v6
	s_waitcnt lgkmcnt(0)
	v_max_f32_e32 v5, v2, v2
	v_lshlrev_b32_e32 v2, 2, v3
	v_max_f32_e32 v3, v4, v5
	v_xor_b32_e32 v5, 4, v0
	ds_bpermute_b32 v4, v2, v3
	v_cmp_gt_i32_e32 vcc_lo, 32, v5
	v_cndmask_b32_e32 v5, v0, v5, vcc_lo
	v_lshlrev_b32_e32 v19, 2, v5
	v_xor_b32_e32 v5, 2, v0
	v_cmp_gt_i32_e32 vcc_lo, 32, v5
	s_waitcnt lgkmcnt(0)
	v_max_f32_e32 v4, v4, v4
	v_cndmask_b32_e32 v5, v0, v5, vcc_lo
	v_max_f32_e32 v3, v3, v4
	v_lshlrev_b32_e32 v66, 2, v5
	v_xor_b32_e32 v5, 1, v0
	ds_bpermute_b32 v4, v19, v3
	v_cmp_gt_i32_e32 vcc_lo, 32, v5
	v_cndmask_b32_e32 v5, v0, v5, vcc_lo
	s_waitcnt vmcnt(12)
	v_cmp_eq_u32_e32 vcc_lo, 0, v8
	v_lshlrev_b32_e32 v65, 2, v5
	s_waitcnt lgkmcnt(0)
	v_max_f32_e32 v4, v4, v4
	v_max_f32_e32 v3, v3, v4
	ds_bpermute_b32 v4, v66, v3
	s_waitcnt lgkmcnt(0)
	v_max_f32_e32 v4, v4, v4
	v_max_f32_e32 v0, v3, v4
	buffer_load_dword v3, off, s[0:3], s32 offset:748 ; 4-byte Folded Reload
	ds_bpermute_b32 v4, v65, v0
	s_waitcnt vmcnt(0)
	v_lshlrev_b32_e32 v3, 2, v3
	s_and_saveexec_b32 s5, vcc_lo
	s_cbranch_execz .LBB220_650
; %bb.649:
	s_waitcnt lgkmcnt(0)
	v_max_f32_e32 v4, v4, v4
	v_max_f32_e32 v0, v0, v0
	;; [unrolled: 1-line block ×3, first 2 shown]
	ds_write_b32 v3, v0 offset:320
.LBB220_650:
	s_or_b32 exec_lo, exec_lo, s5
	v_cmp_gt_u32_e64 s5, 4, v8
	v_mov_b32_e32 v0, 0xff7fffff
	s_waitcnt lgkmcnt(0)
	s_waitcnt_vscnt null, 0x0
	s_barrier
	buffer_gl0_inv
	s_and_saveexec_b32 s6, s5
; %bb.651:
	ds_read_b32 v0, v17 offset:320
; %bb.652:
	s_or_b32 exec_lo, exec_lo, s6
	s_waitcnt lgkmcnt(0)
	ds_bpermute_b32 v4, v66, v0
	v_max_f32_e32 v0, v0, v0
	v_mov_b32_e32 v5, 0
	s_waitcnt lgkmcnt(0)
	v_max_f32_e32 v4, v4, v4
	v_max_f32_e32 v0, v0, v4
	ds_bpermute_b32 v4, v65, v0
	s_waitcnt lgkmcnt(0)
	v_max_f32_e32 v4, v4, v4
	v_max_f32_e32 v0, v0, v4
	ds_bpermute_b32 v4, v5, v0
	buffer_load_dword v0, off, s[0:3], s32 offset:192 ; 4-byte Folded Reload
	s_waitcnt vmcnt(0)
	v_lshlrev_b32_e32 v0, 5, v0
	v_min_i32_e32 v0, v0, v28
	v_cmp_lt_i32_e64 s6, v12, v0
	s_and_saveexec_b32 s13, s6
	s_cbranch_execz .LBB220_656
; %bb.653:
	s_getpc_b64 s[18:19]
	s_add_u32 s18, s18, llvm.amdgcn.dynlds.offset.table@rel32@lo+4
	s_addc_u32 s19, s19, llvm.amdgcn.dynlds.offset.table@rel32@hi+12
	s_ashr_i32 s17, s16, 31
	v_mov_b32_e32 v5, 0
	s_lshl_b64 s[20:21], s[16:17], 2
	v_mov_b32_e32 v7, v12
	s_add_u32 s18, s18, s20
	s_addc_u32 s19, s19, s21
	s_mov_b32 s15, 0
	s_load_dword s7, s[18:19], 0x0
	s_waitcnt lgkmcnt(0)
	v_lshl_add_u32 v6, v12, 2, s7
	.p2align	6
.LBB220_654:                            ; =>This Inner Loop Header: Depth=1
	ds_read_b32 v8, v6
	v_add_nc_u32_e32 v7, 0x80, v7
	v_cmp_ge_i32_e64 s7, v7, v0
	s_or_b32 s15, s7, s15
	s_waitcnt lgkmcnt(0)
	v_sub_f32_e32 v8, v8, v4
	v_mul_f32_e32 v8, 0x3fb8aa3b, v8
	v_exp_f32_e32 v8, v8
	ds_write_b32 v6, v8
	v_add_f32_e32 v5, v5, v8
	v_add_nc_u32_e32 v6, 0x200, v6
	s_andn2_b32 exec_lo, exec_lo, s15
	s_cbranch_execnz .LBB220_654
; %bb.655:
	s_or_b32 exec_lo, exec_lo, s15
.LBB220_656:
	s_or_b32 exec_lo, exec_lo, s13
	ds_bpermute_b32 v1, v1, v5
	s_waitcnt lgkmcnt(0)
	v_add_f32_e32 v1, v5, v1
	ds_bpermute_b32 v2, v2, v1
	s_waitcnt lgkmcnt(0)
	v_add_f32_e32 v1, v1, v2
	ds_bpermute_b32 v2, v19, v1
	s_waitcnt lgkmcnt(0)
	v_add_f32_e32 v1, v1, v2
	ds_bpermute_b32 v2, v66, v1
	s_waitcnt lgkmcnt(0)
	v_add_f32_e32 v1, v1, v2
	ds_bpermute_b32 v2, v65, v1
	s_waitcnt lgkmcnt(0)
	v_add_f32_e32 v1, v1, v2
	s_and_saveexec_b32 s7, vcc_lo
; %bb.657:
	ds_write_b32 v3, v1 offset:336
; %bb.658:
	s_or_b32 exec_lo, exec_lo, s7
	s_waitcnt lgkmcnt(0)
	s_barrier
	buffer_gl0_inv
	s_and_saveexec_b32 s7, s5
; %bb.659:
	ds_read_b32 v1, v17 offset:336
; %bb.660:
	s_or_b32 exec_lo, exec_lo, s7
	s_waitcnt lgkmcnt(0)
	ds_bpermute_b32 v2, v66, v1
	s_waitcnt lgkmcnt(0)
	v_add_f32_e32 v1, v1, v2
	ds_bpermute_b32 v2, v65, v1
	s_waitcnt lgkmcnt(0)
	v_add_f32_e32 v1, v1, v2
	v_mov_b32_e32 v2, 0
	ds_bpermute_b32 v1, v2, v1
	s_and_saveexec_b32 s5, s6
	s_cbranch_execz .LBB220_663
; %bb.661:
	s_waitcnt lgkmcnt(0)
	v_add_f32_e32 v2, 0x358637bd, v1
	s_getpc_b64 s[6:7]
	s_add_u32 s6, s6, llvm.amdgcn.dynlds.offset.table@rel32@lo+4
	s_addc_u32 s7, s7, llvm.amdgcn.dynlds.offset.table@rel32@hi+12
	s_ashr_i32 s17, s16, 31
	s_lshl_b64 s[18:19], s[16:17], 2
	v_div_scale_f32 v1, null, v2, v2, 1.0
	v_div_scale_f32 v5, vcc_lo, 1.0, v2, 1.0
	s_add_u32 s6, s6, s18
	v_rcp_f32_e32 v3, v1
	s_addc_u32 s7, s7, s19
	s_load_dword s6, s[6:7], 0x0
	v_fma_f32 v4, -v1, v3, 1.0
	v_fmac_f32_e32 v3, v4, v3
	v_mul_f32_e32 v4, v5, v3
	v_fma_f32 v6, -v1, v4, v5
	v_fmac_f32_e32 v4, v6, v3
	v_fma_f32 v1, -v1, v4, v5
	v_div_fmas_f32 v3, v1, v3, v4
	s_waitcnt lgkmcnt(0)
	v_lshl_add_u32 v1, v12, 2, s6
	s_mov_b32 s6, 0
	v_div_fixup_f32 v2, v3, v2, 1.0
	v_mov_b32_e32 v3, v12
.LBB220_662:                            ; =>This Inner Loop Header: Depth=1
	ds_read_b32 v4, v1
	v_add_nc_u32_e32 v3, 0x80, v3
	v_cmp_ge_i32_e32 vcc_lo, v3, v0
	s_or_b32 s6, vcc_lo, s6
	s_waitcnt lgkmcnt(0)
	v_mul_f32_e32 v4, v2, v4
	ds_write_b32 v1, v4
	v_add_nc_u32_e32 v1, 0x200, v1
	s_andn2_b32 exec_lo, exec_lo, s6
	s_cbranch_execnz .LBB220_662
.LBB220_663:
	s_or_b32 exec_lo, exec_lo, s5
	s_waitcnt lgkmcnt(0)
	s_barrier
	buffer_gl0_inv
	s_and_saveexec_b32 s5, s4
	s_xor_b32 s4, exec_lo, s5
; %bb.664:
	s_ashr_i32 s17, s16, 31
                                        ; implicit-def: $vgpr0
                                        ; implicit-def: $vgpr28
                                        ; kill: killed $vgpr0
                                        ; implicit-def: $vgpr21
                                        ; implicit-def: $vgpr20
                                        ; implicit-def: $vgpr10
                                        ; implicit-def: $vgpr11
                                        ; implicit-def: $vgpr0
                                        ; kill: killed $vgpr0
                                        ; implicit-def: $vgpr22_vgpr23
                                        ; implicit-def: $vgpr15
                                        ; implicit-def: $vgpr16
                                        ; implicit-def: $vgpr9
                                        ; implicit-def: $vgpr13_vgpr14
; %bb.665:
	s_or_saveexec_b32 s5, s4
	v_mov_b32_e32 v0, s16
	v_mov_b32_e32 v54, 0
	v_mov_b32_e32 v1, s17
	v_and_b32_e32 v67, 7, v12
	v_mov_b32_e32 v64, 0
	v_mov_b32_e32 v55, 0
	;; [unrolled: 1-line block ×19, first 2 shown]
	s_xor_b32 exec_lo, exec_lo, s5
	s_cbranch_execz .LBB220_1349
; %bb.666:
	buffer_store_dword v19, off, s[0:3], s32 offset:220 ; 4-byte Folded Spill
	buffer_store_dword v66, off, s[0:3], s32 offset:212 ; 4-byte Folded Spill
	;; [unrolled: 1-line block ×3, first 2 shown]
	s_clause 0x1
	buffer_load_dword v0, off, s[0:3], s32 offset:744
	buffer_load_dword v82, off, s[0:3], s32 offset:748
	flat_load_dword v65, v[22:23]
	s_ashr_i32 s17, s16, 31
	s_getpc_b64 s[6:7]
	s_add_u32 s6, s6, llvm.amdgcn.dynlds.offset.table@rel32@lo+4
	s_addc_u32 s7, s7, llvm.amdgcn.dynlds.offset.table@rel32@hi+12
	s_lshl_b64 s[18:19], s[16:17], 2
	v_and_b32_e32 v3, 0x7c, v9
	s_add_u32 s6, s6, s18
	s_addc_u32 s7, s7, s19
	v_lshlrev_b32_e32 v5, 4, v67
	s_load_dword s4, s[6:7], 0x0
	v_add_co_u32 v1, vcc_lo, v21, v15
	v_add_co_ci_u32_e64 v2, null, v20, v16, vcc_lo
	v_add_co_u32 v3, vcc_lo, v3, v13
	v_add_co_ci_u32_e64 v8, null, 0, v14, vcc_lo
	v_mov_b32_e32 v7, 0
	v_mov_b32_e32 v66, 0x80
	v_bfrev_b32_e32 v9, 1
	v_mov_b32_e32 v70, 0xffff
	v_mov_b32_e32 v12, 0x7f800001
	;; [unrolled: 1-line block ×23, first 2 shown]
	s_mov_b32 s6, 0
	buffer_store_dword v67, off, s[0:3], s32 offset:228 ; 4-byte Folded Spill
	s_waitcnt vmcnt(2)
	v_lshlrev_b32_e32 v0, 2, v0
	s_waitcnt vmcnt(1)
	v_lshlrev_b32_e32 v4, 5, v82
	v_lshl_or_b32 v5, v82, 7, v5
	s_waitcnt vmcnt(0) lgkmcnt(0)
	v_mov_b32_e32 v81, v65
	v_and_b32_e32 v6, 28, v0
	v_and_b32_e32 v0, 0x7c, v0
	v_add_nc_u32_e32 v80, s4, v5
	v_or3_b32 v71, v4, v6, 3
	v_add_co_u32 v0, vcc_lo, v1, v0
	v_add_co_ci_u32_e64 v1, null, 0, v2, vcc_lo
	v_add_co_u32 v15, vcc_lo, v10, v3
	v_add_co_ci_u32_e64 v16, null, v11, v8, vcc_lo
	buffer_store_dword v0, off, s[0:3], s32 offset:196 ; 4-byte Folded Spill
	buffer_store_dword v1, off, s[0:3], s32 offset:200 ; 4-byte Folded Spill
	s_branch .LBB220_668
.LBB220_667:                            ;   in Loop: Header=BB220_668 Depth=1
	s_or_b32 exec_lo, exec_lo, s4
	v_mul_f32_e32 v10, v3, v24
	v_add_nc_u32_e32 v82, 4, v82
	v_add_co_u32 v15, vcc_lo, v15, 16
	v_add_co_ci_u32_e64 v16, null, 0, v16, vcc_lo
	v_fmac_f32_e32 v10, v2, v67
	v_add_nc_u32_e32 v71, 0x80, v71
	v_add_nc_u32_e32 v80, 0x200, v80
	v_fmac_f32_e32 v10, v4, v22
	v_fmac_f32_e32 v10, v5, v21
	v_add_f32_e32 v30, v30, v10
	v_mul_f32_e32 v10, v3, v25
	v_fmac_f32_e32 v10, v2, v23
	v_fmac_f32_e32 v10, v4, v14
	v_fmac_f32_e32 v10, v5, v13
	v_add_f32_e32 v31, v31, v10
	v_mul_f32_e32 v10, v3, v127
	v_fmac_f32_e32 v10, v2, v26
	v_fmac_f32_e32 v10, v4, v126
	v_fmac_f32_e32 v10, v5, v125
	v_add_f32_e32 v32, v32, v10
	v_mul_f32_e32 v10, v3, v123
	v_fmac_f32_e32 v10, v2, v124
	v_fmac_f32_e32 v10, v4, v122
	v_fmac_f32_e32 v10, v5, v121
	v_add_f32_e32 v33, v33, v10
	v_mul_f32_e32 v10, v3, v120
	v_fmac_f32_e32 v10, v2, v111
	v_fmac_f32_e32 v10, v4, v110
	v_fmac_f32_e32 v10, v5, v109
	v_add_f32_e32 v34, v34, v10
	v_mul_f32_e32 v10, v3, v108
	v_fmac_f32_e32 v10, v2, v107
	v_fmac_f32_e32 v10, v4, v106
	v_fmac_f32_e32 v10, v5, v105
	v_add_f32_e32 v35, v35, v10
	v_mul_f32_e32 v10, v3, v95
	v_fmac_f32_e32 v10, v2, v104
	v_fmac_f32_e32 v10, v4, v94
	v_fmac_f32_e32 v10, v5, v93
	v_add_f32_e32 v36, v36, v10
	v_mul_f32_e32 v10, v3, v91
	v_fmac_f32_e32 v10, v2, v92
	v_fmac_f32_e32 v10, v4, v90
	v_fmac_f32_e32 v10, v5, v89
	v_add_f32_e32 v37, v37, v10
	v_mul_f32_e32 v10, v3, v79
	v_fmac_f32_e32 v10, v2, v88
	v_fmac_f32_e32 v10, v4, v78
	v_fmac_f32_e32 v10, v5, v77
	v_add_f32_e32 v38, v38, v10
	v_mul_f32_e32 v10, v3, v76
	v_fmac_f32_e32 v10, v2, v75
	v_fmac_f32_e32 v10, v4, v74
	v_fmac_f32_e32 v10, v5, v73
	v_add_f32_e32 v39, v39, v10
	v_mul_f32_e32 v10, v3, v72
	v_fmac_f32_e32 v10, v2, v63
	v_fmac_f32_e32 v10, v4, v62
	v_fmac_f32_e32 v10, v5, v61
	v_add_f32_e32 v48, v48, v10
	v_mul_f32_e32 v10, v3, v59
	v_fmac_f32_e32 v10, v2, v60
	v_fmac_f32_e32 v10, v4, v58
	v_fmac_f32_e32 v10, v5, v57
	v_add_f32_e32 v49, v49, v10
	v_mul_f32_e32 v10, v3, v47
	v_fmac_f32_e32 v10, v2, v56
	v_fmac_f32_e32 v10, v4, v46
	v_fmac_f32_e32 v10, v5, v45
	v_add_f32_e32 v50, v50, v10
	v_mul_f32_e32 v10, v3, v43
	v_fmac_f32_e32 v10, v2, v44
	v_fmac_f32_e32 v10, v4, v42
	v_fmac_f32_e32 v10, v5, v41
	v_add_f32_e32 v51, v51, v10
	v_mul_f32_e32 v10, v3, v40
	v_fmac_f32_e32 v10, v2, v119
	v_fmac_f32_e32 v10, v4, v118
	v_fmac_f32_e32 v10, v5, v117
	v_add_f32_e32 v52, v52, v10
	v_mul_f32_e32 v10, v3, v116
	v_fmac_f32_e32 v10, v2, v115
	v_fmac_f32_e32 v10, v4, v114
	v_fmac_f32_e32 v10, v5, v113
	v_add_f32_e32 v53, v53, v10
	v_mul_f32_e32 v10, v3, v103
	v_fmac_f32_e32 v10, v2, v112
	v_fmac_f32_e32 v10, v4, v102
	v_fmac_f32_e32 v10, v5, v101
	v_add_f32_e32 v55, v55, v10
	v_mul_f32_e32 v10, v3, v96
	v_fmac_f32_e32 v10, v2, v97
	v_fmac_f32_e32 v10, v4, v87
	v_fmac_f32_e32 v10, v5, v86
	v_add_f32_e32 v64, v64, v10
	v_mul_f32_e32 v10, v3, v84
	v_mul_f32_e32 v3, v3, v8
	v_fmac_f32_e32 v10, v2, v85
	v_fmac_f32_e32 v3, v2, v6
	;; [unrolled: 1-line block ×6, first 2 shown]
	buffer_load_dword v0, off, s[0:3], s32 offset:192 ; 4-byte Folded Reload
	v_add_f32_e32 v54, v54, v10
	v_add_f32_e32 v27, v27, v3
	s_waitcnt vmcnt(0)
	v_cmp_ge_i32_e32 vcc_lo, v82, v0
	s_or_b32 s6, vcc_lo, s6
	s_andn2_b32 exec_lo, exec_lo, s6
	s_cbranch_execz .LBB220_1348
.LBB220_668:                            ; =>This Inner Loop Header: Depth=1
	flat_load_dword v0, v[15:16]
	s_clause 0x2
	buffer_load_dword v1, off, s[0:3], s32 offset:396
	buffer_load_dword v2, off, s[0:3], s32 offset:196
	;; [unrolled: 1-line block ×3, first 2 shown]
	v_mov_b32_e32 v19, 0
	v_mov_b32_e32 v17, 0
	;; [unrolled: 1-line block ×4, first 2 shown]
	s_waitcnt vmcnt(0) lgkmcnt(0)
	v_mad_i64_i32 v[0:1], null, v0, v1, v[2:3]
	ds_read_b128 v[2:5], v80
	flat_load_dword v13, v[0:1]
	s_waitcnt vmcnt(0) lgkmcnt(0)
	v_cmp_ne_u16_sdwa s7, v13, v7 src0_sel:BYTE_0 src1_sel:DWORD
	s_and_saveexec_b32 s4, s7
	s_cbranch_execz .LBB220_676
; %bb.669:                              ;   in Loop: Header=BB220_668 Depth=1
	v_bfrev_b32_e32 v17, 1
	v_mov_b32_e32 v18, 0
	v_cmp_ne_u16_sdwa s13, v13, v66 src0_sel:BYTE_0 src1_sel:DWORD
	s_and_saveexec_b32 s7, s13
	s_cbranch_execz .LBB220_675
; %bb.670:                              ;   in Loop: Header=BB220_668 Depth=1
	v_mov_b32_e32 v17, 0x7f800001
	v_and_b32_e32 v10, 0x7f, v13
	v_mov_b32_e32 v18, 0
	s_mov_b32 s13, exec_lo
	v_cmpx_ne_u32_e32 0x7f, v10
	s_cbranch_execz .LBB220_674
; %bb.671:                              ;   in Loop: Header=BB220_668 Depth=1
	v_and_b32_e32 v6, 7, v13
	v_lshrrev_b32_e32 v8, 3, v10
	s_mov_b32 s15, exec_lo
	v_cmpx_gt_u32_e32 8, v10
; %bb.672:                              ;   in Loop: Header=BB220_668 Depth=1
	v_ffbh_u32_e32 v8, v6
	v_min_u32_e32 v8, 32, v8
	v_subrev_nc_u32_e32 v10, 28, v8
	v_sub_nc_u32_e32 v8, 29, v8
	v_lshlrev_b64 v[10:11], v10, v[6:7]
	v_and_b32_e32 v6, 7, v10
; %bb.673:                              ;   in Loop: Header=BB220_668 Depth=1
	s_or_b32 exec_lo, exec_lo, s15
	v_lshlrev_b32_e32 v10, 24, v13
	v_lshlrev_b32_e32 v6, 20, v6
	v_lshl_add_u32 v8, v8, 23, 0x3c000000
	v_and_b32_e32 v10, 0x80000000, v10
	v_or3_b32 v6, v6, v10, v8
	v_mov_b32_e32 v18, v7
	v_mov_b32_e32 v17, v6
.LBB220_674:                            ;   in Loop: Header=BB220_668 Depth=1
	s_or_b32 exec_lo, exec_lo, s13
.LBB220_675:                            ;   in Loop: Header=BB220_668 Depth=1
	s_or_b32 exec_lo, exec_lo, s7
.LBB220_676:                            ;   in Loop: Header=BB220_668 Depth=1
	s_or_b32 exec_lo, exec_lo, s4
	v_cmp_ne_u16_sdwa s7, v13, v7 src0_sel:BYTE_1 src1_sel:DWORD
	s_and_saveexec_b32 s4, s7
	s_cbranch_execz .LBB220_684
; %bb.677:                              ;   in Loop: Header=BB220_668 Depth=1
	v_mov_b32_e32 v8, v7
	v_mov_b32_e32 v20, v9
	v_cmp_ne_u16_sdwa s13, v13, v66 src0_sel:BYTE_1 src1_sel:DWORD
	v_mov_b32_e32 v19, v8
	s_and_saveexec_b32 s7, s13
	s_cbranch_execz .LBB220_683
; %bb.678:                              ;   in Loop: Header=BB220_668 Depth=1
	v_and_b32_sdwa v6, v70, v13 dst_sel:DWORD dst_unused:UNUSED_PAD src0_sel:DWORD src1_sel:BYTE_1
	v_mov_b32_e32 v11, v7
	v_mov_b32_e32 v20, v12
	s_mov_b32 s13, exec_lo
	v_and_b32_e32 v10, 0x7f, v6
	v_mov_b32_e32 v19, v11
	v_cmpx_ne_u32_e32 0x7f, v10
	s_cbranch_execz .LBB220_682
; %bb.679:                              ;   in Loop: Header=BB220_668 Depth=1
	v_and_b32_e32 v6, 7, v6
	v_lshrrev_b32_e32 v8, 3, v10
	s_mov_b32 s15, exec_lo
	v_cmpx_gt_u32_e32 8, v10
; %bb.680:                              ;   in Loop: Header=BB220_668 Depth=1
	v_ffbh_u32_e32 v8, v6
	v_min_u32_e32 v8, 32, v8
	v_subrev_nc_u32_e32 v10, 28, v8
	v_sub_nc_u32_e32 v8, 29, v8
	v_lshlrev_b64 v[10:11], v10, v[6:7]
	v_and_b32_e32 v6, 7, v10
; %bb.681:                              ;   in Loop: Header=BB220_668 Depth=1
	s_or_b32 exec_lo, exec_lo, s15
	v_lshlrev_b32_e32 v10, 16, v13
	v_lshlrev_b32_e32 v6, 20, v6
	v_lshl_add_u32 v8, v8, 23, 0x3c000000
	v_mov_b32_e32 v19, v7
	v_and_b32_e32 v10, 0x80000000, v10
	v_or3_b32 v20, v6, v10, v8
.LBB220_682:                            ;   in Loop: Header=BB220_668 Depth=1
	s_or_b32 exec_lo, exec_lo, s13
.LBB220_683:                            ;   in Loop: Header=BB220_668 Depth=1
	s_or_b32 exec_lo, exec_lo, s7
.LBB220_684:                            ;   in Loop: Header=BB220_668 Depth=1
	s_or_b32 exec_lo, exec_lo, s4
	v_mov_b32_e32 v10, 0
	v_mov_b32_e32 v21, 0
	v_and_b32_sdwa v6, v13, v68 dst_sel:DWORD dst_unused:UNUSED_PAD src0_sel:WORD_1 src1_sel:DWORD
	v_mov_b32_e32 v11, 0
	v_mov_b32_e32 v22, 0
	s_mov_b32 s4, exec_lo
	v_cmpx_ne_u16_e32 0, v6
	s_cbranch_execz .LBB220_692
; %bb.685:                              ;   in Loop: Header=BB220_668 Depth=1
	v_bfrev_b32_e32 v21, 1
	v_mov_b32_e32 v22, 0
	s_mov_b32 s7, exec_lo
	v_cmpx_ne_u16_e32 0x80, v6
	s_cbranch_execz .LBB220_691
; %bb.686:                              ;   in Loop: Header=BB220_668 Depth=1
	v_mov_b32_e32 v21, 0x7f800001
	v_bfe_u32 v14, v13, 16, 7
	v_mov_b32_e32 v22, 0
	s_mov_b32 s13, exec_lo
	v_cmpx_ne_u32_e32 0x7f, v14
	s_cbranch_execz .LBB220_690
; %bb.687:                              ;   in Loop: Header=BB220_668 Depth=1
	v_mov_b32_e32 v6, 7
	v_lshrrev_b32_e32 v8, 3, v14
	s_mov_b32 s15, exec_lo
	v_and_b32_sdwa v6, v13, v6 dst_sel:DWORD dst_unused:UNUSED_PAD src0_sel:WORD_1 src1_sel:DWORD
	v_cmpx_gt_u32_e32 8, v14
; %bb.688:                              ;   in Loop: Header=BB220_668 Depth=1
	v_ffbh_u32_e32 v8, v6
	v_min_u32_e32 v8, 32, v8
	v_subrev_nc_u32_e32 v14, 28, v8
	v_sub_nc_u32_e32 v8, 29, v8
	v_lshlrev_b64 v[21:22], v14, v[6:7]
	v_and_b32_e32 v6, 7, v21
; %bb.689:                              ;   in Loop: Header=BB220_668 Depth=1
	s_or_b32 exec_lo, exec_lo, s15
	v_mov_b32_e32 v14, 24
	v_lshlrev_b32_e32 v6, 20, v6
	v_lshl_add_u32 v8, v8, 23, 0x3c000000
	v_lshlrev_b32_sdwa v14, v14, v13 dst_sel:DWORD dst_unused:UNUSED_PAD src0_sel:DWORD src1_sel:WORD_1
	v_and_b32_e32 v14, 0x80000000, v14
	v_or3_b32 v6, v6, v14, v8
	v_mov_b32_e32 v22, v7
	v_mov_b32_e32 v21, v6
.LBB220_690:                            ;   in Loop: Header=BB220_668 Depth=1
	s_or_b32 exec_lo, exec_lo, s13
.LBB220_691:                            ;   in Loop: Header=BB220_668 Depth=1
	s_or_b32 exec_lo, exec_lo, s7
.LBB220_692:                            ;   in Loop: Header=BB220_668 Depth=1
	s_or_b32 exec_lo, exec_lo, s4
	s_mov_b32 s4, exec_lo
	v_cmpx_lt_u32_e32 0xffffff, v13
	s_cbranch_execz .LBB220_700
; %bb.693:                              ;   in Loop: Header=BB220_668 Depth=1
	v_mov_b32_e32 v8, v7
	v_mov_b32_e32 v11, v9
	v_cmp_ne_u32_sdwa s13, v13, v66 src0_sel:BYTE_3 src1_sel:DWORD
	v_mov_b32_e32 v10, v8
	s_and_saveexec_b32 s7, s13
	s_cbranch_execz .LBB220_699
; %bb.694:                              ;   in Loop: Header=BB220_668 Depth=1
	v_mov_b32_e32 v11, v7
	v_bfe_u32 v14, v13, 24, 7
	s_mov_b32 s13, exec_lo
	v_mov_b32_e32 v10, v11
	v_mov_b32_e32 v11, v12
	v_cmpx_ne_u32_e32 0x7f, v14
	s_cbranch_execz .LBB220_698
; %bb.695:                              ;   in Loop: Header=BB220_668 Depth=1
	v_mov_b32_e32 v6, 7
	v_lshrrev_b32_e32 v8, 3, v14
	s_mov_b32 s15, exec_lo
	v_and_b32_sdwa v6, v13, v6 dst_sel:DWORD dst_unused:UNUSED_PAD src0_sel:BYTE_3 src1_sel:DWORD
	v_cmpx_gt_u32_e32 8, v14
; %bb.696:                              ;   in Loop: Header=BB220_668 Depth=1
	v_ffbh_u32_e32 v8, v6
	v_min_u32_e32 v8, 32, v8
	v_subrev_nc_u32_e32 v10, 28, v8
	v_sub_nc_u32_e32 v8, 29, v8
	v_lshlrev_b64 v[10:11], v10, v[6:7]
	v_and_b32_e32 v6, 7, v10
; %bb.697:                              ;   in Loop: Header=BB220_668 Depth=1
	s_or_b32 exec_lo, exec_lo, s15
	v_mov_b32_e32 v10, 24
	v_lshlrev_b32_e32 v6, 20, v6
	v_lshl_add_u32 v8, v8, 23, 0x3c000000
	v_lshlrev_b32_sdwa v10, v10, v13 dst_sel:DWORD dst_unused:UNUSED_PAD src0_sel:DWORD src1_sel:BYTE_3
	v_and_b32_e32 v10, 0x80000000, v10
	v_or3_b32 v11, v6, v10, v8
	v_mov_b32_e32 v10, v7
.LBB220_698:                            ;   in Loop: Header=BB220_668 Depth=1
	s_or_b32 exec_lo, exec_lo, s13
.LBB220_699:                            ;   in Loop: Header=BB220_668 Depth=1
	s_or_b32 exec_lo, exec_lo, s7
.LBB220_700:                            ;   in Loop: Header=BB220_668 Depth=1
	s_or_b32 exec_lo, exec_lo, s4
	buffer_load_dword v6, off, s[0:3], s32 offset:192 ; 4-byte Folded Reload
	v_or_b32_e32 v8, v20, v18
	v_or_b32_e32 v13, v19, v17
	;; [unrolled: 1-line block ×4, first 2 shown]
	v_add_nc_u32_e32 v98, -3, v71
	v_mul_f32_e32 v84, v81, v8
	v_mul_f32_e32 v85, v65, v13
	;; [unrolled: 1-line block ×4, first 2 shown]
	v_add_nc_u32_e32 v100, -2, v71
	v_add_nc_u32_e32 v99, -1, v71
	s_waitcnt vmcnt(0)
	v_add_nc_u32_e32 v6, -1, v6
	v_cmp_eq_u32_e32 vcc_lo, v6, v82
	s_and_saveexec_b32 s7, vcc_lo
	s_cbranch_execz .LBB220_702
; %bb.701:                              ;   in Loop: Header=BB220_668 Depth=1
	v_cmp_lt_i32_e64 s4, v98, v28
	v_cndmask_b32_e64 v85, 0, v85, s4
	v_cmp_lt_i32_e64 s4, v100, v28
	v_cndmask_b32_e64 v84, 0, v84, s4
	;; [unrolled: 2-line block ×4, first 2 shown]
.LBB220_702:                            ;   in Loop: Header=BB220_668 Depth=1
	s_or_b32 exec_lo, exec_lo, s7
	flat_load_dword v13, v[0:1] offset:128
	v_mov_b32_e32 v19, 0
	v_mov_b32_e32 v17, 0
	;; [unrolled: 1-line block ×4, first 2 shown]
	s_waitcnt vmcnt(0) lgkmcnt(0)
	v_cmp_ne_u16_sdwa s4, v13, v7 src0_sel:BYTE_0 src1_sel:DWORD
	s_and_saveexec_b32 s7, s4
	s_cbranch_execz .LBB220_710
; %bb.703:                              ;   in Loop: Header=BB220_668 Depth=1
	v_bfrev_b32_e32 v17, 1
	v_mov_b32_e32 v18, 0
	v_cmp_ne_u16_sdwa s4, v13, v66 src0_sel:BYTE_0 src1_sel:DWORD
	s_and_saveexec_b32 s13, s4
	s_cbranch_execz .LBB220_709
; %bb.704:                              ;   in Loop: Header=BB220_668 Depth=1
	v_mov_b32_e32 v17, 0x7f800001
	v_and_b32_e32 v10, 0x7f, v13
	v_mov_b32_e32 v18, 0
	s_mov_b32 s15, exec_lo
	v_cmpx_ne_u32_e32 0x7f, v10
	s_cbranch_execz .LBB220_708
; %bb.705:                              ;   in Loop: Header=BB220_668 Depth=1
	v_and_b32_e32 v6, 7, v13
	v_lshrrev_b32_e32 v8, 3, v10
	s_mov_b32 s18, exec_lo
	v_cmpx_gt_u32_e32 8, v10
; %bb.706:                              ;   in Loop: Header=BB220_668 Depth=1
	v_ffbh_u32_e32 v8, v6
	v_min_u32_e32 v8, 32, v8
	v_subrev_nc_u32_e32 v10, 28, v8
	v_sub_nc_u32_e32 v8, 29, v8
	v_lshlrev_b64 v[10:11], v10, v[6:7]
	v_and_b32_e32 v6, 7, v10
; %bb.707:                              ;   in Loop: Header=BB220_668 Depth=1
	s_or_b32 exec_lo, exec_lo, s18
	v_lshlrev_b32_e32 v10, 24, v13
	v_lshlrev_b32_e32 v6, 20, v6
	v_lshl_add_u32 v8, v8, 23, 0x3c000000
	v_and_b32_e32 v10, 0x80000000, v10
	v_or3_b32 v6, v6, v10, v8
	v_mov_b32_e32 v18, v7
	v_mov_b32_e32 v17, v6
.LBB220_708:                            ;   in Loop: Header=BB220_668 Depth=1
	s_or_b32 exec_lo, exec_lo, s15
.LBB220_709:                            ;   in Loop: Header=BB220_668 Depth=1
	s_or_b32 exec_lo, exec_lo, s13
.LBB220_710:                            ;   in Loop: Header=BB220_668 Depth=1
	s_or_b32 exec_lo, exec_lo, s7
	v_cmp_ne_u16_sdwa s4, v13, v7 src0_sel:BYTE_1 src1_sel:DWORD
	s_and_saveexec_b32 s7, s4
	s_cbranch_execz .LBB220_718
; %bb.711:                              ;   in Loop: Header=BB220_668 Depth=1
	v_mov_b32_e32 v8, v7
	v_mov_b32_e32 v20, v9
	v_cmp_ne_u16_sdwa s4, v13, v66 src0_sel:BYTE_1 src1_sel:DWORD
	v_mov_b32_e32 v19, v8
	s_and_saveexec_b32 s13, s4
	s_cbranch_execz .LBB220_717
; %bb.712:                              ;   in Loop: Header=BB220_668 Depth=1
	v_and_b32_sdwa v6, v70, v13 dst_sel:DWORD dst_unused:UNUSED_PAD src0_sel:DWORD src1_sel:BYTE_1
	v_mov_b32_e32 v11, v7
	v_mov_b32_e32 v20, v12
	s_mov_b32 s15, exec_lo
	v_and_b32_e32 v10, 0x7f, v6
	v_mov_b32_e32 v19, v11
	v_cmpx_ne_u32_e32 0x7f, v10
	s_cbranch_execz .LBB220_716
; %bb.713:                              ;   in Loop: Header=BB220_668 Depth=1
	v_and_b32_e32 v6, 7, v6
	v_lshrrev_b32_e32 v8, 3, v10
	s_mov_b32 s18, exec_lo
	v_cmpx_gt_u32_e32 8, v10
; %bb.714:                              ;   in Loop: Header=BB220_668 Depth=1
	v_ffbh_u32_e32 v8, v6
	v_min_u32_e32 v8, 32, v8
	v_subrev_nc_u32_e32 v10, 28, v8
	v_sub_nc_u32_e32 v8, 29, v8
	v_lshlrev_b64 v[10:11], v10, v[6:7]
	v_and_b32_e32 v6, 7, v10
; %bb.715:                              ;   in Loop: Header=BB220_668 Depth=1
	s_or_b32 exec_lo, exec_lo, s18
	v_lshlrev_b32_e32 v10, 16, v13
	v_lshlrev_b32_e32 v6, 20, v6
	v_lshl_add_u32 v8, v8, 23, 0x3c000000
	v_mov_b32_e32 v19, v7
	v_and_b32_e32 v10, 0x80000000, v10
	v_or3_b32 v20, v6, v10, v8
.LBB220_716:                            ;   in Loop: Header=BB220_668 Depth=1
	s_or_b32 exec_lo, exec_lo, s15
.LBB220_717:                            ;   in Loop: Header=BB220_668 Depth=1
	s_or_b32 exec_lo, exec_lo, s13
.LBB220_718:                            ;   in Loop: Header=BB220_668 Depth=1
	s_or_b32 exec_lo, exec_lo, s7
	v_mov_b32_e32 v10, 0
	v_mov_b32_e32 v21, 0
	v_and_b32_sdwa v6, v13, v68 dst_sel:DWORD dst_unused:UNUSED_PAD src0_sel:WORD_1 src1_sel:DWORD
	v_mov_b32_e32 v11, 0
	v_mov_b32_e32 v22, 0
	s_mov_b32 s7, exec_lo
	v_cmpx_ne_u16_e32 0, v6
	s_cbranch_execz .LBB220_726
; %bb.719:                              ;   in Loop: Header=BB220_668 Depth=1
	v_bfrev_b32_e32 v21, 1
	v_mov_b32_e32 v22, 0
	s_mov_b32 s13, exec_lo
	v_cmpx_ne_u16_e32 0x80, v6
	s_cbranch_execz .LBB220_725
; %bb.720:                              ;   in Loop: Header=BB220_668 Depth=1
	v_mov_b32_e32 v21, 0x7f800001
	v_bfe_u32 v14, v13, 16, 7
	v_mov_b32_e32 v22, 0
	s_mov_b32 s15, exec_lo
	v_cmpx_ne_u32_e32 0x7f, v14
	s_cbranch_execz .LBB220_724
; %bb.721:                              ;   in Loop: Header=BB220_668 Depth=1
	v_mov_b32_e32 v6, 7
	v_lshrrev_b32_e32 v8, 3, v14
	s_mov_b32 s18, exec_lo
	v_and_b32_sdwa v6, v13, v6 dst_sel:DWORD dst_unused:UNUSED_PAD src0_sel:WORD_1 src1_sel:DWORD
	v_cmpx_gt_u32_e32 8, v14
; %bb.722:                              ;   in Loop: Header=BB220_668 Depth=1
	v_ffbh_u32_e32 v8, v6
	v_min_u32_e32 v8, 32, v8
	v_subrev_nc_u32_e32 v14, 28, v8
	v_sub_nc_u32_e32 v8, 29, v8
	v_lshlrev_b64 v[21:22], v14, v[6:7]
	v_and_b32_e32 v6, 7, v21
; %bb.723:                              ;   in Loop: Header=BB220_668 Depth=1
	s_or_b32 exec_lo, exec_lo, s18
	v_mov_b32_e32 v14, 24
	v_lshlrev_b32_e32 v6, 20, v6
	v_lshl_add_u32 v8, v8, 23, 0x3c000000
	v_lshlrev_b32_sdwa v14, v14, v13 dst_sel:DWORD dst_unused:UNUSED_PAD src0_sel:DWORD src1_sel:WORD_1
	v_and_b32_e32 v14, 0x80000000, v14
	v_or3_b32 v6, v6, v14, v8
	v_mov_b32_e32 v22, v7
	v_mov_b32_e32 v21, v6
.LBB220_724:                            ;   in Loop: Header=BB220_668 Depth=1
	s_or_b32 exec_lo, exec_lo, s15
.LBB220_725:                            ;   in Loop: Header=BB220_668 Depth=1
	s_or_b32 exec_lo, exec_lo, s13
.LBB220_726:                            ;   in Loop: Header=BB220_668 Depth=1
	s_or_b32 exec_lo, exec_lo, s7
	s_mov_b32 s7, exec_lo
	v_cmpx_lt_u32_e32 0xffffff, v13
	s_cbranch_execz .LBB220_734
; %bb.727:                              ;   in Loop: Header=BB220_668 Depth=1
	v_mov_b32_e32 v8, v7
	v_mov_b32_e32 v11, v9
	v_cmp_ne_u32_sdwa s4, v13, v66 src0_sel:BYTE_3 src1_sel:DWORD
	v_mov_b32_e32 v10, v8
	s_and_saveexec_b32 s13, s4
	s_cbranch_execz .LBB220_733
; %bb.728:                              ;   in Loop: Header=BB220_668 Depth=1
	v_mov_b32_e32 v11, v7
	v_bfe_u32 v14, v13, 24, 7
	s_mov_b32 s15, exec_lo
	v_mov_b32_e32 v10, v11
	v_mov_b32_e32 v11, v12
	v_cmpx_ne_u32_e32 0x7f, v14
	s_cbranch_execz .LBB220_732
; %bb.729:                              ;   in Loop: Header=BB220_668 Depth=1
	v_mov_b32_e32 v6, 7
	v_lshrrev_b32_e32 v8, 3, v14
	s_mov_b32 s18, exec_lo
	v_and_b32_sdwa v6, v13, v6 dst_sel:DWORD dst_unused:UNUSED_PAD src0_sel:BYTE_3 src1_sel:DWORD
	v_cmpx_gt_u32_e32 8, v14
; %bb.730:                              ;   in Loop: Header=BB220_668 Depth=1
	v_ffbh_u32_e32 v8, v6
	v_min_u32_e32 v8, 32, v8
	v_subrev_nc_u32_e32 v10, 28, v8
	v_sub_nc_u32_e32 v8, 29, v8
	v_lshlrev_b64 v[10:11], v10, v[6:7]
	v_and_b32_e32 v6, 7, v10
; %bb.731:                              ;   in Loop: Header=BB220_668 Depth=1
	s_or_b32 exec_lo, exec_lo, s18
	v_mov_b32_e32 v10, 24
	v_lshlrev_b32_e32 v6, 20, v6
	v_lshl_add_u32 v8, v8, 23, 0x3c000000
	v_lshlrev_b32_sdwa v10, v10, v13 dst_sel:DWORD dst_unused:UNUSED_PAD src0_sel:DWORD src1_sel:BYTE_3
	v_and_b32_e32 v10, 0x80000000, v10
	v_or3_b32 v11, v6, v10, v8
	v_mov_b32_e32 v10, v7
.LBB220_732:                            ;   in Loop: Header=BB220_668 Depth=1
	s_or_b32 exec_lo, exec_lo, s15
.LBB220_733:                            ;   in Loop: Header=BB220_668 Depth=1
	s_or_b32 exec_lo, exec_lo, s13
.LBB220_734:                            ;   in Loop: Header=BB220_668 Depth=1
	s_or_b32 exec_lo, exec_lo, s7
	v_or_b32_e32 v6, v20, v18
	v_or_b32_e32 v8, v19, v17
	;; [unrolled: 1-line block ×4, first 2 shown]
	v_mul_f32_e32 v96, v81, v6
	v_mul_f32_e32 v97, v65, v8
	;; [unrolled: 1-line block ×4, first 2 shown]
	s_and_saveexec_b32 s7, vcc_lo
	s_cbranch_execz .LBB220_736
; %bb.735:                              ;   in Loop: Header=BB220_668 Depth=1
	v_cmp_lt_i32_e64 s4, v98, v28
	v_cndmask_b32_e64 v97, 0, v97, s4
	v_cmp_lt_i32_e64 s4, v100, v28
	v_cndmask_b32_e64 v96, 0, v96, s4
	;; [unrolled: 2-line block ×4, first 2 shown]
.LBB220_736:                            ;   in Loop: Header=BB220_668 Depth=1
	s_or_b32 exec_lo, exec_lo, s7
	flat_load_dword v13, v[0:1] offset:256
	v_mov_b32_e32 v19, 0
	v_mov_b32_e32 v17, 0
	;; [unrolled: 1-line block ×4, first 2 shown]
	s_waitcnt vmcnt(0) lgkmcnt(0)
	v_cmp_ne_u16_sdwa s4, v13, v7 src0_sel:BYTE_0 src1_sel:DWORD
	s_and_saveexec_b32 s7, s4
	s_cbranch_execz .LBB220_744
; %bb.737:                              ;   in Loop: Header=BB220_668 Depth=1
	v_bfrev_b32_e32 v17, 1
	v_mov_b32_e32 v18, 0
	v_cmp_ne_u16_sdwa s4, v13, v66 src0_sel:BYTE_0 src1_sel:DWORD
	s_and_saveexec_b32 s13, s4
	s_cbranch_execz .LBB220_743
; %bb.738:                              ;   in Loop: Header=BB220_668 Depth=1
	v_mov_b32_e32 v17, 0x7f800001
	v_and_b32_e32 v10, 0x7f, v13
	v_mov_b32_e32 v18, 0
	s_mov_b32 s15, exec_lo
	v_cmpx_ne_u32_e32 0x7f, v10
	s_cbranch_execz .LBB220_742
; %bb.739:                              ;   in Loop: Header=BB220_668 Depth=1
	v_and_b32_e32 v6, 7, v13
	v_lshrrev_b32_e32 v8, 3, v10
	s_mov_b32 s18, exec_lo
	v_cmpx_gt_u32_e32 8, v10
; %bb.740:                              ;   in Loop: Header=BB220_668 Depth=1
	v_ffbh_u32_e32 v8, v6
	v_min_u32_e32 v8, 32, v8
	v_subrev_nc_u32_e32 v10, 28, v8
	v_sub_nc_u32_e32 v8, 29, v8
	v_lshlrev_b64 v[10:11], v10, v[6:7]
	v_and_b32_e32 v6, 7, v10
; %bb.741:                              ;   in Loop: Header=BB220_668 Depth=1
	s_or_b32 exec_lo, exec_lo, s18
	v_lshlrev_b32_e32 v10, 24, v13
	v_lshlrev_b32_e32 v6, 20, v6
	v_lshl_add_u32 v8, v8, 23, 0x3c000000
	v_and_b32_e32 v10, 0x80000000, v10
	v_or3_b32 v6, v6, v10, v8
	v_mov_b32_e32 v18, v7
	v_mov_b32_e32 v17, v6
.LBB220_742:                            ;   in Loop: Header=BB220_668 Depth=1
	s_or_b32 exec_lo, exec_lo, s15
.LBB220_743:                            ;   in Loop: Header=BB220_668 Depth=1
	s_or_b32 exec_lo, exec_lo, s13
.LBB220_744:                            ;   in Loop: Header=BB220_668 Depth=1
	s_or_b32 exec_lo, exec_lo, s7
	v_cmp_ne_u16_sdwa s4, v13, v7 src0_sel:BYTE_1 src1_sel:DWORD
	s_and_saveexec_b32 s7, s4
	s_cbranch_execz .LBB220_752
; %bb.745:                              ;   in Loop: Header=BB220_668 Depth=1
	v_mov_b32_e32 v8, v7
	v_mov_b32_e32 v20, v9
	v_cmp_ne_u16_sdwa s4, v13, v66 src0_sel:BYTE_1 src1_sel:DWORD
	v_mov_b32_e32 v19, v8
	s_and_saveexec_b32 s13, s4
	s_cbranch_execz .LBB220_751
; %bb.746:                              ;   in Loop: Header=BB220_668 Depth=1
	v_and_b32_sdwa v6, v70, v13 dst_sel:DWORD dst_unused:UNUSED_PAD src0_sel:DWORD src1_sel:BYTE_1
	v_mov_b32_e32 v11, v7
	v_mov_b32_e32 v20, v12
	s_mov_b32 s15, exec_lo
	v_and_b32_e32 v10, 0x7f, v6
	v_mov_b32_e32 v19, v11
	v_cmpx_ne_u32_e32 0x7f, v10
	s_cbranch_execz .LBB220_750
; %bb.747:                              ;   in Loop: Header=BB220_668 Depth=1
	v_and_b32_e32 v6, 7, v6
	v_lshrrev_b32_e32 v8, 3, v10
	s_mov_b32 s18, exec_lo
	v_cmpx_gt_u32_e32 8, v10
; %bb.748:                              ;   in Loop: Header=BB220_668 Depth=1
	v_ffbh_u32_e32 v8, v6
	v_min_u32_e32 v8, 32, v8
	v_subrev_nc_u32_e32 v10, 28, v8
	v_sub_nc_u32_e32 v8, 29, v8
	v_lshlrev_b64 v[10:11], v10, v[6:7]
	v_and_b32_e32 v6, 7, v10
; %bb.749:                              ;   in Loop: Header=BB220_668 Depth=1
	s_or_b32 exec_lo, exec_lo, s18
	v_lshlrev_b32_e32 v10, 16, v13
	v_lshlrev_b32_e32 v6, 20, v6
	v_lshl_add_u32 v8, v8, 23, 0x3c000000
	v_mov_b32_e32 v19, v7
	v_and_b32_e32 v10, 0x80000000, v10
	v_or3_b32 v20, v6, v10, v8
.LBB220_750:                            ;   in Loop: Header=BB220_668 Depth=1
	s_or_b32 exec_lo, exec_lo, s15
.LBB220_751:                            ;   in Loop: Header=BB220_668 Depth=1
	s_or_b32 exec_lo, exec_lo, s13
.LBB220_752:                            ;   in Loop: Header=BB220_668 Depth=1
	s_or_b32 exec_lo, exec_lo, s7
	v_mov_b32_e32 v10, 0
	v_mov_b32_e32 v21, 0
	v_and_b32_sdwa v6, v13, v68 dst_sel:DWORD dst_unused:UNUSED_PAD src0_sel:WORD_1 src1_sel:DWORD
	v_mov_b32_e32 v11, 0
	v_mov_b32_e32 v22, 0
	s_mov_b32 s7, exec_lo
	v_cmpx_ne_u16_e32 0, v6
	s_cbranch_execz .LBB220_760
; %bb.753:                              ;   in Loop: Header=BB220_668 Depth=1
	v_bfrev_b32_e32 v21, 1
	v_mov_b32_e32 v22, 0
	s_mov_b32 s13, exec_lo
	v_cmpx_ne_u16_e32 0x80, v6
	s_cbranch_execz .LBB220_759
; %bb.754:                              ;   in Loop: Header=BB220_668 Depth=1
	v_mov_b32_e32 v21, 0x7f800001
	v_bfe_u32 v14, v13, 16, 7
	v_mov_b32_e32 v22, 0
	s_mov_b32 s15, exec_lo
	v_cmpx_ne_u32_e32 0x7f, v14
	s_cbranch_execz .LBB220_758
; %bb.755:                              ;   in Loop: Header=BB220_668 Depth=1
	v_mov_b32_e32 v6, 7
	v_lshrrev_b32_e32 v8, 3, v14
	s_mov_b32 s18, exec_lo
	v_and_b32_sdwa v6, v13, v6 dst_sel:DWORD dst_unused:UNUSED_PAD src0_sel:WORD_1 src1_sel:DWORD
	v_cmpx_gt_u32_e32 8, v14
; %bb.756:                              ;   in Loop: Header=BB220_668 Depth=1
	v_ffbh_u32_e32 v8, v6
	v_min_u32_e32 v8, 32, v8
	v_subrev_nc_u32_e32 v14, 28, v8
	v_sub_nc_u32_e32 v8, 29, v8
	v_lshlrev_b64 v[21:22], v14, v[6:7]
	v_and_b32_e32 v6, 7, v21
; %bb.757:                              ;   in Loop: Header=BB220_668 Depth=1
	s_or_b32 exec_lo, exec_lo, s18
	v_mov_b32_e32 v14, 24
	v_lshlrev_b32_e32 v6, 20, v6
	v_lshl_add_u32 v8, v8, 23, 0x3c000000
	v_lshlrev_b32_sdwa v14, v14, v13 dst_sel:DWORD dst_unused:UNUSED_PAD src0_sel:DWORD src1_sel:WORD_1
	v_and_b32_e32 v14, 0x80000000, v14
	v_or3_b32 v6, v6, v14, v8
	v_mov_b32_e32 v22, v7
	v_mov_b32_e32 v21, v6
.LBB220_758:                            ;   in Loop: Header=BB220_668 Depth=1
	s_or_b32 exec_lo, exec_lo, s15
.LBB220_759:                            ;   in Loop: Header=BB220_668 Depth=1
	s_or_b32 exec_lo, exec_lo, s13
.LBB220_760:                            ;   in Loop: Header=BB220_668 Depth=1
	s_or_b32 exec_lo, exec_lo, s7
	s_mov_b32 s7, exec_lo
	v_cmpx_lt_u32_e32 0xffffff, v13
	s_cbranch_execz .LBB220_768
; %bb.761:                              ;   in Loop: Header=BB220_668 Depth=1
	v_mov_b32_e32 v8, v7
	v_mov_b32_e32 v11, v9
	v_cmp_ne_u32_sdwa s4, v13, v66 src0_sel:BYTE_3 src1_sel:DWORD
	v_mov_b32_e32 v10, v8
	s_and_saveexec_b32 s13, s4
	s_cbranch_execz .LBB220_767
; %bb.762:                              ;   in Loop: Header=BB220_668 Depth=1
	v_mov_b32_e32 v11, v7
	v_bfe_u32 v14, v13, 24, 7
	s_mov_b32 s15, exec_lo
	v_mov_b32_e32 v10, v11
	v_mov_b32_e32 v11, v12
	v_cmpx_ne_u32_e32 0x7f, v14
	s_cbranch_execz .LBB220_766
; %bb.763:                              ;   in Loop: Header=BB220_668 Depth=1
	v_mov_b32_e32 v6, 7
	v_lshrrev_b32_e32 v8, 3, v14
	s_mov_b32 s18, exec_lo
	v_and_b32_sdwa v6, v13, v6 dst_sel:DWORD dst_unused:UNUSED_PAD src0_sel:BYTE_3 src1_sel:DWORD
	v_cmpx_gt_u32_e32 8, v14
; %bb.764:                              ;   in Loop: Header=BB220_668 Depth=1
	v_ffbh_u32_e32 v8, v6
	v_min_u32_e32 v8, 32, v8
	v_subrev_nc_u32_e32 v10, 28, v8
	v_sub_nc_u32_e32 v8, 29, v8
	v_lshlrev_b64 v[10:11], v10, v[6:7]
	v_and_b32_e32 v6, 7, v10
; %bb.765:                              ;   in Loop: Header=BB220_668 Depth=1
	s_or_b32 exec_lo, exec_lo, s18
	v_mov_b32_e32 v10, 24
	v_lshlrev_b32_e32 v6, 20, v6
	v_lshl_add_u32 v8, v8, 23, 0x3c000000
	v_lshlrev_b32_sdwa v10, v10, v13 dst_sel:DWORD dst_unused:UNUSED_PAD src0_sel:DWORD src1_sel:BYTE_3
	v_and_b32_e32 v10, 0x80000000, v10
	v_or3_b32 v11, v6, v10, v8
	v_mov_b32_e32 v10, v7
.LBB220_766:                            ;   in Loop: Header=BB220_668 Depth=1
	s_or_b32 exec_lo, exec_lo, s15
.LBB220_767:                            ;   in Loop: Header=BB220_668 Depth=1
	s_or_b32 exec_lo, exec_lo, s13
.LBB220_768:                            ;   in Loop: Header=BB220_668 Depth=1
	s_or_b32 exec_lo, exec_lo, s7
	v_or_b32_e32 v6, v20, v18
	v_or_b32_e32 v8, v19, v17
	;; [unrolled: 1-line block ×4, first 2 shown]
	v_mul_f32_e32 v103, v81, v6
	v_mul_f32_e32 v112, v65, v8
	;; [unrolled: 1-line block ×4, first 2 shown]
	s_and_saveexec_b32 s7, vcc_lo
	s_cbranch_execz .LBB220_770
; %bb.769:                              ;   in Loop: Header=BB220_668 Depth=1
	v_cmp_lt_i32_e64 s4, v98, v28
	v_cndmask_b32_e64 v112, 0, v112, s4
	v_cmp_lt_i32_e64 s4, v100, v28
	v_cndmask_b32_e64 v103, 0, v103, s4
	;; [unrolled: 2-line block ×4, first 2 shown]
.LBB220_770:                            ;   in Loop: Header=BB220_668 Depth=1
	s_or_b32 exec_lo, exec_lo, s7
	flat_load_dword v13, v[0:1] offset:384
	v_mov_b32_e32 v19, 0
	v_mov_b32_e32 v17, 0
	;; [unrolled: 1-line block ×4, first 2 shown]
	s_waitcnt vmcnt(0) lgkmcnt(0)
	v_cmp_ne_u16_sdwa s4, v13, v7 src0_sel:BYTE_0 src1_sel:DWORD
	s_and_saveexec_b32 s7, s4
	s_cbranch_execz .LBB220_778
; %bb.771:                              ;   in Loop: Header=BB220_668 Depth=1
	v_bfrev_b32_e32 v17, 1
	v_mov_b32_e32 v18, 0
	v_cmp_ne_u16_sdwa s4, v13, v66 src0_sel:BYTE_0 src1_sel:DWORD
	s_and_saveexec_b32 s13, s4
	s_cbranch_execz .LBB220_777
; %bb.772:                              ;   in Loop: Header=BB220_668 Depth=1
	v_mov_b32_e32 v17, 0x7f800001
	v_and_b32_e32 v10, 0x7f, v13
	v_mov_b32_e32 v18, 0
	s_mov_b32 s15, exec_lo
	v_cmpx_ne_u32_e32 0x7f, v10
	s_cbranch_execz .LBB220_776
; %bb.773:                              ;   in Loop: Header=BB220_668 Depth=1
	v_and_b32_e32 v6, 7, v13
	v_lshrrev_b32_e32 v8, 3, v10
	s_mov_b32 s18, exec_lo
	v_cmpx_gt_u32_e32 8, v10
; %bb.774:                              ;   in Loop: Header=BB220_668 Depth=1
	v_ffbh_u32_e32 v8, v6
	v_min_u32_e32 v8, 32, v8
	v_subrev_nc_u32_e32 v10, 28, v8
	v_sub_nc_u32_e32 v8, 29, v8
	v_lshlrev_b64 v[10:11], v10, v[6:7]
	v_and_b32_e32 v6, 7, v10
; %bb.775:                              ;   in Loop: Header=BB220_668 Depth=1
	s_or_b32 exec_lo, exec_lo, s18
	v_lshlrev_b32_e32 v10, 24, v13
	v_lshlrev_b32_e32 v6, 20, v6
	v_lshl_add_u32 v8, v8, 23, 0x3c000000
	v_and_b32_e32 v10, 0x80000000, v10
	v_or3_b32 v6, v6, v10, v8
	v_mov_b32_e32 v18, v7
	v_mov_b32_e32 v17, v6
.LBB220_776:                            ;   in Loop: Header=BB220_668 Depth=1
	s_or_b32 exec_lo, exec_lo, s15
.LBB220_777:                            ;   in Loop: Header=BB220_668 Depth=1
	s_or_b32 exec_lo, exec_lo, s13
.LBB220_778:                            ;   in Loop: Header=BB220_668 Depth=1
	s_or_b32 exec_lo, exec_lo, s7
	v_cmp_ne_u16_sdwa s4, v13, v7 src0_sel:BYTE_1 src1_sel:DWORD
	s_and_saveexec_b32 s7, s4
	s_cbranch_execz .LBB220_786
; %bb.779:                              ;   in Loop: Header=BB220_668 Depth=1
	v_mov_b32_e32 v8, v7
	v_mov_b32_e32 v20, v9
	v_cmp_ne_u16_sdwa s4, v13, v66 src0_sel:BYTE_1 src1_sel:DWORD
	v_mov_b32_e32 v19, v8
	s_and_saveexec_b32 s13, s4
	s_cbranch_execz .LBB220_785
; %bb.780:                              ;   in Loop: Header=BB220_668 Depth=1
	v_and_b32_sdwa v6, v70, v13 dst_sel:DWORD dst_unused:UNUSED_PAD src0_sel:DWORD src1_sel:BYTE_1
	v_mov_b32_e32 v11, v7
	v_mov_b32_e32 v20, v12
	s_mov_b32 s15, exec_lo
	v_and_b32_e32 v10, 0x7f, v6
	v_mov_b32_e32 v19, v11
	v_cmpx_ne_u32_e32 0x7f, v10
	s_cbranch_execz .LBB220_784
; %bb.781:                              ;   in Loop: Header=BB220_668 Depth=1
	v_and_b32_e32 v6, 7, v6
	v_lshrrev_b32_e32 v8, 3, v10
	s_mov_b32 s18, exec_lo
	v_cmpx_gt_u32_e32 8, v10
; %bb.782:                              ;   in Loop: Header=BB220_668 Depth=1
	v_ffbh_u32_e32 v8, v6
	v_min_u32_e32 v8, 32, v8
	v_subrev_nc_u32_e32 v10, 28, v8
	v_sub_nc_u32_e32 v8, 29, v8
	v_lshlrev_b64 v[10:11], v10, v[6:7]
	v_and_b32_e32 v6, 7, v10
; %bb.783:                              ;   in Loop: Header=BB220_668 Depth=1
	s_or_b32 exec_lo, exec_lo, s18
	v_lshlrev_b32_e32 v10, 16, v13
	v_lshlrev_b32_e32 v6, 20, v6
	v_lshl_add_u32 v8, v8, 23, 0x3c000000
	v_mov_b32_e32 v19, v7
	v_and_b32_e32 v10, 0x80000000, v10
	v_or3_b32 v20, v6, v10, v8
.LBB220_784:                            ;   in Loop: Header=BB220_668 Depth=1
	s_or_b32 exec_lo, exec_lo, s15
.LBB220_785:                            ;   in Loop: Header=BB220_668 Depth=1
	s_or_b32 exec_lo, exec_lo, s13
.LBB220_786:                            ;   in Loop: Header=BB220_668 Depth=1
	s_or_b32 exec_lo, exec_lo, s7
	v_mov_b32_e32 v10, 0
	v_mov_b32_e32 v21, 0
	v_and_b32_sdwa v6, v13, v68 dst_sel:DWORD dst_unused:UNUSED_PAD src0_sel:WORD_1 src1_sel:DWORD
	v_mov_b32_e32 v11, 0
	v_mov_b32_e32 v22, 0
	s_mov_b32 s7, exec_lo
	v_cmpx_ne_u16_e32 0, v6
	s_cbranch_execz .LBB220_794
; %bb.787:                              ;   in Loop: Header=BB220_668 Depth=1
	v_bfrev_b32_e32 v21, 1
	v_mov_b32_e32 v22, 0
	s_mov_b32 s13, exec_lo
	v_cmpx_ne_u16_e32 0x80, v6
	s_cbranch_execz .LBB220_793
; %bb.788:                              ;   in Loop: Header=BB220_668 Depth=1
	v_mov_b32_e32 v21, 0x7f800001
	v_bfe_u32 v14, v13, 16, 7
	v_mov_b32_e32 v22, 0
	s_mov_b32 s15, exec_lo
	v_cmpx_ne_u32_e32 0x7f, v14
	s_cbranch_execz .LBB220_792
; %bb.789:                              ;   in Loop: Header=BB220_668 Depth=1
	v_mov_b32_e32 v6, 7
	v_lshrrev_b32_e32 v8, 3, v14
	s_mov_b32 s18, exec_lo
	v_and_b32_sdwa v6, v13, v6 dst_sel:DWORD dst_unused:UNUSED_PAD src0_sel:WORD_1 src1_sel:DWORD
	v_cmpx_gt_u32_e32 8, v14
; %bb.790:                              ;   in Loop: Header=BB220_668 Depth=1
	v_ffbh_u32_e32 v8, v6
	v_min_u32_e32 v8, 32, v8
	v_subrev_nc_u32_e32 v14, 28, v8
	v_sub_nc_u32_e32 v8, 29, v8
	v_lshlrev_b64 v[21:22], v14, v[6:7]
	v_and_b32_e32 v6, 7, v21
; %bb.791:                              ;   in Loop: Header=BB220_668 Depth=1
	s_or_b32 exec_lo, exec_lo, s18
	v_mov_b32_e32 v14, 24
	v_lshlrev_b32_e32 v6, 20, v6
	v_lshl_add_u32 v8, v8, 23, 0x3c000000
	v_lshlrev_b32_sdwa v14, v14, v13 dst_sel:DWORD dst_unused:UNUSED_PAD src0_sel:DWORD src1_sel:WORD_1
	v_and_b32_e32 v14, 0x80000000, v14
	v_or3_b32 v6, v6, v14, v8
	v_mov_b32_e32 v22, v7
	v_mov_b32_e32 v21, v6
.LBB220_792:                            ;   in Loop: Header=BB220_668 Depth=1
	s_or_b32 exec_lo, exec_lo, s15
.LBB220_793:                            ;   in Loop: Header=BB220_668 Depth=1
	s_or_b32 exec_lo, exec_lo, s13
.LBB220_794:                            ;   in Loop: Header=BB220_668 Depth=1
	s_or_b32 exec_lo, exec_lo, s7
	s_mov_b32 s7, exec_lo
	v_cmpx_lt_u32_e32 0xffffff, v13
	s_cbranch_execz .LBB220_802
; %bb.795:                              ;   in Loop: Header=BB220_668 Depth=1
	v_mov_b32_e32 v8, v7
	v_mov_b32_e32 v11, v9
	v_cmp_ne_u32_sdwa s4, v13, v66 src0_sel:BYTE_3 src1_sel:DWORD
	v_mov_b32_e32 v10, v8
	s_and_saveexec_b32 s13, s4
	s_cbranch_execz .LBB220_801
; %bb.796:                              ;   in Loop: Header=BB220_668 Depth=1
	v_mov_b32_e32 v11, v7
	v_bfe_u32 v14, v13, 24, 7
	s_mov_b32 s15, exec_lo
	v_mov_b32_e32 v10, v11
	v_mov_b32_e32 v11, v12
	v_cmpx_ne_u32_e32 0x7f, v14
	s_cbranch_execz .LBB220_800
; %bb.797:                              ;   in Loop: Header=BB220_668 Depth=1
	v_mov_b32_e32 v6, 7
	v_lshrrev_b32_e32 v8, 3, v14
	s_mov_b32 s18, exec_lo
	v_and_b32_sdwa v6, v13, v6 dst_sel:DWORD dst_unused:UNUSED_PAD src0_sel:BYTE_3 src1_sel:DWORD
	v_cmpx_gt_u32_e32 8, v14
; %bb.798:                              ;   in Loop: Header=BB220_668 Depth=1
	v_ffbh_u32_e32 v8, v6
	v_min_u32_e32 v8, 32, v8
	v_subrev_nc_u32_e32 v10, 28, v8
	v_sub_nc_u32_e32 v8, 29, v8
	v_lshlrev_b64 v[10:11], v10, v[6:7]
	v_and_b32_e32 v6, 7, v10
; %bb.799:                              ;   in Loop: Header=BB220_668 Depth=1
	s_or_b32 exec_lo, exec_lo, s18
	v_mov_b32_e32 v10, 24
	v_lshlrev_b32_e32 v6, 20, v6
	v_lshl_add_u32 v8, v8, 23, 0x3c000000
	v_lshlrev_b32_sdwa v10, v10, v13 dst_sel:DWORD dst_unused:UNUSED_PAD src0_sel:DWORD src1_sel:BYTE_3
	v_and_b32_e32 v10, 0x80000000, v10
	v_or3_b32 v11, v6, v10, v8
	v_mov_b32_e32 v10, v7
.LBB220_800:                            ;   in Loop: Header=BB220_668 Depth=1
	s_or_b32 exec_lo, exec_lo, s15
.LBB220_801:                            ;   in Loop: Header=BB220_668 Depth=1
	s_or_b32 exec_lo, exec_lo, s13
.LBB220_802:                            ;   in Loop: Header=BB220_668 Depth=1
	s_or_b32 exec_lo, exec_lo, s7
	v_or_b32_e32 v6, v20, v18
	v_or_b32_e32 v8, v19, v17
	;; [unrolled: 1-line block ×4, first 2 shown]
	v_mul_f32_e32 v116, v81, v6
	v_mul_f32_e32 v115, v65, v8
	v_mul_f32_e32 v114, v65, v10
	v_mul_f32_e32 v113, v81, v11
	s_and_saveexec_b32 s7, vcc_lo
	s_cbranch_execz .LBB220_804
; %bb.803:                              ;   in Loop: Header=BB220_668 Depth=1
	v_cmp_lt_i32_e64 s4, v98, v28
	v_cndmask_b32_e64 v115, 0, v115, s4
	v_cmp_lt_i32_e64 s4, v100, v28
	v_cndmask_b32_e64 v116, 0, v116, s4
	;; [unrolled: 2-line block ×4, first 2 shown]
.LBB220_804:                            ;   in Loop: Header=BB220_668 Depth=1
	s_or_b32 exec_lo, exec_lo, s7
	flat_load_dword v13, v[0:1] offset:512
	v_mov_b32_e32 v19, 0
	v_mov_b32_e32 v17, 0
	;; [unrolled: 1-line block ×4, first 2 shown]
	s_waitcnt vmcnt(0) lgkmcnt(0)
	v_cmp_ne_u16_sdwa s4, v13, v7 src0_sel:BYTE_0 src1_sel:DWORD
	s_and_saveexec_b32 s7, s4
	s_cbranch_execz .LBB220_812
; %bb.805:                              ;   in Loop: Header=BB220_668 Depth=1
	v_bfrev_b32_e32 v17, 1
	v_mov_b32_e32 v18, 0
	v_cmp_ne_u16_sdwa s4, v13, v66 src0_sel:BYTE_0 src1_sel:DWORD
	s_and_saveexec_b32 s13, s4
	s_cbranch_execz .LBB220_811
; %bb.806:                              ;   in Loop: Header=BB220_668 Depth=1
	v_mov_b32_e32 v17, 0x7f800001
	v_and_b32_e32 v10, 0x7f, v13
	v_mov_b32_e32 v18, 0
	s_mov_b32 s15, exec_lo
	v_cmpx_ne_u32_e32 0x7f, v10
	s_cbranch_execz .LBB220_810
; %bb.807:                              ;   in Loop: Header=BB220_668 Depth=1
	v_and_b32_e32 v6, 7, v13
	v_lshrrev_b32_e32 v8, 3, v10
	s_mov_b32 s18, exec_lo
	v_cmpx_gt_u32_e32 8, v10
; %bb.808:                              ;   in Loop: Header=BB220_668 Depth=1
	v_ffbh_u32_e32 v8, v6
	v_min_u32_e32 v8, 32, v8
	v_subrev_nc_u32_e32 v10, 28, v8
	v_sub_nc_u32_e32 v8, 29, v8
	v_lshlrev_b64 v[10:11], v10, v[6:7]
	v_and_b32_e32 v6, 7, v10
; %bb.809:                              ;   in Loop: Header=BB220_668 Depth=1
	s_or_b32 exec_lo, exec_lo, s18
	v_lshlrev_b32_e32 v10, 24, v13
	v_lshlrev_b32_e32 v6, 20, v6
	v_lshl_add_u32 v8, v8, 23, 0x3c000000
	v_and_b32_e32 v10, 0x80000000, v10
	v_or3_b32 v6, v6, v10, v8
	v_mov_b32_e32 v18, v7
	v_mov_b32_e32 v17, v6
.LBB220_810:                            ;   in Loop: Header=BB220_668 Depth=1
	s_or_b32 exec_lo, exec_lo, s15
.LBB220_811:                            ;   in Loop: Header=BB220_668 Depth=1
	s_or_b32 exec_lo, exec_lo, s13
.LBB220_812:                            ;   in Loop: Header=BB220_668 Depth=1
	s_or_b32 exec_lo, exec_lo, s7
	v_cmp_ne_u16_sdwa s4, v13, v7 src0_sel:BYTE_1 src1_sel:DWORD
	s_and_saveexec_b32 s7, s4
	s_cbranch_execz .LBB220_820
; %bb.813:                              ;   in Loop: Header=BB220_668 Depth=1
	v_mov_b32_e32 v8, v7
	v_mov_b32_e32 v20, v9
	v_cmp_ne_u16_sdwa s4, v13, v66 src0_sel:BYTE_1 src1_sel:DWORD
	v_mov_b32_e32 v19, v8
	s_and_saveexec_b32 s13, s4
	s_cbranch_execz .LBB220_819
; %bb.814:                              ;   in Loop: Header=BB220_668 Depth=1
	v_and_b32_sdwa v6, v70, v13 dst_sel:DWORD dst_unused:UNUSED_PAD src0_sel:DWORD src1_sel:BYTE_1
	v_mov_b32_e32 v11, v7
	v_mov_b32_e32 v20, v12
	s_mov_b32 s15, exec_lo
	v_and_b32_e32 v10, 0x7f, v6
	v_mov_b32_e32 v19, v11
	v_cmpx_ne_u32_e32 0x7f, v10
	s_cbranch_execz .LBB220_818
; %bb.815:                              ;   in Loop: Header=BB220_668 Depth=1
	v_and_b32_e32 v6, 7, v6
	v_lshrrev_b32_e32 v8, 3, v10
	s_mov_b32 s18, exec_lo
	v_cmpx_gt_u32_e32 8, v10
; %bb.816:                              ;   in Loop: Header=BB220_668 Depth=1
	v_ffbh_u32_e32 v8, v6
	v_min_u32_e32 v8, 32, v8
	v_subrev_nc_u32_e32 v10, 28, v8
	v_sub_nc_u32_e32 v8, 29, v8
	v_lshlrev_b64 v[10:11], v10, v[6:7]
	v_and_b32_e32 v6, 7, v10
; %bb.817:                              ;   in Loop: Header=BB220_668 Depth=1
	s_or_b32 exec_lo, exec_lo, s18
	v_lshlrev_b32_e32 v10, 16, v13
	v_lshlrev_b32_e32 v6, 20, v6
	v_lshl_add_u32 v8, v8, 23, 0x3c000000
	v_mov_b32_e32 v19, v7
	v_and_b32_e32 v10, 0x80000000, v10
	v_or3_b32 v20, v6, v10, v8
.LBB220_818:                            ;   in Loop: Header=BB220_668 Depth=1
	s_or_b32 exec_lo, exec_lo, s15
.LBB220_819:                            ;   in Loop: Header=BB220_668 Depth=1
	s_or_b32 exec_lo, exec_lo, s13
.LBB220_820:                            ;   in Loop: Header=BB220_668 Depth=1
	s_or_b32 exec_lo, exec_lo, s7
	v_mov_b32_e32 v10, 0
	v_mov_b32_e32 v21, 0
	v_and_b32_sdwa v6, v13, v68 dst_sel:DWORD dst_unused:UNUSED_PAD src0_sel:WORD_1 src1_sel:DWORD
	v_mov_b32_e32 v11, 0
	v_mov_b32_e32 v22, 0
	s_mov_b32 s7, exec_lo
	v_cmpx_ne_u16_e32 0, v6
	s_cbranch_execz .LBB220_828
; %bb.821:                              ;   in Loop: Header=BB220_668 Depth=1
	v_bfrev_b32_e32 v21, 1
	v_mov_b32_e32 v22, 0
	s_mov_b32 s13, exec_lo
	v_cmpx_ne_u16_e32 0x80, v6
	s_cbranch_execz .LBB220_827
; %bb.822:                              ;   in Loop: Header=BB220_668 Depth=1
	v_mov_b32_e32 v21, 0x7f800001
	v_bfe_u32 v14, v13, 16, 7
	v_mov_b32_e32 v22, 0
	s_mov_b32 s15, exec_lo
	v_cmpx_ne_u32_e32 0x7f, v14
	s_cbranch_execz .LBB220_826
; %bb.823:                              ;   in Loop: Header=BB220_668 Depth=1
	v_mov_b32_e32 v6, 7
	v_lshrrev_b32_e32 v8, 3, v14
	s_mov_b32 s18, exec_lo
	v_and_b32_sdwa v6, v13, v6 dst_sel:DWORD dst_unused:UNUSED_PAD src0_sel:WORD_1 src1_sel:DWORD
	v_cmpx_gt_u32_e32 8, v14
; %bb.824:                              ;   in Loop: Header=BB220_668 Depth=1
	v_ffbh_u32_e32 v8, v6
	v_min_u32_e32 v8, 32, v8
	v_subrev_nc_u32_e32 v14, 28, v8
	v_sub_nc_u32_e32 v8, 29, v8
	v_lshlrev_b64 v[21:22], v14, v[6:7]
	v_and_b32_e32 v6, 7, v21
; %bb.825:                              ;   in Loop: Header=BB220_668 Depth=1
	s_or_b32 exec_lo, exec_lo, s18
	v_mov_b32_e32 v14, 24
	v_lshlrev_b32_e32 v6, 20, v6
	v_lshl_add_u32 v8, v8, 23, 0x3c000000
	v_lshlrev_b32_sdwa v14, v14, v13 dst_sel:DWORD dst_unused:UNUSED_PAD src0_sel:DWORD src1_sel:WORD_1
	v_and_b32_e32 v14, 0x80000000, v14
	v_or3_b32 v6, v6, v14, v8
	v_mov_b32_e32 v22, v7
	v_mov_b32_e32 v21, v6
.LBB220_826:                            ;   in Loop: Header=BB220_668 Depth=1
	s_or_b32 exec_lo, exec_lo, s15
.LBB220_827:                            ;   in Loop: Header=BB220_668 Depth=1
	s_or_b32 exec_lo, exec_lo, s13
.LBB220_828:                            ;   in Loop: Header=BB220_668 Depth=1
	s_or_b32 exec_lo, exec_lo, s7
	s_mov_b32 s7, exec_lo
	v_cmpx_lt_u32_e32 0xffffff, v13
	s_cbranch_execz .LBB220_836
; %bb.829:                              ;   in Loop: Header=BB220_668 Depth=1
	v_mov_b32_e32 v8, v7
	v_mov_b32_e32 v11, v9
	v_cmp_ne_u32_sdwa s4, v13, v66 src0_sel:BYTE_3 src1_sel:DWORD
	v_mov_b32_e32 v10, v8
	s_and_saveexec_b32 s13, s4
	s_cbranch_execz .LBB220_835
; %bb.830:                              ;   in Loop: Header=BB220_668 Depth=1
	v_mov_b32_e32 v11, v7
	v_bfe_u32 v14, v13, 24, 7
	s_mov_b32 s15, exec_lo
	v_mov_b32_e32 v10, v11
	v_mov_b32_e32 v11, v12
	v_cmpx_ne_u32_e32 0x7f, v14
	s_cbranch_execz .LBB220_834
; %bb.831:                              ;   in Loop: Header=BB220_668 Depth=1
	v_mov_b32_e32 v6, 7
	v_lshrrev_b32_e32 v8, 3, v14
	s_mov_b32 s18, exec_lo
	v_and_b32_sdwa v6, v13, v6 dst_sel:DWORD dst_unused:UNUSED_PAD src0_sel:BYTE_3 src1_sel:DWORD
	v_cmpx_gt_u32_e32 8, v14
; %bb.832:                              ;   in Loop: Header=BB220_668 Depth=1
	v_ffbh_u32_e32 v8, v6
	v_min_u32_e32 v8, 32, v8
	v_subrev_nc_u32_e32 v10, 28, v8
	v_sub_nc_u32_e32 v8, 29, v8
	v_lshlrev_b64 v[10:11], v10, v[6:7]
	v_and_b32_e32 v6, 7, v10
; %bb.833:                              ;   in Loop: Header=BB220_668 Depth=1
	s_or_b32 exec_lo, exec_lo, s18
	v_mov_b32_e32 v10, 24
	v_lshlrev_b32_e32 v6, 20, v6
	v_lshl_add_u32 v8, v8, 23, 0x3c000000
	v_lshlrev_b32_sdwa v10, v10, v13 dst_sel:DWORD dst_unused:UNUSED_PAD src0_sel:DWORD src1_sel:BYTE_3
	v_and_b32_e32 v10, 0x80000000, v10
	v_or3_b32 v11, v6, v10, v8
	v_mov_b32_e32 v10, v7
.LBB220_834:                            ;   in Loop: Header=BB220_668 Depth=1
	s_or_b32 exec_lo, exec_lo, s15
.LBB220_835:                            ;   in Loop: Header=BB220_668 Depth=1
	s_or_b32 exec_lo, exec_lo, s13
.LBB220_836:                            ;   in Loop: Header=BB220_668 Depth=1
	s_or_b32 exec_lo, exec_lo, s7
	v_or_b32_e32 v6, v20, v18
	v_or_b32_e32 v8, v19, v17
	;; [unrolled: 1-line block ×4, first 2 shown]
	v_mul_f32_e32 v40, v81, v6
	v_mul_f32_e32 v119, v65, v8
	v_mul_f32_e32 v118, v65, v10
	v_mul_f32_e32 v117, v81, v11
	s_and_saveexec_b32 s7, vcc_lo
	s_cbranch_execz .LBB220_838
; %bb.837:                              ;   in Loop: Header=BB220_668 Depth=1
	v_cmp_lt_i32_e64 s4, v98, v28
	v_cndmask_b32_e64 v119, 0, v119, s4
	v_cmp_lt_i32_e64 s4, v100, v28
	v_cndmask_b32_e64 v40, 0, v40, s4
	;; [unrolled: 2-line block ×4, first 2 shown]
.LBB220_838:                            ;   in Loop: Header=BB220_668 Depth=1
	s_or_b32 exec_lo, exec_lo, s7
	flat_load_dword v13, v[0:1] offset:640
	v_mov_b32_e32 v19, 0
	v_mov_b32_e32 v17, 0
	;; [unrolled: 1-line block ×4, first 2 shown]
	s_waitcnt vmcnt(0) lgkmcnt(0)
	v_cmp_ne_u16_sdwa s4, v13, v7 src0_sel:BYTE_0 src1_sel:DWORD
	s_and_saveexec_b32 s7, s4
	s_cbranch_execz .LBB220_846
; %bb.839:                              ;   in Loop: Header=BB220_668 Depth=1
	v_bfrev_b32_e32 v17, 1
	v_mov_b32_e32 v18, 0
	v_cmp_ne_u16_sdwa s4, v13, v66 src0_sel:BYTE_0 src1_sel:DWORD
	s_and_saveexec_b32 s13, s4
	s_cbranch_execz .LBB220_845
; %bb.840:                              ;   in Loop: Header=BB220_668 Depth=1
	v_mov_b32_e32 v17, 0x7f800001
	v_and_b32_e32 v10, 0x7f, v13
	v_mov_b32_e32 v18, 0
	s_mov_b32 s15, exec_lo
	v_cmpx_ne_u32_e32 0x7f, v10
	s_cbranch_execz .LBB220_844
; %bb.841:                              ;   in Loop: Header=BB220_668 Depth=1
	v_and_b32_e32 v6, 7, v13
	v_lshrrev_b32_e32 v8, 3, v10
	s_mov_b32 s18, exec_lo
	v_cmpx_gt_u32_e32 8, v10
; %bb.842:                              ;   in Loop: Header=BB220_668 Depth=1
	v_ffbh_u32_e32 v8, v6
	v_min_u32_e32 v8, 32, v8
	v_subrev_nc_u32_e32 v10, 28, v8
	v_sub_nc_u32_e32 v8, 29, v8
	v_lshlrev_b64 v[10:11], v10, v[6:7]
	v_and_b32_e32 v6, 7, v10
; %bb.843:                              ;   in Loop: Header=BB220_668 Depth=1
	s_or_b32 exec_lo, exec_lo, s18
	v_lshlrev_b32_e32 v10, 24, v13
	v_lshlrev_b32_e32 v6, 20, v6
	v_lshl_add_u32 v8, v8, 23, 0x3c000000
	v_and_b32_e32 v10, 0x80000000, v10
	v_or3_b32 v6, v6, v10, v8
	v_mov_b32_e32 v18, v7
	v_mov_b32_e32 v17, v6
.LBB220_844:                            ;   in Loop: Header=BB220_668 Depth=1
	s_or_b32 exec_lo, exec_lo, s15
.LBB220_845:                            ;   in Loop: Header=BB220_668 Depth=1
	s_or_b32 exec_lo, exec_lo, s13
.LBB220_846:                            ;   in Loop: Header=BB220_668 Depth=1
	s_or_b32 exec_lo, exec_lo, s7
	v_cmp_ne_u16_sdwa s4, v13, v7 src0_sel:BYTE_1 src1_sel:DWORD
	s_and_saveexec_b32 s7, s4
	s_cbranch_execz .LBB220_854
; %bb.847:                              ;   in Loop: Header=BB220_668 Depth=1
	v_mov_b32_e32 v8, v7
	v_mov_b32_e32 v20, v9
	v_cmp_ne_u16_sdwa s4, v13, v66 src0_sel:BYTE_1 src1_sel:DWORD
	v_mov_b32_e32 v19, v8
	s_and_saveexec_b32 s13, s4
	s_cbranch_execz .LBB220_853
; %bb.848:                              ;   in Loop: Header=BB220_668 Depth=1
	v_and_b32_sdwa v6, v70, v13 dst_sel:DWORD dst_unused:UNUSED_PAD src0_sel:DWORD src1_sel:BYTE_1
	v_mov_b32_e32 v11, v7
	v_mov_b32_e32 v20, v12
	s_mov_b32 s15, exec_lo
	v_and_b32_e32 v10, 0x7f, v6
	v_mov_b32_e32 v19, v11
	v_cmpx_ne_u32_e32 0x7f, v10
	s_cbranch_execz .LBB220_852
; %bb.849:                              ;   in Loop: Header=BB220_668 Depth=1
	v_and_b32_e32 v6, 7, v6
	v_lshrrev_b32_e32 v8, 3, v10
	s_mov_b32 s18, exec_lo
	v_cmpx_gt_u32_e32 8, v10
; %bb.850:                              ;   in Loop: Header=BB220_668 Depth=1
	v_ffbh_u32_e32 v8, v6
	v_min_u32_e32 v8, 32, v8
	v_subrev_nc_u32_e32 v10, 28, v8
	v_sub_nc_u32_e32 v8, 29, v8
	v_lshlrev_b64 v[10:11], v10, v[6:7]
	v_and_b32_e32 v6, 7, v10
; %bb.851:                              ;   in Loop: Header=BB220_668 Depth=1
	s_or_b32 exec_lo, exec_lo, s18
	v_lshlrev_b32_e32 v10, 16, v13
	v_lshlrev_b32_e32 v6, 20, v6
	v_lshl_add_u32 v8, v8, 23, 0x3c000000
	v_mov_b32_e32 v19, v7
	v_and_b32_e32 v10, 0x80000000, v10
	v_or3_b32 v20, v6, v10, v8
.LBB220_852:                            ;   in Loop: Header=BB220_668 Depth=1
	s_or_b32 exec_lo, exec_lo, s15
.LBB220_853:                            ;   in Loop: Header=BB220_668 Depth=1
	s_or_b32 exec_lo, exec_lo, s13
.LBB220_854:                            ;   in Loop: Header=BB220_668 Depth=1
	s_or_b32 exec_lo, exec_lo, s7
	v_mov_b32_e32 v10, 0
	v_mov_b32_e32 v21, 0
	v_and_b32_sdwa v6, v13, v68 dst_sel:DWORD dst_unused:UNUSED_PAD src0_sel:WORD_1 src1_sel:DWORD
	v_mov_b32_e32 v11, 0
	v_mov_b32_e32 v22, 0
	s_mov_b32 s7, exec_lo
	v_cmpx_ne_u16_e32 0, v6
	s_cbranch_execz .LBB220_862
; %bb.855:                              ;   in Loop: Header=BB220_668 Depth=1
	v_bfrev_b32_e32 v21, 1
	v_mov_b32_e32 v22, 0
	s_mov_b32 s13, exec_lo
	v_cmpx_ne_u16_e32 0x80, v6
	s_cbranch_execz .LBB220_861
; %bb.856:                              ;   in Loop: Header=BB220_668 Depth=1
	v_mov_b32_e32 v21, 0x7f800001
	v_bfe_u32 v14, v13, 16, 7
	v_mov_b32_e32 v22, 0
	s_mov_b32 s15, exec_lo
	v_cmpx_ne_u32_e32 0x7f, v14
	s_cbranch_execz .LBB220_860
; %bb.857:                              ;   in Loop: Header=BB220_668 Depth=1
	v_mov_b32_e32 v6, 7
	v_lshrrev_b32_e32 v8, 3, v14
	s_mov_b32 s18, exec_lo
	v_and_b32_sdwa v6, v13, v6 dst_sel:DWORD dst_unused:UNUSED_PAD src0_sel:WORD_1 src1_sel:DWORD
	v_cmpx_gt_u32_e32 8, v14
; %bb.858:                              ;   in Loop: Header=BB220_668 Depth=1
	v_ffbh_u32_e32 v8, v6
	v_min_u32_e32 v8, 32, v8
	v_subrev_nc_u32_e32 v14, 28, v8
	v_sub_nc_u32_e32 v8, 29, v8
	v_lshlrev_b64 v[21:22], v14, v[6:7]
	v_and_b32_e32 v6, 7, v21
; %bb.859:                              ;   in Loop: Header=BB220_668 Depth=1
	s_or_b32 exec_lo, exec_lo, s18
	v_mov_b32_e32 v14, 24
	v_lshlrev_b32_e32 v6, 20, v6
	v_lshl_add_u32 v8, v8, 23, 0x3c000000
	v_lshlrev_b32_sdwa v14, v14, v13 dst_sel:DWORD dst_unused:UNUSED_PAD src0_sel:DWORD src1_sel:WORD_1
	v_and_b32_e32 v14, 0x80000000, v14
	v_or3_b32 v6, v6, v14, v8
	v_mov_b32_e32 v22, v7
	v_mov_b32_e32 v21, v6
.LBB220_860:                            ;   in Loop: Header=BB220_668 Depth=1
	s_or_b32 exec_lo, exec_lo, s15
.LBB220_861:                            ;   in Loop: Header=BB220_668 Depth=1
	s_or_b32 exec_lo, exec_lo, s13
.LBB220_862:                            ;   in Loop: Header=BB220_668 Depth=1
	s_or_b32 exec_lo, exec_lo, s7
	s_mov_b32 s7, exec_lo
	v_cmpx_lt_u32_e32 0xffffff, v13
	s_cbranch_execz .LBB220_870
; %bb.863:                              ;   in Loop: Header=BB220_668 Depth=1
	v_mov_b32_e32 v8, v7
	v_mov_b32_e32 v11, v9
	v_cmp_ne_u32_sdwa s4, v13, v66 src0_sel:BYTE_3 src1_sel:DWORD
	v_mov_b32_e32 v10, v8
	s_and_saveexec_b32 s13, s4
	s_cbranch_execz .LBB220_869
; %bb.864:                              ;   in Loop: Header=BB220_668 Depth=1
	v_mov_b32_e32 v11, v7
	v_bfe_u32 v14, v13, 24, 7
	s_mov_b32 s15, exec_lo
	v_mov_b32_e32 v10, v11
	v_mov_b32_e32 v11, v12
	v_cmpx_ne_u32_e32 0x7f, v14
	s_cbranch_execz .LBB220_868
; %bb.865:                              ;   in Loop: Header=BB220_668 Depth=1
	v_mov_b32_e32 v6, 7
	v_lshrrev_b32_e32 v8, 3, v14
	s_mov_b32 s18, exec_lo
	v_and_b32_sdwa v6, v13, v6 dst_sel:DWORD dst_unused:UNUSED_PAD src0_sel:BYTE_3 src1_sel:DWORD
	v_cmpx_gt_u32_e32 8, v14
; %bb.866:                              ;   in Loop: Header=BB220_668 Depth=1
	v_ffbh_u32_e32 v8, v6
	v_min_u32_e32 v8, 32, v8
	v_subrev_nc_u32_e32 v10, 28, v8
	v_sub_nc_u32_e32 v8, 29, v8
	v_lshlrev_b64 v[10:11], v10, v[6:7]
	v_and_b32_e32 v6, 7, v10
; %bb.867:                              ;   in Loop: Header=BB220_668 Depth=1
	s_or_b32 exec_lo, exec_lo, s18
	v_mov_b32_e32 v10, 24
	v_lshlrev_b32_e32 v6, 20, v6
	v_lshl_add_u32 v8, v8, 23, 0x3c000000
	v_lshlrev_b32_sdwa v10, v10, v13 dst_sel:DWORD dst_unused:UNUSED_PAD src0_sel:DWORD src1_sel:BYTE_3
	v_and_b32_e32 v10, 0x80000000, v10
	v_or3_b32 v11, v6, v10, v8
	v_mov_b32_e32 v10, v7
.LBB220_868:                            ;   in Loop: Header=BB220_668 Depth=1
	s_or_b32 exec_lo, exec_lo, s15
.LBB220_869:                            ;   in Loop: Header=BB220_668 Depth=1
	s_or_b32 exec_lo, exec_lo, s13
.LBB220_870:                            ;   in Loop: Header=BB220_668 Depth=1
	s_or_b32 exec_lo, exec_lo, s7
	v_or_b32_e32 v6, v20, v18
	v_or_b32_e32 v8, v19, v17
	;; [unrolled: 1-line block ×4, first 2 shown]
	v_mul_f32_e32 v43, v81, v6
	v_mul_f32_e32 v44, v65, v8
	;; [unrolled: 1-line block ×4, first 2 shown]
	s_and_saveexec_b32 s7, vcc_lo
	s_cbranch_execz .LBB220_872
; %bb.871:                              ;   in Loop: Header=BB220_668 Depth=1
	v_cmp_lt_i32_e64 s4, v98, v28
	v_cndmask_b32_e64 v44, 0, v44, s4
	v_cmp_lt_i32_e64 s4, v100, v28
	v_cndmask_b32_e64 v43, 0, v43, s4
	;; [unrolled: 2-line block ×4, first 2 shown]
.LBB220_872:                            ;   in Loop: Header=BB220_668 Depth=1
	s_or_b32 exec_lo, exec_lo, s7
	flat_load_dword v13, v[0:1] offset:768
	v_mov_b32_e32 v19, 0
	v_mov_b32_e32 v17, 0
	;; [unrolled: 1-line block ×4, first 2 shown]
	s_waitcnt vmcnt(0) lgkmcnt(0)
	v_cmp_ne_u16_sdwa s4, v13, v7 src0_sel:BYTE_0 src1_sel:DWORD
	s_and_saveexec_b32 s7, s4
	s_cbranch_execz .LBB220_880
; %bb.873:                              ;   in Loop: Header=BB220_668 Depth=1
	v_bfrev_b32_e32 v17, 1
	v_mov_b32_e32 v18, 0
	v_cmp_ne_u16_sdwa s4, v13, v66 src0_sel:BYTE_0 src1_sel:DWORD
	s_and_saveexec_b32 s13, s4
	s_cbranch_execz .LBB220_879
; %bb.874:                              ;   in Loop: Header=BB220_668 Depth=1
	v_mov_b32_e32 v17, 0x7f800001
	v_and_b32_e32 v10, 0x7f, v13
	v_mov_b32_e32 v18, 0
	s_mov_b32 s15, exec_lo
	v_cmpx_ne_u32_e32 0x7f, v10
	s_cbranch_execz .LBB220_878
; %bb.875:                              ;   in Loop: Header=BB220_668 Depth=1
	v_and_b32_e32 v6, 7, v13
	v_lshrrev_b32_e32 v8, 3, v10
	s_mov_b32 s18, exec_lo
	v_cmpx_gt_u32_e32 8, v10
; %bb.876:                              ;   in Loop: Header=BB220_668 Depth=1
	v_ffbh_u32_e32 v8, v6
	v_min_u32_e32 v8, 32, v8
	v_subrev_nc_u32_e32 v10, 28, v8
	v_sub_nc_u32_e32 v8, 29, v8
	v_lshlrev_b64 v[10:11], v10, v[6:7]
	v_and_b32_e32 v6, 7, v10
; %bb.877:                              ;   in Loop: Header=BB220_668 Depth=1
	s_or_b32 exec_lo, exec_lo, s18
	v_lshlrev_b32_e32 v10, 24, v13
	v_lshlrev_b32_e32 v6, 20, v6
	v_lshl_add_u32 v8, v8, 23, 0x3c000000
	v_and_b32_e32 v10, 0x80000000, v10
	v_or3_b32 v6, v6, v10, v8
	v_mov_b32_e32 v18, v7
	v_mov_b32_e32 v17, v6
.LBB220_878:                            ;   in Loop: Header=BB220_668 Depth=1
	s_or_b32 exec_lo, exec_lo, s15
.LBB220_879:                            ;   in Loop: Header=BB220_668 Depth=1
	s_or_b32 exec_lo, exec_lo, s13
.LBB220_880:                            ;   in Loop: Header=BB220_668 Depth=1
	s_or_b32 exec_lo, exec_lo, s7
	v_cmp_ne_u16_sdwa s4, v13, v7 src0_sel:BYTE_1 src1_sel:DWORD
	s_and_saveexec_b32 s7, s4
	s_cbranch_execz .LBB220_888
; %bb.881:                              ;   in Loop: Header=BB220_668 Depth=1
	v_mov_b32_e32 v8, v7
	v_mov_b32_e32 v20, v9
	v_cmp_ne_u16_sdwa s4, v13, v66 src0_sel:BYTE_1 src1_sel:DWORD
	v_mov_b32_e32 v19, v8
	s_and_saveexec_b32 s13, s4
	s_cbranch_execz .LBB220_887
; %bb.882:                              ;   in Loop: Header=BB220_668 Depth=1
	v_and_b32_sdwa v6, v70, v13 dst_sel:DWORD dst_unused:UNUSED_PAD src0_sel:DWORD src1_sel:BYTE_1
	v_mov_b32_e32 v11, v7
	v_mov_b32_e32 v20, v12
	s_mov_b32 s15, exec_lo
	v_and_b32_e32 v10, 0x7f, v6
	v_mov_b32_e32 v19, v11
	v_cmpx_ne_u32_e32 0x7f, v10
	s_cbranch_execz .LBB220_886
; %bb.883:                              ;   in Loop: Header=BB220_668 Depth=1
	v_and_b32_e32 v6, 7, v6
	v_lshrrev_b32_e32 v8, 3, v10
	s_mov_b32 s18, exec_lo
	v_cmpx_gt_u32_e32 8, v10
; %bb.884:                              ;   in Loop: Header=BB220_668 Depth=1
	v_ffbh_u32_e32 v8, v6
	v_min_u32_e32 v8, 32, v8
	v_subrev_nc_u32_e32 v10, 28, v8
	v_sub_nc_u32_e32 v8, 29, v8
	v_lshlrev_b64 v[10:11], v10, v[6:7]
	v_and_b32_e32 v6, 7, v10
; %bb.885:                              ;   in Loop: Header=BB220_668 Depth=1
	s_or_b32 exec_lo, exec_lo, s18
	v_lshlrev_b32_e32 v10, 16, v13
	v_lshlrev_b32_e32 v6, 20, v6
	v_lshl_add_u32 v8, v8, 23, 0x3c000000
	v_mov_b32_e32 v19, v7
	v_and_b32_e32 v10, 0x80000000, v10
	v_or3_b32 v20, v6, v10, v8
.LBB220_886:                            ;   in Loop: Header=BB220_668 Depth=1
	s_or_b32 exec_lo, exec_lo, s15
.LBB220_887:                            ;   in Loop: Header=BB220_668 Depth=1
	s_or_b32 exec_lo, exec_lo, s13
.LBB220_888:                            ;   in Loop: Header=BB220_668 Depth=1
	s_or_b32 exec_lo, exec_lo, s7
	v_mov_b32_e32 v10, 0
	v_mov_b32_e32 v21, 0
	v_and_b32_sdwa v6, v13, v68 dst_sel:DWORD dst_unused:UNUSED_PAD src0_sel:WORD_1 src1_sel:DWORD
	v_mov_b32_e32 v11, 0
	v_mov_b32_e32 v22, 0
	s_mov_b32 s7, exec_lo
	v_cmpx_ne_u16_e32 0, v6
	s_cbranch_execz .LBB220_896
; %bb.889:                              ;   in Loop: Header=BB220_668 Depth=1
	v_bfrev_b32_e32 v21, 1
	v_mov_b32_e32 v22, 0
	s_mov_b32 s13, exec_lo
	v_cmpx_ne_u16_e32 0x80, v6
	s_cbranch_execz .LBB220_895
; %bb.890:                              ;   in Loop: Header=BB220_668 Depth=1
	v_mov_b32_e32 v21, 0x7f800001
	v_bfe_u32 v14, v13, 16, 7
	v_mov_b32_e32 v22, 0
	s_mov_b32 s15, exec_lo
	v_cmpx_ne_u32_e32 0x7f, v14
	s_cbranch_execz .LBB220_894
; %bb.891:                              ;   in Loop: Header=BB220_668 Depth=1
	v_mov_b32_e32 v6, 7
	v_lshrrev_b32_e32 v8, 3, v14
	s_mov_b32 s18, exec_lo
	v_and_b32_sdwa v6, v13, v6 dst_sel:DWORD dst_unused:UNUSED_PAD src0_sel:WORD_1 src1_sel:DWORD
	v_cmpx_gt_u32_e32 8, v14
; %bb.892:                              ;   in Loop: Header=BB220_668 Depth=1
	v_ffbh_u32_e32 v8, v6
	v_min_u32_e32 v8, 32, v8
	v_subrev_nc_u32_e32 v14, 28, v8
	v_sub_nc_u32_e32 v8, 29, v8
	v_lshlrev_b64 v[21:22], v14, v[6:7]
	v_and_b32_e32 v6, 7, v21
; %bb.893:                              ;   in Loop: Header=BB220_668 Depth=1
	s_or_b32 exec_lo, exec_lo, s18
	v_mov_b32_e32 v14, 24
	v_lshlrev_b32_e32 v6, 20, v6
	v_lshl_add_u32 v8, v8, 23, 0x3c000000
	v_lshlrev_b32_sdwa v14, v14, v13 dst_sel:DWORD dst_unused:UNUSED_PAD src0_sel:DWORD src1_sel:WORD_1
	v_and_b32_e32 v14, 0x80000000, v14
	v_or3_b32 v6, v6, v14, v8
	v_mov_b32_e32 v22, v7
	v_mov_b32_e32 v21, v6
.LBB220_894:                            ;   in Loop: Header=BB220_668 Depth=1
	s_or_b32 exec_lo, exec_lo, s15
.LBB220_895:                            ;   in Loop: Header=BB220_668 Depth=1
	s_or_b32 exec_lo, exec_lo, s13
.LBB220_896:                            ;   in Loop: Header=BB220_668 Depth=1
	s_or_b32 exec_lo, exec_lo, s7
	s_mov_b32 s7, exec_lo
	v_cmpx_lt_u32_e32 0xffffff, v13
	s_cbranch_execz .LBB220_904
; %bb.897:                              ;   in Loop: Header=BB220_668 Depth=1
	v_mov_b32_e32 v8, v7
	v_mov_b32_e32 v11, v9
	v_cmp_ne_u32_sdwa s4, v13, v66 src0_sel:BYTE_3 src1_sel:DWORD
	v_mov_b32_e32 v10, v8
	s_and_saveexec_b32 s13, s4
	s_cbranch_execz .LBB220_903
; %bb.898:                              ;   in Loop: Header=BB220_668 Depth=1
	v_mov_b32_e32 v11, v7
	v_bfe_u32 v14, v13, 24, 7
	s_mov_b32 s15, exec_lo
	v_mov_b32_e32 v10, v11
	v_mov_b32_e32 v11, v12
	v_cmpx_ne_u32_e32 0x7f, v14
	s_cbranch_execz .LBB220_902
; %bb.899:                              ;   in Loop: Header=BB220_668 Depth=1
	v_mov_b32_e32 v6, 7
	v_lshrrev_b32_e32 v8, 3, v14
	s_mov_b32 s18, exec_lo
	v_and_b32_sdwa v6, v13, v6 dst_sel:DWORD dst_unused:UNUSED_PAD src0_sel:BYTE_3 src1_sel:DWORD
	v_cmpx_gt_u32_e32 8, v14
; %bb.900:                              ;   in Loop: Header=BB220_668 Depth=1
	v_ffbh_u32_e32 v8, v6
	v_min_u32_e32 v8, 32, v8
	v_subrev_nc_u32_e32 v10, 28, v8
	v_sub_nc_u32_e32 v8, 29, v8
	v_lshlrev_b64 v[10:11], v10, v[6:7]
	v_and_b32_e32 v6, 7, v10
; %bb.901:                              ;   in Loop: Header=BB220_668 Depth=1
	s_or_b32 exec_lo, exec_lo, s18
	v_mov_b32_e32 v10, 24
	v_lshlrev_b32_e32 v6, 20, v6
	v_lshl_add_u32 v8, v8, 23, 0x3c000000
	v_lshlrev_b32_sdwa v10, v10, v13 dst_sel:DWORD dst_unused:UNUSED_PAD src0_sel:DWORD src1_sel:BYTE_3
	v_and_b32_e32 v10, 0x80000000, v10
	v_or3_b32 v11, v6, v10, v8
	v_mov_b32_e32 v10, v7
.LBB220_902:                            ;   in Loop: Header=BB220_668 Depth=1
	s_or_b32 exec_lo, exec_lo, s15
.LBB220_903:                            ;   in Loop: Header=BB220_668 Depth=1
	s_or_b32 exec_lo, exec_lo, s13
.LBB220_904:                            ;   in Loop: Header=BB220_668 Depth=1
	s_or_b32 exec_lo, exec_lo, s7
	v_or_b32_e32 v6, v20, v18
	v_or_b32_e32 v8, v19, v17
	;; [unrolled: 1-line block ×4, first 2 shown]
	v_mul_f32_e32 v47, v81, v6
	v_mul_f32_e32 v56, v65, v8
	;; [unrolled: 1-line block ×4, first 2 shown]
	s_and_saveexec_b32 s7, vcc_lo
	s_cbranch_execz .LBB220_906
; %bb.905:                              ;   in Loop: Header=BB220_668 Depth=1
	v_cmp_lt_i32_e64 s4, v98, v28
	v_cndmask_b32_e64 v56, 0, v56, s4
	v_cmp_lt_i32_e64 s4, v100, v28
	v_cndmask_b32_e64 v47, 0, v47, s4
	;; [unrolled: 2-line block ×4, first 2 shown]
.LBB220_906:                            ;   in Loop: Header=BB220_668 Depth=1
	s_or_b32 exec_lo, exec_lo, s7
	flat_load_dword v13, v[0:1] offset:896
	v_mov_b32_e32 v19, 0
	v_mov_b32_e32 v17, 0
	;; [unrolled: 1-line block ×4, first 2 shown]
	s_waitcnt vmcnt(0) lgkmcnt(0)
	v_cmp_ne_u16_sdwa s4, v13, v7 src0_sel:BYTE_0 src1_sel:DWORD
	s_and_saveexec_b32 s7, s4
	s_cbranch_execz .LBB220_914
; %bb.907:                              ;   in Loop: Header=BB220_668 Depth=1
	v_bfrev_b32_e32 v17, 1
	v_mov_b32_e32 v18, 0
	v_cmp_ne_u16_sdwa s4, v13, v66 src0_sel:BYTE_0 src1_sel:DWORD
	s_and_saveexec_b32 s13, s4
	s_cbranch_execz .LBB220_913
; %bb.908:                              ;   in Loop: Header=BB220_668 Depth=1
	v_mov_b32_e32 v17, 0x7f800001
	v_and_b32_e32 v10, 0x7f, v13
	v_mov_b32_e32 v18, 0
	s_mov_b32 s15, exec_lo
	v_cmpx_ne_u32_e32 0x7f, v10
	s_cbranch_execz .LBB220_912
; %bb.909:                              ;   in Loop: Header=BB220_668 Depth=1
	v_and_b32_e32 v6, 7, v13
	v_lshrrev_b32_e32 v8, 3, v10
	s_mov_b32 s18, exec_lo
	v_cmpx_gt_u32_e32 8, v10
; %bb.910:                              ;   in Loop: Header=BB220_668 Depth=1
	v_ffbh_u32_e32 v8, v6
	v_min_u32_e32 v8, 32, v8
	v_subrev_nc_u32_e32 v10, 28, v8
	v_sub_nc_u32_e32 v8, 29, v8
	v_lshlrev_b64 v[10:11], v10, v[6:7]
	v_and_b32_e32 v6, 7, v10
; %bb.911:                              ;   in Loop: Header=BB220_668 Depth=1
	s_or_b32 exec_lo, exec_lo, s18
	v_lshlrev_b32_e32 v10, 24, v13
	v_lshlrev_b32_e32 v6, 20, v6
	v_lshl_add_u32 v8, v8, 23, 0x3c000000
	v_and_b32_e32 v10, 0x80000000, v10
	v_or3_b32 v6, v6, v10, v8
	v_mov_b32_e32 v18, v7
	v_mov_b32_e32 v17, v6
.LBB220_912:                            ;   in Loop: Header=BB220_668 Depth=1
	s_or_b32 exec_lo, exec_lo, s15
.LBB220_913:                            ;   in Loop: Header=BB220_668 Depth=1
	s_or_b32 exec_lo, exec_lo, s13
.LBB220_914:                            ;   in Loop: Header=BB220_668 Depth=1
	s_or_b32 exec_lo, exec_lo, s7
	v_cmp_ne_u16_sdwa s4, v13, v7 src0_sel:BYTE_1 src1_sel:DWORD
	s_and_saveexec_b32 s7, s4
	s_cbranch_execz .LBB220_922
; %bb.915:                              ;   in Loop: Header=BB220_668 Depth=1
	v_mov_b32_e32 v8, v7
	v_mov_b32_e32 v20, v9
	v_cmp_ne_u16_sdwa s4, v13, v66 src0_sel:BYTE_1 src1_sel:DWORD
	v_mov_b32_e32 v19, v8
	s_and_saveexec_b32 s13, s4
	s_cbranch_execz .LBB220_921
; %bb.916:                              ;   in Loop: Header=BB220_668 Depth=1
	v_and_b32_sdwa v6, v70, v13 dst_sel:DWORD dst_unused:UNUSED_PAD src0_sel:DWORD src1_sel:BYTE_1
	v_mov_b32_e32 v11, v7
	v_mov_b32_e32 v20, v12
	s_mov_b32 s15, exec_lo
	v_and_b32_e32 v10, 0x7f, v6
	v_mov_b32_e32 v19, v11
	v_cmpx_ne_u32_e32 0x7f, v10
	s_cbranch_execz .LBB220_920
; %bb.917:                              ;   in Loop: Header=BB220_668 Depth=1
	v_and_b32_e32 v6, 7, v6
	v_lshrrev_b32_e32 v8, 3, v10
	s_mov_b32 s18, exec_lo
	v_cmpx_gt_u32_e32 8, v10
; %bb.918:                              ;   in Loop: Header=BB220_668 Depth=1
	v_ffbh_u32_e32 v8, v6
	v_min_u32_e32 v8, 32, v8
	v_subrev_nc_u32_e32 v10, 28, v8
	v_sub_nc_u32_e32 v8, 29, v8
	v_lshlrev_b64 v[10:11], v10, v[6:7]
	v_and_b32_e32 v6, 7, v10
; %bb.919:                              ;   in Loop: Header=BB220_668 Depth=1
	s_or_b32 exec_lo, exec_lo, s18
	v_lshlrev_b32_e32 v10, 16, v13
	v_lshlrev_b32_e32 v6, 20, v6
	v_lshl_add_u32 v8, v8, 23, 0x3c000000
	v_mov_b32_e32 v19, v7
	v_and_b32_e32 v10, 0x80000000, v10
	v_or3_b32 v20, v6, v10, v8
.LBB220_920:                            ;   in Loop: Header=BB220_668 Depth=1
	s_or_b32 exec_lo, exec_lo, s15
.LBB220_921:                            ;   in Loop: Header=BB220_668 Depth=1
	s_or_b32 exec_lo, exec_lo, s13
.LBB220_922:                            ;   in Loop: Header=BB220_668 Depth=1
	s_or_b32 exec_lo, exec_lo, s7
	v_mov_b32_e32 v10, 0
	v_mov_b32_e32 v21, 0
	v_and_b32_sdwa v6, v13, v68 dst_sel:DWORD dst_unused:UNUSED_PAD src0_sel:WORD_1 src1_sel:DWORD
	v_mov_b32_e32 v11, 0
	v_mov_b32_e32 v22, 0
	s_mov_b32 s7, exec_lo
	v_cmpx_ne_u16_e32 0, v6
	s_cbranch_execz .LBB220_930
; %bb.923:                              ;   in Loop: Header=BB220_668 Depth=1
	v_bfrev_b32_e32 v21, 1
	v_mov_b32_e32 v22, 0
	s_mov_b32 s13, exec_lo
	v_cmpx_ne_u16_e32 0x80, v6
	s_cbranch_execz .LBB220_929
; %bb.924:                              ;   in Loop: Header=BB220_668 Depth=1
	v_mov_b32_e32 v21, 0x7f800001
	v_bfe_u32 v14, v13, 16, 7
	v_mov_b32_e32 v22, 0
	s_mov_b32 s15, exec_lo
	v_cmpx_ne_u32_e32 0x7f, v14
	s_cbranch_execz .LBB220_928
; %bb.925:                              ;   in Loop: Header=BB220_668 Depth=1
	v_mov_b32_e32 v6, 7
	v_lshrrev_b32_e32 v8, 3, v14
	s_mov_b32 s18, exec_lo
	v_and_b32_sdwa v6, v13, v6 dst_sel:DWORD dst_unused:UNUSED_PAD src0_sel:WORD_1 src1_sel:DWORD
	v_cmpx_gt_u32_e32 8, v14
; %bb.926:                              ;   in Loop: Header=BB220_668 Depth=1
	v_ffbh_u32_e32 v8, v6
	v_min_u32_e32 v8, 32, v8
	v_subrev_nc_u32_e32 v14, 28, v8
	v_sub_nc_u32_e32 v8, 29, v8
	v_lshlrev_b64 v[21:22], v14, v[6:7]
	v_and_b32_e32 v6, 7, v21
; %bb.927:                              ;   in Loop: Header=BB220_668 Depth=1
	s_or_b32 exec_lo, exec_lo, s18
	v_mov_b32_e32 v14, 24
	v_lshlrev_b32_e32 v6, 20, v6
	v_lshl_add_u32 v8, v8, 23, 0x3c000000
	v_lshlrev_b32_sdwa v14, v14, v13 dst_sel:DWORD dst_unused:UNUSED_PAD src0_sel:DWORD src1_sel:WORD_1
	v_and_b32_e32 v14, 0x80000000, v14
	v_or3_b32 v6, v6, v14, v8
	v_mov_b32_e32 v22, v7
	v_mov_b32_e32 v21, v6
.LBB220_928:                            ;   in Loop: Header=BB220_668 Depth=1
	s_or_b32 exec_lo, exec_lo, s15
.LBB220_929:                            ;   in Loop: Header=BB220_668 Depth=1
	s_or_b32 exec_lo, exec_lo, s13
.LBB220_930:                            ;   in Loop: Header=BB220_668 Depth=1
	s_or_b32 exec_lo, exec_lo, s7
	s_mov_b32 s7, exec_lo
	v_cmpx_lt_u32_e32 0xffffff, v13
	s_cbranch_execz .LBB220_938
; %bb.931:                              ;   in Loop: Header=BB220_668 Depth=1
	v_mov_b32_e32 v8, v7
	v_mov_b32_e32 v11, v9
	v_cmp_ne_u32_sdwa s4, v13, v66 src0_sel:BYTE_3 src1_sel:DWORD
	v_mov_b32_e32 v10, v8
	s_and_saveexec_b32 s13, s4
	s_cbranch_execz .LBB220_937
; %bb.932:                              ;   in Loop: Header=BB220_668 Depth=1
	v_mov_b32_e32 v11, v7
	v_bfe_u32 v14, v13, 24, 7
	s_mov_b32 s15, exec_lo
	v_mov_b32_e32 v10, v11
	v_mov_b32_e32 v11, v12
	v_cmpx_ne_u32_e32 0x7f, v14
	s_cbranch_execz .LBB220_936
; %bb.933:                              ;   in Loop: Header=BB220_668 Depth=1
	v_mov_b32_e32 v6, 7
	v_lshrrev_b32_e32 v8, 3, v14
	s_mov_b32 s18, exec_lo
	v_and_b32_sdwa v6, v13, v6 dst_sel:DWORD dst_unused:UNUSED_PAD src0_sel:BYTE_3 src1_sel:DWORD
	v_cmpx_gt_u32_e32 8, v14
; %bb.934:                              ;   in Loop: Header=BB220_668 Depth=1
	v_ffbh_u32_e32 v8, v6
	v_min_u32_e32 v8, 32, v8
	v_subrev_nc_u32_e32 v10, 28, v8
	v_sub_nc_u32_e32 v8, 29, v8
	v_lshlrev_b64 v[10:11], v10, v[6:7]
	v_and_b32_e32 v6, 7, v10
; %bb.935:                              ;   in Loop: Header=BB220_668 Depth=1
	s_or_b32 exec_lo, exec_lo, s18
	v_mov_b32_e32 v10, 24
	v_lshlrev_b32_e32 v6, 20, v6
	v_lshl_add_u32 v8, v8, 23, 0x3c000000
	v_lshlrev_b32_sdwa v10, v10, v13 dst_sel:DWORD dst_unused:UNUSED_PAD src0_sel:DWORD src1_sel:BYTE_3
	v_and_b32_e32 v10, 0x80000000, v10
	v_or3_b32 v11, v6, v10, v8
	v_mov_b32_e32 v10, v7
.LBB220_936:                            ;   in Loop: Header=BB220_668 Depth=1
	s_or_b32 exec_lo, exec_lo, s15
.LBB220_937:                            ;   in Loop: Header=BB220_668 Depth=1
	s_or_b32 exec_lo, exec_lo, s13
.LBB220_938:                            ;   in Loop: Header=BB220_668 Depth=1
	s_or_b32 exec_lo, exec_lo, s7
	v_or_b32_e32 v6, v20, v18
	v_or_b32_e32 v8, v19, v17
	v_or_b32_e32 v10, v10, v21
	v_or_b32_e32 v11, v11, v22
	v_mul_f32_e32 v59, v81, v6
	v_mul_f32_e32 v60, v65, v8
	;; [unrolled: 1-line block ×4, first 2 shown]
	s_and_saveexec_b32 s7, vcc_lo
	s_cbranch_execz .LBB220_940
; %bb.939:                              ;   in Loop: Header=BB220_668 Depth=1
	v_cmp_lt_i32_e64 s4, v98, v28
	v_cndmask_b32_e64 v60, 0, v60, s4
	v_cmp_lt_i32_e64 s4, v100, v28
	v_cndmask_b32_e64 v59, 0, v59, s4
	;; [unrolled: 2-line block ×4, first 2 shown]
.LBB220_940:                            ;   in Loop: Header=BB220_668 Depth=1
	s_or_b32 exec_lo, exec_lo, s7
	flat_load_dword v13, v[0:1] offset:1024
	v_mov_b32_e32 v19, 0
	v_mov_b32_e32 v17, 0
	v_mov_b32_e32 v20, 0
	v_mov_b32_e32 v18, 0
	s_waitcnt vmcnt(0) lgkmcnt(0)
	v_cmp_ne_u16_sdwa s4, v13, v7 src0_sel:BYTE_0 src1_sel:DWORD
	s_and_saveexec_b32 s7, s4
	s_cbranch_execz .LBB220_948
; %bb.941:                              ;   in Loop: Header=BB220_668 Depth=1
	v_bfrev_b32_e32 v17, 1
	v_mov_b32_e32 v18, 0
	v_cmp_ne_u16_sdwa s4, v13, v66 src0_sel:BYTE_0 src1_sel:DWORD
	s_and_saveexec_b32 s13, s4
	s_cbranch_execz .LBB220_947
; %bb.942:                              ;   in Loop: Header=BB220_668 Depth=1
	v_mov_b32_e32 v17, 0x7f800001
	v_and_b32_e32 v10, 0x7f, v13
	v_mov_b32_e32 v18, 0
	s_mov_b32 s15, exec_lo
	v_cmpx_ne_u32_e32 0x7f, v10
	s_cbranch_execz .LBB220_946
; %bb.943:                              ;   in Loop: Header=BB220_668 Depth=1
	v_and_b32_e32 v6, 7, v13
	v_lshrrev_b32_e32 v8, 3, v10
	s_mov_b32 s18, exec_lo
	v_cmpx_gt_u32_e32 8, v10
; %bb.944:                              ;   in Loop: Header=BB220_668 Depth=1
	v_ffbh_u32_e32 v8, v6
	v_min_u32_e32 v8, 32, v8
	v_subrev_nc_u32_e32 v10, 28, v8
	v_sub_nc_u32_e32 v8, 29, v8
	v_lshlrev_b64 v[10:11], v10, v[6:7]
	v_and_b32_e32 v6, 7, v10
; %bb.945:                              ;   in Loop: Header=BB220_668 Depth=1
	s_or_b32 exec_lo, exec_lo, s18
	v_lshlrev_b32_e32 v10, 24, v13
	v_lshlrev_b32_e32 v6, 20, v6
	v_lshl_add_u32 v8, v8, 23, 0x3c000000
	v_and_b32_e32 v10, 0x80000000, v10
	v_or3_b32 v6, v6, v10, v8
	v_mov_b32_e32 v18, v7
	v_mov_b32_e32 v17, v6
.LBB220_946:                            ;   in Loop: Header=BB220_668 Depth=1
	s_or_b32 exec_lo, exec_lo, s15
.LBB220_947:                            ;   in Loop: Header=BB220_668 Depth=1
	s_or_b32 exec_lo, exec_lo, s13
.LBB220_948:                            ;   in Loop: Header=BB220_668 Depth=1
	s_or_b32 exec_lo, exec_lo, s7
	v_cmp_ne_u16_sdwa s4, v13, v7 src0_sel:BYTE_1 src1_sel:DWORD
	s_and_saveexec_b32 s7, s4
	s_cbranch_execz .LBB220_956
; %bb.949:                              ;   in Loop: Header=BB220_668 Depth=1
	v_mov_b32_e32 v8, v7
	v_mov_b32_e32 v20, v9
	v_cmp_ne_u16_sdwa s4, v13, v66 src0_sel:BYTE_1 src1_sel:DWORD
	v_mov_b32_e32 v19, v8
	s_and_saveexec_b32 s13, s4
	s_cbranch_execz .LBB220_955
; %bb.950:                              ;   in Loop: Header=BB220_668 Depth=1
	v_and_b32_sdwa v6, v70, v13 dst_sel:DWORD dst_unused:UNUSED_PAD src0_sel:DWORD src1_sel:BYTE_1
	v_mov_b32_e32 v11, v7
	v_mov_b32_e32 v20, v12
	s_mov_b32 s15, exec_lo
	v_and_b32_e32 v10, 0x7f, v6
	v_mov_b32_e32 v19, v11
	v_cmpx_ne_u32_e32 0x7f, v10
	s_cbranch_execz .LBB220_954
; %bb.951:                              ;   in Loop: Header=BB220_668 Depth=1
	v_and_b32_e32 v6, 7, v6
	v_lshrrev_b32_e32 v8, 3, v10
	s_mov_b32 s18, exec_lo
	v_cmpx_gt_u32_e32 8, v10
; %bb.952:                              ;   in Loop: Header=BB220_668 Depth=1
	v_ffbh_u32_e32 v8, v6
	v_min_u32_e32 v8, 32, v8
	v_subrev_nc_u32_e32 v10, 28, v8
	v_sub_nc_u32_e32 v8, 29, v8
	v_lshlrev_b64 v[10:11], v10, v[6:7]
	v_and_b32_e32 v6, 7, v10
; %bb.953:                              ;   in Loop: Header=BB220_668 Depth=1
	s_or_b32 exec_lo, exec_lo, s18
	v_lshlrev_b32_e32 v10, 16, v13
	v_lshlrev_b32_e32 v6, 20, v6
	v_lshl_add_u32 v8, v8, 23, 0x3c000000
	v_mov_b32_e32 v19, v7
	v_and_b32_e32 v10, 0x80000000, v10
	v_or3_b32 v20, v6, v10, v8
.LBB220_954:                            ;   in Loop: Header=BB220_668 Depth=1
	s_or_b32 exec_lo, exec_lo, s15
.LBB220_955:                            ;   in Loop: Header=BB220_668 Depth=1
	s_or_b32 exec_lo, exec_lo, s13
.LBB220_956:                            ;   in Loop: Header=BB220_668 Depth=1
	s_or_b32 exec_lo, exec_lo, s7
	v_mov_b32_e32 v10, 0
	v_mov_b32_e32 v21, 0
	v_and_b32_sdwa v6, v13, v68 dst_sel:DWORD dst_unused:UNUSED_PAD src0_sel:WORD_1 src1_sel:DWORD
	v_mov_b32_e32 v11, 0
	v_mov_b32_e32 v22, 0
	s_mov_b32 s7, exec_lo
	v_cmpx_ne_u16_e32 0, v6
	s_cbranch_execz .LBB220_964
; %bb.957:                              ;   in Loop: Header=BB220_668 Depth=1
	v_bfrev_b32_e32 v21, 1
	v_mov_b32_e32 v22, 0
	s_mov_b32 s13, exec_lo
	v_cmpx_ne_u16_e32 0x80, v6
	s_cbranch_execz .LBB220_963
; %bb.958:                              ;   in Loop: Header=BB220_668 Depth=1
	v_mov_b32_e32 v21, 0x7f800001
	v_bfe_u32 v14, v13, 16, 7
	v_mov_b32_e32 v22, 0
	s_mov_b32 s15, exec_lo
	v_cmpx_ne_u32_e32 0x7f, v14
	s_cbranch_execz .LBB220_962
; %bb.959:                              ;   in Loop: Header=BB220_668 Depth=1
	v_mov_b32_e32 v6, 7
	v_lshrrev_b32_e32 v8, 3, v14
	s_mov_b32 s18, exec_lo
	v_and_b32_sdwa v6, v13, v6 dst_sel:DWORD dst_unused:UNUSED_PAD src0_sel:WORD_1 src1_sel:DWORD
	v_cmpx_gt_u32_e32 8, v14
; %bb.960:                              ;   in Loop: Header=BB220_668 Depth=1
	v_ffbh_u32_e32 v8, v6
	v_min_u32_e32 v8, 32, v8
	v_subrev_nc_u32_e32 v14, 28, v8
	v_sub_nc_u32_e32 v8, 29, v8
	v_lshlrev_b64 v[21:22], v14, v[6:7]
	v_and_b32_e32 v6, 7, v21
; %bb.961:                              ;   in Loop: Header=BB220_668 Depth=1
	s_or_b32 exec_lo, exec_lo, s18
	v_mov_b32_e32 v14, 24
	v_lshlrev_b32_e32 v6, 20, v6
	v_lshl_add_u32 v8, v8, 23, 0x3c000000
	v_lshlrev_b32_sdwa v14, v14, v13 dst_sel:DWORD dst_unused:UNUSED_PAD src0_sel:DWORD src1_sel:WORD_1
	v_and_b32_e32 v14, 0x80000000, v14
	v_or3_b32 v6, v6, v14, v8
	v_mov_b32_e32 v22, v7
	v_mov_b32_e32 v21, v6
.LBB220_962:                            ;   in Loop: Header=BB220_668 Depth=1
	s_or_b32 exec_lo, exec_lo, s15
.LBB220_963:                            ;   in Loop: Header=BB220_668 Depth=1
	s_or_b32 exec_lo, exec_lo, s13
.LBB220_964:                            ;   in Loop: Header=BB220_668 Depth=1
	s_or_b32 exec_lo, exec_lo, s7
	s_mov_b32 s7, exec_lo
	v_cmpx_lt_u32_e32 0xffffff, v13
	s_cbranch_execz .LBB220_972
; %bb.965:                              ;   in Loop: Header=BB220_668 Depth=1
	v_mov_b32_e32 v8, v7
	v_mov_b32_e32 v11, v9
	v_cmp_ne_u32_sdwa s4, v13, v66 src0_sel:BYTE_3 src1_sel:DWORD
	v_mov_b32_e32 v10, v8
	s_and_saveexec_b32 s13, s4
	s_cbranch_execz .LBB220_971
; %bb.966:                              ;   in Loop: Header=BB220_668 Depth=1
	v_mov_b32_e32 v11, v7
	v_bfe_u32 v14, v13, 24, 7
	s_mov_b32 s15, exec_lo
	v_mov_b32_e32 v10, v11
	v_mov_b32_e32 v11, v12
	v_cmpx_ne_u32_e32 0x7f, v14
	s_cbranch_execz .LBB220_970
; %bb.967:                              ;   in Loop: Header=BB220_668 Depth=1
	v_mov_b32_e32 v6, 7
	v_lshrrev_b32_e32 v8, 3, v14
	s_mov_b32 s18, exec_lo
	v_and_b32_sdwa v6, v13, v6 dst_sel:DWORD dst_unused:UNUSED_PAD src0_sel:BYTE_3 src1_sel:DWORD
	v_cmpx_gt_u32_e32 8, v14
; %bb.968:                              ;   in Loop: Header=BB220_668 Depth=1
	v_ffbh_u32_e32 v8, v6
	v_min_u32_e32 v8, 32, v8
	v_subrev_nc_u32_e32 v10, 28, v8
	v_sub_nc_u32_e32 v8, 29, v8
	v_lshlrev_b64 v[10:11], v10, v[6:7]
	v_and_b32_e32 v6, 7, v10
; %bb.969:                              ;   in Loop: Header=BB220_668 Depth=1
	s_or_b32 exec_lo, exec_lo, s18
	v_mov_b32_e32 v10, 24
	v_lshlrev_b32_e32 v6, 20, v6
	v_lshl_add_u32 v8, v8, 23, 0x3c000000
	v_lshlrev_b32_sdwa v10, v10, v13 dst_sel:DWORD dst_unused:UNUSED_PAD src0_sel:DWORD src1_sel:BYTE_3
	v_and_b32_e32 v10, 0x80000000, v10
	v_or3_b32 v11, v6, v10, v8
	v_mov_b32_e32 v10, v7
.LBB220_970:                            ;   in Loop: Header=BB220_668 Depth=1
	s_or_b32 exec_lo, exec_lo, s15
.LBB220_971:                            ;   in Loop: Header=BB220_668 Depth=1
	s_or_b32 exec_lo, exec_lo, s13
.LBB220_972:                            ;   in Loop: Header=BB220_668 Depth=1
	s_or_b32 exec_lo, exec_lo, s7
	v_or_b32_e32 v6, v20, v18
	v_or_b32_e32 v8, v19, v17
	;; [unrolled: 1-line block ×4, first 2 shown]
	v_mul_f32_e32 v72, v81, v6
	v_mul_f32_e32 v63, v65, v8
	;; [unrolled: 1-line block ×4, first 2 shown]
	s_and_saveexec_b32 s7, vcc_lo
	s_cbranch_execz .LBB220_974
; %bb.973:                              ;   in Loop: Header=BB220_668 Depth=1
	v_cmp_lt_i32_e64 s4, v98, v28
	v_cndmask_b32_e64 v63, 0, v63, s4
	v_cmp_lt_i32_e64 s4, v100, v28
	v_cndmask_b32_e64 v72, 0, v72, s4
	;; [unrolled: 2-line block ×4, first 2 shown]
.LBB220_974:                            ;   in Loop: Header=BB220_668 Depth=1
	s_or_b32 exec_lo, exec_lo, s7
	flat_load_dword v13, v[0:1] offset:1152
	v_mov_b32_e32 v19, 0
	v_mov_b32_e32 v17, 0
	;; [unrolled: 1-line block ×4, first 2 shown]
	s_waitcnt vmcnt(0) lgkmcnt(0)
	v_cmp_ne_u16_sdwa s4, v13, v7 src0_sel:BYTE_0 src1_sel:DWORD
	s_and_saveexec_b32 s7, s4
	s_cbranch_execz .LBB220_982
; %bb.975:                              ;   in Loop: Header=BB220_668 Depth=1
	v_bfrev_b32_e32 v17, 1
	v_mov_b32_e32 v18, 0
	v_cmp_ne_u16_sdwa s4, v13, v66 src0_sel:BYTE_0 src1_sel:DWORD
	s_and_saveexec_b32 s13, s4
	s_cbranch_execz .LBB220_981
; %bb.976:                              ;   in Loop: Header=BB220_668 Depth=1
	v_mov_b32_e32 v17, 0x7f800001
	v_and_b32_e32 v10, 0x7f, v13
	v_mov_b32_e32 v18, 0
	s_mov_b32 s15, exec_lo
	v_cmpx_ne_u32_e32 0x7f, v10
	s_cbranch_execz .LBB220_980
; %bb.977:                              ;   in Loop: Header=BB220_668 Depth=1
	v_and_b32_e32 v6, 7, v13
	v_lshrrev_b32_e32 v8, 3, v10
	s_mov_b32 s18, exec_lo
	v_cmpx_gt_u32_e32 8, v10
; %bb.978:                              ;   in Loop: Header=BB220_668 Depth=1
	v_ffbh_u32_e32 v8, v6
	v_min_u32_e32 v8, 32, v8
	v_subrev_nc_u32_e32 v10, 28, v8
	v_sub_nc_u32_e32 v8, 29, v8
	v_lshlrev_b64 v[10:11], v10, v[6:7]
	v_and_b32_e32 v6, 7, v10
; %bb.979:                              ;   in Loop: Header=BB220_668 Depth=1
	s_or_b32 exec_lo, exec_lo, s18
	v_lshlrev_b32_e32 v10, 24, v13
	v_lshlrev_b32_e32 v6, 20, v6
	v_lshl_add_u32 v8, v8, 23, 0x3c000000
	v_and_b32_e32 v10, 0x80000000, v10
	v_or3_b32 v6, v6, v10, v8
	v_mov_b32_e32 v18, v7
	v_mov_b32_e32 v17, v6
.LBB220_980:                            ;   in Loop: Header=BB220_668 Depth=1
	s_or_b32 exec_lo, exec_lo, s15
.LBB220_981:                            ;   in Loop: Header=BB220_668 Depth=1
	s_or_b32 exec_lo, exec_lo, s13
.LBB220_982:                            ;   in Loop: Header=BB220_668 Depth=1
	s_or_b32 exec_lo, exec_lo, s7
	v_cmp_ne_u16_sdwa s4, v13, v7 src0_sel:BYTE_1 src1_sel:DWORD
	s_and_saveexec_b32 s7, s4
	s_cbranch_execz .LBB220_990
; %bb.983:                              ;   in Loop: Header=BB220_668 Depth=1
	v_mov_b32_e32 v8, v7
	v_mov_b32_e32 v20, v9
	v_cmp_ne_u16_sdwa s4, v13, v66 src0_sel:BYTE_1 src1_sel:DWORD
	v_mov_b32_e32 v19, v8
	s_and_saveexec_b32 s13, s4
	s_cbranch_execz .LBB220_989
; %bb.984:                              ;   in Loop: Header=BB220_668 Depth=1
	v_and_b32_sdwa v6, v70, v13 dst_sel:DWORD dst_unused:UNUSED_PAD src0_sel:DWORD src1_sel:BYTE_1
	v_mov_b32_e32 v11, v7
	v_mov_b32_e32 v20, v12
	s_mov_b32 s15, exec_lo
	v_and_b32_e32 v10, 0x7f, v6
	v_mov_b32_e32 v19, v11
	v_cmpx_ne_u32_e32 0x7f, v10
	s_cbranch_execz .LBB220_988
; %bb.985:                              ;   in Loop: Header=BB220_668 Depth=1
	v_and_b32_e32 v6, 7, v6
	v_lshrrev_b32_e32 v8, 3, v10
	s_mov_b32 s18, exec_lo
	v_cmpx_gt_u32_e32 8, v10
; %bb.986:                              ;   in Loop: Header=BB220_668 Depth=1
	v_ffbh_u32_e32 v8, v6
	v_min_u32_e32 v8, 32, v8
	v_subrev_nc_u32_e32 v10, 28, v8
	v_sub_nc_u32_e32 v8, 29, v8
	v_lshlrev_b64 v[10:11], v10, v[6:7]
	v_and_b32_e32 v6, 7, v10
; %bb.987:                              ;   in Loop: Header=BB220_668 Depth=1
	s_or_b32 exec_lo, exec_lo, s18
	v_lshlrev_b32_e32 v10, 16, v13
	v_lshlrev_b32_e32 v6, 20, v6
	v_lshl_add_u32 v8, v8, 23, 0x3c000000
	v_mov_b32_e32 v19, v7
	v_and_b32_e32 v10, 0x80000000, v10
	v_or3_b32 v20, v6, v10, v8
.LBB220_988:                            ;   in Loop: Header=BB220_668 Depth=1
	s_or_b32 exec_lo, exec_lo, s15
.LBB220_989:                            ;   in Loop: Header=BB220_668 Depth=1
	s_or_b32 exec_lo, exec_lo, s13
.LBB220_990:                            ;   in Loop: Header=BB220_668 Depth=1
	s_or_b32 exec_lo, exec_lo, s7
	v_mov_b32_e32 v10, 0
	v_mov_b32_e32 v21, 0
	v_and_b32_sdwa v6, v13, v68 dst_sel:DWORD dst_unused:UNUSED_PAD src0_sel:WORD_1 src1_sel:DWORD
	v_mov_b32_e32 v11, 0
	v_mov_b32_e32 v22, 0
	s_mov_b32 s7, exec_lo
	v_cmpx_ne_u16_e32 0, v6
	s_cbranch_execz .LBB220_998
; %bb.991:                              ;   in Loop: Header=BB220_668 Depth=1
	v_bfrev_b32_e32 v21, 1
	v_mov_b32_e32 v22, 0
	s_mov_b32 s13, exec_lo
	v_cmpx_ne_u16_e32 0x80, v6
	s_cbranch_execz .LBB220_997
; %bb.992:                              ;   in Loop: Header=BB220_668 Depth=1
	v_mov_b32_e32 v21, 0x7f800001
	v_bfe_u32 v14, v13, 16, 7
	v_mov_b32_e32 v22, 0
	s_mov_b32 s15, exec_lo
	v_cmpx_ne_u32_e32 0x7f, v14
	s_cbranch_execz .LBB220_996
; %bb.993:                              ;   in Loop: Header=BB220_668 Depth=1
	v_mov_b32_e32 v6, 7
	v_lshrrev_b32_e32 v8, 3, v14
	s_mov_b32 s18, exec_lo
	v_and_b32_sdwa v6, v13, v6 dst_sel:DWORD dst_unused:UNUSED_PAD src0_sel:WORD_1 src1_sel:DWORD
	v_cmpx_gt_u32_e32 8, v14
; %bb.994:                              ;   in Loop: Header=BB220_668 Depth=1
	v_ffbh_u32_e32 v8, v6
	v_min_u32_e32 v8, 32, v8
	v_subrev_nc_u32_e32 v14, 28, v8
	v_sub_nc_u32_e32 v8, 29, v8
	v_lshlrev_b64 v[21:22], v14, v[6:7]
	v_and_b32_e32 v6, 7, v21
; %bb.995:                              ;   in Loop: Header=BB220_668 Depth=1
	s_or_b32 exec_lo, exec_lo, s18
	v_mov_b32_e32 v14, 24
	v_lshlrev_b32_e32 v6, 20, v6
	v_lshl_add_u32 v8, v8, 23, 0x3c000000
	v_lshlrev_b32_sdwa v14, v14, v13 dst_sel:DWORD dst_unused:UNUSED_PAD src0_sel:DWORD src1_sel:WORD_1
	v_and_b32_e32 v14, 0x80000000, v14
	v_or3_b32 v6, v6, v14, v8
	v_mov_b32_e32 v22, v7
	v_mov_b32_e32 v21, v6
.LBB220_996:                            ;   in Loop: Header=BB220_668 Depth=1
	s_or_b32 exec_lo, exec_lo, s15
.LBB220_997:                            ;   in Loop: Header=BB220_668 Depth=1
	s_or_b32 exec_lo, exec_lo, s13
.LBB220_998:                            ;   in Loop: Header=BB220_668 Depth=1
	s_or_b32 exec_lo, exec_lo, s7
	s_mov_b32 s7, exec_lo
	v_cmpx_lt_u32_e32 0xffffff, v13
	s_cbranch_execz .LBB220_1006
; %bb.999:                              ;   in Loop: Header=BB220_668 Depth=1
	v_mov_b32_e32 v8, v7
	v_mov_b32_e32 v11, v9
	v_cmp_ne_u32_sdwa s4, v13, v66 src0_sel:BYTE_3 src1_sel:DWORD
	v_mov_b32_e32 v10, v8
	s_and_saveexec_b32 s13, s4
	s_cbranch_execz .LBB220_1005
; %bb.1000:                             ;   in Loop: Header=BB220_668 Depth=1
	v_mov_b32_e32 v11, v7
	v_bfe_u32 v14, v13, 24, 7
	s_mov_b32 s15, exec_lo
	v_mov_b32_e32 v10, v11
	v_mov_b32_e32 v11, v12
	v_cmpx_ne_u32_e32 0x7f, v14
	s_cbranch_execz .LBB220_1004
; %bb.1001:                             ;   in Loop: Header=BB220_668 Depth=1
	v_mov_b32_e32 v6, 7
	v_lshrrev_b32_e32 v8, 3, v14
	s_mov_b32 s18, exec_lo
	v_and_b32_sdwa v6, v13, v6 dst_sel:DWORD dst_unused:UNUSED_PAD src0_sel:BYTE_3 src1_sel:DWORD
	v_cmpx_gt_u32_e32 8, v14
; %bb.1002:                             ;   in Loop: Header=BB220_668 Depth=1
	v_ffbh_u32_e32 v8, v6
	v_min_u32_e32 v8, 32, v8
	v_subrev_nc_u32_e32 v10, 28, v8
	v_sub_nc_u32_e32 v8, 29, v8
	v_lshlrev_b64 v[10:11], v10, v[6:7]
	v_and_b32_e32 v6, 7, v10
; %bb.1003:                             ;   in Loop: Header=BB220_668 Depth=1
	s_or_b32 exec_lo, exec_lo, s18
	v_mov_b32_e32 v10, 24
	v_lshlrev_b32_e32 v6, 20, v6
	v_lshl_add_u32 v8, v8, 23, 0x3c000000
	v_lshlrev_b32_sdwa v10, v10, v13 dst_sel:DWORD dst_unused:UNUSED_PAD src0_sel:DWORD src1_sel:BYTE_3
	v_and_b32_e32 v10, 0x80000000, v10
	v_or3_b32 v11, v6, v10, v8
	v_mov_b32_e32 v10, v7
.LBB220_1004:                           ;   in Loop: Header=BB220_668 Depth=1
	s_or_b32 exec_lo, exec_lo, s15
.LBB220_1005:                           ;   in Loop: Header=BB220_668 Depth=1
	s_or_b32 exec_lo, exec_lo, s13
.LBB220_1006:                           ;   in Loop: Header=BB220_668 Depth=1
	s_or_b32 exec_lo, exec_lo, s7
	v_or_b32_e32 v6, v20, v18
	v_or_b32_e32 v8, v19, v17
	;; [unrolled: 1-line block ×4, first 2 shown]
	v_mul_f32_e32 v76, v81, v6
	v_mul_f32_e32 v75, v65, v8
	;; [unrolled: 1-line block ×4, first 2 shown]
	s_and_saveexec_b32 s7, vcc_lo
	s_cbranch_execz .LBB220_1008
; %bb.1007:                             ;   in Loop: Header=BB220_668 Depth=1
	v_cmp_lt_i32_e64 s4, v98, v28
	v_cndmask_b32_e64 v75, 0, v75, s4
	v_cmp_lt_i32_e64 s4, v100, v28
	v_cndmask_b32_e64 v76, 0, v76, s4
	;; [unrolled: 2-line block ×4, first 2 shown]
.LBB220_1008:                           ;   in Loop: Header=BB220_668 Depth=1
	s_or_b32 exec_lo, exec_lo, s7
	flat_load_dword v13, v[0:1] offset:1280
	v_mov_b32_e32 v19, 0
	v_mov_b32_e32 v17, 0
	;; [unrolled: 1-line block ×4, first 2 shown]
	s_waitcnt vmcnt(0) lgkmcnt(0)
	v_cmp_ne_u16_sdwa s4, v13, v7 src0_sel:BYTE_0 src1_sel:DWORD
	s_and_saveexec_b32 s7, s4
	s_cbranch_execz .LBB220_1016
; %bb.1009:                             ;   in Loop: Header=BB220_668 Depth=1
	v_bfrev_b32_e32 v17, 1
	v_mov_b32_e32 v18, 0
	v_cmp_ne_u16_sdwa s4, v13, v66 src0_sel:BYTE_0 src1_sel:DWORD
	s_and_saveexec_b32 s13, s4
	s_cbranch_execz .LBB220_1015
; %bb.1010:                             ;   in Loop: Header=BB220_668 Depth=1
	v_mov_b32_e32 v17, 0x7f800001
	v_and_b32_e32 v10, 0x7f, v13
	v_mov_b32_e32 v18, 0
	s_mov_b32 s15, exec_lo
	v_cmpx_ne_u32_e32 0x7f, v10
	s_cbranch_execz .LBB220_1014
; %bb.1011:                             ;   in Loop: Header=BB220_668 Depth=1
	v_and_b32_e32 v6, 7, v13
	v_lshrrev_b32_e32 v8, 3, v10
	s_mov_b32 s18, exec_lo
	v_cmpx_gt_u32_e32 8, v10
; %bb.1012:                             ;   in Loop: Header=BB220_668 Depth=1
	v_ffbh_u32_e32 v8, v6
	v_min_u32_e32 v8, 32, v8
	v_subrev_nc_u32_e32 v10, 28, v8
	v_sub_nc_u32_e32 v8, 29, v8
	v_lshlrev_b64 v[10:11], v10, v[6:7]
	v_and_b32_e32 v6, 7, v10
; %bb.1013:                             ;   in Loop: Header=BB220_668 Depth=1
	s_or_b32 exec_lo, exec_lo, s18
	v_lshlrev_b32_e32 v10, 24, v13
	v_lshlrev_b32_e32 v6, 20, v6
	v_lshl_add_u32 v8, v8, 23, 0x3c000000
	v_and_b32_e32 v10, 0x80000000, v10
	v_or3_b32 v6, v6, v10, v8
	v_mov_b32_e32 v18, v7
	v_mov_b32_e32 v17, v6
.LBB220_1014:                           ;   in Loop: Header=BB220_668 Depth=1
	s_or_b32 exec_lo, exec_lo, s15
.LBB220_1015:                           ;   in Loop: Header=BB220_668 Depth=1
	s_or_b32 exec_lo, exec_lo, s13
.LBB220_1016:                           ;   in Loop: Header=BB220_668 Depth=1
	s_or_b32 exec_lo, exec_lo, s7
	v_cmp_ne_u16_sdwa s4, v13, v7 src0_sel:BYTE_1 src1_sel:DWORD
	s_and_saveexec_b32 s7, s4
	s_cbranch_execz .LBB220_1024
; %bb.1017:                             ;   in Loop: Header=BB220_668 Depth=1
	v_mov_b32_e32 v8, v7
	v_mov_b32_e32 v20, v9
	v_cmp_ne_u16_sdwa s4, v13, v66 src0_sel:BYTE_1 src1_sel:DWORD
	v_mov_b32_e32 v19, v8
	s_and_saveexec_b32 s13, s4
	s_cbranch_execz .LBB220_1023
; %bb.1018:                             ;   in Loop: Header=BB220_668 Depth=1
	v_and_b32_sdwa v6, v70, v13 dst_sel:DWORD dst_unused:UNUSED_PAD src0_sel:DWORD src1_sel:BYTE_1
	v_mov_b32_e32 v11, v7
	v_mov_b32_e32 v20, v12
	s_mov_b32 s15, exec_lo
	v_and_b32_e32 v10, 0x7f, v6
	v_mov_b32_e32 v19, v11
	v_cmpx_ne_u32_e32 0x7f, v10
	s_cbranch_execz .LBB220_1022
; %bb.1019:                             ;   in Loop: Header=BB220_668 Depth=1
	v_and_b32_e32 v6, 7, v6
	v_lshrrev_b32_e32 v8, 3, v10
	s_mov_b32 s18, exec_lo
	v_cmpx_gt_u32_e32 8, v10
; %bb.1020:                             ;   in Loop: Header=BB220_668 Depth=1
	v_ffbh_u32_e32 v8, v6
	v_min_u32_e32 v8, 32, v8
	v_subrev_nc_u32_e32 v10, 28, v8
	v_sub_nc_u32_e32 v8, 29, v8
	v_lshlrev_b64 v[10:11], v10, v[6:7]
	v_and_b32_e32 v6, 7, v10
; %bb.1021:                             ;   in Loop: Header=BB220_668 Depth=1
	s_or_b32 exec_lo, exec_lo, s18
	v_lshlrev_b32_e32 v10, 16, v13
	v_lshlrev_b32_e32 v6, 20, v6
	v_lshl_add_u32 v8, v8, 23, 0x3c000000
	v_mov_b32_e32 v19, v7
	v_and_b32_e32 v10, 0x80000000, v10
	v_or3_b32 v20, v6, v10, v8
.LBB220_1022:                           ;   in Loop: Header=BB220_668 Depth=1
	s_or_b32 exec_lo, exec_lo, s15
.LBB220_1023:                           ;   in Loop: Header=BB220_668 Depth=1
	s_or_b32 exec_lo, exec_lo, s13
.LBB220_1024:                           ;   in Loop: Header=BB220_668 Depth=1
	s_or_b32 exec_lo, exec_lo, s7
	v_mov_b32_e32 v10, 0
	v_mov_b32_e32 v21, 0
	v_and_b32_sdwa v6, v13, v68 dst_sel:DWORD dst_unused:UNUSED_PAD src0_sel:WORD_1 src1_sel:DWORD
	v_mov_b32_e32 v11, 0
	v_mov_b32_e32 v22, 0
	s_mov_b32 s7, exec_lo
	v_cmpx_ne_u16_e32 0, v6
	s_cbranch_execz .LBB220_1032
; %bb.1025:                             ;   in Loop: Header=BB220_668 Depth=1
	v_bfrev_b32_e32 v21, 1
	v_mov_b32_e32 v22, 0
	s_mov_b32 s13, exec_lo
	v_cmpx_ne_u16_e32 0x80, v6
	s_cbranch_execz .LBB220_1031
; %bb.1026:                             ;   in Loop: Header=BB220_668 Depth=1
	v_mov_b32_e32 v21, 0x7f800001
	v_bfe_u32 v14, v13, 16, 7
	v_mov_b32_e32 v22, 0
	s_mov_b32 s15, exec_lo
	v_cmpx_ne_u32_e32 0x7f, v14
	s_cbranch_execz .LBB220_1030
; %bb.1027:                             ;   in Loop: Header=BB220_668 Depth=1
	v_mov_b32_e32 v6, 7
	v_lshrrev_b32_e32 v8, 3, v14
	s_mov_b32 s18, exec_lo
	v_and_b32_sdwa v6, v13, v6 dst_sel:DWORD dst_unused:UNUSED_PAD src0_sel:WORD_1 src1_sel:DWORD
	v_cmpx_gt_u32_e32 8, v14
; %bb.1028:                             ;   in Loop: Header=BB220_668 Depth=1
	v_ffbh_u32_e32 v8, v6
	v_min_u32_e32 v8, 32, v8
	v_subrev_nc_u32_e32 v14, 28, v8
	v_sub_nc_u32_e32 v8, 29, v8
	v_lshlrev_b64 v[21:22], v14, v[6:7]
	v_and_b32_e32 v6, 7, v21
; %bb.1029:                             ;   in Loop: Header=BB220_668 Depth=1
	s_or_b32 exec_lo, exec_lo, s18
	v_mov_b32_e32 v14, 24
	v_lshlrev_b32_e32 v6, 20, v6
	v_lshl_add_u32 v8, v8, 23, 0x3c000000
	v_lshlrev_b32_sdwa v14, v14, v13 dst_sel:DWORD dst_unused:UNUSED_PAD src0_sel:DWORD src1_sel:WORD_1
	v_and_b32_e32 v14, 0x80000000, v14
	v_or3_b32 v6, v6, v14, v8
	v_mov_b32_e32 v22, v7
	v_mov_b32_e32 v21, v6
.LBB220_1030:                           ;   in Loop: Header=BB220_668 Depth=1
	s_or_b32 exec_lo, exec_lo, s15
.LBB220_1031:                           ;   in Loop: Header=BB220_668 Depth=1
	s_or_b32 exec_lo, exec_lo, s13
.LBB220_1032:                           ;   in Loop: Header=BB220_668 Depth=1
	s_or_b32 exec_lo, exec_lo, s7
	s_mov_b32 s7, exec_lo
	v_cmpx_lt_u32_e32 0xffffff, v13
	s_cbranch_execz .LBB220_1040
; %bb.1033:                             ;   in Loop: Header=BB220_668 Depth=1
	v_mov_b32_e32 v8, v7
	v_mov_b32_e32 v11, v9
	v_cmp_ne_u32_sdwa s4, v13, v66 src0_sel:BYTE_3 src1_sel:DWORD
	v_mov_b32_e32 v10, v8
	s_and_saveexec_b32 s13, s4
	s_cbranch_execz .LBB220_1039
; %bb.1034:                             ;   in Loop: Header=BB220_668 Depth=1
	v_mov_b32_e32 v11, v7
	v_bfe_u32 v14, v13, 24, 7
	s_mov_b32 s15, exec_lo
	v_mov_b32_e32 v10, v11
	v_mov_b32_e32 v11, v12
	v_cmpx_ne_u32_e32 0x7f, v14
	s_cbranch_execz .LBB220_1038
; %bb.1035:                             ;   in Loop: Header=BB220_668 Depth=1
	v_mov_b32_e32 v6, 7
	v_lshrrev_b32_e32 v8, 3, v14
	s_mov_b32 s18, exec_lo
	v_and_b32_sdwa v6, v13, v6 dst_sel:DWORD dst_unused:UNUSED_PAD src0_sel:BYTE_3 src1_sel:DWORD
	v_cmpx_gt_u32_e32 8, v14
; %bb.1036:                             ;   in Loop: Header=BB220_668 Depth=1
	v_ffbh_u32_e32 v8, v6
	v_min_u32_e32 v8, 32, v8
	v_subrev_nc_u32_e32 v10, 28, v8
	v_sub_nc_u32_e32 v8, 29, v8
	v_lshlrev_b64 v[10:11], v10, v[6:7]
	v_and_b32_e32 v6, 7, v10
; %bb.1037:                             ;   in Loop: Header=BB220_668 Depth=1
	s_or_b32 exec_lo, exec_lo, s18
	v_mov_b32_e32 v10, 24
	v_lshlrev_b32_e32 v6, 20, v6
	v_lshl_add_u32 v8, v8, 23, 0x3c000000
	v_lshlrev_b32_sdwa v10, v10, v13 dst_sel:DWORD dst_unused:UNUSED_PAD src0_sel:DWORD src1_sel:BYTE_3
	v_and_b32_e32 v10, 0x80000000, v10
	v_or3_b32 v11, v6, v10, v8
	v_mov_b32_e32 v10, v7
.LBB220_1038:                           ;   in Loop: Header=BB220_668 Depth=1
	s_or_b32 exec_lo, exec_lo, s15
.LBB220_1039:                           ;   in Loop: Header=BB220_668 Depth=1
	s_or_b32 exec_lo, exec_lo, s13
.LBB220_1040:                           ;   in Loop: Header=BB220_668 Depth=1
	s_or_b32 exec_lo, exec_lo, s7
	v_or_b32_e32 v6, v20, v18
	v_or_b32_e32 v8, v19, v17
	;; [unrolled: 1-line block ×4, first 2 shown]
	v_mul_f32_e32 v79, v81, v6
	v_mul_f32_e32 v88, v65, v8
	;; [unrolled: 1-line block ×4, first 2 shown]
	s_and_saveexec_b32 s7, vcc_lo
	s_cbranch_execz .LBB220_1042
; %bb.1041:                             ;   in Loop: Header=BB220_668 Depth=1
	v_cmp_lt_i32_e64 s4, v98, v28
	v_cndmask_b32_e64 v88, 0, v88, s4
	v_cmp_lt_i32_e64 s4, v100, v28
	v_cndmask_b32_e64 v79, 0, v79, s4
	;; [unrolled: 2-line block ×4, first 2 shown]
.LBB220_1042:                           ;   in Loop: Header=BB220_668 Depth=1
	s_or_b32 exec_lo, exec_lo, s7
	flat_load_dword v13, v[0:1] offset:1408
	v_mov_b32_e32 v19, 0
	v_mov_b32_e32 v17, 0
	;; [unrolled: 1-line block ×4, first 2 shown]
	s_waitcnt vmcnt(0) lgkmcnt(0)
	v_cmp_ne_u16_sdwa s4, v13, v7 src0_sel:BYTE_0 src1_sel:DWORD
	s_and_saveexec_b32 s7, s4
	s_cbranch_execz .LBB220_1050
; %bb.1043:                             ;   in Loop: Header=BB220_668 Depth=1
	v_bfrev_b32_e32 v17, 1
	v_mov_b32_e32 v18, 0
	v_cmp_ne_u16_sdwa s4, v13, v66 src0_sel:BYTE_0 src1_sel:DWORD
	s_and_saveexec_b32 s13, s4
	s_cbranch_execz .LBB220_1049
; %bb.1044:                             ;   in Loop: Header=BB220_668 Depth=1
	v_mov_b32_e32 v17, 0x7f800001
	v_and_b32_e32 v10, 0x7f, v13
	v_mov_b32_e32 v18, 0
	s_mov_b32 s15, exec_lo
	v_cmpx_ne_u32_e32 0x7f, v10
	s_cbranch_execz .LBB220_1048
; %bb.1045:                             ;   in Loop: Header=BB220_668 Depth=1
	v_and_b32_e32 v6, 7, v13
	v_lshrrev_b32_e32 v8, 3, v10
	s_mov_b32 s18, exec_lo
	v_cmpx_gt_u32_e32 8, v10
; %bb.1046:                             ;   in Loop: Header=BB220_668 Depth=1
	v_ffbh_u32_e32 v8, v6
	v_min_u32_e32 v8, 32, v8
	v_subrev_nc_u32_e32 v10, 28, v8
	v_sub_nc_u32_e32 v8, 29, v8
	v_lshlrev_b64 v[10:11], v10, v[6:7]
	v_and_b32_e32 v6, 7, v10
; %bb.1047:                             ;   in Loop: Header=BB220_668 Depth=1
	s_or_b32 exec_lo, exec_lo, s18
	v_lshlrev_b32_e32 v10, 24, v13
	v_lshlrev_b32_e32 v6, 20, v6
	v_lshl_add_u32 v8, v8, 23, 0x3c000000
	v_and_b32_e32 v10, 0x80000000, v10
	v_or3_b32 v6, v6, v10, v8
	v_mov_b32_e32 v18, v7
	v_mov_b32_e32 v17, v6
.LBB220_1048:                           ;   in Loop: Header=BB220_668 Depth=1
	s_or_b32 exec_lo, exec_lo, s15
.LBB220_1049:                           ;   in Loop: Header=BB220_668 Depth=1
	s_or_b32 exec_lo, exec_lo, s13
.LBB220_1050:                           ;   in Loop: Header=BB220_668 Depth=1
	s_or_b32 exec_lo, exec_lo, s7
	v_cmp_ne_u16_sdwa s4, v13, v7 src0_sel:BYTE_1 src1_sel:DWORD
	s_and_saveexec_b32 s7, s4
	s_cbranch_execz .LBB220_1058
; %bb.1051:                             ;   in Loop: Header=BB220_668 Depth=1
	v_mov_b32_e32 v8, v7
	v_mov_b32_e32 v20, v9
	v_cmp_ne_u16_sdwa s4, v13, v66 src0_sel:BYTE_1 src1_sel:DWORD
	v_mov_b32_e32 v19, v8
	s_and_saveexec_b32 s13, s4
	s_cbranch_execz .LBB220_1057
; %bb.1052:                             ;   in Loop: Header=BB220_668 Depth=1
	v_and_b32_sdwa v6, v70, v13 dst_sel:DWORD dst_unused:UNUSED_PAD src0_sel:DWORD src1_sel:BYTE_1
	v_mov_b32_e32 v11, v7
	v_mov_b32_e32 v20, v12
	s_mov_b32 s15, exec_lo
	v_and_b32_e32 v10, 0x7f, v6
	v_mov_b32_e32 v19, v11
	v_cmpx_ne_u32_e32 0x7f, v10
	s_cbranch_execz .LBB220_1056
; %bb.1053:                             ;   in Loop: Header=BB220_668 Depth=1
	v_and_b32_e32 v6, 7, v6
	v_lshrrev_b32_e32 v8, 3, v10
	s_mov_b32 s18, exec_lo
	v_cmpx_gt_u32_e32 8, v10
; %bb.1054:                             ;   in Loop: Header=BB220_668 Depth=1
	v_ffbh_u32_e32 v8, v6
	v_min_u32_e32 v8, 32, v8
	v_subrev_nc_u32_e32 v10, 28, v8
	v_sub_nc_u32_e32 v8, 29, v8
	v_lshlrev_b64 v[10:11], v10, v[6:7]
	v_and_b32_e32 v6, 7, v10
; %bb.1055:                             ;   in Loop: Header=BB220_668 Depth=1
	s_or_b32 exec_lo, exec_lo, s18
	v_lshlrev_b32_e32 v10, 16, v13
	v_lshlrev_b32_e32 v6, 20, v6
	v_lshl_add_u32 v8, v8, 23, 0x3c000000
	v_mov_b32_e32 v19, v7
	v_and_b32_e32 v10, 0x80000000, v10
	v_or3_b32 v20, v6, v10, v8
.LBB220_1056:                           ;   in Loop: Header=BB220_668 Depth=1
	s_or_b32 exec_lo, exec_lo, s15
.LBB220_1057:                           ;   in Loop: Header=BB220_668 Depth=1
	s_or_b32 exec_lo, exec_lo, s13
.LBB220_1058:                           ;   in Loop: Header=BB220_668 Depth=1
	s_or_b32 exec_lo, exec_lo, s7
	v_mov_b32_e32 v10, 0
	v_mov_b32_e32 v21, 0
	v_and_b32_sdwa v6, v13, v68 dst_sel:DWORD dst_unused:UNUSED_PAD src0_sel:WORD_1 src1_sel:DWORD
	v_mov_b32_e32 v11, 0
	v_mov_b32_e32 v22, 0
	s_mov_b32 s7, exec_lo
	v_cmpx_ne_u16_e32 0, v6
	s_cbranch_execz .LBB220_1066
; %bb.1059:                             ;   in Loop: Header=BB220_668 Depth=1
	v_bfrev_b32_e32 v21, 1
	v_mov_b32_e32 v22, 0
	s_mov_b32 s13, exec_lo
	v_cmpx_ne_u16_e32 0x80, v6
	s_cbranch_execz .LBB220_1065
; %bb.1060:                             ;   in Loop: Header=BB220_668 Depth=1
	v_mov_b32_e32 v21, 0x7f800001
	v_bfe_u32 v14, v13, 16, 7
	v_mov_b32_e32 v22, 0
	s_mov_b32 s15, exec_lo
	v_cmpx_ne_u32_e32 0x7f, v14
	s_cbranch_execz .LBB220_1064
; %bb.1061:                             ;   in Loop: Header=BB220_668 Depth=1
	v_mov_b32_e32 v6, 7
	v_lshrrev_b32_e32 v8, 3, v14
	s_mov_b32 s18, exec_lo
	v_and_b32_sdwa v6, v13, v6 dst_sel:DWORD dst_unused:UNUSED_PAD src0_sel:WORD_1 src1_sel:DWORD
	v_cmpx_gt_u32_e32 8, v14
; %bb.1062:                             ;   in Loop: Header=BB220_668 Depth=1
	v_ffbh_u32_e32 v8, v6
	v_min_u32_e32 v8, 32, v8
	v_subrev_nc_u32_e32 v14, 28, v8
	v_sub_nc_u32_e32 v8, 29, v8
	v_lshlrev_b64 v[21:22], v14, v[6:7]
	v_and_b32_e32 v6, 7, v21
; %bb.1063:                             ;   in Loop: Header=BB220_668 Depth=1
	s_or_b32 exec_lo, exec_lo, s18
	v_mov_b32_e32 v14, 24
	v_lshlrev_b32_e32 v6, 20, v6
	v_lshl_add_u32 v8, v8, 23, 0x3c000000
	v_lshlrev_b32_sdwa v14, v14, v13 dst_sel:DWORD dst_unused:UNUSED_PAD src0_sel:DWORD src1_sel:WORD_1
	v_and_b32_e32 v14, 0x80000000, v14
	v_or3_b32 v6, v6, v14, v8
	v_mov_b32_e32 v22, v7
	v_mov_b32_e32 v21, v6
.LBB220_1064:                           ;   in Loop: Header=BB220_668 Depth=1
	s_or_b32 exec_lo, exec_lo, s15
.LBB220_1065:                           ;   in Loop: Header=BB220_668 Depth=1
	s_or_b32 exec_lo, exec_lo, s13
.LBB220_1066:                           ;   in Loop: Header=BB220_668 Depth=1
	s_or_b32 exec_lo, exec_lo, s7
	s_mov_b32 s7, exec_lo
	v_cmpx_lt_u32_e32 0xffffff, v13
	s_cbranch_execz .LBB220_1074
; %bb.1067:                             ;   in Loop: Header=BB220_668 Depth=1
	v_mov_b32_e32 v8, v7
	v_mov_b32_e32 v11, v9
	v_cmp_ne_u32_sdwa s4, v13, v66 src0_sel:BYTE_3 src1_sel:DWORD
	v_mov_b32_e32 v10, v8
	s_and_saveexec_b32 s13, s4
	s_cbranch_execz .LBB220_1073
; %bb.1068:                             ;   in Loop: Header=BB220_668 Depth=1
	v_mov_b32_e32 v11, v7
	v_bfe_u32 v14, v13, 24, 7
	s_mov_b32 s15, exec_lo
	v_mov_b32_e32 v10, v11
	v_mov_b32_e32 v11, v12
	v_cmpx_ne_u32_e32 0x7f, v14
	s_cbranch_execz .LBB220_1072
; %bb.1069:                             ;   in Loop: Header=BB220_668 Depth=1
	v_mov_b32_e32 v6, 7
	v_lshrrev_b32_e32 v8, 3, v14
	s_mov_b32 s18, exec_lo
	v_and_b32_sdwa v6, v13, v6 dst_sel:DWORD dst_unused:UNUSED_PAD src0_sel:BYTE_3 src1_sel:DWORD
	v_cmpx_gt_u32_e32 8, v14
; %bb.1070:                             ;   in Loop: Header=BB220_668 Depth=1
	v_ffbh_u32_e32 v8, v6
	v_min_u32_e32 v8, 32, v8
	v_subrev_nc_u32_e32 v10, 28, v8
	v_sub_nc_u32_e32 v8, 29, v8
	v_lshlrev_b64 v[10:11], v10, v[6:7]
	v_and_b32_e32 v6, 7, v10
; %bb.1071:                             ;   in Loop: Header=BB220_668 Depth=1
	s_or_b32 exec_lo, exec_lo, s18
	v_mov_b32_e32 v10, 24
	v_lshlrev_b32_e32 v6, 20, v6
	v_lshl_add_u32 v8, v8, 23, 0x3c000000
	v_lshlrev_b32_sdwa v10, v10, v13 dst_sel:DWORD dst_unused:UNUSED_PAD src0_sel:DWORD src1_sel:BYTE_3
	v_and_b32_e32 v10, 0x80000000, v10
	v_or3_b32 v11, v6, v10, v8
	v_mov_b32_e32 v10, v7
.LBB220_1072:                           ;   in Loop: Header=BB220_668 Depth=1
	s_or_b32 exec_lo, exec_lo, s15
.LBB220_1073:                           ;   in Loop: Header=BB220_668 Depth=1
	s_or_b32 exec_lo, exec_lo, s13
.LBB220_1074:                           ;   in Loop: Header=BB220_668 Depth=1
	s_or_b32 exec_lo, exec_lo, s7
	v_or_b32_e32 v6, v20, v18
	v_or_b32_e32 v8, v19, v17
	;; [unrolled: 1-line block ×4, first 2 shown]
	v_mul_f32_e32 v91, v81, v6
	v_mul_f32_e32 v92, v65, v8
	;; [unrolled: 1-line block ×4, first 2 shown]
	s_and_saveexec_b32 s7, vcc_lo
	s_cbranch_execz .LBB220_1076
; %bb.1075:                             ;   in Loop: Header=BB220_668 Depth=1
	v_cmp_lt_i32_e64 s4, v98, v28
	v_cndmask_b32_e64 v92, 0, v92, s4
	v_cmp_lt_i32_e64 s4, v100, v28
	v_cndmask_b32_e64 v91, 0, v91, s4
	;; [unrolled: 2-line block ×4, first 2 shown]
.LBB220_1076:                           ;   in Loop: Header=BB220_668 Depth=1
	s_or_b32 exec_lo, exec_lo, s7
	flat_load_dword v13, v[0:1] offset:1536
	v_mov_b32_e32 v19, 0
	v_mov_b32_e32 v17, 0
	v_mov_b32_e32 v20, 0
	v_mov_b32_e32 v18, 0
	s_waitcnt vmcnt(0) lgkmcnt(0)
	v_cmp_ne_u16_sdwa s4, v13, v7 src0_sel:BYTE_0 src1_sel:DWORD
	s_and_saveexec_b32 s7, s4
	s_cbranch_execz .LBB220_1084
; %bb.1077:                             ;   in Loop: Header=BB220_668 Depth=1
	v_bfrev_b32_e32 v17, 1
	v_mov_b32_e32 v18, 0
	v_cmp_ne_u16_sdwa s4, v13, v66 src0_sel:BYTE_0 src1_sel:DWORD
	s_and_saveexec_b32 s13, s4
	s_cbranch_execz .LBB220_1083
; %bb.1078:                             ;   in Loop: Header=BB220_668 Depth=1
	v_mov_b32_e32 v17, 0x7f800001
	v_and_b32_e32 v10, 0x7f, v13
	v_mov_b32_e32 v18, 0
	s_mov_b32 s15, exec_lo
	v_cmpx_ne_u32_e32 0x7f, v10
	s_cbranch_execz .LBB220_1082
; %bb.1079:                             ;   in Loop: Header=BB220_668 Depth=1
	v_and_b32_e32 v6, 7, v13
	v_lshrrev_b32_e32 v8, 3, v10
	s_mov_b32 s18, exec_lo
	v_cmpx_gt_u32_e32 8, v10
; %bb.1080:                             ;   in Loop: Header=BB220_668 Depth=1
	v_ffbh_u32_e32 v8, v6
	v_min_u32_e32 v8, 32, v8
	v_subrev_nc_u32_e32 v10, 28, v8
	v_sub_nc_u32_e32 v8, 29, v8
	v_lshlrev_b64 v[10:11], v10, v[6:7]
	v_and_b32_e32 v6, 7, v10
; %bb.1081:                             ;   in Loop: Header=BB220_668 Depth=1
	s_or_b32 exec_lo, exec_lo, s18
	v_lshlrev_b32_e32 v10, 24, v13
	v_lshlrev_b32_e32 v6, 20, v6
	v_lshl_add_u32 v8, v8, 23, 0x3c000000
	v_and_b32_e32 v10, 0x80000000, v10
	v_or3_b32 v6, v6, v10, v8
	v_mov_b32_e32 v18, v7
	v_mov_b32_e32 v17, v6
.LBB220_1082:                           ;   in Loop: Header=BB220_668 Depth=1
	s_or_b32 exec_lo, exec_lo, s15
.LBB220_1083:                           ;   in Loop: Header=BB220_668 Depth=1
	s_or_b32 exec_lo, exec_lo, s13
.LBB220_1084:                           ;   in Loop: Header=BB220_668 Depth=1
	s_or_b32 exec_lo, exec_lo, s7
	v_cmp_ne_u16_sdwa s4, v13, v7 src0_sel:BYTE_1 src1_sel:DWORD
	s_and_saveexec_b32 s7, s4
	s_cbranch_execz .LBB220_1092
; %bb.1085:                             ;   in Loop: Header=BB220_668 Depth=1
	v_mov_b32_e32 v8, v7
	v_mov_b32_e32 v20, v9
	v_cmp_ne_u16_sdwa s4, v13, v66 src0_sel:BYTE_1 src1_sel:DWORD
	v_mov_b32_e32 v19, v8
	s_and_saveexec_b32 s13, s4
	s_cbranch_execz .LBB220_1091
; %bb.1086:                             ;   in Loop: Header=BB220_668 Depth=1
	v_and_b32_sdwa v6, v70, v13 dst_sel:DWORD dst_unused:UNUSED_PAD src0_sel:DWORD src1_sel:BYTE_1
	v_mov_b32_e32 v11, v7
	v_mov_b32_e32 v20, v12
	s_mov_b32 s15, exec_lo
	v_and_b32_e32 v10, 0x7f, v6
	v_mov_b32_e32 v19, v11
	v_cmpx_ne_u32_e32 0x7f, v10
	s_cbranch_execz .LBB220_1090
; %bb.1087:                             ;   in Loop: Header=BB220_668 Depth=1
	v_and_b32_e32 v6, 7, v6
	v_lshrrev_b32_e32 v8, 3, v10
	s_mov_b32 s18, exec_lo
	v_cmpx_gt_u32_e32 8, v10
; %bb.1088:                             ;   in Loop: Header=BB220_668 Depth=1
	v_ffbh_u32_e32 v8, v6
	v_min_u32_e32 v8, 32, v8
	v_subrev_nc_u32_e32 v10, 28, v8
	v_sub_nc_u32_e32 v8, 29, v8
	v_lshlrev_b64 v[10:11], v10, v[6:7]
	v_and_b32_e32 v6, 7, v10
; %bb.1089:                             ;   in Loop: Header=BB220_668 Depth=1
	s_or_b32 exec_lo, exec_lo, s18
	v_lshlrev_b32_e32 v10, 16, v13
	v_lshlrev_b32_e32 v6, 20, v6
	v_lshl_add_u32 v8, v8, 23, 0x3c000000
	v_mov_b32_e32 v19, v7
	v_and_b32_e32 v10, 0x80000000, v10
	v_or3_b32 v20, v6, v10, v8
.LBB220_1090:                           ;   in Loop: Header=BB220_668 Depth=1
	s_or_b32 exec_lo, exec_lo, s15
.LBB220_1091:                           ;   in Loop: Header=BB220_668 Depth=1
	s_or_b32 exec_lo, exec_lo, s13
.LBB220_1092:                           ;   in Loop: Header=BB220_668 Depth=1
	s_or_b32 exec_lo, exec_lo, s7
	v_mov_b32_e32 v10, 0
	v_mov_b32_e32 v21, 0
	v_and_b32_sdwa v6, v13, v68 dst_sel:DWORD dst_unused:UNUSED_PAD src0_sel:WORD_1 src1_sel:DWORD
	v_mov_b32_e32 v11, 0
	v_mov_b32_e32 v22, 0
	s_mov_b32 s7, exec_lo
	v_cmpx_ne_u16_e32 0, v6
	s_cbranch_execz .LBB220_1100
; %bb.1093:                             ;   in Loop: Header=BB220_668 Depth=1
	v_bfrev_b32_e32 v21, 1
	v_mov_b32_e32 v22, 0
	s_mov_b32 s13, exec_lo
	v_cmpx_ne_u16_e32 0x80, v6
	s_cbranch_execz .LBB220_1099
; %bb.1094:                             ;   in Loop: Header=BB220_668 Depth=1
	v_mov_b32_e32 v21, 0x7f800001
	v_bfe_u32 v14, v13, 16, 7
	v_mov_b32_e32 v22, 0
	s_mov_b32 s15, exec_lo
	v_cmpx_ne_u32_e32 0x7f, v14
	s_cbranch_execz .LBB220_1098
; %bb.1095:                             ;   in Loop: Header=BB220_668 Depth=1
	v_mov_b32_e32 v6, 7
	v_lshrrev_b32_e32 v8, 3, v14
	s_mov_b32 s18, exec_lo
	v_and_b32_sdwa v6, v13, v6 dst_sel:DWORD dst_unused:UNUSED_PAD src0_sel:WORD_1 src1_sel:DWORD
	v_cmpx_gt_u32_e32 8, v14
; %bb.1096:                             ;   in Loop: Header=BB220_668 Depth=1
	v_ffbh_u32_e32 v8, v6
	v_min_u32_e32 v8, 32, v8
	v_subrev_nc_u32_e32 v14, 28, v8
	v_sub_nc_u32_e32 v8, 29, v8
	v_lshlrev_b64 v[21:22], v14, v[6:7]
	v_and_b32_e32 v6, 7, v21
; %bb.1097:                             ;   in Loop: Header=BB220_668 Depth=1
	s_or_b32 exec_lo, exec_lo, s18
	v_mov_b32_e32 v14, 24
	v_lshlrev_b32_e32 v6, 20, v6
	v_lshl_add_u32 v8, v8, 23, 0x3c000000
	v_lshlrev_b32_sdwa v14, v14, v13 dst_sel:DWORD dst_unused:UNUSED_PAD src0_sel:DWORD src1_sel:WORD_1
	v_and_b32_e32 v14, 0x80000000, v14
	v_or3_b32 v6, v6, v14, v8
	v_mov_b32_e32 v22, v7
	v_mov_b32_e32 v21, v6
.LBB220_1098:                           ;   in Loop: Header=BB220_668 Depth=1
	s_or_b32 exec_lo, exec_lo, s15
.LBB220_1099:                           ;   in Loop: Header=BB220_668 Depth=1
	s_or_b32 exec_lo, exec_lo, s13
.LBB220_1100:                           ;   in Loop: Header=BB220_668 Depth=1
	s_or_b32 exec_lo, exec_lo, s7
	s_mov_b32 s7, exec_lo
	v_cmpx_lt_u32_e32 0xffffff, v13
	s_cbranch_execz .LBB220_1108
; %bb.1101:                             ;   in Loop: Header=BB220_668 Depth=1
	v_mov_b32_e32 v8, v7
	v_mov_b32_e32 v11, v9
	v_cmp_ne_u32_sdwa s4, v13, v66 src0_sel:BYTE_3 src1_sel:DWORD
	v_mov_b32_e32 v10, v8
	s_and_saveexec_b32 s13, s4
	s_cbranch_execz .LBB220_1107
; %bb.1102:                             ;   in Loop: Header=BB220_668 Depth=1
	v_mov_b32_e32 v11, v7
	v_bfe_u32 v14, v13, 24, 7
	s_mov_b32 s15, exec_lo
	v_mov_b32_e32 v10, v11
	v_mov_b32_e32 v11, v12
	v_cmpx_ne_u32_e32 0x7f, v14
	s_cbranch_execz .LBB220_1106
; %bb.1103:                             ;   in Loop: Header=BB220_668 Depth=1
	v_mov_b32_e32 v6, 7
	v_lshrrev_b32_e32 v8, 3, v14
	s_mov_b32 s18, exec_lo
	v_and_b32_sdwa v6, v13, v6 dst_sel:DWORD dst_unused:UNUSED_PAD src0_sel:BYTE_3 src1_sel:DWORD
	v_cmpx_gt_u32_e32 8, v14
; %bb.1104:                             ;   in Loop: Header=BB220_668 Depth=1
	v_ffbh_u32_e32 v8, v6
	v_min_u32_e32 v8, 32, v8
	v_subrev_nc_u32_e32 v10, 28, v8
	v_sub_nc_u32_e32 v8, 29, v8
	v_lshlrev_b64 v[10:11], v10, v[6:7]
	v_and_b32_e32 v6, 7, v10
; %bb.1105:                             ;   in Loop: Header=BB220_668 Depth=1
	s_or_b32 exec_lo, exec_lo, s18
	v_mov_b32_e32 v10, 24
	v_lshlrev_b32_e32 v6, 20, v6
	v_lshl_add_u32 v8, v8, 23, 0x3c000000
	v_lshlrev_b32_sdwa v10, v10, v13 dst_sel:DWORD dst_unused:UNUSED_PAD src0_sel:DWORD src1_sel:BYTE_3
	v_and_b32_e32 v10, 0x80000000, v10
	v_or3_b32 v11, v6, v10, v8
	v_mov_b32_e32 v10, v7
.LBB220_1106:                           ;   in Loop: Header=BB220_668 Depth=1
	s_or_b32 exec_lo, exec_lo, s15
.LBB220_1107:                           ;   in Loop: Header=BB220_668 Depth=1
	s_or_b32 exec_lo, exec_lo, s13
.LBB220_1108:                           ;   in Loop: Header=BB220_668 Depth=1
	s_or_b32 exec_lo, exec_lo, s7
	v_or_b32_e32 v6, v20, v18
	v_or_b32_e32 v8, v19, v17
	;; [unrolled: 1-line block ×4, first 2 shown]
	v_mul_f32_e32 v95, v81, v6
	v_mul_f32_e32 v104, v65, v8
	;; [unrolled: 1-line block ×4, first 2 shown]
	s_and_saveexec_b32 s7, vcc_lo
	s_cbranch_execz .LBB220_1110
; %bb.1109:                             ;   in Loop: Header=BB220_668 Depth=1
	v_cmp_lt_i32_e64 s4, v98, v28
	v_cndmask_b32_e64 v104, 0, v104, s4
	v_cmp_lt_i32_e64 s4, v100, v28
	v_cndmask_b32_e64 v95, 0, v95, s4
	;; [unrolled: 2-line block ×4, first 2 shown]
.LBB220_1110:                           ;   in Loop: Header=BB220_668 Depth=1
	s_or_b32 exec_lo, exec_lo, s7
	flat_load_dword v13, v[0:1] offset:1664
	v_mov_b32_e32 v19, 0
	v_mov_b32_e32 v17, 0
	v_mov_b32_e32 v20, 0
	v_mov_b32_e32 v18, 0
	s_waitcnt vmcnt(0) lgkmcnt(0)
	v_cmp_ne_u16_sdwa s4, v13, v7 src0_sel:BYTE_0 src1_sel:DWORD
	s_and_saveexec_b32 s7, s4
	s_cbranch_execz .LBB220_1118
; %bb.1111:                             ;   in Loop: Header=BB220_668 Depth=1
	v_bfrev_b32_e32 v17, 1
	v_mov_b32_e32 v18, 0
	v_cmp_ne_u16_sdwa s4, v13, v66 src0_sel:BYTE_0 src1_sel:DWORD
	s_and_saveexec_b32 s13, s4
	s_cbranch_execz .LBB220_1117
; %bb.1112:                             ;   in Loop: Header=BB220_668 Depth=1
	v_mov_b32_e32 v17, 0x7f800001
	v_and_b32_e32 v10, 0x7f, v13
	v_mov_b32_e32 v18, 0
	s_mov_b32 s15, exec_lo
	v_cmpx_ne_u32_e32 0x7f, v10
	s_cbranch_execz .LBB220_1116
; %bb.1113:                             ;   in Loop: Header=BB220_668 Depth=1
	v_and_b32_e32 v6, 7, v13
	v_lshrrev_b32_e32 v8, 3, v10
	s_mov_b32 s18, exec_lo
	v_cmpx_gt_u32_e32 8, v10
; %bb.1114:                             ;   in Loop: Header=BB220_668 Depth=1
	v_ffbh_u32_e32 v8, v6
	v_min_u32_e32 v8, 32, v8
	v_subrev_nc_u32_e32 v10, 28, v8
	v_sub_nc_u32_e32 v8, 29, v8
	v_lshlrev_b64 v[10:11], v10, v[6:7]
	v_and_b32_e32 v6, 7, v10
; %bb.1115:                             ;   in Loop: Header=BB220_668 Depth=1
	s_or_b32 exec_lo, exec_lo, s18
	v_lshlrev_b32_e32 v10, 24, v13
	v_lshlrev_b32_e32 v6, 20, v6
	v_lshl_add_u32 v8, v8, 23, 0x3c000000
	v_and_b32_e32 v10, 0x80000000, v10
	v_or3_b32 v6, v6, v10, v8
	v_mov_b32_e32 v18, v7
	v_mov_b32_e32 v17, v6
.LBB220_1116:                           ;   in Loop: Header=BB220_668 Depth=1
	s_or_b32 exec_lo, exec_lo, s15
.LBB220_1117:                           ;   in Loop: Header=BB220_668 Depth=1
	s_or_b32 exec_lo, exec_lo, s13
.LBB220_1118:                           ;   in Loop: Header=BB220_668 Depth=1
	s_or_b32 exec_lo, exec_lo, s7
	v_cmp_ne_u16_sdwa s4, v13, v7 src0_sel:BYTE_1 src1_sel:DWORD
	s_and_saveexec_b32 s7, s4
	s_cbranch_execz .LBB220_1126
; %bb.1119:                             ;   in Loop: Header=BB220_668 Depth=1
	v_mov_b32_e32 v8, v7
	v_mov_b32_e32 v20, v9
	v_cmp_ne_u16_sdwa s4, v13, v66 src0_sel:BYTE_1 src1_sel:DWORD
	v_mov_b32_e32 v19, v8
	s_and_saveexec_b32 s13, s4
	s_cbranch_execz .LBB220_1125
; %bb.1120:                             ;   in Loop: Header=BB220_668 Depth=1
	v_and_b32_sdwa v6, v70, v13 dst_sel:DWORD dst_unused:UNUSED_PAD src0_sel:DWORD src1_sel:BYTE_1
	v_mov_b32_e32 v11, v7
	v_mov_b32_e32 v20, v12
	s_mov_b32 s15, exec_lo
	v_and_b32_e32 v10, 0x7f, v6
	v_mov_b32_e32 v19, v11
	v_cmpx_ne_u32_e32 0x7f, v10
	s_cbranch_execz .LBB220_1124
; %bb.1121:                             ;   in Loop: Header=BB220_668 Depth=1
	v_and_b32_e32 v6, 7, v6
	v_lshrrev_b32_e32 v8, 3, v10
	s_mov_b32 s18, exec_lo
	v_cmpx_gt_u32_e32 8, v10
; %bb.1122:                             ;   in Loop: Header=BB220_668 Depth=1
	v_ffbh_u32_e32 v8, v6
	v_min_u32_e32 v8, 32, v8
	v_subrev_nc_u32_e32 v10, 28, v8
	v_sub_nc_u32_e32 v8, 29, v8
	v_lshlrev_b64 v[10:11], v10, v[6:7]
	v_and_b32_e32 v6, 7, v10
; %bb.1123:                             ;   in Loop: Header=BB220_668 Depth=1
	s_or_b32 exec_lo, exec_lo, s18
	v_lshlrev_b32_e32 v10, 16, v13
	v_lshlrev_b32_e32 v6, 20, v6
	v_lshl_add_u32 v8, v8, 23, 0x3c000000
	v_mov_b32_e32 v19, v7
	v_and_b32_e32 v10, 0x80000000, v10
	v_or3_b32 v20, v6, v10, v8
.LBB220_1124:                           ;   in Loop: Header=BB220_668 Depth=1
	s_or_b32 exec_lo, exec_lo, s15
.LBB220_1125:                           ;   in Loop: Header=BB220_668 Depth=1
	s_or_b32 exec_lo, exec_lo, s13
.LBB220_1126:                           ;   in Loop: Header=BB220_668 Depth=1
	s_or_b32 exec_lo, exec_lo, s7
	v_mov_b32_e32 v10, 0
	v_mov_b32_e32 v21, 0
	v_and_b32_sdwa v6, v13, v68 dst_sel:DWORD dst_unused:UNUSED_PAD src0_sel:WORD_1 src1_sel:DWORD
	v_mov_b32_e32 v11, 0
	v_mov_b32_e32 v22, 0
	s_mov_b32 s7, exec_lo
	v_cmpx_ne_u16_e32 0, v6
	s_cbranch_execz .LBB220_1134
; %bb.1127:                             ;   in Loop: Header=BB220_668 Depth=1
	v_bfrev_b32_e32 v21, 1
	v_mov_b32_e32 v22, 0
	s_mov_b32 s13, exec_lo
	v_cmpx_ne_u16_e32 0x80, v6
	s_cbranch_execz .LBB220_1133
; %bb.1128:                             ;   in Loop: Header=BB220_668 Depth=1
	v_mov_b32_e32 v21, 0x7f800001
	v_bfe_u32 v14, v13, 16, 7
	v_mov_b32_e32 v22, 0
	s_mov_b32 s15, exec_lo
	v_cmpx_ne_u32_e32 0x7f, v14
	s_cbranch_execz .LBB220_1132
; %bb.1129:                             ;   in Loop: Header=BB220_668 Depth=1
	v_mov_b32_e32 v6, 7
	v_lshrrev_b32_e32 v8, 3, v14
	s_mov_b32 s18, exec_lo
	v_and_b32_sdwa v6, v13, v6 dst_sel:DWORD dst_unused:UNUSED_PAD src0_sel:WORD_1 src1_sel:DWORD
	v_cmpx_gt_u32_e32 8, v14
; %bb.1130:                             ;   in Loop: Header=BB220_668 Depth=1
	v_ffbh_u32_e32 v8, v6
	v_min_u32_e32 v8, 32, v8
	v_subrev_nc_u32_e32 v14, 28, v8
	v_sub_nc_u32_e32 v8, 29, v8
	v_lshlrev_b64 v[21:22], v14, v[6:7]
	v_and_b32_e32 v6, 7, v21
; %bb.1131:                             ;   in Loop: Header=BB220_668 Depth=1
	s_or_b32 exec_lo, exec_lo, s18
	v_mov_b32_e32 v14, 24
	v_lshlrev_b32_e32 v6, 20, v6
	v_lshl_add_u32 v8, v8, 23, 0x3c000000
	v_lshlrev_b32_sdwa v14, v14, v13 dst_sel:DWORD dst_unused:UNUSED_PAD src0_sel:DWORD src1_sel:WORD_1
	v_and_b32_e32 v14, 0x80000000, v14
	v_or3_b32 v6, v6, v14, v8
	v_mov_b32_e32 v22, v7
	v_mov_b32_e32 v21, v6
.LBB220_1132:                           ;   in Loop: Header=BB220_668 Depth=1
	s_or_b32 exec_lo, exec_lo, s15
.LBB220_1133:                           ;   in Loop: Header=BB220_668 Depth=1
	s_or_b32 exec_lo, exec_lo, s13
.LBB220_1134:                           ;   in Loop: Header=BB220_668 Depth=1
	s_or_b32 exec_lo, exec_lo, s7
	s_mov_b32 s7, exec_lo
	v_cmpx_lt_u32_e32 0xffffff, v13
	s_cbranch_execz .LBB220_1142
; %bb.1135:                             ;   in Loop: Header=BB220_668 Depth=1
	v_mov_b32_e32 v8, v7
	v_mov_b32_e32 v11, v9
	v_cmp_ne_u32_sdwa s4, v13, v66 src0_sel:BYTE_3 src1_sel:DWORD
	v_mov_b32_e32 v10, v8
	s_and_saveexec_b32 s13, s4
	s_cbranch_execz .LBB220_1141
; %bb.1136:                             ;   in Loop: Header=BB220_668 Depth=1
	v_mov_b32_e32 v11, v7
	v_bfe_u32 v14, v13, 24, 7
	s_mov_b32 s15, exec_lo
	v_mov_b32_e32 v10, v11
	v_mov_b32_e32 v11, v12
	v_cmpx_ne_u32_e32 0x7f, v14
	s_cbranch_execz .LBB220_1140
; %bb.1137:                             ;   in Loop: Header=BB220_668 Depth=1
	v_mov_b32_e32 v6, 7
	v_lshrrev_b32_e32 v8, 3, v14
	s_mov_b32 s18, exec_lo
	v_and_b32_sdwa v6, v13, v6 dst_sel:DWORD dst_unused:UNUSED_PAD src0_sel:BYTE_3 src1_sel:DWORD
	v_cmpx_gt_u32_e32 8, v14
; %bb.1138:                             ;   in Loop: Header=BB220_668 Depth=1
	v_ffbh_u32_e32 v8, v6
	v_min_u32_e32 v8, 32, v8
	v_subrev_nc_u32_e32 v10, 28, v8
	v_sub_nc_u32_e32 v8, 29, v8
	v_lshlrev_b64 v[10:11], v10, v[6:7]
	v_and_b32_e32 v6, 7, v10
; %bb.1139:                             ;   in Loop: Header=BB220_668 Depth=1
	s_or_b32 exec_lo, exec_lo, s18
	v_mov_b32_e32 v10, 24
	v_lshlrev_b32_e32 v6, 20, v6
	v_lshl_add_u32 v8, v8, 23, 0x3c000000
	v_lshlrev_b32_sdwa v10, v10, v13 dst_sel:DWORD dst_unused:UNUSED_PAD src0_sel:DWORD src1_sel:BYTE_3
	v_and_b32_e32 v10, 0x80000000, v10
	v_or3_b32 v11, v6, v10, v8
	v_mov_b32_e32 v10, v7
.LBB220_1140:                           ;   in Loop: Header=BB220_668 Depth=1
	s_or_b32 exec_lo, exec_lo, s15
.LBB220_1141:                           ;   in Loop: Header=BB220_668 Depth=1
	s_or_b32 exec_lo, exec_lo, s13
.LBB220_1142:                           ;   in Loop: Header=BB220_668 Depth=1
	s_or_b32 exec_lo, exec_lo, s7
	v_or_b32_e32 v6, v20, v18
	v_or_b32_e32 v8, v19, v17
	;; [unrolled: 1-line block ×4, first 2 shown]
	v_mul_f32_e32 v108, v81, v6
	v_mul_f32_e32 v107, v65, v8
	;; [unrolled: 1-line block ×4, first 2 shown]
	s_and_saveexec_b32 s7, vcc_lo
	s_cbranch_execz .LBB220_1144
; %bb.1143:                             ;   in Loop: Header=BB220_668 Depth=1
	v_cmp_lt_i32_e64 s4, v98, v28
	v_cndmask_b32_e64 v107, 0, v107, s4
	v_cmp_lt_i32_e64 s4, v100, v28
	v_cndmask_b32_e64 v108, 0, v108, s4
	v_cmp_lt_i32_e64 s4, v99, v28
	v_cndmask_b32_e64 v106, 0, v106, s4
	v_cmp_lt_i32_e64 s4, v71, v28
	v_cndmask_b32_e64 v105, 0, v105, s4
.LBB220_1144:                           ;   in Loop: Header=BB220_668 Depth=1
	s_or_b32 exec_lo, exec_lo, s7
	flat_load_dword v13, v[0:1] offset:1792
	v_mov_b32_e32 v19, 0
	v_mov_b32_e32 v17, 0
	;; [unrolled: 1-line block ×4, first 2 shown]
	s_waitcnt vmcnt(0) lgkmcnt(0)
	v_cmp_ne_u16_sdwa s4, v13, v7 src0_sel:BYTE_0 src1_sel:DWORD
	s_and_saveexec_b32 s7, s4
	s_cbranch_execz .LBB220_1152
; %bb.1145:                             ;   in Loop: Header=BB220_668 Depth=1
	v_bfrev_b32_e32 v17, 1
	v_mov_b32_e32 v18, 0
	v_cmp_ne_u16_sdwa s4, v13, v66 src0_sel:BYTE_0 src1_sel:DWORD
	s_and_saveexec_b32 s13, s4
	s_cbranch_execz .LBB220_1151
; %bb.1146:                             ;   in Loop: Header=BB220_668 Depth=1
	v_mov_b32_e32 v17, 0x7f800001
	v_and_b32_e32 v10, 0x7f, v13
	v_mov_b32_e32 v18, 0
	s_mov_b32 s15, exec_lo
	v_cmpx_ne_u32_e32 0x7f, v10
	s_cbranch_execz .LBB220_1150
; %bb.1147:                             ;   in Loop: Header=BB220_668 Depth=1
	v_and_b32_e32 v6, 7, v13
	v_lshrrev_b32_e32 v8, 3, v10
	s_mov_b32 s18, exec_lo
	v_cmpx_gt_u32_e32 8, v10
; %bb.1148:                             ;   in Loop: Header=BB220_668 Depth=1
	v_ffbh_u32_e32 v8, v6
	v_min_u32_e32 v8, 32, v8
	v_subrev_nc_u32_e32 v10, 28, v8
	v_sub_nc_u32_e32 v8, 29, v8
	v_lshlrev_b64 v[10:11], v10, v[6:7]
	v_and_b32_e32 v6, 7, v10
; %bb.1149:                             ;   in Loop: Header=BB220_668 Depth=1
	s_or_b32 exec_lo, exec_lo, s18
	v_lshlrev_b32_e32 v10, 24, v13
	v_lshlrev_b32_e32 v6, 20, v6
	v_lshl_add_u32 v8, v8, 23, 0x3c000000
	v_and_b32_e32 v10, 0x80000000, v10
	v_or3_b32 v6, v6, v10, v8
	v_mov_b32_e32 v18, v7
	v_mov_b32_e32 v17, v6
.LBB220_1150:                           ;   in Loop: Header=BB220_668 Depth=1
	s_or_b32 exec_lo, exec_lo, s15
.LBB220_1151:                           ;   in Loop: Header=BB220_668 Depth=1
	s_or_b32 exec_lo, exec_lo, s13
.LBB220_1152:                           ;   in Loop: Header=BB220_668 Depth=1
	s_or_b32 exec_lo, exec_lo, s7
	v_cmp_ne_u16_sdwa s4, v13, v7 src0_sel:BYTE_1 src1_sel:DWORD
	s_and_saveexec_b32 s7, s4
	s_cbranch_execz .LBB220_1160
; %bb.1153:                             ;   in Loop: Header=BB220_668 Depth=1
	v_mov_b32_e32 v8, v7
	v_mov_b32_e32 v20, v9
	v_cmp_ne_u16_sdwa s4, v13, v66 src0_sel:BYTE_1 src1_sel:DWORD
	v_mov_b32_e32 v19, v8
	s_and_saveexec_b32 s13, s4
	s_cbranch_execz .LBB220_1159
; %bb.1154:                             ;   in Loop: Header=BB220_668 Depth=1
	v_and_b32_sdwa v6, v70, v13 dst_sel:DWORD dst_unused:UNUSED_PAD src0_sel:DWORD src1_sel:BYTE_1
	v_mov_b32_e32 v11, v7
	v_mov_b32_e32 v20, v12
	s_mov_b32 s15, exec_lo
	v_and_b32_e32 v10, 0x7f, v6
	v_mov_b32_e32 v19, v11
	v_cmpx_ne_u32_e32 0x7f, v10
	s_cbranch_execz .LBB220_1158
; %bb.1155:                             ;   in Loop: Header=BB220_668 Depth=1
	v_and_b32_e32 v6, 7, v6
	v_lshrrev_b32_e32 v8, 3, v10
	s_mov_b32 s18, exec_lo
	v_cmpx_gt_u32_e32 8, v10
; %bb.1156:                             ;   in Loop: Header=BB220_668 Depth=1
	v_ffbh_u32_e32 v8, v6
	v_min_u32_e32 v8, 32, v8
	v_subrev_nc_u32_e32 v10, 28, v8
	v_sub_nc_u32_e32 v8, 29, v8
	v_lshlrev_b64 v[10:11], v10, v[6:7]
	v_and_b32_e32 v6, 7, v10
; %bb.1157:                             ;   in Loop: Header=BB220_668 Depth=1
	s_or_b32 exec_lo, exec_lo, s18
	v_lshlrev_b32_e32 v10, 16, v13
	v_lshlrev_b32_e32 v6, 20, v6
	v_lshl_add_u32 v8, v8, 23, 0x3c000000
	v_mov_b32_e32 v19, v7
	v_and_b32_e32 v10, 0x80000000, v10
	v_or3_b32 v20, v6, v10, v8
.LBB220_1158:                           ;   in Loop: Header=BB220_668 Depth=1
	s_or_b32 exec_lo, exec_lo, s15
.LBB220_1159:                           ;   in Loop: Header=BB220_668 Depth=1
	s_or_b32 exec_lo, exec_lo, s13
.LBB220_1160:                           ;   in Loop: Header=BB220_668 Depth=1
	s_or_b32 exec_lo, exec_lo, s7
	v_mov_b32_e32 v10, 0
	v_mov_b32_e32 v21, 0
	v_and_b32_sdwa v6, v13, v68 dst_sel:DWORD dst_unused:UNUSED_PAD src0_sel:WORD_1 src1_sel:DWORD
	v_mov_b32_e32 v11, 0
	v_mov_b32_e32 v22, 0
	s_mov_b32 s7, exec_lo
	v_cmpx_ne_u16_e32 0, v6
	s_cbranch_execz .LBB220_1168
; %bb.1161:                             ;   in Loop: Header=BB220_668 Depth=1
	v_bfrev_b32_e32 v21, 1
	v_mov_b32_e32 v22, 0
	s_mov_b32 s13, exec_lo
	v_cmpx_ne_u16_e32 0x80, v6
	s_cbranch_execz .LBB220_1167
; %bb.1162:                             ;   in Loop: Header=BB220_668 Depth=1
	v_mov_b32_e32 v21, 0x7f800001
	v_bfe_u32 v14, v13, 16, 7
	v_mov_b32_e32 v22, 0
	s_mov_b32 s15, exec_lo
	v_cmpx_ne_u32_e32 0x7f, v14
	s_cbranch_execz .LBB220_1166
; %bb.1163:                             ;   in Loop: Header=BB220_668 Depth=1
	v_mov_b32_e32 v6, 7
	v_lshrrev_b32_e32 v8, 3, v14
	s_mov_b32 s18, exec_lo
	v_and_b32_sdwa v6, v13, v6 dst_sel:DWORD dst_unused:UNUSED_PAD src0_sel:WORD_1 src1_sel:DWORD
	v_cmpx_gt_u32_e32 8, v14
; %bb.1164:                             ;   in Loop: Header=BB220_668 Depth=1
	v_ffbh_u32_e32 v8, v6
	v_min_u32_e32 v8, 32, v8
	v_subrev_nc_u32_e32 v14, 28, v8
	v_sub_nc_u32_e32 v8, 29, v8
	v_lshlrev_b64 v[21:22], v14, v[6:7]
	v_and_b32_e32 v6, 7, v21
; %bb.1165:                             ;   in Loop: Header=BB220_668 Depth=1
	s_or_b32 exec_lo, exec_lo, s18
	v_mov_b32_e32 v14, 24
	v_lshlrev_b32_e32 v6, 20, v6
	v_lshl_add_u32 v8, v8, 23, 0x3c000000
	v_lshlrev_b32_sdwa v14, v14, v13 dst_sel:DWORD dst_unused:UNUSED_PAD src0_sel:DWORD src1_sel:WORD_1
	v_and_b32_e32 v14, 0x80000000, v14
	v_or3_b32 v6, v6, v14, v8
	v_mov_b32_e32 v22, v7
	v_mov_b32_e32 v21, v6
.LBB220_1166:                           ;   in Loop: Header=BB220_668 Depth=1
	s_or_b32 exec_lo, exec_lo, s15
.LBB220_1167:                           ;   in Loop: Header=BB220_668 Depth=1
	s_or_b32 exec_lo, exec_lo, s13
.LBB220_1168:                           ;   in Loop: Header=BB220_668 Depth=1
	s_or_b32 exec_lo, exec_lo, s7
	s_mov_b32 s7, exec_lo
	v_cmpx_lt_u32_e32 0xffffff, v13
	s_cbranch_execz .LBB220_1176
; %bb.1169:                             ;   in Loop: Header=BB220_668 Depth=1
	v_mov_b32_e32 v8, v7
	v_mov_b32_e32 v11, v9
	v_cmp_ne_u32_sdwa s4, v13, v66 src0_sel:BYTE_3 src1_sel:DWORD
	v_mov_b32_e32 v10, v8
	s_and_saveexec_b32 s13, s4
	s_cbranch_execz .LBB220_1175
; %bb.1170:                             ;   in Loop: Header=BB220_668 Depth=1
	v_mov_b32_e32 v11, v7
	v_bfe_u32 v14, v13, 24, 7
	s_mov_b32 s15, exec_lo
	v_mov_b32_e32 v10, v11
	v_mov_b32_e32 v11, v12
	v_cmpx_ne_u32_e32 0x7f, v14
	s_cbranch_execz .LBB220_1174
; %bb.1171:                             ;   in Loop: Header=BB220_668 Depth=1
	v_mov_b32_e32 v6, 7
	v_lshrrev_b32_e32 v8, 3, v14
	s_mov_b32 s18, exec_lo
	v_and_b32_sdwa v6, v13, v6 dst_sel:DWORD dst_unused:UNUSED_PAD src0_sel:BYTE_3 src1_sel:DWORD
	v_cmpx_gt_u32_e32 8, v14
; %bb.1172:                             ;   in Loop: Header=BB220_668 Depth=1
	v_ffbh_u32_e32 v8, v6
	v_min_u32_e32 v8, 32, v8
	v_subrev_nc_u32_e32 v10, 28, v8
	v_sub_nc_u32_e32 v8, 29, v8
	v_lshlrev_b64 v[10:11], v10, v[6:7]
	v_and_b32_e32 v6, 7, v10
; %bb.1173:                             ;   in Loop: Header=BB220_668 Depth=1
	s_or_b32 exec_lo, exec_lo, s18
	v_mov_b32_e32 v10, 24
	v_lshlrev_b32_e32 v6, 20, v6
	v_lshl_add_u32 v8, v8, 23, 0x3c000000
	v_lshlrev_b32_sdwa v10, v10, v13 dst_sel:DWORD dst_unused:UNUSED_PAD src0_sel:DWORD src1_sel:BYTE_3
	v_and_b32_e32 v10, 0x80000000, v10
	v_or3_b32 v11, v6, v10, v8
	v_mov_b32_e32 v10, v7
.LBB220_1174:                           ;   in Loop: Header=BB220_668 Depth=1
	s_or_b32 exec_lo, exec_lo, s15
.LBB220_1175:                           ;   in Loop: Header=BB220_668 Depth=1
	s_or_b32 exec_lo, exec_lo, s13
.LBB220_1176:                           ;   in Loop: Header=BB220_668 Depth=1
	s_or_b32 exec_lo, exec_lo, s7
	v_or_b32_e32 v6, v20, v18
	v_or_b32_e32 v8, v19, v17
	;; [unrolled: 1-line block ×4, first 2 shown]
	v_mul_f32_e32 v120, v81, v6
	v_mul_f32_e32 v111, v65, v8
	;; [unrolled: 1-line block ×4, first 2 shown]
	s_and_saveexec_b32 s7, vcc_lo
	s_cbranch_execz .LBB220_1178
; %bb.1177:                             ;   in Loop: Header=BB220_668 Depth=1
	v_cmp_lt_i32_e64 s4, v98, v28
	v_cndmask_b32_e64 v111, 0, v111, s4
	v_cmp_lt_i32_e64 s4, v100, v28
	v_cndmask_b32_e64 v120, 0, v120, s4
	;; [unrolled: 2-line block ×4, first 2 shown]
.LBB220_1178:                           ;   in Loop: Header=BB220_668 Depth=1
	s_or_b32 exec_lo, exec_lo, s7
	flat_load_dword v13, v[0:1] offset:1920
	v_mov_b32_e32 v19, 0
	v_mov_b32_e32 v17, 0
	;; [unrolled: 1-line block ×4, first 2 shown]
	s_waitcnt vmcnt(0) lgkmcnt(0)
	v_cmp_ne_u16_sdwa s4, v13, v7 src0_sel:BYTE_0 src1_sel:DWORD
	s_and_saveexec_b32 s7, s4
	s_cbranch_execz .LBB220_1186
; %bb.1179:                             ;   in Loop: Header=BB220_668 Depth=1
	v_bfrev_b32_e32 v17, 1
	v_mov_b32_e32 v18, 0
	v_cmp_ne_u16_sdwa s4, v13, v66 src0_sel:BYTE_0 src1_sel:DWORD
	s_and_saveexec_b32 s13, s4
	s_cbranch_execz .LBB220_1185
; %bb.1180:                             ;   in Loop: Header=BB220_668 Depth=1
	v_mov_b32_e32 v17, 0x7f800001
	v_and_b32_e32 v10, 0x7f, v13
	v_mov_b32_e32 v18, 0
	s_mov_b32 s15, exec_lo
	v_cmpx_ne_u32_e32 0x7f, v10
	s_cbranch_execz .LBB220_1184
; %bb.1181:                             ;   in Loop: Header=BB220_668 Depth=1
	v_and_b32_e32 v6, 7, v13
	v_lshrrev_b32_e32 v8, 3, v10
	s_mov_b32 s18, exec_lo
	v_cmpx_gt_u32_e32 8, v10
; %bb.1182:                             ;   in Loop: Header=BB220_668 Depth=1
	v_ffbh_u32_e32 v8, v6
	v_min_u32_e32 v8, 32, v8
	v_subrev_nc_u32_e32 v10, 28, v8
	v_sub_nc_u32_e32 v8, 29, v8
	v_lshlrev_b64 v[10:11], v10, v[6:7]
	v_and_b32_e32 v6, 7, v10
; %bb.1183:                             ;   in Loop: Header=BB220_668 Depth=1
	s_or_b32 exec_lo, exec_lo, s18
	v_lshlrev_b32_e32 v10, 24, v13
	v_lshlrev_b32_e32 v6, 20, v6
	v_lshl_add_u32 v8, v8, 23, 0x3c000000
	v_and_b32_e32 v10, 0x80000000, v10
	v_or3_b32 v6, v6, v10, v8
	v_mov_b32_e32 v18, v7
	v_mov_b32_e32 v17, v6
.LBB220_1184:                           ;   in Loop: Header=BB220_668 Depth=1
	s_or_b32 exec_lo, exec_lo, s15
.LBB220_1185:                           ;   in Loop: Header=BB220_668 Depth=1
	s_or_b32 exec_lo, exec_lo, s13
.LBB220_1186:                           ;   in Loop: Header=BB220_668 Depth=1
	s_or_b32 exec_lo, exec_lo, s7
	v_cmp_ne_u16_sdwa s4, v13, v7 src0_sel:BYTE_1 src1_sel:DWORD
	s_and_saveexec_b32 s7, s4
	s_cbranch_execz .LBB220_1194
; %bb.1187:                             ;   in Loop: Header=BB220_668 Depth=1
	v_mov_b32_e32 v8, v7
	v_mov_b32_e32 v20, v9
	v_cmp_ne_u16_sdwa s4, v13, v66 src0_sel:BYTE_1 src1_sel:DWORD
	v_mov_b32_e32 v19, v8
	s_and_saveexec_b32 s13, s4
	s_cbranch_execz .LBB220_1193
; %bb.1188:                             ;   in Loop: Header=BB220_668 Depth=1
	v_and_b32_sdwa v6, v70, v13 dst_sel:DWORD dst_unused:UNUSED_PAD src0_sel:DWORD src1_sel:BYTE_1
	v_mov_b32_e32 v11, v7
	v_mov_b32_e32 v20, v12
	s_mov_b32 s15, exec_lo
	v_and_b32_e32 v10, 0x7f, v6
	v_mov_b32_e32 v19, v11
	v_cmpx_ne_u32_e32 0x7f, v10
	s_cbranch_execz .LBB220_1192
; %bb.1189:                             ;   in Loop: Header=BB220_668 Depth=1
	v_and_b32_e32 v6, 7, v6
	v_lshrrev_b32_e32 v8, 3, v10
	s_mov_b32 s18, exec_lo
	v_cmpx_gt_u32_e32 8, v10
; %bb.1190:                             ;   in Loop: Header=BB220_668 Depth=1
	v_ffbh_u32_e32 v8, v6
	v_min_u32_e32 v8, 32, v8
	v_subrev_nc_u32_e32 v10, 28, v8
	v_sub_nc_u32_e32 v8, 29, v8
	v_lshlrev_b64 v[10:11], v10, v[6:7]
	v_and_b32_e32 v6, 7, v10
; %bb.1191:                             ;   in Loop: Header=BB220_668 Depth=1
	s_or_b32 exec_lo, exec_lo, s18
	v_lshlrev_b32_e32 v10, 16, v13
	v_lshlrev_b32_e32 v6, 20, v6
	v_lshl_add_u32 v8, v8, 23, 0x3c000000
	v_mov_b32_e32 v19, v7
	v_and_b32_e32 v10, 0x80000000, v10
	v_or3_b32 v20, v6, v10, v8
.LBB220_1192:                           ;   in Loop: Header=BB220_668 Depth=1
	s_or_b32 exec_lo, exec_lo, s15
.LBB220_1193:                           ;   in Loop: Header=BB220_668 Depth=1
	s_or_b32 exec_lo, exec_lo, s13
.LBB220_1194:                           ;   in Loop: Header=BB220_668 Depth=1
	s_or_b32 exec_lo, exec_lo, s7
	v_mov_b32_e32 v10, 0
	v_mov_b32_e32 v21, 0
	v_and_b32_sdwa v6, v13, v68 dst_sel:DWORD dst_unused:UNUSED_PAD src0_sel:WORD_1 src1_sel:DWORD
	v_mov_b32_e32 v11, 0
	v_mov_b32_e32 v22, 0
	s_mov_b32 s7, exec_lo
	v_cmpx_ne_u16_e32 0, v6
	s_cbranch_execz .LBB220_1202
; %bb.1195:                             ;   in Loop: Header=BB220_668 Depth=1
	v_bfrev_b32_e32 v21, 1
	v_mov_b32_e32 v22, 0
	s_mov_b32 s13, exec_lo
	v_cmpx_ne_u16_e32 0x80, v6
	s_cbranch_execz .LBB220_1201
; %bb.1196:                             ;   in Loop: Header=BB220_668 Depth=1
	v_mov_b32_e32 v21, 0x7f800001
	v_bfe_u32 v14, v13, 16, 7
	v_mov_b32_e32 v22, 0
	s_mov_b32 s15, exec_lo
	v_cmpx_ne_u32_e32 0x7f, v14
	s_cbranch_execz .LBB220_1200
; %bb.1197:                             ;   in Loop: Header=BB220_668 Depth=1
	v_mov_b32_e32 v6, 7
	v_lshrrev_b32_e32 v8, 3, v14
	s_mov_b32 s18, exec_lo
	v_and_b32_sdwa v6, v13, v6 dst_sel:DWORD dst_unused:UNUSED_PAD src0_sel:WORD_1 src1_sel:DWORD
	v_cmpx_gt_u32_e32 8, v14
; %bb.1198:                             ;   in Loop: Header=BB220_668 Depth=1
	v_ffbh_u32_e32 v8, v6
	v_min_u32_e32 v8, 32, v8
	v_subrev_nc_u32_e32 v14, 28, v8
	v_sub_nc_u32_e32 v8, 29, v8
	v_lshlrev_b64 v[21:22], v14, v[6:7]
	v_and_b32_e32 v6, 7, v21
; %bb.1199:                             ;   in Loop: Header=BB220_668 Depth=1
	s_or_b32 exec_lo, exec_lo, s18
	v_mov_b32_e32 v14, 24
	v_lshlrev_b32_e32 v6, 20, v6
	v_lshl_add_u32 v8, v8, 23, 0x3c000000
	v_lshlrev_b32_sdwa v14, v14, v13 dst_sel:DWORD dst_unused:UNUSED_PAD src0_sel:DWORD src1_sel:WORD_1
	v_and_b32_e32 v14, 0x80000000, v14
	v_or3_b32 v6, v6, v14, v8
	v_mov_b32_e32 v22, v7
	v_mov_b32_e32 v21, v6
.LBB220_1200:                           ;   in Loop: Header=BB220_668 Depth=1
	s_or_b32 exec_lo, exec_lo, s15
.LBB220_1201:                           ;   in Loop: Header=BB220_668 Depth=1
	s_or_b32 exec_lo, exec_lo, s13
.LBB220_1202:                           ;   in Loop: Header=BB220_668 Depth=1
	s_or_b32 exec_lo, exec_lo, s7
	s_mov_b32 s7, exec_lo
	v_cmpx_lt_u32_e32 0xffffff, v13
	s_cbranch_execz .LBB220_1210
; %bb.1203:                             ;   in Loop: Header=BB220_668 Depth=1
	v_mov_b32_e32 v8, v7
	v_mov_b32_e32 v11, v9
	v_cmp_ne_u32_sdwa s4, v13, v66 src0_sel:BYTE_3 src1_sel:DWORD
	v_mov_b32_e32 v10, v8
	s_and_saveexec_b32 s13, s4
	s_cbranch_execz .LBB220_1209
; %bb.1204:                             ;   in Loop: Header=BB220_668 Depth=1
	v_mov_b32_e32 v11, v7
	v_bfe_u32 v14, v13, 24, 7
	s_mov_b32 s15, exec_lo
	v_mov_b32_e32 v10, v11
	v_mov_b32_e32 v11, v12
	v_cmpx_ne_u32_e32 0x7f, v14
	s_cbranch_execz .LBB220_1208
; %bb.1205:                             ;   in Loop: Header=BB220_668 Depth=1
	v_mov_b32_e32 v6, 7
	v_lshrrev_b32_e32 v8, 3, v14
	s_mov_b32 s18, exec_lo
	v_and_b32_sdwa v6, v13, v6 dst_sel:DWORD dst_unused:UNUSED_PAD src0_sel:BYTE_3 src1_sel:DWORD
	v_cmpx_gt_u32_e32 8, v14
; %bb.1206:                             ;   in Loop: Header=BB220_668 Depth=1
	v_ffbh_u32_e32 v8, v6
	v_min_u32_e32 v8, 32, v8
	v_subrev_nc_u32_e32 v10, 28, v8
	v_sub_nc_u32_e32 v8, 29, v8
	v_lshlrev_b64 v[10:11], v10, v[6:7]
	v_and_b32_e32 v6, 7, v10
; %bb.1207:                             ;   in Loop: Header=BB220_668 Depth=1
	s_or_b32 exec_lo, exec_lo, s18
	v_mov_b32_e32 v10, 24
	v_lshlrev_b32_e32 v6, 20, v6
	v_lshl_add_u32 v8, v8, 23, 0x3c000000
	v_lshlrev_b32_sdwa v10, v10, v13 dst_sel:DWORD dst_unused:UNUSED_PAD src0_sel:DWORD src1_sel:BYTE_3
	v_and_b32_e32 v10, 0x80000000, v10
	v_or3_b32 v11, v6, v10, v8
	v_mov_b32_e32 v10, v7
.LBB220_1208:                           ;   in Loop: Header=BB220_668 Depth=1
	s_or_b32 exec_lo, exec_lo, s15
.LBB220_1209:                           ;   in Loop: Header=BB220_668 Depth=1
	s_or_b32 exec_lo, exec_lo, s13
.LBB220_1210:                           ;   in Loop: Header=BB220_668 Depth=1
	s_or_b32 exec_lo, exec_lo, s7
	v_or_b32_e32 v6, v20, v18
	v_or_b32_e32 v8, v19, v17
	;; [unrolled: 1-line block ×4, first 2 shown]
	v_mul_f32_e32 v123, v81, v6
	v_mul_f32_e32 v124, v65, v8
	;; [unrolled: 1-line block ×4, first 2 shown]
	s_and_saveexec_b32 s7, vcc_lo
	s_cbranch_execz .LBB220_1212
; %bb.1211:                             ;   in Loop: Header=BB220_668 Depth=1
	v_cmp_lt_i32_e64 s4, v98, v28
	v_cndmask_b32_e64 v124, 0, v124, s4
	v_cmp_lt_i32_e64 s4, v100, v28
	v_cndmask_b32_e64 v123, 0, v123, s4
	;; [unrolled: 2-line block ×4, first 2 shown]
.LBB220_1212:                           ;   in Loop: Header=BB220_668 Depth=1
	s_or_b32 exec_lo, exec_lo, s7
	v_add_co_u32 v0, s4, 0x800, v0
	v_add_co_ci_u32_e64 v1, null, 0, v1, s4
	v_mov_b32_e32 v19, 0
	v_mov_b32_e32 v17, 0
	;; [unrolled: 1-line block ×3, first 2 shown]
	flat_load_dword v13, v[0:1]
	v_mov_b32_e32 v18, 0
	s_waitcnt vmcnt(0) lgkmcnt(0)
	v_cmp_ne_u16_sdwa s4, v13, v7 src0_sel:BYTE_0 src1_sel:DWORD
	s_and_saveexec_b32 s7, s4
	s_cbranch_execz .LBB220_1220
; %bb.1213:                             ;   in Loop: Header=BB220_668 Depth=1
	v_bfrev_b32_e32 v17, 1
	v_mov_b32_e32 v18, 0
	v_cmp_ne_u16_sdwa s4, v13, v66 src0_sel:BYTE_0 src1_sel:DWORD
	s_and_saveexec_b32 s13, s4
	s_cbranch_execz .LBB220_1219
; %bb.1214:                             ;   in Loop: Header=BB220_668 Depth=1
	v_mov_b32_e32 v17, 0x7f800001
	v_and_b32_e32 v10, 0x7f, v13
	v_mov_b32_e32 v18, 0
	s_mov_b32 s15, exec_lo
	v_cmpx_ne_u32_e32 0x7f, v10
	s_cbranch_execz .LBB220_1218
; %bb.1215:                             ;   in Loop: Header=BB220_668 Depth=1
	v_and_b32_e32 v6, 7, v13
	v_lshrrev_b32_e32 v8, 3, v10
	s_mov_b32 s18, exec_lo
	v_cmpx_gt_u32_e32 8, v10
; %bb.1216:                             ;   in Loop: Header=BB220_668 Depth=1
	v_ffbh_u32_e32 v8, v6
	v_min_u32_e32 v8, 32, v8
	v_subrev_nc_u32_e32 v10, 28, v8
	v_sub_nc_u32_e32 v8, 29, v8
	v_lshlrev_b64 v[10:11], v10, v[6:7]
	v_and_b32_e32 v6, 7, v10
; %bb.1217:                             ;   in Loop: Header=BB220_668 Depth=1
	s_or_b32 exec_lo, exec_lo, s18
	v_lshlrev_b32_e32 v10, 24, v13
	v_lshlrev_b32_e32 v6, 20, v6
	v_lshl_add_u32 v8, v8, 23, 0x3c000000
	v_and_b32_e32 v10, 0x80000000, v10
	v_or3_b32 v6, v6, v10, v8
	v_mov_b32_e32 v18, v7
	v_mov_b32_e32 v17, v6
.LBB220_1218:                           ;   in Loop: Header=BB220_668 Depth=1
	s_or_b32 exec_lo, exec_lo, s15
.LBB220_1219:                           ;   in Loop: Header=BB220_668 Depth=1
	s_or_b32 exec_lo, exec_lo, s13
.LBB220_1220:                           ;   in Loop: Header=BB220_668 Depth=1
	s_or_b32 exec_lo, exec_lo, s7
	v_cmp_ne_u16_sdwa s4, v13, v7 src0_sel:BYTE_1 src1_sel:DWORD
	s_and_saveexec_b32 s7, s4
	s_cbranch_execz .LBB220_1228
; %bb.1221:                             ;   in Loop: Header=BB220_668 Depth=1
	v_mov_b32_e32 v8, v7
	v_mov_b32_e32 v20, v9
	v_cmp_ne_u16_sdwa s4, v13, v66 src0_sel:BYTE_1 src1_sel:DWORD
	v_mov_b32_e32 v19, v8
	s_and_saveexec_b32 s13, s4
	s_cbranch_execz .LBB220_1227
; %bb.1222:                             ;   in Loop: Header=BB220_668 Depth=1
	v_and_b32_sdwa v6, v70, v13 dst_sel:DWORD dst_unused:UNUSED_PAD src0_sel:DWORD src1_sel:BYTE_1
	v_mov_b32_e32 v11, v7
	v_mov_b32_e32 v20, v12
	s_mov_b32 s15, exec_lo
	v_and_b32_e32 v10, 0x7f, v6
	v_mov_b32_e32 v19, v11
	v_cmpx_ne_u32_e32 0x7f, v10
	s_cbranch_execz .LBB220_1226
; %bb.1223:                             ;   in Loop: Header=BB220_668 Depth=1
	v_and_b32_e32 v6, 7, v6
	v_lshrrev_b32_e32 v8, 3, v10
	s_mov_b32 s18, exec_lo
	v_cmpx_gt_u32_e32 8, v10
; %bb.1224:                             ;   in Loop: Header=BB220_668 Depth=1
	v_ffbh_u32_e32 v8, v6
	v_min_u32_e32 v8, 32, v8
	v_subrev_nc_u32_e32 v10, 28, v8
	v_sub_nc_u32_e32 v8, 29, v8
	v_lshlrev_b64 v[10:11], v10, v[6:7]
	v_and_b32_e32 v6, 7, v10
; %bb.1225:                             ;   in Loop: Header=BB220_668 Depth=1
	s_or_b32 exec_lo, exec_lo, s18
	v_lshlrev_b32_e32 v10, 16, v13
	v_lshlrev_b32_e32 v6, 20, v6
	v_lshl_add_u32 v8, v8, 23, 0x3c000000
	v_mov_b32_e32 v19, v7
	v_and_b32_e32 v10, 0x80000000, v10
	v_or3_b32 v20, v6, v10, v8
.LBB220_1226:                           ;   in Loop: Header=BB220_668 Depth=1
	s_or_b32 exec_lo, exec_lo, s15
.LBB220_1227:                           ;   in Loop: Header=BB220_668 Depth=1
	s_or_b32 exec_lo, exec_lo, s13
.LBB220_1228:                           ;   in Loop: Header=BB220_668 Depth=1
	s_or_b32 exec_lo, exec_lo, s7
	v_mov_b32_e32 v10, 0
	v_mov_b32_e32 v21, 0
	v_and_b32_sdwa v6, v13, v68 dst_sel:DWORD dst_unused:UNUSED_PAD src0_sel:WORD_1 src1_sel:DWORD
	v_mov_b32_e32 v11, 0
	v_mov_b32_e32 v22, 0
	s_mov_b32 s7, exec_lo
	v_cmpx_ne_u16_e32 0, v6
	s_cbranch_execz .LBB220_1236
; %bb.1229:                             ;   in Loop: Header=BB220_668 Depth=1
	v_bfrev_b32_e32 v21, 1
	v_mov_b32_e32 v22, 0
	s_mov_b32 s13, exec_lo
	v_cmpx_ne_u16_e32 0x80, v6
	s_cbranch_execz .LBB220_1235
; %bb.1230:                             ;   in Loop: Header=BB220_668 Depth=1
	v_mov_b32_e32 v21, 0x7f800001
	v_bfe_u32 v14, v13, 16, 7
	v_mov_b32_e32 v22, 0
	s_mov_b32 s15, exec_lo
	v_cmpx_ne_u32_e32 0x7f, v14
	s_cbranch_execz .LBB220_1234
; %bb.1231:                             ;   in Loop: Header=BB220_668 Depth=1
	v_mov_b32_e32 v6, 7
	v_lshrrev_b32_e32 v8, 3, v14
	s_mov_b32 s18, exec_lo
	v_and_b32_sdwa v6, v13, v6 dst_sel:DWORD dst_unused:UNUSED_PAD src0_sel:WORD_1 src1_sel:DWORD
	v_cmpx_gt_u32_e32 8, v14
; %bb.1232:                             ;   in Loop: Header=BB220_668 Depth=1
	v_ffbh_u32_e32 v8, v6
	v_min_u32_e32 v8, 32, v8
	v_subrev_nc_u32_e32 v14, 28, v8
	v_sub_nc_u32_e32 v8, 29, v8
	v_lshlrev_b64 v[21:22], v14, v[6:7]
	v_and_b32_e32 v6, 7, v21
; %bb.1233:                             ;   in Loop: Header=BB220_668 Depth=1
	s_or_b32 exec_lo, exec_lo, s18
	v_mov_b32_e32 v14, 24
	v_lshlrev_b32_e32 v6, 20, v6
	v_lshl_add_u32 v8, v8, 23, 0x3c000000
	v_lshlrev_b32_sdwa v14, v14, v13 dst_sel:DWORD dst_unused:UNUSED_PAD src0_sel:DWORD src1_sel:WORD_1
	v_and_b32_e32 v14, 0x80000000, v14
	v_or3_b32 v6, v6, v14, v8
	v_mov_b32_e32 v22, v7
	v_mov_b32_e32 v21, v6
.LBB220_1234:                           ;   in Loop: Header=BB220_668 Depth=1
	s_or_b32 exec_lo, exec_lo, s15
.LBB220_1235:                           ;   in Loop: Header=BB220_668 Depth=1
	s_or_b32 exec_lo, exec_lo, s13
.LBB220_1236:                           ;   in Loop: Header=BB220_668 Depth=1
	s_or_b32 exec_lo, exec_lo, s7
	s_mov_b32 s7, exec_lo
	v_cmpx_lt_u32_e32 0xffffff, v13
	s_cbranch_execz .LBB220_1244
; %bb.1237:                             ;   in Loop: Header=BB220_668 Depth=1
	v_mov_b32_e32 v8, v7
	v_mov_b32_e32 v11, v9
	v_cmp_ne_u32_sdwa s4, v13, v66 src0_sel:BYTE_3 src1_sel:DWORD
	v_mov_b32_e32 v10, v8
	s_and_saveexec_b32 s13, s4
	s_cbranch_execz .LBB220_1243
; %bb.1238:                             ;   in Loop: Header=BB220_668 Depth=1
	v_mov_b32_e32 v11, v7
	v_bfe_u32 v14, v13, 24, 7
	s_mov_b32 s15, exec_lo
	v_mov_b32_e32 v10, v11
	v_mov_b32_e32 v11, v12
	v_cmpx_ne_u32_e32 0x7f, v14
	s_cbranch_execz .LBB220_1242
; %bb.1239:                             ;   in Loop: Header=BB220_668 Depth=1
	v_mov_b32_e32 v6, 7
	v_lshrrev_b32_e32 v8, 3, v14
	s_mov_b32 s18, exec_lo
	v_and_b32_sdwa v6, v13, v6 dst_sel:DWORD dst_unused:UNUSED_PAD src0_sel:BYTE_3 src1_sel:DWORD
	v_cmpx_gt_u32_e32 8, v14
; %bb.1240:                             ;   in Loop: Header=BB220_668 Depth=1
	v_ffbh_u32_e32 v8, v6
	v_min_u32_e32 v8, 32, v8
	v_subrev_nc_u32_e32 v10, 28, v8
	v_sub_nc_u32_e32 v8, 29, v8
	v_lshlrev_b64 v[10:11], v10, v[6:7]
	v_and_b32_e32 v6, 7, v10
; %bb.1241:                             ;   in Loop: Header=BB220_668 Depth=1
	s_or_b32 exec_lo, exec_lo, s18
	v_mov_b32_e32 v10, 24
	v_lshlrev_b32_e32 v6, 20, v6
	v_lshl_add_u32 v8, v8, 23, 0x3c000000
	v_lshlrev_b32_sdwa v10, v10, v13 dst_sel:DWORD dst_unused:UNUSED_PAD src0_sel:DWORD src1_sel:BYTE_3
	v_and_b32_e32 v10, 0x80000000, v10
	v_or3_b32 v11, v6, v10, v8
	v_mov_b32_e32 v10, v7
.LBB220_1242:                           ;   in Loop: Header=BB220_668 Depth=1
	s_or_b32 exec_lo, exec_lo, s15
.LBB220_1243:                           ;   in Loop: Header=BB220_668 Depth=1
	s_or_b32 exec_lo, exec_lo, s13
.LBB220_1244:                           ;   in Loop: Header=BB220_668 Depth=1
	s_or_b32 exec_lo, exec_lo, s7
	v_or_b32_e32 v6, v20, v18
	v_or_b32_e32 v8, v19, v17
	;; [unrolled: 1-line block ×4, first 2 shown]
	v_mul_f32_e32 v127, v81, v6
	v_mul_f32_e32 v26, v65, v8
	v_mul_f32_e32 v126, v65, v10
	v_mul_f32_e32 v125, v81, v11
	s_and_saveexec_b32 s7, vcc_lo
	s_cbranch_execz .LBB220_1246
; %bb.1245:                             ;   in Loop: Header=BB220_668 Depth=1
	v_cmp_lt_i32_e64 s4, v98, v28
	v_cndmask_b32_e64 v26, 0, v26, s4
	v_cmp_lt_i32_e64 s4, v100, v28
	v_cndmask_b32_e64 v127, 0, v127, s4
	;; [unrolled: 2-line block ×4, first 2 shown]
.LBB220_1246:                           ;   in Loop: Header=BB220_668 Depth=1
	s_or_b32 exec_lo, exec_lo, s7
	flat_load_dword v13, v[0:1] offset:128
	v_mov_b32_e32 v19, 0
	v_mov_b32_e32 v17, 0
	;; [unrolled: 1-line block ×4, first 2 shown]
	s_waitcnt vmcnt(0) lgkmcnt(0)
	v_cmp_ne_u16_sdwa s4, v13, v7 src0_sel:BYTE_0 src1_sel:DWORD
	s_and_saveexec_b32 s7, s4
	s_cbranch_execz .LBB220_1254
; %bb.1247:                             ;   in Loop: Header=BB220_668 Depth=1
	v_bfrev_b32_e32 v17, 1
	v_mov_b32_e32 v18, 0
	v_cmp_ne_u16_sdwa s4, v13, v66 src0_sel:BYTE_0 src1_sel:DWORD
	s_and_saveexec_b32 s13, s4
	s_cbranch_execz .LBB220_1253
; %bb.1248:                             ;   in Loop: Header=BB220_668 Depth=1
	v_mov_b32_e32 v17, 0x7f800001
	v_and_b32_e32 v10, 0x7f, v13
	v_mov_b32_e32 v18, 0
	s_mov_b32 s15, exec_lo
	v_cmpx_ne_u32_e32 0x7f, v10
	s_cbranch_execz .LBB220_1252
; %bb.1249:                             ;   in Loop: Header=BB220_668 Depth=1
	v_and_b32_e32 v6, 7, v13
	v_lshrrev_b32_e32 v8, 3, v10
	s_mov_b32 s18, exec_lo
	v_cmpx_gt_u32_e32 8, v10
; %bb.1250:                             ;   in Loop: Header=BB220_668 Depth=1
	v_ffbh_u32_e32 v8, v6
	v_min_u32_e32 v8, 32, v8
	v_subrev_nc_u32_e32 v10, 28, v8
	v_sub_nc_u32_e32 v8, 29, v8
	v_lshlrev_b64 v[10:11], v10, v[6:7]
	v_and_b32_e32 v6, 7, v10
; %bb.1251:                             ;   in Loop: Header=BB220_668 Depth=1
	s_or_b32 exec_lo, exec_lo, s18
	v_lshlrev_b32_e32 v10, 24, v13
	v_lshlrev_b32_e32 v6, 20, v6
	v_lshl_add_u32 v8, v8, 23, 0x3c000000
	v_and_b32_e32 v10, 0x80000000, v10
	v_or3_b32 v6, v6, v10, v8
	v_mov_b32_e32 v18, v7
	v_mov_b32_e32 v17, v6
.LBB220_1252:                           ;   in Loop: Header=BB220_668 Depth=1
	s_or_b32 exec_lo, exec_lo, s15
.LBB220_1253:                           ;   in Loop: Header=BB220_668 Depth=1
	s_or_b32 exec_lo, exec_lo, s13
.LBB220_1254:                           ;   in Loop: Header=BB220_668 Depth=1
	s_or_b32 exec_lo, exec_lo, s7
	v_cmp_ne_u16_sdwa s4, v13, v7 src0_sel:BYTE_1 src1_sel:DWORD
	s_and_saveexec_b32 s7, s4
	s_cbranch_execz .LBB220_1262
; %bb.1255:                             ;   in Loop: Header=BB220_668 Depth=1
	v_mov_b32_e32 v8, v7
	v_mov_b32_e32 v20, v9
	v_cmp_ne_u16_sdwa s4, v13, v66 src0_sel:BYTE_1 src1_sel:DWORD
	v_mov_b32_e32 v19, v8
	s_and_saveexec_b32 s13, s4
	s_cbranch_execz .LBB220_1261
; %bb.1256:                             ;   in Loop: Header=BB220_668 Depth=1
	v_and_b32_sdwa v6, v70, v13 dst_sel:DWORD dst_unused:UNUSED_PAD src0_sel:DWORD src1_sel:BYTE_1
	v_mov_b32_e32 v11, v7
	v_mov_b32_e32 v20, v12
	s_mov_b32 s15, exec_lo
	v_and_b32_e32 v10, 0x7f, v6
	v_mov_b32_e32 v19, v11
	v_cmpx_ne_u32_e32 0x7f, v10
	s_cbranch_execz .LBB220_1260
; %bb.1257:                             ;   in Loop: Header=BB220_668 Depth=1
	v_and_b32_e32 v6, 7, v6
	v_lshrrev_b32_e32 v8, 3, v10
	s_mov_b32 s18, exec_lo
	v_cmpx_gt_u32_e32 8, v10
; %bb.1258:                             ;   in Loop: Header=BB220_668 Depth=1
	v_ffbh_u32_e32 v8, v6
	v_min_u32_e32 v8, 32, v8
	v_subrev_nc_u32_e32 v10, 28, v8
	v_sub_nc_u32_e32 v8, 29, v8
	v_lshlrev_b64 v[10:11], v10, v[6:7]
	v_and_b32_e32 v6, 7, v10
; %bb.1259:                             ;   in Loop: Header=BB220_668 Depth=1
	s_or_b32 exec_lo, exec_lo, s18
	v_lshlrev_b32_e32 v10, 16, v13
	v_lshlrev_b32_e32 v6, 20, v6
	v_lshl_add_u32 v8, v8, 23, 0x3c000000
	v_mov_b32_e32 v19, v7
	v_and_b32_e32 v10, 0x80000000, v10
	v_or3_b32 v20, v6, v10, v8
.LBB220_1260:                           ;   in Loop: Header=BB220_668 Depth=1
	s_or_b32 exec_lo, exec_lo, s15
.LBB220_1261:                           ;   in Loop: Header=BB220_668 Depth=1
	s_or_b32 exec_lo, exec_lo, s13
.LBB220_1262:                           ;   in Loop: Header=BB220_668 Depth=1
	s_or_b32 exec_lo, exec_lo, s7
	v_mov_b32_e32 v10, 0
	v_mov_b32_e32 v21, 0
	v_and_b32_sdwa v6, v13, v68 dst_sel:DWORD dst_unused:UNUSED_PAD src0_sel:WORD_1 src1_sel:DWORD
	v_mov_b32_e32 v11, 0
	v_mov_b32_e32 v22, 0
	s_mov_b32 s7, exec_lo
	v_cmpx_ne_u16_e32 0, v6
	s_cbranch_execz .LBB220_1270
; %bb.1263:                             ;   in Loop: Header=BB220_668 Depth=1
	v_bfrev_b32_e32 v21, 1
	v_mov_b32_e32 v22, 0
	s_mov_b32 s13, exec_lo
	v_cmpx_ne_u16_e32 0x80, v6
	s_cbranch_execz .LBB220_1269
; %bb.1264:                             ;   in Loop: Header=BB220_668 Depth=1
	v_mov_b32_e32 v21, 0x7f800001
	v_bfe_u32 v14, v13, 16, 7
	v_mov_b32_e32 v22, 0
	s_mov_b32 s15, exec_lo
	v_cmpx_ne_u32_e32 0x7f, v14
	s_cbranch_execz .LBB220_1268
; %bb.1265:                             ;   in Loop: Header=BB220_668 Depth=1
	v_mov_b32_e32 v6, 7
	v_lshrrev_b32_e32 v8, 3, v14
	s_mov_b32 s18, exec_lo
	v_and_b32_sdwa v6, v13, v6 dst_sel:DWORD dst_unused:UNUSED_PAD src0_sel:WORD_1 src1_sel:DWORD
	v_cmpx_gt_u32_e32 8, v14
; %bb.1266:                             ;   in Loop: Header=BB220_668 Depth=1
	v_ffbh_u32_e32 v8, v6
	v_min_u32_e32 v8, 32, v8
	v_subrev_nc_u32_e32 v14, 28, v8
	v_sub_nc_u32_e32 v8, 29, v8
	v_lshlrev_b64 v[21:22], v14, v[6:7]
	v_and_b32_e32 v6, 7, v21
; %bb.1267:                             ;   in Loop: Header=BB220_668 Depth=1
	s_or_b32 exec_lo, exec_lo, s18
	v_mov_b32_e32 v14, 24
	v_lshlrev_b32_e32 v6, 20, v6
	v_lshl_add_u32 v8, v8, 23, 0x3c000000
	v_lshlrev_b32_sdwa v14, v14, v13 dst_sel:DWORD dst_unused:UNUSED_PAD src0_sel:DWORD src1_sel:WORD_1
	v_and_b32_e32 v14, 0x80000000, v14
	v_or3_b32 v6, v6, v14, v8
	v_mov_b32_e32 v22, v7
	v_mov_b32_e32 v21, v6
.LBB220_1268:                           ;   in Loop: Header=BB220_668 Depth=1
	s_or_b32 exec_lo, exec_lo, s15
.LBB220_1269:                           ;   in Loop: Header=BB220_668 Depth=1
	s_or_b32 exec_lo, exec_lo, s13
.LBB220_1270:                           ;   in Loop: Header=BB220_668 Depth=1
	s_or_b32 exec_lo, exec_lo, s7
	s_mov_b32 s7, exec_lo
	v_cmpx_lt_u32_e32 0xffffff, v13
	s_cbranch_execz .LBB220_1278
; %bb.1271:                             ;   in Loop: Header=BB220_668 Depth=1
	v_mov_b32_e32 v8, v7
	v_mov_b32_e32 v11, v9
	v_cmp_ne_u32_sdwa s4, v13, v66 src0_sel:BYTE_3 src1_sel:DWORD
	v_mov_b32_e32 v10, v8
	s_and_saveexec_b32 s13, s4
	s_cbranch_execz .LBB220_1277
; %bb.1272:                             ;   in Loop: Header=BB220_668 Depth=1
	v_mov_b32_e32 v11, v7
	v_bfe_u32 v14, v13, 24, 7
	s_mov_b32 s15, exec_lo
	v_mov_b32_e32 v10, v11
	v_mov_b32_e32 v11, v12
	v_cmpx_ne_u32_e32 0x7f, v14
	s_cbranch_execz .LBB220_1276
; %bb.1273:                             ;   in Loop: Header=BB220_668 Depth=1
	v_mov_b32_e32 v6, 7
	v_lshrrev_b32_e32 v8, 3, v14
	s_mov_b32 s18, exec_lo
	v_and_b32_sdwa v6, v13, v6 dst_sel:DWORD dst_unused:UNUSED_PAD src0_sel:BYTE_3 src1_sel:DWORD
	v_cmpx_gt_u32_e32 8, v14
; %bb.1274:                             ;   in Loop: Header=BB220_668 Depth=1
	v_ffbh_u32_e32 v8, v6
	v_min_u32_e32 v8, 32, v8
	v_subrev_nc_u32_e32 v10, 28, v8
	v_sub_nc_u32_e32 v8, 29, v8
	v_lshlrev_b64 v[10:11], v10, v[6:7]
	v_and_b32_e32 v6, 7, v10
; %bb.1275:                             ;   in Loop: Header=BB220_668 Depth=1
	s_or_b32 exec_lo, exec_lo, s18
	v_mov_b32_e32 v10, 24
	v_lshlrev_b32_e32 v6, 20, v6
	v_lshl_add_u32 v8, v8, 23, 0x3c000000
	v_lshlrev_b32_sdwa v10, v10, v13 dst_sel:DWORD dst_unused:UNUSED_PAD src0_sel:DWORD src1_sel:BYTE_3
	v_and_b32_e32 v10, 0x80000000, v10
	v_or3_b32 v11, v6, v10, v8
	v_mov_b32_e32 v10, v7
.LBB220_1276:                           ;   in Loop: Header=BB220_668 Depth=1
	s_or_b32 exec_lo, exec_lo, s15
.LBB220_1277:                           ;   in Loop: Header=BB220_668 Depth=1
	s_or_b32 exec_lo, exec_lo, s13
.LBB220_1278:                           ;   in Loop: Header=BB220_668 Depth=1
	s_or_b32 exec_lo, exec_lo, s7
	v_or_b32_e32 v6, v20, v18
	v_or_b32_e32 v8, v19, v17
	;; [unrolled: 1-line block ×4, first 2 shown]
	v_mul_f32_e32 v25, v81, v6
	v_mul_f32_e32 v23, v65, v8
	;; [unrolled: 1-line block ×4, first 2 shown]
	s_and_saveexec_b32 s7, vcc_lo
	s_cbranch_execz .LBB220_1280
; %bb.1279:                             ;   in Loop: Header=BB220_668 Depth=1
	v_cmp_lt_i32_e64 s4, v98, v28
	v_cndmask_b32_e64 v23, 0, v23, s4
	v_cmp_lt_i32_e64 s4, v100, v28
	v_cndmask_b32_e64 v25, 0, v25, s4
	;; [unrolled: 2-line block ×4, first 2 shown]
.LBB220_1280:                           ;   in Loop: Header=BB220_668 Depth=1
	s_or_b32 exec_lo, exec_lo, s7
	flat_load_dword v24, v[0:1] offset:256
	v_mov_b32_e32 v19, 0
	v_mov_b32_e32 v17, 0
	v_mov_b32_e32 v20, 0
	v_mov_b32_e32 v18, 0
	s_waitcnt vmcnt(0) lgkmcnt(0)
	v_cmp_ne_u16_sdwa s4, v24, v7 src0_sel:BYTE_0 src1_sel:DWORD
	s_and_saveexec_b32 s7, s4
	s_cbranch_execz .LBB220_1288
; %bb.1281:                             ;   in Loop: Header=BB220_668 Depth=1
	v_bfrev_b32_e32 v17, 1
	v_mov_b32_e32 v18, 0
	v_cmp_ne_u16_sdwa s4, v24, v66 src0_sel:BYTE_0 src1_sel:DWORD
	s_and_saveexec_b32 s13, s4
	s_cbranch_execz .LBB220_1287
; %bb.1282:                             ;   in Loop: Header=BB220_668 Depth=1
	v_mov_b32_e32 v17, 0x7f800001
	v_and_b32_e32 v10, 0x7f, v24
	v_mov_b32_e32 v18, 0
	s_mov_b32 s15, exec_lo
	v_cmpx_ne_u32_e32 0x7f, v10
	s_cbranch_execz .LBB220_1286
; %bb.1283:                             ;   in Loop: Header=BB220_668 Depth=1
	v_and_b32_e32 v6, 7, v24
	v_lshrrev_b32_e32 v8, 3, v10
	s_mov_b32 s18, exec_lo
	v_cmpx_gt_u32_e32 8, v10
; %bb.1284:                             ;   in Loop: Header=BB220_668 Depth=1
	v_ffbh_u32_e32 v8, v6
	v_min_u32_e32 v8, 32, v8
	v_subrev_nc_u32_e32 v10, 28, v8
	v_sub_nc_u32_e32 v8, 29, v8
	v_lshlrev_b64 v[10:11], v10, v[6:7]
	v_and_b32_e32 v6, 7, v10
; %bb.1285:                             ;   in Loop: Header=BB220_668 Depth=1
	s_or_b32 exec_lo, exec_lo, s18
	v_lshlrev_b32_e32 v10, 24, v24
	v_lshlrev_b32_e32 v6, 20, v6
	v_lshl_add_u32 v8, v8, 23, 0x3c000000
	v_and_b32_e32 v10, 0x80000000, v10
	v_or3_b32 v6, v6, v10, v8
	v_mov_b32_e32 v18, v7
	v_mov_b32_e32 v17, v6
.LBB220_1286:                           ;   in Loop: Header=BB220_668 Depth=1
	s_or_b32 exec_lo, exec_lo, s15
.LBB220_1287:                           ;   in Loop: Header=BB220_668 Depth=1
	s_or_b32 exec_lo, exec_lo, s13
.LBB220_1288:                           ;   in Loop: Header=BB220_668 Depth=1
	s_or_b32 exec_lo, exec_lo, s7
	v_cmp_ne_u16_sdwa s4, v24, v7 src0_sel:BYTE_1 src1_sel:DWORD
	s_and_saveexec_b32 s7, s4
	s_cbranch_execz .LBB220_1296
; %bb.1289:                             ;   in Loop: Header=BB220_668 Depth=1
	v_mov_b32_e32 v8, v7
	v_mov_b32_e32 v20, v9
	v_cmp_ne_u16_sdwa s4, v24, v66 src0_sel:BYTE_1 src1_sel:DWORD
	v_mov_b32_e32 v19, v8
	s_and_saveexec_b32 s13, s4
	s_cbranch_execz .LBB220_1295
; %bb.1290:                             ;   in Loop: Header=BB220_668 Depth=1
	v_and_b32_sdwa v6, v70, v24 dst_sel:DWORD dst_unused:UNUSED_PAD src0_sel:DWORD src1_sel:BYTE_1
	v_mov_b32_e32 v11, v7
	v_mov_b32_e32 v20, v12
	s_mov_b32 s15, exec_lo
	v_and_b32_e32 v10, 0x7f, v6
	v_mov_b32_e32 v19, v11
	v_cmpx_ne_u32_e32 0x7f, v10
	s_cbranch_execz .LBB220_1294
; %bb.1291:                             ;   in Loop: Header=BB220_668 Depth=1
	v_and_b32_e32 v6, 7, v6
	v_lshrrev_b32_e32 v8, 3, v10
	s_mov_b32 s18, exec_lo
	v_cmpx_gt_u32_e32 8, v10
; %bb.1292:                             ;   in Loop: Header=BB220_668 Depth=1
	v_ffbh_u32_e32 v8, v6
	v_min_u32_e32 v8, 32, v8
	v_subrev_nc_u32_e32 v10, 28, v8
	v_sub_nc_u32_e32 v8, 29, v8
	v_lshlrev_b64 v[10:11], v10, v[6:7]
	v_and_b32_e32 v6, 7, v10
; %bb.1293:                             ;   in Loop: Header=BB220_668 Depth=1
	s_or_b32 exec_lo, exec_lo, s18
	v_lshlrev_b32_e32 v10, 16, v24
	v_lshlrev_b32_e32 v6, 20, v6
	v_lshl_add_u32 v8, v8, 23, 0x3c000000
	v_mov_b32_e32 v19, v7
	v_and_b32_e32 v10, 0x80000000, v10
	v_or3_b32 v20, v6, v10, v8
.LBB220_1294:                           ;   in Loop: Header=BB220_668 Depth=1
	s_or_b32 exec_lo, exec_lo, s15
.LBB220_1295:                           ;   in Loop: Header=BB220_668 Depth=1
	s_or_b32 exec_lo, exec_lo, s13
.LBB220_1296:                           ;   in Loop: Header=BB220_668 Depth=1
	s_or_b32 exec_lo, exec_lo, s7
	v_mov_b32_e32 v10, 0
	v_mov_b32_e32 v21, 0
	v_and_b32_sdwa v6, v24, v68 dst_sel:DWORD dst_unused:UNUSED_PAD src0_sel:WORD_1 src1_sel:DWORD
	v_mov_b32_e32 v11, 0
	v_mov_b32_e32 v22, 0
	s_mov_b32 s7, exec_lo
	v_cmpx_ne_u16_e32 0, v6
	s_cbranch_execz .LBB220_1304
; %bb.1297:                             ;   in Loop: Header=BB220_668 Depth=1
	v_bfrev_b32_e32 v21, 1
	v_mov_b32_e32 v22, 0
	s_mov_b32 s13, exec_lo
	v_cmpx_ne_u16_e32 0x80, v6
	s_cbranch_execz .LBB220_1303
; %bb.1298:                             ;   in Loop: Header=BB220_668 Depth=1
	v_mov_b32_e32 v21, 0x7f800001
	v_bfe_u32 v67, v24, 16, 7
	v_mov_b32_e32 v22, 0
	s_mov_b32 s15, exec_lo
	v_cmpx_ne_u32_e32 0x7f, v67
	s_cbranch_execz .LBB220_1302
; %bb.1299:                             ;   in Loop: Header=BB220_668 Depth=1
	v_mov_b32_e32 v6, 7
	v_lshrrev_b32_e32 v8, 3, v67
	s_mov_b32 s18, exec_lo
	v_and_b32_sdwa v6, v24, v6 dst_sel:DWORD dst_unused:UNUSED_PAD src0_sel:WORD_1 src1_sel:DWORD
	v_cmpx_gt_u32_e32 8, v67
; %bb.1300:                             ;   in Loop: Header=BB220_668 Depth=1
	v_ffbh_u32_e32 v8, v6
	v_min_u32_e32 v8, 32, v8
	v_subrev_nc_u32_e32 v21, 28, v8
	v_sub_nc_u32_e32 v8, 29, v8
	v_lshlrev_b64 v[21:22], v21, v[6:7]
	v_and_b32_e32 v6, 7, v21
; %bb.1301:                             ;   in Loop: Header=BB220_668 Depth=1
	s_or_b32 exec_lo, exec_lo, s18
	v_mov_b32_e32 v21, 24
	v_lshlrev_b32_e32 v6, 20, v6
	v_lshl_add_u32 v8, v8, 23, 0x3c000000
	v_lshlrev_b32_sdwa v21, v21, v24 dst_sel:DWORD dst_unused:UNUSED_PAD src0_sel:DWORD src1_sel:WORD_1
	v_and_b32_e32 v21, 0x80000000, v21
	v_or3_b32 v6, v6, v21, v8
	v_mov_b32_e32 v22, v7
	v_mov_b32_e32 v21, v6
.LBB220_1302:                           ;   in Loop: Header=BB220_668 Depth=1
	s_or_b32 exec_lo, exec_lo, s15
.LBB220_1303:                           ;   in Loop: Header=BB220_668 Depth=1
	s_or_b32 exec_lo, exec_lo, s13
.LBB220_1304:                           ;   in Loop: Header=BB220_668 Depth=1
	s_or_b32 exec_lo, exec_lo, s7
	s_mov_b32 s7, exec_lo
	v_cmpx_lt_u32_e32 0xffffff, v24
	s_cbranch_execz .LBB220_1312
; %bb.1305:                             ;   in Loop: Header=BB220_668 Depth=1
	v_mov_b32_e32 v8, v7
	v_mov_b32_e32 v11, v9
	v_cmp_ne_u32_sdwa s4, v24, v66 src0_sel:BYTE_3 src1_sel:DWORD
	v_mov_b32_e32 v10, v8
	s_and_saveexec_b32 s13, s4
	s_cbranch_execz .LBB220_1311
; %bb.1306:                             ;   in Loop: Header=BB220_668 Depth=1
	v_mov_b32_e32 v11, v7
	v_bfe_u32 v67, v24, 24, 7
	s_mov_b32 s15, exec_lo
	v_mov_b32_e32 v10, v11
	v_mov_b32_e32 v11, v12
	v_cmpx_ne_u32_e32 0x7f, v67
	s_cbranch_execz .LBB220_1310
; %bb.1307:                             ;   in Loop: Header=BB220_668 Depth=1
	v_mov_b32_e32 v6, 7
	v_lshrrev_b32_e32 v8, 3, v67
	s_mov_b32 s18, exec_lo
	v_and_b32_sdwa v6, v24, v6 dst_sel:DWORD dst_unused:UNUSED_PAD src0_sel:BYTE_3 src1_sel:DWORD
	v_cmpx_gt_u32_e32 8, v67
; %bb.1308:                             ;   in Loop: Header=BB220_668 Depth=1
	v_ffbh_u32_e32 v8, v6
	v_min_u32_e32 v8, 32, v8
	v_subrev_nc_u32_e32 v10, 28, v8
	v_sub_nc_u32_e32 v8, 29, v8
	v_lshlrev_b64 v[10:11], v10, v[6:7]
	v_and_b32_e32 v6, 7, v10
; %bb.1309:                             ;   in Loop: Header=BB220_668 Depth=1
	s_or_b32 exec_lo, exec_lo, s18
	v_mov_b32_e32 v10, 24
	v_lshlrev_b32_e32 v6, 20, v6
	v_lshl_add_u32 v8, v8, 23, 0x3c000000
	v_lshlrev_b32_sdwa v10, v10, v24 dst_sel:DWORD dst_unused:UNUSED_PAD src0_sel:DWORD src1_sel:BYTE_3
	v_and_b32_e32 v10, 0x80000000, v10
	v_or3_b32 v11, v6, v10, v8
	v_mov_b32_e32 v10, v7
.LBB220_1310:                           ;   in Loop: Header=BB220_668 Depth=1
	s_or_b32 exec_lo, exec_lo, s15
.LBB220_1311:                           ;   in Loop: Header=BB220_668 Depth=1
	s_or_b32 exec_lo, exec_lo, s13
.LBB220_1312:                           ;   in Loop: Header=BB220_668 Depth=1
	s_or_b32 exec_lo, exec_lo, s7
	v_or_b32_e32 v6, v20, v18
	v_or_b32_e32 v8, v19, v17
	v_or_b32_e32 v10, v10, v21
	v_or_b32_e32 v11, v11, v22
	v_mul_f32_e32 v24, v81, v6
	v_mul_f32_e32 v67, v65, v8
	;; [unrolled: 1-line block ×4, first 2 shown]
	s_and_saveexec_b32 s7, vcc_lo
	s_cbranch_execz .LBB220_1314
; %bb.1313:                             ;   in Loop: Header=BB220_668 Depth=1
	v_cmp_lt_i32_e64 s4, v98, v28
	v_cndmask_b32_e64 v67, 0, v67, s4
	v_cmp_lt_i32_e64 s4, v100, v28
	v_cndmask_b32_e64 v24, 0, v24, s4
	;; [unrolled: 2-line block ×4, first 2 shown]
.LBB220_1314:                           ;   in Loop: Header=BB220_668 Depth=1
	s_or_b32 exec_lo, exec_lo, s7
	flat_load_dword v69, v[0:1] offset:384
	v_mov_b32_e32 v17, 0
	v_mov_b32_e32 v0, 0
	;; [unrolled: 1-line block ×4, first 2 shown]
	s_waitcnt vmcnt(0) lgkmcnt(0)
	v_cmp_ne_u16_sdwa s4, v69, v7 src0_sel:BYTE_0 src1_sel:DWORD
	s_and_saveexec_b32 s7, s4
	s_cbranch_execz .LBB220_1322
; %bb.1315:                             ;   in Loop: Header=BB220_668 Depth=1
	v_bfrev_b32_e32 v0, 1
	v_mov_b32_e32 v1, 0
	v_cmp_ne_u16_sdwa s4, v69, v66 src0_sel:BYTE_0 src1_sel:DWORD
	s_and_saveexec_b32 s13, s4
	s_cbranch_execz .LBB220_1321
; %bb.1316:                             ;   in Loop: Header=BB220_668 Depth=1
	v_mov_b32_e32 v0, 0x7f800001
	v_and_b32_e32 v8, 0x7f, v69
	v_mov_b32_e32 v1, 0
	s_mov_b32 s15, exec_lo
	v_cmpx_ne_u32_e32 0x7f, v8
	s_cbranch_execz .LBB220_1320
; %bb.1317:                             ;   in Loop: Header=BB220_668 Depth=1
	v_and_b32_e32 v6, 7, v69
	v_lshrrev_b32_e32 v0, 3, v8
	s_mov_b32 s18, exec_lo
	v_cmpx_gt_u32_e32 8, v8
; %bb.1318:                             ;   in Loop: Header=BB220_668 Depth=1
	v_ffbh_u32_e32 v0, v6
	v_min_u32_e32 v0, 32, v0
	v_subrev_nc_u32_e32 v1, 28, v0
	v_sub_nc_u32_e32 v0, 29, v0
	v_lshlrev_b64 v[10:11], v1, v[6:7]
	v_and_b32_e32 v6, 7, v10
; %bb.1319:                             ;   in Loop: Header=BB220_668 Depth=1
	s_or_b32 exec_lo, exec_lo, s18
	v_lshlrev_b32_e32 v1, 24, v69
	v_lshlrev_b32_e32 v6, 20, v6
	v_lshl_add_u32 v0, v0, 23, 0x3c000000
	v_and_b32_e32 v1, 0x80000000, v1
	v_or3_b32 v6, v6, v1, v0
	v_mov_b32_e32 v0, v6
	v_mov_b32_e32 v1, v7
.LBB220_1320:                           ;   in Loop: Header=BB220_668 Depth=1
	s_or_b32 exec_lo, exec_lo, s15
.LBB220_1321:                           ;   in Loop: Header=BB220_668 Depth=1
	s_or_b32 exec_lo, exec_lo, s13
.LBB220_1322:                           ;   in Loop: Header=BB220_668 Depth=1
	s_or_b32 exec_lo, exec_lo, s7
	v_cmp_ne_u16_sdwa s4, v69, v7 src0_sel:BYTE_1 src1_sel:DWORD
	s_and_saveexec_b32 s7, s4
	s_cbranch_execz .LBB220_1330
; %bb.1323:                             ;   in Loop: Header=BB220_668 Depth=1
	v_mov_b32_e32 v8, v7
	v_mov_b32_e32 v18, v9
	v_cmp_ne_u16_sdwa s4, v69, v66 src0_sel:BYTE_1 src1_sel:DWORD
	v_mov_b32_e32 v17, v8
	s_and_saveexec_b32 s13, s4
	s_cbranch_execz .LBB220_1329
; %bb.1324:                             ;   in Loop: Header=BB220_668 Depth=1
	v_and_b32_sdwa v6, v70, v69 dst_sel:DWORD dst_unused:UNUSED_PAD src0_sel:DWORD src1_sel:BYTE_1
	v_mov_b32_e32 v11, v7
	v_mov_b32_e32 v18, v12
	s_mov_b32 s15, exec_lo
	v_and_b32_e32 v10, 0x7f, v6
	v_mov_b32_e32 v17, v11
	v_cmpx_ne_u32_e32 0x7f, v10
	s_cbranch_execz .LBB220_1328
; %bb.1325:                             ;   in Loop: Header=BB220_668 Depth=1
	v_and_b32_e32 v6, 7, v6
	v_lshrrev_b32_e32 v8, 3, v10
	s_mov_b32 s18, exec_lo
	v_cmpx_gt_u32_e32 8, v10
; %bb.1326:                             ;   in Loop: Header=BB220_668 Depth=1
	v_ffbh_u32_e32 v8, v6
	v_min_u32_e32 v8, 32, v8
	v_subrev_nc_u32_e32 v10, 28, v8
	v_sub_nc_u32_e32 v8, 29, v8
	v_lshlrev_b64 v[10:11], v10, v[6:7]
	v_and_b32_e32 v6, 7, v10
; %bb.1327:                             ;   in Loop: Header=BB220_668 Depth=1
	s_or_b32 exec_lo, exec_lo, s18
	v_lshlrev_b32_e32 v10, 16, v69
	v_lshlrev_b32_e32 v6, 20, v6
	v_lshl_add_u32 v8, v8, 23, 0x3c000000
	v_mov_b32_e32 v17, v7
	v_and_b32_e32 v10, 0x80000000, v10
	v_or3_b32 v18, v6, v10, v8
.LBB220_1328:                           ;   in Loop: Header=BB220_668 Depth=1
	s_or_b32 exec_lo, exec_lo, s15
.LBB220_1329:                           ;   in Loop: Header=BB220_668 Depth=1
	s_or_b32 exec_lo, exec_lo, s13
.LBB220_1330:                           ;   in Loop: Header=BB220_668 Depth=1
	s_or_b32 exec_lo, exec_lo, s7
	v_mov_b32_e32 v10, 0
	v_mov_b32_e32 v19, 0
	v_and_b32_sdwa v6, v69, v68 dst_sel:DWORD dst_unused:UNUSED_PAD src0_sel:WORD_1 src1_sel:DWORD
	v_mov_b32_e32 v11, 0
	v_mov_b32_e32 v20, 0
	s_mov_b32 s7, exec_lo
	v_cmpx_ne_u16_e32 0, v6
	s_cbranch_execz .LBB220_1338
; %bb.1331:                             ;   in Loop: Header=BB220_668 Depth=1
	v_bfrev_b32_e32 v19, 1
	v_mov_b32_e32 v20, 0
	s_mov_b32 s13, exec_lo
	v_cmpx_ne_u16_e32 0x80, v6
	s_cbranch_execz .LBB220_1337
; %bb.1332:                             ;   in Loop: Header=BB220_668 Depth=1
	v_mov_b32_e32 v19, 0x7f800001
	v_bfe_u32 v70, v69, 16, 7
	v_mov_b32_e32 v20, 0
	s_mov_b32 s15, exec_lo
	v_cmpx_ne_u32_e32 0x7f, v70
	s_cbranch_execz .LBB220_1336
; %bb.1333:                             ;   in Loop: Header=BB220_668 Depth=1
	v_mov_b32_e32 v6, 7
	v_lshrrev_b32_e32 v8, 3, v70
	s_mov_b32 s18, exec_lo
	v_and_b32_sdwa v6, v69, v6 dst_sel:DWORD dst_unused:UNUSED_PAD src0_sel:WORD_1 src1_sel:DWORD
	v_cmpx_gt_u32_e32 8, v70
; %bb.1334:                             ;   in Loop: Header=BB220_668 Depth=1
	v_ffbh_u32_e32 v8, v6
	v_min_u32_e32 v8, 32, v8
	v_subrev_nc_u32_e32 v19, 28, v8
	v_sub_nc_u32_e32 v8, 29, v8
	v_lshlrev_b64 v[19:20], v19, v[6:7]
	v_and_b32_e32 v6, 7, v19
; %bb.1335:                             ;   in Loop: Header=BB220_668 Depth=1
	s_or_b32 exec_lo, exec_lo, s18
	v_mov_b32_e32 v19, 24
	v_lshlrev_b32_e32 v6, 20, v6
	v_lshl_add_u32 v8, v8, 23, 0x3c000000
	v_lshlrev_b32_sdwa v19, v19, v69 dst_sel:DWORD dst_unused:UNUSED_PAD src0_sel:DWORD src1_sel:WORD_1
	v_and_b32_e32 v19, 0x80000000, v19
	v_or3_b32 v6, v6, v19, v8
	v_mov_b32_e32 v20, v7
	v_mov_b32_e32 v19, v6
.LBB220_1336:                           ;   in Loop: Header=BB220_668 Depth=1
	s_or_b32 exec_lo, exec_lo, s15
	v_mov_b32_e32 v70, 0xffff
.LBB220_1337:                           ;   in Loop: Header=BB220_668 Depth=1
	s_or_b32 exec_lo, exec_lo, s13
.LBB220_1338:                           ;   in Loop: Header=BB220_668 Depth=1
	s_or_b32 exec_lo, exec_lo, s7
	s_mov_b32 s7, exec_lo
	v_cmpx_lt_u32_e32 0xffffff, v69
	s_cbranch_execz .LBB220_1346
; %bb.1339:                             ;   in Loop: Header=BB220_668 Depth=1
	v_mov_b32_e32 v8, v7
	v_mov_b32_e32 v11, v9
	v_cmp_ne_u32_sdwa s4, v69, v66 src0_sel:BYTE_3 src1_sel:DWORD
	v_mov_b32_e32 v10, v8
	s_and_saveexec_b32 s13, s4
	s_cbranch_execz .LBB220_1345
; %bb.1340:                             ;   in Loop: Header=BB220_668 Depth=1
	v_mov_b32_e32 v11, v7
	v_bfe_u32 v70, v69, 24, 7
	s_mov_b32 s15, exec_lo
	v_mov_b32_e32 v10, v11
	v_mov_b32_e32 v11, v12
	v_cmpx_ne_u32_e32 0x7f, v70
	s_cbranch_execz .LBB220_1344
; %bb.1341:                             ;   in Loop: Header=BB220_668 Depth=1
	v_mov_b32_e32 v6, 7
	v_lshrrev_b32_e32 v8, 3, v70
	s_mov_b32 s18, exec_lo
	v_and_b32_sdwa v6, v69, v6 dst_sel:DWORD dst_unused:UNUSED_PAD src0_sel:BYTE_3 src1_sel:DWORD
	v_cmpx_gt_u32_e32 8, v70
; %bb.1342:                             ;   in Loop: Header=BB220_668 Depth=1
	v_ffbh_u32_e32 v8, v6
	v_min_u32_e32 v8, 32, v8
	v_subrev_nc_u32_e32 v10, 28, v8
	v_sub_nc_u32_e32 v8, 29, v8
	v_lshlrev_b64 v[10:11], v10, v[6:7]
	v_and_b32_e32 v6, 7, v10
; %bb.1343:                             ;   in Loop: Header=BB220_668 Depth=1
	s_or_b32 exec_lo, exec_lo, s18
	v_mov_b32_e32 v10, 24
	v_lshlrev_b32_e32 v6, 20, v6
	v_lshl_add_u32 v8, v8, 23, 0x3c000000
	v_lshlrev_b32_sdwa v10, v10, v69 dst_sel:DWORD dst_unused:UNUSED_PAD src0_sel:DWORD src1_sel:BYTE_3
	v_and_b32_e32 v10, 0x80000000, v10
	v_or3_b32 v11, v6, v10, v8
	v_mov_b32_e32 v10, v7
.LBB220_1344:                           ;   in Loop: Header=BB220_668 Depth=1
	s_or_b32 exec_lo, exec_lo, s15
	v_mov_b32_e32 v70, 0xffff
.LBB220_1345:                           ;   in Loop: Header=BB220_668 Depth=1
	s_or_b32 exec_lo, exec_lo, s13
.LBB220_1346:                           ;   in Loop: Header=BB220_668 Depth=1
	s_or_b32 exec_lo, exec_lo, s7
	v_or_b32_e32 v1, v18, v1
	v_or_b32_e32 v0, v17, v0
	;; [unrolled: 1-line block ×4, first 2 shown]
	v_mul_f32_e32 v8, v81, v1
	v_mul_f32_e32 v6, v65, v0
	;; [unrolled: 1-line block ×4, first 2 shown]
	s_and_saveexec_b32 s4, vcc_lo
	s_cbranch_execz .LBB220_667
; %bb.1347:                             ;   in Loop: Header=BB220_668 Depth=1
	v_cmp_lt_i32_e32 vcc_lo, v98, v28
	v_cndmask_b32_e32 v6, 0, v6, vcc_lo
	v_cmp_lt_i32_e32 vcc_lo, v100, v28
	v_cndmask_b32_e32 v8, 0, v8, vcc_lo
	;; [unrolled: 2-line block ×4, first 2 shown]
	s_branch .LBB220_667
.LBB220_1348:
	s_or_b32 exec_lo, exec_lo, s6
	s_clause 0x3
	buffer_load_dword v65, off, s[0:3], s32 offset:204
	buffer_load_dword v66, off, s[0:3], s32 offset:212
	;; [unrolled: 1-line block ×4, first 2 shown]
	v_mov_b32_e32 v0, s16
	v_mov_b32_e32 v1, s17
.LBB220_1349:
	s_or_b32 exec_lo, exec_lo, s5
	s_waitcnt vmcnt(0)
	s_waitcnt_vscnt null, 0x0
	s_barrier
	buffer_gl0_inv
	buffer_load_dword v21, off, s[0:3], s32 offset:752 ; 4-byte Folded Reload
	v_lshlrev_b64 v[0:1], 2, v[0:1]
	s_getpc_b64 s[4:5]
	s_add_u32 s4, s4, llvm.amdgcn.dynlds.offset.table@rel32@lo+4
	s_addc_u32 s5, s5, llvm.amdgcn.dynlds.offset.table@rel32@hi+12
	ds_bpermute_b32 v2, v19, v55
	ds_bpermute_b32 v3, v19, v53
	;; [unrolled: 1-line block ×4, first 2 shown]
	v_add_co_u32 v0, vcc_lo, s4, v0
	v_add_co_ci_u32_e64 v1, null, s5, v1, vcc_lo
	ds_bpermute_b32 v6, v19, v50
	ds_bpermute_b32 v7, v19, v49
	;; [unrolled: 1-line block ×3, first 2 shown]
	global_load_dword v20, v[0:1], off
	ds_bpermute_b32 v0, v19, v54
	ds_bpermute_b32 v1, v19, v64
	;; [unrolled: 1-line block ×13, first 2 shown]
	s_waitcnt lgkmcnt(19)
	v_add_f32_e32 v2, v55, v2
	s_waitcnt lgkmcnt(18)
	v_add_f32_e32 v3, v53, v3
	;; [unrolled: 2-line block ×20, first 2 shown]
	ds_bpermute_b32 v25, v66, v1
	ds_bpermute_b32 v26, v66, v2
	;; [unrolled: 1-line block ×19, first 2 shown]
	s_mov_b32 s4, exec_lo
	s_waitcnt lgkmcnt(18)
	v_add_f32_e32 v1, v1, v25
	s_waitcnt lgkmcnt(17)
	v_add_f32_e32 v2, v2, v26
	;; [unrolled: 2-line block ×19, first 2 shown]
	ds_bpermute_b32 v25, v65, v1
	ds_bpermute_b32 v26, v65, v2
	;; [unrolled: 1-line block ×19, first 2 shown]
	s_waitcnt lgkmcnt(18)
	v_add_f32_e32 v1, v1, v25
	s_waitcnt lgkmcnt(17)
	v_add_f32_e32 v2, v2, v26
	;; [unrolled: 2-line block ×19, first 2 shown]
	s_waitcnt vmcnt(1)
	v_lshrrev_b32_e32 v22, 3, v21
	buffer_load_dword v21, off, s[0:3], s32 offset:748 ; 4-byte Folded Reload
	s_waitcnt vmcnt(0)
	v_mul_u32_u24_e32 v23, 0x140, v21
	buffer_load_dword v21, off, s[0:3], s32 offset:744 ; 4-byte Folded Reload
	s_waitcnt vmcnt(0)
	v_and_b32_e32 v24, 0x3c7, v21
	ds_bpermute_b32 v21, v66, v0
	s_waitcnt lgkmcnt(0)
	v_add_f32_e32 v0, v0, v21
	ds_bpermute_b32 v21, v65, v0
	s_waitcnt lgkmcnt(0)
	v_add_f32_e32 v0, v0, v21
	v_lshl_add_u32 v21, v22, 2, v20
	v_cmpx_eq_u32_e32 64, v24
	s_cbranch_execz .LBB220_1351
; %bb.1350:
	v_add_nc_u32_e32 v24, v21, v23
	v_add_nc_u32_e32 v25, 0xfffffd80, v24
	;; [unrolled: 1-line block ×6, first 2 shown]
	ds_write_b32 v25, v0
	ds_write_b32 v26, v1
	ds_write_b32 v27, v2
	ds_write_b32 v28, v3
	ds_write_b32 v29, v4
	v_add_nc_u32_e32 v25, 0xfffffdd0, v24
	v_add_nc_u32_e32 v26, 0xfffffde0, v24
	v_add_nc_u32_e32 v27, 0xfffffdf0, v24
	v_add_nc_u32_e32 v28, 0xfffffe00, v24
	v_add_nc_u32_e32 v29, 0xfffffe10, v24
	ds_write_b32 v25, v5
	ds_write_b32 v26, v6
	ds_write_b32 v27, v7
	ds_write_b32 v28, v8
	ds_write_b32 v29, v9
	v_add_nc_u32_e32 v25, 0xfffffe20, v24
	v_add_nc_u32_e32 v26, 0xfffffe30, v24
	v_add_nc_u32_e32 v27, 0xfffffe40, v24
	v_add_nc_u32_e32 v28, 0xfffffe50, v24
	v_add_nc_u32_e32 v29, 0xfffffe60, v24
	;; [unrolled: 10-line block ×3, first 2 shown]
	ds_write_b32 v25, v15
	ds_write_b32 v26, v16
	;; [unrolled: 1-line block ×5, first 2 shown]
.LBB220_1351:
	s_or_b32 exec_lo, exec_lo, s4
	v_lshlrev_b32_e32 v22, 2, v22
	s_mov_b32 s5, exec_lo
	v_cmp_eq_u32_e32 vcc_lo, 0, v67
	v_add3_u32 v20, v20, v23, v22
	buffer_load_dword v23, off, s[0:3], s32 offset:744 ; 4-byte Folded Reload
	s_waitcnt vmcnt(0) lgkmcnt(0)
	s_barrier
	buffer_gl0_inv
	v_cmpx_gt_u32_e32 64, v23
	s_cbranch_execz .LBB220_1374
; %bb.1352:
	s_and_saveexec_b32 s4, vcc_lo
	s_cbranch_execnz .LBB220_1402
; %bb.1353:
	s_or_b32 exec_lo, exec_lo, s4
	s_and_saveexec_b32 s4, vcc_lo
	s_cbranch_execnz .LBB220_1403
.LBB220_1354:
	s_or_b32 exec_lo, exec_lo, s4
	s_and_saveexec_b32 s4, vcc_lo
	s_cbranch_execnz .LBB220_1404
.LBB220_1355:
	s_or_b32 exec_lo, exec_lo, s4
	s_and_saveexec_b32 s4, vcc_lo
	s_cbranch_execnz .LBB220_1405
.LBB220_1356:
	s_or_b32 exec_lo, exec_lo, s4
	s_and_saveexec_b32 s4, vcc_lo
	s_cbranch_execnz .LBB220_1406
.LBB220_1357:
	s_or_b32 exec_lo, exec_lo, s4
	s_and_saveexec_b32 s4, vcc_lo
	s_cbranch_execnz .LBB220_1407
.LBB220_1358:
	s_or_b32 exec_lo, exec_lo, s4
	s_and_saveexec_b32 s4, vcc_lo
	s_cbranch_execnz .LBB220_1408
.LBB220_1359:
	s_or_b32 exec_lo, exec_lo, s4
	s_and_saveexec_b32 s4, vcc_lo
	s_cbranch_execnz .LBB220_1409
.LBB220_1360:
	s_or_b32 exec_lo, exec_lo, s4
	s_and_saveexec_b32 s4, vcc_lo
	s_cbranch_execnz .LBB220_1410
.LBB220_1361:
	s_or_b32 exec_lo, exec_lo, s4
	s_and_saveexec_b32 s4, vcc_lo
	s_cbranch_execnz .LBB220_1411
.LBB220_1362:
	s_or_b32 exec_lo, exec_lo, s4
	s_and_saveexec_b32 s4, vcc_lo
	s_cbranch_execnz .LBB220_1412
.LBB220_1363:
	s_or_b32 exec_lo, exec_lo, s4
	s_and_saveexec_b32 s4, vcc_lo
	s_cbranch_execnz .LBB220_1413
.LBB220_1364:
	s_or_b32 exec_lo, exec_lo, s4
	s_and_saveexec_b32 s4, vcc_lo
	s_cbranch_execnz .LBB220_1414
.LBB220_1365:
	s_or_b32 exec_lo, exec_lo, s4
	s_and_saveexec_b32 s4, vcc_lo
	s_cbranch_execnz .LBB220_1415
.LBB220_1366:
	s_or_b32 exec_lo, exec_lo, s4
	s_and_saveexec_b32 s4, vcc_lo
	s_cbranch_execnz .LBB220_1416
.LBB220_1367:
	s_or_b32 exec_lo, exec_lo, s4
	s_and_saveexec_b32 s4, vcc_lo
	s_cbranch_execnz .LBB220_1417
.LBB220_1368:
	s_or_b32 exec_lo, exec_lo, s4
	s_and_saveexec_b32 s4, vcc_lo
	s_cbranch_execnz .LBB220_1418
.LBB220_1369:
	s_or_b32 exec_lo, exec_lo, s4
	s_and_saveexec_b32 s4, vcc_lo
	s_cbranch_execnz .LBB220_1419
.LBB220_1370:
	s_or_b32 exec_lo, exec_lo, s4
	s_and_saveexec_b32 s4, vcc_lo
	s_cbranch_execnz .LBB220_1420
.LBB220_1371:
	s_or_b32 exec_lo, exec_lo, s4
	s_and_saveexec_b32 s4, vcc_lo
	s_cbranch_execz .LBB220_1373
.LBB220_1372:
	ds_read_b32 v22, v20 offset:304
	s_waitcnt lgkmcnt(0)
	v_add_f32_e32 v19, v22, v19
.LBB220_1373:
	s_or_b32 exec_lo, exec_lo, s4
.LBB220_1374:
	s_or_b32 exec_lo, exec_lo, s5
	v_and_b32_e32 v22, 0x3e7, v23
	s_mov_b32 s5, exec_lo
	s_barrier
	buffer_gl0_inv
	v_cmpx_eq_u32_e32 32, v22
	s_cbranch_execz .LBB220_1376
; %bb.1375:
	ds_write2_b32 v21, v0, v1 offset1:4
	ds_write2_b32 v21, v2, v3 offset0:8 offset1:12
	ds_write2_b32 v21, v4, v5 offset0:16 offset1:20
	ds_write2_b32 v21, v6, v7 offset0:24 offset1:28
	ds_write2_b32 v21, v8, v9 offset0:32 offset1:36
	ds_write2_b32 v21, v10, v11 offset0:40 offset1:44
	ds_write2_b32 v21, v12, v13 offset0:48 offset1:52
	ds_write2_b32 v21, v14, v15 offset0:56 offset1:60
	ds_write2_b32 v21, v16, v17 offset0:64 offset1:68
	ds_write2_b32 v21, v18, v19 offset0:72 offset1:76
.LBB220_1376:
	s_or_b32 exec_lo, exec_lo, s5
	s_mov_b32 s5, exec_lo
	s_waitcnt lgkmcnt(0)
	s_barrier
	buffer_gl0_inv
	v_cmpx_gt_u32_e32 32, v23
	s_cbranch_execz .LBB220_1399
; %bb.1377:
	s_and_saveexec_b32 s4, vcc_lo
	s_cbranch_execnz .LBB220_1421
; %bb.1378:
	s_or_b32 exec_lo, exec_lo, s4
	s_and_saveexec_b32 s4, vcc_lo
	s_cbranch_execnz .LBB220_1422
.LBB220_1379:
	s_or_b32 exec_lo, exec_lo, s4
	s_and_saveexec_b32 s4, vcc_lo
	s_cbranch_execnz .LBB220_1423
.LBB220_1380:
	s_or_b32 exec_lo, exec_lo, s4
	s_and_saveexec_b32 s4, vcc_lo
	s_cbranch_execnz .LBB220_1424
.LBB220_1381:
	s_or_b32 exec_lo, exec_lo, s4
	s_and_saveexec_b32 s4, vcc_lo
	s_cbranch_execnz .LBB220_1425
.LBB220_1382:
	s_or_b32 exec_lo, exec_lo, s4
	s_and_saveexec_b32 s4, vcc_lo
	s_cbranch_execnz .LBB220_1426
.LBB220_1383:
	s_or_b32 exec_lo, exec_lo, s4
	s_and_saveexec_b32 s4, vcc_lo
	s_cbranch_execnz .LBB220_1427
.LBB220_1384:
	s_or_b32 exec_lo, exec_lo, s4
	s_and_saveexec_b32 s4, vcc_lo
	s_cbranch_execnz .LBB220_1428
.LBB220_1385:
	s_or_b32 exec_lo, exec_lo, s4
	s_and_saveexec_b32 s4, vcc_lo
	s_cbranch_execnz .LBB220_1429
.LBB220_1386:
	s_or_b32 exec_lo, exec_lo, s4
	s_and_saveexec_b32 s4, vcc_lo
	s_cbranch_execnz .LBB220_1430
.LBB220_1387:
	s_or_b32 exec_lo, exec_lo, s4
	s_and_saveexec_b32 s4, vcc_lo
	s_cbranch_execnz .LBB220_1431
.LBB220_1388:
	s_or_b32 exec_lo, exec_lo, s4
	s_and_saveexec_b32 s4, vcc_lo
	s_cbranch_execnz .LBB220_1432
.LBB220_1389:
	s_or_b32 exec_lo, exec_lo, s4
	s_and_saveexec_b32 s4, vcc_lo
	s_cbranch_execnz .LBB220_1433
.LBB220_1390:
	s_or_b32 exec_lo, exec_lo, s4
	s_and_saveexec_b32 s4, vcc_lo
	s_cbranch_execnz .LBB220_1434
.LBB220_1391:
	s_or_b32 exec_lo, exec_lo, s4
	s_and_saveexec_b32 s4, vcc_lo
	s_cbranch_execnz .LBB220_1435
.LBB220_1392:
	s_or_b32 exec_lo, exec_lo, s4
	s_and_saveexec_b32 s4, vcc_lo
	s_cbranch_execnz .LBB220_1436
.LBB220_1393:
	s_or_b32 exec_lo, exec_lo, s4
	s_and_saveexec_b32 s4, vcc_lo
	s_cbranch_execnz .LBB220_1437
.LBB220_1394:
	s_or_b32 exec_lo, exec_lo, s4
	s_and_saveexec_b32 s4, vcc_lo
	s_cbranch_execnz .LBB220_1438
.LBB220_1395:
	s_or_b32 exec_lo, exec_lo, s4
	s_and_saveexec_b32 s4, vcc_lo
	s_cbranch_execnz .LBB220_1439
.LBB220_1396:
	s_or_b32 exec_lo, exec_lo, s4
	s_and_saveexec_b32 s4, vcc_lo
	s_cbranch_execz .LBB220_1398
.LBB220_1397:
	ds_read_b32 v20, v20 offset:304
	s_waitcnt lgkmcnt(0)
	v_add_f32_e32 v19, v20, v19
.LBB220_1398:
	s_or_b32 exec_lo, exec_lo, s4
.LBB220_1399:
	s_or_b32 exec_lo, exec_lo, s5
	s_mov_b32 s4, exec_lo
	s_barrier
	buffer_gl0_inv
	v_cmpx_eq_u32_e32 0, v22
	s_cbranch_execz .LBB220_1401
; %bb.1400:
	s_clause 0x1
	buffer_load_dword v21, off, s[0:3], s32 offset:760
	buffer_load_dword v22, off, s[0:3], s32 offset:756
	s_and_b32 s5, 0xffff, s9
	s_mul_i32 s6, s14, 0x50
	s_cmp_lg_u32 s5, 0
	v_lshrrev_b32_e32 v20, 1, v23
	s_cselect_b32 s5, -1, 0
	s_cmp_lg_u32 s5, 0
	s_addc_u32 s5, s8, 0
	s_mul_i32 s7, s5, s10
	s_mul_i32 s10, s12, s5
	;; [unrolled: 1-line block ×3, first 2 shown]
	s_ashr_i32 s11, s10, 31
	s_mulk_i32 s8, 0x50
	s_ashr_i32 s7, s6, 31
	s_ashr_i32 s9, s8, 31
	s_lshl_b64 s[6:7], s[6:7], 2
	s_lshl_b64 s[8:9], s[8:9], 2
	s_waitcnt vmcnt(1)
	v_add_co_u32 v21, vcc_lo, v21, s8
	s_waitcnt vmcnt(0)
	v_add_co_ci_u32_e64 v22, null, s9, v22, vcc_lo
	s_lshl_b64 s[8:9], s[10:11], 2
	v_add_co_u32 v21, vcc_lo, v21, s8
	v_add_co_ci_u32_e64 v22, null, s9, v22, vcc_lo
	v_add_co_u32 v21, vcc_lo, v21, s6
	v_add_co_ci_u32_e64 v22, null, s7, v22, vcc_lo
	;; [unrolled: 2-line block ×3, first 2 shown]
	flat_store_dword v[20:21], v0
	flat_store_dword v[20:21], v1 offset:16
	flat_store_dword v[20:21], v2 offset:32
	;; [unrolled: 1-line block ×19, first 2 shown]
.LBB220_1401:
	s_or_b32 exec_lo, exec_lo, s4
	s_clause 0x2f
	buffer_load_dword v127, off, s[0:3], s32
	buffer_load_dword v126, off, s[0:3], s32 offset:4
	buffer_load_dword v125, off, s[0:3], s32 offset:8
	;; [unrolled: 1-line block ×47, first 2 shown]
	s_waitcnt vmcnt(0) lgkmcnt(0)
	s_setpc_b64 s[30:31]
.LBB220_1402:
	ds_read_b32 v22, v20
	s_waitcnt lgkmcnt(0)
	v_add_f32_e32 v0, v22, v0
	s_or_b32 exec_lo, exec_lo, s4
	s_and_saveexec_b32 s4, vcc_lo
	s_cbranch_execz .LBB220_1354
.LBB220_1403:
	ds_read_b32 v22, v20 offset:16
	s_waitcnt lgkmcnt(0)
	v_add_f32_e32 v1, v22, v1
	s_or_b32 exec_lo, exec_lo, s4
	s_and_saveexec_b32 s4, vcc_lo
	s_cbranch_execz .LBB220_1355
.LBB220_1404:
	ds_read_b32 v22, v20 offset:32
	s_waitcnt lgkmcnt(0)
	v_add_f32_e32 v2, v22, v2
	s_or_b32 exec_lo, exec_lo, s4
	s_and_saveexec_b32 s4, vcc_lo
	s_cbranch_execz .LBB220_1356
.LBB220_1405:
	ds_read_b32 v22, v20 offset:48
	s_waitcnt lgkmcnt(0)
	v_add_f32_e32 v3, v22, v3
	s_or_b32 exec_lo, exec_lo, s4
	s_and_saveexec_b32 s4, vcc_lo
	s_cbranch_execz .LBB220_1357
.LBB220_1406:
	ds_read_b32 v22, v20 offset:64
	s_waitcnt lgkmcnt(0)
	v_add_f32_e32 v4, v22, v4
	s_or_b32 exec_lo, exec_lo, s4
	s_and_saveexec_b32 s4, vcc_lo
	s_cbranch_execz .LBB220_1358
.LBB220_1407:
	ds_read_b32 v22, v20 offset:80
	s_waitcnt lgkmcnt(0)
	v_add_f32_e32 v5, v22, v5
	s_or_b32 exec_lo, exec_lo, s4
	s_and_saveexec_b32 s4, vcc_lo
	s_cbranch_execz .LBB220_1359
.LBB220_1408:
	ds_read_b32 v22, v20 offset:96
	s_waitcnt lgkmcnt(0)
	v_add_f32_e32 v6, v22, v6
	s_or_b32 exec_lo, exec_lo, s4
	s_and_saveexec_b32 s4, vcc_lo
	s_cbranch_execz .LBB220_1360
.LBB220_1409:
	ds_read_b32 v22, v20 offset:112
	s_waitcnt lgkmcnt(0)
	v_add_f32_e32 v7, v22, v7
	s_or_b32 exec_lo, exec_lo, s4
	s_and_saveexec_b32 s4, vcc_lo
	s_cbranch_execz .LBB220_1361
.LBB220_1410:
	ds_read_b32 v22, v20 offset:128
	s_waitcnt lgkmcnt(0)
	v_add_f32_e32 v8, v22, v8
	s_or_b32 exec_lo, exec_lo, s4
	s_and_saveexec_b32 s4, vcc_lo
	s_cbranch_execz .LBB220_1362
.LBB220_1411:
	ds_read_b32 v22, v20 offset:144
	s_waitcnt lgkmcnt(0)
	v_add_f32_e32 v9, v22, v9
	s_or_b32 exec_lo, exec_lo, s4
	s_and_saveexec_b32 s4, vcc_lo
	s_cbranch_execz .LBB220_1363
.LBB220_1412:
	ds_read_b32 v22, v20 offset:160
	s_waitcnt lgkmcnt(0)
	v_add_f32_e32 v10, v22, v10
	s_or_b32 exec_lo, exec_lo, s4
	s_and_saveexec_b32 s4, vcc_lo
	s_cbranch_execz .LBB220_1364
.LBB220_1413:
	ds_read_b32 v22, v20 offset:176
	s_waitcnt lgkmcnt(0)
	v_add_f32_e32 v11, v22, v11
	s_or_b32 exec_lo, exec_lo, s4
	s_and_saveexec_b32 s4, vcc_lo
	s_cbranch_execz .LBB220_1365
.LBB220_1414:
	ds_read_b32 v22, v20 offset:192
	s_waitcnt lgkmcnt(0)
	v_add_f32_e32 v12, v22, v12
	s_or_b32 exec_lo, exec_lo, s4
	s_and_saveexec_b32 s4, vcc_lo
	s_cbranch_execz .LBB220_1366
.LBB220_1415:
	ds_read_b32 v22, v20 offset:208
	s_waitcnt lgkmcnt(0)
	v_add_f32_e32 v13, v22, v13
	s_or_b32 exec_lo, exec_lo, s4
	s_and_saveexec_b32 s4, vcc_lo
	s_cbranch_execz .LBB220_1367
.LBB220_1416:
	ds_read_b32 v22, v20 offset:224
	s_waitcnt lgkmcnt(0)
	v_add_f32_e32 v14, v22, v14
	s_or_b32 exec_lo, exec_lo, s4
	s_and_saveexec_b32 s4, vcc_lo
	s_cbranch_execz .LBB220_1368
.LBB220_1417:
	ds_read_b32 v22, v20 offset:240
	s_waitcnt lgkmcnt(0)
	v_add_f32_e32 v15, v22, v15
	s_or_b32 exec_lo, exec_lo, s4
	s_and_saveexec_b32 s4, vcc_lo
	s_cbranch_execz .LBB220_1369
.LBB220_1418:
	ds_read_b32 v22, v20 offset:256
	s_waitcnt lgkmcnt(0)
	v_add_f32_e32 v16, v22, v16
	s_or_b32 exec_lo, exec_lo, s4
	s_and_saveexec_b32 s4, vcc_lo
	s_cbranch_execz .LBB220_1370
.LBB220_1419:
	ds_read_b32 v22, v20 offset:272
	s_waitcnt lgkmcnt(0)
	v_add_f32_e32 v17, v22, v17
	s_or_b32 exec_lo, exec_lo, s4
	s_and_saveexec_b32 s4, vcc_lo
	s_cbranch_execz .LBB220_1371
.LBB220_1420:
	ds_read_b32 v22, v20 offset:288
	s_waitcnt lgkmcnt(0)
	v_add_f32_e32 v18, v22, v18
	s_or_b32 exec_lo, exec_lo, s4
	s_and_saveexec_b32 s4, vcc_lo
	s_cbranch_execnz .LBB220_1372
	s_branch .LBB220_1373
.LBB220_1421:
	ds_read_b32 v21, v20
	s_waitcnt lgkmcnt(0)
	v_add_f32_e32 v0, v21, v0
	s_or_b32 exec_lo, exec_lo, s4
	s_and_saveexec_b32 s4, vcc_lo
	s_cbranch_execz .LBB220_1379
.LBB220_1422:
	ds_read_b32 v21, v20 offset:16
	s_waitcnt lgkmcnt(0)
	v_add_f32_e32 v1, v21, v1
	s_or_b32 exec_lo, exec_lo, s4
	s_and_saveexec_b32 s4, vcc_lo
	s_cbranch_execz .LBB220_1380
.LBB220_1423:
	ds_read_b32 v21, v20 offset:32
	s_waitcnt lgkmcnt(0)
	v_add_f32_e32 v2, v21, v2
	s_or_b32 exec_lo, exec_lo, s4
	s_and_saveexec_b32 s4, vcc_lo
	s_cbranch_execz .LBB220_1381
.LBB220_1424:
	ds_read_b32 v21, v20 offset:48
	s_waitcnt lgkmcnt(0)
	v_add_f32_e32 v3, v21, v3
	s_or_b32 exec_lo, exec_lo, s4
	s_and_saveexec_b32 s4, vcc_lo
	s_cbranch_execz .LBB220_1382
.LBB220_1425:
	ds_read_b32 v21, v20 offset:64
	s_waitcnt lgkmcnt(0)
	v_add_f32_e32 v4, v21, v4
	s_or_b32 exec_lo, exec_lo, s4
	s_and_saveexec_b32 s4, vcc_lo
	s_cbranch_execz .LBB220_1383
.LBB220_1426:
	ds_read_b32 v21, v20 offset:80
	s_waitcnt lgkmcnt(0)
	v_add_f32_e32 v5, v21, v5
	s_or_b32 exec_lo, exec_lo, s4
	s_and_saveexec_b32 s4, vcc_lo
	s_cbranch_execz .LBB220_1384
.LBB220_1427:
	ds_read_b32 v21, v20 offset:96
	s_waitcnt lgkmcnt(0)
	v_add_f32_e32 v6, v21, v6
	s_or_b32 exec_lo, exec_lo, s4
	s_and_saveexec_b32 s4, vcc_lo
	s_cbranch_execz .LBB220_1385
.LBB220_1428:
	ds_read_b32 v21, v20 offset:112
	s_waitcnt lgkmcnt(0)
	v_add_f32_e32 v7, v21, v7
	s_or_b32 exec_lo, exec_lo, s4
	s_and_saveexec_b32 s4, vcc_lo
	s_cbranch_execz .LBB220_1386
.LBB220_1429:
	ds_read_b32 v21, v20 offset:128
	s_waitcnt lgkmcnt(0)
	v_add_f32_e32 v8, v21, v8
	s_or_b32 exec_lo, exec_lo, s4
	s_and_saveexec_b32 s4, vcc_lo
	s_cbranch_execz .LBB220_1387
.LBB220_1430:
	ds_read_b32 v21, v20 offset:144
	s_waitcnt lgkmcnt(0)
	v_add_f32_e32 v9, v21, v9
	s_or_b32 exec_lo, exec_lo, s4
	s_and_saveexec_b32 s4, vcc_lo
	s_cbranch_execz .LBB220_1388
.LBB220_1431:
	ds_read_b32 v21, v20 offset:160
	s_waitcnt lgkmcnt(0)
	v_add_f32_e32 v10, v21, v10
	s_or_b32 exec_lo, exec_lo, s4
	s_and_saveexec_b32 s4, vcc_lo
	s_cbranch_execz .LBB220_1389
.LBB220_1432:
	ds_read_b32 v21, v20 offset:176
	s_waitcnt lgkmcnt(0)
	v_add_f32_e32 v11, v21, v11
	s_or_b32 exec_lo, exec_lo, s4
	s_and_saveexec_b32 s4, vcc_lo
	s_cbranch_execz .LBB220_1390
.LBB220_1433:
	ds_read_b32 v21, v20 offset:192
	s_waitcnt lgkmcnt(0)
	v_add_f32_e32 v12, v21, v12
	s_or_b32 exec_lo, exec_lo, s4
	s_and_saveexec_b32 s4, vcc_lo
	s_cbranch_execz .LBB220_1391
.LBB220_1434:
	ds_read_b32 v21, v20 offset:208
	s_waitcnt lgkmcnt(0)
	v_add_f32_e32 v13, v21, v13
	s_or_b32 exec_lo, exec_lo, s4
	s_and_saveexec_b32 s4, vcc_lo
	s_cbranch_execz .LBB220_1392
.LBB220_1435:
	ds_read_b32 v21, v20 offset:224
	s_waitcnt lgkmcnt(0)
	v_add_f32_e32 v14, v21, v14
	s_or_b32 exec_lo, exec_lo, s4
	s_and_saveexec_b32 s4, vcc_lo
	s_cbranch_execz .LBB220_1393
.LBB220_1436:
	ds_read_b32 v21, v20 offset:240
	s_waitcnt lgkmcnt(0)
	v_add_f32_e32 v15, v21, v15
	s_or_b32 exec_lo, exec_lo, s4
	s_and_saveexec_b32 s4, vcc_lo
	s_cbranch_execz .LBB220_1394
.LBB220_1437:
	ds_read_b32 v21, v20 offset:256
	s_waitcnt lgkmcnt(0)
	v_add_f32_e32 v16, v21, v16
	s_or_b32 exec_lo, exec_lo, s4
	s_and_saveexec_b32 s4, vcc_lo
	s_cbranch_execz .LBB220_1395
.LBB220_1438:
	ds_read_b32 v21, v20 offset:272
	s_waitcnt lgkmcnt(0)
	v_add_f32_e32 v17, v21, v17
	s_or_b32 exec_lo, exec_lo, s4
	s_and_saveexec_b32 s4, vcc_lo
	s_cbranch_execz .LBB220_1396
.LBB220_1439:
	ds_read_b32 v21, v20 offset:288
	s_waitcnt lgkmcnt(0)
	v_add_f32_e32 v18, v21, v18
	s_or_b32 exec_lo, exec_lo, s4
	s_and_saveexec_b32 s4, vcc_lo
	s_cbranch_execnz .LBB220_1397
	s_branch .LBB220_1398
.Lfunc_end220:
	.size	_ZN4vllm22paged_attention_kernelIfhLi80ELi32ELi128ELNS_18Fp8KVCacheDataTypeE1ELb0ELi0EEEvPfS2_PT_PKS3_PKT0_S9_ifPKiSB_iPKfiiiSD_SD_iiiii, .Lfunc_end220-_ZN4vllm22paged_attention_kernelIfhLi80ELi32ELi128ELNS_18Fp8KVCacheDataTypeE1ELb0ELi0EEEvPfS2_PT_PKS3_PKT0_S9_ifPKiSB_iPKfiiiSD_SD_iiiii
                                        ; -- End function
	.set .L_ZN4vllm22paged_attention_kernelIfhLi80ELi32ELi128ELNS_18Fp8KVCacheDataTypeE1ELb0ELi0EEEvPfS2_PT_PKS3_PKT0_S9_ifPKiSB_iPKfiiiSD_SD_iiiii.num_vgpr, 128
	.set .L_ZN4vllm22paged_attention_kernelIfhLi80ELi32ELi128ELNS_18Fp8KVCacheDataTypeE1ELb0ELi0EEEvPfS2_PT_PKS3_PKT0_S9_ifPKiSB_iPKfiiiSD_SD_iiiii.num_agpr, 0
	.set .L_ZN4vllm22paged_attention_kernelIfhLi80ELi32ELi128ELNS_18Fp8KVCacheDataTypeE1ELb0ELi0EEEvPfS2_PT_PKS3_PKT0_S9_ifPKiSB_iPKfiiiSD_SD_iiiii.numbered_sgpr, 33
	.set .L_ZN4vllm22paged_attention_kernelIfhLi80ELi32ELi128ELNS_18Fp8KVCacheDataTypeE1ELb0ELi0EEEvPfS2_PT_PKS3_PKT0_S9_ifPKiSB_iPKfiiiSD_SD_iiiii.num_named_barrier, 0
	.set .L_ZN4vllm22paged_attention_kernelIfhLi80ELi32ELi128ELNS_18Fp8KVCacheDataTypeE1ELb0ELi0EEEvPfS2_PT_PKS3_PKT0_S9_ifPKiSB_iPKfiiiSD_SD_iiiii.private_seg_size, 816
	.set .L_ZN4vllm22paged_attention_kernelIfhLi80ELi32ELi128ELNS_18Fp8KVCacheDataTypeE1ELb0ELi0EEEvPfS2_PT_PKS3_PKT0_S9_ifPKiSB_iPKfiiiSD_SD_iiiii.uses_vcc, 1
	.set .L_ZN4vllm22paged_attention_kernelIfhLi80ELi32ELi128ELNS_18Fp8KVCacheDataTypeE1ELb0ELi0EEEvPfS2_PT_PKS3_PKT0_S9_ifPKiSB_iPKfiiiSD_SD_iiiii.uses_flat_scratch, 0
	.set .L_ZN4vllm22paged_attention_kernelIfhLi80ELi32ELi128ELNS_18Fp8KVCacheDataTypeE1ELb0ELi0EEEvPfS2_PT_PKS3_PKT0_S9_ifPKiSB_iPKfiiiSD_SD_iiiii.has_dyn_sized_stack, 0
	.set .L_ZN4vllm22paged_attention_kernelIfhLi80ELi32ELi128ELNS_18Fp8KVCacheDataTypeE1ELb0ELi0EEEvPfS2_PT_PKS3_PKT0_S9_ifPKiSB_iPKfiiiSD_SD_iiiii.has_recursion, 0
	.set .L_ZN4vllm22paged_attention_kernelIfhLi80ELi32ELi128ELNS_18Fp8KVCacheDataTypeE1ELb0ELi0EEEvPfS2_PT_PKS3_PKT0_S9_ifPKiSB_iPKfiiiSD_SD_iiiii.has_indirect_call, 0
	.section	.AMDGPU.csdata,"",@progbits
; Function info:
; codeLenInByte = 47320
; TotalNumSgprs: 35
; NumVgprs: 128
; ScratchSize: 816
; MemoryBound: 0
	.section	.text._ZN4vllm25paged_attention_v1_kernelIfhLi80ELi32ELi128ELNS_18Fp8KVCacheDataTypeE1ELb0EEEvPT_PKS2_PKT0_S8_ifPKiSA_iPKfiiiSC_SC_iiiii,"axG",@progbits,_ZN4vllm25paged_attention_v1_kernelIfhLi80ELi32ELi128ELNS_18Fp8KVCacheDataTypeE1ELb0EEEvPT_PKS2_PKT0_S8_ifPKiSA_iPKfiiiSC_SC_iiiii,comdat
	.protected	_ZN4vllm25paged_attention_v1_kernelIfhLi80ELi32ELi128ELNS_18Fp8KVCacheDataTypeE1ELb0EEEvPT_PKS2_PKT0_S8_ifPKiSA_iPKfiiiSC_SC_iiiii ; -- Begin function _ZN4vllm25paged_attention_v1_kernelIfhLi80ELi32ELi128ELNS_18Fp8KVCacheDataTypeE1ELb0EEEvPT_PKS2_PKT0_S8_ifPKiSA_iPKfiiiSC_SC_iiiii
	.globl	_ZN4vllm25paged_attention_v1_kernelIfhLi80ELi32ELi128ELNS_18Fp8KVCacheDataTypeE1ELb0EEEvPT_PKS2_PKT0_S8_ifPKiSA_iPKfiiiSC_SC_iiiii
	.p2align	8
	.type	_ZN4vllm25paged_attention_v1_kernelIfhLi80ELi32ELi128ELNS_18Fp8KVCacheDataTypeE1ELb0EEEvPT_PKS2_PKT0_S8_ifPKiSA_iPKfiiiSC_SC_iiiii,@function
_ZN4vllm25paged_attention_v1_kernelIfhLi80ELi32ELi128ELNS_18Fp8KVCacheDataTypeE1ELb0EEEvPT_PKS2_PKT0_S8_ifPKiSA_iPKfiiiSC_SC_iiiii: ; @_ZN4vllm25paged_attention_v1_kernelIfhLi80ELi32ELi128ELNS_18Fp8KVCacheDataTypeE1ELb0EEEvPT_PKS2_PKT0_S8_ifPKiSA_iPKfiiiSC_SC_iiiii
; %bb.0:
	s_clause 0x5
	s_load_dwordx8 s[16:23], s[4:5], 0x0
	s_load_dwordx4 s[36:39], s[4:5], 0x20
	s_load_dwordx2 s[10:11], s[4:5], 0x30
	s_load_dword s13, s[4:5], 0x38
	s_load_dwordx2 s[34:35], s[4:5], 0x40
	s_load_dwordx8 s[24:31], s[4:5], 0x48
	s_add_u32 s0, s0, s9
	s_addc_u32 s1, s1, 0
	v_mov_b32_e32 v31, v0
	s_mov_b32 s14, s8
	s_add_u32 s8, s4, 0x80
	s_addc_u32 s9, s5, 0
	s_getpc_b64 s[4:5]
	s_add_u32 s4, s4, _ZN4vllm22paged_attention_kernelIfhLi80ELi32ELi128ELNS_18Fp8KVCacheDataTypeE1ELb0ELi0EEEvPfS2_PT_PKS3_PKT0_S9_ifPKiSB_iPKfiiiSD_SD_iiiii@rel32@lo+4
	s_addc_u32 s5, s5, _ZN4vllm22paged_attention_kernelIfhLi80ELi32ELi128ELNS_18Fp8KVCacheDataTypeE1ELb0ELi0EEEvPfS2_PT_PKS3_PKT0_S9_ifPKiSB_iPKfiiiSD_SD_iiiii@rel32@hi+12
	s_mov_b32 s12, s6
	s_mov_b32 s15, 30
	;; [unrolled: 1-line block ×3, first 2 shown]
	s_waitcnt lgkmcnt(0)
	v_mov_b32_e32 v0, s16
	v_mov_b32_e32 v1, s17
	;; [unrolled: 1-line block ×24, first 2 shown]
	s_mov_b32 s13, s7
	s_swappc_b64 s[30:31], s[4:5]
	s_endpgm
	.section	.rodata,"a",@progbits
	.p2align	6, 0x0
	.amdhsa_kernel _ZN4vllm25paged_attention_v1_kernelIfhLi80ELi32ELi128ELNS_18Fp8KVCacheDataTypeE1ELb0EEEvPT_PKS2_PKT0_S8_ifPKiSA_iPKfiiiSC_SC_iiiii
		.amdhsa_group_segment_fixed_size 352
		.amdhsa_private_segment_fixed_size 816
		.amdhsa_kernarg_size 384
		.amdhsa_user_sgpr_count 6
		.amdhsa_user_sgpr_private_segment_buffer 1
		.amdhsa_user_sgpr_dispatch_ptr 0
		.amdhsa_user_sgpr_queue_ptr 0
		.amdhsa_user_sgpr_kernarg_segment_ptr 1
		.amdhsa_user_sgpr_dispatch_id 0
		.amdhsa_user_sgpr_flat_scratch_init 0
		.amdhsa_user_sgpr_private_segment_size 0
		.amdhsa_wavefront_size32 1
		.amdhsa_uses_dynamic_stack 0
		.amdhsa_system_sgpr_private_segment_wavefront_offset 1
		.amdhsa_system_sgpr_workgroup_id_x 1
		.amdhsa_system_sgpr_workgroup_id_y 1
		.amdhsa_system_sgpr_workgroup_id_z 1
		.amdhsa_system_sgpr_workgroup_info 0
		.amdhsa_system_vgpr_workitem_id 0
		.amdhsa_next_free_vgpr 128
		.amdhsa_next_free_sgpr 40
		.amdhsa_reserve_vcc 1
		.amdhsa_reserve_flat_scratch 0
		.amdhsa_float_round_mode_32 0
		.amdhsa_float_round_mode_16_64 0
		.amdhsa_float_denorm_mode_32 3
		.amdhsa_float_denorm_mode_16_64 3
		.amdhsa_dx10_clamp 1
		.amdhsa_ieee_mode 1
		.amdhsa_fp16_overflow 0
		.amdhsa_workgroup_processor_mode 1
		.amdhsa_memory_ordered 1
		.amdhsa_forward_progress 1
		.amdhsa_shared_vgpr_count 0
		.amdhsa_exception_fp_ieee_invalid_op 0
		.amdhsa_exception_fp_denorm_src 0
		.amdhsa_exception_fp_ieee_div_zero 0
		.amdhsa_exception_fp_ieee_overflow 0
		.amdhsa_exception_fp_ieee_underflow 0
		.amdhsa_exception_fp_ieee_inexact 0
		.amdhsa_exception_int_div_zero 0
	.end_amdhsa_kernel
	.section	.text._ZN4vllm25paged_attention_v1_kernelIfhLi80ELi32ELi128ELNS_18Fp8KVCacheDataTypeE1ELb0EEEvPT_PKS2_PKT0_S8_ifPKiSA_iPKfiiiSC_SC_iiiii,"axG",@progbits,_ZN4vllm25paged_attention_v1_kernelIfhLi80ELi32ELi128ELNS_18Fp8KVCacheDataTypeE1ELb0EEEvPT_PKS2_PKT0_S8_ifPKiSA_iPKfiiiSC_SC_iiiii,comdat
.Lfunc_end221:
	.size	_ZN4vllm25paged_attention_v1_kernelIfhLi80ELi32ELi128ELNS_18Fp8KVCacheDataTypeE1ELb0EEEvPT_PKS2_PKT0_S8_ifPKiSA_iPKfiiiSC_SC_iiiii, .Lfunc_end221-_ZN4vllm25paged_attention_v1_kernelIfhLi80ELi32ELi128ELNS_18Fp8KVCacheDataTypeE1ELb0EEEvPT_PKS2_PKT0_S8_ifPKiSA_iPKfiiiSC_SC_iiiii
                                        ; -- End function
	.set _ZN4vllm25paged_attention_v1_kernelIfhLi80ELi32ELi128ELNS_18Fp8KVCacheDataTypeE1ELb0EEEvPT_PKS2_PKT0_S8_ifPKiSA_iPKfiiiSC_SC_iiiii.num_vgpr, max(32, .L_ZN4vllm22paged_attention_kernelIfhLi80ELi32ELi128ELNS_18Fp8KVCacheDataTypeE1ELb0ELi0EEEvPfS2_PT_PKS3_PKT0_S9_ifPKiSB_iPKfiiiSD_SD_iiiii.num_vgpr)
	.set _ZN4vllm25paged_attention_v1_kernelIfhLi80ELi32ELi128ELNS_18Fp8KVCacheDataTypeE1ELb0EEEvPT_PKS2_PKT0_S8_ifPKiSA_iPKfiiiSC_SC_iiiii.num_agpr, max(0, .L_ZN4vllm22paged_attention_kernelIfhLi80ELi32ELi128ELNS_18Fp8KVCacheDataTypeE1ELb0ELi0EEEvPfS2_PT_PKS3_PKT0_S9_ifPKiSB_iPKfiiiSD_SD_iiiii.num_agpr)
	.set _ZN4vllm25paged_attention_v1_kernelIfhLi80ELi32ELi128ELNS_18Fp8KVCacheDataTypeE1ELb0EEEvPT_PKS2_PKT0_S8_ifPKiSA_iPKfiiiSC_SC_iiiii.numbered_sgpr, max(40, .L_ZN4vllm22paged_attention_kernelIfhLi80ELi32ELi128ELNS_18Fp8KVCacheDataTypeE1ELb0ELi0EEEvPfS2_PT_PKS3_PKT0_S9_ifPKiSB_iPKfiiiSD_SD_iiiii.numbered_sgpr)
	.set _ZN4vllm25paged_attention_v1_kernelIfhLi80ELi32ELi128ELNS_18Fp8KVCacheDataTypeE1ELb0EEEvPT_PKS2_PKT0_S8_ifPKiSA_iPKfiiiSC_SC_iiiii.num_named_barrier, max(0, .L_ZN4vllm22paged_attention_kernelIfhLi80ELi32ELi128ELNS_18Fp8KVCacheDataTypeE1ELb0ELi0EEEvPfS2_PT_PKS3_PKT0_S9_ifPKiSB_iPKfiiiSD_SD_iiiii.num_named_barrier)
	.set _ZN4vllm25paged_attention_v1_kernelIfhLi80ELi32ELi128ELNS_18Fp8KVCacheDataTypeE1ELb0EEEvPT_PKS2_PKT0_S8_ifPKiSA_iPKfiiiSC_SC_iiiii.private_seg_size, 0+max(.L_ZN4vllm22paged_attention_kernelIfhLi80ELi32ELi128ELNS_18Fp8KVCacheDataTypeE1ELb0ELi0EEEvPfS2_PT_PKS3_PKT0_S9_ifPKiSB_iPKfiiiSD_SD_iiiii.private_seg_size)
	.set _ZN4vllm25paged_attention_v1_kernelIfhLi80ELi32ELi128ELNS_18Fp8KVCacheDataTypeE1ELb0EEEvPT_PKS2_PKT0_S8_ifPKiSA_iPKfiiiSC_SC_iiiii.uses_vcc, or(1, .L_ZN4vllm22paged_attention_kernelIfhLi80ELi32ELi128ELNS_18Fp8KVCacheDataTypeE1ELb0ELi0EEEvPfS2_PT_PKS3_PKT0_S9_ifPKiSB_iPKfiiiSD_SD_iiiii.uses_vcc)
	.set _ZN4vllm25paged_attention_v1_kernelIfhLi80ELi32ELi128ELNS_18Fp8KVCacheDataTypeE1ELb0EEEvPT_PKS2_PKT0_S8_ifPKiSA_iPKfiiiSC_SC_iiiii.uses_flat_scratch, or(0, .L_ZN4vllm22paged_attention_kernelIfhLi80ELi32ELi128ELNS_18Fp8KVCacheDataTypeE1ELb0ELi0EEEvPfS2_PT_PKS3_PKT0_S9_ifPKiSB_iPKfiiiSD_SD_iiiii.uses_flat_scratch)
	.set _ZN4vllm25paged_attention_v1_kernelIfhLi80ELi32ELi128ELNS_18Fp8KVCacheDataTypeE1ELb0EEEvPT_PKS2_PKT0_S8_ifPKiSA_iPKfiiiSC_SC_iiiii.has_dyn_sized_stack, or(0, .L_ZN4vllm22paged_attention_kernelIfhLi80ELi32ELi128ELNS_18Fp8KVCacheDataTypeE1ELb0ELi0EEEvPfS2_PT_PKS3_PKT0_S9_ifPKiSB_iPKfiiiSD_SD_iiiii.has_dyn_sized_stack)
	.set _ZN4vllm25paged_attention_v1_kernelIfhLi80ELi32ELi128ELNS_18Fp8KVCacheDataTypeE1ELb0EEEvPT_PKS2_PKT0_S8_ifPKiSA_iPKfiiiSC_SC_iiiii.has_recursion, or(0, .L_ZN4vllm22paged_attention_kernelIfhLi80ELi32ELi128ELNS_18Fp8KVCacheDataTypeE1ELb0ELi0EEEvPfS2_PT_PKS3_PKT0_S9_ifPKiSB_iPKfiiiSD_SD_iiiii.has_recursion)
	.set _ZN4vllm25paged_attention_v1_kernelIfhLi80ELi32ELi128ELNS_18Fp8KVCacheDataTypeE1ELb0EEEvPT_PKS2_PKT0_S8_ifPKiSA_iPKfiiiSC_SC_iiiii.has_indirect_call, or(0, .L_ZN4vllm22paged_attention_kernelIfhLi80ELi32ELi128ELNS_18Fp8KVCacheDataTypeE1ELb0ELi0EEEvPfS2_PT_PKS3_PKT0_S9_ifPKiSB_iPKfiiiSD_SD_iiiii.has_indirect_call)
	.section	.AMDGPU.csdata,"",@progbits
; Kernel info:
; codeLenInByte = 224
; TotalNumSgprs: 42
; NumVgprs: 128
; ScratchSize: 816
; MemoryBound: 0
; FloatMode: 240
; IeeeMode: 1
; LDSByteSize: 352 bytes/workgroup (compile time only)
; SGPRBlocks: 0
; VGPRBlocks: 15
; NumSGPRsForWavesPerEU: 42
; NumVGPRsForWavesPerEU: 128
; Occupancy: 8
; WaveLimiterHint : 1
; COMPUTE_PGM_RSRC2:SCRATCH_EN: 1
; COMPUTE_PGM_RSRC2:USER_SGPR: 6
; COMPUTE_PGM_RSRC2:TRAP_HANDLER: 0
; COMPUTE_PGM_RSRC2:TGID_X_EN: 1
; COMPUTE_PGM_RSRC2:TGID_Y_EN: 1
; COMPUTE_PGM_RSRC2:TGID_Z_EN: 1
; COMPUTE_PGM_RSRC2:TIDIG_COMP_CNT: 0
	.text
	.p2align	2                               ; -- Begin function _ZN4vllm22paged_attention_kernelIfhLi96ELi32ELi128ELNS_18Fp8KVCacheDataTypeE1ELb0ELi0EEEvPfS2_PT_PKS3_PKT0_S9_ifPKiSB_iPKfiiiSD_SD_iiiii
	.type	_ZN4vllm22paged_attention_kernelIfhLi96ELi32ELi128ELNS_18Fp8KVCacheDataTypeE1ELb0ELi0EEEvPfS2_PT_PKS3_PKT0_S9_ifPKiSB_iPKfiiiSD_SD_iiiii,@function
_ZN4vllm22paged_attention_kernelIfhLi96ELi32ELi128ELNS_18Fp8KVCacheDataTypeE1ELb0ELi0EEEvPfS2_PT_PKS3_PKT0_S9_ifPKiSB_iPKfiiiSD_SD_iiiii: ; @_ZN4vllm22paged_attention_kernelIfhLi96ELi32ELi128ELNS_18Fp8KVCacheDataTypeE1ELb0ELi0EEEvPfS2_PT_PKS3_PKT0_S9_ifPKiSB_iPKfiiiSD_SD_iiiii
; %bb.0:
	s_waitcnt vmcnt(0) expcnt(0) lgkmcnt(0)
	buffer_store_dword v40, off, s[0:3], s32 offset:188 ; 4-byte Folded Spill
	buffer_store_dword v41, off, s[0:3], s32 offset:184 ; 4-byte Folded Spill
	;; [unrolled: 1-line block ×47, first 2 shown]
	buffer_store_dword v127, off, s[0:3], s32 ; 4-byte Folded Spill
	s_mov_b32 s10, s13
	s_ashr_i32 s11, s13, 31
	buffer_store_dword v20, off, s[0:3], s32 offset:548 ; 4-byte Folded Spill
	buffer_store_dword v21, off, s[0:3], s32 offset:552 ; 4-byte Folded Spill
	;; [unrolled: 1-line block ×4, first 2 shown]
	s_lshl_b64 s[4:5], s[10:11], 2
	buffer_store_dword v1, off, s[0:3], s32 offset:964 ; 4-byte Folded Spill
	buffer_store_dword v0, off, s[0:3], s32 offset:968 ; 4-byte Folded Spill
	v_add_co_u32 v0, vcc_lo, v12, s4
	v_add_co_ci_u32_e64 v1, null, s5, v13, vcc_lo
	s_clause 0x1
	s_load_dword s4, s[8:9], 0x10
	s_load_dword s5, s[8:9], 0x0
	v_mov_b32_e32 v21, v6
	flat_load_dword v116, v[0:1]
	v_sub_nc_u32_e32 v0, 0, v8
	v_mov_b32_e32 v20, v7
	s_mov_b32 s16, s15
	v_max_i32_e32 v0, v8, v0
	v_cvt_f32_u32_e32 v1, v0
	v_sub_nc_u32_e32 v6, 0, v0
	v_rcp_iflag_f32_e32 v1, v1
	s_waitcnt lgkmcnt(0)
	s_lshr_b32 s4, s4, 16
	s_cmp_lg_u32 s4, 0
	s_cselect_b32 s4, -1, 0
	s_cmp_lg_u32 s4, 0
	s_addc_u32 s11, s5, 0
	v_mul_f32_e32 v1, 0x4f7ffffe, v1
	s_abs_i32 s4, s11
	s_mov_b32 s5, exec_lo
	v_cvt_u32_f32_e32 v1, v1
	v_mul_lo_u32 v6, v6, v1
	v_mul_hi_u32 v6, v1, v6
	v_add_nc_u32_e32 v1, v1, v6
	v_mul_hi_u32 v1, s4, v1
	v_mul_lo_u32 v6, v1, v0
	v_add_nc_u32_e32 v7, 1, v1
	v_sub_nc_u32_e32 v6, s4, v6
	s_abs_i32 s4, s12
	v_sub_nc_u32_e32 v9, v6, v0
	v_cmp_ge_u32_e32 vcc_lo, v6, v0
	v_cndmask_b32_e32 v1, v1, v7, vcc_lo
	v_cndmask_b32_e32 v6, v6, v9, vcc_lo
	v_xor_b32_e32 v7, s11, v8
	v_add_nc_u32_e32 v8, 1, v1
	v_cmp_ge_u32_e32 vcc_lo, v6, v0
	v_ashrrev_i32_e32 v7, 31, v7
	v_cndmask_b32_e32 v0, v1, v8, vcc_lo
	v_xor_b32_e32 v0, v0, v7
	v_sub_nc_u32_e32 v7, v0, v7
	v_sub_nc_u32_e32 v0, 0, v7
	v_max_i32_e32 v6, v7, v0
	v_cvt_f32_u32_e32 v0, v6
	v_sub_nc_u32_e32 v1, 0, v6
	v_rcp_iflag_f32_e32 v0, v0
	v_mul_f32_e32 v0, 0x4f7ffffe, v0
	v_cvt_u32_f32_e32 v0, v0
	v_mul_lo_u32 v1, v1, v0
	v_mul_hi_u32 v1, v0, v1
	v_add_nc_u32_e32 v0, v0, v1
	v_mad_u64_u32 v[0:1], null, s4, v0, 0
	v_mov_b32_e32 v0, 0
	buffer_store_dword v0, off, s[0:3], s32 offset:544 ; 4-byte Folded Spill
	v_cmpx_ne_u64_e32 0, v[15:16]
	s_cbranch_execz .LBB222_2
; %bb.1:
	s_ashr_i32 s13, s12, 31
	s_lshl_b64 s[6:7], s[12:13], 2
	v_add_co_u32 v8, vcc_lo, v15, s6
	v_add_co_ci_u32_e64 v9, null, s7, v16, vcc_lo
	flat_load_dword v0, v[8:9]
	s_waitcnt vmcnt(0) lgkmcnt(0)
	buffer_store_dword v0, off, s[0:3], s32 offset:544 ; 4-byte Folded Spill
.LBB222_2:
	s_or_b32 exec_lo, exec_lo, s5
	v_and_b32_e32 v12, 0x3ff, v31
	v_ashrrev_i32_e32 v0, 31, v7
	s_ashr_i32 s5, s12, 31
	s_mulk_i32 s12, 0x60
	s_mov_b32 s6, exec_lo
	v_cmpx_gt_u32_e32 24, v12
	s_cbranch_execz .LBB222_4
; %bb.3:
	v_mul_lo_u32 v7, v17, s10
	s_ashr_i32 s13, s12, 31
	v_lshlrev_b32_e32 v13, 4, v12
	s_lshl_b64 s[18:19], s[12:13], 2
	v_ashrrev_i32_e32 v8, 31, v7
	v_lshlrev_b64 v[7:8], 2, v[7:8]
	v_add_co_u32 v2, vcc_lo, v2, v7
	v_add_co_ci_u32_e64 v3, null, v3, v8, vcc_lo
	v_add_co_u32 v2, vcc_lo, v2, s18
	v_add_co_ci_u32_e64 v3, null, s19, v3, vcc_lo
	;; [unrolled: 2-line block ×3, first 2 shown]
	flat_load_dwordx4 v[15:18], v[2:3]
	s_waitcnt vmcnt(0) lgkmcnt(0)
	ds_write_b128 v13, v[15:18]
.LBB222_4:
	s_or_b32 exec_lo, exec_lo, s6
	v_mul_lo_u32 v2, v1, v6
	v_add_nc_u32_e32 v3, 1, v1
	v_xor_b32_e32 v8, s5, v0
	s_clause 0x1
	s_load_dword s6, s[8:9], 0x14
	s_load_dword s8, s[8:9], 0x8
	v_mul_lo_u32 v0, v14, s10
	buffer_store_dword v12, off, s[0:3], s32 offset:952 ; 4-byte Folded Spill
	v_lshrrev_b32_e32 v9, 3, v12
	v_sub_nc_u32_e32 v2, s4, v2
	v_sub_nc_u32_e32 v7, v2, v6
	v_cmp_ge_u32_e32 vcc_lo, v2, v6
	v_cndmask_b32_e32 v1, v1, v3, vcc_lo
	v_cndmask_b32_e32 v2, v2, v7, vcc_lo
	s_waitcnt vmcnt(0)
	v_add_nc_u32_e32 v7, 31, v116
	v_add_nc_u32_e32 v3, 1, v1
	v_cmp_ge_u32_e32 vcc_lo, v2, v6
	v_ashrrev_i32_e32 v2, 31, v7
	v_lshrrev_b32_e32 v6, 5, v12
	v_cndmask_b32_e32 v1, v1, v3, vcc_lo
	v_lshrrev_b32_e32 v2, 27, v2
	v_xor_b32_e32 v1, v1, v8
	v_add_nc_u32_e32 v2, v7, v2
	v_and_b32_e32 v7, 31, v12
	v_sub_nc_u32_e32 v3, v1, v8
	v_ashrrev_i32_e32 v1, 31, v0
	v_ashrrev_i32_e32 v2, 5, v2
	v_mov_b32_e32 v8, 0xff7fffff
	v_lshlrev_b32_e32 v16, 2, v7
	v_mul_lo_u32 v15, v3, v19
	v_lshlrev_b64 v[13:14], 2, v[0:1]
	v_cmp_ge_i32_e64 s4, v6, v2
	buffer_store_dword v6, off, s[0:3], s32 offset:956 ; 4-byte Folded Spill
	buffer_store_dword v2, off, s[0:3], s32 offset:192 ; 4-byte Folded Spill
	v_cmp_lt_i32_e32 vcc_lo, v6, v2
	s_waitcnt lgkmcnt(0)
	s_waitcnt_vscnt null, 0x0
	s_barrier
	buffer_gl0_inv
	v_ashrrev_i32_e32 v12, 31, v15
	s_mov_b32 s7, exec_lo
	s_and_b32 s5, s7, vcc_lo
	buffer_store_dword v7, off, s[0:3], s32 offset:960 ; 4-byte Folded Spill
	s_mov_b32 exec_lo, s5
	s_cbranch_execz .LBB222_776
; %bb.5:
	v_add_co_u32 v0, vcc_lo, v4, v15
	v_lshlrev_b32_e32 v2, 4, v7
	v_add_co_ci_u32_e64 v1, null, v5, v12, vcc_lo
	v_mov_b32_e32 v105, 0
	buffer_store_dword v21, off, s[0:3], s32 offset:992 ; 4-byte Folded Spill
	buffer_store_dword v20, off, s[0:3], s32 offset:988 ; 4-byte Folded Spill
	buffer_store_dword v22, off, s[0:3], s32 offset:980 ; 4-byte Folded Spill
	buffer_store_dword v23, off, s[0:3], s32 offset:984 ; 4-byte Folded Spill
	buffer_store_dword v15, off, s[0:3], s32 offset:1008 ; 4-byte Folded Spill
	v_add_co_u32 v0, vcc_lo, v0, v2
	v_add_co_ci_u32_e64 v1, null, 0, v1, vcc_lo
	buffer_store_dword v12, off, s[0:3], s32 offset:1012 ; 4-byte Folded Spill
	buffer_store_dword v0, off, s[0:3], s32 offset:560 ; 4-byte Folded Spill
	;; [unrolled: 1-line block ×3, first 2 shown]
	ds_read_b128 v[0:3], v105
	s_ashr_i32 s17, s16, 31
	v_mov_b32_e32 v8, 0xff7fffff
	s_lshl_b64 s[18:19], s[16:17], 2
	s_getpc_b64 s[20:21]
	s_add_u32 s20, s20, llvm.amdgcn.dynlds.offset.table@rel32@lo+4
	s_addc_u32 s21, s21, llvm.amdgcn.dynlds.offset.table@rel32@hi+12
	s_add_u32 s18, s20, s18
	s_addc_u32 s19, s21, s19
	v_mov_b32_e32 v117, 0x80
	v_bfrev_b32_e32 v97, 1
	v_mov_b32_e32 v87, 0x7f800001
	v_mov_b32_e32 v6, 0xff
	s_mov_b32 s9, 0
	s_waitcnt lgkmcnt(0)
	buffer_store_dword v0, off, s[0:3], s32 offset:568 ; 4-byte Folded Spill
	buffer_store_dword v1, off, s[0:3], s32 offset:572 ; 4-byte Folded Spill
	buffer_store_dword v2, off, s[0:3], s32 offset:576 ; 4-byte Folded Spill
	buffer_store_dword v3, off, s[0:3], s32 offset:580 ; 4-byte Folded Spill
	ds_read_b128 v[0:3], v105 offset:16
	s_waitcnt lgkmcnt(0)
	buffer_store_dword v0, off, s[0:3], s32 offset:584 ; 4-byte Folded Spill
	buffer_store_dword v1, off, s[0:3], s32 offset:588 ; 4-byte Folded Spill
	buffer_store_dword v2, off, s[0:3], s32 offset:592 ; 4-byte Folded Spill
	buffer_store_dword v3, off, s[0:3], s32 offset:596 ; 4-byte Folded Spill
	ds_read_b128 v[0:3], v105 offset:32
	s_waitcnt lgkmcnt(0)
	buffer_store_dword v0, off, s[0:3], s32 offset:600 ; 4-byte Folded Spill
	buffer_store_dword v1, off, s[0:3], s32 offset:604 ; 4-byte Folded Spill
	buffer_store_dword v2, off, s[0:3], s32 offset:608 ; 4-byte Folded Spill
	buffer_store_dword v3, off, s[0:3], s32 offset:612 ; 4-byte Folded Spill
	ds_read_b128 v[0:3], v105 offset:48
	s_waitcnt lgkmcnt(0)
	buffer_store_dword v0, off, s[0:3], s32 offset:616 ; 4-byte Folded Spill
	buffer_store_dword v1, off, s[0:3], s32 offset:620 ; 4-byte Folded Spill
	buffer_store_dword v2, off, s[0:3], s32 offset:624 ; 4-byte Folded Spill
	buffer_store_dword v3, off, s[0:3], s32 offset:628 ; 4-byte Folded Spill
	ds_read_b128 v[0:3], v105 offset:64
	s_waitcnt lgkmcnt(0)
	buffer_store_dword v0, off, s[0:3], s32 offset:632 ; 4-byte Folded Spill
	buffer_store_dword v1, off, s[0:3], s32 offset:636 ; 4-byte Folded Spill
	buffer_store_dword v2, off, s[0:3], s32 offset:640 ; 4-byte Folded Spill
	buffer_store_dword v3, off, s[0:3], s32 offset:644 ; 4-byte Folded Spill
	ds_read_b128 v[0:3], v105 offset:80
	s_waitcnt lgkmcnt(0)
	buffer_store_dword v0, off, s[0:3], s32 offset:648 ; 4-byte Folded Spill
	buffer_store_dword v1, off, s[0:3], s32 offset:652 ; 4-byte Folded Spill
	buffer_store_dword v2, off, s[0:3], s32 offset:656 ; 4-byte Folded Spill
	buffer_store_dword v3, off, s[0:3], s32 offset:660 ; 4-byte Folded Spill
	ds_read_b128 v[0:3], v105 offset:96
	s_waitcnt lgkmcnt(0)
	buffer_store_dword v0, off, s[0:3], s32 offset:664 ; 4-byte Folded Spill
	buffer_store_dword v1, off, s[0:3], s32 offset:668 ; 4-byte Folded Spill
	buffer_store_dword v2, off, s[0:3], s32 offset:672 ; 4-byte Folded Spill
	buffer_store_dword v3, off, s[0:3], s32 offset:676 ; 4-byte Folded Spill
	ds_read_b128 v[0:3], v105 offset:112
	s_waitcnt lgkmcnt(0)
	buffer_store_dword v0, off, s[0:3], s32 offset:680 ; 4-byte Folded Spill
	buffer_store_dword v1, off, s[0:3], s32 offset:684 ; 4-byte Folded Spill
	buffer_store_dword v2, off, s[0:3], s32 offset:688 ; 4-byte Folded Spill
	buffer_store_dword v3, off, s[0:3], s32 offset:692 ; 4-byte Folded Spill
	ds_read_b128 v[0:3], v105 offset:128
	s_waitcnt lgkmcnt(0)
	buffer_store_dword v0, off, s[0:3], s32 offset:696 ; 4-byte Folded Spill
	buffer_store_dword v1, off, s[0:3], s32 offset:700 ; 4-byte Folded Spill
	buffer_store_dword v2, off, s[0:3], s32 offset:704 ; 4-byte Folded Spill
	buffer_store_dword v3, off, s[0:3], s32 offset:708 ; 4-byte Folded Spill
	ds_read_b128 v[0:3], v105 offset:144
	s_waitcnt lgkmcnt(0)
	buffer_store_dword v0, off, s[0:3], s32 offset:712 ; 4-byte Folded Spill
	buffer_store_dword v1, off, s[0:3], s32 offset:716 ; 4-byte Folded Spill
	buffer_store_dword v2, off, s[0:3], s32 offset:720 ; 4-byte Folded Spill
	buffer_store_dword v3, off, s[0:3], s32 offset:724 ; 4-byte Folded Spill
	ds_read_b128 v[0:3], v105 offset:160
	s_waitcnt lgkmcnt(0)
	buffer_store_dword v0, off, s[0:3], s32 offset:728 ; 4-byte Folded Spill
	buffer_store_dword v1, off, s[0:3], s32 offset:732 ; 4-byte Folded Spill
	buffer_store_dword v2, off, s[0:3], s32 offset:736 ; 4-byte Folded Spill
	buffer_store_dword v3, off, s[0:3], s32 offset:740 ; 4-byte Folded Spill
	ds_read_b128 v[0:3], v105 offset:176
	s_waitcnt lgkmcnt(0)
	buffer_store_dword v0, off, s[0:3], s32 offset:744 ; 4-byte Folded Spill
	buffer_store_dword v1, off, s[0:3], s32 offset:748 ; 4-byte Folded Spill
	buffer_store_dword v2, off, s[0:3], s32 offset:752 ; 4-byte Folded Spill
	buffer_store_dword v3, off, s[0:3], s32 offset:756 ; 4-byte Folded Spill
	ds_read_b128 v[0:3], v105 offset:192
	s_waitcnt lgkmcnt(0)
	buffer_store_dword v0, off, s[0:3], s32 offset:760 ; 4-byte Folded Spill
	buffer_store_dword v1, off, s[0:3], s32 offset:764 ; 4-byte Folded Spill
	buffer_store_dword v2, off, s[0:3], s32 offset:768 ; 4-byte Folded Spill
	buffer_store_dword v3, off, s[0:3], s32 offset:772 ; 4-byte Folded Spill
	ds_read_b128 v[0:3], v105 offset:208
	s_waitcnt lgkmcnt(0)
	buffer_store_dword v0, off, s[0:3], s32 offset:776 ; 4-byte Folded Spill
	buffer_store_dword v1, off, s[0:3], s32 offset:780 ; 4-byte Folded Spill
	buffer_store_dword v2, off, s[0:3], s32 offset:784 ; 4-byte Folded Spill
	buffer_store_dword v3, off, s[0:3], s32 offset:788 ; 4-byte Folded Spill
	ds_read_b128 v[0:3], v105 offset:224
	s_waitcnt lgkmcnt(0)
	buffer_store_dword v0, off, s[0:3], s32 offset:792 ; 4-byte Folded Spill
	buffer_store_dword v1, off, s[0:3], s32 offset:796 ; 4-byte Folded Spill
	buffer_store_dword v2, off, s[0:3], s32 offset:800 ; 4-byte Folded Spill
	buffer_store_dword v3, off, s[0:3], s32 offset:804 ; 4-byte Folded Spill
	ds_read_b128 v[0:3], v105 offset:240
	s_waitcnt lgkmcnt(0)
	buffer_store_dword v0, off, s[0:3], s32 offset:808 ; 4-byte Folded Spill
	buffer_store_dword v1, off, s[0:3], s32 offset:812 ; 4-byte Folded Spill
	buffer_store_dword v2, off, s[0:3], s32 offset:816 ; 4-byte Folded Spill
	buffer_store_dword v3, off, s[0:3], s32 offset:820 ; 4-byte Folded Spill
	ds_read_b128 v[0:3], v105 offset:256
	s_waitcnt lgkmcnt(0)
	buffer_store_dword v0, off, s[0:3], s32 offset:824 ; 4-byte Folded Spill
	buffer_store_dword v1, off, s[0:3], s32 offset:828 ; 4-byte Folded Spill
	buffer_store_dword v2, off, s[0:3], s32 offset:832 ; 4-byte Folded Spill
	buffer_store_dword v3, off, s[0:3], s32 offset:836 ; 4-byte Folded Spill
	ds_read_b128 v[0:3], v105 offset:272
	s_waitcnt lgkmcnt(0)
	buffer_store_dword v0, off, s[0:3], s32 offset:840 ; 4-byte Folded Spill
	buffer_store_dword v1, off, s[0:3], s32 offset:844 ; 4-byte Folded Spill
	buffer_store_dword v2, off, s[0:3], s32 offset:848 ; 4-byte Folded Spill
	buffer_store_dword v3, off, s[0:3], s32 offset:852 ; 4-byte Folded Spill
	ds_read_b128 v[0:3], v105 offset:288
	s_waitcnt lgkmcnt(0)
	buffer_store_dword v0, off, s[0:3], s32 offset:856 ; 4-byte Folded Spill
	buffer_store_dword v1, off, s[0:3], s32 offset:860 ; 4-byte Folded Spill
	buffer_store_dword v2, off, s[0:3], s32 offset:864 ; 4-byte Folded Spill
	buffer_store_dword v3, off, s[0:3], s32 offset:868 ; 4-byte Folded Spill
	ds_read_b128 v[0:3], v105 offset:304
	s_waitcnt lgkmcnt(0)
	buffer_store_dword v0, off, s[0:3], s32 offset:872 ; 4-byte Folded Spill
	buffer_store_dword v1, off, s[0:3], s32 offset:876 ; 4-byte Folded Spill
	buffer_store_dword v2, off, s[0:3], s32 offset:880 ; 4-byte Folded Spill
	buffer_store_dword v3, off, s[0:3], s32 offset:884 ; 4-byte Folded Spill
	ds_read_b128 v[0:3], v105 offset:320
	s_waitcnt lgkmcnt(0)
	buffer_store_dword v0, off, s[0:3], s32 offset:888 ; 4-byte Folded Spill
	buffer_store_dword v1, off, s[0:3], s32 offset:892 ; 4-byte Folded Spill
	buffer_store_dword v2, off, s[0:3], s32 offset:896 ; 4-byte Folded Spill
	buffer_store_dword v3, off, s[0:3], s32 offset:900 ; 4-byte Folded Spill
	ds_read_b128 v[0:3], v105 offset:336
	s_waitcnt lgkmcnt(0)
	buffer_store_dword v0, off, s[0:3], s32 offset:904 ; 4-byte Folded Spill
	buffer_store_dword v1, off, s[0:3], s32 offset:908 ; 4-byte Folded Spill
	buffer_store_dword v2, off, s[0:3], s32 offset:912 ; 4-byte Folded Spill
	buffer_store_dword v3, off, s[0:3], s32 offset:916 ; 4-byte Folded Spill
	ds_read_b128 v[0:3], v105 offset:352
	s_waitcnt lgkmcnt(0)
	buffer_store_dword v0, off, s[0:3], s32 offset:920 ; 4-byte Folded Spill
	buffer_store_dword v1, off, s[0:3], s32 offset:924 ; 4-byte Folded Spill
	buffer_store_dword v2, off, s[0:3], s32 offset:928 ; 4-byte Folded Spill
	buffer_store_dword v3, off, s[0:3], s32 offset:932 ; 4-byte Folded Spill
	ds_read_b128 v[0:3], v105 offset:368
	s_waitcnt lgkmcnt(0)
	buffer_store_dword v0, off, s[0:3], s32 offset:936 ; 4-byte Folded Spill
	buffer_store_dword v1, off, s[0:3], s32 offset:940 ; 4-byte Folded Spill
	;; [unrolled: 1-line block ×4, first 2 shown]
	buffer_load_dword v0, off, s[0:3], s32 offset:544 ; 4-byte Folded Reload
	s_load_dword s13, s[18:19], 0x0
	buffer_store_dword v9, off, s[0:3], s32 offset:1004 ; 4-byte Folded Spill
	s_waitcnt vmcnt(0)
	v_cmp_neq_f32_e32 vcc_lo, 0, v0
	v_and_b32_e32 v0, 0x7c, v9
	v_add_co_u32 v0, s5, v0, v13
	buffer_store_dword v13, off, s[0:3], s32 offset:996 ; 4-byte Folded Spill
	buffer_store_dword v14, off, s[0:3], s32 offset:1000 ; 4-byte Folded Spill
	buffer_load_dword v9, off, s[0:3], s32 offset:956 ; 4-byte Folded Reload
	buffer_store_dword v10, off, s[0:3], s32 offset:976 ; 4-byte Folded Spill
	buffer_store_dword v11, off, s[0:3], s32 offset:972 ; 4-byte Folded Spill
	;; [unrolled: 1-line block ×3, first 2 shown]
	v_add_co_ci_u32_e64 v1, null, 0, v14, s5
	v_add_co_u32 v108, s5, v10, v0
	s_waitcnt vmcnt(0)
	v_lshl_or_b32 v0, v9, 7, v16
	v_add_co_ci_u32_e64 v109, null, v11, v1, s5
	v_lshl_or_b32 v94, v9, 5, v7
	s_waitcnt lgkmcnt(0)
	v_add_nc_u32_e32 v104, s13, v0
	s_branch .LBB222_10
.LBB222_6:                              ;   in Loop: Header=BB222_10 Depth=1
	s_or_b32 exec_lo, exec_lo, s18
	v_mov_b32_e32 v83, 24
	v_lshlrev_b32_e32 v86, 20, v104
	v_lshl_add_u32 v82, v82, 23, 0x3c000000
	v_lshlrev_b32_sdwa v83, v83, v113 dst_sel:DWORD dst_unused:UNUSED_PAD src0_sel:DWORD src1_sel:BYTE_3
	v_and_b32_e32 v83, 0x80000000, v83
	v_or3_b32 v83, v86, v83, v82
	v_mov_b32_e32 v82, v105
.LBB222_7:                              ;   in Loop: Header=BB222_10 Depth=1
	s_or_b32 exec_lo, exec_lo, s17
.LBB222_8:                              ;   in Loop: Header=BB222_10 Depth=1
	s_or_b32 exec_lo, exec_lo, s15
	s_clause 0x2
	buffer_load_dword v104, off, s[0:3], s32 offset:524
	buffer_load_dword v9, off, s[0:3], s32 offset:528
	;; [unrolled: 1-line block ×3, first 2 shown]
.LBB222_9:                              ;   in Loop: Header=BB222_10 Depth=1
	s_or_b32 exec_lo, exec_lo, s13
	v_or_b32_e32 v39, v39, v53
	v_or_b32_e32 v52, v38, v52
	;; [unrolled: 1-line block ×5, first 2 shown]
	v_mul_f32_e32 v38, v112, v39
	v_or_b32_e32 v39, v67, v49
	s_clause 0x1
	buffer_load_dword v66, off, s[0:3], s32 offset:508
	buffer_load_dword v67, off, s[0:3], s32 offset:512
	v_mul_f32_e32 v30, v112, v31
	v_or_b32_e32 v31, v51, v33
	v_or_b32_e32 v15, v15, v29
	;; [unrolled: 1-line block ×6, first 2 shown]
	v_mul_f32_e32 v14, v112, v15
	v_or_b32_e32 v15, v35, v25
	v_or_b32_e32 v25, v12, v106
	;; [unrolled: 1-line block ×5, first 2 shown]
	v_mul_f32_e32 v12, v112, v13
	v_mul_f32_e32 v13, v112, v25
	v_or_b32_e32 v3, v27, v3
	v_or_b32_e32 v25, v26, v2
	v_mul_f32_e32 v68, v112, v69
	v_mul_f32_e32 v69, v112, v98
	;; [unrolled: 1-line block ×6, first 2 shown]
	v_or_b32_e32 v23, v23, v101
	v_or_b32_e32 v25, v22, v100
	;; [unrolled: 1-line block ×7, first 2 shown]
	v_mul_f32_e32 v70, v112, v71
	v_or_b32_e32 v71, v111, v103
	v_mul_f32_e32 v4, v112, v5
	v_or_b32_e32 v26, v90, v44
	;; [unrolled: 2-line block ×3, first 2 shown]
	v_or_b32_e32 v35, v57, v47
	v_or_b32_e32 v37, v56, v46
	;; [unrolled: 1-line block ×4, first 2 shown]
	v_mul_f32_e32 v22, v112, v23
	v_mul_f32_e32 v23, v112, v25
	v_mul_f32_e32 v25, v112, v11
	v_or_b32_e32 v11, v21, v17
	v_mul_f32_e32 v21, v112, v20
	v_or_b32_e32 v20, v91, v45
	v_or_b32_e32 v32, v50, v32
	v_mul_f32_e32 v49, v112, v37
	v_or_b32_e32 v37, v59, v61
	v_or_b32_e32 v50, v58, v60
	;; [unrolled: 1-line block ×8, first 2 shown]
	v_mul_f32_e32 v33, v112, v29
	v_or_b32_e32 v29, v75, v77
	v_or_b32_e32 v19, v55, v19
	;; [unrolled: 1-line block ×3, first 2 shown]
	v_mul_f32_e32 v54, v112, v18
	v_or_b32_e32 v18, v83, v81
	v_or_b32_e32 v7, v7, v0
	;; [unrolled: 1-line block ×3, first 2 shown]
	v_mul_f32_e32 v0, v112, v1
	v_or_b32_e32 v1, v125, v127
	v_mul_f32_e32 v86, v112, v86
	v_mul_f32_e32 v71, v112, v71
	;; [unrolled: 1-line block ×27, first 2 shown]
	s_waitcnt vmcnt(2)
	v_cmp_lt_i32_e64 s5, v94, v116
	v_add_nc_u32_e32 v9, 4, v9
	s_waitcnt vmcnt(1)
	v_or_b32_e32 v53, v40, v66
	s_waitcnt vmcnt(0)
	v_or_b32_e32 v51, v41, v67
	s_clause 0x1
	buffer_load_dword v66, off, s[0:3], s32 offset:516
	buffer_load_dword v67, off, s[0:3], s32 offset:520
	v_mul_f32_e32 v98, v112, v53
	v_mul_f32_e32 v84, v112, v51
	s_waitcnt vmcnt(1)
	v_or_b32_e32 v53, v42, v66
	s_waitcnt vmcnt(0)
	v_or_b32_e32 v51, v43, v67
	s_clause 0x3
	buffer_load_dword v66, off, s[0:3], s32 offset:476
	buffer_load_dword v67, off, s[0:3], s32 offset:480
	buffer_load_dword v100, off, s[0:3], s32 offset:484
	buffer_load_dword v101, off, s[0:3], s32 offset:488
	v_mul_f32_e32 v99, v112, v53
	v_mul_f32_e32 v85, v112, v51
	s_waitcnt vmcnt(1)
	v_or_b32_e32 v53, v100, v66
	s_waitcnt vmcnt(0)
	v_or_b32_e32 v51, v101, v67
	s_clause 0x3
	buffer_load_dword v66, off, s[0:3], s32 offset:492
	buffer_load_dword v67, off, s[0:3], s32 offset:496
	;; [unrolled: 11-line block ×19, first 2 shown]
	v_mul_f32_e32 v88, v112, v53
	v_mul_f32_e32 v79, v112, v51
	s_waitcnt vmcnt(1)
	v_or_b32_e32 v53, v89, v92
	s_clause 0x3
	buffer_load_dword v91, off, s[0:3], s32 offset:204
	buffer_load_dword v92, off, s[0:3], s32 offset:208
	;; [unrolled: 1-line block ×4, first 2 shown]
	s_waitcnt vmcnt(4)
	v_or_b32_e32 v51, v90, v93
	v_mul_f32_e32 v90, v112, v53
	v_mul_f32_e32 v89, v112, v51
	s_waitcnt vmcnt(1)
	v_or_b32_e32 v53, v91, v106
	s_waitcnt vmcnt(0)
	v_or_b32_e32 v51, v92, v107
	v_mul_f32_e32 v92, v112, v53
	buffer_load_dword v53, off, s[0:3], s32 offset:544 ; 4-byte Folded Reload
	v_mul_f32_e32 v91, v112, v51
	v_sub_nc_u32_e32 v51, 1, v116
	s_clause 0x3
	buffer_load_dword v120, off, s[0:3], s32 offset:584
	buffer_load_dword v121, off, s[0:3], s32 offset:588
	;; [unrolled: 1-line block ×4, first 2 shown]
	v_add_nc_u32_e32 v51, v51, v94
	v_add_nc_u32_e32 v94, 0x80, v94
	v_cvt_f32_i32_e32 v51, v51
	s_waitcnt vmcnt(3)
	v_mul_f32_e32 v55, v120, v67
	v_mul_f32_e32 v93, v53, v51
	v_or_b32_e32 v51, v82, v80
	s_clause 0x3
	buffer_load_dword v80, off, s[0:3], s32 offset:568
	buffer_load_dword v81, off, s[0:3], s32 offset:572
	;; [unrolled: 1-line block ×4, first 2 shown]
	s_waitcnt vmcnt(6)
	v_mul_f32_e32 v66, v121, v66
	s_waitcnt vmcnt(5)
	v_mul_f32_e32 v67, v122, v88
	v_mul_f32_e32 v53, v112, v19
	;; [unrolled: 1-line block ×4, first 2 shown]
	v_cndmask_b32_e32 v18, 0, v93, vcc_lo
	s_waitcnt vmcnt(3)
	v_fmac_f32_e32 v55, v80, v90
	v_mul_f32_e32 v80, v123, v79
	s_waitcnt vmcnt(2)
	v_fmac_f32_e32 v66, v81, v89
	s_waitcnt vmcnt(1)
	v_fmac_f32_e32 v67, v82, v92
	s_waitcnt vmcnt(0)
	v_fmac_f32_e32 v80, v83, v91
	s_clause 0x3
	buffer_load_dword v88, off, s[0:3], s32 offset:600
	buffer_load_dword v89, off, s[0:3], s32 offset:604
	buffer_load_dword v90, off, s[0:3], s32 offset:608
	buffer_load_dword v91, off, s[0:3], s32 offset:612
	s_waitcnt vmcnt(3)
	v_fmac_f32_e32 v55, v88, v76
	s_waitcnt vmcnt(2)
	v_fmac_f32_e32 v66, v89, v75
	s_waitcnt vmcnt(1)
	v_fmac_f32_e32 v67, v90, v78
	s_waitcnt vmcnt(0)
	v_fmac_f32_e32 v80, v91, v77
	s_clause 0x3
	buffer_load_dword v75, off, s[0:3], s32 offset:616
	buffer_load_dword v76, off, s[0:3], s32 offset:620
	buffer_load_dword v77, off, s[0:3], s32 offset:624
	buffer_load_dword v78, off, s[0:3], s32 offset:628
	s_waitcnt vmcnt(3)
	v_fmac_f32_e32 v55, v75, v72
	;; [unrolled: 13-line block ×9, first 2 shown]
	s_waitcnt vmcnt(2)
	v_fmac_f32_e32 v66, v101, v84
	s_clause 0x3
	buffer_load_dword v81, off, s[0:3], s32 offset:744
	buffer_load_dword v82, off, s[0:3], s32 offset:748
	;; [unrolled: 1-line block ×4, first 2 shown]
	s_waitcnt vmcnt(5)
	v_fmac_f32_e32 v67, v102, v99
	s_waitcnt vmcnt(4)
	v_fmac_f32_e32 v80, v103, v85
	;; [unrolled: 2-line block ×6, first 2 shown]
	s_clause 0x3
	buffer_load_dword v81, off, s[0:3], s32 offset:760
	buffer_load_dword v82, off, s[0:3], s32 offset:764
	buffer_load_dword v83, off, s[0:3], s32 offset:768
	buffer_load_dword v84, off, s[0:3], s32 offset:772
	s_waitcnt vmcnt(3)
	v_fmac_f32_e32 v55, v81, v33
	s_waitcnt vmcnt(2)
	v_fmac_f32_e32 v66, v82, v27
	s_waitcnt vmcnt(1)
	v_fmac_f32_e32 v67, v83, v34
	s_waitcnt vmcnt(0)
	v_fmac_f32_e32 v80, v84, v29
	s_clause 0x3
	buffer_load_dword v81, off, s[0:3], s32 offset:776
	buffer_load_dword v82, off, s[0:3], s32 offset:780
	buffer_load_dword v83, off, s[0:3], s32 offset:784
	buffer_load_dword v84, off, s[0:3], s32 offset:788
	s_waitcnt vmcnt(3)
	v_fmac_f32_e32 v55, v81, v21
	s_waitcnt vmcnt(2)
	v_fmac_f32_e32 v66, v82, v17
	s_waitcnt vmcnt(1)
	v_fmac_f32_e32 v67, v83, v26
	s_waitcnt vmcnt(0)
	v_fmac_f32_e32 v80, v84, v20
	;; [unrolled: 13-line block ×4, first 2 shown]
	s_clause 0x3
	buffer_load_dword v81, off, s[0:3], s32 offset:824
	buffer_load_dword v82, off, s[0:3], s32 offset:828
	;; [unrolled: 1-line block ×4, first 2 shown]
	s_waitcnt vmcnt(3)
	v_fmac_f32_e32 v55, v81, v23
	s_waitcnt vmcnt(2)
	v_fmac_f32_e32 v66, v82, v22
	s_clause 0x3
	buffer_load_dword v20, off, s[0:3], s32 offset:840
	buffer_load_dword v21, off, s[0:3], s32 offset:844
	;; [unrolled: 1-line block ×4, first 2 shown]
	s_waitcnt vmcnt(5)
	v_fmac_f32_e32 v67, v83, v5
	s_waitcnt vmcnt(4)
	v_fmac_f32_e32 v80, v84, v4
	;; [unrolled: 2-line block ×6, first 2 shown]
	s_clause 0x3
	buffer_load_dword v0, off, s[0:3], s32 offset:856
	buffer_load_dword v1, off, s[0:3], s32 offset:860
	buffer_load_dword v2, off, s[0:3], s32 offset:864
	buffer_load_dword v3, off, s[0:3], s32 offset:868
	s_waitcnt vmcnt(3)
	v_fmac_f32_e32 v55, v0, v28
	s_waitcnt vmcnt(2)
	v_fmac_f32_e32 v66, v1, v14
	s_waitcnt vmcnt(1)
	v_fmac_f32_e32 v67, v2, v24
	s_waitcnt vmcnt(0)
	v_fmac_f32_e32 v80, v3, v15
	s_clause 0x3
	buffer_load_dword v0, off, s[0:3], s32 offset:872
	buffer_load_dword v1, off, s[0:3], s32 offset:876
	buffer_load_dword v2, off, s[0:3], s32 offset:880
	buffer_load_dword v3, off, s[0:3], s32 offset:884
	s_waitcnt vmcnt(3)
	v_fmac_f32_e32 v55, v0, v36
	s_waitcnt vmcnt(2)
	v_fmac_f32_e32 v66, v1, v30
	s_waitcnt vmcnt(1)
	v_fmac_f32_e32 v67, v2, v32
	s_waitcnt vmcnt(0)
	v_fmac_f32_e32 v80, v3, v31
	;; [unrolled: 13-line block ×5, first 2 shown]
	s_clause 0x4
	buffer_load_dword v0, off, s[0:3], s32 offset:936
	buffer_load_dword v1, off, s[0:3], s32 offset:940
	;; [unrolled: 1-line block ×5, first 2 shown]
	s_waitcnt vmcnt(4)
	v_fmac_f32_e32 v55, v0, v54
	s_waitcnt vmcnt(3)
	v_fmac_f32_e32 v66, v1, v53
	buffer_load_dword v1, off, s[0:3], s32 offset:556 ; 4-byte Folded Reload
	s_waitcnt vmcnt(3)
	v_fmac_f32_e32 v67, v2, v51
	s_waitcnt vmcnt(2)
	v_fmac_f32_e32 v80, v3, v19
	v_add_f32_e32 v0, v55, v66
	v_add_f32_e32 v0, v67, v0
	;; [unrolled: 1-line block ×3, first 2 shown]
	s_waitcnt vmcnt(0)
	v_fmac_f32_e32 v18, v1, v0
	v_cndmask_b32_e64 v0, 0, v18, s5
	ds_write_b32 v104, v0
	v_max_f32_e32 v0, v8, v8
	v_add_nc_u32_e32 v104, 0x200, v104
	v_max_f32_e32 v0, v0, v18
	v_cndmask_b32_e64 v8, v8, v0, s5
	buffer_load_dword v0, off, s[0:3], s32 offset:192 ; 4-byte Folded Reload
	v_add_co_u32 v108, s5, v108, 16
	v_add_co_ci_u32_e64 v109, null, 0, v109, s5
	s_waitcnt vmcnt(0)
	v_cmp_ge_i32_e64 s5, v9, v0
	s_or_b32 s9, s5, s9
	s_andn2_b32 exec_lo, exec_lo, s9
	s_cbranch_execz .LBB222_775
.LBB222_10:                             ; =>This Inner Loop Header: Depth=1
	buffer_store_dword v94, off, s[0:3], s32 offset:532 ; 4-byte Folded Spill
	buffer_store_dword v9, off, s[0:3], s32 offset:528 ; 4-byte Folded Spill
	;; [unrolled: 1-line block ×4, first 2 shown]
	flat_load_dword v0, v[108:109]
	s_clause 0x2
	buffer_load_dword v1, off, s[0:3], s32 offset:536
	buffer_load_dword v2, off, s[0:3], s32 offset:560
	;; [unrolled: 1-line block ×3, first 2 shown]
	v_mov_b32_e32 v92, 0
	v_mov_b32_e32 v93, 0
	s_waitcnt vmcnt(0) lgkmcnt(0)
	v_mad_i64_i32 v[100:101], null, v0, v1, v[2:3]
	flat_load_dword v0, v[100:101]
	s_clause 0x1
	buffer_load_dword v1, off, s[0:3], s32 offset:548
	buffer_load_dword v2, off, s[0:3], s32 offset:552
	s_waitcnt vmcnt(2) lgkmcnt(0)
	v_cmp_ne_u16_sdwa s5, v0, v105 src0_sel:BYTE_0 src1_sel:DWORD
	s_waitcnt vmcnt(0)
	flat_load_dword v112, v[1:2]
	v_mov_b32_e32 v1, 0
	v_mov_b32_e32 v2, 0
	buffer_store_dword v1, off, s[0:3], s32 offset:196 ; 4-byte Folded Spill
	buffer_store_dword v2, off, s[0:3], s32 offset:200 ; 4-byte Folded Spill
	s_and_saveexec_b32 s13, s5
	s_cbranch_execz .LBB222_18
; %bb.11:                               ;   in Loop: Header=BB222_10 Depth=1
	v_bfrev_b32_e32 v92, 1
	v_mov_b32_e32 v93, 0
	v_cmp_ne_u16_sdwa s5, v0, v117 src0_sel:BYTE_0 src1_sel:DWORD
	s_and_saveexec_b32 s15, s5
	s_cbranch_execz .LBB222_17
; %bb.12:                               ;   in Loop: Header=BB222_10 Depth=1
	v_mov_b32_e32 v92, 0x7f800001
	v_and_b32_e32 v2, 0x7f, v0
	v_mov_b32_e32 v93, 0
	s_mov_b32 s17, exec_lo
	v_cmpx_ne_u32_e32 0x7f, v2
	s_cbranch_execz .LBB222_16
; %bb.13:                               ;   in Loop: Header=BB222_10 Depth=1
	v_and_b32_e32 v104, 7, v0
	v_lshrrev_b32_e32 v1, 3, v2
	s_mov_b32 s18, exec_lo
	v_cmpx_gt_u32_e32 8, v2
; %bb.14:                               ;   in Loop: Header=BB222_10 Depth=1
	v_ffbh_u32_e32 v1, v104
	v_min_u32_e32 v1, 32, v1
	v_subrev_nc_u32_e32 v2, 28, v1
	v_sub_nc_u32_e32 v1, 29, v1
	v_lshlrev_b64 v[2:3], v2, v[104:105]
	v_and_b32_e32 v104, 7, v2
; %bb.15:                               ;   in Loop: Header=BB222_10 Depth=1
	s_or_b32 exec_lo, exec_lo, s18
	v_lshlrev_b32_e32 v2, 24, v0
	v_lshlrev_b32_e32 v3, 20, v104
	v_lshl_add_u32 v1, v1, 23, 0x3c000000
	v_and_b32_e32 v2, 0x80000000, v2
	v_or3_b32 v104, v3, v2, v1
	v_mov_b32_e32 v92, v104
	v_mov_b32_e32 v93, v105
.LBB222_16:                             ;   in Loop: Header=BB222_10 Depth=1
	s_or_b32 exec_lo, exec_lo, s17
.LBB222_17:                             ;   in Loop: Header=BB222_10 Depth=1
	s_or_b32 exec_lo, exec_lo, s15
.LBB222_18:                             ;   in Loop: Header=BB222_10 Depth=1
	s_or_b32 exec_lo, exec_lo, s13
	v_cmp_ne_u16_sdwa s5, v0, v105 src0_sel:BYTE_1 src1_sel:DWORD
	s_and_saveexec_b32 s13, s5
	s_cbranch_execz .LBB222_26
; %bb.19:                               ;   in Loop: Header=BB222_10 Depth=1
	v_mov_b32_e32 v96, v105
	v_cmp_ne_u16_sdwa s5, v0, v117 src0_sel:BYTE_1 src1_sel:DWORD
	buffer_store_dword v96, off, s[0:3], s32 offset:196 ; 4-byte Folded Spill
	buffer_store_dword v97, off, s[0:3], s32 offset:200 ; 4-byte Folded Spill
	s_and_saveexec_b32 s15, s5
	s_cbranch_execz .LBB222_25
; %bb.20:                               ;   in Loop: Header=BB222_10 Depth=1
	v_mov_b32_e32 v1, 0xffff
	v_mov_b32_e32 v86, v105
	s_mov_b32 s17, exec_lo
	buffer_store_dword v86, off, s[0:3], s32 offset:196 ; 4-byte Folded Spill
	buffer_store_dword v87, off, s[0:3], s32 offset:200 ; 4-byte Folded Spill
	v_and_b32_sdwa v1, v1, v0 dst_sel:DWORD dst_unused:UNUSED_PAD src0_sel:DWORD src1_sel:BYTE_1
	v_and_b32_e32 v2, 0x7f, v1
	v_cmpx_ne_u32_e32 0x7f, v2
	s_cbranch_execz .LBB222_24
; %bb.21:                               ;   in Loop: Header=BB222_10 Depth=1
	v_and_b32_e32 v104, 7, v1
	v_lshrrev_b32_e32 v1, 3, v2
	s_mov_b32 s18, exec_lo
	v_cmpx_gt_u32_e32 8, v2
; %bb.22:                               ;   in Loop: Header=BB222_10 Depth=1
	v_ffbh_u32_e32 v1, v104
	v_min_u32_e32 v1, 32, v1
	v_subrev_nc_u32_e32 v2, 28, v1
	v_sub_nc_u32_e32 v1, 29, v1
	v_lshlrev_b64 v[2:3], v2, v[104:105]
	v_and_b32_e32 v104, 7, v2
; %bb.23:                               ;   in Loop: Header=BB222_10 Depth=1
	s_or_b32 exec_lo, exec_lo, s18
	v_lshlrev_b32_e32 v2, 16, v0
	v_lshlrev_b32_e32 v3, 20, v104
	v_lshl_add_u32 v1, v1, 23, 0x3c000000
	v_and_b32_e32 v2, 0x80000000, v2
	v_or3_b32 v2, v3, v2, v1
	v_mov_b32_e32 v1, v105
	buffer_store_dword v1, off, s[0:3], s32 offset:196 ; 4-byte Folded Spill
	buffer_store_dword v2, off, s[0:3], s32 offset:200 ; 4-byte Folded Spill
.LBB222_24:                             ;   in Loop: Header=BB222_10 Depth=1
	s_or_b32 exec_lo, exec_lo, s17
.LBB222_25:                             ;   in Loop: Header=BB222_10 Depth=1
	s_or_b32 exec_lo, exec_lo, s15
.LBB222_26:                             ;   in Loop: Header=BB222_10 Depth=1
	s_or_b32 exec_lo, exec_lo, s13
	v_mov_b32_e32 v2, 0
	v_mov_b32_e32 v3, 0
	v_and_b32_sdwa v1, v0, v6 dst_sel:DWORD dst_unused:UNUSED_PAD src0_sel:WORD_1 src1_sel:DWORD
	s_mov_b32 s13, exec_lo
	buffer_store_dword v2, off, s[0:3], s32 offset:204 ; 4-byte Folded Spill
	buffer_store_dword v3, off, s[0:3], s32 offset:208 ; 4-byte Folded Spill
	v_mov_b32_e32 v2, 0
	v_mov_b32_e32 v3, 0
	buffer_store_dword v2, off, s[0:3], s32 offset:212 ; 4-byte Folded Spill
	buffer_store_dword v3, off, s[0:3], s32 offset:216 ; 4-byte Folded Spill
	v_cmpx_ne_u16_e32 0, v1
	s_cbranch_execz .LBB222_34
; %bb.27:                               ;   in Loop: Header=BB222_10 Depth=1
	v_cmp_ne_u16_e64 s5, 0x80, v1
	v_bfrev_b32_e32 v1, 1
	v_mov_b32_e32 v2, 0
	buffer_store_dword v1, off, s[0:3], s32 offset:212 ; 4-byte Folded Spill
	buffer_store_dword v2, off, s[0:3], s32 offset:216 ; 4-byte Folded Spill
	s_and_saveexec_b32 s15, s5
	s_cbranch_execz .LBB222_33
; %bb.28:                               ;   in Loop: Header=BB222_10 Depth=1
	v_mov_b32_e32 v3, 0x7f800001
	v_bfe_u32 v2, v0, 16, 7
	v_mov_b32_e32 v4, 0
	s_mov_b32 s17, exec_lo
	buffer_store_dword v3, off, s[0:3], s32 offset:212 ; 4-byte Folded Spill
	buffer_store_dword v4, off, s[0:3], s32 offset:216 ; 4-byte Folded Spill
	v_cmpx_ne_u32_e32 0x7f, v2
	s_cbranch_execz .LBB222_32
; %bb.29:                               ;   in Loop: Header=BB222_10 Depth=1
	v_mov_b32_e32 v1, 7
	s_mov_b32 s18, exec_lo
	v_and_b32_sdwa v104, v0, v1 dst_sel:DWORD dst_unused:UNUSED_PAD src0_sel:WORD_1 src1_sel:DWORD
	v_lshrrev_b32_e32 v1, 3, v2
	v_cmpx_gt_u32_e32 8, v2
; %bb.30:                               ;   in Loop: Header=BB222_10 Depth=1
	v_ffbh_u32_e32 v1, v104
	v_min_u32_e32 v1, 32, v1
	v_subrev_nc_u32_e32 v2, 28, v1
	v_sub_nc_u32_e32 v1, 29, v1
	v_lshlrev_b64 v[2:3], v2, v[104:105]
	v_and_b32_e32 v104, 7, v2
; %bb.31:                               ;   in Loop: Header=BB222_10 Depth=1
	s_or_b32 exec_lo, exec_lo, s18
	v_mov_b32_e32 v2, 24
	v_lshlrev_b32_e32 v3, 20, v104
	v_lshl_add_u32 v1, v1, 23, 0x3c000000
	v_lshlrev_b32_sdwa v2, v2, v0 dst_sel:DWORD dst_unused:UNUSED_PAD src0_sel:DWORD src1_sel:WORD_1
	v_and_b32_e32 v2, 0x80000000, v2
	v_or3_b32 v104, v3, v2, v1
	buffer_store_dword v104, off, s[0:3], s32 offset:212 ; 4-byte Folded Spill
	buffer_store_dword v105, off, s[0:3], s32 offset:216 ; 4-byte Folded Spill
.LBB222_32:                             ;   in Loop: Header=BB222_10 Depth=1
	s_or_b32 exec_lo, exec_lo, s17
.LBB222_33:                             ;   in Loop: Header=BB222_10 Depth=1
	s_or_b32 exec_lo, exec_lo, s15
.LBB222_34:                             ;   in Loop: Header=BB222_10 Depth=1
	s_or_b32 exec_lo, exec_lo, s13
	s_mov_b32 s13, exec_lo
	v_cmpx_lt_u32_e32 0xffffff, v0
	s_cbranch_execz .LBB222_42
; %bb.35:                               ;   in Loop: Header=BB222_10 Depth=1
	v_mov_b32_e32 v96, v105
	v_cmp_ne_u32_sdwa s5, v0, v117 src0_sel:BYTE_3 src1_sel:DWORD
	buffer_store_dword v96, off, s[0:3], s32 offset:204 ; 4-byte Folded Spill
	buffer_store_dword v97, off, s[0:3], s32 offset:208 ; 4-byte Folded Spill
	s_and_saveexec_b32 s15, s5
	s_cbranch_execz .LBB222_41
; %bb.36:                               ;   in Loop: Header=BB222_10 Depth=1
	v_bfe_u32 v2, v0, 24, 7
	v_mov_b32_e32 v86, v105
	s_mov_b32 s17, exec_lo
	buffer_store_dword v86, off, s[0:3], s32 offset:204 ; 4-byte Folded Spill
	buffer_store_dword v87, off, s[0:3], s32 offset:208 ; 4-byte Folded Spill
	v_cmpx_ne_u32_e32 0x7f, v2
	s_cbranch_execz .LBB222_40
; %bb.37:                               ;   in Loop: Header=BB222_10 Depth=1
	v_mov_b32_e32 v1, 7
	s_mov_b32 s18, exec_lo
	v_and_b32_sdwa v104, v0, v1 dst_sel:DWORD dst_unused:UNUSED_PAD src0_sel:BYTE_3 src1_sel:DWORD
	v_lshrrev_b32_e32 v1, 3, v2
	v_cmpx_gt_u32_e32 8, v2
; %bb.38:                               ;   in Loop: Header=BB222_10 Depth=1
	v_ffbh_u32_e32 v1, v104
	v_min_u32_e32 v1, 32, v1
	v_subrev_nc_u32_e32 v2, 28, v1
	v_sub_nc_u32_e32 v1, 29, v1
	v_lshlrev_b64 v[2:3], v2, v[104:105]
	v_and_b32_e32 v104, 7, v2
; %bb.39:                               ;   in Loop: Header=BB222_10 Depth=1
	s_or_b32 exec_lo, exec_lo, s18
	v_mov_b32_e32 v2, 24
	v_lshl_add_u32 v1, v1, 23, 0x3c000000
	v_lshlrev_b32_sdwa v0, v2, v0 dst_sel:DWORD dst_unused:UNUSED_PAD src0_sel:DWORD src1_sel:BYTE_3
	v_lshlrev_b32_e32 v2, 20, v104
	v_and_b32_e32 v0, 0x80000000, v0
	v_or3_b32 v1, v2, v0, v1
	v_mov_b32_e32 v0, v105
	buffer_store_dword v0, off, s[0:3], s32 offset:204 ; 4-byte Folded Spill
	buffer_store_dword v1, off, s[0:3], s32 offset:208 ; 4-byte Folded Spill
.LBB222_40:                             ;   in Loop: Header=BB222_10 Depth=1
	s_or_b32 exec_lo, exec_lo, s17
.LBB222_41:                             ;   in Loop: Header=BB222_10 Depth=1
	s_or_b32 exec_lo, exec_lo, s15
.LBB222_42:                             ;   in Loop: Header=BB222_10 Depth=1
	s_or_b32 exec_lo, exec_lo, s13
	flat_load_dword v0, v[100:101] offset:4
	v_mov_b32_e32 v1, 0
	v_mov_b32_e32 v2, 0
	buffer_store_dword v1, off, s[0:3], s32 offset:228 ; 4-byte Folded Spill
	buffer_store_dword v2, off, s[0:3], s32 offset:232 ; 4-byte Folded Spill
	v_mov_b32_e32 v1, 0
	v_mov_b32_e32 v2, 0
	buffer_store_dword v1, off, s[0:3], s32 offset:220 ; 4-byte Folded Spill
	buffer_store_dword v2, off, s[0:3], s32 offset:224 ; 4-byte Folded Spill
	s_waitcnt vmcnt(0) lgkmcnt(0)
	v_cmp_ne_u16_sdwa s5, v0, v105 src0_sel:BYTE_0 src1_sel:DWORD
	s_and_saveexec_b32 s13, s5
	s_cbranch_execz .LBB222_50
; %bb.43:                               ;   in Loop: Header=BB222_10 Depth=1
	v_bfrev_b32_e32 v1, 1
	v_mov_b32_e32 v2, 0
	v_cmp_ne_u16_sdwa s5, v0, v117 src0_sel:BYTE_0 src1_sel:DWORD
	buffer_store_dword v1, off, s[0:3], s32 offset:220 ; 4-byte Folded Spill
	buffer_store_dword v2, off, s[0:3], s32 offset:224 ; 4-byte Folded Spill
	s_and_saveexec_b32 s15, s5
	s_cbranch_execz .LBB222_49
; %bb.44:                               ;   in Loop: Header=BB222_10 Depth=1
	v_mov_b32_e32 v3, 0x7f800001
	v_and_b32_e32 v2, 0x7f, v0
	v_mov_b32_e32 v4, 0
	s_mov_b32 s17, exec_lo
	buffer_store_dword v3, off, s[0:3], s32 offset:220 ; 4-byte Folded Spill
	buffer_store_dword v4, off, s[0:3], s32 offset:224 ; 4-byte Folded Spill
	v_cmpx_ne_u32_e32 0x7f, v2
	s_cbranch_execz .LBB222_48
; %bb.45:                               ;   in Loop: Header=BB222_10 Depth=1
	v_and_b32_e32 v104, 7, v0
	v_lshrrev_b32_e32 v1, 3, v2
	s_mov_b32 s18, exec_lo
	v_cmpx_gt_u32_e32 8, v2
; %bb.46:                               ;   in Loop: Header=BB222_10 Depth=1
	v_ffbh_u32_e32 v1, v104
	v_min_u32_e32 v1, 32, v1
	v_subrev_nc_u32_e32 v2, 28, v1
	v_sub_nc_u32_e32 v1, 29, v1
	v_lshlrev_b64 v[2:3], v2, v[104:105]
	v_and_b32_e32 v104, 7, v2
; %bb.47:                               ;   in Loop: Header=BB222_10 Depth=1
	s_or_b32 exec_lo, exec_lo, s18
	v_lshlrev_b32_e32 v2, 24, v0
	v_lshlrev_b32_e32 v3, 20, v104
	v_lshl_add_u32 v1, v1, 23, 0x3c000000
	v_and_b32_e32 v2, 0x80000000, v2
	v_or3_b32 v104, v3, v2, v1
	buffer_store_dword v104, off, s[0:3], s32 offset:220 ; 4-byte Folded Spill
	buffer_store_dword v105, off, s[0:3], s32 offset:224 ; 4-byte Folded Spill
.LBB222_48:                             ;   in Loop: Header=BB222_10 Depth=1
	s_or_b32 exec_lo, exec_lo, s17
.LBB222_49:                             ;   in Loop: Header=BB222_10 Depth=1
	s_or_b32 exec_lo, exec_lo, s15
.LBB222_50:                             ;   in Loop: Header=BB222_10 Depth=1
	s_or_b32 exec_lo, exec_lo, s13
	v_cmp_ne_u16_sdwa s5, v0, v105 src0_sel:BYTE_1 src1_sel:DWORD
	s_and_saveexec_b32 s13, s5
	s_cbranch_execz .LBB222_58
; %bb.51:                               ;   in Loop: Header=BB222_10 Depth=1
	v_mov_b32_e32 v96, v105
	v_cmp_ne_u16_sdwa s5, v0, v117 src0_sel:BYTE_1 src1_sel:DWORD
	buffer_store_dword v96, off, s[0:3], s32 offset:228 ; 4-byte Folded Spill
	buffer_store_dword v97, off, s[0:3], s32 offset:232 ; 4-byte Folded Spill
	s_and_saveexec_b32 s15, s5
	s_cbranch_execz .LBB222_57
; %bb.52:                               ;   in Loop: Header=BB222_10 Depth=1
	v_mov_b32_e32 v1, 0xffff
	v_mov_b32_e32 v86, v105
	s_mov_b32 s17, exec_lo
	buffer_store_dword v86, off, s[0:3], s32 offset:228 ; 4-byte Folded Spill
	buffer_store_dword v87, off, s[0:3], s32 offset:232 ; 4-byte Folded Spill
	v_and_b32_sdwa v1, v1, v0 dst_sel:DWORD dst_unused:UNUSED_PAD src0_sel:DWORD src1_sel:BYTE_1
	v_and_b32_e32 v2, 0x7f, v1
	v_cmpx_ne_u32_e32 0x7f, v2
	s_cbranch_execz .LBB222_56
; %bb.53:                               ;   in Loop: Header=BB222_10 Depth=1
	v_and_b32_e32 v104, 7, v1
	v_lshrrev_b32_e32 v1, 3, v2
	s_mov_b32 s18, exec_lo
	v_cmpx_gt_u32_e32 8, v2
; %bb.54:                               ;   in Loop: Header=BB222_10 Depth=1
	v_ffbh_u32_e32 v1, v104
	v_min_u32_e32 v1, 32, v1
	v_subrev_nc_u32_e32 v2, 28, v1
	v_sub_nc_u32_e32 v1, 29, v1
	v_lshlrev_b64 v[2:3], v2, v[104:105]
	v_and_b32_e32 v104, 7, v2
; %bb.55:                               ;   in Loop: Header=BB222_10 Depth=1
	s_or_b32 exec_lo, exec_lo, s18
	v_lshlrev_b32_e32 v2, 16, v0
	v_lshlrev_b32_e32 v3, 20, v104
	v_lshl_add_u32 v1, v1, 23, 0x3c000000
	v_and_b32_e32 v2, 0x80000000, v2
	v_or3_b32 v2, v3, v2, v1
	v_mov_b32_e32 v1, v105
	buffer_store_dword v1, off, s[0:3], s32 offset:228 ; 4-byte Folded Spill
	buffer_store_dword v2, off, s[0:3], s32 offset:232 ; 4-byte Folded Spill
.LBB222_56:                             ;   in Loop: Header=BB222_10 Depth=1
	s_or_b32 exec_lo, exec_lo, s17
.LBB222_57:                             ;   in Loop: Header=BB222_10 Depth=1
	s_or_b32 exec_lo, exec_lo, s15
.LBB222_58:                             ;   in Loop: Header=BB222_10 Depth=1
	s_or_b32 exec_lo, exec_lo, s13
	v_mov_b32_e32 v2, 0
	v_mov_b32_e32 v3, 0
	v_and_b32_sdwa v1, v0, v6 dst_sel:DWORD dst_unused:UNUSED_PAD src0_sel:WORD_1 src1_sel:DWORD
	s_mov_b32 s13, exec_lo
	buffer_store_dword v2, off, s[0:3], s32 offset:236 ; 4-byte Folded Spill
	buffer_store_dword v3, off, s[0:3], s32 offset:240 ; 4-byte Folded Spill
	v_mov_b32_e32 v2, 0
	v_mov_b32_e32 v3, 0
	buffer_store_dword v2, off, s[0:3], s32 offset:244 ; 4-byte Folded Spill
	buffer_store_dword v3, off, s[0:3], s32 offset:248 ; 4-byte Folded Spill
	v_cmpx_ne_u16_e32 0, v1
	s_cbranch_execz .LBB222_66
; %bb.59:                               ;   in Loop: Header=BB222_10 Depth=1
	v_cmp_ne_u16_e64 s5, 0x80, v1
	v_bfrev_b32_e32 v1, 1
	v_mov_b32_e32 v2, 0
	buffer_store_dword v1, off, s[0:3], s32 offset:244 ; 4-byte Folded Spill
	buffer_store_dword v2, off, s[0:3], s32 offset:248 ; 4-byte Folded Spill
	s_and_saveexec_b32 s15, s5
	s_cbranch_execz .LBB222_65
; %bb.60:                               ;   in Loop: Header=BB222_10 Depth=1
	v_mov_b32_e32 v3, 0x7f800001
	v_bfe_u32 v2, v0, 16, 7
	v_mov_b32_e32 v4, 0
	s_mov_b32 s17, exec_lo
	buffer_store_dword v3, off, s[0:3], s32 offset:244 ; 4-byte Folded Spill
	buffer_store_dword v4, off, s[0:3], s32 offset:248 ; 4-byte Folded Spill
	v_cmpx_ne_u32_e32 0x7f, v2
	s_cbranch_execz .LBB222_64
; %bb.61:                               ;   in Loop: Header=BB222_10 Depth=1
	v_mov_b32_e32 v1, 7
	s_mov_b32 s18, exec_lo
	v_and_b32_sdwa v104, v0, v1 dst_sel:DWORD dst_unused:UNUSED_PAD src0_sel:WORD_1 src1_sel:DWORD
	v_lshrrev_b32_e32 v1, 3, v2
	v_cmpx_gt_u32_e32 8, v2
; %bb.62:                               ;   in Loop: Header=BB222_10 Depth=1
	v_ffbh_u32_e32 v1, v104
	v_min_u32_e32 v1, 32, v1
	v_subrev_nc_u32_e32 v2, 28, v1
	v_sub_nc_u32_e32 v1, 29, v1
	v_lshlrev_b64 v[2:3], v2, v[104:105]
	v_and_b32_e32 v104, 7, v2
; %bb.63:                               ;   in Loop: Header=BB222_10 Depth=1
	s_or_b32 exec_lo, exec_lo, s18
	v_mov_b32_e32 v2, 24
	v_lshlrev_b32_e32 v3, 20, v104
	v_lshl_add_u32 v1, v1, 23, 0x3c000000
	v_lshlrev_b32_sdwa v2, v2, v0 dst_sel:DWORD dst_unused:UNUSED_PAD src0_sel:DWORD src1_sel:WORD_1
	v_and_b32_e32 v2, 0x80000000, v2
	v_or3_b32 v104, v3, v2, v1
	buffer_store_dword v104, off, s[0:3], s32 offset:244 ; 4-byte Folded Spill
	buffer_store_dword v105, off, s[0:3], s32 offset:248 ; 4-byte Folded Spill
.LBB222_64:                             ;   in Loop: Header=BB222_10 Depth=1
	s_or_b32 exec_lo, exec_lo, s17
.LBB222_65:                             ;   in Loop: Header=BB222_10 Depth=1
	s_or_b32 exec_lo, exec_lo, s15
.LBB222_66:                             ;   in Loop: Header=BB222_10 Depth=1
	s_or_b32 exec_lo, exec_lo, s13
	s_mov_b32 s13, exec_lo
	v_cmpx_lt_u32_e32 0xffffff, v0
	s_cbranch_execz .LBB222_74
; %bb.67:                               ;   in Loop: Header=BB222_10 Depth=1
	v_mov_b32_e32 v96, v105
	v_cmp_ne_u32_sdwa s5, v0, v117 src0_sel:BYTE_3 src1_sel:DWORD
	buffer_store_dword v96, off, s[0:3], s32 offset:236 ; 4-byte Folded Spill
	buffer_store_dword v97, off, s[0:3], s32 offset:240 ; 4-byte Folded Spill
	s_and_saveexec_b32 s15, s5
	s_cbranch_execz .LBB222_73
; %bb.68:                               ;   in Loop: Header=BB222_10 Depth=1
	v_bfe_u32 v2, v0, 24, 7
	v_mov_b32_e32 v86, v105
	s_mov_b32 s17, exec_lo
	buffer_store_dword v86, off, s[0:3], s32 offset:236 ; 4-byte Folded Spill
	buffer_store_dword v87, off, s[0:3], s32 offset:240 ; 4-byte Folded Spill
	v_cmpx_ne_u32_e32 0x7f, v2
	s_cbranch_execz .LBB222_72
; %bb.69:                               ;   in Loop: Header=BB222_10 Depth=1
	v_mov_b32_e32 v1, 7
	s_mov_b32 s18, exec_lo
	v_and_b32_sdwa v104, v0, v1 dst_sel:DWORD dst_unused:UNUSED_PAD src0_sel:BYTE_3 src1_sel:DWORD
	v_lshrrev_b32_e32 v1, 3, v2
	v_cmpx_gt_u32_e32 8, v2
; %bb.70:                               ;   in Loop: Header=BB222_10 Depth=1
	v_ffbh_u32_e32 v1, v104
	v_min_u32_e32 v1, 32, v1
	v_subrev_nc_u32_e32 v2, 28, v1
	v_sub_nc_u32_e32 v1, 29, v1
	v_lshlrev_b64 v[2:3], v2, v[104:105]
	v_and_b32_e32 v104, 7, v2
; %bb.71:                               ;   in Loop: Header=BB222_10 Depth=1
	s_or_b32 exec_lo, exec_lo, s18
	v_mov_b32_e32 v2, 24
	v_lshl_add_u32 v1, v1, 23, 0x3c000000
	v_lshlrev_b32_sdwa v0, v2, v0 dst_sel:DWORD dst_unused:UNUSED_PAD src0_sel:DWORD src1_sel:BYTE_3
	v_lshlrev_b32_e32 v2, 20, v104
	v_and_b32_e32 v0, 0x80000000, v0
	v_or3_b32 v1, v2, v0, v1
	v_mov_b32_e32 v0, v105
	buffer_store_dword v0, off, s[0:3], s32 offset:236 ; 4-byte Folded Spill
	buffer_store_dword v1, off, s[0:3], s32 offset:240 ; 4-byte Folded Spill
.LBB222_72:                             ;   in Loop: Header=BB222_10 Depth=1
	s_or_b32 exec_lo, exec_lo, s17
.LBB222_73:                             ;   in Loop: Header=BB222_10 Depth=1
	s_or_b32 exec_lo, exec_lo, s15
.LBB222_74:                             ;   in Loop: Header=BB222_10 Depth=1
	s_or_b32 exec_lo, exec_lo, s13
	flat_load_dword v0, v[100:101] offset:8
	v_mov_b32_e32 v1, 0
	v_mov_b32_e32 v2, 0
	buffer_store_dword v1, off, s[0:3], s32 offset:260 ; 4-byte Folded Spill
	buffer_store_dword v2, off, s[0:3], s32 offset:264 ; 4-byte Folded Spill
	v_mov_b32_e32 v1, 0
	v_mov_b32_e32 v2, 0
	buffer_store_dword v1, off, s[0:3], s32 offset:252 ; 4-byte Folded Spill
	buffer_store_dword v2, off, s[0:3], s32 offset:256 ; 4-byte Folded Spill
	s_waitcnt vmcnt(0) lgkmcnt(0)
	v_cmp_ne_u16_sdwa s5, v0, v105 src0_sel:BYTE_0 src1_sel:DWORD
	s_and_saveexec_b32 s13, s5
	s_cbranch_execz .LBB222_82
; %bb.75:                               ;   in Loop: Header=BB222_10 Depth=1
	v_bfrev_b32_e32 v1, 1
	v_mov_b32_e32 v2, 0
	v_cmp_ne_u16_sdwa s5, v0, v117 src0_sel:BYTE_0 src1_sel:DWORD
	buffer_store_dword v1, off, s[0:3], s32 offset:252 ; 4-byte Folded Spill
	buffer_store_dword v2, off, s[0:3], s32 offset:256 ; 4-byte Folded Spill
	s_and_saveexec_b32 s15, s5
	s_cbranch_execz .LBB222_81
; %bb.76:                               ;   in Loop: Header=BB222_10 Depth=1
	v_mov_b32_e32 v3, 0x7f800001
	v_and_b32_e32 v2, 0x7f, v0
	v_mov_b32_e32 v4, 0
	s_mov_b32 s17, exec_lo
	buffer_store_dword v3, off, s[0:3], s32 offset:252 ; 4-byte Folded Spill
	buffer_store_dword v4, off, s[0:3], s32 offset:256 ; 4-byte Folded Spill
	v_cmpx_ne_u32_e32 0x7f, v2
	s_cbranch_execz .LBB222_80
; %bb.77:                               ;   in Loop: Header=BB222_10 Depth=1
	v_and_b32_e32 v104, 7, v0
	v_lshrrev_b32_e32 v1, 3, v2
	s_mov_b32 s18, exec_lo
	v_cmpx_gt_u32_e32 8, v2
; %bb.78:                               ;   in Loop: Header=BB222_10 Depth=1
	v_ffbh_u32_e32 v1, v104
	v_min_u32_e32 v1, 32, v1
	v_subrev_nc_u32_e32 v2, 28, v1
	v_sub_nc_u32_e32 v1, 29, v1
	v_lshlrev_b64 v[2:3], v2, v[104:105]
	v_and_b32_e32 v104, 7, v2
; %bb.79:                               ;   in Loop: Header=BB222_10 Depth=1
	s_or_b32 exec_lo, exec_lo, s18
	v_lshlrev_b32_e32 v2, 24, v0
	v_lshlrev_b32_e32 v3, 20, v104
	v_lshl_add_u32 v1, v1, 23, 0x3c000000
	v_and_b32_e32 v2, 0x80000000, v2
	v_or3_b32 v104, v3, v2, v1
	buffer_store_dword v104, off, s[0:3], s32 offset:252 ; 4-byte Folded Spill
	buffer_store_dword v105, off, s[0:3], s32 offset:256 ; 4-byte Folded Spill
.LBB222_80:                             ;   in Loop: Header=BB222_10 Depth=1
	s_or_b32 exec_lo, exec_lo, s17
.LBB222_81:                             ;   in Loop: Header=BB222_10 Depth=1
	s_or_b32 exec_lo, exec_lo, s15
.LBB222_82:                             ;   in Loop: Header=BB222_10 Depth=1
	s_or_b32 exec_lo, exec_lo, s13
	v_cmp_ne_u16_sdwa s5, v0, v105 src0_sel:BYTE_1 src1_sel:DWORD
	s_and_saveexec_b32 s13, s5
	s_cbranch_execz .LBB222_90
; %bb.83:                               ;   in Loop: Header=BB222_10 Depth=1
	v_mov_b32_e32 v96, v105
	v_cmp_ne_u16_sdwa s5, v0, v117 src0_sel:BYTE_1 src1_sel:DWORD
	buffer_store_dword v96, off, s[0:3], s32 offset:260 ; 4-byte Folded Spill
	buffer_store_dword v97, off, s[0:3], s32 offset:264 ; 4-byte Folded Spill
	s_and_saveexec_b32 s15, s5
	s_cbranch_execz .LBB222_89
; %bb.84:                               ;   in Loop: Header=BB222_10 Depth=1
	v_mov_b32_e32 v1, 0xffff
	v_mov_b32_e32 v86, v105
	s_mov_b32 s17, exec_lo
	buffer_store_dword v86, off, s[0:3], s32 offset:260 ; 4-byte Folded Spill
	buffer_store_dword v87, off, s[0:3], s32 offset:264 ; 4-byte Folded Spill
	v_and_b32_sdwa v1, v1, v0 dst_sel:DWORD dst_unused:UNUSED_PAD src0_sel:DWORD src1_sel:BYTE_1
	v_and_b32_e32 v2, 0x7f, v1
	v_cmpx_ne_u32_e32 0x7f, v2
	s_cbranch_execz .LBB222_88
; %bb.85:                               ;   in Loop: Header=BB222_10 Depth=1
	v_and_b32_e32 v104, 7, v1
	v_lshrrev_b32_e32 v1, 3, v2
	s_mov_b32 s18, exec_lo
	v_cmpx_gt_u32_e32 8, v2
; %bb.86:                               ;   in Loop: Header=BB222_10 Depth=1
	v_ffbh_u32_e32 v1, v104
	v_min_u32_e32 v1, 32, v1
	v_subrev_nc_u32_e32 v2, 28, v1
	v_sub_nc_u32_e32 v1, 29, v1
	v_lshlrev_b64 v[2:3], v2, v[104:105]
	v_and_b32_e32 v104, 7, v2
; %bb.87:                               ;   in Loop: Header=BB222_10 Depth=1
	s_or_b32 exec_lo, exec_lo, s18
	v_lshlrev_b32_e32 v2, 16, v0
	v_lshlrev_b32_e32 v3, 20, v104
	v_lshl_add_u32 v1, v1, 23, 0x3c000000
	v_and_b32_e32 v2, 0x80000000, v2
	v_or3_b32 v2, v3, v2, v1
	v_mov_b32_e32 v1, v105
	buffer_store_dword v1, off, s[0:3], s32 offset:260 ; 4-byte Folded Spill
	buffer_store_dword v2, off, s[0:3], s32 offset:264 ; 4-byte Folded Spill
.LBB222_88:                             ;   in Loop: Header=BB222_10 Depth=1
	s_or_b32 exec_lo, exec_lo, s17
.LBB222_89:                             ;   in Loop: Header=BB222_10 Depth=1
	s_or_b32 exec_lo, exec_lo, s15
.LBB222_90:                             ;   in Loop: Header=BB222_10 Depth=1
	s_or_b32 exec_lo, exec_lo, s13
	v_mov_b32_e32 v2, 0
	v_mov_b32_e32 v3, 0
	v_and_b32_sdwa v1, v0, v6 dst_sel:DWORD dst_unused:UNUSED_PAD src0_sel:WORD_1 src1_sel:DWORD
	s_mov_b32 s13, exec_lo
	buffer_store_dword v2, off, s[0:3], s32 offset:268 ; 4-byte Folded Spill
	buffer_store_dword v3, off, s[0:3], s32 offset:272 ; 4-byte Folded Spill
	v_mov_b32_e32 v2, 0
	v_mov_b32_e32 v3, 0
	buffer_store_dword v2, off, s[0:3], s32 offset:276 ; 4-byte Folded Spill
	buffer_store_dword v3, off, s[0:3], s32 offset:280 ; 4-byte Folded Spill
	v_cmpx_ne_u16_e32 0, v1
	s_cbranch_execz .LBB222_98
; %bb.91:                               ;   in Loop: Header=BB222_10 Depth=1
	v_cmp_ne_u16_e64 s5, 0x80, v1
	v_bfrev_b32_e32 v1, 1
	v_mov_b32_e32 v2, 0
	buffer_store_dword v1, off, s[0:3], s32 offset:276 ; 4-byte Folded Spill
	buffer_store_dword v2, off, s[0:3], s32 offset:280 ; 4-byte Folded Spill
	s_and_saveexec_b32 s15, s5
	s_cbranch_execz .LBB222_97
; %bb.92:                               ;   in Loop: Header=BB222_10 Depth=1
	v_mov_b32_e32 v3, 0x7f800001
	v_bfe_u32 v2, v0, 16, 7
	v_mov_b32_e32 v4, 0
	s_mov_b32 s17, exec_lo
	buffer_store_dword v3, off, s[0:3], s32 offset:276 ; 4-byte Folded Spill
	buffer_store_dword v4, off, s[0:3], s32 offset:280 ; 4-byte Folded Spill
	v_cmpx_ne_u32_e32 0x7f, v2
	s_cbranch_execz .LBB222_96
; %bb.93:                               ;   in Loop: Header=BB222_10 Depth=1
	v_mov_b32_e32 v1, 7
	s_mov_b32 s18, exec_lo
	v_and_b32_sdwa v104, v0, v1 dst_sel:DWORD dst_unused:UNUSED_PAD src0_sel:WORD_1 src1_sel:DWORD
	v_lshrrev_b32_e32 v1, 3, v2
	v_cmpx_gt_u32_e32 8, v2
; %bb.94:                               ;   in Loop: Header=BB222_10 Depth=1
	v_ffbh_u32_e32 v1, v104
	v_min_u32_e32 v1, 32, v1
	v_subrev_nc_u32_e32 v2, 28, v1
	v_sub_nc_u32_e32 v1, 29, v1
	v_lshlrev_b64 v[2:3], v2, v[104:105]
	v_and_b32_e32 v104, 7, v2
; %bb.95:                               ;   in Loop: Header=BB222_10 Depth=1
	s_or_b32 exec_lo, exec_lo, s18
	v_mov_b32_e32 v2, 24
	v_lshlrev_b32_e32 v3, 20, v104
	v_lshl_add_u32 v1, v1, 23, 0x3c000000
	v_lshlrev_b32_sdwa v2, v2, v0 dst_sel:DWORD dst_unused:UNUSED_PAD src0_sel:DWORD src1_sel:WORD_1
	v_and_b32_e32 v2, 0x80000000, v2
	v_or3_b32 v104, v3, v2, v1
	buffer_store_dword v104, off, s[0:3], s32 offset:276 ; 4-byte Folded Spill
	buffer_store_dword v105, off, s[0:3], s32 offset:280 ; 4-byte Folded Spill
.LBB222_96:                             ;   in Loop: Header=BB222_10 Depth=1
	s_or_b32 exec_lo, exec_lo, s17
.LBB222_97:                             ;   in Loop: Header=BB222_10 Depth=1
	s_or_b32 exec_lo, exec_lo, s15
.LBB222_98:                             ;   in Loop: Header=BB222_10 Depth=1
	s_or_b32 exec_lo, exec_lo, s13
	s_mov_b32 s13, exec_lo
	v_cmpx_lt_u32_e32 0xffffff, v0
	s_cbranch_execz .LBB222_106
; %bb.99:                               ;   in Loop: Header=BB222_10 Depth=1
	v_mov_b32_e32 v96, v105
	v_cmp_ne_u32_sdwa s5, v0, v117 src0_sel:BYTE_3 src1_sel:DWORD
	buffer_store_dword v96, off, s[0:3], s32 offset:268 ; 4-byte Folded Spill
	buffer_store_dword v97, off, s[0:3], s32 offset:272 ; 4-byte Folded Spill
	s_and_saveexec_b32 s15, s5
	s_cbranch_execz .LBB222_105
; %bb.100:                              ;   in Loop: Header=BB222_10 Depth=1
	v_bfe_u32 v2, v0, 24, 7
	v_mov_b32_e32 v86, v105
	s_mov_b32 s17, exec_lo
	buffer_store_dword v86, off, s[0:3], s32 offset:268 ; 4-byte Folded Spill
	buffer_store_dword v87, off, s[0:3], s32 offset:272 ; 4-byte Folded Spill
	v_cmpx_ne_u32_e32 0x7f, v2
	s_cbranch_execz .LBB222_104
; %bb.101:                              ;   in Loop: Header=BB222_10 Depth=1
	v_mov_b32_e32 v1, 7
	s_mov_b32 s18, exec_lo
	v_and_b32_sdwa v104, v0, v1 dst_sel:DWORD dst_unused:UNUSED_PAD src0_sel:BYTE_3 src1_sel:DWORD
	v_lshrrev_b32_e32 v1, 3, v2
	v_cmpx_gt_u32_e32 8, v2
; %bb.102:                              ;   in Loop: Header=BB222_10 Depth=1
	v_ffbh_u32_e32 v1, v104
	v_min_u32_e32 v1, 32, v1
	v_subrev_nc_u32_e32 v2, 28, v1
	v_sub_nc_u32_e32 v1, 29, v1
	v_lshlrev_b64 v[2:3], v2, v[104:105]
	v_and_b32_e32 v104, 7, v2
; %bb.103:                              ;   in Loop: Header=BB222_10 Depth=1
	s_or_b32 exec_lo, exec_lo, s18
	v_mov_b32_e32 v2, 24
	v_lshl_add_u32 v1, v1, 23, 0x3c000000
	v_lshlrev_b32_sdwa v0, v2, v0 dst_sel:DWORD dst_unused:UNUSED_PAD src0_sel:DWORD src1_sel:BYTE_3
	v_lshlrev_b32_e32 v2, 20, v104
	v_and_b32_e32 v0, 0x80000000, v0
	v_or3_b32 v1, v2, v0, v1
	v_mov_b32_e32 v0, v105
	buffer_store_dword v0, off, s[0:3], s32 offset:268 ; 4-byte Folded Spill
	buffer_store_dword v1, off, s[0:3], s32 offset:272 ; 4-byte Folded Spill
.LBB222_104:                            ;   in Loop: Header=BB222_10 Depth=1
	s_or_b32 exec_lo, exec_lo, s17
.LBB222_105:                            ;   in Loop: Header=BB222_10 Depth=1
	s_or_b32 exec_lo, exec_lo, s15
.LBB222_106:                            ;   in Loop: Header=BB222_10 Depth=1
	s_or_b32 exec_lo, exec_lo, s13
	flat_load_dword v0, v[100:101] offset:12
	v_mov_b32_e32 v1, 0
	v_mov_b32_e32 v2, 0
	buffer_store_dword v1, off, s[0:3], s32 offset:292 ; 4-byte Folded Spill
	buffer_store_dword v2, off, s[0:3], s32 offset:296 ; 4-byte Folded Spill
	v_mov_b32_e32 v1, 0
	v_mov_b32_e32 v2, 0
	buffer_store_dword v1, off, s[0:3], s32 offset:284 ; 4-byte Folded Spill
	buffer_store_dword v2, off, s[0:3], s32 offset:288 ; 4-byte Folded Spill
	s_waitcnt vmcnt(0) lgkmcnt(0)
	v_cmp_ne_u16_sdwa s5, v0, v105 src0_sel:BYTE_0 src1_sel:DWORD
	s_and_saveexec_b32 s13, s5
	s_cbranch_execz .LBB222_114
; %bb.107:                              ;   in Loop: Header=BB222_10 Depth=1
	v_bfrev_b32_e32 v1, 1
	v_mov_b32_e32 v2, 0
	v_cmp_ne_u16_sdwa s5, v0, v117 src0_sel:BYTE_0 src1_sel:DWORD
	buffer_store_dword v1, off, s[0:3], s32 offset:284 ; 4-byte Folded Spill
	buffer_store_dword v2, off, s[0:3], s32 offset:288 ; 4-byte Folded Spill
	s_and_saveexec_b32 s15, s5
	s_cbranch_execz .LBB222_113
; %bb.108:                              ;   in Loop: Header=BB222_10 Depth=1
	v_mov_b32_e32 v3, 0x7f800001
	v_and_b32_e32 v2, 0x7f, v0
	v_mov_b32_e32 v4, 0
	s_mov_b32 s17, exec_lo
	buffer_store_dword v3, off, s[0:3], s32 offset:284 ; 4-byte Folded Spill
	buffer_store_dword v4, off, s[0:3], s32 offset:288 ; 4-byte Folded Spill
	v_cmpx_ne_u32_e32 0x7f, v2
	s_cbranch_execz .LBB222_112
; %bb.109:                              ;   in Loop: Header=BB222_10 Depth=1
	v_and_b32_e32 v104, 7, v0
	v_lshrrev_b32_e32 v1, 3, v2
	s_mov_b32 s18, exec_lo
	v_cmpx_gt_u32_e32 8, v2
; %bb.110:                              ;   in Loop: Header=BB222_10 Depth=1
	v_ffbh_u32_e32 v1, v104
	v_min_u32_e32 v1, 32, v1
	v_subrev_nc_u32_e32 v2, 28, v1
	v_sub_nc_u32_e32 v1, 29, v1
	v_lshlrev_b64 v[2:3], v2, v[104:105]
	v_and_b32_e32 v104, 7, v2
; %bb.111:                              ;   in Loop: Header=BB222_10 Depth=1
	s_or_b32 exec_lo, exec_lo, s18
	v_lshlrev_b32_e32 v2, 24, v0
	v_lshlrev_b32_e32 v3, 20, v104
	v_lshl_add_u32 v1, v1, 23, 0x3c000000
	v_and_b32_e32 v2, 0x80000000, v2
	v_or3_b32 v104, v3, v2, v1
	buffer_store_dword v104, off, s[0:3], s32 offset:284 ; 4-byte Folded Spill
	buffer_store_dword v105, off, s[0:3], s32 offset:288 ; 4-byte Folded Spill
.LBB222_112:                            ;   in Loop: Header=BB222_10 Depth=1
	s_or_b32 exec_lo, exec_lo, s17
.LBB222_113:                            ;   in Loop: Header=BB222_10 Depth=1
	s_or_b32 exec_lo, exec_lo, s15
.LBB222_114:                            ;   in Loop: Header=BB222_10 Depth=1
	s_or_b32 exec_lo, exec_lo, s13
	v_cmp_ne_u16_sdwa s5, v0, v105 src0_sel:BYTE_1 src1_sel:DWORD
	s_and_saveexec_b32 s13, s5
	s_cbranch_execz .LBB222_122
; %bb.115:                              ;   in Loop: Header=BB222_10 Depth=1
	v_mov_b32_e32 v96, v105
	v_cmp_ne_u16_sdwa s5, v0, v117 src0_sel:BYTE_1 src1_sel:DWORD
	buffer_store_dword v96, off, s[0:3], s32 offset:292 ; 4-byte Folded Spill
	buffer_store_dword v97, off, s[0:3], s32 offset:296 ; 4-byte Folded Spill
	s_and_saveexec_b32 s15, s5
	s_cbranch_execz .LBB222_121
; %bb.116:                              ;   in Loop: Header=BB222_10 Depth=1
	v_mov_b32_e32 v1, 0xffff
	v_mov_b32_e32 v86, v105
	s_mov_b32 s17, exec_lo
	buffer_store_dword v86, off, s[0:3], s32 offset:292 ; 4-byte Folded Spill
	buffer_store_dword v87, off, s[0:3], s32 offset:296 ; 4-byte Folded Spill
	v_and_b32_sdwa v1, v1, v0 dst_sel:DWORD dst_unused:UNUSED_PAD src0_sel:DWORD src1_sel:BYTE_1
	v_and_b32_e32 v2, 0x7f, v1
	v_cmpx_ne_u32_e32 0x7f, v2
	s_cbranch_execz .LBB222_120
; %bb.117:                              ;   in Loop: Header=BB222_10 Depth=1
	v_and_b32_e32 v104, 7, v1
	v_lshrrev_b32_e32 v1, 3, v2
	s_mov_b32 s18, exec_lo
	v_cmpx_gt_u32_e32 8, v2
; %bb.118:                              ;   in Loop: Header=BB222_10 Depth=1
	v_ffbh_u32_e32 v1, v104
	v_min_u32_e32 v1, 32, v1
	v_subrev_nc_u32_e32 v2, 28, v1
	v_sub_nc_u32_e32 v1, 29, v1
	v_lshlrev_b64 v[2:3], v2, v[104:105]
	v_and_b32_e32 v104, 7, v2
; %bb.119:                              ;   in Loop: Header=BB222_10 Depth=1
	s_or_b32 exec_lo, exec_lo, s18
	v_lshlrev_b32_e32 v2, 16, v0
	v_lshlrev_b32_e32 v3, 20, v104
	v_lshl_add_u32 v1, v1, 23, 0x3c000000
	v_and_b32_e32 v2, 0x80000000, v2
	v_or3_b32 v2, v3, v2, v1
	v_mov_b32_e32 v1, v105
	buffer_store_dword v1, off, s[0:3], s32 offset:292 ; 4-byte Folded Spill
	buffer_store_dword v2, off, s[0:3], s32 offset:296 ; 4-byte Folded Spill
.LBB222_120:                            ;   in Loop: Header=BB222_10 Depth=1
	s_or_b32 exec_lo, exec_lo, s17
.LBB222_121:                            ;   in Loop: Header=BB222_10 Depth=1
	s_or_b32 exec_lo, exec_lo, s15
.LBB222_122:                            ;   in Loop: Header=BB222_10 Depth=1
	s_or_b32 exec_lo, exec_lo, s13
	v_mov_b32_e32 v2, 0
	v_mov_b32_e32 v3, 0
	v_and_b32_sdwa v1, v0, v6 dst_sel:DWORD dst_unused:UNUSED_PAD src0_sel:WORD_1 src1_sel:DWORD
	s_mov_b32 s13, exec_lo
	buffer_store_dword v2, off, s[0:3], s32 offset:300 ; 4-byte Folded Spill
	buffer_store_dword v3, off, s[0:3], s32 offset:304 ; 4-byte Folded Spill
	v_mov_b32_e32 v2, 0
	v_mov_b32_e32 v3, 0
	buffer_store_dword v2, off, s[0:3], s32 offset:308 ; 4-byte Folded Spill
	buffer_store_dword v3, off, s[0:3], s32 offset:312 ; 4-byte Folded Spill
	v_cmpx_ne_u16_e32 0, v1
	s_cbranch_execz .LBB222_130
; %bb.123:                              ;   in Loop: Header=BB222_10 Depth=1
	v_cmp_ne_u16_e64 s5, 0x80, v1
	v_bfrev_b32_e32 v1, 1
	v_mov_b32_e32 v2, 0
	buffer_store_dword v1, off, s[0:3], s32 offset:308 ; 4-byte Folded Spill
	buffer_store_dword v2, off, s[0:3], s32 offset:312 ; 4-byte Folded Spill
	s_and_saveexec_b32 s15, s5
	s_cbranch_execz .LBB222_129
; %bb.124:                              ;   in Loop: Header=BB222_10 Depth=1
	v_mov_b32_e32 v3, 0x7f800001
	v_bfe_u32 v2, v0, 16, 7
	v_mov_b32_e32 v4, 0
	s_mov_b32 s17, exec_lo
	buffer_store_dword v3, off, s[0:3], s32 offset:308 ; 4-byte Folded Spill
	buffer_store_dword v4, off, s[0:3], s32 offset:312 ; 4-byte Folded Spill
	v_cmpx_ne_u32_e32 0x7f, v2
	s_cbranch_execz .LBB222_128
; %bb.125:                              ;   in Loop: Header=BB222_10 Depth=1
	v_mov_b32_e32 v1, 7
	s_mov_b32 s18, exec_lo
	v_and_b32_sdwa v104, v0, v1 dst_sel:DWORD dst_unused:UNUSED_PAD src0_sel:WORD_1 src1_sel:DWORD
	v_lshrrev_b32_e32 v1, 3, v2
	v_cmpx_gt_u32_e32 8, v2
; %bb.126:                              ;   in Loop: Header=BB222_10 Depth=1
	v_ffbh_u32_e32 v1, v104
	v_min_u32_e32 v1, 32, v1
	v_subrev_nc_u32_e32 v2, 28, v1
	v_sub_nc_u32_e32 v1, 29, v1
	v_lshlrev_b64 v[2:3], v2, v[104:105]
	v_and_b32_e32 v104, 7, v2
; %bb.127:                              ;   in Loop: Header=BB222_10 Depth=1
	s_or_b32 exec_lo, exec_lo, s18
	v_mov_b32_e32 v2, 24
	v_lshlrev_b32_e32 v3, 20, v104
	v_lshl_add_u32 v1, v1, 23, 0x3c000000
	v_lshlrev_b32_sdwa v2, v2, v0 dst_sel:DWORD dst_unused:UNUSED_PAD src0_sel:DWORD src1_sel:WORD_1
	v_and_b32_e32 v2, 0x80000000, v2
	v_or3_b32 v104, v3, v2, v1
	buffer_store_dword v104, off, s[0:3], s32 offset:308 ; 4-byte Folded Spill
	buffer_store_dword v105, off, s[0:3], s32 offset:312 ; 4-byte Folded Spill
.LBB222_128:                            ;   in Loop: Header=BB222_10 Depth=1
	s_or_b32 exec_lo, exec_lo, s17
.LBB222_129:                            ;   in Loop: Header=BB222_10 Depth=1
	s_or_b32 exec_lo, exec_lo, s15
.LBB222_130:                            ;   in Loop: Header=BB222_10 Depth=1
	s_or_b32 exec_lo, exec_lo, s13
	s_mov_b32 s13, exec_lo
	v_cmpx_lt_u32_e32 0xffffff, v0
	s_cbranch_execz .LBB222_138
; %bb.131:                              ;   in Loop: Header=BB222_10 Depth=1
	v_mov_b32_e32 v96, v105
	v_cmp_ne_u32_sdwa s5, v0, v117 src0_sel:BYTE_3 src1_sel:DWORD
	buffer_store_dword v96, off, s[0:3], s32 offset:300 ; 4-byte Folded Spill
	buffer_store_dword v97, off, s[0:3], s32 offset:304 ; 4-byte Folded Spill
	s_and_saveexec_b32 s15, s5
	s_cbranch_execz .LBB222_137
; %bb.132:                              ;   in Loop: Header=BB222_10 Depth=1
	v_bfe_u32 v2, v0, 24, 7
	v_mov_b32_e32 v86, v105
	s_mov_b32 s17, exec_lo
	buffer_store_dword v86, off, s[0:3], s32 offset:300 ; 4-byte Folded Spill
	buffer_store_dword v87, off, s[0:3], s32 offset:304 ; 4-byte Folded Spill
	v_cmpx_ne_u32_e32 0x7f, v2
	s_cbranch_execz .LBB222_136
; %bb.133:                              ;   in Loop: Header=BB222_10 Depth=1
	v_mov_b32_e32 v1, 7
	s_mov_b32 s18, exec_lo
	v_and_b32_sdwa v104, v0, v1 dst_sel:DWORD dst_unused:UNUSED_PAD src0_sel:BYTE_3 src1_sel:DWORD
	v_lshrrev_b32_e32 v1, 3, v2
	v_cmpx_gt_u32_e32 8, v2
; %bb.134:                              ;   in Loop: Header=BB222_10 Depth=1
	v_ffbh_u32_e32 v1, v104
	v_min_u32_e32 v1, 32, v1
	v_subrev_nc_u32_e32 v2, 28, v1
	v_sub_nc_u32_e32 v1, 29, v1
	v_lshlrev_b64 v[2:3], v2, v[104:105]
	v_and_b32_e32 v104, 7, v2
; %bb.135:                              ;   in Loop: Header=BB222_10 Depth=1
	s_or_b32 exec_lo, exec_lo, s18
	v_mov_b32_e32 v2, 24
	v_lshl_add_u32 v1, v1, 23, 0x3c000000
	v_lshlrev_b32_sdwa v0, v2, v0 dst_sel:DWORD dst_unused:UNUSED_PAD src0_sel:DWORD src1_sel:BYTE_3
	v_lshlrev_b32_e32 v2, 20, v104
	v_and_b32_e32 v0, 0x80000000, v0
	v_or3_b32 v1, v2, v0, v1
	v_mov_b32_e32 v0, v105
	buffer_store_dword v0, off, s[0:3], s32 offset:300 ; 4-byte Folded Spill
	buffer_store_dword v1, off, s[0:3], s32 offset:304 ; 4-byte Folded Spill
.LBB222_136:                            ;   in Loop: Header=BB222_10 Depth=1
	s_or_b32 exec_lo, exec_lo, s17
.LBB222_137:                            ;   in Loop: Header=BB222_10 Depth=1
	s_or_b32 exec_lo, exec_lo, s15
.LBB222_138:                            ;   in Loop: Header=BB222_10 Depth=1
	s_or_b32 exec_lo, exec_lo, s13
	flat_load_dword v0, v[100:101] offset:512
	v_mov_b32_e32 v1, 0
	v_mov_b32_e32 v2, 0
	buffer_store_dword v1, off, s[0:3], s32 offset:324 ; 4-byte Folded Spill
	buffer_store_dword v2, off, s[0:3], s32 offset:328 ; 4-byte Folded Spill
	v_mov_b32_e32 v1, 0
	v_mov_b32_e32 v2, 0
	buffer_store_dword v1, off, s[0:3], s32 offset:316 ; 4-byte Folded Spill
	buffer_store_dword v2, off, s[0:3], s32 offset:320 ; 4-byte Folded Spill
	s_waitcnt vmcnt(0) lgkmcnt(0)
	v_cmp_ne_u16_sdwa s5, v0, v105 src0_sel:BYTE_0 src1_sel:DWORD
	s_and_saveexec_b32 s13, s5
	s_cbranch_execz .LBB222_146
; %bb.139:                              ;   in Loop: Header=BB222_10 Depth=1
	v_bfrev_b32_e32 v1, 1
	v_mov_b32_e32 v2, 0
	v_cmp_ne_u16_sdwa s5, v0, v117 src0_sel:BYTE_0 src1_sel:DWORD
	buffer_store_dword v1, off, s[0:3], s32 offset:316 ; 4-byte Folded Spill
	buffer_store_dword v2, off, s[0:3], s32 offset:320 ; 4-byte Folded Spill
	s_and_saveexec_b32 s15, s5
	s_cbranch_execz .LBB222_145
; %bb.140:                              ;   in Loop: Header=BB222_10 Depth=1
	v_mov_b32_e32 v3, 0x7f800001
	v_and_b32_e32 v2, 0x7f, v0
	v_mov_b32_e32 v4, 0
	s_mov_b32 s17, exec_lo
	buffer_store_dword v3, off, s[0:3], s32 offset:316 ; 4-byte Folded Spill
	buffer_store_dword v4, off, s[0:3], s32 offset:320 ; 4-byte Folded Spill
	v_cmpx_ne_u32_e32 0x7f, v2
	s_cbranch_execz .LBB222_144
; %bb.141:                              ;   in Loop: Header=BB222_10 Depth=1
	v_and_b32_e32 v104, 7, v0
	v_lshrrev_b32_e32 v1, 3, v2
	s_mov_b32 s18, exec_lo
	v_cmpx_gt_u32_e32 8, v2
; %bb.142:                              ;   in Loop: Header=BB222_10 Depth=1
	v_ffbh_u32_e32 v1, v104
	v_min_u32_e32 v1, 32, v1
	v_subrev_nc_u32_e32 v2, 28, v1
	v_sub_nc_u32_e32 v1, 29, v1
	v_lshlrev_b64 v[2:3], v2, v[104:105]
	v_and_b32_e32 v104, 7, v2
; %bb.143:                              ;   in Loop: Header=BB222_10 Depth=1
	s_or_b32 exec_lo, exec_lo, s18
	v_lshlrev_b32_e32 v2, 24, v0
	v_lshlrev_b32_e32 v3, 20, v104
	v_lshl_add_u32 v1, v1, 23, 0x3c000000
	v_and_b32_e32 v2, 0x80000000, v2
	v_or3_b32 v104, v3, v2, v1
	buffer_store_dword v104, off, s[0:3], s32 offset:316 ; 4-byte Folded Spill
	buffer_store_dword v105, off, s[0:3], s32 offset:320 ; 4-byte Folded Spill
.LBB222_144:                            ;   in Loop: Header=BB222_10 Depth=1
	s_or_b32 exec_lo, exec_lo, s17
.LBB222_145:                            ;   in Loop: Header=BB222_10 Depth=1
	s_or_b32 exec_lo, exec_lo, s15
.LBB222_146:                            ;   in Loop: Header=BB222_10 Depth=1
	s_or_b32 exec_lo, exec_lo, s13
	v_cmp_ne_u16_sdwa s5, v0, v105 src0_sel:BYTE_1 src1_sel:DWORD
	s_and_saveexec_b32 s13, s5
	s_cbranch_execz .LBB222_154
; %bb.147:                              ;   in Loop: Header=BB222_10 Depth=1
	v_mov_b32_e32 v96, v105
	v_cmp_ne_u16_sdwa s5, v0, v117 src0_sel:BYTE_1 src1_sel:DWORD
	buffer_store_dword v96, off, s[0:3], s32 offset:324 ; 4-byte Folded Spill
	buffer_store_dword v97, off, s[0:3], s32 offset:328 ; 4-byte Folded Spill
	s_and_saveexec_b32 s15, s5
	s_cbranch_execz .LBB222_153
; %bb.148:                              ;   in Loop: Header=BB222_10 Depth=1
	v_mov_b32_e32 v1, 0xffff
	v_mov_b32_e32 v86, v105
	s_mov_b32 s17, exec_lo
	buffer_store_dword v86, off, s[0:3], s32 offset:324 ; 4-byte Folded Spill
	buffer_store_dword v87, off, s[0:3], s32 offset:328 ; 4-byte Folded Spill
	v_and_b32_sdwa v1, v1, v0 dst_sel:DWORD dst_unused:UNUSED_PAD src0_sel:DWORD src1_sel:BYTE_1
	v_and_b32_e32 v2, 0x7f, v1
	v_cmpx_ne_u32_e32 0x7f, v2
	s_cbranch_execz .LBB222_152
; %bb.149:                              ;   in Loop: Header=BB222_10 Depth=1
	v_and_b32_e32 v104, 7, v1
	v_lshrrev_b32_e32 v1, 3, v2
	s_mov_b32 s18, exec_lo
	v_cmpx_gt_u32_e32 8, v2
; %bb.150:                              ;   in Loop: Header=BB222_10 Depth=1
	v_ffbh_u32_e32 v1, v104
	v_min_u32_e32 v1, 32, v1
	v_subrev_nc_u32_e32 v2, 28, v1
	v_sub_nc_u32_e32 v1, 29, v1
	v_lshlrev_b64 v[2:3], v2, v[104:105]
	v_and_b32_e32 v104, 7, v2
; %bb.151:                              ;   in Loop: Header=BB222_10 Depth=1
	s_or_b32 exec_lo, exec_lo, s18
	v_lshlrev_b32_e32 v2, 16, v0
	v_lshlrev_b32_e32 v3, 20, v104
	v_lshl_add_u32 v1, v1, 23, 0x3c000000
	v_and_b32_e32 v2, 0x80000000, v2
	v_or3_b32 v2, v3, v2, v1
	v_mov_b32_e32 v1, v105
	buffer_store_dword v1, off, s[0:3], s32 offset:324 ; 4-byte Folded Spill
	buffer_store_dword v2, off, s[0:3], s32 offset:328 ; 4-byte Folded Spill
.LBB222_152:                            ;   in Loop: Header=BB222_10 Depth=1
	s_or_b32 exec_lo, exec_lo, s17
.LBB222_153:                            ;   in Loop: Header=BB222_10 Depth=1
	s_or_b32 exec_lo, exec_lo, s15
.LBB222_154:                            ;   in Loop: Header=BB222_10 Depth=1
	s_or_b32 exec_lo, exec_lo, s13
	v_mov_b32_e32 v2, 0
	v_mov_b32_e32 v3, 0
	v_and_b32_sdwa v1, v0, v6 dst_sel:DWORD dst_unused:UNUSED_PAD src0_sel:WORD_1 src1_sel:DWORD
	s_mov_b32 s13, exec_lo
	buffer_store_dword v2, off, s[0:3], s32 offset:332 ; 4-byte Folded Spill
	buffer_store_dword v3, off, s[0:3], s32 offset:336 ; 4-byte Folded Spill
	v_mov_b32_e32 v2, 0
	v_mov_b32_e32 v3, 0
	buffer_store_dword v2, off, s[0:3], s32 offset:340 ; 4-byte Folded Spill
	buffer_store_dword v3, off, s[0:3], s32 offset:344 ; 4-byte Folded Spill
	v_cmpx_ne_u16_e32 0, v1
	s_cbranch_execz .LBB222_162
; %bb.155:                              ;   in Loop: Header=BB222_10 Depth=1
	v_cmp_ne_u16_e64 s5, 0x80, v1
	v_bfrev_b32_e32 v1, 1
	v_mov_b32_e32 v2, 0
	buffer_store_dword v1, off, s[0:3], s32 offset:340 ; 4-byte Folded Spill
	buffer_store_dword v2, off, s[0:3], s32 offset:344 ; 4-byte Folded Spill
	s_and_saveexec_b32 s15, s5
	s_cbranch_execz .LBB222_161
; %bb.156:                              ;   in Loop: Header=BB222_10 Depth=1
	v_mov_b32_e32 v3, 0x7f800001
	v_bfe_u32 v2, v0, 16, 7
	v_mov_b32_e32 v4, 0
	s_mov_b32 s17, exec_lo
	buffer_store_dword v3, off, s[0:3], s32 offset:340 ; 4-byte Folded Spill
	buffer_store_dword v4, off, s[0:3], s32 offset:344 ; 4-byte Folded Spill
	v_cmpx_ne_u32_e32 0x7f, v2
	s_cbranch_execz .LBB222_160
; %bb.157:                              ;   in Loop: Header=BB222_10 Depth=1
	v_mov_b32_e32 v1, 7
	s_mov_b32 s18, exec_lo
	v_and_b32_sdwa v104, v0, v1 dst_sel:DWORD dst_unused:UNUSED_PAD src0_sel:WORD_1 src1_sel:DWORD
	v_lshrrev_b32_e32 v1, 3, v2
	v_cmpx_gt_u32_e32 8, v2
; %bb.158:                              ;   in Loop: Header=BB222_10 Depth=1
	v_ffbh_u32_e32 v1, v104
	v_min_u32_e32 v1, 32, v1
	v_subrev_nc_u32_e32 v2, 28, v1
	v_sub_nc_u32_e32 v1, 29, v1
	v_lshlrev_b64 v[2:3], v2, v[104:105]
	v_and_b32_e32 v104, 7, v2
; %bb.159:                              ;   in Loop: Header=BB222_10 Depth=1
	s_or_b32 exec_lo, exec_lo, s18
	v_mov_b32_e32 v2, 24
	v_lshlrev_b32_e32 v3, 20, v104
	v_lshl_add_u32 v1, v1, 23, 0x3c000000
	v_lshlrev_b32_sdwa v2, v2, v0 dst_sel:DWORD dst_unused:UNUSED_PAD src0_sel:DWORD src1_sel:WORD_1
	v_and_b32_e32 v2, 0x80000000, v2
	v_or3_b32 v104, v3, v2, v1
	buffer_store_dword v104, off, s[0:3], s32 offset:340 ; 4-byte Folded Spill
	buffer_store_dword v105, off, s[0:3], s32 offset:344 ; 4-byte Folded Spill
.LBB222_160:                            ;   in Loop: Header=BB222_10 Depth=1
	s_or_b32 exec_lo, exec_lo, s17
.LBB222_161:                            ;   in Loop: Header=BB222_10 Depth=1
	s_or_b32 exec_lo, exec_lo, s15
.LBB222_162:                            ;   in Loop: Header=BB222_10 Depth=1
	s_or_b32 exec_lo, exec_lo, s13
	s_mov_b32 s13, exec_lo
	v_cmpx_lt_u32_e32 0xffffff, v0
	s_cbranch_execz .LBB222_170
; %bb.163:                              ;   in Loop: Header=BB222_10 Depth=1
	v_mov_b32_e32 v96, v105
	v_cmp_ne_u32_sdwa s5, v0, v117 src0_sel:BYTE_3 src1_sel:DWORD
	buffer_store_dword v96, off, s[0:3], s32 offset:332 ; 4-byte Folded Spill
	buffer_store_dword v97, off, s[0:3], s32 offset:336 ; 4-byte Folded Spill
	s_and_saveexec_b32 s15, s5
	s_cbranch_execz .LBB222_169
; %bb.164:                              ;   in Loop: Header=BB222_10 Depth=1
	v_bfe_u32 v2, v0, 24, 7
	v_mov_b32_e32 v86, v105
	s_mov_b32 s17, exec_lo
	buffer_store_dword v86, off, s[0:3], s32 offset:332 ; 4-byte Folded Spill
	buffer_store_dword v87, off, s[0:3], s32 offset:336 ; 4-byte Folded Spill
	v_cmpx_ne_u32_e32 0x7f, v2
	s_cbranch_execz .LBB222_168
; %bb.165:                              ;   in Loop: Header=BB222_10 Depth=1
	v_mov_b32_e32 v1, 7
	s_mov_b32 s18, exec_lo
	v_and_b32_sdwa v104, v0, v1 dst_sel:DWORD dst_unused:UNUSED_PAD src0_sel:BYTE_3 src1_sel:DWORD
	v_lshrrev_b32_e32 v1, 3, v2
	v_cmpx_gt_u32_e32 8, v2
; %bb.166:                              ;   in Loop: Header=BB222_10 Depth=1
	v_ffbh_u32_e32 v1, v104
	v_min_u32_e32 v1, 32, v1
	v_subrev_nc_u32_e32 v2, 28, v1
	v_sub_nc_u32_e32 v1, 29, v1
	v_lshlrev_b64 v[2:3], v2, v[104:105]
	v_and_b32_e32 v104, 7, v2
; %bb.167:                              ;   in Loop: Header=BB222_10 Depth=1
	s_or_b32 exec_lo, exec_lo, s18
	v_mov_b32_e32 v2, 24
	v_lshl_add_u32 v1, v1, 23, 0x3c000000
	v_lshlrev_b32_sdwa v0, v2, v0 dst_sel:DWORD dst_unused:UNUSED_PAD src0_sel:DWORD src1_sel:BYTE_3
	v_lshlrev_b32_e32 v2, 20, v104
	v_and_b32_e32 v0, 0x80000000, v0
	v_or3_b32 v1, v2, v0, v1
	v_mov_b32_e32 v0, v105
	buffer_store_dword v0, off, s[0:3], s32 offset:332 ; 4-byte Folded Spill
	buffer_store_dword v1, off, s[0:3], s32 offset:336 ; 4-byte Folded Spill
.LBB222_168:                            ;   in Loop: Header=BB222_10 Depth=1
	s_or_b32 exec_lo, exec_lo, s17
.LBB222_169:                            ;   in Loop: Header=BB222_10 Depth=1
	s_or_b32 exec_lo, exec_lo, s15
.LBB222_170:                            ;   in Loop: Header=BB222_10 Depth=1
	s_or_b32 exec_lo, exec_lo, s13
	flat_load_dword v0, v[100:101] offset:516
	v_mov_b32_e32 v1, 0
	v_mov_b32_e32 v2, 0
	buffer_store_dword v1, off, s[0:3], s32 offset:356 ; 4-byte Folded Spill
	buffer_store_dword v2, off, s[0:3], s32 offset:360 ; 4-byte Folded Spill
	v_mov_b32_e32 v1, 0
	v_mov_b32_e32 v2, 0
	buffer_store_dword v1, off, s[0:3], s32 offset:348 ; 4-byte Folded Spill
	buffer_store_dword v2, off, s[0:3], s32 offset:352 ; 4-byte Folded Spill
	s_waitcnt vmcnt(0) lgkmcnt(0)
	v_cmp_ne_u16_sdwa s5, v0, v105 src0_sel:BYTE_0 src1_sel:DWORD
	s_and_saveexec_b32 s13, s5
	s_cbranch_execz .LBB222_178
; %bb.171:                              ;   in Loop: Header=BB222_10 Depth=1
	v_bfrev_b32_e32 v1, 1
	v_mov_b32_e32 v2, 0
	v_cmp_ne_u16_sdwa s5, v0, v117 src0_sel:BYTE_0 src1_sel:DWORD
	buffer_store_dword v1, off, s[0:3], s32 offset:348 ; 4-byte Folded Spill
	buffer_store_dword v2, off, s[0:3], s32 offset:352 ; 4-byte Folded Spill
	s_and_saveexec_b32 s15, s5
	s_cbranch_execz .LBB222_177
; %bb.172:                              ;   in Loop: Header=BB222_10 Depth=1
	v_mov_b32_e32 v3, 0x7f800001
	v_and_b32_e32 v2, 0x7f, v0
	v_mov_b32_e32 v4, 0
	s_mov_b32 s17, exec_lo
	buffer_store_dword v3, off, s[0:3], s32 offset:348 ; 4-byte Folded Spill
	buffer_store_dword v4, off, s[0:3], s32 offset:352 ; 4-byte Folded Spill
	v_cmpx_ne_u32_e32 0x7f, v2
	s_cbranch_execz .LBB222_176
; %bb.173:                              ;   in Loop: Header=BB222_10 Depth=1
	v_and_b32_e32 v104, 7, v0
	v_lshrrev_b32_e32 v1, 3, v2
	s_mov_b32 s18, exec_lo
	v_cmpx_gt_u32_e32 8, v2
; %bb.174:                              ;   in Loop: Header=BB222_10 Depth=1
	v_ffbh_u32_e32 v1, v104
	v_min_u32_e32 v1, 32, v1
	v_subrev_nc_u32_e32 v2, 28, v1
	v_sub_nc_u32_e32 v1, 29, v1
	v_lshlrev_b64 v[2:3], v2, v[104:105]
	v_and_b32_e32 v104, 7, v2
; %bb.175:                              ;   in Loop: Header=BB222_10 Depth=1
	s_or_b32 exec_lo, exec_lo, s18
	v_lshlrev_b32_e32 v2, 24, v0
	v_lshlrev_b32_e32 v3, 20, v104
	v_lshl_add_u32 v1, v1, 23, 0x3c000000
	v_and_b32_e32 v2, 0x80000000, v2
	v_or3_b32 v104, v3, v2, v1
	buffer_store_dword v104, off, s[0:3], s32 offset:348 ; 4-byte Folded Spill
	buffer_store_dword v105, off, s[0:3], s32 offset:352 ; 4-byte Folded Spill
.LBB222_176:                            ;   in Loop: Header=BB222_10 Depth=1
	s_or_b32 exec_lo, exec_lo, s17
.LBB222_177:                            ;   in Loop: Header=BB222_10 Depth=1
	s_or_b32 exec_lo, exec_lo, s15
.LBB222_178:                            ;   in Loop: Header=BB222_10 Depth=1
	s_or_b32 exec_lo, exec_lo, s13
	v_cmp_ne_u16_sdwa s5, v0, v105 src0_sel:BYTE_1 src1_sel:DWORD
	s_and_saveexec_b32 s13, s5
	s_cbranch_execz .LBB222_186
; %bb.179:                              ;   in Loop: Header=BB222_10 Depth=1
	v_mov_b32_e32 v96, v105
	v_cmp_ne_u16_sdwa s5, v0, v117 src0_sel:BYTE_1 src1_sel:DWORD
	buffer_store_dword v96, off, s[0:3], s32 offset:356 ; 4-byte Folded Spill
	buffer_store_dword v97, off, s[0:3], s32 offset:360 ; 4-byte Folded Spill
	s_and_saveexec_b32 s15, s5
	s_cbranch_execz .LBB222_185
; %bb.180:                              ;   in Loop: Header=BB222_10 Depth=1
	v_mov_b32_e32 v1, 0xffff
	v_mov_b32_e32 v86, v105
	s_mov_b32 s17, exec_lo
	buffer_store_dword v86, off, s[0:3], s32 offset:356 ; 4-byte Folded Spill
	buffer_store_dword v87, off, s[0:3], s32 offset:360 ; 4-byte Folded Spill
	v_and_b32_sdwa v1, v1, v0 dst_sel:DWORD dst_unused:UNUSED_PAD src0_sel:DWORD src1_sel:BYTE_1
	v_and_b32_e32 v2, 0x7f, v1
	v_cmpx_ne_u32_e32 0x7f, v2
	s_cbranch_execz .LBB222_184
; %bb.181:                              ;   in Loop: Header=BB222_10 Depth=1
	v_and_b32_e32 v104, 7, v1
	v_lshrrev_b32_e32 v1, 3, v2
	s_mov_b32 s18, exec_lo
	v_cmpx_gt_u32_e32 8, v2
; %bb.182:                              ;   in Loop: Header=BB222_10 Depth=1
	v_ffbh_u32_e32 v1, v104
	v_min_u32_e32 v1, 32, v1
	v_subrev_nc_u32_e32 v2, 28, v1
	v_sub_nc_u32_e32 v1, 29, v1
	v_lshlrev_b64 v[2:3], v2, v[104:105]
	v_and_b32_e32 v104, 7, v2
; %bb.183:                              ;   in Loop: Header=BB222_10 Depth=1
	s_or_b32 exec_lo, exec_lo, s18
	v_lshlrev_b32_e32 v2, 16, v0
	v_lshlrev_b32_e32 v3, 20, v104
	v_lshl_add_u32 v1, v1, 23, 0x3c000000
	v_and_b32_e32 v2, 0x80000000, v2
	v_or3_b32 v2, v3, v2, v1
	v_mov_b32_e32 v1, v105
	buffer_store_dword v1, off, s[0:3], s32 offset:356 ; 4-byte Folded Spill
	buffer_store_dword v2, off, s[0:3], s32 offset:360 ; 4-byte Folded Spill
.LBB222_184:                            ;   in Loop: Header=BB222_10 Depth=1
	s_or_b32 exec_lo, exec_lo, s17
.LBB222_185:                            ;   in Loop: Header=BB222_10 Depth=1
	s_or_b32 exec_lo, exec_lo, s15
.LBB222_186:                            ;   in Loop: Header=BB222_10 Depth=1
	s_or_b32 exec_lo, exec_lo, s13
	v_mov_b32_e32 v2, 0
	v_mov_b32_e32 v3, 0
	v_and_b32_sdwa v1, v0, v6 dst_sel:DWORD dst_unused:UNUSED_PAD src0_sel:WORD_1 src1_sel:DWORD
	s_mov_b32 s13, exec_lo
	buffer_store_dword v2, off, s[0:3], s32 offset:364 ; 4-byte Folded Spill
	buffer_store_dword v3, off, s[0:3], s32 offset:368 ; 4-byte Folded Spill
	v_mov_b32_e32 v2, 0
	v_mov_b32_e32 v3, 0
	buffer_store_dword v2, off, s[0:3], s32 offset:372 ; 4-byte Folded Spill
	buffer_store_dword v3, off, s[0:3], s32 offset:376 ; 4-byte Folded Spill
	v_cmpx_ne_u16_e32 0, v1
	s_cbranch_execz .LBB222_194
; %bb.187:                              ;   in Loop: Header=BB222_10 Depth=1
	v_cmp_ne_u16_e64 s5, 0x80, v1
	v_bfrev_b32_e32 v1, 1
	v_mov_b32_e32 v2, 0
	buffer_store_dword v1, off, s[0:3], s32 offset:372 ; 4-byte Folded Spill
	buffer_store_dword v2, off, s[0:3], s32 offset:376 ; 4-byte Folded Spill
	s_and_saveexec_b32 s15, s5
	s_cbranch_execz .LBB222_193
; %bb.188:                              ;   in Loop: Header=BB222_10 Depth=1
	v_mov_b32_e32 v3, 0x7f800001
	v_bfe_u32 v2, v0, 16, 7
	v_mov_b32_e32 v4, 0
	s_mov_b32 s17, exec_lo
	buffer_store_dword v3, off, s[0:3], s32 offset:372 ; 4-byte Folded Spill
	buffer_store_dword v4, off, s[0:3], s32 offset:376 ; 4-byte Folded Spill
	v_cmpx_ne_u32_e32 0x7f, v2
	s_cbranch_execz .LBB222_192
; %bb.189:                              ;   in Loop: Header=BB222_10 Depth=1
	v_mov_b32_e32 v1, 7
	s_mov_b32 s18, exec_lo
	v_and_b32_sdwa v104, v0, v1 dst_sel:DWORD dst_unused:UNUSED_PAD src0_sel:WORD_1 src1_sel:DWORD
	v_lshrrev_b32_e32 v1, 3, v2
	v_cmpx_gt_u32_e32 8, v2
; %bb.190:                              ;   in Loop: Header=BB222_10 Depth=1
	v_ffbh_u32_e32 v1, v104
	v_min_u32_e32 v1, 32, v1
	v_subrev_nc_u32_e32 v2, 28, v1
	v_sub_nc_u32_e32 v1, 29, v1
	v_lshlrev_b64 v[2:3], v2, v[104:105]
	v_and_b32_e32 v104, 7, v2
; %bb.191:                              ;   in Loop: Header=BB222_10 Depth=1
	s_or_b32 exec_lo, exec_lo, s18
	v_mov_b32_e32 v2, 24
	v_lshlrev_b32_e32 v3, 20, v104
	v_lshl_add_u32 v1, v1, 23, 0x3c000000
	v_lshlrev_b32_sdwa v2, v2, v0 dst_sel:DWORD dst_unused:UNUSED_PAD src0_sel:DWORD src1_sel:WORD_1
	v_and_b32_e32 v2, 0x80000000, v2
	v_or3_b32 v104, v3, v2, v1
	buffer_store_dword v104, off, s[0:3], s32 offset:372 ; 4-byte Folded Spill
	buffer_store_dword v105, off, s[0:3], s32 offset:376 ; 4-byte Folded Spill
.LBB222_192:                            ;   in Loop: Header=BB222_10 Depth=1
	s_or_b32 exec_lo, exec_lo, s17
.LBB222_193:                            ;   in Loop: Header=BB222_10 Depth=1
	s_or_b32 exec_lo, exec_lo, s15
.LBB222_194:                            ;   in Loop: Header=BB222_10 Depth=1
	s_or_b32 exec_lo, exec_lo, s13
	s_mov_b32 s13, exec_lo
	v_cmpx_lt_u32_e32 0xffffff, v0
	s_cbranch_execz .LBB222_202
; %bb.195:                              ;   in Loop: Header=BB222_10 Depth=1
	v_mov_b32_e32 v96, v105
	v_cmp_ne_u32_sdwa s5, v0, v117 src0_sel:BYTE_3 src1_sel:DWORD
	buffer_store_dword v96, off, s[0:3], s32 offset:364 ; 4-byte Folded Spill
	buffer_store_dword v97, off, s[0:3], s32 offset:368 ; 4-byte Folded Spill
	s_and_saveexec_b32 s15, s5
	s_cbranch_execz .LBB222_201
; %bb.196:                              ;   in Loop: Header=BB222_10 Depth=1
	v_bfe_u32 v2, v0, 24, 7
	v_mov_b32_e32 v86, v105
	s_mov_b32 s17, exec_lo
	buffer_store_dword v86, off, s[0:3], s32 offset:364 ; 4-byte Folded Spill
	buffer_store_dword v87, off, s[0:3], s32 offset:368 ; 4-byte Folded Spill
	v_cmpx_ne_u32_e32 0x7f, v2
	s_cbranch_execz .LBB222_200
; %bb.197:                              ;   in Loop: Header=BB222_10 Depth=1
	v_mov_b32_e32 v1, 7
	s_mov_b32 s18, exec_lo
	v_and_b32_sdwa v104, v0, v1 dst_sel:DWORD dst_unused:UNUSED_PAD src0_sel:BYTE_3 src1_sel:DWORD
	v_lshrrev_b32_e32 v1, 3, v2
	v_cmpx_gt_u32_e32 8, v2
; %bb.198:                              ;   in Loop: Header=BB222_10 Depth=1
	v_ffbh_u32_e32 v1, v104
	v_min_u32_e32 v1, 32, v1
	v_subrev_nc_u32_e32 v2, 28, v1
	v_sub_nc_u32_e32 v1, 29, v1
	v_lshlrev_b64 v[2:3], v2, v[104:105]
	v_and_b32_e32 v104, 7, v2
; %bb.199:                              ;   in Loop: Header=BB222_10 Depth=1
	s_or_b32 exec_lo, exec_lo, s18
	v_mov_b32_e32 v2, 24
	v_lshl_add_u32 v1, v1, 23, 0x3c000000
	v_lshlrev_b32_sdwa v0, v2, v0 dst_sel:DWORD dst_unused:UNUSED_PAD src0_sel:DWORD src1_sel:BYTE_3
	v_lshlrev_b32_e32 v2, 20, v104
	v_and_b32_e32 v0, 0x80000000, v0
	v_or3_b32 v1, v2, v0, v1
	v_mov_b32_e32 v0, v105
	buffer_store_dword v0, off, s[0:3], s32 offset:364 ; 4-byte Folded Spill
	buffer_store_dword v1, off, s[0:3], s32 offset:368 ; 4-byte Folded Spill
.LBB222_200:                            ;   in Loop: Header=BB222_10 Depth=1
	s_or_b32 exec_lo, exec_lo, s17
.LBB222_201:                            ;   in Loop: Header=BB222_10 Depth=1
	s_or_b32 exec_lo, exec_lo, s15
.LBB222_202:                            ;   in Loop: Header=BB222_10 Depth=1
	s_or_b32 exec_lo, exec_lo, s13
	flat_load_dword v0, v[100:101] offset:520
	v_mov_b32_e32 v1, 0
	v_mov_b32_e32 v2, 0
	buffer_store_dword v1, off, s[0:3], s32 offset:388 ; 4-byte Folded Spill
	buffer_store_dword v2, off, s[0:3], s32 offset:392 ; 4-byte Folded Spill
	v_mov_b32_e32 v1, 0
	v_mov_b32_e32 v2, 0
	buffer_store_dword v1, off, s[0:3], s32 offset:380 ; 4-byte Folded Spill
	buffer_store_dword v2, off, s[0:3], s32 offset:384 ; 4-byte Folded Spill
	s_waitcnt vmcnt(0) lgkmcnt(0)
	v_cmp_ne_u16_sdwa s5, v0, v105 src0_sel:BYTE_0 src1_sel:DWORD
	s_and_saveexec_b32 s13, s5
	s_cbranch_execz .LBB222_210
; %bb.203:                              ;   in Loop: Header=BB222_10 Depth=1
	v_bfrev_b32_e32 v1, 1
	v_mov_b32_e32 v2, 0
	v_cmp_ne_u16_sdwa s5, v0, v117 src0_sel:BYTE_0 src1_sel:DWORD
	buffer_store_dword v1, off, s[0:3], s32 offset:380 ; 4-byte Folded Spill
	buffer_store_dword v2, off, s[0:3], s32 offset:384 ; 4-byte Folded Spill
	s_and_saveexec_b32 s15, s5
	s_cbranch_execz .LBB222_209
; %bb.204:                              ;   in Loop: Header=BB222_10 Depth=1
	v_mov_b32_e32 v3, 0x7f800001
	v_and_b32_e32 v2, 0x7f, v0
	v_mov_b32_e32 v4, 0
	s_mov_b32 s17, exec_lo
	buffer_store_dword v3, off, s[0:3], s32 offset:380 ; 4-byte Folded Spill
	buffer_store_dword v4, off, s[0:3], s32 offset:384 ; 4-byte Folded Spill
	v_cmpx_ne_u32_e32 0x7f, v2
	s_cbranch_execz .LBB222_208
; %bb.205:                              ;   in Loop: Header=BB222_10 Depth=1
	v_and_b32_e32 v104, 7, v0
	v_lshrrev_b32_e32 v1, 3, v2
	s_mov_b32 s18, exec_lo
	v_cmpx_gt_u32_e32 8, v2
; %bb.206:                              ;   in Loop: Header=BB222_10 Depth=1
	v_ffbh_u32_e32 v1, v104
	v_min_u32_e32 v1, 32, v1
	v_subrev_nc_u32_e32 v2, 28, v1
	v_sub_nc_u32_e32 v1, 29, v1
	v_lshlrev_b64 v[2:3], v2, v[104:105]
	v_and_b32_e32 v104, 7, v2
; %bb.207:                              ;   in Loop: Header=BB222_10 Depth=1
	s_or_b32 exec_lo, exec_lo, s18
	v_lshlrev_b32_e32 v2, 24, v0
	v_lshlrev_b32_e32 v3, 20, v104
	v_lshl_add_u32 v1, v1, 23, 0x3c000000
	v_and_b32_e32 v2, 0x80000000, v2
	v_or3_b32 v104, v3, v2, v1
	buffer_store_dword v104, off, s[0:3], s32 offset:380 ; 4-byte Folded Spill
	buffer_store_dword v105, off, s[0:3], s32 offset:384 ; 4-byte Folded Spill
.LBB222_208:                            ;   in Loop: Header=BB222_10 Depth=1
	s_or_b32 exec_lo, exec_lo, s17
.LBB222_209:                            ;   in Loop: Header=BB222_10 Depth=1
	s_or_b32 exec_lo, exec_lo, s15
.LBB222_210:                            ;   in Loop: Header=BB222_10 Depth=1
	s_or_b32 exec_lo, exec_lo, s13
	v_cmp_ne_u16_sdwa s5, v0, v105 src0_sel:BYTE_1 src1_sel:DWORD
	s_and_saveexec_b32 s13, s5
	s_cbranch_execz .LBB222_218
; %bb.211:                              ;   in Loop: Header=BB222_10 Depth=1
	v_mov_b32_e32 v96, v105
	v_cmp_ne_u16_sdwa s5, v0, v117 src0_sel:BYTE_1 src1_sel:DWORD
	buffer_store_dword v96, off, s[0:3], s32 offset:388 ; 4-byte Folded Spill
	buffer_store_dword v97, off, s[0:3], s32 offset:392 ; 4-byte Folded Spill
	s_and_saveexec_b32 s15, s5
	s_cbranch_execz .LBB222_217
; %bb.212:                              ;   in Loop: Header=BB222_10 Depth=1
	v_mov_b32_e32 v1, 0xffff
	v_mov_b32_e32 v86, v105
	s_mov_b32 s17, exec_lo
	buffer_store_dword v86, off, s[0:3], s32 offset:388 ; 4-byte Folded Spill
	buffer_store_dword v87, off, s[0:3], s32 offset:392 ; 4-byte Folded Spill
	v_and_b32_sdwa v1, v1, v0 dst_sel:DWORD dst_unused:UNUSED_PAD src0_sel:DWORD src1_sel:BYTE_1
	v_and_b32_e32 v2, 0x7f, v1
	v_cmpx_ne_u32_e32 0x7f, v2
	s_cbranch_execz .LBB222_216
; %bb.213:                              ;   in Loop: Header=BB222_10 Depth=1
	v_and_b32_e32 v104, 7, v1
	v_lshrrev_b32_e32 v1, 3, v2
	s_mov_b32 s18, exec_lo
	v_cmpx_gt_u32_e32 8, v2
; %bb.214:                              ;   in Loop: Header=BB222_10 Depth=1
	v_ffbh_u32_e32 v1, v104
	v_min_u32_e32 v1, 32, v1
	v_subrev_nc_u32_e32 v2, 28, v1
	v_sub_nc_u32_e32 v1, 29, v1
	v_lshlrev_b64 v[2:3], v2, v[104:105]
	v_and_b32_e32 v104, 7, v2
; %bb.215:                              ;   in Loop: Header=BB222_10 Depth=1
	s_or_b32 exec_lo, exec_lo, s18
	v_lshlrev_b32_e32 v2, 16, v0
	v_lshlrev_b32_e32 v3, 20, v104
	v_lshl_add_u32 v1, v1, 23, 0x3c000000
	v_and_b32_e32 v2, 0x80000000, v2
	v_or3_b32 v2, v3, v2, v1
	v_mov_b32_e32 v1, v105
	buffer_store_dword v1, off, s[0:3], s32 offset:388 ; 4-byte Folded Spill
	buffer_store_dword v2, off, s[0:3], s32 offset:392 ; 4-byte Folded Spill
.LBB222_216:                            ;   in Loop: Header=BB222_10 Depth=1
	s_or_b32 exec_lo, exec_lo, s17
.LBB222_217:                            ;   in Loop: Header=BB222_10 Depth=1
	s_or_b32 exec_lo, exec_lo, s15
.LBB222_218:                            ;   in Loop: Header=BB222_10 Depth=1
	s_or_b32 exec_lo, exec_lo, s13
	v_mov_b32_e32 v2, 0
	v_mov_b32_e32 v3, 0
	v_and_b32_sdwa v1, v0, v6 dst_sel:DWORD dst_unused:UNUSED_PAD src0_sel:WORD_1 src1_sel:DWORD
	s_mov_b32 s13, exec_lo
	buffer_store_dword v2, off, s[0:3], s32 offset:396 ; 4-byte Folded Spill
	buffer_store_dword v3, off, s[0:3], s32 offset:400 ; 4-byte Folded Spill
	v_mov_b32_e32 v2, 0
	v_mov_b32_e32 v3, 0
	buffer_store_dword v2, off, s[0:3], s32 offset:404 ; 4-byte Folded Spill
	buffer_store_dword v3, off, s[0:3], s32 offset:408 ; 4-byte Folded Spill
	v_cmpx_ne_u16_e32 0, v1
	s_cbranch_execz .LBB222_226
; %bb.219:                              ;   in Loop: Header=BB222_10 Depth=1
	v_cmp_ne_u16_e64 s5, 0x80, v1
	v_bfrev_b32_e32 v1, 1
	v_mov_b32_e32 v2, 0
	buffer_store_dword v1, off, s[0:3], s32 offset:404 ; 4-byte Folded Spill
	buffer_store_dword v2, off, s[0:3], s32 offset:408 ; 4-byte Folded Spill
	s_and_saveexec_b32 s15, s5
	s_cbranch_execz .LBB222_225
; %bb.220:                              ;   in Loop: Header=BB222_10 Depth=1
	v_mov_b32_e32 v3, 0x7f800001
	v_bfe_u32 v2, v0, 16, 7
	v_mov_b32_e32 v4, 0
	s_mov_b32 s17, exec_lo
	buffer_store_dword v3, off, s[0:3], s32 offset:404 ; 4-byte Folded Spill
	buffer_store_dword v4, off, s[0:3], s32 offset:408 ; 4-byte Folded Spill
	v_cmpx_ne_u32_e32 0x7f, v2
	s_cbranch_execz .LBB222_224
; %bb.221:                              ;   in Loop: Header=BB222_10 Depth=1
	v_mov_b32_e32 v1, 7
	s_mov_b32 s18, exec_lo
	v_and_b32_sdwa v104, v0, v1 dst_sel:DWORD dst_unused:UNUSED_PAD src0_sel:WORD_1 src1_sel:DWORD
	v_lshrrev_b32_e32 v1, 3, v2
	v_cmpx_gt_u32_e32 8, v2
; %bb.222:                              ;   in Loop: Header=BB222_10 Depth=1
	v_ffbh_u32_e32 v1, v104
	v_min_u32_e32 v1, 32, v1
	v_subrev_nc_u32_e32 v2, 28, v1
	v_sub_nc_u32_e32 v1, 29, v1
	v_lshlrev_b64 v[2:3], v2, v[104:105]
	v_and_b32_e32 v104, 7, v2
; %bb.223:                              ;   in Loop: Header=BB222_10 Depth=1
	s_or_b32 exec_lo, exec_lo, s18
	v_mov_b32_e32 v2, 24
	v_lshlrev_b32_e32 v3, 20, v104
	v_lshl_add_u32 v1, v1, 23, 0x3c000000
	v_lshlrev_b32_sdwa v2, v2, v0 dst_sel:DWORD dst_unused:UNUSED_PAD src0_sel:DWORD src1_sel:WORD_1
	v_and_b32_e32 v2, 0x80000000, v2
	v_or3_b32 v104, v3, v2, v1
	buffer_store_dword v104, off, s[0:3], s32 offset:404 ; 4-byte Folded Spill
	buffer_store_dword v105, off, s[0:3], s32 offset:408 ; 4-byte Folded Spill
.LBB222_224:                            ;   in Loop: Header=BB222_10 Depth=1
	s_or_b32 exec_lo, exec_lo, s17
.LBB222_225:                            ;   in Loop: Header=BB222_10 Depth=1
	s_or_b32 exec_lo, exec_lo, s15
.LBB222_226:                            ;   in Loop: Header=BB222_10 Depth=1
	s_or_b32 exec_lo, exec_lo, s13
	s_mov_b32 s13, exec_lo
	v_cmpx_lt_u32_e32 0xffffff, v0
	s_cbranch_execz .LBB222_234
; %bb.227:                              ;   in Loop: Header=BB222_10 Depth=1
	v_mov_b32_e32 v96, v105
	v_cmp_ne_u32_sdwa s5, v0, v117 src0_sel:BYTE_3 src1_sel:DWORD
	buffer_store_dword v96, off, s[0:3], s32 offset:396 ; 4-byte Folded Spill
	buffer_store_dword v97, off, s[0:3], s32 offset:400 ; 4-byte Folded Spill
	s_and_saveexec_b32 s15, s5
	s_cbranch_execz .LBB222_233
; %bb.228:                              ;   in Loop: Header=BB222_10 Depth=1
	v_bfe_u32 v2, v0, 24, 7
	v_mov_b32_e32 v86, v105
	s_mov_b32 s17, exec_lo
	buffer_store_dword v86, off, s[0:3], s32 offset:396 ; 4-byte Folded Spill
	buffer_store_dword v87, off, s[0:3], s32 offset:400 ; 4-byte Folded Spill
	v_cmpx_ne_u32_e32 0x7f, v2
	s_cbranch_execz .LBB222_232
; %bb.229:                              ;   in Loop: Header=BB222_10 Depth=1
	v_mov_b32_e32 v1, 7
	s_mov_b32 s18, exec_lo
	v_and_b32_sdwa v104, v0, v1 dst_sel:DWORD dst_unused:UNUSED_PAD src0_sel:BYTE_3 src1_sel:DWORD
	v_lshrrev_b32_e32 v1, 3, v2
	v_cmpx_gt_u32_e32 8, v2
; %bb.230:                              ;   in Loop: Header=BB222_10 Depth=1
	v_ffbh_u32_e32 v1, v104
	v_min_u32_e32 v1, 32, v1
	v_subrev_nc_u32_e32 v2, 28, v1
	v_sub_nc_u32_e32 v1, 29, v1
	v_lshlrev_b64 v[2:3], v2, v[104:105]
	v_and_b32_e32 v104, 7, v2
; %bb.231:                              ;   in Loop: Header=BB222_10 Depth=1
	s_or_b32 exec_lo, exec_lo, s18
	v_mov_b32_e32 v2, 24
	v_lshl_add_u32 v1, v1, 23, 0x3c000000
	v_lshlrev_b32_sdwa v0, v2, v0 dst_sel:DWORD dst_unused:UNUSED_PAD src0_sel:DWORD src1_sel:BYTE_3
	v_lshlrev_b32_e32 v2, 20, v104
	v_and_b32_e32 v0, 0x80000000, v0
	v_or3_b32 v1, v2, v0, v1
	v_mov_b32_e32 v0, v105
	buffer_store_dword v0, off, s[0:3], s32 offset:396 ; 4-byte Folded Spill
	buffer_store_dword v1, off, s[0:3], s32 offset:400 ; 4-byte Folded Spill
.LBB222_232:                            ;   in Loop: Header=BB222_10 Depth=1
	s_or_b32 exec_lo, exec_lo, s17
.LBB222_233:                            ;   in Loop: Header=BB222_10 Depth=1
	s_or_b32 exec_lo, exec_lo, s15
.LBB222_234:                            ;   in Loop: Header=BB222_10 Depth=1
	s_or_b32 exec_lo, exec_lo, s13
	flat_load_dword v0, v[100:101] offset:524
	v_mov_b32_e32 v1, 0
	v_mov_b32_e32 v2, 0
	buffer_store_dword v1, off, s[0:3], s32 offset:420 ; 4-byte Folded Spill
	buffer_store_dword v2, off, s[0:3], s32 offset:424 ; 4-byte Folded Spill
	v_mov_b32_e32 v1, 0
	v_mov_b32_e32 v2, 0
	buffer_store_dword v1, off, s[0:3], s32 offset:412 ; 4-byte Folded Spill
	buffer_store_dword v2, off, s[0:3], s32 offset:416 ; 4-byte Folded Spill
	s_waitcnt vmcnt(0) lgkmcnt(0)
	v_cmp_ne_u16_sdwa s5, v0, v105 src0_sel:BYTE_0 src1_sel:DWORD
	s_and_saveexec_b32 s13, s5
	s_cbranch_execz .LBB222_242
; %bb.235:                              ;   in Loop: Header=BB222_10 Depth=1
	v_bfrev_b32_e32 v1, 1
	v_mov_b32_e32 v2, 0
	v_cmp_ne_u16_sdwa s5, v0, v117 src0_sel:BYTE_0 src1_sel:DWORD
	buffer_store_dword v1, off, s[0:3], s32 offset:412 ; 4-byte Folded Spill
	buffer_store_dword v2, off, s[0:3], s32 offset:416 ; 4-byte Folded Spill
	s_and_saveexec_b32 s15, s5
	s_cbranch_execz .LBB222_241
; %bb.236:                              ;   in Loop: Header=BB222_10 Depth=1
	v_mov_b32_e32 v3, 0x7f800001
	v_and_b32_e32 v2, 0x7f, v0
	v_mov_b32_e32 v4, 0
	s_mov_b32 s17, exec_lo
	buffer_store_dword v3, off, s[0:3], s32 offset:412 ; 4-byte Folded Spill
	buffer_store_dword v4, off, s[0:3], s32 offset:416 ; 4-byte Folded Spill
	v_cmpx_ne_u32_e32 0x7f, v2
	s_cbranch_execz .LBB222_240
; %bb.237:                              ;   in Loop: Header=BB222_10 Depth=1
	v_and_b32_e32 v104, 7, v0
	v_lshrrev_b32_e32 v1, 3, v2
	s_mov_b32 s18, exec_lo
	v_cmpx_gt_u32_e32 8, v2
; %bb.238:                              ;   in Loop: Header=BB222_10 Depth=1
	v_ffbh_u32_e32 v1, v104
	v_min_u32_e32 v1, 32, v1
	v_subrev_nc_u32_e32 v2, 28, v1
	v_sub_nc_u32_e32 v1, 29, v1
	v_lshlrev_b64 v[2:3], v2, v[104:105]
	v_and_b32_e32 v104, 7, v2
; %bb.239:                              ;   in Loop: Header=BB222_10 Depth=1
	s_or_b32 exec_lo, exec_lo, s18
	v_lshlrev_b32_e32 v2, 24, v0
	v_lshlrev_b32_e32 v3, 20, v104
	v_lshl_add_u32 v1, v1, 23, 0x3c000000
	v_and_b32_e32 v2, 0x80000000, v2
	v_or3_b32 v104, v3, v2, v1
	buffer_store_dword v104, off, s[0:3], s32 offset:412 ; 4-byte Folded Spill
	buffer_store_dword v105, off, s[0:3], s32 offset:416 ; 4-byte Folded Spill
.LBB222_240:                            ;   in Loop: Header=BB222_10 Depth=1
	s_or_b32 exec_lo, exec_lo, s17
.LBB222_241:                            ;   in Loop: Header=BB222_10 Depth=1
	s_or_b32 exec_lo, exec_lo, s15
.LBB222_242:                            ;   in Loop: Header=BB222_10 Depth=1
	s_or_b32 exec_lo, exec_lo, s13
	v_cmp_ne_u16_sdwa s5, v0, v105 src0_sel:BYTE_1 src1_sel:DWORD
	s_and_saveexec_b32 s13, s5
	s_cbranch_execz .LBB222_250
; %bb.243:                              ;   in Loop: Header=BB222_10 Depth=1
	v_mov_b32_e32 v96, v105
	v_cmp_ne_u16_sdwa s5, v0, v117 src0_sel:BYTE_1 src1_sel:DWORD
	buffer_store_dword v96, off, s[0:3], s32 offset:420 ; 4-byte Folded Spill
	buffer_store_dword v97, off, s[0:3], s32 offset:424 ; 4-byte Folded Spill
	s_and_saveexec_b32 s15, s5
	s_cbranch_execz .LBB222_249
; %bb.244:                              ;   in Loop: Header=BB222_10 Depth=1
	v_mov_b32_e32 v1, 0xffff
	v_mov_b32_e32 v86, v105
	s_mov_b32 s17, exec_lo
	buffer_store_dword v86, off, s[0:3], s32 offset:420 ; 4-byte Folded Spill
	buffer_store_dword v87, off, s[0:3], s32 offset:424 ; 4-byte Folded Spill
	v_and_b32_sdwa v1, v1, v0 dst_sel:DWORD dst_unused:UNUSED_PAD src0_sel:DWORD src1_sel:BYTE_1
	v_and_b32_e32 v2, 0x7f, v1
	v_cmpx_ne_u32_e32 0x7f, v2
	s_cbranch_execz .LBB222_248
; %bb.245:                              ;   in Loop: Header=BB222_10 Depth=1
	v_and_b32_e32 v104, 7, v1
	v_lshrrev_b32_e32 v1, 3, v2
	s_mov_b32 s18, exec_lo
	v_cmpx_gt_u32_e32 8, v2
; %bb.246:                              ;   in Loop: Header=BB222_10 Depth=1
	v_ffbh_u32_e32 v1, v104
	v_min_u32_e32 v1, 32, v1
	v_subrev_nc_u32_e32 v2, 28, v1
	v_sub_nc_u32_e32 v1, 29, v1
	v_lshlrev_b64 v[2:3], v2, v[104:105]
	v_and_b32_e32 v104, 7, v2
; %bb.247:                              ;   in Loop: Header=BB222_10 Depth=1
	s_or_b32 exec_lo, exec_lo, s18
	v_lshlrev_b32_e32 v2, 16, v0
	v_lshlrev_b32_e32 v3, 20, v104
	v_lshl_add_u32 v1, v1, 23, 0x3c000000
	v_and_b32_e32 v2, 0x80000000, v2
	v_or3_b32 v2, v3, v2, v1
	v_mov_b32_e32 v1, v105
	buffer_store_dword v1, off, s[0:3], s32 offset:420 ; 4-byte Folded Spill
	buffer_store_dword v2, off, s[0:3], s32 offset:424 ; 4-byte Folded Spill
.LBB222_248:                            ;   in Loop: Header=BB222_10 Depth=1
	s_or_b32 exec_lo, exec_lo, s17
.LBB222_249:                            ;   in Loop: Header=BB222_10 Depth=1
	s_or_b32 exec_lo, exec_lo, s15
.LBB222_250:                            ;   in Loop: Header=BB222_10 Depth=1
	s_or_b32 exec_lo, exec_lo, s13
	v_mov_b32_e32 v2, 0
	v_mov_b32_e32 v3, 0
	v_and_b32_sdwa v1, v0, v6 dst_sel:DWORD dst_unused:UNUSED_PAD src0_sel:WORD_1 src1_sel:DWORD
	s_mov_b32 s13, exec_lo
	buffer_store_dword v2, off, s[0:3], s32 offset:428 ; 4-byte Folded Spill
	buffer_store_dword v3, off, s[0:3], s32 offset:432 ; 4-byte Folded Spill
	v_mov_b32_e32 v2, 0
	v_mov_b32_e32 v3, 0
	buffer_store_dword v2, off, s[0:3], s32 offset:436 ; 4-byte Folded Spill
	buffer_store_dword v3, off, s[0:3], s32 offset:440 ; 4-byte Folded Spill
	v_cmpx_ne_u16_e32 0, v1
	s_cbranch_execz .LBB222_258
; %bb.251:                              ;   in Loop: Header=BB222_10 Depth=1
	v_cmp_ne_u16_e64 s5, 0x80, v1
	v_bfrev_b32_e32 v1, 1
	v_mov_b32_e32 v2, 0
	buffer_store_dword v1, off, s[0:3], s32 offset:436 ; 4-byte Folded Spill
	buffer_store_dword v2, off, s[0:3], s32 offset:440 ; 4-byte Folded Spill
	s_and_saveexec_b32 s15, s5
	s_cbranch_execz .LBB222_257
; %bb.252:                              ;   in Loop: Header=BB222_10 Depth=1
	v_mov_b32_e32 v3, 0x7f800001
	v_bfe_u32 v2, v0, 16, 7
	v_mov_b32_e32 v4, 0
	s_mov_b32 s17, exec_lo
	buffer_store_dword v3, off, s[0:3], s32 offset:436 ; 4-byte Folded Spill
	buffer_store_dword v4, off, s[0:3], s32 offset:440 ; 4-byte Folded Spill
	v_cmpx_ne_u32_e32 0x7f, v2
	s_cbranch_execz .LBB222_256
; %bb.253:                              ;   in Loop: Header=BB222_10 Depth=1
	v_mov_b32_e32 v1, 7
	s_mov_b32 s18, exec_lo
	v_and_b32_sdwa v104, v0, v1 dst_sel:DWORD dst_unused:UNUSED_PAD src0_sel:WORD_1 src1_sel:DWORD
	v_lshrrev_b32_e32 v1, 3, v2
	v_cmpx_gt_u32_e32 8, v2
; %bb.254:                              ;   in Loop: Header=BB222_10 Depth=1
	v_ffbh_u32_e32 v1, v104
	v_min_u32_e32 v1, 32, v1
	v_subrev_nc_u32_e32 v2, 28, v1
	v_sub_nc_u32_e32 v1, 29, v1
	v_lshlrev_b64 v[2:3], v2, v[104:105]
	v_and_b32_e32 v104, 7, v2
; %bb.255:                              ;   in Loop: Header=BB222_10 Depth=1
	s_or_b32 exec_lo, exec_lo, s18
	v_mov_b32_e32 v2, 24
	v_lshlrev_b32_e32 v3, 20, v104
	v_lshl_add_u32 v1, v1, 23, 0x3c000000
	v_lshlrev_b32_sdwa v2, v2, v0 dst_sel:DWORD dst_unused:UNUSED_PAD src0_sel:DWORD src1_sel:WORD_1
	v_and_b32_e32 v2, 0x80000000, v2
	v_or3_b32 v104, v3, v2, v1
	buffer_store_dword v104, off, s[0:3], s32 offset:436 ; 4-byte Folded Spill
	buffer_store_dword v105, off, s[0:3], s32 offset:440 ; 4-byte Folded Spill
.LBB222_256:                            ;   in Loop: Header=BB222_10 Depth=1
	s_or_b32 exec_lo, exec_lo, s17
.LBB222_257:                            ;   in Loop: Header=BB222_10 Depth=1
	s_or_b32 exec_lo, exec_lo, s15
.LBB222_258:                            ;   in Loop: Header=BB222_10 Depth=1
	s_or_b32 exec_lo, exec_lo, s13
	s_mov_b32 s13, exec_lo
	v_cmpx_lt_u32_e32 0xffffff, v0
	s_cbranch_execz .LBB222_266
; %bb.259:                              ;   in Loop: Header=BB222_10 Depth=1
	v_mov_b32_e32 v96, v105
	v_cmp_ne_u32_sdwa s5, v0, v117 src0_sel:BYTE_3 src1_sel:DWORD
	buffer_store_dword v96, off, s[0:3], s32 offset:428 ; 4-byte Folded Spill
	buffer_store_dword v97, off, s[0:3], s32 offset:432 ; 4-byte Folded Spill
	s_and_saveexec_b32 s15, s5
	s_cbranch_execz .LBB222_265
; %bb.260:                              ;   in Loop: Header=BB222_10 Depth=1
	v_bfe_u32 v2, v0, 24, 7
	v_mov_b32_e32 v86, v105
	s_mov_b32 s17, exec_lo
	buffer_store_dword v86, off, s[0:3], s32 offset:428 ; 4-byte Folded Spill
	buffer_store_dword v87, off, s[0:3], s32 offset:432 ; 4-byte Folded Spill
	v_cmpx_ne_u32_e32 0x7f, v2
	s_cbranch_execz .LBB222_264
; %bb.261:                              ;   in Loop: Header=BB222_10 Depth=1
	v_mov_b32_e32 v1, 7
	s_mov_b32 s18, exec_lo
	v_and_b32_sdwa v104, v0, v1 dst_sel:DWORD dst_unused:UNUSED_PAD src0_sel:BYTE_3 src1_sel:DWORD
	v_lshrrev_b32_e32 v1, 3, v2
	v_cmpx_gt_u32_e32 8, v2
; %bb.262:                              ;   in Loop: Header=BB222_10 Depth=1
	v_ffbh_u32_e32 v1, v104
	v_min_u32_e32 v1, 32, v1
	v_subrev_nc_u32_e32 v2, 28, v1
	v_sub_nc_u32_e32 v1, 29, v1
	v_lshlrev_b64 v[2:3], v2, v[104:105]
	v_and_b32_e32 v104, 7, v2
; %bb.263:                              ;   in Loop: Header=BB222_10 Depth=1
	s_or_b32 exec_lo, exec_lo, s18
	v_mov_b32_e32 v2, 24
	v_lshl_add_u32 v1, v1, 23, 0x3c000000
	v_lshlrev_b32_sdwa v0, v2, v0 dst_sel:DWORD dst_unused:UNUSED_PAD src0_sel:DWORD src1_sel:BYTE_3
	v_lshlrev_b32_e32 v2, 20, v104
	v_and_b32_e32 v0, 0x80000000, v0
	v_or3_b32 v1, v2, v0, v1
	v_mov_b32_e32 v0, v105
	buffer_store_dword v0, off, s[0:3], s32 offset:428 ; 4-byte Folded Spill
	buffer_store_dword v1, off, s[0:3], s32 offset:432 ; 4-byte Folded Spill
.LBB222_264:                            ;   in Loop: Header=BB222_10 Depth=1
	s_or_b32 exec_lo, exec_lo, s17
.LBB222_265:                            ;   in Loop: Header=BB222_10 Depth=1
	s_or_b32 exec_lo, exec_lo, s15
.LBB222_266:                            ;   in Loop: Header=BB222_10 Depth=1
	s_or_b32 exec_lo, exec_lo, s13
	flat_load_dword v0, v[100:101] offset:1024
	v_mov_b32_e32 v1, 0
	v_mov_b32_e32 v2, 0
	buffer_store_dword v1, off, s[0:3], s32 offset:452 ; 4-byte Folded Spill
	buffer_store_dword v2, off, s[0:3], s32 offset:456 ; 4-byte Folded Spill
	v_mov_b32_e32 v1, 0
	v_mov_b32_e32 v2, 0
	buffer_store_dword v1, off, s[0:3], s32 offset:444 ; 4-byte Folded Spill
	buffer_store_dword v2, off, s[0:3], s32 offset:448 ; 4-byte Folded Spill
	s_waitcnt vmcnt(0) lgkmcnt(0)
	v_cmp_ne_u16_sdwa s5, v0, v105 src0_sel:BYTE_0 src1_sel:DWORD
	s_and_saveexec_b32 s13, s5
	s_cbranch_execz .LBB222_274
; %bb.267:                              ;   in Loop: Header=BB222_10 Depth=1
	v_bfrev_b32_e32 v1, 1
	v_mov_b32_e32 v2, 0
	v_cmp_ne_u16_sdwa s5, v0, v117 src0_sel:BYTE_0 src1_sel:DWORD
	buffer_store_dword v1, off, s[0:3], s32 offset:444 ; 4-byte Folded Spill
	buffer_store_dword v2, off, s[0:3], s32 offset:448 ; 4-byte Folded Spill
	s_and_saveexec_b32 s15, s5
	s_cbranch_execz .LBB222_273
; %bb.268:                              ;   in Loop: Header=BB222_10 Depth=1
	v_mov_b32_e32 v3, 0x7f800001
	v_and_b32_e32 v2, 0x7f, v0
	v_mov_b32_e32 v4, 0
	s_mov_b32 s17, exec_lo
	buffer_store_dword v3, off, s[0:3], s32 offset:444 ; 4-byte Folded Spill
	buffer_store_dword v4, off, s[0:3], s32 offset:448 ; 4-byte Folded Spill
	v_cmpx_ne_u32_e32 0x7f, v2
	s_cbranch_execz .LBB222_272
; %bb.269:                              ;   in Loop: Header=BB222_10 Depth=1
	v_and_b32_e32 v104, 7, v0
	v_lshrrev_b32_e32 v1, 3, v2
	s_mov_b32 s18, exec_lo
	v_cmpx_gt_u32_e32 8, v2
; %bb.270:                              ;   in Loop: Header=BB222_10 Depth=1
	v_ffbh_u32_e32 v1, v104
	v_min_u32_e32 v1, 32, v1
	v_subrev_nc_u32_e32 v2, 28, v1
	v_sub_nc_u32_e32 v1, 29, v1
	v_lshlrev_b64 v[2:3], v2, v[104:105]
	v_and_b32_e32 v104, 7, v2
; %bb.271:                              ;   in Loop: Header=BB222_10 Depth=1
	s_or_b32 exec_lo, exec_lo, s18
	v_lshlrev_b32_e32 v2, 24, v0
	v_lshlrev_b32_e32 v3, 20, v104
	v_lshl_add_u32 v1, v1, 23, 0x3c000000
	v_and_b32_e32 v2, 0x80000000, v2
	v_or3_b32 v104, v3, v2, v1
	buffer_store_dword v104, off, s[0:3], s32 offset:444 ; 4-byte Folded Spill
	buffer_store_dword v105, off, s[0:3], s32 offset:448 ; 4-byte Folded Spill
.LBB222_272:                            ;   in Loop: Header=BB222_10 Depth=1
	s_or_b32 exec_lo, exec_lo, s17
.LBB222_273:                            ;   in Loop: Header=BB222_10 Depth=1
	s_or_b32 exec_lo, exec_lo, s15
.LBB222_274:                            ;   in Loop: Header=BB222_10 Depth=1
	s_or_b32 exec_lo, exec_lo, s13
	v_cmp_ne_u16_sdwa s5, v0, v105 src0_sel:BYTE_1 src1_sel:DWORD
	s_and_saveexec_b32 s13, s5
	s_cbranch_execz .LBB222_282
; %bb.275:                              ;   in Loop: Header=BB222_10 Depth=1
	v_mov_b32_e32 v96, v105
	v_cmp_ne_u16_sdwa s5, v0, v117 src0_sel:BYTE_1 src1_sel:DWORD
	buffer_store_dword v96, off, s[0:3], s32 offset:452 ; 4-byte Folded Spill
	buffer_store_dword v97, off, s[0:3], s32 offset:456 ; 4-byte Folded Spill
	s_and_saveexec_b32 s15, s5
	s_cbranch_execz .LBB222_281
; %bb.276:                              ;   in Loop: Header=BB222_10 Depth=1
	v_mov_b32_e32 v1, 0xffff
	v_mov_b32_e32 v86, v105
	s_mov_b32 s17, exec_lo
	buffer_store_dword v86, off, s[0:3], s32 offset:452 ; 4-byte Folded Spill
	buffer_store_dword v87, off, s[0:3], s32 offset:456 ; 4-byte Folded Spill
	v_and_b32_sdwa v1, v1, v0 dst_sel:DWORD dst_unused:UNUSED_PAD src0_sel:DWORD src1_sel:BYTE_1
	v_and_b32_e32 v2, 0x7f, v1
	v_cmpx_ne_u32_e32 0x7f, v2
	s_cbranch_execz .LBB222_280
; %bb.277:                              ;   in Loop: Header=BB222_10 Depth=1
	v_and_b32_e32 v104, 7, v1
	v_lshrrev_b32_e32 v1, 3, v2
	s_mov_b32 s18, exec_lo
	v_cmpx_gt_u32_e32 8, v2
; %bb.278:                              ;   in Loop: Header=BB222_10 Depth=1
	v_ffbh_u32_e32 v1, v104
	v_min_u32_e32 v1, 32, v1
	v_subrev_nc_u32_e32 v2, 28, v1
	v_sub_nc_u32_e32 v1, 29, v1
	v_lshlrev_b64 v[2:3], v2, v[104:105]
	v_and_b32_e32 v104, 7, v2
; %bb.279:                              ;   in Loop: Header=BB222_10 Depth=1
	s_or_b32 exec_lo, exec_lo, s18
	v_lshlrev_b32_e32 v2, 16, v0
	v_lshlrev_b32_e32 v3, 20, v104
	v_lshl_add_u32 v1, v1, 23, 0x3c000000
	v_and_b32_e32 v2, 0x80000000, v2
	v_or3_b32 v2, v3, v2, v1
	v_mov_b32_e32 v1, v105
	buffer_store_dword v1, off, s[0:3], s32 offset:452 ; 4-byte Folded Spill
	buffer_store_dword v2, off, s[0:3], s32 offset:456 ; 4-byte Folded Spill
.LBB222_280:                            ;   in Loop: Header=BB222_10 Depth=1
	s_or_b32 exec_lo, exec_lo, s17
.LBB222_281:                            ;   in Loop: Header=BB222_10 Depth=1
	s_or_b32 exec_lo, exec_lo, s15
.LBB222_282:                            ;   in Loop: Header=BB222_10 Depth=1
	s_or_b32 exec_lo, exec_lo, s13
	v_mov_b32_e32 v2, 0
	v_mov_b32_e32 v3, 0
	v_and_b32_sdwa v1, v0, v6 dst_sel:DWORD dst_unused:UNUSED_PAD src0_sel:WORD_1 src1_sel:DWORD
	s_mov_b32 s13, exec_lo
	buffer_store_dword v2, off, s[0:3], s32 offset:460 ; 4-byte Folded Spill
	buffer_store_dword v3, off, s[0:3], s32 offset:464 ; 4-byte Folded Spill
	v_mov_b32_e32 v2, 0
	v_mov_b32_e32 v3, 0
	buffer_store_dword v2, off, s[0:3], s32 offset:468 ; 4-byte Folded Spill
	buffer_store_dword v3, off, s[0:3], s32 offset:472 ; 4-byte Folded Spill
	v_cmpx_ne_u16_e32 0, v1
	s_cbranch_execz .LBB222_290
; %bb.283:                              ;   in Loop: Header=BB222_10 Depth=1
	v_cmp_ne_u16_e64 s5, 0x80, v1
	v_bfrev_b32_e32 v1, 1
	v_mov_b32_e32 v2, 0
	buffer_store_dword v1, off, s[0:3], s32 offset:468 ; 4-byte Folded Spill
	buffer_store_dword v2, off, s[0:3], s32 offset:472 ; 4-byte Folded Spill
	s_and_saveexec_b32 s15, s5
	s_cbranch_execz .LBB222_289
; %bb.284:                              ;   in Loop: Header=BB222_10 Depth=1
	v_mov_b32_e32 v3, 0x7f800001
	v_bfe_u32 v2, v0, 16, 7
	v_mov_b32_e32 v4, 0
	s_mov_b32 s17, exec_lo
	buffer_store_dword v3, off, s[0:3], s32 offset:468 ; 4-byte Folded Spill
	buffer_store_dword v4, off, s[0:3], s32 offset:472 ; 4-byte Folded Spill
	v_cmpx_ne_u32_e32 0x7f, v2
	s_cbranch_execz .LBB222_288
; %bb.285:                              ;   in Loop: Header=BB222_10 Depth=1
	v_mov_b32_e32 v1, 7
	s_mov_b32 s18, exec_lo
	v_and_b32_sdwa v104, v0, v1 dst_sel:DWORD dst_unused:UNUSED_PAD src0_sel:WORD_1 src1_sel:DWORD
	v_lshrrev_b32_e32 v1, 3, v2
	v_cmpx_gt_u32_e32 8, v2
; %bb.286:                              ;   in Loop: Header=BB222_10 Depth=1
	v_ffbh_u32_e32 v1, v104
	v_min_u32_e32 v1, 32, v1
	v_subrev_nc_u32_e32 v2, 28, v1
	v_sub_nc_u32_e32 v1, 29, v1
	v_lshlrev_b64 v[2:3], v2, v[104:105]
	v_and_b32_e32 v104, 7, v2
; %bb.287:                              ;   in Loop: Header=BB222_10 Depth=1
	s_or_b32 exec_lo, exec_lo, s18
	v_mov_b32_e32 v2, 24
	v_lshlrev_b32_e32 v3, 20, v104
	v_lshl_add_u32 v1, v1, 23, 0x3c000000
	v_lshlrev_b32_sdwa v2, v2, v0 dst_sel:DWORD dst_unused:UNUSED_PAD src0_sel:DWORD src1_sel:WORD_1
	v_and_b32_e32 v2, 0x80000000, v2
	v_or3_b32 v104, v3, v2, v1
	buffer_store_dword v104, off, s[0:3], s32 offset:468 ; 4-byte Folded Spill
	buffer_store_dword v105, off, s[0:3], s32 offset:472 ; 4-byte Folded Spill
.LBB222_288:                            ;   in Loop: Header=BB222_10 Depth=1
	s_or_b32 exec_lo, exec_lo, s17
.LBB222_289:                            ;   in Loop: Header=BB222_10 Depth=1
	s_or_b32 exec_lo, exec_lo, s15
.LBB222_290:                            ;   in Loop: Header=BB222_10 Depth=1
	s_or_b32 exec_lo, exec_lo, s13
	s_mov_b32 s13, exec_lo
	v_cmpx_lt_u32_e32 0xffffff, v0
	s_cbranch_execz .LBB222_298
; %bb.291:                              ;   in Loop: Header=BB222_10 Depth=1
	v_mov_b32_e32 v96, v105
	v_cmp_ne_u32_sdwa s5, v0, v117 src0_sel:BYTE_3 src1_sel:DWORD
	buffer_store_dword v96, off, s[0:3], s32 offset:460 ; 4-byte Folded Spill
	buffer_store_dword v97, off, s[0:3], s32 offset:464 ; 4-byte Folded Spill
	s_and_saveexec_b32 s15, s5
	s_cbranch_execz .LBB222_297
; %bb.292:                              ;   in Loop: Header=BB222_10 Depth=1
	v_bfe_u32 v2, v0, 24, 7
	v_mov_b32_e32 v86, v105
	s_mov_b32 s17, exec_lo
	buffer_store_dword v86, off, s[0:3], s32 offset:460 ; 4-byte Folded Spill
	buffer_store_dword v87, off, s[0:3], s32 offset:464 ; 4-byte Folded Spill
	v_cmpx_ne_u32_e32 0x7f, v2
	s_cbranch_execz .LBB222_296
; %bb.293:                              ;   in Loop: Header=BB222_10 Depth=1
	v_mov_b32_e32 v1, 7
	s_mov_b32 s18, exec_lo
	v_and_b32_sdwa v104, v0, v1 dst_sel:DWORD dst_unused:UNUSED_PAD src0_sel:BYTE_3 src1_sel:DWORD
	v_lshrrev_b32_e32 v1, 3, v2
	v_cmpx_gt_u32_e32 8, v2
; %bb.294:                              ;   in Loop: Header=BB222_10 Depth=1
	v_ffbh_u32_e32 v1, v104
	v_min_u32_e32 v1, 32, v1
	v_subrev_nc_u32_e32 v2, 28, v1
	v_sub_nc_u32_e32 v1, 29, v1
	v_lshlrev_b64 v[2:3], v2, v[104:105]
	v_and_b32_e32 v104, 7, v2
; %bb.295:                              ;   in Loop: Header=BB222_10 Depth=1
	s_or_b32 exec_lo, exec_lo, s18
	v_mov_b32_e32 v2, 24
	v_lshl_add_u32 v1, v1, 23, 0x3c000000
	v_lshlrev_b32_sdwa v0, v2, v0 dst_sel:DWORD dst_unused:UNUSED_PAD src0_sel:DWORD src1_sel:BYTE_3
	v_lshlrev_b32_e32 v2, 20, v104
	v_and_b32_e32 v0, 0x80000000, v0
	v_or3_b32 v1, v2, v0, v1
	v_mov_b32_e32 v0, v105
	buffer_store_dword v0, off, s[0:3], s32 offset:460 ; 4-byte Folded Spill
	buffer_store_dword v1, off, s[0:3], s32 offset:464 ; 4-byte Folded Spill
.LBB222_296:                            ;   in Loop: Header=BB222_10 Depth=1
	s_or_b32 exec_lo, exec_lo, s17
.LBB222_297:                            ;   in Loop: Header=BB222_10 Depth=1
	s_or_b32 exec_lo, exec_lo, s15
.LBB222_298:                            ;   in Loop: Header=BB222_10 Depth=1
	s_or_b32 exec_lo, exec_lo, s13
	flat_load_dword v0, v[100:101] offset:1028
	v_mov_b32_e32 v1, 0
	v_mov_b32_e32 v2, 0
	buffer_store_dword v1, off, s[0:3], s32 offset:484 ; 4-byte Folded Spill
	buffer_store_dword v2, off, s[0:3], s32 offset:488 ; 4-byte Folded Spill
	v_mov_b32_e32 v1, 0
	v_mov_b32_e32 v2, 0
	buffer_store_dword v1, off, s[0:3], s32 offset:476 ; 4-byte Folded Spill
	buffer_store_dword v2, off, s[0:3], s32 offset:480 ; 4-byte Folded Spill
	s_waitcnt vmcnt(0) lgkmcnt(0)
	v_cmp_ne_u16_sdwa s5, v0, v105 src0_sel:BYTE_0 src1_sel:DWORD
	s_and_saveexec_b32 s13, s5
	s_cbranch_execz .LBB222_306
; %bb.299:                              ;   in Loop: Header=BB222_10 Depth=1
	v_bfrev_b32_e32 v1, 1
	v_mov_b32_e32 v2, 0
	v_cmp_ne_u16_sdwa s5, v0, v117 src0_sel:BYTE_0 src1_sel:DWORD
	buffer_store_dword v1, off, s[0:3], s32 offset:476 ; 4-byte Folded Spill
	buffer_store_dword v2, off, s[0:3], s32 offset:480 ; 4-byte Folded Spill
	s_and_saveexec_b32 s15, s5
	s_cbranch_execz .LBB222_305
; %bb.300:                              ;   in Loop: Header=BB222_10 Depth=1
	v_mov_b32_e32 v3, 0x7f800001
	v_and_b32_e32 v2, 0x7f, v0
	v_mov_b32_e32 v4, 0
	s_mov_b32 s17, exec_lo
	buffer_store_dword v3, off, s[0:3], s32 offset:476 ; 4-byte Folded Spill
	buffer_store_dword v4, off, s[0:3], s32 offset:480 ; 4-byte Folded Spill
	v_cmpx_ne_u32_e32 0x7f, v2
	s_cbranch_execz .LBB222_304
; %bb.301:                              ;   in Loop: Header=BB222_10 Depth=1
	v_and_b32_e32 v104, 7, v0
	v_lshrrev_b32_e32 v1, 3, v2
	s_mov_b32 s18, exec_lo
	v_cmpx_gt_u32_e32 8, v2
; %bb.302:                              ;   in Loop: Header=BB222_10 Depth=1
	v_ffbh_u32_e32 v1, v104
	v_min_u32_e32 v1, 32, v1
	v_subrev_nc_u32_e32 v2, 28, v1
	v_sub_nc_u32_e32 v1, 29, v1
	v_lshlrev_b64 v[2:3], v2, v[104:105]
	v_and_b32_e32 v104, 7, v2
; %bb.303:                              ;   in Loop: Header=BB222_10 Depth=1
	s_or_b32 exec_lo, exec_lo, s18
	v_lshlrev_b32_e32 v2, 24, v0
	v_lshlrev_b32_e32 v3, 20, v104
	v_lshl_add_u32 v1, v1, 23, 0x3c000000
	v_and_b32_e32 v2, 0x80000000, v2
	v_or3_b32 v104, v3, v2, v1
	buffer_store_dword v104, off, s[0:3], s32 offset:476 ; 4-byte Folded Spill
	buffer_store_dword v105, off, s[0:3], s32 offset:480 ; 4-byte Folded Spill
.LBB222_304:                            ;   in Loop: Header=BB222_10 Depth=1
	s_or_b32 exec_lo, exec_lo, s17
.LBB222_305:                            ;   in Loop: Header=BB222_10 Depth=1
	s_or_b32 exec_lo, exec_lo, s15
.LBB222_306:                            ;   in Loop: Header=BB222_10 Depth=1
	s_or_b32 exec_lo, exec_lo, s13
	v_cmp_ne_u16_sdwa s5, v0, v105 src0_sel:BYTE_1 src1_sel:DWORD
	s_and_saveexec_b32 s13, s5
	s_cbranch_execz .LBB222_314
; %bb.307:                              ;   in Loop: Header=BB222_10 Depth=1
	v_mov_b32_e32 v96, v105
	v_cmp_ne_u16_sdwa s5, v0, v117 src0_sel:BYTE_1 src1_sel:DWORD
	buffer_store_dword v96, off, s[0:3], s32 offset:484 ; 4-byte Folded Spill
	buffer_store_dword v97, off, s[0:3], s32 offset:488 ; 4-byte Folded Spill
	s_and_saveexec_b32 s15, s5
	s_cbranch_execz .LBB222_313
; %bb.308:                              ;   in Loop: Header=BB222_10 Depth=1
	v_mov_b32_e32 v1, 0xffff
	v_mov_b32_e32 v86, v105
	s_mov_b32 s17, exec_lo
	buffer_store_dword v86, off, s[0:3], s32 offset:484 ; 4-byte Folded Spill
	buffer_store_dword v87, off, s[0:3], s32 offset:488 ; 4-byte Folded Spill
	v_and_b32_sdwa v1, v1, v0 dst_sel:DWORD dst_unused:UNUSED_PAD src0_sel:DWORD src1_sel:BYTE_1
	v_and_b32_e32 v2, 0x7f, v1
	v_cmpx_ne_u32_e32 0x7f, v2
	s_cbranch_execz .LBB222_312
; %bb.309:                              ;   in Loop: Header=BB222_10 Depth=1
	v_and_b32_e32 v104, 7, v1
	v_lshrrev_b32_e32 v1, 3, v2
	s_mov_b32 s18, exec_lo
	v_cmpx_gt_u32_e32 8, v2
; %bb.310:                              ;   in Loop: Header=BB222_10 Depth=1
	v_ffbh_u32_e32 v1, v104
	v_min_u32_e32 v1, 32, v1
	v_subrev_nc_u32_e32 v2, 28, v1
	v_sub_nc_u32_e32 v1, 29, v1
	v_lshlrev_b64 v[2:3], v2, v[104:105]
	v_and_b32_e32 v104, 7, v2
; %bb.311:                              ;   in Loop: Header=BB222_10 Depth=1
	s_or_b32 exec_lo, exec_lo, s18
	v_lshlrev_b32_e32 v2, 16, v0
	v_lshlrev_b32_e32 v3, 20, v104
	v_lshl_add_u32 v1, v1, 23, 0x3c000000
	v_and_b32_e32 v2, 0x80000000, v2
	v_or3_b32 v2, v3, v2, v1
	v_mov_b32_e32 v1, v105
	buffer_store_dword v1, off, s[0:3], s32 offset:484 ; 4-byte Folded Spill
	buffer_store_dword v2, off, s[0:3], s32 offset:488 ; 4-byte Folded Spill
.LBB222_312:                            ;   in Loop: Header=BB222_10 Depth=1
	s_or_b32 exec_lo, exec_lo, s17
.LBB222_313:                            ;   in Loop: Header=BB222_10 Depth=1
	s_or_b32 exec_lo, exec_lo, s15
.LBB222_314:                            ;   in Loop: Header=BB222_10 Depth=1
	s_or_b32 exec_lo, exec_lo, s13
	v_mov_b32_e32 v2, 0
	v_mov_b32_e32 v3, 0
	v_and_b32_sdwa v1, v0, v6 dst_sel:DWORD dst_unused:UNUSED_PAD src0_sel:WORD_1 src1_sel:DWORD
	s_mov_b32 s13, exec_lo
	buffer_store_dword v2, off, s[0:3], s32 offset:492 ; 4-byte Folded Spill
	buffer_store_dword v3, off, s[0:3], s32 offset:496 ; 4-byte Folded Spill
	v_mov_b32_e32 v2, 0
	v_mov_b32_e32 v3, 0
	buffer_store_dword v2, off, s[0:3], s32 offset:500 ; 4-byte Folded Spill
	buffer_store_dword v3, off, s[0:3], s32 offset:504 ; 4-byte Folded Spill
	v_cmpx_ne_u16_e32 0, v1
	s_cbranch_execz .LBB222_322
; %bb.315:                              ;   in Loop: Header=BB222_10 Depth=1
	v_cmp_ne_u16_e64 s5, 0x80, v1
	v_bfrev_b32_e32 v1, 1
	v_mov_b32_e32 v2, 0
	buffer_store_dword v1, off, s[0:3], s32 offset:500 ; 4-byte Folded Spill
	buffer_store_dword v2, off, s[0:3], s32 offset:504 ; 4-byte Folded Spill
	s_and_saveexec_b32 s15, s5
	s_cbranch_execz .LBB222_321
; %bb.316:                              ;   in Loop: Header=BB222_10 Depth=1
	v_mov_b32_e32 v3, 0x7f800001
	v_bfe_u32 v2, v0, 16, 7
	v_mov_b32_e32 v4, 0
	s_mov_b32 s17, exec_lo
	buffer_store_dword v3, off, s[0:3], s32 offset:500 ; 4-byte Folded Spill
	buffer_store_dword v4, off, s[0:3], s32 offset:504 ; 4-byte Folded Spill
	v_cmpx_ne_u32_e32 0x7f, v2
	s_cbranch_execz .LBB222_320
; %bb.317:                              ;   in Loop: Header=BB222_10 Depth=1
	v_mov_b32_e32 v1, 7
	s_mov_b32 s18, exec_lo
	v_and_b32_sdwa v104, v0, v1 dst_sel:DWORD dst_unused:UNUSED_PAD src0_sel:WORD_1 src1_sel:DWORD
	v_lshrrev_b32_e32 v1, 3, v2
	v_cmpx_gt_u32_e32 8, v2
; %bb.318:                              ;   in Loop: Header=BB222_10 Depth=1
	v_ffbh_u32_e32 v1, v104
	v_min_u32_e32 v1, 32, v1
	v_subrev_nc_u32_e32 v2, 28, v1
	v_sub_nc_u32_e32 v1, 29, v1
	v_lshlrev_b64 v[2:3], v2, v[104:105]
	v_and_b32_e32 v104, 7, v2
; %bb.319:                              ;   in Loop: Header=BB222_10 Depth=1
	s_or_b32 exec_lo, exec_lo, s18
	v_mov_b32_e32 v2, 24
	v_lshlrev_b32_e32 v3, 20, v104
	v_lshl_add_u32 v1, v1, 23, 0x3c000000
	v_lshlrev_b32_sdwa v2, v2, v0 dst_sel:DWORD dst_unused:UNUSED_PAD src0_sel:DWORD src1_sel:WORD_1
	v_and_b32_e32 v2, 0x80000000, v2
	v_or3_b32 v104, v3, v2, v1
	buffer_store_dword v104, off, s[0:3], s32 offset:500 ; 4-byte Folded Spill
	buffer_store_dword v105, off, s[0:3], s32 offset:504 ; 4-byte Folded Spill
.LBB222_320:                            ;   in Loop: Header=BB222_10 Depth=1
	s_or_b32 exec_lo, exec_lo, s17
.LBB222_321:                            ;   in Loop: Header=BB222_10 Depth=1
	s_or_b32 exec_lo, exec_lo, s15
.LBB222_322:                            ;   in Loop: Header=BB222_10 Depth=1
	s_or_b32 exec_lo, exec_lo, s13
	s_mov_b32 s13, exec_lo
	v_cmpx_lt_u32_e32 0xffffff, v0
	s_cbranch_execz .LBB222_330
; %bb.323:                              ;   in Loop: Header=BB222_10 Depth=1
	v_mov_b32_e32 v96, v105
	v_cmp_ne_u32_sdwa s5, v0, v117 src0_sel:BYTE_3 src1_sel:DWORD
	buffer_store_dword v96, off, s[0:3], s32 offset:492 ; 4-byte Folded Spill
	buffer_store_dword v97, off, s[0:3], s32 offset:496 ; 4-byte Folded Spill
	s_and_saveexec_b32 s15, s5
	s_cbranch_execz .LBB222_329
; %bb.324:                              ;   in Loop: Header=BB222_10 Depth=1
	v_bfe_u32 v2, v0, 24, 7
	v_mov_b32_e32 v86, v105
	s_mov_b32 s17, exec_lo
	buffer_store_dword v86, off, s[0:3], s32 offset:492 ; 4-byte Folded Spill
	buffer_store_dword v87, off, s[0:3], s32 offset:496 ; 4-byte Folded Spill
	v_cmpx_ne_u32_e32 0x7f, v2
	s_cbranch_execz .LBB222_328
; %bb.325:                              ;   in Loop: Header=BB222_10 Depth=1
	v_mov_b32_e32 v1, 7
	s_mov_b32 s18, exec_lo
	v_and_b32_sdwa v104, v0, v1 dst_sel:DWORD dst_unused:UNUSED_PAD src0_sel:BYTE_3 src1_sel:DWORD
	v_lshrrev_b32_e32 v1, 3, v2
	v_cmpx_gt_u32_e32 8, v2
; %bb.326:                              ;   in Loop: Header=BB222_10 Depth=1
	v_ffbh_u32_e32 v1, v104
	v_min_u32_e32 v1, 32, v1
	v_subrev_nc_u32_e32 v2, 28, v1
	v_sub_nc_u32_e32 v1, 29, v1
	v_lshlrev_b64 v[2:3], v2, v[104:105]
	v_and_b32_e32 v104, 7, v2
; %bb.327:                              ;   in Loop: Header=BB222_10 Depth=1
	s_or_b32 exec_lo, exec_lo, s18
	v_mov_b32_e32 v2, 24
	v_lshl_add_u32 v1, v1, 23, 0x3c000000
	v_lshlrev_b32_sdwa v0, v2, v0 dst_sel:DWORD dst_unused:UNUSED_PAD src0_sel:DWORD src1_sel:BYTE_3
	v_lshlrev_b32_e32 v2, 20, v104
	v_and_b32_e32 v0, 0x80000000, v0
	v_or3_b32 v1, v2, v0, v1
	v_mov_b32_e32 v0, v105
	buffer_store_dword v0, off, s[0:3], s32 offset:492 ; 4-byte Folded Spill
	buffer_store_dword v1, off, s[0:3], s32 offset:496 ; 4-byte Folded Spill
.LBB222_328:                            ;   in Loop: Header=BB222_10 Depth=1
	s_or_b32 exec_lo, exec_lo, s17
.LBB222_329:                            ;   in Loop: Header=BB222_10 Depth=1
	s_or_b32 exec_lo, exec_lo, s15
.LBB222_330:                            ;   in Loop: Header=BB222_10 Depth=1
	s_or_b32 exec_lo, exec_lo, s13
	flat_load_dword v0, v[100:101] offset:1032
	v_mov_b32_e32 v40, 0
	v_mov_b32_e32 v1, 0
	;; [unrolled: 1-line block ×4, first 2 shown]
	buffer_store_dword v1, off, s[0:3], s32 offset:508 ; 4-byte Folded Spill
	buffer_store_dword v2, off, s[0:3], s32 offset:512 ; 4-byte Folded Spill
	s_waitcnt vmcnt(0) lgkmcnt(0)
	v_cmp_ne_u16_sdwa s5, v0, v105 src0_sel:BYTE_0 src1_sel:DWORD
	s_and_saveexec_b32 s13, s5
	s_cbranch_execz .LBB222_338
; %bb.331:                              ;   in Loop: Header=BB222_10 Depth=1
	v_bfrev_b32_e32 v1, 1
	v_mov_b32_e32 v2, 0
	v_cmp_ne_u16_sdwa s5, v0, v117 src0_sel:BYTE_0 src1_sel:DWORD
	buffer_store_dword v1, off, s[0:3], s32 offset:508 ; 4-byte Folded Spill
	buffer_store_dword v2, off, s[0:3], s32 offset:512 ; 4-byte Folded Spill
	s_and_saveexec_b32 s15, s5
	s_cbranch_execz .LBB222_337
; %bb.332:                              ;   in Loop: Header=BB222_10 Depth=1
	v_mov_b32_e32 v3, 0x7f800001
	v_and_b32_e32 v2, 0x7f, v0
	v_mov_b32_e32 v4, 0
	s_mov_b32 s17, exec_lo
	buffer_store_dword v3, off, s[0:3], s32 offset:508 ; 4-byte Folded Spill
	buffer_store_dword v4, off, s[0:3], s32 offset:512 ; 4-byte Folded Spill
	v_cmpx_ne_u32_e32 0x7f, v2
	s_cbranch_execz .LBB222_336
; %bb.333:                              ;   in Loop: Header=BB222_10 Depth=1
	v_and_b32_e32 v104, 7, v0
	v_lshrrev_b32_e32 v1, 3, v2
	s_mov_b32 s18, exec_lo
	v_cmpx_gt_u32_e32 8, v2
; %bb.334:                              ;   in Loop: Header=BB222_10 Depth=1
	v_ffbh_u32_e32 v1, v104
	v_min_u32_e32 v1, 32, v1
	v_subrev_nc_u32_e32 v2, 28, v1
	v_sub_nc_u32_e32 v1, 29, v1
	v_lshlrev_b64 v[2:3], v2, v[104:105]
	v_and_b32_e32 v104, 7, v2
; %bb.335:                              ;   in Loop: Header=BB222_10 Depth=1
	s_or_b32 exec_lo, exec_lo, s18
	v_lshlrev_b32_e32 v2, 24, v0
	v_lshlrev_b32_e32 v3, 20, v104
	v_lshl_add_u32 v1, v1, 23, 0x3c000000
	v_and_b32_e32 v2, 0x80000000, v2
	v_or3_b32 v104, v3, v2, v1
	buffer_store_dword v104, off, s[0:3], s32 offset:508 ; 4-byte Folded Spill
	buffer_store_dword v105, off, s[0:3], s32 offset:512 ; 4-byte Folded Spill
.LBB222_336:                            ;   in Loop: Header=BB222_10 Depth=1
	s_or_b32 exec_lo, exec_lo, s17
.LBB222_337:                            ;   in Loop: Header=BB222_10 Depth=1
	s_or_b32 exec_lo, exec_lo, s15
.LBB222_338:                            ;   in Loop: Header=BB222_10 Depth=1
	s_or_b32 exec_lo, exec_lo, s13
	v_cmp_ne_u16_sdwa s5, v0, v105 src0_sel:BYTE_1 src1_sel:DWORD
	s_and_saveexec_b32 s13, s5
	s_cbranch_execz .LBB222_346
; %bb.339:                              ;   in Loop: Header=BB222_10 Depth=1
	v_mov_b32_e32 v96, v105
	v_cmp_ne_u16_sdwa s5, v0, v117 src0_sel:BYTE_1 src1_sel:DWORD
	v_mov_b32_e32 v40, v96
	v_mov_b32_e32 v41, v97
	s_and_saveexec_b32 s15, s5
	s_cbranch_execz .LBB222_345
; %bb.340:                              ;   in Loop: Header=BB222_10 Depth=1
	v_mov_b32_e32 v1, 0xffff
	v_mov_b32_e32 v86, v105
	s_mov_b32 s17, exec_lo
	v_and_b32_sdwa v1, v1, v0 dst_sel:DWORD dst_unused:UNUSED_PAD src0_sel:DWORD src1_sel:BYTE_1
	v_mov_b32_e32 v40, v86
	v_mov_b32_e32 v41, v87
	v_and_b32_e32 v2, 0x7f, v1
	v_cmpx_ne_u32_e32 0x7f, v2
	s_cbranch_execz .LBB222_344
; %bb.341:                              ;   in Loop: Header=BB222_10 Depth=1
	v_and_b32_e32 v104, 7, v1
	v_lshrrev_b32_e32 v1, 3, v2
	s_mov_b32 s18, exec_lo
	v_cmpx_gt_u32_e32 8, v2
; %bb.342:                              ;   in Loop: Header=BB222_10 Depth=1
	v_ffbh_u32_e32 v1, v104
	v_min_u32_e32 v1, 32, v1
	v_subrev_nc_u32_e32 v2, 28, v1
	v_sub_nc_u32_e32 v1, 29, v1
	v_lshlrev_b64 v[2:3], v2, v[104:105]
	v_and_b32_e32 v104, 7, v2
; %bb.343:                              ;   in Loop: Header=BB222_10 Depth=1
	s_or_b32 exec_lo, exec_lo, s18
	v_lshlrev_b32_e32 v2, 16, v0
	v_lshlrev_b32_e32 v3, 20, v104
	v_lshl_add_u32 v1, v1, 23, 0x3c000000
	v_mov_b32_e32 v40, v105
	v_and_b32_e32 v2, 0x80000000, v2
	v_or3_b32 v41, v3, v2, v1
.LBB222_344:                            ;   in Loop: Header=BB222_10 Depth=1
	s_or_b32 exec_lo, exec_lo, s17
.LBB222_345:                            ;   in Loop: Header=BB222_10 Depth=1
	s_or_b32 exec_lo, exec_lo, s15
.LBB222_346:                            ;   in Loop: Header=BB222_10 Depth=1
	s_or_b32 exec_lo, exec_lo, s13
	v_mov_b32_e32 v42, 0
	v_mov_b32_e32 v2, 0
	v_and_b32_sdwa v1, v0, v6 dst_sel:DWORD dst_unused:UNUSED_PAD src0_sel:WORD_1 src1_sel:DWORD
	v_mov_b32_e32 v43, 0
	v_mov_b32_e32 v3, 0
	s_mov_b32 s13, exec_lo
	buffer_store_dword v2, off, s[0:3], s32 offset:516 ; 4-byte Folded Spill
	buffer_store_dword v3, off, s[0:3], s32 offset:520 ; 4-byte Folded Spill
	v_cmpx_ne_u16_e32 0, v1
	s_cbranch_execz .LBB222_354
; %bb.347:                              ;   in Loop: Header=BB222_10 Depth=1
	v_cmp_ne_u16_e64 s5, 0x80, v1
	v_bfrev_b32_e32 v1, 1
	v_mov_b32_e32 v2, 0
	buffer_store_dword v1, off, s[0:3], s32 offset:516 ; 4-byte Folded Spill
	buffer_store_dword v2, off, s[0:3], s32 offset:520 ; 4-byte Folded Spill
	s_and_saveexec_b32 s15, s5
	s_cbranch_execz .LBB222_353
; %bb.348:                              ;   in Loop: Header=BB222_10 Depth=1
	v_mov_b32_e32 v3, 0x7f800001
	v_bfe_u32 v2, v0, 16, 7
	v_mov_b32_e32 v4, 0
	s_mov_b32 s17, exec_lo
	buffer_store_dword v3, off, s[0:3], s32 offset:516 ; 4-byte Folded Spill
	buffer_store_dword v4, off, s[0:3], s32 offset:520 ; 4-byte Folded Spill
	v_cmpx_ne_u32_e32 0x7f, v2
	s_cbranch_execz .LBB222_352
; %bb.349:                              ;   in Loop: Header=BB222_10 Depth=1
	v_mov_b32_e32 v1, 7
	s_mov_b32 s18, exec_lo
	v_and_b32_sdwa v104, v0, v1 dst_sel:DWORD dst_unused:UNUSED_PAD src0_sel:WORD_1 src1_sel:DWORD
	v_lshrrev_b32_e32 v1, 3, v2
	v_cmpx_gt_u32_e32 8, v2
; %bb.350:                              ;   in Loop: Header=BB222_10 Depth=1
	v_ffbh_u32_e32 v1, v104
	v_min_u32_e32 v1, 32, v1
	v_subrev_nc_u32_e32 v2, 28, v1
	v_sub_nc_u32_e32 v1, 29, v1
	v_lshlrev_b64 v[2:3], v2, v[104:105]
	v_and_b32_e32 v104, 7, v2
; %bb.351:                              ;   in Loop: Header=BB222_10 Depth=1
	s_or_b32 exec_lo, exec_lo, s18
	v_mov_b32_e32 v2, 24
	v_lshlrev_b32_e32 v3, 20, v104
	v_lshl_add_u32 v1, v1, 23, 0x3c000000
	v_lshlrev_b32_sdwa v2, v2, v0 dst_sel:DWORD dst_unused:UNUSED_PAD src0_sel:DWORD src1_sel:WORD_1
	v_and_b32_e32 v2, 0x80000000, v2
	v_or3_b32 v104, v3, v2, v1
	buffer_store_dword v104, off, s[0:3], s32 offset:516 ; 4-byte Folded Spill
	buffer_store_dword v105, off, s[0:3], s32 offset:520 ; 4-byte Folded Spill
.LBB222_352:                            ;   in Loop: Header=BB222_10 Depth=1
	s_or_b32 exec_lo, exec_lo, s17
.LBB222_353:                            ;   in Loop: Header=BB222_10 Depth=1
	s_or_b32 exec_lo, exec_lo, s15
.LBB222_354:                            ;   in Loop: Header=BB222_10 Depth=1
	s_or_b32 exec_lo, exec_lo, s13
	s_mov_b32 s13, exec_lo
	v_cmpx_lt_u32_e32 0xffffff, v0
	s_cbranch_execz .LBB222_362
; %bb.355:                              ;   in Loop: Header=BB222_10 Depth=1
	v_mov_b32_e32 v96, v105
	v_cmp_ne_u32_sdwa s5, v0, v117 src0_sel:BYTE_3 src1_sel:DWORD
	v_mov_b32_e32 v42, v96
	v_mov_b32_e32 v43, v97
	s_and_saveexec_b32 s15, s5
	s_cbranch_execz .LBB222_361
; %bb.356:                              ;   in Loop: Header=BB222_10 Depth=1
	v_mov_b32_e32 v86, v105
	v_bfe_u32 v2, v0, 24, 7
	s_mov_b32 s17, exec_lo
	v_mov_b32_e32 v42, v86
	v_mov_b32_e32 v43, v87
	v_cmpx_ne_u32_e32 0x7f, v2
	s_cbranch_execz .LBB222_360
; %bb.357:                              ;   in Loop: Header=BB222_10 Depth=1
	v_mov_b32_e32 v1, 7
	s_mov_b32 s18, exec_lo
	v_and_b32_sdwa v104, v0, v1 dst_sel:DWORD dst_unused:UNUSED_PAD src0_sel:BYTE_3 src1_sel:DWORD
	v_lshrrev_b32_e32 v1, 3, v2
	v_cmpx_gt_u32_e32 8, v2
; %bb.358:                              ;   in Loop: Header=BB222_10 Depth=1
	v_ffbh_u32_e32 v1, v104
	v_min_u32_e32 v1, 32, v1
	v_subrev_nc_u32_e32 v2, 28, v1
	v_sub_nc_u32_e32 v1, 29, v1
	v_lshlrev_b64 v[2:3], v2, v[104:105]
	v_and_b32_e32 v104, 7, v2
; %bb.359:                              ;   in Loop: Header=BB222_10 Depth=1
	s_or_b32 exec_lo, exec_lo, s18
	v_mov_b32_e32 v2, 24
	v_lshl_add_u32 v1, v1, 23, 0x3c000000
	v_mov_b32_e32 v42, v105
	v_lshlrev_b32_sdwa v0, v2, v0 dst_sel:DWORD dst_unused:UNUSED_PAD src0_sel:DWORD src1_sel:BYTE_3
	v_lshlrev_b32_e32 v2, 20, v104
	v_and_b32_e32 v0, 0x80000000, v0
	v_or3_b32 v43, v2, v0, v1
.LBB222_360:                            ;   in Loop: Header=BB222_10 Depth=1
	s_or_b32 exec_lo, exec_lo, s17
.LBB222_361:                            ;   in Loop: Header=BB222_10 Depth=1
	s_or_b32 exec_lo, exec_lo, s15
.LBB222_362:                            ;   in Loop: Header=BB222_10 Depth=1
	s_or_b32 exec_lo, exec_lo, s13
	flat_load_dword v0, v[100:101] offset:1036
	v_mov_b32_e32 v56, 0
	v_mov_b32_e32 v46, 0
	;; [unrolled: 1-line block ×4, first 2 shown]
	s_waitcnt vmcnt(0) lgkmcnt(0)
	v_cmp_ne_u16_sdwa s5, v0, v105 src0_sel:BYTE_0 src1_sel:DWORD
	s_and_saveexec_b32 s13, s5
	s_cbranch_execz .LBB222_370
; %bb.363:                              ;   in Loop: Header=BB222_10 Depth=1
	v_bfrev_b32_e32 v46, 1
	v_mov_b32_e32 v47, 0
	v_cmp_ne_u16_sdwa s5, v0, v117 src0_sel:BYTE_0 src1_sel:DWORD
	s_and_saveexec_b32 s15, s5
	s_cbranch_execz .LBB222_369
; %bb.364:                              ;   in Loop: Header=BB222_10 Depth=1
	v_mov_b32_e32 v46, 0x7f800001
	v_and_b32_e32 v2, 0x7f, v0
	v_mov_b32_e32 v47, 0
	s_mov_b32 s17, exec_lo
	v_cmpx_ne_u32_e32 0x7f, v2
	s_cbranch_execz .LBB222_368
; %bb.365:                              ;   in Loop: Header=BB222_10 Depth=1
	v_and_b32_e32 v104, 7, v0
	v_lshrrev_b32_e32 v1, 3, v2
	s_mov_b32 s18, exec_lo
	v_cmpx_gt_u32_e32 8, v2
; %bb.366:                              ;   in Loop: Header=BB222_10 Depth=1
	v_ffbh_u32_e32 v1, v104
	v_min_u32_e32 v1, 32, v1
	v_subrev_nc_u32_e32 v2, 28, v1
	v_sub_nc_u32_e32 v1, 29, v1
	v_lshlrev_b64 v[2:3], v2, v[104:105]
	v_and_b32_e32 v104, 7, v2
; %bb.367:                              ;   in Loop: Header=BB222_10 Depth=1
	s_or_b32 exec_lo, exec_lo, s18
	v_lshlrev_b32_e32 v2, 24, v0
	v_lshlrev_b32_e32 v3, 20, v104
	v_lshl_add_u32 v1, v1, 23, 0x3c000000
	v_and_b32_e32 v2, 0x80000000, v2
	v_or3_b32 v104, v3, v2, v1
	v_mov_b32_e32 v46, v104
	v_mov_b32_e32 v47, v105
.LBB222_368:                            ;   in Loop: Header=BB222_10 Depth=1
	s_or_b32 exec_lo, exec_lo, s17
.LBB222_369:                            ;   in Loop: Header=BB222_10 Depth=1
	s_or_b32 exec_lo, exec_lo, s15
.LBB222_370:                            ;   in Loop: Header=BB222_10 Depth=1
	s_or_b32 exec_lo, exec_lo, s13
	v_cmp_ne_u16_sdwa s5, v0, v105 src0_sel:BYTE_1 src1_sel:DWORD
	s_and_saveexec_b32 s13, s5
	s_cbranch_execz .LBB222_378
; %bb.371:                              ;   in Loop: Header=BB222_10 Depth=1
	v_mov_b32_e32 v96, v105
	v_cmp_ne_u16_sdwa s5, v0, v117 src0_sel:BYTE_1 src1_sel:DWORD
	v_mov_b32_e32 v56, v96
	v_mov_b32_e32 v57, v97
	s_and_saveexec_b32 s15, s5
	s_cbranch_execz .LBB222_377
; %bb.372:                              ;   in Loop: Header=BB222_10 Depth=1
	v_mov_b32_e32 v1, 0xffff
	v_mov_b32_e32 v86, v105
	s_mov_b32 s17, exec_lo
	v_and_b32_sdwa v1, v1, v0 dst_sel:DWORD dst_unused:UNUSED_PAD src0_sel:DWORD src1_sel:BYTE_1
	v_mov_b32_e32 v56, v86
	v_mov_b32_e32 v57, v87
	v_and_b32_e32 v2, 0x7f, v1
	v_cmpx_ne_u32_e32 0x7f, v2
	s_cbranch_execz .LBB222_376
; %bb.373:                              ;   in Loop: Header=BB222_10 Depth=1
	v_and_b32_e32 v104, 7, v1
	v_lshrrev_b32_e32 v1, 3, v2
	s_mov_b32 s18, exec_lo
	v_cmpx_gt_u32_e32 8, v2
; %bb.374:                              ;   in Loop: Header=BB222_10 Depth=1
	v_ffbh_u32_e32 v1, v104
	v_min_u32_e32 v1, 32, v1
	v_subrev_nc_u32_e32 v2, 28, v1
	v_sub_nc_u32_e32 v1, 29, v1
	v_lshlrev_b64 v[2:3], v2, v[104:105]
	v_and_b32_e32 v104, 7, v2
; %bb.375:                              ;   in Loop: Header=BB222_10 Depth=1
	s_or_b32 exec_lo, exec_lo, s18
	v_lshlrev_b32_e32 v2, 16, v0
	v_lshlrev_b32_e32 v3, 20, v104
	v_lshl_add_u32 v1, v1, 23, 0x3c000000
	v_mov_b32_e32 v56, v105
	v_and_b32_e32 v2, 0x80000000, v2
	v_or3_b32 v57, v3, v2, v1
.LBB222_376:                            ;   in Loop: Header=BB222_10 Depth=1
	s_or_b32 exec_lo, exec_lo, s17
.LBB222_377:                            ;   in Loop: Header=BB222_10 Depth=1
	s_or_b32 exec_lo, exec_lo, s15
.LBB222_378:                            ;   in Loop: Header=BB222_10 Depth=1
	s_or_b32 exec_lo, exec_lo, s13
	v_mov_b32_e32 v58, 0
	v_mov_b32_e32 v60, 0
	v_and_b32_sdwa v1, v0, v6 dst_sel:DWORD dst_unused:UNUSED_PAD src0_sel:WORD_1 src1_sel:DWORD
	v_mov_b32_e32 v59, 0
	v_mov_b32_e32 v61, 0
	s_mov_b32 s13, exec_lo
	v_cmpx_ne_u16_e32 0, v1
	s_cbranch_execz .LBB222_386
; %bb.379:                              ;   in Loop: Header=BB222_10 Depth=1
	v_bfrev_b32_e32 v60, 1
	v_mov_b32_e32 v61, 0
	s_mov_b32 s15, exec_lo
	v_cmpx_ne_u16_e32 0x80, v1
	s_cbranch_execz .LBB222_385
; %bb.380:                              ;   in Loop: Header=BB222_10 Depth=1
	v_mov_b32_e32 v60, 0x7f800001
	v_bfe_u32 v2, v0, 16, 7
	v_mov_b32_e32 v61, 0
	s_mov_b32 s17, exec_lo
	v_cmpx_ne_u32_e32 0x7f, v2
	s_cbranch_execz .LBB222_384
; %bb.381:                              ;   in Loop: Header=BB222_10 Depth=1
	v_mov_b32_e32 v1, 7
	s_mov_b32 s18, exec_lo
	v_and_b32_sdwa v104, v0, v1 dst_sel:DWORD dst_unused:UNUSED_PAD src0_sel:WORD_1 src1_sel:DWORD
	v_lshrrev_b32_e32 v1, 3, v2
	v_cmpx_gt_u32_e32 8, v2
; %bb.382:                              ;   in Loop: Header=BB222_10 Depth=1
	v_ffbh_u32_e32 v1, v104
	v_min_u32_e32 v1, 32, v1
	v_subrev_nc_u32_e32 v2, 28, v1
	v_sub_nc_u32_e32 v1, 29, v1
	v_lshlrev_b64 v[2:3], v2, v[104:105]
	v_and_b32_e32 v104, 7, v2
; %bb.383:                              ;   in Loop: Header=BB222_10 Depth=1
	s_or_b32 exec_lo, exec_lo, s18
	v_mov_b32_e32 v2, 24
	v_lshlrev_b32_e32 v3, 20, v104
	v_lshl_add_u32 v1, v1, 23, 0x3c000000
	v_lshlrev_b32_sdwa v2, v2, v0 dst_sel:DWORD dst_unused:UNUSED_PAD src0_sel:DWORD src1_sel:WORD_1
	v_and_b32_e32 v2, 0x80000000, v2
	v_or3_b32 v104, v3, v2, v1
	v_mov_b32_e32 v60, v104
	v_mov_b32_e32 v61, v105
.LBB222_384:                            ;   in Loop: Header=BB222_10 Depth=1
	s_or_b32 exec_lo, exec_lo, s17
.LBB222_385:                            ;   in Loop: Header=BB222_10 Depth=1
	s_or_b32 exec_lo, exec_lo, s15
.LBB222_386:                            ;   in Loop: Header=BB222_10 Depth=1
	s_or_b32 exec_lo, exec_lo, s13
	s_mov_b32 s13, exec_lo
	v_cmpx_lt_u32_e32 0xffffff, v0
	s_cbranch_execz .LBB222_394
; %bb.387:                              ;   in Loop: Header=BB222_10 Depth=1
	v_mov_b32_e32 v96, v105
	v_cmp_ne_u32_sdwa s5, v0, v117 src0_sel:BYTE_3 src1_sel:DWORD
	v_mov_b32_e32 v58, v96
	v_mov_b32_e32 v59, v97
	s_and_saveexec_b32 s15, s5
	s_cbranch_execz .LBB222_393
; %bb.388:                              ;   in Loop: Header=BB222_10 Depth=1
	v_mov_b32_e32 v86, v105
	v_bfe_u32 v2, v0, 24, 7
	s_mov_b32 s17, exec_lo
	v_mov_b32_e32 v58, v86
	v_mov_b32_e32 v59, v87
	v_cmpx_ne_u32_e32 0x7f, v2
	s_cbranch_execz .LBB222_392
; %bb.389:                              ;   in Loop: Header=BB222_10 Depth=1
	v_mov_b32_e32 v1, 7
	s_mov_b32 s18, exec_lo
	v_and_b32_sdwa v104, v0, v1 dst_sel:DWORD dst_unused:UNUSED_PAD src0_sel:BYTE_3 src1_sel:DWORD
	v_lshrrev_b32_e32 v1, 3, v2
	v_cmpx_gt_u32_e32 8, v2
; %bb.390:                              ;   in Loop: Header=BB222_10 Depth=1
	v_ffbh_u32_e32 v1, v104
	v_min_u32_e32 v1, 32, v1
	v_subrev_nc_u32_e32 v2, 28, v1
	v_sub_nc_u32_e32 v1, 29, v1
	v_lshlrev_b64 v[2:3], v2, v[104:105]
	v_and_b32_e32 v104, 7, v2
; %bb.391:                              ;   in Loop: Header=BB222_10 Depth=1
	s_or_b32 exec_lo, exec_lo, s18
	v_mov_b32_e32 v2, 24
	v_lshl_add_u32 v1, v1, 23, 0x3c000000
	v_mov_b32_e32 v58, v105
	v_lshlrev_b32_sdwa v0, v2, v0 dst_sel:DWORD dst_unused:UNUSED_PAD src0_sel:DWORD src1_sel:BYTE_3
	v_lshlrev_b32_e32 v2, 20, v104
	v_and_b32_e32 v0, 0x80000000, v0
	v_or3_b32 v59, v2, v0, v1
.LBB222_392:                            ;   in Loop: Header=BB222_10 Depth=1
	s_or_b32 exec_lo, exec_lo, s17
.LBB222_393:                            ;   in Loop: Header=BB222_10 Depth=1
	s_or_b32 exec_lo, exec_lo, s15
.LBB222_394:                            ;   in Loop: Header=BB222_10 Depth=1
	s_or_b32 exec_lo, exec_lo, s13
	flat_load_dword v0, v[100:101] offset:1536
	v_mov_b32_e32 v72, 0
	v_mov_b32_e32 v62, 0
	;; [unrolled: 1-line block ×4, first 2 shown]
	s_waitcnt vmcnt(0) lgkmcnt(0)
	v_cmp_ne_u16_sdwa s5, v0, v105 src0_sel:BYTE_0 src1_sel:DWORD
	s_and_saveexec_b32 s13, s5
	s_cbranch_execz .LBB222_402
; %bb.395:                              ;   in Loop: Header=BB222_10 Depth=1
	v_bfrev_b32_e32 v62, 1
	v_mov_b32_e32 v63, 0
	v_cmp_ne_u16_sdwa s5, v0, v117 src0_sel:BYTE_0 src1_sel:DWORD
	s_and_saveexec_b32 s15, s5
	s_cbranch_execz .LBB222_401
; %bb.396:                              ;   in Loop: Header=BB222_10 Depth=1
	v_mov_b32_e32 v62, 0x7f800001
	v_and_b32_e32 v2, 0x7f, v0
	v_mov_b32_e32 v63, 0
	s_mov_b32 s17, exec_lo
	v_cmpx_ne_u32_e32 0x7f, v2
	s_cbranch_execz .LBB222_400
; %bb.397:                              ;   in Loop: Header=BB222_10 Depth=1
	v_and_b32_e32 v104, 7, v0
	v_lshrrev_b32_e32 v1, 3, v2
	s_mov_b32 s18, exec_lo
	v_cmpx_gt_u32_e32 8, v2
; %bb.398:                              ;   in Loop: Header=BB222_10 Depth=1
	v_ffbh_u32_e32 v1, v104
	v_min_u32_e32 v1, 32, v1
	v_subrev_nc_u32_e32 v2, 28, v1
	v_sub_nc_u32_e32 v1, 29, v1
	v_lshlrev_b64 v[2:3], v2, v[104:105]
	v_and_b32_e32 v104, 7, v2
; %bb.399:                              ;   in Loop: Header=BB222_10 Depth=1
	s_or_b32 exec_lo, exec_lo, s18
	v_lshlrev_b32_e32 v2, 24, v0
	v_lshlrev_b32_e32 v3, 20, v104
	v_lshl_add_u32 v1, v1, 23, 0x3c000000
	v_and_b32_e32 v2, 0x80000000, v2
	v_or3_b32 v104, v3, v2, v1
	v_mov_b32_e32 v62, v104
	v_mov_b32_e32 v63, v105
.LBB222_400:                            ;   in Loop: Header=BB222_10 Depth=1
	s_or_b32 exec_lo, exec_lo, s17
.LBB222_401:                            ;   in Loop: Header=BB222_10 Depth=1
	s_or_b32 exec_lo, exec_lo, s15
.LBB222_402:                            ;   in Loop: Header=BB222_10 Depth=1
	s_or_b32 exec_lo, exec_lo, s13
	v_cmp_ne_u16_sdwa s5, v0, v105 src0_sel:BYTE_1 src1_sel:DWORD
	s_and_saveexec_b32 s13, s5
	s_cbranch_execz .LBB222_410
; %bb.403:                              ;   in Loop: Header=BB222_10 Depth=1
	v_mov_b32_e32 v96, v105
	v_cmp_ne_u16_sdwa s5, v0, v117 src0_sel:BYTE_1 src1_sel:DWORD
	v_mov_b32_e32 v72, v96
	v_mov_b32_e32 v73, v97
	s_and_saveexec_b32 s15, s5
	s_cbranch_execz .LBB222_409
; %bb.404:                              ;   in Loop: Header=BB222_10 Depth=1
	v_mov_b32_e32 v1, 0xffff
	v_mov_b32_e32 v86, v105
	s_mov_b32 s17, exec_lo
	v_and_b32_sdwa v1, v1, v0 dst_sel:DWORD dst_unused:UNUSED_PAD src0_sel:DWORD src1_sel:BYTE_1
	v_mov_b32_e32 v72, v86
	v_mov_b32_e32 v73, v87
	v_and_b32_e32 v2, 0x7f, v1
	v_cmpx_ne_u32_e32 0x7f, v2
	s_cbranch_execz .LBB222_408
; %bb.405:                              ;   in Loop: Header=BB222_10 Depth=1
	v_and_b32_e32 v104, 7, v1
	v_lshrrev_b32_e32 v1, 3, v2
	s_mov_b32 s18, exec_lo
	v_cmpx_gt_u32_e32 8, v2
; %bb.406:                              ;   in Loop: Header=BB222_10 Depth=1
	v_ffbh_u32_e32 v1, v104
	v_min_u32_e32 v1, 32, v1
	v_subrev_nc_u32_e32 v2, 28, v1
	v_sub_nc_u32_e32 v1, 29, v1
	v_lshlrev_b64 v[2:3], v2, v[104:105]
	v_and_b32_e32 v104, 7, v2
; %bb.407:                              ;   in Loop: Header=BB222_10 Depth=1
	s_or_b32 exec_lo, exec_lo, s18
	v_lshlrev_b32_e32 v2, 16, v0
	v_lshlrev_b32_e32 v3, 20, v104
	v_lshl_add_u32 v1, v1, 23, 0x3c000000
	v_mov_b32_e32 v72, v105
	v_and_b32_e32 v2, 0x80000000, v2
	v_or3_b32 v73, v3, v2, v1
.LBB222_408:                            ;   in Loop: Header=BB222_10 Depth=1
	s_or_b32 exec_lo, exec_lo, s17
.LBB222_409:                            ;   in Loop: Header=BB222_10 Depth=1
	s_or_b32 exec_lo, exec_lo, s15
.LBB222_410:                            ;   in Loop: Header=BB222_10 Depth=1
	s_or_b32 exec_lo, exec_lo, s13
	v_mov_b32_e32 v74, 0
	v_mov_b32_e32 v76, 0
	v_and_b32_sdwa v1, v0, v6 dst_sel:DWORD dst_unused:UNUSED_PAD src0_sel:WORD_1 src1_sel:DWORD
	v_mov_b32_e32 v75, 0
	v_mov_b32_e32 v77, 0
	s_mov_b32 s13, exec_lo
	v_cmpx_ne_u16_e32 0, v1
	s_cbranch_execz .LBB222_418
; %bb.411:                              ;   in Loop: Header=BB222_10 Depth=1
	v_bfrev_b32_e32 v76, 1
	v_mov_b32_e32 v77, 0
	s_mov_b32 s15, exec_lo
	v_cmpx_ne_u16_e32 0x80, v1
	s_cbranch_execz .LBB222_417
; %bb.412:                              ;   in Loop: Header=BB222_10 Depth=1
	v_mov_b32_e32 v76, 0x7f800001
	v_bfe_u32 v2, v0, 16, 7
	v_mov_b32_e32 v77, 0
	s_mov_b32 s17, exec_lo
	v_cmpx_ne_u32_e32 0x7f, v2
	s_cbranch_execz .LBB222_416
; %bb.413:                              ;   in Loop: Header=BB222_10 Depth=1
	v_mov_b32_e32 v1, 7
	s_mov_b32 s18, exec_lo
	v_and_b32_sdwa v104, v0, v1 dst_sel:DWORD dst_unused:UNUSED_PAD src0_sel:WORD_1 src1_sel:DWORD
	v_lshrrev_b32_e32 v1, 3, v2
	v_cmpx_gt_u32_e32 8, v2
; %bb.414:                              ;   in Loop: Header=BB222_10 Depth=1
	v_ffbh_u32_e32 v1, v104
	v_min_u32_e32 v1, 32, v1
	v_subrev_nc_u32_e32 v2, 28, v1
	v_sub_nc_u32_e32 v1, 29, v1
	v_lshlrev_b64 v[2:3], v2, v[104:105]
	v_and_b32_e32 v104, 7, v2
; %bb.415:                              ;   in Loop: Header=BB222_10 Depth=1
	s_or_b32 exec_lo, exec_lo, s18
	v_mov_b32_e32 v2, 24
	v_lshlrev_b32_e32 v3, 20, v104
	v_lshl_add_u32 v1, v1, 23, 0x3c000000
	v_lshlrev_b32_sdwa v2, v2, v0 dst_sel:DWORD dst_unused:UNUSED_PAD src0_sel:DWORD src1_sel:WORD_1
	v_and_b32_e32 v2, 0x80000000, v2
	v_or3_b32 v104, v3, v2, v1
	v_mov_b32_e32 v76, v104
	v_mov_b32_e32 v77, v105
.LBB222_416:                            ;   in Loop: Header=BB222_10 Depth=1
	s_or_b32 exec_lo, exec_lo, s17
.LBB222_417:                            ;   in Loop: Header=BB222_10 Depth=1
	s_or_b32 exec_lo, exec_lo, s15
.LBB222_418:                            ;   in Loop: Header=BB222_10 Depth=1
	s_or_b32 exec_lo, exec_lo, s13
	s_mov_b32 s13, exec_lo
	v_cmpx_lt_u32_e32 0xffffff, v0
	s_cbranch_execz .LBB222_426
; %bb.419:                              ;   in Loop: Header=BB222_10 Depth=1
	v_mov_b32_e32 v96, v105
	v_cmp_ne_u32_sdwa s5, v0, v117 src0_sel:BYTE_3 src1_sel:DWORD
	v_mov_b32_e32 v74, v96
	v_mov_b32_e32 v75, v97
	s_and_saveexec_b32 s15, s5
	s_cbranch_execz .LBB222_425
; %bb.420:                              ;   in Loop: Header=BB222_10 Depth=1
	v_mov_b32_e32 v86, v105
	v_bfe_u32 v2, v0, 24, 7
	s_mov_b32 s17, exec_lo
	v_mov_b32_e32 v74, v86
	v_mov_b32_e32 v75, v87
	v_cmpx_ne_u32_e32 0x7f, v2
	s_cbranch_execz .LBB222_424
; %bb.421:                              ;   in Loop: Header=BB222_10 Depth=1
	v_mov_b32_e32 v1, 7
	s_mov_b32 s18, exec_lo
	v_and_b32_sdwa v104, v0, v1 dst_sel:DWORD dst_unused:UNUSED_PAD src0_sel:BYTE_3 src1_sel:DWORD
	v_lshrrev_b32_e32 v1, 3, v2
	v_cmpx_gt_u32_e32 8, v2
; %bb.422:                              ;   in Loop: Header=BB222_10 Depth=1
	v_ffbh_u32_e32 v1, v104
	v_min_u32_e32 v1, 32, v1
	v_subrev_nc_u32_e32 v2, 28, v1
	v_sub_nc_u32_e32 v1, 29, v1
	v_lshlrev_b64 v[2:3], v2, v[104:105]
	v_and_b32_e32 v104, 7, v2
; %bb.423:                              ;   in Loop: Header=BB222_10 Depth=1
	s_or_b32 exec_lo, exec_lo, s18
	v_mov_b32_e32 v2, 24
	v_lshl_add_u32 v1, v1, 23, 0x3c000000
	v_mov_b32_e32 v74, v105
	v_lshlrev_b32_sdwa v0, v2, v0 dst_sel:DWORD dst_unused:UNUSED_PAD src0_sel:DWORD src1_sel:BYTE_3
	v_lshlrev_b32_e32 v2, 20, v104
	v_and_b32_e32 v0, 0x80000000, v0
	v_or3_b32 v75, v2, v0, v1
.LBB222_424:                            ;   in Loop: Header=BB222_10 Depth=1
	s_or_b32 exec_lo, exec_lo, s17
.LBB222_425:                            ;   in Loop: Header=BB222_10 Depth=1
	s_or_b32 exec_lo, exec_lo, s15
.LBB222_426:                            ;   in Loop: Header=BB222_10 Depth=1
	s_or_b32 exec_lo, exec_lo, s13
	flat_load_dword v0, v[100:101] offset:1540
	v_mov_b32_e32 v88, 0
	v_mov_b32_e32 v78, 0
	;; [unrolled: 1-line block ×4, first 2 shown]
	s_waitcnt vmcnt(0) lgkmcnt(0)
	v_cmp_ne_u16_sdwa s5, v0, v105 src0_sel:BYTE_0 src1_sel:DWORD
	s_and_saveexec_b32 s13, s5
	s_cbranch_execz .LBB222_434
; %bb.427:                              ;   in Loop: Header=BB222_10 Depth=1
	v_bfrev_b32_e32 v78, 1
	v_mov_b32_e32 v79, 0
	v_cmp_ne_u16_sdwa s5, v0, v117 src0_sel:BYTE_0 src1_sel:DWORD
	s_and_saveexec_b32 s15, s5
	s_cbranch_execz .LBB222_433
; %bb.428:                              ;   in Loop: Header=BB222_10 Depth=1
	v_mov_b32_e32 v78, 0x7f800001
	v_and_b32_e32 v2, 0x7f, v0
	v_mov_b32_e32 v79, 0
	s_mov_b32 s17, exec_lo
	v_cmpx_ne_u32_e32 0x7f, v2
	s_cbranch_execz .LBB222_432
; %bb.429:                              ;   in Loop: Header=BB222_10 Depth=1
	v_and_b32_e32 v104, 7, v0
	v_lshrrev_b32_e32 v1, 3, v2
	s_mov_b32 s18, exec_lo
	v_cmpx_gt_u32_e32 8, v2
; %bb.430:                              ;   in Loop: Header=BB222_10 Depth=1
	v_ffbh_u32_e32 v1, v104
	v_min_u32_e32 v1, 32, v1
	v_subrev_nc_u32_e32 v2, 28, v1
	v_sub_nc_u32_e32 v1, 29, v1
	v_lshlrev_b64 v[2:3], v2, v[104:105]
	v_and_b32_e32 v104, 7, v2
; %bb.431:                              ;   in Loop: Header=BB222_10 Depth=1
	s_or_b32 exec_lo, exec_lo, s18
	v_lshlrev_b32_e32 v2, 24, v0
	v_lshlrev_b32_e32 v3, 20, v104
	v_lshl_add_u32 v1, v1, 23, 0x3c000000
	v_and_b32_e32 v2, 0x80000000, v2
	v_or3_b32 v104, v3, v2, v1
	v_mov_b32_e32 v78, v104
	v_mov_b32_e32 v79, v105
.LBB222_432:                            ;   in Loop: Header=BB222_10 Depth=1
	s_or_b32 exec_lo, exec_lo, s17
.LBB222_433:                            ;   in Loop: Header=BB222_10 Depth=1
	s_or_b32 exec_lo, exec_lo, s15
.LBB222_434:                            ;   in Loop: Header=BB222_10 Depth=1
	s_or_b32 exec_lo, exec_lo, s13
	v_cmp_ne_u16_sdwa s5, v0, v105 src0_sel:BYTE_1 src1_sel:DWORD
	s_and_saveexec_b32 s13, s5
	s_cbranch_execz .LBB222_442
; %bb.435:                              ;   in Loop: Header=BB222_10 Depth=1
	v_mov_b32_e32 v96, v105
	v_cmp_ne_u16_sdwa s5, v0, v117 src0_sel:BYTE_1 src1_sel:DWORD
	v_mov_b32_e32 v88, v96
	v_mov_b32_e32 v89, v97
	s_and_saveexec_b32 s15, s5
	s_cbranch_execz .LBB222_441
; %bb.436:                              ;   in Loop: Header=BB222_10 Depth=1
	v_mov_b32_e32 v1, 0xffff
	v_mov_b32_e32 v86, v105
	;; [unrolled: 1-line block ×3, first 2 shown]
	s_mov_b32 s17, exec_lo
	v_and_b32_sdwa v1, v1, v0 dst_sel:DWORD dst_unused:UNUSED_PAD src0_sel:DWORD src1_sel:BYTE_1
	v_mov_b32_e32 v88, v86
	v_and_b32_e32 v2, 0x7f, v1
	v_cmpx_ne_u32_e32 0x7f, v2
	s_cbranch_execz .LBB222_440
; %bb.437:                              ;   in Loop: Header=BB222_10 Depth=1
	v_and_b32_e32 v104, 7, v1
	v_lshrrev_b32_e32 v1, 3, v2
	s_mov_b32 s18, exec_lo
	v_cmpx_gt_u32_e32 8, v2
; %bb.438:                              ;   in Loop: Header=BB222_10 Depth=1
	v_ffbh_u32_e32 v1, v104
	v_min_u32_e32 v1, 32, v1
	v_subrev_nc_u32_e32 v2, 28, v1
	v_sub_nc_u32_e32 v1, 29, v1
	v_lshlrev_b64 v[2:3], v2, v[104:105]
	v_and_b32_e32 v104, 7, v2
; %bb.439:                              ;   in Loop: Header=BB222_10 Depth=1
	s_or_b32 exec_lo, exec_lo, s18
	v_lshlrev_b32_e32 v2, 16, v0
	v_lshlrev_b32_e32 v3, 20, v104
	v_lshl_add_u32 v1, v1, 23, 0x3c000000
	v_mov_b32_e32 v88, v105
	v_and_b32_e32 v2, 0x80000000, v2
	v_or3_b32 v89, v3, v2, v1
.LBB222_440:                            ;   in Loop: Header=BB222_10 Depth=1
	s_or_b32 exec_lo, exec_lo, s17
.LBB222_441:                            ;   in Loop: Header=BB222_10 Depth=1
	s_or_b32 exec_lo, exec_lo, s15
.LBB222_442:                            ;   in Loop: Header=BB222_10 Depth=1
	s_or_b32 exec_lo, exec_lo, s13
	v_mov_b32_e32 v90, 0
	v_mov_b32_e32 v44, 0
	v_and_b32_sdwa v1, v0, v6 dst_sel:DWORD dst_unused:UNUSED_PAD src0_sel:WORD_1 src1_sel:DWORD
	v_mov_b32_e32 v91, 0
	v_mov_b32_e32 v45, 0
	s_mov_b32 s13, exec_lo
	v_cmpx_ne_u16_e32 0, v1
	s_cbranch_execz .LBB222_450
; %bb.443:                              ;   in Loop: Header=BB222_10 Depth=1
	v_bfrev_b32_e32 v44, 1
	v_mov_b32_e32 v45, 0
	s_mov_b32 s15, exec_lo
	v_cmpx_ne_u16_e32 0x80, v1
	s_cbranch_execz .LBB222_449
; %bb.444:                              ;   in Loop: Header=BB222_10 Depth=1
	v_mov_b32_e32 v44, 0x7f800001
	v_bfe_u32 v2, v0, 16, 7
	v_mov_b32_e32 v45, 0
	s_mov_b32 s17, exec_lo
	v_cmpx_ne_u32_e32 0x7f, v2
	s_cbranch_execz .LBB222_448
; %bb.445:                              ;   in Loop: Header=BB222_10 Depth=1
	v_mov_b32_e32 v1, 7
	s_mov_b32 s18, exec_lo
	v_and_b32_sdwa v104, v0, v1 dst_sel:DWORD dst_unused:UNUSED_PAD src0_sel:WORD_1 src1_sel:DWORD
	v_lshrrev_b32_e32 v1, 3, v2
	v_cmpx_gt_u32_e32 8, v2
; %bb.446:                              ;   in Loop: Header=BB222_10 Depth=1
	v_ffbh_u32_e32 v1, v104
	v_min_u32_e32 v1, 32, v1
	v_subrev_nc_u32_e32 v2, 28, v1
	v_sub_nc_u32_e32 v1, 29, v1
	v_lshlrev_b64 v[2:3], v2, v[104:105]
	v_and_b32_e32 v104, 7, v2
; %bb.447:                              ;   in Loop: Header=BB222_10 Depth=1
	s_or_b32 exec_lo, exec_lo, s18
	v_mov_b32_e32 v2, 24
	v_lshlrev_b32_e32 v3, 20, v104
	v_lshl_add_u32 v1, v1, 23, 0x3c000000
	v_lshlrev_b32_sdwa v2, v2, v0 dst_sel:DWORD dst_unused:UNUSED_PAD src0_sel:DWORD src1_sel:WORD_1
	v_and_b32_e32 v2, 0x80000000, v2
	v_or3_b32 v104, v3, v2, v1
	v_mov_b32_e32 v44, v104
	v_mov_b32_e32 v45, v105
.LBB222_448:                            ;   in Loop: Header=BB222_10 Depth=1
	s_or_b32 exec_lo, exec_lo, s17
.LBB222_449:                            ;   in Loop: Header=BB222_10 Depth=1
	s_or_b32 exec_lo, exec_lo, s15
.LBB222_450:                            ;   in Loop: Header=BB222_10 Depth=1
	s_or_b32 exec_lo, exec_lo, s13
	s_mov_b32 s13, exec_lo
	v_cmpx_lt_u32_e32 0xffffff, v0
	s_cbranch_execz .LBB222_458
; %bb.451:                              ;   in Loop: Header=BB222_10 Depth=1
	v_mov_b32_e32 v96, v105
	v_cmp_ne_u32_sdwa s5, v0, v117 src0_sel:BYTE_3 src1_sel:DWORD
	v_mov_b32_e32 v90, v96
	v_mov_b32_e32 v91, v97
	s_and_saveexec_b32 s15, s5
	s_cbranch_execz .LBB222_457
; %bb.452:                              ;   in Loop: Header=BB222_10 Depth=1
	v_mov_b32_e32 v86, v105
	v_mov_b32_e32 v91, v87
	v_bfe_u32 v2, v0, 24, 7
	s_mov_b32 s17, exec_lo
	v_mov_b32_e32 v90, v86
	v_cmpx_ne_u32_e32 0x7f, v2
	s_cbranch_execz .LBB222_456
; %bb.453:                              ;   in Loop: Header=BB222_10 Depth=1
	v_mov_b32_e32 v1, 7
	s_mov_b32 s18, exec_lo
	v_and_b32_sdwa v104, v0, v1 dst_sel:DWORD dst_unused:UNUSED_PAD src0_sel:BYTE_3 src1_sel:DWORD
	v_lshrrev_b32_e32 v1, 3, v2
	v_cmpx_gt_u32_e32 8, v2
; %bb.454:                              ;   in Loop: Header=BB222_10 Depth=1
	v_ffbh_u32_e32 v1, v104
	v_min_u32_e32 v1, 32, v1
	v_subrev_nc_u32_e32 v2, 28, v1
	v_sub_nc_u32_e32 v1, 29, v1
	v_lshlrev_b64 v[2:3], v2, v[104:105]
	v_and_b32_e32 v104, 7, v2
; %bb.455:                              ;   in Loop: Header=BB222_10 Depth=1
	s_or_b32 exec_lo, exec_lo, s18
	v_mov_b32_e32 v2, 24
	v_lshl_add_u32 v1, v1, 23, 0x3c000000
	v_mov_b32_e32 v90, v105
	v_lshlrev_b32_sdwa v0, v2, v0 dst_sel:DWORD dst_unused:UNUSED_PAD src0_sel:DWORD src1_sel:BYTE_3
	v_lshlrev_b32_e32 v2, 20, v104
	v_and_b32_e32 v0, 0x80000000, v0
	v_or3_b32 v91, v2, v0, v1
.LBB222_456:                            ;   in Loop: Header=BB222_10 Depth=1
	s_or_b32 exec_lo, exec_lo, s17
.LBB222_457:                            ;   in Loop: Header=BB222_10 Depth=1
	s_or_b32 exec_lo, exec_lo, s15
.LBB222_458:                            ;   in Loop: Header=BB222_10 Depth=1
	s_or_b32 exec_lo, exec_lo, s13
	flat_load_dword v0, v[100:101] offset:1544
	v_mov_b32_e32 v122, 0
	v_mov_b32_e32 v114, 0
	;; [unrolled: 1-line block ×4, first 2 shown]
	s_waitcnt vmcnt(0) lgkmcnt(0)
	v_cmp_ne_u16_sdwa s5, v0, v105 src0_sel:BYTE_0 src1_sel:DWORD
	s_and_saveexec_b32 s13, s5
	s_cbranch_execz .LBB222_466
; %bb.459:                              ;   in Loop: Header=BB222_10 Depth=1
	v_bfrev_b32_e32 v114, 1
	v_mov_b32_e32 v115, 0
	v_cmp_ne_u16_sdwa s5, v0, v117 src0_sel:BYTE_0 src1_sel:DWORD
	s_and_saveexec_b32 s15, s5
	s_cbranch_execz .LBB222_465
; %bb.460:                              ;   in Loop: Header=BB222_10 Depth=1
	v_mov_b32_e32 v114, 0x7f800001
	v_and_b32_e32 v2, 0x7f, v0
	v_mov_b32_e32 v115, 0
	s_mov_b32 s17, exec_lo
	v_cmpx_ne_u32_e32 0x7f, v2
	s_cbranch_execz .LBB222_464
; %bb.461:                              ;   in Loop: Header=BB222_10 Depth=1
	v_and_b32_e32 v104, 7, v0
	v_lshrrev_b32_e32 v1, 3, v2
	s_mov_b32 s18, exec_lo
	v_cmpx_gt_u32_e32 8, v2
; %bb.462:                              ;   in Loop: Header=BB222_10 Depth=1
	v_ffbh_u32_e32 v1, v104
	v_min_u32_e32 v1, 32, v1
	v_subrev_nc_u32_e32 v2, 28, v1
	v_sub_nc_u32_e32 v1, 29, v1
	v_lshlrev_b64 v[2:3], v2, v[104:105]
	v_and_b32_e32 v104, 7, v2
; %bb.463:                              ;   in Loop: Header=BB222_10 Depth=1
	s_or_b32 exec_lo, exec_lo, s18
	v_lshlrev_b32_e32 v2, 24, v0
	v_lshlrev_b32_e32 v3, 20, v104
	v_lshl_add_u32 v1, v1, 23, 0x3c000000
	v_and_b32_e32 v2, 0x80000000, v2
	v_or3_b32 v104, v3, v2, v1
	v_mov_b32_e32 v115, v105
	v_mov_b32_e32 v114, v104
.LBB222_464:                            ;   in Loop: Header=BB222_10 Depth=1
	s_or_b32 exec_lo, exec_lo, s17
.LBB222_465:                            ;   in Loop: Header=BB222_10 Depth=1
	s_or_b32 exec_lo, exec_lo, s15
.LBB222_466:                            ;   in Loop: Header=BB222_10 Depth=1
	s_or_b32 exec_lo, exec_lo, s13
	v_cmp_ne_u16_sdwa s5, v0, v105 src0_sel:BYTE_1 src1_sel:DWORD
	s_and_saveexec_b32 s13, s5
	s_cbranch_execz .LBB222_474
; %bb.467:                              ;   in Loop: Header=BB222_10 Depth=1
	v_mov_b32_e32 v96, v105
	v_mov_b32_e32 v123, v97
	v_cmp_ne_u16_sdwa s5, v0, v117 src0_sel:BYTE_1 src1_sel:DWORD
	v_mov_b32_e32 v122, v96
	s_and_saveexec_b32 s15, s5
	s_cbranch_execz .LBB222_473
; %bb.468:                              ;   in Loop: Header=BB222_10 Depth=1
	v_mov_b32_e32 v1, 0xffff
	v_mov_b32_e32 v86, v105
	v_mov_b32_e32 v123, v87
	s_mov_b32 s17, exec_lo
	v_and_b32_sdwa v1, v1, v0 dst_sel:DWORD dst_unused:UNUSED_PAD src0_sel:DWORD src1_sel:BYTE_1
	v_mov_b32_e32 v122, v86
	v_and_b32_e32 v2, 0x7f, v1
	v_cmpx_ne_u32_e32 0x7f, v2
	s_cbranch_execz .LBB222_472
; %bb.469:                              ;   in Loop: Header=BB222_10 Depth=1
	v_and_b32_e32 v104, 7, v1
	v_lshrrev_b32_e32 v1, 3, v2
	s_mov_b32 s18, exec_lo
	v_cmpx_gt_u32_e32 8, v2
; %bb.470:                              ;   in Loop: Header=BB222_10 Depth=1
	v_ffbh_u32_e32 v1, v104
	v_min_u32_e32 v1, 32, v1
	v_subrev_nc_u32_e32 v2, 28, v1
	v_sub_nc_u32_e32 v1, 29, v1
	v_lshlrev_b64 v[2:3], v2, v[104:105]
	v_and_b32_e32 v104, 7, v2
; %bb.471:                              ;   in Loop: Header=BB222_10 Depth=1
	s_or_b32 exec_lo, exec_lo, s18
	v_lshlrev_b32_e32 v2, 16, v0
	v_lshlrev_b32_e32 v3, 20, v104
	v_lshl_add_u32 v1, v1, 23, 0x3c000000
	v_mov_b32_e32 v122, v105
	v_and_b32_e32 v2, 0x80000000, v2
	v_or3_b32 v123, v3, v2, v1
.LBB222_472:                            ;   in Loop: Header=BB222_10 Depth=1
	s_or_b32 exec_lo, exec_lo, s17
.LBB222_473:                            ;   in Loop: Header=BB222_10 Depth=1
	s_or_b32 exec_lo, exec_lo, s15
.LBB222_474:                            ;   in Loop: Header=BB222_10 Depth=1
	s_or_b32 exec_lo, exec_lo, s13
	v_mov_b32_e32 v20, 0
	v_mov_b32_e32 v16, 0
	v_and_b32_sdwa v1, v0, v6 dst_sel:DWORD dst_unused:UNUSED_PAD src0_sel:WORD_1 src1_sel:DWORD
	v_mov_b32_e32 v21, 0
	v_mov_b32_e32 v17, 0
	s_mov_b32 s13, exec_lo
	v_cmpx_ne_u16_e32 0, v1
	s_cbranch_execz .LBB222_482
; %bb.475:                              ;   in Loop: Header=BB222_10 Depth=1
	v_bfrev_b32_e32 v16, 1
	v_mov_b32_e32 v17, 0
	s_mov_b32 s15, exec_lo
	v_cmpx_ne_u16_e32 0x80, v1
	s_cbranch_execz .LBB222_481
; %bb.476:                              ;   in Loop: Header=BB222_10 Depth=1
	v_mov_b32_e32 v16, 0x7f800001
	v_bfe_u32 v2, v0, 16, 7
	v_mov_b32_e32 v17, 0
	s_mov_b32 s17, exec_lo
	v_cmpx_ne_u32_e32 0x7f, v2
	s_cbranch_execz .LBB222_480
; %bb.477:                              ;   in Loop: Header=BB222_10 Depth=1
	v_mov_b32_e32 v1, 7
	s_mov_b32 s18, exec_lo
	v_and_b32_sdwa v104, v0, v1 dst_sel:DWORD dst_unused:UNUSED_PAD src0_sel:WORD_1 src1_sel:DWORD
	v_lshrrev_b32_e32 v1, 3, v2
	v_cmpx_gt_u32_e32 8, v2
; %bb.478:                              ;   in Loop: Header=BB222_10 Depth=1
	v_ffbh_u32_e32 v1, v104
	v_min_u32_e32 v1, 32, v1
	v_subrev_nc_u32_e32 v2, 28, v1
	v_sub_nc_u32_e32 v1, 29, v1
	v_lshlrev_b64 v[2:3], v2, v[104:105]
	v_and_b32_e32 v104, 7, v2
; %bb.479:                              ;   in Loop: Header=BB222_10 Depth=1
	s_or_b32 exec_lo, exec_lo, s18
	v_mov_b32_e32 v2, 24
	v_lshlrev_b32_e32 v3, 20, v104
	v_lshl_add_u32 v1, v1, 23, 0x3c000000
	v_lshlrev_b32_sdwa v2, v2, v0 dst_sel:DWORD dst_unused:UNUSED_PAD src0_sel:DWORD src1_sel:WORD_1
	v_and_b32_e32 v2, 0x80000000, v2
	v_or3_b32 v104, v3, v2, v1
	v_mov_b32_e32 v16, v104
	v_mov_b32_e32 v17, v105
.LBB222_480:                            ;   in Loop: Header=BB222_10 Depth=1
	s_or_b32 exec_lo, exec_lo, s17
.LBB222_481:                            ;   in Loop: Header=BB222_10 Depth=1
	s_or_b32 exec_lo, exec_lo, s15
.LBB222_482:                            ;   in Loop: Header=BB222_10 Depth=1
	s_or_b32 exec_lo, exec_lo, s13
	s_mov_b32 s13, exec_lo
	v_cmpx_lt_u32_e32 0xffffff, v0
	s_cbranch_execz .LBB222_490
; %bb.483:                              ;   in Loop: Header=BB222_10 Depth=1
	v_mov_b32_e32 v96, v105
	v_cmp_ne_u32_sdwa s5, v0, v117 src0_sel:BYTE_3 src1_sel:DWORD
	v_mov_b32_e32 v20, v96
	v_mov_b32_e32 v21, v97
	s_and_saveexec_b32 s15, s5
	s_cbranch_execz .LBB222_489
; %bb.484:                              ;   in Loop: Header=BB222_10 Depth=1
	v_mov_b32_e32 v86, v105
	v_bfe_u32 v2, v0, 24, 7
	s_mov_b32 s17, exec_lo
	v_mov_b32_e32 v20, v86
	v_mov_b32_e32 v21, v87
	v_cmpx_ne_u32_e32 0x7f, v2
	s_cbranch_execz .LBB222_488
; %bb.485:                              ;   in Loop: Header=BB222_10 Depth=1
	v_mov_b32_e32 v1, 7
	s_mov_b32 s18, exec_lo
	v_and_b32_sdwa v104, v0, v1 dst_sel:DWORD dst_unused:UNUSED_PAD src0_sel:BYTE_3 src1_sel:DWORD
	v_lshrrev_b32_e32 v1, 3, v2
	v_cmpx_gt_u32_e32 8, v2
; %bb.486:                              ;   in Loop: Header=BB222_10 Depth=1
	v_ffbh_u32_e32 v1, v104
	v_min_u32_e32 v1, 32, v1
	v_subrev_nc_u32_e32 v2, 28, v1
	v_sub_nc_u32_e32 v1, 29, v1
	v_lshlrev_b64 v[2:3], v2, v[104:105]
	v_and_b32_e32 v104, 7, v2
; %bb.487:                              ;   in Loop: Header=BB222_10 Depth=1
	s_or_b32 exec_lo, exec_lo, s18
	v_mov_b32_e32 v2, 24
	v_lshl_add_u32 v1, v1, 23, 0x3c000000
	v_mov_b32_e32 v20, v105
	v_lshlrev_b32_sdwa v0, v2, v0 dst_sel:DWORD dst_unused:UNUSED_PAD src0_sel:DWORD src1_sel:BYTE_3
	v_lshlrev_b32_e32 v2, 20, v104
	v_and_b32_e32 v0, 0x80000000, v0
	v_or3_b32 v21, v2, v0, v1
.LBB222_488:                            ;   in Loop: Header=BB222_10 Depth=1
	s_or_b32 exec_lo, exec_lo, s17
.LBB222_489:                            ;   in Loop: Header=BB222_10 Depth=1
	s_or_b32 exec_lo, exec_lo, s15
.LBB222_490:                            ;   in Loop: Header=BB222_10 Depth=1
	s_or_b32 exec_lo, exec_lo, s13
	flat_load_dword v2, v[100:101] offset:1548
	v_mov_b32_e32 v7, 0
	v_mov_b32_e32 v0, 0
	v_mov_b32_e32 v8, 0
	v_mov_b32_e32 v1, 0
	s_waitcnt vmcnt(0) lgkmcnt(0)
	v_cmp_ne_u16_sdwa s5, v2, v105 src0_sel:BYTE_0 src1_sel:DWORD
	s_and_saveexec_b32 s13, s5
	s_cbranch_execz .LBB222_498
; %bb.491:                              ;   in Loop: Header=BB222_10 Depth=1
	v_bfrev_b32_e32 v0, 1
	v_mov_b32_e32 v1, 0
	v_cmp_ne_u16_sdwa s5, v2, v117 src0_sel:BYTE_0 src1_sel:DWORD
	s_and_saveexec_b32 s15, s5
	s_cbranch_execz .LBB222_497
; %bb.492:                              ;   in Loop: Header=BB222_10 Depth=1
	v_mov_b32_e32 v0, 0x7f800001
	v_and_b32_e32 v3, 0x7f, v2
	v_mov_b32_e32 v1, 0
	s_mov_b32 s17, exec_lo
	v_cmpx_ne_u32_e32 0x7f, v3
	s_cbranch_execz .LBB222_496
; %bb.493:                              ;   in Loop: Header=BB222_10 Depth=1
	v_and_b32_e32 v104, 7, v2
	v_lshrrev_b32_e32 v0, 3, v3
	s_mov_b32 s18, exec_lo
	v_cmpx_gt_u32_e32 8, v3
; %bb.494:                              ;   in Loop: Header=BB222_10 Depth=1
	v_ffbh_u32_e32 v0, v104
	v_min_u32_e32 v0, 32, v0
	v_subrev_nc_u32_e32 v1, 28, v0
	v_sub_nc_u32_e32 v0, 29, v0
	v_lshlrev_b64 v[3:4], v1, v[104:105]
	v_and_b32_e32 v104, 7, v3
; %bb.495:                              ;   in Loop: Header=BB222_10 Depth=1
	s_or_b32 exec_lo, exec_lo, s18
	v_lshlrev_b32_e32 v1, 24, v2
	v_lshlrev_b32_e32 v3, 20, v104
	v_lshl_add_u32 v0, v0, 23, 0x3c000000
	v_and_b32_e32 v1, 0x80000000, v1
	v_or3_b32 v104, v3, v1, v0
	v_mov_b32_e32 v0, v104
	v_mov_b32_e32 v1, v105
.LBB222_496:                            ;   in Loop: Header=BB222_10 Depth=1
	s_or_b32 exec_lo, exec_lo, s17
.LBB222_497:                            ;   in Loop: Header=BB222_10 Depth=1
	s_or_b32 exec_lo, exec_lo, s15
.LBB222_498:                            ;   in Loop: Header=BB222_10 Depth=1
	s_or_b32 exec_lo, exec_lo, s13
	v_cmp_ne_u16_sdwa s5, v2, v105 src0_sel:BYTE_1 src1_sel:DWORD
	s_and_saveexec_b32 s13, s5
	s_cbranch_execz .LBB222_506
; %bb.499:                              ;   in Loop: Header=BB222_10 Depth=1
	v_mov_b32_e32 v96, v105
	v_cmp_ne_u16_sdwa s5, v2, v117 src0_sel:BYTE_1 src1_sel:DWORD
	v_mov_b32_e32 v7, v96
	v_mov_b32_e32 v8, v97
	s_and_saveexec_b32 s15, s5
	s_cbranch_execz .LBB222_505
; %bb.500:                              ;   in Loop: Header=BB222_10 Depth=1
	v_mov_b32_e32 v3, 0xffff
	v_mov_b32_e32 v86, v105
	s_mov_b32 s17, exec_lo
	v_and_b32_sdwa v3, v3, v2 dst_sel:DWORD dst_unused:UNUSED_PAD src0_sel:DWORD src1_sel:BYTE_1
	v_mov_b32_e32 v7, v86
	v_mov_b32_e32 v8, v87
	v_and_b32_e32 v4, 0x7f, v3
	v_cmpx_ne_u32_e32 0x7f, v4
	s_cbranch_execz .LBB222_504
; %bb.501:                              ;   in Loop: Header=BB222_10 Depth=1
	v_and_b32_e32 v104, 7, v3
	v_lshrrev_b32_e32 v3, 3, v4
	s_mov_b32 s18, exec_lo
	v_cmpx_gt_u32_e32 8, v4
; %bb.502:                              ;   in Loop: Header=BB222_10 Depth=1
	v_ffbh_u32_e32 v3, v104
	v_min_u32_e32 v3, 32, v3
	v_subrev_nc_u32_e32 v4, 28, v3
	v_sub_nc_u32_e32 v3, 29, v3
	v_lshlrev_b64 v[4:5], v4, v[104:105]
	v_and_b32_e32 v104, 7, v4
; %bb.503:                              ;   in Loop: Header=BB222_10 Depth=1
	s_or_b32 exec_lo, exec_lo, s18
	v_lshlrev_b32_e32 v4, 16, v2
	v_lshlrev_b32_e32 v5, 20, v104
	v_lshl_add_u32 v3, v3, 23, 0x3c000000
	v_mov_b32_e32 v7, v105
	v_and_b32_e32 v4, 0x80000000, v4
	v_or3_b32 v8, v5, v4, v3
.LBB222_504:                            ;   in Loop: Header=BB222_10 Depth=1
	s_or_b32 exec_lo, exec_lo, s17
.LBB222_505:                            ;   in Loop: Header=BB222_10 Depth=1
	s_or_b32 exec_lo, exec_lo, s15
.LBB222_506:                            ;   in Loop: Header=BB222_10 Depth=1
	s_or_b32 exec_lo, exec_lo, s13
	v_mov_b32_e32 v124, 0
	v_mov_b32_e32 v126, 0
	v_and_b32_sdwa v3, v2, v6 dst_sel:DWORD dst_unused:UNUSED_PAD src0_sel:WORD_1 src1_sel:DWORD
	v_mov_b32_e32 v125, 0
	v_mov_b32_e32 v127, 0
	s_mov_b32 s13, exec_lo
	v_cmpx_ne_u16_e32 0, v3
	s_cbranch_execz .LBB222_514
; %bb.507:                              ;   in Loop: Header=BB222_10 Depth=1
	v_bfrev_b32_e32 v126, 1
	v_mov_b32_e32 v127, 0
	s_mov_b32 s15, exec_lo
	v_cmpx_ne_u16_e32 0x80, v3
	s_cbranch_execz .LBB222_513
; %bb.508:                              ;   in Loop: Header=BB222_10 Depth=1
	v_mov_b32_e32 v126, 0x7f800001
	v_bfe_u32 v4, v2, 16, 7
	v_mov_b32_e32 v127, 0
	s_mov_b32 s17, exec_lo
	v_cmpx_ne_u32_e32 0x7f, v4
	s_cbranch_execz .LBB222_512
; %bb.509:                              ;   in Loop: Header=BB222_10 Depth=1
	v_mov_b32_e32 v3, 7
	s_mov_b32 s18, exec_lo
	v_and_b32_sdwa v104, v2, v3 dst_sel:DWORD dst_unused:UNUSED_PAD src0_sel:WORD_1 src1_sel:DWORD
	v_lshrrev_b32_e32 v3, 3, v4
	v_cmpx_gt_u32_e32 8, v4
; %bb.510:                              ;   in Loop: Header=BB222_10 Depth=1
	v_ffbh_u32_e32 v3, v104
	v_min_u32_e32 v3, 32, v3
	v_subrev_nc_u32_e32 v4, 28, v3
	v_sub_nc_u32_e32 v3, 29, v3
	v_lshlrev_b64 v[4:5], v4, v[104:105]
	v_and_b32_e32 v104, 7, v4
; %bb.511:                              ;   in Loop: Header=BB222_10 Depth=1
	s_or_b32 exec_lo, exec_lo, s18
	v_mov_b32_e32 v4, 24
	v_lshlrev_b32_e32 v5, 20, v104
	v_lshl_add_u32 v3, v3, 23, 0x3c000000
	v_lshlrev_b32_sdwa v4, v4, v2 dst_sel:DWORD dst_unused:UNUSED_PAD src0_sel:DWORD src1_sel:WORD_1
	v_and_b32_e32 v4, 0x80000000, v4
	v_or3_b32 v104, v5, v4, v3
	v_mov_b32_e32 v127, v105
	v_mov_b32_e32 v126, v104
.LBB222_512:                            ;   in Loop: Header=BB222_10 Depth=1
	s_or_b32 exec_lo, exec_lo, s17
.LBB222_513:                            ;   in Loop: Header=BB222_10 Depth=1
	s_or_b32 exec_lo, exec_lo, s15
.LBB222_514:                            ;   in Loop: Header=BB222_10 Depth=1
	s_or_b32 exec_lo, exec_lo, s13
	s_mov_b32 s13, exec_lo
	v_cmpx_lt_u32_e32 0xffffff, v2
	s_cbranch_execz .LBB222_522
; %bb.515:                              ;   in Loop: Header=BB222_10 Depth=1
	v_mov_b32_e32 v96, v105
	v_mov_b32_e32 v125, v97
	v_cmp_ne_u32_sdwa s5, v2, v117 src0_sel:BYTE_3 src1_sel:DWORD
	v_mov_b32_e32 v124, v96
	s_and_saveexec_b32 s15, s5
	s_cbranch_execz .LBB222_521
; %bb.516:                              ;   in Loop: Header=BB222_10 Depth=1
	v_mov_b32_e32 v86, v105
	v_mov_b32_e32 v125, v87
	v_bfe_u32 v4, v2, 24, 7
	s_mov_b32 s17, exec_lo
	v_mov_b32_e32 v124, v86
	v_cmpx_ne_u32_e32 0x7f, v4
	s_cbranch_execz .LBB222_520
; %bb.517:                              ;   in Loop: Header=BB222_10 Depth=1
	v_mov_b32_e32 v3, 7
	s_mov_b32 s18, exec_lo
	v_and_b32_sdwa v104, v2, v3 dst_sel:DWORD dst_unused:UNUSED_PAD src0_sel:BYTE_3 src1_sel:DWORD
	v_lshrrev_b32_e32 v3, 3, v4
	v_cmpx_gt_u32_e32 8, v4
; %bb.518:                              ;   in Loop: Header=BB222_10 Depth=1
	v_ffbh_u32_e32 v3, v104
	v_min_u32_e32 v3, 32, v3
	v_subrev_nc_u32_e32 v4, 28, v3
	v_sub_nc_u32_e32 v3, 29, v3
	v_lshlrev_b64 v[4:5], v4, v[104:105]
	v_and_b32_e32 v104, 7, v4
; %bb.519:                              ;   in Loop: Header=BB222_10 Depth=1
	s_or_b32 exec_lo, exec_lo, s18
	v_mov_b32_e32 v4, 24
	v_lshl_add_u32 v3, v3, 23, 0x3c000000
	v_mov_b32_e32 v124, v105
	v_lshlrev_b32_sdwa v2, v4, v2 dst_sel:DWORD dst_unused:UNUSED_PAD src0_sel:DWORD src1_sel:BYTE_3
	v_lshlrev_b32_e32 v4, 20, v104
	v_and_b32_e32 v2, 0x80000000, v2
	v_or3_b32 v125, v4, v2, v3
.LBB222_520:                            ;   in Loop: Header=BB222_10 Depth=1
	s_or_b32 exec_lo, exec_lo, s17
.LBB222_521:                            ;   in Loop: Header=BB222_10 Depth=1
	s_or_b32 exec_lo, exec_lo, s15
.LBB222_522:                            ;   in Loop: Header=BB222_10 Depth=1
	s_or_b32 exec_lo, exec_lo, s13
	v_add_co_u32 v18, s5, 0x800, v100
	v_add_co_ci_u32_e64 v19, null, 0, v101, s5
	v_mov_b32_e32 v22, 0
	v_mov_b32_e32 v100, 0
	;; [unrolled: 1-line block ×3, first 2 shown]
	flat_load_dword v2, v[18:19]
	v_mov_b32_e32 v101, 0
	s_waitcnt vmcnt(0) lgkmcnt(0)
	v_cmp_ne_u16_sdwa s5, v2, v105 src0_sel:BYTE_0 src1_sel:DWORD
	s_and_saveexec_b32 s13, s5
	s_cbranch_execz .LBB222_530
; %bb.523:                              ;   in Loop: Header=BB222_10 Depth=1
	v_bfrev_b32_e32 v100, 1
	v_mov_b32_e32 v101, 0
	v_cmp_ne_u16_sdwa s5, v2, v117 src0_sel:BYTE_0 src1_sel:DWORD
	s_and_saveexec_b32 s15, s5
	s_cbranch_execz .LBB222_529
; %bb.524:                              ;   in Loop: Header=BB222_10 Depth=1
	v_mov_b32_e32 v100, 0x7f800001
	v_and_b32_e32 v4, 0x7f, v2
	v_mov_b32_e32 v101, 0
	s_mov_b32 s17, exec_lo
	v_cmpx_ne_u32_e32 0x7f, v4
	s_cbranch_execz .LBB222_528
; %bb.525:                              ;   in Loop: Header=BB222_10 Depth=1
	v_and_b32_e32 v104, 7, v2
	v_lshrrev_b32_e32 v3, 3, v4
	s_mov_b32 s18, exec_lo
	v_cmpx_gt_u32_e32 8, v4
; %bb.526:                              ;   in Loop: Header=BB222_10 Depth=1
	v_ffbh_u32_e32 v3, v104
	v_min_u32_e32 v3, 32, v3
	v_subrev_nc_u32_e32 v4, 28, v3
	v_sub_nc_u32_e32 v3, 29, v3
	v_lshlrev_b64 v[4:5], v4, v[104:105]
	v_and_b32_e32 v104, 7, v4
; %bb.527:                              ;   in Loop: Header=BB222_10 Depth=1
	s_or_b32 exec_lo, exec_lo, s18
	v_lshlrev_b32_e32 v4, 24, v2
	v_lshlrev_b32_e32 v5, 20, v104
	v_lshl_add_u32 v3, v3, 23, 0x3c000000
	v_and_b32_e32 v4, 0x80000000, v4
	v_or3_b32 v104, v5, v4, v3
	v_mov_b32_e32 v100, v104
	v_mov_b32_e32 v101, v105
.LBB222_528:                            ;   in Loop: Header=BB222_10 Depth=1
	s_or_b32 exec_lo, exec_lo, s17
.LBB222_529:                            ;   in Loop: Header=BB222_10 Depth=1
	s_or_b32 exec_lo, exec_lo, s15
.LBB222_530:                            ;   in Loop: Header=BB222_10 Depth=1
	s_or_b32 exec_lo, exec_lo, s13
	v_cmp_ne_u16_sdwa s5, v2, v105 src0_sel:BYTE_1 src1_sel:DWORD
	s_and_saveexec_b32 s13, s5
	s_cbranch_execz .LBB222_538
; %bb.531:                              ;   in Loop: Header=BB222_10 Depth=1
	v_mov_b32_e32 v96, v105
	v_cmp_ne_u16_sdwa s5, v2, v117 src0_sel:BYTE_1 src1_sel:DWORD
	v_mov_b32_e32 v22, v96
	v_mov_b32_e32 v23, v97
	s_and_saveexec_b32 s15, s5
	s_cbranch_execz .LBB222_537
; %bb.532:                              ;   in Loop: Header=BB222_10 Depth=1
	v_mov_b32_e32 v3, 0xffff
	v_mov_b32_e32 v86, v105
	s_mov_b32 s17, exec_lo
	v_and_b32_sdwa v3, v3, v2 dst_sel:DWORD dst_unused:UNUSED_PAD src0_sel:DWORD src1_sel:BYTE_1
	v_mov_b32_e32 v22, v86
	v_mov_b32_e32 v23, v87
	v_and_b32_e32 v4, 0x7f, v3
	v_cmpx_ne_u32_e32 0x7f, v4
	s_cbranch_execz .LBB222_536
; %bb.533:                              ;   in Loop: Header=BB222_10 Depth=1
	v_and_b32_e32 v104, 7, v3
	v_lshrrev_b32_e32 v3, 3, v4
	s_mov_b32 s18, exec_lo
	v_cmpx_gt_u32_e32 8, v4
; %bb.534:                              ;   in Loop: Header=BB222_10 Depth=1
	v_ffbh_u32_e32 v3, v104
	v_min_u32_e32 v3, 32, v3
	v_subrev_nc_u32_e32 v4, 28, v3
	v_sub_nc_u32_e32 v3, 29, v3
	v_lshlrev_b64 v[4:5], v4, v[104:105]
	v_and_b32_e32 v104, 7, v4
; %bb.535:                              ;   in Loop: Header=BB222_10 Depth=1
	s_or_b32 exec_lo, exec_lo, s18
	v_lshlrev_b32_e32 v4, 16, v2
	v_lshlrev_b32_e32 v5, 20, v104
	v_lshl_add_u32 v3, v3, 23, 0x3c000000
	v_mov_b32_e32 v22, v105
	v_and_b32_e32 v4, 0x80000000, v4
	v_or3_b32 v23, v5, v4, v3
.LBB222_536:                            ;   in Loop: Header=BB222_10 Depth=1
	s_or_b32 exec_lo, exec_lo, s17
.LBB222_537:                            ;   in Loop: Header=BB222_10 Depth=1
	s_or_b32 exec_lo, exec_lo, s15
.LBB222_538:                            ;   in Loop: Header=BB222_10 Depth=1
	s_or_b32 exec_lo, exec_lo, s13
	v_mov_b32_e32 v10, 0
	v_mov_b32_e32 v4, 0
	v_and_b32_sdwa v3, v2, v6 dst_sel:DWORD dst_unused:UNUSED_PAD src0_sel:WORD_1 src1_sel:DWORD
	v_mov_b32_e32 v11, 0
	v_mov_b32_e32 v5, 0
	s_mov_b32 s13, exec_lo
	v_cmpx_ne_u16_e32 0, v3
	s_cbranch_execz .LBB222_546
; %bb.539:                              ;   in Loop: Header=BB222_10 Depth=1
	v_bfrev_b32_e32 v4, 1
	v_mov_b32_e32 v5, 0
	s_mov_b32 s15, exec_lo
	v_cmpx_ne_u16_e32 0x80, v3
	s_cbranch_execz .LBB222_545
; %bb.540:                              ;   in Loop: Header=BB222_10 Depth=1
	v_mov_b32_e32 v4, 0x7f800001
	v_bfe_u32 v12, v2, 16, 7
	v_mov_b32_e32 v5, 0
	s_mov_b32 s17, exec_lo
	v_cmpx_ne_u32_e32 0x7f, v12
	s_cbranch_execz .LBB222_544
; %bb.541:                              ;   in Loop: Header=BB222_10 Depth=1
	v_mov_b32_e32 v3, 7
	s_mov_b32 s18, exec_lo
	v_and_b32_sdwa v104, v2, v3 dst_sel:DWORD dst_unused:UNUSED_PAD src0_sel:WORD_1 src1_sel:DWORD
	v_lshrrev_b32_e32 v3, 3, v12
	v_cmpx_gt_u32_e32 8, v12
; %bb.542:                              ;   in Loop: Header=BB222_10 Depth=1
	v_ffbh_u32_e32 v3, v104
	v_min_u32_e32 v3, 32, v3
	v_subrev_nc_u32_e32 v4, 28, v3
	v_sub_nc_u32_e32 v3, 29, v3
	v_lshlrev_b64 v[4:5], v4, v[104:105]
	v_and_b32_e32 v104, 7, v4
; %bb.543:                              ;   in Loop: Header=BB222_10 Depth=1
	s_or_b32 exec_lo, exec_lo, s18
	v_mov_b32_e32 v4, 24
	v_lshlrev_b32_e32 v5, 20, v104
	v_lshl_add_u32 v3, v3, 23, 0x3c000000
	v_lshlrev_b32_sdwa v4, v4, v2 dst_sel:DWORD dst_unused:UNUSED_PAD src0_sel:DWORD src1_sel:WORD_1
	v_and_b32_e32 v4, 0x80000000, v4
	v_or3_b32 v104, v5, v4, v3
	v_mov_b32_e32 v4, v104
	v_mov_b32_e32 v5, v105
.LBB222_544:                            ;   in Loop: Header=BB222_10 Depth=1
	s_or_b32 exec_lo, exec_lo, s17
.LBB222_545:                            ;   in Loop: Header=BB222_10 Depth=1
	s_or_b32 exec_lo, exec_lo, s15
.LBB222_546:                            ;   in Loop: Header=BB222_10 Depth=1
	s_or_b32 exec_lo, exec_lo, s13
	s_mov_b32 s13, exec_lo
	v_cmpx_lt_u32_e32 0xffffff, v2
	s_cbranch_execz .LBB222_554
; %bb.547:                              ;   in Loop: Header=BB222_10 Depth=1
	v_mov_b32_e32 v96, v105
	v_cmp_ne_u32_sdwa s5, v2, v117 src0_sel:BYTE_3 src1_sel:DWORD
	v_mov_b32_e32 v10, v96
	v_mov_b32_e32 v11, v97
	s_and_saveexec_b32 s15, s5
	s_cbranch_execz .LBB222_553
; %bb.548:                              ;   in Loop: Header=BB222_10 Depth=1
	v_mov_b32_e32 v86, v105
	v_bfe_u32 v12, v2, 24, 7
	s_mov_b32 s17, exec_lo
	v_mov_b32_e32 v10, v86
	v_mov_b32_e32 v11, v87
	v_cmpx_ne_u32_e32 0x7f, v12
	s_cbranch_execz .LBB222_552
; %bb.549:                              ;   in Loop: Header=BB222_10 Depth=1
	v_mov_b32_e32 v3, 7
	s_mov_b32 s18, exec_lo
	v_and_b32_sdwa v104, v2, v3 dst_sel:DWORD dst_unused:UNUSED_PAD src0_sel:BYTE_3 src1_sel:DWORD
	v_lshrrev_b32_e32 v3, 3, v12
	v_cmpx_gt_u32_e32 8, v12
; %bb.550:                              ;   in Loop: Header=BB222_10 Depth=1
	v_ffbh_u32_e32 v3, v104
	v_min_u32_e32 v3, 32, v3
	v_subrev_nc_u32_e32 v10, 28, v3
	v_sub_nc_u32_e32 v3, 29, v3
	v_lshlrev_b64 v[10:11], v10, v[104:105]
	v_and_b32_e32 v104, 7, v10
; %bb.551:                              ;   in Loop: Header=BB222_10 Depth=1
	s_or_b32 exec_lo, exec_lo, s18
	v_mov_b32_e32 v10, 24
	v_lshl_add_u32 v3, v3, 23, 0x3c000000
	v_lshlrev_b32_sdwa v2, v10, v2 dst_sel:DWORD dst_unused:UNUSED_PAD src0_sel:DWORD src1_sel:BYTE_3
	v_lshlrev_b32_e32 v10, 20, v104
	v_and_b32_e32 v2, 0x80000000, v2
	v_or3_b32 v11, v10, v2, v3
	v_mov_b32_e32 v10, v105
.LBB222_552:                            ;   in Loop: Header=BB222_10 Depth=1
	s_or_b32 exec_lo, exec_lo, s17
.LBB222_553:                            ;   in Loop: Header=BB222_10 Depth=1
	s_or_b32 exec_lo, exec_lo, s15
.LBB222_554:                            ;   in Loop: Header=BB222_10 Depth=1
	s_or_b32 exec_lo, exec_lo, s13
	flat_load_dword v14, v[18:19] offset:4
	v_mov_b32_e32 v12, 0
	v_mov_b32_e32 v106, 0
	;; [unrolled: 1-line block ×4, first 2 shown]
	s_waitcnt vmcnt(0) lgkmcnt(0)
	v_cmp_ne_u16_sdwa s5, v14, v105 src0_sel:BYTE_0 src1_sel:DWORD
	s_and_saveexec_b32 s13, s5
	s_cbranch_execz .LBB222_562
; %bb.555:                              ;   in Loop: Header=BB222_10 Depth=1
	v_bfrev_b32_e32 v106, 1
	v_mov_b32_e32 v107, 0
	v_cmp_ne_u16_sdwa s5, v14, v117 src0_sel:BYTE_0 src1_sel:DWORD
	s_and_saveexec_b32 s15, s5
	s_cbranch_execz .LBB222_561
; %bb.556:                              ;   in Loop: Header=BB222_10 Depth=1
	v_mov_b32_e32 v106, 0x7f800001
	v_and_b32_e32 v3, 0x7f, v14
	v_mov_b32_e32 v107, 0
	s_mov_b32 s17, exec_lo
	v_cmpx_ne_u32_e32 0x7f, v3
	s_cbranch_execz .LBB222_560
; %bb.557:                              ;   in Loop: Header=BB222_10 Depth=1
	v_and_b32_e32 v104, 7, v14
	v_lshrrev_b32_e32 v2, 3, v3
	s_mov_b32 s18, exec_lo
	v_cmpx_gt_u32_e32 8, v3
; %bb.558:                              ;   in Loop: Header=BB222_10 Depth=1
	v_ffbh_u32_e32 v2, v104
	v_min_u32_e32 v2, 32, v2
	v_subrev_nc_u32_e32 v3, 28, v2
	v_sub_nc_u32_e32 v2, 29, v2
	v_lshlrev_b64 v[24:25], v3, v[104:105]
	v_and_b32_e32 v104, 7, v24
; %bb.559:                              ;   in Loop: Header=BB222_10 Depth=1
	s_or_b32 exec_lo, exec_lo, s18
	v_lshlrev_b32_e32 v3, 24, v14
	v_lshlrev_b32_e32 v15, 20, v104
	v_lshl_add_u32 v2, v2, 23, 0x3c000000
	v_and_b32_e32 v3, 0x80000000, v3
	v_or3_b32 v104, v15, v3, v2
	v_mov_b32_e32 v107, v105
	v_mov_b32_e32 v106, v104
.LBB222_560:                            ;   in Loop: Header=BB222_10 Depth=1
	s_or_b32 exec_lo, exec_lo, s17
.LBB222_561:                            ;   in Loop: Header=BB222_10 Depth=1
	s_or_b32 exec_lo, exec_lo, s15
.LBB222_562:                            ;   in Loop: Header=BB222_10 Depth=1
	s_or_b32 exec_lo, exec_lo, s13
	v_cmp_ne_u16_sdwa s5, v14, v105 src0_sel:BYTE_1 src1_sel:DWORD
	s_and_saveexec_b32 s13, s5
	s_cbranch_execz .LBB222_570
; %bb.563:                              ;   in Loop: Header=BB222_10 Depth=1
	v_mov_b32_e32 v96, v105
	v_cmp_ne_u16_sdwa s5, v14, v117 src0_sel:BYTE_1 src1_sel:DWORD
	v_mov_b32_e32 v12, v96
	v_mov_b32_e32 v13, v97
	s_and_saveexec_b32 s15, s5
	s_cbranch_execz .LBB222_569
; %bb.564:                              ;   in Loop: Header=BB222_10 Depth=1
	v_mov_b32_e32 v2, 0xffff
	v_mov_b32_e32 v86, v105
	s_mov_b32 s17, exec_lo
	v_and_b32_sdwa v2, v2, v14 dst_sel:DWORD dst_unused:UNUSED_PAD src0_sel:DWORD src1_sel:BYTE_1
	v_mov_b32_e32 v12, v86
	v_mov_b32_e32 v13, v87
	v_and_b32_e32 v3, 0x7f, v2
	v_cmpx_ne_u32_e32 0x7f, v3
	s_cbranch_execz .LBB222_568
; %bb.565:                              ;   in Loop: Header=BB222_10 Depth=1
	v_and_b32_e32 v104, 7, v2
	v_lshrrev_b32_e32 v2, 3, v3
	s_mov_b32 s18, exec_lo
	v_cmpx_gt_u32_e32 8, v3
; %bb.566:                              ;   in Loop: Header=BB222_10 Depth=1
	v_ffbh_u32_e32 v2, v104
	v_min_u32_e32 v2, 32, v2
	v_subrev_nc_u32_e32 v3, 28, v2
	v_sub_nc_u32_e32 v2, 29, v2
	v_lshlrev_b64 v[12:13], v3, v[104:105]
	v_and_b32_e32 v104, 7, v12
; %bb.567:                              ;   in Loop: Header=BB222_10 Depth=1
	s_or_b32 exec_lo, exec_lo, s18
	v_lshlrev_b32_e32 v3, 16, v14
	v_lshlrev_b32_e32 v12, 20, v104
	v_lshl_add_u32 v2, v2, 23, 0x3c000000
	v_and_b32_e32 v3, 0x80000000, v3
	v_or3_b32 v13, v12, v3, v2
	v_mov_b32_e32 v12, v105
.LBB222_568:                            ;   in Loop: Header=BB222_10 Depth=1
	s_or_b32 exec_lo, exec_lo, s17
.LBB222_569:                            ;   in Loop: Header=BB222_10 Depth=1
	s_or_b32 exec_lo, exec_lo, s15
.LBB222_570:                            ;   in Loop: Header=BB222_10 Depth=1
	s_or_b32 exec_lo, exec_lo, s13
	v_mov_b32_e32 v26, 0
	v_mov_b32_e32 v2, 0
	v_and_b32_sdwa v15, v14, v6 dst_sel:DWORD dst_unused:UNUSED_PAD src0_sel:WORD_1 src1_sel:DWORD
	v_mov_b32_e32 v27, 0
	v_mov_b32_e32 v3, 0
	s_mov_b32 s13, exec_lo
	v_cmpx_ne_u16_e32 0, v15
	s_cbranch_execz .LBB222_578
; %bb.571:                              ;   in Loop: Header=BB222_10 Depth=1
	v_bfrev_b32_e32 v2, 1
	v_mov_b32_e32 v3, 0
	s_mov_b32 s15, exec_lo
	v_cmpx_ne_u16_e32 0x80, v15
	s_cbranch_execz .LBB222_577
; %bb.572:                              ;   in Loop: Header=BB222_10 Depth=1
	v_mov_b32_e32 v2, 0x7f800001
	v_bfe_u32 v15, v14, 16, 7
	v_mov_b32_e32 v3, 0
	s_mov_b32 s17, exec_lo
	v_cmpx_ne_u32_e32 0x7f, v15
	s_cbranch_execz .LBB222_576
; %bb.573:                              ;   in Loop: Header=BB222_10 Depth=1
	v_mov_b32_e32 v2, 7
	s_mov_b32 s18, exec_lo
	v_and_b32_sdwa v104, v14, v2 dst_sel:DWORD dst_unused:UNUSED_PAD src0_sel:WORD_1 src1_sel:DWORD
	v_lshrrev_b32_e32 v2, 3, v15
	v_cmpx_gt_u32_e32 8, v15
; %bb.574:                              ;   in Loop: Header=BB222_10 Depth=1
	v_ffbh_u32_e32 v2, v104
	v_min_u32_e32 v2, 32, v2
	v_subrev_nc_u32_e32 v3, 28, v2
	v_sub_nc_u32_e32 v2, 29, v2
	v_lshlrev_b64 v[24:25], v3, v[104:105]
	v_and_b32_e32 v104, 7, v24
; %bb.575:                              ;   in Loop: Header=BB222_10 Depth=1
	s_or_b32 exec_lo, exec_lo, s18
	v_mov_b32_e32 v3, 24
	v_lshlrev_b32_e32 v15, 20, v104
	v_lshl_add_u32 v2, v2, 23, 0x3c000000
	v_lshlrev_b32_sdwa v3, v3, v14 dst_sel:DWORD dst_unused:UNUSED_PAD src0_sel:DWORD src1_sel:WORD_1
	v_and_b32_e32 v3, 0x80000000, v3
	v_or3_b32 v104, v15, v3, v2
	v_mov_b32_e32 v2, v104
	v_mov_b32_e32 v3, v105
.LBB222_576:                            ;   in Loop: Header=BB222_10 Depth=1
	s_or_b32 exec_lo, exec_lo, s17
.LBB222_577:                            ;   in Loop: Header=BB222_10 Depth=1
	s_or_b32 exec_lo, exec_lo, s15
.LBB222_578:                            ;   in Loop: Header=BB222_10 Depth=1
	s_or_b32 exec_lo, exec_lo, s13
	s_mov_b32 s13, exec_lo
	v_cmpx_lt_u32_e32 0xffffff, v14
	s_cbranch_execz .LBB222_586
; %bb.579:                              ;   in Loop: Header=BB222_10 Depth=1
	v_mov_b32_e32 v96, v105
	v_cmp_ne_u32_sdwa s5, v14, v117 src0_sel:BYTE_3 src1_sel:DWORD
	v_mov_b32_e32 v26, v96
	v_mov_b32_e32 v27, v97
	s_and_saveexec_b32 s15, s5
	s_cbranch_execz .LBB222_585
; %bb.580:                              ;   in Loop: Header=BB222_10 Depth=1
	v_mov_b32_e32 v86, v105
	v_bfe_u32 v24, v14, 24, 7
	s_mov_b32 s17, exec_lo
	v_mov_b32_e32 v26, v86
	v_mov_b32_e32 v27, v87
	v_cmpx_ne_u32_e32 0x7f, v24
	s_cbranch_execz .LBB222_584
; %bb.581:                              ;   in Loop: Header=BB222_10 Depth=1
	v_mov_b32_e32 v15, 7
	s_mov_b32 s18, exec_lo
	v_and_b32_sdwa v104, v14, v15 dst_sel:DWORD dst_unused:UNUSED_PAD src0_sel:BYTE_3 src1_sel:DWORD
	v_lshrrev_b32_e32 v15, 3, v24
	v_cmpx_gt_u32_e32 8, v24
; %bb.582:                              ;   in Loop: Header=BB222_10 Depth=1
	v_ffbh_u32_e32 v15, v104
	v_min_u32_e32 v15, 32, v15
	v_subrev_nc_u32_e32 v24, 28, v15
	v_sub_nc_u32_e32 v15, 29, v15
	v_lshlrev_b64 v[24:25], v24, v[104:105]
	v_and_b32_e32 v104, 7, v24
; %bb.583:                              ;   in Loop: Header=BB222_10 Depth=1
	s_or_b32 exec_lo, exec_lo, s18
	v_mov_b32_e32 v24, 24
	v_lshl_add_u32 v15, v15, 23, 0x3c000000
	v_mov_b32_e32 v26, v105
	v_lshlrev_b32_sdwa v14, v24, v14 dst_sel:DWORD dst_unused:UNUSED_PAD src0_sel:DWORD src1_sel:BYTE_3
	v_lshlrev_b32_e32 v24, 20, v104
	v_and_b32_e32 v14, 0x80000000, v14
	v_or3_b32 v27, v24, v14, v15
.LBB222_584:                            ;   in Loop: Header=BB222_10 Depth=1
	s_or_b32 exec_lo, exec_lo, s17
.LBB222_585:                            ;   in Loop: Header=BB222_10 Depth=1
	s_or_b32 exec_lo, exec_lo, s15
.LBB222_586:                            ;   in Loop: Header=BB222_10 Depth=1
	s_or_b32 exec_lo, exec_lo, s13
	flat_load_dword v30, v[18:19] offset:8
	v_mov_b32_e32 v14, 0
	v_mov_b32_e32 v28, 0
	;; [unrolled: 1-line block ×4, first 2 shown]
	s_waitcnt vmcnt(0) lgkmcnt(0)
	v_cmp_ne_u16_sdwa s5, v30, v105 src0_sel:BYTE_0 src1_sel:DWORD
	s_and_saveexec_b32 s13, s5
	s_cbranch_execz .LBB222_594
; %bb.587:                              ;   in Loop: Header=BB222_10 Depth=1
	v_bfrev_b32_e32 v28, 1
	v_mov_b32_e32 v29, 0
	v_cmp_ne_u16_sdwa s5, v30, v117 src0_sel:BYTE_0 src1_sel:DWORD
	s_and_saveexec_b32 s15, s5
	s_cbranch_execz .LBB222_593
; %bb.588:                              ;   in Loop: Header=BB222_10 Depth=1
	v_mov_b32_e32 v28, 0x7f800001
	v_and_b32_e32 v25, 0x7f, v30
	v_mov_b32_e32 v29, 0
	s_mov_b32 s17, exec_lo
	v_cmpx_ne_u32_e32 0x7f, v25
	s_cbranch_execz .LBB222_592
; %bb.589:                              ;   in Loop: Header=BB222_10 Depth=1
	v_and_b32_e32 v104, 7, v30
	v_lshrrev_b32_e32 v24, 3, v25
	s_mov_b32 s18, exec_lo
	v_cmpx_gt_u32_e32 8, v25
; %bb.590:                              ;   in Loop: Header=BB222_10 Depth=1
	v_ffbh_u32_e32 v24, v104
	v_min_u32_e32 v24, 32, v24
	v_subrev_nc_u32_e32 v25, 28, v24
	v_sub_nc_u32_e32 v24, 29, v24
	v_lshlrev_b64 v[28:29], v25, v[104:105]
	v_and_b32_e32 v104, 7, v28
; %bb.591:                              ;   in Loop: Header=BB222_10 Depth=1
	s_or_b32 exec_lo, exec_lo, s18
	v_lshlrev_b32_e32 v25, 24, v30
	v_lshlrev_b32_e32 v28, 20, v104
	v_lshl_add_u32 v24, v24, 23, 0x3c000000
	v_and_b32_e32 v25, 0x80000000, v25
	v_or3_b32 v104, v28, v25, v24
	v_mov_b32_e32 v28, v104
	v_mov_b32_e32 v29, v105
.LBB222_592:                            ;   in Loop: Header=BB222_10 Depth=1
	s_or_b32 exec_lo, exec_lo, s17
.LBB222_593:                            ;   in Loop: Header=BB222_10 Depth=1
	s_or_b32 exec_lo, exec_lo, s15
.LBB222_594:                            ;   in Loop: Header=BB222_10 Depth=1
	s_or_b32 exec_lo, exec_lo, s13
	v_cmp_ne_u16_sdwa s5, v30, v105 src0_sel:BYTE_1 src1_sel:DWORD
	s_and_saveexec_b32 s13, s5
	s_cbranch_execz .LBB222_602
; %bb.595:                              ;   in Loop: Header=BB222_10 Depth=1
	v_mov_b32_e32 v96, v105
	v_cmp_ne_u16_sdwa s5, v30, v117 src0_sel:BYTE_1 src1_sel:DWORD
	v_mov_b32_e32 v14, v96
	v_mov_b32_e32 v15, v97
	s_and_saveexec_b32 s15, s5
	s_cbranch_execz .LBB222_601
; %bb.596:                              ;   in Loop: Header=BB222_10 Depth=1
	v_mov_b32_e32 v14, 0xffff
	v_mov_b32_e32 v86, v105
	s_mov_b32 s17, exec_lo
	v_and_b32_sdwa v25, v14, v30 dst_sel:DWORD dst_unused:UNUSED_PAD src0_sel:DWORD src1_sel:BYTE_1
	v_mov_b32_e32 v14, v86
	v_mov_b32_e32 v15, v87
	v_and_b32_e32 v24, 0x7f, v25
	v_cmpx_ne_u32_e32 0x7f, v24
	s_cbranch_execz .LBB222_600
; %bb.597:                              ;   in Loop: Header=BB222_10 Depth=1
	v_and_b32_e32 v104, 7, v25
	v_lshrrev_b32_e32 v14, 3, v24
	s_mov_b32 s18, exec_lo
	v_cmpx_gt_u32_e32 8, v24
; %bb.598:                              ;   in Loop: Header=BB222_10 Depth=1
	v_ffbh_u32_e32 v14, v104
	v_min_u32_e32 v14, 32, v14
	v_subrev_nc_u32_e32 v15, 28, v14
	v_sub_nc_u32_e32 v14, 29, v14
	v_lshlrev_b64 v[24:25], v15, v[104:105]
	v_and_b32_e32 v104, 7, v24
; %bb.599:                              ;   in Loop: Header=BB222_10 Depth=1
	s_or_b32 exec_lo, exec_lo, s18
	v_lshlrev_b32_e32 v15, 16, v30
	v_lshlrev_b32_e32 v24, 20, v104
	v_lshl_add_u32 v14, v14, 23, 0x3c000000
	v_and_b32_e32 v15, 0x80000000, v15
	v_or3_b32 v15, v24, v15, v14
	v_mov_b32_e32 v14, v105
.LBB222_600:                            ;   in Loop: Header=BB222_10 Depth=1
	s_or_b32 exec_lo, exec_lo, s17
.LBB222_601:                            ;   in Loop: Header=BB222_10 Depth=1
	s_or_b32 exec_lo, exec_lo, s15
.LBB222_602:                            ;   in Loop: Header=BB222_10 Depth=1
	s_or_b32 exec_lo, exec_lo, s13
	v_mov_b32_e32 v34, 0
	v_mov_b32_e32 v24, 0
	v_and_b32_sdwa v31, v30, v6 dst_sel:DWORD dst_unused:UNUSED_PAD src0_sel:WORD_1 src1_sel:DWORD
	v_mov_b32_e32 v35, 0
	v_mov_b32_e32 v25, 0
	s_mov_b32 s13, exec_lo
	v_cmpx_ne_u16_e32 0, v31
	s_cbranch_execz .LBB222_610
; %bb.603:                              ;   in Loop: Header=BB222_10 Depth=1
	v_bfrev_b32_e32 v24, 1
	v_mov_b32_e32 v25, 0
	s_mov_b32 s15, exec_lo
	v_cmpx_ne_u16_e32 0x80, v31
	s_cbranch_execz .LBB222_609
; %bb.604:                              ;   in Loop: Header=BB222_10 Depth=1
	v_mov_b32_e32 v24, 0x7f800001
	v_bfe_u32 v31, v30, 16, 7
	v_mov_b32_e32 v25, 0
	s_mov_b32 s17, exec_lo
	v_cmpx_ne_u32_e32 0x7f, v31
	s_cbranch_execz .LBB222_608
; %bb.605:                              ;   in Loop: Header=BB222_10 Depth=1
	v_mov_b32_e32 v24, 7
	s_mov_b32 s18, exec_lo
	v_and_b32_sdwa v104, v30, v24 dst_sel:DWORD dst_unused:UNUSED_PAD src0_sel:WORD_1 src1_sel:DWORD
	v_lshrrev_b32_e32 v24, 3, v31
	v_cmpx_gt_u32_e32 8, v31
; %bb.606:                              ;   in Loop: Header=BB222_10 Depth=1
	v_ffbh_u32_e32 v24, v104
	v_min_u32_e32 v24, 32, v24
	v_subrev_nc_u32_e32 v25, 28, v24
	v_sub_nc_u32_e32 v24, 29, v24
	v_lshlrev_b64 v[31:32], v25, v[104:105]
	v_and_b32_e32 v104, 7, v31
; %bb.607:                              ;   in Loop: Header=BB222_10 Depth=1
	s_or_b32 exec_lo, exec_lo, s18
	v_mov_b32_e32 v25, 24
	v_lshlrev_b32_e32 v31, 20, v104
	v_lshl_add_u32 v24, v24, 23, 0x3c000000
	v_lshlrev_b32_sdwa v25, v25, v30 dst_sel:DWORD dst_unused:UNUSED_PAD src0_sel:DWORD src1_sel:WORD_1
	v_and_b32_e32 v25, 0x80000000, v25
	v_or3_b32 v104, v31, v25, v24
	v_mov_b32_e32 v24, v104
	v_mov_b32_e32 v25, v105
.LBB222_608:                            ;   in Loop: Header=BB222_10 Depth=1
	s_or_b32 exec_lo, exec_lo, s17
.LBB222_609:                            ;   in Loop: Header=BB222_10 Depth=1
	s_or_b32 exec_lo, exec_lo, s15
.LBB222_610:                            ;   in Loop: Header=BB222_10 Depth=1
	s_or_b32 exec_lo, exec_lo, s13
	s_mov_b32 s13, exec_lo
	v_cmpx_lt_u32_e32 0xffffff, v30
	s_cbranch_execz .LBB222_618
; %bb.611:                              ;   in Loop: Header=BB222_10 Depth=1
	v_mov_b32_e32 v96, v105
	v_cmp_ne_u32_sdwa s5, v30, v117 src0_sel:BYTE_3 src1_sel:DWORD
	v_mov_b32_e32 v34, v96
	v_mov_b32_e32 v35, v97
	s_and_saveexec_b32 s15, s5
	s_cbranch_execz .LBB222_617
; %bb.612:                              ;   in Loop: Header=BB222_10 Depth=1
	v_mov_b32_e32 v86, v105
	v_bfe_u32 v32, v30, 24, 7
	s_mov_b32 s17, exec_lo
	v_mov_b32_e32 v34, v86
	v_mov_b32_e32 v35, v87
	v_cmpx_ne_u32_e32 0x7f, v32
	s_cbranch_execz .LBB222_616
; %bb.613:                              ;   in Loop: Header=BB222_10 Depth=1
	v_mov_b32_e32 v31, 7
	s_mov_b32 s18, exec_lo
	v_and_b32_sdwa v104, v30, v31 dst_sel:DWORD dst_unused:UNUSED_PAD src0_sel:BYTE_3 src1_sel:DWORD
	v_lshrrev_b32_e32 v31, 3, v32
	v_cmpx_gt_u32_e32 8, v32
; %bb.614:                              ;   in Loop: Header=BB222_10 Depth=1
	v_ffbh_u32_e32 v31, v104
	v_min_u32_e32 v31, 32, v31
	v_subrev_nc_u32_e32 v32, 28, v31
	v_sub_nc_u32_e32 v31, 29, v31
	v_lshlrev_b64 v[32:33], v32, v[104:105]
	v_and_b32_e32 v104, 7, v32
; %bb.615:                              ;   in Loop: Header=BB222_10 Depth=1
	s_or_b32 exec_lo, exec_lo, s18
	v_mov_b32_e32 v32, 24
	v_lshl_add_u32 v31, v31, 23, 0x3c000000
	v_mov_b32_e32 v34, v105
	v_lshlrev_b32_sdwa v30, v32, v30 dst_sel:DWORD dst_unused:UNUSED_PAD src0_sel:DWORD src1_sel:BYTE_3
	v_lshlrev_b32_e32 v32, 20, v104
	v_and_b32_e32 v30, 0x80000000, v30
	v_or3_b32 v35, v32, v30, v31
.LBB222_616:                            ;   in Loop: Header=BB222_10 Depth=1
	s_or_b32 exec_lo, exec_lo, s17
.LBB222_617:                            ;   in Loop: Header=BB222_10 Depth=1
	s_or_b32 exec_lo, exec_lo, s15
.LBB222_618:                            ;   in Loop: Header=BB222_10 Depth=1
	s_or_b32 exec_lo, exec_lo, s13
	flat_load_dword v38, v[18:19] offset:12
	v_mov_b32_e32 v30, 0
	v_mov_b32_e32 v36, 0
	;; [unrolled: 1-line block ×4, first 2 shown]
	s_waitcnt vmcnt(0) lgkmcnt(0)
	v_cmp_ne_u16_sdwa s5, v38, v105 src0_sel:BYTE_0 src1_sel:DWORD
	s_and_saveexec_b32 s13, s5
	s_cbranch_execz .LBB222_626
; %bb.619:                              ;   in Loop: Header=BB222_10 Depth=1
	v_bfrev_b32_e32 v36, 1
	v_mov_b32_e32 v37, 0
	v_cmp_ne_u16_sdwa s5, v38, v117 src0_sel:BYTE_0 src1_sel:DWORD
	s_and_saveexec_b32 s15, s5
	s_cbranch_execz .LBB222_625
; %bb.620:                              ;   in Loop: Header=BB222_10 Depth=1
	v_mov_b32_e32 v36, 0x7f800001
	v_and_b32_e32 v33, 0x7f, v38
	v_mov_b32_e32 v37, 0
	s_mov_b32 s17, exec_lo
	v_cmpx_ne_u32_e32 0x7f, v33
	s_cbranch_execz .LBB222_624
; %bb.621:                              ;   in Loop: Header=BB222_10 Depth=1
	v_and_b32_e32 v104, 7, v38
	v_lshrrev_b32_e32 v32, 3, v33
	s_mov_b32 s18, exec_lo
	v_cmpx_gt_u32_e32 8, v33
; %bb.622:                              ;   in Loop: Header=BB222_10 Depth=1
	v_ffbh_u32_e32 v32, v104
	v_min_u32_e32 v32, 32, v32
	v_subrev_nc_u32_e32 v33, 28, v32
	v_sub_nc_u32_e32 v32, 29, v32
	v_lshlrev_b64 v[36:37], v33, v[104:105]
	v_and_b32_e32 v104, 7, v36
; %bb.623:                              ;   in Loop: Header=BB222_10 Depth=1
	s_or_b32 exec_lo, exec_lo, s18
	v_lshlrev_b32_e32 v33, 24, v38
	v_lshlrev_b32_e32 v36, 20, v104
	v_lshl_add_u32 v32, v32, 23, 0x3c000000
	v_and_b32_e32 v33, 0x80000000, v33
	v_or3_b32 v104, v36, v33, v32
	v_mov_b32_e32 v36, v104
	v_mov_b32_e32 v37, v105
.LBB222_624:                            ;   in Loop: Header=BB222_10 Depth=1
	s_or_b32 exec_lo, exec_lo, s17
.LBB222_625:                            ;   in Loop: Header=BB222_10 Depth=1
	s_or_b32 exec_lo, exec_lo, s15
.LBB222_626:                            ;   in Loop: Header=BB222_10 Depth=1
	s_or_b32 exec_lo, exec_lo, s13
	v_cmp_ne_u16_sdwa s5, v38, v105 src0_sel:BYTE_1 src1_sel:DWORD
	s_and_saveexec_b32 s13, s5
	s_cbranch_execz .LBB222_634
; %bb.627:                              ;   in Loop: Header=BB222_10 Depth=1
	v_mov_b32_e32 v96, v105
	v_cmp_ne_u16_sdwa s5, v38, v117 src0_sel:BYTE_1 src1_sel:DWORD
	v_mov_b32_e32 v30, v96
	v_mov_b32_e32 v31, v97
	s_and_saveexec_b32 s15, s5
	s_cbranch_execz .LBB222_633
; %bb.628:                              ;   in Loop: Header=BB222_10 Depth=1
	v_mov_b32_e32 v30, 0xffff
	v_mov_b32_e32 v86, v105
	s_mov_b32 s17, exec_lo
	v_and_b32_sdwa v33, v30, v38 dst_sel:DWORD dst_unused:UNUSED_PAD src0_sel:DWORD src1_sel:BYTE_1
	v_mov_b32_e32 v30, v86
	v_mov_b32_e32 v31, v87
	v_and_b32_e32 v32, 0x7f, v33
	v_cmpx_ne_u32_e32 0x7f, v32
	s_cbranch_execz .LBB222_632
; %bb.629:                              ;   in Loop: Header=BB222_10 Depth=1
	v_and_b32_e32 v104, 7, v33
	v_lshrrev_b32_e32 v30, 3, v32
	s_mov_b32 s18, exec_lo
	v_cmpx_gt_u32_e32 8, v32
; %bb.630:                              ;   in Loop: Header=BB222_10 Depth=1
	v_ffbh_u32_e32 v30, v104
	v_min_u32_e32 v30, 32, v30
	v_subrev_nc_u32_e32 v31, 28, v30
	v_sub_nc_u32_e32 v30, 29, v30
	v_lshlrev_b64 v[31:32], v31, v[104:105]
	v_and_b32_e32 v104, 7, v31
; %bb.631:                              ;   in Loop: Header=BB222_10 Depth=1
	s_or_b32 exec_lo, exec_lo, s18
	v_lshlrev_b32_e32 v31, 16, v38
	v_lshlrev_b32_e32 v32, 20, v104
	v_lshl_add_u32 v30, v30, 23, 0x3c000000
	v_and_b32_e32 v31, 0x80000000, v31
	v_or3_b32 v31, v32, v31, v30
	v_mov_b32_e32 v30, v105
.LBB222_632:                            ;   in Loop: Header=BB222_10 Depth=1
	s_or_b32 exec_lo, exec_lo, s17
.LBB222_633:                            ;   in Loop: Header=BB222_10 Depth=1
	s_or_b32 exec_lo, exec_lo, s15
.LBB222_634:                            ;   in Loop: Header=BB222_10 Depth=1
	s_or_b32 exec_lo, exec_lo, s13
	v_mov_b32_e32 v50, 0
	v_mov_b32_e32 v32, 0
	v_and_b32_sdwa v39, v38, v6 dst_sel:DWORD dst_unused:UNUSED_PAD src0_sel:WORD_1 src1_sel:DWORD
	v_mov_b32_e32 v51, 0
	v_mov_b32_e32 v33, 0
	s_mov_b32 s13, exec_lo
	v_cmpx_ne_u16_e32 0, v39
	s_cbranch_execz .LBB222_642
; %bb.635:                              ;   in Loop: Header=BB222_10 Depth=1
	v_bfrev_b32_e32 v32, 1
	v_mov_b32_e32 v33, 0
	s_mov_b32 s15, exec_lo
	v_cmpx_ne_u16_e32 0x80, v39
	s_cbranch_execz .LBB222_641
; %bb.636:                              ;   in Loop: Header=BB222_10 Depth=1
	v_mov_b32_e32 v32, 0x7f800001
	v_bfe_u32 v39, v38, 16, 7
	v_mov_b32_e32 v33, 0
	s_mov_b32 s17, exec_lo
	v_cmpx_ne_u32_e32 0x7f, v39
	s_cbranch_execz .LBB222_640
; %bb.637:                              ;   in Loop: Header=BB222_10 Depth=1
	v_mov_b32_e32 v32, 7
	s_mov_b32 s18, exec_lo
	v_and_b32_sdwa v104, v38, v32 dst_sel:DWORD dst_unused:UNUSED_PAD src0_sel:WORD_1 src1_sel:DWORD
	v_lshrrev_b32_e32 v32, 3, v39
	v_cmpx_gt_u32_e32 8, v39
; %bb.638:                              ;   in Loop: Header=BB222_10 Depth=1
	v_ffbh_u32_e32 v32, v104
	v_min_u32_e32 v32, 32, v32
	v_subrev_nc_u32_e32 v33, 28, v32
	v_sub_nc_u32_e32 v32, 29, v32
	v_lshlrev_b64 v[48:49], v33, v[104:105]
	v_and_b32_e32 v104, 7, v48
; %bb.639:                              ;   in Loop: Header=BB222_10 Depth=1
	s_or_b32 exec_lo, exec_lo, s18
	v_mov_b32_e32 v33, 24
	v_lshlrev_b32_e32 v39, 20, v104
	v_lshl_add_u32 v32, v32, 23, 0x3c000000
	v_lshlrev_b32_sdwa v33, v33, v38 dst_sel:DWORD dst_unused:UNUSED_PAD src0_sel:DWORD src1_sel:WORD_1
	v_and_b32_e32 v33, 0x80000000, v33
	v_or3_b32 v104, v39, v33, v32
	v_mov_b32_e32 v32, v104
	v_mov_b32_e32 v33, v105
.LBB222_640:                            ;   in Loop: Header=BB222_10 Depth=1
	s_or_b32 exec_lo, exec_lo, s17
.LBB222_641:                            ;   in Loop: Header=BB222_10 Depth=1
	s_or_b32 exec_lo, exec_lo, s15
.LBB222_642:                            ;   in Loop: Header=BB222_10 Depth=1
	s_or_b32 exec_lo, exec_lo, s13
	s_mov_b32 s13, exec_lo
	v_cmpx_lt_u32_e32 0xffffff, v38
	s_cbranch_execz .LBB222_650
; %bb.643:                              ;   in Loop: Header=BB222_10 Depth=1
	v_mov_b32_e32 v96, v105
	v_cmp_ne_u32_sdwa s5, v38, v117 src0_sel:BYTE_3 src1_sel:DWORD
	v_mov_b32_e32 v50, v96
	v_mov_b32_e32 v51, v97
	s_and_saveexec_b32 s15, s5
	s_cbranch_execz .LBB222_649
; %bb.644:                              ;   in Loop: Header=BB222_10 Depth=1
	v_mov_b32_e32 v86, v105
	v_bfe_u32 v48, v38, 24, 7
	s_mov_b32 s17, exec_lo
	v_mov_b32_e32 v50, v86
	v_mov_b32_e32 v51, v87
	v_cmpx_ne_u32_e32 0x7f, v48
	s_cbranch_execz .LBB222_648
; %bb.645:                              ;   in Loop: Header=BB222_10 Depth=1
	v_mov_b32_e32 v39, 7
	s_mov_b32 s18, exec_lo
	v_and_b32_sdwa v104, v38, v39 dst_sel:DWORD dst_unused:UNUSED_PAD src0_sel:BYTE_3 src1_sel:DWORD
	v_lshrrev_b32_e32 v39, 3, v48
	v_cmpx_gt_u32_e32 8, v48
; %bb.646:                              ;   in Loop: Header=BB222_10 Depth=1
	v_ffbh_u32_e32 v39, v104
	v_min_u32_e32 v39, 32, v39
	v_subrev_nc_u32_e32 v48, 28, v39
	v_sub_nc_u32_e32 v39, 29, v39
	v_lshlrev_b64 v[48:49], v48, v[104:105]
	v_and_b32_e32 v104, 7, v48
; %bb.647:                              ;   in Loop: Header=BB222_10 Depth=1
	s_or_b32 exec_lo, exec_lo, s18
	v_mov_b32_e32 v48, 24
	v_lshl_add_u32 v39, v39, 23, 0x3c000000
	v_mov_b32_e32 v50, v105
	v_lshlrev_b32_sdwa v38, v48, v38 dst_sel:DWORD dst_unused:UNUSED_PAD src0_sel:DWORD src1_sel:BYTE_3
	v_lshlrev_b32_e32 v48, 20, v104
	v_and_b32_e32 v38, 0x80000000, v38
	v_or3_b32 v51, v48, v38, v39
.LBB222_648:                            ;   in Loop: Header=BB222_10 Depth=1
	s_or_b32 exec_lo, exec_lo, s17
.LBB222_649:                            ;   in Loop: Header=BB222_10 Depth=1
	s_or_b32 exec_lo, exec_lo, s15
.LBB222_650:                            ;   in Loop: Header=BB222_10 Depth=1
	s_or_b32 exec_lo, exec_lo, s13
	flat_load_dword v54, v[18:19] offset:512
	v_mov_b32_e32 v38, 0
	v_mov_b32_e32 v52, 0
	;; [unrolled: 1-line block ×4, first 2 shown]
	s_waitcnt vmcnt(0) lgkmcnt(0)
	v_cmp_ne_u16_sdwa s5, v54, v105 src0_sel:BYTE_0 src1_sel:DWORD
	s_and_saveexec_b32 s13, s5
	s_cbranch_execz .LBB222_658
; %bb.651:                              ;   in Loop: Header=BB222_10 Depth=1
	v_bfrev_b32_e32 v52, 1
	v_mov_b32_e32 v53, 0
	v_cmp_ne_u16_sdwa s5, v54, v117 src0_sel:BYTE_0 src1_sel:DWORD
	s_and_saveexec_b32 s15, s5
	s_cbranch_execz .LBB222_657
; %bb.652:                              ;   in Loop: Header=BB222_10 Depth=1
	v_mov_b32_e32 v52, 0x7f800001
	v_and_b32_e32 v49, 0x7f, v54
	v_mov_b32_e32 v53, 0
	s_mov_b32 s17, exec_lo
	v_cmpx_ne_u32_e32 0x7f, v49
	s_cbranch_execz .LBB222_656
; %bb.653:                              ;   in Loop: Header=BB222_10 Depth=1
	v_and_b32_e32 v104, 7, v54
	v_lshrrev_b32_e32 v48, 3, v49
	s_mov_b32 s18, exec_lo
	v_cmpx_gt_u32_e32 8, v49
; %bb.654:                              ;   in Loop: Header=BB222_10 Depth=1
	v_ffbh_u32_e32 v48, v104
	v_min_u32_e32 v48, 32, v48
	v_subrev_nc_u32_e32 v49, 28, v48
	v_sub_nc_u32_e32 v48, 29, v48
	v_lshlrev_b64 v[52:53], v49, v[104:105]
	v_and_b32_e32 v104, 7, v52
; %bb.655:                              ;   in Loop: Header=BB222_10 Depth=1
	s_or_b32 exec_lo, exec_lo, s18
	v_lshlrev_b32_e32 v49, 24, v54
	v_lshlrev_b32_e32 v52, 20, v104
	v_lshl_add_u32 v48, v48, 23, 0x3c000000
	v_and_b32_e32 v49, 0x80000000, v49
	v_or3_b32 v104, v52, v49, v48
	v_mov_b32_e32 v52, v104
	v_mov_b32_e32 v53, v105
.LBB222_656:                            ;   in Loop: Header=BB222_10 Depth=1
	s_or_b32 exec_lo, exec_lo, s17
.LBB222_657:                            ;   in Loop: Header=BB222_10 Depth=1
	s_or_b32 exec_lo, exec_lo, s15
.LBB222_658:                            ;   in Loop: Header=BB222_10 Depth=1
	s_or_b32 exec_lo, exec_lo, s13
	v_cmp_ne_u16_sdwa s5, v54, v105 src0_sel:BYTE_1 src1_sel:DWORD
	s_and_saveexec_b32 s13, s5
	s_cbranch_execz .LBB222_666
; %bb.659:                              ;   in Loop: Header=BB222_10 Depth=1
	v_mov_b32_e32 v96, v105
	v_cmp_ne_u16_sdwa s5, v54, v117 src0_sel:BYTE_1 src1_sel:DWORD
	v_mov_b32_e32 v38, v96
	v_mov_b32_e32 v39, v97
	s_and_saveexec_b32 s15, s5
	s_cbranch_execz .LBB222_665
; %bb.660:                              ;   in Loop: Header=BB222_10 Depth=1
	v_mov_b32_e32 v38, 0xffff
	v_mov_b32_e32 v86, v105
	s_mov_b32 s17, exec_lo
	v_and_b32_sdwa v49, v38, v54 dst_sel:DWORD dst_unused:UNUSED_PAD src0_sel:DWORD src1_sel:BYTE_1
	v_mov_b32_e32 v38, v86
	v_mov_b32_e32 v39, v87
	v_and_b32_e32 v48, 0x7f, v49
	v_cmpx_ne_u32_e32 0x7f, v48
	s_cbranch_execz .LBB222_664
; %bb.661:                              ;   in Loop: Header=BB222_10 Depth=1
	v_and_b32_e32 v104, 7, v49
	v_lshrrev_b32_e32 v38, 3, v48
	s_mov_b32 s18, exec_lo
	v_cmpx_gt_u32_e32 8, v48
; %bb.662:                              ;   in Loop: Header=BB222_10 Depth=1
	v_ffbh_u32_e32 v38, v104
	v_min_u32_e32 v38, 32, v38
	v_subrev_nc_u32_e32 v39, 28, v38
	v_sub_nc_u32_e32 v38, 29, v38
	v_lshlrev_b64 v[48:49], v39, v[104:105]
	v_and_b32_e32 v104, 7, v48
; %bb.663:                              ;   in Loop: Header=BB222_10 Depth=1
	s_or_b32 exec_lo, exec_lo, s18
	v_lshlrev_b32_e32 v39, 16, v54
	v_lshlrev_b32_e32 v48, 20, v104
	v_lshl_add_u32 v38, v38, 23, 0x3c000000
	v_and_b32_e32 v39, 0x80000000, v39
	v_or3_b32 v39, v48, v39, v38
	v_mov_b32_e32 v38, v105
.LBB222_664:                            ;   in Loop: Header=BB222_10 Depth=1
	s_or_b32 exec_lo, exec_lo, s17
.LBB222_665:                            ;   in Loop: Header=BB222_10 Depth=1
	s_or_b32 exec_lo, exec_lo, s15
.LBB222_666:                            ;   in Loop: Header=BB222_10 Depth=1
	s_or_b32 exec_lo, exec_lo, s13
	v_mov_b32_e32 v66, 0
	v_mov_b32_e32 v48, 0
	v_and_b32_sdwa v55, v54, v6 dst_sel:DWORD dst_unused:UNUSED_PAD src0_sel:WORD_1 src1_sel:DWORD
	v_mov_b32_e32 v67, 0
	v_mov_b32_e32 v49, 0
	s_mov_b32 s13, exec_lo
	v_cmpx_ne_u16_e32 0, v55
	s_cbranch_execz .LBB222_674
; %bb.667:                              ;   in Loop: Header=BB222_10 Depth=1
	v_bfrev_b32_e32 v48, 1
	v_mov_b32_e32 v49, 0
	s_mov_b32 s15, exec_lo
	v_cmpx_ne_u16_e32 0x80, v55
	s_cbranch_execz .LBB222_673
; %bb.668:                              ;   in Loop: Header=BB222_10 Depth=1
	v_mov_b32_e32 v48, 0x7f800001
	v_bfe_u32 v55, v54, 16, 7
	v_mov_b32_e32 v49, 0
	s_mov_b32 s17, exec_lo
	v_cmpx_ne_u32_e32 0x7f, v55
	s_cbranch_execz .LBB222_672
; %bb.669:                              ;   in Loop: Header=BB222_10 Depth=1
	v_mov_b32_e32 v48, 7
	s_mov_b32 s18, exec_lo
	v_and_b32_sdwa v104, v54, v48 dst_sel:DWORD dst_unused:UNUSED_PAD src0_sel:WORD_1 src1_sel:DWORD
	v_lshrrev_b32_e32 v48, 3, v55
	v_cmpx_gt_u32_e32 8, v55
; %bb.670:                              ;   in Loop: Header=BB222_10 Depth=1
	v_ffbh_u32_e32 v48, v104
	v_min_u32_e32 v48, 32, v48
	v_subrev_nc_u32_e32 v49, 28, v48
	v_sub_nc_u32_e32 v48, 29, v48
	v_lshlrev_b64 v[64:65], v49, v[104:105]
	v_and_b32_e32 v104, 7, v64
; %bb.671:                              ;   in Loop: Header=BB222_10 Depth=1
	s_or_b32 exec_lo, exec_lo, s18
	v_mov_b32_e32 v49, 24
	v_lshlrev_b32_e32 v55, 20, v104
	v_lshl_add_u32 v48, v48, 23, 0x3c000000
	v_lshlrev_b32_sdwa v49, v49, v54 dst_sel:DWORD dst_unused:UNUSED_PAD src0_sel:DWORD src1_sel:WORD_1
	v_and_b32_e32 v49, 0x80000000, v49
	v_or3_b32 v104, v55, v49, v48
	v_mov_b32_e32 v48, v104
	v_mov_b32_e32 v49, v105
.LBB222_672:                            ;   in Loop: Header=BB222_10 Depth=1
	s_or_b32 exec_lo, exec_lo, s17
.LBB222_673:                            ;   in Loop: Header=BB222_10 Depth=1
	s_or_b32 exec_lo, exec_lo, s15
.LBB222_674:                            ;   in Loop: Header=BB222_10 Depth=1
	s_or_b32 exec_lo, exec_lo, s13
	s_mov_b32 s13, exec_lo
	v_cmpx_lt_u32_e32 0xffffff, v54
	s_cbranch_execz .LBB222_682
; %bb.675:                              ;   in Loop: Header=BB222_10 Depth=1
	v_mov_b32_e32 v96, v105
	v_cmp_ne_u32_sdwa s5, v54, v117 src0_sel:BYTE_3 src1_sel:DWORD
	v_mov_b32_e32 v66, v96
	v_mov_b32_e32 v67, v97
	s_and_saveexec_b32 s15, s5
	s_cbranch_execz .LBB222_681
; %bb.676:                              ;   in Loop: Header=BB222_10 Depth=1
	v_mov_b32_e32 v86, v105
	v_bfe_u32 v64, v54, 24, 7
	s_mov_b32 s17, exec_lo
	v_mov_b32_e32 v66, v86
	v_mov_b32_e32 v67, v87
	v_cmpx_ne_u32_e32 0x7f, v64
	s_cbranch_execz .LBB222_680
; %bb.677:                              ;   in Loop: Header=BB222_10 Depth=1
	v_mov_b32_e32 v55, 7
	s_mov_b32 s18, exec_lo
	v_and_b32_sdwa v104, v54, v55 dst_sel:DWORD dst_unused:UNUSED_PAD src0_sel:BYTE_3 src1_sel:DWORD
	v_lshrrev_b32_e32 v55, 3, v64
	v_cmpx_gt_u32_e32 8, v64
; %bb.678:                              ;   in Loop: Header=BB222_10 Depth=1
	v_ffbh_u32_e32 v55, v104
	v_min_u32_e32 v55, 32, v55
	v_subrev_nc_u32_e32 v64, 28, v55
	v_sub_nc_u32_e32 v55, 29, v55
	v_lshlrev_b64 v[64:65], v64, v[104:105]
	v_and_b32_e32 v104, 7, v64
; %bb.679:                              ;   in Loop: Header=BB222_10 Depth=1
	s_or_b32 exec_lo, exec_lo, s18
	v_mov_b32_e32 v64, 24
	v_lshl_add_u32 v55, v55, 23, 0x3c000000
	v_mov_b32_e32 v66, v105
	v_lshlrev_b32_sdwa v54, v64, v54 dst_sel:DWORD dst_unused:UNUSED_PAD src0_sel:DWORD src1_sel:BYTE_3
	v_lshlrev_b32_e32 v64, 20, v104
	v_and_b32_e32 v54, 0x80000000, v54
	v_or3_b32 v67, v64, v54, v55
.LBB222_680:                            ;   in Loop: Header=BB222_10 Depth=1
	s_or_b32 exec_lo, exec_lo, s17
.LBB222_681:                            ;   in Loop: Header=BB222_10 Depth=1
	s_or_b32 exec_lo, exec_lo, s15
.LBB222_682:                            ;   in Loop: Header=BB222_10 Depth=1
	s_or_b32 exec_lo, exec_lo, s13
	flat_load_dword v54, v[18:19] offset:516
	v_mov_b32_e32 v120, 0
	v_mov_b32_e32 v68, 0
	;; [unrolled: 1-line block ×4, first 2 shown]
	s_waitcnt vmcnt(0) lgkmcnt(0)
	v_cmp_ne_u16_sdwa s5, v54, v105 src0_sel:BYTE_0 src1_sel:DWORD
	s_and_saveexec_b32 s13, s5
	s_cbranch_execz .LBB222_690
; %bb.683:                              ;   in Loop: Header=BB222_10 Depth=1
	v_bfrev_b32_e32 v68, 1
	v_mov_b32_e32 v69, 0
	v_cmp_ne_u16_sdwa s5, v54, v117 src0_sel:BYTE_0 src1_sel:DWORD
	s_and_saveexec_b32 s15, s5
	s_cbranch_execz .LBB222_689
; %bb.684:                              ;   in Loop: Header=BB222_10 Depth=1
	v_mov_b32_e32 v68, 0x7f800001
	v_and_b32_e32 v64, 0x7f, v54
	v_mov_b32_e32 v69, 0
	s_mov_b32 s17, exec_lo
	v_cmpx_ne_u32_e32 0x7f, v64
	s_cbranch_execz .LBB222_688
; %bb.685:                              ;   in Loop: Header=BB222_10 Depth=1
	v_and_b32_e32 v104, 7, v54
	v_lshrrev_b32_e32 v55, 3, v64
	s_mov_b32 s18, exec_lo
	v_cmpx_gt_u32_e32 8, v64
; %bb.686:                              ;   in Loop: Header=BB222_10 Depth=1
	v_ffbh_u32_e32 v55, v104
	v_min_u32_e32 v55, 32, v55
	v_subrev_nc_u32_e32 v64, 28, v55
	v_sub_nc_u32_e32 v55, 29, v55
	v_lshlrev_b64 v[64:65], v64, v[104:105]
	v_and_b32_e32 v104, 7, v64
; %bb.687:                              ;   in Loop: Header=BB222_10 Depth=1
	s_or_b32 exec_lo, exec_lo, s18
	v_lshlrev_b32_e32 v64, 24, v54
	v_lshlrev_b32_e32 v65, 20, v104
	v_lshl_add_u32 v55, v55, 23, 0x3c000000
	v_and_b32_e32 v64, 0x80000000, v64
	v_or3_b32 v104, v65, v64, v55
	v_mov_b32_e32 v68, v104
	v_mov_b32_e32 v69, v105
.LBB222_688:                            ;   in Loop: Header=BB222_10 Depth=1
	s_or_b32 exec_lo, exec_lo, s17
.LBB222_689:                            ;   in Loop: Header=BB222_10 Depth=1
	s_or_b32 exec_lo, exec_lo, s15
.LBB222_690:                            ;   in Loop: Header=BB222_10 Depth=1
	s_or_b32 exec_lo, exec_lo, s13
	v_cmp_ne_u16_sdwa s5, v54, v105 src0_sel:BYTE_1 src1_sel:DWORD
	s_and_saveexec_b32 s13, s5
	s_cbranch_execz .LBB222_698
; %bb.691:                              ;   in Loop: Header=BB222_10 Depth=1
	v_mov_b32_e32 v96, v105
	v_mov_b32_e32 v121, v97
	v_cmp_ne_u16_sdwa s5, v54, v117 src0_sel:BYTE_1 src1_sel:DWORD
	v_mov_b32_e32 v120, v96
	s_and_saveexec_b32 s15, s5
	s_cbranch_execz .LBB222_697
; %bb.692:                              ;   in Loop: Header=BB222_10 Depth=1
	v_mov_b32_e32 v55, 0xffff
	v_mov_b32_e32 v86, v105
	;; [unrolled: 1-line block ×3, first 2 shown]
	s_mov_b32 s17, exec_lo
	v_and_b32_sdwa v55, v55, v54 dst_sel:DWORD dst_unused:UNUSED_PAD src0_sel:DWORD src1_sel:BYTE_1
	v_mov_b32_e32 v120, v86
	v_and_b32_e32 v64, 0x7f, v55
	v_cmpx_ne_u32_e32 0x7f, v64
	s_cbranch_execz .LBB222_696
; %bb.693:                              ;   in Loop: Header=BB222_10 Depth=1
	v_and_b32_e32 v104, 7, v55
	v_lshrrev_b32_e32 v55, 3, v64
	s_mov_b32 s18, exec_lo
	v_cmpx_gt_u32_e32 8, v64
; %bb.694:                              ;   in Loop: Header=BB222_10 Depth=1
	v_ffbh_u32_e32 v55, v104
	v_min_u32_e32 v55, 32, v55
	v_subrev_nc_u32_e32 v64, 28, v55
	v_sub_nc_u32_e32 v55, 29, v55
	v_lshlrev_b64 v[64:65], v64, v[104:105]
	v_and_b32_e32 v104, 7, v64
; %bb.695:                              ;   in Loop: Header=BB222_10 Depth=1
	s_or_b32 exec_lo, exec_lo, s18
	v_lshlrev_b32_e32 v64, 16, v54
	v_lshlrev_b32_e32 v65, 20, v104
	v_lshl_add_u32 v55, v55, 23, 0x3c000000
	v_mov_b32_e32 v120, v105
	v_and_b32_e32 v64, 0x80000000, v64
	v_or3_b32 v121, v65, v64, v55
.LBB222_696:                            ;   in Loop: Header=BB222_10 Depth=1
	s_or_b32 exec_lo, exec_lo, s17
.LBB222_697:                            ;   in Loop: Header=BB222_10 Depth=1
	s_or_b32 exec_lo, exec_lo, s15
.LBB222_698:                            ;   in Loop: Header=BB222_10 Depth=1
	s_or_b32 exec_lo, exec_lo, s13
	v_mov_b32_e32 v64, 0
	v_mov_b32_e32 v84, 0
	v_and_b32_sdwa v55, v54, v6 dst_sel:DWORD dst_unused:UNUSED_PAD src0_sel:WORD_1 src1_sel:DWORD
	v_mov_b32_e32 v65, 0
	v_mov_b32_e32 v85, 0
	s_mov_b32 s13, exec_lo
	v_cmpx_ne_u16_e32 0, v55
	s_cbranch_execz .LBB222_706
; %bb.699:                              ;   in Loop: Header=BB222_10 Depth=1
	v_bfrev_b32_e32 v84, 1
	v_mov_b32_e32 v85, 0
	s_mov_b32 s15, exec_lo
	v_cmpx_ne_u16_e32 0x80, v55
	s_cbranch_execz .LBB222_705
; %bb.700:                              ;   in Loop: Header=BB222_10 Depth=1
	v_mov_b32_e32 v84, 0x7f800001
	v_bfe_u32 v70, v54, 16, 7
	v_mov_b32_e32 v85, 0
	s_mov_b32 s17, exec_lo
	v_cmpx_ne_u32_e32 0x7f, v70
	s_cbranch_execz .LBB222_704
; %bb.701:                              ;   in Loop: Header=BB222_10 Depth=1
	v_mov_b32_e32 v55, 7
	s_mov_b32 s18, exec_lo
	v_and_b32_sdwa v104, v54, v55 dst_sel:DWORD dst_unused:UNUSED_PAD src0_sel:WORD_1 src1_sel:DWORD
	v_lshrrev_b32_e32 v55, 3, v70
	v_cmpx_gt_u32_e32 8, v70
; %bb.702:                              ;   in Loop: Header=BB222_10 Depth=1
	v_ffbh_u32_e32 v55, v104
	v_min_u32_e32 v55, 32, v55
	v_subrev_nc_u32_e32 v70, 28, v55
	v_sub_nc_u32_e32 v55, 29, v55
	v_lshlrev_b64 v[70:71], v70, v[104:105]
	v_and_b32_e32 v104, 7, v70
; %bb.703:                              ;   in Loop: Header=BB222_10 Depth=1
	s_or_b32 exec_lo, exec_lo, s18
	v_mov_b32_e32 v70, 24
	v_lshlrev_b32_e32 v71, 20, v104
	v_lshl_add_u32 v55, v55, 23, 0x3c000000
	v_lshlrev_b32_sdwa v70, v70, v54 dst_sel:DWORD dst_unused:UNUSED_PAD src0_sel:DWORD src1_sel:WORD_1
	v_and_b32_e32 v70, 0x80000000, v70
	v_or3_b32 v104, v71, v70, v55
	v_mov_b32_e32 v84, v104
	v_mov_b32_e32 v85, v105
.LBB222_704:                            ;   in Loop: Header=BB222_10 Depth=1
	s_or_b32 exec_lo, exec_lo, s17
.LBB222_705:                            ;   in Loop: Header=BB222_10 Depth=1
	s_or_b32 exec_lo, exec_lo, s15
.LBB222_706:                            ;   in Loop: Header=BB222_10 Depth=1
	s_or_b32 exec_lo, exec_lo, s13
	s_mov_b32 s13, exec_lo
	v_cmpx_lt_u32_e32 0xffffff, v54
	s_cbranch_execz .LBB222_714
; %bb.707:                              ;   in Loop: Header=BB222_10 Depth=1
	v_mov_b32_e32 v96, v105
	v_cmp_ne_u32_sdwa s5, v54, v117 src0_sel:BYTE_3 src1_sel:DWORD
	v_mov_b32_e32 v64, v96
	v_mov_b32_e32 v65, v97
	s_and_saveexec_b32 s15, s5
	s_cbranch_execz .LBB222_713
; %bb.708:                              ;   in Loop: Header=BB222_10 Depth=1
	v_mov_b32_e32 v86, v105
	v_bfe_u32 v70, v54, 24, 7
	s_mov_b32 s17, exec_lo
	v_mov_b32_e32 v64, v86
	v_mov_b32_e32 v65, v87
	v_cmpx_ne_u32_e32 0x7f, v70
	s_cbranch_execz .LBB222_712
; %bb.709:                              ;   in Loop: Header=BB222_10 Depth=1
	v_mov_b32_e32 v55, 7
	s_mov_b32 s18, exec_lo
	v_and_b32_sdwa v104, v54, v55 dst_sel:DWORD dst_unused:UNUSED_PAD src0_sel:BYTE_3 src1_sel:DWORD
	v_lshrrev_b32_e32 v55, 3, v70
	v_cmpx_gt_u32_e32 8, v70
; %bb.710:                              ;   in Loop: Header=BB222_10 Depth=1
	v_ffbh_u32_e32 v55, v104
	v_min_u32_e32 v55, 32, v55
	v_subrev_nc_u32_e32 v64, 28, v55
	v_sub_nc_u32_e32 v55, 29, v55
	v_lshlrev_b64 v[64:65], v64, v[104:105]
	v_and_b32_e32 v104, 7, v64
; %bb.711:                              ;   in Loop: Header=BB222_10 Depth=1
	s_or_b32 exec_lo, exec_lo, s18
	v_mov_b32_e32 v64, 24
	v_lshl_add_u32 v55, v55, 23, 0x3c000000
	v_lshlrev_b32_sdwa v54, v64, v54 dst_sel:DWORD dst_unused:UNUSED_PAD src0_sel:DWORD src1_sel:BYTE_3
	v_lshlrev_b32_e32 v64, 20, v104
	v_and_b32_e32 v54, 0x80000000, v54
	v_or3_b32 v65, v64, v54, v55
	v_mov_b32_e32 v64, v105
.LBB222_712:                            ;   in Loop: Header=BB222_10 Depth=1
	s_or_b32 exec_lo, exec_lo, s17
.LBB222_713:                            ;   in Loop: Header=BB222_10 Depth=1
	s_or_b32 exec_lo, exec_lo, s15
.LBB222_714:                            ;   in Loop: Header=BB222_10 Depth=1
	s_or_b32 exec_lo, exec_lo, s13
	flat_load_dword v54, v[18:19] offset:520
	v_mov_b32_e32 v70, 0
	v_mov_b32_e32 v98, 0
	;; [unrolled: 1-line block ×4, first 2 shown]
	s_waitcnt vmcnt(0) lgkmcnt(0)
	v_cmp_ne_u16_sdwa s5, v54, v105 src0_sel:BYTE_0 src1_sel:DWORD
	s_and_saveexec_b32 s13, s5
	s_cbranch_execz .LBB222_722
; %bb.715:                              ;   in Loop: Header=BB222_10 Depth=1
	v_bfrev_b32_e32 v98, 1
	v_mov_b32_e32 v99, 0
	v_cmp_ne_u16_sdwa s5, v54, v117 src0_sel:BYTE_0 src1_sel:DWORD
	s_and_saveexec_b32 s15, s5
	s_cbranch_execz .LBB222_721
; %bb.716:                              ;   in Loop: Header=BB222_10 Depth=1
	v_mov_b32_e32 v98, 0x7f800001
	v_and_b32_e32 v80, 0x7f, v54
	v_mov_b32_e32 v99, 0
	s_mov_b32 s17, exec_lo
	v_cmpx_ne_u32_e32 0x7f, v80
	s_cbranch_execz .LBB222_720
; %bb.717:                              ;   in Loop: Header=BB222_10 Depth=1
	v_and_b32_e32 v104, 7, v54
	v_lshrrev_b32_e32 v55, 3, v80
	s_mov_b32 s18, exec_lo
	v_cmpx_gt_u32_e32 8, v80
; %bb.718:                              ;   in Loop: Header=BB222_10 Depth=1
	v_ffbh_u32_e32 v55, v104
	v_min_u32_e32 v55, 32, v55
	v_subrev_nc_u32_e32 v80, 28, v55
	v_sub_nc_u32_e32 v55, 29, v55
	v_lshlrev_b64 v[80:81], v80, v[104:105]
	v_and_b32_e32 v104, 7, v80
; %bb.719:                              ;   in Loop: Header=BB222_10 Depth=1
	s_or_b32 exec_lo, exec_lo, s18
	v_lshlrev_b32_e32 v80, 24, v54
	v_lshlrev_b32_e32 v81, 20, v104
	v_lshl_add_u32 v55, v55, 23, 0x3c000000
	v_and_b32_e32 v80, 0x80000000, v80
	v_or3_b32 v104, v81, v80, v55
	v_mov_b32_e32 v98, v104
	v_mov_b32_e32 v99, v105
.LBB222_720:                            ;   in Loop: Header=BB222_10 Depth=1
	s_or_b32 exec_lo, exec_lo, s17
.LBB222_721:                            ;   in Loop: Header=BB222_10 Depth=1
	s_or_b32 exec_lo, exec_lo, s15
.LBB222_722:                            ;   in Loop: Header=BB222_10 Depth=1
	s_or_b32 exec_lo, exec_lo, s13
	v_cmp_ne_u16_sdwa s5, v54, v105 src0_sel:BYTE_1 src1_sel:DWORD
	s_and_saveexec_b32 s13, s5
	s_cbranch_execz .LBB222_730
; %bb.723:                              ;   in Loop: Header=BB222_10 Depth=1
	v_mov_b32_e32 v96, v105
	v_cmp_ne_u16_sdwa s5, v54, v117 src0_sel:BYTE_1 src1_sel:DWORD
	v_mov_b32_e32 v70, v96
	v_mov_b32_e32 v71, v97
	s_and_saveexec_b32 s15, s5
	s_cbranch_execz .LBB222_729
; %bb.724:                              ;   in Loop: Header=BB222_10 Depth=1
	v_mov_b32_e32 v55, 0xffff
	v_mov_b32_e32 v86, v105
	s_mov_b32 s17, exec_lo
	v_and_b32_sdwa v55, v55, v54 dst_sel:DWORD dst_unused:UNUSED_PAD src0_sel:DWORD src1_sel:BYTE_1
	v_mov_b32_e32 v70, v86
	v_mov_b32_e32 v71, v87
	v_and_b32_e32 v80, 0x7f, v55
	v_cmpx_ne_u32_e32 0x7f, v80
	s_cbranch_execz .LBB222_728
; %bb.725:                              ;   in Loop: Header=BB222_10 Depth=1
	v_and_b32_e32 v104, 7, v55
	v_lshrrev_b32_e32 v55, 3, v80
	s_mov_b32 s18, exec_lo
	v_cmpx_gt_u32_e32 8, v80
; %bb.726:                              ;   in Loop: Header=BB222_10 Depth=1
	v_ffbh_u32_e32 v55, v104
	v_min_u32_e32 v55, 32, v55
	v_subrev_nc_u32_e32 v70, 28, v55
	v_sub_nc_u32_e32 v55, 29, v55
	v_lshlrev_b64 v[70:71], v70, v[104:105]
	v_and_b32_e32 v104, 7, v70
; %bb.727:                              ;   in Loop: Header=BB222_10 Depth=1
	s_or_b32 exec_lo, exec_lo, s18
	v_lshlrev_b32_e32 v70, 16, v54
	v_lshlrev_b32_e32 v71, 20, v104
	v_lshl_add_u32 v55, v55, 23, 0x3c000000
	v_and_b32_e32 v70, 0x80000000, v70
	v_or3_b32 v71, v71, v70, v55
	v_mov_b32_e32 v70, v105
.LBB222_728:                            ;   in Loop: Header=BB222_10 Depth=1
	s_or_b32 exec_lo, exec_lo, s17
.LBB222_729:                            ;   in Loop: Header=BB222_10 Depth=1
	s_or_b32 exec_lo, exec_lo, s15
.LBB222_730:                            ;   in Loop: Header=BB222_10 Depth=1
	s_or_b32 exec_lo, exec_lo, s13
	v_mov_b32_e32 v110, 0
	v_mov_b32_e32 v102, 0
	v_and_b32_sdwa v55, v54, v6 dst_sel:DWORD dst_unused:UNUSED_PAD src0_sel:WORD_1 src1_sel:DWORD
	v_mov_b32_e32 v111, 0
	v_mov_b32_e32 v103, 0
	s_mov_b32 s13, exec_lo
	v_cmpx_ne_u16_e32 0, v55
	s_cbranch_execz .LBB222_738
; %bb.731:                              ;   in Loop: Header=BB222_10 Depth=1
	v_bfrev_b32_e32 v102, 1
	v_mov_b32_e32 v103, 0
	s_mov_b32 s15, exec_lo
	v_cmpx_ne_u16_e32 0x80, v55
	s_cbranch_execz .LBB222_737
; %bb.732:                              ;   in Loop: Header=BB222_10 Depth=1
	v_mov_b32_e32 v102, 0x7f800001
	v_bfe_u32 v80, v54, 16, 7
	v_mov_b32_e32 v103, 0
	s_mov_b32 s17, exec_lo
	v_cmpx_ne_u32_e32 0x7f, v80
	s_cbranch_execz .LBB222_736
; %bb.733:                              ;   in Loop: Header=BB222_10 Depth=1
	v_mov_b32_e32 v55, 7
	s_mov_b32 s18, exec_lo
	v_and_b32_sdwa v104, v54, v55 dst_sel:DWORD dst_unused:UNUSED_PAD src0_sel:WORD_1 src1_sel:DWORD
	v_lshrrev_b32_e32 v55, 3, v80
	v_cmpx_gt_u32_e32 8, v80
; %bb.734:                              ;   in Loop: Header=BB222_10 Depth=1
	v_ffbh_u32_e32 v55, v104
	v_min_u32_e32 v55, 32, v55
	v_subrev_nc_u32_e32 v80, 28, v55
	v_sub_nc_u32_e32 v55, 29, v55
	v_lshlrev_b64 v[80:81], v80, v[104:105]
	v_and_b32_e32 v104, 7, v80
; %bb.735:                              ;   in Loop: Header=BB222_10 Depth=1
	s_or_b32 exec_lo, exec_lo, s18
	v_mov_b32_e32 v80, 24
	v_lshlrev_b32_e32 v81, 20, v104
	v_lshl_add_u32 v55, v55, 23, 0x3c000000
	v_lshlrev_b32_sdwa v80, v80, v54 dst_sel:DWORD dst_unused:UNUSED_PAD src0_sel:DWORD src1_sel:WORD_1
	v_and_b32_e32 v80, 0x80000000, v80
	v_or3_b32 v104, v81, v80, v55
	v_mov_b32_e32 v102, v104
	v_mov_b32_e32 v103, v105
.LBB222_736:                            ;   in Loop: Header=BB222_10 Depth=1
	s_or_b32 exec_lo, exec_lo, s17
.LBB222_737:                            ;   in Loop: Header=BB222_10 Depth=1
	s_or_b32 exec_lo, exec_lo, s15
.LBB222_738:                            ;   in Loop: Header=BB222_10 Depth=1
	s_or_b32 exec_lo, exec_lo, s13
	s_mov_b32 s13, exec_lo
	v_cmpx_lt_u32_e32 0xffffff, v54
	s_cbranch_execz .LBB222_746
; %bb.739:                              ;   in Loop: Header=BB222_10 Depth=1
	v_mov_b32_e32 v96, v105
	v_mov_b32_e32 v111, v97
	v_cmp_ne_u32_sdwa s5, v54, v117 src0_sel:BYTE_3 src1_sel:DWORD
	v_mov_b32_e32 v110, v96
	s_and_saveexec_b32 s15, s5
	s_cbranch_execz .LBB222_745
; %bb.740:                              ;   in Loop: Header=BB222_10 Depth=1
	v_mov_b32_e32 v86, v105
	v_mov_b32_e32 v111, v87
	v_bfe_u32 v80, v54, 24, 7
	s_mov_b32 s17, exec_lo
	v_mov_b32_e32 v110, v86
	v_cmpx_ne_u32_e32 0x7f, v80
	s_cbranch_execz .LBB222_744
; %bb.741:                              ;   in Loop: Header=BB222_10 Depth=1
	v_mov_b32_e32 v55, 7
	s_mov_b32 s18, exec_lo
	v_and_b32_sdwa v104, v54, v55 dst_sel:DWORD dst_unused:UNUSED_PAD src0_sel:BYTE_3 src1_sel:DWORD
	v_lshrrev_b32_e32 v55, 3, v80
	v_cmpx_gt_u32_e32 8, v80
; %bb.742:                              ;   in Loop: Header=BB222_10 Depth=1
	v_ffbh_u32_e32 v55, v104
	v_min_u32_e32 v55, 32, v55
	v_subrev_nc_u32_e32 v80, 28, v55
	v_sub_nc_u32_e32 v55, 29, v55
	v_lshlrev_b64 v[80:81], v80, v[104:105]
	v_and_b32_e32 v104, 7, v80
; %bb.743:                              ;   in Loop: Header=BB222_10 Depth=1
	s_or_b32 exec_lo, exec_lo, s18
	v_mov_b32_e32 v80, 24
	v_lshl_add_u32 v55, v55, 23, 0x3c000000
	v_mov_b32_e32 v110, v105
	v_lshlrev_b32_sdwa v54, v80, v54 dst_sel:DWORD dst_unused:UNUSED_PAD src0_sel:DWORD src1_sel:BYTE_3
	v_lshlrev_b32_e32 v80, 20, v104
	v_and_b32_e32 v54, 0x80000000, v54
	v_or3_b32 v111, v80, v54, v55
.LBB222_744:                            ;   in Loop: Header=BB222_10 Depth=1
	s_or_b32 exec_lo, exec_lo, s17
.LBB222_745:                            ;   in Loop: Header=BB222_10 Depth=1
	s_or_b32 exec_lo, exec_lo, s15
.LBB222_746:                            ;   in Loop: Header=BB222_10 Depth=1
	s_or_b32 exec_lo, exec_lo, s13
	flat_load_dword v113, v[18:19] offset:524
	v_mov_b32_e32 v54, 0
	v_mov_b32_e32 v18, 0
	;; [unrolled: 1-line block ×4, first 2 shown]
	s_waitcnt vmcnt(0) lgkmcnt(0)
	v_cmp_ne_u16_sdwa s5, v113, v105 src0_sel:BYTE_0 src1_sel:DWORD
	s_and_saveexec_b32 s13, s5
	s_cbranch_execz .LBB222_754
; %bb.747:                              ;   in Loop: Header=BB222_10 Depth=1
	v_bfrev_b32_e32 v18, 1
	v_mov_b32_e32 v19, 0
	v_cmp_ne_u16_sdwa s5, v113, v117 src0_sel:BYTE_0 src1_sel:DWORD
	s_and_saveexec_b32 s15, s5
	s_cbranch_execz .LBB222_753
; %bb.748:                              ;   in Loop: Header=BB222_10 Depth=1
	v_mov_b32_e32 v18, 0x7f800001
	v_and_b32_e32 v80, 0x7f, v113
	v_mov_b32_e32 v19, 0
	s_mov_b32 s17, exec_lo
	v_cmpx_ne_u32_e32 0x7f, v80
	s_cbranch_execz .LBB222_752
; %bb.749:                              ;   in Loop: Header=BB222_10 Depth=1
	v_and_b32_e32 v104, 7, v113
	v_lshrrev_b32_e32 v18, 3, v80
	s_mov_b32 s18, exec_lo
	v_cmpx_gt_u32_e32 8, v80
; %bb.750:                              ;   in Loop: Header=BB222_10 Depth=1
	v_ffbh_u32_e32 v18, v104
	v_min_u32_e32 v18, 32, v18
	v_subrev_nc_u32_e32 v19, 28, v18
	v_sub_nc_u32_e32 v18, 29, v18
	v_lshlrev_b64 v[80:81], v19, v[104:105]
	v_and_b32_e32 v104, 7, v80
; %bb.751:                              ;   in Loop: Header=BB222_10 Depth=1
	s_or_b32 exec_lo, exec_lo, s18
	v_lshlrev_b32_e32 v19, 24, v113
	v_lshlrev_b32_e32 v80, 20, v104
	v_lshl_add_u32 v18, v18, 23, 0x3c000000
	v_and_b32_e32 v19, 0x80000000, v19
	v_or3_b32 v104, v80, v19, v18
	v_mov_b32_e32 v18, v104
	v_mov_b32_e32 v19, v105
.LBB222_752:                            ;   in Loop: Header=BB222_10 Depth=1
	s_or_b32 exec_lo, exec_lo, s17
.LBB222_753:                            ;   in Loop: Header=BB222_10 Depth=1
	s_or_b32 exec_lo, exec_lo, s15
.LBB222_754:                            ;   in Loop: Header=BB222_10 Depth=1
	s_or_b32 exec_lo, exec_lo, s13
	v_cmp_ne_u16_sdwa s5, v113, v105 src0_sel:BYTE_1 src1_sel:DWORD
	s_and_saveexec_b32 s13, s5
	s_cbranch_execz .LBB222_762
; %bb.755:                              ;   in Loop: Header=BB222_10 Depth=1
	v_mov_b32_e32 v96, v105
	v_cmp_ne_u16_sdwa s5, v113, v117 src0_sel:BYTE_1 src1_sel:DWORD
	v_mov_b32_e32 v54, v96
	v_mov_b32_e32 v55, v97
	s_and_saveexec_b32 s15, s5
	s_cbranch_execz .LBB222_761
; %bb.756:                              ;   in Loop: Header=BB222_10 Depth=1
	v_mov_b32_e32 v54, 0xffff
	v_mov_b32_e32 v86, v105
	s_mov_b32 s17, exec_lo
	v_and_b32_sdwa v81, v54, v113 dst_sel:DWORD dst_unused:UNUSED_PAD src0_sel:DWORD src1_sel:BYTE_1
	v_mov_b32_e32 v54, v86
	v_mov_b32_e32 v55, v87
	v_and_b32_e32 v80, 0x7f, v81
	v_cmpx_ne_u32_e32 0x7f, v80
	s_cbranch_execz .LBB222_760
; %bb.757:                              ;   in Loop: Header=BB222_10 Depth=1
	v_and_b32_e32 v104, 7, v81
	v_lshrrev_b32_e32 v54, 3, v80
	s_mov_b32 s18, exec_lo
	v_cmpx_gt_u32_e32 8, v80
; %bb.758:                              ;   in Loop: Header=BB222_10 Depth=1
	v_ffbh_u32_e32 v54, v104
	v_min_u32_e32 v54, 32, v54
	v_subrev_nc_u32_e32 v55, 28, v54
	v_sub_nc_u32_e32 v54, 29, v54
	v_lshlrev_b64 v[80:81], v55, v[104:105]
	v_and_b32_e32 v104, 7, v80
; %bb.759:                              ;   in Loop: Header=BB222_10 Depth=1
	s_or_b32 exec_lo, exec_lo, s18
	v_lshlrev_b32_e32 v55, 16, v113
	v_lshlrev_b32_e32 v80, 20, v104
	v_lshl_add_u32 v54, v54, 23, 0x3c000000
	v_and_b32_e32 v55, 0x80000000, v55
	v_or3_b32 v55, v80, v55, v54
	v_mov_b32_e32 v54, v105
.LBB222_760:                            ;   in Loop: Header=BB222_10 Depth=1
	s_or_b32 exec_lo, exec_lo, s17
.LBB222_761:                            ;   in Loop: Header=BB222_10 Depth=1
	s_or_b32 exec_lo, exec_lo, s15
.LBB222_762:                            ;   in Loop: Header=BB222_10 Depth=1
	s_or_b32 exec_lo, exec_lo, s13
	v_mov_b32_e32 v82, 0
	v_mov_b32_e32 v80, 0
	v_and_b32_sdwa v86, v113, v6 dst_sel:DWORD dst_unused:UNUSED_PAD src0_sel:WORD_1 src1_sel:DWORD
	v_mov_b32_e32 v83, 0
	v_mov_b32_e32 v81, 0
	s_mov_b32 s13, exec_lo
	v_cmpx_ne_u16_e32 0, v86
	s_cbranch_execz .LBB222_770
; %bb.763:                              ;   in Loop: Header=BB222_10 Depth=1
	v_bfrev_b32_e32 v80, 1
	v_mov_b32_e32 v81, 0
	s_mov_b32 s15, exec_lo
	v_cmpx_ne_u16_e32 0x80, v86
	s_cbranch_execz .LBB222_769
; %bb.764:                              ;   in Loop: Header=BB222_10 Depth=1
	v_mov_b32_e32 v80, 0x7f800001
	v_bfe_u32 v86, v113, 16, 7
	v_mov_b32_e32 v81, 0
	s_mov_b32 s17, exec_lo
	v_cmpx_ne_u32_e32 0x7f, v86
	s_cbranch_execz .LBB222_768
; %bb.765:                              ;   in Loop: Header=BB222_10 Depth=1
	v_mov_b32_e32 v80, 7
	s_mov_b32 s18, exec_lo
	v_and_b32_sdwa v104, v113, v80 dst_sel:DWORD dst_unused:UNUSED_PAD src0_sel:WORD_1 src1_sel:DWORD
	v_lshrrev_b32_e32 v80, 3, v86
	v_cmpx_gt_u32_e32 8, v86
; %bb.766:                              ;   in Loop: Header=BB222_10 Depth=1
	v_ffbh_u32_e32 v80, v104
	v_min_u32_e32 v80, 32, v80
	v_subrev_nc_u32_e32 v81, 28, v80
	v_sub_nc_u32_e32 v80, 29, v80
	v_lshlrev_b64 v[118:119], v81, v[104:105]
	v_and_b32_e32 v104, 7, v118
; %bb.767:                              ;   in Loop: Header=BB222_10 Depth=1
	s_or_b32 exec_lo, exec_lo, s18
	v_mov_b32_e32 v81, 24
	v_lshlrev_b32_e32 v86, 20, v104
	v_lshl_add_u32 v80, v80, 23, 0x3c000000
	v_lshlrev_b32_sdwa v81, v81, v113 dst_sel:DWORD dst_unused:UNUSED_PAD src0_sel:DWORD src1_sel:WORD_1
	v_and_b32_e32 v81, 0x80000000, v81
	v_or3_b32 v104, v86, v81, v80
	v_mov_b32_e32 v80, v104
	v_mov_b32_e32 v81, v105
.LBB222_768:                            ;   in Loop: Header=BB222_10 Depth=1
	s_or_b32 exec_lo, exec_lo, s17
.LBB222_769:                            ;   in Loop: Header=BB222_10 Depth=1
	s_or_b32 exec_lo, exec_lo, s15
.LBB222_770:                            ;   in Loop: Header=BB222_10 Depth=1
	s_or_b32 exec_lo, exec_lo, s13
	v_cmp_lt_u32_e64 s5, 0xffffff, v113
	s_mov_b32 s13, exec_lo
	s_clause 0x2
	buffer_load_dword v104, off, s[0:3], s32 offset:524
	buffer_load_dword v9, off, s[0:3], s32 offset:528
	;; [unrolled: 1-line block ×3, first 2 shown]
	s_and_b32 s5, s13, s5
	s_mov_b32 exec_lo, s5
	s_cbranch_execz .LBB222_9
; %bb.771:                              ;   in Loop: Header=BB222_10 Depth=1
	v_mov_b32_e32 v96, v105
	v_cmp_ne_u32_sdwa s5, v113, v117 src0_sel:BYTE_3 src1_sel:DWORD
	v_mov_b32_e32 v82, v96
	v_mov_b32_e32 v83, v97
	s_and_saveexec_b32 s15, s5
	s_cbranch_execz .LBB222_8
; %bb.772:                              ;   in Loop: Header=BB222_10 Depth=1
	v_mov_b32_e32 v86, v105
	v_bfe_u32 v96, v113, 24, 7
	s_mov_b32 s17, exec_lo
	v_mov_b32_e32 v82, v86
	v_mov_b32_e32 v83, v87
	v_cmpx_ne_u32_e32 0x7f, v96
	s_cbranch_execz .LBB222_7
; %bb.773:                              ;   in Loop: Header=BB222_10 Depth=1
	v_mov_b32_e32 v82, 7
	s_mov_b32 s18, exec_lo
	s_waitcnt vmcnt(2)
	v_and_b32_sdwa v104, v113, v82 dst_sel:DWORD dst_unused:UNUSED_PAD src0_sel:BYTE_3 src1_sel:DWORD
	v_lshrrev_b32_e32 v82, 3, v96
	v_cmpx_gt_u32_e32 8, v96
	s_cbranch_execz .LBB222_6
; %bb.774:                              ;   in Loop: Header=BB222_10 Depth=1
	v_ffbh_u32_e32 v82, v104
	v_min_u32_e32 v82, 32, v82
	v_subrev_nc_u32_e32 v83, 28, v82
	v_sub_nc_u32_e32 v82, 29, v82
	v_lshlrev_b64 v[118:119], v83, v[104:105]
	v_and_b32_e32 v104, 7, v118
	s_branch .LBB222_6
.LBB222_775:
	s_or_b32 exec_lo, exec_lo, s9
	s_clause 0xc
	buffer_load_dword v7, off, s[0:3], s32 offset:960
	buffer_load_dword v11, off, s[0:3], s32 offset:972
	;; [unrolled: 1-line block ×13, first 2 shown]
.LBB222_776:
	s_or_b32 exec_lo, exec_lo, s7
	v_mbcnt_lo_u32_b32 v0, -1, 0
	v_max_f32_e32 v4, v8, v8
	s_lshr_b32 s9, s6, 16
	v_xor_b32_e32 v1, 16, v0
	v_xor_b32_e32 v3, 8, v0
	v_cmp_gt_i32_e32 vcc_lo, 32, v1
	v_cndmask_b32_e32 v1, v0, v1, vcc_lo
	v_cmp_gt_i32_e32 vcc_lo, 32, v3
	v_lshlrev_b32_e32 v1, 2, v1
	v_cndmask_b32_e32 v3, v0, v3, vcc_lo
	ds_bpermute_b32 v2, v1, v8
	s_waitcnt lgkmcnt(0)
	v_max_f32_e32 v5, v2, v2
	v_lshlrev_b32_e32 v2, 2, v3
	v_max_f32_e32 v3, v4, v5
	v_xor_b32_e32 v5, 4, v0
	ds_bpermute_b32 v4, v2, v3
	v_cmp_gt_i32_e32 vcc_lo, 32, v5
	v_cndmask_b32_e32 v5, v0, v5, vcc_lo
	v_lshlrev_b32_e32 v25, 2, v5
	v_xor_b32_e32 v5, 2, v0
	v_cmp_gt_i32_e32 vcc_lo, 32, v5
	s_waitcnt lgkmcnt(0)
	v_max_f32_e32 v4, v4, v4
	v_cndmask_b32_e32 v5, v0, v5, vcc_lo
	v_max_f32_e32 v3, v3, v4
	v_lshlrev_b32_e32 v71, 2, v5
	v_xor_b32_e32 v5, 1, v0
	ds_bpermute_b32 v4, v25, v3
	v_cmp_gt_i32_e32 vcc_lo, 32, v5
	v_cndmask_b32_e32 v5, v0, v5, vcc_lo
	s_waitcnt vmcnt(12)
	v_cmp_eq_u32_e32 vcc_lo, 0, v7
	v_lshlrev_b32_e32 v70, 2, v5
	s_waitcnt lgkmcnt(0)
	v_max_f32_e32 v4, v4, v4
	v_max_f32_e32 v3, v3, v4
	ds_bpermute_b32 v4, v71, v3
	s_waitcnt lgkmcnt(0)
	v_max_f32_e32 v4, v4, v4
	v_max_f32_e32 v0, v3, v4
	buffer_load_dword v3, off, s[0:3], s32 offset:956 ; 4-byte Folded Reload
	ds_bpermute_b32 v4, v70, v0
	s_waitcnt vmcnt(0)
	v_lshlrev_b32_e32 v3, 2, v3
	s_and_saveexec_b32 s5, vcc_lo
	s_cbranch_execz .LBB222_778
; %bb.777:
	s_waitcnt lgkmcnt(0)
	v_max_f32_e32 v4, v4, v4
	v_max_f32_e32 v0, v0, v0
	;; [unrolled: 1-line block ×3, first 2 shown]
	ds_write_b32 v3, v0 offset:384
.LBB222_778:
	s_or_b32 exec_lo, exec_lo, s5
	v_cmp_gt_u32_e64 s5, 4, v7
	v_mov_b32_e32 v0, 0xff7fffff
	s_waitcnt lgkmcnt(0)
	s_waitcnt_vscnt null, 0x0
	s_barrier
	buffer_gl0_inv
	s_and_saveexec_b32 s6, s5
; %bb.779:
	ds_read_b32 v0, v16 offset:384
; %bb.780:
	s_or_b32 exec_lo, exec_lo, s6
	s_waitcnt lgkmcnt(0)
	ds_bpermute_b32 v4, v71, v0
	v_max_f32_e32 v0, v0, v0
	v_mov_b32_e32 v5, 0
	buffer_load_dword v6, off, s[0:3], s32 offset:952 ; 4-byte Folded Reload
	s_waitcnt lgkmcnt(0)
	v_max_f32_e32 v4, v4, v4
	v_max_f32_e32 v0, v0, v4
	ds_bpermute_b32 v4, v70, v0
	s_waitcnt lgkmcnt(0)
	v_max_f32_e32 v4, v4, v4
	v_max_f32_e32 v0, v0, v4
	ds_bpermute_b32 v4, v5, v0
	buffer_load_dword v0, off, s[0:3], s32 offset:192 ; 4-byte Folded Reload
	s_waitcnt vmcnt(0)
	v_lshlrev_b32_e32 v0, 5, v0
	v_min_i32_e32 v0, v0, v116
	v_cmp_lt_i32_e64 s6, v6, v0
	s_and_saveexec_b32 s13, s6
	s_cbranch_execz .LBB222_784
; %bb.781:
	buffer_load_dword v7, off, s[0:3], s32 offset:952 ; 4-byte Folded Reload
	s_getpc_b64 s[18:19]
	s_add_u32 s18, s18, llvm.amdgcn.dynlds.offset.table@rel32@lo+4
	s_addc_u32 s19, s19, llvm.amdgcn.dynlds.offset.table@rel32@hi+12
	s_ashr_i32 s17, s16, 31
	v_mov_b32_e32 v5, 0
	s_lshl_b64 s[20:21], s[16:17], 2
	s_mov_b32 s15, 0
	s_add_u32 s18, s18, s20
	s_addc_u32 s19, s19, s21
	s_load_dword s7, s[18:19], 0x0
	s_waitcnt vmcnt(0) lgkmcnt(0)
	v_lshl_add_u32 v6, v7, 2, s7
	.p2align	6
.LBB222_782:                            ; =>This Inner Loop Header: Depth=1
	ds_read_b32 v8, v6
	v_add_nc_u32_e32 v7, 0x80, v7
	v_cmp_ge_i32_e64 s7, v7, v0
	s_or_b32 s15, s7, s15
	s_waitcnt lgkmcnt(0)
	v_sub_f32_e32 v8, v8, v4
	v_mul_f32_e32 v8, 0x3fb8aa3b, v8
	v_exp_f32_e32 v8, v8
	ds_write_b32 v6, v8
	v_add_f32_e32 v5, v5, v8
	v_add_nc_u32_e32 v6, 0x200, v6
	s_andn2_b32 exec_lo, exec_lo, s15
	s_cbranch_execnz .LBB222_782
; %bb.783:
	s_or_b32 exec_lo, exec_lo, s15
.LBB222_784:
	s_or_b32 exec_lo, exec_lo, s13
	ds_bpermute_b32 v1, v1, v5
	s_waitcnt lgkmcnt(0)
	v_add_f32_e32 v1, v5, v1
	ds_bpermute_b32 v2, v2, v1
	s_waitcnt lgkmcnt(0)
	v_add_f32_e32 v1, v1, v2
	;; [unrolled: 3-line block ×5, first 2 shown]
	s_and_saveexec_b32 s7, vcc_lo
; %bb.785:
	ds_write_b32 v3, v1 offset:400
; %bb.786:
	s_or_b32 exec_lo, exec_lo, s7
	s_waitcnt lgkmcnt(0)
	s_barrier
	buffer_gl0_inv
	s_and_saveexec_b32 s7, s5
; %bb.787:
	ds_read_b32 v1, v16 offset:400
; %bb.788:
	s_or_b32 exec_lo, exec_lo, s7
	s_waitcnt lgkmcnt(0)
	ds_bpermute_b32 v2, v71, v1
	s_waitcnt lgkmcnt(0)
	v_add_f32_e32 v1, v1, v2
	ds_bpermute_b32 v2, v70, v1
	s_waitcnt lgkmcnt(0)
	v_add_f32_e32 v1, v1, v2
	v_mov_b32_e32 v2, 0
	ds_bpermute_b32 v1, v2, v1
	s_and_saveexec_b32 s5, s6
	s_cbranch_execz .LBB222_791
; %bb.789:
	s_waitcnt lgkmcnt(0)
	v_add_f32_e32 v2, 0x358637bd, v1
	s_getpc_b64 s[6:7]
	s_add_u32 s6, s6, llvm.amdgcn.dynlds.offset.table@rel32@lo+4
	s_addc_u32 s7, s7, llvm.amdgcn.dynlds.offset.table@rel32@hi+12
	s_ashr_i32 s17, s16, 31
	s_lshl_b64 s[18:19], s[16:17], 2
	v_div_scale_f32 v1, null, v2, v2, 1.0
	v_div_scale_f32 v5, vcc_lo, 1.0, v2, 1.0
	s_add_u32 s6, s6, s18
	v_rcp_f32_e32 v3, v1
	s_addc_u32 s7, s7, s19
	s_load_dword s6, s[6:7], 0x0
	v_fma_f32 v4, -v1, v3, 1.0
	v_fmac_f32_e32 v3, v4, v3
	v_mul_f32_e32 v4, v5, v3
	v_fma_f32 v6, -v1, v4, v5
	v_fmac_f32_e32 v4, v6, v3
	v_fma_f32 v1, -v1, v4, v5
	v_div_fmas_f32 v3, v1, v3, v4
	buffer_load_dword v4, off, s[0:3], s32 offset:952 ; 4-byte Folded Reload
	v_div_fixup_f32 v2, v3, v2, 1.0
	s_waitcnt vmcnt(0) lgkmcnt(0)
	v_lshl_add_u32 v1, v4, 2, s6
	v_mov_b32_e32 v3, v4
	s_mov_b32 s6, 0
.LBB222_790:                            ; =>This Inner Loop Header: Depth=1
	ds_read_b32 v4, v1
	v_add_nc_u32_e32 v3, 0x80, v3
	v_cmp_ge_i32_e32 vcc_lo, v3, v0
	s_or_b32 s6, vcc_lo, s6
	s_waitcnt lgkmcnt(0)
	v_mul_f32_e32 v4, v2, v4
	ds_write_b32 v1, v4
	v_add_nc_u32_e32 v1, 0x200, v1
	s_andn2_b32 exec_lo, exec_lo, s6
	s_cbranch_execnz .LBB222_790
.LBB222_791:
	s_or_b32 exec_lo, exec_lo, s5
	s_waitcnt lgkmcnt(0)
	s_barrier
	buffer_gl0_inv
	s_and_saveexec_b32 s5, s4
	s_xor_b32 s4, exec_lo, s5
; %bb.792:
	s_ashr_i32 s17, s16, 31
                                        ; implicit-def: $vgpr0
                                        ; implicit-def: $vgpr116
                                        ; kill: killed $vgpr0
                                        ; implicit-def: $vgpr21
                                        ; implicit-def: $vgpr20
                                        ; implicit-def: $vgpr10
                                        ; implicit-def: $vgpr11
                                        ; implicit-def: $vgpr0
                                        ; kill: killed $vgpr0
                                        ; implicit-def: $vgpr22_vgpr23
                                        ; implicit-def: $vgpr15
                                        ; implicit-def: $vgpr12
                                        ; implicit-def: $vgpr9
                                        ; implicit-def: $vgpr13_vgpr14
; %bb.793:
	s_or_saveexec_b32 s5, s4
	buffer_load_dword v2, off, s[0:3], s32 offset:952 ; 4-byte Folded Reload
	v_mov_b32_e32 v0, s16
	v_mov_b32_e32 v64, 0
	;; [unrolled: 1-line block ×26, first 2 shown]
	s_waitcnt vmcnt(0)
	v_and_b32_e32 v80, 7, v2
	s_xor_b32 exec_lo, exec_lo, s5
	s_cbranch_execz .LBB222_1613
; %bb.794:
	buffer_store_dword v25, off, s[0:3], s32 offset:380 ; 4-byte Folded Spill
	buffer_store_dword v71, off, s[0:3], s32 offset:372 ; 4-byte Folded Spill
	;; [unrolled: 1-line block ×3, first 2 shown]
	s_clause 0x1
	buffer_load_dword v0, off, s[0:3], s32 offset:952
	buffer_load_dword v84, off, s[0:3], s32 offset:956
	flat_load_dword v67, v[22:23]
	s_ashr_i32 s17, s16, 31
	s_getpc_b64 s[6:7]
	s_add_u32 s6, s6, llvm.amdgcn.dynlds.offset.table@rel32@lo+4
	s_addc_u32 s7, s7, llvm.amdgcn.dynlds.offset.table@rel32@hi+12
	s_lshl_b64 s[18:19], s[16:17], 2
	v_and_b32_e32 v3, 0x7c, v9
	s_add_u32 s6, s6, s18
	s_addc_u32 s7, s7, s19
	v_lshlrev_b32_e32 v5, 4, v80
	s_load_dword s4, s[6:7], 0x0
	v_add_co_u32 v1, vcc_lo, v21, v15
	v_add_co_ci_u32_e64 v2, null, v20, v12, vcc_lo
	v_add_co_u32 v3, vcc_lo, v3, v13
	v_add_co_ci_u32_e64 v8, null, 0, v14, vcc_lo
	v_mov_b32_e32 v7, 0
	v_mov_b32_e32 v68, 0x80
	v_bfrev_b32_e32 v9, 1
	v_mov_b32_e32 v44, 0xffff
	v_mov_b32_e32 v12, 0x7f800001
	;; [unrolled: 1-line block ×27, first 2 shown]
	s_mov_b32 s6, 0
	buffer_store_dword v80, off, s[0:3], s32 offset:388 ; 4-byte Folded Spill
	s_waitcnt vmcnt(2)
	v_lshlrev_b32_e32 v0, 2, v0
	s_waitcnt vmcnt(1)
	v_lshlrev_b32_e32 v4, 5, v84
	v_lshl_or_b32 v5, v84, 7, v5
	s_waitcnt vmcnt(0) lgkmcnt(0)
	v_mov_b32_e32 v83, v67
	v_and_b32_e32 v6, 28, v0
	v_and_b32_e32 v0, 0x7c, v0
	v_add_nc_u32_e32 v82, s4, v5
	v_or3_b32 v81, v4, v6, 3
	v_add_co_u32 v0, vcc_lo, v1, v0
	v_add_co_ci_u32_e64 v1, null, 0, v2, vcc_lo
	v_add_co_u32 v15, vcc_lo, v10, v3
	v_add_co_ci_u32_e64 v16, null, v11, v8, vcc_lo
	buffer_store_dword v0, off, s[0:3], s32 offset:356 ; 4-byte Folded Spill
	buffer_store_dword v1, off, s[0:3], s32 offset:360 ; 4-byte Folded Spill
	s_branch .LBB222_796
.LBB222_795:                            ;   in Loop: Header=BB222_796 Depth=1
	s_or_b32 exec_lo, exec_lo, s4
	v_mul_f32_e32 v10, v3, v42
	v_add_nc_u32_e32 v84, 4, v84
	v_add_co_u32 v15, vcc_lo, v15, 16
	v_add_co_ci_u32_e64 v16, null, 0, v16, vcc_lo
	v_fmac_f32_e32 v10, v2, v41
	v_add_nc_u32_e32 v81, 0x80, v81
	v_add_nc_u32_e32 v82, 0x200, v82
	buffer_load_dword v11, off, s[0:3], s32 offset:340 ; 4-byte Folded Reload
	v_fmac_f32_e32 v10, v4, v22
	v_fmac_f32_e32 v10, v5, v21
	v_add_f32_e32 v28, v28, v10
	v_mul_f32_e32 v10, v3, v40
	v_fmac_f32_e32 v10, v2, v119
	v_fmac_f32_e32 v10, v4, v118
	v_fmac_f32_e32 v10, v5, v117
	v_add_f32_e32 v29, v29, v10
	v_mul_f32_e32 v10, v3, v115
	v_fmac_f32_e32 v10, v2, v114
	;; [unrolled: 5-line block ×17, first 2 shown]
	v_fmac_f32_e32 v10, v4, v46
	v_fmac_f32_e32 v10, v5, v45
	v_add_f32_e32 v53, v53, v10
	buffer_load_dword v10, off, s[0:3], s32 offset:348 ; 4-byte Folded Reload
	s_waitcnt vmcnt(0)
	v_mul_f32_e32 v10, v3, v10
	v_fmac_f32_e32 v10, v2, v11
	buffer_load_dword v11, off, s[0:3], s32 offset:332 ; 4-byte Folded Reload
	s_waitcnt vmcnt(0)
	v_fmac_f32_e32 v10, v4, v11
	buffer_load_dword v11, off, s[0:3], s32 offset:324 ; 4-byte Folded Reload
	s_waitcnt vmcnt(0)
	v_fmac_f32_e32 v10, v5, v11
	buffer_load_dword v11, off, s[0:3], s32 offset:308 ; 4-byte Folded Reload
	v_add_f32_e32 v54, v54, v10
	buffer_load_dword v10, off, s[0:3], s32 offset:316 ; 4-byte Folded Reload
	s_waitcnt vmcnt(0)
	v_mul_f32_e32 v10, v3, v10
	v_fmac_f32_e32 v10, v2, v11
	buffer_load_dword v11, off, s[0:3], s32 offset:300 ; 4-byte Folded Reload
	s_waitcnt vmcnt(0)
	v_fmac_f32_e32 v10, v4, v11
	buffer_load_dword v11, off, s[0:3], s32 offset:292 ; 4-byte Folded Reload
	s_waitcnt vmcnt(0)
	v_fmac_f32_e32 v10, v5, v11
	buffer_load_dword v11, off, s[0:3], s32 offset:284 ; 4-byte Folded Reload
	;; [unrolled: 12-line block ×4, first 2 shown]
	v_add_f32_e32 v66, v66, v10
	buffer_load_dword v10, off, s[0:3], s32 offset:212 ; 4-byte Folded Reload
	s_waitcnt vmcnt(0)
	v_mul_f32_e32 v10, v3, v10
	v_mul_f32_e32 v3, v3, v8
	v_fmac_f32_e32 v10, v2, v11
	buffer_load_dword v11, off, s[0:3], s32 offset:204 ; 4-byte Folded Reload
	v_fmac_f32_e32 v3, v2, v6
	v_fmac_f32_e32 v3, v4, v1
	v_fmac_f32_e32 v3, v5, v0
	buffer_load_dword v0, off, s[0:3], s32 offset:192 ; 4-byte Folded Reload
	v_add_f32_e32 v27, v27, v3
	s_waitcnt vmcnt(1)
	v_fmac_f32_e32 v10, v4, v11
	buffer_load_dword v11, off, s[0:3], s32 offset:196 ; 4-byte Folded Reload
	s_waitcnt vmcnt(1)
	v_cmp_ge_i32_e32 vcc_lo, v84, v0
	s_or_b32 s6, vcc_lo, s6
	s_waitcnt vmcnt(0)
	v_fmac_f32_e32 v10, v5, v11
	v_add_f32_e32 v64, v64, v10
	s_andn2_b32 exec_lo, exec_lo, s6
	s_cbranch_execz .LBB222_1612
.LBB222_796:                            ; =>This Inner Loop Header: Depth=1
	flat_load_dword v0, v[15:16]
	s_clause 0x2
	buffer_load_dword v1, off, s[0:3], s32 offset:536
	buffer_load_dword v2, off, s[0:3], s32 offset:356
	;; [unrolled: 1-line block ×3, first 2 shown]
	v_mov_b32_e32 v19, 0
	v_mov_b32_e32 v17, 0
	;; [unrolled: 1-line block ×4, first 2 shown]
	s_waitcnt vmcnt(0) lgkmcnt(0)
	v_mad_i64_i32 v[0:1], null, v0, v1, v[2:3]
	ds_read_b128 v[2:5], v82
	flat_load_dword v13, v[0:1]
	s_waitcnt vmcnt(0) lgkmcnt(0)
	v_cmp_ne_u16_sdwa s7, v13, v7 src0_sel:BYTE_0 src1_sel:DWORD
	s_and_saveexec_b32 s4, s7
	s_cbranch_execz .LBB222_804
; %bb.797:                              ;   in Loop: Header=BB222_796 Depth=1
	v_bfrev_b32_e32 v17, 1
	v_mov_b32_e32 v18, 0
	v_cmp_ne_u16_sdwa s13, v13, v68 src0_sel:BYTE_0 src1_sel:DWORD
	s_and_saveexec_b32 s7, s13
	s_cbranch_execz .LBB222_803
; %bb.798:                              ;   in Loop: Header=BB222_796 Depth=1
	v_mov_b32_e32 v17, 0x7f800001
	v_and_b32_e32 v10, 0x7f, v13
	v_mov_b32_e32 v18, 0
	s_mov_b32 s13, exec_lo
	v_cmpx_ne_u32_e32 0x7f, v10
	s_cbranch_execz .LBB222_802
; %bb.799:                              ;   in Loop: Header=BB222_796 Depth=1
	v_and_b32_e32 v6, 7, v13
	v_lshrrev_b32_e32 v8, 3, v10
	s_mov_b32 s15, exec_lo
	v_cmpx_gt_u32_e32 8, v10
; %bb.800:                              ;   in Loop: Header=BB222_796 Depth=1
	v_ffbh_u32_e32 v8, v6
	v_min_u32_e32 v8, 32, v8
	v_subrev_nc_u32_e32 v10, 28, v8
	v_sub_nc_u32_e32 v8, 29, v8
	v_lshlrev_b64 v[10:11], v10, v[6:7]
	v_and_b32_e32 v6, 7, v10
; %bb.801:                              ;   in Loop: Header=BB222_796 Depth=1
	s_or_b32 exec_lo, exec_lo, s15
	v_lshlrev_b32_e32 v10, 24, v13
	v_lshlrev_b32_e32 v6, 20, v6
	v_lshl_add_u32 v8, v8, 23, 0x3c000000
	v_and_b32_e32 v10, 0x80000000, v10
	v_or3_b32 v6, v6, v10, v8
	v_mov_b32_e32 v18, v7
	v_mov_b32_e32 v17, v6
.LBB222_802:                            ;   in Loop: Header=BB222_796 Depth=1
	s_or_b32 exec_lo, exec_lo, s13
.LBB222_803:                            ;   in Loop: Header=BB222_796 Depth=1
	s_or_b32 exec_lo, exec_lo, s7
.LBB222_804:                            ;   in Loop: Header=BB222_796 Depth=1
	s_or_b32 exec_lo, exec_lo, s4
	v_cmp_ne_u16_sdwa s7, v13, v7 src0_sel:BYTE_1 src1_sel:DWORD
	s_and_saveexec_b32 s4, s7
	s_cbranch_execz .LBB222_812
; %bb.805:                              ;   in Loop: Header=BB222_796 Depth=1
	v_mov_b32_e32 v8, v7
	v_mov_b32_e32 v20, v9
	v_cmp_ne_u16_sdwa s13, v13, v68 src0_sel:BYTE_1 src1_sel:DWORD
	v_mov_b32_e32 v19, v8
	s_and_saveexec_b32 s7, s13
	s_cbranch_execz .LBB222_811
; %bb.806:                              ;   in Loop: Header=BB222_796 Depth=1
	v_and_b32_sdwa v6, v44, v13 dst_sel:DWORD dst_unused:UNUSED_PAD src0_sel:DWORD src1_sel:BYTE_1
	v_mov_b32_e32 v11, v7
	v_mov_b32_e32 v20, v12
	s_mov_b32 s13, exec_lo
	v_and_b32_e32 v10, 0x7f, v6
	v_mov_b32_e32 v19, v11
	v_cmpx_ne_u32_e32 0x7f, v10
	s_cbranch_execz .LBB222_810
; %bb.807:                              ;   in Loop: Header=BB222_796 Depth=1
	v_and_b32_e32 v6, 7, v6
	v_lshrrev_b32_e32 v8, 3, v10
	s_mov_b32 s15, exec_lo
	v_cmpx_gt_u32_e32 8, v10
; %bb.808:                              ;   in Loop: Header=BB222_796 Depth=1
	v_ffbh_u32_e32 v8, v6
	v_min_u32_e32 v8, 32, v8
	v_subrev_nc_u32_e32 v10, 28, v8
	v_sub_nc_u32_e32 v8, 29, v8
	v_lshlrev_b64 v[10:11], v10, v[6:7]
	v_and_b32_e32 v6, 7, v10
; %bb.809:                              ;   in Loop: Header=BB222_796 Depth=1
	s_or_b32 exec_lo, exec_lo, s15
	v_lshlrev_b32_e32 v10, 16, v13
	v_lshlrev_b32_e32 v6, 20, v6
	v_lshl_add_u32 v8, v8, 23, 0x3c000000
	v_mov_b32_e32 v19, v7
	v_and_b32_e32 v10, 0x80000000, v10
	v_or3_b32 v20, v6, v10, v8
.LBB222_810:                            ;   in Loop: Header=BB222_796 Depth=1
	s_or_b32 exec_lo, exec_lo, s13
.LBB222_811:                            ;   in Loop: Header=BB222_796 Depth=1
	s_or_b32 exec_lo, exec_lo, s7
.LBB222_812:                            ;   in Loop: Header=BB222_796 Depth=1
	s_or_b32 exec_lo, exec_lo, s4
	v_mov_b32_e32 v10, 0
	v_mov_b32_e32 v21, 0
	v_and_b32_sdwa v6, v13, v70 dst_sel:DWORD dst_unused:UNUSED_PAD src0_sel:WORD_1 src1_sel:DWORD
	v_mov_b32_e32 v11, 0
	v_mov_b32_e32 v22, 0
	s_mov_b32 s4, exec_lo
	v_cmpx_ne_u16_e32 0, v6
	s_cbranch_execz .LBB222_820
; %bb.813:                              ;   in Loop: Header=BB222_796 Depth=1
	v_bfrev_b32_e32 v21, 1
	v_mov_b32_e32 v22, 0
	s_mov_b32 s7, exec_lo
	v_cmpx_ne_u16_e32 0x80, v6
	s_cbranch_execz .LBB222_819
; %bb.814:                              ;   in Loop: Header=BB222_796 Depth=1
	v_mov_b32_e32 v21, 0x7f800001
	v_bfe_u32 v14, v13, 16, 7
	v_mov_b32_e32 v22, 0
	s_mov_b32 s13, exec_lo
	v_cmpx_ne_u32_e32 0x7f, v14
	s_cbranch_execz .LBB222_818
; %bb.815:                              ;   in Loop: Header=BB222_796 Depth=1
	v_mov_b32_e32 v6, 7
	v_lshrrev_b32_e32 v8, 3, v14
	s_mov_b32 s15, exec_lo
	v_and_b32_sdwa v6, v13, v6 dst_sel:DWORD dst_unused:UNUSED_PAD src0_sel:WORD_1 src1_sel:DWORD
	v_cmpx_gt_u32_e32 8, v14
; %bb.816:                              ;   in Loop: Header=BB222_796 Depth=1
	v_ffbh_u32_e32 v8, v6
	v_min_u32_e32 v8, 32, v8
	v_subrev_nc_u32_e32 v14, 28, v8
	v_sub_nc_u32_e32 v8, 29, v8
	v_lshlrev_b64 v[21:22], v14, v[6:7]
	v_and_b32_e32 v6, 7, v21
; %bb.817:                              ;   in Loop: Header=BB222_796 Depth=1
	s_or_b32 exec_lo, exec_lo, s15
	v_mov_b32_e32 v14, 24
	v_lshlrev_b32_e32 v6, 20, v6
	v_lshl_add_u32 v8, v8, 23, 0x3c000000
	v_lshlrev_b32_sdwa v14, v14, v13 dst_sel:DWORD dst_unused:UNUSED_PAD src0_sel:DWORD src1_sel:WORD_1
	v_and_b32_e32 v14, 0x80000000, v14
	v_or3_b32 v6, v6, v14, v8
	v_mov_b32_e32 v22, v7
	v_mov_b32_e32 v21, v6
.LBB222_818:                            ;   in Loop: Header=BB222_796 Depth=1
	s_or_b32 exec_lo, exec_lo, s13
.LBB222_819:                            ;   in Loop: Header=BB222_796 Depth=1
	s_or_b32 exec_lo, exec_lo, s7
.LBB222_820:                            ;   in Loop: Header=BB222_796 Depth=1
	s_or_b32 exec_lo, exec_lo, s4
	s_mov_b32 s4, exec_lo
	v_cmpx_lt_u32_e32 0xffffff, v13
	s_cbranch_execz .LBB222_828
; %bb.821:                              ;   in Loop: Header=BB222_796 Depth=1
	v_mov_b32_e32 v8, v7
	v_mov_b32_e32 v11, v9
	v_cmp_ne_u32_sdwa s13, v13, v68 src0_sel:BYTE_3 src1_sel:DWORD
	v_mov_b32_e32 v10, v8
	s_and_saveexec_b32 s7, s13
	s_cbranch_execz .LBB222_827
; %bb.822:                              ;   in Loop: Header=BB222_796 Depth=1
	v_mov_b32_e32 v11, v7
	v_bfe_u32 v14, v13, 24, 7
	s_mov_b32 s13, exec_lo
	v_mov_b32_e32 v10, v11
	v_mov_b32_e32 v11, v12
	v_cmpx_ne_u32_e32 0x7f, v14
	s_cbranch_execz .LBB222_826
; %bb.823:                              ;   in Loop: Header=BB222_796 Depth=1
	v_mov_b32_e32 v6, 7
	v_lshrrev_b32_e32 v8, 3, v14
	s_mov_b32 s15, exec_lo
	v_and_b32_sdwa v6, v13, v6 dst_sel:DWORD dst_unused:UNUSED_PAD src0_sel:BYTE_3 src1_sel:DWORD
	v_cmpx_gt_u32_e32 8, v14
; %bb.824:                              ;   in Loop: Header=BB222_796 Depth=1
	v_ffbh_u32_e32 v8, v6
	v_min_u32_e32 v8, 32, v8
	v_subrev_nc_u32_e32 v10, 28, v8
	v_sub_nc_u32_e32 v8, 29, v8
	v_lshlrev_b64 v[10:11], v10, v[6:7]
	v_and_b32_e32 v6, 7, v10
; %bb.825:                              ;   in Loop: Header=BB222_796 Depth=1
	s_or_b32 exec_lo, exec_lo, s15
	v_mov_b32_e32 v10, 24
	v_lshlrev_b32_e32 v6, 20, v6
	v_lshl_add_u32 v8, v8, 23, 0x3c000000
	v_lshlrev_b32_sdwa v10, v10, v13 dst_sel:DWORD dst_unused:UNUSED_PAD src0_sel:DWORD src1_sel:BYTE_3
	v_and_b32_e32 v10, 0x80000000, v10
	v_or3_b32 v11, v6, v10, v8
	v_mov_b32_e32 v10, v7
.LBB222_826:                            ;   in Loop: Header=BB222_796 Depth=1
	s_or_b32 exec_lo, exec_lo, s13
.LBB222_827:                            ;   in Loop: Header=BB222_796 Depth=1
	s_or_b32 exec_lo, exec_lo, s7
.LBB222_828:                            ;   in Loop: Header=BB222_796 Depth=1
	s_or_b32 exec_lo, exec_lo, s4
	buffer_load_dword v6, off, s[0:3], s32 offset:192 ; 4-byte Folded Reload
	v_or_b32_e32 v8, v20, v18
	v_or_b32_e32 v13, v19, v17
	;; [unrolled: 1-line block ×4, first 2 shown]
	v_add_nc_u32_e32 v101, -3, v81
	v_add_nc_u32_e32 v103, -2, v81
	;; [unrolled: 1-line block ×3, first 2 shown]
	s_waitcnt vmcnt(0)
	v_add_nc_u32_e32 v6, -1, v6
	v_cmp_eq_u32_e32 vcc_lo, v6, v84
	v_mul_f32_e32 v6, v83, v8
	buffer_store_dword v6, off, s[0:3], s32 offset:212 ; 4-byte Folded Spill
	v_mul_f32_e32 v6, v67, v13
	buffer_store_dword v6, off, s[0:3], s32 offset:220 ; 4-byte Folded Spill
	;; [unrolled: 2-line block ×4, first 2 shown]
	s_and_saveexec_b32 s7, vcc_lo
	s_cbranch_execz .LBB222_830
; %bb.829:                              ;   in Loop: Header=BB222_796 Depth=1
	buffer_load_dword v6, off, s[0:3], s32 offset:220 ; 4-byte Folded Reload
	v_cmp_lt_i32_e64 s4, v101, v116
	s_waitcnt vmcnt(0)
	v_cndmask_b32_e64 v6, 0, v6, s4
	v_cmp_lt_i32_e64 s4, v103, v116
	buffer_store_dword v6, off, s[0:3], s32 offset:220 ; 4-byte Folded Spill
	buffer_load_dword v6, off, s[0:3], s32 offset:212 ; 4-byte Folded Reload
	s_waitcnt vmcnt(0)
	v_cndmask_b32_e64 v6, 0, v6, s4
	v_cmp_lt_i32_e64 s4, v102, v116
	buffer_store_dword v6, off, s[0:3], s32 offset:212 ; 4-byte Folded Spill
	buffer_load_dword v6, off, s[0:3], s32 offset:204 ; 4-byte Folded Reload
	;; [unrolled: 5-line block ×3, first 2 shown]
	s_waitcnt vmcnt(0)
	v_cndmask_b32_e64 v6, 0, v6, s4
	buffer_store_dword v6, off, s[0:3], s32 offset:196 ; 4-byte Folded Spill
.LBB222_830:                            ;   in Loop: Header=BB222_796 Depth=1
	s_or_b32 exec_lo, exec_lo, s7
	flat_load_dword v13, v[0:1] offset:128
	v_mov_b32_e32 v19, 0
	v_mov_b32_e32 v17, 0
	;; [unrolled: 1-line block ×4, first 2 shown]
	s_waitcnt vmcnt(0) lgkmcnt(0)
	v_cmp_ne_u16_sdwa s4, v13, v7 src0_sel:BYTE_0 src1_sel:DWORD
	s_and_saveexec_b32 s7, s4
	s_cbranch_execz .LBB222_838
; %bb.831:                              ;   in Loop: Header=BB222_796 Depth=1
	v_bfrev_b32_e32 v17, 1
	v_mov_b32_e32 v18, 0
	v_cmp_ne_u16_sdwa s4, v13, v68 src0_sel:BYTE_0 src1_sel:DWORD
	s_and_saveexec_b32 s13, s4
	s_cbranch_execz .LBB222_837
; %bb.832:                              ;   in Loop: Header=BB222_796 Depth=1
	v_mov_b32_e32 v17, 0x7f800001
	v_and_b32_e32 v10, 0x7f, v13
	v_mov_b32_e32 v18, 0
	s_mov_b32 s15, exec_lo
	v_cmpx_ne_u32_e32 0x7f, v10
	s_cbranch_execz .LBB222_836
; %bb.833:                              ;   in Loop: Header=BB222_796 Depth=1
	v_and_b32_e32 v6, 7, v13
	v_lshrrev_b32_e32 v8, 3, v10
	s_mov_b32 s18, exec_lo
	v_cmpx_gt_u32_e32 8, v10
; %bb.834:                              ;   in Loop: Header=BB222_796 Depth=1
	v_ffbh_u32_e32 v8, v6
	v_min_u32_e32 v8, 32, v8
	v_subrev_nc_u32_e32 v10, 28, v8
	v_sub_nc_u32_e32 v8, 29, v8
	v_lshlrev_b64 v[10:11], v10, v[6:7]
	v_and_b32_e32 v6, 7, v10
; %bb.835:                              ;   in Loop: Header=BB222_796 Depth=1
	s_or_b32 exec_lo, exec_lo, s18
	v_lshlrev_b32_e32 v10, 24, v13
	v_lshlrev_b32_e32 v6, 20, v6
	v_lshl_add_u32 v8, v8, 23, 0x3c000000
	v_and_b32_e32 v10, 0x80000000, v10
	v_or3_b32 v6, v6, v10, v8
	v_mov_b32_e32 v18, v7
	v_mov_b32_e32 v17, v6
.LBB222_836:                            ;   in Loop: Header=BB222_796 Depth=1
	s_or_b32 exec_lo, exec_lo, s15
.LBB222_837:                            ;   in Loop: Header=BB222_796 Depth=1
	s_or_b32 exec_lo, exec_lo, s13
.LBB222_838:                            ;   in Loop: Header=BB222_796 Depth=1
	s_or_b32 exec_lo, exec_lo, s7
	v_cmp_ne_u16_sdwa s4, v13, v7 src0_sel:BYTE_1 src1_sel:DWORD
	s_and_saveexec_b32 s7, s4
	s_cbranch_execz .LBB222_846
; %bb.839:                              ;   in Loop: Header=BB222_796 Depth=1
	v_mov_b32_e32 v8, v7
	v_mov_b32_e32 v20, v9
	v_cmp_ne_u16_sdwa s4, v13, v68 src0_sel:BYTE_1 src1_sel:DWORD
	v_mov_b32_e32 v19, v8
	s_and_saveexec_b32 s13, s4
	s_cbranch_execz .LBB222_845
; %bb.840:                              ;   in Loop: Header=BB222_796 Depth=1
	v_and_b32_sdwa v6, v44, v13 dst_sel:DWORD dst_unused:UNUSED_PAD src0_sel:DWORD src1_sel:BYTE_1
	v_mov_b32_e32 v11, v7
	v_mov_b32_e32 v20, v12
	s_mov_b32 s15, exec_lo
	v_and_b32_e32 v10, 0x7f, v6
	v_mov_b32_e32 v19, v11
	v_cmpx_ne_u32_e32 0x7f, v10
	s_cbranch_execz .LBB222_844
; %bb.841:                              ;   in Loop: Header=BB222_796 Depth=1
	v_and_b32_e32 v6, 7, v6
	v_lshrrev_b32_e32 v8, 3, v10
	s_mov_b32 s18, exec_lo
	v_cmpx_gt_u32_e32 8, v10
; %bb.842:                              ;   in Loop: Header=BB222_796 Depth=1
	v_ffbh_u32_e32 v8, v6
	v_min_u32_e32 v8, 32, v8
	v_subrev_nc_u32_e32 v10, 28, v8
	v_sub_nc_u32_e32 v8, 29, v8
	v_lshlrev_b64 v[10:11], v10, v[6:7]
	v_and_b32_e32 v6, 7, v10
; %bb.843:                              ;   in Loop: Header=BB222_796 Depth=1
	s_or_b32 exec_lo, exec_lo, s18
	v_lshlrev_b32_e32 v10, 16, v13
	v_lshlrev_b32_e32 v6, 20, v6
	v_lshl_add_u32 v8, v8, 23, 0x3c000000
	v_mov_b32_e32 v19, v7
	v_and_b32_e32 v10, 0x80000000, v10
	v_or3_b32 v20, v6, v10, v8
.LBB222_844:                            ;   in Loop: Header=BB222_796 Depth=1
	s_or_b32 exec_lo, exec_lo, s15
.LBB222_845:                            ;   in Loop: Header=BB222_796 Depth=1
	s_or_b32 exec_lo, exec_lo, s13
.LBB222_846:                            ;   in Loop: Header=BB222_796 Depth=1
	s_or_b32 exec_lo, exec_lo, s7
	v_mov_b32_e32 v10, 0
	v_mov_b32_e32 v21, 0
	v_and_b32_sdwa v6, v13, v70 dst_sel:DWORD dst_unused:UNUSED_PAD src0_sel:WORD_1 src1_sel:DWORD
	v_mov_b32_e32 v11, 0
	v_mov_b32_e32 v22, 0
	s_mov_b32 s7, exec_lo
	v_cmpx_ne_u16_e32 0, v6
	s_cbranch_execz .LBB222_854
; %bb.847:                              ;   in Loop: Header=BB222_796 Depth=1
	v_bfrev_b32_e32 v21, 1
	v_mov_b32_e32 v22, 0
	s_mov_b32 s13, exec_lo
	v_cmpx_ne_u16_e32 0x80, v6
	s_cbranch_execz .LBB222_853
; %bb.848:                              ;   in Loop: Header=BB222_796 Depth=1
	v_mov_b32_e32 v21, 0x7f800001
	v_bfe_u32 v14, v13, 16, 7
	v_mov_b32_e32 v22, 0
	s_mov_b32 s15, exec_lo
	v_cmpx_ne_u32_e32 0x7f, v14
	s_cbranch_execz .LBB222_852
; %bb.849:                              ;   in Loop: Header=BB222_796 Depth=1
	v_mov_b32_e32 v6, 7
	v_lshrrev_b32_e32 v8, 3, v14
	s_mov_b32 s18, exec_lo
	v_and_b32_sdwa v6, v13, v6 dst_sel:DWORD dst_unused:UNUSED_PAD src0_sel:WORD_1 src1_sel:DWORD
	v_cmpx_gt_u32_e32 8, v14
; %bb.850:                              ;   in Loop: Header=BB222_796 Depth=1
	v_ffbh_u32_e32 v8, v6
	v_min_u32_e32 v8, 32, v8
	v_subrev_nc_u32_e32 v14, 28, v8
	v_sub_nc_u32_e32 v8, 29, v8
	v_lshlrev_b64 v[21:22], v14, v[6:7]
	v_and_b32_e32 v6, 7, v21
; %bb.851:                              ;   in Loop: Header=BB222_796 Depth=1
	s_or_b32 exec_lo, exec_lo, s18
	v_mov_b32_e32 v14, 24
	v_lshlrev_b32_e32 v6, 20, v6
	v_lshl_add_u32 v8, v8, 23, 0x3c000000
	v_lshlrev_b32_sdwa v14, v14, v13 dst_sel:DWORD dst_unused:UNUSED_PAD src0_sel:DWORD src1_sel:WORD_1
	v_and_b32_e32 v14, 0x80000000, v14
	v_or3_b32 v6, v6, v14, v8
	v_mov_b32_e32 v22, v7
	v_mov_b32_e32 v21, v6
.LBB222_852:                            ;   in Loop: Header=BB222_796 Depth=1
	s_or_b32 exec_lo, exec_lo, s15
.LBB222_853:                            ;   in Loop: Header=BB222_796 Depth=1
	s_or_b32 exec_lo, exec_lo, s13
.LBB222_854:                            ;   in Loop: Header=BB222_796 Depth=1
	s_or_b32 exec_lo, exec_lo, s7
	s_mov_b32 s7, exec_lo
	v_cmpx_lt_u32_e32 0xffffff, v13
	s_cbranch_execz .LBB222_862
; %bb.855:                              ;   in Loop: Header=BB222_796 Depth=1
	v_mov_b32_e32 v8, v7
	v_mov_b32_e32 v11, v9
	v_cmp_ne_u32_sdwa s4, v13, v68 src0_sel:BYTE_3 src1_sel:DWORD
	v_mov_b32_e32 v10, v8
	s_and_saveexec_b32 s13, s4
	s_cbranch_execz .LBB222_861
; %bb.856:                              ;   in Loop: Header=BB222_796 Depth=1
	v_mov_b32_e32 v11, v7
	v_bfe_u32 v14, v13, 24, 7
	s_mov_b32 s15, exec_lo
	v_mov_b32_e32 v10, v11
	v_mov_b32_e32 v11, v12
	v_cmpx_ne_u32_e32 0x7f, v14
	s_cbranch_execz .LBB222_860
; %bb.857:                              ;   in Loop: Header=BB222_796 Depth=1
	v_mov_b32_e32 v6, 7
	v_lshrrev_b32_e32 v8, 3, v14
	s_mov_b32 s18, exec_lo
	v_and_b32_sdwa v6, v13, v6 dst_sel:DWORD dst_unused:UNUSED_PAD src0_sel:BYTE_3 src1_sel:DWORD
	v_cmpx_gt_u32_e32 8, v14
; %bb.858:                              ;   in Loop: Header=BB222_796 Depth=1
	v_ffbh_u32_e32 v8, v6
	v_min_u32_e32 v8, 32, v8
	v_subrev_nc_u32_e32 v10, 28, v8
	v_sub_nc_u32_e32 v8, 29, v8
	v_lshlrev_b64 v[10:11], v10, v[6:7]
	v_and_b32_e32 v6, 7, v10
; %bb.859:                              ;   in Loop: Header=BB222_796 Depth=1
	s_or_b32 exec_lo, exec_lo, s18
	v_mov_b32_e32 v10, 24
	v_lshlrev_b32_e32 v6, 20, v6
	v_lshl_add_u32 v8, v8, 23, 0x3c000000
	v_lshlrev_b32_sdwa v10, v10, v13 dst_sel:DWORD dst_unused:UNUSED_PAD src0_sel:DWORD src1_sel:BYTE_3
	v_and_b32_e32 v10, 0x80000000, v10
	v_or3_b32 v11, v6, v10, v8
	v_mov_b32_e32 v10, v7
.LBB222_860:                            ;   in Loop: Header=BB222_796 Depth=1
	s_or_b32 exec_lo, exec_lo, s15
.LBB222_861:                            ;   in Loop: Header=BB222_796 Depth=1
	s_or_b32 exec_lo, exec_lo, s13
.LBB222_862:                            ;   in Loop: Header=BB222_796 Depth=1
	s_or_b32 exec_lo, exec_lo, s7
	v_or_b32_e32 v6, v20, v18
	v_or_b32_e32 v8, v19, v17
	;; [unrolled: 1-line block ×4, first 2 shown]
	v_mul_f32_e32 v6, v83, v6
	buffer_store_dword v6, off, s[0:3], s32 offset:244 ; 4-byte Folded Spill
	v_mul_f32_e32 v6, v67, v8
	buffer_store_dword v6, off, s[0:3], s32 offset:252 ; 4-byte Folded Spill
	;; [unrolled: 2-line block ×4, first 2 shown]
	s_and_saveexec_b32 s7, vcc_lo
	s_cbranch_execz .LBB222_864
; %bb.863:                              ;   in Loop: Header=BB222_796 Depth=1
	buffer_load_dword v6, off, s[0:3], s32 offset:252 ; 4-byte Folded Reload
	v_cmp_lt_i32_e64 s4, v101, v116
	s_waitcnt vmcnt(0)
	v_cndmask_b32_e64 v6, 0, v6, s4
	v_cmp_lt_i32_e64 s4, v103, v116
	buffer_store_dword v6, off, s[0:3], s32 offset:252 ; 4-byte Folded Spill
	buffer_load_dword v6, off, s[0:3], s32 offset:244 ; 4-byte Folded Reload
	s_waitcnt vmcnt(0)
	v_cndmask_b32_e64 v6, 0, v6, s4
	v_cmp_lt_i32_e64 s4, v102, v116
	buffer_store_dword v6, off, s[0:3], s32 offset:244 ; 4-byte Folded Spill
	buffer_load_dword v6, off, s[0:3], s32 offset:236 ; 4-byte Folded Reload
	s_waitcnt vmcnt(0)
	v_cndmask_b32_e64 v6, 0, v6, s4
	v_cmp_lt_i32_e64 s4, v81, v116
	buffer_store_dword v6, off, s[0:3], s32 offset:236 ; 4-byte Folded Spill
	buffer_load_dword v6, off, s[0:3], s32 offset:228 ; 4-byte Folded Reload
	s_waitcnt vmcnt(0)
	v_cndmask_b32_e64 v6, 0, v6, s4
	buffer_store_dword v6, off, s[0:3], s32 offset:228 ; 4-byte Folded Spill
.LBB222_864:                            ;   in Loop: Header=BB222_796 Depth=1
	s_or_b32 exec_lo, exec_lo, s7
	flat_load_dword v13, v[0:1] offset:256
	v_mov_b32_e32 v19, 0
	v_mov_b32_e32 v17, 0
	;; [unrolled: 1-line block ×4, first 2 shown]
	s_waitcnt vmcnt(0) lgkmcnt(0)
	v_cmp_ne_u16_sdwa s4, v13, v7 src0_sel:BYTE_0 src1_sel:DWORD
	s_and_saveexec_b32 s7, s4
	s_cbranch_execz .LBB222_872
; %bb.865:                              ;   in Loop: Header=BB222_796 Depth=1
	v_bfrev_b32_e32 v17, 1
	v_mov_b32_e32 v18, 0
	v_cmp_ne_u16_sdwa s4, v13, v68 src0_sel:BYTE_0 src1_sel:DWORD
	s_and_saveexec_b32 s13, s4
	s_cbranch_execz .LBB222_871
; %bb.866:                              ;   in Loop: Header=BB222_796 Depth=1
	v_mov_b32_e32 v17, 0x7f800001
	v_and_b32_e32 v10, 0x7f, v13
	v_mov_b32_e32 v18, 0
	s_mov_b32 s15, exec_lo
	v_cmpx_ne_u32_e32 0x7f, v10
	s_cbranch_execz .LBB222_870
; %bb.867:                              ;   in Loop: Header=BB222_796 Depth=1
	v_and_b32_e32 v6, 7, v13
	v_lshrrev_b32_e32 v8, 3, v10
	s_mov_b32 s18, exec_lo
	v_cmpx_gt_u32_e32 8, v10
; %bb.868:                              ;   in Loop: Header=BB222_796 Depth=1
	v_ffbh_u32_e32 v8, v6
	v_min_u32_e32 v8, 32, v8
	v_subrev_nc_u32_e32 v10, 28, v8
	v_sub_nc_u32_e32 v8, 29, v8
	v_lshlrev_b64 v[10:11], v10, v[6:7]
	v_and_b32_e32 v6, 7, v10
; %bb.869:                              ;   in Loop: Header=BB222_796 Depth=1
	s_or_b32 exec_lo, exec_lo, s18
	v_lshlrev_b32_e32 v10, 24, v13
	v_lshlrev_b32_e32 v6, 20, v6
	v_lshl_add_u32 v8, v8, 23, 0x3c000000
	v_and_b32_e32 v10, 0x80000000, v10
	v_or3_b32 v6, v6, v10, v8
	v_mov_b32_e32 v18, v7
	v_mov_b32_e32 v17, v6
.LBB222_870:                            ;   in Loop: Header=BB222_796 Depth=1
	s_or_b32 exec_lo, exec_lo, s15
.LBB222_871:                            ;   in Loop: Header=BB222_796 Depth=1
	s_or_b32 exec_lo, exec_lo, s13
.LBB222_872:                            ;   in Loop: Header=BB222_796 Depth=1
	s_or_b32 exec_lo, exec_lo, s7
	v_cmp_ne_u16_sdwa s4, v13, v7 src0_sel:BYTE_1 src1_sel:DWORD
	s_and_saveexec_b32 s7, s4
	s_cbranch_execz .LBB222_880
; %bb.873:                              ;   in Loop: Header=BB222_796 Depth=1
	v_mov_b32_e32 v8, v7
	v_mov_b32_e32 v20, v9
	v_cmp_ne_u16_sdwa s4, v13, v68 src0_sel:BYTE_1 src1_sel:DWORD
	v_mov_b32_e32 v19, v8
	s_and_saveexec_b32 s13, s4
	s_cbranch_execz .LBB222_879
; %bb.874:                              ;   in Loop: Header=BB222_796 Depth=1
	v_and_b32_sdwa v6, v44, v13 dst_sel:DWORD dst_unused:UNUSED_PAD src0_sel:DWORD src1_sel:BYTE_1
	v_mov_b32_e32 v11, v7
	v_mov_b32_e32 v20, v12
	s_mov_b32 s15, exec_lo
	v_and_b32_e32 v10, 0x7f, v6
	v_mov_b32_e32 v19, v11
	v_cmpx_ne_u32_e32 0x7f, v10
	s_cbranch_execz .LBB222_878
; %bb.875:                              ;   in Loop: Header=BB222_796 Depth=1
	v_and_b32_e32 v6, 7, v6
	v_lshrrev_b32_e32 v8, 3, v10
	s_mov_b32 s18, exec_lo
	v_cmpx_gt_u32_e32 8, v10
; %bb.876:                              ;   in Loop: Header=BB222_796 Depth=1
	v_ffbh_u32_e32 v8, v6
	v_min_u32_e32 v8, 32, v8
	v_subrev_nc_u32_e32 v10, 28, v8
	v_sub_nc_u32_e32 v8, 29, v8
	v_lshlrev_b64 v[10:11], v10, v[6:7]
	v_and_b32_e32 v6, 7, v10
; %bb.877:                              ;   in Loop: Header=BB222_796 Depth=1
	s_or_b32 exec_lo, exec_lo, s18
	v_lshlrev_b32_e32 v10, 16, v13
	v_lshlrev_b32_e32 v6, 20, v6
	v_lshl_add_u32 v8, v8, 23, 0x3c000000
	v_mov_b32_e32 v19, v7
	v_and_b32_e32 v10, 0x80000000, v10
	v_or3_b32 v20, v6, v10, v8
.LBB222_878:                            ;   in Loop: Header=BB222_796 Depth=1
	s_or_b32 exec_lo, exec_lo, s15
.LBB222_879:                            ;   in Loop: Header=BB222_796 Depth=1
	s_or_b32 exec_lo, exec_lo, s13
.LBB222_880:                            ;   in Loop: Header=BB222_796 Depth=1
	s_or_b32 exec_lo, exec_lo, s7
	v_mov_b32_e32 v10, 0
	v_mov_b32_e32 v21, 0
	v_and_b32_sdwa v6, v13, v70 dst_sel:DWORD dst_unused:UNUSED_PAD src0_sel:WORD_1 src1_sel:DWORD
	v_mov_b32_e32 v11, 0
	v_mov_b32_e32 v22, 0
	s_mov_b32 s7, exec_lo
	v_cmpx_ne_u16_e32 0, v6
	s_cbranch_execz .LBB222_888
; %bb.881:                              ;   in Loop: Header=BB222_796 Depth=1
	v_bfrev_b32_e32 v21, 1
	v_mov_b32_e32 v22, 0
	s_mov_b32 s13, exec_lo
	v_cmpx_ne_u16_e32 0x80, v6
	s_cbranch_execz .LBB222_887
; %bb.882:                              ;   in Loop: Header=BB222_796 Depth=1
	v_mov_b32_e32 v21, 0x7f800001
	v_bfe_u32 v14, v13, 16, 7
	v_mov_b32_e32 v22, 0
	s_mov_b32 s15, exec_lo
	v_cmpx_ne_u32_e32 0x7f, v14
	s_cbranch_execz .LBB222_886
; %bb.883:                              ;   in Loop: Header=BB222_796 Depth=1
	v_mov_b32_e32 v6, 7
	v_lshrrev_b32_e32 v8, 3, v14
	s_mov_b32 s18, exec_lo
	v_and_b32_sdwa v6, v13, v6 dst_sel:DWORD dst_unused:UNUSED_PAD src0_sel:WORD_1 src1_sel:DWORD
	v_cmpx_gt_u32_e32 8, v14
; %bb.884:                              ;   in Loop: Header=BB222_796 Depth=1
	v_ffbh_u32_e32 v8, v6
	v_min_u32_e32 v8, 32, v8
	v_subrev_nc_u32_e32 v14, 28, v8
	v_sub_nc_u32_e32 v8, 29, v8
	v_lshlrev_b64 v[21:22], v14, v[6:7]
	v_and_b32_e32 v6, 7, v21
; %bb.885:                              ;   in Loop: Header=BB222_796 Depth=1
	s_or_b32 exec_lo, exec_lo, s18
	v_mov_b32_e32 v14, 24
	v_lshlrev_b32_e32 v6, 20, v6
	v_lshl_add_u32 v8, v8, 23, 0x3c000000
	v_lshlrev_b32_sdwa v14, v14, v13 dst_sel:DWORD dst_unused:UNUSED_PAD src0_sel:DWORD src1_sel:WORD_1
	v_and_b32_e32 v14, 0x80000000, v14
	v_or3_b32 v6, v6, v14, v8
	v_mov_b32_e32 v22, v7
	v_mov_b32_e32 v21, v6
.LBB222_886:                            ;   in Loop: Header=BB222_796 Depth=1
	s_or_b32 exec_lo, exec_lo, s15
.LBB222_887:                            ;   in Loop: Header=BB222_796 Depth=1
	s_or_b32 exec_lo, exec_lo, s13
.LBB222_888:                            ;   in Loop: Header=BB222_796 Depth=1
	s_or_b32 exec_lo, exec_lo, s7
	s_mov_b32 s7, exec_lo
	v_cmpx_lt_u32_e32 0xffffff, v13
	s_cbranch_execz .LBB222_896
; %bb.889:                              ;   in Loop: Header=BB222_796 Depth=1
	v_mov_b32_e32 v8, v7
	v_mov_b32_e32 v11, v9
	v_cmp_ne_u32_sdwa s4, v13, v68 src0_sel:BYTE_3 src1_sel:DWORD
	v_mov_b32_e32 v10, v8
	s_and_saveexec_b32 s13, s4
	s_cbranch_execz .LBB222_895
; %bb.890:                              ;   in Loop: Header=BB222_796 Depth=1
	v_mov_b32_e32 v11, v7
	v_bfe_u32 v14, v13, 24, 7
	s_mov_b32 s15, exec_lo
	v_mov_b32_e32 v10, v11
	v_mov_b32_e32 v11, v12
	v_cmpx_ne_u32_e32 0x7f, v14
	s_cbranch_execz .LBB222_894
; %bb.891:                              ;   in Loop: Header=BB222_796 Depth=1
	v_mov_b32_e32 v6, 7
	v_lshrrev_b32_e32 v8, 3, v14
	s_mov_b32 s18, exec_lo
	v_and_b32_sdwa v6, v13, v6 dst_sel:DWORD dst_unused:UNUSED_PAD src0_sel:BYTE_3 src1_sel:DWORD
	v_cmpx_gt_u32_e32 8, v14
; %bb.892:                              ;   in Loop: Header=BB222_796 Depth=1
	v_ffbh_u32_e32 v8, v6
	v_min_u32_e32 v8, 32, v8
	v_subrev_nc_u32_e32 v10, 28, v8
	v_sub_nc_u32_e32 v8, 29, v8
	v_lshlrev_b64 v[10:11], v10, v[6:7]
	v_and_b32_e32 v6, 7, v10
; %bb.893:                              ;   in Loop: Header=BB222_796 Depth=1
	s_or_b32 exec_lo, exec_lo, s18
	v_mov_b32_e32 v10, 24
	v_lshlrev_b32_e32 v6, 20, v6
	v_lshl_add_u32 v8, v8, 23, 0x3c000000
	v_lshlrev_b32_sdwa v10, v10, v13 dst_sel:DWORD dst_unused:UNUSED_PAD src0_sel:DWORD src1_sel:BYTE_3
	v_and_b32_e32 v10, 0x80000000, v10
	v_or3_b32 v11, v6, v10, v8
	v_mov_b32_e32 v10, v7
.LBB222_894:                            ;   in Loop: Header=BB222_796 Depth=1
	s_or_b32 exec_lo, exec_lo, s15
.LBB222_895:                            ;   in Loop: Header=BB222_796 Depth=1
	s_or_b32 exec_lo, exec_lo, s13
.LBB222_896:                            ;   in Loop: Header=BB222_796 Depth=1
	s_or_b32 exec_lo, exec_lo, s7
	v_or_b32_e32 v6, v20, v18
	v_or_b32_e32 v8, v19, v17
	;; [unrolled: 1-line block ×4, first 2 shown]
	v_mul_f32_e32 v6, v83, v6
	buffer_store_dword v6, off, s[0:3], s32 offset:276 ; 4-byte Folded Spill
	v_mul_f32_e32 v6, v67, v8
	buffer_store_dword v6, off, s[0:3], s32 offset:284 ; 4-byte Folded Spill
	;; [unrolled: 2-line block ×4, first 2 shown]
	s_and_saveexec_b32 s7, vcc_lo
	s_cbranch_execz .LBB222_898
; %bb.897:                              ;   in Loop: Header=BB222_796 Depth=1
	buffer_load_dword v6, off, s[0:3], s32 offset:284 ; 4-byte Folded Reload
	v_cmp_lt_i32_e64 s4, v101, v116
	s_waitcnt vmcnt(0)
	v_cndmask_b32_e64 v6, 0, v6, s4
	v_cmp_lt_i32_e64 s4, v103, v116
	buffer_store_dword v6, off, s[0:3], s32 offset:284 ; 4-byte Folded Spill
	buffer_load_dword v6, off, s[0:3], s32 offset:276 ; 4-byte Folded Reload
	s_waitcnt vmcnt(0)
	v_cndmask_b32_e64 v6, 0, v6, s4
	v_cmp_lt_i32_e64 s4, v102, v116
	buffer_store_dword v6, off, s[0:3], s32 offset:276 ; 4-byte Folded Spill
	buffer_load_dword v6, off, s[0:3], s32 offset:268 ; 4-byte Folded Reload
	;; [unrolled: 5-line block ×3, first 2 shown]
	s_waitcnt vmcnt(0)
	v_cndmask_b32_e64 v6, 0, v6, s4
	buffer_store_dword v6, off, s[0:3], s32 offset:260 ; 4-byte Folded Spill
.LBB222_898:                            ;   in Loop: Header=BB222_796 Depth=1
	s_or_b32 exec_lo, exec_lo, s7
	flat_load_dword v13, v[0:1] offset:384
	v_mov_b32_e32 v19, 0
	v_mov_b32_e32 v17, 0
	;; [unrolled: 1-line block ×4, first 2 shown]
	s_waitcnt vmcnt(0) lgkmcnt(0)
	v_cmp_ne_u16_sdwa s4, v13, v7 src0_sel:BYTE_0 src1_sel:DWORD
	s_and_saveexec_b32 s7, s4
	s_cbranch_execz .LBB222_906
; %bb.899:                              ;   in Loop: Header=BB222_796 Depth=1
	v_bfrev_b32_e32 v17, 1
	v_mov_b32_e32 v18, 0
	v_cmp_ne_u16_sdwa s4, v13, v68 src0_sel:BYTE_0 src1_sel:DWORD
	s_and_saveexec_b32 s13, s4
	s_cbranch_execz .LBB222_905
; %bb.900:                              ;   in Loop: Header=BB222_796 Depth=1
	v_mov_b32_e32 v17, 0x7f800001
	v_and_b32_e32 v10, 0x7f, v13
	v_mov_b32_e32 v18, 0
	s_mov_b32 s15, exec_lo
	v_cmpx_ne_u32_e32 0x7f, v10
	s_cbranch_execz .LBB222_904
; %bb.901:                              ;   in Loop: Header=BB222_796 Depth=1
	v_and_b32_e32 v6, 7, v13
	v_lshrrev_b32_e32 v8, 3, v10
	s_mov_b32 s18, exec_lo
	v_cmpx_gt_u32_e32 8, v10
; %bb.902:                              ;   in Loop: Header=BB222_796 Depth=1
	v_ffbh_u32_e32 v8, v6
	v_min_u32_e32 v8, 32, v8
	v_subrev_nc_u32_e32 v10, 28, v8
	v_sub_nc_u32_e32 v8, 29, v8
	v_lshlrev_b64 v[10:11], v10, v[6:7]
	v_and_b32_e32 v6, 7, v10
; %bb.903:                              ;   in Loop: Header=BB222_796 Depth=1
	s_or_b32 exec_lo, exec_lo, s18
	v_lshlrev_b32_e32 v10, 24, v13
	v_lshlrev_b32_e32 v6, 20, v6
	v_lshl_add_u32 v8, v8, 23, 0x3c000000
	v_and_b32_e32 v10, 0x80000000, v10
	v_or3_b32 v6, v6, v10, v8
	v_mov_b32_e32 v18, v7
	v_mov_b32_e32 v17, v6
.LBB222_904:                            ;   in Loop: Header=BB222_796 Depth=1
	s_or_b32 exec_lo, exec_lo, s15
.LBB222_905:                            ;   in Loop: Header=BB222_796 Depth=1
	s_or_b32 exec_lo, exec_lo, s13
.LBB222_906:                            ;   in Loop: Header=BB222_796 Depth=1
	s_or_b32 exec_lo, exec_lo, s7
	v_cmp_ne_u16_sdwa s4, v13, v7 src0_sel:BYTE_1 src1_sel:DWORD
	s_and_saveexec_b32 s7, s4
	s_cbranch_execz .LBB222_914
; %bb.907:                              ;   in Loop: Header=BB222_796 Depth=1
	v_mov_b32_e32 v8, v7
	v_mov_b32_e32 v20, v9
	v_cmp_ne_u16_sdwa s4, v13, v68 src0_sel:BYTE_1 src1_sel:DWORD
	v_mov_b32_e32 v19, v8
	s_and_saveexec_b32 s13, s4
	s_cbranch_execz .LBB222_913
; %bb.908:                              ;   in Loop: Header=BB222_796 Depth=1
	v_and_b32_sdwa v6, v44, v13 dst_sel:DWORD dst_unused:UNUSED_PAD src0_sel:DWORD src1_sel:BYTE_1
	v_mov_b32_e32 v11, v7
	v_mov_b32_e32 v20, v12
	s_mov_b32 s15, exec_lo
	v_and_b32_e32 v10, 0x7f, v6
	v_mov_b32_e32 v19, v11
	v_cmpx_ne_u32_e32 0x7f, v10
	s_cbranch_execz .LBB222_912
; %bb.909:                              ;   in Loop: Header=BB222_796 Depth=1
	v_and_b32_e32 v6, 7, v6
	v_lshrrev_b32_e32 v8, 3, v10
	s_mov_b32 s18, exec_lo
	v_cmpx_gt_u32_e32 8, v10
; %bb.910:                              ;   in Loop: Header=BB222_796 Depth=1
	v_ffbh_u32_e32 v8, v6
	v_min_u32_e32 v8, 32, v8
	v_subrev_nc_u32_e32 v10, 28, v8
	v_sub_nc_u32_e32 v8, 29, v8
	v_lshlrev_b64 v[10:11], v10, v[6:7]
	v_and_b32_e32 v6, 7, v10
; %bb.911:                              ;   in Loop: Header=BB222_796 Depth=1
	s_or_b32 exec_lo, exec_lo, s18
	v_lshlrev_b32_e32 v10, 16, v13
	v_lshlrev_b32_e32 v6, 20, v6
	v_lshl_add_u32 v8, v8, 23, 0x3c000000
	v_mov_b32_e32 v19, v7
	v_and_b32_e32 v10, 0x80000000, v10
	v_or3_b32 v20, v6, v10, v8
.LBB222_912:                            ;   in Loop: Header=BB222_796 Depth=1
	s_or_b32 exec_lo, exec_lo, s15
.LBB222_913:                            ;   in Loop: Header=BB222_796 Depth=1
	s_or_b32 exec_lo, exec_lo, s13
.LBB222_914:                            ;   in Loop: Header=BB222_796 Depth=1
	s_or_b32 exec_lo, exec_lo, s7
	v_mov_b32_e32 v10, 0
	v_mov_b32_e32 v21, 0
	v_and_b32_sdwa v6, v13, v70 dst_sel:DWORD dst_unused:UNUSED_PAD src0_sel:WORD_1 src1_sel:DWORD
	v_mov_b32_e32 v11, 0
	v_mov_b32_e32 v22, 0
	s_mov_b32 s7, exec_lo
	v_cmpx_ne_u16_e32 0, v6
	s_cbranch_execz .LBB222_922
; %bb.915:                              ;   in Loop: Header=BB222_796 Depth=1
	v_bfrev_b32_e32 v21, 1
	v_mov_b32_e32 v22, 0
	s_mov_b32 s13, exec_lo
	v_cmpx_ne_u16_e32 0x80, v6
	s_cbranch_execz .LBB222_921
; %bb.916:                              ;   in Loop: Header=BB222_796 Depth=1
	v_mov_b32_e32 v21, 0x7f800001
	v_bfe_u32 v14, v13, 16, 7
	v_mov_b32_e32 v22, 0
	s_mov_b32 s15, exec_lo
	v_cmpx_ne_u32_e32 0x7f, v14
	s_cbranch_execz .LBB222_920
; %bb.917:                              ;   in Loop: Header=BB222_796 Depth=1
	v_mov_b32_e32 v6, 7
	v_lshrrev_b32_e32 v8, 3, v14
	s_mov_b32 s18, exec_lo
	v_and_b32_sdwa v6, v13, v6 dst_sel:DWORD dst_unused:UNUSED_PAD src0_sel:WORD_1 src1_sel:DWORD
	v_cmpx_gt_u32_e32 8, v14
; %bb.918:                              ;   in Loop: Header=BB222_796 Depth=1
	v_ffbh_u32_e32 v8, v6
	v_min_u32_e32 v8, 32, v8
	v_subrev_nc_u32_e32 v14, 28, v8
	v_sub_nc_u32_e32 v8, 29, v8
	v_lshlrev_b64 v[21:22], v14, v[6:7]
	v_and_b32_e32 v6, 7, v21
; %bb.919:                              ;   in Loop: Header=BB222_796 Depth=1
	s_or_b32 exec_lo, exec_lo, s18
	v_mov_b32_e32 v14, 24
	v_lshlrev_b32_e32 v6, 20, v6
	v_lshl_add_u32 v8, v8, 23, 0x3c000000
	v_lshlrev_b32_sdwa v14, v14, v13 dst_sel:DWORD dst_unused:UNUSED_PAD src0_sel:DWORD src1_sel:WORD_1
	v_and_b32_e32 v14, 0x80000000, v14
	v_or3_b32 v6, v6, v14, v8
	v_mov_b32_e32 v22, v7
	v_mov_b32_e32 v21, v6
.LBB222_920:                            ;   in Loop: Header=BB222_796 Depth=1
	s_or_b32 exec_lo, exec_lo, s15
.LBB222_921:                            ;   in Loop: Header=BB222_796 Depth=1
	s_or_b32 exec_lo, exec_lo, s13
.LBB222_922:                            ;   in Loop: Header=BB222_796 Depth=1
	s_or_b32 exec_lo, exec_lo, s7
	s_mov_b32 s7, exec_lo
	v_cmpx_lt_u32_e32 0xffffff, v13
	s_cbranch_execz .LBB222_930
; %bb.923:                              ;   in Loop: Header=BB222_796 Depth=1
	v_mov_b32_e32 v8, v7
	v_mov_b32_e32 v11, v9
	v_cmp_ne_u32_sdwa s4, v13, v68 src0_sel:BYTE_3 src1_sel:DWORD
	v_mov_b32_e32 v10, v8
	s_and_saveexec_b32 s13, s4
	s_cbranch_execz .LBB222_929
; %bb.924:                              ;   in Loop: Header=BB222_796 Depth=1
	v_mov_b32_e32 v11, v7
	v_bfe_u32 v14, v13, 24, 7
	s_mov_b32 s15, exec_lo
	v_mov_b32_e32 v10, v11
	v_mov_b32_e32 v11, v12
	v_cmpx_ne_u32_e32 0x7f, v14
	s_cbranch_execz .LBB222_928
; %bb.925:                              ;   in Loop: Header=BB222_796 Depth=1
	v_mov_b32_e32 v6, 7
	v_lshrrev_b32_e32 v8, 3, v14
	s_mov_b32 s18, exec_lo
	v_and_b32_sdwa v6, v13, v6 dst_sel:DWORD dst_unused:UNUSED_PAD src0_sel:BYTE_3 src1_sel:DWORD
	v_cmpx_gt_u32_e32 8, v14
; %bb.926:                              ;   in Loop: Header=BB222_796 Depth=1
	v_ffbh_u32_e32 v8, v6
	v_min_u32_e32 v8, 32, v8
	v_subrev_nc_u32_e32 v10, 28, v8
	v_sub_nc_u32_e32 v8, 29, v8
	v_lshlrev_b64 v[10:11], v10, v[6:7]
	v_and_b32_e32 v6, 7, v10
; %bb.927:                              ;   in Loop: Header=BB222_796 Depth=1
	s_or_b32 exec_lo, exec_lo, s18
	v_mov_b32_e32 v10, 24
	v_lshlrev_b32_e32 v6, 20, v6
	v_lshl_add_u32 v8, v8, 23, 0x3c000000
	v_lshlrev_b32_sdwa v10, v10, v13 dst_sel:DWORD dst_unused:UNUSED_PAD src0_sel:DWORD src1_sel:BYTE_3
	v_and_b32_e32 v10, 0x80000000, v10
	v_or3_b32 v11, v6, v10, v8
	v_mov_b32_e32 v10, v7
.LBB222_928:                            ;   in Loop: Header=BB222_796 Depth=1
	s_or_b32 exec_lo, exec_lo, s15
.LBB222_929:                            ;   in Loop: Header=BB222_796 Depth=1
	s_or_b32 exec_lo, exec_lo, s13
.LBB222_930:                            ;   in Loop: Header=BB222_796 Depth=1
	s_or_b32 exec_lo, exec_lo, s7
	v_or_b32_e32 v6, v20, v18
	v_or_b32_e32 v8, v19, v17
	;; [unrolled: 1-line block ×4, first 2 shown]
	v_mul_f32_e32 v6, v83, v6
	buffer_store_dword v6, off, s[0:3], s32 offset:316 ; 4-byte Folded Spill
	v_mul_f32_e32 v6, v67, v8
	buffer_store_dword v6, off, s[0:3], s32 offset:308 ; 4-byte Folded Spill
	;; [unrolled: 2-line block ×4, first 2 shown]
	s_and_saveexec_b32 s7, vcc_lo
	s_cbranch_execz .LBB222_932
; %bb.931:                              ;   in Loop: Header=BB222_796 Depth=1
	buffer_load_dword v6, off, s[0:3], s32 offset:308 ; 4-byte Folded Reload
	v_cmp_lt_i32_e64 s4, v101, v116
	s_waitcnt vmcnt(0)
	v_cndmask_b32_e64 v6, 0, v6, s4
	v_cmp_lt_i32_e64 s4, v103, v116
	buffer_store_dword v6, off, s[0:3], s32 offset:308 ; 4-byte Folded Spill
	buffer_load_dword v6, off, s[0:3], s32 offset:316 ; 4-byte Folded Reload
	s_waitcnt vmcnt(0)
	v_cndmask_b32_e64 v6, 0, v6, s4
	v_cmp_lt_i32_e64 s4, v102, v116
	buffer_store_dword v6, off, s[0:3], s32 offset:316 ; 4-byte Folded Spill
	buffer_load_dword v6, off, s[0:3], s32 offset:300 ; 4-byte Folded Reload
	;; [unrolled: 5-line block ×3, first 2 shown]
	s_waitcnt vmcnt(0)
	v_cndmask_b32_e64 v6, 0, v6, s4
	buffer_store_dword v6, off, s[0:3], s32 offset:292 ; 4-byte Folded Spill
.LBB222_932:                            ;   in Loop: Header=BB222_796 Depth=1
	s_or_b32 exec_lo, exec_lo, s7
	flat_load_dword v13, v[0:1] offset:512
	v_mov_b32_e32 v19, 0
	v_mov_b32_e32 v17, 0
	;; [unrolled: 1-line block ×4, first 2 shown]
	s_waitcnt vmcnt(0) lgkmcnt(0)
	v_cmp_ne_u16_sdwa s4, v13, v7 src0_sel:BYTE_0 src1_sel:DWORD
	s_and_saveexec_b32 s7, s4
	s_cbranch_execz .LBB222_940
; %bb.933:                              ;   in Loop: Header=BB222_796 Depth=1
	v_bfrev_b32_e32 v17, 1
	v_mov_b32_e32 v18, 0
	v_cmp_ne_u16_sdwa s4, v13, v68 src0_sel:BYTE_0 src1_sel:DWORD
	s_and_saveexec_b32 s13, s4
	s_cbranch_execz .LBB222_939
; %bb.934:                              ;   in Loop: Header=BB222_796 Depth=1
	v_mov_b32_e32 v17, 0x7f800001
	v_and_b32_e32 v10, 0x7f, v13
	v_mov_b32_e32 v18, 0
	s_mov_b32 s15, exec_lo
	v_cmpx_ne_u32_e32 0x7f, v10
	s_cbranch_execz .LBB222_938
; %bb.935:                              ;   in Loop: Header=BB222_796 Depth=1
	v_and_b32_e32 v6, 7, v13
	v_lshrrev_b32_e32 v8, 3, v10
	s_mov_b32 s18, exec_lo
	v_cmpx_gt_u32_e32 8, v10
; %bb.936:                              ;   in Loop: Header=BB222_796 Depth=1
	v_ffbh_u32_e32 v8, v6
	v_min_u32_e32 v8, 32, v8
	v_subrev_nc_u32_e32 v10, 28, v8
	v_sub_nc_u32_e32 v8, 29, v8
	v_lshlrev_b64 v[10:11], v10, v[6:7]
	v_and_b32_e32 v6, 7, v10
; %bb.937:                              ;   in Loop: Header=BB222_796 Depth=1
	s_or_b32 exec_lo, exec_lo, s18
	v_lshlrev_b32_e32 v10, 24, v13
	v_lshlrev_b32_e32 v6, 20, v6
	v_lshl_add_u32 v8, v8, 23, 0x3c000000
	v_and_b32_e32 v10, 0x80000000, v10
	v_or3_b32 v6, v6, v10, v8
	v_mov_b32_e32 v18, v7
	v_mov_b32_e32 v17, v6
.LBB222_938:                            ;   in Loop: Header=BB222_796 Depth=1
	s_or_b32 exec_lo, exec_lo, s15
.LBB222_939:                            ;   in Loop: Header=BB222_796 Depth=1
	s_or_b32 exec_lo, exec_lo, s13
.LBB222_940:                            ;   in Loop: Header=BB222_796 Depth=1
	s_or_b32 exec_lo, exec_lo, s7
	v_cmp_ne_u16_sdwa s4, v13, v7 src0_sel:BYTE_1 src1_sel:DWORD
	s_and_saveexec_b32 s7, s4
	s_cbranch_execz .LBB222_948
; %bb.941:                              ;   in Loop: Header=BB222_796 Depth=1
	v_mov_b32_e32 v8, v7
	v_mov_b32_e32 v20, v9
	v_cmp_ne_u16_sdwa s4, v13, v68 src0_sel:BYTE_1 src1_sel:DWORD
	v_mov_b32_e32 v19, v8
	s_and_saveexec_b32 s13, s4
	s_cbranch_execz .LBB222_947
; %bb.942:                              ;   in Loop: Header=BB222_796 Depth=1
	v_and_b32_sdwa v6, v44, v13 dst_sel:DWORD dst_unused:UNUSED_PAD src0_sel:DWORD src1_sel:BYTE_1
	v_mov_b32_e32 v11, v7
	v_mov_b32_e32 v20, v12
	s_mov_b32 s15, exec_lo
	v_and_b32_e32 v10, 0x7f, v6
	v_mov_b32_e32 v19, v11
	v_cmpx_ne_u32_e32 0x7f, v10
	s_cbranch_execz .LBB222_946
; %bb.943:                              ;   in Loop: Header=BB222_796 Depth=1
	v_and_b32_e32 v6, 7, v6
	v_lshrrev_b32_e32 v8, 3, v10
	s_mov_b32 s18, exec_lo
	v_cmpx_gt_u32_e32 8, v10
; %bb.944:                              ;   in Loop: Header=BB222_796 Depth=1
	v_ffbh_u32_e32 v8, v6
	v_min_u32_e32 v8, 32, v8
	v_subrev_nc_u32_e32 v10, 28, v8
	v_sub_nc_u32_e32 v8, 29, v8
	v_lshlrev_b64 v[10:11], v10, v[6:7]
	v_and_b32_e32 v6, 7, v10
; %bb.945:                              ;   in Loop: Header=BB222_796 Depth=1
	s_or_b32 exec_lo, exec_lo, s18
	v_lshlrev_b32_e32 v10, 16, v13
	v_lshlrev_b32_e32 v6, 20, v6
	v_lshl_add_u32 v8, v8, 23, 0x3c000000
	v_mov_b32_e32 v19, v7
	v_and_b32_e32 v10, 0x80000000, v10
	v_or3_b32 v20, v6, v10, v8
.LBB222_946:                            ;   in Loop: Header=BB222_796 Depth=1
	s_or_b32 exec_lo, exec_lo, s15
.LBB222_947:                            ;   in Loop: Header=BB222_796 Depth=1
	s_or_b32 exec_lo, exec_lo, s13
.LBB222_948:                            ;   in Loop: Header=BB222_796 Depth=1
	s_or_b32 exec_lo, exec_lo, s7
	v_mov_b32_e32 v10, 0
	v_mov_b32_e32 v21, 0
	v_and_b32_sdwa v6, v13, v70 dst_sel:DWORD dst_unused:UNUSED_PAD src0_sel:WORD_1 src1_sel:DWORD
	v_mov_b32_e32 v11, 0
	v_mov_b32_e32 v22, 0
	s_mov_b32 s7, exec_lo
	v_cmpx_ne_u16_e32 0, v6
	s_cbranch_execz .LBB222_956
; %bb.949:                              ;   in Loop: Header=BB222_796 Depth=1
	v_bfrev_b32_e32 v21, 1
	v_mov_b32_e32 v22, 0
	s_mov_b32 s13, exec_lo
	v_cmpx_ne_u16_e32 0x80, v6
	s_cbranch_execz .LBB222_955
; %bb.950:                              ;   in Loop: Header=BB222_796 Depth=1
	v_mov_b32_e32 v21, 0x7f800001
	v_bfe_u32 v14, v13, 16, 7
	v_mov_b32_e32 v22, 0
	s_mov_b32 s15, exec_lo
	v_cmpx_ne_u32_e32 0x7f, v14
	s_cbranch_execz .LBB222_954
; %bb.951:                              ;   in Loop: Header=BB222_796 Depth=1
	v_mov_b32_e32 v6, 7
	v_lshrrev_b32_e32 v8, 3, v14
	s_mov_b32 s18, exec_lo
	v_and_b32_sdwa v6, v13, v6 dst_sel:DWORD dst_unused:UNUSED_PAD src0_sel:WORD_1 src1_sel:DWORD
	v_cmpx_gt_u32_e32 8, v14
; %bb.952:                              ;   in Loop: Header=BB222_796 Depth=1
	v_ffbh_u32_e32 v8, v6
	v_min_u32_e32 v8, 32, v8
	v_subrev_nc_u32_e32 v14, 28, v8
	v_sub_nc_u32_e32 v8, 29, v8
	v_lshlrev_b64 v[21:22], v14, v[6:7]
	v_and_b32_e32 v6, 7, v21
; %bb.953:                              ;   in Loop: Header=BB222_796 Depth=1
	s_or_b32 exec_lo, exec_lo, s18
	v_mov_b32_e32 v14, 24
	v_lshlrev_b32_e32 v6, 20, v6
	v_lshl_add_u32 v8, v8, 23, 0x3c000000
	v_lshlrev_b32_sdwa v14, v14, v13 dst_sel:DWORD dst_unused:UNUSED_PAD src0_sel:DWORD src1_sel:WORD_1
	v_and_b32_e32 v14, 0x80000000, v14
	v_or3_b32 v6, v6, v14, v8
	v_mov_b32_e32 v22, v7
	v_mov_b32_e32 v21, v6
.LBB222_954:                            ;   in Loop: Header=BB222_796 Depth=1
	s_or_b32 exec_lo, exec_lo, s15
.LBB222_955:                            ;   in Loop: Header=BB222_796 Depth=1
	s_or_b32 exec_lo, exec_lo, s13
.LBB222_956:                            ;   in Loop: Header=BB222_796 Depth=1
	s_or_b32 exec_lo, exec_lo, s7
	s_mov_b32 s7, exec_lo
	v_cmpx_lt_u32_e32 0xffffff, v13
	s_cbranch_execz .LBB222_964
; %bb.957:                              ;   in Loop: Header=BB222_796 Depth=1
	v_mov_b32_e32 v8, v7
	v_mov_b32_e32 v11, v9
	v_cmp_ne_u32_sdwa s4, v13, v68 src0_sel:BYTE_3 src1_sel:DWORD
	v_mov_b32_e32 v10, v8
	s_and_saveexec_b32 s13, s4
	s_cbranch_execz .LBB222_963
; %bb.958:                              ;   in Loop: Header=BB222_796 Depth=1
	v_mov_b32_e32 v11, v7
	v_bfe_u32 v14, v13, 24, 7
	s_mov_b32 s15, exec_lo
	v_mov_b32_e32 v10, v11
	v_mov_b32_e32 v11, v12
	v_cmpx_ne_u32_e32 0x7f, v14
	s_cbranch_execz .LBB222_962
; %bb.959:                              ;   in Loop: Header=BB222_796 Depth=1
	v_mov_b32_e32 v6, 7
	v_lshrrev_b32_e32 v8, 3, v14
	s_mov_b32 s18, exec_lo
	v_and_b32_sdwa v6, v13, v6 dst_sel:DWORD dst_unused:UNUSED_PAD src0_sel:BYTE_3 src1_sel:DWORD
	v_cmpx_gt_u32_e32 8, v14
; %bb.960:                              ;   in Loop: Header=BB222_796 Depth=1
	v_ffbh_u32_e32 v8, v6
	v_min_u32_e32 v8, 32, v8
	v_subrev_nc_u32_e32 v10, 28, v8
	v_sub_nc_u32_e32 v8, 29, v8
	v_lshlrev_b64 v[10:11], v10, v[6:7]
	v_and_b32_e32 v6, 7, v10
; %bb.961:                              ;   in Loop: Header=BB222_796 Depth=1
	s_or_b32 exec_lo, exec_lo, s18
	v_mov_b32_e32 v10, 24
	v_lshlrev_b32_e32 v6, 20, v6
	v_lshl_add_u32 v8, v8, 23, 0x3c000000
	v_lshlrev_b32_sdwa v10, v10, v13 dst_sel:DWORD dst_unused:UNUSED_PAD src0_sel:DWORD src1_sel:BYTE_3
	v_and_b32_e32 v10, 0x80000000, v10
	v_or3_b32 v11, v6, v10, v8
	v_mov_b32_e32 v10, v7
.LBB222_962:                            ;   in Loop: Header=BB222_796 Depth=1
	s_or_b32 exec_lo, exec_lo, s15
.LBB222_963:                            ;   in Loop: Header=BB222_796 Depth=1
	s_or_b32 exec_lo, exec_lo, s13
.LBB222_964:                            ;   in Loop: Header=BB222_796 Depth=1
	s_or_b32 exec_lo, exec_lo, s7
	v_or_b32_e32 v6, v20, v18
	v_or_b32_e32 v8, v19, v17
	;; [unrolled: 1-line block ×4, first 2 shown]
	v_mul_f32_e32 v6, v83, v6
	buffer_store_dword v6, off, s[0:3], s32 offset:348 ; 4-byte Folded Spill
	v_mul_f32_e32 v6, v67, v8
	buffer_store_dword v6, off, s[0:3], s32 offset:340 ; 4-byte Folded Spill
	v_mul_f32_e32 v6, v67, v10
	buffer_store_dword v6, off, s[0:3], s32 offset:332 ; 4-byte Folded Spill
	v_mul_f32_e32 v6, v83, v11
	buffer_store_dword v6, off, s[0:3], s32 offset:324 ; 4-byte Folded Spill
	s_and_saveexec_b32 s7, vcc_lo
	s_cbranch_execz .LBB222_966
; %bb.965:                              ;   in Loop: Header=BB222_796 Depth=1
	buffer_load_dword v6, off, s[0:3], s32 offset:340 ; 4-byte Folded Reload
	v_cmp_lt_i32_e64 s4, v101, v116
	s_waitcnt vmcnt(0)
	v_cndmask_b32_e64 v6, 0, v6, s4
	v_cmp_lt_i32_e64 s4, v103, v116
	buffer_store_dword v6, off, s[0:3], s32 offset:340 ; 4-byte Folded Spill
	buffer_load_dword v6, off, s[0:3], s32 offset:348 ; 4-byte Folded Reload
	s_waitcnt vmcnt(0)
	v_cndmask_b32_e64 v6, 0, v6, s4
	v_cmp_lt_i32_e64 s4, v102, v116
	buffer_store_dword v6, off, s[0:3], s32 offset:348 ; 4-byte Folded Spill
	buffer_load_dword v6, off, s[0:3], s32 offset:332 ; 4-byte Folded Reload
	;; [unrolled: 5-line block ×3, first 2 shown]
	s_waitcnt vmcnt(0)
	v_cndmask_b32_e64 v6, 0, v6, s4
	buffer_store_dword v6, off, s[0:3], s32 offset:324 ; 4-byte Folded Spill
.LBB222_966:                            ;   in Loop: Header=BB222_796 Depth=1
	s_or_b32 exec_lo, exec_lo, s7
	flat_load_dword v13, v[0:1] offset:640
	v_mov_b32_e32 v19, 0
	v_mov_b32_e32 v17, 0
	;; [unrolled: 1-line block ×4, first 2 shown]
	s_waitcnt vmcnt(0) lgkmcnt(0)
	v_cmp_ne_u16_sdwa s4, v13, v7 src0_sel:BYTE_0 src1_sel:DWORD
	s_and_saveexec_b32 s7, s4
	s_cbranch_execz .LBB222_974
; %bb.967:                              ;   in Loop: Header=BB222_796 Depth=1
	v_bfrev_b32_e32 v17, 1
	v_mov_b32_e32 v18, 0
	v_cmp_ne_u16_sdwa s4, v13, v68 src0_sel:BYTE_0 src1_sel:DWORD
	s_and_saveexec_b32 s13, s4
	s_cbranch_execz .LBB222_973
; %bb.968:                              ;   in Loop: Header=BB222_796 Depth=1
	v_mov_b32_e32 v17, 0x7f800001
	v_and_b32_e32 v10, 0x7f, v13
	v_mov_b32_e32 v18, 0
	s_mov_b32 s15, exec_lo
	v_cmpx_ne_u32_e32 0x7f, v10
	s_cbranch_execz .LBB222_972
; %bb.969:                              ;   in Loop: Header=BB222_796 Depth=1
	v_and_b32_e32 v6, 7, v13
	v_lshrrev_b32_e32 v8, 3, v10
	s_mov_b32 s18, exec_lo
	v_cmpx_gt_u32_e32 8, v10
; %bb.970:                              ;   in Loop: Header=BB222_796 Depth=1
	v_ffbh_u32_e32 v8, v6
	v_min_u32_e32 v8, 32, v8
	v_subrev_nc_u32_e32 v10, 28, v8
	v_sub_nc_u32_e32 v8, 29, v8
	v_lshlrev_b64 v[10:11], v10, v[6:7]
	v_and_b32_e32 v6, 7, v10
; %bb.971:                              ;   in Loop: Header=BB222_796 Depth=1
	s_or_b32 exec_lo, exec_lo, s18
	v_lshlrev_b32_e32 v10, 24, v13
	v_lshlrev_b32_e32 v6, 20, v6
	v_lshl_add_u32 v8, v8, 23, 0x3c000000
	v_and_b32_e32 v10, 0x80000000, v10
	v_or3_b32 v6, v6, v10, v8
	v_mov_b32_e32 v18, v7
	v_mov_b32_e32 v17, v6
.LBB222_972:                            ;   in Loop: Header=BB222_796 Depth=1
	s_or_b32 exec_lo, exec_lo, s15
.LBB222_973:                            ;   in Loop: Header=BB222_796 Depth=1
	s_or_b32 exec_lo, exec_lo, s13
.LBB222_974:                            ;   in Loop: Header=BB222_796 Depth=1
	s_or_b32 exec_lo, exec_lo, s7
	v_cmp_ne_u16_sdwa s4, v13, v7 src0_sel:BYTE_1 src1_sel:DWORD
	s_and_saveexec_b32 s7, s4
	s_cbranch_execz .LBB222_982
; %bb.975:                              ;   in Loop: Header=BB222_796 Depth=1
	v_mov_b32_e32 v8, v7
	v_mov_b32_e32 v20, v9
	v_cmp_ne_u16_sdwa s4, v13, v68 src0_sel:BYTE_1 src1_sel:DWORD
	v_mov_b32_e32 v19, v8
	s_and_saveexec_b32 s13, s4
	s_cbranch_execz .LBB222_981
; %bb.976:                              ;   in Loop: Header=BB222_796 Depth=1
	v_and_b32_sdwa v6, v44, v13 dst_sel:DWORD dst_unused:UNUSED_PAD src0_sel:DWORD src1_sel:BYTE_1
	v_mov_b32_e32 v11, v7
	v_mov_b32_e32 v20, v12
	s_mov_b32 s15, exec_lo
	v_and_b32_e32 v10, 0x7f, v6
	v_mov_b32_e32 v19, v11
	v_cmpx_ne_u32_e32 0x7f, v10
	s_cbranch_execz .LBB222_980
; %bb.977:                              ;   in Loop: Header=BB222_796 Depth=1
	v_and_b32_e32 v6, 7, v6
	v_lshrrev_b32_e32 v8, 3, v10
	s_mov_b32 s18, exec_lo
	v_cmpx_gt_u32_e32 8, v10
; %bb.978:                              ;   in Loop: Header=BB222_796 Depth=1
	v_ffbh_u32_e32 v8, v6
	v_min_u32_e32 v8, 32, v8
	v_subrev_nc_u32_e32 v10, 28, v8
	v_sub_nc_u32_e32 v8, 29, v8
	v_lshlrev_b64 v[10:11], v10, v[6:7]
	v_and_b32_e32 v6, 7, v10
; %bb.979:                              ;   in Loop: Header=BB222_796 Depth=1
	s_or_b32 exec_lo, exec_lo, s18
	v_lshlrev_b32_e32 v10, 16, v13
	v_lshlrev_b32_e32 v6, 20, v6
	v_lshl_add_u32 v8, v8, 23, 0x3c000000
	v_mov_b32_e32 v19, v7
	v_and_b32_e32 v10, 0x80000000, v10
	v_or3_b32 v20, v6, v10, v8
.LBB222_980:                            ;   in Loop: Header=BB222_796 Depth=1
	s_or_b32 exec_lo, exec_lo, s15
.LBB222_981:                            ;   in Loop: Header=BB222_796 Depth=1
	s_or_b32 exec_lo, exec_lo, s13
.LBB222_982:                            ;   in Loop: Header=BB222_796 Depth=1
	s_or_b32 exec_lo, exec_lo, s7
	v_mov_b32_e32 v10, 0
	v_mov_b32_e32 v21, 0
	v_and_b32_sdwa v6, v13, v70 dst_sel:DWORD dst_unused:UNUSED_PAD src0_sel:WORD_1 src1_sel:DWORD
	v_mov_b32_e32 v11, 0
	v_mov_b32_e32 v22, 0
	s_mov_b32 s7, exec_lo
	v_cmpx_ne_u16_e32 0, v6
	s_cbranch_execz .LBB222_990
; %bb.983:                              ;   in Loop: Header=BB222_796 Depth=1
	v_bfrev_b32_e32 v21, 1
	v_mov_b32_e32 v22, 0
	s_mov_b32 s13, exec_lo
	v_cmpx_ne_u16_e32 0x80, v6
	s_cbranch_execz .LBB222_989
; %bb.984:                              ;   in Loop: Header=BB222_796 Depth=1
	v_mov_b32_e32 v21, 0x7f800001
	v_bfe_u32 v14, v13, 16, 7
	v_mov_b32_e32 v22, 0
	s_mov_b32 s15, exec_lo
	v_cmpx_ne_u32_e32 0x7f, v14
	s_cbranch_execz .LBB222_988
; %bb.985:                              ;   in Loop: Header=BB222_796 Depth=1
	v_mov_b32_e32 v6, 7
	v_lshrrev_b32_e32 v8, 3, v14
	s_mov_b32 s18, exec_lo
	v_and_b32_sdwa v6, v13, v6 dst_sel:DWORD dst_unused:UNUSED_PAD src0_sel:WORD_1 src1_sel:DWORD
	v_cmpx_gt_u32_e32 8, v14
; %bb.986:                              ;   in Loop: Header=BB222_796 Depth=1
	v_ffbh_u32_e32 v8, v6
	v_min_u32_e32 v8, 32, v8
	v_subrev_nc_u32_e32 v14, 28, v8
	v_sub_nc_u32_e32 v8, 29, v8
	v_lshlrev_b64 v[21:22], v14, v[6:7]
	v_and_b32_e32 v6, 7, v21
; %bb.987:                              ;   in Loop: Header=BB222_796 Depth=1
	s_or_b32 exec_lo, exec_lo, s18
	v_mov_b32_e32 v14, 24
	v_lshlrev_b32_e32 v6, 20, v6
	v_lshl_add_u32 v8, v8, 23, 0x3c000000
	v_lshlrev_b32_sdwa v14, v14, v13 dst_sel:DWORD dst_unused:UNUSED_PAD src0_sel:DWORD src1_sel:WORD_1
	v_and_b32_e32 v14, 0x80000000, v14
	v_or3_b32 v6, v6, v14, v8
	v_mov_b32_e32 v22, v7
	v_mov_b32_e32 v21, v6
.LBB222_988:                            ;   in Loop: Header=BB222_796 Depth=1
	s_or_b32 exec_lo, exec_lo, s15
.LBB222_989:                            ;   in Loop: Header=BB222_796 Depth=1
	s_or_b32 exec_lo, exec_lo, s13
.LBB222_990:                            ;   in Loop: Header=BB222_796 Depth=1
	s_or_b32 exec_lo, exec_lo, s7
	s_mov_b32 s7, exec_lo
	v_cmpx_lt_u32_e32 0xffffff, v13
	s_cbranch_execz .LBB222_998
; %bb.991:                              ;   in Loop: Header=BB222_796 Depth=1
	v_mov_b32_e32 v8, v7
	v_mov_b32_e32 v11, v9
	v_cmp_ne_u32_sdwa s4, v13, v68 src0_sel:BYTE_3 src1_sel:DWORD
	v_mov_b32_e32 v10, v8
	s_and_saveexec_b32 s13, s4
	s_cbranch_execz .LBB222_997
; %bb.992:                              ;   in Loop: Header=BB222_796 Depth=1
	v_mov_b32_e32 v11, v7
	v_bfe_u32 v14, v13, 24, 7
	s_mov_b32 s15, exec_lo
	v_mov_b32_e32 v10, v11
	v_mov_b32_e32 v11, v12
	v_cmpx_ne_u32_e32 0x7f, v14
	s_cbranch_execz .LBB222_996
; %bb.993:                              ;   in Loop: Header=BB222_796 Depth=1
	v_mov_b32_e32 v6, 7
	v_lshrrev_b32_e32 v8, 3, v14
	s_mov_b32 s18, exec_lo
	v_and_b32_sdwa v6, v13, v6 dst_sel:DWORD dst_unused:UNUSED_PAD src0_sel:BYTE_3 src1_sel:DWORD
	v_cmpx_gt_u32_e32 8, v14
; %bb.994:                              ;   in Loop: Header=BB222_796 Depth=1
	v_ffbh_u32_e32 v8, v6
	v_min_u32_e32 v8, 32, v8
	v_subrev_nc_u32_e32 v10, 28, v8
	v_sub_nc_u32_e32 v8, 29, v8
	v_lshlrev_b64 v[10:11], v10, v[6:7]
	v_and_b32_e32 v6, 7, v10
; %bb.995:                              ;   in Loop: Header=BB222_796 Depth=1
	s_or_b32 exec_lo, exec_lo, s18
	v_mov_b32_e32 v10, 24
	v_lshlrev_b32_e32 v6, 20, v6
	v_lshl_add_u32 v8, v8, 23, 0x3c000000
	v_lshlrev_b32_sdwa v10, v10, v13 dst_sel:DWORD dst_unused:UNUSED_PAD src0_sel:DWORD src1_sel:BYTE_3
	v_and_b32_e32 v10, 0x80000000, v10
	v_or3_b32 v11, v6, v10, v8
	v_mov_b32_e32 v10, v7
.LBB222_996:                            ;   in Loop: Header=BB222_796 Depth=1
	s_or_b32 exec_lo, exec_lo, s15
.LBB222_997:                            ;   in Loop: Header=BB222_796 Depth=1
	s_or_b32 exec_lo, exec_lo, s13
.LBB222_998:                            ;   in Loop: Header=BB222_796 Depth=1
	s_or_b32 exec_lo, exec_lo, s7
	v_or_b32_e32 v6, v20, v18
	v_or_b32_e32 v8, v19, v17
	;; [unrolled: 1-line block ×4, first 2 shown]
	v_mul_f32_e32 v47, v83, v6
	v_mul_f32_e32 v56, v67, v8
	;; [unrolled: 1-line block ×4, first 2 shown]
	s_and_saveexec_b32 s7, vcc_lo
	s_cbranch_execz .LBB222_1000
; %bb.999:                              ;   in Loop: Header=BB222_796 Depth=1
	v_cmp_lt_i32_e64 s4, v101, v116
	v_cndmask_b32_e64 v56, 0, v56, s4
	v_cmp_lt_i32_e64 s4, v103, v116
	v_cndmask_b32_e64 v47, 0, v47, s4
	;; [unrolled: 2-line block ×4, first 2 shown]
.LBB222_1000:                           ;   in Loop: Header=BB222_796 Depth=1
	s_or_b32 exec_lo, exec_lo, s7
	flat_load_dword v13, v[0:1] offset:768
	v_mov_b32_e32 v19, 0
	v_mov_b32_e32 v17, 0
	;; [unrolled: 1-line block ×4, first 2 shown]
	s_waitcnt vmcnt(0) lgkmcnt(0)
	v_cmp_ne_u16_sdwa s4, v13, v7 src0_sel:BYTE_0 src1_sel:DWORD
	s_and_saveexec_b32 s7, s4
	s_cbranch_execz .LBB222_1008
; %bb.1001:                             ;   in Loop: Header=BB222_796 Depth=1
	v_bfrev_b32_e32 v17, 1
	v_mov_b32_e32 v18, 0
	v_cmp_ne_u16_sdwa s4, v13, v68 src0_sel:BYTE_0 src1_sel:DWORD
	s_and_saveexec_b32 s13, s4
	s_cbranch_execz .LBB222_1007
; %bb.1002:                             ;   in Loop: Header=BB222_796 Depth=1
	v_mov_b32_e32 v17, 0x7f800001
	v_and_b32_e32 v10, 0x7f, v13
	v_mov_b32_e32 v18, 0
	s_mov_b32 s15, exec_lo
	v_cmpx_ne_u32_e32 0x7f, v10
	s_cbranch_execz .LBB222_1006
; %bb.1003:                             ;   in Loop: Header=BB222_796 Depth=1
	v_and_b32_e32 v6, 7, v13
	v_lshrrev_b32_e32 v8, 3, v10
	s_mov_b32 s18, exec_lo
	v_cmpx_gt_u32_e32 8, v10
; %bb.1004:                             ;   in Loop: Header=BB222_796 Depth=1
	v_ffbh_u32_e32 v8, v6
	v_min_u32_e32 v8, 32, v8
	v_subrev_nc_u32_e32 v10, 28, v8
	v_sub_nc_u32_e32 v8, 29, v8
	v_lshlrev_b64 v[10:11], v10, v[6:7]
	v_and_b32_e32 v6, 7, v10
; %bb.1005:                             ;   in Loop: Header=BB222_796 Depth=1
	s_or_b32 exec_lo, exec_lo, s18
	v_lshlrev_b32_e32 v10, 24, v13
	v_lshlrev_b32_e32 v6, 20, v6
	v_lshl_add_u32 v8, v8, 23, 0x3c000000
	v_and_b32_e32 v10, 0x80000000, v10
	v_or3_b32 v6, v6, v10, v8
	v_mov_b32_e32 v18, v7
	v_mov_b32_e32 v17, v6
.LBB222_1006:                           ;   in Loop: Header=BB222_796 Depth=1
	s_or_b32 exec_lo, exec_lo, s15
.LBB222_1007:                           ;   in Loop: Header=BB222_796 Depth=1
	s_or_b32 exec_lo, exec_lo, s13
.LBB222_1008:                           ;   in Loop: Header=BB222_796 Depth=1
	s_or_b32 exec_lo, exec_lo, s7
	v_cmp_ne_u16_sdwa s4, v13, v7 src0_sel:BYTE_1 src1_sel:DWORD
	s_and_saveexec_b32 s7, s4
	s_cbranch_execz .LBB222_1016
; %bb.1009:                             ;   in Loop: Header=BB222_796 Depth=1
	v_mov_b32_e32 v8, v7
	v_mov_b32_e32 v20, v9
	v_cmp_ne_u16_sdwa s4, v13, v68 src0_sel:BYTE_1 src1_sel:DWORD
	v_mov_b32_e32 v19, v8
	s_and_saveexec_b32 s13, s4
	s_cbranch_execz .LBB222_1015
; %bb.1010:                             ;   in Loop: Header=BB222_796 Depth=1
	v_and_b32_sdwa v6, v44, v13 dst_sel:DWORD dst_unused:UNUSED_PAD src0_sel:DWORD src1_sel:BYTE_1
	v_mov_b32_e32 v11, v7
	v_mov_b32_e32 v20, v12
	s_mov_b32 s15, exec_lo
	v_and_b32_e32 v10, 0x7f, v6
	v_mov_b32_e32 v19, v11
	v_cmpx_ne_u32_e32 0x7f, v10
	s_cbranch_execz .LBB222_1014
; %bb.1011:                             ;   in Loop: Header=BB222_796 Depth=1
	v_and_b32_e32 v6, 7, v6
	v_lshrrev_b32_e32 v8, 3, v10
	s_mov_b32 s18, exec_lo
	v_cmpx_gt_u32_e32 8, v10
; %bb.1012:                             ;   in Loop: Header=BB222_796 Depth=1
	v_ffbh_u32_e32 v8, v6
	v_min_u32_e32 v8, 32, v8
	v_subrev_nc_u32_e32 v10, 28, v8
	v_sub_nc_u32_e32 v8, 29, v8
	v_lshlrev_b64 v[10:11], v10, v[6:7]
	v_and_b32_e32 v6, 7, v10
; %bb.1013:                             ;   in Loop: Header=BB222_796 Depth=1
	s_or_b32 exec_lo, exec_lo, s18
	v_lshlrev_b32_e32 v10, 16, v13
	v_lshlrev_b32_e32 v6, 20, v6
	v_lshl_add_u32 v8, v8, 23, 0x3c000000
	v_mov_b32_e32 v19, v7
	v_and_b32_e32 v10, 0x80000000, v10
	v_or3_b32 v20, v6, v10, v8
.LBB222_1014:                           ;   in Loop: Header=BB222_796 Depth=1
	s_or_b32 exec_lo, exec_lo, s15
.LBB222_1015:                           ;   in Loop: Header=BB222_796 Depth=1
	s_or_b32 exec_lo, exec_lo, s13
.LBB222_1016:                           ;   in Loop: Header=BB222_796 Depth=1
	s_or_b32 exec_lo, exec_lo, s7
	v_mov_b32_e32 v10, 0
	v_mov_b32_e32 v21, 0
	v_and_b32_sdwa v6, v13, v70 dst_sel:DWORD dst_unused:UNUSED_PAD src0_sel:WORD_1 src1_sel:DWORD
	v_mov_b32_e32 v11, 0
	v_mov_b32_e32 v22, 0
	s_mov_b32 s7, exec_lo
	v_cmpx_ne_u16_e32 0, v6
	s_cbranch_execz .LBB222_1024
; %bb.1017:                             ;   in Loop: Header=BB222_796 Depth=1
	v_bfrev_b32_e32 v21, 1
	v_mov_b32_e32 v22, 0
	s_mov_b32 s13, exec_lo
	v_cmpx_ne_u16_e32 0x80, v6
	s_cbranch_execz .LBB222_1023
; %bb.1018:                             ;   in Loop: Header=BB222_796 Depth=1
	v_mov_b32_e32 v21, 0x7f800001
	v_bfe_u32 v14, v13, 16, 7
	v_mov_b32_e32 v22, 0
	s_mov_b32 s15, exec_lo
	v_cmpx_ne_u32_e32 0x7f, v14
	s_cbranch_execz .LBB222_1022
; %bb.1019:                             ;   in Loop: Header=BB222_796 Depth=1
	v_mov_b32_e32 v6, 7
	v_lshrrev_b32_e32 v8, 3, v14
	s_mov_b32 s18, exec_lo
	v_and_b32_sdwa v6, v13, v6 dst_sel:DWORD dst_unused:UNUSED_PAD src0_sel:WORD_1 src1_sel:DWORD
	v_cmpx_gt_u32_e32 8, v14
; %bb.1020:                             ;   in Loop: Header=BB222_796 Depth=1
	v_ffbh_u32_e32 v8, v6
	v_min_u32_e32 v8, 32, v8
	v_subrev_nc_u32_e32 v14, 28, v8
	v_sub_nc_u32_e32 v8, 29, v8
	v_lshlrev_b64 v[21:22], v14, v[6:7]
	v_and_b32_e32 v6, 7, v21
; %bb.1021:                             ;   in Loop: Header=BB222_796 Depth=1
	s_or_b32 exec_lo, exec_lo, s18
	v_mov_b32_e32 v14, 24
	v_lshlrev_b32_e32 v6, 20, v6
	v_lshl_add_u32 v8, v8, 23, 0x3c000000
	v_lshlrev_b32_sdwa v14, v14, v13 dst_sel:DWORD dst_unused:UNUSED_PAD src0_sel:DWORD src1_sel:WORD_1
	v_and_b32_e32 v14, 0x80000000, v14
	v_or3_b32 v6, v6, v14, v8
	v_mov_b32_e32 v22, v7
	v_mov_b32_e32 v21, v6
.LBB222_1022:                           ;   in Loop: Header=BB222_796 Depth=1
	s_or_b32 exec_lo, exec_lo, s15
.LBB222_1023:                           ;   in Loop: Header=BB222_796 Depth=1
	s_or_b32 exec_lo, exec_lo, s13
.LBB222_1024:                           ;   in Loop: Header=BB222_796 Depth=1
	s_or_b32 exec_lo, exec_lo, s7
	s_mov_b32 s7, exec_lo
	v_cmpx_lt_u32_e32 0xffffff, v13
	s_cbranch_execz .LBB222_1032
; %bb.1025:                             ;   in Loop: Header=BB222_796 Depth=1
	v_mov_b32_e32 v8, v7
	v_mov_b32_e32 v11, v9
	v_cmp_ne_u32_sdwa s4, v13, v68 src0_sel:BYTE_3 src1_sel:DWORD
	v_mov_b32_e32 v10, v8
	s_and_saveexec_b32 s13, s4
	s_cbranch_execz .LBB222_1031
; %bb.1026:                             ;   in Loop: Header=BB222_796 Depth=1
	v_mov_b32_e32 v11, v7
	v_bfe_u32 v14, v13, 24, 7
	s_mov_b32 s15, exec_lo
	v_mov_b32_e32 v10, v11
	v_mov_b32_e32 v11, v12
	v_cmpx_ne_u32_e32 0x7f, v14
	s_cbranch_execz .LBB222_1030
; %bb.1027:                             ;   in Loop: Header=BB222_796 Depth=1
	v_mov_b32_e32 v6, 7
	v_lshrrev_b32_e32 v8, 3, v14
	s_mov_b32 s18, exec_lo
	v_and_b32_sdwa v6, v13, v6 dst_sel:DWORD dst_unused:UNUSED_PAD src0_sel:BYTE_3 src1_sel:DWORD
	v_cmpx_gt_u32_e32 8, v14
; %bb.1028:                             ;   in Loop: Header=BB222_796 Depth=1
	v_ffbh_u32_e32 v8, v6
	v_min_u32_e32 v8, 32, v8
	v_subrev_nc_u32_e32 v10, 28, v8
	v_sub_nc_u32_e32 v8, 29, v8
	v_lshlrev_b64 v[10:11], v10, v[6:7]
	v_and_b32_e32 v6, 7, v10
; %bb.1029:                             ;   in Loop: Header=BB222_796 Depth=1
	s_or_b32 exec_lo, exec_lo, s18
	v_mov_b32_e32 v10, 24
	v_lshlrev_b32_e32 v6, 20, v6
	v_lshl_add_u32 v8, v8, 23, 0x3c000000
	v_lshlrev_b32_sdwa v10, v10, v13 dst_sel:DWORD dst_unused:UNUSED_PAD src0_sel:DWORD src1_sel:BYTE_3
	v_and_b32_e32 v10, 0x80000000, v10
	v_or3_b32 v11, v6, v10, v8
	v_mov_b32_e32 v10, v7
.LBB222_1030:                           ;   in Loop: Header=BB222_796 Depth=1
	s_or_b32 exec_lo, exec_lo, s15
.LBB222_1031:                           ;   in Loop: Header=BB222_796 Depth=1
	s_or_b32 exec_lo, exec_lo, s13
.LBB222_1032:                           ;   in Loop: Header=BB222_796 Depth=1
	s_or_b32 exec_lo, exec_lo, s7
	v_or_b32_e32 v6, v20, v18
	v_or_b32_e32 v8, v19, v17
	;; [unrolled: 1-line block ×4, first 2 shown]
	v_mul_f32_e32 v59, v83, v6
	v_mul_f32_e32 v60, v67, v8
	;; [unrolled: 1-line block ×4, first 2 shown]
	s_and_saveexec_b32 s7, vcc_lo
	s_cbranch_execz .LBB222_1034
; %bb.1033:                             ;   in Loop: Header=BB222_796 Depth=1
	v_cmp_lt_i32_e64 s4, v101, v116
	v_cndmask_b32_e64 v60, 0, v60, s4
	v_cmp_lt_i32_e64 s4, v103, v116
	v_cndmask_b32_e64 v59, 0, v59, s4
	;; [unrolled: 2-line block ×4, first 2 shown]
.LBB222_1034:                           ;   in Loop: Header=BB222_796 Depth=1
	s_or_b32 exec_lo, exec_lo, s7
	flat_load_dword v13, v[0:1] offset:896
	v_mov_b32_e32 v19, 0
	v_mov_b32_e32 v17, 0
	;; [unrolled: 1-line block ×4, first 2 shown]
	s_waitcnt vmcnt(0) lgkmcnt(0)
	v_cmp_ne_u16_sdwa s4, v13, v7 src0_sel:BYTE_0 src1_sel:DWORD
	s_and_saveexec_b32 s7, s4
	s_cbranch_execz .LBB222_1042
; %bb.1035:                             ;   in Loop: Header=BB222_796 Depth=1
	v_bfrev_b32_e32 v17, 1
	v_mov_b32_e32 v18, 0
	v_cmp_ne_u16_sdwa s4, v13, v68 src0_sel:BYTE_0 src1_sel:DWORD
	s_and_saveexec_b32 s13, s4
	s_cbranch_execz .LBB222_1041
; %bb.1036:                             ;   in Loop: Header=BB222_796 Depth=1
	v_mov_b32_e32 v17, 0x7f800001
	v_and_b32_e32 v10, 0x7f, v13
	v_mov_b32_e32 v18, 0
	s_mov_b32 s15, exec_lo
	v_cmpx_ne_u32_e32 0x7f, v10
	s_cbranch_execz .LBB222_1040
; %bb.1037:                             ;   in Loop: Header=BB222_796 Depth=1
	v_and_b32_e32 v6, 7, v13
	v_lshrrev_b32_e32 v8, 3, v10
	s_mov_b32 s18, exec_lo
	v_cmpx_gt_u32_e32 8, v10
; %bb.1038:                             ;   in Loop: Header=BB222_796 Depth=1
	v_ffbh_u32_e32 v8, v6
	v_min_u32_e32 v8, 32, v8
	v_subrev_nc_u32_e32 v10, 28, v8
	v_sub_nc_u32_e32 v8, 29, v8
	v_lshlrev_b64 v[10:11], v10, v[6:7]
	v_and_b32_e32 v6, 7, v10
; %bb.1039:                             ;   in Loop: Header=BB222_796 Depth=1
	s_or_b32 exec_lo, exec_lo, s18
	v_lshlrev_b32_e32 v10, 24, v13
	v_lshlrev_b32_e32 v6, 20, v6
	v_lshl_add_u32 v8, v8, 23, 0x3c000000
	v_and_b32_e32 v10, 0x80000000, v10
	v_or3_b32 v6, v6, v10, v8
	v_mov_b32_e32 v18, v7
	v_mov_b32_e32 v17, v6
.LBB222_1040:                           ;   in Loop: Header=BB222_796 Depth=1
	s_or_b32 exec_lo, exec_lo, s15
.LBB222_1041:                           ;   in Loop: Header=BB222_796 Depth=1
	s_or_b32 exec_lo, exec_lo, s13
.LBB222_1042:                           ;   in Loop: Header=BB222_796 Depth=1
	s_or_b32 exec_lo, exec_lo, s7
	v_cmp_ne_u16_sdwa s4, v13, v7 src0_sel:BYTE_1 src1_sel:DWORD
	s_and_saveexec_b32 s7, s4
	s_cbranch_execz .LBB222_1050
; %bb.1043:                             ;   in Loop: Header=BB222_796 Depth=1
	v_mov_b32_e32 v8, v7
	v_mov_b32_e32 v20, v9
	v_cmp_ne_u16_sdwa s4, v13, v68 src0_sel:BYTE_1 src1_sel:DWORD
	v_mov_b32_e32 v19, v8
	s_and_saveexec_b32 s13, s4
	s_cbranch_execz .LBB222_1049
; %bb.1044:                             ;   in Loop: Header=BB222_796 Depth=1
	v_and_b32_sdwa v6, v44, v13 dst_sel:DWORD dst_unused:UNUSED_PAD src0_sel:DWORD src1_sel:BYTE_1
	v_mov_b32_e32 v11, v7
	v_mov_b32_e32 v20, v12
	s_mov_b32 s15, exec_lo
	v_and_b32_e32 v10, 0x7f, v6
	v_mov_b32_e32 v19, v11
	v_cmpx_ne_u32_e32 0x7f, v10
	s_cbranch_execz .LBB222_1048
; %bb.1045:                             ;   in Loop: Header=BB222_796 Depth=1
	v_and_b32_e32 v6, 7, v6
	v_lshrrev_b32_e32 v8, 3, v10
	s_mov_b32 s18, exec_lo
	v_cmpx_gt_u32_e32 8, v10
; %bb.1046:                             ;   in Loop: Header=BB222_796 Depth=1
	v_ffbh_u32_e32 v8, v6
	v_min_u32_e32 v8, 32, v8
	v_subrev_nc_u32_e32 v10, 28, v8
	v_sub_nc_u32_e32 v8, 29, v8
	v_lshlrev_b64 v[10:11], v10, v[6:7]
	v_and_b32_e32 v6, 7, v10
; %bb.1047:                             ;   in Loop: Header=BB222_796 Depth=1
	s_or_b32 exec_lo, exec_lo, s18
	v_lshlrev_b32_e32 v10, 16, v13
	v_lshlrev_b32_e32 v6, 20, v6
	v_lshl_add_u32 v8, v8, 23, 0x3c000000
	v_mov_b32_e32 v19, v7
	v_and_b32_e32 v10, 0x80000000, v10
	v_or3_b32 v20, v6, v10, v8
.LBB222_1048:                           ;   in Loop: Header=BB222_796 Depth=1
	s_or_b32 exec_lo, exec_lo, s15
.LBB222_1049:                           ;   in Loop: Header=BB222_796 Depth=1
	s_or_b32 exec_lo, exec_lo, s13
.LBB222_1050:                           ;   in Loop: Header=BB222_796 Depth=1
	s_or_b32 exec_lo, exec_lo, s7
	v_mov_b32_e32 v10, 0
	v_mov_b32_e32 v21, 0
	v_and_b32_sdwa v6, v13, v70 dst_sel:DWORD dst_unused:UNUSED_PAD src0_sel:WORD_1 src1_sel:DWORD
	v_mov_b32_e32 v11, 0
	v_mov_b32_e32 v22, 0
	s_mov_b32 s7, exec_lo
	v_cmpx_ne_u16_e32 0, v6
	s_cbranch_execz .LBB222_1058
; %bb.1051:                             ;   in Loop: Header=BB222_796 Depth=1
	v_bfrev_b32_e32 v21, 1
	v_mov_b32_e32 v22, 0
	s_mov_b32 s13, exec_lo
	v_cmpx_ne_u16_e32 0x80, v6
	s_cbranch_execz .LBB222_1057
; %bb.1052:                             ;   in Loop: Header=BB222_796 Depth=1
	v_mov_b32_e32 v21, 0x7f800001
	v_bfe_u32 v14, v13, 16, 7
	v_mov_b32_e32 v22, 0
	s_mov_b32 s15, exec_lo
	v_cmpx_ne_u32_e32 0x7f, v14
	s_cbranch_execz .LBB222_1056
; %bb.1053:                             ;   in Loop: Header=BB222_796 Depth=1
	v_mov_b32_e32 v6, 7
	v_lshrrev_b32_e32 v8, 3, v14
	s_mov_b32 s18, exec_lo
	v_and_b32_sdwa v6, v13, v6 dst_sel:DWORD dst_unused:UNUSED_PAD src0_sel:WORD_1 src1_sel:DWORD
	v_cmpx_gt_u32_e32 8, v14
; %bb.1054:                             ;   in Loop: Header=BB222_796 Depth=1
	v_ffbh_u32_e32 v8, v6
	v_min_u32_e32 v8, 32, v8
	v_subrev_nc_u32_e32 v14, 28, v8
	v_sub_nc_u32_e32 v8, 29, v8
	v_lshlrev_b64 v[21:22], v14, v[6:7]
	v_and_b32_e32 v6, 7, v21
; %bb.1055:                             ;   in Loop: Header=BB222_796 Depth=1
	s_or_b32 exec_lo, exec_lo, s18
	v_mov_b32_e32 v14, 24
	v_lshlrev_b32_e32 v6, 20, v6
	v_lshl_add_u32 v8, v8, 23, 0x3c000000
	v_lshlrev_b32_sdwa v14, v14, v13 dst_sel:DWORD dst_unused:UNUSED_PAD src0_sel:DWORD src1_sel:WORD_1
	v_and_b32_e32 v14, 0x80000000, v14
	v_or3_b32 v6, v6, v14, v8
	v_mov_b32_e32 v22, v7
	v_mov_b32_e32 v21, v6
.LBB222_1056:                           ;   in Loop: Header=BB222_796 Depth=1
	s_or_b32 exec_lo, exec_lo, s15
.LBB222_1057:                           ;   in Loop: Header=BB222_796 Depth=1
	s_or_b32 exec_lo, exec_lo, s13
.LBB222_1058:                           ;   in Loop: Header=BB222_796 Depth=1
	s_or_b32 exec_lo, exec_lo, s7
	s_mov_b32 s7, exec_lo
	v_cmpx_lt_u32_e32 0xffffff, v13
	s_cbranch_execz .LBB222_1066
; %bb.1059:                             ;   in Loop: Header=BB222_796 Depth=1
	v_mov_b32_e32 v8, v7
	v_mov_b32_e32 v11, v9
	v_cmp_ne_u32_sdwa s4, v13, v68 src0_sel:BYTE_3 src1_sel:DWORD
	v_mov_b32_e32 v10, v8
	s_and_saveexec_b32 s13, s4
	s_cbranch_execz .LBB222_1065
; %bb.1060:                             ;   in Loop: Header=BB222_796 Depth=1
	v_mov_b32_e32 v11, v7
	v_bfe_u32 v14, v13, 24, 7
	s_mov_b32 s15, exec_lo
	v_mov_b32_e32 v10, v11
	v_mov_b32_e32 v11, v12
	v_cmpx_ne_u32_e32 0x7f, v14
	s_cbranch_execz .LBB222_1064
; %bb.1061:                             ;   in Loop: Header=BB222_796 Depth=1
	v_mov_b32_e32 v6, 7
	v_lshrrev_b32_e32 v8, 3, v14
	s_mov_b32 s18, exec_lo
	v_and_b32_sdwa v6, v13, v6 dst_sel:DWORD dst_unused:UNUSED_PAD src0_sel:BYTE_3 src1_sel:DWORD
	v_cmpx_gt_u32_e32 8, v14
; %bb.1062:                             ;   in Loop: Header=BB222_796 Depth=1
	v_ffbh_u32_e32 v8, v6
	v_min_u32_e32 v8, 32, v8
	v_subrev_nc_u32_e32 v10, 28, v8
	v_sub_nc_u32_e32 v8, 29, v8
	v_lshlrev_b64 v[10:11], v10, v[6:7]
	v_and_b32_e32 v6, 7, v10
; %bb.1063:                             ;   in Loop: Header=BB222_796 Depth=1
	s_or_b32 exec_lo, exec_lo, s18
	v_mov_b32_e32 v10, 24
	v_lshlrev_b32_e32 v6, 20, v6
	v_lshl_add_u32 v8, v8, 23, 0x3c000000
	v_lshlrev_b32_sdwa v10, v10, v13 dst_sel:DWORD dst_unused:UNUSED_PAD src0_sel:DWORD src1_sel:BYTE_3
	v_and_b32_e32 v10, 0x80000000, v10
	v_or3_b32 v11, v6, v10, v8
	v_mov_b32_e32 v10, v7
.LBB222_1064:                           ;   in Loop: Header=BB222_796 Depth=1
	s_or_b32 exec_lo, exec_lo, s15
.LBB222_1065:                           ;   in Loop: Header=BB222_796 Depth=1
	s_or_b32 exec_lo, exec_lo, s13
.LBB222_1066:                           ;   in Loop: Header=BB222_796 Depth=1
	s_or_b32 exec_lo, exec_lo, s7
	v_or_b32_e32 v6, v20, v18
	v_or_b32_e32 v8, v19, v17
	;; [unrolled: 1-line block ×4, first 2 shown]
	v_mul_f32_e32 v63, v83, v6
	v_mul_f32_e32 v72, v67, v8
	;; [unrolled: 1-line block ×4, first 2 shown]
	s_and_saveexec_b32 s7, vcc_lo
	s_cbranch_execz .LBB222_1068
; %bb.1067:                             ;   in Loop: Header=BB222_796 Depth=1
	v_cmp_lt_i32_e64 s4, v101, v116
	v_cndmask_b32_e64 v72, 0, v72, s4
	v_cmp_lt_i32_e64 s4, v103, v116
	v_cndmask_b32_e64 v63, 0, v63, s4
	;; [unrolled: 2-line block ×4, first 2 shown]
.LBB222_1068:                           ;   in Loop: Header=BB222_796 Depth=1
	s_or_b32 exec_lo, exec_lo, s7
	flat_load_dword v13, v[0:1] offset:1024
	v_mov_b32_e32 v19, 0
	v_mov_b32_e32 v17, 0
	;; [unrolled: 1-line block ×4, first 2 shown]
	s_waitcnt vmcnt(0) lgkmcnt(0)
	v_cmp_ne_u16_sdwa s4, v13, v7 src0_sel:BYTE_0 src1_sel:DWORD
	s_and_saveexec_b32 s7, s4
	s_cbranch_execz .LBB222_1076
; %bb.1069:                             ;   in Loop: Header=BB222_796 Depth=1
	v_bfrev_b32_e32 v17, 1
	v_mov_b32_e32 v18, 0
	v_cmp_ne_u16_sdwa s4, v13, v68 src0_sel:BYTE_0 src1_sel:DWORD
	s_and_saveexec_b32 s13, s4
	s_cbranch_execz .LBB222_1075
; %bb.1070:                             ;   in Loop: Header=BB222_796 Depth=1
	v_mov_b32_e32 v17, 0x7f800001
	v_and_b32_e32 v10, 0x7f, v13
	v_mov_b32_e32 v18, 0
	s_mov_b32 s15, exec_lo
	v_cmpx_ne_u32_e32 0x7f, v10
	s_cbranch_execz .LBB222_1074
; %bb.1071:                             ;   in Loop: Header=BB222_796 Depth=1
	v_and_b32_e32 v6, 7, v13
	v_lshrrev_b32_e32 v8, 3, v10
	s_mov_b32 s18, exec_lo
	v_cmpx_gt_u32_e32 8, v10
; %bb.1072:                             ;   in Loop: Header=BB222_796 Depth=1
	v_ffbh_u32_e32 v8, v6
	v_min_u32_e32 v8, 32, v8
	v_subrev_nc_u32_e32 v10, 28, v8
	v_sub_nc_u32_e32 v8, 29, v8
	v_lshlrev_b64 v[10:11], v10, v[6:7]
	v_and_b32_e32 v6, 7, v10
; %bb.1073:                             ;   in Loop: Header=BB222_796 Depth=1
	s_or_b32 exec_lo, exec_lo, s18
	v_lshlrev_b32_e32 v10, 24, v13
	v_lshlrev_b32_e32 v6, 20, v6
	v_lshl_add_u32 v8, v8, 23, 0x3c000000
	v_and_b32_e32 v10, 0x80000000, v10
	v_or3_b32 v6, v6, v10, v8
	v_mov_b32_e32 v18, v7
	v_mov_b32_e32 v17, v6
.LBB222_1074:                           ;   in Loop: Header=BB222_796 Depth=1
	s_or_b32 exec_lo, exec_lo, s15
.LBB222_1075:                           ;   in Loop: Header=BB222_796 Depth=1
	s_or_b32 exec_lo, exec_lo, s13
.LBB222_1076:                           ;   in Loop: Header=BB222_796 Depth=1
	s_or_b32 exec_lo, exec_lo, s7
	v_cmp_ne_u16_sdwa s4, v13, v7 src0_sel:BYTE_1 src1_sel:DWORD
	s_and_saveexec_b32 s7, s4
	s_cbranch_execz .LBB222_1084
; %bb.1077:                             ;   in Loop: Header=BB222_796 Depth=1
	v_mov_b32_e32 v8, v7
	v_mov_b32_e32 v20, v9
	v_cmp_ne_u16_sdwa s4, v13, v68 src0_sel:BYTE_1 src1_sel:DWORD
	v_mov_b32_e32 v19, v8
	s_and_saveexec_b32 s13, s4
	s_cbranch_execz .LBB222_1083
; %bb.1078:                             ;   in Loop: Header=BB222_796 Depth=1
	v_and_b32_sdwa v6, v44, v13 dst_sel:DWORD dst_unused:UNUSED_PAD src0_sel:DWORD src1_sel:BYTE_1
	v_mov_b32_e32 v11, v7
	v_mov_b32_e32 v20, v12
	s_mov_b32 s15, exec_lo
	v_and_b32_e32 v10, 0x7f, v6
	v_mov_b32_e32 v19, v11
	v_cmpx_ne_u32_e32 0x7f, v10
	s_cbranch_execz .LBB222_1082
; %bb.1079:                             ;   in Loop: Header=BB222_796 Depth=1
	v_and_b32_e32 v6, 7, v6
	v_lshrrev_b32_e32 v8, 3, v10
	s_mov_b32 s18, exec_lo
	v_cmpx_gt_u32_e32 8, v10
; %bb.1080:                             ;   in Loop: Header=BB222_796 Depth=1
	v_ffbh_u32_e32 v8, v6
	v_min_u32_e32 v8, 32, v8
	v_subrev_nc_u32_e32 v10, 28, v8
	v_sub_nc_u32_e32 v8, 29, v8
	v_lshlrev_b64 v[10:11], v10, v[6:7]
	v_and_b32_e32 v6, 7, v10
; %bb.1081:                             ;   in Loop: Header=BB222_796 Depth=1
	s_or_b32 exec_lo, exec_lo, s18
	v_lshlrev_b32_e32 v10, 16, v13
	v_lshlrev_b32_e32 v6, 20, v6
	v_lshl_add_u32 v8, v8, 23, 0x3c000000
	v_mov_b32_e32 v19, v7
	v_and_b32_e32 v10, 0x80000000, v10
	v_or3_b32 v20, v6, v10, v8
.LBB222_1082:                           ;   in Loop: Header=BB222_796 Depth=1
	s_or_b32 exec_lo, exec_lo, s15
.LBB222_1083:                           ;   in Loop: Header=BB222_796 Depth=1
	s_or_b32 exec_lo, exec_lo, s13
.LBB222_1084:                           ;   in Loop: Header=BB222_796 Depth=1
	s_or_b32 exec_lo, exec_lo, s7
	v_mov_b32_e32 v10, 0
	v_mov_b32_e32 v21, 0
	v_and_b32_sdwa v6, v13, v70 dst_sel:DWORD dst_unused:UNUSED_PAD src0_sel:WORD_1 src1_sel:DWORD
	v_mov_b32_e32 v11, 0
	v_mov_b32_e32 v22, 0
	s_mov_b32 s7, exec_lo
	v_cmpx_ne_u16_e32 0, v6
	s_cbranch_execz .LBB222_1092
; %bb.1085:                             ;   in Loop: Header=BB222_796 Depth=1
	v_bfrev_b32_e32 v21, 1
	v_mov_b32_e32 v22, 0
	s_mov_b32 s13, exec_lo
	v_cmpx_ne_u16_e32 0x80, v6
	s_cbranch_execz .LBB222_1091
; %bb.1086:                             ;   in Loop: Header=BB222_796 Depth=1
	v_mov_b32_e32 v21, 0x7f800001
	v_bfe_u32 v14, v13, 16, 7
	v_mov_b32_e32 v22, 0
	s_mov_b32 s15, exec_lo
	v_cmpx_ne_u32_e32 0x7f, v14
	s_cbranch_execz .LBB222_1090
; %bb.1087:                             ;   in Loop: Header=BB222_796 Depth=1
	v_mov_b32_e32 v6, 7
	v_lshrrev_b32_e32 v8, 3, v14
	s_mov_b32 s18, exec_lo
	v_and_b32_sdwa v6, v13, v6 dst_sel:DWORD dst_unused:UNUSED_PAD src0_sel:WORD_1 src1_sel:DWORD
	v_cmpx_gt_u32_e32 8, v14
; %bb.1088:                             ;   in Loop: Header=BB222_796 Depth=1
	v_ffbh_u32_e32 v8, v6
	v_min_u32_e32 v8, 32, v8
	v_subrev_nc_u32_e32 v14, 28, v8
	v_sub_nc_u32_e32 v8, 29, v8
	v_lshlrev_b64 v[21:22], v14, v[6:7]
	v_and_b32_e32 v6, 7, v21
; %bb.1089:                             ;   in Loop: Header=BB222_796 Depth=1
	s_or_b32 exec_lo, exec_lo, s18
	v_mov_b32_e32 v14, 24
	v_lshlrev_b32_e32 v6, 20, v6
	v_lshl_add_u32 v8, v8, 23, 0x3c000000
	v_lshlrev_b32_sdwa v14, v14, v13 dst_sel:DWORD dst_unused:UNUSED_PAD src0_sel:DWORD src1_sel:WORD_1
	v_and_b32_e32 v14, 0x80000000, v14
	v_or3_b32 v6, v6, v14, v8
	v_mov_b32_e32 v22, v7
	v_mov_b32_e32 v21, v6
.LBB222_1090:                           ;   in Loop: Header=BB222_796 Depth=1
	s_or_b32 exec_lo, exec_lo, s15
.LBB222_1091:                           ;   in Loop: Header=BB222_796 Depth=1
	s_or_b32 exec_lo, exec_lo, s13
.LBB222_1092:                           ;   in Loop: Header=BB222_796 Depth=1
	s_or_b32 exec_lo, exec_lo, s7
	s_mov_b32 s7, exec_lo
	v_cmpx_lt_u32_e32 0xffffff, v13
	s_cbranch_execz .LBB222_1100
; %bb.1093:                             ;   in Loop: Header=BB222_796 Depth=1
	v_mov_b32_e32 v8, v7
	v_mov_b32_e32 v11, v9
	v_cmp_ne_u32_sdwa s4, v13, v68 src0_sel:BYTE_3 src1_sel:DWORD
	v_mov_b32_e32 v10, v8
	s_and_saveexec_b32 s13, s4
	s_cbranch_execz .LBB222_1099
; %bb.1094:                             ;   in Loop: Header=BB222_796 Depth=1
	v_mov_b32_e32 v11, v7
	v_bfe_u32 v14, v13, 24, 7
	s_mov_b32 s15, exec_lo
	v_mov_b32_e32 v10, v11
	v_mov_b32_e32 v11, v12
	v_cmpx_ne_u32_e32 0x7f, v14
	s_cbranch_execz .LBB222_1098
; %bb.1095:                             ;   in Loop: Header=BB222_796 Depth=1
	v_mov_b32_e32 v6, 7
	v_lshrrev_b32_e32 v8, 3, v14
	s_mov_b32 s18, exec_lo
	v_and_b32_sdwa v6, v13, v6 dst_sel:DWORD dst_unused:UNUSED_PAD src0_sel:BYTE_3 src1_sel:DWORD
	v_cmpx_gt_u32_e32 8, v14
; %bb.1096:                             ;   in Loop: Header=BB222_796 Depth=1
	v_ffbh_u32_e32 v8, v6
	v_min_u32_e32 v8, 32, v8
	v_subrev_nc_u32_e32 v10, 28, v8
	v_sub_nc_u32_e32 v8, 29, v8
	v_lshlrev_b64 v[10:11], v10, v[6:7]
	v_and_b32_e32 v6, 7, v10
; %bb.1097:                             ;   in Loop: Header=BB222_796 Depth=1
	s_or_b32 exec_lo, exec_lo, s18
	v_mov_b32_e32 v10, 24
	v_lshlrev_b32_e32 v6, 20, v6
	v_lshl_add_u32 v8, v8, 23, 0x3c000000
	v_lshlrev_b32_sdwa v10, v10, v13 dst_sel:DWORD dst_unused:UNUSED_PAD src0_sel:DWORD src1_sel:BYTE_3
	v_and_b32_e32 v10, 0x80000000, v10
	v_or3_b32 v11, v6, v10, v8
	v_mov_b32_e32 v10, v7
.LBB222_1098:                           ;   in Loop: Header=BB222_796 Depth=1
	s_or_b32 exec_lo, exec_lo, s15
.LBB222_1099:                           ;   in Loop: Header=BB222_796 Depth=1
	s_or_b32 exec_lo, exec_lo, s13
.LBB222_1100:                           ;   in Loop: Header=BB222_796 Depth=1
	s_or_b32 exec_lo, exec_lo, s7
	v_or_b32_e32 v6, v20, v18
	v_or_b32_e32 v8, v19, v17
	;; [unrolled: 1-line block ×4, first 2 shown]
	v_mul_f32_e32 v76, v83, v6
	v_mul_f32_e32 v75, v67, v8
	;; [unrolled: 1-line block ×4, first 2 shown]
	s_and_saveexec_b32 s7, vcc_lo
	s_cbranch_execz .LBB222_1102
; %bb.1101:                             ;   in Loop: Header=BB222_796 Depth=1
	v_cmp_lt_i32_e64 s4, v101, v116
	v_cndmask_b32_e64 v75, 0, v75, s4
	v_cmp_lt_i32_e64 s4, v103, v116
	v_cndmask_b32_e64 v76, 0, v76, s4
	;; [unrolled: 2-line block ×4, first 2 shown]
.LBB222_1102:                           ;   in Loop: Header=BB222_796 Depth=1
	s_or_b32 exec_lo, exec_lo, s7
	flat_load_dword v13, v[0:1] offset:1152
	v_mov_b32_e32 v19, 0
	v_mov_b32_e32 v17, 0
	;; [unrolled: 1-line block ×4, first 2 shown]
	s_waitcnt vmcnt(0) lgkmcnt(0)
	v_cmp_ne_u16_sdwa s4, v13, v7 src0_sel:BYTE_0 src1_sel:DWORD
	s_and_saveexec_b32 s7, s4
	s_cbranch_execz .LBB222_1110
; %bb.1103:                             ;   in Loop: Header=BB222_796 Depth=1
	v_bfrev_b32_e32 v17, 1
	v_mov_b32_e32 v18, 0
	v_cmp_ne_u16_sdwa s4, v13, v68 src0_sel:BYTE_0 src1_sel:DWORD
	s_and_saveexec_b32 s13, s4
	s_cbranch_execz .LBB222_1109
; %bb.1104:                             ;   in Loop: Header=BB222_796 Depth=1
	v_mov_b32_e32 v17, 0x7f800001
	v_and_b32_e32 v10, 0x7f, v13
	v_mov_b32_e32 v18, 0
	s_mov_b32 s15, exec_lo
	v_cmpx_ne_u32_e32 0x7f, v10
	s_cbranch_execz .LBB222_1108
; %bb.1105:                             ;   in Loop: Header=BB222_796 Depth=1
	v_and_b32_e32 v6, 7, v13
	v_lshrrev_b32_e32 v8, 3, v10
	s_mov_b32 s18, exec_lo
	v_cmpx_gt_u32_e32 8, v10
; %bb.1106:                             ;   in Loop: Header=BB222_796 Depth=1
	v_ffbh_u32_e32 v8, v6
	v_min_u32_e32 v8, 32, v8
	v_subrev_nc_u32_e32 v10, 28, v8
	v_sub_nc_u32_e32 v8, 29, v8
	v_lshlrev_b64 v[10:11], v10, v[6:7]
	v_and_b32_e32 v6, 7, v10
; %bb.1107:                             ;   in Loop: Header=BB222_796 Depth=1
	s_or_b32 exec_lo, exec_lo, s18
	v_lshlrev_b32_e32 v10, 24, v13
	v_lshlrev_b32_e32 v6, 20, v6
	v_lshl_add_u32 v8, v8, 23, 0x3c000000
	v_and_b32_e32 v10, 0x80000000, v10
	v_or3_b32 v6, v6, v10, v8
	v_mov_b32_e32 v18, v7
	v_mov_b32_e32 v17, v6
.LBB222_1108:                           ;   in Loop: Header=BB222_796 Depth=1
	s_or_b32 exec_lo, exec_lo, s15
.LBB222_1109:                           ;   in Loop: Header=BB222_796 Depth=1
	s_or_b32 exec_lo, exec_lo, s13
.LBB222_1110:                           ;   in Loop: Header=BB222_796 Depth=1
	s_or_b32 exec_lo, exec_lo, s7
	v_cmp_ne_u16_sdwa s4, v13, v7 src0_sel:BYTE_1 src1_sel:DWORD
	s_and_saveexec_b32 s7, s4
	s_cbranch_execz .LBB222_1118
; %bb.1111:                             ;   in Loop: Header=BB222_796 Depth=1
	v_mov_b32_e32 v8, v7
	v_mov_b32_e32 v20, v9
	v_cmp_ne_u16_sdwa s4, v13, v68 src0_sel:BYTE_1 src1_sel:DWORD
	v_mov_b32_e32 v19, v8
	s_and_saveexec_b32 s13, s4
	s_cbranch_execz .LBB222_1117
; %bb.1112:                             ;   in Loop: Header=BB222_796 Depth=1
	v_and_b32_sdwa v6, v44, v13 dst_sel:DWORD dst_unused:UNUSED_PAD src0_sel:DWORD src1_sel:BYTE_1
	v_mov_b32_e32 v11, v7
	v_mov_b32_e32 v20, v12
	s_mov_b32 s15, exec_lo
	v_and_b32_e32 v10, 0x7f, v6
	v_mov_b32_e32 v19, v11
	v_cmpx_ne_u32_e32 0x7f, v10
	s_cbranch_execz .LBB222_1116
; %bb.1113:                             ;   in Loop: Header=BB222_796 Depth=1
	v_and_b32_e32 v6, 7, v6
	v_lshrrev_b32_e32 v8, 3, v10
	s_mov_b32 s18, exec_lo
	v_cmpx_gt_u32_e32 8, v10
; %bb.1114:                             ;   in Loop: Header=BB222_796 Depth=1
	v_ffbh_u32_e32 v8, v6
	v_min_u32_e32 v8, 32, v8
	v_subrev_nc_u32_e32 v10, 28, v8
	v_sub_nc_u32_e32 v8, 29, v8
	v_lshlrev_b64 v[10:11], v10, v[6:7]
	v_and_b32_e32 v6, 7, v10
; %bb.1115:                             ;   in Loop: Header=BB222_796 Depth=1
	s_or_b32 exec_lo, exec_lo, s18
	v_lshlrev_b32_e32 v10, 16, v13
	v_lshlrev_b32_e32 v6, 20, v6
	v_lshl_add_u32 v8, v8, 23, 0x3c000000
	v_mov_b32_e32 v19, v7
	v_and_b32_e32 v10, 0x80000000, v10
	v_or3_b32 v20, v6, v10, v8
.LBB222_1116:                           ;   in Loop: Header=BB222_796 Depth=1
	s_or_b32 exec_lo, exec_lo, s15
.LBB222_1117:                           ;   in Loop: Header=BB222_796 Depth=1
	s_or_b32 exec_lo, exec_lo, s13
.LBB222_1118:                           ;   in Loop: Header=BB222_796 Depth=1
	s_or_b32 exec_lo, exec_lo, s7
	v_mov_b32_e32 v10, 0
	v_mov_b32_e32 v21, 0
	v_and_b32_sdwa v6, v13, v70 dst_sel:DWORD dst_unused:UNUSED_PAD src0_sel:WORD_1 src1_sel:DWORD
	v_mov_b32_e32 v11, 0
	v_mov_b32_e32 v22, 0
	s_mov_b32 s7, exec_lo
	v_cmpx_ne_u16_e32 0, v6
	s_cbranch_execz .LBB222_1126
; %bb.1119:                             ;   in Loop: Header=BB222_796 Depth=1
	v_bfrev_b32_e32 v21, 1
	v_mov_b32_e32 v22, 0
	s_mov_b32 s13, exec_lo
	v_cmpx_ne_u16_e32 0x80, v6
	s_cbranch_execz .LBB222_1125
; %bb.1120:                             ;   in Loop: Header=BB222_796 Depth=1
	v_mov_b32_e32 v21, 0x7f800001
	v_bfe_u32 v14, v13, 16, 7
	v_mov_b32_e32 v22, 0
	s_mov_b32 s15, exec_lo
	v_cmpx_ne_u32_e32 0x7f, v14
	s_cbranch_execz .LBB222_1124
; %bb.1121:                             ;   in Loop: Header=BB222_796 Depth=1
	v_mov_b32_e32 v6, 7
	v_lshrrev_b32_e32 v8, 3, v14
	s_mov_b32 s18, exec_lo
	v_and_b32_sdwa v6, v13, v6 dst_sel:DWORD dst_unused:UNUSED_PAD src0_sel:WORD_1 src1_sel:DWORD
	v_cmpx_gt_u32_e32 8, v14
; %bb.1122:                             ;   in Loop: Header=BB222_796 Depth=1
	v_ffbh_u32_e32 v8, v6
	v_min_u32_e32 v8, 32, v8
	v_subrev_nc_u32_e32 v14, 28, v8
	v_sub_nc_u32_e32 v8, 29, v8
	v_lshlrev_b64 v[21:22], v14, v[6:7]
	v_and_b32_e32 v6, 7, v21
; %bb.1123:                             ;   in Loop: Header=BB222_796 Depth=1
	s_or_b32 exec_lo, exec_lo, s18
	v_mov_b32_e32 v14, 24
	v_lshlrev_b32_e32 v6, 20, v6
	v_lshl_add_u32 v8, v8, 23, 0x3c000000
	v_lshlrev_b32_sdwa v14, v14, v13 dst_sel:DWORD dst_unused:UNUSED_PAD src0_sel:DWORD src1_sel:WORD_1
	v_and_b32_e32 v14, 0x80000000, v14
	v_or3_b32 v6, v6, v14, v8
	v_mov_b32_e32 v22, v7
	v_mov_b32_e32 v21, v6
.LBB222_1124:                           ;   in Loop: Header=BB222_796 Depth=1
	s_or_b32 exec_lo, exec_lo, s15
.LBB222_1125:                           ;   in Loop: Header=BB222_796 Depth=1
	s_or_b32 exec_lo, exec_lo, s13
.LBB222_1126:                           ;   in Loop: Header=BB222_796 Depth=1
	s_or_b32 exec_lo, exec_lo, s7
	s_mov_b32 s7, exec_lo
	v_cmpx_lt_u32_e32 0xffffff, v13
	s_cbranch_execz .LBB222_1134
; %bb.1127:                             ;   in Loop: Header=BB222_796 Depth=1
	v_mov_b32_e32 v8, v7
	v_mov_b32_e32 v11, v9
	v_cmp_ne_u32_sdwa s4, v13, v68 src0_sel:BYTE_3 src1_sel:DWORD
	v_mov_b32_e32 v10, v8
	s_and_saveexec_b32 s13, s4
	s_cbranch_execz .LBB222_1133
; %bb.1128:                             ;   in Loop: Header=BB222_796 Depth=1
	v_mov_b32_e32 v11, v7
	v_bfe_u32 v14, v13, 24, 7
	s_mov_b32 s15, exec_lo
	v_mov_b32_e32 v10, v11
	v_mov_b32_e32 v11, v12
	v_cmpx_ne_u32_e32 0x7f, v14
	s_cbranch_execz .LBB222_1132
; %bb.1129:                             ;   in Loop: Header=BB222_796 Depth=1
	v_mov_b32_e32 v6, 7
	v_lshrrev_b32_e32 v8, 3, v14
	s_mov_b32 s18, exec_lo
	v_and_b32_sdwa v6, v13, v6 dst_sel:DWORD dst_unused:UNUSED_PAD src0_sel:BYTE_3 src1_sel:DWORD
	v_cmpx_gt_u32_e32 8, v14
; %bb.1130:                             ;   in Loop: Header=BB222_796 Depth=1
	v_ffbh_u32_e32 v8, v6
	v_min_u32_e32 v8, 32, v8
	v_subrev_nc_u32_e32 v10, 28, v8
	v_sub_nc_u32_e32 v8, 29, v8
	v_lshlrev_b64 v[10:11], v10, v[6:7]
	v_and_b32_e32 v6, 7, v10
; %bb.1131:                             ;   in Loop: Header=BB222_796 Depth=1
	s_or_b32 exec_lo, exec_lo, s18
	v_mov_b32_e32 v10, 24
	v_lshlrev_b32_e32 v6, 20, v6
	v_lshl_add_u32 v8, v8, 23, 0x3c000000
	v_lshlrev_b32_sdwa v10, v10, v13 dst_sel:DWORD dst_unused:UNUSED_PAD src0_sel:DWORD src1_sel:BYTE_3
	v_and_b32_e32 v10, 0x80000000, v10
	v_or3_b32 v11, v6, v10, v8
	v_mov_b32_e32 v10, v7
.LBB222_1132:                           ;   in Loop: Header=BB222_796 Depth=1
	s_or_b32 exec_lo, exec_lo, s15
.LBB222_1133:                           ;   in Loop: Header=BB222_796 Depth=1
	s_or_b32 exec_lo, exec_lo, s13
.LBB222_1134:                           ;   in Loop: Header=BB222_796 Depth=1
	s_or_b32 exec_lo, exec_lo, s7
	v_or_b32_e32 v6, v20, v18
	v_or_b32_e32 v8, v19, v17
	;; [unrolled: 1-line block ×4, first 2 shown]
	v_mul_f32_e32 v88, v83, v6
	v_mul_f32_e32 v79, v67, v8
	v_mul_f32_e32 v78, v67, v10
	v_mul_f32_e32 v77, v83, v11
	s_and_saveexec_b32 s7, vcc_lo
	s_cbranch_execz .LBB222_1136
; %bb.1135:                             ;   in Loop: Header=BB222_796 Depth=1
	v_cmp_lt_i32_e64 s4, v101, v116
	v_cndmask_b32_e64 v79, 0, v79, s4
	v_cmp_lt_i32_e64 s4, v103, v116
	v_cndmask_b32_e64 v88, 0, v88, s4
	;; [unrolled: 2-line block ×4, first 2 shown]
.LBB222_1136:                           ;   in Loop: Header=BB222_796 Depth=1
	s_or_b32 exec_lo, exec_lo, s7
	flat_load_dword v13, v[0:1] offset:1280
	v_mov_b32_e32 v19, 0
	v_mov_b32_e32 v17, 0
	;; [unrolled: 1-line block ×4, first 2 shown]
	s_waitcnt vmcnt(0) lgkmcnt(0)
	v_cmp_ne_u16_sdwa s4, v13, v7 src0_sel:BYTE_0 src1_sel:DWORD
	s_and_saveexec_b32 s7, s4
	s_cbranch_execz .LBB222_1144
; %bb.1137:                             ;   in Loop: Header=BB222_796 Depth=1
	v_bfrev_b32_e32 v17, 1
	v_mov_b32_e32 v18, 0
	v_cmp_ne_u16_sdwa s4, v13, v68 src0_sel:BYTE_0 src1_sel:DWORD
	s_and_saveexec_b32 s13, s4
	s_cbranch_execz .LBB222_1143
; %bb.1138:                             ;   in Loop: Header=BB222_796 Depth=1
	v_mov_b32_e32 v17, 0x7f800001
	v_and_b32_e32 v10, 0x7f, v13
	v_mov_b32_e32 v18, 0
	s_mov_b32 s15, exec_lo
	v_cmpx_ne_u32_e32 0x7f, v10
	s_cbranch_execz .LBB222_1142
; %bb.1139:                             ;   in Loop: Header=BB222_796 Depth=1
	v_and_b32_e32 v6, 7, v13
	v_lshrrev_b32_e32 v8, 3, v10
	s_mov_b32 s18, exec_lo
	v_cmpx_gt_u32_e32 8, v10
; %bb.1140:                             ;   in Loop: Header=BB222_796 Depth=1
	v_ffbh_u32_e32 v8, v6
	v_min_u32_e32 v8, 32, v8
	v_subrev_nc_u32_e32 v10, 28, v8
	v_sub_nc_u32_e32 v8, 29, v8
	v_lshlrev_b64 v[10:11], v10, v[6:7]
	v_and_b32_e32 v6, 7, v10
; %bb.1141:                             ;   in Loop: Header=BB222_796 Depth=1
	s_or_b32 exec_lo, exec_lo, s18
	v_lshlrev_b32_e32 v10, 24, v13
	v_lshlrev_b32_e32 v6, 20, v6
	v_lshl_add_u32 v8, v8, 23, 0x3c000000
	v_and_b32_e32 v10, 0x80000000, v10
	v_or3_b32 v6, v6, v10, v8
	v_mov_b32_e32 v18, v7
	v_mov_b32_e32 v17, v6
.LBB222_1142:                           ;   in Loop: Header=BB222_796 Depth=1
	s_or_b32 exec_lo, exec_lo, s15
.LBB222_1143:                           ;   in Loop: Header=BB222_796 Depth=1
	s_or_b32 exec_lo, exec_lo, s13
.LBB222_1144:                           ;   in Loop: Header=BB222_796 Depth=1
	s_or_b32 exec_lo, exec_lo, s7
	v_cmp_ne_u16_sdwa s4, v13, v7 src0_sel:BYTE_1 src1_sel:DWORD
	s_and_saveexec_b32 s7, s4
	s_cbranch_execz .LBB222_1152
; %bb.1145:                             ;   in Loop: Header=BB222_796 Depth=1
	v_mov_b32_e32 v8, v7
	v_mov_b32_e32 v20, v9
	v_cmp_ne_u16_sdwa s4, v13, v68 src0_sel:BYTE_1 src1_sel:DWORD
	v_mov_b32_e32 v19, v8
	s_and_saveexec_b32 s13, s4
	s_cbranch_execz .LBB222_1151
; %bb.1146:                             ;   in Loop: Header=BB222_796 Depth=1
	v_and_b32_sdwa v6, v44, v13 dst_sel:DWORD dst_unused:UNUSED_PAD src0_sel:DWORD src1_sel:BYTE_1
	v_mov_b32_e32 v11, v7
	v_mov_b32_e32 v20, v12
	s_mov_b32 s15, exec_lo
	v_and_b32_e32 v10, 0x7f, v6
	v_mov_b32_e32 v19, v11
	v_cmpx_ne_u32_e32 0x7f, v10
	s_cbranch_execz .LBB222_1150
; %bb.1147:                             ;   in Loop: Header=BB222_796 Depth=1
	v_and_b32_e32 v6, 7, v6
	v_lshrrev_b32_e32 v8, 3, v10
	s_mov_b32 s18, exec_lo
	v_cmpx_gt_u32_e32 8, v10
; %bb.1148:                             ;   in Loop: Header=BB222_796 Depth=1
	v_ffbh_u32_e32 v8, v6
	v_min_u32_e32 v8, 32, v8
	v_subrev_nc_u32_e32 v10, 28, v8
	v_sub_nc_u32_e32 v8, 29, v8
	v_lshlrev_b64 v[10:11], v10, v[6:7]
	v_and_b32_e32 v6, 7, v10
; %bb.1149:                             ;   in Loop: Header=BB222_796 Depth=1
	s_or_b32 exec_lo, exec_lo, s18
	v_lshlrev_b32_e32 v10, 16, v13
	v_lshlrev_b32_e32 v6, 20, v6
	v_lshl_add_u32 v8, v8, 23, 0x3c000000
	v_mov_b32_e32 v19, v7
	v_and_b32_e32 v10, 0x80000000, v10
	v_or3_b32 v20, v6, v10, v8
.LBB222_1150:                           ;   in Loop: Header=BB222_796 Depth=1
	s_or_b32 exec_lo, exec_lo, s15
.LBB222_1151:                           ;   in Loop: Header=BB222_796 Depth=1
	s_or_b32 exec_lo, exec_lo, s13
.LBB222_1152:                           ;   in Loop: Header=BB222_796 Depth=1
	s_or_b32 exec_lo, exec_lo, s7
	v_mov_b32_e32 v10, 0
	v_mov_b32_e32 v21, 0
	v_and_b32_sdwa v6, v13, v70 dst_sel:DWORD dst_unused:UNUSED_PAD src0_sel:WORD_1 src1_sel:DWORD
	v_mov_b32_e32 v11, 0
	v_mov_b32_e32 v22, 0
	s_mov_b32 s7, exec_lo
	v_cmpx_ne_u16_e32 0, v6
	s_cbranch_execz .LBB222_1160
; %bb.1153:                             ;   in Loop: Header=BB222_796 Depth=1
	v_bfrev_b32_e32 v21, 1
	v_mov_b32_e32 v22, 0
	s_mov_b32 s13, exec_lo
	v_cmpx_ne_u16_e32 0x80, v6
	s_cbranch_execz .LBB222_1159
; %bb.1154:                             ;   in Loop: Header=BB222_796 Depth=1
	v_mov_b32_e32 v21, 0x7f800001
	v_bfe_u32 v14, v13, 16, 7
	v_mov_b32_e32 v22, 0
	s_mov_b32 s15, exec_lo
	v_cmpx_ne_u32_e32 0x7f, v14
	s_cbranch_execz .LBB222_1158
; %bb.1155:                             ;   in Loop: Header=BB222_796 Depth=1
	v_mov_b32_e32 v6, 7
	v_lshrrev_b32_e32 v8, 3, v14
	s_mov_b32 s18, exec_lo
	v_and_b32_sdwa v6, v13, v6 dst_sel:DWORD dst_unused:UNUSED_PAD src0_sel:WORD_1 src1_sel:DWORD
	v_cmpx_gt_u32_e32 8, v14
; %bb.1156:                             ;   in Loop: Header=BB222_796 Depth=1
	v_ffbh_u32_e32 v8, v6
	v_min_u32_e32 v8, 32, v8
	v_subrev_nc_u32_e32 v14, 28, v8
	v_sub_nc_u32_e32 v8, 29, v8
	v_lshlrev_b64 v[21:22], v14, v[6:7]
	v_and_b32_e32 v6, 7, v21
; %bb.1157:                             ;   in Loop: Header=BB222_796 Depth=1
	s_or_b32 exec_lo, exec_lo, s18
	v_mov_b32_e32 v14, 24
	v_lshlrev_b32_e32 v6, 20, v6
	v_lshl_add_u32 v8, v8, 23, 0x3c000000
	v_lshlrev_b32_sdwa v14, v14, v13 dst_sel:DWORD dst_unused:UNUSED_PAD src0_sel:DWORD src1_sel:WORD_1
	v_and_b32_e32 v14, 0x80000000, v14
	v_or3_b32 v6, v6, v14, v8
	v_mov_b32_e32 v22, v7
	v_mov_b32_e32 v21, v6
.LBB222_1158:                           ;   in Loop: Header=BB222_796 Depth=1
	s_or_b32 exec_lo, exec_lo, s15
.LBB222_1159:                           ;   in Loop: Header=BB222_796 Depth=1
	s_or_b32 exec_lo, exec_lo, s13
.LBB222_1160:                           ;   in Loop: Header=BB222_796 Depth=1
	s_or_b32 exec_lo, exec_lo, s7
	s_mov_b32 s7, exec_lo
	v_cmpx_lt_u32_e32 0xffffff, v13
	s_cbranch_execz .LBB222_1168
; %bb.1161:                             ;   in Loop: Header=BB222_796 Depth=1
	v_mov_b32_e32 v8, v7
	v_mov_b32_e32 v11, v9
	v_cmp_ne_u32_sdwa s4, v13, v68 src0_sel:BYTE_3 src1_sel:DWORD
	v_mov_b32_e32 v10, v8
	s_and_saveexec_b32 s13, s4
	s_cbranch_execz .LBB222_1167
; %bb.1162:                             ;   in Loop: Header=BB222_796 Depth=1
	v_mov_b32_e32 v11, v7
	v_bfe_u32 v14, v13, 24, 7
	s_mov_b32 s15, exec_lo
	v_mov_b32_e32 v10, v11
	v_mov_b32_e32 v11, v12
	v_cmpx_ne_u32_e32 0x7f, v14
	s_cbranch_execz .LBB222_1166
; %bb.1163:                             ;   in Loop: Header=BB222_796 Depth=1
	v_mov_b32_e32 v6, 7
	v_lshrrev_b32_e32 v8, 3, v14
	s_mov_b32 s18, exec_lo
	v_and_b32_sdwa v6, v13, v6 dst_sel:DWORD dst_unused:UNUSED_PAD src0_sel:BYTE_3 src1_sel:DWORD
	v_cmpx_gt_u32_e32 8, v14
; %bb.1164:                             ;   in Loop: Header=BB222_796 Depth=1
	v_ffbh_u32_e32 v8, v6
	v_min_u32_e32 v8, 32, v8
	v_subrev_nc_u32_e32 v10, 28, v8
	v_sub_nc_u32_e32 v8, 29, v8
	v_lshlrev_b64 v[10:11], v10, v[6:7]
	v_and_b32_e32 v6, 7, v10
; %bb.1165:                             ;   in Loop: Header=BB222_796 Depth=1
	s_or_b32 exec_lo, exec_lo, s18
	v_mov_b32_e32 v10, 24
	v_lshlrev_b32_e32 v6, 20, v6
	v_lshl_add_u32 v8, v8, 23, 0x3c000000
	v_lshlrev_b32_sdwa v10, v10, v13 dst_sel:DWORD dst_unused:UNUSED_PAD src0_sel:DWORD src1_sel:BYTE_3
	v_and_b32_e32 v10, 0x80000000, v10
	v_or3_b32 v11, v6, v10, v8
	v_mov_b32_e32 v10, v7
.LBB222_1166:                           ;   in Loop: Header=BB222_796 Depth=1
	s_or_b32 exec_lo, exec_lo, s15
.LBB222_1167:                           ;   in Loop: Header=BB222_796 Depth=1
	s_or_b32 exec_lo, exec_lo, s13
.LBB222_1168:                           ;   in Loop: Header=BB222_796 Depth=1
	s_or_b32 exec_lo, exec_lo, s7
	v_or_b32_e32 v6, v20, v18
	v_or_b32_e32 v8, v19, v17
	;; [unrolled: 1-line block ×4, first 2 shown]
	v_mul_f32_e32 v91, v83, v6
	v_mul_f32_e32 v92, v67, v8
	;; [unrolled: 1-line block ×4, first 2 shown]
	s_and_saveexec_b32 s7, vcc_lo
	s_cbranch_execz .LBB222_1170
; %bb.1169:                             ;   in Loop: Header=BB222_796 Depth=1
	v_cmp_lt_i32_e64 s4, v101, v116
	v_cndmask_b32_e64 v92, 0, v92, s4
	v_cmp_lt_i32_e64 s4, v103, v116
	v_cndmask_b32_e64 v91, 0, v91, s4
	;; [unrolled: 2-line block ×4, first 2 shown]
.LBB222_1170:                           ;   in Loop: Header=BB222_796 Depth=1
	s_or_b32 exec_lo, exec_lo, s7
	flat_load_dword v13, v[0:1] offset:1408
	v_mov_b32_e32 v19, 0
	v_mov_b32_e32 v17, 0
	;; [unrolled: 1-line block ×4, first 2 shown]
	s_waitcnt vmcnt(0) lgkmcnt(0)
	v_cmp_ne_u16_sdwa s4, v13, v7 src0_sel:BYTE_0 src1_sel:DWORD
	s_and_saveexec_b32 s7, s4
	s_cbranch_execz .LBB222_1178
; %bb.1171:                             ;   in Loop: Header=BB222_796 Depth=1
	v_bfrev_b32_e32 v17, 1
	v_mov_b32_e32 v18, 0
	v_cmp_ne_u16_sdwa s4, v13, v68 src0_sel:BYTE_0 src1_sel:DWORD
	s_and_saveexec_b32 s13, s4
	s_cbranch_execz .LBB222_1177
; %bb.1172:                             ;   in Loop: Header=BB222_796 Depth=1
	v_mov_b32_e32 v17, 0x7f800001
	v_and_b32_e32 v10, 0x7f, v13
	v_mov_b32_e32 v18, 0
	s_mov_b32 s15, exec_lo
	v_cmpx_ne_u32_e32 0x7f, v10
	s_cbranch_execz .LBB222_1176
; %bb.1173:                             ;   in Loop: Header=BB222_796 Depth=1
	v_and_b32_e32 v6, 7, v13
	v_lshrrev_b32_e32 v8, 3, v10
	s_mov_b32 s18, exec_lo
	v_cmpx_gt_u32_e32 8, v10
; %bb.1174:                             ;   in Loop: Header=BB222_796 Depth=1
	v_ffbh_u32_e32 v8, v6
	v_min_u32_e32 v8, 32, v8
	v_subrev_nc_u32_e32 v10, 28, v8
	v_sub_nc_u32_e32 v8, 29, v8
	v_lshlrev_b64 v[10:11], v10, v[6:7]
	v_and_b32_e32 v6, 7, v10
; %bb.1175:                             ;   in Loop: Header=BB222_796 Depth=1
	s_or_b32 exec_lo, exec_lo, s18
	v_lshlrev_b32_e32 v10, 24, v13
	v_lshlrev_b32_e32 v6, 20, v6
	v_lshl_add_u32 v8, v8, 23, 0x3c000000
	v_and_b32_e32 v10, 0x80000000, v10
	v_or3_b32 v6, v6, v10, v8
	v_mov_b32_e32 v18, v7
	v_mov_b32_e32 v17, v6
.LBB222_1176:                           ;   in Loop: Header=BB222_796 Depth=1
	s_or_b32 exec_lo, exec_lo, s15
.LBB222_1177:                           ;   in Loop: Header=BB222_796 Depth=1
	s_or_b32 exec_lo, exec_lo, s13
.LBB222_1178:                           ;   in Loop: Header=BB222_796 Depth=1
	s_or_b32 exec_lo, exec_lo, s7
	v_cmp_ne_u16_sdwa s4, v13, v7 src0_sel:BYTE_1 src1_sel:DWORD
	s_and_saveexec_b32 s7, s4
	s_cbranch_execz .LBB222_1186
; %bb.1179:                             ;   in Loop: Header=BB222_796 Depth=1
	v_mov_b32_e32 v8, v7
	v_mov_b32_e32 v20, v9
	v_cmp_ne_u16_sdwa s4, v13, v68 src0_sel:BYTE_1 src1_sel:DWORD
	v_mov_b32_e32 v19, v8
	s_and_saveexec_b32 s13, s4
	s_cbranch_execz .LBB222_1185
; %bb.1180:                             ;   in Loop: Header=BB222_796 Depth=1
	v_and_b32_sdwa v6, v44, v13 dst_sel:DWORD dst_unused:UNUSED_PAD src0_sel:DWORD src1_sel:BYTE_1
	v_mov_b32_e32 v11, v7
	v_mov_b32_e32 v20, v12
	s_mov_b32 s15, exec_lo
	v_and_b32_e32 v10, 0x7f, v6
	v_mov_b32_e32 v19, v11
	v_cmpx_ne_u32_e32 0x7f, v10
	s_cbranch_execz .LBB222_1184
; %bb.1181:                             ;   in Loop: Header=BB222_796 Depth=1
	v_and_b32_e32 v6, 7, v6
	v_lshrrev_b32_e32 v8, 3, v10
	s_mov_b32 s18, exec_lo
	v_cmpx_gt_u32_e32 8, v10
; %bb.1182:                             ;   in Loop: Header=BB222_796 Depth=1
	v_ffbh_u32_e32 v8, v6
	v_min_u32_e32 v8, 32, v8
	v_subrev_nc_u32_e32 v10, 28, v8
	v_sub_nc_u32_e32 v8, 29, v8
	v_lshlrev_b64 v[10:11], v10, v[6:7]
	v_and_b32_e32 v6, 7, v10
; %bb.1183:                             ;   in Loop: Header=BB222_796 Depth=1
	s_or_b32 exec_lo, exec_lo, s18
	v_lshlrev_b32_e32 v10, 16, v13
	v_lshlrev_b32_e32 v6, 20, v6
	v_lshl_add_u32 v8, v8, 23, 0x3c000000
	v_mov_b32_e32 v19, v7
	v_and_b32_e32 v10, 0x80000000, v10
	v_or3_b32 v20, v6, v10, v8
.LBB222_1184:                           ;   in Loop: Header=BB222_796 Depth=1
	s_or_b32 exec_lo, exec_lo, s15
.LBB222_1185:                           ;   in Loop: Header=BB222_796 Depth=1
	s_or_b32 exec_lo, exec_lo, s13
.LBB222_1186:                           ;   in Loop: Header=BB222_796 Depth=1
	s_or_b32 exec_lo, exec_lo, s7
	v_mov_b32_e32 v10, 0
	v_mov_b32_e32 v21, 0
	v_and_b32_sdwa v6, v13, v70 dst_sel:DWORD dst_unused:UNUSED_PAD src0_sel:WORD_1 src1_sel:DWORD
	v_mov_b32_e32 v11, 0
	v_mov_b32_e32 v22, 0
	s_mov_b32 s7, exec_lo
	v_cmpx_ne_u16_e32 0, v6
	s_cbranch_execz .LBB222_1194
; %bb.1187:                             ;   in Loop: Header=BB222_796 Depth=1
	v_bfrev_b32_e32 v21, 1
	v_mov_b32_e32 v22, 0
	s_mov_b32 s13, exec_lo
	v_cmpx_ne_u16_e32 0x80, v6
	s_cbranch_execz .LBB222_1193
; %bb.1188:                             ;   in Loop: Header=BB222_796 Depth=1
	v_mov_b32_e32 v21, 0x7f800001
	v_bfe_u32 v14, v13, 16, 7
	v_mov_b32_e32 v22, 0
	s_mov_b32 s15, exec_lo
	v_cmpx_ne_u32_e32 0x7f, v14
	s_cbranch_execz .LBB222_1192
; %bb.1189:                             ;   in Loop: Header=BB222_796 Depth=1
	v_mov_b32_e32 v6, 7
	v_lshrrev_b32_e32 v8, 3, v14
	s_mov_b32 s18, exec_lo
	v_and_b32_sdwa v6, v13, v6 dst_sel:DWORD dst_unused:UNUSED_PAD src0_sel:WORD_1 src1_sel:DWORD
	v_cmpx_gt_u32_e32 8, v14
; %bb.1190:                             ;   in Loop: Header=BB222_796 Depth=1
	v_ffbh_u32_e32 v8, v6
	v_min_u32_e32 v8, 32, v8
	v_subrev_nc_u32_e32 v14, 28, v8
	v_sub_nc_u32_e32 v8, 29, v8
	v_lshlrev_b64 v[21:22], v14, v[6:7]
	v_and_b32_e32 v6, 7, v21
; %bb.1191:                             ;   in Loop: Header=BB222_796 Depth=1
	s_or_b32 exec_lo, exec_lo, s18
	v_mov_b32_e32 v14, 24
	v_lshlrev_b32_e32 v6, 20, v6
	v_lshl_add_u32 v8, v8, 23, 0x3c000000
	v_lshlrev_b32_sdwa v14, v14, v13 dst_sel:DWORD dst_unused:UNUSED_PAD src0_sel:DWORD src1_sel:WORD_1
	v_and_b32_e32 v14, 0x80000000, v14
	v_or3_b32 v6, v6, v14, v8
	v_mov_b32_e32 v22, v7
	v_mov_b32_e32 v21, v6
.LBB222_1192:                           ;   in Loop: Header=BB222_796 Depth=1
	s_or_b32 exec_lo, exec_lo, s15
.LBB222_1193:                           ;   in Loop: Header=BB222_796 Depth=1
	s_or_b32 exec_lo, exec_lo, s13
.LBB222_1194:                           ;   in Loop: Header=BB222_796 Depth=1
	s_or_b32 exec_lo, exec_lo, s7
	s_mov_b32 s7, exec_lo
	v_cmpx_lt_u32_e32 0xffffff, v13
	s_cbranch_execz .LBB222_1202
; %bb.1195:                             ;   in Loop: Header=BB222_796 Depth=1
	v_mov_b32_e32 v8, v7
	v_mov_b32_e32 v11, v9
	v_cmp_ne_u32_sdwa s4, v13, v68 src0_sel:BYTE_3 src1_sel:DWORD
	v_mov_b32_e32 v10, v8
	s_and_saveexec_b32 s13, s4
	s_cbranch_execz .LBB222_1201
; %bb.1196:                             ;   in Loop: Header=BB222_796 Depth=1
	v_mov_b32_e32 v11, v7
	v_bfe_u32 v14, v13, 24, 7
	s_mov_b32 s15, exec_lo
	v_mov_b32_e32 v10, v11
	v_mov_b32_e32 v11, v12
	v_cmpx_ne_u32_e32 0x7f, v14
	s_cbranch_execz .LBB222_1200
; %bb.1197:                             ;   in Loop: Header=BB222_796 Depth=1
	v_mov_b32_e32 v6, 7
	v_lshrrev_b32_e32 v8, 3, v14
	s_mov_b32 s18, exec_lo
	v_and_b32_sdwa v6, v13, v6 dst_sel:DWORD dst_unused:UNUSED_PAD src0_sel:BYTE_3 src1_sel:DWORD
	v_cmpx_gt_u32_e32 8, v14
; %bb.1198:                             ;   in Loop: Header=BB222_796 Depth=1
	v_ffbh_u32_e32 v8, v6
	v_min_u32_e32 v8, 32, v8
	v_subrev_nc_u32_e32 v10, 28, v8
	v_sub_nc_u32_e32 v8, 29, v8
	v_lshlrev_b64 v[10:11], v10, v[6:7]
	v_and_b32_e32 v6, 7, v10
; %bb.1199:                             ;   in Loop: Header=BB222_796 Depth=1
	s_or_b32 exec_lo, exec_lo, s18
	v_mov_b32_e32 v10, 24
	v_lshlrev_b32_e32 v6, 20, v6
	v_lshl_add_u32 v8, v8, 23, 0x3c000000
	v_lshlrev_b32_sdwa v10, v10, v13 dst_sel:DWORD dst_unused:UNUSED_PAD src0_sel:DWORD src1_sel:BYTE_3
	v_and_b32_e32 v10, 0x80000000, v10
	v_or3_b32 v11, v6, v10, v8
	v_mov_b32_e32 v10, v7
.LBB222_1200:                           ;   in Loop: Header=BB222_796 Depth=1
	s_or_b32 exec_lo, exec_lo, s15
.LBB222_1201:                           ;   in Loop: Header=BB222_796 Depth=1
	s_or_b32 exec_lo, exec_lo, s13
.LBB222_1202:                           ;   in Loop: Header=BB222_796 Depth=1
	s_or_b32 exec_lo, exec_lo, s7
	v_or_b32_e32 v6, v20, v18
	v_or_b32_e32 v8, v19, v17
	;; [unrolled: 1-line block ×4, first 2 shown]
	v_mul_f32_e32 v95, v83, v6
	v_mul_f32_e32 v104, v67, v8
	;; [unrolled: 1-line block ×4, first 2 shown]
	s_and_saveexec_b32 s7, vcc_lo
	s_cbranch_execz .LBB222_1204
; %bb.1203:                             ;   in Loop: Header=BB222_796 Depth=1
	v_cmp_lt_i32_e64 s4, v101, v116
	v_cndmask_b32_e64 v104, 0, v104, s4
	v_cmp_lt_i32_e64 s4, v103, v116
	v_cndmask_b32_e64 v95, 0, v95, s4
	;; [unrolled: 2-line block ×4, first 2 shown]
.LBB222_1204:                           ;   in Loop: Header=BB222_796 Depth=1
	s_or_b32 exec_lo, exec_lo, s7
	flat_load_dword v13, v[0:1] offset:1536
	v_mov_b32_e32 v19, 0
	v_mov_b32_e32 v17, 0
	;; [unrolled: 1-line block ×4, first 2 shown]
	s_waitcnt vmcnt(0) lgkmcnt(0)
	v_cmp_ne_u16_sdwa s4, v13, v7 src0_sel:BYTE_0 src1_sel:DWORD
	s_and_saveexec_b32 s7, s4
	s_cbranch_execz .LBB222_1212
; %bb.1205:                             ;   in Loop: Header=BB222_796 Depth=1
	v_bfrev_b32_e32 v17, 1
	v_mov_b32_e32 v18, 0
	v_cmp_ne_u16_sdwa s4, v13, v68 src0_sel:BYTE_0 src1_sel:DWORD
	s_and_saveexec_b32 s13, s4
	s_cbranch_execz .LBB222_1211
; %bb.1206:                             ;   in Loop: Header=BB222_796 Depth=1
	v_mov_b32_e32 v17, 0x7f800001
	v_and_b32_e32 v10, 0x7f, v13
	v_mov_b32_e32 v18, 0
	s_mov_b32 s15, exec_lo
	v_cmpx_ne_u32_e32 0x7f, v10
	s_cbranch_execz .LBB222_1210
; %bb.1207:                             ;   in Loop: Header=BB222_796 Depth=1
	v_and_b32_e32 v6, 7, v13
	v_lshrrev_b32_e32 v8, 3, v10
	s_mov_b32 s18, exec_lo
	v_cmpx_gt_u32_e32 8, v10
; %bb.1208:                             ;   in Loop: Header=BB222_796 Depth=1
	v_ffbh_u32_e32 v8, v6
	v_min_u32_e32 v8, 32, v8
	v_subrev_nc_u32_e32 v10, 28, v8
	v_sub_nc_u32_e32 v8, 29, v8
	v_lshlrev_b64 v[10:11], v10, v[6:7]
	v_and_b32_e32 v6, 7, v10
; %bb.1209:                             ;   in Loop: Header=BB222_796 Depth=1
	s_or_b32 exec_lo, exec_lo, s18
	v_lshlrev_b32_e32 v10, 24, v13
	v_lshlrev_b32_e32 v6, 20, v6
	v_lshl_add_u32 v8, v8, 23, 0x3c000000
	v_and_b32_e32 v10, 0x80000000, v10
	v_or3_b32 v6, v6, v10, v8
	v_mov_b32_e32 v18, v7
	v_mov_b32_e32 v17, v6
.LBB222_1210:                           ;   in Loop: Header=BB222_796 Depth=1
	s_or_b32 exec_lo, exec_lo, s15
.LBB222_1211:                           ;   in Loop: Header=BB222_796 Depth=1
	s_or_b32 exec_lo, exec_lo, s13
.LBB222_1212:                           ;   in Loop: Header=BB222_796 Depth=1
	s_or_b32 exec_lo, exec_lo, s7
	v_cmp_ne_u16_sdwa s4, v13, v7 src0_sel:BYTE_1 src1_sel:DWORD
	s_and_saveexec_b32 s7, s4
	s_cbranch_execz .LBB222_1220
; %bb.1213:                             ;   in Loop: Header=BB222_796 Depth=1
	v_mov_b32_e32 v8, v7
	v_mov_b32_e32 v20, v9
	v_cmp_ne_u16_sdwa s4, v13, v68 src0_sel:BYTE_1 src1_sel:DWORD
	v_mov_b32_e32 v19, v8
	s_and_saveexec_b32 s13, s4
	s_cbranch_execz .LBB222_1219
; %bb.1214:                             ;   in Loop: Header=BB222_796 Depth=1
	v_and_b32_sdwa v6, v44, v13 dst_sel:DWORD dst_unused:UNUSED_PAD src0_sel:DWORD src1_sel:BYTE_1
	v_mov_b32_e32 v11, v7
	v_mov_b32_e32 v20, v12
	s_mov_b32 s15, exec_lo
	v_and_b32_e32 v10, 0x7f, v6
	v_mov_b32_e32 v19, v11
	v_cmpx_ne_u32_e32 0x7f, v10
	s_cbranch_execz .LBB222_1218
; %bb.1215:                             ;   in Loop: Header=BB222_796 Depth=1
	v_and_b32_e32 v6, 7, v6
	v_lshrrev_b32_e32 v8, 3, v10
	s_mov_b32 s18, exec_lo
	v_cmpx_gt_u32_e32 8, v10
; %bb.1216:                             ;   in Loop: Header=BB222_796 Depth=1
	v_ffbh_u32_e32 v8, v6
	v_min_u32_e32 v8, 32, v8
	v_subrev_nc_u32_e32 v10, 28, v8
	v_sub_nc_u32_e32 v8, 29, v8
	v_lshlrev_b64 v[10:11], v10, v[6:7]
	v_and_b32_e32 v6, 7, v10
; %bb.1217:                             ;   in Loop: Header=BB222_796 Depth=1
	s_or_b32 exec_lo, exec_lo, s18
	v_lshlrev_b32_e32 v10, 16, v13
	v_lshlrev_b32_e32 v6, 20, v6
	v_lshl_add_u32 v8, v8, 23, 0x3c000000
	v_mov_b32_e32 v19, v7
	v_and_b32_e32 v10, 0x80000000, v10
	v_or3_b32 v20, v6, v10, v8
.LBB222_1218:                           ;   in Loop: Header=BB222_796 Depth=1
	s_or_b32 exec_lo, exec_lo, s15
.LBB222_1219:                           ;   in Loop: Header=BB222_796 Depth=1
	s_or_b32 exec_lo, exec_lo, s13
.LBB222_1220:                           ;   in Loop: Header=BB222_796 Depth=1
	s_or_b32 exec_lo, exec_lo, s7
	v_mov_b32_e32 v10, 0
	v_mov_b32_e32 v21, 0
	v_and_b32_sdwa v6, v13, v70 dst_sel:DWORD dst_unused:UNUSED_PAD src0_sel:WORD_1 src1_sel:DWORD
	v_mov_b32_e32 v11, 0
	v_mov_b32_e32 v22, 0
	s_mov_b32 s7, exec_lo
	v_cmpx_ne_u16_e32 0, v6
	s_cbranch_execz .LBB222_1228
; %bb.1221:                             ;   in Loop: Header=BB222_796 Depth=1
	v_bfrev_b32_e32 v21, 1
	v_mov_b32_e32 v22, 0
	s_mov_b32 s13, exec_lo
	v_cmpx_ne_u16_e32 0x80, v6
	s_cbranch_execz .LBB222_1227
; %bb.1222:                             ;   in Loop: Header=BB222_796 Depth=1
	v_mov_b32_e32 v21, 0x7f800001
	v_bfe_u32 v14, v13, 16, 7
	v_mov_b32_e32 v22, 0
	s_mov_b32 s15, exec_lo
	v_cmpx_ne_u32_e32 0x7f, v14
	s_cbranch_execz .LBB222_1226
; %bb.1223:                             ;   in Loop: Header=BB222_796 Depth=1
	v_mov_b32_e32 v6, 7
	v_lshrrev_b32_e32 v8, 3, v14
	s_mov_b32 s18, exec_lo
	v_and_b32_sdwa v6, v13, v6 dst_sel:DWORD dst_unused:UNUSED_PAD src0_sel:WORD_1 src1_sel:DWORD
	v_cmpx_gt_u32_e32 8, v14
; %bb.1224:                             ;   in Loop: Header=BB222_796 Depth=1
	v_ffbh_u32_e32 v8, v6
	v_min_u32_e32 v8, 32, v8
	v_subrev_nc_u32_e32 v14, 28, v8
	v_sub_nc_u32_e32 v8, 29, v8
	v_lshlrev_b64 v[21:22], v14, v[6:7]
	v_and_b32_e32 v6, 7, v21
; %bb.1225:                             ;   in Loop: Header=BB222_796 Depth=1
	s_or_b32 exec_lo, exec_lo, s18
	v_mov_b32_e32 v14, 24
	v_lshlrev_b32_e32 v6, 20, v6
	v_lshl_add_u32 v8, v8, 23, 0x3c000000
	v_lshlrev_b32_sdwa v14, v14, v13 dst_sel:DWORD dst_unused:UNUSED_PAD src0_sel:DWORD src1_sel:WORD_1
	v_and_b32_e32 v14, 0x80000000, v14
	v_or3_b32 v6, v6, v14, v8
	v_mov_b32_e32 v22, v7
	v_mov_b32_e32 v21, v6
.LBB222_1226:                           ;   in Loop: Header=BB222_796 Depth=1
	s_or_b32 exec_lo, exec_lo, s15
.LBB222_1227:                           ;   in Loop: Header=BB222_796 Depth=1
	s_or_b32 exec_lo, exec_lo, s13
.LBB222_1228:                           ;   in Loop: Header=BB222_796 Depth=1
	s_or_b32 exec_lo, exec_lo, s7
	s_mov_b32 s7, exec_lo
	v_cmpx_lt_u32_e32 0xffffff, v13
	s_cbranch_execz .LBB222_1236
; %bb.1229:                             ;   in Loop: Header=BB222_796 Depth=1
	v_mov_b32_e32 v8, v7
	v_mov_b32_e32 v11, v9
	v_cmp_ne_u32_sdwa s4, v13, v68 src0_sel:BYTE_3 src1_sel:DWORD
	v_mov_b32_e32 v10, v8
	s_and_saveexec_b32 s13, s4
	s_cbranch_execz .LBB222_1235
; %bb.1230:                             ;   in Loop: Header=BB222_796 Depth=1
	v_mov_b32_e32 v11, v7
	v_bfe_u32 v14, v13, 24, 7
	s_mov_b32 s15, exec_lo
	v_mov_b32_e32 v10, v11
	v_mov_b32_e32 v11, v12
	v_cmpx_ne_u32_e32 0x7f, v14
	s_cbranch_execz .LBB222_1234
; %bb.1231:                             ;   in Loop: Header=BB222_796 Depth=1
	v_mov_b32_e32 v6, 7
	v_lshrrev_b32_e32 v8, 3, v14
	s_mov_b32 s18, exec_lo
	v_and_b32_sdwa v6, v13, v6 dst_sel:DWORD dst_unused:UNUSED_PAD src0_sel:BYTE_3 src1_sel:DWORD
	v_cmpx_gt_u32_e32 8, v14
; %bb.1232:                             ;   in Loop: Header=BB222_796 Depth=1
	v_ffbh_u32_e32 v8, v6
	v_min_u32_e32 v8, 32, v8
	v_subrev_nc_u32_e32 v10, 28, v8
	v_sub_nc_u32_e32 v8, 29, v8
	v_lshlrev_b64 v[10:11], v10, v[6:7]
	v_and_b32_e32 v6, 7, v10
; %bb.1233:                             ;   in Loop: Header=BB222_796 Depth=1
	s_or_b32 exec_lo, exec_lo, s18
	v_mov_b32_e32 v10, 24
	v_lshlrev_b32_e32 v6, 20, v6
	v_lshl_add_u32 v8, v8, 23, 0x3c000000
	v_lshlrev_b32_sdwa v10, v10, v13 dst_sel:DWORD dst_unused:UNUSED_PAD src0_sel:DWORD src1_sel:BYTE_3
	v_and_b32_e32 v10, 0x80000000, v10
	v_or3_b32 v11, v6, v10, v8
	v_mov_b32_e32 v10, v7
.LBB222_1234:                           ;   in Loop: Header=BB222_796 Depth=1
	s_or_b32 exec_lo, exec_lo, s15
.LBB222_1235:                           ;   in Loop: Header=BB222_796 Depth=1
	s_or_b32 exec_lo, exec_lo, s13
.LBB222_1236:                           ;   in Loop: Header=BB222_796 Depth=1
	s_or_b32 exec_lo, exec_lo, s7
	v_or_b32_e32 v6, v20, v18
	v_or_b32_e32 v8, v19, v17
	;; [unrolled: 1-line block ×4, first 2 shown]
	v_mul_f32_e32 v107, v83, v6
	v_mul_f32_e32 v108, v67, v8
	;; [unrolled: 1-line block ×4, first 2 shown]
	s_and_saveexec_b32 s7, vcc_lo
	s_cbranch_execz .LBB222_1238
; %bb.1237:                             ;   in Loop: Header=BB222_796 Depth=1
	v_cmp_lt_i32_e64 s4, v101, v116
	v_cndmask_b32_e64 v108, 0, v108, s4
	v_cmp_lt_i32_e64 s4, v103, v116
	v_cndmask_b32_e64 v107, 0, v107, s4
	;; [unrolled: 2-line block ×4, first 2 shown]
.LBB222_1238:                           ;   in Loop: Header=BB222_796 Depth=1
	s_or_b32 exec_lo, exec_lo, s7
	flat_load_dword v13, v[0:1] offset:1664
	v_mov_b32_e32 v19, 0
	v_mov_b32_e32 v17, 0
	v_mov_b32_e32 v20, 0
	v_mov_b32_e32 v18, 0
	s_waitcnt vmcnt(0) lgkmcnt(0)
	v_cmp_ne_u16_sdwa s4, v13, v7 src0_sel:BYTE_0 src1_sel:DWORD
	s_and_saveexec_b32 s7, s4
	s_cbranch_execz .LBB222_1246
; %bb.1239:                             ;   in Loop: Header=BB222_796 Depth=1
	v_bfrev_b32_e32 v17, 1
	v_mov_b32_e32 v18, 0
	v_cmp_ne_u16_sdwa s4, v13, v68 src0_sel:BYTE_0 src1_sel:DWORD
	s_and_saveexec_b32 s13, s4
	s_cbranch_execz .LBB222_1245
; %bb.1240:                             ;   in Loop: Header=BB222_796 Depth=1
	v_mov_b32_e32 v17, 0x7f800001
	v_and_b32_e32 v10, 0x7f, v13
	v_mov_b32_e32 v18, 0
	s_mov_b32 s15, exec_lo
	v_cmpx_ne_u32_e32 0x7f, v10
	s_cbranch_execz .LBB222_1244
; %bb.1241:                             ;   in Loop: Header=BB222_796 Depth=1
	v_and_b32_e32 v6, 7, v13
	v_lshrrev_b32_e32 v8, 3, v10
	s_mov_b32 s18, exec_lo
	v_cmpx_gt_u32_e32 8, v10
; %bb.1242:                             ;   in Loop: Header=BB222_796 Depth=1
	v_ffbh_u32_e32 v8, v6
	v_min_u32_e32 v8, 32, v8
	v_subrev_nc_u32_e32 v10, 28, v8
	v_sub_nc_u32_e32 v8, 29, v8
	v_lshlrev_b64 v[10:11], v10, v[6:7]
	v_and_b32_e32 v6, 7, v10
; %bb.1243:                             ;   in Loop: Header=BB222_796 Depth=1
	s_or_b32 exec_lo, exec_lo, s18
	v_lshlrev_b32_e32 v10, 24, v13
	v_lshlrev_b32_e32 v6, 20, v6
	v_lshl_add_u32 v8, v8, 23, 0x3c000000
	v_and_b32_e32 v10, 0x80000000, v10
	v_or3_b32 v6, v6, v10, v8
	v_mov_b32_e32 v18, v7
	v_mov_b32_e32 v17, v6
.LBB222_1244:                           ;   in Loop: Header=BB222_796 Depth=1
	s_or_b32 exec_lo, exec_lo, s15
.LBB222_1245:                           ;   in Loop: Header=BB222_796 Depth=1
	s_or_b32 exec_lo, exec_lo, s13
.LBB222_1246:                           ;   in Loop: Header=BB222_796 Depth=1
	s_or_b32 exec_lo, exec_lo, s7
	v_cmp_ne_u16_sdwa s4, v13, v7 src0_sel:BYTE_1 src1_sel:DWORD
	s_and_saveexec_b32 s7, s4
	s_cbranch_execz .LBB222_1254
; %bb.1247:                             ;   in Loop: Header=BB222_796 Depth=1
	v_mov_b32_e32 v8, v7
	v_mov_b32_e32 v20, v9
	v_cmp_ne_u16_sdwa s4, v13, v68 src0_sel:BYTE_1 src1_sel:DWORD
	v_mov_b32_e32 v19, v8
	s_and_saveexec_b32 s13, s4
	s_cbranch_execz .LBB222_1253
; %bb.1248:                             ;   in Loop: Header=BB222_796 Depth=1
	v_and_b32_sdwa v6, v44, v13 dst_sel:DWORD dst_unused:UNUSED_PAD src0_sel:DWORD src1_sel:BYTE_1
	v_mov_b32_e32 v11, v7
	v_mov_b32_e32 v20, v12
	s_mov_b32 s15, exec_lo
	v_and_b32_e32 v10, 0x7f, v6
	v_mov_b32_e32 v19, v11
	v_cmpx_ne_u32_e32 0x7f, v10
	s_cbranch_execz .LBB222_1252
; %bb.1249:                             ;   in Loop: Header=BB222_796 Depth=1
	v_and_b32_e32 v6, 7, v6
	v_lshrrev_b32_e32 v8, 3, v10
	s_mov_b32 s18, exec_lo
	v_cmpx_gt_u32_e32 8, v10
; %bb.1250:                             ;   in Loop: Header=BB222_796 Depth=1
	v_ffbh_u32_e32 v8, v6
	v_min_u32_e32 v8, 32, v8
	v_subrev_nc_u32_e32 v10, 28, v8
	v_sub_nc_u32_e32 v8, 29, v8
	v_lshlrev_b64 v[10:11], v10, v[6:7]
	v_and_b32_e32 v6, 7, v10
; %bb.1251:                             ;   in Loop: Header=BB222_796 Depth=1
	s_or_b32 exec_lo, exec_lo, s18
	v_lshlrev_b32_e32 v10, 16, v13
	v_lshlrev_b32_e32 v6, 20, v6
	v_lshl_add_u32 v8, v8, 23, 0x3c000000
	v_mov_b32_e32 v19, v7
	v_and_b32_e32 v10, 0x80000000, v10
	v_or3_b32 v20, v6, v10, v8
.LBB222_1252:                           ;   in Loop: Header=BB222_796 Depth=1
	s_or_b32 exec_lo, exec_lo, s15
.LBB222_1253:                           ;   in Loop: Header=BB222_796 Depth=1
	s_or_b32 exec_lo, exec_lo, s13
.LBB222_1254:                           ;   in Loop: Header=BB222_796 Depth=1
	s_or_b32 exec_lo, exec_lo, s7
	v_mov_b32_e32 v10, 0
	v_mov_b32_e32 v21, 0
	v_and_b32_sdwa v6, v13, v70 dst_sel:DWORD dst_unused:UNUSED_PAD src0_sel:WORD_1 src1_sel:DWORD
	v_mov_b32_e32 v11, 0
	v_mov_b32_e32 v22, 0
	s_mov_b32 s7, exec_lo
	v_cmpx_ne_u16_e32 0, v6
	s_cbranch_execz .LBB222_1262
; %bb.1255:                             ;   in Loop: Header=BB222_796 Depth=1
	v_bfrev_b32_e32 v21, 1
	v_mov_b32_e32 v22, 0
	s_mov_b32 s13, exec_lo
	v_cmpx_ne_u16_e32 0x80, v6
	s_cbranch_execz .LBB222_1261
; %bb.1256:                             ;   in Loop: Header=BB222_796 Depth=1
	v_mov_b32_e32 v21, 0x7f800001
	v_bfe_u32 v14, v13, 16, 7
	v_mov_b32_e32 v22, 0
	s_mov_b32 s15, exec_lo
	v_cmpx_ne_u32_e32 0x7f, v14
	s_cbranch_execz .LBB222_1260
; %bb.1257:                             ;   in Loop: Header=BB222_796 Depth=1
	v_mov_b32_e32 v6, 7
	v_lshrrev_b32_e32 v8, 3, v14
	s_mov_b32 s18, exec_lo
	v_and_b32_sdwa v6, v13, v6 dst_sel:DWORD dst_unused:UNUSED_PAD src0_sel:WORD_1 src1_sel:DWORD
	v_cmpx_gt_u32_e32 8, v14
; %bb.1258:                             ;   in Loop: Header=BB222_796 Depth=1
	v_ffbh_u32_e32 v8, v6
	v_min_u32_e32 v8, 32, v8
	v_subrev_nc_u32_e32 v14, 28, v8
	v_sub_nc_u32_e32 v8, 29, v8
	v_lshlrev_b64 v[21:22], v14, v[6:7]
	v_and_b32_e32 v6, 7, v21
; %bb.1259:                             ;   in Loop: Header=BB222_796 Depth=1
	s_or_b32 exec_lo, exec_lo, s18
	v_mov_b32_e32 v14, 24
	v_lshlrev_b32_e32 v6, 20, v6
	v_lshl_add_u32 v8, v8, 23, 0x3c000000
	v_lshlrev_b32_sdwa v14, v14, v13 dst_sel:DWORD dst_unused:UNUSED_PAD src0_sel:DWORD src1_sel:WORD_1
	v_and_b32_e32 v14, 0x80000000, v14
	v_or3_b32 v6, v6, v14, v8
	v_mov_b32_e32 v22, v7
	v_mov_b32_e32 v21, v6
.LBB222_1260:                           ;   in Loop: Header=BB222_796 Depth=1
	s_or_b32 exec_lo, exec_lo, s15
.LBB222_1261:                           ;   in Loop: Header=BB222_796 Depth=1
	s_or_b32 exec_lo, exec_lo, s13
.LBB222_1262:                           ;   in Loop: Header=BB222_796 Depth=1
	s_or_b32 exec_lo, exec_lo, s7
	s_mov_b32 s7, exec_lo
	v_cmpx_lt_u32_e32 0xffffff, v13
	s_cbranch_execz .LBB222_1270
; %bb.1263:                             ;   in Loop: Header=BB222_796 Depth=1
	v_mov_b32_e32 v8, v7
	v_mov_b32_e32 v11, v9
	v_cmp_ne_u32_sdwa s4, v13, v68 src0_sel:BYTE_3 src1_sel:DWORD
	v_mov_b32_e32 v10, v8
	s_and_saveexec_b32 s13, s4
	s_cbranch_execz .LBB222_1269
; %bb.1264:                             ;   in Loop: Header=BB222_796 Depth=1
	v_mov_b32_e32 v11, v7
	v_bfe_u32 v14, v13, 24, 7
	s_mov_b32 s15, exec_lo
	v_mov_b32_e32 v10, v11
	v_mov_b32_e32 v11, v12
	v_cmpx_ne_u32_e32 0x7f, v14
	s_cbranch_execz .LBB222_1268
; %bb.1265:                             ;   in Loop: Header=BB222_796 Depth=1
	v_mov_b32_e32 v6, 7
	v_lshrrev_b32_e32 v8, 3, v14
	s_mov_b32 s18, exec_lo
	v_and_b32_sdwa v6, v13, v6 dst_sel:DWORD dst_unused:UNUSED_PAD src0_sel:BYTE_3 src1_sel:DWORD
	v_cmpx_gt_u32_e32 8, v14
; %bb.1266:                             ;   in Loop: Header=BB222_796 Depth=1
	v_ffbh_u32_e32 v8, v6
	v_min_u32_e32 v8, 32, v8
	v_subrev_nc_u32_e32 v10, 28, v8
	v_sub_nc_u32_e32 v8, 29, v8
	v_lshlrev_b64 v[10:11], v10, v[6:7]
	v_and_b32_e32 v6, 7, v10
; %bb.1267:                             ;   in Loop: Header=BB222_796 Depth=1
	s_or_b32 exec_lo, exec_lo, s18
	v_mov_b32_e32 v10, 24
	v_lshlrev_b32_e32 v6, 20, v6
	v_lshl_add_u32 v8, v8, 23, 0x3c000000
	v_lshlrev_b32_sdwa v10, v10, v13 dst_sel:DWORD dst_unused:UNUSED_PAD src0_sel:DWORD src1_sel:BYTE_3
	v_and_b32_e32 v10, 0x80000000, v10
	v_or3_b32 v11, v6, v10, v8
	v_mov_b32_e32 v10, v7
.LBB222_1268:                           ;   in Loop: Header=BB222_796 Depth=1
	s_or_b32 exec_lo, exec_lo, s15
.LBB222_1269:                           ;   in Loop: Header=BB222_796 Depth=1
	s_or_b32 exec_lo, exec_lo, s13
.LBB222_1270:                           ;   in Loop: Header=BB222_796 Depth=1
	s_or_b32 exec_lo, exec_lo, s7
	v_or_b32_e32 v6, v20, v18
	v_or_b32_e32 v8, v19, v17
	;; [unrolled: 1-line block ×4, first 2 shown]
	v_mul_f32_e32 v120, v83, v6
	v_mul_f32_e32 v111, v67, v8
	;; [unrolled: 1-line block ×4, first 2 shown]
	s_and_saveexec_b32 s7, vcc_lo
	s_cbranch_execz .LBB222_1272
; %bb.1271:                             ;   in Loop: Header=BB222_796 Depth=1
	v_cmp_lt_i32_e64 s4, v101, v116
	v_cndmask_b32_e64 v111, 0, v111, s4
	v_cmp_lt_i32_e64 s4, v103, v116
	v_cndmask_b32_e64 v120, 0, v120, s4
	;; [unrolled: 2-line block ×4, first 2 shown]
.LBB222_1272:                           ;   in Loop: Header=BB222_796 Depth=1
	s_or_b32 exec_lo, exec_lo, s7
	flat_load_dword v13, v[0:1] offset:1792
	v_mov_b32_e32 v19, 0
	v_mov_b32_e32 v17, 0
	;; [unrolled: 1-line block ×4, first 2 shown]
	s_waitcnt vmcnt(0) lgkmcnt(0)
	v_cmp_ne_u16_sdwa s4, v13, v7 src0_sel:BYTE_0 src1_sel:DWORD
	s_and_saveexec_b32 s7, s4
	s_cbranch_execz .LBB222_1280
; %bb.1273:                             ;   in Loop: Header=BB222_796 Depth=1
	v_bfrev_b32_e32 v17, 1
	v_mov_b32_e32 v18, 0
	v_cmp_ne_u16_sdwa s4, v13, v68 src0_sel:BYTE_0 src1_sel:DWORD
	s_and_saveexec_b32 s13, s4
	s_cbranch_execz .LBB222_1279
; %bb.1274:                             ;   in Loop: Header=BB222_796 Depth=1
	v_mov_b32_e32 v17, 0x7f800001
	v_and_b32_e32 v10, 0x7f, v13
	v_mov_b32_e32 v18, 0
	s_mov_b32 s15, exec_lo
	v_cmpx_ne_u32_e32 0x7f, v10
	s_cbranch_execz .LBB222_1278
; %bb.1275:                             ;   in Loop: Header=BB222_796 Depth=1
	v_and_b32_e32 v6, 7, v13
	v_lshrrev_b32_e32 v8, 3, v10
	s_mov_b32 s18, exec_lo
	v_cmpx_gt_u32_e32 8, v10
; %bb.1276:                             ;   in Loop: Header=BB222_796 Depth=1
	v_ffbh_u32_e32 v8, v6
	v_min_u32_e32 v8, 32, v8
	v_subrev_nc_u32_e32 v10, 28, v8
	v_sub_nc_u32_e32 v8, 29, v8
	v_lshlrev_b64 v[10:11], v10, v[6:7]
	v_and_b32_e32 v6, 7, v10
; %bb.1277:                             ;   in Loop: Header=BB222_796 Depth=1
	s_or_b32 exec_lo, exec_lo, s18
	v_lshlrev_b32_e32 v10, 24, v13
	v_lshlrev_b32_e32 v6, 20, v6
	v_lshl_add_u32 v8, v8, 23, 0x3c000000
	v_and_b32_e32 v10, 0x80000000, v10
	v_or3_b32 v6, v6, v10, v8
	v_mov_b32_e32 v18, v7
	v_mov_b32_e32 v17, v6
.LBB222_1278:                           ;   in Loop: Header=BB222_796 Depth=1
	s_or_b32 exec_lo, exec_lo, s15
.LBB222_1279:                           ;   in Loop: Header=BB222_796 Depth=1
	s_or_b32 exec_lo, exec_lo, s13
.LBB222_1280:                           ;   in Loop: Header=BB222_796 Depth=1
	s_or_b32 exec_lo, exec_lo, s7
	v_cmp_ne_u16_sdwa s4, v13, v7 src0_sel:BYTE_1 src1_sel:DWORD
	s_and_saveexec_b32 s7, s4
	s_cbranch_execz .LBB222_1288
; %bb.1281:                             ;   in Loop: Header=BB222_796 Depth=1
	v_mov_b32_e32 v8, v7
	v_mov_b32_e32 v20, v9
	v_cmp_ne_u16_sdwa s4, v13, v68 src0_sel:BYTE_1 src1_sel:DWORD
	v_mov_b32_e32 v19, v8
	s_and_saveexec_b32 s13, s4
	s_cbranch_execz .LBB222_1287
; %bb.1282:                             ;   in Loop: Header=BB222_796 Depth=1
	v_and_b32_sdwa v6, v44, v13 dst_sel:DWORD dst_unused:UNUSED_PAD src0_sel:DWORD src1_sel:BYTE_1
	v_mov_b32_e32 v11, v7
	v_mov_b32_e32 v20, v12
	s_mov_b32 s15, exec_lo
	v_and_b32_e32 v10, 0x7f, v6
	v_mov_b32_e32 v19, v11
	v_cmpx_ne_u32_e32 0x7f, v10
	s_cbranch_execz .LBB222_1286
; %bb.1283:                             ;   in Loop: Header=BB222_796 Depth=1
	v_and_b32_e32 v6, 7, v6
	v_lshrrev_b32_e32 v8, 3, v10
	s_mov_b32 s18, exec_lo
	v_cmpx_gt_u32_e32 8, v10
; %bb.1284:                             ;   in Loop: Header=BB222_796 Depth=1
	v_ffbh_u32_e32 v8, v6
	v_min_u32_e32 v8, 32, v8
	v_subrev_nc_u32_e32 v10, 28, v8
	v_sub_nc_u32_e32 v8, 29, v8
	v_lshlrev_b64 v[10:11], v10, v[6:7]
	v_and_b32_e32 v6, 7, v10
; %bb.1285:                             ;   in Loop: Header=BB222_796 Depth=1
	s_or_b32 exec_lo, exec_lo, s18
	v_lshlrev_b32_e32 v10, 16, v13
	v_lshlrev_b32_e32 v6, 20, v6
	v_lshl_add_u32 v8, v8, 23, 0x3c000000
	v_mov_b32_e32 v19, v7
	v_and_b32_e32 v10, 0x80000000, v10
	v_or3_b32 v20, v6, v10, v8
.LBB222_1286:                           ;   in Loop: Header=BB222_796 Depth=1
	s_or_b32 exec_lo, exec_lo, s15
.LBB222_1287:                           ;   in Loop: Header=BB222_796 Depth=1
	s_or_b32 exec_lo, exec_lo, s13
.LBB222_1288:                           ;   in Loop: Header=BB222_796 Depth=1
	s_or_b32 exec_lo, exec_lo, s7
	v_mov_b32_e32 v10, 0
	v_mov_b32_e32 v21, 0
	v_and_b32_sdwa v6, v13, v70 dst_sel:DWORD dst_unused:UNUSED_PAD src0_sel:WORD_1 src1_sel:DWORD
	v_mov_b32_e32 v11, 0
	v_mov_b32_e32 v22, 0
	s_mov_b32 s7, exec_lo
	v_cmpx_ne_u16_e32 0, v6
	s_cbranch_execz .LBB222_1296
; %bb.1289:                             ;   in Loop: Header=BB222_796 Depth=1
	v_bfrev_b32_e32 v21, 1
	v_mov_b32_e32 v22, 0
	s_mov_b32 s13, exec_lo
	v_cmpx_ne_u16_e32 0x80, v6
	s_cbranch_execz .LBB222_1295
; %bb.1290:                             ;   in Loop: Header=BB222_796 Depth=1
	v_mov_b32_e32 v21, 0x7f800001
	v_bfe_u32 v14, v13, 16, 7
	v_mov_b32_e32 v22, 0
	s_mov_b32 s15, exec_lo
	v_cmpx_ne_u32_e32 0x7f, v14
	s_cbranch_execz .LBB222_1294
; %bb.1291:                             ;   in Loop: Header=BB222_796 Depth=1
	v_mov_b32_e32 v6, 7
	v_lshrrev_b32_e32 v8, 3, v14
	s_mov_b32 s18, exec_lo
	v_and_b32_sdwa v6, v13, v6 dst_sel:DWORD dst_unused:UNUSED_PAD src0_sel:WORD_1 src1_sel:DWORD
	v_cmpx_gt_u32_e32 8, v14
; %bb.1292:                             ;   in Loop: Header=BB222_796 Depth=1
	v_ffbh_u32_e32 v8, v6
	v_min_u32_e32 v8, 32, v8
	v_subrev_nc_u32_e32 v14, 28, v8
	v_sub_nc_u32_e32 v8, 29, v8
	v_lshlrev_b64 v[21:22], v14, v[6:7]
	v_and_b32_e32 v6, 7, v21
; %bb.1293:                             ;   in Loop: Header=BB222_796 Depth=1
	s_or_b32 exec_lo, exec_lo, s18
	v_mov_b32_e32 v14, 24
	v_lshlrev_b32_e32 v6, 20, v6
	v_lshl_add_u32 v8, v8, 23, 0x3c000000
	v_lshlrev_b32_sdwa v14, v14, v13 dst_sel:DWORD dst_unused:UNUSED_PAD src0_sel:DWORD src1_sel:WORD_1
	v_and_b32_e32 v14, 0x80000000, v14
	v_or3_b32 v6, v6, v14, v8
	v_mov_b32_e32 v22, v7
	v_mov_b32_e32 v21, v6
.LBB222_1294:                           ;   in Loop: Header=BB222_796 Depth=1
	s_or_b32 exec_lo, exec_lo, s15
.LBB222_1295:                           ;   in Loop: Header=BB222_796 Depth=1
	s_or_b32 exec_lo, exec_lo, s13
.LBB222_1296:                           ;   in Loop: Header=BB222_796 Depth=1
	s_or_b32 exec_lo, exec_lo, s7
	s_mov_b32 s7, exec_lo
	v_cmpx_lt_u32_e32 0xffffff, v13
	s_cbranch_execz .LBB222_1304
; %bb.1297:                             ;   in Loop: Header=BB222_796 Depth=1
	v_mov_b32_e32 v8, v7
	v_mov_b32_e32 v11, v9
	v_cmp_ne_u32_sdwa s4, v13, v68 src0_sel:BYTE_3 src1_sel:DWORD
	v_mov_b32_e32 v10, v8
	s_and_saveexec_b32 s13, s4
	s_cbranch_execz .LBB222_1303
; %bb.1298:                             ;   in Loop: Header=BB222_796 Depth=1
	v_mov_b32_e32 v11, v7
	v_bfe_u32 v14, v13, 24, 7
	s_mov_b32 s15, exec_lo
	v_mov_b32_e32 v10, v11
	v_mov_b32_e32 v11, v12
	v_cmpx_ne_u32_e32 0x7f, v14
	s_cbranch_execz .LBB222_1302
; %bb.1299:                             ;   in Loop: Header=BB222_796 Depth=1
	v_mov_b32_e32 v6, 7
	v_lshrrev_b32_e32 v8, 3, v14
	s_mov_b32 s18, exec_lo
	v_and_b32_sdwa v6, v13, v6 dst_sel:DWORD dst_unused:UNUSED_PAD src0_sel:BYTE_3 src1_sel:DWORD
	v_cmpx_gt_u32_e32 8, v14
; %bb.1300:                             ;   in Loop: Header=BB222_796 Depth=1
	v_ffbh_u32_e32 v8, v6
	v_min_u32_e32 v8, 32, v8
	v_subrev_nc_u32_e32 v10, 28, v8
	v_sub_nc_u32_e32 v8, 29, v8
	v_lshlrev_b64 v[10:11], v10, v[6:7]
	v_and_b32_e32 v6, 7, v10
; %bb.1301:                             ;   in Loop: Header=BB222_796 Depth=1
	s_or_b32 exec_lo, exec_lo, s18
	v_mov_b32_e32 v10, 24
	v_lshlrev_b32_e32 v6, 20, v6
	v_lshl_add_u32 v8, v8, 23, 0x3c000000
	v_lshlrev_b32_sdwa v10, v10, v13 dst_sel:DWORD dst_unused:UNUSED_PAD src0_sel:DWORD src1_sel:BYTE_3
	v_and_b32_e32 v10, 0x80000000, v10
	v_or3_b32 v11, v6, v10, v8
	v_mov_b32_e32 v10, v7
.LBB222_1302:                           ;   in Loop: Header=BB222_796 Depth=1
	s_or_b32 exec_lo, exec_lo, s15
.LBB222_1303:                           ;   in Loop: Header=BB222_796 Depth=1
	s_or_b32 exec_lo, exec_lo, s13
.LBB222_1304:                           ;   in Loop: Header=BB222_796 Depth=1
	s_or_b32 exec_lo, exec_lo, s7
	v_or_b32_e32 v6, v20, v18
	v_or_b32_e32 v8, v19, v17
	v_or_b32_e32 v10, v10, v21
	v_or_b32_e32 v11, v11, v22
	v_mul_f32_e32 v124, v83, v6
	v_mul_f32_e32 v123, v67, v8
	;; [unrolled: 1-line block ×4, first 2 shown]
	s_and_saveexec_b32 s7, vcc_lo
	s_cbranch_execz .LBB222_1306
; %bb.1305:                             ;   in Loop: Header=BB222_796 Depth=1
	v_cmp_lt_i32_e64 s4, v101, v116
	v_cndmask_b32_e64 v123, 0, v123, s4
	v_cmp_lt_i32_e64 s4, v103, v116
	v_cndmask_b32_e64 v124, 0, v124, s4
	v_cmp_lt_i32_e64 s4, v102, v116
	v_cndmask_b32_e64 v122, 0, v122, s4
	v_cmp_lt_i32_e64 s4, v81, v116
	v_cndmask_b32_e64 v121, 0, v121, s4
.LBB222_1306:                           ;   in Loop: Header=BB222_796 Depth=1
	s_or_b32 exec_lo, exec_lo, s7
	flat_load_dword v13, v[0:1] offset:1920
	v_mov_b32_e32 v19, 0
	v_mov_b32_e32 v17, 0
	;; [unrolled: 1-line block ×4, first 2 shown]
	s_waitcnt vmcnt(0) lgkmcnt(0)
	v_cmp_ne_u16_sdwa s4, v13, v7 src0_sel:BYTE_0 src1_sel:DWORD
	s_and_saveexec_b32 s7, s4
	s_cbranch_execz .LBB222_1314
; %bb.1307:                             ;   in Loop: Header=BB222_796 Depth=1
	v_bfrev_b32_e32 v17, 1
	v_mov_b32_e32 v18, 0
	v_cmp_ne_u16_sdwa s4, v13, v68 src0_sel:BYTE_0 src1_sel:DWORD
	s_and_saveexec_b32 s13, s4
	s_cbranch_execz .LBB222_1313
; %bb.1308:                             ;   in Loop: Header=BB222_796 Depth=1
	v_mov_b32_e32 v17, 0x7f800001
	v_and_b32_e32 v10, 0x7f, v13
	v_mov_b32_e32 v18, 0
	s_mov_b32 s15, exec_lo
	v_cmpx_ne_u32_e32 0x7f, v10
	s_cbranch_execz .LBB222_1312
; %bb.1309:                             ;   in Loop: Header=BB222_796 Depth=1
	v_and_b32_e32 v6, 7, v13
	v_lshrrev_b32_e32 v8, 3, v10
	s_mov_b32 s18, exec_lo
	v_cmpx_gt_u32_e32 8, v10
; %bb.1310:                             ;   in Loop: Header=BB222_796 Depth=1
	v_ffbh_u32_e32 v8, v6
	v_min_u32_e32 v8, 32, v8
	v_subrev_nc_u32_e32 v10, 28, v8
	v_sub_nc_u32_e32 v8, 29, v8
	v_lshlrev_b64 v[10:11], v10, v[6:7]
	v_and_b32_e32 v6, 7, v10
; %bb.1311:                             ;   in Loop: Header=BB222_796 Depth=1
	s_or_b32 exec_lo, exec_lo, s18
	v_lshlrev_b32_e32 v10, 24, v13
	v_lshlrev_b32_e32 v6, 20, v6
	v_lshl_add_u32 v8, v8, 23, 0x3c000000
	v_and_b32_e32 v10, 0x80000000, v10
	v_or3_b32 v6, v6, v10, v8
	v_mov_b32_e32 v18, v7
	v_mov_b32_e32 v17, v6
.LBB222_1312:                           ;   in Loop: Header=BB222_796 Depth=1
	s_or_b32 exec_lo, exec_lo, s15
.LBB222_1313:                           ;   in Loop: Header=BB222_796 Depth=1
	s_or_b32 exec_lo, exec_lo, s13
.LBB222_1314:                           ;   in Loop: Header=BB222_796 Depth=1
	s_or_b32 exec_lo, exec_lo, s7
	v_cmp_ne_u16_sdwa s4, v13, v7 src0_sel:BYTE_1 src1_sel:DWORD
	s_and_saveexec_b32 s7, s4
	s_cbranch_execz .LBB222_1322
; %bb.1315:                             ;   in Loop: Header=BB222_796 Depth=1
	v_mov_b32_e32 v8, v7
	v_mov_b32_e32 v20, v9
	v_cmp_ne_u16_sdwa s4, v13, v68 src0_sel:BYTE_1 src1_sel:DWORD
	v_mov_b32_e32 v19, v8
	s_and_saveexec_b32 s13, s4
	s_cbranch_execz .LBB222_1321
; %bb.1316:                             ;   in Loop: Header=BB222_796 Depth=1
	v_and_b32_sdwa v6, v44, v13 dst_sel:DWORD dst_unused:UNUSED_PAD src0_sel:DWORD src1_sel:BYTE_1
	v_mov_b32_e32 v11, v7
	v_mov_b32_e32 v20, v12
	s_mov_b32 s15, exec_lo
	v_and_b32_e32 v10, 0x7f, v6
	v_mov_b32_e32 v19, v11
	v_cmpx_ne_u32_e32 0x7f, v10
	s_cbranch_execz .LBB222_1320
; %bb.1317:                             ;   in Loop: Header=BB222_796 Depth=1
	v_and_b32_e32 v6, 7, v6
	v_lshrrev_b32_e32 v8, 3, v10
	s_mov_b32 s18, exec_lo
	v_cmpx_gt_u32_e32 8, v10
; %bb.1318:                             ;   in Loop: Header=BB222_796 Depth=1
	v_ffbh_u32_e32 v8, v6
	v_min_u32_e32 v8, 32, v8
	v_subrev_nc_u32_e32 v10, 28, v8
	v_sub_nc_u32_e32 v8, 29, v8
	v_lshlrev_b64 v[10:11], v10, v[6:7]
	v_and_b32_e32 v6, 7, v10
; %bb.1319:                             ;   in Loop: Header=BB222_796 Depth=1
	s_or_b32 exec_lo, exec_lo, s18
	v_lshlrev_b32_e32 v10, 16, v13
	v_lshlrev_b32_e32 v6, 20, v6
	v_lshl_add_u32 v8, v8, 23, 0x3c000000
	v_mov_b32_e32 v19, v7
	v_and_b32_e32 v10, 0x80000000, v10
	v_or3_b32 v20, v6, v10, v8
.LBB222_1320:                           ;   in Loop: Header=BB222_796 Depth=1
	s_or_b32 exec_lo, exec_lo, s15
.LBB222_1321:                           ;   in Loop: Header=BB222_796 Depth=1
	s_or_b32 exec_lo, exec_lo, s13
.LBB222_1322:                           ;   in Loop: Header=BB222_796 Depth=1
	s_or_b32 exec_lo, exec_lo, s7
	v_mov_b32_e32 v10, 0
	v_mov_b32_e32 v21, 0
	v_and_b32_sdwa v6, v13, v70 dst_sel:DWORD dst_unused:UNUSED_PAD src0_sel:WORD_1 src1_sel:DWORD
	v_mov_b32_e32 v11, 0
	v_mov_b32_e32 v22, 0
	s_mov_b32 s7, exec_lo
	v_cmpx_ne_u16_e32 0, v6
	s_cbranch_execz .LBB222_1330
; %bb.1323:                             ;   in Loop: Header=BB222_796 Depth=1
	v_bfrev_b32_e32 v21, 1
	v_mov_b32_e32 v22, 0
	s_mov_b32 s13, exec_lo
	v_cmpx_ne_u16_e32 0x80, v6
	s_cbranch_execz .LBB222_1329
; %bb.1324:                             ;   in Loop: Header=BB222_796 Depth=1
	v_mov_b32_e32 v21, 0x7f800001
	v_bfe_u32 v14, v13, 16, 7
	v_mov_b32_e32 v22, 0
	s_mov_b32 s15, exec_lo
	v_cmpx_ne_u32_e32 0x7f, v14
	s_cbranch_execz .LBB222_1328
; %bb.1325:                             ;   in Loop: Header=BB222_796 Depth=1
	v_mov_b32_e32 v6, 7
	v_lshrrev_b32_e32 v8, 3, v14
	s_mov_b32 s18, exec_lo
	v_and_b32_sdwa v6, v13, v6 dst_sel:DWORD dst_unused:UNUSED_PAD src0_sel:WORD_1 src1_sel:DWORD
	v_cmpx_gt_u32_e32 8, v14
; %bb.1326:                             ;   in Loop: Header=BB222_796 Depth=1
	v_ffbh_u32_e32 v8, v6
	v_min_u32_e32 v8, 32, v8
	v_subrev_nc_u32_e32 v14, 28, v8
	v_sub_nc_u32_e32 v8, 29, v8
	v_lshlrev_b64 v[21:22], v14, v[6:7]
	v_and_b32_e32 v6, 7, v21
; %bb.1327:                             ;   in Loop: Header=BB222_796 Depth=1
	s_or_b32 exec_lo, exec_lo, s18
	v_mov_b32_e32 v14, 24
	v_lshlrev_b32_e32 v6, 20, v6
	v_lshl_add_u32 v8, v8, 23, 0x3c000000
	v_lshlrev_b32_sdwa v14, v14, v13 dst_sel:DWORD dst_unused:UNUSED_PAD src0_sel:DWORD src1_sel:WORD_1
	v_and_b32_e32 v14, 0x80000000, v14
	v_or3_b32 v6, v6, v14, v8
	v_mov_b32_e32 v22, v7
	v_mov_b32_e32 v21, v6
.LBB222_1328:                           ;   in Loop: Header=BB222_796 Depth=1
	s_or_b32 exec_lo, exec_lo, s15
.LBB222_1329:                           ;   in Loop: Header=BB222_796 Depth=1
	s_or_b32 exec_lo, exec_lo, s13
.LBB222_1330:                           ;   in Loop: Header=BB222_796 Depth=1
	s_or_b32 exec_lo, exec_lo, s7
	s_mov_b32 s7, exec_lo
	v_cmpx_lt_u32_e32 0xffffff, v13
	s_cbranch_execz .LBB222_1338
; %bb.1331:                             ;   in Loop: Header=BB222_796 Depth=1
	v_mov_b32_e32 v8, v7
	v_mov_b32_e32 v11, v9
	v_cmp_ne_u32_sdwa s4, v13, v68 src0_sel:BYTE_3 src1_sel:DWORD
	v_mov_b32_e32 v10, v8
	s_and_saveexec_b32 s13, s4
	s_cbranch_execz .LBB222_1337
; %bb.1332:                             ;   in Loop: Header=BB222_796 Depth=1
	v_mov_b32_e32 v11, v7
	v_bfe_u32 v14, v13, 24, 7
	s_mov_b32 s15, exec_lo
	v_mov_b32_e32 v10, v11
	v_mov_b32_e32 v11, v12
	v_cmpx_ne_u32_e32 0x7f, v14
	s_cbranch_execz .LBB222_1336
; %bb.1333:                             ;   in Loop: Header=BB222_796 Depth=1
	v_mov_b32_e32 v6, 7
	v_lshrrev_b32_e32 v8, 3, v14
	s_mov_b32 s18, exec_lo
	v_and_b32_sdwa v6, v13, v6 dst_sel:DWORD dst_unused:UNUSED_PAD src0_sel:BYTE_3 src1_sel:DWORD
	v_cmpx_gt_u32_e32 8, v14
; %bb.1334:                             ;   in Loop: Header=BB222_796 Depth=1
	v_ffbh_u32_e32 v8, v6
	v_min_u32_e32 v8, 32, v8
	v_subrev_nc_u32_e32 v10, 28, v8
	v_sub_nc_u32_e32 v8, 29, v8
	v_lshlrev_b64 v[10:11], v10, v[6:7]
	v_and_b32_e32 v6, 7, v10
; %bb.1335:                             ;   in Loop: Header=BB222_796 Depth=1
	s_or_b32 exec_lo, exec_lo, s18
	v_mov_b32_e32 v10, 24
	v_lshlrev_b32_e32 v6, 20, v6
	v_lshl_add_u32 v8, v8, 23, 0x3c000000
	v_lshlrev_b32_sdwa v10, v10, v13 dst_sel:DWORD dst_unused:UNUSED_PAD src0_sel:DWORD src1_sel:BYTE_3
	v_and_b32_e32 v10, 0x80000000, v10
	v_or3_b32 v11, v6, v10, v8
	v_mov_b32_e32 v10, v7
.LBB222_1336:                           ;   in Loop: Header=BB222_796 Depth=1
	s_or_b32 exec_lo, exec_lo, s15
.LBB222_1337:                           ;   in Loop: Header=BB222_796 Depth=1
	s_or_b32 exec_lo, exec_lo, s13
.LBB222_1338:                           ;   in Loop: Header=BB222_796 Depth=1
	s_or_b32 exec_lo, exec_lo, s7
	v_or_b32_e32 v6, v20, v18
	v_or_b32_e32 v8, v19, v17
	;; [unrolled: 1-line block ×4, first 2 shown]
	v_mul_f32_e32 v127, v83, v6
	v_mul_f32_e32 v26, v67, v8
	;; [unrolled: 1-line block ×4, first 2 shown]
	s_and_saveexec_b32 s7, vcc_lo
	s_cbranch_execz .LBB222_1340
; %bb.1339:                             ;   in Loop: Header=BB222_796 Depth=1
	v_cmp_lt_i32_e64 s4, v101, v116
	v_cndmask_b32_e64 v26, 0, v26, s4
	v_cmp_lt_i32_e64 s4, v103, v116
	v_cndmask_b32_e64 v127, 0, v127, s4
	v_cmp_lt_i32_e64 s4, v102, v116
	v_cndmask_b32_e64 v126, 0, v126, s4
	v_cmp_lt_i32_e64 s4, v81, v116
	v_cndmask_b32_e64 v125, 0, v125, s4
.LBB222_1340:                           ;   in Loop: Header=BB222_796 Depth=1
	s_or_b32 exec_lo, exec_lo, s7
	v_add_co_u32 v0, s4, 0x800, v0
	v_add_co_ci_u32_e64 v1, null, 0, v1, s4
	v_mov_b32_e32 v19, 0
	v_mov_b32_e32 v17, 0
	;; [unrolled: 1-line block ×3, first 2 shown]
	flat_load_dword v13, v[0:1]
	v_mov_b32_e32 v18, 0
	s_waitcnt vmcnt(0) lgkmcnt(0)
	v_cmp_ne_u16_sdwa s4, v13, v7 src0_sel:BYTE_0 src1_sel:DWORD
	s_and_saveexec_b32 s7, s4
	s_cbranch_execz .LBB222_1348
; %bb.1341:                             ;   in Loop: Header=BB222_796 Depth=1
	v_bfrev_b32_e32 v17, 1
	v_mov_b32_e32 v18, 0
	v_cmp_ne_u16_sdwa s4, v13, v68 src0_sel:BYTE_0 src1_sel:DWORD
	s_and_saveexec_b32 s13, s4
	s_cbranch_execz .LBB222_1347
; %bb.1342:                             ;   in Loop: Header=BB222_796 Depth=1
	v_mov_b32_e32 v17, 0x7f800001
	v_and_b32_e32 v10, 0x7f, v13
	v_mov_b32_e32 v18, 0
	s_mov_b32 s15, exec_lo
	v_cmpx_ne_u32_e32 0x7f, v10
	s_cbranch_execz .LBB222_1346
; %bb.1343:                             ;   in Loop: Header=BB222_796 Depth=1
	v_and_b32_e32 v6, 7, v13
	v_lshrrev_b32_e32 v8, 3, v10
	s_mov_b32 s18, exec_lo
	v_cmpx_gt_u32_e32 8, v10
; %bb.1344:                             ;   in Loop: Header=BB222_796 Depth=1
	v_ffbh_u32_e32 v8, v6
	v_min_u32_e32 v8, 32, v8
	v_subrev_nc_u32_e32 v10, 28, v8
	v_sub_nc_u32_e32 v8, 29, v8
	v_lshlrev_b64 v[10:11], v10, v[6:7]
	v_and_b32_e32 v6, 7, v10
; %bb.1345:                             ;   in Loop: Header=BB222_796 Depth=1
	s_or_b32 exec_lo, exec_lo, s18
	v_lshlrev_b32_e32 v10, 24, v13
	v_lshlrev_b32_e32 v6, 20, v6
	v_lshl_add_u32 v8, v8, 23, 0x3c000000
	v_and_b32_e32 v10, 0x80000000, v10
	v_or3_b32 v6, v6, v10, v8
	v_mov_b32_e32 v18, v7
	v_mov_b32_e32 v17, v6
.LBB222_1346:                           ;   in Loop: Header=BB222_796 Depth=1
	s_or_b32 exec_lo, exec_lo, s15
.LBB222_1347:                           ;   in Loop: Header=BB222_796 Depth=1
	s_or_b32 exec_lo, exec_lo, s13
.LBB222_1348:                           ;   in Loop: Header=BB222_796 Depth=1
	s_or_b32 exec_lo, exec_lo, s7
	v_cmp_ne_u16_sdwa s4, v13, v7 src0_sel:BYTE_1 src1_sel:DWORD
	s_and_saveexec_b32 s7, s4
	s_cbranch_execz .LBB222_1356
; %bb.1349:                             ;   in Loop: Header=BB222_796 Depth=1
	v_mov_b32_e32 v8, v7
	v_mov_b32_e32 v20, v9
	v_cmp_ne_u16_sdwa s4, v13, v68 src0_sel:BYTE_1 src1_sel:DWORD
	v_mov_b32_e32 v19, v8
	s_and_saveexec_b32 s13, s4
	s_cbranch_execz .LBB222_1355
; %bb.1350:                             ;   in Loop: Header=BB222_796 Depth=1
	v_and_b32_sdwa v6, v44, v13 dst_sel:DWORD dst_unused:UNUSED_PAD src0_sel:DWORD src1_sel:BYTE_1
	v_mov_b32_e32 v11, v7
	v_mov_b32_e32 v20, v12
	s_mov_b32 s15, exec_lo
	v_and_b32_e32 v10, 0x7f, v6
	v_mov_b32_e32 v19, v11
	v_cmpx_ne_u32_e32 0x7f, v10
	s_cbranch_execz .LBB222_1354
; %bb.1351:                             ;   in Loop: Header=BB222_796 Depth=1
	v_and_b32_e32 v6, 7, v6
	v_lshrrev_b32_e32 v8, 3, v10
	s_mov_b32 s18, exec_lo
	v_cmpx_gt_u32_e32 8, v10
; %bb.1352:                             ;   in Loop: Header=BB222_796 Depth=1
	v_ffbh_u32_e32 v8, v6
	v_min_u32_e32 v8, 32, v8
	v_subrev_nc_u32_e32 v10, 28, v8
	v_sub_nc_u32_e32 v8, 29, v8
	v_lshlrev_b64 v[10:11], v10, v[6:7]
	v_and_b32_e32 v6, 7, v10
; %bb.1353:                             ;   in Loop: Header=BB222_796 Depth=1
	s_or_b32 exec_lo, exec_lo, s18
	v_lshlrev_b32_e32 v10, 16, v13
	v_lshlrev_b32_e32 v6, 20, v6
	v_lshl_add_u32 v8, v8, 23, 0x3c000000
	v_mov_b32_e32 v19, v7
	v_and_b32_e32 v10, 0x80000000, v10
	v_or3_b32 v20, v6, v10, v8
.LBB222_1354:                           ;   in Loop: Header=BB222_796 Depth=1
	s_or_b32 exec_lo, exec_lo, s15
.LBB222_1355:                           ;   in Loop: Header=BB222_796 Depth=1
	s_or_b32 exec_lo, exec_lo, s13
.LBB222_1356:                           ;   in Loop: Header=BB222_796 Depth=1
	s_or_b32 exec_lo, exec_lo, s7
	v_mov_b32_e32 v10, 0
	v_mov_b32_e32 v21, 0
	v_and_b32_sdwa v6, v13, v70 dst_sel:DWORD dst_unused:UNUSED_PAD src0_sel:WORD_1 src1_sel:DWORD
	v_mov_b32_e32 v11, 0
	v_mov_b32_e32 v22, 0
	s_mov_b32 s7, exec_lo
	v_cmpx_ne_u16_e32 0, v6
	s_cbranch_execz .LBB222_1364
; %bb.1357:                             ;   in Loop: Header=BB222_796 Depth=1
	v_bfrev_b32_e32 v21, 1
	v_mov_b32_e32 v22, 0
	s_mov_b32 s13, exec_lo
	v_cmpx_ne_u16_e32 0x80, v6
	s_cbranch_execz .LBB222_1363
; %bb.1358:                             ;   in Loop: Header=BB222_796 Depth=1
	v_mov_b32_e32 v21, 0x7f800001
	v_bfe_u32 v14, v13, 16, 7
	v_mov_b32_e32 v22, 0
	s_mov_b32 s15, exec_lo
	v_cmpx_ne_u32_e32 0x7f, v14
	s_cbranch_execz .LBB222_1362
; %bb.1359:                             ;   in Loop: Header=BB222_796 Depth=1
	v_mov_b32_e32 v6, 7
	v_lshrrev_b32_e32 v8, 3, v14
	s_mov_b32 s18, exec_lo
	v_and_b32_sdwa v6, v13, v6 dst_sel:DWORD dst_unused:UNUSED_PAD src0_sel:WORD_1 src1_sel:DWORD
	v_cmpx_gt_u32_e32 8, v14
; %bb.1360:                             ;   in Loop: Header=BB222_796 Depth=1
	v_ffbh_u32_e32 v8, v6
	v_min_u32_e32 v8, 32, v8
	v_subrev_nc_u32_e32 v14, 28, v8
	v_sub_nc_u32_e32 v8, 29, v8
	v_lshlrev_b64 v[21:22], v14, v[6:7]
	v_and_b32_e32 v6, 7, v21
; %bb.1361:                             ;   in Loop: Header=BB222_796 Depth=1
	s_or_b32 exec_lo, exec_lo, s18
	v_mov_b32_e32 v14, 24
	v_lshlrev_b32_e32 v6, 20, v6
	v_lshl_add_u32 v8, v8, 23, 0x3c000000
	v_lshlrev_b32_sdwa v14, v14, v13 dst_sel:DWORD dst_unused:UNUSED_PAD src0_sel:DWORD src1_sel:WORD_1
	v_and_b32_e32 v14, 0x80000000, v14
	v_or3_b32 v6, v6, v14, v8
	v_mov_b32_e32 v22, v7
	v_mov_b32_e32 v21, v6
.LBB222_1362:                           ;   in Loop: Header=BB222_796 Depth=1
	s_or_b32 exec_lo, exec_lo, s15
.LBB222_1363:                           ;   in Loop: Header=BB222_796 Depth=1
	s_or_b32 exec_lo, exec_lo, s13
.LBB222_1364:                           ;   in Loop: Header=BB222_796 Depth=1
	s_or_b32 exec_lo, exec_lo, s7
	s_mov_b32 s7, exec_lo
	v_cmpx_lt_u32_e32 0xffffff, v13
	s_cbranch_execz .LBB222_1372
; %bb.1365:                             ;   in Loop: Header=BB222_796 Depth=1
	v_mov_b32_e32 v8, v7
	v_mov_b32_e32 v11, v9
	v_cmp_ne_u32_sdwa s4, v13, v68 src0_sel:BYTE_3 src1_sel:DWORD
	v_mov_b32_e32 v10, v8
	s_and_saveexec_b32 s13, s4
	s_cbranch_execz .LBB222_1371
; %bb.1366:                             ;   in Loop: Header=BB222_796 Depth=1
	v_mov_b32_e32 v11, v7
	v_bfe_u32 v14, v13, 24, 7
	s_mov_b32 s15, exec_lo
	v_mov_b32_e32 v10, v11
	v_mov_b32_e32 v11, v12
	v_cmpx_ne_u32_e32 0x7f, v14
	s_cbranch_execz .LBB222_1370
; %bb.1367:                             ;   in Loop: Header=BB222_796 Depth=1
	v_mov_b32_e32 v6, 7
	v_lshrrev_b32_e32 v8, 3, v14
	s_mov_b32 s18, exec_lo
	v_and_b32_sdwa v6, v13, v6 dst_sel:DWORD dst_unused:UNUSED_PAD src0_sel:BYTE_3 src1_sel:DWORD
	v_cmpx_gt_u32_e32 8, v14
; %bb.1368:                             ;   in Loop: Header=BB222_796 Depth=1
	v_ffbh_u32_e32 v8, v6
	v_min_u32_e32 v8, 32, v8
	v_subrev_nc_u32_e32 v10, 28, v8
	v_sub_nc_u32_e32 v8, 29, v8
	v_lshlrev_b64 v[10:11], v10, v[6:7]
	v_and_b32_e32 v6, 7, v10
; %bb.1369:                             ;   in Loop: Header=BB222_796 Depth=1
	s_or_b32 exec_lo, exec_lo, s18
	v_mov_b32_e32 v10, 24
	v_lshlrev_b32_e32 v6, 20, v6
	v_lshl_add_u32 v8, v8, 23, 0x3c000000
	v_lshlrev_b32_sdwa v10, v10, v13 dst_sel:DWORD dst_unused:UNUSED_PAD src0_sel:DWORD src1_sel:BYTE_3
	v_and_b32_e32 v10, 0x80000000, v10
	v_or3_b32 v11, v6, v10, v8
	v_mov_b32_e32 v10, v7
.LBB222_1370:                           ;   in Loop: Header=BB222_796 Depth=1
	s_or_b32 exec_lo, exec_lo, s15
.LBB222_1371:                           ;   in Loop: Header=BB222_796 Depth=1
	s_or_b32 exec_lo, exec_lo, s13
.LBB222_1372:                           ;   in Loop: Header=BB222_796 Depth=1
	s_or_b32 exec_lo, exec_lo, s7
	v_or_b32_e32 v6, v20, v18
	v_or_b32_e32 v8, v19, v17
	;; [unrolled: 1-line block ×4, first 2 shown]
	v_mul_f32_e32 v25, v83, v6
	v_mul_f32_e32 v23, v67, v8
	;; [unrolled: 1-line block ×4, first 2 shown]
	s_and_saveexec_b32 s7, vcc_lo
	s_cbranch_execz .LBB222_1374
; %bb.1373:                             ;   in Loop: Header=BB222_796 Depth=1
	v_cmp_lt_i32_e64 s4, v101, v116
	v_cndmask_b32_e64 v23, 0, v23, s4
	v_cmp_lt_i32_e64 s4, v103, v116
	v_cndmask_b32_e64 v25, 0, v25, s4
	;; [unrolled: 2-line block ×4, first 2 shown]
.LBB222_1374:                           ;   in Loop: Header=BB222_796 Depth=1
	s_or_b32 exec_lo, exec_lo, s7
	flat_load_dword v24, v[0:1] offset:128
	v_mov_b32_e32 v19, 0
	v_mov_b32_e32 v17, 0
	;; [unrolled: 1-line block ×4, first 2 shown]
	s_waitcnt vmcnt(0) lgkmcnt(0)
	v_cmp_ne_u16_sdwa s4, v24, v7 src0_sel:BYTE_0 src1_sel:DWORD
	s_and_saveexec_b32 s7, s4
	s_cbranch_execz .LBB222_1382
; %bb.1375:                             ;   in Loop: Header=BB222_796 Depth=1
	v_bfrev_b32_e32 v17, 1
	v_mov_b32_e32 v18, 0
	v_cmp_ne_u16_sdwa s4, v24, v68 src0_sel:BYTE_0 src1_sel:DWORD
	s_and_saveexec_b32 s13, s4
	s_cbranch_execz .LBB222_1381
; %bb.1376:                             ;   in Loop: Header=BB222_796 Depth=1
	v_mov_b32_e32 v17, 0x7f800001
	v_and_b32_e32 v10, 0x7f, v24
	v_mov_b32_e32 v18, 0
	s_mov_b32 s15, exec_lo
	v_cmpx_ne_u32_e32 0x7f, v10
	s_cbranch_execz .LBB222_1380
; %bb.1377:                             ;   in Loop: Header=BB222_796 Depth=1
	v_and_b32_e32 v6, 7, v24
	v_lshrrev_b32_e32 v8, 3, v10
	s_mov_b32 s18, exec_lo
	v_cmpx_gt_u32_e32 8, v10
; %bb.1378:                             ;   in Loop: Header=BB222_796 Depth=1
	v_ffbh_u32_e32 v8, v6
	v_min_u32_e32 v8, 32, v8
	v_subrev_nc_u32_e32 v10, 28, v8
	v_sub_nc_u32_e32 v8, 29, v8
	v_lshlrev_b64 v[10:11], v10, v[6:7]
	v_and_b32_e32 v6, 7, v10
; %bb.1379:                             ;   in Loop: Header=BB222_796 Depth=1
	s_or_b32 exec_lo, exec_lo, s18
	v_lshlrev_b32_e32 v10, 24, v24
	v_lshlrev_b32_e32 v6, 20, v6
	v_lshl_add_u32 v8, v8, 23, 0x3c000000
	v_and_b32_e32 v10, 0x80000000, v10
	v_or3_b32 v6, v6, v10, v8
	v_mov_b32_e32 v18, v7
	v_mov_b32_e32 v17, v6
.LBB222_1380:                           ;   in Loop: Header=BB222_796 Depth=1
	s_or_b32 exec_lo, exec_lo, s15
.LBB222_1381:                           ;   in Loop: Header=BB222_796 Depth=1
	s_or_b32 exec_lo, exec_lo, s13
.LBB222_1382:                           ;   in Loop: Header=BB222_796 Depth=1
	s_or_b32 exec_lo, exec_lo, s7
	v_cmp_ne_u16_sdwa s4, v24, v7 src0_sel:BYTE_1 src1_sel:DWORD
	s_and_saveexec_b32 s7, s4
	s_cbranch_execz .LBB222_1390
; %bb.1383:                             ;   in Loop: Header=BB222_796 Depth=1
	v_mov_b32_e32 v8, v7
	v_mov_b32_e32 v20, v9
	v_cmp_ne_u16_sdwa s4, v24, v68 src0_sel:BYTE_1 src1_sel:DWORD
	v_mov_b32_e32 v19, v8
	s_and_saveexec_b32 s13, s4
	s_cbranch_execz .LBB222_1389
; %bb.1384:                             ;   in Loop: Header=BB222_796 Depth=1
	v_and_b32_sdwa v6, v44, v24 dst_sel:DWORD dst_unused:UNUSED_PAD src0_sel:DWORD src1_sel:BYTE_1
	v_mov_b32_e32 v11, v7
	v_mov_b32_e32 v20, v12
	s_mov_b32 s15, exec_lo
	v_and_b32_e32 v10, 0x7f, v6
	v_mov_b32_e32 v19, v11
	v_cmpx_ne_u32_e32 0x7f, v10
	s_cbranch_execz .LBB222_1388
; %bb.1385:                             ;   in Loop: Header=BB222_796 Depth=1
	v_and_b32_e32 v6, 7, v6
	v_lshrrev_b32_e32 v8, 3, v10
	s_mov_b32 s18, exec_lo
	v_cmpx_gt_u32_e32 8, v10
; %bb.1386:                             ;   in Loop: Header=BB222_796 Depth=1
	v_ffbh_u32_e32 v8, v6
	v_min_u32_e32 v8, 32, v8
	v_subrev_nc_u32_e32 v10, 28, v8
	v_sub_nc_u32_e32 v8, 29, v8
	v_lshlrev_b64 v[10:11], v10, v[6:7]
	v_and_b32_e32 v6, 7, v10
; %bb.1387:                             ;   in Loop: Header=BB222_796 Depth=1
	s_or_b32 exec_lo, exec_lo, s18
	v_lshlrev_b32_e32 v10, 16, v24
	v_lshlrev_b32_e32 v6, 20, v6
	v_lshl_add_u32 v8, v8, 23, 0x3c000000
	v_mov_b32_e32 v19, v7
	v_and_b32_e32 v10, 0x80000000, v10
	v_or3_b32 v20, v6, v10, v8
.LBB222_1388:                           ;   in Loop: Header=BB222_796 Depth=1
	s_or_b32 exec_lo, exec_lo, s15
.LBB222_1389:                           ;   in Loop: Header=BB222_796 Depth=1
	s_or_b32 exec_lo, exec_lo, s13
.LBB222_1390:                           ;   in Loop: Header=BB222_796 Depth=1
	s_or_b32 exec_lo, exec_lo, s7
	v_mov_b32_e32 v10, 0
	v_mov_b32_e32 v21, 0
	v_and_b32_sdwa v6, v24, v70 dst_sel:DWORD dst_unused:UNUSED_PAD src0_sel:WORD_1 src1_sel:DWORD
	v_mov_b32_e32 v11, 0
	v_mov_b32_e32 v22, 0
	s_mov_b32 s7, exec_lo
	v_cmpx_ne_u16_e32 0, v6
	s_cbranch_execz .LBB222_1398
; %bb.1391:                             ;   in Loop: Header=BB222_796 Depth=1
	v_bfrev_b32_e32 v21, 1
	v_mov_b32_e32 v22, 0
	s_mov_b32 s13, exec_lo
	v_cmpx_ne_u16_e32 0x80, v6
	s_cbranch_execz .LBB222_1397
; %bb.1392:                             ;   in Loop: Header=BB222_796 Depth=1
	v_mov_b32_e32 v21, 0x7f800001
	v_bfe_u32 v69, v24, 16, 7
	v_mov_b32_e32 v22, 0
	s_mov_b32 s15, exec_lo
	v_cmpx_ne_u32_e32 0x7f, v69
	s_cbranch_execz .LBB222_1396
; %bb.1393:                             ;   in Loop: Header=BB222_796 Depth=1
	v_mov_b32_e32 v6, 7
	v_lshrrev_b32_e32 v8, 3, v69
	s_mov_b32 s18, exec_lo
	v_and_b32_sdwa v6, v24, v6 dst_sel:DWORD dst_unused:UNUSED_PAD src0_sel:WORD_1 src1_sel:DWORD
	v_cmpx_gt_u32_e32 8, v69
; %bb.1394:                             ;   in Loop: Header=BB222_796 Depth=1
	v_ffbh_u32_e32 v8, v6
	v_min_u32_e32 v8, 32, v8
	v_subrev_nc_u32_e32 v21, 28, v8
	v_sub_nc_u32_e32 v8, 29, v8
	v_lshlrev_b64 v[21:22], v21, v[6:7]
	v_and_b32_e32 v6, 7, v21
; %bb.1395:                             ;   in Loop: Header=BB222_796 Depth=1
	s_or_b32 exec_lo, exec_lo, s18
	v_mov_b32_e32 v21, 24
	v_lshlrev_b32_e32 v6, 20, v6
	v_lshl_add_u32 v8, v8, 23, 0x3c000000
	v_lshlrev_b32_sdwa v21, v21, v24 dst_sel:DWORD dst_unused:UNUSED_PAD src0_sel:DWORD src1_sel:WORD_1
	v_and_b32_e32 v21, 0x80000000, v21
	v_or3_b32 v6, v6, v21, v8
	v_mov_b32_e32 v22, v7
	v_mov_b32_e32 v21, v6
.LBB222_1396:                           ;   in Loop: Header=BB222_796 Depth=1
	s_or_b32 exec_lo, exec_lo, s15
.LBB222_1397:                           ;   in Loop: Header=BB222_796 Depth=1
	s_or_b32 exec_lo, exec_lo, s13
.LBB222_1398:                           ;   in Loop: Header=BB222_796 Depth=1
	s_or_b32 exec_lo, exec_lo, s7
	s_mov_b32 s7, exec_lo
	v_cmpx_lt_u32_e32 0xffffff, v24
	s_cbranch_execz .LBB222_1406
; %bb.1399:                             ;   in Loop: Header=BB222_796 Depth=1
	v_mov_b32_e32 v8, v7
	v_mov_b32_e32 v11, v9
	v_cmp_ne_u32_sdwa s4, v24, v68 src0_sel:BYTE_3 src1_sel:DWORD
	v_mov_b32_e32 v10, v8
	s_and_saveexec_b32 s13, s4
	s_cbranch_execz .LBB222_1405
; %bb.1400:                             ;   in Loop: Header=BB222_796 Depth=1
	v_mov_b32_e32 v11, v7
	v_bfe_u32 v69, v24, 24, 7
	s_mov_b32 s15, exec_lo
	v_mov_b32_e32 v10, v11
	v_mov_b32_e32 v11, v12
	v_cmpx_ne_u32_e32 0x7f, v69
	s_cbranch_execz .LBB222_1404
; %bb.1401:                             ;   in Loop: Header=BB222_796 Depth=1
	v_mov_b32_e32 v6, 7
	v_lshrrev_b32_e32 v8, 3, v69
	s_mov_b32 s18, exec_lo
	v_and_b32_sdwa v6, v24, v6 dst_sel:DWORD dst_unused:UNUSED_PAD src0_sel:BYTE_3 src1_sel:DWORD
	v_cmpx_gt_u32_e32 8, v69
; %bb.1402:                             ;   in Loop: Header=BB222_796 Depth=1
	v_ffbh_u32_e32 v8, v6
	v_min_u32_e32 v8, 32, v8
	v_subrev_nc_u32_e32 v10, 28, v8
	v_sub_nc_u32_e32 v8, 29, v8
	v_lshlrev_b64 v[10:11], v10, v[6:7]
	v_and_b32_e32 v6, 7, v10
; %bb.1403:                             ;   in Loop: Header=BB222_796 Depth=1
	s_or_b32 exec_lo, exec_lo, s18
	v_mov_b32_e32 v10, 24
	v_lshlrev_b32_e32 v6, 20, v6
	v_lshl_add_u32 v8, v8, 23, 0x3c000000
	v_lshlrev_b32_sdwa v10, v10, v24 dst_sel:DWORD dst_unused:UNUSED_PAD src0_sel:DWORD src1_sel:BYTE_3
	v_and_b32_e32 v10, 0x80000000, v10
	v_or3_b32 v11, v6, v10, v8
	v_mov_b32_e32 v10, v7
.LBB222_1404:                           ;   in Loop: Header=BB222_796 Depth=1
	s_or_b32 exec_lo, exec_lo, s15
.LBB222_1405:                           ;   in Loop: Header=BB222_796 Depth=1
	s_or_b32 exec_lo, exec_lo, s13
.LBB222_1406:                           ;   in Loop: Header=BB222_796 Depth=1
	s_or_b32 exec_lo, exec_lo, s7
	v_or_b32_e32 v6, v20, v18
	v_or_b32_e32 v8, v19, v17
	;; [unrolled: 1-line block ×4, first 2 shown]
	v_mul_f32_e32 v71, v83, v6
	v_mul_f32_e32 v80, v67, v8
	;; [unrolled: 1-line block ×4, first 2 shown]
	s_and_saveexec_b32 s7, vcc_lo
	s_cbranch_execz .LBB222_1408
; %bb.1407:                             ;   in Loop: Header=BB222_796 Depth=1
	v_cmp_lt_i32_e64 s4, v101, v116
	v_cndmask_b32_e64 v80, 0, v80, s4
	v_cmp_lt_i32_e64 s4, v103, v116
	v_cndmask_b32_e64 v71, 0, v71, s4
	;; [unrolled: 2-line block ×4, first 2 shown]
.LBB222_1408:                           ;   in Loop: Header=BB222_796 Depth=1
	s_or_b32 exec_lo, exec_lo, s7
	flat_load_dword v85, v[0:1] offset:256
	v_mov_b32_e32 v19, 0
	v_mov_b32_e32 v17, 0
	v_mov_b32_e32 v20, 0
	v_mov_b32_e32 v18, 0
	s_waitcnt vmcnt(0) lgkmcnt(0)
	v_cmp_ne_u16_sdwa s4, v85, v7 src0_sel:BYTE_0 src1_sel:DWORD
	s_and_saveexec_b32 s7, s4
	s_cbranch_execz .LBB222_1416
; %bb.1409:                             ;   in Loop: Header=BB222_796 Depth=1
	v_bfrev_b32_e32 v17, 1
	v_mov_b32_e32 v18, 0
	v_cmp_ne_u16_sdwa s4, v85, v68 src0_sel:BYTE_0 src1_sel:DWORD
	s_and_saveexec_b32 s13, s4
	s_cbranch_execz .LBB222_1415
; %bb.1410:                             ;   in Loop: Header=BB222_796 Depth=1
	v_mov_b32_e32 v17, 0x7f800001
	v_and_b32_e32 v10, 0x7f, v85
	v_mov_b32_e32 v18, 0
	s_mov_b32 s15, exec_lo
	v_cmpx_ne_u32_e32 0x7f, v10
	s_cbranch_execz .LBB222_1414
; %bb.1411:                             ;   in Loop: Header=BB222_796 Depth=1
	v_and_b32_e32 v6, 7, v85
	v_lshrrev_b32_e32 v8, 3, v10
	s_mov_b32 s18, exec_lo
	v_cmpx_gt_u32_e32 8, v10
; %bb.1412:                             ;   in Loop: Header=BB222_796 Depth=1
	v_ffbh_u32_e32 v8, v6
	v_min_u32_e32 v8, 32, v8
	v_subrev_nc_u32_e32 v10, 28, v8
	v_sub_nc_u32_e32 v8, 29, v8
	v_lshlrev_b64 v[10:11], v10, v[6:7]
	v_and_b32_e32 v6, 7, v10
; %bb.1413:                             ;   in Loop: Header=BB222_796 Depth=1
	s_or_b32 exec_lo, exec_lo, s18
	v_lshlrev_b32_e32 v10, 24, v85
	v_lshlrev_b32_e32 v6, 20, v6
	v_lshl_add_u32 v8, v8, 23, 0x3c000000
	v_and_b32_e32 v10, 0x80000000, v10
	v_or3_b32 v6, v6, v10, v8
	v_mov_b32_e32 v18, v7
	v_mov_b32_e32 v17, v6
.LBB222_1414:                           ;   in Loop: Header=BB222_796 Depth=1
	s_or_b32 exec_lo, exec_lo, s15
.LBB222_1415:                           ;   in Loop: Header=BB222_796 Depth=1
	s_or_b32 exec_lo, exec_lo, s13
.LBB222_1416:                           ;   in Loop: Header=BB222_796 Depth=1
	s_or_b32 exec_lo, exec_lo, s7
	v_cmp_ne_u16_sdwa s4, v85, v7 src0_sel:BYTE_1 src1_sel:DWORD
	s_and_saveexec_b32 s7, s4
	s_cbranch_execz .LBB222_1424
; %bb.1417:                             ;   in Loop: Header=BB222_796 Depth=1
	v_mov_b32_e32 v8, v7
	v_mov_b32_e32 v20, v9
	v_cmp_ne_u16_sdwa s4, v85, v68 src0_sel:BYTE_1 src1_sel:DWORD
	v_mov_b32_e32 v19, v8
	s_and_saveexec_b32 s13, s4
	s_cbranch_execz .LBB222_1423
; %bb.1418:                             ;   in Loop: Header=BB222_796 Depth=1
	v_and_b32_sdwa v6, v44, v85 dst_sel:DWORD dst_unused:UNUSED_PAD src0_sel:DWORD src1_sel:BYTE_1
	v_mov_b32_e32 v11, v7
	v_mov_b32_e32 v20, v12
	s_mov_b32 s15, exec_lo
	v_and_b32_e32 v10, 0x7f, v6
	v_mov_b32_e32 v19, v11
	v_cmpx_ne_u32_e32 0x7f, v10
	s_cbranch_execz .LBB222_1422
; %bb.1419:                             ;   in Loop: Header=BB222_796 Depth=1
	v_and_b32_e32 v6, 7, v6
	v_lshrrev_b32_e32 v8, 3, v10
	s_mov_b32 s18, exec_lo
	v_cmpx_gt_u32_e32 8, v10
; %bb.1420:                             ;   in Loop: Header=BB222_796 Depth=1
	v_ffbh_u32_e32 v8, v6
	v_min_u32_e32 v8, 32, v8
	v_subrev_nc_u32_e32 v10, 28, v8
	v_sub_nc_u32_e32 v8, 29, v8
	v_lshlrev_b64 v[10:11], v10, v[6:7]
	v_and_b32_e32 v6, 7, v10
; %bb.1421:                             ;   in Loop: Header=BB222_796 Depth=1
	s_or_b32 exec_lo, exec_lo, s18
	v_lshlrev_b32_e32 v10, 16, v85
	v_lshlrev_b32_e32 v6, 20, v6
	v_lshl_add_u32 v8, v8, 23, 0x3c000000
	v_mov_b32_e32 v19, v7
	v_and_b32_e32 v10, 0x80000000, v10
	v_or3_b32 v20, v6, v10, v8
.LBB222_1422:                           ;   in Loop: Header=BB222_796 Depth=1
	s_or_b32 exec_lo, exec_lo, s15
.LBB222_1423:                           ;   in Loop: Header=BB222_796 Depth=1
	s_or_b32 exec_lo, exec_lo, s13
.LBB222_1424:                           ;   in Loop: Header=BB222_796 Depth=1
	s_or_b32 exec_lo, exec_lo, s7
	v_mov_b32_e32 v10, 0
	v_mov_b32_e32 v21, 0
	v_and_b32_sdwa v6, v85, v70 dst_sel:DWORD dst_unused:UNUSED_PAD src0_sel:WORD_1 src1_sel:DWORD
	v_mov_b32_e32 v11, 0
	v_mov_b32_e32 v22, 0
	s_mov_b32 s7, exec_lo
	v_cmpx_ne_u16_e32 0, v6
	s_cbranch_execz .LBB222_1432
; %bb.1425:                             ;   in Loop: Header=BB222_796 Depth=1
	v_bfrev_b32_e32 v21, 1
	v_mov_b32_e32 v22, 0
	s_mov_b32 s13, exec_lo
	v_cmpx_ne_u16_e32 0x80, v6
	s_cbranch_execz .LBB222_1431
; %bb.1426:                             ;   in Loop: Header=BB222_796 Depth=1
	v_mov_b32_e32 v21, 0x7f800001
	v_bfe_u32 v86, v85, 16, 7
	v_mov_b32_e32 v22, 0
	s_mov_b32 s15, exec_lo
	v_cmpx_ne_u32_e32 0x7f, v86
	s_cbranch_execz .LBB222_1430
; %bb.1427:                             ;   in Loop: Header=BB222_796 Depth=1
	v_mov_b32_e32 v6, 7
	v_lshrrev_b32_e32 v8, 3, v86
	s_mov_b32 s18, exec_lo
	v_and_b32_sdwa v6, v85, v6 dst_sel:DWORD dst_unused:UNUSED_PAD src0_sel:WORD_1 src1_sel:DWORD
	v_cmpx_gt_u32_e32 8, v86
; %bb.1428:                             ;   in Loop: Header=BB222_796 Depth=1
	v_ffbh_u32_e32 v8, v6
	v_min_u32_e32 v8, 32, v8
	v_subrev_nc_u32_e32 v21, 28, v8
	v_sub_nc_u32_e32 v8, 29, v8
	v_lshlrev_b64 v[21:22], v21, v[6:7]
	v_and_b32_e32 v6, 7, v21
; %bb.1429:                             ;   in Loop: Header=BB222_796 Depth=1
	s_or_b32 exec_lo, exec_lo, s18
	v_mov_b32_e32 v21, 24
	v_lshlrev_b32_e32 v6, 20, v6
	v_lshl_add_u32 v8, v8, 23, 0x3c000000
	v_lshlrev_b32_sdwa v21, v21, v85 dst_sel:DWORD dst_unused:UNUSED_PAD src0_sel:DWORD src1_sel:WORD_1
	v_and_b32_e32 v21, 0x80000000, v21
	v_or3_b32 v6, v6, v21, v8
	v_mov_b32_e32 v22, v7
	v_mov_b32_e32 v21, v6
.LBB222_1430:                           ;   in Loop: Header=BB222_796 Depth=1
	s_or_b32 exec_lo, exec_lo, s15
.LBB222_1431:                           ;   in Loop: Header=BB222_796 Depth=1
	s_or_b32 exec_lo, exec_lo, s13
.LBB222_1432:                           ;   in Loop: Header=BB222_796 Depth=1
	s_or_b32 exec_lo, exec_lo, s7
	s_mov_b32 s7, exec_lo
	v_cmpx_lt_u32_e32 0xffffff, v85
	s_cbranch_execz .LBB222_1440
; %bb.1433:                             ;   in Loop: Header=BB222_796 Depth=1
	v_mov_b32_e32 v8, v7
	v_mov_b32_e32 v11, v9
	v_cmp_ne_u32_sdwa s4, v85, v68 src0_sel:BYTE_3 src1_sel:DWORD
	v_mov_b32_e32 v10, v8
	s_and_saveexec_b32 s13, s4
	s_cbranch_execz .LBB222_1439
; %bb.1434:                             ;   in Loop: Header=BB222_796 Depth=1
	v_mov_b32_e32 v11, v7
	v_bfe_u32 v86, v85, 24, 7
	s_mov_b32 s15, exec_lo
	v_mov_b32_e32 v10, v11
	v_mov_b32_e32 v11, v12
	v_cmpx_ne_u32_e32 0x7f, v86
	s_cbranch_execz .LBB222_1438
; %bb.1435:                             ;   in Loop: Header=BB222_796 Depth=1
	v_mov_b32_e32 v6, 7
	v_lshrrev_b32_e32 v8, 3, v86
	s_mov_b32 s18, exec_lo
	v_and_b32_sdwa v6, v85, v6 dst_sel:DWORD dst_unused:UNUSED_PAD src0_sel:BYTE_3 src1_sel:DWORD
	v_cmpx_gt_u32_e32 8, v86
; %bb.1436:                             ;   in Loop: Header=BB222_796 Depth=1
	v_ffbh_u32_e32 v8, v6
	v_min_u32_e32 v8, 32, v8
	v_subrev_nc_u32_e32 v10, 28, v8
	v_sub_nc_u32_e32 v8, 29, v8
	v_lshlrev_b64 v[10:11], v10, v[6:7]
	v_and_b32_e32 v6, 7, v10
; %bb.1437:                             ;   in Loop: Header=BB222_796 Depth=1
	s_or_b32 exec_lo, exec_lo, s18
	v_mov_b32_e32 v10, 24
	v_lshlrev_b32_e32 v6, 20, v6
	v_lshl_add_u32 v8, v8, 23, 0x3c000000
	v_lshlrev_b32_sdwa v10, v10, v85 dst_sel:DWORD dst_unused:UNUSED_PAD src0_sel:DWORD src1_sel:BYTE_3
	v_and_b32_e32 v10, 0x80000000, v10
	v_or3_b32 v11, v6, v10, v8
	v_mov_b32_e32 v10, v7
.LBB222_1438:                           ;   in Loop: Header=BB222_796 Depth=1
	s_or_b32 exec_lo, exec_lo, s15
.LBB222_1439:                           ;   in Loop: Header=BB222_796 Depth=1
	s_or_b32 exec_lo, exec_lo, s13
.LBB222_1440:                           ;   in Loop: Header=BB222_796 Depth=1
	s_or_b32 exec_lo, exec_lo, s7
	v_or_b32_e32 v6, v20, v18
	v_or_b32_e32 v8, v19, v17
	;; [unrolled: 1-line block ×4, first 2 shown]
	v_mul_f32_e32 v96, v83, v6
	v_mul_f32_e32 v87, v67, v8
	;; [unrolled: 1-line block ×4, first 2 shown]
	s_and_saveexec_b32 s7, vcc_lo
	s_cbranch_execz .LBB222_1442
; %bb.1441:                             ;   in Loop: Header=BB222_796 Depth=1
	v_cmp_lt_i32_e64 s4, v101, v116
	v_cndmask_b32_e64 v87, 0, v87, s4
	v_cmp_lt_i32_e64 s4, v103, v116
	v_cndmask_b32_e64 v96, 0, v96, s4
	v_cmp_lt_i32_e64 s4, v102, v116
	v_cndmask_b32_e64 v86, 0, v86, s4
	v_cmp_lt_i32_e64 s4, v81, v116
	v_cndmask_b32_e64 v85, 0, v85, s4
.LBB222_1442:                           ;   in Loop: Header=BB222_796 Depth=1
	s_or_b32 exec_lo, exec_lo, s7
	flat_load_dword v97, v[0:1] offset:384
	v_mov_b32_e32 v19, 0
	v_mov_b32_e32 v17, 0
	;; [unrolled: 1-line block ×4, first 2 shown]
	s_waitcnt vmcnt(0) lgkmcnt(0)
	v_cmp_ne_u16_sdwa s4, v97, v7 src0_sel:BYTE_0 src1_sel:DWORD
	s_and_saveexec_b32 s7, s4
	s_cbranch_execz .LBB222_1450
; %bb.1443:                             ;   in Loop: Header=BB222_796 Depth=1
	v_bfrev_b32_e32 v17, 1
	v_mov_b32_e32 v18, 0
	v_cmp_ne_u16_sdwa s4, v97, v68 src0_sel:BYTE_0 src1_sel:DWORD
	s_and_saveexec_b32 s13, s4
	s_cbranch_execz .LBB222_1449
; %bb.1444:                             ;   in Loop: Header=BB222_796 Depth=1
	v_mov_b32_e32 v17, 0x7f800001
	v_and_b32_e32 v10, 0x7f, v97
	v_mov_b32_e32 v18, 0
	s_mov_b32 s15, exec_lo
	v_cmpx_ne_u32_e32 0x7f, v10
	s_cbranch_execz .LBB222_1448
; %bb.1445:                             ;   in Loop: Header=BB222_796 Depth=1
	v_and_b32_e32 v6, 7, v97
	v_lshrrev_b32_e32 v8, 3, v10
	s_mov_b32 s18, exec_lo
	v_cmpx_gt_u32_e32 8, v10
; %bb.1446:                             ;   in Loop: Header=BB222_796 Depth=1
	v_ffbh_u32_e32 v8, v6
	v_min_u32_e32 v8, 32, v8
	v_subrev_nc_u32_e32 v10, 28, v8
	v_sub_nc_u32_e32 v8, 29, v8
	v_lshlrev_b64 v[10:11], v10, v[6:7]
	v_and_b32_e32 v6, 7, v10
; %bb.1447:                             ;   in Loop: Header=BB222_796 Depth=1
	s_or_b32 exec_lo, exec_lo, s18
	v_lshlrev_b32_e32 v10, 24, v97
	v_lshlrev_b32_e32 v6, 20, v6
	v_lshl_add_u32 v8, v8, 23, 0x3c000000
	v_and_b32_e32 v10, 0x80000000, v10
	v_or3_b32 v6, v6, v10, v8
	v_mov_b32_e32 v18, v7
	v_mov_b32_e32 v17, v6
.LBB222_1448:                           ;   in Loop: Header=BB222_796 Depth=1
	s_or_b32 exec_lo, exec_lo, s15
.LBB222_1449:                           ;   in Loop: Header=BB222_796 Depth=1
	s_or_b32 exec_lo, exec_lo, s13
.LBB222_1450:                           ;   in Loop: Header=BB222_796 Depth=1
	s_or_b32 exec_lo, exec_lo, s7
	v_cmp_ne_u16_sdwa s4, v97, v7 src0_sel:BYTE_1 src1_sel:DWORD
	s_and_saveexec_b32 s7, s4
	s_cbranch_execz .LBB222_1458
; %bb.1451:                             ;   in Loop: Header=BB222_796 Depth=1
	v_mov_b32_e32 v8, v7
	v_mov_b32_e32 v20, v9
	v_cmp_ne_u16_sdwa s4, v97, v68 src0_sel:BYTE_1 src1_sel:DWORD
	v_mov_b32_e32 v19, v8
	s_and_saveexec_b32 s13, s4
	s_cbranch_execz .LBB222_1457
; %bb.1452:                             ;   in Loop: Header=BB222_796 Depth=1
	v_and_b32_sdwa v6, v44, v97 dst_sel:DWORD dst_unused:UNUSED_PAD src0_sel:DWORD src1_sel:BYTE_1
	v_mov_b32_e32 v11, v7
	v_mov_b32_e32 v20, v12
	s_mov_b32 s15, exec_lo
	v_and_b32_e32 v10, 0x7f, v6
	v_mov_b32_e32 v19, v11
	v_cmpx_ne_u32_e32 0x7f, v10
	s_cbranch_execz .LBB222_1456
; %bb.1453:                             ;   in Loop: Header=BB222_796 Depth=1
	v_and_b32_e32 v6, 7, v6
	v_lshrrev_b32_e32 v8, 3, v10
	s_mov_b32 s18, exec_lo
	v_cmpx_gt_u32_e32 8, v10
; %bb.1454:                             ;   in Loop: Header=BB222_796 Depth=1
	v_ffbh_u32_e32 v8, v6
	v_min_u32_e32 v8, 32, v8
	v_subrev_nc_u32_e32 v10, 28, v8
	v_sub_nc_u32_e32 v8, 29, v8
	v_lshlrev_b64 v[10:11], v10, v[6:7]
	v_and_b32_e32 v6, 7, v10
; %bb.1455:                             ;   in Loop: Header=BB222_796 Depth=1
	s_or_b32 exec_lo, exec_lo, s18
	v_lshlrev_b32_e32 v10, 16, v97
	v_lshlrev_b32_e32 v6, 20, v6
	v_lshl_add_u32 v8, v8, 23, 0x3c000000
	v_mov_b32_e32 v19, v7
	v_and_b32_e32 v10, 0x80000000, v10
	v_or3_b32 v20, v6, v10, v8
.LBB222_1456:                           ;   in Loop: Header=BB222_796 Depth=1
	s_or_b32 exec_lo, exec_lo, s15
.LBB222_1457:                           ;   in Loop: Header=BB222_796 Depth=1
	s_or_b32 exec_lo, exec_lo, s13
.LBB222_1458:                           ;   in Loop: Header=BB222_796 Depth=1
	s_or_b32 exec_lo, exec_lo, s7
	v_mov_b32_e32 v10, 0
	v_mov_b32_e32 v21, 0
	v_and_b32_sdwa v6, v97, v70 dst_sel:DWORD dst_unused:UNUSED_PAD src0_sel:WORD_1 src1_sel:DWORD
	v_mov_b32_e32 v11, 0
	v_mov_b32_e32 v22, 0
	s_mov_b32 s7, exec_lo
	v_cmpx_ne_u16_e32 0, v6
	s_cbranch_execz .LBB222_1466
; %bb.1459:                             ;   in Loop: Header=BB222_796 Depth=1
	v_bfrev_b32_e32 v21, 1
	v_mov_b32_e32 v22, 0
	s_mov_b32 s13, exec_lo
	v_cmpx_ne_u16_e32 0x80, v6
	s_cbranch_execz .LBB222_1465
; %bb.1460:                             ;   in Loop: Header=BB222_796 Depth=1
	v_mov_b32_e32 v21, 0x7f800001
	v_bfe_u32 v98, v97, 16, 7
	v_mov_b32_e32 v22, 0
	s_mov_b32 s15, exec_lo
	v_cmpx_ne_u32_e32 0x7f, v98
	s_cbranch_execz .LBB222_1464
; %bb.1461:                             ;   in Loop: Header=BB222_796 Depth=1
	v_mov_b32_e32 v6, 7
	v_lshrrev_b32_e32 v8, 3, v98
	s_mov_b32 s18, exec_lo
	v_and_b32_sdwa v6, v97, v6 dst_sel:DWORD dst_unused:UNUSED_PAD src0_sel:WORD_1 src1_sel:DWORD
	v_cmpx_gt_u32_e32 8, v98
; %bb.1462:                             ;   in Loop: Header=BB222_796 Depth=1
	v_ffbh_u32_e32 v8, v6
	v_min_u32_e32 v8, 32, v8
	v_subrev_nc_u32_e32 v21, 28, v8
	v_sub_nc_u32_e32 v8, 29, v8
	v_lshlrev_b64 v[21:22], v21, v[6:7]
	v_and_b32_e32 v6, 7, v21
; %bb.1463:                             ;   in Loop: Header=BB222_796 Depth=1
	s_or_b32 exec_lo, exec_lo, s18
	v_mov_b32_e32 v21, 24
	v_lshlrev_b32_e32 v6, 20, v6
	v_lshl_add_u32 v8, v8, 23, 0x3c000000
	v_lshlrev_b32_sdwa v21, v21, v97 dst_sel:DWORD dst_unused:UNUSED_PAD src0_sel:DWORD src1_sel:WORD_1
	v_and_b32_e32 v21, 0x80000000, v21
	v_or3_b32 v6, v6, v21, v8
	v_mov_b32_e32 v22, v7
	v_mov_b32_e32 v21, v6
.LBB222_1464:                           ;   in Loop: Header=BB222_796 Depth=1
	s_or_b32 exec_lo, exec_lo, s15
.LBB222_1465:                           ;   in Loop: Header=BB222_796 Depth=1
	s_or_b32 exec_lo, exec_lo, s13
.LBB222_1466:                           ;   in Loop: Header=BB222_796 Depth=1
	s_or_b32 exec_lo, exec_lo, s7
	s_mov_b32 s7, exec_lo
	v_cmpx_lt_u32_e32 0xffffff, v97
	s_cbranch_execz .LBB222_1474
; %bb.1467:                             ;   in Loop: Header=BB222_796 Depth=1
	v_mov_b32_e32 v8, v7
	v_mov_b32_e32 v11, v9
	v_cmp_ne_u32_sdwa s4, v97, v68 src0_sel:BYTE_3 src1_sel:DWORD
	v_mov_b32_e32 v10, v8
	s_and_saveexec_b32 s13, s4
	s_cbranch_execz .LBB222_1473
; %bb.1468:                             ;   in Loop: Header=BB222_796 Depth=1
	v_mov_b32_e32 v11, v7
	v_bfe_u32 v98, v97, 24, 7
	s_mov_b32 s15, exec_lo
	v_mov_b32_e32 v10, v11
	v_mov_b32_e32 v11, v12
	v_cmpx_ne_u32_e32 0x7f, v98
	s_cbranch_execz .LBB222_1472
; %bb.1469:                             ;   in Loop: Header=BB222_796 Depth=1
	v_mov_b32_e32 v6, 7
	v_lshrrev_b32_e32 v8, 3, v98
	s_mov_b32 s18, exec_lo
	v_and_b32_sdwa v6, v97, v6 dst_sel:DWORD dst_unused:UNUSED_PAD src0_sel:BYTE_3 src1_sel:DWORD
	v_cmpx_gt_u32_e32 8, v98
; %bb.1470:                             ;   in Loop: Header=BB222_796 Depth=1
	v_ffbh_u32_e32 v8, v6
	v_min_u32_e32 v8, 32, v8
	v_subrev_nc_u32_e32 v10, 28, v8
	v_sub_nc_u32_e32 v8, 29, v8
	v_lshlrev_b64 v[10:11], v10, v[6:7]
	v_and_b32_e32 v6, 7, v10
; %bb.1471:                             ;   in Loop: Header=BB222_796 Depth=1
	s_or_b32 exec_lo, exec_lo, s18
	v_mov_b32_e32 v10, 24
	v_lshlrev_b32_e32 v6, 20, v6
	v_lshl_add_u32 v8, v8, 23, 0x3c000000
	v_lshlrev_b32_sdwa v10, v10, v97 dst_sel:DWORD dst_unused:UNUSED_PAD src0_sel:DWORD src1_sel:BYTE_3
	v_and_b32_e32 v10, 0x80000000, v10
	v_or3_b32 v11, v6, v10, v8
	v_mov_b32_e32 v10, v7
.LBB222_1472:                           ;   in Loop: Header=BB222_796 Depth=1
	s_or_b32 exec_lo, exec_lo, s15
.LBB222_1473:                           ;   in Loop: Header=BB222_796 Depth=1
	s_or_b32 exec_lo, exec_lo, s13
.LBB222_1474:                           ;   in Loop: Header=BB222_796 Depth=1
	s_or_b32 exec_lo, exec_lo, s7
	v_or_b32_e32 v6, v20, v18
	v_or_b32_e32 v8, v19, v17
	;; [unrolled: 1-line block ×4, first 2 shown]
	v_mul_f32_e32 v100, v83, v6
	v_mul_f32_e32 v99, v67, v8
	;; [unrolled: 1-line block ×4, first 2 shown]
	s_and_saveexec_b32 s7, vcc_lo
	s_cbranch_execz .LBB222_1476
; %bb.1475:                             ;   in Loop: Header=BB222_796 Depth=1
	v_cmp_lt_i32_e64 s4, v101, v116
	v_cndmask_b32_e64 v99, 0, v99, s4
	v_cmp_lt_i32_e64 s4, v103, v116
	v_cndmask_b32_e64 v100, 0, v100, s4
	;; [unrolled: 2-line block ×4, first 2 shown]
.LBB222_1476:                           ;   in Loop: Header=BB222_796 Depth=1
	s_or_b32 exec_lo, exec_lo, s7
	flat_load_dword v112, v[0:1] offset:512
	v_mov_b32_e32 v19, 0
	v_mov_b32_e32 v17, 0
	;; [unrolled: 1-line block ×4, first 2 shown]
	s_waitcnt vmcnt(0) lgkmcnt(0)
	v_cmp_ne_u16_sdwa s4, v112, v7 src0_sel:BYTE_0 src1_sel:DWORD
	s_and_saveexec_b32 s7, s4
	s_cbranch_execz .LBB222_1484
; %bb.1477:                             ;   in Loop: Header=BB222_796 Depth=1
	v_bfrev_b32_e32 v17, 1
	v_mov_b32_e32 v18, 0
	v_cmp_ne_u16_sdwa s4, v112, v68 src0_sel:BYTE_0 src1_sel:DWORD
	s_and_saveexec_b32 s13, s4
	s_cbranch_execz .LBB222_1483
; %bb.1478:                             ;   in Loop: Header=BB222_796 Depth=1
	v_mov_b32_e32 v17, 0x7f800001
	v_and_b32_e32 v10, 0x7f, v112
	v_mov_b32_e32 v18, 0
	s_mov_b32 s15, exec_lo
	v_cmpx_ne_u32_e32 0x7f, v10
	s_cbranch_execz .LBB222_1482
; %bb.1479:                             ;   in Loop: Header=BB222_796 Depth=1
	v_and_b32_e32 v6, 7, v112
	v_lshrrev_b32_e32 v8, 3, v10
	s_mov_b32 s18, exec_lo
	v_cmpx_gt_u32_e32 8, v10
; %bb.1480:                             ;   in Loop: Header=BB222_796 Depth=1
	v_ffbh_u32_e32 v8, v6
	v_min_u32_e32 v8, 32, v8
	v_subrev_nc_u32_e32 v10, 28, v8
	v_sub_nc_u32_e32 v8, 29, v8
	v_lshlrev_b64 v[10:11], v10, v[6:7]
	v_and_b32_e32 v6, 7, v10
; %bb.1481:                             ;   in Loop: Header=BB222_796 Depth=1
	s_or_b32 exec_lo, exec_lo, s18
	v_lshlrev_b32_e32 v10, 24, v112
	v_lshlrev_b32_e32 v6, 20, v6
	v_lshl_add_u32 v8, v8, 23, 0x3c000000
	v_and_b32_e32 v10, 0x80000000, v10
	v_or3_b32 v6, v6, v10, v8
	v_mov_b32_e32 v18, v7
	v_mov_b32_e32 v17, v6
.LBB222_1482:                           ;   in Loop: Header=BB222_796 Depth=1
	s_or_b32 exec_lo, exec_lo, s15
.LBB222_1483:                           ;   in Loop: Header=BB222_796 Depth=1
	s_or_b32 exec_lo, exec_lo, s13
.LBB222_1484:                           ;   in Loop: Header=BB222_796 Depth=1
	s_or_b32 exec_lo, exec_lo, s7
	v_cmp_ne_u16_sdwa s4, v112, v7 src0_sel:BYTE_1 src1_sel:DWORD
	s_and_saveexec_b32 s7, s4
	s_cbranch_execz .LBB222_1492
; %bb.1485:                             ;   in Loop: Header=BB222_796 Depth=1
	v_mov_b32_e32 v8, v7
	v_mov_b32_e32 v20, v9
	v_cmp_ne_u16_sdwa s4, v112, v68 src0_sel:BYTE_1 src1_sel:DWORD
	v_mov_b32_e32 v19, v8
	s_and_saveexec_b32 s13, s4
	s_cbranch_execz .LBB222_1491
; %bb.1486:                             ;   in Loop: Header=BB222_796 Depth=1
	v_and_b32_sdwa v6, v44, v112 dst_sel:DWORD dst_unused:UNUSED_PAD src0_sel:DWORD src1_sel:BYTE_1
	v_mov_b32_e32 v11, v7
	v_mov_b32_e32 v20, v12
	s_mov_b32 s15, exec_lo
	v_and_b32_e32 v10, 0x7f, v6
	v_mov_b32_e32 v19, v11
	v_cmpx_ne_u32_e32 0x7f, v10
	s_cbranch_execz .LBB222_1490
; %bb.1487:                             ;   in Loop: Header=BB222_796 Depth=1
	v_and_b32_e32 v6, 7, v6
	v_lshrrev_b32_e32 v8, 3, v10
	s_mov_b32 s18, exec_lo
	v_cmpx_gt_u32_e32 8, v10
; %bb.1488:                             ;   in Loop: Header=BB222_796 Depth=1
	v_ffbh_u32_e32 v8, v6
	v_min_u32_e32 v8, 32, v8
	v_subrev_nc_u32_e32 v10, 28, v8
	v_sub_nc_u32_e32 v8, 29, v8
	v_lshlrev_b64 v[10:11], v10, v[6:7]
	v_and_b32_e32 v6, 7, v10
; %bb.1489:                             ;   in Loop: Header=BB222_796 Depth=1
	s_or_b32 exec_lo, exec_lo, s18
	v_lshlrev_b32_e32 v10, 16, v112
	v_lshlrev_b32_e32 v6, 20, v6
	v_lshl_add_u32 v8, v8, 23, 0x3c000000
	v_mov_b32_e32 v19, v7
	v_and_b32_e32 v10, 0x80000000, v10
	v_or3_b32 v20, v6, v10, v8
.LBB222_1490:                           ;   in Loop: Header=BB222_796 Depth=1
	s_or_b32 exec_lo, exec_lo, s15
.LBB222_1491:                           ;   in Loop: Header=BB222_796 Depth=1
	s_or_b32 exec_lo, exec_lo, s13
.LBB222_1492:                           ;   in Loop: Header=BB222_796 Depth=1
	s_or_b32 exec_lo, exec_lo, s7
	v_mov_b32_e32 v10, 0
	v_mov_b32_e32 v21, 0
	v_and_b32_sdwa v6, v112, v70 dst_sel:DWORD dst_unused:UNUSED_PAD src0_sel:WORD_1 src1_sel:DWORD
	v_mov_b32_e32 v11, 0
	v_mov_b32_e32 v22, 0
	s_mov_b32 s7, exec_lo
	v_cmpx_ne_u16_e32 0, v6
	s_cbranch_execz .LBB222_1500
; %bb.1493:                             ;   in Loop: Header=BB222_796 Depth=1
	v_bfrev_b32_e32 v21, 1
	v_mov_b32_e32 v22, 0
	s_mov_b32 s13, exec_lo
	v_cmpx_ne_u16_e32 0x80, v6
	s_cbranch_execz .LBB222_1499
; %bb.1494:                             ;   in Loop: Header=BB222_796 Depth=1
	v_mov_b32_e32 v21, 0x7f800001
	v_bfe_u32 v113, v112, 16, 7
	v_mov_b32_e32 v22, 0
	s_mov_b32 s15, exec_lo
	v_cmpx_ne_u32_e32 0x7f, v113
	s_cbranch_execz .LBB222_1498
; %bb.1495:                             ;   in Loop: Header=BB222_796 Depth=1
	v_mov_b32_e32 v6, 7
	v_lshrrev_b32_e32 v8, 3, v113
	s_mov_b32 s18, exec_lo
	v_and_b32_sdwa v6, v112, v6 dst_sel:DWORD dst_unused:UNUSED_PAD src0_sel:WORD_1 src1_sel:DWORD
	v_cmpx_gt_u32_e32 8, v113
; %bb.1496:                             ;   in Loop: Header=BB222_796 Depth=1
	v_ffbh_u32_e32 v8, v6
	v_min_u32_e32 v8, 32, v8
	v_subrev_nc_u32_e32 v21, 28, v8
	v_sub_nc_u32_e32 v8, 29, v8
	v_lshlrev_b64 v[21:22], v21, v[6:7]
	v_and_b32_e32 v6, 7, v21
; %bb.1497:                             ;   in Loop: Header=BB222_796 Depth=1
	s_or_b32 exec_lo, exec_lo, s18
	v_mov_b32_e32 v21, 24
	v_lshlrev_b32_e32 v6, 20, v6
	v_lshl_add_u32 v8, v8, 23, 0x3c000000
	v_lshlrev_b32_sdwa v21, v21, v112 dst_sel:DWORD dst_unused:UNUSED_PAD src0_sel:DWORD src1_sel:WORD_1
	v_and_b32_e32 v21, 0x80000000, v21
	v_or3_b32 v6, v6, v21, v8
	v_mov_b32_e32 v22, v7
	v_mov_b32_e32 v21, v6
.LBB222_1498:                           ;   in Loop: Header=BB222_796 Depth=1
	s_or_b32 exec_lo, exec_lo, s15
.LBB222_1499:                           ;   in Loop: Header=BB222_796 Depth=1
	s_or_b32 exec_lo, exec_lo, s13
.LBB222_1500:                           ;   in Loop: Header=BB222_796 Depth=1
	s_or_b32 exec_lo, exec_lo, s7
	s_mov_b32 s7, exec_lo
	v_cmpx_lt_u32_e32 0xffffff, v112
	s_cbranch_execz .LBB222_1508
; %bb.1501:                             ;   in Loop: Header=BB222_796 Depth=1
	v_mov_b32_e32 v8, v7
	v_mov_b32_e32 v11, v9
	v_cmp_ne_u32_sdwa s4, v112, v68 src0_sel:BYTE_3 src1_sel:DWORD
	v_mov_b32_e32 v10, v8
	s_and_saveexec_b32 s13, s4
	s_cbranch_execz .LBB222_1507
; %bb.1502:                             ;   in Loop: Header=BB222_796 Depth=1
	v_mov_b32_e32 v11, v7
	v_bfe_u32 v113, v112, 24, 7
	s_mov_b32 s15, exec_lo
	v_mov_b32_e32 v10, v11
	v_mov_b32_e32 v11, v12
	v_cmpx_ne_u32_e32 0x7f, v113
	s_cbranch_execz .LBB222_1506
; %bb.1503:                             ;   in Loop: Header=BB222_796 Depth=1
	v_mov_b32_e32 v6, 7
	v_lshrrev_b32_e32 v8, 3, v113
	s_mov_b32 s18, exec_lo
	v_and_b32_sdwa v6, v112, v6 dst_sel:DWORD dst_unused:UNUSED_PAD src0_sel:BYTE_3 src1_sel:DWORD
	v_cmpx_gt_u32_e32 8, v113
; %bb.1504:                             ;   in Loop: Header=BB222_796 Depth=1
	v_ffbh_u32_e32 v8, v6
	v_min_u32_e32 v8, 32, v8
	v_subrev_nc_u32_e32 v10, 28, v8
	v_sub_nc_u32_e32 v8, 29, v8
	v_lshlrev_b64 v[10:11], v10, v[6:7]
	v_and_b32_e32 v6, 7, v10
; %bb.1505:                             ;   in Loop: Header=BB222_796 Depth=1
	s_or_b32 exec_lo, exec_lo, s18
	v_mov_b32_e32 v10, 24
	v_lshlrev_b32_e32 v6, 20, v6
	v_lshl_add_u32 v8, v8, 23, 0x3c000000
	v_lshlrev_b32_sdwa v10, v10, v112 dst_sel:DWORD dst_unused:UNUSED_PAD src0_sel:DWORD src1_sel:BYTE_3
	v_and_b32_e32 v10, 0x80000000, v10
	v_or3_b32 v11, v6, v10, v8
	v_mov_b32_e32 v10, v7
.LBB222_1506:                           ;   in Loop: Header=BB222_796 Depth=1
	s_or_b32 exec_lo, exec_lo, s15
.LBB222_1507:                           ;   in Loop: Header=BB222_796 Depth=1
	s_or_b32 exec_lo, exec_lo, s13
.LBB222_1508:                           ;   in Loop: Header=BB222_796 Depth=1
	s_or_b32 exec_lo, exec_lo, s7
	v_or_b32_e32 v6, v20, v18
	v_or_b32_e32 v8, v19, v17
	;; [unrolled: 1-line block ×4, first 2 shown]
	v_mul_f32_e32 v115, v83, v6
	v_mul_f32_e32 v114, v67, v8
	;; [unrolled: 1-line block ×4, first 2 shown]
	s_and_saveexec_b32 s7, vcc_lo
	s_cbranch_execz .LBB222_1510
; %bb.1509:                             ;   in Loop: Header=BB222_796 Depth=1
	v_cmp_lt_i32_e64 s4, v101, v116
	v_cndmask_b32_e64 v114, 0, v114, s4
	v_cmp_lt_i32_e64 s4, v103, v116
	v_cndmask_b32_e64 v115, 0, v115, s4
	;; [unrolled: 2-line block ×4, first 2 shown]
.LBB222_1510:                           ;   in Loop: Header=BB222_796 Depth=1
	s_or_b32 exec_lo, exec_lo, s7
	flat_load_dword v117, v[0:1] offset:640
	v_mov_b32_e32 v19, 0
	v_mov_b32_e32 v17, 0
	;; [unrolled: 1-line block ×4, first 2 shown]
	s_waitcnt vmcnt(0) lgkmcnt(0)
	v_cmp_ne_u16_sdwa s4, v117, v7 src0_sel:BYTE_0 src1_sel:DWORD
	s_and_saveexec_b32 s7, s4
	s_cbranch_execz .LBB222_1518
; %bb.1511:                             ;   in Loop: Header=BB222_796 Depth=1
	v_bfrev_b32_e32 v17, 1
	v_mov_b32_e32 v18, 0
	v_cmp_ne_u16_sdwa s4, v117, v68 src0_sel:BYTE_0 src1_sel:DWORD
	s_and_saveexec_b32 s13, s4
	s_cbranch_execz .LBB222_1517
; %bb.1512:                             ;   in Loop: Header=BB222_796 Depth=1
	v_mov_b32_e32 v17, 0x7f800001
	v_and_b32_e32 v10, 0x7f, v117
	v_mov_b32_e32 v18, 0
	s_mov_b32 s15, exec_lo
	v_cmpx_ne_u32_e32 0x7f, v10
	s_cbranch_execz .LBB222_1516
; %bb.1513:                             ;   in Loop: Header=BB222_796 Depth=1
	v_and_b32_e32 v6, 7, v117
	v_lshrrev_b32_e32 v8, 3, v10
	s_mov_b32 s18, exec_lo
	v_cmpx_gt_u32_e32 8, v10
; %bb.1514:                             ;   in Loop: Header=BB222_796 Depth=1
	v_ffbh_u32_e32 v8, v6
	v_min_u32_e32 v8, 32, v8
	v_subrev_nc_u32_e32 v10, 28, v8
	v_sub_nc_u32_e32 v8, 29, v8
	v_lshlrev_b64 v[10:11], v10, v[6:7]
	v_and_b32_e32 v6, 7, v10
; %bb.1515:                             ;   in Loop: Header=BB222_796 Depth=1
	s_or_b32 exec_lo, exec_lo, s18
	v_lshlrev_b32_e32 v10, 24, v117
	v_lshlrev_b32_e32 v6, 20, v6
	v_lshl_add_u32 v8, v8, 23, 0x3c000000
	v_and_b32_e32 v10, 0x80000000, v10
	v_or3_b32 v6, v6, v10, v8
	v_mov_b32_e32 v18, v7
	v_mov_b32_e32 v17, v6
.LBB222_1516:                           ;   in Loop: Header=BB222_796 Depth=1
	s_or_b32 exec_lo, exec_lo, s15
.LBB222_1517:                           ;   in Loop: Header=BB222_796 Depth=1
	s_or_b32 exec_lo, exec_lo, s13
.LBB222_1518:                           ;   in Loop: Header=BB222_796 Depth=1
	s_or_b32 exec_lo, exec_lo, s7
	v_cmp_ne_u16_sdwa s4, v117, v7 src0_sel:BYTE_1 src1_sel:DWORD
	s_and_saveexec_b32 s7, s4
	s_cbranch_execz .LBB222_1526
; %bb.1519:                             ;   in Loop: Header=BB222_796 Depth=1
	v_mov_b32_e32 v8, v7
	v_mov_b32_e32 v20, v9
	v_cmp_ne_u16_sdwa s4, v117, v68 src0_sel:BYTE_1 src1_sel:DWORD
	v_mov_b32_e32 v19, v8
	s_and_saveexec_b32 s13, s4
	s_cbranch_execz .LBB222_1525
; %bb.1520:                             ;   in Loop: Header=BB222_796 Depth=1
	v_and_b32_sdwa v6, v44, v117 dst_sel:DWORD dst_unused:UNUSED_PAD src0_sel:DWORD src1_sel:BYTE_1
	v_mov_b32_e32 v11, v7
	v_mov_b32_e32 v20, v12
	s_mov_b32 s15, exec_lo
	v_and_b32_e32 v10, 0x7f, v6
	v_mov_b32_e32 v19, v11
	v_cmpx_ne_u32_e32 0x7f, v10
	s_cbranch_execz .LBB222_1524
; %bb.1521:                             ;   in Loop: Header=BB222_796 Depth=1
	v_and_b32_e32 v6, 7, v6
	v_lshrrev_b32_e32 v8, 3, v10
	s_mov_b32 s18, exec_lo
	v_cmpx_gt_u32_e32 8, v10
; %bb.1522:                             ;   in Loop: Header=BB222_796 Depth=1
	v_ffbh_u32_e32 v8, v6
	v_min_u32_e32 v8, 32, v8
	v_subrev_nc_u32_e32 v10, 28, v8
	v_sub_nc_u32_e32 v8, 29, v8
	v_lshlrev_b64 v[10:11], v10, v[6:7]
	v_and_b32_e32 v6, 7, v10
; %bb.1523:                             ;   in Loop: Header=BB222_796 Depth=1
	s_or_b32 exec_lo, exec_lo, s18
	v_lshlrev_b32_e32 v10, 16, v117
	v_lshlrev_b32_e32 v6, 20, v6
	v_lshl_add_u32 v8, v8, 23, 0x3c000000
	v_mov_b32_e32 v19, v7
	v_and_b32_e32 v10, 0x80000000, v10
	v_or3_b32 v20, v6, v10, v8
.LBB222_1524:                           ;   in Loop: Header=BB222_796 Depth=1
	s_or_b32 exec_lo, exec_lo, s15
.LBB222_1525:                           ;   in Loop: Header=BB222_796 Depth=1
	s_or_b32 exec_lo, exec_lo, s13
.LBB222_1526:                           ;   in Loop: Header=BB222_796 Depth=1
	s_or_b32 exec_lo, exec_lo, s7
	v_mov_b32_e32 v10, 0
	v_mov_b32_e32 v21, 0
	v_and_b32_sdwa v6, v117, v70 dst_sel:DWORD dst_unused:UNUSED_PAD src0_sel:WORD_1 src1_sel:DWORD
	v_mov_b32_e32 v11, 0
	v_mov_b32_e32 v22, 0
	s_mov_b32 s7, exec_lo
	v_cmpx_ne_u16_e32 0, v6
	s_cbranch_execz .LBB222_1534
; %bb.1527:                             ;   in Loop: Header=BB222_796 Depth=1
	v_bfrev_b32_e32 v21, 1
	v_mov_b32_e32 v22, 0
	s_mov_b32 s13, exec_lo
	v_cmpx_ne_u16_e32 0x80, v6
	s_cbranch_execz .LBB222_1533
; %bb.1528:                             ;   in Loop: Header=BB222_796 Depth=1
	v_mov_b32_e32 v21, 0x7f800001
	v_bfe_u32 v118, v117, 16, 7
	v_mov_b32_e32 v22, 0
	s_mov_b32 s15, exec_lo
	v_cmpx_ne_u32_e32 0x7f, v118
	s_cbranch_execz .LBB222_1532
; %bb.1529:                             ;   in Loop: Header=BB222_796 Depth=1
	v_mov_b32_e32 v6, 7
	v_lshrrev_b32_e32 v8, 3, v118
	s_mov_b32 s18, exec_lo
	v_and_b32_sdwa v6, v117, v6 dst_sel:DWORD dst_unused:UNUSED_PAD src0_sel:WORD_1 src1_sel:DWORD
	v_cmpx_gt_u32_e32 8, v118
; %bb.1530:                             ;   in Loop: Header=BB222_796 Depth=1
	v_ffbh_u32_e32 v8, v6
	v_min_u32_e32 v8, 32, v8
	v_subrev_nc_u32_e32 v21, 28, v8
	v_sub_nc_u32_e32 v8, 29, v8
	v_lshlrev_b64 v[21:22], v21, v[6:7]
	v_and_b32_e32 v6, 7, v21
; %bb.1531:                             ;   in Loop: Header=BB222_796 Depth=1
	s_or_b32 exec_lo, exec_lo, s18
	v_mov_b32_e32 v21, 24
	v_lshlrev_b32_e32 v6, 20, v6
	v_lshl_add_u32 v8, v8, 23, 0x3c000000
	v_lshlrev_b32_sdwa v21, v21, v117 dst_sel:DWORD dst_unused:UNUSED_PAD src0_sel:DWORD src1_sel:WORD_1
	v_and_b32_e32 v21, 0x80000000, v21
	v_or3_b32 v6, v6, v21, v8
	v_mov_b32_e32 v22, v7
	v_mov_b32_e32 v21, v6
.LBB222_1532:                           ;   in Loop: Header=BB222_796 Depth=1
	s_or_b32 exec_lo, exec_lo, s15
.LBB222_1533:                           ;   in Loop: Header=BB222_796 Depth=1
	s_or_b32 exec_lo, exec_lo, s13
.LBB222_1534:                           ;   in Loop: Header=BB222_796 Depth=1
	s_or_b32 exec_lo, exec_lo, s7
	s_mov_b32 s7, exec_lo
	v_cmpx_lt_u32_e32 0xffffff, v117
	s_cbranch_execz .LBB222_1542
; %bb.1535:                             ;   in Loop: Header=BB222_796 Depth=1
	v_mov_b32_e32 v8, v7
	v_mov_b32_e32 v11, v9
	v_cmp_ne_u32_sdwa s4, v117, v68 src0_sel:BYTE_3 src1_sel:DWORD
	v_mov_b32_e32 v10, v8
	s_and_saveexec_b32 s13, s4
	s_cbranch_execz .LBB222_1541
; %bb.1536:                             ;   in Loop: Header=BB222_796 Depth=1
	v_mov_b32_e32 v11, v7
	v_bfe_u32 v118, v117, 24, 7
	s_mov_b32 s15, exec_lo
	v_mov_b32_e32 v10, v11
	v_mov_b32_e32 v11, v12
	v_cmpx_ne_u32_e32 0x7f, v118
	s_cbranch_execz .LBB222_1540
; %bb.1537:                             ;   in Loop: Header=BB222_796 Depth=1
	v_mov_b32_e32 v6, 7
	v_lshrrev_b32_e32 v8, 3, v118
	s_mov_b32 s18, exec_lo
	v_and_b32_sdwa v6, v117, v6 dst_sel:DWORD dst_unused:UNUSED_PAD src0_sel:BYTE_3 src1_sel:DWORD
	v_cmpx_gt_u32_e32 8, v118
; %bb.1538:                             ;   in Loop: Header=BB222_796 Depth=1
	v_ffbh_u32_e32 v8, v6
	v_min_u32_e32 v8, 32, v8
	v_subrev_nc_u32_e32 v10, 28, v8
	v_sub_nc_u32_e32 v8, 29, v8
	v_lshlrev_b64 v[10:11], v10, v[6:7]
	v_and_b32_e32 v6, 7, v10
; %bb.1539:                             ;   in Loop: Header=BB222_796 Depth=1
	s_or_b32 exec_lo, exec_lo, s18
	v_mov_b32_e32 v10, 24
	v_lshlrev_b32_e32 v6, 20, v6
	v_lshl_add_u32 v8, v8, 23, 0x3c000000
	v_lshlrev_b32_sdwa v10, v10, v117 dst_sel:DWORD dst_unused:UNUSED_PAD src0_sel:DWORD src1_sel:BYTE_3
	v_and_b32_e32 v10, 0x80000000, v10
	v_or3_b32 v11, v6, v10, v8
	v_mov_b32_e32 v10, v7
.LBB222_1540:                           ;   in Loop: Header=BB222_796 Depth=1
	s_or_b32 exec_lo, exec_lo, s15
.LBB222_1541:                           ;   in Loop: Header=BB222_796 Depth=1
	s_or_b32 exec_lo, exec_lo, s13
.LBB222_1542:                           ;   in Loop: Header=BB222_796 Depth=1
	s_or_b32 exec_lo, exec_lo, s7
	v_or_b32_e32 v6, v20, v18
	v_or_b32_e32 v8, v19, v17
	;; [unrolled: 1-line block ×4, first 2 shown]
	v_mul_f32_e32 v40, v83, v6
	v_mul_f32_e32 v119, v67, v8
	;; [unrolled: 1-line block ×4, first 2 shown]
	s_and_saveexec_b32 s7, vcc_lo
	s_cbranch_execz .LBB222_1544
; %bb.1543:                             ;   in Loop: Header=BB222_796 Depth=1
	v_cmp_lt_i32_e64 s4, v101, v116
	v_cndmask_b32_e64 v119, 0, v119, s4
	v_cmp_lt_i32_e64 s4, v103, v116
	v_cndmask_b32_e64 v40, 0, v40, s4
	;; [unrolled: 2-line block ×4, first 2 shown]
.LBB222_1544:                           ;   in Loop: Header=BB222_796 Depth=1
	s_or_b32 exec_lo, exec_lo, s7
	flat_load_dword v41, v[0:1] offset:768
	v_mov_b32_e32 v19, 0
	v_mov_b32_e32 v17, 0
	;; [unrolled: 1-line block ×4, first 2 shown]
	s_waitcnt vmcnt(0) lgkmcnt(0)
	v_cmp_ne_u16_sdwa s4, v41, v7 src0_sel:BYTE_0 src1_sel:DWORD
	s_and_saveexec_b32 s7, s4
	s_cbranch_execz .LBB222_1552
; %bb.1545:                             ;   in Loop: Header=BB222_796 Depth=1
	v_bfrev_b32_e32 v17, 1
	v_mov_b32_e32 v18, 0
	v_cmp_ne_u16_sdwa s4, v41, v68 src0_sel:BYTE_0 src1_sel:DWORD
	s_and_saveexec_b32 s13, s4
	s_cbranch_execz .LBB222_1551
; %bb.1546:                             ;   in Loop: Header=BB222_796 Depth=1
	v_mov_b32_e32 v17, 0x7f800001
	v_and_b32_e32 v10, 0x7f, v41
	v_mov_b32_e32 v18, 0
	s_mov_b32 s15, exec_lo
	v_cmpx_ne_u32_e32 0x7f, v10
	s_cbranch_execz .LBB222_1550
; %bb.1547:                             ;   in Loop: Header=BB222_796 Depth=1
	v_and_b32_e32 v6, 7, v41
	v_lshrrev_b32_e32 v8, 3, v10
	s_mov_b32 s18, exec_lo
	v_cmpx_gt_u32_e32 8, v10
; %bb.1548:                             ;   in Loop: Header=BB222_796 Depth=1
	v_ffbh_u32_e32 v8, v6
	v_min_u32_e32 v8, 32, v8
	v_subrev_nc_u32_e32 v10, 28, v8
	v_sub_nc_u32_e32 v8, 29, v8
	v_lshlrev_b64 v[10:11], v10, v[6:7]
	v_and_b32_e32 v6, 7, v10
; %bb.1549:                             ;   in Loop: Header=BB222_796 Depth=1
	s_or_b32 exec_lo, exec_lo, s18
	v_lshlrev_b32_e32 v10, 24, v41
	v_lshlrev_b32_e32 v6, 20, v6
	v_lshl_add_u32 v8, v8, 23, 0x3c000000
	v_and_b32_e32 v10, 0x80000000, v10
	v_or3_b32 v6, v6, v10, v8
	v_mov_b32_e32 v18, v7
	v_mov_b32_e32 v17, v6
.LBB222_1550:                           ;   in Loop: Header=BB222_796 Depth=1
	s_or_b32 exec_lo, exec_lo, s15
.LBB222_1551:                           ;   in Loop: Header=BB222_796 Depth=1
	s_or_b32 exec_lo, exec_lo, s13
.LBB222_1552:                           ;   in Loop: Header=BB222_796 Depth=1
	s_or_b32 exec_lo, exec_lo, s7
	v_cmp_ne_u16_sdwa s4, v41, v7 src0_sel:BYTE_1 src1_sel:DWORD
	s_and_saveexec_b32 s7, s4
	s_cbranch_execz .LBB222_1560
; %bb.1553:                             ;   in Loop: Header=BB222_796 Depth=1
	v_mov_b32_e32 v8, v7
	v_mov_b32_e32 v20, v9
	v_cmp_ne_u16_sdwa s4, v41, v68 src0_sel:BYTE_1 src1_sel:DWORD
	v_mov_b32_e32 v19, v8
	s_and_saveexec_b32 s13, s4
	s_cbranch_execz .LBB222_1559
; %bb.1554:                             ;   in Loop: Header=BB222_796 Depth=1
	v_and_b32_sdwa v6, v44, v41 dst_sel:DWORD dst_unused:UNUSED_PAD src0_sel:DWORD src1_sel:BYTE_1
	v_mov_b32_e32 v11, v7
	v_mov_b32_e32 v20, v12
	s_mov_b32 s15, exec_lo
	v_and_b32_e32 v10, 0x7f, v6
	v_mov_b32_e32 v19, v11
	v_cmpx_ne_u32_e32 0x7f, v10
	s_cbranch_execz .LBB222_1558
; %bb.1555:                             ;   in Loop: Header=BB222_796 Depth=1
	v_and_b32_e32 v6, 7, v6
	v_lshrrev_b32_e32 v8, 3, v10
	s_mov_b32 s18, exec_lo
	v_cmpx_gt_u32_e32 8, v10
; %bb.1556:                             ;   in Loop: Header=BB222_796 Depth=1
	v_ffbh_u32_e32 v8, v6
	v_min_u32_e32 v8, 32, v8
	v_subrev_nc_u32_e32 v10, 28, v8
	v_sub_nc_u32_e32 v8, 29, v8
	v_lshlrev_b64 v[10:11], v10, v[6:7]
	v_and_b32_e32 v6, 7, v10
; %bb.1557:                             ;   in Loop: Header=BB222_796 Depth=1
	s_or_b32 exec_lo, exec_lo, s18
	v_lshlrev_b32_e32 v10, 16, v41
	v_lshlrev_b32_e32 v6, 20, v6
	v_lshl_add_u32 v8, v8, 23, 0x3c000000
	v_mov_b32_e32 v19, v7
	v_and_b32_e32 v10, 0x80000000, v10
	v_or3_b32 v20, v6, v10, v8
.LBB222_1558:                           ;   in Loop: Header=BB222_796 Depth=1
	s_or_b32 exec_lo, exec_lo, s15
.LBB222_1559:                           ;   in Loop: Header=BB222_796 Depth=1
	s_or_b32 exec_lo, exec_lo, s13
.LBB222_1560:                           ;   in Loop: Header=BB222_796 Depth=1
	s_or_b32 exec_lo, exec_lo, s7
	v_mov_b32_e32 v10, 0
	v_mov_b32_e32 v21, 0
	v_and_b32_sdwa v6, v41, v70 dst_sel:DWORD dst_unused:UNUSED_PAD src0_sel:WORD_1 src1_sel:DWORD
	v_mov_b32_e32 v11, 0
	v_mov_b32_e32 v22, 0
	s_mov_b32 s7, exec_lo
	v_cmpx_ne_u16_e32 0, v6
	s_cbranch_execz .LBB222_1568
; %bb.1561:                             ;   in Loop: Header=BB222_796 Depth=1
	v_bfrev_b32_e32 v21, 1
	v_mov_b32_e32 v22, 0
	s_mov_b32 s13, exec_lo
	v_cmpx_ne_u16_e32 0x80, v6
	s_cbranch_execz .LBB222_1567
; %bb.1562:                             ;   in Loop: Header=BB222_796 Depth=1
	v_mov_b32_e32 v21, 0x7f800001
	v_bfe_u32 v42, v41, 16, 7
	v_mov_b32_e32 v22, 0
	s_mov_b32 s15, exec_lo
	v_cmpx_ne_u32_e32 0x7f, v42
	s_cbranch_execz .LBB222_1566
; %bb.1563:                             ;   in Loop: Header=BB222_796 Depth=1
	v_mov_b32_e32 v6, 7
	v_lshrrev_b32_e32 v8, 3, v42
	s_mov_b32 s18, exec_lo
	v_and_b32_sdwa v6, v41, v6 dst_sel:DWORD dst_unused:UNUSED_PAD src0_sel:WORD_1 src1_sel:DWORD
	v_cmpx_gt_u32_e32 8, v42
; %bb.1564:                             ;   in Loop: Header=BB222_796 Depth=1
	v_ffbh_u32_e32 v8, v6
	v_min_u32_e32 v8, 32, v8
	v_subrev_nc_u32_e32 v21, 28, v8
	v_sub_nc_u32_e32 v8, 29, v8
	v_lshlrev_b64 v[21:22], v21, v[6:7]
	v_and_b32_e32 v6, 7, v21
; %bb.1565:                             ;   in Loop: Header=BB222_796 Depth=1
	s_or_b32 exec_lo, exec_lo, s18
	v_mov_b32_e32 v21, 24
	v_lshlrev_b32_e32 v6, 20, v6
	v_lshl_add_u32 v8, v8, 23, 0x3c000000
	v_lshlrev_b32_sdwa v21, v21, v41 dst_sel:DWORD dst_unused:UNUSED_PAD src0_sel:DWORD src1_sel:WORD_1
	v_and_b32_e32 v21, 0x80000000, v21
	v_or3_b32 v6, v6, v21, v8
	v_mov_b32_e32 v22, v7
	v_mov_b32_e32 v21, v6
.LBB222_1566:                           ;   in Loop: Header=BB222_796 Depth=1
	s_or_b32 exec_lo, exec_lo, s15
.LBB222_1567:                           ;   in Loop: Header=BB222_796 Depth=1
	s_or_b32 exec_lo, exec_lo, s13
.LBB222_1568:                           ;   in Loop: Header=BB222_796 Depth=1
	s_or_b32 exec_lo, exec_lo, s7
	s_mov_b32 s7, exec_lo
	v_cmpx_lt_u32_e32 0xffffff, v41
	s_cbranch_execz .LBB222_1576
; %bb.1569:                             ;   in Loop: Header=BB222_796 Depth=1
	v_mov_b32_e32 v8, v7
	v_mov_b32_e32 v11, v9
	v_cmp_ne_u32_sdwa s4, v41, v68 src0_sel:BYTE_3 src1_sel:DWORD
	v_mov_b32_e32 v10, v8
	s_and_saveexec_b32 s13, s4
	s_cbranch_execz .LBB222_1575
; %bb.1570:                             ;   in Loop: Header=BB222_796 Depth=1
	v_mov_b32_e32 v11, v7
	v_bfe_u32 v42, v41, 24, 7
	s_mov_b32 s15, exec_lo
	v_mov_b32_e32 v10, v11
	v_mov_b32_e32 v11, v12
	v_cmpx_ne_u32_e32 0x7f, v42
	s_cbranch_execz .LBB222_1574
; %bb.1571:                             ;   in Loop: Header=BB222_796 Depth=1
	v_mov_b32_e32 v6, 7
	v_lshrrev_b32_e32 v8, 3, v42
	s_mov_b32 s18, exec_lo
	v_and_b32_sdwa v6, v41, v6 dst_sel:DWORD dst_unused:UNUSED_PAD src0_sel:BYTE_3 src1_sel:DWORD
	v_cmpx_gt_u32_e32 8, v42
; %bb.1572:                             ;   in Loop: Header=BB222_796 Depth=1
	v_ffbh_u32_e32 v8, v6
	v_min_u32_e32 v8, 32, v8
	v_subrev_nc_u32_e32 v10, 28, v8
	v_sub_nc_u32_e32 v8, 29, v8
	v_lshlrev_b64 v[10:11], v10, v[6:7]
	v_and_b32_e32 v6, 7, v10
; %bb.1573:                             ;   in Loop: Header=BB222_796 Depth=1
	s_or_b32 exec_lo, exec_lo, s18
	v_mov_b32_e32 v10, 24
	v_lshlrev_b32_e32 v6, 20, v6
	v_lshl_add_u32 v8, v8, 23, 0x3c000000
	v_lshlrev_b32_sdwa v10, v10, v41 dst_sel:DWORD dst_unused:UNUSED_PAD src0_sel:DWORD src1_sel:BYTE_3
	v_and_b32_e32 v10, 0x80000000, v10
	v_or3_b32 v11, v6, v10, v8
	v_mov_b32_e32 v10, v7
.LBB222_1574:                           ;   in Loop: Header=BB222_796 Depth=1
	s_or_b32 exec_lo, exec_lo, s15
.LBB222_1575:                           ;   in Loop: Header=BB222_796 Depth=1
	s_or_b32 exec_lo, exec_lo, s13
.LBB222_1576:                           ;   in Loop: Header=BB222_796 Depth=1
	s_or_b32 exec_lo, exec_lo, s7
	v_or_b32_e32 v6, v20, v18
	v_or_b32_e32 v8, v19, v17
	;; [unrolled: 1-line block ×4, first 2 shown]
	v_mul_f32_e32 v42, v83, v6
	v_mul_f32_e32 v41, v67, v8
	v_mul_f32_e32 v22, v67, v10
	v_mul_f32_e32 v21, v83, v11
	s_and_saveexec_b32 s7, vcc_lo
	s_cbranch_execz .LBB222_1578
; %bb.1577:                             ;   in Loop: Header=BB222_796 Depth=1
	v_cmp_lt_i32_e64 s4, v101, v116
	v_cndmask_b32_e64 v41, 0, v41, s4
	v_cmp_lt_i32_e64 s4, v103, v116
	v_cndmask_b32_e64 v42, 0, v42, s4
	;; [unrolled: 2-line block ×4, first 2 shown]
.LBB222_1578:                           ;   in Loop: Header=BB222_796 Depth=1
	s_or_b32 exec_lo, exec_lo, s7
	flat_load_dword v43, v[0:1] offset:896
	v_mov_b32_e32 v17, 0
	v_mov_b32_e32 v0, 0
	;; [unrolled: 1-line block ×4, first 2 shown]
	s_waitcnt vmcnt(0) lgkmcnt(0)
	v_cmp_ne_u16_sdwa s4, v43, v7 src0_sel:BYTE_0 src1_sel:DWORD
	s_and_saveexec_b32 s7, s4
	s_cbranch_execz .LBB222_1586
; %bb.1579:                             ;   in Loop: Header=BB222_796 Depth=1
	v_bfrev_b32_e32 v0, 1
	v_mov_b32_e32 v1, 0
	v_cmp_ne_u16_sdwa s4, v43, v68 src0_sel:BYTE_0 src1_sel:DWORD
	s_and_saveexec_b32 s13, s4
	s_cbranch_execz .LBB222_1585
; %bb.1580:                             ;   in Loop: Header=BB222_796 Depth=1
	v_mov_b32_e32 v0, 0x7f800001
	v_and_b32_e32 v8, 0x7f, v43
	v_mov_b32_e32 v1, 0
	s_mov_b32 s15, exec_lo
	v_cmpx_ne_u32_e32 0x7f, v8
	s_cbranch_execz .LBB222_1584
; %bb.1581:                             ;   in Loop: Header=BB222_796 Depth=1
	v_and_b32_e32 v6, 7, v43
	v_lshrrev_b32_e32 v0, 3, v8
	s_mov_b32 s18, exec_lo
	v_cmpx_gt_u32_e32 8, v8
; %bb.1582:                             ;   in Loop: Header=BB222_796 Depth=1
	v_ffbh_u32_e32 v0, v6
	v_min_u32_e32 v0, 32, v0
	v_subrev_nc_u32_e32 v1, 28, v0
	v_sub_nc_u32_e32 v0, 29, v0
	v_lshlrev_b64 v[10:11], v1, v[6:7]
	v_and_b32_e32 v6, 7, v10
; %bb.1583:                             ;   in Loop: Header=BB222_796 Depth=1
	s_or_b32 exec_lo, exec_lo, s18
	v_lshlrev_b32_e32 v1, 24, v43
	v_lshlrev_b32_e32 v6, 20, v6
	v_lshl_add_u32 v0, v0, 23, 0x3c000000
	v_and_b32_e32 v1, 0x80000000, v1
	v_or3_b32 v6, v6, v1, v0
	v_mov_b32_e32 v0, v6
	v_mov_b32_e32 v1, v7
.LBB222_1584:                           ;   in Loop: Header=BB222_796 Depth=1
	s_or_b32 exec_lo, exec_lo, s15
.LBB222_1585:                           ;   in Loop: Header=BB222_796 Depth=1
	s_or_b32 exec_lo, exec_lo, s13
.LBB222_1586:                           ;   in Loop: Header=BB222_796 Depth=1
	s_or_b32 exec_lo, exec_lo, s7
	v_cmp_ne_u16_sdwa s4, v43, v7 src0_sel:BYTE_1 src1_sel:DWORD
	s_and_saveexec_b32 s7, s4
	s_cbranch_execz .LBB222_1594
; %bb.1587:                             ;   in Loop: Header=BB222_796 Depth=1
	v_mov_b32_e32 v8, v7
	v_mov_b32_e32 v18, v9
	v_cmp_ne_u16_sdwa s4, v43, v68 src0_sel:BYTE_1 src1_sel:DWORD
	v_mov_b32_e32 v17, v8
	s_and_saveexec_b32 s13, s4
	s_cbranch_execz .LBB222_1593
; %bb.1588:                             ;   in Loop: Header=BB222_796 Depth=1
	v_and_b32_sdwa v6, v44, v43 dst_sel:DWORD dst_unused:UNUSED_PAD src0_sel:DWORD src1_sel:BYTE_1
	v_mov_b32_e32 v11, v7
	v_mov_b32_e32 v18, v12
	s_mov_b32 s15, exec_lo
	v_and_b32_e32 v10, 0x7f, v6
	v_mov_b32_e32 v17, v11
	v_cmpx_ne_u32_e32 0x7f, v10
	s_cbranch_execz .LBB222_1592
; %bb.1589:                             ;   in Loop: Header=BB222_796 Depth=1
	v_and_b32_e32 v6, 7, v6
	v_lshrrev_b32_e32 v8, 3, v10
	s_mov_b32 s18, exec_lo
	v_cmpx_gt_u32_e32 8, v10
; %bb.1590:                             ;   in Loop: Header=BB222_796 Depth=1
	v_ffbh_u32_e32 v8, v6
	v_min_u32_e32 v8, 32, v8
	v_subrev_nc_u32_e32 v10, 28, v8
	v_sub_nc_u32_e32 v8, 29, v8
	v_lshlrev_b64 v[10:11], v10, v[6:7]
	v_and_b32_e32 v6, 7, v10
; %bb.1591:                             ;   in Loop: Header=BB222_796 Depth=1
	s_or_b32 exec_lo, exec_lo, s18
	v_lshlrev_b32_e32 v10, 16, v43
	v_lshlrev_b32_e32 v6, 20, v6
	v_lshl_add_u32 v8, v8, 23, 0x3c000000
	v_mov_b32_e32 v17, v7
	v_and_b32_e32 v10, 0x80000000, v10
	v_or3_b32 v18, v6, v10, v8
.LBB222_1592:                           ;   in Loop: Header=BB222_796 Depth=1
	s_or_b32 exec_lo, exec_lo, s15
.LBB222_1593:                           ;   in Loop: Header=BB222_796 Depth=1
	s_or_b32 exec_lo, exec_lo, s13
.LBB222_1594:                           ;   in Loop: Header=BB222_796 Depth=1
	s_or_b32 exec_lo, exec_lo, s7
	v_mov_b32_e32 v10, 0
	v_mov_b32_e32 v19, 0
	v_and_b32_sdwa v6, v43, v70 dst_sel:DWORD dst_unused:UNUSED_PAD src0_sel:WORD_1 src1_sel:DWORD
	v_mov_b32_e32 v11, 0
	v_mov_b32_e32 v20, 0
	s_mov_b32 s7, exec_lo
	v_cmpx_ne_u16_e32 0, v6
	s_cbranch_execz .LBB222_1602
; %bb.1595:                             ;   in Loop: Header=BB222_796 Depth=1
	v_bfrev_b32_e32 v19, 1
	v_mov_b32_e32 v20, 0
	s_mov_b32 s13, exec_lo
	v_cmpx_ne_u16_e32 0x80, v6
	s_cbranch_execz .LBB222_1601
; %bb.1596:                             ;   in Loop: Header=BB222_796 Depth=1
	v_mov_b32_e32 v19, 0x7f800001
	v_bfe_u32 v44, v43, 16, 7
	v_mov_b32_e32 v20, 0
	s_mov_b32 s15, exec_lo
	v_cmpx_ne_u32_e32 0x7f, v44
	s_cbranch_execz .LBB222_1600
; %bb.1597:                             ;   in Loop: Header=BB222_796 Depth=1
	v_mov_b32_e32 v6, 7
	v_lshrrev_b32_e32 v8, 3, v44
	s_mov_b32 s18, exec_lo
	v_and_b32_sdwa v6, v43, v6 dst_sel:DWORD dst_unused:UNUSED_PAD src0_sel:WORD_1 src1_sel:DWORD
	v_cmpx_gt_u32_e32 8, v44
; %bb.1598:                             ;   in Loop: Header=BB222_796 Depth=1
	v_ffbh_u32_e32 v8, v6
	v_min_u32_e32 v8, 32, v8
	v_subrev_nc_u32_e32 v19, 28, v8
	v_sub_nc_u32_e32 v8, 29, v8
	v_lshlrev_b64 v[19:20], v19, v[6:7]
	v_and_b32_e32 v6, 7, v19
; %bb.1599:                             ;   in Loop: Header=BB222_796 Depth=1
	s_or_b32 exec_lo, exec_lo, s18
	v_mov_b32_e32 v19, 24
	v_lshlrev_b32_e32 v6, 20, v6
	v_lshl_add_u32 v8, v8, 23, 0x3c000000
	v_lshlrev_b32_sdwa v19, v19, v43 dst_sel:DWORD dst_unused:UNUSED_PAD src0_sel:DWORD src1_sel:WORD_1
	v_and_b32_e32 v19, 0x80000000, v19
	v_or3_b32 v6, v6, v19, v8
	v_mov_b32_e32 v20, v7
	v_mov_b32_e32 v19, v6
.LBB222_1600:                           ;   in Loop: Header=BB222_796 Depth=1
	s_or_b32 exec_lo, exec_lo, s15
	v_mov_b32_e32 v44, 0xffff
.LBB222_1601:                           ;   in Loop: Header=BB222_796 Depth=1
	s_or_b32 exec_lo, exec_lo, s13
.LBB222_1602:                           ;   in Loop: Header=BB222_796 Depth=1
	s_or_b32 exec_lo, exec_lo, s7
	s_mov_b32 s7, exec_lo
	v_cmpx_lt_u32_e32 0xffffff, v43
	s_cbranch_execz .LBB222_1610
; %bb.1603:                             ;   in Loop: Header=BB222_796 Depth=1
	v_mov_b32_e32 v8, v7
	v_mov_b32_e32 v11, v9
	v_cmp_ne_u32_sdwa s4, v43, v68 src0_sel:BYTE_3 src1_sel:DWORD
	v_mov_b32_e32 v10, v8
	s_and_saveexec_b32 s13, s4
	s_cbranch_execz .LBB222_1609
; %bb.1604:                             ;   in Loop: Header=BB222_796 Depth=1
	v_mov_b32_e32 v11, v7
	v_bfe_u32 v44, v43, 24, 7
	s_mov_b32 s15, exec_lo
	v_mov_b32_e32 v10, v11
	v_mov_b32_e32 v11, v12
	v_cmpx_ne_u32_e32 0x7f, v44
	s_cbranch_execz .LBB222_1608
; %bb.1605:                             ;   in Loop: Header=BB222_796 Depth=1
	v_mov_b32_e32 v6, 7
	v_lshrrev_b32_e32 v8, 3, v44
	s_mov_b32 s18, exec_lo
	v_and_b32_sdwa v6, v43, v6 dst_sel:DWORD dst_unused:UNUSED_PAD src0_sel:BYTE_3 src1_sel:DWORD
	v_cmpx_gt_u32_e32 8, v44
; %bb.1606:                             ;   in Loop: Header=BB222_796 Depth=1
	v_ffbh_u32_e32 v8, v6
	v_min_u32_e32 v8, 32, v8
	v_subrev_nc_u32_e32 v10, 28, v8
	v_sub_nc_u32_e32 v8, 29, v8
	v_lshlrev_b64 v[10:11], v10, v[6:7]
	v_and_b32_e32 v6, 7, v10
; %bb.1607:                             ;   in Loop: Header=BB222_796 Depth=1
	s_or_b32 exec_lo, exec_lo, s18
	v_mov_b32_e32 v10, 24
	v_lshlrev_b32_e32 v6, 20, v6
	v_lshl_add_u32 v8, v8, 23, 0x3c000000
	v_lshlrev_b32_sdwa v10, v10, v43 dst_sel:DWORD dst_unused:UNUSED_PAD src0_sel:DWORD src1_sel:BYTE_3
	v_and_b32_e32 v10, 0x80000000, v10
	v_or3_b32 v11, v6, v10, v8
	v_mov_b32_e32 v10, v7
.LBB222_1608:                           ;   in Loop: Header=BB222_796 Depth=1
	s_or_b32 exec_lo, exec_lo, s15
	v_mov_b32_e32 v44, 0xffff
.LBB222_1609:                           ;   in Loop: Header=BB222_796 Depth=1
	s_or_b32 exec_lo, exec_lo, s13
.LBB222_1610:                           ;   in Loop: Header=BB222_796 Depth=1
	s_or_b32 exec_lo, exec_lo, s7
	v_or_b32_e32 v1, v18, v1
	v_or_b32_e32 v0, v17, v0
	;; [unrolled: 1-line block ×4, first 2 shown]
	v_mul_f32_e32 v8, v83, v1
	v_mul_f32_e32 v6, v67, v0
	;; [unrolled: 1-line block ×4, first 2 shown]
	s_and_saveexec_b32 s4, vcc_lo
	s_cbranch_execz .LBB222_795
; %bb.1611:                             ;   in Loop: Header=BB222_796 Depth=1
	v_cmp_lt_i32_e32 vcc_lo, v101, v116
	v_cndmask_b32_e32 v6, 0, v6, vcc_lo
	v_cmp_lt_i32_e32 vcc_lo, v103, v116
	v_cndmask_b32_e32 v8, 0, v8, vcc_lo
	;; [unrolled: 2-line block ×4, first 2 shown]
	s_branch .LBB222_795
.LBB222_1612:
	s_or_b32 exec_lo, exec_lo, s6
	s_clause 0x3
	buffer_load_dword v70, off, s[0:3], s32 offset:364
	buffer_load_dword v71, off, s[0:3], s32 offset:372
	;; [unrolled: 1-line block ×4, first 2 shown]
	v_mov_b32_e32 v0, s16
	v_mov_b32_e32 v1, s17
.LBB222_1613:
	s_or_b32 exec_lo, exec_lo, s5
	v_lshlrev_b64 v[0:1], 2, v[0:1]
	s_getpc_b64 s[4:5]
	s_add_u32 s4, s4, llvm.amdgcn.dynlds.offset.table@rel32@lo+4
	s_addc_u32 s5, s5, llvm.amdgcn.dynlds.offset.table@rel32@hi+12
	s_waitcnt vmcnt(0)
	s_waitcnt_vscnt null, 0x0
	s_barrier
	buffer_gl0_inv
	ds_bpermute_b32 v2, v25, v65
	v_add_co_u32 v0, vcc_lo, s4, v0
	v_add_co_ci_u32_e64 v1, null, s5, v1, vcc_lo
	ds_bpermute_b32 v3, v25, v55
	ds_bpermute_b32 v4, v25, v54
	;; [unrolled: 1-line block ×3, first 2 shown]
	global_load_dword v24, v[0:1], off
	ds_bpermute_b32 v0, v25, v64
	ds_bpermute_b32 v1, v25, v66
	;; [unrolled: 1-line block ×20, first 2 shown]
	buffer_load_dword v25, off, s[0:3], s32 offset:960 ; 4-byte Folded Reload
	s_waitcnt lgkmcnt(19)
	v_add_f32_e32 v0, v64, v0
	s_waitcnt lgkmcnt(18)
	v_add_f32_e32 v1, v66, v1
	v_add_f32_e32 v2, v65, v2
	;; [unrolled: 1-line block ×5, first 2 shown]
	s_waitcnt lgkmcnt(17)
	v_add_f32_e32 v6, v52, v6
	s_waitcnt lgkmcnt(16)
	v_add_f32_e32 v7, v51, v7
	;; [unrolled: 2-line block ×18, first 2 shown]
	ds_bpermute_b32 v27, v71, v1
	ds_bpermute_b32 v28, v71, v2
	;; [unrolled: 1-line block ×23, first 2 shown]
	s_waitcnt lgkmcnt(22)
	v_add_f32_e32 v1, v1, v27
	s_waitcnt lgkmcnt(21)
	v_add_f32_e32 v2, v2, v28
	;; [unrolled: 2-line block ×23, first 2 shown]
	ds_bpermute_b32 v27, v70, v1
	ds_bpermute_b32 v28, v70, v2
	;; [unrolled: 1-line block ×23, first 2 shown]
	s_waitcnt lgkmcnt(22)
	v_add_f32_e32 v1, v1, v27
	s_waitcnt lgkmcnt(21)
	v_add_f32_e32 v2, v2, v28
	s_waitcnt lgkmcnt(20)
	v_add_f32_e32 v3, v3, v29
	s_waitcnt lgkmcnt(19)
	v_add_f32_e32 v4, v4, v30
	s_waitcnt lgkmcnt(18)
	v_add_f32_e32 v5, v5, v31
	s_waitcnt lgkmcnt(17)
	v_add_f32_e32 v6, v6, v32
	s_waitcnt lgkmcnt(16)
	v_add_f32_e32 v7, v7, v33
	s_waitcnt lgkmcnt(15)
	v_add_f32_e32 v8, v8, v34
	s_waitcnt lgkmcnt(14)
	v_add_f32_e32 v9, v9, v35
	s_waitcnt lgkmcnt(13)
	v_add_f32_e32 v10, v10, v36
	s_waitcnt lgkmcnt(12)
	v_add_f32_e32 v11, v11, v37
	s_waitcnt lgkmcnt(11)
	v_add_f32_e32 v12, v12, v38
	s_waitcnt lgkmcnt(10)
	v_add_f32_e32 v13, v13, v39
	s_waitcnt lgkmcnt(9)
	v_add_f32_e32 v14, v14, v48
	s_waitcnt lgkmcnt(8)
	v_add_f32_e32 v15, v15, v49
	s_waitcnt lgkmcnt(7)
	v_add_f32_e32 v16, v16, v50
	s_waitcnt lgkmcnt(6)
	v_add_f32_e32 v17, v17, v51
	s_waitcnt lgkmcnt(5)
	v_add_f32_e32 v18, v18, v52
	s_waitcnt lgkmcnt(4)
	v_add_f32_e32 v19, v19, v53
	s_waitcnt lgkmcnt(3)
	v_add_f32_e32 v20, v20, v54
	s_waitcnt lgkmcnt(2)
	v_add_f32_e32 v21, v21, v55
	s_waitcnt lgkmcnt(1)
	v_add_f32_e32 v22, v22, v64
	s_waitcnt lgkmcnt(0)
	v_add_f32_e32 v23, v23, v65
	s_mov_b32 s4, exec_lo
	buffer_load_dword v69, off, s[0:3], s32 offset:952 ; 4-byte Folded Reload
	s_waitcnt vmcnt(1)
	v_lshrrev_b32_e32 v26, 3, v25
	buffer_load_dword v25, off, s[0:3], s32 offset:956 ; 4-byte Folded Reload
	s_waitcnt vmcnt(1)
	v_and_b32_e32 v68, 0x3c7, v69
	s_waitcnt vmcnt(0)
	v_mul_u32_u24_e32 v67, 0x180, v25
	ds_bpermute_b32 v25, v71, v0
	s_waitcnt lgkmcnt(0)
	v_add_f32_e32 v0, v0, v25
	ds_bpermute_b32 v25, v70, v0
	s_waitcnt lgkmcnt(0)
	v_add_f32_e32 v0, v0, v25
	v_lshl_add_u32 v25, v26, 2, v24
	v_cmpx_eq_u32_e32 64, v68
	s_cbranch_execz .LBB222_1615
; %bb.1614:
	v_add_nc_u32_e32 v27, v25, v67
	v_add_nc_u32_e32 v28, 0xfffffd00, v27
	;; [unrolled: 1-line block ×7, first 2 shown]
	ds_write_b32 v28, v0
	ds_write_b32 v29, v1
	ds_write_b32 v30, v2
	ds_write_b32 v31, v3
	v_add_nc_u32_e32 v28, 0xfffffd60, v27
	v_add_nc_u32_e32 v29, 0xfffffd70, v27
	v_add_nc_u32_e32 v30, 0xfffffd80, v27
	ds_write_b32 v32, v4
	ds_write_b32 v33, v5
	ds_write_b32 v28, v6
	ds_write_b32 v29, v7
	ds_write_b32 v30, v8
	v_add_nc_u32_e32 v28, 0xfffffd90, v27
	v_add_nc_u32_e32 v29, 0xfffffda0, v27
	v_add_nc_u32_e32 v30, 0xfffffdb0, v27
	v_add_nc_u32_e32 v31, 0xfffffdc0, v27
	v_add_nc_u32_e32 v32, 0xfffffdd0, v27
	ds_write_b32 v28, v9
	ds_write_b32 v29, v10
	ds_write_b32 v30, v11
	ds_write_b32 v31, v12
	ds_write_b32 v32, v13
	v_add_nc_u32_e32 v28, 0xfffffde0, v27
	v_add_nc_u32_e32 v29, 0xfffffdf0, v27
	;; [unrolled: 10-line block ×3, first 2 shown]
	v_add_nc_u32_e32 v30, 0xfffffe50, v27
	v_add_nc_u32_e32 v31, 0xfffffe60, v27
	;; [unrolled: 1-line block ×3, first 2 shown]
	ds_write_b32 v28, v19
	ds_write_b32 v29, v20
	;; [unrolled: 1-line block ×5, first 2 shown]
.LBB222_1615:
	s_or_b32 exec_lo, exec_lo, s4
	v_lshlrev_b32_e32 v26, 2, v26
	s_mov_b32 s5, exec_lo
	v_cmp_eq_u32_e32 vcc_lo, 0, v80
	s_waitcnt lgkmcnt(0)
	s_barrier
	v_add3_u32 v24, v24, v67, v26
	buffer_gl0_inv
	v_cmpx_gt_u32_e32 64, v69
	s_cbranch_execz .LBB222_1642
; %bb.1616:
	s_and_saveexec_b32 s4, vcc_lo
	s_cbranch_execnz .LBB222_1674
; %bb.1617:
	s_or_b32 exec_lo, exec_lo, s4
	s_and_saveexec_b32 s4, vcc_lo
	s_cbranch_execnz .LBB222_1675
.LBB222_1618:
	s_or_b32 exec_lo, exec_lo, s4
	s_and_saveexec_b32 s4, vcc_lo
	s_cbranch_execnz .LBB222_1676
.LBB222_1619:
	s_or_b32 exec_lo, exec_lo, s4
	s_and_saveexec_b32 s4, vcc_lo
	s_cbranch_execnz .LBB222_1677
.LBB222_1620:
	s_or_b32 exec_lo, exec_lo, s4
	s_and_saveexec_b32 s4, vcc_lo
	s_cbranch_execnz .LBB222_1678
.LBB222_1621:
	s_or_b32 exec_lo, exec_lo, s4
	s_and_saveexec_b32 s4, vcc_lo
	s_cbranch_execnz .LBB222_1679
.LBB222_1622:
	s_or_b32 exec_lo, exec_lo, s4
	s_and_saveexec_b32 s4, vcc_lo
	s_cbranch_execnz .LBB222_1680
.LBB222_1623:
	s_or_b32 exec_lo, exec_lo, s4
	s_and_saveexec_b32 s4, vcc_lo
	s_cbranch_execnz .LBB222_1681
.LBB222_1624:
	s_or_b32 exec_lo, exec_lo, s4
	s_and_saveexec_b32 s4, vcc_lo
	s_cbranch_execnz .LBB222_1682
.LBB222_1625:
	s_or_b32 exec_lo, exec_lo, s4
	s_and_saveexec_b32 s4, vcc_lo
	s_cbranch_execnz .LBB222_1683
.LBB222_1626:
	s_or_b32 exec_lo, exec_lo, s4
	s_and_saveexec_b32 s4, vcc_lo
	s_cbranch_execnz .LBB222_1684
.LBB222_1627:
	s_or_b32 exec_lo, exec_lo, s4
	s_and_saveexec_b32 s4, vcc_lo
	s_cbranch_execnz .LBB222_1685
.LBB222_1628:
	s_or_b32 exec_lo, exec_lo, s4
	s_and_saveexec_b32 s4, vcc_lo
	s_cbranch_execnz .LBB222_1686
.LBB222_1629:
	s_or_b32 exec_lo, exec_lo, s4
	s_and_saveexec_b32 s4, vcc_lo
	s_cbranch_execnz .LBB222_1687
.LBB222_1630:
	s_or_b32 exec_lo, exec_lo, s4
	s_and_saveexec_b32 s4, vcc_lo
	s_cbranch_execnz .LBB222_1688
.LBB222_1631:
	s_or_b32 exec_lo, exec_lo, s4
	s_and_saveexec_b32 s4, vcc_lo
	s_cbranch_execnz .LBB222_1689
.LBB222_1632:
	s_or_b32 exec_lo, exec_lo, s4
	s_and_saveexec_b32 s4, vcc_lo
	s_cbranch_execnz .LBB222_1690
.LBB222_1633:
	s_or_b32 exec_lo, exec_lo, s4
	s_and_saveexec_b32 s4, vcc_lo
	s_cbranch_execnz .LBB222_1691
.LBB222_1634:
	s_or_b32 exec_lo, exec_lo, s4
	s_and_saveexec_b32 s4, vcc_lo
	s_cbranch_execnz .LBB222_1692
.LBB222_1635:
	s_or_b32 exec_lo, exec_lo, s4
	s_and_saveexec_b32 s4, vcc_lo
	s_cbranch_execnz .LBB222_1693
.LBB222_1636:
	s_or_b32 exec_lo, exec_lo, s4
	s_and_saveexec_b32 s4, vcc_lo
	s_cbranch_execnz .LBB222_1694
.LBB222_1637:
	s_or_b32 exec_lo, exec_lo, s4
	s_and_saveexec_b32 s4, vcc_lo
	s_cbranch_execnz .LBB222_1695
.LBB222_1638:
	s_or_b32 exec_lo, exec_lo, s4
	s_and_saveexec_b32 s4, vcc_lo
	s_cbranch_execnz .LBB222_1696
.LBB222_1639:
	s_or_b32 exec_lo, exec_lo, s4
	s_and_saveexec_b32 s4, vcc_lo
	s_cbranch_execz .LBB222_1641
.LBB222_1640:
	ds_read_b32 v26, v24 offset:368
	s_waitcnt lgkmcnt(0)
	v_add_f32_e32 v23, v26, v23
.LBB222_1641:
	s_or_b32 exec_lo, exec_lo, s4
.LBB222_1642:
	s_or_b32 exec_lo, exec_lo, s5
	v_and_b32_e32 v26, 0x3e7, v69
	s_mov_b32 s5, exec_lo
	s_barrier
	buffer_gl0_inv
	v_cmpx_eq_u32_e32 32, v26
	s_cbranch_execz .LBB222_1644
; %bb.1643:
	ds_write2_b32 v25, v0, v1 offset1:4
	ds_write2_b32 v25, v2, v3 offset0:8 offset1:12
	ds_write2_b32 v25, v4, v5 offset0:16 offset1:20
	;; [unrolled: 1-line block ×11, first 2 shown]
.LBB222_1644:
	s_or_b32 exec_lo, exec_lo, s5
	s_mov_b32 s5, exec_lo
	s_waitcnt lgkmcnt(0)
	s_barrier
	buffer_gl0_inv
	v_cmpx_gt_u32_e32 32, v69
	s_cbranch_execz .LBB222_1671
; %bb.1645:
	s_and_saveexec_b32 s4, vcc_lo
	s_cbranch_execnz .LBB222_1697
; %bb.1646:
	s_or_b32 exec_lo, exec_lo, s4
	s_and_saveexec_b32 s4, vcc_lo
	s_cbranch_execnz .LBB222_1698
.LBB222_1647:
	s_or_b32 exec_lo, exec_lo, s4
	s_and_saveexec_b32 s4, vcc_lo
	s_cbranch_execnz .LBB222_1699
.LBB222_1648:
	s_or_b32 exec_lo, exec_lo, s4
	s_and_saveexec_b32 s4, vcc_lo
	s_cbranch_execnz .LBB222_1700
.LBB222_1649:
	s_or_b32 exec_lo, exec_lo, s4
	s_and_saveexec_b32 s4, vcc_lo
	s_cbranch_execnz .LBB222_1701
.LBB222_1650:
	s_or_b32 exec_lo, exec_lo, s4
	s_and_saveexec_b32 s4, vcc_lo
	s_cbranch_execnz .LBB222_1702
.LBB222_1651:
	s_or_b32 exec_lo, exec_lo, s4
	s_and_saveexec_b32 s4, vcc_lo
	s_cbranch_execnz .LBB222_1703
.LBB222_1652:
	s_or_b32 exec_lo, exec_lo, s4
	s_and_saveexec_b32 s4, vcc_lo
	s_cbranch_execnz .LBB222_1704
.LBB222_1653:
	s_or_b32 exec_lo, exec_lo, s4
	s_and_saveexec_b32 s4, vcc_lo
	s_cbranch_execnz .LBB222_1705
.LBB222_1654:
	s_or_b32 exec_lo, exec_lo, s4
	s_and_saveexec_b32 s4, vcc_lo
	s_cbranch_execnz .LBB222_1706
.LBB222_1655:
	s_or_b32 exec_lo, exec_lo, s4
	s_and_saveexec_b32 s4, vcc_lo
	s_cbranch_execnz .LBB222_1707
.LBB222_1656:
	s_or_b32 exec_lo, exec_lo, s4
	s_and_saveexec_b32 s4, vcc_lo
	s_cbranch_execnz .LBB222_1708
.LBB222_1657:
	s_or_b32 exec_lo, exec_lo, s4
	s_and_saveexec_b32 s4, vcc_lo
	s_cbranch_execnz .LBB222_1709
.LBB222_1658:
	s_or_b32 exec_lo, exec_lo, s4
	s_and_saveexec_b32 s4, vcc_lo
	s_cbranch_execnz .LBB222_1710
.LBB222_1659:
	s_or_b32 exec_lo, exec_lo, s4
	s_and_saveexec_b32 s4, vcc_lo
	s_cbranch_execnz .LBB222_1711
.LBB222_1660:
	s_or_b32 exec_lo, exec_lo, s4
	s_and_saveexec_b32 s4, vcc_lo
	s_cbranch_execnz .LBB222_1712
.LBB222_1661:
	s_or_b32 exec_lo, exec_lo, s4
	s_and_saveexec_b32 s4, vcc_lo
	s_cbranch_execnz .LBB222_1713
.LBB222_1662:
	s_or_b32 exec_lo, exec_lo, s4
	s_and_saveexec_b32 s4, vcc_lo
	s_cbranch_execnz .LBB222_1714
.LBB222_1663:
	s_or_b32 exec_lo, exec_lo, s4
	s_and_saveexec_b32 s4, vcc_lo
	s_cbranch_execnz .LBB222_1715
.LBB222_1664:
	s_or_b32 exec_lo, exec_lo, s4
	s_and_saveexec_b32 s4, vcc_lo
	s_cbranch_execnz .LBB222_1716
.LBB222_1665:
	s_or_b32 exec_lo, exec_lo, s4
	s_and_saveexec_b32 s4, vcc_lo
	s_cbranch_execnz .LBB222_1717
.LBB222_1666:
	s_or_b32 exec_lo, exec_lo, s4
	s_and_saveexec_b32 s4, vcc_lo
	s_cbranch_execnz .LBB222_1718
.LBB222_1667:
	s_or_b32 exec_lo, exec_lo, s4
	s_and_saveexec_b32 s4, vcc_lo
	s_cbranch_execnz .LBB222_1719
.LBB222_1668:
	s_or_b32 exec_lo, exec_lo, s4
	s_and_saveexec_b32 s4, vcc_lo
	s_cbranch_execz .LBB222_1670
.LBB222_1669:
	ds_read_b32 v24, v24 offset:368
	s_waitcnt lgkmcnt(0)
	v_add_f32_e32 v23, v24, v23
.LBB222_1670:
	s_or_b32 exec_lo, exec_lo, s4
.LBB222_1671:
	s_or_b32 exec_lo, exec_lo, s5
	s_mov_b32 s4, exec_lo
	s_barrier
	buffer_gl0_inv
	v_cmpx_eq_u32_e32 0, v26
	s_cbranch_execz .LBB222_1673
; %bb.1672:
	s_clause 0x1
	buffer_load_dword v25, off, s[0:3], s32 offset:968
	buffer_load_dword v26, off, s[0:3], s32 offset:964
	s_and_b32 s5, 0xffff, s9
	s_mul_i32 s6, s14, 0x60
	s_cmp_lg_u32 s5, 0
	v_lshrrev_b32_e32 v24, 1, v69
	s_cselect_b32 s5, -1, 0
	s_cmp_lg_u32 s5, 0
	s_addc_u32 s5, s8, 0
	s_mul_i32 s7, s5, s10
	s_mul_i32 s10, s12, s5
	;; [unrolled: 1-line block ×3, first 2 shown]
	s_ashr_i32 s11, s10, 31
	s_mulk_i32 s8, 0x60
	s_ashr_i32 s7, s6, 31
	s_ashr_i32 s9, s8, 31
	s_lshl_b64 s[6:7], s[6:7], 2
	s_lshl_b64 s[8:9], s[8:9], 2
	s_waitcnt vmcnt(1)
	v_add_co_u32 v25, vcc_lo, v25, s8
	s_waitcnt vmcnt(0)
	v_add_co_ci_u32_e64 v26, null, s9, v26, vcc_lo
	s_lshl_b64 s[8:9], s[10:11], 2
	v_add_co_u32 v25, vcc_lo, v25, s8
	v_add_co_ci_u32_e64 v26, null, s9, v26, vcc_lo
	v_add_co_u32 v25, vcc_lo, v25, s6
	v_add_co_ci_u32_e64 v26, null, s7, v26, vcc_lo
	;; [unrolled: 2-line block ×3, first 2 shown]
	flat_store_dword v[24:25], v0
	flat_store_dword v[24:25], v1 offset:16
	flat_store_dword v[24:25], v2 offset:32
	;; [unrolled: 1-line block ×23, first 2 shown]
.LBB222_1673:
	s_or_b32 exec_lo, exec_lo, s4
	s_clause 0x2f
	buffer_load_dword v127, off, s[0:3], s32
	buffer_load_dword v126, off, s[0:3], s32 offset:4
	buffer_load_dword v125, off, s[0:3], s32 offset:8
	;; [unrolled: 1-line block ×47, first 2 shown]
	s_waitcnt vmcnt(0) lgkmcnt(0)
	s_setpc_b64 s[30:31]
.LBB222_1674:
	ds_read_b32 v26, v24
	s_waitcnt lgkmcnt(0)
	v_add_f32_e32 v0, v26, v0
	s_or_b32 exec_lo, exec_lo, s4
	s_and_saveexec_b32 s4, vcc_lo
	s_cbranch_execz .LBB222_1618
.LBB222_1675:
	ds_read_b32 v26, v24 offset:16
	s_waitcnt lgkmcnt(0)
	v_add_f32_e32 v1, v26, v1
	s_or_b32 exec_lo, exec_lo, s4
	s_and_saveexec_b32 s4, vcc_lo
	s_cbranch_execz .LBB222_1619
.LBB222_1676:
	ds_read_b32 v26, v24 offset:32
	s_waitcnt lgkmcnt(0)
	v_add_f32_e32 v2, v26, v2
	s_or_b32 exec_lo, exec_lo, s4
	s_and_saveexec_b32 s4, vcc_lo
	s_cbranch_execz .LBB222_1620
.LBB222_1677:
	ds_read_b32 v26, v24 offset:48
	s_waitcnt lgkmcnt(0)
	v_add_f32_e32 v3, v26, v3
	s_or_b32 exec_lo, exec_lo, s4
	s_and_saveexec_b32 s4, vcc_lo
	s_cbranch_execz .LBB222_1621
.LBB222_1678:
	ds_read_b32 v26, v24 offset:64
	s_waitcnt lgkmcnt(0)
	v_add_f32_e32 v4, v26, v4
	s_or_b32 exec_lo, exec_lo, s4
	s_and_saveexec_b32 s4, vcc_lo
	s_cbranch_execz .LBB222_1622
.LBB222_1679:
	ds_read_b32 v26, v24 offset:80
	s_waitcnt lgkmcnt(0)
	v_add_f32_e32 v5, v26, v5
	s_or_b32 exec_lo, exec_lo, s4
	s_and_saveexec_b32 s4, vcc_lo
	s_cbranch_execz .LBB222_1623
.LBB222_1680:
	ds_read_b32 v26, v24 offset:96
	s_waitcnt lgkmcnt(0)
	v_add_f32_e32 v6, v26, v6
	s_or_b32 exec_lo, exec_lo, s4
	s_and_saveexec_b32 s4, vcc_lo
	s_cbranch_execz .LBB222_1624
.LBB222_1681:
	ds_read_b32 v26, v24 offset:112
	s_waitcnt lgkmcnt(0)
	v_add_f32_e32 v7, v26, v7
	s_or_b32 exec_lo, exec_lo, s4
	s_and_saveexec_b32 s4, vcc_lo
	s_cbranch_execz .LBB222_1625
.LBB222_1682:
	ds_read_b32 v26, v24 offset:128
	s_waitcnt lgkmcnt(0)
	v_add_f32_e32 v8, v26, v8
	s_or_b32 exec_lo, exec_lo, s4
	s_and_saveexec_b32 s4, vcc_lo
	s_cbranch_execz .LBB222_1626
.LBB222_1683:
	ds_read_b32 v26, v24 offset:144
	s_waitcnt lgkmcnt(0)
	v_add_f32_e32 v9, v26, v9
	s_or_b32 exec_lo, exec_lo, s4
	s_and_saveexec_b32 s4, vcc_lo
	s_cbranch_execz .LBB222_1627
.LBB222_1684:
	ds_read_b32 v26, v24 offset:160
	s_waitcnt lgkmcnt(0)
	v_add_f32_e32 v10, v26, v10
	s_or_b32 exec_lo, exec_lo, s4
	s_and_saveexec_b32 s4, vcc_lo
	s_cbranch_execz .LBB222_1628
.LBB222_1685:
	ds_read_b32 v26, v24 offset:176
	s_waitcnt lgkmcnt(0)
	v_add_f32_e32 v11, v26, v11
	s_or_b32 exec_lo, exec_lo, s4
	s_and_saveexec_b32 s4, vcc_lo
	s_cbranch_execz .LBB222_1629
.LBB222_1686:
	ds_read_b32 v26, v24 offset:192
	s_waitcnt lgkmcnt(0)
	v_add_f32_e32 v12, v26, v12
	s_or_b32 exec_lo, exec_lo, s4
	s_and_saveexec_b32 s4, vcc_lo
	s_cbranch_execz .LBB222_1630
.LBB222_1687:
	ds_read_b32 v26, v24 offset:208
	s_waitcnt lgkmcnt(0)
	v_add_f32_e32 v13, v26, v13
	s_or_b32 exec_lo, exec_lo, s4
	s_and_saveexec_b32 s4, vcc_lo
	s_cbranch_execz .LBB222_1631
.LBB222_1688:
	ds_read_b32 v26, v24 offset:224
	s_waitcnt lgkmcnt(0)
	v_add_f32_e32 v14, v26, v14
	s_or_b32 exec_lo, exec_lo, s4
	s_and_saveexec_b32 s4, vcc_lo
	s_cbranch_execz .LBB222_1632
.LBB222_1689:
	ds_read_b32 v26, v24 offset:240
	s_waitcnt lgkmcnt(0)
	v_add_f32_e32 v15, v26, v15
	s_or_b32 exec_lo, exec_lo, s4
	s_and_saveexec_b32 s4, vcc_lo
	s_cbranch_execz .LBB222_1633
.LBB222_1690:
	ds_read_b32 v26, v24 offset:256
	s_waitcnt lgkmcnt(0)
	v_add_f32_e32 v16, v26, v16
	s_or_b32 exec_lo, exec_lo, s4
	s_and_saveexec_b32 s4, vcc_lo
	s_cbranch_execz .LBB222_1634
.LBB222_1691:
	ds_read_b32 v26, v24 offset:272
	s_waitcnt lgkmcnt(0)
	v_add_f32_e32 v17, v26, v17
	s_or_b32 exec_lo, exec_lo, s4
	s_and_saveexec_b32 s4, vcc_lo
	s_cbranch_execz .LBB222_1635
.LBB222_1692:
	ds_read_b32 v26, v24 offset:288
	s_waitcnt lgkmcnt(0)
	v_add_f32_e32 v18, v26, v18
	s_or_b32 exec_lo, exec_lo, s4
	s_and_saveexec_b32 s4, vcc_lo
	s_cbranch_execz .LBB222_1636
.LBB222_1693:
	ds_read_b32 v26, v24 offset:304
	s_waitcnt lgkmcnt(0)
	v_add_f32_e32 v19, v26, v19
	s_or_b32 exec_lo, exec_lo, s4
	s_and_saveexec_b32 s4, vcc_lo
	s_cbranch_execz .LBB222_1637
.LBB222_1694:
	ds_read_b32 v26, v24 offset:320
	s_waitcnt lgkmcnt(0)
	v_add_f32_e32 v20, v26, v20
	s_or_b32 exec_lo, exec_lo, s4
	s_and_saveexec_b32 s4, vcc_lo
	s_cbranch_execz .LBB222_1638
.LBB222_1695:
	ds_read_b32 v26, v24 offset:336
	s_waitcnt lgkmcnt(0)
	v_add_f32_e32 v21, v26, v21
	s_or_b32 exec_lo, exec_lo, s4
	s_and_saveexec_b32 s4, vcc_lo
	s_cbranch_execz .LBB222_1639
.LBB222_1696:
	ds_read_b32 v26, v24 offset:352
	s_waitcnt lgkmcnt(0)
	v_add_f32_e32 v22, v26, v22
	s_or_b32 exec_lo, exec_lo, s4
	s_and_saveexec_b32 s4, vcc_lo
	s_cbranch_execnz .LBB222_1640
	s_branch .LBB222_1641
.LBB222_1697:
	ds_read_b32 v25, v24
	s_waitcnt lgkmcnt(0)
	v_add_f32_e32 v0, v25, v0
	s_or_b32 exec_lo, exec_lo, s4
	s_and_saveexec_b32 s4, vcc_lo
	s_cbranch_execz .LBB222_1647
.LBB222_1698:
	ds_read_b32 v25, v24 offset:16
	s_waitcnt lgkmcnt(0)
	v_add_f32_e32 v1, v25, v1
	s_or_b32 exec_lo, exec_lo, s4
	s_and_saveexec_b32 s4, vcc_lo
	s_cbranch_execz .LBB222_1648
.LBB222_1699:
	ds_read_b32 v25, v24 offset:32
	s_waitcnt lgkmcnt(0)
	v_add_f32_e32 v2, v25, v2
	s_or_b32 exec_lo, exec_lo, s4
	s_and_saveexec_b32 s4, vcc_lo
	s_cbranch_execz .LBB222_1649
.LBB222_1700:
	ds_read_b32 v25, v24 offset:48
	s_waitcnt lgkmcnt(0)
	v_add_f32_e32 v3, v25, v3
	s_or_b32 exec_lo, exec_lo, s4
	s_and_saveexec_b32 s4, vcc_lo
	s_cbranch_execz .LBB222_1650
.LBB222_1701:
	ds_read_b32 v25, v24 offset:64
	s_waitcnt lgkmcnt(0)
	v_add_f32_e32 v4, v25, v4
	s_or_b32 exec_lo, exec_lo, s4
	s_and_saveexec_b32 s4, vcc_lo
	s_cbranch_execz .LBB222_1651
.LBB222_1702:
	ds_read_b32 v25, v24 offset:80
	s_waitcnt lgkmcnt(0)
	v_add_f32_e32 v5, v25, v5
	s_or_b32 exec_lo, exec_lo, s4
	s_and_saveexec_b32 s4, vcc_lo
	s_cbranch_execz .LBB222_1652
.LBB222_1703:
	ds_read_b32 v25, v24 offset:96
	s_waitcnt lgkmcnt(0)
	v_add_f32_e32 v6, v25, v6
	s_or_b32 exec_lo, exec_lo, s4
	s_and_saveexec_b32 s4, vcc_lo
	s_cbranch_execz .LBB222_1653
.LBB222_1704:
	ds_read_b32 v25, v24 offset:112
	s_waitcnt lgkmcnt(0)
	v_add_f32_e32 v7, v25, v7
	s_or_b32 exec_lo, exec_lo, s4
	s_and_saveexec_b32 s4, vcc_lo
	s_cbranch_execz .LBB222_1654
.LBB222_1705:
	ds_read_b32 v25, v24 offset:128
	s_waitcnt lgkmcnt(0)
	v_add_f32_e32 v8, v25, v8
	s_or_b32 exec_lo, exec_lo, s4
	s_and_saveexec_b32 s4, vcc_lo
	s_cbranch_execz .LBB222_1655
.LBB222_1706:
	ds_read_b32 v25, v24 offset:144
	s_waitcnt lgkmcnt(0)
	v_add_f32_e32 v9, v25, v9
	s_or_b32 exec_lo, exec_lo, s4
	s_and_saveexec_b32 s4, vcc_lo
	s_cbranch_execz .LBB222_1656
.LBB222_1707:
	ds_read_b32 v25, v24 offset:160
	s_waitcnt lgkmcnt(0)
	v_add_f32_e32 v10, v25, v10
	s_or_b32 exec_lo, exec_lo, s4
	s_and_saveexec_b32 s4, vcc_lo
	s_cbranch_execz .LBB222_1657
.LBB222_1708:
	ds_read_b32 v25, v24 offset:176
	s_waitcnt lgkmcnt(0)
	v_add_f32_e32 v11, v25, v11
	s_or_b32 exec_lo, exec_lo, s4
	s_and_saveexec_b32 s4, vcc_lo
	s_cbranch_execz .LBB222_1658
.LBB222_1709:
	ds_read_b32 v25, v24 offset:192
	s_waitcnt lgkmcnt(0)
	v_add_f32_e32 v12, v25, v12
	s_or_b32 exec_lo, exec_lo, s4
	s_and_saveexec_b32 s4, vcc_lo
	s_cbranch_execz .LBB222_1659
.LBB222_1710:
	ds_read_b32 v25, v24 offset:208
	s_waitcnt lgkmcnt(0)
	v_add_f32_e32 v13, v25, v13
	s_or_b32 exec_lo, exec_lo, s4
	s_and_saveexec_b32 s4, vcc_lo
	s_cbranch_execz .LBB222_1660
.LBB222_1711:
	ds_read_b32 v25, v24 offset:224
	s_waitcnt lgkmcnt(0)
	v_add_f32_e32 v14, v25, v14
	s_or_b32 exec_lo, exec_lo, s4
	s_and_saveexec_b32 s4, vcc_lo
	s_cbranch_execz .LBB222_1661
.LBB222_1712:
	ds_read_b32 v25, v24 offset:240
	s_waitcnt lgkmcnt(0)
	v_add_f32_e32 v15, v25, v15
	s_or_b32 exec_lo, exec_lo, s4
	s_and_saveexec_b32 s4, vcc_lo
	s_cbranch_execz .LBB222_1662
.LBB222_1713:
	ds_read_b32 v25, v24 offset:256
	s_waitcnt lgkmcnt(0)
	v_add_f32_e32 v16, v25, v16
	s_or_b32 exec_lo, exec_lo, s4
	s_and_saveexec_b32 s4, vcc_lo
	s_cbranch_execz .LBB222_1663
.LBB222_1714:
	ds_read_b32 v25, v24 offset:272
	s_waitcnt lgkmcnt(0)
	v_add_f32_e32 v17, v25, v17
	s_or_b32 exec_lo, exec_lo, s4
	s_and_saveexec_b32 s4, vcc_lo
	s_cbranch_execz .LBB222_1664
.LBB222_1715:
	ds_read_b32 v25, v24 offset:288
	s_waitcnt lgkmcnt(0)
	v_add_f32_e32 v18, v25, v18
	s_or_b32 exec_lo, exec_lo, s4
	s_and_saveexec_b32 s4, vcc_lo
	s_cbranch_execz .LBB222_1665
.LBB222_1716:
	ds_read_b32 v25, v24 offset:304
	s_waitcnt lgkmcnt(0)
	v_add_f32_e32 v19, v25, v19
	s_or_b32 exec_lo, exec_lo, s4
	s_and_saveexec_b32 s4, vcc_lo
	s_cbranch_execz .LBB222_1666
.LBB222_1717:
	ds_read_b32 v25, v24 offset:320
	s_waitcnt lgkmcnt(0)
	v_add_f32_e32 v20, v25, v20
	s_or_b32 exec_lo, exec_lo, s4
	s_and_saveexec_b32 s4, vcc_lo
	s_cbranch_execz .LBB222_1667
.LBB222_1718:
	ds_read_b32 v25, v24 offset:336
	s_waitcnt lgkmcnt(0)
	v_add_f32_e32 v21, v25, v21
	s_or_b32 exec_lo, exec_lo, s4
	s_and_saveexec_b32 s4, vcc_lo
	s_cbranch_execz .LBB222_1668
.LBB222_1719:
	ds_read_b32 v25, v24 offset:352
	s_waitcnt lgkmcnt(0)
	v_add_f32_e32 v22, v25, v22
	s_or_b32 exec_lo, exec_lo, s4
	s_and_saveexec_b32 s4, vcc_lo
	s_cbranch_execnz .LBB222_1669
	s_branch .LBB222_1670
.Lfunc_end222:
	.size	_ZN4vllm22paged_attention_kernelIfhLi96ELi32ELi128ELNS_18Fp8KVCacheDataTypeE1ELb0ELi0EEEvPfS2_PT_PKS3_PKT0_S9_ifPKiSB_iPKfiiiSD_SD_iiiii, .Lfunc_end222-_ZN4vllm22paged_attention_kernelIfhLi96ELi32ELi128ELNS_18Fp8KVCacheDataTypeE1ELb0ELi0EEEvPfS2_PT_PKS3_PKT0_S9_ifPKiSB_iPKfiiiSD_SD_iiiii
                                        ; -- End function
	.set .L_ZN4vllm22paged_attention_kernelIfhLi96ELi32ELi128ELNS_18Fp8KVCacheDataTypeE1ELb0ELi0EEEvPfS2_PT_PKS3_PKT0_S9_ifPKiSB_iPKfiiiSD_SD_iiiii.num_vgpr, 128
	.set .L_ZN4vllm22paged_attention_kernelIfhLi96ELi32ELi128ELNS_18Fp8KVCacheDataTypeE1ELb0ELi0EEEvPfS2_PT_PKS3_PKT0_S9_ifPKiSB_iPKfiiiSD_SD_iiiii.num_agpr, 0
	.set .L_ZN4vllm22paged_attention_kernelIfhLi96ELi32ELi128ELNS_18Fp8KVCacheDataTypeE1ELb0ELi0EEEvPfS2_PT_PKS3_PKT0_S9_ifPKiSB_iPKfiiiSD_SD_iiiii.numbered_sgpr, 33
	.set .L_ZN4vllm22paged_attention_kernelIfhLi96ELi32ELi128ELNS_18Fp8KVCacheDataTypeE1ELb0ELi0EEEvPfS2_PT_PKS3_PKT0_S9_ifPKiSB_iPKfiiiSD_SD_iiiii.num_named_barrier, 0
	.set .L_ZN4vllm22paged_attention_kernelIfhLi96ELi32ELi128ELNS_18Fp8KVCacheDataTypeE1ELb0ELi0EEEvPfS2_PT_PKS3_PKT0_S9_ifPKiSB_iPKfiiiSD_SD_iiiii.private_seg_size, 1024
	.set .L_ZN4vllm22paged_attention_kernelIfhLi96ELi32ELi128ELNS_18Fp8KVCacheDataTypeE1ELb0ELi0EEEvPfS2_PT_PKS3_PKT0_S9_ifPKiSB_iPKfiiiSD_SD_iiiii.uses_vcc, 1
	.set .L_ZN4vllm22paged_attention_kernelIfhLi96ELi32ELi128ELNS_18Fp8KVCacheDataTypeE1ELb0ELi0EEEvPfS2_PT_PKS3_PKT0_S9_ifPKiSB_iPKfiiiSD_SD_iiiii.uses_flat_scratch, 0
	.set .L_ZN4vllm22paged_attention_kernelIfhLi96ELi32ELi128ELNS_18Fp8KVCacheDataTypeE1ELb0ELi0EEEvPfS2_PT_PKS3_PKT0_S9_ifPKiSB_iPKfiiiSD_SD_iiiii.has_dyn_sized_stack, 0
	.set .L_ZN4vllm22paged_attention_kernelIfhLi96ELi32ELi128ELNS_18Fp8KVCacheDataTypeE1ELb0ELi0EEEvPfS2_PT_PKS3_PKT0_S9_ifPKiSB_iPKfiiiSD_SD_iiiii.has_recursion, 0
	.set .L_ZN4vllm22paged_attention_kernelIfhLi96ELi32ELi128ELNS_18Fp8KVCacheDataTypeE1ELb0ELi0EEEvPfS2_PT_PKS3_PKT0_S9_ifPKiSB_iPKfiiiSD_SD_iiiii.has_indirect_call, 0
	.section	.AMDGPU.csdata,"",@progbits
; Function info:
; codeLenInByte = 57680
; TotalNumSgprs: 35
; NumVgprs: 128
; ScratchSize: 1024
; MemoryBound: 0
	.section	.text._ZN4vllm25paged_attention_v1_kernelIfhLi96ELi32ELi128ELNS_18Fp8KVCacheDataTypeE1ELb0EEEvPT_PKS2_PKT0_S8_ifPKiSA_iPKfiiiSC_SC_iiiii,"axG",@progbits,_ZN4vllm25paged_attention_v1_kernelIfhLi96ELi32ELi128ELNS_18Fp8KVCacheDataTypeE1ELb0EEEvPT_PKS2_PKT0_S8_ifPKiSA_iPKfiiiSC_SC_iiiii,comdat
	.protected	_ZN4vllm25paged_attention_v1_kernelIfhLi96ELi32ELi128ELNS_18Fp8KVCacheDataTypeE1ELb0EEEvPT_PKS2_PKT0_S8_ifPKiSA_iPKfiiiSC_SC_iiiii ; -- Begin function _ZN4vllm25paged_attention_v1_kernelIfhLi96ELi32ELi128ELNS_18Fp8KVCacheDataTypeE1ELb0EEEvPT_PKS2_PKT0_S8_ifPKiSA_iPKfiiiSC_SC_iiiii
	.globl	_ZN4vllm25paged_attention_v1_kernelIfhLi96ELi32ELi128ELNS_18Fp8KVCacheDataTypeE1ELb0EEEvPT_PKS2_PKT0_S8_ifPKiSA_iPKfiiiSC_SC_iiiii
	.p2align	8
	.type	_ZN4vllm25paged_attention_v1_kernelIfhLi96ELi32ELi128ELNS_18Fp8KVCacheDataTypeE1ELb0EEEvPT_PKS2_PKT0_S8_ifPKiSA_iPKfiiiSC_SC_iiiii,@function
_ZN4vllm25paged_attention_v1_kernelIfhLi96ELi32ELi128ELNS_18Fp8KVCacheDataTypeE1ELb0EEEvPT_PKS2_PKT0_S8_ifPKiSA_iPKfiiiSC_SC_iiiii: ; @_ZN4vllm25paged_attention_v1_kernelIfhLi96ELi32ELi128ELNS_18Fp8KVCacheDataTypeE1ELb0EEEvPT_PKS2_PKT0_S8_ifPKiSA_iPKfiiiSC_SC_iiiii
; %bb.0:
	s_clause 0x5
	s_load_dwordx8 s[16:23], s[4:5], 0x0
	s_load_dwordx4 s[36:39], s[4:5], 0x20
	s_load_dwordx2 s[10:11], s[4:5], 0x30
	s_load_dword s13, s[4:5], 0x38
	s_load_dwordx2 s[34:35], s[4:5], 0x40
	s_load_dwordx8 s[24:31], s[4:5], 0x48
	s_add_u32 s0, s0, s9
	s_addc_u32 s1, s1, 0
	v_mov_b32_e32 v31, v0
	s_mov_b32 s14, s8
	s_add_u32 s8, s4, 0x80
	s_addc_u32 s9, s5, 0
	s_getpc_b64 s[4:5]
	s_add_u32 s4, s4, _ZN4vllm22paged_attention_kernelIfhLi96ELi32ELi128ELNS_18Fp8KVCacheDataTypeE1ELb0ELi0EEEvPfS2_PT_PKS3_PKT0_S9_ifPKiSB_iPKfiiiSD_SD_iiiii@rel32@lo+4
	s_addc_u32 s5, s5, _ZN4vllm22paged_attention_kernelIfhLi96ELi32ELi128ELNS_18Fp8KVCacheDataTypeE1ELb0ELi0EEEvPfS2_PT_PKS3_PKT0_S9_ifPKiSB_iPKfiiiSD_SD_iiiii@rel32@hi+12
	s_mov_b32 s12, s6
	s_mov_b32 s15, 32
	;; [unrolled: 1-line block ×3, first 2 shown]
	s_waitcnt lgkmcnt(0)
	v_mov_b32_e32 v0, s16
	v_mov_b32_e32 v1, s17
	;; [unrolled: 1-line block ×24, first 2 shown]
	s_mov_b32 s13, s7
	s_swappc_b64 s[30:31], s[4:5]
	s_endpgm
	.section	.rodata,"a",@progbits
	.p2align	6, 0x0
	.amdhsa_kernel _ZN4vllm25paged_attention_v1_kernelIfhLi96ELi32ELi128ELNS_18Fp8KVCacheDataTypeE1ELb0EEEvPT_PKS2_PKT0_S8_ifPKiSA_iPKfiiiSC_SC_iiiii
		.amdhsa_group_segment_fixed_size 416
		.amdhsa_private_segment_fixed_size 1024
		.amdhsa_kernarg_size 384
		.amdhsa_user_sgpr_count 6
		.amdhsa_user_sgpr_private_segment_buffer 1
		.amdhsa_user_sgpr_dispatch_ptr 0
		.amdhsa_user_sgpr_queue_ptr 0
		.amdhsa_user_sgpr_kernarg_segment_ptr 1
		.amdhsa_user_sgpr_dispatch_id 0
		.amdhsa_user_sgpr_flat_scratch_init 0
		.amdhsa_user_sgpr_private_segment_size 0
		.amdhsa_wavefront_size32 1
		.amdhsa_uses_dynamic_stack 0
		.amdhsa_system_sgpr_private_segment_wavefront_offset 1
		.amdhsa_system_sgpr_workgroup_id_x 1
		.amdhsa_system_sgpr_workgroup_id_y 1
		.amdhsa_system_sgpr_workgroup_id_z 1
		.amdhsa_system_sgpr_workgroup_info 0
		.amdhsa_system_vgpr_workitem_id 0
		.amdhsa_next_free_vgpr 128
		.amdhsa_next_free_sgpr 40
		.amdhsa_reserve_vcc 1
		.amdhsa_reserve_flat_scratch 0
		.amdhsa_float_round_mode_32 0
		.amdhsa_float_round_mode_16_64 0
		.amdhsa_float_denorm_mode_32 3
		.amdhsa_float_denorm_mode_16_64 3
		.amdhsa_dx10_clamp 1
		.amdhsa_ieee_mode 1
		.amdhsa_fp16_overflow 0
		.amdhsa_workgroup_processor_mode 1
		.amdhsa_memory_ordered 1
		.amdhsa_forward_progress 1
		.amdhsa_shared_vgpr_count 0
		.amdhsa_exception_fp_ieee_invalid_op 0
		.amdhsa_exception_fp_denorm_src 0
		.amdhsa_exception_fp_ieee_div_zero 0
		.amdhsa_exception_fp_ieee_overflow 0
		.amdhsa_exception_fp_ieee_underflow 0
		.amdhsa_exception_fp_ieee_inexact 0
		.amdhsa_exception_int_div_zero 0
	.end_amdhsa_kernel
	.section	.text._ZN4vllm25paged_attention_v1_kernelIfhLi96ELi32ELi128ELNS_18Fp8KVCacheDataTypeE1ELb0EEEvPT_PKS2_PKT0_S8_ifPKiSA_iPKfiiiSC_SC_iiiii,"axG",@progbits,_ZN4vllm25paged_attention_v1_kernelIfhLi96ELi32ELi128ELNS_18Fp8KVCacheDataTypeE1ELb0EEEvPT_PKS2_PKT0_S8_ifPKiSA_iPKfiiiSC_SC_iiiii,comdat
.Lfunc_end223:
	.size	_ZN4vllm25paged_attention_v1_kernelIfhLi96ELi32ELi128ELNS_18Fp8KVCacheDataTypeE1ELb0EEEvPT_PKS2_PKT0_S8_ifPKiSA_iPKfiiiSC_SC_iiiii, .Lfunc_end223-_ZN4vllm25paged_attention_v1_kernelIfhLi96ELi32ELi128ELNS_18Fp8KVCacheDataTypeE1ELb0EEEvPT_PKS2_PKT0_S8_ifPKiSA_iPKfiiiSC_SC_iiiii
                                        ; -- End function
	.set _ZN4vllm25paged_attention_v1_kernelIfhLi96ELi32ELi128ELNS_18Fp8KVCacheDataTypeE1ELb0EEEvPT_PKS2_PKT0_S8_ifPKiSA_iPKfiiiSC_SC_iiiii.num_vgpr, max(32, .L_ZN4vllm22paged_attention_kernelIfhLi96ELi32ELi128ELNS_18Fp8KVCacheDataTypeE1ELb0ELi0EEEvPfS2_PT_PKS3_PKT0_S9_ifPKiSB_iPKfiiiSD_SD_iiiii.num_vgpr)
	.set _ZN4vllm25paged_attention_v1_kernelIfhLi96ELi32ELi128ELNS_18Fp8KVCacheDataTypeE1ELb0EEEvPT_PKS2_PKT0_S8_ifPKiSA_iPKfiiiSC_SC_iiiii.num_agpr, max(0, .L_ZN4vllm22paged_attention_kernelIfhLi96ELi32ELi128ELNS_18Fp8KVCacheDataTypeE1ELb0ELi0EEEvPfS2_PT_PKS3_PKT0_S9_ifPKiSB_iPKfiiiSD_SD_iiiii.num_agpr)
	.set _ZN4vllm25paged_attention_v1_kernelIfhLi96ELi32ELi128ELNS_18Fp8KVCacheDataTypeE1ELb0EEEvPT_PKS2_PKT0_S8_ifPKiSA_iPKfiiiSC_SC_iiiii.numbered_sgpr, max(40, .L_ZN4vllm22paged_attention_kernelIfhLi96ELi32ELi128ELNS_18Fp8KVCacheDataTypeE1ELb0ELi0EEEvPfS2_PT_PKS3_PKT0_S9_ifPKiSB_iPKfiiiSD_SD_iiiii.numbered_sgpr)
	.set _ZN4vllm25paged_attention_v1_kernelIfhLi96ELi32ELi128ELNS_18Fp8KVCacheDataTypeE1ELb0EEEvPT_PKS2_PKT0_S8_ifPKiSA_iPKfiiiSC_SC_iiiii.num_named_barrier, max(0, .L_ZN4vllm22paged_attention_kernelIfhLi96ELi32ELi128ELNS_18Fp8KVCacheDataTypeE1ELb0ELi0EEEvPfS2_PT_PKS3_PKT0_S9_ifPKiSB_iPKfiiiSD_SD_iiiii.num_named_barrier)
	.set _ZN4vllm25paged_attention_v1_kernelIfhLi96ELi32ELi128ELNS_18Fp8KVCacheDataTypeE1ELb0EEEvPT_PKS2_PKT0_S8_ifPKiSA_iPKfiiiSC_SC_iiiii.private_seg_size, 0+max(.L_ZN4vllm22paged_attention_kernelIfhLi96ELi32ELi128ELNS_18Fp8KVCacheDataTypeE1ELb0ELi0EEEvPfS2_PT_PKS3_PKT0_S9_ifPKiSB_iPKfiiiSD_SD_iiiii.private_seg_size)
	.set _ZN4vllm25paged_attention_v1_kernelIfhLi96ELi32ELi128ELNS_18Fp8KVCacheDataTypeE1ELb0EEEvPT_PKS2_PKT0_S8_ifPKiSA_iPKfiiiSC_SC_iiiii.uses_vcc, or(1, .L_ZN4vllm22paged_attention_kernelIfhLi96ELi32ELi128ELNS_18Fp8KVCacheDataTypeE1ELb0ELi0EEEvPfS2_PT_PKS3_PKT0_S9_ifPKiSB_iPKfiiiSD_SD_iiiii.uses_vcc)
	.set _ZN4vllm25paged_attention_v1_kernelIfhLi96ELi32ELi128ELNS_18Fp8KVCacheDataTypeE1ELb0EEEvPT_PKS2_PKT0_S8_ifPKiSA_iPKfiiiSC_SC_iiiii.uses_flat_scratch, or(0, .L_ZN4vllm22paged_attention_kernelIfhLi96ELi32ELi128ELNS_18Fp8KVCacheDataTypeE1ELb0ELi0EEEvPfS2_PT_PKS3_PKT0_S9_ifPKiSB_iPKfiiiSD_SD_iiiii.uses_flat_scratch)
	.set _ZN4vllm25paged_attention_v1_kernelIfhLi96ELi32ELi128ELNS_18Fp8KVCacheDataTypeE1ELb0EEEvPT_PKS2_PKT0_S8_ifPKiSA_iPKfiiiSC_SC_iiiii.has_dyn_sized_stack, or(0, .L_ZN4vllm22paged_attention_kernelIfhLi96ELi32ELi128ELNS_18Fp8KVCacheDataTypeE1ELb0ELi0EEEvPfS2_PT_PKS3_PKT0_S9_ifPKiSB_iPKfiiiSD_SD_iiiii.has_dyn_sized_stack)
	.set _ZN4vllm25paged_attention_v1_kernelIfhLi96ELi32ELi128ELNS_18Fp8KVCacheDataTypeE1ELb0EEEvPT_PKS2_PKT0_S8_ifPKiSA_iPKfiiiSC_SC_iiiii.has_recursion, or(0, .L_ZN4vllm22paged_attention_kernelIfhLi96ELi32ELi128ELNS_18Fp8KVCacheDataTypeE1ELb0ELi0EEEvPfS2_PT_PKS3_PKT0_S9_ifPKiSB_iPKfiiiSD_SD_iiiii.has_recursion)
	.set _ZN4vllm25paged_attention_v1_kernelIfhLi96ELi32ELi128ELNS_18Fp8KVCacheDataTypeE1ELb0EEEvPT_PKS2_PKT0_S8_ifPKiSA_iPKfiiiSC_SC_iiiii.has_indirect_call, or(0, .L_ZN4vllm22paged_attention_kernelIfhLi96ELi32ELi128ELNS_18Fp8KVCacheDataTypeE1ELb0ELi0EEEvPfS2_PT_PKS3_PKT0_S9_ifPKiSB_iPKfiiiSD_SD_iiiii.has_indirect_call)
	.section	.AMDGPU.csdata,"",@progbits
; Kernel info:
; codeLenInByte = 224
; TotalNumSgprs: 42
; NumVgprs: 128
; ScratchSize: 1024
; MemoryBound: 0
; FloatMode: 240
; IeeeMode: 1
; LDSByteSize: 416 bytes/workgroup (compile time only)
; SGPRBlocks: 0
; VGPRBlocks: 15
; NumSGPRsForWavesPerEU: 42
; NumVGPRsForWavesPerEU: 128
; Occupancy: 8
; WaveLimiterHint : 1
; COMPUTE_PGM_RSRC2:SCRATCH_EN: 1
; COMPUTE_PGM_RSRC2:USER_SGPR: 6
; COMPUTE_PGM_RSRC2:TRAP_HANDLER: 0
; COMPUTE_PGM_RSRC2:TGID_X_EN: 1
; COMPUTE_PGM_RSRC2:TGID_Y_EN: 1
; COMPUTE_PGM_RSRC2:TGID_Z_EN: 1
; COMPUTE_PGM_RSRC2:TIDIG_COMP_CNT: 0
	.text
	.p2align	2                               ; -- Begin function _ZN4vllm22paged_attention_kernelIfhLi112ELi32ELi128ELNS_18Fp8KVCacheDataTypeE1ELb0ELi0EEEvPfS2_PT_PKS3_PKT0_S9_ifPKiSB_iPKfiiiSD_SD_iiiii
	.type	_ZN4vllm22paged_attention_kernelIfhLi112ELi32ELi128ELNS_18Fp8KVCacheDataTypeE1ELb0ELi0EEEvPfS2_PT_PKS3_PKT0_S9_ifPKiSB_iPKfiiiSD_SD_iiiii,@function
_ZN4vllm22paged_attention_kernelIfhLi112ELi32ELi128ELNS_18Fp8KVCacheDataTypeE1ELb0ELi0EEEvPfS2_PT_PKS3_PKT0_S9_ifPKiSB_iPKfiiiSD_SD_iiiii: ; @_ZN4vllm22paged_attention_kernelIfhLi112ELi32ELi128ELNS_18Fp8KVCacheDataTypeE1ELb0ELi0EEEvPfS2_PT_PKS3_PKT0_S9_ifPKiSB_iPKfiiiSD_SD_iiiii
; %bb.0:
	s_waitcnt vmcnt(0) expcnt(0) lgkmcnt(0)
	buffer_store_dword v40, off, s[0:3], s32 offset:188 ; 4-byte Folded Spill
	buffer_store_dword v41, off, s[0:3], s32 offset:184 ; 4-byte Folded Spill
	;; [unrolled: 1-line block ×47, first 2 shown]
	buffer_store_dword v127, off, s[0:3], s32 ; 4-byte Folded Spill
	s_mov_b32 s10, s13
	s_ashr_i32 s11, s13, 31
	buffer_store_dword v20, off, s[0:3], s32 offset:684 ; 4-byte Folded Spill
	buffer_store_dword v21, off, s[0:3], s32 offset:688 ; 4-byte Folded Spill
	;; [unrolled: 1-line block ×4, first 2 shown]
	s_lshl_b64 s[4:5], s[10:11], 2
	buffer_store_dword v1, off, s[0:3], s32 offset:1164 ; 4-byte Folded Spill
	buffer_store_dword v0, off, s[0:3], s32 offset:1168 ; 4-byte Folded Spill
	v_add_co_u32 v0, vcc_lo, v12, s4
	v_add_co_ci_u32_e64 v1, null, s5, v13, vcc_lo
	s_clause 0x1
	s_load_dword s4, s[8:9], 0x10
	s_load_dword s5, s[8:9], 0x0
	v_mov_b32_e32 v21, v6
	flat_load_dword v124, v[0:1]
	v_sub_nc_u32_e32 v0, 0, v8
	v_mov_b32_e32 v20, v7
	s_mov_b32 s16, s15
	v_max_i32_e32 v0, v8, v0
	v_cvt_f32_u32_e32 v1, v0
	v_sub_nc_u32_e32 v6, 0, v0
	v_rcp_iflag_f32_e32 v1, v1
	s_waitcnt lgkmcnt(0)
	s_lshr_b32 s4, s4, 16
	s_cmp_lg_u32 s4, 0
	s_cselect_b32 s4, -1, 0
	s_cmp_lg_u32 s4, 0
	s_addc_u32 s11, s5, 0
	v_mul_f32_e32 v1, 0x4f7ffffe, v1
	s_abs_i32 s4, s11
	s_mov_b32 s5, exec_lo
	v_cvt_u32_f32_e32 v1, v1
	v_mul_lo_u32 v6, v6, v1
	v_mul_hi_u32 v6, v1, v6
	v_add_nc_u32_e32 v1, v1, v6
	v_mul_hi_u32 v1, s4, v1
	v_mul_lo_u32 v6, v1, v0
	v_add_nc_u32_e32 v7, 1, v1
	v_sub_nc_u32_e32 v6, s4, v6
	s_abs_i32 s4, s12
	v_sub_nc_u32_e32 v9, v6, v0
	v_cmp_ge_u32_e32 vcc_lo, v6, v0
	v_cndmask_b32_e32 v1, v1, v7, vcc_lo
	v_cndmask_b32_e32 v6, v6, v9, vcc_lo
	v_xor_b32_e32 v7, s11, v8
	v_add_nc_u32_e32 v8, 1, v1
	v_cmp_ge_u32_e32 vcc_lo, v6, v0
	v_ashrrev_i32_e32 v7, 31, v7
	v_cndmask_b32_e32 v0, v1, v8, vcc_lo
	v_xor_b32_e32 v0, v0, v7
	v_sub_nc_u32_e32 v7, v0, v7
	v_sub_nc_u32_e32 v0, 0, v7
	v_max_i32_e32 v6, v7, v0
	v_cvt_f32_u32_e32 v0, v6
	v_sub_nc_u32_e32 v1, 0, v6
	v_rcp_iflag_f32_e32 v0, v0
	v_mul_f32_e32 v0, 0x4f7ffffe, v0
	v_cvt_u32_f32_e32 v0, v0
	v_mul_lo_u32 v1, v1, v0
	v_mul_hi_u32 v1, v0, v1
	v_add_nc_u32_e32 v0, v0, v1
	v_mad_u64_u32 v[0:1], null, s4, v0, 0
	v_mov_b32_e32 v0, 0
	buffer_store_dword v0, off, s[0:3], s32 offset:680 ; 4-byte Folded Spill
	v_cmpx_ne_u64_e32 0, v[15:16]
	s_cbranch_execz .LBB224_2
; %bb.1:
	s_ashr_i32 s13, s12, 31
	s_lshl_b64 s[6:7], s[12:13], 2
	v_add_co_u32 v8, vcc_lo, v15, s6
	v_add_co_ci_u32_e64 v9, null, s7, v16, vcc_lo
	flat_load_dword v0, v[8:9]
	s_waitcnt vmcnt(0) lgkmcnt(0)
	buffer_store_dword v0, off, s[0:3], s32 offset:680 ; 4-byte Folded Spill
.LBB224_2:
	s_or_b32 exec_lo, exec_lo, s5
	v_and_b32_e32 v12, 0x3ff, v31
	v_ashrrev_i32_e32 v0, 31, v7
	s_ashr_i32 s5, s12, 31
	s_mulk_i32 s12, 0x70
	s_mov_b32 s6, exec_lo
	v_cmpx_gt_u32_e32 28, v12
	s_cbranch_execz .LBB224_4
; %bb.3:
	v_mul_lo_u32 v7, v17, s10
	s_ashr_i32 s13, s12, 31
	v_lshlrev_b32_e32 v13, 4, v12
	s_lshl_b64 s[18:19], s[12:13], 2
	v_ashrrev_i32_e32 v8, 31, v7
	v_lshlrev_b64 v[7:8], 2, v[7:8]
	v_add_co_u32 v2, vcc_lo, v2, v7
	v_add_co_ci_u32_e64 v3, null, v3, v8, vcc_lo
	v_add_co_u32 v2, vcc_lo, v2, s18
	v_add_co_ci_u32_e64 v3, null, s19, v3, vcc_lo
	;; [unrolled: 2-line block ×3, first 2 shown]
	flat_load_dwordx4 v[15:18], v[2:3]
	s_waitcnt vmcnt(0) lgkmcnt(0)
	ds_write_b128 v13, v[15:18]
.LBB224_4:
	s_or_b32 exec_lo, exec_lo, s6
	v_mul_lo_u32 v2, v1, v6
	v_add_nc_u32_e32 v3, 1, v1
	v_xor_b32_e32 v8, s5, v0
	s_clause 0x1
	s_load_dword s6, s[8:9], 0x14
	s_load_dword s8, s[8:9], 0x8
	v_mul_lo_u32 v0, v14, s10
	buffer_store_dword v12, off, s[0:3], s32 offset:1152 ; 4-byte Folded Spill
	v_lshrrev_b32_e32 v9, 3, v12
	s_mov_b32 s7, exec_lo
	v_sub_nc_u32_e32 v2, s4, v2
	v_sub_nc_u32_e32 v7, v2, v6
	v_cmp_ge_u32_e32 vcc_lo, v2, v6
	v_cndmask_b32_e32 v1, v1, v3, vcc_lo
	v_cndmask_b32_e32 v2, v2, v7, vcc_lo
	s_waitcnt vmcnt(0)
	v_add_nc_u32_e32 v7, 31, v124
	v_add_nc_u32_e32 v3, 1, v1
	v_cmp_ge_u32_e32 vcc_lo, v2, v6
	v_ashrrev_i32_e32 v2, 31, v7
	v_lshrrev_b32_e32 v6, 5, v12
	v_cndmask_b32_e32 v1, v1, v3, vcc_lo
	v_lshrrev_b32_e32 v2, 27, v2
	v_xor_b32_e32 v1, v1, v8
	v_add_nc_u32_e32 v2, v7, v2
	v_mov_b32_e32 v7, 0xff7fffff
	v_sub_nc_u32_e32 v3, v1, v8
	v_ashrrev_i32_e32 v1, 31, v0
	v_mul_lo_u32 v15, v3, v19
	v_ashrrev_i32_e32 v3, 5, v2
	v_and_b32_e32 v2, 31, v12
	v_lshlrev_b64 v[13:14], 2, v[0:1]
	buffer_store_dword v6, off, s[0:3], s32 offset:1160 ; 4-byte Folded Spill
	buffer_store_dword v3, off, s[0:3], s32 offset:192 ; 4-byte Folded Spill
	v_cmp_ge_i32_e64 s4, v6, v3
	v_lshlrev_b32_e32 v16, 2, v2
	v_ashrrev_i32_e32 v12, 31, v15
	buffer_store_dword v2, off, s[0:3], s32 offset:1156 ; 4-byte Folded Spill
	s_waitcnt lgkmcnt(0)
	s_waitcnt_vscnt null, 0x0
	s_barrier
	buffer_gl0_inv
	v_cmpx_lt_i32_e64 v6, v3
	s_cbranch_execz .LBB224_904
; %bb.5:
	buffer_store_dword v21, off, s[0:3], s32 offset:1192 ; 4-byte Folded Spill
	buffer_store_dword v20, off, s[0:3], s32 offset:1188 ; 4-byte Folded Spill
	;; [unrolled: 1-line block ×5, first 2 shown]
	buffer_load_dword v3, off, s[0:3], s32 offset:1156 ; 4-byte Folded Reload
	v_add_co_u32 v0, vcc_lo, v4, v15
	v_add_co_ci_u32_e64 v1, null, v5, v12, vcc_lo
	v_mov_b32_e32 v17, 0
	buffer_store_dword v12, off, s[0:3], s32 offset:1212 ; 4-byte Folded Spill
	s_ashr_i32 s17, s16, 31
	v_mov_b32_e32 v125, 0x80
	s_lshl_b64 s[18:19], s[16:17], 2
	s_getpc_b64 s[20:21]
	s_add_u32 s20, s20, llvm.amdgcn.dynlds.offset.table@rel32@lo+4
	s_addc_u32 s21, s21, llvm.amdgcn.dynlds.offset.table@rel32@hi+12
	s_add_u32 s18, s20, s18
	s_addc_u32 s19, s21, s19
	v_bfrev_b32_e32 v105, 1
	v_mov_b32_e32 v95, 0x7f800001
	s_mov_b32 s9, 0
	s_waitcnt vmcnt(0)
	v_lshlrev_b32_e32 v2, 4, v3
	v_add_co_u32 v0, vcc_lo, v0, v2
	v_add_co_ci_u32_e64 v1, null, 0, v1, vcc_lo
	buffer_store_dword v0, off, s[0:3], s32 offset:696 ; 4-byte Folded Spill
	buffer_store_dword v1, off, s[0:3], s32 offset:700 ; 4-byte Folded Spill
	ds_read_b128 v[4:7], v17
	s_waitcnt lgkmcnt(0)
	buffer_store_dword v4, off, s[0:3], s32 offset:704 ; 4-byte Folded Spill
	buffer_store_dword v5, off, s[0:3], s32 offset:708 ; 4-byte Folded Spill
	buffer_store_dword v6, off, s[0:3], s32 offset:712 ; 4-byte Folded Spill
	buffer_store_dword v7, off, s[0:3], s32 offset:716 ; 4-byte Folded Spill
	ds_read_b128 v[4:7], v17 offset:16
	s_waitcnt lgkmcnt(0)
	buffer_store_dword v4, off, s[0:3], s32 offset:720 ; 4-byte Folded Spill
	buffer_store_dword v5, off, s[0:3], s32 offset:724 ; 4-byte Folded Spill
	buffer_store_dword v6, off, s[0:3], s32 offset:728 ; 4-byte Folded Spill
	buffer_store_dword v7, off, s[0:3], s32 offset:732 ; 4-byte Folded Spill
	ds_read_b128 v[4:7], v17 offset:32
	;; [unrolled: 6-line block ×24, first 2 shown]
	s_waitcnt lgkmcnt(0)
	buffer_store_dword v4, off, s[0:3], s32 offset:1088 ; 4-byte Folded Spill
	buffer_store_dword v5, off, s[0:3], s32 offset:1092 ; 4-byte Folded Spill
	;; [unrolled: 1-line block ×4, first 2 shown]
	buffer_load_dword v0, off, s[0:3], s32 offset:680 ; 4-byte Folded Reload
	ds_read_b128 v[4:7], v17 offset:400
	s_waitcnt lgkmcnt(0)
	buffer_store_dword v4, off, s[0:3], s32 offset:1104 ; 4-byte Folded Spill
	buffer_store_dword v5, off, s[0:3], s32 offset:1108 ; 4-byte Folded Spill
	buffer_store_dword v6, off, s[0:3], s32 offset:1112 ; 4-byte Folded Spill
	buffer_store_dword v7, off, s[0:3], s32 offset:1116 ; 4-byte Folded Spill
	ds_read_b128 v[4:7], v17 offset:416
	s_waitcnt lgkmcnt(0)
	buffer_store_dword v4, off, s[0:3], s32 offset:1120 ; 4-byte Folded Spill
	buffer_store_dword v5, off, s[0:3], s32 offset:1124 ; 4-byte Folded Spill
	buffer_store_dword v6, off, s[0:3], s32 offset:1128 ; 4-byte Folded Spill
	buffer_store_dword v7, off, s[0:3], s32 offset:1132 ; 4-byte Folded Spill
	;; [unrolled: 6-line block ×3, first 2 shown]
	s_load_dword s13, s[18:19], 0x0
	buffer_store_dword v9, off, s[0:3], s32 offset:1204 ; 4-byte Folded Spill
	v_mov_b32_e32 v7, 0xff7fffff
	s_waitcnt vmcnt(0)
	v_cmp_neq_f32_e32 vcc_lo, 0, v0
	v_and_b32_e32 v0, 0x7c, v9
	v_add_co_u32 v0, s5, v0, v13
	buffer_store_dword v13, off, s[0:3], s32 offset:1196 ; 4-byte Folded Spill
	buffer_store_dword v14, off, s[0:3], s32 offset:1200 ; 4-byte Folded Spill
	buffer_load_dword v86, off, s[0:3], s32 offset:1160 ; 4-byte Folded Reload
	buffer_store_dword v10, off, s[0:3], s32 offset:1176 ; 4-byte Folded Spill
	buffer_store_dword v11, off, s[0:3], s32 offset:1172 ; 4-byte Folded Spill
	buffer_store_dword v16, off, s[0:3], s32 offset:1216 ; 4-byte Folded Spill
	v_add_co_ci_u32_e64 v1, null, 0, v14, s5
	v_add_co_u32 v4, s5, v10, v0
	s_waitcnt vmcnt(0)
	v_lshl_or_b32 v0, v86, 7, v16
	v_add_co_ci_u32_e64 v5, null, v11, v1, s5
	v_lshl_or_b32 v10, v86, 5, v3
	s_waitcnt lgkmcnt(0)
	v_add_nc_u32_e32 v6, s13, v0
	s_branch .LBB224_10
.LBB224_6:                              ;   in Loop: Header=BB224_10 Depth=1
	s_or_b32 exec_lo, exec_lo, s18
	v_mov_b32_e32 v6, 24
	v_lshlrev_b32_e32 v16, 20, v16
	v_lshl_add_u32 v90, v90, 23, 0x3c000000
	v_lshlrev_b32_sdwa v91, v6, v120 dst_sel:DWORD dst_unused:UNUSED_PAD src0_sel:DWORD src1_sel:BYTE_3
	v_and_b32_e32 v91, 0x80000000, v91
	v_or3_b32 v91, v16, v91, v90
	v_mov_b32_e32 v90, v17
.LBB224_7:                              ;   in Loop: Header=BB224_10 Depth=1
	s_or_b32 exec_lo, exec_lo, s17
.LBB224_8:                              ;   in Loop: Header=BB224_10 Depth=1
	s_or_b32 exec_lo, exec_lo, s15
	v_mov_b32_e32 v6, v11
	v_mov_b32_e32 v86, v123
.LBB224_9:                              ;   in Loop: Header=BB224_10 Depth=1
	s_or_b32 exec_lo, exec_lo, s13
	v_or_b32_e32 v16, v79, v107
	v_or_b32_e32 v1, v1, v111
	;; [unrolled: 1-line block ×5, first 2 shown]
	v_mul_f32_e32 v11, v9, v16
	v_mul_f32_e32 v0, v9, v1
	v_or_b32_e32 v3, v3, v109
	v_or_b32_e32 v76, v7, v76
	;; [unrolled: 1-line block ×3, first 2 shown]
	buffer_store_dword v11, off, s[0:3], s32 offset:660 ; 4-byte Folded Spill
	v_mul_f32_e32 v11, v9, v78
	buffer_store_dword v0, off, s[0:3], s32 offset:664 ; 4-byte Folded Spill
	v_mul_f32_e32 v0, v9, v79
	v_mul_f32_e32 v78, v9, v8
	v_or_b32_e32 v8, v73, v93
	buffer_store_dword v11, off, s[0:3], s32 offset:668 ; 4-byte Folded Spill
	v_mul_f32_e32 v7, v9, v3
	buffer_store_dword v0, off, s[0:3], s32 offset:672 ; 4-byte Folded Spill
	v_or_b32_e32 v3, v35, v15
	v_mul_f32_e32 v0, v9, v8
	v_or_b32_e32 v13, v27, v13
	v_or_b32_e32 v36, v24, v36
	v_mul_f32_e32 v24, v9, v25
	v_or_b32_e32 v25, v51, v31
	buffer_store_dword v0, off, s[0:3], s32 offset:676 ; 4-byte Folded Spill
	s_clause 0x1
	buffer_load_dword v0, off, s[0:3], s32 offset:636
	buffer_load_dword v1, off, s[0:3], s32 offset:640
	v_or_b32_e32 v31, v2, v108
	v_mul_f32_e32 v8, v9, v3
	v_or_b32_e32 v15, v26, v12
	v_mul_f32_e32 v12, v9, v13
	v_or_b32_e32 v13, v19, v29
	v_or_b32_e32 v5, v21, v5
	;; [unrolled: 1-line block ×6, first 2 shown]
	v_mul_f32_e32 v4, v9, v5
	v_mul_f32_e32 v5, v9, v20
	v_or_b32_e32 v55, v55, v65
	v_or_b32_e32 v64, v54, v64
	;; [unrolled: 1-line block ×5, first 2 shown]
	v_mul_f32_e32 v54, v9, v55
	v_mul_f32_e32 v55, v9, v64
	v_or_b32_e32 v64, v66, v52
	v_mul_f32_e32 v52, v9, v53
	v_mul_f32_e32 v70, v9, v71
	v_or_b32_e32 v71, v99, v81
	v_or_b32_e32 v69, v83, v69
	v_mul_f32_e32 v53, v9, v64
	v_or_b32_e32 v81, v82, v68
	v_or_b32_e32 v87, v122, v101
	;; [unrolled: 1-line block ×3, first 2 shown]
	v_mul_f32_e32 v68, v9, v69
	v_or_b32_e32 v103, v103, v117
	v_mul_f32_e32 v69, v9, v81
	v_mul_f32_e32 v16, v9, v87
	v_or_b32_e32 v87, v115, v97
	v_or_b32_e32 v116, v102, v116
	v_mul_f32_e32 v102, v9, v103
	v_or_b32_e32 v103, v43, v113
	v_or_b32_e32 v96, v114, v96
	;; [unrolled: 1-line block ×7, first 2 shown]
	v_mul_f32_e32 v118, v9, v119
	v_or_b32_e32 v119, v59, v41
	v_or_b32_e32 v40, v58, v40
	v_mul_f32_e32 v46, v9, v47
	v_or_b32_e32 v47, v75, v57
	v_or_b32_e32 v56, v74, v56
	v_or_b32_e32 v72, v72, v92
	v_or_b32_e32 v48, v38, v48
	v_mul_f32_e32 v38, v9, v39
	v_or_b32_e32 v14, v34, v14
	v_or_b32_e32 v100, v121, v100
	;; [unrolled: 1-line block ×3, first 2 shown]
	v_mul_f32_e32 v39, v9, v48
	v_mul_f32_e32 v76, v9, v76
	v_mul_f32_e32 v72, v9, v72
	v_mul_f32_e32 v60, v9, v60
	v_mul_f32_e32 v29, v9, v11
	v_or_b32_e32 v11, v91, v89
	v_mul_f32_e32 v47, v9, v47
	v_mul_f32_e32 v56, v9, v56
	;; [unrolled: 1-line block ×22, first 2 shown]
	v_add_nc_u32_e32 v86, 4, v86
	s_waitcnt vmcnt(1)
	v_or_b32_e32 v22, v22, v0
	s_waitcnt vmcnt(0)
	v_or_b32_e32 v19, v23, v1
	s_clause 0x3
	buffer_load_dword v0, off, s[0:3], s32 offset:604
	buffer_load_dword v1, off, s[0:3], s32 offset:608
	buffer_load_dword v2, off, s[0:3], s32 offset:612
	buffer_load_dword v3, off, s[0:3], s32 offset:616
	v_mul_f32_e32 v22, v9, v22
	v_mul_f32_e32 v19, v9, v19
	s_waitcnt vmcnt(1)
	v_or_b32_e32 v21, v2, v0
	s_waitcnt vmcnt(0)
	v_or_b32_e32 v20, v3, v1
	s_clause 0x3
	buffer_load_dword v0, off, s[0:3], s32 offset:620
	buffer_load_dword v1, off, s[0:3], s32 offset:624
	buffer_load_dword v2, off, s[0:3], s32 offset:628
	buffer_load_dword v3, off, s[0:3], s32 offset:632
	v_mul_f32_e32 v23, v9, v21
	v_mul_f32_e32 v20, v9, v20
	;; [unrolled: 11-line block ×26, first 2 shown]
	s_waitcnt vmcnt(1)
	v_or_b32_e32 v28, v0, v2
	s_waitcnt vmcnt(0)
	v_or_b32_e32 v27, v1, v3
	s_clause 0x1
	buffer_load_dword v0, off, s[0:3], s32 offset:196
	buffer_load_dword v1, off, s[0:3], s32 offset:200
	v_mul_f32_e32 v121, v9, v28
	v_mul_f32_e32 v51, v9, v27
	s_waitcnt vmcnt(1)
	v_or_b32_e32 v28, v0, v126
	s_waitcnt vmcnt(0)
	v_or_b32_e32 v27, v1, v127
	s_clause 0x3
	buffer_load_dword v0, off, s[0:3], s32 offset:204
	buffer_load_dword v1, off, s[0:3], s32 offset:208
	;; [unrolled: 1-line block ×4, first 2 shown]
	v_mul_f32_e32 v123, v9, v28
	v_mul_f32_e32 v122, v9, v27
	s_waitcnt vmcnt(1)
	v_or_b32_e32 v28, v0, v2
	s_waitcnt vmcnt(0)
	v_or_b32_e32 v27, v1, v3
	v_mov_b32_e32 v0, v10
	v_mul_f32_e32 v127, v9, v28
	v_mul_f32_e32 v126, v9, v27
	v_sub_nc_u32_e32 v27, 1, v124
	v_or_b32_e32 v28, v90, v88
	v_cmp_lt_i32_e64 s5, v0, v124
	v_add_nc_u32_e32 v27, v27, v10
	buffer_load_dword v10, off, s[0:3], s32 offset:680 ; 4-byte Folded Reload
	v_mul_f32_e32 v28, v9, v28
	v_cvt_f32_i32_e32 v27, v27
	s_waitcnt vmcnt(0)
	v_mul_f32_e32 v10, v10, v27
	v_or_b32_e32 v27, v62, v32
	v_mul_f32_e32 v32, v9, v27
	v_mul_f32_e32 v27, v9, v11
	v_cndmask_b32_e32 v9, 0, v10, vcc_lo
	v_mov_b32_e32 v10, v0
	s_clause 0x7
	buffer_load_dword v0, off, s[0:3], s32 offset:720
	buffer_load_dword v1, off, s[0:3], s32 offset:724
	;; [unrolled: 1-line block ×8, first 2 shown]
	v_add_nc_u32_e32 v10, 0x80, v10
	s_waitcnt vmcnt(7)
	v_mul_f32_e32 v33, v0, v48
	s_waitcnt vmcnt(6)
	v_mul_f32_e32 v34, v1, v34
	;; [unrolled: 2-line block ×4, first 2 shown]
	s_clause 0x3
	buffer_load_dword v0, off, s[0:3], s32 offset:736
	buffer_load_dword v1, off, s[0:3], s32 offset:740
	;; [unrolled: 1-line block ×4, first 2 shown]
	s_waitcnt vmcnt(7)
	v_fmac_f32_e32 v33, v88, v123
	s_waitcnt vmcnt(6)
	v_fmac_f32_e32 v34, v89, v122
	;; [unrolled: 2-line block ×8, first 2 shown]
	s_clause 0x3
	buffer_load_dword v0, off, s[0:3], s32 offset:752
	buffer_load_dword v1, off, s[0:3], s32 offset:756
	buffer_load_dword v2, off, s[0:3], s32 offset:760
	buffer_load_dword v3, off, s[0:3], s32 offset:764
	s_waitcnt vmcnt(3)
	v_fmac_f32_e32 v33, v0, v106
	s_waitcnt vmcnt(2)
	v_fmac_f32_e32 v34, v1, v104
	s_waitcnt vmcnt(1)
	v_fmac_f32_e32 v48, v2, v108
	s_waitcnt vmcnt(0)
	v_fmac_f32_e32 v51, v3, v107
	s_clause 0x3
	buffer_load_dword v0, off, s[0:3], s32 offset:768
	buffer_load_dword v1, off, s[0:3], s32 offset:772
	buffer_load_dword v2, off, s[0:3], s32 offset:776
	buffer_load_dword v3, off, s[0:3], s32 offset:780
	s_waitcnt vmcnt(3)
	v_fmac_f32_e32 v33, v0, v93
	s_waitcnt vmcnt(2)
	v_fmac_f32_e32 v34, v1, v79
	s_waitcnt vmcnt(1)
	v_fmac_f32_e32 v48, v2, v94
	s_waitcnt vmcnt(0)
	v_fmac_f32_e32 v51, v3, v92
	;; [unrolled: 13-line block ×22, first 2 shown]
	s_clause 0x3
	buffer_load_dword v0, off, s[0:3], s32 offset:1104
	buffer_load_dword v1, off, s[0:3], s32 offset:1108
	;; [unrolled: 1-line block ×4, first 2 shown]
	s_waitcnt vmcnt(3)
	v_fmac_f32_e32 v33, v0, v76
	buffer_load_dword v0, off, s[0:3], s32 offset:676 ; 4-byte Folded Reload
	s_waitcnt vmcnt(3)
	v_fmac_f32_e32 v34, v1, v78
	s_waitcnt vmcnt(2)
	v_fmac_f32_e32 v48, v2, v72
	;; [unrolled: 2-line block ×3, first 2 shown]
	s_clause 0x4
	buffer_load_dword v0, off, s[0:3], s32 offset:1120
	buffer_load_dword v1, off, s[0:3], s32 offset:1124
	;; [unrolled: 1-line block ×5, first 2 shown]
	s_waitcnt vmcnt(0)
	v_fmac_f32_e32 v33, v0, v4
	buffer_load_dword v0, off, s[0:3], s32 offset:660 ; 4-byte Folded Reload
	s_waitcnt vmcnt(0)
	v_fmac_f32_e32 v34, v1, v0
	buffer_load_dword v0, off, s[0:3], s32 offset:672 ; 4-byte Folded Reload
	;; [unrolled: 3-line block ×3, first 2 shown]
	s_waitcnt vmcnt(0)
	v_fmac_f32_e32 v51, v3, v0
	s_clause 0x4
	buffer_load_dword v0, off, s[0:3], s32 offset:1136
	buffer_load_dword v1, off, s[0:3], s32 offset:1140
	;; [unrolled: 1-line block ×5, first 2 shown]
	s_waitcnt vmcnt(4)
	v_fmac_f32_e32 v33, v0, v32
	s_waitcnt vmcnt(3)
	v_fmac_f32_e32 v34, v1, v29
	buffer_load_dword v1, off, s[0:3], s32 offset:692 ; 4-byte Folded Reload
	s_waitcnt vmcnt(3)
	v_fmac_f32_e32 v48, v2, v28
	s_waitcnt vmcnt(2)
	v_fmac_f32_e32 v51, v3, v27
	v_add_f32_e32 v0, v33, v34
	v_add_f32_e32 v0, v48, v0
	;; [unrolled: 1-line block ×3, first 2 shown]
	s_waitcnt vmcnt(0)
	v_fmac_f32_e32 v9, v1, v0
	v_cndmask_b32_e64 v0, 0, v9, s5
	ds_write_b32 v6, v0
	v_max_f32_e32 v0, v7, v7
	s_clause 0x1
	buffer_load_dword v4, off, s[0:3], s32 offset:652
	buffer_load_dword v5, off, s[0:3], s32 offset:656
	v_add_nc_u32_e32 v6, 0x200, v6
	v_max_f32_e32 v0, v0, v9
	v_cndmask_b32_e64 v7, v7, v0, s5
	buffer_load_dword v0, off, s[0:3], s32 offset:192 ; 4-byte Folded Reload
	s_waitcnt vmcnt(2)
	v_add_co_u32 v4, s5, v4, 16
	s_waitcnt vmcnt(1)
	v_add_co_ci_u32_e64 v5, null, 0, v5, s5
	s_waitcnt vmcnt(0)
	v_cmp_ge_i32_e64 s5, v86, v0
	s_or_b32 s9, s5, s9
	s_andn2_b32 exec_lo, exec_lo, s9
	s_cbranch_execz .LBB224_903
.LBB224_10:                             ; =>This Inner Loop Header: Depth=1
	buffer_store_dword v7, off, s[0:3], s32 offset:648 ; 4-byte Folded Spill
	buffer_store_dword v4, off, s[0:3], s32 offset:652 ; 4-byte Folded Spill
	;; [unrolled: 1-line block ×3, first 2 shown]
	v_mov_b32_e32 v126, 0
	v_mov_b32_e32 v123, v86
	;; [unrolled: 1-line block ×4, first 2 shown]
	flat_load_dword v0, v[4:5]
	s_clause 0x2
	buffer_load_dword v1, off, s[0:3], s32 offset:644
	buffer_load_dword v2, off, s[0:3], s32 offset:696
	;; [unrolled: 1-line block ×3, first 2 shown]
	s_waitcnt vmcnt(0) lgkmcnt(0)
	v_mad_i64_i32 v[108:109], null, v0, v1, v[2:3]
	flat_load_dword v0, v[108:109]
	s_clause 0x1
	buffer_load_dword v1, off, s[0:3], s32 offset:684
	buffer_load_dword v2, off, s[0:3], s32 offset:688
	s_waitcnt vmcnt(2) lgkmcnt(0)
	v_cmp_ne_u16_sdwa s5, v0, v17 src0_sel:BYTE_0 src1_sel:DWORD
	s_waitcnt vmcnt(0)
	flat_load_dword v9, v[1:2]
	v_mov_b32_e32 v1, 0
	v_mov_b32_e32 v2, 0
	buffer_store_dword v1, off, s[0:3], s32 offset:196 ; 4-byte Folded Spill
	buffer_store_dword v2, off, s[0:3], s32 offset:200 ; 4-byte Folded Spill
	s_and_saveexec_b32 s13, s5
	s_cbranch_execz .LBB224_18
; %bb.11:                               ;   in Loop: Header=BB224_10 Depth=1
	v_bfrev_b32_e32 v126, 1
	v_mov_b32_e32 v127, 0
	v_cmp_ne_u16_sdwa s5, v0, v125 src0_sel:BYTE_0 src1_sel:DWORD
	s_and_saveexec_b32 s15, s5
	s_cbranch_execz .LBB224_17
; %bb.12:                               ;   in Loop: Header=BB224_10 Depth=1
	v_mov_b32_e32 v126, 0x7f800001
	v_and_b32_e32 v2, 0x7f, v0
	v_mov_b32_e32 v127, 0
	s_mov_b32 s17, exec_lo
	v_cmpx_ne_u32_e32 0x7f, v2
	s_cbranch_execz .LBB224_16
; %bb.13:                               ;   in Loop: Header=BB224_10 Depth=1
	v_and_b32_e32 v16, 7, v0
	v_lshrrev_b32_e32 v1, 3, v2
	s_mov_b32 s18, exec_lo
	v_cmpx_gt_u32_e32 8, v2
; %bb.14:                               ;   in Loop: Header=BB224_10 Depth=1
	v_ffbh_u32_e32 v1, v16
	v_min_u32_e32 v1, 32, v1
	v_subrev_nc_u32_e32 v2, 28, v1
	v_sub_nc_u32_e32 v1, 29, v1
	v_lshlrev_b64 v[2:3], v2, v[16:17]
	v_and_b32_e32 v16, 7, v2
; %bb.15:                               ;   in Loop: Header=BB224_10 Depth=1
	s_or_b32 exec_lo, exec_lo, s18
	v_lshlrev_b32_e32 v2, 24, v0
	v_lshlrev_b32_e32 v3, 20, v16
	v_lshl_add_u32 v1, v1, 23, 0x3c000000
	v_and_b32_e32 v2, 0x80000000, v2
	v_or3_b32 v16, v3, v2, v1
	v_mov_b32_e32 v127, v17
	v_mov_b32_e32 v126, v16
.LBB224_16:                             ;   in Loop: Header=BB224_10 Depth=1
	s_or_b32 exec_lo, exec_lo, s17
.LBB224_17:                             ;   in Loop: Header=BB224_10 Depth=1
	s_or_b32 exec_lo, exec_lo, s15
.LBB224_18:                             ;   in Loop: Header=BB224_10 Depth=1
	s_or_b32 exec_lo, exec_lo, s13
	v_cmp_ne_u16_sdwa s5, v0, v17 src0_sel:BYTE_1 src1_sel:DWORD
	s_and_saveexec_b32 s13, s5
	s_cbranch_execz .LBB224_26
; %bb.19:                               ;   in Loop: Header=BB224_10 Depth=1
	v_mov_b32_e32 v104, v17
	v_cmp_ne_u16_sdwa s5, v0, v125 src0_sel:BYTE_1 src1_sel:DWORD
	buffer_store_dword v104, off, s[0:3], s32 offset:196 ; 4-byte Folded Spill
	buffer_store_dword v105, off, s[0:3], s32 offset:200 ; 4-byte Folded Spill
	s_and_saveexec_b32 s15, s5
	s_cbranch_execz .LBB224_25
; %bb.20:                               ;   in Loop: Header=BB224_10 Depth=1
	v_mov_b32_e32 v1, 0xffff
	v_mov_b32_e32 v94, v17
	s_mov_b32 s17, exec_lo
	buffer_store_dword v94, off, s[0:3], s32 offset:196 ; 4-byte Folded Spill
	buffer_store_dword v95, off, s[0:3], s32 offset:200 ; 4-byte Folded Spill
	v_and_b32_sdwa v1, v1, v0 dst_sel:DWORD dst_unused:UNUSED_PAD src0_sel:DWORD src1_sel:BYTE_1
	v_and_b32_e32 v2, 0x7f, v1
	v_cmpx_ne_u32_e32 0x7f, v2
	s_cbranch_execz .LBB224_24
; %bb.21:                               ;   in Loop: Header=BB224_10 Depth=1
	v_and_b32_e32 v16, 7, v1
	v_lshrrev_b32_e32 v1, 3, v2
	s_mov_b32 s18, exec_lo
	v_cmpx_gt_u32_e32 8, v2
; %bb.22:                               ;   in Loop: Header=BB224_10 Depth=1
	v_ffbh_u32_e32 v1, v16
	v_min_u32_e32 v1, 32, v1
	v_subrev_nc_u32_e32 v2, 28, v1
	v_sub_nc_u32_e32 v1, 29, v1
	v_lshlrev_b64 v[2:3], v2, v[16:17]
	v_and_b32_e32 v16, 7, v2
; %bb.23:                               ;   in Loop: Header=BB224_10 Depth=1
	s_or_b32 exec_lo, exec_lo, s18
	v_lshlrev_b32_e32 v2, 16, v0
	v_lshlrev_b32_e32 v3, 20, v16
	v_lshl_add_u32 v1, v1, 23, 0x3c000000
	v_and_b32_e32 v2, 0x80000000, v2
	v_or3_b32 v2, v3, v2, v1
	v_mov_b32_e32 v1, v17
	buffer_store_dword v1, off, s[0:3], s32 offset:196 ; 4-byte Folded Spill
	buffer_store_dword v2, off, s[0:3], s32 offset:200 ; 4-byte Folded Spill
.LBB224_24:                             ;   in Loop: Header=BB224_10 Depth=1
	s_or_b32 exec_lo, exec_lo, s17
.LBB224_25:                             ;   in Loop: Header=BB224_10 Depth=1
	s_or_b32 exec_lo, exec_lo, s15
.LBB224_26:                             ;   in Loop: Header=BB224_10 Depth=1
	s_or_b32 exec_lo, exec_lo, s13
	v_mov_b32_e32 v2, 0
	v_mov_b32_e32 v3, 0
	;; [unrolled: 1-line block ×3, first 2 shown]
	s_mov_b32 s13, exec_lo
	buffer_store_dword v2, off, s[0:3], s32 offset:204 ; 4-byte Folded Spill
	buffer_store_dword v3, off, s[0:3], s32 offset:208 ; 4-byte Folded Spill
	v_mov_b32_e32 v2, 0
	v_and_b32_sdwa v1, v0, v1 dst_sel:DWORD dst_unused:UNUSED_PAD src0_sel:WORD_1 src1_sel:DWORD
	v_mov_b32_e32 v3, 0
	buffer_store_dword v2, off, s[0:3], s32 offset:212 ; 4-byte Folded Spill
	buffer_store_dword v3, off, s[0:3], s32 offset:216 ; 4-byte Folded Spill
	v_cmpx_ne_u16_e32 0, v1
	s_cbranch_execz .LBB224_34
; %bb.27:                               ;   in Loop: Header=BB224_10 Depth=1
	v_cmp_ne_u16_e64 s5, 0x80, v1
	v_bfrev_b32_e32 v1, 1
	v_mov_b32_e32 v2, 0
	buffer_store_dword v1, off, s[0:3], s32 offset:212 ; 4-byte Folded Spill
	buffer_store_dword v2, off, s[0:3], s32 offset:216 ; 4-byte Folded Spill
	s_and_saveexec_b32 s15, s5
	s_cbranch_execz .LBB224_33
; %bb.28:                               ;   in Loop: Header=BB224_10 Depth=1
	v_mov_b32_e32 v3, 0x7f800001
	v_bfe_u32 v2, v0, 16, 7
	v_mov_b32_e32 v4, 0
	s_mov_b32 s17, exec_lo
	buffer_store_dword v3, off, s[0:3], s32 offset:212 ; 4-byte Folded Spill
	buffer_store_dword v4, off, s[0:3], s32 offset:216 ; 4-byte Folded Spill
	v_cmpx_ne_u32_e32 0x7f, v2
	s_cbranch_execz .LBB224_32
; %bb.29:                               ;   in Loop: Header=BB224_10 Depth=1
	v_mov_b32_e32 v1, 7
	s_mov_b32 s18, exec_lo
	v_and_b32_sdwa v16, v0, v1 dst_sel:DWORD dst_unused:UNUSED_PAD src0_sel:WORD_1 src1_sel:DWORD
	v_lshrrev_b32_e32 v1, 3, v2
	v_cmpx_gt_u32_e32 8, v2
; %bb.30:                               ;   in Loop: Header=BB224_10 Depth=1
	v_ffbh_u32_e32 v1, v16
	v_min_u32_e32 v1, 32, v1
	v_subrev_nc_u32_e32 v2, 28, v1
	v_sub_nc_u32_e32 v1, 29, v1
	v_lshlrev_b64 v[2:3], v2, v[16:17]
	v_and_b32_e32 v16, 7, v2
; %bb.31:                               ;   in Loop: Header=BB224_10 Depth=1
	s_or_b32 exec_lo, exec_lo, s18
	v_mov_b32_e32 v2, 24
	v_lshlrev_b32_e32 v3, 20, v16
	v_lshl_add_u32 v1, v1, 23, 0x3c000000
	v_lshlrev_b32_sdwa v2, v2, v0 dst_sel:DWORD dst_unused:UNUSED_PAD src0_sel:DWORD src1_sel:WORD_1
	v_and_b32_e32 v2, 0x80000000, v2
	v_or3_b32 v16, v3, v2, v1
	buffer_store_dword v16, off, s[0:3], s32 offset:212 ; 4-byte Folded Spill
	buffer_store_dword v17, off, s[0:3], s32 offset:216 ; 4-byte Folded Spill
.LBB224_32:                             ;   in Loop: Header=BB224_10 Depth=1
	s_or_b32 exec_lo, exec_lo, s17
.LBB224_33:                             ;   in Loop: Header=BB224_10 Depth=1
	s_or_b32 exec_lo, exec_lo, s15
.LBB224_34:                             ;   in Loop: Header=BB224_10 Depth=1
	s_or_b32 exec_lo, exec_lo, s13
	s_mov_b32 s13, exec_lo
	v_cmpx_lt_u32_e32 0xffffff, v0
	s_cbranch_execz .LBB224_42
; %bb.35:                               ;   in Loop: Header=BB224_10 Depth=1
	v_mov_b32_e32 v104, v17
	v_cmp_ne_u32_sdwa s5, v0, v125 src0_sel:BYTE_3 src1_sel:DWORD
	buffer_store_dword v104, off, s[0:3], s32 offset:204 ; 4-byte Folded Spill
	buffer_store_dword v105, off, s[0:3], s32 offset:208 ; 4-byte Folded Spill
	s_and_saveexec_b32 s15, s5
	s_cbranch_execz .LBB224_41
; %bb.36:                               ;   in Loop: Header=BB224_10 Depth=1
	v_bfe_u32 v2, v0, 24, 7
	v_mov_b32_e32 v94, v17
	s_mov_b32 s17, exec_lo
	buffer_store_dword v94, off, s[0:3], s32 offset:204 ; 4-byte Folded Spill
	buffer_store_dword v95, off, s[0:3], s32 offset:208 ; 4-byte Folded Spill
	v_cmpx_ne_u32_e32 0x7f, v2
	s_cbranch_execz .LBB224_40
; %bb.37:                               ;   in Loop: Header=BB224_10 Depth=1
	v_mov_b32_e32 v1, 7
	s_mov_b32 s18, exec_lo
	v_and_b32_sdwa v16, v0, v1 dst_sel:DWORD dst_unused:UNUSED_PAD src0_sel:BYTE_3 src1_sel:DWORD
	v_lshrrev_b32_e32 v1, 3, v2
	v_cmpx_gt_u32_e32 8, v2
; %bb.38:                               ;   in Loop: Header=BB224_10 Depth=1
	v_ffbh_u32_e32 v1, v16
	v_min_u32_e32 v1, 32, v1
	v_subrev_nc_u32_e32 v2, 28, v1
	v_sub_nc_u32_e32 v1, 29, v1
	v_lshlrev_b64 v[2:3], v2, v[16:17]
	v_and_b32_e32 v16, 7, v2
; %bb.39:                               ;   in Loop: Header=BB224_10 Depth=1
	s_or_b32 exec_lo, exec_lo, s18
	v_mov_b32_e32 v2, 24
	v_lshl_add_u32 v1, v1, 23, 0x3c000000
	v_lshlrev_b32_sdwa v0, v2, v0 dst_sel:DWORD dst_unused:UNUSED_PAD src0_sel:DWORD src1_sel:BYTE_3
	v_lshlrev_b32_e32 v2, 20, v16
	v_and_b32_e32 v0, 0x80000000, v0
	v_or3_b32 v1, v2, v0, v1
	v_mov_b32_e32 v0, v17
	buffer_store_dword v0, off, s[0:3], s32 offset:204 ; 4-byte Folded Spill
	buffer_store_dword v1, off, s[0:3], s32 offset:208 ; 4-byte Folded Spill
.LBB224_40:                             ;   in Loop: Header=BB224_10 Depth=1
	s_or_b32 exec_lo, exec_lo, s17
.LBB224_41:                             ;   in Loop: Header=BB224_10 Depth=1
	s_or_b32 exec_lo, exec_lo, s15
.LBB224_42:                             ;   in Loop: Header=BB224_10 Depth=1
	s_or_b32 exec_lo, exec_lo, s13
	flat_load_dword v0, v[108:109] offset:4
	v_mov_b32_e32 v1, 0
	v_mov_b32_e32 v2, 0
	buffer_store_dword v1, off, s[0:3], s32 offset:228 ; 4-byte Folded Spill
	buffer_store_dword v2, off, s[0:3], s32 offset:232 ; 4-byte Folded Spill
	v_mov_b32_e32 v1, 0
	v_mov_b32_e32 v2, 0
	buffer_store_dword v1, off, s[0:3], s32 offset:220 ; 4-byte Folded Spill
	buffer_store_dword v2, off, s[0:3], s32 offset:224 ; 4-byte Folded Spill
	s_waitcnt vmcnt(0) lgkmcnt(0)
	v_cmp_ne_u16_sdwa s5, v0, v17 src0_sel:BYTE_0 src1_sel:DWORD
	s_and_saveexec_b32 s13, s5
	s_cbranch_execz .LBB224_50
; %bb.43:                               ;   in Loop: Header=BB224_10 Depth=1
	v_bfrev_b32_e32 v1, 1
	v_mov_b32_e32 v2, 0
	v_cmp_ne_u16_sdwa s5, v0, v125 src0_sel:BYTE_0 src1_sel:DWORD
	buffer_store_dword v1, off, s[0:3], s32 offset:220 ; 4-byte Folded Spill
	buffer_store_dword v2, off, s[0:3], s32 offset:224 ; 4-byte Folded Spill
	s_and_saveexec_b32 s15, s5
	s_cbranch_execz .LBB224_49
; %bb.44:                               ;   in Loop: Header=BB224_10 Depth=1
	v_mov_b32_e32 v3, 0x7f800001
	v_and_b32_e32 v2, 0x7f, v0
	v_mov_b32_e32 v4, 0
	s_mov_b32 s17, exec_lo
	buffer_store_dword v3, off, s[0:3], s32 offset:220 ; 4-byte Folded Spill
	buffer_store_dword v4, off, s[0:3], s32 offset:224 ; 4-byte Folded Spill
	v_cmpx_ne_u32_e32 0x7f, v2
	s_cbranch_execz .LBB224_48
; %bb.45:                               ;   in Loop: Header=BB224_10 Depth=1
	v_and_b32_e32 v16, 7, v0
	v_lshrrev_b32_e32 v1, 3, v2
	s_mov_b32 s18, exec_lo
	v_cmpx_gt_u32_e32 8, v2
; %bb.46:                               ;   in Loop: Header=BB224_10 Depth=1
	v_ffbh_u32_e32 v1, v16
	v_min_u32_e32 v1, 32, v1
	v_subrev_nc_u32_e32 v2, 28, v1
	v_sub_nc_u32_e32 v1, 29, v1
	v_lshlrev_b64 v[2:3], v2, v[16:17]
	v_and_b32_e32 v16, 7, v2
; %bb.47:                               ;   in Loop: Header=BB224_10 Depth=1
	s_or_b32 exec_lo, exec_lo, s18
	v_lshlrev_b32_e32 v2, 24, v0
	v_lshlrev_b32_e32 v3, 20, v16
	v_lshl_add_u32 v1, v1, 23, 0x3c000000
	v_and_b32_e32 v2, 0x80000000, v2
	v_or3_b32 v16, v3, v2, v1
	buffer_store_dword v16, off, s[0:3], s32 offset:220 ; 4-byte Folded Spill
	buffer_store_dword v17, off, s[0:3], s32 offset:224 ; 4-byte Folded Spill
.LBB224_48:                             ;   in Loop: Header=BB224_10 Depth=1
	s_or_b32 exec_lo, exec_lo, s17
.LBB224_49:                             ;   in Loop: Header=BB224_10 Depth=1
	s_or_b32 exec_lo, exec_lo, s15
.LBB224_50:                             ;   in Loop: Header=BB224_10 Depth=1
	s_or_b32 exec_lo, exec_lo, s13
	v_cmp_ne_u16_sdwa s5, v0, v17 src0_sel:BYTE_1 src1_sel:DWORD
	s_and_saveexec_b32 s13, s5
	s_cbranch_execz .LBB224_58
; %bb.51:                               ;   in Loop: Header=BB224_10 Depth=1
	v_mov_b32_e32 v104, v17
	v_cmp_ne_u16_sdwa s5, v0, v125 src0_sel:BYTE_1 src1_sel:DWORD
	buffer_store_dword v104, off, s[0:3], s32 offset:228 ; 4-byte Folded Spill
	buffer_store_dword v105, off, s[0:3], s32 offset:232 ; 4-byte Folded Spill
	s_and_saveexec_b32 s15, s5
	s_cbranch_execz .LBB224_57
; %bb.52:                               ;   in Loop: Header=BB224_10 Depth=1
	v_mov_b32_e32 v1, 0xffff
	v_mov_b32_e32 v94, v17
	s_mov_b32 s17, exec_lo
	buffer_store_dword v94, off, s[0:3], s32 offset:228 ; 4-byte Folded Spill
	buffer_store_dword v95, off, s[0:3], s32 offset:232 ; 4-byte Folded Spill
	v_and_b32_sdwa v1, v1, v0 dst_sel:DWORD dst_unused:UNUSED_PAD src0_sel:DWORD src1_sel:BYTE_1
	v_and_b32_e32 v2, 0x7f, v1
	v_cmpx_ne_u32_e32 0x7f, v2
	s_cbranch_execz .LBB224_56
; %bb.53:                               ;   in Loop: Header=BB224_10 Depth=1
	v_and_b32_e32 v16, 7, v1
	v_lshrrev_b32_e32 v1, 3, v2
	s_mov_b32 s18, exec_lo
	v_cmpx_gt_u32_e32 8, v2
; %bb.54:                               ;   in Loop: Header=BB224_10 Depth=1
	v_ffbh_u32_e32 v1, v16
	v_min_u32_e32 v1, 32, v1
	v_subrev_nc_u32_e32 v2, 28, v1
	v_sub_nc_u32_e32 v1, 29, v1
	v_lshlrev_b64 v[2:3], v2, v[16:17]
	v_and_b32_e32 v16, 7, v2
; %bb.55:                               ;   in Loop: Header=BB224_10 Depth=1
	s_or_b32 exec_lo, exec_lo, s18
	v_lshlrev_b32_e32 v2, 16, v0
	v_lshlrev_b32_e32 v3, 20, v16
	v_lshl_add_u32 v1, v1, 23, 0x3c000000
	v_and_b32_e32 v2, 0x80000000, v2
	v_or3_b32 v2, v3, v2, v1
	v_mov_b32_e32 v1, v17
	buffer_store_dword v1, off, s[0:3], s32 offset:228 ; 4-byte Folded Spill
	buffer_store_dword v2, off, s[0:3], s32 offset:232 ; 4-byte Folded Spill
.LBB224_56:                             ;   in Loop: Header=BB224_10 Depth=1
	s_or_b32 exec_lo, exec_lo, s17
.LBB224_57:                             ;   in Loop: Header=BB224_10 Depth=1
	s_or_b32 exec_lo, exec_lo, s15
.LBB224_58:                             ;   in Loop: Header=BB224_10 Depth=1
	s_or_b32 exec_lo, exec_lo, s13
	v_mov_b32_e32 v2, 0
	v_mov_b32_e32 v3, 0
	;; [unrolled: 1-line block ×3, first 2 shown]
	s_mov_b32 s13, exec_lo
	buffer_store_dword v2, off, s[0:3], s32 offset:236 ; 4-byte Folded Spill
	buffer_store_dword v3, off, s[0:3], s32 offset:240 ; 4-byte Folded Spill
	v_mov_b32_e32 v2, 0
	v_and_b32_sdwa v1, v0, v1 dst_sel:DWORD dst_unused:UNUSED_PAD src0_sel:WORD_1 src1_sel:DWORD
	v_mov_b32_e32 v3, 0
	buffer_store_dword v2, off, s[0:3], s32 offset:244 ; 4-byte Folded Spill
	buffer_store_dword v3, off, s[0:3], s32 offset:248 ; 4-byte Folded Spill
	v_cmpx_ne_u16_e32 0, v1
	s_cbranch_execz .LBB224_66
; %bb.59:                               ;   in Loop: Header=BB224_10 Depth=1
	v_cmp_ne_u16_e64 s5, 0x80, v1
	v_bfrev_b32_e32 v1, 1
	v_mov_b32_e32 v2, 0
	buffer_store_dword v1, off, s[0:3], s32 offset:244 ; 4-byte Folded Spill
	buffer_store_dword v2, off, s[0:3], s32 offset:248 ; 4-byte Folded Spill
	s_and_saveexec_b32 s15, s5
	s_cbranch_execz .LBB224_65
; %bb.60:                               ;   in Loop: Header=BB224_10 Depth=1
	v_mov_b32_e32 v3, 0x7f800001
	v_bfe_u32 v2, v0, 16, 7
	v_mov_b32_e32 v4, 0
	s_mov_b32 s17, exec_lo
	buffer_store_dword v3, off, s[0:3], s32 offset:244 ; 4-byte Folded Spill
	buffer_store_dword v4, off, s[0:3], s32 offset:248 ; 4-byte Folded Spill
	v_cmpx_ne_u32_e32 0x7f, v2
	s_cbranch_execz .LBB224_64
; %bb.61:                               ;   in Loop: Header=BB224_10 Depth=1
	v_mov_b32_e32 v1, 7
	s_mov_b32 s18, exec_lo
	v_and_b32_sdwa v16, v0, v1 dst_sel:DWORD dst_unused:UNUSED_PAD src0_sel:WORD_1 src1_sel:DWORD
	v_lshrrev_b32_e32 v1, 3, v2
	v_cmpx_gt_u32_e32 8, v2
; %bb.62:                               ;   in Loop: Header=BB224_10 Depth=1
	v_ffbh_u32_e32 v1, v16
	v_min_u32_e32 v1, 32, v1
	v_subrev_nc_u32_e32 v2, 28, v1
	v_sub_nc_u32_e32 v1, 29, v1
	v_lshlrev_b64 v[2:3], v2, v[16:17]
	v_and_b32_e32 v16, 7, v2
; %bb.63:                               ;   in Loop: Header=BB224_10 Depth=1
	s_or_b32 exec_lo, exec_lo, s18
	v_mov_b32_e32 v2, 24
	v_lshlrev_b32_e32 v3, 20, v16
	v_lshl_add_u32 v1, v1, 23, 0x3c000000
	v_lshlrev_b32_sdwa v2, v2, v0 dst_sel:DWORD dst_unused:UNUSED_PAD src0_sel:DWORD src1_sel:WORD_1
	v_and_b32_e32 v2, 0x80000000, v2
	v_or3_b32 v16, v3, v2, v1
	buffer_store_dword v16, off, s[0:3], s32 offset:244 ; 4-byte Folded Spill
	buffer_store_dword v17, off, s[0:3], s32 offset:248 ; 4-byte Folded Spill
.LBB224_64:                             ;   in Loop: Header=BB224_10 Depth=1
	s_or_b32 exec_lo, exec_lo, s17
.LBB224_65:                             ;   in Loop: Header=BB224_10 Depth=1
	s_or_b32 exec_lo, exec_lo, s15
.LBB224_66:                             ;   in Loop: Header=BB224_10 Depth=1
	s_or_b32 exec_lo, exec_lo, s13
	s_mov_b32 s13, exec_lo
	v_cmpx_lt_u32_e32 0xffffff, v0
	s_cbranch_execz .LBB224_74
; %bb.67:                               ;   in Loop: Header=BB224_10 Depth=1
	v_mov_b32_e32 v104, v17
	v_cmp_ne_u32_sdwa s5, v0, v125 src0_sel:BYTE_3 src1_sel:DWORD
	buffer_store_dword v104, off, s[0:3], s32 offset:236 ; 4-byte Folded Spill
	buffer_store_dword v105, off, s[0:3], s32 offset:240 ; 4-byte Folded Spill
	s_and_saveexec_b32 s15, s5
	s_cbranch_execz .LBB224_73
; %bb.68:                               ;   in Loop: Header=BB224_10 Depth=1
	v_bfe_u32 v2, v0, 24, 7
	v_mov_b32_e32 v94, v17
	s_mov_b32 s17, exec_lo
	buffer_store_dword v94, off, s[0:3], s32 offset:236 ; 4-byte Folded Spill
	buffer_store_dword v95, off, s[0:3], s32 offset:240 ; 4-byte Folded Spill
	v_cmpx_ne_u32_e32 0x7f, v2
	s_cbranch_execz .LBB224_72
; %bb.69:                               ;   in Loop: Header=BB224_10 Depth=1
	v_mov_b32_e32 v1, 7
	s_mov_b32 s18, exec_lo
	v_and_b32_sdwa v16, v0, v1 dst_sel:DWORD dst_unused:UNUSED_PAD src0_sel:BYTE_3 src1_sel:DWORD
	v_lshrrev_b32_e32 v1, 3, v2
	v_cmpx_gt_u32_e32 8, v2
; %bb.70:                               ;   in Loop: Header=BB224_10 Depth=1
	v_ffbh_u32_e32 v1, v16
	v_min_u32_e32 v1, 32, v1
	v_subrev_nc_u32_e32 v2, 28, v1
	v_sub_nc_u32_e32 v1, 29, v1
	v_lshlrev_b64 v[2:3], v2, v[16:17]
	v_and_b32_e32 v16, 7, v2
; %bb.71:                               ;   in Loop: Header=BB224_10 Depth=1
	s_or_b32 exec_lo, exec_lo, s18
	v_mov_b32_e32 v2, 24
	v_lshl_add_u32 v1, v1, 23, 0x3c000000
	v_lshlrev_b32_sdwa v0, v2, v0 dst_sel:DWORD dst_unused:UNUSED_PAD src0_sel:DWORD src1_sel:BYTE_3
	v_lshlrev_b32_e32 v2, 20, v16
	v_and_b32_e32 v0, 0x80000000, v0
	v_or3_b32 v1, v2, v0, v1
	v_mov_b32_e32 v0, v17
	buffer_store_dword v0, off, s[0:3], s32 offset:236 ; 4-byte Folded Spill
	buffer_store_dword v1, off, s[0:3], s32 offset:240 ; 4-byte Folded Spill
.LBB224_72:                             ;   in Loop: Header=BB224_10 Depth=1
	s_or_b32 exec_lo, exec_lo, s17
.LBB224_73:                             ;   in Loop: Header=BB224_10 Depth=1
	s_or_b32 exec_lo, exec_lo, s15
.LBB224_74:                             ;   in Loop: Header=BB224_10 Depth=1
	s_or_b32 exec_lo, exec_lo, s13
	flat_load_dword v0, v[108:109] offset:8
	v_mov_b32_e32 v1, 0
	v_mov_b32_e32 v2, 0
	buffer_store_dword v1, off, s[0:3], s32 offset:260 ; 4-byte Folded Spill
	buffer_store_dword v2, off, s[0:3], s32 offset:264 ; 4-byte Folded Spill
	v_mov_b32_e32 v1, 0
	v_mov_b32_e32 v2, 0
	buffer_store_dword v1, off, s[0:3], s32 offset:252 ; 4-byte Folded Spill
	buffer_store_dword v2, off, s[0:3], s32 offset:256 ; 4-byte Folded Spill
	s_waitcnt vmcnt(0) lgkmcnt(0)
	v_cmp_ne_u16_sdwa s5, v0, v17 src0_sel:BYTE_0 src1_sel:DWORD
	s_and_saveexec_b32 s13, s5
	s_cbranch_execz .LBB224_82
; %bb.75:                               ;   in Loop: Header=BB224_10 Depth=1
	v_bfrev_b32_e32 v1, 1
	v_mov_b32_e32 v2, 0
	v_cmp_ne_u16_sdwa s5, v0, v125 src0_sel:BYTE_0 src1_sel:DWORD
	buffer_store_dword v1, off, s[0:3], s32 offset:252 ; 4-byte Folded Spill
	buffer_store_dword v2, off, s[0:3], s32 offset:256 ; 4-byte Folded Spill
	s_and_saveexec_b32 s15, s5
	s_cbranch_execz .LBB224_81
; %bb.76:                               ;   in Loop: Header=BB224_10 Depth=1
	v_mov_b32_e32 v3, 0x7f800001
	v_and_b32_e32 v2, 0x7f, v0
	v_mov_b32_e32 v4, 0
	s_mov_b32 s17, exec_lo
	buffer_store_dword v3, off, s[0:3], s32 offset:252 ; 4-byte Folded Spill
	buffer_store_dword v4, off, s[0:3], s32 offset:256 ; 4-byte Folded Spill
	v_cmpx_ne_u32_e32 0x7f, v2
	s_cbranch_execz .LBB224_80
; %bb.77:                               ;   in Loop: Header=BB224_10 Depth=1
	v_and_b32_e32 v16, 7, v0
	v_lshrrev_b32_e32 v1, 3, v2
	s_mov_b32 s18, exec_lo
	v_cmpx_gt_u32_e32 8, v2
; %bb.78:                               ;   in Loop: Header=BB224_10 Depth=1
	v_ffbh_u32_e32 v1, v16
	v_min_u32_e32 v1, 32, v1
	v_subrev_nc_u32_e32 v2, 28, v1
	v_sub_nc_u32_e32 v1, 29, v1
	v_lshlrev_b64 v[2:3], v2, v[16:17]
	v_and_b32_e32 v16, 7, v2
; %bb.79:                               ;   in Loop: Header=BB224_10 Depth=1
	s_or_b32 exec_lo, exec_lo, s18
	v_lshlrev_b32_e32 v2, 24, v0
	v_lshlrev_b32_e32 v3, 20, v16
	v_lshl_add_u32 v1, v1, 23, 0x3c000000
	v_and_b32_e32 v2, 0x80000000, v2
	v_or3_b32 v16, v3, v2, v1
	buffer_store_dword v16, off, s[0:3], s32 offset:252 ; 4-byte Folded Spill
	buffer_store_dword v17, off, s[0:3], s32 offset:256 ; 4-byte Folded Spill
.LBB224_80:                             ;   in Loop: Header=BB224_10 Depth=1
	s_or_b32 exec_lo, exec_lo, s17
.LBB224_81:                             ;   in Loop: Header=BB224_10 Depth=1
	s_or_b32 exec_lo, exec_lo, s15
.LBB224_82:                             ;   in Loop: Header=BB224_10 Depth=1
	s_or_b32 exec_lo, exec_lo, s13
	v_cmp_ne_u16_sdwa s5, v0, v17 src0_sel:BYTE_1 src1_sel:DWORD
	s_and_saveexec_b32 s13, s5
	s_cbranch_execz .LBB224_90
; %bb.83:                               ;   in Loop: Header=BB224_10 Depth=1
	v_mov_b32_e32 v104, v17
	v_cmp_ne_u16_sdwa s5, v0, v125 src0_sel:BYTE_1 src1_sel:DWORD
	buffer_store_dword v104, off, s[0:3], s32 offset:260 ; 4-byte Folded Spill
	buffer_store_dword v105, off, s[0:3], s32 offset:264 ; 4-byte Folded Spill
	s_and_saveexec_b32 s15, s5
	s_cbranch_execz .LBB224_89
; %bb.84:                               ;   in Loop: Header=BB224_10 Depth=1
	v_mov_b32_e32 v1, 0xffff
	v_mov_b32_e32 v94, v17
	s_mov_b32 s17, exec_lo
	buffer_store_dword v94, off, s[0:3], s32 offset:260 ; 4-byte Folded Spill
	buffer_store_dword v95, off, s[0:3], s32 offset:264 ; 4-byte Folded Spill
	v_and_b32_sdwa v1, v1, v0 dst_sel:DWORD dst_unused:UNUSED_PAD src0_sel:DWORD src1_sel:BYTE_1
	v_and_b32_e32 v2, 0x7f, v1
	v_cmpx_ne_u32_e32 0x7f, v2
	s_cbranch_execz .LBB224_88
; %bb.85:                               ;   in Loop: Header=BB224_10 Depth=1
	v_and_b32_e32 v16, 7, v1
	v_lshrrev_b32_e32 v1, 3, v2
	s_mov_b32 s18, exec_lo
	v_cmpx_gt_u32_e32 8, v2
; %bb.86:                               ;   in Loop: Header=BB224_10 Depth=1
	v_ffbh_u32_e32 v1, v16
	v_min_u32_e32 v1, 32, v1
	v_subrev_nc_u32_e32 v2, 28, v1
	v_sub_nc_u32_e32 v1, 29, v1
	v_lshlrev_b64 v[2:3], v2, v[16:17]
	v_and_b32_e32 v16, 7, v2
; %bb.87:                               ;   in Loop: Header=BB224_10 Depth=1
	s_or_b32 exec_lo, exec_lo, s18
	v_lshlrev_b32_e32 v2, 16, v0
	v_lshlrev_b32_e32 v3, 20, v16
	v_lshl_add_u32 v1, v1, 23, 0x3c000000
	v_and_b32_e32 v2, 0x80000000, v2
	v_or3_b32 v2, v3, v2, v1
	v_mov_b32_e32 v1, v17
	buffer_store_dword v1, off, s[0:3], s32 offset:260 ; 4-byte Folded Spill
	buffer_store_dword v2, off, s[0:3], s32 offset:264 ; 4-byte Folded Spill
.LBB224_88:                             ;   in Loop: Header=BB224_10 Depth=1
	s_or_b32 exec_lo, exec_lo, s17
.LBB224_89:                             ;   in Loop: Header=BB224_10 Depth=1
	s_or_b32 exec_lo, exec_lo, s15
.LBB224_90:                             ;   in Loop: Header=BB224_10 Depth=1
	s_or_b32 exec_lo, exec_lo, s13
	v_mov_b32_e32 v2, 0
	v_mov_b32_e32 v3, 0
	;; [unrolled: 1-line block ×3, first 2 shown]
	s_mov_b32 s13, exec_lo
	buffer_store_dword v2, off, s[0:3], s32 offset:268 ; 4-byte Folded Spill
	buffer_store_dword v3, off, s[0:3], s32 offset:272 ; 4-byte Folded Spill
	v_mov_b32_e32 v2, 0
	v_and_b32_sdwa v1, v0, v1 dst_sel:DWORD dst_unused:UNUSED_PAD src0_sel:WORD_1 src1_sel:DWORD
	v_mov_b32_e32 v3, 0
	buffer_store_dword v2, off, s[0:3], s32 offset:276 ; 4-byte Folded Spill
	buffer_store_dword v3, off, s[0:3], s32 offset:280 ; 4-byte Folded Spill
	v_cmpx_ne_u16_e32 0, v1
	s_cbranch_execz .LBB224_98
; %bb.91:                               ;   in Loop: Header=BB224_10 Depth=1
	v_cmp_ne_u16_e64 s5, 0x80, v1
	v_bfrev_b32_e32 v1, 1
	v_mov_b32_e32 v2, 0
	buffer_store_dword v1, off, s[0:3], s32 offset:276 ; 4-byte Folded Spill
	buffer_store_dword v2, off, s[0:3], s32 offset:280 ; 4-byte Folded Spill
	s_and_saveexec_b32 s15, s5
	s_cbranch_execz .LBB224_97
; %bb.92:                               ;   in Loop: Header=BB224_10 Depth=1
	v_mov_b32_e32 v3, 0x7f800001
	v_bfe_u32 v2, v0, 16, 7
	v_mov_b32_e32 v4, 0
	s_mov_b32 s17, exec_lo
	buffer_store_dword v3, off, s[0:3], s32 offset:276 ; 4-byte Folded Spill
	buffer_store_dword v4, off, s[0:3], s32 offset:280 ; 4-byte Folded Spill
	v_cmpx_ne_u32_e32 0x7f, v2
	s_cbranch_execz .LBB224_96
; %bb.93:                               ;   in Loop: Header=BB224_10 Depth=1
	v_mov_b32_e32 v1, 7
	s_mov_b32 s18, exec_lo
	v_and_b32_sdwa v16, v0, v1 dst_sel:DWORD dst_unused:UNUSED_PAD src0_sel:WORD_1 src1_sel:DWORD
	v_lshrrev_b32_e32 v1, 3, v2
	v_cmpx_gt_u32_e32 8, v2
; %bb.94:                               ;   in Loop: Header=BB224_10 Depth=1
	v_ffbh_u32_e32 v1, v16
	v_min_u32_e32 v1, 32, v1
	v_subrev_nc_u32_e32 v2, 28, v1
	v_sub_nc_u32_e32 v1, 29, v1
	v_lshlrev_b64 v[2:3], v2, v[16:17]
	v_and_b32_e32 v16, 7, v2
; %bb.95:                               ;   in Loop: Header=BB224_10 Depth=1
	s_or_b32 exec_lo, exec_lo, s18
	v_mov_b32_e32 v2, 24
	v_lshlrev_b32_e32 v3, 20, v16
	v_lshl_add_u32 v1, v1, 23, 0x3c000000
	v_lshlrev_b32_sdwa v2, v2, v0 dst_sel:DWORD dst_unused:UNUSED_PAD src0_sel:DWORD src1_sel:WORD_1
	v_and_b32_e32 v2, 0x80000000, v2
	v_or3_b32 v16, v3, v2, v1
	buffer_store_dword v16, off, s[0:3], s32 offset:276 ; 4-byte Folded Spill
	buffer_store_dword v17, off, s[0:3], s32 offset:280 ; 4-byte Folded Spill
.LBB224_96:                             ;   in Loop: Header=BB224_10 Depth=1
	s_or_b32 exec_lo, exec_lo, s17
.LBB224_97:                             ;   in Loop: Header=BB224_10 Depth=1
	s_or_b32 exec_lo, exec_lo, s15
.LBB224_98:                             ;   in Loop: Header=BB224_10 Depth=1
	s_or_b32 exec_lo, exec_lo, s13
	s_mov_b32 s13, exec_lo
	v_cmpx_lt_u32_e32 0xffffff, v0
	s_cbranch_execz .LBB224_106
; %bb.99:                               ;   in Loop: Header=BB224_10 Depth=1
	v_mov_b32_e32 v104, v17
	v_cmp_ne_u32_sdwa s5, v0, v125 src0_sel:BYTE_3 src1_sel:DWORD
	buffer_store_dword v104, off, s[0:3], s32 offset:268 ; 4-byte Folded Spill
	buffer_store_dword v105, off, s[0:3], s32 offset:272 ; 4-byte Folded Spill
	s_and_saveexec_b32 s15, s5
	s_cbranch_execz .LBB224_105
; %bb.100:                              ;   in Loop: Header=BB224_10 Depth=1
	v_bfe_u32 v2, v0, 24, 7
	v_mov_b32_e32 v94, v17
	s_mov_b32 s17, exec_lo
	buffer_store_dword v94, off, s[0:3], s32 offset:268 ; 4-byte Folded Spill
	buffer_store_dword v95, off, s[0:3], s32 offset:272 ; 4-byte Folded Spill
	v_cmpx_ne_u32_e32 0x7f, v2
	s_cbranch_execz .LBB224_104
; %bb.101:                              ;   in Loop: Header=BB224_10 Depth=1
	v_mov_b32_e32 v1, 7
	s_mov_b32 s18, exec_lo
	v_and_b32_sdwa v16, v0, v1 dst_sel:DWORD dst_unused:UNUSED_PAD src0_sel:BYTE_3 src1_sel:DWORD
	v_lshrrev_b32_e32 v1, 3, v2
	v_cmpx_gt_u32_e32 8, v2
; %bb.102:                              ;   in Loop: Header=BB224_10 Depth=1
	v_ffbh_u32_e32 v1, v16
	v_min_u32_e32 v1, 32, v1
	v_subrev_nc_u32_e32 v2, 28, v1
	v_sub_nc_u32_e32 v1, 29, v1
	v_lshlrev_b64 v[2:3], v2, v[16:17]
	v_and_b32_e32 v16, 7, v2
; %bb.103:                              ;   in Loop: Header=BB224_10 Depth=1
	s_or_b32 exec_lo, exec_lo, s18
	v_mov_b32_e32 v2, 24
	v_lshl_add_u32 v1, v1, 23, 0x3c000000
	v_lshlrev_b32_sdwa v0, v2, v0 dst_sel:DWORD dst_unused:UNUSED_PAD src0_sel:DWORD src1_sel:BYTE_3
	v_lshlrev_b32_e32 v2, 20, v16
	v_and_b32_e32 v0, 0x80000000, v0
	v_or3_b32 v1, v2, v0, v1
	v_mov_b32_e32 v0, v17
	buffer_store_dword v0, off, s[0:3], s32 offset:268 ; 4-byte Folded Spill
	buffer_store_dword v1, off, s[0:3], s32 offset:272 ; 4-byte Folded Spill
.LBB224_104:                            ;   in Loop: Header=BB224_10 Depth=1
	s_or_b32 exec_lo, exec_lo, s17
.LBB224_105:                            ;   in Loop: Header=BB224_10 Depth=1
	s_or_b32 exec_lo, exec_lo, s15
.LBB224_106:                            ;   in Loop: Header=BB224_10 Depth=1
	s_or_b32 exec_lo, exec_lo, s13
	flat_load_dword v0, v[108:109] offset:12
	v_mov_b32_e32 v1, 0
	v_mov_b32_e32 v2, 0
	buffer_store_dword v1, off, s[0:3], s32 offset:292 ; 4-byte Folded Spill
	buffer_store_dword v2, off, s[0:3], s32 offset:296 ; 4-byte Folded Spill
	v_mov_b32_e32 v1, 0
	v_mov_b32_e32 v2, 0
	buffer_store_dword v1, off, s[0:3], s32 offset:284 ; 4-byte Folded Spill
	buffer_store_dword v2, off, s[0:3], s32 offset:288 ; 4-byte Folded Spill
	s_waitcnt vmcnt(0) lgkmcnt(0)
	v_cmp_ne_u16_sdwa s5, v0, v17 src0_sel:BYTE_0 src1_sel:DWORD
	s_and_saveexec_b32 s13, s5
	s_cbranch_execz .LBB224_114
; %bb.107:                              ;   in Loop: Header=BB224_10 Depth=1
	v_bfrev_b32_e32 v1, 1
	v_mov_b32_e32 v2, 0
	v_cmp_ne_u16_sdwa s5, v0, v125 src0_sel:BYTE_0 src1_sel:DWORD
	buffer_store_dword v1, off, s[0:3], s32 offset:284 ; 4-byte Folded Spill
	buffer_store_dword v2, off, s[0:3], s32 offset:288 ; 4-byte Folded Spill
	s_and_saveexec_b32 s15, s5
	s_cbranch_execz .LBB224_113
; %bb.108:                              ;   in Loop: Header=BB224_10 Depth=1
	v_mov_b32_e32 v3, 0x7f800001
	v_and_b32_e32 v2, 0x7f, v0
	v_mov_b32_e32 v4, 0
	s_mov_b32 s17, exec_lo
	buffer_store_dword v3, off, s[0:3], s32 offset:284 ; 4-byte Folded Spill
	buffer_store_dword v4, off, s[0:3], s32 offset:288 ; 4-byte Folded Spill
	v_cmpx_ne_u32_e32 0x7f, v2
	s_cbranch_execz .LBB224_112
; %bb.109:                              ;   in Loop: Header=BB224_10 Depth=1
	v_and_b32_e32 v16, 7, v0
	v_lshrrev_b32_e32 v1, 3, v2
	s_mov_b32 s18, exec_lo
	v_cmpx_gt_u32_e32 8, v2
; %bb.110:                              ;   in Loop: Header=BB224_10 Depth=1
	v_ffbh_u32_e32 v1, v16
	v_min_u32_e32 v1, 32, v1
	v_subrev_nc_u32_e32 v2, 28, v1
	v_sub_nc_u32_e32 v1, 29, v1
	v_lshlrev_b64 v[2:3], v2, v[16:17]
	v_and_b32_e32 v16, 7, v2
; %bb.111:                              ;   in Loop: Header=BB224_10 Depth=1
	s_or_b32 exec_lo, exec_lo, s18
	v_lshlrev_b32_e32 v2, 24, v0
	v_lshlrev_b32_e32 v3, 20, v16
	v_lshl_add_u32 v1, v1, 23, 0x3c000000
	v_and_b32_e32 v2, 0x80000000, v2
	v_or3_b32 v16, v3, v2, v1
	buffer_store_dword v16, off, s[0:3], s32 offset:284 ; 4-byte Folded Spill
	buffer_store_dword v17, off, s[0:3], s32 offset:288 ; 4-byte Folded Spill
.LBB224_112:                            ;   in Loop: Header=BB224_10 Depth=1
	s_or_b32 exec_lo, exec_lo, s17
.LBB224_113:                            ;   in Loop: Header=BB224_10 Depth=1
	s_or_b32 exec_lo, exec_lo, s15
.LBB224_114:                            ;   in Loop: Header=BB224_10 Depth=1
	s_or_b32 exec_lo, exec_lo, s13
	v_cmp_ne_u16_sdwa s5, v0, v17 src0_sel:BYTE_1 src1_sel:DWORD
	s_and_saveexec_b32 s13, s5
	s_cbranch_execz .LBB224_122
; %bb.115:                              ;   in Loop: Header=BB224_10 Depth=1
	v_mov_b32_e32 v104, v17
	v_cmp_ne_u16_sdwa s5, v0, v125 src0_sel:BYTE_1 src1_sel:DWORD
	buffer_store_dword v104, off, s[0:3], s32 offset:292 ; 4-byte Folded Spill
	buffer_store_dword v105, off, s[0:3], s32 offset:296 ; 4-byte Folded Spill
	s_and_saveexec_b32 s15, s5
	s_cbranch_execz .LBB224_121
; %bb.116:                              ;   in Loop: Header=BB224_10 Depth=1
	v_mov_b32_e32 v1, 0xffff
	v_mov_b32_e32 v94, v17
	s_mov_b32 s17, exec_lo
	buffer_store_dword v94, off, s[0:3], s32 offset:292 ; 4-byte Folded Spill
	buffer_store_dword v95, off, s[0:3], s32 offset:296 ; 4-byte Folded Spill
	v_and_b32_sdwa v1, v1, v0 dst_sel:DWORD dst_unused:UNUSED_PAD src0_sel:DWORD src1_sel:BYTE_1
	v_and_b32_e32 v2, 0x7f, v1
	v_cmpx_ne_u32_e32 0x7f, v2
	s_cbranch_execz .LBB224_120
; %bb.117:                              ;   in Loop: Header=BB224_10 Depth=1
	v_and_b32_e32 v16, 7, v1
	v_lshrrev_b32_e32 v1, 3, v2
	s_mov_b32 s18, exec_lo
	v_cmpx_gt_u32_e32 8, v2
; %bb.118:                              ;   in Loop: Header=BB224_10 Depth=1
	v_ffbh_u32_e32 v1, v16
	v_min_u32_e32 v1, 32, v1
	v_subrev_nc_u32_e32 v2, 28, v1
	v_sub_nc_u32_e32 v1, 29, v1
	v_lshlrev_b64 v[2:3], v2, v[16:17]
	v_and_b32_e32 v16, 7, v2
; %bb.119:                              ;   in Loop: Header=BB224_10 Depth=1
	s_or_b32 exec_lo, exec_lo, s18
	v_lshlrev_b32_e32 v2, 16, v0
	v_lshlrev_b32_e32 v3, 20, v16
	v_lshl_add_u32 v1, v1, 23, 0x3c000000
	v_and_b32_e32 v2, 0x80000000, v2
	v_or3_b32 v2, v3, v2, v1
	v_mov_b32_e32 v1, v17
	buffer_store_dword v1, off, s[0:3], s32 offset:292 ; 4-byte Folded Spill
	buffer_store_dword v2, off, s[0:3], s32 offset:296 ; 4-byte Folded Spill
.LBB224_120:                            ;   in Loop: Header=BB224_10 Depth=1
	s_or_b32 exec_lo, exec_lo, s17
.LBB224_121:                            ;   in Loop: Header=BB224_10 Depth=1
	s_or_b32 exec_lo, exec_lo, s15
.LBB224_122:                            ;   in Loop: Header=BB224_10 Depth=1
	s_or_b32 exec_lo, exec_lo, s13
	v_mov_b32_e32 v2, 0
	v_mov_b32_e32 v3, 0
	;; [unrolled: 1-line block ×3, first 2 shown]
	s_mov_b32 s13, exec_lo
	buffer_store_dword v2, off, s[0:3], s32 offset:300 ; 4-byte Folded Spill
	buffer_store_dword v3, off, s[0:3], s32 offset:304 ; 4-byte Folded Spill
	v_mov_b32_e32 v2, 0
	v_and_b32_sdwa v1, v0, v1 dst_sel:DWORD dst_unused:UNUSED_PAD src0_sel:WORD_1 src1_sel:DWORD
	v_mov_b32_e32 v3, 0
	buffer_store_dword v2, off, s[0:3], s32 offset:308 ; 4-byte Folded Spill
	buffer_store_dword v3, off, s[0:3], s32 offset:312 ; 4-byte Folded Spill
	v_cmpx_ne_u16_e32 0, v1
	s_cbranch_execz .LBB224_130
; %bb.123:                              ;   in Loop: Header=BB224_10 Depth=1
	v_cmp_ne_u16_e64 s5, 0x80, v1
	v_bfrev_b32_e32 v1, 1
	v_mov_b32_e32 v2, 0
	buffer_store_dword v1, off, s[0:3], s32 offset:308 ; 4-byte Folded Spill
	buffer_store_dword v2, off, s[0:3], s32 offset:312 ; 4-byte Folded Spill
	s_and_saveexec_b32 s15, s5
	s_cbranch_execz .LBB224_129
; %bb.124:                              ;   in Loop: Header=BB224_10 Depth=1
	v_mov_b32_e32 v3, 0x7f800001
	v_bfe_u32 v2, v0, 16, 7
	v_mov_b32_e32 v4, 0
	s_mov_b32 s17, exec_lo
	buffer_store_dword v3, off, s[0:3], s32 offset:308 ; 4-byte Folded Spill
	buffer_store_dword v4, off, s[0:3], s32 offset:312 ; 4-byte Folded Spill
	v_cmpx_ne_u32_e32 0x7f, v2
	s_cbranch_execz .LBB224_128
; %bb.125:                              ;   in Loop: Header=BB224_10 Depth=1
	v_mov_b32_e32 v1, 7
	s_mov_b32 s18, exec_lo
	v_and_b32_sdwa v16, v0, v1 dst_sel:DWORD dst_unused:UNUSED_PAD src0_sel:WORD_1 src1_sel:DWORD
	v_lshrrev_b32_e32 v1, 3, v2
	v_cmpx_gt_u32_e32 8, v2
; %bb.126:                              ;   in Loop: Header=BB224_10 Depth=1
	v_ffbh_u32_e32 v1, v16
	v_min_u32_e32 v1, 32, v1
	v_subrev_nc_u32_e32 v2, 28, v1
	v_sub_nc_u32_e32 v1, 29, v1
	v_lshlrev_b64 v[2:3], v2, v[16:17]
	v_and_b32_e32 v16, 7, v2
; %bb.127:                              ;   in Loop: Header=BB224_10 Depth=1
	s_or_b32 exec_lo, exec_lo, s18
	v_mov_b32_e32 v2, 24
	v_lshlrev_b32_e32 v3, 20, v16
	v_lshl_add_u32 v1, v1, 23, 0x3c000000
	v_lshlrev_b32_sdwa v2, v2, v0 dst_sel:DWORD dst_unused:UNUSED_PAD src0_sel:DWORD src1_sel:WORD_1
	v_and_b32_e32 v2, 0x80000000, v2
	v_or3_b32 v16, v3, v2, v1
	buffer_store_dword v16, off, s[0:3], s32 offset:308 ; 4-byte Folded Spill
	buffer_store_dword v17, off, s[0:3], s32 offset:312 ; 4-byte Folded Spill
.LBB224_128:                            ;   in Loop: Header=BB224_10 Depth=1
	s_or_b32 exec_lo, exec_lo, s17
.LBB224_129:                            ;   in Loop: Header=BB224_10 Depth=1
	s_or_b32 exec_lo, exec_lo, s15
.LBB224_130:                            ;   in Loop: Header=BB224_10 Depth=1
	s_or_b32 exec_lo, exec_lo, s13
	s_mov_b32 s13, exec_lo
	v_cmpx_lt_u32_e32 0xffffff, v0
	s_cbranch_execz .LBB224_138
; %bb.131:                              ;   in Loop: Header=BB224_10 Depth=1
	v_mov_b32_e32 v104, v17
	v_cmp_ne_u32_sdwa s5, v0, v125 src0_sel:BYTE_3 src1_sel:DWORD
	buffer_store_dword v104, off, s[0:3], s32 offset:300 ; 4-byte Folded Spill
	buffer_store_dword v105, off, s[0:3], s32 offset:304 ; 4-byte Folded Spill
	s_and_saveexec_b32 s15, s5
	s_cbranch_execz .LBB224_137
; %bb.132:                              ;   in Loop: Header=BB224_10 Depth=1
	v_bfe_u32 v2, v0, 24, 7
	v_mov_b32_e32 v94, v17
	s_mov_b32 s17, exec_lo
	buffer_store_dword v94, off, s[0:3], s32 offset:300 ; 4-byte Folded Spill
	buffer_store_dword v95, off, s[0:3], s32 offset:304 ; 4-byte Folded Spill
	v_cmpx_ne_u32_e32 0x7f, v2
	s_cbranch_execz .LBB224_136
; %bb.133:                              ;   in Loop: Header=BB224_10 Depth=1
	v_mov_b32_e32 v1, 7
	s_mov_b32 s18, exec_lo
	v_and_b32_sdwa v16, v0, v1 dst_sel:DWORD dst_unused:UNUSED_PAD src0_sel:BYTE_3 src1_sel:DWORD
	v_lshrrev_b32_e32 v1, 3, v2
	v_cmpx_gt_u32_e32 8, v2
; %bb.134:                              ;   in Loop: Header=BB224_10 Depth=1
	v_ffbh_u32_e32 v1, v16
	v_min_u32_e32 v1, 32, v1
	v_subrev_nc_u32_e32 v2, 28, v1
	v_sub_nc_u32_e32 v1, 29, v1
	v_lshlrev_b64 v[2:3], v2, v[16:17]
	v_and_b32_e32 v16, 7, v2
; %bb.135:                              ;   in Loop: Header=BB224_10 Depth=1
	s_or_b32 exec_lo, exec_lo, s18
	v_mov_b32_e32 v2, 24
	v_lshl_add_u32 v1, v1, 23, 0x3c000000
	v_lshlrev_b32_sdwa v0, v2, v0 dst_sel:DWORD dst_unused:UNUSED_PAD src0_sel:DWORD src1_sel:BYTE_3
	v_lshlrev_b32_e32 v2, 20, v16
	v_and_b32_e32 v0, 0x80000000, v0
	v_or3_b32 v1, v2, v0, v1
	v_mov_b32_e32 v0, v17
	buffer_store_dword v0, off, s[0:3], s32 offset:300 ; 4-byte Folded Spill
	buffer_store_dword v1, off, s[0:3], s32 offset:304 ; 4-byte Folded Spill
.LBB224_136:                            ;   in Loop: Header=BB224_10 Depth=1
	s_or_b32 exec_lo, exec_lo, s17
.LBB224_137:                            ;   in Loop: Header=BB224_10 Depth=1
	s_or_b32 exec_lo, exec_lo, s15
.LBB224_138:                            ;   in Loop: Header=BB224_10 Depth=1
	s_or_b32 exec_lo, exec_lo, s13
	flat_load_dword v0, v[108:109] offset:512
	v_mov_b32_e32 v1, 0
	v_mov_b32_e32 v2, 0
	buffer_store_dword v1, off, s[0:3], s32 offset:324 ; 4-byte Folded Spill
	buffer_store_dword v2, off, s[0:3], s32 offset:328 ; 4-byte Folded Spill
	v_mov_b32_e32 v1, 0
	v_mov_b32_e32 v2, 0
	buffer_store_dword v1, off, s[0:3], s32 offset:316 ; 4-byte Folded Spill
	buffer_store_dword v2, off, s[0:3], s32 offset:320 ; 4-byte Folded Spill
	s_waitcnt vmcnt(0) lgkmcnt(0)
	v_cmp_ne_u16_sdwa s5, v0, v17 src0_sel:BYTE_0 src1_sel:DWORD
	s_and_saveexec_b32 s13, s5
	s_cbranch_execz .LBB224_146
; %bb.139:                              ;   in Loop: Header=BB224_10 Depth=1
	v_bfrev_b32_e32 v1, 1
	v_mov_b32_e32 v2, 0
	v_cmp_ne_u16_sdwa s5, v0, v125 src0_sel:BYTE_0 src1_sel:DWORD
	buffer_store_dword v1, off, s[0:3], s32 offset:316 ; 4-byte Folded Spill
	buffer_store_dword v2, off, s[0:3], s32 offset:320 ; 4-byte Folded Spill
	s_and_saveexec_b32 s15, s5
	s_cbranch_execz .LBB224_145
; %bb.140:                              ;   in Loop: Header=BB224_10 Depth=1
	v_mov_b32_e32 v3, 0x7f800001
	v_and_b32_e32 v2, 0x7f, v0
	v_mov_b32_e32 v4, 0
	s_mov_b32 s17, exec_lo
	buffer_store_dword v3, off, s[0:3], s32 offset:316 ; 4-byte Folded Spill
	buffer_store_dword v4, off, s[0:3], s32 offset:320 ; 4-byte Folded Spill
	v_cmpx_ne_u32_e32 0x7f, v2
	s_cbranch_execz .LBB224_144
; %bb.141:                              ;   in Loop: Header=BB224_10 Depth=1
	v_and_b32_e32 v16, 7, v0
	v_lshrrev_b32_e32 v1, 3, v2
	s_mov_b32 s18, exec_lo
	v_cmpx_gt_u32_e32 8, v2
; %bb.142:                              ;   in Loop: Header=BB224_10 Depth=1
	v_ffbh_u32_e32 v1, v16
	v_min_u32_e32 v1, 32, v1
	v_subrev_nc_u32_e32 v2, 28, v1
	v_sub_nc_u32_e32 v1, 29, v1
	v_lshlrev_b64 v[2:3], v2, v[16:17]
	v_and_b32_e32 v16, 7, v2
; %bb.143:                              ;   in Loop: Header=BB224_10 Depth=1
	s_or_b32 exec_lo, exec_lo, s18
	v_lshlrev_b32_e32 v2, 24, v0
	v_lshlrev_b32_e32 v3, 20, v16
	v_lshl_add_u32 v1, v1, 23, 0x3c000000
	v_and_b32_e32 v2, 0x80000000, v2
	v_or3_b32 v16, v3, v2, v1
	buffer_store_dword v16, off, s[0:3], s32 offset:316 ; 4-byte Folded Spill
	buffer_store_dword v17, off, s[0:3], s32 offset:320 ; 4-byte Folded Spill
.LBB224_144:                            ;   in Loop: Header=BB224_10 Depth=1
	s_or_b32 exec_lo, exec_lo, s17
.LBB224_145:                            ;   in Loop: Header=BB224_10 Depth=1
	s_or_b32 exec_lo, exec_lo, s15
.LBB224_146:                            ;   in Loop: Header=BB224_10 Depth=1
	s_or_b32 exec_lo, exec_lo, s13
	v_cmp_ne_u16_sdwa s5, v0, v17 src0_sel:BYTE_1 src1_sel:DWORD
	s_and_saveexec_b32 s13, s5
	s_cbranch_execz .LBB224_154
; %bb.147:                              ;   in Loop: Header=BB224_10 Depth=1
	v_mov_b32_e32 v104, v17
	v_cmp_ne_u16_sdwa s5, v0, v125 src0_sel:BYTE_1 src1_sel:DWORD
	buffer_store_dword v104, off, s[0:3], s32 offset:324 ; 4-byte Folded Spill
	buffer_store_dword v105, off, s[0:3], s32 offset:328 ; 4-byte Folded Spill
	s_and_saveexec_b32 s15, s5
	s_cbranch_execz .LBB224_153
; %bb.148:                              ;   in Loop: Header=BB224_10 Depth=1
	v_mov_b32_e32 v1, 0xffff
	v_mov_b32_e32 v94, v17
	s_mov_b32 s17, exec_lo
	buffer_store_dword v94, off, s[0:3], s32 offset:324 ; 4-byte Folded Spill
	buffer_store_dword v95, off, s[0:3], s32 offset:328 ; 4-byte Folded Spill
	v_and_b32_sdwa v1, v1, v0 dst_sel:DWORD dst_unused:UNUSED_PAD src0_sel:DWORD src1_sel:BYTE_1
	v_and_b32_e32 v2, 0x7f, v1
	v_cmpx_ne_u32_e32 0x7f, v2
	s_cbranch_execz .LBB224_152
; %bb.149:                              ;   in Loop: Header=BB224_10 Depth=1
	v_and_b32_e32 v16, 7, v1
	v_lshrrev_b32_e32 v1, 3, v2
	s_mov_b32 s18, exec_lo
	v_cmpx_gt_u32_e32 8, v2
; %bb.150:                              ;   in Loop: Header=BB224_10 Depth=1
	v_ffbh_u32_e32 v1, v16
	v_min_u32_e32 v1, 32, v1
	v_subrev_nc_u32_e32 v2, 28, v1
	v_sub_nc_u32_e32 v1, 29, v1
	v_lshlrev_b64 v[2:3], v2, v[16:17]
	v_and_b32_e32 v16, 7, v2
; %bb.151:                              ;   in Loop: Header=BB224_10 Depth=1
	s_or_b32 exec_lo, exec_lo, s18
	v_lshlrev_b32_e32 v2, 16, v0
	v_lshlrev_b32_e32 v3, 20, v16
	v_lshl_add_u32 v1, v1, 23, 0x3c000000
	v_and_b32_e32 v2, 0x80000000, v2
	v_or3_b32 v2, v3, v2, v1
	v_mov_b32_e32 v1, v17
	buffer_store_dword v1, off, s[0:3], s32 offset:324 ; 4-byte Folded Spill
	buffer_store_dword v2, off, s[0:3], s32 offset:328 ; 4-byte Folded Spill
.LBB224_152:                            ;   in Loop: Header=BB224_10 Depth=1
	s_or_b32 exec_lo, exec_lo, s17
.LBB224_153:                            ;   in Loop: Header=BB224_10 Depth=1
	s_or_b32 exec_lo, exec_lo, s15
.LBB224_154:                            ;   in Loop: Header=BB224_10 Depth=1
	s_or_b32 exec_lo, exec_lo, s13
	v_mov_b32_e32 v2, 0
	v_mov_b32_e32 v3, 0
	;; [unrolled: 1-line block ×3, first 2 shown]
	s_mov_b32 s13, exec_lo
	buffer_store_dword v2, off, s[0:3], s32 offset:332 ; 4-byte Folded Spill
	buffer_store_dword v3, off, s[0:3], s32 offset:336 ; 4-byte Folded Spill
	v_mov_b32_e32 v2, 0
	v_and_b32_sdwa v1, v0, v1 dst_sel:DWORD dst_unused:UNUSED_PAD src0_sel:WORD_1 src1_sel:DWORD
	v_mov_b32_e32 v3, 0
	buffer_store_dword v2, off, s[0:3], s32 offset:340 ; 4-byte Folded Spill
	buffer_store_dword v3, off, s[0:3], s32 offset:344 ; 4-byte Folded Spill
	v_cmpx_ne_u16_e32 0, v1
	s_cbranch_execz .LBB224_162
; %bb.155:                              ;   in Loop: Header=BB224_10 Depth=1
	v_cmp_ne_u16_e64 s5, 0x80, v1
	v_bfrev_b32_e32 v1, 1
	v_mov_b32_e32 v2, 0
	buffer_store_dword v1, off, s[0:3], s32 offset:340 ; 4-byte Folded Spill
	buffer_store_dword v2, off, s[0:3], s32 offset:344 ; 4-byte Folded Spill
	s_and_saveexec_b32 s15, s5
	s_cbranch_execz .LBB224_161
; %bb.156:                              ;   in Loop: Header=BB224_10 Depth=1
	v_mov_b32_e32 v3, 0x7f800001
	v_bfe_u32 v2, v0, 16, 7
	v_mov_b32_e32 v4, 0
	s_mov_b32 s17, exec_lo
	buffer_store_dword v3, off, s[0:3], s32 offset:340 ; 4-byte Folded Spill
	buffer_store_dword v4, off, s[0:3], s32 offset:344 ; 4-byte Folded Spill
	v_cmpx_ne_u32_e32 0x7f, v2
	s_cbranch_execz .LBB224_160
; %bb.157:                              ;   in Loop: Header=BB224_10 Depth=1
	v_mov_b32_e32 v1, 7
	s_mov_b32 s18, exec_lo
	v_and_b32_sdwa v16, v0, v1 dst_sel:DWORD dst_unused:UNUSED_PAD src0_sel:WORD_1 src1_sel:DWORD
	v_lshrrev_b32_e32 v1, 3, v2
	v_cmpx_gt_u32_e32 8, v2
; %bb.158:                              ;   in Loop: Header=BB224_10 Depth=1
	v_ffbh_u32_e32 v1, v16
	v_min_u32_e32 v1, 32, v1
	v_subrev_nc_u32_e32 v2, 28, v1
	v_sub_nc_u32_e32 v1, 29, v1
	v_lshlrev_b64 v[2:3], v2, v[16:17]
	v_and_b32_e32 v16, 7, v2
; %bb.159:                              ;   in Loop: Header=BB224_10 Depth=1
	s_or_b32 exec_lo, exec_lo, s18
	v_mov_b32_e32 v2, 24
	v_lshlrev_b32_e32 v3, 20, v16
	v_lshl_add_u32 v1, v1, 23, 0x3c000000
	v_lshlrev_b32_sdwa v2, v2, v0 dst_sel:DWORD dst_unused:UNUSED_PAD src0_sel:DWORD src1_sel:WORD_1
	v_and_b32_e32 v2, 0x80000000, v2
	v_or3_b32 v16, v3, v2, v1
	buffer_store_dword v16, off, s[0:3], s32 offset:340 ; 4-byte Folded Spill
	buffer_store_dword v17, off, s[0:3], s32 offset:344 ; 4-byte Folded Spill
.LBB224_160:                            ;   in Loop: Header=BB224_10 Depth=1
	s_or_b32 exec_lo, exec_lo, s17
.LBB224_161:                            ;   in Loop: Header=BB224_10 Depth=1
	s_or_b32 exec_lo, exec_lo, s15
.LBB224_162:                            ;   in Loop: Header=BB224_10 Depth=1
	s_or_b32 exec_lo, exec_lo, s13
	s_mov_b32 s13, exec_lo
	v_cmpx_lt_u32_e32 0xffffff, v0
	s_cbranch_execz .LBB224_170
; %bb.163:                              ;   in Loop: Header=BB224_10 Depth=1
	v_mov_b32_e32 v104, v17
	v_cmp_ne_u32_sdwa s5, v0, v125 src0_sel:BYTE_3 src1_sel:DWORD
	buffer_store_dword v104, off, s[0:3], s32 offset:332 ; 4-byte Folded Spill
	buffer_store_dword v105, off, s[0:3], s32 offset:336 ; 4-byte Folded Spill
	s_and_saveexec_b32 s15, s5
	s_cbranch_execz .LBB224_169
; %bb.164:                              ;   in Loop: Header=BB224_10 Depth=1
	v_bfe_u32 v2, v0, 24, 7
	v_mov_b32_e32 v94, v17
	s_mov_b32 s17, exec_lo
	buffer_store_dword v94, off, s[0:3], s32 offset:332 ; 4-byte Folded Spill
	buffer_store_dword v95, off, s[0:3], s32 offset:336 ; 4-byte Folded Spill
	v_cmpx_ne_u32_e32 0x7f, v2
	s_cbranch_execz .LBB224_168
; %bb.165:                              ;   in Loop: Header=BB224_10 Depth=1
	v_mov_b32_e32 v1, 7
	s_mov_b32 s18, exec_lo
	v_and_b32_sdwa v16, v0, v1 dst_sel:DWORD dst_unused:UNUSED_PAD src0_sel:BYTE_3 src1_sel:DWORD
	v_lshrrev_b32_e32 v1, 3, v2
	v_cmpx_gt_u32_e32 8, v2
; %bb.166:                              ;   in Loop: Header=BB224_10 Depth=1
	v_ffbh_u32_e32 v1, v16
	v_min_u32_e32 v1, 32, v1
	v_subrev_nc_u32_e32 v2, 28, v1
	v_sub_nc_u32_e32 v1, 29, v1
	v_lshlrev_b64 v[2:3], v2, v[16:17]
	v_and_b32_e32 v16, 7, v2
; %bb.167:                              ;   in Loop: Header=BB224_10 Depth=1
	s_or_b32 exec_lo, exec_lo, s18
	v_mov_b32_e32 v2, 24
	v_lshl_add_u32 v1, v1, 23, 0x3c000000
	v_lshlrev_b32_sdwa v0, v2, v0 dst_sel:DWORD dst_unused:UNUSED_PAD src0_sel:DWORD src1_sel:BYTE_3
	v_lshlrev_b32_e32 v2, 20, v16
	v_and_b32_e32 v0, 0x80000000, v0
	v_or3_b32 v1, v2, v0, v1
	v_mov_b32_e32 v0, v17
	buffer_store_dword v0, off, s[0:3], s32 offset:332 ; 4-byte Folded Spill
	buffer_store_dword v1, off, s[0:3], s32 offset:336 ; 4-byte Folded Spill
.LBB224_168:                            ;   in Loop: Header=BB224_10 Depth=1
	s_or_b32 exec_lo, exec_lo, s17
.LBB224_169:                            ;   in Loop: Header=BB224_10 Depth=1
	s_or_b32 exec_lo, exec_lo, s15
.LBB224_170:                            ;   in Loop: Header=BB224_10 Depth=1
	s_or_b32 exec_lo, exec_lo, s13
	flat_load_dword v0, v[108:109] offset:516
	v_mov_b32_e32 v1, 0
	v_mov_b32_e32 v2, 0
	buffer_store_dword v1, off, s[0:3], s32 offset:356 ; 4-byte Folded Spill
	buffer_store_dword v2, off, s[0:3], s32 offset:360 ; 4-byte Folded Spill
	v_mov_b32_e32 v1, 0
	v_mov_b32_e32 v2, 0
	buffer_store_dword v1, off, s[0:3], s32 offset:348 ; 4-byte Folded Spill
	buffer_store_dword v2, off, s[0:3], s32 offset:352 ; 4-byte Folded Spill
	s_waitcnt vmcnt(0) lgkmcnt(0)
	v_cmp_ne_u16_sdwa s5, v0, v17 src0_sel:BYTE_0 src1_sel:DWORD
	s_and_saveexec_b32 s13, s5
	s_cbranch_execz .LBB224_178
; %bb.171:                              ;   in Loop: Header=BB224_10 Depth=1
	v_bfrev_b32_e32 v1, 1
	v_mov_b32_e32 v2, 0
	v_cmp_ne_u16_sdwa s5, v0, v125 src0_sel:BYTE_0 src1_sel:DWORD
	buffer_store_dword v1, off, s[0:3], s32 offset:348 ; 4-byte Folded Spill
	buffer_store_dword v2, off, s[0:3], s32 offset:352 ; 4-byte Folded Spill
	s_and_saveexec_b32 s15, s5
	s_cbranch_execz .LBB224_177
; %bb.172:                              ;   in Loop: Header=BB224_10 Depth=1
	v_mov_b32_e32 v3, 0x7f800001
	v_and_b32_e32 v2, 0x7f, v0
	v_mov_b32_e32 v4, 0
	s_mov_b32 s17, exec_lo
	buffer_store_dword v3, off, s[0:3], s32 offset:348 ; 4-byte Folded Spill
	buffer_store_dword v4, off, s[0:3], s32 offset:352 ; 4-byte Folded Spill
	v_cmpx_ne_u32_e32 0x7f, v2
	s_cbranch_execz .LBB224_176
; %bb.173:                              ;   in Loop: Header=BB224_10 Depth=1
	v_and_b32_e32 v16, 7, v0
	v_lshrrev_b32_e32 v1, 3, v2
	s_mov_b32 s18, exec_lo
	v_cmpx_gt_u32_e32 8, v2
; %bb.174:                              ;   in Loop: Header=BB224_10 Depth=1
	v_ffbh_u32_e32 v1, v16
	v_min_u32_e32 v1, 32, v1
	v_subrev_nc_u32_e32 v2, 28, v1
	v_sub_nc_u32_e32 v1, 29, v1
	v_lshlrev_b64 v[2:3], v2, v[16:17]
	v_and_b32_e32 v16, 7, v2
; %bb.175:                              ;   in Loop: Header=BB224_10 Depth=1
	s_or_b32 exec_lo, exec_lo, s18
	v_lshlrev_b32_e32 v2, 24, v0
	v_lshlrev_b32_e32 v3, 20, v16
	v_lshl_add_u32 v1, v1, 23, 0x3c000000
	v_and_b32_e32 v2, 0x80000000, v2
	v_or3_b32 v16, v3, v2, v1
	buffer_store_dword v16, off, s[0:3], s32 offset:348 ; 4-byte Folded Spill
	buffer_store_dword v17, off, s[0:3], s32 offset:352 ; 4-byte Folded Spill
.LBB224_176:                            ;   in Loop: Header=BB224_10 Depth=1
	s_or_b32 exec_lo, exec_lo, s17
.LBB224_177:                            ;   in Loop: Header=BB224_10 Depth=1
	s_or_b32 exec_lo, exec_lo, s15
.LBB224_178:                            ;   in Loop: Header=BB224_10 Depth=1
	s_or_b32 exec_lo, exec_lo, s13
	v_cmp_ne_u16_sdwa s5, v0, v17 src0_sel:BYTE_1 src1_sel:DWORD
	s_and_saveexec_b32 s13, s5
	s_cbranch_execz .LBB224_186
; %bb.179:                              ;   in Loop: Header=BB224_10 Depth=1
	v_mov_b32_e32 v104, v17
	v_cmp_ne_u16_sdwa s5, v0, v125 src0_sel:BYTE_1 src1_sel:DWORD
	buffer_store_dword v104, off, s[0:3], s32 offset:356 ; 4-byte Folded Spill
	buffer_store_dword v105, off, s[0:3], s32 offset:360 ; 4-byte Folded Spill
	s_and_saveexec_b32 s15, s5
	s_cbranch_execz .LBB224_185
; %bb.180:                              ;   in Loop: Header=BB224_10 Depth=1
	v_mov_b32_e32 v1, 0xffff
	v_mov_b32_e32 v94, v17
	s_mov_b32 s17, exec_lo
	buffer_store_dword v94, off, s[0:3], s32 offset:356 ; 4-byte Folded Spill
	buffer_store_dword v95, off, s[0:3], s32 offset:360 ; 4-byte Folded Spill
	v_and_b32_sdwa v1, v1, v0 dst_sel:DWORD dst_unused:UNUSED_PAD src0_sel:DWORD src1_sel:BYTE_1
	v_and_b32_e32 v2, 0x7f, v1
	v_cmpx_ne_u32_e32 0x7f, v2
	s_cbranch_execz .LBB224_184
; %bb.181:                              ;   in Loop: Header=BB224_10 Depth=1
	v_and_b32_e32 v16, 7, v1
	v_lshrrev_b32_e32 v1, 3, v2
	s_mov_b32 s18, exec_lo
	v_cmpx_gt_u32_e32 8, v2
; %bb.182:                              ;   in Loop: Header=BB224_10 Depth=1
	v_ffbh_u32_e32 v1, v16
	v_min_u32_e32 v1, 32, v1
	v_subrev_nc_u32_e32 v2, 28, v1
	v_sub_nc_u32_e32 v1, 29, v1
	v_lshlrev_b64 v[2:3], v2, v[16:17]
	v_and_b32_e32 v16, 7, v2
; %bb.183:                              ;   in Loop: Header=BB224_10 Depth=1
	s_or_b32 exec_lo, exec_lo, s18
	v_lshlrev_b32_e32 v2, 16, v0
	v_lshlrev_b32_e32 v3, 20, v16
	v_lshl_add_u32 v1, v1, 23, 0x3c000000
	v_and_b32_e32 v2, 0x80000000, v2
	v_or3_b32 v2, v3, v2, v1
	v_mov_b32_e32 v1, v17
	buffer_store_dword v1, off, s[0:3], s32 offset:356 ; 4-byte Folded Spill
	buffer_store_dword v2, off, s[0:3], s32 offset:360 ; 4-byte Folded Spill
.LBB224_184:                            ;   in Loop: Header=BB224_10 Depth=1
	s_or_b32 exec_lo, exec_lo, s17
.LBB224_185:                            ;   in Loop: Header=BB224_10 Depth=1
	s_or_b32 exec_lo, exec_lo, s15
.LBB224_186:                            ;   in Loop: Header=BB224_10 Depth=1
	s_or_b32 exec_lo, exec_lo, s13
	v_mov_b32_e32 v2, 0
	v_mov_b32_e32 v3, 0
	;; [unrolled: 1-line block ×3, first 2 shown]
	s_mov_b32 s13, exec_lo
	buffer_store_dword v2, off, s[0:3], s32 offset:364 ; 4-byte Folded Spill
	buffer_store_dword v3, off, s[0:3], s32 offset:368 ; 4-byte Folded Spill
	v_mov_b32_e32 v2, 0
	v_and_b32_sdwa v1, v0, v1 dst_sel:DWORD dst_unused:UNUSED_PAD src0_sel:WORD_1 src1_sel:DWORD
	v_mov_b32_e32 v3, 0
	buffer_store_dword v2, off, s[0:3], s32 offset:372 ; 4-byte Folded Spill
	buffer_store_dword v3, off, s[0:3], s32 offset:376 ; 4-byte Folded Spill
	v_cmpx_ne_u16_e32 0, v1
	s_cbranch_execz .LBB224_194
; %bb.187:                              ;   in Loop: Header=BB224_10 Depth=1
	v_cmp_ne_u16_e64 s5, 0x80, v1
	v_bfrev_b32_e32 v1, 1
	v_mov_b32_e32 v2, 0
	buffer_store_dword v1, off, s[0:3], s32 offset:372 ; 4-byte Folded Spill
	buffer_store_dword v2, off, s[0:3], s32 offset:376 ; 4-byte Folded Spill
	s_and_saveexec_b32 s15, s5
	s_cbranch_execz .LBB224_193
; %bb.188:                              ;   in Loop: Header=BB224_10 Depth=1
	v_mov_b32_e32 v3, 0x7f800001
	v_bfe_u32 v2, v0, 16, 7
	v_mov_b32_e32 v4, 0
	s_mov_b32 s17, exec_lo
	buffer_store_dword v3, off, s[0:3], s32 offset:372 ; 4-byte Folded Spill
	buffer_store_dword v4, off, s[0:3], s32 offset:376 ; 4-byte Folded Spill
	v_cmpx_ne_u32_e32 0x7f, v2
	s_cbranch_execz .LBB224_192
; %bb.189:                              ;   in Loop: Header=BB224_10 Depth=1
	v_mov_b32_e32 v1, 7
	s_mov_b32 s18, exec_lo
	v_and_b32_sdwa v16, v0, v1 dst_sel:DWORD dst_unused:UNUSED_PAD src0_sel:WORD_1 src1_sel:DWORD
	v_lshrrev_b32_e32 v1, 3, v2
	v_cmpx_gt_u32_e32 8, v2
; %bb.190:                              ;   in Loop: Header=BB224_10 Depth=1
	v_ffbh_u32_e32 v1, v16
	v_min_u32_e32 v1, 32, v1
	v_subrev_nc_u32_e32 v2, 28, v1
	v_sub_nc_u32_e32 v1, 29, v1
	v_lshlrev_b64 v[2:3], v2, v[16:17]
	v_and_b32_e32 v16, 7, v2
; %bb.191:                              ;   in Loop: Header=BB224_10 Depth=1
	s_or_b32 exec_lo, exec_lo, s18
	v_mov_b32_e32 v2, 24
	v_lshlrev_b32_e32 v3, 20, v16
	v_lshl_add_u32 v1, v1, 23, 0x3c000000
	v_lshlrev_b32_sdwa v2, v2, v0 dst_sel:DWORD dst_unused:UNUSED_PAD src0_sel:DWORD src1_sel:WORD_1
	v_and_b32_e32 v2, 0x80000000, v2
	v_or3_b32 v16, v3, v2, v1
	buffer_store_dword v16, off, s[0:3], s32 offset:372 ; 4-byte Folded Spill
	buffer_store_dword v17, off, s[0:3], s32 offset:376 ; 4-byte Folded Spill
.LBB224_192:                            ;   in Loop: Header=BB224_10 Depth=1
	s_or_b32 exec_lo, exec_lo, s17
.LBB224_193:                            ;   in Loop: Header=BB224_10 Depth=1
	s_or_b32 exec_lo, exec_lo, s15
.LBB224_194:                            ;   in Loop: Header=BB224_10 Depth=1
	s_or_b32 exec_lo, exec_lo, s13
	s_mov_b32 s13, exec_lo
	v_cmpx_lt_u32_e32 0xffffff, v0
	s_cbranch_execz .LBB224_202
; %bb.195:                              ;   in Loop: Header=BB224_10 Depth=1
	v_mov_b32_e32 v104, v17
	v_cmp_ne_u32_sdwa s5, v0, v125 src0_sel:BYTE_3 src1_sel:DWORD
	buffer_store_dword v104, off, s[0:3], s32 offset:364 ; 4-byte Folded Spill
	buffer_store_dword v105, off, s[0:3], s32 offset:368 ; 4-byte Folded Spill
	s_and_saveexec_b32 s15, s5
	s_cbranch_execz .LBB224_201
; %bb.196:                              ;   in Loop: Header=BB224_10 Depth=1
	v_bfe_u32 v2, v0, 24, 7
	v_mov_b32_e32 v94, v17
	s_mov_b32 s17, exec_lo
	buffer_store_dword v94, off, s[0:3], s32 offset:364 ; 4-byte Folded Spill
	buffer_store_dword v95, off, s[0:3], s32 offset:368 ; 4-byte Folded Spill
	v_cmpx_ne_u32_e32 0x7f, v2
	s_cbranch_execz .LBB224_200
; %bb.197:                              ;   in Loop: Header=BB224_10 Depth=1
	v_mov_b32_e32 v1, 7
	s_mov_b32 s18, exec_lo
	v_and_b32_sdwa v16, v0, v1 dst_sel:DWORD dst_unused:UNUSED_PAD src0_sel:BYTE_3 src1_sel:DWORD
	v_lshrrev_b32_e32 v1, 3, v2
	v_cmpx_gt_u32_e32 8, v2
; %bb.198:                              ;   in Loop: Header=BB224_10 Depth=1
	v_ffbh_u32_e32 v1, v16
	v_min_u32_e32 v1, 32, v1
	v_subrev_nc_u32_e32 v2, 28, v1
	v_sub_nc_u32_e32 v1, 29, v1
	v_lshlrev_b64 v[2:3], v2, v[16:17]
	v_and_b32_e32 v16, 7, v2
; %bb.199:                              ;   in Loop: Header=BB224_10 Depth=1
	s_or_b32 exec_lo, exec_lo, s18
	v_mov_b32_e32 v2, 24
	v_lshl_add_u32 v1, v1, 23, 0x3c000000
	v_lshlrev_b32_sdwa v0, v2, v0 dst_sel:DWORD dst_unused:UNUSED_PAD src0_sel:DWORD src1_sel:BYTE_3
	v_lshlrev_b32_e32 v2, 20, v16
	v_and_b32_e32 v0, 0x80000000, v0
	v_or3_b32 v1, v2, v0, v1
	v_mov_b32_e32 v0, v17
	buffer_store_dword v0, off, s[0:3], s32 offset:364 ; 4-byte Folded Spill
	buffer_store_dword v1, off, s[0:3], s32 offset:368 ; 4-byte Folded Spill
.LBB224_200:                            ;   in Loop: Header=BB224_10 Depth=1
	s_or_b32 exec_lo, exec_lo, s17
.LBB224_201:                            ;   in Loop: Header=BB224_10 Depth=1
	s_or_b32 exec_lo, exec_lo, s15
.LBB224_202:                            ;   in Loop: Header=BB224_10 Depth=1
	s_or_b32 exec_lo, exec_lo, s13
	flat_load_dword v0, v[108:109] offset:520
	v_mov_b32_e32 v1, 0
	v_mov_b32_e32 v2, 0
	buffer_store_dword v1, off, s[0:3], s32 offset:388 ; 4-byte Folded Spill
	buffer_store_dword v2, off, s[0:3], s32 offset:392 ; 4-byte Folded Spill
	v_mov_b32_e32 v1, 0
	v_mov_b32_e32 v2, 0
	buffer_store_dword v1, off, s[0:3], s32 offset:380 ; 4-byte Folded Spill
	buffer_store_dword v2, off, s[0:3], s32 offset:384 ; 4-byte Folded Spill
	s_waitcnt vmcnt(0) lgkmcnt(0)
	v_cmp_ne_u16_sdwa s5, v0, v17 src0_sel:BYTE_0 src1_sel:DWORD
	s_and_saveexec_b32 s13, s5
	s_cbranch_execz .LBB224_210
; %bb.203:                              ;   in Loop: Header=BB224_10 Depth=1
	v_bfrev_b32_e32 v1, 1
	v_mov_b32_e32 v2, 0
	v_cmp_ne_u16_sdwa s5, v0, v125 src0_sel:BYTE_0 src1_sel:DWORD
	buffer_store_dword v1, off, s[0:3], s32 offset:380 ; 4-byte Folded Spill
	buffer_store_dword v2, off, s[0:3], s32 offset:384 ; 4-byte Folded Spill
	s_and_saveexec_b32 s15, s5
	s_cbranch_execz .LBB224_209
; %bb.204:                              ;   in Loop: Header=BB224_10 Depth=1
	v_mov_b32_e32 v3, 0x7f800001
	v_and_b32_e32 v2, 0x7f, v0
	v_mov_b32_e32 v4, 0
	s_mov_b32 s17, exec_lo
	buffer_store_dword v3, off, s[0:3], s32 offset:380 ; 4-byte Folded Spill
	buffer_store_dword v4, off, s[0:3], s32 offset:384 ; 4-byte Folded Spill
	v_cmpx_ne_u32_e32 0x7f, v2
	s_cbranch_execz .LBB224_208
; %bb.205:                              ;   in Loop: Header=BB224_10 Depth=1
	v_and_b32_e32 v16, 7, v0
	v_lshrrev_b32_e32 v1, 3, v2
	s_mov_b32 s18, exec_lo
	v_cmpx_gt_u32_e32 8, v2
; %bb.206:                              ;   in Loop: Header=BB224_10 Depth=1
	v_ffbh_u32_e32 v1, v16
	v_min_u32_e32 v1, 32, v1
	v_subrev_nc_u32_e32 v2, 28, v1
	v_sub_nc_u32_e32 v1, 29, v1
	v_lshlrev_b64 v[2:3], v2, v[16:17]
	v_and_b32_e32 v16, 7, v2
; %bb.207:                              ;   in Loop: Header=BB224_10 Depth=1
	s_or_b32 exec_lo, exec_lo, s18
	v_lshlrev_b32_e32 v2, 24, v0
	v_lshlrev_b32_e32 v3, 20, v16
	v_lshl_add_u32 v1, v1, 23, 0x3c000000
	v_and_b32_e32 v2, 0x80000000, v2
	v_or3_b32 v16, v3, v2, v1
	buffer_store_dword v16, off, s[0:3], s32 offset:380 ; 4-byte Folded Spill
	buffer_store_dword v17, off, s[0:3], s32 offset:384 ; 4-byte Folded Spill
.LBB224_208:                            ;   in Loop: Header=BB224_10 Depth=1
	s_or_b32 exec_lo, exec_lo, s17
.LBB224_209:                            ;   in Loop: Header=BB224_10 Depth=1
	s_or_b32 exec_lo, exec_lo, s15
.LBB224_210:                            ;   in Loop: Header=BB224_10 Depth=1
	s_or_b32 exec_lo, exec_lo, s13
	v_cmp_ne_u16_sdwa s5, v0, v17 src0_sel:BYTE_1 src1_sel:DWORD
	s_and_saveexec_b32 s13, s5
	s_cbranch_execz .LBB224_218
; %bb.211:                              ;   in Loop: Header=BB224_10 Depth=1
	v_mov_b32_e32 v104, v17
	v_cmp_ne_u16_sdwa s5, v0, v125 src0_sel:BYTE_1 src1_sel:DWORD
	buffer_store_dword v104, off, s[0:3], s32 offset:388 ; 4-byte Folded Spill
	buffer_store_dword v105, off, s[0:3], s32 offset:392 ; 4-byte Folded Spill
	s_and_saveexec_b32 s15, s5
	s_cbranch_execz .LBB224_217
; %bb.212:                              ;   in Loop: Header=BB224_10 Depth=1
	v_mov_b32_e32 v1, 0xffff
	v_mov_b32_e32 v94, v17
	s_mov_b32 s17, exec_lo
	buffer_store_dword v94, off, s[0:3], s32 offset:388 ; 4-byte Folded Spill
	buffer_store_dword v95, off, s[0:3], s32 offset:392 ; 4-byte Folded Spill
	v_and_b32_sdwa v1, v1, v0 dst_sel:DWORD dst_unused:UNUSED_PAD src0_sel:DWORD src1_sel:BYTE_1
	v_and_b32_e32 v2, 0x7f, v1
	v_cmpx_ne_u32_e32 0x7f, v2
	s_cbranch_execz .LBB224_216
; %bb.213:                              ;   in Loop: Header=BB224_10 Depth=1
	v_and_b32_e32 v16, 7, v1
	v_lshrrev_b32_e32 v1, 3, v2
	s_mov_b32 s18, exec_lo
	v_cmpx_gt_u32_e32 8, v2
; %bb.214:                              ;   in Loop: Header=BB224_10 Depth=1
	v_ffbh_u32_e32 v1, v16
	v_min_u32_e32 v1, 32, v1
	v_subrev_nc_u32_e32 v2, 28, v1
	v_sub_nc_u32_e32 v1, 29, v1
	v_lshlrev_b64 v[2:3], v2, v[16:17]
	v_and_b32_e32 v16, 7, v2
; %bb.215:                              ;   in Loop: Header=BB224_10 Depth=1
	s_or_b32 exec_lo, exec_lo, s18
	v_lshlrev_b32_e32 v2, 16, v0
	v_lshlrev_b32_e32 v3, 20, v16
	v_lshl_add_u32 v1, v1, 23, 0x3c000000
	v_and_b32_e32 v2, 0x80000000, v2
	v_or3_b32 v2, v3, v2, v1
	v_mov_b32_e32 v1, v17
	buffer_store_dword v1, off, s[0:3], s32 offset:388 ; 4-byte Folded Spill
	buffer_store_dword v2, off, s[0:3], s32 offset:392 ; 4-byte Folded Spill
.LBB224_216:                            ;   in Loop: Header=BB224_10 Depth=1
	s_or_b32 exec_lo, exec_lo, s17
.LBB224_217:                            ;   in Loop: Header=BB224_10 Depth=1
	s_or_b32 exec_lo, exec_lo, s15
.LBB224_218:                            ;   in Loop: Header=BB224_10 Depth=1
	s_or_b32 exec_lo, exec_lo, s13
	v_mov_b32_e32 v2, 0
	v_mov_b32_e32 v3, 0
	;; [unrolled: 1-line block ×3, first 2 shown]
	s_mov_b32 s13, exec_lo
	buffer_store_dword v2, off, s[0:3], s32 offset:396 ; 4-byte Folded Spill
	buffer_store_dword v3, off, s[0:3], s32 offset:400 ; 4-byte Folded Spill
	v_mov_b32_e32 v2, 0
	v_and_b32_sdwa v1, v0, v1 dst_sel:DWORD dst_unused:UNUSED_PAD src0_sel:WORD_1 src1_sel:DWORD
	v_mov_b32_e32 v3, 0
	buffer_store_dword v2, off, s[0:3], s32 offset:404 ; 4-byte Folded Spill
	buffer_store_dword v3, off, s[0:3], s32 offset:408 ; 4-byte Folded Spill
	v_cmpx_ne_u16_e32 0, v1
	s_cbranch_execz .LBB224_226
; %bb.219:                              ;   in Loop: Header=BB224_10 Depth=1
	v_cmp_ne_u16_e64 s5, 0x80, v1
	v_bfrev_b32_e32 v1, 1
	v_mov_b32_e32 v2, 0
	buffer_store_dword v1, off, s[0:3], s32 offset:404 ; 4-byte Folded Spill
	buffer_store_dword v2, off, s[0:3], s32 offset:408 ; 4-byte Folded Spill
	s_and_saveexec_b32 s15, s5
	s_cbranch_execz .LBB224_225
; %bb.220:                              ;   in Loop: Header=BB224_10 Depth=1
	v_mov_b32_e32 v3, 0x7f800001
	v_bfe_u32 v2, v0, 16, 7
	v_mov_b32_e32 v4, 0
	s_mov_b32 s17, exec_lo
	buffer_store_dword v3, off, s[0:3], s32 offset:404 ; 4-byte Folded Spill
	buffer_store_dword v4, off, s[0:3], s32 offset:408 ; 4-byte Folded Spill
	v_cmpx_ne_u32_e32 0x7f, v2
	s_cbranch_execz .LBB224_224
; %bb.221:                              ;   in Loop: Header=BB224_10 Depth=1
	v_mov_b32_e32 v1, 7
	s_mov_b32 s18, exec_lo
	v_and_b32_sdwa v16, v0, v1 dst_sel:DWORD dst_unused:UNUSED_PAD src0_sel:WORD_1 src1_sel:DWORD
	v_lshrrev_b32_e32 v1, 3, v2
	v_cmpx_gt_u32_e32 8, v2
; %bb.222:                              ;   in Loop: Header=BB224_10 Depth=1
	v_ffbh_u32_e32 v1, v16
	v_min_u32_e32 v1, 32, v1
	v_subrev_nc_u32_e32 v2, 28, v1
	v_sub_nc_u32_e32 v1, 29, v1
	v_lshlrev_b64 v[2:3], v2, v[16:17]
	v_and_b32_e32 v16, 7, v2
; %bb.223:                              ;   in Loop: Header=BB224_10 Depth=1
	s_or_b32 exec_lo, exec_lo, s18
	v_mov_b32_e32 v2, 24
	v_lshlrev_b32_e32 v3, 20, v16
	v_lshl_add_u32 v1, v1, 23, 0x3c000000
	v_lshlrev_b32_sdwa v2, v2, v0 dst_sel:DWORD dst_unused:UNUSED_PAD src0_sel:DWORD src1_sel:WORD_1
	v_and_b32_e32 v2, 0x80000000, v2
	v_or3_b32 v16, v3, v2, v1
	buffer_store_dword v16, off, s[0:3], s32 offset:404 ; 4-byte Folded Spill
	buffer_store_dword v17, off, s[0:3], s32 offset:408 ; 4-byte Folded Spill
.LBB224_224:                            ;   in Loop: Header=BB224_10 Depth=1
	s_or_b32 exec_lo, exec_lo, s17
.LBB224_225:                            ;   in Loop: Header=BB224_10 Depth=1
	s_or_b32 exec_lo, exec_lo, s15
.LBB224_226:                            ;   in Loop: Header=BB224_10 Depth=1
	s_or_b32 exec_lo, exec_lo, s13
	s_mov_b32 s13, exec_lo
	v_cmpx_lt_u32_e32 0xffffff, v0
	s_cbranch_execz .LBB224_234
; %bb.227:                              ;   in Loop: Header=BB224_10 Depth=1
	v_mov_b32_e32 v104, v17
	v_cmp_ne_u32_sdwa s5, v0, v125 src0_sel:BYTE_3 src1_sel:DWORD
	buffer_store_dword v104, off, s[0:3], s32 offset:396 ; 4-byte Folded Spill
	buffer_store_dword v105, off, s[0:3], s32 offset:400 ; 4-byte Folded Spill
	s_and_saveexec_b32 s15, s5
	s_cbranch_execz .LBB224_233
; %bb.228:                              ;   in Loop: Header=BB224_10 Depth=1
	v_bfe_u32 v2, v0, 24, 7
	v_mov_b32_e32 v94, v17
	s_mov_b32 s17, exec_lo
	buffer_store_dword v94, off, s[0:3], s32 offset:396 ; 4-byte Folded Spill
	buffer_store_dword v95, off, s[0:3], s32 offset:400 ; 4-byte Folded Spill
	v_cmpx_ne_u32_e32 0x7f, v2
	s_cbranch_execz .LBB224_232
; %bb.229:                              ;   in Loop: Header=BB224_10 Depth=1
	v_mov_b32_e32 v1, 7
	s_mov_b32 s18, exec_lo
	v_and_b32_sdwa v16, v0, v1 dst_sel:DWORD dst_unused:UNUSED_PAD src0_sel:BYTE_3 src1_sel:DWORD
	v_lshrrev_b32_e32 v1, 3, v2
	v_cmpx_gt_u32_e32 8, v2
; %bb.230:                              ;   in Loop: Header=BB224_10 Depth=1
	v_ffbh_u32_e32 v1, v16
	v_min_u32_e32 v1, 32, v1
	v_subrev_nc_u32_e32 v2, 28, v1
	v_sub_nc_u32_e32 v1, 29, v1
	v_lshlrev_b64 v[2:3], v2, v[16:17]
	v_and_b32_e32 v16, 7, v2
; %bb.231:                              ;   in Loop: Header=BB224_10 Depth=1
	s_or_b32 exec_lo, exec_lo, s18
	v_mov_b32_e32 v2, 24
	v_lshl_add_u32 v1, v1, 23, 0x3c000000
	v_lshlrev_b32_sdwa v0, v2, v0 dst_sel:DWORD dst_unused:UNUSED_PAD src0_sel:DWORD src1_sel:BYTE_3
	v_lshlrev_b32_e32 v2, 20, v16
	v_and_b32_e32 v0, 0x80000000, v0
	v_or3_b32 v1, v2, v0, v1
	v_mov_b32_e32 v0, v17
	buffer_store_dword v0, off, s[0:3], s32 offset:396 ; 4-byte Folded Spill
	buffer_store_dword v1, off, s[0:3], s32 offset:400 ; 4-byte Folded Spill
.LBB224_232:                            ;   in Loop: Header=BB224_10 Depth=1
	s_or_b32 exec_lo, exec_lo, s17
.LBB224_233:                            ;   in Loop: Header=BB224_10 Depth=1
	s_or_b32 exec_lo, exec_lo, s15
.LBB224_234:                            ;   in Loop: Header=BB224_10 Depth=1
	s_or_b32 exec_lo, exec_lo, s13
	flat_load_dword v0, v[108:109] offset:524
	v_mov_b32_e32 v1, 0
	v_mov_b32_e32 v2, 0
	buffer_store_dword v1, off, s[0:3], s32 offset:420 ; 4-byte Folded Spill
	buffer_store_dword v2, off, s[0:3], s32 offset:424 ; 4-byte Folded Spill
	v_mov_b32_e32 v1, 0
	v_mov_b32_e32 v2, 0
	buffer_store_dword v1, off, s[0:3], s32 offset:412 ; 4-byte Folded Spill
	buffer_store_dword v2, off, s[0:3], s32 offset:416 ; 4-byte Folded Spill
	s_waitcnt vmcnt(0) lgkmcnt(0)
	v_cmp_ne_u16_sdwa s5, v0, v17 src0_sel:BYTE_0 src1_sel:DWORD
	s_and_saveexec_b32 s13, s5
	s_cbranch_execz .LBB224_242
; %bb.235:                              ;   in Loop: Header=BB224_10 Depth=1
	v_bfrev_b32_e32 v1, 1
	v_mov_b32_e32 v2, 0
	v_cmp_ne_u16_sdwa s5, v0, v125 src0_sel:BYTE_0 src1_sel:DWORD
	buffer_store_dword v1, off, s[0:3], s32 offset:412 ; 4-byte Folded Spill
	buffer_store_dword v2, off, s[0:3], s32 offset:416 ; 4-byte Folded Spill
	s_and_saveexec_b32 s15, s5
	s_cbranch_execz .LBB224_241
; %bb.236:                              ;   in Loop: Header=BB224_10 Depth=1
	v_mov_b32_e32 v3, 0x7f800001
	v_and_b32_e32 v2, 0x7f, v0
	v_mov_b32_e32 v4, 0
	s_mov_b32 s17, exec_lo
	buffer_store_dword v3, off, s[0:3], s32 offset:412 ; 4-byte Folded Spill
	buffer_store_dword v4, off, s[0:3], s32 offset:416 ; 4-byte Folded Spill
	v_cmpx_ne_u32_e32 0x7f, v2
	s_cbranch_execz .LBB224_240
; %bb.237:                              ;   in Loop: Header=BB224_10 Depth=1
	v_and_b32_e32 v16, 7, v0
	v_lshrrev_b32_e32 v1, 3, v2
	s_mov_b32 s18, exec_lo
	v_cmpx_gt_u32_e32 8, v2
; %bb.238:                              ;   in Loop: Header=BB224_10 Depth=1
	v_ffbh_u32_e32 v1, v16
	v_min_u32_e32 v1, 32, v1
	v_subrev_nc_u32_e32 v2, 28, v1
	v_sub_nc_u32_e32 v1, 29, v1
	v_lshlrev_b64 v[2:3], v2, v[16:17]
	v_and_b32_e32 v16, 7, v2
; %bb.239:                              ;   in Loop: Header=BB224_10 Depth=1
	s_or_b32 exec_lo, exec_lo, s18
	v_lshlrev_b32_e32 v2, 24, v0
	v_lshlrev_b32_e32 v3, 20, v16
	v_lshl_add_u32 v1, v1, 23, 0x3c000000
	v_and_b32_e32 v2, 0x80000000, v2
	v_or3_b32 v16, v3, v2, v1
	buffer_store_dword v16, off, s[0:3], s32 offset:412 ; 4-byte Folded Spill
	buffer_store_dword v17, off, s[0:3], s32 offset:416 ; 4-byte Folded Spill
.LBB224_240:                            ;   in Loop: Header=BB224_10 Depth=1
	s_or_b32 exec_lo, exec_lo, s17
.LBB224_241:                            ;   in Loop: Header=BB224_10 Depth=1
	s_or_b32 exec_lo, exec_lo, s15
.LBB224_242:                            ;   in Loop: Header=BB224_10 Depth=1
	s_or_b32 exec_lo, exec_lo, s13
	v_cmp_ne_u16_sdwa s5, v0, v17 src0_sel:BYTE_1 src1_sel:DWORD
	s_and_saveexec_b32 s13, s5
	s_cbranch_execz .LBB224_250
; %bb.243:                              ;   in Loop: Header=BB224_10 Depth=1
	v_mov_b32_e32 v104, v17
	v_cmp_ne_u16_sdwa s5, v0, v125 src0_sel:BYTE_1 src1_sel:DWORD
	buffer_store_dword v104, off, s[0:3], s32 offset:420 ; 4-byte Folded Spill
	buffer_store_dword v105, off, s[0:3], s32 offset:424 ; 4-byte Folded Spill
	s_and_saveexec_b32 s15, s5
	s_cbranch_execz .LBB224_249
; %bb.244:                              ;   in Loop: Header=BB224_10 Depth=1
	v_mov_b32_e32 v1, 0xffff
	v_mov_b32_e32 v94, v17
	s_mov_b32 s17, exec_lo
	buffer_store_dword v94, off, s[0:3], s32 offset:420 ; 4-byte Folded Spill
	buffer_store_dword v95, off, s[0:3], s32 offset:424 ; 4-byte Folded Spill
	v_and_b32_sdwa v1, v1, v0 dst_sel:DWORD dst_unused:UNUSED_PAD src0_sel:DWORD src1_sel:BYTE_1
	v_and_b32_e32 v2, 0x7f, v1
	v_cmpx_ne_u32_e32 0x7f, v2
	s_cbranch_execz .LBB224_248
; %bb.245:                              ;   in Loop: Header=BB224_10 Depth=1
	v_and_b32_e32 v16, 7, v1
	v_lshrrev_b32_e32 v1, 3, v2
	s_mov_b32 s18, exec_lo
	v_cmpx_gt_u32_e32 8, v2
; %bb.246:                              ;   in Loop: Header=BB224_10 Depth=1
	v_ffbh_u32_e32 v1, v16
	v_min_u32_e32 v1, 32, v1
	v_subrev_nc_u32_e32 v2, 28, v1
	v_sub_nc_u32_e32 v1, 29, v1
	v_lshlrev_b64 v[2:3], v2, v[16:17]
	v_and_b32_e32 v16, 7, v2
; %bb.247:                              ;   in Loop: Header=BB224_10 Depth=1
	s_or_b32 exec_lo, exec_lo, s18
	v_lshlrev_b32_e32 v2, 16, v0
	v_lshlrev_b32_e32 v3, 20, v16
	v_lshl_add_u32 v1, v1, 23, 0x3c000000
	v_and_b32_e32 v2, 0x80000000, v2
	v_or3_b32 v2, v3, v2, v1
	v_mov_b32_e32 v1, v17
	buffer_store_dword v1, off, s[0:3], s32 offset:420 ; 4-byte Folded Spill
	buffer_store_dword v2, off, s[0:3], s32 offset:424 ; 4-byte Folded Spill
.LBB224_248:                            ;   in Loop: Header=BB224_10 Depth=1
	s_or_b32 exec_lo, exec_lo, s17
.LBB224_249:                            ;   in Loop: Header=BB224_10 Depth=1
	s_or_b32 exec_lo, exec_lo, s15
.LBB224_250:                            ;   in Loop: Header=BB224_10 Depth=1
	s_or_b32 exec_lo, exec_lo, s13
	v_mov_b32_e32 v2, 0
	v_mov_b32_e32 v3, 0
	;; [unrolled: 1-line block ×3, first 2 shown]
	s_mov_b32 s13, exec_lo
	buffer_store_dword v2, off, s[0:3], s32 offset:428 ; 4-byte Folded Spill
	buffer_store_dword v3, off, s[0:3], s32 offset:432 ; 4-byte Folded Spill
	v_mov_b32_e32 v2, 0
	v_and_b32_sdwa v1, v0, v1 dst_sel:DWORD dst_unused:UNUSED_PAD src0_sel:WORD_1 src1_sel:DWORD
	v_mov_b32_e32 v3, 0
	buffer_store_dword v2, off, s[0:3], s32 offset:436 ; 4-byte Folded Spill
	buffer_store_dword v3, off, s[0:3], s32 offset:440 ; 4-byte Folded Spill
	v_cmpx_ne_u16_e32 0, v1
	s_cbranch_execz .LBB224_258
; %bb.251:                              ;   in Loop: Header=BB224_10 Depth=1
	v_cmp_ne_u16_e64 s5, 0x80, v1
	v_bfrev_b32_e32 v1, 1
	v_mov_b32_e32 v2, 0
	buffer_store_dword v1, off, s[0:3], s32 offset:436 ; 4-byte Folded Spill
	buffer_store_dword v2, off, s[0:3], s32 offset:440 ; 4-byte Folded Spill
	s_and_saveexec_b32 s15, s5
	s_cbranch_execz .LBB224_257
; %bb.252:                              ;   in Loop: Header=BB224_10 Depth=1
	v_mov_b32_e32 v3, 0x7f800001
	v_bfe_u32 v2, v0, 16, 7
	v_mov_b32_e32 v4, 0
	s_mov_b32 s17, exec_lo
	buffer_store_dword v3, off, s[0:3], s32 offset:436 ; 4-byte Folded Spill
	buffer_store_dword v4, off, s[0:3], s32 offset:440 ; 4-byte Folded Spill
	v_cmpx_ne_u32_e32 0x7f, v2
	s_cbranch_execz .LBB224_256
; %bb.253:                              ;   in Loop: Header=BB224_10 Depth=1
	v_mov_b32_e32 v1, 7
	s_mov_b32 s18, exec_lo
	v_and_b32_sdwa v16, v0, v1 dst_sel:DWORD dst_unused:UNUSED_PAD src0_sel:WORD_1 src1_sel:DWORD
	v_lshrrev_b32_e32 v1, 3, v2
	v_cmpx_gt_u32_e32 8, v2
; %bb.254:                              ;   in Loop: Header=BB224_10 Depth=1
	v_ffbh_u32_e32 v1, v16
	v_min_u32_e32 v1, 32, v1
	v_subrev_nc_u32_e32 v2, 28, v1
	v_sub_nc_u32_e32 v1, 29, v1
	v_lshlrev_b64 v[2:3], v2, v[16:17]
	v_and_b32_e32 v16, 7, v2
; %bb.255:                              ;   in Loop: Header=BB224_10 Depth=1
	s_or_b32 exec_lo, exec_lo, s18
	v_mov_b32_e32 v2, 24
	v_lshlrev_b32_e32 v3, 20, v16
	v_lshl_add_u32 v1, v1, 23, 0x3c000000
	v_lshlrev_b32_sdwa v2, v2, v0 dst_sel:DWORD dst_unused:UNUSED_PAD src0_sel:DWORD src1_sel:WORD_1
	v_and_b32_e32 v2, 0x80000000, v2
	v_or3_b32 v16, v3, v2, v1
	buffer_store_dword v16, off, s[0:3], s32 offset:436 ; 4-byte Folded Spill
	buffer_store_dword v17, off, s[0:3], s32 offset:440 ; 4-byte Folded Spill
.LBB224_256:                            ;   in Loop: Header=BB224_10 Depth=1
	s_or_b32 exec_lo, exec_lo, s17
.LBB224_257:                            ;   in Loop: Header=BB224_10 Depth=1
	s_or_b32 exec_lo, exec_lo, s15
.LBB224_258:                            ;   in Loop: Header=BB224_10 Depth=1
	s_or_b32 exec_lo, exec_lo, s13
	s_mov_b32 s13, exec_lo
	v_cmpx_lt_u32_e32 0xffffff, v0
	s_cbranch_execz .LBB224_266
; %bb.259:                              ;   in Loop: Header=BB224_10 Depth=1
	v_mov_b32_e32 v104, v17
	v_cmp_ne_u32_sdwa s5, v0, v125 src0_sel:BYTE_3 src1_sel:DWORD
	buffer_store_dword v104, off, s[0:3], s32 offset:428 ; 4-byte Folded Spill
	buffer_store_dword v105, off, s[0:3], s32 offset:432 ; 4-byte Folded Spill
	s_and_saveexec_b32 s15, s5
	s_cbranch_execz .LBB224_265
; %bb.260:                              ;   in Loop: Header=BB224_10 Depth=1
	v_bfe_u32 v2, v0, 24, 7
	v_mov_b32_e32 v94, v17
	s_mov_b32 s17, exec_lo
	buffer_store_dword v94, off, s[0:3], s32 offset:428 ; 4-byte Folded Spill
	buffer_store_dword v95, off, s[0:3], s32 offset:432 ; 4-byte Folded Spill
	v_cmpx_ne_u32_e32 0x7f, v2
	s_cbranch_execz .LBB224_264
; %bb.261:                              ;   in Loop: Header=BB224_10 Depth=1
	v_mov_b32_e32 v1, 7
	s_mov_b32 s18, exec_lo
	v_and_b32_sdwa v16, v0, v1 dst_sel:DWORD dst_unused:UNUSED_PAD src0_sel:BYTE_3 src1_sel:DWORD
	v_lshrrev_b32_e32 v1, 3, v2
	v_cmpx_gt_u32_e32 8, v2
; %bb.262:                              ;   in Loop: Header=BB224_10 Depth=1
	v_ffbh_u32_e32 v1, v16
	v_min_u32_e32 v1, 32, v1
	v_subrev_nc_u32_e32 v2, 28, v1
	v_sub_nc_u32_e32 v1, 29, v1
	v_lshlrev_b64 v[2:3], v2, v[16:17]
	v_and_b32_e32 v16, 7, v2
; %bb.263:                              ;   in Loop: Header=BB224_10 Depth=1
	s_or_b32 exec_lo, exec_lo, s18
	v_mov_b32_e32 v2, 24
	v_lshl_add_u32 v1, v1, 23, 0x3c000000
	v_lshlrev_b32_sdwa v0, v2, v0 dst_sel:DWORD dst_unused:UNUSED_PAD src0_sel:DWORD src1_sel:BYTE_3
	v_lshlrev_b32_e32 v2, 20, v16
	v_and_b32_e32 v0, 0x80000000, v0
	v_or3_b32 v1, v2, v0, v1
	v_mov_b32_e32 v0, v17
	buffer_store_dword v0, off, s[0:3], s32 offset:428 ; 4-byte Folded Spill
	buffer_store_dword v1, off, s[0:3], s32 offset:432 ; 4-byte Folded Spill
.LBB224_264:                            ;   in Loop: Header=BB224_10 Depth=1
	s_or_b32 exec_lo, exec_lo, s17
.LBB224_265:                            ;   in Loop: Header=BB224_10 Depth=1
	s_or_b32 exec_lo, exec_lo, s15
.LBB224_266:                            ;   in Loop: Header=BB224_10 Depth=1
	s_or_b32 exec_lo, exec_lo, s13
	flat_load_dword v0, v[108:109] offset:1024
	v_mov_b32_e32 v1, 0
	v_mov_b32_e32 v2, 0
	buffer_store_dword v1, off, s[0:3], s32 offset:452 ; 4-byte Folded Spill
	buffer_store_dword v2, off, s[0:3], s32 offset:456 ; 4-byte Folded Spill
	v_mov_b32_e32 v1, 0
	v_mov_b32_e32 v2, 0
	buffer_store_dword v1, off, s[0:3], s32 offset:444 ; 4-byte Folded Spill
	buffer_store_dword v2, off, s[0:3], s32 offset:448 ; 4-byte Folded Spill
	s_waitcnt vmcnt(0) lgkmcnt(0)
	v_cmp_ne_u16_sdwa s5, v0, v17 src0_sel:BYTE_0 src1_sel:DWORD
	s_and_saveexec_b32 s13, s5
	s_cbranch_execz .LBB224_274
; %bb.267:                              ;   in Loop: Header=BB224_10 Depth=1
	v_bfrev_b32_e32 v1, 1
	v_mov_b32_e32 v2, 0
	v_cmp_ne_u16_sdwa s5, v0, v125 src0_sel:BYTE_0 src1_sel:DWORD
	buffer_store_dword v1, off, s[0:3], s32 offset:444 ; 4-byte Folded Spill
	buffer_store_dword v2, off, s[0:3], s32 offset:448 ; 4-byte Folded Spill
	s_and_saveexec_b32 s15, s5
	s_cbranch_execz .LBB224_273
; %bb.268:                              ;   in Loop: Header=BB224_10 Depth=1
	v_mov_b32_e32 v3, 0x7f800001
	v_and_b32_e32 v2, 0x7f, v0
	v_mov_b32_e32 v4, 0
	s_mov_b32 s17, exec_lo
	buffer_store_dword v3, off, s[0:3], s32 offset:444 ; 4-byte Folded Spill
	buffer_store_dword v4, off, s[0:3], s32 offset:448 ; 4-byte Folded Spill
	v_cmpx_ne_u32_e32 0x7f, v2
	s_cbranch_execz .LBB224_272
; %bb.269:                              ;   in Loop: Header=BB224_10 Depth=1
	v_and_b32_e32 v16, 7, v0
	v_lshrrev_b32_e32 v1, 3, v2
	s_mov_b32 s18, exec_lo
	v_cmpx_gt_u32_e32 8, v2
; %bb.270:                              ;   in Loop: Header=BB224_10 Depth=1
	v_ffbh_u32_e32 v1, v16
	v_min_u32_e32 v1, 32, v1
	v_subrev_nc_u32_e32 v2, 28, v1
	v_sub_nc_u32_e32 v1, 29, v1
	v_lshlrev_b64 v[2:3], v2, v[16:17]
	v_and_b32_e32 v16, 7, v2
; %bb.271:                              ;   in Loop: Header=BB224_10 Depth=1
	s_or_b32 exec_lo, exec_lo, s18
	v_lshlrev_b32_e32 v2, 24, v0
	v_lshlrev_b32_e32 v3, 20, v16
	v_lshl_add_u32 v1, v1, 23, 0x3c000000
	v_and_b32_e32 v2, 0x80000000, v2
	v_or3_b32 v16, v3, v2, v1
	buffer_store_dword v16, off, s[0:3], s32 offset:444 ; 4-byte Folded Spill
	buffer_store_dword v17, off, s[0:3], s32 offset:448 ; 4-byte Folded Spill
.LBB224_272:                            ;   in Loop: Header=BB224_10 Depth=1
	s_or_b32 exec_lo, exec_lo, s17
.LBB224_273:                            ;   in Loop: Header=BB224_10 Depth=1
	s_or_b32 exec_lo, exec_lo, s15
.LBB224_274:                            ;   in Loop: Header=BB224_10 Depth=1
	s_or_b32 exec_lo, exec_lo, s13
	v_cmp_ne_u16_sdwa s5, v0, v17 src0_sel:BYTE_1 src1_sel:DWORD
	s_and_saveexec_b32 s13, s5
	s_cbranch_execz .LBB224_282
; %bb.275:                              ;   in Loop: Header=BB224_10 Depth=1
	v_mov_b32_e32 v104, v17
	v_cmp_ne_u16_sdwa s5, v0, v125 src0_sel:BYTE_1 src1_sel:DWORD
	buffer_store_dword v104, off, s[0:3], s32 offset:452 ; 4-byte Folded Spill
	buffer_store_dword v105, off, s[0:3], s32 offset:456 ; 4-byte Folded Spill
	s_and_saveexec_b32 s15, s5
	s_cbranch_execz .LBB224_281
; %bb.276:                              ;   in Loop: Header=BB224_10 Depth=1
	v_mov_b32_e32 v1, 0xffff
	v_mov_b32_e32 v94, v17
	s_mov_b32 s17, exec_lo
	buffer_store_dword v94, off, s[0:3], s32 offset:452 ; 4-byte Folded Spill
	buffer_store_dword v95, off, s[0:3], s32 offset:456 ; 4-byte Folded Spill
	v_and_b32_sdwa v1, v1, v0 dst_sel:DWORD dst_unused:UNUSED_PAD src0_sel:DWORD src1_sel:BYTE_1
	v_and_b32_e32 v2, 0x7f, v1
	v_cmpx_ne_u32_e32 0x7f, v2
	s_cbranch_execz .LBB224_280
; %bb.277:                              ;   in Loop: Header=BB224_10 Depth=1
	v_and_b32_e32 v16, 7, v1
	v_lshrrev_b32_e32 v1, 3, v2
	s_mov_b32 s18, exec_lo
	v_cmpx_gt_u32_e32 8, v2
; %bb.278:                              ;   in Loop: Header=BB224_10 Depth=1
	v_ffbh_u32_e32 v1, v16
	v_min_u32_e32 v1, 32, v1
	v_subrev_nc_u32_e32 v2, 28, v1
	v_sub_nc_u32_e32 v1, 29, v1
	v_lshlrev_b64 v[2:3], v2, v[16:17]
	v_and_b32_e32 v16, 7, v2
; %bb.279:                              ;   in Loop: Header=BB224_10 Depth=1
	s_or_b32 exec_lo, exec_lo, s18
	v_lshlrev_b32_e32 v2, 16, v0
	v_lshlrev_b32_e32 v3, 20, v16
	v_lshl_add_u32 v1, v1, 23, 0x3c000000
	v_and_b32_e32 v2, 0x80000000, v2
	v_or3_b32 v2, v3, v2, v1
	v_mov_b32_e32 v1, v17
	buffer_store_dword v1, off, s[0:3], s32 offset:452 ; 4-byte Folded Spill
	buffer_store_dword v2, off, s[0:3], s32 offset:456 ; 4-byte Folded Spill
.LBB224_280:                            ;   in Loop: Header=BB224_10 Depth=1
	s_or_b32 exec_lo, exec_lo, s17
.LBB224_281:                            ;   in Loop: Header=BB224_10 Depth=1
	s_or_b32 exec_lo, exec_lo, s15
.LBB224_282:                            ;   in Loop: Header=BB224_10 Depth=1
	s_or_b32 exec_lo, exec_lo, s13
	v_mov_b32_e32 v2, 0
	v_mov_b32_e32 v3, 0
	;; [unrolled: 1-line block ×3, first 2 shown]
	s_mov_b32 s13, exec_lo
	buffer_store_dword v2, off, s[0:3], s32 offset:460 ; 4-byte Folded Spill
	buffer_store_dword v3, off, s[0:3], s32 offset:464 ; 4-byte Folded Spill
	v_mov_b32_e32 v2, 0
	v_and_b32_sdwa v1, v0, v1 dst_sel:DWORD dst_unused:UNUSED_PAD src0_sel:WORD_1 src1_sel:DWORD
	v_mov_b32_e32 v3, 0
	buffer_store_dword v2, off, s[0:3], s32 offset:468 ; 4-byte Folded Spill
	buffer_store_dword v3, off, s[0:3], s32 offset:472 ; 4-byte Folded Spill
	v_cmpx_ne_u16_e32 0, v1
	s_cbranch_execz .LBB224_290
; %bb.283:                              ;   in Loop: Header=BB224_10 Depth=1
	v_cmp_ne_u16_e64 s5, 0x80, v1
	v_bfrev_b32_e32 v1, 1
	v_mov_b32_e32 v2, 0
	buffer_store_dword v1, off, s[0:3], s32 offset:468 ; 4-byte Folded Spill
	buffer_store_dword v2, off, s[0:3], s32 offset:472 ; 4-byte Folded Spill
	s_and_saveexec_b32 s15, s5
	s_cbranch_execz .LBB224_289
; %bb.284:                              ;   in Loop: Header=BB224_10 Depth=1
	v_mov_b32_e32 v3, 0x7f800001
	v_bfe_u32 v2, v0, 16, 7
	v_mov_b32_e32 v4, 0
	s_mov_b32 s17, exec_lo
	buffer_store_dword v3, off, s[0:3], s32 offset:468 ; 4-byte Folded Spill
	buffer_store_dword v4, off, s[0:3], s32 offset:472 ; 4-byte Folded Spill
	v_cmpx_ne_u32_e32 0x7f, v2
	s_cbranch_execz .LBB224_288
; %bb.285:                              ;   in Loop: Header=BB224_10 Depth=1
	v_mov_b32_e32 v1, 7
	s_mov_b32 s18, exec_lo
	v_and_b32_sdwa v16, v0, v1 dst_sel:DWORD dst_unused:UNUSED_PAD src0_sel:WORD_1 src1_sel:DWORD
	v_lshrrev_b32_e32 v1, 3, v2
	v_cmpx_gt_u32_e32 8, v2
; %bb.286:                              ;   in Loop: Header=BB224_10 Depth=1
	v_ffbh_u32_e32 v1, v16
	v_min_u32_e32 v1, 32, v1
	v_subrev_nc_u32_e32 v2, 28, v1
	v_sub_nc_u32_e32 v1, 29, v1
	v_lshlrev_b64 v[2:3], v2, v[16:17]
	v_and_b32_e32 v16, 7, v2
; %bb.287:                              ;   in Loop: Header=BB224_10 Depth=1
	s_or_b32 exec_lo, exec_lo, s18
	v_mov_b32_e32 v2, 24
	v_lshlrev_b32_e32 v3, 20, v16
	v_lshl_add_u32 v1, v1, 23, 0x3c000000
	v_lshlrev_b32_sdwa v2, v2, v0 dst_sel:DWORD dst_unused:UNUSED_PAD src0_sel:DWORD src1_sel:WORD_1
	v_and_b32_e32 v2, 0x80000000, v2
	v_or3_b32 v16, v3, v2, v1
	buffer_store_dword v16, off, s[0:3], s32 offset:468 ; 4-byte Folded Spill
	buffer_store_dword v17, off, s[0:3], s32 offset:472 ; 4-byte Folded Spill
.LBB224_288:                            ;   in Loop: Header=BB224_10 Depth=1
	s_or_b32 exec_lo, exec_lo, s17
.LBB224_289:                            ;   in Loop: Header=BB224_10 Depth=1
	s_or_b32 exec_lo, exec_lo, s15
.LBB224_290:                            ;   in Loop: Header=BB224_10 Depth=1
	s_or_b32 exec_lo, exec_lo, s13
	s_mov_b32 s13, exec_lo
	v_cmpx_lt_u32_e32 0xffffff, v0
	s_cbranch_execz .LBB224_298
; %bb.291:                              ;   in Loop: Header=BB224_10 Depth=1
	v_mov_b32_e32 v104, v17
	v_cmp_ne_u32_sdwa s5, v0, v125 src0_sel:BYTE_3 src1_sel:DWORD
	buffer_store_dword v104, off, s[0:3], s32 offset:460 ; 4-byte Folded Spill
	buffer_store_dword v105, off, s[0:3], s32 offset:464 ; 4-byte Folded Spill
	s_and_saveexec_b32 s15, s5
	s_cbranch_execz .LBB224_297
; %bb.292:                              ;   in Loop: Header=BB224_10 Depth=1
	v_bfe_u32 v2, v0, 24, 7
	v_mov_b32_e32 v94, v17
	s_mov_b32 s17, exec_lo
	buffer_store_dword v94, off, s[0:3], s32 offset:460 ; 4-byte Folded Spill
	buffer_store_dword v95, off, s[0:3], s32 offset:464 ; 4-byte Folded Spill
	v_cmpx_ne_u32_e32 0x7f, v2
	s_cbranch_execz .LBB224_296
; %bb.293:                              ;   in Loop: Header=BB224_10 Depth=1
	v_mov_b32_e32 v1, 7
	s_mov_b32 s18, exec_lo
	v_and_b32_sdwa v16, v0, v1 dst_sel:DWORD dst_unused:UNUSED_PAD src0_sel:BYTE_3 src1_sel:DWORD
	v_lshrrev_b32_e32 v1, 3, v2
	v_cmpx_gt_u32_e32 8, v2
; %bb.294:                              ;   in Loop: Header=BB224_10 Depth=1
	v_ffbh_u32_e32 v1, v16
	v_min_u32_e32 v1, 32, v1
	v_subrev_nc_u32_e32 v2, 28, v1
	v_sub_nc_u32_e32 v1, 29, v1
	v_lshlrev_b64 v[2:3], v2, v[16:17]
	v_and_b32_e32 v16, 7, v2
; %bb.295:                              ;   in Loop: Header=BB224_10 Depth=1
	s_or_b32 exec_lo, exec_lo, s18
	v_mov_b32_e32 v2, 24
	v_lshl_add_u32 v1, v1, 23, 0x3c000000
	v_lshlrev_b32_sdwa v0, v2, v0 dst_sel:DWORD dst_unused:UNUSED_PAD src0_sel:DWORD src1_sel:BYTE_3
	v_lshlrev_b32_e32 v2, 20, v16
	v_and_b32_e32 v0, 0x80000000, v0
	v_or3_b32 v1, v2, v0, v1
	v_mov_b32_e32 v0, v17
	buffer_store_dword v0, off, s[0:3], s32 offset:460 ; 4-byte Folded Spill
	buffer_store_dword v1, off, s[0:3], s32 offset:464 ; 4-byte Folded Spill
.LBB224_296:                            ;   in Loop: Header=BB224_10 Depth=1
	s_or_b32 exec_lo, exec_lo, s17
.LBB224_297:                            ;   in Loop: Header=BB224_10 Depth=1
	s_or_b32 exec_lo, exec_lo, s15
.LBB224_298:                            ;   in Loop: Header=BB224_10 Depth=1
	s_or_b32 exec_lo, exec_lo, s13
	flat_load_dword v0, v[108:109] offset:1028
	v_mov_b32_e32 v1, 0
	v_mov_b32_e32 v2, 0
	buffer_store_dword v1, off, s[0:3], s32 offset:484 ; 4-byte Folded Spill
	buffer_store_dword v2, off, s[0:3], s32 offset:488 ; 4-byte Folded Spill
	v_mov_b32_e32 v1, 0
	v_mov_b32_e32 v2, 0
	buffer_store_dword v1, off, s[0:3], s32 offset:476 ; 4-byte Folded Spill
	buffer_store_dword v2, off, s[0:3], s32 offset:480 ; 4-byte Folded Spill
	s_waitcnt vmcnt(0) lgkmcnt(0)
	v_cmp_ne_u16_sdwa s5, v0, v17 src0_sel:BYTE_0 src1_sel:DWORD
	s_and_saveexec_b32 s13, s5
	s_cbranch_execz .LBB224_306
; %bb.299:                              ;   in Loop: Header=BB224_10 Depth=1
	v_bfrev_b32_e32 v1, 1
	v_mov_b32_e32 v2, 0
	v_cmp_ne_u16_sdwa s5, v0, v125 src0_sel:BYTE_0 src1_sel:DWORD
	buffer_store_dword v1, off, s[0:3], s32 offset:476 ; 4-byte Folded Spill
	buffer_store_dword v2, off, s[0:3], s32 offset:480 ; 4-byte Folded Spill
	s_and_saveexec_b32 s15, s5
	s_cbranch_execz .LBB224_305
; %bb.300:                              ;   in Loop: Header=BB224_10 Depth=1
	v_mov_b32_e32 v3, 0x7f800001
	v_and_b32_e32 v2, 0x7f, v0
	v_mov_b32_e32 v4, 0
	s_mov_b32 s17, exec_lo
	buffer_store_dword v3, off, s[0:3], s32 offset:476 ; 4-byte Folded Spill
	buffer_store_dword v4, off, s[0:3], s32 offset:480 ; 4-byte Folded Spill
	v_cmpx_ne_u32_e32 0x7f, v2
	s_cbranch_execz .LBB224_304
; %bb.301:                              ;   in Loop: Header=BB224_10 Depth=1
	v_and_b32_e32 v16, 7, v0
	v_lshrrev_b32_e32 v1, 3, v2
	s_mov_b32 s18, exec_lo
	v_cmpx_gt_u32_e32 8, v2
; %bb.302:                              ;   in Loop: Header=BB224_10 Depth=1
	v_ffbh_u32_e32 v1, v16
	v_min_u32_e32 v1, 32, v1
	v_subrev_nc_u32_e32 v2, 28, v1
	v_sub_nc_u32_e32 v1, 29, v1
	v_lshlrev_b64 v[2:3], v2, v[16:17]
	v_and_b32_e32 v16, 7, v2
; %bb.303:                              ;   in Loop: Header=BB224_10 Depth=1
	s_or_b32 exec_lo, exec_lo, s18
	v_lshlrev_b32_e32 v2, 24, v0
	v_lshlrev_b32_e32 v3, 20, v16
	v_lshl_add_u32 v1, v1, 23, 0x3c000000
	v_and_b32_e32 v2, 0x80000000, v2
	v_or3_b32 v16, v3, v2, v1
	buffer_store_dword v16, off, s[0:3], s32 offset:476 ; 4-byte Folded Spill
	buffer_store_dword v17, off, s[0:3], s32 offset:480 ; 4-byte Folded Spill
.LBB224_304:                            ;   in Loop: Header=BB224_10 Depth=1
	s_or_b32 exec_lo, exec_lo, s17
.LBB224_305:                            ;   in Loop: Header=BB224_10 Depth=1
	s_or_b32 exec_lo, exec_lo, s15
.LBB224_306:                            ;   in Loop: Header=BB224_10 Depth=1
	s_or_b32 exec_lo, exec_lo, s13
	v_cmp_ne_u16_sdwa s5, v0, v17 src0_sel:BYTE_1 src1_sel:DWORD
	s_and_saveexec_b32 s13, s5
	s_cbranch_execz .LBB224_314
; %bb.307:                              ;   in Loop: Header=BB224_10 Depth=1
	v_mov_b32_e32 v104, v17
	v_cmp_ne_u16_sdwa s5, v0, v125 src0_sel:BYTE_1 src1_sel:DWORD
	buffer_store_dword v104, off, s[0:3], s32 offset:484 ; 4-byte Folded Spill
	buffer_store_dword v105, off, s[0:3], s32 offset:488 ; 4-byte Folded Spill
	s_and_saveexec_b32 s15, s5
	s_cbranch_execz .LBB224_313
; %bb.308:                              ;   in Loop: Header=BB224_10 Depth=1
	v_mov_b32_e32 v1, 0xffff
	v_mov_b32_e32 v94, v17
	s_mov_b32 s17, exec_lo
	buffer_store_dword v94, off, s[0:3], s32 offset:484 ; 4-byte Folded Spill
	buffer_store_dword v95, off, s[0:3], s32 offset:488 ; 4-byte Folded Spill
	v_and_b32_sdwa v1, v1, v0 dst_sel:DWORD dst_unused:UNUSED_PAD src0_sel:DWORD src1_sel:BYTE_1
	v_and_b32_e32 v2, 0x7f, v1
	v_cmpx_ne_u32_e32 0x7f, v2
	s_cbranch_execz .LBB224_312
; %bb.309:                              ;   in Loop: Header=BB224_10 Depth=1
	v_and_b32_e32 v16, 7, v1
	v_lshrrev_b32_e32 v1, 3, v2
	s_mov_b32 s18, exec_lo
	v_cmpx_gt_u32_e32 8, v2
; %bb.310:                              ;   in Loop: Header=BB224_10 Depth=1
	v_ffbh_u32_e32 v1, v16
	v_min_u32_e32 v1, 32, v1
	v_subrev_nc_u32_e32 v2, 28, v1
	v_sub_nc_u32_e32 v1, 29, v1
	v_lshlrev_b64 v[2:3], v2, v[16:17]
	v_and_b32_e32 v16, 7, v2
; %bb.311:                              ;   in Loop: Header=BB224_10 Depth=1
	s_or_b32 exec_lo, exec_lo, s18
	v_lshlrev_b32_e32 v2, 16, v0
	v_lshlrev_b32_e32 v3, 20, v16
	v_lshl_add_u32 v1, v1, 23, 0x3c000000
	v_and_b32_e32 v2, 0x80000000, v2
	v_or3_b32 v2, v3, v2, v1
	v_mov_b32_e32 v1, v17
	buffer_store_dword v1, off, s[0:3], s32 offset:484 ; 4-byte Folded Spill
	buffer_store_dword v2, off, s[0:3], s32 offset:488 ; 4-byte Folded Spill
.LBB224_312:                            ;   in Loop: Header=BB224_10 Depth=1
	s_or_b32 exec_lo, exec_lo, s17
.LBB224_313:                            ;   in Loop: Header=BB224_10 Depth=1
	s_or_b32 exec_lo, exec_lo, s15
.LBB224_314:                            ;   in Loop: Header=BB224_10 Depth=1
	s_or_b32 exec_lo, exec_lo, s13
	v_mov_b32_e32 v2, 0
	v_mov_b32_e32 v3, 0
	;; [unrolled: 1-line block ×3, first 2 shown]
	s_mov_b32 s13, exec_lo
	buffer_store_dword v2, off, s[0:3], s32 offset:492 ; 4-byte Folded Spill
	buffer_store_dword v3, off, s[0:3], s32 offset:496 ; 4-byte Folded Spill
	v_mov_b32_e32 v2, 0
	v_and_b32_sdwa v1, v0, v1 dst_sel:DWORD dst_unused:UNUSED_PAD src0_sel:WORD_1 src1_sel:DWORD
	v_mov_b32_e32 v3, 0
	buffer_store_dword v2, off, s[0:3], s32 offset:500 ; 4-byte Folded Spill
	buffer_store_dword v3, off, s[0:3], s32 offset:504 ; 4-byte Folded Spill
	v_cmpx_ne_u16_e32 0, v1
	s_cbranch_execz .LBB224_322
; %bb.315:                              ;   in Loop: Header=BB224_10 Depth=1
	v_cmp_ne_u16_e64 s5, 0x80, v1
	v_bfrev_b32_e32 v1, 1
	v_mov_b32_e32 v2, 0
	buffer_store_dword v1, off, s[0:3], s32 offset:500 ; 4-byte Folded Spill
	buffer_store_dword v2, off, s[0:3], s32 offset:504 ; 4-byte Folded Spill
	s_and_saveexec_b32 s15, s5
	s_cbranch_execz .LBB224_321
; %bb.316:                              ;   in Loop: Header=BB224_10 Depth=1
	v_mov_b32_e32 v3, 0x7f800001
	v_bfe_u32 v2, v0, 16, 7
	v_mov_b32_e32 v4, 0
	s_mov_b32 s17, exec_lo
	buffer_store_dword v3, off, s[0:3], s32 offset:500 ; 4-byte Folded Spill
	buffer_store_dword v4, off, s[0:3], s32 offset:504 ; 4-byte Folded Spill
	v_cmpx_ne_u32_e32 0x7f, v2
	s_cbranch_execz .LBB224_320
; %bb.317:                              ;   in Loop: Header=BB224_10 Depth=1
	v_mov_b32_e32 v1, 7
	s_mov_b32 s18, exec_lo
	v_and_b32_sdwa v16, v0, v1 dst_sel:DWORD dst_unused:UNUSED_PAD src0_sel:WORD_1 src1_sel:DWORD
	v_lshrrev_b32_e32 v1, 3, v2
	v_cmpx_gt_u32_e32 8, v2
; %bb.318:                              ;   in Loop: Header=BB224_10 Depth=1
	v_ffbh_u32_e32 v1, v16
	v_min_u32_e32 v1, 32, v1
	v_subrev_nc_u32_e32 v2, 28, v1
	v_sub_nc_u32_e32 v1, 29, v1
	v_lshlrev_b64 v[2:3], v2, v[16:17]
	v_and_b32_e32 v16, 7, v2
; %bb.319:                              ;   in Loop: Header=BB224_10 Depth=1
	s_or_b32 exec_lo, exec_lo, s18
	v_mov_b32_e32 v2, 24
	v_lshlrev_b32_e32 v3, 20, v16
	v_lshl_add_u32 v1, v1, 23, 0x3c000000
	v_lshlrev_b32_sdwa v2, v2, v0 dst_sel:DWORD dst_unused:UNUSED_PAD src0_sel:DWORD src1_sel:WORD_1
	v_and_b32_e32 v2, 0x80000000, v2
	v_or3_b32 v16, v3, v2, v1
	buffer_store_dword v16, off, s[0:3], s32 offset:500 ; 4-byte Folded Spill
	buffer_store_dword v17, off, s[0:3], s32 offset:504 ; 4-byte Folded Spill
.LBB224_320:                            ;   in Loop: Header=BB224_10 Depth=1
	s_or_b32 exec_lo, exec_lo, s17
.LBB224_321:                            ;   in Loop: Header=BB224_10 Depth=1
	s_or_b32 exec_lo, exec_lo, s15
.LBB224_322:                            ;   in Loop: Header=BB224_10 Depth=1
	s_or_b32 exec_lo, exec_lo, s13
	s_mov_b32 s13, exec_lo
	v_cmpx_lt_u32_e32 0xffffff, v0
	s_cbranch_execz .LBB224_330
; %bb.323:                              ;   in Loop: Header=BB224_10 Depth=1
	v_mov_b32_e32 v104, v17
	v_cmp_ne_u32_sdwa s5, v0, v125 src0_sel:BYTE_3 src1_sel:DWORD
	buffer_store_dword v104, off, s[0:3], s32 offset:492 ; 4-byte Folded Spill
	buffer_store_dword v105, off, s[0:3], s32 offset:496 ; 4-byte Folded Spill
	s_and_saveexec_b32 s15, s5
	s_cbranch_execz .LBB224_329
; %bb.324:                              ;   in Loop: Header=BB224_10 Depth=1
	v_bfe_u32 v2, v0, 24, 7
	v_mov_b32_e32 v94, v17
	s_mov_b32 s17, exec_lo
	buffer_store_dword v94, off, s[0:3], s32 offset:492 ; 4-byte Folded Spill
	buffer_store_dword v95, off, s[0:3], s32 offset:496 ; 4-byte Folded Spill
	v_cmpx_ne_u32_e32 0x7f, v2
	s_cbranch_execz .LBB224_328
; %bb.325:                              ;   in Loop: Header=BB224_10 Depth=1
	v_mov_b32_e32 v1, 7
	s_mov_b32 s18, exec_lo
	v_and_b32_sdwa v16, v0, v1 dst_sel:DWORD dst_unused:UNUSED_PAD src0_sel:BYTE_3 src1_sel:DWORD
	v_lshrrev_b32_e32 v1, 3, v2
	v_cmpx_gt_u32_e32 8, v2
; %bb.326:                              ;   in Loop: Header=BB224_10 Depth=1
	v_ffbh_u32_e32 v1, v16
	v_min_u32_e32 v1, 32, v1
	v_subrev_nc_u32_e32 v2, 28, v1
	v_sub_nc_u32_e32 v1, 29, v1
	v_lshlrev_b64 v[2:3], v2, v[16:17]
	v_and_b32_e32 v16, 7, v2
; %bb.327:                              ;   in Loop: Header=BB224_10 Depth=1
	s_or_b32 exec_lo, exec_lo, s18
	v_mov_b32_e32 v2, 24
	v_lshl_add_u32 v1, v1, 23, 0x3c000000
	v_lshlrev_b32_sdwa v0, v2, v0 dst_sel:DWORD dst_unused:UNUSED_PAD src0_sel:DWORD src1_sel:BYTE_3
	v_lshlrev_b32_e32 v2, 20, v16
	v_and_b32_e32 v0, 0x80000000, v0
	v_or3_b32 v1, v2, v0, v1
	v_mov_b32_e32 v0, v17
	buffer_store_dword v0, off, s[0:3], s32 offset:492 ; 4-byte Folded Spill
	buffer_store_dword v1, off, s[0:3], s32 offset:496 ; 4-byte Folded Spill
.LBB224_328:                            ;   in Loop: Header=BB224_10 Depth=1
	s_or_b32 exec_lo, exec_lo, s17
.LBB224_329:                            ;   in Loop: Header=BB224_10 Depth=1
	s_or_b32 exec_lo, exec_lo, s15
.LBB224_330:                            ;   in Loop: Header=BB224_10 Depth=1
	s_or_b32 exec_lo, exec_lo, s13
	flat_load_dword v0, v[108:109] offset:1032
	v_mov_b32_e32 v1, 0
	v_mov_b32_e32 v2, 0
	buffer_store_dword v1, off, s[0:3], s32 offset:516 ; 4-byte Folded Spill
	buffer_store_dword v2, off, s[0:3], s32 offset:520 ; 4-byte Folded Spill
	v_mov_b32_e32 v1, 0
	v_mov_b32_e32 v2, 0
	buffer_store_dword v1, off, s[0:3], s32 offset:508 ; 4-byte Folded Spill
	buffer_store_dword v2, off, s[0:3], s32 offset:512 ; 4-byte Folded Spill
	s_waitcnt vmcnt(0) lgkmcnt(0)
	v_cmp_ne_u16_sdwa s5, v0, v17 src0_sel:BYTE_0 src1_sel:DWORD
	s_and_saveexec_b32 s13, s5
	s_cbranch_execz .LBB224_338
; %bb.331:                              ;   in Loop: Header=BB224_10 Depth=1
	v_bfrev_b32_e32 v1, 1
	v_mov_b32_e32 v2, 0
	v_cmp_ne_u16_sdwa s5, v0, v125 src0_sel:BYTE_0 src1_sel:DWORD
	buffer_store_dword v1, off, s[0:3], s32 offset:508 ; 4-byte Folded Spill
	buffer_store_dword v2, off, s[0:3], s32 offset:512 ; 4-byte Folded Spill
	s_and_saveexec_b32 s15, s5
	s_cbranch_execz .LBB224_337
; %bb.332:                              ;   in Loop: Header=BB224_10 Depth=1
	v_mov_b32_e32 v3, 0x7f800001
	v_and_b32_e32 v2, 0x7f, v0
	v_mov_b32_e32 v4, 0
	s_mov_b32 s17, exec_lo
	buffer_store_dword v3, off, s[0:3], s32 offset:508 ; 4-byte Folded Spill
	buffer_store_dword v4, off, s[0:3], s32 offset:512 ; 4-byte Folded Spill
	v_cmpx_ne_u32_e32 0x7f, v2
	s_cbranch_execz .LBB224_336
; %bb.333:                              ;   in Loop: Header=BB224_10 Depth=1
	v_and_b32_e32 v16, 7, v0
	v_lshrrev_b32_e32 v1, 3, v2
	s_mov_b32 s18, exec_lo
	v_cmpx_gt_u32_e32 8, v2
; %bb.334:                              ;   in Loop: Header=BB224_10 Depth=1
	v_ffbh_u32_e32 v1, v16
	v_min_u32_e32 v1, 32, v1
	v_subrev_nc_u32_e32 v2, 28, v1
	v_sub_nc_u32_e32 v1, 29, v1
	v_lshlrev_b64 v[2:3], v2, v[16:17]
	v_and_b32_e32 v16, 7, v2
; %bb.335:                              ;   in Loop: Header=BB224_10 Depth=1
	s_or_b32 exec_lo, exec_lo, s18
	v_lshlrev_b32_e32 v2, 24, v0
	v_lshlrev_b32_e32 v3, 20, v16
	v_lshl_add_u32 v1, v1, 23, 0x3c000000
	v_and_b32_e32 v2, 0x80000000, v2
	v_or3_b32 v16, v3, v2, v1
	buffer_store_dword v16, off, s[0:3], s32 offset:508 ; 4-byte Folded Spill
	buffer_store_dword v17, off, s[0:3], s32 offset:512 ; 4-byte Folded Spill
.LBB224_336:                            ;   in Loop: Header=BB224_10 Depth=1
	s_or_b32 exec_lo, exec_lo, s17
.LBB224_337:                            ;   in Loop: Header=BB224_10 Depth=1
	s_or_b32 exec_lo, exec_lo, s15
.LBB224_338:                            ;   in Loop: Header=BB224_10 Depth=1
	s_or_b32 exec_lo, exec_lo, s13
	v_cmp_ne_u16_sdwa s5, v0, v17 src0_sel:BYTE_1 src1_sel:DWORD
	s_and_saveexec_b32 s13, s5
	s_cbranch_execz .LBB224_346
; %bb.339:                              ;   in Loop: Header=BB224_10 Depth=1
	v_mov_b32_e32 v104, v17
	v_cmp_ne_u16_sdwa s5, v0, v125 src0_sel:BYTE_1 src1_sel:DWORD
	buffer_store_dword v104, off, s[0:3], s32 offset:516 ; 4-byte Folded Spill
	buffer_store_dword v105, off, s[0:3], s32 offset:520 ; 4-byte Folded Spill
	s_and_saveexec_b32 s15, s5
	s_cbranch_execz .LBB224_345
; %bb.340:                              ;   in Loop: Header=BB224_10 Depth=1
	v_mov_b32_e32 v1, 0xffff
	v_mov_b32_e32 v94, v17
	s_mov_b32 s17, exec_lo
	buffer_store_dword v94, off, s[0:3], s32 offset:516 ; 4-byte Folded Spill
	buffer_store_dword v95, off, s[0:3], s32 offset:520 ; 4-byte Folded Spill
	v_and_b32_sdwa v1, v1, v0 dst_sel:DWORD dst_unused:UNUSED_PAD src0_sel:DWORD src1_sel:BYTE_1
	v_and_b32_e32 v2, 0x7f, v1
	v_cmpx_ne_u32_e32 0x7f, v2
	s_cbranch_execz .LBB224_344
; %bb.341:                              ;   in Loop: Header=BB224_10 Depth=1
	v_and_b32_e32 v16, 7, v1
	v_lshrrev_b32_e32 v1, 3, v2
	s_mov_b32 s18, exec_lo
	v_cmpx_gt_u32_e32 8, v2
; %bb.342:                              ;   in Loop: Header=BB224_10 Depth=1
	v_ffbh_u32_e32 v1, v16
	v_min_u32_e32 v1, 32, v1
	v_subrev_nc_u32_e32 v2, 28, v1
	v_sub_nc_u32_e32 v1, 29, v1
	v_lshlrev_b64 v[2:3], v2, v[16:17]
	v_and_b32_e32 v16, 7, v2
; %bb.343:                              ;   in Loop: Header=BB224_10 Depth=1
	s_or_b32 exec_lo, exec_lo, s18
	v_lshlrev_b32_e32 v2, 16, v0
	v_lshlrev_b32_e32 v3, 20, v16
	v_lshl_add_u32 v1, v1, 23, 0x3c000000
	v_and_b32_e32 v2, 0x80000000, v2
	v_or3_b32 v2, v3, v2, v1
	v_mov_b32_e32 v1, v17
	buffer_store_dword v1, off, s[0:3], s32 offset:516 ; 4-byte Folded Spill
	buffer_store_dword v2, off, s[0:3], s32 offset:520 ; 4-byte Folded Spill
.LBB224_344:                            ;   in Loop: Header=BB224_10 Depth=1
	s_or_b32 exec_lo, exec_lo, s17
.LBB224_345:                            ;   in Loop: Header=BB224_10 Depth=1
	s_or_b32 exec_lo, exec_lo, s15
.LBB224_346:                            ;   in Loop: Header=BB224_10 Depth=1
	s_or_b32 exec_lo, exec_lo, s13
	v_mov_b32_e32 v2, 0
	v_mov_b32_e32 v3, 0
	;; [unrolled: 1-line block ×3, first 2 shown]
	s_mov_b32 s13, exec_lo
	buffer_store_dword v2, off, s[0:3], s32 offset:524 ; 4-byte Folded Spill
	buffer_store_dword v3, off, s[0:3], s32 offset:528 ; 4-byte Folded Spill
	v_mov_b32_e32 v2, 0
	v_and_b32_sdwa v1, v0, v1 dst_sel:DWORD dst_unused:UNUSED_PAD src0_sel:WORD_1 src1_sel:DWORD
	v_mov_b32_e32 v3, 0
	buffer_store_dword v2, off, s[0:3], s32 offset:532 ; 4-byte Folded Spill
	buffer_store_dword v3, off, s[0:3], s32 offset:536 ; 4-byte Folded Spill
	v_cmpx_ne_u16_e32 0, v1
	s_cbranch_execz .LBB224_354
; %bb.347:                              ;   in Loop: Header=BB224_10 Depth=1
	v_cmp_ne_u16_e64 s5, 0x80, v1
	v_bfrev_b32_e32 v1, 1
	v_mov_b32_e32 v2, 0
	buffer_store_dword v1, off, s[0:3], s32 offset:532 ; 4-byte Folded Spill
	buffer_store_dword v2, off, s[0:3], s32 offset:536 ; 4-byte Folded Spill
	s_and_saveexec_b32 s15, s5
	s_cbranch_execz .LBB224_353
; %bb.348:                              ;   in Loop: Header=BB224_10 Depth=1
	v_mov_b32_e32 v3, 0x7f800001
	v_bfe_u32 v2, v0, 16, 7
	v_mov_b32_e32 v4, 0
	s_mov_b32 s17, exec_lo
	buffer_store_dword v3, off, s[0:3], s32 offset:532 ; 4-byte Folded Spill
	buffer_store_dword v4, off, s[0:3], s32 offset:536 ; 4-byte Folded Spill
	v_cmpx_ne_u32_e32 0x7f, v2
	s_cbranch_execz .LBB224_352
; %bb.349:                              ;   in Loop: Header=BB224_10 Depth=1
	v_mov_b32_e32 v1, 7
	s_mov_b32 s18, exec_lo
	v_and_b32_sdwa v16, v0, v1 dst_sel:DWORD dst_unused:UNUSED_PAD src0_sel:WORD_1 src1_sel:DWORD
	v_lshrrev_b32_e32 v1, 3, v2
	v_cmpx_gt_u32_e32 8, v2
; %bb.350:                              ;   in Loop: Header=BB224_10 Depth=1
	v_ffbh_u32_e32 v1, v16
	v_min_u32_e32 v1, 32, v1
	v_subrev_nc_u32_e32 v2, 28, v1
	v_sub_nc_u32_e32 v1, 29, v1
	v_lshlrev_b64 v[2:3], v2, v[16:17]
	v_and_b32_e32 v16, 7, v2
; %bb.351:                              ;   in Loop: Header=BB224_10 Depth=1
	s_or_b32 exec_lo, exec_lo, s18
	v_mov_b32_e32 v2, 24
	v_lshlrev_b32_e32 v3, 20, v16
	v_lshl_add_u32 v1, v1, 23, 0x3c000000
	v_lshlrev_b32_sdwa v2, v2, v0 dst_sel:DWORD dst_unused:UNUSED_PAD src0_sel:DWORD src1_sel:WORD_1
	v_and_b32_e32 v2, 0x80000000, v2
	v_or3_b32 v16, v3, v2, v1
	buffer_store_dword v16, off, s[0:3], s32 offset:532 ; 4-byte Folded Spill
	buffer_store_dword v17, off, s[0:3], s32 offset:536 ; 4-byte Folded Spill
.LBB224_352:                            ;   in Loop: Header=BB224_10 Depth=1
	s_or_b32 exec_lo, exec_lo, s17
.LBB224_353:                            ;   in Loop: Header=BB224_10 Depth=1
	s_or_b32 exec_lo, exec_lo, s15
.LBB224_354:                            ;   in Loop: Header=BB224_10 Depth=1
	s_or_b32 exec_lo, exec_lo, s13
	s_mov_b32 s13, exec_lo
	v_cmpx_lt_u32_e32 0xffffff, v0
	s_cbranch_execz .LBB224_362
; %bb.355:                              ;   in Loop: Header=BB224_10 Depth=1
	v_mov_b32_e32 v104, v17
	v_cmp_ne_u32_sdwa s5, v0, v125 src0_sel:BYTE_3 src1_sel:DWORD
	buffer_store_dword v104, off, s[0:3], s32 offset:524 ; 4-byte Folded Spill
	buffer_store_dword v105, off, s[0:3], s32 offset:528 ; 4-byte Folded Spill
	s_and_saveexec_b32 s15, s5
	s_cbranch_execz .LBB224_361
; %bb.356:                              ;   in Loop: Header=BB224_10 Depth=1
	v_bfe_u32 v2, v0, 24, 7
	v_mov_b32_e32 v94, v17
	s_mov_b32 s17, exec_lo
	buffer_store_dword v94, off, s[0:3], s32 offset:524 ; 4-byte Folded Spill
	buffer_store_dword v95, off, s[0:3], s32 offset:528 ; 4-byte Folded Spill
	v_cmpx_ne_u32_e32 0x7f, v2
	s_cbranch_execz .LBB224_360
; %bb.357:                              ;   in Loop: Header=BB224_10 Depth=1
	v_mov_b32_e32 v1, 7
	s_mov_b32 s18, exec_lo
	v_and_b32_sdwa v16, v0, v1 dst_sel:DWORD dst_unused:UNUSED_PAD src0_sel:BYTE_3 src1_sel:DWORD
	v_lshrrev_b32_e32 v1, 3, v2
	v_cmpx_gt_u32_e32 8, v2
; %bb.358:                              ;   in Loop: Header=BB224_10 Depth=1
	v_ffbh_u32_e32 v1, v16
	v_min_u32_e32 v1, 32, v1
	v_subrev_nc_u32_e32 v2, 28, v1
	v_sub_nc_u32_e32 v1, 29, v1
	v_lshlrev_b64 v[2:3], v2, v[16:17]
	v_and_b32_e32 v16, 7, v2
; %bb.359:                              ;   in Loop: Header=BB224_10 Depth=1
	s_or_b32 exec_lo, exec_lo, s18
	v_mov_b32_e32 v2, 24
	v_lshl_add_u32 v1, v1, 23, 0x3c000000
	v_lshlrev_b32_sdwa v0, v2, v0 dst_sel:DWORD dst_unused:UNUSED_PAD src0_sel:DWORD src1_sel:BYTE_3
	v_lshlrev_b32_e32 v2, 20, v16
	v_and_b32_e32 v0, 0x80000000, v0
	v_or3_b32 v1, v2, v0, v1
	v_mov_b32_e32 v0, v17
	buffer_store_dword v0, off, s[0:3], s32 offset:524 ; 4-byte Folded Spill
	buffer_store_dword v1, off, s[0:3], s32 offset:528 ; 4-byte Folded Spill
.LBB224_360:                            ;   in Loop: Header=BB224_10 Depth=1
	s_or_b32 exec_lo, exec_lo, s17
.LBB224_361:                            ;   in Loop: Header=BB224_10 Depth=1
	s_or_b32 exec_lo, exec_lo, s15
.LBB224_362:                            ;   in Loop: Header=BB224_10 Depth=1
	s_or_b32 exec_lo, exec_lo, s13
	flat_load_dword v0, v[108:109] offset:1036
	v_mov_b32_e32 v1, 0
	v_mov_b32_e32 v2, 0
	buffer_store_dword v1, off, s[0:3], s32 offset:548 ; 4-byte Folded Spill
	buffer_store_dword v2, off, s[0:3], s32 offset:552 ; 4-byte Folded Spill
	v_mov_b32_e32 v1, 0
	v_mov_b32_e32 v2, 0
	buffer_store_dword v1, off, s[0:3], s32 offset:540 ; 4-byte Folded Spill
	buffer_store_dword v2, off, s[0:3], s32 offset:544 ; 4-byte Folded Spill
	s_waitcnt vmcnt(0) lgkmcnt(0)
	v_cmp_ne_u16_sdwa s5, v0, v17 src0_sel:BYTE_0 src1_sel:DWORD
	s_and_saveexec_b32 s13, s5
	s_cbranch_execz .LBB224_370
; %bb.363:                              ;   in Loop: Header=BB224_10 Depth=1
	v_bfrev_b32_e32 v1, 1
	v_mov_b32_e32 v2, 0
	v_cmp_ne_u16_sdwa s5, v0, v125 src0_sel:BYTE_0 src1_sel:DWORD
	buffer_store_dword v1, off, s[0:3], s32 offset:540 ; 4-byte Folded Spill
	buffer_store_dword v2, off, s[0:3], s32 offset:544 ; 4-byte Folded Spill
	s_and_saveexec_b32 s15, s5
	s_cbranch_execz .LBB224_369
; %bb.364:                              ;   in Loop: Header=BB224_10 Depth=1
	v_mov_b32_e32 v3, 0x7f800001
	v_and_b32_e32 v2, 0x7f, v0
	v_mov_b32_e32 v4, 0
	s_mov_b32 s17, exec_lo
	buffer_store_dword v3, off, s[0:3], s32 offset:540 ; 4-byte Folded Spill
	buffer_store_dword v4, off, s[0:3], s32 offset:544 ; 4-byte Folded Spill
	v_cmpx_ne_u32_e32 0x7f, v2
	s_cbranch_execz .LBB224_368
; %bb.365:                              ;   in Loop: Header=BB224_10 Depth=1
	v_and_b32_e32 v16, 7, v0
	v_lshrrev_b32_e32 v1, 3, v2
	s_mov_b32 s18, exec_lo
	v_cmpx_gt_u32_e32 8, v2
; %bb.366:                              ;   in Loop: Header=BB224_10 Depth=1
	v_ffbh_u32_e32 v1, v16
	v_min_u32_e32 v1, 32, v1
	v_subrev_nc_u32_e32 v2, 28, v1
	v_sub_nc_u32_e32 v1, 29, v1
	v_lshlrev_b64 v[2:3], v2, v[16:17]
	v_and_b32_e32 v16, 7, v2
; %bb.367:                              ;   in Loop: Header=BB224_10 Depth=1
	s_or_b32 exec_lo, exec_lo, s18
	v_lshlrev_b32_e32 v2, 24, v0
	v_lshlrev_b32_e32 v3, 20, v16
	v_lshl_add_u32 v1, v1, 23, 0x3c000000
	v_and_b32_e32 v2, 0x80000000, v2
	v_or3_b32 v16, v3, v2, v1
	buffer_store_dword v16, off, s[0:3], s32 offset:540 ; 4-byte Folded Spill
	buffer_store_dword v17, off, s[0:3], s32 offset:544 ; 4-byte Folded Spill
.LBB224_368:                            ;   in Loop: Header=BB224_10 Depth=1
	s_or_b32 exec_lo, exec_lo, s17
.LBB224_369:                            ;   in Loop: Header=BB224_10 Depth=1
	s_or_b32 exec_lo, exec_lo, s15
.LBB224_370:                            ;   in Loop: Header=BB224_10 Depth=1
	s_or_b32 exec_lo, exec_lo, s13
	v_cmp_ne_u16_sdwa s5, v0, v17 src0_sel:BYTE_1 src1_sel:DWORD
	s_and_saveexec_b32 s13, s5
	s_cbranch_execz .LBB224_378
; %bb.371:                              ;   in Loop: Header=BB224_10 Depth=1
	v_mov_b32_e32 v104, v17
	v_cmp_ne_u16_sdwa s5, v0, v125 src0_sel:BYTE_1 src1_sel:DWORD
	buffer_store_dword v104, off, s[0:3], s32 offset:548 ; 4-byte Folded Spill
	buffer_store_dword v105, off, s[0:3], s32 offset:552 ; 4-byte Folded Spill
	s_and_saveexec_b32 s15, s5
	s_cbranch_execz .LBB224_377
; %bb.372:                              ;   in Loop: Header=BB224_10 Depth=1
	v_mov_b32_e32 v1, 0xffff
	v_mov_b32_e32 v94, v17
	s_mov_b32 s17, exec_lo
	buffer_store_dword v94, off, s[0:3], s32 offset:548 ; 4-byte Folded Spill
	buffer_store_dword v95, off, s[0:3], s32 offset:552 ; 4-byte Folded Spill
	v_and_b32_sdwa v1, v1, v0 dst_sel:DWORD dst_unused:UNUSED_PAD src0_sel:DWORD src1_sel:BYTE_1
	v_and_b32_e32 v2, 0x7f, v1
	v_cmpx_ne_u32_e32 0x7f, v2
	s_cbranch_execz .LBB224_376
; %bb.373:                              ;   in Loop: Header=BB224_10 Depth=1
	v_and_b32_e32 v16, 7, v1
	v_lshrrev_b32_e32 v1, 3, v2
	s_mov_b32 s18, exec_lo
	v_cmpx_gt_u32_e32 8, v2
; %bb.374:                              ;   in Loop: Header=BB224_10 Depth=1
	v_ffbh_u32_e32 v1, v16
	v_min_u32_e32 v1, 32, v1
	v_subrev_nc_u32_e32 v2, 28, v1
	v_sub_nc_u32_e32 v1, 29, v1
	v_lshlrev_b64 v[2:3], v2, v[16:17]
	v_and_b32_e32 v16, 7, v2
; %bb.375:                              ;   in Loop: Header=BB224_10 Depth=1
	s_or_b32 exec_lo, exec_lo, s18
	v_lshlrev_b32_e32 v2, 16, v0
	v_lshlrev_b32_e32 v3, 20, v16
	v_lshl_add_u32 v1, v1, 23, 0x3c000000
	v_and_b32_e32 v2, 0x80000000, v2
	v_or3_b32 v2, v3, v2, v1
	v_mov_b32_e32 v1, v17
	buffer_store_dword v1, off, s[0:3], s32 offset:548 ; 4-byte Folded Spill
	buffer_store_dword v2, off, s[0:3], s32 offset:552 ; 4-byte Folded Spill
.LBB224_376:                            ;   in Loop: Header=BB224_10 Depth=1
	s_or_b32 exec_lo, exec_lo, s17
.LBB224_377:                            ;   in Loop: Header=BB224_10 Depth=1
	s_or_b32 exec_lo, exec_lo, s15
.LBB224_378:                            ;   in Loop: Header=BB224_10 Depth=1
	s_or_b32 exec_lo, exec_lo, s13
	v_mov_b32_e32 v2, 0
	v_mov_b32_e32 v3, 0
	;; [unrolled: 1-line block ×3, first 2 shown]
	s_mov_b32 s13, exec_lo
	buffer_store_dword v2, off, s[0:3], s32 offset:556 ; 4-byte Folded Spill
	buffer_store_dword v3, off, s[0:3], s32 offset:560 ; 4-byte Folded Spill
	v_mov_b32_e32 v2, 0
	v_and_b32_sdwa v1, v0, v1 dst_sel:DWORD dst_unused:UNUSED_PAD src0_sel:WORD_1 src1_sel:DWORD
	v_mov_b32_e32 v3, 0
	buffer_store_dword v2, off, s[0:3], s32 offset:564 ; 4-byte Folded Spill
	buffer_store_dword v3, off, s[0:3], s32 offset:568 ; 4-byte Folded Spill
	v_cmpx_ne_u16_e32 0, v1
	s_cbranch_execz .LBB224_386
; %bb.379:                              ;   in Loop: Header=BB224_10 Depth=1
	v_cmp_ne_u16_e64 s5, 0x80, v1
	v_bfrev_b32_e32 v1, 1
	v_mov_b32_e32 v2, 0
	buffer_store_dword v1, off, s[0:3], s32 offset:564 ; 4-byte Folded Spill
	buffer_store_dword v2, off, s[0:3], s32 offset:568 ; 4-byte Folded Spill
	s_and_saveexec_b32 s15, s5
	s_cbranch_execz .LBB224_385
; %bb.380:                              ;   in Loop: Header=BB224_10 Depth=1
	v_mov_b32_e32 v3, 0x7f800001
	v_bfe_u32 v2, v0, 16, 7
	v_mov_b32_e32 v4, 0
	s_mov_b32 s17, exec_lo
	buffer_store_dword v3, off, s[0:3], s32 offset:564 ; 4-byte Folded Spill
	buffer_store_dword v4, off, s[0:3], s32 offset:568 ; 4-byte Folded Spill
	v_cmpx_ne_u32_e32 0x7f, v2
	s_cbranch_execz .LBB224_384
; %bb.381:                              ;   in Loop: Header=BB224_10 Depth=1
	v_mov_b32_e32 v1, 7
	s_mov_b32 s18, exec_lo
	v_and_b32_sdwa v16, v0, v1 dst_sel:DWORD dst_unused:UNUSED_PAD src0_sel:WORD_1 src1_sel:DWORD
	v_lshrrev_b32_e32 v1, 3, v2
	v_cmpx_gt_u32_e32 8, v2
; %bb.382:                              ;   in Loop: Header=BB224_10 Depth=1
	v_ffbh_u32_e32 v1, v16
	v_min_u32_e32 v1, 32, v1
	v_subrev_nc_u32_e32 v2, 28, v1
	v_sub_nc_u32_e32 v1, 29, v1
	v_lshlrev_b64 v[2:3], v2, v[16:17]
	v_and_b32_e32 v16, 7, v2
; %bb.383:                              ;   in Loop: Header=BB224_10 Depth=1
	s_or_b32 exec_lo, exec_lo, s18
	v_mov_b32_e32 v2, 24
	v_lshlrev_b32_e32 v3, 20, v16
	v_lshl_add_u32 v1, v1, 23, 0x3c000000
	v_lshlrev_b32_sdwa v2, v2, v0 dst_sel:DWORD dst_unused:UNUSED_PAD src0_sel:DWORD src1_sel:WORD_1
	v_and_b32_e32 v2, 0x80000000, v2
	v_or3_b32 v16, v3, v2, v1
	buffer_store_dword v16, off, s[0:3], s32 offset:564 ; 4-byte Folded Spill
	buffer_store_dword v17, off, s[0:3], s32 offset:568 ; 4-byte Folded Spill
.LBB224_384:                            ;   in Loop: Header=BB224_10 Depth=1
	s_or_b32 exec_lo, exec_lo, s17
.LBB224_385:                            ;   in Loop: Header=BB224_10 Depth=1
	s_or_b32 exec_lo, exec_lo, s15
.LBB224_386:                            ;   in Loop: Header=BB224_10 Depth=1
	s_or_b32 exec_lo, exec_lo, s13
	s_mov_b32 s13, exec_lo
	v_cmpx_lt_u32_e32 0xffffff, v0
	s_cbranch_execz .LBB224_394
; %bb.387:                              ;   in Loop: Header=BB224_10 Depth=1
	v_mov_b32_e32 v104, v17
	v_cmp_ne_u32_sdwa s5, v0, v125 src0_sel:BYTE_3 src1_sel:DWORD
	buffer_store_dword v104, off, s[0:3], s32 offset:556 ; 4-byte Folded Spill
	buffer_store_dword v105, off, s[0:3], s32 offset:560 ; 4-byte Folded Spill
	s_and_saveexec_b32 s15, s5
	s_cbranch_execz .LBB224_393
; %bb.388:                              ;   in Loop: Header=BB224_10 Depth=1
	v_bfe_u32 v2, v0, 24, 7
	v_mov_b32_e32 v94, v17
	s_mov_b32 s17, exec_lo
	buffer_store_dword v94, off, s[0:3], s32 offset:556 ; 4-byte Folded Spill
	buffer_store_dword v95, off, s[0:3], s32 offset:560 ; 4-byte Folded Spill
	v_cmpx_ne_u32_e32 0x7f, v2
	s_cbranch_execz .LBB224_392
; %bb.389:                              ;   in Loop: Header=BB224_10 Depth=1
	v_mov_b32_e32 v1, 7
	s_mov_b32 s18, exec_lo
	v_and_b32_sdwa v16, v0, v1 dst_sel:DWORD dst_unused:UNUSED_PAD src0_sel:BYTE_3 src1_sel:DWORD
	v_lshrrev_b32_e32 v1, 3, v2
	v_cmpx_gt_u32_e32 8, v2
; %bb.390:                              ;   in Loop: Header=BB224_10 Depth=1
	v_ffbh_u32_e32 v1, v16
	v_min_u32_e32 v1, 32, v1
	v_subrev_nc_u32_e32 v2, 28, v1
	v_sub_nc_u32_e32 v1, 29, v1
	v_lshlrev_b64 v[2:3], v2, v[16:17]
	v_and_b32_e32 v16, 7, v2
; %bb.391:                              ;   in Loop: Header=BB224_10 Depth=1
	s_or_b32 exec_lo, exec_lo, s18
	v_mov_b32_e32 v2, 24
	v_lshl_add_u32 v1, v1, 23, 0x3c000000
	v_lshlrev_b32_sdwa v0, v2, v0 dst_sel:DWORD dst_unused:UNUSED_PAD src0_sel:DWORD src1_sel:BYTE_3
	v_lshlrev_b32_e32 v2, 20, v16
	v_and_b32_e32 v0, 0x80000000, v0
	v_or3_b32 v1, v2, v0, v1
	v_mov_b32_e32 v0, v17
	buffer_store_dword v0, off, s[0:3], s32 offset:556 ; 4-byte Folded Spill
	buffer_store_dword v1, off, s[0:3], s32 offset:560 ; 4-byte Folded Spill
.LBB224_392:                            ;   in Loop: Header=BB224_10 Depth=1
	s_or_b32 exec_lo, exec_lo, s17
.LBB224_393:                            ;   in Loop: Header=BB224_10 Depth=1
	s_or_b32 exec_lo, exec_lo, s15
.LBB224_394:                            ;   in Loop: Header=BB224_10 Depth=1
	s_or_b32 exec_lo, exec_lo, s13
	flat_load_dword v0, v[108:109] offset:1536
	v_mov_b32_e32 v1, 0
	v_mov_b32_e32 v2, 0
	buffer_store_dword v1, off, s[0:3], s32 offset:580 ; 4-byte Folded Spill
	buffer_store_dword v2, off, s[0:3], s32 offset:584 ; 4-byte Folded Spill
	v_mov_b32_e32 v1, 0
	v_mov_b32_e32 v2, 0
	buffer_store_dword v1, off, s[0:3], s32 offset:572 ; 4-byte Folded Spill
	buffer_store_dword v2, off, s[0:3], s32 offset:576 ; 4-byte Folded Spill
	s_waitcnt vmcnt(0) lgkmcnt(0)
	v_cmp_ne_u16_sdwa s5, v0, v17 src0_sel:BYTE_0 src1_sel:DWORD
	s_and_saveexec_b32 s13, s5
	s_cbranch_execz .LBB224_402
; %bb.395:                              ;   in Loop: Header=BB224_10 Depth=1
	v_bfrev_b32_e32 v1, 1
	v_mov_b32_e32 v2, 0
	v_cmp_ne_u16_sdwa s5, v0, v125 src0_sel:BYTE_0 src1_sel:DWORD
	buffer_store_dword v1, off, s[0:3], s32 offset:572 ; 4-byte Folded Spill
	buffer_store_dword v2, off, s[0:3], s32 offset:576 ; 4-byte Folded Spill
	s_and_saveexec_b32 s15, s5
	s_cbranch_execz .LBB224_401
; %bb.396:                              ;   in Loop: Header=BB224_10 Depth=1
	v_mov_b32_e32 v3, 0x7f800001
	v_and_b32_e32 v2, 0x7f, v0
	v_mov_b32_e32 v4, 0
	s_mov_b32 s17, exec_lo
	buffer_store_dword v3, off, s[0:3], s32 offset:572 ; 4-byte Folded Spill
	buffer_store_dword v4, off, s[0:3], s32 offset:576 ; 4-byte Folded Spill
	v_cmpx_ne_u32_e32 0x7f, v2
	s_cbranch_execz .LBB224_400
; %bb.397:                              ;   in Loop: Header=BB224_10 Depth=1
	v_and_b32_e32 v16, 7, v0
	v_lshrrev_b32_e32 v1, 3, v2
	s_mov_b32 s18, exec_lo
	v_cmpx_gt_u32_e32 8, v2
; %bb.398:                              ;   in Loop: Header=BB224_10 Depth=1
	v_ffbh_u32_e32 v1, v16
	v_min_u32_e32 v1, 32, v1
	v_subrev_nc_u32_e32 v2, 28, v1
	v_sub_nc_u32_e32 v1, 29, v1
	v_lshlrev_b64 v[2:3], v2, v[16:17]
	v_and_b32_e32 v16, 7, v2
; %bb.399:                              ;   in Loop: Header=BB224_10 Depth=1
	s_or_b32 exec_lo, exec_lo, s18
	v_lshlrev_b32_e32 v2, 24, v0
	v_lshlrev_b32_e32 v3, 20, v16
	v_lshl_add_u32 v1, v1, 23, 0x3c000000
	v_and_b32_e32 v2, 0x80000000, v2
	v_or3_b32 v16, v3, v2, v1
	buffer_store_dword v16, off, s[0:3], s32 offset:572 ; 4-byte Folded Spill
	buffer_store_dword v17, off, s[0:3], s32 offset:576 ; 4-byte Folded Spill
.LBB224_400:                            ;   in Loop: Header=BB224_10 Depth=1
	s_or_b32 exec_lo, exec_lo, s17
.LBB224_401:                            ;   in Loop: Header=BB224_10 Depth=1
	s_or_b32 exec_lo, exec_lo, s15
.LBB224_402:                            ;   in Loop: Header=BB224_10 Depth=1
	s_or_b32 exec_lo, exec_lo, s13
	v_cmp_ne_u16_sdwa s5, v0, v17 src0_sel:BYTE_1 src1_sel:DWORD
	s_and_saveexec_b32 s13, s5
	s_cbranch_execz .LBB224_410
; %bb.403:                              ;   in Loop: Header=BB224_10 Depth=1
	v_mov_b32_e32 v104, v17
	v_cmp_ne_u16_sdwa s5, v0, v125 src0_sel:BYTE_1 src1_sel:DWORD
	buffer_store_dword v104, off, s[0:3], s32 offset:580 ; 4-byte Folded Spill
	buffer_store_dword v105, off, s[0:3], s32 offset:584 ; 4-byte Folded Spill
	s_and_saveexec_b32 s15, s5
	s_cbranch_execz .LBB224_409
; %bb.404:                              ;   in Loop: Header=BB224_10 Depth=1
	v_mov_b32_e32 v1, 0xffff
	v_mov_b32_e32 v94, v17
	s_mov_b32 s17, exec_lo
	buffer_store_dword v94, off, s[0:3], s32 offset:580 ; 4-byte Folded Spill
	buffer_store_dword v95, off, s[0:3], s32 offset:584 ; 4-byte Folded Spill
	v_and_b32_sdwa v1, v1, v0 dst_sel:DWORD dst_unused:UNUSED_PAD src0_sel:DWORD src1_sel:BYTE_1
	v_and_b32_e32 v2, 0x7f, v1
	v_cmpx_ne_u32_e32 0x7f, v2
	s_cbranch_execz .LBB224_408
; %bb.405:                              ;   in Loop: Header=BB224_10 Depth=1
	v_and_b32_e32 v16, 7, v1
	v_lshrrev_b32_e32 v1, 3, v2
	s_mov_b32 s18, exec_lo
	v_cmpx_gt_u32_e32 8, v2
; %bb.406:                              ;   in Loop: Header=BB224_10 Depth=1
	v_ffbh_u32_e32 v1, v16
	v_min_u32_e32 v1, 32, v1
	v_subrev_nc_u32_e32 v2, 28, v1
	v_sub_nc_u32_e32 v1, 29, v1
	v_lshlrev_b64 v[2:3], v2, v[16:17]
	v_and_b32_e32 v16, 7, v2
; %bb.407:                              ;   in Loop: Header=BB224_10 Depth=1
	s_or_b32 exec_lo, exec_lo, s18
	v_lshlrev_b32_e32 v2, 16, v0
	v_lshlrev_b32_e32 v3, 20, v16
	v_lshl_add_u32 v1, v1, 23, 0x3c000000
	v_and_b32_e32 v2, 0x80000000, v2
	v_or3_b32 v2, v3, v2, v1
	v_mov_b32_e32 v1, v17
	buffer_store_dword v1, off, s[0:3], s32 offset:580 ; 4-byte Folded Spill
	buffer_store_dword v2, off, s[0:3], s32 offset:584 ; 4-byte Folded Spill
.LBB224_408:                            ;   in Loop: Header=BB224_10 Depth=1
	s_or_b32 exec_lo, exec_lo, s17
.LBB224_409:                            ;   in Loop: Header=BB224_10 Depth=1
	s_or_b32 exec_lo, exec_lo, s15
.LBB224_410:                            ;   in Loop: Header=BB224_10 Depth=1
	s_or_b32 exec_lo, exec_lo, s13
	v_mov_b32_e32 v2, 0
	v_mov_b32_e32 v3, 0
	;; [unrolled: 1-line block ×3, first 2 shown]
	s_mov_b32 s13, exec_lo
	buffer_store_dword v2, off, s[0:3], s32 offset:588 ; 4-byte Folded Spill
	buffer_store_dword v3, off, s[0:3], s32 offset:592 ; 4-byte Folded Spill
	v_mov_b32_e32 v2, 0
	v_and_b32_sdwa v1, v0, v1 dst_sel:DWORD dst_unused:UNUSED_PAD src0_sel:WORD_1 src1_sel:DWORD
	v_mov_b32_e32 v3, 0
	buffer_store_dword v2, off, s[0:3], s32 offset:596 ; 4-byte Folded Spill
	buffer_store_dword v3, off, s[0:3], s32 offset:600 ; 4-byte Folded Spill
	v_cmpx_ne_u16_e32 0, v1
	s_cbranch_execz .LBB224_418
; %bb.411:                              ;   in Loop: Header=BB224_10 Depth=1
	v_cmp_ne_u16_e64 s5, 0x80, v1
	v_bfrev_b32_e32 v1, 1
	v_mov_b32_e32 v2, 0
	buffer_store_dword v1, off, s[0:3], s32 offset:596 ; 4-byte Folded Spill
	buffer_store_dword v2, off, s[0:3], s32 offset:600 ; 4-byte Folded Spill
	s_and_saveexec_b32 s15, s5
	s_cbranch_execz .LBB224_417
; %bb.412:                              ;   in Loop: Header=BB224_10 Depth=1
	v_mov_b32_e32 v3, 0x7f800001
	v_bfe_u32 v2, v0, 16, 7
	v_mov_b32_e32 v4, 0
	s_mov_b32 s17, exec_lo
	buffer_store_dword v3, off, s[0:3], s32 offset:596 ; 4-byte Folded Spill
	buffer_store_dword v4, off, s[0:3], s32 offset:600 ; 4-byte Folded Spill
	v_cmpx_ne_u32_e32 0x7f, v2
	s_cbranch_execz .LBB224_416
; %bb.413:                              ;   in Loop: Header=BB224_10 Depth=1
	v_mov_b32_e32 v1, 7
	s_mov_b32 s18, exec_lo
	v_and_b32_sdwa v16, v0, v1 dst_sel:DWORD dst_unused:UNUSED_PAD src0_sel:WORD_1 src1_sel:DWORD
	v_lshrrev_b32_e32 v1, 3, v2
	v_cmpx_gt_u32_e32 8, v2
; %bb.414:                              ;   in Loop: Header=BB224_10 Depth=1
	v_ffbh_u32_e32 v1, v16
	v_min_u32_e32 v1, 32, v1
	v_subrev_nc_u32_e32 v2, 28, v1
	v_sub_nc_u32_e32 v1, 29, v1
	v_lshlrev_b64 v[2:3], v2, v[16:17]
	v_and_b32_e32 v16, 7, v2
; %bb.415:                              ;   in Loop: Header=BB224_10 Depth=1
	s_or_b32 exec_lo, exec_lo, s18
	v_mov_b32_e32 v2, 24
	v_lshlrev_b32_e32 v3, 20, v16
	v_lshl_add_u32 v1, v1, 23, 0x3c000000
	v_lshlrev_b32_sdwa v2, v2, v0 dst_sel:DWORD dst_unused:UNUSED_PAD src0_sel:DWORD src1_sel:WORD_1
	v_and_b32_e32 v2, 0x80000000, v2
	v_or3_b32 v16, v3, v2, v1
	buffer_store_dword v16, off, s[0:3], s32 offset:596 ; 4-byte Folded Spill
	buffer_store_dword v17, off, s[0:3], s32 offset:600 ; 4-byte Folded Spill
.LBB224_416:                            ;   in Loop: Header=BB224_10 Depth=1
	s_or_b32 exec_lo, exec_lo, s17
.LBB224_417:                            ;   in Loop: Header=BB224_10 Depth=1
	s_or_b32 exec_lo, exec_lo, s15
.LBB224_418:                            ;   in Loop: Header=BB224_10 Depth=1
	s_or_b32 exec_lo, exec_lo, s13
	s_mov_b32 s13, exec_lo
	v_cmpx_lt_u32_e32 0xffffff, v0
	s_cbranch_execz .LBB224_426
; %bb.419:                              ;   in Loop: Header=BB224_10 Depth=1
	v_mov_b32_e32 v104, v17
	v_cmp_ne_u32_sdwa s5, v0, v125 src0_sel:BYTE_3 src1_sel:DWORD
	buffer_store_dword v104, off, s[0:3], s32 offset:588 ; 4-byte Folded Spill
	buffer_store_dword v105, off, s[0:3], s32 offset:592 ; 4-byte Folded Spill
	s_and_saveexec_b32 s15, s5
	s_cbranch_execz .LBB224_425
; %bb.420:                              ;   in Loop: Header=BB224_10 Depth=1
	v_bfe_u32 v2, v0, 24, 7
	v_mov_b32_e32 v94, v17
	s_mov_b32 s17, exec_lo
	buffer_store_dword v94, off, s[0:3], s32 offset:588 ; 4-byte Folded Spill
	buffer_store_dword v95, off, s[0:3], s32 offset:592 ; 4-byte Folded Spill
	v_cmpx_ne_u32_e32 0x7f, v2
	s_cbranch_execz .LBB224_424
; %bb.421:                              ;   in Loop: Header=BB224_10 Depth=1
	v_mov_b32_e32 v1, 7
	s_mov_b32 s18, exec_lo
	v_and_b32_sdwa v16, v0, v1 dst_sel:DWORD dst_unused:UNUSED_PAD src0_sel:BYTE_3 src1_sel:DWORD
	v_lshrrev_b32_e32 v1, 3, v2
	v_cmpx_gt_u32_e32 8, v2
; %bb.422:                              ;   in Loop: Header=BB224_10 Depth=1
	v_ffbh_u32_e32 v1, v16
	v_min_u32_e32 v1, 32, v1
	v_subrev_nc_u32_e32 v2, 28, v1
	v_sub_nc_u32_e32 v1, 29, v1
	v_lshlrev_b64 v[2:3], v2, v[16:17]
	v_and_b32_e32 v16, 7, v2
; %bb.423:                              ;   in Loop: Header=BB224_10 Depth=1
	s_or_b32 exec_lo, exec_lo, s18
	v_mov_b32_e32 v2, 24
	v_lshl_add_u32 v1, v1, 23, 0x3c000000
	v_lshlrev_b32_sdwa v0, v2, v0 dst_sel:DWORD dst_unused:UNUSED_PAD src0_sel:DWORD src1_sel:BYTE_3
	v_lshlrev_b32_e32 v2, 20, v16
	v_and_b32_e32 v0, 0x80000000, v0
	v_or3_b32 v1, v2, v0, v1
	v_mov_b32_e32 v0, v17
	buffer_store_dword v0, off, s[0:3], s32 offset:588 ; 4-byte Folded Spill
	buffer_store_dword v1, off, s[0:3], s32 offset:592 ; 4-byte Folded Spill
.LBB224_424:                            ;   in Loop: Header=BB224_10 Depth=1
	s_or_b32 exec_lo, exec_lo, s17
.LBB224_425:                            ;   in Loop: Header=BB224_10 Depth=1
	s_or_b32 exec_lo, exec_lo, s15
.LBB224_426:                            ;   in Loop: Header=BB224_10 Depth=1
	s_or_b32 exec_lo, exec_lo, s13
	flat_load_dword v0, v[108:109] offset:1540
	v_mov_b32_e32 v1, 0
	v_mov_b32_e32 v2, 0
	buffer_store_dword v1, off, s[0:3], s32 offset:612 ; 4-byte Folded Spill
	buffer_store_dword v2, off, s[0:3], s32 offset:616 ; 4-byte Folded Spill
	v_mov_b32_e32 v1, 0
	v_mov_b32_e32 v2, 0
	buffer_store_dword v1, off, s[0:3], s32 offset:604 ; 4-byte Folded Spill
	buffer_store_dword v2, off, s[0:3], s32 offset:608 ; 4-byte Folded Spill
	s_waitcnt vmcnt(0) lgkmcnt(0)
	v_cmp_ne_u16_sdwa s5, v0, v17 src0_sel:BYTE_0 src1_sel:DWORD
	s_and_saveexec_b32 s13, s5
	s_cbranch_execz .LBB224_434
; %bb.427:                              ;   in Loop: Header=BB224_10 Depth=1
	v_bfrev_b32_e32 v1, 1
	v_mov_b32_e32 v2, 0
	v_cmp_ne_u16_sdwa s5, v0, v125 src0_sel:BYTE_0 src1_sel:DWORD
	buffer_store_dword v1, off, s[0:3], s32 offset:604 ; 4-byte Folded Spill
	buffer_store_dword v2, off, s[0:3], s32 offset:608 ; 4-byte Folded Spill
	s_and_saveexec_b32 s15, s5
	s_cbranch_execz .LBB224_433
; %bb.428:                              ;   in Loop: Header=BB224_10 Depth=1
	v_mov_b32_e32 v3, 0x7f800001
	v_and_b32_e32 v2, 0x7f, v0
	v_mov_b32_e32 v4, 0
	s_mov_b32 s17, exec_lo
	buffer_store_dword v3, off, s[0:3], s32 offset:604 ; 4-byte Folded Spill
	buffer_store_dword v4, off, s[0:3], s32 offset:608 ; 4-byte Folded Spill
	v_cmpx_ne_u32_e32 0x7f, v2
	s_cbranch_execz .LBB224_432
; %bb.429:                              ;   in Loop: Header=BB224_10 Depth=1
	v_and_b32_e32 v16, 7, v0
	v_lshrrev_b32_e32 v1, 3, v2
	s_mov_b32 s18, exec_lo
	v_cmpx_gt_u32_e32 8, v2
; %bb.430:                              ;   in Loop: Header=BB224_10 Depth=1
	v_ffbh_u32_e32 v1, v16
	v_min_u32_e32 v1, 32, v1
	v_subrev_nc_u32_e32 v2, 28, v1
	v_sub_nc_u32_e32 v1, 29, v1
	v_lshlrev_b64 v[2:3], v2, v[16:17]
	v_and_b32_e32 v16, 7, v2
; %bb.431:                              ;   in Loop: Header=BB224_10 Depth=1
	s_or_b32 exec_lo, exec_lo, s18
	v_lshlrev_b32_e32 v2, 24, v0
	v_lshlrev_b32_e32 v3, 20, v16
	v_lshl_add_u32 v1, v1, 23, 0x3c000000
	v_and_b32_e32 v2, 0x80000000, v2
	v_or3_b32 v16, v3, v2, v1
	buffer_store_dword v16, off, s[0:3], s32 offset:604 ; 4-byte Folded Spill
	buffer_store_dword v17, off, s[0:3], s32 offset:608 ; 4-byte Folded Spill
.LBB224_432:                            ;   in Loop: Header=BB224_10 Depth=1
	s_or_b32 exec_lo, exec_lo, s17
.LBB224_433:                            ;   in Loop: Header=BB224_10 Depth=1
	s_or_b32 exec_lo, exec_lo, s15
.LBB224_434:                            ;   in Loop: Header=BB224_10 Depth=1
	s_or_b32 exec_lo, exec_lo, s13
	v_cmp_ne_u16_sdwa s5, v0, v17 src0_sel:BYTE_1 src1_sel:DWORD
	s_and_saveexec_b32 s13, s5
	s_cbranch_execz .LBB224_442
; %bb.435:                              ;   in Loop: Header=BB224_10 Depth=1
	v_mov_b32_e32 v104, v17
	v_cmp_ne_u16_sdwa s5, v0, v125 src0_sel:BYTE_1 src1_sel:DWORD
	buffer_store_dword v104, off, s[0:3], s32 offset:612 ; 4-byte Folded Spill
	buffer_store_dword v105, off, s[0:3], s32 offset:616 ; 4-byte Folded Spill
	s_and_saveexec_b32 s15, s5
	s_cbranch_execz .LBB224_441
; %bb.436:                              ;   in Loop: Header=BB224_10 Depth=1
	v_mov_b32_e32 v1, 0xffff
	v_mov_b32_e32 v94, v17
	s_mov_b32 s17, exec_lo
	buffer_store_dword v94, off, s[0:3], s32 offset:612 ; 4-byte Folded Spill
	buffer_store_dword v95, off, s[0:3], s32 offset:616 ; 4-byte Folded Spill
	v_and_b32_sdwa v1, v1, v0 dst_sel:DWORD dst_unused:UNUSED_PAD src0_sel:DWORD src1_sel:BYTE_1
	v_and_b32_e32 v2, 0x7f, v1
	v_cmpx_ne_u32_e32 0x7f, v2
	s_cbranch_execz .LBB224_440
; %bb.437:                              ;   in Loop: Header=BB224_10 Depth=1
	v_and_b32_e32 v16, 7, v1
	v_lshrrev_b32_e32 v1, 3, v2
	s_mov_b32 s18, exec_lo
	v_cmpx_gt_u32_e32 8, v2
; %bb.438:                              ;   in Loop: Header=BB224_10 Depth=1
	v_ffbh_u32_e32 v1, v16
	v_min_u32_e32 v1, 32, v1
	v_subrev_nc_u32_e32 v2, 28, v1
	v_sub_nc_u32_e32 v1, 29, v1
	v_lshlrev_b64 v[2:3], v2, v[16:17]
	v_and_b32_e32 v16, 7, v2
; %bb.439:                              ;   in Loop: Header=BB224_10 Depth=1
	s_or_b32 exec_lo, exec_lo, s18
	v_lshlrev_b32_e32 v2, 16, v0
	v_lshlrev_b32_e32 v3, 20, v16
	v_lshl_add_u32 v1, v1, 23, 0x3c000000
	v_and_b32_e32 v2, 0x80000000, v2
	v_or3_b32 v2, v3, v2, v1
	v_mov_b32_e32 v1, v17
	buffer_store_dword v1, off, s[0:3], s32 offset:612 ; 4-byte Folded Spill
	buffer_store_dword v2, off, s[0:3], s32 offset:616 ; 4-byte Folded Spill
.LBB224_440:                            ;   in Loop: Header=BB224_10 Depth=1
	s_or_b32 exec_lo, exec_lo, s17
.LBB224_441:                            ;   in Loop: Header=BB224_10 Depth=1
	s_or_b32 exec_lo, exec_lo, s15
.LBB224_442:                            ;   in Loop: Header=BB224_10 Depth=1
	s_or_b32 exec_lo, exec_lo, s13
	v_mov_b32_e32 v2, 0
	v_mov_b32_e32 v3, 0
	;; [unrolled: 1-line block ×3, first 2 shown]
	s_mov_b32 s13, exec_lo
	buffer_store_dword v2, off, s[0:3], s32 offset:620 ; 4-byte Folded Spill
	buffer_store_dword v3, off, s[0:3], s32 offset:624 ; 4-byte Folded Spill
	v_mov_b32_e32 v2, 0
	v_and_b32_sdwa v1, v0, v1 dst_sel:DWORD dst_unused:UNUSED_PAD src0_sel:WORD_1 src1_sel:DWORD
	v_mov_b32_e32 v3, 0
	buffer_store_dword v2, off, s[0:3], s32 offset:628 ; 4-byte Folded Spill
	buffer_store_dword v3, off, s[0:3], s32 offset:632 ; 4-byte Folded Spill
	v_cmpx_ne_u16_e32 0, v1
	s_cbranch_execz .LBB224_450
; %bb.443:                              ;   in Loop: Header=BB224_10 Depth=1
	v_cmp_ne_u16_e64 s5, 0x80, v1
	v_bfrev_b32_e32 v1, 1
	v_mov_b32_e32 v2, 0
	buffer_store_dword v1, off, s[0:3], s32 offset:628 ; 4-byte Folded Spill
	buffer_store_dword v2, off, s[0:3], s32 offset:632 ; 4-byte Folded Spill
	s_and_saveexec_b32 s15, s5
	s_cbranch_execz .LBB224_449
; %bb.444:                              ;   in Loop: Header=BB224_10 Depth=1
	v_mov_b32_e32 v3, 0x7f800001
	v_bfe_u32 v2, v0, 16, 7
	v_mov_b32_e32 v4, 0
	s_mov_b32 s17, exec_lo
	buffer_store_dword v3, off, s[0:3], s32 offset:628 ; 4-byte Folded Spill
	buffer_store_dword v4, off, s[0:3], s32 offset:632 ; 4-byte Folded Spill
	v_cmpx_ne_u32_e32 0x7f, v2
	s_cbranch_execz .LBB224_448
; %bb.445:                              ;   in Loop: Header=BB224_10 Depth=1
	v_mov_b32_e32 v1, 7
	s_mov_b32 s18, exec_lo
	v_and_b32_sdwa v16, v0, v1 dst_sel:DWORD dst_unused:UNUSED_PAD src0_sel:WORD_1 src1_sel:DWORD
	v_lshrrev_b32_e32 v1, 3, v2
	v_cmpx_gt_u32_e32 8, v2
; %bb.446:                              ;   in Loop: Header=BB224_10 Depth=1
	v_ffbh_u32_e32 v1, v16
	v_min_u32_e32 v1, 32, v1
	v_subrev_nc_u32_e32 v2, 28, v1
	v_sub_nc_u32_e32 v1, 29, v1
	v_lshlrev_b64 v[2:3], v2, v[16:17]
	v_and_b32_e32 v16, 7, v2
; %bb.447:                              ;   in Loop: Header=BB224_10 Depth=1
	s_or_b32 exec_lo, exec_lo, s18
	v_mov_b32_e32 v2, 24
	v_lshlrev_b32_e32 v3, 20, v16
	v_lshl_add_u32 v1, v1, 23, 0x3c000000
	v_lshlrev_b32_sdwa v2, v2, v0 dst_sel:DWORD dst_unused:UNUSED_PAD src0_sel:DWORD src1_sel:WORD_1
	v_and_b32_e32 v2, 0x80000000, v2
	v_or3_b32 v16, v3, v2, v1
	buffer_store_dword v16, off, s[0:3], s32 offset:628 ; 4-byte Folded Spill
	buffer_store_dword v17, off, s[0:3], s32 offset:632 ; 4-byte Folded Spill
.LBB224_448:                            ;   in Loop: Header=BB224_10 Depth=1
	s_or_b32 exec_lo, exec_lo, s17
.LBB224_449:                            ;   in Loop: Header=BB224_10 Depth=1
	s_or_b32 exec_lo, exec_lo, s15
.LBB224_450:                            ;   in Loop: Header=BB224_10 Depth=1
	s_or_b32 exec_lo, exec_lo, s13
	s_mov_b32 s13, exec_lo
	v_cmpx_lt_u32_e32 0xffffff, v0
	s_cbranch_execz .LBB224_458
; %bb.451:                              ;   in Loop: Header=BB224_10 Depth=1
	v_mov_b32_e32 v104, v17
	v_cmp_ne_u32_sdwa s5, v0, v125 src0_sel:BYTE_3 src1_sel:DWORD
	buffer_store_dword v104, off, s[0:3], s32 offset:620 ; 4-byte Folded Spill
	buffer_store_dword v105, off, s[0:3], s32 offset:624 ; 4-byte Folded Spill
	s_and_saveexec_b32 s15, s5
	s_cbranch_execz .LBB224_457
; %bb.452:                              ;   in Loop: Header=BB224_10 Depth=1
	v_bfe_u32 v2, v0, 24, 7
	v_mov_b32_e32 v94, v17
	s_mov_b32 s17, exec_lo
	buffer_store_dword v94, off, s[0:3], s32 offset:620 ; 4-byte Folded Spill
	buffer_store_dword v95, off, s[0:3], s32 offset:624 ; 4-byte Folded Spill
	v_cmpx_ne_u32_e32 0x7f, v2
	s_cbranch_execz .LBB224_456
; %bb.453:                              ;   in Loop: Header=BB224_10 Depth=1
	v_mov_b32_e32 v1, 7
	s_mov_b32 s18, exec_lo
	v_and_b32_sdwa v16, v0, v1 dst_sel:DWORD dst_unused:UNUSED_PAD src0_sel:BYTE_3 src1_sel:DWORD
	v_lshrrev_b32_e32 v1, 3, v2
	v_cmpx_gt_u32_e32 8, v2
; %bb.454:                              ;   in Loop: Header=BB224_10 Depth=1
	v_ffbh_u32_e32 v1, v16
	v_min_u32_e32 v1, 32, v1
	v_subrev_nc_u32_e32 v2, 28, v1
	v_sub_nc_u32_e32 v1, 29, v1
	v_lshlrev_b64 v[2:3], v2, v[16:17]
	v_and_b32_e32 v16, 7, v2
; %bb.455:                              ;   in Loop: Header=BB224_10 Depth=1
	s_or_b32 exec_lo, exec_lo, s18
	v_mov_b32_e32 v2, 24
	v_lshl_add_u32 v1, v1, 23, 0x3c000000
	v_lshlrev_b32_sdwa v0, v2, v0 dst_sel:DWORD dst_unused:UNUSED_PAD src0_sel:DWORD src1_sel:BYTE_3
	v_lshlrev_b32_e32 v2, 20, v16
	v_and_b32_e32 v0, 0x80000000, v0
	v_or3_b32 v1, v2, v0, v1
	v_mov_b32_e32 v0, v17
	buffer_store_dword v0, off, s[0:3], s32 offset:620 ; 4-byte Folded Spill
	buffer_store_dword v1, off, s[0:3], s32 offset:624 ; 4-byte Folded Spill
.LBB224_456:                            ;   in Loop: Header=BB224_10 Depth=1
	s_or_b32 exec_lo, exec_lo, s17
.LBB224_457:                            ;   in Loop: Header=BB224_10 Depth=1
	s_or_b32 exec_lo, exec_lo, s15
.LBB224_458:                            ;   in Loop: Header=BB224_10 Depth=1
	s_or_b32 exec_lo, exec_lo, s13
	flat_load_dword v0, v[108:109] offset:1544
	v_mov_b32_e32 v22, 0
	v_mov_b32_e32 v1, 0
	;; [unrolled: 1-line block ×4, first 2 shown]
	buffer_store_dword v1, off, s[0:3], s32 offset:636 ; 4-byte Folded Spill
	buffer_store_dword v2, off, s[0:3], s32 offset:640 ; 4-byte Folded Spill
	s_waitcnt vmcnt(0) lgkmcnt(0)
	v_cmp_ne_u16_sdwa s5, v0, v17 src0_sel:BYTE_0 src1_sel:DWORD
	s_and_saveexec_b32 s13, s5
	s_cbranch_execz .LBB224_466
; %bb.459:                              ;   in Loop: Header=BB224_10 Depth=1
	v_bfrev_b32_e32 v1, 1
	v_mov_b32_e32 v2, 0
	v_cmp_ne_u16_sdwa s5, v0, v125 src0_sel:BYTE_0 src1_sel:DWORD
	buffer_store_dword v1, off, s[0:3], s32 offset:636 ; 4-byte Folded Spill
	buffer_store_dword v2, off, s[0:3], s32 offset:640 ; 4-byte Folded Spill
	s_and_saveexec_b32 s15, s5
	s_cbranch_execz .LBB224_465
; %bb.460:                              ;   in Loop: Header=BB224_10 Depth=1
	v_mov_b32_e32 v3, 0x7f800001
	v_and_b32_e32 v2, 0x7f, v0
	v_mov_b32_e32 v4, 0
	s_mov_b32 s17, exec_lo
	buffer_store_dword v3, off, s[0:3], s32 offset:636 ; 4-byte Folded Spill
	buffer_store_dword v4, off, s[0:3], s32 offset:640 ; 4-byte Folded Spill
	v_cmpx_ne_u32_e32 0x7f, v2
	s_cbranch_execz .LBB224_464
; %bb.461:                              ;   in Loop: Header=BB224_10 Depth=1
	v_and_b32_e32 v16, 7, v0
	v_lshrrev_b32_e32 v1, 3, v2
	s_mov_b32 s18, exec_lo
	v_cmpx_gt_u32_e32 8, v2
; %bb.462:                              ;   in Loop: Header=BB224_10 Depth=1
	v_ffbh_u32_e32 v1, v16
	v_min_u32_e32 v1, 32, v1
	v_subrev_nc_u32_e32 v2, 28, v1
	v_sub_nc_u32_e32 v1, 29, v1
	v_lshlrev_b64 v[2:3], v2, v[16:17]
	v_and_b32_e32 v16, 7, v2
; %bb.463:                              ;   in Loop: Header=BB224_10 Depth=1
	s_or_b32 exec_lo, exec_lo, s18
	v_lshlrev_b32_e32 v2, 24, v0
	v_lshlrev_b32_e32 v3, 20, v16
	v_lshl_add_u32 v1, v1, 23, 0x3c000000
	v_and_b32_e32 v2, 0x80000000, v2
	v_or3_b32 v16, v3, v2, v1
	buffer_store_dword v16, off, s[0:3], s32 offset:636 ; 4-byte Folded Spill
	buffer_store_dword v17, off, s[0:3], s32 offset:640 ; 4-byte Folded Spill
.LBB224_464:                            ;   in Loop: Header=BB224_10 Depth=1
	s_or_b32 exec_lo, exec_lo, s17
.LBB224_465:                            ;   in Loop: Header=BB224_10 Depth=1
	s_or_b32 exec_lo, exec_lo, s15
.LBB224_466:                            ;   in Loop: Header=BB224_10 Depth=1
	s_or_b32 exec_lo, exec_lo, s13
	v_cmp_ne_u16_sdwa s5, v0, v17 src0_sel:BYTE_1 src1_sel:DWORD
	s_and_saveexec_b32 s13, s5
	s_cbranch_execz .LBB224_474
; %bb.467:                              ;   in Loop: Header=BB224_10 Depth=1
	v_mov_b32_e32 v104, v17
	v_cmp_ne_u16_sdwa s5, v0, v125 src0_sel:BYTE_1 src1_sel:DWORD
	v_mov_b32_e32 v22, v104
	v_mov_b32_e32 v23, v105
	s_and_saveexec_b32 s15, s5
	s_cbranch_execz .LBB224_473
; %bb.468:                              ;   in Loop: Header=BB224_10 Depth=1
	v_mov_b32_e32 v1, 0xffff
	v_mov_b32_e32 v94, v17
	s_mov_b32 s17, exec_lo
	v_and_b32_sdwa v1, v1, v0 dst_sel:DWORD dst_unused:UNUSED_PAD src0_sel:DWORD src1_sel:BYTE_1
	v_mov_b32_e32 v22, v94
	v_mov_b32_e32 v23, v95
	v_and_b32_e32 v2, 0x7f, v1
	v_cmpx_ne_u32_e32 0x7f, v2
	s_cbranch_execz .LBB224_472
; %bb.469:                              ;   in Loop: Header=BB224_10 Depth=1
	v_and_b32_e32 v16, 7, v1
	v_lshrrev_b32_e32 v1, 3, v2
	s_mov_b32 s18, exec_lo
	v_cmpx_gt_u32_e32 8, v2
; %bb.470:                              ;   in Loop: Header=BB224_10 Depth=1
	v_ffbh_u32_e32 v1, v16
	v_min_u32_e32 v1, 32, v1
	v_subrev_nc_u32_e32 v2, 28, v1
	v_sub_nc_u32_e32 v1, 29, v1
	v_lshlrev_b64 v[2:3], v2, v[16:17]
	v_and_b32_e32 v16, 7, v2
; %bb.471:                              ;   in Loop: Header=BB224_10 Depth=1
	s_or_b32 exec_lo, exec_lo, s18
	v_lshlrev_b32_e32 v2, 16, v0
	v_lshlrev_b32_e32 v3, 20, v16
	v_lshl_add_u32 v1, v1, 23, 0x3c000000
	v_mov_b32_e32 v22, v17
	v_and_b32_e32 v2, 0x80000000, v2
	v_or3_b32 v23, v3, v2, v1
.LBB224_472:                            ;   in Loop: Header=BB224_10 Depth=1
	s_or_b32 exec_lo, exec_lo, s17
.LBB224_473:                            ;   in Loop: Header=BB224_10 Depth=1
	s_or_b32 exec_lo, exec_lo, s15
.LBB224_474:                            ;   in Loop: Header=BB224_10 Depth=1
	s_or_b32 exec_lo, exec_lo, s13
	v_mov_b32_e32 v1, 0xff
	v_mov_b32_e32 v20, 0
	;; [unrolled: 1-line block ×5, first 2 shown]
	v_and_b32_sdwa v1, v0, v1 dst_sel:DWORD dst_unused:UNUSED_PAD src0_sel:WORD_1 src1_sel:DWORD
	s_mov_b32 s13, exec_lo
	v_cmpx_ne_u16_e32 0, v1
	s_cbranch_execz .LBB224_482
; %bb.475:                              ;   in Loop: Header=BB224_10 Depth=1
	v_bfrev_b32_e32 v4, 1
	v_mov_b32_e32 v5, 0
	s_mov_b32 s15, exec_lo
	v_cmpx_ne_u16_e32 0x80, v1
	s_cbranch_execz .LBB224_481
; %bb.476:                              ;   in Loop: Header=BB224_10 Depth=1
	v_mov_b32_e32 v4, 0x7f800001
	v_bfe_u32 v2, v0, 16, 7
	v_mov_b32_e32 v5, 0
	s_mov_b32 s17, exec_lo
	v_cmpx_ne_u32_e32 0x7f, v2
	s_cbranch_execz .LBB224_480
; %bb.477:                              ;   in Loop: Header=BB224_10 Depth=1
	v_mov_b32_e32 v1, 7
	s_mov_b32 s18, exec_lo
	v_and_b32_sdwa v16, v0, v1 dst_sel:DWORD dst_unused:UNUSED_PAD src0_sel:WORD_1 src1_sel:DWORD
	v_lshrrev_b32_e32 v1, 3, v2
	v_cmpx_gt_u32_e32 8, v2
; %bb.478:                              ;   in Loop: Header=BB224_10 Depth=1
	v_ffbh_u32_e32 v1, v16
	v_min_u32_e32 v1, 32, v1
	v_subrev_nc_u32_e32 v2, 28, v1
	v_sub_nc_u32_e32 v1, 29, v1
	v_lshlrev_b64 v[2:3], v2, v[16:17]
	v_and_b32_e32 v16, 7, v2
; %bb.479:                              ;   in Loop: Header=BB224_10 Depth=1
	s_or_b32 exec_lo, exec_lo, s18
	v_mov_b32_e32 v2, 24
	v_lshlrev_b32_e32 v3, 20, v16
	v_lshl_add_u32 v1, v1, 23, 0x3c000000
	v_lshlrev_b32_sdwa v2, v2, v0 dst_sel:DWORD dst_unused:UNUSED_PAD src0_sel:DWORD src1_sel:WORD_1
	v_and_b32_e32 v2, 0x80000000, v2
	v_or3_b32 v16, v3, v2, v1
	v_mov_b32_e32 v4, v16
	v_mov_b32_e32 v5, v17
.LBB224_480:                            ;   in Loop: Header=BB224_10 Depth=1
	s_or_b32 exec_lo, exec_lo, s17
.LBB224_481:                            ;   in Loop: Header=BB224_10 Depth=1
	s_or_b32 exec_lo, exec_lo, s15
.LBB224_482:                            ;   in Loop: Header=BB224_10 Depth=1
	s_or_b32 exec_lo, exec_lo, s13
	s_mov_b32 s13, exec_lo
	v_cmpx_lt_u32_e32 0xffffff, v0
	s_cbranch_execz .LBB224_490
; %bb.483:                              ;   in Loop: Header=BB224_10 Depth=1
	v_mov_b32_e32 v104, v17
	v_cmp_ne_u32_sdwa s5, v0, v125 src0_sel:BYTE_3 src1_sel:DWORD
	v_mov_b32_e32 v20, v104
	v_mov_b32_e32 v21, v105
	s_and_saveexec_b32 s15, s5
	s_cbranch_execz .LBB224_489
; %bb.484:                              ;   in Loop: Header=BB224_10 Depth=1
	v_mov_b32_e32 v94, v17
	v_bfe_u32 v2, v0, 24, 7
	s_mov_b32 s17, exec_lo
	v_mov_b32_e32 v20, v94
	v_mov_b32_e32 v21, v95
	v_cmpx_ne_u32_e32 0x7f, v2
	s_cbranch_execz .LBB224_488
; %bb.485:                              ;   in Loop: Header=BB224_10 Depth=1
	v_mov_b32_e32 v1, 7
	s_mov_b32 s18, exec_lo
	v_and_b32_sdwa v16, v0, v1 dst_sel:DWORD dst_unused:UNUSED_PAD src0_sel:BYTE_3 src1_sel:DWORD
	v_lshrrev_b32_e32 v1, 3, v2
	v_cmpx_gt_u32_e32 8, v2
; %bb.486:                              ;   in Loop: Header=BB224_10 Depth=1
	v_ffbh_u32_e32 v1, v16
	v_min_u32_e32 v1, 32, v1
	v_subrev_nc_u32_e32 v2, 28, v1
	v_sub_nc_u32_e32 v1, 29, v1
	v_lshlrev_b64 v[2:3], v2, v[16:17]
	v_and_b32_e32 v16, 7, v2
; %bb.487:                              ;   in Loop: Header=BB224_10 Depth=1
	s_or_b32 exec_lo, exec_lo, s18
	v_mov_b32_e32 v2, 24
	v_lshl_add_u32 v1, v1, 23, 0x3c000000
	v_mov_b32_e32 v20, v17
	v_lshlrev_b32_sdwa v0, v2, v0 dst_sel:DWORD dst_unused:UNUSED_PAD src0_sel:DWORD src1_sel:BYTE_3
	v_lshlrev_b32_e32 v2, 20, v16
	v_and_b32_e32 v0, 0x80000000, v0
	v_or3_b32 v21, v2, v0, v1
.LBB224_488:                            ;   in Loop: Header=BB224_10 Depth=1
	s_or_b32 exec_lo, exec_lo, s17
.LBB224_489:                            ;   in Loop: Header=BB224_10 Depth=1
	s_or_b32 exec_lo, exec_lo, s15
.LBB224_490:                            ;   in Loop: Header=BB224_10 Depth=1
	s_or_b32 exec_lo, exec_lo, s13
	flat_load_dword v0, v[108:109] offset:1548
	v_mov_b32_e32 v26, 0
	v_mov_b32_e32 v12, 0
	;; [unrolled: 1-line block ×4, first 2 shown]
	s_waitcnt vmcnt(0) lgkmcnt(0)
	v_cmp_ne_u16_sdwa s5, v0, v17 src0_sel:BYTE_0 src1_sel:DWORD
	s_and_saveexec_b32 s13, s5
	s_cbranch_execz .LBB224_498
; %bb.491:                              ;   in Loop: Header=BB224_10 Depth=1
	v_bfrev_b32_e32 v12, 1
	v_mov_b32_e32 v13, 0
	v_cmp_ne_u16_sdwa s5, v0, v125 src0_sel:BYTE_0 src1_sel:DWORD
	s_and_saveexec_b32 s15, s5
	s_cbranch_execz .LBB224_497
; %bb.492:                              ;   in Loop: Header=BB224_10 Depth=1
	v_mov_b32_e32 v12, 0x7f800001
	v_and_b32_e32 v2, 0x7f, v0
	v_mov_b32_e32 v13, 0
	s_mov_b32 s17, exec_lo
	v_cmpx_ne_u32_e32 0x7f, v2
	s_cbranch_execz .LBB224_496
; %bb.493:                              ;   in Loop: Header=BB224_10 Depth=1
	v_and_b32_e32 v16, 7, v0
	v_lshrrev_b32_e32 v1, 3, v2
	s_mov_b32 s18, exec_lo
	v_cmpx_gt_u32_e32 8, v2
; %bb.494:                              ;   in Loop: Header=BB224_10 Depth=1
	v_ffbh_u32_e32 v1, v16
	v_min_u32_e32 v1, 32, v1
	v_subrev_nc_u32_e32 v2, 28, v1
	v_sub_nc_u32_e32 v1, 29, v1
	v_lshlrev_b64 v[2:3], v2, v[16:17]
	v_and_b32_e32 v16, 7, v2
; %bb.495:                              ;   in Loop: Header=BB224_10 Depth=1
	s_or_b32 exec_lo, exec_lo, s18
	v_lshlrev_b32_e32 v2, 24, v0
	v_lshlrev_b32_e32 v3, 20, v16
	v_lshl_add_u32 v1, v1, 23, 0x3c000000
	v_and_b32_e32 v2, 0x80000000, v2
	v_or3_b32 v16, v3, v2, v1
	v_mov_b32_e32 v12, v16
	v_mov_b32_e32 v13, v17
.LBB224_496:                            ;   in Loop: Header=BB224_10 Depth=1
	s_or_b32 exec_lo, exec_lo, s17
.LBB224_497:                            ;   in Loop: Header=BB224_10 Depth=1
	s_or_b32 exec_lo, exec_lo, s15
.LBB224_498:                            ;   in Loop: Header=BB224_10 Depth=1
	s_or_b32 exec_lo, exec_lo, s13
	v_cmp_ne_u16_sdwa s5, v0, v17 src0_sel:BYTE_1 src1_sel:DWORD
	s_and_saveexec_b32 s13, s5
	s_cbranch_execz .LBB224_506
; %bb.499:                              ;   in Loop: Header=BB224_10 Depth=1
	v_mov_b32_e32 v104, v17
	v_cmp_ne_u16_sdwa s5, v0, v125 src0_sel:BYTE_1 src1_sel:DWORD
	v_mov_b32_e32 v26, v104
	v_mov_b32_e32 v27, v105
	s_and_saveexec_b32 s15, s5
	s_cbranch_execz .LBB224_505
; %bb.500:                              ;   in Loop: Header=BB224_10 Depth=1
	v_mov_b32_e32 v1, 0xffff
	v_mov_b32_e32 v94, v17
	s_mov_b32 s17, exec_lo
	v_and_b32_sdwa v1, v1, v0 dst_sel:DWORD dst_unused:UNUSED_PAD src0_sel:DWORD src1_sel:BYTE_1
	v_mov_b32_e32 v26, v94
	v_mov_b32_e32 v27, v95
	v_and_b32_e32 v2, 0x7f, v1
	v_cmpx_ne_u32_e32 0x7f, v2
	s_cbranch_execz .LBB224_504
; %bb.501:                              ;   in Loop: Header=BB224_10 Depth=1
	v_and_b32_e32 v16, 7, v1
	v_lshrrev_b32_e32 v1, 3, v2
	s_mov_b32 s18, exec_lo
	v_cmpx_gt_u32_e32 8, v2
; %bb.502:                              ;   in Loop: Header=BB224_10 Depth=1
	v_ffbh_u32_e32 v1, v16
	v_min_u32_e32 v1, 32, v1
	v_subrev_nc_u32_e32 v2, 28, v1
	v_sub_nc_u32_e32 v1, 29, v1
	v_lshlrev_b64 v[2:3], v2, v[16:17]
	v_and_b32_e32 v16, 7, v2
; %bb.503:                              ;   in Loop: Header=BB224_10 Depth=1
	s_or_b32 exec_lo, exec_lo, s18
	v_lshlrev_b32_e32 v2, 16, v0
	v_lshlrev_b32_e32 v3, 20, v16
	v_lshl_add_u32 v1, v1, 23, 0x3c000000
	v_mov_b32_e32 v26, v17
	v_and_b32_e32 v2, 0x80000000, v2
	v_or3_b32 v27, v3, v2, v1
.LBB224_504:                            ;   in Loop: Header=BB224_10 Depth=1
	s_or_b32 exec_lo, exec_lo, s17
.LBB224_505:                            ;   in Loop: Header=BB224_10 Depth=1
	s_or_b32 exec_lo, exec_lo, s15
.LBB224_506:                            ;   in Loop: Header=BB224_10 Depth=1
	s_or_b32 exec_lo, exec_lo, s13
	v_mov_b32_e32 v1, 0xff
	v_mov_b32_e32 v18, 0
	;; [unrolled: 1-line block ×5, first 2 shown]
	v_and_b32_sdwa v1, v0, v1 dst_sel:DWORD dst_unused:UNUSED_PAD src0_sel:WORD_1 src1_sel:DWORD
	s_mov_b32 s13, exec_lo
	v_cmpx_ne_u16_e32 0, v1
	s_cbranch_execz .LBB224_514
; %bb.507:                              ;   in Loop: Header=BB224_10 Depth=1
	v_bfrev_b32_e32 v28, 1
	v_mov_b32_e32 v29, 0
	s_mov_b32 s15, exec_lo
	v_cmpx_ne_u16_e32 0x80, v1
	s_cbranch_execz .LBB224_513
; %bb.508:                              ;   in Loop: Header=BB224_10 Depth=1
	v_mov_b32_e32 v28, 0x7f800001
	v_bfe_u32 v2, v0, 16, 7
	v_mov_b32_e32 v29, 0
	s_mov_b32 s17, exec_lo
	v_cmpx_ne_u32_e32 0x7f, v2
	s_cbranch_execz .LBB224_512
; %bb.509:                              ;   in Loop: Header=BB224_10 Depth=1
	v_mov_b32_e32 v1, 7
	s_mov_b32 s18, exec_lo
	v_and_b32_sdwa v16, v0, v1 dst_sel:DWORD dst_unused:UNUSED_PAD src0_sel:WORD_1 src1_sel:DWORD
	v_lshrrev_b32_e32 v1, 3, v2
	v_cmpx_gt_u32_e32 8, v2
; %bb.510:                              ;   in Loop: Header=BB224_10 Depth=1
	v_ffbh_u32_e32 v1, v16
	v_min_u32_e32 v1, 32, v1
	v_subrev_nc_u32_e32 v2, 28, v1
	v_sub_nc_u32_e32 v1, 29, v1
	v_lshlrev_b64 v[2:3], v2, v[16:17]
	v_and_b32_e32 v16, 7, v2
; %bb.511:                              ;   in Loop: Header=BB224_10 Depth=1
	s_or_b32 exec_lo, exec_lo, s18
	v_mov_b32_e32 v2, 24
	v_lshlrev_b32_e32 v3, 20, v16
	v_lshl_add_u32 v1, v1, 23, 0x3c000000
	v_lshlrev_b32_sdwa v2, v2, v0 dst_sel:DWORD dst_unused:UNUSED_PAD src0_sel:DWORD src1_sel:WORD_1
	v_and_b32_e32 v2, 0x80000000, v2
	v_or3_b32 v16, v3, v2, v1
	v_mov_b32_e32 v29, v17
	v_mov_b32_e32 v28, v16
.LBB224_512:                            ;   in Loop: Header=BB224_10 Depth=1
	s_or_b32 exec_lo, exec_lo, s17
.LBB224_513:                            ;   in Loop: Header=BB224_10 Depth=1
	s_or_b32 exec_lo, exec_lo, s15
.LBB224_514:                            ;   in Loop: Header=BB224_10 Depth=1
	s_or_b32 exec_lo, exec_lo, s13
	s_mov_b32 s13, exec_lo
	v_cmpx_lt_u32_e32 0xffffff, v0
	s_cbranch_execz .LBB224_522
; %bb.515:                              ;   in Loop: Header=BB224_10 Depth=1
	v_mov_b32_e32 v104, v17
	v_cmp_ne_u32_sdwa s5, v0, v125 src0_sel:BYTE_3 src1_sel:DWORD
	v_mov_b32_e32 v18, v104
	v_mov_b32_e32 v19, v105
	s_and_saveexec_b32 s15, s5
	s_cbranch_execz .LBB224_521
; %bb.516:                              ;   in Loop: Header=BB224_10 Depth=1
	v_mov_b32_e32 v94, v17
	v_bfe_u32 v2, v0, 24, 7
	s_mov_b32 s17, exec_lo
	v_mov_b32_e32 v18, v94
	v_mov_b32_e32 v19, v95
	v_cmpx_ne_u32_e32 0x7f, v2
	s_cbranch_execz .LBB224_520
; %bb.517:                              ;   in Loop: Header=BB224_10 Depth=1
	v_mov_b32_e32 v1, 7
	s_mov_b32 s18, exec_lo
	v_and_b32_sdwa v16, v0, v1 dst_sel:DWORD dst_unused:UNUSED_PAD src0_sel:BYTE_3 src1_sel:DWORD
	v_lshrrev_b32_e32 v1, 3, v2
	v_cmpx_gt_u32_e32 8, v2
; %bb.518:                              ;   in Loop: Header=BB224_10 Depth=1
	v_ffbh_u32_e32 v1, v16
	v_min_u32_e32 v1, 32, v1
	v_subrev_nc_u32_e32 v2, 28, v1
	v_sub_nc_u32_e32 v1, 29, v1
	v_lshlrev_b64 v[2:3], v2, v[16:17]
	v_and_b32_e32 v16, 7, v2
; %bb.519:                              ;   in Loop: Header=BB224_10 Depth=1
	s_or_b32 exec_lo, exec_lo, s18
	v_mov_b32_e32 v2, 24
	v_lshl_add_u32 v1, v1, 23, 0x3c000000
	v_mov_b32_e32 v18, v17
	v_lshlrev_b32_sdwa v0, v2, v0 dst_sel:DWORD dst_unused:UNUSED_PAD src0_sel:DWORD src1_sel:BYTE_3
	v_lshlrev_b32_e32 v2, 20, v16
	v_and_b32_e32 v0, 0x80000000, v0
	v_or3_b32 v19, v2, v0, v1
.LBB224_520:                            ;   in Loop: Header=BB224_10 Depth=1
	s_or_b32 exec_lo, exec_lo, s17
.LBB224_521:                            ;   in Loop: Header=BB224_10 Depth=1
	s_or_b32 exec_lo, exec_lo, s15
.LBB224_522:                            ;   in Loop: Header=BB224_10 Depth=1
	s_or_b32 exec_lo, exec_lo, s13
	v_add_co_u32 v32, s5, 0x800, v108
	v_add_co_ci_u32_e64 v33, null, 0, v109, s5
	v_mov_b32_e32 v2, 0
	v_mov_b32_e32 v108, 0
	;; [unrolled: 1-line block ×3, first 2 shown]
	flat_load_dword v0, v[32:33]
	v_mov_b32_e32 v109, 0
	s_waitcnt vmcnt(0) lgkmcnt(0)
	v_cmp_ne_u16_sdwa s5, v0, v17 src0_sel:BYTE_0 src1_sel:DWORD
	s_and_saveexec_b32 s13, s5
	s_cbranch_execz .LBB224_530
; %bb.523:                              ;   in Loop: Header=BB224_10 Depth=1
	v_bfrev_b32_e32 v108, 1
	v_mov_b32_e32 v109, 0
	v_cmp_ne_u16_sdwa s5, v0, v125 src0_sel:BYTE_0 src1_sel:DWORD
	s_and_saveexec_b32 s15, s5
	s_cbranch_execz .LBB224_529
; %bb.524:                              ;   in Loop: Header=BB224_10 Depth=1
	v_mov_b32_e32 v108, 0x7f800001
	v_and_b32_e32 v7, 0x7f, v0
	v_mov_b32_e32 v109, 0
	s_mov_b32 s17, exec_lo
	v_cmpx_ne_u32_e32 0x7f, v7
	s_cbranch_execz .LBB224_528
; %bb.525:                              ;   in Loop: Header=BB224_10 Depth=1
	v_and_b32_e32 v16, 7, v0
	v_lshrrev_b32_e32 v1, 3, v7
	s_mov_b32 s18, exec_lo
	v_cmpx_gt_u32_e32 8, v7
; %bb.526:                              ;   in Loop: Header=BB224_10 Depth=1
	v_ffbh_u32_e32 v1, v16
	v_min_u32_e32 v1, 32, v1
	v_subrev_nc_u32_e32 v7, 28, v1
	v_sub_nc_u32_e32 v1, 29, v1
	v_lshlrev_b64 v[7:8], v7, v[16:17]
	v_and_b32_e32 v16, 7, v7
; %bb.527:                              ;   in Loop: Header=BB224_10 Depth=1
	s_or_b32 exec_lo, exec_lo, s18
	v_lshlrev_b32_e32 v7, 24, v0
	v_lshlrev_b32_e32 v8, 20, v16
	v_lshl_add_u32 v1, v1, 23, 0x3c000000
	v_and_b32_e32 v7, 0x80000000, v7
	v_or3_b32 v16, v8, v7, v1
	v_mov_b32_e32 v109, v17
	v_mov_b32_e32 v108, v16
.LBB224_528:                            ;   in Loop: Header=BB224_10 Depth=1
	s_or_b32 exec_lo, exec_lo, s17
.LBB224_529:                            ;   in Loop: Header=BB224_10 Depth=1
	s_or_b32 exec_lo, exec_lo, s15
.LBB224_530:                            ;   in Loop: Header=BB224_10 Depth=1
	s_or_b32 exec_lo, exec_lo, s13
	v_cmp_ne_u16_sdwa s5, v0, v17 src0_sel:BYTE_1 src1_sel:DWORD
	s_and_saveexec_b32 s13, s5
	s_cbranch_execz .LBB224_538
; %bb.531:                              ;   in Loop: Header=BB224_10 Depth=1
	v_mov_b32_e32 v104, v17
	v_cmp_ne_u16_sdwa s5, v0, v125 src0_sel:BYTE_1 src1_sel:DWORD
	v_mov_b32_e32 v2, v104
	v_mov_b32_e32 v3, v105
	s_and_saveexec_b32 s15, s5
	s_cbranch_execz .LBB224_537
; %bb.532:                              ;   in Loop: Header=BB224_10 Depth=1
	v_mov_b32_e32 v1, 0xffff
	v_mov_b32_e32 v94, v17
	s_mov_b32 s17, exec_lo
	v_and_b32_sdwa v1, v1, v0 dst_sel:DWORD dst_unused:UNUSED_PAD src0_sel:DWORD src1_sel:BYTE_1
	v_mov_b32_e32 v2, v94
	v_mov_b32_e32 v3, v95
	v_and_b32_e32 v7, 0x7f, v1
	v_cmpx_ne_u32_e32 0x7f, v7
	s_cbranch_execz .LBB224_536
; %bb.533:                              ;   in Loop: Header=BB224_10 Depth=1
	v_and_b32_e32 v16, 7, v1
	v_lshrrev_b32_e32 v1, 3, v7
	s_mov_b32 s18, exec_lo
	v_cmpx_gt_u32_e32 8, v7
; %bb.534:                              ;   in Loop: Header=BB224_10 Depth=1
	v_ffbh_u32_e32 v1, v16
	v_min_u32_e32 v1, 32, v1
	v_subrev_nc_u32_e32 v2, 28, v1
	v_sub_nc_u32_e32 v1, 29, v1
	v_lshlrev_b64 v[2:3], v2, v[16:17]
	v_and_b32_e32 v16, 7, v2
; %bb.535:                              ;   in Loop: Header=BB224_10 Depth=1
	s_or_b32 exec_lo, exec_lo, s18
	v_lshlrev_b32_e32 v2, 16, v0
	v_lshlrev_b32_e32 v3, 20, v16
	v_lshl_add_u32 v1, v1, 23, 0x3c000000
	v_and_b32_e32 v2, 0x80000000, v2
	v_or3_b32 v3, v3, v2, v1
	v_mov_b32_e32 v2, v17
.LBB224_536:                            ;   in Loop: Header=BB224_10 Depth=1
	s_or_b32 exec_lo, exec_lo, s17
.LBB224_537:                            ;   in Loop: Header=BB224_10 Depth=1
	s_or_b32 exec_lo, exec_lo, s15
.LBB224_538:                            ;   in Loop: Header=BB224_10 Depth=1
	s_or_b32 exec_lo, exec_lo, s13
	v_mov_b32_e32 v1, 0xff
	v_mov_b32_e32 v34, 0
	v_mov_b32_e32 v14, 0
	v_mov_b32_e32 v35, 0
	v_mov_b32_e32 v15, 0
	v_and_b32_sdwa v1, v0, v1 dst_sel:DWORD dst_unused:UNUSED_PAD src0_sel:WORD_1 src1_sel:DWORD
	s_mov_b32 s13, exec_lo
	v_cmpx_ne_u16_e32 0, v1
	s_cbranch_execz .LBB224_546
; %bb.539:                              ;   in Loop: Header=BB224_10 Depth=1
	v_bfrev_b32_e32 v14, 1
	v_mov_b32_e32 v15, 0
	s_mov_b32 s15, exec_lo
	v_cmpx_ne_u16_e32 0x80, v1
	s_cbranch_execz .LBB224_545
; %bb.540:                              ;   in Loop: Header=BB224_10 Depth=1
	v_mov_b32_e32 v14, 0x7f800001
	v_bfe_u32 v7, v0, 16, 7
	v_mov_b32_e32 v15, 0
	s_mov_b32 s17, exec_lo
	v_cmpx_ne_u32_e32 0x7f, v7
	s_cbranch_execz .LBB224_544
; %bb.541:                              ;   in Loop: Header=BB224_10 Depth=1
	v_mov_b32_e32 v1, 7
	s_mov_b32 s18, exec_lo
	v_and_b32_sdwa v16, v0, v1 dst_sel:DWORD dst_unused:UNUSED_PAD src0_sel:WORD_1 src1_sel:DWORD
	v_lshrrev_b32_e32 v1, 3, v7
	v_cmpx_gt_u32_e32 8, v7
; %bb.542:                              ;   in Loop: Header=BB224_10 Depth=1
	v_ffbh_u32_e32 v1, v16
	v_min_u32_e32 v1, 32, v1
	v_subrev_nc_u32_e32 v7, 28, v1
	v_sub_nc_u32_e32 v1, 29, v1
	v_lshlrev_b64 v[7:8], v7, v[16:17]
	v_and_b32_e32 v16, 7, v7
; %bb.543:                              ;   in Loop: Header=BB224_10 Depth=1
	s_or_b32 exec_lo, exec_lo, s18
	v_mov_b32_e32 v6, 24
	v_lshlrev_b32_e32 v8, 20, v16
	v_lshl_add_u32 v1, v1, 23, 0x3c000000
	v_lshlrev_b32_sdwa v7, v6, v0 dst_sel:DWORD dst_unused:UNUSED_PAD src0_sel:DWORD src1_sel:WORD_1
	v_and_b32_e32 v7, 0x80000000, v7
	v_or3_b32 v16, v8, v7, v1
	v_mov_b32_e32 v14, v16
	v_mov_b32_e32 v15, v17
.LBB224_544:                            ;   in Loop: Header=BB224_10 Depth=1
	s_or_b32 exec_lo, exec_lo, s17
.LBB224_545:                            ;   in Loop: Header=BB224_10 Depth=1
	s_or_b32 exec_lo, exec_lo, s15
.LBB224_546:                            ;   in Loop: Header=BB224_10 Depth=1
	s_or_b32 exec_lo, exec_lo, s13
	s_mov_b32 s13, exec_lo
	v_cmpx_lt_u32_e32 0xffffff, v0
	s_cbranch_execz .LBB224_554
; %bb.547:                              ;   in Loop: Header=BB224_10 Depth=1
	v_mov_b32_e32 v104, v17
	v_cmp_ne_u32_sdwa s5, v0, v125 src0_sel:BYTE_3 src1_sel:DWORD
	v_mov_b32_e32 v34, v104
	v_mov_b32_e32 v35, v105
	s_and_saveexec_b32 s15, s5
	s_cbranch_execz .LBB224_553
; %bb.548:                              ;   in Loop: Header=BB224_10 Depth=1
	v_mov_b32_e32 v94, v17
	v_bfe_u32 v7, v0, 24, 7
	s_mov_b32 s17, exec_lo
	v_mov_b32_e32 v34, v94
	v_mov_b32_e32 v35, v95
	v_cmpx_ne_u32_e32 0x7f, v7
	s_cbranch_execz .LBB224_552
; %bb.549:                              ;   in Loop: Header=BB224_10 Depth=1
	v_mov_b32_e32 v1, 7
	s_mov_b32 s18, exec_lo
	v_and_b32_sdwa v16, v0, v1 dst_sel:DWORD dst_unused:UNUSED_PAD src0_sel:BYTE_3 src1_sel:DWORD
	v_lshrrev_b32_e32 v1, 3, v7
	v_cmpx_gt_u32_e32 8, v7
; %bb.550:                              ;   in Loop: Header=BB224_10 Depth=1
	v_ffbh_u32_e32 v1, v16
	v_min_u32_e32 v1, 32, v1
	v_subrev_nc_u32_e32 v7, 28, v1
	v_sub_nc_u32_e32 v1, 29, v1
	v_lshlrev_b64 v[7:8], v7, v[16:17]
	v_and_b32_e32 v16, 7, v7
; %bb.551:                              ;   in Loop: Header=BB224_10 Depth=1
	s_or_b32 exec_lo, exec_lo, s18
	v_mov_b32_e32 v6, 24
	v_lshlrev_b32_e32 v7, 20, v16
	v_lshl_add_u32 v1, v1, 23, 0x3c000000
	v_mov_b32_e32 v34, v17
	v_lshlrev_b32_sdwa v0, v6, v0 dst_sel:DWORD dst_unused:UNUSED_PAD src0_sel:DWORD src1_sel:BYTE_3
	v_and_b32_e32 v0, 0x80000000, v0
	v_or3_b32 v35, v7, v0, v1
.LBB224_552:                            ;   in Loop: Header=BB224_10 Depth=1
	s_or_b32 exec_lo, exec_lo, s17
.LBB224_553:                            ;   in Loop: Header=BB224_10 Depth=1
	s_or_b32 exec_lo, exec_lo, s15
.LBB224_554:                            ;   in Loop: Header=BB224_10 Depth=1
	s_or_b32 exec_lo, exec_lo, s13
	flat_load_dword v0, v[32:33] offset:4
	v_mov_b32_e32 v24, 0
	v_mov_b32_e32 v36, 0
	;; [unrolled: 1-line block ×4, first 2 shown]
	s_waitcnt vmcnt(0) lgkmcnt(0)
	v_cmp_ne_u16_sdwa s5, v0, v17 src0_sel:BYTE_0 src1_sel:DWORD
	s_and_saveexec_b32 s13, s5
	s_cbranch_execz .LBB224_562
; %bb.555:                              ;   in Loop: Header=BB224_10 Depth=1
	v_bfrev_b32_e32 v36, 1
	v_mov_b32_e32 v37, 0
	v_cmp_ne_u16_sdwa s5, v0, v125 src0_sel:BYTE_0 src1_sel:DWORD
	s_and_saveexec_b32 s15, s5
	s_cbranch_execz .LBB224_561
; %bb.556:                              ;   in Loop: Header=BB224_10 Depth=1
	v_mov_b32_e32 v36, 0x7f800001
	v_and_b32_e32 v7, 0x7f, v0
	v_mov_b32_e32 v37, 0
	s_mov_b32 s17, exec_lo
	v_cmpx_ne_u32_e32 0x7f, v7
	s_cbranch_execz .LBB224_560
; %bb.557:                              ;   in Loop: Header=BB224_10 Depth=1
	v_and_b32_e32 v16, 7, v0
	v_lshrrev_b32_e32 v1, 3, v7
	s_mov_b32 s18, exec_lo
	v_cmpx_gt_u32_e32 8, v7
; %bb.558:                              ;   in Loop: Header=BB224_10 Depth=1
	v_ffbh_u32_e32 v1, v16
	v_min_u32_e32 v1, 32, v1
	v_subrev_nc_u32_e32 v7, 28, v1
	v_sub_nc_u32_e32 v1, 29, v1
	v_lshlrev_b64 v[7:8], v7, v[16:17]
	v_and_b32_e32 v16, 7, v7
; %bb.559:                              ;   in Loop: Header=BB224_10 Depth=1
	s_or_b32 exec_lo, exec_lo, s18
	v_lshlrev_b32_e32 v7, 24, v0
	v_lshlrev_b32_e32 v8, 20, v16
	v_lshl_add_u32 v1, v1, 23, 0x3c000000
	v_and_b32_e32 v7, 0x80000000, v7
	v_or3_b32 v16, v8, v7, v1
	v_mov_b32_e32 v37, v17
	v_mov_b32_e32 v36, v16
.LBB224_560:                            ;   in Loop: Header=BB224_10 Depth=1
	s_or_b32 exec_lo, exec_lo, s17
.LBB224_561:                            ;   in Loop: Header=BB224_10 Depth=1
	s_or_b32 exec_lo, exec_lo, s15
.LBB224_562:                            ;   in Loop: Header=BB224_10 Depth=1
	s_or_b32 exec_lo, exec_lo, s13
	v_cmp_ne_u16_sdwa s5, v0, v17 src0_sel:BYTE_1 src1_sel:DWORD
	s_and_saveexec_b32 s13, s5
	s_cbranch_execz .LBB224_570
; %bb.563:                              ;   in Loop: Header=BB224_10 Depth=1
	v_mov_b32_e32 v104, v17
	v_cmp_ne_u16_sdwa s5, v0, v125 src0_sel:BYTE_1 src1_sel:DWORD
	v_mov_b32_e32 v24, v104
	v_mov_b32_e32 v25, v105
	s_and_saveexec_b32 s15, s5
	s_cbranch_execz .LBB224_569
; %bb.564:                              ;   in Loop: Header=BB224_10 Depth=1
	v_mov_b32_e32 v1, 0xffff
	v_mov_b32_e32 v94, v17
	s_mov_b32 s17, exec_lo
	v_and_b32_sdwa v1, v1, v0 dst_sel:DWORD dst_unused:UNUSED_PAD src0_sel:DWORD src1_sel:BYTE_1
	v_mov_b32_e32 v24, v94
	v_mov_b32_e32 v25, v95
	v_and_b32_e32 v7, 0x7f, v1
	v_cmpx_ne_u32_e32 0x7f, v7
	s_cbranch_execz .LBB224_568
; %bb.565:                              ;   in Loop: Header=BB224_10 Depth=1
	v_and_b32_e32 v16, 7, v1
	v_lshrrev_b32_e32 v1, 3, v7
	s_mov_b32 s18, exec_lo
	v_cmpx_gt_u32_e32 8, v7
; %bb.566:                              ;   in Loop: Header=BB224_10 Depth=1
	v_ffbh_u32_e32 v1, v16
	v_min_u32_e32 v1, 32, v1
	v_subrev_nc_u32_e32 v7, 28, v1
	v_sub_nc_u32_e32 v1, 29, v1
	v_lshlrev_b64 v[7:8], v7, v[16:17]
	v_and_b32_e32 v16, 7, v7
; %bb.567:                              ;   in Loop: Header=BB224_10 Depth=1
	s_or_b32 exec_lo, exec_lo, s18
	v_lshlrev_b32_e32 v7, 16, v0
	v_lshlrev_b32_e32 v8, 20, v16
	v_lshl_add_u32 v1, v1, 23, 0x3c000000
	v_mov_b32_e32 v24, v17
	v_and_b32_e32 v7, 0x80000000, v7
	v_or3_b32 v25, v8, v7, v1
.LBB224_568:                            ;   in Loop: Header=BB224_10 Depth=1
	s_or_b32 exec_lo, exec_lo, s17
.LBB224_569:                            ;   in Loop: Header=BB224_10 Depth=1
	s_or_b32 exec_lo, exec_lo, s15
.LBB224_570:                            ;   in Loop: Header=BB224_10 Depth=1
	s_or_b32 exec_lo, exec_lo, s13
	v_mov_b32_e32 v1, 0xff
	v_mov_b32_e32 v50, 0
	v_mov_b32_e32 v30, 0
	v_mov_b32_e32 v51, 0
	v_mov_b32_e32 v31, 0
	v_and_b32_sdwa v1, v0, v1 dst_sel:DWORD dst_unused:UNUSED_PAD src0_sel:WORD_1 src1_sel:DWORD
	s_mov_b32 s13, exec_lo
	v_cmpx_ne_u16_e32 0, v1
	s_cbranch_execz .LBB224_578
; %bb.571:                              ;   in Loop: Header=BB224_10 Depth=1
	v_bfrev_b32_e32 v30, 1
	v_mov_b32_e32 v31, 0
	s_mov_b32 s15, exec_lo
	v_cmpx_ne_u16_e32 0x80, v1
	s_cbranch_execz .LBB224_577
; %bb.572:                              ;   in Loop: Header=BB224_10 Depth=1
	v_mov_b32_e32 v30, 0x7f800001
	v_bfe_u32 v7, v0, 16, 7
	v_mov_b32_e32 v31, 0
	s_mov_b32 s17, exec_lo
	v_cmpx_ne_u32_e32 0x7f, v7
	s_cbranch_execz .LBB224_576
; %bb.573:                              ;   in Loop: Header=BB224_10 Depth=1
	v_mov_b32_e32 v1, 7
	s_mov_b32 s18, exec_lo
	v_and_b32_sdwa v16, v0, v1 dst_sel:DWORD dst_unused:UNUSED_PAD src0_sel:WORD_1 src1_sel:DWORD
	v_lshrrev_b32_e32 v1, 3, v7
	v_cmpx_gt_u32_e32 8, v7
; %bb.574:                              ;   in Loop: Header=BB224_10 Depth=1
	v_ffbh_u32_e32 v1, v16
	v_min_u32_e32 v1, 32, v1
	v_subrev_nc_u32_e32 v7, 28, v1
	v_sub_nc_u32_e32 v1, 29, v1
	v_lshlrev_b64 v[7:8], v7, v[16:17]
	v_and_b32_e32 v16, 7, v7
; %bb.575:                              ;   in Loop: Header=BB224_10 Depth=1
	s_or_b32 exec_lo, exec_lo, s18
	v_mov_b32_e32 v6, 24
	v_lshlrev_b32_e32 v8, 20, v16
	v_lshl_add_u32 v1, v1, 23, 0x3c000000
	v_lshlrev_b32_sdwa v7, v6, v0 dst_sel:DWORD dst_unused:UNUSED_PAD src0_sel:DWORD src1_sel:WORD_1
	v_and_b32_e32 v7, 0x80000000, v7
	v_or3_b32 v16, v8, v7, v1
	v_mov_b32_e32 v31, v17
	v_mov_b32_e32 v30, v16
.LBB224_576:                            ;   in Loop: Header=BB224_10 Depth=1
	s_or_b32 exec_lo, exec_lo, s17
.LBB224_577:                            ;   in Loop: Header=BB224_10 Depth=1
	s_or_b32 exec_lo, exec_lo, s15
.LBB224_578:                            ;   in Loop: Header=BB224_10 Depth=1
	s_or_b32 exec_lo, exec_lo, s13
	s_mov_b32 s13, exec_lo
	v_cmpx_lt_u32_e32 0xffffff, v0
	s_cbranch_execz .LBB224_586
; %bb.579:                              ;   in Loop: Header=BB224_10 Depth=1
	v_mov_b32_e32 v104, v17
	v_cmp_ne_u32_sdwa s5, v0, v125 src0_sel:BYTE_3 src1_sel:DWORD
	v_mov_b32_e32 v50, v104
	v_mov_b32_e32 v51, v105
	s_and_saveexec_b32 s15, s5
	s_cbranch_execz .LBB224_585
; %bb.580:                              ;   in Loop: Header=BB224_10 Depth=1
	v_mov_b32_e32 v94, v17
	v_bfe_u32 v7, v0, 24, 7
	s_mov_b32 s17, exec_lo
	v_mov_b32_e32 v50, v94
	v_mov_b32_e32 v51, v95
	v_cmpx_ne_u32_e32 0x7f, v7
	s_cbranch_execz .LBB224_584
; %bb.581:                              ;   in Loop: Header=BB224_10 Depth=1
	v_mov_b32_e32 v1, 7
	s_mov_b32 s18, exec_lo
	v_and_b32_sdwa v16, v0, v1 dst_sel:DWORD dst_unused:UNUSED_PAD src0_sel:BYTE_3 src1_sel:DWORD
	v_lshrrev_b32_e32 v1, 3, v7
	v_cmpx_gt_u32_e32 8, v7
; %bb.582:                              ;   in Loop: Header=BB224_10 Depth=1
	v_ffbh_u32_e32 v1, v16
	v_min_u32_e32 v1, 32, v1
	v_subrev_nc_u32_e32 v7, 28, v1
	v_sub_nc_u32_e32 v1, 29, v1
	v_lshlrev_b64 v[7:8], v7, v[16:17]
	v_and_b32_e32 v16, 7, v7
; %bb.583:                              ;   in Loop: Header=BB224_10 Depth=1
	s_or_b32 exec_lo, exec_lo, s18
	v_mov_b32_e32 v6, 24
	v_lshlrev_b32_e32 v7, 20, v16
	v_lshl_add_u32 v1, v1, 23, 0x3c000000
	v_mov_b32_e32 v50, v17
	v_lshlrev_b32_sdwa v0, v6, v0 dst_sel:DWORD dst_unused:UNUSED_PAD src0_sel:DWORD src1_sel:BYTE_3
	v_and_b32_e32 v0, 0x80000000, v0
	v_or3_b32 v51, v7, v0, v1
.LBB224_584:                            ;   in Loop: Header=BB224_10 Depth=1
	s_or_b32 exec_lo, exec_lo, s17
.LBB224_585:                            ;   in Loop: Header=BB224_10 Depth=1
	s_or_b32 exec_lo, exec_lo, s15
.LBB224_586:                            ;   in Loop: Header=BB224_10 Depth=1
	s_or_b32 exec_lo, exec_lo, s13
	flat_load_dword v0, v[32:33] offset:8
	v_mov_b32_e32 v66, 0
	v_mov_b32_e32 v52, 0
	;; [unrolled: 1-line block ×4, first 2 shown]
	s_waitcnt vmcnt(0) lgkmcnt(0)
	v_cmp_ne_u16_sdwa s5, v0, v17 src0_sel:BYTE_0 src1_sel:DWORD
	s_and_saveexec_b32 s13, s5
	s_cbranch_execz .LBB224_594
; %bb.587:                              ;   in Loop: Header=BB224_10 Depth=1
	v_bfrev_b32_e32 v52, 1
	v_mov_b32_e32 v53, 0
	v_cmp_ne_u16_sdwa s5, v0, v125 src0_sel:BYTE_0 src1_sel:DWORD
	s_and_saveexec_b32 s15, s5
	s_cbranch_execz .LBB224_593
; %bb.588:                              ;   in Loop: Header=BB224_10 Depth=1
	v_mov_b32_e32 v52, 0x7f800001
	v_and_b32_e32 v7, 0x7f, v0
	v_mov_b32_e32 v53, 0
	s_mov_b32 s17, exec_lo
	v_cmpx_ne_u32_e32 0x7f, v7
	s_cbranch_execz .LBB224_592
; %bb.589:                              ;   in Loop: Header=BB224_10 Depth=1
	v_and_b32_e32 v16, 7, v0
	v_lshrrev_b32_e32 v1, 3, v7
	s_mov_b32 s18, exec_lo
	v_cmpx_gt_u32_e32 8, v7
; %bb.590:                              ;   in Loop: Header=BB224_10 Depth=1
	v_ffbh_u32_e32 v1, v16
	v_min_u32_e32 v1, 32, v1
	v_subrev_nc_u32_e32 v7, 28, v1
	v_sub_nc_u32_e32 v1, 29, v1
	v_lshlrev_b64 v[7:8], v7, v[16:17]
	v_and_b32_e32 v16, 7, v7
; %bb.591:                              ;   in Loop: Header=BB224_10 Depth=1
	s_or_b32 exec_lo, exec_lo, s18
	v_lshlrev_b32_e32 v7, 24, v0
	v_lshlrev_b32_e32 v8, 20, v16
	v_lshl_add_u32 v1, v1, 23, 0x3c000000
	v_and_b32_e32 v7, 0x80000000, v7
	v_or3_b32 v16, v8, v7, v1
	v_mov_b32_e32 v53, v17
	v_mov_b32_e32 v52, v16
.LBB224_592:                            ;   in Loop: Header=BB224_10 Depth=1
	s_or_b32 exec_lo, exec_lo, s17
.LBB224_593:                            ;   in Loop: Header=BB224_10 Depth=1
	s_or_b32 exec_lo, exec_lo, s15
.LBB224_594:                            ;   in Loop: Header=BB224_10 Depth=1
	s_or_b32 exec_lo, exec_lo, s13
	v_cmp_ne_u16_sdwa s5, v0, v17 src0_sel:BYTE_1 src1_sel:DWORD
	s_and_saveexec_b32 s13, s5
	s_cbranch_execz .LBB224_602
; %bb.595:                              ;   in Loop: Header=BB224_10 Depth=1
	v_mov_b32_e32 v104, v17
	v_cmp_ne_u16_sdwa s5, v0, v125 src0_sel:BYTE_1 src1_sel:DWORD
	v_mov_b32_e32 v66, v104
	v_mov_b32_e32 v67, v105
	s_and_saveexec_b32 s15, s5
	s_cbranch_execz .LBB224_601
; %bb.596:                              ;   in Loop: Header=BB224_10 Depth=1
	v_mov_b32_e32 v1, 0xffff
	v_mov_b32_e32 v94, v17
	s_mov_b32 s17, exec_lo
	v_and_b32_sdwa v1, v1, v0 dst_sel:DWORD dst_unused:UNUSED_PAD src0_sel:DWORD src1_sel:BYTE_1
	v_mov_b32_e32 v66, v94
	v_mov_b32_e32 v67, v95
	v_and_b32_e32 v7, 0x7f, v1
	v_cmpx_ne_u32_e32 0x7f, v7
	s_cbranch_execz .LBB224_600
; %bb.597:                              ;   in Loop: Header=BB224_10 Depth=1
	v_and_b32_e32 v16, 7, v1
	v_lshrrev_b32_e32 v1, 3, v7
	s_mov_b32 s18, exec_lo
	v_cmpx_gt_u32_e32 8, v7
; %bb.598:                              ;   in Loop: Header=BB224_10 Depth=1
	v_ffbh_u32_e32 v1, v16
	v_min_u32_e32 v1, 32, v1
	v_subrev_nc_u32_e32 v7, 28, v1
	v_sub_nc_u32_e32 v1, 29, v1
	v_lshlrev_b64 v[7:8], v7, v[16:17]
	v_and_b32_e32 v16, 7, v7
; %bb.599:                              ;   in Loop: Header=BB224_10 Depth=1
	s_or_b32 exec_lo, exec_lo, s18
	v_lshlrev_b32_e32 v7, 16, v0
	v_lshlrev_b32_e32 v8, 20, v16
	v_lshl_add_u32 v1, v1, 23, 0x3c000000
	v_mov_b32_e32 v66, v17
	v_and_b32_e32 v7, 0x80000000, v7
	v_or3_b32 v67, v8, v7, v1
.LBB224_600:                            ;   in Loop: Header=BB224_10 Depth=1
	s_or_b32 exec_lo, exec_lo, s17
.LBB224_601:                            ;   in Loop: Header=BB224_10 Depth=1
	s_or_b32 exec_lo, exec_lo, s15
.LBB224_602:                            ;   in Loop: Header=BB224_10 Depth=1
	s_or_b32 exec_lo, exec_lo, s13
	v_mov_b32_e32 v1, 0xff
	v_mov_b32_e32 v38, 0
	v_mov_b32_e32 v48, 0
	v_mov_b32_e32 v39, 0
	v_mov_b32_e32 v49, 0
	v_and_b32_sdwa v1, v0, v1 dst_sel:DWORD dst_unused:UNUSED_PAD src0_sel:WORD_1 src1_sel:DWORD
	s_mov_b32 s13, exec_lo
	v_cmpx_ne_u16_e32 0, v1
	s_cbranch_execz .LBB224_610
; %bb.603:                              ;   in Loop: Header=BB224_10 Depth=1
	v_bfrev_b32_e32 v48, 1
	v_mov_b32_e32 v49, 0
	s_mov_b32 s15, exec_lo
	v_cmpx_ne_u16_e32 0x80, v1
	s_cbranch_execz .LBB224_609
; %bb.604:                              ;   in Loop: Header=BB224_10 Depth=1
	v_mov_b32_e32 v48, 0x7f800001
	v_bfe_u32 v7, v0, 16, 7
	v_mov_b32_e32 v49, 0
	s_mov_b32 s17, exec_lo
	v_cmpx_ne_u32_e32 0x7f, v7
	s_cbranch_execz .LBB224_608
; %bb.605:                              ;   in Loop: Header=BB224_10 Depth=1
	v_mov_b32_e32 v1, 7
	s_mov_b32 s18, exec_lo
	v_and_b32_sdwa v16, v0, v1 dst_sel:DWORD dst_unused:UNUSED_PAD src0_sel:WORD_1 src1_sel:DWORD
	v_lshrrev_b32_e32 v1, 3, v7
	v_cmpx_gt_u32_e32 8, v7
; %bb.606:                              ;   in Loop: Header=BB224_10 Depth=1
	v_ffbh_u32_e32 v1, v16
	v_min_u32_e32 v1, 32, v1
	v_subrev_nc_u32_e32 v7, 28, v1
	v_sub_nc_u32_e32 v1, 29, v1
	v_lshlrev_b64 v[7:8], v7, v[16:17]
	v_and_b32_e32 v16, 7, v7
; %bb.607:                              ;   in Loop: Header=BB224_10 Depth=1
	s_or_b32 exec_lo, exec_lo, s18
	v_mov_b32_e32 v6, 24
	v_lshlrev_b32_e32 v8, 20, v16
	v_lshl_add_u32 v1, v1, 23, 0x3c000000
	v_lshlrev_b32_sdwa v7, v6, v0 dst_sel:DWORD dst_unused:UNUSED_PAD src0_sel:DWORD src1_sel:WORD_1
	v_and_b32_e32 v7, 0x80000000, v7
	v_or3_b32 v16, v8, v7, v1
	v_mov_b32_e32 v49, v17
	v_mov_b32_e32 v48, v16
.LBB224_608:                            ;   in Loop: Header=BB224_10 Depth=1
	s_or_b32 exec_lo, exec_lo, s17
.LBB224_609:                            ;   in Loop: Header=BB224_10 Depth=1
	s_or_b32 exec_lo, exec_lo, s15
.LBB224_610:                            ;   in Loop: Header=BB224_10 Depth=1
	s_or_b32 exec_lo, exec_lo, s13
	s_mov_b32 s13, exec_lo
	v_cmpx_lt_u32_e32 0xffffff, v0
	s_cbranch_execz .LBB224_618
; %bb.611:                              ;   in Loop: Header=BB224_10 Depth=1
	v_mov_b32_e32 v104, v17
	v_cmp_ne_u32_sdwa s5, v0, v125 src0_sel:BYTE_3 src1_sel:DWORD
	v_mov_b32_e32 v38, v104
	v_mov_b32_e32 v39, v105
	s_and_saveexec_b32 s15, s5
	s_cbranch_execz .LBB224_617
; %bb.612:                              ;   in Loop: Header=BB224_10 Depth=1
	v_mov_b32_e32 v94, v17
	v_bfe_u32 v7, v0, 24, 7
	s_mov_b32 s17, exec_lo
	v_mov_b32_e32 v38, v94
	v_mov_b32_e32 v39, v95
	v_cmpx_ne_u32_e32 0x7f, v7
	s_cbranch_execz .LBB224_616
; %bb.613:                              ;   in Loop: Header=BB224_10 Depth=1
	v_mov_b32_e32 v1, 7
	s_mov_b32 s18, exec_lo
	v_and_b32_sdwa v16, v0, v1 dst_sel:DWORD dst_unused:UNUSED_PAD src0_sel:BYTE_3 src1_sel:DWORD
	v_lshrrev_b32_e32 v1, 3, v7
	v_cmpx_gt_u32_e32 8, v7
; %bb.614:                              ;   in Loop: Header=BB224_10 Depth=1
	v_ffbh_u32_e32 v1, v16
	v_min_u32_e32 v1, 32, v1
	v_subrev_nc_u32_e32 v7, 28, v1
	v_sub_nc_u32_e32 v1, 29, v1
	v_lshlrev_b64 v[7:8], v7, v[16:17]
	v_and_b32_e32 v16, 7, v7
; %bb.615:                              ;   in Loop: Header=BB224_10 Depth=1
	s_or_b32 exec_lo, exec_lo, s18
	v_mov_b32_e32 v6, 24
	v_lshlrev_b32_e32 v7, 20, v16
	v_lshl_add_u32 v1, v1, 23, 0x3c000000
	v_mov_b32_e32 v38, v17
	v_lshlrev_b32_sdwa v0, v6, v0 dst_sel:DWORD dst_unused:UNUSED_PAD src0_sel:DWORD src1_sel:BYTE_3
	v_and_b32_e32 v0, 0x80000000, v0
	v_or3_b32 v39, v7, v0, v1
.LBB224_616:                            ;   in Loop: Header=BB224_10 Depth=1
	s_or_b32 exec_lo, exec_lo, s17
.LBB224_617:                            ;   in Loop: Header=BB224_10 Depth=1
	s_or_b32 exec_lo, exec_lo, s15
.LBB224_618:                            ;   in Loop: Header=BB224_10 Depth=1
	s_or_b32 exec_lo, exec_lo, s13
	flat_load_dword v0, v[32:33] offset:12
	v_mov_b32_e32 v82, 0
	v_mov_b32_e32 v68, 0
	;; [unrolled: 1-line block ×4, first 2 shown]
	s_waitcnt vmcnt(0) lgkmcnt(0)
	v_cmp_ne_u16_sdwa s5, v0, v17 src0_sel:BYTE_0 src1_sel:DWORD
	s_and_saveexec_b32 s13, s5
	s_cbranch_execz .LBB224_626
; %bb.619:                              ;   in Loop: Header=BB224_10 Depth=1
	v_bfrev_b32_e32 v68, 1
	v_mov_b32_e32 v69, 0
	v_cmp_ne_u16_sdwa s5, v0, v125 src0_sel:BYTE_0 src1_sel:DWORD
	s_and_saveexec_b32 s15, s5
	s_cbranch_execz .LBB224_625
; %bb.620:                              ;   in Loop: Header=BB224_10 Depth=1
	v_mov_b32_e32 v68, 0x7f800001
	v_and_b32_e32 v7, 0x7f, v0
	v_mov_b32_e32 v69, 0
	s_mov_b32 s17, exec_lo
	v_cmpx_ne_u32_e32 0x7f, v7
	s_cbranch_execz .LBB224_624
; %bb.621:                              ;   in Loop: Header=BB224_10 Depth=1
	v_and_b32_e32 v16, 7, v0
	v_lshrrev_b32_e32 v1, 3, v7
	s_mov_b32 s18, exec_lo
	v_cmpx_gt_u32_e32 8, v7
; %bb.622:                              ;   in Loop: Header=BB224_10 Depth=1
	v_ffbh_u32_e32 v1, v16
	v_min_u32_e32 v1, 32, v1
	v_subrev_nc_u32_e32 v7, 28, v1
	v_sub_nc_u32_e32 v1, 29, v1
	v_lshlrev_b64 v[7:8], v7, v[16:17]
	v_and_b32_e32 v16, 7, v7
; %bb.623:                              ;   in Loop: Header=BB224_10 Depth=1
	s_or_b32 exec_lo, exec_lo, s18
	v_lshlrev_b32_e32 v7, 24, v0
	v_lshlrev_b32_e32 v8, 20, v16
	v_lshl_add_u32 v1, v1, 23, 0x3c000000
	v_and_b32_e32 v7, 0x80000000, v7
	v_or3_b32 v16, v8, v7, v1
	v_mov_b32_e32 v69, v17
	v_mov_b32_e32 v68, v16
.LBB224_624:                            ;   in Loop: Header=BB224_10 Depth=1
	s_or_b32 exec_lo, exec_lo, s17
.LBB224_625:                            ;   in Loop: Header=BB224_10 Depth=1
	s_or_b32 exec_lo, exec_lo, s15
.LBB224_626:                            ;   in Loop: Header=BB224_10 Depth=1
	s_or_b32 exec_lo, exec_lo, s13
	v_cmp_ne_u16_sdwa s5, v0, v17 src0_sel:BYTE_1 src1_sel:DWORD
	s_and_saveexec_b32 s13, s5
	s_cbranch_execz .LBB224_634
; %bb.627:                              ;   in Loop: Header=BB224_10 Depth=1
	v_mov_b32_e32 v104, v17
	v_cmp_ne_u16_sdwa s5, v0, v125 src0_sel:BYTE_1 src1_sel:DWORD
	v_mov_b32_e32 v82, v104
	v_mov_b32_e32 v83, v105
	s_and_saveexec_b32 s15, s5
	s_cbranch_execz .LBB224_633
; %bb.628:                              ;   in Loop: Header=BB224_10 Depth=1
	v_mov_b32_e32 v1, 0xffff
	v_mov_b32_e32 v94, v17
	s_mov_b32 s17, exec_lo
	v_and_b32_sdwa v1, v1, v0 dst_sel:DWORD dst_unused:UNUSED_PAD src0_sel:DWORD src1_sel:BYTE_1
	v_mov_b32_e32 v82, v94
	v_mov_b32_e32 v83, v95
	v_and_b32_e32 v7, 0x7f, v1
	v_cmpx_ne_u32_e32 0x7f, v7
	s_cbranch_execz .LBB224_632
; %bb.629:                              ;   in Loop: Header=BB224_10 Depth=1
	v_and_b32_e32 v16, 7, v1
	v_lshrrev_b32_e32 v1, 3, v7
	s_mov_b32 s18, exec_lo
	v_cmpx_gt_u32_e32 8, v7
; %bb.630:                              ;   in Loop: Header=BB224_10 Depth=1
	v_ffbh_u32_e32 v1, v16
	v_min_u32_e32 v1, 32, v1
	v_subrev_nc_u32_e32 v7, 28, v1
	v_sub_nc_u32_e32 v1, 29, v1
	v_lshlrev_b64 v[7:8], v7, v[16:17]
	v_and_b32_e32 v16, 7, v7
; %bb.631:                              ;   in Loop: Header=BB224_10 Depth=1
	s_or_b32 exec_lo, exec_lo, s18
	v_lshlrev_b32_e32 v7, 16, v0
	v_lshlrev_b32_e32 v8, 20, v16
	v_lshl_add_u32 v1, v1, 23, 0x3c000000
	v_mov_b32_e32 v82, v17
	v_and_b32_e32 v7, 0x80000000, v7
	v_or3_b32 v83, v8, v7, v1
.LBB224_632:                            ;   in Loop: Header=BB224_10 Depth=1
	s_or_b32 exec_lo, exec_lo, s17
.LBB224_633:                            ;   in Loop: Header=BB224_10 Depth=1
	s_or_b32 exec_lo, exec_lo, s15
.LBB224_634:                            ;   in Loop: Header=BB224_10 Depth=1
	s_or_b32 exec_lo, exec_lo, s13
	v_mov_b32_e32 v1, 0xff
	v_mov_b32_e32 v54, 0
	;; [unrolled: 1-line block ×5, first 2 shown]
	v_and_b32_sdwa v1, v0, v1 dst_sel:DWORD dst_unused:UNUSED_PAD src0_sel:WORD_1 src1_sel:DWORD
	s_mov_b32 s13, exec_lo
	v_cmpx_ne_u16_e32 0, v1
	s_cbranch_execz .LBB224_642
; %bb.635:                              ;   in Loop: Header=BB224_10 Depth=1
	v_bfrev_b32_e32 v64, 1
	v_mov_b32_e32 v65, 0
	s_mov_b32 s15, exec_lo
	v_cmpx_ne_u16_e32 0x80, v1
	s_cbranch_execz .LBB224_641
; %bb.636:                              ;   in Loop: Header=BB224_10 Depth=1
	v_mov_b32_e32 v64, 0x7f800001
	v_bfe_u32 v7, v0, 16, 7
	v_mov_b32_e32 v65, 0
	s_mov_b32 s17, exec_lo
	v_cmpx_ne_u32_e32 0x7f, v7
	s_cbranch_execz .LBB224_640
; %bb.637:                              ;   in Loop: Header=BB224_10 Depth=1
	v_mov_b32_e32 v1, 7
	s_mov_b32 s18, exec_lo
	v_and_b32_sdwa v16, v0, v1 dst_sel:DWORD dst_unused:UNUSED_PAD src0_sel:WORD_1 src1_sel:DWORD
	v_lshrrev_b32_e32 v1, 3, v7
	v_cmpx_gt_u32_e32 8, v7
; %bb.638:                              ;   in Loop: Header=BB224_10 Depth=1
	v_ffbh_u32_e32 v1, v16
	v_min_u32_e32 v1, 32, v1
	v_subrev_nc_u32_e32 v7, 28, v1
	v_sub_nc_u32_e32 v1, 29, v1
	v_lshlrev_b64 v[7:8], v7, v[16:17]
	v_and_b32_e32 v16, 7, v7
; %bb.639:                              ;   in Loop: Header=BB224_10 Depth=1
	s_or_b32 exec_lo, exec_lo, s18
	v_mov_b32_e32 v6, 24
	v_lshlrev_b32_e32 v8, 20, v16
	v_lshl_add_u32 v1, v1, 23, 0x3c000000
	v_lshlrev_b32_sdwa v7, v6, v0 dst_sel:DWORD dst_unused:UNUSED_PAD src0_sel:DWORD src1_sel:WORD_1
	v_and_b32_e32 v7, 0x80000000, v7
	v_or3_b32 v16, v8, v7, v1
	v_mov_b32_e32 v65, v17
	v_mov_b32_e32 v64, v16
.LBB224_640:                            ;   in Loop: Header=BB224_10 Depth=1
	s_or_b32 exec_lo, exec_lo, s17
.LBB224_641:                            ;   in Loop: Header=BB224_10 Depth=1
	s_or_b32 exec_lo, exec_lo, s15
.LBB224_642:                            ;   in Loop: Header=BB224_10 Depth=1
	s_or_b32 exec_lo, exec_lo, s13
	s_mov_b32 s13, exec_lo
	v_cmpx_lt_u32_e32 0xffffff, v0
	s_cbranch_execz .LBB224_650
; %bb.643:                              ;   in Loop: Header=BB224_10 Depth=1
	v_mov_b32_e32 v104, v17
	v_cmp_ne_u32_sdwa s5, v0, v125 src0_sel:BYTE_3 src1_sel:DWORD
	v_mov_b32_e32 v54, v104
	v_mov_b32_e32 v55, v105
	s_and_saveexec_b32 s15, s5
	s_cbranch_execz .LBB224_649
; %bb.644:                              ;   in Loop: Header=BB224_10 Depth=1
	v_mov_b32_e32 v94, v17
	v_bfe_u32 v7, v0, 24, 7
	s_mov_b32 s17, exec_lo
	v_mov_b32_e32 v54, v94
	v_mov_b32_e32 v55, v95
	v_cmpx_ne_u32_e32 0x7f, v7
	s_cbranch_execz .LBB224_648
; %bb.645:                              ;   in Loop: Header=BB224_10 Depth=1
	v_mov_b32_e32 v1, 7
	s_mov_b32 s18, exec_lo
	v_and_b32_sdwa v16, v0, v1 dst_sel:DWORD dst_unused:UNUSED_PAD src0_sel:BYTE_3 src1_sel:DWORD
	v_lshrrev_b32_e32 v1, 3, v7
	v_cmpx_gt_u32_e32 8, v7
; %bb.646:                              ;   in Loop: Header=BB224_10 Depth=1
	v_ffbh_u32_e32 v1, v16
	v_min_u32_e32 v1, 32, v1
	v_subrev_nc_u32_e32 v7, 28, v1
	v_sub_nc_u32_e32 v1, 29, v1
	v_lshlrev_b64 v[7:8], v7, v[16:17]
	v_and_b32_e32 v16, 7, v7
; %bb.647:                              ;   in Loop: Header=BB224_10 Depth=1
	s_or_b32 exec_lo, exec_lo, s18
	v_mov_b32_e32 v6, 24
	v_lshlrev_b32_e32 v7, 20, v16
	v_lshl_add_u32 v1, v1, 23, 0x3c000000
	v_mov_b32_e32 v54, v17
	v_lshlrev_b32_sdwa v0, v6, v0 dst_sel:DWORD dst_unused:UNUSED_PAD src0_sel:DWORD src1_sel:BYTE_3
	v_and_b32_e32 v0, 0x80000000, v0
	v_or3_b32 v55, v7, v0, v1
.LBB224_648:                            ;   in Loop: Header=BB224_10 Depth=1
	s_or_b32 exec_lo, exec_lo, s17
.LBB224_649:                            ;   in Loop: Header=BB224_10 Depth=1
	s_or_b32 exec_lo, exec_lo, s15
.LBB224_650:                            ;   in Loop: Header=BB224_10 Depth=1
	s_or_b32 exec_lo, exec_lo, s13
	flat_load_dword v0, v[32:33] offset:512
	v_mov_b32_e32 v70, 0
	v_mov_b32_e32 v84, 0
	;; [unrolled: 1-line block ×4, first 2 shown]
	s_waitcnt vmcnt(0) lgkmcnt(0)
	v_cmp_ne_u16_sdwa s5, v0, v17 src0_sel:BYTE_0 src1_sel:DWORD
	s_and_saveexec_b32 s13, s5
	s_cbranch_execz .LBB224_658
; %bb.651:                              ;   in Loop: Header=BB224_10 Depth=1
	v_bfrev_b32_e32 v84, 1
	v_mov_b32_e32 v85, 0
	v_cmp_ne_u16_sdwa s5, v0, v125 src0_sel:BYTE_0 src1_sel:DWORD
	s_and_saveexec_b32 s15, s5
	s_cbranch_execz .LBB224_657
; %bb.652:                              ;   in Loop: Header=BB224_10 Depth=1
	v_mov_b32_e32 v84, 0x7f800001
	v_and_b32_e32 v7, 0x7f, v0
	v_mov_b32_e32 v85, 0
	s_mov_b32 s17, exec_lo
	v_cmpx_ne_u32_e32 0x7f, v7
	s_cbranch_execz .LBB224_656
; %bb.653:                              ;   in Loop: Header=BB224_10 Depth=1
	v_and_b32_e32 v16, 7, v0
	v_lshrrev_b32_e32 v1, 3, v7
	s_mov_b32 s18, exec_lo
	v_cmpx_gt_u32_e32 8, v7
; %bb.654:                              ;   in Loop: Header=BB224_10 Depth=1
	v_ffbh_u32_e32 v1, v16
	v_min_u32_e32 v1, 32, v1
	v_subrev_nc_u32_e32 v7, 28, v1
	v_sub_nc_u32_e32 v1, 29, v1
	v_lshlrev_b64 v[7:8], v7, v[16:17]
	v_and_b32_e32 v16, 7, v7
; %bb.655:                              ;   in Loop: Header=BB224_10 Depth=1
	s_or_b32 exec_lo, exec_lo, s18
	v_lshlrev_b32_e32 v7, 24, v0
	v_lshlrev_b32_e32 v8, 20, v16
	v_lshl_add_u32 v1, v1, 23, 0x3c000000
	v_and_b32_e32 v7, 0x80000000, v7
	v_or3_b32 v16, v8, v7, v1
	v_mov_b32_e32 v85, v17
	v_mov_b32_e32 v84, v16
.LBB224_656:                            ;   in Loop: Header=BB224_10 Depth=1
	s_or_b32 exec_lo, exec_lo, s17
.LBB224_657:                            ;   in Loop: Header=BB224_10 Depth=1
	s_or_b32 exec_lo, exec_lo, s15
.LBB224_658:                            ;   in Loop: Header=BB224_10 Depth=1
	s_or_b32 exec_lo, exec_lo, s13
	v_cmp_ne_u16_sdwa s5, v0, v17 src0_sel:BYTE_1 src1_sel:DWORD
	s_and_saveexec_b32 s13, s5
	s_cbranch_execz .LBB224_666
; %bb.659:                              ;   in Loop: Header=BB224_10 Depth=1
	v_mov_b32_e32 v104, v17
	v_cmp_ne_u16_sdwa s5, v0, v125 src0_sel:BYTE_1 src1_sel:DWORD
	v_mov_b32_e32 v70, v104
	v_mov_b32_e32 v71, v105
	s_and_saveexec_b32 s15, s5
	s_cbranch_execz .LBB224_665
; %bb.660:                              ;   in Loop: Header=BB224_10 Depth=1
	v_mov_b32_e32 v1, 0xffff
	v_mov_b32_e32 v94, v17
	s_mov_b32 s17, exec_lo
	v_and_b32_sdwa v1, v1, v0 dst_sel:DWORD dst_unused:UNUSED_PAD src0_sel:DWORD src1_sel:BYTE_1
	v_mov_b32_e32 v70, v94
	v_mov_b32_e32 v71, v95
	v_and_b32_e32 v7, 0x7f, v1
	v_cmpx_ne_u32_e32 0x7f, v7
	s_cbranch_execz .LBB224_664
; %bb.661:                              ;   in Loop: Header=BB224_10 Depth=1
	v_and_b32_e32 v16, 7, v1
	v_lshrrev_b32_e32 v1, 3, v7
	s_mov_b32 s18, exec_lo
	v_cmpx_gt_u32_e32 8, v7
; %bb.662:                              ;   in Loop: Header=BB224_10 Depth=1
	v_ffbh_u32_e32 v1, v16
	v_min_u32_e32 v1, 32, v1
	v_subrev_nc_u32_e32 v7, 28, v1
	v_sub_nc_u32_e32 v1, 29, v1
	v_lshlrev_b64 v[7:8], v7, v[16:17]
	v_and_b32_e32 v16, 7, v7
; %bb.663:                              ;   in Loop: Header=BB224_10 Depth=1
	s_or_b32 exec_lo, exec_lo, s18
	v_lshlrev_b32_e32 v7, 16, v0
	v_lshlrev_b32_e32 v8, 20, v16
	v_lshl_add_u32 v1, v1, 23, 0x3c000000
	v_mov_b32_e32 v70, v17
	v_and_b32_e32 v7, 0x80000000, v7
	v_or3_b32 v71, v8, v7, v1
.LBB224_664:                            ;   in Loop: Header=BB224_10 Depth=1
	s_or_b32 exec_lo, exec_lo, s17
.LBB224_665:                            ;   in Loop: Header=BB224_10 Depth=1
	s_or_b32 exec_lo, exec_lo, s15
.LBB224_666:                            ;   in Loop: Header=BB224_10 Depth=1
	s_or_b32 exec_lo, exec_lo, s13
	v_mov_b32_e32 v1, 0xff
	v_mov_b32_e32 v98, 0
	v_mov_b32_e32 v80, 0
	v_mov_b32_e32 v99, 0
	v_mov_b32_e32 v81, 0
	v_and_b32_sdwa v1, v0, v1 dst_sel:DWORD dst_unused:UNUSED_PAD src0_sel:WORD_1 src1_sel:DWORD
	s_mov_b32 s13, exec_lo
	v_cmpx_ne_u16_e32 0, v1
	s_cbranch_execz .LBB224_674
; %bb.667:                              ;   in Loop: Header=BB224_10 Depth=1
	v_bfrev_b32_e32 v80, 1
	v_mov_b32_e32 v81, 0
	s_mov_b32 s15, exec_lo
	v_cmpx_ne_u16_e32 0x80, v1
	s_cbranch_execz .LBB224_673
; %bb.668:                              ;   in Loop: Header=BB224_10 Depth=1
	v_mov_b32_e32 v80, 0x7f800001
	v_bfe_u32 v7, v0, 16, 7
	v_mov_b32_e32 v81, 0
	s_mov_b32 s17, exec_lo
	v_cmpx_ne_u32_e32 0x7f, v7
	s_cbranch_execz .LBB224_672
; %bb.669:                              ;   in Loop: Header=BB224_10 Depth=1
	v_mov_b32_e32 v1, 7
	s_mov_b32 s18, exec_lo
	v_and_b32_sdwa v16, v0, v1 dst_sel:DWORD dst_unused:UNUSED_PAD src0_sel:WORD_1 src1_sel:DWORD
	v_lshrrev_b32_e32 v1, 3, v7
	v_cmpx_gt_u32_e32 8, v7
; %bb.670:                              ;   in Loop: Header=BB224_10 Depth=1
	v_ffbh_u32_e32 v1, v16
	v_min_u32_e32 v1, 32, v1
	v_subrev_nc_u32_e32 v7, 28, v1
	v_sub_nc_u32_e32 v1, 29, v1
	v_lshlrev_b64 v[7:8], v7, v[16:17]
	v_and_b32_e32 v16, 7, v7
; %bb.671:                              ;   in Loop: Header=BB224_10 Depth=1
	s_or_b32 exec_lo, exec_lo, s18
	v_mov_b32_e32 v6, 24
	v_lshlrev_b32_e32 v8, 20, v16
	v_lshl_add_u32 v1, v1, 23, 0x3c000000
	v_lshlrev_b32_sdwa v7, v6, v0 dst_sel:DWORD dst_unused:UNUSED_PAD src0_sel:DWORD src1_sel:WORD_1
	v_and_b32_e32 v7, 0x80000000, v7
	v_or3_b32 v16, v8, v7, v1
	v_mov_b32_e32 v81, v17
	v_mov_b32_e32 v80, v16
.LBB224_672:                            ;   in Loop: Header=BB224_10 Depth=1
	s_or_b32 exec_lo, exec_lo, s17
.LBB224_673:                            ;   in Loop: Header=BB224_10 Depth=1
	s_or_b32 exec_lo, exec_lo, s15
.LBB224_674:                            ;   in Loop: Header=BB224_10 Depth=1
	s_or_b32 exec_lo, exec_lo, s13
	s_mov_b32 s13, exec_lo
	v_cmpx_lt_u32_e32 0xffffff, v0
	s_cbranch_execz .LBB224_682
; %bb.675:                              ;   in Loop: Header=BB224_10 Depth=1
	v_mov_b32_e32 v104, v17
	v_cmp_ne_u32_sdwa s5, v0, v125 src0_sel:BYTE_3 src1_sel:DWORD
	v_mov_b32_e32 v98, v104
	v_mov_b32_e32 v99, v105
	s_and_saveexec_b32 s15, s5
	s_cbranch_execz .LBB224_681
; %bb.676:                              ;   in Loop: Header=BB224_10 Depth=1
	v_mov_b32_e32 v94, v17
	v_mov_b32_e32 v99, v95
	v_bfe_u32 v7, v0, 24, 7
	s_mov_b32 s17, exec_lo
	v_mov_b32_e32 v98, v94
	v_cmpx_ne_u32_e32 0x7f, v7
	s_cbranch_execz .LBB224_680
; %bb.677:                              ;   in Loop: Header=BB224_10 Depth=1
	v_mov_b32_e32 v1, 7
	s_mov_b32 s18, exec_lo
	v_and_b32_sdwa v16, v0, v1 dst_sel:DWORD dst_unused:UNUSED_PAD src0_sel:BYTE_3 src1_sel:DWORD
	v_lshrrev_b32_e32 v1, 3, v7
	v_cmpx_gt_u32_e32 8, v7
; %bb.678:                              ;   in Loop: Header=BB224_10 Depth=1
	v_ffbh_u32_e32 v1, v16
	v_min_u32_e32 v1, 32, v1
	v_subrev_nc_u32_e32 v7, 28, v1
	v_sub_nc_u32_e32 v1, 29, v1
	v_lshlrev_b64 v[7:8], v7, v[16:17]
	v_and_b32_e32 v16, 7, v7
; %bb.679:                              ;   in Loop: Header=BB224_10 Depth=1
	s_or_b32 exec_lo, exec_lo, s18
	v_mov_b32_e32 v6, 24
	v_lshlrev_b32_e32 v7, 20, v16
	v_lshl_add_u32 v1, v1, 23, 0x3c000000
	v_mov_b32_e32 v98, v17
	v_lshlrev_b32_sdwa v0, v6, v0 dst_sel:DWORD dst_unused:UNUSED_PAD src0_sel:DWORD src1_sel:BYTE_3
	v_and_b32_e32 v0, 0x80000000, v0
	v_or3_b32 v99, v7, v0, v1
.LBB224_680:                            ;   in Loop: Header=BB224_10 Depth=1
	s_or_b32 exec_lo, exec_lo, s17
.LBB224_681:                            ;   in Loop: Header=BB224_10 Depth=1
	s_or_b32 exec_lo, exec_lo, s15
.LBB224_682:                            ;   in Loop: Header=BB224_10 Depth=1
	s_or_b32 exec_lo, exec_lo, s13
	flat_load_dword v0, v[32:33] offset:516
	v_mov_b32_e32 v121, 0
	v_mov_b32_e32 v100, 0
	;; [unrolled: 1-line block ×4, first 2 shown]
	s_waitcnt vmcnt(0) lgkmcnt(0)
	v_cmp_ne_u16_sdwa s5, v0, v17 src0_sel:BYTE_0 src1_sel:DWORD
	s_and_saveexec_b32 s13, s5
	s_cbranch_execz .LBB224_690
; %bb.683:                              ;   in Loop: Header=BB224_10 Depth=1
	v_bfrev_b32_e32 v100, 1
	v_mov_b32_e32 v101, 0
	v_cmp_ne_u16_sdwa s5, v0, v125 src0_sel:BYTE_0 src1_sel:DWORD
	s_and_saveexec_b32 s15, s5
	s_cbranch_execz .LBB224_689
; %bb.684:                              ;   in Loop: Header=BB224_10 Depth=1
	v_mov_b32_e32 v100, 0x7f800001
	v_and_b32_e32 v7, 0x7f, v0
	v_mov_b32_e32 v101, 0
	s_mov_b32 s17, exec_lo
	v_cmpx_ne_u32_e32 0x7f, v7
	s_cbranch_execz .LBB224_688
; %bb.685:                              ;   in Loop: Header=BB224_10 Depth=1
	v_and_b32_e32 v16, 7, v0
	v_lshrrev_b32_e32 v1, 3, v7
	s_mov_b32 s18, exec_lo
	v_cmpx_gt_u32_e32 8, v7
; %bb.686:                              ;   in Loop: Header=BB224_10 Depth=1
	v_ffbh_u32_e32 v1, v16
	v_min_u32_e32 v1, 32, v1
	v_subrev_nc_u32_e32 v7, 28, v1
	v_sub_nc_u32_e32 v1, 29, v1
	v_lshlrev_b64 v[7:8], v7, v[16:17]
	v_and_b32_e32 v16, 7, v7
; %bb.687:                              ;   in Loop: Header=BB224_10 Depth=1
	s_or_b32 exec_lo, exec_lo, s18
	v_lshlrev_b32_e32 v7, 24, v0
	v_lshlrev_b32_e32 v8, 20, v16
	v_lshl_add_u32 v1, v1, 23, 0x3c000000
	v_and_b32_e32 v7, 0x80000000, v7
	v_or3_b32 v16, v8, v7, v1
	v_mov_b32_e32 v101, v17
	v_mov_b32_e32 v100, v16
.LBB224_688:                            ;   in Loop: Header=BB224_10 Depth=1
	s_or_b32 exec_lo, exec_lo, s17
.LBB224_689:                            ;   in Loop: Header=BB224_10 Depth=1
	s_or_b32 exec_lo, exec_lo, s15
.LBB224_690:                            ;   in Loop: Header=BB224_10 Depth=1
	s_or_b32 exec_lo, exec_lo, s13
	v_cmp_ne_u16_sdwa s5, v0, v17 src0_sel:BYTE_1 src1_sel:DWORD
	s_and_saveexec_b32 s13, s5
	s_cbranch_execz .LBB224_698
; %bb.691:                              ;   in Loop: Header=BB224_10 Depth=1
	v_mov_b32_e32 v104, v17
	v_mov_b32_e32 v122, v105
	v_cmp_ne_u16_sdwa s5, v0, v125 src0_sel:BYTE_1 src1_sel:DWORD
	v_mov_b32_e32 v121, v104
	s_and_saveexec_b32 s15, s5
	s_cbranch_execz .LBB224_697
; %bb.692:                              ;   in Loop: Header=BB224_10 Depth=1
	v_mov_b32_e32 v1, 0xffff
	v_mov_b32_e32 v94, v17
	;; [unrolled: 1-line block ×3, first 2 shown]
	s_mov_b32 s17, exec_lo
	v_and_b32_sdwa v1, v1, v0 dst_sel:DWORD dst_unused:UNUSED_PAD src0_sel:DWORD src1_sel:BYTE_1
	v_mov_b32_e32 v121, v94
	v_and_b32_e32 v7, 0x7f, v1
	v_cmpx_ne_u32_e32 0x7f, v7
	s_cbranch_execz .LBB224_696
; %bb.693:                              ;   in Loop: Header=BB224_10 Depth=1
	v_and_b32_e32 v16, 7, v1
	v_lshrrev_b32_e32 v1, 3, v7
	s_mov_b32 s18, exec_lo
	v_cmpx_gt_u32_e32 8, v7
; %bb.694:                              ;   in Loop: Header=BB224_10 Depth=1
	v_ffbh_u32_e32 v1, v16
	v_min_u32_e32 v1, 32, v1
	v_subrev_nc_u32_e32 v7, 28, v1
	v_sub_nc_u32_e32 v1, 29, v1
	v_lshlrev_b64 v[7:8], v7, v[16:17]
	v_and_b32_e32 v16, 7, v7
; %bb.695:                              ;   in Loop: Header=BB224_10 Depth=1
	s_or_b32 exec_lo, exec_lo, s18
	v_lshlrev_b32_e32 v7, 16, v0
	v_lshlrev_b32_e32 v8, 20, v16
	v_lshl_add_u32 v1, v1, 23, 0x3c000000
	v_mov_b32_e32 v121, v17
	v_and_b32_e32 v7, 0x80000000, v7
	v_or3_b32 v122, v8, v7, v1
.LBB224_696:                            ;   in Loop: Header=BB224_10 Depth=1
	s_or_b32 exec_lo, exec_lo, s17
.LBB224_697:                            ;   in Loop: Header=BB224_10 Depth=1
	s_or_b32 exec_lo, exec_lo, s15
.LBB224_698:                            ;   in Loop: Header=BB224_10 Depth=1
	s_or_b32 exec_lo, exec_lo, s13
	v_mov_b32_e32 v1, 0xff
	v_mov_b32_e32 v114, 0
	;; [unrolled: 1-line block ×5, first 2 shown]
	v_and_b32_sdwa v1, v0, v1 dst_sel:DWORD dst_unused:UNUSED_PAD src0_sel:WORD_1 src1_sel:DWORD
	s_mov_b32 s13, exec_lo
	v_cmpx_ne_u16_e32 0, v1
	s_cbranch_execz .LBB224_706
; %bb.699:                              ;   in Loop: Header=BB224_10 Depth=1
	v_bfrev_b32_e32 v96, 1
	v_mov_b32_e32 v97, 0
	s_mov_b32 s15, exec_lo
	v_cmpx_ne_u16_e32 0x80, v1
	s_cbranch_execz .LBB224_705
; %bb.700:                              ;   in Loop: Header=BB224_10 Depth=1
	v_mov_b32_e32 v96, 0x7f800001
	v_bfe_u32 v7, v0, 16, 7
	v_mov_b32_e32 v97, 0
	s_mov_b32 s17, exec_lo
	v_cmpx_ne_u32_e32 0x7f, v7
	s_cbranch_execz .LBB224_704
; %bb.701:                              ;   in Loop: Header=BB224_10 Depth=1
	v_mov_b32_e32 v1, 7
	s_mov_b32 s18, exec_lo
	v_and_b32_sdwa v16, v0, v1 dst_sel:DWORD dst_unused:UNUSED_PAD src0_sel:WORD_1 src1_sel:DWORD
	v_lshrrev_b32_e32 v1, 3, v7
	v_cmpx_gt_u32_e32 8, v7
; %bb.702:                              ;   in Loop: Header=BB224_10 Depth=1
	v_ffbh_u32_e32 v1, v16
	v_min_u32_e32 v1, 32, v1
	v_subrev_nc_u32_e32 v7, 28, v1
	v_sub_nc_u32_e32 v1, 29, v1
	v_lshlrev_b64 v[7:8], v7, v[16:17]
	v_and_b32_e32 v16, 7, v7
; %bb.703:                              ;   in Loop: Header=BB224_10 Depth=1
	s_or_b32 exec_lo, exec_lo, s18
	v_mov_b32_e32 v6, 24
	v_lshlrev_b32_e32 v8, 20, v16
	v_lshl_add_u32 v1, v1, 23, 0x3c000000
	v_lshlrev_b32_sdwa v7, v6, v0 dst_sel:DWORD dst_unused:UNUSED_PAD src0_sel:DWORD src1_sel:WORD_1
	v_and_b32_e32 v7, 0x80000000, v7
	v_or3_b32 v16, v8, v7, v1
	v_mov_b32_e32 v97, v17
	v_mov_b32_e32 v96, v16
.LBB224_704:                            ;   in Loop: Header=BB224_10 Depth=1
	s_or_b32 exec_lo, exec_lo, s17
.LBB224_705:                            ;   in Loop: Header=BB224_10 Depth=1
	s_or_b32 exec_lo, exec_lo, s15
.LBB224_706:                            ;   in Loop: Header=BB224_10 Depth=1
	s_or_b32 exec_lo, exec_lo, s13
	s_mov_b32 s13, exec_lo
	v_cmpx_lt_u32_e32 0xffffff, v0
	s_cbranch_execz .LBB224_714
; %bb.707:                              ;   in Loop: Header=BB224_10 Depth=1
	v_mov_b32_e32 v104, v17
	v_mov_b32_e32 v115, v105
	v_cmp_ne_u32_sdwa s5, v0, v125 src0_sel:BYTE_3 src1_sel:DWORD
	v_mov_b32_e32 v114, v104
	s_and_saveexec_b32 s15, s5
	s_cbranch_execz .LBB224_713
; %bb.708:                              ;   in Loop: Header=BB224_10 Depth=1
	v_mov_b32_e32 v94, v17
	v_mov_b32_e32 v115, v95
	v_bfe_u32 v7, v0, 24, 7
	s_mov_b32 s17, exec_lo
	v_mov_b32_e32 v114, v94
	v_cmpx_ne_u32_e32 0x7f, v7
	s_cbranch_execz .LBB224_712
; %bb.709:                              ;   in Loop: Header=BB224_10 Depth=1
	v_mov_b32_e32 v1, 7
	s_mov_b32 s18, exec_lo
	v_and_b32_sdwa v16, v0, v1 dst_sel:DWORD dst_unused:UNUSED_PAD src0_sel:BYTE_3 src1_sel:DWORD
	v_lshrrev_b32_e32 v1, 3, v7
	v_cmpx_gt_u32_e32 8, v7
; %bb.710:                              ;   in Loop: Header=BB224_10 Depth=1
	v_ffbh_u32_e32 v1, v16
	v_min_u32_e32 v1, 32, v1
	v_subrev_nc_u32_e32 v7, 28, v1
	v_sub_nc_u32_e32 v1, 29, v1
	v_lshlrev_b64 v[7:8], v7, v[16:17]
	v_and_b32_e32 v16, 7, v7
; %bb.711:                              ;   in Loop: Header=BB224_10 Depth=1
	s_or_b32 exec_lo, exec_lo, s18
	v_mov_b32_e32 v6, 24
	v_lshlrev_b32_e32 v7, 20, v16
	v_lshl_add_u32 v1, v1, 23, 0x3c000000
	v_mov_b32_e32 v114, v17
	v_lshlrev_b32_sdwa v0, v6, v0 dst_sel:DWORD dst_unused:UNUSED_PAD src0_sel:DWORD src1_sel:BYTE_3
	v_and_b32_e32 v0, 0x80000000, v0
	v_or3_b32 v115, v7, v0, v1
.LBB224_712:                            ;   in Loop: Header=BB224_10 Depth=1
	s_or_b32 exec_lo, exec_lo, s17
.LBB224_713:                            ;   in Loop: Header=BB224_10 Depth=1
	s_or_b32 exec_lo, exec_lo, s15
.LBB224_714:                            ;   in Loop: Header=BB224_10 Depth=1
	s_or_b32 exec_lo, exec_lo, s13
	flat_load_dword v0, v[32:33] offset:520
	v_mov_b32_e32 v102, 0
	v_mov_b32_e32 v116, 0
	;; [unrolled: 1-line block ×4, first 2 shown]
	s_waitcnt vmcnt(0) lgkmcnt(0)
	v_cmp_ne_u16_sdwa s5, v0, v17 src0_sel:BYTE_0 src1_sel:DWORD
	s_and_saveexec_b32 s13, s5
	s_cbranch_execz .LBB224_722
; %bb.715:                              ;   in Loop: Header=BB224_10 Depth=1
	v_bfrev_b32_e32 v116, 1
	v_mov_b32_e32 v117, 0
	v_cmp_ne_u16_sdwa s5, v0, v125 src0_sel:BYTE_0 src1_sel:DWORD
	s_and_saveexec_b32 s15, s5
	s_cbranch_execz .LBB224_721
; %bb.716:                              ;   in Loop: Header=BB224_10 Depth=1
	v_mov_b32_e32 v116, 0x7f800001
	v_and_b32_e32 v7, 0x7f, v0
	v_mov_b32_e32 v117, 0
	s_mov_b32 s17, exec_lo
	v_cmpx_ne_u32_e32 0x7f, v7
	s_cbranch_execz .LBB224_720
; %bb.717:                              ;   in Loop: Header=BB224_10 Depth=1
	v_and_b32_e32 v16, 7, v0
	v_lshrrev_b32_e32 v1, 3, v7
	s_mov_b32 s18, exec_lo
	v_cmpx_gt_u32_e32 8, v7
; %bb.718:                              ;   in Loop: Header=BB224_10 Depth=1
	v_ffbh_u32_e32 v1, v16
	v_min_u32_e32 v1, 32, v1
	v_subrev_nc_u32_e32 v7, 28, v1
	v_sub_nc_u32_e32 v1, 29, v1
	v_lshlrev_b64 v[7:8], v7, v[16:17]
	v_and_b32_e32 v16, 7, v7
; %bb.719:                              ;   in Loop: Header=BB224_10 Depth=1
	s_or_b32 exec_lo, exec_lo, s18
	v_lshlrev_b32_e32 v7, 24, v0
	v_lshlrev_b32_e32 v8, 20, v16
	v_lshl_add_u32 v1, v1, 23, 0x3c000000
	v_and_b32_e32 v7, 0x80000000, v7
	v_or3_b32 v16, v8, v7, v1
	v_mov_b32_e32 v117, v17
	v_mov_b32_e32 v116, v16
.LBB224_720:                            ;   in Loop: Header=BB224_10 Depth=1
	s_or_b32 exec_lo, exec_lo, s17
.LBB224_721:                            ;   in Loop: Header=BB224_10 Depth=1
	s_or_b32 exec_lo, exec_lo, s15
.LBB224_722:                            ;   in Loop: Header=BB224_10 Depth=1
	s_or_b32 exec_lo, exec_lo, s13
	v_cmp_ne_u16_sdwa s5, v0, v17 src0_sel:BYTE_1 src1_sel:DWORD
	s_and_saveexec_b32 s13, s5
	s_cbranch_execz .LBB224_730
; %bb.723:                              ;   in Loop: Header=BB224_10 Depth=1
	v_mov_b32_e32 v104, v17
	v_cmp_ne_u16_sdwa s5, v0, v125 src0_sel:BYTE_1 src1_sel:DWORD
	v_mov_b32_e32 v102, v104
	v_mov_b32_e32 v103, v105
	s_and_saveexec_b32 s15, s5
	s_cbranch_execz .LBB224_729
; %bb.724:                              ;   in Loop: Header=BB224_10 Depth=1
	v_mov_b32_e32 v1, 0xffff
	v_mov_b32_e32 v94, v17
	;; [unrolled: 1-line block ×3, first 2 shown]
	s_mov_b32 s17, exec_lo
	v_and_b32_sdwa v1, v1, v0 dst_sel:DWORD dst_unused:UNUSED_PAD src0_sel:DWORD src1_sel:BYTE_1
	v_mov_b32_e32 v102, v94
	v_and_b32_e32 v7, 0x7f, v1
	v_cmpx_ne_u32_e32 0x7f, v7
	s_cbranch_execz .LBB224_728
; %bb.725:                              ;   in Loop: Header=BB224_10 Depth=1
	v_and_b32_e32 v16, 7, v1
	v_lshrrev_b32_e32 v1, 3, v7
	s_mov_b32 s18, exec_lo
	v_cmpx_gt_u32_e32 8, v7
; %bb.726:                              ;   in Loop: Header=BB224_10 Depth=1
	v_ffbh_u32_e32 v1, v16
	v_min_u32_e32 v1, 32, v1
	v_subrev_nc_u32_e32 v7, 28, v1
	v_sub_nc_u32_e32 v1, 29, v1
	v_lshlrev_b64 v[7:8], v7, v[16:17]
	v_and_b32_e32 v16, 7, v7
; %bb.727:                              ;   in Loop: Header=BB224_10 Depth=1
	s_or_b32 exec_lo, exec_lo, s18
	v_lshlrev_b32_e32 v7, 16, v0
	v_lshlrev_b32_e32 v8, 20, v16
	v_lshl_add_u32 v1, v1, 23, 0x3c000000
	v_mov_b32_e32 v102, v17
	v_and_b32_e32 v7, 0x80000000, v7
	v_or3_b32 v103, v8, v7, v1
.LBB224_728:                            ;   in Loop: Header=BB224_10 Depth=1
	s_or_b32 exec_lo, exec_lo, s17
.LBB224_729:                            ;   in Loop: Header=BB224_10 Depth=1
	s_or_b32 exec_lo, exec_lo, s15
.LBB224_730:                            ;   in Loop: Header=BB224_10 Depth=1
	s_or_b32 exec_lo, exec_lo, s13
	v_mov_b32_e32 v1, 0xff
	v_mov_b32_e32 v42, 0
	;; [unrolled: 1-line block ×5, first 2 shown]
	v_and_b32_sdwa v1, v0, v1 dst_sel:DWORD dst_unused:UNUSED_PAD src0_sel:WORD_1 src1_sel:DWORD
	s_mov_b32 s13, exec_lo
	v_cmpx_ne_u16_e32 0, v1
	s_cbranch_execz .LBB224_738
; %bb.731:                              ;   in Loop: Header=BB224_10 Depth=1
	v_bfrev_b32_e32 v112, 1
	v_mov_b32_e32 v113, 0
	s_mov_b32 s15, exec_lo
	v_cmpx_ne_u16_e32 0x80, v1
	s_cbranch_execz .LBB224_737
; %bb.732:                              ;   in Loop: Header=BB224_10 Depth=1
	v_mov_b32_e32 v112, 0x7f800001
	v_bfe_u32 v7, v0, 16, 7
	v_mov_b32_e32 v113, 0
	s_mov_b32 s17, exec_lo
	v_cmpx_ne_u32_e32 0x7f, v7
	s_cbranch_execz .LBB224_736
; %bb.733:                              ;   in Loop: Header=BB224_10 Depth=1
	v_mov_b32_e32 v1, 7
	s_mov_b32 s18, exec_lo
	v_and_b32_sdwa v16, v0, v1 dst_sel:DWORD dst_unused:UNUSED_PAD src0_sel:WORD_1 src1_sel:DWORD
	v_lshrrev_b32_e32 v1, 3, v7
	v_cmpx_gt_u32_e32 8, v7
; %bb.734:                              ;   in Loop: Header=BB224_10 Depth=1
	v_ffbh_u32_e32 v1, v16
	v_min_u32_e32 v1, 32, v1
	v_subrev_nc_u32_e32 v7, 28, v1
	v_sub_nc_u32_e32 v1, 29, v1
	v_lshlrev_b64 v[7:8], v7, v[16:17]
	v_and_b32_e32 v16, 7, v7
; %bb.735:                              ;   in Loop: Header=BB224_10 Depth=1
	s_or_b32 exec_lo, exec_lo, s18
	v_mov_b32_e32 v6, 24
	v_lshlrev_b32_e32 v8, 20, v16
	v_lshl_add_u32 v1, v1, 23, 0x3c000000
	v_lshlrev_b32_sdwa v7, v6, v0 dst_sel:DWORD dst_unused:UNUSED_PAD src0_sel:DWORD src1_sel:WORD_1
	v_and_b32_e32 v7, 0x80000000, v7
	v_or3_b32 v16, v8, v7, v1
	v_mov_b32_e32 v113, v17
	v_mov_b32_e32 v112, v16
.LBB224_736:                            ;   in Loop: Header=BB224_10 Depth=1
	s_or_b32 exec_lo, exec_lo, s17
.LBB224_737:                            ;   in Loop: Header=BB224_10 Depth=1
	s_or_b32 exec_lo, exec_lo, s15
.LBB224_738:                            ;   in Loop: Header=BB224_10 Depth=1
	s_or_b32 exec_lo, exec_lo, s13
	s_mov_b32 s13, exec_lo
	v_cmpx_lt_u32_e32 0xffffff, v0
	s_cbranch_execz .LBB224_746
; %bb.739:                              ;   in Loop: Header=BB224_10 Depth=1
	v_mov_b32_e32 v104, v17
	v_cmp_ne_u32_sdwa s5, v0, v125 src0_sel:BYTE_3 src1_sel:DWORD
	v_mov_b32_e32 v42, v104
	v_mov_b32_e32 v43, v105
	s_and_saveexec_b32 s15, s5
	s_cbranch_execz .LBB224_745
; %bb.740:                              ;   in Loop: Header=BB224_10 Depth=1
	v_mov_b32_e32 v94, v17
	v_bfe_u32 v7, v0, 24, 7
	s_mov_b32 s17, exec_lo
	v_mov_b32_e32 v42, v94
	v_mov_b32_e32 v43, v95
	v_cmpx_ne_u32_e32 0x7f, v7
	s_cbranch_execz .LBB224_744
; %bb.741:                              ;   in Loop: Header=BB224_10 Depth=1
	v_mov_b32_e32 v1, 7
	s_mov_b32 s18, exec_lo
	v_and_b32_sdwa v16, v0, v1 dst_sel:DWORD dst_unused:UNUSED_PAD src0_sel:BYTE_3 src1_sel:DWORD
	v_lshrrev_b32_e32 v1, 3, v7
	v_cmpx_gt_u32_e32 8, v7
; %bb.742:                              ;   in Loop: Header=BB224_10 Depth=1
	v_ffbh_u32_e32 v1, v16
	v_min_u32_e32 v1, 32, v1
	v_subrev_nc_u32_e32 v7, 28, v1
	v_sub_nc_u32_e32 v1, 29, v1
	v_lshlrev_b64 v[7:8], v7, v[16:17]
	v_and_b32_e32 v16, 7, v7
; %bb.743:                              ;   in Loop: Header=BB224_10 Depth=1
	s_or_b32 exec_lo, exec_lo, s18
	v_mov_b32_e32 v6, 24
	v_lshlrev_b32_e32 v7, 20, v16
	v_lshl_add_u32 v1, v1, 23, 0x3c000000
	v_mov_b32_e32 v42, v17
	v_lshlrev_b32_sdwa v0, v6, v0 dst_sel:DWORD dst_unused:UNUSED_PAD src0_sel:DWORD src1_sel:BYTE_3
	v_and_b32_e32 v0, 0x80000000, v0
	v_or3_b32 v43, v7, v0, v1
.LBB224_744:                            ;   in Loop: Header=BB224_10 Depth=1
	s_or_b32 exec_lo, exec_lo, s17
.LBB224_745:                            ;   in Loop: Header=BB224_10 Depth=1
	s_or_b32 exec_lo, exec_lo, s15
.LBB224_746:                            ;   in Loop: Header=BB224_10 Depth=1
	s_or_b32 exec_lo, exec_lo, s13
	flat_load_dword v0, v[32:33] offset:524
	v_mov_b32_e32 v118, 0
	v_mov_b32_e32 v44, 0
	;; [unrolled: 1-line block ×4, first 2 shown]
	s_waitcnt vmcnt(0) lgkmcnt(0)
	v_cmp_ne_u16_sdwa s5, v0, v17 src0_sel:BYTE_0 src1_sel:DWORD
	s_and_saveexec_b32 s13, s5
	s_cbranch_execz .LBB224_754
; %bb.747:                              ;   in Loop: Header=BB224_10 Depth=1
	v_bfrev_b32_e32 v44, 1
	v_mov_b32_e32 v45, 0
	v_cmp_ne_u16_sdwa s5, v0, v125 src0_sel:BYTE_0 src1_sel:DWORD
	s_and_saveexec_b32 s15, s5
	s_cbranch_execz .LBB224_753
; %bb.748:                              ;   in Loop: Header=BB224_10 Depth=1
	v_mov_b32_e32 v44, 0x7f800001
	v_and_b32_e32 v7, 0x7f, v0
	v_mov_b32_e32 v45, 0
	s_mov_b32 s17, exec_lo
	v_cmpx_ne_u32_e32 0x7f, v7
	s_cbranch_execz .LBB224_752
; %bb.749:                              ;   in Loop: Header=BB224_10 Depth=1
	v_and_b32_e32 v16, 7, v0
	v_lshrrev_b32_e32 v1, 3, v7
	s_mov_b32 s18, exec_lo
	v_cmpx_gt_u32_e32 8, v7
; %bb.750:                              ;   in Loop: Header=BB224_10 Depth=1
	v_ffbh_u32_e32 v1, v16
	v_min_u32_e32 v1, 32, v1
	v_subrev_nc_u32_e32 v7, 28, v1
	v_sub_nc_u32_e32 v1, 29, v1
	v_lshlrev_b64 v[7:8], v7, v[16:17]
	v_and_b32_e32 v16, 7, v7
; %bb.751:                              ;   in Loop: Header=BB224_10 Depth=1
	s_or_b32 exec_lo, exec_lo, s18
	v_lshlrev_b32_e32 v7, 24, v0
	v_lshlrev_b32_e32 v8, 20, v16
	v_lshl_add_u32 v1, v1, 23, 0x3c000000
	v_and_b32_e32 v7, 0x80000000, v7
	v_or3_b32 v16, v8, v7, v1
	v_mov_b32_e32 v45, v17
	v_mov_b32_e32 v44, v16
.LBB224_752:                            ;   in Loop: Header=BB224_10 Depth=1
	s_or_b32 exec_lo, exec_lo, s17
.LBB224_753:                            ;   in Loop: Header=BB224_10 Depth=1
	s_or_b32 exec_lo, exec_lo, s15
.LBB224_754:                            ;   in Loop: Header=BB224_10 Depth=1
	s_or_b32 exec_lo, exec_lo, s13
	v_cmp_ne_u16_sdwa s5, v0, v17 src0_sel:BYTE_1 src1_sel:DWORD
	s_and_saveexec_b32 s13, s5
	s_cbranch_execz .LBB224_762
; %bb.755:                              ;   in Loop: Header=BB224_10 Depth=1
	v_mov_b32_e32 v104, v17
	v_mov_b32_e32 v119, v105
	v_cmp_ne_u16_sdwa s5, v0, v125 src0_sel:BYTE_1 src1_sel:DWORD
	v_mov_b32_e32 v118, v104
	s_and_saveexec_b32 s15, s5
	s_cbranch_execz .LBB224_761
; %bb.756:                              ;   in Loop: Header=BB224_10 Depth=1
	v_mov_b32_e32 v1, 0xffff
	v_mov_b32_e32 v94, v17
	;; [unrolled: 1-line block ×3, first 2 shown]
	s_mov_b32 s17, exec_lo
	v_and_b32_sdwa v1, v1, v0 dst_sel:DWORD dst_unused:UNUSED_PAD src0_sel:DWORD src1_sel:BYTE_1
	v_mov_b32_e32 v118, v94
	v_and_b32_e32 v7, 0x7f, v1
	v_cmpx_ne_u32_e32 0x7f, v7
	s_cbranch_execz .LBB224_760
; %bb.757:                              ;   in Loop: Header=BB224_10 Depth=1
	v_and_b32_e32 v16, 7, v1
	v_lshrrev_b32_e32 v1, 3, v7
	s_mov_b32 s18, exec_lo
	v_cmpx_gt_u32_e32 8, v7
; %bb.758:                              ;   in Loop: Header=BB224_10 Depth=1
	v_ffbh_u32_e32 v1, v16
	v_min_u32_e32 v1, 32, v1
	v_subrev_nc_u32_e32 v7, 28, v1
	v_sub_nc_u32_e32 v1, 29, v1
	v_lshlrev_b64 v[7:8], v7, v[16:17]
	v_and_b32_e32 v16, 7, v7
; %bb.759:                              ;   in Loop: Header=BB224_10 Depth=1
	s_or_b32 exec_lo, exec_lo, s18
	v_lshlrev_b32_e32 v7, 16, v0
	v_lshlrev_b32_e32 v8, 20, v16
	v_lshl_add_u32 v1, v1, 23, 0x3c000000
	v_mov_b32_e32 v118, v17
	v_and_b32_e32 v7, 0x80000000, v7
	v_or3_b32 v119, v8, v7, v1
.LBB224_760:                            ;   in Loop: Header=BB224_10 Depth=1
	s_or_b32 exec_lo, exec_lo, s17
.LBB224_761:                            ;   in Loop: Header=BB224_10 Depth=1
	s_or_b32 exec_lo, exec_lo, s15
.LBB224_762:                            ;   in Loop: Header=BB224_10 Depth=1
	s_or_b32 exec_lo, exec_lo, s13
	v_mov_b32_e32 v1, 0xff
	v_mov_b32_e32 v58, 0
	;; [unrolled: 1-line block ×5, first 2 shown]
	v_and_b32_sdwa v1, v0, v1 dst_sel:DWORD dst_unused:UNUSED_PAD src0_sel:WORD_1 src1_sel:DWORD
	s_mov_b32 s13, exec_lo
	v_cmpx_ne_u16_e32 0, v1
	s_cbranch_execz .LBB224_770
; %bb.763:                              ;   in Loop: Header=BB224_10 Depth=1
	v_bfrev_b32_e32 v40, 1
	v_mov_b32_e32 v41, 0
	s_mov_b32 s15, exec_lo
	v_cmpx_ne_u16_e32 0x80, v1
	s_cbranch_execz .LBB224_769
; %bb.764:                              ;   in Loop: Header=BB224_10 Depth=1
	v_mov_b32_e32 v40, 0x7f800001
	v_bfe_u32 v7, v0, 16, 7
	v_mov_b32_e32 v41, 0
	s_mov_b32 s17, exec_lo
	v_cmpx_ne_u32_e32 0x7f, v7
	s_cbranch_execz .LBB224_768
; %bb.765:                              ;   in Loop: Header=BB224_10 Depth=1
	v_mov_b32_e32 v1, 7
	s_mov_b32 s18, exec_lo
	v_and_b32_sdwa v16, v0, v1 dst_sel:DWORD dst_unused:UNUSED_PAD src0_sel:WORD_1 src1_sel:DWORD
	v_lshrrev_b32_e32 v1, 3, v7
	v_cmpx_gt_u32_e32 8, v7
; %bb.766:                              ;   in Loop: Header=BB224_10 Depth=1
	v_ffbh_u32_e32 v1, v16
	v_min_u32_e32 v1, 32, v1
	v_subrev_nc_u32_e32 v7, 28, v1
	v_sub_nc_u32_e32 v1, 29, v1
	v_lshlrev_b64 v[7:8], v7, v[16:17]
	v_and_b32_e32 v16, 7, v7
; %bb.767:                              ;   in Loop: Header=BB224_10 Depth=1
	s_or_b32 exec_lo, exec_lo, s18
	v_mov_b32_e32 v6, 24
	v_lshlrev_b32_e32 v8, 20, v16
	v_lshl_add_u32 v1, v1, 23, 0x3c000000
	v_lshlrev_b32_sdwa v7, v6, v0 dst_sel:DWORD dst_unused:UNUSED_PAD src0_sel:DWORD src1_sel:WORD_1
	v_and_b32_e32 v7, 0x80000000, v7
	v_or3_b32 v16, v8, v7, v1
	v_mov_b32_e32 v41, v17
	v_mov_b32_e32 v40, v16
.LBB224_768:                            ;   in Loop: Header=BB224_10 Depth=1
	s_or_b32 exec_lo, exec_lo, s17
.LBB224_769:                            ;   in Loop: Header=BB224_10 Depth=1
	s_or_b32 exec_lo, exec_lo, s15
.LBB224_770:                            ;   in Loop: Header=BB224_10 Depth=1
	s_or_b32 exec_lo, exec_lo, s13
	s_mov_b32 s13, exec_lo
	v_cmpx_lt_u32_e32 0xffffff, v0
	s_cbranch_execz .LBB224_778
; %bb.771:                              ;   in Loop: Header=BB224_10 Depth=1
	v_mov_b32_e32 v104, v17
	v_cmp_ne_u32_sdwa s5, v0, v125 src0_sel:BYTE_3 src1_sel:DWORD
	v_mov_b32_e32 v58, v104
	v_mov_b32_e32 v59, v105
	s_and_saveexec_b32 s15, s5
	s_cbranch_execz .LBB224_777
; %bb.772:                              ;   in Loop: Header=BB224_10 Depth=1
	v_mov_b32_e32 v94, v17
	v_bfe_u32 v7, v0, 24, 7
	s_mov_b32 s17, exec_lo
	v_mov_b32_e32 v58, v94
	v_mov_b32_e32 v59, v95
	v_cmpx_ne_u32_e32 0x7f, v7
	s_cbranch_execz .LBB224_776
; %bb.773:                              ;   in Loop: Header=BB224_10 Depth=1
	v_mov_b32_e32 v1, 7
	s_mov_b32 s18, exec_lo
	v_and_b32_sdwa v16, v0, v1 dst_sel:DWORD dst_unused:UNUSED_PAD src0_sel:BYTE_3 src1_sel:DWORD
	v_lshrrev_b32_e32 v1, 3, v7
	v_cmpx_gt_u32_e32 8, v7
; %bb.774:                              ;   in Loop: Header=BB224_10 Depth=1
	v_ffbh_u32_e32 v1, v16
	v_min_u32_e32 v1, 32, v1
	v_subrev_nc_u32_e32 v7, 28, v1
	v_sub_nc_u32_e32 v1, 29, v1
	v_lshlrev_b64 v[7:8], v7, v[16:17]
	v_and_b32_e32 v16, 7, v7
; %bb.775:                              ;   in Loop: Header=BB224_10 Depth=1
	s_or_b32 exec_lo, exec_lo, s18
	v_mov_b32_e32 v6, 24
	v_lshlrev_b32_e32 v7, 20, v16
	v_lshl_add_u32 v1, v1, 23, 0x3c000000
	v_mov_b32_e32 v58, v17
	v_lshlrev_b32_sdwa v0, v6, v0 dst_sel:DWORD dst_unused:UNUSED_PAD src0_sel:DWORD src1_sel:BYTE_3
	v_and_b32_e32 v0, 0x80000000, v0
	v_or3_b32 v59, v7, v0, v1
.LBB224_776:                            ;   in Loop: Header=BB224_10 Depth=1
	s_or_b32 exec_lo, exec_lo, s17
.LBB224_777:                            ;   in Loop: Header=BB224_10 Depth=1
	s_or_b32 exec_lo, exec_lo, s15
.LBB224_778:                            ;   in Loop: Header=BB224_10 Depth=1
	s_or_b32 exec_lo, exec_lo, s13
	flat_load_dword v0, v[32:33] offset:1024
	v_mov_b32_e32 v46, 0
	v_mov_b32_e32 v60, 0
	;; [unrolled: 1-line block ×4, first 2 shown]
	s_waitcnt vmcnt(0) lgkmcnt(0)
	v_cmp_ne_u16_sdwa s5, v0, v17 src0_sel:BYTE_0 src1_sel:DWORD
	s_and_saveexec_b32 s13, s5
	s_cbranch_execz .LBB224_786
; %bb.779:                              ;   in Loop: Header=BB224_10 Depth=1
	v_bfrev_b32_e32 v60, 1
	v_mov_b32_e32 v61, 0
	v_cmp_ne_u16_sdwa s5, v0, v125 src0_sel:BYTE_0 src1_sel:DWORD
	s_and_saveexec_b32 s15, s5
	s_cbranch_execz .LBB224_785
; %bb.780:                              ;   in Loop: Header=BB224_10 Depth=1
	v_mov_b32_e32 v60, 0x7f800001
	v_and_b32_e32 v7, 0x7f, v0
	v_mov_b32_e32 v61, 0
	s_mov_b32 s17, exec_lo
	v_cmpx_ne_u32_e32 0x7f, v7
	s_cbranch_execz .LBB224_784
; %bb.781:                              ;   in Loop: Header=BB224_10 Depth=1
	v_and_b32_e32 v16, 7, v0
	v_lshrrev_b32_e32 v1, 3, v7
	s_mov_b32 s18, exec_lo
	v_cmpx_gt_u32_e32 8, v7
; %bb.782:                              ;   in Loop: Header=BB224_10 Depth=1
	v_ffbh_u32_e32 v1, v16
	v_min_u32_e32 v1, 32, v1
	v_subrev_nc_u32_e32 v7, 28, v1
	v_sub_nc_u32_e32 v1, 29, v1
	v_lshlrev_b64 v[7:8], v7, v[16:17]
	v_and_b32_e32 v16, 7, v7
; %bb.783:                              ;   in Loop: Header=BB224_10 Depth=1
	s_or_b32 exec_lo, exec_lo, s18
	v_lshlrev_b32_e32 v7, 24, v0
	v_lshlrev_b32_e32 v8, 20, v16
	v_lshl_add_u32 v1, v1, 23, 0x3c000000
	v_and_b32_e32 v7, 0x80000000, v7
	v_or3_b32 v16, v8, v7, v1
	v_mov_b32_e32 v61, v17
	v_mov_b32_e32 v60, v16
.LBB224_784:                            ;   in Loop: Header=BB224_10 Depth=1
	s_or_b32 exec_lo, exec_lo, s17
.LBB224_785:                            ;   in Loop: Header=BB224_10 Depth=1
	s_or_b32 exec_lo, exec_lo, s15
.LBB224_786:                            ;   in Loop: Header=BB224_10 Depth=1
	s_or_b32 exec_lo, exec_lo, s13
	v_cmp_ne_u16_sdwa s5, v0, v17 src0_sel:BYTE_1 src1_sel:DWORD
	s_and_saveexec_b32 s13, s5
	s_cbranch_execz .LBB224_794
; %bb.787:                              ;   in Loop: Header=BB224_10 Depth=1
	v_mov_b32_e32 v104, v17
	v_cmp_ne_u16_sdwa s5, v0, v125 src0_sel:BYTE_1 src1_sel:DWORD
	v_mov_b32_e32 v46, v104
	v_mov_b32_e32 v47, v105
	s_and_saveexec_b32 s15, s5
	s_cbranch_execz .LBB224_793
; %bb.788:                              ;   in Loop: Header=BB224_10 Depth=1
	v_mov_b32_e32 v1, 0xffff
	v_mov_b32_e32 v94, v17
	s_mov_b32 s17, exec_lo
	v_and_b32_sdwa v1, v1, v0 dst_sel:DWORD dst_unused:UNUSED_PAD src0_sel:DWORD src1_sel:BYTE_1
	v_mov_b32_e32 v46, v94
	v_mov_b32_e32 v47, v95
	v_and_b32_e32 v7, 0x7f, v1
	v_cmpx_ne_u32_e32 0x7f, v7
	s_cbranch_execz .LBB224_792
; %bb.789:                              ;   in Loop: Header=BB224_10 Depth=1
	v_and_b32_e32 v16, 7, v1
	v_lshrrev_b32_e32 v1, 3, v7
	s_mov_b32 s18, exec_lo
	v_cmpx_gt_u32_e32 8, v7
; %bb.790:                              ;   in Loop: Header=BB224_10 Depth=1
	v_ffbh_u32_e32 v1, v16
	v_min_u32_e32 v1, 32, v1
	v_subrev_nc_u32_e32 v7, 28, v1
	v_sub_nc_u32_e32 v1, 29, v1
	v_lshlrev_b64 v[7:8], v7, v[16:17]
	v_and_b32_e32 v16, 7, v7
; %bb.791:                              ;   in Loop: Header=BB224_10 Depth=1
	s_or_b32 exec_lo, exec_lo, s18
	v_lshlrev_b32_e32 v7, 16, v0
	v_lshlrev_b32_e32 v8, 20, v16
	v_lshl_add_u32 v1, v1, 23, 0x3c000000
	v_mov_b32_e32 v46, v17
	v_and_b32_e32 v7, 0x80000000, v7
	v_or3_b32 v47, v8, v7, v1
.LBB224_792:                            ;   in Loop: Header=BB224_10 Depth=1
	s_or_b32 exec_lo, exec_lo, s17
.LBB224_793:                            ;   in Loop: Header=BB224_10 Depth=1
	s_or_b32 exec_lo, exec_lo, s15
.LBB224_794:                            ;   in Loop: Header=BB224_10 Depth=1
	s_or_b32 exec_lo, exec_lo, s13
	v_mov_b32_e32 v1, 0xff
	v_mov_b32_e32 v74, 0
	;; [unrolled: 1-line block ×5, first 2 shown]
	v_and_b32_sdwa v1, v0, v1 dst_sel:DWORD dst_unused:UNUSED_PAD src0_sel:WORD_1 src1_sel:DWORD
	s_mov_b32 s13, exec_lo
	v_cmpx_ne_u16_e32 0, v1
	s_cbranch_execz .LBB224_802
; %bb.795:                              ;   in Loop: Header=BB224_10 Depth=1
	v_bfrev_b32_e32 v56, 1
	v_mov_b32_e32 v57, 0
	s_mov_b32 s15, exec_lo
	v_cmpx_ne_u16_e32 0x80, v1
	s_cbranch_execz .LBB224_801
; %bb.796:                              ;   in Loop: Header=BB224_10 Depth=1
	v_mov_b32_e32 v56, 0x7f800001
	v_bfe_u32 v7, v0, 16, 7
	v_mov_b32_e32 v57, 0
	s_mov_b32 s17, exec_lo
	v_cmpx_ne_u32_e32 0x7f, v7
	s_cbranch_execz .LBB224_800
; %bb.797:                              ;   in Loop: Header=BB224_10 Depth=1
	v_mov_b32_e32 v1, 7
	s_mov_b32 s18, exec_lo
	v_and_b32_sdwa v16, v0, v1 dst_sel:DWORD dst_unused:UNUSED_PAD src0_sel:WORD_1 src1_sel:DWORD
	v_lshrrev_b32_e32 v1, 3, v7
	v_cmpx_gt_u32_e32 8, v7
; %bb.798:                              ;   in Loop: Header=BB224_10 Depth=1
	v_ffbh_u32_e32 v1, v16
	v_min_u32_e32 v1, 32, v1
	v_subrev_nc_u32_e32 v7, 28, v1
	v_sub_nc_u32_e32 v1, 29, v1
	v_lshlrev_b64 v[7:8], v7, v[16:17]
	v_and_b32_e32 v16, 7, v7
; %bb.799:                              ;   in Loop: Header=BB224_10 Depth=1
	s_or_b32 exec_lo, exec_lo, s18
	v_mov_b32_e32 v6, 24
	v_lshlrev_b32_e32 v8, 20, v16
	v_lshl_add_u32 v1, v1, 23, 0x3c000000
	v_lshlrev_b32_sdwa v7, v6, v0 dst_sel:DWORD dst_unused:UNUSED_PAD src0_sel:DWORD src1_sel:WORD_1
	v_and_b32_e32 v7, 0x80000000, v7
	v_or3_b32 v16, v8, v7, v1
	v_mov_b32_e32 v57, v17
	v_mov_b32_e32 v56, v16
.LBB224_800:                            ;   in Loop: Header=BB224_10 Depth=1
	s_or_b32 exec_lo, exec_lo, s17
.LBB224_801:                            ;   in Loop: Header=BB224_10 Depth=1
	s_or_b32 exec_lo, exec_lo, s15
.LBB224_802:                            ;   in Loop: Header=BB224_10 Depth=1
	s_or_b32 exec_lo, exec_lo, s13
	s_mov_b32 s13, exec_lo
	v_cmpx_lt_u32_e32 0xffffff, v0
	s_cbranch_execz .LBB224_810
; %bb.803:                              ;   in Loop: Header=BB224_10 Depth=1
	v_mov_b32_e32 v104, v17
	v_cmp_ne_u32_sdwa s5, v0, v125 src0_sel:BYTE_3 src1_sel:DWORD
	v_mov_b32_e32 v74, v104
	v_mov_b32_e32 v75, v105
	s_and_saveexec_b32 s15, s5
	s_cbranch_execz .LBB224_809
; %bb.804:                              ;   in Loop: Header=BB224_10 Depth=1
	v_mov_b32_e32 v94, v17
	v_bfe_u32 v7, v0, 24, 7
	s_mov_b32 s17, exec_lo
	v_mov_b32_e32 v74, v94
	v_mov_b32_e32 v75, v95
	v_cmpx_ne_u32_e32 0x7f, v7
	s_cbranch_execz .LBB224_808
; %bb.805:                              ;   in Loop: Header=BB224_10 Depth=1
	v_mov_b32_e32 v1, 7
	s_mov_b32 s18, exec_lo
	v_and_b32_sdwa v16, v0, v1 dst_sel:DWORD dst_unused:UNUSED_PAD src0_sel:BYTE_3 src1_sel:DWORD
	v_lshrrev_b32_e32 v1, 3, v7
	v_cmpx_gt_u32_e32 8, v7
; %bb.806:                              ;   in Loop: Header=BB224_10 Depth=1
	v_ffbh_u32_e32 v1, v16
	v_min_u32_e32 v1, 32, v1
	v_subrev_nc_u32_e32 v7, 28, v1
	v_sub_nc_u32_e32 v1, 29, v1
	v_lshlrev_b64 v[7:8], v7, v[16:17]
	v_and_b32_e32 v16, 7, v7
; %bb.807:                              ;   in Loop: Header=BB224_10 Depth=1
	s_or_b32 exec_lo, exec_lo, s18
	v_mov_b32_e32 v6, 24
	v_lshlrev_b32_e32 v7, 20, v16
	v_lshl_add_u32 v1, v1, 23, 0x3c000000
	v_mov_b32_e32 v74, v17
	v_lshlrev_b32_sdwa v0, v6, v0 dst_sel:DWORD dst_unused:UNUSED_PAD src0_sel:DWORD src1_sel:BYTE_3
	v_and_b32_e32 v0, 0x80000000, v0
	v_or3_b32 v75, v7, v0, v1
.LBB224_808:                            ;   in Loop: Header=BB224_10 Depth=1
	s_or_b32 exec_lo, exec_lo, s17
.LBB224_809:                            ;   in Loop: Header=BB224_10 Depth=1
	s_or_b32 exec_lo, exec_lo, s15
.LBB224_810:                            ;   in Loop: Header=BB224_10 Depth=1
	s_or_b32 exec_lo, exec_lo, s13
	flat_load_dword v0, v[32:33] offset:1028
	v_mov_b32_e32 v7, 0
	v_mov_b32_e32 v76, 0
	;; [unrolled: 1-line block ×4, first 2 shown]
	s_waitcnt vmcnt(0) lgkmcnt(0)
	v_cmp_ne_u16_sdwa s5, v0, v17 src0_sel:BYTE_0 src1_sel:DWORD
	s_and_saveexec_b32 s13, s5
	s_cbranch_execz .LBB224_818
; %bb.811:                              ;   in Loop: Header=BB224_10 Depth=1
	v_bfrev_b32_e32 v76, 1
	v_mov_b32_e32 v77, 0
	v_cmp_ne_u16_sdwa s5, v0, v125 src0_sel:BYTE_0 src1_sel:DWORD
	s_and_saveexec_b32 s15, s5
	s_cbranch_execz .LBB224_817
; %bb.812:                              ;   in Loop: Header=BB224_10 Depth=1
	v_mov_b32_e32 v76, 0x7f800001
	v_and_b32_e32 v62, 0x7f, v0
	v_mov_b32_e32 v77, 0
	s_mov_b32 s17, exec_lo
	v_cmpx_ne_u32_e32 0x7f, v62
	s_cbranch_execz .LBB224_816
; %bb.813:                              ;   in Loop: Header=BB224_10 Depth=1
	v_and_b32_e32 v16, 7, v0
	v_lshrrev_b32_e32 v1, 3, v62
	s_mov_b32 s18, exec_lo
	v_cmpx_gt_u32_e32 8, v62
; %bb.814:                              ;   in Loop: Header=BB224_10 Depth=1
	v_ffbh_u32_e32 v1, v16
	v_min_u32_e32 v1, 32, v1
	v_subrev_nc_u32_e32 v62, 28, v1
	v_sub_nc_u32_e32 v1, 29, v1
	v_lshlrev_b64 v[62:63], v62, v[16:17]
	v_and_b32_e32 v16, 7, v62
; %bb.815:                              ;   in Loop: Header=BB224_10 Depth=1
	s_or_b32 exec_lo, exec_lo, s18
	v_lshlrev_b32_e32 v62, 24, v0
	v_lshlrev_b32_e32 v16, 20, v16
	v_lshl_add_u32 v1, v1, 23, 0x3c000000
	v_and_b32_e32 v62, 0x80000000, v62
	v_or3_b32 v16, v16, v62, v1
	v_mov_b32_e32 v77, v17
	v_mov_b32_e32 v76, v16
.LBB224_816:                            ;   in Loop: Header=BB224_10 Depth=1
	s_or_b32 exec_lo, exec_lo, s17
.LBB224_817:                            ;   in Loop: Header=BB224_10 Depth=1
	s_or_b32 exec_lo, exec_lo, s15
.LBB224_818:                            ;   in Loop: Header=BB224_10 Depth=1
	s_or_b32 exec_lo, exec_lo, s13
	v_cmp_ne_u16_sdwa s5, v0, v17 src0_sel:BYTE_1 src1_sel:DWORD
	s_and_saveexec_b32 s13, s5
	s_cbranch_execz .LBB224_826
; %bb.819:                              ;   in Loop: Header=BB224_10 Depth=1
	v_mov_b32_e32 v104, v17
	v_cmp_ne_u16_sdwa s5, v0, v125 src0_sel:BYTE_1 src1_sel:DWORD
	v_mov_b32_e32 v7, v104
	v_mov_b32_e32 v8, v105
	s_and_saveexec_b32 s15, s5
	s_cbranch_execz .LBB224_825
; %bb.820:                              ;   in Loop: Header=BB224_10 Depth=1
	v_mov_b32_e32 v1, 0xffff
	v_mov_b32_e32 v94, v17
	s_mov_b32 s17, exec_lo
	v_and_b32_sdwa v1, v1, v0 dst_sel:DWORD dst_unused:UNUSED_PAD src0_sel:DWORD src1_sel:BYTE_1
	v_mov_b32_e32 v7, v94
	v_mov_b32_e32 v8, v95
	v_and_b32_e32 v62, 0x7f, v1
	v_cmpx_ne_u32_e32 0x7f, v62
	s_cbranch_execz .LBB224_824
; %bb.821:                              ;   in Loop: Header=BB224_10 Depth=1
	v_and_b32_e32 v16, 7, v1
	v_lshrrev_b32_e32 v1, 3, v62
	s_mov_b32 s18, exec_lo
	v_cmpx_gt_u32_e32 8, v62
; %bb.822:                              ;   in Loop: Header=BB224_10 Depth=1
	v_ffbh_u32_e32 v1, v16
	v_min_u32_e32 v1, 32, v1
	v_subrev_nc_u32_e32 v7, 28, v1
	v_sub_nc_u32_e32 v1, 29, v1
	v_lshlrev_b64 v[7:8], v7, v[16:17]
	v_and_b32_e32 v16, 7, v7
; %bb.823:                              ;   in Loop: Header=BB224_10 Depth=1
	s_or_b32 exec_lo, exec_lo, s18
	v_lshlrev_b32_e32 v7, 16, v0
	v_lshlrev_b32_e32 v8, 20, v16
	v_lshl_add_u32 v1, v1, 23, 0x3c000000
	v_and_b32_e32 v7, 0x80000000, v7
	v_or3_b32 v8, v8, v7, v1
	v_mov_b32_e32 v7, v17
.LBB224_824:                            ;   in Loop: Header=BB224_10 Depth=1
	s_or_b32 exec_lo, exec_lo, s17
.LBB224_825:                            ;   in Loop: Header=BB224_10 Depth=1
	s_or_b32 exec_lo, exec_lo, s15
.LBB224_826:                            ;   in Loop: Header=BB224_10 Depth=1
	s_or_b32 exec_lo, exec_lo, s13
	v_mov_b32_e32 v1, 0xff
	v_mov_b32_e32 v72, 0
	;; [unrolled: 1-line block ×5, first 2 shown]
	v_and_b32_sdwa v1, v0, v1 dst_sel:DWORD dst_unused:UNUSED_PAD src0_sel:WORD_1 src1_sel:DWORD
	s_mov_b32 s13, exec_lo
	v_cmpx_ne_u16_e32 0, v1
	s_cbranch_execz .LBB224_834
; %bb.827:                              ;   in Loop: Header=BB224_10 Depth=1
	v_bfrev_b32_e32 v92, 1
	v_mov_b32_e32 v93, 0
	s_mov_b32 s15, exec_lo
	v_cmpx_ne_u16_e32 0x80, v1
	s_cbranch_execz .LBB224_833
; %bb.828:                              ;   in Loop: Header=BB224_10 Depth=1
	v_mov_b32_e32 v92, 0x7f800001
	v_bfe_u32 v62, v0, 16, 7
	v_mov_b32_e32 v93, 0
	s_mov_b32 s17, exec_lo
	v_cmpx_ne_u32_e32 0x7f, v62
	s_cbranch_execz .LBB224_832
; %bb.829:                              ;   in Loop: Header=BB224_10 Depth=1
	v_mov_b32_e32 v1, 7
	s_mov_b32 s18, exec_lo
	v_and_b32_sdwa v16, v0, v1 dst_sel:DWORD dst_unused:UNUSED_PAD src0_sel:WORD_1 src1_sel:DWORD
	v_lshrrev_b32_e32 v1, 3, v62
	v_cmpx_gt_u32_e32 8, v62
; %bb.830:                              ;   in Loop: Header=BB224_10 Depth=1
	v_ffbh_u32_e32 v1, v16
	v_min_u32_e32 v1, 32, v1
	v_subrev_nc_u32_e32 v62, 28, v1
	v_sub_nc_u32_e32 v1, 29, v1
	v_lshlrev_b64 v[62:63], v62, v[16:17]
	v_and_b32_e32 v16, 7, v62
; %bb.831:                              ;   in Loop: Header=BB224_10 Depth=1
	s_or_b32 exec_lo, exec_lo, s18
	v_mov_b32_e32 v6, 24
	v_lshlrev_b32_e32 v16, 20, v16
	v_lshl_add_u32 v1, v1, 23, 0x3c000000
	v_lshlrev_b32_sdwa v62, v6, v0 dst_sel:DWORD dst_unused:UNUSED_PAD src0_sel:DWORD src1_sel:WORD_1
	v_and_b32_e32 v62, 0x80000000, v62
	v_or3_b32 v16, v16, v62, v1
	v_mov_b32_e32 v93, v17
	v_mov_b32_e32 v92, v16
.LBB224_832:                            ;   in Loop: Header=BB224_10 Depth=1
	s_or_b32 exec_lo, exec_lo, s17
.LBB224_833:                            ;   in Loop: Header=BB224_10 Depth=1
	s_or_b32 exec_lo, exec_lo, s15
.LBB224_834:                            ;   in Loop: Header=BB224_10 Depth=1
	s_or_b32 exec_lo, exec_lo, s13
	s_mov_b32 s13, exec_lo
	v_cmpx_lt_u32_e32 0xffffff, v0
	s_cbranch_execz .LBB224_842
; %bb.835:                              ;   in Loop: Header=BB224_10 Depth=1
	v_mov_b32_e32 v104, v17
	v_cmp_ne_u32_sdwa s5, v0, v125 src0_sel:BYTE_3 src1_sel:DWORD
	v_mov_b32_e32 v72, v104
	v_mov_b32_e32 v73, v105
	s_and_saveexec_b32 s15, s5
	s_cbranch_execz .LBB224_841
; %bb.836:                              ;   in Loop: Header=BB224_10 Depth=1
	v_mov_b32_e32 v94, v17
	v_bfe_u32 v62, v0, 24, 7
	s_mov_b32 s17, exec_lo
	v_mov_b32_e32 v72, v94
	v_mov_b32_e32 v73, v95
	v_cmpx_ne_u32_e32 0x7f, v62
	s_cbranch_execz .LBB224_840
; %bb.837:                              ;   in Loop: Header=BB224_10 Depth=1
	v_mov_b32_e32 v1, 7
	s_mov_b32 s18, exec_lo
	v_and_b32_sdwa v16, v0, v1 dst_sel:DWORD dst_unused:UNUSED_PAD src0_sel:BYTE_3 src1_sel:DWORD
	v_lshrrev_b32_e32 v1, 3, v62
	v_cmpx_gt_u32_e32 8, v62
; %bb.838:                              ;   in Loop: Header=BB224_10 Depth=1
	v_ffbh_u32_e32 v1, v16
	v_min_u32_e32 v1, 32, v1
	v_subrev_nc_u32_e32 v62, 28, v1
	v_sub_nc_u32_e32 v1, 29, v1
	v_lshlrev_b64 v[62:63], v62, v[16:17]
	v_and_b32_e32 v16, 7, v62
; %bb.839:                              ;   in Loop: Header=BB224_10 Depth=1
	s_or_b32 exec_lo, exec_lo, s18
	v_mov_b32_e32 v6, 24
	v_lshlrev_b32_e32 v16, 20, v16
	v_lshl_add_u32 v1, v1, 23, 0x3c000000
	v_mov_b32_e32 v72, v17
	v_lshlrev_b32_sdwa v0, v6, v0 dst_sel:DWORD dst_unused:UNUSED_PAD src0_sel:DWORD src1_sel:BYTE_3
	v_and_b32_e32 v0, 0x80000000, v0
	v_or3_b32 v73, v16, v0, v1
.LBB224_840:                            ;   in Loop: Header=BB224_10 Depth=1
	s_or_b32 exec_lo, exec_lo, s17
.LBB224_841:                            ;   in Loop: Header=BB224_10 Depth=1
	s_or_b32 exec_lo, exec_lo, s15
.LBB224_842:                            ;   in Loop: Header=BB224_10 Depth=1
	s_or_b32 exec_lo, exec_lo, s13
	flat_load_dword v62, v[32:33] offset:1032
	v_mov_b32_e32 v78, 0
	v_mov_b32_e32 v106, 0
	;; [unrolled: 1-line block ×4, first 2 shown]
	s_waitcnt vmcnt(0) lgkmcnt(0)
	v_cmp_ne_u16_sdwa s5, v62, v17 src0_sel:BYTE_0 src1_sel:DWORD
	s_and_saveexec_b32 s13, s5
	s_cbranch_execz .LBB224_850
; %bb.843:                              ;   in Loop: Header=BB224_10 Depth=1
	v_bfrev_b32_e32 v106, 1
	v_mov_b32_e32 v107, 0
	v_cmp_ne_u16_sdwa s5, v62, v125 src0_sel:BYTE_0 src1_sel:DWORD
	s_and_saveexec_b32 s15, s5
	s_cbranch_execz .LBB224_849
; %bb.844:                              ;   in Loop: Header=BB224_10 Depth=1
	v_mov_b32_e32 v106, 0x7f800001
	v_and_b32_e32 v1, 0x7f, v62
	v_mov_b32_e32 v107, 0
	s_mov_b32 s17, exec_lo
	v_cmpx_ne_u32_e32 0x7f, v1
	s_cbranch_execz .LBB224_848
; %bb.845:                              ;   in Loop: Header=BB224_10 Depth=1
	v_and_b32_e32 v16, 7, v62
	v_lshrrev_b32_e32 v0, 3, v1
	s_mov_b32 s18, exec_lo
	v_cmpx_gt_u32_e32 8, v1
; %bb.846:                              ;   in Loop: Header=BB224_10 Depth=1
	v_ffbh_u32_e32 v0, v16
	v_min_u32_e32 v0, 32, v0
	v_subrev_nc_u32_e32 v1, 28, v0
	v_sub_nc_u32_e32 v0, 29, v0
	v_lshlrev_b64 v[88:89], v1, v[16:17]
	v_and_b32_e32 v16, 7, v88
; %bb.847:                              ;   in Loop: Header=BB224_10 Depth=1
	s_or_b32 exec_lo, exec_lo, s18
	v_lshlrev_b32_e32 v1, 24, v62
	v_lshlrev_b32_e32 v16, 20, v16
	v_lshl_add_u32 v0, v0, 23, 0x3c000000
	v_and_b32_e32 v1, 0x80000000, v1
	v_or3_b32 v16, v16, v1, v0
	v_mov_b32_e32 v107, v17
	v_mov_b32_e32 v106, v16
.LBB224_848:                            ;   in Loop: Header=BB224_10 Depth=1
	s_or_b32 exec_lo, exec_lo, s17
.LBB224_849:                            ;   in Loop: Header=BB224_10 Depth=1
	s_or_b32 exec_lo, exec_lo, s15
.LBB224_850:                            ;   in Loop: Header=BB224_10 Depth=1
	s_or_b32 exec_lo, exec_lo, s13
	v_cmp_ne_u16_sdwa s5, v62, v17 src0_sel:BYTE_1 src1_sel:DWORD
	s_and_saveexec_b32 s13, s5
	s_cbranch_execz .LBB224_858
; %bb.851:                              ;   in Loop: Header=BB224_10 Depth=1
	v_mov_b32_e32 v104, v17
	v_cmp_ne_u16_sdwa s5, v62, v125 src0_sel:BYTE_1 src1_sel:DWORD
	v_mov_b32_e32 v78, v104
	v_mov_b32_e32 v79, v105
	s_and_saveexec_b32 s15, s5
	s_cbranch_execz .LBB224_857
; %bb.852:                              ;   in Loop: Header=BB224_10 Depth=1
	v_mov_b32_e32 v0, 0xffff
	v_mov_b32_e32 v94, v17
	s_mov_b32 s17, exec_lo
	v_and_b32_sdwa v0, v0, v62 dst_sel:DWORD dst_unused:UNUSED_PAD src0_sel:DWORD src1_sel:BYTE_1
	v_mov_b32_e32 v78, v94
	v_mov_b32_e32 v79, v95
	v_and_b32_e32 v1, 0x7f, v0
	v_cmpx_ne_u32_e32 0x7f, v1
	s_cbranch_execz .LBB224_856
; %bb.853:                              ;   in Loop: Header=BB224_10 Depth=1
	v_and_b32_e32 v16, 7, v0
	v_lshrrev_b32_e32 v0, 3, v1
	s_mov_b32 s18, exec_lo
	v_cmpx_gt_u32_e32 8, v1
; %bb.854:                              ;   in Loop: Header=BB224_10 Depth=1
	v_ffbh_u32_e32 v0, v16
	v_min_u32_e32 v0, 32, v0
	v_subrev_nc_u32_e32 v1, 28, v0
	v_sub_nc_u32_e32 v0, 29, v0
	v_lshlrev_b64 v[78:79], v1, v[16:17]
	v_and_b32_e32 v16, 7, v78
; %bb.855:                              ;   in Loop: Header=BB224_10 Depth=1
	s_or_b32 exec_lo, exec_lo, s18
	v_lshlrev_b32_e32 v1, 16, v62
	v_lshlrev_b32_e32 v16, 20, v16
	v_lshl_add_u32 v0, v0, 23, 0x3c000000
	v_mov_b32_e32 v78, v17
	v_and_b32_e32 v1, 0x80000000, v1
	v_or3_b32 v79, v16, v1, v0
.LBB224_856:                            ;   in Loop: Header=BB224_10 Depth=1
	s_or_b32 exec_lo, exec_lo, s17
.LBB224_857:                            ;   in Loop: Header=BB224_10 Depth=1
	s_or_b32 exec_lo, exec_lo, s15
.LBB224_858:                            ;   in Loop: Header=BB224_10 Depth=1
	s_or_b32 exec_lo, exec_lo, s13
	v_mov_b32_e32 v0, 0xff
	v_mov_b32_e32 v110, 0
	;; [unrolled: 1-line block ×3, first 2 shown]
	s_mov_b32 s13, exec_lo
	v_and_b32_sdwa v16, v62, v0 dst_sel:DWORD dst_unused:UNUSED_PAD src0_sel:WORD_1 src1_sel:DWORD
	v_mov_b32_e32 v0, 0
	v_mov_b32_e32 v1, 0
	v_cmpx_ne_u16_e32 0, v16
	s_cbranch_execz .LBB224_866
; %bb.859:                              ;   in Loop: Header=BB224_10 Depth=1
	v_bfrev_b32_e32 v110, 1
	v_mov_b32_e32 v111, 0
	s_mov_b32 s15, exec_lo
	v_cmpx_ne_u16_e32 0x80, v16
	s_cbranch_execz .LBB224_865
; %bb.860:                              ;   in Loop: Header=BB224_10 Depth=1
	v_mov_b32_e32 v110, 0x7f800001
	v_bfe_u32 v88, v62, 16, 7
	v_mov_b32_e32 v111, 0
	s_mov_b32 s17, exec_lo
	v_cmpx_ne_u32_e32 0x7f, v88
	s_cbranch_execz .LBB224_864
; %bb.861:                              ;   in Loop: Header=BB224_10 Depth=1
	v_mov_b32_e32 v6, 7
	v_lshrrev_b32_e32 v63, 3, v88
	s_mov_b32 s18, exec_lo
	v_and_b32_sdwa v16, v62, v6 dst_sel:DWORD dst_unused:UNUSED_PAD src0_sel:WORD_1 src1_sel:DWORD
	v_cmpx_gt_u32_e32 8, v88
; %bb.862:                              ;   in Loop: Header=BB224_10 Depth=1
	v_ffbh_u32_e32 v63, v16
	v_min_u32_e32 v63, 32, v63
	v_subrev_nc_u32_e32 v88, 28, v63
	v_sub_nc_u32_e32 v63, 29, v63
	v_lshlrev_b64 v[88:89], v88, v[16:17]
	v_and_b32_e32 v16, 7, v88
; %bb.863:                              ;   in Loop: Header=BB224_10 Depth=1
	s_or_b32 exec_lo, exec_lo, s18
	v_mov_b32_e32 v6, 24
	v_lshlrev_b32_e32 v16, 20, v16
	v_lshl_add_u32 v63, v63, 23, 0x3c000000
	v_lshlrev_b32_sdwa v88, v6, v62 dst_sel:DWORD dst_unused:UNUSED_PAD src0_sel:DWORD src1_sel:WORD_1
	v_and_b32_e32 v88, 0x80000000, v88
	v_or3_b32 v16, v16, v88, v63
	v_mov_b32_e32 v111, v17
	v_mov_b32_e32 v110, v16
.LBB224_864:                            ;   in Loop: Header=BB224_10 Depth=1
	s_or_b32 exec_lo, exec_lo, s17
.LBB224_865:                            ;   in Loop: Header=BB224_10 Depth=1
	s_or_b32 exec_lo, exec_lo, s15
.LBB224_866:                            ;   in Loop: Header=BB224_10 Depth=1
	s_or_b32 exec_lo, exec_lo, s13
	s_mov_b32 s13, exec_lo
	v_cmpx_lt_u32_e32 0xffffff, v62
	s_cbranch_execz .LBB224_874
; %bb.867:                              ;   in Loop: Header=BB224_10 Depth=1
	v_mov_b32_e32 v104, v17
	v_cmp_ne_u32_sdwa s5, v62, v125 src0_sel:BYTE_3 src1_sel:DWORD
	v_mov_b32_e32 v0, v104
	v_mov_b32_e32 v1, v105
	s_and_saveexec_b32 s15, s5
	s_cbranch_execz .LBB224_873
; %bb.868:                              ;   in Loop: Header=BB224_10 Depth=1
	v_mov_b32_e32 v94, v17
	v_bfe_u32 v63, v62, 24, 7
	s_mov_b32 s17, exec_lo
	v_mov_b32_e32 v0, v94
	v_mov_b32_e32 v1, v95
	v_cmpx_ne_u32_e32 0x7f, v63
	s_cbranch_execz .LBB224_872
; %bb.869:                              ;   in Loop: Header=BB224_10 Depth=1
	v_mov_b32_e32 v0, 7
	s_mov_b32 s18, exec_lo
	v_and_b32_sdwa v16, v62, v0 dst_sel:DWORD dst_unused:UNUSED_PAD src0_sel:BYTE_3 src1_sel:DWORD
	v_lshrrev_b32_e32 v0, 3, v63
	v_cmpx_gt_u32_e32 8, v63
; %bb.870:                              ;   in Loop: Header=BB224_10 Depth=1
	v_ffbh_u32_e32 v0, v16
	v_min_u32_e32 v0, 32, v0
	v_subrev_nc_u32_e32 v1, 28, v0
	v_sub_nc_u32_e32 v0, 29, v0
	v_lshlrev_b64 v[88:89], v1, v[16:17]
	v_and_b32_e32 v16, 7, v88
; %bb.871:                              ;   in Loop: Header=BB224_10 Depth=1
	s_or_b32 exec_lo, exec_lo, s18
	v_mov_b32_e32 v1, 24
	v_lshlrev_b32_e32 v16, 20, v16
	v_lshl_add_u32 v0, v0, 23, 0x3c000000
	v_lshlrev_b32_sdwa v1, v1, v62 dst_sel:DWORD dst_unused:UNUSED_PAD src0_sel:DWORD src1_sel:BYTE_3
	v_and_b32_e32 v1, 0x80000000, v1
	v_or3_b32 v1, v16, v1, v0
	v_mov_b32_e32 v0, v17
.LBB224_872:                            ;   in Loop: Header=BB224_10 Depth=1
	s_or_b32 exec_lo, exec_lo, s17
.LBB224_873:                            ;   in Loop: Header=BB224_10 Depth=1
	s_or_b32 exec_lo, exec_lo, s15
.LBB224_874:                            ;   in Loop: Header=BB224_10 Depth=1
	s_or_b32 exec_lo, exec_lo, s13
	flat_load_dword v120, v[32:33] offset:1036
	v_mov_b32_e32 v62, 0
	v_mov_b32_e32 v32, 0
	;; [unrolled: 1-line block ×4, first 2 shown]
	s_waitcnt vmcnt(0) lgkmcnt(0)
	v_cmp_ne_u16_sdwa s5, v120, v17 src0_sel:BYTE_0 src1_sel:DWORD
	s_and_saveexec_b32 s13, s5
	s_cbranch_execz .LBB224_882
; %bb.875:                              ;   in Loop: Header=BB224_10 Depth=1
	v_bfrev_b32_e32 v32, 1
	v_mov_b32_e32 v33, 0
	v_cmp_ne_u16_sdwa s5, v120, v125 src0_sel:BYTE_0 src1_sel:DWORD
	s_and_saveexec_b32 s15, s5
	s_cbranch_execz .LBB224_881
; %bb.876:                              ;   in Loop: Header=BB224_10 Depth=1
	v_mov_b32_e32 v32, 0x7f800001
	v_and_b32_e32 v88, 0x7f, v120
	v_mov_b32_e32 v33, 0
	s_mov_b32 s17, exec_lo
	v_cmpx_ne_u32_e32 0x7f, v88
	s_cbranch_execz .LBB224_880
; %bb.877:                              ;   in Loop: Header=BB224_10 Depth=1
	v_and_b32_e32 v16, 7, v120
	v_lshrrev_b32_e32 v32, 3, v88
	s_mov_b32 s18, exec_lo
	v_cmpx_gt_u32_e32 8, v88
; %bb.878:                              ;   in Loop: Header=BB224_10 Depth=1
	v_ffbh_u32_e32 v32, v16
	v_min_u32_e32 v32, 32, v32
	v_subrev_nc_u32_e32 v33, 28, v32
	v_sub_nc_u32_e32 v32, 29, v32
	v_lshlrev_b64 v[88:89], v33, v[16:17]
	v_and_b32_e32 v16, 7, v88
; %bb.879:                              ;   in Loop: Header=BB224_10 Depth=1
	s_or_b32 exec_lo, exec_lo, s18
	v_lshlrev_b32_e32 v33, 24, v120
	v_lshlrev_b32_e32 v16, 20, v16
	v_lshl_add_u32 v32, v32, 23, 0x3c000000
	v_and_b32_e32 v33, 0x80000000, v33
	v_or3_b32 v16, v16, v33, v32
	v_mov_b32_e32 v33, v17
	v_mov_b32_e32 v32, v16
.LBB224_880:                            ;   in Loop: Header=BB224_10 Depth=1
	s_or_b32 exec_lo, exec_lo, s17
.LBB224_881:                            ;   in Loop: Header=BB224_10 Depth=1
	s_or_b32 exec_lo, exec_lo, s15
.LBB224_882:                            ;   in Loop: Header=BB224_10 Depth=1
	s_or_b32 exec_lo, exec_lo, s13
	v_cmp_ne_u16_sdwa s5, v120, v17 src0_sel:BYTE_1 src1_sel:DWORD
	s_and_saveexec_b32 s13, s5
	s_cbranch_execz .LBB224_890
; %bb.883:                              ;   in Loop: Header=BB224_10 Depth=1
	v_mov_b32_e32 v104, v17
	v_cmp_ne_u16_sdwa s5, v120, v125 src0_sel:BYTE_1 src1_sel:DWORD
	v_mov_b32_e32 v62, v104
	v_mov_b32_e32 v63, v105
	s_and_saveexec_b32 s15, s5
	s_cbranch_execz .LBB224_889
; %bb.884:                              ;   in Loop: Header=BB224_10 Depth=1
	v_mov_b32_e32 v6, 0xffff
	v_mov_b32_e32 v94, v17
	s_mov_b32 s17, exec_lo
	v_and_b32_sdwa v16, v6, v120 dst_sel:DWORD dst_unused:UNUSED_PAD src0_sel:DWORD src1_sel:BYTE_1
	v_mov_b32_e32 v62, v94
	v_mov_b32_e32 v63, v95
	v_and_b32_e32 v88, 0x7f, v16
	v_cmpx_ne_u32_e32 0x7f, v88
	s_cbranch_execz .LBB224_888
; %bb.885:                              ;   in Loop: Header=BB224_10 Depth=1
	v_and_b32_e32 v16, 7, v16
	v_lshrrev_b32_e32 v62, 3, v88
	s_mov_b32 s18, exec_lo
	v_cmpx_gt_u32_e32 8, v88
; %bb.886:                              ;   in Loop: Header=BB224_10 Depth=1
	v_ffbh_u32_e32 v62, v16
	v_min_u32_e32 v62, 32, v62
	v_subrev_nc_u32_e32 v63, 28, v62
	v_sub_nc_u32_e32 v62, 29, v62
	v_lshlrev_b64 v[88:89], v63, v[16:17]
	v_and_b32_e32 v16, 7, v88
; %bb.887:                              ;   in Loop: Header=BB224_10 Depth=1
	s_or_b32 exec_lo, exec_lo, s18
	v_lshlrev_b32_e32 v63, 16, v120
	v_lshlrev_b32_e32 v16, 20, v16
	v_lshl_add_u32 v62, v62, 23, 0x3c000000
	v_and_b32_e32 v63, 0x80000000, v63
	v_or3_b32 v63, v16, v63, v62
	v_mov_b32_e32 v62, v17
.LBB224_888:                            ;   in Loop: Header=BB224_10 Depth=1
	s_or_b32 exec_lo, exec_lo, s17
.LBB224_889:                            ;   in Loop: Header=BB224_10 Depth=1
	s_or_b32 exec_lo, exec_lo, s15
.LBB224_890:                            ;   in Loop: Header=BB224_10 Depth=1
	s_or_b32 exec_lo, exec_lo, s13
	v_mov_b32_e32 v6, 0xff
	v_mov_b32_e32 v90, 0
	v_mov_b32_e32 v88, 0
	v_mov_b32_e32 v91, 0
	v_mov_b32_e32 v89, 0
	v_and_b32_sdwa v16, v120, v6 dst_sel:DWORD dst_unused:UNUSED_PAD src0_sel:WORD_1 src1_sel:DWORD
	s_mov_b32 s13, exec_lo
	v_cmpx_ne_u16_e32 0, v16
	s_cbranch_execz .LBB224_898
; %bb.891:                              ;   in Loop: Header=BB224_10 Depth=1
	v_bfrev_b32_e32 v88, 1
	v_mov_b32_e32 v89, 0
	s_mov_b32 s15, exec_lo
	v_cmpx_ne_u16_e32 0x80, v16
	s_cbranch_execz .LBB224_897
; %bb.892:                              ;   in Loop: Header=BB224_10 Depth=1
	v_mov_b32_e32 v88, 0x7f800001
	v_bfe_u32 v94, v120, 16, 7
	v_mov_b32_e32 v89, 0
	s_mov_b32 s17, exec_lo
	v_cmpx_ne_u32_e32 0x7f, v94
	s_cbranch_execz .LBB224_896
; %bb.893:                              ;   in Loop: Header=BB224_10 Depth=1
	v_mov_b32_e32 v6, 7
	v_lshrrev_b32_e32 v88, 3, v94
	s_mov_b32 s18, exec_lo
	v_and_b32_sdwa v16, v120, v6 dst_sel:DWORD dst_unused:UNUSED_PAD src0_sel:WORD_1 src1_sel:DWORD
	v_cmpx_gt_u32_e32 8, v94
	s_cbranch_execz .LBB224_895
; %bb.894:                              ;   in Loop: Header=BB224_10 Depth=1
	v_ffbh_u32_e32 v88, v16
	v_mov_b32_e32 v86, v126
	v_mov_b32_e32 v87, v127
	v_min_u32_e32 v88, 32, v88
	v_subrev_nc_u32_e32 v89, 28, v88
	v_sub_nc_u32_e32 v88, 29, v88
	v_lshlrev_b64 v[126:127], v89, v[16:17]
	v_and_b32_e32 v16, 7, v126
	v_mov_b32_e32 v127, v87
	v_mov_b32_e32 v126, v86
.LBB224_895:                            ;   in Loop: Header=BB224_10 Depth=1
	s_or_b32 exec_lo, exec_lo, s18
	v_mov_b32_e32 v6, 24
	v_lshlrev_b32_e32 v16, 20, v16
	v_lshl_add_u32 v88, v88, 23, 0x3c000000
	v_lshlrev_b32_sdwa v89, v6, v120 dst_sel:DWORD dst_unused:UNUSED_PAD src0_sel:DWORD src1_sel:WORD_1
	v_and_b32_e32 v89, 0x80000000, v89
	v_or3_b32 v16, v16, v89, v88
	v_mov_b32_e32 v89, v17
	v_mov_b32_e32 v88, v16
.LBB224_896:                            ;   in Loop: Header=BB224_10 Depth=1
	s_or_b32 exec_lo, exec_lo, s17
.LBB224_897:                            ;   in Loop: Header=BB224_10 Depth=1
	s_or_b32 exec_lo, exec_lo, s15
.LBB224_898:                            ;   in Loop: Header=BB224_10 Depth=1
	s_or_b32 exec_lo, exec_lo, s13
	v_cmp_lt_u32_e64 s5, 0xffffff, v120
	s_mov_b32 s13, exec_lo
	v_mov_b32_e32 v6, v11
	v_mov_b32_e32 v86, v123
	s_and_b32 s5, s13, s5
	s_mov_b32 exec_lo, s5
	s_cbranch_execz .LBB224_9
; %bb.899:                              ;   in Loop: Header=BB224_10 Depth=1
	v_mov_b32_e32 v104, v17
	v_cmp_ne_u32_sdwa s5, v120, v125 src0_sel:BYTE_3 src1_sel:DWORD
	v_mov_b32_e32 v90, v104
	v_mov_b32_e32 v91, v105
	s_and_saveexec_b32 s15, s5
	s_cbranch_execz .LBB224_8
; %bb.900:                              ;   in Loop: Header=BB224_10 Depth=1
	v_mov_b32_e32 v94, v17
	v_bfe_u32 v104, v120, 24, 7
	s_mov_b32 s17, exec_lo
	v_mov_b32_e32 v90, v94
	v_mov_b32_e32 v91, v95
	v_cmpx_ne_u32_e32 0x7f, v104
	s_cbranch_execz .LBB224_7
; %bb.901:                              ;   in Loop: Header=BB224_10 Depth=1
	v_mov_b32_e32 v6, 7
	v_lshrrev_b32_e32 v90, 3, v104
	s_mov_b32 s18, exec_lo
	v_and_b32_sdwa v16, v120, v6 dst_sel:DWORD dst_unused:UNUSED_PAD src0_sel:BYTE_3 src1_sel:DWORD
	v_cmpx_gt_u32_e32 8, v104
	s_cbranch_execz .LBB224_6
; %bb.902:                              ;   in Loop: Header=BB224_10 Depth=1
	v_ffbh_u32_e32 v90, v16
	v_mov_b32_e32 v86, v126
	v_mov_b32_e32 v87, v127
	v_min_u32_e32 v90, 32, v90
	v_subrev_nc_u32_e32 v91, 28, v90
	v_sub_nc_u32_e32 v90, 29, v90
	v_lshlrev_b64 v[126:127], v91, v[16:17]
	v_and_b32_e32 v16, 7, v126
	v_mov_b32_e32 v127, v87
	v_mov_b32_e32 v126, v86
	s_branch .LBB224_6
.LBB224_903:
	s_or_b32 exec_lo, exec_lo, s9
	s_clause 0xb
	buffer_load_dword v11, off, s[0:3], s32 offset:1172
	buffer_load_dword v10, off, s[0:3], s32 offset:1176
	;; [unrolled: 1-line block ×12, first 2 shown]
.LBB224_904:
	s_or_b32 exec_lo, exec_lo, s7
	v_mbcnt_lo_u32_b32 v0, -1, 0
	v_max_f32_e32 v4, v7, v7
	s_lshr_b32 s9, s6, 16
	v_xor_b32_e32 v1, 16, v0
	v_xor_b32_e32 v3, 8, v0
	v_cmp_gt_i32_e32 vcc_lo, 32, v1
	v_cndmask_b32_e32 v1, v0, v1, vcc_lo
	v_cmp_gt_i32_e32 vcc_lo, 32, v3
	v_lshlrev_b32_e32 v1, 2, v1
	v_cndmask_b32_e32 v3, v0, v3, vcc_lo
	ds_bpermute_b32 v2, v1, v7
	s_waitcnt lgkmcnt(0)
	v_max_f32_e32 v5, v2, v2
	v_lshlrev_b32_e32 v2, 2, v3
	v_max_f32_e32 v3, v4, v5
	v_xor_b32_e32 v5, 4, v0
	ds_bpermute_b32 v4, v2, v3
	v_cmp_gt_i32_e32 vcc_lo, 32, v5
	v_cndmask_b32_e32 v5, v0, v5, vcc_lo
	v_lshlrev_b32_e32 v80, 2, v5
	v_xor_b32_e32 v5, 2, v0
	v_cmp_gt_i32_e32 vcc_lo, 32, v5
	s_waitcnt lgkmcnt(0)
	v_max_f32_e32 v4, v4, v4
	v_cndmask_b32_e32 v5, v0, v5, vcc_lo
	v_max_f32_e32 v3, v3, v4
	v_lshlrev_b32_e32 v86, 2, v5
	v_xor_b32_e32 v5, 1, v0
	ds_bpermute_b32 v4, v80, v3
	v_cmp_gt_i32_e32 vcc_lo, 32, v5
	v_cndmask_b32_e32 v5, v0, v5, vcc_lo
	v_lshlrev_b32_e32 v85, 2, v5
	s_waitcnt lgkmcnt(0)
	v_max_f32_e32 v4, v4, v4
	v_max_f32_e32 v3, v3, v4
	ds_bpermute_b32 v4, v86, v3
	s_waitcnt lgkmcnt(0)
	v_max_f32_e32 v4, v4, v4
	v_max_f32_e32 v0, v3, v4
	buffer_load_dword v3, off, s[0:3], s32 offset:1156 ; 4-byte Folded Reload
	ds_bpermute_b32 v4, v85, v0
	s_waitcnt vmcnt(0)
	v_cmp_eq_u32_e32 vcc_lo, 0, v3
	buffer_load_dword v3, off, s[0:3], s32 offset:1160 ; 4-byte Folded Reload
	s_waitcnt vmcnt(0)
	v_lshlrev_b32_e32 v3, 2, v3
	s_and_saveexec_b32 s5, vcc_lo
	s_cbranch_execz .LBB224_906
; %bb.905:
	s_waitcnt lgkmcnt(0)
	v_max_f32_e32 v4, v4, v4
	v_max_f32_e32 v0, v0, v0
	;; [unrolled: 1-line block ×3, first 2 shown]
	ds_write_b32 v3, v0 offset:448
.LBB224_906:
	s_or_b32 exec_lo, exec_lo, s5
	buffer_load_dword v0, off, s[0:3], s32 offset:1156 ; 4-byte Folded Reload
	s_waitcnt vmcnt(0) lgkmcnt(0)
	s_waitcnt_vscnt null, 0x0
	s_barrier
	buffer_gl0_inv
	v_cmp_gt_u32_e64 s5, 4, v0
	v_mov_b32_e32 v0, 0xff7fffff
	s_and_saveexec_b32 s6, s5
; %bb.907:
	ds_read_b32 v0, v16 offset:448
; %bb.908:
	s_or_b32 exec_lo, exec_lo, s6
	s_waitcnt lgkmcnt(0)
	ds_bpermute_b32 v4, v86, v0
	v_max_f32_e32 v0, v0, v0
	v_mov_b32_e32 v5, 0
	buffer_load_dword v6, off, s[0:3], s32 offset:1152 ; 4-byte Folded Reload
	s_waitcnt lgkmcnt(0)
	v_max_f32_e32 v4, v4, v4
	v_max_f32_e32 v0, v0, v4
	ds_bpermute_b32 v4, v85, v0
	s_waitcnt lgkmcnt(0)
	v_max_f32_e32 v4, v4, v4
	v_max_f32_e32 v0, v0, v4
	ds_bpermute_b32 v4, v5, v0
	buffer_load_dword v0, off, s[0:3], s32 offset:192 ; 4-byte Folded Reload
	s_waitcnt vmcnt(0)
	v_lshlrev_b32_e32 v0, 5, v0
	v_min_i32_e32 v0, v0, v124
	v_cmp_lt_i32_e64 s6, v6, v0
	s_and_saveexec_b32 s13, s6
	s_cbranch_execz .LBB224_912
; %bb.909:
	buffer_load_dword v7, off, s[0:3], s32 offset:1152 ; 4-byte Folded Reload
	s_getpc_b64 s[18:19]
	s_add_u32 s18, s18, llvm.amdgcn.dynlds.offset.table@rel32@lo+4
	s_addc_u32 s19, s19, llvm.amdgcn.dynlds.offset.table@rel32@hi+12
	s_ashr_i32 s17, s16, 31
	v_mov_b32_e32 v5, 0
	s_lshl_b64 s[20:21], s[16:17], 2
	s_mov_b32 s15, 0
	s_add_u32 s18, s18, s20
	s_addc_u32 s19, s19, s21
	s_load_dword s7, s[18:19], 0x0
	s_waitcnt vmcnt(0) lgkmcnt(0)
	v_lshl_add_u32 v6, v7, 2, s7
	.p2align	6
.LBB224_910:                            ; =>This Inner Loop Header: Depth=1
	ds_read_b32 v8, v6
	v_add_nc_u32_e32 v7, 0x80, v7
	v_cmp_ge_i32_e64 s7, v7, v0
	s_or_b32 s15, s7, s15
	s_waitcnt lgkmcnt(0)
	v_sub_f32_e32 v8, v8, v4
	v_mul_f32_e32 v8, 0x3fb8aa3b, v8
	v_exp_f32_e32 v8, v8
	ds_write_b32 v6, v8
	v_add_f32_e32 v5, v5, v8
	v_add_nc_u32_e32 v6, 0x200, v6
	s_andn2_b32 exec_lo, exec_lo, s15
	s_cbranch_execnz .LBB224_910
; %bb.911:
	s_or_b32 exec_lo, exec_lo, s15
.LBB224_912:
	s_or_b32 exec_lo, exec_lo, s13
	ds_bpermute_b32 v1, v1, v5
	s_waitcnt lgkmcnt(0)
	v_add_f32_e32 v1, v5, v1
	ds_bpermute_b32 v2, v2, v1
	s_waitcnt lgkmcnt(0)
	v_add_f32_e32 v1, v1, v2
	;; [unrolled: 3-line block ×5, first 2 shown]
	s_and_saveexec_b32 s7, vcc_lo
; %bb.913:
	ds_write_b32 v3, v1 offset:464
; %bb.914:
	s_or_b32 exec_lo, exec_lo, s7
	s_waitcnt lgkmcnt(0)
	s_barrier
	buffer_gl0_inv
	s_and_saveexec_b32 s7, s5
; %bb.915:
	ds_read_b32 v1, v16 offset:464
; %bb.916:
	s_or_b32 exec_lo, exec_lo, s7
	s_waitcnt lgkmcnt(0)
	ds_bpermute_b32 v2, v86, v1
	s_waitcnt lgkmcnt(0)
	v_add_f32_e32 v1, v1, v2
	ds_bpermute_b32 v2, v85, v1
	s_waitcnt lgkmcnt(0)
	v_add_f32_e32 v1, v1, v2
	v_mov_b32_e32 v2, 0
	ds_bpermute_b32 v1, v2, v1
	s_and_saveexec_b32 s5, s6
	s_cbranch_execz .LBB224_919
; %bb.917:
	s_waitcnt lgkmcnt(0)
	v_add_f32_e32 v2, 0x358637bd, v1
	s_getpc_b64 s[6:7]
	s_add_u32 s6, s6, llvm.amdgcn.dynlds.offset.table@rel32@lo+4
	s_addc_u32 s7, s7, llvm.amdgcn.dynlds.offset.table@rel32@hi+12
	s_ashr_i32 s17, s16, 31
	s_lshl_b64 s[18:19], s[16:17], 2
	v_div_scale_f32 v1, null, v2, v2, 1.0
	v_div_scale_f32 v5, vcc_lo, 1.0, v2, 1.0
	s_add_u32 s6, s6, s18
	v_rcp_f32_e32 v3, v1
	s_addc_u32 s7, s7, s19
	s_load_dword s6, s[6:7], 0x0
	v_fma_f32 v4, -v1, v3, 1.0
	v_fmac_f32_e32 v3, v4, v3
	v_mul_f32_e32 v4, v5, v3
	v_fma_f32 v6, -v1, v4, v5
	v_fmac_f32_e32 v4, v6, v3
	v_fma_f32 v1, -v1, v4, v5
	v_div_fmas_f32 v3, v1, v3, v4
	buffer_load_dword v4, off, s[0:3], s32 offset:1152 ; 4-byte Folded Reload
	v_div_fixup_f32 v2, v3, v2, 1.0
	s_waitcnt vmcnt(0) lgkmcnt(0)
	v_lshl_add_u32 v1, v4, 2, s6
	v_mov_b32_e32 v3, v4
	s_mov_b32 s6, 0
.LBB224_918:                            ; =>This Inner Loop Header: Depth=1
	ds_read_b32 v4, v1
	v_add_nc_u32_e32 v3, 0x80, v3
	v_cmp_ge_i32_e32 vcc_lo, v3, v0
	s_or_b32 s6, vcc_lo, s6
	s_waitcnt lgkmcnt(0)
	v_mul_f32_e32 v4, v2, v4
	ds_write_b32 v1, v4
	v_add_nc_u32_e32 v1, 0x200, v1
	s_andn2_b32 exec_lo, exec_lo, s6
	s_cbranch_execnz .LBB224_918
.LBB224_919:
	s_or_b32 exec_lo, exec_lo, s5
	s_waitcnt lgkmcnt(0)
	s_barrier
	buffer_gl0_inv
	s_and_saveexec_b32 s5, s4
	s_xor_b32 s4, exec_lo, s5
; %bb.920:
	s_ashr_i32 s17, s16, 31
                                        ; implicit-def: $vgpr0
                                        ; implicit-def: $vgpr124
                                        ; kill: killed $vgpr0
                                        ; implicit-def: $vgpr21
                                        ; implicit-def: $vgpr20
                                        ; implicit-def: $vgpr10
                                        ; implicit-def: $vgpr11
                                        ; implicit-def: $vgpr0
                                        ; kill: killed $vgpr0
                                        ; implicit-def: $vgpr22_vgpr23
                                        ; implicit-def: $vgpr15
                                        ; implicit-def: $vgpr12
                                        ; implicit-def: $vgpr9
                                        ; implicit-def: $vgpr13_vgpr14
; %bb.921:
	s_or_saveexec_b32 s5, s4
	buffer_load_dword v2, off, s[0:3], s32 offset:1152 ; 4-byte Folded Reload
	v_mov_b32_e32 v0, s16
	v_mov_b32_e32 v68, 0
	;; [unrolled: 1-line block ×30, first 2 shown]
	s_waitcnt vmcnt(0)
	v_and_b32_e32 v87, 7, v2
	s_xor_b32 exec_lo, exec_lo, s5
	s_cbranch_execz .LBB224_1877
; %bb.922:
	buffer_store_dword v80, off, s[0:3], s32 offset:540 ; 4-byte Folded Spill
	buffer_store_dword v86, off, s[0:3], s32 offset:532 ; 4-byte Folded Spill
	;; [unrolled: 1-line block ×3, first 2 shown]
	s_clause 0x1
	buffer_load_dword v0, off, s[0:3], s32 offset:1152
	buffer_load_dword v96, off, s[0:3], s32 offset:1160
	flat_load_dword v71, v[22:23]
	s_ashr_i32 s17, s16, 31
	s_getpc_b64 s[6:7]
	s_add_u32 s6, s6, llvm.amdgcn.dynlds.offset.table@rel32@lo+4
	s_addc_u32 s7, s7, llvm.amdgcn.dynlds.offset.table@rel32@hi+12
	s_lshl_b64 s[18:19], s[16:17], 2
	v_and_b32_e32 v3, 0x7c, v9
	s_add_u32 s6, s6, s18
	s_addc_u32 s7, s7, s19
	v_lshlrev_b32_e32 v5, 4, v87
	s_load_dword s4, s[6:7], 0x0
	v_add_co_u32 v1, vcc_lo, v21, v15
	v_add_co_ci_u32_e64 v2, null, v20, v12, vcc_lo
	v_add_co_u32 v3, vcc_lo, v3, v13
	v_add_co_ci_u32_e64 v8, null, 0, v14, vcc_lo
	v_mov_b32_e32 v7, 0
	buffer_store_dword v87, off, s[0:3], s32 offset:548 ; 4-byte Folded Spill
	v_mov_b32_e32 v80, 0x80
	v_bfrev_b32_e32 v9, 1
	v_mov_b32_e32 v91, 0xffff
	v_mov_b32_e32 v12, 0x7f800001
	;; [unrolled: 1-line block ×31, first 2 shown]
	s_mov_b32 s6, 0
	s_waitcnt vmcnt(2)
	v_lshlrev_b32_e32 v0, 2, v0
	s_waitcnt vmcnt(1)
	v_lshlrev_b32_e32 v4, 5, v96
	v_lshl_or_b32 v5, v96, 7, v5
	s_waitcnt vmcnt(0) lgkmcnt(0)
	v_mov_b32_e32 v87, v71
	v_and_b32_e32 v6, 28, v0
	v_and_b32_e32 v0, 0x7c, v0
	v_add_nc_u32_e32 v86, s4, v5
	v_or3_b32 v85, v4, v6, 3
	v_add_co_u32 v0, vcc_lo, v1, v0
	v_add_co_ci_u32_e64 v1, null, 0, v2, vcc_lo
	v_add_co_u32 v15, vcc_lo, v10, v3
	v_add_co_ci_u32_e64 v16, null, v11, v8, vcc_lo
	buffer_store_dword v0, off, s[0:3], s32 offset:516 ; 4-byte Folded Spill
	buffer_store_dword v1, off, s[0:3], s32 offset:520 ; 4-byte Folded Spill
	s_branch .LBB224_924
.LBB224_923:                            ;   in Loop: Header=BB224_924 Depth=1
	s_or_b32 exec_lo, exec_lo, s4
	v_mul_f32_e32 v10, v3, v89
	v_add_nc_u32_e32 v96, 4, v96
	v_add_co_u32 v15, vcc_lo, v15, 16
	v_add_co_ci_u32_e64 v16, null, 0, v16, vcc_lo
	v_fmac_f32_e32 v10, v2, v88
	v_add_nc_u32_e32 v85, 0x80, v85
	v_add_nc_u32_e32 v86, 0x200, v86
	buffer_load_dword v11, off, s[0:3], s32 offset:500 ; 4-byte Folded Reload
	v_fmac_f32_e32 v10, v4, v22
	v_fmac_f32_e32 v10, v5, v21
	v_add_f32_e32 v28, v28, v10
	v_mul_f32_e32 v10, v3, v79
	v_fmac_f32_e32 v10, v2, v78
	v_fmac_f32_e32 v10, v4, v77
	v_fmac_f32_e32 v10, v5, v76
	v_add_f32_e32 v29, v29, v10
	v_mul_f32_e32 v10, v3, v75
	v_fmac_f32_e32 v10, v2, v74
	;; [unrolled: 5-line block ×16, first 2 shown]
	v_fmac_f32_e32 v10, v4, v93
	v_fmac_f32_e32 v10, v5, v92
	v_add_f32_e32 v52, v52, v10
	buffer_load_dword v10, off, s[0:3], s32 offset:508 ; 4-byte Folded Reload
	s_waitcnt vmcnt(0)
	v_mul_f32_e32 v10, v3, v10
	v_fmac_f32_e32 v10, v2, v11
	buffer_load_dword v11, off, s[0:3], s32 offset:492 ; 4-byte Folded Reload
	s_waitcnt vmcnt(0)
	v_fmac_f32_e32 v10, v4, v11
	buffer_load_dword v11, off, s[0:3], s32 offset:484 ; 4-byte Folded Reload
	s_waitcnt vmcnt(0)
	v_fmac_f32_e32 v10, v5, v11
	buffer_load_dword v11, off, s[0:3], s32 offset:468 ; 4-byte Folded Reload
	v_add_f32_e32 v53, v53, v10
	buffer_load_dword v10, off, s[0:3], s32 offset:476 ; 4-byte Folded Reload
	s_waitcnt vmcnt(0)
	v_mul_f32_e32 v10, v3, v10
	v_fmac_f32_e32 v10, v2, v11
	buffer_load_dword v11, off, s[0:3], s32 offset:460 ; 4-byte Folded Reload
	s_waitcnt vmcnt(0)
	v_fmac_f32_e32 v10, v4, v11
	buffer_load_dword v11, off, s[0:3], s32 offset:452 ; 4-byte Folded Reload
	s_waitcnt vmcnt(0)
	v_fmac_f32_e32 v10, v5, v11
	buffer_load_dword v11, off, s[0:3], s32 offset:444 ; 4-byte Folded Reload
	;; [unrolled: 12-line block ×9, first 2 shown]
	v_add_f32_e32 v70, v70, v10
	buffer_load_dword v10, off, s[0:3], s32 offset:212 ; 4-byte Folded Reload
	s_waitcnt vmcnt(0)
	v_mul_f32_e32 v10, v3, v10
	v_mul_f32_e32 v3, v3, v8
	v_fmac_f32_e32 v10, v2, v11
	buffer_load_dword v11, off, s[0:3], s32 offset:204 ; 4-byte Folded Reload
	v_fmac_f32_e32 v3, v2, v6
	v_fmac_f32_e32 v3, v4, v1
	;; [unrolled: 1-line block ×3, first 2 shown]
	buffer_load_dword v0, off, s[0:3], s32 offset:192 ; 4-byte Folded Reload
	v_add_f32_e32 v27, v27, v3
	s_waitcnt vmcnt(1)
	v_fmac_f32_e32 v10, v4, v11
	buffer_load_dword v11, off, s[0:3], s32 offset:196 ; 4-byte Folded Reload
	s_waitcnt vmcnt(1)
	v_cmp_ge_i32_e32 vcc_lo, v96, v0
	s_or_b32 s6, vcc_lo, s6
	s_waitcnt vmcnt(0)
	v_fmac_f32_e32 v10, v5, v11
	v_add_f32_e32 v68, v68, v10
	s_andn2_b32 exec_lo, exec_lo, s6
	s_cbranch_execz .LBB224_1876
.LBB224_924:                            ; =>This Inner Loop Header: Depth=1
	flat_load_dword v0, v[15:16]
	s_clause 0x2
	buffer_load_dword v1, off, s[0:3], s32 offset:644
	buffer_load_dword v2, off, s[0:3], s32 offset:516
	;; [unrolled: 1-line block ×3, first 2 shown]
	v_mov_b32_e32 v19, 0
	v_mov_b32_e32 v17, 0
	;; [unrolled: 1-line block ×4, first 2 shown]
	s_waitcnt vmcnt(0) lgkmcnt(0)
	v_mad_i64_i32 v[0:1], null, v0, v1, v[2:3]
	ds_read_b128 v[2:5], v86
	flat_load_dword v13, v[0:1]
	s_waitcnt vmcnt(0) lgkmcnt(0)
	v_cmp_ne_u16_sdwa s7, v13, v7 src0_sel:BYTE_0 src1_sel:DWORD
	s_and_saveexec_b32 s4, s7
	s_cbranch_execz .LBB224_932
; %bb.925:                              ;   in Loop: Header=BB224_924 Depth=1
	v_bfrev_b32_e32 v17, 1
	v_mov_b32_e32 v18, 0
	v_cmp_ne_u16_sdwa s13, v13, v80 src0_sel:BYTE_0 src1_sel:DWORD
	s_and_saveexec_b32 s7, s13
	s_cbranch_execz .LBB224_931
; %bb.926:                              ;   in Loop: Header=BB224_924 Depth=1
	v_mov_b32_e32 v17, 0x7f800001
	v_and_b32_e32 v10, 0x7f, v13
	v_mov_b32_e32 v18, 0
	s_mov_b32 s13, exec_lo
	v_cmpx_ne_u32_e32 0x7f, v10
	s_cbranch_execz .LBB224_930
; %bb.927:                              ;   in Loop: Header=BB224_924 Depth=1
	v_and_b32_e32 v6, 7, v13
	v_lshrrev_b32_e32 v8, 3, v10
	s_mov_b32 s15, exec_lo
	v_cmpx_gt_u32_e32 8, v10
; %bb.928:                              ;   in Loop: Header=BB224_924 Depth=1
	v_ffbh_u32_e32 v8, v6
	v_min_u32_e32 v8, 32, v8
	v_subrev_nc_u32_e32 v10, 28, v8
	v_sub_nc_u32_e32 v8, 29, v8
	v_lshlrev_b64 v[10:11], v10, v[6:7]
	v_and_b32_e32 v6, 7, v10
; %bb.929:                              ;   in Loop: Header=BB224_924 Depth=1
	s_or_b32 exec_lo, exec_lo, s15
	v_lshlrev_b32_e32 v10, 24, v13
	v_lshlrev_b32_e32 v6, 20, v6
	v_lshl_add_u32 v8, v8, 23, 0x3c000000
	v_and_b32_e32 v10, 0x80000000, v10
	v_or3_b32 v6, v6, v10, v8
	v_mov_b32_e32 v18, v7
	v_mov_b32_e32 v17, v6
.LBB224_930:                            ;   in Loop: Header=BB224_924 Depth=1
	s_or_b32 exec_lo, exec_lo, s13
.LBB224_931:                            ;   in Loop: Header=BB224_924 Depth=1
	s_or_b32 exec_lo, exec_lo, s7
.LBB224_932:                            ;   in Loop: Header=BB224_924 Depth=1
	s_or_b32 exec_lo, exec_lo, s4
	v_cmp_ne_u16_sdwa s7, v13, v7 src0_sel:BYTE_1 src1_sel:DWORD
	s_and_saveexec_b32 s4, s7
	s_cbranch_execz .LBB224_940
; %bb.933:                              ;   in Loop: Header=BB224_924 Depth=1
	v_mov_b32_e32 v8, v7
	v_mov_b32_e32 v20, v9
	v_cmp_ne_u16_sdwa s13, v13, v80 src0_sel:BYTE_1 src1_sel:DWORD
	v_mov_b32_e32 v19, v8
	s_and_saveexec_b32 s7, s13
	s_cbranch_execz .LBB224_939
; %bb.934:                              ;   in Loop: Header=BB224_924 Depth=1
	v_and_b32_sdwa v6, v91, v13 dst_sel:DWORD dst_unused:UNUSED_PAD src0_sel:DWORD src1_sel:BYTE_1
	v_mov_b32_e32 v11, v7
	v_mov_b32_e32 v20, v12
	s_mov_b32 s13, exec_lo
	v_and_b32_e32 v10, 0x7f, v6
	v_mov_b32_e32 v19, v11
	v_cmpx_ne_u32_e32 0x7f, v10
	s_cbranch_execz .LBB224_938
; %bb.935:                              ;   in Loop: Header=BB224_924 Depth=1
	v_and_b32_e32 v6, 7, v6
	v_lshrrev_b32_e32 v8, 3, v10
	s_mov_b32 s15, exec_lo
	v_cmpx_gt_u32_e32 8, v10
; %bb.936:                              ;   in Loop: Header=BB224_924 Depth=1
	v_ffbh_u32_e32 v8, v6
	v_min_u32_e32 v8, 32, v8
	v_subrev_nc_u32_e32 v10, 28, v8
	v_sub_nc_u32_e32 v8, 29, v8
	v_lshlrev_b64 v[10:11], v10, v[6:7]
	v_and_b32_e32 v6, 7, v10
; %bb.937:                              ;   in Loop: Header=BB224_924 Depth=1
	s_or_b32 exec_lo, exec_lo, s15
	v_lshlrev_b32_e32 v10, 16, v13
	v_lshlrev_b32_e32 v6, 20, v6
	v_lshl_add_u32 v8, v8, 23, 0x3c000000
	v_mov_b32_e32 v19, v7
	v_and_b32_e32 v10, 0x80000000, v10
	v_or3_b32 v20, v6, v10, v8
.LBB224_938:                            ;   in Loop: Header=BB224_924 Depth=1
	s_or_b32 exec_lo, exec_lo, s13
.LBB224_939:                            ;   in Loop: Header=BB224_924 Depth=1
	s_or_b32 exec_lo, exec_lo, s7
.LBB224_940:                            ;   in Loop: Header=BB224_924 Depth=1
	s_or_b32 exec_lo, exec_lo, s4
	v_mov_b32_e32 v10, 0
	v_mov_b32_e32 v21, 0
	v_and_b32_sdwa v6, v13, v82 dst_sel:DWORD dst_unused:UNUSED_PAD src0_sel:WORD_1 src1_sel:DWORD
	v_mov_b32_e32 v11, 0
	v_mov_b32_e32 v22, 0
	s_mov_b32 s4, exec_lo
	v_cmpx_ne_u16_e32 0, v6
	s_cbranch_execz .LBB224_948
; %bb.941:                              ;   in Loop: Header=BB224_924 Depth=1
	v_bfrev_b32_e32 v21, 1
	v_mov_b32_e32 v22, 0
	s_mov_b32 s7, exec_lo
	v_cmpx_ne_u16_e32 0x80, v6
	s_cbranch_execz .LBB224_947
; %bb.942:                              ;   in Loop: Header=BB224_924 Depth=1
	v_mov_b32_e32 v21, 0x7f800001
	v_bfe_u32 v14, v13, 16, 7
	v_mov_b32_e32 v22, 0
	s_mov_b32 s13, exec_lo
	v_cmpx_ne_u32_e32 0x7f, v14
	s_cbranch_execz .LBB224_946
; %bb.943:                              ;   in Loop: Header=BB224_924 Depth=1
	v_mov_b32_e32 v6, 7
	v_lshrrev_b32_e32 v8, 3, v14
	s_mov_b32 s15, exec_lo
	v_and_b32_sdwa v6, v13, v6 dst_sel:DWORD dst_unused:UNUSED_PAD src0_sel:WORD_1 src1_sel:DWORD
	v_cmpx_gt_u32_e32 8, v14
; %bb.944:                              ;   in Loop: Header=BB224_924 Depth=1
	v_ffbh_u32_e32 v8, v6
	v_min_u32_e32 v8, 32, v8
	v_subrev_nc_u32_e32 v14, 28, v8
	v_sub_nc_u32_e32 v8, 29, v8
	v_lshlrev_b64 v[21:22], v14, v[6:7]
	v_and_b32_e32 v6, 7, v21
; %bb.945:                              ;   in Loop: Header=BB224_924 Depth=1
	s_or_b32 exec_lo, exec_lo, s15
	v_mov_b32_e32 v14, 24
	v_lshlrev_b32_e32 v6, 20, v6
	v_lshl_add_u32 v8, v8, 23, 0x3c000000
	v_lshlrev_b32_sdwa v14, v14, v13 dst_sel:DWORD dst_unused:UNUSED_PAD src0_sel:DWORD src1_sel:WORD_1
	v_and_b32_e32 v14, 0x80000000, v14
	v_or3_b32 v6, v6, v14, v8
	v_mov_b32_e32 v22, v7
	v_mov_b32_e32 v21, v6
.LBB224_946:                            ;   in Loop: Header=BB224_924 Depth=1
	s_or_b32 exec_lo, exec_lo, s13
.LBB224_947:                            ;   in Loop: Header=BB224_924 Depth=1
	s_or_b32 exec_lo, exec_lo, s7
.LBB224_948:                            ;   in Loop: Header=BB224_924 Depth=1
	s_or_b32 exec_lo, exec_lo, s4
	s_mov_b32 s4, exec_lo
	v_cmpx_lt_u32_e32 0xffffff, v13
	s_cbranch_execz .LBB224_956
; %bb.949:                              ;   in Loop: Header=BB224_924 Depth=1
	v_mov_b32_e32 v8, v7
	v_mov_b32_e32 v11, v9
	v_cmp_ne_u32_sdwa s13, v13, v80 src0_sel:BYTE_3 src1_sel:DWORD
	v_mov_b32_e32 v10, v8
	s_and_saveexec_b32 s7, s13
	s_cbranch_execz .LBB224_955
; %bb.950:                              ;   in Loop: Header=BB224_924 Depth=1
	v_mov_b32_e32 v11, v7
	v_bfe_u32 v14, v13, 24, 7
	s_mov_b32 s13, exec_lo
	v_mov_b32_e32 v10, v11
	v_mov_b32_e32 v11, v12
	v_cmpx_ne_u32_e32 0x7f, v14
	s_cbranch_execz .LBB224_954
; %bb.951:                              ;   in Loop: Header=BB224_924 Depth=1
	v_mov_b32_e32 v6, 7
	v_lshrrev_b32_e32 v8, 3, v14
	s_mov_b32 s15, exec_lo
	v_and_b32_sdwa v6, v13, v6 dst_sel:DWORD dst_unused:UNUSED_PAD src0_sel:BYTE_3 src1_sel:DWORD
	v_cmpx_gt_u32_e32 8, v14
; %bb.952:                              ;   in Loop: Header=BB224_924 Depth=1
	v_ffbh_u32_e32 v8, v6
	v_min_u32_e32 v8, 32, v8
	v_subrev_nc_u32_e32 v10, 28, v8
	v_sub_nc_u32_e32 v8, 29, v8
	v_lshlrev_b64 v[10:11], v10, v[6:7]
	v_and_b32_e32 v6, 7, v10
; %bb.953:                              ;   in Loop: Header=BB224_924 Depth=1
	s_or_b32 exec_lo, exec_lo, s15
	v_mov_b32_e32 v10, 24
	v_lshlrev_b32_e32 v6, 20, v6
	v_lshl_add_u32 v8, v8, 23, 0x3c000000
	v_lshlrev_b32_sdwa v10, v10, v13 dst_sel:DWORD dst_unused:UNUSED_PAD src0_sel:DWORD src1_sel:BYTE_3
	v_and_b32_e32 v10, 0x80000000, v10
	v_or3_b32 v11, v6, v10, v8
	v_mov_b32_e32 v10, v7
.LBB224_954:                            ;   in Loop: Header=BB224_924 Depth=1
	s_or_b32 exec_lo, exec_lo, s13
.LBB224_955:                            ;   in Loop: Header=BB224_924 Depth=1
	s_or_b32 exec_lo, exec_lo, s7
.LBB224_956:                            ;   in Loop: Header=BB224_924 Depth=1
	s_or_b32 exec_lo, exec_lo, s4
	buffer_load_dword v6, off, s[0:3], s32 offset:192 ; 4-byte Folded Reload
	v_or_b32_e32 v8, v20, v18
	v_or_b32_e32 v13, v19, v17
	;; [unrolled: 1-line block ×4, first 2 shown]
	v_add_nc_u32_e32 v117, -3, v85
	v_add_nc_u32_e32 v119, -2, v85
	;; [unrolled: 1-line block ×3, first 2 shown]
	s_waitcnt vmcnt(0)
	v_add_nc_u32_e32 v6, -1, v6
	v_cmp_eq_u32_e32 vcc_lo, v6, v96
	v_mul_f32_e32 v6, v87, v8
	buffer_store_dword v6, off, s[0:3], s32 offset:212 ; 4-byte Folded Spill
	v_mul_f32_e32 v6, v71, v13
	buffer_store_dword v6, off, s[0:3], s32 offset:220 ; 4-byte Folded Spill
	;; [unrolled: 2-line block ×4, first 2 shown]
	s_and_saveexec_b32 s7, vcc_lo
	s_cbranch_execz .LBB224_958
; %bb.957:                              ;   in Loop: Header=BB224_924 Depth=1
	buffer_load_dword v6, off, s[0:3], s32 offset:220 ; 4-byte Folded Reload
	v_cmp_lt_i32_e64 s4, v117, v124
	s_waitcnt vmcnt(0)
	v_cndmask_b32_e64 v6, 0, v6, s4
	v_cmp_lt_i32_e64 s4, v119, v124
	buffer_store_dword v6, off, s[0:3], s32 offset:220 ; 4-byte Folded Spill
	buffer_load_dword v6, off, s[0:3], s32 offset:212 ; 4-byte Folded Reload
	s_waitcnt vmcnt(0)
	v_cndmask_b32_e64 v6, 0, v6, s4
	v_cmp_lt_i32_e64 s4, v118, v124
	buffer_store_dword v6, off, s[0:3], s32 offset:212 ; 4-byte Folded Spill
	buffer_load_dword v6, off, s[0:3], s32 offset:204 ; 4-byte Folded Reload
	;; [unrolled: 5-line block ×3, first 2 shown]
	s_waitcnt vmcnt(0)
	v_cndmask_b32_e64 v6, 0, v6, s4
	buffer_store_dword v6, off, s[0:3], s32 offset:196 ; 4-byte Folded Spill
.LBB224_958:                            ;   in Loop: Header=BB224_924 Depth=1
	s_or_b32 exec_lo, exec_lo, s7
	flat_load_dword v13, v[0:1] offset:128
	v_mov_b32_e32 v19, 0
	v_mov_b32_e32 v17, 0
	;; [unrolled: 1-line block ×4, first 2 shown]
	s_waitcnt vmcnt(0) lgkmcnt(0)
	v_cmp_ne_u16_sdwa s4, v13, v7 src0_sel:BYTE_0 src1_sel:DWORD
	s_and_saveexec_b32 s7, s4
	s_cbranch_execz .LBB224_966
; %bb.959:                              ;   in Loop: Header=BB224_924 Depth=1
	v_bfrev_b32_e32 v17, 1
	v_mov_b32_e32 v18, 0
	v_cmp_ne_u16_sdwa s4, v13, v80 src0_sel:BYTE_0 src1_sel:DWORD
	s_and_saveexec_b32 s13, s4
	s_cbranch_execz .LBB224_965
; %bb.960:                              ;   in Loop: Header=BB224_924 Depth=1
	v_mov_b32_e32 v17, 0x7f800001
	v_and_b32_e32 v10, 0x7f, v13
	v_mov_b32_e32 v18, 0
	s_mov_b32 s15, exec_lo
	v_cmpx_ne_u32_e32 0x7f, v10
	s_cbranch_execz .LBB224_964
; %bb.961:                              ;   in Loop: Header=BB224_924 Depth=1
	v_and_b32_e32 v6, 7, v13
	v_lshrrev_b32_e32 v8, 3, v10
	s_mov_b32 s18, exec_lo
	v_cmpx_gt_u32_e32 8, v10
; %bb.962:                              ;   in Loop: Header=BB224_924 Depth=1
	v_ffbh_u32_e32 v8, v6
	v_min_u32_e32 v8, 32, v8
	v_subrev_nc_u32_e32 v10, 28, v8
	v_sub_nc_u32_e32 v8, 29, v8
	v_lshlrev_b64 v[10:11], v10, v[6:7]
	v_and_b32_e32 v6, 7, v10
; %bb.963:                              ;   in Loop: Header=BB224_924 Depth=1
	s_or_b32 exec_lo, exec_lo, s18
	v_lshlrev_b32_e32 v10, 24, v13
	v_lshlrev_b32_e32 v6, 20, v6
	v_lshl_add_u32 v8, v8, 23, 0x3c000000
	v_and_b32_e32 v10, 0x80000000, v10
	v_or3_b32 v6, v6, v10, v8
	v_mov_b32_e32 v18, v7
	v_mov_b32_e32 v17, v6
.LBB224_964:                            ;   in Loop: Header=BB224_924 Depth=1
	s_or_b32 exec_lo, exec_lo, s15
.LBB224_965:                            ;   in Loop: Header=BB224_924 Depth=1
	s_or_b32 exec_lo, exec_lo, s13
.LBB224_966:                            ;   in Loop: Header=BB224_924 Depth=1
	s_or_b32 exec_lo, exec_lo, s7
	v_cmp_ne_u16_sdwa s4, v13, v7 src0_sel:BYTE_1 src1_sel:DWORD
	s_and_saveexec_b32 s7, s4
	s_cbranch_execz .LBB224_974
; %bb.967:                              ;   in Loop: Header=BB224_924 Depth=1
	v_mov_b32_e32 v8, v7
	v_mov_b32_e32 v20, v9
	v_cmp_ne_u16_sdwa s4, v13, v80 src0_sel:BYTE_1 src1_sel:DWORD
	v_mov_b32_e32 v19, v8
	s_and_saveexec_b32 s13, s4
	s_cbranch_execz .LBB224_973
; %bb.968:                              ;   in Loop: Header=BB224_924 Depth=1
	v_and_b32_sdwa v6, v91, v13 dst_sel:DWORD dst_unused:UNUSED_PAD src0_sel:DWORD src1_sel:BYTE_1
	v_mov_b32_e32 v11, v7
	v_mov_b32_e32 v20, v12
	s_mov_b32 s15, exec_lo
	v_and_b32_e32 v10, 0x7f, v6
	v_mov_b32_e32 v19, v11
	v_cmpx_ne_u32_e32 0x7f, v10
	s_cbranch_execz .LBB224_972
; %bb.969:                              ;   in Loop: Header=BB224_924 Depth=1
	v_and_b32_e32 v6, 7, v6
	v_lshrrev_b32_e32 v8, 3, v10
	s_mov_b32 s18, exec_lo
	v_cmpx_gt_u32_e32 8, v10
; %bb.970:                              ;   in Loop: Header=BB224_924 Depth=1
	v_ffbh_u32_e32 v8, v6
	v_min_u32_e32 v8, 32, v8
	v_subrev_nc_u32_e32 v10, 28, v8
	v_sub_nc_u32_e32 v8, 29, v8
	v_lshlrev_b64 v[10:11], v10, v[6:7]
	v_and_b32_e32 v6, 7, v10
; %bb.971:                              ;   in Loop: Header=BB224_924 Depth=1
	s_or_b32 exec_lo, exec_lo, s18
	v_lshlrev_b32_e32 v10, 16, v13
	v_lshlrev_b32_e32 v6, 20, v6
	v_lshl_add_u32 v8, v8, 23, 0x3c000000
	v_mov_b32_e32 v19, v7
	v_and_b32_e32 v10, 0x80000000, v10
	v_or3_b32 v20, v6, v10, v8
.LBB224_972:                            ;   in Loop: Header=BB224_924 Depth=1
	s_or_b32 exec_lo, exec_lo, s15
.LBB224_973:                            ;   in Loop: Header=BB224_924 Depth=1
	s_or_b32 exec_lo, exec_lo, s13
.LBB224_974:                            ;   in Loop: Header=BB224_924 Depth=1
	s_or_b32 exec_lo, exec_lo, s7
	v_mov_b32_e32 v10, 0
	v_mov_b32_e32 v21, 0
	v_and_b32_sdwa v6, v13, v82 dst_sel:DWORD dst_unused:UNUSED_PAD src0_sel:WORD_1 src1_sel:DWORD
	v_mov_b32_e32 v11, 0
	v_mov_b32_e32 v22, 0
	s_mov_b32 s7, exec_lo
	v_cmpx_ne_u16_e32 0, v6
	s_cbranch_execz .LBB224_982
; %bb.975:                              ;   in Loop: Header=BB224_924 Depth=1
	v_bfrev_b32_e32 v21, 1
	v_mov_b32_e32 v22, 0
	s_mov_b32 s13, exec_lo
	v_cmpx_ne_u16_e32 0x80, v6
	s_cbranch_execz .LBB224_981
; %bb.976:                              ;   in Loop: Header=BB224_924 Depth=1
	v_mov_b32_e32 v21, 0x7f800001
	v_bfe_u32 v14, v13, 16, 7
	v_mov_b32_e32 v22, 0
	s_mov_b32 s15, exec_lo
	v_cmpx_ne_u32_e32 0x7f, v14
	s_cbranch_execz .LBB224_980
; %bb.977:                              ;   in Loop: Header=BB224_924 Depth=1
	v_mov_b32_e32 v6, 7
	v_lshrrev_b32_e32 v8, 3, v14
	s_mov_b32 s18, exec_lo
	v_and_b32_sdwa v6, v13, v6 dst_sel:DWORD dst_unused:UNUSED_PAD src0_sel:WORD_1 src1_sel:DWORD
	v_cmpx_gt_u32_e32 8, v14
; %bb.978:                              ;   in Loop: Header=BB224_924 Depth=1
	v_ffbh_u32_e32 v8, v6
	v_min_u32_e32 v8, 32, v8
	v_subrev_nc_u32_e32 v14, 28, v8
	v_sub_nc_u32_e32 v8, 29, v8
	v_lshlrev_b64 v[21:22], v14, v[6:7]
	v_and_b32_e32 v6, 7, v21
; %bb.979:                              ;   in Loop: Header=BB224_924 Depth=1
	s_or_b32 exec_lo, exec_lo, s18
	v_mov_b32_e32 v14, 24
	v_lshlrev_b32_e32 v6, 20, v6
	v_lshl_add_u32 v8, v8, 23, 0x3c000000
	v_lshlrev_b32_sdwa v14, v14, v13 dst_sel:DWORD dst_unused:UNUSED_PAD src0_sel:DWORD src1_sel:WORD_1
	v_and_b32_e32 v14, 0x80000000, v14
	v_or3_b32 v6, v6, v14, v8
	v_mov_b32_e32 v22, v7
	v_mov_b32_e32 v21, v6
.LBB224_980:                            ;   in Loop: Header=BB224_924 Depth=1
	s_or_b32 exec_lo, exec_lo, s15
.LBB224_981:                            ;   in Loop: Header=BB224_924 Depth=1
	s_or_b32 exec_lo, exec_lo, s13
.LBB224_982:                            ;   in Loop: Header=BB224_924 Depth=1
	s_or_b32 exec_lo, exec_lo, s7
	s_mov_b32 s7, exec_lo
	v_cmpx_lt_u32_e32 0xffffff, v13
	s_cbranch_execz .LBB224_990
; %bb.983:                              ;   in Loop: Header=BB224_924 Depth=1
	v_mov_b32_e32 v8, v7
	v_mov_b32_e32 v11, v9
	v_cmp_ne_u32_sdwa s4, v13, v80 src0_sel:BYTE_3 src1_sel:DWORD
	v_mov_b32_e32 v10, v8
	s_and_saveexec_b32 s13, s4
	s_cbranch_execz .LBB224_989
; %bb.984:                              ;   in Loop: Header=BB224_924 Depth=1
	v_mov_b32_e32 v11, v7
	v_bfe_u32 v14, v13, 24, 7
	s_mov_b32 s15, exec_lo
	v_mov_b32_e32 v10, v11
	v_mov_b32_e32 v11, v12
	v_cmpx_ne_u32_e32 0x7f, v14
	s_cbranch_execz .LBB224_988
; %bb.985:                              ;   in Loop: Header=BB224_924 Depth=1
	v_mov_b32_e32 v6, 7
	v_lshrrev_b32_e32 v8, 3, v14
	s_mov_b32 s18, exec_lo
	v_and_b32_sdwa v6, v13, v6 dst_sel:DWORD dst_unused:UNUSED_PAD src0_sel:BYTE_3 src1_sel:DWORD
	v_cmpx_gt_u32_e32 8, v14
; %bb.986:                              ;   in Loop: Header=BB224_924 Depth=1
	v_ffbh_u32_e32 v8, v6
	v_min_u32_e32 v8, 32, v8
	v_subrev_nc_u32_e32 v10, 28, v8
	v_sub_nc_u32_e32 v8, 29, v8
	v_lshlrev_b64 v[10:11], v10, v[6:7]
	v_and_b32_e32 v6, 7, v10
; %bb.987:                              ;   in Loop: Header=BB224_924 Depth=1
	s_or_b32 exec_lo, exec_lo, s18
	v_mov_b32_e32 v10, 24
	v_lshlrev_b32_e32 v6, 20, v6
	v_lshl_add_u32 v8, v8, 23, 0x3c000000
	v_lshlrev_b32_sdwa v10, v10, v13 dst_sel:DWORD dst_unused:UNUSED_PAD src0_sel:DWORD src1_sel:BYTE_3
	v_and_b32_e32 v10, 0x80000000, v10
	v_or3_b32 v11, v6, v10, v8
	v_mov_b32_e32 v10, v7
.LBB224_988:                            ;   in Loop: Header=BB224_924 Depth=1
	s_or_b32 exec_lo, exec_lo, s15
.LBB224_989:                            ;   in Loop: Header=BB224_924 Depth=1
	s_or_b32 exec_lo, exec_lo, s13
.LBB224_990:                            ;   in Loop: Header=BB224_924 Depth=1
	s_or_b32 exec_lo, exec_lo, s7
	v_or_b32_e32 v6, v20, v18
	v_or_b32_e32 v8, v19, v17
	;; [unrolled: 1-line block ×4, first 2 shown]
	v_mul_f32_e32 v6, v87, v6
	buffer_store_dword v6, off, s[0:3], s32 offset:244 ; 4-byte Folded Spill
	v_mul_f32_e32 v6, v71, v8
	buffer_store_dword v6, off, s[0:3], s32 offset:252 ; 4-byte Folded Spill
	;; [unrolled: 2-line block ×4, first 2 shown]
	s_and_saveexec_b32 s7, vcc_lo
	s_cbranch_execz .LBB224_992
; %bb.991:                              ;   in Loop: Header=BB224_924 Depth=1
	buffer_load_dword v6, off, s[0:3], s32 offset:252 ; 4-byte Folded Reload
	v_cmp_lt_i32_e64 s4, v117, v124
	s_waitcnt vmcnt(0)
	v_cndmask_b32_e64 v6, 0, v6, s4
	v_cmp_lt_i32_e64 s4, v119, v124
	buffer_store_dword v6, off, s[0:3], s32 offset:252 ; 4-byte Folded Spill
	buffer_load_dword v6, off, s[0:3], s32 offset:244 ; 4-byte Folded Reload
	s_waitcnt vmcnt(0)
	v_cndmask_b32_e64 v6, 0, v6, s4
	v_cmp_lt_i32_e64 s4, v118, v124
	buffer_store_dword v6, off, s[0:3], s32 offset:244 ; 4-byte Folded Spill
	buffer_load_dword v6, off, s[0:3], s32 offset:236 ; 4-byte Folded Reload
	;; [unrolled: 5-line block ×3, first 2 shown]
	s_waitcnt vmcnt(0)
	v_cndmask_b32_e64 v6, 0, v6, s4
	buffer_store_dword v6, off, s[0:3], s32 offset:228 ; 4-byte Folded Spill
.LBB224_992:                            ;   in Loop: Header=BB224_924 Depth=1
	s_or_b32 exec_lo, exec_lo, s7
	flat_load_dword v13, v[0:1] offset:256
	v_mov_b32_e32 v19, 0
	v_mov_b32_e32 v17, 0
	;; [unrolled: 1-line block ×4, first 2 shown]
	s_waitcnt vmcnt(0) lgkmcnt(0)
	v_cmp_ne_u16_sdwa s4, v13, v7 src0_sel:BYTE_0 src1_sel:DWORD
	s_and_saveexec_b32 s7, s4
	s_cbranch_execz .LBB224_1000
; %bb.993:                              ;   in Loop: Header=BB224_924 Depth=1
	v_bfrev_b32_e32 v17, 1
	v_mov_b32_e32 v18, 0
	v_cmp_ne_u16_sdwa s4, v13, v80 src0_sel:BYTE_0 src1_sel:DWORD
	s_and_saveexec_b32 s13, s4
	s_cbranch_execz .LBB224_999
; %bb.994:                              ;   in Loop: Header=BB224_924 Depth=1
	v_mov_b32_e32 v17, 0x7f800001
	v_and_b32_e32 v10, 0x7f, v13
	v_mov_b32_e32 v18, 0
	s_mov_b32 s15, exec_lo
	v_cmpx_ne_u32_e32 0x7f, v10
	s_cbranch_execz .LBB224_998
; %bb.995:                              ;   in Loop: Header=BB224_924 Depth=1
	v_and_b32_e32 v6, 7, v13
	v_lshrrev_b32_e32 v8, 3, v10
	s_mov_b32 s18, exec_lo
	v_cmpx_gt_u32_e32 8, v10
; %bb.996:                              ;   in Loop: Header=BB224_924 Depth=1
	v_ffbh_u32_e32 v8, v6
	v_min_u32_e32 v8, 32, v8
	v_subrev_nc_u32_e32 v10, 28, v8
	v_sub_nc_u32_e32 v8, 29, v8
	v_lshlrev_b64 v[10:11], v10, v[6:7]
	v_and_b32_e32 v6, 7, v10
; %bb.997:                              ;   in Loop: Header=BB224_924 Depth=1
	s_or_b32 exec_lo, exec_lo, s18
	v_lshlrev_b32_e32 v10, 24, v13
	v_lshlrev_b32_e32 v6, 20, v6
	v_lshl_add_u32 v8, v8, 23, 0x3c000000
	v_and_b32_e32 v10, 0x80000000, v10
	v_or3_b32 v6, v6, v10, v8
	v_mov_b32_e32 v18, v7
	v_mov_b32_e32 v17, v6
.LBB224_998:                            ;   in Loop: Header=BB224_924 Depth=1
	s_or_b32 exec_lo, exec_lo, s15
.LBB224_999:                            ;   in Loop: Header=BB224_924 Depth=1
	s_or_b32 exec_lo, exec_lo, s13
.LBB224_1000:                           ;   in Loop: Header=BB224_924 Depth=1
	s_or_b32 exec_lo, exec_lo, s7
	v_cmp_ne_u16_sdwa s4, v13, v7 src0_sel:BYTE_1 src1_sel:DWORD
	s_and_saveexec_b32 s7, s4
	s_cbranch_execz .LBB224_1008
; %bb.1001:                             ;   in Loop: Header=BB224_924 Depth=1
	v_mov_b32_e32 v8, v7
	v_mov_b32_e32 v20, v9
	v_cmp_ne_u16_sdwa s4, v13, v80 src0_sel:BYTE_1 src1_sel:DWORD
	v_mov_b32_e32 v19, v8
	s_and_saveexec_b32 s13, s4
	s_cbranch_execz .LBB224_1007
; %bb.1002:                             ;   in Loop: Header=BB224_924 Depth=1
	v_and_b32_sdwa v6, v91, v13 dst_sel:DWORD dst_unused:UNUSED_PAD src0_sel:DWORD src1_sel:BYTE_1
	v_mov_b32_e32 v11, v7
	v_mov_b32_e32 v20, v12
	s_mov_b32 s15, exec_lo
	v_and_b32_e32 v10, 0x7f, v6
	v_mov_b32_e32 v19, v11
	v_cmpx_ne_u32_e32 0x7f, v10
	s_cbranch_execz .LBB224_1006
; %bb.1003:                             ;   in Loop: Header=BB224_924 Depth=1
	v_and_b32_e32 v6, 7, v6
	v_lshrrev_b32_e32 v8, 3, v10
	s_mov_b32 s18, exec_lo
	v_cmpx_gt_u32_e32 8, v10
; %bb.1004:                             ;   in Loop: Header=BB224_924 Depth=1
	v_ffbh_u32_e32 v8, v6
	v_min_u32_e32 v8, 32, v8
	v_subrev_nc_u32_e32 v10, 28, v8
	v_sub_nc_u32_e32 v8, 29, v8
	v_lshlrev_b64 v[10:11], v10, v[6:7]
	v_and_b32_e32 v6, 7, v10
; %bb.1005:                             ;   in Loop: Header=BB224_924 Depth=1
	s_or_b32 exec_lo, exec_lo, s18
	v_lshlrev_b32_e32 v10, 16, v13
	v_lshlrev_b32_e32 v6, 20, v6
	v_lshl_add_u32 v8, v8, 23, 0x3c000000
	v_mov_b32_e32 v19, v7
	v_and_b32_e32 v10, 0x80000000, v10
	v_or3_b32 v20, v6, v10, v8
.LBB224_1006:                           ;   in Loop: Header=BB224_924 Depth=1
	s_or_b32 exec_lo, exec_lo, s15
.LBB224_1007:                           ;   in Loop: Header=BB224_924 Depth=1
	s_or_b32 exec_lo, exec_lo, s13
.LBB224_1008:                           ;   in Loop: Header=BB224_924 Depth=1
	s_or_b32 exec_lo, exec_lo, s7
	v_mov_b32_e32 v10, 0
	v_mov_b32_e32 v21, 0
	v_and_b32_sdwa v6, v13, v82 dst_sel:DWORD dst_unused:UNUSED_PAD src0_sel:WORD_1 src1_sel:DWORD
	v_mov_b32_e32 v11, 0
	v_mov_b32_e32 v22, 0
	s_mov_b32 s7, exec_lo
	v_cmpx_ne_u16_e32 0, v6
	s_cbranch_execz .LBB224_1016
; %bb.1009:                             ;   in Loop: Header=BB224_924 Depth=1
	v_bfrev_b32_e32 v21, 1
	v_mov_b32_e32 v22, 0
	s_mov_b32 s13, exec_lo
	v_cmpx_ne_u16_e32 0x80, v6
	s_cbranch_execz .LBB224_1015
; %bb.1010:                             ;   in Loop: Header=BB224_924 Depth=1
	v_mov_b32_e32 v21, 0x7f800001
	v_bfe_u32 v14, v13, 16, 7
	v_mov_b32_e32 v22, 0
	s_mov_b32 s15, exec_lo
	v_cmpx_ne_u32_e32 0x7f, v14
	s_cbranch_execz .LBB224_1014
; %bb.1011:                             ;   in Loop: Header=BB224_924 Depth=1
	v_mov_b32_e32 v6, 7
	v_lshrrev_b32_e32 v8, 3, v14
	s_mov_b32 s18, exec_lo
	v_and_b32_sdwa v6, v13, v6 dst_sel:DWORD dst_unused:UNUSED_PAD src0_sel:WORD_1 src1_sel:DWORD
	v_cmpx_gt_u32_e32 8, v14
; %bb.1012:                             ;   in Loop: Header=BB224_924 Depth=1
	v_ffbh_u32_e32 v8, v6
	v_min_u32_e32 v8, 32, v8
	v_subrev_nc_u32_e32 v14, 28, v8
	v_sub_nc_u32_e32 v8, 29, v8
	v_lshlrev_b64 v[21:22], v14, v[6:7]
	v_and_b32_e32 v6, 7, v21
; %bb.1013:                             ;   in Loop: Header=BB224_924 Depth=1
	s_or_b32 exec_lo, exec_lo, s18
	v_mov_b32_e32 v14, 24
	v_lshlrev_b32_e32 v6, 20, v6
	v_lshl_add_u32 v8, v8, 23, 0x3c000000
	v_lshlrev_b32_sdwa v14, v14, v13 dst_sel:DWORD dst_unused:UNUSED_PAD src0_sel:DWORD src1_sel:WORD_1
	v_and_b32_e32 v14, 0x80000000, v14
	v_or3_b32 v6, v6, v14, v8
	v_mov_b32_e32 v22, v7
	v_mov_b32_e32 v21, v6
.LBB224_1014:                           ;   in Loop: Header=BB224_924 Depth=1
	s_or_b32 exec_lo, exec_lo, s15
.LBB224_1015:                           ;   in Loop: Header=BB224_924 Depth=1
	s_or_b32 exec_lo, exec_lo, s13
.LBB224_1016:                           ;   in Loop: Header=BB224_924 Depth=1
	s_or_b32 exec_lo, exec_lo, s7
	s_mov_b32 s7, exec_lo
	v_cmpx_lt_u32_e32 0xffffff, v13
	s_cbranch_execz .LBB224_1024
; %bb.1017:                             ;   in Loop: Header=BB224_924 Depth=1
	v_mov_b32_e32 v8, v7
	v_mov_b32_e32 v11, v9
	v_cmp_ne_u32_sdwa s4, v13, v80 src0_sel:BYTE_3 src1_sel:DWORD
	v_mov_b32_e32 v10, v8
	s_and_saveexec_b32 s13, s4
	s_cbranch_execz .LBB224_1023
; %bb.1018:                             ;   in Loop: Header=BB224_924 Depth=1
	v_mov_b32_e32 v11, v7
	v_bfe_u32 v14, v13, 24, 7
	s_mov_b32 s15, exec_lo
	v_mov_b32_e32 v10, v11
	v_mov_b32_e32 v11, v12
	v_cmpx_ne_u32_e32 0x7f, v14
	s_cbranch_execz .LBB224_1022
; %bb.1019:                             ;   in Loop: Header=BB224_924 Depth=1
	v_mov_b32_e32 v6, 7
	v_lshrrev_b32_e32 v8, 3, v14
	s_mov_b32 s18, exec_lo
	v_and_b32_sdwa v6, v13, v6 dst_sel:DWORD dst_unused:UNUSED_PAD src0_sel:BYTE_3 src1_sel:DWORD
	v_cmpx_gt_u32_e32 8, v14
; %bb.1020:                             ;   in Loop: Header=BB224_924 Depth=1
	v_ffbh_u32_e32 v8, v6
	v_min_u32_e32 v8, 32, v8
	v_subrev_nc_u32_e32 v10, 28, v8
	v_sub_nc_u32_e32 v8, 29, v8
	v_lshlrev_b64 v[10:11], v10, v[6:7]
	v_and_b32_e32 v6, 7, v10
; %bb.1021:                             ;   in Loop: Header=BB224_924 Depth=1
	s_or_b32 exec_lo, exec_lo, s18
	v_mov_b32_e32 v10, 24
	v_lshlrev_b32_e32 v6, 20, v6
	v_lshl_add_u32 v8, v8, 23, 0x3c000000
	v_lshlrev_b32_sdwa v10, v10, v13 dst_sel:DWORD dst_unused:UNUSED_PAD src0_sel:DWORD src1_sel:BYTE_3
	v_and_b32_e32 v10, 0x80000000, v10
	v_or3_b32 v11, v6, v10, v8
	v_mov_b32_e32 v10, v7
.LBB224_1022:                           ;   in Loop: Header=BB224_924 Depth=1
	s_or_b32 exec_lo, exec_lo, s15
.LBB224_1023:                           ;   in Loop: Header=BB224_924 Depth=1
	s_or_b32 exec_lo, exec_lo, s13
.LBB224_1024:                           ;   in Loop: Header=BB224_924 Depth=1
	s_or_b32 exec_lo, exec_lo, s7
	v_or_b32_e32 v6, v20, v18
	v_or_b32_e32 v8, v19, v17
	v_or_b32_e32 v10, v10, v21
	v_or_b32_e32 v11, v11, v22
	v_mul_f32_e32 v6, v87, v6
	buffer_store_dword v6, off, s[0:3], s32 offset:276 ; 4-byte Folded Spill
	v_mul_f32_e32 v6, v71, v8
	buffer_store_dword v6, off, s[0:3], s32 offset:284 ; 4-byte Folded Spill
	;; [unrolled: 2-line block ×4, first 2 shown]
	s_and_saveexec_b32 s7, vcc_lo
	s_cbranch_execz .LBB224_1026
; %bb.1025:                             ;   in Loop: Header=BB224_924 Depth=1
	buffer_load_dword v6, off, s[0:3], s32 offset:284 ; 4-byte Folded Reload
	v_cmp_lt_i32_e64 s4, v117, v124
	s_waitcnt vmcnt(0)
	v_cndmask_b32_e64 v6, 0, v6, s4
	v_cmp_lt_i32_e64 s4, v119, v124
	buffer_store_dword v6, off, s[0:3], s32 offset:284 ; 4-byte Folded Spill
	buffer_load_dword v6, off, s[0:3], s32 offset:276 ; 4-byte Folded Reload
	s_waitcnt vmcnt(0)
	v_cndmask_b32_e64 v6, 0, v6, s4
	v_cmp_lt_i32_e64 s4, v118, v124
	buffer_store_dword v6, off, s[0:3], s32 offset:276 ; 4-byte Folded Spill
	buffer_load_dword v6, off, s[0:3], s32 offset:268 ; 4-byte Folded Reload
	s_waitcnt vmcnt(0)
	v_cndmask_b32_e64 v6, 0, v6, s4
	v_cmp_lt_i32_e64 s4, v85, v124
	buffer_store_dword v6, off, s[0:3], s32 offset:268 ; 4-byte Folded Spill
	buffer_load_dword v6, off, s[0:3], s32 offset:260 ; 4-byte Folded Reload
	s_waitcnt vmcnt(0)
	v_cndmask_b32_e64 v6, 0, v6, s4
	buffer_store_dword v6, off, s[0:3], s32 offset:260 ; 4-byte Folded Spill
.LBB224_1026:                           ;   in Loop: Header=BB224_924 Depth=1
	s_or_b32 exec_lo, exec_lo, s7
	flat_load_dword v13, v[0:1] offset:384
	v_mov_b32_e32 v19, 0
	v_mov_b32_e32 v17, 0
	;; [unrolled: 1-line block ×4, first 2 shown]
	s_waitcnt vmcnt(0) lgkmcnt(0)
	v_cmp_ne_u16_sdwa s4, v13, v7 src0_sel:BYTE_0 src1_sel:DWORD
	s_and_saveexec_b32 s7, s4
	s_cbranch_execz .LBB224_1034
; %bb.1027:                             ;   in Loop: Header=BB224_924 Depth=1
	v_bfrev_b32_e32 v17, 1
	v_mov_b32_e32 v18, 0
	v_cmp_ne_u16_sdwa s4, v13, v80 src0_sel:BYTE_0 src1_sel:DWORD
	s_and_saveexec_b32 s13, s4
	s_cbranch_execz .LBB224_1033
; %bb.1028:                             ;   in Loop: Header=BB224_924 Depth=1
	v_mov_b32_e32 v17, 0x7f800001
	v_and_b32_e32 v10, 0x7f, v13
	v_mov_b32_e32 v18, 0
	s_mov_b32 s15, exec_lo
	v_cmpx_ne_u32_e32 0x7f, v10
	s_cbranch_execz .LBB224_1032
; %bb.1029:                             ;   in Loop: Header=BB224_924 Depth=1
	v_and_b32_e32 v6, 7, v13
	v_lshrrev_b32_e32 v8, 3, v10
	s_mov_b32 s18, exec_lo
	v_cmpx_gt_u32_e32 8, v10
; %bb.1030:                             ;   in Loop: Header=BB224_924 Depth=1
	v_ffbh_u32_e32 v8, v6
	v_min_u32_e32 v8, 32, v8
	v_subrev_nc_u32_e32 v10, 28, v8
	v_sub_nc_u32_e32 v8, 29, v8
	v_lshlrev_b64 v[10:11], v10, v[6:7]
	v_and_b32_e32 v6, 7, v10
; %bb.1031:                             ;   in Loop: Header=BB224_924 Depth=1
	s_or_b32 exec_lo, exec_lo, s18
	v_lshlrev_b32_e32 v10, 24, v13
	v_lshlrev_b32_e32 v6, 20, v6
	v_lshl_add_u32 v8, v8, 23, 0x3c000000
	v_and_b32_e32 v10, 0x80000000, v10
	v_or3_b32 v6, v6, v10, v8
	v_mov_b32_e32 v18, v7
	v_mov_b32_e32 v17, v6
.LBB224_1032:                           ;   in Loop: Header=BB224_924 Depth=1
	s_or_b32 exec_lo, exec_lo, s15
.LBB224_1033:                           ;   in Loop: Header=BB224_924 Depth=1
	s_or_b32 exec_lo, exec_lo, s13
.LBB224_1034:                           ;   in Loop: Header=BB224_924 Depth=1
	s_or_b32 exec_lo, exec_lo, s7
	v_cmp_ne_u16_sdwa s4, v13, v7 src0_sel:BYTE_1 src1_sel:DWORD
	s_and_saveexec_b32 s7, s4
	s_cbranch_execz .LBB224_1042
; %bb.1035:                             ;   in Loop: Header=BB224_924 Depth=1
	v_mov_b32_e32 v8, v7
	v_mov_b32_e32 v20, v9
	v_cmp_ne_u16_sdwa s4, v13, v80 src0_sel:BYTE_1 src1_sel:DWORD
	v_mov_b32_e32 v19, v8
	s_and_saveexec_b32 s13, s4
	s_cbranch_execz .LBB224_1041
; %bb.1036:                             ;   in Loop: Header=BB224_924 Depth=1
	v_and_b32_sdwa v6, v91, v13 dst_sel:DWORD dst_unused:UNUSED_PAD src0_sel:DWORD src1_sel:BYTE_1
	v_mov_b32_e32 v11, v7
	v_mov_b32_e32 v20, v12
	s_mov_b32 s15, exec_lo
	v_and_b32_e32 v10, 0x7f, v6
	v_mov_b32_e32 v19, v11
	v_cmpx_ne_u32_e32 0x7f, v10
	s_cbranch_execz .LBB224_1040
; %bb.1037:                             ;   in Loop: Header=BB224_924 Depth=1
	v_and_b32_e32 v6, 7, v6
	v_lshrrev_b32_e32 v8, 3, v10
	s_mov_b32 s18, exec_lo
	v_cmpx_gt_u32_e32 8, v10
; %bb.1038:                             ;   in Loop: Header=BB224_924 Depth=1
	v_ffbh_u32_e32 v8, v6
	v_min_u32_e32 v8, 32, v8
	v_subrev_nc_u32_e32 v10, 28, v8
	v_sub_nc_u32_e32 v8, 29, v8
	v_lshlrev_b64 v[10:11], v10, v[6:7]
	v_and_b32_e32 v6, 7, v10
; %bb.1039:                             ;   in Loop: Header=BB224_924 Depth=1
	s_or_b32 exec_lo, exec_lo, s18
	v_lshlrev_b32_e32 v10, 16, v13
	v_lshlrev_b32_e32 v6, 20, v6
	v_lshl_add_u32 v8, v8, 23, 0x3c000000
	v_mov_b32_e32 v19, v7
	v_and_b32_e32 v10, 0x80000000, v10
	v_or3_b32 v20, v6, v10, v8
.LBB224_1040:                           ;   in Loop: Header=BB224_924 Depth=1
	s_or_b32 exec_lo, exec_lo, s15
.LBB224_1041:                           ;   in Loop: Header=BB224_924 Depth=1
	s_or_b32 exec_lo, exec_lo, s13
.LBB224_1042:                           ;   in Loop: Header=BB224_924 Depth=1
	s_or_b32 exec_lo, exec_lo, s7
	v_mov_b32_e32 v10, 0
	v_mov_b32_e32 v21, 0
	v_and_b32_sdwa v6, v13, v82 dst_sel:DWORD dst_unused:UNUSED_PAD src0_sel:WORD_1 src1_sel:DWORD
	v_mov_b32_e32 v11, 0
	v_mov_b32_e32 v22, 0
	s_mov_b32 s7, exec_lo
	v_cmpx_ne_u16_e32 0, v6
	s_cbranch_execz .LBB224_1050
; %bb.1043:                             ;   in Loop: Header=BB224_924 Depth=1
	v_bfrev_b32_e32 v21, 1
	v_mov_b32_e32 v22, 0
	s_mov_b32 s13, exec_lo
	v_cmpx_ne_u16_e32 0x80, v6
	s_cbranch_execz .LBB224_1049
; %bb.1044:                             ;   in Loop: Header=BB224_924 Depth=1
	v_mov_b32_e32 v21, 0x7f800001
	v_bfe_u32 v14, v13, 16, 7
	v_mov_b32_e32 v22, 0
	s_mov_b32 s15, exec_lo
	v_cmpx_ne_u32_e32 0x7f, v14
	s_cbranch_execz .LBB224_1048
; %bb.1045:                             ;   in Loop: Header=BB224_924 Depth=1
	v_mov_b32_e32 v6, 7
	v_lshrrev_b32_e32 v8, 3, v14
	s_mov_b32 s18, exec_lo
	v_and_b32_sdwa v6, v13, v6 dst_sel:DWORD dst_unused:UNUSED_PAD src0_sel:WORD_1 src1_sel:DWORD
	v_cmpx_gt_u32_e32 8, v14
; %bb.1046:                             ;   in Loop: Header=BB224_924 Depth=1
	v_ffbh_u32_e32 v8, v6
	v_min_u32_e32 v8, 32, v8
	v_subrev_nc_u32_e32 v14, 28, v8
	v_sub_nc_u32_e32 v8, 29, v8
	v_lshlrev_b64 v[21:22], v14, v[6:7]
	v_and_b32_e32 v6, 7, v21
; %bb.1047:                             ;   in Loop: Header=BB224_924 Depth=1
	s_or_b32 exec_lo, exec_lo, s18
	v_mov_b32_e32 v14, 24
	v_lshlrev_b32_e32 v6, 20, v6
	v_lshl_add_u32 v8, v8, 23, 0x3c000000
	v_lshlrev_b32_sdwa v14, v14, v13 dst_sel:DWORD dst_unused:UNUSED_PAD src0_sel:DWORD src1_sel:WORD_1
	v_and_b32_e32 v14, 0x80000000, v14
	v_or3_b32 v6, v6, v14, v8
	v_mov_b32_e32 v22, v7
	v_mov_b32_e32 v21, v6
.LBB224_1048:                           ;   in Loop: Header=BB224_924 Depth=1
	s_or_b32 exec_lo, exec_lo, s15
.LBB224_1049:                           ;   in Loop: Header=BB224_924 Depth=1
	s_or_b32 exec_lo, exec_lo, s13
.LBB224_1050:                           ;   in Loop: Header=BB224_924 Depth=1
	s_or_b32 exec_lo, exec_lo, s7
	s_mov_b32 s7, exec_lo
	v_cmpx_lt_u32_e32 0xffffff, v13
	s_cbranch_execz .LBB224_1058
; %bb.1051:                             ;   in Loop: Header=BB224_924 Depth=1
	v_mov_b32_e32 v8, v7
	v_mov_b32_e32 v11, v9
	v_cmp_ne_u32_sdwa s4, v13, v80 src0_sel:BYTE_3 src1_sel:DWORD
	v_mov_b32_e32 v10, v8
	s_and_saveexec_b32 s13, s4
	s_cbranch_execz .LBB224_1057
; %bb.1052:                             ;   in Loop: Header=BB224_924 Depth=1
	v_mov_b32_e32 v11, v7
	v_bfe_u32 v14, v13, 24, 7
	s_mov_b32 s15, exec_lo
	v_mov_b32_e32 v10, v11
	v_mov_b32_e32 v11, v12
	v_cmpx_ne_u32_e32 0x7f, v14
	s_cbranch_execz .LBB224_1056
; %bb.1053:                             ;   in Loop: Header=BB224_924 Depth=1
	v_mov_b32_e32 v6, 7
	v_lshrrev_b32_e32 v8, 3, v14
	s_mov_b32 s18, exec_lo
	v_and_b32_sdwa v6, v13, v6 dst_sel:DWORD dst_unused:UNUSED_PAD src0_sel:BYTE_3 src1_sel:DWORD
	v_cmpx_gt_u32_e32 8, v14
; %bb.1054:                             ;   in Loop: Header=BB224_924 Depth=1
	v_ffbh_u32_e32 v8, v6
	v_min_u32_e32 v8, 32, v8
	v_subrev_nc_u32_e32 v10, 28, v8
	v_sub_nc_u32_e32 v8, 29, v8
	v_lshlrev_b64 v[10:11], v10, v[6:7]
	v_and_b32_e32 v6, 7, v10
; %bb.1055:                             ;   in Loop: Header=BB224_924 Depth=1
	s_or_b32 exec_lo, exec_lo, s18
	v_mov_b32_e32 v10, 24
	v_lshlrev_b32_e32 v6, 20, v6
	v_lshl_add_u32 v8, v8, 23, 0x3c000000
	v_lshlrev_b32_sdwa v10, v10, v13 dst_sel:DWORD dst_unused:UNUSED_PAD src0_sel:DWORD src1_sel:BYTE_3
	v_and_b32_e32 v10, 0x80000000, v10
	v_or3_b32 v11, v6, v10, v8
	v_mov_b32_e32 v10, v7
.LBB224_1056:                           ;   in Loop: Header=BB224_924 Depth=1
	s_or_b32 exec_lo, exec_lo, s15
.LBB224_1057:                           ;   in Loop: Header=BB224_924 Depth=1
	s_or_b32 exec_lo, exec_lo, s13
.LBB224_1058:                           ;   in Loop: Header=BB224_924 Depth=1
	s_or_b32 exec_lo, exec_lo, s7
	v_or_b32_e32 v6, v20, v18
	v_or_b32_e32 v8, v19, v17
	;; [unrolled: 1-line block ×4, first 2 shown]
	v_mul_f32_e32 v6, v87, v6
	buffer_store_dword v6, off, s[0:3], s32 offset:316 ; 4-byte Folded Spill
	v_mul_f32_e32 v6, v71, v8
	buffer_store_dword v6, off, s[0:3], s32 offset:308 ; 4-byte Folded Spill
	;; [unrolled: 2-line block ×4, first 2 shown]
	s_and_saveexec_b32 s7, vcc_lo
	s_cbranch_execz .LBB224_1060
; %bb.1059:                             ;   in Loop: Header=BB224_924 Depth=1
	buffer_load_dword v6, off, s[0:3], s32 offset:308 ; 4-byte Folded Reload
	v_cmp_lt_i32_e64 s4, v117, v124
	s_waitcnt vmcnt(0)
	v_cndmask_b32_e64 v6, 0, v6, s4
	v_cmp_lt_i32_e64 s4, v119, v124
	buffer_store_dword v6, off, s[0:3], s32 offset:308 ; 4-byte Folded Spill
	buffer_load_dword v6, off, s[0:3], s32 offset:316 ; 4-byte Folded Reload
	s_waitcnt vmcnt(0)
	v_cndmask_b32_e64 v6, 0, v6, s4
	v_cmp_lt_i32_e64 s4, v118, v124
	buffer_store_dword v6, off, s[0:3], s32 offset:316 ; 4-byte Folded Spill
	buffer_load_dword v6, off, s[0:3], s32 offset:300 ; 4-byte Folded Reload
	;; [unrolled: 5-line block ×3, first 2 shown]
	s_waitcnt vmcnt(0)
	v_cndmask_b32_e64 v6, 0, v6, s4
	buffer_store_dword v6, off, s[0:3], s32 offset:292 ; 4-byte Folded Spill
.LBB224_1060:                           ;   in Loop: Header=BB224_924 Depth=1
	s_or_b32 exec_lo, exec_lo, s7
	flat_load_dword v13, v[0:1] offset:512
	v_mov_b32_e32 v19, 0
	v_mov_b32_e32 v17, 0
	;; [unrolled: 1-line block ×4, first 2 shown]
	s_waitcnt vmcnt(0) lgkmcnt(0)
	v_cmp_ne_u16_sdwa s4, v13, v7 src0_sel:BYTE_0 src1_sel:DWORD
	s_and_saveexec_b32 s7, s4
	s_cbranch_execz .LBB224_1068
; %bb.1061:                             ;   in Loop: Header=BB224_924 Depth=1
	v_bfrev_b32_e32 v17, 1
	v_mov_b32_e32 v18, 0
	v_cmp_ne_u16_sdwa s4, v13, v80 src0_sel:BYTE_0 src1_sel:DWORD
	s_and_saveexec_b32 s13, s4
	s_cbranch_execz .LBB224_1067
; %bb.1062:                             ;   in Loop: Header=BB224_924 Depth=1
	v_mov_b32_e32 v17, 0x7f800001
	v_and_b32_e32 v10, 0x7f, v13
	v_mov_b32_e32 v18, 0
	s_mov_b32 s15, exec_lo
	v_cmpx_ne_u32_e32 0x7f, v10
	s_cbranch_execz .LBB224_1066
; %bb.1063:                             ;   in Loop: Header=BB224_924 Depth=1
	v_and_b32_e32 v6, 7, v13
	v_lshrrev_b32_e32 v8, 3, v10
	s_mov_b32 s18, exec_lo
	v_cmpx_gt_u32_e32 8, v10
; %bb.1064:                             ;   in Loop: Header=BB224_924 Depth=1
	v_ffbh_u32_e32 v8, v6
	v_min_u32_e32 v8, 32, v8
	v_subrev_nc_u32_e32 v10, 28, v8
	v_sub_nc_u32_e32 v8, 29, v8
	v_lshlrev_b64 v[10:11], v10, v[6:7]
	v_and_b32_e32 v6, 7, v10
; %bb.1065:                             ;   in Loop: Header=BB224_924 Depth=1
	s_or_b32 exec_lo, exec_lo, s18
	v_lshlrev_b32_e32 v10, 24, v13
	v_lshlrev_b32_e32 v6, 20, v6
	v_lshl_add_u32 v8, v8, 23, 0x3c000000
	v_and_b32_e32 v10, 0x80000000, v10
	v_or3_b32 v6, v6, v10, v8
	v_mov_b32_e32 v18, v7
	v_mov_b32_e32 v17, v6
.LBB224_1066:                           ;   in Loop: Header=BB224_924 Depth=1
	s_or_b32 exec_lo, exec_lo, s15
.LBB224_1067:                           ;   in Loop: Header=BB224_924 Depth=1
	s_or_b32 exec_lo, exec_lo, s13
.LBB224_1068:                           ;   in Loop: Header=BB224_924 Depth=1
	s_or_b32 exec_lo, exec_lo, s7
	v_cmp_ne_u16_sdwa s4, v13, v7 src0_sel:BYTE_1 src1_sel:DWORD
	s_and_saveexec_b32 s7, s4
	s_cbranch_execz .LBB224_1076
; %bb.1069:                             ;   in Loop: Header=BB224_924 Depth=1
	v_mov_b32_e32 v8, v7
	v_mov_b32_e32 v20, v9
	v_cmp_ne_u16_sdwa s4, v13, v80 src0_sel:BYTE_1 src1_sel:DWORD
	v_mov_b32_e32 v19, v8
	s_and_saveexec_b32 s13, s4
	s_cbranch_execz .LBB224_1075
; %bb.1070:                             ;   in Loop: Header=BB224_924 Depth=1
	v_and_b32_sdwa v6, v91, v13 dst_sel:DWORD dst_unused:UNUSED_PAD src0_sel:DWORD src1_sel:BYTE_1
	v_mov_b32_e32 v11, v7
	v_mov_b32_e32 v20, v12
	s_mov_b32 s15, exec_lo
	v_and_b32_e32 v10, 0x7f, v6
	v_mov_b32_e32 v19, v11
	v_cmpx_ne_u32_e32 0x7f, v10
	s_cbranch_execz .LBB224_1074
; %bb.1071:                             ;   in Loop: Header=BB224_924 Depth=1
	v_and_b32_e32 v6, 7, v6
	v_lshrrev_b32_e32 v8, 3, v10
	s_mov_b32 s18, exec_lo
	v_cmpx_gt_u32_e32 8, v10
; %bb.1072:                             ;   in Loop: Header=BB224_924 Depth=1
	v_ffbh_u32_e32 v8, v6
	v_min_u32_e32 v8, 32, v8
	v_subrev_nc_u32_e32 v10, 28, v8
	v_sub_nc_u32_e32 v8, 29, v8
	v_lshlrev_b64 v[10:11], v10, v[6:7]
	v_and_b32_e32 v6, 7, v10
; %bb.1073:                             ;   in Loop: Header=BB224_924 Depth=1
	s_or_b32 exec_lo, exec_lo, s18
	v_lshlrev_b32_e32 v10, 16, v13
	v_lshlrev_b32_e32 v6, 20, v6
	v_lshl_add_u32 v8, v8, 23, 0x3c000000
	v_mov_b32_e32 v19, v7
	v_and_b32_e32 v10, 0x80000000, v10
	v_or3_b32 v20, v6, v10, v8
.LBB224_1074:                           ;   in Loop: Header=BB224_924 Depth=1
	s_or_b32 exec_lo, exec_lo, s15
.LBB224_1075:                           ;   in Loop: Header=BB224_924 Depth=1
	s_or_b32 exec_lo, exec_lo, s13
.LBB224_1076:                           ;   in Loop: Header=BB224_924 Depth=1
	s_or_b32 exec_lo, exec_lo, s7
	v_mov_b32_e32 v10, 0
	v_mov_b32_e32 v21, 0
	v_and_b32_sdwa v6, v13, v82 dst_sel:DWORD dst_unused:UNUSED_PAD src0_sel:WORD_1 src1_sel:DWORD
	v_mov_b32_e32 v11, 0
	v_mov_b32_e32 v22, 0
	s_mov_b32 s7, exec_lo
	v_cmpx_ne_u16_e32 0, v6
	s_cbranch_execz .LBB224_1084
; %bb.1077:                             ;   in Loop: Header=BB224_924 Depth=1
	v_bfrev_b32_e32 v21, 1
	v_mov_b32_e32 v22, 0
	s_mov_b32 s13, exec_lo
	v_cmpx_ne_u16_e32 0x80, v6
	s_cbranch_execz .LBB224_1083
; %bb.1078:                             ;   in Loop: Header=BB224_924 Depth=1
	v_mov_b32_e32 v21, 0x7f800001
	v_bfe_u32 v14, v13, 16, 7
	v_mov_b32_e32 v22, 0
	s_mov_b32 s15, exec_lo
	v_cmpx_ne_u32_e32 0x7f, v14
	s_cbranch_execz .LBB224_1082
; %bb.1079:                             ;   in Loop: Header=BB224_924 Depth=1
	v_mov_b32_e32 v6, 7
	v_lshrrev_b32_e32 v8, 3, v14
	s_mov_b32 s18, exec_lo
	v_and_b32_sdwa v6, v13, v6 dst_sel:DWORD dst_unused:UNUSED_PAD src0_sel:WORD_1 src1_sel:DWORD
	v_cmpx_gt_u32_e32 8, v14
; %bb.1080:                             ;   in Loop: Header=BB224_924 Depth=1
	v_ffbh_u32_e32 v8, v6
	v_min_u32_e32 v8, 32, v8
	v_subrev_nc_u32_e32 v14, 28, v8
	v_sub_nc_u32_e32 v8, 29, v8
	v_lshlrev_b64 v[21:22], v14, v[6:7]
	v_and_b32_e32 v6, 7, v21
; %bb.1081:                             ;   in Loop: Header=BB224_924 Depth=1
	s_or_b32 exec_lo, exec_lo, s18
	v_mov_b32_e32 v14, 24
	v_lshlrev_b32_e32 v6, 20, v6
	v_lshl_add_u32 v8, v8, 23, 0x3c000000
	v_lshlrev_b32_sdwa v14, v14, v13 dst_sel:DWORD dst_unused:UNUSED_PAD src0_sel:DWORD src1_sel:WORD_1
	v_and_b32_e32 v14, 0x80000000, v14
	v_or3_b32 v6, v6, v14, v8
	v_mov_b32_e32 v22, v7
	v_mov_b32_e32 v21, v6
.LBB224_1082:                           ;   in Loop: Header=BB224_924 Depth=1
	s_or_b32 exec_lo, exec_lo, s15
.LBB224_1083:                           ;   in Loop: Header=BB224_924 Depth=1
	s_or_b32 exec_lo, exec_lo, s13
.LBB224_1084:                           ;   in Loop: Header=BB224_924 Depth=1
	s_or_b32 exec_lo, exec_lo, s7
	s_mov_b32 s7, exec_lo
	v_cmpx_lt_u32_e32 0xffffff, v13
	s_cbranch_execz .LBB224_1092
; %bb.1085:                             ;   in Loop: Header=BB224_924 Depth=1
	v_mov_b32_e32 v8, v7
	v_mov_b32_e32 v11, v9
	v_cmp_ne_u32_sdwa s4, v13, v80 src0_sel:BYTE_3 src1_sel:DWORD
	v_mov_b32_e32 v10, v8
	s_and_saveexec_b32 s13, s4
	s_cbranch_execz .LBB224_1091
; %bb.1086:                             ;   in Loop: Header=BB224_924 Depth=1
	v_mov_b32_e32 v11, v7
	v_bfe_u32 v14, v13, 24, 7
	s_mov_b32 s15, exec_lo
	v_mov_b32_e32 v10, v11
	v_mov_b32_e32 v11, v12
	v_cmpx_ne_u32_e32 0x7f, v14
	s_cbranch_execz .LBB224_1090
; %bb.1087:                             ;   in Loop: Header=BB224_924 Depth=1
	v_mov_b32_e32 v6, 7
	v_lshrrev_b32_e32 v8, 3, v14
	s_mov_b32 s18, exec_lo
	v_and_b32_sdwa v6, v13, v6 dst_sel:DWORD dst_unused:UNUSED_PAD src0_sel:BYTE_3 src1_sel:DWORD
	v_cmpx_gt_u32_e32 8, v14
; %bb.1088:                             ;   in Loop: Header=BB224_924 Depth=1
	v_ffbh_u32_e32 v8, v6
	v_min_u32_e32 v8, 32, v8
	v_subrev_nc_u32_e32 v10, 28, v8
	v_sub_nc_u32_e32 v8, 29, v8
	v_lshlrev_b64 v[10:11], v10, v[6:7]
	v_and_b32_e32 v6, 7, v10
; %bb.1089:                             ;   in Loop: Header=BB224_924 Depth=1
	s_or_b32 exec_lo, exec_lo, s18
	v_mov_b32_e32 v10, 24
	v_lshlrev_b32_e32 v6, 20, v6
	v_lshl_add_u32 v8, v8, 23, 0x3c000000
	v_lshlrev_b32_sdwa v10, v10, v13 dst_sel:DWORD dst_unused:UNUSED_PAD src0_sel:DWORD src1_sel:BYTE_3
	v_and_b32_e32 v10, 0x80000000, v10
	v_or3_b32 v11, v6, v10, v8
	v_mov_b32_e32 v10, v7
.LBB224_1090:                           ;   in Loop: Header=BB224_924 Depth=1
	s_or_b32 exec_lo, exec_lo, s15
.LBB224_1091:                           ;   in Loop: Header=BB224_924 Depth=1
	s_or_b32 exec_lo, exec_lo, s13
.LBB224_1092:                           ;   in Loop: Header=BB224_924 Depth=1
	s_or_b32 exec_lo, exec_lo, s7
	v_or_b32_e32 v6, v20, v18
	v_or_b32_e32 v8, v19, v17
	v_or_b32_e32 v10, v10, v21
	v_or_b32_e32 v11, v11, v22
	v_mul_f32_e32 v6, v87, v6
	buffer_store_dword v6, off, s[0:3], s32 offset:348 ; 4-byte Folded Spill
	v_mul_f32_e32 v6, v71, v8
	buffer_store_dword v6, off, s[0:3], s32 offset:340 ; 4-byte Folded Spill
	;; [unrolled: 2-line block ×4, first 2 shown]
	s_and_saveexec_b32 s7, vcc_lo
	s_cbranch_execz .LBB224_1094
; %bb.1093:                             ;   in Loop: Header=BB224_924 Depth=1
	buffer_load_dword v6, off, s[0:3], s32 offset:340 ; 4-byte Folded Reload
	v_cmp_lt_i32_e64 s4, v117, v124
	s_waitcnt vmcnt(0)
	v_cndmask_b32_e64 v6, 0, v6, s4
	v_cmp_lt_i32_e64 s4, v119, v124
	buffer_store_dword v6, off, s[0:3], s32 offset:340 ; 4-byte Folded Spill
	buffer_load_dword v6, off, s[0:3], s32 offset:348 ; 4-byte Folded Reload
	s_waitcnt vmcnt(0)
	v_cndmask_b32_e64 v6, 0, v6, s4
	v_cmp_lt_i32_e64 s4, v118, v124
	buffer_store_dword v6, off, s[0:3], s32 offset:348 ; 4-byte Folded Spill
	buffer_load_dword v6, off, s[0:3], s32 offset:332 ; 4-byte Folded Reload
	;; [unrolled: 5-line block ×3, first 2 shown]
	s_waitcnt vmcnt(0)
	v_cndmask_b32_e64 v6, 0, v6, s4
	buffer_store_dword v6, off, s[0:3], s32 offset:324 ; 4-byte Folded Spill
.LBB224_1094:                           ;   in Loop: Header=BB224_924 Depth=1
	s_or_b32 exec_lo, exec_lo, s7
	flat_load_dword v13, v[0:1] offset:640
	v_mov_b32_e32 v19, 0
	v_mov_b32_e32 v17, 0
	;; [unrolled: 1-line block ×4, first 2 shown]
	s_waitcnt vmcnt(0) lgkmcnt(0)
	v_cmp_ne_u16_sdwa s4, v13, v7 src0_sel:BYTE_0 src1_sel:DWORD
	s_and_saveexec_b32 s7, s4
	s_cbranch_execz .LBB224_1102
; %bb.1095:                             ;   in Loop: Header=BB224_924 Depth=1
	v_bfrev_b32_e32 v17, 1
	v_mov_b32_e32 v18, 0
	v_cmp_ne_u16_sdwa s4, v13, v80 src0_sel:BYTE_0 src1_sel:DWORD
	s_and_saveexec_b32 s13, s4
	s_cbranch_execz .LBB224_1101
; %bb.1096:                             ;   in Loop: Header=BB224_924 Depth=1
	v_mov_b32_e32 v17, 0x7f800001
	v_and_b32_e32 v10, 0x7f, v13
	v_mov_b32_e32 v18, 0
	s_mov_b32 s15, exec_lo
	v_cmpx_ne_u32_e32 0x7f, v10
	s_cbranch_execz .LBB224_1100
; %bb.1097:                             ;   in Loop: Header=BB224_924 Depth=1
	v_and_b32_e32 v6, 7, v13
	v_lshrrev_b32_e32 v8, 3, v10
	s_mov_b32 s18, exec_lo
	v_cmpx_gt_u32_e32 8, v10
; %bb.1098:                             ;   in Loop: Header=BB224_924 Depth=1
	v_ffbh_u32_e32 v8, v6
	v_min_u32_e32 v8, 32, v8
	v_subrev_nc_u32_e32 v10, 28, v8
	v_sub_nc_u32_e32 v8, 29, v8
	v_lshlrev_b64 v[10:11], v10, v[6:7]
	v_and_b32_e32 v6, 7, v10
; %bb.1099:                             ;   in Loop: Header=BB224_924 Depth=1
	s_or_b32 exec_lo, exec_lo, s18
	v_lshlrev_b32_e32 v10, 24, v13
	v_lshlrev_b32_e32 v6, 20, v6
	v_lshl_add_u32 v8, v8, 23, 0x3c000000
	v_and_b32_e32 v10, 0x80000000, v10
	v_or3_b32 v6, v6, v10, v8
	v_mov_b32_e32 v18, v7
	v_mov_b32_e32 v17, v6
.LBB224_1100:                           ;   in Loop: Header=BB224_924 Depth=1
	s_or_b32 exec_lo, exec_lo, s15
.LBB224_1101:                           ;   in Loop: Header=BB224_924 Depth=1
	s_or_b32 exec_lo, exec_lo, s13
.LBB224_1102:                           ;   in Loop: Header=BB224_924 Depth=1
	s_or_b32 exec_lo, exec_lo, s7
	v_cmp_ne_u16_sdwa s4, v13, v7 src0_sel:BYTE_1 src1_sel:DWORD
	s_and_saveexec_b32 s7, s4
	s_cbranch_execz .LBB224_1110
; %bb.1103:                             ;   in Loop: Header=BB224_924 Depth=1
	v_mov_b32_e32 v8, v7
	v_mov_b32_e32 v20, v9
	v_cmp_ne_u16_sdwa s4, v13, v80 src0_sel:BYTE_1 src1_sel:DWORD
	v_mov_b32_e32 v19, v8
	s_and_saveexec_b32 s13, s4
	s_cbranch_execz .LBB224_1109
; %bb.1104:                             ;   in Loop: Header=BB224_924 Depth=1
	v_and_b32_sdwa v6, v91, v13 dst_sel:DWORD dst_unused:UNUSED_PAD src0_sel:DWORD src1_sel:BYTE_1
	v_mov_b32_e32 v11, v7
	v_mov_b32_e32 v20, v12
	s_mov_b32 s15, exec_lo
	v_and_b32_e32 v10, 0x7f, v6
	v_mov_b32_e32 v19, v11
	v_cmpx_ne_u32_e32 0x7f, v10
	s_cbranch_execz .LBB224_1108
; %bb.1105:                             ;   in Loop: Header=BB224_924 Depth=1
	v_and_b32_e32 v6, 7, v6
	v_lshrrev_b32_e32 v8, 3, v10
	s_mov_b32 s18, exec_lo
	v_cmpx_gt_u32_e32 8, v10
; %bb.1106:                             ;   in Loop: Header=BB224_924 Depth=1
	v_ffbh_u32_e32 v8, v6
	v_min_u32_e32 v8, 32, v8
	v_subrev_nc_u32_e32 v10, 28, v8
	v_sub_nc_u32_e32 v8, 29, v8
	v_lshlrev_b64 v[10:11], v10, v[6:7]
	v_and_b32_e32 v6, 7, v10
; %bb.1107:                             ;   in Loop: Header=BB224_924 Depth=1
	s_or_b32 exec_lo, exec_lo, s18
	v_lshlrev_b32_e32 v10, 16, v13
	v_lshlrev_b32_e32 v6, 20, v6
	v_lshl_add_u32 v8, v8, 23, 0x3c000000
	v_mov_b32_e32 v19, v7
	v_and_b32_e32 v10, 0x80000000, v10
	v_or3_b32 v20, v6, v10, v8
.LBB224_1108:                           ;   in Loop: Header=BB224_924 Depth=1
	s_or_b32 exec_lo, exec_lo, s15
.LBB224_1109:                           ;   in Loop: Header=BB224_924 Depth=1
	s_or_b32 exec_lo, exec_lo, s13
.LBB224_1110:                           ;   in Loop: Header=BB224_924 Depth=1
	s_or_b32 exec_lo, exec_lo, s7
	v_mov_b32_e32 v10, 0
	v_mov_b32_e32 v21, 0
	v_and_b32_sdwa v6, v13, v82 dst_sel:DWORD dst_unused:UNUSED_PAD src0_sel:WORD_1 src1_sel:DWORD
	v_mov_b32_e32 v11, 0
	v_mov_b32_e32 v22, 0
	s_mov_b32 s7, exec_lo
	v_cmpx_ne_u16_e32 0, v6
	s_cbranch_execz .LBB224_1118
; %bb.1111:                             ;   in Loop: Header=BB224_924 Depth=1
	v_bfrev_b32_e32 v21, 1
	v_mov_b32_e32 v22, 0
	s_mov_b32 s13, exec_lo
	v_cmpx_ne_u16_e32 0x80, v6
	s_cbranch_execz .LBB224_1117
; %bb.1112:                             ;   in Loop: Header=BB224_924 Depth=1
	v_mov_b32_e32 v21, 0x7f800001
	v_bfe_u32 v14, v13, 16, 7
	v_mov_b32_e32 v22, 0
	s_mov_b32 s15, exec_lo
	v_cmpx_ne_u32_e32 0x7f, v14
	s_cbranch_execz .LBB224_1116
; %bb.1113:                             ;   in Loop: Header=BB224_924 Depth=1
	v_mov_b32_e32 v6, 7
	v_lshrrev_b32_e32 v8, 3, v14
	s_mov_b32 s18, exec_lo
	v_and_b32_sdwa v6, v13, v6 dst_sel:DWORD dst_unused:UNUSED_PAD src0_sel:WORD_1 src1_sel:DWORD
	v_cmpx_gt_u32_e32 8, v14
; %bb.1114:                             ;   in Loop: Header=BB224_924 Depth=1
	v_ffbh_u32_e32 v8, v6
	v_min_u32_e32 v8, 32, v8
	v_subrev_nc_u32_e32 v14, 28, v8
	v_sub_nc_u32_e32 v8, 29, v8
	v_lshlrev_b64 v[21:22], v14, v[6:7]
	v_and_b32_e32 v6, 7, v21
; %bb.1115:                             ;   in Loop: Header=BB224_924 Depth=1
	s_or_b32 exec_lo, exec_lo, s18
	v_mov_b32_e32 v14, 24
	v_lshlrev_b32_e32 v6, 20, v6
	v_lshl_add_u32 v8, v8, 23, 0x3c000000
	v_lshlrev_b32_sdwa v14, v14, v13 dst_sel:DWORD dst_unused:UNUSED_PAD src0_sel:DWORD src1_sel:WORD_1
	v_and_b32_e32 v14, 0x80000000, v14
	v_or3_b32 v6, v6, v14, v8
	v_mov_b32_e32 v22, v7
	v_mov_b32_e32 v21, v6
.LBB224_1116:                           ;   in Loop: Header=BB224_924 Depth=1
	s_or_b32 exec_lo, exec_lo, s15
.LBB224_1117:                           ;   in Loop: Header=BB224_924 Depth=1
	s_or_b32 exec_lo, exec_lo, s13
.LBB224_1118:                           ;   in Loop: Header=BB224_924 Depth=1
	s_or_b32 exec_lo, exec_lo, s7
	s_mov_b32 s7, exec_lo
	v_cmpx_lt_u32_e32 0xffffff, v13
	s_cbranch_execz .LBB224_1126
; %bb.1119:                             ;   in Loop: Header=BB224_924 Depth=1
	v_mov_b32_e32 v8, v7
	v_mov_b32_e32 v11, v9
	v_cmp_ne_u32_sdwa s4, v13, v80 src0_sel:BYTE_3 src1_sel:DWORD
	v_mov_b32_e32 v10, v8
	s_and_saveexec_b32 s13, s4
	s_cbranch_execz .LBB224_1125
; %bb.1120:                             ;   in Loop: Header=BB224_924 Depth=1
	v_mov_b32_e32 v11, v7
	v_bfe_u32 v14, v13, 24, 7
	s_mov_b32 s15, exec_lo
	v_mov_b32_e32 v10, v11
	v_mov_b32_e32 v11, v12
	v_cmpx_ne_u32_e32 0x7f, v14
	s_cbranch_execz .LBB224_1124
; %bb.1121:                             ;   in Loop: Header=BB224_924 Depth=1
	v_mov_b32_e32 v6, 7
	v_lshrrev_b32_e32 v8, 3, v14
	s_mov_b32 s18, exec_lo
	v_and_b32_sdwa v6, v13, v6 dst_sel:DWORD dst_unused:UNUSED_PAD src0_sel:BYTE_3 src1_sel:DWORD
	v_cmpx_gt_u32_e32 8, v14
; %bb.1122:                             ;   in Loop: Header=BB224_924 Depth=1
	v_ffbh_u32_e32 v8, v6
	v_min_u32_e32 v8, 32, v8
	v_subrev_nc_u32_e32 v10, 28, v8
	v_sub_nc_u32_e32 v8, 29, v8
	v_lshlrev_b64 v[10:11], v10, v[6:7]
	v_and_b32_e32 v6, 7, v10
; %bb.1123:                             ;   in Loop: Header=BB224_924 Depth=1
	s_or_b32 exec_lo, exec_lo, s18
	v_mov_b32_e32 v10, 24
	v_lshlrev_b32_e32 v6, 20, v6
	v_lshl_add_u32 v8, v8, 23, 0x3c000000
	v_lshlrev_b32_sdwa v10, v10, v13 dst_sel:DWORD dst_unused:UNUSED_PAD src0_sel:DWORD src1_sel:BYTE_3
	v_and_b32_e32 v10, 0x80000000, v10
	v_or3_b32 v11, v6, v10, v8
	v_mov_b32_e32 v10, v7
.LBB224_1124:                           ;   in Loop: Header=BB224_924 Depth=1
	s_or_b32 exec_lo, exec_lo, s15
.LBB224_1125:                           ;   in Loop: Header=BB224_924 Depth=1
	s_or_b32 exec_lo, exec_lo, s13
.LBB224_1126:                           ;   in Loop: Header=BB224_924 Depth=1
	s_or_b32 exec_lo, exec_lo, s7
	v_or_b32_e32 v6, v20, v18
	v_or_b32_e32 v8, v19, v17
	;; [unrolled: 1-line block ×4, first 2 shown]
	v_mul_f32_e32 v6, v87, v6
	buffer_store_dword v6, off, s[0:3], s32 offset:372 ; 4-byte Folded Spill
	v_mul_f32_e32 v6, v71, v8
	buffer_store_dword v6, off, s[0:3], s32 offset:380 ; 4-byte Folded Spill
	;; [unrolled: 2-line block ×4, first 2 shown]
	s_and_saveexec_b32 s7, vcc_lo
	s_cbranch_execz .LBB224_1128
; %bb.1127:                             ;   in Loop: Header=BB224_924 Depth=1
	buffer_load_dword v6, off, s[0:3], s32 offset:380 ; 4-byte Folded Reload
	v_cmp_lt_i32_e64 s4, v117, v124
	s_waitcnt vmcnt(0)
	v_cndmask_b32_e64 v6, 0, v6, s4
	v_cmp_lt_i32_e64 s4, v119, v124
	buffer_store_dword v6, off, s[0:3], s32 offset:380 ; 4-byte Folded Spill
	buffer_load_dword v6, off, s[0:3], s32 offset:372 ; 4-byte Folded Reload
	s_waitcnt vmcnt(0)
	v_cndmask_b32_e64 v6, 0, v6, s4
	v_cmp_lt_i32_e64 s4, v118, v124
	buffer_store_dword v6, off, s[0:3], s32 offset:372 ; 4-byte Folded Spill
	buffer_load_dword v6, off, s[0:3], s32 offset:364 ; 4-byte Folded Reload
	;; [unrolled: 5-line block ×3, first 2 shown]
	s_waitcnt vmcnt(0)
	v_cndmask_b32_e64 v6, 0, v6, s4
	buffer_store_dword v6, off, s[0:3], s32 offset:356 ; 4-byte Folded Spill
.LBB224_1128:                           ;   in Loop: Header=BB224_924 Depth=1
	s_or_b32 exec_lo, exec_lo, s7
	flat_load_dword v13, v[0:1] offset:768
	v_mov_b32_e32 v19, 0
	v_mov_b32_e32 v17, 0
	v_mov_b32_e32 v20, 0
	v_mov_b32_e32 v18, 0
	s_waitcnt vmcnt(0) lgkmcnt(0)
	v_cmp_ne_u16_sdwa s4, v13, v7 src0_sel:BYTE_0 src1_sel:DWORD
	s_and_saveexec_b32 s7, s4
	s_cbranch_execz .LBB224_1136
; %bb.1129:                             ;   in Loop: Header=BB224_924 Depth=1
	v_bfrev_b32_e32 v17, 1
	v_mov_b32_e32 v18, 0
	v_cmp_ne_u16_sdwa s4, v13, v80 src0_sel:BYTE_0 src1_sel:DWORD
	s_and_saveexec_b32 s13, s4
	s_cbranch_execz .LBB224_1135
; %bb.1130:                             ;   in Loop: Header=BB224_924 Depth=1
	v_mov_b32_e32 v17, 0x7f800001
	v_and_b32_e32 v10, 0x7f, v13
	v_mov_b32_e32 v18, 0
	s_mov_b32 s15, exec_lo
	v_cmpx_ne_u32_e32 0x7f, v10
	s_cbranch_execz .LBB224_1134
; %bb.1131:                             ;   in Loop: Header=BB224_924 Depth=1
	v_and_b32_e32 v6, 7, v13
	v_lshrrev_b32_e32 v8, 3, v10
	s_mov_b32 s18, exec_lo
	v_cmpx_gt_u32_e32 8, v10
; %bb.1132:                             ;   in Loop: Header=BB224_924 Depth=1
	v_ffbh_u32_e32 v8, v6
	v_min_u32_e32 v8, 32, v8
	v_subrev_nc_u32_e32 v10, 28, v8
	v_sub_nc_u32_e32 v8, 29, v8
	v_lshlrev_b64 v[10:11], v10, v[6:7]
	v_and_b32_e32 v6, 7, v10
; %bb.1133:                             ;   in Loop: Header=BB224_924 Depth=1
	s_or_b32 exec_lo, exec_lo, s18
	v_lshlrev_b32_e32 v10, 24, v13
	v_lshlrev_b32_e32 v6, 20, v6
	v_lshl_add_u32 v8, v8, 23, 0x3c000000
	v_and_b32_e32 v10, 0x80000000, v10
	v_or3_b32 v6, v6, v10, v8
	v_mov_b32_e32 v18, v7
	v_mov_b32_e32 v17, v6
.LBB224_1134:                           ;   in Loop: Header=BB224_924 Depth=1
	s_or_b32 exec_lo, exec_lo, s15
.LBB224_1135:                           ;   in Loop: Header=BB224_924 Depth=1
	s_or_b32 exec_lo, exec_lo, s13
.LBB224_1136:                           ;   in Loop: Header=BB224_924 Depth=1
	s_or_b32 exec_lo, exec_lo, s7
	v_cmp_ne_u16_sdwa s4, v13, v7 src0_sel:BYTE_1 src1_sel:DWORD
	s_and_saveexec_b32 s7, s4
	s_cbranch_execz .LBB224_1144
; %bb.1137:                             ;   in Loop: Header=BB224_924 Depth=1
	v_mov_b32_e32 v8, v7
	v_mov_b32_e32 v20, v9
	v_cmp_ne_u16_sdwa s4, v13, v80 src0_sel:BYTE_1 src1_sel:DWORD
	v_mov_b32_e32 v19, v8
	s_and_saveexec_b32 s13, s4
	s_cbranch_execz .LBB224_1143
; %bb.1138:                             ;   in Loop: Header=BB224_924 Depth=1
	v_and_b32_sdwa v6, v91, v13 dst_sel:DWORD dst_unused:UNUSED_PAD src0_sel:DWORD src1_sel:BYTE_1
	v_mov_b32_e32 v11, v7
	v_mov_b32_e32 v20, v12
	s_mov_b32 s15, exec_lo
	v_and_b32_e32 v10, 0x7f, v6
	v_mov_b32_e32 v19, v11
	v_cmpx_ne_u32_e32 0x7f, v10
	s_cbranch_execz .LBB224_1142
; %bb.1139:                             ;   in Loop: Header=BB224_924 Depth=1
	v_and_b32_e32 v6, 7, v6
	v_lshrrev_b32_e32 v8, 3, v10
	s_mov_b32 s18, exec_lo
	v_cmpx_gt_u32_e32 8, v10
; %bb.1140:                             ;   in Loop: Header=BB224_924 Depth=1
	v_ffbh_u32_e32 v8, v6
	v_min_u32_e32 v8, 32, v8
	v_subrev_nc_u32_e32 v10, 28, v8
	v_sub_nc_u32_e32 v8, 29, v8
	v_lshlrev_b64 v[10:11], v10, v[6:7]
	v_and_b32_e32 v6, 7, v10
; %bb.1141:                             ;   in Loop: Header=BB224_924 Depth=1
	s_or_b32 exec_lo, exec_lo, s18
	v_lshlrev_b32_e32 v10, 16, v13
	v_lshlrev_b32_e32 v6, 20, v6
	v_lshl_add_u32 v8, v8, 23, 0x3c000000
	v_mov_b32_e32 v19, v7
	v_and_b32_e32 v10, 0x80000000, v10
	v_or3_b32 v20, v6, v10, v8
.LBB224_1142:                           ;   in Loop: Header=BB224_924 Depth=1
	s_or_b32 exec_lo, exec_lo, s15
.LBB224_1143:                           ;   in Loop: Header=BB224_924 Depth=1
	s_or_b32 exec_lo, exec_lo, s13
.LBB224_1144:                           ;   in Loop: Header=BB224_924 Depth=1
	s_or_b32 exec_lo, exec_lo, s7
	v_mov_b32_e32 v10, 0
	v_mov_b32_e32 v21, 0
	v_and_b32_sdwa v6, v13, v82 dst_sel:DWORD dst_unused:UNUSED_PAD src0_sel:WORD_1 src1_sel:DWORD
	v_mov_b32_e32 v11, 0
	v_mov_b32_e32 v22, 0
	s_mov_b32 s7, exec_lo
	v_cmpx_ne_u16_e32 0, v6
	s_cbranch_execz .LBB224_1152
; %bb.1145:                             ;   in Loop: Header=BB224_924 Depth=1
	v_bfrev_b32_e32 v21, 1
	v_mov_b32_e32 v22, 0
	s_mov_b32 s13, exec_lo
	v_cmpx_ne_u16_e32 0x80, v6
	s_cbranch_execz .LBB224_1151
; %bb.1146:                             ;   in Loop: Header=BB224_924 Depth=1
	v_mov_b32_e32 v21, 0x7f800001
	v_bfe_u32 v14, v13, 16, 7
	v_mov_b32_e32 v22, 0
	s_mov_b32 s15, exec_lo
	v_cmpx_ne_u32_e32 0x7f, v14
	s_cbranch_execz .LBB224_1150
; %bb.1147:                             ;   in Loop: Header=BB224_924 Depth=1
	v_mov_b32_e32 v6, 7
	v_lshrrev_b32_e32 v8, 3, v14
	s_mov_b32 s18, exec_lo
	v_and_b32_sdwa v6, v13, v6 dst_sel:DWORD dst_unused:UNUSED_PAD src0_sel:WORD_1 src1_sel:DWORD
	v_cmpx_gt_u32_e32 8, v14
; %bb.1148:                             ;   in Loop: Header=BB224_924 Depth=1
	v_ffbh_u32_e32 v8, v6
	v_min_u32_e32 v8, 32, v8
	v_subrev_nc_u32_e32 v14, 28, v8
	v_sub_nc_u32_e32 v8, 29, v8
	v_lshlrev_b64 v[21:22], v14, v[6:7]
	v_and_b32_e32 v6, 7, v21
; %bb.1149:                             ;   in Loop: Header=BB224_924 Depth=1
	s_or_b32 exec_lo, exec_lo, s18
	v_mov_b32_e32 v14, 24
	v_lshlrev_b32_e32 v6, 20, v6
	v_lshl_add_u32 v8, v8, 23, 0x3c000000
	v_lshlrev_b32_sdwa v14, v14, v13 dst_sel:DWORD dst_unused:UNUSED_PAD src0_sel:DWORD src1_sel:WORD_1
	v_and_b32_e32 v14, 0x80000000, v14
	v_or3_b32 v6, v6, v14, v8
	v_mov_b32_e32 v22, v7
	v_mov_b32_e32 v21, v6
.LBB224_1150:                           ;   in Loop: Header=BB224_924 Depth=1
	s_or_b32 exec_lo, exec_lo, s15
.LBB224_1151:                           ;   in Loop: Header=BB224_924 Depth=1
	s_or_b32 exec_lo, exec_lo, s13
.LBB224_1152:                           ;   in Loop: Header=BB224_924 Depth=1
	s_or_b32 exec_lo, exec_lo, s7
	s_mov_b32 s7, exec_lo
	v_cmpx_lt_u32_e32 0xffffff, v13
	s_cbranch_execz .LBB224_1160
; %bb.1153:                             ;   in Loop: Header=BB224_924 Depth=1
	v_mov_b32_e32 v8, v7
	v_mov_b32_e32 v11, v9
	v_cmp_ne_u32_sdwa s4, v13, v80 src0_sel:BYTE_3 src1_sel:DWORD
	v_mov_b32_e32 v10, v8
	s_and_saveexec_b32 s13, s4
	s_cbranch_execz .LBB224_1159
; %bb.1154:                             ;   in Loop: Header=BB224_924 Depth=1
	v_mov_b32_e32 v11, v7
	v_bfe_u32 v14, v13, 24, 7
	s_mov_b32 s15, exec_lo
	v_mov_b32_e32 v10, v11
	v_mov_b32_e32 v11, v12
	v_cmpx_ne_u32_e32 0x7f, v14
	s_cbranch_execz .LBB224_1158
; %bb.1155:                             ;   in Loop: Header=BB224_924 Depth=1
	v_mov_b32_e32 v6, 7
	v_lshrrev_b32_e32 v8, 3, v14
	s_mov_b32 s18, exec_lo
	v_and_b32_sdwa v6, v13, v6 dst_sel:DWORD dst_unused:UNUSED_PAD src0_sel:BYTE_3 src1_sel:DWORD
	v_cmpx_gt_u32_e32 8, v14
; %bb.1156:                             ;   in Loop: Header=BB224_924 Depth=1
	v_ffbh_u32_e32 v8, v6
	v_min_u32_e32 v8, 32, v8
	v_subrev_nc_u32_e32 v10, 28, v8
	v_sub_nc_u32_e32 v8, 29, v8
	v_lshlrev_b64 v[10:11], v10, v[6:7]
	v_and_b32_e32 v6, 7, v10
; %bb.1157:                             ;   in Loop: Header=BB224_924 Depth=1
	s_or_b32 exec_lo, exec_lo, s18
	v_mov_b32_e32 v10, 24
	v_lshlrev_b32_e32 v6, 20, v6
	v_lshl_add_u32 v8, v8, 23, 0x3c000000
	v_lshlrev_b32_sdwa v10, v10, v13 dst_sel:DWORD dst_unused:UNUSED_PAD src0_sel:DWORD src1_sel:BYTE_3
	v_and_b32_e32 v10, 0x80000000, v10
	v_or3_b32 v11, v6, v10, v8
	v_mov_b32_e32 v10, v7
.LBB224_1158:                           ;   in Loop: Header=BB224_924 Depth=1
	s_or_b32 exec_lo, exec_lo, s15
.LBB224_1159:                           ;   in Loop: Header=BB224_924 Depth=1
	s_or_b32 exec_lo, exec_lo, s13
.LBB224_1160:                           ;   in Loop: Header=BB224_924 Depth=1
	s_or_b32 exec_lo, exec_lo, s7
	v_or_b32_e32 v6, v20, v18
	v_or_b32_e32 v8, v19, v17
	;; [unrolled: 1-line block ×4, first 2 shown]
	v_mul_f32_e32 v6, v87, v6
	buffer_store_dword v6, off, s[0:3], s32 offset:404 ; 4-byte Folded Spill
	v_mul_f32_e32 v6, v71, v8
	buffer_store_dword v6, off, s[0:3], s32 offset:412 ; 4-byte Folded Spill
	;; [unrolled: 2-line block ×4, first 2 shown]
	s_and_saveexec_b32 s7, vcc_lo
	s_cbranch_execz .LBB224_1162
; %bb.1161:                             ;   in Loop: Header=BB224_924 Depth=1
	buffer_load_dword v6, off, s[0:3], s32 offset:412 ; 4-byte Folded Reload
	v_cmp_lt_i32_e64 s4, v117, v124
	s_waitcnt vmcnt(0)
	v_cndmask_b32_e64 v6, 0, v6, s4
	v_cmp_lt_i32_e64 s4, v119, v124
	buffer_store_dword v6, off, s[0:3], s32 offset:412 ; 4-byte Folded Spill
	buffer_load_dword v6, off, s[0:3], s32 offset:404 ; 4-byte Folded Reload
	s_waitcnt vmcnt(0)
	v_cndmask_b32_e64 v6, 0, v6, s4
	v_cmp_lt_i32_e64 s4, v118, v124
	buffer_store_dword v6, off, s[0:3], s32 offset:404 ; 4-byte Folded Spill
	buffer_load_dword v6, off, s[0:3], s32 offset:396 ; 4-byte Folded Reload
	;; [unrolled: 5-line block ×3, first 2 shown]
	s_waitcnt vmcnt(0)
	v_cndmask_b32_e64 v6, 0, v6, s4
	buffer_store_dword v6, off, s[0:3], s32 offset:388 ; 4-byte Folded Spill
.LBB224_1162:                           ;   in Loop: Header=BB224_924 Depth=1
	s_or_b32 exec_lo, exec_lo, s7
	flat_load_dword v13, v[0:1] offset:896
	v_mov_b32_e32 v19, 0
	v_mov_b32_e32 v17, 0
	;; [unrolled: 1-line block ×4, first 2 shown]
	s_waitcnt vmcnt(0) lgkmcnt(0)
	v_cmp_ne_u16_sdwa s4, v13, v7 src0_sel:BYTE_0 src1_sel:DWORD
	s_and_saveexec_b32 s7, s4
	s_cbranch_execz .LBB224_1170
; %bb.1163:                             ;   in Loop: Header=BB224_924 Depth=1
	v_bfrev_b32_e32 v17, 1
	v_mov_b32_e32 v18, 0
	v_cmp_ne_u16_sdwa s4, v13, v80 src0_sel:BYTE_0 src1_sel:DWORD
	s_and_saveexec_b32 s13, s4
	s_cbranch_execz .LBB224_1169
; %bb.1164:                             ;   in Loop: Header=BB224_924 Depth=1
	v_mov_b32_e32 v17, 0x7f800001
	v_and_b32_e32 v10, 0x7f, v13
	v_mov_b32_e32 v18, 0
	s_mov_b32 s15, exec_lo
	v_cmpx_ne_u32_e32 0x7f, v10
	s_cbranch_execz .LBB224_1168
; %bb.1165:                             ;   in Loop: Header=BB224_924 Depth=1
	v_and_b32_e32 v6, 7, v13
	v_lshrrev_b32_e32 v8, 3, v10
	s_mov_b32 s18, exec_lo
	v_cmpx_gt_u32_e32 8, v10
; %bb.1166:                             ;   in Loop: Header=BB224_924 Depth=1
	v_ffbh_u32_e32 v8, v6
	v_min_u32_e32 v8, 32, v8
	v_subrev_nc_u32_e32 v10, 28, v8
	v_sub_nc_u32_e32 v8, 29, v8
	v_lshlrev_b64 v[10:11], v10, v[6:7]
	v_and_b32_e32 v6, 7, v10
; %bb.1167:                             ;   in Loop: Header=BB224_924 Depth=1
	s_or_b32 exec_lo, exec_lo, s18
	v_lshlrev_b32_e32 v10, 24, v13
	v_lshlrev_b32_e32 v6, 20, v6
	v_lshl_add_u32 v8, v8, 23, 0x3c000000
	v_and_b32_e32 v10, 0x80000000, v10
	v_or3_b32 v6, v6, v10, v8
	v_mov_b32_e32 v18, v7
	v_mov_b32_e32 v17, v6
.LBB224_1168:                           ;   in Loop: Header=BB224_924 Depth=1
	s_or_b32 exec_lo, exec_lo, s15
.LBB224_1169:                           ;   in Loop: Header=BB224_924 Depth=1
	s_or_b32 exec_lo, exec_lo, s13
.LBB224_1170:                           ;   in Loop: Header=BB224_924 Depth=1
	s_or_b32 exec_lo, exec_lo, s7
	v_cmp_ne_u16_sdwa s4, v13, v7 src0_sel:BYTE_1 src1_sel:DWORD
	s_and_saveexec_b32 s7, s4
	s_cbranch_execz .LBB224_1178
; %bb.1171:                             ;   in Loop: Header=BB224_924 Depth=1
	v_mov_b32_e32 v8, v7
	v_mov_b32_e32 v20, v9
	v_cmp_ne_u16_sdwa s4, v13, v80 src0_sel:BYTE_1 src1_sel:DWORD
	v_mov_b32_e32 v19, v8
	s_and_saveexec_b32 s13, s4
	s_cbranch_execz .LBB224_1177
; %bb.1172:                             ;   in Loop: Header=BB224_924 Depth=1
	v_and_b32_sdwa v6, v91, v13 dst_sel:DWORD dst_unused:UNUSED_PAD src0_sel:DWORD src1_sel:BYTE_1
	v_mov_b32_e32 v11, v7
	v_mov_b32_e32 v20, v12
	s_mov_b32 s15, exec_lo
	v_and_b32_e32 v10, 0x7f, v6
	v_mov_b32_e32 v19, v11
	v_cmpx_ne_u32_e32 0x7f, v10
	s_cbranch_execz .LBB224_1176
; %bb.1173:                             ;   in Loop: Header=BB224_924 Depth=1
	v_and_b32_e32 v6, 7, v6
	v_lshrrev_b32_e32 v8, 3, v10
	s_mov_b32 s18, exec_lo
	v_cmpx_gt_u32_e32 8, v10
; %bb.1174:                             ;   in Loop: Header=BB224_924 Depth=1
	v_ffbh_u32_e32 v8, v6
	v_min_u32_e32 v8, 32, v8
	v_subrev_nc_u32_e32 v10, 28, v8
	v_sub_nc_u32_e32 v8, 29, v8
	v_lshlrev_b64 v[10:11], v10, v[6:7]
	v_and_b32_e32 v6, 7, v10
; %bb.1175:                             ;   in Loop: Header=BB224_924 Depth=1
	s_or_b32 exec_lo, exec_lo, s18
	v_lshlrev_b32_e32 v10, 16, v13
	v_lshlrev_b32_e32 v6, 20, v6
	v_lshl_add_u32 v8, v8, 23, 0x3c000000
	v_mov_b32_e32 v19, v7
	v_and_b32_e32 v10, 0x80000000, v10
	v_or3_b32 v20, v6, v10, v8
.LBB224_1176:                           ;   in Loop: Header=BB224_924 Depth=1
	s_or_b32 exec_lo, exec_lo, s15
.LBB224_1177:                           ;   in Loop: Header=BB224_924 Depth=1
	s_or_b32 exec_lo, exec_lo, s13
.LBB224_1178:                           ;   in Loop: Header=BB224_924 Depth=1
	s_or_b32 exec_lo, exec_lo, s7
	v_mov_b32_e32 v10, 0
	v_mov_b32_e32 v21, 0
	v_and_b32_sdwa v6, v13, v82 dst_sel:DWORD dst_unused:UNUSED_PAD src0_sel:WORD_1 src1_sel:DWORD
	v_mov_b32_e32 v11, 0
	v_mov_b32_e32 v22, 0
	s_mov_b32 s7, exec_lo
	v_cmpx_ne_u16_e32 0, v6
	s_cbranch_execz .LBB224_1186
; %bb.1179:                             ;   in Loop: Header=BB224_924 Depth=1
	v_bfrev_b32_e32 v21, 1
	v_mov_b32_e32 v22, 0
	s_mov_b32 s13, exec_lo
	v_cmpx_ne_u16_e32 0x80, v6
	s_cbranch_execz .LBB224_1185
; %bb.1180:                             ;   in Loop: Header=BB224_924 Depth=1
	v_mov_b32_e32 v21, 0x7f800001
	v_bfe_u32 v14, v13, 16, 7
	v_mov_b32_e32 v22, 0
	s_mov_b32 s15, exec_lo
	v_cmpx_ne_u32_e32 0x7f, v14
	s_cbranch_execz .LBB224_1184
; %bb.1181:                             ;   in Loop: Header=BB224_924 Depth=1
	v_mov_b32_e32 v6, 7
	v_lshrrev_b32_e32 v8, 3, v14
	s_mov_b32 s18, exec_lo
	v_and_b32_sdwa v6, v13, v6 dst_sel:DWORD dst_unused:UNUSED_PAD src0_sel:WORD_1 src1_sel:DWORD
	v_cmpx_gt_u32_e32 8, v14
; %bb.1182:                             ;   in Loop: Header=BB224_924 Depth=1
	v_ffbh_u32_e32 v8, v6
	v_min_u32_e32 v8, 32, v8
	v_subrev_nc_u32_e32 v14, 28, v8
	v_sub_nc_u32_e32 v8, 29, v8
	v_lshlrev_b64 v[21:22], v14, v[6:7]
	v_and_b32_e32 v6, 7, v21
; %bb.1183:                             ;   in Loop: Header=BB224_924 Depth=1
	s_or_b32 exec_lo, exec_lo, s18
	v_mov_b32_e32 v14, 24
	v_lshlrev_b32_e32 v6, 20, v6
	v_lshl_add_u32 v8, v8, 23, 0x3c000000
	v_lshlrev_b32_sdwa v14, v14, v13 dst_sel:DWORD dst_unused:UNUSED_PAD src0_sel:DWORD src1_sel:WORD_1
	v_and_b32_e32 v14, 0x80000000, v14
	v_or3_b32 v6, v6, v14, v8
	v_mov_b32_e32 v22, v7
	v_mov_b32_e32 v21, v6
.LBB224_1184:                           ;   in Loop: Header=BB224_924 Depth=1
	s_or_b32 exec_lo, exec_lo, s15
.LBB224_1185:                           ;   in Loop: Header=BB224_924 Depth=1
	s_or_b32 exec_lo, exec_lo, s13
.LBB224_1186:                           ;   in Loop: Header=BB224_924 Depth=1
	s_or_b32 exec_lo, exec_lo, s7
	s_mov_b32 s7, exec_lo
	v_cmpx_lt_u32_e32 0xffffff, v13
	s_cbranch_execz .LBB224_1194
; %bb.1187:                             ;   in Loop: Header=BB224_924 Depth=1
	v_mov_b32_e32 v8, v7
	v_mov_b32_e32 v11, v9
	v_cmp_ne_u32_sdwa s4, v13, v80 src0_sel:BYTE_3 src1_sel:DWORD
	v_mov_b32_e32 v10, v8
	s_and_saveexec_b32 s13, s4
	s_cbranch_execz .LBB224_1193
; %bb.1188:                             ;   in Loop: Header=BB224_924 Depth=1
	v_mov_b32_e32 v11, v7
	v_bfe_u32 v14, v13, 24, 7
	s_mov_b32 s15, exec_lo
	v_mov_b32_e32 v10, v11
	v_mov_b32_e32 v11, v12
	v_cmpx_ne_u32_e32 0x7f, v14
	s_cbranch_execz .LBB224_1192
; %bb.1189:                             ;   in Loop: Header=BB224_924 Depth=1
	v_mov_b32_e32 v6, 7
	v_lshrrev_b32_e32 v8, 3, v14
	s_mov_b32 s18, exec_lo
	v_and_b32_sdwa v6, v13, v6 dst_sel:DWORD dst_unused:UNUSED_PAD src0_sel:BYTE_3 src1_sel:DWORD
	v_cmpx_gt_u32_e32 8, v14
; %bb.1190:                             ;   in Loop: Header=BB224_924 Depth=1
	v_ffbh_u32_e32 v8, v6
	v_min_u32_e32 v8, 32, v8
	v_subrev_nc_u32_e32 v10, 28, v8
	v_sub_nc_u32_e32 v8, 29, v8
	v_lshlrev_b64 v[10:11], v10, v[6:7]
	v_and_b32_e32 v6, 7, v10
; %bb.1191:                             ;   in Loop: Header=BB224_924 Depth=1
	s_or_b32 exec_lo, exec_lo, s18
	v_mov_b32_e32 v10, 24
	v_lshlrev_b32_e32 v6, 20, v6
	v_lshl_add_u32 v8, v8, 23, 0x3c000000
	v_lshlrev_b32_sdwa v10, v10, v13 dst_sel:DWORD dst_unused:UNUSED_PAD src0_sel:DWORD src1_sel:BYTE_3
	v_and_b32_e32 v10, 0x80000000, v10
	v_or3_b32 v11, v6, v10, v8
	v_mov_b32_e32 v10, v7
.LBB224_1192:                           ;   in Loop: Header=BB224_924 Depth=1
	s_or_b32 exec_lo, exec_lo, s15
.LBB224_1193:                           ;   in Loop: Header=BB224_924 Depth=1
	s_or_b32 exec_lo, exec_lo, s13
.LBB224_1194:                           ;   in Loop: Header=BB224_924 Depth=1
	s_or_b32 exec_lo, exec_lo, s7
	v_or_b32_e32 v6, v20, v18
	v_or_b32_e32 v8, v19, v17
	;; [unrolled: 1-line block ×4, first 2 shown]
	v_mul_f32_e32 v6, v87, v6
	buffer_store_dword v6, off, s[0:3], s32 offset:436 ; 4-byte Folded Spill
	v_mul_f32_e32 v6, v71, v8
	buffer_store_dword v6, off, s[0:3], s32 offset:444 ; 4-byte Folded Spill
	;; [unrolled: 2-line block ×4, first 2 shown]
	s_and_saveexec_b32 s7, vcc_lo
	s_cbranch_execz .LBB224_1196
; %bb.1195:                             ;   in Loop: Header=BB224_924 Depth=1
	buffer_load_dword v6, off, s[0:3], s32 offset:444 ; 4-byte Folded Reload
	v_cmp_lt_i32_e64 s4, v117, v124
	s_waitcnt vmcnt(0)
	v_cndmask_b32_e64 v6, 0, v6, s4
	v_cmp_lt_i32_e64 s4, v119, v124
	buffer_store_dword v6, off, s[0:3], s32 offset:444 ; 4-byte Folded Spill
	buffer_load_dword v6, off, s[0:3], s32 offset:436 ; 4-byte Folded Reload
	s_waitcnt vmcnt(0)
	v_cndmask_b32_e64 v6, 0, v6, s4
	v_cmp_lt_i32_e64 s4, v118, v124
	buffer_store_dword v6, off, s[0:3], s32 offset:436 ; 4-byte Folded Spill
	buffer_load_dword v6, off, s[0:3], s32 offset:428 ; 4-byte Folded Reload
	;; [unrolled: 5-line block ×3, first 2 shown]
	s_waitcnt vmcnt(0)
	v_cndmask_b32_e64 v6, 0, v6, s4
	buffer_store_dword v6, off, s[0:3], s32 offset:420 ; 4-byte Folded Spill
.LBB224_1196:                           ;   in Loop: Header=BB224_924 Depth=1
	s_or_b32 exec_lo, exec_lo, s7
	flat_load_dword v13, v[0:1] offset:1024
	v_mov_b32_e32 v19, 0
	v_mov_b32_e32 v17, 0
	;; [unrolled: 1-line block ×4, first 2 shown]
	s_waitcnt vmcnt(0) lgkmcnt(0)
	v_cmp_ne_u16_sdwa s4, v13, v7 src0_sel:BYTE_0 src1_sel:DWORD
	s_and_saveexec_b32 s7, s4
	s_cbranch_execz .LBB224_1204
; %bb.1197:                             ;   in Loop: Header=BB224_924 Depth=1
	v_bfrev_b32_e32 v17, 1
	v_mov_b32_e32 v18, 0
	v_cmp_ne_u16_sdwa s4, v13, v80 src0_sel:BYTE_0 src1_sel:DWORD
	s_and_saveexec_b32 s13, s4
	s_cbranch_execz .LBB224_1203
; %bb.1198:                             ;   in Loop: Header=BB224_924 Depth=1
	v_mov_b32_e32 v17, 0x7f800001
	v_and_b32_e32 v10, 0x7f, v13
	v_mov_b32_e32 v18, 0
	s_mov_b32 s15, exec_lo
	v_cmpx_ne_u32_e32 0x7f, v10
	s_cbranch_execz .LBB224_1202
; %bb.1199:                             ;   in Loop: Header=BB224_924 Depth=1
	v_and_b32_e32 v6, 7, v13
	v_lshrrev_b32_e32 v8, 3, v10
	s_mov_b32 s18, exec_lo
	v_cmpx_gt_u32_e32 8, v10
; %bb.1200:                             ;   in Loop: Header=BB224_924 Depth=1
	v_ffbh_u32_e32 v8, v6
	v_min_u32_e32 v8, 32, v8
	v_subrev_nc_u32_e32 v10, 28, v8
	v_sub_nc_u32_e32 v8, 29, v8
	v_lshlrev_b64 v[10:11], v10, v[6:7]
	v_and_b32_e32 v6, 7, v10
; %bb.1201:                             ;   in Loop: Header=BB224_924 Depth=1
	s_or_b32 exec_lo, exec_lo, s18
	v_lshlrev_b32_e32 v10, 24, v13
	v_lshlrev_b32_e32 v6, 20, v6
	v_lshl_add_u32 v8, v8, 23, 0x3c000000
	v_and_b32_e32 v10, 0x80000000, v10
	v_or3_b32 v6, v6, v10, v8
	v_mov_b32_e32 v18, v7
	v_mov_b32_e32 v17, v6
.LBB224_1202:                           ;   in Loop: Header=BB224_924 Depth=1
	s_or_b32 exec_lo, exec_lo, s15
.LBB224_1203:                           ;   in Loop: Header=BB224_924 Depth=1
	s_or_b32 exec_lo, exec_lo, s13
.LBB224_1204:                           ;   in Loop: Header=BB224_924 Depth=1
	s_or_b32 exec_lo, exec_lo, s7
	v_cmp_ne_u16_sdwa s4, v13, v7 src0_sel:BYTE_1 src1_sel:DWORD
	s_and_saveexec_b32 s7, s4
	s_cbranch_execz .LBB224_1212
; %bb.1205:                             ;   in Loop: Header=BB224_924 Depth=1
	v_mov_b32_e32 v8, v7
	v_mov_b32_e32 v20, v9
	v_cmp_ne_u16_sdwa s4, v13, v80 src0_sel:BYTE_1 src1_sel:DWORD
	v_mov_b32_e32 v19, v8
	s_and_saveexec_b32 s13, s4
	s_cbranch_execz .LBB224_1211
; %bb.1206:                             ;   in Loop: Header=BB224_924 Depth=1
	v_and_b32_sdwa v6, v91, v13 dst_sel:DWORD dst_unused:UNUSED_PAD src0_sel:DWORD src1_sel:BYTE_1
	v_mov_b32_e32 v11, v7
	v_mov_b32_e32 v20, v12
	s_mov_b32 s15, exec_lo
	v_and_b32_e32 v10, 0x7f, v6
	v_mov_b32_e32 v19, v11
	v_cmpx_ne_u32_e32 0x7f, v10
	s_cbranch_execz .LBB224_1210
; %bb.1207:                             ;   in Loop: Header=BB224_924 Depth=1
	v_and_b32_e32 v6, 7, v6
	v_lshrrev_b32_e32 v8, 3, v10
	s_mov_b32 s18, exec_lo
	v_cmpx_gt_u32_e32 8, v10
; %bb.1208:                             ;   in Loop: Header=BB224_924 Depth=1
	v_ffbh_u32_e32 v8, v6
	v_min_u32_e32 v8, 32, v8
	v_subrev_nc_u32_e32 v10, 28, v8
	v_sub_nc_u32_e32 v8, 29, v8
	v_lshlrev_b64 v[10:11], v10, v[6:7]
	v_and_b32_e32 v6, 7, v10
; %bb.1209:                             ;   in Loop: Header=BB224_924 Depth=1
	s_or_b32 exec_lo, exec_lo, s18
	v_lshlrev_b32_e32 v10, 16, v13
	v_lshlrev_b32_e32 v6, 20, v6
	v_lshl_add_u32 v8, v8, 23, 0x3c000000
	v_mov_b32_e32 v19, v7
	v_and_b32_e32 v10, 0x80000000, v10
	v_or3_b32 v20, v6, v10, v8
.LBB224_1210:                           ;   in Loop: Header=BB224_924 Depth=1
	s_or_b32 exec_lo, exec_lo, s15
.LBB224_1211:                           ;   in Loop: Header=BB224_924 Depth=1
	s_or_b32 exec_lo, exec_lo, s13
.LBB224_1212:                           ;   in Loop: Header=BB224_924 Depth=1
	s_or_b32 exec_lo, exec_lo, s7
	v_mov_b32_e32 v10, 0
	v_mov_b32_e32 v21, 0
	v_and_b32_sdwa v6, v13, v82 dst_sel:DWORD dst_unused:UNUSED_PAD src0_sel:WORD_1 src1_sel:DWORD
	v_mov_b32_e32 v11, 0
	v_mov_b32_e32 v22, 0
	s_mov_b32 s7, exec_lo
	v_cmpx_ne_u16_e32 0, v6
	s_cbranch_execz .LBB224_1220
; %bb.1213:                             ;   in Loop: Header=BB224_924 Depth=1
	v_bfrev_b32_e32 v21, 1
	v_mov_b32_e32 v22, 0
	s_mov_b32 s13, exec_lo
	v_cmpx_ne_u16_e32 0x80, v6
	s_cbranch_execz .LBB224_1219
; %bb.1214:                             ;   in Loop: Header=BB224_924 Depth=1
	v_mov_b32_e32 v21, 0x7f800001
	v_bfe_u32 v14, v13, 16, 7
	v_mov_b32_e32 v22, 0
	s_mov_b32 s15, exec_lo
	v_cmpx_ne_u32_e32 0x7f, v14
	s_cbranch_execz .LBB224_1218
; %bb.1215:                             ;   in Loop: Header=BB224_924 Depth=1
	v_mov_b32_e32 v6, 7
	v_lshrrev_b32_e32 v8, 3, v14
	s_mov_b32 s18, exec_lo
	v_and_b32_sdwa v6, v13, v6 dst_sel:DWORD dst_unused:UNUSED_PAD src0_sel:WORD_1 src1_sel:DWORD
	v_cmpx_gt_u32_e32 8, v14
; %bb.1216:                             ;   in Loop: Header=BB224_924 Depth=1
	v_ffbh_u32_e32 v8, v6
	v_min_u32_e32 v8, 32, v8
	v_subrev_nc_u32_e32 v14, 28, v8
	v_sub_nc_u32_e32 v8, 29, v8
	v_lshlrev_b64 v[21:22], v14, v[6:7]
	v_and_b32_e32 v6, 7, v21
; %bb.1217:                             ;   in Loop: Header=BB224_924 Depth=1
	s_or_b32 exec_lo, exec_lo, s18
	v_mov_b32_e32 v14, 24
	v_lshlrev_b32_e32 v6, 20, v6
	v_lshl_add_u32 v8, v8, 23, 0x3c000000
	v_lshlrev_b32_sdwa v14, v14, v13 dst_sel:DWORD dst_unused:UNUSED_PAD src0_sel:DWORD src1_sel:WORD_1
	v_and_b32_e32 v14, 0x80000000, v14
	v_or3_b32 v6, v6, v14, v8
	v_mov_b32_e32 v22, v7
	v_mov_b32_e32 v21, v6
.LBB224_1218:                           ;   in Loop: Header=BB224_924 Depth=1
	s_or_b32 exec_lo, exec_lo, s15
.LBB224_1219:                           ;   in Loop: Header=BB224_924 Depth=1
	s_or_b32 exec_lo, exec_lo, s13
.LBB224_1220:                           ;   in Loop: Header=BB224_924 Depth=1
	s_or_b32 exec_lo, exec_lo, s7
	s_mov_b32 s7, exec_lo
	v_cmpx_lt_u32_e32 0xffffff, v13
	s_cbranch_execz .LBB224_1228
; %bb.1221:                             ;   in Loop: Header=BB224_924 Depth=1
	v_mov_b32_e32 v8, v7
	v_mov_b32_e32 v11, v9
	v_cmp_ne_u32_sdwa s4, v13, v80 src0_sel:BYTE_3 src1_sel:DWORD
	v_mov_b32_e32 v10, v8
	s_and_saveexec_b32 s13, s4
	s_cbranch_execz .LBB224_1227
; %bb.1222:                             ;   in Loop: Header=BB224_924 Depth=1
	v_mov_b32_e32 v11, v7
	v_bfe_u32 v14, v13, 24, 7
	s_mov_b32 s15, exec_lo
	v_mov_b32_e32 v10, v11
	v_mov_b32_e32 v11, v12
	v_cmpx_ne_u32_e32 0x7f, v14
	s_cbranch_execz .LBB224_1226
; %bb.1223:                             ;   in Loop: Header=BB224_924 Depth=1
	v_mov_b32_e32 v6, 7
	v_lshrrev_b32_e32 v8, 3, v14
	s_mov_b32 s18, exec_lo
	v_and_b32_sdwa v6, v13, v6 dst_sel:DWORD dst_unused:UNUSED_PAD src0_sel:BYTE_3 src1_sel:DWORD
	v_cmpx_gt_u32_e32 8, v14
; %bb.1224:                             ;   in Loop: Header=BB224_924 Depth=1
	v_ffbh_u32_e32 v8, v6
	v_min_u32_e32 v8, 32, v8
	v_subrev_nc_u32_e32 v10, 28, v8
	v_sub_nc_u32_e32 v8, 29, v8
	v_lshlrev_b64 v[10:11], v10, v[6:7]
	v_and_b32_e32 v6, 7, v10
; %bb.1225:                             ;   in Loop: Header=BB224_924 Depth=1
	s_or_b32 exec_lo, exec_lo, s18
	v_mov_b32_e32 v10, 24
	v_lshlrev_b32_e32 v6, 20, v6
	v_lshl_add_u32 v8, v8, 23, 0x3c000000
	v_lshlrev_b32_sdwa v10, v10, v13 dst_sel:DWORD dst_unused:UNUSED_PAD src0_sel:DWORD src1_sel:BYTE_3
	v_and_b32_e32 v10, 0x80000000, v10
	v_or3_b32 v11, v6, v10, v8
	v_mov_b32_e32 v10, v7
.LBB224_1226:                           ;   in Loop: Header=BB224_924 Depth=1
	s_or_b32 exec_lo, exec_lo, s15
.LBB224_1227:                           ;   in Loop: Header=BB224_924 Depth=1
	s_or_b32 exec_lo, exec_lo, s13
.LBB224_1228:                           ;   in Loop: Header=BB224_924 Depth=1
	s_or_b32 exec_lo, exec_lo, s7
	v_or_b32_e32 v6, v20, v18
	v_or_b32_e32 v8, v19, v17
	;; [unrolled: 1-line block ×4, first 2 shown]
	v_mul_f32_e32 v6, v87, v6
	buffer_store_dword v6, off, s[0:3], s32 offset:476 ; 4-byte Folded Spill
	v_mul_f32_e32 v6, v71, v8
	buffer_store_dword v6, off, s[0:3], s32 offset:468 ; 4-byte Folded Spill
	;; [unrolled: 2-line block ×4, first 2 shown]
	s_and_saveexec_b32 s7, vcc_lo
	s_cbranch_execz .LBB224_1230
; %bb.1229:                             ;   in Loop: Header=BB224_924 Depth=1
	buffer_load_dword v6, off, s[0:3], s32 offset:468 ; 4-byte Folded Reload
	v_cmp_lt_i32_e64 s4, v117, v124
	s_waitcnt vmcnt(0)
	v_cndmask_b32_e64 v6, 0, v6, s4
	v_cmp_lt_i32_e64 s4, v119, v124
	buffer_store_dword v6, off, s[0:3], s32 offset:468 ; 4-byte Folded Spill
	buffer_load_dword v6, off, s[0:3], s32 offset:476 ; 4-byte Folded Reload
	s_waitcnt vmcnt(0)
	v_cndmask_b32_e64 v6, 0, v6, s4
	v_cmp_lt_i32_e64 s4, v118, v124
	buffer_store_dword v6, off, s[0:3], s32 offset:476 ; 4-byte Folded Spill
	buffer_load_dword v6, off, s[0:3], s32 offset:460 ; 4-byte Folded Reload
	;; [unrolled: 5-line block ×3, first 2 shown]
	s_waitcnt vmcnt(0)
	v_cndmask_b32_e64 v6, 0, v6, s4
	buffer_store_dword v6, off, s[0:3], s32 offset:452 ; 4-byte Folded Spill
.LBB224_1230:                           ;   in Loop: Header=BB224_924 Depth=1
	s_or_b32 exec_lo, exec_lo, s7
	flat_load_dword v13, v[0:1] offset:1152
	v_mov_b32_e32 v19, 0
	v_mov_b32_e32 v17, 0
	;; [unrolled: 1-line block ×4, first 2 shown]
	s_waitcnt vmcnt(0) lgkmcnt(0)
	v_cmp_ne_u16_sdwa s4, v13, v7 src0_sel:BYTE_0 src1_sel:DWORD
	s_and_saveexec_b32 s7, s4
	s_cbranch_execz .LBB224_1238
; %bb.1231:                             ;   in Loop: Header=BB224_924 Depth=1
	v_bfrev_b32_e32 v17, 1
	v_mov_b32_e32 v18, 0
	v_cmp_ne_u16_sdwa s4, v13, v80 src0_sel:BYTE_0 src1_sel:DWORD
	s_and_saveexec_b32 s13, s4
	s_cbranch_execz .LBB224_1237
; %bb.1232:                             ;   in Loop: Header=BB224_924 Depth=1
	v_mov_b32_e32 v17, 0x7f800001
	v_and_b32_e32 v10, 0x7f, v13
	v_mov_b32_e32 v18, 0
	s_mov_b32 s15, exec_lo
	v_cmpx_ne_u32_e32 0x7f, v10
	s_cbranch_execz .LBB224_1236
; %bb.1233:                             ;   in Loop: Header=BB224_924 Depth=1
	v_and_b32_e32 v6, 7, v13
	v_lshrrev_b32_e32 v8, 3, v10
	s_mov_b32 s18, exec_lo
	v_cmpx_gt_u32_e32 8, v10
; %bb.1234:                             ;   in Loop: Header=BB224_924 Depth=1
	v_ffbh_u32_e32 v8, v6
	v_min_u32_e32 v8, 32, v8
	v_subrev_nc_u32_e32 v10, 28, v8
	v_sub_nc_u32_e32 v8, 29, v8
	v_lshlrev_b64 v[10:11], v10, v[6:7]
	v_and_b32_e32 v6, 7, v10
; %bb.1235:                             ;   in Loop: Header=BB224_924 Depth=1
	s_or_b32 exec_lo, exec_lo, s18
	v_lshlrev_b32_e32 v10, 24, v13
	v_lshlrev_b32_e32 v6, 20, v6
	v_lshl_add_u32 v8, v8, 23, 0x3c000000
	v_and_b32_e32 v10, 0x80000000, v10
	v_or3_b32 v6, v6, v10, v8
	v_mov_b32_e32 v18, v7
	v_mov_b32_e32 v17, v6
.LBB224_1236:                           ;   in Loop: Header=BB224_924 Depth=1
	s_or_b32 exec_lo, exec_lo, s15
.LBB224_1237:                           ;   in Loop: Header=BB224_924 Depth=1
	s_or_b32 exec_lo, exec_lo, s13
.LBB224_1238:                           ;   in Loop: Header=BB224_924 Depth=1
	s_or_b32 exec_lo, exec_lo, s7
	v_cmp_ne_u16_sdwa s4, v13, v7 src0_sel:BYTE_1 src1_sel:DWORD
	s_and_saveexec_b32 s7, s4
	s_cbranch_execz .LBB224_1246
; %bb.1239:                             ;   in Loop: Header=BB224_924 Depth=1
	v_mov_b32_e32 v8, v7
	v_mov_b32_e32 v20, v9
	v_cmp_ne_u16_sdwa s4, v13, v80 src0_sel:BYTE_1 src1_sel:DWORD
	v_mov_b32_e32 v19, v8
	s_and_saveexec_b32 s13, s4
	s_cbranch_execz .LBB224_1245
; %bb.1240:                             ;   in Loop: Header=BB224_924 Depth=1
	v_and_b32_sdwa v6, v91, v13 dst_sel:DWORD dst_unused:UNUSED_PAD src0_sel:DWORD src1_sel:BYTE_1
	v_mov_b32_e32 v11, v7
	v_mov_b32_e32 v20, v12
	s_mov_b32 s15, exec_lo
	v_and_b32_e32 v10, 0x7f, v6
	v_mov_b32_e32 v19, v11
	v_cmpx_ne_u32_e32 0x7f, v10
	s_cbranch_execz .LBB224_1244
; %bb.1241:                             ;   in Loop: Header=BB224_924 Depth=1
	v_and_b32_e32 v6, 7, v6
	v_lshrrev_b32_e32 v8, 3, v10
	s_mov_b32 s18, exec_lo
	v_cmpx_gt_u32_e32 8, v10
; %bb.1242:                             ;   in Loop: Header=BB224_924 Depth=1
	v_ffbh_u32_e32 v8, v6
	v_min_u32_e32 v8, 32, v8
	v_subrev_nc_u32_e32 v10, 28, v8
	v_sub_nc_u32_e32 v8, 29, v8
	v_lshlrev_b64 v[10:11], v10, v[6:7]
	v_and_b32_e32 v6, 7, v10
; %bb.1243:                             ;   in Loop: Header=BB224_924 Depth=1
	s_or_b32 exec_lo, exec_lo, s18
	v_lshlrev_b32_e32 v10, 16, v13
	v_lshlrev_b32_e32 v6, 20, v6
	v_lshl_add_u32 v8, v8, 23, 0x3c000000
	v_mov_b32_e32 v19, v7
	v_and_b32_e32 v10, 0x80000000, v10
	v_or3_b32 v20, v6, v10, v8
.LBB224_1244:                           ;   in Loop: Header=BB224_924 Depth=1
	s_or_b32 exec_lo, exec_lo, s15
.LBB224_1245:                           ;   in Loop: Header=BB224_924 Depth=1
	s_or_b32 exec_lo, exec_lo, s13
.LBB224_1246:                           ;   in Loop: Header=BB224_924 Depth=1
	s_or_b32 exec_lo, exec_lo, s7
	v_mov_b32_e32 v10, 0
	v_mov_b32_e32 v21, 0
	v_and_b32_sdwa v6, v13, v82 dst_sel:DWORD dst_unused:UNUSED_PAD src0_sel:WORD_1 src1_sel:DWORD
	v_mov_b32_e32 v11, 0
	v_mov_b32_e32 v22, 0
	s_mov_b32 s7, exec_lo
	v_cmpx_ne_u16_e32 0, v6
	s_cbranch_execz .LBB224_1254
; %bb.1247:                             ;   in Loop: Header=BB224_924 Depth=1
	v_bfrev_b32_e32 v21, 1
	v_mov_b32_e32 v22, 0
	s_mov_b32 s13, exec_lo
	v_cmpx_ne_u16_e32 0x80, v6
	s_cbranch_execz .LBB224_1253
; %bb.1248:                             ;   in Loop: Header=BB224_924 Depth=1
	v_mov_b32_e32 v21, 0x7f800001
	v_bfe_u32 v14, v13, 16, 7
	v_mov_b32_e32 v22, 0
	s_mov_b32 s15, exec_lo
	v_cmpx_ne_u32_e32 0x7f, v14
	s_cbranch_execz .LBB224_1252
; %bb.1249:                             ;   in Loop: Header=BB224_924 Depth=1
	v_mov_b32_e32 v6, 7
	v_lshrrev_b32_e32 v8, 3, v14
	s_mov_b32 s18, exec_lo
	v_and_b32_sdwa v6, v13, v6 dst_sel:DWORD dst_unused:UNUSED_PAD src0_sel:WORD_1 src1_sel:DWORD
	v_cmpx_gt_u32_e32 8, v14
; %bb.1250:                             ;   in Loop: Header=BB224_924 Depth=1
	v_ffbh_u32_e32 v8, v6
	v_min_u32_e32 v8, 32, v8
	v_subrev_nc_u32_e32 v14, 28, v8
	v_sub_nc_u32_e32 v8, 29, v8
	v_lshlrev_b64 v[21:22], v14, v[6:7]
	v_and_b32_e32 v6, 7, v21
; %bb.1251:                             ;   in Loop: Header=BB224_924 Depth=1
	s_or_b32 exec_lo, exec_lo, s18
	v_mov_b32_e32 v14, 24
	v_lshlrev_b32_e32 v6, 20, v6
	v_lshl_add_u32 v8, v8, 23, 0x3c000000
	v_lshlrev_b32_sdwa v14, v14, v13 dst_sel:DWORD dst_unused:UNUSED_PAD src0_sel:DWORD src1_sel:WORD_1
	v_and_b32_e32 v14, 0x80000000, v14
	v_or3_b32 v6, v6, v14, v8
	v_mov_b32_e32 v22, v7
	v_mov_b32_e32 v21, v6
.LBB224_1252:                           ;   in Loop: Header=BB224_924 Depth=1
	s_or_b32 exec_lo, exec_lo, s15
.LBB224_1253:                           ;   in Loop: Header=BB224_924 Depth=1
	s_or_b32 exec_lo, exec_lo, s13
.LBB224_1254:                           ;   in Loop: Header=BB224_924 Depth=1
	s_or_b32 exec_lo, exec_lo, s7
	s_mov_b32 s7, exec_lo
	v_cmpx_lt_u32_e32 0xffffff, v13
	s_cbranch_execz .LBB224_1262
; %bb.1255:                             ;   in Loop: Header=BB224_924 Depth=1
	v_mov_b32_e32 v8, v7
	v_mov_b32_e32 v11, v9
	v_cmp_ne_u32_sdwa s4, v13, v80 src0_sel:BYTE_3 src1_sel:DWORD
	v_mov_b32_e32 v10, v8
	s_and_saveexec_b32 s13, s4
	s_cbranch_execz .LBB224_1261
; %bb.1256:                             ;   in Loop: Header=BB224_924 Depth=1
	v_mov_b32_e32 v11, v7
	v_bfe_u32 v14, v13, 24, 7
	s_mov_b32 s15, exec_lo
	v_mov_b32_e32 v10, v11
	v_mov_b32_e32 v11, v12
	v_cmpx_ne_u32_e32 0x7f, v14
	s_cbranch_execz .LBB224_1260
; %bb.1257:                             ;   in Loop: Header=BB224_924 Depth=1
	v_mov_b32_e32 v6, 7
	v_lshrrev_b32_e32 v8, 3, v14
	s_mov_b32 s18, exec_lo
	v_and_b32_sdwa v6, v13, v6 dst_sel:DWORD dst_unused:UNUSED_PAD src0_sel:BYTE_3 src1_sel:DWORD
	v_cmpx_gt_u32_e32 8, v14
; %bb.1258:                             ;   in Loop: Header=BB224_924 Depth=1
	v_ffbh_u32_e32 v8, v6
	v_min_u32_e32 v8, 32, v8
	v_subrev_nc_u32_e32 v10, 28, v8
	v_sub_nc_u32_e32 v8, 29, v8
	v_lshlrev_b64 v[10:11], v10, v[6:7]
	v_and_b32_e32 v6, 7, v10
; %bb.1259:                             ;   in Loop: Header=BB224_924 Depth=1
	s_or_b32 exec_lo, exec_lo, s18
	v_mov_b32_e32 v10, 24
	v_lshlrev_b32_e32 v6, 20, v6
	v_lshl_add_u32 v8, v8, 23, 0x3c000000
	v_lshlrev_b32_sdwa v10, v10, v13 dst_sel:DWORD dst_unused:UNUSED_PAD src0_sel:DWORD src1_sel:BYTE_3
	v_and_b32_e32 v10, 0x80000000, v10
	v_or3_b32 v11, v6, v10, v8
	v_mov_b32_e32 v10, v7
.LBB224_1260:                           ;   in Loop: Header=BB224_924 Depth=1
	s_or_b32 exec_lo, exec_lo, s15
.LBB224_1261:                           ;   in Loop: Header=BB224_924 Depth=1
	s_or_b32 exec_lo, exec_lo, s13
.LBB224_1262:                           ;   in Loop: Header=BB224_924 Depth=1
	s_or_b32 exec_lo, exec_lo, s7
	v_or_b32_e32 v6, v20, v18
	v_or_b32_e32 v8, v19, v17
	;; [unrolled: 1-line block ×4, first 2 shown]
	v_mul_f32_e32 v6, v87, v6
	buffer_store_dword v6, off, s[0:3], s32 offset:508 ; 4-byte Folded Spill
	v_mul_f32_e32 v6, v71, v8
	buffer_store_dword v6, off, s[0:3], s32 offset:500 ; 4-byte Folded Spill
	;; [unrolled: 2-line block ×4, first 2 shown]
	s_and_saveexec_b32 s7, vcc_lo
	s_cbranch_execz .LBB224_1264
; %bb.1263:                             ;   in Loop: Header=BB224_924 Depth=1
	buffer_load_dword v6, off, s[0:3], s32 offset:500 ; 4-byte Folded Reload
	v_cmp_lt_i32_e64 s4, v117, v124
	s_waitcnt vmcnt(0)
	v_cndmask_b32_e64 v6, 0, v6, s4
	v_cmp_lt_i32_e64 s4, v119, v124
	buffer_store_dword v6, off, s[0:3], s32 offset:500 ; 4-byte Folded Spill
	buffer_load_dword v6, off, s[0:3], s32 offset:508 ; 4-byte Folded Reload
	s_waitcnt vmcnt(0)
	v_cndmask_b32_e64 v6, 0, v6, s4
	v_cmp_lt_i32_e64 s4, v118, v124
	buffer_store_dword v6, off, s[0:3], s32 offset:508 ; 4-byte Folded Spill
	buffer_load_dword v6, off, s[0:3], s32 offset:492 ; 4-byte Folded Reload
	;; [unrolled: 5-line block ×3, first 2 shown]
	s_waitcnt vmcnt(0)
	v_cndmask_b32_e64 v6, 0, v6, s4
	buffer_store_dword v6, off, s[0:3], s32 offset:484 ; 4-byte Folded Spill
.LBB224_1264:                           ;   in Loop: Header=BB224_924 Depth=1
	s_or_b32 exec_lo, exec_lo, s7
	flat_load_dword v13, v[0:1] offset:1280
	v_mov_b32_e32 v19, 0
	v_mov_b32_e32 v17, 0
	;; [unrolled: 1-line block ×4, first 2 shown]
	s_waitcnt vmcnt(0) lgkmcnt(0)
	v_cmp_ne_u16_sdwa s4, v13, v7 src0_sel:BYTE_0 src1_sel:DWORD
	s_and_saveexec_b32 s7, s4
	s_cbranch_execz .LBB224_1272
; %bb.1265:                             ;   in Loop: Header=BB224_924 Depth=1
	v_bfrev_b32_e32 v17, 1
	v_mov_b32_e32 v18, 0
	v_cmp_ne_u16_sdwa s4, v13, v80 src0_sel:BYTE_0 src1_sel:DWORD
	s_and_saveexec_b32 s13, s4
	s_cbranch_execz .LBB224_1271
; %bb.1266:                             ;   in Loop: Header=BB224_924 Depth=1
	v_mov_b32_e32 v17, 0x7f800001
	v_and_b32_e32 v10, 0x7f, v13
	v_mov_b32_e32 v18, 0
	s_mov_b32 s15, exec_lo
	v_cmpx_ne_u32_e32 0x7f, v10
	s_cbranch_execz .LBB224_1270
; %bb.1267:                             ;   in Loop: Header=BB224_924 Depth=1
	v_and_b32_e32 v6, 7, v13
	v_lshrrev_b32_e32 v8, 3, v10
	s_mov_b32 s18, exec_lo
	v_cmpx_gt_u32_e32 8, v10
; %bb.1268:                             ;   in Loop: Header=BB224_924 Depth=1
	v_ffbh_u32_e32 v8, v6
	v_min_u32_e32 v8, 32, v8
	v_subrev_nc_u32_e32 v10, 28, v8
	v_sub_nc_u32_e32 v8, 29, v8
	v_lshlrev_b64 v[10:11], v10, v[6:7]
	v_and_b32_e32 v6, 7, v10
; %bb.1269:                             ;   in Loop: Header=BB224_924 Depth=1
	s_or_b32 exec_lo, exec_lo, s18
	v_lshlrev_b32_e32 v10, 24, v13
	v_lshlrev_b32_e32 v6, 20, v6
	v_lshl_add_u32 v8, v8, 23, 0x3c000000
	v_and_b32_e32 v10, 0x80000000, v10
	v_or3_b32 v6, v6, v10, v8
	v_mov_b32_e32 v18, v7
	v_mov_b32_e32 v17, v6
.LBB224_1270:                           ;   in Loop: Header=BB224_924 Depth=1
	s_or_b32 exec_lo, exec_lo, s15
.LBB224_1271:                           ;   in Loop: Header=BB224_924 Depth=1
	s_or_b32 exec_lo, exec_lo, s13
.LBB224_1272:                           ;   in Loop: Header=BB224_924 Depth=1
	s_or_b32 exec_lo, exec_lo, s7
	v_cmp_ne_u16_sdwa s4, v13, v7 src0_sel:BYTE_1 src1_sel:DWORD
	s_and_saveexec_b32 s7, s4
	s_cbranch_execz .LBB224_1280
; %bb.1273:                             ;   in Loop: Header=BB224_924 Depth=1
	v_mov_b32_e32 v8, v7
	v_mov_b32_e32 v20, v9
	v_cmp_ne_u16_sdwa s4, v13, v80 src0_sel:BYTE_1 src1_sel:DWORD
	v_mov_b32_e32 v19, v8
	s_and_saveexec_b32 s13, s4
	s_cbranch_execz .LBB224_1279
; %bb.1274:                             ;   in Loop: Header=BB224_924 Depth=1
	v_and_b32_sdwa v6, v91, v13 dst_sel:DWORD dst_unused:UNUSED_PAD src0_sel:DWORD src1_sel:BYTE_1
	v_mov_b32_e32 v11, v7
	v_mov_b32_e32 v20, v12
	s_mov_b32 s15, exec_lo
	v_and_b32_e32 v10, 0x7f, v6
	v_mov_b32_e32 v19, v11
	v_cmpx_ne_u32_e32 0x7f, v10
	s_cbranch_execz .LBB224_1278
; %bb.1275:                             ;   in Loop: Header=BB224_924 Depth=1
	v_and_b32_e32 v6, 7, v6
	v_lshrrev_b32_e32 v8, 3, v10
	s_mov_b32 s18, exec_lo
	v_cmpx_gt_u32_e32 8, v10
; %bb.1276:                             ;   in Loop: Header=BB224_924 Depth=1
	v_ffbh_u32_e32 v8, v6
	v_min_u32_e32 v8, 32, v8
	v_subrev_nc_u32_e32 v10, 28, v8
	v_sub_nc_u32_e32 v8, 29, v8
	v_lshlrev_b64 v[10:11], v10, v[6:7]
	v_and_b32_e32 v6, 7, v10
; %bb.1277:                             ;   in Loop: Header=BB224_924 Depth=1
	s_or_b32 exec_lo, exec_lo, s18
	v_lshlrev_b32_e32 v10, 16, v13
	v_lshlrev_b32_e32 v6, 20, v6
	v_lshl_add_u32 v8, v8, 23, 0x3c000000
	v_mov_b32_e32 v19, v7
	v_and_b32_e32 v10, 0x80000000, v10
	v_or3_b32 v20, v6, v10, v8
.LBB224_1278:                           ;   in Loop: Header=BB224_924 Depth=1
	s_or_b32 exec_lo, exec_lo, s15
.LBB224_1279:                           ;   in Loop: Header=BB224_924 Depth=1
	s_or_b32 exec_lo, exec_lo, s13
.LBB224_1280:                           ;   in Loop: Header=BB224_924 Depth=1
	s_or_b32 exec_lo, exec_lo, s7
	v_mov_b32_e32 v10, 0
	v_mov_b32_e32 v21, 0
	v_and_b32_sdwa v6, v13, v82 dst_sel:DWORD dst_unused:UNUSED_PAD src0_sel:WORD_1 src1_sel:DWORD
	v_mov_b32_e32 v11, 0
	v_mov_b32_e32 v22, 0
	s_mov_b32 s7, exec_lo
	v_cmpx_ne_u16_e32 0, v6
	s_cbranch_execz .LBB224_1288
; %bb.1281:                             ;   in Loop: Header=BB224_924 Depth=1
	v_bfrev_b32_e32 v21, 1
	v_mov_b32_e32 v22, 0
	s_mov_b32 s13, exec_lo
	v_cmpx_ne_u16_e32 0x80, v6
	s_cbranch_execz .LBB224_1287
; %bb.1282:                             ;   in Loop: Header=BB224_924 Depth=1
	v_mov_b32_e32 v21, 0x7f800001
	v_bfe_u32 v14, v13, 16, 7
	v_mov_b32_e32 v22, 0
	s_mov_b32 s15, exec_lo
	v_cmpx_ne_u32_e32 0x7f, v14
	s_cbranch_execz .LBB224_1286
; %bb.1283:                             ;   in Loop: Header=BB224_924 Depth=1
	v_mov_b32_e32 v6, 7
	v_lshrrev_b32_e32 v8, 3, v14
	s_mov_b32 s18, exec_lo
	v_and_b32_sdwa v6, v13, v6 dst_sel:DWORD dst_unused:UNUSED_PAD src0_sel:WORD_1 src1_sel:DWORD
	v_cmpx_gt_u32_e32 8, v14
; %bb.1284:                             ;   in Loop: Header=BB224_924 Depth=1
	v_ffbh_u32_e32 v8, v6
	v_min_u32_e32 v8, 32, v8
	v_subrev_nc_u32_e32 v14, 28, v8
	v_sub_nc_u32_e32 v8, 29, v8
	v_lshlrev_b64 v[21:22], v14, v[6:7]
	v_and_b32_e32 v6, 7, v21
; %bb.1285:                             ;   in Loop: Header=BB224_924 Depth=1
	s_or_b32 exec_lo, exec_lo, s18
	v_mov_b32_e32 v14, 24
	v_lshlrev_b32_e32 v6, 20, v6
	v_lshl_add_u32 v8, v8, 23, 0x3c000000
	v_lshlrev_b32_sdwa v14, v14, v13 dst_sel:DWORD dst_unused:UNUSED_PAD src0_sel:DWORD src1_sel:WORD_1
	v_and_b32_e32 v14, 0x80000000, v14
	v_or3_b32 v6, v6, v14, v8
	v_mov_b32_e32 v22, v7
	v_mov_b32_e32 v21, v6
.LBB224_1286:                           ;   in Loop: Header=BB224_924 Depth=1
	s_or_b32 exec_lo, exec_lo, s15
.LBB224_1287:                           ;   in Loop: Header=BB224_924 Depth=1
	s_or_b32 exec_lo, exec_lo, s13
.LBB224_1288:                           ;   in Loop: Header=BB224_924 Depth=1
	s_or_b32 exec_lo, exec_lo, s7
	s_mov_b32 s7, exec_lo
	v_cmpx_lt_u32_e32 0xffffff, v13
	s_cbranch_execz .LBB224_1296
; %bb.1289:                             ;   in Loop: Header=BB224_924 Depth=1
	v_mov_b32_e32 v8, v7
	v_mov_b32_e32 v11, v9
	v_cmp_ne_u32_sdwa s4, v13, v80 src0_sel:BYTE_3 src1_sel:DWORD
	v_mov_b32_e32 v10, v8
	s_and_saveexec_b32 s13, s4
	s_cbranch_execz .LBB224_1295
; %bb.1290:                             ;   in Loop: Header=BB224_924 Depth=1
	v_mov_b32_e32 v11, v7
	v_bfe_u32 v14, v13, 24, 7
	s_mov_b32 s15, exec_lo
	v_mov_b32_e32 v10, v11
	v_mov_b32_e32 v11, v12
	v_cmpx_ne_u32_e32 0x7f, v14
	s_cbranch_execz .LBB224_1294
; %bb.1291:                             ;   in Loop: Header=BB224_924 Depth=1
	v_mov_b32_e32 v6, 7
	v_lshrrev_b32_e32 v8, 3, v14
	s_mov_b32 s18, exec_lo
	v_and_b32_sdwa v6, v13, v6 dst_sel:DWORD dst_unused:UNUSED_PAD src0_sel:BYTE_3 src1_sel:DWORD
	v_cmpx_gt_u32_e32 8, v14
; %bb.1292:                             ;   in Loop: Header=BB224_924 Depth=1
	v_ffbh_u32_e32 v8, v6
	v_min_u32_e32 v8, 32, v8
	v_subrev_nc_u32_e32 v10, 28, v8
	v_sub_nc_u32_e32 v8, 29, v8
	v_lshlrev_b64 v[10:11], v10, v[6:7]
	v_and_b32_e32 v6, 7, v10
; %bb.1293:                             ;   in Loop: Header=BB224_924 Depth=1
	s_or_b32 exec_lo, exec_lo, s18
	v_mov_b32_e32 v10, 24
	v_lshlrev_b32_e32 v6, 20, v6
	v_lshl_add_u32 v8, v8, 23, 0x3c000000
	v_lshlrev_b32_sdwa v10, v10, v13 dst_sel:DWORD dst_unused:UNUSED_PAD src0_sel:DWORD src1_sel:BYTE_3
	v_and_b32_e32 v10, 0x80000000, v10
	v_or3_b32 v11, v6, v10, v8
	v_mov_b32_e32 v10, v7
.LBB224_1294:                           ;   in Loop: Header=BB224_924 Depth=1
	s_or_b32 exec_lo, exec_lo, s15
.LBB224_1295:                           ;   in Loop: Header=BB224_924 Depth=1
	s_or_b32 exec_lo, exec_lo, s13
.LBB224_1296:                           ;   in Loop: Header=BB224_924 Depth=1
	s_or_b32 exec_lo, exec_lo, s7
	v_or_b32_e32 v6, v20, v18
	v_or_b32_e32 v8, v19, v17
	;; [unrolled: 1-line block ×4, first 2 shown]
	v_mul_f32_e32 v94, v87, v6
	v_mul_f32_e32 v95, v71, v8
	;; [unrolled: 1-line block ×4, first 2 shown]
	s_and_saveexec_b32 s7, vcc_lo
	s_cbranch_execz .LBB224_1298
; %bb.1297:                             ;   in Loop: Header=BB224_924 Depth=1
	v_cmp_lt_i32_e64 s4, v117, v124
	v_cndmask_b32_e64 v95, 0, v95, s4
	v_cmp_lt_i32_e64 s4, v119, v124
	v_cndmask_b32_e64 v94, 0, v94, s4
	;; [unrolled: 2-line block ×4, first 2 shown]
.LBB224_1298:                           ;   in Loop: Header=BB224_924 Depth=1
	s_or_b32 exec_lo, exec_lo, s7
	flat_load_dword v13, v[0:1] offset:1408
	v_mov_b32_e32 v19, 0
	v_mov_b32_e32 v17, 0
	;; [unrolled: 1-line block ×4, first 2 shown]
	s_waitcnt vmcnt(0) lgkmcnt(0)
	v_cmp_ne_u16_sdwa s4, v13, v7 src0_sel:BYTE_0 src1_sel:DWORD
	s_and_saveexec_b32 s7, s4
	s_cbranch_execz .LBB224_1306
; %bb.1299:                             ;   in Loop: Header=BB224_924 Depth=1
	v_bfrev_b32_e32 v17, 1
	v_mov_b32_e32 v18, 0
	v_cmp_ne_u16_sdwa s4, v13, v80 src0_sel:BYTE_0 src1_sel:DWORD
	s_and_saveexec_b32 s13, s4
	s_cbranch_execz .LBB224_1305
; %bb.1300:                             ;   in Loop: Header=BB224_924 Depth=1
	v_mov_b32_e32 v17, 0x7f800001
	v_and_b32_e32 v10, 0x7f, v13
	v_mov_b32_e32 v18, 0
	s_mov_b32 s15, exec_lo
	v_cmpx_ne_u32_e32 0x7f, v10
	s_cbranch_execz .LBB224_1304
; %bb.1301:                             ;   in Loop: Header=BB224_924 Depth=1
	v_and_b32_e32 v6, 7, v13
	v_lshrrev_b32_e32 v8, 3, v10
	s_mov_b32 s18, exec_lo
	v_cmpx_gt_u32_e32 8, v10
; %bb.1302:                             ;   in Loop: Header=BB224_924 Depth=1
	v_ffbh_u32_e32 v8, v6
	v_min_u32_e32 v8, 32, v8
	v_subrev_nc_u32_e32 v10, 28, v8
	v_sub_nc_u32_e32 v8, 29, v8
	v_lshlrev_b64 v[10:11], v10, v[6:7]
	v_and_b32_e32 v6, 7, v10
; %bb.1303:                             ;   in Loop: Header=BB224_924 Depth=1
	s_or_b32 exec_lo, exec_lo, s18
	v_lshlrev_b32_e32 v10, 24, v13
	v_lshlrev_b32_e32 v6, 20, v6
	v_lshl_add_u32 v8, v8, 23, 0x3c000000
	v_and_b32_e32 v10, 0x80000000, v10
	v_or3_b32 v6, v6, v10, v8
	v_mov_b32_e32 v18, v7
	v_mov_b32_e32 v17, v6
.LBB224_1304:                           ;   in Loop: Header=BB224_924 Depth=1
	s_or_b32 exec_lo, exec_lo, s15
.LBB224_1305:                           ;   in Loop: Header=BB224_924 Depth=1
	s_or_b32 exec_lo, exec_lo, s13
.LBB224_1306:                           ;   in Loop: Header=BB224_924 Depth=1
	s_or_b32 exec_lo, exec_lo, s7
	v_cmp_ne_u16_sdwa s4, v13, v7 src0_sel:BYTE_1 src1_sel:DWORD
	s_and_saveexec_b32 s7, s4
	s_cbranch_execz .LBB224_1314
; %bb.1307:                             ;   in Loop: Header=BB224_924 Depth=1
	v_mov_b32_e32 v8, v7
	v_mov_b32_e32 v20, v9
	v_cmp_ne_u16_sdwa s4, v13, v80 src0_sel:BYTE_1 src1_sel:DWORD
	v_mov_b32_e32 v19, v8
	s_and_saveexec_b32 s13, s4
	s_cbranch_execz .LBB224_1313
; %bb.1308:                             ;   in Loop: Header=BB224_924 Depth=1
	v_and_b32_sdwa v6, v91, v13 dst_sel:DWORD dst_unused:UNUSED_PAD src0_sel:DWORD src1_sel:BYTE_1
	v_mov_b32_e32 v11, v7
	v_mov_b32_e32 v20, v12
	s_mov_b32 s15, exec_lo
	v_and_b32_e32 v10, 0x7f, v6
	v_mov_b32_e32 v19, v11
	v_cmpx_ne_u32_e32 0x7f, v10
	s_cbranch_execz .LBB224_1312
; %bb.1309:                             ;   in Loop: Header=BB224_924 Depth=1
	v_and_b32_e32 v6, 7, v6
	v_lshrrev_b32_e32 v8, 3, v10
	s_mov_b32 s18, exec_lo
	v_cmpx_gt_u32_e32 8, v10
; %bb.1310:                             ;   in Loop: Header=BB224_924 Depth=1
	v_ffbh_u32_e32 v8, v6
	v_min_u32_e32 v8, 32, v8
	v_subrev_nc_u32_e32 v10, 28, v8
	v_sub_nc_u32_e32 v8, 29, v8
	v_lshlrev_b64 v[10:11], v10, v[6:7]
	v_and_b32_e32 v6, 7, v10
; %bb.1311:                             ;   in Loop: Header=BB224_924 Depth=1
	s_or_b32 exec_lo, exec_lo, s18
	v_lshlrev_b32_e32 v10, 16, v13
	v_lshlrev_b32_e32 v6, 20, v6
	v_lshl_add_u32 v8, v8, 23, 0x3c000000
	v_mov_b32_e32 v19, v7
	v_and_b32_e32 v10, 0x80000000, v10
	v_or3_b32 v20, v6, v10, v8
.LBB224_1312:                           ;   in Loop: Header=BB224_924 Depth=1
	s_or_b32 exec_lo, exec_lo, s15
.LBB224_1313:                           ;   in Loop: Header=BB224_924 Depth=1
	s_or_b32 exec_lo, exec_lo, s13
.LBB224_1314:                           ;   in Loop: Header=BB224_924 Depth=1
	s_or_b32 exec_lo, exec_lo, s7
	v_mov_b32_e32 v10, 0
	v_mov_b32_e32 v21, 0
	v_and_b32_sdwa v6, v13, v82 dst_sel:DWORD dst_unused:UNUSED_PAD src0_sel:WORD_1 src1_sel:DWORD
	v_mov_b32_e32 v11, 0
	v_mov_b32_e32 v22, 0
	s_mov_b32 s7, exec_lo
	v_cmpx_ne_u16_e32 0, v6
	s_cbranch_execz .LBB224_1322
; %bb.1315:                             ;   in Loop: Header=BB224_924 Depth=1
	v_bfrev_b32_e32 v21, 1
	v_mov_b32_e32 v22, 0
	s_mov_b32 s13, exec_lo
	v_cmpx_ne_u16_e32 0x80, v6
	s_cbranch_execz .LBB224_1321
; %bb.1316:                             ;   in Loop: Header=BB224_924 Depth=1
	v_mov_b32_e32 v21, 0x7f800001
	v_bfe_u32 v14, v13, 16, 7
	v_mov_b32_e32 v22, 0
	s_mov_b32 s15, exec_lo
	v_cmpx_ne_u32_e32 0x7f, v14
	s_cbranch_execz .LBB224_1320
; %bb.1317:                             ;   in Loop: Header=BB224_924 Depth=1
	v_mov_b32_e32 v6, 7
	v_lshrrev_b32_e32 v8, 3, v14
	s_mov_b32 s18, exec_lo
	v_and_b32_sdwa v6, v13, v6 dst_sel:DWORD dst_unused:UNUSED_PAD src0_sel:WORD_1 src1_sel:DWORD
	v_cmpx_gt_u32_e32 8, v14
; %bb.1318:                             ;   in Loop: Header=BB224_924 Depth=1
	v_ffbh_u32_e32 v8, v6
	v_min_u32_e32 v8, 32, v8
	v_subrev_nc_u32_e32 v14, 28, v8
	v_sub_nc_u32_e32 v8, 29, v8
	v_lshlrev_b64 v[21:22], v14, v[6:7]
	v_and_b32_e32 v6, 7, v21
; %bb.1319:                             ;   in Loop: Header=BB224_924 Depth=1
	s_or_b32 exec_lo, exec_lo, s18
	v_mov_b32_e32 v14, 24
	v_lshlrev_b32_e32 v6, 20, v6
	v_lshl_add_u32 v8, v8, 23, 0x3c000000
	v_lshlrev_b32_sdwa v14, v14, v13 dst_sel:DWORD dst_unused:UNUSED_PAD src0_sel:DWORD src1_sel:WORD_1
	v_and_b32_e32 v14, 0x80000000, v14
	v_or3_b32 v6, v6, v14, v8
	v_mov_b32_e32 v22, v7
	v_mov_b32_e32 v21, v6
.LBB224_1320:                           ;   in Loop: Header=BB224_924 Depth=1
	s_or_b32 exec_lo, exec_lo, s15
.LBB224_1321:                           ;   in Loop: Header=BB224_924 Depth=1
	s_or_b32 exec_lo, exec_lo, s13
.LBB224_1322:                           ;   in Loop: Header=BB224_924 Depth=1
	s_or_b32 exec_lo, exec_lo, s7
	s_mov_b32 s7, exec_lo
	v_cmpx_lt_u32_e32 0xffffff, v13
	s_cbranch_execz .LBB224_1330
; %bb.1323:                             ;   in Loop: Header=BB224_924 Depth=1
	v_mov_b32_e32 v8, v7
	v_mov_b32_e32 v11, v9
	v_cmp_ne_u32_sdwa s4, v13, v80 src0_sel:BYTE_3 src1_sel:DWORD
	v_mov_b32_e32 v10, v8
	s_and_saveexec_b32 s13, s4
	s_cbranch_execz .LBB224_1329
; %bb.1324:                             ;   in Loop: Header=BB224_924 Depth=1
	v_mov_b32_e32 v11, v7
	v_bfe_u32 v14, v13, 24, 7
	s_mov_b32 s15, exec_lo
	v_mov_b32_e32 v10, v11
	v_mov_b32_e32 v11, v12
	v_cmpx_ne_u32_e32 0x7f, v14
	s_cbranch_execz .LBB224_1328
; %bb.1325:                             ;   in Loop: Header=BB224_924 Depth=1
	v_mov_b32_e32 v6, 7
	v_lshrrev_b32_e32 v8, 3, v14
	s_mov_b32 s18, exec_lo
	v_and_b32_sdwa v6, v13, v6 dst_sel:DWORD dst_unused:UNUSED_PAD src0_sel:BYTE_3 src1_sel:DWORD
	v_cmpx_gt_u32_e32 8, v14
; %bb.1326:                             ;   in Loop: Header=BB224_924 Depth=1
	v_ffbh_u32_e32 v8, v6
	v_min_u32_e32 v8, 32, v8
	v_subrev_nc_u32_e32 v10, 28, v8
	v_sub_nc_u32_e32 v8, 29, v8
	v_lshlrev_b64 v[10:11], v10, v[6:7]
	v_and_b32_e32 v6, 7, v10
; %bb.1327:                             ;   in Loop: Header=BB224_924 Depth=1
	s_or_b32 exec_lo, exec_lo, s18
	v_mov_b32_e32 v10, 24
	v_lshlrev_b32_e32 v6, 20, v6
	v_lshl_add_u32 v8, v8, 23, 0x3c000000
	v_lshlrev_b32_sdwa v10, v10, v13 dst_sel:DWORD dst_unused:UNUSED_PAD src0_sel:DWORD src1_sel:BYTE_3
	v_and_b32_e32 v10, 0x80000000, v10
	v_or3_b32 v11, v6, v10, v8
	v_mov_b32_e32 v10, v7
.LBB224_1328:                           ;   in Loop: Header=BB224_924 Depth=1
	s_or_b32 exec_lo, exec_lo, s15
.LBB224_1329:                           ;   in Loop: Header=BB224_924 Depth=1
	s_or_b32 exec_lo, exec_lo, s13
.LBB224_1330:                           ;   in Loop: Header=BB224_924 Depth=1
	s_or_b32 exec_lo, exec_lo, s7
	v_or_b32_e32 v6, v20, v18
	v_or_b32_e32 v8, v19, v17
	;; [unrolled: 1-line block ×4, first 2 shown]
	v_mul_f32_e32 v106, v87, v6
	v_mul_f32_e32 v107, v71, v8
	;; [unrolled: 1-line block ×4, first 2 shown]
	s_and_saveexec_b32 s7, vcc_lo
	s_cbranch_execz .LBB224_1332
; %bb.1331:                             ;   in Loop: Header=BB224_924 Depth=1
	v_cmp_lt_i32_e64 s4, v117, v124
	v_cndmask_b32_e64 v107, 0, v107, s4
	v_cmp_lt_i32_e64 s4, v119, v124
	v_cndmask_b32_e64 v106, 0, v106, s4
	v_cmp_lt_i32_e64 s4, v118, v124
	v_cndmask_b32_e64 v105, 0, v105, s4
	v_cmp_lt_i32_e64 s4, v85, v124
	v_cndmask_b32_e64 v104, 0, v104, s4
.LBB224_1332:                           ;   in Loop: Header=BB224_924 Depth=1
	s_or_b32 exec_lo, exec_lo, s7
	flat_load_dword v13, v[0:1] offset:1536
	v_mov_b32_e32 v19, 0
	v_mov_b32_e32 v17, 0
	;; [unrolled: 1-line block ×4, first 2 shown]
	s_waitcnt vmcnt(0) lgkmcnt(0)
	v_cmp_ne_u16_sdwa s4, v13, v7 src0_sel:BYTE_0 src1_sel:DWORD
	s_and_saveexec_b32 s7, s4
	s_cbranch_execz .LBB224_1340
; %bb.1333:                             ;   in Loop: Header=BB224_924 Depth=1
	v_bfrev_b32_e32 v17, 1
	v_mov_b32_e32 v18, 0
	v_cmp_ne_u16_sdwa s4, v13, v80 src0_sel:BYTE_0 src1_sel:DWORD
	s_and_saveexec_b32 s13, s4
	s_cbranch_execz .LBB224_1339
; %bb.1334:                             ;   in Loop: Header=BB224_924 Depth=1
	v_mov_b32_e32 v17, 0x7f800001
	v_and_b32_e32 v10, 0x7f, v13
	v_mov_b32_e32 v18, 0
	s_mov_b32 s15, exec_lo
	v_cmpx_ne_u32_e32 0x7f, v10
	s_cbranch_execz .LBB224_1338
; %bb.1335:                             ;   in Loop: Header=BB224_924 Depth=1
	v_and_b32_e32 v6, 7, v13
	v_lshrrev_b32_e32 v8, 3, v10
	s_mov_b32 s18, exec_lo
	v_cmpx_gt_u32_e32 8, v10
; %bb.1336:                             ;   in Loop: Header=BB224_924 Depth=1
	v_ffbh_u32_e32 v8, v6
	v_min_u32_e32 v8, 32, v8
	v_subrev_nc_u32_e32 v10, 28, v8
	v_sub_nc_u32_e32 v8, 29, v8
	v_lshlrev_b64 v[10:11], v10, v[6:7]
	v_and_b32_e32 v6, 7, v10
; %bb.1337:                             ;   in Loop: Header=BB224_924 Depth=1
	s_or_b32 exec_lo, exec_lo, s18
	v_lshlrev_b32_e32 v10, 24, v13
	v_lshlrev_b32_e32 v6, 20, v6
	v_lshl_add_u32 v8, v8, 23, 0x3c000000
	v_and_b32_e32 v10, 0x80000000, v10
	v_or3_b32 v6, v6, v10, v8
	v_mov_b32_e32 v18, v7
	v_mov_b32_e32 v17, v6
.LBB224_1338:                           ;   in Loop: Header=BB224_924 Depth=1
	s_or_b32 exec_lo, exec_lo, s15
.LBB224_1339:                           ;   in Loop: Header=BB224_924 Depth=1
	s_or_b32 exec_lo, exec_lo, s13
.LBB224_1340:                           ;   in Loop: Header=BB224_924 Depth=1
	s_or_b32 exec_lo, exec_lo, s7
	v_cmp_ne_u16_sdwa s4, v13, v7 src0_sel:BYTE_1 src1_sel:DWORD
	s_and_saveexec_b32 s7, s4
	s_cbranch_execz .LBB224_1348
; %bb.1341:                             ;   in Loop: Header=BB224_924 Depth=1
	v_mov_b32_e32 v8, v7
	v_mov_b32_e32 v20, v9
	v_cmp_ne_u16_sdwa s4, v13, v80 src0_sel:BYTE_1 src1_sel:DWORD
	v_mov_b32_e32 v19, v8
	s_and_saveexec_b32 s13, s4
	s_cbranch_execz .LBB224_1347
; %bb.1342:                             ;   in Loop: Header=BB224_924 Depth=1
	v_and_b32_sdwa v6, v91, v13 dst_sel:DWORD dst_unused:UNUSED_PAD src0_sel:DWORD src1_sel:BYTE_1
	v_mov_b32_e32 v11, v7
	v_mov_b32_e32 v20, v12
	s_mov_b32 s15, exec_lo
	v_and_b32_e32 v10, 0x7f, v6
	v_mov_b32_e32 v19, v11
	v_cmpx_ne_u32_e32 0x7f, v10
	s_cbranch_execz .LBB224_1346
; %bb.1343:                             ;   in Loop: Header=BB224_924 Depth=1
	v_and_b32_e32 v6, 7, v6
	v_lshrrev_b32_e32 v8, 3, v10
	s_mov_b32 s18, exec_lo
	v_cmpx_gt_u32_e32 8, v10
; %bb.1344:                             ;   in Loop: Header=BB224_924 Depth=1
	v_ffbh_u32_e32 v8, v6
	v_min_u32_e32 v8, 32, v8
	v_subrev_nc_u32_e32 v10, 28, v8
	v_sub_nc_u32_e32 v8, 29, v8
	v_lshlrev_b64 v[10:11], v10, v[6:7]
	v_and_b32_e32 v6, 7, v10
; %bb.1345:                             ;   in Loop: Header=BB224_924 Depth=1
	s_or_b32 exec_lo, exec_lo, s18
	v_lshlrev_b32_e32 v10, 16, v13
	v_lshlrev_b32_e32 v6, 20, v6
	v_lshl_add_u32 v8, v8, 23, 0x3c000000
	v_mov_b32_e32 v19, v7
	v_and_b32_e32 v10, 0x80000000, v10
	v_or3_b32 v20, v6, v10, v8
.LBB224_1346:                           ;   in Loop: Header=BB224_924 Depth=1
	s_or_b32 exec_lo, exec_lo, s15
.LBB224_1347:                           ;   in Loop: Header=BB224_924 Depth=1
	s_or_b32 exec_lo, exec_lo, s13
.LBB224_1348:                           ;   in Loop: Header=BB224_924 Depth=1
	s_or_b32 exec_lo, exec_lo, s7
	v_mov_b32_e32 v10, 0
	v_mov_b32_e32 v21, 0
	v_and_b32_sdwa v6, v13, v82 dst_sel:DWORD dst_unused:UNUSED_PAD src0_sel:WORD_1 src1_sel:DWORD
	v_mov_b32_e32 v11, 0
	v_mov_b32_e32 v22, 0
	s_mov_b32 s7, exec_lo
	v_cmpx_ne_u16_e32 0, v6
	s_cbranch_execz .LBB224_1356
; %bb.1349:                             ;   in Loop: Header=BB224_924 Depth=1
	v_bfrev_b32_e32 v21, 1
	v_mov_b32_e32 v22, 0
	s_mov_b32 s13, exec_lo
	v_cmpx_ne_u16_e32 0x80, v6
	s_cbranch_execz .LBB224_1355
; %bb.1350:                             ;   in Loop: Header=BB224_924 Depth=1
	v_mov_b32_e32 v21, 0x7f800001
	v_bfe_u32 v14, v13, 16, 7
	v_mov_b32_e32 v22, 0
	s_mov_b32 s15, exec_lo
	v_cmpx_ne_u32_e32 0x7f, v14
	s_cbranch_execz .LBB224_1354
; %bb.1351:                             ;   in Loop: Header=BB224_924 Depth=1
	v_mov_b32_e32 v6, 7
	v_lshrrev_b32_e32 v8, 3, v14
	s_mov_b32 s18, exec_lo
	v_and_b32_sdwa v6, v13, v6 dst_sel:DWORD dst_unused:UNUSED_PAD src0_sel:WORD_1 src1_sel:DWORD
	v_cmpx_gt_u32_e32 8, v14
; %bb.1352:                             ;   in Loop: Header=BB224_924 Depth=1
	v_ffbh_u32_e32 v8, v6
	v_min_u32_e32 v8, 32, v8
	v_subrev_nc_u32_e32 v14, 28, v8
	v_sub_nc_u32_e32 v8, 29, v8
	v_lshlrev_b64 v[21:22], v14, v[6:7]
	v_and_b32_e32 v6, 7, v21
; %bb.1353:                             ;   in Loop: Header=BB224_924 Depth=1
	s_or_b32 exec_lo, exec_lo, s18
	v_mov_b32_e32 v14, 24
	v_lshlrev_b32_e32 v6, 20, v6
	v_lshl_add_u32 v8, v8, 23, 0x3c000000
	v_lshlrev_b32_sdwa v14, v14, v13 dst_sel:DWORD dst_unused:UNUSED_PAD src0_sel:DWORD src1_sel:WORD_1
	v_and_b32_e32 v14, 0x80000000, v14
	v_or3_b32 v6, v6, v14, v8
	v_mov_b32_e32 v22, v7
	v_mov_b32_e32 v21, v6
.LBB224_1354:                           ;   in Loop: Header=BB224_924 Depth=1
	s_or_b32 exec_lo, exec_lo, s15
.LBB224_1355:                           ;   in Loop: Header=BB224_924 Depth=1
	s_or_b32 exec_lo, exec_lo, s13
.LBB224_1356:                           ;   in Loop: Header=BB224_924 Depth=1
	s_or_b32 exec_lo, exec_lo, s7
	s_mov_b32 s7, exec_lo
	v_cmpx_lt_u32_e32 0xffffff, v13
	s_cbranch_execz .LBB224_1364
; %bb.1357:                             ;   in Loop: Header=BB224_924 Depth=1
	v_mov_b32_e32 v8, v7
	v_mov_b32_e32 v11, v9
	v_cmp_ne_u32_sdwa s4, v13, v80 src0_sel:BYTE_3 src1_sel:DWORD
	v_mov_b32_e32 v10, v8
	s_and_saveexec_b32 s13, s4
	s_cbranch_execz .LBB224_1363
; %bb.1358:                             ;   in Loop: Header=BB224_924 Depth=1
	v_mov_b32_e32 v11, v7
	v_bfe_u32 v14, v13, 24, 7
	s_mov_b32 s15, exec_lo
	v_mov_b32_e32 v10, v11
	v_mov_b32_e32 v11, v12
	v_cmpx_ne_u32_e32 0x7f, v14
	s_cbranch_execz .LBB224_1362
; %bb.1359:                             ;   in Loop: Header=BB224_924 Depth=1
	v_mov_b32_e32 v6, 7
	v_lshrrev_b32_e32 v8, 3, v14
	s_mov_b32 s18, exec_lo
	v_and_b32_sdwa v6, v13, v6 dst_sel:DWORD dst_unused:UNUSED_PAD src0_sel:BYTE_3 src1_sel:DWORD
	v_cmpx_gt_u32_e32 8, v14
; %bb.1360:                             ;   in Loop: Header=BB224_924 Depth=1
	v_ffbh_u32_e32 v8, v6
	v_min_u32_e32 v8, 32, v8
	v_subrev_nc_u32_e32 v10, 28, v8
	v_sub_nc_u32_e32 v8, 29, v8
	v_lshlrev_b64 v[10:11], v10, v[6:7]
	v_and_b32_e32 v6, 7, v10
; %bb.1361:                             ;   in Loop: Header=BB224_924 Depth=1
	s_or_b32 exec_lo, exec_lo, s18
	v_mov_b32_e32 v10, 24
	v_lshlrev_b32_e32 v6, 20, v6
	v_lshl_add_u32 v8, v8, 23, 0x3c000000
	v_lshlrev_b32_sdwa v10, v10, v13 dst_sel:DWORD dst_unused:UNUSED_PAD src0_sel:DWORD src1_sel:BYTE_3
	v_and_b32_e32 v10, 0x80000000, v10
	v_or3_b32 v11, v6, v10, v8
	v_mov_b32_e32 v10, v7
.LBB224_1362:                           ;   in Loop: Header=BB224_924 Depth=1
	s_or_b32 exec_lo, exec_lo, s15
.LBB224_1363:                           ;   in Loop: Header=BB224_924 Depth=1
	s_or_b32 exec_lo, exec_lo, s13
.LBB224_1364:                           ;   in Loop: Header=BB224_924 Depth=1
	s_or_b32 exec_lo, exec_lo, s7
	v_or_b32_e32 v6, v20, v18
	v_or_b32_e32 v8, v19, v17
	;; [unrolled: 1-line block ×4, first 2 shown]
	v_mul_f32_e32 v110, v87, v6
	v_mul_f32_e32 v111, v71, v8
	;; [unrolled: 1-line block ×4, first 2 shown]
	s_and_saveexec_b32 s7, vcc_lo
	s_cbranch_execz .LBB224_1366
; %bb.1365:                             ;   in Loop: Header=BB224_924 Depth=1
	v_cmp_lt_i32_e64 s4, v117, v124
	v_cndmask_b32_e64 v111, 0, v111, s4
	v_cmp_lt_i32_e64 s4, v119, v124
	v_cndmask_b32_e64 v110, 0, v110, s4
	;; [unrolled: 2-line block ×4, first 2 shown]
.LBB224_1366:                           ;   in Loop: Header=BB224_924 Depth=1
	s_or_b32 exec_lo, exec_lo, s7
	flat_load_dword v13, v[0:1] offset:1664
	v_mov_b32_e32 v19, 0
	v_mov_b32_e32 v17, 0
	v_mov_b32_e32 v20, 0
	v_mov_b32_e32 v18, 0
	s_waitcnt vmcnt(0) lgkmcnt(0)
	v_cmp_ne_u16_sdwa s4, v13, v7 src0_sel:BYTE_0 src1_sel:DWORD
	s_and_saveexec_b32 s7, s4
	s_cbranch_execz .LBB224_1374
; %bb.1367:                             ;   in Loop: Header=BB224_924 Depth=1
	v_bfrev_b32_e32 v17, 1
	v_mov_b32_e32 v18, 0
	v_cmp_ne_u16_sdwa s4, v13, v80 src0_sel:BYTE_0 src1_sel:DWORD
	s_and_saveexec_b32 s13, s4
	s_cbranch_execz .LBB224_1373
; %bb.1368:                             ;   in Loop: Header=BB224_924 Depth=1
	v_mov_b32_e32 v17, 0x7f800001
	v_and_b32_e32 v10, 0x7f, v13
	v_mov_b32_e32 v18, 0
	s_mov_b32 s15, exec_lo
	v_cmpx_ne_u32_e32 0x7f, v10
	s_cbranch_execz .LBB224_1372
; %bb.1369:                             ;   in Loop: Header=BB224_924 Depth=1
	v_and_b32_e32 v6, 7, v13
	v_lshrrev_b32_e32 v8, 3, v10
	s_mov_b32 s18, exec_lo
	v_cmpx_gt_u32_e32 8, v10
; %bb.1370:                             ;   in Loop: Header=BB224_924 Depth=1
	v_ffbh_u32_e32 v8, v6
	v_min_u32_e32 v8, 32, v8
	v_subrev_nc_u32_e32 v10, 28, v8
	v_sub_nc_u32_e32 v8, 29, v8
	v_lshlrev_b64 v[10:11], v10, v[6:7]
	v_and_b32_e32 v6, 7, v10
; %bb.1371:                             ;   in Loop: Header=BB224_924 Depth=1
	s_or_b32 exec_lo, exec_lo, s18
	v_lshlrev_b32_e32 v10, 24, v13
	v_lshlrev_b32_e32 v6, 20, v6
	v_lshl_add_u32 v8, v8, 23, 0x3c000000
	v_and_b32_e32 v10, 0x80000000, v10
	v_or3_b32 v6, v6, v10, v8
	v_mov_b32_e32 v18, v7
	v_mov_b32_e32 v17, v6
.LBB224_1372:                           ;   in Loop: Header=BB224_924 Depth=1
	s_or_b32 exec_lo, exec_lo, s15
.LBB224_1373:                           ;   in Loop: Header=BB224_924 Depth=1
	s_or_b32 exec_lo, exec_lo, s13
.LBB224_1374:                           ;   in Loop: Header=BB224_924 Depth=1
	s_or_b32 exec_lo, exec_lo, s7
	v_cmp_ne_u16_sdwa s4, v13, v7 src0_sel:BYTE_1 src1_sel:DWORD
	s_and_saveexec_b32 s7, s4
	s_cbranch_execz .LBB224_1382
; %bb.1375:                             ;   in Loop: Header=BB224_924 Depth=1
	v_mov_b32_e32 v8, v7
	v_mov_b32_e32 v20, v9
	v_cmp_ne_u16_sdwa s4, v13, v80 src0_sel:BYTE_1 src1_sel:DWORD
	v_mov_b32_e32 v19, v8
	s_and_saveexec_b32 s13, s4
	s_cbranch_execz .LBB224_1381
; %bb.1376:                             ;   in Loop: Header=BB224_924 Depth=1
	v_and_b32_sdwa v6, v91, v13 dst_sel:DWORD dst_unused:UNUSED_PAD src0_sel:DWORD src1_sel:BYTE_1
	v_mov_b32_e32 v11, v7
	v_mov_b32_e32 v20, v12
	s_mov_b32 s15, exec_lo
	v_and_b32_e32 v10, 0x7f, v6
	v_mov_b32_e32 v19, v11
	v_cmpx_ne_u32_e32 0x7f, v10
	s_cbranch_execz .LBB224_1380
; %bb.1377:                             ;   in Loop: Header=BB224_924 Depth=1
	v_and_b32_e32 v6, 7, v6
	v_lshrrev_b32_e32 v8, 3, v10
	s_mov_b32 s18, exec_lo
	v_cmpx_gt_u32_e32 8, v10
; %bb.1378:                             ;   in Loop: Header=BB224_924 Depth=1
	v_ffbh_u32_e32 v8, v6
	v_min_u32_e32 v8, 32, v8
	v_subrev_nc_u32_e32 v10, 28, v8
	v_sub_nc_u32_e32 v8, 29, v8
	v_lshlrev_b64 v[10:11], v10, v[6:7]
	v_and_b32_e32 v6, 7, v10
; %bb.1379:                             ;   in Loop: Header=BB224_924 Depth=1
	s_or_b32 exec_lo, exec_lo, s18
	v_lshlrev_b32_e32 v10, 16, v13
	v_lshlrev_b32_e32 v6, 20, v6
	v_lshl_add_u32 v8, v8, 23, 0x3c000000
	v_mov_b32_e32 v19, v7
	v_and_b32_e32 v10, 0x80000000, v10
	v_or3_b32 v20, v6, v10, v8
.LBB224_1380:                           ;   in Loop: Header=BB224_924 Depth=1
	s_or_b32 exec_lo, exec_lo, s15
.LBB224_1381:                           ;   in Loop: Header=BB224_924 Depth=1
	s_or_b32 exec_lo, exec_lo, s13
.LBB224_1382:                           ;   in Loop: Header=BB224_924 Depth=1
	s_or_b32 exec_lo, exec_lo, s7
	v_mov_b32_e32 v10, 0
	v_mov_b32_e32 v21, 0
	v_and_b32_sdwa v6, v13, v82 dst_sel:DWORD dst_unused:UNUSED_PAD src0_sel:WORD_1 src1_sel:DWORD
	v_mov_b32_e32 v11, 0
	v_mov_b32_e32 v22, 0
	s_mov_b32 s7, exec_lo
	v_cmpx_ne_u16_e32 0, v6
	s_cbranch_execz .LBB224_1390
; %bb.1383:                             ;   in Loop: Header=BB224_924 Depth=1
	v_bfrev_b32_e32 v21, 1
	v_mov_b32_e32 v22, 0
	s_mov_b32 s13, exec_lo
	v_cmpx_ne_u16_e32 0x80, v6
	s_cbranch_execz .LBB224_1389
; %bb.1384:                             ;   in Loop: Header=BB224_924 Depth=1
	v_mov_b32_e32 v21, 0x7f800001
	v_bfe_u32 v14, v13, 16, 7
	v_mov_b32_e32 v22, 0
	s_mov_b32 s15, exec_lo
	v_cmpx_ne_u32_e32 0x7f, v14
	s_cbranch_execz .LBB224_1388
; %bb.1385:                             ;   in Loop: Header=BB224_924 Depth=1
	v_mov_b32_e32 v6, 7
	v_lshrrev_b32_e32 v8, 3, v14
	s_mov_b32 s18, exec_lo
	v_and_b32_sdwa v6, v13, v6 dst_sel:DWORD dst_unused:UNUSED_PAD src0_sel:WORD_1 src1_sel:DWORD
	v_cmpx_gt_u32_e32 8, v14
; %bb.1386:                             ;   in Loop: Header=BB224_924 Depth=1
	v_ffbh_u32_e32 v8, v6
	v_min_u32_e32 v8, 32, v8
	v_subrev_nc_u32_e32 v14, 28, v8
	v_sub_nc_u32_e32 v8, 29, v8
	v_lshlrev_b64 v[21:22], v14, v[6:7]
	v_and_b32_e32 v6, 7, v21
; %bb.1387:                             ;   in Loop: Header=BB224_924 Depth=1
	s_or_b32 exec_lo, exec_lo, s18
	v_mov_b32_e32 v14, 24
	v_lshlrev_b32_e32 v6, 20, v6
	v_lshl_add_u32 v8, v8, 23, 0x3c000000
	v_lshlrev_b32_sdwa v14, v14, v13 dst_sel:DWORD dst_unused:UNUSED_PAD src0_sel:DWORD src1_sel:WORD_1
	v_and_b32_e32 v14, 0x80000000, v14
	v_or3_b32 v6, v6, v14, v8
	v_mov_b32_e32 v22, v7
	v_mov_b32_e32 v21, v6
.LBB224_1388:                           ;   in Loop: Header=BB224_924 Depth=1
	s_or_b32 exec_lo, exec_lo, s15
.LBB224_1389:                           ;   in Loop: Header=BB224_924 Depth=1
	s_or_b32 exec_lo, exec_lo, s13
.LBB224_1390:                           ;   in Loop: Header=BB224_924 Depth=1
	s_or_b32 exec_lo, exec_lo, s7
	s_mov_b32 s7, exec_lo
	v_cmpx_lt_u32_e32 0xffffff, v13
	s_cbranch_execz .LBB224_1398
; %bb.1391:                             ;   in Loop: Header=BB224_924 Depth=1
	v_mov_b32_e32 v8, v7
	v_mov_b32_e32 v11, v9
	v_cmp_ne_u32_sdwa s4, v13, v80 src0_sel:BYTE_3 src1_sel:DWORD
	v_mov_b32_e32 v10, v8
	s_and_saveexec_b32 s13, s4
	s_cbranch_execz .LBB224_1397
; %bb.1392:                             ;   in Loop: Header=BB224_924 Depth=1
	v_mov_b32_e32 v11, v7
	v_bfe_u32 v14, v13, 24, 7
	s_mov_b32 s15, exec_lo
	v_mov_b32_e32 v10, v11
	v_mov_b32_e32 v11, v12
	v_cmpx_ne_u32_e32 0x7f, v14
	s_cbranch_execz .LBB224_1396
; %bb.1393:                             ;   in Loop: Header=BB224_924 Depth=1
	v_mov_b32_e32 v6, 7
	v_lshrrev_b32_e32 v8, 3, v14
	s_mov_b32 s18, exec_lo
	v_and_b32_sdwa v6, v13, v6 dst_sel:DWORD dst_unused:UNUSED_PAD src0_sel:BYTE_3 src1_sel:DWORD
	v_cmpx_gt_u32_e32 8, v14
; %bb.1394:                             ;   in Loop: Header=BB224_924 Depth=1
	v_ffbh_u32_e32 v8, v6
	v_min_u32_e32 v8, 32, v8
	v_subrev_nc_u32_e32 v10, 28, v8
	v_sub_nc_u32_e32 v8, 29, v8
	v_lshlrev_b64 v[10:11], v10, v[6:7]
	v_and_b32_e32 v6, 7, v10
; %bb.1395:                             ;   in Loop: Header=BB224_924 Depth=1
	s_or_b32 exec_lo, exec_lo, s18
	v_mov_b32_e32 v10, 24
	v_lshlrev_b32_e32 v6, 20, v6
	v_lshl_add_u32 v8, v8, 23, 0x3c000000
	v_lshlrev_b32_sdwa v10, v10, v13 dst_sel:DWORD dst_unused:UNUSED_PAD src0_sel:DWORD src1_sel:BYTE_3
	v_and_b32_e32 v10, 0x80000000, v10
	v_or3_b32 v11, v6, v10, v8
	v_mov_b32_e32 v10, v7
.LBB224_1396:                           ;   in Loop: Header=BB224_924 Depth=1
	s_or_b32 exec_lo, exec_lo, s15
.LBB224_1397:                           ;   in Loop: Header=BB224_924 Depth=1
	s_or_b32 exec_lo, exec_lo, s13
.LBB224_1398:                           ;   in Loop: Header=BB224_924 Depth=1
	s_or_b32 exec_lo, exec_lo, s7
	v_or_b32_e32 v6, v20, v18
	v_or_b32_e32 v8, v19, v17
	v_or_b32_e32 v10, v10, v21
	v_or_b32_e32 v11, v11, v22
	v_mul_f32_e32 v123, v87, v6
	v_mul_f32_e32 v122, v71, v8
	v_mul_f32_e32 v121, v71, v10
	v_mul_f32_e32 v120, v87, v11
	s_and_saveexec_b32 s7, vcc_lo
	s_cbranch_execz .LBB224_1400
; %bb.1399:                             ;   in Loop: Header=BB224_924 Depth=1
	v_cmp_lt_i32_e64 s4, v117, v124
	v_cndmask_b32_e64 v122, 0, v122, s4
	v_cmp_lt_i32_e64 s4, v119, v124
	v_cndmask_b32_e64 v123, 0, v123, s4
	;; [unrolled: 2-line block ×4, first 2 shown]
.LBB224_1400:                           ;   in Loop: Header=BB224_924 Depth=1
	s_or_b32 exec_lo, exec_lo, s7
	flat_load_dword v13, v[0:1] offset:1792
	v_mov_b32_e32 v19, 0
	v_mov_b32_e32 v17, 0
	;; [unrolled: 1-line block ×4, first 2 shown]
	s_waitcnt vmcnt(0) lgkmcnt(0)
	v_cmp_ne_u16_sdwa s4, v13, v7 src0_sel:BYTE_0 src1_sel:DWORD
	s_and_saveexec_b32 s7, s4
	s_cbranch_execz .LBB224_1408
; %bb.1401:                             ;   in Loop: Header=BB224_924 Depth=1
	v_bfrev_b32_e32 v17, 1
	v_mov_b32_e32 v18, 0
	v_cmp_ne_u16_sdwa s4, v13, v80 src0_sel:BYTE_0 src1_sel:DWORD
	s_and_saveexec_b32 s13, s4
	s_cbranch_execz .LBB224_1407
; %bb.1402:                             ;   in Loop: Header=BB224_924 Depth=1
	v_mov_b32_e32 v17, 0x7f800001
	v_and_b32_e32 v10, 0x7f, v13
	v_mov_b32_e32 v18, 0
	s_mov_b32 s15, exec_lo
	v_cmpx_ne_u32_e32 0x7f, v10
	s_cbranch_execz .LBB224_1406
; %bb.1403:                             ;   in Loop: Header=BB224_924 Depth=1
	v_and_b32_e32 v6, 7, v13
	v_lshrrev_b32_e32 v8, 3, v10
	s_mov_b32 s18, exec_lo
	v_cmpx_gt_u32_e32 8, v10
; %bb.1404:                             ;   in Loop: Header=BB224_924 Depth=1
	v_ffbh_u32_e32 v8, v6
	v_min_u32_e32 v8, 32, v8
	v_subrev_nc_u32_e32 v10, 28, v8
	v_sub_nc_u32_e32 v8, 29, v8
	v_lshlrev_b64 v[10:11], v10, v[6:7]
	v_and_b32_e32 v6, 7, v10
; %bb.1405:                             ;   in Loop: Header=BB224_924 Depth=1
	s_or_b32 exec_lo, exec_lo, s18
	v_lshlrev_b32_e32 v10, 24, v13
	v_lshlrev_b32_e32 v6, 20, v6
	v_lshl_add_u32 v8, v8, 23, 0x3c000000
	v_and_b32_e32 v10, 0x80000000, v10
	v_or3_b32 v6, v6, v10, v8
	v_mov_b32_e32 v18, v7
	v_mov_b32_e32 v17, v6
.LBB224_1406:                           ;   in Loop: Header=BB224_924 Depth=1
	s_or_b32 exec_lo, exec_lo, s15
.LBB224_1407:                           ;   in Loop: Header=BB224_924 Depth=1
	s_or_b32 exec_lo, exec_lo, s13
.LBB224_1408:                           ;   in Loop: Header=BB224_924 Depth=1
	s_or_b32 exec_lo, exec_lo, s7
	v_cmp_ne_u16_sdwa s4, v13, v7 src0_sel:BYTE_1 src1_sel:DWORD
	s_and_saveexec_b32 s7, s4
	s_cbranch_execz .LBB224_1416
; %bb.1409:                             ;   in Loop: Header=BB224_924 Depth=1
	v_mov_b32_e32 v8, v7
	v_mov_b32_e32 v20, v9
	v_cmp_ne_u16_sdwa s4, v13, v80 src0_sel:BYTE_1 src1_sel:DWORD
	v_mov_b32_e32 v19, v8
	s_and_saveexec_b32 s13, s4
	s_cbranch_execz .LBB224_1415
; %bb.1410:                             ;   in Loop: Header=BB224_924 Depth=1
	v_and_b32_sdwa v6, v91, v13 dst_sel:DWORD dst_unused:UNUSED_PAD src0_sel:DWORD src1_sel:BYTE_1
	v_mov_b32_e32 v11, v7
	v_mov_b32_e32 v20, v12
	s_mov_b32 s15, exec_lo
	v_and_b32_e32 v10, 0x7f, v6
	v_mov_b32_e32 v19, v11
	v_cmpx_ne_u32_e32 0x7f, v10
	s_cbranch_execz .LBB224_1414
; %bb.1411:                             ;   in Loop: Header=BB224_924 Depth=1
	v_and_b32_e32 v6, 7, v6
	v_lshrrev_b32_e32 v8, 3, v10
	s_mov_b32 s18, exec_lo
	v_cmpx_gt_u32_e32 8, v10
; %bb.1412:                             ;   in Loop: Header=BB224_924 Depth=1
	v_ffbh_u32_e32 v8, v6
	v_min_u32_e32 v8, 32, v8
	v_subrev_nc_u32_e32 v10, 28, v8
	v_sub_nc_u32_e32 v8, 29, v8
	v_lshlrev_b64 v[10:11], v10, v[6:7]
	v_and_b32_e32 v6, 7, v10
; %bb.1413:                             ;   in Loop: Header=BB224_924 Depth=1
	s_or_b32 exec_lo, exec_lo, s18
	v_lshlrev_b32_e32 v10, 16, v13
	v_lshlrev_b32_e32 v6, 20, v6
	v_lshl_add_u32 v8, v8, 23, 0x3c000000
	v_mov_b32_e32 v19, v7
	v_and_b32_e32 v10, 0x80000000, v10
	v_or3_b32 v20, v6, v10, v8
.LBB224_1414:                           ;   in Loop: Header=BB224_924 Depth=1
	s_or_b32 exec_lo, exec_lo, s15
.LBB224_1415:                           ;   in Loop: Header=BB224_924 Depth=1
	s_or_b32 exec_lo, exec_lo, s13
.LBB224_1416:                           ;   in Loop: Header=BB224_924 Depth=1
	s_or_b32 exec_lo, exec_lo, s7
	v_mov_b32_e32 v10, 0
	v_mov_b32_e32 v21, 0
	v_and_b32_sdwa v6, v13, v82 dst_sel:DWORD dst_unused:UNUSED_PAD src0_sel:WORD_1 src1_sel:DWORD
	v_mov_b32_e32 v11, 0
	v_mov_b32_e32 v22, 0
	s_mov_b32 s7, exec_lo
	v_cmpx_ne_u16_e32 0, v6
	s_cbranch_execz .LBB224_1424
; %bb.1417:                             ;   in Loop: Header=BB224_924 Depth=1
	v_bfrev_b32_e32 v21, 1
	v_mov_b32_e32 v22, 0
	s_mov_b32 s13, exec_lo
	v_cmpx_ne_u16_e32 0x80, v6
	s_cbranch_execz .LBB224_1423
; %bb.1418:                             ;   in Loop: Header=BB224_924 Depth=1
	v_mov_b32_e32 v21, 0x7f800001
	v_bfe_u32 v14, v13, 16, 7
	v_mov_b32_e32 v22, 0
	s_mov_b32 s15, exec_lo
	v_cmpx_ne_u32_e32 0x7f, v14
	s_cbranch_execz .LBB224_1422
; %bb.1419:                             ;   in Loop: Header=BB224_924 Depth=1
	v_mov_b32_e32 v6, 7
	v_lshrrev_b32_e32 v8, 3, v14
	s_mov_b32 s18, exec_lo
	v_and_b32_sdwa v6, v13, v6 dst_sel:DWORD dst_unused:UNUSED_PAD src0_sel:WORD_1 src1_sel:DWORD
	v_cmpx_gt_u32_e32 8, v14
; %bb.1420:                             ;   in Loop: Header=BB224_924 Depth=1
	v_ffbh_u32_e32 v8, v6
	v_min_u32_e32 v8, 32, v8
	v_subrev_nc_u32_e32 v14, 28, v8
	v_sub_nc_u32_e32 v8, 29, v8
	v_lshlrev_b64 v[21:22], v14, v[6:7]
	v_and_b32_e32 v6, 7, v21
; %bb.1421:                             ;   in Loop: Header=BB224_924 Depth=1
	s_or_b32 exec_lo, exec_lo, s18
	v_mov_b32_e32 v14, 24
	v_lshlrev_b32_e32 v6, 20, v6
	v_lshl_add_u32 v8, v8, 23, 0x3c000000
	v_lshlrev_b32_sdwa v14, v14, v13 dst_sel:DWORD dst_unused:UNUSED_PAD src0_sel:DWORD src1_sel:WORD_1
	v_and_b32_e32 v14, 0x80000000, v14
	v_or3_b32 v6, v6, v14, v8
	v_mov_b32_e32 v22, v7
	v_mov_b32_e32 v21, v6
.LBB224_1422:                           ;   in Loop: Header=BB224_924 Depth=1
	s_or_b32 exec_lo, exec_lo, s15
.LBB224_1423:                           ;   in Loop: Header=BB224_924 Depth=1
	s_or_b32 exec_lo, exec_lo, s13
.LBB224_1424:                           ;   in Loop: Header=BB224_924 Depth=1
	s_or_b32 exec_lo, exec_lo, s7
	s_mov_b32 s7, exec_lo
	v_cmpx_lt_u32_e32 0xffffff, v13
	s_cbranch_execz .LBB224_1432
; %bb.1425:                             ;   in Loop: Header=BB224_924 Depth=1
	v_mov_b32_e32 v8, v7
	v_mov_b32_e32 v11, v9
	v_cmp_ne_u32_sdwa s4, v13, v80 src0_sel:BYTE_3 src1_sel:DWORD
	v_mov_b32_e32 v10, v8
	s_and_saveexec_b32 s13, s4
	s_cbranch_execz .LBB224_1431
; %bb.1426:                             ;   in Loop: Header=BB224_924 Depth=1
	v_mov_b32_e32 v11, v7
	v_bfe_u32 v14, v13, 24, 7
	s_mov_b32 s15, exec_lo
	v_mov_b32_e32 v10, v11
	v_mov_b32_e32 v11, v12
	v_cmpx_ne_u32_e32 0x7f, v14
	s_cbranch_execz .LBB224_1430
; %bb.1427:                             ;   in Loop: Header=BB224_924 Depth=1
	v_mov_b32_e32 v6, 7
	v_lshrrev_b32_e32 v8, 3, v14
	s_mov_b32 s18, exec_lo
	v_and_b32_sdwa v6, v13, v6 dst_sel:DWORD dst_unused:UNUSED_PAD src0_sel:BYTE_3 src1_sel:DWORD
	v_cmpx_gt_u32_e32 8, v14
; %bb.1428:                             ;   in Loop: Header=BB224_924 Depth=1
	v_ffbh_u32_e32 v8, v6
	v_min_u32_e32 v8, 32, v8
	v_subrev_nc_u32_e32 v10, 28, v8
	v_sub_nc_u32_e32 v8, 29, v8
	v_lshlrev_b64 v[10:11], v10, v[6:7]
	v_and_b32_e32 v6, 7, v10
; %bb.1429:                             ;   in Loop: Header=BB224_924 Depth=1
	s_or_b32 exec_lo, exec_lo, s18
	v_mov_b32_e32 v10, 24
	v_lshlrev_b32_e32 v6, 20, v6
	v_lshl_add_u32 v8, v8, 23, 0x3c000000
	v_lshlrev_b32_sdwa v10, v10, v13 dst_sel:DWORD dst_unused:UNUSED_PAD src0_sel:DWORD src1_sel:BYTE_3
	v_and_b32_e32 v10, 0x80000000, v10
	v_or3_b32 v11, v6, v10, v8
	v_mov_b32_e32 v10, v7
.LBB224_1430:                           ;   in Loop: Header=BB224_924 Depth=1
	s_or_b32 exec_lo, exec_lo, s15
.LBB224_1431:                           ;   in Loop: Header=BB224_924 Depth=1
	s_or_b32 exec_lo, exec_lo, s13
.LBB224_1432:                           ;   in Loop: Header=BB224_924 Depth=1
	s_or_b32 exec_lo, exec_lo, s7
	v_or_b32_e32 v6, v20, v18
	v_or_b32_e32 v8, v19, v17
	;; [unrolled: 1-line block ×4, first 2 shown]
	v_mul_f32_e32 v26, v87, v6
	v_mul_f32_e32 v127, v71, v8
	;; [unrolled: 1-line block ×4, first 2 shown]
	s_and_saveexec_b32 s7, vcc_lo
	s_cbranch_execz .LBB224_1434
; %bb.1433:                             ;   in Loop: Header=BB224_924 Depth=1
	v_cmp_lt_i32_e64 s4, v117, v124
	v_cndmask_b32_e64 v127, 0, v127, s4
	v_cmp_lt_i32_e64 s4, v119, v124
	v_cndmask_b32_e64 v26, 0, v26, s4
	;; [unrolled: 2-line block ×4, first 2 shown]
.LBB224_1434:                           ;   in Loop: Header=BB224_924 Depth=1
	s_or_b32 exec_lo, exec_lo, s7
	flat_load_dword v13, v[0:1] offset:1920
	v_mov_b32_e32 v19, 0
	v_mov_b32_e32 v17, 0
	;; [unrolled: 1-line block ×4, first 2 shown]
	s_waitcnt vmcnt(0) lgkmcnt(0)
	v_cmp_ne_u16_sdwa s4, v13, v7 src0_sel:BYTE_0 src1_sel:DWORD
	s_and_saveexec_b32 s7, s4
	s_cbranch_execz .LBB224_1442
; %bb.1435:                             ;   in Loop: Header=BB224_924 Depth=1
	v_bfrev_b32_e32 v17, 1
	v_mov_b32_e32 v18, 0
	v_cmp_ne_u16_sdwa s4, v13, v80 src0_sel:BYTE_0 src1_sel:DWORD
	s_and_saveexec_b32 s13, s4
	s_cbranch_execz .LBB224_1441
; %bb.1436:                             ;   in Loop: Header=BB224_924 Depth=1
	v_mov_b32_e32 v17, 0x7f800001
	v_and_b32_e32 v10, 0x7f, v13
	v_mov_b32_e32 v18, 0
	s_mov_b32 s15, exec_lo
	v_cmpx_ne_u32_e32 0x7f, v10
	s_cbranch_execz .LBB224_1440
; %bb.1437:                             ;   in Loop: Header=BB224_924 Depth=1
	v_and_b32_e32 v6, 7, v13
	v_lshrrev_b32_e32 v8, 3, v10
	s_mov_b32 s18, exec_lo
	v_cmpx_gt_u32_e32 8, v10
; %bb.1438:                             ;   in Loop: Header=BB224_924 Depth=1
	v_ffbh_u32_e32 v8, v6
	v_min_u32_e32 v8, 32, v8
	v_subrev_nc_u32_e32 v10, 28, v8
	v_sub_nc_u32_e32 v8, 29, v8
	v_lshlrev_b64 v[10:11], v10, v[6:7]
	v_and_b32_e32 v6, 7, v10
; %bb.1439:                             ;   in Loop: Header=BB224_924 Depth=1
	s_or_b32 exec_lo, exec_lo, s18
	v_lshlrev_b32_e32 v10, 24, v13
	v_lshlrev_b32_e32 v6, 20, v6
	v_lshl_add_u32 v8, v8, 23, 0x3c000000
	v_and_b32_e32 v10, 0x80000000, v10
	v_or3_b32 v6, v6, v10, v8
	v_mov_b32_e32 v18, v7
	v_mov_b32_e32 v17, v6
.LBB224_1440:                           ;   in Loop: Header=BB224_924 Depth=1
	s_or_b32 exec_lo, exec_lo, s15
.LBB224_1441:                           ;   in Loop: Header=BB224_924 Depth=1
	s_or_b32 exec_lo, exec_lo, s13
.LBB224_1442:                           ;   in Loop: Header=BB224_924 Depth=1
	s_or_b32 exec_lo, exec_lo, s7
	v_cmp_ne_u16_sdwa s4, v13, v7 src0_sel:BYTE_1 src1_sel:DWORD
	s_and_saveexec_b32 s7, s4
	s_cbranch_execz .LBB224_1450
; %bb.1443:                             ;   in Loop: Header=BB224_924 Depth=1
	v_mov_b32_e32 v8, v7
	v_mov_b32_e32 v20, v9
	v_cmp_ne_u16_sdwa s4, v13, v80 src0_sel:BYTE_1 src1_sel:DWORD
	v_mov_b32_e32 v19, v8
	s_and_saveexec_b32 s13, s4
	s_cbranch_execz .LBB224_1449
; %bb.1444:                             ;   in Loop: Header=BB224_924 Depth=1
	v_and_b32_sdwa v6, v91, v13 dst_sel:DWORD dst_unused:UNUSED_PAD src0_sel:DWORD src1_sel:BYTE_1
	v_mov_b32_e32 v11, v7
	v_mov_b32_e32 v20, v12
	s_mov_b32 s15, exec_lo
	v_and_b32_e32 v10, 0x7f, v6
	v_mov_b32_e32 v19, v11
	v_cmpx_ne_u32_e32 0x7f, v10
	s_cbranch_execz .LBB224_1448
; %bb.1445:                             ;   in Loop: Header=BB224_924 Depth=1
	v_and_b32_e32 v6, 7, v6
	v_lshrrev_b32_e32 v8, 3, v10
	s_mov_b32 s18, exec_lo
	v_cmpx_gt_u32_e32 8, v10
; %bb.1446:                             ;   in Loop: Header=BB224_924 Depth=1
	v_ffbh_u32_e32 v8, v6
	v_min_u32_e32 v8, 32, v8
	v_subrev_nc_u32_e32 v10, 28, v8
	v_sub_nc_u32_e32 v8, 29, v8
	v_lshlrev_b64 v[10:11], v10, v[6:7]
	v_and_b32_e32 v6, 7, v10
; %bb.1447:                             ;   in Loop: Header=BB224_924 Depth=1
	s_or_b32 exec_lo, exec_lo, s18
	v_lshlrev_b32_e32 v10, 16, v13
	v_lshlrev_b32_e32 v6, 20, v6
	v_lshl_add_u32 v8, v8, 23, 0x3c000000
	v_mov_b32_e32 v19, v7
	v_and_b32_e32 v10, 0x80000000, v10
	v_or3_b32 v20, v6, v10, v8
.LBB224_1448:                           ;   in Loop: Header=BB224_924 Depth=1
	s_or_b32 exec_lo, exec_lo, s15
.LBB224_1449:                           ;   in Loop: Header=BB224_924 Depth=1
	s_or_b32 exec_lo, exec_lo, s13
.LBB224_1450:                           ;   in Loop: Header=BB224_924 Depth=1
	s_or_b32 exec_lo, exec_lo, s7
	v_mov_b32_e32 v10, 0
	v_mov_b32_e32 v21, 0
	v_and_b32_sdwa v6, v13, v82 dst_sel:DWORD dst_unused:UNUSED_PAD src0_sel:WORD_1 src1_sel:DWORD
	v_mov_b32_e32 v11, 0
	v_mov_b32_e32 v22, 0
	s_mov_b32 s7, exec_lo
	v_cmpx_ne_u16_e32 0, v6
	s_cbranch_execz .LBB224_1458
; %bb.1451:                             ;   in Loop: Header=BB224_924 Depth=1
	v_bfrev_b32_e32 v21, 1
	v_mov_b32_e32 v22, 0
	s_mov_b32 s13, exec_lo
	v_cmpx_ne_u16_e32 0x80, v6
	s_cbranch_execz .LBB224_1457
; %bb.1452:                             ;   in Loop: Header=BB224_924 Depth=1
	v_mov_b32_e32 v21, 0x7f800001
	v_bfe_u32 v14, v13, 16, 7
	v_mov_b32_e32 v22, 0
	s_mov_b32 s15, exec_lo
	v_cmpx_ne_u32_e32 0x7f, v14
	s_cbranch_execz .LBB224_1456
; %bb.1453:                             ;   in Loop: Header=BB224_924 Depth=1
	v_mov_b32_e32 v6, 7
	v_lshrrev_b32_e32 v8, 3, v14
	s_mov_b32 s18, exec_lo
	v_and_b32_sdwa v6, v13, v6 dst_sel:DWORD dst_unused:UNUSED_PAD src0_sel:WORD_1 src1_sel:DWORD
	v_cmpx_gt_u32_e32 8, v14
; %bb.1454:                             ;   in Loop: Header=BB224_924 Depth=1
	v_ffbh_u32_e32 v8, v6
	v_min_u32_e32 v8, 32, v8
	v_subrev_nc_u32_e32 v14, 28, v8
	v_sub_nc_u32_e32 v8, 29, v8
	v_lshlrev_b64 v[21:22], v14, v[6:7]
	v_and_b32_e32 v6, 7, v21
; %bb.1455:                             ;   in Loop: Header=BB224_924 Depth=1
	s_or_b32 exec_lo, exec_lo, s18
	v_mov_b32_e32 v14, 24
	v_lshlrev_b32_e32 v6, 20, v6
	v_lshl_add_u32 v8, v8, 23, 0x3c000000
	v_lshlrev_b32_sdwa v14, v14, v13 dst_sel:DWORD dst_unused:UNUSED_PAD src0_sel:DWORD src1_sel:WORD_1
	v_and_b32_e32 v14, 0x80000000, v14
	v_or3_b32 v6, v6, v14, v8
	v_mov_b32_e32 v22, v7
	v_mov_b32_e32 v21, v6
.LBB224_1456:                           ;   in Loop: Header=BB224_924 Depth=1
	s_or_b32 exec_lo, exec_lo, s15
.LBB224_1457:                           ;   in Loop: Header=BB224_924 Depth=1
	s_or_b32 exec_lo, exec_lo, s13
.LBB224_1458:                           ;   in Loop: Header=BB224_924 Depth=1
	s_or_b32 exec_lo, exec_lo, s7
	s_mov_b32 s7, exec_lo
	v_cmpx_lt_u32_e32 0xffffff, v13
	s_cbranch_execz .LBB224_1466
; %bb.1459:                             ;   in Loop: Header=BB224_924 Depth=1
	v_mov_b32_e32 v8, v7
	v_mov_b32_e32 v11, v9
	v_cmp_ne_u32_sdwa s4, v13, v80 src0_sel:BYTE_3 src1_sel:DWORD
	v_mov_b32_e32 v10, v8
	s_and_saveexec_b32 s13, s4
	s_cbranch_execz .LBB224_1465
; %bb.1460:                             ;   in Loop: Header=BB224_924 Depth=1
	v_mov_b32_e32 v11, v7
	v_bfe_u32 v14, v13, 24, 7
	s_mov_b32 s15, exec_lo
	v_mov_b32_e32 v10, v11
	v_mov_b32_e32 v11, v12
	v_cmpx_ne_u32_e32 0x7f, v14
	s_cbranch_execz .LBB224_1464
; %bb.1461:                             ;   in Loop: Header=BB224_924 Depth=1
	v_mov_b32_e32 v6, 7
	v_lshrrev_b32_e32 v8, 3, v14
	s_mov_b32 s18, exec_lo
	v_and_b32_sdwa v6, v13, v6 dst_sel:DWORD dst_unused:UNUSED_PAD src0_sel:BYTE_3 src1_sel:DWORD
	v_cmpx_gt_u32_e32 8, v14
; %bb.1462:                             ;   in Loop: Header=BB224_924 Depth=1
	v_ffbh_u32_e32 v8, v6
	v_min_u32_e32 v8, 32, v8
	v_subrev_nc_u32_e32 v10, 28, v8
	v_sub_nc_u32_e32 v8, 29, v8
	v_lshlrev_b64 v[10:11], v10, v[6:7]
	v_and_b32_e32 v6, 7, v10
; %bb.1463:                             ;   in Loop: Header=BB224_924 Depth=1
	s_or_b32 exec_lo, exec_lo, s18
	v_mov_b32_e32 v10, 24
	v_lshlrev_b32_e32 v6, 20, v6
	v_lshl_add_u32 v8, v8, 23, 0x3c000000
	v_lshlrev_b32_sdwa v10, v10, v13 dst_sel:DWORD dst_unused:UNUSED_PAD src0_sel:DWORD src1_sel:BYTE_3
	v_and_b32_e32 v10, 0x80000000, v10
	v_or3_b32 v11, v6, v10, v8
	v_mov_b32_e32 v10, v7
.LBB224_1464:                           ;   in Loop: Header=BB224_924 Depth=1
	s_or_b32 exec_lo, exec_lo, s15
.LBB224_1465:                           ;   in Loop: Header=BB224_924 Depth=1
	s_or_b32 exec_lo, exec_lo, s13
.LBB224_1466:                           ;   in Loop: Header=BB224_924 Depth=1
	s_or_b32 exec_lo, exec_lo, s7
	v_or_b32_e32 v6, v20, v18
	v_or_b32_e32 v8, v19, v17
	;; [unrolled: 1-line block ×4, first 2 shown]
	v_mul_f32_e32 v25, v87, v6
	v_mul_f32_e32 v23, v71, v8
	v_mul_f32_e32 v14, v71, v10
	v_mul_f32_e32 v13, v87, v11
	s_and_saveexec_b32 s7, vcc_lo
	s_cbranch_execz .LBB224_1468
; %bb.1467:                             ;   in Loop: Header=BB224_924 Depth=1
	v_cmp_lt_i32_e64 s4, v117, v124
	v_cndmask_b32_e64 v23, 0, v23, s4
	v_cmp_lt_i32_e64 s4, v119, v124
	v_cndmask_b32_e64 v25, 0, v25, s4
	;; [unrolled: 2-line block ×4, first 2 shown]
.LBB224_1468:                           ;   in Loop: Header=BB224_924 Depth=1
	s_or_b32 exec_lo, exec_lo, s7
	v_add_co_u32 v0, s4, 0x800, v0
	v_add_co_ci_u32_e64 v1, null, 0, v1, s4
	v_mov_b32_e32 v19, 0
	v_mov_b32_e32 v17, 0
	;; [unrolled: 1-line block ×3, first 2 shown]
	flat_load_dword v24, v[0:1]
	v_mov_b32_e32 v18, 0
	s_waitcnt vmcnt(0) lgkmcnt(0)
	v_cmp_ne_u16_sdwa s4, v24, v7 src0_sel:BYTE_0 src1_sel:DWORD
	s_and_saveexec_b32 s7, s4
	s_cbranch_execz .LBB224_1476
; %bb.1469:                             ;   in Loop: Header=BB224_924 Depth=1
	v_bfrev_b32_e32 v17, 1
	v_mov_b32_e32 v18, 0
	v_cmp_ne_u16_sdwa s4, v24, v80 src0_sel:BYTE_0 src1_sel:DWORD
	s_and_saveexec_b32 s13, s4
	s_cbranch_execz .LBB224_1475
; %bb.1470:                             ;   in Loop: Header=BB224_924 Depth=1
	v_mov_b32_e32 v17, 0x7f800001
	v_and_b32_e32 v10, 0x7f, v24
	v_mov_b32_e32 v18, 0
	s_mov_b32 s15, exec_lo
	v_cmpx_ne_u32_e32 0x7f, v10
	s_cbranch_execz .LBB224_1474
; %bb.1471:                             ;   in Loop: Header=BB224_924 Depth=1
	v_and_b32_e32 v6, 7, v24
	v_lshrrev_b32_e32 v8, 3, v10
	s_mov_b32 s18, exec_lo
	v_cmpx_gt_u32_e32 8, v10
; %bb.1472:                             ;   in Loop: Header=BB224_924 Depth=1
	v_ffbh_u32_e32 v8, v6
	v_min_u32_e32 v8, 32, v8
	v_subrev_nc_u32_e32 v10, 28, v8
	v_sub_nc_u32_e32 v8, 29, v8
	v_lshlrev_b64 v[10:11], v10, v[6:7]
	v_and_b32_e32 v6, 7, v10
; %bb.1473:                             ;   in Loop: Header=BB224_924 Depth=1
	s_or_b32 exec_lo, exec_lo, s18
	v_lshlrev_b32_e32 v10, 24, v24
	v_lshlrev_b32_e32 v6, 20, v6
	v_lshl_add_u32 v8, v8, 23, 0x3c000000
	v_and_b32_e32 v10, 0x80000000, v10
	v_or3_b32 v6, v6, v10, v8
	v_mov_b32_e32 v18, v7
	v_mov_b32_e32 v17, v6
.LBB224_1474:                           ;   in Loop: Header=BB224_924 Depth=1
	s_or_b32 exec_lo, exec_lo, s15
.LBB224_1475:                           ;   in Loop: Header=BB224_924 Depth=1
	s_or_b32 exec_lo, exec_lo, s13
.LBB224_1476:                           ;   in Loop: Header=BB224_924 Depth=1
	s_or_b32 exec_lo, exec_lo, s7
	v_cmp_ne_u16_sdwa s4, v24, v7 src0_sel:BYTE_1 src1_sel:DWORD
	s_and_saveexec_b32 s7, s4
	s_cbranch_execz .LBB224_1484
; %bb.1477:                             ;   in Loop: Header=BB224_924 Depth=1
	v_mov_b32_e32 v8, v7
	v_mov_b32_e32 v20, v9
	v_cmp_ne_u16_sdwa s4, v24, v80 src0_sel:BYTE_1 src1_sel:DWORD
	v_mov_b32_e32 v19, v8
	s_and_saveexec_b32 s13, s4
	s_cbranch_execz .LBB224_1483
; %bb.1478:                             ;   in Loop: Header=BB224_924 Depth=1
	v_and_b32_sdwa v6, v91, v24 dst_sel:DWORD dst_unused:UNUSED_PAD src0_sel:DWORD src1_sel:BYTE_1
	v_mov_b32_e32 v11, v7
	v_mov_b32_e32 v20, v12
	s_mov_b32 s15, exec_lo
	v_and_b32_e32 v10, 0x7f, v6
	v_mov_b32_e32 v19, v11
	v_cmpx_ne_u32_e32 0x7f, v10
	s_cbranch_execz .LBB224_1482
; %bb.1479:                             ;   in Loop: Header=BB224_924 Depth=1
	v_and_b32_e32 v6, 7, v6
	v_lshrrev_b32_e32 v8, 3, v10
	s_mov_b32 s18, exec_lo
	v_cmpx_gt_u32_e32 8, v10
; %bb.1480:                             ;   in Loop: Header=BB224_924 Depth=1
	v_ffbh_u32_e32 v8, v6
	v_min_u32_e32 v8, 32, v8
	v_subrev_nc_u32_e32 v10, 28, v8
	v_sub_nc_u32_e32 v8, 29, v8
	v_lshlrev_b64 v[10:11], v10, v[6:7]
	v_and_b32_e32 v6, 7, v10
; %bb.1481:                             ;   in Loop: Header=BB224_924 Depth=1
	s_or_b32 exec_lo, exec_lo, s18
	v_lshlrev_b32_e32 v10, 16, v24
	v_lshlrev_b32_e32 v6, 20, v6
	v_lshl_add_u32 v8, v8, 23, 0x3c000000
	v_mov_b32_e32 v19, v7
	v_and_b32_e32 v10, 0x80000000, v10
	v_or3_b32 v20, v6, v10, v8
.LBB224_1482:                           ;   in Loop: Header=BB224_924 Depth=1
	s_or_b32 exec_lo, exec_lo, s15
.LBB224_1483:                           ;   in Loop: Header=BB224_924 Depth=1
	s_or_b32 exec_lo, exec_lo, s13
.LBB224_1484:                           ;   in Loop: Header=BB224_924 Depth=1
	s_or_b32 exec_lo, exec_lo, s7
	v_mov_b32_e32 v10, 0
	v_mov_b32_e32 v21, 0
	v_and_b32_sdwa v6, v24, v82 dst_sel:DWORD dst_unused:UNUSED_PAD src0_sel:WORD_1 src1_sel:DWORD
	v_mov_b32_e32 v11, 0
	v_mov_b32_e32 v22, 0
	s_mov_b32 s7, exec_lo
	v_cmpx_ne_u16_e32 0, v6
	s_cbranch_execz .LBB224_1492
; %bb.1485:                             ;   in Loop: Header=BB224_924 Depth=1
	v_bfrev_b32_e32 v21, 1
	v_mov_b32_e32 v22, 0
	s_mov_b32 s13, exec_lo
	v_cmpx_ne_u16_e32 0x80, v6
	s_cbranch_execz .LBB224_1491
; %bb.1486:                             ;   in Loop: Header=BB224_924 Depth=1
	v_mov_b32_e32 v21, 0x7f800001
	v_bfe_u32 v81, v24, 16, 7
	v_mov_b32_e32 v22, 0
	s_mov_b32 s15, exec_lo
	v_cmpx_ne_u32_e32 0x7f, v81
	s_cbranch_execz .LBB224_1490
; %bb.1487:                             ;   in Loop: Header=BB224_924 Depth=1
	v_mov_b32_e32 v6, 7
	v_lshrrev_b32_e32 v8, 3, v81
	s_mov_b32 s18, exec_lo
	v_and_b32_sdwa v6, v24, v6 dst_sel:DWORD dst_unused:UNUSED_PAD src0_sel:WORD_1 src1_sel:DWORD
	v_cmpx_gt_u32_e32 8, v81
; %bb.1488:                             ;   in Loop: Header=BB224_924 Depth=1
	v_ffbh_u32_e32 v8, v6
	v_min_u32_e32 v8, 32, v8
	v_subrev_nc_u32_e32 v21, 28, v8
	v_sub_nc_u32_e32 v8, 29, v8
	v_lshlrev_b64 v[21:22], v21, v[6:7]
	v_and_b32_e32 v6, 7, v21
; %bb.1489:                             ;   in Loop: Header=BB224_924 Depth=1
	s_or_b32 exec_lo, exec_lo, s18
	v_mov_b32_e32 v21, 24
	v_lshlrev_b32_e32 v6, 20, v6
	v_lshl_add_u32 v8, v8, 23, 0x3c000000
	v_lshlrev_b32_sdwa v21, v21, v24 dst_sel:DWORD dst_unused:UNUSED_PAD src0_sel:DWORD src1_sel:WORD_1
	v_and_b32_e32 v21, 0x80000000, v21
	v_or3_b32 v6, v6, v21, v8
	v_mov_b32_e32 v22, v7
	v_mov_b32_e32 v21, v6
.LBB224_1490:                           ;   in Loop: Header=BB224_924 Depth=1
	s_or_b32 exec_lo, exec_lo, s15
.LBB224_1491:                           ;   in Loop: Header=BB224_924 Depth=1
	s_or_b32 exec_lo, exec_lo, s13
.LBB224_1492:                           ;   in Loop: Header=BB224_924 Depth=1
	s_or_b32 exec_lo, exec_lo, s7
	s_mov_b32 s7, exec_lo
	v_cmpx_lt_u32_e32 0xffffff, v24
	s_cbranch_execz .LBB224_1500
; %bb.1493:                             ;   in Loop: Header=BB224_924 Depth=1
	v_mov_b32_e32 v8, v7
	v_mov_b32_e32 v11, v9
	v_cmp_ne_u32_sdwa s4, v24, v80 src0_sel:BYTE_3 src1_sel:DWORD
	v_mov_b32_e32 v10, v8
	s_and_saveexec_b32 s13, s4
	s_cbranch_execz .LBB224_1499
; %bb.1494:                             ;   in Loop: Header=BB224_924 Depth=1
	v_mov_b32_e32 v11, v7
	v_bfe_u32 v81, v24, 24, 7
	s_mov_b32 s15, exec_lo
	v_mov_b32_e32 v10, v11
	v_mov_b32_e32 v11, v12
	v_cmpx_ne_u32_e32 0x7f, v81
	s_cbranch_execz .LBB224_1498
; %bb.1495:                             ;   in Loop: Header=BB224_924 Depth=1
	v_mov_b32_e32 v6, 7
	v_lshrrev_b32_e32 v8, 3, v81
	s_mov_b32 s18, exec_lo
	v_and_b32_sdwa v6, v24, v6 dst_sel:DWORD dst_unused:UNUSED_PAD src0_sel:BYTE_3 src1_sel:DWORD
	v_cmpx_gt_u32_e32 8, v81
; %bb.1496:                             ;   in Loop: Header=BB224_924 Depth=1
	v_ffbh_u32_e32 v8, v6
	v_min_u32_e32 v8, 32, v8
	v_subrev_nc_u32_e32 v10, 28, v8
	v_sub_nc_u32_e32 v8, 29, v8
	v_lshlrev_b64 v[10:11], v10, v[6:7]
	v_and_b32_e32 v6, 7, v10
; %bb.1497:                             ;   in Loop: Header=BB224_924 Depth=1
	s_or_b32 exec_lo, exec_lo, s18
	v_mov_b32_e32 v10, 24
	v_lshlrev_b32_e32 v6, 20, v6
	v_lshl_add_u32 v8, v8, 23, 0x3c000000
	v_lshlrev_b32_sdwa v10, v10, v24 dst_sel:DWORD dst_unused:UNUSED_PAD src0_sel:DWORD src1_sel:BYTE_3
	v_and_b32_e32 v10, 0x80000000, v10
	v_or3_b32 v11, v6, v10, v8
	v_mov_b32_e32 v10, v7
.LBB224_1498:                           ;   in Loop: Header=BB224_924 Depth=1
	s_or_b32 exec_lo, exec_lo, s15
.LBB224_1499:                           ;   in Loop: Header=BB224_924 Depth=1
	s_or_b32 exec_lo, exec_lo, s13
.LBB224_1500:                           ;   in Loop: Header=BB224_924 Depth=1
	s_or_b32 exec_lo, exec_lo, s7
	v_or_b32_e32 v6, v20, v18
	v_or_b32_e32 v8, v19, v17
	;; [unrolled: 1-line block ×4, first 2 shown]
	v_mul_f32_e32 v98, v87, v6
	v_mul_f32_e32 v99, v71, v8
	;; [unrolled: 1-line block ×4, first 2 shown]
	s_and_saveexec_b32 s7, vcc_lo
	s_cbranch_execz .LBB224_1502
; %bb.1501:                             ;   in Loop: Header=BB224_924 Depth=1
	v_cmp_lt_i32_e64 s4, v117, v124
	v_cndmask_b32_e64 v99, 0, v99, s4
	v_cmp_lt_i32_e64 s4, v119, v124
	v_cndmask_b32_e64 v98, 0, v98, s4
	;; [unrolled: 2-line block ×4, first 2 shown]
.LBB224_1502:                           ;   in Loop: Header=BB224_924 Depth=1
	s_or_b32 exec_lo, exec_lo, s7
	flat_load_dword v81, v[0:1] offset:128
	v_mov_b32_e32 v19, 0
	v_mov_b32_e32 v17, 0
	;; [unrolled: 1-line block ×4, first 2 shown]
	s_waitcnt vmcnt(0) lgkmcnt(0)
	v_cmp_ne_u16_sdwa s4, v81, v7 src0_sel:BYTE_0 src1_sel:DWORD
	s_and_saveexec_b32 s7, s4
	s_cbranch_execz .LBB224_1510
; %bb.1503:                             ;   in Loop: Header=BB224_924 Depth=1
	v_bfrev_b32_e32 v17, 1
	v_mov_b32_e32 v18, 0
	v_cmp_ne_u16_sdwa s4, v81, v80 src0_sel:BYTE_0 src1_sel:DWORD
	s_and_saveexec_b32 s13, s4
	s_cbranch_execz .LBB224_1509
; %bb.1504:                             ;   in Loop: Header=BB224_924 Depth=1
	v_mov_b32_e32 v17, 0x7f800001
	v_and_b32_e32 v10, 0x7f, v81
	v_mov_b32_e32 v18, 0
	s_mov_b32 s15, exec_lo
	v_cmpx_ne_u32_e32 0x7f, v10
	s_cbranch_execz .LBB224_1508
; %bb.1505:                             ;   in Loop: Header=BB224_924 Depth=1
	v_and_b32_e32 v6, 7, v81
	v_lshrrev_b32_e32 v8, 3, v10
	s_mov_b32 s18, exec_lo
	v_cmpx_gt_u32_e32 8, v10
; %bb.1506:                             ;   in Loop: Header=BB224_924 Depth=1
	v_ffbh_u32_e32 v8, v6
	v_min_u32_e32 v8, 32, v8
	v_subrev_nc_u32_e32 v10, 28, v8
	v_sub_nc_u32_e32 v8, 29, v8
	v_lshlrev_b64 v[10:11], v10, v[6:7]
	v_and_b32_e32 v6, 7, v10
; %bb.1507:                             ;   in Loop: Header=BB224_924 Depth=1
	s_or_b32 exec_lo, exec_lo, s18
	v_lshlrev_b32_e32 v10, 24, v81
	v_lshlrev_b32_e32 v6, 20, v6
	v_lshl_add_u32 v8, v8, 23, 0x3c000000
	v_and_b32_e32 v10, 0x80000000, v10
	v_or3_b32 v6, v6, v10, v8
	v_mov_b32_e32 v18, v7
	v_mov_b32_e32 v17, v6
.LBB224_1508:                           ;   in Loop: Header=BB224_924 Depth=1
	s_or_b32 exec_lo, exec_lo, s15
.LBB224_1509:                           ;   in Loop: Header=BB224_924 Depth=1
	s_or_b32 exec_lo, exec_lo, s13
.LBB224_1510:                           ;   in Loop: Header=BB224_924 Depth=1
	s_or_b32 exec_lo, exec_lo, s7
	v_cmp_ne_u16_sdwa s4, v81, v7 src0_sel:BYTE_1 src1_sel:DWORD
	s_and_saveexec_b32 s7, s4
	s_cbranch_execz .LBB224_1518
; %bb.1511:                             ;   in Loop: Header=BB224_924 Depth=1
	v_mov_b32_e32 v8, v7
	v_mov_b32_e32 v20, v9
	v_cmp_ne_u16_sdwa s4, v81, v80 src0_sel:BYTE_1 src1_sel:DWORD
	v_mov_b32_e32 v19, v8
	s_and_saveexec_b32 s13, s4
	s_cbranch_execz .LBB224_1517
; %bb.1512:                             ;   in Loop: Header=BB224_924 Depth=1
	v_and_b32_sdwa v6, v91, v81 dst_sel:DWORD dst_unused:UNUSED_PAD src0_sel:DWORD src1_sel:BYTE_1
	v_mov_b32_e32 v11, v7
	v_mov_b32_e32 v20, v12
	s_mov_b32 s15, exec_lo
	v_and_b32_e32 v10, 0x7f, v6
	v_mov_b32_e32 v19, v11
	v_cmpx_ne_u32_e32 0x7f, v10
	s_cbranch_execz .LBB224_1516
; %bb.1513:                             ;   in Loop: Header=BB224_924 Depth=1
	v_and_b32_e32 v6, 7, v6
	v_lshrrev_b32_e32 v8, 3, v10
	s_mov_b32 s18, exec_lo
	v_cmpx_gt_u32_e32 8, v10
; %bb.1514:                             ;   in Loop: Header=BB224_924 Depth=1
	v_ffbh_u32_e32 v8, v6
	v_min_u32_e32 v8, 32, v8
	v_subrev_nc_u32_e32 v10, 28, v8
	v_sub_nc_u32_e32 v8, 29, v8
	v_lshlrev_b64 v[10:11], v10, v[6:7]
	v_and_b32_e32 v6, 7, v10
; %bb.1515:                             ;   in Loop: Header=BB224_924 Depth=1
	s_or_b32 exec_lo, exec_lo, s18
	v_lshlrev_b32_e32 v10, 16, v81
	v_lshlrev_b32_e32 v6, 20, v6
	v_lshl_add_u32 v8, v8, 23, 0x3c000000
	v_mov_b32_e32 v19, v7
	v_and_b32_e32 v10, 0x80000000, v10
	v_or3_b32 v20, v6, v10, v8
.LBB224_1516:                           ;   in Loop: Header=BB224_924 Depth=1
	s_or_b32 exec_lo, exec_lo, s15
.LBB224_1517:                           ;   in Loop: Header=BB224_924 Depth=1
	s_or_b32 exec_lo, exec_lo, s13
.LBB224_1518:                           ;   in Loop: Header=BB224_924 Depth=1
	s_or_b32 exec_lo, exec_lo, s7
	v_mov_b32_e32 v10, 0
	v_mov_b32_e32 v21, 0
	v_and_b32_sdwa v6, v81, v82 dst_sel:DWORD dst_unused:UNUSED_PAD src0_sel:WORD_1 src1_sel:DWORD
	v_mov_b32_e32 v11, 0
	v_mov_b32_e32 v22, 0
	s_mov_b32 s7, exec_lo
	v_cmpx_ne_u16_e32 0, v6
	s_cbranch_execz .LBB224_1526
; %bb.1519:                             ;   in Loop: Header=BB224_924 Depth=1
	v_bfrev_b32_e32 v21, 1
	v_mov_b32_e32 v22, 0
	s_mov_b32 s13, exec_lo
	v_cmpx_ne_u16_e32 0x80, v6
	s_cbranch_execz .LBB224_1525
; %bb.1520:                             ;   in Loop: Header=BB224_924 Depth=1
	v_mov_b32_e32 v21, 0x7f800001
	v_bfe_u32 v83, v81, 16, 7
	v_mov_b32_e32 v22, 0
	s_mov_b32 s15, exec_lo
	v_cmpx_ne_u32_e32 0x7f, v83
	s_cbranch_execz .LBB224_1524
; %bb.1521:                             ;   in Loop: Header=BB224_924 Depth=1
	v_mov_b32_e32 v6, 7
	v_lshrrev_b32_e32 v8, 3, v83
	s_mov_b32 s18, exec_lo
	v_and_b32_sdwa v6, v81, v6 dst_sel:DWORD dst_unused:UNUSED_PAD src0_sel:WORD_1 src1_sel:DWORD
	v_cmpx_gt_u32_e32 8, v83
; %bb.1522:                             ;   in Loop: Header=BB224_924 Depth=1
	v_ffbh_u32_e32 v8, v6
	v_min_u32_e32 v8, 32, v8
	v_subrev_nc_u32_e32 v21, 28, v8
	v_sub_nc_u32_e32 v8, 29, v8
	v_lshlrev_b64 v[21:22], v21, v[6:7]
	v_and_b32_e32 v6, 7, v21
; %bb.1523:                             ;   in Loop: Header=BB224_924 Depth=1
	s_or_b32 exec_lo, exec_lo, s18
	v_mov_b32_e32 v21, 24
	v_lshlrev_b32_e32 v6, 20, v6
	v_lshl_add_u32 v8, v8, 23, 0x3c000000
	v_lshlrev_b32_sdwa v21, v21, v81 dst_sel:DWORD dst_unused:UNUSED_PAD src0_sel:DWORD src1_sel:WORD_1
	v_and_b32_e32 v21, 0x80000000, v21
	v_or3_b32 v6, v6, v21, v8
	v_mov_b32_e32 v22, v7
	v_mov_b32_e32 v21, v6
.LBB224_1524:                           ;   in Loop: Header=BB224_924 Depth=1
	s_or_b32 exec_lo, exec_lo, s15
.LBB224_1525:                           ;   in Loop: Header=BB224_924 Depth=1
	s_or_b32 exec_lo, exec_lo, s13
.LBB224_1526:                           ;   in Loop: Header=BB224_924 Depth=1
	s_or_b32 exec_lo, exec_lo, s7
	s_mov_b32 s7, exec_lo
	v_cmpx_lt_u32_e32 0xffffff, v81
	s_cbranch_execz .LBB224_1534
; %bb.1527:                             ;   in Loop: Header=BB224_924 Depth=1
	v_mov_b32_e32 v8, v7
	v_mov_b32_e32 v11, v9
	v_cmp_ne_u32_sdwa s4, v81, v80 src0_sel:BYTE_3 src1_sel:DWORD
	v_mov_b32_e32 v10, v8
	s_and_saveexec_b32 s13, s4
	s_cbranch_execz .LBB224_1533
; %bb.1528:                             ;   in Loop: Header=BB224_924 Depth=1
	v_mov_b32_e32 v11, v7
	v_bfe_u32 v83, v81, 24, 7
	s_mov_b32 s15, exec_lo
	v_mov_b32_e32 v10, v11
	v_mov_b32_e32 v11, v12
	v_cmpx_ne_u32_e32 0x7f, v83
	s_cbranch_execz .LBB224_1532
; %bb.1529:                             ;   in Loop: Header=BB224_924 Depth=1
	v_mov_b32_e32 v6, 7
	v_lshrrev_b32_e32 v8, 3, v83
	s_mov_b32 s18, exec_lo
	v_and_b32_sdwa v6, v81, v6 dst_sel:DWORD dst_unused:UNUSED_PAD src0_sel:BYTE_3 src1_sel:DWORD
	v_cmpx_gt_u32_e32 8, v83
; %bb.1530:                             ;   in Loop: Header=BB224_924 Depth=1
	v_ffbh_u32_e32 v8, v6
	v_min_u32_e32 v8, 32, v8
	v_subrev_nc_u32_e32 v10, 28, v8
	v_sub_nc_u32_e32 v8, 29, v8
	v_lshlrev_b64 v[10:11], v10, v[6:7]
	v_and_b32_e32 v6, 7, v10
; %bb.1531:                             ;   in Loop: Header=BB224_924 Depth=1
	s_or_b32 exec_lo, exec_lo, s18
	v_mov_b32_e32 v10, 24
	v_lshlrev_b32_e32 v6, 20, v6
	v_lshl_add_u32 v8, v8, 23, 0x3c000000
	v_lshlrev_b32_sdwa v10, v10, v81 dst_sel:DWORD dst_unused:UNUSED_PAD src0_sel:DWORD src1_sel:BYTE_3
	v_and_b32_e32 v10, 0x80000000, v10
	v_or3_b32 v11, v6, v10, v8
	v_mov_b32_e32 v10, v7
.LBB224_1532:                           ;   in Loop: Header=BB224_924 Depth=1
	s_or_b32 exec_lo, exec_lo, s15
.LBB224_1533:                           ;   in Loop: Header=BB224_924 Depth=1
	s_or_b32 exec_lo, exec_lo, s13
.LBB224_1534:                           ;   in Loop: Header=BB224_924 Depth=1
	s_or_b32 exec_lo, exec_lo, s7
	v_or_b32_e32 v6, v20, v18
	v_or_b32_e32 v8, v19, v17
	;; [unrolled: 1-line block ×4, first 2 shown]
	v_mul_f32_e32 v102, v87, v6
	v_mul_f32_e32 v103, v71, v8
	;; [unrolled: 1-line block ×4, first 2 shown]
	s_and_saveexec_b32 s7, vcc_lo
	s_cbranch_execz .LBB224_1536
; %bb.1535:                             ;   in Loop: Header=BB224_924 Depth=1
	v_cmp_lt_i32_e64 s4, v117, v124
	v_cndmask_b32_e64 v103, 0, v103, s4
	v_cmp_lt_i32_e64 s4, v119, v124
	v_cndmask_b32_e64 v102, 0, v102, s4
	;; [unrolled: 2-line block ×4, first 2 shown]
.LBB224_1536:                           ;   in Loop: Header=BB224_924 Depth=1
	s_or_b32 exec_lo, exec_lo, s7
	flat_load_dword v81, v[0:1] offset:256
	v_mov_b32_e32 v19, 0
	v_mov_b32_e32 v17, 0
	;; [unrolled: 1-line block ×4, first 2 shown]
	s_waitcnt vmcnt(0) lgkmcnt(0)
	v_cmp_ne_u16_sdwa s4, v81, v7 src0_sel:BYTE_0 src1_sel:DWORD
	s_and_saveexec_b32 s7, s4
	s_cbranch_execz .LBB224_1544
; %bb.1537:                             ;   in Loop: Header=BB224_924 Depth=1
	v_bfrev_b32_e32 v17, 1
	v_mov_b32_e32 v18, 0
	v_cmp_ne_u16_sdwa s4, v81, v80 src0_sel:BYTE_0 src1_sel:DWORD
	s_and_saveexec_b32 s13, s4
	s_cbranch_execz .LBB224_1543
; %bb.1538:                             ;   in Loop: Header=BB224_924 Depth=1
	v_mov_b32_e32 v17, 0x7f800001
	v_and_b32_e32 v10, 0x7f, v81
	v_mov_b32_e32 v18, 0
	s_mov_b32 s15, exec_lo
	v_cmpx_ne_u32_e32 0x7f, v10
	s_cbranch_execz .LBB224_1542
; %bb.1539:                             ;   in Loop: Header=BB224_924 Depth=1
	v_and_b32_e32 v6, 7, v81
	v_lshrrev_b32_e32 v8, 3, v10
	s_mov_b32 s18, exec_lo
	v_cmpx_gt_u32_e32 8, v10
; %bb.1540:                             ;   in Loop: Header=BB224_924 Depth=1
	v_ffbh_u32_e32 v8, v6
	v_min_u32_e32 v8, 32, v8
	v_subrev_nc_u32_e32 v10, 28, v8
	v_sub_nc_u32_e32 v8, 29, v8
	v_lshlrev_b64 v[10:11], v10, v[6:7]
	v_and_b32_e32 v6, 7, v10
; %bb.1541:                             ;   in Loop: Header=BB224_924 Depth=1
	s_or_b32 exec_lo, exec_lo, s18
	v_lshlrev_b32_e32 v10, 24, v81
	v_lshlrev_b32_e32 v6, 20, v6
	v_lshl_add_u32 v8, v8, 23, 0x3c000000
	v_and_b32_e32 v10, 0x80000000, v10
	v_or3_b32 v6, v6, v10, v8
	v_mov_b32_e32 v18, v7
	v_mov_b32_e32 v17, v6
.LBB224_1542:                           ;   in Loop: Header=BB224_924 Depth=1
	s_or_b32 exec_lo, exec_lo, s15
.LBB224_1543:                           ;   in Loop: Header=BB224_924 Depth=1
	s_or_b32 exec_lo, exec_lo, s13
.LBB224_1544:                           ;   in Loop: Header=BB224_924 Depth=1
	s_or_b32 exec_lo, exec_lo, s7
	v_cmp_ne_u16_sdwa s4, v81, v7 src0_sel:BYTE_1 src1_sel:DWORD
	s_and_saveexec_b32 s7, s4
	s_cbranch_execz .LBB224_1552
; %bb.1545:                             ;   in Loop: Header=BB224_924 Depth=1
	v_mov_b32_e32 v8, v7
	v_mov_b32_e32 v20, v9
	v_cmp_ne_u16_sdwa s4, v81, v80 src0_sel:BYTE_1 src1_sel:DWORD
	v_mov_b32_e32 v19, v8
	s_and_saveexec_b32 s13, s4
	s_cbranch_execz .LBB224_1551
; %bb.1546:                             ;   in Loop: Header=BB224_924 Depth=1
	v_and_b32_sdwa v6, v91, v81 dst_sel:DWORD dst_unused:UNUSED_PAD src0_sel:DWORD src1_sel:BYTE_1
	v_mov_b32_e32 v11, v7
	v_mov_b32_e32 v20, v12
	s_mov_b32 s15, exec_lo
	v_and_b32_e32 v10, 0x7f, v6
	v_mov_b32_e32 v19, v11
	v_cmpx_ne_u32_e32 0x7f, v10
	s_cbranch_execz .LBB224_1550
; %bb.1547:                             ;   in Loop: Header=BB224_924 Depth=1
	v_and_b32_e32 v6, 7, v6
	v_lshrrev_b32_e32 v8, 3, v10
	s_mov_b32 s18, exec_lo
	v_cmpx_gt_u32_e32 8, v10
; %bb.1548:                             ;   in Loop: Header=BB224_924 Depth=1
	v_ffbh_u32_e32 v8, v6
	v_min_u32_e32 v8, 32, v8
	v_subrev_nc_u32_e32 v10, 28, v8
	v_sub_nc_u32_e32 v8, 29, v8
	v_lshlrev_b64 v[10:11], v10, v[6:7]
	v_and_b32_e32 v6, 7, v10
; %bb.1549:                             ;   in Loop: Header=BB224_924 Depth=1
	s_or_b32 exec_lo, exec_lo, s18
	v_lshlrev_b32_e32 v10, 16, v81
	v_lshlrev_b32_e32 v6, 20, v6
	v_lshl_add_u32 v8, v8, 23, 0x3c000000
	v_mov_b32_e32 v19, v7
	v_and_b32_e32 v10, 0x80000000, v10
	v_or3_b32 v20, v6, v10, v8
.LBB224_1550:                           ;   in Loop: Header=BB224_924 Depth=1
	s_or_b32 exec_lo, exec_lo, s15
.LBB224_1551:                           ;   in Loop: Header=BB224_924 Depth=1
	s_or_b32 exec_lo, exec_lo, s13
.LBB224_1552:                           ;   in Loop: Header=BB224_924 Depth=1
	s_or_b32 exec_lo, exec_lo, s7
	v_mov_b32_e32 v10, 0
	v_mov_b32_e32 v21, 0
	v_and_b32_sdwa v6, v81, v82 dst_sel:DWORD dst_unused:UNUSED_PAD src0_sel:WORD_1 src1_sel:DWORD
	v_mov_b32_e32 v11, 0
	v_mov_b32_e32 v22, 0
	s_mov_b32 s7, exec_lo
	v_cmpx_ne_u16_e32 0, v6
	s_cbranch_execz .LBB224_1560
; %bb.1553:                             ;   in Loop: Header=BB224_924 Depth=1
	v_bfrev_b32_e32 v21, 1
	v_mov_b32_e32 v22, 0
	s_mov_b32 s13, exec_lo
	v_cmpx_ne_u16_e32 0x80, v6
	s_cbranch_execz .LBB224_1559
; %bb.1554:                             ;   in Loop: Header=BB224_924 Depth=1
	v_mov_b32_e32 v21, 0x7f800001
	v_bfe_u32 v83, v81, 16, 7
	v_mov_b32_e32 v22, 0
	s_mov_b32 s15, exec_lo
	v_cmpx_ne_u32_e32 0x7f, v83
	s_cbranch_execz .LBB224_1558
; %bb.1555:                             ;   in Loop: Header=BB224_924 Depth=1
	v_mov_b32_e32 v6, 7
	v_lshrrev_b32_e32 v8, 3, v83
	s_mov_b32 s18, exec_lo
	v_and_b32_sdwa v6, v81, v6 dst_sel:DWORD dst_unused:UNUSED_PAD src0_sel:WORD_1 src1_sel:DWORD
	v_cmpx_gt_u32_e32 8, v83
; %bb.1556:                             ;   in Loop: Header=BB224_924 Depth=1
	v_ffbh_u32_e32 v8, v6
	v_min_u32_e32 v8, 32, v8
	v_subrev_nc_u32_e32 v21, 28, v8
	v_sub_nc_u32_e32 v8, 29, v8
	v_lshlrev_b64 v[21:22], v21, v[6:7]
	v_and_b32_e32 v6, 7, v21
; %bb.1557:                             ;   in Loop: Header=BB224_924 Depth=1
	s_or_b32 exec_lo, exec_lo, s18
	v_mov_b32_e32 v21, 24
	v_lshlrev_b32_e32 v6, 20, v6
	v_lshl_add_u32 v8, v8, 23, 0x3c000000
	v_lshlrev_b32_sdwa v21, v21, v81 dst_sel:DWORD dst_unused:UNUSED_PAD src0_sel:DWORD src1_sel:WORD_1
	v_and_b32_e32 v21, 0x80000000, v21
	v_or3_b32 v6, v6, v21, v8
	v_mov_b32_e32 v22, v7
	v_mov_b32_e32 v21, v6
.LBB224_1558:                           ;   in Loop: Header=BB224_924 Depth=1
	s_or_b32 exec_lo, exec_lo, s15
.LBB224_1559:                           ;   in Loop: Header=BB224_924 Depth=1
	s_or_b32 exec_lo, exec_lo, s13
.LBB224_1560:                           ;   in Loop: Header=BB224_924 Depth=1
	s_or_b32 exec_lo, exec_lo, s7
	s_mov_b32 s7, exec_lo
	v_cmpx_lt_u32_e32 0xffffff, v81
	s_cbranch_execz .LBB224_1568
; %bb.1561:                             ;   in Loop: Header=BB224_924 Depth=1
	v_mov_b32_e32 v8, v7
	v_mov_b32_e32 v11, v9
	v_cmp_ne_u32_sdwa s4, v81, v80 src0_sel:BYTE_3 src1_sel:DWORD
	v_mov_b32_e32 v10, v8
	s_and_saveexec_b32 s13, s4
	s_cbranch_execz .LBB224_1567
; %bb.1562:                             ;   in Loop: Header=BB224_924 Depth=1
	v_mov_b32_e32 v11, v7
	v_bfe_u32 v83, v81, 24, 7
	s_mov_b32 s15, exec_lo
	v_mov_b32_e32 v10, v11
	v_mov_b32_e32 v11, v12
	v_cmpx_ne_u32_e32 0x7f, v83
	s_cbranch_execz .LBB224_1566
; %bb.1563:                             ;   in Loop: Header=BB224_924 Depth=1
	v_mov_b32_e32 v6, 7
	v_lshrrev_b32_e32 v8, 3, v83
	s_mov_b32 s18, exec_lo
	v_and_b32_sdwa v6, v81, v6 dst_sel:DWORD dst_unused:UNUSED_PAD src0_sel:BYTE_3 src1_sel:DWORD
	v_cmpx_gt_u32_e32 8, v83
; %bb.1564:                             ;   in Loop: Header=BB224_924 Depth=1
	v_ffbh_u32_e32 v8, v6
	v_min_u32_e32 v8, 32, v8
	v_subrev_nc_u32_e32 v10, 28, v8
	v_sub_nc_u32_e32 v8, 29, v8
	v_lshlrev_b64 v[10:11], v10, v[6:7]
	v_and_b32_e32 v6, 7, v10
; %bb.1565:                             ;   in Loop: Header=BB224_924 Depth=1
	s_or_b32 exec_lo, exec_lo, s18
	v_mov_b32_e32 v10, 24
	v_lshlrev_b32_e32 v6, 20, v6
	v_lshl_add_u32 v8, v8, 23, 0x3c000000
	v_lshlrev_b32_sdwa v10, v10, v81 dst_sel:DWORD dst_unused:UNUSED_PAD src0_sel:DWORD src1_sel:BYTE_3
	v_and_b32_e32 v10, 0x80000000, v10
	v_or3_b32 v11, v6, v10, v8
	v_mov_b32_e32 v10, v7
.LBB224_1566:                           ;   in Loop: Header=BB224_924 Depth=1
	s_or_b32 exec_lo, exec_lo, s15
.LBB224_1567:                           ;   in Loop: Header=BB224_924 Depth=1
	s_or_b32 exec_lo, exec_lo, s13
.LBB224_1568:                           ;   in Loop: Header=BB224_924 Depth=1
	s_or_b32 exec_lo, exec_lo, s7
	v_or_b32_e32 v6, v20, v18
	v_or_b32_e32 v8, v19, v17
	;; [unrolled: 1-line block ×4, first 2 shown]
	v_mul_f32_e32 v115, v87, v6
	v_mul_f32_e32 v114, v71, v8
	;; [unrolled: 1-line block ×4, first 2 shown]
	s_and_saveexec_b32 s7, vcc_lo
	s_cbranch_execz .LBB224_1570
; %bb.1569:                             ;   in Loop: Header=BB224_924 Depth=1
	v_cmp_lt_i32_e64 s4, v117, v124
	v_cndmask_b32_e64 v114, 0, v114, s4
	v_cmp_lt_i32_e64 s4, v119, v124
	v_cndmask_b32_e64 v115, 0, v115, s4
	;; [unrolled: 2-line block ×4, first 2 shown]
.LBB224_1570:                           ;   in Loop: Header=BB224_924 Depth=1
	s_or_b32 exec_lo, exec_lo, s7
	flat_load_dword v81, v[0:1] offset:384
	v_mov_b32_e32 v19, 0
	v_mov_b32_e32 v17, 0
	;; [unrolled: 1-line block ×4, first 2 shown]
	s_waitcnt vmcnt(0) lgkmcnt(0)
	v_cmp_ne_u16_sdwa s4, v81, v7 src0_sel:BYTE_0 src1_sel:DWORD
	s_and_saveexec_b32 s7, s4
	s_cbranch_execz .LBB224_1578
; %bb.1571:                             ;   in Loop: Header=BB224_924 Depth=1
	v_bfrev_b32_e32 v17, 1
	v_mov_b32_e32 v18, 0
	v_cmp_ne_u16_sdwa s4, v81, v80 src0_sel:BYTE_0 src1_sel:DWORD
	s_and_saveexec_b32 s13, s4
	s_cbranch_execz .LBB224_1577
; %bb.1572:                             ;   in Loop: Header=BB224_924 Depth=1
	v_mov_b32_e32 v17, 0x7f800001
	v_and_b32_e32 v10, 0x7f, v81
	v_mov_b32_e32 v18, 0
	s_mov_b32 s15, exec_lo
	v_cmpx_ne_u32_e32 0x7f, v10
	s_cbranch_execz .LBB224_1576
; %bb.1573:                             ;   in Loop: Header=BB224_924 Depth=1
	v_and_b32_e32 v6, 7, v81
	v_lshrrev_b32_e32 v8, 3, v10
	s_mov_b32 s18, exec_lo
	v_cmpx_gt_u32_e32 8, v10
; %bb.1574:                             ;   in Loop: Header=BB224_924 Depth=1
	v_ffbh_u32_e32 v8, v6
	v_min_u32_e32 v8, 32, v8
	v_subrev_nc_u32_e32 v10, 28, v8
	v_sub_nc_u32_e32 v8, 29, v8
	v_lshlrev_b64 v[10:11], v10, v[6:7]
	v_and_b32_e32 v6, 7, v10
; %bb.1575:                             ;   in Loop: Header=BB224_924 Depth=1
	s_or_b32 exec_lo, exec_lo, s18
	v_lshlrev_b32_e32 v10, 24, v81
	v_lshlrev_b32_e32 v6, 20, v6
	v_lshl_add_u32 v8, v8, 23, 0x3c000000
	v_and_b32_e32 v10, 0x80000000, v10
	v_or3_b32 v6, v6, v10, v8
	v_mov_b32_e32 v18, v7
	v_mov_b32_e32 v17, v6
.LBB224_1576:                           ;   in Loop: Header=BB224_924 Depth=1
	s_or_b32 exec_lo, exec_lo, s15
.LBB224_1577:                           ;   in Loop: Header=BB224_924 Depth=1
	s_or_b32 exec_lo, exec_lo, s13
.LBB224_1578:                           ;   in Loop: Header=BB224_924 Depth=1
	s_or_b32 exec_lo, exec_lo, s7
	v_cmp_ne_u16_sdwa s4, v81, v7 src0_sel:BYTE_1 src1_sel:DWORD
	s_and_saveexec_b32 s7, s4
	s_cbranch_execz .LBB224_1586
; %bb.1579:                             ;   in Loop: Header=BB224_924 Depth=1
	v_mov_b32_e32 v8, v7
	v_mov_b32_e32 v20, v9
	v_cmp_ne_u16_sdwa s4, v81, v80 src0_sel:BYTE_1 src1_sel:DWORD
	v_mov_b32_e32 v19, v8
	s_and_saveexec_b32 s13, s4
	s_cbranch_execz .LBB224_1585
; %bb.1580:                             ;   in Loop: Header=BB224_924 Depth=1
	v_and_b32_sdwa v6, v91, v81 dst_sel:DWORD dst_unused:UNUSED_PAD src0_sel:DWORD src1_sel:BYTE_1
	v_mov_b32_e32 v11, v7
	v_mov_b32_e32 v20, v12
	s_mov_b32 s15, exec_lo
	v_and_b32_e32 v10, 0x7f, v6
	v_mov_b32_e32 v19, v11
	v_cmpx_ne_u32_e32 0x7f, v10
	s_cbranch_execz .LBB224_1584
; %bb.1581:                             ;   in Loop: Header=BB224_924 Depth=1
	v_and_b32_e32 v6, 7, v6
	v_lshrrev_b32_e32 v8, 3, v10
	s_mov_b32 s18, exec_lo
	v_cmpx_gt_u32_e32 8, v10
; %bb.1582:                             ;   in Loop: Header=BB224_924 Depth=1
	v_ffbh_u32_e32 v8, v6
	v_min_u32_e32 v8, 32, v8
	v_subrev_nc_u32_e32 v10, 28, v8
	v_sub_nc_u32_e32 v8, 29, v8
	v_lshlrev_b64 v[10:11], v10, v[6:7]
	v_and_b32_e32 v6, 7, v10
; %bb.1583:                             ;   in Loop: Header=BB224_924 Depth=1
	s_or_b32 exec_lo, exec_lo, s18
	v_lshlrev_b32_e32 v10, 16, v81
	v_lshlrev_b32_e32 v6, 20, v6
	v_lshl_add_u32 v8, v8, 23, 0x3c000000
	v_mov_b32_e32 v19, v7
	v_and_b32_e32 v10, 0x80000000, v10
	v_or3_b32 v20, v6, v10, v8
.LBB224_1584:                           ;   in Loop: Header=BB224_924 Depth=1
	s_or_b32 exec_lo, exec_lo, s15
.LBB224_1585:                           ;   in Loop: Header=BB224_924 Depth=1
	s_or_b32 exec_lo, exec_lo, s13
.LBB224_1586:                           ;   in Loop: Header=BB224_924 Depth=1
	s_or_b32 exec_lo, exec_lo, s7
	v_mov_b32_e32 v10, 0
	v_mov_b32_e32 v21, 0
	v_and_b32_sdwa v6, v81, v82 dst_sel:DWORD dst_unused:UNUSED_PAD src0_sel:WORD_1 src1_sel:DWORD
	v_mov_b32_e32 v11, 0
	v_mov_b32_e32 v22, 0
	s_mov_b32 s7, exec_lo
	v_cmpx_ne_u16_e32 0, v6
	s_cbranch_execz .LBB224_1594
; %bb.1587:                             ;   in Loop: Header=BB224_924 Depth=1
	v_bfrev_b32_e32 v21, 1
	v_mov_b32_e32 v22, 0
	s_mov_b32 s13, exec_lo
	v_cmpx_ne_u16_e32 0x80, v6
	s_cbranch_execz .LBB224_1593
; %bb.1588:                             ;   in Loop: Header=BB224_924 Depth=1
	v_mov_b32_e32 v21, 0x7f800001
	v_bfe_u32 v83, v81, 16, 7
	v_mov_b32_e32 v22, 0
	s_mov_b32 s15, exec_lo
	v_cmpx_ne_u32_e32 0x7f, v83
	s_cbranch_execz .LBB224_1592
; %bb.1589:                             ;   in Loop: Header=BB224_924 Depth=1
	v_mov_b32_e32 v6, 7
	v_lshrrev_b32_e32 v8, 3, v83
	s_mov_b32 s18, exec_lo
	v_and_b32_sdwa v6, v81, v6 dst_sel:DWORD dst_unused:UNUSED_PAD src0_sel:WORD_1 src1_sel:DWORD
	v_cmpx_gt_u32_e32 8, v83
; %bb.1590:                             ;   in Loop: Header=BB224_924 Depth=1
	v_ffbh_u32_e32 v8, v6
	v_min_u32_e32 v8, 32, v8
	v_subrev_nc_u32_e32 v21, 28, v8
	v_sub_nc_u32_e32 v8, 29, v8
	v_lshlrev_b64 v[21:22], v21, v[6:7]
	v_and_b32_e32 v6, 7, v21
; %bb.1591:                             ;   in Loop: Header=BB224_924 Depth=1
	s_or_b32 exec_lo, exec_lo, s18
	v_mov_b32_e32 v21, 24
	v_lshlrev_b32_e32 v6, 20, v6
	v_lshl_add_u32 v8, v8, 23, 0x3c000000
	v_lshlrev_b32_sdwa v21, v21, v81 dst_sel:DWORD dst_unused:UNUSED_PAD src0_sel:DWORD src1_sel:WORD_1
	v_and_b32_e32 v21, 0x80000000, v21
	v_or3_b32 v6, v6, v21, v8
	v_mov_b32_e32 v22, v7
	v_mov_b32_e32 v21, v6
.LBB224_1592:                           ;   in Loop: Header=BB224_924 Depth=1
	s_or_b32 exec_lo, exec_lo, s15
.LBB224_1593:                           ;   in Loop: Header=BB224_924 Depth=1
	s_or_b32 exec_lo, exec_lo, s13
.LBB224_1594:                           ;   in Loop: Header=BB224_924 Depth=1
	s_or_b32 exec_lo, exec_lo, s7
	s_mov_b32 s7, exec_lo
	v_cmpx_lt_u32_e32 0xffffff, v81
	s_cbranch_execz .LBB224_1602
; %bb.1595:                             ;   in Loop: Header=BB224_924 Depth=1
	v_mov_b32_e32 v8, v7
	v_mov_b32_e32 v11, v9
	v_cmp_ne_u32_sdwa s4, v81, v80 src0_sel:BYTE_3 src1_sel:DWORD
	v_mov_b32_e32 v10, v8
	s_and_saveexec_b32 s13, s4
	s_cbranch_execz .LBB224_1601
; %bb.1596:                             ;   in Loop: Header=BB224_924 Depth=1
	v_mov_b32_e32 v11, v7
	v_bfe_u32 v83, v81, 24, 7
	s_mov_b32 s15, exec_lo
	v_mov_b32_e32 v10, v11
	v_mov_b32_e32 v11, v12
	v_cmpx_ne_u32_e32 0x7f, v83
	s_cbranch_execz .LBB224_1600
; %bb.1597:                             ;   in Loop: Header=BB224_924 Depth=1
	v_mov_b32_e32 v6, 7
	v_lshrrev_b32_e32 v8, 3, v83
	s_mov_b32 s18, exec_lo
	v_and_b32_sdwa v6, v81, v6 dst_sel:DWORD dst_unused:UNUSED_PAD src0_sel:BYTE_3 src1_sel:DWORD
	v_cmpx_gt_u32_e32 8, v83
; %bb.1598:                             ;   in Loop: Header=BB224_924 Depth=1
	v_ffbh_u32_e32 v8, v6
	v_min_u32_e32 v8, 32, v8
	v_subrev_nc_u32_e32 v10, 28, v8
	v_sub_nc_u32_e32 v8, 29, v8
	v_lshlrev_b64 v[10:11], v10, v[6:7]
	v_and_b32_e32 v6, 7, v10
; %bb.1599:                             ;   in Loop: Header=BB224_924 Depth=1
	s_or_b32 exec_lo, exec_lo, s18
	v_mov_b32_e32 v10, 24
	v_lshlrev_b32_e32 v6, 20, v6
	v_lshl_add_u32 v8, v8, 23, 0x3c000000
	v_lshlrev_b32_sdwa v10, v10, v81 dst_sel:DWORD dst_unused:UNUSED_PAD src0_sel:DWORD src1_sel:BYTE_3
	v_and_b32_e32 v10, 0x80000000, v10
	v_or3_b32 v11, v6, v10, v8
	v_mov_b32_e32 v10, v7
.LBB224_1600:                           ;   in Loop: Header=BB224_924 Depth=1
	s_or_b32 exec_lo, exec_lo, s15
.LBB224_1601:                           ;   in Loop: Header=BB224_924 Depth=1
	s_or_b32 exec_lo, exec_lo, s13
.LBB224_1602:                           ;   in Loop: Header=BB224_924 Depth=1
	s_or_b32 exec_lo, exec_lo, s7
	v_or_b32_e32 v6, v20, v18
	v_or_b32_e32 v8, v19, v17
	;; [unrolled: 1-line block ×4, first 2 shown]
	v_mul_f32_e32 v84, v87, v6
	v_mul_f32_e32 v83, v71, v8
	;; [unrolled: 1-line block ×4, first 2 shown]
	s_and_saveexec_b32 s7, vcc_lo
	s_cbranch_execz .LBB224_1604
; %bb.1603:                             ;   in Loop: Header=BB224_924 Depth=1
	v_cmp_lt_i32_e64 s4, v117, v124
	v_cndmask_b32_e64 v83, 0, v83, s4
	v_cmp_lt_i32_e64 s4, v119, v124
	v_cndmask_b32_e64 v84, 0, v84, s4
	;; [unrolled: 2-line block ×4, first 2 shown]
.LBB224_1604:                           ;   in Loop: Header=BB224_924 Depth=1
	s_or_b32 exec_lo, exec_lo, s7
	flat_load_dword v40, v[0:1] offset:512
	v_mov_b32_e32 v19, 0
	v_mov_b32_e32 v17, 0
	;; [unrolled: 1-line block ×4, first 2 shown]
	s_waitcnt vmcnt(0) lgkmcnt(0)
	v_cmp_ne_u16_sdwa s4, v40, v7 src0_sel:BYTE_0 src1_sel:DWORD
	s_and_saveexec_b32 s7, s4
	s_cbranch_execz .LBB224_1612
; %bb.1605:                             ;   in Loop: Header=BB224_924 Depth=1
	v_bfrev_b32_e32 v17, 1
	v_mov_b32_e32 v18, 0
	v_cmp_ne_u16_sdwa s4, v40, v80 src0_sel:BYTE_0 src1_sel:DWORD
	s_and_saveexec_b32 s13, s4
	s_cbranch_execz .LBB224_1611
; %bb.1606:                             ;   in Loop: Header=BB224_924 Depth=1
	v_mov_b32_e32 v17, 0x7f800001
	v_and_b32_e32 v10, 0x7f, v40
	v_mov_b32_e32 v18, 0
	s_mov_b32 s15, exec_lo
	v_cmpx_ne_u32_e32 0x7f, v10
	s_cbranch_execz .LBB224_1610
; %bb.1607:                             ;   in Loop: Header=BB224_924 Depth=1
	v_and_b32_e32 v6, 7, v40
	v_lshrrev_b32_e32 v8, 3, v10
	s_mov_b32 s18, exec_lo
	v_cmpx_gt_u32_e32 8, v10
; %bb.1608:                             ;   in Loop: Header=BB224_924 Depth=1
	v_ffbh_u32_e32 v8, v6
	v_min_u32_e32 v8, 32, v8
	v_subrev_nc_u32_e32 v10, 28, v8
	v_sub_nc_u32_e32 v8, 29, v8
	v_lshlrev_b64 v[10:11], v10, v[6:7]
	v_and_b32_e32 v6, 7, v10
; %bb.1609:                             ;   in Loop: Header=BB224_924 Depth=1
	s_or_b32 exec_lo, exec_lo, s18
	v_lshlrev_b32_e32 v10, 24, v40
	v_lshlrev_b32_e32 v6, 20, v6
	v_lshl_add_u32 v8, v8, 23, 0x3c000000
	v_and_b32_e32 v10, 0x80000000, v10
	v_or3_b32 v6, v6, v10, v8
	v_mov_b32_e32 v18, v7
	v_mov_b32_e32 v17, v6
.LBB224_1610:                           ;   in Loop: Header=BB224_924 Depth=1
	s_or_b32 exec_lo, exec_lo, s15
.LBB224_1611:                           ;   in Loop: Header=BB224_924 Depth=1
	s_or_b32 exec_lo, exec_lo, s13
.LBB224_1612:                           ;   in Loop: Header=BB224_924 Depth=1
	s_or_b32 exec_lo, exec_lo, s7
	v_cmp_ne_u16_sdwa s4, v40, v7 src0_sel:BYTE_1 src1_sel:DWORD
	s_and_saveexec_b32 s7, s4
	s_cbranch_execz .LBB224_1620
; %bb.1613:                             ;   in Loop: Header=BB224_924 Depth=1
	v_mov_b32_e32 v8, v7
	v_mov_b32_e32 v20, v9
	v_cmp_ne_u16_sdwa s4, v40, v80 src0_sel:BYTE_1 src1_sel:DWORD
	v_mov_b32_e32 v19, v8
	s_and_saveexec_b32 s13, s4
	s_cbranch_execz .LBB224_1619
; %bb.1614:                             ;   in Loop: Header=BB224_924 Depth=1
	v_and_b32_sdwa v6, v91, v40 dst_sel:DWORD dst_unused:UNUSED_PAD src0_sel:DWORD src1_sel:BYTE_1
	v_mov_b32_e32 v11, v7
	v_mov_b32_e32 v20, v12
	s_mov_b32 s15, exec_lo
	v_and_b32_e32 v10, 0x7f, v6
	v_mov_b32_e32 v19, v11
	v_cmpx_ne_u32_e32 0x7f, v10
	s_cbranch_execz .LBB224_1618
; %bb.1615:                             ;   in Loop: Header=BB224_924 Depth=1
	v_and_b32_e32 v6, 7, v6
	v_lshrrev_b32_e32 v8, 3, v10
	s_mov_b32 s18, exec_lo
	v_cmpx_gt_u32_e32 8, v10
; %bb.1616:                             ;   in Loop: Header=BB224_924 Depth=1
	v_ffbh_u32_e32 v8, v6
	v_min_u32_e32 v8, 32, v8
	v_subrev_nc_u32_e32 v10, 28, v8
	v_sub_nc_u32_e32 v8, 29, v8
	v_lshlrev_b64 v[10:11], v10, v[6:7]
	v_and_b32_e32 v6, 7, v10
; %bb.1617:                             ;   in Loop: Header=BB224_924 Depth=1
	s_or_b32 exec_lo, exec_lo, s18
	v_lshlrev_b32_e32 v10, 16, v40
	v_lshlrev_b32_e32 v6, 20, v6
	v_lshl_add_u32 v8, v8, 23, 0x3c000000
	v_mov_b32_e32 v19, v7
	v_and_b32_e32 v10, 0x80000000, v10
	v_or3_b32 v20, v6, v10, v8
.LBB224_1618:                           ;   in Loop: Header=BB224_924 Depth=1
	s_or_b32 exec_lo, exec_lo, s15
.LBB224_1619:                           ;   in Loop: Header=BB224_924 Depth=1
	s_or_b32 exec_lo, exec_lo, s13
.LBB224_1620:                           ;   in Loop: Header=BB224_924 Depth=1
	s_or_b32 exec_lo, exec_lo, s7
	v_mov_b32_e32 v10, 0
	v_mov_b32_e32 v21, 0
	v_and_b32_sdwa v6, v40, v82 dst_sel:DWORD dst_unused:UNUSED_PAD src0_sel:WORD_1 src1_sel:DWORD
	v_mov_b32_e32 v11, 0
	v_mov_b32_e32 v22, 0
	s_mov_b32 s7, exec_lo
	v_cmpx_ne_u16_e32 0, v6
	s_cbranch_execz .LBB224_1628
; %bb.1621:                             ;   in Loop: Header=BB224_924 Depth=1
	v_bfrev_b32_e32 v21, 1
	v_mov_b32_e32 v22, 0
	s_mov_b32 s13, exec_lo
	v_cmpx_ne_u16_e32 0x80, v6
	s_cbranch_execz .LBB224_1627
; %bb.1622:                             ;   in Loop: Header=BB224_924 Depth=1
	v_mov_b32_e32 v21, 0x7f800001
	v_bfe_u32 v41, v40, 16, 7
	v_mov_b32_e32 v22, 0
	s_mov_b32 s15, exec_lo
	v_cmpx_ne_u32_e32 0x7f, v41
	s_cbranch_execz .LBB224_1626
; %bb.1623:                             ;   in Loop: Header=BB224_924 Depth=1
	v_mov_b32_e32 v6, 7
	v_lshrrev_b32_e32 v8, 3, v41
	s_mov_b32 s18, exec_lo
	v_and_b32_sdwa v6, v40, v6 dst_sel:DWORD dst_unused:UNUSED_PAD src0_sel:WORD_1 src1_sel:DWORD
	v_cmpx_gt_u32_e32 8, v41
; %bb.1624:                             ;   in Loop: Header=BB224_924 Depth=1
	v_ffbh_u32_e32 v8, v6
	v_min_u32_e32 v8, 32, v8
	v_subrev_nc_u32_e32 v21, 28, v8
	v_sub_nc_u32_e32 v8, 29, v8
	v_lshlrev_b64 v[21:22], v21, v[6:7]
	v_and_b32_e32 v6, 7, v21
; %bb.1625:                             ;   in Loop: Header=BB224_924 Depth=1
	s_or_b32 exec_lo, exec_lo, s18
	v_mov_b32_e32 v21, 24
	v_lshlrev_b32_e32 v6, 20, v6
	v_lshl_add_u32 v8, v8, 23, 0x3c000000
	v_lshlrev_b32_sdwa v21, v21, v40 dst_sel:DWORD dst_unused:UNUSED_PAD src0_sel:DWORD src1_sel:WORD_1
	v_and_b32_e32 v21, 0x80000000, v21
	v_or3_b32 v6, v6, v21, v8
	v_mov_b32_e32 v22, v7
	v_mov_b32_e32 v21, v6
.LBB224_1626:                           ;   in Loop: Header=BB224_924 Depth=1
	s_or_b32 exec_lo, exec_lo, s15
.LBB224_1627:                           ;   in Loop: Header=BB224_924 Depth=1
	s_or_b32 exec_lo, exec_lo, s13
.LBB224_1628:                           ;   in Loop: Header=BB224_924 Depth=1
	s_or_b32 exec_lo, exec_lo, s7
	s_mov_b32 s7, exec_lo
	v_cmpx_lt_u32_e32 0xffffff, v40
	s_cbranch_execz .LBB224_1636
; %bb.1629:                             ;   in Loop: Header=BB224_924 Depth=1
	v_mov_b32_e32 v8, v7
	v_mov_b32_e32 v11, v9
	v_cmp_ne_u32_sdwa s4, v40, v80 src0_sel:BYTE_3 src1_sel:DWORD
	v_mov_b32_e32 v10, v8
	s_and_saveexec_b32 s13, s4
	s_cbranch_execz .LBB224_1635
; %bb.1630:                             ;   in Loop: Header=BB224_924 Depth=1
	v_mov_b32_e32 v11, v7
	v_bfe_u32 v41, v40, 24, 7
	s_mov_b32 s15, exec_lo
	v_mov_b32_e32 v10, v11
	v_mov_b32_e32 v11, v12
	v_cmpx_ne_u32_e32 0x7f, v41
	s_cbranch_execz .LBB224_1634
; %bb.1631:                             ;   in Loop: Header=BB224_924 Depth=1
	v_mov_b32_e32 v6, 7
	v_lshrrev_b32_e32 v8, 3, v41
	s_mov_b32 s18, exec_lo
	v_and_b32_sdwa v6, v40, v6 dst_sel:DWORD dst_unused:UNUSED_PAD src0_sel:BYTE_3 src1_sel:DWORD
	v_cmpx_gt_u32_e32 8, v41
; %bb.1632:                             ;   in Loop: Header=BB224_924 Depth=1
	v_ffbh_u32_e32 v8, v6
	v_min_u32_e32 v8, 32, v8
	v_subrev_nc_u32_e32 v10, 28, v8
	v_sub_nc_u32_e32 v8, 29, v8
	v_lshlrev_b64 v[10:11], v10, v[6:7]
	v_and_b32_e32 v6, 7, v10
; %bb.1633:                             ;   in Loop: Header=BB224_924 Depth=1
	s_or_b32 exec_lo, exec_lo, s18
	v_mov_b32_e32 v10, 24
	v_lshlrev_b32_e32 v6, 20, v6
	v_lshl_add_u32 v8, v8, 23, 0x3c000000
	v_lshlrev_b32_sdwa v10, v10, v40 dst_sel:DWORD dst_unused:UNUSED_PAD src0_sel:DWORD src1_sel:BYTE_3
	v_and_b32_e32 v10, 0x80000000, v10
	v_or3_b32 v11, v6, v10, v8
	v_mov_b32_e32 v10, v7
.LBB224_1634:                           ;   in Loop: Header=BB224_924 Depth=1
	s_or_b32 exec_lo, exec_lo, s15
.LBB224_1635:                           ;   in Loop: Header=BB224_924 Depth=1
	s_or_b32 exec_lo, exec_lo, s13
.LBB224_1636:                           ;   in Loop: Header=BB224_924 Depth=1
	s_or_b32 exec_lo, exec_lo, s7
	v_or_b32_e32 v6, v20, v18
	v_or_b32_e32 v8, v19, v17
	;; [unrolled: 1-line block ×4, first 2 shown]
	v_mul_f32_e32 v43, v87, v6
	v_mul_f32_e32 v42, v71, v8
	;; [unrolled: 1-line block ×4, first 2 shown]
	s_and_saveexec_b32 s7, vcc_lo
	s_cbranch_execz .LBB224_1638
; %bb.1637:                             ;   in Loop: Header=BB224_924 Depth=1
	v_cmp_lt_i32_e64 s4, v117, v124
	v_cndmask_b32_e64 v42, 0, v42, s4
	v_cmp_lt_i32_e64 s4, v119, v124
	v_cndmask_b32_e64 v43, 0, v43, s4
	;; [unrolled: 2-line block ×4, first 2 shown]
.LBB224_1638:                           ;   in Loop: Header=BB224_924 Depth=1
	s_or_b32 exec_lo, exec_lo, s7
	flat_load_dword v44, v[0:1] offset:640
	v_mov_b32_e32 v19, 0
	v_mov_b32_e32 v17, 0
	;; [unrolled: 1-line block ×4, first 2 shown]
	s_waitcnt vmcnt(0) lgkmcnt(0)
	v_cmp_ne_u16_sdwa s4, v44, v7 src0_sel:BYTE_0 src1_sel:DWORD
	s_and_saveexec_b32 s7, s4
	s_cbranch_execz .LBB224_1646
; %bb.1639:                             ;   in Loop: Header=BB224_924 Depth=1
	v_bfrev_b32_e32 v17, 1
	v_mov_b32_e32 v18, 0
	v_cmp_ne_u16_sdwa s4, v44, v80 src0_sel:BYTE_0 src1_sel:DWORD
	s_and_saveexec_b32 s13, s4
	s_cbranch_execz .LBB224_1645
; %bb.1640:                             ;   in Loop: Header=BB224_924 Depth=1
	v_mov_b32_e32 v17, 0x7f800001
	v_and_b32_e32 v10, 0x7f, v44
	v_mov_b32_e32 v18, 0
	s_mov_b32 s15, exec_lo
	v_cmpx_ne_u32_e32 0x7f, v10
	s_cbranch_execz .LBB224_1644
; %bb.1641:                             ;   in Loop: Header=BB224_924 Depth=1
	v_and_b32_e32 v6, 7, v44
	v_lshrrev_b32_e32 v8, 3, v10
	s_mov_b32 s18, exec_lo
	v_cmpx_gt_u32_e32 8, v10
; %bb.1642:                             ;   in Loop: Header=BB224_924 Depth=1
	v_ffbh_u32_e32 v8, v6
	v_min_u32_e32 v8, 32, v8
	v_subrev_nc_u32_e32 v10, 28, v8
	v_sub_nc_u32_e32 v8, 29, v8
	v_lshlrev_b64 v[10:11], v10, v[6:7]
	v_and_b32_e32 v6, 7, v10
; %bb.1643:                             ;   in Loop: Header=BB224_924 Depth=1
	s_or_b32 exec_lo, exec_lo, s18
	v_lshlrev_b32_e32 v10, 24, v44
	v_lshlrev_b32_e32 v6, 20, v6
	v_lshl_add_u32 v8, v8, 23, 0x3c000000
	v_and_b32_e32 v10, 0x80000000, v10
	v_or3_b32 v6, v6, v10, v8
	v_mov_b32_e32 v18, v7
	v_mov_b32_e32 v17, v6
.LBB224_1644:                           ;   in Loop: Header=BB224_924 Depth=1
	s_or_b32 exec_lo, exec_lo, s15
.LBB224_1645:                           ;   in Loop: Header=BB224_924 Depth=1
	s_or_b32 exec_lo, exec_lo, s13
.LBB224_1646:                           ;   in Loop: Header=BB224_924 Depth=1
	s_or_b32 exec_lo, exec_lo, s7
	v_cmp_ne_u16_sdwa s4, v44, v7 src0_sel:BYTE_1 src1_sel:DWORD
	s_and_saveexec_b32 s7, s4
	s_cbranch_execz .LBB224_1654
; %bb.1647:                             ;   in Loop: Header=BB224_924 Depth=1
	v_mov_b32_e32 v8, v7
	v_mov_b32_e32 v20, v9
	v_cmp_ne_u16_sdwa s4, v44, v80 src0_sel:BYTE_1 src1_sel:DWORD
	v_mov_b32_e32 v19, v8
	s_and_saveexec_b32 s13, s4
	s_cbranch_execz .LBB224_1653
; %bb.1648:                             ;   in Loop: Header=BB224_924 Depth=1
	v_and_b32_sdwa v6, v91, v44 dst_sel:DWORD dst_unused:UNUSED_PAD src0_sel:DWORD src1_sel:BYTE_1
	v_mov_b32_e32 v11, v7
	v_mov_b32_e32 v20, v12
	s_mov_b32 s15, exec_lo
	v_and_b32_e32 v10, 0x7f, v6
	v_mov_b32_e32 v19, v11
	v_cmpx_ne_u32_e32 0x7f, v10
	s_cbranch_execz .LBB224_1652
; %bb.1649:                             ;   in Loop: Header=BB224_924 Depth=1
	v_and_b32_e32 v6, 7, v6
	v_lshrrev_b32_e32 v8, 3, v10
	s_mov_b32 s18, exec_lo
	v_cmpx_gt_u32_e32 8, v10
; %bb.1650:                             ;   in Loop: Header=BB224_924 Depth=1
	v_ffbh_u32_e32 v8, v6
	v_min_u32_e32 v8, 32, v8
	v_subrev_nc_u32_e32 v10, 28, v8
	v_sub_nc_u32_e32 v8, 29, v8
	v_lshlrev_b64 v[10:11], v10, v[6:7]
	v_and_b32_e32 v6, 7, v10
; %bb.1651:                             ;   in Loop: Header=BB224_924 Depth=1
	s_or_b32 exec_lo, exec_lo, s18
	v_lshlrev_b32_e32 v10, 16, v44
	v_lshlrev_b32_e32 v6, 20, v6
	v_lshl_add_u32 v8, v8, 23, 0x3c000000
	v_mov_b32_e32 v19, v7
	v_and_b32_e32 v10, 0x80000000, v10
	v_or3_b32 v20, v6, v10, v8
.LBB224_1652:                           ;   in Loop: Header=BB224_924 Depth=1
	s_or_b32 exec_lo, exec_lo, s15
.LBB224_1653:                           ;   in Loop: Header=BB224_924 Depth=1
	s_or_b32 exec_lo, exec_lo, s13
.LBB224_1654:                           ;   in Loop: Header=BB224_924 Depth=1
	s_or_b32 exec_lo, exec_lo, s7
	v_mov_b32_e32 v10, 0
	v_mov_b32_e32 v21, 0
	v_and_b32_sdwa v6, v44, v82 dst_sel:DWORD dst_unused:UNUSED_PAD src0_sel:WORD_1 src1_sel:DWORD
	v_mov_b32_e32 v11, 0
	v_mov_b32_e32 v22, 0
	s_mov_b32 s7, exec_lo
	v_cmpx_ne_u16_e32 0, v6
	s_cbranch_execz .LBB224_1662
; %bb.1655:                             ;   in Loop: Header=BB224_924 Depth=1
	v_bfrev_b32_e32 v21, 1
	v_mov_b32_e32 v22, 0
	s_mov_b32 s13, exec_lo
	v_cmpx_ne_u16_e32 0x80, v6
	s_cbranch_execz .LBB224_1661
; %bb.1656:                             ;   in Loop: Header=BB224_924 Depth=1
	v_mov_b32_e32 v21, 0x7f800001
	v_bfe_u32 v45, v44, 16, 7
	v_mov_b32_e32 v22, 0
	s_mov_b32 s15, exec_lo
	v_cmpx_ne_u32_e32 0x7f, v45
	s_cbranch_execz .LBB224_1660
; %bb.1657:                             ;   in Loop: Header=BB224_924 Depth=1
	v_mov_b32_e32 v6, 7
	v_lshrrev_b32_e32 v8, 3, v45
	s_mov_b32 s18, exec_lo
	v_and_b32_sdwa v6, v44, v6 dst_sel:DWORD dst_unused:UNUSED_PAD src0_sel:WORD_1 src1_sel:DWORD
	v_cmpx_gt_u32_e32 8, v45
; %bb.1658:                             ;   in Loop: Header=BB224_924 Depth=1
	v_ffbh_u32_e32 v8, v6
	v_min_u32_e32 v8, 32, v8
	v_subrev_nc_u32_e32 v21, 28, v8
	v_sub_nc_u32_e32 v8, 29, v8
	v_lshlrev_b64 v[21:22], v21, v[6:7]
	v_and_b32_e32 v6, 7, v21
; %bb.1659:                             ;   in Loop: Header=BB224_924 Depth=1
	s_or_b32 exec_lo, exec_lo, s18
	v_mov_b32_e32 v21, 24
	v_lshlrev_b32_e32 v6, 20, v6
	v_lshl_add_u32 v8, v8, 23, 0x3c000000
	v_lshlrev_b32_sdwa v21, v21, v44 dst_sel:DWORD dst_unused:UNUSED_PAD src0_sel:DWORD src1_sel:WORD_1
	v_and_b32_e32 v21, 0x80000000, v21
	v_or3_b32 v6, v6, v21, v8
	v_mov_b32_e32 v22, v7
	v_mov_b32_e32 v21, v6
.LBB224_1660:                           ;   in Loop: Header=BB224_924 Depth=1
	s_or_b32 exec_lo, exec_lo, s15
.LBB224_1661:                           ;   in Loop: Header=BB224_924 Depth=1
	s_or_b32 exec_lo, exec_lo, s13
.LBB224_1662:                           ;   in Loop: Header=BB224_924 Depth=1
	s_or_b32 exec_lo, exec_lo, s7
	s_mov_b32 s7, exec_lo
	v_cmpx_lt_u32_e32 0xffffff, v44
	s_cbranch_execz .LBB224_1670
; %bb.1663:                             ;   in Loop: Header=BB224_924 Depth=1
	v_mov_b32_e32 v8, v7
	v_mov_b32_e32 v11, v9
	v_cmp_ne_u32_sdwa s4, v44, v80 src0_sel:BYTE_3 src1_sel:DWORD
	v_mov_b32_e32 v10, v8
	s_and_saveexec_b32 s13, s4
	s_cbranch_execz .LBB224_1669
; %bb.1664:                             ;   in Loop: Header=BB224_924 Depth=1
	v_mov_b32_e32 v11, v7
	v_bfe_u32 v45, v44, 24, 7
	s_mov_b32 s15, exec_lo
	v_mov_b32_e32 v10, v11
	v_mov_b32_e32 v11, v12
	v_cmpx_ne_u32_e32 0x7f, v45
	s_cbranch_execz .LBB224_1668
; %bb.1665:                             ;   in Loop: Header=BB224_924 Depth=1
	v_mov_b32_e32 v6, 7
	v_lshrrev_b32_e32 v8, 3, v45
	s_mov_b32 s18, exec_lo
	v_and_b32_sdwa v6, v44, v6 dst_sel:DWORD dst_unused:UNUSED_PAD src0_sel:BYTE_3 src1_sel:DWORD
	v_cmpx_gt_u32_e32 8, v45
; %bb.1666:                             ;   in Loop: Header=BB224_924 Depth=1
	v_ffbh_u32_e32 v8, v6
	v_min_u32_e32 v8, 32, v8
	v_subrev_nc_u32_e32 v10, 28, v8
	v_sub_nc_u32_e32 v8, 29, v8
	v_lshlrev_b64 v[10:11], v10, v[6:7]
	v_and_b32_e32 v6, 7, v10
; %bb.1667:                             ;   in Loop: Header=BB224_924 Depth=1
	s_or_b32 exec_lo, exec_lo, s18
	v_mov_b32_e32 v10, 24
	v_lshlrev_b32_e32 v6, 20, v6
	v_lshl_add_u32 v8, v8, 23, 0x3c000000
	v_lshlrev_b32_sdwa v10, v10, v44 dst_sel:DWORD dst_unused:UNUSED_PAD src0_sel:DWORD src1_sel:BYTE_3
	v_and_b32_e32 v10, 0x80000000, v10
	v_or3_b32 v11, v6, v10, v8
	v_mov_b32_e32 v10, v7
.LBB224_1668:                           ;   in Loop: Header=BB224_924 Depth=1
	s_or_b32 exec_lo, exec_lo, s15
.LBB224_1669:                           ;   in Loop: Header=BB224_924 Depth=1
	s_or_b32 exec_lo, exec_lo, s13
.LBB224_1670:                           ;   in Loop: Header=BB224_924 Depth=1
	s_or_b32 exec_lo, exec_lo, s7
	v_or_b32_e32 v6, v20, v18
	v_or_b32_e32 v8, v19, v17
	;; [unrolled: 1-line block ×4, first 2 shown]
	v_mul_f32_e32 v47, v87, v6
	v_mul_f32_e32 v46, v71, v8
	;; [unrolled: 1-line block ×4, first 2 shown]
	s_and_saveexec_b32 s7, vcc_lo
	s_cbranch_execz .LBB224_1672
; %bb.1671:                             ;   in Loop: Header=BB224_924 Depth=1
	v_cmp_lt_i32_e64 s4, v117, v124
	v_cndmask_b32_e64 v46, 0, v46, s4
	v_cmp_lt_i32_e64 s4, v119, v124
	v_cndmask_b32_e64 v47, 0, v47, s4
	;; [unrolled: 2-line block ×4, first 2 shown]
.LBB224_1672:                           ;   in Loop: Header=BB224_924 Depth=1
	s_or_b32 exec_lo, exec_lo, s7
	flat_load_dword v56, v[0:1] offset:768
	v_mov_b32_e32 v19, 0
	v_mov_b32_e32 v17, 0
	;; [unrolled: 1-line block ×4, first 2 shown]
	s_waitcnt vmcnt(0) lgkmcnt(0)
	v_cmp_ne_u16_sdwa s4, v56, v7 src0_sel:BYTE_0 src1_sel:DWORD
	s_and_saveexec_b32 s7, s4
	s_cbranch_execz .LBB224_1680
; %bb.1673:                             ;   in Loop: Header=BB224_924 Depth=1
	v_bfrev_b32_e32 v17, 1
	v_mov_b32_e32 v18, 0
	v_cmp_ne_u16_sdwa s4, v56, v80 src0_sel:BYTE_0 src1_sel:DWORD
	s_and_saveexec_b32 s13, s4
	s_cbranch_execz .LBB224_1679
; %bb.1674:                             ;   in Loop: Header=BB224_924 Depth=1
	v_mov_b32_e32 v17, 0x7f800001
	v_and_b32_e32 v10, 0x7f, v56
	v_mov_b32_e32 v18, 0
	s_mov_b32 s15, exec_lo
	v_cmpx_ne_u32_e32 0x7f, v10
	s_cbranch_execz .LBB224_1678
; %bb.1675:                             ;   in Loop: Header=BB224_924 Depth=1
	v_and_b32_e32 v6, 7, v56
	v_lshrrev_b32_e32 v8, 3, v10
	s_mov_b32 s18, exec_lo
	v_cmpx_gt_u32_e32 8, v10
; %bb.1676:                             ;   in Loop: Header=BB224_924 Depth=1
	v_ffbh_u32_e32 v8, v6
	v_min_u32_e32 v8, 32, v8
	v_subrev_nc_u32_e32 v10, 28, v8
	v_sub_nc_u32_e32 v8, 29, v8
	v_lshlrev_b64 v[10:11], v10, v[6:7]
	v_and_b32_e32 v6, 7, v10
; %bb.1677:                             ;   in Loop: Header=BB224_924 Depth=1
	s_or_b32 exec_lo, exec_lo, s18
	v_lshlrev_b32_e32 v10, 24, v56
	v_lshlrev_b32_e32 v6, 20, v6
	v_lshl_add_u32 v8, v8, 23, 0x3c000000
	v_and_b32_e32 v10, 0x80000000, v10
	v_or3_b32 v6, v6, v10, v8
	v_mov_b32_e32 v18, v7
	v_mov_b32_e32 v17, v6
.LBB224_1678:                           ;   in Loop: Header=BB224_924 Depth=1
	s_or_b32 exec_lo, exec_lo, s15
.LBB224_1679:                           ;   in Loop: Header=BB224_924 Depth=1
	s_or_b32 exec_lo, exec_lo, s13
.LBB224_1680:                           ;   in Loop: Header=BB224_924 Depth=1
	s_or_b32 exec_lo, exec_lo, s7
	v_cmp_ne_u16_sdwa s4, v56, v7 src0_sel:BYTE_1 src1_sel:DWORD
	s_and_saveexec_b32 s7, s4
	s_cbranch_execz .LBB224_1688
; %bb.1681:                             ;   in Loop: Header=BB224_924 Depth=1
	v_mov_b32_e32 v8, v7
	v_mov_b32_e32 v20, v9
	v_cmp_ne_u16_sdwa s4, v56, v80 src0_sel:BYTE_1 src1_sel:DWORD
	v_mov_b32_e32 v19, v8
	s_and_saveexec_b32 s13, s4
	s_cbranch_execz .LBB224_1687
; %bb.1682:                             ;   in Loop: Header=BB224_924 Depth=1
	v_and_b32_sdwa v6, v91, v56 dst_sel:DWORD dst_unused:UNUSED_PAD src0_sel:DWORD src1_sel:BYTE_1
	v_mov_b32_e32 v11, v7
	v_mov_b32_e32 v20, v12
	s_mov_b32 s15, exec_lo
	v_and_b32_e32 v10, 0x7f, v6
	v_mov_b32_e32 v19, v11
	v_cmpx_ne_u32_e32 0x7f, v10
	s_cbranch_execz .LBB224_1686
; %bb.1683:                             ;   in Loop: Header=BB224_924 Depth=1
	v_and_b32_e32 v6, 7, v6
	v_lshrrev_b32_e32 v8, 3, v10
	s_mov_b32 s18, exec_lo
	v_cmpx_gt_u32_e32 8, v10
; %bb.1684:                             ;   in Loop: Header=BB224_924 Depth=1
	v_ffbh_u32_e32 v8, v6
	v_min_u32_e32 v8, 32, v8
	v_subrev_nc_u32_e32 v10, 28, v8
	v_sub_nc_u32_e32 v8, 29, v8
	v_lshlrev_b64 v[10:11], v10, v[6:7]
	v_and_b32_e32 v6, 7, v10
; %bb.1685:                             ;   in Loop: Header=BB224_924 Depth=1
	s_or_b32 exec_lo, exec_lo, s18
	v_lshlrev_b32_e32 v10, 16, v56
	v_lshlrev_b32_e32 v6, 20, v6
	v_lshl_add_u32 v8, v8, 23, 0x3c000000
	v_mov_b32_e32 v19, v7
	v_and_b32_e32 v10, 0x80000000, v10
	v_or3_b32 v20, v6, v10, v8
.LBB224_1686:                           ;   in Loop: Header=BB224_924 Depth=1
	s_or_b32 exec_lo, exec_lo, s15
.LBB224_1687:                           ;   in Loop: Header=BB224_924 Depth=1
	s_or_b32 exec_lo, exec_lo, s13
.LBB224_1688:                           ;   in Loop: Header=BB224_924 Depth=1
	s_or_b32 exec_lo, exec_lo, s7
	v_mov_b32_e32 v10, 0
	v_mov_b32_e32 v21, 0
	v_and_b32_sdwa v6, v56, v82 dst_sel:DWORD dst_unused:UNUSED_PAD src0_sel:WORD_1 src1_sel:DWORD
	v_mov_b32_e32 v11, 0
	v_mov_b32_e32 v22, 0
	s_mov_b32 s7, exec_lo
	v_cmpx_ne_u16_e32 0, v6
	s_cbranch_execz .LBB224_1696
; %bb.1689:                             ;   in Loop: Header=BB224_924 Depth=1
	v_bfrev_b32_e32 v21, 1
	v_mov_b32_e32 v22, 0
	s_mov_b32 s13, exec_lo
	v_cmpx_ne_u16_e32 0x80, v6
	s_cbranch_execz .LBB224_1695
; %bb.1690:                             ;   in Loop: Header=BB224_924 Depth=1
	v_mov_b32_e32 v21, 0x7f800001
	v_bfe_u32 v57, v56, 16, 7
	v_mov_b32_e32 v22, 0
	s_mov_b32 s15, exec_lo
	v_cmpx_ne_u32_e32 0x7f, v57
	s_cbranch_execz .LBB224_1694
; %bb.1691:                             ;   in Loop: Header=BB224_924 Depth=1
	v_mov_b32_e32 v6, 7
	v_lshrrev_b32_e32 v8, 3, v57
	s_mov_b32 s18, exec_lo
	v_and_b32_sdwa v6, v56, v6 dst_sel:DWORD dst_unused:UNUSED_PAD src0_sel:WORD_1 src1_sel:DWORD
	v_cmpx_gt_u32_e32 8, v57
; %bb.1692:                             ;   in Loop: Header=BB224_924 Depth=1
	v_ffbh_u32_e32 v8, v6
	v_min_u32_e32 v8, 32, v8
	v_subrev_nc_u32_e32 v21, 28, v8
	v_sub_nc_u32_e32 v8, 29, v8
	v_lshlrev_b64 v[21:22], v21, v[6:7]
	v_and_b32_e32 v6, 7, v21
; %bb.1693:                             ;   in Loop: Header=BB224_924 Depth=1
	s_or_b32 exec_lo, exec_lo, s18
	v_mov_b32_e32 v21, 24
	v_lshlrev_b32_e32 v6, 20, v6
	v_lshl_add_u32 v8, v8, 23, 0x3c000000
	v_lshlrev_b32_sdwa v21, v21, v56 dst_sel:DWORD dst_unused:UNUSED_PAD src0_sel:DWORD src1_sel:WORD_1
	v_and_b32_e32 v21, 0x80000000, v21
	v_or3_b32 v6, v6, v21, v8
	v_mov_b32_e32 v22, v7
	v_mov_b32_e32 v21, v6
.LBB224_1694:                           ;   in Loop: Header=BB224_924 Depth=1
	s_or_b32 exec_lo, exec_lo, s15
.LBB224_1695:                           ;   in Loop: Header=BB224_924 Depth=1
	s_or_b32 exec_lo, exec_lo, s13
.LBB224_1696:                           ;   in Loop: Header=BB224_924 Depth=1
	s_or_b32 exec_lo, exec_lo, s7
	s_mov_b32 s7, exec_lo
	v_cmpx_lt_u32_e32 0xffffff, v56
	s_cbranch_execz .LBB224_1704
; %bb.1697:                             ;   in Loop: Header=BB224_924 Depth=1
	v_mov_b32_e32 v8, v7
	v_mov_b32_e32 v11, v9
	v_cmp_ne_u32_sdwa s4, v56, v80 src0_sel:BYTE_3 src1_sel:DWORD
	v_mov_b32_e32 v10, v8
	s_and_saveexec_b32 s13, s4
	s_cbranch_execz .LBB224_1703
; %bb.1698:                             ;   in Loop: Header=BB224_924 Depth=1
	v_mov_b32_e32 v11, v7
	v_bfe_u32 v57, v56, 24, 7
	s_mov_b32 s15, exec_lo
	v_mov_b32_e32 v10, v11
	v_mov_b32_e32 v11, v12
	v_cmpx_ne_u32_e32 0x7f, v57
	s_cbranch_execz .LBB224_1702
; %bb.1699:                             ;   in Loop: Header=BB224_924 Depth=1
	v_mov_b32_e32 v6, 7
	v_lshrrev_b32_e32 v8, 3, v57
	s_mov_b32 s18, exec_lo
	v_and_b32_sdwa v6, v56, v6 dst_sel:DWORD dst_unused:UNUSED_PAD src0_sel:BYTE_3 src1_sel:DWORD
	v_cmpx_gt_u32_e32 8, v57
; %bb.1700:                             ;   in Loop: Header=BB224_924 Depth=1
	v_ffbh_u32_e32 v8, v6
	v_min_u32_e32 v8, 32, v8
	v_subrev_nc_u32_e32 v10, 28, v8
	v_sub_nc_u32_e32 v8, 29, v8
	v_lshlrev_b64 v[10:11], v10, v[6:7]
	v_and_b32_e32 v6, 7, v10
; %bb.1701:                             ;   in Loop: Header=BB224_924 Depth=1
	s_or_b32 exec_lo, exec_lo, s18
	v_mov_b32_e32 v10, 24
	v_lshlrev_b32_e32 v6, 20, v6
	v_lshl_add_u32 v8, v8, 23, 0x3c000000
	v_lshlrev_b32_sdwa v10, v10, v56 dst_sel:DWORD dst_unused:UNUSED_PAD src0_sel:DWORD src1_sel:BYTE_3
	v_and_b32_e32 v10, 0x80000000, v10
	v_or3_b32 v11, v6, v10, v8
	v_mov_b32_e32 v10, v7
.LBB224_1702:                           ;   in Loop: Header=BB224_924 Depth=1
	s_or_b32 exec_lo, exec_lo, s15
.LBB224_1703:                           ;   in Loop: Header=BB224_924 Depth=1
	s_or_b32 exec_lo, exec_lo, s13
.LBB224_1704:                           ;   in Loop: Header=BB224_924 Depth=1
	s_or_b32 exec_lo, exec_lo, s7
	v_or_b32_e32 v6, v20, v18
	v_or_b32_e32 v8, v19, v17
	;; [unrolled: 1-line block ×4, first 2 shown]
	v_mul_f32_e32 v59, v87, v6
	v_mul_f32_e32 v58, v71, v8
	;; [unrolled: 1-line block ×4, first 2 shown]
	s_and_saveexec_b32 s7, vcc_lo
	s_cbranch_execz .LBB224_1706
; %bb.1705:                             ;   in Loop: Header=BB224_924 Depth=1
	v_cmp_lt_i32_e64 s4, v117, v124
	v_cndmask_b32_e64 v58, 0, v58, s4
	v_cmp_lt_i32_e64 s4, v119, v124
	v_cndmask_b32_e64 v59, 0, v59, s4
	v_cmp_lt_i32_e64 s4, v118, v124
	v_cndmask_b32_e64 v57, 0, v57, s4
	v_cmp_lt_i32_e64 s4, v85, v124
	v_cndmask_b32_e64 v56, 0, v56, s4
.LBB224_1706:                           ;   in Loop: Header=BB224_924 Depth=1
	s_or_b32 exec_lo, exec_lo, s7
	flat_load_dword v60, v[0:1] offset:896
	v_mov_b32_e32 v19, 0
	v_mov_b32_e32 v17, 0
	;; [unrolled: 1-line block ×4, first 2 shown]
	s_waitcnt vmcnt(0) lgkmcnt(0)
	v_cmp_ne_u16_sdwa s4, v60, v7 src0_sel:BYTE_0 src1_sel:DWORD
	s_and_saveexec_b32 s7, s4
	s_cbranch_execz .LBB224_1714
; %bb.1707:                             ;   in Loop: Header=BB224_924 Depth=1
	v_bfrev_b32_e32 v17, 1
	v_mov_b32_e32 v18, 0
	v_cmp_ne_u16_sdwa s4, v60, v80 src0_sel:BYTE_0 src1_sel:DWORD
	s_and_saveexec_b32 s13, s4
	s_cbranch_execz .LBB224_1713
; %bb.1708:                             ;   in Loop: Header=BB224_924 Depth=1
	v_mov_b32_e32 v17, 0x7f800001
	v_and_b32_e32 v10, 0x7f, v60
	v_mov_b32_e32 v18, 0
	s_mov_b32 s15, exec_lo
	v_cmpx_ne_u32_e32 0x7f, v10
	s_cbranch_execz .LBB224_1712
; %bb.1709:                             ;   in Loop: Header=BB224_924 Depth=1
	v_and_b32_e32 v6, 7, v60
	v_lshrrev_b32_e32 v8, 3, v10
	s_mov_b32 s18, exec_lo
	v_cmpx_gt_u32_e32 8, v10
; %bb.1710:                             ;   in Loop: Header=BB224_924 Depth=1
	v_ffbh_u32_e32 v8, v6
	v_min_u32_e32 v8, 32, v8
	v_subrev_nc_u32_e32 v10, 28, v8
	v_sub_nc_u32_e32 v8, 29, v8
	v_lshlrev_b64 v[10:11], v10, v[6:7]
	v_and_b32_e32 v6, 7, v10
; %bb.1711:                             ;   in Loop: Header=BB224_924 Depth=1
	s_or_b32 exec_lo, exec_lo, s18
	v_lshlrev_b32_e32 v10, 24, v60
	v_lshlrev_b32_e32 v6, 20, v6
	v_lshl_add_u32 v8, v8, 23, 0x3c000000
	v_and_b32_e32 v10, 0x80000000, v10
	v_or3_b32 v6, v6, v10, v8
	v_mov_b32_e32 v18, v7
	v_mov_b32_e32 v17, v6
.LBB224_1712:                           ;   in Loop: Header=BB224_924 Depth=1
	s_or_b32 exec_lo, exec_lo, s15
.LBB224_1713:                           ;   in Loop: Header=BB224_924 Depth=1
	s_or_b32 exec_lo, exec_lo, s13
.LBB224_1714:                           ;   in Loop: Header=BB224_924 Depth=1
	s_or_b32 exec_lo, exec_lo, s7
	v_cmp_ne_u16_sdwa s4, v60, v7 src0_sel:BYTE_1 src1_sel:DWORD
	s_and_saveexec_b32 s7, s4
	s_cbranch_execz .LBB224_1722
; %bb.1715:                             ;   in Loop: Header=BB224_924 Depth=1
	v_mov_b32_e32 v8, v7
	v_mov_b32_e32 v20, v9
	v_cmp_ne_u16_sdwa s4, v60, v80 src0_sel:BYTE_1 src1_sel:DWORD
	v_mov_b32_e32 v19, v8
	s_and_saveexec_b32 s13, s4
	s_cbranch_execz .LBB224_1721
; %bb.1716:                             ;   in Loop: Header=BB224_924 Depth=1
	v_and_b32_sdwa v6, v91, v60 dst_sel:DWORD dst_unused:UNUSED_PAD src0_sel:DWORD src1_sel:BYTE_1
	v_mov_b32_e32 v11, v7
	v_mov_b32_e32 v20, v12
	s_mov_b32 s15, exec_lo
	v_and_b32_e32 v10, 0x7f, v6
	v_mov_b32_e32 v19, v11
	v_cmpx_ne_u32_e32 0x7f, v10
	s_cbranch_execz .LBB224_1720
; %bb.1717:                             ;   in Loop: Header=BB224_924 Depth=1
	v_and_b32_e32 v6, 7, v6
	v_lshrrev_b32_e32 v8, 3, v10
	s_mov_b32 s18, exec_lo
	v_cmpx_gt_u32_e32 8, v10
; %bb.1718:                             ;   in Loop: Header=BB224_924 Depth=1
	v_ffbh_u32_e32 v8, v6
	v_min_u32_e32 v8, 32, v8
	v_subrev_nc_u32_e32 v10, 28, v8
	v_sub_nc_u32_e32 v8, 29, v8
	v_lshlrev_b64 v[10:11], v10, v[6:7]
	v_and_b32_e32 v6, 7, v10
; %bb.1719:                             ;   in Loop: Header=BB224_924 Depth=1
	s_or_b32 exec_lo, exec_lo, s18
	v_lshlrev_b32_e32 v10, 16, v60
	v_lshlrev_b32_e32 v6, 20, v6
	v_lshl_add_u32 v8, v8, 23, 0x3c000000
	v_mov_b32_e32 v19, v7
	v_and_b32_e32 v10, 0x80000000, v10
	v_or3_b32 v20, v6, v10, v8
.LBB224_1720:                           ;   in Loop: Header=BB224_924 Depth=1
	s_or_b32 exec_lo, exec_lo, s15
.LBB224_1721:                           ;   in Loop: Header=BB224_924 Depth=1
	s_or_b32 exec_lo, exec_lo, s13
.LBB224_1722:                           ;   in Loop: Header=BB224_924 Depth=1
	s_or_b32 exec_lo, exec_lo, s7
	v_mov_b32_e32 v10, 0
	v_mov_b32_e32 v21, 0
	v_and_b32_sdwa v6, v60, v82 dst_sel:DWORD dst_unused:UNUSED_PAD src0_sel:WORD_1 src1_sel:DWORD
	v_mov_b32_e32 v11, 0
	v_mov_b32_e32 v22, 0
	s_mov_b32 s7, exec_lo
	v_cmpx_ne_u16_e32 0, v6
	s_cbranch_execz .LBB224_1730
; %bb.1723:                             ;   in Loop: Header=BB224_924 Depth=1
	v_bfrev_b32_e32 v21, 1
	v_mov_b32_e32 v22, 0
	s_mov_b32 s13, exec_lo
	v_cmpx_ne_u16_e32 0x80, v6
	s_cbranch_execz .LBB224_1729
; %bb.1724:                             ;   in Loop: Header=BB224_924 Depth=1
	v_mov_b32_e32 v21, 0x7f800001
	v_bfe_u32 v61, v60, 16, 7
	v_mov_b32_e32 v22, 0
	s_mov_b32 s15, exec_lo
	v_cmpx_ne_u32_e32 0x7f, v61
	s_cbranch_execz .LBB224_1728
; %bb.1725:                             ;   in Loop: Header=BB224_924 Depth=1
	v_mov_b32_e32 v6, 7
	v_lshrrev_b32_e32 v8, 3, v61
	s_mov_b32 s18, exec_lo
	v_and_b32_sdwa v6, v60, v6 dst_sel:DWORD dst_unused:UNUSED_PAD src0_sel:WORD_1 src1_sel:DWORD
	v_cmpx_gt_u32_e32 8, v61
; %bb.1726:                             ;   in Loop: Header=BB224_924 Depth=1
	v_ffbh_u32_e32 v8, v6
	v_min_u32_e32 v8, 32, v8
	v_subrev_nc_u32_e32 v21, 28, v8
	v_sub_nc_u32_e32 v8, 29, v8
	v_lshlrev_b64 v[21:22], v21, v[6:7]
	v_and_b32_e32 v6, 7, v21
; %bb.1727:                             ;   in Loop: Header=BB224_924 Depth=1
	s_or_b32 exec_lo, exec_lo, s18
	v_mov_b32_e32 v21, 24
	v_lshlrev_b32_e32 v6, 20, v6
	v_lshl_add_u32 v8, v8, 23, 0x3c000000
	v_lshlrev_b32_sdwa v21, v21, v60 dst_sel:DWORD dst_unused:UNUSED_PAD src0_sel:DWORD src1_sel:WORD_1
	v_and_b32_e32 v21, 0x80000000, v21
	v_or3_b32 v6, v6, v21, v8
	v_mov_b32_e32 v22, v7
	v_mov_b32_e32 v21, v6
.LBB224_1728:                           ;   in Loop: Header=BB224_924 Depth=1
	s_or_b32 exec_lo, exec_lo, s15
.LBB224_1729:                           ;   in Loop: Header=BB224_924 Depth=1
	s_or_b32 exec_lo, exec_lo, s13
.LBB224_1730:                           ;   in Loop: Header=BB224_924 Depth=1
	s_or_b32 exec_lo, exec_lo, s7
	s_mov_b32 s7, exec_lo
	v_cmpx_lt_u32_e32 0xffffff, v60
	s_cbranch_execz .LBB224_1738
; %bb.1731:                             ;   in Loop: Header=BB224_924 Depth=1
	v_mov_b32_e32 v8, v7
	v_mov_b32_e32 v11, v9
	v_cmp_ne_u32_sdwa s4, v60, v80 src0_sel:BYTE_3 src1_sel:DWORD
	v_mov_b32_e32 v10, v8
	s_and_saveexec_b32 s13, s4
	s_cbranch_execz .LBB224_1737
; %bb.1732:                             ;   in Loop: Header=BB224_924 Depth=1
	v_mov_b32_e32 v11, v7
	v_bfe_u32 v61, v60, 24, 7
	s_mov_b32 s15, exec_lo
	v_mov_b32_e32 v10, v11
	v_mov_b32_e32 v11, v12
	v_cmpx_ne_u32_e32 0x7f, v61
	s_cbranch_execz .LBB224_1736
; %bb.1733:                             ;   in Loop: Header=BB224_924 Depth=1
	v_mov_b32_e32 v6, 7
	v_lshrrev_b32_e32 v8, 3, v61
	s_mov_b32 s18, exec_lo
	v_and_b32_sdwa v6, v60, v6 dst_sel:DWORD dst_unused:UNUSED_PAD src0_sel:BYTE_3 src1_sel:DWORD
	v_cmpx_gt_u32_e32 8, v61
; %bb.1734:                             ;   in Loop: Header=BB224_924 Depth=1
	v_ffbh_u32_e32 v8, v6
	v_min_u32_e32 v8, 32, v8
	v_subrev_nc_u32_e32 v10, 28, v8
	v_sub_nc_u32_e32 v8, 29, v8
	v_lshlrev_b64 v[10:11], v10, v[6:7]
	v_and_b32_e32 v6, 7, v10
; %bb.1735:                             ;   in Loop: Header=BB224_924 Depth=1
	s_or_b32 exec_lo, exec_lo, s18
	v_mov_b32_e32 v10, 24
	v_lshlrev_b32_e32 v6, 20, v6
	v_lshl_add_u32 v8, v8, 23, 0x3c000000
	v_lshlrev_b32_sdwa v10, v10, v60 dst_sel:DWORD dst_unused:UNUSED_PAD src0_sel:DWORD src1_sel:BYTE_3
	v_and_b32_e32 v10, 0x80000000, v10
	v_or3_b32 v11, v6, v10, v8
	v_mov_b32_e32 v10, v7
.LBB224_1736:                           ;   in Loop: Header=BB224_924 Depth=1
	s_or_b32 exec_lo, exec_lo, s15
.LBB224_1737:                           ;   in Loop: Header=BB224_924 Depth=1
	s_or_b32 exec_lo, exec_lo, s13
.LBB224_1738:                           ;   in Loop: Header=BB224_924 Depth=1
	s_or_b32 exec_lo, exec_lo, s7
	v_or_b32_e32 v6, v20, v18
	v_or_b32_e32 v8, v19, v17
	;; [unrolled: 1-line block ×4, first 2 shown]
	v_mul_f32_e32 v63, v87, v6
	v_mul_f32_e32 v62, v71, v8
	;; [unrolled: 1-line block ×4, first 2 shown]
	s_and_saveexec_b32 s7, vcc_lo
	s_cbranch_execz .LBB224_1740
; %bb.1739:                             ;   in Loop: Header=BB224_924 Depth=1
	v_cmp_lt_i32_e64 s4, v117, v124
	v_cndmask_b32_e64 v62, 0, v62, s4
	v_cmp_lt_i32_e64 s4, v119, v124
	v_cndmask_b32_e64 v63, 0, v63, s4
	;; [unrolled: 2-line block ×4, first 2 shown]
.LBB224_1740:                           ;   in Loop: Header=BB224_924 Depth=1
	s_or_b32 exec_lo, exec_lo, s7
	flat_load_dword v72, v[0:1] offset:1024
	v_mov_b32_e32 v19, 0
	v_mov_b32_e32 v17, 0
	;; [unrolled: 1-line block ×4, first 2 shown]
	s_waitcnt vmcnt(0) lgkmcnt(0)
	v_cmp_ne_u16_sdwa s4, v72, v7 src0_sel:BYTE_0 src1_sel:DWORD
	s_and_saveexec_b32 s7, s4
	s_cbranch_execz .LBB224_1748
; %bb.1741:                             ;   in Loop: Header=BB224_924 Depth=1
	v_bfrev_b32_e32 v17, 1
	v_mov_b32_e32 v18, 0
	v_cmp_ne_u16_sdwa s4, v72, v80 src0_sel:BYTE_0 src1_sel:DWORD
	s_and_saveexec_b32 s13, s4
	s_cbranch_execz .LBB224_1747
; %bb.1742:                             ;   in Loop: Header=BB224_924 Depth=1
	v_mov_b32_e32 v17, 0x7f800001
	v_and_b32_e32 v10, 0x7f, v72
	v_mov_b32_e32 v18, 0
	s_mov_b32 s15, exec_lo
	v_cmpx_ne_u32_e32 0x7f, v10
	s_cbranch_execz .LBB224_1746
; %bb.1743:                             ;   in Loop: Header=BB224_924 Depth=1
	v_and_b32_e32 v6, 7, v72
	v_lshrrev_b32_e32 v8, 3, v10
	s_mov_b32 s18, exec_lo
	v_cmpx_gt_u32_e32 8, v10
; %bb.1744:                             ;   in Loop: Header=BB224_924 Depth=1
	v_ffbh_u32_e32 v8, v6
	v_min_u32_e32 v8, 32, v8
	v_subrev_nc_u32_e32 v10, 28, v8
	v_sub_nc_u32_e32 v8, 29, v8
	v_lshlrev_b64 v[10:11], v10, v[6:7]
	v_and_b32_e32 v6, 7, v10
; %bb.1745:                             ;   in Loop: Header=BB224_924 Depth=1
	s_or_b32 exec_lo, exec_lo, s18
	v_lshlrev_b32_e32 v10, 24, v72
	v_lshlrev_b32_e32 v6, 20, v6
	v_lshl_add_u32 v8, v8, 23, 0x3c000000
	v_and_b32_e32 v10, 0x80000000, v10
	v_or3_b32 v6, v6, v10, v8
	v_mov_b32_e32 v18, v7
	v_mov_b32_e32 v17, v6
.LBB224_1746:                           ;   in Loop: Header=BB224_924 Depth=1
	s_or_b32 exec_lo, exec_lo, s15
.LBB224_1747:                           ;   in Loop: Header=BB224_924 Depth=1
	s_or_b32 exec_lo, exec_lo, s13
.LBB224_1748:                           ;   in Loop: Header=BB224_924 Depth=1
	s_or_b32 exec_lo, exec_lo, s7
	v_cmp_ne_u16_sdwa s4, v72, v7 src0_sel:BYTE_1 src1_sel:DWORD
	s_and_saveexec_b32 s7, s4
	s_cbranch_execz .LBB224_1756
; %bb.1749:                             ;   in Loop: Header=BB224_924 Depth=1
	v_mov_b32_e32 v8, v7
	v_mov_b32_e32 v20, v9
	v_cmp_ne_u16_sdwa s4, v72, v80 src0_sel:BYTE_1 src1_sel:DWORD
	v_mov_b32_e32 v19, v8
	s_and_saveexec_b32 s13, s4
	s_cbranch_execz .LBB224_1755
; %bb.1750:                             ;   in Loop: Header=BB224_924 Depth=1
	v_and_b32_sdwa v6, v91, v72 dst_sel:DWORD dst_unused:UNUSED_PAD src0_sel:DWORD src1_sel:BYTE_1
	v_mov_b32_e32 v11, v7
	v_mov_b32_e32 v20, v12
	s_mov_b32 s15, exec_lo
	v_and_b32_e32 v10, 0x7f, v6
	v_mov_b32_e32 v19, v11
	v_cmpx_ne_u32_e32 0x7f, v10
	s_cbranch_execz .LBB224_1754
; %bb.1751:                             ;   in Loop: Header=BB224_924 Depth=1
	v_and_b32_e32 v6, 7, v6
	v_lshrrev_b32_e32 v8, 3, v10
	s_mov_b32 s18, exec_lo
	v_cmpx_gt_u32_e32 8, v10
; %bb.1752:                             ;   in Loop: Header=BB224_924 Depth=1
	v_ffbh_u32_e32 v8, v6
	v_min_u32_e32 v8, 32, v8
	v_subrev_nc_u32_e32 v10, 28, v8
	v_sub_nc_u32_e32 v8, 29, v8
	v_lshlrev_b64 v[10:11], v10, v[6:7]
	v_and_b32_e32 v6, 7, v10
; %bb.1753:                             ;   in Loop: Header=BB224_924 Depth=1
	s_or_b32 exec_lo, exec_lo, s18
	v_lshlrev_b32_e32 v10, 16, v72
	v_lshlrev_b32_e32 v6, 20, v6
	v_lshl_add_u32 v8, v8, 23, 0x3c000000
	v_mov_b32_e32 v19, v7
	v_and_b32_e32 v10, 0x80000000, v10
	v_or3_b32 v20, v6, v10, v8
.LBB224_1754:                           ;   in Loop: Header=BB224_924 Depth=1
	s_or_b32 exec_lo, exec_lo, s15
.LBB224_1755:                           ;   in Loop: Header=BB224_924 Depth=1
	s_or_b32 exec_lo, exec_lo, s13
.LBB224_1756:                           ;   in Loop: Header=BB224_924 Depth=1
	s_or_b32 exec_lo, exec_lo, s7
	v_mov_b32_e32 v10, 0
	v_mov_b32_e32 v21, 0
	v_and_b32_sdwa v6, v72, v82 dst_sel:DWORD dst_unused:UNUSED_PAD src0_sel:WORD_1 src1_sel:DWORD
	v_mov_b32_e32 v11, 0
	v_mov_b32_e32 v22, 0
	s_mov_b32 s7, exec_lo
	v_cmpx_ne_u16_e32 0, v6
	s_cbranch_execz .LBB224_1764
; %bb.1757:                             ;   in Loop: Header=BB224_924 Depth=1
	v_bfrev_b32_e32 v21, 1
	v_mov_b32_e32 v22, 0
	s_mov_b32 s13, exec_lo
	v_cmpx_ne_u16_e32 0x80, v6
	s_cbranch_execz .LBB224_1763
; %bb.1758:                             ;   in Loop: Header=BB224_924 Depth=1
	v_mov_b32_e32 v21, 0x7f800001
	v_bfe_u32 v73, v72, 16, 7
	v_mov_b32_e32 v22, 0
	s_mov_b32 s15, exec_lo
	v_cmpx_ne_u32_e32 0x7f, v73
	s_cbranch_execz .LBB224_1762
; %bb.1759:                             ;   in Loop: Header=BB224_924 Depth=1
	v_mov_b32_e32 v6, 7
	v_lshrrev_b32_e32 v8, 3, v73
	s_mov_b32 s18, exec_lo
	v_and_b32_sdwa v6, v72, v6 dst_sel:DWORD dst_unused:UNUSED_PAD src0_sel:WORD_1 src1_sel:DWORD
	v_cmpx_gt_u32_e32 8, v73
; %bb.1760:                             ;   in Loop: Header=BB224_924 Depth=1
	v_ffbh_u32_e32 v8, v6
	v_min_u32_e32 v8, 32, v8
	v_subrev_nc_u32_e32 v21, 28, v8
	v_sub_nc_u32_e32 v8, 29, v8
	v_lshlrev_b64 v[21:22], v21, v[6:7]
	v_and_b32_e32 v6, 7, v21
; %bb.1761:                             ;   in Loop: Header=BB224_924 Depth=1
	s_or_b32 exec_lo, exec_lo, s18
	v_mov_b32_e32 v21, 24
	v_lshlrev_b32_e32 v6, 20, v6
	v_lshl_add_u32 v8, v8, 23, 0x3c000000
	v_lshlrev_b32_sdwa v21, v21, v72 dst_sel:DWORD dst_unused:UNUSED_PAD src0_sel:DWORD src1_sel:WORD_1
	v_and_b32_e32 v21, 0x80000000, v21
	v_or3_b32 v6, v6, v21, v8
	v_mov_b32_e32 v22, v7
	v_mov_b32_e32 v21, v6
.LBB224_1762:                           ;   in Loop: Header=BB224_924 Depth=1
	s_or_b32 exec_lo, exec_lo, s15
.LBB224_1763:                           ;   in Loop: Header=BB224_924 Depth=1
	s_or_b32 exec_lo, exec_lo, s13
.LBB224_1764:                           ;   in Loop: Header=BB224_924 Depth=1
	s_or_b32 exec_lo, exec_lo, s7
	s_mov_b32 s7, exec_lo
	v_cmpx_lt_u32_e32 0xffffff, v72
	s_cbranch_execz .LBB224_1772
; %bb.1765:                             ;   in Loop: Header=BB224_924 Depth=1
	v_mov_b32_e32 v8, v7
	v_mov_b32_e32 v11, v9
	v_cmp_ne_u32_sdwa s4, v72, v80 src0_sel:BYTE_3 src1_sel:DWORD
	v_mov_b32_e32 v10, v8
	s_and_saveexec_b32 s13, s4
	s_cbranch_execz .LBB224_1771
; %bb.1766:                             ;   in Loop: Header=BB224_924 Depth=1
	v_mov_b32_e32 v11, v7
	v_bfe_u32 v73, v72, 24, 7
	s_mov_b32 s15, exec_lo
	v_mov_b32_e32 v10, v11
	v_mov_b32_e32 v11, v12
	v_cmpx_ne_u32_e32 0x7f, v73
	s_cbranch_execz .LBB224_1770
; %bb.1767:                             ;   in Loop: Header=BB224_924 Depth=1
	v_mov_b32_e32 v6, 7
	v_lshrrev_b32_e32 v8, 3, v73
	s_mov_b32 s18, exec_lo
	v_and_b32_sdwa v6, v72, v6 dst_sel:DWORD dst_unused:UNUSED_PAD src0_sel:BYTE_3 src1_sel:DWORD
	v_cmpx_gt_u32_e32 8, v73
; %bb.1768:                             ;   in Loop: Header=BB224_924 Depth=1
	v_ffbh_u32_e32 v8, v6
	v_min_u32_e32 v8, 32, v8
	v_subrev_nc_u32_e32 v10, 28, v8
	v_sub_nc_u32_e32 v8, 29, v8
	v_lshlrev_b64 v[10:11], v10, v[6:7]
	v_and_b32_e32 v6, 7, v10
; %bb.1769:                             ;   in Loop: Header=BB224_924 Depth=1
	s_or_b32 exec_lo, exec_lo, s18
	v_mov_b32_e32 v10, 24
	v_lshlrev_b32_e32 v6, 20, v6
	v_lshl_add_u32 v8, v8, 23, 0x3c000000
	v_lshlrev_b32_sdwa v10, v10, v72 dst_sel:DWORD dst_unused:UNUSED_PAD src0_sel:DWORD src1_sel:BYTE_3
	v_and_b32_e32 v10, 0x80000000, v10
	v_or3_b32 v11, v6, v10, v8
	v_mov_b32_e32 v10, v7
.LBB224_1770:                           ;   in Loop: Header=BB224_924 Depth=1
	s_or_b32 exec_lo, exec_lo, s15
.LBB224_1771:                           ;   in Loop: Header=BB224_924 Depth=1
	s_or_b32 exec_lo, exec_lo, s13
.LBB224_1772:                           ;   in Loop: Header=BB224_924 Depth=1
	s_or_b32 exec_lo, exec_lo, s7
	v_or_b32_e32 v6, v20, v18
	v_or_b32_e32 v8, v19, v17
	;; [unrolled: 1-line block ×4, first 2 shown]
	v_mul_f32_e32 v75, v87, v6
	v_mul_f32_e32 v74, v71, v8
	;; [unrolled: 1-line block ×4, first 2 shown]
	s_and_saveexec_b32 s7, vcc_lo
	s_cbranch_execz .LBB224_1774
; %bb.1773:                             ;   in Loop: Header=BB224_924 Depth=1
	v_cmp_lt_i32_e64 s4, v117, v124
	v_cndmask_b32_e64 v74, 0, v74, s4
	v_cmp_lt_i32_e64 s4, v119, v124
	v_cndmask_b32_e64 v75, 0, v75, s4
	;; [unrolled: 2-line block ×4, first 2 shown]
.LBB224_1774:                           ;   in Loop: Header=BB224_924 Depth=1
	s_or_b32 exec_lo, exec_lo, s7
	flat_load_dword v76, v[0:1] offset:1152
	v_mov_b32_e32 v19, 0
	v_mov_b32_e32 v17, 0
	;; [unrolled: 1-line block ×4, first 2 shown]
	s_waitcnt vmcnt(0) lgkmcnt(0)
	v_cmp_ne_u16_sdwa s4, v76, v7 src0_sel:BYTE_0 src1_sel:DWORD
	s_and_saveexec_b32 s7, s4
	s_cbranch_execz .LBB224_1782
; %bb.1775:                             ;   in Loop: Header=BB224_924 Depth=1
	v_bfrev_b32_e32 v17, 1
	v_mov_b32_e32 v18, 0
	v_cmp_ne_u16_sdwa s4, v76, v80 src0_sel:BYTE_0 src1_sel:DWORD
	s_and_saveexec_b32 s13, s4
	s_cbranch_execz .LBB224_1781
; %bb.1776:                             ;   in Loop: Header=BB224_924 Depth=1
	v_mov_b32_e32 v17, 0x7f800001
	v_and_b32_e32 v10, 0x7f, v76
	v_mov_b32_e32 v18, 0
	s_mov_b32 s15, exec_lo
	v_cmpx_ne_u32_e32 0x7f, v10
	s_cbranch_execz .LBB224_1780
; %bb.1777:                             ;   in Loop: Header=BB224_924 Depth=1
	v_and_b32_e32 v6, 7, v76
	v_lshrrev_b32_e32 v8, 3, v10
	s_mov_b32 s18, exec_lo
	v_cmpx_gt_u32_e32 8, v10
; %bb.1778:                             ;   in Loop: Header=BB224_924 Depth=1
	v_ffbh_u32_e32 v8, v6
	v_min_u32_e32 v8, 32, v8
	v_subrev_nc_u32_e32 v10, 28, v8
	v_sub_nc_u32_e32 v8, 29, v8
	v_lshlrev_b64 v[10:11], v10, v[6:7]
	v_and_b32_e32 v6, 7, v10
; %bb.1779:                             ;   in Loop: Header=BB224_924 Depth=1
	s_or_b32 exec_lo, exec_lo, s18
	v_lshlrev_b32_e32 v10, 24, v76
	v_lshlrev_b32_e32 v6, 20, v6
	v_lshl_add_u32 v8, v8, 23, 0x3c000000
	v_and_b32_e32 v10, 0x80000000, v10
	v_or3_b32 v6, v6, v10, v8
	v_mov_b32_e32 v18, v7
	v_mov_b32_e32 v17, v6
.LBB224_1780:                           ;   in Loop: Header=BB224_924 Depth=1
	s_or_b32 exec_lo, exec_lo, s15
.LBB224_1781:                           ;   in Loop: Header=BB224_924 Depth=1
	s_or_b32 exec_lo, exec_lo, s13
.LBB224_1782:                           ;   in Loop: Header=BB224_924 Depth=1
	s_or_b32 exec_lo, exec_lo, s7
	v_cmp_ne_u16_sdwa s4, v76, v7 src0_sel:BYTE_1 src1_sel:DWORD
	s_and_saveexec_b32 s7, s4
	s_cbranch_execz .LBB224_1790
; %bb.1783:                             ;   in Loop: Header=BB224_924 Depth=1
	v_mov_b32_e32 v8, v7
	v_mov_b32_e32 v20, v9
	v_cmp_ne_u16_sdwa s4, v76, v80 src0_sel:BYTE_1 src1_sel:DWORD
	v_mov_b32_e32 v19, v8
	s_and_saveexec_b32 s13, s4
	s_cbranch_execz .LBB224_1789
; %bb.1784:                             ;   in Loop: Header=BB224_924 Depth=1
	v_and_b32_sdwa v6, v91, v76 dst_sel:DWORD dst_unused:UNUSED_PAD src0_sel:DWORD src1_sel:BYTE_1
	v_mov_b32_e32 v11, v7
	v_mov_b32_e32 v20, v12
	s_mov_b32 s15, exec_lo
	v_and_b32_e32 v10, 0x7f, v6
	v_mov_b32_e32 v19, v11
	v_cmpx_ne_u32_e32 0x7f, v10
	s_cbranch_execz .LBB224_1788
; %bb.1785:                             ;   in Loop: Header=BB224_924 Depth=1
	v_and_b32_e32 v6, 7, v6
	v_lshrrev_b32_e32 v8, 3, v10
	s_mov_b32 s18, exec_lo
	v_cmpx_gt_u32_e32 8, v10
; %bb.1786:                             ;   in Loop: Header=BB224_924 Depth=1
	v_ffbh_u32_e32 v8, v6
	v_min_u32_e32 v8, 32, v8
	v_subrev_nc_u32_e32 v10, 28, v8
	v_sub_nc_u32_e32 v8, 29, v8
	v_lshlrev_b64 v[10:11], v10, v[6:7]
	v_and_b32_e32 v6, 7, v10
; %bb.1787:                             ;   in Loop: Header=BB224_924 Depth=1
	s_or_b32 exec_lo, exec_lo, s18
	v_lshlrev_b32_e32 v10, 16, v76
	v_lshlrev_b32_e32 v6, 20, v6
	v_lshl_add_u32 v8, v8, 23, 0x3c000000
	v_mov_b32_e32 v19, v7
	v_and_b32_e32 v10, 0x80000000, v10
	v_or3_b32 v20, v6, v10, v8
.LBB224_1788:                           ;   in Loop: Header=BB224_924 Depth=1
	s_or_b32 exec_lo, exec_lo, s15
.LBB224_1789:                           ;   in Loop: Header=BB224_924 Depth=1
	s_or_b32 exec_lo, exec_lo, s13
.LBB224_1790:                           ;   in Loop: Header=BB224_924 Depth=1
	s_or_b32 exec_lo, exec_lo, s7
	v_mov_b32_e32 v10, 0
	v_mov_b32_e32 v21, 0
	v_and_b32_sdwa v6, v76, v82 dst_sel:DWORD dst_unused:UNUSED_PAD src0_sel:WORD_1 src1_sel:DWORD
	v_mov_b32_e32 v11, 0
	v_mov_b32_e32 v22, 0
	s_mov_b32 s7, exec_lo
	v_cmpx_ne_u16_e32 0, v6
	s_cbranch_execz .LBB224_1798
; %bb.1791:                             ;   in Loop: Header=BB224_924 Depth=1
	v_bfrev_b32_e32 v21, 1
	v_mov_b32_e32 v22, 0
	s_mov_b32 s13, exec_lo
	v_cmpx_ne_u16_e32 0x80, v6
	s_cbranch_execz .LBB224_1797
; %bb.1792:                             ;   in Loop: Header=BB224_924 Depth=1
	v_mov_b32_e32 v21, 0x7f800001
	v_bfe_u32 v77, v76, 16, 7
	v_mov_b32_e32 v22, 0
	s_mov_b32 s15, exec_lo
	v_cmpx_ne_u32_e32 0x7f, v77
	s_cbranch_execz .LBB224_1796
; %bb.1793:                             ;   in Loop: Header=BB224_924 Depth=1
	v_mov_b32_e32 v6, 7
	v_lshrrev_b32_e32 v8, 3, v77
	s_mov_b32 s18, exec_lo
	v_and_b32_sdwa v6, v76, v6 dst_sel:DWORD dst_unused:UNUSED_PAD src0_sel:WORD_1 src1_sel:DWORD
	v_cmpx_gt_u32_e32 8, v77
; %bb.1794:                             ;   in Loop: Header=BB224_924 Depth=1
	v_ffbh_u32_e32 v8, v6
	v_min_u32_e32 v8, 32, v8
	v_subrev_nc_u32_e32 v21, 28, v8
	v_sub_nc_u32_e32 v8, 29, v8
	v_lshlrev_b64 v[21:22], v21, v[6:7]
	v_and_b32_e32 v6, 7, v21
; %bb.1795:                             ;   in Loop: Header=BB224_924 Depth=1
	s_or_b32 exec_lo, exec_lo, s18
	v_mov_b32_e32 v21, 24
	v_lshlrev_b32_e32 v6, 20, v6
	v_lshl_add_u32 v8, v8, 23, 0x3c000000
	v_lshlrev_b32_sdwa v21, v21, v76 dst_sel:DWORD dst_unused:UNUSED_PAD src0_sel:DWORD src1_sel:WORD_1
	v_and_b32_e32 v21, 0x80000000, v21
	v_or3_b32 v6, v6, v21, v8
	v_mov_b32_e32 v22, v7
	v_mov_b32_e32 v21, v6
.LBB224_1796:                           ;   in Loop: Header=BB224_924 Depth=1
	s_or_b32 exec_lo, exec_lo, s15
.LBB224_1797:                           ;   in Loop: Header=BB224_924 Depth=1
	s_or_b32 exec_lo, exec_lo, s13
.LBB224_1798:                           ;   in Loop: Header=BB224_924 Depth=1
	s_or_b32 exec_lo, exec_lo, s7
	s_mov_b32 s7, exec_lo
	v_cmpx_lt_u32_e32 0xffffff, v76
	s_cbranch_execz .LBB224_1806
; %bb.1799:                             ;   in Loop: Header=BB224_924 Depth=1
	v_mov_b32_e32 v8, v7
	v_mov_b32_e32 v11, v9
	v_cmp_ne_u32_sdwa s4, v76, v80 src0_sel:BYTE_3 src1_sel:DWORD
	v_mov_b32_e32 v10, v8
	s_and_saveexec_b32 s13, s4
	s_cbranch_execz .LBB224_1805
; %bb.1800:                             ;   in Loop: Header=BB224_924 Depth=1
	v_mov_b32_e32 v11, v7
	v_bfe_u32 v77, v76, 24, 7
	s_mov_b32 s15, exec_lo
	v_mov_b32_e32 v10, v11
	v_mov_b32_e32 v11, v12
	v_cmpx_ne_u32_e32 0x7f, v77
	s_cbranch_execz .LBB224_1804
; %bb.1801:                             ;   in Loop: Header=BB224_924 Depth=1
	v_mov_b32_e32 v6, 7
	v_lshrrev_b32_e32 v8, 3, v77
	s_mov_b32 s18, exec_lo
	v_and_b32_sdwa v6, v76, v6 dst_sel:DWORD dst_unused:UNUSED_PAD src0_sel:BYTE_3 src1_sel:DWORD
	v_cmpx_gt_u32_e32 8, v77
; %bb.1802:                             ;   in Loop: Header=BB224_924 Depth=1
	v_ffbh_u32_e32 v8, v6
	v_min_u32_e32 v8, 32, v8
	v_subrev_nc_u32_e32 v10, 28, v8
	v_sub_nc_u32_e32 v8, 29, v8
	v_lshlrev_b64 v[10:11], v10, v[6:7]
	v_and_b32_e32 v6, 7, v10
; %bb.1803:                             ;   in Loop: Header=BB224_924 Depth=1
	s_or_b32 exec_lo, exec_lo, s18
	v_mov_b32_e32 v10, 24
	v_lshlrev_b32_e32 v6, 20, v6
	v_lshl_add_u32 v8, v8, 23, 0x3c000000
	v_lshlrev_b32_sdwa v10, v10, v76 dst_sel:DWORD dst_unused:UNUSED_PAD src0_sel:DWORD src1_sel:BYTE_3
	v_and_b32_e32 v10, 0x80000000, v10
	v_or3_b32 v11, v6, v10, v8
	v_mov_b32_e32 v10, v7
.LBB224_1804:                           ;   in Loop: Header=BB224_924 Depth=1
	s_or_b32 exec_lo, exec_lo, s15
.LBB224_1805:                           ;   in Loop: Header=BB224_924 Depth=1
	s_or_b32 exec_lo, exec_lo, s13
.LBB224_1806:                           ;   in Loop: Header=BB224_924 Depth=1
	s_or_b32 exec_lo, exec_lo, s7
	v_or_b32_e32 v6, v20, v18
	v_or_b32_e32 v8, v19, v17
	;; [unrolled: 1-line block ×4, first 2 shown]
	v_mul_f32_e32 v79, v87, v6
	v_mul_f32_e32 v78, v71, v8
	;; [unrolled: 1-line block ×4, first 2 shown]
	s_and_saveexec_b32 s7, vcc_lo
	s_cbranch_execz .LBB224_1808
; %bb.1807:                             ;   in Loop: Header=BB224_924 Depth=1
	v_cmp_lt_i32_e64 s4, v117, v124
	v_cndmask_b32_e64 v78, 0, v78, s4
	v_cmp_lt_i32_e64 s4, v119, v124
	v_cndmask_b32_e64 v79, 0, v79, s4
	;; [unrolled: 2-line block ×4, first 2 shown]
.LBB224_1808:                           ;   in Loop: Header=BB224_924 Depth=1
	s_or_b32 exec_lo, exec_lo, s7
	flat_load_dword v88, v[0:1] offset:1280
	v_mov_b32_e32 v19, 0
	v_mov_b32_e32 v17, 0
	;; [unrolled: 1-line block ×4, first 2 shown]
	s_waitcnt vmcnt(0) lgkmcnt(0)
	v_cmp_ne_u16_sdwa s4, v88, v7 src0_sel:BYTE_0 src1_sel:DWORD
	s_and_saveexec_b32 s7, s4
	s_cbranch_execz .LBB224_1816
; %bb.1809:                             ;   in Loop: Header=BB224_924 Depth=1
	v_bfrev_b32_e32 v17, 1
	v_mov_b32_e32 v18, 0
	v_cmp_ne_u16_sdwa s4, v88, v80 src0_sel:BYTE_0 src1_sel:DWORD
	s_and_saveexec_b32 s13, s4
	s_cbranch_execz .LBB224_1815
; %bb.1810:                             ;   in Loop: Header=BB224_924 Depth=1
	v_mov_b32_e32 v17, 0x7f800001
	v_and_b32_e32 v10, 0x7f, v88
	v_mov_b32_e32 v18, 0
	s_mov_b32 s15, exec_lo
	v_cmpx_ne_u32_e32 0x7f, v10
	s_cbranch_execz .LBB224_1814
; %bb.1811:                             ;   in Loop: Header=BB224_924 Depth=1
	v_and_b32_e32 v6, 7, v88
	v_lshrrev_b32_e32 v8, 3, v10
	s_mov_b32 s18, exec_lo
	v_cmpx_gt_u32_e32 8, v10
; %bb.1812:                             ;   in Loop: Header=BB224_924 Depth=1
	v_ffbh_u32_e32 v8, v6
	v_min_u32_e32 v8, 32, v8
	v_subrev_nc_u32_e32 v10, 28, v8
	v_sub_nc_u32_e32 v8, 29, v8
	v_lshlrev_b64 v[10:11], v10, v[6:7]
	v_and_b32_e32 v6, 7, v10
; %bb.1813:                             ;   in Loop: Header=BB224_924 Depth=1
	s_or_b32 exec_lo, exec_lo, s18
	v_lshlrev_b32_e32 v10, 24, v88
	v_lshlrev_b32_e32 v6, 20, v6
	v_lshl_add_u32 v8, v8, 23, 0x3c000000
	v_and_b32_e32 v10, 0x80000000, v10
	v_or3_b32 v6, v6, v10, v8
	v_mov_b32_e32 v18, v7
	v_mov_b32_e32 v17, v6
.LBB224_1814:                           ;   in Loop: Header=BB224_924 Depth=1
	s_or_b32 exec_lo, exec_lo, s15
.LBB224_1815:                           ;   in Loop: Header=BB224_924 Depth=1
	s_or_b32 exec_lo, exec_lo, s13
.LBB224_1816:                           ;   in Loop: Header=BB224_924 Depth=1
	s_or_b32 exec_lo, exec_lo, s7
	v_cmp_ne_u16_sdwa s4, v88, v7 src0_sel:BYTE_1 src1_sel:DWORD
	s_and_saveexec_b32 s7, s4
	s_cbranch_execz .LBB224_1824
; %bb.1817:                             ;   in Loop: Header=BB224_924 Depth=1
	v_mov_b32_e32 v8, v7
	v_mov_b32_e32 v20, v9
	v_cmp_ne_u16_sdwa s4, v88, v80 src0_sel:BYTE_1 src1_sel:DWORD
	v_mov_b32_e32 v19, v8
	s_and_saveexec_b32 s13, s4
	s_cbranch_execz .LBB224_1823
; %bb.1818:                             ;   in Loop: Header=BB224_924 Depth=1
	v_and_b32_sdwa v6, v91, v88 dst_sel:DWORD dst_unused:UNUSED_PAD src0_sel:DWORD src1_sel:BYTE_1
	v_mov_b32_e32 v11, v7
	v_mov_b32_e32 v20, v12
	s_mov_b32 s15, exec_lo
	v_and_b32_e32 v10, 0x7f, v6
	v_mov_b32_e32 v19, v11
	v_cmpx_ne_u32_e32 0x7f, v10
	s_cbranch_execz .LBB224_1822
; %bb.1819:                             ;   in Loop: Header=BB224_924 Depth=1
	v_and_b32_e32 v6, 7, v6
	v_lshrrev_b32_e32 v8, 3, v10
	s_mov_b32 s18, exec_lo
	v_cmpx_gt_u32_e32 8, v10
; %bb.1820:                             ;   in Loop: Header=BB224_924 Depth=1
	v_ffbh_u32_e32 v8, v6
	v_min_u32_e32 v8, 32, v8
	v_subrev_nc_u32_e32 v10, 28, v8
	v_sub_nc_u32_e32 v8, 29, v8
	v_lshlrev_b64 v[10:11], v10, v[6:7]
	v_and_b32_e32 v6, 7, v10
; %bb.1821:                             ;   in Loop: Header=BB224_924 Depth=1
	s_or_b32 exec_lo, exec_lo, s18
	v_lshlrev_b32_e32 v10, 16, v88
	v_lshlrev_b32_e32 v6, 20, v6
	v_lshl_add_u32 v8, v8, 23, 0x3c000000
	v_mov_b32_e32 v19, v7
	v_and_b32_e32 v10, 0x80000000, v10
	v_or3_b32 v20, v6, v10, v8
.LBB224_1822:                           ;   in Loop: Header=BB224_924 Depth=1
	s_or_b32 exec_lo, exec_lo, s15
.LBB224_1823:                           ;   in Loop: Header=BB224_924 Depth=1
	s_or_b32 exec_lo, exec_lo, s13
.LBB224_1824:                           ;   in Loop: Header=BB224_924 Depth=1
	s_or_b32 exec_lo, exec_lo, s7
	v_mov_b32_e32 v10, 0
	v_mov_b32_e32 v21, 0
	v_and_b32_sdwa v6, v88, v82 dst_sel:DWORD dst_unused:UNUSED_PAD src0_sel:WORD_1 src1_sel:DWORD
	v_mov_b32_e32 v11, 0
	v_mov_b32_e32 v22, 0
	s_mov_b32 s7, exec_lo
	v_cmpx_ne_u16_e32 0, v6
	s_cbranch_execz .LBB224_1832
; %bb.1825:                             ;   in Loop: Header=BB224_924 Depth=1
	v_bfrev_b32_e32 v21, 1
	v_mov_b32_e32 v22, 0
	s_mov_b32 s13, exec_lo
	v_cmpx_ne_u16_e32 0x80, v6
	s_cbranch_execz .LBB224_1831
; %bb.1826:                             ;   in Loop: Header=BB224_924 Depth=1
	v_mov_b32_e32 v21, 0x7f800001
	v_bfe_u32 v89, v88, 16, 7
	v_mov_b32_e32 v22, 0
	s_mov_b32 s15, exec_lo
	v_cmpx_ne_u32_e32 0x7f, v89
	s_cbranch_execz .LBB224_1830
; %bb.1827:                             ;   in Loop: Header=BB224_924 Depth=1
	v_mov_b32_e32 v6, 7
	v_lshrrev_b32_e32 v8, 3, v89
	s_mov_b32 s18, exec_lo
	v_and_b32_sdwa v6, v88, v6 dst_sel:DWORD dst_unused:UNUSED_PAD src0_sel:WORD_1 src1_sel:DWORD
	v_cmpx_gt_u32_e32 8, v89
; %bb.1828:                             ;   in Loop: Header=BB224_924 Depth=1
	v_ffbh_u32_e32 v8, v6
	v_min_u32_e32 v8, 32, v8
	v_subrev_nc_u32_e32 v21, 28, v8
	v_sub_nc_u32_e32 v8, 29, v8
	v_lshlrev_b64 v[21:22], v21, v[6:7]
	v_and_b32_e32 v6, 7, v21
; %bb.1829:                             ;   in Loop: Header=BB224_924 Depth=1
	s_or_b32 exec_lo, exec_lo, s18
	v_mov_b32_e32 v21, 24
	v_lshlrev_b32_e32 v6, 20, v6
	v_lshl_add_u32 v8, v8, 23, 0x3c000000
	v_lshlrev_b32_sdwa v21, v21, v88 dst_sel:DWORD dst_unused:UNUSED_PAD src0_sel:DWORD src1_sel:WORD_1
	v_and_b32_e32 v21, 0x80000000, v21
	v_or3_b32 v6, v6, v21, v8
	v_mov_b32_e32 v22, v7
	v_mov_b32_e32 v21, v6
.LBB224_1830:                           ;   in Loop: Header=BB224_924 Depth=1
	s_or_b32 exec_lo, exec_lo, s15
.LBB224_1831:                           ;   in Loop: Header=BB224_924 Depth=1
	s_or_b32 exec_lo, exec_lo, s13
.LBB224_1832:                           ;   in Loop: Header=BB224_924 Depth=1
	s_or_b32 exec_lo, exec_lo, s7
	s_mov_b32 s7, exec_lo
	v_cmpx_lt_u32_e32 0xffffff, v88
	s_cbranch_execz .LBB224_1840
; %bb.1833:                             ;   in Loop: Header=BB224_924 Depth=1
	v_mov_b32_e32 v8, v7
	v_mov_b32_e32 v11, v9
	v_cmp_ne_u32_sdwa s4, v88, v80 src0_sel:BYTE_3 src1_sel:DWORD
	v_mov_b32_e32 v10, v8
	s_and_saveexec_b32 s13, s4
	s_cbranch_execz .LBB224_1839
; %bb.1834:                             ;   in Loop: Header=BB224_924 Depth=1
	v_mov_b32_e32 v11, v7
	v_bfe_u32 v89, v88, 24, 7
	s_mov_b32 s15, exec_lo
	v_mov_b32_e32 v10, v11
	v_mov_b32_e32 v11, v12
	v_cmpx_ne_u32_e32 0x7f, v89
	s_cbranch_execz .LBB224_1838
; %bb.1835:                             ;   in Loop: Header=BB224_924 Depth=1
	v_mov_b32_e32 v6, 7
	v_lshrrev_b32_e32 v8, 3, v89
	s_mov_b32 s18, exec_lo
	v_and_b32_sdwa v6, v88, v6 dst_sel:DWORD dst_unused:UNUSED_PAD src0_sel:BYTE_3 src1_sel:DWORD
	v_cmpx_gt_u32_e32 8, v89
; %bb.1836:                             ;   in Loop: Header=BB224_924 Depth=1
	v_ffbh_u32_e32 v8, v6
	v_min_u32_e32 v8, 32, v8
	v_subrev_nc_u32_e32 v10, 28, v8
	v_sub_nc_u32_e32 v8, 29, v8
	v_lshlrev_b64 v[10:11], v10, v[6:7]
	v_and_b32_e32 v6, 7, v10
; %bb.1837:                             ;   in Loop: Header=BB224_924 Depth=1
	s_or_b32 exec_lo, exec_lo, s18
	v_mov_b32_e32 v10, 24
	v_lshlrev_b32_e32 v6, 20, v6
	v_lshl_add_u32 v8, v8, 23, 0x3c000000
	v_lshlrev_b32_sdwa v10, v10, v88 dst_sel:DWORD dst_unused:UNUSED_PAD src0_sel:DWORD src1_sel:BYTE_3
	v_and_b32_e32 v10, 0x80000000, v10
	v_or3_b32 v11, v6, v10, v8
	v_mov_b32_e32 v10, v7
.LBB224_1838:                           ;   in Loop: Header=BB224_924 Depth=1
	s_or_b32 exec_lo, exec_lo, s15
.LBB224_1839:                           ;   in Loop: Header=BB224_924 Depth=1
	s_or_b32 exec_lo, exec_lo, s13
.LBB224_1840:                           ;   in Loop: Header=BB224_924 Depth=1
	s_or_b32 exec_lo, exec_lo, s7
	v_or_b32_e32 v6, v20, v18
	v_or_b32_e32 v8, v19, v17
	;; [unrolled: 1-line block ×4, first 2 shown]
	v_mul_f32_e32 v89, v87, v6
	v_mul_f32_e32 v88, v71, v8
	;; [unrolled: 1-line block ×4, first 2 shown]
	s_and_saveexec_b32 s7, vcc_lo
	s_cbranch_execz .LBB224_1842
; %bb.1841:                             ;   in Loop: Header=BB224_924 Depth=1
	v_cmp_lt_i32_e64 s4, v117, v124
	v_cndmask_b32_e64 v88, 0, v88, s4
	v_cmp_lt_i32_e64 s4, v119, v124
	v_cndmask_b32_e64 v89, 0, v89, s4
	;; [unrolled: 2-line block ×4, first 2 shown]
.LBB224_1842:                           ;   in Loop: Header=BB224_924 Depth=1
	s_or_b32 exec_lo, exec_lo, s7
	flat_load_dword v90, v[0:1] offset:1408
	v_mov_b32_e32 v17, 0
	v_mov_b32_e32 v0, 0
	;; [unrolled: 1-line block ×4, first 2 shown]
	s_waitcnt vmcnt(0) lgkmcnt(0)
	v_cmp_ne_u16_sdwa s4, v90, v7 src0_sel:BYTE_0 src1_sel:DWORD
	s_and_saveexec_b32 s7, s4
	s_cbranch_execz .LBB224_1850
; %bb.1843:                             ;   in Loop: Header=BB224_924 Depth=1
	v_bfrev_b32_e32 v0, 1
	v_mov_b32_e32 v1, 0
	v_cmp_ne_u16_sdwa s4, v90, v80 src0_sel:BYTE_0 src1_sel:DWORD
	s_and_saveexec_b32 s13, s4
	s_cbranch_execz .LBB224_1849
; %bb.1844:                             ;   in Loop: Header=BB224_924 Depth=1
	v_mov_b32_e32 v0, 0x7f800001
	v_and_b32_e32 v8, 0x7f, v90
	v_mov_b32_e32 v1, 0
	s_mov_b32 s15, exec_lo
	v_cmpx_ne_u32_e32 0x7f, v8
	s_cbranch_execz .LBB224_1848
; %bb.1845:                             ;   in Loop: Header=BB224_924 Depth=1
	v_and_b32_e32 v6, 7, v90
	v_lshrrev_b32_e32 v0, 3, v8
	s_mov_b32 s18, exec_lo
	v_cmpx_gt_u32_e32 8, v8
; %bb.1846:                             ;   in Loop: Header=BB224_924 Depth=1
	v_ffbh_u32_e32 v0, v6
	v_min_u32_e32 v0, 32, v0
	v_subrev_nc_u32_e32 v1, 28, v0
	v_sub_nc_u32_e32 v0, 29, v0
	v_lshlrev_b64 v[10:11], v1, v[6:7]
	v_and_b32_e32 v6, 7, v10
; %bb.1847:                             ;   in Loop: Header=BB224_924 Depth=1
	s_or_b32 exec_lo, exec_lo, s18
	v_lshlrev_b32_e32 v1, 24, v90
	v_lshlrev_b32_e32 v6, 20, v6
	v_lshl_add_u32 v0, v0, 23, 0x3c000000
	v_and_b32_e32 v1, 0x80000000, v1
	v_or3_b32 v6, v6, v1, v0
	v_mov_b32_e32 v0, v6
	v_mov_b32_e32 v1, v7
.LBB224_1848:                           ;   in Loop: Header=BB224_924 Depth=1
	s_or_b32 exec_lo, exec_lo, s15
.LBB224_1849:                           ;   in Loop: Header=BB224_924 Depth=1
	s_or_b32 exec_lo, exec_lo, s13
.LBB224_1850:                           ;   in Loop: Header=BB224_924 Depth=1
	s_or_b32 exec_lo, exec_lo, s7
	v_cmp_ne_u16_sdwa s4, v90, v7 src0_sel:BYTE_1 src1_sel:DWORD
	s_and_saveexec_b32 s7, s4
	s_cbranch_execz .LBB224_1858
; %bb.1851:                             ;   in Loop: Header=BB224_924 Depth=1
	v_mov_b32_e32 v8, v7
	v_mov_b32_e32 v18, v9
	v_cmp_ne_u16_sdwa s4, v90, v80 src0_sel:BYTE_1 src1_sel:DWORD
	v_mov_b32_e32 v17, v8
	s_and_saveexec_b32 s13, s4
	s_cbranch_execz .LBB224_1857
; %bb.1852:                             ;   in Loop: Header=BB224_924 Depth=1
	v_and_b32_sdwa v6, v91, v90 dst_sel:DWORD dst_unused:UNUSED_PAD src0_sel:DWORD src1_sel:BYTE_1
	v_mov_b32_e32 v11, v7
	v_mov_b32_e32 v18, v12
	s_mov_b32 s15, exec_lo
	v_and_b32_e32 v10, 0x7f, v6
	v_mov_b32_e32 v17, v11
	v_cmpx_ne_u32_e32 0x7f, v10
	s_cbranch_execz .LBB224_1856
; %bb.1853:                             ;   in Loop: Header=BB224_924 Depth=1
	v_and_b32_e32 v6, 7, v6
	v_lshrrev_b32_e32 v8, 3, v10
	s_mov_b32 s18, exec_lo
	v_cmpx_gt_u32_e32 8, v10
; %bb.1854:                             ;   in Loop: Header=BB224_924 Depth=1
	v_ffbh_u32_e32 v8, v6
	v_min_u32_e32 v8, 32, v8
	v_subrev_nc_u32_e32 v10, 28, v8
	v_sub_nc_u32_e32 v8, 29, v8
	v_lshlrev_b64 v[10:11], v10, v[6:7]
	v_and_b32_e32 v6, 7, v10
; %bb.1855:                             ;   in Loop: Header=BB224_924 Depth=1
	s_or_b32 exec_lo, exec_lo, s18
	v_lshlrev_b32_e32 v10, 16, v90
	v_lshlrev_b32_e32 v6, 20, v6
	v_lshl_add_u32 v8, v8, 23, 0x3c000000
	v_mov_b32_e32 v17, v7
	v_and_b32_e32 v10, 0x80000000, v10
	v_or3_b32 v18, v6, v10, v8
.LBB224_1856:                           ;   in Loop: Header=BB224_924 Depth=1
	s_or_b32 exec_lo, exec_lo, s15
.LBB224_1857:                           ;   in Loop: Header=BB224_924 Depth=1
	s_or_b32 exec_lo, exec_lo, s13
.LBB224_1858:                           ;   in Loop: Header=BB224_924 Depth=1
	s_or_b32 exec_lo, exec_lo, s7
	v_mov_b32_e32 v10, 0
	v_mov_b32_e32 v19, 0
	v_and_b32_sdwa v6, v90, v82 dst_sel:DWORD dst_unused:UNUSED_PAD src0_sel:WORD_1 src1_sel:DWORD
	v_mov_b32_e32 v11, 0
	v_mov_b32_e32 v20, 0
	s_mov_b32 s7, exec_lo
	v_cmpx_ne_u16_e32 0, v6
	s_cbranch_execz .LBB224_1866
; %bb.1859:                             ;   in Loop: Header=BB224_924 Depth=1
	v_bfrev_b32_e32 v19, 1
	v_mov_b32_e32 v20, 0
	s_mov_b32 s13, exec_lo
	v_cmpx_ne_u16_e32 0x80, v6
	s_cbranch_execz .LBB224_1865
; %bb.1860:                             ;   in Loop: Header=BB224_924 Depth=1
	v_mov_b32_e32 v19, 0x7f800001
	v_bfe_u32 v91, v90, 16, 7
	v_mov_b32_e32 v20, 0
	s_mov_b32 s15, exec_lo
	v_cmpx_ne_u32_e32 0x7f, v91
	s_cbranch_execz .LBB224_1864
; %bb.1861:                             ;   in Loop: Header=BB224_924 Depth=1
	v_mov_b32_e32 v6, 7
	v_lshrrev_b32_e32 v8, 3, v91
	s_mov_b32 s18, exec_lo
	v_and_b32_sdwa v6, v90, v6 dst_sel:DWORD dst_unused:UNUSED_PAD src0_sel:WORD_1 src1_sel:DWORD
	v_cmpx_gt_u32_e32 8, v91
; %bb.1862:                             ;   in Loop: Header=BB224_924 Depth=1
	v_ffbh_u32_e32 v8, v6
	v_min_u32_e32 v8, 32, v8
	v_subrev_nc_u32_e32 v19, 28, v8
	v_sub_nc_u32_e32 v8, 29, v8
	v_lshlrev_b64 v[19:20], v19, v[6:7]
	v_and_b32_e32 v6, 7, v19
; %bb.1863:                             ;   in Loop: Header=BB224_924 Depth=1
	s_or_b32 exec_lo, exec_lo, s18
	v_mov_b32_e32 v19, 24
	v_lshlrev_b32_e32 v6, 20, v6
	v_lshl_add_u32 v8, v8, 23, 0x3c000000
	v_lshlrev_b32_sdwa v19, v19, v90 dst_sel:DWORD dst_unused:UNUSED_PAD src0_sel:DWORD src1_sel:WORD_1
	v_and_b32_e32 v19, 0x80000000, v19
	v_or3_b32 v6, v6, v19, v8
	v_mov_b32_e32 v20, v7
	v_mov_b32_e32 v19, v6
.LBB224_1864:                           ;   in Loop: Header=BB224_924 Depth=1
	s_or_b32 exec_lo, exec_lo, s15
	v_mov_b32_e32 v91, 0xffff
.LBB224_1865:                           ;   in Loop: Header=BB224_924 Depth=1
	s_or_b32 exec_lo, exec_lo, s13
.LBB224_1866:                           ;   in Loop: Header=BB224_924 Depth=1
	s_or_b32 exec_lo, exec_lo, s7
	s_mov_b32 s7, exec_lo
	v_cmpx_lt_u32_e32 0xffffff, v90
	s_cbranch_execz .LBB224_1874
; %bb.1867:                             ;   in Loop: Header=BB224_924 Depth=1
	v_mov_b32_e32 v8, v7
	v_mov_b32_e32 v11, v9
	v_cmp_ne_u32_sdwa s4, v90, v80 src0_sel:BYTE_3 src1_sel:DWORD
	v_mov_b32_e32 v10, v8
	s_and_saveexec_b32 s13, s4
	s_cbranch_execz .LBB224_1873
; %bb.1868:                             ;   in Loop: Header=BB224_924 Depth=1
	v_mov_b32_e32 v11, v7
	v_bfe_u32 v91, v90, 24, 7
	s_mov_b32 s15, exec_lo
	v_mov_b32_e32 v10, v11
	v_mov_b32_e32 v11, v12
	v_cmpx_ne_u32_e32 0x7f, v91
	s_cbranch_execz .LBB224_1872
; %bb.1869:                             ;   in Loop: Header=BB224_924 Depth=1
	v_mov_b32_e32 v6, 7
	v_lshrrev_b32_e32 v8, 3, v91
	s_mov_b32 s18, exec_lo
	v_and_b32_sdwa v6, v90, v6 dst_sel:DWORD dst_unused:UNUSED_PAD src0_sel:BYTE_3 src1_sel:DWORD
	v_cmpx_gt_u32_e32 8, v91
; %bb.1870:                             ;   in Loop: Header=BB224_924 Depth=1
	v_ffbh_u32_e32 v8, v6
	v_min_u32_e32 v8, 32, v8
	v_subrev_nc_u32_e32 v10, 28, v8
	v_sub_nc_u32_e32 v8, 29, v8
	v_lshlrev_b64 v[10:11], v10, v[6:7]
	v_and_b32_e32 v6, 7, v10
; %bb.1871:                             ;   in Loop: Header=BB224_924 Depth=1
	s_or_b32 exec_lo, exec_lo, s18
	v_mov_b32_e32 v10, 24
	v_lshlrev_b32_e32 v6, 20, v6
	v_lshl_add_u32 v8, v8, 23, 0x3c000000
	v_lshlrev_b32_sdwa v10, v10, v90 dst_sel:DWORD dst_unused:UNUSED_PAD src0_sel:DWORD src1_sel:BYTE_3
	v_and_b32_e32 v10, 0x80000000, v10
	v_or3_b32 v11, v6, v10, v8
	v_mov_b32_e32 v10, v7
.LBB224_1872:                           ;   in Loop: Header=BB224_924 Depth=1
	s_or_b32 exec_lo, exec_lo, s15
	v_mov_b32_e32 v91, 0xffff
.LBB224_1873:                           ;   in Loop: Header=BB224_924 Depth=1
	s_or_b32 exec_lo, exec_lo, s13
.LBB224_1874:                           ;   in Loop: Header=BB224_924 Depth=1
	s_or_b32 exec_lo, exec_lo, s7
	v_or_b32_e32 v1, v18, v1
	v_or_b32_e32 v0, v17, v0
	;; [unrolled: 1-line block ×4, first 2 shown]
	v_mul_f32_e32 v8, v87, v1
	v_mul_f32_e32 v6, v71, v0
	;; [unrolled: 1-line block ×4, first 2 shown]
	s_and_saveexec_b32 s4, vcc_lo
	s_cbranch_execz .LBB224_923
; %bb.1875:                             ;   in Loop: Header=BB224_924 Depth=1
	v_cmp_lt_i32_e32 vcc_lo, v117, v124
	v_cndmask_b32_e32 v6, 0, v6, vcc_lo
	v_cmp_lt_i32_e32 vcc_lo, v119, v124
	v_cndmask_b32_e32 v8, 0, v8, vcc_lo
	;; [unrolled: 2-line block ×4, first 2 shown]
	s_branch .LBB224_923
.LBB224_1876:
	s_or_b32 exec_lo, exec_lo, s6
	s_clause 0x3
	buffer_load_dword v85, off, s[0:3], s32 offset:524
	buffer_load_dword v86, off, s[0:3], s32 offset:532
	;; [unrolled: 1-line block ×4, first 2 shown]
	v_mov_b32_e32 v0, s16
	v_mov_b32_e32 v1, s17
.LBB224_1877:
	s_or_b32 exec_lo, exec_lo, s5
	v_lshlrev_b64 v[0:1], 2, v[0:1]
	s_getpc_b64 s[4:5]
	s_add_u32 s4, s4, llvm.amdgcn.dynlds.offset.table@rel32@lo+4
	s_addc_u32 s5, s5, llvm.amdgcn.dynlds.offset.table@rel32@hi+12
	s_waitcnt vmcnt(0)
	s_waitcnt_vscnt null, 0x0
	s_barrier
	buffer_gl0_inv
	ds_bpermute_b32 v2, v80, v69
	v_add_co_u32 v0, vcc_lo, s4, v0
	v_add_co_ci_u32_e64 v1, null, s5, v1, vcc_lo
	ds_bpermute_b32 v3, v80, v67
	ds_bpermute_b32 v4, v80, v66
	;; [unrolled: 1-line block ×3, first 2 shown]
	global_load_dword v71, v[0:1], off
	ds_bpermute_b32 v0, v80, v68
	ds_bpermute_b32 v1, v80, v70
	;; [unrolled: 1-line block ×24, first 2 shown]
	s_clause 0x2
	buffer_load_dword v80, off, s[0:3], s32 offset:1156
	buffer_load_dword v81, off, s[0:3], s32 offset:1160
	;; [unrolled: 1-line block ×3, first 2 shown]
	s_waitcnt lgkmcnt(23)
	v_add_f32_e32 v0, v68, v0
	s_waitcnt lgkmcnt(22)
	v_add_f32_e32 v1, v70, v1
	v_add_f32_e32 v2, v69, v2
	;; [unrolled: 1-line block ×5, first 2 shown]
	s_waitcnt lgkmcnt(21)
	v_add_f32_e32 v6, v64, v6
	s_waitcnt lgkmcnt(20)
	v_add_f32_e32 v7, v55, v7
	;; [unrolled: 2-line block ×22, first 2 shown]
	ds_bpermute_b32 v28, v86, v0
	ds_bpermute_b32 v29, v86, v1
	;; [unrolled: 1-line block ×28, first 2 shown]
	s_waitcnt lgkmcnt(27)
	v_add_f32_e32 v0, v0, v28
	s_waitcnt lgkmcnt(26)
	v_add_f32_e32 v1, v1, v29
	;; [unrolled: 2-line block ×28, first 2 shown]
	ds_bpermute_b32 v28, v85, v0
	ds_bpermute_b32 v29, v85, v1
	;; [unrolled: 1-line block ×28, first 2 shown]
	s_waitcnt lgkmcnt(27)
	v_add_f32_e32 v0, v0, v28
	s_waitcnt lgkmcnt(26)
	v_add_f32_e32 v1, v1, v29
	;; [unrolled: 2-line block ×28, first 2 shown]
	s_mov_b32 s4, exec_lo
	s_waitcnt vmcnt(2)
	v_lshrrev_b32_e32 v80, 3, v80
	s_waitcnt vmcnt(1)
	v_mul_u32_u24_e32 v81, 0x1c0, v81
	s_waitcnt vmcnt(0)
	v_and_b32_e32 v83, 0x3c7, v84
	v_lshl_add_u32 v29, v80, 2, v71
	v_cmpx_eq_u32_e32 64, v83
	s_cbranch_execz .LBB224_1879
; %bb.1878:
	v_add_nc_u32_e32 v28, v29, v81
	v_add_nc_u32_e32 v30, 0xfffffc80, v28
	;; [unrolled: 1-line block ×8, first 2 shown]
	ds_write_b32 v30, v0
	ds_write_b32 v31, v1
	;; [unrolled: 1-line block ×3, first 2 shown]
	v_add_nc_u32_e32 v30, 0xfffffcf0, v28
	ds_write_b32 v33, v3
	ds_write_b32 v34, v4
	ds_write_b32 v35, v5
	ds_write_b32 v36, v6
	ds_write_b32 v30, v7
	v_add_nc_u32_e32 v30, 0xfffffd00, v28
	v_add_nc_u32_e32 v31, 0xfffffd10, v28
	v_add_nc_u32_e32 v32, 0xfffffd20, v28
	v_add_nc_u32_e32 v33, 0xfffffd30, v28
	v_add_nc_u32_e32 v34, 0xfffffd40, v28
	ds_write_b32 v30, v8
	ds_write_b32 v31, v9
	ds_write_b32 v32, v10
	ds_write_b32 v33, v11
	ds_write_b32 v34, v12
	v_add_nc_u32_e32 v30, 0xfffffd50, v28
	v_add_nc_u32_e32 v31, 0xfffffd60, v28
	v_add_nc_u32_e32 v32, 0xfffffd70, v28
	v_add_nc_u32_e32 v33, 0xfffffd80, v28
	;; [unrolled: 10-line block ×4, first 2 shown]
	v_add_nc_u32_e32 v28, 0xfffffe30, v28
	ds_write_b32 v30, v23
	ds_write_b32 v31, v24
	;; [unrolled: 1-line block ×5, first 2 shown]
.LBB224_1879:
	s_or_b32 exec_lo, exec_lo, s4
	v_lshlrev_b32_e32 v28, 2, v80
	s_mov_b32 s5, exec_lo
	v_cmp_eq_u32_e32 vcc_lo, 0, v87
	s_waitcnt lgkmcnt(0)
	s_barrier
	v_add3_u32 v28, v71, v81, v28
	buffer_gl0_inv
	v_cmpx_gt_u32_e32 64, v84
	s_cbranch_execz .LBB224_1910
; %bb.1880:
	s_and_saveexec_b32 s4, vcc_lo
	s_cbranch_execnz .LBB224_1946
; %bb.1881:
	s_or_b32 exec_lo, exec_lo, s4
	s_and_saveexec_b32 s4, vcc_lo
	s_cbranch_execnz .LBB224_1947
.LBB224_1882:
	s_or_b32 exec_lo, exec_lo, s4
	s_and_saveexec_b32 s4, vcc_lo
	s_cbranch_execnz .LBB224_1948
.LBB224_1883:
	s_or_b32 exec_lo, exec_lo, s4
	s_and_saveexec_b32 s4, vcc_lo
	s_cbranch_execnz .LBB224_1949
.LBB224_1884:
	s_or_b32 exec_lo, exec_lo, s4
	s_and_saveexec_b32 s4, vcc_lo
	s_cbranch_execnz .LBB224_1950
.LBB224_1885:
	s_or_b32 exec_lo, exec_lo, s4
	s_and_saveexec_b32 s4, vcc_lo
	s_cbranch_execnz .LBB224_1951
.LBB224_1886:
	s_or_b32 exec_lo, exec_lo, s4
	s_and_saveexec_b32 s4, vcc_lo
	s_cbranch_execnz .LBB224_1952
.LBB224_1887:
	s_or_b32 exec_lo, exec_lo, s4
	s_and_saveexec_b32 s4, vcc_lo
	s_cbranch_execnz .LBB224_1953
.LBB224_1888:
	s_or_b32 exec_lo, exec_lo, s4
	s_and_saveexec_b32 s4, vcc_lo
	s_cbranch_execnz .LBB224_1954
.LBB224_1889:
	s_or_b32 exec_lo, exec_lo, s4
	s_and_saveexec_b32 s4, vcc_lo
	s_cbranch_execnz .LBB224_1955
.LBB224_1890:
	s_or_b32 exec_lo, exec_lo, s4
	s_and_saveexec_b32 s4, vcc_lo
	s_cbranch_execnz .LBB224_1956
.LBB224_1891:
	s_or_b32 exec_lo, exec_lo, s4
	s_and_saveexec_b32 s4, vcc_lo
	s_cbranch_execnz .LBB224_1957
.LBB224_1892:
	s_or_b32 exec_lo, exec_lo, s4
	s_and_saveexec_b32 s4, vcc_lo
	s_cbranch_execnz .LBB224_1958
.LBB224_1893:
	s_or_b32 exec_lo, exec_lo, s4
	s_and_saveexec_b32 s4, vcc_lo
	s_cbranch_execnz .LBB224_1959
.LBB224_1894:
	s_or_b32 exec_lo, exec_lo, s4
	s_and_saveexec_b32 s4, vcc_lo
	s_cbranch_execnz .LBB224_1960
.LBB224_1895:
	s_or_b32 exec_lo, exec_lo, s4
	s_and_saveexec_b32 s4, vcc_lo
	s_cbranch_execnz .LBB224_1961
.LBB224_1896:
	s_or_b32 exec_lo, exec_lo, s4
	s_and_saveexec_b32 s4, vcc_lo
	s_cbranch_execnz .LBB224_1962
.LBB224_1897:
	s_or_b32 exec_lo, exec_lo, s4
	s_and_saveexec_b32 s4, vcc_lo
	s_cbranch_execnz .LBB224_1963
.LBB224_1898:
	s_or_b32 exec_lo, exec_lo, s4
	s_and_saveexec_b32 s4, vcc_lo
	s_cbranch_execnz .LBB224_1964
.LBB224_1899:
	s_or_b32 exec_lo, exec_lo, s4
	s_and_saveexec_b32 s4, vcc_lo
	s_cbranch_execnz .LBB224_1965
.LBB224_1900:
	s_or_b32 exec_lo, exec_lo, s4
	s_and_saveexec_b32 s4, vcc_lo
	s_cbranch_execnz .LBB224_1966
.LBB224_1901:
	s_or_b32 exec_lo, exec_lo, s4
	s_and_saveexec_b32 s4, vcc_lo
	s_cbranch_execnz .LBB224_1967
.LBB224_1902:
	s_or_b32 exec_lo, exec_lo, s4
	s_and_saveexec_b32 s4, vcc_lo
	s_cbranch_execnz .LBB224_1968
.LBB224_1903:
	s_or_b32 exec_lo, exec_lo, s4
	s_and_saveexec_b32 s4, vcc_lo
	s_cbranch_execnz .LBB224_1969
.LBB224_1904:
	s_or_b32 exec_lo, exec_lo, s4
	s_and_saveexec_b32 s4, vcc_lo
	s_cbranch_execnz .LBB224_1970
.LBB224_1905:
	s_or_b32 exec_lo, exec_lo, s4
	s_and_saveexec_b32 s4, vcc_lo
	s_cbranch_execnz .LBB224_1971
.LBB224_1906:
	s_or_b32 exec_lo, exec_lo, s4
	s_and_saveexec_b32 s4, vcc_lo
	s_cbranch_execnz .LBB224_1972
.LBB224_1907:
	s_or_b32 exec_lo, exec_lo, s4
	s_and_saveexec_b32 s4, vcc_lo
	s_cbranch_execz .LBB224_1909
.LBB224_1908:
	ds_read_b32 v30, v28 offset:432
	s_waitcnt lgkmcnt(0)
	v_add_f32_e32 v27, v30, v27
.LBB224_1909:
	s_or_b32 exec_lo, exec_lo, s4
.LBB224_1910:
	s_or_b32 exec_lo, exec_lo, s5
	v_and_b32_e32 v30, 0x3e7, v84
	s_mov_b32 s5, exec_lo
	s_barrier
	buffer_gl0_inv
	v_cmpx_eq_u32_e32 32, v30
	s_cbranch_execz .LBB224_1912
; %bb.1911:
	ds_write2_b32 v29, v0, v1 offset1:4
	ds_write2_b32 v29, v2, v3 offset0:8 offset1:12
	ds_write2_b32 v29, v4, v5 offset0:16 offset1:20
	;; [unrolled: 1-line block ×13, first 2 shown]
.LBB224_1912:
	s_or_b32 exec_lo, exec_lo, s5
	s_mov_b32 s5, exec_lo
	s_waitcnt lgkmcnt(0)
	s_barrier
	buffer_gl0_inv
	v_cmpx_gt_u32_e32 32, v84
	s_cbranch_execz .LBB224_1943
; %bb.1913:
	s_and_saveexec_b32 s4, vcc_lo
	s_cbranch_execnz .LBB224_1973
; %bb.1914:
	s_or_b32 exec_lo, exec_lo, s4
	s_and_saveexec_b32 s4, vcc_lo
	s_cbranch_execnz .LBB224_1974
.LBB224_1915:
	s_or_b32 exec_lo, exec_lo, s4
	s_and_saveexec_b32 s4, vcc_lo
	s_cbranch_execnz .LBB224_1975
.LBB224_1916:
	s_or_b32 exec_lo, exec_lo, s4
	s_and_saveexec_b32 s4, vcc_lo
	s_cbranch_execnz .LBB224_1976
.LBB224_1917:
	s_or_b32 exec_lo, exec_lo, s4
	s_and_saveexec_b32 s4, vcc_lo
	s_cbranch_execnz .LBB224_1977
.LBB224_1918:
	s_or_b32 exec_lo, exec_lo, s4
	s_and_saveexec_b32 s4, vcc_lo
	s_cbranch_execnz .LBB224_1978
.LBB224_1919:
	s_or_b32 exec_lo, exec_lo, s4
	s_and_saveexec_b32 s4, vcc_lo
	s_cbranch_execnz .LBB224_1979
.LBB224_1920:
	s_or_b32 exec_lo, exec_lo, s4
	s_and_saveexec_b32 s4, vcc_lo
	s_cbranch_execnz .LBB224_1980
.LBB224_1921:
	s_or_b32 exec_lo, exec_lo, s4
	s_and_saveexec_b32 s4, vcc_lo
	s_cbranch_execnz .LBB224_1981
.LBB224_1922:
	s_or_b32 exec_lo, exec_lo, s4
	s_and_saveexec_b32 s4, vcc_lo
	s_cbranch_execnz .LBB224_1982
.LBB224_1923:
	s_or_b32 exec_lo, exec_lo, s4
	s_and_saveexec_b32 s4, vcc_lo
	s_cbranch_execnz .LBB224_1983
.LBB224_1924:
	s_or_b32 exec_lo, exec_lo, s4
	s_and_saveexec_b32 s4, vcc_lo
	s_cbranch_execnz .LBB224_1984
.LBB224_1925:
	s_or_b32 exec_lo, exec_lo, s4
	s_and_saveexec_b32 s4, vcc_lo
	s_cbranch_execnz .LBB224_1985
.LBB224_1926:
	s_or_b32 exec_lo, exec_lo, s4
	s_and_saveexec_b32 s4, vcc_lo
	s_cbranch_execnz .LBB224_1986
.LBB224_1927:
	s_or_b32 exec_lo, exec_lo, s4
	s_and_saveexec_b32 s4, vcc_lo
	s_cbranch_execnz .LBB224_1987
.LBB224_1928:
	s_or_b32 exec_lo, exec_lo, s4
	s_and_saveexec_b32 s4, vcc_lo
	s_cbranch_execnz .LBB224_1988
.LBB224_1929:
	s_or_b32 exec_lo, exec_lo, s4
	s_and_saveexec_b32 s4, vcc_lo
	s_cbranch_execnz .LBB224_1989
.LBB224_1930:
	s_or_b32 exec_lo, exec_lo, s4
	s_and_saveexec_b32 s4, vcc_lo
	s_cbranch_execnz .LBB224_1990
.LBB224_1931:
	s_or_b32 exec_lo, exec_lo, s4
	s_and_saveexec_b32 s4, vcc_lo
	s_cbranch_execnz .LBB224_1991
.LBB224_1932:
	s_or_b32 exec_lo, exec_lo, s4
	s_and_saveexec_b32 s4, vcc_lo
	s_cbranch_execnz .LBB224_1992
.LBB224_1933:
	s_or_b32 exec_lo, exec_lo, s4
	s_and_saveexec_b32 s4, vcc_lo
	s_cbranch_execnz .LBB224_1993
.LBB224_1934:
	s_or_b32 exec_lo, exec_lo, s4
	s_and_saveexec_b32 s4, vcc_lo
	s_cbranch_execnz .LBB224_1994
.LBB224_1935:
	s_or_b32 exec_lo, exec_lo, s4
	s_and_saveexec_b32 s4, vcc_lo
	s_cbranch_execnz .LBB224_1995
.LBB224_1936:
	s_or_b32 exec_lo, exec_lo, s4
	s_and_saveexec_b32 s4, vcc_lo
	s_cbranch_execnz .LBB224_1996
.LBB224_1937:
	s_or_b32 exec_lo, exec_lo, s4
	s_and_saveexec_b32 s4, vcc_lo
	s_cbranch_execnz .LBB224_1997
.LBB224_1938:
	s_or_b32 exec_lo, exec_lo, s4
	s_and_saveexec_b32 s4, vcc_lo
	s_cbranch_execnz .LBB224_1998
.LBB224_1939:
	s_or_b32 exec_lo, exec_lo, s4
	s_and_saveexec_b32 s4, vcc_lo
	s_cbranch_execnz .LBB224_1999
.LBB224_1940:
	s_or_b32 exec_lo, exec_lo, s4
	s_and_saveexec_b32 s4, vcc_lo
	s_cbranch_execz .LBB224_1942
.LBB224_1941:
	ds_read_b32 v28, v28 offset:432
	s_waitcnt lgkmcnt(0)
	v_add_f32_e32 v27, v28, v27
.LBB224_1942:
	s_or_b32 exec_lo, exec_lo, s4
.LBB224_1943:
	s_or_b32 exec_lo, exec_lo, s5
	s_mov_b32 s4, exec_lo
	s_barrier
	buffer_gl0_inv
	v_cmpx_eq_u32_e32 0, v30
	s_cbranch_execz .LBB224_1945
; %bb.1944:
	s_clause 0x1
	buffer_load_dword v29, off, s[0:3], s32 offset:1168
	buffer_load_dword v30, off, s[0:3], s32 offset:1164
	s_and_b32 s5, 0xffff, s9
	s_mul_i32 s6, s14, 0x70
	s_cmp_lg_u32 s5, 0
	v_lshrrev_b32_e32 v28, 1, v84
	s_cselect_b32 s5, -1, 0
	s_cmp_lg_u32 s5, 0
	s_addc_u32 s5, s8, 0
	s_mul_i32 s7, s5, s10
	s_mul_i32 s10, s12, s5
	;; [unrolled: 1-line block ×3, first 2 shown]
	s_ashr_i32 s11, s10, 31
	s_mulk_i32 s8, 0x70
	s_ashr_i32 s7, s6, 31
	s_ashr_i32 s9, s8, 31
	s_lshl_b64 s[6:7], s[6:7], 2
	s_lshl_b64 s[8:9], s[8:9], 2
	s_waitcnt vmcnt(1)
	v_add_co_u32 v29, vcc_lo, v29, s8
	s_waitcnt vmcnt(0)
	v_add_co_ci_u32_e64 v30, null, s9, v30, vcc_lo
	s_lshl_b64 s[8:9], s[10:11], 2
	v_add_co_u32 v29, vcc_lo, v29, s8
	v_add_co_ci_u32_e64 v30, null, s9, v30, vcc_lo
	v_add_co_u32 v29, vcc_lo, v29, s6
	v_add_co_ci_u32_e64 v30, null, s7, v30, vcc_lo
	;; [unrolled: 2-line block ×3, first 2 shown]
	flat_store_dword v[28:29], v0
	flat_store_dword v[28:29], v1 offset:16
	flat_store_dword v[28:29], v2 offset:32
	;; [unrolled: 1-line block ×27, first 2 shown]
.LBB224_1945:
	s_or_b32 exec_lo, exec_lo, s4
	s_clause 0x2f
	buffer_load_dword v127, off, s[0:3], s32
	buffer_load_dword v126, off, s[0:3], s32 offset:4
	buffer_load_dword v125, off, s[0:3], s32 offset:8
	;; [unrolled: 1-line block ×47, first 2 shown]
	s_waitcnt vmcnt(0) lgkmcnt(0)
	s_setpc_b64 s[30:31]
.LBB224_1946:
	ds_read_b32 v30, v28
	s_waitcnt lgkmcnt(0)
	v_add_f32_e32 v0, v30, v0
	s_or_b32 exec_lo, exec_lo, s4
	s_and_saveexec_b32 s4, vcc_lo
	s_cbranch_execz .LBB224_1882
.LBB224_1947:
	ds_read_b32 v30, v28 offset:16
	s_waitcnt lgkmcnt(0)
	v_add_f32_e32 v1, v30, v1
	s_or_b32 exec_lo, exec_lo, s4
	s_and_saveexec_b32 s4, vcc_lo
	s_cbranch_execz .LBB224_1883
.LBB224_1948:
	ds_read_b32 v30, v28 offset:32
	s_waitcnt lgkmcnt(0)
	v_add_f32_e32 v2, v30, v2
	s_or_b32 exec_lo, exec_lo, s4
	s_and_saveexec_b32 s4, vcc_lo
	s_cbranch_execz .LBB224_1884
.LBB224_1949:
	ds_read_b32 v30, v28 offset:48
	s_waitcnt lgkmcnt(0)
	v_add_f32_e32 v3, v30, v3
	s_or_b32 exec_lo, exec_lo, s4
	s_and_saveexec_b32 s4, vcc_lo
	s_cbranch_execz .LBB224_1885
.LBB224_1950:
	ds_read_b32 v30, v28 offset:64
	s_waitcnt lgkmcnt(0)
	v_add_f32_e32 v4, v30, v4
	s_or_b32 exec_lo, exec_lo, s4
	s_and_saveexec_b32 s4, vcc_lo
	s_cbranch_execz .LBB224_1886
.LBB224_1951:
	ds_read_b32 v30, v28 offset:80
	s_waitcnt lgkmcnt(0)
	v_add_f32_e32 v5, v30, v5
	s_or_b32 exec_lo, exec_lo, s4
	s_and_saveexec_b32 s4, vcc_lo
	s_cbranch_execz .LBB224_1887
.LBB224_1952:
	ds_read_b32 v30, v28 offset:96
	s_waitcnt lgkmcnt(0)
	v_add_f32_e32 v6, v30, v6
	s_or_b32 exec_lo, exec_lo, s4
	s_and_saveexec_b32 s4, vcc_lo
	s_cbranch_execz .LBB224_1888
.LBB224_1953:
	ds_read_b32 v30, v28 offset:112
	s_waitcnt lgkmcnt(0)
	v_add_f32_e32 v7, v30, v7
	s_or_b32 exec_lo, exec_lo, s4
	s_and_saveexec_b32 s4, vcc_lo
	s_cbranch_execz .LBB224_1889
.LBB224_1954:
	ds_read_b32 v30, v28 offset:128
	s_waitcnt lgkmcnt(0)
	v_add_f32_e32 v8, v30, v8
	s_or_b32 exec_lo, exec_lo, s4
	s_and_saveexec_b32 s4, vcc_lo
	s_cbranch_execz .LBB224_1890
.LBB224_1955:
	ds_read_b32 v30, v28 offset:144
	s_waitcnt lgkmcnt(0)
	v_add_f32_e32 v9, v30, v9
	s_or_b32 exec_lo, exec_lo, s4
	s_and_saveexec_b32 s4, vcc_lo
	s_cbranch_execz .LBB224_1891
.LBB224_1956:
	ds_read_b32 v30, v28 offset:160
	s_waitcnt lgkmcnt(0)
	v_add_f32_e32 v10, v30, v10
	s_or_b32 exec_lo, exec_lo, s4
	s_and_saveexec_b32 s4, vcc_lo
	s_cbranch_execz .LBB224_1892
.LBB224_1957:
	ds_read_b32 v30, v28 offset:176
	s_waitcnt lgkmcnt(0)
	v_add_f32_e32 v11, v30, v11
	s_or_b32 exec_lo, exec_lo, s4
	s_and_saveexec_b32 s4, vcc_lo
	s_cbranch_execz .LBB224_1893
.LBB224_1958:
	ds_read_b32 v30, v28 offset:192
	s_waitcnt lgkmcnt(0)
	v_add_f32_e32 v12, v30, v12
	s_or_b32 exec_lo, exec_lo, s4
	s_and_saveexec_b32 s4, vcc_lo
	s_cbranch_execz .LBB224_1894
.LBB224_1959:
	ds_read_b32 v30, v28 offset:208
	s_waitcnt lgkmcnt(0)
	v_add_f32_e32 v13, v30, v13
	s_or_b32 exec_lo, exec_lo, s4
	s_and_saveexec_b32 s4, vcc_lo
	s_cbranch_execz .LBB224_1895
.LBB224_1960:
	ds_read_b32 v30, v28 offset:224
	s_waitcnt lgkmcnt(0)
	v_add_f32_e32 v14, v30, v14
	s_or_b32 exec_lo, exec_lo, s4
	s_and_saveexec_b32 s4, vcc_lo
	s_cbranch_execz .LBB224_1896
.LBB224_1961:
	ds_read_b32 v30, v28 offset:240
	s_waitcnt lgkmcnt(0)
	v_add_f32_e32 v15, v30, v15
	s_or_b32 exec_lo, exec_lo, s4
	s_and_saveexec_b32 s4, vcc_lo
	s_cbranch_execz .LBB224_1897
.LBB224_1962:
	ds_read_b32 v30, v28 offset:256
	s_waitcnt lgkmcnt(0)
	v_add_f32_e32 v16, v30, v16
	s_or_b32 exec_lo, exec_lo, s4
	s_and_saveexec_b32 s4, vcc_lo
	s_cbranch_execz .LBB224_1898
.LBB224_1963:
	ds_read_b32 v30, v28 offset:272
	s_waitcnt lgkmcnt(0)
	v_add_f32_e32 v17, v30, v17
	s_or_b32 exec_lo, exec_lo, s4
	s_and_saveexec_b32 s4, vcc_lo
	s_cbranch_execz .LBB224_1899
.LBB224_1964:
	ds_read_b32 v30, v28 offset:288
	s_waitcnt lgkmcnt(0)
	v_add_f32_e32 v18, v30, v18
	s_or_b32 exec_lo, exec_lo, s4
	s_and_saveexec_b32 s4, vcc_lo
	s_cbranch_execz .LBB224_1900
.LBB224_1965:
	ds_read_b32 v30, v28 offset:304
	s_waitcnt lgkmcnt(0)
	v_add_f32_e32 v19, v30, v19
	s_or_b32 exec_lo, exec_lo, s4
	s_and_saveexec_b32 s4, vcc_lo
	s_cbranch_execz .LBB224_1901
.LBB224_1966:
	ds_read_b32 v30, v28 offset:320
	s_waitcnt lgkmcnt(0)
	v_add_f32_e32 v20, v30, v20
	s_or_b32 exec_lo, exec_lo, s4
	s_and_saveexec_b32 s4, vcc_lo
	s_cbranch_execz .LBB224_1902
.LBB224_1967:
	ds_read_b32 v30, v28 offset:336
	s_waitcnt lgkmcnt(0)
	v_add_f32_e32 v21, v30, v21
	s_or_b32 exec_lo, exec_lo, s4
	s_and_saveexec_b32 s4, vcc_lo
	s_cbranch_execz .LBB224_1903
.LBB224_1968:
	ds_read_b32 v30, v28 offset:352
	s_waitcnt lgkmcnt(0)
	v_add_f32_e32 v22, v30, v22
	s_or_b32 exec_lo, exec_lo, s4
	s_and_saveexec_b32 s4, vcc_lo
	s_cbranch_execz .LBB224_1904
.LBB224_1969:
	ds_read_b32 v30, v28 offset:368
	s_waitcnt lgkmcnt(0)
	v_add_f32_e32 v23, v30, v23
	s_or_b32 exec_lo, exec_lo, s4
	s_and_saveexec_b32 s4, vcc_lo
	s_cbranch_execz .LBB224_1905
.LBB224_1970:
	ds_read_b32 v30, v28 offset:384
	s_waitcnt lgkmcnt(0)
	v_add_f32_e32 v24, v30, v24
	s_or_b32 exec_lo, exec_lo, s4
	s_and_saveexec_b32 s4, vcc_lo
	s_cbranch_execz .LBB224_1906
.LBB224_1971:
	ds_read_b32 v30, v28 offset:400
	s_waitcnt lgkmcnt(0)
	v_add_f32_e32 v25, v30, v25
	s_or_b32 exec_lo, exec_lo, s4
	s_and_saveexec_b32 s4, vcc_lo
	s_cbranch_execz .LBB224_1907
.LBB224_1972:
	ds_read_b32 v30, v28 offset:416
	s_waitcnt lgkmcnt(0)
	v_add_f32_e32 v26, v30, v26
	s_or_b32 exec_lo, exec_lo, s4
	s_and_saveexec_b32 s4, vcc_lo
	s_cbranch_execnz .LBB224_1908
	s_branch .LBB224_1909
.LBB224_1973:
	ds_read_b32 v29, v28
	s_waitcnt lgkmcnt(0)
	v_add_f32_e32 v0, v29, v0
	s_or_b32 exec_lo, exec_lo, s4
	s_and_saveexec_b32 s4, vcc_lo
	s_cbranch_execz .LBB224_1915
.LBB224_1974:
	ds_read_b32 v29, v28 offset:16
	s_waitcnt lgkmcnt(0)
	v_add_f32_e32 v1, v29, v1
	s_or_b32 exec_lo, exec_lo, s4
	s_and_saveexec_b32 s4, vcc_lo
	s_cbranch_execz .LBB224_1916
.LBB224_1975:
	ds_read_b32 v29, v28 offset:32
	s_waitcnt lgkmcnt(0)
	v_add_f32_e32 v2, v29, v2
	s_or_b32 exec_lo, exec_lo, s4
	s_and_saveexec_b32 s4, vcc_lo
	s_cbranch_execz .LBB224_1917
.LBB224_1976:
	ds_read_b32 v29, v28 offset:48
	s_waitcnt lgkmcnt(0)
	v_add_f32_e32 v3, v29, v3
	s_or_b32 exec_lo, exec_lo, s4
	s_and_saveexec_b32 s4, vcc_lo
	s_cbranch_execz .LBB224_1918
.LBB224_1977:
	ds_read_b32 v29, v28 offset:64
	s_waitcnt lgkmcnt(0)
	v_add_f32_e32 v4, v29, v4
	s_or_b32 exec_lo, exec_lo, s4
	s_and_saveexec_b32 s4, vcc_lo
	s_cbranch_execz .LBB224_1919
.LBB224_1978:
	ds_read_b32 v29, v28 offset:80
	s_waitcnt lgkmcnt(0)
	v_add_f32_e32 v5, v29, v5
	s_or_b32 exec_lo, exec_lo, s4
	s_and_saveexec_b32 s4, vcc_lo
	s_cbranch_execz .LBB224_1920
.LBB224_1979:
	ds_read_b32 v29, v28 offset:96
	s_waitcnt lgkmcnt(0)
	v_add_f32_e32 v6, v29, v6
	s_or_b32 exec_lo, exec_lo, s4
	s_and_saveexec_b32 s4, vcc_lo
	s_cbranch_execz .LBB224_1921
.LBB224_1980:
	ds_read_b32 v29, v28 offset:112
	s_waitcnt lgkmcnt(0)
	v_add_f32_e32 v7, v29, v7
	s_or_b32 exec_lo, exec_lo, s4
	s_and_saveexec_b32 s4, vcc_lo
	s_cbranch_execz .LBB224_1922
.LBB224_1981:
	ds_read_b32 v29, v28 offset:128
	s_waitcnt lgkmcnt(0)
	v_add_f32_e32 v8, v29, v8
	s_or_b32 exec_lo, exec_lo, s4
	s_and_saveexec_b32 s4, vcc_lo
	s_cbranch_execz .LBB224_1923
.LBB224_1982:
	ds_read_b32 v29, v28 offset:144
	s_waitcnt lgkmcnt(0)
	v_add_f32_e32 v9, v29, v9
	s_or_b32 exec_lo, exec_lo, s4
	s_and_saveexec_b32 s4, vcc_lo
	s_cbranch_execz .LBB224_1924
.LBB224_1983:
	ds_read_b32 v29, v28 offset:160
	s_waitcnt lgkmcnt(0)
	v_add_f32_e32 v10, v29, v10
	s_or_b32 exec_lo, exec_lo, s4
	s_and_saveexec_b32 s4, vcc_lo
	s_cbranch_execz .LBB224_1925
.LBB224_1984:
	ds_read_b32 v29, v28 offset:176
	s_waitcnt lgkmcnt(0)
	v_add_f32_e32 v11, v29, v11
	s_or_b32 exec_lo, exec_lo, s4
	s_and_saveexec_b32 s4, vcc_lo
	s_cbranch_execz .LBB224_1926
.LBB224_1985:
	ds_read_b32 v29, v28 offset:192
	s_waitcnt lgkmcnt(0)
	v_add_f32_e32 v12, v29, v12
	s_or_b32 exec_lo, exec_lo, s4
	s_and_saveexec_b32 s4, vcc_lo
	s_cbranch_execz .LBB224_1927
.LBB224_1986:
	ds_read_b32 v29, v28 offset:208
	s_waitcnt lgkmcnt(0)
	v_add_f32_e32 v13, v29, v13
	s_or_b32 exec_lo, exec_lo, s4
	s_and_saveexec_b32 s4, vcc_lo
	s_cbranch_execz .LBB224_1928
.LBB224_1987:
	ds_read_b32 v29, v28 offset:224
	s_waitcnt lgkmcnt(0)
	v_add_f32_e32 v14, v29, v14
	s_or_b32 exec_lo, exec_lo, s4
	s_and_saveexec_b32 s4, vcc_lo
	s_cbranch_execz .LBB224_1929
.LBB224_1988:
	ds_read_b32 v29, v28 offset:240
	s_waitcnt lgkmcnt(0)
	v_add_f32_e32 v15, v29, v15
	s_or_b32 exec_lo, exec_lo, s4
	s_and_saveexec_b32 s4, vcc_lo
	s_cbranch_execz .LBB224_1930
.LBB224_1989:
	ds_read_b32 v29, v28 offset:256
	s_waitcnt lgkmcnt(0)
	v_add_f32_e32 v16, v29, v16
	s_or_b32 exec_lo, exec_lo, s4
	s_and_saveexec_b32 s4, vcc_lo
	s_cbranch_execz .LBB224_1931
.LBB224_1990:
	ds_read_b32 v29, v28 offset:272
	s_waitcnt lgkmcnt(0)
	v_add_f32_e32 v17, v29, v17
	s_or_b32 exec_lo, exec_lo, s4
	s_and_saveexec_b32 s4, vcc_lo
	s_cbranch_execz .LBB224_1932
.LBB224_1991:
	ds_read_b32 v29, v28 offset:288
	s_waitcnt lgkmcnt(0)
	v_add_f32_e32 v18, v29, v18
	s_or_b32 exec_lo, exec_lo, s4
	s_and_saveexec_b32 s4, vcc_lo
	s_cbranch_execz .LBB224_1933
.LBB224_1992:
	ds_read_b32 v29, v28 offset:304
	s_waitcnt lgkmcnt(0)
	v_add_f32_e32 v19, v29, v19
	s_or_b32 exec_lo, exec_lo, s4
	s_and_saveexec_b32 s4, vcc_lo
	s_cbranch_execz .LBB224_1934
.LBB224_1993:
	ds_read_b32 v29, v28 offset:320
	s_waitcnt lgkmcnt(0)
	v_add_f32_e32 v20, v29, v20
	s_or_b32 exec_lo, exec_lo, s4
	s_and_saveexec_b32 s4, vcc_lo
	s_cbranch_execz .LBB224_1935
.LBB224_1994:
	ds_read_b32 v29, v28 offset:336
	s_waitcnt lgkmcnt(0)
	v_add_f32_e32 v21, v29, v21
	s_or_b32 exec_lo, exec_lo, s4
	s_and_saveexec_b32 s4, vcc_lo
	s_cbranch_execz .LBB224_1936
.LBB224_1995:
	ds_read_b32 v29, v28 offset:352
	s_waitcnt lgkmcnt(0)
	v_add_f32_e32 v22, v29, v22
	s_or_b32 exec_lo, exec_lo, s4
	s_and_saveexec_b32 s4, vcc_lo
	s_cbranch_execz .LBB224_1937
.LBB224_1996:
	ds_read_b32 v29, v28 offset:368
	s_waitcnt lgkmcnt(0)
	v_add_f32_e32 v23, v29, v23
	s_or_b32 exec_lo, exec_lo, s4
	s_and_saveexec_b32 s4, vcc_lo
	s_cbranch_execz .LBB224_1938
.LBB224_1997:
	ds_read_b32 v29, v28 offset:384
	s_waitcnt lgkmcnt(0)
	v_add_f32_e32 v24, v29, v24
	s_or_b32 exec_lo, exec_lo, s4
	s_and_saveexec_b32 s4, vcc_lo
	s_cbranch_execz .LBB224_1939
.LBB224_1998:
	ds_read_b32 v29, v28 offset:400
	s_waitcnt lgkmcnt(0)
	v_add_f32_e32 v25, v29, v25
	s_or_b32 exec_lo, exec_lo, s4
	s_and_saveexec_b32 s4, vcc_lo
	s_cbranch_execz .LBB224_1940
.LBB224_1999:
	ds_read_b32 v29, v28 offset:416
	s_waitcnt lgkmcnt(0)
	v_add_f32_e32 v26, v29, v26
	s_or_b32 exec_lo, exec_lo, s4
	s_and_saveexec_b32 s4, vcc_lo
	s_cbranch_execnz .LBB224_1941
	s_branch .LBB224_1942
.Lfunc_end224:
	.size	_ZN4vllm22paged_attention_kernelIfhLi112ELi32ELi128ELNS_18Fp8KVCacheDataTypeE1ELb0ELi0EEEvPfS2_PT_PKS3_PKT0_S9_ifPKiSB_iPKfiiiSD_SD_iiiii, .Lfunc_end224-_ZN4vllm22paged_attention_kernelIfhLi112ELi32ELi128ELNS_18Fp8KVCacheDataTypeE1ELb0ELi0EEEvPfS2_PT_PKS3_PKT0_S9_ifPKiSB_iPKfiiiSD_SD_iiiii
                                        ; -- End function
	.set .L_ZN4vllm22paged_attention_kernelIfhLi112ELi32ELi128ELNS_18Fp8KVCacheDataTypeE1ELb0ELi0EEEvPfS2_PT_PKS3_PKT0_S9_ifPKiSB_iPKfiiiSD_SD_iiiii.num_vgpr, 128
	.set .L_ZN4vllm22paged_attention_kernelIfhLi112ELi32ELi128ELNS_18Fp8KVCacheDataTypeE1ELb0ELi0EEEvPfS2_PT_PKS3_PKT0_S9_ifPKiSB_iPKfiiiSD_SD_iiiii.num_agpr, 0
	.set .L_ZN4vllm22paged_attention_kernelIfhLi112ELi32ELi128ELNS_18Fp8KVCacheDataTypeE1ELb0ELi0EEEvPfS2_PT_PKS3_PKT0_S9_ifPKiSB_iPKfiiiSD_SD_iiiii.numbered_sgpr, 33
	.set .L_ZN4vllm22paged_attention_kernelIfhLi112ELi32ELi128ELNS_18Fp8KVCacheDataTypeE1ELb0ELi0EEEvPfS2_PT_PKS3_PKT0_S9_ifPKiSB_iPKfiiiSD_SD_iiiii.num_named_barrier, 0
	.set .L_ZN4vllm22paged_attention_kernelIfhLi112ELi32ELi128ELNS_18Fp8KVCacheDataTypeE1ELb0ELi0EEEvPfS2_PT_PKS3_PKT0_S9_ifPKiSB_iPKfiiiSD_SD_iiiii.private_seg_size, 1224
	.set .L_ZN4vllm22paged_attention_kernelIfhLi112ELi32ELi128ELNS_18Fp8KVCacheDataTypeE1ELb0ELi0EEEvPfS2_PT_PKS3_PKT0_S9_ifPKiSB_iPKfiiiSD_SD_iiiii.uses_vcc, 1
	.set .L_ZN4vllm22paged_attention_kernelIfhLi112ELi32ELi128ELNS_18Fp8KVCacheDataTypeE1ELb0ELi0EEEvPfS2_PT_PKS3_PKT0_S9_ifPKiSB_iPKfiiiSD_SD_iiiii.uses_flat_scratch, 0
	.set .L_ZN4vllm22paged_attention_kernelIfhLi112ELi32ELi128ELNS_18Fp8KVCacheDataTypeE1ELb0ELi0EEEvPfS2_PT_PKS3_PKT0_S9_ifPKiSB_iPKfiiiSD_SD_iiiii.has_dyn_sized_stack, 0
	.set .L_ZN4vllm22paged_attention_kernelIfhLi112ELi32ELi128ELNS_18Fp8KVCacheDataTypeE1ELb0ELi0EEEvPfS2_PT_PKS3_PKT0_S9_ifPKiSB_iPKfiiiSD_SD_iiiii.has_recursion, 0
	.set .L_ZN4vllm22paged_attention_kernelIfhLi112ELi32ELi128ELNS_18Fp8KVCacheDataTypeE1ELb0ELi0EEEvPfS2_PT_PKS3_PKT0_S9_ifPKiSB_iPKfiiiSD_SD_iiiii.has_indirect_call, 0
	.section	.AMDGPU.csdata,"",@progbits
; Function info:
; codeLenInByte = 68176
; TotalNumSgprs: 35
; NumVgprs: 128
; ScratchSize: 1224
; MemoryBound: 0
	.section	.text._ZN4vllm25paged_attention_v1_kernelIfhLi112ELi32ELi128ELNS_18Fp8KVCacheDataTypeE1ELb0EEEvPT_PKS2_PKT0_S8_ifPKiSA_iPKfiiiSC_SC_iiiii,"axG",@progbits,_ZN4vllm25paged_attention_v1_kernelIfhLi112ELi32ELi128ELNS_18Fp8KVCacheDataTypeE1ELb0EEEvPT_PKS2_PKT0_S8_ifPKiSA_iPKfiiiSC_SC_iiiii,comdat
	.protected	_ZN4vllm25paged_attention_v1_kernelIfhLi112ELi32ELi128ELNS_18Fp8KVCacheDataTypeE1ELb0EEEvPT_PKS2_PKT0_S8_ifPKiSA_iPKfiiiSC_SC_iiiii ; -- Begin function _ZN4vllm25paged_attention_v1_kernelIfhLi112ELi32ELi128ELNS_18Fp8KVCacheDataTypeE1ELb0EEEvPT_PKS2_PKT0_S8_ifPKiSA_iPKfiiiSC_SC_iiiii
	.globl	_ZN4vllm25paged_attention_v1_kernelIfhLi112ELi32ELi128ELNS_18Fp8KVCacheDataTypeE1ELb0EEEvPT_PKS2_PKT0_S8_ifPKiSA_iPKfiiiSC_SC_iiiii
	.p2align	8
	.type	_ZN4vllm25paged_attention_v1_kernelIfhLi112ELi32ELi128ELNS_18Fp8KVCacheDataTypeE1ELb0EEEvPT_PKS2_PKT0_S8_ifPKiSA_iPKfiiiSC_SC_iiiii,@function
_ZN4vllm25paged_attention_v1_kernelIfhLi112ELi32ELi128ELNS_18Fp8KVCacheDataTypeE1ELb0EEEvPT_PKS2_PKT0_S8_ifPKiSA_iPKfiiiSC_SC_iiiii: ; @_ZN4vllm25paged_attention_v1_kernelIfhLi112ELi32ELi128ELNS_18Fp8KVCacheDataTypeE1ELb0EEEvPT_PKS2_PKT0_S8_ifPKiSA_iPKfiiiSC_SC_iiiii
; %bb.0:
	s_clause 0x5
	s_load_dwordx8 s[16:23], s[4:5], 0x0
	s_load_dwordx4 s[36:39], s[4:5], 0x20
	s_load_dwordx2 s[10:11], s[4:5], 0x30
	s_load_dword s13, s[4:5], 0x38
	s_load_dwordx2 s[34:35], s[4:5], 0x40
	s_load_dwordx8 s[24:31], s[4:5], 0x48
	s_add_u32 s0, s0, s9
	s_addc_u32 s1, s1, 0
	v_mov_b32_e32 v31, v0
	s_mov_b32 s14, s8
	s_add_u32 s8, s4, 0x80
	s_addc_u32 s9, s5, 0
	s_getpc_b64 s[4:5]
	s_add_u32 s4, s4, _ZN4vllm22paged_attention_kernelIfhLi112ELi32ELi128ELNS_18Fp8KVCacheDataTypeE1ELb0ELi0EEEvPfS2_PT_PKS3_PKT0_S9_ifPKiSB_iPKfiiiSD_SD_iiiii@rel32@lo+4
	s_addc_u32 s5, s5, _ZN4vllm22paged_attention_kernelIfhLi112ELi32ELi128ELNS_18Fp8KVCacheDataTypeE1ELb0ELi0EEEvPfS2_PT_PKS3_PKT0_S9_ifPKiSB_iPKfiiiSD_SD_iiiii@rel32@hi+12
	s_mov_b32 s12, s6
	s_mov_b32 s15, 16
	;; [unrolled: 1-line block ×3, first 2 shown]
	s_waitcnt lgkmcnt(0)
	v_mov_b32_e32 v0, s16
	v_mov_b32_e32 v1, s17
	;; [unrolled: 1-line block ×24, first 2 shown]
	s_mov_b32 s13, s7
	s_swappc_b64 s[30:31], s[4:5]
	s_endpgm
	.section	.rodata,"a",@progbits
	.p2align	6, 0x0
	.amdhsa_kernel _ZN4vllm25paged_attention_v1_kernelIfhLi112ELi32ELi128ELNS_18Fp8KVCacheDataTypeE1ELb0EEEvPT_PKS2_PKT0_S8_ifPKiSA_iPKfiiiSC_SC_iiiii
		.amdhsa_group_segment_fixed_size 480
		.amdhsa_private_segment_fixed_size 1224
		.amdhsa_kernarg_size 384
		.amdhsa_user_sgpr_count 6
		.amdhsa_user_sgpr_private_segment_buffer 1
		.amdhsa_user_sgpr_dispatch_ptr 0
		.amdhsa_user_sgpr_queue_ptr 0
		.amdhsa_user_sgpr_kernarg_segment_ptr 1
		.amdhsa_user_sgpr_dispatch_id 0
		.amdhsa_user_sgpr_flat_scratch_init 0
		.amdhsa_user_sgpr_private_segment_size 0
		.amdhsa_wavefront_size32 1
		.amdhsa_uses_dynamic_stack 0
		.amdhsa_system_sgpr_private_segment_wavefront_offset 1
		.amdhsa_system_sgpr_workgroup_id_x 1
		.amdhsa_system_sgpr_workgroup_id_y 1
		.amdhsa_system_sgpr_workgroup_id_z 1
		.amdhsa_system_sgpr_workgroup_info 0
		.amdhsa_system_vgpr_workitem_id 0
		.amdhsa_next_free_vgpr 128
		.amdhsa_next_free_sgpr 40
		.amdhsa_reserve_vcc 1
		.amdhsa_reserve_flat_scratch 0
		.amdhsa_float_round_mode_32 0
		.amdhsa_float_round_mode_16_64 0
		.amdhsa_float_denorm_mode_32 3
		.amdhsa_float_denorm_mode_16_64 3
		.amdhsa_dx10_clamp 1
		.amdhsa_ieee_mode 1
		.amdhsa_fp16_overflow 0
		.amdhsa_workgroup_processor_mode 1
		.amdhsa_memory_ordered 1
		.amdhsa_forward_progress 1
		.amdhsa_shared_vgpr_count 0
		.amdhsa_exception_fp_ieee_invalid_op 0
		.amdhsa_exception_fp_denorm_src 0
		.amdhsa_exception_fp_ieee_div_zero 0
		.amdhsa_exception_fp_ieee_overflow 0
		.amdhsa_exception_fp_ieee_underflow 0
		.amdhsa_exception_fp_ieee_inexact 0
		.amdhsa_exception_int_div_zero 0
	.end_amdhsa_kernel
	.section	.text._ZN4vllm25paged_attention_v1_kernelIfhLi112ELi32ELi128ELNS_18Fp8KVCacheDataTypeE1ELb0EEEvPT_PKS2_PKT0_S8_ifPKiSA_iPKfiiiSC_SC_iiiii,"axG",@progbits,_ZN4vllm25paged_attention_v1_kernelIfhLi112ELi32ELi128ELNS_18Fp8KVCacheDataTypeE1ELb0EEEvPT_PKS2_PKT0_S8_ifPKiSA_iPKfiiiSC_SC_iiiii,comdat
.Lfunc_end225:
	.size	_ZN4vllm25paged_attention_v1_kernelIfhLi112ELi32ELi128ELNS_18Fp8KVCacheDataTypeE1ELb0EEEvPT_PKS2_PKT0_S8_ifPKiSA_iPKfiiiSC_SC_iiiii, .Lfunc_end225-_ZN4vllm25paged_attention_v1_kernelIfhLi112ELi32ELi128ELNS_18Fp8KVCacheDataTypeE1ELb0EEEvPT_PKS2_PKT0_S8_ifPKiSA_iPKfiiiSC_SC_iiiii
                                        ; -- End function
	.set _ZN4vllm25paged_attention_v1_kernelIfhLi112ELi32ELi128ELNS_18Fp8KVCacheDataTypeE1ELb0EEEvPT_PKS2_PKT0_S8_ifPKiSA_iPKfiiiSC_SC_iiiii.num_vgpr, max(32, .L_ZN4vllm22paged_attention_kernelIfhLi112ELi32ELi128ELNS_18Fp8KVCacheDataTypeE1ELb0ELi0EEEvPfS2_PT_PKS3_PKT0_S9_ifPKiSB_iPKfiiiSD_SD_iiiii.num_vgpr)
	.set _ZN4vllm25paged_attention_v1_kernelIfhLi112ELi32ELi128ELNS_18Fp8KVCacheDataTypeE1ELb0EEEvPT_PKS2_PKT0_S8_ifPKiSA_iPKfiiiSC_SC_iiiii.num_agpr, max(0, .L_ZN4vllm22paged_attention_kernelIfhLi112ELi32ELi128ELNS_18Fp8KVCacheDataTypeE1ELb0ELi0EEEvPfS2_PT_PKS3_PKT0_S9_ifPKiSB_iPKfiiiSD_SD_iiiii.num_agpr)
	.set _ZN4vllm25paged_attention_v1_kernelIfhLi112ELi32ELi128ELNS_18Fp8KVCacheDataTypeE1ELb0EEEvPT_PKS2_PKT0_S8_ifPKiSA_iPKfiiiSC_SC_iiiii.numbered_sgpr, max(40, .L_ZN4vllm22paged_attention_kernelIfhLi112ELi32ELi128ELNS_18Fp8KVCacheDataTypeE1ELb0ELi0EEEvPfS2_PT_PKS3_PKT0_S9_ifPKiSB_iPKfiiiSD_SD_iiiii.numbered_sgpr)
	.set _ZN4vllm25paged_attention_v1_kernelIfhLi112ELi32ELi128ELNS_18Fp8KVCacheDataTypeE1ELb0EEEvPT_PKS2_PKT0_S8_ifPKiSA_iPKfiiiSC_SC_iiiii.num_named_barrier, max(0, .L_ZN4vllm22paged_attention_kernelIfhLi112ELi32ELi128ELNS_18Fp8KVCacheDataTypeE1ELb0ELi0EEEvPfS2_PT_PKS3_PKT0_S9_ifPKiSB_iPKfiiiSD_SD_iiiii.num_named_barrier)
	.set _ZN4vllm25paged_attention_v1_kernelIfhLi112ELi32ELi128ELNS_18Fp8KVCacheDataTypeE1ELb0EEEvPT_PKS2_PKT0_S8_ifPKiSA_iPKfiiiSC_SC_iiiii.private_seg_size, 0+max(.L_ZN4vllm22paged_attention_kernelIfhLi112ELi32ELi128ELNS_18Fp8KVCacheDataTypeE1ELb0ELi0EEEvPfS2_PT_PKS3_PKT0_S9_ifPKiSB_iPKfiiiSD_SD_iiiii.private_seg_size)
	.set _ZN4vllm25paged_attention_v1_kernelIfhLi112ELi32ELi128ELNS_18Fp8KVCacheDataTypeE1ELb0EEEvPT_PKS2_PKT0_S8_ifPKiSA_iPKfiiiSC_SC_iiiii.uses_vcc, or(1, .L_ZN4vllm22paged_attention_kernelIfhLi112ELi32ELi128ELNS_18Fp8KVCacheDataTypeE1ELb0ELi0EEEvPfS2_PT_PKS3_PKT0_S9_ifPKiSB_iPKfiiiSD_SD_iiiii.uses_vcc)
	.set _ZN4vllm25paged_attention_v1_kernelIfhLi112ELi32ELi128ELNS_18Fp8KVCacheDataTypeE1ELb0EEEvPT_PKS2_PKT0_S8_ifPKiSA_iPKfiiiSC_SC_iiiii.uses_flat_scratch, or(0, .L_ZN4vllm22paged_attention_kernelIfhLi112ELi32ELi128ELNS_18Fp8KVCacheDataTypeE1ELb0ELi0EEEvPfS2_PT_PKS3_PKT0_S9_ifPKiSB_iPKfiiiSD_SD_iiiii.uses_flat_scratch)
	.set _ZN4vllm25paged_attention_v1_kernelIfhLi112ELi32ELi128ELNS_18Fp8KVCacheDataTypeE1ELb0EEEvPT_PKS2_PKT0_S8_ifPKiSA_iPKfiiiSC_SC_iiiii.has_dyn_sized_stack, or(0, .L_ZN4vllm22paged_attention_kernelIfhLi112ELi32ELi128ELNS_18Fp8KVCacheDataTypeE1ELb0ELi0EEEvPfS2_PT_PKS3_PKT0_S9_ifPKiSB_iPKfiiiSD_SD_iiiii.has_dyn_sized_stack)
	.set _ZN4vllm25paged_attention_v1_kernelIfhLi112ELi32ELi128ELNS_18Fp8KVCacheDataTypeE1ELb0EEEvPT_PKS2_PKT0_S8_ifPKiSA_iPKfiiiSC_SC_iiiii.has_recursion, or(0, .L_ZN4vllm22paged_attention_kernelIfhLi112ELi32ELi128ELNS_18Fp8KVCacheDataTypeE1ELb0ELi0EEEvPfS2_PT_PKS3_PKT0_S9_ifPKiSB_iPKfiiiSD_SD_iiiii.has_recursion)
	.set _ZN4vllm25paged_attention_v1_kernelIfhLi112ELi32ELi128ELNS_18Fp8KVCacheDataTypeE1ELb0EEEvPT_PKS2_PKT0_S8_ifPKiSA_iPKfiiiSC_SC_iiiii.has_indirect_call, or(0, .L_ZN4vllm22paged_attention_kernelIfhLi112ELi32ELi128ELNS_18Fp8KVCacheDataTypeE1ELb0ELi0EEEvPfS2_PT_PKS3_PKT0_S9_ifPKiSB_iPKfiiiSD_SD_iiiii.has_indirect_call)
	.section	.AMDGPU.csdata,"",@progbits
; Kernel info:
; codeLenInByte = 224
; TotalNumSgprs: 42
; NumVgprs: 128
; ScratchSize: 1224
; MemoryBound: 0
; FloatMode: 240
; IeeeMode: 1
; LDSByteSize: 480 bytes/workgroup (compile time only)
; SGPRBlocks: 0
; VGPRBlocks: 15
; NumSGPRsForWavesPerEU: 42
; NumVGPRsForWavesPerEU: 128
; Occupancy: 8
; WaveLimiterHint : 1
; COMPUTE_PGM_RSRC2:SCRATCH_EN: 1
; COMPUTE_PGM_RSRC2:USER_SGPR: 6
; COMPUTE_PGM_RSRC2:TRAP_HANDLER: 0
; COMPUTE_PGM_RSRC2:TGID_X_EN: 1
; COMPUTE_PGM_RSRC2:TGID_Y_EN: 1
; COMPUTE_PGM_RSRC2:TGID_Z_EN: 1
; COMPUTE_PGM_RSRC2:TIDIG_COMP_CNT: 0
	.text
	.p2align	2                               ; -- Begin function _ZN4vllm22paged_attention_kernelIfhLi120ELi32ELi128ELNS_18Fp8KVCacheDataTypeE1ELb0ELi0EEEvPfS2_PT_PKS3_PKT0_S9_ifPKiSB_iPKfiiiSD_SD_iiiii
	.type	_ZN4vllm22paged_attention_kernelIfhLi120ELi32ELi128ELNS_18Fp8KVCacheDataTypeE1ELb0ELi0EEEvPfS2_PT_PKS3_PKT0_S9_ifPKiSB_iPKfiiiSD_SD_iiiii,@function
_ZN4vllm22paged_attention_kernelIfhLi120ELi32ELi128ELNS_18Fp8KVCacheDataTypeE1ELb0ELi0EEEvPfS2_PT_PKS3_PKT0_S9_ifPKiSB_iPKfiiiSD_SD_iiiii: ; @_ZN4vllm22paged_attention_kernelIfhLi120ELi32ELi128ELNS_18Fp8KVCacheDataTypeE1ELb0ELi0EEEvPfS2_PT_PKS3_PKT0_S9_ifPKiSB_iPKfiiiSD_SD_iiiii
; %bb.0:
	s_waitcnt vmcnt(0) expcnt(0) lgkmcnt(0)
	buffer_store_dword v40, off, s[0:3], s32 offset:188 ; 4-byte Folded Spill
	buffer_store_dword v41, off, s[0:3], s32 offset:184 ; 4-byte Folded Spill
	;; [unrolled: 1-line block ×47, first 2 shown]
	buffer_store_dword v127, off, s[0:3], s32 ; 4-byte Folded Spill
	s_mov_b32 s10, s13
	s_ashr_i32 s11, s13, 31
	buffer_store_dword v20, off, s[0:3], s32 offset:772 ; 4-byte Folded Spill
	buffer_store_dword v21, off, s[0:3], s32 offset:776 ; 4-byte Folded Spill
	;; [unrolled: 1-line block ×4, first 2 shown]
	s_lshl_b64 s[4:5], s[10:11], 2
	buffer_store_dword v1, off, s[0:3], s32 offset:1284 ; 4-byte Folded Spill
	buffer_store_dword v0, off, s[0:3], s32 offset:1288 ; 4-byte Folded Spill
	v_add_co_u32 v0, vcc_lo, v12, s4
	v_add_co_ci_u32_e64 v1, null, s5, v13, vcc_lo
	s_clause 0x1
	s_load_dword s4, s[8:9], 0x10
	s_load_dword s5, s[8:9], 0x0
	v_mov_b32_e32 v21, v6
	flat_load_dword v26, v[0:1]
	v_sub_nc_u32_e32 v0, 0, v8
	v_mov_b32_e32 v20, v7
	s_mov_b32 s16, s15
	v_max_i32_e32 v0, v8, v0
	v_cvt_f32_u32_e32 v1, v0
	v_sub_nc_u32_e32 v6, 0, v0
	v_rcp_iflag_f32_e32 v1, v1
	s_waitcnt lgkmcnt(0)
	s_lshr_b32 s4, s4, 16
	s_cmp_lg_u32 s4, 0
	s_cselect_b32 s4, -1, 0
	s_cmp_lg_u32 s4, 0
	s_addc_u32 s11, s5, 0
	v_mul_f32_e32 v1, 0x4f7ffffe, v1
	s_abs_i32 s4, s11
	s_mov_b32 s5, exec_lo
	v_cvt_u32_f32_e32 v1, v1
	v_mul_lo_u32 v6, v6, v1
	v_mul_hi_u32 v6, v1, v6
	v_add_nc_u32_e32 v1, v1, v6
	v_mul_hi_u32 v1, s4, v1
	v_mul_lo_u32 v6, v1, v0
	v_add_nc_u32_e32 v7, 1, v1
	v_sub_nc_u32_e32 v6, s4, v6
	s_abs_i32 s4, s12
	v_sub_nc_u32_e32 v9, v6, v0
	v_cmp_ge_u32_e32 vcc_lo, v6, v0
	v_cndmask_b32_e32 v1, v1, v7, vcc_lo
	v_cndmask_b32_e32 v6, v6, v9, vcc_lo
	v_xor_b32_e32 v7, s11, v8
	v_add_nc_u32_e32 v8, 1, v1
	v_cmp_ge_u32_e32 vcc_lo, v6, v0
	v_ashrrev_i32_e32 v7, 31, v7
	v_cndmask_b32_e32 v0, v1, v8, vcc_lo
	v_xor_b32_e32 v0, v0, v7
	v_sub_nc_u32_e32 v7, v0, v7
	v_sub_nc_u32_e32 v0, 0, v7
	v_max_i32_e32 v6, v7, v0
	v_cvt_f32_u32_e32 v0, v6
	v_sub_nc_u32_e32 v1, 0, v6
	v_rcp_iflag_f32_e32 v0, v0
	v_mul_f32_e32 v0, 0x4f7ffffe, v0
	v_cvt_u32_f32_e32 v0, v0
	v_mul_lo_u32 v1, v1, v0
	v_mul_hi_u32 v1, v0, v1
	v_add_nc_u32_e32 v0, v0, v1
	v_mad_u64_u32 v[0:1], null, s4, v0, 0
	v_mov_b32_e32 v0, 0
	buffer_store_dword v0, off, s[0:3], s32 offset:768 ; 4-byte Folded Spill
	v_cmpx_ne_u64_e32 0, v[15:16]
	s_cbranch_execz .LBB226_2
; %bb.1:
	s_ashr_i32 s13, s12, 31
	s_lshl_b64 s[6:7], s[12:13], 2
	v_add_co_u32 v8, vcc_lo, v15, s6
	v_add_co_ci_u32_e64 v9, null, s7, v16, vcc_lo
	flat_load_dword v0, v[8:9]
	s_waitcnt vmcnt(0) lgkmcnt(0)
	buffer_store_dword v0, off, s[0:3], s32 offset:768 ; 4-byte Folded Spill
.LBB226_2:
	s_or_b32 exec_lo, exec_lo, s5
	v_and_b32_e32 v12, 0x3ff, v31
	v_ashrrev_i32_e32 v0, 31, v7
	s_ashr_i32 s5, s12, 31
	s_mulk_i32 s12, 0x78
	s_mov_b32 s6, exec_lo
	v_cmpx_gt_u32_e32 30, v12
	s_cbranch_execz .LBB226_4
; %bb.3:
	v_mul_lo_u32 v7, v17, s10
	s_ashr_i32 s13, s12, 31
	v_lshlrev_b32_e32 v13, 4, v12
	s_lshl_b64 s[18:19], s[12:13], 2
	v_ashrrev_i32_e32 v8, 31, v7
	v_lshlrev_b64 v[7:8], 2, v[7:8]
	v_add_co_u32 v2, vcc_lo, v2, v7
	v_add_co_ci_u32_e64 v3, null, v3, v8, vcc_lo
	v_add_co_u32 v2, vcc_lo, v2, s18
	v_add_co_ci_u32_e64 v3, null, s19, v3, vcc_lo
	v_add_co_u32 v2, vcc_lo, v2, v13
	v_add_co_ci_u32_e64 v3, null, 0, v3, vcc_lo
	flat_load_dwordx4 v[15:18], v[2:3]
	s_waitcnt vmcnt(0) lgkmcnt(0)
	ds_write_b128 v13, v[15:18]
.LBB226_4:
	s_or_b32 exec_lo, exec_lo, s6
	v_mul_lo_u32 v2, v1, v6
	v_add_nc_u32_e32 v3, 1, v1
	v_xor_b32_e32 v8, s5, v0
	s_clause 0x1
	s_load_dword s6, s[8:9], 0x14
	s_load_dword s8, s[8:9], 0x8
	v_mul_lo_u32 v0, v14, s10
	buffer_store_dword v12, off, s[0:3], s32 offset:1272 ; 4-byte Folded Spill
	v_lshrrev_b32_e32 v9, 3, v12
	s_mov_b32 s7, exec_lo
	v_sub_nc_u32_e32 v2, s4, v2
	v_sub_nc_u32_e32 v7, v2, v6
	v_cmp_ge_u32_e32 vcc_lo, v2, v6
	v_cndmask_b32_e32 v1, v1, v3, vcc_lo
	v_cndmask_b32_e32 v2, v2, v7, vcc_lo
	s_waitcnt vmcnt(0)
	v_add_nc_u32_e32 v7, 31, v26
	v_add_nc_u32_e32 v3, 1, v1
	v_cmp_ge_u32_e32 vcc_lo, v2, v6
	v_ashrrev_i32_e32 v2, 31, v7
	v_lshrrev_b32_e32 v6, 5, v12
	v_cndmask_b32_e32 v1, v1, v3, vcc_lo
	v_lshrrev_b32_e32 v2, 27, v2
	v_xor_b32_e32 v1, v1, v8
	v_add_nc_u32_e32 v2, v7, v2
	v_mov_b32_e32 v7, 0xff7fffff
	v_sub_nc_u32_e32 v3, v1, v8
	v_ashrrev_i32_e32 v1, 31, v0
	v_mul_lo_u32 v15, v3, v19
	v_ashrrev_i32_e32 v3, 5, v2
	v_and_b32_e32 v2, 31, v12
	v_lshlrev_b64 v[13:14], 2, v[0:1]
	buffer_store_dword v6, off, s[0:3], s32 offset:1280 ; 4-byte Folded Spill
	buffer_store_dword v3, off, s[0:3], s32 offset:192 ; 4-byte Folded Spill
	v_cmp_ge_i32_e64 s4, v6, v3
	v_lshlrev_b32_e32 v16, 2, v2
	v_ashrrev_i32_e32 v12, 31, v15
	buffer_store_dword v2, off, s[0:3], s32 offset:1276 ; 4-byte Folded Spill
	s_waitcnt lgkmcnt(0)
	s_waitcnt_vscnt null, 0x0
	s_barrier
	buffer_gl0_inv
	v_cmpx_lt_i32_e64 v6, v3
	s_cbranch_execz .LBB226_968
; %bb.5:
	buffer_store_dword v21, off, s[0:3], s32 offset:1312 ; 4-byte Folded Spill
	buffer_store_dword v20, off, s[0:3], s32 offset:1308 ; 4-byte Folded Spill
	;; [unrolled: 1-line block ×5, first 2 shown]
	v_add_co_u32 v0, vcc_lo, v4, v15
	buffer_load_dword v4, off, s[0:3], s32 offset:1276 ; 4-byte Folded Reload
	v_add_co_ci_u32_e64 v2, null, v5, v12, vcc_lo
	v_mov_b32_e32 v1, 0
	buffer_store_dword v12, off, s[0:3], s32 offset:1332 ; 4-byte Folded Spill
	s_ashr_i32 s17, s16, 31
	v_mov_b32_e32 v119, 0x80
	s_lshl_b64 s[18:19], s[16:17], 2
	s_getpc_b64 s[20:21]
	s_add_u32 s20, s20, llvm.amdgcn.dynlds.offset.table@rel32@lo+4
	s_addc_u32 s21, s21, llvm.amdgcn.dynlds.offset.table@rel32@hi+12
	s_add_u32 s18, s20, s18
	s_addc_u32 s19, s21, s19
	v_bfrev_b32_e32 v21, 1
	v_mov_b32_e32 v17, 0x7f800001
	s_mov_b32 s9, 0
	s_waitcnt vmcnt(0)
	v_lshlrev_b32_e32 v3, 4, v4
	v_add_co_u32 v5, vcc_lo, v0, v3
	v_add_co_ci_u32_e64 v6, null, 0, v2, vcc_lo
	buffer_store_dword v5, off, s[0:3], s32 offset:784 ; 4-byte Folded Spill
	buffer_store_dword v6, off, s[0:3], s32 offset:788 ; 4-byte Folded Spill
	ds_read_b128 v[5:8], v1
	s_waitcnt lgkmcnt(0)
	buffer_store_dword v5, off, s[0:3], s32 offset:792 ; 4-byte Folded Spill
	buffer_store_dword v6, off, s[0:3], s32 offset:796 ; 4-byte Folded Spill
	buffer_store_dword v7, off, s[0:3], s32 offset:800 ; 4-byte Folded Spill
	buffer_store_dword v8, off, s[0:3], s32 offset:804 ; 4-byte Folded Spill
	ds_read_b128 v[5:8], v1 offset:16
	s_waitcnt lgkmcnt(0)
	buffer_store_dword v5, off, s[0:3], s32 offset:808 ; 4-byte Folded Spill
	buffer_store_dword v6, off, s[0:3], s32 offset:812 ; 4-byte Folded Spill
	buffer_store_dword v7, off, s[0:3], s32 offset:816 ; 4-byte Folded Spill
	buffer_store_dword v8, off, s[0:3], s32 offset:820 ; 4-byte Folded Spill
	ds_read_b128 v[5:8], v1 offset:32
	;; [unrolled: 6-line block ×24, first 2 shown]
	s_waitcnt lgkmcnt(0)
	buffer_store_dword v5, off, s[0:3], s32 offset:1176 ; 4-byte Folded Spill
	buffer_store_dword v6, off, s[0:3], s32 offset:1180 ; 4-byte Folded Spill
	buffer_store_dword v7, off, s[0:3], s32 offset:1184 ; 4-byte Folded Spill
	buffer_store_dword v8, off, s[0:3], s32 offset:1188 ; 4-byte Folded Spill
	buffer_load_dword v0, off, s[0:3], s32 offset:768 ; 4-byte Folded Reload
	ds_read_b128 v[5:8], v1 offset:400
	s_waitcnt lgkmcnt(0)
	buffer_store_dword v5, off, s[0:3], s32 offset:1192 ; 4-byte Folded Spill
	buffer_store_dword v6, off, s[0:3], s32 offset:1196 ; 4-byte Folded Spill
	buffer_store_dword v7, off, s[0:3], s32 offset:1200 ; 4-byte Folded Spill
	buffer_store_dword v8, off, s[0:3], s32 offset:1204 ; 4-byte Folded Spill
	ds_read_b128 v[5:8], v1 offset:416
	s_waitcnt lgkmcnt(0)
	buffer_store_dword v5, off, s[0:3], s32 offset:1208 ; 4-byte Folded Spill
	buffer_store_dword v6, off, s[0:3], s32 offset:1212 ; 4-byte Folded Spill
	buffer_store_dword v7, off, s[0:3], s32 offset:1216 ; 4-byte Folded Spill
	buffer_store_dword v8, off, s[0:3], s32 offset:1220 ; 4-byte Folded Spill
	;; [unrolled: 6-line block ×5, first 2 shown]
	s_load_dword s13, s[18:19], 0x0
	buffer_store_dword v9, off, s[0:3], s32 offset:1324 ; 4-byte Folded Spill
	v_mov_b32_e32 v7, 0xff7fffff
	s_waitcnt vmcnt(0)
	v_cmp_neq_f32_e32 vcc_lo, 0, v0
	v_and_b32_e32 v0, 0x7c, v9
	v_add_co_u32 v0, s5, v0, v13
	buffer_store_dword v13, off, s[0:3], s32 offset:1316 ; 4-byte Folded Spill
	buffer_store_dword v14, off, s[0:3], s32 offset:1320 ; 4-byte Folded Spill
	buffer_load_dword v58, off, s[0:3], s32 offset:1280 ; 4-byte Folded Reload
	buffer_store_dword v10, off, s[0:3], s32 offset:1296 ; 4-byte Folded Spill
	buffer_store_dword v11, off, s[0:3], s32 offset:1292 ; 4-byte Folded Spill
	;; [unrolled: 1-line block ×3, first 2 shown]
	v_add_co_ci_u32_e64 v2, null, 0, v14, s5
	v_add_co_u32 v5, s5, v10, v0
	s_waitcnt vmcnt(0)
	v_lshl_or_b32 v0, v58, 7, v16
	v_add_co_ci_u32_e64 v6, null, v11, v2, s5
	v_lshl_or_b32 v118, v58, 5, v4
	s_waitcnt lgkmcnt(0)
	v_add_nc_u32_e32 v20, s13, v0
	s_branch .LBB226_10
.LBB226_6:                              ;   in Loop: Header=BB226_10 Depth=1
	s_or_b32 exec_lo, exec_lo, s18
	v_mov_b32_e32 v19, 24
	v_lshlrev_b32_e32 v0, 20, v0
	v_lshl_add_u32 v16, v16, 23, 0x3c000000
	v_mov_b32_e32 v122, v1
	v_lshlrev_b32_sdwa v18, v19, v18 dst_sel:DWORD dst_unused:UNUSED_PAD src0_sel:DWORD src1_sel:BYTE_3
	v_and_b32_e32 v18, 0x80000000, v18
	v_or3_b32 v123, v0, v18, v16
.LBB226_7:                              ;   in Loop: Header=BB226_10 Depth=1
	s_or_b32 exec_lo, exec_lo, s17
.LBB226_8:                              ;   in Loop: Header=BB226_10 Depth=1
	s_or_b32 exec_lo, exec_lo, s15
	v_mov_b32_e32 v20, v12
	v_mov_b32_e32 v58, v27
.LBB226_9:                              ;   in Loop: Header=BB226_10 Depth=1
	s_or_b32 exec_lo, exec_lo, s13
	v_or_b32_e32 v0, v3, v127
	v_or_b32_e32 v2, v2, v126
	;; [unrolled: 1-line block ×5, first 2 shown]
	v_mul_f32_e32 v0, v13, v0
	v_or_b32_e32 v19, v106, v78
	v_or_b32_e32 v14, v14, v48
	;; [unrolled: 1-line block ×4, first 2 shown]
	buffer_store_dword v0, off, s[0:3], s32 offset:724 ; 4-byte Folded Spill
	v_mul_f32_e32 v0, v13, v2
	v_or_b32_e32 v2, v11, v25
	v_or_b32_e32 v11, v109, v95
	v_mul_f32_e32 v24, v13, v14
	v_mul_f32_e32 v14, v13, v7
	buffer_store_dword v0, off, s[0:3], s32 offset:732 ; 4-byte Folded Spill
	v_mul_f32_e32 v0, v13, v2
	v_or_b32_e32 v5, v123, v5
	v_or_b32_e32 v4, v122, v4
	v_cmp_lt_i32_e64 s5, v118, v26
	v_mul_f32_e32 v36, v13, v6
	buffer_store_dword v0, off, s[0:3], s32 offset:728 ; 4-byte Folded Spill
	v_mul_f32_e32 v0, v13, v10
	v_mul_f32_e32 v122, v13, v5
	;; [unrolled: 1-line block ×3, first 2 shown]
	v_add_nc_u32_e32 v58, 4, v58
	buffer_store_dword v0, off, s[0:3], s32 offset:736 ; 4-byte Folded Spill
	v_mul_f32_e32 v0, v13, v11
	buffer_store_dword v0, off, s[0:3], s32 offset:740 ; 4-byte Folded Spill
	v_mul_f32_e32 v0, v13, v16
	v_or_b32_e32 v16, v111, v125
	buffer_store_dword v0, off, s[0:3], s32 offset:748 ; 4-byte Folded Spill
	v_mul_f32_e32 v0, v13, v16
	buffer_store_dword v0, off, s[0:3], s32 offset:744 ; 4-byte Folded Spill
	v_mul_f32_e32 v0, v13, v18
	v_or_b32_e32 v18, v107, v79
	buffer_store_dword v0, off, s[0:3], s32 offset:752 ; 4-byte Folded Spill
	v_mul_f32_e32 v0, v13, v18
	v_or_b32_e32 v18, v93, v121
	;; [unrolled: 3-line block ×4, first 2 shown]
	v_mul_f32_e32 v92, v13, v19
	v_or_b32_e32 v19, v90, v62
	buffer_store_dword v0, off, s[0:3], s32 offset:760 ; 4-byte Folded Spill
	s_clause 0x1
	buffer_load_dword v2, off, s[0:3], s32 offset:700
	buffer_load_dword v3, off, s[0:3], s32 offset:704
	v_mul_f32_e32 v78, v13, v18
	v_or_b32_e32 v18, v77, v105
	v_mul_f32_e32 v90, v13, v19
	v_or_b32_e32 v19, v76, v104
	;; [unrolled: 2-line block ×34, first 2 shown]
	v_mul_f32_e32 v29, v13, v18
	v_mul_f32_e32 v30, v13, v19
	s_waitcnt vmcnt(1)
	v_or_b32_e32 v18, v34, v2
	s_waitcnt vmcnt(0)
	v_or_b32_e32 v9, v35, v3
	v_sub_nc_u32_e32 v3, 1, v26
	v_mul_f32_e32 v31, v13, v18
	v_mul_f32_e32 v2, v13, v9
	v_or_b32_e32 v9, v15, v49
	v_add_nc_u32_e32 v3, v3, v118
	v_mul_f32_e32 v16, v13, v9
	s_clause 0x3
	buffer_load_dword v8, off, s[0:3], s32 offset:676
	buffer_load_dword v9, off, s[0:3], s32 offset:680
	;; [unrolled: 1-line block ×4, first 2 shown]
	v_cvt_f32_i32_e32 v3, v3
	s_waitcnt vmcnt(1)
	v_or_b32_e32 v18, v10, v8
	s_waitcnt vmcnt(0)
	v_or_b32_e32 v15, v11, v9
	s_clause 0x1
	buffer_load_dword v8, off, s[0:3], s32 offset:692
	buffer_load_dword v9, off, s[0:3], s32 offset:696
	v_mul_f32_e32 v19, v13, v18
	v_mul_f32_e32 v15, v13, v15
	s_waitcnt vmcnt(1)
	v_or_b32_e32 v32, v32, v8
	s_waitcnt vmcnt(0)
	v_or_b32_e32 v18, v33, v9
	s_clause 0x3
	buffer_load_dword v8, off, s[0:3], s32 offset:644
	buffer_load_dword v9, off, s[0:3], s32 offset:648
	buffer_load_dword v10, off, s[0:3], s32 offset:652
	buffer_load_dword v11, off, s[0:3], s32 offset:656
	v_mul_f32_e32 v32, v13, v32
	v_mul_f32_e32 v18, v13, v18
	s_waitcnt vmcnt(1)
	v_or_b32_e32 v34, v10, v8
	s_waitcnt vmcnt(0)
	v_or_b32_e32 v33, v11, v9
	s_clause 0x3
	buffer_load_dword v8, off, s[0:3], s32 offset:660
	buffer_load_dword v9, off, s[0:3], s32 offset:664
	;; [unrolled: 11-line block ×30, first 2 shown]
	buffer_load_dword v10, off, s[0:3], s32 offset:220
	buffer_load_dword v11, off, s[0:3], s32 offset:224
	v_mul_f32_e32 v12, v13, v12
	v_mul_f32_e32 v127, v13, v127
	s_waitcnt vmcnt(1)
	v_or_b32_e32 v27, v8, v10
	buffer_load_dword v10, off, s[0:3], s32 offset:768 ; 4-byte Folded Reload
	s_waitcnt vmcnt(1)
	v_or_b32_e32 v0, v9, v11
	v_mov_b32_e32 v11, v118
	v_mul_f32_e32 v27, v13, v27
	v_mul_f32_e32 v0, v13, v0
	s_waitcnt vmcnt(0)
	v_mul_f32_e32 v3, v10, v3
	s_clause 0x3
	buffer_load_dword v7, off, s[0:3], s32 offset:808
	buffer_load_dword v8, off, s[0:3], s32 offset:812
	;; [unrolled: 1-line block ×4, first 2 shown]
	v_cndmask_b32_e32 v118, 0, v3, vcc_lo
	s_clause 0x3
	buffer_load_dword v3, off, s[0:3], s32 offset:792
	buffer_load_dword v4, off, s[0:3], s32 offset:796
	;; [unrolled: 1-line block ×4, first 2 shown]
	s_waitcnt vmcnt(7)
	v_mul_f32_e32 v13, v7, v67
	s_waitcnt vmcnt(6)
	v_mul_f32_e32 v37, v8, v53
	;; [unrolled: 2-line block ×4, first 2 shown]
	s_waitcnt vmcnt(3)
	v_fmac_f32_e32 v13, v3, v12
	s_waitcnt vmcnt(2)
	v_fmac_f32_e32 v37, v4, v127
	s_waitcnt vmcnt(1)
	v_fmac_f32_e32 v53, v5, v27
	s_waitcnt vmcnt(0)
	v_fmac_f32_e32 v67, v6, v0
	s_clause 0x3
	buffer_load_dword v3, off, s[0:3], s32 offset:824
	buffer_load_dword v4, off, s[0:3], s32 offset:828
	buffer_load_dword v5, off, s[0:3], s32 offset:832
	buffer_load_dword v6, off, s[0:3], s32 offset:836
	s_waitcnt vmcnt(3)
	v_fmac_f32_e32 v13, v3, v124
	s_waitcnt vmcnt(2)
	v_fmac_f32_e32 v37, v4, v121
	s_waitcnt vmcnt(1)
	v_fmac_f32_e32 v53, v5, v126
	s_waitcnt vmcnt(0)
	v_fmac_f32_e32 v67, v6, v125
	s_clause 0x3
	buffer_load_dword v3, off, s[0:3], s32 offset:840
	buffer_load_dword v4, off, s[0:3], s32 offset:844
	buffer_load_dword v5, off, s[0:3], s32 offset:848
	buffer_load_dword v6, off, s[0:3], s32 offset:852
	;; [unrolled: 13-line block ×15, first 2 shown]
	s_waitcnt vmcnt(3)
	v_fmac_f32_e32 v13, v3, v31
	s_waitcnt vmcnt(2)
	v_fmac_f32_e32 v37, v4, v2
	;; [unrolled: 2-line block ×3, first 2 shown]
	s_clause 0x3
	buffer_load_dword v2, off, s[0:3], s32 offset:1064
	buffer_load_dword v3, off, s[0:3], s32 offset:1068
	;; [unrolled: 1-line block ×4, first 2 shown]
	s_waitcnt vmcnt(4)
	v_fmac_f32_e32 v67, v6, v16
	s_waitcnt vmcnt(3)
	v_fmac_f32_e32 v13, v2, v50
	;; [unrolled: 2-line block ×5, first 2 shown]
	s_clause 0x3
	buffer_load_dword v2, off, s[0:3], s32 offset:1080
	buffer_load_dword v3, off, s[0:3], s32 offset:1084
	buffer_load_dword v4, off, s[0:3], s32 offset:1088
	buffer_load_dword v5, off, s[0:3], s32 offset:1092
	s_waitcnt vmcnt(3)
	v_fmac_f32_e32 v13, v2, v66
	s_waitcnt vmcnt(2)
	v_fmac_f32_e32 v37, v3, v38
	s_waitcnt vmcnt(1)
	v_fmac_f32_e32 v53, v4, v52
	s_waitcnt vmcnt(0)
	v_fmac_f32_e32 v67, v5, v39
	s_clause 0x3
	buffer_load_dword v2, off, s[0:3], s32 offset:1096
	buffer_load_dword v3, off, s[0:3], s32 offset:1100
	buffer_load_dword v4, off, s[0:3], s32 offset:1104
	buffer_load_dword v5, off, s[0:3], s32 offset:1108
	s_waitcnt vmcnt(3)
	v_fmac_f32_e32 v13, v2, v82
	s_waitcnt vmcnt(2)
	v_fmac_f32_e32 v37, v3, v54
	s_waitcnt vmcnt(1)
	v_fmac_f32_e32 v53, v4, v68
	s_waitcnt vmcnt(0)
	v_fmac_f32_e32 v67, v5, v55
	;; [unrolled: 13-line block ×8, first 2 shown]
	s_clause 0x4
	buffer_load_dword v2, off, s[0:3], s32 offset:1208
	buffer_load_dword v3, off, s[0:3], s32 offset:1212
	;; [unrolled: 1-line block ×5, first 2 shown]
	s_waitcnt vmcnt(2)
	v_fmac_f32_e32 v53, v4, v92
	s_waitcnt vmcnt(0)
	v_fmac_f32_e32 v13, v2, v0
	buffer_load_dword v0, off, s[0:3], s32 offset:756 ; 4-byte Folded Reload
	s_waitcnt vmcnt(0)
	v_fmac_f32_e32 v37, v3, v0
	buffer_load_dword v0, off, s[0:3], s32 offset:760 ; 4-byte Folded Reload
	s_waitcnt vmcnt(0)
	v_fmac_f32_e32 v67, v5, v0
	s_clause 0x4
	buffer_load_dword v2, off, s[0:3], s32 offset:1224
	buffer_load_dword v3, off, s[0:3], s32 offset:1228
	buffer_load_dword v4, off, s[0:3], s32 offset:1232
	buffer_load_dword v5, off, s[0:3], s32 offset:1236
	buffer_load_dword v0, off, s[0:3], s32 offset:748
	s_waitcnt vmcnt(0)
	v_fmac_f32_e32 v13, v2, v0
	buffer_load_dword v0, off, s[0:3], s32 offset:740 ; 4-byte Folded Reload
	s_waitcnt vmcnt(0)
	v_fmac_f32_e32 v37, v3, v0
	buffer_load_dword v0, off, s[0:3], s32 offset:752 ; 4-byte Folded Reload
	s_waitcnt vmcnt(0)
	v_fmac_f32_e32 v53, v4, v0
	buffer_load_dword v0, off, s[0:3], s32 offset:744 ; 4-byte Folded Reload
	s_waitcnt vmcnt(0)
	v_fmac_f32_e32 v67, v5, v0
	s_clause 0x4
	buffer_load_dword v2, off, s[0:3], s32 offset:1240
	buffer_load_dword v3, off, s[0:3], s32 offset:1244
	buffer_load_dword v4, off, s[0:3], s32 offset:1248
	buffer_load_dword v5, off, s[0:3], s32 offset:1252
	buffer_load_dword v0, off, s[0:3], s32 offset:732
	s_waitcnt vmcnt(0)
	v_fmac_f32_e32 v13, v2, v0
	buffer_load_dword v0, off, s[0:3], s32 offset:724 ; 4-byte Folded Reload
	;; [unrolled: 17-line block ×3, first 2 shown]
	s_waitcnt vmcnt(4)
	v_fmac_f32_e32 v37, v3, v14
	s_waitcnt vmcnt(3)
	v_fmac_f32_e32 v53, v4, v123
	s_waitcnt vmcnt(2)
	v_fmac_f32_e32 v67, v5, v122
	v_add_f32_e32 v0, v13, v37
	v_add_f32_e32 v0, v53, v0
	;; [unrolled: 1-line block ×3, first 2 shown]
	s_waitcnt vmcnt(0)
	v_fmac_f32_e32 v118, v2, v0
	v_cndmask_b32_e64 v0, 0, v118, s5
	ds_write_b32 v20, v0
	v_max_f32_e32 v0, v7, v7
	s_clause 0x1
	buffer_load_dword v5, off, s[0:3], s32 offset:716
	buffer_load_dword v6, off, s[0:3], s32 offset:720
	v_add_nc_u32_e32 v20, 0x200, v20
	v_max_f32_e32 v0, v0, v118
	v_mov_b32_e32 v118, v11
	v_cndmask_b32_e64 v7, v7, v0, s5
	buffer_load_dword v0, off, s[0:3], s32 offset:192 ; 4-byte Folded Reload
	v_add_nc_u32_e32 v118, 0x80, v118
	s_waitcnt vmcnt(2)
	v_add_co_u32 v5, s5, v5, 16
	s_waitcnt vmcnt(1)
	v_add_co_ci_u32_e64 v6, null, 0, v6, s5
	s_waitcnt vmcnt(0)
	v_cmp_ge_i32_e64 s5, v58, v0
	s_or_b32 s9, s5, s9
	s_andn2_b32 exec_lo, exec_lo, s9
	s_cbranch_execz .LBB226_967
.LBB226_10:                             ; =>This Inner Loop Header: Depth=1
	buffer_store_dword v7, off, s[0:3], s32 offset:712 ; 4-byte Folded Spill
	buffer_store_dword v5, off, s[0:3], s32 offset:716 ; 4-byte Folded Spill
	;; [unrolled: 1-line block ×3, first 2 shown]
	v_mov_b32_e32 v27, v58
	v_mov_b32_e32 v12, v20
	flat_load_dword v0, v[5:6]
	s_clause 0x2
	buffer_load_dword v2, off, s[0:3], s32 offset:708
	buffer_load_dword v3, off, s[0:3], s32 offset:784
	;; [unrolled: 1-line block ×3, first 2 shown]
	s_waitcnt vmcnt(0) lgkmcnt(0)
	v_mad_i64_i32 v[8:9], null, v0, v2, v[3:4]
	flat_load_dword v2, v[8:9]
	s_clause 0x1
	buffer_load_dword v3, off, s[0:3], s32 offset:772
	buffer_load_dword v4, off, s[0:3], s32 offset:776
	s_waitcnt vmcnt(2) lgkmcnt(0)
	v_cmp_ne_u16_sdwa s5, v2, v1 src0_sel:BYTE_0 src1_sel:DWORD
	s_waitcnt vmcnt(0)
	flat_load_dword v13, v[3:4]
	v_mov_b32_e32 v3, 0
	v_mov_b32_e32 v4, 0
	buffer_store_dword v3, off, s[0:3], s32 offset:204 ; 4-byte Folded Spill
	buffer_store_dword v4, off, s[0:3], s32 offset:208 ; 4-byte Folded Spill
	v_mov_b32_e32 v3, 0
	v_mov_b32_e32 v4, 0
	buffer_store_dword v3, off, s[0:3], s32 offset:196 ; 4-byte Folded Spill
	buffer_store_dword v4, off, s[0:3], s32 offset:200 ; 4-byte Folded Spill
	s_and_saveexec_b32 s13, s5
	s_cbranch_execz .LBB226_18
; %bb.11:                               ;   in Loop: Header=BB226_10 Depth=1
	v_bfrev_b32_e32 v3, 1
	v_mov_b32_e32 v4, 0
	v_cmp_ne_u16_sdwa s5, v2, v119 src0_sel:BYTE_0 src1_sel:DWORD
	buffer_store_dword v3, off, s[0:3], s32 offset:196 ; 4-byte Folded Spill
	buffer_store_dword v4, off, s[0:3], s32 offset:200 ; 4-byte Folded Spill
	s_and_saveexec_b32 s15, s5
	s_cbranch_execz .LBB226_17
; %bb.12:                               ;   in Loop: Header=BB226_10 Depth=1
	v_mov_b32_e32 v5, 0x7f800001
	v_and_b32_e32 v4, 0x7f, v2
	v_mov_b32_e32 v6, 0
	s_mov_b32 s17, exec_lo
	buffer_store_dword v5, off, s[0:3], s32 offset:196 ; 4-byte Folded Spill
	buffer_store_dword v6, off, s[0:3], s32 offset:200 ; 4-byte Folded Spill
	v_cmpx_ne_u32_e32 0x7f, v4
	s_cbranch_execz .LBB226_16
; %bb.13:                               ;   in Loop: Header=BB226_10 Depth=1
	v_and_b32_e32 v0, 7, v2
	v_lshrrev_b32_e32 v3, 3, v4
	s_mov_b32 s18, exec_lo
	v_cmpx_gt_u32_e32 8, v4
; %bb.14:                               ;   in Loop: Header=BB226_10 Depth=1
	v_ffbh_u32_e32 v3, v0
	v_min_u32_e32 v3, 32, v3
	v_subrev_nc_u32_e32 v4, 28, v3
	v_sub_nc_u32_e32 v3, 29, v3
	v_lshlrev_b64 v[4:5], v4, v[0:1]
	v_and_b32_e32 v0, 7, v4
; %bb.15:                               ;   in Loop: Header=BB226_10 Depth=1
	s_or_b32 exec_lo, exec_lo, s18
	v_lshlrev_b32_e32 v4, 24, v2
	v_lshlrev_b32_e32 v0, 20, v0
	v_lshl_add_u32 v3, v3, 23, 0x3c000000
	v_and_b32_e32 v4, 0x80000000, v4
	v_or3_b32 v0, v0, v4, v3
	buffer_store_dword v0, off, s[0:3], s32 offset:196 ; 4-byte Folded Spill
	buffer_store_dword v1, off, s[0:3], s32 offset:200 ; 4-byte Folded Spill
.LBB226_16:                             ;   in Loop: Header=BB226_10 Depth=1
	s_or_b32 exec_lo, exec_lo, s17
.LBB226_17:                             ;   in Loop: Header=BB226_10 Depth=1
	s_or_b32 exec_lo, exec_lo, s15
.LBB226_18:                             ;   in Loop: Header=BB226_10 Depth=1
	s_or_b32 exec_lo, exec_lo, s13
	v_cmp_ne_u16_sdwa s5, v2, v1 src0_sel:BYTE_1 src1_sel:DWORD
	s_and_saveexec_b32 s13, s5
	s_cbranch_execz .LBB226_26
; %bb.19:                               ;   in Loop: Header=BB226_10 Depth=1
	v_mov_b32_e32 v20, v1
	v_cmp_ne_u16_sdwa s5, v2, v119 src0_sel:BYTE_1 src1_sel:DWORD
	buffer_store_dword v20, off, s[0:3], s32 offset:204 ; 4-byte Folded Spill
	buffer_store_dword v21, off, s[0:3], s32 offset:208 ; 4-byte Folded Spill
	s_and_saveexec_b32 s15, s5
	s_cbranch_execz .LBB226_25
; %bb.20:                               ;   in Loop: Header=BB226_10 Depth=1
	v_mov_b32_e32 v0, 0xffff
	v_mov_b32_e32 v16, v1
	s_mov_b32 s17, exec_lo
	buffer_store_dword v16, off, s[0:3], s32 offset:204 ; 4-byte Folded Spill
	buffer_store_dword v17, off, s[0:3], s32 offset:208 ; 4-byte Folded Spill
	v_and_b32_sdwa v0, v0, v2 dst_sel:DWORD dst_unused:UNUSED_PAD src0_sel:DWORD src1_sel:BYTE_1
	v_and_b32_e32 v4, 0x7f, v0
	v_cmpx_ne_u32_e32 0x7f, v4
	s_cbranch_execz .LBB226_24
; %bb.21:                               ;   in Loop: Header=BB226_10 Depth=1
	v_and_b32_e32 v0, 7, v0
	v_lshrrev_b32_e32 v3, 3, v4
	s_mov_b32 s18, exec_lo
	v_cmpx_gt_u32_e32 8, v4
; %bb.22:                               ;   in Loop: Header=BB226_10 Depth=1
	v_ffbh_u32_e32 v3, v0
	v_min_u32_e32 v3, 32, v3
	v_subrev_nc_u32_e32 v4, 28, v3
	v_sub_nc_u32_e32 v3, 29, v3
	v_lshlrev_b64 v[4:5], v4, v[0:1]
	v_and_b32_e32 v0, 7, v4
; %bb.23:                               ;   in Loop: Header=BB226_10 Depth=1
	s_or_b32 exec_lo, exec_lo, s18
	v_lshlrev_b32_e32 v4, 16, v2
	v_lshlrev_b32_e32 v0, 20, v0
	v_lshl_add_u32 v3, v3, 23, 0x3c000000
	v_and_b32_e32 v4, 0x80000000, v4
	v_or3_b32 v4, v0, v4, v3
	v_mov_b32_e32 v3, v1
	buffer_store_dword v3, off, s[0:3], s32 offset:204 ; 4-byte Folded Spill
	buffer_store_dword v4, off, s[0:3], s32 offset:208 ; 4-byte Folded Spill
.LBB226_24:                             ;   in Loop: Header=BB226_10 Depth=1
	s_or_b32 exec_lo, exec_lo, s17
.LBB226_25:                             ;   in Loop: Header=BB226_10 Depth=1
	s_or_b32 exec_lo, exec_lo, s15
.LBB226_26:                             ;   in Loop: Header=BB226_10 Depth=1
	s_or_b32 exec_lo, exec_lo, s13
	v_mov_b32_e32 v3, 0
	v_mov_b32_e32 v4, 0
	;; [unrolled: 1-line block ×3, first 2 shown]
	s_mov_b32 s13, exec_lo
	buffer_store_dword v3, off, s[0:3], s32 offset:212 ; 4-byte Folded Spill
	buffer_store_dword v4, off, s[0:3], s32 offset:216 ; 4-byte Folded Spill
	v_mov_b32_e32 v3, 0
	v_and_b32_sdwa v0, v2, v0 dst_sel:DWORD dst_unused:UNUSED_PAD src0_sel:WORD_1 src1_sel:DWORD
	v_mov_b32_e32 v4, 0
	buffer_store_dword v3, off, s[0:3], s32 offset:220 ; 4-byte Folded Spill
	buffer_store_dword v4, off, s[0:3], s32 offset:224 ; 4-byte Folded Spill
	v_cmpx_ne_u16_e32 0, v0
	s_cbranch_execz .LBB226_34
; %bb.27:                               ;   in Loop: Header=BB226_10 Depth=1
	v_bfrev_b32_e32 v3, 1
	v_mov_b32_e32 v4, 0
	s_mov_b32 s15, exec_lo
	buffer_store_dword v3, off, s[0:3], s32 offset:220 ; 4-byte Folded Spill
	buffer_store_dword v4, off, s[0:3], s32 offset:224 ; 4-byte Folded Spill
	v_cmpx_ne_u16_e32 0x80, v0
	s_cbranch_execz .LBB226_33
; %bb.28:                               ;   in Loop: Header=BB226_10 Depth=1
	v_mov_b32_e32 v5, 0x7f800001
	v_bfe_u32 v4, v2, 16, 7
	v_mov_b32_e32 v6, 0
	s_mov_b32 s17, exec_lo
	buffer_store_dword v5, off, s[0:3], s32 offset:220 ; 4-byte Folded Spill
	buffer_store_dword v6, off, s[0:3], s32 offset:224 ; 4-byte Folded Spill
	v_cmpx_ne_u32_e32 0x7f, v4
	s_cbranch_execz .LBB226_32
; %bb.29:                               ;   in Loop: Header=BB226_10 Depth=1
	v_mov_b32_e32 v0, 7
	v_lshrrev_b32_e32 v3, 3, v4
	s_mov_b32 s18, exec_lo
	v_and_b32_sdwa v0, v2, v0 dst_sel:DWORD dst_unused:UNUSED_PAD src0_sel:WORD_1 src1_sel:DWORD
	v_cmpx_gt_u32_e32 8, v4
; %bb.30:                               ;   in Loop: Header=BB226_10 Depth=1
	v_ffbh_u32_e32 v3, v0
	v_min_u32_e32 v3, 32, v3
	v_subrev_nc_u32_e32 v4, 28, v3
	v_sub_nc_u32_e32 v3, 29, v3
	v_lshlrev_b64 v[4:5], v4, v[0:1]
	v_and_b32_e32 v0, 7, v4
; %bb.31:                               ;   in Loop: Header=BB226_10 Depth=1
	s_or_b32 exec_lo, exec_lo, s18
	v_mov_b32_e32 v4, 24
	v_lshlrev_b32_e32 v0, 20, v0
	v_lshl_add_u32 v3, v3, 23, 0x3c000000
	v_lshlrev_b32_sdwa v4, v4, v2 dst_sel:DWORD dst_unused:UNUSED_PAD src0_sel:DWORD src1_sel:WORD_1
	v_and_b32_e32 v4, 0x80000000, v4
	v_or3_b32 v0, v0, v4, v3
	buffer_store_dword v0, off, s[0:3], s32 offset:220 ; 4-byte Folded Spill
	buffer_store_dword v1, off, s[0:3], s32 offset:224 ; 4-byte Folded Spill
.LBB226_32:                             ;   in Loop: Header=BB226_10 Depth=1
	s_or_b32 exec_lo, exec_lo, s17
.LBB226_33:                             ;   in Loop: Header=BB226_10 Depth=1
	s_or_b32 exec_lo, exec_lo, s15
.LBB226_34:                             ;   in Loop: Header=BB226_10 Depth=1
	s_or_b32 exec_lo, exec_lo, s13
	s_mov_b32 s13, exec_lo
	v_cmpx_lt_u32_e32 0xffffff, v2
	s_cbranch_execz .LBB226_42
; %bb.35:                               ;   in Loop: Header=BB226_10 Depth=1
	v_mov_b32_e32 v20, v1
	v_cmp_ne_u32_sdwa s5, v2, v119 src0_sel:BYTE_3 src1_sel:DWORD
	buffer_store_dword v20, off, s[0:3], s32 offset:212 ; 4-byte Folded Spill
	buffer_store_dword v21, off, s[0:3], s32 offset:216 ; 4-byte Folded Spill
	s_and_saveexec_b32 s15, s5
	s_cbranch_execz .LBB226_41
; %bb.36:                               ;   in Loop: Header=BB226_10 Depth=1
	v_bfe_u32 v4, v2, 24, 7
	v_mov_b32_e32 v16, v1
	s_mov_b32 s17, exec_lo
	buffer_store_dword v16, off, s[0:3], s32 offset:212 ; 4-byte Folded Spill
	buffer_store_dword v17, off, s[0:3], s32 offset:216 ; 4-byte Folded Spill
	v_cmpx_ne_u32_e32 0x7f, v4
	s_cbranch_execz .LBB226_40
; %bb.37:                               ;   in Loop: Header=BB226_10 Depth=1
	v_mov_b32_e32 v0, 7
	v_lshrrev_b32_e32 v3, 3, v4
	s_mov_b32 s18, exec_lo
	v_and_b32_sdwa v0, v2, v0 dst_sel:DWORD dst_unused:UNUSED_PAD src0_sel:BYTE_3 src1_sel:DWORD
	v_cmpx_gt_u32_e32 8, v4
; %bb.38:                               ;   in Loop: Header=BB226_10 Depth=1
	v_ffbh_u32_e32 v3, v0
	v_min_u32_e32 v3, 32, v3
	v_subrev_nc_u32_e32 v4, 28, v3
	v_sub_nc_u32_e32 v3, 29, v3
	v_lshlrev_b64 v[4:5], v4, v[0:1]
	v_and_b32_e32 v0, 7, v4
; %bb.39:                               ;   in Loop: Header=BB226_10 Depth=1
	s_or_b32 exec_lo, exec_lo, s18
	v_mov_b32_e32 v4, 24
	v_lshlrev_b32_e32 v0, 20, v0
	v_lshl_add_u32 v3, v3, 23, 0x3c000000
	v_lshlrev_b32_sdwa v2, v4, v2 dst_sel:DWORD dst_unused:UNUSED_PAD src0_sel:DWORD src1_sel:BYTE_3
	v_and_b32_e32 v2, 0x80000000, v2
	v_or3_b32 v3, v0, v2, v3
	v_mov_b32_e32 v2, v1
	buffer_store_dword v2, off, s[0:3], s32 offset:212 ; 4-byte Folded Spill
	buffer_store_dword v3, off, s[0:3], s32 offset:216 ; 4-byte Folded Spill
.LBB226_40:                             ;   in Loop: Header=BB226_10 Depth=1
	s_or_b32 exec_lo, exec_lo, s17
.LBB226_41:                             ;   in Loop: Header=BB226_10 Depth=1
	s_or_b32 exec_lo, exec_lo, s15
.LBB226_42:                             ;   in Loop: Header=BB226_10 Depth=1
	s_or_b32 exec_lo, exec_lo, s13
	flat_load_dword v2, v[8:9] offset:4
	v_mov_b32_e32 v3, 0
	v_mov_b32_e32 v4, 0
	buffer_store_dword v3, off, s[0:3], s32 offset:236 ; 4-byte Folded Spill
	buffer_store_dword v4, off, s[0:3], s32 offset:240 ; 4-byte Folded Spill
	v_mov_b32_e32 v3, 0
	v_mov_b32_e32 v4, 0
	buffer_store_dword v3, off, s[0:3], s32 offset:228 ; 4-byte Folded Spill
	buffer_store_dword v4, off, s[0:3], s32 offset:232 ; 4-byte Folded Spill
	s_waitcnt vmcnt(0) lgkmcnt(0)
	v_cmp_ne_u16_sdwa s5, v2, v1 src0_sel:BYTE_0 src1_sel:DWORD
	s_and_saveexec_b32 s13, s5
	s_cbranch_execz .LBB226_50
; %bb.43:                               ;   in Loop: Header=BB226_10 Depth=1
	v_bfrev_b32_e32 v3, 1
	v_mov_b32_e32 v4, 0
	v_cmp_ne_u16_sdwa s5, v2, v119 src0_sel:BYTE_0 src1_sel:DWORD
	buffer_store_dword v3, off, s[0:3], s32 offset:228 ; 4-byte Folded Spill
	buffer_store_dword v4, off, s[0:3], s32 offset:232 ; 4-byte Folded Spill
	s_and_saveexec_b32 s15, s5
	s_cbranch_execz .LBB226_49
; %bb.44:                               ;   in Loop: Header=BB226_10 Depth=1
	v_mov_b32_e32 v5, 0x7f800001
	v_and_b32_e32 v4, 0x7f, v2
	v_mov_b32_e32 v6, 0
	s_mov_b32 s17, exec_lo
	buffer_store_dword v5, off, s[0:3], s32 offset:228 ; 4-byte Folded Spill
	buffer_store_dword v6, off, s[0:3], s32 offset:232 ; 4-byte Folded Spill
	v_cmpx_ne_u32_e32 0x7f, v4
	s_cbranch_execz .LBB226_48
; %bb.45:                               ;   in Loop: Header=BB226_10 Depth=1
	v_and_b32_e32 v0, 7, v2
	v_lshrrev_b32_e32 v3, 3, v4
	s_mov_b32 s18, exec_lo
	v_cmpx_gt_u32_e32 8, v4
; %bb.46:                               ;   in Loop: Header=BB226_10 Depth=1
	v_ffbh_u32_e32 v3, v0
	v_min_u32_e32 v3, 32, v3
	v_subrev_nc_u32_e32 v4, 28, v3
	v_sub_nc_u32_e32 v3, 29, v3
	v_lshlrev_b64 v[4:5], v4, v[0:1]
	v_and_b32_e32 v0, 7, v4
; %bb.47:                               ;   in Loop: Header=BB226_10 Depth=1
	s_or_b32 exec_lo, exec_lo, s18
	v_lshlrev_b32_e32 v4, 24, v2
	v_lshlrev_b32_e32 v0, 20, v0
	v_lshl_add_u32 v3, v3, 23, 0x3c000000
	v_and_b32_e32 v4, 0x80000000, v4
	v_or3_b32 v0, v0, v4, v3
	buffer_store_dword v0, off, s[0:3], s32 offset:228 ; 4-byte Folded Spill
	buffer_store_dword v1, off, s[0:3], s32 offset:232 ; 4-byte Folded Spill
.LBB226_48:                             ;   in Loop: Header=BB226_10 Depth=1
	s_or_b32 exec_lo, exec_lo, s17
.LBB226_49:                             ;   in Loop: Header=BB226_10 Depth=1
	s_or_b32 exec_lo, exec_lo, s15
.LBB226_50:                             ;   in Loop: Header=BB226_10 Depth=1
	s_or_b32 exec_lo, exec_lo, s13
	v_cmp_ne_u16_sdwa s5, v2, v1 src0_sel:BYTE_1 src1_sel:DWORD
	s_and_saveexec_b32 s13, s5
	s_cbranch_execz .LBB226_58
; %bb.51:                               ;   in Loop: Header=BB226_10 Depth=1
	v_mov_b32_e32 v20, v1
	v_cmp_ne_u16_sdwa s5, v2, v119 src0_sel:BYTE_1 src1_sel:DWORD
	buffer_store_dword v20, off, s[0:3], s32 offset:236 ; 4-byte Folded Spill
	buffer_store_dword v21, off, s[0:3], s32 offset:240 ; 4-byte Folded Spill
	s_and_saveexec_b32 s15, s5
	s_cbranch_execz .LBB226_57
; %bb.52:                               ;   in Loop: Header=BB226_10 Depth=1
	v_mov_b32_e32 v0, 0xffff
	v_mov_b32_e32 v16, v1
	s_mov_b32 s17, exec_lo
	buffer_store_dword v16, off, s[0:3], s32 offset:236 ; 4-byte Folded Spill
	buffer_store_dword v17, off, s[0:3], s32 offset:240 ; 4-byte Folded Spill
	v_and_b32_sdwa v0, v0, v2 dst_sel:DWORD dst_unused:UNUSED_PAD src0_sel:DWORD src1_sel:BYTE_1
	v_and_b32_e32 v4, 0x7f, v0
	v_cmpx_ne_u32_e32 0x7f, v4
	s_cbranch_execz .LBB226_56
; %bb.53:                               ;   in Loop: Header=BB226_10 Depth=1
	v_and_b32_e32 v0, 7, v0
	v_lshrrev_b32_e32 v3, 3, v4
	s_mov_b32 s18, exec_lo
	v_cmpx_gt_u32_e32 8, v4
; %bb.54:                               ;   in Loop: Header=BB226_10 Depth=1
	v_ffbh_u32_e32 v3, v0
	v_min_u32_e32 v3, 32, v3
	v_subrev_nc_u32_e32 v4, 28, v3
	v_sub_nc_u32_e32 v3, 29, v3
	v_lshlrev_b64 v[4:5], v4, v[0:1]
	v_and_b32_e32 v0, 7, v4
; %bb.55:                               ;   in Loop: Header=BB226_10 Depth=1
	s_or_b32 exec_lo, exec_lo, s18
	v_lshlrev_b32_e32 v4, 16, v2
	v_lshlrev_b32_e32 v0, 20, v0
	v_lshl_add_u32 v3, v3, 23, 0x3c000000
	v_and_b32_e32 v4, 0x80000000, v4
	v_or3_b32 v4, v0, v4, v3
	v_mov_b32_e32 v3, v1
	buffer_store_dword v3, off, s[0:3], s32 offset:236 ; 4-byte Folded Spill
	buffer_store_dword v4, off, s[0:3], s32 offset:240 ; 4-byte Folded Spill
.LBB226_56:                             ;   in Loop: Header=BB226_10 Depth=1
	s_or_b32 exec_lo, exec_lo, s17
.LBB226_57:                             ;   in Loop: Header=BB226_10 Depth=1
	s_or_b32 exec_lo, exec_lo, s15
.LBB226_58:                             ;   in Loop: Header=BB226_10 Depth=1
	s_or_b32 exec_lo, exec_lo, s13
	v_mov_b32_e32 v3, 0
	v_mov_b32_e32 v4, 0
	;; [unrolled: 1-line block ×3, first 2 shown]
	s_mov_b32 s13, exec_lo
	buffer_store_dword v3, off, s[0:3], s32 offset:244 ; 4-byte Folded Spill
	buffer_store_dword v4, off, s[0:3], s32 offset:248 ; 4-byte Folded Spill
	v_mov_b32_e32 v3, 0
	v_and_b32_sdwa v0, v2, v0 dst_sel:DWORD dst_unused:UNUSED_PAD src0_sel:WORD_1 src1_sel:DWORD
	v_mov_b32_e32 v4, 0
	buffer_store_dword v3, off, s[0:3], s32 offset:252 ; 4-byte Folded Spill
	buffer_store_dword v4, off, s[0:3], s32 offset:256 ; 4-byte Folded Spill
	v_cmpx_ne_u16_e32 0, v0
	s_cbranch_execz .LBB226_66
; %bb.59:                               ;   in Loop: Header=BB226_10 Depth=1
	v_bfrev_b32_e32 v3, 1
	v_mov_b32_e32 v4, 0
	s_mov_b32 s15, exec_lo
	buffer_store_dword v3, off, s[0:3], s32 offset:252 ; 4-byte Folded Spill
	buffer_store_dword v4, off, s[0:3], s32 offset:256 ; 4-byte Folded Spill
	v_cmpx_ne_u16_e32 0x80, v0
	s_cbranch_execz .LBB226_65
; %bb.60:                               ;   in Loop: Header=BB226_10 Depth=1
	v_mov_b32_e32 v5, 0x7f800001
	v_bfe_u32 v4, v2, 16, 7
	v_mov_b32_e32 v6, 0
	s_mov_b32 s17, exec_lo
	buffer_store_dword v5, off, s[0:3], s32 offset:252 ; 4-byte Folded Spill
	buffer_store_dword v6, off, s[0:3], s32 offset:256 ; 4-byte Folded Spill
	v_cmpx_ne_u32_e32 0x7f, v4
	s_cbranch_execz .LBB226_64
; %bb.61:                               ;   in Loop: Header=BB226_10 Depth=1
	v_mov_b32_e32 v0, 7
	v_lshrrev_b32_e32 v3, 3, v4
	s_mov_b32 s18, exec_lo
	v_and_b32_sdwa v0, v2, v0 dst_sel:DWORD dst_unused:UNUSED_PAD src0_sel:WORD_1 src1_sel:DWORD
	v_cmpx_gt_u32_e32 8, v4
; %bb.62:                               ;   in Loop: Header=BB226_10 Depth=1
	v_ffbh_u32_e32 v3, v0
	v_min_u32_e32 v3, 32, v3
	v_subrev_nc_u32_e32 v4, 28, v3
	v_sub_nc_u32_e32 v3, 29, v3
	v_lshlrev_b64 v[4:5], v4, v[0:1]
	v_and_b32_e32 v0, 7, v4
; %bb.63:                               ;   in Loop: Header=BB226_10 Depth=1
	s_or_b32 exec_lo, exec_lo, s18
	v_mov_b32_e32 v4, 24
	v_lshlrev_b32_e32 v0, 20, v0
	v_lshl_add_u32 v3, v3, 23, 0x3c000000
	v_lshlrev_b32_sdwa v4, v4, v2 dst_sel:DWORD dst_unused:UNUSED_PAD src0_sel:DWORD src1_sel:WORD_1
	v_and_b32_e32 v4, 0x80000000, v4
	v_or3_b32 v0, v0, v4, v3
	buffer_store_dword v0, off, s[0:3], s32 offset:252 ; 4-byte Folded Spill
	buffer_store_dword v1, off, s[0:3], s32 offset:256 ; 4-byte Folded Spill
.LBB226_64:                             ;   in Loop: Header=BB226_10 Depth=1
	s_or_b32 exec_lo, exec_lo, s17
.LBB226_65:                             ;   in Loop: Header=BB226_10 Depth=1
	s_or_b32 exec_lo, exec_lo, s15
.LBB226_66:                             ;   in Loop: Header=BB226_10 Depth=1
	s_or_b32 exec_lo, exec_lo, s13
	s_mov_b32 s13, exec_lo
	v_cmpx_lt_u32_e32 0xffffff, v2
	s_cbranch_execz .LBB226_74
; %bb.67:                               ;   in Loop: Header=BB226_10 Depth=1
	v_mov_b32_e32 v20, v1
	v_cmp_ne_u32_sdwa s5, v2, v119 src0_sel:BYTE_3 src1_sel:DWORD
	buffer_store_dword v20, off, s[0:3], s32 offset:244 ; 4-byte Folded Spill
	buffer_store_dword v21, off, s[0:3], s32 offset:248 ; 4-byte Folded Spill
	s_and_saveexec_b32 s15, s5
	s_cbranch_execz .LBB226_73
; %bb.68:                               ;   in Loop: Header=BB226_10 Depth=1
	v_bfe_u32 v4, v2, 24, 7
	v_mov_b32_e32 v16, v1
	s_mov_b32 s17, exec_lo
	buffer_store_dword v16, off, s[0:3], s32 offset:244 ; 4-byte Folded Spill
	buffer_store_dword v17, off, s[0:3], s32 offset:248 ; 4-byte Folded Spill
	v_cmpx_ne_u32_e32 0x7f, v4
	s_cbranch_execz .LBB226_72
; %bb.69:                               ;   in Loop: Header=BB226_10 Depth=1
	v_mov_b32_e32 v0, 7
	v_lshrrev_b32_e32 v3, 3, v4
	s_mov_b32 s18, exec_lo
	v_and_b32_sdwa v0, v2, v0 dst_sel:DWORD dst_unused:UNUSED_PAD src0_sel:BYTE_3 src1_sel:DWORD
	v_cmpx_gt_u32_e32 8, v4
; %bb.70:                               ;   in Loop: Header=BB226_10 Depth=1
	v_ffbh_u32_e32 v3, v0
	v_min_u32_e32 v3, 32, v3
	v_subrev_nc_u32_e32 v4, 28, v3
	v_sub_nc_u32_e32 v3, 29, v3
	v_lshlrev_b64 v[4:5], v4, v[0:1]
	v_and_b32_e32 v0, 7, v4
; %bb.71:                               ;   in Loop: Header=BB226_10 Depth=1
	s_or_b32 exec_lo, exec_lo, s18
	v_mov_b32_e32 v4, 24
	v_lshlrev_b32_e32 v0, 20, v0
	v_lshl_add_u32 v3, v3, 23, 0x3c000000
	v_lshlrev_b32_sdwa v2, v4, v2 dst_sel:DWORD dst_unused:UNUSED_PAD src0_sel:DWORD src1_sel:BYTE_3
	v_and_b32_e32 v2, 0x80000000, v2
	v_or3_b32 v3, v0, v2, v3
	v_mov_b32_e32 v2, v1
	buffer_store_dword v2, off, s[0:3], s32 offset:244 ; 4-byte Folded Spill
	buffer_store_dword v3, off, s[0:3], s32 offset:248 ; 4-byte Folded Spill
.LBB226_72:                             ;   in Loop: Header=BB226_10 Depth=1
	s_or_b32 exec_lo, exec_lo, s17
.LBB226_73:                             ;   in Loop: Header=BB226_10 Depth=1
	s_or_b32 exec_lo, exec_lo, s15
.LBB226_74:                             ;   in Loop: Header=BB226_10 Depth=1
	s_or_b32 exec_lo, exec_lo, s13
	flat_load_dword v2, v[8:9] offset:8
	v_mov_b32_e32 v3, 0
	v_mov_b32_e32 v4, 0
	buffer_store_dword v3, off, s[0:3], s32 offset:268 ; 4-byte Folded Spill
	buffer_store_dword v4, off, s[0:3], s32 offset:272 ; 4-byte Folded Spill
	v_mov_b32_e32 v3, 0
	v_mov_b32_e32 v4, 0
	buffer_store_dword v3, off, s[0:3], s32 offset:260 ; 4-byte Folded Spill
	buffer_store_dword v4, off, s[0:3], s32 offset:264 ; 4-byte Folded Spill
	s_waitcnt vmcnt(0) lgkmcnt(0)
	v_cmp_ne_u16_sdwa s5, v2, v1 src0_sel:BYTE_0 src1_sel:DWORD
	s_and_saveexec_b32 s13, s5
	s_cbranch_execz .LBB226_82
; %bb.75:                               ;   in Loop: Header=BB226_10 Depth=1
	v_bfrev_b32_e32 v3, 1
	v_mov_b32_e32 v4, 0
	v_cmp_ne_u16_sdwa s5, v2, v119 src0_sel:BYTE_0 src1_sel:DWORD
	buffer_store_dword v3, off, s[0:3], s32 offset:260 ; 4-byte Folded Spill
	buffer_store_dword v4, off, s[0:3], s32 offset:264 ; 4-byte Folded Spill
	s_and_saveexec_b32 s15, s5
	s_cbranch_execz .LBB226_81
; %bb.76:                               ;   in Loop: Header=BB226_10 Depth=1
	v_mov_b32_e32 v5, 0x7f800001
	v_and_b32_e32 v4, 0x7f, v2
	v_mov_b32_e32 v6, 0
	s_mov_b32 s17, exec_lo
	buffer_store_dword v5, off, s[0:3], s32 offset:260 ; 4-byte Folded Spill
	buffer_store_dword v6, off, s[0:3], s32 offset:264 ; 4-byte Folded Spill
	v_cmpx_ne_u32_e32 0x7f, v4
	s_cbranch_execz .LBB226_80
; %bb.77:                               ;   in Loop: Header=BB226_10 Depth=1
	v_and_b32_e32 v0, 7, v2
	v_lshrrev_b32_e32 v3, 3, v4
	s_mov_b32 s18, exec_lo
	v_cmpx_gt_u32_e32 8, v4
; %bb.78:                               ;   in Loop: Header=BB226_10 Depth=1
	v_ffbh_u32_e32 v3, v0
	v_min_u32_e32 v3, 32, v3
	v_subrev_nc_u32_e32 v4, 28, v3
	v_sub_nc_u32_e32 v3, 29, v3
	v_lshlrev_b64 v[4:5], v4, v[0:1]
	v_and_b32_e32 v0, 7, v4
; %bb.79:                               ;   in Loop: Header=BB226_10 Depth=1
	s_or_b32 exec_lo, exec_lo, s18
	v_lshlrev_b32_e32 v4, 24, v2
	v_lshlrev_b32_e32 v0, 20, v0
	v_lshl_add_u32 v3, v3, 23, 0x3c000000
	v_and_b32_e32 v4, 0x80000000, v4
	v_or3_b32 v0, v0, v4, v3
	buffer_store_dword v0, off, s[0:3], s32 offset:260 ; 4-byte Folded Spill
	buffer_store_dword v1, off, s[0:3], s32 offset:264 ; 4-byte Folded Spill
.LBB226_80:                             ;   in Loop: Header=BB226_10 Depth=1
	s_or_b32 exec_lo, exec_lo, s17
.LBB226_81:                             ;   in Loop: Header=BB226_10 Depth=1
	s_or_b32 exec_lo, exec_lo, s15
.LBB226_82:                             ;   in Loop: Header=BB226_10 Depth=1
	s_or_b32 exec_lo, exec_lo, s13
	v_cmp_ne_u16_sdwa s5, v2, v1 src0_sel:BYTE_1 src1_sel:DWORD
	s_and_saveexec_b32 s13, s5
	s_cbranch_execz .LBB226_90
; %bb.83:                               ;   in Loop: Header=BB226_10 Depth=1
	v_mov_b32_e32 v20, v1
	v_cmp_ne_u16_sdwa s5, v2, v119 src0_sel:BYTE_1 src1_sel:DWORD
	buffer_store_dword v20, off, s[0:3], s32 offset:268 ; 4-byte Folded Spill
	buffer_store_dword v21, off, s[0:3], s32 offset:272 ; 4-byte Folded Spill
	s_and_saveexec_b32 s15, s5
	s_cbranch_execz .LBB226_89
; %bb.84:                               ;   in Loop: Header=BB226_10 Depth=1
	v_mov_b32_e32 v0, 0xffff
	v_mov_b32_e32 v16, v1
	s_mov_b32 s17, exec_lo
	buffer_store_dword v16, off, s[0:3], s32 offset:268 ; 4-byte Folded Spill
	buffer_store_dword v17, off, s[0:3], s32 offset:272 ; 4-byte Folded Spill
	v_and_b32_sdwa v0, v0, v2 dst_sel:DWORD dst_unused:UNUSED_PAD src0_sel:DWORD src1_sel:BYTE_1
	v_and_b32_e32 v4, 0x7f, v0
	v_cmpx_ne_u32_e32 0x7f, v4
	s_cbranch_execz .LBB226_88
; %bb.85:                               ;   in Loop: Header=BB226_10 Depth=1
	v_and_b32_e32 v0, 7, v0
	v_lshrrev_b32_e32 v3, 3, v4
	s_mov_b32 s18, exec_lo
	v_cmpx_gt_u32_e32 8, v4
; %bb.86:                               ;   in Loop: Header=BB226_10 Depth=1
	v_ffbh_u32_e32 v3, v0
	v_min_u32_e32 v3, 32, v3
	v_subrev_nc_u32_e32 v4, 28, v3
	v_sub_nc_u32_e32 v3, 29, v3
	v_lshlrev_b64 v[4:5], v4, v[0:1]
	v_and_b32_e32 v0, 7, v4
; %bb.87:                               ;   in Loop: Header=BB226_10 Depth=1
	s_or_b32 exec_lo, exec_lo, s18
	v_lshlrev_b32_e32 v4, 16, v2
	v_lshlrev_b32_e32 v0, 20, v0
	v_lshl_add_u32 v3, v3, 23, 0x3c000000
	v_and_b32_e32 v4, 0x80000000, v4
	v_or3_b32 v4, v0, v4, v3
	v_mov_b32_e32 v3, v1
	buffer_store_dword v3, off, s[0:3], s32 offset:268 ; 4-byte Folded Spill
	buffer_store_dword v4, off, s[0:3], s32 offset:272 ; 4-byte Folded Spill
.LBB226_88:                             ;   in Loop: Header=BB226_10 Depth=1
	s_or_b32 exec_lo, exec_lo, s17
.LBB226_89:                             ;   in Loop: Header=BB226_10 Depth=1
	s_or_b32 exec_lo, exec_lo, s15
.LBB226_90:                             ;   in Loop: Header=BB226_10 Depth=1
	s_or_b32 exec_lo, exec_lo, s13
	v_mov_b32_e32 v3, 0
	v_mov_b32_e32 v4, 0
	;; [unrolled: 1-line block ×3, first 2 shown]
	s_mov_b32 s13, exec_lo
	buffer_store_dword v3, off, s[0:3], s32 offset:276 ; 4-byte Folded Spill
	buffer_store_dword v4, off, s[0:3], s32 offset:280 ; 4-byte Folded Spill
	v_mov_b32_e32 v3, 0
	v_and_b32_sdwa v0, v2, v0 dst_sel:DWORD dst_unused:UNUSED_PAD src0_sel:WORD_1 src1_sel:DWORD
	v_mov_b32_e32 v4, 0
	buffer_store_dword v3, off, s[0:3], s32 offset:284 ; 4-byte Folded Spill
	buffer_store_dword v4, off, s[0:3], s32 offset:288 ; 4-byte Folded Spill
	v_cmpx_ne_u16_e32 0, v0
	s_cbranch_execz .LBB226_98
; %bb.91:                               ;   in Loop: Header=BB226_10 Depth=1
	v_bfrev_b32_e32 v3, 1
	v_mov_b32_e32 v4, 0
	s_mov_b32 s15, exec_lo
	buffer_store_dword v3, off, s[0:3], s32 offset:284 ; 4-byte Folded Spill
	buffer_store_dword v4, off, s[0:3], s32 offset:288 ; 4-byte Folded Spill
	v_cmpx_ne_u16_e32 0x80, v0
	s_cbranch_execz .LBB226_97
; %bb.92:                               ;   in Loop: Header=BB226_10 Depth=1
	v_mov_b32_e32 v5, 0x7f800001
	v_bfe_u32 v4, v2, 16, 7
	v_mov_b32_e32 v6, 0
	s_mov_b32 s17, exec_lo
	buffer_store_dword v5, off, s[0:3], s32 offset:284 ; 4-byte Folded Spill
	buffer_store_dword v6, off, s[0:3], s32 offset:288 ; 4-byte Folded Spill
	v_cmpx_ne_u32_e32 0x7f, v4
	s_cbranch_execz .LBB226_96
; %bb.93:                               ;   in Loop: Header=BB226_10 Depth=1
	v_mov_b32_e32 v0, 7
	v_lshrrev_b32_e32 v3, 3, v4
	s_mov_b32 s18, exec_lo
	v_and_b32_sdwa v0, v2, v0 dst_sel:DWORD dst_unused:UNUSED_PAD src0_sel:WORD_1 src1_sel:DWORD
	v_cmpx_gt_u32_e32 8, v4
; %bb.94:                               ;   in Loop: Header=BB226_10 Depth=1
	v_ffbh_u32_e32 v3, v0
	v_min_u32_e32 v3, 32, v3
	v_subrev_nc_u32_e32 v4, 28, v3
	v_sub_nc_u32_e32 v3, 29, v3
	v_lshlrev_b64 v[4:5], v4, v[0:1]
	v_and_b32_e32 v0, 7, v4
; %bb.95:                               ;   in Loop: Header=BB226_10 Depth=1
	s_or_b32 exec_lo, exec_lo, s18
	v_mov_b32_e32 v4, 24
	v_lshlrev_b32_e32 v0, 20, v0
	v_lshl_add_u32 v3, v3, 23, 0x3c000000
	v_lshlrev_b32_sdwa v4, v4, v2 dst_sel:DWORD dst_unused:UNUSED_PAD src0_sel:DWORD src1_sel:WORD_1
	v_and_b32_e32 v4, 0x80000000, v4
	v_or3_b32 v0, v0, v4, v3
	buffer_store_dword v0, off, s[0:3], s32 offset:284 ; 4-byte Folded Spill
	buffer_store_dword v1, off, s[0:3], s32 offset:288 ; 4-byte Folded Spill
.LBB226_96:                             ;   in Loop: Header=BB226_10 Depth=1
	s_or_b32 exec_lo, exec_lo, s17
.LBB226_97:                             ;   in Loop: Header=BB226_10 Depth=1
	s_or_b32 exec_lo, exec_lo, s15
.LBB226_98:                             ;   in Loop: Header=BB226_10 Depth=1
	s_or_b32 exec_lo, exec_lo, s13
	s_mov_b32 s13, exec_lo
	v_cmpx_lt_u32_e32 0xffffff, v2
	s_cbranch_execz .LBB226_106
; %bb.99:                               ;   in Loop: Header=BB226_10 Depth=1
	v_mov_b32_e32 v20, v1
	v_cmp_ne_u32_sdwa s5, v2, v119 src0_sel:BYTE_3 src1_sel:DWORD
	buffer_store_dword v20, off, s[0:3], s32 offset:276 ; 4-byte Folded Spill
	buffer_store_dword v21, off, s[0:3], s32 offset:280 ; 4-byte Folded Spill
	s_and_saveexec_b32 s15, s5
	s_cbranch_execz .LBB226_105
; %bb.100:                              ;   in Loop: Header=BB226_10 Depth=1
	v_bfe_u32 v4, v2, 24, 7
	v_mov_b32_e32 v16, v1
	s_mov_b32 s17, exec_lo
	buffer_store_dword v16, off, s[0:3], s32 offset:276 ; 4-byte Folded Spill
	buffer_store_dword v17, off, s[0:3], s32 offset:280 ; 4-byte Folded Spill
	v_cmpx_ne_u32_e32 0x7f, v4
	s_cbranch_execz .LBB226_104
; %bb.101:                              ;   in Loop: Header=BB226_10 Depth=1
	v_mov_b32_e32 v0, 7
	v_lshrrev_b32_e32 v3, 3, v4
	s_mov_b32 s18, exec_lo
	v_and_b32_sdwa v0, v2, v0 dst_sel:DWORD dst_unused:UNUSED_PAD src0_sel:BYTE_3 src1_sel:DWORD
	v_cmpx_gt_u32_e32 8, v4
; %bb.102:                              ;   in Loop: Header=BB226_10 Depth=1
	v_ffbh_u32_e32 v3, v0
	v_min_u32_e32 v3, 32, v3
	v_subrev_nc_u32_e32 v4, 28, v3
	v_sub_nc_u32_e32 v3, 29, v3
	v_lshlrev_b64 v[4:5], v4, v[0:1]
	v_and_b32_e32 v0, 7, v4
; %bb.103:                              ;   in Loop: Header=BB226_10 Depth=1
	s_or_b32 exec_lo, exec_lo, s18
	v_mov_b32_e32 v4, 24
	v_lshlrev_b32_e32 v0, 20, v0
	v_lshl_add_u32 v3, v3, 23, 0x3c000000
	v_lshlrev_b32_sdwa v2, v4, v2 dst_sel:DWORD dst_unused:UNUSED_PAD src0_sel:DWORD src1_sel:BYTE_3
	v_and_b32_e32 v2, 0x80000000, v2
	v_or3_b32 v3, v0, v2, v3
	v_mov_b32_e32 v2, v1
	buffer_store_dword v2, off, s[0:3], s32 offset:276 ; 4-byte Folded Spill
	buffer_store_dword v3, off, s[0:3], s32 offset:280 ; 4-byte Folded Spill
.LBB226_104:                            ;   in Loop: Header=BB226_10 Depth=1
	s_or_b32 exec_lo, exec_lo, s17
.LBB226_105:                            ;   in Loop: Header=BB226_10 Depth=1
	s_or_b32 exec_lo, exec_lo, s15
.LBB226_106:                            ;   in Loop: Header=BB226_10 Depth=1
	s_or_b32 exec_lo, exec_lo, s13
	flat_load_dword v2, v[8:9] offset:12
	v_mov_b32_e32 v3, 0
	v_mov_b32_e32 v4, 0
	buffer_store_dword v3, off, s[0:3], s32 offset:300 ; 4-byte Folded Spill
	buffer_store_dword v4, off, s[0:3], s32 offset:304 ; 4-byte Folded Spill
	v_mov_b32_e32 v3, 0
	v_mov_b32_e32 v4, 0
	buffer_store_dword v3, off, s[0:3], s32 offset:292 ; 4-byte Folded Spill
	buffer_store_dword v4, off, s[0:3], s32 offset:296 ; 4-byte Folded Spill
	s_waitcnt vmcnt(0) lgkmcnt(0)
	v_cmp_ne_u16_sdwa s5, v2, v1 src0_sel:BYTE_0 src1_sel:DWORD
	s_and_saveexec_b32 s13, s5
	s_cbranch_execz .LBB226_114
; %bb.107:                              ;   in Loop: Header=BB226_10 Depth=1
	v_bfrev_b32_e32 v3, 1
	v_mov_b32_e32 v4, 0
	v_cmp_ne_u16_sdwa s5, v2, v119 src0_sel:BYTE_0 src1_sel:DWORD
	buffer_store_dword v3, off, s[0:3], s32 offset:292 ; 4-byte Folded Spill
	buffer_store_dword v4, off, s[0:3], s32 offset:296 ; 4-byte Folded Spill
	s_and_saveexec_b32 s15, s5
	s_cbranch_execz .LBB226_113
; %bb.108:                              ;   in Loop: Header=BB226_10 Depth=1
	v_mov_b32_e32 v5, 0x7f800001
	v_and_b32_e32 v4, 0x7f, v2
	v_mov_b32_e32 v6, 0
	s_mov_b32 s17, exec_lo
	buffer_store_dword v5, off, s[0:3], s32 offset:292 ; 4-byte Folded Spill
	buffer_store_dword v6, off, s[0:3], s32 offset:296 ; 4-byte Folded Spill
	v_cmpx_ne_u32_e32 0x7f, v4
	s_cbranch_execz .LBB226_112
; %bb.109:                              ;   in Loop: Header=BB226_10 Depth=1
	v_and_b32_e32 v0, 7, v2
	v_lshrrev_b32_e32 v3, 3, v4
	s_mov_b32 s18, exec_lo
	v_cmpx_gt_u32_e32 8, v4
; %bb.110:                              ;   in Loop: Header=BB226_10 Depth=1
	v_ffbh_u32_e32 v3, v0
	v_min_u32_e32 v3, 32, v3
	v_subrev_nc_u32_e32 v4, 28, v3
	v_sub_nc_u32_e32 v3, 29, v3
	v_lshlrev_b64 v[4:5], v4, v[0:1]
	v_and_b32_e32 v0, 7, v4
; %bb.111:                              ;   in Loop: Header=BB226_10 Depth=1
	s_or_b32 exec_lo, exec_lo, s18
	v_lshlrev_b32_e32 v4, 24, v2
	v_lshlrev_b32_e32 v0, 20, v0
	v_lshl_add_u32 v3, v3, 23, 0x3c000000
	v_and_b32_e32 v4, 0x80000000, v4
	v_or3_b32 v0, v0, v4, v3
	buffer_store_dword v0, off, s[0:3], s32 offset:292 ; 4-byte Folded Spill
	buffer_store_dword v1, off, s[0:3], s32 offset:296 ; 4-byte Folded Spill
.LBB226_112:                            ;   in Loop: Header=BB226_10 Depth=1
	s_or_b32 exec_lo, exec_lo, s17
.LBB226_113:                            ;   in Loop: Header=BB226_10 Depth=1
	s_or_b32 exec_lo, exec_lo, s15
.LBB226_114:                            ;   in Loop: Header=BB226_10 Depth=1
	s_or_b32 exec_lo, exec_lo, s13
	v_cmp_ne_u16_sdwa s5, v2, v1 src0_sel:BYTE_1 src1_sel:DWORD
	s_and_saveexec_b32 s13, s5
	s_cbranch_execz .LBB226_122
; %bb.115:                              ;   in Loop: Header=BB226_10 Depth=1
	v_mov_b32_e32 v20, v1
	v_cmp_ne_u16_sdwa s5, v2, v119 src0_sel:BYTE_1 src1_sel:DWORD
	buffer_store_dword v20, off, s[0:3], s32 offset:300 ; 4-byte Folded Spill
	buffer_store_dword v21, off, s[0:3], s32 offset:304 ; 4-byte Folded Spill
	s_and_saveexec_b32 s15, s5
	s_cbranch_execz .LBB226_121
; %bb.116:                              ;   in Loop: Header=BB226_10 Depth=1
	v_mov_b32_e32 v0, 0xffff
	v_mov_b32_e32 v16, v1
	s_mov_b32 s17, exec_lo
	buffer_store_dword v16, off, s[0:3], s32 offset:300 ; 4-byte Folded Spill
	buffer_store_dword v17, off, s[0:3], s32 offset:304 ; 4-byte Folded Spill
	v_and_b32_sdwa v0, v0, v2 dst_sel:DWORD dst_unused:UNUSED_PAD src0_sel:DWORD src1_sel:BYTE_1
	v_and_b32_e32 v4, 0x7f, v0
	v_cmpx_ne_u32_e32 0x7f, v4
	s_cbranch_execz .LBB226_120
; %bb.117:                              ;   in Loop: Header=BB226_10 Depth=1
	v_and_b32_e32 v0, 7, v0
	v_lshrrev_b32_e32 v3, 3, v4
	s_mov_b32 s18, exec_lo
	v_cmpx_gt_u32_e32 8, v4
; %bb.118:                              ;   in Loop: Header=BB226_10 Depth=1
	v_ffbh_u32_e32 v3, v0
	v_min_u32_e32 v3, 32, v3
	v_subrev_nc_u32_e32 v4, 28, v3
	v_sub_nc_u32_e32 v3, 29, v3
	v_lshlrev_b64 v[4:5], v4, v[0:1]
	v_and_b32_e32 v0, 7, v4
; %bb.119:                              ;   in Loop: Header=BB226_10 Depth=1
	s_or_b32 exec_lo, exec_lo, s18
	v_lshlrev_b32_e32 v4, 16, v2
	v_lshlrev_b32_e32 v0, 20, v0
	v_lshl_add_u32 v3, v3, 23, 0x3c000000
	v_and_b32_e32 v4, 0x80000000, v4
	v_or3_b32 v4, v0, v4, v3
	v_mov_b32_e32 v3, v1
	buffer_store_dword v3, off, s[0:3], s32 offset:300 ; 4-byte Folded Spill
	buffer_store_dword v4, off, s[0:3], s32 offset:304 ; 4-byte Folded Spill
.LBB226_120:                            ;   in Loop: Header=BB226_10 Depth=1
	s_or_b32 exec_lo, exec_lo, s17
.LBB226_121:                            ;   in Loop: Header=BB226_10 Depth=1
	s_or_b32 exec_lo, exec_lo, s15
.LBB226_122:                            ;   in Loop: Header=BB226_10 Depth=1
	s_or_b32 exec_lo, exec_lo, s13
	v_mov_b32_e32 v3, 0
	v_mov_b32_e32 v4, 0
	;; [unrolled: 1-line block ×3, first 2 shown]
	s_mov_b32 s13, exec_lo
	buffer_store_dword v3, off, s[0:3], s32 offset:308 ; 4-byte Folded Spill
	buffer_store_dword v4, off, s[0:3], s32 offset:312 ; 4-byte Folded Spill
	v_mov_b32_e32 v3, 0
	v_and_b32_sdwa v0, v2, v0 dst_sel:DWORD dst_unused:UNUSED_PAD src0_sel:WORD_1 src1_sel:DWORD
	v_mov_b32_e32 v4, 0
	buffer_store_dword v3, off, s[0:3], s32 offset:316 ; 4-byte Folded Spill
	buffer_store_dword v4, off, s[0:3], s32 offset:320 ; 4-byte Folded Spill
	v_cmpx_ne_u16_e32 0, v0
	s_cbranch_execz .LBB226_130
; %bb.123:                              ;   in Loop: Header=BB226_10 Depth=1
	v_bfrev_b32_e32 v3, 1
	v_mov_b32_e32 v4, 0
	s_mov_b32 s15, exec_lo
	buffer_store_dword v3, off, s[0:3], s32 offset:316 ; 4-byte Folded Spill
	buffer_store_dword v4, off, s[0:3], s32 offset:320 ; 4-byte Folded Spill
	v_cmpx_ne_u16_e32 0x80, v0
	s_cbranch_execz .LBB226_129
; %bb.124:                              ;   in Loop: Header=BB226_10 Depth=1
	v_mov_b32_e32 v5, 0x7f800001
	v_bfe_u32 v4, v2, 16, 7
	v_mov_b32_e32 v6, 0
	s_mov_b32 s17, exec_lo
	buffer_store_dword v5, off, s[0:3], s32 offset:316 ; 4-byte Folded Spill
	buffer_store_dword v6, off, s[0:3], s32 offset:320 ; 4-byte Folded Spill
	v_cmpx_ne_u32_e32 0x7f, v4
	s_cbranch_execz .LBB226_128
; %bb.125:                              ;   in Loop: Header=BB226_10 Depth=1
	v_mov_b32_e32 v0, 7
	v_lshrrev_b32_e32 v3, 3, v4
	s_mov_b32 s18, exec_lo
	v_and_b32_sdwa v0, v2, v0 dst_sel:DWORD dst_unused:UNUSED_PAD src0_sel:WORD_1 src1_sel:DWORD
	v_cmpx_gt_u32_e32 8, v4
; %bb.126:                              ;   in Loop: Header=BB226_10 Depth=1
	v_ffbh_u32_e32 v3, v0
	v_min_u32_e32 v3, 32, v3
	v_subrev_nc_u32_e32 v4, 28, v3
	v_sub_nc_u32_e32 v3, 29, v3
	v_lshlrev_b64 v[4:5], v4, v[0:1]
	v_and_b32_e32 v0, 7, v4
; %bb.127:                              ;   in Loop: Header=BB226_10 Depth=1
	s_or_b32 exec_lo, exec_lo, s18
	v_mov_b32_e32 v4, 24
	v_lshlrev_b32_e32 v0, 20, v0
	v_lshl_add_u32 v3, v3, 23, 0x3c000000
	v_lshlrev_b32_sdwa v4, v4, v2 dst_sel:DWORD dst_unused:UNUSED_PAD src0_sel:DWORD src1_sel:WORD_1
	v_and_b32_e32 v4, 0x80000000, v4
	v_or3_b32 v0, v0, v4, v3
	buffer_store_dword v0, off, s[0:3], s32 offset:316 ; 4-byte Folded Spill
	buffer_store_dword v1, off, s[0:3], s32 offset:320 ; 4-byte Folded Spill
.LBB226_128:                            ;   in Loop: Header=BB226_10 Depth=1
	s_or_b32 exec_lo, exec_lo, s17
.LBB226_129:                            ;   in Loop: Header=BB226_10 Depth=1
	s_or_b32 exec_lo, exec_lo, s15
.LBB226_130:                            ;   in Loop: Header=BB226_10 Depth=1
	s_or_b32 exec_lo, exec_lo, s13
	s_mov_b32 s13, exec_lo
	v_cmpx_lt_u32_e32 0xffffff, v2
	s_cbranch_execz .LBB226_138
; %bb.131:                              ;   in Loop: Header=BB226_10 Depth=1
	v_mov_b32_e32 v20, v1
	v_cmp_ne_u32_sdwa s5, v2, v119 src0_sel:BYTE_3 src1_sel:DWORD
	buffer_store_dword v20, off, s[0:3], s32 offset:308 ; 4-byte Folded Spill
	buffer_store_dword v21, off, s[0:3], s32 offset:312 ; 4-byte Folded Spill
	s_and_saveexec_b32 s15, s5
	s_cbranch_execz .LBB226_137
; %bb.132:                              ;   in Loop: Header=BB226_10 Depth=1
	v_bfe_u32 v4, v2, 24, 7
	v_mov_b32_e32 v16, v1
	s_mov_b32 s17, exec_lo
	buffer_store_dword v16, off, s[0:3], s32 offset:308 ; 4-byte Folded Spill
	buffer_store_dword v17, off, s[0:3], s32 offset:312 ; 4-byte Folded Spill
	v_cmpx_ne_u32_e32 0x7f, v4
	s_cbranch_execz .LBB226_136
; %bb.133:                              ;   in Loop: Header=BB226_10 Depth=1
	v_mov_b32_e32 v0, 7
	v_lshrrev_b32_e32 v3, 3, v4
	s_mov_b32 s18, exec_lo
	v_and_b32_sdwa v0, v2, v0 dst_sel:DWORD dst_unused:UNUSED_PAD src0_sel:BYTE_3 src1_sel:DWORD
	v_cmpx_gt_u32_e32 8, v4
; %bb.134:                              ;   in Loop: Header=BB226_10 Depth=1
	v_ffbh_u32_e32 v3, v0
	v_min_u32_e32 v3, 32, v3
	v_subrev_nc_u32_e32 v4, 28, v3
	v_sub_nc_u32_e32 v3, 29, v3
	v_lshlrev_b64 v[4:5], v4, v[0:1]
	v_and_b32_e32 v0, 7, v4
; %bb.135:                              ;   in Loop: Header=BB226_10 Depth=1
	s_or_b32 exec_lo, exec_lo, s18
	v_mov_b32_e32 v4, 24
	v_lshlrev_b32_e32 v0, 20, v0
	v_lshl_add_u32 v3, v3, 23, 0x3c000000
	v_lshlrev_b32_sdwa v2, v4, v2 dst_sel:DWORD dst_unused:UNUSED_PAD src0_sel:DWORD src1_sel:BYTE_3
	v_and_b32_e32 v2, 0x80000000, v2
	v_or3_b32 v3, v0, v2, v3
	v_mov_b32_e32 v2, v1
	buffer_store_dword v2, off, s[0:3], s32 offset:308 ; 4-byte Folded Spill
	buffer_store_dword v3, off, s[0:3], s32 offset:312 ; 4-byte Folded Spill
.LBB226_136:                            ;   in Loop: Header=BB226_10 Depth=1
	s_or_b32 exec_lo, exec_lo, s17
.LBB226_137:                            ;   in Loop: Header=BB226_10 Depth=1
	s_or_b32 exec_lo, exec_lo, s15
.LBB226_138:                            ;   in Loop: Header=BB226_10 Depth=1
	s_or_b32 exec_lo, exec_lo, s13
	flat_load_dword v2, v[8:9] offset:512
	v_mov_b32_e32 v3, 0
	v_mov_b32_e32 v4, 0
	buffer_store_dword v3, off, s[0:3], s32 offset:332 ; 4-byte Folded Spill
	buffer_store_dword v4, off, s[0:3], s32 offset:336 ; 4-byte Folded Spill
	v_mov_b32_e32 v3, 0
	v_mov_b32_e32 v4, 0
	buffer_store_dword v3, off, s[0:3], s32 offset:324 ; 4-byte Folded Spill
	buffer_store_dword v4, off, s[0:3], s32 offset:328 ; 4-byte Folded Spill
	s_waitcnt vmcnt(0) lgkmcnt(0)
	v_cmp_ne_u16_sdwa s5, v2, v1 src0_sel:BYTE_0 src1_sel:DWORD
	s_and_saveexec_b32 s13, s5
	s_cbranch_execz .LBB226_146
; %bb.139:                              ;   in Loop: Header=BB226_10 Depth=1
	v_bfrev_b32_e32 v3, 1
	v_mov_b32_e32 v4, 0
	v_cmp_ne_u16_sdwa s5, v2, v119 src0_sel:BYTE_0 src1_sel:DWORD
	buffer_store_dword v3, off, s[0:3], s32 offset:324 ; 4-byte Folded Spill
	buffer_store_dword v4, off, s[0:3], s32 offset:328 ; 4-byte Folded Spill
	s_and_saveexec_b32 s15, s5
	s_cbranch_execz .LBB226_145
; %bb.140:                              ;   in Loop: Header=BB226_10 Depth=1
	v_mov_b32_e32 v5, 0x7f800001
	v_and_b32_e32 v4, 0x7f, v2
	v_mov_b32_e32 v6, 0
	s_mov_b32 s17, exec_lo
	buffer_store_dword v5, off, s[0:3], s32 offset:324 ; 4-byte Folded Spill
	buffer_store_dword v6, off, s[0:3], s32 offset:328 ; 4-byte Folded Spill
	v_cmpx_ne_u32_e32 0x7f, v4
	s_cbranch_execz .LBB226_144
; %bb.141:                              ;   in Loop: Header=BB226_10 Depth=1
	v_and_b32_e32 v0, 7, v2
	v_lshrrev_b32_e32 v3, 3, v4
	s_mov_b32 s18, exec_lo
	v_cmpx_gt_u32_e32 8, v4
; %bb.142:                              ;   in Loop: Header=BB226_10 Depth=1
	v_ffbh_u32_e32 v3, v0
	v_min_u32_e32 v3, 32, v3
	v_subrev_nc_u32_e32 v4, 28, v3
	v_sub_nc_u32_e32 v3, 29, v3
	v_lshlrev_b64 v[4:5], v4, v[0:1]
	v_and_b32_e32 v0, 7, v4
; %bb.143:                              ;   in Loop: Header=BB226_10 Depth=1
	s_or_b32 exec_lo, exec_lo, s18
	v_lshlrev_b32_e32 v4, 24, v2
	v_lshlrev_b32_e32 v0, 20, v0
	v_lshl_add_u32 v3, v3, 23, 0x3c000000
	v_and_b32_e32 v4, 0x80000000, v4
	v_or3_b32 v0, v0, v4, v3
	buffer_store_dword v0, off, s[0:3], s32 offset:324 ; 4-byte Folded Spill
	buffer_store_dword v1, off, s[0:3], s32 offset:328 ; 4-byte Folded Spill
.LBB226_144:                            ;   in Loop: Header=BB226_10 Depth=1
	s_or_b32 exec_lo, exec_lo, s17
.LBB226_145:                            ;   in Loop: Header=BB226_10 Depth=1
	s_or_b32 exec_lo, exec_lo, s15
.LBB226_146:                            ;   in Loop: Header=BB226_10 Depth=1
	s_or_b32 exec_lo, exec_lo, s13
	v_cmp_ne_u16_sdwa s5, v2, v1 src0_sel:BYTE_1 src1_sel:DWORD
	s_and_saveexec_b32 s13, s5
	s_cbranch_execz .LBB226_154
; %bb.147:                              ;   in Loop: Header=BB226_10 Depth=1
	v_mov_b32_e32 v20, v1
	v_cmp_ne_u16_sdwa s5, v2, v119 src0_sel:BYTE_1 src1_sel:DWORD
	buffer_store_dword v20, off, s[0:3], s32 offset:332 ; 4-byte Folded Spill
	buffer_store_dword v21, off, s[0:3], s32 offset:336 ; 4-byte Folded Spill
	s_and_saveexec_b32 s15, s5
	s_cbranch_execz .LBB226_153
; %bb.148:                              ;   in Loop: Header=BB226_10 Depth=1
	v_mov_b32_e32 v0, 0xffff
	v_mov_b32_e32 v16, v1
	s_mov_b32 s17, exec_lo
	buffer_store_dword v16, off, s[0:3], s32 offset:332 ; 4-byte Folded Spill
	buffer_store_dword v17, off, s[0:3], s32 offset:336 ; 4-byte Folded Spill
	v_and_b32_sdwa v0, v0, v2 dst_sel:DWORD dst_unused:UNUSED_PAD src0_sel:DWORD src1_sel:BYTE_1
	v_and_b32_e32 v4, 0x7f, v0
	v_cmpx_ne_u32_e32 0x7f, v4
	s_cbranch_execz .LBB226_152
; %bb.149:                              ;   in Loop: Header=BB226_10 Depth=1
	v_and_b32_e32 v0, 7, v0
	v_lshrrev_b32_e32 v3, 3, v4
	s_mov_b32 s18, exec_lo
	v_cmpx_gt_u32_e32 8, v4
; %bb.150:                              ;   in Loop: Header=BB226_10 Depth=1
	v_ffbh_u32_e32 v3, v0
	v_min_u32_e32 v3, 32, v3
	v_subrev_nc_u32_e32 v4, 28, v3
	v_sub_nc_u32_e32 v3, 29, v3
	v_lshlrev_b64 v[4:5], v4, v[0:1]
	v_and_b32_e32 v0, 7, v4
; %bb.151:                              ;   in Loop: Header=BB226_10 Depth=1
	s_or_b32 exec_lo, exec_lo, s18
	v_lshlrev_b32_e32 v4, 16, v2
	v_lshlrev_b32_e32 v0, 20, v0
	v_lshl_add_u32 v3, v3, 23, 0x3c000000
	v_and_b32_e32 v4, 0x80000000, v4
	v_or3_b32 v4, v0, v4, v3
	v_mov_b32_e32 v3, v1
	buffer_store_dword v3, off, s[0:3], s32 offset:332 ; 4-byte Folded Spill
	buffer_store_dword v4, off, s[0:3], s32 offset:336 ; 4-byte Folded Spill
.LBB226_152:                            ;   in Loop: Header=BB226_10 Depth=1
	s_or_b32 exec_lo, exec_lo, s17
.LBB226_153:                            ;   in Loop: Header=BB226_10 Depth=1
	s_or_b32 exec_lo, exec_lo, s15
.LBB226_154:                            ;   in Loop: Header=BB226_10 Depth=1
	s_or_b32 exec_lo, exec_lo, s13
	v_mov_b32_e32 v3, 0
	v_mov_b32_e32 v4, 0
	;; [unrolled: 1-line block ×3, first 2 shown]
	s_mov_b32 s13, exec_lo
	buffer_store_dword v3, off, s[0:3], s32 offset:340 ; 4-byte Folded Spill
	buffer_store_dword v4, off, s[0:3], s32 offset:344 ; 4-byte Folded Spill
	v_mov_b32_e32 v3, 0
	v_and_b32_sdwa v0, v2, v0 dst_sel:DWORD dst_unused:UNUSED_PAD src0_sel:WORD_1 src1_sel:DWORD
	v_mov_b32_e32 v4, 0
	buffer_store_dword v3, off, s[0:3], s32 offset:348 ; 4-byte Folded Spill
	buffer_store_dword v4, off, s[0:3], s32 offset:352 ; 4-byte Folded Spill
	v_cmpx_ne_u16_e32 0, v0
	s_cbranch_execz .LBB226_162
; %bb.155:                              ;   in Loop: Header=BB226_10 Depth=1
	v_bfrev_b32_e32 v3, 1
	v_mov_b32_e32 v4, 0
	s_mov_b32 s15, exec_lo
	buffer_store_dword v3, off, s[0:3], s32 offset:348 ; 4-byte Folded Spill
	buffer_store_dword v4, off, s[0:3], s32 offset:352 ; 4-byte Folded Spill
	v_cmpx_ne_u16_e32 0x80, v0
	s_cbranch_execz .LBB226_161
; %bb.156:                              ;   in Loop: Header=BB226_10 Depth=1
	v_mov_b32_e32 v5, 0x7f800001
	v_bfe_u32 v4, v2, 16, 7
	v_mov_b32_e32 v6, 0
	s_mov_b32 s17, exec_lo
	buffer_store_dword v5, off, s[0:3], s32 offset:348 ; 4-byte Folded Spill
	buffer_store_dword v6, off, s[0:3], s32 offset:352 ; 4-byte Folded Spill
	v_cmpx_ne_u32_e32 0x7f, v4
	s_cbranch_execz .LBB226_160
; %bb.157:                              ;   in Loop: Header=BB226_10 Depth=1
	v_mov_b32_e32 v0, 7
	v_lshrrev_b32_e32 v3, 3, v4
	s_mov_b32 s18, exec_lo
	v_and_b32_sdwa v0, v2, v0 dst_sel:DWORD dst_unused:UNUSED_PAD src0_sel:WORD_1 src1_sel:DWORD
	v_cmpx_gt_u32_e32 8, v4
; %bb.158:                              ;   in Loop: Header=BB226_10 Depth=1
	v_ffbh_u32_e32 v3, v0
	v_min_u32_e32 v3, 32, v3
	v_subrev_nc_u32_e32 v4, 28, v3
	v_sub_nc_u32_e32 v3, 29, v3
	v_lshlrev_b64 v[4:5], v4, v[0:1]
	v_and_b32_e32 v0, 7, v4
; %bb.159:                              ;   in Loop: Header=BB226_10 Depth=1
	s_or_b32 exec_lo, exec_lo, s18
	v_mov_b32_e32 v4, 24
	v_lshlrev_b32_e32 v0, 20, v0
	v_lshl_add_u32 v3, v3, 23, 0x3c000000
	v_lshlrev_b32_sdwa v4, v4, v2 dst_sel:DWORD dst_unused:UNUSED_PAD src0_sel:DWORD src1_sel:WORD_1
	v_and_b32_e32 v4, 0x80000000, v4
	v_or3_b32 v0, v0, v4, v3
	buffer_store_dword v0, off, s[0:3], s32 offset:348 ; 4-byte Folded Spill
	buffer_store_dword v1, off, s[0:3], s32 offset:352 ; 4-byte Folded Spill
.LBB226_160:                            ;   in Loop: Header=BB226_10 Depth=1
	s_or_b32 exec_lo, exec_lo, s17
.LBB226_161:                            ;   in Loop: Header=BB226_10 Depth=1
	s_or_b32 exec_lo, exec_lo, s15
.LBB226_162:                            ;   in Loop: Header=BB226_10 Depth=1
	s_or_b32 exec_lo, exec_lo, s13
	s_mov_b32 s13, exec_lo
	v_cmpx_lt_u32_e32 0xffffff, v2
	s_cbranch_execz .LBB226_170
; %bb.163:                              ;   in Loop: Header=BB226_10 Depth=1
	v_mov_b32_e32 v20, v1
	v_cmp_ne_u32_sdwa s5, v2, v119 src0_sel:BYTE_3 src1_sel:DWORD
	buffer_store_dword v20, off, s[0:3], s32 offset:340 ; 4-byte Folded Spill
	buffer_store_dword v21, off, s[0:3], s32 offset:344 ; 4-byte Folded Spill
	s_and_saveexec_b32 s15, s5
	s_cbranch_execz .LBB226_169
; %bb.164:                              ;   in Loop: Header=BB226_10 Depth=1
	v_bfe_u32 v4, v2, 24, 7
	v_mov_b32_e32 v16, v1
	s_mov_b32 s17, exec_lo
	buffer_store_dword v16, off, s[0:3], s32 offset:340 ; 4-byte Folded Spill
	buffer_store_dword v17, off, s[0:3], s32 offset:344 ; 4-byte Folded Spill
	v_cmpx_ne_u32_e32 0x7f, v4
	s_cbranch_execz .LBB226_168
; %bb.165:                              ;   in Loop: Header=BB226_10 Depth=1
	v_mov_b32_e32 v0, 7
	v_lshrrev_b32_e32 v3, 3, v4
	s_mov_b32 s18, exec_lo
	v_and_b32_sdwa v0, v2, v0 dst_sel:DWORD dst_unused:UNUSED_PAD src0_sel:BYTE_3 src1_sel:DWORD
	v_cmpx_gt_u32_e32 8, v4
; %bb.166:                              ;   in Loop: Header=BB226_10 Depth=1
	v_ffbh_u32_e32 v3, v0
	v_min_u32_e32 v3, 32, v3
	v_subrev_nc_u32_e32 v4, 28, v3
	v_sub_nc_u32_e32 v3, 29, v3
	v_lshlrev_b64 v[4:5], v4, v[0:1]
	v_and_b32_e32 v0, 7, v4
; %bb.167:                              ;   in Loop: Header=BB226_10 Depth=1
	s_or_b32 exec_lo, exec_lo, s18
	v_mov_b32_e32 v4, 24
	v_lshlrev_b32_e32 v0, 20, v0
	v_lshl_add_u32 v3, v3, 23, 0x3c000000
	v_lshlrev_b32_sdwa v2, v4, v2 dst_sel:DWORD dst_unused:UNUSED_PAD src0_sel:DWORD src1_sel:BYTE_3
	v_and_b32_e32 v2, 0x80000000, v2
	v_or3_b32 v3, v0, v2, v3
	v_mov_b32_e32 v2, v1
	buffer_store_dword v2, off, s[0:3], s32 offset:340 ; 4-byte Folded Spill
	buffer_store_dword v3, off, s[0:3], s32 offset:344 ; 4-byte Folded Spill
.LBB226_168:                            ;   in Loop: Header=BB226_10 Depth=1
	s_or_b32 exec_lo, exec_lo, s17
.LBB226_169:                            ;   in Loop: Header=BB226_10 Depth=1
	s_or_b32 exec_lo, exec_lo, s15
.LBB226_170:                            ;   in Loop: Header=BB226_10 Depth=1
	s_or_b32 exec_lo, exec_lo, s13
	flat_load_dword v2, v[8:9] offset:516
	v_mov_b32_e32 v3, 0
	v_mov_b32_e32 v4, 0
	buffer_store_dword v3, off, s[0:3], s32 offset:364 ; 4-byte Folded Spill
	buffer_store_dword v4, off, s[0:3], s32 offset:368 ; 4-byte Folded Spill
	v_mov_b32_e32 v3, 0
	v_mov_b32_e32 v4, 0
	buffer_store_dword v3, off, s[0:3], s32 offset:356 ; 4-byte Folded Spill
	buffer_store_dword v4, off, s[0:3], s32 offset:360 ; 4-byte Folded Spill
	s_waitcnt vmcnt(0) lgkmcnt(0)
	v_cmp_ne_u16_sdwa s5, v2, v1 src0_sel:BYTE_0 src1_sel:DWORD
	s_and_saveexec_b32 s13, s5
	s_cbranch_execz .LBB226_178
; %bb.171:                              ;   in Loop: Header=BB226_10 Depth=1
	v_bfrev_b32_e32 v3, 1
	v_mov_b32_e32 v4, 0
	v_cmp_ne_u16_sdwa s5, v2, v119 src0_sel:BYTE_0 src1_sel:DWORD
	buffer_store_dword v3, off, s[0:3], s32 offset:356 ; 4-byte Folded Spill
	buffer_store_dword v4, off, s[0:3], s32 offset:360 ; 4-byte Folded Spill
	s_and_saveexec_b32 s15, s5
	s_cbranch_execz .LBB226_177
; %bb.172:                              ;   in Loop: Header=BB226_10 Depth=1
	v_mov_b32_e32 v5, 0x7f800001
	v_and_b32_e32 v4, 0x7f, v2
	v_mov_b32_e32 v6, 0
	s_mov_b32 s17, exec_lo
	buffer_store_dword v5, off, s[0:3], s32 offset:356 ; 4-byte Folded Spill
	buffer_store_dword v6, off, s[0:3], s32 offset:360 ; 4-byte Folded Spill
	v_cmpx_ne_u32_e32 0x7f, v4
	s_cbranch_execz .LBB226_176
; %bb.173:                              ;   in Loop: Header=BB226_10 Depth=1
	v_and_b32_e32 v0, 7, v2
	v_lshrrev_b32_e32 v3, 3, v4
	s_mov_b32 s18, exec_lo
	v_cmpx_gt_u32_e32 8, v4
; %bb.174:                              ;   in Loop: Header=BB226_10 Depth=1
	v_ffbh_u32_e32 v3, v0
	v_min_u32_e32 v3, 32, v3
	v_subrev_nc_u32_e32 v4, 28, v3
	v_sub_nc_u32_e32 v3, 29, v3
	v_lshlrev_b64 v[4:5], v4, v[0:1]
	v_and_b32_e32 v0, 7, v4
; %bb.175:                              ;   in Loop: Header=BB226_10 Depth=1
	s_or_b32 exec_lo, exec_lo, s18
	v_lshlrev_b32_e32 v4, 24, v2
	v_lshlrev_b32_e32 v0, 20, v0
	v_lshl_add_u32 v3, v3, 23, 0x3c000000
	v_and_b32_e32 v4, 0x80000000, v4
	v_or3_b32 v0, v0, v4, v3
	buffer_store_dword v0, off, s[0:3], s32 offset:356 ; 4-byte Folded Spill
	buffer_store_dword v1, off, s[0:3], s32 offset:360 ; 4-byte Folded Spill
.LBB226_176:                            ;   in Loop: Header=BB226_10 Depth=1
	s_or_b32 exec_lo, exec_lo, s17
.LBB226_177:                            ;   in Loop: Header=BB226_10 Depth=1
	s_or_b32 exec_lo, exec_lo, s15
.LBB226_178:                            ;   in Loop: Header=BB226_10 Depth=1
	s_or_b32 exec_lo, exec_lo, s13
	v_cmp_ne_u16_sdwa s5, v2, v1 src0_sel:BYTE_1 src1_sel:DWORD
	s_and_saveexec_b32 s13, s5
	s_cbranch_execz .LBB226_186
; %bb.179:                              ;   in Loop: Header=BB226_10 Depth=1
	v_mov_b32_e32 v20, v1
	v_cmp_ne_u16_sdwa s5, v2, v119 src0_sel:BYTE_1 src1_sel:DWORD
	buffer_store_dword v20, off, s[0:3], s32 offset:364 ; 4-byte Folded Spill
	buffer_store_dword v21, off, s[0:3], s32 offset:368 ; 4-byte Folded Spill
	s_and_saveexec_b32 s15, s5
	s_cbranch_execz .LBB226_185
; %bb.180:                              ;   in Loop: Header=BB226_10 Depth=1
	v_mov_b32_e32 v0, 0xffff
	v_mov_b32_e32 v16, v1
	s_mov_b32 s17, exec_lo
	buffer_store_dword v16, off, s[0:3], s32 offset:364 ; 4-byte Folded Spill
	buffer_store_dword v17, off, s[0:3], s32 offset:368 ; 4-byte Folded Spill
	v_and_b32_sdwa v0, v0, v2 dst_sel:DWORD dst_unused:UNUSED_PAD src0_sel:DWORD src1_sel:BYTE_1
	v_and_b32_e32 v4, 0x7f, v0
	v_cmpx_ne_u32_e32 0x7f, v4
	s_cbranch_execz .LBB226_184
; %bb.181:                              ;   in Loop: Header=BB226_10 Depth=1
	v_and_b32_e32 v0, 7, v0
	v_lshrrev_b32_e32 v3, 3, v4
	s_mov_b32 s18, exec_lo
	v_cmpx_gt_u32_e32 8, v4
; %bb.182:                              ;   in Loop: Header=BB226_10 Depth=1
	v_ffbh_u32_e32 v3, v0
	v_min_u32_e32 v3, 32, v3
	v_subrev_nc_u32_e32 v4, 28, v3
	v_sub_nc_u32_e32 v3, 29, v3
	v_lshlrev_b64 v[4:5], v4, v[0:1]
	v_and_b32_e32 v0, 7, v4
; %bb.183:                              ;   in Loop: Header=BB226_10 Depth=1
	s_or_b32 exec_lo, exec_lo, s18
	v_lshlrev_b32_e32 v4, 16, v2
	v_lshlrev_b32_e32 v0, 20, v0
	v_lshl_add_u32 v3, v3, 23, 0x3c000000
	v_and_b32_e32 v4, 0x80000000, v4
	v_or3_b32 v4, v0, v4, v3
	v_mov_b32_e32 v3, v1
	buffer_store_dword v3, off, s[0:3], s32 offset:364 ; 4-byte Folded Spill
	buffer_store_dword v4, off, s[0:3], s32 offset:368 ; 4-byte Folded Spill
.LBB226_184:                            ;   in Loop: Header=BB226_10 Depth=1
	s_or_b32 exec_lo, exec_lo, s17
.LBB226_185:                            ;   in Loop: Header=BB226_10 Depth=1
	s_or_b32 exec_lo, exec_lo, s15
.LBB226_186:                            ;   in Loop: Header=BB226_10 Depth=1
	s_or_b32 exec_lo, exec_lo, s13
	v_mov_b32_e32 v3, 0
	v_mov_b32_e32 v4, 0
	;; [unrolled: 1-line block ×3, first 2 shown]
	s_mov_b32 s13, exec_lo
	buffer_store_dword v3, off, s[0:3], s32 offset:372 ; 4-byte Folded Spill
	buffer_store_dword v4, off, s[0:3], s32 offset:376 ; 4-byte Folded Spill
	v_mov_b32_e32 v3, 0
	v_and_b32_sdwa v0, v2, v0 dst_sel:DWORD dst_unused:UNUSED_PAD src0_sel:WORD_1 src1_sel:DWORD
	v_mov_b32_e32 v4, 0
	buffer_store_dword v3, off, s[0:3], s32 offset:380 ; 4-byte Folded Spill
	buffer_store_dword v4, off, s[0:3], s32 offset:384 ; 4-byte Folded Spill
	v_cmpx_ne_u16_e32 0, v0
	s_cbranch_execz .LBB226_194
; %bb.187:                              ;   in Loop: Header=BB226_10 Depth=1
	v_bfrev_b32_e32 v3, 1
	v_mov_b32_e32 v4, 0
	s_mov_b32 s15, exec_lo
	buffer_store_dword v3, off, s[0:3], s32 offset:380 ; 4-byte Folded Spill
	buffer_store_dword v4, off, s[0:3], s32 offset:384 ; 4-byte Folded Spill
	v_cmpx_ne_u16_e32 0x80, v0
	s_cbranch_execz .LBB226_193
; %bb.188:                              ;   in Loop: Header=BB226_10 Depth=1
	v_mov_b32_e32 v5, 0x7f800001
	v_bfe_u32 v4, v2, 16, 7
	v_mov_b32_e32 v6, 0
	s_mov_b32 s17, exec_lo
	buffer_store_dword v5, off, s[0:3], s32 offset:380 ; 4-byte Folded Spill
	buffer_store_dword v6, off, s[0:3], s32 offset:384 ; 4-byte Folded Spill
	v_cmpx_ne_u32_e32 0x7f, v4
	s_cbranch_execz .LBB226_192
; %bb.189:                              ;   in Loop: Header=BB226_10 Depth=1
	v_mov_b32_e32 v0, 7
	v_lshrrev_b32_e32 v3, 3, v4
	s_mov_b32 s18, exec_lo
	v_and_b32_sdwa v0, v2, v0 dst_sel:DWORD dst_unused:UNUSED_PAD src0_sel:WORD_1 src1_sel:DWORD
	v_cmpx_gt_u32_e32 8, v4
; %bb.190:                              ;   in Loop: Header=BB226_10 Depth=1
	v_ffbh_u32_e32 v3, v0
	v_min_u32_e32 v3, 32, v3
	v_subrev_nc_u32_e32 v4, 28, v3
	v_sub_nc_u32_e32 v3, 29, v3
	v_lshlrev_b64 v[4:5], v4, v[0:1]
	v_and_b32_e32 v0, 7, v4
; %bb.191:                              ;   in Loop: Header=BB226_10 Depth=1
	s_or_b32 exec_lo, exec_lo, s18
	v_mov_b32_e32 v4, 24
	v_lshlrev_b32_e32 v0, 20, v0
	v_lshl_add_u32 v3, v3, 23, 0x3c000000
	v_lshlrev_b32_sdwa v4, v4, v2 dst_sel:DWORD dst_unused:UNUSED_PAD src0_sel:DWORD src1_sel:WORD_1
	v_and_b32_e32 v4, 0x80000000, v4
	v_or3_b32 v0, v0, v4, v3
	buffer_store_dword v0, off, s[0:3], s32 offset:380 ; 4-byte Folded Spill
	buffer_store_dword v1, off, s[0:3], s32 offset:384 ; 4-byte Folded Spill
.LBB226_192:                            ;   in Loop: Header=BB226_10 Depth=1
	s_or_b32 exec_lo, exec_lo, s17
.LBB226_193:                            ;   in Loop: Header=BB226_10 Depth=1
	s_or_b32 exec_lo, exec_lo, s15
.LBB226_194:                            ;   in Loop: Header=BB226_10 Depth=1
	s_or_b32 exec_lo, exec_lo, s13
	s_mov_b32 s13, exec_lo
	v_cmpx_lt_u32_e32 0xffffff, v2
	s_cbranch_execz .LBB226_202
; %bb.195:                              ;   in Loop: Header=BB226_10 Depth=1
	v_mov_b32_e32 v20, v1
	v_cmp_ne_u32_sdwa s5, v2, v119 src0_sel:BYTE_3 src1_sel:DWORD
	buffer_store_dword v20, off, s[0:3], s32 offset:372 ; 4-byte Folded Spill
	buffer_store_dword v21, off, s[0:3], s32 offset:376 ; 4-byte Folded Spill
	s_and_saveexec_b32 s15, s5
	s_cbranch_execz .LBB226_201
; %bb.196:                              ;   in Loop: Header=BB226_10 Depth=1
	v_bfe_u32 v4, v2, 24, 7
	v_mov_b32_e32 v16, v1
	s_mov_b32 s17, exec_lo
	buffer_store_dword v16, off, s[0:3], s32 offset:372 ; 4-byte Folded Spill
	buffer_store_dword v17, off, s[0:3], s32 offset:376 ; 4-byte Folded Spill
	v_cmpx_ne_u32_e32 0x7f, v4
	s_cbranch_execz .LBB226_200
; %bb.197:                              ;   in Loop: Header=BB226_10 Depth=1
	v_mov_b32_e32 v0, 7
	v_lshrrev_b32_e32 v3, 3, v4
	s_mov_b32 s18, exec_lo
	v_and_b32_sdwa v0, v2, v0 dst_sel:DWORD dst_unused:UNUSED_PAD src0_sel:BYTE_3 src1_sel:DWORD
	v_cmpx_gt_u32_e32 8, v4
; %bb.198:                              ;   in Loop: Header=BB226_10 Depth=1
	v_ffbh_u32_e32 v3, v0
	v_min_u32_e32 v3, 32, v3
	v_subrev_nc_u32_e32 v4, 28, v3
	v_sub_nc_u32_e32 v3, 29, v3
	v_lshlrev_b64 v[4:5], v4, v[0:1]
	v_and_b32_e32 v0, 7, v4
; %bb.199:                              ;   in Loop: Header=BB226_10 Depth=1
	s_or_b32 exec_lo, exec_lo, s18
	v_mov_b32_e32 v4, 24
	v_lshlrev_b32_e32 v0, 20, v0
	v_lshl_add_u32 v3, v3, 23, 0x3c000000
	v_lshlrev_b32_sdwa v2, v4, v2 dst_sel:DWORD dst_unused:UNUSED_PAD src0_sel:DWORD src1_sel:BYTE_3
	v_and_b32_e32 v2, 0x80000000, v2
	v_or3_b32 v3, v0, v2, v3
	v_mov_b32_e32 v2, v1
	buffer_store_dword v2, off, s[0:3], s32 offset:372 ; 4-byte Folded Spill
	buffer_store_dword v3, off, s[0:3], s32 offset:376 ; 4-byte Folded Spill
.LBB226_200:                            ;   in Loop: Header=BB226_10 Depth=1
	s_or_b32 exec_lo, exec_lo, s17
.LBB226_201:                            ;   in Loop: Header=BB226_10 Depth=1
	s_or_b32 exec_lo, exec_lo, s15
.LBB226_202:                            ;   in Loop: Header=BB226_10 Depth=1
	s_or_b32 exec_lo, exec_lo, s13
	flat_load_dword v2, v[8:9] offset:520
	v_mov_b32_e32 v3, 0
	v_mov_b32_e32 v4, 0
	buffer_store_dword v3, off, s[0:3], s32 offset:396 ; 4-byte Folded Spill
	buffer_store_dword v4, off, s[0:3], s32 offset:400 ; 4-byte Folded Spill
	v_mov_b32_e32 v3, 0
	v_mov_b32_e32 v4, 0
	buffer_store_dword v3, off, s[0:3], s32 offset:388 ; 4-byte Folded Spill
	buffer_store_dword v4, off, s[0:3], s32 offset:392 ; 4-byte Folded Spill
	s_waitcnt vmcnt(0) lgkmcnt(0)
	v_cmp_ne_u16_sdwa s5, v2, v1 src0_sel:BYTE_0 src1_sel:DWORD
	s_and_saveexec_b32 s13, s5
	s_cbranch_execz .LBB226_210
; %bb.203:                              ;   in Loop: Header=BB226_10 Depth=1
	v_bfrev_b32_e32 v3, 1
	v_mov_b32_e32 v4, 0
	v_cmp_ne_u16_sdwa s5, v2, v119 src0_sel:BYTE_0 src1_sel:DWORD
	buffer_store_dword v3, off, s[0:3], s32 offset:388 ; 4-byte Folded Spill
	buffer_store_dword v4, off, s[0:3], s32 offset:392 ; 4-byte Folded Spill
	s_and_saveexec_b32 s15, s5
	s_cbranch_execz .LBB226_209
; %bb.204:                              ;   in Loop: Header=BB226_10 Depth=1
	v_mov_b32_e32 v5, 0x7f800001
	v_and_b32_e32 v4, 0x7f, v2
	v_mov_b32_e32 v6, 0
	s_mov_b32 s17, exec_lo
	buffer_store_dword v5, off, s[0:3], s32 offset:388 ; 4-byte Folded Spill
	buffer_store_dword v6, off, s[0:3], s32 offset:392 ; 4-byte Folded Spill
	v_cmpx_ne_u32_e32 0x7f, v4
	s_cbranch_execz .LBB226_208
; %bb.205:                              ;   in Loop: Header=BB226_10 Depth=1
	v_and_b32_e32 v0, 7, v2
	v_lshrrev_b32_e32 v3, 3, v4
	s_mov_b32 s18, exec_lo
	v_cmpx_gt_u32_e32 8, v4
; %bb.206:                              ;   in Loop: Header=BB226_10 Depth=1
	v_ffbh_u32_e32 v3, v0
	v_min_u32_e32 v3, 32, v3
	v_subrev_nc_u32_e32 v4, 28, v3
	v_sub_nc_u32_e32 v3, 29, v3
	v_lshlrev_b64 v[4:5], v4, v[0:1]
	v_and_b32_e32 v0, 7, v4
; %bb.207:                              ;   in Loop: Header=BB226_10 Depth=1
	s_or_b32 exec_lo, exec_lo, s18
	v_lshlrev_b32_e32 v4, 24, v2
	v_lshlrev_b32_e32 v0, 20, v0
	v_lshl_add_u32 v3, v3, 23, 0x3c000000
	v_and_b32_e32 v4, 0x80000000, v4
	v_or3_b32 v0, v0, v4, v3
	buffer_store_dword v0, off, s[0:3], s32 offset:388 ; 4-byte Folded Spill
	buffer_store_dword v1, off, s[0:3], s32 offset:392 ; 4-byte Folded Spill
.LBB226_208:                            ;   in Loop: Header=BB226_10 Depth=1
	s_or_b32 exec_lo, exec_lo, s17
.LBB226_209:                            ;   in Loop: Header=BB226_10 Depth=1
	s_or_b32 exec_lo, exec_lo, s15
.LBB226_210:                            ;   in Loop: Header=BB226_10 Depth=1
	s_or_b32 exec_lo, exec_lo, s13
	v_cmp_ne_u16_sdwa s5, v2, v1 src0_sel:BYTE_1 src1_sel:DWORD
	s_and_saveexec_b32 s13, s5
	s_cbranch_execz .LBB226_218
; %bb.211:                              ;   in Loop: Header=BB226_10 Depth=1
	v_mov_b32_e32 v20, v1
	v_cmp_ne_u16_sdwa s5, v2, v119 src0_sel:BYTE_1 src1_sel:DWORD
	buffer_store_dword v20, off, s[0:3], s32 offset:396 ; 4-byte Folded Spill
	buffer_store_dword v21, off, s[0:3], s32 offset:400 ; 4-byte Folded Spill
	s_and_saveexec_b32 s15, s5
	s_cbranch_execz .LBB226_217
; %bb.212:                              ;   in Loop: Header=BB226_10 Depth=1
	v_mov_b32_e32 v0, 0xffff
	v_mov_b32_e32 v16, v1
	s_mov_b32 s17, exec_lo
	buffer_store_dword v16, off, s[0:3], s32 offset:396 ; 4-byte Folded Spill
	buffer_store_dword v17, off, s[0:3], s32 offset:400 ; 4-byte Folded Spill
	v_and_b32_sdwa v0, v0, v2 dst_sel:DWORD dst_unused:UNUSED_PAD src0_sel:DWORD src1_sel:BYTE_1
	v_and_b32_e32 v4, 0x7f, v0
	v_cmpx_ne_u32_e32 0x7f, v4
	s_cbranch_execz .LBB226_216
; %bb.213:                              ;   in Loop: Header=BB226_10 Depth=1
	v_and_b32_e32 v0, 7, v0
	v_lshrrev_b32_e32 v3, 3, v4
	s_mov_b32 s18, exec_lo
	v_cmpx_gt_u32_e32 8, v4
; %bb.214:                              ;   in Loop: Header=BB226_10 Depth=1
	v_ffbh_u32_e32 v3, v0
	v_min_u32_e32 v3, 32, v3
	v_subrev_nc_u32_e32 v4, 28, v3
	v_sub_nc_u32_e32 v3, 29, v3
	v_lshlrev_b64 v[4:5], v4, v[0:1]
	v_and_b32_e32 v0, 7, v4
; %bb.215:                              ;   in Loop: Header=BB226_10 Depth=1
	s_or_b32 exec_lo, exec_lo, s18
	v_lshlrev_b32_e32 v4, 16, v2
	v_lshlrev_b32_e32 v0, 20, v0
	v_lshl_add_u32 v3, v3, 23, 0x3c000000
	v_and_b32_e32 v4, 0x80000000, v4
	v_or3_b32 v4, v0, v4, v3
	v_mov_b32_e32 v3, v1
	buffer_store_dword v3, off, s[0:3], s32 offset:396 ; 4-byte Folded Spill
	buffer_store_dword v4, off, s[0:3], s32 offset:400 ; 4-byte Folded Spill
.LBB226_216:                            ;   in Loop: Header=BB226_10 Depth=1
	s_or_b32 exec_lo, exec_lo, s17
.LBB226_217:                            ;   in Loop: Header=BB226_10 Depth=1
	s_or_b32 exec_lo, exec_lo, s15
.LBB226_218:                            ;   in Loop: Header=BB226_10 Depth=1
	s_or_b32 exec_lo, exec_lo, s13
	v_mov_b32_e32 v3, 0
	v_mov_b32_e32 v4, 0
	;; [unrolled: 1-line block ×3, first 2 shown]
	s_mov_b32 s13, exec_lo
	buffer_store_dword v3, off, s[0:3], s32 offset:404 ; 4-byte Folded Spill
	buffer_store_dword v4, off, s[0:3], s32 offset:408 ; 4-byte Folded Spill
	v_mov_b32_e32 v3, 0
	v_and_b32_sdwa v0, v2, v0 dst_sel:DWORD dst_unused:UNUSED_PAD src0_sel:WORD_1 src1_sel:DWORD
	v_mov_b32_e32 v4, 0
	buffer_store_dword v3, off, s[0:3], s32 offset:412 ; 4-byte Folded Spill
	buffer_store_dword v4, off, s[0:3], s32 offset:416 ; 4-byte Folded Spill
	v_cmpx_ne_u16_e32 0, v0
	s_cbranch_execz .LBB226_226
; %bb.219:                              ;   in Loop: Header=BB226_10 Depth=1
	v_bfrev_b32_e32 v3, 1
	v_mov_b32_e32 v4, 0
	s_mov_b32 s15, exec_lo
	buffer_store_dword v3, off, s[0:3], s32 offset:412 ; 4-byte Folded Spill
	buffer_store_dword v4, off, s[0:3], s32 offset:416 ; 4-byte Folded Spill
	v_cmpx_ne_u16_e32 0x80, v0
	s_cbranch_execz .LBB226_225
; %bb.220:                              ;   in Loop: Header=BB226_10 Depth=1
	v_mov_b32_e32 v5, 0x7f800001
	v_bfe_u32 v4, v2, 16, 7
	v_mov_b32_e32 v6, 0
	s_mov_b32 s17, exec_lo
	buffer_store_dword v5, off, s[0:3], s32 offset:412 ; 4-byte Folded Spill
	buffer_store_dword v6, off, s[0:3], s32 offset:416 ; 4-byte Folded Spill
	v_cmpx_ne_u32_e32 0x7f, v4
	s_cbranch_execz .LBB226_224
; %bb.221:                              ;   in Loop: Header=BB226_10 Depth=1
	v_mov_b32_e32 v0, 7
	v_lshrrev_b32_e32 v3, 3, v4
	s_mov_b32 s18, exec_lo
	v_and_b32_sdwa v0, v2, v0 dst_sel:DWORD dst_unused:UNUSED_PAD src0_sel:WORD_1 src1_sel:DWORD
	v_cmpx_gt_u32_e32 8, v4
; %bb.222:                              ;   in Loop: Header=BB226_10 Depth=1
	v_ffbh_u32_e32 v3, v0
	v_min_u32_e32 v3, 32, v3
	v_subrev_nc_u32_e32 v4, 28, v3
	v_sub_nc_u32_e32 v3, 29, v3
	v_lshlrev_b64 v[4:5], v4, v[0:1]
	v_and_b32_e32 v0, 7, v4
; %bb.223:                              ;   in Loop: Header=BB226_10 Depth=1
	s_or_b32 exec_lo, exec_lo, s18
	v_mov_b32_e32 v4, 24
	v_lshlrev_b32_e32 v0, 20, v0
	v_lshl_add_u32 v3, v3, 23, 0x3c000000
	v_lshlrev_b32_sdwa v4, v4, v2 dst_sel:DWORD dst_unused:UNUSED_PAD src0_sel:DWORD src1_sel:WORD_1
	v_and_b32_e32 v4, 0x80000000, v4
	v_or3_b32 v0, v0, v4, v3
	buffer_store_dword v0, off, s[0:3], s32 offset:412 ; 4-byte Folded Spill
	buffer_store_dword v1, off, s[0:3], s32 offset:416 ; 4-byte Folded Spill
.LBB226_224:                            ;   in Loop: Header=BB226_10 Depth=1
	s_or_b32 exec_lo, exec_lo, s17
.LBB226_225:                            ;   in Loop: Header=BB226_10 Depth=1
	s_or_b32 exec_lo, exec_lo, s15
.LBB226_226:                            ;   in Loop: Header=BB226_10 Depth=1
	s_or_b32 exec_lo, exec_lo, s13
	s_mov_b32 s13, exec_lo
	v_cmpx_lt_u32_e32 0xffffff, v2
	s_cbranch_execz .LBB226_234
; %bb.227:                              ;   in Loop: Header=BB226_10 Depth=1
	v_mov_b32_e32 v20, v1
	v_cmp_ne_u32_sdwa s5, v2, v119 src0_sel:BYTE_3 src1_sel:DWORD
	buffer_store_dword v20, off, s[0:3], s32 offset:404 ; 4-byte Folded Spill
	buffer_store_dword v21, off, s[0:3], s32 offset:408 ; 4-byte Folded Spill
	s_and_saveexec_b32 s15, s5
	s_cbranch_execz .LBB226_233
; %bb.228:                              ;   in Loop: Header=BB226_10 Depth=1
	v_bfe_u32 v4, v2, 24, 7
	v_mov_b32_e32 v16, v1
	s_mov_b32 s17, exec_lo
	buffer_store_dword v16, off, s[0:3], s32 offset:404 ; 4-byte Folded Spill
	buffer_store_dword v17, off, s[0:3], s32 offset:408 ; 4-byte Folded Spill
	v_cmpx_ne_u32_e32 0x7f, v4
	s_cbranch_execz .LBB226_232
; %bb.229:                              ;   in Loop: Header=BB226_10 Depth=1
	v_mov_b32_e32 v0, 7
	v_lshrrev_b32_e32 v3, 3, v4
	s_mov_b32 s18, exec_lo
	v_and_b32_sdwa v0, v2, v0 dst_sel:DWORD dst_unused:UNUSED_PAD src0_sel:BYTE_3 src1_sel:DWORD
	v_cmpx_gt_u32_e32 8, v4
; %bb.230:                              ;   in Loop: Header=BB226_10 Depth=1
	v_ffbh_u32_e32 v3, v0
	v_min_u32_e32 v3, 32, v3
	v_subrev_nc_u32_e32 v4, 28, v3
	v_sub_nc_u32_e32 v3, 29, v3
	v_lshlrev_b64 v[4:5], v4, v[0:1]
	v_and_b32_e32 v0, 7, v4
; %bb.231:                              ;   in Loop: Header=BB226_10 Depth=1
	s_or_b32 exec_lo, exec_lo, s18
	v_mov_b32_e32 v4, 24
	v_lshlrev_b32_e32 v0, 20, v0
	v_lshl_add_u32 v3, v3, 23, 0x3c000000
	v_lshlrev_b32_sdwa v2, v4, v2 dst_sel:DWORD dst_unused:UNUSED_PAD src0_sel:DWORD src1_sel:BYTE_3
	v_and_b32_e32 v2, 0x80000000, v2
	v_or3_b32 v3, v0, v2, v3
	v_mov_b32_e32 v2, v1
	buffer_store_dword v2, off, s[0:3], s32 offset:404 ; 4-byte Folded Spill
	buffer_store_dword v3, off, s[0:3], s32 offset:408 ; 4-byte Folded Spill
.LBB226_232:                            ;   in Loop: Header=BB226_10 Depth=1
	s_or_b32 exec_lo, exec_lo, s17
.LBB226_233:                            ;   in Loop: Header=BB226_10 Depth=1
	s_or_b32 exec_lo, exec_lo, s15
.LBB226_234:                            ;   in Loop: Header=BB226_10 Depth=1
	s_or_b32 exec_lo, exec_lo, s13
	flat_load_dword v2, v[8:9] offset:524
	v_mov_b32_e32 v3, 0
	v_mov_b32_e32 v4, 0
	buffer_store_dword v3, off, s[0:3], s32 offset:428 ; 4-byte Folded Spill
	buffer_store_dword v4, off, s[0:3], s32 offset:432 ; 4-byte Folded Spill
	v_mov_b32_e32 v3, 0
	v_mov_b32_e32 v4, 0
	buffer_store_dword v3, off, s[0:3], s32 offset:420 ; 4-byte Folded Spill
	buffer_store_dword v4, off, s[0:3], s32 offset:424 ; 4-byte Folded Spill
	s_waitcnt vmcnt(0) lgkmcnt(0)
	v_cmp_ne_u16_sdwa s5, v2, v1 src0_sel:BYTE_0 src1_sel:DWORD
	s_and_saveexec_b32 s13, s5
	s_cbranch_execz .LBB226_242
; %bb.235:                              ;   in Loop: Header=BB226_10 Depth=1
	v_bfrev_b32_e32 v3, 1
	v_mov_b32_e32 v4, 0
	v_cmp_ne_u16_sdwa s5, v2, v119 src0_sel:BYTE_0 src1_sel:DWORD
	buffer_store_dword v3, off, s[0:3], s32 offset:420 ; 4-byte Folded Spill
	buffer_store_dword v4, off, s[0:3], s32 offset:424 ; 4-byte Folded Spill
	s_and_saveexec_b32 s15, s5
	s_cbranch_execz .LBB226_241
; %bb.236:                              ;   in Loop: Header=BB226_10 Depth=1
	v_mov_b32_e32 v5, 0x7f800001
	v_and_b32_e32 v4, 0x7f, v2
	v_mov_b32_e32 v6, 0
	s_mov_b32 s17, exec_lo
	buffer_store_dword v5, off, s[0:3], s32 offset:420 ; 4-byte Folded Spill
	buffer_store_dword v6, off, s[0:3], s32 offset:424 ; 4-byte Folded Spill
	v_cmpx_ne_u32_e32 0x7f, v4
	s_cbranch_execz .LBB226_240
; %bb.237:                              ;   in Loop: Header=BB226_10 Depth=1
	v_and_b32_e32 v0, 7, v2
	v_lshrrev_b32_e32 v3, 3, v4
	s_mov_b32 s18, exec_lo
	v_cmpx_gt_u32_e32 8, v4
; %bb.238:                              ;   in Loop: Header=BB226_10 Depth=1
	v_ffbh_u32_e32 v3, v0
	v_min_u32_e32 v3, 32, v3
	v_subrev_nc_u32_e32 v4, 28, v3
	v_sub_nc_u32_e32 v3, 29, v3
	v_lshlrev_b64 v[4:5], v4, v[0:1]
	v_and_b32_e32 v0, 7, v4
; %bb.239:                              ;   in Loop: Header=BB226_10 Depth=1
	s_or_b32 exec_lo, exec_lo, s18
	v_lshlrev_b32_e32 v4, 24, v2
	v_lshlrev_b32_e32 v0, 20, v0
	v_lshl_add_u32 v3, v3, 23, 0x3c000000
	v_and_b32_e32 v4, 0x80000000, v4
	v_or3_b32 v0, v0, v4, v3
	buffer_store_dword v0, off, s[0:3], s32 offset:420 ; 4-byte Folded Spill
	buffer_store_dword v1, off, s[0:3], s32 offset:424 ; 4-byte Folded Spill
.LBB226_240:                            ;   in Loop: Header=BB226_10 Depth=1
	s_or_b32 exec_lo, exec_lo, s17
.LBB226_241:                            ;   in Loop: Header=BB226_10 Depth=1
	s_or_b32 exec_lo, exec_lo, s15
.LBB226_242:                            ;   in Loop: Header=BB226_10 Depth=1
	s_or_b32 exec_lo, exec_lo, s13
	v_cmp_ne_u16_sdwa s5, v2, v1 src0_sel:BYTE_1 src1_sel:DWORD
	s_and_saveexec_b32 s13, s5
	s_cbranch_execz .LBB226_250
; %bb.243:                              ;   in Loop: Header=BB226_10 Depth=1
	v_mov_b32_e32 v20, v1
	v_cmp_ne_u16_sdwa s5, v2, v119 src0_sel:BYTE_1 src1_sel:DWORD
	buffer_store_dword v20, off, s[0:3], s32 offset:428 ; 4-byte Folded Spill
	buffer_store_dword v21, off, s[0:3], s32 offset:432 ; 4-byte Folded Spill
	s_and_saveexec_b32 s15, s5
	s_cbranch_execz .LBB226_249
; %bb.244:                              ;   in Loop: Header=BB226_10 Depth=1
	v_mov_b32_e32 v0, 0xffff
	v_mov_b32_e32 v16, v1
	s_mov_b32 s17, exec_lo
	buffer_store_dword v16, off, s[0:3], s32 offset:428 ; 4-byte Folded Spill
	buffer_store_dword v17, off, s[0:3], s32 offset:432 ; 4-byte Folded Spill
	v_and_b32_sdwa v0, v0, v2 dst_sel:DWORD dst_unused:UNUSED_PAD src0_sel:DWORD src1_sel:BYTE_1
	v_and_b32_e32 v4, 0x7f, v0
	v_cmpx_ne_u32_e32 0x7f, v4
	s_cbranch_execz .LBB226_248
; %bb.245:                              ;   in Loop: Header=BB226_10 Depth=1
	v_and_b32_e32 v0, 7, v0
	v_lshrrev_b32_e32 v3, 3, v4
	s_mov_b32 s18, exec_lo
	v_cmpx_gt_u32_e32 8, v4
; %bb.246:                              ;   in Loop: Header=BB226_10 Depth=1
	v_ffbh_u32_e32 v3, v0
	v_min_u32_e32 v3, 32, v3
	v_subrev_nc_u32_e32 v4, 28, v3
	v_sub_nc_u32_e32 v3, 29, v3
	v_lshlrev_b64 v[4:5], v4, v[0:1]
	v_and_b32_e32 v0, 7, v4
; %bb.247:                              ;   in Loop: Header=BB226_10 Depth=1
	s_or_b32 exec_lo, exec_lo, s18
	v_lshlrev_b32_e32 v4, 16, v2
	v_lshlrev_b32_e32 v0, 20, v0
	v_lshl_add_u32 v3, v3, 23, 0x3c000000
	v_and_b32_e32 v4, 0x80000000, v4
	v_or3_b32 v4, v0, v4, v3
	v_mov_b32_e32 v3, v1
	buffer_store_dword v3, off, s[0:3], s32 offset:428 ; 4-byte Folded Spill
	buffer_store_dword v4, off, s[0:3], s32 offset:432 ; 4-byte Folded Spill
.LBB226_248:                            ;   in Loop: Header=BB226_10 Depth=1
	s_or_b32 exec_lo, exec_lo, s17
.LBB226_249:                            ;   in Loop: Header=BB226_10 Depth=1
	s_or_b32 exec_lo, exec_lo, s15
.LBB226_250:                            ;   in Loop: Header=BB226_10 Depth=1
	s_or_b32 exec_lo, exec_lo, s13
	v_mov_b32_e32 v3, 0
	v_mov_b32_e32 v4, 0
	;; [unrolled: 1-line block ×3, first 2 shown]
	s_mov_b32 s13, exec_lo
	buffer_store_dword v3, off, s[0:3], s32 offset:436 ; 4-byte Folded Spill
	buffer_store_dword v4, off, s[0:3], s32 offset:440 ; 4-byte Folded Spill
	v_mov_b32_e32 v3, 0
	v_and_b32_sdwa v0, v2, v0 dst_sel:DWORD dst_unused:UNUSED_PAD src0_sel:WORD_1 src1_sel:DWORD
	v_mov_b32_e32 v4, 0
	buffer_store_dword v3, off, s[0:3], s32 offset:444 ; 4-byte Folded Spill
	buffer_store_dword v4, off, s[0:3], s32 offset:448 ; 4-byte Folded Spill
	v_cmpx_ne_u16_e32 0, v0
	s_cbranch_execz .LBB226_258
; %bb.251:                              ;   in Loop: Header=BB226_10 Depth=1
	v_bfrev_b32_e32 v3, 1
	v_mov_b32_e32 v4, 0
	s_mov_b32 s15, exec_lo
	buffer_store_dword v3, off, s[0:3], s32 offset:444 ; 4-byte Folded Spill
	buffer_store_dword v4, off, s[0:3], s32 offset:448 ; 4-byte Folded Spill
	v_cmpx_ne_u16_e32 0x80, v0
	s_cbranch_execz .LBB226_257
; %bb.252:                              ;   in Loop: Header=BB226_10 Depth=1
	v_mov_b32_e32 v5, 0x7f800001
	v_bfe_u32 v4, v2, 16, 7
	v_mov_b32_e32 v6, 0
	s_mov_b32 s17, exec_lo
	buffer_store_dword v5, off, s[0:3], s32 offset:444 ; 4-byte Folded Spill
	buffer_store_dword v6, off, s[0:3], s32 offset:448 ; 4-byte Folded Spill
	v_cmpx_ne_u32_e32 0x7f, v4
	s_cbranch_execz .LBB226_256
; %bb.253:                              ;   in Loop: Header=BB226_10 Depth=1
	v_mov_b32_e32 v0, 7
	v_lshrrev_b32_e32 v3, 3, v4
	s_mov_b32 s18, exec_lo
	v_and_b32_sdwa v0, v2, v0 dst_sel:DWORD dst_unused:UNUSED_PAD src0_sel:WORD_1 src1_sel:DWORD
	v_cmpx_gt_u32_e32 8, v4
; %bb.254:                              ;   in Loop: Header=BB226_10 Depth=1
	v_ffbh_u32_e32 v3, v0
	v_min_u32_e32 v3, 32, v3
	v_subrev_nc_u32_e32 v4, 28, v3
	v_sub_nc_u32_e32 v3, 29, v3
	v_lshlrev_b64 v[4:5], v4, v[0:1]
	v_and_b32_e32 v0, 7, v4
; %bb.255:                              ;   in Loop: Header=BB226_10 Depth=1
	s_or_b32 exec_lo, exec_lo, s18
	v_mov_b32_e32 v4, 24
	v_lshlrev_b32_e32 v0, 20, v0
	v_lshl_add_u32 v3, v3, 23, 0x3c000000
	v_lshlrev_b32_sdwa v4, v4, v2 dst_sel:DWORD dst_unused:UNUSED_PAD src0_sel:DWORD src1_sel:WORD_1
	v_and_b32_e32 v4, 0x80000000, v4
	v_or3_b32 v0, v0, v4, v3
	buffer_store_dword v0, off, s[0:3], s32 offset:444 ; 4-byte Folded Spill
	buffer_store_dword v1, off, s[0:3], s32 offset:448 ; 4-byte Folded Spill
.LBB226_256:                            ;   in Loop: Header=BB226_10 Depth=1
	s_or_b32 exec_lo, exec_lo, s17
.LBB226_257:                            ;   in Loop: Header=BB226_10 Depth=1
	s_or_b32 exec_lo, exec_lo, s15
.LBB226_258:                            ;   in Loop: Header=BB226_10 Depth=1
	s_or_b32 exec_lo, exec_lo, s13
	s_mov_b32 s13, exec_lo
	v_cmpx_lt_u32_e32 0xffffff, v2
	s_cbranch_execz .LBB226_266
; %bb.259:                              ;   in Loop: Header=BB226_10 Depth=1
	v_mov_b32_e32 v20, v1
	v_cmp_ne_u32_sdwa s5, v2, v119 src0_sel:BYTE_3 src1_sel:DWORD
	buffer_store_dword v20, off, s[0:3], s32 offset:436 ; 4-byte Folded Spill
	buffer_store_dword v21, off, s[0:3], s32 offset:440 ; 4-byte Folded Spill
	s_and_saveexec_b32 s15, s5
	s_cbranch_execz .LBB226_265
; %bb.260:                              ;   in Loop: Header=BB226_10 Depth=1
	v_bfe_u32 v4, v2, 24, 7
	v_mov_b32_e32 v16, v1
	s_mov_b32 s17, exec_lo
	buffer_store_dword v16, off, s[0:3], s32 offset:436 ; 4-byte Folded Spill
	buffer_store_dword v17, off, s[0:3], s32 offset:440 ; 4-byte Folded Spill
	v_cmpx_ne_u32_e32 0x7f, v4
	s_cbranch_execz .LBB226_264
; %bb.261:                              ;   in Loop: Header=BB226_10 Depth=1
	v_mov_b32_e32 v0, 7
	v_lshrrev_b32_e32 v3, 3, v4
	s_mov_b32 s18, exec_lo
	v_and_b32_sdwa v0, v2, v0 dst_sel:DWORD dst_unused:UNUSED_PAD src0_sel:BYTE_3 src1_sel:DWORD
	v_cmpx_gt_u32_e32 8, v4
; %bb.262:                              ;   in Loop: Header=BB226_10 Depth=1
	v_ffbh_u32_e32 v3, v0
	v_min_u32_e32 v3, 32, v3
	v_subrev_nc_u32_e32 v4, 28, v3
	v_sub_nc_u32_e32 v3, 29, v3
	v_lshlrev_b64 v[4:5], v4, v[0:1]
	v_and_b32_e32 v0, 7, v4
; %bb.263:                              ;   in Loop: Header=BB226_10 Depth=1
	s_or_b32 exec_lo, exec_lo, s18
	v_mov_b32_e32 v4, 24
	v_lshlrev_b32_e32 v0, 20, v0
	v_lshl_add_u32 v3, v3, 23, 0x3c000000
	v_lshlrev_b32_sdwa v2, v4, v2 dst_sel:DWORD dst_unused:UNUSED_PAD src0_sel:DWORD src1_sel:BYTE_3
	v_and_b32_e32 v2, 0x80000000, v2
	v_or3_b32 v3, v0, v2, v3
	v_mov_b32_e32 v2, v1
	buffer_store_dword v2, off, s[0:3], s32 offset:436 ; 4-byte Folded Spill
	buffer_store_dword v3, off, s[0:3], s32 offset:440 ; 4-byte Folded Spill
.LBB226_264:                            ;   in Loop: Header=BB226_10 Depth=1
	s_or_b32 exec_lo, exec_lo, s17
.LBB226_265:                            ;   in Loop: Header=BB226_10 Depth=1
	s_or_b32 exec_lo, exec_lo, s15
.LBB226_266:                            ;   in Loop: Header=BB226_10 Depth=1
	s_or_b32 exec_lo, exec_lo, s13
	flat_load_dword v2, v[8:9] offset:1024
	v_mov_b32_e32 v3, 0
	v_mov_b32_e32 v4, 0
	buffer_store_dword v3, off, s[0:3], s32 offset:460 ; 4-byte Folded Spill
	buffer_store_dword v4, off, s[0:3], s32 offset:464 ; 4-byte Folded Spill
	v_mov_b32_e32 v3, 0
	v_mov_b32_e32 v4, 0
	buffer_store_dword v3, off, s[0:3], s32 offset:452 ; 4-byte Folded Spill
	buffer_store_dword v4, off, s[0:3], s32 offset:456 ; 4-byte Folded Spill
	s_waitcnt vmcnt(0) lgkmcnt(0)
	v_cmp_ne_u16_sdwa s5, v2, v1 src0_sel:BYTE_0 src1_sel:DWORD
	s_and_saveexec_b32 s13, s5
	s_cbranch_execz .LBB226_274
; %bb.267:                              ;   in Loop: Header=BB226_10 Depth=1
	v_bfrev_b32_e32 v3, 1
	v_mov_b32_e32 v4, 0
	v_cmp_ne_u16_sdwa s5, v2, v119 src0_sel:BYTE_0 src1_sel:DWORD
	buffer_store_dword v3, off, s[0:3], s32 offset:452 ; 4-byte Folded Spill
	buffer_store_dword v4, off, s[0:3], s32 offset:456 ; 4-byte Folded Spill
	s_and_saveexec_b32 s15, s5
	s_cbranch_execz .LBB226_273
; %bb.268:                              ;   in Loop: Header=BB226_10 Depth=1
	v_mov_b32_e32 v5, 0x7f800001
	v_and_b32_e32 v4, 0x7f, v2
	v_mov_b32_e32 v6, 0
	s_mov_b32 s17, exec_lo
	buffer_store_dword v5, off, s[0:3], s32 offset:452 ; 4-byte Folded Spill
	buffer_store_dword v6, off, s[0:3], s32 offset:456 ; 4-byte Folded Spill
	v_cmpx_ne_u32_e32 0x7f, v4
	s_cbranch_execz .LBB226_272
; %bb.269:                              ;   in Loop: Header=BB226_10 Depth=1
	v_and_b32_e32 v0, 7, v2
	v_lshrrev_b32_e32 v3, 3, v4
	s_mov_b32 s18, exec_lo
	v_cmpx_gt_u32_e32 8, v4
; %bb.270:                              ;   in Loop: Header=BB226_10 Depth=1
	v_ffbh_u32_e32 v3, v0
	v_min_u32_e32 v3, 32, v3
	v_subrev_nc_u32_e32 v4, 28, v3
	v_sub_nc_u32_e32 v3, 29, v3
	v_lshlrev_b64 v[4:5], v4, v[0:1]
	v_and_b32_e32 v0, 7, v4
; %bb.271:                              ;   in Loop: Header=BB226_10 Depth=1
	s_or_b32 exec_lo, exec_lo, s18
	v_lshlrev_b32_e32 v4, 24, v2
	v_lshlrev_b32_e32 v0, 20, v0
	v_lshl_add_u32 v3, v3, 23, 0x3c000000
	v_and_b32_e32 v4, 0x80000000, v4
	v_or3_b32 v0, v0, v4, v3
	buffer_store_dword v0, off, s[0:3], s32 offset:452 ; 4-byte Folded Spill
	buffer_store_dword v1, off, s[0:3], s32 offset:456 ; 4-byte Folded Spill
.LBB226_272:                            ;   in Loop: Header=BB226_10 Depth=1
	s_or_b32 exec_lo, exec_lo, s17
.LBB226_273:                            ;   in Loop: Header=BB226_10 Depth=1
	s_or_b32 exec_lo, exec_lo, s15
.LBB226_274:                            ;   in Loop: Header=BB226_10 Depth=1
	s_or_b32 exec_lo, exec_lo, s13
	v_cmp_ne_u16_sdwa s5, v2, v1 src0_sel:BYTE_1 src1_sel:DWORD
	s_and_saveexec_b32 s13, s5
	s_cbranch_execz .LBB226_282
; %bb.275:                              ;   in Loop: Header=BB226_10 Depth=1
	v_mov_b32_e32 v20, v1
	v_cmp_ne_u16_sdwa s5, v2, v119 src0_sel:BYTE_1 src1_sel:DWORD
	buffer_store_dword v20, off, s[0:3], s32 offset:460 ; 4-byte Folded Spill
	buffer_store_dword v21, off, s[0:3], s32 offset:464 ; 4-byte Folded Spill
	s_and_saveexec_b32 s15, s5
	s_cbranch_execz .LBB226_281
; %bb.276:                              ;   in Loop: Header=BB226_10 Depth=1
	v_mov_b32_e32 v0, 0xffff
	v_mov_b32_e32 v16, v1
	s_mov_b32 s17, exec_lo
	buffer_store_dword v16, off, s[0:3], s32 offset:460 ; 4-byte Folded Spill
	buffer_store_dword v17, off, s[0:3], s32 offset:464 ; 4-byte Folded Spill
	v_and_b32_sdwa v0, v0, v2 dst_sel:DWORD dst_unused:UNUSED_PAD src0_sel:DWORD src1_sel:BYTE_1
	v_and_b32_e32 v4, 0x7f, v0
	v_cmpx_ne_u32_e32 0x7f, v4
	s_cbranch_execz .LBB226_280
; %bb.277:                              ;   in Loop: Header=BB226_10 Depth=1
	v_and_b32_e32 v0, 7, v0
	v_lshrrev_b32_e32 v3, 3, v4
	s_mov_b32 s18, exec_lo
	v_cmpx_gt_u32_e32 8, v4
; %bb.278:                              ;   in Loop: Header=BB226_10 Depth=1
	v_ffbh_u32_e32 v3, v0
	v_min_u32_e32 v3, 32, v3
	v_subrev_nc_u32_e32 v4, 28, v3
	v_sub_nc_u32_e32 v3, 29, v3
	v_lshlrev_b64 v[4:5], v4, v[0:1]
	v_and_b32_e32 v0, 7, v4
; %bb.279:                              ;   in Loop: Header=BB226_10 Depth=1
	s_or_b32 exec_lo, exec_lo, s18
	v_lshlrev_b32_e32 v4, 16, v2
	v_lshlrev_b32_e32 v0, 20, v0
	v_lshl_add_u32 v3, v3, 23, 0x3c000000
	v_and_b32_e32 v4, 0x80000000, v4
	v_or3_b32 v4, v0, v4, v3
	v_mov_b32_e32 v3, v1
	buffer_store_dword v3, off, s[0:3], s32 offset:460 ; 4-byte Folded Spill
	buffer_store_dword v4, off, s[0:3], s32 offset:464 ; 4-byte Folded Spill
.LBB226_280:                            ;   in Loop: Header=BB226_10 Depth=1
	s_or_b32 exec_lo, exec_lo, s17
.LBB226_281:                            ;   in Loop: Header=BB226_10 Depth=1
	s_or_b32 exec_lo, exec_lo, s15
.LBB226_282:                            ;   in Loop: Header=BB226_10 Depth=1
	s_or_b32 exec_lo, exec_lo, s13
	v_mov_b32_e32 v3, 0
	v_mov_b32_e32 v4, 0
	;; [unrolled: 1-line block ×3, first 2 shown]
	s_mov_b32 s13, exec_lo
	buffer_store_dword v3, off, s[0:3], s32 offset:468 ; 4-byte Folded Spill
	buffer_store_dword v4, off, s[0:3], s32 offset:472 ; 4-byte Folded Spill
	v_mov_b32_e32 v3, 0
	v_and_b32_sdwa v0, v2, v0 dst_sel:DWORD dst_unused:UNUSED_PAD src0_sel:WORD_1 src1_sel:DWORD
	v_mov_b32_e32 v4, 0
	buffer_store_dword v3, off, s[0:3], s32 offset:476 ; 4-byte Folded Spill
	buffer_store_dword v4, off, s[0:3], s32 offset:480 ; 4-byte Folded Spill
	v_cmpx_ne_u16_e32 0, v0
	s_cbranch_execz .LBB226_290
; %bb.283:                              ;   in Loop: Header=BB226_10 Depth=1
	v_bfrev_b32_e32 v3, 1
	v_mov_b32_e32 v4, 0
	s_mov_b32 s15, exec_lo
	buffer_store_dword v3, off, s[0:3], s32 offset:476 ; 4-byte Folded Spill
	buffer_store_dword v4, off, s[0:3], s32 offset:480 ; 4-byte Folded Spill
	v_cmpx_ne_u16_e32 0x80, v0
	s_cbranch_execz .LBB226_289
; %bb.284:                              ;   in Loop: Header=BB226_10 Depth=1
	v_mov_b32_e32 v5, 0x7f800001
	v_bfe_u32 v4, v2, 16, 7
	v_mov_b32_e32 v6, 0
	s_mov_b32 s17, exec_lo
	buffer_store_dword v5, off, s[0:3], s32 offset:476 ; 4-byte Folded Spill
	buffer_store_dword v6, off, s[0:3], s32 offset:480 ; 4-byte Folded Spill
	v_cmpx_ne_u32_e32 0x7f, v4
	s_cbranch_execz .LBB226_288
; %bb.285:                              ;   in Loop: Header=BB226_10 Depth=1
	v_mov_b32_e32 v0, 7
	v_lshrrev_b32_e32 v3, 3, v4
	s_mov_b32 s18, exec_lo
	v_and_b32_sdwa v0, v2, v0 dst_sel:DWORD dst_unused:UNUSED_PAD src0_sel:WORD_1 src1_sel:DWORD
	v_cmpx_gt_u32_e32 8, v4
; %bb.286:                              ;   in Loop: Header=BB226_10 Depth=1
	v_ffbh_u32_e32 v3, v0
	v_min_u32_e32 v3, 32, v3
	v_subrev_nc_u32_e32 v4, 28, v3
	v_sub_nc_u32_e32 v3, 29, v3
	v_lshlrev_b64 v[4:5], v4, v[0:1]
	v_and_b32_e32 v0, 7, v4
; %bb.287:                              ;   in Loop: Header=BB226_10 Depth=1
	s_or_b32 exec_lo, exec_lo, s18
	v_mov_b32_e32 v4, 24
	v_lshlrev_b32_e32 v0, 20, v0
	v_lshl_add_u32 v3, v3, 23, 0x3c000000
	v_lshlrev_b32_sdwa v4, v4, v2 dst_sel:DWORD dst_unused:UNUSED_PAD src0_sel:DWORD src1_sel:WORD_1
	v_and_b32_e32 v4, 0x80000000, v4
	v_or3_b32 v0, v0, v4, v3
	buffer_store_dword v0, off, s[0:3], s32 offset:476 ; 4-byte Folded Spill
	buffer_store_dword v1, off, s[0:3], s32 offset:480 ; 4-byte Folded Spill
.LBB226_288:                            ;   in Loop: Header=BB226_10 Depth=1
	s_or_b32 exec_lo, exec_lo, s17
.LBB226_289:                            ;   in Loop: Header=BB226_10 Depth=1
	s_or_b32 exec_lo, exec_lo, s15
.LBB226_290:                            ;   in Loop: Header=BB226_10 Depth=1
	s_or_b32 exec_lo, exec_lo, s13
	s_mov_b32 s13, exec_lo
	v_cmpx_lt_u32_e32 0xffffff, v2
	s_cbranch_execz .LBB226_298
; %bb.291:                              ;   in Loop: Header=BB226_10 Depth=1
	v_mov_b32_e32 v20, v1
	v_cmp_ne_u32_sdwa s5, v2, v119 src0_sel:BYTE_3 src1_sel:DWORD
	buffer_store_dword v20, off, s[0:3], s32 offset:468 ; 4-byte Folded Spill
	buffer_store_dword v21, off, s[0:3], s32 offset:472 ; 4-byte Folded Spill
	s_and_saveexec_b32 s15, s5
	s_cbranch_execz .LBB226_297
; %bb.292:                              ;   in Loop: Header=BB226_10 Depth=1
	v_bfe_u32 v4, v2, 24, 7
	v_mov_b32_e32 v16, v1
	s_mov_b32 s17, exec_lo
	buffer_store_dword v16, off, s[0:3], s32 offset:468 ; 4-byte Folded Spill
	buffer_store_dword v17, off, s[0:3], s32 offset:472 ; 4-byte Folded Spill
	v_cmpx_ne_u32_e32 0x7f, v4
	s_cbranch_execz .LBB226_296
; %bb.293:                              ;   in Loop: Header=BB226_10 Depth=1
	v_mov_b32_e32 v0, 7
	v_lshrrev_b32_e32 v3, 3, v4
	s_mov_b32 s18, exec_lo
	v_and_b32_sdwa v0, v2, v0 dst_sel:DWORD dst_unused:UNUSED_PAD src0_sel:BYTE_3 src1_sel:DWORD
	v_cmpx_gt_u32_e32 8, v4
; %bb.294:                              ;   in Loop: Header=BB226_10 Depth=1
	v_ffbh_u32_e32 v3, v0
	v_min_u32_e32 v3, 32, v3
	v_subrev_nc_u32_e32 v4, 28, v3
	v_sub_nc_u32_e32 v3, 29, v3
	v_lshlrev_b64 v[4:5], v4, v[0:1]
	v_and_b32_e32 v0, 7, v4
; %bb.295:                              ;   in Loop: Header=BB226_10 Depth=1
	s_or_b32 exec_lo, exec_lo, s18
	v_mov_b32_e32 v4, 24
	v_lshlrev_b32_e32 v0, 20, v0
	v_lshl_add_u32 v3, v3, 23, 0x3c000000
	v_lshlrev_b32_sdwa v2, v4, v2 dst_sel:DWORD dst_unused:UNUSED_PAD src0_sel:DWORD src1_sel:BYTE_3
	v_and_b32_e32 v2, 0x80000000, v2
	v_or3_b32 v3, v0, v2, v3
	v_mov_b32_e32 v2, v1
	buffer_store_dword v2, off, s[0:3], s32 offset:468 ; 4-byte Folded Spill
	buffer_store_dword v3, off, s[0:3], s32 offset:472 ; 4-byte Folded Spill
.LBB226_296:                            ;   in Loop: Header=BB226_10 Depth=1
	s_or_b32 exec_lo, exec_lo, s17
.LBB226_297:                            ;   in Loop: Header=BB226_10 Depth=1
	s_or_b32 exec_lo, exec_lo, s15
.LBB226_298:                            ;   in Loop: Header=BB226_10 Depth=1
	s_or_b32 exec_lo, exec_lo, s13
	flat_load_dword v2, v[8:9] offset:1028
	v_mov_b32_e32 v3, 0
	v_mov_b32_e32 v4, 0
	buffer_store_dword v3, off, s[0:3], s32 offset:492 ; 4-byte Folded Spill
	buffer_store_dword v4, off, s[0:3], s32 offset:496 ; 4-byte Folded Spill
	v_mov_b32_e32 v3, 0
	v_mov_b32_e32 v4, 0
	buffer_store_dword v3, off, s[0:3], s32 offset:484 ; 4-byte Folded Spill
	buffer_store_dword v4, off, s[0:3], s32 offset:488 ; 4-byte Folded Spill
	s_waitcnt vmcnt(0) lgkmcnt(0)
	v_cmp_ne_u16_sdwa s5, v2, v1 src0_sel:BYTE_0 src1_sel:DWORD
	s_and_saveexec_b32 s13, s5
	s_cbranch_execz .LBB226_306
; %bb.299:                              ;   in Loop: Header=BB226_10 Depth=1
	v_bfrev_b32_e32 v3, 1
	v_mov_b32_e32 v4, 0
	v_cmp_ne_u16_sdwa s5, v2, v119 src0_sel:BYTE_0 src1_sel:DWORD
	buffer_store_dword v3, off, s[0:3], s32 offset:484 ; 4-byte Folded Spill
	buffer_store_dword v4, off, s[0:3], s32 offset:488 ; 4-byte Folded Spill
	s_and_saveexec_b32 s15, s5
	s_cbranch_execz .LBB226_305
; %bb.300:                              ;   in Loop: Header=BB226_10 Depth=1
	v_mov_b32_e32 v5, 0x7f800001
	v_and_b32_e32 v4, 0x7f, v2
	v_mov_b32_e32 v6, 0
	s_mov_b32 s17, exec_lo
	buffer_store_dword v5, off, s[0:3], s32 offset:484 ; 4-byte Folded Spill
	buffer_store_dword v6, off, s[0:3], s32 offset:488 ; 4-byte Folded Spill
	v_cmpx_ne_u32_e32 0x7f, v4
	s_cbranch_execz .LBB226_304
; %bb.301:                              ;   in Loop: Header=BB226_10 Depth=1
	v_and_b32_e32 v0, 7, v2
	v_lshrrev_b32_e32 v3, 3, v4
	s_mov_b32 s18, exec_lo
	v_cmpx_gt_u32_e32 8, v4
; %bb.302:                              ;   in Loop: Header=BB226_10 Depth=1
	v_ffbh_u32_e32 v3, v0
	v_min_u32_e32 v3, 32, v3
	v_subrev_nc_u32_e32 v4, 28, v3
	v_sub_nc_u32_e32 v3, 29, v3
	v_lshlrev_b64 v[4:5], v4, v[0:1]
	v_and_b32_e32 v0, 7, v4
; %bb.303:                              ;   in Loop: Header=BB226_10 Depth=1
	s_or_b32 exec_lo, exec_lo, s18
	v_lshlrev_b32_e32 v4, 24, v2
	v_lshlrev_b32_e32 v0, 20, v0
	v_lshl_add_u32 v3, v3, 23, 0x3c000000
	v_and_b32_e32 v4, 0x80000000, v4
	v_or3_b32 v0, v0, v4, v3
	buffer_store_dword v0, off, s[0:3], s32 offset:484 ; 4-byte Folded Spill
	buffer_store_dword v1, off, s[0:3], s32 offset:488 ; 4-byte Folded Spill
.LBB226_304:                            ;   in Loop: Header=BB226_10 Depth=1
	s_or_b32 exec_lo, exec_lo, s17
.LBB226_305:                            ;   in Loop: Header=BB226_10 Depth=1
	s_or_b32 exec_lo, exec_lo, s15
.LBB226_306:                            ;   in Loop: Header=BB226_10 Depth=1
	s_or_b32 exec_lo, exec_lo, s13
	v_cmp_ne_u16_sdwa s5, v2, v1 src0_sel:BYTE_1 src1_sel:DWORD
	s_and_saveexec_b32 s13, s5
	s_cbranch_execz .LBB226_314
; %bb.307:                              ;   in Loop: Header=BB226_10 Depth=1
	v_mov_b32_e32 v20, v1
	v_cmp_ne_u16_sdwa s5, v2, v119 src0_sel:BYTE_1 src1_sel:DWORD
	buffer_store_dword v20, off, s[0:3], s32 offset:492 ; 4-byte Folded Spill
	buffer_store_dword v21, off, s[0:3], s32 offset:496 ; 4-byte Folded Spill
	s_and_saveexec_b32 s15, s5
	s_cbranch_execz .LBB226_313
; %bb.308:                              ;   in Loop: Header=BB226_10 Depth=1
	v_mov_b32_e32 v0, 0xffff
	v_mov_b32_e32 v16, v1
	s_mov_b32 s17, exec_lo
	buffer_store_dword v16, off, s[0:3], s32 offset:492 ; 4-byte Folded Spill
	buffer_store_dword v17, off, s[0:3], s32 offset:496 ; 4-byte Folded Spill
	v_and_b32_sdwa v0, v0, v2 dst_sel:DWORD dst_unused:UNUSED_PAD src0_sel:DWORD src1_sel:BYTE_1
	v_and_b32_e32 v4, 0x7f, v0
	v_cmpx_ne_u32_e32 0x7f, v4
	s_cbranch_execz .LBB226_312
; %bb.309:                              ;   in Loop: Header=BB226_10 Depth=1
	v_and_b32_e32 v0, 7, v0
	v_lshrrev_b32_e32 v3, 3, v4
	s_mov_b32 s18, exec_lo
	v_cmpx_gt_u32_e32 8, v4
; %bb.310:                              ;   in Loop: Header=BB226_10 Depth=1
	v_ffbh_u32_e32 v3, v0
	v_min_u32_e32 v3, 32, v3
	v_subrev_nc_u32_e32 v4, 28, v3
	v_sub_nc_u32_e32 v3, 29, v3
	v_lshlrev_b64 v[4:5], v4, v[0:1]
	v_and_b32_e32 v0, 7, v4
; %bb.311:                              ;   in Loop: Header=BB226_10 Depth=1
	s_or_b32 exec_lo, exec_lo, s18
	v_lshlrev_b32_e32 v4, 16, v2
	v_lshlrev_b32_e32 v0, 20, v0
	v_lshl_add_u32 v3, v3, 23, 0x3c000000
	v_and_b32_e32 v4, 0x80000000, v4
	v_or3_b32 v4, v0, v4, v3
	v_mov_b32_e32 v3, v1
	buffer_store_dword v3, off, s[0:3], s32 offset:492 ; 4-byte Folded Spill
	buffer_store_dword v4, off, s[0:3], s32 offset:496 ; 4-byte Folded Spill
.LBB226_312:                            ;   in Loop: Header=BB226_10 Depth=1
	s_or_b32 exec_lo, exec_lo, s17
.LBB226_313:                            ;   in Loop: Header=BB226_10 Depth=1
	s_or_b32 exec_lo, exec_lo, s15
.LBB226_314:                            ;   in Loop: Header=BB226_10 Depth=1
	s_or_b32 exec_lo, exec_lo, s13
	v_mov_b32_e32 v3, 0
	v_mov_b32_e32 v4, 0
	;; [unrolled: 1-line block ×3, first 2 shown]
	s_mov_b32 s13, exec_lo
	buffer_store_dword v3, off, s[0:3], s32 offset:500 ; 4-byte Folded Spill
	buffer_store_dword v4, off, s[0:3], s32 offset:504 ; 4-byte Folded Spill
	v_mov_b32_e32 v3, 0
	v_and_b32_sdwa v0, v2, v0 dst_sel:DWORD dst_unused:UNUSED_PAD src0_sel:WORD_1 src1_sel:DWORD
	v_mov_b32_e32 v4, 0
	buffer_store_dword v3, off, s[0:3], s32 offset:508 ; 4-byte Folded Spill
	buffer_store_dword v4, off, s[0:3], s32 offset:512 ; 4-byte Folded Spill
	v_cmpx_ne_u16_e32 0, v0
	s_cbranch_execz .LBB226_322
; %bb.315:                              ;   in Loop: Header=BB226_10 Depth=1
	v_bfrev_b32_e32 v3, 1
	v_mov_b32_e32 v4, 0
	s_mov_b32 s15, exec_lo
	buffer_store_dword v3, off, s[0:3], s32 offset:508 ; 4-byte Folded Spill
	buffer_store_dword v4, off, s[0:3], s32 offset:512 ; 4-byte Folded Spill
	v_cmpx_ne_u16_e32 0x80, v0
	s_cbranch_execz .LBB226_321
; %bb.316:                              ;   in Loop: Header=BB226_10 Depth=1
	v_mov_b32_e32 v5, 0x7f800001
	v_bfe_u32 v4, v2, 16, 7
	v_mov_b32_e32 v6, 0
	s_mov_b32 s17, exec_lo
	buffer_store_dword v5, off, s[0:3], s32 offset:508 ; 4-byte Folded Spill
	buffer_store_dword v6, off, s[0:3], s32 offset:512 ; 4-byte Folded Spill
	v_cmpx_ne_u32_e32 0x7f, v4
	s_cbranch_execz .LBB226_320
; %bb.317:                              ;   in Loop: Header=BB226_10 Depth=1
	v_mov_b32_e32 v0, 7
	v_lshrrev_b32_e32 v3, 3, v4
	s_mov_b32 s18, exec_lo
	v_and_b32_sdwa v0, v2, v0 dst_sel:DWORD dst_unused:UNUSED_PAD src0_sel:WORD_1 src1_sel:DWORD
	v_cmpx_gt_u32_e32 8, v4
; %bb.318:                              ;   in Loop: Header=BB226_10 Depth=1
	v_ffbh_u32_e32 v3, v0
	v_min_u32_e32 v3, 32, v3
	v_subrev_nc_u32_e32 v4, 28, v3
	v_sub_nc_u32_e32 v3, 29, v3
	v_lshlrev_b64 v[4:5], v4, v[0:1]
	v_and_b32_e32 v0, 7, v4
; %bb.319:                              ;   in Loop: Header=BB226_10 Depth=1
	s_or_b32 exec_lo, exec_lo, s18
	v_mov_b32_e32 v4, 24
	v_lshlrev_b32_e32 v0, 20, v0
	v_lshl_add_u32 v3, v3, 23, 0x3c000000
	v_lshlrev_b32_sdwa v4, v4, v2 dst_sel:DWORD dst_unused:UNUSED_PAD src0_sel:DWORD src1_sel:WORD_1
	v_and_b32_e32 v4, 0x80000000, v4
	v_or3_b32 v0, v0, v4, v3
	buffer_store_dword v0, off, s[0:3], s32 offset:508 ; 4-byte Folded Spill
	buffer_store_dword v1, off, s[0:3], s32 offset:512 ; 4-byte Folded Spill
.LBB226_320:                            ;   in Loop: Header=BB226_10 Depth=1
	s_or_b32 exec_lo, exec_lo, s17
.LBB226_321:                            ;   in Loop: Header=BB226_10 Depth=1
	s_or_b32 exec_lo, exec_lo, s15
.LBB226_322:                            ;   in Loop: Header=BB226_10 Depth=1
	s_or_b32 exec_lo, exec_lo, s13
	s_mov_b32 s13, exec_lo
	v_cmpx_lt_u32_e32 0xffffff, v2
	s_cbranch_execz .LBB226_330
; %bb.323:                              ;   in Loop: Header=BB226_10 Depth=1
	v_mov_b32_e32 v20, v1
	v_cmp_ne_u32_sdwa s5, v2, v119 src0_sel:BYTE_3 src1_sel:DWORD
	buffer_store_dword v20, off, s[0:3], s32 offset:500 ; 4-byte Folded Spill
	buffer_store_dword v21, off, s[0:3], s32 offset:504 ; 4-byte Folded Spill
	s_and_saveexec_b32 s15, s5
	s_cbranch_execz .LBB226_329
; %bb.324:                              ;   in Loop: Header=BB226_10 Depth=1
	v_bfe_u32 v4, v2, 24, 7
	v_mov_b32_e32 v16, v1
	s_mov_b32 s17, exec_lo
	buffer_store_dword v16, off, s[0:3], s32 offset:500 ; 4-byte Folded Spill
	buffer_store_dword v17, off, s[0:3], s32 offset:504 ; 4-byte Folded Spill
	v_cmpx_ne_u32_e32 0x7f, v4
	s_cbranch_execz .LBB226_328
; %bb.325:                              ;   in Loop: Header=BB226_10 Depth=1
	v_mov_b32_e32 v0, 7
	v_lshrrev_b32_e32 v3, 3, v4
	s_mov_b32 s18, exec_lo
	v_and_b32_sdwa v0, v2, v0 dst_sel:DWORD dst_unused:UNUSED_PAD src0_sel:BYTE_3 src1_sel:DWORD
	v_cmpx_gt_u32_e32 8, v4
; %bb.326:                              ;   in Loop: Header=BB226_10 Depth=1
	v_ffbh_u32_e32 v3, v0
	v_min_u32_e32 v3, 32, v3
	v_subrev_nc_u32_e32 v4, 28, v3
	v_sub_nc_u32_e32 v3, 29, v3
	v_lshlrev_b64 v[4:5], v4, v[0:1]
	v_and_b32_e32 v0, 7, v4
; %bb.327:                              ;   in Loop: Header=BB226_10 Depth=1
	s_or_b32 exec_lo, exec_lo, s18
	v_mov_b32_e32 v4, 24
	v_lshlrev_b32_e32 v0, 20, v0
	v_lshl_add_u32 v3, v3, 23, 0x3c000000
	v_lshlrev_b32_sdwa v2, v4, v2 dst_sel:DWORD dst_unused:UNUSED_PAD src0_sel:DWORD src1_sel:BYTE_3
	v_and_b32_e32 v2, 0x80000000, v2
	v_or3_b32 v3, v0, v2, v3
	v_mov_b32_e32 v2, v1
	buffer_store_dword v2, off, s[0:3], s32 offset:500 ; 4-byte Folded Spill
	buffer_store_dword v3, off, s[0:3], s32 offset:504 ; 4-byte Folded Spill
.LBB226_328:                            ;   in Loop: Header=BB226_10 Depth=1
	s_or_b32 exec_lo, exec_lo, s17
.LBB226_329:                            ;   in Loop: Header=BB226_10 Depth=1
	s_or_b32 exec_lo, exec_lo, s15
.LBB226_330:                            ;   in Loop: Header=BB226_10 Depth=1
	s_or_b32 exec_lo, exec_lo, s13
	flat_load_dword v2, v[8:9] offset:1032
	v_mov_b32_e32 v3, 0
	v_mov_b32_e32 v4, 0
	buffer_store_dword v3, off, s[0:3], s32 offset:524 ; 4-byte Folded Spill
	buffer_store_dword v4, off, s[0:3], s32 offset:528 ; 4-byte Folded Spill
	v_mov_b32_e32 v3, 0
	v_mov_b32_e32 v4, 0
	buffer_store_dword v3, off, s[0:3], s32 offset:516 ; 4-byte Folded Spill
	buffer_store_dword v4, off, s[0:3], s32 offset:520 ; 4-byte Folded Spill
	s_waitcnt vmcnt(0) lgkmcnt(0)
	v_cmp_ne_u16_sdwa s5, v2, v1 src0_sel:BYTE_0 src1_sel:DWORD
	s_and_saveexec_b32 s13, s5
	s_cbranch_execz .LBB226_338
; %bb.331:                              ;   in Loop: Header=BB226_10 Depth=1
	v_bfrev_b32_e32 v3, 1
	v_mov_b32_e32 v4, 0
	v_cmp_ne_u16_sdwa s5, v2, v119 src0_sel:BYTE_0 src1_sel:DWORD
	buffer_store_dword v3, off, s[0:3], s32 offset:516 ; 4-byte Folded Spill
	buffer_store_dword v4, off, s[0:3], s32 offset:520 ; 4-byte Folded Spill
	s_and_saveexec_b32 s15, s5
	s_cbranch_execz .LBB226_337
; %bb.332:                              ;   in Loop: Header=BB226_10 Depth=1
	v_mov_b32_e32 v5, 0x7f800001
	v_and_b32_e32 v4, 0x7f, v2
	v_mov_b32_e32 v6, 0
	s_mov_b32 s17, exec_lo
	buffer_store_dword v5, off, s[0:3], s32 offset:516 ; 4-byte Folded Spill
	buffer_store_dword v6, off, s[0:3], s32 offset:520 ; 4-byte Folded Spill
	v_cmpx_ne_u32_e32 0x7f, v4
	s_cbranch_execz .LBB226_336
; %bb.333:                              ;   in Loop: Header=BB226_10 Depth=1
	v_and_b32_e32 v0, 7, v2
	v_lshrrev_b32_e32 v3, 3, v4
	s_mov_b32 s18, exec_lo
	v_cmpx_gt_u32_e32 8, v4
; %bb.334:                              ;   in Loop: Header=BB226_10 Depth=1
	v_ffbh_u32_e32 v3, v0
	v_min_u32_e32 v3, 32, v3
	v_subrev_nc_u32_e32 v4, 28, v3
	v_sub_nc_u32_e32 v3, 29, v3
	v_lshlrev_b64 v[4:5], v4, v[0:1]
	v_and_b32_e32 v0, 7, v4
; %bb.335:                              ;   in Loop: Header=BB226_10 Depth=1
	s_or_b32 exec_lo, exec_lo, s18
	v_lshlrev_b32_e32 v4, 24, v2
	v_lshlrev_b32_e32 v0, 20, v0
	v_lshl_add_u32 v3, v3, 23, 0x3c000000
	v_and_b32_e32 v4, 0x80000000, v4
	v_or3_b32 v0, v0, v4, v3
	buffer_store_dword v0, off, s[0:3], s32 offset:516 ; 4-byte Folded Spill
	buffer_store_dword v1, off, s[0:3], s32 offset:520 ; 4-byte Folded Spill
.LBB226_336:                            ;   in Loop: Header=BB226_10 Depth=1
	s_or_b32 exec_lo, exec_lo, s17
.LBB226_337:                            ;   in Loop: Header=BB226_10 Depth=1
	s_or_b32 exec_lo, exec_lo, s15
.LBB226_338:                            ;   in Loop: Header=BB226_10 Depth=1
	s_or_b32 exec_lo, exec_lo, s13
	v_cmp_ne_u16_sdwa s5, v2, v1 src0_sel:BYTE_1 src1_sel:DWORD
	s_and_saveexec_b32 s13, s5
	s_cbranch_execz .LBB226_346
; %bb.339:                              ;   in Loop: Header=BB226_10 Depth=1
	v_mov_b32_e32 v20, v1
	v_cmp_ne_u16_sdwa s5, v2, v119 src0_sel:BYTE_1 src1_sel:DWORD
	buffer_store_dword v20, off, s[0:3], s32 offset:524 ; 4-byte Folded Spill
	buffer_store_dword v21, off, s[0:3], s32 offset:528 ; 4-byte Folded Spill
	s_and_saveexec_b32 s15, s5
	s_cbranch_execz .LBB226_345
; %bb.340:                              ;   in Loop: Header=BB226_10 Depth=1
	v_mov_b32_e32 v0, 0xffff
	v_mov_b32_e32 v16, v1
	s_mov_b32 s17, exec_lo
	buffer_store_dword v16, off, s[0:3], s32 offset:524 ; 4-byte Folded Spill
	buffer_store_dword v17, off, s[0:3], s32 offset:528 ; 4-byte Folded Spill
	v_and_b32_sdwa v0, v0, v2 dst_sel:DWORD dst_unused:UNUSED_PAD src0_sel:DWORD src1_sel:BYTE_1
	v_and_b32_e32 v4, 0x7f, v0
	v_cmpx_ne_u32_e32 0x7f, v4
	s_cbranch_execz .LBB226_344
; %bb.341:                              ;   in Loop: Header=BB226_10 Depth=1
	v_and_b32_e32 v0, 7, v0
	v_lshrrev_b32_e32 v3, 3, v4
	s_mov_b32 s18, exec_lo
	v_cmpx_gt_u32_e32 8, v4
; %bb.342:                              ;   in Loop: Header=BB226_10 Depth=1
	v_ffbh_u32_e32 v3, v0
	v_min_u32_e32 v3, 32, v3
	v_subrev_nc_u32_e32 v4, 28, v3
	v_sub_nc_u32_e32 v3, 29, v3
	v_lshlrev_b64 v[4:5], v4, v[0:1]
	v_and_b32_e32 v0, 7, v4
; %bb.343:                              ;   in Loop: Header=BB226_10 Depth=1
	s_or_b32 exec_lo, exec_lo, s18
	v_lshlrev_b32_e32 v4, 16, v2
	v_lshlrev_b32_e32 v0, 20, v0
	v_lshl_add_u32 v3, v3, 23, 0x3c000000
	v_and_b32_e32 v4, 0x80000000, v4
	v_or3_b32 v4, v0, v4, v3
	v_mov_b32_e32 v3, v1
	buffer_store_dword v3, off, s[0:3], s32 offset:524 ; 4-byte Folded Spill
	buffer_store_dword v4, off, s[0:3], s32 offset:528 ; 4-byte Folded Spill
.LBB226_344:                            ;   in Loop: Header=BB226_10 Depth=1
	s_or_b32 exec_lo, exec_lo, s17
.LBB226_345:                            ;   in Loop: Header=BB226_10 Depth=1
	s_or_b32 exec_lo, exec_lo, s15
.LBB226_346:                            ;   in Loop: Header=BB226_10 Depth=1
	s_or_b32 exec_lo, exec_lo, s13
	v_mov_b32_e32 v3, 0
	v_mov_b32_e32 v4, 0
	;; [unrolled: 1-line block ×3, first 2 shown]
	s_mov_b32 s13, exec_lo
	buffer_store_dword v3, off, s[0:3], s32 offset:532 ; 4-byte Folded Spill
	buffer_store_dword v4, off, s[0:3], s32 offset:536 ; 4-byte Folded Spill
	v_mov_b32_e32 v3, 0
	v_and_b32_sdwa v0, v2, v0 dst_sel:DWORD dst_unused:UNUSED_PAD src0_sel:WORD_1 src1_sel:DWORD
	v_mov_b32_e32 v4, 0
	buffer_store_dword v3, off, s[0:3], s32 offset:540 ; 4-byte Folded Spill
	buffer_store_dword v4, off, s[0:3], s32 offset:544 ; 4-byte Folded Spill
	v_cmpx_ne_u16_e32 0, v0
	s_cbranch_execz .LBB226_354
; %bb.347:                              ;   in Loop: Header=BB226_10 Depth=1
	v_bfrev_b32_e32 v3, 1
	v_mov_b32_e32 v4, 0
	s_mov_b32 s15, exec_lo
	buffer_store_dword v3, off, s[0:3], s32 offset:540 ; 4-byte Folded Spill
	buffer_store_dword v4, off, s[0:3], s32 offset:544 ; 4-byte Folded Spill
	v_cmpx_ne_u16_e32 0x80, v0
	s_cbranch_execz .LBB226_353
; %bb.348:                              ;   in Loop: Header=BB226_10 Depth=1
	v_mov_b32_e32 v5, 0x7f800001
	v_bfe_u32 v4, v2, 16, 7
	v_mov_b32_e32 v6, 0
	s_mov_b32 s17, exec_lo
	buffer_store_dword v5, off, s[0:3], s32 offset:540 ; 4-byte Folded Spill
	buffer_store_dword v6, off, s[0:3], s32 offset:544 ; 4-byte Folded Spill
	v_cmpx_ne_u32_e32 0x7f, v4
	s_cbranch_execz .LBB226_352
; %bb.349:                              ;   in Loop: Header=BB226_10 Depth=1
	v_mov_b32_e32 v0, 7
	v_lshrrev_b32_e32 v3, 3, v4
	s_mov_b32 s18, exec_lo
	v_and_b32_sdwa v0, v2, v0 dst_sel:DWORD dst_unused:UNUSED_PAD src0_sel:WORD_1 src1_sel:DWORD
	v_cmpx_gt_u32_e32 8, v4
; %bb.350:                              ;   in Loop: Header=BB226_10 Depth=1
	v_ffbh_u32_e32 v3, v0
	v_min_u32_e32 v3, 32, v3
	v_subrev_nc_u32_e32 v4, 28, v3
	v_sub_nc_u32_e32 v3, 29, v3
	v_lshlrev_b64 v[4:5], v4, v[0:1]
	v_and_b32_e32 v0, 7, v4
; %bb.351:                              ;   in Loop: Header=BB226_10 Depth=1
	s_or_b32 exec_lo, exec_lo, s18
	v_mov_b32_e32 v4, 24
	v_lshlrev_b32_e32 v0, 20, v0
	v_lshl_add_u32 v3, v3, 23, 0x3c000000
	v_lshlrev_b32_sdwa v4, v4, v2 dst_sel:DWORD dst_unused:UNUSED_PAD src0_sel:DWORD src1_sel:WORD_1
	v_and_b32_e32 v4, 0x80000000, v4
	v_or3_b32 v0, v0, v4, v3
	buffer_store_dword v0, off, s[0:3], s32 offset:540 ; 4-byte Folded Spill
	buffer_store_dword v1, off, s[0:3], s32 offset:544 ; 4-byte Folded Spill
.LBB226_352:                            ;   in Loop: Header=BB226_10 Depth=1
	s_or_b32 exec_lo, exec_lo, s17
.LBB226_353:                            ;   in Loop: Header=BB226_10 Depth=1
	s_or_b32 exec_lo, exec_lo, s15
.LBB226_354:                            ;   in Loop: Header=BB226_10 Depth=1
	s_or_b32 exec_lo, exec_lo, s13
	s_mov_b32 s13, exec_lo
	v_cmpx_lt_u32_e32 0xffffff, v2
	s_cbranch_execz .LBB226_362
; %bb.355:                              ;   in Loop: Header=BB226_10 Depth=1
	v_mov_b32_e32 v20, v1
	v_cmp_ne_u32_sdwa s5, v2, v119 src0_sel:BYTE_3 src1_sel:DWORD
	buffer_store_dword v20, off, s[0:3], s32 offset:532 ; 4-byte Folded Spill
	buffer_store_dword v21, off, s[0:3], s32 offset:536 ; 4-byte Folded Spill
	s_and_saveexec_b32 s15, s5
	s_cbranch_execz .LBB226_361
; %bb.356:                              ;   in Loop: Header=BB226_10 Depth=1
	v_bfe_u32 v4, v2, 24, 7
	v_mov_b32_e32 v16, v1
	s_mov_b32 s17, exec_lo
	buffer_store_dword v16, off, s[0:3], s32 offset:532 ; 4-byte Folded Spill
	buffer_store_dword v17, off, s[0:3], s32 offset:536 ; 4-byte Folded Spill
	v_cmpx_ne_u32_e32 0x7f, v4
	s_cbranch_execz .LBB226_360
; %bb.357:                              ;   in Loop: Header=BB226_10 Depth=1
	v_mov_b32_e32 v0, 7
	v_lshrrev_b32_e32 v3, 3, v4
	s_mov_b32 s18, exec_lo
	v_and_b32_sdwa v0, v2, v0 dst_sel:DWORD dst_unused:UNUSED_PAD src0_sel:BYTE_3 src1_sel:DWORD
	v_cmpx_gt_u32_e32 8, v4
; %bb.358:                              ;   in Loop: Header=BB226_10 Depth=1
	v_ffbh_u32_e32 v3, v0
	v_min_u32_e32 v3, 32, v3
	v_subrev_nc_u32_e32 v4, 28, v3
	v_sub_nc_u32_e32 v3, 29, v3
	v_lshlrev_b64 v[4:5], v4, v[0:1]
	v_and_b32_e32 v0, 7, v4
; %bb.359:                              ;   in Loop: Header=BB226_10 Depth=1
	s_or_b32 exec_lo, exec_lo, s18
	v_mov_b32_e32 v4, 24
	v_lshlrev_b32_e32 v0, 20, v0
	v_lshl_add_u32 v3, v3, 23, 0x3c000000
	v_lshlrev_b32_sdwa v2, v4, v2 dst_sel:DWORD dst_unused:UNUSED_PAD src0_sel:DWORD src1_sel:BYTE_3
	v_and_b32_e32 v2, 0x80000000, v2
	v_or3_b32 v3, v0, v2, v3
	v_mov_b32_e32 v2, v1
	buffer_store_dword v2, off, s[0:3], s32 offset:532 ; 4-byte Folded Spill
	buffer_store_dword v3, off, s[0:3], s32 offset:536 ; 4-byte Folded Spill
.LBB226_360:                            ;   in Loop: Header=BB226_10 Depth=1
	s_or_b32 exec_lo, exec_lo, s17
.LBB226_361:                            ;   in Loop: Header=BB226_10 Depth=1
	s_or_b32 exec_lo, exec_lo, s15
.LBB226_362:                            ;   in Loop: Header=BB226_10 Depth=1
	s_or_b32 exec_lo, exec_lo, s13
	flat_load_dword v2, v[8:9] offset:1036
	v_mov_b32_e32 v3, 0
	v_mov_b32_e32 v4, 0
	buffer_store_dword v3, off, s[0:3], s32 offset:556 ; 4-byte Folded Spill
	buffer_store_dword v4, off, s[0:3], s32 offset:560 ; 4-byte Folded Spill
	v_mov_b32_e32 v3, 0
	v_mov_b32_e32 v4, 0
	buffer_store_dword v3, off, s[0:3], s32 offset:548 ; 4-byte Folded Spill
	buffer_store_dword v4, off, s[0:3], s32 offset:552 ; 4-byte Folded Spill
	s_waitcnt vmcnt(0) lgkmcnt(0)
	v_cmp_ne_u16_sdwa s5, v2, v1 src0_sel:BYTE_0 src1_sel:DWORD
	s_and_saveexec_b32 s13, s5
	s_cbranch_execz .LBB226_370
; %bb.363:                              ;   in Loop: Header=BB226_10 Depth=1
	v_bfrev_b32_e32 v3, 1
	v_mov_b32_e32 v4, 0
	v_cmp_ne_u16_sdwa s5, v2, v119 src0_sel:BYTE_0 src1_sel:DWORD
	buffer_store_dword v3, off, s[0:3], s32 offset:548 ; 4-byte Folded Spill
	buffer_store_dword v4, off, s[0:3], s32 offset:552 ; 4-byte Folded Spill
	s_and_saveexec_b32 s15, s5
	s_cbranch_execz .LBB226_369
; %bb.364:                              ;   in Loop: Header=BB226_10 Depth=1
	v_mov_b32_e32 v5, 0x7f800001
	v_and_b32_e32 v4, 0x7f, v2
	v_mov_b32_e32 v6, 0
	s_mov_b32 s17, exec_lo
	buffer_store_dword v5, off, s[0:3], s32 offset:548 ; 4-byte Folded Spill
	buffer_store_dword v6, off, s[0:3], s32 offset:552 ; 4-byte Folded Spill
	v_cmpx_ne_u32_e32 0x7f, v4
	s_cbranch_execz .LBB226_368
; %bb.365:                              ;   in Loop: Header=BB226_10 Depth=1
	v_and_b32_e32 v0, 7, v2
	v_lshrrev_b32_e32 v3, 3, v4
	s_mov_b32 s18, exec_lo
	v_cmpx_gt_u32_e32 8, v4
; %bb.366:                              ;   in Loop: Header=BB226_10 Depth=1
	v_ffbh_u32_e32 v3, v0
	v_min_u32_e32 v3, 32, v3
	v_subrev_nc_u32_e32 v4, 28, v3
	v_sub_nc_u32_e32 v3, 29, v3
	v_lshlrev_b64 v[4:5], v4, v[0:1]
	v_and_b32_e32 v0, 7, v4
; %bb.367:                              ;   in Loop: Header=BB226_10 Depth=1
	s_or_b32 exec_lo, exec_lo, s18
	v_lshlrev_b32_e32 v4, 24, v2
	v_lshlrev_b32_e32 v0, 20, v0
	v_lshl_add_u32 v3, v3, 23, 0x3c000000
	v_and_b32_e32 v4, 0x80000000, v4
	v_or3_b32 v0, v0, v4, v3
	buffer_store_dword v0, off, s[0:3], s32 offset:548 ; 4-byte Folded Spill
	buffer_store_dword v1, off, s[0:3], s32 offset:552 ; 4-byte Folded Spill
.LBB226_368:                            ;   in Loop: Header=BB226_10 Depth=1
	s_or_b32 exec_lo, exec_lo, s17
.LBB226_369:                            ;   in Loop: Header=BB226_10 Depth=1
	s_or_b32 exec_lo, exec_lo, s15
.LBB226_370:                            ;   in Loop: Header=BB226_10 Depth=1
	s_or_b32 exec_lo, exec_lo, s13
	v_cmp_ne_u16_sdwa s5, v2, v1 src0_sel:BYTE_1 src1_sel:DWORD
	s_and_saveexec_b32 s13, s5
	s_cbranch_execz .LBB226_378
; %bb.371:                              ;   in Loop: Header=BB226_10 Depth=1
	v_mov_b32_e32 v20, v1
	v_cmp_ne_u16_sdwa s5, v2, v119 src0_sel:BYTE_1 src1_sel:DWORD
	buffer_store_dword v20, off, s[0:3], s32 offset:556 ; 4-byte Folded Spill
	buffer_store_dword v21, off, s[0:3], s32 offset:560 ; 4-byte Folded Spill
	s_and_saveexec_b32 s15, s5
	s_cbranch_execz .LBB226_377
; %bb.372:                              ;   in Loop: Header=BB226_10 Depth=1
	v_mov_b32_e32 v0, 0xffff
	v_mov_b32_e32 v16, v1
	s_mov_b32 s17, exec_lo
	buffer_store_dword v16, off, s[0:3], s32 offset:556 ; 4-byte Folded Spill
	buffer_store_dword v17, off, s[0:3], s32 offset:560 ; 4-byte Folded Spill
	v_and_b32_sdwa v0, v0, v2 dst_sel:DWORD dst_unused:UNUSED_PAD src0_sel:DWORD src1_sel:BYTE_1
	v_and_b32_e32 v4, 0x7f, v0
	v_cmpx_ne_u32_e32 0x7f, v4
	s_cbranch_execz .LBB226_376
; %bb.373:                              ;   in Loop: Header=BB226_10 Depth=1
	v_and_b32_e32 v0, 7, v0
	v_lshrrev_b32_e32 v3, 3, v4
	s_mov_b32 s18, exec_lo
	v_cmpx_gt_u32_e32 8, v4
; %bb.374:                              ;   in Loop: Header=BB226_10 Depth=1
	v_ffbh_u32_e32 v3, v0
	v_min_u32_e32 v3, 32, v3
	v_subrev_nc_u32_e32 v4, 28, v3
	v_sub_nc_u32_e32 v3, 29, v3
	v_lshlrev_b64 v[4:5], v4, v[0:1]
	v_and_b32_e32 v0, 7, v4
; %bb.375:                              ;   in Loop: Header=BB226_10 Depth=1
	s_or_b32 exec_lo, exec_lo, s18
	v_lshlrev_b32_e32 v4, 16, v2
	v_lshlrev_b32_e32 v0, 20, v0
	v_lshl_add_u32 v3, v3, 23, 0x3c000000
	v_and_b32_e32 v4, 0x80000000, v4
	v_or3_b32 v4, v0, v4, v3
	v_mov_b32_e32 v3, v1
	buffer_store_dword v3, off, s[0:3], s32 offset:556 ; 4-byte Folded Spill
	buffer_store_dword v4, off, s[0:3], s32 offset:560 ; 4-byte Folded Spill
.LBB226_376:                            ;   in Loop: Header=BB226_10 Depth=1
	s_or_b32 exec_lo, exec_lo, s17
.LBB226_377:                            ;   in Loop: Header=BB226_10 Depth=1
	s_or_b32 exec_lo, exec_lo, s15
.LBB226_378:                            ;   in Loop: Header=BB226_10 Depth=1
	s_or_b32 exec_lo, exec_lo, s13
	v_mov_b32_e32 v3, 0
	v_mov_b32_e32 v4, 0
	;; [unrolled: 1-line block ×3, first 2 shown]
	s_mov_b32 s13, exec_lo
	buffer_store_dword v3, off, s[0:3], s32 offset:564 ; 4-byte Folded Spill
	buffer_store_dword v4, off, s[0:3], s32 offset:568 ; 4-byte Folded Spill
	v_mov_b32_e32 v3, 0
	v_and_b32_sdwa v0, v2, v0 dst_sel:DWORD dst_unused:UNUSED_PAD src0_sel:WORD_1 src1_sel:DWORD
	v_mov_b32_e32 v4, 0
	buffer_store_dword v3, off, s[0:3], s32 offset:572 ; 4-byte Folded Spill
	buffer_store_dword v4, off, s[0:3], s32 offset:576 ; 4-byte Folded Spill
	v_cmpx_ne_u16_e32 0, v0
	s_cbranch_execz .LBB226_386
; %bb.379:                              ;   in Loop: Header=BB226_10 Depth=1
	v_bfrev_b32_e32 v3, 1
	v_mov_b32_e32 v4, 0
	s_mov_b32 s15, exec_lo
	buffer_store_dword v3, off, s[0:3], s32 offset:572 ; 4-byte Folded Spill
	buffer_store_dword v4, off, s[0:3], s32 offset:576 ; 4-byte Folded Spill
	v_cmpx_ne_u16_e32 0x80, v0
	s_cbranch_execz .LBB226_385
; %bb.380:                              ;   in Loop: Header=BB226_10 Depth=1
	v_mov_b32_e32 v5, 0x7f800001
	v_bfe_u32 v4, v2, 16, 7
	v_mov_b32_e32 v6, 0
	s_mov_b32 s17, exec_lo
	buffer_store_dword v5, off, s[0:3], s32 offset:572 ; 4-byte Folded Spill
	buffer_store_dword v6, off, s[0:3], s32 offset:576 ; 4-byte Folded Spill
	v_cmpx_ne_u32_e32 0x7f, v4
	s_cbranch_execz .LBB226_384
; %bb.381:                              ;   in Loop: Header=BB226_10 Depth=1
	v_mov_b32_e32 v0, 7
	v_lshrrev_b32_e32 v3, 3, v4
	s_mov_b32 s18, exec_lo
	v_and_b32_sdwa v0, v2, v0 dst_sel:DWORD dst_unused:UNUSED_PAD src0_sel:WORD_1 src1_sel:DWORD
	v_cmpx_gt_u32_e32 8, v4
; %bb.382:                              ;   in Loop: Header=BB226_10 Depth=1
	v_ffbh_u32_e32 v3, v0
	v_min_u32_e32 v3, 32, v3
	v_subrev_nc_u32_e32 v4, 28, v3
	v_sub_nc_u32_e32 v3, 29, v3
	v_lshlrev_b64 v[4:5], v4, v[0:1]
	v_and_b32_e32 v0, 7, v4
; %bb.383:                              ;   in Loop: Header=BB226_10 Depth=1
	s_or_b32 exec_lo, exec_lo, s18
	v_mov_b32_e32 v4, 24
	v_lshlrev_b32_e32 v0, 20, v0
	v_lshl_add_u32 v3, v3, 23, 0x3c000000
	v_lshlrev_b32_sdwa v4, v4, v2 dst_sel:DWORD dst_unused:UNUSED_PAD src0_sel:DWORD src1_sel:WORD_1
	v_and_b32_e32 v4, 0x80000000, v4
	v_or3_b32 v0, v0, v4, v3
	buffer_store_dword v0, off, s[0:3], s32 offset:572 ; 4-byte Folded Spill
	buffer_store_dword v1, off, s[0:3], s32 offset:576 ; 4-byte Folded Spill
.LBB226_384:                            ;   in Loop: Header=BB226_10 Depth=1
	s_or_b32 exec_lo, exec_lo, s17
.LBB226_385:                            ;   in Loop: Header=BB226_10 Depth=1
	s_or_b32 exec_lo, exec_lo, s15
.LBB226_386:                            ;   in Loop: Header=BB226_10 Depth=1
	s_or_b32 exec_lo, exec_lo, s13
	s_mov_b32 s13, exec_lo
	v_cmpx_lt_u32_e32 0xffffff, v2
	s_cbranch_execz .LBB226_394
; %bb.387:                              ;   in Loop: Header=BB226_10 Depth=1
	v_mov_b32_e32 v20, v1
	v_cmp_ne_u32_sdwa s5, v2, v119 src0_sel:BYTE_3 src1_sel:DWORD
	buffer_store_dword v20, off, s[0:3], s32 offset:564 ; 4-byte Folded Spill
	buffer_store_dword v21, off, s[0:3], s32 offset:568 ; 4-byte Folded Spill
	s_and_saveexec_b32 s15, s5
	s_cbranch_execz .LBB226_393
; %bb.388:                              ;   in Loop: Header=BB226_10 Depth=1
	v_bfe_u32 v4, v2, 24, 7
	v_mov_b32_e32 v16, v1
	s_mov_b32 s17, exec_lo
	buffer_store_dword v16, off, s[0:3], s32 offset:564 ; 4-byte Folded Spill
	buffer_store_dword v17, off, s[0:3], s32 offset:568 ; 4-byte Folded Spill
	v_cmpx_ne_u32_e32 0x7f, v4
	s_cbranch_execz .LBB226_392
; %bb.389:                              ;   in Loop: Header=BB226_10 Depth=1
	v_mov_b32_e32 v0, 7
	v_lshrrev_b32_e32 v3, 3, v4
	s_mov_b32 s18, exec_lo
	v_and_b32_sdwa v0, v2, v0 dst_sel:DWORD dst_unused:UNUSED_PAD src0_sel:BYTE_3 src1_sel:DWORD
	v_cmpx_gt_u32_e32 8, v4
; %bb.390:                              ;   in Loop: Header=BB226_10 Depth=1
	v_ffbh_u32_e32 v3, v0
	v_min_u32_e32 v3, 32, v3
	v_subrev_nc_u32_e32 v4, 28, v3
	v_sub_nc_u32_e32 v3, 29, v3
	v_lshlrev_b64 v[4:5], v4, v[0:1]
	v_and_b32_e32 v0, 7, v4
; %bb.391:                              ;   in Loop: Header=BB226_10 Depth=1
	s_or_b32 exec_lo, exec_lo, s18
	v_mov_b32_e32 v4, 24
	v_lshlrev_b32_e32 v0, 20, v0
	v_lshl_add_u32 v3, v3, 23, 0x3c000000
	v_lshlrev_b32_sdwa v2, v4, v2 dst_sel:DWORD dst_unused:UNUSED_PAD src0_sel:DWORD src1_sel:BYTE_3
	v_and_b32_e32 v2, 0x80000000, v2
	v_or3_b32 v3, v0, v2, v3
	v_mov_b32_e32 v2, v1
	buffer_store_dword v2, off, s[0:3], s32 offset:564 ; 4-byte Folded Spill
	buffer_store_dword v3, off, s[0:3], s32 offset:568 ; 4-byte Folded Spill
.LBB226_392:                            ;   in Loop: Header=BB226_10 Depth=1
	s_or_b32 exec_lo, exec_lo, s17
.LBB226_393:                            ;   in Loop: Header=BB226_10 Depth=1
	s_or_b32 exec_lo, exec_lo, s15
.LBB226_394:                            ;   in Loop: Header=BB226_10 Depth=1
	s_or_b32 exec_lo, exec_lo, s13
	flat_load_dword v2, v[8:9] offset:1536
	v_mov_b32_e32 v3, 0
	v_mov_b32_e32 v4, 0
	buffer_store_dword v3, off, s[0:3], s32 offset:588 ; 4-byte Folded Spill
	buffer_store_dword v4, off, s[0:3], s32 offset:592 ; 4-byte Folded Spill
	v_mov_b32_e32 v3, 0
	v_mov_b32_e32 v4, 0
	buffer_store_dword v3, off, s[0:3], s32 offset:580 ; 4-byte Folded Spill
	buffer_store_dword v4, off, s[0:3], s32 offset:584 ; 4-byte Folded Spill
	s_waitcnt vmcnt(0) lgkmcnt(0)
	v_cmp_ne_u16_sdwa s5, v2, v1 src0_sel:BYTE_0 src1_sel:DWORD
	s_and_saveexec_b32 s13, s5
	s_cbranch_execz .LBB226_402
; %bb.395:                              ;   in Loop: Header=BB226_10 Depth=1
	v_bfrev_b32_e32 v3, 1
	v_mov_b32_e32 v4, 0
	v_cmp_ne_u16_sdwa s5, v2, v119 src0_sel:BYTE_0 src1_sel:DWORD
	buffer_store_dword v3, off, s[0:3], s32 offset:580 ; 4-byte Folded Spill
	buffer_store_dword v4, off, s[0:3], s32 offset:584 ; 4-byte Folded Spill
	s_and_saveexec_b32 s15, s5
	s_cbranch_execz .LBB226_401
; %bb.396:                              ;   in Loop: Header=BB226_10 Depth=1
	v_mov_b32_e32 v5, 0x7f800001
	v_and_b32_e32 v4, 0x7f, v2
	v_mov_b32_e32 v6, 0
	s_mov_b32 s17, exec_lo
	buffer_store_dword v5, off, s[0:3], s32 offset:580 ; 4-byte Folded Spill
	buffer_store_dword v6, off, s[0:3], s32 offset:584 ; 4-byte Folded Spill
	v_cmpx_ne_u32_e32 0x7f, v4
	s_cbranch_execz .LBB226_400
; %bb.397:                              ;   in Loop: Header=BB226_10 Depth=1
	v_and_b32_e32 v0, 7, v2
	v_lshrrev_b32_e32 v3, 3, v4
	s_mov_b32 s18, exec_lo
	v_cmpx_gt_u32_e32 8, v4
; %bb.398:                              ;   in Loop: Header=BB226_10 Depth=1
	v_ffbh_u32_e32 v3, v0
	v_min_u32_e32 v3, 32, v3
	v_subrev_nc_u32_e32 v4, 28, v3
	v_sub_nc_u32_e32 v3, 29, v3
	v_lshlrev_b64 v[4:5], v4, v[0:1]
	v_and_b32_e32 v0, 7, v4
; %bb.399:                              ;   in Loop: Header=BB226_10 Depth=1
	s_or_b32 exec_lo, exec_lo, s18
	v_lshlrev_b32_e32 v4, 24, v2
	v_lshlrev_b32_e32 v0, 20, v0
	v_lshl_add_u32 v3, v3, 23, 0x3c000000
	v_and_b32_e32 v4, 0x80000000, v4
	v_or3_b32 v0, v0, v4, v3
	buffer_store_dword v0, off, s[0:3], s32 offset:580 ; 4-byte Folded Spill
	buffer_store_dword v1, off, s[0:3], s32 offset:584 ; 4-byte Folded Spill
.LBB226_400:                            ;   in Loop: Header=BB226_10 Depth=1
	s_or_b32 exec_lo, exec_lo, s17
.LBB226_401:                            ;   in Loop: Header=BB226_10 Depth=1
	s_or_b32 exec_lo, exec_lo, s15
.LBB226_402:                            ;   in Loop: Header=BB226_10 Depth=1
	s_or_b32 exec_lo, exec_lo, s13
	v_cmp_ne_u16_sdwa s5, v2, v1 src0_sel:BYTE_1 src1_sel:DWORD
	s_and_saveexec_b32 s13, s5
	s_cbranch_execz .LBB226_410
; %bb.403:                              ;   in Loop: Header=BB226_10 Depth=1
	v_mov_b32_e32 v20, v1
	v_cmp_ne_u16_sdwa s5, v2, v119 src0_sel:BYTE_1 src1_sel:DWORD
	buffer_store_dword v20, off, s[0:3], s32 offset:588 ; 4-byte Folded Spill
	buffer_store_dword v21, off, s[0:3], s32 offset:592 ; 4-byte Folded Spill
	s_and_saveexec_b32 s15, s5
	s_cbranch_execz .LBB226_409
; %bb.404:                              ;   in Loop: Header=BB226_10 Depth=1
	v_mov_b32_e32 v0, 0xffff
	v_mov_b32_e32 v16, v1
	s_mov_b32 s17, exec_lo
	buffer_store_dword v16, off, s[0:3], s32 offset:588 ; 4-byte Folded Spill
	buffer_store_dword v17, off, s[0:3], s32 offset:592 ; 4-byte Folded Spill
	v_and_b32_sdwa v0, v0, v2 dst_sel:DWORD dst_unused:UNUSED_PAD src0_sel:DWORD src1_sel:BYTE_1
	v_and_b32_e32 v4, 0x7f, v0
	v_cmpx_ne_u32_e32 0x7f, v4
	s_cbranch_execz .LBB226_408
; %bb.405:                              ;   in Loop: Header=BB226_10 Depth=1
	v_and_b32_e32 v0, 7, v0
	v_lshrrev_b32_e32 v3, 3, v4
	s_mov_b32 s18, exec_lo
	v_cmpx_gt_u32_e32 8, v4
; %bb.406:                              ;   in Loop: Header=BB226_10 Depth=1
	v_ffbh_u32_e32 v3, v0
	v_min_u32_e32 v3, 32, v3
	v_subrev_nc_u32_e32 v4, 28, v3
	v_sub_nc_u32_e32 v3, 29, v3
	v_lshlrev_b64 v[4:5], v4, v[0:1]
	v_and_b32_e32 v0, 7, v4
; %bb.407:                              ;   in Loop: Header=BB226_10 Depth=1
	s_or_b32 exec_lo, exec_lo, s18
	v_lshlrev_b32_e32 v4, 16, v2
	v_lshlrev_b32_e32 v0, 20, v0
	v_lshl_add_u32 v3, v3, 23, 0x3c000000
	v_and_b32_e32 v4, 0x80000000, v4
	v_or3_b32 v4, v0, v4, v3
	v_mov_b32_e32 v3, v1
	buffer_store_dword v3, off, s[0:3], s32 offset:588 ; 4-byte Folded Spill
	buffer_store_dword v4, off, s[0:3], s32 offset:592 ; 4-byte Folded Spill
.LBB226_408:                            ;   in Loop: Header=BB226_10 Depth=1
	s_or_b32 exec_lo, exec_lo, s17
.LBB226_409:                            ;   in Loop: Header=BB226_10 Depth=1
	s_or_b32 exec_lo, exec_lo, s15
.LBB226_410:                            ;   in Loop: Header=BB226_10 Depth=1
	s_or_b32 exec_lo, exec_lo, s13
	v_mov_b32_e32 v3, 0
	v_mov_b32_e32 v4, 0
	;; [unrolled: 1-line block ×3, first 2 shown]
	s_mov_b32 s13, exec_lo
	buffer_store_dword v3, off, s[0:3], s32 offset:596 ; 4-byte Folded Spill
	buffer_store_dword v4, off, s[0:3], s32 offset:600 ; 4-byte Folded Spill
	v_mov_b32_e32 v3, 0
	v_and_b32_sdwa v0, v2, v0 dst_sel:DWORD dst_unused:UNUSED_PAD src0_sel:WORD_1 src1_sel:DWORD
	v_mov_b32_e32 v4, 0
	buffer_store_dword v3, off, s[0:3], s32 offset:604 ; 4-byte Folded Spill
	buffer_store_dword v4, off, s[0:3], s32 offset:608 ; 4-byte Folded Spill
	v_cmpx_ne_u16_e32 0, v0
	s_cbranch_execz .LBB226_418
; %bb.411:                              ;   in Loop: Header=BB226_10 Depth=1
	v_bfrev_b32_e32 v3, 1
	v_mov_b32_e32 v4, 0
	s_mov_b32 s15, exec_lo
	buffer_store_dword v3, off, s[0:3], s32 offset:604 ; 4-byte Folded Spill
	buffer_store_dword v4, off, s[0:3], s32 offset:608 ; 4-byte Folded Spill
	v_cmpx_ne_u16_e32 0x80, v0
	s_cbranch_execz .LBB226_417
; %bb.412:                              ;   in Loop: Header=BB226_10 Depth=1
	v_mov_b32_e32 v5, 0x7f800001
	v_bfe_u32 v4, v2, 16, 7
	v_mov_b32_e32 v6, 0
	s_mov_b32 s17, exec_lo
	buffer_store_dword v5, off, s[0:3], s32 offset:604 ; 4-byte Folded Spill
	buffer_store_dword v6, off, s[0:3], s32 offset:608 ; 4-byte Folded Spill
	v_cmpx_ne_u32_e32 0x7f, v4
	s_cbranch_execz .LBB226_416
; %bb.413:                              ;   in Loop: Header=BB226_10 Depth=1
	v_mov_b32_e32 v0, 7
	v_lshrrev_b32_e32 v3, 3, v4
	s_mov_b32 s18, exec_lo
	v_and_b32_sdwa v0, v2, v0 dst_sel:DWORD dst_unused:UNUSED_PAD src0_sel:WORD_1 src1_sel:DWORD
	v_cmpx_gt_u32_e32 8, v4
; %bb.414:                              ;   in Loop: Header=BB226_10 Depth=1
	v_ffbh_u32_e32 v3, v0
	v_min_u32_e32 v3, 32, v3
	v_subrev_nc_u32_e32 v4, 28, v3
	v_sub_nc_u32_e32 v3, 29, v3
	v_lshlrev_b64 v[4:5], v4, v[0:1]
	v_and_b32_e32 v0, 7, v4
; %bb.415:                              ;   in Loop: Header=BB226_10 Depth=1
	s_or_b32 exec_lo, exec_lo, s18
	v_mov_b32_e32 v4, 24
	v_lshlrev_b32_e32 v0, 20, v0
	v_lshl_add_u32 v3, v3, 23, 0x3c000000
	v_lshlrev_b32_sdwa v4, v4, v2 dst_sel:DWORD dst_unused:UNUSED_PAD src0_sel:DWORD src1_sel:WORD_1
	v_and_b32_e32 v4, 0x80000000, v4
	v_or3_b32 v0, v0, v4, v3
	buffer_store_dword v0, off, s[0:3], s32 offset:604 ; 4-byte Folded Spill
	buffer_store_dword v1, off, s[0:3], s32 offset:608 ; 4-byte Folded Spill
.LBB226_416:                            ;   in Loop: Header=BB226_10 Depth=1
	s_or_b32 exec_lo, exec_lo, s17
.LBB226_417:                            ;   in Loop: Header=BB226_10 Depth=1
	s_or_b32 exec_lo, exec_lo, s15
.LBB226_418:                            ;   in Loop: Header=BB226_10 Depth=1
	s_or_b32 exec_lo, exec_lo, s13
	s_mov_b32 s13, exec_lo
	v_cmpx_lt_u32_e32 0xffffff, v2
	s_cbranch_execz .LBB226_426
; %bb.419:                              ;   in Loop: Header=BB226_10 Depth=1
	v_mov_b32_e32 v20, v1
	v_cmp_ne_u32_sdwa s5, v2, v119 src0_sel:BYTE_3 src1_sel:DWORD
	buffer_store_dword v20, off, s[0:3], s32 offset:596 ; 4-byte Folded Spill
	buffer_store_dword v21, off, s[0:3], s32 offset:600 ; 4-byte Folded Spill
	s_and_saveexec_b32 s15, s5
	s_cbranch_execz .LBB226_425
; %bb.420:                              ;   in Loop: Header=BB226_10 Depth=1
	v_bfe_u32 v4, v2, 24, 7
	v_mov_b32_e32 v16, v1
	s_mov_b32 s17, exec_lo
	buffer_store_dword v16, off, s[0:3], s32 offset:596 ; 4-byte Folded Spill
	buffer_store_dword v17, off, s[0:3], s32 offset:600 ; 4-byte Folded Spill
	v_cmpx_ne_u32_e32 0x7f, v4
	s_cbranch_execz .LBB226_424
; %bb.421:                              ;   in Loop: Header=BB226_10 Depth=1
	v_mov_b32_e32 v0, 7
	v_lshrrev_b32_e32 v3, 3, v4
	s_mov_b32 s18, exec_lo
	v_and_b32_sdwa v0, v2, v0 dst_sel:DWORD dst_unused:UNUSED_PAD src0_sel:BYTE_3 src1_sel:DWORD
	v_cmpx_gt_u32_e32 8, v4
; %bb.422:                              ;   in Loop: Header=BB226_10 Depth=1
	v_ffbh_u32_e32 v3, v0
	v_min_u32_e32 v3, 32, v3
	v_subrev_nc_u32_e32 v4, 28, v3
	v_sub_nc_u32_e32 v3, 29, v3
	v_lshlrev_b64 v[4:5], v4, v[0:1]
	v_and_b32_e32 v0, 7, v4
; %bb.423:                              ;   in Loop: Header=BB226_10 Depth=1
	s_or_b32 exec_lo, exec_lo, s18
	v_mov_b32_e32 v4, 24
	v_lshlrev_b32_e32 v0, 20, v0
	v_lshl_add_u32 v3, v3, 23, 0x3c000000
	v_lshlrev_b32_sdwa v2, v4, v2 dst_sel:DWORD dst_unused:UNUSED_PAD src0_sel:DWORD src1_sel:BYTE_3
	v_and_b32_e32 v2, 0x80000000, v2
	v_or3_b32 v3, v0, v2, v3
	v_mov_b32_e32 v2, v1
	buffer_store_dword v2, off, s[0:3], s32 offset:596 ; 4-byte Folded Spill
	buffer_store_dword v3, off, s[0:3], s32 offset:600 ; 4-byte Folded Spill
.LBB226_424:                            ;   in Loop: Header=BB226_10 Depth=1
	s_or_b32 exec_lo, exec_lo, s17
.LBB226_425:                            ;   in Loop: Header=BB226_10 Depth=1
	s_or_b32 exec_lo, exec_lo, s15
.LBB226_426:                            ;   in Loop: Header=BB226_10 Depth=1
	s_or_b32 exec_lo, exec_lo, s13
	flat_load_dword v2, v[8:9] offset:1540
	v_mov_b32_e32 v3, 0
	v_mov_b32_e32 v4, 0
	buffer_store_dword v3, off, s[0:3], s32 offset:620 ; 4-byte Folded Spill
	buffer_store_dword v4, off, s[0:3], s32 offset:624 ; 4-byte Folded Spill
	v_mov_b32_e32 v3, 0
	v_mov_b32_e32 v4, 0
	buffer_store_dword v3, off, s[0:3], s32 offset:612 ; 4-byte Folded Spill
	buffer_store_dword v4, off, s[0:3], s32 offset:616 ; 4-byte Folded Spill
	s_waitcnt vmcnt(0) lgkmcnt(0)
	v_cmp_ne_u16_sdwa s5, v2, v1 src0_sel:BYTE_0 src1_sel:DWORD
	s_and_saveexec_b32 s13, s5
	s_cbranch_execz .LBB226_434
; %bb.427:                              ;   in Loop: Header=BB226_10 Depth=1
	v_bfrev_b32_e32 v3, 1
	v_mov_b32_e32 v4, 0
	v_cmp_ne_u16_sdwa s5, v2, v119 src0_sel:BYTE_0 src1_sel:DWORD
	buffer_store_dword v3, off, s[0:3], s32 offset:612 ; 4-byte Folded Spill
	buffer_store_dword v4, off, s[0:3], s32 offset:616 ; 4-byte Folded Spill
	s_and_saveexec_b32 s15, s5
	s_cbranch_execz .LBB226_433
; %bb.428:                              ;   in Loop: Header=BB226_10 Depth=1
	v_mov_b32_e32 v5, 0x7f800001
	v_and_b32_e32 v4, 0x7f, v2
	v_mov_b32_e32 v6, 0
	s_mov_b32 s17, exec_lo
	buffer_store_dword v5, off, s[0:3], s32 offset:612 ; 4-byte Folded Spill
	buffer_store_dword v6, off, s[0:3], s32 offset:616 ; 4-byte Folded Spill
	v_cmpx_ne_u32_e32 0x7f, v4
	s_cbranch_execz .LBB226_432
; %bb.429:                              ;   in Loop: Header=BB226_10 Depth=1
	v_and_b32_e32 v0, 7, v2
	v_lshrrev_b32_e32 v3, 3, v4
	s_mov_b32 s18, exec_lo
	v_cmpx_gt_u32_e32 8, v4
; %bb.430:                              ;   in Loop: Header=BB226_10 Depth=1
	v_ffbh_u32_e32 v3, v0
	v_min_u32_e32 v3, 32, v3
	v_subrev_nc_u32_e32 v4, 28, v3
	v_sub_nc_u32_e32 v3, 29, v3
	v_lshlrev_b64 v[4:5], v4, v[0:1]
	v_and_b32_e32 v0, 7, v4
; %bb.431:                              ;   in Loop: Header=BB226_10 Depth=1
	s_or_b32 exec_lo, exec_lo, s18
	v_lshlrev_b32_e32 v4, 24, v2
	v_lshlrev_b32_e32 v0, 20, v0
	v_lshl_add_u32 v3, v3, 23, 0x3c000000
	v_and_b32_e32 v4, 0x80000000, v4
	v_or3_b32 v0, v0, v4, v3
	buffer_store_dword v0, off, s[0:3], s32 offset:612 ; 4-byte Folded Spill
	buffer_store_dword v1, off, s[0:3], s32 offset:616 ; 4-byte Folded Spill
.LBB226_432:                            ;   in Loop: Header=BB226_10 Depth=1
	s_or_b32 exec_lo, exec_lo, s17
.LBB226_433:                            ;   in Loop: Header=BB226_10 Depth=1
	s_or_b32 exec_lo, exec_lo, s15
.LBB226_434:                            ;   in Loop: Header=BB226_10 Depth=1
	s_or_b32 exec_lo, exec_lo, s13
	v_cmp_ne_u16_sdwa s5, v2, v1 src0_sel:BYTE_1 src1_sel:DWORD
	s_and_saveexec_b32 s13, s5
	s_cbranch_execz .LBB226_442
; %bb.435:                              ;   in Loop: Header=BB226_10 Depth=1
	v_mov_b32_e32 v20, v1
	v_cmp_ne_u16_sdwa s5, v2, v119 src0_sel:BYTE_1 src1_sel:DWORD
	buffer_store_dword v20, off, s[0:3], s32 offset:620 ; 4-byte Folded Spill
	buffer_store_dword v21, off, s[0:3], s32 offset:624 ; 4-byte Folded Spill
	s_and_saveexec_b32 s15, s5
	s_cbranch_execz .LBB226_441
; %bb.436:                              ;   in Loop: Header=BB226_10 Depth=1
	v_mov_b32_e32 v0, 0xffff
	v_mov_b32_e32 v16, v1
	s_mov_b32 s17, exec_lo
	buffer_store_dword v16, off, s[0:3], s32 offset:620 ; 4-byte Folded Spill
	buffer_store_dword v17, off, s[0:3], s32 offset:624 ; 4-byte Folded Spill
	v_and_b32_sdwa v0, v0, v2 dst_sel:DWORD dst_unused:UNUSED_PAD src0_sel:DWORD src1_sel:BYTE_1
	v_and_b32_e32 v4, 0x7f, v0
	v_cmpx_ne_u32_e32 0x7f, v4
	s_cbranch_execz .LBB226_440
; %bb.437:                              ;   in Loop: Header=BB226_10 Depth=1
	v_and_b32_e32 v0, 7, v0
	v_lshrrev_b32_e32 v3, 3, v4
	s_mov_b32 s18, exec_lo
	v_cmpx_gt_u32_e32 8, v4
; %bb.438:                              ;   in Loop: Header=BB226_10 Depth=1
	v_ffbh_u32_e32 v3, v0
	v_min_u32_e32 v3, 32, v3
	v_subrev_nc_u32_e32 v4, 28, v3
	v_sub_nc_u32_e32 v3, 29, v3
	v_lshlrev_b64 v[4:5], v4, v[0:1]
	v_and_b32_e32 v0, 7, v4
; %bb.439:                              ;   in Loop: Header=BB226_10 Depth=1
	s_or_b32 exec_lo, exec_lo, s18
	v_lshlrev_b32_e32 v4, 16, v2
	v_lshlrev_b32_e32 v0, 20, v0
	v_lshl_add_u32 v3, v3, 23, 0x3c000000
	v_and_b32_e32 v4, 0x80000000, v4
	v_or3_b32 v4, v0, v4, v3
	v_mov_b32_e32 v3, v1
	buffer_store_dword v3, off, s[0:3], s32 offset:620 ; 4-byte Folded Spill
	buffer_store_dword v4, off, s[0:3], s32 offset:624 ; 4-byte Folded Spill
.LBB226_440:                            ;   in Loop: Header=BB226_10 Depth=1
	s_or_b32 exec_lo, exec_lo, s17
.LBB226_441:                            ;   in Loop: Header=BB226_10 Depth=1
	s_or_b32 exec_lo, exec_lo, s15
.LBB226_442:                            ;   in Loop: Header=BB226_10 Depth=1
	s_or_b32 exec_lo, exec_lo, s13
	v_mov_b32_e32 v3, 0
	v_mov_b32_e32 v4, 0
	;; [unrolled: 1-line block ×3, first 2 shown]
	s_mov_b32 s13, exec_lo
	buffer_store_dword v3, off, s[0:3], s32 offset:628 ; 4-byte Folded Spill
	buffer_store_dword v4, off, s[0:3], s32 offset:632 ; 4-byte Folded Spill
	v_mov_b32_e32 v3, 0
	v_and_b32_sdwa v0, v2, v0 dst_sel:DWORD dst_unused:UNUSED_PAD src0_sel:WORD_1 src1_sel:DWORD
	v_mov_b32_e32 v4, 0
	buffer_store_dword v3, off, s[0:3], s32 offset:636 ; 4-byte Folded Spill
	buffer_store_dword v4, off, s[0:3], s32 offset:640 ; 4-byte Folded Spill
	v_cmpx_ne_u16_e32 0, v0
	s_cbranch_execz .LBB226_450
; %bb.443:                              ;   in Loop: Header=BB226_10 Depth=1
	v_bfrev_b32_e32 v3, 1
	v_mov_b32_e32 v4, 0
	s_mov_b32 s15, exec_lo
	buffer_store_dword v3, off, s[0:3], s32 offset:636 ; 4-byte Folded Spill
	buffer_store_dword v4, off, s[0:3], s32 offset:640 ; 4-byte Folded Spill
	v_cmpx_ne_u16_e32 0x80, v0
	s_cbranch_execz .LBB226_449
; %bb.444:                              ;   in Loop: Header=BB226_10 Depth=1
	v_mov_b32_e32 v5, 0x7f800001
	v_bfe_u32 v4, v2, 16, 7
	v_mov_b32_e32 v6, 0
	s_mov_b32 s17, exec_lo
	buffer_store_dword v5, off, s[0:3], s32 offset:636 ; 4-byte Folded Spill
	buffer_store_dword v6, off, s[0:3], s32 offset:640 ; 4-byte Folded Spill
	v_cmpx_ne_u32_e32 0x7f, v4
	s_cbranch_execz .LBB226_448
; %bb.445:                              ;   in Loop: Header=BB226_10 Depth=1
	v_mov_b32_e32 v0, 7
	v_lshrrev_b32_e32 v3, 3, v4
	s_mov_b32 s18, exec_lo
	v_and_b32_sdwa v0, v2, v0 dst_sel:DWORD dst_unused:UNUSED_PAD src0_sel:WORD_1 src1_sel:DWORD
	v_cmpx_gt_u32_e32 8, v4
; %bb.446:                              ;   in Loop: Header=BB226_10 Depth=1
	v_ffbh_u32_e32 v3, v0
	v_min_u32_e32 v3, 32, v3
	v_subrev_nc_u32_e32 v4, 28, v3
	v_sub_nc_u32_e32 v3, 29, v3
	v_lshlrev_b64 v[4:5], v4, v[0:1]
	v_and_b32_e32 v0, 7, v4
; %bb.447:                              ;   in Loop: Header=BB226_10 Depth=1
	s_or_b32 exec_lo, exec_lo, s18
	v_mov_b32_e32 v4, 24
	v_lshlrev_b32_e32 v0, 20, v0
	v_lshl_add_u32 v3, v3, 23, 0x3c000000
	v_lshlrev_b32_sdwa v4, v4, v2 dst_sel:DWORD dst_unused:UNUSED_PAD src0_sel:DWORD src1_sel:WORD_1
	v_and_b32_e32 v4, 0x80000000, v4
	v_or3_b32 v0, v0, v4, v3
	buffer_store_dword v0, off, s[0:3], s32 offset:636 ; 4-byte Folded Spill
	buffer_store_dword v1, off, s[0:3], s32 offset:640 ; 4-byte Folded Spill
.LBB226_448:                            ;   in Loop: Header=BB226_10 Depth=1
	s_or_b32 exec_lo, exec_lo, s17
.LBB226_449:                            ;   in Loop: Header=BB226_10 Depth=1
	s_or_b32 exec_lo, exec_lo, s15
.LBB226_450:                            ;   in Loop: Header=BB226_10 Depth=1
	s_or_b32 exec_lo, exec_lo, s13
	s_mov_b32 s13, exec_lo
	v_cmpx_lt_u32_e32 0xffffff, v2
	s_cbranch_execz .LBB226_458
; %bb.451:                              ;   in Loop: Header=BB226_10 Depth=1
	v_mov_b32_e32 v20, v1
	v_cmp_ne_u32_sdwa s5, v2, v119 src0_sel:BYTE_3 src1_sel:DWORD
	buffer_store_dword v20, off, s[0:3], s32 offset:628 ; 4-byte Folded Spill
	buffer_store_dword v21, off, s[0:3], s32 offset:632 ; 4-byte Folded Spill
	s_and_saveexec_b32 s15, s5
	s_cbranch_execz .LBB226_457
; %bb.452:                              ;   in Loop: Header=BB226_10 Depth=1
	v_bfe_u32 v4, v2, 24, 7
	v_mov_b32_e32 v16, v1
	s_mov_b32 s17, exec_lo
	buffer_store_dword v16, off, s[0:3], s32 offset:628 ; 4-byte Folded Spill
	buffer_store_dword v17, off, s[0:3], s32 offset:632 ; 4-byte Folded Spill
	v_cmpx_ne_u32_e32 0x7f, v4
	s_cbranch_execz .LBB226_456
; %bb.453:                              ;   in Loop: Header=BB226_10 Depth=1
	v_mov_b32_e32 v0, 7
	v_lshrrev_b32_e32 v3, 3, v4
	s_mov_b32 s18, exec_lo
	v_and_b32_sdwa v0, v2, v0 dst_sel:DWORD dst_unused:UNUSED_PAD src0_sel:BYTE_3 src1_sel:DWORD
	v_cmpx_gt_u32_e32 8, v4
; %bb.454:                              ;   in Loop: Header=BB226_10 Depth=1
	v_ffbh_u32_e32 v3, v0
	v_min_u32_e32 v3, 32, v3
	v_subrev_nc_u32_e32 v4, 28, v3
	v_sub_nc_u32_e32 v3, 29, v3
	v_lshlrev_b64 v[4:5], v4, v[0:1]
	v_and_b32_e32 v0, 7, v4
; %bb.455:                              ;   in Loop: Header=BB226_10 Depth=1
	s_or_b32 exec_lo, exec_lo, s18
	v_mov_b32_e32 v4, 24
	v_lshlrev_b32_e32 v0, 20, v0
	v_lshl_add_u32 v3, v3, 23, 0x3c000000
	v_lshlrev_b32_sdwa v2, v4, v2 dst_sel:DWORD dst_unused:UNUSED_PAD src0_sel:DWORD src1_sel:BYTE_3
	v_and_b32_e32 v2, 0x80000000, v2
	v_or3_b32 v3, v0, v2, v3
	v_mov_b32_e32 v2, v1
	buffer_store_dword v2, off, s[0:3], s32 offset:628 ; 4-byte Folded Spill
	buffer_store_dword v3, off, s[0:3], s32 offset:632 ; 4-byte Folded Spill
.LBB226_456:                            ;   in Loop: Header=BB226_10 Depth=1
	s_or_b32 exec_lo, exec_lo, s17
.LBB226_457:                            ;   in Loop: Header=BB226_10 Depth=1
	s_or_b32 exec_lo, exec_lo, s15
.LBB226_458:                            ;   in Loop: Header=BB226_10 Depth=1
	s_or_b32 exec_lo, exec_lo, s13
	flat_load_dword v2, v[8:9] offset:1544
	v_mov_b32_e32 v3, 0
	v_mov_b32_e32 v4, 0
	buffer_store_dword v3, off, s[0:3], s32 offset:652 ; 4-byte Folded Spill
	buffer_store_dword v4, off, s[0:3], s32 offset:656 ; 4-byte Folded Spill
	v_mov_b32_e32 v3, 0
	v_mov_b32_e32 v4, 0
	buffer_store_dword v3, off, s[0:3], s32 offset:644 ; 4-byte Folded Spill
	buffer_store_dword v4, off, s[0:3], s32 offset:648 ; 4-byte Folded Spill
	s_waitcnt vmcnt(0) lgkmcnt(0)
	v_cmp_ne_u16_sdwa s5, v2, v1 src0_sel:BYTE_0 src1_sel:DWORD
	s_and_saveexec_b32 s13, s5
	s_cbranch_execz .LBB226_466
; %bb.459:                              ;   in Loop: Header=BB226_10 Depth=1
	v_bfrev_b32_e32 v3, 1
	v_mov_b32_e32 v4, 0
	v_cmp_ne_u16_sdwa s5, v2, v119 src0_sel:BYTE_0 src1_sel:DWORD
	buffer_store_dword v3, off, s[0:3], s32 offset:644 ; 4-byte Folded Spill
	buffer_store_dword v4, off, s[0:3], s32 offset:648 ; 4-byte Folded Spill
	s_and_saveexec_b32 s15, s5
	s_cbranch_execz .LBB226_465
; %bb.460:                              ;   in Loop: Header=BB226_10 Depth=1
	v_mov_b32_e32 v5, 0x7f800001
	v_and_b32_e32 v4, 0x7f, v2
	v_mov_b32_e32 v6, 0
	s_mov_b32 s17, exec_lo
	buffer_store_dword v5, off, s[0:3], s32 offset:644 ; 4-byte Folded Spill
	buffer_store_dword v6, off, s[0:3], s32 offset:648 ; 4-byte Folded Spill
	v_cmpx_ne_u32_e32 0x7f, v4
	s_cbranch_execz .LBB226_464
; %bb.461:                              ;   in Loop: Header=BB226_10 Depth=1
	v_and_b32_e32 v0, 7, v2
	v_lshrrev_b32_e32 v3, 3, v4
	s_mov_b32 s18, exec_lo
	v_cmpx_gt_u32_e32 8, v4
; %bb.462:                              ;   in Loop: Header=BB226_10 Depth=1
	v_ffbh_u32_e32 v3, v0
	v_min_u32_e32 v3, 32, v3
	v_subrev_nc_u32_e32 v4, 28, v3
	v_sub_nc_u32_e32 v3, 29, v3
	v_lshlrev_b64 v[4:5], v4, v[0:1]
	v_and_b32_e32 v0, 7, v4
; %bb.463:                              ;   in Loop: Header=BB226_10 Depth=1
	s_or_b32 exec_lo, exec_lo, s18
	v_lshlrev_b32_e32 v4, 24, v2
	v_lshlrev_b32_e32 v0, 20, v0
	v_lshl_add_u32 v3, v3, 23, 0x3c000000
	v_and_b32_e32 v4, 0x80000000, v4
	v_or3_b32 v0, v0, v4, v3
	buffer_store_dword v0, off, s[0:3], s32 offset:644 ; 4-byte Folded Spill
	buffer_store_dword v1, off, s[0:3], s32 offset:648 ; 4-byte Folded Spill
.LBB226_464:                            ;   in Loop: Header=BB226_10 Depth=1
	s_or_b32 exec_lo, exec_lo, s17
.LBB226_465:                            ;   in Loop: Header=BB226_10 Depth=1
	s_or_b32 exec_lo, exec_lo, s15
.LBB226_466:                            ;   in Loop: Header=BB226_10 Depth=1
	s_or_b32 exec_lo, exec_lo, s13
	v_cmp_ne_u16_sdwa s5, v2, v1 src0_sel:BYTE_1 src1_sel:DWORD
	s_and_saveexec_b32 s13, s5
	s_cbranch_execz .LBB226_474
; %bb.467:                              ;   in Loop: Header=BB226_10 Depth=1
	v_mov_b32_e32 v20, v1
	v_cmp_ne_u16_sdwa s5, v2, v119 src0_sel:BYTE_1 src1_sel:DWORD
	buffer_store_dword v20, off, s[0:3], s32 offset:652 ; 4-byte Folded Spill
	buffer_store_dword v21, off, s[0:3], s32 offset:656 ; 4-byte Folded Spill
	s_and_saveexec_b32 s15, s5
	s_cbranch_execz .LBB226_473
; %bb.468:                              ;   in Loop: Header=BB226_10 Depth=1
	v_mov_b32_e32 v0, 0xffff
	v_mov_b32_e32 v16, v1
	s_mov_b32 s17, exec_lo
	buffer_store_dword v16, off, s[0:3], s32 offset:652 ; 4-byte Folded Spill
	buffer_store_dword v17, off, s[0:3], s32 offset:656 ; 4-byte Folded Spill
	v_and_b32_sdwa v0, v0, v2 dst_sel:DWORD dst_unused:UNUSED_PAD src0_sel:DWORD src1_sel:BYTE_1
	v_and_b32_e32 v4, 0x7f, v0
	v_cmpx_ne_u32_e32 0x7f, v4
	s_cbranch_execz .LBB226_472
; %bb.469:                              ;   in Loop: Header=BB226_10 Depth=1
	v_and_b32_e32 v0, 7, v0
	v_lshrrev_b32_e32 v3, 3, v4
	s_mov_b32 s18, exec_lo
	v_cmpx_gt_u32_e32 8, v4
; %bb.470:                              ;   in Loop: Header=BB226_10 Depth=1
	v_ffbh_u32_e32 v3, v0
	v_min_u32_e32 v3, 32, v3
	v_subrev_nc_u32_e32 v4, 28, v3
	v_sub_nc_u32_e32 v3, 29, v3
	v_lshlrev_b64 v[4:5], v4, v[0:1]
	v_and_b32_e32 v0, 7, v4
; %bb.471:                              ;   in Loop: Header=BB226_10 Depth=1
	s_or_b32 exec_lo, exec_lo, s18
	v_lshlrev_b32_e32 v4, 16, v2
	v_lshlrev_b32_e32 v0, 20, v0
	v_lshl_add_u32 v3, v3, 23, 0x3c000000
	v_and_b32_e32 v4, 0x80000000, v4
	v_or3_b32 v4, v0, v4, v3
	v_mov_b32_e32 v3, v1
	buffer_store_dword v3, off, s[0:3], s32 offset:652 ; 4-byte Folded Spill
	buffer_store_dword v4, off, s[0:3], s32 offset:656 ; 4-byte Folded Spill
.LBB226_472:                            ;   in Loop: Header=BB226_10 Depth=1
	s_or_b32 exec_lo, exec_lo, s17
.LBB226_473:                            ;   in Loop: Header=BB226_10 Depth=1
	s_or_b32 exec_lo, exec_lo, s15
.LBB226_474:                            ;   in Loop: Header=BB226_10 Depth=1
	s_or_b32 exec_lo, exec_lo, s13
	v_mov_b32_e32 v3, 0
	v_mov_b32_e32 v4, 0
	;; [unrolled: 1-line block ×3, first 2 shown]
	s_mov_b32 s13, exec_lo
	buffer_store_dword v3, off, s[0:3], s32 offset:660 ; 4-byte Folded Spill
	buffer_store_dword v4, off, s[0:3], s32 offset:664 ; 4-byte Folded Spill
	v_mov_b32_e32 v3, 0
	v_and_b32_sdwa v0, v2, v0 dst_sel:DWORD dst_unused:UNUSED_PAD src0_sel:WORD_1 src1_sel:DWORD
	v_mov_b32_e32 v4, 0
	buffer_store_dword v3, off, s[0:3], s32 offset:668 ; 4-byte Folded Spill
	buffer_store_dword v4, off, s[0:3], s32 offset:672 ; 4-byte Folded Spill
	v_cmpx_ne_u16_e32 0, v0
	s_cbranch_execz .LBB226_482
; %bb.475:                              ;   in Loop: Header=BB226_10 Depth=1
	v_bfrev_b32_e32 v3, 1
	v_mov_b32_e32 v4, 0
	s_mov_b32 s15, exec_lo
	buffer_store_dword v3, off, s[0:3], s32 offset:668 ; 4-byte Folded Spill
	buffer_store_dword v4, off, s[0:3], s32 offset:672 ; 4-byte Folded Spill
	v_cmpx_ne_u16_e32 0x80, v0
	s_cbranch_execz .LBB226_481
; %bb.476:                              ;   in Loop: Header=BB226_10 Depth=1
	v_mov_b32_e32 v5, 0x7f800001
	v_bfe_u32 v4, v2, 16, 7
	v_mov_b32_e32 v6, 0
	s_mov_b32 s17, exec_lo
	buffer_store_dword v5, off, s[0:3], s32 offset:668 ; 4-byte Folded Spill
	buffer_store_dword v6, off, s[0:3], s32 offset:672 ; 4-byte Folded Spill
	v_cmpx_ne_u32_e32 0x7f, v4
	s_cbranch_execz .LBB226_480
; %bb.477:                              ;   in Loop: Header=BB226_10 Depth=1
	v_mov_b32_e32 v0, 7
	v_lshrrev_b32_e32 v3, 3, v4
	s_mov_b32 s18, exec_lo
	v_and_b32_sdwa v0, v2, v0 dst_sel:DWORD dst_unused:UNUSED_PAD src0_sel:WORD_1 src1_sel:DWORD
	v_cmpx_gt_u32_e32 8, v4
; %bb.478:                              ;   in Loop: Header=BB226_10 Depth=1
	v_ffbh_u32_e32 v3, v0
	v_min_u32_e32 v3, 32, v3
	v_subrev_nc_u32_e32 v4, 28, v3
	v_sub_nc_u32_e32 v3, 29, v3
	v_lshlrev_b64 v[4:5], v4, v[0:1]
	v_and_b32_e32 v0, 7, v4
; %bb.479:                              ;   in Loop: Header=BB226_10 Depth=1
	s_or_b32 exec_lo, exec_lo, s18
	v_mov_b32_e32 v4, 24
	v_lshlrev_b32_e32 v0, 20, v0
	v_lshl_add_u32 v3, v3, 23, 0x3c000000
	v_lshlrev_b32_sdwa v4, v4, v2 dst_sel:DWORD dst_unused:UNUSED_PAD src0_sel:DWORD src1_sel:WORD_1
	v_and_b32_e32 v4, 0x80000000, v4
	v_or3_b32 v0, v0, v4, v3
	buffer_store_dword v0, off, s[0:3], s32 offset:668 ; 4-byte Folded Spill
	buffer_store_dword v1, off, s[0:3], s32 offset:672 ; 4-byte Folded Spill
.LBB226_480:                            ;   in Loop: Header=BB226_10 Depth=1
	s_or_b32 exec_lo, exec_lo, s17
.LBB226_481:                            ;   in Loop: Header=BB226_10 Depth=1
	s_or_b32 exec_lo, exec_lo, s15
.LBB226_482:                            ;   in Loop: Header=BB226_10 Depth=1
	s_or_b32 exec_lo, exec_lo, s13
	s_mov_b32 s13, exec_lo
	v_cmpx_lt_u32_e32 0xffffff, v2
	s_cbranch_execz .LBB226_490
; %bb.483:                              ;   in Loop: Header=BB226_10 Depth=1
	v_mov_b32_e32 v20, v1
	v_cmp_ne_u32_sdwa s5, v2, v119 src0_sel:BYTE_3 src1_sel:DWORD
	buffer_store_dword v20, off, s[0:3], s32 offset:660 ; 4-byte Folded Spill
	buffer_store_dword v21, off, s[0:3], s32 offset:664 ; 4-byte Folded Spill
	s_and_saveexec_b32 s15, s5
	s_cbranch_execz .LBB226_489
; %bb.484:                              ;   in Loop: Header=BB226_10 Depth=1
	v_bfe_u32 v4, v2, 24, 7
	v_mov_b32_e32 v16, v1
	s_mov_b32 s17, exec_lo
	buffer_store_dword v16, off, s[0:3], s32 offset:660 ; 4-byte Folded Spill
	buffer_store_dword v17, off, s[0:3], s32 offset:664 ; 4-byte Folded Spill
	v_cmpx_ne_u32_e32 0x7f, v4
	s_cbranch_execz .LBB226_488
; %bb.485:                              ;   in Loop: Header=BB226_10 Depth=1
	v_mov_b32_e32 v0, 7
	v_lshrrev_b32_e32 v3, 3, v4
	s_mov_b32 s18, exec_lo
	v_and_b32_sdwa v0, v2, v0 dst_sel:DWORD dst_unused:UNUSED_PAD src0_sel:BYTE_3 src1_sel:DWORD
	v_cmpx_gt_u32_e32 8, v4
; %bb.486:                              ;   in Loop: Header=BB226_10 Depth=1
	v_ffbh_u32_e32 v3, v0
	v_min_u32_e32 v3, 32, v3
	v_subrev_nc_u32_e32 v4, 28, v3
	v_sub_nc_u32_e32 v3, 29, v3
	v_lshlrev_b64 v[4:5], v4, v[0:1]
	v_and_b32_e32 v0, 7, v4
; %bb.487:                              ;   in Loop: Header=BB226_10 Depth=1
	s_or_b32 exec_lo, exec_lo, s18
	v_mov_b32_e32 v4, 24
	v_lshlrev_b32_e32 v0, 20, v0
	v_lshl_add_u32 v3, v3, 23, 0x3c000000
	v_lshlrev_b32_sdwa v2, v4, v2 dst_sel:DWORD dst_unused:UNUSED_PAD src0_sel:DWORD src1_sel:BYTE_3
	v_and_b32_e32 v2, 0x80000000, v2
	v_or3_b32 v3, v0, v2, v3
	v_mov_b32_e32 v2, v1
	buffer_store_dword v2, off, s[0:3], s32 offset:660 ; 4-byte Folded Spill
	buffer_store_dword v3, off, s[0:3], s32 offset:664 ; 4-byte Folded Spill
.LBB226_488:                            ;   in Loop: Header=BB226_10 Depth=1
	s_or_b32 exec_lo, exec_lo, s17
.LBB226_489:                            ;   in Loop: Header=BB226_10 Depth=1
	s_or_b32 exec_lo, exec_lo, s15
.LBB226_490:                            ;   in Loop: Header=BB226_10 Depth=1
	s_or_b32 exec_lo, exec_lo, s13
	flat_load_dword v2, v[8:9] offset:1548
	v_mov_b32_e32 v3, 0
	v_mov_b32_e32 v4, 0
	buffer_store_dword v3, off, s[0:3], s32 offset:684 ; 4-byte Folded Spill
	buffer_store_dword v4, off, s[0:3], s32 offset:688 ; 4-byte Folded Spill
	v_mov_b32_e32 v3, 0
	v_mov_b32_e32 v4, 0
	buffer_store_dword v3, off, s[0:3], s32 offset:676 ; 4-byte Folded Spill
	buffer_store_dword v4, off, s[0:3], s32 offset:680 ; 4-byte Folded Spill
	s_waitcnt vmcnt(0) lgkmcnt(0)
	v_cmp_ne_u16_sdwa s5, v2, v1 src0_sel:BYTE_0 src1_sel:DWORD
	s_and_saveexec_b32 s13, s5
	s_cbranch_execz .LBB226_498
; %bb.491:                              ;   in Loop: Header=BB226_10 Depth=1
	v_bfrev_b32_e32 v3, 1
	v_mov_b32_e32 v4, 0
	v_cmp_ne_u16_sdwa s5, v2, v119 src0_sel:BYTE_0 src1_sel:DWORD
	buffer_store_dword v3, off, s[0:3], s32 offset:676 ; 4-byte Folded Spill
	buffer_store_dword v4, off, s[0:3], s32 offset:680 ; 4-byte Folded Spill
	s_and_saveexec_b32 s15, s5
	s_cbranch_execz .LBB226_497
; %bb.492:                              ;   in Loop: Header=BB226_10 Depth=1
	v_mov_b32_e32 v5, 0x7f800001
	v_and_b32_e32 v4, 0x7f, v2
	v_mov_b32_e32 v6, 0
	s_mov_b32 s17, exec_lo
	buffer_store_dword v5, off, s[0:3], s32 offset:676 ; 4-byte Folded Spill
	buffer_store_dword v6, off, s[0:3], s32 offset:680 ; 4-byte Folded Spill
	v_cmpx_ne_u32_e32 0x7f, v4
	s_cbranch_execz .LBB226_496
; %bb.493:                              ;   in Loop: Header=BB226_10 Depth=1
	v_and_b32_e32 v0, 7, v2
	v_lshrrev_b32_e32 v3, 3, v4
	s_mov_b32 s18, exec_lo
	v_cmpx_gt_u32_e32 8, v4
; %bb.494:                              ;   in Loop: Header=BB226_10 Depth=1
	v_ffbh_u32_e32 v3, v0
	v_min_u32_e32 v3, 32, v3
	v_subrev_nc_u32_e32 v4, 28, v3
	v_sub_nc_u32_e32 v3, 29, v3
	v_lshlrev_b64 v[4:5], v4, v[0:1]
	v_and_b32_e32 v0, 7, v4
; %bb.495:                              ;   in Loop: Header=BB226_10 Depth=1
	s_or_b32 exec_lo, exec_lo, s18
	v_lshlrev_b32_e32 v4, 24, v2
	v_lshlrev_b32_e32 v0, 20, v0
	v_lshl_add_u32 v3, v3, 23, 0x3c000000
	v_and_b32_e32 v4, 0x80000000, v4
	v_or3_b32 v0, v0, v4, v3
	buffer_store_dword v0, off, s[0:3], s32 offset:676 ; 4-byte Folded Spill
	buffer_store_dword v1, off, s[0:3], s32 offset:680 ; 4-byte Folded Spill
.LBB226_496:                            ;   in Loop: Header=BB226_10 Depth=1
	s_or_b32 exec_lo, exec_lo, s17
.LBB226_497:                            ;   in Loop: Header=BB226_10 Depth=1
	s_or_b32 exec_lo, exec_lo, s15
.LBB226_498:                            ;   in Loop: Header=BB226_10 Depth=1
	s_or_b32 exec_lo, exec_lo, s13
	v_cmp_ne_u16_sdwa s5, v2, v1 src0_sel:BYTE_1 src1_sel:DWORD
	s_and_saveexec_b32 s13, s5
	s_cbranch_execz .LBB226_506
; %bb.499:                              ;   in Loop: Header=BB226_10 Depth=1
	v_mov_b32_e32 v20, v1
	v_cmp_ne_u16_sdwa s5, v2, v119 src0_sel:BYTE_1 src1_sel:DWORD
	buffer_store_dword v20, off, s[0:3], s32 offset:684 ; 4-byte Folded Spill
	buffer_store_dword v21, off, s[0:3], s32 offset:688 ; 4-byte Folded Spill
	s_and_saveexec_b32 s15, s5
	s_cbranch_execz .LBB226_505
; %bb.500:                              ;   in Loop: Header=BB226_10 Depth=1
	v_mov_b32_e32 v0, 0xffff
	v_mov_b32_e32 v16, v1
	s_mov_b32 s17, exec_lo
	buffer_store_dword v16, off, s[0:3], s32 offset:684 ; 4-byte Folded Spill
	buffer_store_dword v17, off, s[0:3], s32 offset:688 ; 4-byte Folded Spill
	v_and_b32_sdwa v0, v0, v2 dst_sel:DWORD dst_unused:UNUSED_PAD src0_sel:DWORD src1_sel:BYTE_1
	v_and_b32_e32 v4, 0x7f, v0
	v_cmpx_ne_u32_e32 0x7f, v4
	s_cbranch_execz .LBB226_504
; %bb.501:                              ;   in Loop: Header=BB226_10 Depth=1
	v_and_b32_e32 v0, 7, v0
	v_lshrrev_b32_e32 v3, 3, v4
	s_mov_b32 s18, exec_lo
	v_cmpx_gt_u32_e32 8, v4
; %bb.502:                              ;   in Loop: Header=BB226_10 Depth=1
	v_ffbh_u32_e32 v3, v0
	v_min_u32_e32 v3, 32, v3
	v_subrev_nc_u32_e32 v4, 28, v3
	v_sub_nc_u32_e32 v3, 29, v3
	v_lshlrev_b64 v[4:5], v4, v[0:1]
	v_and_b32_e32 v0, 7, v4
; %bb.503:                              ;   in Loop: Header=BB226_10 Depth=1
	s_or_b32 exec_lo, exec_lo, s18
	v_lshlrev_b32_e32 v4, 16, v2
	v_lshlrev_b32_e32 v0, 20, v0
	v_lshl_add_u32 v3, v3, 23, 0x3c000000
	v_and_b32_e32 v4, 0x80000000, v4
	v_or3_b32 v4, v0, v4, v3
	v_mov_b32_e32 v3, v1
	buffer_store_dword v3, off, s[0:3], s32 offset:684 ; 4-byte Folded Spill
	buffer_store_dword v4, off, s[0:3], s32 offset:688 ; 4-byte Folded Spill
.LBB226_504:                            ;   in Loop: Header=BB226_10 Depth=1
	s_or_b32 exec_lo, exec_lo, s17
.LBB226_505:                            ;   in Loop: Header=BB226_10 Depth=1
	s_or_b32 exec_lo, exec_lo, s15
.LBB226_506:                            ;   in Loop: Header=BB226_10 Depth=1
	s_or_b32 exec_lo, exec_lo, s13
	v_mov_b32_e32 v0, 0xff
	v_mov_b32_e32 v32, 0
	;; [unrolled: 1-line block ×5, first 2 shown]
	v_and_b32_sdwa v0, v2, v0 dst_sel:DWORD dst_unused:UNUSED_PAD src0_sel:WORD_1 src1_sel:DWORD
	s_mov_b32 s13, exec_lo
	buffer_store_dword v3, off, s[0:3], s32 offset:692 ; 4-byte Folded Spill
	buffer_store_dword v4, off, s[0:3], s32 offset:696 ; 4-byte Folded Spill
	v_cmpx_ne_u16_e32 0, v0
	s_cbranch_execz .LBB226_514
; %bb.507:                              ;   in Loop: Header=BB226_10 Depth=1
	v_bfrev_b32_e32 v3, 1
	v_mov_b32_e32 v4, 0
	s_mov_b32 s15, exec_lo
	buffer_store_dword v3, off, s[0:3], s32 offset:692 ; 4-byte Folded Spill
	buffer_store_dword v4, off, s[0:3], s32 offset:696 ; 4-byte Folded Spill
	v_cmpx_ne_u16_e32 0x80, v0
	s_cbranch_execz .LBB226_513
; %bb.508:                              ;   in Loop: Header=BB226_10 Depth=1
	v_mov_b32_e32 v5, 0x7f800001
	v_bfe_u32 v4, v2, 16, 7
	v_mov_b32_e32 v6, 0
	s_mov_b32 s17, exec_lo
	buffer_store_dword v5, off, s[0:3], s32 offset:692 ; 4-byte Folded Spill
	buffer_store_dword v6, off, s[0:3], s32 offset:696 ; 4-byte Folded Spill
	v_cmpx_ne_u32_e32 0x7f, v4
	s_cbranch_execz .LBB226_512
; %bb.509:                              ;   in Loop: Header=BB226_10 Depth=1
	v_mov_b32_e32 v0, 7
	v_lshrrev_b32_e32 v3, 3, v4
	s_mov_b32 s18, exec_lo
	v_and_b32_sdwa v0, v2, v0 dst_sel:DWORD dst_unused:UNUSED_PAD src0_sel:WORD_1 src1_sel:DWORD
	v_cmpx_gt_u32_e32 8, v4
; %bb.510:                              ;   in Loop: Header=BB226_10 Depth=1
	v_ffbh_u32_e32 v3, v0
	v_min_u32_e32 v3, 32, v3
	v_subrev_nc_u32_e32 v4, 28, v3
	v_sub_nc_u32_e32 v3, 29, v3
	v_lshlrev_b64 v[4:5], v4, v[0:1]
	v_and_b32_e32 v0, 7, v4
; %bb.511:                              ;   in Loop: Header=BB226_10 Depth=1
	s_or_b32 exec_lo, exec_lo, s18
	v_mov_b32_e32 v4, 24
	v_lshlrev_b32_e32 v0, 20, v0
	v_lshl_add_u32 v3, v3, 23, 0x3c000000
	v_lshlrev_b32_sdwa v4, v4, v2 dst_sel:DWORD dst_unused:UNUSED_PAD src0_sel:DWORD src1_sel:WORD_1
	v_and_b32_e32 v4, 0x80000000, v4
	v_or3_b32 v0, v0, v4, v3
	buffer_store_dword v0, off, s[0:3], s32 offset:692 ; 4-byte Folded Spill
	buffer_store_dword v1, off, s[0:3], s32 offset:696 ; 4-byte Folded Spill
.LBB226_512:                            ;   in Loop: Header=BB226_10 Depth=1
	s_or_b32 exec_lo, exec_lo, s17
.LBB226_513:                            ;   in Loop: Header=BB226_10 Depth=1
	s_or_b32 exec_lo, exec_lo, s15
.LBB226_514:                            ;   in Loop: Header=BB226_10 Depth=1
	s_or_b32 exec_lo, exec_lo, s13
	s_mov_b32 s13, exec_lo
	v_cmpx_lt_u32_e32 0xffffff, v2
	s_cbranch_execz .LBB226_522
; %bb.515:                              ;   in Loop: Header=BB226_10 Depth=1
	v_mov_b32_e32 v20, v1
	v_mov_b32_e32 v33, v21
	v_cmp_ne_u32_sdwa s5, v2, v119 src0_sel:BYTE_3 src1_sel:DWORD
	v_mov_b32_e32 v32, v20
	s_and_saveexec_b32 s15, s5
	s_cbranch_execz .LBB226_521
; %bb.516:                              ;   in Loop: Header=BB226_10 Depth=1
	v_mov_b32_e32 v16, v1
	v_mov_b32_e32 v33, v17
	v_bfe_u32 v4, v2, 24, 7
	s_mov_b32 s17, exec_lo
	v_mov_b32_e32 v32, v16
	v_cmpx_ne_u32_e32 0x7f, v4
	s_cbranch_execz .LBB226_520
; %bb.517:                              ;   in Loop: Header=BB226_10 Depth=1
	v_mov_b32_e32 v0, 7
	v_lshrrev_b32_e32 v3, 3, v4
	s_mov_b32 s18, exec_lo
	v_and_b32_sdwa v0, v2, v0 dst_sel:DWORD dst_unused:UNUSED_PAD src0_sel:BYTE_3 src1_sel:DWORD
	v_cmpx_gt_u32_e32 8, v4
; %bb.518:                              ;   in Loop: Header=BB226_10 Depth=1
	v_ffbh_u32_e32 v3, v0
	v_min_u32_e32 v3, 32, v3
	v_subrev_nc_u32_e32 v4, 28, v3
	v_sub_nc_u32_e32 v3, 29, v3
	v_lshlrev_b64 v[4:5], v4, v[0:1]
	v_and_b32_e32 v0, 7, v4
; %bb.519:                              ;   in Loop: Header=BB226_10 Depth=1
	s_or_b32 exec_lo, exec_lo, s18
	v_mov_b32_e32 v4, 24
	v_lshlrev_b32_e32 v0, 20, v0
	v_lshl_add_u32 v3, v3, 23, 0x3c000000
	v_mov_b32_e32 v32, v1
	v_lshlrev_b32_sdwa v2, v4, v2 dst_sel:DWORD dst_unused:UNUSED_PAD src0_sel:DWORD src1_sel:BYTE_3
	v_and_b32_e32 v2, 0x80000000, v2
	v_or3_b32 v33, v0, v2, v3
.LBB226_520:                            ;   in Loop: Header=BB226_10 Depth=1
	s_or_b32 exec_lo, exec_lo, s17
.LBB226_521:                            ;   in Loop: Header=BB226_10 Depth=1
	s_or_b32 exec_lo, exec_lo, s15
.LBB226_522:                            ;   in Loop: Header=BB226_10 Depth=1
	s_or_b32 exec_lo, exec_lo, s13
	v_add_co_u32 v36, s5, 0x800, v8
	v_add_co_ci_u32_e64 v37, null, 0, v9, s5
	v_mov_b32_e32 v34, 0
	v_mov_b32_e32 v3, 0
	;; [unrolled: 1-line block ×3, first 2 shown]
	flat_load_dword v2, v[36:37]
	v_mov_b32_e32 v4, 0
	buffer_store_dword v3, off, s[0:3], s32 offset:700 ; 4-byte Folded Spill
	buffer_store_dword v4, off, s[0:3], s32 offset:704 ; 4-byte Folded Spill
	s_waitcnt vmcnt(0) lgkmcnt(0)
	v_cmp_ne_u16_sdwa s5, v2, v1 src0_sel:BYTE_0 src1_sel:DWORD
	s_and_saveexec_b32 s13, s5
	s_cbranch_execz .LBB226_530
; %bb.523:                              ;   in Loop: Header=BB226_10 Depth=1
	v_bfrev_b32_e32 v3, 1
	v_mov_b32_e32 v4, 0
	v_cmp_ne_u16_sdwa s5, v2, v119 src0_sel:BYTE_0 src1_sel:DWORD
	buffer_store_dword v3, off, s[0:3], s32 offset:700 ; 4-byte Folded Spill
	buffer_store_dword v4, off, s[0:3], s32 offset:704 ; 4-byte Folded Spill
	s_and_saveexec_b32 s15, s5
	s_cbranch_execz .LBB226_529
; %bb.524:                              ;   in Loop: Header=BB226_10 Depth=1
	v_mov_b32_e32 v5, 0x7f800001
	v_and_b32_e32 v4, 0x7f, v2
	v_mov_b32_e32 v6, 0
	s_mov_b32 s17, exec_lo
	buffer_store_dword v5, off, s[0:3], s32 offset:700 ; 4-byte Folded Spill
	buffer_store_dword v6, off, s[0:3], s32 offset:704 ; 4-byte Folded Spill
	v_cmpx_ne_u32_e32 0x7f, v4
	s_cbranch_execz .LBB226_528
; %bb.525:                              ;   in Loop: Header=BB226_10 Depth=1
	v_and_b32_e32 v0, 7, v2
	v_lshrrev_b32_e32 v3, 3, v4
	s_mov_b32 s18, exec_lo
	v_cmpx_gt_u32_e32 8, v4
; %bb.526:                              ;   in Loop: Header=BB226_10 Depth=1
	v_ffbh_u32_e32 v3, v0
	v_min_u32_e32 v3, 32, v3
	v_subrev_nc_u32_e32 v4, 28, v3
	v_sub_nc_u32_e32 v3, 29, v3
	v_lshlrev_b64 v[4:5], v4, v[0:1]
	v_and_b32_e32 v0, 7, v4
; %bb.527:                              ;   in Loop: Header=BB226_10 Depth=1
	s_or_b32 exec_lo, exec_lo, s18
	v_lshlrev_b32_e32 v4, 24, v2
	v_lshlrev_b32_e32 v0, 20, v0
	v_lshl_add_u32 v3, v3, 23, 0x3c000000
	v_and_b32_e32 v4, 0x80000000, v4
	v_or3_b32 v0, v0, v4, v3
	buffer_store_dword v0, off, s[0:3], s32 offset:700 ; 4-byte Folded Spill
	buffer_store_dword v1, off, s[0:3], s32 offset:704 ; 4-byte Folded Spill
.LBB226_528:                            ;   in Loop: Header=BB226_10 Depth=1
	s_or_b32 exec_lo, exec_lo, s17
.LBB226_529:                            ;   in Loop: Header=BB226_10 Depth=1
	s_or_b32 exec_lo, exec_lo, s15
.LBB226_530:                            ;   in Loop: Header=BB226_10 Depth=1
	s_or_b32 exec_lo, exec_lo, s13
	v_cmp_ne_u16_sdwa s5, v2, v1 src0_sel:BYTE_1 src1_sel:DWORD
	s_and_saveexec_b32 s13, s5
	s_cbranch_execz .LBB226_538
; %bb.531:                              ;   in Loop: Header=BB226_10 Depth=1
	v_mov_b32_e32 v20, v1
	v_mov_b32_e32 v35, v21
	v_cmp_ne_u16_sdwa s5, v2, v119 src0_sel:BYTE_1 src1_sel:DWORD
	v_mov_b32_e32 v34, v20
	s_and_saveexec_b32 s15, s5
	s_cbranch_execz .LBB226_537
; %bb.532:                              ;   in Loop: Header=BB226_10 Depth=1
	v_mov_b32_e32 v0, 0xffff
	v_mov_b32_e32 v16, v1
	;; [unrolled: 1-line block ×3, first 2 shown]
	s_mov_b32 s17, exec_lo
	v_and_b32_sdwa v0, v0, v2 dst_sel:DWORD dst_unused:UNUSED_PAD src0_sel:DWORD src1_sel:BYTE_1
	v_mov_b32_e32 v34, v16
	v_and_b32_e32 v4, 0x7f, v0
	v_cmpx_ne_u32_e32 0x7f, v4
	s_cbranch_execz .LBB226_536
; %bb.533:                              ;   in Loop: Header=BB226_10 Depth=1
	v_and_b32_e32 v0, 7, v0
	v_lshrrev_b32_e32 v3, 3, v4
	s_mov_b32 s18, exec_lo
	v_cmpx_gt_u32_e32 8, v4
; %bb.534:                              ;   in Loop: Header=BB226_10 Depth=1
	v_ffbh_u32_e32 v3, v0
	v_min_u32_e32 v3, 32, v3
	v_subrev_nc_u32_e32 v4, 28, v3
	v_sub_nc_u32_e32 v3, 29, v3
	v_lshlrev_b64 v[4:5], v4, v[0:1]
	v_and_b32_e32 v0, 7, v4
; %bb.535:                              ;   in Loop: Header=BB226_10 Depth=1
	s_or_b32 exec_lo, exec_lo, s18
	v_lshlrev_b32_e32 v4, 16, v2
	v_lshlrev_b32_e32 v0, 20, v0
	v_lshl_add_u32 v3, v3, 23, 0x3c000000
	v_mov_b32_e32 v34, v1
	v_and_b32_e32 v4, 0x80000000, v4
	v_or3_b32 v35, v0, v4, v3
.LBB226_536:                            ;   in Loop: Header=BB226_10 Depth=1
	s_or_b32 exec_lo, exec_lo, s17
.LBB226_537:                            ;   in Loop: Header=BB226_10 Depth=1
	s_or_b32 exec_lo, exec_lo, s15
.LBB226_538:                            ;   in Loop: Header=BB226_10 Depth=1
	s_or_b32 exec_lo, exec_lo, s13
	v_mov_b32_e32 v0, 0xff
	v_mov_b32_e32 v14, 0
	;; [unrolled: 1-line block ×5, first 2 shown]
	v_and_b32_sdwa v0, v2, v0 dst_sel:DWORD dst_unused:UNUSED_PAD src0_sel:WORD_1 src1_sel:DWORD
	s_mov_b32 s13, exec_lo
	v_cmpx_ne_u16_e32 0, v0
	s_cbranch_execz .LBB226_546
; %bb.539:                              ;   in Loop: Header=BB226_10 Depth=1
	v_bfrev_b32_e32 v48, 1
	v_mov_b32_e32 v49, 0
	s_mov_b32 s15, exec_lo
	v_cmpx_ne_u16_e32 0x80, v0
	s_cbranch_execz .LBB226_545
; %bb.540:                              ;   in Loop: Header=BB226_10 Depth=1
	v_mov_b32_e32 v48, 0x7f800001
	v_bfe_u32 v4, v2, 16, 7
	v_mov_b32_e32 v49, 0
	s_mov_b32 s17, exec_lo
	v_cmpx_ne_u32_e32 0x7f, v4
	s_cbranch_execz .LBB226_544
; %bb.541:                              ;   in Loop: Header=BB226_10 Depth=1
	v_mov_b32_e32 v0, 7
	v_lshrrev_b32_e32 v3, 3, v4
	s_mov_b32 s18, exec_lo
	v_and_b32_sdwa v0, v2, v0 dst_sel:DWORD dst_unused:UNUSED_PAD src0_sel:WORD_1 src1_sel:DWORD
	v_cmpx_gt_u32_e32 8, v4
; %bb.542:                              ;   in Loop: Header=BB226_10 Depth=1
	v_ffbh_u32_e32 v3, v0
	v_min_u32_e32 v3, 32, v3
	v_subrev_nc_u32_e32 v4, 28, v3
	v_sub_nc_u32_e32 v3, 29, v3
	v_lshlrev_b64 v[4:5], v4, v[0:1]
	v_and_b32_e32 v0, 7, v4
; %bb.543:                              ;   in Loop: Header=BB226_10 Depth=1
	s_or_b32 exec_lo, exec_lo, s18
	v_mov_b32_e32 v4, 24
	v_lshlrev_b32_e32 v0, 20, v0
	v_lshl_add_u32 v3, v3, 23, 0x3c000000
	v_lshlrev_b32_sdwa v4, v4, v2 dst_sel:DWORD dst_unused:UNUSED_PAD src0_sel:DWORD src1_sel:WORD_1
	v_and_b32_e32 v4, 0x80000000, v4
	v_or3_b32 v0, v0, v4, v3
	v_mov_b32_e32 v49, v1
	v_mov_b32_e32 v48, v0
.LBB226_544:                            ;   in Loop: Header=BB226_10 Depth=1
	s_or_b32 exec_lo, exec_lo, s17
.LBB226_545:                            ;   in Loop: Header=BB226_10 Depth=1
	s_or_b32 exec_lo, exec_lo, s15
.LBB226_546:                            ;   in Loop: Header=BB226_10 Depth=1
	s_or_b32 exec_lo, exec_lo, s13
	s_mov_b32 s13, exec_lo
	v_cmpx_lt_u32_e32 0xffffff, v2
	s_cbranch_execz .LBB226_554
; %bb.547:                              ;   in Loop: Header=BB226_10 Depth=1
	v_mov_b32_e32 v20, v1
	v_cmp_ne_u32_sdwa s5, v2, v119 src0_sel:BYTE_3 src1_sel:DWORD
	v_mov_b32_e32 v14, v20
	v_mov_b32_e32 v15, v21
	s_and_saveexec_b32 s15, s5
	s_cbranch_execz .LBB226_553
; %bb.548:                              ;   in Loop: Header=BB226_10 Depth=1
	v_mov_b32_e32 v16, v1
	v_bfe_u32 v4, v2, 24, 7
	s_mov_b32 s17, exec_lo
	v_mov_b32_e32 v14, v16
	v_mov_b32_e32 v15, v17
	v_cmpx_ne_u32_e32 0x7f, v4
	s_cbranch_execz .LBB226_552
; %bb.549:                              ;   in Loop: Header=BB226_10 Depth=1
	v_mov_b32_e32 v0, 7
	v_lshrrev_b32_e32 v3, 3, v4
	s_mov_b32 s18, exec_lo
	v_and_b32_sdwa v0, v2, v0 dst_sel:DWORD dst_unused:UNUSED_PAD src0_sel:BYTE_3 src1_sel:DWORD
	v_cmpx_gt_u32_e32 8, v4
; %bb.550:                              ;   in Loop: Header=BB226_10 Depth=1
	v_ffbh_u32_e32 v3, v0
	v_min_u32_e32 v3, 32, v3
	v_subrev_nc_u32_e32 v4, 28, v3
	v_sub_nc_u32_e32 v3, 29, v3
	v_lshlrev_b64 v[4:5], v4, v[0:1]
	v_and_b32_e32 v0, 7, v4
; %bb.551:                              ;   in Loop: Header=BB226_10 Depth=1
	s_or_b32 exec_lo, exec_lo, s18
	v_mov_b32_e32 v4, 24
	v_lshlrev_b32_e32 v0, 20, v0
	v_lshl_add_u32 v3, v3, 23, 0x3c000000
	v_mov_b32_e32 v14, v1
	v_lshlrev_b32_sdwa v2, v4, v2 dst_sel:DWORD dst_unused:UNUSED_PAD src0_sel:DWORD src1_sel:BYTE_3
	v_and_b32_e32 v2, 0x80000000, v2
	v_or3_b32 v15, v0, v2, v3
.LBB226_552:                            ;   in Loop: Header=BB226_10 Depth=1
	s_or_b32 exec_lo, exec_lo, s17
.LBB226_553:                            ;   in Loop: Header=BB226_10 Depth=1
	s_or_b32 exec_lo, exec_lo, s15
.LBB226_554:                            ;   in Loop: Header=BB226_10 Depth=1
	s_or_b32 exec_lo, exec_lo, s13
	flat_load_dword v2, v[36:37] offset:4
	v_mov_b32_e32 v50, 0
	v_mov_b32_e32 v28, 0
	;; [unrolled: 1-line block ×4, first 2 shown]
	s_waitcnt vmcnt(0) lgkmcnt(0)
	v_cmp_ne_u16_sdwa s5, v2, v1 src0_sel:BYTE_0 src1_sel:DWORD
	s_and_saveexec_b32 s13, s5
	s_cbranch_execz .LBB226_562
; %bb.555:                              ;   in Loop: Header=BB226_10 Depth=1
	v_bfrev_b32_e32 v28, 1
	v_mov_b32_e32 v29, 0
	v_cmp_ne_u16_sdwa s5, v2, v119 src0_sel:BYTE_0 src1_sel:DWORD
	s_and_saveexec_b32 s15, s5
	s_cbranch_execz .LBB226_561
; %bb.556:                              ;   in Loop: Header=BB226_10 Depth=1
	v_mov_b32_e32 v28, 0x7f800001
	v_and_b32_e32 v4, 0x7f, v2
	v_mov_b32_e32 v29, 0
	s_mov_b32 s17, exec_lo
	v_cmpx_ne_u32_e32 0x7f, v4
	s_cbranch_execz .LBB226_560
; %bb.557:                              ;   in Loop: Header=BB226_10 Depth=1
	v_and_b32_e32 v0, 7, v2
	v_lshrrev_b32_e32 v3, 3, v4
	s_mov_b32 s18, exec_lo
	v_cmpx_gt_u32_e32 8, v4
; %bb.558:                              ;   in Loop: Header=BB226_10 Depth=1
	v_ffbh_u32_e32 v3, v0
	v_min_u32_e32 v3, 32, v3
	v_subrev_nc_u32_e32 v4, 28, v3
	v_sub_nc_u32_e32 v3, 29, v3
	v_lshlrev_b64 v[4:5], v4, v[0:1]
	v_and_b32_e32 v0, 7, v4
; %bb.559:                              ;   in Loop: Header=BB226_10 Depth=1
	s_or_b32 exec_lo, exec_lo, s18
	v_lshlrev_b32_e32 v4, 24, v2
	v_lshlrev_b32_e32 v0, 20, v0
	v_lshl_add_u32 v3, v3, 23, 0x3c000000
	v_and_b32_e32 v4, 0x80000000, v4
	v_or3_b32 v0, v0, v4, v3
	v_mov_b32_e32 v29, v1
	v_mov_b32_e32 v28, v0
.LBB226_560:                            ;   in Loop: Header=BB226_10 Depth=1
	s_or_b32 exec_lo, exec_lo, s17
.LBB226_561:                            ;   in Loop: Header=BB226_10 Depth=1
	s_or_b32 exec_lo, exec_lo, s15
.LBB226_562:                            ;   in Loop: Header=BB226_10 Depth=1
	s_or_b32 exec_lo, exec_lo, s13
	v_cmp_ne_u16_sdwa s5, v2, v1 src0_sel:BYTE_1 src1_sel:DWORD
	s_and_saveexec_b32 s13, s5
	s_cbranch_execz .LBB226_570
; %bb.563:                              ;   in Loop: Header=BB226_10 Depth=1
	v_mov_b32_e32 v20, v1
	v_mov_b32_e32 v51, v21
	v_cmp_ne_u16_sdwa s5, v2, v119 src0_sel:BYTE_1 src1_sel:DWORD
	v_mov_b32_e32 v50, v20
	s_and_saveexec_b32 s15, s5
	s_cbranch_execz .LBB226_569
; %bb.564:                              ;   in Loop: Header=BB226_10 Depth=1
	v_mov_b32_e32 v0, 0xffff
	v_mov_b32_e32 v16, v1
	v_mov_b32_e32 v51, v17
	s_mov_b32 s17, exec_lo
	v_and_b32_sdwa v0, v0, v2 dst_sel:DWORD dst_unused:UNUSED_PAD src0_sel:DWORD src1_sel:BYTE_1
	v_mov_b32_e32 v50, v16
	v_and_b32_e32 v4, 0x7f, v0
	v_cmpx_ne_u32_e32 0x7f, v4
	s_cbranch_execz .LBB226_568
; %bb.565:                              ;   in Loop: Header=BB226_10 Depth=1
	v_and_b32_e32 v0, 7, v0
	v_lshrrev_b32_e32 v3, 3, v4
	s_mov_b32 s18, exec_lo
	v_cmpx_gt_u32_e32 8, v4
; %bb.566:                              ;   in Loop: Header=BB226_10 Depth=1
	v_ffbh_u32_e32 v3, v0
	v_min_u32_e32 v3, 32, v3
	v_subrev_nc_u32_e32 v4, 28, v3
	v_sub_nc_u32_e32 v3, 29, v3
	v_lshlrev_b64 v[4:5], v4, v[0:1]
	v_and_b32_e32 v0, 7, v4
; %bb.567:                              ;   in Loop: Header=BB226_10 Depth=1
	s_or_b32 exec_lo, exec_lo, s18
	v_lshlrev_b32_e32 v4, 16, v2
	v_lshlrev_b32_e32 v0, 20, v0
	v_lshl_add_u32 v3, v3, 23, 0x3c000000
	v_mov_b32_e32 v50, v1
	v_and_b32_e32 v4, 0x80000000, v4
	v_or3_b32 v51, v0, v4, v3
.LBB226_568:                            ;   in Loop: Header=BB226_10 Depth=1
	s_or_b32 exec_lo, exec_lo, s17
.LBB226_569:                            ;   in Loop: Header=BB226_10 Depth=1
	s_or_b32 exec_lo, exec_lo, s15
.LBB226_570:                            ;   in Loop: Header=BB226_10 Depth=1
	s_or_b32 exec_lo, exec_lo, s13
	v_mov_b32_e32 v0, 0xff
	v_mov_b32_e32 v30, 0
	;; [unrolled: 1-line block ×5, first 2 shown]
	v_and_b32_sdwa v0, v2, v0 dst_sel:DWORD dst_unused:UNUSED_PAD src0_sel:WORD_1 src1_sel:DWORD
	s_mov_b32 s13, exec_lo
	v_cmpx_ne_u16_e32 0, v0
	s_cbranch_execz .LBB226_578
; %bb.571:                              ;   in Loop: Header=BB226_10 Depth=1
	v_bfrev_b32_e32 v64, 1
	v_mov_b32_e32 v65, 0
	s_mov_b32 s15, exec_lo
	v_cmpx_ne_u16_e32 0x80, v0
	s_cbranch_execz .LBB226_577
; %bb.572:                              ;   in Loop: Header=BB226_10 Depth=1
	v_mov_b32_e32 v64, 0x7f800001
	v_bfe_u32 v4, v2, 16, 7
	v_mov_b32_e32 v65, 0
	s_mov_b32 s17, exec_lo
	v_cmpx_ne_u32_e32 0x7f, v4
	s_cbranch_execz .LBB226_576
; %bb.573:                              ;   in Loop: Header=BB226_10 Depth=1
	v_mov_b32_e32 v0, 7
	v_lshrrev_b32_e32 v3, 3, v4
	s_mov_b32 s18, exec_lo
	v_and_b32_sdwa v0, v2, v0 dst_sel:DWORD dst_unused:UNUSED_PAD src0_sel:WORD_1 src1_sel:DWORD
	v_cmpx_gt_u32_e32 8, v4
; %bb.574:                              ;   in Loop: Header=BB226_10 Depth=1
	v_ffbh_u32_e32 v3, v0
	v_min_u32_e32 v3, 32, v3
	v_subrev_nc_u32_e32 v4, 28, v3
	v_sub_nc_u32_e32 v3, 29, v3
	v_lshlrev_b64 v[4:5], v4, v[0:1]
	v_and_b32_e32 v0, 7, v4
; %bb.575:                              ;   in Loop: Header=BB226_10 Depth=1
	s_or_b32 exec_lo, exec_lo, s18
	v_mov_b32_e32 v4, 24
	v_lshlrev_b32_e32 v0, 20, v0
	v_lshl_add_u32 v3, v3, 23, 0x3c000000
	v_lshlrev_b32_sdwa v4, v4, v2 dst_sel:DWORD dst_unused:UNUSED_PAD src0_sel:DWORD src1_sel:WORD_1
	v_and_b32_e32 v4, 0x80000000, v4
	v_or3_b32 v0, v0, v4, v3
	v_mov_b32_e32 v65, v1
	v_mov_b32_e32 v64, v0
.LBB226_576:                            ;   in Loop: Header=BB226_10 Depth=1
	s_or_b32 exec_lo, exec_lo, s17
.LBB226_577:                            ;   in Loop: Header=BB226_10 Depth=1
	s_or_b32 exec_lo, exec_lo, s15
.LBB226_578:                            ;   in Loop: Header=BB226_10 Depth=1
	s_or_b32 exec_lo, exec_lo, s13
	s_mov_b32 s13, exec_lo
	v_cmpx_lt_u32_e32 0xffffff, v2
	s_cbranch_execz .LBB226_586
; %bb.579:                              ;   in Loop: Header=BB226_10 Depth=1
	v_mov_b32_e32 v20, v1
	v_mov_b32_e32 v31, v21
	v_cmp_ne_u32_sdwa s5, v2, v119 src0_sel:BYTE_3 src1_sel:DWORD
	v_mov_b32_e32 v30, v20
	s_and_saveexec_b32 s15, s5
	s_cbranch_execz .LBB226_585
; %bb.580:                              ;   in Loop: Header=BB226_10 Depth=1
	v_mov_b32_e32 v16, v1
	v_mov_b32_e32 v31, v17
	v_bfe_u32 v4, v2, 24, 7
	s_mov_b32 s17, exec_lo
	v_mov_b32_e32 v30, v16
	v_cmpx_ne_u32_e32 0x7f, v4
	s_cbranch_execz .LBB226_584
; %bb.581:                              ;   in Loop: Header=BB226_10 Depth=1
	v_mov_b32_e32 v0, 7
	v_lshrrev_b32_e32 v3, 3, v4
	s_mov_b32 s18, exec_lo
	v_and_b32_sdwa v0, v2, v0 dst_sel:DWORD dst_unused:UNUSED_PAD src0_sel:BYTE_3 src1_sel:DWORD
	v_cmpx_gt_u32_e32 8, v4
; %bb.582:                              ;   in Loop: Header=BB226_10 Depth=1
	v_ffbh_u32_e32 v3, v0
	v_min_u32_e32 v3, 32, v3
	v_subrev_nc_u32_e32 v4, 28, v3
	v_sub_nc_u32_e32 v3, 29, v3
	v_lshlrev_b64 v[4:5], v4, v[0:1]
	v_and_b32_e32 v0, 7, v4
; %bb.583:                              ;   in Loop: Header=BB226_10 Depth=1
	s_or_b32 exec_lo, exec_lo, s18
	v_mov_b32_e32 v4, 24
	v_lshlrev_b32_e32 v0, 20, v0
	v_lshl_add_u32 v3, v3, 23, 0x3c000000
	v_mov_b32_e32 v30, v1
	v_lshlrev_b32_sdwa v2, v4, v2 dst_sel:DWORD dst_unused:UNUSED_PAD src0_sel:DWORD src1_sel:BYTE_3
	v_and_b32_e32 v2, 0x80000000, v2
	v_or3_b32 v31, v0, v2, v3
.LBB226_584:                            ;   in Loop: Header=BB226_10 Depth=1
	s_or_b32 exec_lo, exec_lo, s17
.LBB226_585:                            ;   in Loop: Header=BB226_10 Depth=1
	s_or_b32 exec_lo, exec_lo, s15
.LBB226_586:                            ;   in Loop: Header=BB226_10 Depth=1
	s_or_b32 exec_lo, exec_lo, s13
	flat_load_dword v2, v[36:37] offset:8
	v_mov_b32_e32 v38, 0
	v_mov_b32_e32 v66, 0
	;; [unrolled: 1-line block ×4, first 2 shown]
	s_waitcnt vmcnt(0) lgkmcnt(0)
	v_cmp_ne_u16_sdwa s5, v2, v1 src0_sel:BYTE_0 src1_sel:DWORD
	s_and_saveexec_b32 s13, s5
	s_cbranch_execz .LBB226_594
; %bb.587:                              ;   in Loop: Header=BB226_10 Depth=1
	v_bfrev_b32_e32 v66, 1
	v_mov_b32_e32 v67, 0
	v_cmp_ne_u16_sdwa s5, v2, v119 src0_sel:BYTE_0 src1_sel:DWORD
	s_and_saveexec_b32 s15, s5
	s_cbranch_execz .LBB226_593
; %bb.588:                              ;   in Loop: Header=BB226_10 Depth=1
	v_mov_b32_e32 v66, 0x7f800001
	v_and_b32_e32 v4, 0x7f, v2
	v_mov_b32_e32 v67, 0
	s_mov_b32 s17, exec_lo
	v_cmpx_ne_u32_e32 0x7f, v4
	s_cbranch_execz .LBB226_592
; %bb.589:                              ;   in Loop: Header=BB226_10 Depth=1
	v_and_b32_e32 v0, 7, v2
	v_lshrrev_b32_e32 v3, 3, v4
	s_mov_b32 s18, exec_lo
	v_cmpx_gt_u32_e32 8, v4
; %bb.590:                              ;   in Loop: Header=BB226_10 Depth=1
	v_ffbh_u32_e32 v3, v0
	v_min_u32_e32 v3, 32, v3
	v_subrev_nc_u32_e32 v4, 28, v3
	v_sub_nc_u32_e32 v3, 29, v3
	v_lshlrev_b64 v[4:5], v4, v[0:1]
	v_and_b32_e32 v0, 7, v4
; %bb.591:                              ;   in Loop: Header=BB226_10 Depth=1
	s_or_b32 exec_lo, exec_lo, s18
	v_lshlrev_b32_e32 v4, 24, v2
	v_lshlrev_b32_e32 v0, 20, v0
	v_lshl_add_u32 v3, v3, 23, 0x3c000000
	v_and_b32_e32 v4, 0x80000000, v4
	v_or3_b32 v0, v0, v4, v3
	v_mov_b32_e32 v67, v1
	v_mov_b32_e32 v66, v0
.LBB226_592:                            ;   in Loop: Header=BB226_10 Depth=1
	s_or_b32 exec_lo, exec_lo, s17
.LBB226_593:                            ;   in Loop: Header=BB226_10 Depth=1
	s_or_b32 exec_lo, exec_lo, s15
.LBB226_594:                            ;   in Loop: Header=BB226_10 Depth=1
	s_or_b32 exec_lo, exec_lo, s13
	v_cmp_ne_u16_sdwa s5, v2, v1 src0_sel:BYTE_1 src1_sel:DWORD
	s_and_saveexec_b32 s13, s5
	s_cbranch_execz .LBB226_602
; %bb.595:                              ;   in Loop: Header=BB226_10 Depth=1
	v_mov_b32_e32 v20, v1
	v_mov_b32_e32 v39, v21
	v_cmp_ne_u16_sdwa s5, v2, v119 src0_sel:BYTE_1 src1_sel:DWORD
	v_mov_b32_e32 v38, v20
	s_and_saveexec_b32 s15, s5
	s_cbranch_execz .LBB226_601
; %bb.596:                              ;   in Loop: Header=BB226_10 Depth=1
	v_mov_b32_e32 v0, 0xffff
	v_mov_b32_e32 v16, v1
	;; [unrolled: 1-line block ×3, first 2 shown]
	s_mov_b32 s17, exec_lo
	v_and_b32_sdwa v0, v0, v2 dst_sel:DWORD dst_unused:UNUSED_PAD src0_sel:DWORD src1_sel:BYTE_1
	v_mov_b32_e32 v38, v16
	v_and_b32_e32 v4, 0x7f, v0
	v_cmpx_ne_u32_e32 0x7f, v4
	s_cbranch_execz .LBB226_600
; %bb.597:                              ;   in Loop: Header=BB226_10 Depth=1
	v_and_b32_e32 v0, 7, v0
	v_lshrrev_b32_e32 v3, 3, v4
	s_mov_b32 s18, exec_lo
	v_cmpx_gt_u32_e32 8, v4
; %bb.598:                              ;   in Loop: Header=BB226_10 Depth=1
	v_ffbh_u32_e32 v3, v0
	v_min_u32_e32 v3, 32, v3
	v_subrev_nc_u32_e32 v4, 28, v3
	v_sub_nc_u32_e32 v3, 29, v3
	v_lshlrev_b64 v[4:5], v4, v[0:1]
	v_and_b32_e32 v0, 7, v4
; %bb.599:                              ;   in Loop: Header=BB226_10 Depth=1
	s_or_b32 exec_lo, exec_lo, s18
	v_lshlrev_b32_e32 v4, 16, v2
	v_lshlrev_b32_e32 v0, 20, v0
	v_lshl_add_u32 v3, v3, 23, 0x3c000000
	v_mov_b32_e32 v38, v1
	v_and_b32_e32 v4, 0x80000000, v4
	v_or3_b32 v39, v0, v4, v3
.LBB226_600:                            ;   in Loop: Header=BB226_10 Depth=1
	s_or_b32 exec_lo, exec_lo, s17
.LBB226_601:                            ;   in Loop: Header=BB226_10 Depth=1
	s_or_b32 exec_lo, exec_lo, s15
.LBB226_602:                            ;   in Loop: Header=BB226_10 Depth=1
	s_or_b32 exec_lo, exec_lo, s13
	v_mov_b32_e32 v0, 0xff
	v_mov_b32_e32 v80, 0
	;; [unrolled: 1-line block ×5, first 2 shown]
	v_and_b32_sdwa v0, v2, v0 dst_sel:DWORD dst_unused:UNUSED_PAD src0_sel:WORD_1 src1_sel:DWORD
	s_mov_b32 s13, exec_lo
	v_cmpx_ne_u16_e32 0, v0
	s_cbranch_execz .LBB226_610
; %bb.603:                              ;   in Loop: Header=BB226_10 Depth=1
	v_bfrev_b32_e32 v52, 1
	v_mov_b32_e32 v53, 0
	s_mov_b32 s15, exec_lo
	v_cmpx_ne_u16_e32 0x80, v0
	s_cbranch_execz .LBB226_609
; %bb.604:                              ;   in Loop: Header=BB226_10 Depth=1
	v_mov_b32_e32 v52, 0x7f800001
	v_bfe_u32 v4, v2, 16, 7
	v_mov_b32_e32 v53, 0
	s_mov_b32 s17, exec_lo
	v_cmpx_ne_u32_e32 0x7f, v4
	s_cbranch_execz .LBB226_608
; %bb.605:                              ;   in Loop: Header=BB226_10 Depth=1
	v_mov_b32_e32 v0, 7
	v_lshrrev_b32_e32 v3, 3, v4
	s_mov_b32 s18, exec_lo
	v_and_b32_sdwa v0, v2, v0 dst_sel:DWORD dst_unused:UNUSED_PAD src0_sel:WORD_1 src1_sel:DWORD
	v_cmpx_gt_u32_e32 8, v4
; %bb.606:                              ;   in Loop: Header=BB226_10 Depth=1
	v_ffbh_u32_e32 v3, v0
	v_min_u32_e32 v3, 32, v3
	v_subrev_nc_u32_e32 v4, 28, v3
	v_sub_nc_u32_e32 v3, 29, v3
	v_lshlrev_b64 v[4:5], v4, v[0:1]
	v_and_b32_e32 v0, 7, v4
; %bb.607:                              ;   in Loop: Header=BB226_10 Depth=1
	s_or_b32 exec_lo, exec_lo, s18
	v_mov_b32_e32 v4, 24
	v_lshlrev_b32_e32 v0, 20, v0
	v_lshl_add_u32 v3, v3, 23, 0x3c000000
	v_lshlrev_b32_sdwa v4, v4, v2 dst_sel:DWORD dst_unused:UNUSED_PAD src0_sel:DWORD src1_sel:WORD_1
	v_and_b32_e32 v4, 0x80000000, v4
	v_or3_b32 v0, v0, v4, v3
	v_mov_b32_e32 v53, v1
	v_mov_b32_e32 v52, v0
.LBB226_608:                            ;   in Loop: Header=BB226_10 Depth=1
	s_or_b32 exec_lo, exec_lo, s17
.LBB226_609:                            ;   in Loop: Header=BB226_10 Depth=1
	s_or_b32 exec_lo, exec_lo, s15
.LBB226_610:                            ;   in Loop: Header=BB226_10 Depth=1
	s_or_b32 exec_lo, exec_lo, s13
	s_mov_b32 s13, exec_lo
	v_cmpx_lt_u32_e32 0xffffff, v2
	s_cbranch_execz .LBB226_618
; %bb.611:                              ;   in Loop: Header=BB226_10 Depth=1
	v_mov_b32_e32 v20, v1
	v_mov_b32_e32 v81, v21
	v_cmp_ne_u32_sdwa s5, v2, v119 src0_sel:BYTE_3 src1_sel:DWORD
	v_mov_b32_e32 v80, v20
	s_and_saveexec_b32 s15, s5
	s_cbranch_execz .LBB226_617
; %bb.612:                              ;   in Loop: Header=BB226_10 Depth=1
	v_mov_b32_e32 v16, v1
	v_mov_b32_e32 v81, v17
	v_bfe_u32 v4, v2, 24, 7
	s_mov_b32 s17, exec_lo
	v_mov_b32_e32 v80, v16
	v_cmpx_ne_u32_e32 0x7f, v4
	s_cbranch_execz .LBB226_616
; %bb.613:                              ;   in Loop: Header=BB226_10 Depth=1
	v_mov_b32_e32 v0, 7
	v_lshrrev_b32_e32 v3, 3, v4
	s_mov_b32 s18, exec_lo
	v_and_b32_sdwa v0, v2, v0 dst_sel:DWORD dst_unused:UNUSED_PAD src0_sel:BYTE_3 src1_sel:DWORD
	v_cmpx_gt_u32_e32 8, v4
; %bb.614:                              ;   in Loop: Header=BB226_10 Depth=1
	v_ffbh_u32_e32 v3, v0
	v_min_u32_e32 v3, 32, v3
	v_subrev_nc_u32_e32 v4, 28, v3
	v_sub_nc_u32_e32 v3, 29, v3
	v_lshlrev_b64 v[4:5], v4, v[0:1]
	v_and_b32_e32 v0, 7, v4
; %bb.615:                              ;   in Loop: Header=BB226_10 Depth=1
	s_or_b32 exec_lo, exec_lo, s18
	v_mov_b32_e32 v4, 24
	v_lshlrev_b32_e32 v0, 20, v0
	v_lshl_add_u32 v3, v3, 23, 0x3c000000
	v_mov_b32_e32 v80, v1
	v_lshlrev_b32_sdwa v2, v4, v2 dst_sel:DWORD dst_unused:UNUSED_PAD src0_sel:DWORD src1_sel:BYTE_3
	v_and_b32_e32 v2, 0x80000000, v2
	v_or3_b32 v81, v0, v2, v3
.LBB226_616:                            ;   in Loop: Header=BB226_10 Depth=1
	s_or_b32 exec_lo, exec_lo, s17
.LBB226_617:                            ;   in Loop: Header=BB226_10 Depth=1
	s_or_b32 exec_lo, exec_lo, s15
.LBB226_618:                            ;   in Loop: Header=BB226_10 Depth=1
	s_or_b32 exec_lo, exec_lo, s13
	flat_load_dword v2, v[36:37] offset:12
	v_mov_b32_e32 v54, 0
	v_mov_b32_e32 v82, 0
	;; [unrolled: 1-line block ×4, first 2 shown]
	s_waitcnt vmcnt(0) lgkmcnt(0)
	v_cmp_ne_u16_sdwa s5, v2, v1 src0_sel:BYTE_0 src1_sel:DWORD
	s_and_saveexec_b32 s13, s5
	s_cbranch_execz .LBB226_626
; %bb.619:                              ;   in Loop: Header=BB226_10 Depth=1
	v_bfrev_b32_e32 v82, 1
	v_mov_b32_e32 v83, 0
	v_cmp_ne_u16_sdwa s5, v2, v119 src0_sel:BYTE_0 src1_sel:DWORD
	s_and_saveexec_b32 s15, s5
	s_cbranch_execz .LBB226_625
; %bb.620:                              ;   in Loop: Header=BB226_10 Depth=1
	v_mov_b32_e32 v82, 0x7f800001
	v_and_b32_e32 v4, 0x7f, v2
	v_mov_b32_e32 v83, 0
	s_mov_b32 s17, exec_lo
	v_cmpx_ne_u32_e32 0x7f, v4
	s_cbranch_execz .LBB226_624
; %bb.621:                              ;   in Loop: Header=BB226_10 Depth=1
	v_and_b32_e32 v0, 7, v2
	v_lshrrev_b32_e32 v3, 3, v4
	s_mov_b32 s18, exec_lo
	v_cmpx_gt_u32_e32 8, v4
; %bb.622:                              ;   in Loop: Header=BB226_10 Depth=1
	v_ffbh_u32_e32 v3, v0
	v_min_u32_e32 v3, 32, v3
	v_subrev_nc_u32_e32 v4, 28, v3
	v_sub_nc_u32_e32 v3, 29, v3
	v_lshlrev_b64 v[4:5], v4, v[0:1]
	v_and_b32_e32 v0, 7, v4
; %bb.623:                              ;   in Loop: Header=BB226_10 Depth=1
	s_or_b32 exec_lo, exec_lo, s18
	v_lshlrev_b32_e32 v4, 24, v2
	v_lshlrev_b32_e32 v0, 20, v0
	v_lshl_add_u32 v3, v3, 23, 0x3c000000
	v_and_b32_e32 v4, 0x80000000, v4
	v_or3_b32 v0, v0, v4, v3
	v_mov_b32_e32 v83, v1
	v_mov_b32_e32 v82, v0
.LBB226_624:                            ;   in Loop: Header=BB226_10 Depth=1
	s_or_b32 exec_lo, exec_lo, s17
.LBB226_625:                            ;   in Loop: Header=BB226_10 Depth=1
	s_or_b32 exec_lo, exec_lo, s15
.LBB226_626:                            ;   in Loop: Header=BB226_10 Depth=1
	s_or_b32 exec_lo, exec_lo, s13
	v_cmp_ne_u16_sdwa s5, v2, v1 src0_sel:BYTE_1 src1_sel:DWORD
	s_and_saveexec_b32 s13, s5
	s_cbranch_execz .LBB226_634
; %bb.627:                              ;   in Loop: Header=BB226_10 Depth=1
	v_mov_b32_e32 v20, v1
	v_mov_b32_e32 v55, v21
	v_cmp_ne_u16_sdwa s5, v2, v119 src0_sel:BYTE_1 src1_sel:DWORD
	v_mov_b32_e32 v54, v20
	s_and_saveexec_b32 s15, s5
	s_cbranch_execz .LBB226_633
; %bb.628:                              ;   in Loop: Header=BB226_10 Depth=1
	v_mov_b32_e32 v0, 0xffff
	v_mov_b32_e32 v16, v1
	;; [unrolled: 1-line block ×3, first 2 shown]
	s_mov_b32 s17, exec_lo
	v_and_b32_sdwa v0, v0, v2 dst_sel:DWORD dst_unused:UNUSED_PAD src0_sel:DWORD src1_sel:BYTE_1
	v_mov_b32_e32 v54, v16
	v_and_b32_e32 v4, 0x7f, v0
	v_cmpx_ne_u32_e32 0x7f, v4
	s_cbranch_execz .LBB226_632
; %bb.629:                              ;   in Loop: Header=BB226_10 Depth=1
	v_and_b32_e32 v0, 7, v0
	v_lshrrev_b32_e32 v3, 3, v4
	s_mov_b32 s18, exec_lo
	v_cmpx_gt_u32_e32 8, v4
; %bb.630:                              ;   in Loop: Header=BB226_10 Depth=1
	v_ffbh_u32_e32 v3, v0
	v_min_u32_e32 v3, 32, v3
	v_subrev_nc_u32_e32 v4, 28, v3
	v_sub_nc_u32_e32 v3, 29, v3
	v_lshlrev_b64 v[4:5], v4, v[0:1]
	v_and_b32_e32 v0, 7, v4
; %bb.631:                              ;   in Loop: Header=BB226_10 Depth=1
	s_or_b32 exec_lo, exec_lo, s18
	v_lshlrev_b32_e32 v4, 16, v2
	v_lshlrev_b32_e32 v0, 20, v0
	v_lshl_add_u32 v3, v3, 23, 0x3c000000
	v_mov_b32_e32 v54, v1
	v_and_b32_e32 v4, 0x80000000, v4
	v_or3_b32 v55, v0, v4, v3
.LBB226_632:                            ;   in Loop: Header=BB226_10 Depth=1
	s_or_b32 exec_lo, exec_lo, s17
.LBB226_633:                            ;   in Loop: Header=BB226_10 Depth=1
	s_or_b32 exec_lo, exec_lo, s15
.LBB226_634:                            ;   in Loop: Header=BB226_10 Depth=1
	s_or_b32 exec_lo, exec_lo, s13
	v_mov_b32_e32 v0, 0xff
	v_mov_b32_e32 v96, 0
	;; [unrolled: 1-line block ×5, first 2 shown]
	v_and_b32_sdwa v0, v2, v0 dst_sel:DWORD dst_unused:UNUSED_PAD src0_sel:WORD_1 src1_sel:DWORD
	s_mov_b32 s13, exec_lo
	v_cmpx_ne_u16_e32 0, v0
	s_cbranch_execz .LBB226_642
; %bb.635:                              ;   in Loop: Header=BB226_10 Depth=1
	v_bfrev_b32_e32 v68, 1
	v_mov_b32_e32 v69, 0
	s_mov_b32 s15, exec_lo
	v_cmpx_ne_u16_e32 0x80, v0
	s_cbranch_execz .LBB226_641
; %bb.636:                              ;   in Loop: Header=BB226_10 Depth=1
	v_mov_b32_e32 v68, 0x7f800001
	v_bfe_u32 v4, v2, 16, 7
	v_mov_b32_e32 v69, 0
	s_mov_b32 s17, exec_lo
	v_cmpx_ne_u32_e32 0x7f, v4
	s_cbranch_execz .LBB226_640
; %bb.637:                              ;   in Loop: Header=BB226_10 Depth=1
	v_mov_b32_e32 v0, 7
	v_lshrrev_b32_e32 v3, 3, v4
	s_mov_b32 s18, exec_lo
	v_and_b32_sdwa v0, v2, v0 dst_sel:DWORD dst_unused:UNUSED_PAD src0_sel:WORD_1 src1_sel:DWORD
	v_cmpx_gt_u32_e32 8, v4
; %bb.638:                              ;   in Loop: Header=BB226_10 Depth=1
	v_ffbh_u32_e32 v3, v0
	v_min_u32_e32 v3, 32, v3
	v_subrev_nc_u32_e32 v4, 28, v3
	v_sub_nc_u32_e32 v3, 29, v3
	v_lshlrev_b64 v[4:5], v4, v[0:1]
	v_and_b32_e32 v0, 7, v4
; %bb.639:                              ;   in Loop: Header=BB226_10 Depth=1
	s_or_b32 exec_lo, exec_lo, s18
	v_mov_b32_e32 v4, 24
	v_lshlrev_b32_e32 v0, 20, v0
	v_lshl_add_u32 v3, v3, 23, 0x3c000000
	v_lshlrev_b32_sdwa v4, v4, v2 dst_sel:DWORD dst_unused:UNUSED_PAD src0_sel:DWORD src1_sel:WORD_1
	v_and_b32_e32 v4, 0x80000000, v4
	v_or3_b32 v0, v0, v4, v3
	v_mov_b32_e32 v69, v1
	v_mov_b32_e32 v68, v0
.LBB226_640:                            ;   in Loop: Header=BB226_10 Depth=1
	s_or_b32 exec_lo, exec_lo, s17
.LBB226_641:                            ;   in Loop: Header=BB226_10 Depth=1
	s_or_b32 exec_lo, exec_lo, s15
.LBB226_642:                            ;   in Loop: Header=BB226_10 Depth=1
	s_or_b32 exec_lo, exec_lo, s13
	s_mov_b32 s13, exec_lo
	v_cmpx_lt_u32_e32 0xffffff, v2
	s_cbranch_execz .LBB226_650
; %bb.643:                              ;   in Loop: Header=BB226_10 Depth=1
	v_mov_b32_e32 v20, v1
	v_mov_b32_e32 v97, v21
	v_cmp_ne_u32_sdwa s5, v2, v119 src0_sel:BYTE_3 src1_sel:DWORD
	v_mov_b32_e32 v96, v20
	s_and_saveexec_b32 s15, s5
	s_cbranch_execz .LBB226_649
; %bb.644:                              ;   in Loop: Header=BB226_10 Depth=1
	v_mov_b32_e32 v16, v1
	v_mov_b32_e32 v97, v17
	v_bfe_u32 v4, v2, 24, 7
	s_mov_b32 s17, exec_lo
	v_mov_b32_e32 v96, v16
	v_cmpx_ne_u32_e32 0x7f, v4
	s_cbranch_execz .LBB226_648
; %bb.645:                              ;   in Loop: Header=BB226_10 Depth=1
	v_mov_b32_e32 v0, 7
	v_lshrrev_b32_e32 v3, 3, v4
	s_mov_b32 s18, exec_lo
	v_and_b32_sdwa v0, v2, v0 dst_sel:DWORD dst_unused:UNUSED_PAD src0_sel:BYTE_3 src1_sel:DWORD
	v_cmpx_gt_u32_e32 8, v4
; %bb.646:                              ;   in Loop: Header=BB226_10 Depth=1
	v_ffbh_u32_e32 v3, v0
	v_min_u32_e32 v3, 32, v3
	v_subrev_nc_u32_e32 v4, 28, v3
	v_sub_nc_u32_e32 v3, 29, v3
	v_lshlrev_b64 v[4:5], v4, v[0:1]
	v_and_b32_e32 v0, 7, v4
; %bb.647:                              ;   in Loop: Header=BB226_10 Depth=1
	s_or_b32 exec_lo, exec_lo, s18
	v_mov_b32_e32 v4, 24
	v_lshlrev_b32_e32 v0, 20, v0
	v_lshl_add_u32 v3, v3, 23, 0x3c000000
	v_mov_b32_e32 v96, v1
	v_lshlrev_b32_sdwa v2, v4, v2 dst_sel:DWORD dst_unused:UNUSED_PAD src0_sel:DWORD src1_sel:BYTE_3
	v_and_b32_e32 v2, 0x80000000, v2
	v_or3_b32 v97, v0, v2, v3
.LBB226_648:                            ;   in Loop: Header=BB226_10 Depth=1
	s_or_b32 exec_lo, exec_lo, s17
.LBB226_649:                            ;   in Loop: Header=BB226_10 Depth=1
	s_or_b32 exec_lo, exec_lo, s15
.LBB226_650:                            ;   in Loop: Header=BB226_10 Depth=1
	s_or_b32 exec_lo, exec_lo, s13
	flat_load_dword v2, v[36:37] offset:512
	v_mov_b32_e32 v98, 0
	v_mov_b32_e32 v70, 0
	;; [unrolled: 1-line block ×4, first 2 shown]
	s_waitcnt vmcnt(0) lgkmcnt(0)
	v_cmp_ne_u16_sdwa s5, v2, v1 src0_sel:BYTE_0 src1_sel:DWORD
	s_and_saveexec_b32 s13, s5
	s_cbranch_execz .LBB226_658
; %bb.651:                              ;   in Loop: Header=BB226_10 Depth=1
	v_bfrev_b32_e32 v70, 1
	v_mov_b32_e32 v71, 0
	v_cmp_ne_u16_sdwa s5, v2, v119 src0_sel:BYTE_0 src1_sel:DWORD
	s_and_saveexec_b32 s15, s5
	s_cbranch_execz .LBB226_657
; %bb.652:                              ;   in Loop: Header=BB226_10 Depth=1
	v_mov_b32_e32 v70, 0x7f800001
	v_and_b32_e32 v4, 0x7f, v2
	v_mov_b32_e32 v71, 0
	s_mov_b32 s17, exec_lo
	v_cmpx_ne_u32_e32 0x7f, v4
	s_cbranch_execz .LBB226_656
; %bb.653:                              ;   in Loop: Header=BB226_10 Depth=1
	v_and_b32_e32 v0, 7, v2
	v_lshrrev_b32_e32 v3, 3, v4
	s_mov_b32 s18, exec_lo
	v_cmpx_gt_u32_e32 8, v4
; %bb.654:                              ;   in Loop: Header=BB226_10 Depth=1
	v_ffbh_u32_e32 v3, v0
	v_min_u32_e32 v3, 32, v3
	v_subrev_nc_u32_e32 v4, 28, v3
	v_sub_nc_u32_e32 v3, 29, v3
	v_lshlrev_b64 v[4:5], v4, v[0:1]
	v_and_b32_e32 v0, 7, v4
; %bb.655:                              ;   in Loop: Header=BB226_10 Depth=1
	s_or_b32 exec_lo, exec_lo, s18
	v_lshlrev_b32_e32 v4, 24, v2
	v_lshlrev_b32_e32 v0, 20, v0
	v_lshl_add_u32 v3, v3, 23, 0x3c000000
	v_and_b32_e32 v4, 0x80000000, v4
	v_or3_b32 v0, v0, v4, v3
	v_mov_b32_e32 v71, v1
	v_mov_b32_e32 v70, v0
.LBB226_656:                            ;   in Loop: Header=BB226_10 Depth=1
	s_or_b32 exec_lo, exec_lo, s17
.LBB226_657:                            ;   in Loop: Header=BB226_10 Depth=1
	s_or_b32 exec_lo, exec_lo, s15
.LBB226_658:                            ;   in Loop: Header=BB226_10 Depth=1
	s_or_b32 exec_lo, exec_lo, s13
	v_cmp_ne_u16_sdwa s5, v2, v1 src0_sel:BYTE_1 src1_sel:DWORD
	s_and_saveexec_b32 s13, s5
	s_cbranch_execz .LBB226_666
; %bb.659:                              ;   in Loop: Header=BB226_10 Depth=1
	v_mov_b32_e32 v20, v1
	v_mov_b32_e32 v99, v21
	v_cmp_ne_u16_sdwa s5, v2, v119 src0_sel:BYTE_1 src1_sel:DWORD
	v_mov_b32_e32 v98, v20
	s_and_saveexec_b32 s15, s5
	s_cbranch_execz .LBB226_665
; %bb.660:                              ;   in Loop: Header=BB226_10 Depth=1
	v_mov_b32_e32 v0, 0xffff
	v_mov_b32_e32 v16, v1
	;; [unrolled: 1-line block ×3, first 2 shown]
	s_mov_b32 s17, exec_lo
	v_and_b32_sdwa v0, v0, v2 dst_sel:DWORD dst_unused:UNUSED_PAD src0_sel:DWORD src1_sel:BYTE_1
	v_mov_b32_e32 v98, v16
	v_and_b32_e32 v4, 0x7f, v0
	v_cmpx_ne_u32_e32 0x7f, v4
	s_cbranch_execz .LBB226_664
; %bb.661:                              ;   in Loop: Header=BB226_10 Depth=1
	v_and_b32_e32 v0, 7, v0
	v_lshrrev_b32_e32 v3, 3, v4
	s_mov_b32 s18, exec_lo
	v_cmpx_gt_u32_e32 8, v4
; %bb.662:                              ;   in Loop: Header=BB226_10 Depth=1
	v_ffbh_u32_e32 v3, v0
	v_min_u32_e32 v3, 32, v3
	v_subrev_nc_u32_e32 v4, 28, v3
	v_sub_nc_u32_e32 v3, 29, v3
	v_lshlrev_b64 v[4:5], v4, v[0:1]
	v_and_b32_e32 v0, 7, v4
; %bb.663:                              ;   in Loop: Header=BB226_10 Depth=1
	s_or_b32 exec_lo, exec_lo, s18
	v_lshlrev_b32_e32 v4, 16, v2
	v_lshlrev_b32_e32 v0, 20, v0
	v_lshl_add_u32 v3, v3, 23, 0x3c000000
	v_mov_b32_e32 v98, v1
	v_and_b32_e32 v4, 0x80000000, v4
	v_or3_b32 v99, v0, v4, v3
.LBB226_664:                            ;   in Loop: Header=BB226_10 Depth=1
	s_or_b32 exec_lo, exec_lo, s17
.LBB226_665:                            ;   in Loop: Header=BB226_10 Depth=1
	s_or_b32 exec_lo, exec_lo, s15
.LBB226_666:                            ;   in Loop: Header=BB226_10 Depth=1
	s_or_b32 exec_lo, exec_lo, s13
	v_mov_b32_e32 v0, 0xff
	v_mov_b32_e32 v112, 0
	;; [unrolled: 1-line block ×5, first 2 shown]
	v_and_b32_sdwa v0, v2, v0 dst_sel:DWORD dst_unused:UNUSED_PAD src0_sel:WORD_1 src1_sel:DWORD
	s_mov_b32 s13, exec_lo
	v_cmpx_ne_u16_e32 0, v0
	s_cbranch_execz .LBB226_674
; %bb.667:                              ;   in Loop: Header=BB226_10 Depth=1
	v_bfrev_b32_e32 v84, 1
	v_mov_b32_e32 v85, 0
	s_mov_b32 s15, exec_lo
	v_cmpx_ne_u16_e32 0x80, v0
	s_cbranch_execz .LBB226_673
; %bb.668:                              ;   in Loop: Header=BB226_10 Depth=1
	v_mov_b32_e32 v84, 0x7f800001
	v_bfe_u32 v4, v2, 16, 7
	v_mov_b32_e32 v85, 0
	s_mov_b32 s17, exec_lo
	v_cmpx_ne_u32_e32 0x7f, v4
	s_cbranch_execz .LBB226_672
; %bb.669:                              ;   in Loop: Header=BB226_10 Depth=1
	v_mov_b32_e32 v0, 7
	v_lshrrev_b32_e32 v3, 3, v4
	s_mov_b32 s18, exec_lo
	v_and_b32_sdwa v0, v2, v0 dst_sel:DWORD dst_unused:UNUSED_PAD src0_sel:WORD_1 src1_sel:DWORD
	v_cmpx_gt_u32_e32 8, v4
; %bb.670:                              ;   in Loop: Header=BB226_10 Depth=1
	v_ffbh_u32_e32 v3, v0
	v_min_u32_e32 v3, 32, v3
	v_subrev_nc_u32_e32 v4, 28, v3
	v_sub_nc_u32_e32 v3, 29, v3
	v_lshlrev_b64 v[4:5], v4, v[0:1]
	v_and_b32_e32 v0, 7, v4
; %bb.671:                              ;   in Loop: Header=BB226_10 Depth=1
	s_or_b32 exec_lo, exec_lo, s18
	v_mov_b32_e32 v4, 24
	v_lshlrev_b32_e32 v0, 20, v0
	v_lshl_add_u32 v3, v3, 23, 0x3c000000
	v_lshlrev_b32_sdwa v4, v4, v2 dst_sel:DWORD dst_unused:UNUSED_PAD src0_sel:DWORD src1_sel:WORD_1
	v_and_b32_e32 v4, 0x80000000, v4
	v_or3_b32 v0, v0, v4, v3
	v_mov_b32_e32 v85, v1
	v_mov_b32_e32 v84, v0
.LBB226_672:                            ;   in Loop: Header=BB226_10 Depth=1
	s_or_b32 exec_lo, exec_lo, s17
.LBB226_673:                            ;   in Loop: Header=BB226_10 Depth=1
	s_or_b32 exec_lo, exec_lo, s15
.LBB226_674:                            ;   in Loop: Header=BB226_10 Depth=1
	s_or_b32 exec_lo, exec_lo, s13
	s_mov_b32 s13, exec_lo
	v_cmpx_lt_u32_e32 0xffffff, v2
	s_cbranch_execz .LBB226_682
; %bb.675:                              ;   in Loop: Header=BB226_10 Depth=1
	v_mov_b32_e32 v20, v1
	v_mov_b32_e32 v113, v21
	v_cmp_ne_u32_sdwa s5, v2, v119 src0_sel:BYTE_3 src1_sel:DWORD
	v_mov_b32_e32 v112, v20
	s_and_saveexec_b32 s15, s5
	s_cbranch_execz .LBB226_681
; %bb.676:                              ;   in Loop: Header=BB226_10 Depth=1
	v_mov_b32_e32 v16, v1
	v_mov_b32_e32 v113, v17
	v_bfe_u32 v4, v2, 24, 7
	s_mov_b32 s17, exec_lo
	v_mov_b32_e32 v112, v16
	v_cmpx_ne_u32_e32 0x7f, v4
	s_cbranch_execz .LBB226_680
; %bb.677:                              ;   in Loop: Header=BB226_10 Depth=1
	v_mov_b32_e32 v0, 7
	v_lshrrev_b32_e32 v3, 3, v4
	s_mov_b32 s18, exec_lo
	v_and_b32_sdwa v0, v2, v0 dst_sel:DWORD dst_unused:UNUSED_PAD src0_sel:BYTE_3 src1_sel:DWORD
	v_cmpx_gt_u32_e32 8, v4
; %bb.678:                              ;   in Loop: Header=BB226_10 Depth=1
	v_ffbh_u32_e32 v3, v0
	v_min_u32_e32 v3, 32, v3
	v_subrev_nc_u32_e32 v4, 28, v3
	v_sub_nc_u32_e32 v3, 29, v3
	v_lshlrev_b64 v[4:5], v4, v[0:1]
	v_and_b32_e32 v0, 7, v4
; %bb.679:                              ;   in Loop: Header=BB226_10 Depth=1
	s_or_b32 exec_lo, exec_lo, s18
	v_mov_b32_e32 v4, 24
	v_lshlrev_b32_e32 v0, 20, v0
	v_lshl_add_u32 v3, v3, 23, 0x3c000000
	v_mov_b32_e32 v112, v1
	v_lshlrev_b32_sdwa v2, v4, v2 dst_sel:DWORD dst_unused:UNUSED_PAD src0_sel:DWORD src1_sel:BYTE_3
	v_and_b32_e32 v2, 0x80000000, v2
	v_or3_b32 v113, v0, v2, v3
.LBB226_680:                            ;   in Loop: Header=BB226_10 Depth=1
	s_or_b32 exec_lo, exec_lo, s17
.LBB226_681:                            ;   in Loop: Header=BB226_10 Depth=1
	s_or_b32 exec_lo, exec_lo, s15
.LBB226_682:                            ;   in Loop: Header=BB226_10 Depth=1
	s_or_b32 exec_lo, exec_lo, s13
	flat_load_dword v2, v[36:37] offset:516
	v_mov_b32_e32 v114, 0
	v_mov_b32_e32 v86, 0
	;; [unrolled: 1-line block ×4, first 2 shown]
	s_waitcnt vmcnt(0) lgkmcnt(0)
	v_cmp_ne_u16_sdwa s5, v2, v1 src0_sel:BYTE_0 src1_sel:DWORD
	s_and_saveexec_b32 s13, s5
	s_cbranch_execz .LBB226_690
; %bb.683:                              ;   in Loop: Header=BB226_10 Depth=1
	v_bfrev_b32_e32 v86, 1
	v_mov_b32_e32 v87, 0
	v_cmp_ne_u16_sdwa s5, v2, v119 src0_sel:BYTE_0 src1_sel:DWORD
	s_and_saveexec_b32 s15, s5
	s_cbranch_execz .LBB226_689
; %bb.684:                              ;   in Loop: Header=BB226_10 Depth=1
	v_mov_b32_e32 v86, 0x7f800001
	v_and_b32_e32 v4, 0x7f, v2
	v_mov_b32_e32 v87, 0
	s_mov_b32 s17, exec_lo
	v_cmpx_ne_u32_e32 0x7f, v4
	s_cbranch_execz .LBB226_688
; %bb.685:                              ;   in Loop: Header=BB226_10 Depth=1
	v_and_b32_e32 v0, 7, v2
	v_lshrrev_b32_e32 v3, 3, v4
	s_mov_b32 s18, exec_lo
	v_cmpx_gt_u32_e32 8, v4
; %bb.686:                              ;   in Loop: Header=BB226_10 Depth=1
	v_ffbh_u32_e32 v3, v0
	v_min_u32_e32 v3, 32, v3
	v_subrev_nc_u32_e32 v4, 28, v3
	v_sub_nc_u32_e32 v3, 29, v3
	v_lshlrev_b64 v[4:5], v4, v[0:1]
	v_and_b32_e32 v0, 7, v4
; %bb.687:                              ;   in Loop: Header=BB226_10 Depth=1
	s_or_b32 exec_lo, exec_lo, s18
	v_lshlrev_b32_e32 v4, 24, v2
	v_lshlrev_b32_e32 v0, 20, v0
	v_lshl_add_u32 v3, v3, 23, 0x3c000000
	v_and_b32_e32 v4, 0x80000000, v4
	v_or3_b32 v0, v0, v4, v3
	v_mov_b32_e32 v87, v1
	v_mov_b32_e32 v86, v0
.LBB226_688:                            ;   in Loop: Header=BB226_10 Depth=1
	s_or_b32 exec_lo, exec_lo, s17
.LBB226_689:                            ;   in Loop: Header=BB226_10 Depth=1
	s_or_b32 exec_lo, exec_lo, s15
.LBB226_690:                            ;   in Loop: Header=BB226_10 Depth=1
	s_or_b32 exec_lo, exec_lo, s13
	v_cmp_ne_u16_sdwa s5, v2, v1 src0_sel:BYTE_1 src1_sel:DWORD
	s_and_saveexec_b32 s13, s5
	s_cbranch_execz .LBB226_698
; %bb.691:                              ;   in Loop: Header=BB226_10 Depth=1
	v_mov_b32_e32 v20, v1
	v_mov_b32_e32 v115, v21
	v_cmp_ne_u16_sdwa s5, v2, v119 src0_sel:BYTE_1 src1_sel:DWORD
	v_mov_b32_e32 v114, v20
	s_and_saveexec_b32 s15, s5
	s_cbranch_execz .LBB226_697
; %bb.692:                              ;   in Loop: Header=BB226_10 Depth=1
	v_mov_b32_e32 v0, 0xffff
	v_mov_b32_e32 v16, v1
	;; [unrolled: 1-line block ×3, first 2 shown]
	s_mov_b32 s17, exec_lo
	v_and_b32_sdwa v0, v0, v2 dst_sel:DWORD dst_unused:UNUSED_PAD src0_sel:DWORD src1_sel:BYTE_1
	v_mov_b32_e32 v114, v16
	v_and_b32_e32 v4, 0x7f, v0
	v_cmpx_ne_u32_e32 0x7f, v4
	s_cbranch_execz .LBB226_696
; %bb.693:                              ;   in Loop: Header=BB226_10 Depth=1
	v_and_b32_e32 v0, 7, v0
	v_lshrrev_b32_e32 v3, 3, v4
	s_mov_b32 s18, exec_lo
	v_cmpx_gt_u32_e32 8, v4
; %bb.694:                              ;   in Loop: Header=BB226_10 Depth=1
	v_ffbh_u32_e32 v3, v0
	v_min_u32_e32 v3, 32, v3
	v_subrev_nc_u32_e32 v4, 28, v3
	v_sub_nc_u32_e32 v3, 29, v3
	v_lshlrev_b64 v[4:5], v4, v[0:1]
	v_and_b32_e32 v0, 7, v4
; %bb.695:                              ;   in Loop: Header=BB226_10 Depth=1
	s_or_b32 exec_lo, exec_lo, s18
	v_lshlrev_b32_e32 v4, 16, v2
	v_lshlrev_b32_e32 v0, 20, v0
	v_lshl_add_u32 v3, v3, 23, 0x3c000000
	v_mov_b32_e32 v114, v1
	v_and_b32_e32 v4, 0x80000000, v4
	v_or3_b32 v115, v0, v4, v3
.LBB226_696:                            ;   in Loop: Header=BB226_10 Depth=1
	s_or_b32 exec_lo, exec_lo, s17
.LBB226_697:                            ;   in Loop: Header=BB226_10 Depth=1
	s_or_b32 exec_lo, exec_lo, s15
.LBB226_698:                            ;   in Loop: Header=BB226_10 Depth=1
	s_or_b32 exec_lo, exec_lo, s13
	v_mov_b32_e32 v0, 0xff
	v_mov_b32_e32 v40, 0
	;; [unrolled: 1-line block ×5, first 2 shown]
	v_and_b32_sdwa v0, v2, v0 dst_sel:DWORD dst_unused:UNUSED_PAD src0_sel:WORD_1 src1_sel:DWORD
	s_mov_b32 s13, exec_lo
	v_cmpx_ne_u16_e32 0, v0
	s_cbranch_execz .LBB226_706
; %bb.699:                              ;   in Loop: Header=BB226_10 Depth=1
	v_bfrev_b32_e32 v100, 1
	v_mov_b32_e32 v101, 0
	s_mov_b32 s15, exec_lo
	v_cmpx_ne_u16_e32 0x80, v0
	s_cbranch_execz .LBB226_705
; %bb.700:                              ;   in Loop: Header=BB226_10 Depth=1
	v_mov_b32_e32 v100, 0x7f800001
	v_bfe_u32 v4, v2, 16, 7
	v_mov_b32_e32 v101, 0
	s_mov_b32 s17, exec_lo
	v_cmpx_ne_u32_e32 0x7f, v4
	s_cbranch_execz .LBB226_704
; %bb.701:                              ;   in Loop: Header=BB226_10 Depth=1
	v_mov_b32_e32 v0, 7
	v_lshrrev_b32_e32 v3, 3, v4
	s_mov_b32 s18, exec_lo
	v_and_b32_sdwa v0, v2, v0 dst_sel:DWORD dst_unused:UNUSED_PAD src0_sel:WORD_1 src1_sel:DWORD
	v_cmpx_gt_u32_e32 8, v4
; %bb.702:                              ;   in Loop: Header=BB226_10 Depth=1
	v_ffbh_u32_e32 v3, v0
	v_min_u32_e32 v3, 32, v3
	v_subrev_nc_u32_e32 v4, 28, v3
	v_sub_nc_u32_e32 v3, 29, v3
	v_lshlrev_b64 v[4:5], v4, v[0:1]
	v_and_b32_e32 v0, 7, v4
; %bb.703:                              ;   in Loop: Header=BB226_10 Depth=1
	s_or_b32 exec_lo, exec_lo, s18
	v_mov_b32_e32 v4, 24
	v_lshlrev_b32_e32 v0, 20, v0
	v_lshl_add_u32 v3, v3, 23, 0x3c000000
	v_lshlrev_b32_sdwa v4, v4, v2 dst_sel:DWORD dst_unused:UNUSED_PAD src0_sel:DWORD src1_sel:WORD_1
	v_and_b32_e32 v4, 0x80000000, v4
	v_or3_b32 v0, v0, v4, v3
	v_mov_b32_e32 v101, v1
	v_mov_b32_e32 v100, v0
.LBB226_704:                            ;   in Loop: Header=BB226_10 Depth=1
	s_or_b32 exec_lo, exec_lo, s17
.LBB226_705:                            ;   in Loop: Header=BB226_10 Depth=1
	s_or_b32 exec_lo, exec_lo, s15
.LBB226_706:                            ;   in Loop: Header=BB226_10 Depth=1
	s_or_b32 exec_lo, exec_lo, s13
	s_mov_b32 s13, exec_lo
	v_cmpx_lt_u32_e32 0xffffff, v2
	s_cbranch_execz .LBB226_714
; %bb.707:                              ;   in Loop: Header=BB226_10 Depth=1
	v_mov_b32_e32 v20, v1
	v_mov_b32_e32 v41, v21
	v_cmp_ne_u32_sdwa s5, v2, v119 src0_sel:BYTE_3 src1_sel:DWORD
	v_mov_b32_e32 v40, v20
	s_and_saveexec_b32 s15, s5
	s_cbranch_execz .LBB226_713
; %bb.708:                              ;   in Loop: Header=BB226_10 Depth=1
	v_mov_b32_e32 v16, v1
	v_mov_b32_e32 v41, v17
	v_bfe_u32 v4, v2, 24, 7
	s_mov_b32 s17, exec_lo
	v_mov_b32_e32 v40, v16
	v_cmpx_ne_u32_e32 0x7f, v4
	s_cbranch_execz .LBB226_712
; %bb.709:                              ;   in Loop: Header=BB226_10 Depth=1
	v_mov_b32_e32 v0, 7
	v_lshrrev_b32_e32 v3, 3, v4
	s_mov_b32 s18, exec_lo
	v_and_b32_sdwa v0, v2, v0 dst_sel:DWORD dst_unused:UNUSED_PAD src0_sel:BYTE_3 src1_sel:DWORD
	v_cmpx_gt_u32_e32 8, v4
; %bb.710:                              ;   in Loop: Header=BB226_10 Depth=1
	v_ffbh_u32_e32 v3, v0
	v_min_u32_e32 v3, 32, v3
	v_subrev_nc_u32_e32 v4, 28, v3
	v_sub_nc_u32_e32 v3, 29, v3
	v_lshlrev_b64 v[4:5], v4, v[0:1]
	v_and_b32_e32 v0, 7, v4
; %bb.711:                              ;   in Loop: Header=BB226_10 Depth=1
	s_or_b32 exec_lo, exec_lo, s18
	v_mov_b32_e32 v4, 24
	v_lshlrev_b32_e32 v0, 20, v0
	v_lshl_add_u32 v3, v3, 23, 0x3c000000
	v_mov_b32_e32 v40, v1
	v_lshlrev_b32_sdwa v2, v4, v2 dst_sel:DWORD dst_unused:UNUSED_PAD src0_sel:DWORD src1_sel:BYTE_3
	v_and_b32_e32 v2, 0x80000000, v2
	v_or3_b32 v41, v0, v2, v3
.LBB226_712:                            ;   in Loop: Header=BB226_10 Depth=1
	s_or_b32 exec_lo, exec_lo, s17
.LBB226_713:                            ;   in Loop: Header=BB226_10 Depth=1
	s_or_b32 exec_lo, exec_lo, s15
.LBB226_714:                            ;   in Loop: Header=BB226_10 Depth=1
	s_or_b32 exec_lo, exec_lo, s13
	flat_load_dword v2, v[36:37] offset:520
	v_mov_b32_e32 v42, 0
	v_mov_b32_e32 v102, 0
	;; [unrolled: 1-line block ×4, first 2 shown]
	s_waitcnt vmcnt(0) lgkmcnt(0)
	v_cmp_ne_u16_sdwa s5, v2, v1 src0_sel:BYTE_0 src1_sel:DWORD
	s_and_saveexec_b32 s13, s5
	s_cbranch_execz .LBB226_722
; %bb.715:                              ;   in Loop: Header=BB226_10 Depth=1
	v_bfrev_b32_e32 v102, 1
	v_mov_b32_e32 v103, 0
	v_cmp_ne_u16_sdwa s5, v2, v119 src0_sel:BYTE_0 src1_sel:DWORD
	s_and_saveexec_b32 s15, s5
	s_cbranch_execz .LBB226_721
; %bb.716:                              ;   in Loop: Header=BB226_10 Depth=1
	v_mov_b32_e32 v102, 0x7f800001
	v_and_b32_e32 v4, 0x7f, v2
	v_mov_b32_e32 v103, 0
	s_mov_b32 s17, exec_lo
	v_cmpx_ne_u32_e32 0x7f, v4
	s_cbranch_execz .LBB226_720
; %bb.717:                              ;   in Loop: Header=BB226_10 Depth=1
	v_and_b32_e32 v0, 7, v2
	v_lshrrev_b32_e32 v3, 3, v4
	s_mov_b32 s18, exec_lo
	v_cmpx_gt_u32_e32 8, v4
; %bb.718:                              ;   in Loop: Header=BB226_10 Depth=1
	v_ffbh_u32_e32 v3, v0
	v_min_u32_e32 v3, 32, v3
	v_subrev_nc_u32_e32 v4, 28, v3
	v_sub_nc_u32_e32 v3, 29, v3
	v_lshlrev_b64 v[4:5], v4, v[0:1]
	v_and_b32_e32 v0, 7, v4
; %bb.719:                              ;   in Loop: Header=BB226_10 Depth=1
	s_or_b32 exec_lo, exec_lo, s18
	v_lshlrev_b32_e32 v4, 24, v2
	v_lshlrev_b32_e32 v0, 20, v0
	v_lshl_add_u32 v3, v3, 23, 0x3c000000
	v_and_b32_e32 v4, 0x80000000, v4
	v_or3_b32 v0, v0, v4, v3
	v_mov_b32_e32 v103, v1
	v_mov_b32_e32 v102, v0
.LBB226_720:                            ;   in Loop: Header=BB226_10 Depth=1
	s_or_b32 exec_lo, exec_lo, s17
.LBB226_721:                            ;   in Loop: Header=BB226_10 Depth=1
	s_or_b32 exec_lo, exec_lo, s15
.LBB226_722:                            ;   in Loop: Header=BB226_10 Depth=1
	s_or_b32 exec_lo, exec_lo, s13
	v_cmp_ne_u16_sdwa s5, v2, v1 src0_sel:BYTE_1 src1_sel:DWORD
	s_and_saveexec_b32 s13, s5
	s_cbranch_execz .LBB226_730
; %bb.723:                              ;   in Loop: Header=BB226_10 Depth=1
	v_mov_b32_e32 v20, v1
	v_mov_b32_e32 v43, v21
	v_cmp_ne_u16_sdwa s5, v2, v119 src0_sel:BYTE_1 src1_sel:DWORD
	v_mov_b32_e32 v42, v20
	s_and_saveexec_b32 s15, s5
	s_cbranch_execz .LBB226_729
; %bb.724:                              ;   in Loop: Header=BB226_10 Depth=1
	v_mov_b32_e32 v0, 0xffff
	v_mov_b32_e32 v16, v1
	v_mov_b32_e32 v43, v17
	s_mov_b32 s17, exec_lo
	v_and_b32_sdwa v0, v0, v2 dst_sel:DWORD dst_unused:UNUSED_PAD src0_sel:DWORD src1_sel:BYTE_1
	v_mov_b32_e32 v42, v16
	v_and_b32_e32 v4, 0x7f, v0
	v_cmpx_ne_u32_e32 0x7f, v4
	s_cbranch_execz .LBB226_728
; %bb.725:                              ;   in Loop: Header=BB226_10 Depth=1
	v_and_b32_e32 v0, 7, v0
	v_lshrrev_b32_e32 v3, 3, v4
	s_mov_b32 s18, exec_lo
	v_cmpx_gt_u32_e32 8, v4
; %bb.726:                              ;   in Loop: Header=BB226_10 Depth=1
	v_ffbh_u32_e32 v3, v0
	v_min_u32_e32 v3, 32, v3
	v_subrev_nc_u32_e32 v4, 28, v3
	v_sub_nc_u32_e32 v3, 29, v3
	v_lshlrev_b64 v[4:5], v4, v[0:1]
	v_and_b32_e32 v0, 7, v4
; %bb.727:                              ;   in Loop: Header=BB226_10 Depth=1
	s_or_b32 exec_lo, exec_lo, s18
	v_lshlrev_b32_e32 v4, 16, v2
	v_lshlrev_b32_e32 v0, 20, v0
	v_lshl_add_u32 v3, v3, 23, 0x3c000000
	v_mov_b32_e32 v42, v1
	v_and_b32_e32 v4, 0x80000000, v4
	v_or3_b32 v43, v0, v4, v3
.LBB226_728:                            ;   in Loop: Header=BB226_10 Depth=1
	s_or_b32 exec_lo, exec_lo, s17
.LBB226_729:                            ;   in Loop: Header=BB226_10 Depth=1
	s_or_b32 exec_lo, exec_lo, s15
.LBB226_730:                            ;   in Loop: Header=BB226_10 Depth=1
	s_or_b32 exec_lo, exec_lo, s13
	v_mov_b32_e32 v0, 0xff
	v_mov_b32_e32 v116, 0
	;; [unrolled: 1-line block ×5, first 2 shown]
	v_and_b32_sdwa v0, v2, v0 dst_sel:DWORD dst_unused:UNUSED_PAD src0_sel:WORD_1 src1_sel:DWORD
	s_mov_b32 s13, exec_lo
	v_cmpx_ne_u16_e32 0, v0
	s_cbranch_execz .LBB226_738
; %bb.731:                              ;   in Loop: Header=BB226_10 Depth=1
	v_bfrev_b32_e32 v56, 1
	v_mov_b32_e32 v57, 0
	s_mov_b32 s15, exec_lo
	v_cmpx_ne_u16_e32 0x80, v0
	s_cbranch_execz .LBB226_737
; %bb.732:                              ;   in Loop: Header=BB226_10 Depth=1
	v_mov_b32_e32 v56, 0x7f800001
	v_bfe_u32 v4, v2, 16, 7
	v_mov_b32_e32 v57, 0
	s_mov_b32 s17, exec_lo
	v_cmpx_ne_u32_e32 0x7f, v4
	s_cbranch_execz .LBB226_736
; %bb.733:                              ;   in Loop: Header=BB226_10 Depth=1
	v_mov_b32_e32 v0, 7
	v_lshrrev_b32_e32 v3, 3, v4
	s_mov_b32 s18, exec_lo
	v_and_b32_sdwa v0, v2, v0 dst_sel:DWORD dst_unused:UNUSED_PAD src0_sel:WORD_1 src1_sel:DWORD
	v_cmpx_gt_u32_e32 8, v4
; %bb.734:                              ;   in Loop: Header=BB226_10 Depth=1
	v_ffbh_u32_e32 v3, v0
	v_min_u32_e32 v3, 32, v3
	v_subrev_nc_u32_e32 v4, 28, v3
	v_sub_nc_u32_e32 v3, 29, v3
	v_lshlrev_b64 v[4:5], v4, v[0:1]
	v_and_b32_e32 v0, 7, v4
; %bb.735:                              ;   in Loop: Header=BB226_10 Depth=1
	s_or_b32 exec_lo, exec_lo, s18
	v_mov_b32_e32 v4, 24
	v_lshlrev_b32_e32 v0, 20, v0
	v_lshl_add_u32 v3, v3, 23, 0x3c000000
	v_lshlrev_b32_sdwa v4, v4, v2 dst_sel:DWORD dst_unused:UNUSED_PAD src0_sel:DWORD src1_sel:WORD_1
	v_and_b32_e32 v4, 0x80000000, v4
	v_or3_b32 v0, v0, v4, v3
	v_mov_b32_e32 v57, v1
	v_mov_b32_e32 v56, v0
.LBB226_736:                            ;   in Loop: Header=BB226_10 Depth=1
	s_or_b32 exec_lo, exec_lo, s17
.LBB226_737:                            ;   in Loop: Header=BB226_10 Depth=1
	s_or_b32 exec_lo, exec_lo, s15
.LBB226_738:                            ;   in Loop: Header=BB226_10 Depth=1
	s_or_b32 exec_lo, exec_lo, s13
	s_mov_b32 s13, exec_lo
	v_cmpx_lt_u32_e32 0xffffff, v2
	s_cbranch_execz .LBB226_746
; %bb.739:                              ;   in Loop: Header=BB226_10 Depth=1
	v_mov_b32_e32 v20, v1
	v_mov_b32_e32 v117, v21
	v_cmp_ne_u32_sdwa s5, v2, v119 src0_sel:BYTE_3 src1_sel:DWORD
	v_mov_b32_e32 v116, v20
	s_and_saveexec_b32 s15, s5
	s_cbranch_execz .LBB226_745
; %bb.740:                              ;   in Loop: Header=BB226_10 Depth=1
	v_mov_b32_e32 v16, v1
	v_mov_b32_e32 v117, v17
	v_bfe_u32 v4, v2, 24, 7
	s_mov_b32 s17, exec_lo
	v_mov_b32_e32 v116, v16
	v_cmpx_ne_u32_e32 0x7f, v4
	s_cbranch_execz .LBB226_744
; %bb.741:                              ;   in Loop: Header=BB226_10 Depth=1
	v_mov_b32_e32 v0, 7
	v_lshrrev_b32_e32 v3, 3, v4
	s_mov_b32 s18, exec_lo
	v_and_b32_sdwa v0, v2, v0 dst_sel:DWORD dst_unused:UNUSED_PAD src0_sel:BYTE_3 src1_sel:DWORD
	v_cmpx_gt_u32_e32 8, v4
; %bb.742:                              ;   in Loop: Header=BB226_10 Depth=1
	v_ffbh_u32_e32 v3, v0
	v_min_u32_e32 v3, 32, v3
	v_subrev_nc_u32_e32 v4, 28, v3
	v_sub_nc_u32_e32 v3, 29, v3
	v_lshlrev_b64 v[4:5], v4, v[0:1]
	v_and_b32_e32 v0, 7, v4
; %bb.743:                              ;   in Loop: Header=BB226_10 Depth=1
	s_or_b32 exec_lo, exec_lo, s18
	v_mov_b32_e32 v4, 24
	v_lshlrev_b32_e32 v0, 20, v0
	v_lshl_add_u32 v3, v3, 23, 0x3c000000
	v_mov_b32_e32 v116, v1
	v_lshlrev_b32_sdwa v2, v4, v2 dst_sel:DWORD dst_unused:UNUSED_PAD src0_sel:DWORD src1_sel:BYTE_3
	v_and_b32_e32 v2, 0x80000000, v2
	v_or3_b32 v117, v0, v2, v3
.LBB226_744:                            ;   in Loop: Header=BB226_10 Depth=1
	s_or_b32 exec_lo, exec_lo, s17
.LBB226_745:                            ;   in Loop: Header=BB226_10 Depth=1
	s_or_b32 exec_lo, exec_lo, s15
.LBB226_746:                            ;   in Loop: Header=BB226_10 Depth=1
	s_or_b32 exec_lo, exec_lo, s13
	flat_load_dword v2, v[36:37] offset:524
	v_mov_b32_e32 v8, 0
	v_mov_b32_e32 v22, 0
	v_mov_b32_e32 v9, 0
	v_mov_b32_e32 v23, 0
	s_waitcnt vmcnt(0) lgkmcnt(0)
	v_cmp_ne_u16_sdwa s5, v2, v1 src0_sel:BYTE_0 src1_sel:DWORD
	s_and_saveexec_b32 s13, s5
	s_cbranch_execz .LBB226_754
; %bb.747:                              ;   in Loop: Header=BB226_10 Depth=1
	v_bfrev_b32_e32 v22, 1
	v_mov_b32_e32 v23, 0
	v_cmp_ne_u16_sdwa s5, v2, v119 src0_sel:BYTE_0 src1_sel:DWORD
	s_and_saveexec_b32 s15, s5
	s_cbranch_execz .LBB226_753
; %bb.748:                              ;   in Loop: Header=BB226_10 Depth=1
	v_mov_b32_e32 v22, 0x7f800001
	v_and_b32_e32 v4, 0x7f, v2
	v_mov_b32_e32 v23, 0
	s_mov_b32 s17, exec_lo
	v_cmpx_ne_u32_e32 0x7f, v4
	s_cbranch_execz .LBB226_752
; %bb.749:                              ;   in Loop: Header=BB226_10 Depth=1
	v_and_b32_e32 v0, 7, v2
	v_lshrrev_b32_e32 v3, 3, v4
	s_mov_b32 s18, exec_lo
	v_cmpx_gt_u32_e32 8, v4
; %bb.750:                              ;   in Loop: Header=BB226_10 Depth=1
	v_ffbh_u32_e32 v3, v0
	v_min_u32_e32 v3, 32, v3
	v_subrev_nc_u32_e32 v4, 28, v3
	v_sub_nc_u32_e32 v3, 29, v3
	v_lshlrev_b64 v[4:5], v4, v[0:1]
	v_and_b32_e32 v0, 7, v4
; %bb.751:                              ;   in Loop: Header=BB226_10 Depth=1
	s_or_b32 exec_lo, exec_lo, s18
	v_lshlrev_b32_e32 v4, 24, v2
	v_lshlrev_b32_e32 v0, 20, v0
	v_lshl_add_u32 v3, v3, 23, 0x3c000000
	v_and_b32_e32 v4, 0x80000000, v4
	v_or3_b32 v0, v0, v4, v3
	v_mov_b32_e32 v23, v1
	v_mov_b32_e32 v22, v0
.LBB226_752:                            ;   in Loop: Header=BB226_10 Depth=1
	s_or_b32 exec_lo, exec_lo, s17
.LBB226_753:                            ;   in Loop: Header=BB226_10 Depth=1
	s_or_b32 exec_lo, exec_lo, s15
.LBB226_754:                            ;   in Loop: Header=BB226_10 Depth=1
	s_or_b32 exec_lo, exec_lo, s13
	v_cmp_ne_u16_sdwa s5, v2, v1 src0_sel:BYTE_1 src1_sel:DWORD
	s_and_saveexec_b32 s13, s5
	s_cbranch_execz .LBB226_762
; %bb.755:                              ;   in Loop: Header=BB226_10 Depth=1
	v_mov_b32_e32 v20, v1
	v_cmp_ne_u16_sdwa s5, v2, v119 src0_sel:BYTE_1 src1_sel:DWORD
	v_mov_b32_e32 v8, v20
	v_mov_b32_e32 v9, v21
	s_and_saveexec_b32 s15, s5
	s_cbranch_execz .LBB226_761
; %bb.756:                              ;   in Loop: Header=BB226_10 Depth=1
	v_mov_b32_e32 v0, 0xffff
	v_mov_b32_e32 v16, v1
	s_mov_b32 s17, exec_lo
	v_and_b32_sdwa v0, v0, v2 dst_sel:DWORD dst_unused:UNUSED_PAD src0_sel:DWORD src1_sel:BYTE_1
	v_mov_b32_e32 v8, v16
	v_mov_b32_e32 v9, v17
	v_and_b32_e32 v4, 0x7f, v0
	v_cmpx_ne_u32_e32 0x7f, v4
	s_cbranch_execz .LBB226_760
; %bb.757:                              ;   in Loop: Header=BB226_10 Depth=1
	v_and_b32_e32 v0, 7, v0
	v_lshrrev_b32_e32 v3, 3, v4
	s_mov_b32 s18, exec_lo
	v_cmpx_gt_u32_e32 8, v4
; %bb.758:                              ;   in Loop: Header=BB226_10 Depth=1
	v_ffbh_u32_e32 v3, v0
	v_min_u32_e32 v3, 32, v3
	v_subrev_nc_u32_e32 v4, 28, v3
	v_sub_nc_u32_e32 v3, 29, v3
	v_lshlrev_b64 v[4:5], v4, v[0:1]
	v_and_b32_e32 v0, 7, v4
; %bb.759:                              ;   in Loop: Header=BB226_10 Depth=1
	s_or_b32 exec_lo, exec_lo, s18
	v_lshlrev_b32_e32 v4, 16, v2
	v_lshlrev_b32_e32 v0, 20, v0
	v_lshl_add_u32 v3, v3, 23, 0x3c000000
	v_mov_b32_e32 v8, v1
	v_and_b32_e32 v4, 0x80000000, v4
	v_or3_b32 v9, v0, v4, v3
.LBB226_760:                            ;   in Loop: Header=BB226_10 Depth=1
	s_or_b32 exec_lo, exec_lo, s17
.LBB226_761:                            ;   in Loop: Header=BB226_10 Depth=1
	s_or_b32 exec_lo, exec_lo, s15
.LBB226_762:                            ;   in Loop: Header=BB226_10 Depth=1
	s_or_b32 exec_lo, exec_lo, s13
	v_mov_b32_e32 v0, 0xff
	v_mov_b32_e32 v44, 0
	;; [unrolled: 1-line block ×5, first 2 shown]
	v_and_b32_sdwa v0, v2, v0 dst_sel:DWORD dst_unused:UNUSED_PAD src0_sel:WORD_1 src1_sel:DWORD
	s_mov_b32 s13, exec_lo
	v_cmpx_ne_u16_e32 0, v0
	s_cbranch_execz .LBB226_770
; %bb.763:                              ;   in Loop: Header=BB226_10 Depth=1
	v_bfrev_b32_e32 v72, 1
	v_mov_b32_e32 v73, 0
	s_mov_b32 s15, exec_lo
	v_cmpx_ne_u16_e32 0x80, v0
	s_cbranch_execz .LBB226_769
; %bb.764:                              ;   in Loop: Header=BB226_10 Depth=1
	v_mov_b32_e32 v72, 0x7f800001
	v_bfe_u32 v4, v2, 16, 7
	v_mov_b32_e32 v73, 0
	s_mov_b32 s17, exec_lo
	v_cmpx_ne_u32_e32 0x7f, v4
	s_cbranch_execz .LBB226_768
; %bb.765:                              ;   in Loop: Header=BB226_10 Depth=1
	v_mov_b32_e32 v0, 7
	v_lshrrev_b32_e32 v3, 3, v4
	s_mov_b32 s18, exec_lo
	v_and_b32_sdwa v0, v2, v0 dst_sel:DWORD dst_unused:UNUSED_PAD src0_sel:WORD_1 src1_sel:DWORD
	v_cmpx_gt_u32_e32 8, v4
; %bb.766:                              ;   in Loop: Header=BB226_10 Depth=1
	v_ffbh_u32_e32 v3, v0
	v_min_u32_e32 v3, 32, v3
	v_subrev_nc_u32_e32 v4, 28, v3
	v_sub_nc_u32_e32 v3, 29, v3
	v_lshlrev_b64 v[4:5], v4, v[0:1]
	v_and_b32_e32 v0, 7, v4
; %bb.767:                              ;   in Loop: Header=BB226_10 Depth=1
	s_or_b32 exec_lo, exec_lo, s18
	v_mov_b32_e32 v4, 24
	v_lshlrev_b32_e32 v0, 20, v0
	v_lshl_add_u32 v3, v3, 23, 0x3c000000
	v_lshlrev_b32_sdwa v4, v4, v2 dst_sel:DWORD dst_unused:UNUSED_PAD src0_sel:DWORD src1_sel:WORD_1
	v_and_b32_e32 v4, 0x80000000, v4
	v_or3_b32 v0, v0, v4, v3
	v_mov_b32_e32 v73, v1
	v_mov_b32_e32 v72, v0
.LBB226_768:                            ;   in Loop: Header=BB226_10 Depth=1
	s_or_b32 exec_lo, exec_lo, s17
.LBB226_769:                            ;   in Loop: Header=BB226_10 Depth=1
	s_or_b32 exec_lo, exec_lo, s15
.LBB226_770:                            ;   in Loop: Header=BB226_10 Depth=1
	s_or_b32 exec_lo, exec_lo, s13
	s_mov_b32 s13, exec_lo
	v_cmpx_lt_u32_e32 0xffffff, v2
	s_cbranch_execz .LBB226_778
; %bb.771:                              ;   in Loop: Header=BB226_10 Depth=1
	v_mov_b32_e32 v20, v1
	v_mov_b32_e32 v45, v21
	v_cmp_ne_u32_sdwa s5, v2, v119 src0_sel:BYTE_3 src1_sel:DWORD
	v_mov_b32_e32 v44, v20
	s_and_saveexec_b32 s15, s5
	s_cbranch_execz .LBB226_777
; %bb.772:                              ;   in Loop: Header=BB226_10 Depth=1
	v_mov_b32_e32 v16, v1
	v_mov_b32_e32 v45, v17
	v_bfe_u32 v4, v2, 24, 7
	s_mov_b32 s17, exec_lo
	v_mov_b32_e32 v44, v16
	v_cmpx_ne_u32_e32 0x7f, v4
	s_cbranch_execz .LBB226_776
; %bb.773:                              ;   in Loop: Header=BB226_10 Depth=1
	v_mov_b32_e32 v0, 7
	v_lshrrev_b32_e32 v3, 3, v4
	s_mov_b32 s18, exec_lo
	v_and_b32_sdwa v0, v2, v0 dst_sel:DWORD dst_unused:UNUSED_PAD src0_sel:BYTE_3 src1_sel:DWORD
	v_cmpx_gt_u32_e32 8, v4
; %bb.774:                              ;   in Loop: Header=BB226_10 Depth=1
	v_ffbh_u32_e32 v3, v0
	v_min_u32_e32 v3, 32, v3
	v_subrev_nc_u32_e32 v4, 28, v3
	v_sub_nc_u32_e32 v3, 29, v3
	v_lshlrev_b64 v[4:5], v4, v[0:1]
	v_and_b32_e32 v0, 7, v4
; %bb.775:                              ;   in Loop: Header=BB226_10 Depth=1
	s_or_b32 exec_lo, exec_lo, s18
	v_mov_b32_e32 v4, 24
	v_lshlrev_b32_e32 v0, 20, v0
	v_lshl_add_u32 v3, v3, 23, 0x3c000000
	v_mov_b32_e32 v44, v1
	v_lshlrev_b32_sdwa v2, v4, v2 dst_sel:DWORD dst_unused:UNUSED_PAD src0_sel:DWORD src1_sel:BYTE_3
	v_and_b32_e32 v2, 0x80000000, v2
	v_or3_b32 v45, v0, v2, v3
.LBB226_776:                            ;   in Loop: Header=BB226_10 Depth=1
	s_or_b32 exec_lo, exec_lo, s17
.LBB226_777:                            ;   in Loop: Header=BB226_10 Depth=1
	s_or_b32 exec_lo, exec_lo, s15
.LBB226_778:                            ;   in Loop: Header=BB226_10 Depth=1
	s_or_b32 exec_lo, exec_lo, s13
	flat_load_dword v2, v[36:37] offset:1024
	v_mov_b32_e32 v74, 0
	v_mov_b32_e32 v46, 0
	;; [unrolled: 1-line block ×4, first 2 shown]
	s_waitcnt vmcnt(0) lgkmcnt(0)
	v_cmp_ne_u16_sdwa s5, v2, v1 src0_sel:BYTE_0 src1_sel:DWORD
	s_and_saveexec_b32 s13, s5
	s_cbranch_execz .LBB226_786
; %bb.779:                              ;   in Loop: Header=BB226_10 Depth=1
	v_bfrev_b32_e32 v46, 1
	v_mov_b32_e32 v47, 0
	v_cmp_ne_u16_sdwa s5, v2, v119 src0_sel:BYTE_0 src1_sel:DWORD
	s_and_saveexec_b32 s15, s5
	s_cbranch_execz .LBB226_785
; %bb.780:                              ;   in Loop: Header=BB226_10 Depth=1
	v_mov_b32_e32 v46, 0x7f800001
	v_and_b32_e32 v4, 0x7f, v2
	v_mov_b32_e32 v47, 0
	s_mov_b32 s17, exec_lo
	v_cmpx_ne_u32_e32 0x7f, v4
	s_cbranch_execz .LBB226_784
; %bb.781:                              ;   in Loop: Header=BB226_10 Depth=1
	v_and_b32_e32 v0, 7, v2
	v_lshrrev_b32_e32 v3, 3, v4
	s_mov_b32 s18, exec_lo
	v_cmpx_gt_u32_e32 8, v4
; %bb.782:                              ;   in Loop: Header=BB226_10 Depth=1
	v_ffbh_u32_e32 v3, v0
	v_min_u32_e32 v3, 32, v3
	v_subrev_nc_u32_e32 v4, 28, v3
	v_sub_nc_u32_e32 v3, 29, v3
	v_lshlrev_b64 v[4:5], v4, v[0:1]
	v_and_b32_e32 v0, 7, v4
; %bb.783:                              ;   in Loop: Header=BB226_10 Depth=1
	s_or_b32 exec_lo, exec_lo, s18
	v_lshlrev_b32_e32 v4, 24, v2
	v_lshlrev_b32_e32 v0, 20, v0
	v_lshl_add_u32 v3, v3, 23, 0x3c000000
	v_and_b32_e32 v4, 0x80000000, v4
	v_or3_b32 v0, v0, v4, v3
	v_mov_b32_e32 v47, v1
	v_mov_b32_e32 v46, v0
.LBB226_784:                            ;   in Loop: Header=BB226_10 Depth=1
	s_or_b32 exec_lo, exec_lo, s17
.LBB226_785:                            ;   in Loop: Header=BB226_10 Depth=1
	s_or_b32 exec_lo, exec_lo, s15
.LBB226_786:                            ;   in Loop: Header=BB226_10 Depth=1
	s_or_b32 exec_lo, exec_lo, s13
	v_cmp_ne_u16_sdwa s5, v2, v1 src0_sel:BYTE_1 src1_sel:DWORD
	s_and_saveexec_b32 s13, s5
	s_cbranch_execz .LBB226_794
; %bb.787:                              ;   in Loop: Header=BB226_10 Depth=1
	v_mov_b32_e32 v20, v1
	v_mov_b32_e32 v75, v21
	v_cmp_ne_u16_sdwa s5, v2, v119 src0_sel:BYTE_1 src1_sel:DWORD
	v_mov_b32_e32 v74, v20
	s_and_saveexec_b32 s15, s5
	s_cbranch_execz .LBB226_793
; %bb.788:                              ;   in Loop: Header=BB226_10 Depth=1
	v_mov_b32_e32 v0, 0xffff
	v_mov_b32_e32 v16, v1
	;; [unrolled: 1-line block ×3, first 2 shown]
	s_mov_b32 s17, exec_lo
	v_and_b32_sdwa v0, v0, v2 dst_sel:DWORD dst_unused:UNUSED_PAD src0_sel:DWORD src1_sel:BYTE_1
	v_mov_b32_e32 v74, v16
	v_and_b32_e32 v4, 0x7f, v0
	v_cmpx_ne_u32_e32 0x7f, v4
	s_cbranch_execz .LBB226_792
; %bb.789:                              ;   in Loop: Header=BB226_10 Depth=1
	v_and_b32_e32 v0, 7, v0
	v_lshrrev_b32_e32 v3, 3, v4
	s_mov_b32 s18, exec_lo
	v_cmpx_gt_u32_e32 8, v4
; %bb.790:                              ;   in Loop: Header=BB226_10 Depth=1
	v_ffbh_u32_e32 v3, v0
	v_min_u32_e32 v3, 32, v3
	v_subrev_nc_u32_e32 v4, 28, v3
	v_sub_nc_u32_e32 v3, 29, v3
	v_lshlrev_b64 v[4:5], v4, v[0:1]
	v_and_b32_e32 v0, 7, v4
; %bb.791:                              ;   in Loop: Header=BB226_10 Depth=1
	s_or_b32 exec_lo, exec_lo, s18
	v_lshlrev_b32_e32 v4, 16, v2
	v_lshlrev_b32_e32 v0, 20, v0
	v_lshl_add_u32 v3, v3, 23, 0x3c000000
	v_mov_b32_e32 v74, v1
	v_and_b32_e32 v4, 0x80000000, v4
	v_or3_b32 v75, v0, v4, v3
.LBB226_792:                            ;   in Loop: Header=BB226_10 Depth=1
	s_or_b32 exec_lo, exec_lo, s17
.LBB226_793:                            ;   in Loop: Header=BB226_10 Depth=1
	s_or_b32 exec_lo, exec_lo, s15
.LBB226_794:                            ;   in Loop: Header=BB226_10 Depth=1
	s_or_b32 exec_lo, exec_lo, s13
	v_mov_b32_e32 v0, 0xff
	v_mov_b32_e32 v60, 0
	;; [unrolled: 1-line block ×5, first 2 shown]
	v_and_b32_sdwa v0, v2, v0 dst_sel:DWORD dst_unused:UNUSED_PAD src0_sel:WORD_1 src1_sel:DWORD
	s_mov_b32 s13, exec_lo
	v_cmpx_ne_u16_e32 0, v0
	s_cbranch_execz .LBB226_802
; %bb.795:                              ;   in Loop: Header=BB226_10 Depth=1
	v_bfrev_b32_e32 v88, 1
	v_mov_b32_e32 v89, 0
	s_mov_b32 s15, exec_lo
	v_cmpx_ne_u16_e32 0x80, v0
	s_cbranch_execz .LBB226_801
; %bb.796:                              ;   in Loop: Header=BB226_10 Depth=1
	v_mov_b32_e32 v88, 0x7f800001
	v_bfe_u32 v4, v2, 16, 7
	v_mov_b32_e32 v89, 0
	s_mov_b32 s17, exec_lo
	v_cmpx_ne_u32_e32 0x7f, v4
	s_cbranch_execz .LBB226_800
; %bb.797:                              ;   in Loop: Header=BB226_10 Depth=1
	v_mov_b32_e32 v0, 7
	v_lshrrev_b32_e32 v3, 3, v4
	s_mov_b32 s18, exec_lo
	v_and_b32_sdwa v0, v2, v0 dst_sel:DWORD dst_unused:UNUSED_PAD src0_sel:WORD_1 src1_sel:DWORD
	v_cmpx_gt_u32_e32 8, v4
; %bb.798:                              ;   in Loop: Header=BB226_10 Depth=1
	v_ffbh_u32_e32 v3, v0
	v_min_u32_e32 v3, 32, v3
	v_subrev_nc_u32_e32 v4, 28, v3
	v_sub_nc_u32_e32 v3, 29, v3
	v_lshlrev_b64 v[4:5], v4, v[0:1]
	v_and_b32_e32 v0, 7, v4
; %bb.799:                              ;   in Loop: Header=BB226_10 Depth=1
	s_or_b32 exec_lo, exec_lo, s18
	v_mov_b32_e32 v4, 24
	v_lshlrev_b32_e32 v0, 20, v0
	v_lshl_add_u32 v3, v3, 23, 0x3c000000
	v_lshlrev_b32_sdwa v4, v4, v2 dst_sel:DWORD dst_unused:UNUSED_PAD src0_sel:DWORD src1_sel:WORD_1
	v_and_b32_e32 v4, 0x80000000, v4
	v_or3_b32 v0, v0, v4, v3
	v_mov_b32_e32 v89, v1
	v_mov_b32_e32 v88, v0
.LBB226_800:                            ;   in Loop: Header=BB226_10 Depth=1
	s_or_b32 exec_lo, exec_lo, s17
.LBB226_801:                            ;   in Loop: Header=BB226_10 Depth=1
	s_or_b32 exec_lo, exec_lo, s15
.LBB226_802:                            ;   in Loop: Header=BB226_10 Depth=1
	s_or_b32 exec_lo, exec_lo, s13
	s_mov_b32 s13, exec_lo
	v_cmpx_lt_u32_e32 0xffffff, v2
	s_cbranch_execz .LBB226_810
; %bb.803:                              ;   in Loop: Header=BB226_10 Depth=1
	v_mov_b32_e32 v20, v1
	v_mov_b32_e32 v61, v21
	v_cmp_ne_u32_sdwa s5, v2, v119 src0_sel:BYTE_3 src1_sel:DWORD
	v_mov_b32_e32 v60, v20
	s_and_saveexec_b32 s15, s5
	s_cbranch_execz .LBB226_809
; %bb.804:                              ;   in Loop: Header=BB226_10 Depth=1
	v_mov_b32_e32 v16, v1
	v_mov_b32_e32 v61, v17
	v_bfe_u32 v4, v2, 24, 7
	s_mov_b32 s17, exec_lo
	v_mov_b32_e32 v60, v16
	v_cmpx_ne_u32_e32 0x7f, v4
	s_cbranch_execz .LBB226_808
; %bb.805:                              ;   in Loop: Header=BB226_10 Depth=1
	v_mov_b32_e32 v0, 7
	v_lshrrev_b32_e32 v3, 3, v4
	s_mov_b32 s18, exec_lo
	v_and_b32_sdwa v0, v2, v0 dst_sel:DWORD dst_unused:UNUSED_PAD src0_sel:BYTE_3 src1_sel:DWORD
	v_cmpx_gt_u32_e32 8, v4
; %bb.806:                              ;   in Loop: Header=BB226_10 Depth=1
	v_ffbh_u32_e32 v3, v0
	v_min_u32_e32 v3, 32, v3
	v_subrev_nc_u32_e32 v4, 28, v3
	v_sub_nc_u32_e32 v3, 29, v3
	v_lshlrev_b64 v[4:5], v4, v[0:1]
	v_and_b32_e32 v0, 7, v4
; %bb.807:                              ;   in Loop: Header=BB226_10 Depth=1
	s_or_b32 exec_lo, exec_lo, s18
	v_mov_b32_e32 v4, 24
	v_lshlrev_b32_e32 v0, 20, v0
	v_lshl_add_u32 v3, v3, 23, 0x3c000000
	v_mov_b32_e32 v60, v1
	v_lshlrev_b32_sdwa v2, v4, v2 dst_sel:DWORD dst_unused:UNUSED_PAD src0_sel:DWORD src1_sel:BYTE_3
	v_and_b32_e32 v2, 0x80000000, v2
	v_or3_b32 v61, v0, v2, v3
.LBB226_808:                            ;   in Loop: Header=BB226_10 Depth=1
	s_or_b32 exec_lo, exec_lo, s17
.LBB226_809:                            ;   in Loop: Header=BB226_10 Depth=1
	s_or_b32 exec_lo, exec_lo, s15
.LBB226_810:                            ;   in Loop: Header=BB226_10 Depth=1
	s_or_b32 exec_lo, exec_lo, s13
	flat_load_dword v2, v[36:37] offset:1028
	v_mov_b32_e32 v90, 0
	v_mov_b32_e32 v62, 0
	;; [unrolled: 1-line block ×4, first 2 shown]
	s_waitcnt vmcnt(0) lgkmcnt(0)
	v_cmp_ne_u16_sdwa s5, v2, v1 src0_sel:BYTE_0 src1_sel:DWORD
	s_and_saveexec_b32 s13, s5
	s_cbranch_execz .LBB226_818
; %bb.811:                              ;   in Loop: Header=BB226_10 Depth=1
	v_bfrev_b32_e32 v62, 1
	v_mov_b32_e32 v63, 0
	v_cmp_ne_u16_sdwa s5, v2, v119 src0_sel:BYTE_0 src1_sel:DWORD
	s_and_saveexec_b32 s15, s5
	s_cbranch_execz .LBB226_817
; %bb.812:                              ;   in Loop: Header=BB226_10 Depth=1
	v_mov_b32_e32 v62, 0x7f800001
	v_and_b32_e32 v4, 0x7f, v2
	v_mov_b32_e32 v63, 0
	s_mov_b32 s17, exec_lo
	v_cmpx_ne_u32_e32 0x7f, v4
	s_cbranch_execz .LBB226_816
; %bb.813:                              ;   in Loop: Header=BB226_10 Depth=1
	v_and_b32_e32 v0, 7, v2
	v_lshrrev_b32_e32 v3, 3, v4
	s_mov_b32 s18, exec_lo
	v_cmpx_gt_u32_e32 8, v4
; %bb.814:                              ;   in Loop: Header=BB226_10 Depth=1
	v_ffbh_u32_e32 v3, v0
	v_min_u32_e32 v3, 32, v3
	v_subrev_nc_u32_e32 v4, 28, v3
	v_sub_nc_u32_e32 v3, 29, v3
	v_lshlrev_b64 v[4:5], v4, v[0:1]
	v_and_b32_e32 v0, 7, v4
; %bb.815:                              ;   in Loop: Header=BB226_10 Depth=1
	s_or_b32 exec_lo, exec_lo, s18
	v_lshlrev_b32_e32 v4, 24, v2
	v_lshlrev_b32_e32 v0, 20, v0
	v_lshl_add_u32 v3, v3, 23, 0x3c000000
	v_and_b32_e32 v4, 0x80000000, v4
	v_or3_b32 v0, v0, v4, v3
	v_mov_b32_e32 v63, v1
	v_mov_b32_e32 v62, v0
.LBB226_816:                            ;   in Loop: Header=BB226_10 Depth=1
	s_or_b32 exec_lo, exec_lo, s17
.LBB226_817:                            ;   in Loop: Header=BB226_10 Depth=1
	s_or_b32 exec_lo, exec_lo, s15
.LBB226_818:                            ;   in Loop: Header=BB226_10 Depth=1
	s_or_b32 exec_lo, exec_lo, s13
	v_cmp_ne_u16_sdwa s5, v2, v1 src0_sel:BYTE_1 src1_sel:DWORD
	s_and_saveexec_b32 s13, s5
	s_cbranch_execz .LBB226_826
; %bb.819:                              ;   in Loop: Header=BB226_10 Depth=1
	v_mov_b32_e32 v20, v1
	v_mov_b32_e32 v91, v21
	v_cmp_ne_u16_sdwa s5, v2, v119 src0_sel:BYTE_1 src1_sel:DWORD
	v_mov_b32_e32 v90, v20
	s_and_saveexec_b32 s15, s5
	s_cbranch_execz .LBB226_825
; %bb.820:                              ;   in Loop: Header=BB226_10 Depth=1
	v_mov_b32_e32 v0, 0xffff
	v_mov_b32_e32 v16, v1
	;; [unrolled: 1-line block ×3, first 2 shown]
	s_mov_b32 s17, exec_lo
	v_and_b32_sdwa v0, v0, v2 dst_sel:DWORD dst_unused:UNUSED_PAD src0_sel:DWORD src1_sel:BYTE_1
	v_mov_b32_e32 v90, v16
	v_and_b32_e32 v4, 0x7f, v0
	v_cmpx_ne_u32_e32 0x7f, v4
	s_cbranch_execz .LBB226_824
; %bb.821:                              ;   in Loop: Header=BB226_10 Depth=1
	v_and_b32_e32 v0, 7, v0
	v_lshrrev_b32_e32 v3, 3, v4
	s_mov_b32 s18, exec_lo
	v_cmpx_gt_u32_e32 8, v4
; %bb.822:                              ;   in Loop: Header=BB226_10 Depth=1
	v_ffbh_u32_e32 v3, v0
	v_min_u32_e32 v3, 32, v3
	v_subrev_nc_u32_e32 v4, 28, v3
	v_sub_nc_u32_e32 v3, 29, v3
	v_lshlrev_b64 v[4:5], v4, v[0:1]
	v_and_b32_e32 v0, 7, v4
; %bb.823:                              ;   in Loop: Header=BB226_10 Depth=1
	s_or_b32 exec_lo, exec_lo, s18
	v_lshlrev_b32_e32 v4, 16, v2
	v_lshlrev_b32_e32 v0, 20, v0
	v_lshl_add_u32 v3, v3, 23, 0x3c000000
	v_mov_b32_e32 v90, v1
	v_and_b32_e32 v4, 0x80000000, v4
	v_or3_b32 v91, v0, v4, v3
.LBB226_824:                            ;   in Loop: Header=BB226_10 Depth=1
	s_or_b32 exec_lo, exec_lo, s17
.LBB226_825:                            ;   in Loop: Header=BB226_10 Depth=1
	s_or_b32 exec_lo, exec_lo, s15
.LBB226_826:                            ;   in Loop: Header=BB226_10 Depth=1
	s_or_b32 exec_lo, exec_lo, s13
	v_mov_b32_e32 v0, 0xff
	v_mov_b32_e32 v76, 0
	;; [unrolled: 1-line block ×5, first 2 shown]
	v_and_b32_sdwa v0, v2, v0 dst_sel:DWORD dst_unused:UNUSED_PAD src0_sel:WORD_1 src1_sel:DWORD
	s_mov_b32 s13, exec_lo
	v_cmpx_ne_u16_e32 0, v0
	s_cbranch_execz .LBB226_834
; %bb.827:                              ;   in Loop: Header=BB226_10 Depth=1
	v_bfrev_b32_e32 v104, 1
	v_mov_b32_e32 v105, 0
	s_mov_b32 s15, exec_lo
	v_cmpx_ne_u16_e32 0x80, v0
	s_cbranch_execz .LBB226_833
; %bb.828:                              ;   in Loop: Header=BB226_10 Depth=1
	v_mov_b32_e32 v104, 0x7f800001
	v_bfe_u32 v4, v2, 16, 7
	v_mov_b32_e32 v105, 0
	s_mov_b32 s17, exec_lo
	v_cmpx_ne_u32_e32 0x7f, v4
	s_cbranch_execz .LBB226_832
; %bb.829:                              ;   in Loop: Header=BB226_10 Depth=1
	v_mov_b32_e32 v0, 7
	v_lshrrev_b32_e32 v3, 3, v4
	s_mov_b32 s18, exec_lo
	v_and_b32_sdwa v0, v2, v0 dst_sel:DWORD dst_unused:UNUSED_PAD src0_sel:WORD_1 src1_sel:DWORD
	v_cmpx_gt_u32_e32 8, v4
; %bb.830:                              ;   in Loop: Header=BB226_10 Depth=1
	v_ffbh_u32_e32 v3, v0
	v_min_u32_e32 v3, 32, v3
	v_subrev_nc_u32_e32 v4, 28, v3
	v_sub_nc_u32_e32 v3, 29, v3
	v_lshlrev_b64 v[4:5], v4, v[0:1]
	v_and_b32_e32 v0, 7, v4
; %bb.831:                              ;   in Loop: Header=BB226_10 Depth=1
	s_or_b32 exec_lo, exec_lo, s18
	v_mov_b32_e32 v4, 24
	v_lshlrev_b32_e32 v0, 20, v0
	v_lshl_add_u32 v3, v3, 23, 0x3c000000
	v_lshlrev_b32_sdwa v4, v4, v2 dst_sel:DWORD dst_unused:UNUSED_PAD src0_sel:DWORD src1_sel:WORD_1
	v_and_b32_e32 v4, 0x80000000, v4
	v_or3_b32 v0, v0, v4, v3
	v_mov_b32_e32 v105, v1
	v_mov_b32_e32 v104, v0
.LBB226_832:                            ;   in Loop: Header=BB226_10 Depth=1
	s_or_b32 exec_lo, exec_lo, s17
.LBB226_833:                            ;   in Loop: Header=BB226_10 Depth=1
	s_or_b32 exec_lo, exec_lo, s15
.LBB226_834:                            ;   in Loop: Header=BB226_10 Depth=1
	s_or_b32 exec_lo, exec_lo, s13
	s_mov_b32 s13, exec_lo
	v_cmpx_lt_u32_e32 0xffffff, v2
	s_cbranch_execz .LBB226_842
; %bb.835:                              ;   in Loop: Header=BB226_10 Depth=1
	v_mov_b32_e32 v20, v1
	v_mov_b32_e32 v77, v21
	v_cmp_ne_u32_sdwa s5, v2, v119 src0_sel:BYTE_3 src1_sel:DWORD
	v_mov_b32_e32 v76, v20
	s_and_saveexec_b32 s15, s5
	s_cbranch_execz .LBB226_841
; %bb.836:                              ;   in Loop: Header=BB226_10 Depth=1
	v_mov_b32_e32 v16, v1
	v_mov_b32_e32 v77, v17
	v_bfe_u32 v4, v2, 24, 7
	s_mov_b32 s17, exec_lo
	v_mov_b32_e32 v76, v16
	v_cmpx_ne_u32_e32 0x7f, v4
	s_cbranch_execz .LBB226_840
; %bb.837:                              ;   in Loop: Header=BB226_10 Depth=1
	v_mov_b32_e32 v0, 7
	v_lshrrev_b32_e32 v3, 3, v4
	s_mov_b32 s18, exec_lo
	v_and_b32_sdwa v0, v2, v0 dst_sel:DWORD dst_unused:UNUSED_PAD src0_sel:BYTE_3 src1_sel:DWORD
	v_cmpx_gt_u32_e32 8, v4
; %bb.838:                              ;   in Loop: Header=BB226_10 Depth=1
	v_ffbh_u32_e32 v3, v0
	v_min_u32_e32 v3, 32, v3
	v_subrev_nc_u32_e32 v4, 28, v3
	v_sub_nc_u32_e32 v3, 29, v3
	v_lshlrev_b64 v[4:5], v4, v[0:1]
	v_and_b32_e32 v0, 7, v4
; %bb.839:                              ;   in Loop: Header=BB226_10 Depth=1
	s_or_b32 exec_lo, exec_lo, s18
	v_mov_b32_e32 v4, 24
	v_lshlrev_b32_e32 v0, 20, v0
	v_lshl_add_u32 v3, v3, 23, 0x3c000000
	v_mov_b32_e32 v76, v1
	v_lshlrev_b32_sdwa v2, v4, v2 dst_sel:DWORD dst_unused:UNUSED_PAD src0_sel:DWORD src1_sel:BYTE_3
	v_and_b32_e32 v2, 0x80000000, v2
	v_or3_b32 v77, v0, v2, v3
.LBB226_840:                            ;   in Loop: Header=BB226_10 Depth=1
	s_or_b32 exec_lo, exec_lo, s17
.LBB226_841:                            ;   in Loop: Header=BB226_10 Depth=1
	s_or_b32 exec_lo, exec_lo, s15
.LBB226_842:                            ;   in Loop: Header=BB226_10 Depth=1
	s_or_b32 exec_lo, exec_lo, s13
	flat_load_dword v2, v[36:37] offset:1032
	v_mov_b32_e32 v106, 0
	v_mov_b32_e32 v78, 0
	;; [unrolled: 1-line block ×4, first 2 shown]
	s_waitcnt vmcnt(0) lgkmcnt(0)
	v_cmp_ne_u16_sdwa s5, v2, v1 src0_sel:BYTE_0 src1_sel:DWORD
	s_and_saveexec_b32 s13, s5
	s_cbranch_execz .LBB226_850
; %bb.843:                              ;   in Loop: Header=BB226_10 Depth=1
	v_bfrev_b32_e32 v78, 1
	v_mov_b32_e32 v79, 0
	v_cmp_ne_u16_sdwa s5, v2, v119 src0_sel:BYTE_0 src1_sel:DWORD
	s_and_saveexec_b32 s15, s5
	s_cbranch_execz .LBB226_849
; %bb.844:                              ;   in Loop: Header=BB226_10 Depth=1
	v_mov_b32_e32 v78, 0x7f800001
	v_and_b32_e32 v4, 0x7f, v2
	v_mov_b32_e32 v79, 0
	s_mov_b32 s17, exec_lo
	v_cmpx_ne_u32_e32 0x7f, v4
	s_cbranch_execz .LBB226_848
; %bb.845:                              ;   in Loop: Header=BB226_10 Depth=1
	v_and_b32_e32 v0, 7, v2
	v_lshrrev_b32_e32 v3, 3, v4
	s_mov_b32 s18, exec_lo
	v_cmpx_gt_u32_e32 8, v4
; %bb.846:                              ;   in Loop: Header=BB226_10 Depth=1
	v_ffbh_u32_e32 v3, v0
	v_min_u32_e32 v3, 32, v3
	v_subrev_nc_u32_e32 v4, 28, v3
	v_sub_nc_u32_e32 v3, 29, v3
	v_lshlrev_b64 v[4:5], v4, v[0:1]
	v_and_b32_e32 v0, 7, v4
; %bb.847:                              ;   in Loop: Header=BB226_10 Depth=1
	s_or_b32 exec_lo, exec_lo, s18
	v_lshlrev_b32_e32 v4, 24, v2
	v_lshlrev_b32_e32 v0, 20, v0
	v_lshl_add_u32 v3, v3, 23, 0x3c000000
	v_and_b32_e32 v4, 0x80000000, v4
	v_or3_b32 v0, v0, v4, v3
	v_mov_b32_e32 v79, v1
	v_mov_b32_e32 v78, v0
.LBB226_848:                            ;   in Loop: Header=BB226_10 Depth=1
	s_or_b32 exec_lo, exec_lo, s17
.LBB226_849:                            ;   in Loop: Header=BB226_10 Depth=1
	s_or_b32 exec_lo, exec_lo, s15
.LBB226_850:                            ;   in Loop: Header=BB226_10 Depth=1
	s_or_b32 exec_lo, exec_lo, s13
	v_cmp_ne_u16_sdwa s5, v2, v1 src0_sel:BYTE_1 src1_sel:DWORD
	s_and_saveexec_b32 s13, s5
	s_cbranch_execz .LBB226_858
; %bb.851:                              ;   in Loop: Header=BB226_10 Depth=1
	v_mov_b32_e32 v20, v1
	v_mov_b32_e32 v107, v21
	v_cmp_ne_u16_sdwa s5, v2, v119 src0_sel:BYTE_1 src1_sel:DWORD
	v_mov_b32_e32 v106, v20
	s_and_saveexec_b32 s15, s5
	s_cbranch_execz .LBB226_857
; %bb.852:                              ;   in Loop: Header=BB226_10 Depth=1
	v_mov_b32_e32 v0, 0xffff
	v_mov_b32_e32 v16, v1
	;; [unrolled: 1-line block ×3, first 2 shown]
	s_mov_b32 s17, exec_lo
	v_and_b32_sdwa v0, v0, v2 dst_sel:DWORD dst_unused:UNUSED_PAD src0_sel:DWORD src1_sel:BYTE_1
	v_mov_b32_e32 v106, v16
	v_and_b32_e32 v4, 0x7f, v0
	v_cmpx_ne_u32_e32 0x7f, v4
	s_cbranch_execz .LBB226_856
; %bb.853:                              ;   in Loop: Header=BB226_10 Depth=1
	v_and_b32_e32 v0, 7, v0
	v_lshrrev_b32_e32 v3, 3, v4
	s_mov_b32 s18, exec_lo
	v_cmpx_gt_u32_e32 8, v4
; %bb.854:                              ;   in Loop: Header=BB226_10 Depth=1
	v_ffbh_u32_e32 v3, v0
	v_min_u32_e32 v3, 32, v3
	v_subrev_nc_u32_e32 v4, 28, v3
	v_sub_nc_u32_e32 v3, 29, v3
	v_lshlrev_b64 v[4:5], v4, v[0:1]
	v_and_b32_e32 v0, 7, v4
; %bb.855:                              ;   in Loop: Header=BB226_10 Depth=1
	s_or_b32 exec_lo, exec_lo, s18
	v_lshlrev_b32_e32 v4, 16, v2
	v_lshlrev_b32_e32 v0, 20, v0
	v_lshl_add_u32 v3, v3, 23, 0x3c000000
	v_mov_b32_e32 v106, v1
	v_and_b32_e32 v4, 0x80000000, v4
	v_or3_b32 v107, v0, v4, v3
.LBB226_856:                            ;   in Loop: Header=BB226_10 Depth=1
	s_or_b32 exec_lo, exec_lo, s17
.LBB226_857:                            ;   in Loop: Header=BB226_10 Depth=1
	s_or_b32 exec_lo, exec_lo, s15
.LBB226_858:                            ;   in Loop: Header=BB226_10 Depth=1
	s_or_b32 exec_lo, exec_lo, s13
	v_mov_b32_e32 v0, 0xff
	v_mov_b32_e32 v92, 0
	;; [unrolled: 1-line block ×5, first 2 shown]
	v_and_b32_sdwa v0, v2, v0 dst_sel:DWORD dst_unused:UNUSED_PAD src0_sel:WORD_1 src1_sel:DWORD
	s_mov_b32 s13, exec_lo
	v_cmpx_ne_u16_e32 0, v0
	s_cbranch_execz .LBB226_866
; %bb.859:                              ;   in Loop: Header=BB226_10 Depth=1
	v_bfrev_b32_e32 v120, 1
	v_mov_b32_e32 v121, 0
	s_mov_b32 s15, exec_lo
	v_cmpx_ne_u16_e32 0x80, v0
	s_cbranch_execz .LBB226_865
; %bb.860:                              ;   in Loop: Header=BB226_10 Depth=1
	v_mov_b32_e32 v120, 0x7f800001
	v_bfe_u32 v4, v2, 16, 7
	v_mov_b32_e32 v121, 0
	s_mov_b32 s17, exec_lo
	v_cmpx_ne_u32_e32 0x7f, v4
	s_cbranch_execz .LBB226_864
; %bb.861:                              ;   in Loop: Header=BB226_10 Depth=1
	v_mov_b32_e32 v0, 7
	v_lshrrev_b32_e32 v3, 3, v4
	s_mov_b32 s18, exec_lo
	v_and_b32_sdwa v0, v2, v0 dst_sel:DWORD dst_unused:UNUSED_PAD src0_sel:WORD_1 src1_sel:DWORD
	v_cmpx_gt_u32_e32 8, v4
; %bb.862:                              ;   in Loop: Header=BB226_10 Depth=1
	v_ffbh_u32_e32 v3, v0
	v_min_u32_e32 v3, 32, v3
	v_subrev_nc_u32_e32 v4, 28, v3
	v_sub_nc_u32_e32 v3, 29, v3
	v_lshlrev_b64 v[4:5], v4, v[0:1]
	v_and_b32_e32 v0, 7, v4
; %bb.863:                              ;   in Loop: Header=BB226_10 Depth=1
	s_or_b32 exec_lo, exec_lo, s18
	v_mov_b32_e32 v4, 24
	v_lshlrev_b32_e32 v0, 20, v0
	v_lshl_add_u32 v3, v3, 23, 0x3c000000
	v_lshlrev_b32_sdwa v4, v4, v2 dst_sel:DWORD dst_unused:UNUSED_PAD src0_sel:DWORD src1_sel:WORD_1
	v_and_b32_e32 v4, 0x80000000, v4
	v_or3_b32 v0, v0, v4, v3
	v_mov_b32_e32 v121, v1
	v_mov_b32_e32 v120, v0
.LBB226_864:                            ;   in Loop: Header=BB226_10 Depth=1
	s_or_b32 exec_lo, exec_lo, s17
.LBB226_865:                            ;   in Loop: Header=BB226_10 Depth=1
	s_or_b32 exec_lo, exec_lo, s15
.LBB226_866:                            ;   in Loop: Header=BB226_10 Depth=1
	s_or_b32 exec_lo, exec_lo, s13
	s_mov_b32 s13, exec_lo
	v_cmpx_lt_u32_e32 0xffffff, v2
	s_cbranch_execz .LBB226_874
; %bb.867:                              ;   in Loop: Header=BB226_10 Depth=1
	v_mov_b32_e32 v20, v1
	v_mov_b32_e32 v93, v21
	v_cmp_ne_u32_sdwa s5, v2, v119 src0_sel:BYTE_3 src1_sel:DWORD
	v_mov_b32_e32 v92, v20
	s_and_saveexec_b32 s15, s5
	s_cbranch_execz .LBB226_873
; %bb.868:                              ;   in Loop: Header=BB226_10 Depth=1
	v_mov_b32_e32 v16, v1
	v_mov_b32_e32 v93, v17
	v_bfe_u32 v4, v2, 24, 7
	s_mov_b32 s17, exec_lo
	v_mov_b32_e32 v92, v16
	v_cmpx_ne_u32_e32 0x7f, v4
	s_cbranch_execz .LBB226_872
; %bb.869:                              ;   in Loop: Header=BB226_10 Depth=1
	v_mov_b32_e32 v0, 7
	v_lshrrev_b32_e32 v3, 3, v4
	s_mov_b32 s18, exec_lo
	v_and_b32_sdwa v0, v2, v0 dst_sel:DWORD dst_unused:UNUSED_PAD src0_sel:BYTE_3 src1_sel:DWORD
	v_cmpx_gt_u32_e32 8, v4
; %bb.870:                              ;   in Loop: Header=BB226_10 Depth=1
	v_ffbh_u32_e32 v3, v0
	v_min_u32_e32 v3, 32, v3
	v_subrev_nc_u32_e32 v4, 28, v3
	v_sub_nc_u32_e32 v3, 29, v3
	v_lshlrev_b64 v[4:5], v4, v[0:1]
	v_and_b32_e32 v0, 7, v4
; %bb.871:                              ;   in Loop: Header=BB226_10 Depth=1
	s_or_b32 exec_lo, exec_lo, s18
	v_mov_b32_e32 v4, 24
	v_lshlrev_b32_e32 v0, 20, v0
	v_lshl_add_u32 v3, v3, 23, 0x3c000000
	v_mov_b32_e32 v92, v1
	v_lshlrev_b32_sdwa v2, v4, v2 dst_sel:DWORD dst_unused:UNUSED_PAD src0_sel:DWORD src1_sel:BYTE_3
	v_and_b32_e32 v2, 0x80000000, v2
	v_or3_b32 v93, v0, v2, v3
.LBB226_872:                            ;   in Loop: Header=BB226_10 Depth=1
	s_or_b32 exec_lo, exec_lo, s17
.LBB226_873:                            ;   in Loop: Header=BB226_10 Depth=1
	s_or_b32 exec_lo, exec_lo, s15
.LBB226_874:                            ;   in Loop: Header=BB226_10 Depth=1
	s_or_b32 exec_lo, exec_lo, s13
	flat_load_dword v2, v[36:37] offset:1036
	v_mov_b32_e32 v108, 0
	v_mov_b32_e32 v94, 0
	;; [unrolled: 1-line block ×4, first 2 shown]
	s_waitcnt vmcnt(0) lgkmcnt(0)
	v_cmp_ne_u16_sdwa s5, v2, v1 src0_sel:BYTE_0 src1_sel:DWORD
	s_and_saveexec_b32 s13, s5
	s_cbranch_execz .LBB226_882
; %bb.875:                              ;   in Loop: Header=BB226_10 Depth=1
	v_bfrev_b32_e32 v94, 1
	v_mov_b32_e32 v95, 0
	v_cmp_ne_u16_sdwa s5, v2, v119 src0_sel:BYTE_0 src1_sel:DWORD
	s_and_saveexec_b32 s15, s5
	s_cbranch_execz .LBB226_881
; %bb.876:                              ;   in Loop: Header=BB226_10 Depth=1
	v_mov_b32_e32 v94, 0x7f800001
	v_and_b32_e32 v4, 0x7f, v2
	v_mov_b32_e32 v95, 0
	s_mov_b32 s17, exec_lo
	v_cmpx_ne_u32_e32 0x7f, v4
	s_cbranch_execz .LBB226_880
; %bb.877:                              ;   in Loop: Header=BB226_10 Depth=1
	v_and_b32_e32 v0, 7, v2
	v_lshrrev_b32_e32 v3, 3, v4
	s_mov_b32 s18, exec_lo
	v_cmpx_gt_u32_e32 8, v4
; %bb.878:                              ;   in Loop: Header=BB226_10 Depth=1
	v_ffbh_u32_e32 v3, v0
	v_min_u32_e32 v3, 32, v3
	v_subrev_nc_u32_e32 v4, 28, v3
	v_sub_nc_u32_e32 v3, 29, v3
	v_lshlrev_b64 v[4:5], v4, v[0:1]
	v_and_b32_e32 v0, 7, v4
; %bb.879:                              ;   in Loop: Header=BB226_10 Depth=1
	s_or_b32 exec_lo, exec_lo, s18
	v_lshlrev_b32_e32 v4, 24, v2
	v_lshlrev_b32_e32 v0, 20, v0
	v_lshl_add_u32 v3, v3, 23, 0x3c000000
	v_and_b32_e32 v4, 0x80000000, v4
	v_or3_b32 v0, v0, v4, v3
	v_mov_b32_e32 v95, v1
	v_mov_b32_e32 v94, v0
.LBB226_880:                            ;   in Loop: Header=BB226_10 Depth=1
	s_or_b32 exec_lo, exec_lo, s17
.LBB226_881:                            ;   in Loop: Header=BB226_10 Depth=1
	s_or_b32 exec_lo, exec_lo, s15
.LBB226_882:                            ;   in Loop: Header=BB226_10 Depth=1
	s_or_b32 exec_lo, exec_lo, s13
	v_cmp_ne_u16_sdwa s5, v2, v1 src0_sel:BYTE_1 src1_sel:DWORD
	s_and_saveexec_b32 s13, s5
	s_cbranch_execz .LBB226_890
; %bb.883:                              ;   in Loop: Header=BB226_10 Depth=1
	v_mov_b32_e32 v20, v1
	v_mov_b32_e32 v109, v21
	v_cmp_ne_u16_sdwa s5, v2, v119 src0_sel:BYTE_1 src1_sel:DWORD
	v_mov_b32_e32 v108, v20
	s_and_saveexec_b32 s15, s5
	s_cbranch_execz .LBB226_889
; %bb.884:                              ;   in Loop: Header=BB226_10 Depth=1
	v_mov_b32_e32 v0, 0xffff
	v_mov_b32_e32 v16, v1
	;; [unrolled: 1-line block ×3, first 2 shown]
	s_mov_b32 s17, exec_lo
	v_and_b32_sdwa v0, v0, v2 dst_sel:DWORD dst_unused:UNUSED_PAD src0_sel:DWORD src1_sel:BYTE_1
	v_mov_b32_e32 v108, v16
	v_and_b32_e32 v4, 0x7f, v0
	v_cmpx_ne_u32_e32 0x7f, v4
	s_cbranch_execz .LBB226_888
; %bb.885:                              ;   in Loop: Header=BB226_10 Depth=1
	v_and_b32_e32 v0, 7, v0
	v_lshrrev_b32_e32 v3, 3, v4
	s_mov_b32 s18, exec_lo
	v_cmpx_gt_u32_e32 8, v4
; %bb.886:                              ;   in Loop: Header=BB226_10 Depth=1
	v_ffbh_u32_e32 v3, v0
	v_min_u32_e32 v3, 32, v3
	v_subrev_nc_u32_e32 v4, 28, v3
	v_sub_nc_u32_e32 v3, 29, v3
	v_lshlrev_b64 v[4:5], v4, v[0:1]
	v_and_b32_e32 v0, 7, v4
; %bb.887:                              ;   in Loop: Header=BB226_10 Depth=1
	s_or_b32 exec_lo, exec_lo, s18
	v_lshlrev_b32_e32 v4, 16, v2
	v_lshlrev_b32_e32 v0, 20, v0
	v_lshl_add_u32 v3, v3, 23, 0x3c000000
	v_mov_b32_e32 v108, v1
	v_and_b32_e32 v4, 0x80000000, v4
	v_or3_b32 v109, v0, v4, v3
.LBB226_888:                            ;   in Loop: Header=BB226_10 Depth=1
	s_or_b32 exec_lo, exec_lo, s17
.LBB226_889:                            ;   in Loop: Header=BB226_10 Depth=1
	s_or_b32 exec_lo, exec_lo, s15
.LBB226_890:                            ;   in Loop: Header=BB226_10 Depth=1
	s_or_b32 exec_lo, exec_lo, s13
	v_mov_b32_e32 v0, 0xff
	v_mov_b32_e32 v110, 0
	;; [unrolled: 1-line block ×5, first 2 shown]
	v_and_b32_sdwa v0, v2, v0 dst_sel:DWORD dst_unused:UNUSED_PAD src0_sel:WORD_1 src1_sel:DWORD
	s_mov_b32 s13, exec_lo
	v_cmpx_ne_u16_e32 0, v0
	s_cbranch_execz .LBB226_898
; %bb.891:                              ;   in Loop: Header=BB226_10 Depth=1
	v_bfrev_b32_e32 v124, 1
	v_mov_b32_e32 v125, 0
	s_mov_b32 s15, exec_lo
	v_cmpx_ne_u16_e32 0x80, v0
	s_cbranch_execz .LBB226_897
; %bb.892:                              ;   in Loop: Header=BB226_10 Depth=1
	v_mov_b32_e32 v124, 0x7f800001
	v_bfe_u32 v4, v2, 16, 7
	v_mov_b32_e32 v125, 0
	s_mov_b32 s17, exec_lo
	v_cmpx_ne_u32_e32 0x7f, v4
	s_cbranch_execz .LBB226_896
; %bb.893:                              ;   in Loop: Header=BB226_10 Depth=1
	v_mov_b32_e32 v0, 7
	v_lshrrev_b32_e32 v3, 3, v4
	s_mov_b32 s18, exec_lo
	v_and_b32_sdwa v0, v2, v0 dst_sel:DWORD dst_unused:UNUSED_PAD src0_sel:WORD_1 src1_sel:DWORD
	v_cmpx_gt_u32_e32 8, v4
; %bb.894:                              ;   in Loop: Header=BB226_10 Depth=1
	v_ffbh_u32_e32 v3, v0
	v_min_u32_e32 v3, 32, v3
	v_subrev_nc_u32_e32 v4, 28, v3
	v_sub_nc_u32_e32 v3, 29, v3
	v_lshlrev_b64 v[4:5], v4, v[0:1]
	v_and_b32_e32 v0, 7, v4
; %bb.895:                              ;   in Loop: Header=BB226_10 Depth=1
	s_or_b32 exec_lo, exec_lo, s18
	v_mov_b32_e32 v4, 24
	v_lshlrev_b32_e32 v0, 20, v0
	v_lshl_add_u32 v3, v3, 23, 0x3c000000
	v_lshlrev_b32_sdwa v4, v4, v2 dst_sel:DWORD dst_unused:UNUSED_PAD src0_sel:DWORD src1_sel:WORD_1
	v_and_b32_e32 v4, 0x80000000, v4
	v_or3_b32 v0, v0, v4, v3
	v_mov_b32_e32 v125, v1
	v_mov_b32_e32 v124, v0
.LBB226_896:                            ;   in Loop: Header=BB226_10 Depth=1
	s_or_b32 exec_lo, exec_lo, s17
.LBB226_897:                            ;   in Loop: Header=BB226_10 Depth=1
	s_or_b32 exec_lo, exec_lo, s15
.LBB226_898:                            ;   in Loop: Header=BB226_10 Depth=1
	s_or_b32 exec_lo, exec_lo, s13
	s_mov_b32 s13, exec_lo
	v_cmpx_lt_u32_e32 0xffffff, v2
	s_cbranch_execz .LBB226_906
; %bb.899:                              ;   in Loop: Header=BB226_10 Depth=1
	v_mov_b32_e32 v20, v1
	v_mov_b32_e32 v111, v21
	v_cmp_ne_u32_sdwa s5, v2, v119 src0_sel:BYTE_3 src1_sel:DWORD
	v_mov_b32_e32 v110, v20
	s_and_saveexec_b32 s15, s5
	s_cbranch_execz .LBB226_905
; %bb.900:                              ;   in Loop: Header=BB226_10 Depth=1
	v_mov_b32_e32 v16, v1
	v_mov_b32_e32 v111, v17
	v_bfe_u32 v4, v2, 24, 7
	s_mov_b32 s17, exec_lo
	v_mov_b32_e32 v110, v16
	v_cmpx_ne_u32_e32 0x7f, v4
	s_cbranch_execz .LBB226_904
; %bb.901:                              ;   in Loop: Header=BB226_10 Depth=1
	v_mov_b32_e32 v0, 7
	v_lshrrev_b32_e32 v3, 3, v4
	s_mov_b32 s18, exec_lo
	v_and_b32_sdwa v0, v2, v0 dst_sel:DWORD dst_unused:UNUSED_PAD src0_sel:BYTE_3 src1_sel:DWORD
	v_cmpx_gt_u32_e32 8, v4
; %bb.902:                              ;   in Loop: Header=BB226_10 Depth=1
	v_ffbh_u32_e32 v3, v0
	v_min_u32_e32 v3, 32, v3
	v_subrev_nc_u32_e32 v4, 28, v3
	v_sub_nc_u32_e32 v3, 29, v3
	v_lshlrev_b64 v[4:5], v4, v[0:1]
	v_and_b32_e32 v0, 7, v4
; %bb.903:                              ;   in Loop: Header=BB226_10 Depth=1
	s_or_b32 exec_lo, exec_lo, s18
	v_mov_b32_e32 v4, 24
	v_lshlrev_b32_e32 v0, 20, v0
	v_lshl_add_u32 v3, v3, 23, 0x3c000000
	v_mov_b32_e32 v110, v1
	v_lshlrev_b32_sdwa v2, v4, v2 dst_sel:DWORD dst_unused:UNUSED_PAD src0_sel:DWORD src1_sel:BYTE_3
	v_and_b32_e32 v2, 0x80000000, v2
	v_or3_b32 v111, v0, v2, v3
.LBB226_904:                            ;   in Loop: Header=BB226_10 Depth=1
	s_or_b32 exec_lo, exec_lo, s17
.LBB226_905:                            ;   in Loop: Header=BB226_10 Depth=1
	s_or_b32 exec_lo, exec_lo, s15
.LBB226_906:                            ;   in Loop: Header=BB226_10 Depth=1
	s_or_b32 exec_lo, exec_lo, s13
	flat_load_dword v4, v[36:37] offset:1536
	v_mov_b32_e32 v2, 0
	v_mov_b32_e32 v126, 0
	;; [unrolled: 1-line block ×4, first 2 shown]
	s_waitcnt vmcnt(0) lgkmcnt(0)
	v_cmp_ne_u16_sdwa s5, v4, v1 src0_sel:BYTE_0 src1_sel:DWORD
	s_and_saveexec_b32 s13, s5
	s_cbranch_execz .LBB226_914
; %bb.907:                              ;   in Loop: Header=BB226_10 Depth=1
	v_bfrev_b32_e32 v126, 1
	v_mov_b32_e32 v127, 0
	v_cmp_ne_u16_sdwa s5, v4, v119 src0_sel:BYTE_0 src1_sel:DWORD
	s_and_saveexec_b32 s15, s5
	s_cbranch_execz .LBB226_913
; %bb.908:                              ;   in Loop: Header=BB226_10 Depth=1
	v_mov_b32_e32 v126, 0x7f800001
	v_and_b32_e32 v6, 0x7f, v4
	v_mov_b32_e32 v127, 0
	s_mov_b32 s17, exec_lo
	v_cmpx_ne_u32_e32 0x7f, v6
	s_cbranch_execz .LBB226_912
; %bb.909:                              ;   in Loop: Header=BB226_10 Depth=1
	v_and_b32_e32 v0, 7, v4
	v_lshrrev_b32_e32 v5, 3, v6
	s_mov_b32 s18, exec_lo
	v_cmpx_gt_u32_e32 8, v6
; %bb.910:                              ;   in Loop: Header=BB226_10 Depth=1
	v_ffbh_u32_e32 v5, v0
	v_min_u32_e32 v5, 32, v5
	v_subrev_nc_u32_e32 v6, 28, v5
	v_sub_nc_u32_e32 v5, 29, v5
	v_lshlrev_b64 v[6:7], v6, v[0:1]
	v_and_b32_e32 v0, 7, v6
; %bb.911:                              ;   in Loop: Header=BB226_10 Depth=1
	s_or_b32 exec_lo, exec_lo, s18
	v_lshlrev_b32_e32 v6, 24, v4
	v_lshlrev_b32_e32 v0, 20, v0
	v_lshl_add_u32 v5, v5, 23, 0x3c000000
	v_and_b32_e32 v6, 0x80000000, v6
	v_or3_b32 v0, v0, v6, v5
	v_mov_b32_e32 v127, v1
	v_mov_b32_e32 v126, v0
.LBB226_912:                            ;   in Loop: Header=BB226_10 Depth=1
	s_or_b32 exec_lo, exec_lo, s17
.LBB226_913:                            ;   in Loop: Header=BB226_10 Depth=1
	s_or_b32 exec_lo, exec_lo, s15
.LBB226_914:                            ;   in Loop: Header=BB226_10 Depth=1
	s_or_b32 exec_lo, exec_lo, s13
	v_cmp_ne_u16_sdwa s5, v4, v1 src0_sel:BYTE_1 src1_sel:DWORD
	s_and_saveexec_b32 s13, s5
	s_cbranch_execz .LBB226_922
; %bb.915:                              ;   in Loop: Header=BB226_10 Depth=1
	v_mov_b32_e32 v20, v1
	v_cmp_ne_u16_sdwa s5, v4, v119 src0_sel:BYTE_1 src1_sel:DWORD
	v_mov_b32_e32 v2, v20
	v_mov_b32_e32 v3, v21
	s_and_saveexec_b32 s15, s5
	s_cbranch_execz .LBB226_921
; %bb.916:                              ;   in Loop: Header=BB226_10 Depth=1
	v_mov_b32_e32 v0, 0xffff
	v_mov_b32_e32 v16, v1
	s_mov_b32 s17, exec_lo
	v_and_b32_sdwa v0, v0, v4 dst_sel:DWORD dst_unused:UNUSED_PAD src0_sel:DWORD src1_sel:BYTE_1
	v_mov_b32_e32 v2, v16
	v_mov_b32_e32 v3, v17
	v_and_b32_e32 v5, 0x7f, v0
	v_cmpx_ne_u32_e32 0x7f, v5
	s_cbranch_execz .LBB226_920
; %bb.917:                              ;   in Loop: Header=BB226_10 Depth=1
	v_and_b32_e32 v0, 7, v0
	v_lshrrev_b32_e32 v2, 3, v5
	s_mov_b32 s18, exec_lo
	v_cmpx_gt_u32_e32 8, v5
; %bb.918:                              ;   in Loop: Header=BB226_10 Depth=1
	v_ffbh_u32_e32 v2, v0
	v_min_u32_e32 v2, 32, v2
	v_subrev_nc_u32_e32 v3, 28, v2
	v_sub_nc_u32_e32 v2, 29, v2
	v_lshlrev_b64 v[5:6], v3, v[0:1]
	v_and_b32_e32 v0, 7, v5
; %bb.919:                              ;   in Loop: Header=BB226_10 Depth=1
	s_or_b32 exec_lo, exec_lo, s18
	v_lshlrev_b32_e32 v3, 16, v4
	v_lshlrev_b32_e32 v0, 20, v0
	v_lshl_add_u32 v2, v2, 23, 0x3c000000
	v_and_b32_e32 v3, 0x80000000, v3
	v_or3_b32 v3, v0, v3, v2
	v_mov_b32_e32 v2, v1
.LBB226_920:                            ;   in Loop: Header=BB226_10 Depth=1
	s_or_b32 exec_lo, exec_lo, s17
.LBB226_921:                            ;   in Loop: Header=BB226_10 Depth=1
	s_or_b32 exec_lo, exec_lo, s15
.LBB226_922:                            ;   in Loop: Header=BB226_10 Depth=1
	s_or_b32 exec_lo, exec_lo, s13
	v_mov_b32_e32 v0, 0xff
	v_mov_b32_e32 v10, 0
	;; [unrolled: 1-line block ×5, first 2 shown]
	v_and_b32_sdwa v0, v4, v0 dst_sel:DWORD dst_unused:UNUSED_PAD src0_sel:WORD_1 src1_sel:DWORD
	s_mov_b32 s13, exec_lo
	v_cmpx_ne_u16_e32 0, v0
	s_cbranch_execz .LBB226_930
; %bb.923:                              ;   in Loop: Header=BB226_10 Depth=1
	v_bfrev_b32_e32 v24, 1
	v_mov_b32_e32 v25, 0
	s_mov_b32 s15, exec_lo
	v_cmpx_ne_u16_e32 0x80, v0
	s_cbranch_execz .LBB226_929
; %bb.924:                              ;   in Loop: Header=BB226_10 Depth=1
	v_mov_b32_e32 v24, 0x7f800001
	v_bfe_u32 v6, v4, 16, 7
	v_mov_b32_e32 v25, 0
	s_mov_b32 s17, exec_lo
	v_cmpx_ne_u32_e32 0x7f, v6
	s_cbranch_execz .LBB226_928
; %bb.925:                              ;   in Loop: Header=BB226_10 Depth=1
	v_mov_b32_e32 v0, 7
	v_lshrrev_b32_e32 v5, 3, v6
	s_mov_b32 s18, exec_lo
	v_and_b32_sdwa v0, v4, v0 dst_sel:DWORD dst_unused:UNUSED_PAD src0_sel:WORD_1 src1_sel:DWORD
	v_cmpx_gt_u32_e32 8, v6
; %bb.926:                              ;   in Loop: Header=BB226_10 Depth=1
	v_ffbh_u32_e32 v5, v0
	v_min_u32_e32 v5, 32, v5
	v_subrev_nc_u32_e32 v6, 28, v5
	v_sub_nc_u32_e32 v5, 29, v5
	v_lshlrev_b64 v[6:7], v6, v[0:1]
	v_and_b32_e32 v0, 7, v6
; %bb.927:                              ;   in Loop: Header=BB226_10 Depth=1
	s_or_b32 exec_lo, exec_lo, s18
	v_mov_b32_e32 v6, 24
	v_lshlrev_b32_e32 v0, 20, v0
	v_lshl_add_u32 v5, v5, 23, 0x3c000000
	v_lshlrev_b32_sdwa v6, v6, v4 dst_sel:DWORD dst_unused:UNUSED_PAD src0_sel:DWORD src1_sel:WORD_1
	v_and_b32_e32 v6, 0x80000000, v6
	v_or3_b32 v0, v0, v6, v5
	v_mov_b32_e32 v25, v1
	v_mov_b32_e32 v24, v0
.LBB226_928:                            ;   in Loop: Header=BB226_10 Depth=1
	s_or_b32 exec_lo, exec_lo, s17
.LBB226_929:                            ;   in Loop: Header=BB226_10 Depth=1
	s_or_b32 exec_lo, exec_lo, s15
.LBB226_930:                            ;   in Loop: Header=BB226_10 Depth=1
	s_or_b32 exec_lo, exec_lo, s13
	s_mov_b32 s13, exec_lo
	v_cmpx_lt_u32_e32 0xffffff, v4
	s_cbranch_execz .LBB226_938
; %bb.931:                              ;   in Loop: Header=BB226_10 Depth=1
	v_mov_b32_e32 v20, v1
	v_cmp_ne_u32_sdwa s5, v4, v119 src0_sel:BYTE_3 src1_sel:DWORD
	v_mov_b32_e32 v10, v20
	v_mov_b32_e32 v11, v21
	s_and_saveexec_b32 s15, s5
	s_cbranch_execz .LBB226_937
; %bb.932:                              ;   in Loop: Header=BB226_10 Depth=1
	v_mov_b32_e32 v16, v1
	v_bfe_u32 v6, v4, 24, 7
	s_mov_b32 s17, exec_lo
	v_mov_b32_e32 v10, v16
	v_mov_b32_e32 v11, v17
	v_cmpx_ne_u32_e32 0x7f, v6
	s_cbranch_execz .LBB226_936
; %bb.933:                              ;   in Loop: Header=BB226_10 Depth=1
	v_mov_b32_e32 v0, 7
	v_lshrrev_b32_e32 v5, 3, v6
	s_mov_b32 s18, exec_lo
	v_and_b32_sdwa v0, v4, v0 dst_sel:DWORD dst_unused:UNUSED_PAD src0_sel:BYTE_3 src1_sel:DWORD
	v_cmpx_gt_u32_e32 8, v6
; %bb.934:                              ;   in Loop: Header=BB226_10 Depth=1
	v_ffbh_u32_e32 v5, v0
	v_min_u32_e32 v5, 32, v5
	v_subrev_nc_u32_e32 v6, 28, v5
	v_sub_nc_u32_e32 v5, 29, v5
	v_lshlrev_b64 v[6:7], v6, v[0:1]
	v_and_b32_e32 v0, 7, v6
; %bb.935:                              ;   in Loop: Header=BB226_10 Depth=1
	s_or_b32 exec_lo, exec_lo, s18
	v_mov_b32_e32 v6, 24
	v_lshlrev_b32_e32 v0, 20, v0
	v_lshl_add_u32 v5, v5, 23, 0x3c000000
	v_mov_b32_e32 v10, v1
	v_lshlrev_b32_sdwa v4, v6, v4 dst_sel:DWORD dst_unused:UNUSED_PAD src0_sel:DWORD src1_sel:BYTE_3
	v_and_b32_e32 v4, 0x80000000, v4
	v_or3_b32 v11, v0, v4, v5
.LBB226_936:                            ;   in Loop: Header=BB226_10 Depth=1
	s_or_b32 exec_lo, exec_lo, s17
.LBB226_937:                            ;   in Loop: Header=BB226_10 Depth=1
	s_or_b32 exec_lo, exec_lo, s15
.LBB226_938:                            ;   in Loop: Header=BB226_10 Depth=1
	s_or_b32 exec_lo, exec_lo, s13
	flat_load_dword v18, v[36:37] offset:1540
	v_mov_b32_e32 v6, 0
	v_mov_b32_e32 v36, 0
	v_mov_b32_e32 v7, 0
	v_mov_b32_e32 v37, 0
	s_waitcnt vmcnt(0) lgkmcnt(0)
	v_cmp_ne_u16_sdwa s5, v18, v1 src0_sel:BYTE_0 src1_sel:DWORD
	s_and_saveexec_b32 s13, s5
	s_cbranch_execz .LBB226_946
; %bb.939:                              ;   in Loop: Header=BB226_10 Depth=1
	v_bfrev_b32_e32 v36, 1
	v_mov_b32_e32 v37, 0
	v_cmp_ne_u16_sdwa s5, v18, v119 src0_sel:BYTE_0 src1_sel:DWORD
	s_and_saveexec_b32 s15, s5
	s_cbranch_execz .LBB226_945
; %bb.940:                              ;   in Loop: Header=BB226_10 Depth=1
	v_mov_b32_e32 v36, 0x7f800001
	v_and_b32_e32 v5, 0x7f, v18
	v_mov_b32_e32 v37, 0
	s_mov_b32 s17, exec_lo
	v_cmpx_ne_u32_e32 0x7f, v5
	s_cbranch_execz .LBB226_944
; %bb.941:                              ;   in Loop: Header=BB226_10 Depth=1
	v_and_b32_e32 v0, 7, v18
	v_lshrrev_b32_e32 v4, 3, v5
	s_mov_b32 s18, exec_lo
	v_cmpx_gt_u32_e32 8, v5
; %bb.942:                              ;   in Loop: Header=BB226_10 Depth=1
	v_ffbh_u32_e32 v4, v0
	v_min_u32_e32 v4, 32, v4
	v_subrev_nc_u32_e32 v5, 28, v4
	v_sub_nc_u32_e32 v4, 29, v4
	v_lshlrev_b64 v[19:20], v5, v[0:1]
	v_and_b32_e32 v0, 7, v19
; %bb.943:                              ;   in Loop: Header=BB226_10 Depth=1
	s_or_b32 exec_lo, exec_lo, s18
	v_lshlrev_b32_e32 v5, 24, v18
	v_lshlrev_b32_e32 v0, 20, v0
	v_lshl_add_u32 v4, v4, 23, 0x3c000000
	v_and_b32_e32 v5, 0x80000000, v5
	v_or3_b32 v0, v0, v5, v4
	v_mov_b32_e32 v37, v1
	v_mov_b32_e32 v36, v0
.LBB226_944:                            ;   in Loop: Header=BB226_10 Depth=1
	s_or_b32 exec_lo, exec_lo, s17
.LBB226_945:                            ;   in Loop: Header=BB226_10 Depth=1
	s_or_b32 exec_lo, exec_lo, s15
.LBB226_946:                            ;   in Loop: Header=BB226_10 Depth=1
	s_or_b32 exec_lo, exec_lo, s13
	v_cmp_ne_u16_sdwa s5, v18, v1 src0_sel:BYTE_1 src1_sel:DWORD
	s_and_saveexec_b32 s13, s5
	s_cbranch_execz .LBB226_954
; %bb.947:                              ;   in Loop: Header=BB226_10 Depth=1
	v_mov_b32_e32 v20, v1
	v_cmp_ne_u16_sdwa s5, v18, v119 src0_sel:BYTE_1 src1_sel:DWORD
	v_mov_b32_e32 v6, v20
	v_mov_b32_e32 v7, v21
	s_and_saveexec_b32 s15, s5
	s_cbranch_execz .LBB226_953
; %bb.948:                              ;   in Loop: Header=BB226_10 Depth=1
	v_mov_b32_e32 v0, 0xffff
	v_mov_b32_e32 v16, v1
	s_mov_b32 s17, exec_lo
	v_and_b32_sdwa v0, v0, v18 dst_sel:DWORD dst_unused:UNUSED_PAD src0_sel:DWORD src1_sel:BYTE_1
	v_mov_b32_e32 v6, v16
	v_mov_b32_e32 v7, v17
	v_and_b32_e32 v5, 0x7f, v0
	v_cmpx_ne_u32_e32 0x7f, v5
	s_cbranch_execz .LBB226_952
; %bb.949:                              ;   in Loop: Header=BB226_10 Depth=1
	v_and_b32_e32 v0, 7, v0
	v_lshrrev_b32_e32 v4, 3, v5
	s_mov_b32 s18, exec_lo
	v_cmpx_gt_u32_e32 8, v5
; %bb.950:                              ;   in Loop: Header=BB226_10 Depth=1
	v_ffbh_u32_e32 v4, v0
	v_min_u32_e32 v4, 32, v4
	v_subrev_nc_u32_e32 v5, 28, v4
	v_sub_nc_u32_e32 v4, 29, v4
	v_lshlrev_b64 v[5:6], v5, v[0:1]
	v_and_b32_e32 v0, 7, v5
; %bb.951:                              ;   in Loop: Header=BB226_10 Depth=1
	s_or_b32 exec_lo, exec_lo, s18
	v_lshlrev_b32_e32 v5, 16, v18
	v_lshlrev_b32_e32 v0, 20, v0
	v_lshl_add_u32 v4, v4, 23, 0x3c000000
	v_mov_b32_e32 v6, v1
	v_and_b32_e32 v5, 0x80000000, v5
	v_or3_b32 v7, v0, v5, v4
.LBB226_952:                            ;   in Loop: Header=BB226_10 Depth=1
	s_or_b32 exec_lo, exec_lo, s17
.LBB226_953:                            ;   in Loop: Header=BB226_10 Depth=1
	s_or_b32 exec_lo, exec_lo, s15
.LBB226_954:                            ;   in Loop: Header=BB226_10 Depth=1
	s_or_b32 exec_lo, exec_lo, s13
	v_mov_b32_e32 v0, 0xff
	v_mov_b32_e32 v122, 0
	;; [unrolled: 1-line block ×5, first 2 shown]
	v_and_b32_sdwa v0, v18, v0 dst_sel:DWORD dst_unused:UNUSED_PAD src0_sel:WORD_1 src1_sel:DWORD
	s_mov_b32 s13, exec_lo
	v_cmpx_ne_u16_e32 0, v0
	s_cbranch_execz .LBB226_962
; %bb.955:                              ;   in Loop: Header=BB226_10 Depth=1
	v_bfrev_b32_e32 v4, 1
	v_mov_b32_e32 v5, 0
	s_mov_b32 s15, exec_lo
	v_cmpx_ne_u16_e32 0x80, v0
	s_cbranch_execz .LBB226_961
; %bb.956:                              ;   in Loop: Header=BB226_10 Depth=1
	v_mov_b32_e32 v4, 0x7f800001
	v_bfe_u32 v16, v18, 16, 7
	v_mov_b32_e32 v5, 0
	s_mov_b32 s17, exec_lo
	v_cmpx_ne_u32_e32 0x7f, v16
	s_cbranch_execz .LBB226_960
; %bb.957:                              ;   in Loop: Header=BB226_10 Depth=1
	v_mov_b32_e32 v0, 7
	v_lshrrev_b32_e32 v4, 3, v16
	s_mov_b32 s18, exec_lo
	v_and_b32_sdwa v0, v18, v0 dst_sel:DWORD dst_unused:UNUSED_PAD src0_sel:WORD_1 src1_sel:DWORD
	v_cmpx_gt_u32_e32 8, v16
; %bb.958:                              ;   in Loop: Header=BB226_10 Depth=1
	v_ffbh_u32_e32 v4, v0
	v_min_u32_e32 v4, 32, v4
	v_subrev_nc_u32_e32 v5, 28, v4
	v_sub_nc_u32_e32 v4, 29, v4
	v_lshlrev_b64 v[19:20], v5, v[0:1]
	v_and_b32_e32 v0, 7, v19
; %bb.959:                              ;   in Loop: Header=BB226_10 Depth=1
	s_or_b32 exec_lo, exec_lo, s18
	v_mov_b32_e32 v5, 24
	v_lshlrev_b32_e32 v0, 20, v0
	v_lshl_add_u32 v4, v4, 23, 0x3c000000
	v_lshlrev_b32_sdwa v5, v5, v18 dst_sel:DWORD dst_unused:UNUSED_PAD src0_sel:DWORD src1_sel:WORD_1
	v_and_b32_e32 v5, 0x80000000, v5
	v_or3_b32 v0, v0, v5, v4
	v_mov_b32_e32 v5, v1
	v_mov_b32_e32 v4, v0
.LBB226_960:                            ;   in Loop: Header=BB226_10 Depth=1
	s_or_b32 exec_lo, exec_lo, s17
.LBB226_961:                            ;   in Loop: Header=BB226_10 Depth=1
	s_or_b32 exec_lo, exec_lo, s15
.LBB226_962:                            ;   in Loop: Header=BB226_10 Depth=1
	s_or_b32 exec_lo, exec_lo, s13
	v_cmp_lt_u32_e64 s5, 0xffffff, v18
	s_mov_b32 s13, exec_lo
	v_mov_b32_e32 v20, v12
	v_mov_b32_e32 v58, v27
	s_and_b32 s5, s13, s5
	s_mov_b32 exec_lo, s5
	s_cbranch_execz .LBB226_9
; %bb.963:                              ;   in Loop: Header=BB226_10 Depth=1
	v_mov_b32_e32 v20, v1
	v_mov_b32_e32 v123, v21
	v_cmp_ne_u32_sdwa s5, v18, v119 src0_sel:BYTE_3 src1_sel:DWORD
	v_mov_b32_e32 v122, v20
	s_and_saveexec_b32 s15, s5
	s_cbranch_execz .LBB226_8
; %bb.964:                              ;   in Loop: Header=BB226_10 Depth=1
	v_mov_b32_e32 v16, v1
	v_mov_b32_e32 v123, v17
	v_bfe_u32 v19, v18, 24, 7
	s_mov_b32 s17, exec_lo
	v_mov_b32_e32 v122, v16
	v_cmpx_ne_u32_e32 0x7f, v19
	s_cbranch_execz .LBB226_7
; %bb.965:                              ;   in Loop: Header=BB226_10 Depth=1
	v_mov_b32_e32 v0, 7
	v_lshrrev_b32_e32 v16, 3, v19
	s_mov_b32 s18, exec_lo
	v_and_b32_sdwa v0, v18, v0 dst_sel:DWORD dst_unused:UNUSED_PAD src0_sel:BYTE_3 src1_sel:DWORD
	v_cmpx_gt_u32_e32 8, v19
	s_cbranch_execz .LBB226_6
; %bb.966:                              ;   in Loop: Header=BB226_10 Depth=1
	v_ffbh_u32_e32 v16, v0
	v_min_u32_e32 v16, 32, v16
	v_subrev_nc_u32_e32 v19, 28, v16
	v_sub_nc_u32_e32 v16, 29, v16
	v_lshlrev_b64 v[19:20], v19, v[0:1]
	v_and_b32_e32 v0, 7, v19
	s_branch .LBB226_6
.LBB226_967:
	s_or_b32 exec_lo, exec_lo, s9
	s_clause 0xb
	buffer_load_dword v11, off, s[0:3], s32 offset:1292
	buffer_load_dword v10, off, s[0:3], s32 offset:1296
	;; [unrolled: 1-line block ×12, first 2 shown]
.LBB226_968:
	s_or_b32 exec_lo, exec_lo, s7
	v_mbcnt_lo_u32_b32 v0, -1, 0
	v_max_f32_e32 v4, v7, v7
	s_lshr_b32 s9, s6, 16
	v_xor_b32_e32 v1, 16, v0
	v_xor_b32_e32 v3, 8, v0
	v_cmp_gt_i32_e32 vcc_lo, 32, v1
	v_cndmask_b32_e32 v1, v0, v1, vcc_lo
	v_cmp_gt_i32_e32 vcc_lo, 32, v3
	v_lshlrev_b32_e32 v1, 2, v1
	v_cndmask_b32_e32 v3, v0, v3, vcc_lo
	ds_bpermute_b32 v2, v1, v7
	s_waitcnt lgkmcnt(0)
	v_max_f32_e32 v5, v2, v2
	v_lshlrev_b32_e32 v2, 2, v3
	v_max_f32_e32 v3, v4, v5
	v_xor_b32_e32 v5, 4, v0
	ds_bpermute_b32 v4, v2, v3
	v_cmp_gt_i32_e32 vcc_lo, 32, v5
	v_cndmask_b32_e32 v5, v0, v5, vcc_lo
	v_lshlrev_b32_e32 v84, 2, v5
	v_xor_b32_e32 v5, 2, v0
	v_cmp_gt_i32_e32 vcc_lo, 32, v5
	s_waitcnt lgkmcnt(0)
	v_max_f32_e32 v4, v4, v4
	v_cndmask_b32_e32 v5, v0, v5, vcc_lo
	v_max_f32_e32 v3, v3, v4
	v_lshlrev_b32_e32 v97, 2, v5
	v_xor_b32_e32 v5, 1, v0
	ds_bpermute_b32 v4, v84, v3
	v_cmp_gt_i32_e32 vcc_lo, 32, v5
	v_cndmask_b32_e32 v5, v0, v5, vcc_lo
	v_lshlrev_b32_e32 v96, 2, v5
	s_waitcnt lgkmcnt(0)
	v_max_f32_e32 v4, v4, v4
	v_max_f32_e32 v3, v3, v4
	ds_bpermute_b32 v4, v97, v3
	s_waitcnt lgkmcnt(0)
	v_max_f32_e32 v4, v4, v4
	v_max_f32_e32 v0, v3, v4
	buffer_load_dword v3, off, s[0:3], s32 offset:1276 ; 4-byte Folded Reload
	ds_bpermute_b32 v4, v96, v0
	s_waitcnt vmcnt(0)
	v_cmp_eq_u32_e32 vcc_lo, 0, v3
	buffer_load_dword v3, off, s[0:3], s32 offset:1280 ; 4-byte Folded Reload
	s_waitcnt vmcnt(0)
	v_lshlrev_b32_e32 v3, 2, v3
	s_and_saveexec_b32 s5, vcc_lo
	s_cbranch_execz .LBB226_970
; %bb.969:
	s_waitcnt lgkmcnt(0)
	v_max_f32_e32 v4, v4, v4
	v_max_f32_e32 v0, v0, v0
	;; [unrolled: 1-line block ×3, first 2 shown]
	ds_write_b32 v3, v0 offset:480
.LBB226_970:
	s_or_b32 exec_lo, exec_lo, s5
	buffer_load_dword v0, off, s[0:3], s32 offset:1276 ; 4-byte Folded Reload
	s_waitcnt vmcnt(0) lgkmcnt(0)
	s_waitcnt_vscnt null, 0x0
	s_barrier
	buffer_gl0_inv
	v_cmp_gt_u32_e64 s5, 4, v0
	v_mov_b32_e32 v0, 0xff7fffff
	s_and_saveexec_b32 s6, s5
; %bb.971:
	ds_read_b32 v0, v16 offset:480
; %bb.972:
	s_or_b32 exec_lo, exec_lo, s6
	s_waitcnt lgkmcnt(0)
	ds_bpermute_b32 v4, v97, v0
	v_max_f32_e32 v0, v0, v0
	v_mov_b32_e32 v5, 0
	buffer_load_dword v6, off, s[0:3], s32 offset:1272 ; 4-byte Folded Reload
	s_waitcnt lgkmcnt(0)
	v_max_f32_e32 v4, v4, v4
	v_max_f32_e32 v0, v0, v4
	ds_bpermute_b32 v4, v96, v0
	s_waitcnt lgkmcnt(0)
	v_max_f32_e32 v4, v4, v4
	v_max_f32_e32 v0, v0, v4
	ds_bpermute_b32 v4, v5, v0
	buffer_load_dword v0, off, s[0:3], s32 offset:192 ; 4-byte Folded Reload
	s_waitcnt vmcnt(0)
	v_lshlrev_b32_e32 v0, 5, v0
	v_min_i32_e32 v0, v0, v26
	v_cmp_lt_i32_e64 s6, v6, v0
	s_and_saveexec_b32 s13, s6
	s_cbranch_execz .LBB226_976
; %bb.973:
	buffer_load_dword v7, off, s[0:3], s32 offset:1272 ; 4-byte Folded Reload
	s_getpc_b64 s[18:19]
	s_add_u32 s18, s18, llvm.amdgcn.dynlds.offset.table@rel32@lo+4
	s_addc_u32 s19, s19, llvm.amdgcn.dynlds.offset.table@rel32@hi+12
	s_ashr_i32 s17, s16, 31
	v_mov_b32_e32 v5, 0
	s_lshl_b64 s[20:21], s[16:17], 2
	s_mov_b32 s15, 0
	s_add_u32 s18, s18, s20
	s_addc_u32 s19, s19, s21
	s_load_dword s7, s[18:19], 0x0
	s_waitcnt vmcnt(0) lgkmcnt(0)
	v_lshl_add_u32 v6, v7, 2, s7
	.p2align	6
.LBB226_974:                            ; =>This Inner Loop Header: Depth=1
	ds_read_b32 v8, v6
	v_add_nc_u32_e32 v7, 0x80, v7
	v_cmp_ge_i32_e64 s7, v7, v0
	s_or_b32 s15, s7, s15
	s_waitcnt lgkmcnt(0)
	v_sub_f32_e32 v8, v8, v4
	v_mul_f32_e32 v8, 0x3fb8aa3b, v8
	v_exp_f32_e32 v8, v8
	ds_write_b32 v6, v8
	v_add_f32_e32 v5, v5, v8
	v_add_nc_u32_e32 v6, 0x200, v6
	s_andn2_b32 exec_lo, exec_lo, s15
	s_cbranch_execnz .LBB226_974
; %bb.975:
	s_or_b32 exec_lo, exec_lo, s15
.LBB226_976:
	s_or_b32 exec_lo, exec_lo, s13
	ds_bpermute_b32 v1, v1, v5
	s_waitcnt lgkmcnt(0)
	v_add_f32_e32 v1, v5, v1
	ds_bpermute_b32 v2, v2, v1
	s_waitcnt lgkmcnt(0)
	v_add_f32_e32 v1, v1, v2
	;; [unrolled: 3-line block ×5, first 2 shown]
	s_and_saveexec_b32 s7, vcc_lo
; %bb.977:
	ds_write_b32 v3, v1 offset:496
; %bb.978:
	s_or_b32 exec_lo, exec_lo, s7
	s_waitcnt lgkmcnt(0)
	s_barrier
	buffer_gl0_inv
	s_and_saveexec_b32 s7, s5
; %bb.979:
	ds_read_b32 v1, v16 offset:496
; %bb.980:
	s_or_b32 exec_lo, exec_lo, s7
	s_waitcnt lgkmcnt(0)
	ds_bpermute_b32 v2, v97, v1
	s_waitcnt lgkmcnt(0)
	v_add_f32_e32 v1, v1, v2
	ds_bpermute_b32 v2, v96, v1
	s_waitcnt lgkmcnt(0)
	v_add_f32_e32 v1, v1, v2
	v_mov_b32_e32 v2, 0
	ds_bpermute_b32 v1, v2, v1
	s_and_saveexec_b32 s5, s6
	s_cbranch_execz .LBB226_983
; %bb.981:
	s_waitcnt lgkmcnt(0)
	v_add_f32_e32 v2, 0x358637bd, v1
	s_getpc_b64 s[6:7]
	s_add_u32 s6, s6, llvm.amdgcn.dynlds.offset.table@rel32@lo+4
	s_addc_u32 s7, s7, llvm.amdgcn.dynlds.offset.table@rel32@hi+12
	s_ashr_i32 s17, s16, 31
	s_lshl_b64 s[18:19], s[16:17], 2
	v_div_scale_f32 v1, null, v2, v2, 1.0
	v_div_scale_f32 v5, vcc_lo, 1.0, v2, 1.0
	s_add_u32 s6, s6, s18
	v_rcp_f32_e32 v3, v1
	s_addc_u32 s7, s7, s19
	s_load_dword s6, s[6:7], 0x0
	v_fma_f32 v4, -v1, v3, 1.0
	v_fmac_f32_e32 v3, v4, v3
	v_mul_f32_e32 v4, v5, v3
	v_fma_f32 v6, -v1, v4, v5
	v_fmac_f32_e32 v4, v6, v3
	v_fma_f32 v1, -v1, v4, v5
	v_div_fmas_f32 v3, v1, v3, v4
	buffer_load_dword v4, off, s[0:3], s32 offset:1272 ; 4-byte Folded Reload
	v_div_fixup_f32 v2, v3, v2, 1.0
	s_waitcnt vmcnt(0) lgkmcnt(0)
	v_lshl_add_u32 v1, v4, 2, s6
	v_mov_b32_e32 v3, v4
	s_mov_b32 s6, 0
.LBB226_982:                            ; =>This Inner Loop Header: Depth=1
	ds_read_b32 v4, v1
	v_add_nc_u32_e32 v3, 0x80, v3
	v_cmp_ge_i32_e32 vcc_lo, v3, v0
	s_or_b32 s6, vcc_lo, s6
	s_waitcnt lgkmcnt(0)
	v_mul_f32_e32 v4, v2, v4
	ds_write_b32 v1, v4
	v_add_nc_u32_e32 v1, 0x200, v1
	s_andn2_b32 exec_lo, exec_lo, s6
	s_cbranch_execnz .LBB226_982
.LBB226_983:
	s_or_b32 exec_lo, exec_lo, s5
	s_waitcnt lgkmcnt(0)
	s_barrier
	buffer_gl0_inv
	s_mov_b32 s5, exec_lo
	buffer_load_dword v2, off, s[0:3], s32 offset:1272 ; 4-byte Folded Reload
	s_and_b32 s6, s5, s4
	s_xor_b32 s4, s6, s5
	s_mov_b32 exec_lo, s6
; %bb.984:
	s_ashr_i32 s17, s16, 31
                                        ; implicit-def: $vgpr0
                                        ; implicit-def: $vgpr26
                                        ; kill: killed $vgpr0
                                        ; implicit-def: $vgpr21
                                        ; implicit-def: $vgpr20
                                        ; implicit-def: $vgpr10
                                        ; implicit-def: $vgpr11
                                        ; implicit-def: $vgpr0
                                        ; kill: killed $vgpr0
                                        ; implicit-def: $vgpr22_vgpr23
                                        ; implicit-def: $vgpr15
                                        ; implicit-def: $vgpr12
                                        ; implicit-def: $vgpr9
                                        ; implicit-def: $vgpr13_vgpr14
; %bb.985:
	s_or_saveexec_b32 s5, s4
	v_mov_b32_e32 v0, s16
	v_mov_b32_e32 v80, 0
	;; [unrolled: 1-line block ×3, first 2 shown]
	s_waitcnt vmcnt(0)
	v_and_b32_e32 v98, 7, v2
	v_mov_b32_e32 v82, 0
	v_mov_b32_e32 v81, 0
	;; [unrolled: 1-line block ×29, first 2 shown]
	s_xor_b32 exec_lo, exec_lo, s5
	s_cbranch_execz .LBB226_2009
; %bb.986:
	buffer_store_dword v84, off, s[0:3], s32 offset:620 ; 4-byte Folded Spill
	buffer_store_dword v97, off, s[0:3], s32 offset:612 ; 4-byte Folded Spill
	;; [unrolled: 1-line block ×3, first 2 shown]
	buffer_load_dword v100, off, s[0:3], s32 offset:1280 ; 4-byte Folded Reload
	flat_load_dword v83, v[22:23]
	s_ashr_i32 s17, s16, 31
	s_getpc_b64 s[6:7]
	s_add_u32 s6, s6, llvm.amdgcn.dynlds.offset.table@rel32@lo+4
	s_addc_u32 s7, s7, llvm.amdgcn.dynlds.offset.table@rel32@hi+12
	s_lshl_b64 s[18:19], s[16:17], 2
	v_lshlrev_b32_e32 v0, 2, v2
	s_add_u32 s6, s6, s18
	s_addc_u32 s7, s7, s19
	v_and_b32_e32 v3, 0x7c, v9
	s_load_dword s4, s[6:7], 0x0
	v_lshlrev_b32_e32 v5, 4, v98
	v_add_co_u32 v1, vcc_lo, v21, v15
	v_and_b32_e32 v6, 28, v0
	v_and_b32_e32 v0, 0x7c, v0
	v_add_co_ci_u32_e64 v2, null, v20, v12, vcc_lo
	v_add_co_u32 v3, vcc_lo, v3, v13
	v_add_co_ci_u32_e64 v8, null, 0, v14, vcc_lo
	v_add_co_u32 v0, vcc_lo, v1, v0
	v_add_co_ci_u32_e64 v1, null, 0, v2, vcc_lo
	v_add_co_u32 v13, vcc_lo, v10, v3
	v_mov_b32_e32 v7, 0
	buffer_store_dword v98, off, s[0:3], s32 offset:628 ; 4-byte Folded Spill
	v_mov_b32_e32 v84, 0x80
	v_bfrev_b32_e32 v9, 1
	v_mov_b32_e32 v120, 0xffff
	v_mov_b32_e32 v12, 0x7f800001
	;; [unrolled: 1-line block ×33, first 2 shown]
	v_add_co_ci_u32_e64 v14, null, v11, v8, vcc_lo
	s_mov_b32 s6, 0
	buffer_store_dword v0, off, s[0:3], s32 offset:596 ; 4-byte Folded Spill
	buffer_store_dword v1, off, s[0:3], s32 offset:600 ; 4-byte Folded Spill
	s_waitcnt vmcnt(1)
	v_lshlrev_b32_e32 v4, 5, v100
	v_lshl_or_b32 v5, v100, 7, v5
	s_waitcnt vmcnt(0) lgkmcnt(0)
	v_mov_b32_e32 v99, v83
	v_or3_b32 v97, v4, v6, 3
	v_add_nc_u32_e32 v98, s4, v5
	s_branch .LBB226_988
.LBB226_987:                            ;   in Loop: Header=BB226_988 Depth=1
	s_or_b32 exec_lo, exec_lo, s4
	v_mul_f32_e32 v1, v3, v1
	v_mul_f32_e32 v15, v3, v110
	v_add_nc_u32_e32 v100, 4, v100
	v_add_co_u32 v13, vcc_lo, v13, 16
	v_fmac_f32_e32 v1, v2, v0
	v_mul_f32_e32 v0, v3, v126
	v_fmac_f32_e32 v15, v2, v109
	v_add_co_ci_u32_e64 v14, null, 0, v14, vcc_lo
	v_fmac_f32_e32 v1, v4, v28
	v_fmac_f32_e32 v0, v2, v125
	;; [unrolled: 1-line block ×3, first 2 shown]
	v_add_nc_u32_e32 v97, 0x80, v97
	v_add_nc_u32_e32 v98, 0x200, v98
	v_fmac_f32_e32 v1, v5, v127
	v_fmac_f32_e32 v0, v4, v124
	;; [unrolled: 1-line block ×3, first 2 shown]
	v_add_f32_e32 v52, v52, v1
	buffer_load_dword v1, off, s[0:3], s32 offset:588 ; 4-byte Folded Reload
	v_fmac_f32_e32 v0, v5, v123
	v_add_f32_e32 v30, v30, v15
	v_mul_f32_e32 v15, v3, v108
	v_add_f32_e32 v53, v53, v0
	v_mul_f32_e32 v0, v3, v121
	v_fmac_f32_e32 v15, v2, v107
	v_fmac_f32_e32 v0, v2, v122
	;; [unrolled: 1-line block ×4, first 2 shown]
	v_add_f32_e32 v31, v31, v15
	v_mul_f32_e32 v15, v3, v104
	v_fmac_f32_e32 v15, v2, v95
	v_fmac_f32_e32 v15, v4, v94
	v_fmac_f32_e32 v15, v5, v93
	v_add_f32_e32 v32, v32, v15
	v_mul_f32_e32 v15, v3, v92
	v_fmac_f32_e32 v15, v2, v91
	v_fmac_f32_e32 v15, v4, v90
	v_fmac_f32_e32 v15, v5, v89
	;; [unrolled: 5-line block ×12, first 2 shown]
	v_add_f32_e32 v51, v51, v15
	s_waitcnt vmcnt(0)
	v_fmac_f32_e32 v0, v4, v1
	buffer_load_dword v1, off, s[0:3], s32 offset:580 ; 4-byte Folded Reload
	s_waitcnt vmcnt(0)
	v_fmac_f32_e32 v0, v5, v1
	buffer_load_dword v1, off, s[0:3], s32 offset:572 ; 4-byte Folded Reload
	v_add_f32_e32 v54, v54, v0
	buffer_load_dword v0, off, s[0:3], s32 offset:564 ; 4-byte Folded Reload
	s_waitcnt vmcnt(0)
	v_mul_f32_e32 v0, v3, v0
	v_fmac_f32_e32 v0, v2, v1
	buffer_load_dword v1, off, s[0:3], s32 offset:556 ; 4-byte Folded Reload
	s_waitcnt vmcnt(0)
	v_fmac_f32_e32 v0, v4, v1
	buffer_load_dword v1, off, s[0:3], s32 offset:548 ; 4-byte Folded Reload
	s_waitcnt vmcnt(0)
	v_fmac_f32_e32 v0, v5, v1
	buffer_load_dword v1, off, s[0:3], s32 offset:540 ; 4-byte Folded Reload
	v_add_f32_e32 v55, v55, v0
	buffer_load_dword v0, off, s[0:3], s32 offset:532 ; 4-byte Folded Reload
	s_waitcnt vmcnt(0)
	v_mul_f32_e32 v0, v3, v0
	v_fmac_f32_e32 v0, v2, v1
	buffer_load_dword v1, off, s[0:3], s32 offset:524 ; 4-byte Folded Reload
	;; [unrolled: 12-line block ×12, first 2 shown]
	s_waitcnt vmcnt(0)
	v_fmac_f32_e32 v0, v4, v1
	buffer_load_dword v1, off, s[0:3], s32 offset:196 ; 4-byte Folded Reload
	s_waitcnt vmcnt(0)
	v_fmac_f32_e32 v0, v5, v1
	v_add_f32_e32 v80, v80, v0
	v_mul_f32_e32 v0, v3, v11
	v_fmac_f32_e32 v0, v2, v10
	v_fmac_f32_e32 v0, v4, v8
	;; [unrolled: 1-line block ×3, first 2 shown]
	v_add_f32_e32 v29, v29, v0
	buffer_load_dword v0, off, s[0:3], s32 offset:192 ; 4-byte Folded Reload
	s_waitcnt vmcnt(0)
	v_cmp_ge_i32_e32 vcc_lo, v100, v0
	s_or_b32 s6, vcc_lo, s6
	s_andn2_b32 exec_lo, exec_lo, s6
	s_cbranch_execz .LBB226_2008
.LBB226_988:                            ; =>This Inner Loop Header: Depth=1
	flat_load_dword v0, v[13:14]
	s_clause 0x2
	buffer_load_dword v1, off, s[0:3], s32 offset:708
	buffer_load_dword v2, off, s[0:3], s32 offset:596
	;; [unrolled: 1-line block ×3, first 2 shown]
	v_mov_b32_e32 v19, 0
	v_mov_b32_e32 v17, 0
	v_mov_b32_e32 v20, 0
	v_mov_b32_e32 v18, 0
	s_waitcnt vmcnt(0) lgkmcnt(0)
	v_mad_i64_i32 v[15:16], null, v0, v1, v[2:3]
	ds_read_b128 v[2:5], v98
	flat_load_dword v0, v[15:16]
	s_waitcnt vmcnt(0) lgkmcnt(0)
	v_cmp_ne_u16_sdwa s7, v0, v7 src0_sel:BYTE_0 src1_sel:DWORD
	s_and_saveexec_b32 s4, s7
	s_cbranch_execz .LBB226_996
; %bb.989:                              ;   in Loop: Header=BB226_988 Depth=1
	v_bfrev_b32_e32 v17, 1
	v_mov_b32_e32 v18, 0
	v_cmp_ne_u16_sdwa s13, v0, v84 src0_sel:BYTE_0 src1_sel:DWORD
	s_and_saveexec_b32 s7, s13
	s_cbranch_execz .LBB226_995
; %bb.990:                              ;   in Loop: Header=BB226_988 Depth=1
	v_mov_b32_e32 v17, 0x7f800001
	v_and_b32_e32 v8, 0x7f, v0
	v_mov_b32_e32 v18, 0
	s_mov_b32 s13, exec_lo
	v_cmpx_ne_u32_e32 0x7f, v8
	s_cbranch_execz .LBB226_994
; %bb.991:                              ;   in Loop: Header=BB226_988 Depth=1
	v_and_b32_e32 v6, 7, v0
	v_lshrrev_b32_e32 v1, 3, v8
	s_mov_b32 s15, exec_lo
	v_cmpx_gt_u32_e32 8, v8
; %bb.992:                              ;   in Loop: Header=BB226_988 Depth=1
	v_ffbh_u32_e32 v1, v6
	v_min_u32_e32 v1, 32, v1
	v_subrev_nc_u32_e32 v8, 28, v1
	v_sub_nc_u32_e32 v1, 29, v1
	v_lshlrev_b64 v[10:11], v8, v[6:7]
	v_and_b32_e32 v6, 7, v10
; %bb.993:                              ;   in Loop: Header=BB226_988 Depth=1
	s_or_b32 exec_lo, exec_lo, s15
	v_lshlrev_b32_e32 v8, 24, v0
	v_lshlrev_b32_e32 v6, 20, v6
	v_lshl_add_u32 v1, v1, 23, 0x3c000000
	v_and_b32_e32 v8, 0x80000000, v8
	v_or3_b32 v6, v6, v8, v1
	v_mov_b32_e32 v18, v7
	v_mov_b32_e32 v17, v6
.LBB226_994:                            ;   in Loop: Header=BB226_988 Depth=1
	s_or_b32 exec_lo, exec_lo, s13
.LBB226_995:                            ;   in Loop: Header=BB226_988 Depth=1
	s_or_b32 exec_lo, exec_lo, s7
.LBB226_996:                            ;   in Loop: Header=BB226_988 Depth=1
	s_or_b32 exec_lo, exec_lo, s4
	v_cmp_ne_u16_sdwa s7, v0, v7 src0_sel:BYTE_1 src1_sel:DWORD
	s_and_saveexec_b32 s4, s7
	s_cbranch_execz .LBB226_1004
; %bb.997:                              ;   in Loop: Header=BB226_988 Depth=1
	v_mov_b32_e32 v8, v7
	v_mov_b32_e32 v20, v9
	v_cmp_ne_u16_sdwa s13, v0, v84 src0_sel:BYTE_1 src1_sel:DWORD
	v_mov_b32_e32 v19, v8
	s_and_saveexec_b32 s7, s13
	s_cbranch_execz .LBB226_1003
; %bb.998:                              ;   in Loop: Header=BB226_988 Depth=1
	v_and_b32_sdwa v1, v120, v0 dst_sel:DWORD dst_unused:UNUSED_PAD src0_sel:DWORD src1_sel:BYTE_1
	v_mov_b32_e32 v11, v7
	v_mov_b32_e32 v20, v12
	s_mov_b32 s13, exec_lo
	v_and_b32_e32 v8, 0x7f, v1
	v_mov_b32_e32 v19, v11
	v_cmpx_ne_u32_e32 0x7f, v8
	s_cbranch_execz .LBB226_1002
; %bb.999:                              ;   in Loop: Header=BB226_988 Depth=1
	v_and_b32_e32 v6, 7, v1
	v_lshrrev_b32_e32 v1, 3, v8
	s_mov_b32 s15, exec_lo
	v_cmpx_gt_u32_e32 8, v8
; %bb.1000:                             ;   in Loop: Header=BB226_988 Depth=1
	v_ffbh_u32_e32 v1, v6
	v_min_u32_e32 v1, 32, v1
	v_subrev_nc_u32_e32 v8, 28, v1
	v_sub_nc_u32_e32 v1, 29, v1
	v_lshlrev_b64 v[10:11], v8, v[6:7]
	v_and_b32_e32 v6, 7, v10
; %bb.1001:                             ;   in Loop: Header=BB226_988 Depth=1
	s_or_b32 exec_lo, exec_lo, s15
	v_lshlrev_b32_e32 v8, 16, v0
	v_lshlrev_b32_e32 v6, 20, v6
	v_lshl_add_u32 v1, v1, 23, 0x3c000000
	v_mov_b32_e32 v19, v7
	v_and_b32_e32 v8, 0x80000000, v8
	v_or3_b32 v20, v6, v8, v1
.LBB226_1002:                           ;   in Loop: Header=BB226_988 Depth=1
	s_or_b32 exec_lo, exec_lo, s13
.LBB226_1003:                           ;   in Loop: Header=BB226_988 Depth=1
	s_or_b32 exec_lo, exec_lo, s7
.LBB226_1004:                           ;   in Loop: Header=BB226_988 Depth=1
	s_or_b32 exec_lo, exec_lo, s4
	v_mov_b32_e32 v10, 0
	v_mov_b32_e32 v21, 0
	v_and_b32_sdwa v1, v0, v86 dst_sel:DWORD dst_unused:UNUSED_PAD src0_sel:WORD_1 src1_sel:DWORD
	v_mov_b32_e32 v11, 0
	v_mov_b32_e32 v22, 0
	s_mov_b32 s4, exec_lo
	v_cmpx_ne_u16_e32 0, v1
	s_cbranch_execz .LBB226_1012
; %bb.1005:                             ;   in Loop: Header=BB226_988 Depth=1
	v_bfrev_b32_e32 v21, 1
	v_mov_b32_e32 v22, 0
	s_mov_b32 s7, exec_lo
	v_cmpx_ne_u16_e32 0x80, v1
	s_cbranch_execz .LBB226_1011
; %bb.1006:                             ;   in Loop: Header=BB226_988 Depth=1
	v_mov_b32_e32 v21, 0x7f800001
	v_bfe_u32 v8, v0, 16, 7
	v_mov_b32_e32 v22, 0
	s_mov_b32 s13, exec_lo
	v_cmpx_ne_u32_e32 0x7f, v8
	s_cbranch_execz .LBB226_1010
; %bb.1007:                             ;   in Loop: Header=BB226_988 Depth=1
	v_mov_b32_e32 v1, 7
	s_mov_b32 s15, exec_lo
	v_and_b32_sdwa v6, v0, v1 dst_sel:DWORD dst_unused:UNUSED_PAD src0_sel:WORD_1 src1_sel:DWORD
	v_lshrrev_b32_e32 v1, 3, v8
	v_cmpx_gt_u32_e32 8, v8
; %bb.1008:                             ;   in Loop: Header=BB226_988 Depth=1
	v_ffbh_u32_e32 v1, v6
	v_min_u32_e32 v1, 32, v1
	v_subrev_nc_u32_e32 v8, 28, v1
	v_sub_nc_u32_e32 v1, 29, v1
	v_lshlrev_b64 v[21:22], v8, v[6:7]
	v_and_b32_e32 v6, 7, v21
; %bb.1009:                             ;   in Loop: Header=BB226_988 Depth=1
	s_or_b32 exec_lo, exec_lo, s15
	v_mov_b32_e32 v8, 24
	v_lshlrev_b32_e32 v6, 20, v6
	v_lshl_add_u32 v1, v1, 23, 0x3c000000
	v_lshlrev_b32_sdwa v8, v8, v0 dst_sel:DWORD dst_unused:UNUSED_PAD src0_sel:DWORD src1_sel:WORD_1
	v_and_b32_e32 v8, 0x80000000, v8
	v_or3_b32 v6, v6, v8, v1
	v_mov_b32_e32 v22, v7
	v_mov_b32_e32 v21, v6
.LBB226_1010:                           ;   in Loop: Header=BB226_988 Depth=1
	s_or_b32 exec_lo, exec_lo, s13
.LBB226_1011:                           ;   in Loop: Header=BB226_988 Depth=1
	s_or_b32 exec_lo, exec_lo, s7
.LBB226_1012:                           ;   in Loop: Header=BB226_988 Depth=1
	s_or_b32 exec_lo, exec_lo, s4
	s_mov_b32 s4, exec_lo
	v_cmpx_lt_u32_e32 0xffffff, v0
	s_cbranch_execz .LBB226_1020
; %bb.1013:                             ;   in Loop: Header=BB226_988 Depth=1
	v_mov_b32_e32 v8, v7
	v_mov_b32_e32 v11, v9
	v_cmp_ne_u32_sdwa s13, v0, v84 src0_sel:BYTE_3 src1_sel:DWORD
	v_mov_b32_e32 v10, v8
	s_and_saveexec_b32 s7, s13
	s_cbranch_execz .LBB226_1019
; %bb.1014:                             ;   in Loop: Header=BB226_988 Depth=1
	v_mov_b32_e32 v11, v7
	v_bfe_u32 v8, v0, 24, 7
	s_mov_b32 s13, exec_lo
	v_mov_b32_e32 v10, v11
	v_mov_b32_e32 v11, v12
	v_cmpx_ne_u32_e32 0x7f, v8
	s_cbranch_execz .LBB226_1018
; %bb.1015:                             ;   in Loop: Header=BB226_988 Depth=1
	v_mov_b32_e32 v1, 7
	s_mov_b32 s15, exec_lo
	v_and_b32_sdwa v6, v0, v1 dst_sel:DWORD dst_unused:UNUSED_PAD src0_sel:BYTE_3 src1_sel:DWORD
	v_lshrrev_b32_e32 v1, 3, v8
	v_cmpx_gt_u32_e32 8, v8
; %bb.1016:                             ;   in Loop: Header=BB226_988 Depth=1
	v_ffbh_u32_e32 v1, v6
	v_min_u32_e32 v1, 32, v1
	v_subrev_nc_u32_e32 v8, 28, v1
	v_sub_nc_u32_e32 v1, 29, v1
	v_lshlrev_b64 v[10:11], v8, v[6:7]
	v_and_b32_e32 v6, 7, v10
; %bb.1017:                             ;   in Loop: Header=BB226_988 Depth=1
	s_or_b32 exec_lo, exec_lo, s15
	v_mov_b32_e32 v8, 24
	v_lshlrev_b32_e32 v6, 20, v6
	v_lshl_add_u32 v1, v1, 23, 0x3c000000
	v_mov_b32_e32 v10, v7
	v_lshlrev_b32_sdwa v0, v8, v0 dst_sel:DWORD dst_unused:UNUSED_PAD src0_sel:DWORD src1_sel:BYTE_3
	v_and_b32_e32 v0, 0x80000000, v0
	v_or3_b32 v11, v6, v0, v1
.LBB226_1018:                           ;   in Loop: Header=BB226_988 Depth=1
	s_or_b32 exec_lo, exec_lo, s13
.LBB226_1019:                           ;   in Loop: Header=BB226_988 Depth=1
	s_or_b32 exec_lo, exec_lo, s7
.LBB226_1020:                           ;   in Loop: Header=BB226_988 Depth=1
	s_or_b32 exec_lo, exec_lo, s4
	buffer_load_dword v0, off, s[0:3], s32 offset:192 ; 4-byte Folded Reload
	v_or_b32_e32 v1, v20, v18
	v_or_b32_e32 v6, v19, v17
	;; [unrolled: 1-line block ×4, first 2 shown]
	v_add_nc_u32_e32 v40, -3, v97
	v_add_nc_u32_e32 v42, -2, v97
	;; [unrolled: 1-line block ×3, first 2 shown]
	s_waitcnt vmcnt(0)
	v_add_nc_u32_e32 v0, -1, v0
	v_cmp_eq_u32_e32 vcc_lo, v0, v100
	v_mul_f32_e32 v0, v99, v1
	buffer_store_dword v0, off, s[0:3], s32 offset:212 ; 4-byte Folded Spill
	v_mul_f32_e32 v0, v83, v6
	buffer_store_dword v0, off, s[0:3], s32 offset:220 ; 4-byte Folded Spill
	v_mul_f32_e32 v0, v83, v8
	buffer_store_dword v0, off, s[0:3], s32 offset:204 ; 4-byte Folded Spill
	v_mul_f32_e32 v0, v99, v10
	buffer_store_dword v0, off, s[0:3], s32 offset:196 ; 4-byte Folded Spill
	s_and_saveexec_b32 s7, vcc_lo
	s_cbranch_execz .LBB226_1022
; %bb.1021:                             ;   in Loop: Header=BB226_988 Depth=1
	buffer_load_dword v0, off, s[0:3], s32 offset:220 ; 4-byte Folded Reload
	v_cmp_lt_i32_e64 s4, v40, v26
	s_waitcnt vmcnt(0)
	v_cndmask_b32_e64 v0, 0, v0, s4
	v_cmp_lt_i32_e64 s4, v42, v26
	buffer_store_dword v0, off, s[0:3], s32 offset:220 ; 4-byte Folded Spill
	buffer_load_dword v0, off, s[0:3], s32 offset:212 ; 4-byte Folded Reload
	s_waitcnt vmcnt(0)
	v_cndmask_b32_e64 v0, 0, v0, s4
	v_cmp_lt_i32_e64 s4, v41, v26
	buffer_store_dword v0, off, s[0:3], s32 offset:212 ; 4-byte Folded Spill
	buffer_load_dword v0, off, s[0:3], s32 offset:204 ; 4-byte Folded Reload
	;; [unrolled: 5-line block ×3, first 2 shown]
	s_waitcnt vmcnt(0)
	v_cndmask_b32_e64 v0, 0, v0, s4
	buffer_store_dword v0, off, s[0:3], s32 offset:196 ; 4-byte Folded Spill
.LBB226_1022:                           ;   in Loop: Header=BB226_988 Depth=1
	s_or_b32 exec_lo, exec_lo, s7
	flat_load_dword v0, v[15:16] offset:128
	v_mov_b32_e32 v19, 0
	v_mov_b32_e32 v17, 0
	;; [unrolled: 1-line block ×4, first 2 shown]
	s_waitcnt vmcnt(0) lgkmcnt(0)
	v_cmp_ne_u16_sdwa s4, v0, v7 src0_sel:BYTE_0 src1_sel:DWORD
	s_and_saveexec_b32 s7, s4
	s_cbranch_execz .LBB226_1030
; %bb.1023:                             ;   in Loop: Header=BB226_988 Depth=1
	v_bfrev_b32_e32 v17, 1
	v_mov_b32_e32 v18, 0
	v_cmp_ne_u16_sdwa s4, v0, v84 src0_sel:BYTE_0 src1_sel:DWORD
	s_and_saveexec_b32 s13, s4
	s_cbranch_execz .LBB226_1029
; %bb.1024:                             ;   in Loop: Header=BB226_988 Depth=1
	v_mov_b32_e32 v17, 0x7f800001
	v_and_b32_e32 v8, 0x7f, v0
	v_mov_b32_e32 v18, 0
	s_mov_b32 s15, exec_lo
	v_cmpx_ne_u32_e32 0x7f, v8
	s_cbranch_execz .LBB226_1028
; %bb.1025:                             ;   in Loop: Header=BB226_988 Depth=1
	v_and_b32_e32 v6, 7, v0
	v_lshrrev_b32_e32 v1, 3, v8
	s_mov_b32 s18, exec_lo
	v_cmpx_gt_u32_e32 8, v8
; %bb.1026:                             ;   in Loop: Header=BB226_988 Depth=1
	v_ffbh_u32_e32 v1, v6
	v_min_u32_e32 v1, 32, v1
	v_subrev_nc_u32_e32 v8, 28, v1
	v_sub_nc_u32_e32 v1, 29, v1
	v_lshlrev_b64 v[10:11], v8, v[6:7]
	v_and_b32_e32 v6, 7, v10
; %bb.1027:                             ;   in Loop: Header=BB226_988 Depth=1
	s_or_b32 exec_lo, exec_lo, s18
	v_lshlrev_b32_e32 v8, 24, v0
	v_lshlrev_b32_e32 v6, 20, v6
	v_lshl_add_u32 v1, v1, 23, 0x3c000000
	v_and_b32_e32 v8, 0x80000000, v8
	v_or3_b32 v6, v6, v8, v1
	v_mov_b32_e32 v18, v7
	v_mov_b32_e32 v17, v6
.LBB226_1028:                           ;   in Loop: Header=BB226_988 Depth=1
	s_or_b32 exec_lo, exec_lo, s15
.LBB226_1029:                           ;   in Loop: Header=BB226_988 Depth=1
	s_or_b32 exec_lo, exec_lo, s13
.LBB226_1030:                           ;   in Loop: Header=BB226_988 Depth=1
	s_or_b32 exec_lo, exec_lo, s7
	v_cmp_ne_u16_sdwa s4, v0, v7 src0_sel:BYTE_1 src1_sel:DWORD
	s_and_saveexec_b32 s7, s4
	s_cbranch_execz .LBB226_1038
; %bb.1031:                             ;   in Loop: Header=BB226_988 Depth=1
	v_mov_b32_e32 v8, v7
	v_mov_b32_e32 v20, v9
	v_cmp_ne_u16_sdwa s4, v0, v84 src0_sel:BYTE_1 src1_sel:DWORD
	v_mov_b32_e32 v19, v8
	s_and_saveexec_b32 s13, s4
	s_cbranch_execz .LBB226_1037
; %bb.1032:                             ;   in Loop: Header=BB226_988 Depth=1
	v_and_b32_sdwa v1, v120, v0 dst_sel:DWORD dst_unused:UNUSED_PAD src0_sel:DWORD src1_sel:BYTE_1
	v_mov_b32_e32 v11, v7
	v_mov_b32_e32 v20, v12
	s_mov_b32 s15, exec_lo
	v_and_b32_e32 v8, 0x7f, v1
	v_mov_b32_e32 v19, v11
	v_cmpx_ne_u32_e32 0x7f, v8
	s_cbranch_execz .LBB226_1036
; %bb.1033:                             ;   in Loop: Header=BB226_988 Depth=1
	v_and_b32_e32 v6, 7, v1
	v_lshrrev_b32_e32 v1, 3, v8
	s_mov_b32 s18, exec_lo
	v_cmpx_gt_u32_e32 8, v8
; %bb.1034:                             ;   in Loop: Header=BB226_988 Depth=1
	v_ffbh_u32_e32 v1, v6
	v_min_u32_e32 v1, 32, v1
	v_subrev_nc_u32_e32 v8, 28, v1
	v_sub_nc_u32_e32 v1, 29, v1
	v_lshlrev_b64 v[10:11], v8, v[6:7]
	v_and_b32_e32 v6, 7, v10
; %bb.1035:                             ;   in Loop: Header=BB226_988 Depth=1
	s_or_b32 exec_lo, exec_lo, s18
	v_lshlrev_b32_e32 v8, 16, v0
	v_lshlrev_b32_e32 v6, 20, v6
	v_lshl_add_u32 v1, v1, 23, 0x3c000000
	v_mov_b32_e32 v19, v7
	v_and_b32_e32 v8, 0x80000000, v8
	v_or3_b32 v20, v6, v8, v1
.LBB226_1036:                           ;   in Loop: Header=BB226_988 Depth=1
	s_or_b32 exec_lo, exec_lo, s15
.LBB226_1037:                           ;   in Loop: Header=BB226_988 Depth=1
	s_or_b32 exec_lo, exec_lo, s13
.LBB226_1038:                           ;   in Loop: Header=BB226_988 Depth=1
	s_or_b32 exec_lo, exec_lo, s7
	v_mov_b32_e32 v10, 0
	v_mov_b32_e32 v21, 0
	v_and_b32_sdwa v1, v0, v86 dst_sel:DWORD dst_unused:UNUSED_PAD src0_sel:WORD_1 src1_sel:DWORD
	v_mov_b32_e32 v11, 0
	v_mov_b32_e32 v22, 0
	s_mov_b32 s7, exec_lo
	v_cmpx_ne_u16_e32 0, v1
	s_cbranch_execz .LBB226_1046
; %bb.1039:                             ;   in Loop: Header=BB226_988 Depth=1
	v_bfrev_b32_e32 v21, 1
	v_mov_b32_e32 v22, 0
	s_mov_b32 s13, exec_lo
	v_cmpx_ne_u16_e32 0x80, v1
	s_cbranch_execz .LBB226_1045
; %bb.1040:                             ;   in Loop: Header=BB226_988 Depth=1
	v_mov_b32_e32 v21, 0x7f800001
	v_bfe_u32 v8, v0, 16, 7
	v_mov_b32_e32 v22, 0
	s_mov_b32 s15, exec_lo
	v_cmpx_ne_u32_e32 0x7f, v8
	s_cbranch_execz .LBB226_1044
; %bb.1041:                             ;   in Loop: Header=BB226_988 Depth=1
	v_mov_b32_e32 v1, 7
	s_mov_b32 s18, exec_lo
	v_and_b32_sdwa v6, v0, v1 dst_sel:DWORD dst_unused:UNUSED_PAD src0_sel:WORD_1 src1_sel:DWORD
	v_lshrrev_b32_e32 v1, 3, v8
	v_cmpx_gt_u32_e32 8, v8
; %bb.1042:                             ;   in Loop: Header=BB226_988 Depth=1
	v_ffbh_u32_e32 v1, v6
	v_min_u32_e32 v1, 32, v1
	v_subrev_nc_u32_e32 v8, 28, v1
	v_sub_nc_u32_e32 v1, 29, v1
	v_lshlrev_b64 v[21:22], v8, v[6:7]
	v_and_b32_e32 v6, 7, v21
; %bb.1043:                             ;   in Loop: Header=BB226_988 Depth=1
	s_or_b32 exec_lo, exec_lo, s18
	v_mov_b32_e32 v8, 24
	v_lshlrev_b32_e32 v6, 20, v6
	v_lshl_add_u32 v1, v1, 23, 0x3c000000
	v_lshlrev_b32_sdwa v8, v8, v0 dst_sel:DWORD dst_unused:UNUSED_PAD src0_sel:DWORD src1_sel:WORD_1
	v_and_b32_e32 v8, 0x80000000, v8
	v_or3_b32 v6, v6, v8, v1
	v_mov_b32_e32 v22, v7
	v_mov_b32_e32 v21, v6
.LBB226_1044:                           ;   in Loop: Header=BB226_988 Depth=1
	s_or_b32 exec_lo, exec_lo, s15
.LBB226_1045:                           ;   in Loop: Header=BB226_988 Depth=1
	s_or_b32 exec_lo, exec_lo, s13
.LBB226_1046:                           ;   in Loop: Header=BB226_988 Depth=1
	s_or_b32 exec_lo, exec_lo, s7
	s_mov_b32 s7, exec_lo
	v_cmpx_lt_u32_e32 0xffffff, v0
	s_cbranch_execz .LBB226_1054
; %bb.1047:                             ;   in Loop: Header=BB226_988 Depth=1
	v_mov_b32_e32 v8, v7
	v_mov_b32_e32 v11, v9
	v_cmp_ne_u32_sdwa s4, v0, v84 src0_sel:BYTE_3 src1_sel:DWORD
	v_mov_b32_e32 v10, v8
	s_and_saveexec_b32 s13, s4
	s_cbranch_execz .LBB226_1053
; %bb.1048:                             ;   in Loop: Header=BB226_988 Depth=1
	v_mov_b32_e32 v11, v7
	v_bfe_u32 v8, v0, 24, 7
	s_mov_b32 s15, exec_lo
	v_mov_b32_e32 v10, v11
	v_mov_b32_e32 v11, v12
	v_cmpx_ne_u32_e32 0x7f, v8
	s_cbranch_execz .LBB226_1052
; %bb.1049:                             ;   in Loop: Header=BB226_988 Depth=1
	v_mov_b32_e32 v1, 7
	s_mov_b32 s18, exec_lo
	v_and_b32_sdwa v6, v0, v1 dst_sel:DWORD dst_unused:UNUSED_PAD src0_sel:BYTE_3 src1_sel:DWORD
	v_lshrrev_b32_e32 v1, 3, v8
	v_cmpx_gt_u32_e32 8, v8
; %bb.1050:                             ;   in Loop: Header=BB226_988 Depth=1
	v_ffbh_u32_e32 v1, v6
	v_min_u32_e32 v1, 32, v1
	v_subrev_nc_u32_e32 v8, 28, v1
	v_sub_nc_u32_e32 v1, 29, v1
	v_lshlrev_b64 v[10:11], v8, v[6:7]
	v_and_b32_e32 v6, 7, v10
; %bb.1051:                             ;   in Loop: Header=BB226_988 Depth=1
	s_or_b32 exec_lo, exec_lo, s18
	v_mov_b32_e32 v8, 24
	v_lshlrev_b32_e32 v6, 20, v6
	v_lshl_add_u32 v1, v1, 23, 0x3c000000
	v_mov_b32_e32 v10, v7
	v_lshlrev_b32_sdwa v0, v8, v0 dst_sel:DWORD dst_unused:UNUSED_PAD src0_sel:DWORD src1_sel:BYTE_3
	v_and_b32_e32 v0, 0x80000000, v0
	v_or3_b32 v11, v6, v0, v1
.LBB226_1052:                           ;   in Loop: Header=BB226_988 Depth=1
	s_or_b32 exec_lo, exec_lo, s15
.LBB226_1053:                           ;   in Loop: Header=BB226_988 Depth=1
	s_or_b32 exec_lo, exec_lo, s13
.LBB226_1054:                           ;   in Loop: Header=BB226_988 Depth=1
	s_or_b32 exec_lo, exec_lo, s7
	v_or_b32_e32 v0, v20, v18
	v_or_b32_e32 v1, v19, v17
	;; [unrolled: 1-line block ×4, first 2 shown]
	v_mul_f32_e32 v0, v99, v0
	buffer_store_dword v0, off, s[0:3], s32 offset:244 ; 4-byte Folded Spill
	v_mul_f32_e32 v0, v83, v1
	buffer_store_dword v0, off, s[0:3], s32 offset:252 ; 4-byte Folded Spill
	;; [unrolled: 2-line block ×4, first 2 shown]
	s_and_saveexec_b32 s7, vcc_lo
	s_cbranch_execz .LBB226_1056
; %bb.1055:                             ;   in Loop: Header=BB226_988 Depth=1
	buffer_load_dword v0, off, s[0:3], s32 offset:252 ; 4-byte Folded Reload
	v_cmp_lt_i32_e64 s4, v40, v26
	s_waitcnt vmcnt(0)
	v_cndmask_b32_e64 v0, 0, v0, s4
	v_cmp_lt_i32_e64 s4, v42, v26
	buffer_store_dword v0, off, s[0:3], s32 offset:252 ; 4-byte Folded Spill
	buffer_load_dword v0, off, s[0:3], s32 offset:244 ; 4-byte Folded Reload
	s_waitcnt vmcnt(0)
	v_cndmask_b32_e64 v0, 0, v0, s4
	v_cmp_lt_i32_e64 s4, v41, v26
	buffer_store_dword v0, off, s[0:3], s32 offset:244 ; 4-byte Folded Spill
	buffer_load_dword v0, off, s[0:3], s32 offset:236 ; 4-byte Folded Reload
	;; [unrolled: 5-line block ×3, first 2 shown]
	s_waitcnt vmcnt(0)
	v_cndmask_b32_e64 v0, 0, v0, s4
	buffer_store_dword v0, off, s[0:3], s32 offset:228 ; 4-byte Folded Spill
.LBB226_1056:                           ;   in Loop: Header=BB226_988 Depth=1
	s_or_b32 exec_lo, exec_lo, s7
	flat_load_dword v0, v[15:16] offset:256
	v_mov_b32_e32 v19, 0
	v_mov_b32_e32 v17, 0
	;; [unrolled: 1-line block ×4, first 2 shown]
	s_waitcnt vmcnt(0) lgkmcnt(0)
	v_cmp_ne_u16_sdwa s4, v0, v7 src0_sel:BYTE_0 src1_sel:DWORD
	s_and_saveexec_b32 s7, s4
	s_cbranch_execz .LBB226_1064
; %bb.1057:                             ;   in Loop: Header=BB226_988 Depth=1
	v_bfrev_b32_e32 v17, 1
	v_mov_b32_e32 v18, 0
	v_cmp_ne_u16_sdwa s4, v0, v84 src0_sel:BYTE_0 src1_sel:DWORD
	s_and_saveexec_b32 s13, s4
	s_cbranch_execz .LBB226_1063
; %bb.1058:                             ;   in Loop: Header=BB226_988 Depth=1
	v_mov_b32_e32 v17, 0x7f800001
	v_and_b32_e32 v8, 0x7f, v0
	v_mov_b32_e32 v18, 0
	s_mov_b32 s15, exec_lo
	v_cmpx_ne_u32_e32 0x7f, v8
	s_cbranch_execz .LBB226_1062
; %bb.1059:                             ;   in Loop: Header=BB226_988 Depth=1
	v_and_b32_e32 v6, 7, v0
	v_lshrrev_b32_e32 v1, 3, v8
	s_mov_b32 s18, exec_lo
	v_cmpx_gt_u32_e32 8, v8
; %bb.1060:                             ;   in Loop: Header=BB226_988 Depth=1
	v_ffbh_u32_e32 v1, v6
	v_min_u32_e32 v1, 32, v1
	v_subrev_nc_u32_e32 v8, 28, v1
	v_sub_nc_u32_e32 v1, 29, v1
	v_lshlrev_b64 v[10:11], v8, v[6:7]
	v_and_b32_e32 v6, 7, v10
; %bb.1061:                             ;   in Loop: Header=BB226_988 Depth=1
	s_or_b32 exec_lo, exec_lo, s18
	v_lshlrev_b32_e32 v8, 24, v0
	v_lshlrev_b32_e32 v6, 20, v6
	v_lshl_add_u32 v1, v1, 23, 0x3c000000
	v_and_b32_e32 v8, 0x80000000, v8
	v_or3_b32 v6, v6, v8, v1
	v_mov_b32_e32 v18, v7
	v_mov_b32_e32 v17, v6
.LBB226_1062:                           ;   in Loop: Header=BB226_988 Depth=1
	s_or_b32 exec_lo, exec_lo, s15
.LBB226_1063:                           ;   in Loop: Header=BB226_988 Depth=1
	s_or_b32 exec_lo, exec_lo, s13
.LBB226_1064:                           ;   in Loop: Header=BB226_988 Depth=1
	s_or_b32 exec_lo, exec_lo, s7
	v_cmp_ne_u16_sdwa s4, v0, v7 src0_sel:BYTE_1 src1_sel:DWORD
	s_and_saveexec_b32 s7, s4
	s_cbranch_execz .LBB226_1072
; %bb.1065:                             ;   in Loop: Header=BB226_988 Depth=1
	v_mov_b32_e32 v8, v7
	v_mov_b32_e32 v20, v9
	v_cmp_ne_u16_sdwa s4, v0, v84 src0_sel:BYTE_1 src1_sel:DWORD
	v_mov_b32_e32 v19, v8
	s_and_saveexec_b32 s13, s4
	s_cbranch_execz .LBB226_1071
; %bb.1066:                             ;   in Loop: Header=BB226_988 Depth=1
	v_and_b32_sdwa v1, v120, v0 dst_sel:DWORD dst_unused:UNUSED_PAD src0_sel:DWORD src1_sel:BYTE_1
	v_mov_b32_e32 v11, v7
	v_mov_b32_e32 v20, v12
	s_mov_b32 s15, exec_lo
	v_and_b32_e32 v8, 0x7f, v1
	v_mov_b32_e32 v19, v11
	v_cmpx_ne_u32_e32 0x7f, v8
	s_cbranch_execz .LBB226_1070
; %bb.1067:                             ;   in Loop: Header=BB226_988 Depth=1
	v_and_b32_e32 v6, 7, v1
	v_lshrrev_b32_e32 v1, 3, v8
	s_mov_b32 s18, exec_lo
	v_cmpx_gt_u32_e32 8, v8
; %bb.1068:                             ;   in Loop: Header=BB226_988 Depth=1
	v_ffbh_u32_e32 v1, v6
	v_min_u32_e32 v1, 32, v1
	v_subrev_nc_u32_e32 v8, 28, v1
	v_sub_nc_u32_e32 v1, 29, v1
	v_lshlrev_b64 v[10:11], v8, v[6:7]
	v_and_b32_e32 v6, 7, v10
; %bb.1069:                             ;   in Loop: Header=BB226_988 Depth=1
	s_or_b32 exec_lo, exec_lo, s18
	v_lshlrev_b32_e32 v8, 16, v0
	v_lshlrev_b32_e32 v6, 20, v6
	v_lshl_add_u32 v1, v1, 23, 0x3c000000
	v_mov_b32_e32 v19, v7
	v_and_b32_e32 v8, 0x80000000, v8
	v_or3_b32 v20, v6, v8, v1
.LBB226_1070:                           ;   in Loop: Header=BB226_988 Depth=1
	s_or_b32 exec_lo, exec_lo, s15
.LBB226_1071:                           ;   in Loop: Header=BB226_988 Depth=1
	s_or_b32 exec_lo, exec_lo, s13
.LBB226_1072:                           ;   in Loop: Header=BB226_988 Depth=1
	s_or_b32 exec_lo, exec_lo, s7
	v_mov_b32_e32 v10, 0
	v_mov_b32_e32 v21, 0
	v_and_b32_sdwa v1, v0, v86 dst_sel:DWORD dst_unused:UNUSED_PAD src0_sel:WORD_1 src1_sel:DWORD
	v_mov_b32_e32 v11, 0
	v_mov_b32_e32 v22, 0
	s_mov_b32 s7, exec_lo
	v_cmpx_ne_u16_e32 0, v1
	s_cbranch_execz .LBB226_1080
; %bb.1073:                             ;   in Loop: Header=BB226_988 Depth=1
	v_bfrev_b32_e32 v21, 1
	v_mov_b32_e32 v22, 0
	s_mov_b32 s13, exec_lo
	v_cmpx_ne_u16_e32 0x80, v1
	s_cbranch_execz .LBB226_1079
; %bb.1074:                             ;   in Loop: Header=BB226_988 Depth=1
	v_mov_b32_e32 v21, 0x7f800001
	v_bfe_u32 v8, v0, 16, 7
	v_mov_b32_e32 v22, 0
	s_mov_b32 s15, exec_lo
	v_cmpx_ne_u32_e32 0x7f, v8
	s_cbranch_execz .LBB226_1078
; %bb.1075:                             ;   in Loop: Header=BB226_988 Depth=1
	v_mov_b32_e32 v1, 7
	s_mov_b32 s18, exec_lo
	v_and_b32_sdwa v6, v0, v1 dst_sel:DWORD dst_unused:UNUSED_PAD src0_sel:WORD_1 src1_sel:DWORD
	v_lshrrev_b32_e32 v1, 3, v8
	v_cmpx_gt_u32_e32 8, v8
; %bb.1076:                             ;   in Loop: Header=BB226_988 Depth=1
	v_ffbh_u32_e32 v1, v6
	v_min_u32_e32 v1, 32, v1
	v_subrev_nc_u32_e32 v8, 28, v1
	v_sub_nc_u32_e32 v1, 29, v1
	v_lshlrev_b64 v[21:22], v8, v[6:7]
	v_and_b32_e32 v6, 7, v21
; %bb.1077:                             ;   in Loop: Header=BB226_988 Depth=1
	s_or_b32 exec_lo, exec_lo, s18
	v_mov_b32_e32 v8, 24
	v_lshlrev_b32_e32 v6, 20, v6
	v_lshl_add_u32 v1, v1, 23, 0x3c000000
	v_lshlrev_b32_sdwa v8, v8, v0 dst_sel:DWORD dst_unused:UNUSED_PAD src0_sel:DWORD src1_sel:WORD_1
	v_and_b32_e32 v8, 0x80000000, v8
	v_or3_b32 v6, v6, v8, v1
	v_mov_b32_e32 v22, v7
	v_mov_b32_e32 v21, v6
.LBB226_1078:                           ;   in Loop: Header=BB226_988 Depth=1
	s_or_b32 exec_lo, exec_lo, s15
.LBB226_1079:                           ;   in Loop: Header=BB226_988 Depth=1
	s_or_b32 exec_lo, exec_lo, s13
.LBB226_1080:                           ;   in Loop: Header=BB226_988 Depth=1
	s_or_b32 exec_lo, exec_lo, s7
	s_mov_b32 s7, exec_lo
	v_cmpx_lt_u32_e32 0xffffff, v0
	s_cbranch_execz .LBB226_1088
; %bb.1081:                             ;   in Loop: Header=BB226_988 Depth=1
	v_mov_b32_e32 v8, v7
	v_mov_b32_e32 v11, v9
	v_cmp_ne_u32_sdwa s4, v0, v84 src0_sel:BYTE_3 src1_sel:DWORD
	v_mov_b32_e32 v10, v8
	s_and_saveexec_b32 s13, s4
	s_cbranch_execz .LBB226_1087
; %bb.1082:                             ;   in Loop: Header=BB226_988 Depth=1
	v_mov_b32_e32 v11, v7
	v_bfe_u32 v8, v0, 24, 7
	s_mov_b32 s15, exec_lo
	v_mov_b32_e32 v10, v11
	v_mov_b32_e32 v11, v12
	v_cmpx_ne_u32_e32 0x7f, v8
	s_cbranch_execz .LBB226_1086
; %bb.1083:                             ;   in Loop: Header=BB226_988 Depth=1
	v_mov_b32_e32 v1, 7
	s_mov_b32 s18, exec_lo
	v_and_b32_sdwa v6, v0, v1 dst_sel:DWORD dst_unused:UNUSED_PAD src0_sel:BYTE_3 src1_sel:DWORD
	v_lshrrev_b32_e32 v1, 3, v8
	v_cmpx_gt_u32_e32 8, v8
; %bb.1084:                             ;   in Loop: Header=BB226_988 Depth=1
	v_ffbh_u32_e32 v1, v6
	v_min_u32_e32 v1, 32, v1
	v_subrev_nc_u32_e32 v8, 28, v1
	v_sub_nc_u32_e32 v1, 29, v1
	v_lshlrev_b64 v[10:11], v8, v[6:7]
	v_and_b32_e32 v6, 7, v10
; %bb.1085:                             ;   in Loop: Header=BB226_988 Depth=1
	s_or_b32 exec_lo, exec_lo, s18
	v_mov_b32_e32 v8, 24
	v_lshlrev_b32_e32 v6, 20, v6
	v_lshl_add_u32 v1, v1, 23, 0x3c000000
	v_mov_b32_e32 v10, v7
	v_lshlrev_b32_sdwa v0, v8, v0 dst_sel:DWORD dst_unused:UNUSED_PAD src0_sel:DWORD src1_sel:BYTE_3
	v_and_b32_e32 v0, 0x80000000, v0
	v_or3_b32 v11, v6, v0, v1
.LBB226_1086:                           ;   in Loop: Header=BB226_988 Depth=1
	s_or_b32 exec_lo, exec_lo, s15
.LBB226_1087:                           ;   in Loop: Header=BB226_988 Depth=1
	s_or_b32 exec_lo, exec_lo, s13
.LBB226_1088:                           ;   in Loop: Header=BB226_988 Depth=1
	s_or_b32 exec_lo, exec_lo, s7
	v_or_b32_e32 v0, v20, v18
	v_or_b32_e32 v1, v19, v17
	;; [unrolled: 1-line block ×4, first 2 shown]
	v_mul_f32_e32 v0, v99, v0
	buffer_store_dword v0, off, s[0:3], s32 offset:276 ; 4-byte Folded Spill
	v_mul_f32_e32 v0, v83, v1
	buffer_store_dword v0, off, s[0:3], s32 offset:284 ; 4-byte Folded Spill
	;; [unrolled: 2-line block ×4, first 2 shown]
	s_and_saveexec_b32 s7, vcc_lo
	s_cbranch_execz .LBB226_1090
; %bb.1089:                             ;   in Loop: Header=BB226_988 Depth=1
	buffer_load_dword v0, off, s[0:3], s32 offset:284 ; 4-byte Folded Reload
	v_cmp_lt_i32_e64 s4, v40, v26
	s_waitcnt vmcnt(0)
	v_cndmask_b32_e64 v0, 0, v0, s4
	v_cmp_lt_i32_e64 s4, v42, v26
	buffer_store_dword v0, off, s[0:3], s32 offset:284 ; 4-byte Folded Spill
	buffer_load_dword v0, off, s[0:3], s32 offset:276 ; 4-byte Folded Reload
	s_waitcnt vmcnt(0)
	v_cndmask_b32_e64 v0, 0, v0, s4
	v_cmp_lt_i32_e64 s4, v41, v26
	buffer_store_dword v0, off, s[0:3], s32 offset:276 ; 4-byte Folded Spill
	buffer_load_dword v0, off, s[0:3], s32 offset:268 ; 4-byte Folded Reload
	;; [unrolled: 5-line block ×3, first 2 shown]
	s_waitcnt vmcnt(0)
	v_cndmask_b32_e64 v0, 0, v0, s4
	buffer_store_dword v0, off, s[0:3], s32 offset:260 ; 4-byte Folded Spill
.LBB226_1090:                           ;   in Loop: Header=BB226_988 Depth=1
	s_or_b32 exec_lo, exec_lo, s7
	flat_load_dword v0, v[15:16] offset:384
	v_mov_b32_e32 v19, 0
	v_mov_b32_e32 v17, 0
	;; [unrolled: 1-line block ×4, first 2 shown]
	s_waitcnt vmcnt(0) lgkmcnt(0)
	v_cmp_ne_u16_sdwa s4, v0, v7 src0_sel:BYTE_0 src1_sel:DWORD
	s_and_saveexec_b32 s7, s4
	s_cbranch_execz .LBB226_1098
; %bb.1091:                             ;   in Loop: Header=BB226_988 Depth=1
	v_bfrev_b32_e32 v17, 1
	v_mov_b32_e32 v18, 0
	v_cmp_ne_u16_sdwa s4, v0, v84 src0_sel:BYTE_0 src1_sel:DWORD
	s_and_saveexec_b32 s13, s4
	s_cbranch_execz .LBB226_1097
; %bb.1092:                             ;   in Loop: Header=BB226_988 Depth=1
	v_mov_b32_e32 v17, 0x7f800001
	v_and_b32_e32 v8, 0x7f, v0
	v_mov_b32_e32 v18, 0
	s_mov_b32 s15, exec_lo
	v_cmpx_ne_u32_e32 0x7f, v8
	s_cbranch_execz .LBB226_1096
; %bb.1093:                             ;   in Loop: Header=BB226_988 Depth=1
	v_and_b32_e32 v6, 7, v0
	v_lshrrev_b32_e32 v1, 3, v8
	s_mov_b32 s18, exec_lo
	v_cmpx_gt_u32_e32 8, v8
; %bb.1094:                             ;   in Loop: Header=BB226_988 Depth=1
	v_ffbh_u32_e32 v1, v6
	v_min_u32_e32 v1, 32, v1
	v_subrev_nc_u32_e32 v8, 28, v1
	v_sub_nc_u32_e32 v1, 29, v1
	v_lshlrev_b64 v[10:11], v8, v[6:7]
	v_and_b32_e32 v6, 7, v10
; %bb.1095:                             ;   in Loop: Header=BB226_988 Depth=1
	s_or_b32 exec_lo, exec_lo, s18
	v_lshlrev_b32_e32 v8, 24, v0
	v_lshlrev_b32_e32 v6, 20, v6
	v_lshl_add_u32 v1, v1, 23, 0x3c000000
	v_and_b32_e32 v8, 0x80000000, v8
	v_or3_b32 v6, v6, v8, v1
	v_mov_b32_e32 v18, v7
	v_mov_b32_e32 v17, v6
.LBB226_1096:                           ;   in Loop: Header=BB226_988 Depth=1
	s_or_b32 exec_lo, exec_lo, s15
.LBB226_1097:                           ;   in Loop: Header=BB226_988 Depth=1
	s_or_b32 exec_lo, exec_lo, s13
.LBB226_1098:                           ;   in Loop: Header=BB226_988 Depth=1
	s_or_b32 exec_lo, exec_lo, s7
	v_cmp_ne_u16_sdwa s4, v0, v7 src0_sel:BYTE_1 src1_sel:DWORD
	s_and_saveexec_b32 s7, s4
	s_cbranch_execz .LBB226_1106
; %bb.1099:                             ;   in Loop: Header=BB226_988 Depth=1
	v_mov_b32_e32 v8, v7
	v_mov_b32_e32 v20, v9
	v_cmp_ne_u16_sdwa s4, v0, v84 src0_sel:BYTE_1 src1_sel:DWORD
	v_mov_b32_e32 v19, v8
	s_and_saveexec_b32 s13, s4
	s_cbranch_execz .LBB226_1105
; %bb.1100:                             ;   in Loop: Header=BB226_988 Depth=1
	v_and_b32_sdwa v1, v120, v0 dst_sel:DWORD dst_unused:UNUSED_PAD src0_sel:DWORD src1_sel:BYTE_1
	v_mov_b32_e32 v11, v7
	v_mov_b32_e32 v20, v12
	s_mov_b32 s15, exec_lo
	v_and_b32_e32 v8, 0x7f, v1
	v_mov_b32_e32 v19, v11
	v_cmpx_ne_u32_e32 0x7f, v8
	s_cbranch_execz .LBB226_1104
; %bb.1101:                             ;   in Loop: Header=BB226_988 Depth=1
	v_and_b32_e32 v6, 7, v1
	v_lshrrev_b32_e32 v1, 3, v8
	s_mov_b32 s18, exec_lo
	v_cmpx_gt_u32_e32 8, v8
; %bb.1102:                             ;   in Loop: Header=BB226_988 Depth=1
	v_ffbh_u32_e32 v1, v6
	v_min_u32_e32 v1, 32, v1
	v_subrev_nc_u32_e32 v8, 28, v1
	v_sub_nc_u32_e32 v1, 29, v1
	v_lshlrev_b64 v[10:11], v8, v[6:7]
	v_and_b32_e32 v6, 7, v10
; %bb.1103:                             ;   in Loop: Header=BB226_988 Depth=1
	s_or_b32 exec_lo, exec_lo, s18
	v_lshlrev_b32_e32 v8, 16, v0
	v_lshlrev_b32_e32 v6, 20, v6
	v_lshl_add_u32 v1, v1, 23, 0x3c000000
	v_mov_b32_e32 v19, v7
	v_and_b32_e32 v8, 0x80000000, v8
	v_or3_b32 v20, v6, v8, v1
.LBB226_1104:                           ;   in Loop: Header=BB226_988 Depth=1
	s_or_b32 exec_lo, exec_lo, s15
.LBB226_1105:                           ;   in Loop: Header=BB226_988 Depth=1
	s_or_b32 exec_lo, exec_lo, s13
.LBB226_1106:                           ;   in Loop: Header=BB226_988 Depth=1
	s_or_b32 exec_lo, exec_lo, s7
	v_mov_b32_e32 v10, 0
	v_mov_b32_e32 v21, 0
	v_and_b32_sdwa v1, v0, v86 dst_sel:DWORD dst_unused:UNUSED_PAD src0_sel:WORD_1 src1_sel:DWORD
	v_mov_b32_e32 v11, 0
	v_mov_b32_e32 v22, 0
	s_mov_b32 s7, exec_lo
	v_cmpx_ne_u16_e32 0, v1
	s_cbranch_execz .LBB226_1114
; %bb.1107:                             ;   in Loop: Header=BB226_988 Depth=1
	v_bfrev_b32_e32 v21, 1
	v_mov_b32_e32 v22, 0
	s_mov_b32 s13, exec_lo
	v_cmpx_ne_u16_e32 0x80, v1
	s_cbranch_execz .LBB226_1113
; %bb.1108:                             ;   in Loop: Header=BB226_988 Depth=1
	v_mov_b32_e32 v21, 0x7f800001
	v_bfe_u32 v8, v0, 16, 7
	v_mov_b32_e32 v22, 0
	s_mov_b32 s15, exec_lo
	v_cmpx_ne_u32_e32 0x7f, v8
	s_cbranch_execz .LBB226_1112
; %bb.1109:                             ;   in Loop: Header=BB226_988 Depth=1
	v_mov_b32_e32 v1, 7
	s_mov_b32 s18, exec_lo
	v_and_b32_sdwa v6, v0, v1 dst_sel:DWORD dst_unused:UNUSED_PAD src0_sel:WORD_1 src1_sel:DWORD
	v_lshrrev_b32_e32 v1, 3, v8
	v_cmpx_gt_u32_e32 8, v8
; %bb.1110:                             ;   in Loop: Header=BB226_988 Depth=1
	v_ffbh_u32_e32 v1, v6
	v_min_u32_e32 v1, 32, v1
	v_subrev_nc_u32_e32 v8, 28, v1
	v_sub_nc_u32_e32 v1, 29, v1
	v_lshlrev_b64 v[21:22], v8, v[6:7]
	v_and_b32_e32 v6, 7, v21
; %bb.1111:                             ;   in Loop: Header=BB226_988 Depth=1
	s_or_b32 exec_lo, exec_lo, s18
	v_mov_b32_e32 v8, 24
	v_lshlrev_b32_e32 v6, 20, v6
	v_lshl_add_u32 v1, v1, 23, 0x3c000000
	v_lshlrev_b32_sdwa v8, v8, v0 dst_sel:DWORD dst_unused:UNUSED_PAD src0_sel:DWORD src1_sel:WORD_1
	v_and_b32_e32 v8, 0x80000000, v8
	v_or3_b32 v6, v6, v8, v1
	v_mov_b32_e32 v22, v7
	v_mov_b32_e32 v21, v6
.LBB226_1112:                           ;   in Loop: Header=BB226_988 Depth=1
	s_or_b32 exec_lo, exec_lo, s15
.LBB226_1113:                           ;   in Loop: Header=BB226_988 Depth=1
	s_or_b32 exec_lo, exec_lo, s13
.LBB226_1114:                           ;   in Loop: Header=BB226_988 Depth=1
	s_or_b32 exec_lo, exec_lo, s7
	s_mov_b32 s7, exec_lo
	v_cmpx_lt_u32_e32 0xffffff, v0
	s_cbranch_execz .LBB226_1122
; %bb.1115:                             ;   in Loop: Header=BB226_988 Depth=1
	v_mov_b32_e32 v8, v7
	v_mov_b32_e32 v11, v9
	v_cmp_ne_u32_sdwa s4, v0, v84 src0_sel:BYTE_3 src1_sel:DWORD
	v_mov_b32_e32 v10, v8
	s_and_saveexec_b32 s13, s4
	s_cbranch_execz .LBB226_1121
; %bb.1116:                             ;   in Loop: Header=BB226_988 Depth=1
	v_mov_b32_e32 v11, v7
	v_bfe_u32 v8, v0, 24, 7
	s_mov_b32 s15, exec_lo
	v_mov_b32_e32 v10, v11
	v_mov_b32_e32 v11, v12
	v_cmpx_ne_u32_e32 0x7f, v8
	s_cbranch_execz .LBB226_1120
; %bb.1117:                             ;   in Loop: Header=BB226_988 Depth=1
	v_mov_b32_e32 v1, 7
	s_mov_b32 s18, exec_lo
	v_and_b32_sdwa v6, v0, v1 dst_sel:DWORD dst_unused:UNUSED_PAD src0_sel:BYTE_3 src1_sel:DWORD
	v_lshrrev_b32_e32 v1, 3, v8
	v_cmpx_gt_u32_e32 8, v8
; %bb.1118:                             ;   in Loop: Header=BB226_988 Depth=1
	v_ffbh_u32_e32 v1, v6
	v_min_u32_e32 v1, 32, v1
	v_subrev_nc_u32_e32 v8, 28, v1
	v_sub_nc_u32_e32 v1, 29, v1
	v_lshlrev_b64 v[10:11], v8, v[6:7]
	v_and_b32_e32 v6, 7, v10
; %bb.1119:                             ;   in Loop: Header=BB226_988 Depth=1
	s_or_b32 exec_lo, exec_lo, s18
	v_mov_b32_e32 v8, 24
	v_lshlrev_b32_e32 v6, 20, v6
	v_lshl_add_u32 v1, v1, 23, 0x3c000000
	v_mov_b32_e32 v10, v7
	v_lshlrev_b32_sdwa v0, v8, v0 dst_sel:DWORD dst_unused:UNUSED_PAD src0_sel:DWORD src1_sel:BYTE_3
	v_and_b32_e32 v0, 0x80000000, v0
	v_or3_b32 v11, v6, v0, v1
.LBB226_1120:                           ;   in Loop: Header=BB226_988 Depth=1
	s_or_b32 exec_lo, exec_lo, s15
.LBB226_1121:                           ;   in Loop: Header=BB226_988 Depth=1
	s_or_b32 exec_lo, exec_lo, s13
.LBB226_1122:                           ;   in Loop: Header=BB226_988 Depth=1
	s_or_b32 exec_lo, exec_lo, s7
	v_or_b32_e32 v0, v20, v18
	v_or_b32_e32 v1, v19, v17
	;; [unrolled: 1-line block ×4, first 2 shown]
	v_mul_f32_e32 v0, v99, v0
	buffer_store_dword v0, off, s[0:3], s32 offset:316 ; 4-byte Folded Spill
	v_mul_f32_e32 v0, v83, v1
	buffer_store_dword v0, off, s[0:3], s32 offset:308 ; 4-byte Folded Spill
	;; [unrolled: 2-line block ×4, first 2 shown]
	s_and_saveexec_b32 s7, vcc_lo
	s_cbranch_execz .LBB226_1124
; %bb.1123:                             ;   in Loop: Header=BB226_988 Depth=1
	buffer_load_dword v0, off, s[0:3], s32 offset:308 ; 4-byte Folded Reload
	v_cmp_lt_i32_e64 s4, v40, v26
	s_waitcnt vmcnt(0)
	v_cndmask_b32_e64 v0, 0, v0, s4
	v_cmp_lt_i32_e64 s4, v42, v26
	buffer_store_dword v0, off, s[0:3], s32 offset:308 ; 4-byte Folded Spill
	buffer_load_dword v0, off, s[0:3], s32 offset:316 ; 4-byte Folded Reload
	s_waitcnt vmcnt(0)
	v_cndmask_b32_e64 v0, 0, v0, s4
	v_cmp_lt_i32_e64 s4, v41, v26
	buffer_store_dword v0, off, s[0:3], s32 offset:316 ; 4-byte Folded Spill
	buffer_load_dword v0, off, s[0:3], s32 offset:300 ; 4-byte Folded Reload
	;; [unrolled: 5-line block ×3, first 2 shown]
	s_waitcnt vmcnt(0)
	v_cndmask_b32_e64 v0, 0, v0, s4
	buffer_store_dword v0, off, s[0:3], s32 offset:292 ; 4-byte Folded Spill
.LBB226_1124:                           ;   in Loop: Header=BB226_988 Depth=1
	s_or_b32 exec_lo, exec_lo, s7
	flat_load_dword v0, v[15:16] offset:512
	v_mov_b32_e32 v19, 0
	v_mov_b32_e32 v17, 0
	;; [unrolled: 1-line block ×4, first 2 shown]
	s_waitcnt vmcnt(0) lgkmcnt(0)
	v_cmp_ne_u16_sdwa s4, v0, v7 src0_sel:BYTE_0 src1_sel:DWORD
	s_and_saveexec_b32 s7, s4
	s_cbranch_execz .LBB226_1132
; %bb.1125:                             ;   in Loop: Header=BB226_988 Depth=1
	v_bfrev_b32_e32 v17, 1
	v_mov_b32_e32 v18, 0
	v_cmp_ne_u16_sdwa s4, v0, v84 src0_sel:BYTE_0 src1_sel:DWORD
	s_and_saveexec_b32 s13, s4
	s_cbranch_execz .LBB226_1131
; %bb.1126:                             ;   in Loop: Header=BB226_988 Depth=1
	v_mov_b32_e32 v17, 0x7f800001
	v_and_b32_e32 v8, 0x7f, v0
	v_mov_b32_e32 v18, 0
	s_mov_b32 s15, exec_lo
	v_cmpx_ne_u32_e32 0x7f, v8
	s_cbranch_execz .LBB226_1130
; %bb.1127:                             ;   in Loop: Header=BB226_988 Depth=1
	v_and_b32_e32 v6, 7, v0
	v_lshrrev_b32_e32 v1, 3, v8
	s_mov_b32 s18, exec_lo
	v_cmpx_gt_u32_e32 8, v8
; %bb.1128:                             ;   in Loop: Header=BB226_988 Depth=1
	v_ffbh_u32_e32 v1, v6
	v_min_u32_e32 v1, 32, v1
	v_subrev_nc_u32_e32 v8, 28, v1
	v_sub_nc_u32_e32 v1, 29, v1
	v_lshlrev_b64 v[10:11], v8, v[6:7]
	v_and_b32_e32 v6, 7, v10
; %bb.1129:                             ;   in Loop: Header=BB226_988 Depth=1
	s_or_b32 exec_lo, exec_lo, s18
	v_lshlrev_b32_e32 v8, 24, v0
	v_lshlrev_b32_e32 v6, 20, v6
	v_lshl_add_u32 v1, v1, 23, 0x3c000000
	v_and_b32_e32 v8, 0x80000000, v8
	v_or3_b32 v6, v6, v8, v1
	v_mov_b32_e32 v18, v7
	v_mov_b32_e32 v17, v6
.LBB226_1130:                           ;   in Loop: Header=BB226_988 Depth=1
	s_or_b32 exec_lo, exec_lo, s15
.LBB226_1131:                           ;   in Loop: Header=BB226_988 Depth=1
	s_or_b32 exec_lo, exec_lo, s13
.LBB226_1132:                           ;   in Loop: Header=BB226_988 Depth=1
	s_or_b32 exec_lo, exec_lo, s7
	v_cmp_ne_u16_sdwa s4, v0, v7 src0_sel:BYTE_1 src1_sel:DWORD
	s_and_saveexec_b32 s7, s4
	s_cbranch_execz .LBB226_1140
; %bb.1133:                             ;   in Loop: Header=BB226_988 Depth=1
	v_mov_b32_e32 v8, v7
	v_mov_b32_e32 v20, v9
	v_cmp_ne_u16_sdwa s4, v0, v84 src0_sel:BYTE_1 src1_sel:DWORD
	v_mov_b32_e32 v19, v8
	s_and_saveexec_b32 s13, s4
	s_cbranch_execz .LBB226_1139
; %bb.1134:                             ;   in Loop: Header=BB226_988 Depth=1
	v_and_b32_sdwa v1, v120, v0 dst_sel:DWORD dst_unused:UNUSED_PAD src0_sel:DWORD src1_sel:BYTE_1
	v_mov_b32_e32 v11, v7
	v_mov_b32_e32 v20, v12
	s_mov_b32 s15, exec_lo
	v_and_b32_e32 v8, 0x7f, v1
	v_mov_b32_e32 v19, v11
	v_cmpx_ne_u32_e32 0x7f, v8
	s_cbranch_execz .LBB226_1138
; %bb.1135:                             ;   in Loop: Header=BB226_988 Depth=1
	v_and_b32_e32 v6, 7, v1
	v_lshrrev_b32_e32 v1, 3, v8
	s_mov_b32 s18, exec_lo
	v_cmpx_gt_u32_e32 8, v8
; %bb.1136:                             ;   in Loop: Header=BB226_988 Depth=1
	v_ffbh_u32_e32 v1, v6
	v_min_u32_e32 v1, 32, v1
	v_subrev_nc_u32_e32 v8, 28, v1
	v_sub_nc_u32_e32 v1, 29, v1
	v_lshlrev_b64 v[10:11], v8, v[6:7]
	v_and_b32_e32 v6, 7, v10
; %bb.1137:                             ;   in Loop: Header=BB226_988 Depth=1
	s_or_b32 exec_lo, exec_lo, s18
	v_lshlrev_b32_e32 v8, 16, v0
	v_lshlrev_b32_e32 v6, 20, v6
	v_lshl_add_u32 v1, v1, 23, 0x3c000000
	v_mov_b32_e32 v19, v7
	v_and_b32_e32 v8, 0x80000000, v8
	v_or3_b32 v20, v6, v8, v1
.LBB226_1138:                           ;   in Loop: Header=BB226_988 Depth=1
	s_or_b32 exec_lo, exec_lo, s15
.LBB226_1139:                           ;   in Loop: Header=BB226_988 Depth=1
	s_or_b32 exec_lo, exec_lo, s13
.LBB226_1140:                           ;   in Loop: Header=BB226_988 Depth=1
	s_or_b32 exec_lo, exec_lo, s7
	v_mov_b32_e32 v10, 0
	v_mov_b32_e32 v21, 0
	v_and_b32_sdwa v1, v0, v86 dst_sel:DWORD dst_unused:UNUSED_PAD src0_sel:WORD_1 src1_sel:DWORD
	v_mov_b32_e32 v11, 0
	v_mov_b32_e32 v22, 0
	s_mov_b32 s7, exec_lo
	v_cmpx_ne_u16_e32 0, v1
	s_cbranch_execz .LBB226_1148
; %bb.1141:                             ;   in Loop: Header=BB226_988 Depth=1
	v_bfrev_b32_e32 v21, 1
	v_mov_b32_e32 v22, 0
	s_mov_b32 s13, exec_lo
	v_cmpx_ne_u16_e32 0x80, v1
	s_cbranch_execz .LBB226_1147
; %bb.1142:                             ;   in Loop: Header=BB226_988 Depth=1
	v_mov_b32_e32 v21, 0x7f800001
	v_bfe_u32 v8, v0, 16, 7
	v_mov_b32_e32 v22, 0
	s_mov_b32 s15, exec_lo
	v_cmpx_ne_u32_e32 0x7f, v8
	s_cbranch_execz .LBB226_1146
; %bb.1143:                             ;   in Loop: Header=BB226_988 Depth=1
	v_mov_b32_e32 v1, 7
	s_mov_b32 s18, exec_lo
	v_and_b32_sdwa v6, v0, v1 dst_sel:DWORD dst_unused:UNUSED_PAD src0_sel:WORD_1 src1_sel:DWORD
	v_lshrrev_b32_e32 v1, 3, v8
	v_cmpx_gt_u32_e32 8, v8
; %bb.1144:                             ;   in Loop: Header=BB226_988 Depth=1
	v_ffbh_u32_e32 v1, v6
	v_min_u32_e32 v1, 32, v1
	v_subrev_nc_u32_e32 v8, 28, v1
	v_sub_nc_u32_e32 v1, 29, v1
	v_lshlrev_b64 v[21:22], v8, v[6:7]
	v_and_b32_e32 v6, 7, v21
; %bb.1145:                             ;   in Loop: Header=BB226_988 Depth=1
	s_or_b32 exec_lo, exec_lo, s18
	v_mov_b32_e32 v8, 24
	v_lshlrev_b32_e32 v6, 20, v6
	v_lshl_add_u32 v1, v1, 23, 0x3c000000
	v_lshlrev_b32_sdwa v8, v8, v0 dst_sel:DWORD dst_unused:UNUSED_PAD src0_sel:DWORD src1_sel:WORD_1
	v_and_b32_e32 v8, 0x80000000, v8
	v_or3_b32 v6, v6, v8, v1
	v_mov_b32_e32 v22, v7
	v_mov_b32_e32 v21, v6
.LBB226_1146:                           ;   in Loop: Header=BB226_988 Depth=1
	s_or_b32 exec_lo, exec_lo, s15
.LBB226_1147:                           ;   in Loop: Header=BB226_988 Depth=1
	s_or_b32 exec_lo, exec_lo, s13
.LBB226_1148:                           ;   in Loop: Header=BB226_988 Depth=1
	s_or_b32 exec_lo, exec_lo, s7
	s_mov_b32 s7, exec_lo
	v_cmpx_lt_u32_e32 0xffffff, v0
	s_cbranch_execz .LBB226_1156
; %bb.1149:                             ;   in Loop: Header=BB226_988 Depth=1
	v_mov_b32_e32 v8, v7
	v_mov_b32_e32 v11, v9
	v_cmp_ne_u32_sdwa s4, v0, v84 src0_sel:BYTE_3 src1_sel:DWORD
	v_mov_b32_e32 v10, v8
	s_and_saveexec_b32 s13, s4
	s_cbranch_execz .LBB226_1155
; %bb.1150:                             ;   in Loop: Header=BB226_988 Depth=1
	v_mov_b32_e32 v11, v7
	v_bfe_u32 v8, v0, 24, 7
	s_mov_b32 s15, exec_lo
	v_mov_b32_e32 v10, v11
	v_mov_b32_e32 v11, v12
	v_cmpx_ne_u32_e32 0x7f, v8
	s_cbranch_execz .LBB226_1154
; %bb.1151:                             ;   in Loop: Header=BB226_988 Depth=1
	v_mov_b32_e32 v1, 7
	s_mov_b32 s18, exec_lo
	v_and_b32_sdwa v6, v0, v1 dst_sel:DWORD dst_unused:UNUSED_PAD src0_sel:BYTE_3 src1_sel:DWORD
	v_lshrrev_b32_e32 v1, 3, v8
	v_cmpx_gt_u32_e32 8, v8
; %bb.1152:                             ;   in Loop: Header=BB226_988 Depth=1
	v_ffbh_u32_e32 v1, v6
	v_min_u32_e32 v1, 32, v1
	v_subrev_nc_u32_e32 v8, 28, v1
	v_sub_nc_u32_e32 v1, 29, v1
	v_lshlrev_b64 v[10:11], v8, v[6:7]
	v_and_b32_e32 v6, 7, v10
; %bb.1153:                             ;   in Loop: Header=BB226_988 Depth=1
	s_or_b32 exec_lo, exec_lo, s18
	v_mov_b32_e32 v8, 24
	v_lshlrev_b32_e32 v6, 20, v6
	v_lshl_add_u32 v1, v1, 23, 0x3c000000
	v_mov_b32_e32 v10, v7
	v_lshlrev_b32_sdwa v0, v8, v0 dst_sel:DWORD dst_unused:UNUSED_PAD src0_sel:DWORD src1_sel:BYTE_3
	v_and_b32_e32 v0, 0x80000000, v0
	v_or3_b32 v11, v6, v0, v1
.LBB226_1154:                           ;   in Loop: Header=BB226_988 Depth=1
	s_or_b32 exec_lo, exec_lo, s15
.LBB226_1155:                           ;   in Loop: Header=BB226_988 Depth=1
	s_or_b32 exec_lo, exec_lo, s13
.LBB226_1156:                           ;   in Loop: Header=BB226_988 Depth=1
	s_or_b32 exec_lo, exec_lo, s7
	v_or_b32_e32 v0, v20, v18
	v_or_b32_e32 v1, v19, v17
	;; [unrolled: 1-line block ×4, first 2 shown]
	v_mul_f32_e32 v0, v99, v0
	buffer_store_dword v0, off, s[0:3], s32 offset:348 ; 4-byte Folded Spill
	v_mul_f32_e32 v0, v83, v1
	buffer_store_dword v0, off, s[0:3], s32 offset:340 ; 4-byte Folded Spill
	;; [unrolled: 2-line block ×4, first 2 shown]
	s_and_saveexec_b32 s7, vcc_lo
	s_cbranch_execz .LBB226_1158
; %bb.1157:                             ;   in Loop: Header=BB226_988 Depth=1
	buffer_load_dword v0, off, s[0:3], s32 offset:340 ; 4-byte Folded Reload
	v_cmp_lt_i32_e64 s4, v40, v26
	s_waitcnt vmcnt(0)
	v_cndmask_b32_e64 v0, 0, v0, s4
	v_cmp_lt_i32_e64 s4, v42, v26
	buffer_store_dword v0, off, s[0:3], s32 offset:340 ; 4-byte Folded Spill
	buffer_load_dword v0, off, s[0:3], s32 offset:348 ; 4-byte Folded Reload
	s_waitcnt vmcnt(0)
	v_cndmask_b32_e64 v0, 0, v0, s4
	v_cmp_lt_i32_e64 s4, v41, v26
	buffer_store_dword v0, off, s[0:3], s32 offset:348 ; 4-byte Folded Spill
	buffer_load_dword v0, off, s[0:3], s32 offset:332 ; 4-byte Folded Reload
	s_waitcnt vmcnt(0)
	v_cndmask_b32_e64 v0, 0, v0, s4
	v_cmp_lt_i32_e64 s4, v97, v26
	buffer_store_dword v0, off, s[0:3], s32 offset:332 ; 4-byte Folded Spill
	buffer_load_dword v0, off, s[0:3], s32 offset:324 ; 4-byte Folded Reload
	s_waitcnt vmcnt(0)
	v_cndmask_b32_e64 v0, 0, v0, s4
	buffer_store_dword v0, off, s[0:3], s32 offset:324 ; 4-byte Folded Spill
.LBB226_1158:                           ;   in Loop: Header=BB226_988 Depth=1
	s_or_b32 exec_lo, exec_lo, s7
	flat_load_dword v0, v[15:16] offset:640
	v_mov_b32_e32 v19, 0
	v_mov_b32_e32 v17, 0
	;; [unrolled: 1-line block ×4, first 2 shown]
	s_waitcnt vmcnt(0) lgkmcnt(0)
	v_cmp_ne_u16_sdwa s4, v0, v7 src0_sel:BYTE_0 src1_sel:DWORD
	s_and_saveexec_b32 s7, s4
	s_cbranch_execz .LBB226_1166
; %bb.1159:                             ;   in Loop: Header=BB226_988 Depth=1
	v_bfrev_b32_e32 v17, 1
	v_mov_b32_e32 v18, 0
	v_cmp_ne_u16_sdwa s4, v0, v84 src0_sel:BYTE_0 src1_sel:DWORD
	s_and_saveexec_b32 s13, s4
	s_cbranch_execz .LBB226_1165
; %bb.1160:                             ;   in Loop: Header=BB226_988 Depth=1
	v_mov_b32_e32 v17, 0x7f800001
	v_and_b32_e32 v8, 0x7f, v0
	v_mov_b32_e32 v18, 0
	s_mov_b32 s15, exec_lo
	v_cmpx_ne_u32_e32 0x7f, v8
	s_cbranch_execz .LBB226_1164
; %bb.1161:                             ;   in Loop: Header=BB226_988 Depth=1
	v_and_b32_e32 v6, 7, v0
	v_lshrrev_b32_e32 v1, 3, v8
	s_mov_b32 s18, exec_lo
	v_cmpx_gt_u32_e32 8, v8
; %bb.1162:                             ;   in Loop: Header=BB226_988 Depth=1
	v_ffbh_u32_e32 v1, v6
	v_min_u32_e32 v1, 32, v1
	v_subrev_nc_u32_e32 v8, 28, v1
	v_sub_nc_u32_e32 v1, 29, v1
	v_lshlrev_b64 v[10:11], v8, v[6:7]
	v_and_b32_e32 v6, 7, v10
; %bb.1163:                             ;   in Loop: Header=BB226_988 Depth=1
	s_or_b32 exec_lo, exec_lo, s18
	v_lshlrev_b32_e32 v8, 24, v0
	v_lshlrev_b32_e32 v6, 20, v6
	v_lshl_add_u32 v1, v1, 23, 0x3c000000
	v_and_b32_e32 v8, 0x80000000, v8
	v_or3_b32 v6, v6, v8, v1
	v_mov_b32_e32 v18, v7
	v_mov_b32_e32 v17, v6
.LBB226_1164:                           ;   in Loop: Header=BB226_988 Depth=1
	s_or_b32 exec_lo, exec_lo, s15
.LBB226_1165:                           ;   in Loop: Header=BB226_988 Depth=1
	s_or_b32 exec_lo, exec_lo, s13
.LBB226_1166:                           ;   in Loop: Header=BB226_988 Depth=1
	s_or_b32 exec_lo, exec_lo, s7
	v_cmp_ne_u16_sdwa s4, v0, v7 src0_sel:BYTE_1 src1_sel:DWORD
	s_and_saveexec_b32 s7, s4
	s_cbranch_execz .LBB226_1174
; %bb.1167:                             ;   in Loop: Header=BB226_988 Depth=1
	v_mov_b32_e32 v8, v7
	v_mov_b32_e32 v20, v9
	v_cmp_ne_u16_sdwa s4, v0, v84 src0_sel:BYTE_1 src1_sel:DWORD
	v_mov_b32_e32 v19, v8
	s_and_saveexec_b32 s13, s4
	s_cbranch_execz .LBB226_1173
; %bb.1168:                             ;   in Loop: Header=BB226_988 Depth=1
	v_and_b32_sdwa v1, v120, v0 dst_sel:DWORD dst_unused:UNUSED_PAD src0_sel:DWORD src1_sel:BYTE_1
	v_mov_b32_e32 v11, v7
	v_mov_b32_e32 v20, v12
	s_mov_b32 s15, exec_lo
	v_and_b32_e32 v8, 0x7f, v1
	v_mov_b32_e32 v19, v11
	v_cmpx_ne_u32_e32 0x7f, v8
	s_cbranch_execz .LBB226_1172
; %bb.1169:                             ;   in Loop: Header=BB226_988 Depth=1
	v_and_b32_e32 v6, 7, v1
	v_lshrrev_b32_e32 v1, 3, v8
	s_mov_b32 s18, exec_lo
	v_cmpx_gt_u32_e32 8, v8
; %bb.1170:                             ;   in Loop: Header=BB226_988 Depth=1
	v_ffbh_u32_e32 v1, v6
	v_min_u32_e32 v1, 32, v1
	v_subrev_nc_u32_e32 v8, 28, v1
	v_sub_nc_u32_e32 v1, 29, v1
	v_lshlrev_b64 v[10:11], v8, v[6:7]
	v_and_b32_e32 v6, 7, v10
; %bb.1171:                             ;   in Loop: Header=BB226_988 Depth=1
	s_or_b32 exec_lo, exec_lo, s18
	v_lshlrev_b32_e32 v8, 16, v0
	v_lshlrev_b32_e32 v6, 20, v6
	v_lshl_add_u32 v1, v1, 23, 0x3c000000
	v_mov_b32_e32 v19, v7
	v_and_b32_e32 v8, 0x80000000, v8
	v_or3_b32 v20, v6, v8, v1
.LBB226_1172:                           ;   in Loop: Header=BB226_988 Depth=1
	s_or_b32 exec_lo, exec_lo, s15
.LBB226_1173:                           ;   in Loop: Header=BB226_988 Depth=1
	s_or_b32 exec_lo, exec_lo, s13
.LBB226_1174:                           ;   in Loop: Header=BB226_988 Depth=1
	s_or_b32 exec_lo, exec_lo, s7
	v_mov_b32_e32 v10, 0
	v_mov_b32_e32 v21, 0
	v_and_b32_sdwa v1, v0, v86 dst_sel:DWORD dst_unused:UNUSED_PAD src0_sel:WORD_1 src1_sel:DWORD
	v_mov_b32_e32 v11, 0
	v_mov_b32_e32 v22, 0
	s_mov_b32 s7, exec_lo
	v_cmpx_ne_u16_e32 0, v1
	s_cbranch_execz .LBB226_1182
; %bb.1175:                             ;   in Loop: Header=BB226_988 Depth=1
	v_bfrev_b32_e32 v21, 1
	v_mov_b32_e32 v22, 0
	s_mov_b32 s13, exec_lo
	v_cmpx_ne_u16_e32 0x80, v1
	s_cbranch_execz .LBB226_1181
; %bb.1176:                             ;   in Loop: Header=BB226_988 Depth=1
	v_mov_b32_e32 v21, 0x7f800001
	v_bfe_u32 v8, v0, 16, 7
	v_mov_b32_e32 v22, 0
	s_mov_b32 s15, exec_lo
	v_cmpx_ne_u32_e32 0x7f, v8
	s_cbranch_execz .LBB226_1180
; %bb.1177:                             ;   in Loop: Header=BB226_988 Depth=1
	v_mov_b32_e32 v1, 7
	s_mov_b32 s18, exec_lo
	v_and_b32_sdwa v6, v0, v1 dst_sel:DWORD dst_unused:UNUSED_PAD src0_sel:WORD_1 src1_sel:DWORD
	v_lshrrev_b32_e32 v1, 3, v8
	v_cmpx_gt_u32_e32 8, v8
; %bb.1178:                             ;   in Loop: Header=BB226_988 Depth=1
	v_ffbh_u32_e32 v1, v6
	v_min_u32_e32 v1, 32, v1
	v_subrev_nc_u32_e32 v8, 28, v1
	v_sub_nc_u32_e32 v1, 29, v1
	v_lshlrev_b64 v[21:22], v8, v[6:7]
	v_and_b32_e32 v6, 7, v21
; %bb.1179:                             ;   in Loop: Header=BB226_988 Depth=1
	s_or_b32 exec_lo, exec_lo, s18
	v_mov_b32_e32 v8, 24
	v_lshlrev_b32_e32 v6, 20, v6
	v_lshl_add_u32 v1, v1, 23, 0x3c000000
	v_lshlrev_b32_sdwa v8, v8, v0 dst_sel:DWORD dst_unused:UNUSED_PAD src0_sel:DWORD src1_sel:WORD_1
	v_and_b32_e32 v8, 0x80000000, v8
	v_or3_b32 v6, v6, v8, v1
	v_mov_b32_e32 v22, v7
	v_mov_b32_e32 v21, v6
.LBB226_1180:                           ;   in Loop: Header=BB226_988 Depth=1
	s_or_b32 exec_lo, exec_lo, s15
.LBB226_1181:                           ;   in Loop: Header=BB226_988 Depth=1
	s_or_b32 exec_lo, exec_lo, s13
.LBB226_1182:                           ;   in Loop: Header=BB226_988 Depth=1
	s_or_b32 exec_lo, exec_lo, s7
	s_mov_b32 s7, exec_lo
	v_cmpx_lt_u32_e32 0xffffff, v0
	s_cbranch_execz .LBB226_1190
; %bb.1183:                             ;   in Loop: Header=BB226_988 Depth=1
	v_mov_b32_e32 v8, v7
	v_mov_b32_e32 v11, v9
	v_cmp_ne_u32_sdwa s4, v0, v84 src0_sel:BYTE_3 src1_sel:DWORD
	v_mov_b32_e32 v10, v8
	s_and_saveexec_b32 s13, s4
	s_cbranch_execz .LBB226_1189
; %bb.1184:                             ;   in Loop: Header=BB226_988 Depth=1
	v_mov_b32_e32 v11, v7
	v_bfe_u32 v8, v0, 24, 7
	s_mov_b32 s15, exec_lo
	v_mov_b32_e32 v10, v11
	v_mov_b32_e32 v11, v12
	v_cmpx_ne_u32_e32 0x7f, v8
	s_cbranch_execz .LBB226_1188
; %bb.1185:                             ;   in Loop: Header=BB226_988 Depth=1
	v_mov_b32_e32 v1, 7
	s_mov_b32 s18, exec_lo
	v_and_b32_sdwa v6, v0, v1 dst_sel:DWORD dst_unused:UNUSED_PAD src0_sel:BYTE_3 src1_sel:DWORD
	v_lshrrev_b32_e32 v1, 3, v8
	v_cmpx_gt_u32_e32 8, v8
; %bb.1186:                             ;   in Loop: Header=BB226_988 Depth=1
	v_ffbh_u32_e32 v1, v6
	v_min_u32_e32 v1, 32, v1
	v_subrev_nc_u32_e32 v8, 28, v1
	v_sub_nc_u32_e32 v1, 29, v1
	v_lshlrev_b64 v[10:11], v8, v[6:7]
	v_and_b32_e32 v6, 7, v10
; %bb.1187:                             ;   in Loop: Header=BB226_988 Depth=1
	s_or_b32 exec_lo, exec_lo, s18
	v_mov_b32_e32 v8, 24
	v_lshlrev_b32_e32 v6, 20, v6
	v_lshl_add_u32 v1, v1, 23, 0x3c000000
	v_mov_b32_e32 v10, v7
	v_lshlrev_b32_sdwa v0, v8, v0 dst_sel:DWORD dst_unused:UNUSED_PAD src0_sel:DWORD src1_sel:BYTE_3
	v_and_b32_e32 v0, 0x80000000, v0
	v_or3_b32 v11, v6, v0, v1
.LBB226_1188:                           ;   in Loop: Header=BB226_988 Depth=1
	s_or_b32 exec_lo, exec_lo, s15
.LBB226_1189:                           ;   in Loop: Header=BB226_988 Depth=1
	s_or_b32 exec_lo, exec_lo, s13
.LBB226_1190:                           ;   in Loop: Header=BB226_988 Depth=1
	s_or_b32 exec_lo, exec_lo, s7
	v_or_b32_e32 v0, v20, v18
	v_or_b32_e32 v1, v19, v17
	;; [unrolled: 1-line block ×4, first 2 shown]
	v_mul_f32_e32 v0, v99, v0
	buffer_store_dword v0, off, s[0:3], s32 offset:372 ; 4-byte Folded Spill
	v_mul_f32_e32 v0, v83, v1
	buffer_store_dword v0, off, s[0:3], s32 offset:380 ; 4-byte Folded Spill
	;; [unrolled: 2-line block ×4, first 2 shown]
	s_and_saveexec_b32 s7, vcc_lo
	s_cbranch_execz .LBB226_1192
; %bb.1191:                             ;   in Loop: Header=BB226_988 Depth=1
	buffer_load_dword v0, off, s[0:3], s32 offset:380 ; 4-byte Folded Reload
	v_cmp_lt_i32_e64 s4, v40, v26
	s_waitcnt vmcnt(0)
	v_cndmask_b32_e64 v0, 0, v0, s4
	v_cmp_lt_i32_e64 s4, v42, v26
	buffer_store_dword v0, off, s[0:3], s32 offset:380 ; 4-byte Folded Spill
	buffer_load_dword v0, off, s[0:3], s32 offset:372 ; 4-byte Folded Reload
	s_waitcnt vmcnt(0)
	v_cndmask_b32_e64 v0, 0, v0, s4
	v_cmp_lt_i32_e64 s4, v41, v26
	buffer_store_dword v0, off, s[0:3], s32 offset:372 ; 4-byte Folded Spill
	buffer_load_dword v0, off, s[0:3], s32 offset:364 ; 4-byte Folded Reload
	;; [unrolled: 5-line block ×3, first 2 shown]
	s_waitcnt vmcnt(0)
	v_cndmask_b32_e64 v0, 0, v0, s4
	buffer_store_dword v0, off, s[0:3], s32 offset:356 ; 4-byte Folded Spill
.LBB226_1192:                           ;   in Loop: Header=BB226_988 Depth=1
	s_or_b32 exec_lo, exec_lo, s7
	flat_load_dword v0, v[15:16] offset:768
	v_mov_b32_e32 v19, 0
	v_mov_b32_e32 v17, 0
	;; [unrolled: 1-line block ×4, first 2 shown]
	s_waitcnt vmcnt(0) lgkmcnt(0)
	v_cmp_ne_u16_sdwa s4, v0, v7 src0_sel:BYTE_0 src1_sel:DWORD
	s_and_saveexec_b32 s7, s4
	s_cbranch_execz .LBB226_1200
; %bb.1193:                             ;   in Loop: Header=BB226_988 Depth=1
	v_bfrev_b32_e32 v17, 1
	v_mov_b32_e32 v18, 0
	v_cmp_ne_u16_sdwa s4, v0, v84 src0_sel:BYTE_0 src1_sel:DWORD
	s_and_saveexec_b32 s13, s4
	s_cbranch_execz .LBB226_1199
; %bb.1194:                             ;   in Loop: Header=BB226_988 Depth=1
	v_mov_b32_e32 v17, 0x7f800001
	v_and_b32_e32 v8, 0x7f, v0
	v_mov_b32_e32 v18, 0
	s_mov_b32 s15, exec_lo
	v_cmpx_ne_u32_e32 0x7f, v8
	s_cbranch_execz .LBB226_1198
; %bb.1195:                             ;   in Loop: Header=BB226_988 Depth=1
	v_and_b32_e32 v6, 7, v0
	v_lshrrev_b32_e32 v1, 3, v8
	s_mov_b32 s18, exec_lo
	v_cmpx_gt_u32_e32 8, v8
; %bb.1196:                             ;   in Loop: Header=BB226_988 Depth=1
	v_ffbh_u32_e32 v1, v6
	v_min_u32_e32 v1, 32, v1
	v_subrev_nc_u32_e32 v8, 28, v1
	v_sub_nc_u32_e32 v1, 29, v1
	v_lshlrev_b64 v[10:11], v8, v[6:7]
	v_and_b32_e32 v6, 7, v10
; %bb.1197:                             ;   in Loop: Header=BB226_988 Depth=1
	s_or_b32 exec_lo, exec_lo, s18
	v_lshlrev_b32_e32 v8, 24, v0
	v_lshlrev_b32_e32 v6, 20, v6
	v_lshl_add_u32 v1, v1, 23, 0x3c000000
	v_and_b32_e32 v8, 0x80000000, v8
	v_or3_b32 v6, v6, v8, v1
	v_mov_b32_e32 v18, v7
	v_mov_b32_e32 v17, v6
.LBB226_1198:                           ;   in Loop: Header=BB226_988 Depth=1
	s_or_b32 exec_lo, exec_lo, s15
.LBB226_1199:                           ;   in Loop: Header=BB226_988 Depth=1
	s_or_b32 exec_lo, exec_lo, s13
.LBB226_1200:                           ;   in Loop: Header=BB226_988 Depth=1
	s_or_b32 exec_lo, exec_lo, s7
	v_cmp_ne_u16_sdwa s4, v0, v7 src0_sel:BYTE_1 src1_sel:DWORD
	s_and_saveexec_b32 s7, s4
	s_cbranch_execz .LBB226_1208
; %bb.1201:                             ;   in Loop: Header=BB226_988 Depth=1
	v_mov_b32_e32 v8, v7
	v_mov_b32_e32 v20, v9
	v_cmp_ne_u16_sdwa s4, v0, v84 src0_sel:BYTE_1 src1_sel:DWORD
	v_mov_b32_e32 v19, v8
	s_and_saveexec_b32 s13, s4
	s_cbranch_execz .LBB226_1207
; %bb.1202:                             ;   in Loop: Header=BB226_988 Depth=1
	v_and_b32_sdwa v1, v120, v0 dst_sel:DWORD dst_unused:UNUSED_PAD src0_sel:DWORD src1_sel:BYTE_1
	v_mov_b32_e32 v11, v7
	v_mov_b32_e32 v20, v12
	s_mov_b32 s15, exec_lo
	v_and_b32_e32 v8, 0x7f, v1
	v_mov_b32_e32 v19, v11
	v_cmpx_ne_u32_e32 0x7f, v8
	s_cbranch_execz .LBB226_1206
; %bb.1203:                             ;   in Loop: Header=BB226_988 Depth=1
	v_and_b32_e32 v6, 7, v1
	v_lshrrev_b32_e32 v1, 3, v8
	s_mov_b32 s18, exec_lo
	v_cmpx_gt_u32_e32 8, v8
; %bb.1204:                             ;   in Loop: Header=BB226_988 Depth=1
	v_ffbh_u32_e32 v1, v6
	v_min_u32_e32 v1, 32, v1
	v_subrev_nc_u32_e32 v8, 28, v1
	v_sub_nc_u32_e32 v1, 29, v1
	v_lshlrev_b64 v[10:11], v8, v[6:7]
	v_and_b32_e32 v6, 7, v10
; %bb.1205:                             ;   in Loop: Header=BB226_988 Depth=1
	s_or_b32 exec_lo, exec_lo, s18
	v_lshlrev_b32_e32 v8, 16, v0
	v_lshlrev_b32_e32 v6, 20, v6
	v_lshl_add_u32 v1, v1, 23, 0x3c000000
	v_mov_b32_e32 v19, v7
	v_and_b32_e32 v8, 0x80000000, v8
	v_or3_b32 v20, v6, v8, v1
.LBB226_1206:                           ;   in Loop: Header=BB226_988 Depth=1
	s_or_b32 exec_lo, exec_lo, s15
.LBB226_1207:                           ;   in Loop: Header=BB226_988 Depth=1
	s_or_b32 exec_lo, exec_lo, s13
.LBB226_1208:                           ;   in Loop: Header=BB226_988 Depth=1
	s_or_b32 exec_lo, exec_lo, s7
	v_mov_b32_e32 v10, 0
	v_mov_b32_e32 v21, 0
	v_and_b32_sdwa v1, v0, v86 dst_sel:DWORD dst_unused:UNUSED_PAD src0_sel:WORD_1 src1_sel:DWORD
	v_mov_b32_e32 v11, 0
	v_mov_b32_e32 v22, 0
	s_mov_b32 s7, exec_lo
	v_cmpx_ne_u16_e32 0, v1
	s_cbranch_execz .LBB226_1216
; %bb.1209:                             ;   in Loop: Header=BB226_988 Depth=1
	v_bfrev_b32_e32 v21, 1
	v_mov_b32_e32 v22, 0
	s_mov_b32 s13, exec_lo
	v_cmpx_ne_u16_e32 0x80, v1
	s_cbranch_execz .LBB226_1215
; %bb.1210:                             ;   in Loop: Header=BB226_988 Depth=1
	v_mov_b32_e32 v21, 0x7f800001
	v_bfe_u32 v8, v0, 16, 7
	v_mov_b32_e32 v22, 0
	s_mov_b32 s15, exec_lo
	v_cmpx_ne_u32_e32 0x7f, v8
	s_cbranch_execz .LBB226_1214
; %bb.1211:                             ;   in Loop: Header=BB226_988 Depth=1
	v_mov_b32_e32 v1, 7
	s_mov_b32 s18, exec_lo
	v_and_b32_sdwa v6, v0, v1 dst_sel:DWORD dst_unused:UNUSED_PAD src0_sel:WORD_1 src1_sel:DWORD
	v_lshrrev_b32_e32 v1, 3, v8
	v_cmpx_gt_u32_e32 8, v8
; %bb.1212:                             ;   in Loop: Header=BB226_988 Depth=1
	v_ffbh_u32_e32 v1, v6
	v_min_u32_e32 v1, 32, v1
	v_subrev_nc_u32_e32 v8, 28, v1
	v_sub_nc_u32_e32 v1, 29, v1
	v_lshlrev_b64 v[21:22], v8, v[6:7]
	v_and_b32_e32 v6, 7, v21
; %bb.1213:                             ;   in Loop: Header=BB226_988 Depth=1
	s_or_b32 exec_lo, exec_lo, s18
	v_mov_b32_e32 v8, 24
	v_lshlrev_b32_e32 v6, 20, v6
	v_lshl_add_u32 v1, v1, 23, 0x3c000000
	v_lshlrev_b32_sdwa v8, v8, v0 dst_sel:DWORD dst_unused:UNUSED_PAD src0_sel:DWORD src1_sel:WORD_1
	v_and_b32_e32 v8, 0x80000000, v8
	v_or3_b32 v6, v6, v8, v1
	v_mov_b32_e32 v22, v7
	v_mov_b32_e32 v21, v6
.LBB226_1214:                           ;   in Loop: Header=BB226_988 Depth=1
	s_or_b32 exec_lo, exec_lo, s15
.LBB226_1215:                           ;   in Loop: Header=BB226_988 Depth=1
	s_or_b32 exec_lo, exec_lo, s13
.LBB226_1216:                           ;   in Loop: Header=BB226_988 Depth=1
	s_or_b32 exec_lo, exec_lo, s7
	s_mov_b32 s7, exec_lo
	v_cmpx_lt_u32_e32 0xffffff, v0
	s_cbranch_execz .LBB226_1224
; %bb.1217:                             ;   in Loop: Header=BB226_988 Depth=1
	v_mov_b32_e32 v8, v7
	v_mov_b32_e32 v11, v9
	v_cmp_ne_u32_sdwa s4, v0, v84 src0_sel:BYTE_3 src1_sel:DWORD
	v_mov_b32_e32 v10, v8
	s_and_saveexec_b32 s13, s4
	s_cbranch_execz .LBB226_1223
; %bb.1218:                             ;   in Loop: Header=BB226_988 Depth=1
	v_mov_b32_e32 v11, v7
	v_bfe_u32 v8, v0, 24, 7
	s_mov_b32 s15, exec_lo
	v_mov_b32_e32 v10, v11
	v_mov_b32_e32 v11, v12
	v_cmpx_ne_u32_e32 0x7f, v8
	s_cbranch_execz .LBB226_1222
; %bb.1219:                             ;   in Loop: Header=BB226_988 Depth=1
	v_mov_b32_e32 v1, 7
	s_mov_b32 s18, exec_lo
	v_and_b32_sdwa v6, v0, v1 dst_sel:DWORD dst_unused:UNUSED_PAD src0_sel:BYTE_3 src1_sel:DWORD
	v_lshrrev_b32_e32 v1, 3, v8
	v_cmpx_gt_u32_e32 8, v8
; %bb.1220:                             ;   in Loop: Header=BB226_988 Depth=1
	v_ffbh_u32_e32 v1, v6
	v_min_u32_e32 v1, 32, v1
	v_subrev_nc_u32_e32 v8, 28, v1
	v_sub_nc_u32_e32 v1, 29, v1
	v_lshlrev_b64 v[10:11], v8, v[6:7]
	v_and_b32_e32 v6, 7, v10
; %bb.1221:                             ;   in Loop: Header=BB226_988 Depth=1
	s_or_b32 exec_lo, exec_lo, s18
	v_mov_b32_e32 v8, 24
	v_lshlrev_b32_e32 v6, 20, v6
	v_lshl_add_u32 v1, v1, 23, 0x3c000000
	v_mov_b32_e32 v10, v7
	v_lshlrev_b32_sdwa v0, v8, v0 dst_sel:DWORD dst_unused:UNUSED_PAD src0_sel:DWORD src1_sel:BYTE_3
	v_and_b32_e32 v0, 0x80000000, v0
	v_or3_b32 v11, v6, v0, v1
.LBB226_1222:                           ;   in Loop: Header=BB226_988 Depth=1
	s_or_b32 exec_lo, exec_lo, s15
.LBB226_1223:                           ;   in Loop: Header=BB226_988 Depth=1
	s_or_b32 exec_lo, exec_lo, s13
.LBB226_1224:                           ;   in Loop: Header=BB226_988 Depth=1
	s_or_b32 exec_lo, exec_lo, s7
	v_or_b32_e32 v0, v20, v18
	v_or_b32_e32 v1, v19, v17
	;; [unrolled: 1-line block ×4, first 2 shown]
	v_mul_f32_e32 v0, v99, v0
	buffer_store_dword v0, off, s[0:3], s32 offset:404 ; 4-byte Folded Spill
	v_mul_f32_e32 v0, v83, v1
	buffer_store_dword v0, off, s[0:3], s32 offset:412 ; 4-byte Folded Spill
	;; [unrolled: 2-line block ×4, first 2 shown]
	s_and_saveexec_b32 s7, vcc_lo
	s_cbranch_execz .LBB226_1226
; %bb.1225:                             ;   in Loop: Header=BB226_988 Depth=1
	buffer_load_dword v0, off, s[0:3], s32 offset:412 ; 4-byte Folded Reload
	v_cmp_lt_i32_e64 s4, v40, v26
	s_waitcnt vmcnt(0)
	v_cndmask_b32_e64 v0, 0, v0, s4
	v_cmp_lt_i32_e64 s4, v42, v26
	buffer_store_dword v0, off, s[0:3], s32 offset:412 ; 4-byte Folded Spill
	buffer_load_dword v0, off, s[0:3], s32 offset:404 ; 4-byte Folded Reload
	s_waitcnt vmcnt(0)
	v_cndmask_b32_e64 v0, 0, v0, s4
	v_cmp_lt_i32_e64 s4, v41, v26
	buffer_store_dword v0, off, s[0:3], s32 offset:404 ; 4-byte Folded Spill
	buffer_load_dword v0, off, s[0:3], s32 offset:396 ; 4-byte Folded Reload
	;; [unrolled: 5-line block ×3, first 2 shown]
	s_waitcnt vmcnt(0)
	v_cndmask_b32_e64 v0, 0, v0, s4
	buffer_store_dword v0, off, s[0:3], s32 offset:388 ; 4-byte Folded Spill
.LBB226_1226:                           ;   in Loop: Header=BB226_988 Depth=1
	s_or_b32 exec_lo, exec_lo, s7
	flat_load_dword v0, v[15:16] offset:896
	v_mov_b32_e32 v19, 0
	v_mov_b32_e32 v17, 0
	;; [unrolled: 1-line block ×4, first 2 shown]
	s_waitcnt vmcnt(0) lgkmcnt(0)
	v_cmp_ne_u16_sdwa s4, v0, v7 src0_sel:BYTE_0 src1_sel:DWORD
	s_and_saveexec_b32 s7, s4
	s_cbranch_execz .LBB226_1234
; %bb.1227:                             ;   in Loop: Header=BB226_988 Depth=1
	v_bfrev_b32_e32 v17, 1
	v_mov_b32_e32 v18, 0
	v_cmp_ne_u16_sdwa s4, v0, v84 src0_sel:BYTE_0 src1_sel:DWORD
	s_and_saveexec_b32 s13, s4
	s_cbranch_execz .LBB226_1233
; %bb.1228:                             ;   in Loop: Header=BB226_988 Depth=1
	v_mov_b32_e32 v17, 0x7f800001
	v_and_b32_e32 v8, 0x7f, v0
	v_mov_b32_e32 v18, 0
	s_mov_b32 s15, exec_lo
	v_cmpx_ne_u32_e32 0x7f, v8
	s_cbranch_execz .LBB226_1232
; %bb.1229:                             ;   in Loop: Header=BB226_988 Depth=1
	v_and_b32_e32 v6, 7, v0
	v_lshrrev_b32_e32 v1, 3, v8
	s_mov_b32 s18, exec_lo
	v_cmpx_gt_u32_e32 8, v8
; %bb.1230:                             ;   in Loop: Header=BB226_988 Depth=1
	v_ffbh_u32_e32 v1, v6
	v_min_u32_e32 v1, 32, v1
	v_subrev_nc_u32_e32 v8, 28, v1
	v_sub_nc_u32_e32 v1, 29, v1
	v_lshlrev_b64 v[10:11], v8, v[6:7]
	v_and_b32_e32 v6, 7, v10
; %bb.1231:                             ;   in Loop: Header=BB226_988 Depth=1
	s_or_b32 exec_lo, exec_lo, s18
	v_lshlrev_b32_e32 v8, 24, v0
	v_lshlrev_b32_e32 v6, 20, v6
	v_lshl_add_u32 v1, v1, 23, 0x3c000000
	v_and_b32_e32 v8, 0x80000000, v8
	v_or3_b32 v6, v6, v8, v1
	v_mov_b32_e32 v18, v7
	v_mov_b32_e32 v17, v6
.LBB226_1232:                           ;   in Loop: Header=BB226_988 Depth=1
	s_or_b32 exec_lo, exec_lo, s15
.LBB226_1233:                           ;   in Loop: Header=BB226_988 Depth=1
	s_or_b32 exec_lo, exec_lo, s13
.LBB226_1234:                           ;   in Loop: Header=BB226_988 Depth=1
	s_or_b32 exec_lo, exec_lo, s7
	v_cmp_ne_u16_sdwa s4, v0, v7 src0_sel:BYTE_1 src1_sel:DWORD
	s_and_saveexec_b32 s7, s4
	s_cbranch_execz .LBB226_1242
; %bb.1235:                             ;   in Loop: Header=BB226_988 Depth=1
	v_mov_b32_e32 v8, v7
	v_mov_b32_e32 v20, v9
	v_cmp_ne_u16_sdwa s4, v0, v84 src0_sel:BYTE_1 src1_sel:DWORD
	v_mov_b32_e32 v19, v8
	s_and_saveexec_b32 s13, s4
	s_cbranch_execz .LBB226_1241
; %bb.1236:                             ;   in Loop: Header=BB226_988 Depth=1
	v_and_b32_sdwa v1, v120, v0 dst_sel:DWORD dst_unused:UNUSED_PAD src0_sel:DWORD src1_sel:BYTE_1
	v_mov_b32_e32 v11, v7
	v_mov_b32_e32 v20, v12
	s_mov_b32 s15, exec_lo
	v_and_b32_e32 v8, 0x7f, v1
	v_mov_b32_e32 v19, v11
	v_cmpx_ne_u32_e32 0x7f, v8
	s_cbranch_execz .LBB226_1240
; %bb.1237:                             ;   in Loop: Header=BB226_988 Depth=1
	v_and_b32_e32 v6, 7, v1
	v_lshrrev_b32_e32 v1, 3, v8
	s_mov_b32 s18, exec_lo
	v_cmpx_gt_u32_e32 8, v8
; %bb.1238:                             ;   in Loop: Header=BB226_988 Depth=1
	v_ffbh_u32_e32 v1, v6
	v_min_u32_e32 v1, 32, v1
	v_subrev_nc_u32_e32 v8, 28, v1
	v_sub_nc_u32_e32 v1, 29, v1
	v_lshlrev_b64 v[10:11], v8, v[6:7]
	v_and_b32_e32 v6, 7, v10
; %bb.1239:                             ;   in Loop: Header=BB226_988 Depth=1
	s_or_b32 exec_lo, exec_lo, s18
	v_lshlrev_b32_e32 v8, 16, v0
	v_lshlrev_b32_e32 v6, 20, v6
	v_lshl_add_u32 v1, v1, 23, 0x3c000000
	v_mov_b32_e32 v19, v7
	v_and_b32_e32 v8, 0x80000000, v8
	v_or3_b32 v20, v6, v8, v1
.LBB226_1240:                           ;   in Loop: Header=BB226_988 Depth=1
	s_or_b32 exec_lo, exec_lo, s15
.LBB226_1241:                           ;   in Loop: Header=BB226_988 Depth=1
	s_or_b32 exec_lo, exec_lo, s13
.LBB226_1242:                           ;   in Loop: Header=BB226_988 Depth=1
	s_or_b32 exec_lo, exec_lo, s7
	v_mov_b32_e32 v10, 0
	v_mov_b32_e32 v21, 0
	v_and_b32_sdwa v1, v0, v86 dst_sel:DWORD dst_unused:UNUSED_PAD src0_sel:WORD_1 src1_sel:DWORD
	v_mov_b32_e32 v11, 0
	v_mov_b32_e32 v22, 0
	s_mov_b32 s7, exec_lo
	v_cmpx_ne_u16_e32 0, v1
	s_cbranch_execz .LBB226_1250
; %bb.1243:                             ;   in Loop: Header=BB226_988 Depth=1
	v_bfrev_b32_e32 v21, 1
	v_mov_b32_e32 v22, 0
	s_mov_b32 s13, exec_lo
	v_cmpx_ne_u16_e32 0x80, v1
	s_cbranch_execz .LBB226_1249
; %bb.1244:                             ;   in Loop: Header=BB226_988 Depth=1
	v_mov_b32_e32 v21, 0x7f800001
	v_bfe_u32 v8, v0, 16, 7
	v_mov_b32_e32 v22, 0
	s_mov_b32 s15, exec_lo
	v_cmpx_ne_u32_e32 0x7f, v8
	s_cbranch_execz .LBB226_1248
; %bb.1245:                             ;   in Loop: Header=BB226_988 Depth=1
	v_mov_b32_e32 v1, 7
	s_mov_b32 s18, exec_lo
	v_and_b32_sdwa v6, v0, v1 dst_sel:DWORD dst_unused:UNUSED_PAD src0_sel:WORD_1 src1_sel:DWORD
	v_lshrrev_b32_e32 v1, 3, v8
	v_cmpx_gt_u32_e32 8, v8
; %bb.1246:                             ;   in Loop: Header=BB226_988 Depth=1
	v_ffbh_u32_e32 v1, v6
	v_min_u32_e32 v1, 32, v1
	v_subrev_nc_u32_e32 v8, 28, v1
	v_sub_nc_u32_e32 v1, 29, v1
	v_lshlrev_b64 v[21:22], v8, v[6:7]
	v_and_b32_e32 v6, 7, v21
; %bb.1247:                             ;   in Loop: Header=BB226_988 Depth=1
	s_or_b32 exec_lo, exec_lo, s18
	v_mov_b32_e32 v8, 24
	v_lshlrev_b32_e32 v6, 20, v6
	v_lshl_add_u32 v1, v1, 23, 0x3c000000
	v_lshlrev_b32_sdwa v8, v8, v0 dst_sel:DWORD dst_unused:UNUSED_PAD src0_sel:DWORD src1_sel:WORD_1
	v_and_b32_e32 v8, 0x80000000, v8
	v_or3_b32 v6, v6, v8, v1
	v_mov_b32_e32 v22, v7
	v_mov_b32_e32 v21, v6
.LBB226_1248:                           ;   in Loop: Header=BB226_988 Depth=1
	s_or_b32 exec_lo, exec_lo, s15
.LBB226_1249:                           ;   in Loop: Header=BB226_988 Depth=1
	s_or_b32 exec_lo, exec_lo, s13
.LBB226_1250:                           ;   in Loop: Header=BB226_988 Depth=1
	s_or_b32 exec_lo, exec_lo, s7
	s_mov_b32 s7, exec_lo
	v_cmpx_lt_u32_e32 0xffffff, v0
	s_cbranch_execz .LBB226_1258
; %bb.1251:                             ;   in Loop: Header=BB226_988 Depth=1
	v_mov_b32_e32 v8, v7
	v_mov_b32_e32 v11, v9
	v_cmp_ne_u32_sdwa s4, v0, v84 src0_sel:BYTE_3 src1_sel:DWORD
	v_mov_b32_e32 v10, v8
	s_and_saveexec_b32 s13, s4
	s_cbranch_execz .LBB226_1257
; %bb.1252:                             ;   in Loop: Header=BB226_988 Depth=1
	v_mov_b32_e32 v11, v7
	v_bfe_u32 v8, v0, 24, 7
	s_mov_b32 s15, exec_lo
	v_mov_b32_e32 v10, v11
	v_mov_b32_e32 v11, v12
	v_cmpx_ne_u32_e32 0x7f, v8
	s_cbranch_execz .LBB226_1256
; %bb.1253:                             ;   in Loop: Header=BB226_988 Depth=1
	v_mov_b32_e32 v1, 7
	s_mov_b32 s18, exec_lo
	v_and_b32_sdwa v6, v0, v1 dst_sel:DWORD dst_unused:UNUSED_PAD src0_sel:BYTE_3 src1_sel:DWORD
	v_lshrrev_b32_e32 v1, 3, v8
	v_cmpx_gt_u32_e32 8, v8
; %bb.1254:                             ;   in Loop: Header=BB226_988 Depth=1
	v_ffbh_u32_e32 v1, v6
	v_min_u32_e32 v1, 32, v1
	v_subrev_nc_u32_e32 v8, 28, v1
	v_sub_nc_u32_e32 v1, 29, v1
	v_lshlrev_b64 v[10:11], v8, v[6:7]
	v_and_b32_e32 v6, 7, v10
; %bb.1255:                             ;   in Loop: Header=BB226_988 Depth=1
	s_or_b32 exec_lo, exec_lo, s18
	v_mov_b32_e32 v8, 24
	v_lshlrev_b32_e32 v6, 20, v6
	v_lshl_add_u32 v1, v1, 23, 0x3c000000
	v_mov_b32_e32 v10, v7
	v_lshlrev_b32_sdwa v0, v8, v0 dst_sel:DWORD dst_unused:UNUSED_PAD src0_sel:DWORD src1_sel:BYTE_3
	v_and_b32_e32 v0, 0x80000000, v0
	v_or3_b32 v11, v6, v0, v1
.LBB226_1256:                           ;   in Loop: Header=BB226_988 Depth=1
	s_or_b32 exec_lo, exec_lo, s15
.LBB226_1257:                           ;   in Loop: Header=BB226_988 Depth=1
	s_or_b32 exec_lo, exec_lo, s13
.LBB226_1258:                           ;   in Loop: Header=BB226_988 Depth=1
	s_or_b32 exec_lo, exec_lo, s7
	v_or_b32_e32 v0, v20, v18
	v_or_b32_e32 v1, v19, v17
	;; [unrolled: 1-line block ×4, first 2 shown]
	v_mul_f32_e32 v0, v99, v0
	buffer_store_dword v0, off, s[0:3], s32 offset:436 ; 4-byte Folded Spill
	v_mul_f32_e32 v0, v83, v1
	buffer_store_dword v0, off, s[0:3], s32 offset:444 ; 4-byte Folded Spill
	;; [unrolled: 2-line block ×4, first 2 shown]
	s_and_saveexec_b32 s7, vcc_lo
	s_cbranch_execz .LBB226_1260
; %bb.1259:                             ;   in Loop: Header=BB226_988 Depth=1
	buffer_load_dword v0, off, s[0:3], s32 offset:444 ; 4-byte Folded Reload
	v_cmp_lt_i32_e64 s4, v40, v26
	s_waitcnt vmcnt(0)
	v_cndmask_b32_e64 v0, 0, v0, s4
	v_cmp_lt_i32_e64 s4, v42, v26
	buffer_store_dword v0, off, s[0:3], s32 offset:444 ; 4-byte Folded Spill
	buffer_load_dword v0, off, s[0:3], s32 offset:436 ; 4-byte Folded Reload
	s_waitcnt vmcnt(0)
	v_cndmask_b32_e64 v0, 0, v0, s4
	v_cmp_lt_i32_e64 s4, v41, v26
	buffer_store_dword v0, off, s[0:3], s32 offset:436 ; 4-byte Folded Spill
	buffer_load_dword v0, off, s[0:3], s32 offset:428 ; 4-byte Folded Reload
	;; [unrolled: 5-line block ×3, first 2 shown]
	s_waitcnt vmcnt(0)
	v_cndmask_b32_e64 v0, 0, v0, s4
	buffer_store_dword v0, off, s[0:3], s32 offset:420 ; 4-byte Folded Spill
.LBB226_1260:                           ;   in Loop: Header=BB226_988 Depth=1
	s_or_b32 exec_lo, exec_lo, s7
	flat_load_dword v0, v[15:16] offset:1024
	v_mov_b32_e32 v19, 0
	v_mov_b32_e32 v17, 0
	;; [unrolled: 1-line block ×4, first 2 shown]
	s_waitcnt vmcnt(0) lgkmcnt(0)
	v_cmp_ne_u16_sdwa s4, v0, v7 src0_sel:BYTE_0 src1_sel:DWORD
	s_and_saveexec_b32 s7, s4
	s_cbranch_execz .LBB226_1268
; %bb.1261:                             ;   in Loop: Header=BB226_988 Depth=1
	v_bfrev_b32_e32 v17, 1
	v_mov_b32_e32 v18, 0
	v_cmp_ne_u16_sdwa s4, v0, v84 src0_sel:BYTE_0 src1_sel:DWORD
	s_and_saveexec_b32 s13, s4
	s_cbranch_execz .LBB226_1267
; %bb.1262:                             ;   in Loop: Header=BB226_988 Depth=1
	v_mov_b32_e32 v17, 0x7f800001
	v_and_b32_e32 v8, 0x7f, v0
	v_mov_b32_e32 v18, 0
	s_mov_b32 s15, exec_lo
	v_cmpx_ne_u32_e32 0x7f, v8
	s_cbranch_execz .LBB226_1266
; %bb.1263:                             ;   in Loop: Header=BB226_988 Depth=1
	v_and_b32_e32 v6, 7, v0
	v_lshrrev_b32_e32 v1, 3, v8
	s_mov_b32 s18, exec_lo
	v_cmpx_gt_u32_e32 8, v8
; %bb.1264:                             ;   in Loop: Header=BB226_988 Depth=1
	v_ffbh_u32_e32 v1, v6
	v_min_u32_e32 v1, 32, v1
	v_subrev_nc_u32_e32 v8, 28, v1
	v_sub_nc_u32_e32 v1, 29, v1
	v_lshlrev_b64 v[10:11], v8, v[6:7]
	v_and_b32_e32 v6, 7, v10
; %bb.1265:                             ;   in Loop: Header=BB226_988 Depth=1
	s_or_b32 exec_lo, exec_lo, s18
	v_lshlrev_b32_e32 v8, 24, v0
	v_lshlrev_b32_e32 v6, 20, v6
	v_lshl_add_u32 v1, v1, 23, 0x3c000000
	v_and_b32_e32 v8, 0x80000000, v8
	v_or3_b32 v6, v6, v8, v1
	v_mov_b32_e32 v18, v7
	v_mov_b32_e32 v17, v6
.LBB226_1266:                           ;   in Loop: Header=BB226_988 Depth=1
	s_or_b32 exec_lo, exec_lo, s15
.LBB226_1267:                           ;   in Loop: Header=BB226_988 Depth=1
	s_or_b32 exec_lo, exec_lo, s13
.LBB226_1268:                           ;   in Loop: Header=BB226_988 Depth=1
	s_or_b32 exec_lo, exec_lo, s7
	v_cmp_ne_u16_sdwa s4, v0, v7 src0_sel:BYTE_1 src1_sel:DWORD
	s_and_saveexec_b32 s7, s4
	s_cbranch_execz .LBB226_1276
; %bb.1269:                             ;   in Loop: Header=BB226_988 Depth=1
	v_mov_b32_e32 v8, v7
	v_mov_b32_e32 v20, v9
	v_cmp_ne_u16_sdwa s4, v0, v84 src0_sel:BYTE_1 src1_sel:DWORD
	v_mov_b32_e32 v19, v8
	s_and_saveexec_b32 s13, s4
	s_cbranch_execz .LBB226_1275
; %bb.1270:                             ;   in Loop: Header=BB226_988 Depth=1
	v_and_b32_sdwa v1, v120, v0 dst_sel:DWORD dst_unused:UNUSED_PAD src0_sel:DWORD src1_sel:BYTE_1
	v_mov_b32_e32 v11, v7
	v_mov_b32_e32 v20, v12
	s_mov_b32 s15, exec_lo
	v_and_b32_e32 v8, 0x7f, v1
	v_mov_b32_e32 v19, v11
	v_cmpx_ne_u32_e32 0x7f, v8
	s_cbranch_execz .LBB226_1274
; %bb.1271:                             ;   in Loop: Header=BB226_988 Depth=1
	v_and_b32_e32 v6, 7, v1
	v_lshrrev_b32_e32 v1, 3, v8
	s_mov_b32 s18, exec_lo
	v_cmpx_gt_u32_e32 8, v8
; %bb.1272:                             ;   in Loop: Header=BB226_988 Depth=1
	v_ffbh_u32_e32 v1, v6
	v_min_u32_e32 v1, 32, v1
	v_subrev_nc_u32_e32 v8, 28, v1
	v_sub_nc_u32_e32 v1, 29, v1
	v_lshlrev_b64 v[10:11], v8, v[6:7]
	v_and_b32_e32 v6, 7, v10
; %bb.1273:                             ;   in Loop: Header=BB226_988 Depth=1
	s_or_b32 exec_lo, exec_lo, s18
	v_lshlrev_b32_e32 v8, 16, v0
	v_lshlrev_b32_e32 v6, 20, v6
	v_lshl_add_u32 v1, v1, 23, 0x3c000000
	v_mov_b32_e32 v19, v7
	v_and_b32_e32 v8, 0x80000000, v8
	v_or3_b32 v20, v6, v8, v1
.LBB226_1274:                           ;   in Loop: Header=BB226_988 Depth=1
	s_or_b32 exec_lo, exec_lo, s15
.LBB226_1275:                           ;   in Loop: Header=BB226_988 Depth=1
	s_or_b32 exec_lo, exec_lo, s13
.LBB226_1276:                           ;   in Loop: Header=BB226_988 Depth=1
	s_or_b32 exec_lo, exec_lo, s7
	v_mov_b32_e32 v10, 0
	v_mov_b32_e32 v21, 0
	v_and_b32_sdwa v1, v0, v86 dst_sel:DWORD dst_unused:UNUSED_PAD src0_sel:WORD_1 src1_sel:DWORD
	v_mov_b32_e32 v11, 0
	v_mov_b32_e32 v22, 0
	s_mov_b32 s7, exec_lo
	v_cmpx_ne_u16_e32 0, v1
	s_cbranch_execz .LBB226_1284
; %bb.1277:                             ;   in Loop: Header=BB226_988 Depth=1
	v_bfrev_b32_e32 v21, 1
	v_mov_b32_e32 v22, 0
	s_mov_b32 s13, exec_lo
	v_cmpx_ne_u16_e32 0x80, v1
	s_cbranch_execz .LBB226_1283
; %bb.1278:                             ;   in Loop: Header=BB226_988 Depth=1
	v_mov_b32_e32 v21, 0x7f800001
	v_bfe_u32 v8, v0, 16, 7
	v_mov_b32_e32 v22, 0
	s_mov_b32 s15, exec_lo
	v_cmpx_ne_u32_e32 0x7f, v8
	s_cbranch_execz .LBB226_1282
; %bb.1279:                             ;   in Loop: Header=BB226_988 Depth=1
	v_mov_b32_e32 v1, 7
	s_mov_b32 s18, exec_lo
	v_and_b32_sdwa v6, v0, v1 dst_sel:DWORD dst_unused:UNUSED_PAD src0_sel:WORD_1 src1_sel:DWORD
	v_lshrrev_b32_e32 v1, 3, v8
	v_cmpx_gt_u32_e32 8, v8
; %bb.1280:                             ;   in Loop: Header=BB226_988 Depth=1
	v_ffbh_u32_e32 v1, v6
	v_min_u32_e32 v1, 32, v1
	v_subrev_nc_u32_e32 v8, 28, v1
	v_sub_nc_u32_e32 v1, 29, v1
	v_lshlrev_b64 v[21:22], v8, v[6:7]
	v_and_b32_e32 v6, 7, v21
; %bb.1281:                             ;   in Loop: Header=BB226_988 Depth=1
	s_or_b32 exec_lo, exec_lo, s18
	v_mov_b32_e32 v8, 24
	v_lshlrev_b32_e32 v6, 20, v6
	v_lshl_add_u32 v1, v1, 23, 0x3c000000
	v_lshlrev_b32_sdwa v8, v8, v0 dst_sel:DWORD dst_unused:UNUSED_PAD src0_sel:DWORD src1_sel:WORD_1
	v_and_b32_e32 v8, 0x80000000, v8
	v_or3_b32 v6, v6, v8, v1
	v_mov_b32_e32 v22, v7
	v_mov_b32_e32 v21, v6
.LBB226_1282:                           ;   in Loop: Header=BB226_988 Depth=1
	s_or_b32 exec_lo, exec_lo, s15
.LBB226_1283:                           ;   in Loop: Header=BB226_988 Depth=1
	s_or_b32 exec_lo, exec_lo, s13
.LBB226_1284:                           ;   in Loop: Header=BB226_988 Depth=1
	s_or_b32 exec_lo, exec_lo, s7
	s_mov_b32 s7, exec_lo
	v_cmpx_lt_u32_e32 0xffffff, v0
	s_cbranch_execz .LBB226_1292
; %bb.1285:                             ;   in Loop: Header=BB226_988 Depth=1
	v_mov_b32_e32 v8, v7
	v_mov_b32_e32 v11, v9
	v_cmp_ne_u32_sdwa s4, v0, v84 src0_sel:BYTE_3 src1_sel:DWORD
	v_mov_b32_e32 v10, v8
	s_and_saveexec_b32 s13, s4
	s_cbranch_execz .LBB226_1291
; %bb.1286:                             ;   in Loop: Header=BB226_988 Depth=1
	v_mov_b32_e32 v11, v7
	v_bfe_u32 v8, v0, 24, 7
	s_mov_b32 s15, exec_lo
	v_mov_b32_e32 v10, v11
	v_mov_b32_e32 v11, v12
	v_cmpx_ne_u32_e32 0x7f, v8
	s_cbranch_execz .LBB226_1290
; %bb.1287:                             ;   in Loop: Header=BB226_988 Depth=1
	v_mov_b32_e32 v1, 7
	s_mov_b32 s18, exec_lo
	v_and_b32_sdwa v6, v0, v1 dst_sel:DWORD dst_unused:UNUSED_PAD src0_sel:BYTE_3 src1_sel:DWORD
	v_lshrrev_b32_e32 v1, 3, v8
	v_cmpx_gt_u32_e32 8, v8
; %bb.1288:                             ;   in Loop: Header=BB226_988 Depth=1
	v_ffbh_u32_e32 v1, v6
	v_min_u32_e32 v1, 32, v1
	v_subrev_nc_u32_e32 v8, 28, v1
	v_sub_nc_u32_e32 v1, 29, v1
	v_lshlrev_b64 v[10:11], v8, v[6:7]
	v_and_b32_e32 v6, 7, v10
; %bb.1289:                             ;   in Loop: Header=BB226_988 Depth=1
	s_or_b32 exec_lo, exec_lo, s18
	v_mov_b32_e32 v8, 24
	v_lshlrev_b32_e32 v6, 20, v6
	v_lshl_add_u32 v1, v1, 23, 0x3c000000
	v_mov_b32_e32 v10, v7
	v_lshlrev_b32_sdwa v0, v8, v0 dst_sel:DWORD dst_unused:UNUSED_PAD src0_sel:DWORD src1_sel:BYTE_3
	v_and_b32_e32 v0, 0x80000000, v0
	v_or3_b32 v11, v6, v0, v1
.LBB226_1290:                           ;   in Loop: Header=BB226_988 Depth=1
	s_or_b32 exec_lo, exec_lo, s15
.LBB226_1291:                           ;   in Loop: Header=BB226_988 Depth=1
	s_or_b32 exec_lo, exec_lo, s13
.LBB226_1292:                           ;   in Loop: Header=BB226_988 Depth=1
	s_or_b32 exec_lo, exec_lo, s7
	v_or_b32_e32 v0, v20, v18
	v_or_b32_e32 v1, v19, v17
	;; [unrolled: 1-line block ×4, first 2 shown]
	v_mul_f32_e32 v0, v99, v0
	buffer_store_dword v0, off, s[0:3], s32 offset:476 ; 4-byte Folded Spill
	v_mul_f32_e32 v0, v83, v1
	buffer_store_dword v0, off, s[0:3], s32 offset:468 ; 4-byte Folded Spill
	;; [unrolled: 2-line block ×4, first 2 shown]
	s_and_saveexec_b32 s7, vcc_lo
	s_cbranch_execz .LBB226_1294
; %bb.1293:                             ;   in Loop: Header=BB226_988 Depth=1
	buffer_load_dword v0, off, s[0:3], s32 offset:468 ; 4-byte Folded Reload
	v_cmp_lt_i32_e64 s4, v40, v26
	s_waitcnt vmcnt(0)
	v_cndmask_b32_e64 v0, 0, v0, s4
	v_cmp_lt_i32_e64 s4, v42, v26
	buffer_store_dword v0, off, s[0:3], s32 offset:468 ; 4-byte Folded Spill
	buffer_load_dword v0, off, s[0:3], s32 offset:476 ; 4-byte Folded Reload
	s_waitcnt vmcnt(0)
	v_cndmask_b32_e64 v0, 0, v0, s4
	v_cmp_lt_i32_e64 s4, v41, v26
	buffer_store_dword v0, off, s[0:3], s32 offset:476 ; 4-byte Folded Spill
	buffer_load_dword v0, off, s[0:3], s32 offset:460 ; 4-byte Folded Reload
	s_waitcnt vmcnt(0)
	v_cndmask_b32_e64 v0, 0, v0, s4
	v_cmp_lt_i32_e64 s4, v97, v26
	buffer_store_dword v0, off, s[0:3], s32 offset:460 ; 4-byte Folded Spill
	buffer_load_dword v0, off, s[0:3], s32 offset:452 ; 4-byte Folded Reload
	s_waitcnt vmcnt(0)
	v_cndmask_b32_e64 v0, 0, v0, s4
	buffer_store_dword v0, off, s[0:3], s32 offset:452 ; 4-byte Folded Spill
.LBB226_1294:                           ;   in Loop: Header=BB226_988 Depth=1
	s_or_b32 exec_lo, exec_lo, s7
	flat_load_dword v0, v[15:16] offset:1152
	v_mov_b32_e32 v19, 0
	v_mov_b32_e32 v17, 0
	;; [unrolled: 1-line block ×4, first 2 shown]
	s_waitcnt vmcnt(0) lgkmcnt(0)
	v_cmp_ne_u16_sdwa s4, v0, v7 src0_sel:BYTE_0 src1_sel:DWORD
	s_and_saveexec_b32 s7, s4
	s_cbranch_execz .LBB226_1302
; %bb.1295:                             ;   in Loop: Header=BB226_988 Depth=1
	v_bfrev_b32_e32 v17, 1
	v_mov_b32_e32 v18, 0
	v_cmp_ne_u16_sdwa s4, v0, v84 src0_sel:BYTE_0 src1_sel:DWORD
	s_and_saveexec_b32 s13, s4
	s_cbranch_execz .LBB226_1301
; %bb.1296:                             ;   in Loop: Header=BB226_988 Depth=1
	v_mov_b32_e32 v17, 0x7f800001
	v_and_b32_e32 v8, 0x7f, v0
	v_mov_b32_e32 v18, 0
	s_mov_b32 s15, exec_lo
	v_cmpx_ne_u32_e32 0x7f, v8
	s_cbranch_execz .LBB226_1300
; %bb.1297:                             ;   in Loop: Header=BB226_988 Depth=1
	v_and_b32_e32 v6, 7, v0
	v_lshrrev_b32_e32 v1, 3, v8
	s_mov_b32 s18, exec_lo
	v_cmpx_gt_u32_e32 8, v8
; %bb.1298:                             ;   in Loop: Header=BB226_988 Depth=1
	v_ffbh_u32_e32 v1, v6
	v_min_u32_e32 v1, 32, v1
	v_subrev_nc_u32_e32 v8, 28, v1
	v_sub_nc_u32_e32 v1, 29, v1
	v_lshlrev_b64 v[10:11], v8, v[6:7]
	v_and_b32_e32 v6, 7, v10
; %bb.1299:                             ;   in Loop: Header=BB226_988 Depth=1
	s_or_b32 exec_lo, exec_lo, s18
	v_lshlrev_b32_e32 v8, 24, v0
	v_lshlrev_b32_e32 v6, 20, v6
	v_lshl_add_u32 v1, v1, 23, 0x3c000000
	v_and_b32_e32 v8, 0x80000000, v8
	v_or3_b32 v6, v6, v8, v1
	v_mov_b32_e32 v18, v7
	v_mov_b32_e32 v17, v6
.LBB226_1300:                           ;   in Loop: Header=BB226_988 Depth=1
	s_or_b32 exec_lo, exec_lo, s15
.LBB226_1301:                           ;   in Loop: Header=BB226_988 Depth=1
	s_or_b32 exec_lo, exec_lo, s13
.LBB226_1302:                           ;   in Loop: Header=BB226_988 Depth=1
	s_or_b32 exec_lo, exec_lo, s7
	v_cmp_ne_u16_sdwa s4, v0, v7 src0_sel:BYTE_1 src1_sel:DWORD
	s_and_saveexec_b32 s7, s4
	s_cbranch_execz .LBB226_1310
; %bb.1303:                             ;   in Loop: Header=BB226_988 Depth=1
	v_mov_b32_e32 v8, v7
	v_mov_b32_e32 v20, v9
	v_cmp_ne_u16_sdwa s4, v0, v84 src0_sel:BYTE_1 src1_sel:DWORD
	v_mov_b32_e32 v19, v8
	s_and_saveexec_b32 s13, s4
	s_cbranch_execz .LBB226_1309
; %bb.1304:                             ;   in Loop: Header=BB226_988 Depth=1
	v_and_b32_sdwa v1, v120, v0 dst_sel:DWORD dst_unused:UNUSED_PAD src0_sel:DWORD src1_sel:BYTE_1
	v_mov_b32_e32 v11, v7
	v_mov_b32_e32 v20, v12
	s_mov_b32 s15, exec_lo
	v_and_b32_e32 v8, 0x7f, v1
	v_mov_b32_e32 v19, v11
	v_cmpx_ne_u32_e32 0x7f, v8
	s_cbranch_execz .LBB226_1308
; %bb.1305:                             ;   in Loop: Header=BB226_988 Depth=1
	v_and_b32_e32 v6, 7, v1
	v_lshrrev_b32_e32 v1, 3, v8
	s_mov_b32 s18, exec_lo
	v_cmpx_gt_u32_e32 8, v8
; %bb.1306:                             ;   in Loop: Header=BB226_988 Depth=1
	v_ffbh_u32_e32 v1, v6
	v_min_u32_e32 v1, 32, v1
	v_subrev_nc_u32_e32 v8, 28, v1
	v_sub_nc_u32_e32 v1, 29, v1
	v_lshlrev_b64 v[10:11], v8, v[6:7]
	v_and_b32_e32 v6, 7, v10
; %bb.1307:                             ;   in Loop: Header=BB226_988 Depth=1
	s_or_b32 exec_lo, exec_lo, s18
	v_lshlrev_b32_e32 v8, 16, v0
	v_lshlrev_b32_e32 v6, 20, v6
	v_lshl_add_u32 v1, v1, 23, 0x3c000000
	v_mov_b32_e32 v19, v7
	v_and_b32_e32 v8, 0x80000000, v8
	v_or3_b32 v20, v6, v8, v1
.LBB226_1308:                           ;   in Loop: Header=BB226_988 Depth=1
	s_or_b32 exec_lo, exec_lo, s15
.LBB226_1309:                           ;   in Loop: Header=BB226_988 Depth=1
	s_or_b32 exec_lo, exec_lo, s13
.LBB226_1310:                           ;   in Loop: Header=BB226_988 Depth=1
	s_or_b32 exec_lo, exec_lo, s7
	v_mov_b32_e32 v10, 0
	v_mov_b32_e32 v21, 0
	v_and_b32_sdwa v1, v0, v86 dst_sel:DWORD dst_unused:UNUSED_PAD src0_sel:WORD_1 src1_sel:DWORD
	v_mov_b32_e32 v11, 0
	v_mov_b32_e32 v22, 0
	s_mov_b32 s7, exec_lo
	v_cmpx_ne_u16_e32 0, v1
	s_cbranch_execz .LBB226_1318
; %bb.1311:                             ;   in Loop: Header=BB226_988 Depth=1
	v_bfrev_b32_e32 v21, 1
	v_mov_b32_e32 v22, 0
	s_mov_b32 s13, exec_lo
	v_cmpx_ne_u16_e32 0x80, v1
	s_cbranch_execz .LBB226_1317
; %bb.1312:                             ;   in Loop: Header=BB226_988 Depth=1
	v_mov_b32_e32 v21, 0x7f800001
	v_bfe_u32 v8, v0, 16, 7
	v_mov_b32_e32 v22, 0
	s_mov_b32 s15, exec_lo
	v_cmpx_ne_u32_e32 0x7f, v8
	s_cbranch_execz .LBB226_1316
; %bb.1313:                             ;   in Loop: Header=BB226_988 Depth=1
	v_mov_b32_e32 v1, 7
	s_mov_b32 s18, exec_lo
	v_and_b32_sdwa v6, v0, v1 dst_sel:DWORD dst_unused:UNUSED_PAD src0_sel:WORD_1 src1_sel:DWORD
	v_lshrrev_b32_e32 v1, 3, v8
	v_cmpx_gt_u32_e32 8, v8
; %bb.1314:                             ;   in Loop: Header=BB226_988 Depth=1
	v_ffbh_u32_e32 v1, v6
	v_min_u32_e32 v1, 32, v1
	v_subrev_nc_u32_e32 v8, 28, v1
	v_sub_nc_u32_e32 v1, 29, v1
	v_lshlrev_b64 v[21:22], v8, v[6:7]
	v_and_b32_e32 v6, 7, v21
; %bb.1315:                             ;   in Loop: Header=BB226_988 Depth=1
	s_or_b32 exec_lo, exec_lo, s18
	v_mov_b32_e32 v8, 24
	v_lshlrev_b32_e32 v6, 20, v6
	v_lshl_add_u32 v1, v1, 23, 0x3c000000
	v_lshlrev_b32_sdwa v8, v8, v0 dst_sel:DWORD dst_unused:UNUSED_PAD src0_sel:DWORD src1_sel:WORD_1
	v_and_b32_e32 v8, 0x80000000, v8
	v_or3_b32 v6, v6, v8, v1
	v_mov_b32_e32 v22, v7
	v_mov_b32_e32 v21, v6
.LBB226_1316:                           ;   in Loop: Header=BB226_988 Depth=1
	s_or_b32 exec_lo, exec_lo, s15
.LBB226_1317:                           ;   in Loop: Header=BB226_988 Depth=1
	s_or_b32 exec_lo, exec_lo, s13
.LBB226_1318:                           ;   in Loop: Header=BB226_988 Depth=1
	s_or_b32 exec_lo, exec_lo, s7
	s_mov_b32 s7, exec_lo
	v_cmpx_lt_u32_e32 0xffffff, v0
	s_cbranch_execz .LBB226_1326
; %bb.1319:                             ;   in Loop: Header=BB226_988 Depth=1
	v_mov_b32_e32 v8, v7
	v_mov_b32_e32 v11, v9
	v_cmp_ne_u32_sdwa s4, v0, v84 src0_sel:BYTE_3 src1_sel:DWORD
	v_mov_b32_e32 v10, v8
	s_and_saveexec_b32 s13, s4
	s_cbranch_execz .LBB226_1325
; %bb.1320:                             ;   in Loop: Header=BB226_988 Depth=1
	v_mov_b32_e32 v11, v7
	v_bfe_u32 v8, v0, 24, 7
	s_mov_b32 s15, exec_lo
	v_mov_b32_e32 v10, v11
	v_mov_b32_e32 v11, v12
	v_cmpx_ne_u32_e32 0x7f, v8
	s_cbranch_execz .LBB226_1324
; %bb.1321:                             ;   in Loop: Header=BB226_988 Depth=1
	v_mov_b32_e32 v1, 7
	s_mov_b32 s18, exec_lo
	v_and_b32_sdwa v6, v0, v1 dst_sel:DWORD dst_unused:UNUSED_PAD src0_sel:BYTE_3 src1_sel:DWORD
	v_lshrrev_b32_e32 v1, 3, v8
	v_cmpx_gt_u32_e32 8, v8
; %bb.1322:                             ;   in Loop: Header=BB226_988 Depth=1
	v_ffbh_u32_e32 v1, v6
	v_min_u32_e32 v1, 32, v1
	v_subrev_nc_u32_e32 v8, 28, v1
	v_sub_nc_u32_e32 v1, 29, v1
	v_lshlrev_b64 v[10:11], v8, v[6:7]
	v_and_b32_e32 v6, 7, v10
; %bb.1323:                             ;   in Loop: Header=BB226_988 Depth=1
	s_or_b32 exec_lo, exec_lo, s18
	v_mov_b32_e32 v8, 24
	v_lshlrev_b32_e32 v6, 20, v6
	v_lshl_add_u32 v1, v1, 23, 0x3c000000
	v_mov_b32_e32 v10, v7
	v_lshlrev_b32_sdwa v0, v8, v0 dst_sel:DWORD dst_unused:UNUSED_PAD src0_sel:DWORD src1_sel:BYTE_3
	v_and_b32_e32 v0, 0x80000000, v0
	v_or3_b32 v11, v6, v0, v1
.LBB226_1324:                           ;   in Loop: Header=BB226_988 Depth=1
	s_or_b32 exec_lo, exec_lo, s15
.LBB226_1325:                           ;   in Loop: Header=BB226_988 Depth=1
	s_or_b32 exec_lo, exec_lo, s13
.LBB226_1326:                           ;   in Loop: Header=BB226_988 Depth=1
	s_or_b32 exec_lo, exec_lo, s7
	v_or_b32_e32 v0, v20, v18
	v_or_b32_e32 v1, v19, v17
	;; [unrolled: 1-line block ×4, first 2 shown]
	v_mul_f32_e32 v0, v99, v0
	buffer_store_dword v0, off, s[0:3], s32 offset:508 ; 4-byte Folded Spill
	v_mul_f32_e32 v0, v83, v1
	buffer_store_dword v0, off, s[0:3], s32 offset:500 ; 4-byte Folded Spill
	;; [unrolled: 2-line block ×4, first 2 shown]
	s_and_saveexec_b32 s7, vcc_lo
	s_cbranch_execz .LBB226_1328
; %bb.1327:                             ;   in Loop: Header=BB226_988 Depth=1
	buffer_load_dword v0, off, s[0:3], s32 offset:500 ; 4-byte Folded Reload
	v_cmp_lt_i32_e64 s4, v40, v26
	s_waitcnt vmcnt(0)
	v_cndmask_b32_e64 v0, 0, v0, s4
	v_cmp_lt_i32_e64 s4, v42, v26
	buffer_store_dword v0, off, s[0:3], s32 offset:500 ; 4-byte Folded Spill
	buffer_load_dword v0, off, s[0:3], s32 offset:508 ; 4-byte Folded Reload
	s_waitcnt vmcnt(0)
	v_cndmask_b32_e64 v0, 0, v0, s4
	v_cmp_lt_i32_e64 s4, v41, v26
	buffer_store_dword v0, off, s[0:3], s32 offset:508 ; 4-byte Folded Spill
	buffer_load_dword v0, off, s[0:3], s32 offset:492 ; 4-byte Folded Reload
	;; [unrolled: 5-line block ×3, first 2 shown]
	s_waitcnt vmcnt(0)
	v_cndmask_b32_e64 v0, 0, v0, s4
	buffer_store_dword v0, off, s[0:3], s32 offset:484 ; 4-byte Folded Spill
.LBB226_1328:                           ;   in Loop: Header=BB226_988 Depth=1
	s_or_b32 exec_lo, exec_lo, s7
	flat_load_dword v0, v[15:16] offset:1280
	v_mov_b32_e32 v19, 0
	v_mov_b32_e32 v17, 0
	;; [unrolled: 1-line block ×4, first 2 shown]
	s_waitcnt vmcnt(0) lgkmcnt(0)
	v_cmp_ne_u16_sdwa s4, v0, v7 src0_sel:BYTE_0 src1_sel:DWORD
	s_and_saveexec_b32 s7, s4
	s_cbranch_execz .LBB226_1336
; %bb.1329:                             ;   in Loop: Header=BB226_988 Depth=1
	v_bfrev_b32_e32 v17, 1
	v_mov_b32_e32 v18, 0
	v_cmp_ne_u16_sdwa s4, v0, v84 src0_sel:BYTE_0 src1_sel:DWORD
	s_and_saveexec_b32 s13, s4
	s_cbranch_execz .LBB226_1335
; %bb.1330:                             ;   in Loop: Header=BB226_988 Depth=1
	v_mov_b32_e32 v17, 0x7f800001
	v_and_b32_e32 v8, 0x7f, v0
	v_mov_b32_e32 v18, 0
	s_mov_b32 s15, exec_lo
	v_cmpx_ne_u32_e32 0x7f, v8
	s_cbranch_execz .LBB226_1334
; %bb.1331:                             ;   in Loop: Header=BB226_988 Depth=1
	v_and_b32_e32 v6, 7, v0
	v_lshrrev_b32_e32 v1, 3, v8
	s_mov_b32 s18, exec_lo
	v_cmpx_gt_u32_e32 8, v8
; %bb.1332:                             ;   in Loop: Header=BB226_988 Depth=1
	v_ffbh_u32_e32 v1, v6
	v_min_u32_e32 v1, 32, v1
	v_subrev_nc_u32_e32 v8, 28, v1
	v_sub_nc_u32_e32 v1, 29, v1
	v_lshlrev_b64 v[10:11], v8, v[6:7]
	v_and_b32_e32 v6, 7, v10
; %bb.1333:                             ;   in Loop: Header=BB226_988 Depth=1
	s_or_b32 exec_lo, exec_lo, s18
	v_lshlrev_b32_e32 v8, 24, v0
	v_lshlrev_b32_e32 v6, 20, v6
	v_lshl_add_u32 v1, v1, 23, 0x3c000000
	v_and_b32_e32 v8, 0x80000000, v8
	v_or3_b32 v6, v6, v8, v1
	v_mov_b32_e32 v18, v7
	v_mov_b32_e32 v17, v6
.LBB226_1334:                           ;   in Loop: Header=BB226_988 Depth=1
	s_or_b32 exec_lo, exec_lo, s15
.LBB226_1335:                           ;   in Loop: Header=BB226_988 Depth=1
	s_or_b32 exec_lo, exec_lo, s13
.LBB226_1336:                           ;   in Loop: Header=BB226_988 Depth=1
	s_or_b32 exec_lo, exec_lo, s7
	v_cmp_ne_u16_sdwa s4, v0, v7 src0_sel:BYTE_1 src1_sel:DWORD
	s_and_saveexec_b32 s7, s4
	s_cbranch_execz .LBB226_1344
; %bb.1337:                             ;   in Loop: Header=BB226_988 Depth=1
	v_mov_b32_e32 v8, v7
	v_mov_b32_e32 v20, v9
	v_cmp_ne_u16_sdwa s4, v0, v84 src0_sel:BYTE_1 src1_sel:DWORD
	v_mov_b32_e32 v19, v8
	s_and_saveexec_b32 s13, s4
	s_cbranch_execz .LBB226_1343
; %bb.1338:                             ;   in Loop: Header=BB226_988 Depth=1
	v_and_b32_sdwa v1, v120, v0 dst_sel:DWORD dst_unused:UNUSED_PAD src0_sel:DWORD src1_sel:BYTE_1
	v_mov_b32_e32 v11, v7
	v_mov_b32_e32 v20, v12
	s_mov_b32 s15, exec_lo
	v_and_b32_e32 v8, 0x7f, v1
	v_mov_b32_e32 v19, v11
	v_cmpx_ne_u32_e32 0x7f, v8
	s_cbranch_execz .LBB226_1342
; %bb.1339:                             ;   in Loop: Header=BB226_988 Depth=1
	v_and_b32_e32 v6, 7, v1
	v_lshrrev_b32_e32 v1, 3, v8
	s_mov_b32 s18, exec_lo
	v_cmpx_gt_u32_e32 8, v8
; %bb.1340:                             ;   in Loop: Header=BB226_988 Depth=1
	v_ffbh_u32_e32 v1, v6
	v_min_u32_e32 v1, 32, v1
	v_subrev_nc_u32_e32 v8, 28, v1
	v_sub_nc_u32_e32 v1, 29, v1
	v_lshlrev_b64 v[10:11], v8, v[6:7]
	v_and_b32_e32 v6, 7, v10
; %bb.1341:                             ;   in Loop: Header=BB226_988 Depth=1
	s_or_b32 exec_lo, exec_lo, s18
	v_lshlrev_b32_e32 v8, 16, v0
	v_lshlrev_b32_e32 v6, 20, v6
	v_lshl_add_u32 v1, v1, 23, 0x3c000000
	v_mov_b32_e32 v19, v7
	v_and_b32_e32 v8, 0x80000000, v8
	v_or3_b32 v20, v6, v8, v1
.LBB226_1342:                           ;   in Loop: Header=BB226_988 Depth=1
	s_or_b32 exec_lo, exec_lo, s15
.LBB226_1343:                           ;   in Loop: Header=BB226_988 Depth=1
	s_or_b32 exec_lo, exec_lo, s13
.LBB226_1344:                           ;   in Loop: Header=BB226_988 Depth=1
	s_or_b32 exec_lo, exec_lo, s7
	v_mov_b32_e32 v10, 0
	v_mov_b32_e32 v21, 0
	v_and_b32_sdwa v1, v0, v86 dst_sel:DWORD dst_unused:UNUSED_PAD src0_sel:WORD_1 src1_sel:DWORD
	v_mov_b32_e32 v11, 0
	v_mov_b32_e32 v22, 0
	s_mov_b32 s7, exec_lo
	v_cmpx_ne_u16_e32 0, v1
	s_cbranch_execz .LBB226_1352
; %bb.1345:                             ;   in Loop: Header=BB226_988 Depth=1
	v_bfrev_b32_e32 v21, 1
	v_mov_b32_e32 v22, 0
	s_mov_b32 s13, exec_lo
	v_cmpx_ne_u16_e32 0x80, v1
	s_cbranch_execz .LBB226_1351
; %bb.1346:                             ;   in Loop: Header=BB226_988 Depth=1
	v_mov_b32_e32 v21, 0x7f800001
	v_bfe_u32 v8, v0, 16, 7
	v_mov_b32_e32 v22, 0
	s_mov_b32 s15, exec_lo
	v_cmpx_ne_u32_e32 0x7f, v8
	s_cbranch_execz .LBB226_1350
; %bb.1347:                             ;   in Loop: Header=BB226_988 Depth=1
	v_mov_b32_e32 v1, 7
	s_mov_b32 s18, exec_lo
	v_and_b32_sdwa v6, v0, v1 dst_sel:DWORD dst_unused:UNUSED_PAD src0_sel:WORD_1 src1_sel:DWORD
	v_lshrrev_b32_e32 v1, 3, v8
	v_cmpx_gt_u32_e32 8, v8
; %bb.1348:                             ;   in Loop: Header=BB226_988 Depth=1
	v_ffbh_u32_e32 v1, v6
	v_min_u32_e32 v1, 32, v1
	v_subrev_nc_u32_e32 v8, 28, v1
	v_sub_nc_u32_e32 v1, 29, v1
	v_lshlrev_b64 v[21:22], v8, v[6:7]
	v_and_b32_e32 v6, 7, v21
; %bb.1349:                             ;   in Loop: Header=BB226_988 Depth=1
	s_or_b32 exec_lo, exec_lo, s18
	v_mov_b32_e32 v8, 24
	v_lshlrev_b32_e32 v6, 20, v6
	v_lshl_add_u32 v1, v1, 23, 0x3c000000
	v_lshlrev_b32_sdwa v8, v8, v0 dst_sel:DWORD dst_unused:UNUSED_PAD src0_sel:DWORD src1_sel:WORD_1
	v_and_b32_e32 v8, 0x80000000, v8
	v_or3_b32 v6, v6, v8, v1
	v_mov_b32_e32 v22, v7
	v_mov_b32_e32 v21, v6
.LBB226_1350:                           ;   in Loop: Header=BB226_988 Depth=1
	s_or_b32 exec_lo, exec_lo, s15
.LBB226_1351:                           ;   in Loop: Header=BB226_988 Depth=1
	s_or_b32 exec_lo, exec_lo, s13
.LBB226_1352:                           ;   in Loop: Header=BB226_988 Depth=1
	s_or_b32 exec_lo, exec_lo, s7
	s_mov_b32 s7, exec_lo
	v_cmpx_lt_u32_e32 0xffffff, v0
	s_cbranch_execz .LBB226_1360
; %bb.1353:                             ;   in Loop: Header=BB226_988 Depth=1
	v_mov_b32_e32 v8, v7
	v_mov_b32_e32 v11, v9
	v_cmp_ne_u32_sdwa s4, v0, v84 src0_sel:BYTE_3 src1_sel:DWORD
	v_mov_b32_e32 v10, v8
	s_and_saveexec_b32 s13, s4
	s_cbranch_execz .LBB226_1359
; %bb.1354:                             ;   in Loop: Header=BB226_988 Depth=1
	v_mov_b32_e32 v11, v7
	v_bfe_u32 v8, v0, 24, 7
	s_mov_b32 s15, exec_lo
	v_mov_b32_e32 v10, v11
	v_mov_b32_e32 v11, v12
	v_cmpx_ne_u32_e32 0x7f, v8
	s_cbranch_execz .LBB226_1358
; %bb.1355:                             ;   in Loop: Header=BB226_988 Depth=1
	v_mov_b32_e32 v1, 7
	s_mov_b32 s18, exec_lo
	v_and_b32_sdwa v6, v0, v1 dst_sel:DWORD dst_unused:UNUSED_PAD src0_sel:BYTE_3 src1_sel:DWORD
	v_lshrrev_b32_e32 v1, 3, v8
	v_cmpx_gt_u32_e32 8, v8
; %bb.1356:                             ;   in Loop: Header=BB226_988 Depth=1
	v_ffbh_u32_e32 v1, v6
	v_min_u32_e32 v1, 32, v1
	v_subrev_nc_u32_e32 v8, 28, v1
	v_sub_nc_u32_e32 v1, 29, v1
	v_lshlrev_b64 v[10:11], v8, v[6:7]
	v_and_b32_e32 v6, 7, v10
; %bb.1357:                             ;   in Loop: Header=BB226_988 Depth=1
	s_or_b32 exec_lo, exec_lo, s18
	v_mov_b32_e32 v8, 24
	v_lshlrev_b32_e32 v6, 20, v6
	v_lshl_add_u32 v1, v1, 23, 0x3c000000
	v_mov_b32_e32 v10, v7
	v_lshlrev_b32_sdwa v0, v8, v0 dst_sel:DWORD dst_unused:UNUSED_PAD src0_sel:DWORD src1_sel:BYTE_3
	v_and_b32_e32 v0, 0x80000000, v0
	v_or3_b32 v11, v6, v0, v1
.LBB226_1358:                           ;   in Loop: Header=BB226_988 Depth=1
	s_or_b32 exec_lo, exec_lo, s15
.LBB226_1359:                           ;   in Loop: Header=BB226_988 Depth=1
	s_or_b32 exec_lo, exec_lo, s13
.LBB226_1360:                           ;   in Loop: Header=BB226_988 Depth=1
	s_or_b32 exec_lo, exec_lo, s7
	v_or_b32_e32 v0, v20, v18
	v_or_b32_e32 v1, v19, v17
	;; [unrolled: 1-line block ×4, first 2 shown]
	v_mul_f32_e32 v0, v99, v0
	buffer_store_dword v0, off, s[0:3], s32 offset:532 ; 4-byte Folded Spill
	v_mul_f32_e32 v0, v83, v1
	buffer_store_dword v0, off, s[0:3], s32 offset:540 ; 4-byte Folded Spill
	;; [unrolled: 2-line block ×4, first 2 shown]
	s_and_saveexec_b32 s7, vcc_lo
	s_cbranch_execz .LBB226_1362
; %bb.1361:                             ;   in Loop: Header=BB226_988 Depth=1
	buffer_load_dword v0, off, s[0:3], s32 offset:540 ; 4-byte Folded Reload
	v_cmp_lt_i32_e64 s4, v40, v26
	s_waitcnt vmcnt(0)
	v_cndmask_b32_e64 v0, 0, v0, s4
	v_cmp_lt_i32_e64 s4, v42, v26
	buffer_store_dword v0, off, s[0:3], s32 offset:540 ; 4-byte Folded Spill
	buffer_load_dword v0, off, s[0:3], s32 offset:532 ; 4-byte Folded Reload
	s_waitcnt vmcnt(0)
	v_cndmask_b32_e64 v0, 0, v0, s4
	v_cmp_lt_i32_e64 s4, v41, v26
	buffer_store_dword v0, off, s[0:3], s32 offset:532 ; 4-byte Folded Spill
	buffer_load_dword v0, off, s[0:3], s32 offset:524 ; 4-byte Folded Reload
	;; [unrolled: 5-line block ×3, first 2 shown]
	s_waitcnt vmcnt(0)
	v_cndmask_b32_e64 v0, 0, v0, s4
	buffer_store_dword v0, off, s[0:3], s32 offset:516 ; 4-byte Folded Spill
.LBB226_1362:                           ;   in Loop: Header=BB226_988 Depth=1
	s_or_b32 exec_lo, exec_lo, s7
	flat_load_dword v0, v[15:16] offset:1408
	v_mov_b32_e32 v19, 0
	v_mov_b32_e32 v17, 0
	;; [unrolled: 1-line block ×4, first 2 shown]
	s_waitcnt vmcnt(0) lgkmcnt(0)
	v_cmp_ne_u16_sdwa s4, v0, v7 src0_sel:BYTE_0 src1_sel:DWORD
	s_and_saveexec_b32 s7, s4
	s_cbranch_execz .LBB226_1370
; %bb.1363:                             ;   in Loop: Header=BB226_988 Depth=1
	v_bfrev_b32_e32 v17, 1
	v_mov_b32_e32 v18, 0
	v_cmp_ne_u16_sdwa s4, v0, v84 src0_sel:BYTE_0 src1_sel:DWORD
	s_and_saveexec_b32 s13, s4
	s_cbranch_execz .LBB226_1369
; %bb.1364:                             ;   in Loop: Header=BB226_988 Depth=1
	v_mov_b32_e32 v17, 0x7f800001
	v_and_b32_e32 v8, 0x7f, v0
	v_mov_b32_e32 v18, 0
	s_mov_b32 s15, exec_lo
	v_cmpx_ne_u32_e32 0x7f, v8
	s_cbranch_execz .LBB226_1368
; %bb.1365:                             ;   in Loop: Header=BB226_988 Depth=1
	v_and_b32_e32 v6, 7, v0
	v_lshrrev_b32_e32 v1, 3, v8
	s_mov_b32 s18, exec_lo
	v_cmpx_gt_u32_e32 8, v8
; %bb.1366:                             ;   in Loop: Header=BB226_988 Depth=1
	v_ffbh_u32_e32 v1, v6
	v_min_u32_e32 v1, 32, v1
	v_subrev_nc_u32_e32 v8, 28, v1
	v_sub_nc_u32_e32 v1, 29, v1
	v_lshlrev_b64 v[10:11], v8, v[6:7]
	v_and_b32_e32 v6, 7, v10
; %bb.1367:                             ;   in Loop: Header=BB226_988 Depth=1
	s_or_b32 exec_lo, exec_lo, s18
	v_lshlrev_b32_e32 v8, 24, v0
	v_lshlrev_b32_e32 v6, 20, v6
	v_lshl_add_u32 v1, v1, 23, 0x3c000000
	v_and_b32_e32 v8, 0x80000000, v8
	v_or3_b32 v6, v6, v8, v1
	v_mov_b32_e32 v18, v7
	v_mov_b32_e32 v17, v6
.LBB226_1368:                           ;   in Loop: Header=BB226_988 Depth=1
	s_or_b32 exec_lo, exec_lo, s15
.LBB226_1369:                           ;   in Loop: Header=BB226_988 Depth=1
	s_or_b32 exec_lo, exec_lo, s13
.LBB226_1370:                           ;   in Loop: Header=BB226_988 Depth=1
	s_or_b32 exec_lo, exec_lo, s7
	v_cmp_ne_u16_sdwa s4, v0, v7 src0_sel:BYTE_1 src1_sel:DWORD
	s_and_saveexec_b32 s7, s4
	s_cbranch_execz .LBB226_1378
; %bb.1371:                             ;   in Loop: Header=BB226_988 Depth=1
	v_mov_b32_e32 v8, v7
	v_mov_b32_e32 v20, v9
	v_cmp_ne_u16_sdwa s4, v0, v84 src0_sel:BYTE_1 src1_sel:DWORD
	v_mov_b32_e32 v19, v8
	s_and_saveexec_b32 s13, s4
	s_cbranch_execz .LBB226_1377
; %bb.1372:                             ;   in Loop: Header=BB226_988 Depth=1
	v_and_b32_sdwa v1, v120, v0 dst_sel:DWORD dst_unused:UNUSED_PAD src0_sel:DWORD src1_sel:BYTE_1
	v_mov_b32_e32 v11, v7
	v_mov_b32_e32 v20, v12
	s_mov_b32 s15, exec_lo
	v_and_b32_e32 v8, 0x7f, v1
	v_mov_b32_e32 v19, v11
	v_cmpx_ne_u32_e32 0x7f, v8
	s_cbranch_execz .LBB226_1376
; %bb.1373:                             ;   in Loop: Header=BB226_988 Depth=1
	v_and_b32_e32 v6, 7, v1
	v_lshrrev_b32_e32 v1, 3, v8
	s_mov_b32 s18, exec_lo
	v_cmpx_gt_u32_e32 8, v8
; %bb.1374:                             ;   in Loop: Header=BB226_988 Depth=1
	v_ffbh_u32_e32 v1, v6
	v_min_u32_e32 v1, 32, v1
	v_subrev_nc_u32_e32 v8, 28, v1
	v_sub_nc_u32_e32 v1, 29, v1
	v_lshlrev_b64 v[10:11], v8, v[6:7]
	v_and_b32_e32 v6, 7, v10
; %bb.1375:                             ;   in Loop: Header=BB226_988 Depth=1
	s_or_b32 exec_lo, exec_lo, s18
	v_lshlrev_b32_e32 v8, 16, v0
	v_lshlrev_b32_e32 v6, 20, v6
	v_lshl_add_u32 v1, v1, 23, 0x3c000000
	v_mov_b32_e32 v19, v7
	v_and_b32_e32 v8, 0x80000000, v8
	v_or3_b32 v20, v6, v8, v1
.LBB226_1376:                           ;   in Loop: Header=BB226_988 Depth=1
	s_or_b32 exec_lo, exec_lo, s15
.LBB226_1377:                           ;   in Loop: Header=BB226_988 Depth=1
	s_or_b32 exec_lo, exec_lo, s13
.LBB226_1378:                           ;   in Loop: Header=BB226_988 Depth=1
	s_or_b32 exec_lo, exec_lo, s7
	v_mov_b32_e32 v10, 0
	v_mov_b32_e32 v21, 0
	v_and_b32_sdwa v1, v0, v86 dst_sel:DWORD dst_unused:UNUSED_PAD src0_sel:WORD_1 src1_sel:DWORD
	v_mov_b32_e32 v11, 0
	v_mov_b32_e32 v22, 0
	s_mov_b32 s7, exec_lo
	v_cmpx_ne_u16_e32 0, v1
	s_cbranch_execz .LBB226_1386
; %bb.1379:                             ;   in Loop: Header=BB226_988 Depth=1
	v_bfrev_b32_e32 v21, 1
	v_mov_b32_e32 v22, 0
	s_mov_b32 s13, exec_lo
	v_cmpx_ne_u16_e32 0x80, v1
	s_cbranch_execz .LBB226_1385
; %bb.1380:                             ;   in Loop: Header=BB226_988 Depth=1
	v_mov_b32_e32 v21, 0x7f800001
	v_bfe_u32 v8, v0, 16, 7
	v_mov_b32_e32 v22, 0
	s_mov_b32 s15, exec_lo
	v_cmpx_ne_u32_e32 0x7f, v8
	s_cbranch_execz .LBB226_1384
; %bb.1381:                             ;   in Loop: Header=BB226_988 Depth=1
	v_mov_b32_e32 v1, 7
	s_mov_b32 s18, exec_lo
	v_and_b32_sdwa v6, v0, v1 dst_sel:DWORD dst_unused:UNUSED_PAD src0_sel:WORD_1 src1_sel:DWORD
	v_lshrrev_b32_e32 v1, 3, v8
	v_cmpx_gt_u32_e32 8, v8
; %bb.1382:                             ;   in Loop: Header=BB226_988 Depth=1
	v_ffbh_u32_e32 v1, v6
	v_min_u32_e32 v1, 32, v1
	v_subrev_nc_u32_e32 v8, 28, v1
	v_sub_nc_u32_e32 v1, 29, v1
	v_lshlrev_b64 v[21:22], v8, v[6:7]
	v_and_b32_e32 v6, 7, v21
; %bb.1383:                             ;   in Loop: Header=BB226_988 Depth=1
	s_or_b32 exec_lo, exec_lo, s18
	v_mov_b32_e32 v8, 24
	v_lshlrev_b32_e32 v6, 20, v6
	v_lshl_add_u32 v1, v1, 23, 0x3c000000
	v_lshlrev_b32_sdwa v8, v8, v0 dst_sel:DWORD dst_unused:UNUSED_PAD src0_sel:DWORD src1_sel:WORD_1
	v_and_b32_e32 v8, 0x80000000, v8
	v_or3_b32 v6, v6, v8, v1
	v_mov_b32_e32 v22, v7
	v_mov_b32_e32 v21, v6
.LBB226_1384:                           ;   in Loop: Header=BB226_988 Depth=1
	s_or_b32 exec_lo, exec_lo, s15
.LBB226_1385:                           ;   in Loop: Header=BB226_988 Depth=1
	s_or_b32 exec_lo, exec_lo, s13
.LBB226_1386:                           ;   in Loop: Header=BB226_988 Depth=1
	s_or_b32 exec_lo, exec_lo, s7
	s_mov_b32 s7, exec_lo
	v_cmpx_lt_u32_e32 0xffffff, v0
	s_cbranch_execz .LBB226_1394
; %bb.1387:                             ;   in Loop: Header=BB226_988 Depth=1
	v_mov_b32_e32 v8, v7
	v_mov_b32_e32 v11, v9
	v_cmp_ne_u32_sdwa s4, v0, v84 src0_sel:BYTE_3 src1_sel:DWORD
	v_mov_b32_e32 v10, v8
	s_and_saveexec_b32 s13, s4
	s_cbranch_execz .LBB226_1393
; %bb.1388:                             ;   in Loop: Header=BB226_988 Depth=1
	v_mov_b32_e32 v11, v7
	v_bfe_u32 v8, v0, 24, 7
	s_mov_b32 s15, exec_lo
	v_mov_b32_e32 v10, v11
	v_mov_b32_e32 v11, v12
	v_cmpx_ne_u32_e32 0x7f, v8
	s_cbranch_execz .LBB226_1392
; %bb.1389:                             ;   in Loop: Header=BB226_988 Depth=1
	v_mov_b32_e32 v1, 7
	s_mov_b32 s18, exec_lo
	v_and_b32_sdwa v6, v0, v1 dst_sel:DWORD dst_unused:UNUSED_PAD src0_sel:BYTE_3 src1_sel:DWORD
	v_lshrrev_b32_e32 v1, 3, v8
	v_cmpx_gt_u32_e32 8, v8
; %bb.1390:                             ;   in Loop: Header=BB226_988 Depth=1
	v_ffbh_u32_e32 v1, v6
	v_min_u32_e32 v1, 32, v1
	v_subrev_nc_u32_e32 v8, 28, v1
	v_sub_nc_u32_e32 v1, 29, v1
	v_lshlrev_b64 v[10:11], v8, v[6:7]
	v_and_b32_e32 v6, 7, v10
; %bb.1391:                             ;   in Loop: Header=BB226_988 Depth=1
	s_or_b32 exec_lo, exec_lo, s18
	v_mov_b32_e32 v8, 24
	v_lshlrev_b32_e32 v6, 20, v6
	v_lshl_add_u32 v1, v1, 23, 0x3c000000
	v_mov_b32_e32 v10, v7
	v_lshlrev_b32_sdwa v0, v8, v0 dst_sel:DWORD dst_unused:UNUSED_PAD src0_sel:DWORD src1_sel:BYTE_3
	v_and_b32_e32 v0, 0x80000000, v0
	v_or3_b32 v11, v6, v0, v1
.LBB226_1392:                           ;   in Loop: Header=BB226_988 Depth=1
	s_or_b32 exec_lo, exec_lo, s15
.LBB226_1393:                           ;   in Loop: Header=BB226_988 Depth=1
	s_or_b32 exec_lo, exec_lo, s13
.LBB226_1394:                           ;   in Loop: Header=BB226_988 Depth=1
	s_or_b32 exec_lo, exec_lo, s7
	v_or_b32_e32 v0, v20, v18
	v_or_b32_e32 v1, v19, v17
	;; [unrolled: 1-line block ×4, first 2 shown]
	v_mul_f32_e32 v0, v99, v0
	buffer_store_dword v0, off, s[0:3], s32 offset:564 ; 4-byte Folded Spill
	v_mul_f32_e32 v0, v83, v1
	buffer_store_dword v0, off, s[0:3], s32 offset:572 ; 4-byte Folded Spill
	;; [unrolled: 2-line block ×4, first 2 shown]
	s_and_saveexec_b32 s7, vcc_lo
	s_cbranch_execz .LBB226_1396
; %bb.1395:                             ;   in Loop: Header=BB226_988 Depth=1
	buffer_load_dword v0, off, s[0:3], s32 offset:572 ; 4-byte Folded Reload
	v_cmp_lt_i32_e64 s4, v40, v26
	s_waitcnt vmcnt(0)
	v_cndmask_b32_e64 v0, 0, v0, s4
	v_cmp_lt_i32_e64 s4, v42, v26
	buffer_store_dword v0, off, s[0:3], s32 offset:572 ; 4-byte Folded Spill
	buffer_load_dword v0, off, s[0:3], s32 offset:564 ; 4-byte Folded Reload
	s_waitcnt vmcnt(0)
	v_cndmask_b32_e64 v0, 0, v0, s4
	v_cmp_lt_i32_e64 s4, v41, v26
	buffer_store_dword v0, off, s[0:3], s32 offset:564 ; 4-byte Folded Spill
	buffer_load_dword v0, off, s[0:3], s32 offset:556 ; 4-byte Folded Reload
	;; [unrolled: 5-line block ×3, first 2 shown]
	s_waitcnt vmcnt(0)
	v_cndmask_b32_e64 v0, 0, v0, s4
	buffer_store_dword v0, off, s[0:3], s32 offset:548 ; 4-byte Folded Spill
.LBB226_1396:                           ;   in Loop: Header=BB226_988 Depth=1
	s_or_b32 exec_lo, exec_lo, s7
	flat_load_dword v0, v[15:16] offset:1536
	v_mov_b32_e32 v19, 0
	v_mov_b32_e32 v17, 0
	;; [unrolled: 1-line block ×4, first 2 shown]
	s_waitcnt vmcnt(0) lgkmcnt(0)
	v_cmp_ne_u16_sdwa s4, v0, v7 src0_sel:BYTE_0 src1_sel:DWORD
	s_and_saveexec_b32 s7, s4
	s_cbranch_execz .LBB226_1404
; %bb.1397:                             ;   in Loop: Header=BB226_988 Depth=1
	v_bfrev_b32_e32 v17, 1
	v_mov_b32_e32 v18, 0
	v_cmp_ne_u16_sdwa s4, v0, v84 src0_sel:BYTE_0 src1_sel:DWORD
	s_and_saveexec_b32 s13, s4
	s_cbranch_execz .LBB226_1403
; %bb.1398:                             ;   in Loop: Header=BB226_988 Depth=1
	v_mov_b32_e32 v17, 0x7f800001
	v_and_b32_e32 v8, 0x7f, v0
	v_mov_b32_e32 v18, 0
	s_mov_b32 s15, exec_lo
	v_cmpx_ne_u32_e32 0x7f, v8
	s_cbranch_execz .LBB226_1402
; %bb.1399:                             ;   in Loop: Header=BB226_988 Depth=1
	v_and_b32_e32 v6, 7, v0
	v_lshrrev_b32_e32 v1, 3, v8
	s_mov_b32 s18, exec_lo
	v_cmpx_gt_u32_e32 8, v8
; %bb.1400:                             ;   in Loop: Header=BB226_988 Depth=1
	v_ffbh_u32_e32 v1, v6
	v_min_u32_e32 v1, 32, v1
	v_subrev_nc_u32_e32 v8, 28, v1
	v_sub_nc_u32_e32 v1, 29, v1
	v_lshlrev_b64 v[10:11], v8, v[6:7]
	v_and_b32_e32 v6, 7, v10
; %bb.1401:                             ;   in Loop: Header=BB226_988 Depth=1
	s_or_b32 exec_lo, exec_lo, s18
	v_lshlrev_b32_e32 v8, 24, v0
	v_lshlrev_b32_e32 v6, 20, v6
	v_lshl_add_u32 v1, v1, 23, 0x3c000000
	v_and_b32_e32 v8, 0x80000000, v8
	v_or3_b32 v6, v6, v8, v1
	v_mov_b32_e32 v18, v7
	v_mov_b32_e32 v17, v6
.LBB226_1402:                           ;   in Loop: Header=BB226_988 Depth=1
	s_or_b32 exec_lo, exec_lo, s15
.LBB226_1403:                           ;   in Loop: Header=BB226_988 Depth=1
	s_or_b32 exec_lo, exec_lo, s13
.LBB226_1404:                           ;   in Loop: Header=BB226_988 Depth=1
	s_or_b32 exec_lo, exec_lo, s7
	v_cmp_ne_u16_sdwa s4, v0, v7 src0_sel:BYTE_1 src1_sel:DWORD
	s_and_saveexec_b32 s7, s4
	s_cbranch_execz .LBB226_1412
; %bb.1405:                             ;   in Loop: Header=BB226_988 Depth=1
	v_mov_b32_e32 v8, v7
	v_mov_b32_e32 v20, v9
	v_cmp_ne_u16_sdwa s4, v0, v84 src0_sel:BYTE_1 src1_sel:DWORD
	v_mov_b32_e32 v19, v8
	s_and_saveexec_b32 s13, s4
	s_cbranch_execz .LBB226_1411
; %bb.1406:                             ;   in Loop: Header=BB226_988 Depth=1
	v_and_b32_sdwa v1, v120, v0 dst_sel:DWORD dst_unused:UNUSED_PAD src0_sel:DWORD src1_sel:BYTE_1
	v_mov_b32_e32 v11, v7
	v_mov_b32_e32 v20, v12
	s_mov_b32 s15, exec_lo
	v_and_b32_e32 v8, 0x7f, v1
	v_mov_b32_e32 v19, v11
	v_cmpx_ne_u32_e32 0x7f, v8
	s_cbranch_execz .LBB226_1410
; %bb.1407:                             ;   in Loop: Header=BB226_988 Depth=1
	v_and_b32_e32 v6, 7, v1
	v_lshrrev_b32_e32 v1, 3, v8
	s_mov_b32 s18, exec_lo
	v_cmpx_gt_u32_e32 8, v8
; %bb.1408:                             ;   in Loop: Header=BB226_988 Depth=1
	v_ffbh_u32_e32 v1, v6
	v_min_u32_e32 v1, 32, v1
	v_subrev_nc_u32_e32 v8, 28, v1
	v_sub_nc_u32_e32 v1, 29, v1
	v_lshlrev_b64 v[10:11], v8, v[6:7]
	v_and_b32_e32 v6, 7, v10
; %bb.1409:                             ;   in Loop: Header=BB226_988 Depth=1
	s_or_b32 exec_lo, exec_lo, s18
	v_lshlrev_b32_e32 v8, 16, v0
	v_lshlrev_b32_e32 v6, 20, v6
	v_lshl_add_u32 v1, v1, 23, 0x3c000000
	v_mov_b32_e32 v19, v7
	v_and_b32_e32 v8, 0x80000000, v8
	v_or3_b32 v20, v6, v8, v1
.LBB226_1410:                           ;   in Loop: Header=BB226_988 Depth=1
	s_or_b32 exec_lo, exec_lo, s15
.LBB226_1411:                           ;   in Loop: Header=BB226_988 Depth=1
	s_or_b32 exec_lo, exec_lo, s13
.LBB226_1412:                           ;   in Loop: Header=BB226_988 Depth=1
	s_or_b32 exec_lo, exec_lo, s7
	v_mov_b32_e32 v10, 0
	v_mov_b32_e32 v21, 0
	v_and_b32_sdwa v1, v0, v86 dst_sel:DWORD dst_unused:UNUSED_PAD src0_sel:WORD_1 src1_sel:DWORD
	v_mov_b32_e32 v11, 0
	v_mov_b32_e32 v22, 0
	s_mov_b32 s7, exec_lo
	v_cmpx_ne_u16_e32 0, v1
	s_cbranch_execz .LBB226_1420
; %bb.1413:                             ;   in Loop: Header=BB226_988 Depth=1
	v_bfrev_b32_e32 v21, 1
	v_mov_b32_e32 v22, 0
	s_mov_b32 s13, exec_lo
	v_cmpx_ne_u16_e32 0x80, v1
	s_cbranch_execz .LBB226_1419
; %bb.1414:                             ;   in Loop: Header=BB226_988 Depth=1
	v_mov_b32_e32 v21, 0x7f800001
	v_bfe_u32 v8, v0, 16, 7
	v_mov_b32_e32 v22, 0
	s_mov_b32 s15, exec_lo
	v_cmpx_ne_u32_e32 0x7f, v8
	s_cbranch_execz .LBB226_1418
; %bb.1415:                             ;   in Loop: Header=BB226_988 Depth=1
	v_mov_b32_e32 v1, 7
	s_mov_b32 s18, exec_lo
	v_and_b32_sdwa v6, v0, v1 dst_sel:DWORD dst_unused:UNUSED_PAD src0_sel:WORD_1 src1_sel:DWORD
	v_lshrrev_b32_e32 v1, 3, v8
	v_cmpx_gt_u32_e32 8, v8
; %bb.1416:                             ;   in Loop: Header=BB226_988 Depth=1
	v_ffbh_u32_e32 v1, v6
	v_min_u32_e32 v1, 32, v1
	v_subrev_nc_u32_e32 v8, 28, v1
	v_sub_nc_u32_e32 v1, 29, v1
	v_lshlrev_b64 v[21:22], v8, v[6:7]
	v_and_b32_e32 v6, 7, v21
; %bb.1417:                             ;   in Loop: Header=BB226_988 Depth=1
	s_or_b32 exec_lo, exec_lo, s18
	v_mov_b32_e32 v8, 24
	v_lshlrev_b32_e32 v6, 20, v6
	v_lshl_add_u32 v1, v1, 23, 0x3c000000
	v_lshlrev_b32_sdwa v8, v8, v0 dst_sel:DWORD dst_unused:UNUSED_PAD src0_sel:DWORD src1_sel:WORD_1
	v_and_b32_e32 v8, 0x80000000, v8
	v_or3_b32 v6, v6, v8, v1
	v_mov_b32_e32 v22, v7
	v_mov_b32_e32 v21, v6
.LBB226_1418:                           ;   in Loop: Header=BB226_988 Depth=1
	s_or_b32 exec_lo, exec_lo, s15
.LBB226_1419:                           ;   in Loop: Header=BB226_988 Depth=1
	s_or_b32 exec_lo, exec_lo, s13
.LBB226_1420:                           ;   in Loop: Header=BB226_988 Depth=1
	s_or_b32 exec_lo, exec_lo, s7
	s_mov_b32 s7, exec_lo
	v_cmpx_lt_u32_e32 0xffffff, v0
	s_cbranch_execz .LBB226_1428
; %bb.1421:                             ;   in Loop: Header=BB226_988 Depth=1
	v_mov_b32_e32 v8, v7
	v_mov_b32_e32 v11, v9
	v_cmp_ne_u32_sdwa s4, v0, v84 src0_sel:BYTE_3 src1_sel:DWORD
	v_mov_b32_e32 v10, v8
	s_and_saveexec_b32 s13, s4
	s_cbranch_execz .LBB226_1427
; %bb.1422:                             ;   in Loop: Header=BB226_988 Depth=1
	v_mov_b32_e32 v11, v7
	v_bfe_u32 v8, v0, 24, 7
	s_mov_b32 s15, exec_lo
	v_mov_b32_e32 v10, v11
	v_mov_b32_e32 v11, v12
	v_cmpx_ne_u32_e32 0x7f, v8
	s_cbranch_execz .LBB226_1426
; %bb.1423:                             ;   in Loop: Header=BB226_988 Depth=1
	v_mov_b32_e32 v1, 7
	s_mov_b32 s18, exec_lo
	v_and_b32_sdwa v6, v0, v1 dst_sel:DWORD dst_unused:UNUSED_PAD src0_sel:BYTE_3 src1_sel:DWORD
	v_lshrrev_b32_e32 v1, 3, v8
	v_cmpx_gt_u32_e32 8, v8
; %bb.1424:                             ;   in Loop: Header=BB226_988 Depth=1
	v_ffbh_u32_e32 v1, v6
	v_min_u32_e32 v1, 32, v1
	v_subrev_nc_u32_e32 v8, 28, v1
	v_sub_nc_u32_e32 v1, 29, v1
	v_lshlrev_b64 v[10:11], v8, v[6:7]
	v_and_b32_e32 v6, 7, v10
; %bb.1425:                             ;   in Loop: Header=BB226_988 Depth=1
	s_or_b32 exec_lo, exec_lo, s18
	v_mov_b32_e32 v8, 24
	v_lshlrev_b32_e32 v6, 20, v6
	v_lshl_add_u32 v1, v1, 23, 0x3c000000
	v_mov_b32_e32 v10, v7
	v_lshlrev_b32_sdwa v0, v8, v0 dst_sel:DWORD dst_unused:UNUSED_PAD src0_sel:DWORD src1_sel:BYTE_3
	v_and_b32_e32 v0, 0x80000000, v0
	v_or3_b32 v11, v6, v0, v1
.LBB226_1426:                           ;   in Loop: Header=BB226_988 Depth=1
	s_or_b32 exec_lo, exec_lo, s15
.LBB226_1427:                           ;   in Loop: Header=BB226_988 Depth=1
	s_or_b32 exec_lo, exec_lo, s13
.LBB226_1428:                           ;   in Loop: Header=BB226_988 Depth=1
	s_or_b32 exec_lo, exec_lo, s7
	v_or_b32_e32 v0, v20, v18
	v_or_b32_e32 v6, v10, v21
	;; [unrolled: 1-line block ×4, first 2 shown]
	v_mul_f32_e32 v121, v99, v0
	v_mul_f32_e32 v0, v83, v6
	;; [unrolled: 1-line block ×3, first 2 shown]
	buffer_store_dword v0, off, s[0:3], s32 offset:588 ; 4-byte Folded Spill
	v_mul_f32_e32 v0, v99, v8
	buffer_store_dword v0, off, s[0:3], s32 offset:580 ; 4-byte Folded Spill
	s_and_saveexec_b32 s7, vcc_lo
	s_cbranch_execz .LBB226_1430
; %bb.1429:                             ;   in Loop: Header=BB226_988 Depth=1
	buffer_load_dword v0, off, s[0:3], s32 offset:588 ; 4-byte Folded Reload
	v_cmp_lt_i32_e64 s4, v40, v26
	v_cndmask_b32_e64 v122, 0, v122, s4
	v_cmp_lt_i32_e64 s4, v42, v26
	v_cndmask_b32_e64 v121, 0, v121, s4
	v_cmp_lt_i32_e64 s4, v41, v26
	s_waitcnt vmcnt(0)
	v_cndmask_b32_e64 v0, 0, v0, s4
	v_cmp_lt_i32_e64 s4, v97, v26
	buffer_store_dword v0, off, s[0:3], s32 offset:588 ; 4-byte Folded Spill
	buffer_load_dword v0, off, s[0:3], s32 offset:580 ; 4-byte Folded Reload
	s_waitcnt vmcnt(0)
	v_cndmask_b32_e64 v0, 0, v0, s4
	buffer_store_dword v0, off, s[0:3], s32 offset:580 ; 4-byte Folded Spill
.LBB226_1430:                           ;   in Loop: Header=BB226_988 Depth=1
	s_or_b32 exec_lo, exec_lo, s7
	flat_load_dword v0, v[15:16] offset:1664
	v_mov_b32_e32 v19, 0
	v_mov_b32_e32 v17, 0
	;; [unrolled: 1-line block ×4, first 2 shown]
	s_waitcnt vmcnt(0) lgkmcnt(0)
	v_cmp_ne_u16_sdwa s4, v0, v7 src0_sel:BYTE_0 src1_sel:DWORD
	s_and_saveexec_b32 s7, s4
	s_cbranch_execz .LBB226_1438
; %bb.1431:                             ;   in Loop: Header=BB226_988 Depth=1
	v_bfrev_b32_e32 v17, 1
	v_mov_b32_e32 v18, 0
	v_cmp_ne_u16_sdwa s4, v0, v84 src0_sel:BYTE_0 src1_sel:DWORD
	s_and_saveexec_b32 s13, s4
	s_cbranch_execz .LBB226_1437
; %bb.1432:                             ;   in Loop: Header=BB226_988 Depth=1
	v_mov_b32_e32 v17, 0x7f800001
	v_and_b32_e32 v8, 0x7f, v0
	v_mov_b32_e32 v18, 0
	s_mov_b32 s15, exec_lo
	v_cmpx_ne_u32_e32 0x7f, v8
	s_cbranch_execz .LBB226_1436
; %bb.1433:                             ;   in Loop: Header=BB226_988 Depth=1
	v_and_b32_e32 v6, 7, v0
	v_lshrrev_b32_e32 v1, 3, v8
	s_mov_b32 s18, exec_lo
	v_cmpx_gt_u32_e32 8, v8
; %bb.1434:                             ;   in Loop: Header=BB226_988 Depth=1
	v_ffbh_u32_e32 v1, v6
	v_min_u32_e32 v1, 32, v1
	v_subrev_nc_u32_e32 v8, 28, v1
	v_sub_nc_u32_e32 v1, 29, v1
	v_lshlrev_b64 v[10:11], v8, v[6:7]
	v_and_b32_e32 v6, 7, v10
; %bb.1435:                             ;   in Loop: Header=BB226_988 Depth=1
	s_or_b32 exec_lo, exec_lo, s18
	v_lshlrev_b32_e32 v8, 24, v0
	v_lshlrev_b32_e32 v6, 20, v6
	v_lshl_add_u32 v1, v1, 23, 0x3c000000
	v_and_b32_e32 v8, 0x80000000, v8
	v_or3_b32 v6, v6, v8, v1
	v_mov_b32_e32 v18, v7
	v_mov_b32_e32 v17, v6
.LBB226_1436:                           ;   in Loop: Header=BB226_988 Depth=1
	s_or_b32 exec_lo, exec_lo, s15
.LBB226_1437:                           ;   in Loop: Header=BB226_988 Depth=1
	s_or_b32 exec_lo, exec_lo, s13
.LBB226_1438:                           ;   in Loop: Header=BB226_988 Depth=1
	s_or_b32 exec_lo, exec_lo, s7
	v_cmp_ne_u16_sdwa s4, v0, v7 src0_sel:BYTE_1 src1_sel:DWORD
	s_and_saveexec_b32 s7, s4
	s_cbranch_execz .LBB226_1446
; %bb.1439:                             ;   in Loop: Header=BB226_988 Depth=1
	v_mov_b32_e32 v8, v7
	v_mov_b32_e32 v20, v9
	v_cmp_ne_u16_sdwa s4, v0, v84 src0_sel:BYTE_1 src1_sel:DWORD
	v_mov_b32_e32 v19, v8
	s_and_saveexec_b32 s13, s4
	s_cbranch_execz .LBB226_1445
; %bb.1440:                             ;   in Loop: Header=BB226_988 Depth=1
	v_and_b32_sdwa v1, v120, v0 dst_sel:DWORD dst_unused:UNUSED_PAD src0_sel:DWORD src1_sel:BYTE_1
	v_mov_b32_e32 v11, v7
	v_mov_b32_e32 v20, v12
	s_mov_b32 s15, exec_lo
	v_and_b32_e32 v8, 0x7f, v1
	v_mov_b32_e32 v19, v11
	v_cmpx_ne_u32_e32 0x7f, v8
	s_cbranch_execz .LBB226_1444
; %bb.1441:                             ;   in Loop: Header=BB226_988 Depth=1
	v_and_b32_e32 v6, 7, v1
	v_lshrrev_b32_e32 v1, 3, v8
	s_mov_b32 s18, exec_lo
	v_cmpx_gt_u32_e32 8, v8
; %bb.1442:                             ;   in Loop: Header=BB226_988 Depth=1
	v_ffbh_u32_e32 v1, v6
	v_min_u32_e32 v1, 32, v1
	v_subrev_nc_u32_e32 v8, 28, v1
	v_sub_nc_u32_e32 v1, 29, v1
	v_lshlrev_b64 v[10:11], v8, v[6:7]
	v_and_b32_e32 v6, 7, v10
; %bb.1443:                             ;   in Loop: Header=BB226_988 Depth=1
	s_or_b32 exec_lo, exec_lo, s18
	v_lshlrev_b32_e32 v8, 16, v0
	v_lshlrev_b32_e32 v6, 20, v6
	v_lshl_add_u32 v1, v1, 23, 0x3c000000
	v_mov_b32_e32 v19, v7
	v_and_b32_e32 v8, 0x80000000, v8
	v_or3_b32 v20, v6, v8, v1
.LBB226_1444:                           ;   in Loop: Header=BB226_988 Depth=1
	s_or_b32 exec_lo, exec_lo, s15
.LBB226_1445:                           ;   in Loop: Header=BB226_988 Depth=1
	s_or_b32 exec_lo, exec_lo, s13
.LBB226_1446:                           ;   in Loop: Header=BB226_988 Depth=1
	s_or_b32 exec_lo, exec_lo, s7
	v_mov_b32_e32 v10, 0
	v_mov_b32_e32 v21, 0
	v_and_b32_sdwa v1, v0, v86 dst_sel:DWORD dst_unused:UNUSED_PAD src0_sel:WORD_1 src1_sel:DWORD
	v_mov_b32_e32 v11, 0
	v_mov_b32_e32 v22, 0
	s_mov_b32 s7, exec_lo
	v_cmpx_ne_u16_e32 0, v1
	s_cbranch_execz .LBB226_1454
; %bb.1447:                             ;   in Loop: Header=BB226_988 Depth=1
	v_bfrev_b32_e32 v21, 1
	v_mov_b32_e32 v22, 0
	s_mov_b32 s13, exec_lo
	v_cmpx_ne_u16_e32 0x80, v1
	s_cbranch_execz .LBB226_1453
; %bb.1448:                             ;   in Loop: Header=BB226_988 Depth=1
	v_mov_b32_e32 v21, 0x7f800001
	v_bfe_u32 v8, v0, 16, 7
	v_mov_b32_e32 v22, 0
	s_mov_b32 s15, exec_lo
	v_cmpx_ne_u32_e32 0x7f, v8
	s_cbranch_execz .LBB226_1452
; %bb.1449:                             ;   in Loop: Header=BB226_988 Depth=1
	v_mov_b32_e32 v1, 7
	s_mov_b32 s18, exec_lo
	v_and_b32_sdwa v6, v0, v1 dst_sel:DWORD dst_unused:UNUSED_PAD src0_sel:WORD_1 src1_sel:DWORD
	v_lshrrev_b32_e32 v1, 3, v8
	v_cmpx_gt_u32_e32 8, v8
; %bb.1450:                             ;   in Loop: Header=BB226_988 Depth=1
	v_ffbh_u32_e32 v1, v6
	v_min_u32_e32 v1, 32, v1
	v_subrev_nc_u32_e32 v8, 28, v1
	v_sub_nc_u32_e32 v1, 29, v1
	v_lshlrev_b64 v[21:22], v8, v[6:7]
	v_and_b32_e32 v6, 7, v21
; %bb.1451:                             ;   in Loop: Header=BB226_988 Depth=1
	s_or_b32 exec_lo, exec_lo, s18
	v_mov_b32_e32 v8, 24
	v_lshlrev_b32_e32 v6, 20, v6
	v_lshl_add_u32 v1, v1, 23, 0x3c000000
	v_lshlrev_b32_sdwa v8, v8, v0 dst_sel:DWORD dst_unused:UNUSED_PAD src0_sel:DWORD src1_sel:WORD_1
	v_and_b32_e32 v8, 0x80000000, v8
	v_or3_b32 v6, v6, v8, v1
	v_mov_b32_e32 v22, v7
	v_mov_b32_e32 v21, v6
.LBB226_1452:                           ;   in Loop: Header=BB226_988 Depth=1
	s_or_b32 exec_lo, exec_lo, s15
.LBB226_1453:                           ;   in Loop: Header=BB226_988 Depth=1
	s_or_b32 exec_lo, exec_lo, s13
.LBB226_1454:                           ;   in Loop: Header=BB226_988 Depth=1
	s_or_b32 exec_lo, exec_lo, s7
	s_mov_b32 s7, exec_lo
	v_cmpx_lt_u32_e32 0xffffff, v0
	s_cbranch_execz .LBB226_1462
; %bb.1455:                             ;   in Loop: Header=BB226_988 Depth=1
	v_mov_b32_e32 v8, v7
	v_mov_b32_e32 v11, v9
	v_cmp_ne_u32_sdwa s4, v0, v84 src0_sel:BYTE_3 src1_sel:DWORD
	v_mov_b32_e32 v10, v8
	s_and_saveexec_b32 s13, s4
	s_cbranch_execz .LBB226_1461
; %bb.1456:                             ;   in Loop: Header=BB226_988 Depth=1
	v_mov_b32_e32 v11, v7
	v_bfe_u32 v8, v0, 24, 7
	s_mov_b32 s15, exec_lo
	v_mov_b32_e32 v10, v11
	v_mov_b32_e32 v11, v12
	v_cmpx_ne_u32_e32 0x7f, v8
	s_cbranch_execz .LBB226_1460
; %bb.1457:                             ;   in Loop: Header=BB226_988 Depth=1
	v_mov_b32_e32 v1, 7
	s_mov_b32 s18, exec_lo
	v_and_b32_sdwa v6, v0, v1 dst_sel:DWORD dst_unused:UNUSED_PAD src0_sel:BYTE_3 src1_sel:DWORD
	v_lshrrev_b32_e32 v1, 3, v8
	v_cmpx_gt_u32_e32 8, v8
; %bb.1458:                             ;   in Loop: Header=BB226_988 Depth=1
	v_ffbh_u32_e32 v1, v6
	v_min_u32_e32 v1, 32, v1
	v_subrev_nc_u32_e32 v8, 28, v1
	v_sub_nc_u32_e32 v1, 29, v1
	v_lshlrev_b64 v[10:11], v8, v[6:7]
	v_and_b32_e32 v6, 7, v10
; %bb.1459:                             ;   in Loop: Header=BB226_988 Depth=1
	s_or_b32 exec_lo, exec_lo, s18
	v_mov_b32_e32 v8, 24
	v_lshlrev_b32_e32 v6, 20, v6
	v_lshl_add_u32 v1, v1, 23, 0x3c000000
	v_mov_b32_e32 v10, v7
	v_lshlrev_b32_sdwa v0, v8, v0 dst_sel:DWORD dst_unused:UNUSED_PAD src0_sel:DWORD src1_sel:BYTE_3
	v_and_b32_e32 v0, 0x80000000, v0
	v_or3_b32 v11, v6, v0, v1
.LBB226_1460:                           ;   in Loop: Header=BB226_988 Depth=1
	s_or_b32 exec_lo, exec_lo, s15
.LBB226_1461:                           ;   in Loop: Header=BB226_988 Depth=1
	s_or_b32 exec_lo, exec_lo, s13
.LBB226_1462:                           ;   in Loop: Header=BB226_988 Depth=1
	s_or_b32 exec_lo, exec_lo, s7
	v_or_b32_e32 v0, v20, v18
	v_or_b32_e32 v1, v19, v17
	;; [unrolled: 1-line block ×4, first 2 shown]
	v_mul_f32_e32 v126, v99, v0
	v_mul_f32_e32 v125, v83, v1
	;; [unrolled: 1-line block ×4, first 2 shown]
	s_and_saveexec_b32 s7, vcc_lo
	s_cbranch_execz .LBB226_1464
; %bb.1463:                             ;   in Loop: Header=BB226_988 Depth=1
	v_cmp_lt_i32_e64 s4, v40, v26
	v_cndmask_b32_e64 v125, 0, v125, s4
	v_cmp_lt_i32_e64 s4, v42, v26
	v_cndmask_b32_e64 v126, 0, v126, s4
	v_cmp_lt_i32_e64 s4, v41, v26
	v_cndmask_b32_e64 v124, 0, v124, s4
	v_cmp_lt_i32_e64 s4, v97, v26
	v_cndmask_b32_e64 v123, 0, v123, s4
.LBB226_1464:                           ;   in Loop: Header=BB226_988 Depth=1
	s_or_b32 exec_lo, exec_lo, s7
	flat_load_dword v0, v[15:16] offset:1792
	v_mov_b32_e32 v19, 0
	v_mov_b32_e32 v17, 0
	;; [unrolled: 1-line block ×4, first 2 shown]
	s_waitcnt vmcnt(0) lgkmcnt(0)
	v_cmp_ne_u16_sdwa s4, v0, v7 src0_sel:BYTE_0 src1_sel:DWORD
	s_and_saveexec_b32 s7, s4
	s_cbranch_execz .LBB226_1472
; %bb.1465:                             ;   in Loop: Header=BB226_988 Depth=1
	v_bfrev_b32_e32 v17, 1
	v_mov_b32_e32 v18, 0
	v_cmp_ne_u16_sdwa s4, v0, v84 src0_sel:BYTE_0 src1_sel:DWORD
	s_and_saveexec_b32 s13, s4
	s_cbranch_execz .LBB226_1471
; %bb.1466:                             ;   in Loop: Header=BB226_988 Depth=1
	v_mov_b32_e32 v17, 0x7f800001
	v_and_b32_e32 v8, 0x7f, v0
	v_mov_b32_e32 v18, 0
	s_mov_b32 s15, exec_lo
	v_cmpx_ne_u32_e32 0x7f, v8
	s_cbranch_execz .LBB226_1470
; %bb.1467:                             ;   in Loop: Header=BB226_988 Depth=1
	v_and_b32_e32 v6, 7, v0
	v_lshrrev_b32_e32 v1, 3, v8
	s_mov_b32 s18, exec_lo
	v_cmpx_gt_u32_e32 8, v8
; %bb.1468:                             ;   in Loop: Header=BB226_988 Depth=1
	v_ffbh_u32_e32 v1, v6
	v_min_u32_e32 v1, 32, v1
	v_subrev_nc_u32_e32 v8, 28, v1
	v_sub_nc_u32_e32 v1, 29, v1
	v_lshlrev_b64 v[10:11], v8, v[6:7]
	v_and_b32_e32 v6, 7, v10
; %bb.1469:                             ;   in Loop: Header=BB226_988 Depth=1
	s_or_b32 exec_lo, exec_lo, s18
	v_lshlrev_b32_e32 v8, 24, v0
	v_lshlrev_b32_e32 v6, 20, v6
	v_lshl_add_u32 v1, v1, 23, 0x3c000000
	v_and_b32_e32 v8, 0x80000000, v8
	v_or3_b32 v6, v6, v8, v1
	v_mov_b32_e32 v18, v7
	v_mov_b32_e32 v17, v6
.LBB226_1470:                           ;   in Loop: Header=BB226_988 Depth=1
	s_or_b32 exec_lo, exec_lo, s15
.LBB226_1471:                           ;   in Loop: Header=BB226_988 Depth=1
	s_or_b32 exec_lo, exec_lo, s13
.LBB226_1472:                           ;   in Loop: Header=BB226_988 Depth=1
	s_or_b32 exec_lo, exec_lo, s7
	v_cmp_ne_u16_sdwa s4, v0, v7 src0_sel:BYTE_1 src1_sel:DWORD
	s_and_saveexec_b32 s7, s4
	s_cbranch_execz .LBB226_1480
; %bb.1473:                             ;   in Loop: Header=BB226_988 Depth=1
	v_mov_b32_e32 v8, v7
	v_mov_b32_e32 v20, v9
	v_cmp_ne_u16_sdwa s4, v0, v84 src0_sel:BYTE_1 src1_sel:DWORD
	v_mov_b32_e32 v19, v8
	s_and_saveexec_b32 s13, s4
	s_cbranch_execz .LBB226_1479
; %bb.1474:                             ;   in Loop: Header=BB226_988 Depth=1
	v_and_b32_sdwa v1, v120, v0 dst_sel:DWORD dst_unused:UNUSED_PAD src0_sel:DWORD src1_sel:BYTE_1
	v_mov_b32_e32 v11, v7
	v_mov_b32_e32 v20, v12
	s_mov_b32 s15, exec_lo
	v_and_b32_e32 v8, 0x7f, v1
	v_mov_b32_e32 v19, v11
	v_cmpx_ne_u32_e32 0x7f, v8
	s_cbranch_execz .LBB226_1478
; %bb.1475:                             ;   in Loop: Header=BB226_988 Depth=1
	v_and_b32_e32 v6, 7, v1
	v_lshrrev_b32_e32 v1, 3, v8
	s_mov_b32 s18, exec_lo
	v_cmpx_gt_u32_e32 8, v8
; %bb.1476:                             ;   in Loop: Header=BB226_988 Depth=1
	v_ffbh_u32_e32 v1, v6
	v_min_u32_e32 v1, 32, v1
	v_subrev_nc_u32_e32 v8, 28, v1
	v_sub_nc_u32_e32 v1, 29, v1
	v_lshlrev_b64 v[10:11], v8, v[6:7]
	v_and_b32_e32 v6, 7, v10
; %bb.1477:                             ;   in Loop: Header=BB226_988 Depth=1
	s_or_b32 exec_lo, exec_lo, s18
	v_lshlrev_b32_e32 v8, 16, v0
	v_lshlrev_b32_e32 v6, 20, v6
	v_lshl_add_u32 v1, v1, 23, 0x3c000000
	v_mov_b32_e32 v19, v7
	v_and_b32_e32 v8, 0x80000000, v8
	v_or3_b32 v20, v6, v8, v1
.LBB226_1478:                           ;   in Loop: Header=BB226_988 Depth=1
	s_or_b32 exec_lo, exec_lo, s15
.LBB226_1479:                           ;   in Loop: Header=BB226_988 Depth=1
	s_or_b32 exec_lo, exec_lo, s13
.LBB226_1480:                           ;   in Loop: Header=BB226_988 Depth=1
	s_or_b32 exec_lo, exec_lo, s7
	v_mov_b32_e32 v10, 0
	v_mov_b32_e32 v21, 0
	v_and_b32_sdwa v1, v0, v86 dst_sel:DWORD dst_unused:UNUSED_PAD src0_sel:WORD_1 src1_sel:DWORD
	v_mov_b32_e32 v11, 0
	v_mov_b32_e32 v22, 0
	s_mov_b32 s7, exec_lo
	v_cmpx_ne_u16_e32 0, v1
	s_cbranch_execz .LBB226_1488
; %bb.1481:                             ;   in Loop: Header=BB226_988 Depth=1
	v_bfrev_b32_e32 v21, 1
	v_mov_b32_e32 v22, 0
	s_mov_b32 s13, exec_lo
	v_cmpx_ne_u16_e32 0x80, v1
	s_cbranch_execz .LBB226_1487
; %bb.1482:                             ;   in Loop: Header=BB226_988 Depth=1
	v_mov_b32_e32 v21, 0x7f800001
	v_bfe_u32 v8, v0, 16, 7
	v_mov_b32_e32 v22, 0
	s_mov_b32 s15, exec_lo
	v_cmpx_ne_u32_e32 0x7f, v8
	s_cbranch_execz .LBB226_1486
; %bb.1483:                             ;   in Loop: Header=BB226_988 Depth=1
	v_mov_b32_e32 v1, 7
	s_mov_b32 s18, exec_lo
	v_and_b32_sdwa v6, v0, v1 dst_sel:DWORD dst_unused:UNUSED_PAD src0_sel:WORD_1 src1_sel:DWORD
	v_lshrrev_b32_e32 v1, 3, v8
	v_cmpx_gt_u32_e32 8, v8
; %bb.1484:                             ;   in Loop: Header=BB226_988 Depth=1
	v_ffbh_u32_e32 v1, v6
	v_min_u32_e32 v1, 32, v1
	v_subrev_nc_u32_e32 v8, 28, v1
	v_sub_nc_u32_e32 v1, 29, v1
	v_lshlrev_b64 v[21:22], v8, v[6:7]
	v_and_b32_e32 v6, 7, v21
; %bb.1485:                             ;   in Loop: Header=BB226_988 Depth=1
	s_or_b32 exec_lo, exec_lo, s18
	v_mov_b32_e32 v8, 24
	v_lshlrev_b32_e32 v6, 20, v6
	v_lshl_add_u32 v1, v1, 23, 0x3c000000
	v_lshlrev_b32_sdwa v8, v8, v0 dst_sel:DWORD dst_unused:UNUSED_PAD src0_sel:DWORD src1_sel:WORD_1
	v_and_b32_e32 v8, 0x80000000, v8
	v_or3_b32 v6, v6, v8, v1
	v_mov_b32_e32 v22, v7
	v_mov_b32_e32 v21, v6
.LBB226_1486:                           ;   in Loop: Header=BB226_988 Depth=1
	s_or_b32 exec_lo, exec_lo, s15
.LBB226_1487:                           ;   in Loop: Header=BB226_988 Depth=1
	s_or_b32 exec_lo, exec_lo, s13
.LBB226_1488:                           ;   in Loop: Header=BB226_988 Depth=1
	s_or_b32 exec_lo, exec_lo, s7
	s_mov_b32 s7, exec_lo
	v_cmpx_lt_u32_e32 0xffffff, v0
	s_cbranch_execz .LBB226_1496
; %bb.1489:                             ;   in Loop: Header=BB226_988 Depth=1
	v_mov_b32_e32 v8, v7
	v_mov_b32_e32 v11, v9
	v_cmp_ne_u32_sdwa s4, v0, v84 src0_sel:BYTE_3 src1_sel:DWORD
	v_mov_b32_e32 v10, v8
	s_and_saveexec_b32 s13, s4
	s_cbranch_execz .LBB226_1495
; %bb.1490:                             ;   in Loop: Header=BB226_988 Depth=1
	v_mov_b32_e32 v11, v7
	v_bfe_u32 v8, v0, 24, 7
	s_mov_b32 s15, exec_lo
	v_mov_b32_e32 v10, v11
	v_mov_b32_e32 v11, v12
	v_cmpx_ne_u32_e32 0x7f, v8
	s_cbranch_execz .LBB226_1494
; %bb.1491:                             ;   in Loop: Header=BB226_988 Depth=1
	v_mov_b32_e32 v1, 7
	s_mov_b32 s18, exec_lo
	v_and_b32_sdwa v6, v0, v1 dst_sel:DWORD dst_unused:UNUSED_PAD src0_sel:BYTE_3 src1_sel:DWORD
	v_lshrrev_b32_e32 v1, 3, v8
	v_cmpx_gt_u32_e32 8, v8
; %bb.1492:                             ;   in Loop: Header=BB226_988 Depth=1
	v_ffbh_u32_e32 v1, v6
	v_min_u32_e32 v1, 32, v1
	v_subrev_nc_u32_e32 v8, 28, v1
	v_sub_nc_u32_e32 v1, 29, v1
	v_lshlrev_b64 v[10:11], v8, v[6:7]
	v_and_b32_e32 v6, 7, v10
; %bb.1493:                             ;   in Loop: Header=BB226_988 Depth=1
	s_or_b32 exec_lo, exec_lo, s18
	v_mov_b32_e32 v8, 24
	v_lshlrev_b32_e32 v6, 20, v6
	v_lshl_add_u32 v1, v1, 23, 0x3c000000
	v_mov_b32_e32 v10, v7
	v_lshlrev_b32_sdwa v0, v8, v0 dst_sel:DWORD dst_unused:UNUSED_PAD src0_sel:DWORD src1_sel:BYTE_3
	v_and_b32_e32 v0, 0x80000000, v0
	v_or3_b32 v11, v6, v0, v1
.LBB226_1494:                           ;   in Loop: Header=BB226_988 Depth=1
	s_or_b32 exec_lo, exec_lo, s15
.LBB226_1495:                           ;   in Loop: Header=BB226_988 Depth=1
	s_or_b32 exec_lo, exec_lo, s13
.LBB226_1496:                           ;   in Loop: Header=BB226_988 Depth=1
	s_or_b32 exec_lo, exec_lo, s7
	v_or_b32_e32 v0, v20, v18
	v_or_b32_e32 v6, v19, v17
	;; [unrolled: 1-line block ×4, first 2 shown]
	v_mul_f32_e32 v1, v99, v0
	v_mul_f32_e32 v0, v83, v6
	v_mul_f32_e32 v28, v83, v8
	v_mul_f32_e32 v127, v99, v10
	s_and_saveexec_b32 s7, vcc_lo
	s_cbranch_execz .LBB226_1498
; %bb.1497:                             ;   in Loop: Header=BB226_988 Depth=1
	v_cmp_lt_i32_e64 s4, v40, v26
	v_cndmask_b32_e64 v0, 0, v0, s4
	v_cmp_lt_i32_e64 s4, v42, v26
	v_cndmask_b32_e64 v1, 0, v1, s4
	;; [unrolled: 2-line block ×4, first 2 shown]
.LBB226_1498:                           ;   in Loop: Header=BB226_988 Depth=1
	s_or_b32 exec_lo, exec_lo, s7
	flat_load_dword v23, v[15:16] offset:1920
	v_mov_b32_e32 v19, 0
	v_mov_b32_e32 v17, 0
	;; [unrolled: 1-line block ×4, first 2 shown]
	s_waitcnt vmcnt(0) lgkmcnt(0)
	v_cmp_ne_u16_sdwa s4, v23, v7 src0_sel:BYTE_0 src1_sel:DWORD
	s_and_saveexec_b32 s7, s4
	s_cbranch_execz .LBB226_1506
; %bb.1499:                             ;   in Loop: Header=BB226_988 Depth=1
	v_bfrev_b32_e32 v17, 1
	v_mov_b32_e32 v18, 0
	v_cmp_ne_u16_sdwa s4, v23, v84 src0_sel:BYTE_0 src1_sel:DWORD
	s_and_saveexec_b32 s13, s4
	s_cbranch_execz .LBB226_1505
; %bb.1500:                             ;   in Loop: Header=BB226_988 Depth=1
	v_mov_b32_e32 v17, 0x7f800001
	v_and_b32_e32 v10, 0x7f, v23
	v_mov_b32_e32 v18, 0
	s_mov_b32 s15, exec_lo
	v_cmpx_ne_u32_e32 0x7f, v10
	s_cbranch_execz .LBB226_1504
; %bb.1501:                             ;   in Loop: Header=BB226_988 Depth=1
	v_and_b32_e32 v6, 7, v23
	v_lshrrev_b32_e32 v8, 3, v10
	s_mov_b32 s18, exec_lo
	v_cmpx_gt_u32_e32 8, v10
; %bb.1502:                             ;   in Loop: Header=BB226_988 Depth=1
	v_ffbh_u32_e32 v8, v6
	v_min_u32_e32 v8, 32, v8
	v_subrev_nc_u32_e32 v10, 28, v8
	v_sub_nc_u32_e32 v8, 29, v8
	v_lshlrev_b64 v[10:11], v10, v[6:7]
	v_and_b32_e32 v6, 7, v10
; %bb.1503:                             ;   in Loop: Header=BB226_988 Depth=1
	s_or_b32 exec_lo, exec_lo, s18
	v_lshlrev_b32_e32 v10, 24, v23
	v_lshlrev_b32_e32 v6, 20, v6
	v_lshl_add_u32 v8, v8, 23, 0x3c000000
	v_and_b32_e32 v10, 0x80000000, v10
	v_or3_b32 v6, v6, v10, v8
	v_mov_b32_e32 v18, v7
	v_mov_b32_e32 v17, v6
.LBB226_1504:                           ;   in Loop: Header=BB226_988 Depth=1
	s_or_b32 exec_lo, exec_lo, s15
.LBB226_1505:                           ;   in Loop: Header=BB226_988 Depth=1
	s_or_b32 exec_lo, exec_lo, s13
.LBB226_1506:                           ;   in Loop: Header=BB226_988 Depth=1
	s_or_b32 exec_lo, exec_lo, s7
	v_cmp_ne_u16_sdwa s4, v23, v7 src0_sel:BYTE_1 src1_sel:DWORD
	s_and_saveexec_b32 s7, s4
	s_cbranch_execz .LBB226_1514
; %bb.1507:                             ;   in Loop: Header=BB226_988 Depth=1
	v_mov_b32_e32 v8, v7
	v_mov_b32_e32 v20, v9
	v_cmp_ne_u16_sdwa s4, v23, v84 src0_sel:BYTE_1 src1_sel:DWORD
	v_mov_b32_e32 v19, v8
	s_and_saveexec_b32 s13, s4
	s_cbranch_execz .LBB226_1513
; %bb.1508:                             ;   in Loop: Header=BB226_988 Depth=1
	v_and_b32_sdwa v6, v120, v23 dst_sel:DWORD dst_unused:UNUSED_PAD src0_sel:DWORD src1_sel:BYTE_1
	v_mov_b32_e32 v11, v7
	v_mov_b32_e32 v20, v12
	s_mov_b32 s15, exec_lo
	v_and_b32_e32 v10, 0x7f, v6
	v_mov_b32_e32 v19, v11
	v_cmpx_ne_u32_e32 0x7f, v10
	s_cbranch_execz .LBB226_1512
; %bb.1509:                             ;   in Loop: Header=BB226_988 Depth=1
	v_and_b32_e32 v6, 7, v6
	v_lshrrev_b32_e32 v8, 3, v10
	s_mov_b32 s18, exec_lo
	v_cmpx_gt_u32_e32 8, v10
; %bb.1510:                             ;   in Loop: Header=BB226_988 Depth=1
	v_ffbh_u32_e32 v8, v6
	v_min_u32_e32 v8, 32, v8
	v_subrev_nc_u32_e32 v10, 28, v8
	v_sub_nc_u32_e32 v8, 29, v8
	v_lshlrev_b64 v[10:11], v10, v[6:7]
	v_and_b32_e32 v6, 7, v10
; %bb.1511:                             ;   in Loop: Header=BB226_988 Depth=1
	s_or_b32 exec_lo, exec_lo, s18
	v_lshlrev_b32_e32 v10, 16, v23
	v_lshlrev_b32_e32 v6, 20, v6
	v_lshl_add_u32 v8, v8, 23, 0x3c000000
	v_mov_b32_e32 v19, v7
	v_and_b32_e32 v10, 0x80000000, v10
	v_or3_b32 v20, v6, v10, v8
.LBB226_1512:                           ;   in Loop: Header=BB226_988 Depth=1
	s_or_b32 exec_lo, exec_lo, s15
.LBB226_1513:                           ;   in Loop: Header=BB226_988 Depth=1
	s_or_b32 exec_lo, exec_lo, s13
.LBB226_1514:                           ;   in Loop: Header=BB226_988 Depth=1
	s_or_b32 exec_lo, exec_lo, s7
	v_mov_b32_e32 v10, 0
	v_mov_b32_e32 v21, 0
	v_and_b32_sdwa v6, v23, v86 dst_sel:DWORD dst_unused:UNUSED_PAD src0_sel:WORD_1 src1_sel:DWORD
	v_mov_b32_e32 v11, 0
	v_mov_b32_e32 v22, 0
	s_mov_b32 s7, exec_lo
	v_cmpx_ne_u16_e32 0, v6
	s_cbranch_execz .LBB226_1522
; %bb.1515:                             ;   in Loop: Header=BB226_988 Depth=1
	v_bfrev_b32_e32 v21, 1
	v_mov_b32_e32 v22, 0
	s_mov_b32 s13, exec_lo
	v_cmpx_ne_u16_e32 0x80, v6
	s_cbranch_execz .LBB226_1521
; %bb.1516:                             ;   in Loop: Header=BB226_988 Depth=1
	v_mov_b32_e32 v21, 0x7f800001
	v_bfe_u32 v24, v23, 16, 7
	v_mov_b32_e32 v22, 0
	s_mov_b32 s15, exec_lo
	v_cmpx_ne_u32_e32 0x7f, v24
	s_cbranch_execz .LBB226_1520
; %bb.1517:                             ;   in Loop: Header=BB226_988 Depth=1
	v_mov_b32_e32 v6, 7
	v_lshrrev_b32_e32 v8, 3, v24
	s_mov_b32 s18, exec_lo
	v_and_b32_sdwa v6, v23, v6 dst_sel:DWORD dst_unused:UNUSED_PAD src0_sel:WORD_1 src1_sel:DWORD
	v_cmpx_gt_u32_e32 8, v24
; %bb.1518:                             ;   in Loop: Header=BB226_988 Depth=1
	v_ffbh_u32_e32 v8, v6
	v_min_u32_e32 v8, 32, v8
	v_subrev_nc_u32_e32 v21, 28, v8
	v_sub_nc_u32_e32 v8, 29, v8
	v_lshlrev_b64 v[21:22], v21, v[6:7]
	v_and_b32_e32 v6, 7, v21
; %bb.1519:                             ;   in Loop: Header=BB226_988 Depth=1
	s_or_b32 exec_lo, exec_lo, s18
	v_mov_b32_e32 v21, 24
	v_lshlrev_b32_e32 v6, 20, v6
	v_lshl_add_u32 v8, v8, 23, 0x3c000000
	v_lshlrev_b32_sdwa v21, v21, v23 dst_sel:DWORD dst_unused:UNUSED_PAD src0_sel:DWORD src1_sel:WORD_1
	v_and_b32_e32 v21, 0x80000000, v21
	v_or3_b32 v6, v6, v21, v8
	v_mov_b32_e32 v22, v7
	v_mov_b32_e32 v21, v6
.LBB226_1520:                           ;   in Loop: Header=BB226_988 Depth=1
	s_or_b32 exec_lo, exec_lo, s15
.LBB226_1521:                           ;   in Loop: Header=BB226_988 Depth=1
	s_or_b32 exec_lo, exec_lo, s13
.LBB226_1522:                           ;   in Loop: Header=BB226_988 Depth=1
	s_or_b32 exec_lo, exec_lo, s7
	s_mov_b32 s7, exec_lo
	v_cmpx_lt_u32_e32 0xffffff, v23
	s_cbranch_execz .LBB226_1530
; %bb.1523:                             ;   in Loop: Header=BB226_988 Depth=1
	v_mov_b32_e32 v8, v7
	v_mov_b32_e32 v11, v9
	v_cmp_ne_u32_sdwa s4, v23, v84 src0_sel:BYTE_3 src1_sel:DWORD
	v_mov_b32_e32 v10, v8
	s_and_saveexec_b32 s13, s4
	s_cbranch_execz .LBB226_1529
; %bb.1524:                             ;   in Loop: Header=BB226_988 Depth=1
	v_mov_b32_e32 v11, v7
	v_bfe_u32 v24, v23, 24, 7
	s_mov_b32 s15, exec_lo
	v_mov_b32_e32 v10, v11
	v_mov_b32_e32 v11, v12
	v_cmpx_ne_u32_e32 0x7f, v24
	s_cbranch_execz .LBB226_1528
; %bb.1525:                             ;   in Loop: Header=BB226_988 Depth=1
	v_mov_b32_e32 v6, 7
	v_lshrrev_b32_e32 v8, 3, v24
	s_mov_b32 s18, exec_lo
	v_and_b32_sdwa v6, v23, v6 dst_sel:DWORD dst_unused:UNUSED_PAD src0_sel:BYTE_3 src1_sel:DWORD
	v_cmpx_gt_u32_e32 8, v24
; %bb.1526:                             ;   in Loop: Header=BB226_988 Depth=1
	v_ffbh_u32_e32 v8, v6
	v_min_u32_e32 v8, 32, v8
	v_subrev_nc_u32_e32 v10, 28, v8
	v_sub_nc_u32_e32 v8, 29, v8
	v_lshlrev_b64 v[10:11], v10, v[6:7]
	v_and_b32_e32 v6, 7, v10
; %bb.1527:                             ;   in Loop: Header=BB226_988 Depth=1
	s_or_b32 exec_lo, exec_lo, s18
	v_mov_b32_e32 v10, 24
	v_lshlrev_b32_e32 v6, 20, v6
	v_lshl_add_u32 v8, v8, 23, 0x3c000000
	v_lshlrev_b32_sdwa v10, v10, v23 dst_sel:DWORD dst_unused:UNUSED_PAD src0_sel:DWORD src1_sel:BYTE_3
	v_and_b32_e32 v10, 0x80000000, v10
	v_or3_b32 v11, v6, v10, v8
	v_mov_b32_e32 v10, v7
.LBB226_1528:                           ;   in Loop: Header=BB226_988 Depth=1
	s_or_b32 exec_lo, exec_lo, s15
.LBB226_1529:                           ;   in Loop: Header=BB226_988 Depth=1
	s_or_b32 exec_lo, exec_lo, s13
.LBB226_1530:                           ;   in Loop: Header=BB226_988 Depth=1
	s_or_b32 exec_lo, exec_lo, s7
	v_or_b32_e32 v6, v20, v18
	v_or_b32_e32 v8, v19, v17
	;; [unrolled: 1-line block ×4, first 2 shown]
	v_mul_f32_e32 v24, v99, v6
	v_mul_f32_e32 v27, v83, v8
	;; [unrolled: 1-line block ×4, first 2 shown]
	s_and_saveexec_b32 s7, vcc_lo
	s_cbranch_execz .LBB226_1532
; %bb.1531:                             ;   in Loop: Header=BB226_988 Depth=1
	v_cmp_lt_i32_e64 s4, v40, v26
	v_cndmask_b32_e64 v27, 0, v27, s4
	v_cmp_lt_i32_e64 s4, v42, v26
	v_cndmask_b32_e64 v24, 0, v24, s4
	;; [unrolled: 2-line block ×4, first 2 shown]
.LBB226_1532:                           ;   in Loop: Header=BB226_988 Depth=1
	s_or_b32 exec_lo, exec_lo, s7
	v_add_co_u32 v15, s4, 0x800, v15
	v_add_co_ci_u32_e64 v16, null, 0, v16, s4
	v_mov_b32_e32 v19, 0
	v_mov_b32_e32 v17, 0
	;; [unrolled: 1-line block ×3, first 2 shown]
	flat_load_dword v85, v[15:16]
	v_mov_b32_e32 v18, 0
	s_waitcnt vmcnt(0) lgkmcnt(0)
	v_cmp_ne_u16_sdwa s4, v85, v7 src0_sel:BYTE_0 src1_sel:DWORD
	s_and_saveexec_b32 s7, s4
	s_cbranch_execz .LBB226_1540
; %bb.1533:                             ;   in Loop: Header=BB226_988 Depth=1
	v_bfrev_b32_e32 v17, 1
	v_mov_b32_e32 v18, 0
	v_cmp_ne_u16_sdwa s4, v85, v84 src0_sel:BYTE_0 src1_sel:DWORD
	s_and_saveexec_b32 s13, s4
	s_cbranch_execz .LBB226_1539
; %bb.1534:                             ;   in Loop: Header=BB226_988 Depth=1
	v_mov_b32_e32 v17, 0x7f800001
	v_and_b32_e32 v10, 0x7f, v85
	v_mov_b32_e32 v18, 0
	s_mov_b32 s15, exec_lo
	v_cmpx_ne_u32_e32 0x7f, v10
	s_cbranch_execz .LBB226_1538
; %bb.1535:                             ;   in Loop: Header=BB226_988 Depth=1
	v_and_b32_e32 v6, 7, v85
	v_lshrrev_b32_e32 v8, 3, v10
	s_mov_b32 s18, exec_lo
	v_cmpx_gt_u32_e32 8, v10
; %bb.1536:                             ;   in Loop: Header=BB226_988 Depth=1
	v_ffbh_u32_e32 v8, v6
	v_min_u32_e32 v8, 32, v8
	v_subrev_nc_u32_e32 v10, 28, v8
	v_sub_nc_u32_e32 v8, 29, v8
	v_lshlrev_b64 v[10:11], v10, v[6:7]
	v_and_b32_e32 v6, 7, v10
; %bb.1537:                             ;   in Loop: Header=BB226_988 Depth=1
	s_or_b32 exec_lo, exec_lo, s18
	v_lshlrev_b32_e32 v10, 24, v85
	v_lshlrev_b32_e32 v6, 20, v6
	v_lshl_add_u32 v8, v8, 23, 0x3c000000
	v_and_b32_e32 v10, 0x80000000, v10
	v_or3_b32 v6, v6, v10, v8
	v_mov_b32_e32 v18, v7
	v_mov_b32_e32 v17, v6
.LBB226_1538:                           ;   in Loop: Header=BB226_988 Depth=1
	s_or_b32 exec_lo, exec_lo, s15
.LBB226_1539:                           ;   in Loop: Header=BB226_988 Depth=1
	s_or_b32 exec_lo, exec_lo, s13
.LBB226_1540:                           ;   in Loop: Header=BB226_988 Depth=1
	s_or_b32 exec_lo, exec_lo, s7
	v_cmp_ne_u16_sdwa s4, v85, v7 src0_sel:BYTE_1 src1_sel:DWORD
	s_and_saveexec_b32 s7, s4
	s_cbranch_execz .LBB226_1548
; %bb.1541:                             ;   in Loop: Header=BB226_988 Depth=1
	v_mov_b32_e32 v8, v7
	v_mov_b32_e32 v20, v9
	v_cmp_ne_u16_sdwa s4, v85, v84 src0_sel:BYTE_1 src1_sel:DWORD
	v_mov_b32_e32 v19, v8
	s_and_saveexec_b32 s13, s4
	s_cbranch_execz .LBB226_1547
; %bb.1542:                             ;   in Loop: Header=BB226_988 Depth=1
	v_and_b32_sdwa v6, v120, v85 dst_sel:DWORD dst_unused:UNUSED_PAD src0_sel:DWORD src1_sel:BYTE_1
	v_mov_b32_e32 v11, v7
	v_mov_b32_e32 v20, v12
	s_mov_b32 s15, exec_lo
	v_and_b32_e32 v10, 0x7f, v6
	v_mov_b32_e32 v19, v11
	v_cmpx_ne_u32_e32 0x7f, v10
	s_cbranch_execz .LBB226_1546
; %bb.1543:                             ;   in Loop: Header=BB226_988 Depth=1
	v_and_b32_e32 v6, 7, v6
	v_lshrrev_b32_e32 v8, 3, v10
	s_mov_b32 s18, exec_lo
	v_cmpx_gt_u32_e32 8, v10
; %bb.1544:                             ;   in Loop: Header=BB226_988 Depth=1
	v_ffbh_u32_e32 v8, v6
	v_min_u32_e32 v8, 32, v8
	v_subrev_nc_u32_e32 v10, 28, v8
	v_sub_nc_u32_e32 v8, 29, v8
	v_lshlrev_b64 v[10:11], v10, v[6:7]
	v_and_b32_e32 v6, 7, v10
; %bb.1545:                             ;   in Loop: Header=BB226_988 Depth=1
	s_or_b32 exec_lo, exec_lo, s18
	v_lshlrev_b32_e32 v10, 16, v85
	v_lshlrev_b32_e32 v6, 20, v6
	v_lshl_add_u32 v8, v8, 23, 0x3c000000
	v_mov_b32_e32 v19, v7
	v_and_b32_e32 v10, 0x80000000, v10
	v_or3_b32 v20, v6, v10, v8
.LBB226_1546:                           ;   in Loop: Header=BB226_988 Depth=1
	s_or_b32 exec_lo, exec_lo, s15
.LBB226_1547:                           ;   in Loop: Header=BB226_988 Depth=1
	s_or_b32 exec_lo, exec_lo, s13
.LBB226_1548:                           ;   in Loop: Header=BB226_988 Depth=1
	s_or_b32 exec_lo, exec_lo, s7
	v_mov_b32_e32 v10, 0
	v_mov_b32_e32 v21, 0
	v_and_b32_sdwa v6, v85, v86 dst_sel:DWORD dst_unused:UNUSED_PAD src0_sel:WORD_1 src1_sel:DWORD
	v_mov_b32_e32 v11, 0
	v_mov_b32_e32 v22, 0
	s_mov_b32 s7, exec_lo
	v_cmpx_ne_u16_e32 0, v6
	s_cbranch_execz .LBB226_1556
; %bb.1549:                             ;   in Loop: Header=BB226_988 Depth=1
	v_bfrev_b32_e32 v21, 1
	v_mov_b32_e32 v22, 0
	s_mov_b32 s13, exec_lo
	v_cmpx_ne_u16_e32 0x80, v6
	s_cbranch_execz .LBB226_1555
; %bb.1550:                             ;   in Loop: Header=BB226_988 Depth=1
	v_mov_b32_e32 v21, 0x7f800001
	v_bfe_u32 v87, v85, 16, 7
	v_mov_b32_e32 v22, 0
	s_mov_b32 s15, exec_lo
	v_cmpx_ne_u32_e32 0x7f, v87
	s_cbranch_execz .LBB226_1554
; %bb.1551:                             ;   in Loop: Header=BB226_988 Depth=1
	v_mov_b32_e32 v6, 7
	v_lshrrev_b32_e32 v8, 3, v87
	s_mov_b32 s18, exec_lo
	v_and_b32_sdwa v6, v85, v6 dst_sel:DWORD dst_unused:UNUSED_PAD src0_sel:WORD_1 src1_sel:DWORD
	v_cmpx_gt_u32_e32 8, v87
; %bb.1552:                             ;   in Loop: Header=BB226_988 Depth=1
	v_ffbh_u32_e32 v8, v6
	v_min_u32_e32 v8, 32, v8
	v_subrev_nc_u32_e32 v21, 28, v8
	v_sub_nc_u32_e32 v8, 29, v8
	v_lshlrev_b64 v[21:22], v21, v[6:7]
	v_and_b32_e32 v6, 7, v21
; %bb.1553:                             ;   in Loop: Header=BB226_988 Depth=1
	s_or_b32 exec_lo, exec_lo, s18
	v_mov_b32_e32 v21, 24
	v_lshlrev_b32_e32 v6, 20, v6
	v_lshl_add_u32 v8, v8, 23, 0x3c000000
	v_lshlrev_b32_sdwa v21, v21, v85 dst_sel:DWORD dst_unused:UNUSED_PAD src0_sel:DWORD src1_sel:WORD_1
	v_and_b32_e32 v21, 0x80000000, v21
	v_or3_b32 v6, v6, v21, v8
	v_mov_b32_e32 v22, v7
	v_mov_b32_e32 v21, v6
.LBB226_1554:                           ;   in Loop: Header=BB226_988 Depth=1
	s_or_b32 exec_lo, exec_lo, s15
.LBB226_1555:                           ;   in Loop: Header=BB226_988 Depth=1
	s_or_b32 exec_lo, exec_lo, s13
.LBB226_1556:                           ;   in Loop: Header=BB226_988 Depth=1
	s_or_b32 exec_lo, exec_lo, s7
	s_mov_b32 s7, exec_lo
	v_cmpx_lt_u32_e32 0xffffff, v85
	s_cbranch_execz .LBB226_1564
; %bb.1557:                             ;   in Loop: Header=BB226_988 Depth=1
	v_mov_b32_e32 v8, v7
	v_mov_b32_e32 v11, v9
	v_cmp_ne_u32_sdwa s4, v85, v84 src0_sel:BYTE_3 src1_sel:DWORD
	v_mov_b32_e32 v10, v8
	s_and_saveexec_b32 s13, s4
	s_cbranch_execz .LBB226_1563
; %bb.1558:                             ;   in Loop: Header=BB226_988 Depth=1
	v_mov_b32_e32 v11, v7
	v_bfe_u32 v87, v85, 24, 7
	s_mov_b32 s15, exec_lo
	v_mov_b32_e32 v10, v11
	v_mov_b32_e32 v11, v12
	v_cmpx_ne_u32_e32 0x7f, v87
	s_cbranch_execz .LBB226_1562
; %bb.1559:                             ;   in Loop: Header=BB226_988 Depth=1
	v_mov_b32_e32 v6, 7
	v_lshrrev_b32_e32 v8, 3, v87
	s_mov_b32 s18, exec_lo
	v_and_b32_sdwa v6, v85, v6 dst_sel:DWORD dst_unused:UNUSED_PAD src0_sel:BYTE_3 src1_sel:DWORD
	v_cmpx_gt_u32_e32 8, v87
; %bb.1560:                             ;   in Loop: Header=BB226_988 Depth=1
	v_ffbh_u32_e32 v8, v6
	v_min_u32_e32 v8, 32, v8
	v_subrev_nc_u32_e32 v10, 28, v8
	v_sub_nc_u32_e32 v8, 29, v8
	v_lshlrev_b64 v[10:11], v10, v[6:7]
	v_and_b32_e32 v6, 7, v10
; %bb.1561:                             ;   in Loop: Header=BB226_988 Depth=1
	s_or_b32 exec_lo, exec_lo, s18
	v_mov_b32_e32 v10, 24
	v_lshlrev_b32_e32 v6, 20, v6
	v_lshl_add_u32 v8, v8, 23, 0x3c000000
	v_lshlrev_b32_sdwa v10, v10, v85 dst_sel:DWORD dst_unused:UNUSED_PAD src0_sel:DWORD src1_sel:BYTE_3
	v_and_b32_e32 v10, 0x80000000, v10
	v_or3_b32 v11, v6, v10, v8
	v_mov_b32_e32 v10, v7
.LBB226_1562:                           ;   in Loop: Header=BB226_988 Depth=1
	s_or_b32 exec_lo, exec_lo, s15
.LBB226_1563:                           ;   in Loop: Header=BB226_988 Depth=1
	s_or_b32 exec_lo, exec_lo, s13
.LBB226_1564:                           ;   in Loop: Header=BB226_988 Depth=1
	s_or_b32 exec_lo, exec_lo, s7
	v_or_b32_e32 v6, v20, v18
	v_or_b32_e32 v8, v19, v17
	v_or_b32_e32 v10, v10, v21
	v_or_b32_e32 v11, v11, v22
	v_mul_f32_e32 v103, v99, v6
	v_mul_f32_e32 v112, v83, v8
	;; [unrolled: 1-line block ×4, first 2 shown]
	s_and_saveexec_b32 s7, vcc_lo
	s_cbranch_execz .LBB226_1566
; %bb.1565:                             ;   in Loop: Header=BB226_988 Depth=1
	v_cmp_lt_i32_e64 s4, v40, v26
	v_cndmask_b32_e64 v112, 0, v112, s4
	v_cmp_lt_i32_e64 s4, v42, v26
	v_cndmask_b32_e64 v103, 0, v103, s4
	;; [unrolled: 2-line block ×4, first 2 shown]
.LBB226_1566:                           ;   in Loop: Header=BB226_988 Depth=1
	s_or_b32 exec_lo, exec_lo, s7
	flat_load_dword v85, v[15:16] offset:128
	v_mov_b32_e32 v19, 0
	v_mov_b32_e32 v17, 0
	v_mov_b32_e32 v20, 0
	v_mov_b32_e32 v18, 0
	s_waitcnt vmcnt(0) lgkmcnt(0)
	v_cmp_ne_u16_sdwa s4, v85, v7 src0_sel:BYTE_0 src1_sel:DWORD
	s_and_saveexec_b32 s7, s4
	s_cbranch_execz .LBB226_1574
; %bb.1567:                             ;   in Loop: Header=BB226_988 Depth=1
	v_bfrev_b32_e32 v17, 1
	v_mov_b32_e32 v18, 0
	v_cmp_ne_u16_sdwa s4, v85, v84 src0_sel:BYTE_0 src1_sel:DWORD
	s_and_saveexec_b32 s13, s4
	s_cbranch_execz .LBB226_1573
; %bb.1568:                             ;   in Loop: Header=BB226_988 Depth=1
	v_mov_b32_e32 v17, 0x7f800001
	v_and_b32_e32 v10, 0x7f, v85
	v_mov_b32_e32 v18, 0
	s_mov_b32 s15, exec_lo
	v_cmpx_ne_u32_e32 0x7f, v10
	s_cbranch_execz .LBB226_1572
; %bb.1569:                             ;   in Loop: Header=BB226_988 Depth=1
	v_and_b32_e32 v6, 7, v85
	v_lshrrev_b32_e32 v8, 3, v10
	s_mov_b32 s18, exec_lo
	v_cmpx_gt_u32_e32 8, v10
; %bb.1570:                             ;   in Loop: Header=BB226_988 Depth=1
	v_ffbh_u32_e32 v8, v6
	v_min_u32_e32 v8, 32, v8
	v_subrev_nc_u32_e32 v10, 28, v8
	v_sub_nc_u32_e32 v8, 29, v8
	v_lshlrev_b64 v[10:11], v10, v[6:7]
	v_and_b32_e32 v6, 7, v10
; %bb.1571:                             ;   in Loop: Header=BB226_988 Depth=1
	s_or_b32 exec_lo, exec_lo, s18
	v_lshlrev_b32_e32 v10, 24, v85
	v_lshlrev_b32_e32 v6, 20, v6
	v_lshl_add_u32 v8, v8, 23, 0x3c000000
	v_and_b32_e32 v10, 0x80000000, v10
	v_or3_b32 v6, v6, v10, v8
	v_mov_b32_e32 v18, v7
	v_mov_b32_e32 v17, v6
.LBB226_1572:                           ;   in Loop: Header=BB226_988 Depth=1
	s_or_b32 exec_lo, exec_lo, s15
.LBB226_1573:                           ;   in Loop: Header=BB226_988 Depth=1
	s_or_b32 exec_lo, exec_lo, s13
.LBB226_1574:                           ;   in Loop: Header=BB226_988 Depth=1
	s_or_b32 exec_lo, exec_lo, s7
	v_cmp_ne_u16_sdwa s4, v85, v7 src0_sel:BYTE_1 src1_sel:DWORD
	s_and_saveexec_b32 s7, s4
	s_cbranch_execz .LBB226_1582
; %bb.1575:                             ;   in Loop: Header=BB226_988 Depth=1
	v_mov_b32_e32 v8, v7
	v_mov_b32_e32 v20, v9
	v_cmp_ne_u16_sdwa s4, v85, v84 src0_sel:BYTE_1 src1_sel:DWORD
	v_mov_b32_e32 v19, v8
	s_and_saveexec_b32 s13, s4
	s_cbranch_execz .LBB226_1581
; %bb.1576:                             ;   in Loop: Header=BB226_988 Depth=1
	v_and_b32_sdwa v6, v120, v85 dst_sel:DWORD dst_unused:UNUSED_PAD src0_sel:DWORD src1_sel:BYTE_1
	v_mov_b32_e32 v11, v7
	v_mov_b32_e32 v20, v12
	s_mov_b32 s15, exec_lo
	v_and_b32_e32 v10, 0x7f, v6
	v_mov_b32_e32 v19, v11
	v_cmpx_ne_u32_e32 0x7f, v10
	s_cbranch_execz .LBB226_1580
; %bb.1577:                             ;   in Loop: Header=BB226_988 Depth=1
	v_and_b32_e32 v6, 7, v6
	v_lshrrev_b32_e32 v8, 3, v10
	s_mov_b32 s18, exec_lo
	v_cmpx_gt_u32_e32 8, v10
; %bb.1578:                             ;   in Loop: Header=BB226_988 Depth=1
	v_ffbh_u32_e32 v8, v6
	v_min_u32_e32 v8, 32, v8
	v_subrev_nc_u32_e32 v10, 28, v8
	v_sub_nc_u32_e32 v8, 29, v8
	v_lshlrev_b64 v[10:11], v10, v[6:7]
	v_and_b32_e32 v6, 7, v10
; %bb.1579:                             ;   in Loop: Header=BB226_988 Depth=1
	s_or_b32 exec_lo, exec_lo, s18
	v_lshlrev_b32_e32 v10, 16, v85
	v_lshlrev_b32_e32 v6, 20, v6
	v_lshl_add_u32 v8, v8, 23, 0x3c000000
	v_mov_b32_e32 v19, v7
	v_and_b32_e32 v10, 0x80000000, v10
	v_or3_b32 v20, v6, v10, v8
.LBB226_1580:                           ;   in Loop: Header=BB226_988 Depth=1
	s_or_b32 exec_lo, exec_lo, s15
.LBB226_1581:                           ;   in Loop: Header=BB226_988 Depth=1
	s_or_b32 exec_lo, exec_lo, s13
.LBB226_1582:                           ;   in Loop: Header=BB226_988 Depth=1
	s_or_b32 exec_lo, exec_lo, s7
	v_mov_b32_e32 v10, 0
	v_mov_b32_e32 v21, 0
	v_and_b32_sdwa v6, v85, v86 dst_sel:DWORD dst_unused:UNUSED_PAD src0_sel:WORD_1 src1_sel:DWORD
	v_mov_b32_e32 v11, 0
	v_mov_b32_e32 v22, 0
	s_mov_b32 s7, exec_lo
	v_cmpx_ne_u16_e32 0, v6
	s_cbranch_execz .LBB226_1590
; %bb.1583:                             ;   in Loop: Header=BB226_988 Depth=1
	v_bfrev_b32_e32 v21, 1
	v_mov_b32_e32 v22, 0
	s_mov_b32 s13, exec_lo
	v_cmpx_ne_u16_e32 0x80, v6
	s_cbranch_execz .LBB226_1589
; %bb.1584:                             ;   in Loop: Header=BB226_988 Depth=1
	v_mov_b32_e32 v21, 0x7f800001
	v_bfe_u32 v87, v85, 16, 7
	v_mov_b32_e32 v22, 0
	s_mov_b32 s15, exec_lo
	v_cmpx_ne_u32_e32 0x7f, v87
	s_cbranch_execz .LBB226_1588
; %bb.1585:                             ;   in Loop: Header=BB226_988 Depth=1
	v_mov_b32_e32 v6, 7
	v_lshrrev_b32_e32 v8, 3, v87
	s_mov_b32 s18, exec_lo
	v_and_b32_sdwa v6, v85, v6 dst_sel:DWORD dst_unused:UNUSED_PAD src0_sel:WORD_1 src1_sel:DWORD
	v_cmpx_gt_u32_e32 8, v87
; %bb.1586:                             ;   in Loop: Header=BB226_988 Depth=1
	v_ffbh_u32_e32 v8, v6
	v_min_u32_e32 v8, 32, v8
	v_subrev_nc_u32_e32 v21, 28, v8
	v_sub_nc_u32_e32 v8, 29, v8
	v_lshlrev_b64 v[21:22], v21, v[6:7]
	v_and_b32_e32 v6, 7, v21
; %bb.1587:                             ;   in Loop: Header=BB226_988 Depth=1
	s_or_b32 exec_lo, exec_lo, s18
	v_mov_b32_e32 v21, 24
	v_lshlrev_b32_e32 v6, 20, v6
	v_lshl_add_u32 v8, v8, 23, 0x3c000000
	v_lshlrev_b32_sdwa v21, v21, v85 dst_sel:DWORD dst_unused:UNUSED_PAD src0_sel:DWORD src1_sel:WORD_1
	v_and_b32_e32 v21, 0x80000000, v21
	v_or3_b32 v6, v6, v21, v8
	v_mov_b32_e32 v22, v7
	v_mov_b32_e32 v21, v6
.LBB226_1588:                           ;   in Loop: Header=BB226_988 Depth=1
	s_or_b32 exec_lo, exec_lo, s15
.LBB226_1589:                           ;   in Loop: Header=BB226_988 Depth=1
	s_or_b32 exec_lo, exec_lo, s13
.LBB226_1590:                           ;   in Loop: Header=BB226_988 Depth=1
	s_or_b32 exec_lo, exec_lo, s7
	s_mov_b32 s7, exec_lo
	v_cmpx_lt_u32_e32 0xffffff, v85
	s_cbranch_execz .LBB226_1598
; %bb.1591:                             ;   in Loop: Header=BB226_988 Depth=1
	v_mov_b32_e32 v8, v7
	v_mov_b32_e32 v11, v9
	v_cmp_ne_u32_sdwa s4, v85, v84 src0_sel:BYTE_3 src1_sel:DWORD
	v_mov_b32_e32 v10, v8
	s_and_saveexec_b32 s13, s4
	s_cbranch_execz .LBB226_1597
; %bb.1592:                             ;   in Loop: Header=BB226_988 Depth=1
	v_mov_b32_e32 v11, v7
	v_bfe_u32 v87, v85, 24, 7
	s_mov_b32 s15, exec_lo
	v_mov_b32_e32 v10, v11
	v_mov_b32_e32 v11, v12
	v_cmpx_ne_u32_e32 0x7f, v87
	s_cbranch_execz .LBB226_1596
; %bb.1593:                             ;   in Loop: Header=BB226_988 Depth=1
	v_mov_b32_e32 v6, 7
	v_lshrrev_b32_e32 v8, 3, v87
	s_mov_b32 s18, exec_lo
	v_and_b32_sdwa v6, v85, v6 dst_sel:DWORD dst_unused:UNUSED_PAD src0_sel:BYTE_3 src1_sel:DWORD
	v_cmpx_gt_u32_e32 8, v87
; %bb.1594:                             ;   in Loop: Header=BB226_988 Depth=1
	v_ffbh_u32_e32 v8, v6
	v_min_u32_e32 v8, 32, v8
	v_subrev_nc_u32_e32 v10, 28, v8
	v_sub_nc_u32_e32 v8, 29, v8
	v_lshlrev_b64 v[10:11], v10, v[6:7]
	v_and_b32_e32 v6, 7, v10
; %bb.1595:                             ;   in Loop: Header=BB226_988 Depth=1
	s_or_b32 exec_lo, exec_lo, s18
	v_mov_b32_e32 v10, 24
	v_lshlrev_b32_e32 v6, 20, v6
	v_lshl_add_u32 v8, v8, 23, 0x3c000000
	v_lshlrev_b32_sdwa v10, v10, v85 dst_sel:DWORD dst_unused:UNUSED_PAD src0_sel:DWORD src1_sel:BYTE_3
	v_and_b32_e32 v10, 0x80000000, v10
	v_or3_b32 v11, v6, v10, v8
	v_mov_b32_e32 v10, v7
.LBB226_1596:                           ;   in Loop: Header=BB226_988 Depth=1
	s_or_b32 exec_lo, exec_lo, s15
.LBB226_1597:                           ;   in Loop: Header=BB226_988 Depth=1
	s_or_b32 exec_lo, exec_lo, s13
.LBB226_1598:                           ;   in Loop: Header=BB226_988 Depth=1
	s_or_b32 exec_lo, exec_lo, s7
	v_or_b32_e32 v6, v20, v18
	v_or_b32_e32 v8, v19, v17
	v_or_b32_e32 v10, v10, v21
	v_or_b32_e32 v11, v11, v22
	v_mul_f32_e32 v115, v99, v6
	v_mul_f32_e32 v116, v83, v8
	;; [unrolled: 1-line block ×4, first 2 shown]
	s_and_saveexec_b32 s7, vcc_lo
	s_cbranch_execz .LBB226_1600
; %bb.1599:                             ;   in Loop: Header=BB226_988 Depth=1
	v_cmp_lt_i32_e64 s4, v40, v26
	v_cndmask_b32_e64 v116, 0, v116, s4
	v_cmp_lt_i32_e64 s4, v42, v26
	v_cndmask_b32_e64 v115, 0, v115, s4
	;; [unrolled: 2-line block ×4, first 2 shown]
.LBB226_1600:                           ;   in Loop: Header=BB226_988 Depth=1
	s_or_b32 exec_lo, exec_lo, s7
	flat_load_dword v85, v[15:16] offset:256
	v_mov_b32_e32 v19, 0
	v_mov_b32_e32 v17, 0
	;; [unrolled: 1-line block ×4, first 2 shown]
	s_waitcnt vmcnt(0) lgkmcnt(0)
	v_cmp_ne_u16_sdwa s4, v85, v7 src0_sel:BYTE_0 src1_sel:DWORD
	s_and_saveexec_b32 s7, s4
	s_cbranch_execz .LBB226_1608
; %bb.1601:                             ;   in Loop: Header=BB226_988 Depth=1
	v_bfrev_b32_e32 v17, 1
	v_mov_b32_e32 v18, 0
	v_cmp_ne_u16_sdwa s4, v85, v84 src0_sel:BYTE_0 src1_sel:DWORD
	s_and_saveexec_b32 s13, s4
	s_cbranch_execz .LBB226_1607
; %bb.1602:                             ;   in Loop: Header=BB226_988 Depth=1
	v_mov_b32_e32 v17, 0x7f800001
	v_and_b32_e32 v10, 0x7f, v85
	v_mov_b32_e32 v18, 0
	s_mov_b32 s15, exec_lo
	v_cmpx_ne_u32_e32 0x7f, v10
	s_cbranch_execz .LBB226_1606
; %bb.1603:                             ;   in Loop: Header=BB226_988 Depth=1
	v_and_b32_e32 v6, 7, v85
	v_lshrrev_b32_e32 v8, 3, v10
	s_mov_b32 s18, exec_lo
	v_cmpx_gt_u32_e32 8, v10
; %bb.1604:                             ;   in Loop: Header=BB226_988 Depth=1
	v_ffbh_u32_e32 v8, v6
	v_min_u32_e32 v8, 32, v8
	v_subrev_nc_u32_e32 v10, 28, v8
	v_sub_nc_u32_e32 v8, 29, v8
	v_lshlrev_b64 v[10:11], v10, v[6:7]
	v_and_b32_e32 v6, 7, v10
; %bb.1605:                             ;   in Loop: Header=BB226_988 Depth=1
	s_or_b32 exec_lo, exec_lo, s18
	v_lshlrev_b32_e32 v10, 24, v85
	v_lshlrev_b32_e32 v6, 20, v6
	v_lshl_add_u32 v8, v8, 23, 0x3c000000
	v_and_b32_e32 v10, 0x80000000, v10
	v_or3_b32 v6, v6, v10, v8
	v_mov_b32_e32 v18, v7
	v_mov_b32_e32 v17, v6
.LBB226_1606:                           ;   in Loop: Header=BB226_988 Depth=1
	s_or_b32 exec_lo, exec_lo, s15
.LBB226_1607:                           ;   in Loop: Header=BB226_988 Depth=1
	s_or_b32 exec_lo, exec_lo, s13
.LBB226_1608:                           ;   in Loop: Header=BB226_988 Depth=1
	s_or_b32 exec_lo, exec_lo, s7
	v_cmp_ne_u16_sdwa s4, v85, v7 src0_sel:BYTE_1 src1_sel:DWORD
	s_and_saveexec_b32 s7, s4
	s_cbranch_execz .LBB226_1616
; %bb.1609:                             ;   in Loop: Header=BB226_988 Depth=1
	v_mov_b32_e32 v8, v7
	v_mov_b32_e32 v20, v9
	v_cmp_ne_u16_sdwa s4, v85, v84 src0_sel:BYTE_1 src1_sel:DWORD
	v_mov_b32_e32 v19, v8
	s_and_saveexec_b32 s13, s4
	s_cbranch_execz .LBB226_1615
; %bb.1610:                             ;   in Loop: Header=BB226_988 Depth=1
	v_and_b32_sdwa v6, v120, v85 dst_sel:DWORD dst_unused:UNUSED_PAD src0_sel:DWORD src1_sel:BYTE_1
	v_mov_b32_e32 v11, v7
	v_mov_b32_e32 v20, v12
	s_mov_b32 s15, exec_lo
	v_and_b32_e32 v10, 0x7f, v6
	v_mov_b32_e32 v19, v11
	v_cmpx_ne_u32_e32 0x7f, v10
	s_cbranch_execz .LBB226_1614
; %bb.1611:                             ;   in Loop: Header=BB226_988 Depth=1
	v_and_b32_e32 v6, 7, v6
	v_lshrrev_b32_e32 v8, 3, v10
	s_mov_b32 s18, exec_lo
	v_cmpx_gt_u32_e32 8, v10
; %bb.1612:                             ;   in Loop: Header=BB226_988 Depth=1
	v_ffbh_u32_e32 v8, v6
	v_min_u32_e32 v8, 32, v8
	v_subrev_nc_u32_e32 v10, 28, v8
	v_sub_nc_u32_e32 v8, 29, v8
	v_lshlrev_b64 v[10:11], v10, v[6:7]
	v_and_b32_e32 v6, 7, v10
; %bb.1613:                             ;   in Loop: Header=BB226_988 Depth=1
	s_or_b32 exec_lo, exec_lo, s18
	v_lshlrev_b32_e32 v10, 16, v85
	v_lshlrev_b32_e32 v6, 20, v6
	v_lshl_add_u32 v8, v8, 23, 0x3c000000
	v_mov_b32_e32 v19, v7
	v_and_b32_e32 v10, 0x80000000, v10
	v_or3_b32 v20, v6, v10, v8
.LBB226_1614:                           ;   in Loop: Header=BB226_988 Depth=1
	s_or_b32 exec_lo, exec_lo, s15
.LBB226_1615:                           ;   in Loop: Header=BB226_988 Depth=1
	s_or_b32 exec_lo, exec_lo, s13
.LBB226_1616:                           ;   in Loop: Header=BB226_988 Depth=1
	s_or_b32 exec_lo, exec_lo, s7
	v_mov_b32_e32 v10, 0
	v_mov_b32_e32 v21, 0
	v_and_b32_sdwa v6, v85, v86 dst_sel:DWORD dst_unused:UNUSED_PAD src0_sel:WORD_1 src1_sel:DWORD
	v_mov_b32_e32 v11, 0
	v_mov_b32_e32 v22, 0
	s_mov_b32 s7, exec_lo
	v_cmpx_ne_u16_e32 0, v6
	s_cbranch_execz .LBB226_1624
; %bb.1617:                             ;   in Loop: Header=BB226_988 Depth=1
	v_bfrev_b32_e32 v21, 1
	v_mov_b32_e32 v22, 0
	s_mov_b32 s13, exec_lo
	v_cmpx_ne_u16_e32 0x80, v6
	s_cbranch_execz .LBB226_1623
; %bb.1618:                             ;   in Loop: Header=BB226_988 Depth=1
	v_mov_b32_e32 v21, 0x7f800001
	v_bfe_u32 v87, v85, 16, 7
	v_mov_b32_e32 v22, 0
	s_mov_b32 s15, exec_lo
	v_cmpx_ne_u32_e32 0x7f, v87
	s_cbranch_execz .LBB226_1622
; %bb.1619:                             ;   in Loop: Header=BB226_988 Depth=1
	v_mov_b32_e32 v6, 7
	v_lshrrev_b32_e32 v8, 3, v87
	s_mov_b32 s18, exec_lo
	v_and_b32_sdwa v6, v85, v6 dst_sel:DWORD dst_unused:UNUSED_PAD src0_sel:WORD_1 src1_sel:DWORD
	v_cmpx_gt_u32_e32 8, v87
; %bb.1620:                             ;   in Loop: Header=BB226_988 Depth=1
	v_ffbh_u32_e32 v8, v6
	v_min_u32_e32 v8, 32, v8
	v_subrev_nc_u32_e32 v21, 28, v8
	v_sub_nc_u32_e32 v8, 29, v8
	v_lshlrev_b64 v[21:22], v21, v[6:7]
	v_and_b32_e32 v6, 7, v21
; %bb.1621:                             ;   in Loop: Header=BB226_988 Depth=1
	s_or_b32 exec_lo, exec_lo, s18
	v_mov_b32_e32 v21, 24
	v_lshlrev_b32_e32 v6, 20, v6
	v_lshl_add_u32 v8, v8, 23, 0x3c000000
	v_lshlrev_b32_sdwa v21, v21, v85 dst_sel:DWORD dst_unused:UNUSED_PAD src0_sel:DWORD src1_sel:WORD_1
	v_and_b32_e32 v21, 0x80000000, v21
	v_or3_b32 v6, v6, v21, v8
	v_mov_b32_e32 v22, v7
	v_mov_b32_e32 v21, v6
.LBB226_1622:                           ;   in Loop: Header=BB226_988 Depth=1
	s_or_b32 exec_lo, exec_lo, s15
.LBB226_1623:                           ;   in Loop: Header=BB226_988 Depth=1
	s_or_b32 exec_lo, exec_lo, s13
.LBB226_1624:                           ;   in Loop: Header=BB226_988 Depth=1
	s_or_b32 exec_lo, exec_lo, s7
	s_mov_b32 s7, exec_lo
	v_cmpx_lt_u32_e32 0xffffff, v85
	s_cbranch_execz .LBB226_1632
; %bb.1625:                             ;   in Loop: Header=BB226_988 Depth=1
	v_mov_b32_e32 v8, v7
	v_mov_b32_e32 v11, v9
	v_cmp_ne_u32_sdwa s4, v85, v84 src0_sel:BYTE_3 src1_sel:DWORD
	v_mov_b32_e32 v10, v8
	s_and_saveexec_b32 s13, s4
	s_cbranch_execz .LBB226_1631
; %bb.1626:                             ;   in Loop: Header=BB226_988 Depth=1
	v_mov_b32_e32 v11, v7
	v_bfe_u32 v87, v85, 24, 7
	s_mov_b32 s15, exec_lo
	v_mov_b32_e32 v10, v11
	v_mov_b32_e32 v11, v12
	v_cmpx_ne_u32_e32 0x7f, v87
	s_cbranch_execz .LBB226_1630
; %bb.1627:                             ;   in Loop: Header=BB226_988 Depth=1
	v_mov_b32_e32 v6, 7
	v_lshrrev_b32_e32 v8, 3, v87
	s_mov_b32 s18, exec_lo
	v_and_b32_sdwa v6, v85, v6 dst_sel:DWORD dst_unused:UNUSED_PAD src0_sel:BYTE_3 src1_sel:DWORD
	v_cmpx_gt_u32_e32 8, v87
; %bb.1628:                             ;   in Loop: Header=BB226_988 Depth=1
	v_ffbh_u32_e32 v8, v6
	v_min_u32_e32 v8, 32, v8
	v_subrev_nc_u32_e32 v10, 28, v8
	v_sub_nc_u32_e32 v8, 29, v8
	v_lshlrev_b64 v[10:11], v10, v[6:7]
	v_and_b32_e32 v6, 7, v10
; %bb.1629:                             ;   in Loop: Header=BB226_988 Depth=1
	s_or_b32 exec_lo, exec_lo, s18
	v_mov_b32_e32 v10, 24
	v_lshlrev_b32_e32 v6, 20, v6
	v_lshl_add_u32 v8, v8, 23, 0x3c000000
	v_lshlrev_b32_sdwa v10, v10, v85 dst_sel:DWORD dst_unused:UNUSED_PAD src0_sel:DWORD src1_sel:BYTE_3
	v_and_b32_e32 v10, 0x80000000, v10
	v_or3_b32 v11, v6, v10, v8
	v_mov_b32_e32 v10, v7
.LBB226_1630:                           ;   in Loop: Header=BB226_988 Depth=1
	s_or_b32 exec_lo, exec_lo, s15
.LBB226_1631:                           ;   in Loop: Header=BB226_988 Depth=1
	s_or_b32 exec_lo, exec_lo, s13
.LBB226_1632:                           ;   in Loop: Header=BB226_988 Depth=1
	s_or_b32 exec_lo, exec_lo, s7
	v_or_b32_e32 v6, v20, v18
	v_or_b32_e32 v8, v19, v17
	;; [unrolled: 1-line block ×4, first 2 shown]
	v_mul_f32_e32 v43, v99, v6
	v_mul_f32_e32 v119, v83, v8
	;; [unrolled: 1-line block ×4, first 2 shown]
	s_and_saveexec_b32 s7, vcc_lo
	s_cbranch_execz .LBB226_1634
; %bb.1633:                             ;   in Loop: Header=BB226_988 Depth=1
	v_cmp_lt_i32_e64 s4, v40, v26
	v_cndmask_b32_e64 v119, 0, v119, s4
	v_cmp_lt_i32_e64 s4, v42, v26
	v_cndmask_b32_e64 v43, 0, v43, s4
	;; [unrolled: 2-line block ×4, first 2 shown]
.LBB226_1634:                           ;   in Loop: Header=BB226_988 Depth=1
	s_or_b32 exec_lo, exec_lo, s7
	flat_load_dword v85, v[15:16] offset:384
	v_mov_b32_e32 v19, 0
	v_mov_b32_e32 v17, 0
	;; [unrolled: 1-line block ×4, first 2 shown]
	s_waitcnt vmcnt(0) lgkmcnt(0)
	v_cmp_ne_u16_sdwa s4, v85, v7 src0_sel:BYTE_0 src1_sel:DWORD
	s_and_saveexec_b32 s7, s4
	s_cbranch_execz .LBB226_1642
; %bb.1635:                             ;   in Loop: Header=BB226_988 Depth=1
	v_bfrev_b32_e32 v17, 1
	v_mov_b32_e32 v18, 0
	v_cmp_ne_u16_sdwa s4, v85, v84 src0_sel:BYTE_0 src1_sel:DWORD
	s_and_saveexec_b32 s13, s4
	s_cbranch_execz .LBB226_1641
; %bb.1636:                             ;   in Loop: Header=BB226_988 Depth=1
	v_mov_b32_e32 v17, 0x7f800001
	v_and_b32_e32 v10, 0x7f, v85
	v_mov_b32_e32 v18, 0
	s_mov_b32 s15, exec_lo
	v_cmpx_ne_u32_e32 0x7f, v10
	s_cbranch_execz .LBB226_1640
; %bb.1637:                             ;   in Loop: Header=BB226_988 Depth=1
	v_and_b32_e32 v6, 7, v85
	v_lshrrev_b32_e32 v8, 3, v10
	s_mov_b32 s18, exec_lo
	v_cmpx_gt_u32_e32 8, v10
; %bb.1638:                             ;   in Loop: Header=BB226_988 Depth=1
	v_ffbh_u32_e32 v8, v6
	v_min_u32_e32 v8, 32, v8
	v_subrev_nc_u32_e32 v10, 28, v8
	v_sub_nc_u32_e32 v8, 29, v8
	v_lshlrev_b64 v[10:11], v10, v[6:7]
	v_and_b32_e32 v6, 7, v10
; %bb.1639:                             ;   in Loop: Header=BB226_988 Depth=1
	s_or_b32 exec_lo, exec_lo, s18
	v_lshlrev_b32_e32 v10, 24, v85
	v_lshlrev_b32_e32 v6, 20, v6
	v_lshl_add_u32 v8, v8, 23, 0x3c000000
	v_and_b32_e32 v10, 0x80000000, v10
	v_or3_b32 v6, v6, v10, v8
	v_mov_b32_e32 v18, v7
	v_mov_b32_e32 v17, v6
.LBB226_1640:                           ;   in Loop: Header=BB226_988 Depth=1
	s_or_b32 exec_lo, exec_lo, s15
.LBB226_1641:                           ;   in Loop: Header=BB226_988 Depth=1
	s_or_b32 exec_lo, exec_lo, s13
.LBB226_1642:                           ;   in Loop: Header=BB226_988 Depth=1
	s_or_b32 exec_lo, exec_lo, s7
	v_cmp_ne_u16_sdwa s4, v85, v7 src0_sel:BYTE_1 src1_sel:DWORD
	s_and_saveexec_b32 s7, s4
	s_cbranch_execz .LBB226_1650
; %bb.1643:                             ;   in Loop: Header=BB226_988 Depth=1
	v_mov_b32_e32 v8, v7
	v_mov_b32_e32 v20, v9
	v_cmp_ne_u16_sdwa s4, v85, v84 src0_sel:BYTE_1 src1_sel:DWORD
	v_mov_b32_e32 v19, v8
	s_and_saveexec_b32 s13, s4
	s_cbranch_execz .LBB226_1649
; %bb.1644:                             ;   in Loop: Header=BB226_988 Depth=1
	v_and_b32_sdwa v6, v120, v85 dst_sel:DWORD dst_unused:UNUSED_PAD src0_sel:DWORD src1_sel:BYTE_1
	v_mov_b32_e32 v11, v7
	v_mov_b32_e32 v20, v12
	s_mov_b32 s15, exec_lo
	v_and_b32_e32 v10, 0x7f, v6
	v_mov_b32_e32 v19, v11
	v_cmpx_ne_u32_e32 0x7f, v10
	s_cbranch_execz .LBB226_1648
; %bb.1645:                             ;   in Loop: Header=BB226_988 Depth=1
	v_and_b32_e32 v6, 7, v6
	v_lshrrev_b32_e32 v8, 3, v10
	s_mov_b32 s18, exec_lo
	v_cmpx_gt_u32_e32 8, v10
; %bb.1646:                             ;   in Loop: Header=BB226_988 Depth=1
	v_ffbh_u32_e32 v8, v6
	v_min_u32_e32 v8, 32, v8
	v_subrev_nc_u32_e32 v10, 28, v8
	v_sub_nc_u32_e32 v8, 29, v8
	v_lshlrev_b64 v[10:11], v10, v[6:7]
	v_and_b32_e32 v6, 7, v10
; %bb.1647:                             ;   in Loop: Header=BB226_988 Depth=1
	s_or_b32 exec_lo, exec_lo, s18
	v_lshlrev_b32_e32 v10, 16, v85
	v_lshlrev_b32_e32 v6, 20, v6
	v_lshl_add_u32 v8, v8, 23, 0x3c000000
	v_mov_b32_e32 v19, v7
	v_and_b32_e32 v10, 0x80000000, v10
	v_or3_b32 v20, v6, v10, v8
.LBB226_1648:                           ;   in Loop: Header=BB226_988 Depth=1
	s_or_b32 exec_lo, exec_lo, s15
.LBB226_1649:                           ;   in Loop: Header=BB226_988 Depth=1
	s_or_b32 exec_lo, exec_lo, s13
.LBB226_1650:                           ;   in Loop: Header=BB226_988 Depth=1
	s_or_b32 exec_lo, exec_lo, s7
	v_mov_b32_e32 v10, 0
	v_mov_b32_e32 v21, 0
	v_and_b32_sdwa v6, v85, v86 dst_sel:DWORD dst_unused:UNUSED_PAD src0_sel:WORD_1 src1_sel:DWORD
	v_mov_b32_e32 v11, 0
	v_mov_b32_e32 v22, 0
	s_mov_b32 s7, exec_lo
	v_cmpx_ne_u16_e32 0, v6
	s_cbranch_execz .LBB226_1658
; %bb.1651:                             ;   in Loop: Header=BB226_988 Depth=1
	v_bfrev_b32_e32 v21, 1
	v_mov_b32_e32 v22, 0
	s_mov_b32 s13, exec_lo
	v_cmpx_ne_u16_e32 0x80, v6
	s_cbranch_execz .LBB226_1657
; %bb.1652:                             ;   in Loop: Header=BB226_988 Depth=1
	v_mov_b32_e32 v21, 0x7f800001
	v_bfe_u32 v87, v85, 16, 7
	v_mov_b32_e32 v22, 0
	s_mov_b32 s15, exec_lo
	v_cmpx_ne_u32_e32 0x7f, v87
	s_cbranch_execz .LBB226_1656
; %bb.1653:                             ;   in Loop: Header=BB226_988 Depth=1
	v_mov_b32_e32 v6, 7
	v_lshrrev_b32_e32 v8, 3, v87
	s_mov_b32 s18, exec_lo
	v_and_b32_sdwa v6, v85, v6 dst_sel:DWORD dst_unused:UNUSED_PAD src0_sel:WORD_1 src1_sel:DWORD
	v_cmpx_gt_u32_e32 8, v87
; %bb.1654:                             ;   in Loop: Header=BB226_988 Depth=1
	v_ffbh_u32_e32 v8, v6
	v_min_u32_e32 v8, 32, v8
	v_subrev_nc_u32_e32 v21, 28, v8
	v_sub_nc_u32_e32 v8, 29, v8
	v_lshlrev_b64 v[21:22], v21, v[6:7]
	v_and_b32_e32 v6, 7, v21
; %bb.1655:                             ;   in Loop: Header=BB226_988 Depth=1
	s_or_b32 exec_lo, exec_lo, s18
	v_mov_b32_e32 v21, 24
	v_lshlrev_b32_e32 v6, 20, v6
	v_lshl_add_u32 v8, v8, 23, 0x3c000000
	v_lshlrev_b32_sdwa v21, v21, v85 dst_sel:DWORD dst_unused:UNUSED_PAD src0_sel:DWORD src1_sel:WORD_1
	v_and_b32_e32 v21, 0x80000000, v21
	v_or3_b32 v6, v6, v21, v8
	v_mov_b32_e32 v22, v7
	v_mov_b32_e32 v21, v6
.LBB226_1656:                           ;   in Loop: Header=BB226_988 Depth=1
	s_or_b32 exec_lo, exec_lo, s15
.LBB226_1657:                           ;   in Loop: Header=BB226_988 Depth=1
	s_or_b32 exec_lo, exec_lo, s13
.LBB226_1658:                           ;   in Loop: Header=BB226_988 Depth=1
	s_or_b32 exec_lo, exec_lo, s7
	s_mov_b32 s7, exec_lo
	v_cmpx_lt_u32_e32 0xffffff, v85
	s_cbranch_execz .LBB226_1666
; %bb.1659:                             ;   in Loop: Header=BB226_988 Depth=1
	v_mov_b32_e32 v8, v7
	v_mov_b32_e32 v11, v9
	v_cmp_ne_u32_sdwa s4, v85, v84 src0_sel:BYTE_3 src1_sel:DWORD
	v_mov_b32_e32 v10, v8
	s_and_saveexec_b32 s13, s4
	s_cbranch_execz .LBB226_1665
; %bb.1660:                             ;   in Loop: Header=BB226_988 Depth=1
	v_mov_b32_e32 v11, v7
	v_bfe_u32 v87, v85, 24, 7
	s_mov_b32 s15, exec_lo
	v_mov_b32_e32 v10, v11
	v_mov_b32_e32 v11, v12
	v_cmpx_ne_u32_e32 0x7f, v87
	s_cbranch_execz .LBB226_1664
; %bb.1661:                             ;   in Loop: Header=BB226_988 Depth=1
	v_mov_b32_e32 v6, 7
	v_lshrrev_b32_e32 v8, 3, v87
	s_mov_b32 s18, exec_lo
	v_and_b32_sdwa v6, v85, v6 dst_sel:DWORD dst_unused:UNUSED_PAD src0_sel:BYTE_3 src1_sel:DWORD
	v_cmpx_gt_u32_e32 8, v87
; %bb.1662:                             ;   in Loop: Header=BB226_988 Depth=1
	v_ffbh_u32_e32 v8, v6
	v_min_u32_e32 v8, 32, v8
	v_subrev_nc_u32_e32 v10, 28, v8
	v_sub_nc_u32_e32 v8, 29, v8
	v_lshlrev_b64 v[10:11], v10, v[6:7]
	v_and_b32_e32 v6, 7, v10
; %bb.1663:                             ;   in Loop: Header=BB226_988 Depth=1
	s_or_b32 exec_lo, exec_lo, s18
	v_mov_b32_e32 v10, 24
	v_lshlrev_b32_e32 v6, 20, v6
	v_lshl_add_u32 v8, v8, 23, 0x3c000000
	v_lshlrev_b32_sdwa v10, v10, v85 dst_sel:DWORD dst_unused:UNUSED_PAD src0_sel:DWORD src1_sel:BYTE_3
	v_and_b32_e32 v10, 0x80000000, v10
	v_or3_b32 v11, v6, v10, v8
	v_mov_b32_e32 v10, v7
.LBB226_1664:                           ;   in Loop: Header=BB226_988 Depth=1
	s_or_b32 exec_lo, exec_lo, s15
.LBB226_1665:                           ;   in Loop: Header=BB226_988 Depth=1
	s_or_b32 exec_lo, exec_lo, s13
.LBB226_1666:                           ;   in Loop: Header=BB226_988 Depth=1
	s_or_b32 exec_lo, exec_lo, s7
	v_or_b32_e32 v6, v20, v18
	v_or_b32_e32 v8, v19, v17
	;; [unrolled: 1-line block ×4, first 2 shown]
	v_mul_f32_e32 v47, v99, v6
	v_mul_f32_e32 v46, v83, v8
	;; [unrolled: 1-line block ×4, first 2 shown]
	s_and_saveexec_b32 s7, vcc_lo
	s_cbranch_execz .LBB226_1668
; %bb.1667:                             ;   in Loop: Header=BB226_988 Depth=1
	v_cmp_lt_i32_e64 s4, v40, v26
	v_cndmask_b32_e64 v46, 0, v46, s4
	v_cmp_lt_i32_e64 s4, v42, v26
	v_cndmask_b32_e64 v47, 0, v47, s4
	;; [unrolled: 2-line block ×4, first 2 shown]
.LBB226_1668:                           ;   in Loop: Header=BB226_988 Depth=1
	s_or_b32 exec_lo, exec_lo, s7
	flat_load_dword v85, v[15:16] offset:512
	v_mov_b32_e32 v19, 0
	v_mov_b32_e32 v17, 0
	;; [unrolled: 1-line block ×4, first 2 shown]
	s_waitcnt vmcnt(0) lgkmcnt(0)
	v_cmp_ne_u16_sdwa s4, v85, v7 src0_sel:BYTE_0 src1_sel:DWORD
	s_and_saveexec_b32 s7, s4
	s_cbranch_execz .LBB226_1676
; %bb.1669:                             ;   in Loop: Header=BB226_988 Depth=1
	v_bfrev_b32_e32 v17, 1
	v_mov_b32_e32 v18, 0
	v_cmp_ne_u16_sdwa s4, v85, v84 src0_sel:BYTE_0 src1_sel:DWORD
	s_and_saveexec_b32 s13, s4
	s_cbranch_execz .LBB226_1675
; %bb.1670:                             ;   in Loop: Header=BB226_988 Depth=1
	v_mov_b32_e32 v17, 0x7f800001
	v_and_b32_e32 v10, 0x7f, v85
	v_mov_b32_e32 v18, 0
	s_mov_b32 s15, exec_lo
	v_cmpx_ne_u32_e32 0x7f, v10
	s_cbranch_execz .LBB226_1674
; %bb.1671:                             ;   in Loop: Header=BB226_988 Depth=1
	v_and_b32_e32 v6, 7, v85
	v_lshrrev_b32_e32 v8, 3, v10
	s_mov_b32 s18, exec_lo
	v_cmpx_gt_u32_e32 8, v10
; %bb.1672:                             ;   in Loop: Header=BB226_988 Depth=1
	v_ffbh_u32_e32 v8, v6
	v_min_u32_e32 v8, 32, v8
	v_subrev_nc_u32_e32 v10, 28, v8
	v_sub_nc_u32_e32 v8, 29, v8
	v_lshlrev_b64 v[10:11], v10, v[6:7]
	v_and_b32_e32 v6, 7, v10
; %bb.1673:                             ;   in Loop: Header=BB226_988 Depth=1
	s_or_b32 exec_lo, exec_lo, s18
	v_lshlrev_b32_e32 v10, 24, v85
	v_lshlrev_b32_e32 v6, 20, v6
	v_lshl_add_u32 v8, v8, 23, 0x3c000000
	v_and_b32_e32 v10, 0x80000000, v10
	v_or3_b32 v6, v6, v10, v8
	v_mov_b32_e32 v18, v7
	v_mov_b32_e32 v17, v6
.LBB226_1674:                           ;   in Loop: Header=BB226_988 Depth=1
	s_or_b32 exec_lo, exec_lo, s15
.LBB226_1675:                           ;   in Loop: Header=BB226_988 Depth=1
	s_or_b32 exec_lo, exec_lo, s13
.LBB226_1676:                           ;   in Loop: Header=BB226_988 Depth=1
	s_or_b32 exec_lo, exec_lo, s7
	v_cmp_ne_u16_sdwa s4, v85, v7 src0_sel:BYTE_1 src1_sel:DWORD
	s_and_saveexec_b32 s7, s4
	s_cbranch_execz .LBB226_1684
; %bb.1677:                             ;   in Loop: Header=BB226_988 Depth=1
	v_mov_b32_e32 v8, v7
	v_mov_b32_e32 v20, v9
	v_cmp_ne_u16_sdwa s4, v85, v84 src0_sel:BYTE_1 src1_sel:DWORD
	v_mov_b32_e32 v19, v8
	s_and_saveexec_b32 s13, s4
	s_cbranch_execz .LBB226_1683
; %bb.1678:                             ;   in Loop: Header=BB226_988 Depth=1
	v_and_b32_sdwa v6, v120, v85 dst_sel:DWORD dst_unused:UNUSED_PAD src0_sel:DWORD src1_sel:BYTE_1
	v_mov_b32_e32 v11, v7
	v_mov_b32_e32 v20, v12
	s_mov_b32 s15, exec_lo
	v_and_b32_e32 v10, 0x7f, v6
	v_mov_b32_e32 v19, v11
	v_cmpx_ne_u32_e32 0x7f, v10
	s_cbranch_execz .LBB226_1682
; %bb.1679:                             ;   in Loop: Header=BB226_988 Depth=1
	v_and_b32_e32 v6, 7, v6
	v_lshrrev_b32_e32 v8, 3, v10
	s_mov_b32 s18, exec_lo
	v_cmpx_gt_u32_e32 8, v10
; %bb.1680:                             ;   in Loop: Header=BB226_988 Depth=1
	v_ffbh_u32_e32 v8, v6
	v_min_u32_e32 v8, 32, v8
	v_subrev_nc_u32_e32 v10, 28, v8
	v_sub_nc_u32_e32 v8, 29, v8
	v_lshlrev_b64 v[10:11], v10, v[6:7]
	v_and_b32_e32 v6, 7, v10
; %bb.1681:                             ;   in Loop: Header=BB226_988 Depth=1
	s_or_b32 exec_lo, exec_lo, s18
	v_lshlrev_b32_e32 v10, 16, v85
	v_lshlrev_b32_e32 v6, 20, v6
	v_lshl_add_u32 v8, v8, 23, 0x3c000000
	v_mov_b32_e32 v19, v7
	v_and_b32_e32 v10, 0x80000000, v10
	v_or3_b32 v20, v6, v10, v8
.LBB226_1682:                           ;   in Loop: Header=BB226_988 Depth=1
	s_or_b32 exec_lo, exec_lo, s15
.LBB226_1683:                           ;   in Loop: Header=BB226_988 Depth=1
	s_or_b32 exec_lo, exec_lo, s13
.LBB226_1684:                           ;   in Loop: Header=BB226_988 Depth=1
	s_or_b32 exec_lo, exec_lo, s7
	v_mov_b32_e32 v10, 0
	v_mov_b32_e32 v21, 0
	v_and_b32_sdwa v6, v85, v86 dst_sel:DWORD dst_unused:UNUSED_PAD src0_sel:WORD_1 src1_sel:DWORD
	v_mov_b32_e32 v11, 0
	v_mov_b32_e32 v22, 0
	s_mov_b32 s7, exec_lo
	v_cmpx_ne_u16_e32 0, v6
	s_cbranch_execz .LBB226_1692
; %bb.1685:                             ;   in Loop: Header=BB226_988 Depth=1
	v_bfrev_b32_e32 v21, 1
	v_mov_b32_e32 v22, 0
	s_mov_b32 s13, exec_lo
	v_cmpx_ne_u16_e32 0x80, v6
	s_cbranch_execz .LBB226_1691
; %bb.1686:                             ;   in Loop: Header=BB226_988 Depth=1
	v_mov_b32_e32 v21, 0x7f800001
	v_bfe_u32 v87, v85, 16, 7
	v_mov_b32_e32 v22, 0
	s_mov_b32 s15, exec_lo
	v_cmpx_ne_u32_e32 0x7f, v87
	s_cbranch_execz .LBB226_1690
; %bb.1687:                             ;   in Loop: Header=BB226_988 Depth=1
	v_mov_b32_e32 v6, 7
	v_lshrrev_b32_e32 v8, 3, v87
	s_mov_b32 s18, exec_lo
	v_and_b32_sdwa v6, v85, v6 dst_sel:DWORD dst_unused:UNUSED_PAD src0_sel:WORD_1 src1_sel:DWORD
	v_cmpx_gt_u32_e32 8, v87
; %bb.1688:                             ;   in Loop: Header=BB226_988 Depth=1
	v_ffbh_u32_e32 v8, v6
	v_min_u32_e32 v8, 32, v8
	v_subrev_nc_u32_e32 v21, 28, v8
	v_sub_nc_u32_e32 v8, 29, v8
	v_lshlrev_b64 v[21:22], v21, v[6:7]
	v_and_b32_e32 v6, 7, v21
; %bb.1689:                             ;   in Loop: Header=BB226_988 Depth=1
	s_or_b32 exec_lo, exec_lo, s18
	v_mov_b32_e32 v21, 24
	v_lshlrev_b32_e32 v6, 20, v6
	v_lshl_add_u32 v8, v8, 23, 0x3c000000
	v_lshlrev_b32_sdwa v21, v21, v85 dst_sel:DWORD dst_unused:UNUSED_PAD src0_sel:DWORD src1_sel:WORD_1
	v_and_b32_e32 v21, 0x80000000, v21
	v_or3_b32 v6, v6, v21, v8
	v_mov_b32_e32 v22, v7
	v_mov_b32_e32 v21, v6
.LBB226_1690:                           ;   in Loop: Header=BB226_988 Depth=1
	s_or_b32 exec_lo, exec_lo, s15
.LBB226_1691:                           ;   in Loop: Header=BB226_988 Depth=1
	s_or_b32 exec_lo, exec_lo, s13
.LBB226_1692:                           ;   in Loop: Header=BB226_988 Depth=1
	s_or_b32 exec_lo, exec_lo, s7
	s_mov_b32 s7, exec_lo
	v_cmpx_lt_u32_e32 0xffffff, v85
	s_cbranch_execz .LBB226_1700
; %bb.1693:                             ;   in Loop: Header=BB226_988 Depth=1
	v_mov_b32_e32 v8, v7
	v_mov_b32_e32 v11, v9
	v_cmp_ne_u32_sdwa s4, v85, v84 src0_sel:BYTE_3 src1_sel:DWORD
	v_mov_b32_e32 v10, v8
	s_and_saveexec_b32 s13, s4
	s_cbranch_execz .LBB226_1699
; %bb.1694:                             ;   in Loop: Header=BB226_988 Depth=1
	v_mov_b32_e32 v11, v7
	v_bfe_u32 v87, v85, 24, 7
	s_mov_b32 s15, exec_lo
	v_mov_b32_e32 v10, v11
	v_mov_b32_e32 v11, v12
	v_cmpx_ne_u32_e32 0x7f, v87
	s_cbranch_execz .LBB226_1698
; %bb.1695:                             ;   in Loop: Header=BB226_988 Depth=1
	v_mov_b32_e32 v6, 7
	v_lshrrev_b32_e32 v8, 3, v87
	s_mov_b32 s18, exec_lo
	v_and_b32_sdwa v6, v85, v6 dst_sel:DWORD dst_unused:UNUSED_PAD src0_sel:BYTE_3 src1_sel:DWORD
	v_cmpx_gt_u32_e32 8, v87
; %bb.1696:                             ;   in Loop: Header=BB226_988 Depth=1
	v_ffbh_u32_e32 v8, v6
	v_min_u32_e32 v8, 32, v8
	v_subrev_nc_u32_e32 v10, 28, v8
	v_sub_nc_u32_e32 v8, 29, v8
	v_lshlrev_b64 v[10:11], v10, v[6:7]
	v_and_b32_e32 v6, 7, v10
; %bb.1697:                             ;   in Loop: Header=BB226_988 Depth=1
	s_or_b32 exec_lo, exec_lo, s18
	v_mov_b32_e32 v10, 24
	v_lshlrev_b32_e32 v6, 20, v6
	v_lshl_add_u32 v8, v8, 23, 0x3c000000
	v_lshlrev_b32_sdwa v10, v10, v85 dst_sel:DWORD dst_unused:UNUSED_PAD src0_sel:DWORD src1_sel:BYTE_3
	v_and_b32_e32 v10, 0x80000000, v10
	v_or3_b32 v11, v6, v10, v8
	v_mov_b32_e32 v10, v7
.LBB226_1698:                           ;   in Loop: Header=BB226_988 Depth=1
	s_or_b32 exec_lo, exec_lo, s15
.LBB226_1699:                           ;   in Loop: Header=BB226_988 Depth=1
	s_or_b32 exec_lo, exec_lo, s13
.LBB226_1700:                           ;   in Loop: Header=BB226_988 Depth=1
	s_or_b32 exec_lo, exec_lo, s7
	v_or_b32_e32 v6, v20, v18
	v_or_b32_e32 v8, v19, v17
	;; [unrolled: 1-line block ×4, first 2 shown]
	v_mul_f32_e32 v85, v99, v6
	v_mul_f32_e32 v58, v83, v8
	;; [unrolled: 1-line block ×4, first 2 shown]
	s_and_saveexec_b32 s7, vcc_lo
	s_cbranch_execz .LBB226_1702
; %bb.1701:                             ;   in Loop: Header=BB226_988 Depth=1
	v_cmp_lt_i32_e64 s4, v40, v26
	v_cndmask_b32_e64 v58, 0, v58, s4
	v_cmp_lt_i32_e64 s4, v42, v26
	v_cndmask_b32_e64 v85, 0, v85, s4
	;; [unrolled: 2-line block ×4, first 2 shown]
.LBB226_1702:                           ;   in Loop: Header=BB226_988 Depth=1
	s_or_b32 exec_lo, exec_lo, s7
	flat_load_dword v87, v[15:16] offset:640
	v_mov_b32_e32 v19, 0
	v_mov_b32_e32 v17, 0
	;; [unrolled: 1-line block ×4, first 2 shown]
	s_waitcnt vmcnt(0) lgkmcnt(0)
	v_cmp_ne_u16_sdwa s4, v87, v7 src0_sel:BYTE_0 src1_sel:DWORD
	s_and_saveexec_b32 s7, s4
	s_cbranch_execz .LBB226_1710
; %bb.1703:                             ;   in Loop: Header=BB226_988 Depth=1
	v_bfrev_b32_e32 v17, 1
	v_mov_b32_e32 v18, 0
	v_cmp_ne_u16_sdwa s4, v87, v84 src0_sel:BYTE_0 src1_sel:DWORD
	s_and_saveexec_b32 s13, s4
	s_cbranch_execz .LBB226_1709
; %bb.1704:                             ;   in Loop: Header=BB226_988 Depth=1
	v_mov_b32_e32 v17, 0x7f800001
	v_and_b32_e32 v10, 0x7f, v87
	v_mov_b32_e32 v18, 0
	s_mov_b32 s15, exec_lo
	v_cmpx_ne_u32_e32 0x7f, v10
	s_cbranch_execz .LBB226_1708
; %bb.1705:                             ;   in Loop: Header=BB226_988 Depth=1
	v_and_b32_e32 v6, 7, v87
	v_lshrrev_b32_e32 v8, 3, v10
	s_mov_b32 s18, exec_lo
	v_cmpx_gt_u32_e32 8, v10
; %bb.1706:                             ;   in Loop: Header=BB226_988 Depth=1
	v_ffbh_u32_e32 v8, v6
	v_min_u32_e32 v8, 32, v8
	v_subrev_nc_u32_e32 v10, 28, v8
	v_sub_nc_u32_e32 v8, 29, v8
	v_lshlrev_b64 v[10:11], v10, v[6:7]
	v_and_b32_e32 v6, 7, v10
; %bb.1707:                             ;   in Loop: Header=BB226_988 Depth=1
	s_or_b32 exec_lo, exec_lo, s18
	v_lshlrev_b32_e32 v10, 24, v87
	v_lshlrev_b32_e32 v6, 20, v6
	v_lshl_add_u32 v8, v8, 23, 0x3c000000
	v_and_b32_e32 v10, 0x80000000, v10
	v_or3_b32 v6, v6, v10, v8
	v_mov_b32_e32 v18, v7
	v_mov_b32_e32 v17, v6
.LBB226_1708:                           ;   in Loop: Header=BB226_988 Depth=1
	s_or_b32 exec_lo, exec_lo, s15
.LBB226_1709:                           ;   in Loop: Header=BB226_988 Depth=1
	s_or_b32 exec_lo, exec_lo, s13
.LBB226_1710:                           ;   in Loop: Header=BB226_988 Depth=1
	s_or_b32 exec_lo, exec_lo, s7
	v_cmp_ne_u16_sdwa s4, v87, v7 src0_sel:BYTE_1 src1_sel:DWORD
	s_and_saveexec_b32 s7, s4
	s_cbranch_execz .LBB226_1718
; %bb.1711:                             ;   in Loop: Header=BB226_988 Depth=1
	v_mov_b32_e32 v8, v7
	v_mov_b32_e32 v20, v9
	v_cmp_ne_u16_sdwa s4, v87, v84 src0_sel:BYTE_1 src1_sel:DWORD
	v_mov_b32_e32 v19, v8
	s_and_saveexec_b32 s13, s4
	s_cbranch_execz .LBB226_1717
; %bb.1712:                             ;   in Loop: Header=BB226_988 Depth=1
	v_and_b32_sdwa v6, v120, v87 dst_sel:DWORD dst_unused:UNUSED_PAD src0_sel:DWORD src1_sel:BYTE_1
	v_mov_b32_e32 v11, v7
	v_mov_b32_e32 v20, v12
	s_mov_b32 s15, exec_lo
	v_and_b32_e32 v10, 0x7f, v6
	v_mov_b32_e32 v19, v11
	v_cmpx_ne_u32_e32 0x7f, v10
	s_cbranch_execz .LBB226_1716
; %bb.1713:                             ;   in Loop: Header=BB226_988 Depth=1
	v_and_b32_e32 v6, 7, v6
	v_lshrrev_b32_e32 v8, 3, v10
	s_mov_b32 s18, exec_lo
	v_cmpx_gt_u32_e32 8, v10
; %bb.1714:                             ;   in Loop: Header=BB226_988 Depth=1
	v_ffbh_u32_e32 v8, v6
	v_min_u32_e32 v8, 32, v8
	v_subrev_nc_u32_e32 v10, 28, v8
	v_sub_nc_u32_e32 v8, 29, v8
	v_lshlrev_b64 v[10:11], v10, v[6:7]
	v_and_b32_e32 v6, 7, v10
; %bb.1715:                             ;   in Loop: Header=BB226_988 Depth=1
	s_or_b32 exec_lo, exec_lo, s18
	v_lshlrev_b32_e32 v10, 16, v87
	v_lshlrev_b32_e32 v6, 20, v6
	v_lshl_add_u32 v8, v8, 23, 0x3c000000
	v_mov_b32_e32 v19, v7
	v_and_b32_e32 v10, 0x80000000, v10
	v_or3_b32 v20, v6, v10, v8
.LBB226_1716:                           ;   in Loop: Header=BB226_988 Depth=1
	s_or_b32 exec_lo, exec_lo, s15
.LBB226_1717:                           ;   in Loop: Header=BB226_988 Depth=1
	s_or_b32 exec_lo, exec_lo, s13
.LBB226_1718:                           ;   in Loop: Header=BB226_988 Depth=1
	s_or_b32 exec_lo, exec_lo, s7
	v_mov_b32_e32 v10, 0
	v_mov_b32_e32 v21, 0
	v_and_b32_sdwa v6, v87, v86 dst_sel:DWORD dst_unused:UNUSED_PAD src0_sel:WORD_1 src1_sel:DWORD
	v_mov_b32_e32 v11, 0
	v_mov_b32_e32 v22, 0
	s_mov_b32 s7, exec_lo
	v_cmpx_ne_u16_e32 0, v6
	s_cbranch_execz .LBB226_1726
; %bb.1719:                             ;   in Loop: Header=BB226_988 Depth=1
	v_bfrev_b32_e32 v21, 1
	v_mov_b32_e32 v22, 0
	s_mov_b32 s13, exec_lo
	v_cmpx_ne_u16_e32 0x80, v6
	s_cbranch_execz .LBB226_1725
; %bb.1720:                             ;   in Loop: Header=BB226_988 Depth=1
	v_mov_b32_e32 v21, 0x7f800001
	v_bfe_u32 v96, v87, 16, 7
	v_mov_b32_e32 v22, 0
	s_mov_b32 s15, exec_lo
	v_cmpx_ne_u32_e32 0x7f, v96
	s_cbranch_execz .LBB226_1724
; %bb.1721:                             ;   in Loop: Header=BB226_988 Depth=1
	v_mov_b32_e32 v6, 7
	v_lshrrev_b32_e32 v8, 3, v96
	s_mov_b32 s18, exec_lo
	v_and_b32_sdwa v6, v87, v6 dst_sel:DWORD dst_unused:UNUSED_PAD src0_sel:WORD_1 src1_sel:DWORD
	v_cmpx_gt_u32_e32 8, v96
; %bb.1722:                             ;   in Loop: Header=BB226_988 Depth=1
	v_ffbh_u32_e32 v8, v6
	v_min_u32_e32 v8, 32, v8
	v_subrev_nc_u32_e32 v21, 28, v8
	v_sub_nc_u32_e32 v8, 29, v8
	v_lshlrev_b64 v[21:22], v21, v[6:7]
	v_and_b32_e32 v6, 7, v21
; %bb.1723:                             ;   in Loop: Header=BB226_988 Depth=1
	s_or_b32 exec_lo, exec_lo, s18
	v_mov_b32_e32 v21, 24
	v_lshlrev_b32_e32 v6, 20, v6
	v_lshl_add_u32 v8, v8, 23, 0x3c000000
	v_lshlrev_b32_sdwa v21, v21, v87 dst_sel:DWORD dst_unused:UNUSED_PAD src0_sel:DWORD src1_sel:WORD_1
	v_and_b32_e32 v21, 0x80000000, v21
	v_or3_b32 v6, v6, v21, v8
	v_mov_b32_e32 v22, v7
	v_mov_b32_e32 v21, v6
.LBB226_1724:                           ;   in Loop: Header=BB226_988 Depth=1
	s_or_b32 exec_lo, exec_lo, s15
.LBB226_1725:                           ;   in Loop: Header=BB226_988 Depth=1
	s_or_b32 exec_lo, exec_lo, s13
.LBB226_1726:                           ;   in Loop: Header=BB226_988 Depth=1
	s_or_b32 exec_lo, exec_lo, s7
	s_mov_b32 s7, exec_lo
	v_cmpx_lt_u32_e32 0xffffff, v87
	s_cbranch_execz .LBB226_1734
; %bb.1727:                             ;   in Loop: Header=BB226_988 Depth=1
	v_mov_b32_e32 v8, v7
	v_mov_b32_e32 v11, v9
	v_cmp_ne_u32_sdwa s4, v87, v84 src0_sel:BYTE_3 src1_sel:DWORD
	v_mov_b32_e32 v10, v8
	s_and_saveexec_b32 s13, s4
	s_cbranch_execz .LBB226_1733
; %bb.1728:                             ;   in Loop: Header=BB226_988 Depth=1
	v_mov_b32_e32 v11, v7
	v_bfe_u32 v96, v87, 24, 7
	s_mov_b32 s15, exec_lo
	v_mov_b32_e32 v10, v11
	v_mov_b32_e32 v11, v12
	v_cmpx_ne_u32_e32 0x7f, v96
	s_cbranch_execz .LBB226_1732
; %bb.1729:                             ;   in Loop: Header=BB226_988 Depth=1
	v_mov_b32_e32 v6, 7
	v_lshrrev_b32_e32 v8, 3, v96
	s_mov_b32 s18, exec_lo
	v_and_b32_sdwa v6, v87, v6 dst_sel:DWORD dst_unused:UNUSED_PAD src0_sel:BYTE_3 src1_sel:DWORD
	v_cmpx_gt_u32_e32 8, v96
; %bb.1730:                             ;   in Loop: Header=BB226_988 Depth=1
	v_ffbh_u32_e32 v8, v6
	v_min_u32_e32 v8, 32, v8
	v_subrev_nc_u32_e32 v10, 28, v8
	v_sub_nc_u32_e32 v8, 29, v8
	v_lshlrev_b64 v[10:11], v10, v[6:7]
	v_and_b32_e32 v6, 7, v10
; %bb.1731:                             ;   in Loop: Header=BB226_988 Depth=1
	s_or_b32 exec_lo, exec_lo, s18
	v_mov_b32_e32 v10, 24
	v_lshlrev_b32_e32 v6, 20, v6
	v_lshl_add_u32 v8, v8, 23, 0x3c000000
	v_lshlrev_b32_sdwa v10, v10, v87 dst_sel:DWORD dst_unused:UNUSED_PAD src0_sel:DWORD src1_sel:BYTE_3
	v_and_b32_e32 v10, 0x80000000, v10
	v_or3_b32 v11, v6, v10, v8
	v_mov_b32_e32 v10, v7
.LBB226_1732:                           ;   in Loop: Header=BB226_988 Depth=1
	s_or_b32 exec_lo, exec_lo, s15
.LBB226_1733:                           ;   in Loop: Header=BB226_988 Depth=1
	s_or_b32 exec_lo, exec_lo, s13
.LBB226_1734:                           ;   in Loop: Header=BB226_988 Depth=1
	s_or_b32 exec_lo, exec_lo, s7
	v_or_b32_e32 v6, v20, v18
	v_or_b32_e32 v8, v19, v17
	;; [unrolled: 1-line block ×4, first 2 shown]
	v_mul_f32_e32 v60, v99, v6
	v_mul_f32_e32 v59, v83, v8
	;; [unrolled: 1-line block ×4, first 2 shown]
	s_and_saveexec_b32 s7, vcc_lo
	s_cbranch_execz .LBB226_1736
; %bb.1735:                             ;   in Loop: Header=BB226_988 Depth=1
	v_cmp_lt_i32_e64 s4, v40, v26
	v_cndmask_b32_e64 v59, 0, v59, s4
	v_cmp_lt_i32_e64 s4, v42, v26
	v_cndmask_b32_e64 v60, 0, v60, s4
	v_cmp_lt_i32_e64 s4, v41, v26
	v_cndmask_b32_e64 v96, 0, v96, s4
	v_cmp_lt_i32_e64 s4, v97, v26
	v_cndmask_b32_e64 v87, 0, v87, s4
.LBB226_1736:                           ;   in Loop: Header=BB226_988 Depth=1
	s_or_b32 exec_lo, exec_lo, s7
	flat_load_dword v61, v[15:16] offset:768
	v_mov_b32_e32 v19, 0
	v_mov_b32_e32 v17, 0
	;; [unrolled: 1-line block ×4, first 2 shown]
	s_waitcnt vmcnt(0) lgkmcnt(0)
	v_cmp_ne_u16_sdwa s4, v61, v7 src0_sel:BYTE_0 src1_sel:DWORD
	s_and_saveexec_b32 s7, s4
	s_cbranch_execz .LBB226_1744
; %bb.1737:                             ;   in Loop: Header=BB226_988 Depth=1
	v_bfrev_b32_e32 v17, 1
	v_mov_b32_e32 v18, 0
	v_cmp_ne_u16_sdwa s4, v61, v84 src0_sel:BYTE_0 src1_sel:DWORD
	s_and_saveexec_b32 s13, s4
	s_cbranch_execz .LBB226_1743
; %bb.1738:                             ;   in Loop: Header=BB226_988 Depth=1
	v_mov_b32_e32 v17, 0x7f800001
	v_and_b32_e32 v10, 0x7f, v61
	v_mov_b32_e32 v18, 0
	s_mov_b32 s15, exec_lo
	v_cmpx_ne_u32_e32 0x7f, v10
	s_cbranch_execz .LBB226_1742
; %bb.1739:                             ;   in Loop: Header=BB226_988 Depth=1
	v_and_b32_e32 v6, 7, v61
	v_lshrrev_b32_e32 v8, 3, v10
	s_mov_b32 s18, exec_lo
	v_cmpx_gt_u32_e32 8, v10
; %bb.1740:                             ;   in Loop: Header=BB226_988 Depth=1
	v_ffbh_u32_e32 v8, v6
	v_min_u32_e32 v8, 32, v8
	v_subrev_nc_u32_e32 v10, 28, v8
	v_sub_nc_u32_e32 v8, 29, v8
	v_lshlrev_b64 v[10:11], v10, v[6:7]
	v_and_b32_e32 v6, 7, v10
; %bb.1741:                             ;   in Loop: Header=BB226_988 Depth=1
	s_or_b32 exec_lo, exec_lo, s18
	v_lshlrev_b32_e32 v10, 24, v61
	v_lshlrev_b32_e32 v6, 20, v6
	v_lshl_add_u32 v8, v8, 23, 0x3c000000
	v_and_b32_e32 v10, 0x80000000, v10
	v_or3_b32 v6, v6, v10, v8
	v_mov_b32_e32 v18, v7
	v_mov_b32_e32 v17, v6
.LBB226_1742:                           ;   in Loop: Header=BB226_988 Depth=1
	s_or_b32 exec_lo, exec_lo, s15
.LBB226_1743:                           ;   in Loop: Header=BB226_988 Depth=1
	s_or_b32 exec_lo, exec_lo, s13
.LBB226_1744:                           ;   in Loop: Header=BB226_988 Depth=1
	s_or_b32 exec_lo, exec_lo, s7
	v_cmp_ne_u16_sdwa s4, v61, v7 src0_sel:BYTE_1 src1_sel:DWORD
	s_and_saveexec_b32 s7, s4
	s_cbranch_execz .LBB226_1752
; %bb.1745:                             ;   in Loop: Header=BB226_988 Depth=1
	v_mov_b32_e32 v8, v7
	v_mov_b32_e32 v20, v9
	v_cmp_ne_u16_sdwa s4, v61, v84 src0_sel:BYTE_1 src1_sel:DWORD
	v_mov_b32_e32 v19, v8
	s_and_saveexec_b32 s13, s4
	s_cbranch_execz .LBB226_1751
; %bb.1746:                             ;   in Loop: Header=BB226_988 Depth=1
	v_and_b32_sdwa v6, v120, v61 dst_sel:DWORD dst_unused:UNUSED_PAD src0_sel:DWORD src1_sel:BYTE_1
	v_mov_b32_e32 v11, v7
	v_mov_b32_e32 v20, v12
	s_mov_b32 s15, exec_lo
	v_and_b32_e32 v10, 0x7f, v6
	v_mov_b32_e32 v19, v11
	v_cmpx_ne_u32_e32 0x7f, v10
	s_cbranch_execz .LBB226_1750
; %bb.1747:                             ;   in Loop: Header=BB226_988 Depth=1
	v_and_b32_e32 v6, 7, v6
	v_lshrrev_b32_e32 v8, 3, v10
	s_mov_b32 s18, exec_lo
	v_cmpx_gt_u32_e32 8, v10
; %bb.1748:                             ;   in Loop: Header=BB226_988 Depth=1
	v_ffbh_u32_e32 v8, v6
	v_min_u32_e32 v8, 32, v8
	v_subrev_nc_u32_e32 v10, 28, v8
	v_sub_nc_u32_e32 v8, 29, v8
	v_lshlrev_b64 v[10:11], v10, v[6:7]
	v_and_b32_e32 v6, 7, v10
; %bb.1749:                             ;   in Loop: Header=BB226_988 Depth=1
	s_or_b32 exec_lo, exec_lo, s18
	v_lshlrev_b32_e32 v10, 16, v61
	v_lshlrev_b32_e32 v6, 20, v6
	v_lshl_add_u32 v8, v8, 23, 0x3c000000
	v_mov_b32_e32 v19, v7
	v_and_b32_e32 v10, 0x80000000, v10
	v_or3_b32 v20, v6, v10, v8
.LBB226_1750:                           ;   in Loop: Header=BB226_988 Depth=1
	s_or_b32 exec_lo, exec_lo, s15
.LBB226_1751:                           ;   in Loop: Header=BB226_988 Depth=1
	s_or_b32 exec_lo, exec_lo, s13
.LBB226_1752:                           ;   in Loop: Header=BB226_988 Depth=1
	s_or_b32 exec_lo, exec_lo, s7
	v_mov_b32_e32 v10, 0
	v_mov_b32_e32 v21, 0
	v_and_b32_sdwa v6, v61, v86 dst_sel:DWORD dst_unused:UNUSED_PAD src0_sel:WORD_1 src1_sel:DWORD
	v_mov_b32_e32 v11, 0
	v_mov_b32_e32 v22, 0
	s_mov_b32 s7, exec_lo
	v_cmpx_ne_u16_e32 0, v6
	s_cbranch_execz .LBB226_1760
; %bb.1753:                             ;   in Loop: Header=BB226_988 Depth=1
	v_bfrev_b32_e32 v21, 1
	v_mov_b32_e32 v22, 0
	s_mov_b32 s13, exec_lo
	v_cmpx_ne_u16_e32 0x80, v6
	s_cbranch_execz .LBB226_1759
; %bb.1754:                             ;   in Loop: Header=BB226_988 Depth=1
	v_mov_b32_e32 v21, 0x7f800001
	v_bfe_u32 v62, v61, 16, 7
	v_mov_b32_e32 v22, 0
	s_mov_b32 s15, exec_lo
	v_cmpx_ne_u32_e32 0x7f, v62
	s_cbranch_execz .LBB226_1758
; %bb.1755:                             ;   in Loop: Header=BB226_988 Depth=1
	v_mov_b32_e32 v6, 7
	v_lshrrev_b32_e32 v8, 3, v62
	s_mov_b32 s18, exec_lo
	v_and_b32_sdwa v6, v61, v6 dst_sel:DWORD dst_unused:UNUSED_PAD src0_sel:WORD_1 src1_sel:DWORD
	v_cmpx_gt_u32_e32 8, v62
; %bb.1756:                             ;   in Loop: Header=BB226_988 Depth=1
	v_ffbh_u32_e32 v8, v6
	v_min_u32_e32 v8, 32, v8
	v_subrev_nc_u32_e32 v21, 28, v8
	v_sub_nc_u32_e32 v8, 29, v8
	v_lshlrev_b64 v[21:22], v21, v[6:7]
	v_and_b32_e32 v6, 7, v21
; %bb.1757:                             ;   in Loop: Header=BB226_988 Depth=1
	s_or_b32 exec_lo, exec_lo, s18
	v_mov_b32_e32 v21, 24
	v_lshlrev_b32_e32 v6, 20, v6
	v_lshl_add_u32 v8, v8, 23, 0x3c000000
	v_lshlrev_b32_sdwa v21, v21, v61 dst_sel:DWORD dst_unused:UNUSED_PAD src0_sel:DWORD src1_sel:WORD_1
	v_and_b32_e32 v21, 0x80000000, v21
	v_or3_b32 v6, v6, v21, v8
	v_mov_b32_e32 v22, v7
	v_mov_b32_e32 v21, v6
.LBB226_1758:                           ;   in Loop: Header=BB226_988 Depth=1
	s_or_b32 exec_lo, exec_lo, s15
.LBB226_1759:                           ;   in Loop: Header=BB226_988 Depth=1
	s_or_b32 exec_lo, exec_lo, s13
.LBB226_1760:                           ;   in Loop: Header=BB226_988 Depth=1
	s_or_b32 exec_lo, exec_lo, s7
	s_mov_b32 s7, exec_lo
	v_cmpx_lt_u32_e32 0xffffff, v61
	s_cbranch_execz .LBB226_1768
; %bb.1761:                             ;   in Loop: Header=BB226_988 Depth=1
	v_mov_b32_e32 v8, v7
	v_mov_b32_e32 v11, v9
	v_cmp_ne_u32_sdwa s4, v61, v84 src0_sel:BYTE_3 src1_sel:DWORD
	v_mov_b32_e32 v10, v8
	s_and_saveexec_b32 s13, s4
	s_cbranch_execz .LBB226_1767
; %bb.1762:                             ;   in Loop: Header=BB226_988 Depth=1
	v_mov_b32_e32 v11, v7
	v_bfe_u32 v62, v61, 24, 7
	s_mov_b32 s15, exec_lo
	v_mov_b32_e32 v10, v11
	v_mov_b32_e32 v11, v12
	v_cmpx_ne_u32_e32 0x7f, v62
	s_cbranch_execz .LBB226_1766
; %bb.1763:                             ;   in Loop: Header=BB226_988 Depth=1
	v_mov_b32_e32 v6, 7
	v_lshrrev_b32_e32 v8, 3, v62
	s_mov_b32 s18, exec_lo
	v_and_b32_sdwa v6, v61, v6 dst_sel:DWORD dst_unused:UNUSED_PAD src0_sel:BYTE_3 src1_sel:DWORD
	v_cmpx_gt_u32_e32 8, v62
; %bb.1764:                             ;   in Loop: Header=BB226_988 Depth=1
	v_ffbh_u32_e32 v8, v6
	v_min_u32_e32 v8, 32, v8
	v_subrev_nc_u32_e32 v10, 28, v8
	v_sub_nc_u32_e32 v8, 29, v8
	v_lshlrev_b64 v[10:11], v10, v[6:7]
	v_and_b32_e32 v6, 7, v10
; %bb.1765:                             ;   in Loop: Header=BB226_988 Depth=1
	s_or_b32 exec_lo, exec_lo, s18
	v_mov_b32_e32 v10, 24
	v_lshlrev_b32_e32 v6, 20, v6
	v_lshl_add_u32 v8, v8, 23, 0x3c000000
	v_lshlrev_b32_sdwa v10, v10, v61 dst_sel:DWORD dst_unused:UNUSED_PAD src0_sel:DWORD src1_sel:BYTE_3
	v_and_b32_e32 v10, 0x80000000, v10
	v_or3_b32 v11, v6, v10, v8
	v_mov_b32_e32 v10, v7
.LBB226_1766:                           ;   in Loop: Header=BB226_988 Depth=1
	s_or_b32 exec_lo, exec_lo, s15
.LBB226_1767:                           ;   in Loop: Header=BB226_988 Depth=1
	s_or_b32 exec_lo, exec_lo, s13
.LBB226_1768:                           ;   in Loop: Header=BB226_988 Depth=1
	s_or_b32 exec_lo, exec_lo, s7
	v_or_b32_e32 v6, v20, v18
	v_or_b32_e32 v8, v19, v17
	;; [unrolled: 1-line block ×4, first 2 shown]
	v_mul_f32_e32 v72, v99, v6
	v_mul_f32_e32 v63, v83, v8
	;; [unrolled: 1-line block ×4, first 2 shown]
	s_and_saveexec_b32 s7, vcc_lo
	s_cbranch_execz .LBB226_1770
; %bb.1769:                             ;   in Loop: Header=BB226_988 Depth=1
	v_cmp_lt_i32_e64 s4, v40, v26
	v_cndmask_b32_e64 v63, 0, v63, s4
	v_cmp_lt_i32_e64 s4, v42, v26
	v_cndmask_b32_e64 v72, 0, v72, s4
	;; [unrolled: 2-line block ×4, first 2 shown]
.LBB226_1770:                           ;   in Loop: Header=BB226_988 Depth=1
	s_or_b32 exec_lo, exec_lo, s7
	flat_load_dword v73, v[15:16] offset:896
	v_mov_b32_e32 v19, 0
	v_mov_b32_e32 v17, 0
	;; [unrolled: 1-line block ×4, first 2 shown]
	s_waitcnt vmcnt(0) lgkmcnt(0)
	v_cmp_ne_u16_sdwa s4, v73, v7 src0_sel:BYTE_0 src1_sel:DWORD
	s_and_saveexec_b32 s7, s4
	s_cbranch_execz .LBB226_1778
; %bb.1771:                             ;   in Loop: Header=BB226_988 Depth=1
	v_bfrev_b32_e32 v17, 1
	v_mov_b32_e32 v18, 0
	v_cmp_ne_u16_sdwa s4, v73, v84 src0_sel:BYTE_0 src1_sel:DWORD
	s_and_saveexec_b32 s13, s4
	s_cbranch_execz .LBB226_1777
; %bb.1772:                             ;   in Loop: Header=BB226_988 Depth=1
	v_mov_b32_e32 v17, 0x7f800001
	v_and_b32_e32 v10, 0x7f, v73
	v_mov_b32_e32 v18, 0
	s_mov_b32 s15, exec_lo
	v_cmpx_ne_u32_e32 0x7f, v10
	s_cbranch_execz .LBB226_1776
; %bb.1773:                             ;   in Loop: Header=BB226_988 Depth=1
	v_and_b32_e32 v6, 7, v73
	v_lshrrev_b32_e32 v8, 3, v10
	s_mov_b32 s18, exec_lo
	v_cmpx_gt_u32_e32 8, v10
; %bb.1774:                             ;   in Loop: Header=BB226_988 Depth=1
	v_ffbh_u32_e32 v8, v6
	v_min_u32_e32 v8, 32, v8
	v_subrev_nc_u32_e32 v10, 28, v8
	v_sub_nc_u32_e32 v8, 29, v8
	v_lshlrev_b64 v[10:11], v10, v[6:7]
	v_and_b32_e32 v6, 7, v10
; %bb.1775:                             ;   in Loop: Header=BB226_988 Depth=1
	s_or_b32 exec_lo, exec_lo, s18
	v_lshlrev_b32_e32 v10, 24, v73
	v_lshlrev_b32_e32 v6, 20, v6
	v_lshl_add_u32 v8, v8, 23, 0x3c000000
	v_and_b32_e32 v10, 0x80000000, v10
	v_or3_b32 v6, v6, v10, v8
	v_mov_b32_e32 v18, v7
	v_mov_b32_e32 v17, v6
.LBB226_1776:                           ;   in Loop: Header=BB226_988 Depth=1
	s_or_b32 exec_lo, exec_lo, s15
.LBB226_1777:                           ;   in Loop: Header=BB226_988 Depth=1
	s_or_b32 exec_lo, exec_lo, s13
.LBB226_1778:                           ;   in Loop: Header=BB226_988 Depth=1
	s_or_b32 exec_lo, exec_lo, s7
	v_cmp_ne_u16_sdwa s4, v73, v7 src0_sel:BYTE_1 src1_sel:DWORD
	s_and_saveexec_b32 s7, s4
	s_cbranch_execz .LBB226_1786
; %bb.1779:                             ;   in Loop: Header=BB226_988 Depth=1
	v_mov_b32_e32 v8, v7
	v_mov_b32_e32 v20, v9
	v_cmp_ne_u16_sdwa s4, v73, v84 src0_sel:BYTE_1 src1_sel:DWORD
	v_mov_b32_e32 v19, v8
	s_and_saveexec_b32 s13, s4
	s_cbranch_execz .LBB226_1785
; %bb.1780:                             ;   in Loop: Header=BB226_988 Depth=1
	v_and_b32_sdwa v6, v120, v73 dst_sel:DWORD dst_unused:UNUSED_PAD src0_sel:DWORD src1_sel:BYTE_1
	v_mov_b32_e32 v11, v7
	v_mov_b32_e32 v20, v12
	s_mov_b32 s15, exec_lo
	v_and_b32_e32 v10, 0x7f, v6
	v_mov_b32_e32 v19, v11
	v_cmpx_ne_u32_e32 0x7f, v10
	s_cbranch_execz .LBB226_1784
; %bb.1781:                             ;   in Loop: Header=BB226_988 Depth=1
	v_and_b32_e32 v6, 7, v6
	v_lshrrev_b32_e32 v8, 3, v10
	s_mov_b32 s18, exec_lo
	v_cmpx_gt_u32_e32 8, v10
; %bb.1782:                             ;   in Loop: Header=BB226_988 Depth=1
	v_ffbh_u32_e32 v8, v6
	v_min_u32_e32 v8, 32, v8
	v_subrev_nc_u32_e32 v10, 28, v8
	v_sub_nc_u32_e32 v8, 29, v8
	v_lshlrev_b64 v[10:11], v10, v[6:7]
	v_and_b32_e32 v6, 7, v10
; %bb.1783:                             ;   in Loop: Header=BB226_988 Depth=1
	s_or_b32 exec_lo, exec_lo, s18
	v_lshlrev_b32_e32 v10, 16, v73
	v_lshlrev_b32_e32 v6, 20, v6
	v_lshl_add_u32 v8, v8, 23, 0x3c000000
	v_mov_b32_e32 v19, v7
	v_and_b32_e32 v10, 0x80000000, v10
	v_or3_b32 v20, v6, v10, v8
.LBB226_1784:                           ;   in Loop: Header=BB226_988 Depth=1
	s_or_b32 exec_lo, exec_lo, s15
.LBB226_1785:                           ;   in Loop: Header=BB226_988 Depth=1
	s_or_b32 exec_lo, exec_lo, s13
.LBB226_1786:                           ;   in Loop: Header=BB226_988 Depth=1
	s_or_b32 exec_lo, exec_lo, s7
	v_mov_b32_e32 v10, 0
	v_mov_b32_e32 v21, 0
	v_and_b32_sdwa v6, v73, v86 dst_sel:DWORD dst_unused:UNUSED_PAD src0_sel:WORD_1 src1_sel:DWORD
	v_mov_b32_e32 v11, 0
	v_mov_b32_e32 v22, 0
	s_mov_b32 s7, exec_lo
	v_cmpx_ne_u16_e32 0, v6
	s_cbranch_execz .LBB226_1794
; %bb.1787:                             ;   in Loop: Header=BB226_988 Depth=1
	v_bfrev_b32_e32 v21, 1
	v_mov_b32_e32 v22, 0
	s_mov_b32 s13, exec_lo
	v_cmpx_ne_u16_e32 0x80, v6
	s_cbranch_execz .LBB226_1793
; %bb.1788:                             ;   in Loop: Header=BB226_988 Depth=1
	v_mov_b32_e32 v21, 0x7f800001
	v_bfe_u32 v74, v73, 16, 7
	v_mov_b32_e32 v22, 0
	s_mov_b32 s15, exec_lo
	v_cmpx_ne_u32_e32 0x7f, v74
	s_cbranch_execz .LBB226_1792
; %bb.1789:                             ;   in Loop: Header=BB226_988 Depth=1
	v_mov_b32_e32 v6, 7
	v_lshrrev_b32_e32 v8, 3, v74
	s_mov_b32 s18, exec_lo
	v_and_b32_sdwa v6, v73, v6 dst_sel:DWORD dst_unused:UNUSED_PAD src0_sel:WORD_1 src1_sel:DWORD
	v_cmpx_gt_u32_e32 8, v74
; %bb.1790:                             ;   in Loop: Header=BB226_988 Depth=1
	v_ffbh_u32_e32 v8, v6
	v_min_u32_e32 v8, 32, v8
	v_subrev_nc_u32_e32 v21, 28, v8
	v_sub_nc_u32_e32 v8, 29, v8
	v_lshlrev_b64 v[21:22], v21, v[6:7]
	v_and_b32_e32 v6, 7, v21
; %bb.1791:                             ;   in Loop: Header=BB226_988 Depth=1
	s_or_b32 exec_lo, exec_lo, s18
	v_mov_b32_e32 v21, 24
	v_lshlrev_b32_e32 v6, 20, v6
	v_lshl_add_u32 v8, v8, 23, 0x3c000000
	v_lshlrev_b32_sdwa v21, v21, v73 dst_sel:DWORD dst_unused:UNUSED_PAD src0_sel:DWORD src1_sel:WORD_1
	v_and_b32_e32 v21, 0x80000000, v21
	v_or3_b32 v6, v6, v21, v8
	v_mov_b32_e32 v22, v7
	v_mov_b32_e32 v21, v6
.LBB226_1792:                           ;   in Loop: Header=BB226_988 Depth=1
	s_or_b32 exec_lo, exec_lo, s15
.LBB226_1793:                           ;   in Loop: Header=BB226_988 Depth=1
	s_or_b32 exec_lo, exec_lo, s13
.LBB226_1794:                           ;   in Loop: Header=BB226_988 Depth=1
	s_or_b32 exec_lo, exec_lo, s7
	s_mov_b32 s7, exec_lo
	v_cmpx_lt_u32_e32 0xffffff, v73
	s_cbranch_execz .LBB226_1802
; %bb.1795:                             ;   in Loop: Header=BB226_988 Depth=1
	v_mov_b32_e32 v8, v7
	v_mov_b32_e32 v11, v9
	v_cmp_ne_u32_sdwa s4, v73, v84 src0_sel:BYTE_3 src1_sel:DWORD
	v_mov_b32_e32 v10, v8
	s_and_saveexec_b32 s13, s4
	s_cbranch_execz .LBB226_1801
; %bb.1796:                             ;   in Loop: Header=BB226_988 Depth=1
	v_mov_b32_e32 v11, v7
	v_bfe_u32 v74, v73, 24, 7
	s_mov_b32 s15, exec_lo
	v_mov_b32_e32 v10, v11
	v_mov_b32_e32 v11, v12
	v_cmpx_ne_u32_e32 0x7f, v74
	s_cbranch_execz .LBB226_1800
; %bb.1797:                             ;   in Loop: Header=BB226_988 Depth=1
	v_mov_b32_e32 v6, 7
	v_lshrrev_b32_e32 v8, 3, v74
	s_mov_b32 s18, exec_lo
	v_and_b32_sdwa v6, v73, v6 dst_sel:DWORD dst_unused:UNUSED_PAD src0_sel:BYTE_3 src1_sel:DWORD
	v_cmpx_gt_u32_e32 8, v74
; %bb.1798:                             ;   in Loop: Header=BB226_988 Depth=1
	v_ffbh_u32_e32 v8, v6
	v_min_u32_e32 v8, 32, v8
	v_subrev_nc_u32_e32 v10, 28, v8
	v_sub_nc_u32_e32 v8, 29, v8
	v_lshlrev_b64 v[10:11], v10, v[6:7]
	v_and_b32_e32 v6, 7, v10
; %bb.1799:                             ;   in Loop: Header=BB226_988 Depth=1
	s_or_b32 exec_lo, exec_lo, s18
	v_mov_b32_e32 v10, 24
	v_lshlrev_b32_e32 v6, 20, v6
	v_lshl_add_u32 v8, v8, 23, 0x3c000000
	v_lshlrev_b32_sdwa v10, v10, v73 dst_sel:DWORD dst_unused:UNUSED_PAD src0_sel:DWORD src1_sel:BYTE_3
	v_and_b32_e32 v10, 0x80000000, v10
	v_or3_b32 v11, v6, v10, v8
	v_mov_b32_e32 v10, v7
.LBB226_1800:                           ;   in Loop: Header=BB226_988 Depth=1
	s_or_b32 exec_lo, exec_lo, s15
.LBB226_1801:                           ;   in Loop: Header=BB226_988 Depth=1
	s_or_b32 exec_lo, exec_lo, s13
.LBB226_1802:                           ;   in Loop: Header=BB226_988 Depth=1
	s_or_b32 exec_lo, exec_lo, s7
	v_or_b32_e32 v6, v20, v18
	v_or_b32_e32 v8, v19, v17
	;; [unrolled: 1-line block ×4, first 2 shown]
	v_mul_f32_e32 v76, v99, v6
	v_mul_f32_e32 v75, v83, v8
	;; [unrolled: 1-line block ×4, first 2 shown]
	s_and_saveexec_b32 s7, vcc_lo
	s_cbranch_execz .LBB226_1804
; %bb.1803:                             ;   in Loop: Header=BB226_988 Depth=1
	v_cmp_lt_i32_e64 s4, v40, v26
	v_cndmask_b32_e64 v75, 0, v75, s4
	v_cmp_lt_i32_e64 s4, v42, v26
	v_cndmask_b32_e64 v76, 0, v76, s4
	v_cmp_lt_i32_e64 s4, v41, v26
	v_cndmask_b32_e64 v74, 0, v74, s4
	v_cmp_lt_i32_e64 s4, v97, v26
	v_cndmask_b32_e64 v73, 0, v73, s4
.LBB226_1804:                           ;   in Loop: Header=BB226_988 Depth=1
	s_or_b32 exec_lo, exec_lo, s7
	flat_load_dword v77, v[15:16] offset:1024
	v_mov_b32_e32 v19, 0
	v_mov_b32_e32 v17, 0
	v_mov_b32_e32 v20, 0
	v_mov_b32_e32 v18, 0
	s_waitcnt vmcnt(0) lgkmcnt(0)
	v_cmp_ne_u16_sdwa s4, v77, v7 src0_sel:BYTE_0 src1_sel:DWORD
	s_and_saveexec_b32 s7, s4
	s_cbranch_execz .LBB226_1812
; %bb.1805:                             ;   in Loop: Header=BB226_988 Depth=1
	v_bfrev_b32_e32 v17, 1
	v_mov_b32_e32 v18, 0
	v_cmp_ne_u16_sdwa s4, v77, v84 src0_sel:BYTE_0 src1_sel:DWORD
	s_and_saveexec_b32 s13, s4
	s_cbranch_execz .LBB226_1811
; %bb.1806:                             ;   in Loop: Header=BB226_988 Depth=1
	v_mov_b32_e32 v17, 0x7f800001
	v_and_b32_e32 v10, 0x7f, v77
	v_mov_b32_e32 v18, 0
	s_mov_b32 s15, exec_lo
	v_cmpx_ne_u32_e32 0x7f, v10
	s_cbranch_execz .LBB226_1810
; %bb.1807:                             ;   in Loop: Header=BB226_988 Depth=1
	v_and_b32_e32 v6, 7, v77
	v_lshrrev_b32_e32 v8, 3, v10
	s_mov_b32 s18, exec_lo
	v_cmpx_gt_u32_e32 8, v10
; %bb.1808:                             ;   in Loop: Header=BB226_988 Depth=1
	v_ffbh_u32_e32 v8, v6
	v_min_u32_e32 v8, 32, v8
	v_subrev_nc_u32_e32 v10, 28, v8
	v_sub_nc_u32_e32 v8, 29, v8
	v_lshlrev_b64 v[10:11], v10, v[6:7]
	v_and_b32_e32 v6, 7, v10
; %bb.1809:                             ;   in Loop: Header=BB226_988 Depth=1
	s_or_b32 exec_lo, exec_lo, s18
	v_lshlrev_b32_e32 v10, 24, v77
	v_lshlrev_b32_e32 v6, 20, v6
	v_lshl_add_u32 v8, v8, 23, 0x3c000000
	v_and_b32_e32 v10, 0x80000000, v10
	v_or3_b32 v6, v6, v10, v8
	v_mov_b32_e32 v18, v7
	v_mov_b32_e32 v17, v6
.LBB226_1810:                           ;   in Loop: Header=BB226_988 Depth=1
	s_or_b32 exec_lo, exec_lo, s15
.LBB226_1811:                           ;   in Loop: Header=BB226_988 Depth=1
	s_or_b32 exec_lo, exec_lo, s13
.LBB226_1812:                           ;   in Loop: Header=BB226_988 Depth=1
	s_or_b32 exec_lo, exec_lo, s7
	v_cmp_ne_u16_sdwa s4, v77, v7 src0_sel:BYTE_1 src1_sel:DWORD
	s_and_saveexec_b32 s7, s4
	s_cbranch_execz .LBB226_1820
; %bb.1813:                             ;   in Loop: Header=BB226_988 Depth=1
	v_mov_b32_e32 v8, v7
	v_mov_b32_e32 v20, v9
	v_cmp_ne_u16_sdwa s4, v77, v84 src0_sel:BYTE_1 src1_sel:DWORD
	v_mov_b32_e32 v19, v8
	s_and_saveexec_b32 s13, s4
	s_cbranch_execz .LBB226_1819
; %bb.1814:                             ;   in Loop: Header=BB226_988 Depth=1
	v_and_b32_sdwa v6, v120, v77 dst_sel:DWORD dst_unused:UNUSED_PAD src0_sel:DWORD src1_sel:BYTE_1
	v_mov_b32_e32 v11, v7
	v_mov_b32_e32 v20, v12
	s_mov_b32 s15, exec_lo
	v_and_b32_e32 v10, 0x7f, v6
	v_mov_b32_e32 v19, v11
	v_cmpx_ne_u32_e32 0x7f, v10
	s_cbranch_execz .LBB226_1818
; %bb.1815:                             ;   in Loop: Header=BB226_988 Depth=1
	v_and_b32_e32 v6, 7, v6
	v_lshrrev_b32_e32 v8, 3, v10
	s_mov_b32 s18, exec_lo
	v_cmpx_gt_u32_e32 8, v10
; %bb.1816:                             ;   in Loop: Header=BB226_988 Depth=1
	v_ffbh_u32_e32 v8, v6
	v_min_u32_e32 v8, 32, v8
	v_subrev_nc_u32_e32 v10, 28, v8
	v_sub_nc_u32_e32 v8, 29, v8
	v_lshlrev_b64 v[10:11], v10, v[6:7]
	v_and_b32_e32 v6, 7, v10
; %bb.1817:                             ;   in Loop: Header=BB226_988 Depth=1
	s_or_b32 exec_lo, exec_lo, s18
	v_lshlrev_b32_e32 v10, 16, v77
	v_lshlrev_b32_e32 v6, 20, v6
	v_lshl_add_u32 v8, v8, 23, 0x3c000000
	v_mov_b32_e32 v19, v7
	v_and_b32_e32 v10, 0x80000000, v10
	v_or3_b32 v20, v6, v10, v8
.LBB226_1818:                           ;   in Loop: Header=BB226_988 Depth=1
	s_or_b32 exec_lo, exec_lo, s15
.LBB226_1819:                           ;   in Loop: Header=BB226_988 Depth=1
	s_or_b32 exec_lo, exec_lo, s13
.LBB226_1820:                           ;   in Loop: Header=BB226_988 Depth=1
	s_or_b32 exec_lo, exec_lo, s7
	v_mov_b32_e32 v10, 0
	v_mov_b32_e32 v21, 0
	v_and_b32_sdwa v6, v77, v86 dst_sel:DWORD dst_unused:UNUSED_PAD src0_sel:WORD_1 src1_sel:DWORD
	v_mov_b32_e32 v11, 0
	v_mov_b32_e32 v22, 0
	s_mov_b32 s7, exec_lo
	v_cmpx_ne_u16_e32 0, v6
	s_cbranch_execz .LBB226_1828
; %bb.1821:                             ;   in Loop: Header=BB226_988 Depth=1
	v_bfrev_b32_e32 v21, 1
	v_mov_b32_e32 v22, 0
	s_mov_b32 s13, exec_lo
	v_cmpx_ne_u16_e32 0x80, v6
	s_cbranch_execz .LBB226_1827
; %bb.1822:                             ;   in Loop: Header=BB226_988 Depth=1
	v_mov_b32_e32 v21, 0x7f800001
	v_bfe_u32 v78, v77, 16, 7
	v_mov_b32_e32 v22, 0
	s_mov_b32 s15, exec_lo
	v_cmpx_ne_u32_e32 0x7f, v78
	s_cbranch_execz .LBB226_1826
; %bb.1823:                             ;   in Loop: Header=BB226_988 Depth=1
	v_mov_b32_e32 v6, 7
	v_lshrrev_b32_e32 v8, 3, v78
	s_mov_b32 s18, exec_lo
	v_and_b32_sdwa v6, v77, v6 dst_sel:DWORD dst_unused:UNUSED_PAD src0_sel:WORD_1 src1_sel:DWORD
	v_cmpx_gt_u32_e32 8, v78
; %bb.1824:                             ;   in Loop: Header=BB226_988 Depth=1
	v_ffbh_u32_e32 v8, v6
	v_min_u32_e32 v8, 32, v8
	v_subrev_nc_u32_e32 v21, 28, v8
	v_sub_nc_u32_e32 v8, 29, v8
	v_lshlrev_b64 v[21:22], v21, v[6:7]
	v_and_b32_e32 v6, 7, v21
; %bb.1825:                             ;   in Loop: Header=BB226_988 Depth=1
	s_or_b32 exec_lo, exec_lo, s18
	v_mov_b32_e32 v21, 24
	v_lshlrev_b32_e32 v6, 20, v6
	v_lshl_add_u32 v8, v8, 23, 0x3c000000
	v_lshlrev_b32_sdwa v21, v21, v77 dst_sel:DWORD dst_unused:UNUSED_PAD src0_sel:DWORD src1_sel:WORD_1
	v_and_b32_e32 v21, 0x80000000, v21
	v_or3_b32 v6, v6, v21, v8
	v_mov_b32_e32 v22, v7
	v_mov_b32_e32 v21, v6
.LBB226_1826:                           ;   in Loop: Header=BB226_988 Depth=1
	s_or_b32 exec_lo, exec_lo, s15
.LBB226_1827:                           ;   in Loop: Header=BB226_988 Depth=1
	s_or_b32 exec_lo, exec_lo, s13
.LBB226_1828:                           ;   in Loop: Header=BB226_988 Depth=1
	s_or_b32 exec_lo, exec_lo, s7
	s_mov_b32 s7, exec_lo
	v_cmpx_lt_u32_e32 0xffffff, v77
	s_cbranch_execz .LBB226_1836
; %bb.1829:                             ;   in Loop: Header=BB226_988 Depth=1
	v_mov_b32_e32 v8, v7
	v_mov_b32_e32 v11, v9
	v_cmp_ne_u32_sdwa s4, v77, v84 src0_sel:BYTE_3 src1_sel:DWORD
	v_mov_b32_e32 v10, v8
	s_and_saveexec_b32 s13, s4
	s_cbranch_execz .LBB226_1835
; %bb.1830:                             ;   in Loop: Header=BB226_988 Depth=1
	v_mov_b32_e32 v11, v7
	v_bfe_u32 v78, v77, 24, 7
	s_mov_b32 s15, exec_lo
	v_mov_b32_e32 v10, v11
	v_mov_b32_e32 v11, v12
	v_cmpx_ne_u32_e32 0x7f, v78
	s_cbranch_execz .LBB226_1834
; %bb.1831:                             ;   in Loop: Header=BB226_988 Depth=1
	v_mov_b32_e32 v6, 7
	v_lshrrev_b32_e32 v8, 3, v78
	s_mov_b32 s18, exec_lo
	v_and_b32_sdwa v6, v77, v6 dst_sel:DWORD dst_unused:UNUSED_PAD src0_sel:BYTE_3 src1_sel:DWORD
	v_cmpx_gt_u32_e32 8, v78
; %bb.1832:                             ;   in Loop: Header=BB226_988 Depth=1
	v_ffbh_u32_e32 v8, v6
	v_min_u32_e32 v8, 32, v8
	v_subrev_nc_u32_e32 v10, 28, v8
	v_sub_nc_u32_e32 v8, 29, v8
	v_lshlrev_b64 v[10:11], v10, v[6:7]
	v_and_b32_e32 v6, 7, v10
; %bb.1833:                             ;   in Loop: Header=BB226_988 Depth=1
	s_or_b32 exec_lo, exec_lo, s18
	v_mov_b32_e32 v10, 24
	v_lshlrev_b32_e32 v6, 20, v6
	v_lshl_add_u32 v8, v8, 23, 0x3c000000
	v_lshlrev_b32_sdwa v10, v10, v77 dst_sel:DWORD dst_unused:UNUSED_PAD src0_sel:DWORD src1_sel:BYTE_3
	v_and_b32_e32 v10, 0x80000000, v10
	v_or3_b32 v11, v6, v10, v8
	v_mov_b32_e32 v10, v7
.LBB226_1834:                           ;   in Loop: Header=BB226_988 Depth=1
	s_or_b32 exec_lo, exec_lo, s15
.LBB226_1835:                           ;   in Loop: Header=BB226_988 Depth=1
	s_or_b32 exec_lo, exec_lo, s13
.LBB226_1836:                           ;   in Loop: Header=BB226_988 Depth=1
	s_or_b32 exec_lo, exec_lo, s7
	v_or_b32_e32 v6, v20, v18
	v_or_b32_e32 v8, v19, v17
	;; [unrolled: 1-line block ×4, first 2 shown]
	v_mul_f32_e32 v88, v99, v6
	v_mul_f32_e32 v79, v83, v8
	;; [unrolled: 1-line block ×4, first 2 shown]
	s_and_saveexec_b32 s7, vcc_lo
	s_cbranch_execz .LBB226_1838
; %bb.1837:                             ;   in Loop: Header=BB226_988 Depth=1
	v_cmp_lt_i32_e64 s4, v40, v26
	v_cndmask_b32_e64 v79, 0, v79, s4
	v_cmp_lt_i32_e64 s4, v42, v26
	v_cndmask_b32_e64 v88, 0, v88, s4
	;; [unrolled: 2-line block ×4, first 2 shown]
.LBB226_1838:                           ;   in Loop: Header=BB226_988 Depth=1
	s_or_b32 exec_lo, exec_lo, s7
	flat_load_dword v89, v[15:16] offset:1152
	v_mov_b32_e32 v19, 0
	v_mov_b32_e32 v17, 0
	;; [unrolled: 1-line block ×4, first 2 shown]
	s_waitcnt vmcnt(0) lgkmcnt(0)
	v_cmp_ne_u16_sdwa s4, v89, v7 src0_sel:BYTE_0 src1_sel:DWORD
	s_and_saveexec_b32 s7, s4
	s_cbranch_execz .LBB226_1846
; %bb.1839:                             ;   in Loop: Header=BB226_988 Depth=1
	v_bfrev_b32_e32 v17, 1
	v_mov_b32_e32 v18, 0
	v_cmp_ne_u16_sdwa s4, v89, v84 src0_sel:BYTE_0 src1_sel:DWORD
	s_and_saveexec_b32 s13, s4
	s_cbranch_execz .LBB226_1845
; %bb.1840:                             ;   in Loop: Header=BB226_988 Depth=1
	v_mov_b32_e32 v17, 0x7f800001
	v_and_b32_e32 v10, 0x7f, v89
	v_mov_b32_e32 v18, 0
	s_mov_b32 s15, exec_lo
	v_cmpx_ne_u32_e32 0x7f, v10
	s_cbranch_execz .LBB226_1844
; %bb.1841:                             ;   in Loop: Header=BB226_988 Depth=1
	v_and_b32_e32 v6, 7, v89
	v_lshrrev_b32_e32 v8, 3, v10
	s_mov_b32 s18, exec_lo
	v_cmpx_gt_u32_e32 8, v10
; %bb.1842:                             ;   in Loop: Header=BB226_988 Depth=1
	v_ffbh_u32_e32 v8, v6
	v_min_u32_e32 v8, 32, v8
	v_subrev_nc_u32_e32 v10, 28, v8
	v_sub_nc_u32_e32 v8, 29, v8
	v_lshlrev_b64 v[10:11], v10, v[6:7]
	v_and_b32_e32 v6, 7, v10
; %bb.1843:                             ;   in Loop: Header=BB226_988 Depth=1
	s_or_b32 exec_lo, exec_lo, s18
	v_lshlrev_b32_e32 v10, 24, v89
	v_lshlrev_b32_e32 v6, 20, v6
	v_lshl_add_u32 v8, v8, 23, 0x3c000000
	v_and_b32_e32 v10, 0x80000000, v10
	v_or3_b32 v6, v6, v10, v8
	v_mov_b32_e32 v18, v7
	v_mov_b32_e32 v17, v6
.LBB226_1844:                           ;   in Loop: Header=BB226_988 Depth=1
	s_or_b32 exec_lo, exec_lo, s15
.LBB226_1845:                           ;   in Loop: Header=BB226_988 Depth=1
	s_or_b32 exec_lo, exec_lo, s13
.LBB226_1846:                           ;   in Loop: Header=BB226_988 Depth=1
	s_or_b32 exec_lo, exec_lo, s7
	v_cmp_ne_u16_sdwa s4, v89, v7 src0_sel:BYTE_1 src1_sel:DWORD
	s_and_saveexec_b32 s7, s4
	s_cbranch_execz .LBB226_1854
; %bb.1847:                             ;   in Loop: Header=BB226_988 Depth=1
	v_mov_b32_e32 v8, v7
	v_mov_b32_e32 v20, v9
	v_cmp_ne_u16_sdwa s4, v89, v84 src0_sel:BYTE_1 src1_sel:DWORD
	v_mov_b32_e32 v19, v8
	s_and_saveexec_b32 s13, s4
	s_cbranch_execz .LBB226_1853
; %bb.1848:                             ;   in Loop: Header=BB226_988 Depth=1
	v_and_b32_sdwa v6, v120, v89 dst_sel:DWORD dst_unused:UNUSED_PAD src0_sel:DWORD src1_sel:BYTE_1
	v_mov_b32_e32 v11, v7
	v_mov_b32_e32 v20, v12
	s_mov_b32 s15, exec_lo
	v_and_b32_e32 v10, 0x7f, v6
	v_mov_b32_e32 v19, v11
	v_cmpx_ne_u32_e32 0x7f, v10
	s_cbranch_execz .LBB226_1852
; %bb.1849:                             ;   in Loop: Header=BB226_988 Depth=1
	v_and_b32_e32 v6, 7, v6
	v_lshrrev_b32_e32 v8, 3, v10
	s_mov_b32 s18, exec_lo
	v_cmpx_gt_u32_e32 8, v10
; %bb.1850:                             ;   in Loop: Header=BB226_988 Depth=1
	v_ffbh_u32_e32 v8, v6
	v_min_u32_e32 v8, 32, v8
	v_subrev_nc_u32_e32 v10, 28, v8
	v_sub_nc_u32_e32 v8, 29, v8
	v_lshlrev_b64 v[10:11], v10, v[6:7]
	v_and_b32_e32 v6, 7, v10
; %bb.1851:                             ;   in Loop: Header=BB226_988 Depth=1
	s_or_b32 exec_lo, exec_lo, s18
	v_lshlrev_b32_e32 v10, 16, v89
	v_lshlrev_b32_e32 v6, 20, v6
	v_lshl_add_u32 v8, v8, 23, 0x3c000000
	v_mov_b32_e32 v19, v7
	v_and_b32_e32 v10, 0x80000000, v10
	v_or3_b32 v20, v6, v10, v8
.LBB226_1852:                           ;   in Loop: Header=BB226_988 Depth=1
	s_or_b32 exec_lo, exec_lo, s15
.LBB226_1853:                           ;   in Loop: Header=BB226_988 Depth=1
	s_or_b32 exec_lo, exec_lo, s13
.LBB226_1854:                           ;   in Loop: Header=BB226_988 Depth=1
	s_or_b32 exec_lo, exec_lo, s7
	v_mov_b32_e32 v10, 0
	v_mov_b32_e32 v21, 0
	v_and_b32_sdwa v6, v89, v86 dst_sel:DWORD dst_unused:UNUSED_PAD src0_sel:WORD_1 src1_sel:DWORD
	v_mov_b32_e32 v11, 0
	v_mov_b32_e32 v22, 0
	s_mov_b32 s7, exec_lo
	v_cmpx_ne_u16_e32 0, v6
	s_cbranch_execz .LBB226_1862
; %bb.1855:                             ;   in Loop: Header=BB226_988 Depth=1
	v_bfrev_b32_e32 v21, 1
	v_mov_b32_e32 v22, 0
	s_mov_b32 s13, exec_lo
	v_cmpx_ne_u16_e32 0x80, v6
	s_cbranch_execz .LBB226_1861
; %bb.1856:                             ;   in Loop: Header=BB226_988 Depth=1
	v_mov_b32_e32 v21, 0x7f800001
	v_bfe_u32 v90, v89, 16, 7
	v_mov_b32_e32 v22, 0
	s_mov_b32 s15, exec_lo
	v_cmpx_ne_u32_e32 0x7f, v90
	s_cbranch_execz .LBB226_1860
; %bb.1857:                             ;   in Loop: Header=BB226_988 Depth=1
	v_mov_b32_e32 v6, 7
	v_lshrrev_b32_e32 v8, 3, v90
	s_mov_b32 s18, exec_lo
	v_and_b32_sdwa v6, v89, v6 dst_sel:DWORD dst_unused:UNUSED_PAD src0_sel:WORD_1 src1_sel:DWORD
	v_cmpx_gt_u32_e32 8, v90
; %bb.1858:                             ;   in Loop: Header=BB226_988 Depth=1
	v_ffbh_u32_e32 v8, v6
	v_min_u32_e32 v8, 32, v8
	v_subrev_nc_u32_e32 v21, 28, v8
	v_sub_nc_u32_e32 v8, 29, v8
	v_lshlrev_b64 v[21:22], v21, v[6:7]
	v_and_b32_e32 v6, 7, v21
; %bb.1859:                             ;   in Loop: Header=BB226_988 Depth=1
	s_or_b32 exec_lo, exec_lo, s18
	v_mov_b32_e32 v21, 24
	v_lshlrev_b32_e32 v6, 20, v6
	v_lshl_add_u32 v8, v8, 23, 0x3c000000
	v_lshlrev_b32_sdwa v21, v21, v89 dst_sel:DWORD dst_unused:UNUSED_PAD src0_sel:DWORD src1_sel:WORD_1
	v_and_b32_e32 v21, 0x80000000, v21
	v_or3_b32 v6, v6, v21, v8
	v_mov_b32_e32 v22, v7
	v_mov_b32_e32 v21, v6
.LBB226_1860:                           ;   in Loop: Header=BB226_988 Depth=1
	s_or_b32 exec_lo, exec_lo, s15
.LBB226_1861:                           ;   in Loop: Header=BB226_988 Depth=1
	s_or_b32 exec_lo, exec_lo, s13
.LBB226_1862:                           ;   in Loop: Header=BB226_988 Depth=1
	s_or_b32 exec_lo, exec_lo, s7
	s_mov_b32 s7, exec_lo
	v_cmpx_lt_u32_e32 0xffffff, v89
	s_cbranch_execz .LBB226_1870
; %bb.1863:                             ;   in Loop: Header=BB226_988 Depth=1
	v_mov_b32_e32 v8, v7
	v_mov_b32_e32 v11, v9
	v_cmp_ne_u32_sdwa s4, v89, v84 src0_sel:BYTE_3 src1_sel:DWORD
	v_mov_b32_e32 v10, v8
	s_and_saveexec_b32 s13, s4
	s_cbranch_execz .LBB226_1869
; %bb.1864:                             ;   in Loop: Header=BB226_988 Depth=1
	v_mov_b32_e32 v11, v7
	v_bfe_u32 v90, v89, 24, 7
	s_mov_b32 s15, exec_lo
	v_mov_b32_e32 v10, v11
	v_mov_b32_e32 v11, v12
	v_cmpx_ne_u32_e32 0x7f, v90
	s_cbranch_execz .LBB226_1868
; %bb.1865:                             ;   in Loop: Header=BB226_988 Depth=1
	v_mov_b32_e32 v6, 7
	v_lshrrev_b32_e32 v8, 3, v90
	s_mov_b32 s18, exec_lo
	v_and_b32_sdwa v6, v89, v6 dst_sel:DWORD dst_unused:UNUSED_PAD src0_sel:BYTE_3 src1_sel:DWORD
	v_cmpx_gt_u32_e32 8, v90
; %bb.1866:                             ;   in Loop: Header=BB226_988 Depth=1
	v_ffbh_u32_e32 v8, v6
	v_min_u32_e32 v8, 32, v8
	v_subrev_nc_u32_e32 v10, 28, v8
	v_sub_nc_u32_e32 v8, 29, v8
	v_lshlrev_b64 v[10:11], v10, v[6:7]
	v_and_b32_e32 v6, 7, v10
; %bb.1867:                             ;   in Loop: Header=BB226_988 Depth=1
	s_or_b32 exec_lo, exec_lo, s18
	v_mov_b32_e32 v10, 24
	v_lshlrev_b32_e32 v6, 20, v6
	v_lshl_add_u32 v8, v8, 23, 0x3c000000
	v_lshlrev_b32_sdwa v10, v10, v89 dst_sel:DWORD dst_unused:UNUSED_PAD src0_sel:DWORD src1_sel:BYTE_3
	v_and_b32_e32 v10, 0x80000000, v10
	v_or3_b32 v11, v6, v10, v8
	v_mov_b32_e32 v10, v7
.LBB226_1868:                           ;   in Loop: Header=BB226_988 Depth=1
	s_or_b32 exec_lo, exec_lo, s15
.LBB226_1869:                           ;   in Loop: Header=BB226_988 Depth=1
	s_or_b32 exec_lo, exec_lo, s13
.LBB226_1870:                           ;   in Loop: Header=BB226_988 Depth=1
	s_or_b32 exec_lo, exec_lo, s7
	v_or_b32_e32 v6, v20, v18
	v_or_b32_e32 v8, v19, v17
	;; [unrolled: 1-line block ×4, first 2 shown]
	v_mul_f32_e32 v92, v99, v6
	v_mul_f32_e32 v91, v83, v8
	;; [unrolled: 1-line block ×4, first 2 shown]
	s_and_saveexec_b32 s7, vcc_lo
	s_cbranch_execz .LBB226_1872
; %bb.1871:                             ;   in Loop: Header=BB226_988 Depth=1
	v_cmp_lt_i32_e64 s4, v40, v26
	v_cndmask_b32_e64 v91, 0, v91, s4
	v_cmp_lt_i32_e64 s4, v42, v26
	v_cndmask_b32_e64 v92, 0, v92, s4
	;; [unrolled: 2-line block ×4, first 2 shown]
.LBB226_1872:                           ;   in Loop: Header=BB226_988 Depth=1
	s_or_b32 exec_lo, exec_lo, s7
	flat_load_dword v93, v[15:16] offset:1280
	v_mov_b32_e32 v19, 0
	v_mov_b32_e32 v17, 0
	v_mov_b32_e32 v20, 0
	v_mov_b32_e32 v18, 0
	s_waitcnt vmcnt(0) lgkmcnt(0)
	v_cmp_ne_u16_sdwa s4, v93, v7 src0_sel:BYTE_0 src1_sel:DWORD
	s_and_saveexec_b32 s7, s4
	s_cbranch_execz .LBB226_1880
; %bb.1873:                             ;   in Loop: Header=BB226_988 Depth=1
	v_bfrev_b32_e32 v17, 1
	v_mov_b32_e32 v18, 0
	v_cmp_ne_u16_sdwa s4, v93, v84 src0_sel:BYTE_0 src1_sel:DWORD
	s_and_saveexec_b32 s13, s4
	s_cbranch_execz .LBB226_1879
; %bb.1874:                             ;   in Loop: Header=BB226_988 Depth=1
	v_mov_b32_e32 v17, 0x7f800001
	v_and_b32_e32 v10, 0x7f, v93
	v_mov_b32_e32 v18, 0
	s_mov_b32 s15, exec_lo
	v_cmpx_ne_u32_e32 0x7f, v10
	s_cbranch_execz .LBB226_1878
; %bb.1875:                             ;   in Loop: Header=BB226_988 Depth=1
	v_and_b32_e32 v6, 7, v93
	v_lshrrev_b32_e32 v8, 3, v10
	s_mov_b32 s18, exec_lo
	v_cmpx_gt_u32_e32 8, v10
; %bb.1876:                             ;   in Loop: Header=BB226_988 Depth=1
	v_ffbh_u32_e32 v8, v6
	v_min_u32_e32 v8, 32, v8
	v_subrev_nc_u32_e32 v10, 28, v8
	v_sub_nc_u32_e32 v8, 29, v8
	v_lshlrev_b64 v[10:11], v10, v[6:7]
	v_and_b32_e32 v6, 7, v10
; %bb.1877:                             ;   in Loop: Header=BB226_988 Depth=1
	s_or_b32 exec_lo, exec_lo, s18
	v_lshlrev_b32_e32 v10, 24, v93
	v_lshlrev_b32_e32 v6, 20, v6
	v_lshl_add_u32 v8, v8, 23, 0x3c000000
	v_and_b32_e32 v10, 0x80000000, v10
	v_or3_b32 v6, v6, v10, v8
	v_mov_b32_e32 v18, v7
	v_mov_b32_e32 v17, v6
.LBB226_1878:                           ;   in Loop: Header=BB226_988 Depth=1
	s_or_b32 exec_lo, exec_lo, s15
.LBB226_1879:                           ;   in Loop: Header=BB226_988 Depth=1
	s_or_b32 exec_lo, exec_lo, s13
.LBB226_1880:                           ;   in Loop: Header=BB226_988 Depth=1
	s_or_b32 exec_lo, exec_lo, s7
	v_cmp_ne_u16_sdwa s4, v93, v7 src0_sel:BYTE_1 src1_sel:DWORD
	s_and_saveexec_b32 s7, s4
	s_cbranch_execz .LBB226_1888
; %bb.1881:                             ;   in Loop: Header=BB226_988 Depth=1
	v_mov_b32_e32 v8, v7
	v_mov_b32_e32 v20, v9
	v_cmp_ne_u16_sdwa s4, v93, v84 src0_sel:BYTE_1 src1_sel:DWORD
	v_mov_b32_e32 v19, v8
	s_and_saveexec_b32 s13, s4
	s_cbranch_execz .LBB226_1887
; %bb.1882:                             ;   in Loop: Header=BB226_988 Depth=1
	v_and_b32_sdwa v6, v120, v93 dst_sel:DWORD dst_unused:UNUSED_PAD src0_sel:DWORD src1_sel:BYTE_1
	v_mov_b32_e32 v11, v7
	v_mov_b32_e32 v20, v12
	s_mov_b32 s15, exec_lo
	v_and_b32_e32 v10, 0x7f, v6
	v_mov_b32_e32 v19, v11
	v_cmpx_ne_u32_e32 0x7f, v10
	s_cbranch_execz .LBB226_1886
; %bb.1883:                             ;   in Loop: Header=BB226_988 Depth=1
	v_and_b32_e32 v6, 7, v6
	v_lshrrev_b32_e32 v8, 3, v10
	s_mov_b32 s18, exec_lo
	v_cmpx_gt_u32_e32 8, v10
; %bb.1884:                             ;   in Loop: Header=BB226_988 Depth=1
	v_ffbh_u32_e32 v8, v6
	v_min_u32_e32 v8, 32, v8
	v_subrev_nc_u32_e32 v10, 28, v8
	v_sub_nc_u32_e32 v8, 29, v8
	v_lshlrev_b64 v[10:11], v10, v[6:7]
	v_and_b32_e32 v6, 7, v10
; %bb.1885:                             ;   in Loop: Header=BB226_988 Depth=1
	s_or_b32 exec_lo, exec_lo, s18
	v_lshlrev_b32_e32 v10, 16, v93
	v_lshlrev_b32_e32 v6, 20, v6
	v_lshl_add_u32 v8, v8, 23, 0x3c000000
	v_mov_b32_e32 v19, v7
	v_and_b32_e32 v10, 0x80000000, v10
	v_or3_b32 v20, v6, v10, v8
.LBB226_1886:                           ;   in Loop: Header=BB226_988 Depth=1
	s_or_b32 exec_lo, exec_lo, s15
.LBB226_1887:                           ;   in Loop: Header=BB226_988 Depth=1
	s_or_b32 exec_lo, exec_lo, s13
.LBB226_1888:                           ;   in Loop: Header=BB226_988 Depth=1
	s_or_b32 exec_lo, exec_lo, s7
	v_mov_b32_e32 v10, 0
	v_mov_b32_e32 v21, 0
	v_and_b32_sdwa v6, v93, v86 dst_sel:DWORD dst_unused:UNUSED_PAD src0_sel:WORD_1 src1_sel:DWORD
	v_mov_b32_e32 v11, 0
	v_mov_b32_e32 v22, 0
	s_mov_b32 s7, exec_lo
	v_cmpx_ne_u16_e32 0, v6
	s_cbranch_execz .LBB226_1896
; %bb.1889:                             ;   in Loop: Header=BB226_988 Depth=1
	v_bfrev_b32_e32 v21, 1
	v_mov_b32_e32 v22, 0
	s_mov_b32 s13, exec_lo
	v_cmpx_ne_u16_e32 0x80, v6
	s_cbranch_execz .LBB226_1895
; %bb.1890:                             ;   in Loop: Header=BB226_988 Depth=1
	v_mov_b32_e32 v21, 0x7f800001
	v_bfe_u32 v94, v93, 16, 7
	v_mov_b32_e32 v22, 0
	s_mov_b32 s15, exec_lo
	v_cmpx_ne_u32_e32 0x7f, v94
	s_cbranch_execz .LBB226_1894
; %bb.1891:                             ;   in Loop: Header=BB226_988 Depth=1
	v_mov_b32_e32 v6, 7
	v_lshrrev_b32_e32 v8, 3, v94
	s_mov_b32 s18, exec_lo
	v_and_b32_sdwa v6, v93, v6 dst_sel:DWORD dst_unused:UNUSED_PAD src0_sel:WORD_1 src1_sel:DWORD
	v_cmpx_gt_u32_e32 8, v94
; %bb.1892:                             ;   in Loop: Header=BB226_988 Depth=1
	v_ffbh_u32_e32 v8, v6
	v_min_u32_e32 v8, 32, v8
	v_subrev_nc_u32_e32 v21, 28, v8
	v_sub_nc_u32_e32 v8, 29, v8
	v_lshlrev_b64 v[21:22], v21, v[6:7]
	v_and_b32_e32 v6, 7, v21
; %bb.1893:                             ;   in Loop: Header=BB226_988 Depth=1
	s_or_b32 exec_lo, exec_lo, s18
	v_mov_b32_e32 v21, 24
	v_lshlrev_b32_e32 v6, 20, v6
	v_lshl_add_u32 v8, v8, 23, 0x3c000000
	v_lshlrev_b32_sdwa v21, v21, v93 dst_sel:DWORD dst_unused:UNUSED_PAD src0_sel:DWORD src1_sel:WORD_1
	v_and_b32_e32 v21, 0x80000000, v21
	v_or3_b32 v6, v6, v21, v8
	v_mov_b32_e32 v22, v7
	v_mov_b32_e32 v21, v6
.LBB226_1894:                           ;   in Loop: Header=BB226_988 Depth=1
	s_or_b32 exec_lo, exec_lo, s15
.LBB226_1895:                           ;   in Loop: Header=BB226_988 Depth=1
	s_or_b32 exec_lo, exec_lo, s13
.LBB226_1896:                           ;   in Loop: Header=BB226_988 Depth=1
	s_or_b32 exec_lo, exec_lo, s7
	s_mov_b32 s7, exec_lo
	v_cmpx_lt_u32_e32 0xffffff, v93
	s_cbranch_execz .LBB226_1904
; %bb.1897:                             ;   in Loop: Header=BB226_988 Depth=1
	v_mov_b32_e32 v8, v7
	v_mov_b32_e32 v11, v9
	v_cmp_ne_u32_sdwa s4, v93, v84 src0_sel:BYTE_3 src1_sel:DWORD
	v_mov_b32_e32 v10, v8
	s_and_saveexec_b32 s13, s4
	s_cbranch_execz .LBB226_1903
; %bb.1898:                             ;   in Loop: Header=BB226_988 Depth=1
	v_mov_b32_e32 v11, v7
	v_bfe_u32 v94, v93, 24, 7
	s_mov_b32 s15, exec_lo
	v_mov_b32_e32 v10, v11
	v_mov_b32_e32 v11, v12
	v_cmpx_ne_u32_e32 0x7f, v94
	s_cbranch_execz .LBB226_1902
; %bb.1899:                             ;   in Loop: Header=BB226_988 Depth=1
	v_mov_b32_e32 v6, 7
	v_lshrrev_b32_e32 v8, 3, v94
	s_mov_b32 s18, exec_lo
	v_and_b32_sdwa v6, v93, v6 dst_sel:DWORD dst_unused:UNUSED_PAD src0_sel:BYTE_3 src1_sel:DWORD
	v_cmpx_gt_u32_e32 8, v94
; %bb.1900:                             ;   in Loop: Header=BB226_988 Depth=1
	v_ffbh_u32_e32 v8, v6
	v_min_u32_e32 v8, 32, v8
	v_subrev_nc_u32_e32 v10, 28, v8
	v_sub_nc_u32_e32 v8, 29, v8
	v_lshlrev_b64 v[10:11], v10, v[6:7]
	v_and_b32_e32 v6, 7, v10
; %bb.1901:                             ;   in Loop: Header=BB226_988 Depth=1
	s_or_b32 exec_lo, exec_lo, s18
	v_mov_b32_e32 v10, 24
	v_lshlrev_b32_e32 v6, 20, v6
	v_lshl_add_u32 v8, v8, 23, 0x3c000000
	v_lshlrev_b32_sdwa v10, v10, v93 dst_sel:DWORD dst_unused:UNUSED_PAD src0_sel:DWORD src1_sel:BYTE_3
	v_and_b32_e32 v10, 0x80000000, v10
	v_or3_b32 v11, v6, v10, v8
	v_mov_b32_e32 v10, v7
.LBB226_1902:                           ;   in Loop: Header=BB226_988 Depth=1
	s_or_b32 exec_lo, exec_lo, s15
.LBB226_1903:                           ;   in Loop: Header=BB226_988 Depth=1
	s_or_b32 exec_lo, exec_lo, s13
.LBB226_1904:                           ;   in Loop: Header=BB226_988 Depth=1
	s_or_b32 exec_lo, exec_lo, s7
	v_or_b32_e32 v6, v20, v18
	v_or_b32_e32 v8, v19, v17
	;; [unrolled: 1-line block ×4, first 2 shown]
	v_mul_f32_e32 v104, v99, v6
	v_mul_f32_e32 v95, v83, v8
	;; [unrolled: 1-line block ×4, first 2 shown]
	s_and_saveexec_b32 s7, vcc_lo
	s_cbranch_execz .LBB226_1906
; %bb.1905:                             ;   in Loop: Header=BB226_988 Depth=1
	v_cmp_lt_i32_e64 s4, v40, v26
	v_cndmask_b32_e64 v95, 0, v95, s4
	v_cmp_lt_i32_e64 s4, v42, v26
	v_cndmask_b32_e64 v104, 0, v104, s4
	;; [unrolled: 2-line block ×4, first 2 shown]
.LBB226_1906:                           ;   in Loop: Header=BB226_988 Depth=1
	s_or_b32 exec_lo, exec_lo, s7
	flat_load_dword v105, v[15:16] offset:1408
	v_mov_b32_e32 v19, 0
	v_mov_b32_e32 v17, 0
	;; [unrolled: 1-line block ×4, first 2 shown]
	s_waitcnt vmcnt(0) lgkmcnt(0)
	v_cmp_ne_u16_sdwa s4, v105, v7 src0_sel:BYTE_0 src1_sel:DWORD
	s_and_saveexec_b32 s7, s4
	s_cbranch_execz .LBB226_1914
; %bb.1907:                             ;   in Loop: Header=BB226_988 Depth=1
	v_bfrev_b32_e32 v17, 1
	v_mov_b32_e32 v18, 0
	v_cmp_ne_u16_sdwa s4, v105, v84 src0_sel:BYTE_0 src1_sel:DWORD
	s_and_saveexec_b32 s13, s4
	s_cbranch_execz .LBB226_1913
; %bb.1908:                             ;   in Loop: Header=BB226_988 Depth=1
	v_mov_b32_e32 v17, 0x7f800001
	v_and_b32_e32 v10, 0x7f, v105
	v_mov_b32_e32 v18, 0
	s_mov_b32 s15, exec_lo
	v_cmpx_ne_u32_e32 0x7f, v10
	s_cbranch_execz .LBB226_1912
; %bb.1909:                             ;   in Loop: Header=BB226_988 Depth=1
	v_and_b32_e32 v6, 7, v105
	v_lshrrev_b32_e32 v8, 3, v10
	s_mov_b32 s18, exec_lo
	v_cmpx_gt_u32_e32 8, v10
; %bb.1910:                             ;   in Loop: Header=BB226_988 Depth=1
	v_ffbh_u32_e32 v8, v6
	v_min_u32_e32 v8, 32, v8
	v_subrev_nc_u32_e32 v10, 28, v8
	v_sub_nc_u32_e32 v8, 29, v8
	v_lshlrev_b64 v[10:11], v10, v[6:7]
	v_and_b32_e32 v6, 7, v10
; %bb.1911:                             ;   in Loop: Header=BB226_988 Depth=1
	s_or_b32 exec_lo, exec_lo, s18
	v_lshlrev_b32_e32 v10, 24, v105
	v_lshlrev_b32_e32 v6, 20, v6
	v_lshl_add_u32 v8, v8, 23, 0x3c000000
	v_and_b32_e32 v10, 0x80000000, v10
	v_or3_b32 v6, v6, v10, v8
	v_mov_b32_e32 v18, v7
	v_mov_b32_e32 v17, v6
.LBB226_1912:                           ;   in Loop: Header=BB226_988 Depth=1
	s_or_b32 exec_lo, exec_lo, s15
.LBB226_1913:                           ;   in Loop: Header=BB226_988 Depth=1
	s_or_b32 exec_lo, exec_lo, s13
.LBB226_1914:                           ;   in Loop: Header=BB226_988 Depth=1
	s_or_b32 exec_lo, exec_lo, s7
	v_cmp_ne_u16_sdwa s4, v105, v7 src0_sel:BYTE_1 src1_sel:DWORD
	s_and_saveexec_b32 s7, s4
	s_cbranch_execz .LBB226_1922
; %bb.1915:                             ;   in Loop: Header=BB226_988 Depth=1
	v_mov_b32_e32 v8, v7
	v_mov_b32_e32 v20, v9
	v_cmp_ne_u16_sdwa s4, v105, v84 src0_sel:BYTE_1 src1_sel:DWORD
	v_mov_b32_e32 v19, v8
	s_and_saveexec_b32 s13, s4
	s_cbranch_execz .LBB226_1921
; %bb.1916:                             ;   in Loop: Header=BB226_988 Depth=1
	v_and_b32_sdwa v6, v120, v105 dst_sel:DWORD dst_unused:UNUSED_PAD src0_sel:DWORD src1_sel:BYTE_1
	v_mov_b32_e32 v11, v7
	v_mov_b32_e32 v20, v12
	s_mov_b32 s15, exec_lo
	v_and_b32_e32 v10, 0x7f, v6
	v_mov_b32_e32 v19, v11
	v_cmpx_ne_u32_e32 0x7f, v10
	s_cbranch_execz .LBB226_1920
; %bb.1917:                             ;   in Loop: Header=BB226_988 Depth=1
	v_and_b32_e32 v6, 7, v6
	v_lshrrev_b32_e32 v8, 3, v10
	s_mov_b32 s18, exec_lo
	v_cmpx_gt_u32_e32 8, v10
; %bb.1918:                             ;   in Loop: Header=BB226_988 Depth=1
	v_ffbh_u32_e32 v8, v6
	v_min_u32_e32 v8, 32, v8
	v_subrev_nc_u32_e32 v10, 28, v8
	v_sub_nc_u32_e32 v8, 29, v8
	v_lshlrev_b64 v[10:11], v10, v[6:7]
	v_and_b32_e32 v6, 7, v10
; %bb.1919:                             ;   in Loop: Header=BB226_988 Depth=1
	s_or_b32 exec_lo, exec_lo, s18
	v_lshlrev_b32_e32 v10, 16, v105
	v_lshlrev_b32_e32 v6, 20, v6
	v_lshl_add_u32 v8, v8, 23, 0x3c000000
	v_mov_b32_e32 v19, v7
	v_and_b32_e32 v10, 0x80000000, v10
	v_or3_b32 v20, v6, v10, v8
.LBB226_1920:                           ;   in Loop: Header=BB226_988 Depth=1
	s_or_b32 exec_lo, exec_lo, s15
.LBB226_1921:                           ;   in Loop: Header=BB226_988 Depth=1
	s_or_b32 exec_lo, exec_lo, s13
.LBB226_1922:                           ;   in Loop: Header=BB226_988 Depth=1
	s_or_b32 exec_lo, exec_lo, s7
	v_mov_b32_e32 v10, 0
	v_mov_b32_e32 v21, 0
	v_and_b32_sdwa v6, v105, v86 dst_sel:DWORD dst_unused:UNUSED_PAD src0_sel:WORD_1 src1_sel:DWORD
	v_mov_b32_e32 v11, 0
	v_mov_b32_e32 v22, 0
	s_mov_b32 s7, exec_lo
	v_cmpx_ne_u16_e32 0, v6
	s_cbranch_execz .LBB226_1930
; %bb.1923:                             ;   in Loop: Header=BB226_988 Depth=1
	v_bfrev_b32_e32 v21, 1
	v_mov_b32_e32 v22, 0
	s_mov_b32 s13, exec_lo
	v_cmpx_ne_u16_e32 0x80, v6
	s_cbranch_execz .LBB226_1929
; %bb.1924:                             ;   in Loop: Header=BB226_988 Depth=1
	v_mov_b32_e32 v21, 0x7f800001
	v_bfe_u32 v106, v105, 16, 7
	v_mov_b32_e32 v22, 0
	s_mov_b32 s15, exec_lo
	v_cmpx_ne_u32_e32 0x7f, v106
	s_cbranch_execz .LBB226_1928
; %bb.1925:                             ;   in Loop: Header=BB226_988 Depth=1
	v_mov_b32_e32 v6, 7
	v_lshrrev_b32_e32 v8, 3, v106
	s_mov_b32 s18, exec_lo
	v_and_b32_sdwa v6, v105, v6 dst_sel:DWORD dst_unused:UNUSED_PAD src0_sel:WORD_1 src1_sel:DWORD
	v_cmpx_gt_u32_e32 8, v106
; %bb.1926:                             ;   in Loop: Header=BB226_988 Depth=1
	v_ffbh_u32_e32 v8, v6
	v_min_u32_e32 v8, 32, v8
	v_subrev_nc_u32_e32 v21, 28, v8
	v_sub_nc_u32_e32 v8, 29, v8
	v_lshlrev_b64 v[21:22], v21, v[6:7]
	v_and_b32_e32 v6, 7, v21
; %bb.1927:                             ;   in Loop: Header=BB226_988 Depth=1
	s_or_b32 exec_lo, exec_lo, s18
	v_mov_b32_e32 v21, 24
	v_lshlrev_b32_e32 v6, 20, v6
	v_lshl_add_u32 v8, v8, 23, 0x3c000000
	v_lshlrev_b32_sdwa v21, v21, v105 dst_sel:DWORD dst_unused:UNUSED_PAD src0_sel:DWORD src1_sel:WORD_1
	v_and_b32_e32 v21, 0x80000000, v21
	v_or3_b32 v6, v6, v21, v8
	v_mov_b32_e32 v22, v7
	v_mov_b32_e32 v21, v6
.LBB226_1928:                           ;   in Loop: Header=BB226_988 Depth=1
	s_or_b32 exec_lo, exec_lo, s15
.LBB226_1929:                           ;   in Loop: Header=BB226_988 Depth=1
	s_or_b32 exec_lo, exec_lo, s13
.LBB226_1930:                           ;   in Loop: Header=BB226_988 Depth=1
	s_or_b32 exec_lo, exec_lo, s7
	s_mov_b32 s7, exec_lo
	v_cmpx_lt_u32_e32 0xffffff, v105
	s_cbranch_execz .LBB226_1938
; %bb.1931:                             ;   in Loop: Header=BB226_988 Depth=1
	v_mov_b32_e32 v8, v7
	v_mov_b32_e32 v11, v9
	v_cmp_ne_u32_sdwa s4, v105, v84 src0_sel:BYTE_3 src1_sel:DWORD
	v_mov_b32_e32 v10, v8
	s_and_saveexec_b32 s13, s4
	s_cbranch_execz .LBB226_1937
; %bb.1932:                             ;   in Loop: Header=BB226_988 Depth=1
	v_mov_b32_e32 v11, v7
	v_bfe_u32 v106, v105, 24, 7
	s_mov_b32 s15, exec_lo
	v_mov_b32_e32 v10, v11
	v_mov_b32_e32 v11, v12
	v_cmpx_ne_u32_e32 0x7f, v106
	s_cbranch_execz .LBB226_1936
; %bb.1933:                             ;   in Loop: Header=BB226_988 Depth=1
	v_mov_b32_e32 v6, 7
	v_lshrrev_b32_e32 v8, 3, v106
	s_mov_b32 s18, exec_lo
	v_and_b32_sdwa v6, v105, v6 dst_sel:DWORD dst_unused:UNUSED_PAD src0_sel:BYTE_3 src1_sel:DWORD
	v_cmpx_gt_u32_e32 8, v106
; %bb.1934:                             ;   in Loop: Header=BB226_988 Depth=1
	v_ffbh_u32_e32 v8, v6
	v_min_u32_e32 v8, 32, v8
	v_subrev_nc_u32_e32 v10, 28, v8
	v_sub_nc_u32_e32 v8, 29, v8
	v_lshlrev_b64 v[10:11], v10, v[6:7]
	v_and_b32_e32 v6, 7, v10
; %bb.1935:                             ;   in Loop: Header=BB226_988 Depth=1
	s_or_b32 exec_lo, exec_lo, s18
	v_mov_b32_e32 v10, 24
	v_lshlrev_b32_e32 v6, 20, v6
	v_lshl_add_u32 v8, v8, 23, 0x3c000000
	v_lshlrev_b32_sdwa v10, v10, v105 dst_sel:DWORD dst_unused:UNUSED_PAD src0_sel:DWORD src1_sel:BYTE_3
	v_and_b32_e32 v10, 0x80000000, v10
	v_or3_b32 v11, v6, v10, v8
	v_mov_b32_e32 v10, v7
.LBB226_1936:                           ;   in Loop: Header=BB226_988 Depth=1
	s_or_b32 exec_lo, exec_lo, s15
.LBB226_1937:                           ;   in Loop: Header=BB226_988 Depth=1
	s_or_b32 exec_lo, exec_lo, s13
.LBB226_1938:                           ;   in Loop: Header=BB226_988 Depth=1
	s_or_b32 exec_lo, exec_lo, s7
	v_or_b32_e32 v6, v20, v18
	v_or_b32_e32 v8, v19, v17
	;; [unrolled: 1-line block ×4, first 2 shown]
	v_mul_f32_e32 v108, v99, v6
	v_mul_f32_e32 v107, v83, v8
	;; [unrolled: 1-line block ×4, first 2 shown]
	s_and_saveexec_b32 s7, vcc_lo
	s_cbranch_execz .LBB226_1940
; %bb.1939:                             ;   in Loop: Header=BB226_988 Depth=1
	v_cmp_lt_i32_e64 s4, v40, v26
	v_cndmask_b32_e64 v107, 0, v107, s4
	v_cmp_lt_i32_e64 s4, v42, v26
	v_cndmask_b32_e64 v108, 0, v108, s4
	;; [unrolled: 2-line block ×4, first 2 shown]
.LBB226_1940:                           ;   in Loop: Header=BB226_988 Depth=1
	s_or_b32 exec_lo, exec_lo, s7
	flat_load_dword v109, v[15:16] offset:1536
	v_mov_b32_e32 v19, 0
	v_mov_b32_e32 v17, 0
	;; [unrolled: 1-line block ×4, first 2 shown]
	s_waitcnt vmcnt(0) lgkmcnt(0)
	v_cmp_ne_u16_sdwa s4, v109, v7 src0_sel:BYTE_0 src1_sel:DWORD
	s_and_saveexec_b32 s7, s4
	s_cbranch_execz .LBB226_1948
; %bb.1941:                             ;   in Loop: Header=BB226_988 Depth=1
	v_bfrev_b32_e32 v17, 1
	v_mov_b32_e32 v18, 0
	v_cmp_ne_u16_sdwa s4, v109, v84 src0_sel:BYTE_0 src1_sel:DWORD
	s_and_saveexec_b32 s13, s4
	s_cbranch_execz .LBB226_1947
; %bb.1942:                             ;   in Loop: Header=BB226_988 Depth=1
	v_mov_b32_e32 v17, 0x7f800001
	v_and_b32_e32 v10, 0x7f, v109
	v_mov_b32_e32 v18, 0
	s_mov_b32 s15, exec_lo
	v_cmpx_ne_u32_e32 0x7f, v10
	s_cbranch_execz .LBB226_1946
; %bb.1943:                             ;   in Loop: Header=BB226_988 Depth=1
	v_and_b32_e32 v6, 7, v109
	v_lshrrev_b32_e32 v8, 3, v10
	s_mov_b32 s18, exec_lo
	v_cmpx_gt_u32_e32 8, v10
; %bb.1944:                             ;   in Loop: Header=BB226_988 Depth=1
	v_ffbh_u32_e32 v8, v6
	v_min_u32_e32 v8, 32, v8
	v_subrev_nc_u32_e32 v10, 28, v8
	v_sub_nc_u32_e32 v8, 29, v8
	v_lshlrev_b64 v[10:11], v10, v[6:7]
	v_and_b32_e32 v6, 7, v10
; %bb.1945:                             ;   in Loop: Header=BB226_988 Depth=1
	s_or_b32 exec_lo, exec_lo, s18
	v_lshlrev_b32_e32 v10, 24, v109
	v_lshlrev_b32_e32 v6, 20, v6
	v_lshl_add_u32 v8, v8, 23, 0x3c000000
	v_and_b32_e32 v10, 0x80000000, v10
	v_or3_b32 v6, v6, v10, v8
	v_mov_b32_e32 v18, v7
	v_mov_b32_e32 v17, v6
.LBB226_1946:                           ;   in Loop: Header=BB226_988 Depth=1
	s_or_b32 exec_lo, exec_lo, s15
.LBB226_1947:                           ;   in Loop: Header=BB226_988 Depth=1
	s_or_b32 exec_lo, exec_lo, s13
.LBB226_1948:                           ;   in Loop: Header=BB226_988 Depth=1
	s_or_b32 exec_lo, exec_lo, s7
	v_cmp_ne_u16_sdwa s4, v109, v7 src0_sel:BYTE_1 src1_sel:DWORD
	s_and_saveexec_b32 s7, s4
	s_cbranch_execz .LBB226_1956
; %bb.1949:                             ;   in Loop: Header=BB226_988 Depth=1
	v_mov_b32_e32 v8, v7
	v_mov_b32_e32 v20, v9
	v_cmp_ne_u16_sdwa s4, v109, v84 src0_sel:BYTE_1 src1_sel:DWORD
	v_mov_b32_e32 v19, v8
	s_and_saveexec_b32 s13, s4
	s_cbranch_execz .LBB226_1955
; %bb.1950:                             ;   in Loop: Header=BB226_988 Depth=1
	v_and_b32_sdwa v6, v120, v109 dst_sel:DWORD dst_unused:UNUSED_PAD src0_sel:DWORD src1_sel:BYTE_1
	v_mov_b32_e32 v11, v7
	v_mov_b32_e32 v20, v12
	s_mov_b32 s15, exec_lo
	v_and_b32_e32 v10, 0x7f, v6
	v_mov_b32_e32 v19, v11
	v_cmpx_ne_u32_e32 0x7f, v10
	s_cbranch_execz .LBB226_1954
; %bb.1951:                             ;   in Loop: Header=BB226_988 Depth=1
	v_and_b32_e32 v6, 7, v6
	v_lshrrev_b32_e32 v8, 3, v10
	s_mov_b32 s18, exec_lo
	v_cmpx_gt_u32_e32 8, v10
; %bb.1952:                             ;   in Loop: Header=BB226_988 Depth=1
	v_ffbh_u32_e32 v8, v6
	v_min_u32_e32 v8, 32, v8
	v_subrev_nc_u32_e32 v10, 28, v8
	v_sub_nc_u32_e32 v8, 29, v8
	v_lshlrev_b64 v[10:11], v10, v[6:7]
	v_and_b32_e32 v6, 7, v10
; %bb.1953:                             ;   in Loop: Header=BB226_988 Depth=1
	s_or_b32 exec_lo, exec_lo, s18
	v_lshlrev_b32_e32 v10, 16, v109
	v_lshlrev_b32_e32 v6, 20, v6
	v_lshl_add_u32 v8, v8, 23, 0x3c000000
	v_mov_b32_e32 v19, v7
	v_and_b32_e32 v10, 0x80000000, v10
	v_or3_b32 v20, v6, v10, v8
.LBB226_1954:                           ;   in Loop: Header=BB226_988 Depth=1
	s_or_b32 exec_lo, exec_lo, s15
.LBB226_1955:                           ;   in Loop: Header=BB226_988 Depth=1
	s_or_b32 exec_lo, exec_lo, s13
.LBB226_1956:                           ;   in Loop: Header=BB226_988 Depth=1
	s_or_b32 exec_lo, exec_lo, s7
	v_mov_b32_e32 v10, 0
	v_mov_b32_e32 v21, 0
	v_and_b32_sdwa v6, v109, v86 dst_sel:DWORD dst_unused:UNUSED_PAD src0_sel:WORD_1 src1_sel:DWORD
	v_mov_b32_e32 v11, 0
	v_mov_b32_e32 v22, 0
	s_mov_b32 s7, exec_lo
	v_cmpx_ne_u16_e32 0, v6
	s_cbranch_execz .LBB226_1964
; %bb.1957:                             ;   in Loop: Header=BB226_988 Depth=1
	v_bfrev_b32_e32 v21, 1
	v_mov_b32_e32 v22, 0
	s_mov_b32 s13, exec_lo
	v_cmpx_ne_u16_e32 0x80, v6
	s_cbranch_execz .LBB226_1963
; %bb.1958:                             ;   in Loop: Header=BB226_988 Depth=1
	v_mov_b32_e32 v21, 0x7f800001
	v_bfe_u32 v110, v109, 16, 7
	v_mov_b32_e32 v22, 0
	s_mov_b32 s15, exec_lo
	v_cmpx_ne_u32_e32 0x7f, v110
	s_cbranch_execz .LBB226_1962
; %bb.1959:                             ;   in Loop: Header=BB226_988 Depth=1
	v_mov_b32_e32 v6, 7
	v_lshrrev_b32_e32 v8, 3, v110
	s_mov_b32 s18, exec_lo
	v_and_b32_sdwa v6, v109, v6 dst_sel:DWORD dst_unused:UNUSED_PAD src0_sel:WORD_1 src1_sel:DWORD
	v_cmpx_gt_u32_e32 8, v110
; %bb.1960:                             ;   in Loop: Header=BB226_988 Depth=1
	v_ffbh_u32_e32 v8, v6
	v_min_u32_e32 v8, 32, v8
	v_subrev_nc_u32_e32 v21, 28, v8
	v_sub_nc_u32_e32 v8, 29, v8
	v_lshlrev_b64 v[21:22], v21, v[6:7]
	v_and_b32_e32 v6, 7, v21
; %bb.1961:                             ;   in Loop: Header=BB226_988 Depth=1
	s_or_b32 exec_lo, exec_lo, s18
	v_mov_b32_e32 v21, 24
	v_lshlrev_b32_e32 v6, 20, v6
	v_lshl_add_u32 v8, v8, 23, 0x3c000000
	v_lshlrev_b32_sdwa v21, v21, v109 dst_sel:DWORD dst_unused:UNUSED_PAD src0_sel:DWORD src1_sel:WORD_1
	v_and_b32_e32 v21, 0x80000000, v21
	v_or3_b32 v6, v6, v21, v8
	v_mov_b32_e32 v22, v7
	v_mov_b32_e32 v21, v6
.LBB226_1962:                           ;   in Loop: Header=BB226_988 Depth=1
	s_or_b32 exec_lo, exec_lo, s15
.LBB226_1963:                           ;   in Loop: Header=BB226_988 Depth=1
	s_or_b32 exec_lo, exec_lo, s13
.LBB226_1964:                           ;   in Loop: Header=BB226_988 Depth=1
	s_or_b32 exec_lo, exec_lo, s7
	s_mov_b32 s7, exec_lo
	v_cmpx_lt_u32_e32 0xffffff, v109
	s_cbranch_execz .LBB226_1972
; %bb.1965:                             ;   in Loop: Header=BB226_988 Depth=1
	v_mov_b32_e32 v8, v7
	v_mov_b32_e32 v11, v9
	v_cmp_ne_u32_sdwa s4, v109, v84 src0_sel:BYTE_3 src1_sel:DWORD
	v_mov_b32_e32 v10, v8
	s_and_saveexec_b32 s13, s4
	s_cbranch_execz .LBB226_1971
; %bb.1966:                             ;   in Loop: Header=BB226_988 Depth=1
	v_mov_b32_e32 v11, v7
	v_bfe_u32 v110, v109, 24, 7
	s_mov_b32 s15, exec_lo
	v_mov_b32_e32 v10, v11
	v_mov_b32_e32 v11, v12
	v_cmpx_ne_u32_e32 0x7f, v110
	s_cbranch_execz .LBB226_1970
; %bb.1967:                             ;   in Loop: Header=BB226_988 Depth=1
	v_mov_b32_e32 v6, 7
	v_lshrrev_b32_e32 v8, 3, v110
	s_mov_b32 s18, exec_lo
	v_and_b32_sdwa v6, v109, v6 dst_sel:DWORD dst_unused:UNUSED_PAD src0_sel:BYTE_3 src1_sel:DWORD
	v_cmpx_gt_u32_e32 8, v110
; %bb.1968:                             ;   in Loop: Header=BB226_988 Depth=1
	v_ffbh_u32_e32 v8, v6
	v_min_u32_e32 v8, 32, v8
	v_subrev_nc_u32_e32 v10, 28, v8
	v_sub_nc_u32_e32 v8, 29, v8
	v_lshlrev_b64 v[10:11], v10, v[6:7]
	v_and_b32_e32 v6, 7, v10
; %bb.1969:                             ;   in Loop: Header=BB226_988 Depth=1
	s_or_b32 exec_lo, exec_lo, s18
	v_mov_b32_e32 v10, 24
	v_lshlrev_b32_e32 v6, 20, v6
	v_lshl_add_u32 v8, v8, 23, 0x3c000000
	v_lshlrev_b32_sdwa v10, v10, v109 dst_sel:DWORD dst_unused:UNUSED_PAD src0_sel:DWORD src1_sel:BYTE_3
	v_and_b32_e32 v10, 0x80000000, v10
	v_or3_b32 v11, v6, v10, v8
	v_mov_b32_e32 v10, v7
.LBB226_1970:                           ;   in Loop: Header=BB226_988 Depth=1
	s_or_b32 exec_lo, exec_lo, s15
.LBB226_1971:                           ;   in Loop: Header=BB226_988 Depth=1
	s_or_b32 exec_lo, exec_lo, s13
.LBB226_1972:                           ;   in Loop: Header=BB226_988 Depth=1
	s_or_b32 exec_lo, exec_lo, s7
	v_or_b32_e32 v6, v20, v18
	v_or_b32_e32 v8, v19, v17
	;; [unrolled: 1-line block ×4, first 2 shown]
	v_mul_f32_e32 v110, v99, v6
	v_mul_f32_e32 v109, v83, v8
	v_mul_f32_e32 v22, v83, v10
	v_mul_f32_e32 v21, v99, v11
	s_and_saveexec_b32 s7, vcc_lo
	s_cbranch_execz .LBB226_1974
; %bb.1973:                             ;   in Loop: Header=BB226_988 Depth=1
	v_cmp_lt_i32_e64 s4, v40, v26
	v_cndmask_b32_e64 v109, 0, v109, s4
	v_cmp_lt_i32_e64 s4, v42, v26
	v_cndmask_b32_e64 v110, 0, v110, s4
	v_cmp_lt_i32_e64 s4, v41, v26
	v_cndmask_b32_e64 v22, 0, v22, s4
	v_cmp_lt_i32_e64 s4, v97, v26
	v_cndmask_b32_e64 v21, 0, v21, s4
.LBB226_1974:                           ;   in Loop: Header=BB226_988 Depth=1
	s_or_b32 exec_lo, exec_lo, s7
	flat_load_dword v111, v[15:16] offset:1664
	v_mov_b32_e32 v17, 0
	v_mov_b32_e32 v15, 0
	;; [unrolled: 1-line block ×4, first 2 shown]
	s_waitcnt vmcnt(0) lgkmcnt(0)
	v_cmp_ne_u16_sdwa s4, v111, v7 src0_sel:BYTE_0 src1_sel:DWORD
	s_and_saveexec_b32 s7, s4
	s_cbranch_execz .LBB226_1982
; %bb.1975:                             ;   in Loop: Header=BB226_988 Depth=1
	v_bfrev_b32_e32 v15, 1
	v_mov_b32_e32 v16, 0
	v_cmp_ne_u16_sdwa s4, v111, v84 src0_sel:BYTE_0 src1_sel:DWORD
	s_and_saveexec_b32 s13, s4
	s_cbranch_execz .LBB226_1981
; %bb.1976:                             ;   in Loop: Header=BB226_988 Depth=1
	v_mov_b32_e32 v15, 0x7f800001
	v_and_b32_e32 v10, 0x7f, v111
	v_mov_b32_e32 v16, 0
	s_mov_b32 s15, exec_lo
	v_cmpx_ne_u32_e32 0x7f, v10
	s_cbranch_execz .LBB226_1980
; %bb.1977:                             ;   in Loop: Header=BB226_988 Depth=1
	v_and_b32_e32 v6, 7, v111
	v_lshrrev_b32_e32 v8, 3, v10
	s_mov_b32 s18, exec_lo
	v_cmpx_gt_u32_e32 8, v10
; %bb.1978:                             ;   in Loop: Header=BB226_988 Depth=1
	v_ffbh_u32_e32 v8, v6
	v_min_u32_e32 v8, 32, v8
	v_subrev_nc_u32_e32 v10, 28, v8
	v_sub_nc_u32_e32 v8, 29, v8
	v_lshlrev_b64 v[10:11], v10, v[6:7]
	v_and_b32_e32 v6, 7, v10
; %bb.1979:                             ;   in Loop: Header=BB226_988 Depth=1
	s_or_b32 exec_lo, exec_lo, s18
	v_lshlrev_b32_e32 v10, 24, v111
	v_lshlrev_b32_e32 v6, 20, v6
	v_lshl_add_u32 v8, v8, 23, 0x3c000000
	v_and_b32_e32 v10, 0x80000000, v10
	v_or3_b32 v6, v6, v10, v8
	v_mov_b32_e32 v16, v7
	v_mov_b32_e32 v15, v6
.LBB226_1980:                           ;   in Loop: Header=BB226_988 Depth=1
	s_or_b32 exec_lo, exec_lo, s15
.LBB226_1981:                           ;   in Loop: Header=BB226_988 Depth=1
	s_or_b32 exec_lo, exec_lo, s13
.LBB226_1982:                           ;   in Loop: Header=BB226_988 Depth=1
	s_or_b32 exec_lo, exec_lo, s7
	v_cmp_ne_u16_sdwa s4, v111, v7 src0_sel:BYTE_1 src1_sel:DWORD
	s_and_saveexec_b32 s7, s4
	s_cbranch_execz .LBB226_1990
; %bb.1983:                             ;   in Loop: Header=BB226_988 Depth=1
	v_mov_b32_e32 v8, v7
	v_mov_b32_e32 v18, v9
	v_cmp_ne_u16_sdwa s4, v111, v84 src0_sel:BYTE_1 src1_sel:DWORD
	v_mov_b32_e32 v17, v8
	s_and_saveexec_b32 s13, s4
	s_cbranch_execz .LBB226_1989
; %bb.1984:                             ;   in Loop: Header=BB226_988 Depth=1
	v_and_b32_sdwa v6, v120, v111 dst_sel:DWORD dst_unused:UNUSED_PAD src0_sel:DWORD src1_sel:BYTE_1
	v_mov_b32_e32 v11, v7
	v_mov_b32_e32 v18, v12
	s_mov_b32 s15, exec_lo
	v_and_b32_e32 v10, 0x7f, v6
	v_mov_b32_e32 v17, v11
	v_cmpx_ne_u32_e32 0x7f, v10
	s_cbranch_execz .LBB226_1988
; %bb.1985:                             ;   in Loop: Header=BB226_988 Depth=1
	v_and_b32_e32 v6, 7, v6
	v_lshrrev_b32_e32 v8, 3, v10
	s_mov_b32 s18, exec_lo
	v_cmpx_gt_u32_e32 8, v10
; %bb.1986:                             ;   in Loop: Header=BB226_988 Depth=1
	v_ffbh_u32_e32 v8, v6
	v_min_u32_e32 v8, 32, v8
	v_subrev_nc_u32_e32 v10, 28, v8
	v_sub_nc_u32_e32 v8, 29, v8
	v_lshlrev_b64 v[10:11], v10, v[6:7]
	v_and_b32_e32 v6, 7, v10
; %bb.1987:                             ;   in Loop: Header=BB226_988 Depth=1
	s_or_b32 exec_lo, exec_lo, s18
	v_lshlrev_b32_e32 v10, 16, v111
	v_lshlrev_b32_e32 v6, 20, v6
	v_lshl_add_u32 v8, v8, 23, 0x3c000000
	v_mov_b32_e32 v17, v7
	v_and_b32_e32 v10, 0x80000000, v10
	v_or3_b32 v18, v6, v10, v8
.LBB226_1988:                           ;   in Loop: Header=BB226_988 Depth=1
	s_or_b32 exec_lo, exec_lo, s15
.LBB226_1989:                           ;   in Loop: Header=BB226_988 Depth=1
	s_or_b32 exec_lo, exec_lo, s13
.LBB226_1990:                           ;   in Loop: Header=BB226_988 Depth=1
	s_or_b32 exec_lo, exec_lo, s7
	v_mov_b32_e32 v10, 0
	v_mov_b32_e32 v19, 0
	v_and_b32_sdwa v6, v111, v86 dst_sel:DWORD dst_unused:UNUSED_PAD src0_sel:WORD_1 src1_sel:DWORD
	v_mov_b32_e32 v11, 0
	v_mov_b32_e32 v20, 0
	s_mov_b32 s7, exec_lo
	v_cmpx_ne_u16_e32 0, v6
	s_cbranch_execz .LBB226_1998
; %bb.1991:                             ;   in Loop: Header=BB226_988 Depth=1
	v_bfrev_b32_e32 v19, 1
	v_mov_b32_e32 v20, 0
	s_mov_b32 s13, exec_lo
	v_cmpx_ne_u16_e32 0x80, v6
	s_cbranch_execz .LBB226_1997
; %bb.1992:                             ;   in Loop: Header=BB226_988 Depth=1
	v_mov_b32_e32 v19, 0x7f800001
	v_bfe_u32 v120, v111, 16, 7
	v_mov_b32_e32 v20, 0
	s_mov_b32 s15, exec_lo
	v_cmpx_ne_u32_e32 0x7f, v120
	s_cbranch_execz .LBB226_1996
; %bb.1993:                             ;   in Loop: Header=BB226_988 Depth=1
	v_mov_b32_e32 v6, 7
	v_lshrrev_b32_e32 v8, 3, v120
	s_mov_b32 s18, exec_lo
	v_and_b32_sdwa v6, v111, v6 dst_sel:DWORD dst_unused:UNUSED_PAD src0_sel:WORD_1 src1_sel:DWORD
	v_cmpx_gt_u32_e32 8, v120
; %bb.1994:                             ;   in Loop: Header=BB226_988 Depth=1
	v_ffbh_u32_e32 v8, v6
	v_min_u32_e32 v8, 32, v8
	v_subrev_nc_u32_e32 v19, 28, v8
	v_sub_nc_u32_e32 v8, 29, v8
	v_lshlrev_b64 v[19:20], v19, v[6:7]
	v_and_b32_e32 v6, 7, v19
; %bb.1995:                             ;   in Loop: Header=BB226_988 Depth=1
	s_or_b32 exec_lo, exec_lo, s18
	v_mov_b32_e32 v19, 24
	v_lshlrev_b32_e32 v6, 20, v6
	v_lshl_add_u32 v8, v8, 23, 0x3c000000
	v_lshlrev_b32_sdwa v19, v19, v111 dst_sel:DWORD dst_unused:UNUSED_PAD src0_sel:DWORD src1_sel:WORD_1
	v_and_b32_e32 v19, 0x80000000, v19
	v_or3_b32 v6, v6, v19, v8
	v_mov_b32_e32 v20, v7
	v_mov_b32_e32 v19, v6
.LBB226_1996:                           ;   in Loop: Header=BB226_988 Depth=1
	s_or_b32 exec_lo, exec_lo, s15
	v_mov_b32_e32 v120, 0xffff
.LBB226_1997:                           ;   in Loop: Header=BB226_988 Depth=1
	s_or_b32 exec_lo, exec_lo, s13
.LBB226_1998:                           ;   in Loop: Header=BB226_988 Depth=1
	s_or_b32 exec_lo, exec_lo, s7
	s_mov_b32 s7, exec_lo
	v_cmpx_lt_u32_e32 0xffffff, v111
	s_cbranch_execz .LBB226_2006
; %bb.1999:                             ;   in Loop: Header=BB226_988 Depth=1
	v_mov_b32_e32 v8, v7
	v_mov_b32_e32 v11, v9
	v_cmp_ne_u32_sdwa s4, v111, v84 src0_sel:BYTE_3 src1_sel:DWORD
	v_mov_b32_e32 v10, v8
	s_and_saveexec_b32 s13, s4
	s_cbranch_execz .LBB226_2005
; %bb.2000:                             ;   in Loop: Header=BB226_988 Depth=1
	v_mov_b32_e32 v11, v7
	v_bfe_u32 v120, v111, 24, 7
	s_mov_b32 s15, exec_lo
	v_mov_b32_e32 v10, v11
	v_mov_b32_e32 v11, v12
	v_cmpx_ne_u32_e32 0x7f, v120
	s_cbranch_execz .LBB226_2004
; %bb.2001:                             ;   in Loop: Header=BB226_988 Depth=1
	v_mov_b32_e32 v6, 7
	v_lshrrev_b32_e32 v8, 3, v120
	s_mov_b32 s18, exec_lo
	v_and_b32_sdwa v6, v111, v6 dst_sel:DWORD dst_unused:UNUSED_PAD src0_sel:BYTE_3 src1_sel:DWORD
	v_cmpx_gt_u32_e32 8, v120
; %bb.2002:                             ;   in Loop: Header=BB226_988 Depth=1
	v_ffbh_u32_e32 v8, v6
	v_min_u32_e32 v8, 32, v8
	v_subrev_nc_u32_e32 v10, 28, v8
	v_sub_nc_u32_e32 v8, 29, v8
	v_lshlrev_b64 v[10:11], v10, v[6:7]
	v_and_b32_e32 v6, 7, v10
; %bb.2003:                             ;   in Loop: Header=BB226_988 Depth=1
	s_or_b32 exec_lo, exec_lo, s18
	v_mov_b32_e32 v10, 24
	v_lshlrev_b32_e32 v6, 20, v6
	v_lshl_add_u32 v8, v8, 23, 0x3c000000
	v_lshlrev_b32_sdwa v10, v10, v111 dst_sel:DWORD dst_unused:UNUSED_PAD src0_sel:DWORD src1_sel:BYTE_3
	v_and_b32_e32 v10, 0x80000000, v10
	v_or3_b32 v11, v6, v10, v8
	v_mov_b32_e32 v10, v7
.LBB226_2004:                           ;   in Loop: Header=BB226_988 Depth=1
	s_or_b32 exec_lo, exec_lo, s15
	v_mov_b32_e32 v120, 0xffff
.LBB226_2005:                           ;   in Loop: Header=BB226_988 Depth=1
	s_or_b32 exec_lo, exec_lo, s13
.LBB226_2006:                           ;   in Loop: Header=BB226_988 Depth=1
	s_or_b32 exec_lo, exec_lo, s7
	v_or_b32_e32 v6, v18, v16
	v_or_b32_e32 v8, v17, v15
	;; [unrolled: 1-line block ×4, first 2 shown]
	v_mul_f32_e32 v11, v99, v6
	v_mul_f32_e32 v10, v83, v8
	;; [unrolled: 1-line block ×4, first 2 shown]
	s_and_saveexec_b32 s4, vcc_lo
	s_cbranch_execz .LBB226_987
; %bb.2007:                             ;   in Loop: Header=BB226_988 Depth=1
	v_cmp_lt_i32_e32 vcc_lo, v40, v26
	v_cndmask_b32_e32 v10, 0, v10, vcc_lo
	v_cmp_lt_i32_e32 vcc_lo, v42, v26
	v_cndmask_b32_e32 v11, 0, v11, vcc_lo
	;; [unrolled: 2-line block ×4, first 2 shown]
	s_branch .LBB226_987
.LBB226_2008:
	s_or_b32 exec_lo, exec_lo, s6
	s_clause 0x3
	buffer_load_dword v96, off, s[0:3], s32 offset:604
	buffer_load_dword v97, off, s[0:3], s32 offset:612
	;; [unrolled: 1-line block ×4, first 2 shown]
	v_mov_b32_e32 v0, s16
	v_mov_b32_e32 v1, s17
.LBB226_2009:
	s_or_b32 exec_lo, exec_lo, s5
	v_lshlrev_b64 v[0:1], 2, v[0:1]
	s_getpc_b64 s[4:5]
	s_add_u32 s4, s4, llvm.amdgcn.dynlds.offset.table@rel32@lo+4
	s_addc_u32 s5, s5, llvm.amdgcn.dynlds.offset.table@rel32@hi+12
	s_waitcnt vmcnt(0)
	s_waitcnt_vscnt null, 0x0
	s_barrier
	buffer_gl0_inv
	ds_bpermute_b32 v2, v84, v81
	v_add_co_u32 v0, vcc_lo, s4, v0
	v_add_co_ci_u32_e64 v1, null, s5, v1, vcc_lo
	ds_bpermute_b32 v3, v84, v71
	ds_bpermute_b32 v4, v84, v70
	;; [unrolled: 1-line block ×3, first 2 shown]
	global_load_dword v83, v[0:1], off
	ds_bpermute_b32 v0, v84, v80
	ds_bpermute_b32 v1, v84, v82
	ds_bpermute_b32 v6, v84, v68
	ds_bpermute_b32 v7, v84, v67
	ds_bpermute_b32 v8, v84, v66
	ds_bpermute_b32 v9, v84, v65
	ds_bpermute_b32 v10, v84, v64
	ds_bpermute_b32 v11, v84, v55
	ds_bpermute_b32 v12, v84, v54
	ds_bpermute_b32 v13, v84, v53
	ds_bpermute_b32 v14, v84, v52
	ds_bpermute_b32 v15, v84, v51
	ds_bpermute_b32 v16, v84, v50
	ds_bpermute_b32 v17, v84, v49
	ds_bpermute_b32 v18, v84, v48
	ds_bpermute_b32 v19, v84, v39
	ds_bpermute_b32 v20, v84, v38
	ds_bpermute_b32 v21, v84, v37
	ds_bpermute_b32 v22, v84, v36
	ds_bpermute_b32 v23, v84, v35
	ds_bpermute_b32 v24, v84, v34
	ds_bpermute_b32 v25, v84, v33
	ds_bpermute_b32 v26, v84, v32
	ds_bpermute_b32 v27, v84, v31
	ds_bpermute_b32 v28, v84, v30
	ds_bpermute_b32 v86, v84, v29
	s_clause 0x2
	buffer_load_dword v84, off, s[0:3], s32 offset:1276
	buffer_load_dword v85, off, s[0:3], s32 offset:1280
	;; [unrolled: 1-line block ×3, first 2 shown]
	s_waitcnt lgkmcnt(25)
	v_add_f32_e32 v0, v80, v0
	s_waitcnt lgkmcnt(24)
	v_add_f32_e32 v1, v82, v1
	v_add_f32_e32 v2, v81, v2
	;; [unrolled: 1-line block ×5, first 2 shown]
	s_waitcnt lgkmcnt(23)
	v_add_f32_e32 v6, v68, v6
	s_waitcnt lgkmcnt(22)
	v_add_f32_e32 v7, v67, v7
	;; [unrolled: 2-line block ×24, first 2 shown]
	ds_bpermute_b32 v30, v97, v0
	ds_bpermute_b32 v31, v97, v1
	;; [unrolled: 1-line block ×30, first 2 shown]
	s_waitcnt lgkmcnt(29)
	v_add_f32_e32 v0, v0, v30
	s_waitcnt lgkmcnt(28)
	v_add_f32_e32 v1, v1, v31
	;; [unrolled: 2-line block ×30, first 2 shown]
	ds_bpermute_b32 v30, v96, v0
	ds_bpermute_b32 v31, v96, v1
	ds_bpermute_b32 v32, v96, v2
	ds_bpermute_b32 v33, v96, v3
	ds_bpermute_b32 v34, v96, v4
	ds_bpermute_b32 v35, v96, v5
	ds_bpermute_b32 v36, v96, v6
	ds_bpermute_b32 v37, v96, v7
	ds_bpermute_b32 v38, v96, v8
	ds_bpermute_b32 v39, v96, v9
	ds_bpermute_b32 v48, v96, v10
	ds_bpermute_b32 v49, v96, v11
	ds_bpermute_b32 v50, v96, v12
	ds_bpermute_b32 v51, v96, v13
	ds_bpermute_b32 v52, v96, v14
	ds_bpermute_b32 v53, v96, v15
	ds_bpermute_b32 v54, v96, v16
	ds_bpermute_b32 v55, v96, v17
	ds_bpermute_b32 v64, v96, v18
	ds_bpermute_b32 v65, v96, v19
	ds_bpermute_b32 v66, v96, v20
	ds_bpermute_b32 v67, v96, v21
	ds_bpermute_b32 v68, v96, v22
	ds_bpermute_b32 v69, v96, v23
	ds_bpermute_b32 v70, v96, v24
	ds_bpermute_b32 v71, v96, v25
	ds_bpermute_b32 v80, v96, v26
	ds_bpermute_b32 v81, v96, v27
	ds_bpermute_b32 v82, v96, v28
	ds_bpermute_b32 v86, v96, v29
	s_waitcnt lgkmcnt(29)
	v_add_f32_e32 v0, v0, v30
	s_waitcnt lgkmcnt(28)
	v_add_f32_e32 v1, v1, v31
	;; [unrolled: 2-line block ×30, first 2 shown]
	s_mov_b32 s4, exec_lo
	s_waitcnt vmcnt(2)
	v_lshrrev_b32_e32 v84, 3, v84
	s_waitcnt vmcnt(1)
	v_mul_u32_u24_e32 v85, 0x1e0, v85
	s_waitcnt vmcnt(0)
	v_and_b32_e32 v87, 0x3c7, v87
	v_lshl_add_u32 v31, v84, 2, v83
	v_cmpx_eq_u32_e32 64, v87
	s_cbranch_execz .LBB226_2011
; %bb.2010:
	v_add_nc_u32_e32 v30, v31, v85
	v_add_nc_u32_e32 v32, 0xfffffc40, v30
	v_add_nc_u32_e32 v33, 0xfffffc50, v30
	v_add_nc_u32_e32 v34, 0xfffffc60, v30
	v_add_nc_u32_e32 v35, 0xfffffc70, v30
	v_add_nc_u32_e32 v36, 0xfffffc80, v30
	ds_write_b32 v32, v0
	ds_write_b32 v33, v1
	ds_write_b32 v34, v2
	ds_write_b32 v35, v3
	ds_write_b32 v36, v4
	v_add_nc_u32_e32 v32, 0xfffffc90, v30
	v_add_nc_u32_e32 v33, 0xfffffca0, v30
	v_add_nc_u32_e32 v34, 0xfffffcb0, v30
	v_add_nc_u32_e32 v35, 0xfffffcc0, v30
	v_add_nc_u32_e32 v36, 0xfffffcd0, v30
	ds_write_b32 v32, v5
	ds_write_b32 v33, v6
	ds_write_b32 v34, v7
	ds_write_b32 v35, v8
	ds_write_b32 v36, v9
	v_add_nc_u32_e32 v32, 0xfffffce0, v30
	v_add_nc_u32_e32 v33, 0xfffffcf0, v30
	v_add_nc_u32_e32 v34, 0xfffffd00, v30
	v_add_nc_u32_e32 v35, 0xfffffd10, v30
	v_add_nc_u32_e32 v36, 0xfffffd20, v30
	;; [unrolled: 10-line block ×5, first 2 shown]
	ds_write_b32 v32, v25
	ds_write_b32 v33, v26
	;; [unrolled: 1-line block ×5, first 2 shown]
.LBB226_2011:
	s_or_b32 exec_lo, exec_lo, s4
	buffer_load_dword v32, off, s[0:3], s32 offset:1272 ; 4-byte Folded Reload
	v_lshlrev_b32_e32 v30, 2, v84
	s_mov_b32 s5, exec_lo
	v_cmp_eq_u32_e32 vcc_lo, 0, v98
	s_waitcnt vmcnt(0) lgkmcnt(0)
	s_barrier
	v_add3_u32 v30, v83, v85, v30
	buffer_gl0_inv
	v_cmpx_gt_u32_e32 64, v32
	s_cbranch_execz .LBB226_2044
; %bb.2012:
	s_and_saveexec_b32 s4, vcc_lo
	s_cbranch_execnz .LBB226_2082
; %bb.2013:
	s_or_b32 exec_lo, exec_lo, s4
	s_and_saveexec_b32 s4, vcc_lo
	s_cbranch_execnz .LBB226_2083
.LBB226_2014:
	s_or_b32 exec_lo, exec_lo, s4
	s_and_saveexec_b32 s4, vcc_lo
	s_cbranch_execnz .LBB226_2084
.LBB226_2015:
	s_or_b32 exec_lo, exec_lo, s4
	s_and_saveexec_b32 s4, vcc_lo
	s_cbranch_execnz .LBB226_2085
.LBB226_2016:
	s_or_b32 exec_lo, exec_lo, s4
	s_and_saveexec_b32 s4, vcc_lo
	s_cbranch_execnz .LBB226_2086
.LBB226_2017:
	s_or_b32 exec_lo, exec_lo, s4
	s_and_saveexec_b32 s4, vcc_lo
	s_cbranch_execnz .LBB226_2087
.LBB226_2018:
	s_or_b32 exec_lo, exec_lo, s4
	s_and_saveexec_b32 s4, vcc_lo
	s_cbranch_execnz .LBB226_2088
.LBB226_2019:
	s_or_b32 exec_lo, exec_lo, s4
	s_and_saveexec_b32 s4, vcc_lo
	s_cbranch_execnz .LBB226_2089
.LBB226_2020:
	s_or_b32 exec_lo, exec_lo, s4
	s_and_saveexec_b32 s4, vcc_lo
	s_cbranch_execnz .LBB226_2090
.LBB226_2021:
	s_or_b32 exec_lo, exec_lo, s4
	s_and_saveexec_b32 s4, vcc_lo
	s_cbranch_execnz .LBB226_2091
.LBB226_2022:
	s_or_b32 exec_lo, exec_lo, s4
	s_and_saveexec_b32 s4, vcc_lo
	s_cbranch_execnz .LBB226_2092
.LBB226_2023:
	s_or_b32 exec_lo, exec_lo, s4
	s_and_saveexec_b32 s4, vcc_lo
	s_cbranch_execnz .LBB226_2093
.LBB226_2024:
	s_or_b32 exec_lo, exec_lo, s4
	s_and_saveexec_b32 s4, vcc_lo
	s_cbranch_execnz .LBB226_2094
.LBB226_2025:
	s_or_b32 exec_lo, exec_lo, s4
	s_and_saveexec_b32 s4, vcc_lo
	s_cbranch_execnz .LBB226_2095
.LBB226_2026:
	s_or_b32 exec_lo, exec_lo, s4
	s_and_saveexec_b32 s4, vcc_lo
	s_cbranch_execnz .LBB226_2096
.LBB226_2027:
	s_or_b32 exec_lo, exec_lo, s4
	s_and_saveexec_b32 s4, vcc_lo
	s_cbranch_execnz .LBB226_2097
.LBB226_2028:
	s_or_b32 exec_lo, exec_lo, s4
	s_and_saveexec_b32 s4, vcc_lo
	s_cbranch_execnz .LBB226_2098
.LBB226_2029:
	s_or_b32 exec_lo, exec_lo, s4
	s_and_saveexec_b32 s4, vcc_lo
	s_cbranch_execnz .LBB226_2099
.LBB226_2030:
	s_or_b32 exec_lo, exec_lo, s4
	s_and_saveexec_b32 s4, vcc_lo
	s_cbranch_execnz .LBB226_2100
.LBB226_2031:
	s_or_b32 exec_lo, exec_lo, s4
	s_and_saveexec_b32 s4, vcc_lo
	s_cbranch_execnz .LBB226_2101
.LBB226_2032:
	s_or_b32 exec_lo, exec_lo, s4
	s_and_saveexec_b32 s4, vcc_lo
	s_cbranch_execnz .LBB226_2102
.LBB226_2033:
	s_or_b32 exec_lo, exec_lo, s4
	s_and_saveexec_b32 s4, vcc_lo
	s_cbranch_execnz .LBB226_2103
.LBB226_2034:
	s_or_b32 exec_lo, exec_lo, s4
	s_and_saveexec_b32 s4, vcc_lo
	s_cbranch_execnz .LBB226_2104
.LBB226_2035:
	s_or_b32 exec_lo, exec_lo, s4
	s_and_saveexec_b32 s4, vcc_lo
	s_cbranch_execnz .LBB226_2105
.LBB226_2036:
	s_or_b32 exec_lo, exec_lo, s4
	s_and_saveexec_b32 s4, vcc_lo
	s_cbranch_execnz .LBB226_2106
.LBB226_2037:
	s_or_b32 exec_lo, exec_lo, s4
	s_and_saveexec_b32 s4, vcc_lo
	s_cbranch_execnz .LBB226_2107
.LBB226_2038:
	s_or_b32 exec_lo, exec_lo, s4
	s_and_saveexec_b32 s4, vcc_lo
	s_cbranch_execnz .LBB226_2108
.LBB226_2039:
	s_or_b32 exec_lo, exec_lo, s4
	s_and_saveexec_b32 s4, vcc_lo
	s_cbranch_execnz .LBB226_2109
.LBB226_2040:
	s_or_b32 exec_lo, exec_lo, s4
	s_and_saveexec_b32 s4, vcc_lo
	s_cbranch_execnz .LBB226_2110
.LBB226_2041:
	s_or_b32 exec_lo, exec_lo, s4
	s_and_saveexec_b32 s4, vcc_lo
	s_cbranch_execz .LBB226_2043
.LBB226_2042:
	ds_read_b32 v32, v30 offset:464
	s_waitcnt lgkmcnt(0)
	v_add_f32_e32 v29, v32, v29
.LBB226_2043:
	s_or_b32 exec_lo, exec_lo, s4
.LBB226_2044:
	s_or_b32 exec_lo, exec_lo, s5
	buffer_load_dword v32, off, s[0:3], s32 offset:1272 ; 4-byte Folded Reload
	s_mov_b32 s5, exec_lo
	s_waitcnt vmcnt(0)
	s_barrier
	buffer_gl0_inv
	v_and_b32_e32 v32, 0x3e7, v32
	v_cmpx_eq_u32_e32 32, v32
	s_cbranch_execz .LBB226_2046
; %bb.2045:
	ds_write2_b32 v31, v0, v1 offset1:4
	ds_write2_b32 v31, v2, v3 offset0:8 offset1:12
	ds_write2_b32 v31, v4, v5 offset0:16 offset1:20
	;; [unrolled: 1-line block ×14, first 2 shown]
.LBB226_2046:
	s_or_b32 exec_lo, exec_lo, s5
	buffer_load_dword v31, off, s[0:3], s32 offset:1272 ; 4-byte Folded Reload
	s_mov_b32 s5, exec_lo
	s_waitcnt vmcnt(0) lgkmcnt(0)
	s_barrier
	buffer_gl0_inv
	v_cmpx_gt_u32_e32 32, v31
	s_cbranch_execz .LBB226_2079
; %bb.2047:
	s_and_saveexec_b32 s4, vcc_lo
	s_cbranch_execnz .LBB226_2111
; %bb.2048:
	s_or_b32 exec_lo, exec_lo, s4
	s_and_saveexec_b32 s4, vcc_lo
	s_cbranch_execnz .LBB226_2112
.LBB226_2049:
	s_or_b32 exec_lo, exec_lo, s4
	s_and_saveexec_b32 s4, vcc_lo
	s_cbranch_execnz .LBB226_2113
.LBB226_2050:
	s_or_b32 exec_lo, exec_lo, s4
	s_and_saveexec_b32 s4, vcc_lo
	s_cbranch_execnz .LBB226_2114
.LBB226_2051:
	s_or_b32 exec_lo, exec_lo, s4
	s_and_saveexec_b32 s4, vcc_lo
	s_cbranch_execnz .LBB226_2115
.LBB226_2052:
	s_or_b32 exec_lo, exec_lo, s4
	s_and_saveexec_b32 s4, vcc_lo
	s_cbranch_execnz .LBB226_2116
.LBB226_2053:
	s_or_b32 exec_lo, exec_lo, s4
	s_and_saveexec_b32 s4, vcc_lo
	s_cbranch_execnz .LBB226_2117
.LBB226_2054:
	s_or_b32 exec_lo, exec_lo, s4
	s_and_saveexec_b32 s4, vcc_lo
	s_cbranch_execnz .LBB226_2118
.LBB226_2055:
	s_or_b32 exec_lo, exec_lo, s4
	s_and_saveexec_b32 s4, vcc_lo
	s_cbranch_execnz .LBB226_2119
.LBB226_2056:
	s_or_b32 exec_lo, exec_lo, s4
	s_and_saveexec_b32 s4, vcc_lo
	s_cbranch_execnz .LBB226_2120
.LBB226_2057:
	s_or_b32 exec_lo, exec_lo, s4
	s_and_saveexec_b32 s4, vcc_lo
	s_cbranch_execnz .LBB226_2121
.LBB226_2058:
	s_or_b32 exec_lo, exec_lo, s4
	s_and_saveexec_b32 s4, vcc_lo
	s_cbranch_execnz .LBB226_2122
.LBB226_2059:
	s_or_b32 exec_lo, exec_lo, s4
	s_and_saveexec_b32 s4, vcc_lo
	s_cbranch_execnz .LBB226_2123
.LBB226_2060:
	s_or_b32 exec_lo, exec_lo, s4
	s_and_saveexec_b32 s4, vcc_lo
	s_cbranch_execnz .LBB226_2124
.LBB226_2061:
	s_or_b32 exec_lo, exec_lo, s4
	s_and_saveexec_b32 s4, vcc_lo
	s_cbranch_execnz .LBB226_2125
.LBB226_2062:
	s_or_b32 exec_lo, exec_lo, s4
	s_and_saveexec_b32 s4, vcc_lo
	s_cbranch_execnz .LBB226_2126
.LBB226_2063:
	s_or_b32 exec_lo, exec_lo, s4
	s_and_saveexec_b32 s4, vcc_lo
	s_cbranch_execnz .LBB226_2127
.LBB226_2064:
	s_or_b32 exec_lo, exec_lo, s4
	s_and_saveexec_b32 s4, vcc_lo
	s_cbranch_execnz .LBB226_2128
.LBB226_2065:
	s_or_b32 exec_lo, exec_lo, s4
	s_and_saveexec_b32 s4, vcc_lo
	s_cbranch_execnz .LBB226_2129
.LBB226_2066:
	s_or_b32 exec_lo, exec_lo, s4
	s_and_saveexec_b32 s4, vcc_lo
	s_cbranch_execnz .LBB226_2130
.LBB226_2067:
	s_or_b32 exec_lo, exec_lo, s4
	s_and_saveexec_b32 s4, vcc_lo
	s_cbranch_execnz .LBB226_2131
.LBB226_2068:
	s_or_b32 exec_lo, exec_lo, s4
	s_and_saveexec_b32 s4, vcc_lo
	s_cbranch_execnz .LBB226_2132
.LBB226_2069:
	s_or_b32 exec_lo, exec_lo, s4
	s_and_saveexec_b32 s4, vcc_lo
	s_cbranch_execnz .LBB226_2133
.LBB226_2070:
	s_or_b32 exec_lo, exec_lo, s4
	s_and_saveexec_b32 s4, vcc_lo
	s_cbranch_execnz .LBB226_2134
.LBB226_2071:
	s_or_b32 exec_lo, exec_lo, s4
	s_and_saveexec_b32 s4, vcc_lo
	s_cbranch_execnz .LBB226_2135
.LBB226_2072:
	s_or_b32 exec_lo, exec_lo, s4
	s_and_saveexec_b32 s4, vcc_lo
	s_cbranch_execnz .LBB226_2136
.LBB226_2073:
	s_or_b32 exec_lo, exec_lo, s4
	s_and_saveexec_b32 s4, vcc_lo
	s_cbranch_execnz .LBB226_2137
.LBB226_2074:
	s_or_b32 exec_lo, exec_lo, s4
	s_and_saveexec_b32 s4, vcc_lo
	s_cbranch_execnz .LBB226_2138
.LBB226_2075:
	s_or_b32 exec_lo, exec_lo, s4
	s_and_saveexec_b32 s4, vcc_lo
	s_cbranch_execnz .LBB226_2139
.LBB226_2076:
	s_or_b32 exec_lo, exec_lo, s4
	s_and_saveexec_b32 s4, vcc_lo
	s_cbranch_execz .LBB226_2078
.LBB226_2077:
	ds_read_b32 v30, v30 offset:464
	s_waitcnt lgkmcnt(0)
	v_add_f32_e32 v29, v30, v29
.LBB226_2078:
	s_or_b32 exec_lo, exec_lo, s4
.LBB226_2079:
	s_or_b32 exec_lo, exec_lo, s5
	s_mov_b32 s4, exec_lo
	s_barrier
	buffer_gl0_inv
	v_cmpx_eq_u32_e32 0, v32
	s_cbranch_execz .LBB226_2081
; %bb.2080:
	s_clause 0x2
	buffer_load_dword v31, off, s[0:3], s32 offset:1288
	buffer_load_dword v30, off, s[0:3], s32 offset:1272
	;; [unrolled: 1-line block ×3, first 2 shown]
	s_and_b32 s5, 0xffff, s9
	s_mul_i32 s6, s14, 0x78
	s_cmp_lg_u32 s5, 0
	s_cselect_b32 s5, -1, 0
	s_cmp_lg_u32 s5, 0
	s_addc_u32 s5, s8, 0
	s_mul_i32 s7, s5, s10
	s_mul_i32 s10, s12, s5
	;; [unrolled: 1-line block ×3, first 2 shown]
	s_ashr_i32 s11, s10, 31
	s_mulk_i32 s8, 0x78
	s_ashr_i32 s7, s6, 31
	s_ashr_i32 s9, s8, 31
	s_lshl_b64 s[6:7], s[6:7], 2
	s_lshl_b64 s[8:9], s[8:9], 2
	s_waitcnt vmcnt(2)
	v_add_co_u32 v31, vcc_lo, v31, s8
	s_waitcnt vmcnt(0)
	v_add_co_ci_u32_e64 v32, null, s9, v32, vcc_lo
	s_lshl_b64 s[8:9], s[10:11], 2
	v_lshrrev_b32_e32 v30, 1, v30
	v_add_co_u32 v31, vcc_lo, v31, s8
	v_add_co_ci_u32_e64 v32, null, s9, v32, vcc_lo
	v_add_co_u32 v31, vcc_lo, v31, s6
	v_add_co_ci_u32_e64 v32, null, s7, v32, vcc_lo
	;; [unrolled: 2-line block ×3, first 2 shown]
	flat_store_dword v[30:31], v0
	flat_store_dword v[30:31], v1 offset:16
	flat_store_dword v[30:31], v2 offset:32
	;; [unrolled: 1-line block ×29, first 2 shown]
.LBB226_2081:
	s_or_b32 exec_lo, exec_lo, s4
	s_clause 0x2f
	buffer_load_dword v127, off, s[0:3], s32
	buffer_load_dword v126, off, s[0:3], s32 offset:4
	buffer_load_dword v125, off, s[0:3], s32 offset:8
	;; [unrolled: 1-line block ×47, first 2 shown]
	s_waitcnt vmcnt(0) lgkmcnt(0)
	s_setpc_b64 s[30:31]
.LBB226_2082:
	ds_read_b32 v32, v30
	s_waitcnt lgkmcnt(0)
	v_add_f32_e32 v0, v32, v0
	s_or_b32 exec_lo, exec_lo, s4
	s_and_saveexec_b32 s4, vcc_lo
	s_cbranch_execz .LBB226_2014
.LBB226_2083:
	ds_read_b32 v32, v30 offset:16
	s_waitcnt lgkmcnt(0)
	v_add_f32_e32 v1, v32, v1
	s_or_b32 exec_lo, exec_lo, s4
	s_and_saveexec_b32 s4, vcc_lo
	s_cbranch_execz .LBB226_2015
.LBB226_2084:
	ds_read_b32 v32, v30 offset:32
	s_waitcnt lgkmcnt(0)
	v_add_f32_e32 v2, v32, v2
	s_or_b32 exec_lo, exec_lo, s4
	s_and_saveexec_b32 s4, vcc_lo
	s_cbranch_execz .LBB226_2016
.LBB226_2085:
	ds_read_b32 v32, v30 offset:48
	s_waitcnt lgkmcnt(0)
	v_add_f32_e32 v3, v32, v3
	s_or_b32 exec_lo, exec_lo, s4
	s_and_saveexec_b32 s4, vcc_lo
	s_cbranch_execz .LBB226_2017
.LBB226_2086:
	ds_read_b32 v32, v30 offset:64
	s_waitcnt lgkmcnt(0)
	v_add_f32_e32 v4, v32, v4
	s_or_b32 exec_lo, exec_lo, s4
	s_and_saveexec_b32 s4, vcc_lo
	s_cbranch_execz .LBB226_2018
.LBB226_2087:
	ds_read_b32 v32, v30 offset:80
	s_waitcnt lgkmcnt(0)
	v_add_f32_e32 v5, v32, v5
	s_or_b32 exec_lo, exec_lo, s4
	s_and_saveexec_b32 s4, vcc_lo
	s_cbranch_execz .LBB226_2019
.LBB226_2088:
	ds_read_b32 v32, v30 offset:96
	s_waitcnt lgkmcnt(0)
	v_add_f32_e32 v6, v32, v6
	s_or_b32 exec_lo, exec_lo, s4
	s_and_saveexec_b32 s4, vcc_lo
	s_cbranch_execz .LBB226_2020
.LBB226_2089:
	ds_read_b32 v32, v30 offset:112
	s_waitcnt lgkmcnt(0)
	v_add_f32_e32 v7, v32, v7
	s_or_b32 exec_lo, exec_lo, s4
	s_and_saveexec_b32 s4, vcc_lo
	s_cbranch_execz .LBB226_2021
.LBB226_2090:
	ds_read_b32 v32, v30 offset:128
	s_waitcnt lgkmcnt(0)
	v_add_f32_e32 v8, v32, v8
	s_or_b32 exec_lo, exec_lo, s4
	s_and_saveexec_b32 s4, vcc_lo
	s_cbranch_execz .LBB226_2022
.LBB226_2091:
	ds_read_b32 v32, v30 offset:144
	s_waitcnt lgkmcnt(0)
	v_add_f32_e32 v9, v32, v9
	s_or_b32 exec_lo, exec_lo, s4
	s_and_saveexec_b32 s4, vcc_lo
	s_cbranch_execz .LBB226_2023
.LBB226_2092:
	ds_read_b32 v32, v30 offset:160
	s_waitcnt lgkmcnt(0)
	v_add_f32_e32 v10, v32, v10
	s_or_b32 exec_lo, exec_lo, s4
	s_and_saveexec_b32 s4, vcc_lo
	s_cbranch_execz .LBB226_2024
.LBB226_2093:
	ds_read_b32 v32, v30 offset:176
	s_waitcnt lgkmcnt(0)
	v_add_f32_e32 v11, v32, v11
	s_or_b32 exec_lo, exec_lo, s4
	s_and_saveexec_b32 s4, vcc_lo
	s_cbranch_execz .LBB226_2025
.LBB226_2094:
	ds_read_b32 v32, v30 offset:192
	s_waitcnt lgkmcnt(0)
	v_add_f32_e32 v12, v32, v12
	s_or_b32 exec_lo, exec_lo, s4
	s_and_saveexec_b32 s4, vcc_lo
	s_cbranch_execz .LBB226_2026
.LBB226_2095:
	ds_read_b32 v32, v30 offset:208
	s_waitcnt lgkmcnt(0)
	v_add_f32_e32 v13, v32, v13
	s_or_b32 exec_lo, exec_lo, s4
	s_and_saveexec_b32 s4, vcc_lo
	s_cbranch_execz .LBB226_2027
.LBB226_2096:
	ds_read_b32 v32, v30 offset:224
	s_waitcnt lgkmcnt(0)
	v_add_f32_e32 v14, v32, v14
	s_or_b32 exec_lo, exec_lo, s4
	s_and_saveexec_b32 s4, vcc_lo
	s_cbranch_execz .LBB226_2028
.LBB226_2097:
	ds_read_b32 v32, v30 offset:240
	s_waitcnt lgkmcnt(0)
	v_add_f32_e32 v15, v32, v15
	s_or_b32 exec_lo, exec_lo, s4
	s_and_saveexec_b32 s4, vcc_lo
	s_cbranch_execz .LBB226_2029
.LBB226_2098:
	ds_read_b32 v32, v30 offset:256
	s_waitcnt lgkmcnt(0)
	v_add_f32_e32 v16, v32, v16
	s_or_b32 exec_lo, exec_lo, s4
	s_and_saveexec_b32 s4, vcc_lo
	s_cbranch_execz .LBB226_2030
.LBB226_2099:
	ds_read_b32 v32, v30 offset:272
	s_waitcnt lgkmcnt(0)
	v_add_f32_e32 v17, v32, v17
	s_or_b32 exec_lo, exec_lo, s4
	s_and_saveexec_b32 s4, vcc_lo
	s_cbranch_execz .LBB226_2031
.LBB226_2100:
	ds_read_b32 v32, v30 offset:288
	s_waitcnt lgkmcnt(0)
	v_add_f32_e32 v18, v32, v18
	s_or_b32 exec_lo, exec_lo, s4
	s_and_saveexec_b32 s4, vcc_lo
	s_cbranch_execz .LBB226_2032
.LBB226_2101:
	ds_read_b32 v32, v30 offset:304
	s_waitcnt lgkmcnt(0)
	v_add_f32_e32 v19, v32, v19
	s_or_b32 exec_lo, exec_lo, s4
	s_and_saveexec_b32 s4, vcc_lo
	s_cbranch_execz .LBB226_2033
.LBB226_2102:
	ds_read_b32 v32, v30 offset:320
	s_waitcnt lgkmcnt(0)
	v_add_f32_e32 v20, v32, v20
	s_or_b32 exec_lo, exec_lo, s4
	s_and_saveexec_b32 s4, vcc_lo
	s_cbranch_execz .LBB226_2034
.LBB226_2103:
	ds_read_b32 v32, v30 offset:336
	s_waitcnt lgkmcnt(0)
	v_add_f32_e32 v21, v32, v21
	s_or_b32 exec_lo, exec_lo, s4
	s_and_saveexec_b32 s4, vcc_lo
	s_cbranch_execz .LBB226_2035
.LBB226_2104:
	ds_read_b32 v32, v30 offset:352
	s_waitcnt lgkmcnt(0)
	v_add_f32_e32 v22, v32, v22
	s_or_b32 exec_lo, exec_lo, s4
	s_and_saveexec_b32 s4, vcc_lo
	s_cbranch_execz .LBB226_2036
.LBB226_2105:
	ds_read_b32 v32, v30 offset:368
	s_waitcnt lgkmcnt(0)
	v_add_f32_e32 v23, v32, v23
	s_or_b32 exec_lo, exec_lo, s4
	s_and_saveexec_b32 s4, vcc_lo
	s_cbranch_execz .LBB226_2037
.LBB226_2106:
	ds_read_b32 v32, v30 offset:384
	s_waitcnt lgkmcnt(0)
	v_add_f32_e32 v24, v32, v24
	s_or_b32 exec_lo, exec_lo, s4
	s_and_saveexec_b32 s4, vcc_lo
	s_cbranch_execz .LBB226_2038
.LBB226_2107:
	ds_read_b32 v32, v30 offset:400
	s_waitcnt lgkmcnt(0)
	v_add_f32_e32 v25, v32, v25
	s_or_b32 exec_lo, exec_lo, s4
	s_and_saveexec_b32 s4, vcc_lo
	s_cbranch_execz .LBB226_2039
.LBB226_2108:
	ds_read_b32 v32, v30 offset:416
	s_waitcnt lgkmcnt(0)
	v_add_f32_e32 v26, v32, v26
	s_or_b32 exec_lo, exec_lo, s4
	s_and_saveexec_b32 s4, vcc_lo
	s_cbranch_execz .LBB226_2040
.LBB226_2109:
	ds_read_b32 v32, v30 offset:432
	s_waitcnt lgkmcnt(0)
	v_add_f32_e32 v27, v32, v27
	s_or_b32 exec_lo, exec_lo, s4
	s_and_saveexec_b32 s4, vcc_lo
	s_cbranch_execz .LBB226_2041
.LBB226_2110:
	ds_read_b32 v32, v30 offset:448
	s_waitcnt lgkmcnt(0)
	v_add_f32_e32 v28, v32, v28
	s_or_b32 exec_lo, exec_lo, s4
	s_and_saveexec_b32 s4, vcc_lo
	s_cbranch_execnz .LBB226_2042
	s_branch .LBB226_2043
.LBB226_2111:
	ds_read_b32 v31, v30
	s_waitcnt lgkmcnt(0)
	v_add_f32_e32 v0, v31, v0
	s_or_b32 exec_lo, exec_lo, s4
	s_and_saveexec_b32 s4, vcc_lo
	s_cbranch_execz .LBB226_2049
.LBB226_2112:
	ds_read_b32 v31, v30 offset:16
	s_waitcnt lgkmcnt(0)
	v_add_f32_e32 v1, v31, v1
	s_or_b32 exec_lo, exec_lo, s4
	s_and_saveexec_b32 s4, vcc_lo
	s_cbranch_execz .LBB226_2050
.LBB226_2113:
	ds_read_b32 v31, v30 offset:32
	s_waitcnt lgkmcnt(0)
	v_add_f32_e32 v2, v31, v2
	s_or_b32 exec_lo, exec_lo, s4
	s_and_saveexec_b32 s4, vcc_lo
	s_cbranch_execz .LBB226_2051
.LBB226_2114:
	ds_read_b32 v31, v30 offset:48
	s_waitcnt lgkmcnt(0)
	v_add_f32_e32 v3, v31, v3
	s_or_b32 exec_lo, exec_lo, s4
	s_and_saveexec_b32 s4, vcc_lo
	s_cbranch_execz .LBB226_2052
.LBB226_2115:
	ds_read_b32 v31, v30 offset:64
	s_waitcnt lgkmcnt(0)
	v_add_f32_e32 v4, v31, v4
	s_or_b32 exec_lo, exec_lo, s4
	s_and_saveexec_b32 s4, vcc_lo
	s_cbranch_execz .LBB226_2053
.LBB226_2116:
	ds_read_b32 v31, v30 offset:80
	s_waitcnt lgkmcnt(0)
	v_add_f32_e32 v5, v31, v5
	s_or_b32 exec_lo, exec_lo, s4
	s_and_saveexec_b32 s4, vcc_lo
	s_cbranch_execz .LBB226_2054
.LBB226_2117:
	ds_read_b32 v31, v30 offset:96
	s_waitcnt lgkmcnt(0)
	v_add_f32_e32 v6, v31, v6
	s_or_b32 exec_lo, exec_lo, s4
	s_and_saveexec_b32 s4, vcc_lo
	s_cbranch_execz .LBB226_2055
.LBB226_2118:
	ds_read_b32 v31, v30 offset:112
	s_waitcnt lgkmcnt(0)
	v_add_f32_e32 v7, v31, v7
	s_or_b32 exec_lo, exec_lo, s4
	s_and_saveexec_b32 s4, vcc_lo
	s_cbranch_execz .LBB226_2056
.LBB226_2119:
	ds_read_b32 v31, v30 offset:128
	s_waitcnt lgkmcnt(0)
	v_add_f32_e32 v8, v31, v8
	s_or_b32 exec_lo, exec_lo, s4
	s_and_saveexec_b32 s4, vcc_lo
	s_cbranch_execz .LBB226_2057
.LBB226_2120:
	ds_read_b32 v31, v30 offset:144
	s_waitcnt lgkmcnt(0)
	v_add_f32_e32 v9, v31, v9
	s_or_b32 exec_lo, exec_lo, s4
	s_and_saveexec_b32 s4, vcc_lo
	s_cbranch_execz .LBB226_2058
.LBB226_2121:
	ds_read_b32 v31, v30 offset:160
	s_waitcnt lgkmcnt(0)
	v_add_f32_e32 v10, v31, v10
	s_or_b32 exec_lo, exec_lo, s4
	s_and_saveexec_b32 s4, vcc_lo
	s_cbranch_execz .LBB226_2059
.LBB226_2122:
	ds_read_b32 v31, v30 offset:176
	s_waitcnt lgkmcnt(0)
	v_add_f32_e32 v11, v31, v11
	s_or_b32 exec_lo, exec_lo, s4
	s_and_saveexec_b32 s4, vcc_lo
	s_cbranch_execz .LBB226_2060
.LBB226_2123:
	ds_read_b32 v31, v30 offset:192
	s_waitcnt lgkmcnt(0)
	v_add_f32_e32 v12, v31, v12
	s_or_b32 exec_lo, exec_lo, s4
	s_and_saveexec_b32 s4, vcc_lo
	s_cbranch_execz .LBB226_2061
.LBB226_2124:
	ds_read_b32 v31, v30 offset:208
	s_waitcnt lgkmcnt(0)
	v_add_f32_e32 v13, v31, v13
	s_or_b32 exec_lo, exec_lo, s4
	s_and_saveexec_b32 s4, vcc_lo
	s_cbranch_execz .LBB226_2062
.LBB226_2125:
	ds_read_b32 v31, v30 offset:224
	s_waitcnt lgkmcnt(0)
	v_add_f32_e32 v14, v31, v14
	s_or_b32 exec_lo, exec_lo, s4
	s_and_saveexec_b32 s4, vcc_lo
	s_cbranch_execz .LBB226_2063
.LBB226_2126:
	ds_read_b32 v31, v30 offset:240
	s_waitcnt lgkmcnt(0)
	v_add_f32_e32 v15, v31, v15
	s_or_b32 exec_lo, exec_lo, s4
	s_and_saveexec_b32 s4, vcc_lo
	s_cbranch_execz .LBB226_2064
.LBB226_2127:
	ds_read_b32 v31, v30 offset:256
	s_waitcnt lgkmcnt(0)
	v_add_f32_e32 v16, v31, v16
	s_or_b32 exec_lo, exec_lo, s4
	s_and_saveexec_b32 s4, vcc_lo
	s_cbranch_execz .LBB226_2065
.LBB226_2128:
	ds_read_b32 v31, v30 offset:272
	s_waitcnt lgkmcnt(0)
	v_add_f32_e32 v17, v31, v17
	s_or_b32 exec_lo, exec_lo, s4
	s_and_saveexec_b32 s4, vcc_lo
	s_cbranch_execz .LBB226_2066
.LBB226_2129:
	ds_read_b32 v31, v30 offset:288
	s_waitcnt lgkmcnt(0)
	v_add_f32_e32 v18, v31, v18
	s_or_b32 exec_lo, exec_lo, s4
	s_and_saveexec_b32 s4, vcc_lo
	s_cbranch_execz .LBB226_2067
.LBB226_2130:
	ds_read_b32 v31, v30 offset:304
	s_waitcnt lgkmcnt(0)
	v_add_f32_e32 v19, v31, v19
	s_or_b32 exec_lo, exec_lo, s4
	s_and_saveexec_b32 s4, vcc_lo
	s_cbranch_execz .LBB226_2068
.LBB226_2131:
	ds_read_b32 v31, v30 offset:320
	s_waitcnt lgkmcnt(0)
	v_add_f32_e32 v20, v31, v20
	s_or_b32 exec_lo, exec_lo, s4
	s_and_saveexec_b32 s4, vcc_lo
	s_cbranch_execz .LBB226_2069
.LBB226_2132:
	ds_read_b32 v31, v30 offset:336
	s_waitcnt lgkmcnt(0)
	v_add_f32_e32 v21, v31, v21
	s_or_b32 exec_lo, exec_lo, s4
	s_and_saveexec_b32 s4, vcc_lo
	s_cbranch_execz .LBB226_2070
.LBB226_2133:
	ds_read_b32 v31, v30 offset:352
	s_waitcnt lgkmcnt(0)
	v_add_f32_e32 v22, v31, v22
	s_or_b32 exec_lo, exec_lo, s4
	s_and_saveexec_b32 s4, vcc_lo
	s_cbranch_execz .LBB226_2071
.LBB226_2134:
	ds_read_b32 v31, v30 offset:368
	s_waitcnt lgkmcnt(0)
	v_add_f32_e32 v23, v31, v23
	s_or_b32 exec_lo, exec_lo, s4
	s_and_saveexec_b32 s4, vcc_lo
	s_cbranch_execz .LBB226_2072
.LBB226_2135:
	ds_read_b32 v31, v30 offset:384
	s_waitcnt lgkmcnt(0)
	v_add_f32_e32 v24, v31, v24
	s_or_b32 exec_lo, exec_lo, s4
	s_and_saveexec_b32 s4, vcc_lo
	s_cbranch_execz .LBB226_2073
.LBB226_2136:
	ds_read_b32 v31, v30 offset:400
	s_waitcnt lgkmcnt(0)
	v_add_f32_e32 v25, v31, v25
	s_or_b32 exec_lo, exec_lo, s4
	s_and_saveexec_b32 s4, vcc_lo
	s_cbranch_execz .LBB226_2074
.LBB226_2137:
	ds_read_b32 v31, v30 offset:416
	s_waitcnt lgkmcnt(0)
	v_add_f32_e32 v26, v31, v26
	s_or_b32 exec_lo, exec_lo, s4
	s_and_saveexec_b32 s4, vcc_lo
	s_cbranch_execz .LBB226_2075
.LBB226_2138:
	ds_read_b32 v31, v30 offset:432
	s_waitcnt lgkmcnt(0)
	v_add_f32_e32 v27, v31, v27
	s_or_b32 exec_lo, exec_lo, s4
	s_and_saveexec_b32 s4, vcc_lo
	s_cbranch_execz .LBB226_2076
.LBB226_2139:
	ds_read_b32 v31, v30 offset:448
	s_waitcnt lgkmcnt(0)
	v_add_f32_e32 v28, v31, v28
	s_or_b32 exec_lo, exec_lo, s4
	s_and_saveexec_b32 s4, vcc_lo
	s_cbranch_execnz .LBB226_2077
	s_branch .LBB226_2078
.Lfunc_end226:
	.size	_ZN4vllm22paged_attention_kernelIfhLi120ELi32ELi128ELNS_18Fp8KVCacheDataTypeE1ELb0ELi0EEEvPfS2_PT_PKS3_PKT0_S9_ifPKiSB_iPKfiiiSD_SD_iiiii, .Lfunc_end226-_ZN4vllm22paged_attention_kernelIfhLi120ELi32ELi128ELNS_18Fp8KVCacheDataTypeE1ELb0ELi0EEEvPfS2_PT_PKS3_PKT0_S9_ifPKiSB_iPKfiiiSD_SD_iiiii
                                        ; -- End function
	.set .L_ZN4vllm22paged_attention_kernelIfhLi120ELi32ELi128ELNS_18Fp8KVCacheDataTypeE1ELb0ELi0EEEvPfS2_PT_PKS3_PKT0_S9_ifPKiSB_iPKfiiiSD_SD_iiiii.num_vgpr, 128
	.set .L_ZN4vllm22paged_attention_kernelIfhLi120ELi32ELi128ELNS_18Fp8KVCacheDataTypeE1ELb0ELi0EEEvPfS2_PT_PKS3_PKT0_S9_ifPKiSB_iPKfiiiSD_SD_iiiii.num_agpr, 0
	.set .L_ZN4vllm22paged_attention_kernelIfhLi120ELi32ELi128ELNS_18Fp8KVCacheDataTypeE1ELb0ELi0EEEvPfS2_PT_PKS3_PKT0_S9_ifPKiSB_iPKfiiiSD_SD_iiiii.numbered_sgpr, 33
	.set .L_ZN4vllm22paged_attention_kernelIfhLi120ELi32ELi128ELNS_18Fp8KVCacheDataTypeE1ELb0ELi0EEEvPfS2_PT_PKS3_PKT0_S9_ifPKiSB_iPKfiiiSD_SD_iiiii.num_named_barrier, 0
	.set .L_ZN4vllm22paged_attention_kernelIfhLi120ELi32ELi128ELNS_18Fp8KVCacheDataTypeE1ELb0ELi0EEEvPfS2_PT_PKS3_PKT0_S9_ifPKiSB_iPKfiiiSD_SD_iiiii.private_seg_size, 1344
	.set .L_ZN4vllm22paged_attention_kernelIfhLi120ELi32ELi128ELNS_18Fp8KVCacheDataTypeE1ELb0ELi0EEEvPfS2_PT_PKS3_PKT0_S9_ifPKiSB_iPKfiiiSD_SD_iiiii.uses_vcc, 1
	.set .L_ZN4vllm22paged_attention_kernelIfhLi120ELi32ELi128ELNS_18Fp8KVCacheDataTypeE1ELb0ELi0EEEvPfS2_PT_PKS3_PKT0_S9_ifPKiSB_iPKfiiiSD_SD_iiiii.uses_flat_scratch, 0
	.set .L_ZN4vllm22paged_attention_kernelIfhLi120ELi32ELi128ELNS_18Fp8KVCacheDataTypeE1ELb0ELi0EEEvPfS2_PT_PKS3_PKT0_S9_ifPKiSB_iPKfiiiSD_SD_iiiii.has_dyn_sized_stack, 0
	.set .L_ZN4vllm22paged_attention_kernelIfhLi120ELi32ELi128ELNS_18Fp8KVCacheDataTypeE1ELb0ELi0EEEvPfS2_PT_PKS3_PKT0_S9_ifPKiSB_iPKfiiiSD_SD_iiiii.has_recursion, 0
	.set .L_ZN4vllm22paged_attention_kernelIfhLi120ELi32ELi128ELNS_18Fp8KVCacheDataTypeE1ELb0ELi0EEEvPfS2_PT_PKS3_PKT0_S9_ifPKiSB_iPKfiiiSD_SD_iiiii.has_indirect_call, 0
	.section	.AMDGPU.csdata,"",@progbits
; Function info:
; codeLenInByte = 73356
; TotalNumSgprs: 35
; NumVgprs: 128
; ScratchSize: 1344
; MemoryBound: 0
	.section	.text._ZN4vllm25paged_attention_v1_kernelIfhLi120ELi32ELi128ELNS_18Fp8KVCacheDataTypeE1ELb0EEEvPT_PKS2_PKT0_S8_ifPKiSA_iPKfiiiSC_SC_iiiii,"axG",@progbits,_ZN4vllm25paged_attention_v1_kernelIfhLi120ELi32ELi128ELNS_18Fp8KVCacheDataTypeE1ELb0EEEvPT_PKS2_PKT0_S8_ifPKiSA_iPKfiiiSC_SC_iiiii,comdat
	.protected	_ZN4vllm25paged_attention_v1_kernelIfhLi120ELi32ELi128ELNS_18Fp8KVCacheDataTypeE1ELb0EEEvPT_PKS2_PKT0_S8_ifPKiSA_iPKfiiiSC_SC_iiiii ; -- Begin function _ZN4vllm25paged_attention_v1_kernelIfhLi120ELi32ELi128ELNS_18Fp8KVCacheDataTypeE1ELb0EEEvPT_PKS2_PKT0_S8_ifPKiSA_iPKfiiiSC_SC_iiiii
	.globl	_ZN4vllm25paged_attention_v1_kernelIfhLi120ELi32ELi128ELNS_18Fp8KVCacheDataTypeE1ELb0EEEvPT_PKS2_PKT0_S8_ifPKiSA_iPKfiiiSC_SC_iiiii
	.p2align	8
	.type	_ZN4vllm25paged_attention_v1_kernelIfhLi120ELi32ELi128ELNS_18Fp8KVCacheDataTypeE1ELb0EEEvPT_PKS2_PKT0_S8_ifPKiSA_iPKfiiiSC_SC_iiiii,@function
_ZN4vllm25paged_attention_v1_kernelIfhLi120ELi32ELi128ELNS_18Fp8KVCacheDataTypeE1ELb0EEEvPT_PKS2_PKT0_S8_ifPKiSA_iPKfiiiSC_SC_iiiii: ; @_ZN4vllm25paged_attention_v1_kernelIfhLi120ELi32ELi128ELNS_18Fp8KVCacheDataTypeE1ELb0EEEvPT_PKS2_PKT0_S8_ifPKiSA_iPKfiiiSC_SC_iiiii
; %bb.0:
	s_clause 0x5
	s_load_dwordx8 s[16:23], s[4:5], 0x0
	s_load_dwordx4 s[36:39], s[4:5], 0x20
	s_load_dwordx2 s[10:11], s[4:5], 0x30
	s_load_dword s13, s[4:5], 0x38
	s_load_dwordx2 s[34:35], s[4:5], 0x40
	s_load_dwordx8 s[24:31], s[4:5], 0x48
	s_add_u32 s0, s0, s9
	s_addc_u32 s1, s1, 0
	v_mov_b32_e32 v31, v0
	s_mov_b32 s14, s8
	s_add_u32 s8, s4, 0x80
	s_addc_u32 s9, s5, 0
	s_getpc_b64 s[4:5]
	s_add_u32 s4, s4, _ZN4vllm22paged_attention_kernelIfhLi120ELi32ELi128ELNS_18Fp8KVCacheDataTypeE1ELb0ELi0EEEvPfS2_PT_PKS3_PKT0_S9_ifPKiSB_iPKfiiiSD_SD_iiiii@rel32@lo+4
	s_addc_u32 s5, s5, _ZN4vllm22paged_attention_kernelIfhLi120ELi32ELi128ELNS_18Fp8KVCacheDataTypeE1ELb0ELi0EEEvPfS2_PT_PKS3_PKT0_S9_ifPKiSB_iPKfiiiSD_SD_iiiii@rel32@hi+12
	s_mov_b32 s12, s6
	s_mov_b32 s15, 18
	;; [unrolled: 1-line block ×3, first 2 shown]
	s_waitcnt lgkmcnt(0)
	v_mov_b32_e32 v0, s16
	v_mov_b32_e32 v1, s17
	;; [unrolled: 1-line block ×24, first 2 shown]
	s_mov_b32 s13, s7
	s_swappc_b64 s[30:31], s[4:5]
	s_endpgm
	.section	.rodata,"a",@progbits
	.p2align	6, 0x0
	.amdhsa_kernel _ZN4vllm25paged_attention_v1_kernelIfhLi120ELi32ELi128ELNS_18Fp8KVCacheDataTypeE1ELb0EEEvPT_PKS2_PKT0_S8_ifPKiSA_iPKfiiiSC_SC_iiiii
		.amdhsa_group_segment_fixed_size 512
		.amdhsa_private_segment_fixed_size 1344
		.amdhsa_kernarg_size 384
		.amdhsa_user_sgpr_count 6
		.amdhsa_user_sgpr_private_segment_buffer 1
		.amdhsa_user_sgpr_dispatch_ptr 0
		.amdhsa_user_sgpr_queue_ptr 0
		.amdhsa_user_sgpr_kernarg_segment_ptr 1
		.amdhsa_user_sgpr_dispatch_id 0
		.amdhsa_user_sgpr_flat_scratch_init 0
		.amdhsa_user_sgpr_private_segment_size 0
		.amdhsa_wavefront_size32 1
		.amdhsa_uses_dynamic_stack 0
		.amdhsa_system_sgpr_private_segment_wavefront_offset 1
		.amdhsa_system_sgpr_workgroup_id_x 1
		.amdhsa_system_sgpr_workgroup_id_y 1
		.amdhsa_system_sgpr_workgroup_id_z 1
		.amdhsa_system_sgpr_workgroup_info 0
		.amdhsa_system_vgpr_workitem_id 0
		.amdhsa_next_free_vgpr 128
		.amdhsa_next_free_sgpr 40
		.amdhsa_reserve_vcc 1
		.amdhsa_reserve_flat_scratch 0
		.amdhsa_float_round_mode_32 0
		.amdhsa_float_round_mode_16_64 0
		.amdhsa_float_denorm_mode_32 3
		.amdhsa_float_denorm_mode_16_64 3
		.amdhsa_dx10_clamp 1
		.amdhsa_ieee_mode 1
		.amdhsa_fp16_overflow 0
		.amdhsa_workgroup_processor_mode 1
		.amdhsa_memory_ordered 1
		.amdhsa_forward_progress 1
		.amdhsa_shared_vgpr_count 0
		.amdhsa_exception_fp_ieee_invalid_op 0
		.amdhsa_exception_fp_denorm_src 0
		.amdhsa_exception_fp_ieee_div_zero 0
		.amdhsa_exception_fp_ieee_overflow 0
		.amdhsa_exception_fp_ieee_underflow 0
		.amdhsa_exception_fp_ieee_inexact 0
		.amdhsa_exception_int_div_zero 0
	.end_amdhsa_kernel
	.section	.text._ZN4vllm25paged_attention_v1_kernelIfhLi120ELi32ELi128ELNS_18Fp8KVCacheDataTypeE1ELb0EEEvPT_PKS2_PKT0_S8_ifPKiSA_iPKfiiiSC_SC_iiiii,"axG",@progbits,_ZN4vllm25paged_attention_v1_kernelIfhLi120ELi32ELi128ELNS_18Fp8KVCacheDataTypeE1ELb0EEEvPT_PKS2_PKT0_S8_ifPKiSA_iPKfiiiSC_SC_iiiii,comdat
.Lfunc_end227:
	.size	_ZN4vllm25paged_attention_v1_kernelIfhLi120ELi32ELi128ELNS_18Fp8KVCacheDataTypeE1ELb0EEEvPT_PKS2_PKT0_S8_ifPKiSA_iPKfiiiSC_SC_iiiii, .Lfunc_end227-_ZN4vllm25paged_attention_v1_kernelIfhLi120ELi32ELi128ELNS_18Fp8KVCacheDataTypeE1ELb0EEEvPT_PKS2_PKT0_S8_ifPKiSA_iPKfiiiSC_SC_iiiii
                                        ; -- End function
	.set _ZN4vllm25paged_attention_v1_kernelIfhLi120ELi32ELi128ELNS_18Fp8KVCacheDataTypeE1ELb0EEEvPT_PKS2_PKT0_S8_ifPKiSA_iPKfiiiSC_SC_iiiii.num_vgpr, max(32, .L_ZN4vllm22paged_attention_kernelIfhLi120ELi32ELi128ELNS_18Fp8KVCacheDataTypeE1ELb0ELi0EEEvPfS2_PT_PKS3_PKT0_S9_ifPKiSB_iPKfiiiSD_SD_iiiii.num_vgpr)
	.set _ZN4vllm25paged_attention_v1_kernelIfhLi120ELi32ELi128ELNS_18Fp8KVCacheDataTypeE1ELb0EEEvPT_PKS2_PKT0_S8_ifPKiSA_iPKfiiiSC_SC_iiiii.num_agpr, max(0, .L_ZN4vllm22paged_attention_kernelIfhLi120ELi32ELi128ELNS_18Fp8KVCacheDataTypeE1ELb0ELi0EEEvPfS2_PT_PKS3_PKT0_S9_ifPKiSB_iPKfiiiSD_SD_iiiii.num_agpr)
	.set _ZN4vllm25paged_attention_v1_kernelIfhLi120ELi32ELi128ELNS_18Fp8KVCacheDataTypeE1ELb0EEEvPT_PKS2_PKT0_S8_ifPKiSA_iPKfiiiSC_SC_iiiii.numbered_sgpr, max(40, .L_ZN4vllm22paged_attention_kernelIfhLi120ELi32ELi128ELNS_18Fp8KVCacheDataTypeE1ELb0ELi0EEEvPfS2_PT_PKS3_PKT0_S9_ifPKiSB_iPKfiiiSD_SD_iiiii.numbered_sgpr)
	.set _ZN4vllm25paged_attention_v1_kernelIfhLi120ELi32ELi128ELNS_18Fp8KVCacheDataTypeE1ELb0EEEvPT_PKS2_PKT0_S8_ifPKiSA_iPKfiiiSC_SC_iiiii.num_named_barrier, max(0, .L_ZN4vllm22paged_attention_kernelIfhLi120ELi32ELi128ELNS_18Fp8KVCacheDataTypeE1ELb0ELi0EEEvPfS2_PT_PKS3_PKT0_S9_ifPKiSB_iPKfiiiSD_SD_iiiii.num_named_barrier)
	.set _ZN4vllm25paged_attention_v1_kernelIfhLi120ELi32ELi128ELNS_18Fp8KVCacheDataTypeE1ELb0EEEvPT_PKS2_PKT0_S8_ifPKiSA_iPKfiiiSC_SC_iiiii.private_seg_size, 0+max(.L_ZN4vllm22paged_attention_kernelIfhLi120ELi32ELi128ELNS_18Fp8KVCacheDataTypeE1ELb0ELi0EEEvPfS2_PT_PKS3_PKT0_S9_ifPKiSB_iPKfiiiSD_SD_iiiii.private_seg_size)
	.set _ZN4vllm25paged_attention_v1_kernelIfhLi120ELi32ELi128ELNS_18Fp8KVCacheDataTypeE1ELb0EEEvPT_PKS2_PKT0_S8_ifPKiSA_iPKfiiiSC_SC_iiiii.uses_vcc, or(1, .L_ZN4vllm22paged_attention_kernelIfhLi120ELi32ELi128ELNS_18Fp8KVCacheDataTypeE1ELb0ELi0EEEvPfS2_PT_PKS3_PKT0_S9_ifPKiSB_iPKfiiiSD_SD_iiiii.uses_vcc)
	.set _ZN4vllm25paged_attention_v1_kernelIfhLi120ELi32ELi128ELNS_18Fp8KVCacheDataTypeE1ELb0EEEvPT_PKS2_PKT0_S8_ifPKiSA_iPKfiiiSC_SC_iiiii.uses_flat_scratch, or(0, .L_ZN4vllm22paged_attention_kernelIfhLi120ELi32ELi128ELNS_18Fp8KVCacheDataTypeE1ELb0ELi0EEEvPfS2_PT_PKS3_PKT0_S9_ifPKiSB_iPKfiiiSD_SD_iiiii.uses_flat_scratch)
	.set _ZN4vllm25paged_attention_v1_kernelIfhLi120ELi32ELi128ELNS_18Fp8KVCacheDataTypeE1ELb0EEEvPT_PKS2_PKT0_S8_ifPKiSA_iPKfiiiSC_SC_iiiii.has_dyn_sized_stack, or(0, .L_ZN4vllm22paged_attention_kernelIfhLi120ELi32ELi128ELNS_18Fp8KVCacheDataTypeE1ELb0ELi0EEEvPfS2_PT_PKS3_PKT0_S9_ifPKiSB_iPKfiiiSD_SD_iiiii.has_dyn_sized_stack)
	.set _ZN4vllm25paged_attention_v1_kernelIfhLi120ELi32ELi128ELNS_18Fp8KVCacheDataTypeE1ELb0EEEvPT_PKS2_PKT0_S8_ifPKiSA_iPKfiiiSC_SC_iiiii.has_recursion, or(0, .L_ZN4vllm22paged_attention_kernelIfhLi120ELi32ELi128ELNS_18Fp8KVCacheDataTypeE1ELb0ELi0EEEvPfS2_PT_PKS3_PKT0_S9_ifPKiSB_iPKfiiiSD_SD_iiiii.has_recursion)
	.set _ZN4vllm25paged_attention_v1_kernelIfhLi120ELi32ELi128ELNS_18Fp8KVCacheDataTypeE1ELb0EEEvPT_PKS2_PKT0_S8_ifPKiSA_iPKfiiiSC_SC_iiiii.has_indirect_call, or(0, .L_ZN4vllm22paged_attention_kernelIfhLi120ELi32ELi128ELNS_18Fp8KVCacheDataTypeE1ELb0ELi0EEEvPfS2_PT_PKS3_PKT0_S9_ifPKiSB_iPKfiiiSD_SD_iiiii.has_indirect_call)
	.section	.AMDGPU.csdata,"",@progbits
; Kernel info:
; codeLenInByte = 224
; TotalNumSgprs: 42
; NumVgprs: 128
; ScratchSize: 1344
; MemoryBound: 0
; FloatMode: 240
; IeeeMode: 1
; LDSByteSize: 512 bytes/workgroup (compile time only)
; SGPRBlocks: 0
; VGPRBlocks: 15
; NumSGPRsForWavesPerEU: 42
; NumVGPRsForWavesPerEU: 128
; Occupancy: 8
; WaveLimiterHint : 1
; COMPUTE_PGM_RSRC2:SCRATCH_EN: 1
; COMPUTE_PGM_RSRC2:USER_SGPR: 6
; COMPUTE_PGM_RSRC2:TRAP_HANDLER: 0
; COMPUTE_PGM_RSRC2:TGID_X_EN: 1
; COMPUTE_PGM_RSRC2:TGID_Y_EN: 1
; COMPUTE_PGM_RSRC2:TGID_Z_EN: 1
; COMPUTE_PGM_RSRC2:TIDIG_COMP_CNT: 0
	.text
	.p2align	2                               ; -- Begin function _ZN4vllm22paged_attention_kernelIfhLi128ELi32ELi128ELNS_18Fp8KVCacheDataTypeE1ELb0ELi0EEEvPfS2_PT_PKS3_PKT0_S9_ifPKiSB_iPKfiiiSD_SD_iiiii
	.type	_ZN4vllm22paged_attention_kernelIfhLi128ELi32ELi128ELNS_18Fp8KVCacheDataTypeE1ELb0ELi0EEEvPfS2_PT_PKS3_PKT0_S9_ifPKiSB_iPKfiiiSD_SD_iiiii,@function
_ZN4vllm22paged_attention_kernelIfhLi128ELi32ELi128ELNS_18Fp8KVCacheDataTypeE1ELb0ELi0EEEvPfS2_PT_PKS3_PKT0_S9_ifPKiSB_iPKfiiiSD_SD_iiiii: ; @_ZN4vllm22paged_attention_kernelIfhLi128ELi32ELi128ELNS_18Fp8KVCacheDataTypeE1ELb0ELi0EEEvPfS2_PT_PKS3_PKT0_S9_ifPKiSB_iPKfiiiSD_SD_iiiii
; %bb.0:
	s_waitcnt vmcnt(0) expcnt(0) lgkmcnt(0)
	buffer_store_dword v40, off, s[0:3], s32 offset:188 ; 4-byte Folded Spill
	buffer_store_dword v41, off, s[0:3], s32 offset:184 ; 4-byte Folded Spill
	;; [unrolled: 1-line block ×47, first 2 shown]
	buffer_store_dword v127, off, s[0:3], s32 ; 4-byte Folded Spill
	s_mov_b32 s10, s13
	s_ashr_i32 s11, s13, 31
	buffer_store_dword v22, off, s[0:3], s32 offset:1484 ; 4-byte Folded Spill
	buffer_store_dword v23, off, s[0:3], s32 offset:1488 ; 4-byte Folded Spill
	;; [unrolled: 1-line block ×12, first 2 shown]
	s_lshl_b64 s[4:5], s[10:11], 2
	s_mov_b32 s16, s15
	v_add_co_u32 v0, vcc_lo, v12, s4
	v_add_co_ci_u32_e64 v1, null, s5, v13, vcc_lo
	s_clause 0x1
	s_load_dword s4, s[8:9], 0x10
	s_load_dword s5, s[8:9], 0x0
	flat_load_dword v28, v[0:1]
	v_sub_nc_u32_e32 v0, 0, v8
	v_max_i32_e32 v0, v8, v0
	v_cvt_f32_u32_e32 v1, v0
	v_sub_nc_u32_e32 v6, 0, v0
	v_rcp_iflag_f32_e32 v1, v1
	s_waitcnt lgkmcnt(0)
	s_lshr_b32 s4, s4, 16
	s_cmp_lg_u32 s4, 0
	s_cselect_b32 s4, -1, 0
	s_cmp_lg_u32 s4, 0
	s_addc_u32 s11, s5, 0
	v_mul_f32_e32 v1, 0x4f7ffffe, v1
	s_abs_i32 s4, s11
	s_mov_b32 s5, exec_lo
	v_cvt_u32_f32_e32 v1, v1
	v_mul_lo_u32 v6, v6, v1
	v_mul_hi_u32 v6, v1, v6
	v_add_nc_u32_e32 v1, v1, v6
	v_mul_hi_u32 v1, s4, v1
	v_mul_lo_u32 v6, v1, v0
	v_add_nc_u32_e32 v7, 1, v1
	v_sub_nc_u32_e32 v6, s4, v6
	s_abs_i32 s4, s12
	v_sub_nc_u32_e32 v9, v6, v0
	v_cmp_ge_u32_e32 vcc_lo, v6, v0
	v_cndmask_b32_e32 v1, v1, v7, vcc_lo
	v_cndmask_b32_e32 v6, v6, v9, vcc_lo
	v_xor_b32_e32 v7, s11, v8
	v_add_nc_u32_e32 v8, 1, v1
	v_cmp_ge_u32_e32 vcc_lo, v6, v0
	v_ashrrev_i32_e32 v7, 31, v7
	v_cndmask_b32_e32 v0, v1, v8, vcc_lo
	v_xor_b32_e32 v0, v0, v7
	v_sub_nc_u32_e32 v7, v0, v7
	v_sub_nc_u32_e32 v0, 0, v7
	v_max_i32_e32 v6, v7, v0
	v_cvt_f32_u32_e32 v0, v6
	v_sub_nc_u32_e32 v1, 0, v6
	v_rcp_iflag_f32_e32 v0, v0
	v_mul_f32_e32 v0, 0x4f7ffffe, v0
	v_cvt_u32_f32_e32 v0, v0
	v_mul_lo_u32 v1, v1, v0
	v_mul_hi_u32 v1, v0, v1
	v_add_nc_u32_e32 v0, v0, v1
	v_mad_u64_u32 v[0:1], null, s4, v0, 0
	v_mov_b32_e32 v0, 0
	buffer_store_dword v0, off, s[0:3], s32 offset:896 ; 4-byte Folded Spill
	v_cmpx_ne_u64_e32 0, v[15:16]
	s_cbranch_execz .LBB228_2
; %bb.1:
	s_ashr_i32 s13, s12, 31
	s_lshl_b64 s[6:7], s[12:13], 2
	v_add_co_u32 v8, vcc_lo, v15, s6
	v_add_co_ci_u32_e64 v9, null, s7, v16, vcc_lo
	flat_load_dword v0, v[8:9]
	s_waitcnt vmcnt(0) lgkmcnt(0)
	buffer_store_dword v0, off, s[0:3], s32 offset:896 ; 4-byte Folded Spill
.LBB228_2:
	s_or_b32 exec_lo, exec_lo, s5
	v_and_b32_e32 v12, 0x3ff, v31
	v_ashrrev_i32_e32 v0, 31, v7
	s_ashr_i32 s5, s12, 31
	s_lshl_b32 s12, s12, 7
	s_mov_b32 s6, exec_lo
	v_cmpx_gt_u32_e32 32, v12
	s_cbranch_execz .LBB228_4
; %bb.3:
	v_mul_lo_u32 v7, v17, s10
	s_ashr_i32 s13, s12, 31
	v_lshlrev_b32_e32 v11, 4, v12
	s_lshl_b64 s[18:19], s[12:13], 2
	v_ashrrev_i32_e32 v8, 31, v7
	v_lshlrev_b64 v[7:8], 2, v[7:8]
	v_add_co_u32 v2, vcc_lo, v2, v7
	v_add_co_ci_u32_e64 v3, null, v3, v8, vcc_lo
	v_add_co_u32 v2, vcc_lo, v2, s18
	v_add_co_ci_u32_e64 v3, null, s19, v3, vcc_lo
	;; [unrolled: 2-line block ×3, first 2 shown]
	flat_load_dwordx4 v[7:10], v[2:3]
	s_waitcnt vmcnt(0) lgkmcnt(0)
	ds_write_b128 v11, v[7:10]
.LBB228_4:
	s_or_b32 exec_lo, exec_lo, s6
	v_mul_lo_u32 v2, v1, v6
	v_add_nc_u32_e32 v3, 1, v1
	v_xor_b32_e32 v8, s5, v0
	v_mul_lo_u32 v0, v14, s10
	s_clause 0x1
	s_load_dword s13, s[8:9], 0x14
	s_load_dword s8, s[8:9], 0x8
	v_mov_b32_e32 v10, 0xff7fffff
	v_sub_nc_u32_e32 v2, s4, v2
	v_sub_nc_u32_e32 v7, v2, v6
	v_cmp_ge_u32_e32 vcc_lo, v2, v6
	v_cndmask_b32_e32 v1, v1, v3, vcc_lo
	v_cndmask_b32_e32 v2, v2, v7, vcc_lo
	s_waitcnt vmcnt(0)
	v_add_nc_u32_e32 v7, 31, v28
	v_add_nc_u32_e32 v3, 1, v1
	v_cmp_ge_u32_e32 vcc_lo, v2, v6
	v_ashrrev_i32_e32 v2, 31, v7
	v_lshrrev_b32_e32 v6, 5, v12
	v_cndmask_b32_e32 v1, v1, v3, vcc_lo
	v_lshrrev_b32_e32 v2, 27, v2
	v_xor_b32_e32 v1, v1, v8
	v_add_nc_u32_e32 v2, v7, v2
	v_sub_nc_u32_e32 v3, v1, v8
	v_ashrrev_i32_e32 v1, 31, v0
	v_ashrrev_i32_e32 v29, 5, v2
	v_and_b32_e32 v2, 31, v12
	v_mul_lo_u32 v7, v3, v19
	v_lshlrev_b64 v[0:1], 2, v[0:1]
	v_lshrrev_b32_e32 v3, 3, v12
	v_cmp_ge_i32_e64 s4, v6, v29
	v_lshlrev_b32_e32 v9, 2, v2
	v_cmp_lt_i32_e32 vcc_lo, v6, v29
	buffer_store_dword v3, off, s[0:3], s32 offset:1464 ; 4-byte Folded Spill
	buffer_store_dword v0, off, s[0:3], s32 offset:1456 ; 4-byte Folded Spill
	;; [unrolled: 1-line block ×3, first 2 shown]
	v_ashrrev_i32_e32 v0, 31, v7
	buffer_store_dword v6, off, s[0:3], s32 offset:1444 ; 4-byte Folded Spill
	buffer_store_dword v7, off, s[0:3], s32 offset:1468 ; 4-byte Folded Spill
	;; [unrolled: 1-line block ×4, first 2 shown]
	s_waitcnt lgkmcnt(0)
	s_waitcnt_vscnt null, 0x0
	s_barrier
	buffer_gl0_inv
	s_mov_b32 s9, exec_lo
	s_and_b32 s5, s9, vcc_lo
	buffer_store_dword v12, off, s[0:3], s32 offset:1440 ; 4-byte Folded Spill
	s_mov_b32 exec_lo, s5
	s_cbranch_execz .LBB228_1032
; %bb.5:
	s_clause 0x1
	buffer_load_dword v0, off, s[0:3], s32 offset:1468
	buffer_load_dword v1, off, s[0:3], s32 offset:1472
	v_mov_b32_e32 v83, 0
	s_ashr_i32 s17, s16, 31
	v_mov_b32_e32 v10, 0xff7fffff
	s_lshl_b64 s[6:7], s[16:17], 2
	s_getpc_b64 s[18:19]
	s_add_u32 s18, s18, llvm.amdgcn.dynlds.offset.table@rel32@lo+4
	s_addc_u32 s19, s19, llvm.amdgcn.dynlds.offset.table@rel32@hi+12
	s_add_u32 s6, s18, s6
	s_addc_u32 s7, s19, s7
	v_mov_b32_e32 v114, 0x80
	v_bfrev_b32_e32 v55, 1
	v_mov_b32_e32 v49, 0x7f800001
	s_mov_b32 s15, 0
	s_waitcnt vmcnt(1)
	v_add_co_u32 v0, vcc_lo, v4, v0
	buffer_load_dword v4, off, s[0:3], s32 offset:1436 ; 4-byte Folded Reload
	s_waitcnt vmcnt(1)
	v_add_co_ci_u32_e64 v2, null, v5, v1, vcc_lo
	s_waitcnt vmcnt(0)
	v_lshlrev_b32_e32 v3, 4, v4
	v_add_co_u32 v5, vcc_lo, v0, v3
	v_add_co_ci_u32_e64 v6, null, 0, v2, vcc_lo
	buffer_store_dword v5, off, s[0:3], s32 offset:916 ; 4-byte Folded Spill
	buffer_store_dword v6, off, s[0:3], s32 offset:920 ; 4-byte Folded Spill
	ds_read_b128 v[5:8], v83
	s_waitcnt lgkmcnt(0)
	buffer_store_dword v5, off, s[0:3], s32 offset:924 ; 4-byte Folded Spill
	buffer_store_dword v6, off, s[0:3], s32 offset:928 ; 4-byte Folded Spill
	buffer_store_dword v7, off, s[0:3], s32 offset:932 ; 4-byte Folded Spill
	buffer_store_dword v8, off, s[0:3], s32 offset:936 ; 4-byte Folded Spill
	ds_read_b128 v[0:3], v83 offset:16
	s_waitcnt lgkmcnt(0)
	buffer_store_dword v0, off, s[0:3], s32 offset:940 ; 4-byte Folded Spill
	buffer_store_dword v1, off, s[0:3], s32 offset:944 ; 4-byte Folded Spill
	buffer_store_dword v2, off, s[0:3], s32 offset:948 ; 4-byte Folded Spill
	buffer_store_dword v3, off, s[0:3], s32 offset:952 ; 4-byte Folded Spill
	ds_read_b128 v[0:3], v83 offset:32
	;; [unrolled: 6-line block ×24, first 2 shown]
	s_waitcnt lgkmcnt(0)
	buffer_store_dword v0, off, s[0:3], s32 offset:1308 ; 4-byte Folded Spill
	buffer_store_dword v1, off, s[0:3], s32 offset:1312 ; 4-byte Folded Spill
	;; [unrolled: 1-line block ×4, first 2 shown]
	buffer_load_dword v0, off, s[0:3], s32 offset:896 ; 4-byte Folded Reload
	s_waitcnt vmcnt(0)
	v_cmp_neq_f32_e32 vcc_lo, 0, v0
	ds_read_b128 v[0:3], v83 offset:400
	s_waitcnt lgkmcnt(0)
	buffer_store_dword v0, off, s[0:3], s32 offset:1324 ; 4-byte Folded Spill
	buffer_store_dword v1, off, s[0:3], s32 offset:1328 ; 4-byte Folded Spill
	buffer_store_dword v2, off, s[0:3], s32 offset:1332 ; 4-byte Folded Spill
	buffer_store_dword v3, off, s[0:3], s32 offset:1336 ; 4-byte Folded Spill
	ds_read_b128 v[0:3], v83 offset:416
	s_waitcnt lgkmcnt(0)
	buffer_store_dword v0, off, s[0:3], s32 offset:1340 ; 4-byte Folded Spill
	buffer_store_dword v1, off, s[0:3], s32 offset:1344 ; 4-byte Folded Spill
	buffer_store_dword v2, off, s[0:3], s32 offset:1348 ; 4-byte Folded Spill
	buffer_store_dword v3, off, s[0:3], s32 offset:1352 ; 4-byte Folded Spill
	;; [unrolled: 6-line block ×7, first 2 shown]
	buffer_load_dword v0, off, s[0:3], s32 offset:1464 ; 4-byte Folded Reload
	s_load_dword s6, s[6:7], 0x0
	s_clause 0x1
	buffer_load_dword v2, off, s[0:3], s32 offset:1456
	buffer_load_dword v3, off, s[0:3], s32 offset:1460
	buffer_store_dword v9, off, s[0:3], s32 offset:1500 ; 4-byte Folded Spill
	buffer_store_dword v29, off, s[0:3], s32 offset:912 ; 4-byte Folded Spill
	buffer_load_dword v40, off, s[0:3], s32 offset:1444 ; 4-byte Folded Reload
	s_waitcnt vmcnt(3)
	v_and_b32_e32 v0, 0x7c, v0
	s_waitcnt vmcnt(2)
	v_add_co_u32 v0, s5, v0, v2
	s_waitcnt vmcnt(1)
	v_add_co_ci_u32_e64 v2, null, 0, v3, s5
	buffer_load_dword v3, off, s[0:3], s32 offset:1452 ; 4-byte Folded Reload
	s_waitcnt vmcnt(1)
	v_lshl_or_b32 v1, v40, 5, v4
	s_waitcnt vmcnt(0)
	v_add_co_u32 v5, s5, v3, v0
	buffer_load_dword v0, off, s[0:3], s32 offset:1448 ; 4-byte Folded Reload
	s_waitcnt vmcnt(0)
	v_add_co_ci_u32_e64 v6, null, v0, v2, s5
	v_lshl_or_b32 v0, v40, 7, v9
	s_waitcnt lgkmcnt(0)
	v_add_nc_u32_e32 v82, s6, v0
	s_branch .LBB228_10
.LBB228_6:                              ;   in Loop: Header=BB228_10 Depth=1
	s_or_b32 exec_lo, exec_lo, s18
	v_mov_b32_e32 v0, 24
	v_lshl_add_u32 v8, v8, 23, 0x3c000000
	v_lshlrev_b32_sdwa v9, v0, v64 dst_sel:DWORD dst_unused:UNUSED_PAD src0_sel:DWORD src1_sel:BYTE_3
	v_lshlrev_b32_e32 v0, 20, v82
	v_and_b32_e32 v9, 0x80000000, v9
	v_or3_b32 v9, v0, v9, v8
	v_mov_b32_e32 v8, v83
.LBB228_7:                              ;   in Loop: Header=BB228_10 Depth=1
	s_or_b32 exec_lo, exec_lo, s17
.LBB228_8:                              ;   in Loop: Header=BB228_10 Depth=1
	s_or_b32 exec_lo, exec_lo, s7
	v_mov_b32_e32 v82, v65
	v_mov_b32_e32 v40, v70
.LBB228_9:                              ;   in Loop: Header=BB228_10 Depth=1
	s_or_b32 exec_lo, exec_lo, s6
	v_or_b32_e32 v0, v31, v33
	v_or_b32_e32 v30, v30, v32
	;; [unrolled: 1-line block ×5, first 2 shown]
	v_mul_f32_e32 v0, v71, v0
	v_or_b32_e32 v24, v16, v24
	v_or_b32_e32 v20, v20, v26
	v_or_b32_e32 v7, v7, v125
	v_or_b32_e32 v5, v5, v23
	buffer_store_dword v0, off, s[0:3], s32 offset:800 ; 4-byte Folded Spill
	v_mul_f32_e32 v0, v71, v30
	v_or_b32_e32 v3, v3, v109
	v_or_b32_e32 v18, v122, v18
	v_or_b32_e32 v25, v106, v126
	v_or_b32_e32 v26, v105, v77
	buffer_store_dword v0, off, s[0:3], s32 offset:808 ; 4-byte Folded Spill
	;; [unrolled: 6-line block ×3, first 2 shown]
	v_mul_f32_e32 v0, v71, v31
	v_or_b32_e32 v33, v89, v61
	v_or_b32_e32 v48, v74, v94
	;; [unrolled: 1-line block ×3, first 2 shown]
	v_mul_f32_e32 v35, v71, v34
	buffer_store_dword v0, off, s[0:3], s32 offset:812 ; 4-byte Folded Spill
	v_mul_f32_e32 v0, v71, v17
	v_or_b32_e32 v17, v21, v27
	v_or_b32_e32 v21, v6, v124
	v_or_b32_e32 v27, v104, v76
	v_or_b32_e32 v34, v75, v95
	buffer_store_dword v0, off, s[0:3], s32 offset:816 ; 4-byte Folded Spill
	v_mul_f32_e32 v0, v71, v24
	v_sub_nc_u32_e32 v24, 1, v28
	v_cmp_lt_i32_e64 s5, v1, v28
	v_or_b32_e32 v8, v8, v38
	v_or_b32_e32 v15, v15, v51
	buffer_store_dword v0, off, s[0:3], s32 offset:824 ; 4-byte Folded Spill
	v_mul_f32_e32 v0, v71, v17
	v_add_nc_u32_e32 v24, v24, v1
	v_or_b32_e32 v14, v14, v50
	v_or_b32_e32 v9, v9, v39
	v_mul_f32_e32 v33, v71, v33
	buffer_store_dword v0, off, s[0:3], s32 offset:820 ; 4-byte Folded Spill
	v_mul_f32_e32 v0, v71, v20
	v_mul_f32_e32 v34, v71, v34
	;; [unrolled: 1-line block ×5, first 2 shown]
	buffer_store_dword v0, off, s[0:3], s32 offset:828 ; 4-byte Folded Spill
	v_mul_f32_e32 v0, v71, v7
	v_mul_f32_e32 v50, v71, v14
	;; [unrolled: 1-line block ×4, first 2 shown]
	v_cvt_f32_i32_e32 v24, v24
	buffer_store_dword v0, off, s[0:3], s32 offset:832 ; 4-byte Folded Spill
	v_mul_f32_e32 v0, v71, v21
	v_or_b32_e32 v21, v4, v22
	v_or_b32_e32 v22, v120, v92
	v_add_nc_u32_e32 v40, 4, v40
	buffer_store_dword v0, off, s[0:3], s32 offset:840 ; 4-byte Folded Spill
	v_mul_f32_e32 v0, v71, v5
	buffer_store_dword v0, off, s[0:3], s32 offset:836 ; 4-byte Folded Spill
	v_mul_f32_e32 v0, v71, v21
	v_or_b32_e32 v21, v2, v108
	buffer_store_dword v0, off, s[0:3], s32 offset:844 ; 4-byte Folded Spill
	v_mul_f32_e32 v0, v71, v3
	v_or_b32_e32 v3, v123, v19
	v_or_b32_e32 v19, v121, v93
	buffer_store_dword v0, off, s[0:3], s32 offset:848 ; 4-byte Folded Spill
	v_mul_f32_e32 v0, v71, v21
	buffer_store_dword v0, off, s[0:3], s32 offset:856 ; 4-byte Folded Spill
	v_mul_f32_e32 v0, v71, v3
	;; [unrolled: 2-line block ×5, first 2 shown]
	v_or_b32_e32 v22, v107, v127
	buffer_store_dword v0, off, s[0:3], s32 offset:872 ; 4-byte Folded Spill
	v_mul_f32_e32 v0, v71, v22
	buffer_store_dword v0, off, s[0:3], s32 offset:868 ; 4-byte Folded Spill
	v_mul_f32_e32 v0, v71, v25
	buffer_store_dword v0, off, s[0:3], s32 offset:876 ; 4-byte Folded Spill
	v_mul_f32_e32 v0, v71, v26
	buffer_store_dword v0, off, s[0:3], s32 offset:880 ; 4-byte Folded Spill
	v_mul_f32_e32 v0, v71, v27
	v_or_b32_e32 v27, v91, v111
	buffer_store_dword v0, off, s[0:3], s32 offset:888 ; 4-byte Folded Spill
	v_mul_f32_e32 v0, v71, v27
	v_mul_f32_e32 v27, v71, v65
	v_or_b32_e32 v65, v42, v58
	buffer_store_dword v0, off, s[0:3], s32 offset:884 ; 4-byte Folded Spill
	v_mul_f32_e32 v0, v71, v32
	v_mul_f32_e32 v32, v71, v64
	v_or_b32_e32 v64, v79, v45
	v_mul_f32_e32 v18, v71, v65
	v_or_b32_e32 v65, v62, v116
	buffer_store_dword v0, off, s[0:3], s32 offset:892 ; 4-byte Folded Spill
	s_clause 0x3
	buffer_load_dword v2, off, s[0:3], s32 offset:760
	buffer_load_dword v3, off, s[0:3], s32 offset:764
	;; [unrolled: 1-line block ×4, first 2 shown]
	v_mul_f32_e32 v31, v71, v64
	v_or_b32_e32 v64, v43, v59
	v_mul_f32_e32 v20, v71, v65
	v_or_b32_e32 v65, v56, v66
	;; [unrolled: 2-line block ×13, first 2 shown]
	v_mul_f32_e32 v22, v71, v65
	v_mul_f32_e32 v68, v71, v64
	v_or_b32_e32 v64, v103, v37
	v_mul_f32_e32 v69, v71, v64
	s_waitcnt vmcnt(1)
	v_or_b32_e32 v64, v4, v2
	s_waitcnt vmcnt(0)
	v_or_b32_e32 v53, v5, v3
	s_clause 0x1
	buffer_load_dword v2, off, s[0:3], s32 offset:776
	buffer_load_dword v3, off, s[0:3], s32 offset:780
	v_mul_f32_e32 v80, v71, v64
	v_mul_f32_e32 v52, v71, v53
	s_waitcnt vmcnt(1)
	v_or_b32_e32 v64, v86, v2
	s_waitcnt vmcnt(0)
	v_or_b32_e32 v53, v87, v3
	s_clause 0x3
	buffer_load_dword v2, off, s[0:3], s32 offset:728
	buffer_load_dword v3, off, s[0:3], s32 offset:732
	buffer_load_dword v4, off, s[0:3], s32 offset:736
	buffer_load_dword v5, off, s[0:3], s32 offset:740
	v_mul_f32_e32 v66, v71, v64
	v_mul_f32_e32 v53, v71, v53
	s_waitcnt vmcnt(1)
	v_or_b32_e32 v65, v4, v2
	s_waitcnt vmcnt(0)
	v_or_b32_e32 v64, v5, v3
	s_clause 0x3
	buffer_load_dword v2, off, s[0:3], s32 offset:744
	buffer_load_dword v3, off, s[0:3], s32 offset:748
	buffer_load_dword v4, off, s[0:3], s32 offset:752
	buffer_load_dword v5, off, s[0:3], s32 offset:756
	v_mul_f32_e32 v65, v71, v65
	v_mul_f32_e32 v64, v71, v64
	s_waitcnt vmcnt(1)
	v_or_b32_e32 v67, v2, v4
	s_waitcnt vmcnt(0)
	v_or_b32_e32 v37, v3, v5
	s_clause 0x3
	buffer_load_dword v2, off, s[0:3], s32 offset:696
	buffer_load_dword v3, off, s[0:3], s32 offset:700
	buffer_load_dword v4, off, s[0:3], s32 offset:704
	buffer_load_dword v5, off, s[0:3], s32 offset:708
	v_mul_f32_e32 v36, v71, v37
	v_mul_f32_e32 v37, v71, v67
	s_waitcnt vmcnt(1)
	v_or_b32_e32 v81, v4, v2
	s_waitcnt vmcnt(0)
	v_or_b32_e32 v67, v5, v3
	s_clause 0x3
	buffer_load_dword v2, off, s[0:3], s32 offset:712
	buffer_load_dword v3, off, s[0:3], s32 offset:716
	buffer_load_dword v4, off, s[0:3], s32 offset:720
	buffer_load_dword v5, off, s[0:3], s32 offset:724
	v_mul_f32_e32 v19, v71, v81
	v_mul_f32_e32 v67, v71, v67
	s_waitcnt vmcnt(1)
	v_or_b32_e32 v86, v2, v4
	s_waitcnt vmcnt(0)
	v_or_b32_e32 v81, v3, v5
	s_clause 0x3
	buffer_load_dword v2, off, s[0:3], s32 offset:664
	buffer_load_dword v3, off, s[0:3], s32 offset:668
	buffer_load_dword v4, off, s[0:3], s32 offset:672
	buffer_load_dword v5, off, s[0:3], s32 offset:676
	v_mul_f32_e32 v86, v71, v86
	v_mul_f32_e32 v81, v71, v81
	s_waitcnt vmcnt(1)
	v_or_b32_e32 v97, v4, v2
	s_waitcnt vmcnt(0)
	v_or_b32_e32 v87, v5, v3
	s_clause 0x3
	buffer_load_dword v2, off, s[0:3], s32 offset:680
	buffer_load_dword v3, off, s[0:3], s32 offset:684
	buffer_load_dword v4, off, s[0:3], s32 offset:688
	buffer_load_dword v5, off, s[0:3], s32 offset:692
	v_mul_f32_e32 v99, v71, v97
	v_mul_f32_e32 v87, v71, v87
	s_waitcnt vmcnt(1)
	v_or_b32_e32 v102, v2, v4
	s_waitcnt vmcnt(0)
	v_or_b32_e32 v97, v3, v5
	s_clause 0x3
	buffer_load_dword v2, off, s[0:3], s32 offset:632
	buffer_load_dword v3, off, s[0:3], s32 offset:636
	buffer_load_dword v4, off, s[0:3], s32 offset:640
	buffer_load_dword v5, off, s[0:3], s32 offset:644
	v_mul_f32_e32 v102, v71, v102
	v_mul_f32_e32 v97, v71, v97
	s_waitcnt vmcnt(1)
	v_or_b32_e32 v113, v4, v2
	s_waitcnt vmcnt(0)
	v_or_b32_e32 v103, v5, v3
	s_clause 0x3
	buffer_load_dword v2, off, s[0:3], s32 offset:648
	buffer_load_dword v3, off, s[0:3], s32 offset:652
	buffer_load_dword v4, off, s[0:3], s32 offset:656
	buffer_load_dword v5, off, s[0:3], s32 offset:660
	v_mul_f32_e32 v115, v71, v113
	v_mul_f32_e32 v103, v71, v103
	s_waitcnt vmcnt(1)
	v_or_b32_e32 v118, v2, v4
	s_waitcnt vmcnt(0)
	v_or_b32_e32 v113, v3, v5
	s_clause 0x3
	buffer_load_dword v2, off, s[0:3], s32 offset:600
	buffer_load_dword v3, off, s[0:3], s32 offset:604
	buffer_load_dword v4, off, s[0:3], s32 offset:608
	buffer_load_dword v5, off, s[0:3], s32 offset:612
	v_mul_f32_e32 v118, v71, v118
	v_mul_f32_e32 v113, v71, v113
	s_waitcnt vmcnt(1)
	v_or_b32_e32 v41, v4, v2
	s_waitcnt vmcnt(0)
	v_or_b32_e32 v119, v5, v3
	s_clause 0x3
	buffer_load_dword v2, off, s[0:3], s32 offset:616
	buffer_load_dword v3, off, s[0:3], s32 offset:620
	buffer_load_dword v4, off, s[0:3], s32 offset:624
	buffer_load_dword v5, off, s[0:3], s32 offset:628
	v_mul_f32_e32 v43, v71, v41
	v_mul_f32_e32 v119, v71, v119
	s_waitcnt vmcnt(1)
	v_or_b32_e32 v46, v2, v4
	s_waitcnt vmcnt(0)
	v_or_b32_e32 v41, v3, v5
	s_clause 0x3
	buffer_load_dword v2, off, s[0:3], s32 offset:568
	buffer_load_dword v3, off, s[0:3], s32 offset:572
	buffer_load_dword v4, off, s[0:3], s32 offset:576
	buffer_load_dword v5, off, s[0:3], s32 offset:580
	v_mul_f32_e32 v46, v71, v46
	v_mul_f32_e32 v41, v71, v41
	s_waitcnt vmcnt(1)
	v_or_b32_e32 v57, v4, v2
	s_waitcnt vmcnt(0)
	v_or_b32_e32 v47, v5, v3
	s_clause 0x3
	buffer_load_dword v2, off, s[0:3], s32 offset:584
	buffer_load_dword v3, off, s[0:3], s32 offset:588
	buffer_load_dword v4, off, s[0:3], s32 offset:592
	buffer_load_dword v5, off, s[0:3], s32 offset:596
	v_mul_f32_e32 v59, v71, v57
	v_mul_f32_e32 v47, v71, v47
	s_waitcnt vmcnt(1)
	v_or_b32_e32 v60, v2, v4
	s_waitcnt vmcnt(0)
	v_or_b32_e32 v57, v3, v5
	s_clause 0x3
	buffer_load_dword v2, off, s[0:3], s32 offset:536
	buffer_load_dword v3, off, s[0:3], s32 offset:540
	buffer_load_dword v4, off, s[0:3], s32 offset:544
	buffer_load_dword v5, off, s[0:3], s32 offset:548
	v_mul_f32_e32 v60, v71, v60
	v_mul_f32_e32 v57, v71, v57
	s_waitcnt vmcnt(1)
	v_or_b32_e32 v62, v4, v2
	s_waitcnt vmcnt(0)
	v_or_b32_e32 v61, v5, v3
	s_clause 0x3
	buffer_load_dword v2, off, s[0:3], s32 offset:552
	buffer_load_dword v3, off, s[0:3], s32 offset:556
	buffer_load_dword v4, off, s[0:3], s32 offset:560
	buffer_load_dword v5, off, s[0:3], s32 offset:564
	v_mul_f32_e32 v63, v71, v62
	v_mul_f32_e32 v61, v71, v61
	s_waitcnt vmcnt(1)
	v_or_b32_e32 v72, v2, v4
	s_waitcnt vmcnt(0)
	v_or_b32_e32 v62, v3, v5
	s_clause 0x3
	buffer_load_dword v2, off, s[0:3], s32 offset:504
	buffer_load_dword v3, off, s[0:3], s32 offset:508
	buffer_load_dword v4, off, s[0:3], s32 offset:512
	buffer_load_dword v5, off, s[0:3], s32 offset:516
	v_mul_f32_e32 v72, v71, v72
	v_mul_f32_e32 v62, v71, v62
	s_waitcnt vmcnt(1)
	v_or_b32_e32 v74, v4, v2
	s_waitcnt vmcnt(0)
	v_or_b32_e32 v73, v5, v3
	s_clause 0x3
	buffer_load_dword v2, off, s[0:3], s32 offset:520
	buffer_load_dword v3, off, s[0:3], s32 offset:524
	buffer_load_dword v4, off, s[0:3], s32 offset:528
	buffer_load_dword v5, off, s[0:3], s32 offset:532
	v_mul_f32_e32 v75, v71, v74
	v_mul_f32_e32 v73, v71, v73
	s_waitcnt vmcnt(1)
	v_or_b32_e32 v76, v2, v4
	s_waitcnt vmcnt(0)
	v_or_b32_e32 v74, v3, v5
	s_clause 0x3
	buffer_load_dword v2, off, s[0:3], s32 offset:472
	buffer_load_dword v3, off, s[0:3], s32 offset:476
	buffer_load_dword v4, off, s[0:3], s32 offset:480
	buffer_load_dword v5, off, s[0:3], s32 offset:484
	v_mul_f32_e32 v76, v71, v76
	v_mul_f32_e32 v74, v71, v74
	s_waitcnt vmcnt(1)
	v_or_b32_e32 v78, v4, v2
	s_waitcnt vmcnt(0)
	v_or_b32_e32 v77, v5, v3
	s_clause 0x3
	buffer_load_dword v2, off, s[0:3], s32 offset:488
	buffer_load_dword v3, off, s[0:3], s32 offset:492
	buffer_load_dword v4, off, s[0:3], s32 offset:496
	buffer_load_dword v5, off, s[0:3], s32 offset:500
	v_mul_f32_e32 v79, v71, v78
	v_mul_f32_e32 v77, v71, v77
	s_waitcnt vmcnt(1)
	v_or_b32_e32 v88, v2, v4
	s_waitcnt vmcnt(0)
	v_or_b32_e32 v78, v3, v5
	s_clause 0x3
	buffer_load_dword v2, off, s[0:3], s32 offset:440
	buffer_load_dword v3, off, s[0:3], s32 offset:444
	buffer_load_dword v4, off, s[0:3], s32 offset:448
	buffer_load_dword v5, off, s[0:3], s32 offset:452
	v_mul_f32_e32 v88, v71, v88
	v_mul_f32_e32 v78, v71, v78
	s_waitcnt vmcnt(1)
	v_or_b32_e32 v90, v4, v2
	s_waitcnt vmcnt(0)
	v_or_b32_e32 v89, v5, v3
	s_clause 0x3
	buffer_load_dword v2, off, s[0:3], s32 offset:456
	buffer_load_dword v3, off, s[0:3], s32 offset:460
	buffer_load_dword v4, off, s[0:3], s32 offset:464
	buffer_load_dword v5, off, s[0:3], s32 offset:468
	v_mul_f32_e32 v91, v71, v90
	v_mul_f32_e32 v89, v71, v89
	s_waitcnt vmcnt(1)
	v_or_b32_e32 v92, v2, v4
	s_waitcnt vmcnt(0)
	v_or_b32_e32 v90, v3, v5
	s_clause 0x3
	buffer_load_dword v2, off, s[0:3], s32 offset:408
	buffer_load_dword v3, off, s[0:3], s32 offset:412
	buffer_load_dword v4, off, s[0:3], s32 offset:416
	buffer_load_dword v5, off, s[0:3], s32 offset:420
	v_mul_f32_e32 v92, v71, v92
	v_mul_f32_e32 v90, v71, v90
	s_waitcnt vmcnt(1)
	v_or_b32_e32 v94, v4, v2
	s_waitcnt vmcnt(0)
	v_or_b32_e32 v93, v5, v3
	s_clause 0x3
	buffer_load_dword v2, off, s[0:3], s32 offset:424
	buffer_load_dword v3, off, s[0:3], s32 offset:428
	buffer_load_dword v4, off, s[0:3], s32 offset:432
	buffer_load_dword v5, off, s[0:3], s32 offset:436
	v_mul_f32_e32 v95, v71, v94
	v_mul_f32_e32 v93, v71, v93
	s_waitcnt vmcnt(1)
	v_or_b32_e32 v104, v2, v4
	s_waitcnt vmcnt(0)
	v_or_b32_e32 v94, v3, v5
	s_clause 0x3
	buffer_load_dword v2, off, s[0:3], s32 offset:376
	buffer_load_dword v3, off, s[0:3], s32 offset:380
	buffer_load_dword v4, off, s[0:3], s32 offset:384
	buffer_load_dword v5, off, s[0:3], s32 offset:388
	v_mul_f32_e32 v104, v71, v104
	v_mul_f32_e32 v94, v71, v94
	s_waitcnt vmcnt(1)
	v_or_b32_e32 v106, v4, v2
	s_waitcnt vmcnt(0)
	v_or_b32_e32 v105, v5, v3
	s_clause 0x3
	buffer_load_dword v2, off, s[0:3], s32 offset:392
	buffer_load_dword v3, off, s[0:3], s32 offset:396
	buffer_load_dword v4, off, s[0:3], s32 offset:400
	buffer_load_dword v5, off, s[0:3], s32 offset:404
	v_mul_f32_e32 v107, v71, v106
	v_mul_f32_e32 v105, v71, v105
	s_waitcnt vmcnt(1)
	v_or_b32_e32 v108, v2, v4
	s_waitcnt vmcnt(0)
	v_or_b32_e32 v106, v3, v5
	s_clause 0x3
	buffer_load_dword v2, off, s[0:3], s32 offset:344
	buffer_load_dword v3, off, s[0:3], s32 offset:348
	buffer_load_dword v4, off, s[0:3], s32 offset:352
	buffer_load_dword v5, off, s[0:3], s32 offset:356
	v_mul_f32_e32 v108, v71, v108
	v_mul_f32_e32 v106, v71, v106
	s_waitcnt vmcnt(1)
	v_or_b32_e32 v110, v4, v2
	s_waitcnt vmcnt(0)
	v_or_b32_e32 v109, v5, v3
	s_clause 0x3
	buffer_load_dword v2, off, s[0:3], s32 offset:360
	buffer_load_dword v3, off, s[0:3], s32 offset:364
	buffer_load_dword v4, off, s[0:3], s32 offset:368
	buffer_load_dword v5, off, s[0:3], s32 offset:372
	v_mul_f32_e32 v111, v71, v110
	v_mul_f32_e32 v109, v71, v109
	s_waitcnt vmcnt(1)
	v_or_b32_e32 v120, v2, v4
	s_waitcnt vmcnt(0)
	v_or_b32_e32 v110, v3, v5
	s_clause 0x3
	buffer_load_dword v2, off, s[0:3], s32 offset:312
	buffer_load_dword v3, off, s[0:3], s32 offset:316
	buffer_load_dword v4, off, s[0:3], s32 offset:320
	buffer_load_dword v5, off, s[0:3], s32 offset:324
	v_mul_f32_e32 v120, v71, v120
	v_mul_f32_e32 v110, v71, v110
	s_waitcnt vmcnt(1)
	v_or_b32_e32 v122, v4, v2
	s_waitcnt vmcnt(0)
	v_or_b32_e32 v121, v5, v3
	s_clause 0x3
	buffer_load_dword v2, off, s[0:3], s32 offset:328
	buffer_load_dword v3, off, s[0:3], s32 offset:332
	buffer_load_dword v4, off, s[0:3], s32 offset:336
	buffer_load_dword v5, off, s[0:3], s32 offset:340
	v_mul_f32_e32 v123, v71, v122
	v_mul_f32_e32 v121, v71, v121
	s_waitcnt vmcnt(1)
	v_or_b32_e32 v124, v2, v4
	s_waitcnt vmcnt(0)
	v_or_b32_e32 v122, v3, v5
	s_clause 0x3
	buffer_load_dword v2, off, s[0:3], s32 offset:280
	buffer_load_dword v3, off, s[0:3], s32 offset:284
	buffer_load_dword v4, off, s[0:3], s32 offset:288
	buffer_load_dword v5, off, s[0:3], s32 offset:292
	v_mul_f32_e32 v124, v71, v124
	v_mul_f32_e32 v122, v71, v122
	s_waitcnt vmcnt(1)
	v_or_b32_e32 v126, v4, v2
	s_waitcnt vmcnt(0)
	v_or_b32_e32 v125, v5, v3
	s_clause 0x3
	buffer_load_dword v2, off, s[0:3], s32 offset:296
	buffer_load_dword v3, off, s[0:3], s32 offset:300
	buffer_load_dword v4, off, s[0:3], s32 offset:304
	buffer_load_dword v5, off, s[0:3], s32 offset:308
	v_mul_f32_e32 v126, v71, v126
	v_mul_f32_e32 v125, v71, v125
	s_waitcnt vmcnt(1)
	v_or_b32_e32 v10, v2, v4
	s_waitcnt vmcnt(0)
	v_or_b32_e32 v127, v3, v5
	s_clause 0x3
	buffer_load_dword v2, off, s[0:3], s32 offset:248
	buffer_load_dword v3, off, s[0:3], s32 offset:252
	buffer_load_dword v4, off, s[0:3], s32 offset:256
	buffer_load_dword v5, off, s[0:3], s32 offset:260
	v_mul_f32_e32 v10, v71, v10
	v_mul_f32_e32 v11, v71, v127
	s_waitcnt vmcnt(1)
	v_or_b32_e32 v70, v4, v2
	s_waitcnt vmcnt(0)
	v_or_b32_e32 v127, v5, v3
	s_clause 0x3
	buffer_load_dword v2, off, s[0:3], s32 offset:264
	buffer_load_dword v3, off, s[0:3], s32 offset:268
	buffer_load_dword v4, off, s[0:3], s32 offset:272
	buffer_load_dword v5, off, s[0:3], s32 offset:276
	v_mul_f32_e32 v70, v71, v70
	v_mul_f32_e32 v127, v71, v127
	s_waitcnt vmcnt(1)
	v_or_b32_e32 v29, v2, v4
	s_waitcnt vmcnt(0)
	v_or_b32_e32 v0, v3, v5
	s_clause 0x3
	buffer_load_dword v2, off, s[0:3], s32 offset:216
	buffer_load_dword v3, off, s[0:3], s32 offset:220
	buffer_load_dword v4, off, s[0:3], s32 offset:224
	buffer_load_dword v5, off, s[0:3], s32 offset:228
	v_mul_f32_e32 v29, v71, v29
	v_mul_f32_e32 v101, v71, v0
	s_waitcnt vmcnt(1)
	v_or_b32_e32 v45, v4, v2
	s_waitcnt vmcnt(0)
	v_or_b32_e32 v44, v5, v3
	s_clause 0x3
	buffer_load_dword v2, off, s[0:3], s32 offset:232
	buffer_load_dword v3, off, s[0:3], s32 offset:236
	buffer_load_dword v4, off, s[0:3], s32 offset:240
	buffer_load_dword v5, off, s[0:3], s32 offset:244
	v_mul_f32_e32 v45, v71, v45
	v_mul_f32_e32 v44, v71, v44
	s_waitcnt vmcnt(1)
	v_or_b32_e32 v116, v2, v4
	s_waitcnt vmcnt(0)
	v_or_b32_e32 v58, v3, v5
	s_clause 0x1
	buffer_load_dword v2, off, s[0:3], s32 offset:192
	buffer_load_dword v3, off, s[0:3], s32 offset:196
	v_mul_f32_e32 v116, v71, v116
	v_mul_f32_e32 v58, v71, v58
	s_waitcnt vmcnt(1)
	v_or_b32_e32 v42, v2, v84
	s_waitcnt vmcnt(0)
	v_or_b32_e32 v117, v3, v85
	s_clause 0x4
	buffer_load_dword v2, off, s[0:3], s32 offset:200
	buffer_load_dword v3, off, s[0:3], s32 offset:204
	buffer_load_dword v4, off, s[0:3], s32 offset:208
	buffer_load_dword v5, off, s[0:3], s32 offset:212
	buffer_load_dword v30, off, s[0:3], s32 offset:896
	v_mul_f32_e32 v42, v71, v42
	v_mul_f32_e32 v117, v71, v117
	s_waitcnt vmcnt(2)
	v_or_b32_e32 v100, v2, v4
	s_waitcnt vmcnt(1)
	v_or_b32_e32 v56, v3, v5
	s_clause 0x3
	buffer_load_dword v4, off, s[0:3], s32 offset:940
	buffer_load_dword v5, off, s[0:3], s32 offset:944
	;; [unrolled: 1-line block ×4, first 2 shown]
	s_waitcnt vmcnt(4)
	v_mul_f32_e32 v24, v30, v24
	v_mul_f32_e32 v100, v71, v100
	v_mul_f32_e32 v56, v71, v56
	v_cndmask_b32_e32 v8, 0, v24, vcc_lo
	s_waitcnt vmcnt(3)
	v_mul_f32_e32 v38, v4, v45
	v_mov_b32_e32 v4, v1
	s_clause 0x3
	buffer_load_dword v0, off, s[0:3], s32 offset:924
	buffer_load_dword v1, off, s[0:3], s32 offset:928
	;; [unrolled: 1-line block ×4, first 2 shown]
	s_waitcnt vmcnt(6)
	v_mul_f32_e32 v39, v5, v44
	s_waitcnt vmcnt(5)
	v_mul_f32_e32 v51, v6, v116
	;; [unrolled: 2-line block ×3, first 2 shown]
	s_waitcnt vmcnt(3)
	v_fmac_f32_e32 v38, v0, v42
	s_waitcnt vmcnt(2)
	v_fmac_f32_e32 v39, v1, v117
	s_waitcnt vmcnt(1)
	v_fmac_f32_e32 v51, v2, v100
	s_waitcnt vmcnt(0)
	v_fmac_f32_e32 v71, v3, v56
	s_clause 0x3
	buffer_load_dword v0, off, s[0:3], s32 offset:956
	buffer_load_dword v1, off, s[0:3], s32 offset:960
	buffer_load_dword v2, off, s[0:3], s32 offset:964
	buffer_load_dword v3, off, s[0:3], s32 offset:968
	s_waitcnt vmcnt(3)
	v_fmac_f32_e32 v38, v0, v70
	s_waitcnt vmcnt(2)
	v_fmac_f32_e32 v39, v1, v127
	s_waitcnt vmcnt(1)
	v_fmac_f32_e32 v51, v2, v29
	s_waitcnt vmcnt(0)
	v_fmac_f32_e32 v71, v3, v101
	s_clause 0x3
	buffer_load_dword v0, off, s[0:3], s32 offset:972
	buffer_load_dword v1, off, s[0:3], s32 offset:976
	buffer_load_dword v2, off, s[0:3], s32 offset:980
	buffer_load_dword v3, off, s[0:3], s32 offset:984
	;; [unrolled: 13-line block ×24, first 2 shown]
	buffer_load_dword v5, off, s[0:3], s32 offset:888
	s_waitcnt vmcnt(0)
	v_fmac_f32_e32 v38, v0, v5
	buffer_load_dword v0, off, s[0:3], s32 offset:880 ; 4-byte Folded Reload
	s_waitcnt vmcnt(0)
	v_fmac_f32_e32 v39, v1, v0
	buffer_load_dword v0, off, s[0:3], s32 offset:892 ; 4-byte Folded Reload
	s_waitcnt vmcnt(0)
	v_fmac_f32_e32 v51, v2, v0
	buffer_load_dword v0, off, s[0:3], s32 offset:884 ; 4-byte Folded Reload
	s_waitcnt vmcnt(0)
	v_fmac_f32_e32 v71, v3, v0
	s_clause 0x4
	buffer_load_dword v0, off, s[0:3], s32 offset:1340
	buffer_load_dword v1, off, s[0:3], s32 offset:1344
	buffer_load_dword v2, off, s[0:3], s32 offset:1348
	buffer_load_dword v3, off, s[0:3], s32 offset:1352
	buffer_load_dword v5, off, s[0:3], s32 offset:872
	s_waitcnt vmcnt(0)
	v_fmac_f32_e32 v38, v0, v5
	buffer_load_dword v0, off, s[0:3], s32 offset:864 ; 4-byte Folded Reload
	s_waitcnt vmcnt(0)
	v_fmac_f32_e32 v39, v1, v0
	buffer_load_dword v0, off, s[0:3], s32 offset:876 ; 4-byte Folded Reload
	s_waitcnt vmcnt(0)
	v_fmac_f32_e32 v51, v2, v0
	buffer_load_dword v0, off, s[0:3], s32 offset:868 ; 4-byte Folded Reload
	s_waitcnt vmcnt(0)
	v_fmac_f32_e32 v71, v3, v0
	s_clause 0x4
	buffer_load_dword v0, off, s[0:3], s32 offset:1356
	buffer_load_dword v1, off, s[0:3], s32 offset:1360
	buffer_load_dword v2, off, s[0:3], s32 offset:1364
	buffer_load_dword v3, off, s[0:3], s32 offset:1368
	;; [unrolled: 17-line block ×6, first 2 shown]
	buffer_load_dword v10, off, s[0:3], s32 offset:788
	s_waitcnt vmcnt(4)
	v_fmac_f32_e32 v38, v0, v50
	s_waitcnt vmcnt(3)
	v_fmac_f32_e32 v39, v1, v15
	;; [unrolled: 2-line block ×3, first 2 shown]
	buffer_load_dword v2, off, s[0:3], s32 offset:908 ; 4-byte Folded Reload
	s_waitcnt vmcnt(2)
	v_fmac_f32_e32 v71, v3, v9
	v_mov_b32_e32 v1, v4
	v_add_f32_e32 v0, v38, v39
	v_add_nc_u32_e32 v1, 0x80, v1
	v_add_f32_e32 v0, v51, v0
	v_add_f32_e32 v0, v71, v0
	s_waitcnt vmcnt(0)
	v_fmac_f32_e32 v8, v2, v0
	v_cndmask_b32_e64 v0, 0, v8, s5
	ds_write_b32 v82, v0
	s_clause 0x2
	buffer_load_dword v5, off, s[0:3], s32 offset:792
	buffer_load_dword v6, off, s[0:3], s32 offset:796
	;; [unrolled: 1-line block ×3, first 2 shown]
	v_max_f32_e32 v0, v10, v10
	v_add_nc_u32_e32 v82, 0x200, v82
	v_max_f32_e32 v0, v0, v8
	v_cndmask_b32_e64 v10, v10, v0, s5
	s_waitcnt vmcnt(2)
	v_add_co_u32 v5, s5, v5, 16
	s_waitcnt vmcnt(1)
	v_add_co_ci_u32_e64 v6, null, 0, v6, s5
	s_waitcnt vmcnt(0)
	v_cmp_ge_i32_e64 s5, v40, v29
	s_or_b32 s15, s5, s15
	s_andn2_b32 exec_lo, exec_lo, s15
	s_cbranch_execz .LBB228_1031
.LBB228_10:                             ; =>This Inner Loop Header: Depth=1
	buffer_store_dword v10, off, s[0:3], s32 offset:788 ; 4-byte Folded Spill
	buffer_store_dword v5, off, s[0:3], s32 offset:792 ; 4-byte Folded Spill
	;; [unrolled: 1-line block ×3, first 2 shown]
	v_mov_b32_e32 v84, 0
	v_mov_b32_e32 v70, v40
	;; [unrolled: 1-line block ×4, first 2 shown]
	flat_load_dword v0, v[5:6]
	s_clause 0x2
	buffer_load_dword v2, off, s[0:3], s32 offset:784
	buffer_load_dword v3, off, s[0:3], s32 offset:916
	;; [unrolled: 1-line block ×3, first 2 shown]
	s_waitcnt vmcnt(0) lgkmcnt(0)
	v_mad_i64_i32 v[26:27], null, v0, v2, v[3:4]
	flat_load_dword v2, v[26:27]
	s_clause 0x1
	buffer_load_dword v3, off, s[0:3], s32 offset:900
	buffer_load_dword v4, off, s[0:3], s32 offset:904
	s_waitcnt vmcnt(2) lgkmcnt(0)
	v_cmp_ne_u16_sdwa s5, v2, v83 src0_sel:BYTE_0 src1_sel:DWORD
	s_waitcnt vmcnt(0)
	flat_load_dword v71, v[3:4]
	v_mov_b32_e32 v3, 0
	v_mov_b32_e32 v4, 0
	buffer_store_dword v3, off, s[0:3], s32 offset:192 ; 4-byte Folded Spill
	buffer_store_dword v4, off, s[0:3], s32 offset:196 ; 4-byte Folded Spill
	s_and_saveexec_b32 s6, s5
	s_cbranch_execz .LBB228_18
; %bb.11:                               ;   in Loop: Header=BB228_10 Depth=1
	v_bfrev_b32_e32 v84, 1
	v_mov_b32_e32 v85, 0
	v_cmp_ne_u16_sdwa s5, v2, v114 src0_sel:BYTE_0 src1_sel:DWORD
	s_and_saveexec_b32 s7, s5
	s_cbranch_execz .LBB228_17
; %bb.12:                               ;   in Loop: Header=BB228_10 Depth=1
	v_mov_b32_e32 v84, 0x7f800001
	v_and_b32_e32 v4, 0x7f, v2
	v_mov_b32_e32 v85, 0
	s_mov_b32 s17, exec_lo
	v_cmpx_ne_u32_e32 0x7f, v4
	s_cbranch_execz .LBB228_16
; %bb.13:                               ;   in Loop: Header=BB228_10 Depth=1
	v_and_b32_e32 v82, 7, v2
	v_lshrrev_b32_e32 v3, 3, v4
	s_mov_b32 s18, exec_lo
	v_cmpx_gt_u32_e32 8, v4
; %bb.14:                               ;   in Loop: Header=BB228_10 Depth=1
	v_ffbh_u32_e32 v3, v82
	v_min_u32_e32 v3, 32, v3
	v_subrev_nc_u32_e32 v4, 28, v3
	v_sub_nc_u32_e32 v3, 29, v3
	v_lshlrev_b64 v[4:5], v4, v[82:83]
	v_and_b32_e32 v82, 7, v4
; %bb.15:                               ;   in Loop: Header=BB228_10 Depth=1
	s_or_b32 exec_lo, exec_lo, s18
	v_lshlrev_b32_e32 v4, 24, v2
	v_lshlrev_b32_e32 v0, 20, v82
	v_lshl_add_u32 v3, v3, 23, 0x3c000000
	v_and_b32_e32 v4, 0x80000000, v4
	v_or3_b32 v82, v0, v4, v3
	v_mov_b32_e32 v85, v83
	v_mov_b32_e32 v84, v82
.LBB228_16:                             ;   in Loop: Header=BB228_10 Depth=1
	s_or_b32 exec_lo, exec_lo, s17
.LBB228_17:                             ;   in Loop: Header=BB228_10 Depth=1
	s_or_b32 exec_lo, exec_lo, s7
.LBB228_18:                             ;   in Loop: Header=BB228_10 Depth=1
	s_or_b32 exec_lo, exec_lo, s6
	v_cmp_ne_u16_sdwa s5, v2, v83 src0_sel:BYTE_1 src1_sel:DWORD
	s_and_saveexec_b32 s6, s5
	s_cbranch_execz .LBB228_26
; %bb.19:                               ;   in Loop: Header=BB228_10 Depth=1
	v_mov_b32_e32 v54, v83
	v_cmp_ne_u16_sdwa s5, v2, v114 src0_sel:BYTE_1 src1_sel:DWORD
	buffer_store_dword v54, off, s[0:3], s32 offset:192 ; 4-byte Folded Spill
	buffer_store_dword v55, off, s[0:3], s32 offset:196 ; 4-byte Folded Spill
	s_and_saveexec_b32 s7, s5
	s_cbranch_execz .LBB228_25
; %bb.20:                               ;   in Loop: Header=BB228_10 Depth=1
	v_mov_b32_e32 v0, 0xffff
	v_mov_b32_e32 v48, v83
	s_mov_b32 s17, exec_lo
	buffer_store_dword v48, off, s[0:3], s32 offset:192 ; 4-byte Folded Spill
	buffer_store_dword v49, off, s[0:3], s32 offset:196 ; 4-byte Folded Spill
	v_and_b32_sdwa v0, v0, v2 dst_sel:DWORD dst_unused:UNUSED_PAD src0_sel:DWORD src1_sel:BYTE_1
	v_and_b32_e32 v4, 0x7f, v0
	v_cmpx_ne_u32_e32 0x7f, v4
	s_cbranch_execz .LBB228_24
; %bb.21:                               ;   in Loop: Header=BB228_10 Depth=1
	v_and_b32_e32 v82, 7, v0
	v_lshrrev_b32_e32 v3, 3, v4
	s_mov_b32 s18, exec_lo
	v_cmpx_gt_u32_e32 8, v4
; %bb.22:                               ;   in Loop: Header=BB228_10 Depth=1
	v_ffbh_u32_e32 v3, v82
	v_min_u32_e32 v3, 32, v3
	v_subrev_nc_u32_e32 v4, 28, v3
	v_sub_nc_u32_e32 v3, 29, v3
	v_lshlrev_b64 v[4:5], v4, v[82:83]
	v_and_b32_e32 v82, 7, v4
; %bb.23:                               ;   in Loop: Header=BB228_10 Depth=1
	s_or_b32 exec_lo, exec_lo, s18
	v_lshlrev_b32_e32 v4, 16, v2
	v_lshlrev_b32_e32 v0, 20, v82
	v_lshl_add_u32 v3, v3, 23, 0x3c000000
	v_and_b32_e32 v4, 0x80000000, v4
	v_or3_b32 v4, v0, v4, v3
	v_mov_b32_e32 v3, v83
	buffer_store_dword v3, off, s[0:3], s32 offset:192 ; 4-byte Folded Spill
	buffer_store_dword v4, off, s[0:3], s32 offset:196 ; 4-byte Folded Spill
.LBB228_24:                             ;   in Loop: Header=BB228_10 Depth=1
	s_or_b32 exec_lo, exec_lo, s17
.LBB228_25:                             ;   in Loop: Header=BB228_10 Depth=1
	s_or_b32 exec_lo, exec_lo, s7
.LBB228_26:                             ;   in Loop: Header=BB228_10 Depth=1
	s_or_b32 exec_lo, exec_lo, s6
	v_mov_b32_e32 v3, 0
	v_mov_b32_e32 v4, 0
	;; [unrolled: 1-line block ×3, first 2 shown]
	s_mov_b32 s6, exec_lo
	buffer_store_dword v3, off, s[0:3], s32 offset:200 ; 4-byte Folded Spill
	buffer_store_dword v4, off, s[0:3], s32 offset:204 ; 4-byte Folded Spill
	v_mov_b32_e32 v3, 0
	v_and_b32_sdwa v0, v2, v0 dst_sel:DWORD dst_unused:UNUSED_PAD src0_sel:WORD_1 src1_sel:DWORD
	v_mov_b32_e32 v4, 0
	buffer_store_dword v3, off, s[0:3], s32 offset:208 ; 4-byte Folded Spill
	buffer_store_dword v4, off, s[0:3], s32 offset:212 ; 4-byte Folded Spill
	v_cmpx_ne_u16_e32 0, v0
	s_cbranch_execz .LBB228_34
; %bb.27:                               ;   in Loop: Header=BB228_10 Depth=1
	v_bfrev_b32_e32 v3, 1
	v_mov_b32_e32 v4, 0
	s_mov_b32 s7, exec_lo
	buffer_store_dword v3, off, s[0:3], s32 offset:208 ; 4-byte Folded Spill
	buffer_store_dword v4, off, s[0:3], s32 offset:212 ; 4-byte Folded Spill
	v_cmpx_ne_u16_e32 0x80, v0
	s_cbranch_execz .LBB228_33
; %bb.28:                               ;   in Loop: Header=BB228_10 Depth=1
	v_mov_b32_e32 v5, 0x7f800001
	v_bfe_u32 v4, v2, 16, 7
	v_mov_b32_e32 v6, 0
	s_mov_b32 s17, exec_lo
	buffer_store_dword v5, off, s[0:3], s32 offset:208 ; 4-byte Folded Spill
	buffer_store_dword v6, off, s[0:3], s32 offset:212 ; 4-byte Folded Spill
	v_cmpx_ne_u32_e32 0x7f, v4
	s_cbranch_execz .LBB228_32
; %bb.29:                               ;   in Loop: Header=BB228_10 Depth=1
	v_mov_b32_e32 v0, 7
	v_lshrrev_b32_e32 v3, 3, v4
	s_mov_b32 s18, exec_lo
	v_and_b32_sdwa v82, v2, v0 dst_sel:DWORD dst_unused:UNUSED_PAD src0_sel:WORD_1 src1_sel:DWORD
	v_cmpx_gt_u32_e32 8, v4
; %bb.30:                               ;   in Loop: Header=BB228_10 Depth=1
	v_ffbh_u32_e32 v3, v82
	v_min_u32_e32 v3, 32, v3
	v_subrev_nc_u32_e32 v4, 28, v3
	v_sub_nc_u32_e32 v3, 29, v3
	v_lshlrev_b64 v[4:5], v4, v[82:83]
	v_and_b32_e32 v82, 7, v4
; %bb.31:                               ;   in Loop: Header=BB228_10 Depth=1
	s_or_b32 exec_lo, exec_lo, s18
	v_mov_b32_e32 v0, 24
	v_lshl_add_u32 v3, v3, 23, 0x3c000000
	v_lshlrev_b32_sdwa v4, v0, v2 dst_sel:DWORD dst_unused:UNUSED_PAD src0_sel:DWORD src1_sel:WORD_1
	v_lshlrev_b32_e32 v0, 20, v82
	v_and_b32_e32 v4, 0x80000000, v4
	v_or3_b32 v82, v0, v4, v3
	buffer_store_dword v82, off, s[0:3], s32 offset:208 ; 4-byte Folded Spill
	buffer_store_dword v83, off, s[0:3], s32 offset:212 ; 4-byte Folded Spill
.LBB228_32:                             ;   in Loop: Header=BB228_10 Depth=1
	s_or_b32 exec_lo, exec_lo, s17
.LBB228_33:                             ;   in Loop: Header=BB228_10 Depth=1
	s_or_b32 exec_lo, exec_lo, s7
.LBB228_34:                             ;   in Loop: Header=BB228_10 Depth=1
	s_or_b32 exec_lo, exec_lo, s6
	s_mov_b32 s6, exec_lo
	v_cmpx_lt_u32_e32 0xffffff, v2
	s_cbranch_execz .LBB228_42
; %bb.35:                               ;   in Loop: Header=BB228_10 Depth=1
	v_mov_b32_e32 v54, v83
	v_cmp_ne_u32_sdwa s5, v2, v114 src0_sel:BYTE_3 src1_sel:DWORD
	buffer_store_dword v54, off, s[0:3], s32 offset:200 ; 4-byte Folded Spill
	buffer_store_dword v55, off, s[0:3], s32 offset:204 ; 4-byte Folded Spill
	s_and_saveexec_b32 s7, s5
	s_cbranch_execz .LBB228_41
; %bb.36:                               ;   in Loop: Header=BB228_10 Depth=1
	v_bfe_u32 v4, v2, 24, 7
	v_mov_b32_e32 v48, v83
	s_mov_b32 s17, exec_lo
	buffer_store_dword v48, off, s[0:3], s32 offset:200 ; 4-byte Folded Spill
	buffer_store_dword v49, off, s[0:3], s32 offset:204 ; 4-byte Folded Spill
	v_cmpx_ne_u32_e32 0x7f, v4
	s_cbranch_execz .LBB228_40
; %bb.37:                               ;   in Loop: Header=BB228_10 Depth=1
	v_mov_b32_e32 v0, 7
	v_lshrrev_b32_e32 v3, 3, v4
	s_mov_b32 s18, exec_lo
	v_and_b32_sdwa v82, v2, v0 dst_sel:DWORD dst_unused:UNUSED_PAD src0_sel:BYTE_3 src1_sel:DWORD
	v_cmpx_gt_u32_e32 8, v4
; %bb.38:                               ;   in Loop: Header=BB228_10 Depth=1
	v_ffbh_u32_e32 v3, v82
	v_min_u32_e32 v3, 32, v3
	v_subrev_nc_u32_e32 v4, 28, v3
	v_sub_nc_u32_e32 v3, 29, v3
	v_lshlrev_b64 v[4:5], v4, v[82:83]
	v_and_b32_e32 v82, 7, v4
; %bb.39:                               ;   in Loop: Header=BB228_10 Depth=1
	s_or_b32 exec_lo, exec_lo, s18
	v_mov_b32_e32 v0, 24
	v_lshl_add_u32 v3, v3, 23, 0x3c000000
	v_lshlrev_b32_sdwa v2, v0, v2 dst_sel:DWORD dst_unused:UNUSED_PAD src0_sel:DWORD src1_sel:BYTE_3
	v_lshlrev_b32_e32 v0, 20, v82
	v_and_b32_e32 v2, 0x80000000, v2
	v_or3_b32 v3, v0, v2, v3
	v_mov_b32_e32 v2, v83
	buffer_store_dword v2, off, s[0:3], s32 offset:200 ; 4-byte Folded Spill
	buffer_store_dword v3, off, s[0:3], s32 offset:204 ; 4-byte Folded Spill
.LBB228_40:                             ;   in Loop: Header=BB228_10 Depth=1
	s_or_b32 exec_lo, exec_lo, s17
.LBB228_41:                             ;   in Loop: Header=BB228_10 Depth=1
	s_or_b32 exec_lo, exec_lo, s7
.LBB228_42:                             ;   in Loop: Header=BB228_10 Depth=1
	s_or_b32 exec_lo, exec_lo, s6
	flat_load_dword v2, v[26:27] offset:4
	v_mov_b32_e32 v3, 0
	v_mov_b32_e32 v4, 0
	buffer_store_dword v3, off, s[0:3], s32 offset:224 ; 4-byte Folded Spill
	buffer_store_dword v4, off, s[0:3], s32 offset:228 ; 4-byte Folded Spill
	v_mov_b32_e32 v3, 0
	v_mov_b32_e32 v4, 0
	buffer_store_dword v3, off, s[0:3], s32 offset:216 ; 4-byte Folded Spill
	buffer_store_dword v4, off, s[0:3], s32 offset:220 ; 4-byte Folded Spill
	s_waitcnt vmcnt(0) lgkmcnt(0)
	v_cmp_ne_u16_sdwa s5, v2, v83 src0_sel:BYTE_0 src1_sel:DWORD
	s_and_saveexec_b32 s6, s5
	s_cbranch_execz .LBB228_50
; %bb.43:                               ;   in Loop: Header=BB228_10 Depth=1
	v_bfrev_b32_e32 v3, 1
	v_mov_b32_e32 v4, 0
	v_cmp_ne_u16_sdwa s5, v2, v114 src0_sel:BYTE_0 src1_sel:DWORD
	buffer_store_dword v3, off, s[0:3], s32 offset:216 ; 4-byte Folded Spill
	buffer_store_dword v4, off, s[0:3], s32 offset:220 ; 4-byte Folded Spill
	s_and_saveexec_b32 s7, s5
	s_cbranch_execz .LBB228_49
; %bb.44:                               ;   in Loop: Header=BB228_10 Depth=1
	v_mov_b32_e32 v5, 0x7f800001
	v_and_b32_e32 v4, 0x7f, v2
	v_mov_b32_e32 v6, 0
	s_mov_b32 s17, exec_lo
	buffer_store_dword v5, off, s[0:3], s32 offset:216 ; 4-byte Folded Spill
	buffer_store_dword v6, off, s[0:3], s32 offset:220 ; 4-byte Folded Spill
	v_cmpx_ne_u32_e32 0x7f, v4
	s_cbranch_execz .LBB228_48
; %bb.45:                               ;   in Loop: Header=BB228_10 Depth=1
	v_and_b32_e32 v82, 7, v2
	v_lshrrev_b32_e32 v3, 3, v4
	s_mov_b32 s18, exec_lo
	v_cmpx_gt_u32_e32 8, v4
; %bb.46:                               ;   in Loop: Header=BB228_10 Depth=1
	v_ffbh_u32_e32 v3, v82
	v_min_u32_e32 v3, 32, v3
	v_subrev_nc_u32_e32 v4, 28, v3
	v_sub_nc_u32_e32 v3, 29, v3
	v_lshlrev_b64 v[4:5], v4, v[82:83]
	v_and_b32_e32 v82, 7, v4
; %bb.47:                               ;   in Loop: Header=BB228_10 Depth=1
	s_or_b32 exec_lo, exec_lo, s18
	v_lshlrev_b32_e32 v4, 24, v2
	v_lshlrev_b32_e32 v0, 20, v82
	v_lshl_add_u32 v3, v3, 23, 0x3c000000
	v_and_b32_e32 v4, 0x80000000, v4
	v_or3_b32 v82, v0, v4, v3
	buffer_store_dword v82, off, s[0:3], s32 offset:216 ; 4-byte Folded Spill
	buffer_store_dword v83, off, s[0:3], s32 offset:220 ; 4-byte Folded Spill
.LBB228_48:                             ;   in Loop: Header=BB228_10 Depth=1
	s_or_b32 exec_lo, exec_lo, s17
.LBB228_49:                             ;   in Loop: Header=BB228_10 Depth=1
	s_or_b32 exec_lo, exec_lo, s7
.LBB228_50:                             ;   in Loop: Header=BB228_10 Depth=1
	s_or_b32 exec_lo, exec_lo, s6
	v_cmp_ne_u16_sdwa s5, v2, v83 src0_sel:BYTE_1 src1_sel:DWORD
	s_and_saveexec_b32 s6, s5
	s_cbranch_execz .LBB228_58
; %bb.51:                               ;   in Loop: Header=BB228_10 Depth=1
	v_mov_b32_e32 v54, v83
	v_cmp_ne_u16_sdwa s5, v2, v114 src0_sel:BYTE_1 src1_sel:DWORD
	buffer_store_dword v54, off, s[0:3], s32 offset:224 ; 4-byte Folded Spill
	buffer_store_dword v55, off, s[0:3], s32 offset:228 ; 4-byte Folded Spill
	s_and_saveexec_b32 s7, s5
	s_cbranch_execz .LBB228_57
; %bb.52:                               ;   in Loop: Header=BB228_10 Depth=1
	v_mov_b32_e32 v0, 0xffff
	v_mov_b32_e32 v48, v83
	s_mov_b32 s17, exec_lo
	buffer_store_dword v48, off, s[0:3], s32 offset:224 ; 4-byte Folded Spill
	buffer_store_dword v49, off, s[0:3], s32 offset:228 ; 4-byte Folded Spill
	v_and_b32_sdwa v0, v0, v2 dst_sel:DWORD dst_unused:UNUSED_PAD src0_sel:DWORD src1_sel:BYTE_1
	v_and_b32_e32 v4, 0x7f, v0
	v_cmpx_ne_u32_e32 0x7f, v4
	s_cbranch_execz .LBB228_56
; %bb.53:                               ;   in Loop: Header=BB228_10 Depth=1
	v_and_b32_e32 v82, 7, v0
	v_lshrrev_b32_e32 v3, 3, v4
	s_mov_b32 s18, exec_lo
	v_cmpx_gt_u32_e32 8, v4
; %bb.54:                               ;   in Loop: Header=BB228_10 Depth=1
	v_ffbh_u32_e32 v3, v82
	v_min_u32_e32 v3, 32, v3
	v_subrev_nc_u32_e32 v4, 28, v3
	v_sub_nc_u32_e32 v3, 29, v3
	v_lshlrev_b64 v[4:5], v4, v[82:83]
	v_and_b32_e32 v82, 7, v4
; %bb.55:                               ;   in Loop: Header=BB228_10 Depth=1
	s_or_b32 exec_lo, exec_lo, s18
	v_lshlrev_b32_e32 v4, 16, v2
	v_lshlrev_b32_e32 v0, 20, v82
	v_lshl_add_u32 v3, v3, 23, 0x3c000000
	v_and_b32_e32 v4, 0x80000000, v4
	v_or3_b32 v4, v0, v4, v3
	v_mov_b32_e32 v3, v83
	buffer_store_dword v3, off, s[0:3], s32 offset:224 ; 4-byte Folded Spill
	buffer_store_dword v4, off, s[0:3], s32 offset:228 ; 4-byte Folded Spill
.LBB228_56:                             ;   in Loop: Header=BB228_10 Depth=1
	s_or_b32 exec_lo, exec_lo, s17
.LBB228_57:                             ;   in Loop: Header=BB228_10 Depth=1
	s_or_b32 exec_lo, exec_lo, s7
.LBB228_58:                             ;   in Loop: Header=BB228_10 Depth=1
	s_or_b32 exec_lo, exec_lo, s6
	v_mov_b32_e32 v3, 0
	v_mov_b32_e32 v4, 0
	;; [unrolled: 1-line block ×3, first 2 shown]
	s_mov_b32 s6, exec_lo
	buffer_store_dword v3, off, s[0:3], s32 offset:232 ; 4-byte Folded Spill
	buffer_store_dword v4, off, s[0:3], s32 offset:236 ; 4-byte Folded Spill
	v_mov_b32_e32 v3, 0
	v_and_b32_sdwa v0, v2, v0 dst_sel:DWORD dst_unused:UNUSED_PAD src0_sel:WORD_1 src1_sel:DWORD
	v_mov_b32_e32 v4, 0
	buffer_store_dword v3, off, s[0:3], s32 offset:240 ; 4-byte Folded Spill
	buffer_store_dword v4, off, s[0:3], s32 offset:244 ; 4-byte Folded Spill
	v_cmpx_ne_u16_e32 0, v0
	s_cbranch_execz .LBB228_66
; %bb.59:                               ;   in Loop: Header=BB228_10 Depth=1
	v_bfrev_b32_e32 v3, 1
	v_mov_b32_e32 v4, 0
	s_mov_b32 s7, exec_lo
	buffer_store_dword v3, off, s[0:3], s32 offset:240 ; 4-byte Folded Spill
	buffer_store_dword v4, off, s[0:3], s32 offset:244 ; 4-byte Folded Spill
	v_cmpx_ne_u16_e32 0x80, v0
	s_cbranch_execz .LBB228_65
; %bb.60:                               ;   in Loop: Header=BB228_10 Depth=1
	v_mov_b32_e32 v5, 0x7f800001
	v_bfe_u32 v4, v2, 16, 7
	v_mov_b32_e32 v6, 0
	s_mov_b32 s17, exec_lo
	buffer_store_dword v5, off, s[0:3], s32 offset:240 ; 4-byte Folded Spill
	buffer_store_dword v6, off, s[0:3], s32 offset:244 ; 4-byte Folded Spill
	v_cmpx_ne_u32_e32 0x7f, v4
	s_cbranch_execz .LBB228_64
; %bb.61:                               ;   in Loop: Header=BB228_10 Depth=1
	v_mov_b32_e32 v0, 7
	v_lshrrev_b32_e32 v3, 3, v4
	s_mov_b32 s18, exec_lo
	v_and_b32_sdwa v82, v2, v0 dst_sel:DWORD dst_unused:UNUSED_PAD src0_sel:WORD_1 src1_sel:DWORD
	v_cmpx_gt_u32_e32 8, v4
; %bb.62:                               ;   in Loop: Header=BB228_10 Depth=1
	v_ffbh_u32_e32 v3, v82
	v_min_u32_e32 v3, 32, v3
	v_subrev_nc_u32_e32 v4, 28, v3
	v_sub_nc_u32_e32 v3, 29, v3
	v_lshlrev_b64 v[4:5], v4, v[82:83]
	v_and_b32_e32 v82, 7, v4
; %bb.63:                               ;   in Loop: Header=BB228_10 Depth=1
	s_or_b32 exec_lo, exec_lo, s18
	v_mov_b32_e32 v0, 24
	v_lshl_add_u32 v3, v3, 23, 0x3c000000
	v_lshlrev_b32_sdwa v4, v0, v2 dst_sel:DWORD dst_unused:UNUSED_PAD src0_sel:DWORD src1_sel:WORD_1
	v_lshlrev_b32_e32 v0, 20, v82
	v_and_b32_e32 v4, 0x80000000, v4
	v_or3_b32 v82, v0, v4, v3
	buffer_store_dword v82, off, s[0:3], s32 offset:240 ; 4-byte Folded Spill
	buffer_store_dword v83, off, s[0:3], s32 offset:244 ; 4-byte Folded Spill
.LBB228_64:                             ;   in Loop: Header=BB228_10 Depth=1
	s_or_b32 exec_lo, exec_lo, s17
.LBB228_65:                             ;   in Loop: Header=BB228_10 Depth=1
	s_or_b32 exec_lo, exec_lo, s7
.LBB228_66:                             ;   in Loop: Header=BB228_10 Depth=1
	s_or_b32 exec_lo, exec_lo, s6
	s_mov_b32 s6, exec_lo
	v_cmpx_lt_u32_e32 0xffffff, v2
	s_cbranch_execz .LBB228_74
; %bb.67:                               ;   in Loop: Header=BB228_10 Depth=1
	v_mov_b32_e32 v54, v83
	v_cmp_ne_u32_sdwa s5, v2, v114 src0_sel:BYTE_3 src1_sel:DWORD
	buffer_store_dword v54, off, s[0:3], s32 offset:232 ; 4-byte Folded Spill
	buffer_store_dword v55, off, s[0:3], s32 offset:236 ; 4-byte Folded Spill
	s_and_saveexec_b32 s7, s5
	s_cbranch_execz .LBB228_73
; %bb.68:                               ;   in Loop: Header=BB228_10 Depth=1
	v_bfe_u32 v4, v2, 24, 7
	v_mov_b32_e32 v48, v83
	s_mov_b32 s17, exec_lo
	buffer_store_dword v48, off, s[0:3], s32 offset:232 ; 4-byte Folded Spill
	buffer_store_dword v49, off, s[0:3], s32 offset:236 ; 4-byte Folded Spill
	v_cmpx_ne_u32_e32 0x7f, v4
	s_cbranch_execz .LBB228_72
; %bb.69:                               ;   in Loop: Header=BB228_10 Depth=1
	v_mov_b32_e32 v0, 7
	v_lshrrev_b32_e32 v3, 3, v4
	s_mov_b32 s18, exec_lo
	v_and_b32_sdwa v82, v2, v0 dst_sel:DWORD dst_unused:UNUSED_PAD src0_sel:BYTE_3 src1_sel:DWORD
	v_cmpx_gt_u32_e32 8, v4
; %bb.70:                               ;   in Loop: Header=BB228_10 Depth=1
	v_ffbh_u32_e32 v3, v82
	v_min_u32_e32 v3, 32, v3
	v_subrev_nc_u32_e32 v4, 28, v3
	v_sub_nc_u32_e32 v3, 29, v3
	v_lshlrev_b64 v[4:5], v4, v[82:83]
	v_and_b32_e32 v82, 7, v4
; %bb.71:                               ;   in Loop: Header=BB228_10 Depth=1
	s_or_b32 exec_lo, exec_lo, s18
	v_mov_b32_e32 v0, 24
	v_lshl_add_u32 v3, v3, 23, 0x3c000000
	v_lshlrev_b32_sdwa v2, v0, v2 dst_sel:DWORD dst_unused:UNUSED_PAD src0_sel:DWORD src1_sel:BYTE_3
	v_lshlrev_b32_e32 v0, 20, v82
	v_and_b32_e32 v2, 0x80000000, v2
	v_or3_b32 v3, v0, v2, v3
	v_mov_b32_e32 v2, v83
	buffer_store_dword v2, off, s[0:3], s32 offset:232 ; 4-byte Folded Spill
	buffer_store_dword v3, off, s[0:3], s32 offset:236 ; 4-byte Folded Spill
.LBB228_72:                             ;   in Loop: Header=BB228_10 Depth=1
	s_or_b32 exec_lo, exec_lo, s17
.LBB228_73:                             ;   in Loop: Header=BB228_10 Depth=1
	s_or_b32 exec_lo, exec_lo, s7
.LBB228_74:                             ;   in Loop: Header=BB228_10 Depth=1
	s_or_b32 exec_lo, exec_lo, s6
	flat_load_dword v2, v[26:27] offset:8
	v_mov_b32_e32 v3, 0
	v_mov_b32_e32 v4, 0
	buffer_store_dword v3, off, s[0:3], s32 offset:256 ; 4-byte Folded Spill
	buffer_store_dword v4, off, s[0:3], s32 offset:260 ; 4-byte Folded Spill
	v_mov_b32_e32 v3, 0
	v_mov_b32_e32 v4, 0
	buffer_store_dword v3, off, s[0:3], s32 offset:248 ; 4-byte Folded Spill
	buffer_store_dword v4, off, s[0:3], s32 offset:252 ; 4-byte Folded Spill
	s_waitcnt vmcnt(0) lgkmcnt(0)
	v_cmp_ne_u16_sdwa s5, v2, v83 src0_sel:BYTE_0 src1_sel:DWORD
	s_and_saveexec_b32 s6, s5
	s_cbranch_execz .LBB228_82
; %bb.75:                               ;   in Loop: Header=BB228_10 Depth=1
	v_bfrev_b32_e32 v3, 1
	v_mov_b32_e32 v4, 0
	v_cmp_ne_u16_sdwa s5, v2, v114 src0_sel:BYTE_0 src1_sel:DWORD
	buffer_store_dword v3, off, s[0:3], s32 offset:248 ; 4-byte Folded Spill
	buffer_store_dword v4, off, s[0:3], s32 offset:252 ; 4-byte Folded Spill
	s_and_saveexec_b32 s7, s5
	s_cbranch_execz .LBB228_81
; %bb.76:                               ;   in Loop: Header=BB228_10 Depth=1
	v_mov_b32_e32 v5, 0x7f800001
	v_and_b32_e32 v4, 0x7f, v2
	v_mov_b32_e32 v6, 0
	s_mov_b32 s17, exec_lo
	buffer_store_dword v5, off, s[0:3], s32 offset:248 ; 4-byte Folded Spill
	buffer_store_dword v6, off, s[0:3], s32 offset:252 ; 4-byte Folded Spill
	v_cmpx_ne_u32_e32 0x7f, v4
	s_cbranch_execz .LBB228_80
; %bb.77:                               ;   in Loop: Header=BB228_10 Depth=1
	v_and_b32_e32 v82, 7, v2
	v_lshrrev_b32_e32 v3, 3, v4
	s_mov_b32 s18, exec_lo
	v_cmpx_gt_u32_e32 8, v4
; %bb.78:                               ;   in Loop: Header=BB228_10 Depth=1
	v_ffbh_u32_e32 v3, v82
	v_min_u32_e32 v3, 32, v3
	v_subrev_nc_u32_e32 v4, 28, v3
	v_sub_nc_u32_e32 v3, 29, v3
	v_lshlrev_b64 v[4:5], v4, v[82:83]
	v_and_b32_e32 v82, 7, v4
; %bb.79:                               ;   in Loop: Header=BB228_10 Depth=1
	s_or_b32 exec_lo, exec_lo, s18
	v_lshlrev_b32_e32 v4, 24, v2
	v_lshlrev_b32_e32 v0, 20, v82
	v_lshl_add_u32 v3, v3, 23, 0x3c000000
	v_and_b32_e32 v4, 0x80000000, v4
	v_or3_b32 v82, v0, v4, v3
	buffer_store_dword v82, off, s[0:3], s32 offset:248 ; 4-byte Folded Spill
	buffer_store_dword v83, off, s[0:3], s32 offset:252 ; 4-byte Folded Spill
.LBB228_80:                             ;   in Loop: Header=BB228_10 Depth=1
	s_or_b32 exec_lo, exec_lo, s17
.LBB228_81:                             ;   in Loop: Header=BB228_10 Depth=1
	s_or_b32 exec_lo, exec_lo, s7
.LBB228_82:                             ;   in Loop: Header=BB228_10 Depth=1
	s_or_b32 exec_lo, exec_lo, s6
	v_cmp_ne_u16_sdwa s5, v2, v83 src0_sel:BYTE_1 src1_sel:DWORD
	s_and_saveexec_b32 s6, s5
	s_cbranch_execz .LBB228_90
; %bb.83:                               ;   in Loop: Header=BB228_10 Depth=1
	v_mov_b32_e32 v54, v83
	v_cmp_ne_u16_sdwa s5, v2, v114 src0_sel:BYTE_1 src1_sel:DWORD
	buffer_store_dword v54, off, s[0:3], s32 offset:256 ; 4-byte Folded Spill
	buffer_store_dword v55, off, s[0:3], s32 offset:260 ; 4-byte Folded Spill
	s_and_saveexec_b32 s7, s5
	s_cbranch_execz .LBB228_89
; %bb.84:                               ;   in Loop: Header=BB228_10 Depth=1
	v_mov_b32_e32 v0, 0xffff
	v_mov_b32_e32 v48, v83
	s_mov_b32 s17, exec_lo
	buffer_store_dword v48, off, s[0:3], s32 offset:256 ; 4-byte Folded Spill
	buffer_store_dword v49, off, s[0:3], s32 offset:260 ; 4-byte Folded Spill
	v_and_b32_sdwa v0, v0, v2 dst_sel:DWORD dst_unused:UNUSED_PAD src0_sel:DWORD src1_sel:BYTE_1
	v_and_b32_e32 v4, 0x7f, v0
	v_cmpx_ne_u32_e32 0x7f, v4
	s_cbranch_execz .LBB228_88
; %bb.85:                               ;   in Loop: Header=BB228_10 Depth=1
	v_and_b32_e32 v82, 7, v0
	v_lshrrev_b32_e32 v3, 3, v4
	s_mov_b32 s18, exec_lo
	v_cmpx_gt_u32_e32 8, v4
; %bb.86:                               ;   in Loop: Header=BB228_10 Depth=1
	v_ffbh_u32_e32 v3, v82
	v_min_u32_e32 v3, 32, v3
	v_subrev_nc_u32_e32 v4, 28, v3
	v_sub_nc_u32_e32 v3, 29, v3
	v_lshlrev_b64 v[4:5], v4, v[82:83]
	v_and_b32_e32 v82, 7, v4
; %bb.87:                               ;   in Loop: Header=BB228_10 Depth=1
	s_or_b32 exec_lo, exec_lo, s18
	v_lshlrev_b32_e32 v4, 16, v2
	v_lshlrev_b32_e32 v0, 20, v82
	v_lshl_add_u32 v3, v3, 23, 0x3c000000
	v_and_b32_e32 v4, 0x80000000, v4
	v_or3_b32 v4, v0, v4, v3
	v_mov_b32_e32 v3, v83
	buffer_store_dword v3, off, s[0:3], s32 offset:256 ; 4-byte Folded Spill
	buffer_store_dword v4, off, s[0:3], s32 offset:260 ; 4-byte Folded Spill
.LBB228_88:                             ;   in Loop: Header=BB228_10 Depth=1
	s_or_b32 exec_lo, exec_lo, s17
.LBB228_89:                             ;   in Loop: Header=BB228_10 Depth=1
	s_or_b32 exec_lo, exec_lo, s7
.LBB228_90:                             ;   in Loop: Header=BB228_10 Depth=1
	s_or_b32 exec_lo, exec_lo, s6
	v_mov_b32_e32 v3, 0
	v_mov_b32_e32 v4, 0
	;; [unrolled: 1-line block ×3, first 2 shown]
	s_mov_b32 s6, exec_lo
	buffer_store_dword v3, off, s[0:3], s32 offset:264 ; 4-byte Folded Spill
	buffer_store_dword v4, off, s[0:3], s32 offset:268 ; 4-byte Folded Spill
	v_mov_b32_e32 v3, 0
	v_and_b32_sdwa v0, v2, v0 dst_sel:DWORD dst_unused:UNUSED_PAD src0_sel:WORD_1 src1_sel:DWORD
	v_mov_b32_e32 v4, 0
	buffer_store_dword v3, off, s[0:3], s32 offset:272 ; 4-byte Folded Spill
	buffer_store_dword v4, off, s[0:3], s32 offset:276 ; 4-byte Folded Spill
	v_cmpx_ne_u16_e32 0, v0
	s_cbranch_execz .LBB228_98
; %bb.91:                               ;   in Loop: Header=BB228_10 Depth=1
	v_bfrev_b32_e32 v3, 1
	v_mov_b32_e32 v4, 0
	s_mov_b32 s7, exec_lo
	buffer_store_dword v3, off, s[0:3], s32 offset:272 ; 4-byte Folded Spill
	buffer_store_dword v4, off, s[0:3], s32 offset:276 ; 4-byte Folded Spill
	v_cmpx_ne_u16_e32 0x80, v0
	s_cbranch_execz .LBB228_97
; %bb.92:                               ;   in Loop: Header=BB228_10 Depth=1
	v_mov_b32_e32 v5, 0x7f800001
	v_bfe_u32 v4, v2, 16, 7
	v_mov_b32_e32 v6, 0
	s_mov_b32 s17, exec_lo
	buffer_store_dword v5, off, s[0:3], s32 offset:272 ; 4-byte Folded Spill
	buffer_store_dword v6, off, s[0:3], s32 offset:276 ; 4-byte Folded Spill
	v_cmpx_ne_u32_e32 0x7f, v4
	s_cbranch_execz .LBB228_96
; %bb.93:                               ;   in Loop: Header=BB228_10 Depth=1
	v_mov_b32_e32 v0, 7
	v_lshrrev_b32_e32 v3, 3, v4
	s_mov_b32 s18, exec_lo
	v_and_b32_sdwa v82, v2, v0 dst_sel:DWORD dst_unused:UNUSED_PAD src0_sel:WORD_1 src1_sel:DWORD
	v_cmpx_gt_u32_e32 8, v4
; %bb.94:                               ;   in Loop: Header=BB228_10 Depth=1
	v_ffbh_u32_e32 v3, v82
	v_min_u32_e32 v3, 32, v3
	v_subrev_nc_u32_e32 v4, 28, v3
	v_sub_nc_u32_e32 v3, 29, v3
	v_lshlrev_b64 v[4:5], v4, v[82:83]
	v_and_b32_e32 v82, 7, v4
; %bb.95:                               ;   in Loop: Header=BB228_10 Depth=1
	s_or_b32 exec_lo, exec_lo, s18
	v_mov_b32_e32 v0, 24
	v_lshl_add_u32 v3, v3, 23, 0x3c000000
	v_lshlrev_b32_sdwa v4, v0, v2 dst_sel:DWORD dst_unused:UNUSED_PAD src0_sel:DWORD src1_sel:WORD_1
	v_lshlrev_b32_e32 v0, 20, v82
	v_and_b32_e32 v4, 0x80000000, v4
	v_or3_b32 v82, v0, v4, v3
	buffer_store_dword v82, off, s[0:3], s32 offset:272 ; 4-byte Folded Spill
	buffer_store_dword v83, off, s[0:3], s32 offset:276 ; 4-byte Folded Spill
.LBB228_96:                             ;   in Loop: Header=BB228_10 Depth=1
	s_or_b32 exec_lo, exec_lo, s17
.LBB228_97:                             ;   in Loop: Header=BB228_10 Depth=1
	s_or_b32 exec_lo, exec_lo, s7
.LBB228_98:                             ;   in Loop: Header=BB228_10 Depth=1
	s_or_b32 exec_lo, exec_lo, s6
	s_mov_b32 s6, exec_lo
	v_cmpx_lt_u32_e32 0xffffff, v2
	s_cbranch_execz .LBB228_106
; %bb.99:                               ;   in Loop: Header=BB228_10 Depth=1
	v_mov_b32_e32 v54, v83
	v_cmp_ne_u32_sdwa s5, v2, v114 src0_sel:BYTE_3 src1_sel:DWORD
	buffer_store_dword v54, off, s[0:3], s32 offset:264 ; 4-byte Folded Spill
	buffer_store_dword v55, off, s[0:3], s32 offset:268 ; 4-byte Folded Spill
	s_and_saveexec_b32 s7, s5
	s_cbranch_execz .LBB228_105
; %bb.100:                              ;   in Loop: Header=BB228_10 Depth=1
	v_bfe_u32 v4, v2, 24, 7
	v_mov_b32_e32 v48, v83
	s_mov_b32 s17, exec_lo
	buffer_store_dword v48, off, s[0:3], s32 offset:264 ; 4-byte Folded Spill
	buffer_store_dword v49, off, s[0:3], s32 offset:268 ; 4-byte Folded Spill
	v_cmpx_ne_u32_e32 0x7f, v4
	s_cbranch_execz .LBB228_104
; %bb.101:                              ;   in Loop: Header=BB228_10 Depth=1
	v_mov_b32_e32 v0, 7
	v_lshrrev_b32_e32 v3, 3, v4
	s_mov_b32 s18, exec_lo
	v_and_b32_sdwa v82, v2, v0 dst_sel:DWORD dst_unused:UNUSED_PAD src0_sel:BYTE_3 src1_sel:DWORD
	v_cmpx_gt_u32_e32 8, v4
; %bb.102:                              ;   in Loop: Header=BB228_10 Depth=1
	v_ffbh_u32_e32 v3, v82
	v_min_u32_e32 v3, 32, v3
	v_subrev_nc_u32_e32 v4, 28, v3
	v_sub_nc_u32_e32 v3, 29, v3
	v_lshlrev_b64 v[4:5], v4, v[82:83]
	v_and_b32_e32 v82, 7, v4
; %bb.103:                              ;   in Loop: Header=BB228_10 Depth=1
	s_or_b32 exec_lo, exec_lo, s18
	v_mov_b32_e32 v0, 24
	v_lshl_add_u32 v3, v3, 23, 0x3c000000
	v_lshlrev_b32_sdwa v2, v0, v2 dst_sel:DWORD dst_unused:UNUSED_PAD src0_sel:DWORD src1_sel:BYTE_3
	v_lshlrev_b32_e32 v0, 20, v82
	v_and_b32_e32 v2, 0x80000000, v2
	v_or3_b32 v3, v0, v2, v3
	v_mov_b32_e32 v2, v83
	buffer_store_dword v2, off, s[0:3], s32 offset:264 ; 4-byte Folded Spill
	buffer_store_dword v3, off, s[0:3], s32 offset:268 ; 4-byte Folded Spill
.LBB228_104:                            ;   in Loop: Header=BB228_10 Depth=1
	s_or_b32 exec_lo, exec_lo, s17
.LBB228_105:                            ;   in Loop: Header=BB228_10 Depth=1
	s_or_b32 exec_lo, exec_lo, s7
.LBB228_106:                            ;   in Loop: Header=BB228_10 Depth=1
	s_or_b32 exec_lo, exec_lo, s6
	flat_load_dword v2, v[26:27] offset:12
	v_mov_b32_e32 v3, 0
	v_mov_b32_e32 v4, 0
	buffer_store_dword v3, off, s[0:3], s32 offset:288 ; 4-byte Folded Spill
	buffer_store_dword v4, off, s[0:3], s32 offset:292 ; 4-byte Folded Spill
	v_mov_b32_e32 v3, 0
	v_mov_b32_e32 v4, 0
	buffer_store_dword v3, off, s[0:3], s32 offset:280 ; 4-byte Folded Spill
	buffer_store_dword v4, off, s[0:3], s32 offset:284 ; 4-byte Folded Spill
	s_waitcnt vmcnt(0) lgkmcnt(0)
	v_cmp_ne_u16_sdwa s5, v2, v83 src0_sel:BYTE_0 src1_sel:DWORD
	s_and_saveexec_b32 s6, s5
	s_cbranch_execz .LBB228_114
; %bb.107:                              ;   in Loop: Header=BB228_10 Depth=1
	v_bfrev_b32_e32 v3, 1
	v_mov_b32_e32 v4, 0
	v_cmp_ne_u16_sdwa s5, v2, v114 src0_sel:BYTE_0 src1_sel:DWORD
	buffer_store_dword v3, off, s[0:3], s32 offset:280 ; 4-byte Folded Spill
	buffer_store_dword v4, off, s[0:3], s32 offset:284 ; 4-byte Folded Spill
	s_and_saveexec_b32 s7, s5
	s_cbranch_execz .LBB228_113
; %bb.108:                              ;   in Loop: Header=BB228_10 Depth=1
	v_mov_b32_e32 v5, 0x7f800001
	v_and_b32_e32 v4, 0x7f, v2
	v_mov_b32_e32 v6, 0
	s_mov_b32 s17, exec_lo
	buffer_store_dword v5, off, s[0:3], s32 offset:280 ; 4-byte Folded Spill
	buffer_store_dword v6, off, s[0:3], s32 offset:284 ; 4-byte Folded Spill
	v_cmpx_ne_u32_e32 0x7f, v4
	s_cbranch_execz .LBB228_112
; %bb.109:                              ;   in Loop: Header=BB228_10 Depth=1
	v_and_b32_e32 v82, 7, v2
	v_lshrrev_b32_e32 v3, 3, v4
	s_mov_b32 s18, exec_lo
	v_cmpx_gt_u32_e32 8, v4
; %bb.110:                              ;   in Loop: Header=BB228_10 Depth=1
	v_ffbh_u32_e32 v3, v82
	v_min_u32_e32 v3, 32, v3
	v_subrev_nc_u32_e32 v4, 28, v3
	v_sub_nc_u32_e32 v3, 29, v3
	v_lshlrev_b64 v[4:5], v4, v[82:83]
	v_and_b32_e32 v82, 7, v4
; %bb.111:                              ;   in Loop: Header=BB228_10 Depth=1
	s_or_b32 exec_lo, exec_lo, s18
	v_lshlrev_b32_e32 v4, 24, v2
	v_lshlrev_b32_e32 v0, 20, v82
	v_lshl_add_u32 v3, v3, 23, 0x3c000000
	v_and_b32_e32 v4, 0x80000000, v4
	v_or3_b32 v82, v0, v4, v3
	buffer_store_dword v82, off, s[0:3], s32 offset:280 ; 4-byte Folded Spill
	buffer_store_dword v83, off, s[0:3], s32 offset:284 ; 4-byte Folded Spill
.LBB228_112:                            ;   in Loop: Header=BB228_10 Depth=1
	s_or_b32 exec_lo, exec_lo, s17
.LBB228_113:                            ;   in Loop: Header=BB228_10 Depth=1
	s_or_b32 exec_lo, exec_lo, s7
.LBB228_114:                            ;   in Loop: Header=BB228_10 Depth=1
	s_or_b32 exec_lo, exec_lo, s6
	v_cmp_ne_u16_sdwa s5, v2, v83 src0_sel:BYTE_1 src1_sel:DWORD
	s_and_saveexec_b32 s6, s5
	s_cbranch_execz .LBB228_122
; %bb.115:                              ;   in Loop: Header=BB228_10 Depth=1
	v_mov_b32_e32 v54, v83
	v_cmp_ne_u16_sdwa s5, v2, v114 src0_sel:BYTE_1 src1_sel:DWORD
	buffer_store_dword v54, off, s[0:3], s32 offset:288 ; 4-byte Folded Spill
	buffer_store_dword v55, off, s[0:3], s32 offset:292 ; 4-byte Folded Spill
	s_and_saveexec_b32 s7, s5
	s_cbranch_execz .LBB228_121
; %bb.116:                              ;   in Loop: Header=BB228_10 Depth=1
	v_mov_b32_e32 v0, 0xffff
	v_mov_b32_e32 v48, v83
	s_mov_b32 s17, exec_lo
	buffer_store_dword v48, off, s[0:3], s32 offset:288 ; 4-byte Folded Spill
	buffer_store_dword v49, off, s[0:3], s32 offset:292 ; 4-byte Folded Spill
	v_and_b32_sdwa v0, v0, v2 dst_sel:DWORD dst_unused:UNUSED_PAD src0_sel:DWORD src1_sel:BYTE_1
	v_and_b32_e32 v4, 0x7f, v0
	v_cmpx_ne_u32_e32 0x7f, v4
	s_cbranch_execz .LBB228_120
; %bb.117:                              ;   in Loop: Header=BB228_10 Depth=1
	v_and_b32_e32 v82, 7, v0
	v_lshrrev_b32_e32 v3, 3, v4
	s_mov_b32 s18, exec_lo
	v_cmpx_gt_u32_e32 8, v4
; %bb.118:                              ;   in Loop: Header=BB228_10 Depth=1
	v_ffbh_u32_e32 v3, v82
	v_min_u32_e32 v3, 32, v3
	v_subrev_nc_u32_e32 v4, 28, v3
	v_sub_nc_u32_e32 v3, 29, v3
	v_lshlrev_b64 v[4:5], v4, v[82:83]
	v_and_b32_e32 v82, 7, v4
; %bb.119:                              ;   in Loop: Header=BB228_10 Depth=1
	s_or_b32 exec_lo, exec_lo, s18
	v_lshlrev_b32_e32 v4, 16, v2
	v_lshlrev_b32_e32 v0, 20, v82
	v_lshl_add_u32 v3, v3, 23, 0x3c000000
	v_and_b32_e32 v4, 0x80000000, v4
	v_or3_b32 v4, v0, v4, v3
	v_mov_b32_e32 v3, v83
	buffer_store_dword v3, off, s[0:3], s32 offset:288 ; 4-byte Folded Spill
	buffer_store_dword v4, off, s[0:3], s32 offset:292 ; 4-byte Folded Spill
.LBB228_120:                            ;   in Loop: Header=BB228_10 Depth=1
	s_or_b32 exec_lo, exec_lo, s17
.LBB228_121:                            ;   in Loop: Header=BB228_10 Depth=1
	s_or_b32 exec_lo, exec_lo, s7
.LBB228_122:                            ;   in Loop: Header=BB228_10 Depth=1
	s_or_b32 exec_lo, exec_lo, s6
	v_mov_b32_e32 v3, 0
	v_mov_b32_e32 v4, 0
	v_mov_b32_e32 v0, 0xff
	s_mov_b32 s6, exec_lo
	buffer_store_dword v3, off, s[0:3], s32 offset:296 ; 4-byte Folded Spill
	buffer_store_dword v4, off, s[0:3], s32 offset:300 ; 4-byte Folded Spill
	v_mov_b32_e32 v3, 0
	v_and_b32_sdwa v0, v2, v0 dst_sel:DWORD dst_unused:UNUSED_PAD src0_sel:WORD_1 src1_sel:DWORD
	v_mov_b32_e32 v4, 0
	buffer_store_dword v3, off, s[0:3], s32 offset:304 ; 4-byte Folded Spill
	buffer_store_dword v4, off, s[0:3], s32 offset:308 ; 4-byte Folded Spill
	v_cmpx_ne_u16_e32 0, v0
	s_cbranch_execz .LBB228_130
; %bb.123:                              ;   in Loop: Header=BB228_10 Depth=1
	v_bfrev_b32_e32 v3, 1
	v_mov_b32_e32 v4, 0
	s_mov_b32 s7, exec_lo
	buffer_store_dword v3, off, s[0:3], s32 offset:304 ; 4-byte Folded Spill
	buffer_store_dword v4, off, s[0:3], s32 offset:308 ; 4-byte Folded Spill
	v_cmpx_ne_u16_e32 0x80, v0
	s_cbranch_execz .LBB228_129
; %bb.124:                              ;   in Loop: Header=BB228_10 Depth=1
	v_mov_b32_e32 v5, 0x7f800001
	v_bfe_u32 v4, v2, 16, 7
	v_mov_b32_e32 v6, 0
	s_mov_b32 s17, exec_lo
	buffer_store_dword v5, off, s[0:3], s32 offset:304 ; 4-byte Folded Spill
	buffer_store_dword v6, off, s[0:3], s32 offset:308 ; 4-byte Folded Spill
	v_cmpx_ne_u32_e32 0x7f, v4
	s_cbranch_execz .LBB228_128
; %bb.125:                              ;   in Loop: Header=BB228_10 Depth=1
	v_mov_b32_e32 v0, 7
	v_lshrrev_b32_e32 v3, 3, v4
	s_mov_b32 s18, exec_lo
	v_and_b32_sdwa v82, v2, v0 dst_sel:DWORD dst_unused:UNUSED_PAD src0_sel:WORD_1 src1_sel:DWORD
	v_cmpx_gt_u32_e32 8, v4
; %bb.126:                              ;   in Loop: Header=BB228_10 Depth=1
	v_ffbh_u32_e32 v3, v82
	v_min_u32_e32 v3, 32, v3
	v_subrev_nc_u32_e32 v4, 28, v3
	v_sub_nc_u32_e32 v3, 29, v3
	v_lshlrev_b64 v[4:5], v4, v[82:83]
	v_and_b32_e32 v82, 7, v4
; %bb.127:                              ;   in Loop: Header=BB228_10 Depth=1
	s_or_b32 exec_lo, exec_lo, s18
	v_mov_b32_e32 v0, 24
	v_lshl_add_u32 v3, v3, 23, 0x3c000000
	v_lshlrev_b32_sdwa v4, v0, v2 dst_sel:DWORD dst_unused:UNUSED_PAD src0_sel:DWORD src1_sel:WORD_1
	v_lshlrev_b32_e32 v0, 20, v82
	v_and_b32_e32 v4, 0x80000000, v4
	v_or3_b32 v82, v0, v4, v3
	buffer_store_dword v82, off, s[0:3], s32 offset:304 ; 4-byte Folded Spill
	buffer_store_dword v83, off, s[0:3], s32 offset:308 ; 4-byte Folded Spill
.LBB228_128:                            ;   in Loop: Header=BB228_10 Depth=1
	s_or_b32 exec_lo, exec_lo, s17
.LBB228_129:                            ;   in Loop: Header=BB228_10 Depth=1
	s_or_b32 exec_lo, exec_lo, s7
.LBB228_130:                            ;   in Loop: Header=BB228_10 Depth=1
	s_or_b32 exec_lo, exec_lo, s6
	s_mov_b32 s6, exec_lo
	v_cmpx_lt_u32_e32 0xffffff, v2
	s_cbranch_execz .LBB228_138
; %bb.131:                              ;   in Loop: Header=BB228_10 Depth=1
	v_mov_b32_e32 v54, v83
	v_cmp_ne_u32_sdwa s5, v2, v114 src0_sel:BYTE_3 src1_sel:DWORD
	buffer_store_dword v54, off, s[0:3], s32 offset:296 ; 4-byte Folded Spill
	buffer_store_dword v55, off, s[0:3], s32 offset:300 ; 4-byte Folded Spill
	s_and_saveexec_b32 s7, s5
	s_cbranch_execz .LBB228_137
; %bb.132:                              ;   in Loop: Header=BB228_10 Depth=1
	v_bfe_u32 v4, v2, 24, 7
	v_mov_b32_e32 v48, v83
	s_mov_b32 s17, exec_lo
	buffer_store_dword v48, off, s[0:3], s32 offset:296 ; 4-byte Folded Spill
	buffer_store_dword v49, off, s[0:3], s32 offset:300 ; 4-byte Folded Spill
	v_cmpx_ne_u32_e32 0x7f, v4
	s_cbranch_execz .LBB228_136
; %bb.133:                              ;   in Loop: Header=BB228_10 Depth=1
	v_mov_b32_e32 v0, 7
	v_lshrrev_b32_e32 v3, 3, v4
	s_mov_b32 s18, exec_lo
	v_and_b32_sdwa v82, v2, v0 dst_sel:DWORD dst_unused:UNUSED_PAD src0_sel:BYTE_3 src1_sel:DWORD
	v_cmpx_gt_u32_e32 8, v4
; %bb.134:                              ;   in Loop: Header=BB228_10 Depth=1
	v_ffbh_u32_e32 v3, v82
	v_min_u32_e32 v3, 32, v3
	v_subrev_nc_u32_e32 v4, 28, v3
	v_sub_nc_u32_e32 v3, 29, v3
	v_lshlrev_b64 v[4:5], v4, v[82:83]
	v_and_b32_e32 v82, 7, v4
; %bb.135:                              ;   in Loop: Header=BB228_10 Depth=1
	s_or_b32 exec_lo, exec_lo, s18
	v_mov_b32_e32 v0, 24
	v_lshl_add_u32 v3, v3, 23, 0x3c000000
	v_lshlrev_b32_sdwa v2, v0, v2 dst_sel:DWORD dst_unused:UNUSED_PAD src0_sel:DWORD src1_sel:BYTE_3
	v_lshlrev_b32_e32 v0, 20, v82
	v_and_b32_e32 v2, 0x80000000, v2
	v_or3_b32 v3, v0, v2, v3
	v_mov_b32_e32 v2, v83
	buffer_store_dword v2, off, s[0:3], s32 offset:296 ; 4-byte Folded Spill
	buffer_store_dword v3, off, s[0:3], s32 offset:300 ; 4-byte Folded Spill
.LBB228_136:                            ;   in Loop: Header=BB228_10 Depth=1
	s_or_b32 exec_lo, exec_lo, s17
.LBB228_137:                            ;   in Loop: Header=BB228_10 Depth=1
	s_or_b32 exec_lo, exec_lo, s7
.LBB228_138:                            ;   in Loop: Header=BB228_10 Depth=1
	s_or_b32 exec_lo, exec_lo, s6
	flat_load_dword v2, v[26:27] offset:512
	v_mov_b32_e32 v3, 0
	v_mov_b32_e32 v4, 0
	buffer_store_dword v3, off, s[0:3], s32 offset:320 ; 4-byte Folded Spill
	buffer_store_dword v4, off, s[0:3], s32 offset:324 ; 4-byte Folded Spill
	v_mov_b32_e32 v3, 0
	v_mov_b32_e32 v4, 0
	buffer_store_dword v3, off, s[0:3], s32 offset:312 ; 4-byte Folded Spill
	buffer_store_dword v4, off, s[0:3], s32 offset:316 ; 4-byte Folded Spill
	s_waitcnt vmcnt(0) lgkmcnt(0)
	v_cmp_ne_u16_sdwa s5, v2, v83 src0_sel:BYTE_0 src1_sel:DWORD
	s_and_saveexec_b32 s6, s5
	s_cbranch_execz .LBB228_146
; %bb.139:                              ;   in Loop: Header=BB228_10 Depth=1
	v_bfrev_b32_e32 v3, 1
	v_mov_b32_e32 v4, 0
	v_cmp_ne_u16_sdwa s5, v2, v114 src0_sel:BYTE_0 src1_sel:DWORD
	buffer_store_dword v3, off, s[0:3], s32 offset:312 ; 4-byte Folded Spill
	buffer_store_dword v4, off, s[0:3], s32 offset:316 ; 4-byte Folded Spill
	s_and_saveexec_b32 s7, s5
	s_cbranch_execz .LBB228_145
; %bb.140:                              ;   in Loop: Header=BB228_10 Depth=1
	v_mov_b32_e32 v5, 0x7f800001
	v_and_b32_e32 v4, 0x7f, v2
	v_mov_b32_e32 v6, 0
	s_mov_b32 s17, exec_lo
	buffer_store_dword v5, off, s[0:3], s32 offset:312 ; 4-byte Folded Spill
	buffer_store_dword v6, off, s[0:3], s32 offset:316 ; 4-byte Folded Spill
	v_cmpx_ne_u32_e32 0x7f, v4
	s_cbranch_execz .LBB228_144
; %bb.141:                              ;   in Loop: Header=BB228_10 Depth=1
	v_and_b32_e32 v82, 7, v2
	v_lshrrev_b32_e32 v3, 3, v4
	s_mov_b32 s18, exec_lo
	v_cmpx_gt_u32_e32 8, v4
; %bb.142:                              ;   in Loop: Header=BB228_10 Depth=1
	v_ffbh_u32_e32 v3, v82
	v_min_u32_e32 v3, 32, v3
	v_subrev_nc_u32_e32 v4, 28, v3
	v_sub_nc_u32_e32 v3, 29, v3
	v_lshlrev_b64 v[4:5], v4, v[82:83]
	v_and_b32_e32 v82, 7, v4
; %bb.143:                              ;   in Loop: Header=BB228_10 Depth=1
	s_or_b32 exec_lo, exec_lo, s18
	v_lshlrev_b32_e32 v4, 24, v2
	v_lshlrev_b32_e32 v0, 20, v82
	v_lshl_add_u32 v3, v3, 23, 0x3c000000
	v_and_b32_e32 v4, 0x80000000, v4
	v_or3_b32 v82, v0, v4, v3
	buffer_store_dword v82, off, s[0:3], s32 offset:312 ; 4-byte Folded Spill
	buffer_store_dword v83, off, s[0:3], s32 offset:316 ; 4-byte Folded Spill
.LBB228_144:                            ;   in Loop: Header=BB228_10 Depth=1
	s_or_b32 exec_lo, exec_lo, s17
.LBB228_145:                            ;   in Loop: Header=BB228_10 Depth=1
	s_or_b32 exec_lo, exec_lo, s7
.LBB228_146:                            ;   in Loop: Header=BB228_10 Depth=1
	s_or_b32 exec_lo, exec_lo, s6
	v_cmp_ne_u16_sdwa s5, v2, v83 src0_sel:BYTE_1 src1_sel:DWORD
	s_and_saveexec_b32 s6, s5
	s_cbranch_execz .LBB228_154
; %bb.147:                              ;   in Loop: Header=BB228_10 Depth=1
	v_mov_b32_e32 v54, v83
	v_cmp_ne_u16_sdwa s5, v2, v114 src0_sel:BYTE_1 src1_sel:DWORD
	buffer_store_dword v54, off, s[0:3], s32 offset:320 ; 4-byte Folded Spill
	buffer_store_dword v55, off, s[0:3], s32 offset:324 ; 4-byte Folded Spill
	s_and_saveexec_b32 s7, s5
	s_cbranch_execz .LBB228_153
; %bb.148:                              ;   in Loop: Header=BB228_10 Depth=1
	v_mov_b32_e32 v0, 0xffff
	v_mov_b32_e32 v48, v83
	s_mov_b32 s17, exec_lo
	buffer_store_dword v48, off, s[0:3], s32 offset:320 ; 4-byte Folded Spill
	buffer_store_dword v49, off, s[0:3], s32 offset:324 ; 4-byte Folded Spill
	v_and_b32_sdwa v0, v0, v2 dst_sel:DWORD dst_unused:UNUSED_PAD src0_sel:DWORD src1_sel:BYTE_1
	v_and_b32_e32 v4, 0x7f, v0
	v_cmpx_ne_u32_e32 0x7f, v4
	s_cbranch_execz .LBB228_152
; %bb.149:                              ;   in Loop: Header=BB228_10 Depth=1
	v_and_b32_e32 v82, 7, v0
	v_lshrrev_b32_e32 v3, 3, v4
	s_mov_b32 s18, exec_lo
	v_cmpx_gt_u32_e32 8, v4
; %bb.150:                              ;   in Loop: Header=BB228_10 Depth=1
	v_ffbh_u32_e32 v3, v82
	v_min_u32_e32 v3, 32, v3
	v_subrev_nc_u32_e32 v4, 28, v3
	v_sub_nc_u32_e32 v3, 29, v3
	v_lshlrev_b64 v[4:5], v4, v[82:83]
	v_and_b32_e32 v82, 7, v4
; %bb.151:                              ;   in Loop: Header=BB228_10 Depth=1
	s_or_b32 exec_lo, exec_lo, s18
	v_lshlrev_b32_e32 v4, 16, v2
	v_lshlrev_b32_e32 v0, 20, v82
	v_lshl_add_u32 v3, v3, 23, 0x3c000000
	v_and_b32_e32 v4, 0x80000000, v4
	v_or3_b32 v4, v0, v4, v3
	v_mov_b32_e32 v3, v83
	buffer_store_dword v3, off, s[0:3], s32 offset:320 ; 4-byte Folded Spill
	buffer_store_dword v4, off, s[0:3], s32 offset:324 ; 4-byte Folded Spill
.LBB228_152:                            ;   in Loop: Header=BB228_10 Depth=1
	s_or_b32 exec_lo, exec_lo, s17
.LBB228_153:                            ;   in Loop: Header=BB228_10 Depth=1
	s_or_b32 exec_lo, exec_lo, s7
.LBB228_154:                            ;   in Loop: Header=BB228_10 Depth=1
	s_or_b32 exec_lo, exec_lo, s6
	v_mov_b32_e32 v3, 0
	v_mov_b32_e32 v4, 0
	;; [unrolled: 1-line block ×3, first 2 shown]
	s_mov_b32 s6, exec_lo
	buffer_store_dword v3, off, s[0:3], s32 offset:328 ; 4-byte Folded Spill
	buffer_store_dword v4, off, s[0:3], s32 offset:332 ; 4-byte Folded Spill
	v_mov_b32_e32 v3, 0
	v_and_b32_sdwa v0, v2, v0 dst_sel:DWORD dst_unused:UNUSED_PAD src0_sel:WORD_1 src1_sel:DWORD
	v_mov_b32_e32 v4, 0
	buffer_store_dword v3, off, s[0:3], s32 offset:336 ; 4-byte Folded Spill
	buffer_store_dword v4, off, s[0:3], s32 offset:340 ; 4-byte Folded Spill
	v_cmpx_ne_u16_e32 0, v0
	s_cbranch_execz .LBB228_162
; %bb.155:                              ;   in Loop: Header=BB228_10 Depth=1
	v_bfrev_b32_e32 v3, 1
	v_mov_b32_e32 v4, 0
	s_mov_b32 s7, exec_lo
	buffer_store_dword v3, off, s[0:3], s32 offset:336 ; 4-byte Folded Spill
	buffer_store_dword v4, off, s[0:3], s32 offset:340 ; 4-byte Folded Spill
	v_cmpx_ne_u16_e32 0x80, v0
	s_cbranch_execz .LBB228_161
; %bb.156:                              ;   in Loop: Header=BB228_10 Depth=1
	v_mov_b32_e32 v5, 0x7f800001
	v_bfe_u32 v4, v2, 16, 7
	v_mov_b32_e32 v6, 0
	s_mov_b32 s17, exec_lo
	buffer_store_dword v5, off, s[0:3], s32 offset:336 ; 4-byte Folded Spill
	buffer_store_dword v6, off, s[0:3], s32 offset:340 ; 4-byte Folded Spill
	v_cmpx_ne_u32_e32 0x7f, v4
	s_cbranch_execz .LBB228_160
; %bb.157:                              ;   in Loop: Header=BB228_10 Depth=1
	v_mov_b32_e32 v0, 7
	v_lshrrev_b32_e32 v3, 3, v4
	s_mov_b32 s18, exec_lo
	v_and_b32_sdwa v82, v2, v0 dst_sel:DWORD dst_unused:UNUSED_PAD src0_sel:WORD_1 src1_sel:DWORD
	v_cmpx_gt_u32_e32 8, v4
; %bb.158:                              ;   in Loop: Header=BB228_10 Depth=1
	v_ffbh_u32_e32 v3, v82
	v_min_u32_e32 v3, 32, v3
	v_subrev_nc_u32_e32 v4, 28, v3
	v_sub_nc_u32_e32 v3, 29, v3
	v_lshlrev_b64 v[4:5], v4, v[82:83]
	v_and_b32_e32 v82, 7, v4
; %bb.159:                              ;   in Loop: Header=BB228_10 Depth=1
	s_or_b32 exec_lo, exec_lo, s18
	v_mov_b32_e32 v0, 24
	v_lshl_add_u32 v3, v3, 23, 0x3c000000
	v_lshlrev_b32_sdwa v4, v0, v2 dst_sel:DWORD dst_unused:UNUSED_PAD src0_sel:DWORD src1_sel:WORD_1
	v_lshlrev_b32_e32 v0, 20, v82
	v_and_b32_e32 v4, 0x80000000, v4
	v_or3_b32 v82, v0, v4, v3
	buffer_store_dword v82, off, s[0:3], s32 offset:336 ; 4-byte Folded Spill
	buffer_store_dword v83, off, s[0:3], s32 offset:340 ; 4-byte Folded Spill
.LBB228_160:                            ;   in Loop: Header=BB228_10 Depth=1
	s_or_b32 exec_lo, exec_lo, s17
.LBB228_161:                            ;   in Loop: Header=BB228_10 Depth=1
	s_or_b32 exec_lo, exec_lo, s7
.LBB228_162:                            ;   in Loop: Header=BB228_10 Depth=1
	s_or_b32 exec_lo, exec_lo, s6
	s_mov_b32 s6, exec_lo
	v_cmpx_lt_u32_e32 0xffffff, v2
	s_cbranch_execz .LBB228_170
; %bb.163:                              ;   in Loop: Header=BB228_10 Depth=1
	v_mov_b32_e32 v54, v83
	v_cmp_ne_u32_sdwa s5, v2, v114 src0_sel:BYTE_3 src1_sel:DWORD
	buffer_store_dword v54, off, s[0:3], s32 offset:328 ; 4-byte Folded Spill
	buffer_store_dword v55, off, s[0:3], s32 offset:332 ; 4-byte Folded Spill
	s_and_saveexec_b32 s7, s5
	s_cbranch_execz .LBB228_169
; %bb.164:                              ;   in Loop: Header=BB228_10 Depth=1
	v_bfe_u32 v4, v2, 24, 7
	v_mov_b32_e32 v48, v83
	s_mov_b32 s17, exec_lo
	buffer_store_dword v48, off, s[0:3], s32 offset:328 ; 4-byte Folded Spill
	buffer_store_dword v49, off, s[0:3], s32 offset:332 ; 4-byte Folded Spill
	v_cmpx_ne_u32_e32 0x7f, v4
	s_cbranch_execz .LBB228_168
; %bb.165:                              ;   in Loop: Header=BB228_10 Depth=1
	v_mov_b32_e32 v0, 7
	v_lshrrev_b32_e32 v3, 3, v4
	s_mov_b32 s18, exec_lo
	v_and_b32_sdwa v82, v2, v0 dst_sel:DWORD dst_unused:UNUSED_PAD src0_sel:BYTE_3 src1_sel:DWORD
	v_cmpx_gt_u32_e32 8, v4
; %bb.166:                              ;   in Loop: Header=BB228_10 Depth=1
	v_ffbh_u32_e32 v3, v82
	v_min_u32_e32 v3, 32, v3
	v_subrev_nc_u32_e32 v4, 28, v3
	v_sub_nc_u32_e32 v3, 29, v3
	v_lshlrev_b64 v[4:5], v4, v[82:83]
	v_and_b32_e32 v82, 7, v4
; %bb.167:                              ;   in Loop: Header=BB228_10 Depth=1
	s_or_b32 exec_lo, exec_lo, s18
	v_mov_b32_e32 v0, 24
	v_lshl_add_u32 v3, v3, 23, 0x3c000000
	v_lshlrev_b32_sdwa v2, v0, v2 dst_sel:DWORD dst_unused:UNUSED_PAD src0_sel:DWORD src1_sel:BYTE_3
	v_lshlrev_b32_e32 v0, 20, v82
	v_and_b32_e32 v2, 0x80000000, v2
	v_or3_b32 v3, v0, v2, v3
	v_mov_b32_e32 v2, v83
	buffer_store_dword v2, off, s[0:3], s32 offset:328 ; 4-byte Folded Spill
	buffer_store_dword v3, off, s[0:3], s32 offset:332 ; 4-byte Folded Spill
.LBB228_168:                            ;   in Loop: Header=BB228_10 Depth=1
	s_or_b32 exec_lo, exec_lo, s17
.LBB228_169:                            ;   in Loop: Header=BB228_10 Depth=1
	s_or_b32 exec_lo, exec_lo, s7
.LBB228_170:                            ;   in Loop: Header=BB228_10 Depth=1
	s_or_b32 exec_lo, exec_lo, s6
	flat_load_dword v2, v[26:27] offset:516
	v_mov_b32_e32 v3, 0
	v_mov_b32_e32 v4, 0
	buffer_store_dword v3, off, s[0:3], s32 offset:352 ; 4-byte Folded Spill
	buffer_store_dword v4, off, s[0:3], s32 offset:356 ; 4-byte Folded Spill
	v_mov_b32_e32 v3, 0
	v_mov_b32_e32 v4, 0
	buffer_store_dword v3, off, s[0:3], s32 offset:344 ; 4-byte Folded Spill
	buffer_store_dword v4, off, s[0:3], s32 offset:348 ; 4-byte Folded Spill
	s_waitcnt vmcnt(0) lgkmcnt(0)
	v_cmp_ne_u16_sdwa s5, v2, v83 src0_sel:BYTE_0 src1_sel:DWORD
	s_and_saveexec_b32 s6, s5
	s_cbranch_execz .LBB228_178
; %bb.171:                              ;   in Loop: Header=BB228_10 Depth=1
	v_bfrev_b32_e32 v3, 1
	v_mov_b32_e32 v4, 0
	v_cmp_ne_u16_sdwa s5, v2, v114 src0_sel:BYTE_0 src1_sel:DWORD
	buffer_store_dword v3, off, s[0:3], s32 offset:344 ; 4-byte Folded Spill
	buffer_store_dword v4, off, s[0:3], s32 offset:348 ; 4-byte Folded Spill
	s_and_saveexec_b32 s7, s5
	s_cbranch_execz .LBB228_177
; %bb.172:                              ;   in Loop: Header=BB228_10 Depth=1
	v_mov_b32_e32 v5, 0x7f800001
	v_and_b32_e32 v4, 0x7f, v2
	v_mov_b32_e32 v6, 0
	s_mov_b32 s17, exec_lo
	buffer_store_dword v5, off, s[0:3], s32 offset:344 ; 4-byte Folded Spill
	buffer_store_dword v6, off, s[0:3], s32 offset:348 ; 4-byte Folded Spill
	v_cmpx_ne_u32_e32 0x7f, v4
	s_cbranch_execz .LBB228_176
; %bb.173:                              ;   in Loop: Header=BB228_10 Depth=1
	v_and_b32_e32 v82, 7, v2
	v_lshrrev_b32_e32 v3, 3, v4
	s_mov_b32 s18, exec_lo
	v_cmpx_gt_u32_e32 8, v4
; %bb.174:                              ;   in Loop: Header=BB228_10 Depth=1
	v_ffbh_u32_e32 v3, v82
	v_min_u32_e32 v3, 32, v3
	v_subrev_nc_u32_e32 v4, 28, v3
	v_sub_nc_u32_e32 v3, 29, v3
	v_lshlrev_b64 v[4:5], v4, v[82:83]
	v_and_b32_e32 v82, 7, v4
; %bb.175:                              ;   in Loop: Header=BB228_10 Depth=1
	s_or_b32 exec_lo, exec_lo, s18
	v_lshlrev_b32_e32 v4, 24, v2
	v_lshlrev_b32_e32 v0, 20, v82
	v_lshl_add_u32 v3, v3, 23, 0x3c000000
	v_and_b32_e32 v4, 0x80000000, v4
	v_or3_b32 v82, v0, v4, v3
	buffer_store_dword v82, off, s[0:3], s32 offset:344 ; 4-byte Folded Spill
	buffer_store_dword v83, off, s[0:3], s32 offset:348 ; 4-byte Folded Spill
.LBB228_176:                            ;   in Loop: Header=BB228_10 Depth=1
	s_or_b32 exec_lo, exec_lo, s17
.LBB228_177:                            ;   in Loop: Header=BB228_10 Depth=1
	s_or_b32 exec_lo, exec_lo, s7
.LBB228_178:                            ;   in Loop: Header=BB228_10 Depth=1
	s_or_b32 exec_lo, exec_lo, s6
	v_cmp_ne_u16_sdwa s5, v2, v83 src0_sel:BYTE_1 src1_sel:DWORD
	s_and_saveexec_b32 s6, s5
	s_cbranch_execz .LBB228_186
; %bb.179:                              ;   in Loop: Header=BB228_10 Depth=1
	v_mov_b32_e32 v54, v83
	v_cmp_ne_u16_sdwa s5, v2, v114 src0_sel:BYTE_1 src1_sel:DWORD
	buffer_store_dword v54, off, s[0:3], s32 offset:352 ; 4-byte Folded Spill
	buffer_store_dword v55, off, s[0:3], s32 offset:356 ; 4-byte Folded Spill
	s_and_saveexec_b32 s7, s5
	s_cbranch_execz .LBB228_185
; %bb.180:                              ;   in Loop: Header=BB228_10 Depth=1
	v_mov_b32_e32 v0, 0xffff
	v_mov_b32_e32 v48, v83
	s_mov_b32 s17, exec_lo
	buffer_store_dword v48, off, s[0:3], s32 offset:352 ; 4-byte Folded Spill
	buffer_store_dword v49, off, s[0:3], s32 offset:356 ; 4-byte Folded Spill
	v_and_b32_sdwa v0, v0, v2 dst_sel:DWORD dst_unused:UNUSED_PAD src0_sel:DWORD src1_sel:BYTE_1
	v_and_b32_e32 v4, 0x7f, v0
	v_cmpx_ne_u32_e32 0x7f, v4
	s_cbranch_execz .LBB228_184
; %bb.181:                              ;   in Loop: Header=BB228_10 Depth=1
	v_and_b32_e32 v82, 7, v0
	v_lshrrev_b32_e32 v3, 3, v4
	s_mov_b32 s18, exec_lo
	v_cmpx_gt_u32_e32 8, v4
; %bb.182:                              ;   in Loop: Header=BB228_10 Depth=1
	v_ffbh_u32_e32 v3, v82
	v_min_u32_e32 v3, 32, v3
	v_subrev_nc_u32_e32 v4, 28, v3
	v_sub_nc_u32_e32 v3, 29, v3
	v_lshlrev_b64 v[4:5], v4, v[82:83]
	v_and_b32_e32 v82, 7, v4
; %bb.183:                              ;   in Loop: Header=BB228_10 Depth=1
	s_or_b32 exec_lo, exec_lo, s18
	v_lshlrev_b32_e32 v4, 16, v2
	v_lshlrev_b32_e32 v0, 20, v82
	v_lshl_add_u32 v3, v3, 23, 0x3c000000
	v_and_b32_e32 v4, 0x80000000, v4
	v_or3_b32 v4, v0, v4, v3
	v_mov_b32_e32 v3, v83
	buffer_store_dword v3, off, s[0:3], s32 offset:352 ; 4-byte Folded Spill
	buffer_store_dword v4, off, s[0:3], s32 offset:356 ; 4-byte Folded Spill
.LBB228_184:                            ;   in Loop: Header=BB228_10 Depth=1
	s_or_b32 exec_lo, exec_lo, s17
.LBB228_185:                            ;   in Loop: Header=BB228_10 Depth=1
	s_or_b32 exec_lo, exec_lo, s7
.LBB228_186:                            ;   in Loop: Header=BB228_10 Depth=1
	s_or_b32 exec_lo, exec_lo, s6
	v_mov_b32_e32 v3, 0
	v_mov_b32_e32 v4, 0
	;; [unrolled: 1-line block ×3, first 2 shown]
	s_mov_b32 s6, exec_lo
	buffer_store_dword v3, off, s[0:3], s32 offset:360 ; 4-byte Folded Spill
	buffer_store_dword v4, off, s[0:3], s32 offset:364 ; 4-byte Folded Spill
	v_mov_b32_e32 v3, 0
	v_and_b32_sdwa v0, v2, v0 dst_sel:DWORD dst_unused:UNUSED_PAD src0_sel:WORD_1 src1_sel:DWORD
	v_mov_b32_e32 v4, 0
	buffer_store_dword v3, off, s[0:3], s32 offset:368 ; 4-byte Folded Spill
	buffer_store_dword v4, off, s[0:3], s32 offset:372 ; 4-byte Folded Spill
	v_cmpx_ne_u16_e32 0, v0
	s_cbranch_execz .LBB228_194
; %bb.187:                              ;   in Loop: Header=BB228_10 Depth=1
	v_bfrev_b32_e32 v3, 1
	v_mov_b32_e32 v4, 0
	s_mov_b32 s7, exec_lo
	buffer_store_dword v3, off, s[0:3], s32 offset:368 ; 4-byte Folded Spill
	buffer_store_dword v4, off, s[0:3], s32 offset:372 ; 4-byte Folded Spill
	v_cmpx_ne_u16_e32 0x80, v0
	s_cbranch_execz .LBB228_193
; %bb.188:                              ;   in Loop: Header=BB228_10 Depth=1
	v_mov_b32_e32 v5, 0x7f800001
	v_bfe_u32 v4, v2, 16, 7
	v_mov_b32_e32 v6, 0
	s_mov_b32 s17, exec_lo
	buffer_store_dword v5, off, s[0:3], s32 offset:368 ; 4-byte Folded Spill
	buffer_store_dword v6, off, s[0:3], s32 offset:372 ; 4-byte Folded Spill
	v_cmpx_ne_u32_e32 0x7f, v4
	s_cbranch_execz .LBB228_192
; %bb.189:                              ;   in Loop: Header=BB228_10 Depth=1
	v_mov_b32_e32 v0, 7
	v_lshrrev_b32_e32 v3, 3, v4
	s_mov_b32 s18, exec_lo
	v_and_b32_sdwa v82, v2, v0 dst_sel:DWORD dst_unused:UNUSED_PAD src0_sel:WORD_1 src1_sel:DWORD
	v_cmpx_gt_u32_e32 8, v4
; %bb.190:                              ;   in Loop: Header=BB228_10 Depth=1
	v_ffbh_u32_e32 v3, v82
	v_min_u32_e32 v3, 32, v3
	v_subrev_nc_u32_e32 v4, 28, v3
	v_sub_nc_u32_e32 v3, 29, v3
	v_lshlrev_b64 v[4:5], v4, v[82:83]
	v_and_b32_e32 v82, 7, v4
; %bb.191:                              ;   in Loop: Header=BB228_10 Depth=1
	s_or_b32 exec_lo, exec_lo, s18
	v_mov_b32_e32 v0, 24
	v_lshl_add_u32 v3, v3, 23, 0x3c000000
	v_lshlrev_b32_sdwa v4, v0, v2 dst_sel:DWORD dst_unused:UNUSED_PAD src0_sel:DWORD src1_sel:WORD_1
	v_lshlrev_b32_e32 v0, 20, v82
	v_and_b32_e32 v4, 0x80000000, v4
	v_or3_b32 v82, v0, v4, v3
	buffer_store_dword v82, off, s[0:3], s32 offset:368 ; 4-byte Folded Spill
	buffer_store_dword v83, off, s[0:3], s32 offset:372 ; 4-byte Folded Spill
.LBB228_192:                            ;   in Loop: Header=BB228_10 Depth=1
	s_or_b32 exec_lo, exec_lo, s17
.LBB228_193:                            ;   in Loop: Header=BB228_10 Depth=1
	s_or_b32 exec_lo, exec_lo, s7
.LBB228_194:                            ;   in Loop: Header=BB228_10 Depth=1
	s_or_b32 exec_lo, exec_lo, s6
	s_mov_b32 s6, exec_lo
	v_cmpx_lt_u32_e32 0xffffff, v2
	s_cbranch_execz .LBB228_202
; %bb.195:                              ;   in Loop: Header=BB228_10 Depth=1
	v_mov_b32_e32 v54, v83
	v_cmp_ne_u32_sdwa s5, v2, v114 src0_sel:BYTE_3 src1_sel:DWORD
	buffer_store_dword v54, off, s[0:3], s32 offset:360 ; 4-byte Folded Spill
	buffer_store_dword v55, off, s[0:3], s32 offset:364 ; 4-byte Folded Spill
	s_and_saveexec_b32 s7, s5
	s_cbranch_execz .LBB228_201
; %bb.196:                              ;   in Loop: Header=BB228_10 Depth=1
	v_bfe_u32 v4, v2, 24, 7
	v_mov_b32_e32 v48, v83
	s_mov_b32 s17, exec_lo
	buffer_store_dword v48, off, s[0:3], s32 offset:360 ; 4-byte Folded Spill
	buffer_store_dword v49, off, s[0:3], s32 offset:364 ; 4-byte Folded Spill
	v_cmpx_ne_u32_e32 0x7f, v4
	s_cbranch_execz .LBB228_200
; %bb.197:                              ;   in Loop: Header=BB228_10 Depth=1
	v_mov_b32_e32 v0, 7
	v_lshrrev_b32_e32 v3, 3, v4
	s_mov_b32 s18, exec_lo
	v_and_b32_sdwa v82, v2, v0 dst_sel:DWORD dst_unused:UNUSED_PAD src0_sel:BYTE_3 src1_sel:DWORD
	v_cmpx_gt_u32_e32 8, v4
; %bb.198:                              ;   in Loop: Header=BB228_10 Depth=1
	v_ffbh_u32_e32 v3, v82
	v_min_u32_e32 v3, 32, v3
	v_subrev_nc_u32_e32 v4, 28, v3
	v_sub_nc_u32_e32 v3, 29, v3
	v_lshlrev_b64 v[4:5], v4, v[82:83]
	v_and_b32_e32 v82, 7, v4
; %bb.199:                              ;   in Loop: Header=BB228_10 Depth=1
	s_or_b32 exec_lo, exec_lo, s18
	v_mov_b32_e32 v0, 24
	v_lshl_add_u32 v3, v3, 23, 0x3c000000
	v_lshlrev_b32_sdwa v2, v0, v2 dst_sel:DWORD dst_unused:UNUSED_PAD src0_sel:DWORD src1_sel:BYTE_3
	v_lshlrev_b32_e32 v0, 20, v82
	v_and_b32_e32 v2, 0x80000000, v2
	v_or3_b32 v3, v0, v2, v3
	v_mov_b32_e32 v2, v83
	buffer_store_dword v2, off, s[0:3], s32 offset:360 ; 4-byte Folded Spill
	buffer_store_dword v3, off, s[0:3], s32 offset:364 ; 4-byte Folded Spill
.LBB228_200:                            ;   in Loop: Header=BB228_10 Depth=1
	s_or_b32 exec_lo, exec_lo, s17
.LBB228_201:                            ;   in Loop: Header=BB228_10 Depth=1
	s_or_b32 exec_lo, exec_lo, s7
.LBB228_202:                            ;   in Loop: Header=BB228_10 Depth=1
	s_or_b32 exec_lo, exec_lo, s6
	flat_load_dword v2, v[26:27] offset:520
	v_mov_b32_e32 v3, 0
	v_mov_b32_e32 v4, 0
	buffer_store_dword v3, off, s[0:3], s32 offset:384 ; 4-byte Folded Spill
	buffer_store_dword v4, off, s[0:3], s32 offset:388 ; 4-byte Folded Spill
	v_mov_b32_e32 v3, 0
	v_mov_b32_e32 v4, 0
	buffer_store_dword v3, off, s[0:3], s32 offset:376 ; 4-byte Folded Spill
	buffer_store_dword v4, off, s[0:3], s32 offset:380 ; 4-byte Folded Spill
	s_waitcnt vmcnt(0) lgkmcnt(0)
	v_cmp_ne_u16_sdwa s5, v2, v83 src0_sel:BYTE_0 src1_sel:DWORD
	s_and_saveexec_b32 s6, s5
	s_cbranch_execz .LBB228_210
; %bb.203:                              ;   in Loop: Header=BB228_10 Depth=1
	v_bfrev_b32_e32 v3, 1
	v_mov_b32_e32 v4, 0
	v_cmp_ne_u16_sdwa s5, v2, v114 src0_sel:BYTE_0 src1_sel:DWORD
	buffer_store_dword v3, off, s[0:3], s32 offset:376 ; 4-byte Folded Spill
	buffer_store_dword v4, off, s[0:3], s32 offset:380 ; 4-byte Folded Spill
	s_and_saveexec_b32 s7, s5
	s_cbranch_execz .LBB228_209
; %bb.204:                              ;   in Loop: Header=BB228_10 Depth=1
	v_mov_b32_e32 v5, 0x7f800001
	v_and_b32_e32 v4, 0x7f, v2
	v_mov_b32_e32 v6, 0
	s_mov_b32 s17, exec_lo
	buffer_store_dword v5, off, s[0:3], s32 offset:376 ; 4-byte Folded Spill
	buffer_store_dword v6, off, s[0:3], s32 offset:380 ; 4-byte Folded Spill
	v_cmpx_ne_u32_e32 0x7f, v4
	s_cbranch_execz .LBB228_208
; %bb.205:                              ;   in Loop: Header=BB228_10 Depth=1
	v_and_b32_e32 v82, 7, v2
	v_lshrrev_b32_e32 v3, 3, v4
	s_mov_b32 s18, exec_lo
	v_cmpx_gt_u32_e32 8, v4
; %bb.206:                              ;   in Loop: Header=BB228_10 Depth=1
	v_ffbh_u32_e32 v3, v82
	v_min_u32_e32 v3, 32, v3
	v_subrev_nc_u32_e32 v4, 28, v3
	v_sub_nc_u32_e32 v3, 29, v3
	v_lshlrev_b64 v[4:5], v4, v[82:83]
	v_and_b32_e32 v82, 7, v4
; %bb.207:                              ;   in Loop: Header=BB228_10 Depth=1
	s_or_b32 exec_lo, exec_lo, s18
	v_lshlrev_b32_e32 v4, 24, v2
	v_lshlrev_b32_e32 v0, 20, v82
	v_lshl_add_u32 v3, v3, 23, 0x3c000000
	v_and_b32_e32 v4, 0x80000000, v4
	v_or3_b32 v82, v0, v4, v3
	buffer_store_dword v82, off, s[0:3], s32 offset:376 ; 4-byte Folded Spill
	buffer_store_dword v83, off, s[0:3], s32 offset:380 ; 4-byte Folded Spill
.LBB228_208:                            ;   in Loop: Header=BB228_10 Depth=1
	s_or_b32 exec_lo, exec_lo, s17
.LBB228_209:                            ;   in Loop: Header=BB228_10 Depth=1
	s_or_b32 exec_lo, exec_lo, s7
.LBB228_210:                            ;   in Loop: Header=BB228_10 Depth=1
	s_or_b32 exec_lo, exec_lo, s6
	v_cmp_ne_u16_sdwa s5, v2, v83 src0_sel:BYTE_1 src1_sel:DWORD
	s_and_saveexec_b32 s6, s5
	s_cbranch_execz .LBB228_218
; %bb.211:                              ;   in Loop: Header=BB228_10 Depth=1
	v_mov_b32_e32 v54, v83
	v_cmp_ne_u16_sdwa s5, v2, v114 src0_sel:BYTE_1 src1_sel:DWORD
	buffer_store_dword v54, off, s[0:3], s32 offset:384 ; 4-byte Folded Spill
	buffer_store_dword v55, off, s[0:3], s32 offset:388 ; 4-byte Folded Spill
	s_and_saveexec_b32 s7, s5
	s_cbranch_execz .LBB228_217
; %bb.212:                              ;   in Loop: Header=BB228_10 Depth=1
	v_mov_b32_e32 v0, 0xffff
	v_mov_b32_e32 v48, v83
	s_mov_b32 s17, exec_lo
	buffer_store_dword v48, off, s[0:3], s32 offset:384 ; 4-byte Folded Spill
	buffer_store_dword v49, off, s[0:3], s32 offset:388 ; 4-byte Folded Spill
	v_and_b32_sdwa v0, v0, v2 dst_sel:DWORD dst_unused:UNUSED_PAD src0_sel:DWORD src1_sel:BYTE_1
	v_and_b32_e32 v4, 0x7f, v0
	v_cmpx_ne_u32_e32 0x7f, v4
	s_cbranch_execz .LBB228_216
; %bb.213:                              ;   in Loop: Header=BB228_10 Depth=1
	v_and_b32_e32 v82, 7, v0
	v_lshrrev_b32_e32 v3, 3, v4
	s_mov_b32 s18, exec_lo
	v_cmpx_gt_u32_e32 8, v4
; %bb.214:                              ;   in Loop: Header=BB228_10 Depth=1
	v_ffbh_u32_e32 v3, v82
	v_min_u32_e32 v3, 32, v3
	v_subrev_nc_u32_e32 v4, 28, v3
	v_sub_nc_u32_e32 v3, 29, v3
	v_lshlrev_b64 v[4:5], v4, v[82:83]
	v_and_b32_e32 v82, 7, v4
; %bb.215:                              ;   in Loop: Header=BB228_10 Depth=1
	s_or_b32 exec_lo, exec_lo, s18
	v_lshlrev_b32_e32 v4, 16, v2
	v_lshlrev_b32_e32 v0, 20, v82
	v_lshl_add_u32 v3, v3, 23, 0x3c000000
	v_and_b32_e32 v4, 0x80000000, v4
	v_or3_b32 v4, v0, v4, v3
	v_mov_b32_e32 v3, v83
	buffer_store_dword v3, off, s[0:3], s32 offset:384 ; 4-byte Folded Spill
	buffer_store_dword v4, off, s[0:3], s32 offset:388 ; 4-byte Folded Spill
.LBB228_216:                            ;   in Loop: Header=BB228_10 Depth=1
	s_or_b32 exec_lo, exec_lo, s17
.LBB228_217:                            ;   in Loop: Header=BB228_10 Depth=1
	s_or_b32 exec_lo, exec_lo, s7
.LBB228_218:                            ;   in Loop: Header=BB228_10 Depth=1
	s_or_b32 exec_lo, exec_lo, s6
	v_mov_b32_e32 v3, 0
	v_mov_b32_e32 v4, 0
	;; [unrolled: 1-line block ×3, first 2 shown]
	s_mov_b32 s6, exec_lo
	buffer_store_dword v3, off, s[0:3], s32 offset:392 ; 4-byte Folded Spill
	buffer_store_dword v4, off, s[0:3], s32 offset:396 ; 4-byte Folded Spill
	v_mov_b32_e32 v3, 0
	v_and_b32_sdwa v0, v2, v0 dst_sel:DWORD dst_unused:UNUSED_PAD src0_sel:WORD_1 src1_sel:DWORD
	v_mov_b32_e32 v4, 0
	buffer_store_dword v3, off, s[0:3], s32 offset:400 ; 4-byte Folded Spill
	buffer_store_dword v4, off, s[0:3], s32 offset:404 ; 4-byte Folded Spill
	v_cmpx_ne_u16_e32 0, v0
	s_cbranch_execz .LBB228_226
; %bb.219:                              ;   in Loop: Header=BB228_10 Depth=1
	v_bfrev_b32_e32 v3, 1
	v_mov_b32_e32 v4, 0
	s_mov_b32 s7, exec_lo
	buffer_store_dword v3, off, s[0:3], s32 offset:400 ; 4-byte Folded Spill
	buffer_store_dword v4, off, s[0:3], s32 offset:404 ; 4-byte Folded Spill
	v_cmpx_ne_u16_e32 0x80, v0
	s_cbranch_execz .LBB228_225
; %bb.220:                              ;   in Loop: Header=BB228_10 Depth=1
	v_mov_b32_e32 v5, 0x7f800001
	v_bfe_u32 v4, v2, 16, 7
	v_mov_b32_e32 v6, 0
	s_mov_b32 s17, exec_lo
	buffer_store_dword v5, off, s[0:3], s32 offset:400 ; 4-byte Folded Spill
	buffer_store_dword v6, off, s[0:3], s32 offset:404 ; 4-byte Folded Spill
	v_cmpx_ne_u32_e32 0x7f, v4
	s_cbranch_execz .LBB228_224
; %bb.221:                              ;   in Loop: Header=BB228_10 Depth=1
	v_mov_b32_e32 v0, 7
	v_lshrrev_b32_e32 v3, 3, v4
	s_mov_b32 s18, exec_lo
	v_and_b32_sdwa v82, v2, v0 dst_sel:DWORD dst_unused:UNUSED_PAD src0_sel:WORD_1 src1_sel:DWORD
	v_cmpx_gt_u32_e32 8, v4
; %bb.222:                              ;   in Loop: Header=BB228_10 Depth=1
	v_ffbh_u32_e32 v3, v82
	v_min_u32_e32 v3, 32, v3
	v_subrev_nc_u32_e32 v4, 28, v3
	v_sub_nc_u32_e32 v3, 29, v3
	v_lshlrev_b64 v[4:5], v4, v[82:83]
	v_and_b32_e32 v82, 7, v4
; %bb.223:                              ;   in Loop: Header=BB228_10 Depth=1
	s_or_b32 exec_lo, exec_lo, s18
	v_mov_b32_e32 v0, 24
	v_lshl_add_u32 v3, v3, 23, 0x3c000000
	v_lshlrev_b32_sdwa v4, v0, v2 dst_sel:DWORD dst_unused:UNUSED_PAD src0_sel:DWORD src1_sel:WORD_1
	v_lshlrev_b32_e32 v0, 20, v82
	v_and_b32_e32 v4, 0x80000000, v4
	v_or3_b32 v82, v0, v4, v3
	buffer_store_dword v82, off, s[0:3], s32 offset:400 ; 4-byte Folded Spill
	buffer_store_dword v83, off, s[0:3], s32 offset:404 ; 4-byte Folded Spill
.LBB228_224:                            ;   in Loop: Header=BB228_10 Depth=1
	s_or_b32 exec_lo, exec_lo, s17
.LBB228_225:                            ;   in Loop: Header=BB228_10 Depth=1
	s_or_b32 exec_lo, exec_lo, s7
.LBB228_226:                            ;   in Loop: Header=BB228_10 Depth=1
	s_or_b32 exec_lo, exec_lo, s6
	s_mov_b32 s6, exec_lo
	v_cmpx_lt_u32_e32 0xffffff, v2
	s_cbranch_execz .LBB228_234
; %bb.227:                              ;   in Loop: Header=BB228_10 Depth=1
	v_mov_b32_e32 v54, v83
	v_cmp_ne_u32_sdwa s5, v2, v114 src0_sel:BYTE_3 src1_sel:DWORD
	buffer_store_dword v54, off, s[0:3], s32 offset:392 ; 4-byte Folded Spill
	buffer_store_dword v55, off, s[0:3], s32 offset:396 ; 4-byte Folded Spill
	s_and_saveexec_b32 s7, s5
	s_cbranch_execz .LBB228_233
; %bb.228:                              ;   in Loop: Header=BB228_10 Depth=1
	v_bfe_u32 v4, v2, 24, 7
	v_mov_b32_e32 v48, v83
	s_mov_b32 s17, exec_lo
	buffer_store_dword v48, off, s[0:3], s32 offset:392 ; 4-byte Folded Spill
	buffer_store_dword v49, off, s[0:3], s32 offset:396 ; 4-byte Folded Spill
	v_cmpx_ne_u32_e32 0x7f, v4
	s_cbranch_execz .LBB228_232
; %bb.229:                              ;   in Loop: Header=BB228_10 Depth=1
	v_mov_b32_e32 v0, 7
	v_lshrrev_b32_e32 v3, 3, v4
	s_mov_b32 s18, exec_lo
	v_and_b32_sdwa v82, v2, v0 dst_sel:DWORD dst_unused:UNUSED_PAD src0_sel:BYTE_3 src1_sel:DWORD
	v_cmpx_gt_u32_e32 8, v4
; %bb.230:                              ;   in Loop: Header=BB228_10 Depth=1
	v_ffbh_u32_e32 v3, v82
	v_min_u32_e32 v3, 32, v3
	v_subrev_nc_u32_e32 v4, 28, v3
	v_sub_nc_u32_e32 v3, 29, v3
	v_lshlrev_b64 v[4:5], v4, v[82:83]
	v_and_b32_e32 v82, 7, v4
; %bb.231:                              ;   in Loop: Header=BB228_10 Depth=1
	s_or_b32 exec_lo, exec_lo, s18
	v_mov_b32_e32 v0, 24
	v_lshl_add_u32 v3, v3, 23, 0x3c000000
	v_lshlrev_b32_sdwa v2, v0, v2 dst_sel:DWORD dst_unused:UNUSED_PAD src0_sel:DWORD src1_sel:BYTE_3
	v_lshlrev_b32_e32 v0, 20, v82
	v_and_b32_e32 v2, 0x80000000, v2
	v_or3_b32 v3, v0, v2, v3
	v_mov_b32_e32 v2, v83
	buffer_store_dword v2, off, s[0:3], s32 offset:392 ; 4-byte Folded Spill
	buffer_store_dword v3, off, s[0:3], s32 offset:396 ; 4-byte Folded Spill
.LBB228_232:                            ;   in Loop: Header=BB228_10 Depth=1
	s_or_b32 exec_lo, exec_lo, s17
.LBB228_233:                            ;   in Loop: Header=BB228_10 Depth=1
	s_or_b32 exec_lo, exec_lo, s7
.LBB228_234:                            ;   in Loop: Header=BB228_10 Depth=1
	s_or_b32 exec_lo, exec_lo, s6
	flat_load_dword v2, v[26:27] offset:524
	v_mov_b32_e32 v3, 0
	v_mov_b32_e32 v4, 0
	buffer_store_dword v3, off, s[0:3], s32 offset:416 ; 4-byte Folded Spill
	buffer_store_dword v4, off, s[0:3], s32 offset:420 ; 4-byte Folded Spill
	v_mov_b32_e32 v3, 0
	v_mov_b32_e32 v4, 0
	buffer_store_dword v3, off, s[0:3], s32 offset:408 ; 4-byte Folded Spill
	buffer_store_dword v4, off, s[0:3], s32 offset:412 ; 4-byte Folded Spill
	s_waitcnt vmcnt(0) lgkmcnt(0)
	v_cmp_ne_u16_sdwa s5, v2, v83 src0_sel:BYTE_0 src1_sel:DWORD
	s_and_saveexec_b32 s6, s5
	s_cbranch_execz .LBB228_242
; %bb.235:                              ;   in Loop: Header=BB228_10 Depth=1
	v_bfrev_b32_e32 v3, 1
	v_mov_b32_e32 v4, 0
	v_cmp_ne_u16_sdwa s5, v2, v114 src0_sel:BYTE_0 src1_sel:DWORD
	buffer_store_dword v3, off, s[0:3], s32 offset:408 ; 4-byte Folded Spill
	buffer_store_dword v4, off, s[0:3], s32 offset:412 ; 4-byte Folded Spill
	s_and_saveexec_b32 s7, s5
	s_cbranch_execz .LBB228_241
; %bb.236:                              ;   in Loop: Header=BB228_10 Depth=1
	v_mov_b32_e32 v5, 0x7f800001
	v_and_b32_e32 v4, 0x7f, v2
	v_mov_b32_e32 v6, 0
	s_mov_b32 s17, exec_lo
	buffer_store_dword v5, off, s[0:3], s32 offset:408 ; 4-byte Folded Spill
	buffer_store_dword v6, off, s[0:3], s32 offset:412 ; 4-byte Folded Spill
	v_cmpx_ne_u32_e32 0x7f, v4
	s_cbranch_execz .LBB228_240
; %bb.237:                              ;   in Loop: Header=BB228_10 Depth=1
	v_and_b32_e32 v82, 7, v2
	v_lshrrev_b32_e32 v3, 3, v4
	s_mov_b32 s18, exec_lo
	v_cmpx_gt_u32_e32 8, v4
; %bb.238:                              ;   in Loop: Header=BB228_10 Depth=1
	v_ffbh_u32_e32 v3, v82
	v_min_u32_e32 v3, 32, v3
	v_subrev_nc_u32_e32 v4, 28, v3
	v_sub_nc_u32_e32 v3, 29, v3
	v_lshlrev_b64 v[4:5], v4, v[82:83]
	v_and_b32_e32 v82, 7, v4
; %bb.239:                              ;   in Loop: Header=BB228_10 Depth=1
	s_or_b32 exec_lo, exec_lo, s18
	v_lshlrev_b32_e32 v4, 24, v2
	v_lshlrev_b32_e32 v0, 20, v82
	v_lshl_add_u32 v3, v3, 23, 0x3c000000
	v_and_b32_e32 v4, 0x80000000, v4
	v_or3_b32 v82, v0, v4, v3
	buffer_store_dword v82, off, s[0:3], s32 offset:408 ; 4-byte Folded Spill
	buffer_store_dword v83, off, s[0:3], s32 offset:412 ; 4-byte Folded Spill
.LBB228_240:                            ;   in Loop: Header=BB228_10 Depth=1
	s_or_b32 exec_lo, exec_lo, s17
.LBB228_241:                            ;   in Loop: Header=BB228_10 Depth=1
	s_or_b32 exec_lo, exec_lo, s7
.LBB228_242:                            ;   in Loop: Header=BB228_10 Depth=1
	s_or_b32 exec_lo, exec_lo, s6
	v_cmp_ne_u16_sdwa s5, v2, v83 src0_sel:BYTE_1 src1_sel:DWORD
	s_and_saveexec_b32 s6, s5
	s_cbranch_execz .LBB228_250
; %bb.243:                              ;   in Loop: Header=BB228_10 Depth=1
	v_mov_b32_e32 v54, v83
	v_cmp_ne_u16_sdwa s5, v2, v114 src0_sel:BYTE_1 src1_sel:DWORD
	buffer_store_dword v54, off, s[0:3], s32 offset:416 ; 4-byte Folded Spill
	buffer_store_dword v55, off, s[0:3], s32 offset:420 ; 4-byte Folded Spill
	s_and_saveexec_b32 s7, s5
	s_cbranch_execz .LBB228_249
; %bb.244:                              ;   in Loop: Header=BB228_10 Depth=1
	v_mov_b32_e32 v0, 0xffff
	v_mov_b32_e32 v48, v83
	s_mov_b32 s17, exec_lo
	buffer_store_dword v48, off, s[0:3], s32 offset:416 ; 4-byte Folded Spill
	buffer_store_dword v49, off, s[0:3], s32 offset:420 ; 4-byte Folded Spill
	v_and_b32_sdwa v0, v0, v2 dst_sel:DWORD dst_unused:UNUSED_PAD src0_sel:DWORD src1_sel:BYTE_1
	v_and_b32_e32 v4, 0x7f, v0
	v_cmpx_ne_u32_e32 0x7f, v4
	s_cbranch_execz .LBB228_248
; %bb.245:                              ;   in Loop: Header=BB228_10 Depth=1
	v_and_b32_e32 v82, 7, v0
	v_lshrrev_b32_e32 v3, 3, v4
	s_mov_b32 s18, exec_lo
	v_cmpx_gt_u32_e32 8, v4
; %bb.246:                              ;   in Loop: Header=BB228_10 Depth=1
	v_ffbh_u32_e32 v3, v82
	v_min_u32_e32 v3, 32, v3
	v_subrev_nc_u32_e32 v4, 28, v3
	v_sub_nc_u32_e32 v3, 29, v3
	v_lshlrev_b64 v[4:5], v4, v[82:83]
	v_and_b32_e32 v82, 7, v4
; %bb.247:                              ;   in Loop: Header=BB228_10 Depth=1
	s_or_b32 exec_lo, exec_lo, s18
	v_lshlrev_b32_e32 v4, 16, v2
	v_lshlrev_b32_e32 v0, 20, v82
	v_lshl_add_u32 v3, v3, 23, 0x3c000000
	v_and_b32_e32 v4, 0x80000000, v4
	v_or3_b32 v4, v0, v4, v3
	v_mov_b32_e32 v3, v83
	buffer_store_dword v3, off, s[0:3], s32 offset:416 ; 4-byte Folded Spill
	buffer_store_dword v4, off, s[0:3], s32 offset:420 ; 4-byte Folded Spill
.LBB228_248:                            ;   in Loop: Header=BB228_10 Depth=1
	s_or_b32 exec_lo, exec_lo, s17
.LBB228_249:                            ;   in Loop: Header=BB228_10 Depth=1
	s_or_b32 exec_lo, exec_lo, s7
.LBB228_250:                            ;   in Loop: Header=BB228_10 Depth=1
	s_or_b32 exec_lo, exec_lo, s6
	v_mov_b32_e32 v3, 0
	v_mov_b32_e32 v4, 0
	;; [unrolled: 1-line block ×3, first 2 shown]
	s_mov_b32 s6, exec_lo
	buffer_store_dword v3, off, s[0:3], s32 offset:424 ; 4-byte Folded Spill
	buffer_store_dword v4, off, s[0:3], s32 offset:428 ; 4-byte Folded Spill
	v_mov_b32_e32 v3, 0
	v_and_b32_sdwa v0, v2, v0 dst_sel:DWORD dst_unused:UNUSED_PAD src0_sel:WORD_1 src1_sel:DWORD
	v_mov_b32_e32 v4, 0
	buffer_store_dword v3, off, s[0:3], s32 offset:432 ; 4-byte Folded Spill
	buffer_store_dword v4, off, s[0:3], s32 offset:436 ; 4-byte Folded Spill
	v_cmpx_ne_u16_e32 0, v0
	s_cbranch_execz .LBB228_258
; %bb.251:                              ;   in Loop: Header=BB228_10 Depth=1
	v_bfrev_b32_e32 v3, 1
	v_mov_b32_e32 v4, 0
	s_mov_b32 s7, exec_lo
	buffer_store_dword v3, off, s[0:3], s32 offset:432 ; 4-byte Folded Spill
	buffer_store_dword v4, off, s[0:3], s32 offset:436 ; 4-byte Folded Spill
	v_cmpx_ne_u16_e32 0x80, v0
	s_cbranch_execz .LBB228_257
; %bb.252:                              ;   in Loop: Header=BB228_10 Depth=1
	v_mov_b32_e32 v5, 0x7f800001
	v_bfe_u32 v4, v2, 16, 7
	v_mov_b32_e32 v6, 0
	s_mov_b32 s17, exec_lo
	buffer_store_dword v5, off, s[0:3], s32 offset:432 ; 4-byte Folded Spill
	buffer_store_dword v6, off, s[0:3], s32 offset:436 ; 4-byte Folded Spill
	v_cmpx_ne_u32_e32 0x7f, v4
	s_cbranch_execz .LBB228_256
; %bb.253:                              ;   in Loop: Header=BB228_10 Depth=1
	v_mov_b32_e32 v0, 7
	v_lshrrev_b32_e32 v3, 3, v4
	s_mov_b32 s18, exec_lo
	v_and_b32_sdwa v82, v2, v0 dst_sel:DWORD dst_unused:UNUSED_PAD src0_sel:WORD_1 src1_sel:DWORD
	v_cmpx_gt_u32_e32 8, v4
; %bb.254:                              ;   in Loop: Header=BB228_10 Depth=1
	v_ffbh_u32_e32 v3, v82
	v_min_u32_e32 v3, 32, v3
	v_subrev_nc_u32_e32 v4, 28, v3
	v_sub_nc_u32_e32 v3, 29, v3
	v_lshlrev_b64 v[4:5], v4, v[82:83]
	v_and_b32_e32 v82, 7, v4
; %bb.255:                              ;   in Loop: Header=BB228_10 Depth=1
	s_or_b32 exec_lo, exec_lo, s18
	v_mov_b32_e32 v0, 24
	v_lshl_add_u32 v3, v3, 23, 0x3c000000
	v_lshlrev_b32_sdwa v4, v0, v2 dst_sel:DWORD dst_unused:UNUSED_PAD src0_sel:DWORD src1_sel:WORD_1
	v_lshlrev_b32_e32 v0, 20, v82
	v_and_b32_e32 v4, 0x80000000, v4
	v_or3_b32 v82, v0, v4, v3
	buffer_store_dword v82, off, s[0:3], s32 offset:432 ; 4-byte Folded Spill
	buffer_store_dword v83, off, s[0:3], s32 offset:436 ; 4-byte Folded Spill
.LBB228_256:                            ;   in Loop: Header=BB228_10 Depth=1
	s_or_b32 exec_lo, exec_lo, s17
.LBB228_257:                            ;   in Loop: Header=BB228_10 Depth=1
	s_or_b32 exec_lo, exec_lo, s7
.LBB228_258:                            ;   in Loop: Header=BB228_10 Depth=1
	s_or_b32 exec_lo, exec_lo, s6
	s_mov_b32 s6, exec_lo
	v_cmpx_lt_u32_e32 0xffffff, v2
	s_cbranch_execz .LBB228_266
; %bb.259:                              ;   in Loop: Header=BB228_10 Depth=1
	v_mov_b32_e32 v54, v83
	v_cmp_ne_u32_sdwa s5, v2, v114 src0_sel:BYTE_3 src1_sel:DWORD
	buffer_store_dword v54, off, s[0:3], s32 offset:424 ; 4-byte Folded Spill
	buffer_store_dword v55, off, s[0:3], s32 offset:428 ; 4-byte Folded Spill
	s_and_saveexec_b32 s7, s5
	s_cbranch_execz .LBB228_265
; %bb.260:                              ;   in Loop: Header=BB228_10 Depth=1
	v_bfe_u32 v4, v2, 24, 7
	v_mov_b32_e32 v48, v83
	s_mov_b32 s17, exec_lo
	buffer_store_dword v48, off, s[0:3], s32 offset:424 ; 4-byte Folded Spill
	buffer_store_dword v49, off, s[0:3], s32 offset:428 ; 4-byte Folded Spill
	v_cmpx_ne_u32_e32 0x7f, v4
	s_cbranch_execz .LBB228_264
; %bb.261:                              ;   in Loop: Header=BB228_10 Depth=1
	v_mov_b32_e32 v0, 7
	v_lshrrev_b32_e32 v3, 3, v4
	s_mov_b32 s18, exec_lo
	v_and_b32_sdwa v82, v2, v0 dst_sel:DWORD dst_unused:UNUSED_PAD src0_sel:BYTE_3 src1_sel:DWORD
	v_cmpx_gt_u32_e32 8, v4
; %bb.262:                              ;   in Loop: Header=BB228_10 Depth=1
	v_ffbh_u32_e32 v3, v82
	v_min_u32_e32 v3, 32, v3
	v_subrev_nc_u32_e32 v4, 28, v3
	v_sub_nc_u32_e32 v3, 29, v3
	v_lshlrev_b64 v[4:5], v4, v[82:83]
	v_and_b32_e32 v82, 7, v4
; %bb.263:                              ;   in Loop: Header=BB228_10 Depth=1
	s_or_b32 exec_lo, exec_lo, s18
	v_mov_b32_e32 v0, 24
	v_lshl_add_u32 v3, v3, 23, 0x3c000000
	v_lshlrev_b32_sdwa v2, v0, v2 dst_sel:DWORD dst_unused:UNUSED_PAD src0_sel:DWORD src1_sel:BYTE_3
	v_lshlrev_b32_e32 v0, 20, v82
	v_and_b32_e32 v2, 0x80000000, v2
	v_or3_b32 v3, v0, v2, v3
	v_mov_b32_e32 v2, v83
	buffer_store_dword v2, off, s[0:3], s32 offset:424 ; 4-byte Folded Spill
	buffer_store_dword v3, off, s[0:3], s32 offset:428 ; 4-byte Folded Spill
.LBB228_264:                            ;   in Loop: Header=BB228_10 Depth=1
	s_or_b32 exec_lo, exec_lo, s17
.LBB228_265:                            ;   in Loop: Header=BB228_10 Depth=1
	s_or_b32 exec_lo, exec_lo, s7
.LBB228_266:                            ;   in Loop: Header=BB228_10 Depth=1
	s_or_b32 exec_lo, exec_lo, s6
	flat_load_dword v2, v[26:27] offset:1024
	v_mov_b32_e32 v3, 0
	v_mov_b32_e32 v4, 0
	buffer_store_dword v3, off, s[0:3], s32 offset:448 ; 4-byte Folded Spill
	buffer_store_dword v4, off, s[0:3], s32 offset:452 ; 4-byte Folded Spill
	v_mov_b32_e32 v3, 0
	v_mov_b32_e32 v4, 0
	buffer_store_dword v3, off, s[0:3], s32 offset:440 ; 4-byte Folded Spill
	buffer_store_dword v4, off, s[0:3], s32 offset:444 ; 4-byte Folded Spill
	s_waitcnt vmcnt(0) lgkmcnt(0)
	v_cmp_ne_u16_sdwa s5, v2, v83 src0_sel:BYTE_0 src1_sel:DWORD
	s_and_saveexec_b32 s6, s5
	s_cbranch_execz .LBB228_274
; %bb.267:                              ;   in Loop: Header=BB228_10 Depth=1
	v_bfrev_b32_e32 v3, 1
	v_mov_b32_e32 v4, 0
	v_cmp_ne_u16_sdwa s5, v2, v114 src0_sel:BYTE_0 src1_sel:DWORD
	buffer_store_dword v3, off, s[0:3], s32 offset:440 ; 4-byte Folded Spill
	buffer_store_dword v4, off, s[0:3], s32 offset:444 ; 4-byte Folded Spill
	s_and_saveexec_b32 s7, s5
	s_cbranch_execz .LBB228_273
; %bb.268:                              ;   in Loop: Header=BB228_10 Depth=1
	v_mov_b32_e32 v5, 0x7f800001
	v_and_b32_e32 v4, 0x7f, v2
	v_mov_b32_e32 v6, 0
	s_mov_b32 s17, exec_lo
	buffer_store_dword v5, off, s[0:3], s32 offset:440 ; 4-byte Folded Spill
	buffer_store_dword v6, off, s[0:3], s32 offset:444 ; 4-byte Folded Spill
	v_cmpx_ne_u32_e32 0x7f, v4
	s_cbranch_execz .LBB228_272
; %bb.269:                              ;   in Loop: Header=BB228_10 Depth=1
	v_and_b32_e32 v82, 7, v2
	v_lshrrev_b32_e32 v3, 3, v4
	s_mov_b32 s18, exec_lo
	v_cmpx_gt_u32_e32 8, v4
; %bb.270:                              ;   in Loop: Header=BB228_10 Depth=1
	v_ffbh_u32_e32 v3, v82
	v_min_u32_e32 v3, 32, v3
	v_subrev_nc_u32_e32 v4, 28, v3
	v_sub_nc_u32_e32 v3, 29, v3
	v_lshlrev_b64 v[4:5], v4, v[82:83]
	v_and_b32_e32 v82, 7, v4
; %bb.271:                              ;   in Loop: Header=BB228_10 Depth=1
	s_or_b32 exec_lo, exec_lo, s18
	v_lshlrev_b32_e32 v4, 24, v2
	v_lshlrev_b32_e32 v0, 20, v82
	v_lshl_add_u32 v3, v3, 23, 0x3c000000
	v_and_b32_e32 v4, 0x80000000, v4
	v_or3_b32 v82, v0, v4, v3
	buffer_store_dword v82, off, s[0:3], s32 offset:440 ; 4-byte Folded Spill
	buffer_store_dword v83, off, s[0:3], s32 offset:444 ; 4-byte Folded Spill
.LBB228_272:                            ;   in Loop: Header=BB228_10 Depth=1
	s_or_b32 exec_lo, exec_lo, s17
.LBB228_273:                            ;   in Loop: Header=BB228_10 Depth=1
	s_or_b32 exec_lo, exec_lo, s7
.LBB228_274:                            ;   in Loop: Header=BB228_10 Depth=1
	s_or_b32 exec_lo, exec_lo, s6
	v_cmp_ne_u16_sdwa s5, v2, v83 src0_sel:BYTE_1 src1_sel:DWORD
	s_and_saveexec_b32 s6, s5
	s_cbranch_execz .LBB228_282
; %bb.275:                              ;   in Loop: Header=BB228_10 Depth=1
	v_mov_b32_e32 v54, v83
	v_cmp_ne_u16_sdwa s5, v2, v114 src0_sel:BYTE_1 src1_sel:DWORD
	buffer_store_dword v54, off, s[0:3], s32 offset:448 ; 4-byte Folded Spill
	buffer_store_dword v55, off, s[0:3], s32 offset:452 ; 4-byte Folded Spill
	s_and_saveexec_b32 s7, s5
	s_cbranch_execz .LBB228_281
; %bb.276:                              ;   in Loop: Header=BB228_10 Depth=1
	v_mov_b32_e32 v0, 0xffff
	v_mov_b32_e32 v48, v83
	s_mov_b32 s17, exec_lo
	buffer_store_dword v48, off, s[0:3], s32 offset:448 ; 4-byte Folded Spill
	buffer_store_dword v49, off, s[0:3], s32 offset:452 ; 4-byte Folded Spill
	v_and_b32_sdwa v0, v0, v2 dst_sel:DWORD dst_unused:UNUSED_PAD src0_sel:DWORD src1_sel:BYTE_1
	v_and_b32_e32 v4, 0x7f, v0
	v_cmpx_ne_u32_e32 0x7f, v4
	s_cbranch_execz .LBB228_280
; %bb.277:                              ;   in Loop: Header=BB228_10 Depth=1
	v_and_b32_e32 v82, 7, v0
	v_lshrrev_b32_e32 v3, 3, v4
	s_mov_b32 s18, exec_lo
	v_cmpx_gt_u32_e32 8, v4
; %bb.278:                              ;   in Loop: Header=BB228_10 Depth=1
	v_ffbh_u32_e32 v3, v82
	v_min_u32_e32 v3, 32, v3
	v_subrev_nc_u32_e32 v4, 28, v3
	v_sub_nc_u32_e32 v3, 29, v3
	v_lshlrev_b64 v[4:5], v4, v[82:83]
	v_and_b32_e32 v82, 7, v4
; %bb.279:                              ;   in Loop: Header=BB228_10 Depth=1
	s_or_b32 exec_lo, exec_lo, s18
	v_lshlrev_b32_e32 v4, 16, v2
	v_lshlrev_b32_e32 v0, 20, v82
	v_lshl_add_u32 v3, v3, 23, 0x3c000000
	v_and_b32_e32 v4, 0x80000000, v4
	v_or3_b32 v4, v0, v4, v3
	v_mov_b32_e32 v3, v83
	buffer_store_dword v3, off, s[0:3], s32 offset:448 ; 4-byte Folded Spill
	buffer_store_dword v4, off, s[0:3], s32 offset:452 ; 4-byte Folded Spill
.LBB228_280:                            ;   in Loop: Header=BB228_10 Depth=1
	s_or_b32 exec_lo, exec_lo, s17
.LBB228_281:                            ;   in Loop: Header=BB228_10 Depth=1
	s_or_b32 exec_lo, exec_lo, s7
.LBB228_282:                            ;   in Loop: Header=BB228_10 Depth=1
	s_or_b32 exec_lo, exec_lo, s6
	v_mov_b32_e32 v3, 0
	v_mov_b32_e32 v4, 0
	;; [unrolled: 1-line block ×3, first 2 shown]
	s_mov_b32 s6, exec_lo
	buffer_store_dword v3, off, s[0:3], s32 offset:456 ; 4-byte Folded Spill
	buffer_store_dword v4, off, s[0:3], s32 offset:460 ; 4-byte Folded Spill
	v_mov_b32_e32 v3, 0
	v_and_b32_sdwa v0, v2, v0 dst_sel:DWORD dst_unused:UNUSED_PAD src0_sel:WORD_1 src1_sel:DWORD
	v_mov_b32_e32 v4, 0
	buffer_store_dword v3, off, s[0:3], s32 offset:464 ; 4-byte Folded Spill
	buffer_store_dword v4, off, s[0:3], s32 offset:468 ; 4-byte Folded Spill
	v_cmpx_ne_u16_e32 0, v0
	s_cbranch_execz .LBB228_290
; %bb.283:                              ;   in Loop: Header=BB228_10 Depth=1
	v_bfrev_b32_e32 v3, 1
	v_mov_b32_e32 v4, 0
	s_mov_b32 s7, exec_lo
	buffer_store_dword v3, off, s[0:3], s32 offset:464 ; 4-byte Folded Spill
	buffer_store_dword v4, off, s[0:3], s32 offset:468 ; 4-byte Folded Spill
	v_cmpx_ne_u16_e32 0x80, v0
	s_cbranch_execz .LBB228_289
; %bb.284:                              ;   in Loop: Header=BB228_10 Depth=1
	v_mov_b32_e32 v5, 0x7f800001
	v_bfe_u32 v4, v2, 16, 7
	v_mov_b32_e32 v6, 0
	s_mov_b32 s17, exec_lo
	buffer_store_dword v5, off, s[0:3], s32 offset:464 ; 4-byte Folded Spill
	buffer_store_dword v6, off, s[0:3], s32 offset:468 ; 4-byte Folded Spill
	v_cmpx_ne_u32_e32 0x7f, v4
	s_cbranch_execz .LBB228_288
; %bb.285:                              ;   in Loop: Header=BB228_10 Depth=1
	v_mov_b32_e32 v0, 7
	v_lshrrev_b32_e32 v3, 3, v4
	s_mov_b32 s18, exec_lo
	v_and_b32_sdwa v82, v2, v0 dst_sel:DWORD dst_unused:UNUSED_PAD src0_sel:WORD_1 src1_sel:DWORD
	v_cmpx_gt_u32_e32 8, v4
; %bb.286:                              ;   in Loop: Header=BB228_10 Depth=1
	v_ffbh_u32_e32 v3, v82
	v_min_u32_e32 v3, 32, v3
	v_subrev_nc_u32_e32 v4, 28, v3
	v_sub_nc_u32_e32 v3, 29, v3
	v_lshlrev_b64 v[4:5], v4, v[82:83]
	v_and_b32_e32 v82, 7, v4
; %bb.287:                              ;   in Loop: Header=BB228_10 Depth=1
	s_or_b32 exec_lo, exec_lo, s18
	v_mov_b32_e32 v0, 24
	v_lshl_add_u32 v3, v3, 23, 0x3c000000
	v_lshlrev_b32_sdwa v4, v0, v2 dst_sel:DWORD dst_unused:UNUSED_PAD src0_sel:DWORD src1_sel:WORD_1
	v_lshlrev_b32_e32 v0, 20, v82
	v_and_b32_e32 v4, 0x80000000, v4
	v_or3_b32 v82, v0, v4, v3
	buffer_store_dword v82, off, s[0:3], s32 offset:464 ; 4-byte Folded Spill
	buffer_store_dword v83, off, s[0:3], s32 offset:468 ; 4-byte Folded Spill
.LBB228_288:                            ;   in Loop: Header=BB228_10 Depth=1
	s_or_b32 exec_lo, exec_lo, s17
.LBB228_289:                            ;   in Loop: Header=BB228_10 Depth=1
	s_or_b32 exec_lo, exec_lo, s7
.LBB228_290:                            ;   in Loop: Header=BB228_10 Depth=1
	s_or_b32 exec_lo, exec_lo, s6
	s_mov_b32 s6, exec_lo
	v_cmpx_lt_u32_e32 0xffffff, v2
	s_cbranch_execz .LBB228_298
; %bb.291:                              ;   in Loop: Header=BB228_10 Depth=1
	v_mov_b32_e32 v54, v83
	v_cmp_ne_u32_sdwa s5, v2, v114 src0_sel:BYTE_3 src1_sel:DWORD
	buffer_store_dword v54, off, s[0:3], s32 offset:456 ; 4-byte Folded Spill
	buffer_store_dword v55, off, s[0:3], s32 offset:460 ; 4-byte Folded Spill
	s_and_saveexec_b32 s7, s5
	s_cbranch_execz .LBB228_297
; %bb.292:                              ;   in Loop: Header=BB228_10 Depth=1
	v_bfe_u32 v4, v2, 24, 7
	v_mov_b32_e32 v48, v83
	s_mov_b32 s17, exec_lo
	buffer_store_dword v48, off, s[0:3], s32 offset:456 ; 4-byte Folded Spill
	buffer_store_dword v49, off, s[0:3], s32 offset:460 ; 4-byte Folded Spill
	v_cmpx_ne_u32_e32 0x7f, v4
	s_cbranch_execz .LBB228_296
; %bb.293:                              ;   in Loop: Header=BB228_10 Depth=1
	v_mov_b32_e32 v0, 7
	v_lshrrev_b32_e32 v3, 3, v4
	s_mov_b32 s18, exec_lo
	v_and_b32_sdwa v82, v2, v0 dst_sel:DWORD dst_unused:UNUSED_PAD src0_sel:BYTE_3 src1_sel:DWORD
	v_cmpx_gt_u32_e32 8, v4
; %bb.294:                              ;   in Loop: Header=BB228_10 Depth=1
	v_ffbh_u32_e32 v3, v82
	v_min_u32_e32 v3, 32, v3
	v_subrev_nc_u32_e32 v4, 28, v3
	v_sub_nc_u32_e32 v3, 29, v3
	v_lshlrev_b64 v[4:5], v4, v[82:83]
	v_and_b32_e32 v82, 7, v4
; %bb.295:                              ;   in Loop: Header=BB228_10 Depth=1
	s_or_b32 exec_lo, exec_lo, s18
	v_mov_b32_e32 v0, 24
	v_lshl_add_u32 v3, v3, 23, 0x3c000000
	v_lshlrev_b32_sdwa v2, v0, v2 dst_sel:DWORD dst_unused:UNUSED_PAD src0_sel:DWORD src1_sel:BYTE_3
	v_lshlrev_b32_e32 v0, 20, v82
	v_and_b32_e32 v2, 0x80000000, v2
	v_or3_b32 v3, v0, v2, v3
	v_mov_b32_e32 v2, v83
	buffer_store_dword v2, off, s[0:3], s32 offset:456 ; 4-byte Folded Spill
	buffer_store_dword v3, off, s[0:3], s32 offset:460 ; 4-byte Folded Spill
.LBB228_296:                            ;   in Loop: Header=BB228_10 Depth=1
	s_or_b32 exec_lo, exec_lo, s17
.LBB228_297:                            ;   in Loop: Header=BB228_10 Depth=1
	s_or_b32 exec_lo, exec_lo, s7
.LBB228_298:                            ;   in Loop: Header=BB228_10 Depth=1
	s_or_b32 exec_lo, exec_lo, s6
	flat_load_dword v2, v[26:27] offset:1028
	v_mov_b32_e32 v3, 0
	v_mov_b32_e32 v4, 0
	buffer_store_dword v3, off, s[0:3], s32 offset:480 ; 4-byte Folded Spill
	buffer_store_dword v4, off, s[0:3], s32 offset:484 ; 4-byte Folded Spill
	v_mov_b32_e32 v3, 0
	v_mov_b32_e32 v4, 0
	buffer_store_dword v3, off, s[0:3], s32 offset:472 ; 4-byte Folded Spill
	buffer_store_dword v4, off, s[0:3], s32 offset:476 ; 4-byte Folded Spill
	s_waitcnt vmcnt(0) lgkmcnt(0)
	v_cmp_ne_u16_sdwa s5, v2, v83 src0_sel:BYTE_0 src1_sel:DWORD
	s_and_saveexec_b32 s6, s5
	s_cbranch_execz .LBB228_306
; %bb.299:                              ;   in Loop: Header=BB228_10 Depth=1
	v_bfrev_b32_e32 v3, 1
	v_mov_b32_e32 v4, 0
	v_cmp_ne_u16_sdwa s5, v2, v114 src0_sel:BYTE_0 src1_sel:DWORD
	buffer_store_dword v3, off, s[0:3], s32 offset:472 ; 4-byte Folded Spill
	buffer_store_dword v4, off, s[0:3], s32 offset:476 ; 4-byte Folded Spill
	s_and_saveexec_b32 s7, s5
	s_cbranch_execz .LBB228_305
; %bb.300:                              ;   in Loop: Header=BB228_10 Depth=1
	v_mov_b32_e32 v5, 0x7f800001
	v_and_b32_e32 v4, 0x7f, v2
	v_mov_b32_e32 v6, 0
	s_mov_b32 s17, exec_lo
	buffer_store_dword v5, off, s[0:3], s32 offset:472 ; 4-byte Folded Spill
	buffer_store_dword v6, off, s[0:3], s32 offset:476 ; 4-byte Folded Spill
	v_cmpx_ne_u32_e32 0x7f, v4
	s_cbranch_execz .LBB228_304
; %bb.301:                              ;   in Loop: Header=BB228_10 Depth=1
	v_and_b32_e32 v82, 7, v2
	v_lshrrev_b32_e32 v3, 3, v4
	s_mov_b32 s18, exec_lo
	v_cmpx_gt_u32_e32 8, v4
; %bb.302:                              ;   in Loop: Header=BB228_10 Depth=1
	v_ffbh_u32_e32 v3, v82
	v_min_u32_e32 v3, 32, v3
	v_subrev_nc_u32_e32 v4, 28, v3
	v_sub_nc_u32_e32 v3, 29, v3
	v_lshlrev_b64 v[4:5], v4, v[82:83]
	v_and_b32_e32 v82, 7, v4
; %bb.303:                              ;   in Loop: Header=BB228_10 Depth=1
	s_or_b32 exec_lo, exec_lo, s18
	v_lshlrev_b32_e32 v4, 24, v2
	v_lshlrev_b32_e32 v0, 20, v82
	v_lshl_add_u32 v3, v3, 23, 0x3c000000
	v_and_b32_e32 v4, 0x80000000, v4
	v_or3_b32 v82, v0, v4, v3
	buffer_store_dword v82, off, s[0:3], s32 offset:472 ; 4-byte Folded Spill
	buffer_store_dword v83, off, s[0:3], s32 offset:476 ; 4-byte Folded Spill
.LBB228_304:                            ;   in Loop: Header=BB228_10 Depth=1
	s_or_b32 exec_lo, exec_lo, s17
.LBB228_305:                            ;   in Loop: Header=BB228_10 Depth=1
	s_or_b32 exec_lo, exec_lo, s7
.LBB228_306:                            ;   in Loop: Header=BB228_10 Depth=1
	s_or_b32 exec_lo, exec_lo, s6
	v_cmp_ne_u16_sdwa s5, v2, v83 src0_sel:BYTE_1 src1_sel:DWORD
	s_and_saveexec_b32 s6, s5
	s_cbranch_execz .LBB228_314
; %bb.307:                              ;   in Loop: Header=BB228_10 Depth=1
	v_mov_b32_e32 v54, v83
	v_cmp_ne_u16_sdwa s5, v2, v114 src0_sel:BYTE_1 src1_sel:DWORD
	buffer_store_dword v54, off, s[0:3], s32 offset:480 ; 4-byte Folded Spill
	buffer_store_dword v55, off, s[0:3], s32 offset:484 ; 4-byte Folded Spill
	s_and_saveexec_b32 s7, s5
	s_cbranch_execz .LBB228_313
; %bb.308:                              ;   in Loop: Header=BB228_10 Depth=1
	v_mov_b32_e32 v0, 0xffff
	v_mov_b32_e32 v48, v83
	s_mov_b32 s17, exec_lo
	buffer_store_dword v48, off, s[0:3], s32 offset:480 ; 4-byte Folded Spill
	buffer_store_dword v49, off, s[0:3], s32 offset:484 ; 4-byte Folded Spill
	v_and_b32_sdwa v0, v0, v2 dst_sel:DWORD dst_unused:UNUSED_PAD src0_sel:DWORD src1_sel:BYTE_1
	v_and_b32_e32 v4, 0x7f, v0
	v_cmpx_ne_u32_e32 0x7f, v4
	s_cbranch_execz .LBB228_312
; %bb.309:                              ;   in Loop: Header=BB228_10 Depth=1
	v_and_b32_e32 v82, 7, v0
	v_lshrrev_b32_e32 v3, 3, v4
	s_mov_b32 s18, exec_lo
	v_cmpx_gt_u32_e32 8, v4
; %bb.310:                              ;   in Loop: Header=BB228_10 Depth=1
	v_ffbh_u32_e32 v3, v82
	v_min_u32_e32 v3, 32, v3
	v_subrev_nc_u32_e32 v4, 28, v3
	v_sub_nc_u32_e32 v3, 29, v3
	v_lshlrev_b64 v[4:5], v4, v[82:83]
	v_and_b32_e32 v82, 7, v4
; %bb.311:                              ;   in Loop: Header=BB228_10 Depth=1
	s_or_b32 exec_lo, exec_lo, s18
	v_lshlrev_b32_e32 v4, 16, v2
	v_lshlrev_b32_e32 v0, 20, v82
	v_lshl_add_u32 v3, v3, 23, 0x3c000000
	v_and_b32_e32 v4, 0x80000000, v4
	v_or3_b32 v4, v0, v4, v3
	v_mov_b32_e32 v3, v83
	buffer_store_dword v3, off, s[0:3], s32 offset:480 ; 4-byte Folded Spill
	buffer_store_dword v4, off, s[0:3], s32 offset:484 ; 4-byte Folded Spill
.LBB228_312:                            ;   in Loop: Header=BB228_10 Depth=1
	s_or_b32 exec_lo, exec_lo, s17
.LBB228_313:                            ;   in Loop: Header=BB228_10 Depth=1
	s_or_b32 exec_lo, exec_lo, s7
.LBB228_314:                            ;   in Loop: Header=BB228_10 Depth=1
	s_or_b32 exec_lo, exec_lo, s6
	v_mov_b32_e32 v3, 0
	v_mov_b32_e32 v4, 0
	;; [unrolled: 1-line block ×3, first 2 shown]
	s_mov_b32 s6, exec_lo
	buffer_store_dword v3, off, s[0:3], s32 offset:488 ; 4-byte Folded Spill
	buffer_store_dword v4, off, s[0:3], s32 offset:492 ; 4-byte Folded Spill
	v_mov_b32_e32 v3, 0
	v_and_b32_sdwa v0, v2, v0 dst_sel:DWORD dst_unused:UNUSED_PAD src0_sel:WORD_1 src1_sel:DWORD
	v_mov_b32_e32 v4, 0
	buffer_store_dword v3, off, s[0:3], s32 offset:496 ; 4-byte Folded Spill
	buffer_store_dword v4, off, s[0:3], s32 offset:500 ; 4-byte Folded Spill
	v_cmpx_ne_u16_e32 0, v0
	s_cbranch_execz .LBB228_322
; %bb.315:                              ;   in Loop: Header=BB228_10 Depth=1
	v_bfrev_b32_e32 v3, 1
	v_mov_b32_e32 v4, 0
	s_mov_b32 s7, exec_lo
	buffer_store_dword v3, off, s[0:3], s32 offset:496 ; 4-byte Folded Spill
	buffer_store_dword v4, off, s[0:3], s32 offset:500 ; 4-byte Folded Spill
	v_cmpx_ne_u16_e32 0x80, v0
	s_cbranch_execz .LBB228_321
; %bb.316:                              ;   in Loop: Header=BB228_10 Depth=1
	v_mov_b32_e32 v5, 0x7f800001
	v_bfe_u32 v4, v2, 16, 7
	v_mov_b32_e32 v6, 0
	s_mov_b32 s17, exec_lo
	buffer_store_dword v5, off, s[0:3], s32 offset:496 ; 4-byte Folded Spill
	buffer_store_dword v6, off, s[0:3], s32 offset:500 ; 4-byte Folded Spill
	v_cmpx_ne_u32_e32 0x7f, v4
	s_cbranch_execz .LBB228_320
; %bb.317:                              ;   in Loop: Header=BB228_10 Depth=1
	v_mov_b32_e32 v0, 7
	v_lshrrev_b32_e32 v3, 3, v4
	s_mov_b32 s18, exec_lo
	v_and_b32_sdwa v82, v2, v0 dst_sel:DWORD dst_unused:UNUSED_PAD src0_sel:WORD_1 src1_sel:DWORD
	v_cmpx_gt_u32_e32 8, v4
; %bb.318:                              ;   in Loop: Header=BB228_10 Depth=1
	v_ffbh_u32_e32 v3, v82
	v_min_u32_e32 v3, 32, v3
	v_subrev_nc_u32_e32 v4, 28, v3
	v_sub_nc_u32_e32 v3, 29, v3
	v_lshlrev_b64 v[4:5], v4, v[82:83]
	v_and_b32_e32 v82, 7, v4
; %bb.319:                              ;   in Loop: Header=BB228_10 Depth=1
	s_or_b32 exec_lo, exec_lo, s18
	v_mov_b32_e32 v0, 24
	v_lshl_add_u32 v3, v3, 23, 0x3c000000
	v_lshlrev_b32_sdwa v4, v0, v2 dst_sel:DWORD dst_unused:UNUSED_PAD src0_sel:DWORD src1_sel:WORD_1
	v_lshlrev_b32_e32 v0, 20, v82
	v_and_b32_e32 v4, 0x80000000, v4
	v_or3_b32 v82, v0, v4, v3
	buffer_store_dword v82, off, s[0:3], s32 offset:496 ; 4-byte Folded Spill
	buffer_store_dword v83, off, s[0:3], s32 offset:500 ; 4-byte Folded Spill
.LBB228_320:                            ;   in Loop: Header=BB228_10 Depth=1
	s_or_b32 exec_lo, exec_lo, s17
.LBB228_321:                            ;   in Loop: Header=BB228_10 Depth=1
	s_or_b32 exec_lo, exec_lo, s7
.LBB228_322:                            ;   in Loop: Header=BB228_10 Depth=1
	s_or_b32 exec_lo, exec_lo, s6
	s_mov_b32 s6, exec_lo
	v_cmpx_lt_u32_e32 0xffffff, v2
	s_cbranch_execz .LBB228_330
; %bb.323:                              ;   in Loop: Header=BB228_10 Depth=1
	v_mov_b32_e32 v54, v83
	v_cmp_ne_u32_sdwa s5, v2, v114 src0_sel:BYTE_3 src1_sel:DWORD
	buffer_store_dword v54, off, s[0:3], s32 offset:488 ; 4-byte Folded Spill
	buffer_store_dword v55, off, s[0:3], s32 offset:492 ; 4-byte Folded Spill
	s_and_saveexec_b32 s7, s5
	s_cbranch_execz .LBB228_329
; %bb.324:                              ;   in Loop: Header=BB228_10 Depth=1
	v_bfe_u32 v4, v2, 24, 7
	v_mov_b32_e32 v48, v83
	s_mov_b32 s17, exec_lo
	buffer_store_dword v48, off, s[0:3], s32 offset:488 ; 4-byte Folded Spill
	buffer_store_dword v49, off, s[0:3], s32 offset:492 ; 4-byte Folded Spill
	v_cmpx_ne_u32_e32 0x7f, v4
	s_cbranch_execz .LBB228_328
; %bb.325:                              ;   in Loop: Header=BB228_10 Depth=1
	v_mov_b32_e32 v0, 7
	v_lshrrev_b32_e32 v3, 3, v4
	s_mov_b32 s18, exec_lo
	v_and_b32_sdwa v82, v2, v0 dst_sel:DWORD dst_unused:UNUSED_PAD src0_sel:BYTE_3 src1_sel:DWORD
	v_cmpx_gt_u32_e32 8, v4
; %bb.326:                              ;   in Loop: Header=BB228_10 Depth=1
	v_ffbh_u32_e32 v3, v82
	v_min_u32_e32 v3, 32, v3
	v_subrev_nc_u32_e32 v4, 28, v3
	v_sub_nc_u32_e32 v3, 29, v3
	v_lshlrev_b64 v[4:5], v4, v[82:83]
	v_and_b32_e32 v82, 7, v4
; %bb.327:                              ;   in Loop: Header=BB228_10 Depth=1
	s_or_b32 exec_lo, exec_lo, s18
	v_mov_b32_e32 v0, 24
	v_lshl_add_u32 v3, v3, 23, 0x3c000000
	v_lshlrev_b32_sdwa v2, v0, v2 dst_sel:DWORD dst_unused:UNUSED_PAD src0_sel:DWORD src1_sel:BYTE_3
	v_lshlrev_b32_e32 v0, 20, v82
	v_and_b32_e32 v2, 0x80000000, v2
	v_or3_b32 v3, v0, v2, v3
	v_mov_b32_e32 v2, v83
	buffer_store_dword v2, off, s[0:3], s32 offset:488 ; 4-byte Folded Spill
	buffer_store_dword v3, off, s[0:3], s32 offset:492 ; 4-byte Folded Spill
.LBB228_328:                            ;   in Loop: Header=BB228_10 Depth=1
	s_or_b32 exec_lo, exec_lo, s17
.LBB228_329:                            ;   in Loop: Header=BB228_10 Depth=1
	s_or_b32 exec_lo, exec_lo, s7
.LBB228_330:                            ;   in Loop: Header=BB228_10 Depth=1
	s_or_b32 exec_lo, exec_lo, s6
	flat_load_dword v2, v[26:27] offset:1032
	v_mov_b32_e32 v3, 0
	v_mov_b32_e32 v4, 0
	buffer_store_dword v3, off, s[0:3], s32 offset:512 ; 4-byte Folded Spill
	buffer_store_dword v4, off, s[0:3], s32 offset:516 ; 4-byte Folded Spill
	v_mov_b32_e32 v3, 0
	v_mov_b32_e32 v4, 0
	buffer_store_dword v3, off, s[0:3], s32 offset:504 ; 4-byte Folded Spill
	buffer_store_dword v4, off, s[0:3], s32 offset:508 ; 4-byte Folded Spill
	s_waitcnt vmcnt(0) lgkmcnt(0)
	v_cmp_ne_u16_sdwa s5, v2, v83 src0_sel:BYTE_0 src1_sel:DWORD
	s_and_saveexec_b32 s6, s5
	s_cbranch_execz .LBB228_338
; %bb.331:                              ;   in Loop: Header=BB228_10 Depth=1
	v_bfrev_b32_e32 v3, 1
	v_mov_b32_e32 v4, 0
	v_cmp_ne_u16_sdwa s5, v2, v114 src0_sel:BYTE_0 src1_sel:DWORD
	buffer_store_dword v3, off, s[0:3], s32 offset:504 ; 4-byte Folded Spill
	buffer_store_dword v4, off, s[0:3], s32 offset:508 ; 4-byte Folded Spill
	s_and_saveexec_b32 s7, s5
	s_cbranch_execz .LBB228_337
; %bb.332:                              ;   in Loop: Header=BB228_10 Depth=1
	v_mov_b32_e32 v5, 0x7f800001
	v_and_b32_e32 v4, 0x7f, v2
	v_mov_b32_e32 v6, 0
	s_mov_b32 s17, exec_lo
	buffer_store_dword v5, off, s[0:3], s32 offset:504 ; 4-byte Folded Spill
	buffer_store_dword v6, off, s[0:3], s32 offset:508 ; 4-byte Folded Spill
	v_cmpx_ne_u32_e32 0x7f, v4
	s_cbranch_execz .LBB228_336
; %bb.333:                              ;   in Loop: Header=BB228_10 Depth=1
	v_and_b32_e32 v82, 7, v2
	v_lshrrev_b32_e32 v3, 3, v4
	s_mov_b32 s18, exec_lo
	v_cmpx_gt_u32_e32 8, v4
; %bb.334:                              ;   in Loop: Header=BB228_10 Depth=1
	v_ffbh_u32_e32 v3, v82
	v_min_u32_e32 v3, 32, v3
	v_subrev_nc_u32_e32 v4, 28, v3
	v_sub_nc_u32_e32 v3, 29, v3
	v_lshlrev_b64 v[4:5], v4, v[82:83]
	v_and_b32_e32 v82, 7, v4
; %bb.335:                              ;   in Loop: Header=BB228_10 Depth=1
	s_or_b32 exec_lo, exec_lo, s18
	v_lshlrev_b32_e32 v4, 24, v2
	v_lshlrev_b32_e32 v0, 20, v82
	v_lshl_add_u32 v3, v3, 23, 0x3c000000
	v_and_b32_e32 v4, 0x80000000, v4
	v_or3_b32 v82, v0, v4, v3
	buffer_store_dword v82, off, s[0:3], s32 offset:504 ; 4-byte Folded Spill
	buffer_store_dword v83, off, s[0:3], s32 offset:508 ; 4-byte Folded Spill
.LBB228_336:                            ;   in Loop: Header=BB228_10 Depth=1
	s_or_b32 exec_lo, exec_lo, s17
.LBB228_337:                            ;   in Loop: Header=BB228_10 Depth=1
	s_or_b32 exec_lo, exec_lo, s7
.LBB228_338:                            ;   in Loop: Header=BB228_10 Depth=1
	s_or_b32 exec_lo, exec_lo, s6
	v_cmp_ne_u16_sdwa s5, v2, v83 src0_sel:BYTE_1 src1_sel:DWORD
	s_and_saveexec_b32 s6, s5
	s_cbranch_execz .LBB228_346
; %bb.339:                              ;   in Loop: Header=BB228_10 Depth=1
	v_mov_b32_e32 v54, v83
	v_cmp_ne_u16_sdwa s5, v2, v114 src0_sel:BYTE_1 src1_sel:DWORD
	buffer_store_dword v54, off, s[0:3], s32 offset:512 ; 4-byte Folded Spill
	buffer_store_dword v55, off, s[0:3], s32 offset:516 ; 4-byte Folded Spill
	s_and_saveexec_b32 s7, s5
	s_cbranch_execz .LBB228_345
; %bb.340:                              ;   in Loop: Header=BB228_10 Depth=1
	v_mov_b32_e32 v0, 0xffff
	v_mov_b32_e32 v48, v83
	s_mov_b32 s17, exec_lo
	buffer_store_dword v48, off, s[0:3], s32 offset:512 ; 4-byte Folded Spill
	buffer_store_dword v49, off, s[0:3], s32 offset:516 ; 4-byte Folded Spill
	v_and_b32_sdwa v0, v0, v2 dst_sel:DWORD dst_unused:UNUSED_PAD src0_sel:DWORD src1_sel:BYTE_1
	v_and_b32_e32 v4, 0x7f, v0
	v_cmpx_ne_u32_e32 0x7f, v4
	s_cbranch_execz .LBB228_344
; %bb.341:                              ;   in Loop: Header=BB228_10 Depth=1
	v_and_b32_e32 v82, 7, v0
	v_lshrrev_b32_e32 v3, 3, v4
	s_mov_b32 s18, exec_lo
	v_cmpx_gt_u32_e32 8, v4
; %bb.342:                              ;   in Loop: Header=BB228_10 Depth=1
	v_ffbh_u32_e32 v3, v82
	v_min_u32_e32 v3, 32, v3
	v_subrev_nc_u32_e32 v4, 28, v3
	v_sub_nc_u32_e32 v3, 29, v3
	v_lshlrev_b64 v[4:5], v4, v[82:83]
	v_and_b32_e32 v82, 7, v4
; %bb.343:                              ;   in Loop: Header=BB228_10 Depth=1
	s_or_b32 exec_lo, exec_lo, s18
	v_lshlrev_b32_e32 v4, 16, v2
	v_lshlrev_b32_e32 v0, 20, v82
	v_lshl_add_u32 v3, v3, 23, 0x3c000000
	v_and_b32_e32 v4, 0x80000000, v4
	v_or3_b32 v4, v0, v4, v3
	v_mov_b32_e32 v3, v83
	buffer_store_dword v3, off, s[0:3], s32 offset:512 ; 4-byte Folded Spill
	buffer_store_dword v4, off, s[0:3], s32 offset:516 ; 4-byte Folded Spill
.LBB228_344:                            ;   in Loop: Header=BB228_10 Depth=1
	s_or_b32 exec_lo, exec_lo, s17
.LBB228_345:                            ;   in Loop: Header=BB228_10 Depth=1
	s_or_b32 exec_lo, exec_lo, s7
.LBB228_346:                            ;   in Loop: Header=BB228_10 Depth=1
	s_or_b32 exec_lo, exec_lo, s6
	v_mov_b32_e32 v3, 0
	v_mov_b32_e32 v4, 0
	;; [unrolled: 1-line block ×3, first 2 shown]
	s_mov_b32 s6, exec_lo
	buffer_store_dword v3, off, s[0:3], s32 offset:520 ; 4-byte Folded Spill
	buffer_store_dword v4, off, s[0:3], s32 offset:524 ; 4-byte Folded Spill
	v_mov_b32_e32 v3, 0
	v_and_b32_sdwa v0, v2, v0 dst_sel:DWORD dst_unused:UNUSED_PAD src0_sel:WORD_1 src1_sel:DWORD
	v_mov_b32_e32 v4, 0
	buffer_store_dword v3, off, s[0:3], s32 offset:528 ; 4-byte Folded Spill
	buffer_store_dword v4, off, s[0:3], s32 offset:532 ; 4-byte Folded Spill
	v_cmpx_ne_u16_e32 0, v0
	s_cbranch_execz .LBB228_354
; %bb.347:                              ;   in Loop: Header=BB228_10 Depth=1
	v_bfrev_b32_e32 v3, 1
	v_mov_b32_e32 v4, 0
	s_mov_b32 s7, exec_lo
	buffer_store_dword v3, off, s[0:3], s32 offset:528 ; 4-byte Folded Spill
	buffer_store_dword v4, off, s[0:3], s32 offset:532 ; 4-byte Folded Spill
	v_cmpx_ne_u16_e32 0x80, v0
	s_cbranch_execz .LBB228_353
; %bb.348:                              ;   in Loop: Header=BB228_10 Depth=1
	v_mov_b32_e32 v5, 0x7f800001
	v_bfe_u32 v4, v2, 16, 7
	v_mov_b32_e32 v6, 0
	s_mov_b32 s17, exec_lo
	buffer_store_dword v5, off, s[0:3], s32 offset:528 ; 4-byte Folded Spill
	buffer_store_dword v6, off, s[0:3], s32 offset:532 ; 4-byte Folded Spill
	v_cmpx_ne_u32_e32 0x7f, v4
	s_cbranch_execz .LBB228_352
; %bb.349:                              ;   in Loop: Header=BB228_10 Depth=1
	v_mov_b32_e32 v0, 7
	v_lshrrev_b32_e32 v3, 3, v4
	s_mov_b32 s18, exec_lo
	v_and_b32_sdwa v82, v2, v0 dst_sel:DWORD dst_unused:UNUSED_PAD src0_sel:WORD_1 src1_sel:DWORD
	v_cmpx_gt_u32_e32 8, v4
; %bb.350:                              ;   in Loop: Header=BB228_10 Depth=1
	v_ffbh_u32_e32 v3, v82
	v_min_u32_e32 v3, 32, v3
	v_subrev_nc_u32_e32 v4, 28, v3
	v_sub_nc_u32_e32 v3, 29, v3
	v_lshlrev_b64 v[4:5], v4, v[82:83]
	v_and_b32_e32 v82, 7, v4
; %bb.351:                              ;   in Loop: Header=BB228_10 Depth=1
	s_or_b32 exec_lo, exec_lo, s18
	v_mov_b32_e32 v0, 24
	v_lshl_add_u32 v3, v3, 23, 0x3c000000
	v_lshlrev_b32_sdwa v4, v0, v2 dst_sel:DWORD dst_unused:UNUSED_PAD src0_sel:DWORD src1_sel:WORD_1
	v_lshlrev_b32_e32 v0, 20, v82
	v_and_b32_e32 v4, 0x80000000, v4
	v_or3_b32 v82, v0, v4, v3
	buffer_store_dword v82, off, s[0:3], s32 offset:528 ; 4-byte Folded Spill
	buffer_store_dword v83, off, s[0:3], s32 offset:532 ; 4-byte Folded Spill
.LBB228_352:                            ;   in Loop: Header=BB228_10 Depth=1
	s_or_b32 exec_lo, exec_lo, s17
.LBB228_353:                            ;   in Loop: Header=BB228_10 Depth=1
	s_or_b32 exec_lo, exec_lo, s7
.LBB228_354:                            ;   in Loop: Header=BB228_10 Depth=1
	s_or_b32 exec_lo, exec_lo, s6
	s_mov_b32 s6, exec_lo
	v_cmpx_lt_u32_e32 0xffffff, v2
	s_cbranch_execz .LBB228_362
; %bb.355:                              ;   in Loop: Header=BB228_10 Depth=1
	v_mov_b32_e32 v54, v83
	v_cmp_ne_u32_sdwa s5, v2, v114 src0_sel:BYTE_3 src1_sel:DWORD
	buffer_store_dword v54, off, s[0:3], s32 offset:520 ; 4-byte Folded Spill
	buffer_store_dword v55, off, s[0:3], s32 offset:524 ; 4-byte Folded Spill
	s_and_saveexec_b32 s7, s5
	s_cbranch_execz .LBB228_361
; %bb.356:                              ;   in Loop: Header=BB228_10 Depth=1
	v_bfe_u32 v4, v2, 24, 7
	v_mov_b32_e32 v48, v83
	s_mov_b32 s17, exec_lo
	buffer_store_dword v48, off, s[0:3], s32 offset:520 ; 4-byte Folded Spill
	buffer_store_dword v49, off, s[0:3], s32 offset:524 ; 4-byte Folded Spill
	v_cmpx_ne_u32_e32 0x7f, v4
	s_cbranch_execz .LBB228_360
; %bb.357:                              ;   in Loop: Header=BB228_10 Depth=1
	v_mov_b32_e32 v0, 7
	v_lshrrev_b32_e32 v3, 3, v4
	s_mov_b32 s18, exec_lo
	v_and_b32_sdwa v82, v2, v0 dst_sel:DWORD dst_unused:UNUSED_PAD src0_sel:BYTE_3 src1_sel:DWORD
	v_cmpx_gt_u32_e32 8, v4
; %bb.358:                              ;   in Loop: Header=BB228_10 Depth=1
	v_ffbh_u32_e32 v3, v82
	v_min_u32_e32 v3, 32, v3
	v_subrev_nc_u32_e32 v4, 28, v3
	v_sub_nc_u32_e32 v3, 29, v3
	v_lshlrev_b64 v[4:5], v4, v[82:83]
	v_and_b32_e32 v82, 7, v4
; %bb.359:                              ;   in Loop: Header=BB228_10 Depth=1
	s_or_b32 exec_lo, exec_lo, s18
	v_mov_b32_e32 v0, 24
	v_lshl_add_u32 v3, v3, 23, 0x3c000000
	v_lshlrev_b32_sdwa v2, v0, v2 dst_sel:DWORD dst_unused:UNUSED_PAD src0_sel:DWORD src1_sel:BYTE_3
	v_lshlrev_b32_e32 v0, 20, v82
	v_and_b32_e32 v2, 0x80000000, v2
	v_or3_b32 v3, v0, v2, v3
	v_mov_b32_e32 v2, v83
	buffer_store_dword v2, off, s[0:3], s32 offset:520 ; 4-byte Folded Spill
	buffer_store_dword v3, off, s[0:3], s32 offset:524 ; 4-byte Folded Spill
.LBB228_360:                            ;   in Loop: Header=BB228_10 Depth=1
	s_or_b32 exec_lo, exec_lo, s17
.LBB228_361:                            ;   in Loop: Header=BB228_10 Depth=1
	s_or_b32 exec_lo, exec_lo, s7
.LBB228_362:                            ;   in Loop: Header=BB228_10 Depth=1
	s_or_b32 exec_lo, exec_lo, s6
	flat_load_dword v2, v[26:27] offset:1036
	v_mov_b32_e32 v3, 0
	v_mov_b32_e32 v4, 0
	buffer_store_dword v3, off, s[0:3], s32 offset:544 ; 4-byte Folded Spill
	buffer_store_dword v4, off, s[0:3], s32 offset:548 ; 4-byte Folded Spill
	v_mov_b32_e32 v3, 0
	v_mov_b32_e32 v4, 0
	buffer_store_dword v3, off, s[0:3], s32 offset:536 ; 4-byte Folded Spill
	buffer_store_dword v4, off, s[0:3], s32 offset:540 ; 4-byte Folded Spill
	s_waitcnt vmcnt(0) lgkmcnt(0)
	v_cmp_ne_u16_sdwa s5, v2, v83 src0_sel:BYTE_0 src1_sel:DWORD
	s_and_saveexec_b32 s6, s5
	s_cbranch_execz .LBB228_370
; %bb.363:                              ;   in Loop: Header=BB228_10 Depth=1
	v_bfrev_b32_e32 v3, 1
	v_mov_b32_e32 v4, 0
	v_cmp_ne_u16_sdwa s5, v2, v114 src0_sel:BYTE_0 src1_sel:DWORD
	buffer_store_dword v3, off, s[0:3], s32 offset:536 ; 4-byte Folded Spill
	buffer_store_dword v4, off, s[0:3], s32 offset:540 ; 4-byte Folded Spill
	s_and_saveexec_b32 s7, s5
	s_cbranch_execz .LBB228_369
; %bb.364:                              ;   in Loop: Header=BB228_10 Depth=1
	v_mov_b32_e32 v5, 0x7f800001
	v_and_b32_e32 v4, 0x7f, v2
	v_mov_b32_e32 v6, 0
	s_mov_b32 s17, exec_lo
	buffer_store_dword v5, off, s[0:3], s32 offset:536 ; 4-byte Folded Spill
	buffer_store_dword v6, off, s[0:3], s32 offset:540 ; 4-byte Folded Spill
	v_cmpx_ne_u32_e32 0x7f, v4
	s_cbranch_execz .LBB228_368
; %bb.365:                              ;   in Loop: Header=BB228_10 Depth=1
	v_and_b32_e32 v82, 7, v2
	v_lshrrev_b32_e32 v3, 3, v4
	s_mov_b32 s18, exec_lo
	v_cmpx_gt_u32_e32 8, v4
; %bb.366:                              ;   in Loop: Header=BB228_10 Depth=1
	v_ffbh_u32_e32 v3, v82
	v_min_u32_e32 v3, 32, v3
	v_subrev_nc_u32_e32 v4, 28, v3
	v_sub_nc_u32_e32 v3, 29, v3
	v_lshlrev_b64 v[4:5], v4, v[82:83]
	v_and_b32_e32 v82, 7, v4
; %bb.367:                              ;   in Loop: Header=BB228_10 Depth=1
	s_or_b32 exec_lo, exec_lo, s18
	v_lshlrev_b32_e32 v4, 24, v2
	v_lshlrev_b32_e32 v0, 20, v82
	v_lshl_add_u32 v3, v3, 23, 0x3c000000
	v_and_b32_e32 v4, 0x80000000, v4
	v_or3_b32 v82, v0, v4, v3
	buffer_store_dword v82, off, s[0:3], s32 offset:536 ; 4-byte Folded Spill
	buffer_store_dword v83, off, s[0:3], s32 offset:540 ; 4-byte Folded Spill
.LBB228_368:                            ;   in Loop: Header=BB228_10 Depth=1
	s_or_b32 exec_lo, exec_lo, s17
.LBB228_369:                            ;   in Loop: Header=BB228_10 Depth=1
	s_or_b32 exec_lo, exec_lo, s7
.LBB228_370:                            ;   in Loop: Header=BB228_10 Depth=1
	s_or_b32 exec_lo, exec_lo, s6
	v_cmp_ne_u16_sdwa s5, v2, v83 src0_sel:BYTE_1 src1_sel:DWORD
	s_and_saveexec_b32 s6, s5
	s_cbranch_execz .LBB228_378
; %bb.371:                              ;   in Loop: Header=BB228_10 Depth=1
	v_mov_b32_e32 v54, v83
	v_cmp_ne_u16_sdwa s5, v2, v114 src0_sel:BYTE_1 src1_sel:DWORD
	buffer_store_dword v54, off, s[0:3], s32 offset:544 ; 4-byte Folded Spill
	buffer_store_dword v55, off, s[0:3], s32 offset:548 ; 4-byte Folded Spill
	s_and_saveexec_b32 s7, s5
	s_cbranch_execz .LBB228_377
; %bb.372:                              ;   in Loop: Header=BB228_10 Depth=1
	v_mov_b32_e32 v0, 0xffff
	v_mov_b32_e32 v48, v83
	s_mov_b32 s17, exec_lo
	buffer_store_dword v48, off, s[0:3], s32 offset:544 ; 4-byte Folded Spill
	buffer_store_dword v49, off, s[0:3], s32 offset:548 ; 4-byte Folded Spill
	v_and_b32_sdwa v0, v0, v2 dst_sel:DWORD dst_unused:UNUSED_PAD src0_sel:DWORD src1_sel:BYTE_1
	v_and_b32_e32 v4, 0x7f, v0
	v_cmpx_ne_u32_e32 0x7f, v4
	s_cbranch_execz .LBB228_376
; %bb.373:                              ;   in Loop: Header=BB228_10 Depth=1
	v_and_b32_e32 v82, 7, v0
	v_lshrrev_b32_e32 v3, 3, v4
	s_mov_b32 s18, exec_lo
	v_cmpx_gt_u32_e32 8, v4
; %bb.374:                              ;   in Loop: Header=BB228_10 Depth=1
	v_ffbh_u32_e32 v3, v82
	v_min_u32_e32 v3, 32, v3
	v_subrev_nc_u32_e32 v4, 28, v3
	v_sub_nc_u32_e32 v3, 29, v3
	v_lshlrev_b64 v[4:5], v4, v[82:83]
	v_and_b32_e32 v82, 7, v4
; %bb.375:                              ;   in Loop: Header=BB228_10 Depth=1
	s_or_b32 exec_lo, exec_lo, s18
	v_lshlrev_b32_e32 v4, 16, v2
	v_lshlrev_b32_e32 v0, 20, v82
	v_lshl_add_u32 v3, v3, 23, 0x3c000000
	v_and_b32_e32 v4, 0x80000000, v4
	v_or3_b32 v4, v0, v4, v3
	v_mov_b32_e32 v3, v83
	buffer_store_dword v3, off, s[0:3], s32 offset:544 ; 4-byte Folded Spill
	buffer_store_dword v4, off, s[0:3], s32 offset:548 ; 4-byte Folded Spill
.LBB228_376:                            ;   in Loop: Header=BB228_10 Depth=1
	s_or_b32 exec_lo, exec_lo, s17
.LBB228_377:                            ;   in Loop: Header=BB228_10 Depth=1
	s_or_b32 exec_lo, exec_lo, s7
.LBB228_378:                            ;   in Loop: Header=BB228_10 Depth=1
	s_or_b32 exec_lo, exec_lo, s6
	v_mov_b32_e32 v3, 0
	v_mov_b32_e32 v4, 0
	;; [unrolled: 1-line block ×3, first 2 shown]
	s_mov_b32 s6, exec_lo
	buffer_store_dword v3, off, s[0:3], s32 offset:552 ; 4-byte Folded Spill
	buffer_store_dword v4, off, s[0:3], s32 offset:556 ; 4-byte Folded Spill
	v_mov_b32_e32 v3, 0
	v_and_b32_sdwa v0, v2, v0 dst_sel:DWORD dst_unused:UNUSED_PAD src0_sel:WORD_1 src1_sel:DWORD
	v_mov_b32_e32 v4, 0
	buffer_store_dword v3, off, s[0:3], s32 offset:560 ; 4-byte Folded Spill
	buffer_store_dword v4, off, s[0:3], s32 offset:564 ; 4-byte Folded Spill
	v_cmpx_ne_u16_e32 0, v0
	s_cbranch_execz .LBB228_386
; %bb.379:                              ;   in Loop: Header=BB228_10 Depth=1
	v_bfrev_b32_e32 v3, 1
	v_mov_b32_e32 v4, 0
	s_mov_b32 s7, exec_lo
	buffer_store_dword v3, off, s[0:3], s32 offset:560 ; 4-byte Folded Spill
	buffer_store_dword v4, off, s[0:3], s32 offset:564 ; 4-byte Folded Spill
	v_cmpx_ne_u16_e32 0x80, v0
	s_cbranch_execz .LBB228_385
; %bb.380:                              ;   in Loop: Header=BB228_10 Depth=1
	v_mov_b32_e32 v5, 0x7f800001
	v_bfe_u32 v4, v2, 16, 7
	v_mov_b32_e32 v6, 0
	s_mov_b32 s17, exec_lo
	buffer_store_dword v5, off, s[0:3], s32 offset:560 ; 4-byte Folded Spill
	buffer_store_dword v6, off, s[0:3], s32 offset:564 ; 4-byte Folded Spill
	v_cmpx_ne_u32_e32 0x7f, v4
	s_cbranch_execz .LBB228_384
; %bb.381:                              ;   in Loop: Header=BB228_10 Depth=1
	v_mov_b32_e32 v0, 7
	v_lshrrev_b32_e32 v3, 3, v4
	s_mov_b32 s18, exec_lo
	v_and_b32_sdwa v82, v2, v0 dst_sel:DWORD dst_unused:UNUSED_PAD src0_sel:WORD_1 src1_sel:DWORD
	v_cmpx_gt_u32_e32 8, v4
; %bb.382:                              ;   in Loop: Header=BB228_10 Depth=1
	v_ffbh_u32_e32 v3, v82
	v_min_u32_e32 v3, 32, v3
	v_subrev_nc_u32_e32 v4, 28, v3
	v_sub_nc_u32_e32 v3, 29, v3
	v_lshlrev_b64 v[4:5], v4, v[82:83]
	v_and_b32_e32 v82, 7, v4
; %bb.383:                              ;   in Loop: Header=BB228_10 Depth=1
	s_or_b32 exec_lo, exec_lo, s18
	v_mov_b32_e32 v0, 24
	v_lshl_add_u32 v3, v3, 23, 0x3c000000
	v_lshlrev_b32_sdwa v4, v0, v2 dst_sel:DWORD dst_unused:UNUSED_PAD src0_sel:DWORD src1_sel:WORD_1
	v_lshlrev_b32_e32 v0, 20, v82
	v_and_b32_e32 v4, 0x80000000, v4
	v_or3_b32 v82, v0, v4, v3
	buffer_store_dword v82, off, s[0:3], s32 offset:560 ; 4-byte Folded Spill
	buffer_store_dword v83, off, s[0:3], s32 offset:564 ; 4-byte Folded Spill
.LBB228_384:                            ;   in Loop: Header=BB228_10 Depth=1
	s_or_b32 exec_lo, exec_lo, s17
.LBB228_385:                            ;   in Loop: Header=BB228_10 Depth=1
	s_or_b32 exec_lo, exec_lo, s7
.LBB228_386:                            ;   in Loop: Header=BB228_10 Depth=1
	s_or_b32 exec_lo, exec_lo, s6
	s_mov_b32 s6, exec_lo
	v_cmpx_lt_u32_e32 0xffffff, v2
	s_cbranch_execz .LBB228_394
; %bb.387:                              ;   in Loop: Header=BB228_10 Depth=1
	v_mov_b32_e32 v54, v83
	v_cmp_ne_u32_sdwa s5, v2, v114 src0_sel:BYTE_3 src1_sel:DWORD
	buffer_store_dword v54, off, s[0:3], s32 offset:552 ; 4-byte Folded Spill
	buffer_store_dword v55, off, s[0:3], s32 offset:556 ; 4-byte Folded Spill
	s_and_saveexec_b32 s7, s5
	s_cbranch_execz .LBB228_393
; %bb.388:                              ;   in Loop: Header=BB228_10 Depth=1
	v_bfe_u32 v4, v2, 24, 7
	v_mov_b32_e32 v48, v83
	s_mov_b32 s17, exec_lo
	buffer_store_dword v48, off, s[0:3], s32 offset:552 ; 4-byte Folded Spill
	buffer_store_dword v49, off, s[0:3], s32 offset:556 ; 4-byte Folded Spill
	v_cmpx_ne_u32_e32 0x7f, v4
	s_cbranch_execz .LBB228_392
; %bb.389:                              ;   in Loop: Header=BB228_10 Depth=1
	v_mov_b32_e32 v0, 7
	v_lshrrev_b32_e32 v3, 3, v4
	s_mov_b32 s18, exec_lo
	v_and_b32_sdwa v82, v2, v0 dst_sel:DWORD dst_unused:UNUSED_PAD src0_sel:BYTE_3 src1_sel:DWORD
	v_cmpx_gt_u32_e32 8, v4
; %bb.390:                              ;   in Loop: Header=BB228_10 Depth=1
	v_ffbh_u32_e32 v3, v82
	v_min_u32_e32 v3, 32, v3
	v_subrev_nc_u32_e32 v4, 28, v3
	v_sub_nc_u32_e32 v3, 29, v3
	v_lshlrev_b64 v[4:5], v4, v[82:83]
	v_and_b32_e32 v82, 7, v4
; %bb.391:                              ;   in Loop: Header=BB228_10 Depth=1
	s_or_b32 exec_lo, exec_lo, s18
	v_mov_b32_e32 v0, 24
	v_lshl_add_u32 v3, v3, 23, 0x3c000000
	v_lshlrev_b32_sdwa v2, v0, v2 dst_sel:DWORD dst_unused:UNUSED_PAD src0_sel:DWORD src1_sel:BYTE_3
	v_lshlrev_b32_e32 v0, 20, v82
	v_and_b32_e32 v2, 0x80000000, v2
	v_or3_b32 v3, v0, v2, v3
	v_mov_b32_e32 v2, v83
	buffer_store_dword v2, off, s[0:3], s32 offset:552 ; 4-byte Folded Spill
	buffer_store_dword v3, off, s[0:3], s32 offset:556 ; 4-byte Folded Spill
.LBB228_392:                            ;   in Loop: Header=BB228_10 Depth=1
	s_or_b32 exec_lo, exec_lo, s17
.LBB228_393:                            ;   in Loop: Header=BB228_10 Depth=1
	s_or_b32 exec_lo, exec_lo, s7
.LBB228_394:                            ;   in Loop: Header=BB228_10 Depth=1
	s_or_b32 exec_lo, exec_lo, s6
	flat_load_dword v2, v[26:27] offset:1536
	v_mov_b32_e32 v3, 0
	v_mov_b32_e32 v4, 0
	buffer_store_dword v3, off, s[0:3], s32 offset:576 ; 4-byte Folded Spill
	buffer_store_dword v4, off, s[0:3], s32 offset:580 ; 4-byte Folded Spill
	v_mov_b32_e32 v3, 0
	v_mov_b32_e32 v4, 0
	buffer_store_dword v3, off, s[0:3], s32 offset:568 ; 4-byte Folded Spill
	buffer_store_dword v4, off, s[0:3], s32 offset:572 ; 4-byte Folded Spill
	s_waitcnt vmcnt(0) lgkmcnt(0)
	v_cmp_ne_u16_sdwa s5, v2, v83 src0_sel:BYTE_0 src1_sel:DWORD
	s_and_saveexec_b32 s6, s5
	s_cbranch_execz .LBB228_402
; %bb.395:                              ;   in Loop: Header=BB228_10 Depth=1
	v_bfrev_b32_e32 v3, 1
	v_mov_b32_e32 v4, 0
	v_cmp_ne_u16_sdwa s5, v2, v114 src0_sel:BYTE_0 src1_sel:DWORD
	buffer_store_dword v3, off, s[0:3], s32 offset:568 ; 4-byte Folded Spill
	buffer_store_dword v4, off, s[0:3], s32 offset:572 ; 4-byte Folded Spill
	s_and_saveexec_b32 s7, s5
	s_cbranch_execz .LBB228_401
; %bb.396:                              ;   in Loop: Header=BB228_10 Depth=1
	v_mov_b32_e32 v5, 0x7f800001
	v_and_b32_e32 v4, 0x7f, v2
	v_mov_b32_e32 v6, 0
	s_mov_b32 s17, exec_lo
	buffer_store_dword v5, off, s[0:3], s32 offset:568 ; 4-byte Folded Spill
	buffer_store_dword v6, off, s[0:3], s32 offset:572 ; 4-byte Folded Spill
	v_cmpx_ne_u32_e32 0x7f, v4
	s_cbranch_execz .LBB228_400
; %bb.397:                              ;   in Loop: Header=BB228_10 Depth=1
	v_and_b32_e32 v82, 7, v2
	v_lshrrev_b32_e32 v3, 3, v4
	s_mov_b32 s18, exec_lo
	v_cmpx_gt_u32_e32 8, v4
; %bb.398:                              ;   in Loop: Header=BB228_10 Depth=1
	v_ffbh_u32_e32 v3, v82
	v_min_u32_e32 v3, 32, v3
	v_subrev_nc_u32_e32 v4, 28, v3
	v_sub_nc_u32_e32 v3, 29, v3
	v_lshlrev_b64 v[4:5], v4, v[82:83]
	v_and_b32_e32 v82, 7, v4
; %bb.399:                              ;   in Loop: Header=BB228_10 Depth=1
	s_or_b32 exec_lo, exec_lo, s18
	v_lshlrev_b32_e32 v4, 24, v2
	v_lshlrev_b32_e32 v0, 20, v82
	v_lshl_add_u32 v3, v3, 23, 0x3c000000
	v_and_b32_e32 v4, 0x80000000, v4
	v_or3_b32 v82, v0, v4, v3
	buffer_store_dword v82, off, s[0:3], s32 offset:568 ; 4-byte Folded Spill
	buffer_store_dword v83, off, s[0:3], s32 offset:572 ; 4-byte Folded Spill
.LBB228_400:                            ;   in Loop: Header=BB228_10 Depth=1
	s_or_b32 exec_lo, exec_lo, s17
.LBB228_401:                            ;   in Loop: Header=BB228_10 Depth=1
	s_or_b32 exec_lo, exec_lo, s7
.LBB228_402:                            ;   in Loop: Header=BB228_10 Depth=1
	s_or_b32 exec_lo, exec_lo, s6
	v_cmp_ne_u16_sdwa s5, v2, v83 src0_sel:BYTE_1 src1_sel:DWORD
	s_and_saveexec_b32 s6, s5
	s_cbranch_execz .LBB228_410
; %bb.403:                              ;   in Loop: Header=BB228_10 Depth=1
	v_mov_b32_e32 v54, v83
	v_cmp_ne_u16_sdwa s5, v2, v114 src0_sel:BYTE_1 src1_sel:DWORD
	buffer_store_dword v54, off, s[0:3], s32 offset:576 ; 4-byte Folded Spill
	buffer_store_dword v55, off, s[0:3], s32 offset:580 ; 4-byte Folded Spill
	s_and_saveexec_b32 s7, s5
	s_cbranch_execz .LBB228_409
; %bb.404:                              ;   in Loop: Header=BB228_10 Depth=1
	v_mov_b32_e32 v0, 0xffff
	v_mov_b32_e32 v48, v83
	s_mov_b32 s17, exec_lo
	buffer_store_dword v48, off, s[0:3], s32 offset:576 ; 4-byte Folded Spill
	buffer_store_dword v49, off, s[0:3], s32 offset:580 ; 4-byte Folded Spill
	v_and_b32_sdwa v0, v0, v2 dst_sel:DWORD dst_unused:UNUSED_PAD src0_sel:DWORD src1_sel:BYTE_1
	v_and_b32_e32 v4, 0x7f, v0
	v_cmpx_ne_u32_e32 0x7f, v4
	s_cbranch_execz .LBB228_408
; %bb.405:                              ;   in Loop: Header=BB228_10 Depth=1
	v_and_b32_e32 v82, 7, v0
	v_lshrrev_b32_e32 v3, 3, v4
	s_mov_b32 s18, exec_lo
	v_cmpx_gt_u32_e32 8, v4
; %bb.406:                              ;   in Loop: Header=BB228_10 Depth=1
	v_ffbh_u32_e32 v3, v82
	v_min_u32_e32 v3, 32, v3
	v_subrev_nc_u32_e32 v4, 28, v3
	v_sub_nc_u32_e32 v3, 29, v3
	v_lshlrev_b64 v[4:5], v4, v[82:83]
	v_and_b32_e32 v82, 7, v4
; %bb.407:                              ;   in Loop: Header=BB228_10 Depth=1
	s_or_b32 exec_lo, exec_lo, s18
	v_lshlrev_b32_e32 v4, 16, v2
	v_lshlrev_b32_e32 v0, 20, v82
	v_lshl_add_u32 v3, v3, 23, 0x3c000000
	v_and_b32_e32 v4, 0x80000000, v4
	v_or3_b32 v4, v0, v4, v3
	v_mov_b32_e32 v3, v83
	buffer_store_dword v3, off, s[0:3], s32 offset:576 ; 4-byte Folded Spill
	buffer_store_dword v4, off, s[0:3], s32 offset:580 ; 4-byte Folded Spill
.LBB228_408:                            ;   in Loop: Header=BB228_10 Depth=1
	s_or_b32 exec_lo, exec_lo, s17
.LBB228_409:                            ;   in Loop: Header=BB228_10 Depth=1
	s_or_b32 exec_lo, exec_lo, s7
.LBB228_410:                            ;   in Loop: Header=BB228_10 Depth=1
	s_or_b32 exec_lo, exec_lo, s6
	v_mov_b32_e32 v3, 0
	v_mov_b32_e32 v4, 0
	;; [unrolled: 1-line block ×3, first 2 shown]
	s_mov_b32 s6, exec_lo
	buffer_store_dword v3, off, s[0:3], s32 offset:584 ; 4-byte Folded Spill
	buffer_store_dword v4, off, s[0:3], s32 offset:588 ; 4-byte Folded Spill
	v_mov_b32_e32 v3, 0
	v_and_b32_sdwa v0, v2, v0 dst_sel:DWORD dst_unused:UNUSED_PAD src0_sel:WORD_1 src1_sel:DWORD
	v_mov_b32_e32 v4, 0
	buffer_store_dword v3, off, s[0:3], s32 offset:592 ; 4-byte Folded Spill
	buffer_store_dword v4, off, s[0:3], s32 offset:596 ; 4-byte Folded Spill
	v_cmpx_ne_u16_e32 0, v0
	s_cbranch_execz .LBB228_418
; %bb.411:                              ;   in Loop: Header=BB228_10 Depth=1
	v_bfrev_b32_e32 v3, 1
	v_mov_b32_e32 v4, 0
	s_mov_b32 s7, exec_lo
	buffer_store_dword v3, off, s[0:3], s32 offset:592 ; 4-byte Folded Spill
	buffer_store_dword v4, off, s[0:3], s32 offset:596 ; 4-byte Folded Spill
	v_cmpx_ne_u16_e32 0x80, v0
	s_cbranch_execz .LBB228_417
; %bb.412:                              ;   in Loop: Header=BB228_10 Depth=1
	v_mov_b32_e32 v5, 0x7f800001
	v_bfe_u32 v4, v2, 16, 7
	v_mov_b32_e32 v6, 0
	s_mov_b32 s17, exec_lo
	buffer_store_dword v5, off, s[0:3], s32 offset:592 ; 4-byte Folded Spill
	buffer_store_dword v6, off, s[0:3], s32 offset:596 ; 4-byte Folded Spill
	v_cmpx_ne_u32_e32 0x7f, v4
	s_cbranch_execz .LBB228_416
; %bb.413:                              ;   in Loop: Header=BB228_10 Depth=1
	v_mov_b32_e32 v0, 7
	v_lshrrev_b32_e32 v3, 3, v4
	s_mov_b32 s18, exec_lo
	v_and_b32_sdwa v82, v2, v0 dst_sel:DWORD dst_unused:UNUSED_PAD src0_sel:WORD_1 src1_sel:DWORD
	v_cmpx_gt_u32_e32 8, v4
; %bb.414:                              ;   in Loop: Header=BB228_10 Depth=1
	v_ffbh_u32_e32 v3, v82
	v_min_u32_e32 v3, 32, v3
	v_subrev_nc_u32_e32 v4, 28, v3
	v_sub_nc_u32_e32 v3, 29, v3
	v_lshlrev_b64 v[4:5], v4, v[82:83]
	v_and_b32_e32 v82, 7, v4
; %bb.415:                              ;   in Loop: Header=BB228_10 Depth=1
	s_or_b32 exec_lo, exec_lo, s18
	v_mov_b32_e32 v0, 24
	v_lshl_add_u32 v3, v3, 23, 0x3c000000
	v_lshlrev_b32_sdwa v4, v0, v2 dst_sel:DWORD dst_unused:UNUSED_PAD src0_sel:DWORD src1_sel:WORD_1
	v_lshlrev_b32_e32 v0, 20, v82
	v_and_b32_e32 v4, 0x80000000, v4
	v_or3_b32 v82, v0, v4, v3
	buffer_store_dword v82, off, s[0:3], s32 offset:592 ; 4-byte Folded Spill
	buffer_store_dword v83, off, s[0:3], s32 offset:596 ; 4-byte Folded Spill
.LBB228_416:                            ;   in Loop: Header=BB228_10 Depth=1
	s_or_b32 exec_lo, exec_lo, s17
.LBB228_417:                            ;   in Loop: Header=BB228_10 Depth=1
	s_or_b32 exec_lo, exec_lo, s7
.LBB228_418:                            ;   in Loop: Header=BB228_10 Depth=1
	s_or_b32 exec_lo, exec_lo, s6
	s_mov_b32 s6, exec_lo
	v_cmpx_lt_u32_e32 0xffffff, v2
	s_cbranch_execz .LBB228_426
; %bb.419:                              ;   in Loop: Header=BB228_10 Depth=1
	v_mov_b32_e32 v54, v83
	v_cmp_ne_u32_sdwa s5, v2, v114 src0_sel:BYTE_3 src1_sel:DWORD
	buffer_store_dword v54, off, s[0:3], s32 offset:584 ; 4-byte Folded Spill
	buffer_store_dword v55, off, s[0:3], s32 offset:588 ; 4-byte Folded Spill
	s_and_saveexec_b32 s7, s5
	s_cbranch_execz .LBB228_425
; %bb.420:                              ;   in Loop: Header=BB228_10 Depth=1
	v_bfe_u32 v4, v2, 24, 7
	v_mov_b32_e32 v48, v83
	s_mov_b32 s17, exec_lo
	buffer_store_dword v48, off, s[0:3], s32 offset:584 ; 4-byte Folded Spill
	buffer_store_dword v49, off, s[0:3], s32 offset:588 ; 4-byte Folded Spill
	v_cmpx_ne_u32_e32 0x7f, v4
	s_cbranch_execz .LBB228_424
; %bb.421:                              ;   in Loop: Header=BB228_10 Depth=1
	v_mov_b32_e32 v0, 7
	v_lshrrev_b32_e32 v3, 3, v4
	s_mov_b32 s18, exec_lo
	v_and_b32_sdwa v82, v2, v0 dst_sel:DWORD dst_unused:UNUSED_PAD src0_sel:BYTE_3 src1_sel:DWORD
	v_cmpx_gt_u32_e32 8, v4
; %bb.422:                              ;   in Loop: Header=BB228_10 Depth=1
	v_ffbh_u32_e32 v3, v82
	v_min_u32_e32 v3, 32, v3
	v_subrev_nc_u32_e32 v4, 28, v3
	v_sub_nc_u32_e32 v3, 29, v3
	v_lshlrev_b64 v[4:5], v4, v[82:83]
	v_and_b32_e32 v82, 7, v4
; %bb.423:                              ;   in Loop: Header=BB228_10 Depth=1
	s_or_b32 exec_lo, exec_lo, s18
	v_mov_b32_e32 v0, 24
	v_lshl_add_u32 v3, v3, 23, 0x3c000000
	v_lshlrev_b32_sdwa v2, v0, v2 dst_sel:DWORD dst_unused:UNUSED_PAD src0_sel:DWORD src1_sel:BYTE_3
	v_lshlrev_b32_e32 v0, 20, v82
	v_and_b32_e32 v2, 0x80000000, v2
	v_or3_b32 v3, v0, v2, v3
	v_mov_b32_e32 v2, v83
	buffer_store_dword v2, off, s[0:3], s32 offset:584 ; 4-byte Folded Spill
	buffer_store_dword v3, off, s[0:3], s32 offset:588 ; 4-byte Folded Spill
.LBB228_424:                            ;   in Loop: Header=BB228_10 Depth=1
	s_or_b32 exec_lo, exec_lo, s17
.LBB228_425:                            ;   in Loop: Header=BB228_10 Depth=1
	s_or_b32 exec_lo, exec_lo, s7
.LBB228_426:                            ;   in Loop: Header=BB228_10 Depth=1
	s_or_b32 exec_lo, exec_lo, s6
	flat_load_dword v2, v[26:27] offset:1540
	v_mov_b32_e32 v3, 0
	v_mov_b32_e32 v4, 0
	buffer_store_dword v3, off, s[0:3], s32 offset:608 ; 4-byte Folded Spill
	buffer_store_dword v4, off, s[0:3], s32 offset:612 ; 4-byte Folded Spill
	v_mov_b32_e32 v3, 0
	v_mov_b32_e32 v4, 0
	buffer_store_dword v3, off, s[0:3], s32 offset:600 ; 4-byte Folded Spill
	buffer_store_dword v4, off, s[0:3], s32 offset:604 ; 4-byte Folded Spill
	s_waitcnt vmcnt(0) lgkmcnt(0)
	v_cmp_ne_u16_sdwa s5, v2, v83 src0_sel:BYTE_0 src1_sel:DWORD
	s_and_saveexec_b32 s6, s5
	s_cbranch_execz .LBB228_434
; %bb.427:                              ;   in Loop: Header=BB228_10 Depth=1
	v_bfrev_b32_e32 v3, 1
	v_mov_b32_e32 v4, 0
	v_cmp_ne_u16_sdwa s5, v2, v114 src0_sel:BYTE_0 src1_sel:DWORD
	buffer_store_dword v3, off, s[0:3], s32 offset:600 ; 4-byte Folded Spill
	buffer_store_dword v4, off, s[0:3], s32 offset:604 ; 4-byte Folded Spill
	s_and_saveexec_b32 s7, s5
	s_cbranch_execz .LBB228_433
; %bb.428:                              ;   in Loop: Header=BB228_10 Depth=1
	v_mov_b32_e32 v5, 0x7f800001
	v_and_b32_e32 v4, 0x7f, v2
	v_mov_b32_e32 v6, 0
	s_mov_b32 s17, exec_lo
	buffer_store_dword v5, off, s[0:3], s32 offset:600 ; 4-byte Folded Spill
	buffer_store_dword v6, off, s[0:3], s32 offset:604 ; 4-byte Folded Spill
	v_cmpx_ne_u32_e32 0x7f, v4
	s_cbranch_execz .LBB228_432
; %bb.429:                              ;   in Loop: Header=BB228_10 Depth=1
	v_and_b32_e32 v82, 7, v2
	v_lshrrev_b32_e32 v3, 3, v4
	s_mov_b32 s18, exec_lo
	v_cmpx_gt_u32_e32 8, v4
; %bb.430:                              ;   in Loop: Header=BB228_10 Depth=1
	v_ffbh_u32_e32 v3, v82
	v_min_u32_e32 v3, 32, v3
	v_subrev_nc_u32_e32 v4, 28, v3
	v_sub_nc_u32_e32 v3, 29, v3
	v_lshlrev_b64 v[4:5], v4, v[82:83]
	v_and_b32_e32 v82, 7, v4
; %bb.431:                              ;   in Loop: Header=BB228_10 Depth=1
	s_or_b32 exec_lo, exec_lo, s18
	v_lshlrev_b32_e32 v4, 24, v2
	v_lshlrev_b32_e32 v0, 20, v82
	v_lshl_add_u32 v3, v3, 23, 0x3c000000
	v_and_b32_e32 v4, 0x80000000, v4
	v_or3_b32 v82, v0, v4, v3
	buffer_store_dword v82, off, s[0:3], s32 offset:600 ; 4-byte Folded Spill
	buffer_store_dword v83, off, s[0:3], s32 offset:604 ; 4-byte Folded Spill
.LBB228_432:                            ;   in Loop: Header=BB228_10 Depth=1
	s_or_b32 exec_lo, exec_lo, s17
.LBB228_433:                            ;   in Loop: Header=BB228_10 Depth=1
	s_or_b32 exec_lo, exec_lo, s7
.LBB228_434:                            ;   in Loop: Header=BB228_10 Depth=1
	s_or_b32 exec_lo, exec_lo, s6
	v_cmp_ne_u16_sdwa s5, v2, v83 src0_sel:BYTE_1 src1_sel:DWORD
	s_and_saveexec_b32 s6, s5
	s_cbranch_execz .LBB228_442
; %bb.435:                              ;   in Loop: Header=BB228_10 Depth=1
	v_mov_b32_e32 v54, v83
	v_cmp_ne_u16_sdwa s5, v2, v114 src0_sel:BYTE_1 src1_sel:DWORD
	buffer_store_dword v54, off, s[0:3], s32 offset:608 ; 4-byte Folded Spill
	buffer_store_dword v55, off, s[0:3], s32 offset:612 ; 4-byte Folded Spill
	s_and_saveexec_b32 s7, s5
	s_cbranch_execz .LBB228_441
; %bb.436:                              ;   in Loop: Header=BB228_10 Depth=1
	v_mov_b32_e32 v0, 0xffff
	v_mov_b32_e32 v48, v83
	s_mov_b32 s17, exec_lo
	buffer_store_dword v48, off, s[0:3], s32 offset:608 ; 4-byte Folded Spill
	buffer_store_dword v49, off, s[0:3], s32 offset:612 ; 4-byte Folded Spill
	v_and_b32_sdwa v0, v0, v2 dst_sel:DWORD dst_unused:UNUSED_PAD src0_sel:DWORD src1_sel:BYTE_1
	v_and_b32_e32 v4, 0x7f, v0
	v_cmpx_ne_u32_e32 0x7f, v4
	s_cbranch_execz .LBB228_440
; %bb.437:                              ;   in Loop: Header=BB228_10 Depth=1
	v_and_b32_e32 v82, 7, v0
	v_lshrrev_b32_e32 v3, 3, v4
	s_mov_b32 s18, exec_lo
	v_cmpx_gt_u32_e32 8, v4
; %bb.438:                              ;   in Loop: Header=BB228_10 Depth=1
	v_ffbh_u32_e32 v3, v82
	v_min_u32_e32 v3, 32, v3
	v_subrev_nc_u32_e32 v4, 28, v3
	v_sub_nc_u32_e32 v3, 29, v3
	v_lshlrev_b64 v[4:5], v4, v[82:83]
	v_and_b32_e32 v82, 7, v4
; %bb.439:                              ;   in Loop: Header=BB228_10 Depth=1
	s_or_b32 exec_lo, exec_lo, s18
	v_lshlrev_b32_e32 v4, 16, v2
	v_lshlrev_b32_e32 v0, 20, v82
	v_lshl_add_u32 v3, v3, 23, 0x3c000000
	v_and_b32_e32 v4, 0x80000000, v4
	v_or3_b32 v4, v0, v4, v3
	v_mov_b32_e32 v3, v83
	buffer_store_dword v3, off, s[0:3], s32 offset:608 ; 4-byte Folded Spill
	buffer_store_dword v4, off, s[0:3], s32 offset:612 ; 4-byte Folded Spill
.LBB228_440:                            ;   in Loop: Header=BB228_10 Depth=1
	s_or_b32 exec_lo, exec_lo, s17
.LBB228_441:                            ;   in Loop: Header=BB228_10 Depth=1
	s_or_b32 exec_lo, exec_lo, s7
.LBB228_442:                            ;   in Loop: Header=BB228_10 Depth=1
	s_or_b32 exec_lo, exec_lo, s6
	v_mov_b32_e32 v3, 0
	v_mov_b32_e32 v4, 0
	;; [unrolled: 1-line block ×3, first 2 shown]
	s_mov_b32 s6, exec_lo
	buffer_store_dword v3, off, s[0:3], s32 offset:616 ; 4-byte Folded Spill
	buffer_store_dword v4, off, s[0:3], s32 offset:620 ; 4-byte Folded Spill
	v_mov_b32_e32 v3, 0
	v_and_b32_sdwa v0, v2, v0 dst_sel:DWORD dst_unused:UNUSED_PAD src0_sel:WORD_1 src1_sel:DWORD
	v_mov_b32_e32 v4, 0
	buffer_store_dword v3, off, s[0:3], s32 offset:624 ; 4-byte Folded Spill
	buffer_store_dword v4, off, s[0:3], s32 offset:628 ; 4-byte Folded Spill
	v_cmpx_ne_u16_e32 0, v0
	s_cbranch_execz .LBB228_450
; %bb.443:                              ;   in Loop: Header=BB228_10 Depth=1
	v_bfrev_b32_e32 v3, 1
	v_mov_b32_e32 v4, 0
	s_mov_b32 s7, exec_lo
	buffer_store_dword v3, off, s[0:3], s32 offset:624 ; 4-byte Folded Spill
	buffer_store_dword v4, off, s[0:3], s32 offset:628 ; 4-byte Folded Spill
	v_cmpx_ne_u16_e32 0x80, v0
	s_cbranch_execz .LBB228_449
; %bb.444:                              ;   in Loop: Header=BB228_10 Depth=1
	v_mov_b32_e32 v5, 0x7f800001
	v_bfe_u32 v4, v2, 16, 7
	v_mov_b32_e32 v6, 0
	s_mov_b32 s17, exec_lo
	buffer_store_dword v5, off, s[0:3], s32 offset:624 ; 4-byte Folded Spill
	buffer_store_dword v6, off, s[0:3], s32 offset:628 ; 4-byte Folded Spill
	v_cmpx_ne_u32_e32 0x7f, v4
	s_cbranch_execz .LBB228_448
; %bb.445:                              ;   in Loop: Header=BB228_10 Depth=1
	v_mov_b32_e32 v0, 7
	v_lshrrev_b32_e32 v3, 3, v4
	s_mov_b32 s18, exec_lo
	v_and_b32_sdwa v82, v2, v0 dst_sel:DWORD dst_unused:UNUSED_PAD src0_sel:WORD_1 src1_sel:DWORD
	v_cmpx_gt_u32_e32 8, v4
; %bb.446:                              ;   in Loop: Header=BB228_10 Depth=1
	v_ffbh_u32_e32 v3, v82
	v_min_u32_e32 v3, 32, v3
	v_subrev_nc_u32_e32 v4, 28, v3
	v_sub_nc_u32_e32 v3, 29, v3
	v_lshlrev_b64 v[4:5], v4, v[82:83]
	v_and_b32_e32 v82, 7, v4
; %bb.447:                              ;   in Loop: Header=BB228_10 Depth=1
	s_or_b32 exec_lo, exec_lo, s18
	v_mov_b32_e32 v0, 24
	v_lshl_add_u32 v3, v3, 23, 0x3c000000
	v_lshlrev_b32_sdwa v4, v0, v2 dst_sel:DWORD dst_unused:UNUSED_PAD src0_sel:DWORD src1_sel:WORD_1
	v_lshlrev_b32_e32 v0, 20, v82
	v_and_b32_e32 v4, 0x80000000, v4
	v_or3_b32 v82, v0, v4, v3
	buffer_store_dword v82, off, s[0:3], s32 offset:624 ; 4-byte Folded Spill
	buffer_store_dword v83, off, s[0:3], s32 offset:628 ; 4-byte Folded Spill
.LBB228_448:                            ;   in Loop: Header=BB228_10 Depth=1
	s_or_b32 exec_lo, exec_lo, s17
.LBB228_449:                            ;   in Loop: Header=BB228_10 Depth=1
	s_or_b32 exec_lo, exec_lo, s7
.LBB228_450:                            ;   in Loop: Header=BB228_10 Depth=1
	s_or_b32 exec_lo, exec_lo, s6
	s_mov_b32 s6, exec_lo
	v_cmpx_lt_u32_e32 0xffffff, v2
	s_cbranch_execz .LBB228_458
; %bb.451:                              ;   in Loop: Header=BB228_10 Depth=1
	v_mov_b32_e32 v54, v83
	v_cmp_ne_u32_sdwa s5, v2, v114 src0_sel:BYTE_3 src1_sel:DWORD
	buffer_store_dword v54, off, s[0:3], s32 offset:616 ; 4-byte Folded Spill
	buffer_store_dword v55, off, s[0:3], s32 offset:620 ; 4-byte Folded Spill
	s_and_saveexec_b32 s7, s5
	s_cbranch_execz .LBB228_457
; %bb.452:                              ;   in Loop: Header=BB228_10 Depth=1
	v_bfe_u32 v4, v2, 24, 7
	v_mov_b32_e32 v48, v83
	s_mov_b32 s17, exec_lo
	buffer_store_dword v48, off, s[0:3], s32 offset:616 ; 4-byte Folded Spill
	buffer_store_dword v49, off, s[0:3], s32 offset:620 ; 4-byte Folded Spill
	v_cmpx_ne_u32_e32 0x7f, v4
	s_cbranch_execz .LBB228_456
; %bb.453:                              ;   in Loop: Header=BB228_10 Depth=1
	v_mov_b32_e32 v0, 7
	v_lshrrev_b32_e32 v3, 3, v4
	s_mov_b32 s18, exec_lo
	v_and_b32_sdwa v82, v2, v0 dst_sel:DWORD dst_unused:UNUSED_PAD src0_sel:BYTE_3 src1_sel:DWORD
	v_cmpx_gt_u32_e32 8, v4
; %bb.454:                              ;   in Loop: Header=BB228_10 Depth=1
	v_ffbh_u32_e32 v3, v82
	v_min_u32_e32 v3, 32, v3
	v_subrev_nc_u32_e32 v4, 28, v3
	v_sub_nc_u32_e32 v3, 29, v3
	v_lshlrev_b64 v[4:5], v4, v[82:83]
	v_and_b32_e32 v82, 7, v4
; %bb.455:                              ;   in Loop: Header=BB228_10 Depth=1
	s_or_b32 exec_lo, exec_lo, s18
	v_mov_b32_e32 v0, 24
	v_lshl_add_u32 v3, v3, 23, 0x3c000000
	v_lshlrev_b32_sdwa v2, v0, v2 dst_sel:DWORD dst_unused:UNUSED_PAD src0_sel:DWORD src1_sel:BYTE_3
	v_lshlrev_b32_e32 v0, 20, v82
	v_and_b32_e32 v2, 0x80000000, v2
	v_or3_b32 v3, v0, v2, v3
	v_mov_b32_e32 v2, v83
	buffer_store_dword v2, off, s[0:3], s32 offset:616 ; 4-byte Folded Spill
	buffer_store_dword v3, off, s[0:3], s32 offset:620 ; 4-byte Folded Spill
.LBB228_456:                            ;   in Loop: Header=BB228_10 Depth=1
	s_or_b32 exec_lo, exec_lo, s17
.LBB228_457:                            ;   in Loop: Header=BB228_10 Depth=1
	s_or_b32 exec_lo, exec_lo, s7
.LBB228_458:                            ;   in Loop: Header=BB228_10 Depth=1
	s_or_b32 exec_lo, exec_lo, s6
	flat_load_dword v2, v[26:27] offset:1544
	v_mov_b32_e32 v3, 0
	v_mov_b32_e32 v4, 0
	buffer_store_dword v3, off, s[0:3], s32 offset:640 ; 4-byte Folded Spill
	buffer_store_dword v4, off, s[0:3], s32 offset:644 ; 4-byte Folded Spill
	v_mov_b32_e32 v3, 0
	v_mov_b32_e32 v4, 0
	buffer_store_dword v3, off, s[0:3], s32 offset:632 ; 4-byte Folded Spill
	buffer_store_dword v4, off, s[0:3], s32 offset:636 ; 4-byte Folded Spill
	s_waitcnt vmcnt(0) lgkmcnt(0)
	v_cmp_ne_u16_sdwa s5, v2, v83 src0_sel:BYTE_0 src1_sel:DWORD
	s_and_saveexec_b32 s6, s5
	s_cbranch_execz .LBB228_466
; %bb.459:                              ;   in Loop: Header=BB228_10 Depth=1
	v_bfrev_b32_e32 v3, 1
	v_mov_b32_e32 v4, 0
	v_cmp_ne_u16_sdwa s5, v2, v114 src0_sel:BYTE_0 src1_sel:DWORD
	buffer_store_dword v3, off, s[0:3], s32 offset:632 ; 4-byte Folded Spill
	buffer_store_dword v4, off, s[0:3], s32 offset:636 ; 4-byte Folded Spill
	s_and_saveexec_b32 s7, s5
	s_cbranch_execz .LBB228_465
; %bb.460:                              ;   in Loop: Header=BB228_10 Depth=1
	v_mov_b32_e32 v5, 0x7f800001
	v_and_b32_e32 v4, 0x7f, v2
	v_mov_b32_e32 v6, 0
	s_mov_b32 s17, exec_lo
	buffer_store_dword v5, off, s[0:3], s32 offset:632 ; 4-byte Folded Spill
	buffer_store_dword v6, off, s[0:3], s32 offset:636 ; 4-byte Folded Spill
	v_cmpx_ne_u32_e32 0x7f, v4
	s_cbranch_execz .LBB228_464
; %bb.461:                              ;   in Loop: Header=BB228_10 Depth=1
	v_and_b32_e32 v82, 7, v2
	v_lshrrev_b32_e32 v3, 3, v4
	s_mov_b32 s18, exec_lo
	v_cmpx_gt_u32_e32 8, v4
; %bb.462:                              ;   in Loop: Header=BB228_10 Depth=1
	v_ffbh_u32_e32 v3, v82
	v_min_u32_e32 v3, 32, v3
	v_subrev_nc_u32_e32 v4, 28, v3
	v_sub_nc_u32_e32 v3, 29, v3
	v_lshlrev_b64 v[4:5], v4, v[82:83]
	v_and_b32_e32 v82, 7, v4
; %bb.463:                              ;   in Loop: Header=BB228_10 Depth=1
	s_or_b32 exec_lo, exec_lo, s18
	v_lshlrev_b32_e32 v4, 24, v2
	v_lshlrev_b32_e32 v0, 20, v82
	v_lshl_add_u32 v3, v3, 23, 0x3c000000
	v_and_b32_e32 v4, 0x80000000, v4
	v_or3_b32 v82, v0, v4, v3
	buffer_store_dword v82, off, s[0:3], s32 offset:632 ; 4-byte Folded Spill
	buffer_store_dword v83, off, s[0:3], s32 offset:636 ; 4-byte Folded Spill
.LBB228_464:                            ;   in Loop: Header=BB228_10 Depth=1
	s_or_b32 exec_lo, exec_lo, s17
.LBB228_465:                            ;   in Loop: Header=BB228_10 Depth=1
	s_or_b32 exec_lo, exec_lo, s7
.LBB228_466:                            ;   in Loop: Header=BB228_10 Depth=1
	s_or_b32 exec_lo, exec_lo, s6
	v_cmp_ne_u16_sdwa s5, v2, v83 src0_sel:BYTE_1 src1_sel:DWORD
	s_and_saveexec_b32 s6, s5
	s_cbranch_execz .LBB228_474
; %bb.467:                              ;   in Loop: Header=BB228_10 Depth=1
	v_mov_b32_e32 v54, v83
	v_cmp_ne_u16_sdwa s5, v2, v114 src0_sel:BYTE_1 src1_sel:DWORD
	buffer_store_dword v54, off, s[0:3], s32 offset:640 ; 4-byte Folded Spill
	buffer_store_dword v55, off, s[0:3], s32 offset:644 ; 4-byte Folded Spill
	s_and_saveexec_b32 s7, s5
	s_cbranch_execz .LBB228_473
; %bb.468:                              ;   in Loop: Header=BB228_10 Depth=1
	v_mov_b32_e32 v0, 0xffff
	v_mov_b32_e32 v48, v83
	s_mov_b32 s17, exec_lo
	buffer_store_dword v48, off, s[0:3], s32 offset:640 ; 4-byte Folded Spill
	buffer_store_dword v49, off, s[0:3], s32 offset:644 ; 4-byte Folded Spill
	v_and_b32_sdwa v0, v0, v2 dst_sel:DWORD dst_unused:UNUSED_PAD src0_sel:DWORD src1_sel:BYTE_1
	v_and_b32_e32 v4, 0x7f, v0
	v_cmpx_ne_u32_e32 0x7f, v4
	s_cbranch_execz .LBB228_472
; %bb.469:                              ;   in Loop: Header=BB228_10 Depth=1
	v_and_b32_e32 v82, 7, v0
	v_lshrrev_b32_e32 v3, 3, v4
	s_mov_b32 s18, exec_lo
	v_cmpx_gt_u32_e32 8, v4
; %bb.470:                              ;   in Loop: Header=BB228_10 Depth=1
	v_ffbh_u32_e32 v3, v82
	v_min_u32_e32 v3, 32, v3
	v_subrev_nc_u32_e32 v4, 28, v3
	v_sub_nc_u32_e32 v3, 29, v3
	v_lshlrev_b64 v[4:5], v4, v[82:83]
	v_and_b32_e32 v82, 7, v4
; %bb.471:                              ;   in Loop: Header=BB228_10 Depth=1
	s_or_b32 exec_lo, exec_lo, s18
	v_lshlrev_b32_e32 v4, 16, v2
	v_lshlrev_b32_e32 v0, 20, v82
	v_lshl_add_u32 v3, v3, 23, 0x3c000000
	v_and_b32_e32 v4, 0x80000000, v4
	v_or3_b32 v4, v0, v4, v3
	v_mov_b32_e32 v3, v83
	buffer_store_dword v3, off, s[0:3], s32 offset:640 ; 4-byte Folded Spill
	buffer_store_dword v4, off, s[0:3], s32 offset:644 ; 4-byte Folded Spill
.LBB228_472:                            ;   in Loop: Header=BB228_10 Depth=1
	s_or_b32 exec_lo, exec_lo, s17
.LBB228_473:                            ;   in Loop: Header=BB228_10 Depth=1
	s_or_b32 exec_lo, exec_lo, s7
.LBB228_474:                            ;   in Loop: Header=BB228_10 Depth=1
	s_or_b32 exec_lo, exec_lo, s6
	v_mov_b32_e32 v3, 0
	v_mov_b32_e32 v4, 0
	;; [unrolled: 1-line block ×3, first 2 shown]
	s_mov_b32 s6, exec_lo
	buffer_store_dword v3, off, s[0:3], s32 offset:648 ; 4-byte Folded Spill
	buffer_store_dword v4, off, s[0:3], s32 offset:652 ; 4-byte Folded Spill
	v_mov_b32_e32 v3, 0
	v_and_b32_sdwa v0, v2, v0 dst_sel:DWORD dst_unused:UNUSED_PAD src0_sel:WORD_1 src1_sel:DWORD
	v_mov_b32_e32 v4, 0
	buffer_store_dword v3, off, s[0:3], s32 offset:656 ; 4-byte Folded Spill
	buffer_store_dword v4, off, s[0:3], s32 offset:660 ; 4-byte Folded Spill
	v_cmpx_ne_u16_e32 0, v0
	s_cbranch_execz .LBB228_482
; %bb.475:                              ;   in Loop: Header=BB228_10 Depth=1
	v_bfrev_b32_e32 v3, 1
	v_mov_b32_e32 v4, 0
	s_mov_b32 s7, exec_lo
	buffer_store_dword v3, off, s[0:3], s32 offset:656 ; 4-byte Folded Spill
	buffer_store_dword v4, off, s[0:3], s32 offset:660 ; 4-byte Folded Spill
	v_cmpx_ne_u16_e32 0x80, v0
	s_cbranch_execz .LBB228_481
; %bb.476:                              ;   in Loop: Header=BB228_10 Depth=1
	v_mov_b32_e32 v5, 0x7f800001
	v_bfe_u32 v4, v2, 16, 7
	v_mov_b32_e32 v6, 0
	s_mov_b32 s17, exec_lo
	buffer_store_dword v5, off, s[0:3], s32 offset:656 ; 4-byte Folded Spill
	buffer_store_dword v6, off, s[0:3], s32 offset:660 ; 4-byte Folded Spill
	v_cmpx_ne_u32_e32 0x7f, v4
	s_cbranch_execz .LBB228_480
; %bb.477:                              ;   in Loop: Header=BB228_10 Depth=1
	v_mov_b32_e32 v0, 7
	v_lshrrev_b32_e32 v3, 3, v4
	s_mov_b32 s18, exec_lo
	v_and_b32_sdwa v82, v2, v0 dst_sel:DWORD dst_unused:UNUSED_PAD src0_sel:WORD_1 src1_sel:DWORD
	v_cmpx_gt_u32_e32 8, v4
; %bb.478:                              ;   in Loop: Header=BB228_10 Depth=1
	v_ffbh_u32_e32 v3, v82
	v_min_u32_e32 v3, 32, v3
	v_subrev_nc_u32_e32 v4, 28, v3
	v_sub_nc_u32_e32 v3, 29, v3
	v_lshlrev_b64 v[4:5], v4, v[82:83]
	v_and_b32_e32 v82, 7, v4
; %bb.479:                              ;   in Loop: Header=BB228_10 Depth=1
	s_or_b32 exec_lo, exec_lo, s18
	v_mov_b32_e32 v0, 24
	v_lshl_add_u32 v3, v3, 23, 0x3c000000
	v_lshlrev_b32_sdwa v4, v0, v2 dst_sel:DWORD dst_unused:UNUSED_PAD src0_sel:DWORD src1_sel:WORD_1
	v_lshlrev_b32_e32 v0, 20, v82
	v_and_b32_e32 v4, 0x80000000, v4
	v_or3_b32 v82, v0, v4, v3
	buffer_store_dword v82, off, s[0:3], s32 offset:656 ; 4-byte Folded Spill
	buffer_store_dword v83, off, s[0:3], s32 offset:660 ; 4-byte Folded Spill
.LBB228_480:                            ;   in Loop: Header=BB228_10 Depth=1
	s_or_b32 exec_lo, exec_lo, s17
.LBB228_481:                            ;   in Loop: Header=BB228_10 Depth=1
	s_or_b32 exec_lo, exec_lo, s7
.LBB228_482:                            ;   in Loop: Header=BB228_10 Depth=1
	s_or_b32 exec_lo, exec_lo, s6
	s_mov_b32 s6, exec_lo
	v_cmpx_lt_u32_e32 0xffffff, v2
	s_cbranch_execz .LBB228_490
; %bb.483:                              ;   in Loop: Header=BB228_10 Depth=1
	v_mov_b32_e32 v54, v83
	v_cmp_ne_u32_sdwa s5, v2, v114 src0_sel:BYTE_3 src1_sel:DWORD
	buffer_store_dword v54, off, s[0:3], s32 offset:648 ; 4-byte Folded Spill
	buffer_store_dword v55, off, s[0:3], s32 offset:652 ; 4-byte Folded Spill
	s_and_saveexec_b32 s7, s5
	s_cbranch_execz .LBB228_489
; %bb.484:                              ;   in Loop: Header=BB228_10 Depth=1
	v_bfe_u32 v4, v2, 24, 7
	v_mov_b32_e32 v48, v83
	s_mov_b32 s17, exec_lo
	buffer_store_dword v48, off, s[0:3], s32 offset:648 ; 4-byte Folded Spill
	buffer_store_dword v49, off, s[0:3], s32 offset:652 ; 4-byte Folded Spill
	v_cmpx_ne_u32_e32 0x7f, v4
	s_cbranch_execz .LBB228_488
; %bb.485:                              ;   in Loop: Header=BB228_10 Depth=1
	v_mov_b32_e32 v0, 7
	v_lshrrev_b32_e32 v3, 3, v4
	s_mov_b32 s18, exec_lo
	v_and_b32_sdwa v82, v2, v0 dst_sel:DWORD dst_unused:UNUSED_PAD src0_sel:BYTE_3 src1_sel:DWORD
	v_cmpx_gt_u32_e32 8, v4
; %bb.486:                              ;   in Loop: Header=BB228_10 Depth=1
	v_ffbh_u32_e32 v3, v82
	v_min_u32_e32 v3, 32, v3
	v_subrev_nc_u32_e32 v4, 28, v3
	v_sub_nc_u32_e32 v3, 29, v3
	v_lshlrev_b64 v[4:5], v4, v[82:83]
	v_and_b32_e32 v82, 7, v4
; %bb.487:                              ;   in Loop: Header=BB228_10 Depth=1
	s_or_b32 exec_lo, exec_lo, s18
	v_mov_b32_e32 v0, 24
	v_lshl_add_u32 v3, v3, 23, 0x3c000000
	v_lshlrev_b32_sdwa v2, v0, v2 dst_sel:DWORD dst_unused:UNUSED_PAD src0_sel:DWORD src1_sel:BYTE_3
	v_lshlrev_b32_e32 v0, 20, v82
	v_and_b32_e32 v2, 0x80000000, v2
	v_or3_b32 v3, v0, v2, v3
	v_mov_b32_e32 v2, v83
	buffer_store_dword v2, off, s[0:3], s32 offset:648 ; 4-byte Folded Spill
	buffer_store_dword v3, off, s[0:3], s32 offset:652 ; 4-byte Folded Spill
.LBB228_488:                            ;   in Loop: Header=BB228_10 Depth=1
	s_or_b32 exec_lo, exec_lo, s17
.LBB228_489:                            ;   in Loop: Header=BB228_10 Depth=1
	s_or_b32 exec_lo, exec_lo, s7
.LBB228_490:                            ;   in Loop: Header=BB228_10 Depth=1
	s_or_b32 exec_lo, exec_lo, s6
	flat_load_dword v2, v[26:27] offset:1548
	v_mov_b32_e32 v3, 0
	v_mov_b32_e32 v4, 0
	buffer_store_dword v3, off, s[0:3], s32 offset:672 ; 4-byte Folded Spill
	buffer_store_dword v4, off, s[0:3], s32 offset:676 ; 4-byte Folded Spill
	v_mov_b32_e32 v3, 0
	v_mov_b32_e32 v4, 0
	buffer_store_dword v3, off, s[0:3], s32 offset:664 ; 4-byte Folded Spill
	buffer_store_dword v4, off, s[0:3], s32 offset:668 ; 4-byte Folded Spill
	s_waitcnt vmcnt(0) lgkmcnt(0)
	v_cmp_ne_u16_sdwa s5, v2, v83 src0_sel:BYTE_0 src1_sel:DWORD
	s_and_saveexec_b32 s6, s5
	s_cbranch_execz .LBB228_498
; %bb.491:                              ;   in Loop: Header=BB228_10 Depth=1
	v_bfrev_b32_e32 v3, 1
	v_mov_b32_e32 v4, 0
	v_cmp_ne_u16_sdwa s5, v2, v114 src0_sel:BYTE_0 src1_sel:DWORD
	buffer_store_dword v3, off, s[0:3], s32 offset:664 ; 4-byte Folded Spill
	buffer_store_dword v4, off, s[0:3], s32 offset:668 ; 4-byte Folded Spill
	s_and_saveexec_b32 s7, s5
	s_cbranch_execz .LBB228_497
; %bb.492:                              ;   in Loop: Header=BB228_10 Depth=1
	v_mov_b32_e32 v5, 0x7f800001
	v_and_b32_e32 v4, 0x7f, v2
	v_mov_b32_e32 v6, 0
	s_mov_b32 s17, exec_lo
	buffer_store_dword v5, off, s[0:3], s32 offset:664 ; 4-byte Folded Spill
	buffer_store_dword v6, off, s[0:3], s32 offset:668 ; 4-byte Folded Spill
	v_cmpx_ne_u32_e32 0x7f, v4
	s_cbranch_execz .LBB228_496
; %bb.493:                              ;   in Loop: Header=BB228_10 Depth=1
	v_and_b32_e32 v82, 7, v2
	v_lshrrev_b32_e32 v3, 3, v4
	s_mov_b32 s18, exec_lo
	v_cmpx_gt_u32_e32 8, v4
; %bb.494:                              ;   in Loop: Header=BB228_10 Depth=1
	v_ffbh_u32_e32 v3, v82
	v_min_u32_e32 v3, 32, v3
	v_subrev_nc_u32_e32 v4, 28, v3
	v_sub_nc_u32_e32 v3, 29, v3
	v_lshlrev_b64 v[4:5], v4, v[82:83]
	v_and_b32_e32 v82, 7, v4
; %bb.495:                              ;   in Loop: Header=BB228_10 Depth=1
	s_or_b32 exec_lo, exec_lo, s18
	v_lshlrev_b32_e32 v4, 24, v2
	v_lshlrev_b32_e32 v0, 20, v82
	v_lshl_add_u32 v3, v3, 23, 0x3c000000
	v_and_b32_e32 v4, 0x80000000, v4
	v_or3_b32 v82, v0, v4, v3
	buffer_store_dword v82, off, s[0:3], s32 offset:664 ; 4-byte Folded Spill
	buffer_store_dword v83, off, s[0:3], s32 offset:668 ; 4-byte Folded Spill
.LBB228_496:                            ;   in Loop: Header=BB228_10 Depth=1
	s_or_b32 exec_lo, exec_lo, s17
.LBB228_497:                            ;   in Loop: Header=BB228_10 Depth=1
	s_or_b32 exec_lo, exec_lo, s7
.LBB228_498:                            ;   in Loop: Header=BB228_10 Depth=1
	s_or_b32 exec_lo, exec_lo, s6
	v_cmp_ne_u16_sdwa s5, v2, v83 src0_sel:BYTE_1 src1_sel:DWORD
	s_and_saveexec_b32 s6, s5
	s_cbranch_execz .LBB228_506
; %bb.499:                              ;   in Loop: Header=BB228_10 Depth=1
	v_mov_b32_e32 v54, v83
	v_cmp_ne_u16_sdwa s5, v2, v114 src0_sel:BYTE_1 src1_sel:DWORD
	buffer_store_dword v54, off, s[0:3], s32 offset:672 ; 4-byte Folded Spill
	buffer_store_dword v55, off, s[0:3], s32 offset:676 ; 4-byte Folded Spill
	s_and_saveexec_b32 s7, s5
	s_cbranch_execz .LBB228_505
; %bb.500:                              ;   in Loop: Header=BB228_10 Depth=1
	v_mov_b32_e32 v0, 0xffff
	v_mov_b32_e32 v48, v83
	s_mov_b32 s17, exec_lo
	buffer_store_dword v48, off, s[0:3], s32 offset:672 ; 4-byte Folded Spill
	buffer_store_dword v49, off, s[0:3], s32 offset:676 ; 4-byte Folded Spill
	v_and_b32_sdwa v0, v0, v2 dst_sel:DWORD dst_unused:UNUSED_PAD src0_sel:DWORD src1_sel:BYTE_1
	v_and_b32_e32 v4, 0x7f, v0
	v_cmpx_ne_u32_e32 0x7f, v4
	s_cbranch_execz .LBB228_504
; %bb.501:                              ;   in Loop: Header=BB228_10 Depth=1
	v_and_b32_e32 v82, 7, v0
	v_lshrrev_b32_e32 v3, 3, v4
	s_mov_b32 s18, exec_lo
	v_cmpx_gt_u32_e32 8, v4
; %bb.502:                              ;   in Loop: Header=BB228_10 Depth=1
	v_ffbh_u32_e32 v3, v82
	v_min_u32_e32 v3, 32, v3
	v_subrev_nc_u32_e32 v4, 28, v3
	v_sub_nc_u32_e32 v3, 29, v3
	v_lshlrev_b64 v[4:5], v4, v[82:83]
	v_and_b32_e32 v82, 7, v4
; %bb.503:                              ;   in Loop: Header=BB228_10 Depth=1
	s_or_b32 exec_lo, exec_lo, s18
	v_lshlrev_b32_e32 v4, 16, v2
	v_lshlrev_b32_e32 v0, 20, v82
	v_lshl_add_u32 v3, v3, 23, 0x3c000000
	v_and_b32_e32 v4, 0x80000000, v4
	v_or3_b32 v4, v0, v4, v3
	v_mov_b32_e32 v3, v83
	buffer_store_dword v3, off, s[0:3], s32 offset:672 ; 4-byte Folded Spill
	buffer_store_dword v4, off, s[0:3], s32 offset:676 ; 4-byte Folded Spill
.LBB228_504:                            ;   in Loop: Header=BB228_10 Depth=1
	s_or_b32 exec_lo, exec_lo, s17
.LBB228_505:                            ;   in Loop: Header=BB228_10 Depth=1
	s_or_b32 exec_lo, exec_lo, s7
.LBB228_506:                            ;   in Loop: Header=BB228_10 Depth=1
	s_or_b32 exec_lo, exec_lo, s6
	v_mov_b32_e32 v3, 0
	v_mov_b32_e32 v4, 0
	;; [unrolled: 1-line block ×3, first 2 shown]
	s_mov_b32 s6, exec_lo
	buffer_store_dword v3, off, s[0:3], s32 offset:680 ; 4-byte Folded Spill
	buffer_store_dword v4, off, s[0:3], s32 offset:684 ; 4-byte Folded Spill
	v_mov_b32_e32 v3, 0
	v_and_b32_sdwa v0, v2, v0 dst_sel:DWORD dst_unused:UNUSED_PAD src0_sel:WORD_1 src1_sel:DWORD
	v_mov_b32_e32 v4, 0
	buffer_store_dword v3, off, s[0:3], s32 offset:688 ; 4-byte Folded Spill
	buffer_store_dword v4, off, s[0:3], s32 offset:692 ; 4-byte Folded Spill
	v_cmpx_ne_u16_e32 0, v0
	s_cbranch_execz .LBB228_514
; %bb.507:                              ;   in Loop: Header=BB228_10 Depth=1
	v_bfrev_b32_e32 v3, 1
	v_mov_b32_e32 v4, 0
	s_mov_b32 s7, exec_lo
	buffer_store_dword v3, off, s[0:3], s32 offset:688 ; 4-byte Folded Spill
	buffer_store_dword v4, off, s[0:3], s32 offset:692 ; 4-byte Folded Spill
	v_cmpx_ne_u16_e32 0x80, v0
	s_cbranch_execz .LBB228_513
; %bb.508:                              ;   in Loop: Header=BB228_10 Depth=1
	v_mov_b32_e32 v5, 0x7f800001
	v_bfe_u32 v4, v2, 16, 7
	v_mov_b32_e32 v6, 0
	s_mov_b32 s17, exec_lo
	buffer_store_dword v5, off, s[0:3], s32 offset:688 ; 4-byte Folded Spill
	buffer_store_dword v6, off, s[0:3], s32 offset:692 ; 4-byte Folded Spill
	v_cmpx_ne_u32_e32 0x7f, v4
	s_cbranch_execz .LBB228_512
; %bb.509:                              ;   in Loop: Header=BB228_10 Depth=1
	v_mov_b32_e32 v0, 7
	v_lshrrev_b32_e32 v3, 3, v4
	s_mov_b32 s18, exec_lo
	v_and_b32_sdwa v82, v2, v0 dst_sel:DWORD dst_unused:UNUSED_PAD src0_sel:WORD_1 src1_sel:DWORD
	v_cmpx_gt_u32_e32 8, v4
; %bb.510:                              ;   in Loop: Header=BB228_10 Depth=1
	v_ffbh_u32_e32 v3, v82
	v_min_u32_e32 v3, 32, v3
	v_subrev_nc_u32_e32 v4, 28, v3
	v_sub_nc_u32_e32 v3, 29, v3
	v_lshlrev_b64 v[4:5], v4, v[82:83]
	v_and_b32_e32 v82, 7, v4
; %bb.511:                              ;   in Loop: Header=BB228_10 Depth=1
	s_or_b32 exec_lo, exec_lo, s18
	v_mov_b32_e32 v0, 24
	v_lshl_add_u32 v3, v3, 23, 0x3c000000
	v_lshlrev_b32_sdwa v4, v0, v2 dst_sel:DWORD dst_unused:UNUSED_PAD src0_sel:DWORD src1_sel:WORD_1
	v_lshlrev_b32_e32 v0, 20, v82
	v_and_b32_e32 v4, 0x80000000, v4
	v_or3_b32 v82, v0, v4, v3
	buffer_store_dword v82, off, s[0:3], s32 offset:688 ; 4-byte Folded Spill
	buffer_store_dword v83, off, s[0:3], s32 offset:692 ; 4-byte Folded Spill
.LBB228_512:                            ;   in Loop: Header=BB228_10 Depth=1
	s_or_b32 exec_lo, exec_lo, s17
.LBB228_513:                            ;   in Loop: Header=BB228_10 Depth=1
	s_or_b32 exec_lo, exec_lo, s7
.LBB228_514:                            ;   in Loop: Header=BB228_10 Depth=1
	s_or_b32 exec_lo, exec_lo, s6
	s_mov_b32 s6, exec_lo
	v_cmpx_lt_u32_e32 0xffffff, v2
	s_cbranch_execz .LBB228_522
; %bb.515:                              ;   in Loop: Header=BB228_10 Depth=1
	v_mov_b32_e32 v54, v83
	v_cmp_ne_u32_sdwa s5, v2, v114 src0_sel:BYTE_3 src1_sel:DWORD
	buffer_store_dword v54, off, s[0:3], s32 offset:680 ; 4-byte Folded Spill
	buffer_store_dword v55, off, s[0:3], s32 offset:684 ; 4-byte Folded Spill
	s_and_saveexec_b32 s7, s5
	s_cbranch_execz .LBB228_521
; %bb.516:                              ;   in Loop: Header=BB228_10 Depth=1
	v_bfe_u32 v4, v2, 24, 7
	v_mov_b32_e32 v48, v83
	s_mov_b32 s17, exec_lo
	buffer_store_dword v48, off, s[0:3], s32 offset:680 ; 4-byte Folded Spill
	buffer_store_dword v49, off, s[0:3], s32 offset:684 ; 4-byte Folded Spill
	v_cmpx_ne_u32_e32 0x7f, v4
	s_cbranch_execz .LBB228_520
; %bb.517:                              ;   in Loop: Header=BB228_10 Depth=1
	v_mov_b32_e32 v0, 7
	v_lshrrev_b32_e32 v3, 3, v4
	s_mov_b32 s18, exec_lo
	v_and_b32_sdwa v82, v2, v0 dst_sel:DWORD dst_unused:UNUSED_PAD src0_sel:BYTE_3 src1_sel:DWORD
	v_cmpx_gt_u32_e32 8, v4
; %bb.518:                              ;   in Loop: Header=BB228_10 Depth=1
	v_ffbh_u32_e32 v3, v82
	v_min_u32_e32 v3, 32, v3
	v_subrev_nc_u32_e32 v4, 28, v3
	v_sub_nc_u32_e32 v3, 29, v3
	v_lshlrev_b64 v[4:5], v4, v[82:83]
	v_and_b32_e32 v82, 7, v4
; %bb.519:                              ;   in Loop: Header=BB228_10 Depth=1
	s_or_b32 exec_lo, exec_lo, s18
	v_mov_b32_e32 v0, 24
	v_lshl_add_u32 v3, v3, 23, 0x3c000000
	v_lshlrev_b32_sdwa v2, v0, v2 dst_sel:DWORD dst_unused:UNUSED_PAD src0_sel:DWORD src1_sel:BYTE_3
	v_lshlrev_b32_e32 v0, 20, v82
	v_and_b32_e32 v2, 0x80000000, v2
	v_or3_b32 v3, v0, v2, v3
	v_mov_b32_e32 v2, v83
	buffer_store_dword v2, off, s[0:3], s32 offset:680 ; 4-byte Folded Spill
	buffer_store_dword v3, off, s[0:3], s32 offset:684 ; 4-byte Folded Spill
.LBB228_520:                            ;   in Loop: Header=BB228_10 Depth=1
	s_or_b32 exec_lo, exec_lo, s17
.LBB228_521:                            ;   in Loop: Header=BB228_10 Depth=1
	s_or_b32 exec_lo, exec_lo, s7
.LBB228_522:                            ;   in Loop: Header=BB228_10 Depth=1
	s_or_b32 exec_lo, exec_lo, s6
	v_add_co_u32 v50, s5, 0x800, v26
	v_add_co_ci_u32_e64 v51, null, 0, v27, s5
	v_mov_b32_e32 v3, 0
	v_mov_b32_e32 v4, 0
	flat_load_dword v2, v[50:51]
	buffer_store_dword v3, off, s[0:3], s32 offset:704 ; 4-byte Folded Spill
	buffer_store_dword v4, off, s[0:3], s32 offset:708 ; 4-byte Folded Spill
	v_mov_b32_e32 v3, 0
	v_mov_b32_e32 v4, 0
	buffer_store_dword v3, off, s[0:3], s32 offset:696 ; 4-byte Folded Spill
	buffer_store_dword v4, off, s[0:3], s32 offset:700 ; 4-byte Folded Spill
	s_waitcnt vmcnt(0) lgkmcnt(0)
	v_cmp_ne_u16_sdwa s5, v2, v83 src0_sel:BYTE_0 src1_sel:DWORD
	s_and_saveexec_b32 s6, s5
	s_cbranch_execz .LBB228_530
; %bb.523:                              ;   in Loop: Header=BB228_10 Depth=1
	v_bfrev_b32_e32 v3, 1
	v_mov_b32_e32 v4, 0
	v_cmp_ne_u16_sdwa s5, v2, v114 src0_sel:BYTE_0 src1_sel:DWORD
	buffer_store_dword v3, off, s[0:3], s32 offset:696 ; 4-byte Folded Spill
	buffer_store_dword v4, off, s[0:3], s32 offset:700 ; 4-byte Folded Spill
	s_and_saveexec_b32 s7, s5
	s_cbranch_execz .LBB228_529
; %bb.524:                              ;   in Loop: Header=BB228_10 Depth=1
	v_mov_b32_e32 v5, 0x7f800001
	v_and_b32_e32 v4, 0x7f, v2
	v_mov_b32_e32 v6, 0
	s_mov_b32 s17, exec_lo
	buffer_store_dword v5, off, s[0:3], s32 offset:696 ; 4-byte Folded Spill
	buffer_store_dword v6, off, s[0:3], s32 offset:700 ; 4-byte Folded Spill
	v_cmpx_ne_u32_e32 0x7f, v4
	s_cbranch_execz .LBB228_528
; %bb.525:                              ;   in Loop: Header=BB228_10 Depth=1
	v_and_b32_e32 v82, 7, v2
	v_lshrrev_b32_e32 v3, 3, v4
	s_mov_b32 s18, exec_lo
	v_cmpx_gt_u32_e32 8, v4
; %bb.526:                              ;   in Loop: Header=BB228_10 Depth=1
	v_ffbh_u32_e32 v3, v82
	v_min_u32_e32 v3, 32, v3
	v_subrev_nc_u32_e32 v4, 28, v3
	v_sub_nc_u32_e32 v3, 29, v3
	v_lshlrev_b64 v[4:5], v4, v[82:83]
	v_and_b32_e32 v82, 7, v4
; %bb.527:                              ;   in Loop: Header=BB228_10 Depth=1
	s_or_b32 exec_lo, exec_lo, s18
	v_lshlrev_b32_e32 v4, 24, v2
	v_lshlrev_b32_e32 v0, 20, v82
	v_lshl_add_u32 v3, v3, 23, 0x3c000000
	v_and_b32_e32 v4, 0x80000000, v4
	v_or3_b32 v82, v0, v4, v3
	buffer_store_dword v82, off, s[0:3], s32 offset:696 ; 4-byte Folded Spill
	buffer_store_dword v83, off, s[0:3], s32 offset:700 ; 4-byte Folded Spill
.LBB228_528:                            ;   in Loop: Header=BB228_10 Depth=1
	s_or_b32 exec_lo, exec_lo, s17
.LBB228_529:                            ;   in Loop: Header=BB228_10 Depth=1
	s_or_b32 exec_lo, exec_lo, s7
.LBB228_530:                            ;   in Loop: Header=BB228_10 Depth=1
	s_or_b32 exec_lo, exec_lo, s6
	v_cmp_ne_u16_sdwa s5, v2, v83 src0_sel:BYTE_1 src1_sel:DWORD
	s_and_saveexec_b32 s6, s5
	s_cbranch_execz .LBB228_538
; %bb.531:                              ;   in Loop: Header=BB228_10 Depth=1
	v_mov_b32_e32 v54, v83
	v_cmp_ne_u16_sdwa s5, v2, v114 src0_sel:BYTE_1 src1_sel:DWORD
	buffer_store_dword v54, off, s[0:3], s32 offset:704 ; 4-byte Folded Spill
	buffer_store_dword v55, off, s[0:3], s32 offset:708 ; 4-byte Folded Spill
	s_and_saveexec_b32 s7, s5
	s_cbranch_execz .LBB228_537
; %bb.532:                              ;   in Loop: Header=BB228_10 Depth=1
	v_mov_b32_e32 v0, 0xffff
	v_mov_b32_e32 v48, v83
	s_mov_b32 s17, exec_lo
	buffer_store_dword v48, off, s[0:3], s32 offset:704 ; 4-byte Folded Spill
	buffer_store_dword v49, off, s[0:3], s32 offset:708 ; 4-byte Folded Spill
	v_and_b32_sdwa v0, v0, v2 dst_sel:DWORD dst_unused:UNUSED_PAD src0_sel:DWORD src1_sel:BYTE_1
	v_and_b32_e32 v4, 0x7f, v0
	v_cmpx_ne_u32_e32 0x7f, v4
	s_cbranch_execz .LBB228_536
; %bb.533:                              ;   in Loop: Header=BB228_10 Depth=1
	v_and_b32_e32 v82, 7, v0
	v_lshrrev_b32_e32 v3, 3, v4
	s_mov_b32 s18, exec_lo
	v_cmpx_gt_u32_e32 8, v4
; %bb.534:                              ;   in Loop: Header=BB228_10 Depth=1
	v_ffbh_u32_e32 v3, v82
	v_min_u32_e32 v3, 32, v3
	v_subrev_nc_u32_e32 v4, 28, v3
	v_sub_nc_u32_e32 v3, 29, v3
	v_lshlrev_b64 v[4:5], v4, v[82:83]
	v_and_b32_e32 v82, 7, v4
; %bb.535:                              ;   in Loop: Header=BB228_10 Depth=1
	s_or_b32 exec_lo, exec_lo, s18
	v_lshlrev_b32_e32 v4, 16, v2
	v_lshlrev_b32_e32 v0, 20, v82
	v_lshl_add_u32 v3, v3, 23, 0x3c000000
	v_and_b32_e32 v4, 0x80000000, v4
	v_or3_b32 v4, v0, v4, v3
	v_mov_b32_e32 v3, v83
	buffer_store_dword v3, off, s[0:3], s32 offset:704 ; 4-byte Folded Spill
	buffer_store_dword v4, off, s[0:3], s32 offset:708 ; 4-byte Folded Spill
.LBB228_536:                            ;   in Loop: Header=BB228_10 Depth=1
	s_or_b32 exec_lo, exec_lo, s17
.LBB228_537:                            ;   in Loop: Header=BB228_10 Depth=1
	s_or_b32 exec_lo, exec_lo, s7
.LBB228_538:                            ;   in Loop: Header=BB228_10 Depth=1
	s_or_b32 exec_lo, exec_lo, s6
	v_mov_b32_e32 v3, 0
	v_mov_b32_e32 v4, 0
	;; [unrolled: 1-line block ×3, first 2 shown]
	s_mov_b32 s6, exec_lo
	buffer_store_dword v3, off, s[0:3], s32 offset:712 ; 4-byte Folded Spill
	buffer_store_dword v4, off, s[0:3], s32 offset:716 ; 4-byte Folded Spill
	v_mov_b32_e32 v3, 0
	v_and_b32_sdwa v0, v2, v0 dst_sel:DWORD dst_unused:UNUSED_PAD src0_sel:WORD_1 src1_sel:DWORD
	v_mov_b32_e32 v4, 0
	buffer_store_dword v3, off, s[0:3], s32 offset:720 ; 4-byte Folded Spill
	buffer_store_dword v4, off, s[0:3], s32 offset:724 ; 4-byte Folded Spill
	v_cmpx_ne_u16_e32 0, v0
	s_cbranch_execz .LBB228_546
; %bb.539:                              ;   in Loop: Header=BB228_10 Depth=1
	v_bfrev_b32_e32 v3, 1
	v_mov_b32_e32 v4, 0
	s_mov_b32 s7, exec_lo
	buffer_store_dword v3, off, s[0:3], s32 offset:720 ; 4-byte Folded Spill
	buffer_store_dword v4, off, s[0:3], s32 offset:724 ; 4-byte Folded Spill
	v_cmpx_ne_u16_e32 0x80, v0
	s_cbranch_execz .LBB228_545
; %bb.540:                              ;   in Loop: Header=BB228_10 Depth=1
	v_mov_b32_e32 v5, 0x7f800001
	v_bfe_u32 v4, v2, 16, 7
	v_mov_b32_e32 v6, 0
	s_mov_b32 s17, exec_lo
	buffer_store_dword v5, off, s[0:3], s32 offset:720 ; 4-byte Folded Spill
	buffer_store_dword v6, off, s[0:3], s32 offset:724 ; 4-byte Folded Spill
	v_cmpx_ne_u32_e32 0x7f, v4
	s_cbranch_execz .LBB228_544
; %bb.541:                              ;   in Loop: Header=BB228_10 Depth=1
	v_mov_b32_e32 v0, 7
	v_lshrrev_b32_e32 v3, 3, v4
	s_mov_b32 s18, exec_lo
	v_and_b32_sdwa v82, v2, v0 dst_sel:DWORD dst_unused:UNUSED_PAD src0_sel:WORD_1 src1_sel:DWORD
	v_cmpx_gt_u32_e32 8, v4
; %bb.542:                              ;   in Loop: Header=BB228_10 Depth=1
	v_ffbh_u32_e32 v3, v82
	v_min_u32_e32 v3, 32, v3
	v_subrev_nc_u32_e32 v4, 28, v3
	v_sub_nc_u32_e32 v3, 29, v3
	v_lshlrev_b64 v[4:5], v4, v[82:83]
	v_and_b32_e32 v82, 7, v4
; %bb.543:                              ;   in Loop: Header=BB228_10 Depth=1
	s_or_b32 exec_lo, exec_lo, s18
	v_mov_b32_e32 v0, 24
	v_lshl_add_u32 v3, v3, 23, 0x3c000000
	v_lshlrev_b32_sdwa v4, v0, v2 dst_sel:DWORD dst_unused:UNUSED_PAD src0_sel:DWORD src1_sel:WORD_1
	v_lshlrev_b32_e32 v0, 20, v82
	v_and_b32_e32 v4, 0x80000000, v4
	v_or3_b32 v82, v0, v4, v3
	buffer_store_dword v82, off, s[0:3], s32 offset:720 ; 4-byte Folded Spill
	buffer_store_dword v83, off, s[0:3], s32 offset:724 ; 4-byte Folded Spill
.LBB228_544:                            ;   in Loop: Header=BB228_10 Depth=1
	s_or_b32 exec_lo, exec_lo, s17
.LBB228_545:                            ;   in Loop: Header=BB228_10 Depth=1
	s_or_b32 exec_lo, exec_lo, s7
.LBB228_546:                            ;   in Loop: Header=BB228_10 Depth=1
	s_or_b32 exec_lo, exec_lo, s6
	s_mov_b32 s6, exec_lo
	v_cmpx_lt_u32_e32 0xffffff, v2
	s_cbranch_execz .LBB228_554
; %bb.547:                              ;   in Loop: Header=BB228_10 Depth=1
	v_mov_b32_e32 v54, v83
	v_cmp_ne_u32_sdwa s5, v2, v114 src0_sel:BYTE_3 src1_sel:DWORD
	buffer_store_dword v54, off, s[0:3], s32 offset:712 ; 4-byte Folded Spill
	buffer_store_dword v55, off, s[0:3], s32 offset:716 ; 4-byte Folded Spill
	s_and_saveexec_b32 s7, s5
	s_cbranch_execz .LBB228_553
; %bb.548:                              ;   in Loop: Header=BB228_10 Depth=1
	v_bfe_u32 v4, v2, 24, 7
	v_mov_b32_e32 v48, v83
	s_mov_b32 s17, exec_lo
	buffer_store_dword v48, off, s[0:3], s32 offset:712 ; 4-byte Folded Spill
	buffer_store_dword v49, off, s[0:3], s32 offset:716 ; 4-byte Folded Spill
	v_cmpx_ne_u32_e32 0x7f, v4
	s_cbranch_execz .LBB228_552
; %bb.549:                              ;   in Loop: Header=BB228_10 Depth=1
	v_mov_b32_e32 v0, 7
	v_lshrrev_b32_e32 v3, 3, v4
	s_mov_b32 s18, exec_lo
	v_and_b32_sdwa v82, v2, v0 dst_sel:DWORD dst_unused:UNUSED_PAD src0_sel:BYTE_3 src1_sel:DWORD
	v_cmpx_gt_u32_e32 8, v4
; %bb.550:                              ;   in Loop: Header=BB228_10 Depth=1
	v_ffbh_u32_e32 v3, v82
	v_min_u32_e32 v3, 32, v3
	v_subrev_nc_u32_e32 v4, 28, v3
	v_sub_nc_u32_e32 v3, 29, v3
	v_lshlrev_b64 v[4:5], v4, v[82:83]
	v_and_b32_e32 v82, 7, v4
; %bb.551:                              ;   in Loop: Header=BB228_10 Depth=1
	s_or_b32 exec_lo, exec_lo, s18
	v_mov_b32_e32 v0, 24
	v_lshl_add_u32 v3, v3, 23, 0x3c000000
	v_lshlrev_b32_sdwa v2, v0, v2 dst_sel:DWORD dst_unused:UNUSED_PAD src0_sel:DWORD src1_sel:BYTE_3
	v_lshlrev_b32_e32 v0, 20, v82
	v_and_b32_e32 v2, 0x80000000, v2
	v_or3_b32 v3, v0, v2, v3
	v_mov_b32_e32 v2, v83
	buffer_store_dword v2, off, s[0:3], s32 offset:712 ; 4-byte Folded Spill
	buffer_store_dword v3, off, s[0:3], s32 offset:716 ; 4-byte Folded Spill
.LBB228_552:                            ;   in Loop: Header=BB228_10 Depth=1
	s_or_b32 exec_lo, exec_lo, s17
.LBB228_553:                            ;   in Loop: Header=BB228_10 Depth=1
	s_or_b32 exec_lo, exec_lo, s7
.LBB228_554:                            ;   in Loop: Header=BB228_10 Depth=1
	s_or_b32 exec_lo, exec_lo, s6
	flat_load_dword v2, v[50:51] offset:4
	v_mov_b32_e32 v3, 0
	v_mov_b32_e32 v4, 0
	buffer_store_dword v3, off, s[0:3], s32 offset:736 ; 4-byte Folded Spill
	buffer_store_dword v4, off, s[0:3], s32 offset:740 ; 4-byte Folded Spill
	v_mov_b32_e32 v3, 0
	v_mov_b32_e32 v4, 0
	buffer_store_dword v3, off, s[0:3], s32 offset:728 ; 4-byte Folded Spill
	buffer_store_dword v4, off, s[0:3], s32 offset:732 ; 4-byte Folded Spill
	s_waitcnt vmcnt(0) lgkmcnt(0)
	v_cmp_ne_u16_sdwa s5, v2, v83 src0_sel:BYTE_0 src1_sel:DWORD
	s_and_saveexec_b32 s6, s5
	s_cbranch_execz .LBB228_562
; %bb.555:                              ;   in Loop: Header=BB228_10 Depth=1
	v_bfrev_b32_e32 v3, 1
	v_mov_b32_e32 v4, 0
	v_cmp_ne_u16_sdwa s5, v2, v114 src0_sel:BYTE_0 src1_sel:DWORD
	buffer_store_dword v3, off, s[0:3], s32 offset:728 ; 4-byte Folded Spill
	buffer_store_dword v4, off, s[0:3], s32 offset:732 ; 4-byte Folded Spill
	s_and_saveexec_b32 s7, s5
	s_cbranch_execz .LBB228_561
; %bb.556:                              ;   in Loop: Header=BB228_10 Depth=1
	v_mov_b32_e32 v5, 0x7f800001
	v_and_b32_e32 v4, 0x7f, v2
	v_mov_b32_e32 v6, 0
	s_mov_b32 s17, exec_lo
	buffer_store_dword v5, off, s[0:3], s32 offset:728 ; 4-byte Folded Spill
	buffer_store_dword v6, off, s[0:3], s32 offset:732 ; 4-byte Folded Spill
	v_cmpx_ne_u32_e32 0x7f, v4
	s_cbranch_execz .LBB228_560
; %bb.557:                              ;   in Loop: Header=BB228_10 Depth=1
	v_and_b32_e32 v82, 7, v2
	v_lshrrev_b32_e32 v3, 3, v4
	s_mov_b32 s18, exec_lo
	v_cmpx_gt_u32_e32 8, v4
; %bb.558:                              ;   in Loop: Header=BB228_10 Depth=1
	v_ffbh_u32_e32 v3, v82
	v_min_u32_e32 v3, 32, v3
	v_subrev_nc_u32_e32 v4, 28, v3
	v_sub_nc_u32_e32 v3, 29, v3
	v_lshlrev_b64 v[4:5], v4, v[82:83]
	v_and_b32_e32 v82, 7, v4
; %bb.559:                              ;   in Loop: Header=BB228_10 Depth=1
	s_or_b32 exec_lo, exec_lo, s18
	v_lshlrev_b32_e32 v4, 24, v2
	v_lshlrev_b32_e32 v0, 20, v82
	v_lshl_add_u32 v3, v3, 23, 0x3c000000
	v_and_b32_e32 v4, 0x80000000, v4
	v_or3_b32 v82, v0, v4, v3
	buffer_store_dword v82, off, s[0:3], s32 offset:728 ; 4-byte Folded Spill
	buffer_store_dword v83, off, s[0:3], s32 offset:732 ; 4-byte Folded Spill
.LBB228_560:                            ;   in Loop: Header=BB228_10 Depth=1
	s_or_b32 exec_lo, exec_lo, s17
.LBB228_561:                            ;   in Loop: Header=BB228_10 Depth=1
	s_or_b32 exec_lo, exec_lo, s7
.LBB228_562:                            ;   in Loop: Header=BB228_10 Depth=1
	s_or_b32 exec_lo, exec_lo, s6
	v_cmp_ne_u16_sdwa s5, v2, v83 src0_sel:BYTE_1 src1_sel:DWORD
	s_and_saveexec_b32 s6, s5
	s_cbranch_execz .LBB228_570
; %bb.563:                              ;   in Loop: Header=BB228_10 Depth=1
	v_mov_b32_e32 v54, v83
	v_cmp_ne_u16_sdwa s5, v2, v114 src0_sel:BYTE_1 src1_sel:DWORD
	buffer_store_dword v54, off, s[0:3], s32 offset:736 ; 4-byte Folded Spill
	buffer_store_dword v55, off, s[0:3], s32 offset:740 ; 4-byte Folded Spill
	s_and_saveexec_b32 s7, s5
	s_cbranch_execz .LBB228_569
; %bb.564:                              ;   in Loop: Header=BB228_10 Depth=1
	v_mov_b32_e32 v0, 0xffff
	v_mov_b32_e32 v48, v83
	s_mov_b32 s17, exec_lo
	buffer_store_dword v48, off, s[0:3], s32 offset:736 ; 4-byte Folded Spill
	buffer_store_dword v49, off, s[0:3], s32 offset:740 ; 4-byte Folded Spill
	v_and_b32_sdwa v0, v0, v2 dst_sel:DWORD dst_unused:UNUSED_PAD src0_sel:DWORD src1_sel:BYTE_1
	v_and_b32_e32 v4, 0x7f, v0
	v_cmpx_ne_u32_e32 0x7f, v4
	s_cbranch_execz .LBB228_568
; %bb.565:                              ;   in Loop: Header=BB228_10 Depth=1
	v_and_b32_e32 v82, 7, v0
	v_lshrrev_b32_e32 v3, 3, v4
	s_mov_b32 s18, exec_lo
	v_cmpx_gt_u32_e32 8, v4
; %bb.566:                              ;   in Loop: Header=BB228_10 Depth=1
	v_ffbh_u32_e32 v3, v82
	v_min_u32_e32 v3, 32, v3
	v_subrev_nc_u32_e32 v4, 28, v3
	v_sub_nc_u32_e32 v3, 29, v3
	v_lshlrev_b64 v[4:5], v4, v[82:83]
	v_and_b32_e32 v82, 7, v4
; %bb.567:                              ;   in Loop: Header=BB228_10 Depth=1
	s_or_b32 exec_lo, exec_lo, s18
	v_lshlrev_b32_e32 v4, 16, v2
	v_lshlrev_b32_e32 v0, 20, v82
	v_lshl_add_u32 v3, v3, 23, 0x3c000000
	v_and_b32_e32 v4, 0x80000000, v4
	v_or3_b32 v4, v0, v4, v3
	v_mov_b32_e32 v3, v83
	buffer_store_dword v3, off, s[0:3], s32 offset:736 ; 4-byte Folded Spill
	buffer_store_dword v4, off, s[0:3], s32 offset:740 ; 4-byte Folded Spill
.LBB228_568:                            ;   in Loop: Header=BB228_10 Depth=1
	s_or_b32 exec_lo, exec_lo, s17
.LBB228_569:                            ;   in Loop: Header=BB228_10 Depth=1
	s_or_b32 exec_lo, exec_lo, s7
.LBB228_570:                            ;   in Loop: Header=BB228_10 Depth=1
	s_or_b32 exec_lo, exec_lo, s6
	v_mov_b32_e32 v3, 0
	v_mov_b32_e32 v4, 0
	;; [unrolled: 1-line block ×3, first 2 shown]
	s_mov_b32 s6, exec_lo
	buffer_store_dword v3, off, s[0:3], s32 offset:744 ; 4-byte Folded Spill
	buffer_store_dword v4, off, s[0:3], s32 offset:748 ; 4-byte Folded Spill
	v_mov_b32_e32 v3, 0
	v_and_b32_sdwa v0, v2, v0 dst_sel:DWORD dst_unused:UNUSED_PAD src0_sel:WORD_1 src1_sel:DWORD
	v_mov_b32_e32 v4, 0
	buffer_store_dword v3, off, s[0:3], s32 offset:752 ; 4-byte Folded Spill
	buffer_store_dword v4, off, s[0:3], s32 offset:756 ; 4-byte Folded Spill
	v_cmpx_ne_u16_e32 0, v0
	s_cbranch_execz .LBB228_578
; %bb.571:                              ;   in Loop: Header=BB228_10 Depth=1
	v_bfrev_b32_e32 v3, 1
	v_mov_b32_e32 v4, 0
	s_mov_b32 s7, exec_lo
	buffer_store_dword v3, off, s[0:3], s32 offset:752 ; 4-byte Folded Spill
	buffer_store_dword v4, off, s[0:3], s32 offset:756 ; 4-byte Folded Spill
	v_cmpx_ne_u16_e32 0x80, v0
	s_cbranch_execz .LBB228_577
; %bb.572:                              ;   in Loop: Header=BB228_10 Depth=1
	v_mov_b32_e32 v5, 0x7f800001
	v_bfe_u32 v4, v2, 16, 7
	v_mov_b32_e32 v6, 0
	s_mov_b32 s17, exec_lo
	buffer_store_dword v5, off, s[0:3], s32 offset:752 ; 4-byte Folded Spill
	buffer_store_dword v6, off, s[0:3], s32 offset:756 ; 4-byte Folded Spill
	v_cmpx_ne_u32_e32 0x7f, v4
	s_cbranch_execz .LBB228_576
; %bb.573:                              ;   in Loop: Header=BB228_10 Depth=1
	v_mov_b32_e32 v0, 7
	v_lshrrev_b32_e32 v3, 3, v4
	s_mov_b32 s18, exec_lo
	v_and_b32_sdwa v82, v2, v0 dst_sel:DWORD dst_unused:UNUSED_PAD src0_sel:WORD_1 src1_sel:DWORD
	v_cmpx_gt_u32_e32 8, v4
; %bb.574:                              ;   in Loop: Header=BB228_10 Depth=1
	v_ffbh_u32_e32 v3, v82
	v_min_u32_e32 v3, 32, v3
	v_subrev_nc_u32_e32 v4, 28, v3
	v_sub_nc_u32_e32 v3, 29, v3
	v_lshlrev_b64 v[4:5], v4, v[82:83]
	v_and_b32_e32 v82, 7, v4
; %bb.575:                              ;   in Loop: Header=BB228_10 Depth=1
	s_or_b32 exec_lo, exec_lo, s18
	v_mov_b32_e32 v0, 24
	v_lshl_add_u32 v3, v3, 23, 0x3c000000
	v_lshlrev_b32_sdwa v4, v0, v2 dst_sel:DWORD dst_unused:UNUSED_PAD src0_sel:DWORD src1_sel:WORD_1
	v_lshlrev_b32_e32 v0, 20, v82
	v_and_b32_e32 v4, 0x80000000, v4
	v_or3_b32 v82, v0, v4, v3
	buffer_store_dword v82, off, s[0:3], s32 offset:752 ; 4-byte Folded Spill
	buffer_store_dword v83, off, s[0:3], s32 offset:756 ; 4-byte Folded Spill
.LBB228_576:                            ;   in Loop: Header=BB228_10 Depth=1
	s_or_b32 exec_lo, exec_lo, s17
.LBB228_577:                            ;   in Loop: Header=BB228_10 Depth=1
	s_or_b32 exec_lo, exec_lo, s7
.LBB228_578:                            ;   in Loop: Header=BB228_10 Depth=1
	s_or_b32 exec_lo, exec_lo, s6
	s_mov_b32 s6, exec_lo
	v_cmpx_lt_u32_e32 0xffffff, v2
	s_cbranch_execz .LBB228_586
; %bb.579:                              ;   in Loop: Header=BB228_10 Depth=1
	v_mov_b32_e32 v54, v83
	v_cmp_ne_u32_sdwa s5, v2, v114 src0_sel:BYTE_3 src1_sel:DWORD
	buffer_store_dword v54, off, s[0:3], s32 offset:744 ; 4-byte Folded Spill
	buffer_store_dword v55, off, s[0:3], s32 offset:748 ; 4-byte Folded Spill
	s_and_saveexec_b32 s7, s5
	s_cbranch_execz .LBB228_585
; %bb.580:                              ;   in Loop: Header=BB228_10 Depth=1
	v_bfe_u32 v4, v2, 24, 7
	v_mov_b32_e32 v48, v83
	s_mov_b32 s17, exec_lo
	buffer_store_dword v48, off, s[0:3], s32 offset:744 ; 4-byte Folded Spill
	buffer_store_dword v49, off, s[0:3], s32 offset:748 ; 4-byte Folded Spill
	v_cmpx_ne_u32_e32 0x7f, v4
	s_cbranch_execz .LBB228_584
; %bb.581:                              ;   in Loop: Header=BB228_10 Depth=1
	v_mov_b32_e32 v0, 7
	v_lshrrev_b32_e32 v3, 3, v4
	s_mov_b32 s18, exec_lo
	v_and_b32_sdwa v82, v2, v0 dst_sel:DWORD dst_unused:UNUSED_PAD src0_sel:BYTE_3 src1_sel:DWORD
	v_cmpx_gt_u32_e32 8, v4
; %bb.582:                              ;   in Loop: Header=BB228_10 Depth=1
	v_ffbh_u32_e32 v3, v82
	v_min_u32_e32 v3, 32, v3
	v_subrev_nc_u32_e32 v4, 28, v3
	v_sub_nc_u32_e32 v3, 29, v3
	v_lshlrev_b64 v[4:5], v4, v[82:83]
	v_and_b32_e32 v82, 7, v4
; %bb.583:                              ;   in Loop: Header=BB228_10 Depth=1
	s_or_b32 exec_lo, exec_lo, s18
	v_mov_b32_e32 v0, 24
	v_lshl_add_u32 v3, v3, 23, 0x3c000000
	v_lshlrev_b32_sdwa v2, v0, v2 dst_sel:DWORD dst_unused:UNUSED_PAD src0_sel:DWORD src1_sel:BYTE_3
	v_lshlrev_b32_e32 v0, 20, v82
	v_and_b32_e32 v2, 0x80000000, v2
	v_or3_b32 v3, v0, v2, v3
	v_mov_b32_e32 v2, v83
	buffer_store_dword v2, off, s[0:3], s32 offset:744 ; 4-byte Folded Spill
	buffer_store_dword v3, off, s[0:3], s32 offset:748 ; 4-byte Folded Spill
.LBB228_584:                            ;   in Loop: Header=BB228_10 Depth=1
	s_or_b32 exec_lo, exec_lo, s17
.LBB228_585:                            ;   in Loop: Header=BB228_10 Depth=1
	s_or_b32 exec_lo, exec_lo, s7
.LBB228_586:                            ;   in Loop: Header=BB228_10 Depth=1
	s_or_b32 exec_lo, exec_lo, s6
	flat_load_dword v2, v[50:51] offset:8
	v_mov_b32_e32 v3, 0
	v_mov_b32_e32 v4, 0
	buffer_store_dword v3, off, s[0:3], s32 offset:768 ; 4-byte Folded Spill
	buffer_store_dword v4, off, s[0:3], s32 offset:772 ; 4-byte Folded Spill
	v_mov_b32_e32 v3, 0
	v_mov_b32_e32 v4, 0
	buffer_store_dword v3, off, s[0:3], s32 offset:760 ; 4-byte Folded Spill
	buffer_store_dword v4, off, s[0:3], s32 offset:764 ; 4-byte Folded Spill
	s_waitcnt vmcnt(0) lgkmcnt(0)
	v_cmp_ne_u16_sdwa s5, v2, v83 src0_sel:BYTE_0 src1_sel:DWORD
	s_and_saveexec_b32 s6, s5
	s_cbranch_execz .LBB228_594
; %bb.587:                              ;   in Loop: Header=BB228_10 Depth=1
	v_bfrev_b32_e32 v3, 1
	v_mov_b32_e32 v4, 0
	v_cmp_ne_u16_sdwa s5, v2, v114 src0_sel:BYTE_0 src1_sel:DWORD
	buffer_store_dword v3, off, s[0:3], s32 offset:760 ; 4-byte Folded Spill
	buffer_store_dword v4, off, s[0:3], s32 offset:764 ; 4-byte Folded Spill
	s_and_saveexec_b32 s7, s5
	s_cbranch_execz .LBB228_593
; %bb.588:                              ;   in Loop: Header=BB228_10 Depth=1
	v_mov_b32_e32 v5, 0x7f800001
	v_and_b32_e32 v4, 0x7f, v2
	v_mov_b32_e32 v6, 0
	s_mov_b32 s17, exec_lo
	buffer_store_dword v5, off, s[0:3], s32 offset:760 ; 4-byte Folded Spill
	buffer_store_dword v6, off, s[0:3], s32 offset:764 ; 4-byte Folded Spill
	v_cmpx_ne_u32_e32 0x7f, v4
	s_cbranch_execz .LBB228_592
; %bb.589:                              ;   in Loop: Header=BB228_10 Depth=1
	v_and_b32_e32 v82, 7, v2
	v_lshrrev_b32_e32 v3, 3, v4
	s_mov_b32 s18, exec_lo
	v_cmpx_gt_u32_e32 8, v4
; %bb.590:                              ;   in Loop: Header=BB228_10 Depth=1
	v_ffbh_u32_e32 v3, v82
	v_min_u32_e32 v3, 32, v3
	v_subrev_nc_u32_e32 v4, 28, v3
	v_sub_nc_u32_e32 v3, 29, v3
	v_lshlrev_b64 v[4:5], v4, v[82:83]
	v_and_b32_e32 v82, 7, v4
; %bb.591:                              ;   in Loop: Header=BB228_10 Depth=1
	s_or_b32 exec_lo, exec_lo, s18
	v_lshlrev_b32_e32 v4, 24, v2
	v_lshlrev_b32_e32 v0, 20, v82
	v_lshl_add_u32 v3, v3, 23, 0x3c000000
	v_and_b32_e32 v4, 0x80000000, v4
	v_or3_b32 v82, v0, v4, v3
	buffer_store_dword v82, off, s[0:3], s32 offset:760 ; 4-byte Folded Spill
	buffer_store_dword v83, off, s[0:3], s32 offset:764 ; 4-byte Folded Spill
.LBB228_592:                            ;   in Loop: Header=BB228_10 Depth=1
	s_or_b32 exec_lo, exec_lo, s17
.LBB228_593:                            ;   in Loop: Header=BB228_10 Depth=1
	s_or_b32 exec_lo, exec_lo, s7
.LBB228_594:                            ;   in Loop: Header=BB228_10 Depth=1
	s_or_b32 exec_lo, exec_lo, s6
	v_cmp_ne_u16_sdwa s5, v2, v83 src0_sel:BYTE_1 src1_sel:DWORD
	s_and_saveexec_b32 s6, s5
	s_cbranch_execz .LBB228_602
; %bb.595:                              ;   in Loop: Header=BB228_10 Depth=1
	v_mov_b32_e32 v54, v83
	v_cmp_ne_u16_sdwa s5, v2, v114 src0_sel:BYTE_1 src1_sel:DWORD
	buffer_store_dword v54, off, s[0:3], s32 offset:768 ; 4-byte Folded Spill
	buffer_store_dword v55, off, s[0:3], s32 offset:772 ; 4-byte Folded Spill
	s_and_saveexec_b32 s7, s5
	s_cbranch_execz .LBB228_601
; %bb.596:                              ;   in Loop: Header=BB228_10 Depth=1
	v_mov_b32_e32 v0, 0xffff
	v_mov_b32_e32 v48, v83
	s_mov_b32 s17, exec_lo
	buffer_store_dword v48, off, s[0:3], s32 offset:768 ; 4-byte Folded Spill
	buffer_store_dword v49, off, s[0:3], s32 offset:772 ; 4-byte Folded Spill
	v_and_b32_sdwa v0, v0, v2 dst_sel:DWORD dst_unused:UNUSED_PAD src0_sel:DWORD src1_sel:BYTE_1
	v_and_b32_e32 v4, 0x7f, v0
	v_cmpx_ne_u32_e32 0x7f, v4
	s_cbranch_execz .LBB228_600
; %bb.597:                              ;   in Loop: Header=BB228_10 Depth=1
	v_and_b32_e32 v82, 7, v0
	v_lshrrev_b32_e32 v3, 3, v4
	s_mov_b32 s18, exec_lo
	v_cmpx_gt_u32_e32 8, v4
; %bb.598:                              ;   in Loop: Header=BB228_10 Depth=1
	v_ffbh_u32_e32 v3, v82
	v_min_u32_e32 v3, 32, v3
	v_subrev_nc_u32_e32 v4, 28, v3
	v_sub_nc_u32_e32 v3, 29, v3
	v_lshlrev_b64 v[4:5], v4, v[82:83]
	v_and_b32_e32 v82, 7, v4
; %bb.599:                              ;   in Loop: Header=BB228_10 Depth=1
	s_or_b32 exec_lo, exec_lo, s18
	v_lshlrev_b32_e32 v4, 16, v2
	v_lshlrev_b32_e32 v0, 20, v82
	v_lshl_add_u32 v3, v3, 23, 0x3c000000
	v_and_b32_e32 v4, 0x80000000, v4
	v_or3_b32 v4, v0, v4, v3
	v_mov_b32_e32 v3, v83
	buffer_store_dword v3, off, s[0:3], s32 offset:768 ; 4-byte Folded Spill
	buffer_store_dword v4, off, s[0:3], s32 offset:772 ; 4-byte Folded Spill
.LBB228_600:                            ;   in Loop: Header=BB228_10 Depth=1
	s_or_b32 exec_lo, exec_lo, s17
.LBB228_601:                            ;   in Loop: Header=BB228_10 Depth=1
	s_or_b32 exec_lo, exec_lo, s7
.LBB228_602:                            ;   in Loop: Header=BB228_10 Depth=1
	s_or_b32 exec_lo, exec_lo, s6
	v_mov_b32_e32 v0, 0xff
	v_mov_b32_e32 v86, 0
	;; [unrolled: 1-line block ×5, first 2 shown]
	v_and_b32_sdwa v0, v2, v0 dst_sel:DWORD dst_unused:UNUSED_PAD src0_sel:WORD_1 src1_sel:DWORD
	s_mov_b32 s6, exec_lo
	buffer_store_dword v3, off, s[0:3], s32 offset:776 ; 4-byte Folded Spill
	buffer_store_dword v4, off, s[0:3], s32 offset:780 ; 4-byte Folded Spill
	v_cmpx_ne_u16_e32 0, v0
	s_cbranch_execz .LBB228_610
; %bb.603:                              ;   in Loop: Header=BB228_10 Depth=1
	v_bfrev_b32_e32 v3, 1
	v_mov_b32_e32 v4, 0
	s_mov_b32 s7, exec_lo
	buffer_store_dword v3, off, s[0:3], s32 offset:776 ; 4-byte Folded Spill
	buffer_store_dword v4, off, s[0:3], s32 offset:780 ; 4-byte Folded Spill
	v_cmpx_ne_u16_e32 0x80, v0
	s_cbranch_execz .LBB228_609
; %bb.604:                              ;   in Loop: Header=BB228_10 Depth=1
	v_mov_b32_e32 v5, 0x7f800001
	v_bfe_u32 v4, v2, 16, 7
	v_mov_b32_e32 v6, 0
	s_mov_b32 s17, exec_lo
	buffer_store_dword v5, off, s[0:3], s32 offset:776 ; 4-byte Folded Spill
	buffer_store_dword v6, off, s[0:3], s32 offset:780 ; 4-byte Folded Spill
	v_cmpx_ne_u32_e32 0x7f, v4
	s_cbranch_execz .LBB228_608
; %bb.605:                              ;   in Loop: Header=BB228_10 Depth=1
	v_mov_b32_e32 v0, 7
	v_lshrrev_b32_e32 v3, 3, v4
	s_mov_b32 s18, exec_lo
	v_and_b32_sdwa v82, v2, v0 dst_sel:DWORD dst_unused:UNUSED_PAD src0_sel:WORD_1 src1_sel:DWORD
	v_cmpx_gt_u32_e32 8, v4
; %bb.606:                              ;   in Loop: Header=BB228_10 Depth=1
	v_ffbh_u32_e32 v3, v82
	v_min_u32_e32 v3, 32, v3
	v_subrev_nc_u32_e32 v4, 28, v3
	v_sub_nc_u32_e32 v3, 29, v3
	v_lshlrev_b64 v[4:5], v4, v[82:83]
	v_and_b32_e32 v82, 7, v4
; %bb.607:                              ;   in Loop: Header=BB228_10 Depth=1
	s_or_b32 exec_lo, exec_lo, s18
	v_mov_b32_e32 v0, 24
	v_lshl_add_u32 v3, v3, 23, 0x3c000000
	v_lshlrev_b32_sdwa v4, v0, v2 dst_sel:DWORD dst_unused:UNUSED_PAD src0_sel:DWORD src1_sel:WORD_1
	v_lshlrev_b32_e32 v0, 20, v82
	v_and_b32_e32 v4, 0x80000000, v4
	v_or3_b32 v82, v0, v4, v3
	buffer_store_dword v82, off, s[0:3], s32 offset:776 ; 4-byte Folded Spill
	buffer_store_dword v83, off, s[0:3], s32 offset:780 ; 4-byte Folded Spill
.LBB228_608:                            ;   in Loop: Header=BB228_10 Depth=1
	s_or_b32 exec_lo, exec_lo, s17
.LBB228_609:                            ;   in Loop: Header=BB228_10 Depth=1
	s_or_b32 exec_lo, exec_lo, s7
.LBB228_610:                            ;   in Loop: Header=BB228_10 Depth=1
	s_or_b32 exec_lo, exec_lo, s6
	s_mov_b32 s6, exec_lo
	v_cmpx_lt_u32_e32 0xffffff, v2
	s_cbranch_execz .LBB228_618
; %bb.611:                              ;   in Loop: Header=BB228_10 Depth=1
	v_mov_b32_e32 v54, v83
	v_mov_b32_e32 v87, v55
	v_cmp_ne_u32_sdwa s5, v2, v114 src0_sel:BYTE_3 src1_sel:DWORD
	v_mov_b32_e32 v86, v54
	s_and_saveexec_b32 s7, s5
	s_cbranch_execz .LBB228_617
; %bb.612:                              ;   in Loop: Header=BB228_10 Depth=1
	v_mov_b32_e32 v48, v83
	v_mov_b32_e32 v87, v49
	v_bfe_u32 v4, v2, 24, 7
	s_mov_b32 s17, exec_lo
	v_mov_b32_e32 v86, v48
	v_cmpx_ne_u32_e32 0x7f, v4
	s_cbranch_execz .LBB228_616
; %bb.613:                              ;   in Loop: Header=BB228_10 Depth=1
	v_mov_b32_e32 v0, 7
	v_lshrrev_b32_e32 v3, 3, v4
	s_mov_b32 s18, exec_lo
	v_and_b32_sdwa v82, v2, v0 dst_sel:DWORD dst_unused:UNUSED_PAD src0_sel:BYTE_3 src1_sel:DWORD
	v_cmpx_gt_u32_e32 8, v4
; %bb.614:                              ;   in Loop: Header=BB228_10 Depth=1
	v_ffbh_u32_e32 v3, v82
	v_min_u32_e32 v3, 32, v3
	v_subrev_nc_u32_e32 v4, 28, v3
	v_sub_nc_u32_e32 v3, 29, v3
	v_lshlrev_b64 v[4:5], v4, v[82:83]
	v_and_b32_e32 v82, 7, v4
; %bb.615:                              ;   in Loop: Header=BB228_10 Depth=1
	s_or_b32 exec_lo, exec_lo, s18
	v_mov_b32_e32 v0, 24
	v_lshl_add_u32 v3, v3, 23, 0x3c000000
	v_mov_b32_e32 v86, v83
	v_lshlrev_b32_sdwa v2, v0, v2 dst_sel:DWORD dst_unused:UNUSED_PAD src0_sel:DWORD src1_sel:BYTE_3
	v_lshlrev_b32_e32 v0, 20, v82
	v_and_b32_e32 v2, 0x80000000, v2
	v_or3_b32 v87, v0, v2, v3
.LBB228_616:                            ;   in Loop: Header=BB228_10 Depth=1
	s_or_b32 exec_lo, exec_lo, s17
.LBB228_617:                            ;   in Loop: Header=BB228_10 Depth=1
	s_or_b32 exec_lo, exec_lo, s7
.LBB228_618:                            ;   in Loop: Header=BB228_10 Depth=1
	s_or_b32 exec_lo, exec_lo, s6
	flat_load_dword v2, v[50:51] offset:12
	v_mov_b32_e32 v68, 0
	v_mov_b32_e32 v96, 0
	;; [unrolled: 1-line block ×4, first 2 shown]
	s_waitcnt vmcnt(0) lgkmcnt(0)
	v_cmp_ne_u16_sdwa s5, v2, v83 src0_sel:BYTE_0 src1_sel:DWORD
	s_and_saveexec_b32 s6, s5
	s_cbranch_execz .LBB228_626
; %bb.619:                              ;   in Loop: Header=BB228_10 Depth=1
	v_bfrev_b32_e32 v96, 1
	v_mov_b32_e32 v97, 0
	v_cmp_ne_u16_sdwa s5, v2, v114 src0_sel:BYTE_0 src1_sel:DWORD
	s_and_saveexec_b32 s7, s5
	s_cbranch_execz .LBB228_625
; %bb.620:                              ;   in Loop: Header=BB228_10 Depth=1
	v_mov_b32_e32 v96, 0x7f800001
	v_and_b32_e32 v4, 0x7f, v2
	v_mov_b32_e32 v97, 0
	s_mov_b32 s17, exec_lo
	v_cmpx_ne_u32_e32 0x7f, v4
	s_cbranch_execz .LBB228_624
; %bb.621:                              ;   in Loop: Header=BB228_10 Depth=1
	v_and_b32_e32 v82, 7, v2
	v_lshrrev_b32_e32 v3, 3, v4
	s_mov_b32 s18, exec_lo
	v_cmpx_gt_u32_e32 8, v4
; %bb.622:                              ;   in Loop: Header=BB228_10 Depth=1
	v_ffbh_u32_e32 v3, v82
	v_min_u32_e32 v3, 32, v3
	v_subrev_nc_u32_e32 v4, 28, v3
	v_sub_nc_u32_e32 v3, 29, v3
	v_lshlrev_b64 v[4:5], v4, v[82:83]
	v_and_b32_e32 v82, 7, v4
; %bb.623:                              ;   in Loop: Header=BB228_10 Depth=1
	s_or_b32 exec_lo, exec_lo, s18
	v_lshlrev_b32_e32 v4, 24, v2
	v_lshlrev_b32_e32 v0, 20, v82
	v_lshl_add_u32 v3, v3, 23, 0x3c000000
	v_and_b32_e32 v4, 0x80000000, v4
	v_or3_b32 v82, v0, v4, v3
	v_mov_b32_e32 v97, v83
	v_mov_b32_e32 v96, v82
.LBB228_624:                            ;   in Loop: Header=BB228_10 Depth=1
	s_or_b32 exec_lo, exec_lo, s17
.LBB228_625:                            ;   in Loop: Header=BB228_10 Depth=1
	s_or_b32 exec_lo, exec_lo, s7
.LBB228_626:                            ;   in Loop: Header=BB228_10 Depth=1
	s_or_b32 exec_lo, exec_lo, s6
	v_cmp_ne_u16_sdwa s5, v2, v83 src0_sel:BYTE_1 src1_sel:DWORD
	s_and_saveexec_b32 s6, s5
	s_cbranch_execz .LBB228_634
; %bb.627:                              ;   in Loop: Header=BB228_10 Depth=1
	v_mov_b32_e32 v54, v83
	v_mov_b32_e32 v69, v55
	v_cmp_ne_u16_sdwa s5, v2, v114 src0_sel:BYTE_1 src1_sel:DWORD
	v_mov_b32_e32 v68, v54
	s_and_saveexec_b32 s7, s5
	s_cbranch_execz .LBB228_633
; %bb.628:                              ;   in Loop: Header=BB228_10 Depth=1
	v_mov_b32_e32 v0, 0xffff
	v_mov_b32_e32 v48, v83
	;; [unrolled: 1-line block ×3, first 2 shown]
	s_mov_b32 s17, exec_lo
	v_and_b32_sdwa v0, v0, v2 dst_sel:DWORD dst_unused:UNUSED_PAD src0_sel:DWORD src1_sel:BYTE_1
	v_mov_b32_e32 v68, v48
	v_and_b32_e32 v4, 0x7f, v0
	v_cmpx_ne_u32_e32 0x7f, v4
	s_cbranch_execz .LBB228_632
; %bb.629:                              ;   in Loop: Header=BB228_10 Depth=1
	v_and_b32_e32 v82, 7, v0
	v_lshrrev_b32_e32 v3, 3, v4
	s_mov_b32 s18, exec_lo
	v_cmpx_gt_u32_e32 8, v4
; %bb.630:                              ;   in Loop: Header=BB228_10 Depth=1
	v_ffbh_u32_e32 v3, v82
	v_min_u32_e32 v3, 32, v3
	v_subrev_nc_u32_e32 v4, 28, v3
	v_sub_nc_u32_e32 v3, 29, v3
	v_lshlrev_b64 v[4:5], v4, v[82:83]
	v_and_b32_e32 v82, 7, v4
; %bb.631:                              ;   in Loop: Header=BB228_10 Depth=1
	s_or_b32 exec_lo, exec_lo, s18
	v_lshlrev_b32_e32 v4, 16, v2
	v_lshlrev_b32_e32 v0, 20, v82
	v_lshl_add_u32 v3, v3, 23, 0x3c000000
	v_mov_b32_e32 v68, v83
	v_and_b32_e32 v4, 0x80000000, v4
	v_or3_b32 v69, v0, v4, v3
.LBB228_632:                            ;   in Loop: Header=BB228_10 Depth=1
	s_or_b32 exec_lo, exec_lo, s17
.LBB228_633:                            ;   in Loop: Header=BB228_10 Depth=1
	s_or_b32 exec_lo, exec_lo, s7
.LBB228_634:                            ;   in Loop: Header=BB228_10 Depth=1
	s_or_b32 exec_lo, exec_lo, s6
	v_mov_b32_e32 v0, 0xff
	v_mov_b32_e32 v102, 0
	v_mov_b32_e32 v36, 0
	v_mov_b32_e32 v103, 0
	v_mov_b32_e32 v37, 0
	v_and_b32_sdwa v0, v2, v0 dst_sel:DWORD dst_unused:UNUSED_PAD src0_sel:WORD_1 src1_sel:DWORD
	s_mov_b32 s6, exec_lo
	v_cmpx_ne_u16_e32 0, v0
	s_cbranch_execz .LBB228_642
; %bb.635:                              ;   in Loop: Header=BB228_10 Depth=1
	v_bfrev_b32_e32 v36, 1
	v_mov_b32_e32 v37, 0
	s_mov_b32 s7, exec_lo
	v_cmpx_ne_u16_e32 0x80, v0
	s_cbranch_execz .LBB228_641
; %bb.636:                              ;   in Loop: Header=BB228_10 Depth=1
	v_mov_b32_e32 v36, 0x7f800001
	v_bfe_u32 v4, v2, 16, 7
	v_mov_b32_e32 v37, 0
	s_mov_b32 s17, exec_lo
	v_cmpx_ne_u32_e32 0x7f, v4
	s_cbranch_execz .LBB228_640
; %bb.637:                              ;   in Loop: Header=BB228_10 Depth=1
	v_mov_b32_e32 v0, 7
	v_lshrrev_b32_e32 v3, 3, v4
	s_mov_b32 s18, exec_lo
	v_and_b32_sdwa v82, v2, v0 dst_sel:DWORD dst_unused:UNUSED_PAD src0_sel:WORD_1 src1_sel:DWORD
	v_cmpx_gt_u32_e32 8, v4
; %bb.638:                              ;   in Loop: Header=BB228_10 Depth=1
	v_ffbh_u32_e32 v3, v82
	v_min_u32_e32 v3, 32, v3
	v_subrev_nc_u32_e32 v4, 28, v3
	v_sub_nc_u32_e32 v3, 29, v3
	v_lshlrev_b64 v[4:5], v4, v[82:83]
	v_and_b32_e32 v82, 7, v4
; %bb.639:                              ;   in Loop: Header=BB228_10 Depth=1
	s_or_b32 exec_lo, exec_lo, s18
	v_mov_b32_e32 v0, 24
	v_lshl_add_u32 v3, v3, 23, 0x3c000000
	v_lshlrev_b32_sdwa v4, v0, v2 dst_sel:DWORD dst_unused:UNUSED_PAD src0_sel:DWORD src1_sel:WORD_1
	v_lshlrev_b32_e32 v0, 20, v82
	v_and_b32_e32 v4, 0x80000000, v4
	v_or3_b32 v82, v0, v4, v3
	v_mov_b32_e32 v36, v82
	v_mov_b32_e32 v37, v83
.LBB228_640:                            ;   in Loop: Header=BB228_10 Depth=1
	s_or_b32 exec_lo, exec_lo, s17
.LBB228_641:                            ;   in Loop: Header=BB228_10 Depth=1
	s_or_b32 exec_lo, exec_lo, s7
.LBB228_642:                            ;   in Loop: Header=BB228_10 Depth=1
	s_or_b32 exec_lo, exec_lo, s6
	s_mov_b32 s6, exec_lo
	v_cmpx_lt_u32_e32 0xffffff, v2
	s_cbranch_execz .LBB228_650
; %bb.643:                              ;   in Loop: Header=BB228_10 Depth=1
	v_mov_b32_e32 v54, v83
	v_mov_b32_e32 v103, v55
	v_cmp_ne_u32_sdwa s5, v2, v114 src0_sel:BYTE_3 src1_sel:DWORD
	v_mov_b32_e32 v102, v54
	s_and_saveexec_b32 s7, s5
	s_cbranch_execz .LBB228_649
; %bb.644:                              ;   in Loop: Header=BB228_10 Depth=1
	v_mov_b32_e32 v48, v83
	v_mov_b32_e32 v103, v49
	v_bfe_u32 v4, v2, 24, 7
	s_mov_b32 s17, exec_lo
	v_mov_b32_e32 v102, v48
	v_cmpx_ne_u32_e32 0x7f, v4
	s_cbranch_execz .LBB228_648
; %bb.645:                              ;   in Loop: Header=BB228_10 Depth=1
	v_mov_b32_e32 v0, 7
	v_lshrrev_b32_e32 v3, 3, v4
	s_mov_b32 s18, exec_lo
	v_and_b32_sdwa v82, v2, v0 dst_sel:DWORD dst_unused:UNUSED_PAD src0_sel:BYTE_3 src1_sel:DWORD
	v_cmpx_gt_u32_e32 8, v4
; %bb.646:                              ;   in Loop: Header=BB228_10 Depth=1
	v_ffbh_u32_e32 v3, v82
	v_min_u32_e32 v3, 32, v3
	v_subrev_nc_u32_e32 v4, 28, v3
	v_sub_nc_u32_e32 v3, 29, v3
	v_lshlrev_b64 v[4:5], v4, v[82:83]
	v_and_b32_e32 v82, 7, v4
; %bb.647:                              ;   in Loop: Header=BB228_10 Depth=1
	s_or_b32 exec_lo, exec_lo, s18
	v_mov_b32_e32 v0, 24
	v_lshl_add_u32 v3, v3, 23, 0x3c000000
	v_mov_b32_e32 v102, v83
	v_lshlrev_b32_sdwa v2, v0, v2 dst_sel:DWORD dst_unused:UNUSED_PAD src0_sel:DWORD src1_sel:BYTE_3
	v_lshlrev_b32_e32 v0, 20, v82
	v_and_b32_e32 v2, 0x80000000, v2
	v_or3_b32 v103, v0, v2, v3
.LBB228_648:                            ;   in Loop: Header=BB228_10 Depth=1
	s_or_b32 exec_lo, exec_lo, s17
.LBB228_649:                            ;   in Loop: Header=BB228_10 Depth=1
	s_or_b32 exec_lo, exec_lo, s7
.LBB228_650:                            ;   in Loop: Header=BB228_10 Depth=1
	s_or_b32 exec_lo, exec_lo, s6
	flat_load_dword v2, v[50:51] offset:512
	v_mov_b32_e32 v52, 0
	v_mov_b32_e32 v112, 0
	;; [unrolled: 1-line block ×4, first 2 shown]
	s_waitcnt vmcnt(0) lgkmcnt(0)
	v_cmp_ne_u16_sdwa s5, v2, v83 src0_sel:BYTE_0 src1_sel:DWORD
	s_and_saveexec_b32 s6, s5
	s_cbranch_execz .LBB228_658
; %bb.651:                              ;   in Loop: Header=BB228_10 Depth=1
	v_bfrev_b32_e32 v112, 1
	v_mov_b32_e32 v113, 0
	v_cmp_ne_u16_sdwa s5, v2, v114 src0_sel:BYTE_0 src1_sel:DWORD
	s_and_saveexec_b32 s7, s5
	s_cbranch_execz .LBB228_657
; %bb.652:                              ;   in Loop: Header=BB228_10 Depth=1
	v_mov_b32_e32 v112, 0x7f800001
	v_and_b32_e32 v4, 0x7f, v2
	v_mov_b32_e32 v113, 0
	s_mov_b32 s17, exec_lo
	v_cmpx_ne_u32_e32 0x7f, v4
	s_cbranch_execz .LBB228_656
; %bb.653:                              ;   in Loop: Header=BB228_10 Depth=1
	v_and_b32_e32 v82, 7, v2
	v_lshrrev_b32_e32 v3, 3, v4
	s_mov_b32 s18, exec_lo
	v_cmpx_gt_u32_e32 8, v4
; %bb.654:                              ;   in Loop: Header=BB228_10 Depth=1
	v_ffbh_u32_e32 v3, v82
	v_min_u32_e32 v3, 32, v3
	v_subrev_nc_u32_e32 v4, 28, v3
	v_sub_nc_u32_e32 v3, 29, v3
	v_lshlrev_b64 v[4:5], v4, v[82:83]
	v_and_b32_e32 v82, 7, v4
; %bb.655:                              ;   in Loop: Header=BB228_10 Depth=1
	s_or_b32 exec_lo, exec_lo, s18
	v_lshlrev_b32_e32 v4, 24, v2
	v_lshlrev_b32_e32 v0, 20, v82
	v_lshl_add_u32 v3, v3, 23, 0x3c000000
	v_and_b32_e32 v4, 0x80000000, v4
	v_or3_b32 v82, v0, v4, v3
	v_mov_b32_e32 v113, v83
	v_mov_b32_e32 v112, v82
.LBB228_656:                            ;   in Loop: Header=BB228_10 Depth=1
	s_or_b32 exec_lo, exec_lo, s17
.LBB228_657:                            ;   in Loop: Header=BB228_10 Depth=1
	s_or_b32 exec_lo, exec_lo, s7
.LBB228_658:                            ;   in Loop: Header=BB228_10 Depth=1
	s_or_b32 exec_lo, exec_lo, s6
	v_cmp_ne_u16_sdwa s5, v2, v83 src0_sel:BYTE_1 src1_sel:DWORD
	s_and_saveexec_b32 s6, s5
	s_cbranch_execz .LBB228_666
; %bb.659:                              ;   in Loop: Header=BB228_10 Depth=1
	v_mov_b32_e32 v54, v83
	v_cmp_ne_u16_sdwa s5, v2, v114 src0_sel:BYTE_1 src1_sel:DWORD
	v_mov_b32_e32 v52, v54
	v_mov_b32_e32 v53, v55
	s_and_saveexec_b32 s7, s5
	s_cbranch_execz .LBB228_665
; %bb.660:                              ;   in Loop: Header=BB228_10 Depth=1
	v_mov_b32_e32 v0, 0xffff
	v_mov_b32_e32 v48, v83
	;; [unrolled: 1-line block ×3, first 2 shown]
	s_mov_b32 s17, exec_lo
	v_and_b32_sdwa v0, v0, v2 dst_sel:DWORD dst_unused:UNUSED_PAD src0_sel:DWORD src1_sel:BYTE_1
	v_mov_b32_e32 v52, v48
	v_and_b32_e32 v4, 0x7f, v0
	v_cmpx_ne_u32_e32 0x7f, v4
	s_cbranch_execz .LBB228_664
; %bb.661:                              ;   in Loop: Header=BB228_10 Depth=1
	v_and_b32_e32 v82, 7, v0
	v_lshrrev_b32_e32 v3, 3, v4
	s_mov_b32 s18, exec_lo
	v_cmpx_gt_u32_e32 8, v4
; %bb.662:                              ;   in Loop: Header=BB228_10 Depth=1
	v_ffbh_u32_e32 v3, v82
	v_min_u32_e32 v3, 32, v3
	v_subrev_nc_u32_e32 v4, 28, v3
	v_sub_nc_u32_e32 v3, 29, v3
	v_lshlrev_b64 v[4:5], v4, v[82:83]
	v_and_b32_e32 v82, 7, v4
; %bb.663:                              ;   in Loop: Header=BB228_10 Depth=1
	s_or_b32 exec_lo, exec_lo, s18
	v_lshlrev_b32_e32 v4, 16, v2
	v_lshlrev_b32_e32 v0, 20, v82
	v_lshl_add_u32 v3, v3, 23, 0x3c000000
	v_mov_b32_e32 v52, v83
	v_and_b32_e32 v4, 0x80000000, v4
	v_or3_b32 v53, v0, v4, v3
.LBB228_664:                            ;   in Loop: Header=BB228_10 Depth=1
	s_or_b32 exec_lo, exec_lo, s17
.LBB228_665:                            ;   in Loop: Header=BB228_10 Depth=1
	s_or_b32 exec_lo, exec_lo, s7
.LBB228_666:                            ;   in Loop: Header=BB228_10 Depth=1
	s_or_b32 exec_lo, exec_lo, s6
	v_mov_b32_e32 v0, 0xff
	v_mov_b32_e32 v118, 0
	;; [unrolled: 1-line block ×5, first 2 shown]
	v_and_b32_sdwa v0, v2, v0 dst_sel:DWORD dst_unused:UNUSED_PAD src0_sel:WORD_1 src1_sel:DWORD
	s_mov_b32 s6, exec_lo
	v_cmpx_ne_u16_e32 0, v0
	s_cbranch_execz .LBB228_674
; %bb.667:                              ;   in Loop: Header=BB228_10 Depth=1
	v_bfrev_b32_e32 v98, 1
	v_mov_b32_e32 v99, 0
	s_mov_b32 s7, exec_lo
	v_cmpx_ne_u16_e32 0x80, v0
	s_cbranch_execz .LBB228_673
; %bb.668:                              ;   in Loop: Header=BB228_10 Depth=1
	v_mov_b32_e32 v98, 0x7f800001
	v_bfe_u32 v4, v2, 16, 7
	v_mov_b32_e32 v99, 0
	s_mov_b32 s17, exec_lo
	v_cmpx_ne_u32_e32 0x7f, v4
	s_cbranch_execz .LBB228_672
; %bb.669:                              ;   in Loop: Header=BB228_10 Depth=1
	v_mov_b32_e32 v0, 7
	v_lshrrev_b32_e32 v3, 3, v4
	s_mov_b32 s18, exec_lo
	v_and_b32_sdwa v82, v2, v0 dst_sel:DWORD dst_unused:UNUSED_PAD src0_sel:WORD_1 src1_sel:DWORD
	v_cmpx_gt_u32_e32 8, v4
; %bb.670:                              ;   in Loop: Header=BB228_10 Depth=1
	v_ffbh_u32_e32 v3, v82
	v_min_u32_e32 v3, 32, v3
	v_subrev_nc_u32_e32 v4, 28, v3
	v_sub_nc_u32_e32 v3, 29, v3
	v_lshlrev_b64 v[4:5], v4, v[82:83]
	v_and_b32_e32 v82, 7, v4
; %bb.671:                              ;   in Loop: Header=BB228_10 Depth=1
	s_or_b32 exec_lo, exec_lo, s18
	v_mov_b32_e32 v0, 24
	v_lshl_add_u32 v3, v3, 23, 0x3c000000
	v_lshlrev_b32_sdwa v4, v0, v2 dst_sel:DWORD dst_unused:UNUSED_PAD src0_sel:DWORD src1_sel:WORD_1
	v_lshlrev_b32_e32 v0, 20, v82
	v_and_b32_e32 v4, 0x80000000, v4
	v_or3_b32 v82, v0, v4, v3
	v_mov_b32_e32 v99, v83
	v_mov_b32_e32 v98, v82
.LBB228_672:                            ;   in Loop: Header=BB228_10 Depth=1
	s_or_b32 exec_lo, exec_lo, s17
.LBB228_673:                            ;   in Loop: Header=BB228_10 Depth=1
	s_or_b32 exec_lo, exec_lo, s7
.LBB228_674:                            ;   in Loop: Header=BB228_10 Depth=1
	s_or_b32 exec_lo, exec_lo, s6
	s_mov_b32 s6, exec_lo
	v_cmpx_lt_u32_e32 0xffffff, v2
	s_cbranch_execz .LBB228_682
; %bb.675:                              ;   in Loop: Header=BB228_10 Depth=1
	v_mov_b32_e32 v54, v83
	v_mov_b32_e32 v119, v55
	v_cmp_ne_u32_sdwa s5, v2, v114 src0_sel:BYTE_3 src1_sel:DWORD
	v_mov_b32_e32 v118, v54
	s_and_saveexec_b32 s7, s5
	s_cbranch_execz .LBB228_681
; %bb.676:                              ;   in Loop: Header=BB228_10 Depth=1
	v_mov_b32_e32 v48, v83
	v_mov_b32_e32 v119, v49
	v_bfe_u32 v4, v2, 24, 7
	s_mov_b32 s17, exec_lo
	v_mov_b32_e32 v118, v48
	v_cmpx_ne_u32_e32 0x7f, v4
	s_cbranch_execz .LBB228_680
; %bb.677:                              ;   in Loop: Header=BB228_10 Depth=1
	v_mov_b32_e32 v0, 7
	v_lshrrev_b32_e32 v3, 3, v4
	s_mov_b32 s18, exec_lo
	v_and_b32_sdwa v82, v2, v0 dst_sel:DWORD dst_unused:UNUSED_PAD src0_sel:BYTE_3 src1_sel:DWORD
	v_cmpx_gt_u32_e32 8, v4
; %bb.678:                              ;   in Loop: Header=BB228_10 Depth=1
	v_ffbh_u32_e32 v3, v82
	v_min_u32_e32 v3, 32, v3
	v_subrev_nc_u32_e32 v4, 28, v3
	v_sub_nc_u32_e32 v3, 29, v3
	v_lshlrev_b64 v[4:5], v4, v[82:83]
	v_and_b32_e32 v82, 7, v4
; %bb.679:                              ;   in Loop: Header=BB228_10 Depth=1
	s_or_b32 exec_lo, exec_lo, s18
	v_mov_b32_e32 v0, 24
	v_lshl_add_u32 v3, v3, 23, 0x3c000000
	v_mov_b32_e32 v118, v83
	v_lshlrev_b32_sdwa v2, v0, v2 dst_sel:DWORD dst_unused:UNUSED_PAD src0_sel:DWORD src1_sel:BYTE_3
	v_lshlrev_b32_e32 v0, 20, v82
	v_and_b32_e32 v2, 0x80000000, v2
	v_or3_b32 v119, v0, v2, v3
.LBB228_680:                            ;   in Loop: Header=BB228_10 Depth=1
	s_or_b32 exec_lo, exec_lo, s17
.LBB228_681:                            ;   in Loop: Header=BB228_10 Depth=1
	s_or_b32 exec_lo, exec_lo, s7
.LBB228_682:                            ;   in Loop: Header=BB228_10 Depth=1
	s_or_b32 exec_lo, exec_lo, s6
	flat_load_dword v2, v[50:51] offset:516
	v_mov_b32_e32 v56, 0
	v_mov_b32_e32 v66, 0
	;; [unrolled: 1-line block ×4, first 2 shown]
	s_waitcnt vmcnt(0) lgkmcnt(0)
	v_cmp_ne_u16_sdwa s5, v2, v83 src0_sel:BYTE_0 src1_sel:DWORD
	s_and_saveexec_b32 s6, s5
	s_cbranch_execz .LBB228_690
; %bb.683:                              ;   in Loop: Header=BB228_10 Depth=1
	v_bfrev_b32_e32 v66, 1
	v_mov_b32_e32 v67, 0
	v_cmp_ne_u16_sdwa s5, v2, v114 src0_sel:BYTE_0 src1_sel:DWORD
	s_and_saveexec_b32 s7, s5
	s_cbranch_execz .LBB228_689
; %bb.684:                              ;   in Loop: Header=BB228_10 Depth=1
	v_mov_b32_e32 v66, 0x7f800001
	v_and_b32_e32 v4, 0x7f, v2
	v_mov_b32_e32 v67, 0
	s_mov_b32 s17, exec_lo
	v_cmpx_ne_u32_e32 0x7f, v4
	s_cbranch_execz .LBB228_688
; %bb.685:                              ;   in Loop: Header=BB228_10 Depth=1
	v_and_b32_e32 v82, 7, v2
	v_lshrrev_b32_e32 v3, 3, v4
	s_mov_b32 s18, exec_lo
	v_cmpx_gt_u32_e32 8, v4
; %bb.686:                              ;   in Loop: Header=BB228_10 Depth=1
	v_ffbh_u32_e32 v3, v82
	v_min_u32_e32 v3, 32, v3
	v_subrev_nc_u32_e32 v4, 28, v3
	v_sub_nc_u32_e32 v3, 29, v3
	v_lshlrev_b64 v[4:5], v4, v[82:83]
	v_and_b32_e32 v82, 7, v4
; %bb.687:                              ;   in Loop: Header=BB228_10 Depth=1
	s_or_b32 exec_lo, exec_lo, s18
	v_lshlrev_b32_e32 v4, 24, v2
	v_lshlrev_b32_e32 v0, 20, v82
	v_lshl_add_u32 v3, v3, 23, 0x3c000000
	v_and_b32_e32 v4, 0x80000000, v4
	v_or3_b32 v82, v0, v4, v3
	v_mov_b32_e32 v66, v82
	v_mov_b32_e32 v67, v83
.LBB228_688:                            ;   in Loop: Header=BB228_10 Depth=1
	s_or_b32 exec_lo, exec_lo, s17
.LBB228_689:                            ;   in Loop: Header=BB228_10 Depth=1
	s_or_b32 exec_lo, exec_lo, s7
.LBB228_690:                            ;   in Loop: Header=BB228_10 Depth=1
	s_or_b32 exec_lo, exec_lo, s6
	v_cmp_ne_u16_sdwa s5, v2, v83 src0_sel:BYTE_1 src1_sel:DWORD
	s_and_saveexec_b32 s6, s5
	s_cbranch_execz .LBB228_698
; %bb.691:                              ;   in Loop: Header=BB228_10 Depth=1
	v_mov_b32_e32 v54, v83
	v_mov_b32_e32 v57, v55
	v_cmp_ne_u16_sdwa s5, v2, v114 src0_sel:BYTE_1 src1_sel:DWORD
	v_mov_b32_e32 v56, v54
	s_and_saveexec_b32 s7, s5
	s_cbranch_execz .LBB228_697
; %bb.692:                              ;   in Loop: Header=BB228_10 Depth=1
	v_mov_b32_e32 v0, 0xffff
	v_mov_b32_e32 v48, v83
	;; [unrolled: 1-line block ×3, first 2 shown]
	s_mov_b32 s17, exec_lo
	v_and_b32_sdwa v0, v0, v2 dst_sel:DWORD dst_unused:UNUSED_PAD src0_sel:DWORD src1_sel:BYTE_1
	v_mov_b32_e32 v56, v48
	v_and_b32_e32 v4, 0x7f, v0
	v_cmpx_ne_u32_e32 0x7f, v4
	s_cbranch_execz .LBB228_696
; %bb.693:                              ;   in Loop: Header=BB228_10 Depth=1
	v_and_b32_e32 v82, 7, v0
	v_lshrrev_b32_e32 v3, 3, v4
	s_mov_b32 s18, exec_lo
	v_cmpx_gt_u32_e32 8, v4
; %bb.694:                              ;   in Loop: Header=BB228_10 Depth=1
	v_ffbh_u32_e32 v3, v82
	v_min_u32_e32 v3, 32, v3
	v_subrev_nc_u32_e32 v4, 28, v3
	v_sub_nc_u32_e32 v3, 29, v3
	v_lshlrev_b64 v[4:5], v4, v[82:83]
	v_and_b32_e32 v82, 7, v4
; %bb.695:                              ;   in Loop: Header=BB228_10 Depth=1
	s_or_b32 exec_lo, exec_lo, s18
	v_lshlrev_b32_e32 v4, 16, v2
	v_lshlrev_b32_e32 v0, 20, v82
	v_lshl_add_u32 v3, v3, 23, 0x3c000000
	v_mov_b32_e32 v56, v83
	v_and_b32_e32 v4, 0x80000000, v4
	v_or3_b32 v57, v0, v4, v3
.LBB228_696:                            ;   in Loop: Header=BB228_10 Depth=1
	s_or_b32 exec_lo, exec_lo, s17
.LBB228_697:                            ;   in Loop: Header=BB228_10 Depth=1
	s_or_b32 exec_lo, exec_lo, s7
.LBB228_698:                            ;   in Loop: Header=BB228_10 Depth=1
	s_or_b32 exec_lo, exec_lo, s6
	v_mov_b32_e32 v0, 0xff
	v_mov_b32_e32 v46, 0
	;; [unrolled: 1-line block ×5, first 2 shown]
	v_and_b32_sdwa v0, v2, v0 dst_sel:DWORD dst_unused:UNUSED_PAD src0_sel:WORD_1 src1_sel:DWORD
	s_mov_b32 s6, exec_lo
	v_cmpx_ne_u16_e32 0, v0
	s_cbranch_execz .LBB228_706
; %bb.699:                              ;   in Loop: Header=BB228_10 Depth=1
	v_bfrev_b32_e32 v100, 1
	v_mov_b32_e32 v101, 0
	s_mov_b32 s7, exec_lo
	v_cmpx_ne_u16_e32 0x80, v0
	s_cbranch_execz .LBB228_705
; %bb.700:                              ;   in Loop: Header=BB228_10 Depth=1
	v_mov_b32_e32 v100, 0x7f800001
	v_bfe_u32 v4, v2, 16, 7
	v_mov_b32_e32 v101, 0
	s_mov_b32 s17, exec_lo
	v_cmpx_ne_u32_e32 0x7f, v4
	s_cbranch_execz .LBB228_704
; %bb.701:                              ;   in Loop: Header=BB228_10 Depth=1
	v_mov_b32_e32 v0, 7
	v_lshrrev_b32_e32 v3, 3, v4
	s_mov_b32 s18, exec_lo
	v_and_b32_sdwa v82, v2, v0 dst_sel:DWORD dst_unused:UNUSED_PAD src0_sel:WORD_1 src1_sel:DWORD
	v_cmpx_gt_u32_e32 8, v4
; %bb.702:                              ;   in Loop: Header=BB228_10 Depth=1
	v_ffbh_u32_e32 v3, v82
	v_min_u32_e32 v3, 32, v3
	v_subrev_nc_u32_e32 v4, 28, v3
	v_sub_nc_u32_e32 v3, 29, v3
	v_lshlrev_b64 v[4:5], v4, v[82:83]
	v_and_b32_e32 v82, 7, v4
; %bb.703:                              ;   in Loop: Header=BB228_10 Depth=1
	s_or_b32 exec_lo, exec_lo, s18
	v_mov_b32_e32 v0, 24
	v_lshl_add_u32 v3, v3, 23, 0x3c000000
	v_lshlrev_b32_sdwa v4, v0, v2 dst_sel:DWORD dst_unused:UNUSED_PAD src0_sel:DWORD src1_sel:WORD_1
	v_lshlrev_b32_e32 v0, 20, v82
	v_and_b32_e32 v4, 0x80000000, v4
	v_or3_b32 v82, v0, v4, v3
	v_mov_b32_e32 v101, v83
	v_mov_b32_e32 v100, v82
.LBB228_704:                            ;   in Loop: Header=BB228_10 Depth=1
	s_or_b32 exec_lo, exec_lo, s17
.LBB228_705:                            ;   in Loop: Header=BB228_10 Depth=1
	s_or_b32 exec_lo, exec_lo, s7
.LBB228_706:                            ;   in Loop: Header=BB228_10 Depth=1
	s_or_b32 exec_lo, exec_lo, s6
	s_mov_b32 s6, exec_lo
	v_cmpx_lt_u32_e32 0xffffff, v2
	s_cbranch_execz .LBB228_714
; %bb.707:                              ;   in Loop: Header=BB228_10 Depth=1
	v_mov_b32_e32 v54, v83
	v_cmp_ne_u32_sdwa s5, v2, v114 src0_sel:BYTE_3 src1_sel:DWORD
	v_mov_b32_e32 v46, v54
	v_mov_b32_e32 v47, v55
	s_and_saveexec_b32 s7, s5
	s_cbranch_execz .LBB228_713
; %bb.708:                              ;   in Loop: Header=BB228_10 Depth=1
	v_mov_b32_e32 v48, v83
	v_bfe_u32 v4, v2, 24, 7
	s_mov_b32 s17, exec_lo
	v_mov_b32_e32 v46, v48
	v_mov_b32_e32 v47, v49
	v_cmpx_ne_u32_e32 0x7f, v4
	s_cbranch_execz .LBB228_712
; %bb.709:                              ;   in Loop: Header=BB228_10 Depth=1
	v_mov_b32_e32 v0, 7
	v_lshrrev_b32_e32 v3, 3, v4
	s_mov_b32 s18, exec_lo
	v_and_b32_sdwa v82, v2, v0 dst_sel:DWORD dst_unused:UNUSED_PAD src0_sel:BYTE_3 src1_sel:DWORD
	v_cmpx_gt_u32_e32 8, v4
; %bb.710:                              ;   in Loop: Header=BB228_10 Depth=1
	v_ffbh_u32_e32 v3, v82
	v_min_u32_e32 v3, 32, v3
	v_subrev_nc_u32_e32 v4, 28, v3
	v_sub_nc_u32_e32 v3, 29, v3
	v_lshlrev_b64 v[4:5], v4, v[82:83]
	v_and_b32_e32 v82, 7, v4
; %bb.711:                              ;   in Loop: Header=BB228_10 Depth=1
	s_or_b32 exec_lo, exec_lo, s18
	v_mov_b32_e32 v0, 24
	v_lshl_add_u32 v3, v3, 23, 0x3c000000
	v_mov_b32_e32 v46, v83
	v_lshlrev_b32_sdwa v2, v0, v2 dst_sel:DWORD dst_unused:UNUSED_PAD src0_sel:DWORD src1_sel:BYTE_3
	v_lshlrev_b32_e32 v0, 20, v82
	v_and_b32_e32 v2, 0x80000000, v2
	v_or3_b32 v47, v0, v2, v3
.LBB228_712:                            ;   in Loop: Header=BB228_10 Depth=1
	s_or_b32 exec_lo, exec_lo, s17
.LBB228_713:                            ;   in Loop: Header=BB228_10 Depth=1
	s_or_b32 exec_lo, exec_lo, s7
.LBB228_714:                            ;   in Loop: Header=BB228_10 Depth=1
	s_or_b32 exec_lo, exec_lo, s6
	flat_load_dword v2, v[50:51] offset:520
	v_mov_b32_e32 v42, 0
	v_mov_b32_e32 v58, 0
	;; [unrolled: 1-line block ×4, first 2 shown]
	s_waitcnt vmcnt(0) lgkmcnt(0)
	v_cmp_ne_u16_sdwa s5, v2, v83 src0_sel:BYTE_0 src1_sel:DWORD
	s_and_saveexec_b32 s6, s5
	s_cbranch_execz .LBB228_722
; %bb.715:                              ;   in Loop: Header=BB228_10 Depth=1
	v_bfrev_b32_e32 v58, 1
	v_mov_b32_e32 v59, 0
	v_cmp_ne_u16_sdwa s5, v2, v114 src0_sel:BYTE_0 src1_sel:DWORD
	s_and_saveexec_b32 s7, s5
	s_cbranch_execz .LBB228_721
; %bb.716:                              ;   in Loop: Header=BB228_10 Depth=1
	v_mov_b32_e32 v58, 0x7f800001
	v_and_b32_e32 v4, 0x7f, v2
	v_mov_b32_e32 v59, 0
	s_mov_b32 s17, exec_lo
	v_cmpx_ne_u32_e32 0x7f, v4
	s_cbranch_execz .LBB228_720
; %bb.717:                              ;   in Loop: Header=BB228_10 Depth=1
	v_and_b32_e32 v82, 7, v2
	v_lshrrev_b32_e32 v3, 3, v4
	s_mov_b32 s18, exec_lo
	v_cmpx_gt_u32_e32 8, v4
; %bb.718:                              ;   in Loop: Header=BB228_10 Depth=1
	v_ffbh_u32_e32 v3, v82
	v_min_u32_e32 v3, 32, v3
	v_subrev_nc_u32_e32 v4, 28, v3
	v_sub_nc_u32_e32 v3, 29, v3
	v_lshlrev_b64 v[4:5], v4, v[82:83]
	v_and_b32_e32 v82, 7, v4
; %bb.719:                              ;   in Loop: Header=BB228_10 Depth=1
	s_or_b32 exec_lo, exec_lo, s18
	v_lshlrev_b32_e32 v4, 24, v2
	v_lshlrev_b32_e32 v0, 20, v82
	v_lshl_add_u32 v3, v3, 23, 0x3c000000
	v_and_b32_e32 v4, 0x80000000, v4
	v_or3_b32 v82, v0, v4, v3
	v_mov_b32_e32 v58, v82
	v_mov_b32_e32 v59, v83
.LBB228_720:                            ;   in Loop: Header=BB228_10 Depth=1
	s_or_b32 exec_lo, exec_lo, s17
.LBB228_721:                            ;   in Loop: Header=BB228_10 Depth=1
	s_or_b32 exec_lo, exec_lo, s7
.LBB228_722:                            ;   in Loop: Header=BB228_10 Depth=1
	s_or_b32 exec_lo, exec_lo, s6
	v_cmp_ne_u16_sdwa s5, v2, v83 src0_sel:BYTE_1 src1_sel:DWORD
	s_and_saveexec_b32 s6, s5
	s_cbranch_execz .LBB228_730
; %bb.723:                              ;   in Loop: Header=BB228_10 Depth=1
	v_mov_b32_e32 v54, v83
	v_cmp_ne_u16_sdwa s5, v2, v114 src0_sel:BYTE_1 src1_sel:DWORD
	v_mov_b32_e32 v42, v54
	v_mov_b32_e32 v43, v55
	s_and_saveexec_b32 s7, s5
	s_cbranch_execz .LBB228_729
; %bb.724:                              ;   in Loop: Header=BB228_10 Depth=1
	v_mov_b32_e32 v0, 0xffff
	v_mov_b32_e32 v48, v83
	s_mov_b32 s17, exec_lo
	v_and_b32_sdwa v0, v0, v2 dst_sel:DWORD dst_unused:UNUSED_PAD src0_sel:DWORD src1_sel:BYTE_1
	v_mov_b32_e32 v42, v48
	v_mov_b32_e32 v43, v49
	v_and_b32_e32 v4, 0x7f, v0
	v_cmpx_ne_u32_e32 0x7f, v4
	s_cbranch_execz .LBB228_728
; %bb.725:                              ;   in Loop: Header=BB228_10 Depth=1
	v_and_b32_e32 v82, 7, v0
	v_lshrrev_b32_e32 v3, 3, v4
	s_mov_b32 s18, exec_lo
	v_cmpx_gt_u32_e32 8, v4
; %bb.726:                              ;   in Loop: Header=BB228_10 Depth=1
	v_ffbh_u32_e32 v3, v82
	v_min_u32_e32 v3, 32, v3
	v_subrev_nc_u32_e32 v4, 28, v3
	v_sub_nc_u32_e32 v3, 29, v3
	v_lshlrev_b64 v[4:5], v4, v[82:83]
	v_and_b32_e32 v82, 7, v4
; %bb.727:                              ;   in Loop: Header=BB228_10 Depth=1
	s_or_b32 exec_lo, exec_lo, s18
	v_lshlrev_b32_e32 v4, 16, v2
	v_lshlrev_b32_e32 v0, 20, v82
	v_lshl_add_u32 v3, v3, 23, 0x3c000000
	v_mov_b32_e32 v42, v83
	v_and_b32_e32 v4, 0x80000000, v4
	v_or3_b32 v43, v0, v4, v3
.LBB228_728:                            ;   in Loop: Header=BB228_10 Depth=1
	s_or_b32 exec_lo, exec_lo, s17
.LBB228_729:                            ;   in Loop: Header=BB228_10 Depth=1
	s_or_b32 exec_lo, exec_lo, s7
.LBB228_730:                            ;   in Loop: Header=BB228_10 Depth=1
	s_or_b32 exec_lo, exec_lo, s6
	v_mov_b32_e32 v0, 0xff
	v_mov_b32_e32 v62, 0
	;; [unrolled: 1-line block ×5, first 2 shown]
	v_and_b32_sdwa v0, v2, v0 dst_sel:DWORD dst_unused:UNUSED_PAD src0_sel:WORD_1 src1_sel:DWORD
	s_mov_b32 s6, exec_lo
	v_cmpx_ne_u16_e32 0, v0
	s_cbranch_execz .LBB228_738
; %bb.731:                              ;   in Loop: Header=BB228_10 Depth=1
	v_bfrev_b32_e32 v116, 1
	v_mov_b32_e32 v117, 0
	s_mov_b32 s7, exec_lo
	v_cmpx_ne_u16_e32 0x80, v0
	s_cbranch_execz .LBB228_737
; %bb.732:                              ;   in Loop: Header=BB228_10 Depth=1
	v_mov_b32_e32 v116, 0x7f800001
	v_bfe_u32 v4, v2, 16, 7
	v_mov_b32_e32 v117, 0
	s_mov_b32 s17, exec_lo
	v_cmpx_ne_u32_e32 0x7f, v4
	s_cbranch_execz .LBB228_736
; %bb.733:                              ;   in Loop: Header=BB228_10 Depth=1
	v_mov_b32_e32 v0, 7
	v_lshrrev_b32_e32 v3, 3, v4
	s_mov_b32 s18, exec_lo
	v_and_b32_sdwa v82, v2, v0 dst_sel:DWORD dst_unused:UNUSED_PAD src0_sel:WORD_1 src1_sel:DWORD
	v_cmpx_gt_u32_e32 8, v4
; %bb.734:                              ;   in Loop: Header=BB228_10 Depth=1
	v_ffbh_u32_e32 v3, v82
	v_min_u32_e32 v3, 32, v3
	v_subrev_nc_u32_e32 v4, 28, v3
	v_sub_nc_u32_e32 v3, 29, v3
	v_lshlrev_b64 v[4:5], v4, v[82:83]
	v_and_b32_e32 v82, 7, v4
; %bb.735:                              ;   in Loop: Header=BB228_10 Depth=1
	s_or_b32 exec_lo, exec_lo, s18
	v_mov_b32_e32 v0, 24
	v_lshl_add_u32 v3, v3, 23, 0x3c000000
	v_lshlrev_b32_sdwa v4, v0, v2 dst_sel:DWORD dst_unused:UNUSED_PAD src0_sel:DWORD src1_sel:WORD_1
	v_lshlrev_b32_e32 v0, 20, v82
	v_and_b32_e32 v4, 0x80000000, v4
	v_or3_b32 v82, v0, v4, v3
	v_mov_b32_e32 v117, v83
	v_mov_b32_e32 v116, v82
.LBB228_736:                            ;   in Loop: Header=BB228_10 Depth=1
	s_or_b32 exec_lo, exec_lo, s17
.LBB228_737:                            ;   in Loop: Header=BB228_10 Depth=1
	s_or_b32 exec_lo, exec_lo, s7
.LBB228_738:                            ;   in Loop: Header=BB228_10 Depth=1
	s_or_b32 exec_lo, exec_lo, s6
	s_mov_b32 s6, exec_lo
	v_cmpx_lt_u32_e32 0xffffff, v2
	s_cbranch_execz .LBB228_746
; %bb.739:                              ;   in Loop: Header=BB228_10 Depth=1
	v_mov_b32_e32 v54, v83
	v_mov_b32_e32 v63, v55
	v_cmp_ne_u32_sdwa s5, v2, v114 src0_sel:BYTE_3 src1_sel:DWORD
	v_mov_b32_e32 v62, v54
	s_and_saveexec_b32 s7, s5
	s_cbranch_execz .LBB228_745
; %bb.740:                              ;   in Loop: Header=BB228_10 Depth=1
	v_mov_b32_e32 v48, v83
	v_mov_b32_e32 v63, v49
	v_bfe_u32 v4, v2, 24, 7
	s_mov_b32 s17, exec_lo
	v_mov_b32_e32 v62, v48
	v_cmpx_ne_u32_e32 0x7f, v4
	s_cbranch_execz .LBB228_744
; %bb.741:                              ;   in Loop: Header=BB228_10 Depth=1
	v_mov_b32_e32 v0, 7
	v_lshrrev_b32_e32 v3, 3, v4
	s_mov_b32 s18, exec_lo
	v_and_b32_sdwa v82, v2, v0 dst_sel:DWORD dst_unused:UNUSED_PAD src0_sel:BYTE_3 src1_sel:DWORD
	v_cmpx_gt_u32_e32 8, v4
; %bb.742:                              ;   in Loop: Header=BB228_10 Depth=1
	v_ffbh_u32_e32 v3, v82
	v_min_u32_e32 v3, 32, v3
	v_subrev_nc_u32_e32 v4, 28, v3
	v_sub_nc_u32_e32 v3, 29, v3
	v_lshlrev_b64 v[4:5], v4, v[82:83]
	v_and_b32_e32 v82, 7, v4
; %bb.743:                              ;   in Loop: Header=BB228_10 Depth=1
	s_or_b32 exec_lo, exec_lo, s18
	v_mov_b32_e32 v0, 24
	v_lshl_add_u32 v3, v3, 23, 0x3c000000
	v_mov_b32_e32 v62, v83
	v_lshlrev_b32_sdwa v2, v0, v2 dst_sel:DWORD dst_unused:UNUSED_PAD src0_sel:DWORD src1_sel:BYTE_3
	v_lshlrev_b32_e32 v0, 20, v82
	v_and_b32_e32 v2, 0x80000000, v2
	v_or3_b32 v63, v0, v2, v3
.LBB228_744:                            ;   in Loop: Header=BB228_10 Depth=1
	s_or_b32 exec_lo, exec_lo, s17
.LBB228_745:                            ;   in Loop: Header=BB228_10 Depth=1
	s_or_b32 exec_lo, exec_lo, s7
.LBB228_746:                            ;   in Loop: Header=BB228_10 Depth=1
	s_or_b32 exec_lo, exec_lo, s6
	flat_load_dword v2, v[50:51] offset:524
	v_mov_b32_e32 v72, 0
	v_mov_b32_e32 v10, 0
	;; [unrolled: 1-line block ×4, first 2 shown]
	s_waitcnt vmcnt(0) lgkmcnt(0)
	v_cmp_ne_u16_sdwa s5, v2, v83 src0_sel:BYTE_0 src1_sel:DWORD
	s_and_saveexec_b32 s6, s5
	s_cbranch_execz .LBB228_754
; %bb.747:                              ;   in Loop: Header=BB228_10 Depth=1
	v_bfrev_b32_e32 v10, 1
	v_mov_b32_e32 v11, 0
	v_cmp_ne_u16_sdwa s5, v2, v114 src0_sel:BYTE_0 src1_sel:DWORD
	s_and_saveexec_b32 s7, s5
	s_cbranch_execz .LBB228_753
; %bb.748:                              ;   in Loop: Header=BB228_10 Depth=1
	v_mov_b32_e32 v10, 0x7f800001
	v_and_b32_e32 v4, 0x7f, v2
	v_mov_b32_e32 v11, 0
	s_mov_b32 s17, exec_lo
	v_cmpx_ne_u32_e32 0x7f, v4
	s_cbranch_execz .LBB228_752
; %bb.749:                              ;   in Loop: Header=BB228_10 Depth=1
	v_and_b32_e32 v82, 7, v2
	v_lshrrev_b32_e32 v3, 3, v4
	s_mov_b32 s18, exec_lo
	v_cmpx_gt_u32_e32 8, v4
; %bb.750:                              ;   in Loop: Header=BB228_10 Depth=1
	v_ffbh_u32_e32 v3, v82
	v_min_u32_e32 v3, 32, v3
	v_subrev_nc_u32_e32 v4, 28, v3
	v_sub_nc_u32_e32 v3, 29, v3
	v_lshlrev_b64 v[4:5], v4, v[82:83]
	v_and_b32_e32 v82, 7, v4
; %bb.751:                              ;   in Loop: Header=BB228_10 Depth=1
	s_or_b32 exec_lo, exec_lo, s18
	v_lshlrev_b32_e32 v4, 24, v2
	v_lshlrev_b32_e32 v0, 20, v82
	v_lshl_add_u32 v3, v3, 23, 0x3c000000
	v_and_b32_e32 v4, 0x80000000, v4
	v_or3_b32 v82, v0, v4, v3
	v_mov_b32_e32 v10, v82
	v_mov_b32_e32 v11, v83
.LBB228_752:                            ;   in Loop: Header=BB228_10 Depth=1
	s_or_b32 exec_lo, exec_lo, s17
.LBB228_753:                            ;   in Loop: Header=BB228_10 Depth=1
	s_or_b32 exec_lo, exec_lo, s7
.LBB228_754:                            ;   in Loop: Header=BB228_10 Depth=1
	s_or_b32 exec_lo, exec_lo, s6
	v_cmp_ne_u16_sdwa s5, v2, v83 src0_sel:BYTE_1 src1_sel:DWORD
	s_and_saveexec_b32 s6, s5
	s_cbranch_execz .LBB228_762
; %bb.755:                              ;   in Loop: Header=BB228_10 Depth=1
	v_mov_b32_e32 v54, v83
	v_mov_b32_e32 v73, v55
	v_cmp_ne_u16_sdwa s5, v2, v114 src0_sel:BYTE_1 src1_sel:DWORD
	v_mov_b32_e32 v72, v54
	s_and_saveexec_b32 s7, s5
	s_cbranch_execz .LBB228_761
; %bb.756:                              ;   in Loop: Header=BB228_10 Depth=1
	v_mov_b32_e32 v0, 0xffff
	v_mov_b32_e32 v48, v83
	;; [unrolled: 1-line block ×3, first 2 shown]
	s_mov_b32 s17, exec_lo
	v_and_b32_sdwa v0, v0, v2 dst_sel:DWORD dst_unused:UNUSED_PAD src0_sel:DWORD src1_sel:BYTE_1
	v_mov_b32_e32 v72, v48
	v_and_b32_e32 v4, 0x7f, v0
	v_cmpx_ne_u32_e32 0x7f, v4
	s_cbranch_execz .LBB228_760
; %bb.757:                              ;   in Loop: Header=BB228_10 Depth=1
	v_and_b32_e32 v82, 7, v0
	v_lshrrev_b32_e32 v3, 3, v4
	s_mov_b32 s18, exec_lo
	v_cmpx_gt_u32_e32 8, v4
; %bb.758:                              ;   in Loop: Header=BB228_10 Depth=1
	v_ffbh_u32_e32 v3, v82
	v_min_u32_e32 v3, 32, v3
	v_subrev_nc_u32_e32 v4, 28, v3
	v_sub_nc_u32_e32 v3, 29, v3
	v_lshlrev_b64 v[4:5], v4, v[82:83]
	v_and_b32_e32 v82, 7, v4
; %bb.759:                              ;   in Loop: Header=BB228_10 Depth=1
	s_or_b32 exec_lo, exec_lo, s18
	v_lshlrev_b32_e32 v4, 16, v2
	v_lshlrev_b32_e32 v0, 20, v82
	v_lshl_add_u32 v3, v3, 23, 0x3c000000
	v_mov_b32_e32 v72, v83
	v_and_b32_e32 v4, 0x80000000, v4
	v_or3_b32 v73, v0, v4, v3
.LBB228_760:                            ;   in Loop: Header=BB228_10 Depth=1
	s_or_b32 exec_lo, exec_lo, s17
.LBB228_761:                            ;   in Loop: Header=BB228_10 Depth=1
	s_or_b32 exec_lo, exec_lo, s7
.LBB228_762:                            ;   in Loop: Header=BB228_10 Depth=1
	s_or_b32 exec_lo, exec_lo, s6
	v_mov_b32_e32 v0, 0xff
	v_mov_b32_e32 v78, 0
	;; [unrolled: 1-line block ×5, first 2 shown]
	v_and_b32_sdwa v0, v2, v0 dst_sel:DWORD dst_unused:UNUSED_PAD src0_sel:WORD_1 src1_sel:DWORD
	s_mov_b32 s6, exec_lo
	v_cmpx_ne_u16_e32 0, v0
	s_cbranch_execz .LBB228_770
; %bb.763:                              ;   in Loop: Header=BB228_10 Depth=1
	v_bfrev_b32_e32 v44, 1
	v_mov_b32_e32 v45, 0
	s_mov_b32 s7, exec_lo
	v_cmpx_ne_u16_e32 0x80, v0
	s_cbranch_execz .LBB228_769
; %bb.764:                              ;   in Loop: Header=BB228_10 Depth=1
	v_mov_b32_e32 v44, 0x7f800001
	v_bfe_u32 v4, v2, 16, 7
	v_mov_b32_e32 v45, 0
	s_mov_b32 s17, exec_lo
	v_cmpx_ne_u32_e32 0x7f, v4
	s_cbranch_execz .LBB228_768
; %bb.765:                              ;   in Loop: Header=BB228_10 Depth=1
	v_mov_b32_e32 v0, 7
	v_lshrrev_b32_e32 v3, 3, v4
	s_mov_b32 s18, exec_lo
	v_and_b32_sdwa v82, v2, v0 dst_sel:DWORD dst_unused:UNUSED_PAD src0_sel:WORD_1 src1_sel:DWORD
	v_cmpx_gt_u32_e32 8, v4
; %bb.766:                              ;   in Loop: Header=BB228_10 Depth=1
	v_ffbh_u32_e32 v3, v82
	v_min_u32_e32 v3, 32, v3
	v_subrev_nc_u32_e32 v4, 28, v3
	v_sub_nc_u32_e32 v3, 29, v3
	v_lshlrev_b64 v[4:5], v4, v[82:83]
	v_and_b32_e32 v82, 7, v4
; %bb.767:                              ;   in Loop: Header=BB228_10 Depth=1
	s_or_b32 exec_lo, exec_lo, s18
	v_mov_b32_e32 v0, 24
	v_lshl_add_u32 v3, v3, 23, 0x3c000000
	v_lshlrev_b32_sdwa v4, v0, v2 dst_sel:DWORD dst_unused:UNUSED_PAD src0_sel:DWORD src1_sel:WORD_1
	v_lshlrev_b32_e32 v0, 20, v82
	v_and_b32_e32 v4, 0x80000000, v4
	v_or3_b32 v82, v0, v4, v3
	v_mov_b32_e32 v44, v82
	v_mov_b32_e32 v45, v83
.LBB228_768:                            ;   in Loop: Header=BB228_10 Depth=1
	s_or_b32 exec_lo, exec_lo, s17
.LBB228_769:                            ;   in Loop: Header=BB228_10 Depth=1
	s_or_b32 exec_lo, exec_lo, s7
.LBB228_770:                            ;   in Loop: Header=BB228_10 Depth=1
	s_or_b32 exec_lo, exec_lo, s6
	s_mov_b32 s6, exec_lo
	v_cmpx_lt_u32_e32 0xffffff, v2
	s_cbranch_execz .LBB228_778
; %bb.771:                              ;   in Loop: Header=BB228_10 Depth=1
	v_mov_b32_e32 v54, v83
	v_mov_b32_e32 v79, v55
	v_cmp_ne_u32_sdwa s5, v2, v114 src0_sel:BYTE_3 src1_sel:DWORD
	v_mov_b32_e32 v78, v54
	s_and_saveexec_b32 s7, s5
	s_cbranch_execz .LBB228_777
; %bb.772:                              ;   in Loop: Header=BB228_10 Depth=1
	v_mov_b32_e32 v48, v83
	v_mov_b32_e32 v79, v49
	v_bfe_u32 v4, v2, 24, 7
	s_mov_b32 s17, exec_lo
	v_mov_b32_e32 v78, v48
	v_cmpx_ne_u32_e32 0x7f, v4
	s_cbranch_execz .LBB228_776
; %bb.773:                              ;   in Loop: Header=BB228_10 Depth=1
	v_mov_b32_e32 v0, 7
	v_lshrrev_b32_e32 v3, 3, v4
	s_mov_b32 s18, exec_lo
	v_and_b32_sdwa v82, v2, v0 dst_sel:DWORD dst_unused:UNUSED_PAD src0_sel:BYTE_3 src1_sel:DWORD
	v_cmpx_gt_u32_e32 8, v4
; %bb.774:                              ;   in Loop: Header=BB228_10 Depth=1
	v_ffbh_u32_e32 v3, v82
	v_min_u32_e32 v3, 32, v3
	v_subrev_nc_u32_e32 v4, 28, v3
	v_sub_nc_u32_e32 v3, 29, v3
	v_lshlrev_b64 v[4:5], v4, v[82:83]
	v_and_b32_e32 v82, 7, v4
; %bb.775:                              ;   in Loop: Header=BB228_10 Depth=1
	s_or_b32 exec_lo, exec_lo, s18
	v_mov_b32_e32 v0, 24
	v_lshl_add_u32 v3, v3, 23, 0x3c000000
	v_mov_b32_e32 v78, v83
	v_lshlrev_b32_sdwa v2, v0, v2 dst_sel:DWORD dst_unused:UNUSED_PAD src0_sel:DWORD src1_sel:BYTE_3
	v_lshlrev_b32_e32 v0, 20, v82
	v_and_b32_e32 v2, 0x80000000, v2
	v_or3_b32 v79, v0, v2, v3
.LBB228_776:                            ;   in Loop: Header=BB228_10 Depth=1
	s_or_b32 exec_lo, exec_lo, s17
.LBB228_777:                            ;   in Loop: Header=BB228_10 Depth=1
	s_or_b32 exec_lo, exec_lo, s7
.LBB228_778:                            ;   in Loop: Header=BB228_10 Depth=1
	s_or_b32 exec_lo, exec_lo, s6
	flat_load_dword v2, v[50:51] offset:1024
	v_mov_b32_e32 v88, 0
	v_mov_b32_e32 v60, 0
	;; [unrolled: 1-line block ×4, first 2 shown]
	s_waitcnt vmcnt(0) lgkmcnt(0)
	v_cmp_ne_u16_sdwa s5, v2, v83 src0_sel:BYTE_0 src1_sel:DWORD
	s_and_saveexec_b32 s6, s5
	s_cbranch_execz .LBB228_786
; %bb.779:                              ;   in Loop: Header=BB228_10 Depth=1
	v_bfrev_b32_e32 v60, 1
	v_mov_b32_e32 v61, 0
	v_cmp_ne_u16_sdwa s5, v2, v114 src0_sel:BYTE_0 src1_sel:DWORD
	s_and_saveexec_b32 s7, s5
	s_cbranch_execz .LBB228_785
; %bb.780:                              ;   in Loop: Header=BB228_10 Depth=1
	v_mov_b32_e32 v60, 0x7f800001
	v_and_b32_e32 v4, 0x7f, v2
	v_mov_b32_e32 v61, 0
	s_mov_b32 s17, exec_lo
	v_cmpx_ne_u32_e32 0x7f, v4
	s_cbranch_execz .LBB228_784
; %bb.781:                              ;   in Loop: Header=BB228_10 Depth=1
	v_and_b32_e32 v82, 7, v2
	v_lshrrev_b32_e32 v3, 3, v4
	s_mov_b32 s18, exec_lo
	v_cmpx_gt_u32_e32 8, v4
; %bb.782:                              ;   in Loop: Header=BB228_10 Depth=1
	v_ffbh_u32_e32 v3, v82
	v_min_u32_e32 v3, 32, v3
	v_subrev_nc_u32_e32 v4, 28, v3
	v_sub_nc_u32_e32 v3, 29, v3
	v_lshlrev_b64 v[4:5], v4, v[82:83]
	v_and_b32_e32 v82, 7, v4
; %bb.783:                              ;   in Loop: Header=BB228_10 Depth=1
	s_or_b32 exec_lo, exec_lo, s18
	v_lshlrev_b32_e32 v4, 24, v2
	v_lshlrev_b32_e32 v0, 20, v82
	v_lshl_add_u32 v3, v3, 23, 0x3c000000
	v_and_b32_e32 v4, 0x80000000, v4
	v_or3_b32 v82, v0, v4, v3
	v_mov_b32_e32 v60, v82
	v_mov_b32_e32 v61, v83
.LBB228_784:                            ;   in Loop: Header=BB228_10 Depth=1
	s_or_b32 exec_lo, exec_lo, s17
.LBB228_785:                            ;   in Loop: Header=BB228_10 Depth=1
	s_or_b32 exec_lo, exec_lo, s7
.LBB228_786:                            ;   in Loop: Header=BB228_10 Depth=1
	s_or_b32 exec_lo, exec_lo, s6
	v_cmp_ne_u16_sdwa s5, v2, v83 src0_sel:BYTE_1 src1_sel:DWORD
	s_and_saveexec_b32 s6, s5
	s_cbranch_execz .LBB228_794
; %bb.787:                              ;   in Loop: Header=BB228_10 Depth=1
	v_mov_b32_e32 v54, v83
	v_mov_b32_e32 v89, v55
	v_cmp_ne_u16_sdwa s5, v2, v114 src0_sel:BYTE_1 src1_sel:DWORD
	v_mov_b32_e32 v88, v54
	s_and_saveexec_b32 s7, s5
	s_cbranch_execz .LBB228_793
; %bb.788:                              ;   in Loop: Header=BB228_10 Depth=1
	v_mov_b32_e32 v0, 0xffff
	v_mov_b32_e32 v48, v83
	v_mov_b32_e32 v89, v49
	s_mov_b32 s17, exec_lo
	v_and_b32_sdwa v0, v0, v2 dst_sel:DWORD dst_unused:UNUSED_PAD src0_sel:DWORD src1_sel:BYTE_1
	v_mov_b32_e32 v88, v48
	v_and_b32_e32 v4, 0x7f, v0
	v_cmpx_ne_u32_e32 0x7f, v4
	s_cbranch_execz .LBB228_792
; %bb.789:                              ;   in Loop: Header=BB228_10 Depth=1
	v_and_b32_e32 v82, 7, v0
	v_lshrrev_b32_e32 v3, 3, v4
	s_mov_b32 s18, exec_lo
	v_cmpx_gt_u32_e32 8, v4
; %bb.790:                              ;   in Loop: Header=BB228_10 Depth=1
	v_ffbh_u32_e32 v3, v82
	v_min_u32_e32 v3, 32, v3
	v_subrev_nc_u32_e32 v4, 28, v3
	v_sub_nc_u32_e32 v3, 29, v3
	v_lshlrev_b64 v[4:5], v4, v[82:83]
	v_and_b32_e32 v82, 7, v4
; %bb.791:                              ;   in Loop: Header=BB228_10 Depth=1
	s_or_b32 exec_lo, exec_lo, s18
	v_lshlrev_b32_e32 v4, 16, v2
	v_lshlrev_b32_e32 v0, 20, v82
	v_lshl_add_u32 v3, v3, 23, 0x3c000000
	v_mov_b32_e32 v88, v83
	v_and_b32_e32 v4, 0x80000000, v4
	v_or3_b32 v89, v0, v4, v3
.LBB228_792:                            ;   in Loop: Header=BB228_10 Depth=1
	s_or_b32 exec_lo, exec_lo, s17
.LBB228_793:                            ;   in Loop: Header=BB228_10 Depth=1
	s_or_b32 exec_lo, exec_lo, s7
.LBB228_794:                            ;   in Loop: Header=BB228_10 Depth=1
	s_or_b32 exec_lo, exec_lo, s6
	v_mov_b32_e32 v0, 0xff
	v_mov_b32_e32 v74, 0
	;; [unrolled: 1-line block ×5, first 2 shown]
	v_and_b32_sdwa v0, v2, v0 dst_sel:DWORD dst_unused:UNUSED_PAD src0_sel:WORD_1 src1_sel:DWORD
	s_mov_b32 s6, exec_lo
	v_cmpx_ne_u16_e32 0, v0
	s_cbranch_execz .LBB228_802
; %bb.795:                              ;   in Loop: Header=BB228_10 Depth=1
	v_bfrev_b32_e32 v94, 1
	v_mov_b32_e32 v95, 0
	s_mov_b32 s7, exec_lo
	v_cmpx_ne_u16_e32 0x80, v0
	s_cbranch_execz .LBB228_801
; %bb.796:                              ;   in Loop: Header=BB228_10 Depth=1
	v_mov_b32_e32 v94, 0x7f800001
	v_bfe_u32 v4, v2, 16, 7
	v_mov_b32_e32 v95, 0
	s_mov_b32 s17, exec_lo
	v_cmpx_ne_u32_e32 0x7f, v4
	s_cbranch_execz .LBB228_800
; %bb.797:                              ;   in Loop: Header=BB228_10 Depth=1
	v_mov_b32_e32 v0, 7
	v_lshrrev_b32_e32 v3, 3, v4
	s_mov_b32 s18, exec_lo
	v_and_b32_sdwa v82, v2, v0 dst_sel:DWORD dst_unused:UNUSED_PAD src0_sel:WORD_1 src1_sel:DWORD
	v_cmpx_gt_u32_e32 8, v4
; %bb.798:                              ;   in Loop: Header=BB228_10 Depth=1
	v_ffbh_u32_e32 v3, v82
	v_min_u32_e32 v3, 32, v3
	v_subrev_nc_u32_e32 v4, 28, v3
	v_sub_nc_u32_e32 v3, 29, v3
	v_lshlrev_b64 v[4:5], v4, v[82:83]
	v_and_b32_e32 v82, 7, v4
; %bb.799:                              ;   in Loop: Header=BB228_10 Depth=1
	s_or_b32 exec_lo, exec_lo, s18
	v_mov_b32_e32 v0, 24
	v_lshl_add_u32 v3, v3, 23, 0x3c000000
	v_lshlrev_b32_sdwa v4, v0, v2 dst_sel:DWORD dst_unused:UNUSED_PAD src0_sel:DWORD src1_sel:WORD_1
	v_lshlrev_b32_e32 v0, 20, v82
	v_and_b32_e32 v4, 0x80000000, v4
	v_or3_b32 v82, v0, v4, v3
	v_mov_b32_e32 v95, v83
	v_mov_b32_e32 v94, v82
.LBB228_800:                            ;   in Loop: Header=BB228_10 Depth=1
	s_or_b32 exec_lo, exec_lo, s17
.LBB228_801:                            ;   in Loop: Header=BB228_10 Depth=1
	s_or_b32 exec_lo, exec_lo, s7
.LBB228_802:                            ;   in Loop: Header=BB228_10 Depth=1
	s_or_b32 exec_lo, exec_lo, s6
	s_mov_b32 s6, exec_lo
	v_cmpx_lt_u32_e32 0xffffff, v2
	s_cbranch_execz .LBB228_810
; %bb.803:                              ;   in Loop: Header=BB228_10 Depth=1
	v_mov_b32_e32 v54, v83
	v_mov_b32_e32 v75, v55
	v_cmp_ne_u32_sdwa s5, v2, v114 src0_sel:BYTE_3 src1_sel:DWORD
	v_mov_b32_e32 v74, v54
	s_and_saveexec_b32 s7, s5
	s_cbranch_execz .LBB228_809
; %bb.804:                              ;   in Loop: Header=BB228_10 Depth=1
	v_mov_b32_e32 v48, v83
	v_mov_b32_e32 v75, v49
	v_bfe_u32 v4, v2, 24, 7
	s_mov_b32 s17, exec_lo
	v_mov_b32_e32 v74, v48
	v_cmpx_ne_u32_e32 0x7f, v4
	s_cbranch_execz .LBB228_808
; %bb.805:                              ;   in Loop: Header=BB228_10 Depth=1
	v_mov_b32_e32 v0, 7
	v_lshrrev_b32_e32 v3, 3, v4
	s_mov_b32 s18, exec_lo
	v_and_b32_sdwa v82, v2, v0 dst_sel:DWORD dst_unused:UNUSED_PAD src0_sel:BYTE_3 src1_sel:DWORD
	v_cmpx_gt_u32_e32 8, v4
; %bb.806:                              ;   in Loop: Header=BB228_10 Depth=1
	v_ffbh_u32_e32 v3, v82
	v_min_u32_e32 v3, 32, v3
	v_subrev_nc_u32_e32 v4, 28, v3
	v_sub_nc_u32_e32 v3, 29, v3
	v_lshlrev_b64 v[4:5], v4, v[82:83]
	v_and_b32_e32 v82, 7, v4
; %bb.807:                              ;   in Loop: Header=BB228_10 Depth=1
	s_or_b32 exec_lo, exec_lo, s18
	v_mov_b32_e32 v0, 24
	v_lshl_add_u32 v3, v3, 23, 0x3c000000
	v_mov_b32_e32 v74, v83
	v_lshlrev_b32_sdwa v2, v0, v2 dst_sel:DWORD dst_unused:UNUSED_PAD src0_sel:DWORD src1_sel:BYTE_3
	v_lshlrev_b32_e32 v0, 20, v82
	v_and_b32_e32 v2, 0x80000000, v2
	v_or3_b32 v75, v0, v2, v3
.LBB228_808:                            ;   in Loop: Header=BB228_10 Depth=1
	s_or_b32 exec_lo, exec_lo, s17
.LBB228_809:                            ;   in Loop: Header=BB228_10 Depth=1
	s_or_b32 exec_lo, exec_lo, s7
.LBB228_810:                            ;   in Loop: Header=BB228_10 Depth=1
	s_or_b32 exec_lo, exec_lo, s6
	flat_load_dword v2, v[50:51] offset:1028
	v_mov_b32_e32 v104, 0
	v_mov_b32_e32 v76, 0
	;; [unrolled: 1-line block ×4, first 2 shown]
	s_waitcnt vmcnt(0) lgkmcnt(0)
	v_cmp_ne_u16_sdwa s5, v2, v83 src0_sel:BYTE_0 src1_sel:DWORD
	s_and_saveexec_b32 s6, s5
	s_cbranch_execz .LBB228_818
; %bb.811:                              ;   in Loop: Header=BB228_10 Depth=1
	v_bfrev_b32_e32 v76, 1
	v_mov_b32_e32 v77, 0
	v_cmp_ne_u16_sdwa s5, v2, v114 src0_sel:BYTE_0 src1_sel:DWORD
	s_and_saveexec_b32 s7, s5
	s_cbranch_execz .LBB228_817
; %bb.812:                              ;   in Loop: Header=BB228_10 Depth=1
	v_mov_b32_e32 v76, 0x7f800001
	v_and_b32_e32 v4, 0x7f, v2
	v_mov_b32_e32 v77, 0
	s_mov_b32 s17, exec_lo
	v_cmpx_ne_u32_e32 0x7f, v4
	s_cbranch_execz .LBB228_816
; %bb.813:                              ;   in Loop: Header=BB228_10 Depth=1
	v_and_b32_e32 v82, 7, v2
	v_lshrrev_b32_e32 v3, 3, v4
	s_mov_b32 s18, exec_lo
	v_cmpx_gt_u32_e32 8, v4
; %bb.814:                              ;   in Loop: Header=BB228_10 Depth=1
	v_ffbh_u32_e32 v3, v82
	v_min_u32_e32 v3, 32, v3
	v_subrev_nc_u32_e32 v4, 28, v3
	v_sub_nc_u32_e32 v3, 29, v3
	v_lshlrev_b64 v[4:5], v4, v[82:83]
	v_and_b32_e32 v82, 7, v4
; %bb.815:                              ;   in Loop: Header=BB228_10 Depth=1
	s_or_b32 exec_lo, exec_lo, s18
	v_lshlrev_b32_e32 v4, 24, v2
	v_lshlrev_b32_e32 v0, 20, v82
	v_lshl_add_u32 v3, v3, 23, 0x3c000000
	v_and_b32_e32 v4, 0x80000000, v4
	v_or3_b32 v82, v0, v4, v3
	v_mov_b32_e32 v76, v82
	v_mov_b32_e32 v77, v83
.LBB228_816:                            ;   in Loop: Header=BB228_10 Depth=1
	s_or_b32 exec_lo, exec_lo, s17
.LBB228_817:                            ;   in Loop: Header=BB228_10 Depth=1
	s_or_b32 exec_lo, exec_lo, s7
.LBB228_818:                            ;   in Loop: Header=BB228_10 Depth=1
	s_or_b32 exec_lo, exec_lo, s6
	v_cmp_ne_u16_sdwa s5, v2, v83 src0_sel:BYTE_1 src1_sel:DWORD
	s_and_saveexec_b32 s6, s5
	s_cbranch_execz .LBB228_826
; %bb.819:                              ;   in Loop: Header=BB228_10 Depth=1
	v_mov_b32_e32 v54, v83
	v_mov_b32_e32 v105, v55
	v_cmp_ne_u16_sdwa s5, v2, v114 src0_sel:BYTE_1 src1_sel:DWORD
	v_mov_b32_e32 v104, v54
	s_and_saveexec_b32 s7, s5
	s_cbranch_execz .LBB228_825
; %bb.820:                              ;   in Loop: Header=BB228_10 Depth=1
	v_mov_b32_e32 v0, 0xffff
	v_mov_b32_e32 v48, v83
	;; [unrolled: 1-line block ×3, first 2 shown]
	s_mov_b32 s17, exec_lo
	v_and_b32_sdwa v0, v0, v2 dst_sel:DWORD dst_unused:UNUSED_PAD src0_sel:DWORD src1_sel:BYTE_1
	v_mov_b32_e32 v104, v48
	v_and_b32_e32 v4, 0x7f, v0
	v_cmpx_ne_u32_e32 0x7f, v4
	s_cbranch_execz .LBB228_824
; %bb.821:                              ;   in Loop: Header=BB228_10 Depth=1
	v_and_b32_e32 v82, 7, v0
	v_lshrrev_b32_e32 v3, 3, v4
	s_mov_b32 s18, exec_lo
	v_cmpx_gt_u32_e32 8, v4
; %bb.822:                              ;   in Loop: Header=BB228_10 Depth=1
	v_ffbh_u32_e32 v3, v82
	v_min_u32_e32 v3, 32, v3
	v_subrev_nc_u32_e32 v4, 28, v3
	v_sub_nc_u32_e32 v3, 29, v3
	v_lshlrev_b64 v[4:5], v4, v[82:83]
	v_and_b32_e32 v82, 7, v4
; %bb.823:                              ;   in Loop: Header=BB228_10 Depth=1
	s_or_b32 exec_lo, exec_lo, s18
	v_lshlrev_b32_e32 v4, 16, v2
	v_lshlrev_b32_e32 v0, 20, v82
	v_lshl_add_u32 v3, v3, 23, 0x3c000000
	v_mov_b32_e32 v104, v83
	v_and_b32_e32 v4, 0x80000000, v4
	v_or3_b32 v105, v0, v4, v3
.LBB228_824:                            ;   in Loop: Header=BB228_10 Depth=1
	s_or_b32 exec_lo, exec_lo, s17
.LBB228_825:                            ;   in Loop: Header=BB228_10 Depth=1
	s_or_b32 exec_lo, exec_lo, s7
.LBB228_826:                            ;   in Loop: Header=BB228_10 Depth=1
	s_or_b32 exec_lo, exec_lo, s6
	v_mov_b32_e32 v0, 0xff
	v_mov_b32_e32 v90, 0
	;; [unrolled: 1-line block ×5, first 2 shown]
	v_and_b32_sdwa v0, v2, v0 dst_sel:DWORD dst_unused:UNUSED_PAD src0_sel:WORD_1 src1_sel:DWORD
	s_mov_b32 s6, exec_lo
	v_cmpx_ne_u16_e32 0, v0
	s_cbranch_execz .LBB228_834
; %bb.827:                              ;   in Loop: Header=BB228_10 Depth=1
	v_bfrev_b32_e32 v110, 1
	v_mov_b32_e32 v111, 0
	s_mov_b32 s7, exec_lo
	v_cmpx_ne_u16_e32 0x80, v0
	s_cbranch_execz .LBB228_833
; %bb.828:                              ;   in Loop: Header=BB228_10 Depth=1
	v_mov_b32_e32 v110, 0x7f800001
	v_bfe_u32 v4, v2, 16, 7
	v_mov_b32_e32 v111, 0
	s_mov_b32 s17, exec_lo
	v_cmpx_ne_u32_e32 0x7f, v4
	s_cbranch_execz .LBB228_832
; %bb.829:                              ;   in Loop: Header=BB228_10 Depth=1
	v_mov_b32_e32 v0, 7
	v_lshrrev_b32_e32 v3, 3, v4
	s_mov_b32 s18, exec_lo
	v_and_b32_sdwa v82, v2, v0 dst_sel:DWORD dst_unused:UNUSED_PAD src0_sel:WORD_1 src1_sel:DWORD
	v_cmpx_gt_u32_e32 8, v4
; %bb.830:                              ;   in Loop: Header=BB228_10 Depth=1
	v_ffbh_u32_e32 v3, v82
	v_min_u32_e32 v3, 32, v3
	v_subrev_nc_u32_e32 v4, 28, v3
	v_sub_nc_u32_e32 v3, 29, v3
	v_lshlrev_b64 v[4:5], v4, v[82:83]
	v_and_b32_e32 v82, 7, v4
; %bb.831:                              ;   in Loop: Header=BB228_10 Depth=1
	s_or_b32 exec_lo, exec_lo, s18
	v_mov_b32_e32 v0, 24
	v_lshl_add_u32 v3, v3, 23, 0x3c000000
	v_lshlrev_b32_sdwa v4, v0, v2 dst_sel:DWORD dst_unused:UNUSED_PAD src0_sel:DWORD src1_sel:WORD_1
	v_lshlrev_b32_e32 v0, 20, v82
	v_and_b32_e32 v4, 0x80000000, v4
	v_or3_b32 v82, v0, v4, v3
	v_mov_b32_e32 v111, v83
	v_mov_b32_e32 v110, v82
.LBB228_832:                            ;   in Loop: Header=BB228_10 Depth=1
	s_or_b32 exec_lo, exec_lo, s17
.LBB228_833:                            ;   in Loop: Header=BB228_10 Depth=1
	s_or_b32 exec_lo, exec_lo, s7
.LBB228_834:                            ;   in Loop: Header=BB228_10 Depth=1
	s_or_b32 exec_lo, exec_lo, s6
	s_mov_b32 s6, exec_lo
	v_cmpx_lt_u32_e32 0xffffff, v2
	s_cbranch_execz .LBB228_842
; %bb.835:                              ;   in Loop: Header=BB228_10 Depth=1
	v_mov_b32_e32 v54, v83
	v_mov_b32_e32 v91, v55
	v_cmp_ne_u32_sdwa s5, v2, v114 src0_sel:BYTE_3 src1_sel:DWORD
	v_mov_b32_e32 v90, v54
	s_and_saveexec_b32 s7, s5
	s_cbranch_execz .LBB228_841
; %bb.836:                              ;   in Loop: Header=BB228_10 Depth=1
	v_mov_b32_e32 v48, v83
	v_mov_b32_e32 v91, v49
	v_bfe_u32 v4, v2, 24, 7
	s_mov_b32 s17, exec_lo
	v_mov_b32_e32 v90, v48
	v_cmpx_ne_u32_e32 0x7f, v4
	s_cbranch_execz .LBB228_840
; %bb.837:                              ;   in Loop: Header=BB228_10 Depth=1
	v_mov_b32_e32 v0, 7
	v_lshrrev_b32_e32 v3, 3, v4
	s_mov_b32 s18, exec_lo
	v_and_b32_sdwa v82, v2, v0 dst_sel:DWORD dst_unused:UNUSED_PAD src0_sel:BYTE_3 src1_sel:DWORD
	v_cmpx_gt_u32_e32 8, v4
; %bb.838:                              ;   in Loop: Header=BB228_10 Depth=1
	v_ffbh_u32_e32 v3, v82
	v_min_u32_e32 v3, 32, v3
	v_subrev_nc_u32_e32 v4, 28, v3
	v_sub_nc_u32_e32 v3, 29, v3
	v_lshlrev_b64 v[4:5], v4, v[82:83]
	v_and_b32_e32 v82, 7, v4
; %bb.839:                              ;   in Loop: Header=BB228_10 Depth=1
	s_or_b32 exec_lo, exec_lo, s18
	v_mov_b32_e32 v0, 24
	v_lshl_add_u32 v3, v3, 23, 0x3c000000
	v_mov_b32_e32 v90, v83
	v_lshlrev_b32_sdwa v2, v0, v2 dst_sel:DWORD dst_unused:UNUSED_PAD src0_sel:DWORD src1_sel:BYTE_3
	v_lshlrev_b32_e32 v0, 20, v82
	v_and_b32_e32 v2, 0x80000000, v2
	v_or3_b32 v91, v0, v2, v3
.LBB228_840:                            ;   in Loop: Header=BB228_10 Depth=1
	s_or_b32 exec_lo, exec_lo, s17
.LBB228_841:                            ;   in Loop: Header=BB228_10 Depth=1
	s_or_b32 exec_lo, exec_lo, s7
.LBB228_842:                            ;   in Loop: Header=BB228_10 Depth=1
	s_or_b32 exec_lo, exec_lo, s6
	flat_load_dword v2, v[50:51] offset:1032
	v_mov_b32_e32 v120, 0
	v_mov_b32_e32 v92, 0
	;; [unrolled: 1-line block ×4, first 2 shown]
	s_waitcnt vmcnt(0) lgkmcnt(0)
	v_cmp_ne_u16_sdwa s5, v2, v83 src0_sel:BYTE_0 src1_sel:DWORD
	s_and_saveexec_b32 s6, s5
	s_cbranch_execz .LBB228_850
; %bb.843:                              ;   in Loop: Header=BB228_10 Depth=1
	v_bfrev_b32_e32 v92, 1
	v_mov_b32_e32 v93, 0
	v_cmp_ne_u16_sdwa s5, v2, v114 src0_sel:BYTE_0 src1_sel:DWORD
	s_and_saveexec_b32 s7, s5
	s_cbranch_execz .LBB228_849
; %bb.844:                              ;   in Loop: Header=BB228_10 Depth=1
	v_mov_b32_e32 v92, 0x7f800001
	v_and_b32_e32 v4, 0x7f, v2
	v_mov_b32_e32 v93, 0
	s_mov_b32 s17, exec_lo
	v_cmpx_ne_u32_e32 0x7f, v4
	s_cbranch_execz .LBB228_848
; %bb.845:                              ;   in Loop: Header=BB228_10 Depth=1
	v_and_b32_e32 v82, 7, v2
	v_lshrrev_b32_e32 v3, 3, v4
	s_mov_b32 s18, exec_lo
	v_cmpx_gt_u32_e32 8, v4
; %bb.846:                              ;   in Loop: Header=BB228_10 Depth=1
	v_ffbh_u32_e32 v3, v82
	v_min_u32_e32 v3, 32, v3
	v_subrev_nc_u32_e32 v4, 28, v3
	v_sub_nc_u32_e32 v3, 29, v3
	v_lshlrev_b64 v[4:5], v4, v[82:83]
	v_and_b32_e32 v82, 7, v4
; %bb.847:                              ;   in Loop: Header=BB228_10 Depth=1
	s_or_b32 exec_lo, exec_lo, s18
	v_lshlrev_b32_e32 v4, 24, v2
	v_lshlrev_b32_e32 v0, 20, v82
	v_lshl_add_u32 v3, v3, 23, 0x3c000000
	v_and_b32_e32 v4, 0x80000000, v4
	v_or3_b32 v82, v0, v4, v3
	v_mov_b32_e32 v93, v83
	v_mov_b32_e32 v92, v82
.LBB228_848:                            ;   in Loop: Header=BB228_10 Depth=1
	s_or_b32 exec_lo, exec_lo, s17
.LBB228_849:                            ;   in Loop: Header=BB228_10 Depth=1
	s_or_b32 exec_lo, exec_lo, s7
.LBB228_850:                            ;   in Loop: Header=BB228_10 Depth=1
	s_or_b32 exec_lo, exec_lo, s6
	v_cmp_ne_u16_sdwa s5, v2, v83 src0_sel:BYTE_1 src1_sel:DWORD
	s_and_saveexec_b32 s6, s5
	s_cbranch_execz .LBB228_858
; %bb.851:                              ;   in Loop: Header=BB228_10 Depth=1
	v_mov_b32_e32 v54, v83
	v_mov_b32_e32 v121, v55
	v_cmp_ne_u16_sdwa s5, v2, v114 src0_sel:BYTE_1 src1_sel:DWORD
	v_mov_b32_e32 v120, v54
	s_and_saveexec_b32 s7, s5
	s_cbranch_execz .LBB228_857
; %bb.852:                              ;   in Loop: Header=BB228_10 Depth=1
	v_mov_b32_e32 v0, 0xffff
	v_mov_b32_e32 v48, v83
	v_mov_b32_e32 v121, v49
	s_mov_b32 s17, exec_lo
	v_and_b32_sdwa v0, v0, v2 dst_sel:DWORD dst_unused:UNUSED_PAD src0_sel:DWORD src1_sel:BYTE_1
	v_mov_b32_e32 v120, v48
	v_and_b32_e32 v4, 0x7f, v0
	v_cmpx_ne_u32_e32 0x7f, v4
	s_cbranch_execz .LBB228_856
; %bb.853:                              ;   in Loop: Header=BB228_10 Depth=1
	v_and_b32_e32 v82, 7, v0
	v_lshrrev_b32_e32 v3, 3, v4
	s_mov_b32 s18, exec_lo
	v_cmpx_gt_u32_e32 8, v4
; %bb.854:                              ;   in Loop: Header=BB228_10 Depth=1
	v_ffbh_u32_e32 v3, v82
	v_min_u32_e32 v3, 32, v3
	v_subrev_nc_u32_e32 v4, 28, v3
	v_sub_nc_u32_e32 v3, 29, v3
	v_lshlrev_b64 v[4:5], v4, v[82:83]
	v_and_b32_e32 v82, 7, v4
; %bb.855:                              ;   in Loop: Header=BB228_10 Depth=1
	s_or_b32 exec_lo, exec_lo, s18
	v_lshlrev_b32_e32 v4, 16, v2
	v_lshlrev_b32_e32 v0, 20, v82
	v_lshl_add_u32 v3, v3, 23, 0x3c000000
	v_mov_b32_e32 v120, v83
	v_and_b32_e32 v4, 0x80000000, v4
	v_or3_b32 v121, v0, v4, v3
.LBB228_856:                            ;   in Loop: Header=BB228_10 Depth=1
	s_or_b32 exec_lo, exec_lo, s17
.LBB228_857:                            ;   in Loop: Header=BB228_10 Depth=1
	s_or_b32 exec_lo, exec_lo, s7
.LBB228_858:                            ;   in Loop: Header=BB228_10 Depth=1
	s_or_b32 exec_lo, exec_lo, s6
	v_mov_b32_e32 v0, 0xff
	v_mov_b32_e32 v106, 0
	;; [unrolled: 1-line block ×5, first 2 shown]
	v_and_b32_sdwa v0, v2, v0 dst_sel:DWORD dst_unused:UNUSED_PAD src0_sel:WORD_1 src1_sel:DWORD
	s_mov_b32 s6, exec_lo
	v_cmpx_ne_u16_e32 0, v0
	s_cbranch_execz .LBB228_866
; %bb.859:                              ;   in Loop: Header=BB228_10 Depth=1
	v_bfrev_b32_e32 v126, 1
	v_mov_b32_e32 v127, 0
	s_mov_b32 s7, exec_lo
	v_cmpx_ne_u16_e32 0x80, v0
	s_cbranch_execz .LBB228_865
; %bb.860:                              ;   in Loop: Header=BB228_10 Depth=1
	v_mov_b32_e32 v126, 0x7f800001
	v_bfe_u32 v4, v2, 16, 7
	v_mov_b32_e32 v127, 0
	s_mov_b32 s17, exec_lo
	v_cmpx_ne_u32_e32 0x7f, v4
	s_cbranch_execz .LBB228_864
; %bb.861:                              ;   in Loop: Header=BB228_10 Depth=1
	v_mov_b32_e32 v0, 7
	v_lshrrev_b32_e32 v3, 3, v4
	s_mov_b32 s18, exec_lo
	v_and_b32_sdwa v82, v2, v0 dst_sel:DWORD dst_unused:UNUSED_PAD src0_sel:WORD_1 src1_sel:DWORD
	v_cmpx_gt_u32_e32 8, v4
; %bb.862:                              ;   in Loop: Header=BB228_10 Depth=1
	v_ffbh_u32_e32 v3, v82
	v_min_u32_e32 v3, 32, v3
	v_subrev_nc_u32_e32 v4, 28, v3
	v_sub_nc_u32_e32 v3, 29, v3
	v_lshlrev_b64 v[4:5], v4, v[82:83]
	v_and_b32_e32 v82, 7, v4
; %bb.863:                              ;   in Loop: Header=BB228_10 Depth=1
	s_or_b32 exec_lo, exec_lo, s18
	v_mov_b32_e32 v0, 24
	v_lshl_add_u32 v3, v3, 23, 0x3c000000
	v_lshlrev_b32_sdwa v4, v0, v2 dst_sel:DWORD dst_unused:UNUSED_PAD src0_sel:DWORD src1_sel:WORD_1
	v_lshlrev_b32_e32 v0, 20, v82
	v_and_b32_e32 v4, 0x80000000, v4
	v_or3_b32 v82, v0, v4, v3
	v_mov_b32_e32 v127, v83
	v_mov_b32_e32 v126, v82
.LBB228_864:                            ;   in Loop: Header=BB228_10 Depth=1
	s_or_b32 exec_lo, exec_lo, s17
.LBB228_865:                            ;   in Loop: Header=BB228_10 Depth=1
	s_or_b32 exec_lo, exec_lo, s7
.LBB228_866:                            ;   in Loop: Header=BB228_10 Depth=1
	s_or_b32 exec_lo, exec_lo, s6
	s_mov_b32 s6, exec_lo
	v_cmpx_lt_u32_e32 0xffffff, v2
	s_cbranch_execz .LBB228_874
; %bb.867:                              ;   in Loop: Header=BB228_10 Depth=1
	v_mov_b32_e32 v54, v83
	v_mov_b32_e32 v107, v55
	v_cmp_ne_u32_sdwa s5, v2, v114 src0_sel:BYTE_3 src1_sel:DWORD
	v_mov_b32_e32 v106, v54
	s_and_saveexec_b32 s7, s5
	s_cbranch_execz .LBB228_873
; %bb.868:                              ;   in Loop: Header=BB228_10 Depth=1
	v_mov_b32_e32 v48, v83
	v_mov_b32_e32 v107, v49
	v_bfe_u32 v4, v2, 24, 7
	s_mov_b32 s17, exec_lo
	v_mov_b32_e32 v106, v48
	v_cmpx_ne_u32_e32 0x7f, v4
	s_cbranch_execz .LBB228_872
; %bb.869:                              ;   in Loop: Header=BB228_10 Depth=1
	v_mov_b32_e32 v0, 7
	v_lshrrev_b32_e32 v3, 3, v4
	s_mov_b32 s18, exec_lo
	v_and_b32_sdwa v82, v2, v0 dst_sel:DWORD dst_unused:UNUSED_PAD src0_sel:BYTE_3 src1_sel:DWORD
	v_cmpx_gt_u32_e32 8, v4
; %bb.870:                              ;   in Loop: Header=BB228_10 Depth=1
	v_ffbh_u32_e32 v3, v82
	v_min_u32_e32 v3, 32, v3
	v_subrev_nc_u32_e32 v4, 28, v3
	v_sub_nc_u32_e32 v3, 29, v3
	v_lshlrev_b64 v[4:5], v4, v[82:83]
	v_and_b32_e32 v82, 7, v4
; %bb.871:                              ;   in Loop: Header=BB228_10 Depth=1
	s_or_b32 exec_lo, exec_lo, s18
	v_mov_b32_e32 v0, 24
	v_lshl_add_u32 v3, v3, 23, 0x3c000000
	v_mov_b32_e32 v106, v83
	v_lshlrev_b32_sdwa v2, v0, v2 dst_sel:DWORD dst_unused:UNUSED_PAD src0_sel:DWORD src1_sel:BYTE_3
	v_lshlrev_b32_e32 v0, 20, v82
	v_and_b32_e32 v2, 0x80000000, v2
	v_or3_b32 v107, v0, v2, v3
.LBB228_872:                            ;   in Loop: Header=BB228_10 Depth=1
	s_or_b32 exec_lo, exec_lo, s17
.LBB228_873:                            ;   in Loop: Header=BB228_10 Depth=1
	s_or_b32 exec_lo, exec_lo, s7
.LBB228_874:                            ;   in Loop: Header=BB228_10 Depth=1
	s_or_b32 exec_lo, exec_lo, s6
	flat_load_dword v4, v[50:51] offset:1036
	v_mov_b32_e32 v2, 0
	v_mov_b32_e32 v108, 0
	;; [unrolled: 1-line block ×4, first 2 shown]
	s_waitcnt vmcnt(0) lgkmcnt(0)
	v_cmp_ne_u16_sdwa s5, v4, v83 src0_sel:BYTE_0 src1_sel:DWORD
	s_and_saveexec_b32 s6, s5
	s_cbranch_execz .LBB228_882
; %bb.875:                              ;   in Loop: Header=BB228_10 Depth=1
	v_bfrev_b32_e32 v108, 1
	v_mov_b32_e32 v109, 0
	v_cmp_ne_u16_sdwa s5, v4, v114 src0_sel:BYTE_0 src1_sel:DWORD
	s_and_saveexec_b32 s7, s5
	s_cbranch_execz .LBB228_881
; %bb.876:                              ;   in Loop: Header=BB228_10 Depth=1
	v_mov_b32_e32 v108, 0x7f800001
	v_and_b32_e32 v6, 0x7f, v4
	v_mov_b32_e32 v109, 0
	s_mov_b32 s17, exec_lo
	v_cmpx_ne_u32_e32 0x7f, v6
	s_cbranch_execz .LBB228_880
; %bb.877:                              ;   in Loop: Header=BB228_10 Depth=1
	v_and_b32_e32 v82, 7, v4
	v_lshrrev_b32_e32 v5, 3, v6
	s_mov_b32 s18, exec_lo
	v_cmpx_gt_u32_e32 8, v6
; %bb.878:                              ;   in Loop: Header=BB228_10 Depth=1
	v_ffbh_u32_e32 v5, v82
	v_min_u32_e32 v5, 32, v5
	v_subrev_nc_u32_e32 v6, 28, v5
	v_sub_nc_u32_e32 v5, 29, v5
	v_lshlrev_b64 v[6:7], v6, v[82:83]
	v_and_b32_e32 v82, 7, v6
; %bb.879:                              ;   in Loop: Header=BB228_10 Depth=1
	s_or_b32 exec_lo, exec_lo, s18
	v_lshlrev_b32_e32 v6, 24, v4
	v_lshlrev_b32_e32 v0, 20, v82
	v_lshl_add_u32 v5, v5, 23, 0x3c000000
	v_and_b32_e32 v6, 0x80000000, v6
	v_or3_b32 v82, v0, v6, v5
	v_mov_b32_e32 v109, v83
	v_mov_b32_e32 v108, v82
.LBB228_880:                            ;   in Loop: Header=BB228_10 Depth=1
	s_or_b32 exec_lo, exec_lo, s17
.LBB228_881:                            ;   in Loop: Header=BB228_10 Depth=1
	s_or_b32 exec_lo, exec_lo, s7
.LBB228_882:                            ;   in Loop: Header=BB228_10 Depth=1
	s_or_b32 exec_lo, exec_lo, s6
	v_cmp_ne_u16_sdwa s5, v4, v83 src0_sel:BYTE_1 src1_sel:DWORD
	s_and_saveexec_b32 s6, s5
	s_cbranch_execz .LBB228_890
; %bb.883:                              ;   in Loop: Header=BB228_10 Depth=1
	v_mov_b32_e32 v54, v83
	v_cmp_ne_u16_sdwa s5, v4, v114 src0_sel:BYTE_1 src1_sel:DWORD
	v_mov_b32_e32 v2, v54
	v_mov_b32_e32 v3, v55
	s_and_saveexec_b32 s7, s5
	s_cbranch_execz .LBB228_889
; %bb.884:                              ;   in Loop: Header=BB228_10 Depth=1
	v_mov_b32_e32 v0, 0xffff
	v_mov_b32_e32 v48, v83
	s_mov_b32 s17, exec_lo
	v_and_b32_sdwa v0, v0, v4 dst_sel:DWORD dst_unused:UNUSED_PAD src0_sel:DWORD src1_sel:BYTE_1
	v_mov_b32_e32 v2, v48
	v_mov_b32_e32 v3, v49
	v_and_b32_e32 v5, 0x7f, v0
	v_cmpx_ne_u32_e32 0x7f, v5
	s_cbranch_execz .LBB228_888
; %bb.885:                              ;   in Loop: Header=BB228_10 Depth=1
	v_and_b32_e32 v82, 7, v0
	v_lshrrev_b32_e32 v2, 3, v5
	s_mov_b32 s18, exec_lo
	v_cmpx_gt_u32_e32 8, v5
; %bb.886:                              ;   in Loop: Header=BB228_10 Depth=1
	v_ffbh_u32_e32 v2, v82
	v_min_u32_e32 v2, 32, v2
	v_subrev_nc_u32_e32 v3, 28, v2
	v_sub_nc_u32_e32 v2, 29, v2
	v_lshlrev_b64 v[5:6], v3, v[82:83]
	v_and_b32_e32 v82, 7, v5
; %bb.887:                              ;   in Loop: Header=BB228_10 Depth=1
	s_or_b32 exec_lo, exec_lo, s18
	v_lshlrev_b32_e32 v3, 16, v4
	v_lshlrev_b32_e32 v0, 20, v82
	v_lshl_add_u32 v2, v2, 23, 0x3c000000
	v_and_b32_e32 v3, 0x80000000, v3
	v_or3_b32 v3, v0, v3, v2
	v_mov_b32_e32 v2, v83
.LBB228_888:                            ;   in Loop: Header=BB228_10 Depth=1
	s_or_b32 exec_lo, exec_lo, s17
.LBB228_889:                            ;   in Loop: Header=BB228_10 Depth=1
	s_or_b32 exec_lo, exec_lo, s7
.LBB228_890:                            ;   in Loop: Header=BB228_10 Depth=1
	s_or_b32 exec_lo, exec_lo, s6
	v_mov_b32_e32 v0, 0xff
	v_mov_b32_e32 v122, 0
	;; [unrolled: 1-line block ×5, first 2 shown]
	v_and_b32_sdwa v0, v4, v0 dst_sel:DWORD dst_unused:UNUSED_PAD src0_sel:WORD_1 src1_sel:DWORD
	s_mov_b32 s6, exec_lo
	v_cmpx_ne_u16_e32 0, v0
	s_cbranch_execz .LBB228_898
; %bb.891:                              ;   in Loop: Header=BB228_10 Depth=1
	v_bfrev_b32_e32 v18, 1
	v_mov_b32_e32 v19, 0
	s_mov_b32 s7, exec_lo
	v_cmpx_ne_u16_e32 0x80, v0
	s_cbranch_execz .LBB228_897
; %bb.892:                              ;   in Loop: Header=BB228_10 Depth=1
	v_mov_b32_e32 v18, 0x7f800001
	v_bfe_u32 v6, v4, 16, 7
	v_mov_b32_e32 v19, 0
	s_mov_b32 s17, exec_lo
	v_cmpx_ne_u32_e32 0x7f, v6
	s_cbranch_execz .LBB228_896
; %bb.893:                              ;   in Loop: Header=BB228_10 Depth=1
	v_mov_b32_e32 v0, 7
	v_lshrrev_b32_e32 v5, 3, v6
	s_mov_b32 s18, exec_lo
	v_and_b32_sdwa v82, v4, v0 dst_sel:DWORD dst_unused:UNUSED_PAD src0_sel:WORD_1 src1_sel:DWORD
	v_cmpx_gt_u32_e32 8, v6
; %bb.894:                              ;   in Loop: Header=BB228_10 Depth=1
	v_ffbh_u32_e32 v5, v82
	v_min_u32_e32 v5, 32, v5
	v_subrev_nc_u32_e32 v6, 28, v5
	v_sub_nc_u32_e32 v5, 29, v5
	v_lshlrev_b64 v[6:7], v6, v[82:83]
	v_and_b32_e32 v82, 7, v6
; %bb.895:                              ;   in Loop: Header=BB228_10 Depth=1
	s_or_b32 exec_lo, exec_lo, s18
	v_mov_b32_e32 v0, 24
	v_lshl_add_u32 v5, v5, 23, 0x3c000000
	v_lshlrev_b32_sdwa v6, v0, v4 dst_sel:DWORD dst_unused:UNUSED_PAD src0_sel:DWORD src1_sel:WORD_1
	v_lshlrev_b32_e32 v0, 20, v82
	v_and_b32_e32 v6, 0x80000000, v6
	v_or3_b32 v82, v0, v6, v5
	v_mov_b32_e32 v18, v82
	v_mov_b32_e32 v19, v83
.LBB228_896:                            ;   in Loop: Header=BB228_10 Depth=1
	s_or_b32 exec_lo, exec_lo, s17
.LBB228_897:                            ;   in Loop: Header=BB228_10 Depth=1
	s_or_b32 exec_lo, exec_lo, s7
.LBB228_898:                            ;   in Loop: Header=BB228_10 Depth=1
	s_or_b32 exec_lo, exec_lo, s6
	s_mov_b32 s6, exec_lo
	v_cmpx_lt_u32_e32 0xffffff, v4
	s_cbranch_execz .LBB228_906
; %bb.899:                              ;   in Loop: Header=BB228_10 Depth=1
	v_mov_b32_e32 v54, v83
	v_mov_b32_e32 v123, v55
	v_cmp_ne_u32_sdwa s5, v4, v114 src0_sel:BYTE_3 src1_sel:DWORD
	v_mov_b32_e32 v122, v54
	s_and_saveexec_b32 s7, s5
	s_cbranch_execz .LBB228_905
; %bb.900:                              ;   in Loop: Header=BB228_10 Depth=1
	v_mov_b32_e32 v48, v83
	v_mov_b32_e32 v123, v49
	v_bfe_u32 v6, v4, 24, 7
	s_mov_b32 s17, exec_lo
	v_mov_b32_e32 v122, v48
	v_cmpx_ne_u32_e32 0x7f, v6
	s_cbranch_execz .LBB228_904
; %bb.901:                              ;   in Loop: Header=BB228_10 Depth=1
	v_mov_b32_e32 v0, 7
	v_lshrrev_b32_e32 v5, 3, v6
	s_mov_b32 s18, exec_lo
	v_and_b32_sdwa v82, v4, v0 dst_sel:DWORD dst_unused:UNUSED_PAD src0_sel:BYTE_3 src1_sel:DWORD
	v_cmpx_gt_u32_e32 8, v6
; %bb.902:                              ;   in Loop: Header=BB228_10 Depth=1
	v_ffbh_u32_e32 v5, v82
	v_min_u32_e32 v5, 32, v5
	v_subrev_nc_u32_e32 v6, 28, v5
	v_sub_nc_u32_e32 v5, 29, v5
	v_lshlrev_b64 v[6:7], v6, v[82:83]
	v_and_b32_e32 v82, 7, v6
; %bb.903:                              ;   in Loop: Header=BB228_10 Depth=1
	s_or_b32 exec_lo, exec_lo, s18
	v_mov_b32_e32 v0, 24
	v_lshl_add_u32 v5, v5, 23, 0x3c000000
	v_mov_b32_e32 v122, v83
	v_lshlrev_b32_sdwa v4, v0, v4 dst_sel:DWORD dst_unused:UNUSED_PAD src0_sel:DWORD src1_sel:BYTE_3
	v_lshlrev_b32_e32 v0, 20, v82
	v_and_b32_e32 v4, 0x80000000, v4
	v_or3_b32 v123, v0, v4, v5
.LBB228_904:                            ;   in Loop: Header=BB228_10 Depth=1
	s_or_b32 exec_lo, exec_lo, s17
.LBB228_905:                            ;   in Loop: Header=BB228_10 Depth=1
	s_or_b32 exec_lo, exec_lo, s7
.LBB228_906:                            ;   in Loop: Header=BB228_10 Depth=1
	s_or_b32 exec_lo, exec_lo, s6
	flat_load_dword v8, v[50:51] offset:1536
	v_mov_b32_e32 v6, 0
	v_mov_b32_e32 v124, 0
	;; [unrolled: 1-line block ×4, first 2 shown]
	s_waitcnt vmcnt(0) lgkmcnt(0)
	v_cmp_ne_u16_sdwa s5, v8, v83 src0_sel:BYTE_0 src1_sel:DWORD
	s_and_saveexec_b32 s6, s5
	s_cbranch_execz .LBB228_914
; %bb.907:                              ;   in Loop: Header=BB228_10 Depth=1
	v_bfrev_b32_e32 v124, 1
	v_mov_b32_e32 v125, 0
	v_cmp_ne_u16_sdwa s5, v8, v114 src0_sel:BYTE_0 src1_sel:DWORD
	s_and_saveexec_b32 s7, s5
	s_cbranch_execz .LBB228_913
; %bb.908:                              ;   in Loop: Header=BB228_10 Depth=1
	v_mov_b32_e32 v124, 0x7f800001
	v_and_b32_e32 v5, 0x7f, v8
	v_mov_b32_e32 v125, 0
	s_mov_b32 s17, exec_lo
	v_cmpx_ne_u32_e32 0x7f, v5
	s_cbranch_execz .LBB228_912
; %bb.909:                              ;   in Loop: Header=BB228_10 Depth=1
	v_and_b32_e32 v82, 7, v8
	v_lshrrev_b32_e32 v4, 3, v5
	s_mov_b32 s18, exec_lo
	v_cmpx_gt_u32_e32 8, v5
; %bb.910:                              ;   in Loop: Header=BB228_10 Depth=1
	v_ffbh_u32_e32 v4, v82
	v_min_u32_e32 v4, 32, v4
	v_subrev_nc_u32_e32 v5, 28, v4
	v_sub_nc_u32_e32 v4, 29, v4
	v_lshlrev_b64 v[12:13], v5, v[82:83]
	v_and_b32_e32 v82, 7, v12
; %bb.911:                              ;   in Loop: Header=BB228_10 Depth=1
	s_or_b32 exec_lo, exec_lo, s18
	v_lshlrev_b32_e32 v5, 24, v8
	v_lshlrev_b32_e32 v0, 20, v82
	v_lshl_add_u32 v4, v4, 23, 0x3c000000
	v_and_b32_e32 v5, 0x80000000, v5
	v_or3_b32 v82, v0, v5, v4
	v_mov_b32_e32 v125, v83
	v_mov_b32_e32 v124, v82
.LBB228_912:                            ;   in Loop: Header=BB228_10 Depth=1
	s_or_b32 exec_lo, exec_lo, s17
.LBB228_913:                            ;   in Loop: Header=BB228_10 Depth=1
	s_or_b32 exec_lo, exec_lo, s7
.LBB228_914:                            ;   in Loop: Header=BB228_10 Depth=1
	s_or_b32 exec_lo, exec_lo, s6
	v_cmp_ne_u16_sdwa s5, v8, v83 src0_sel:BYTE_1 src1_sel:DWORD
	s_and_saveexec_b32 s6, s5
	s_cbranch_execz .LBB228_922
; %bb.915:                              ;   in Loop: Header=BB228_10 Depth=1
	v_mov_b32_e32 v54, v83
	v_cmp_ne_u16_sdwa s5, v8, v114 src0_sel:BYTE_1 src1_sel:DWORD
	v_mov_b32_e32 v6, v54
	v_mov_b32_e32 v7, v55
	s_and_saveexec_b32 s7, s5
	s_cbranch_execz .LBB228_921
; %bb.916:                              ;   in Loop: Header=BB228_10 Depth=1
	v_mov_b32_e32 v0, 0xffff
	v_mov_b32_e32 v48, v83
	s_mov_b32 s17, exec_lo
	v_and_b32_sdwa v0, v0, v8 dst_sel:DWORD dst_unused:UNUSED_PAD src0_sel:DWORD src1_sel:BYTE_1
	v_mov_b32_e32 v6, v48
	v_mov_b32_e32 v7, v49
	v_and_b32_e32 v5, 0x7f, v0
	v_cmpx_ne_u32_e32 0x7f, v5
	s_cbranch_execz .LBB228_920
; %bb.917:                              ;   in Loop: Header=BB228_10 Depth=1
	v_and_b32_e32 v82, 7, v0
	v_lshrrev_b32_e32 v4, 3, v5
	s_mov_b32 s18, exec_lo
	v_cmpx_gt_u32_e32 8, v5
; %bb.918:                              ;   in Loop: Header=BB228_10 Depth=1
	v_ffbh_u32_e32 v4, v82
	v_min_u32_e32 v4, 32, v4
	v_subrev_nc_u32_e32 v5, 28, v4
	v_sub_nc_u32_e32 v4, 29, v4
	v_lshlrev_b64 v[5:6], v5, v[82:83]
	v_and_b32_e32 v82, 7, v5
; %bb.919:                              ;   in Loop: Header=BB228_10 Depth=1
	s_or_b32 exec_lo, exec_lo, s18
	v_lshlrev_b32_e32 v5, 16, v8
	v_lshlrev_b32_e32 v0, 20, v82
	v_lshl_add_u32 v4, v4, 23, 0x3c000000
	v_mov_b32_e32 v6, v83
	v_and_b32_e32 v5, 0x80000000, v5
	v_or3_b32 v7, v0, v5, v4
.LBB228_920:                            ;   in Loop: Header=BB228_10 Depth=1
	s_or_b32 exec_lo, exec_lo, s17
.LBB228_921:                            ;   in Loop: Header=BB228_10 Depth=1
	s_or_b32 exec_lo, exec_lo, s7
.LBB228_922:                            ;   in Loop: Header=BB228_10 Depth=1
	s_or_b32 exec_lo, exec_lo, s6
	v_mov_b32_e32 v0, 0xff
	v_mov_b32_e32 v4, 0
	v_mov_b32_e32 v22, 0
	v_mov_b32_e32 v5, 0
	v_mov_b32_e32 v23, 0
	v_and_b32_sdwa v0, v8, v0 dst_sel:DWORD dst_unused:UNUSED_PAD src0_sel:WORD_1 src1_sel:DWORD
	s_mov_b32 s6, exec_lo
	v_cmpx_ne_u16_e32 0, v0
	s_cbranch_execz .LBB228_930
; %bb.923:                              ;   in Loop: Header=BB228_10 Depth=1
	v_bfrev_b32_e32 v22, 1
	v_mov_b32_e32 v23, 0
	s_mov_b32 s7, exec_lo
	v_cmpx_ne_u16_e32 0x80, v0
	s_cbranch_execz .LBB228_929
; %bb.924:                              ;   in Loop: Header=BB228_10 Depth=1
	v_mov_b32_e32 v22, 0x7f800001
	v_bfe_u32 v12, v8, 16, 7
	v_mov_b32_e32 v23, 0
	s_mov_b32 s17, exec_lo
	v_cmpx_ne_u32_e32 0x7f, v12
	s_cbranch_execz .LBB228_928
; %bb.925:                              ;   in Loop: Header=BB228_10 Depth=1
	v_mov_b32_e32 v0, 7
	v_lshrrev_b32_e32 v9, 3, v12
	s_mov_b32 s18, exec_lo
	v_and_b32_sdwa v82, v8, v0 dst_sel:DWORD dst_unused:UNUSED_PAD src0_sel:WORD_1 src1_sel:DWORD
	v_cmpx_gt_u32_e32 8, v12
; %bb.926:                              ;   in Loop: Header=BB228_10 Depth=1
	v_ffbh_u32_e32 v9, v82
	v_min_u32_e32 v9, 32, v9
	v_subrev_nc_u32_e32 v12, 28, v9
	v_sub_nc_u32_e32 v9, 29, v9
	v_lshlrev_b64 v[12:13], v12, v[82:83]
	v_and_b32_e32 v82, 7, v12
; %bb.927:                              ;   in Loop: Header=BB228_10 Depth=1
	s_or_b32 exec_lo, exec_lo, s18
	v_mov_b32_e32 v0, 24
	v_lshl_add_u32 v9, v9, 23, 0x3c000000
	v_lshlrev_b32_sdwa v12, v0, v8 dst_sel:DWORD dst_unused:UNUSED_PAD src0_sel:DWORD src1_sel:WORD_1
	v_lshlrev_b32_e32 v0, 20, v82
	v_and_b32_e32 v12, 0x80000000, v12
	v_or3_b32 v82, v0, v12, v9
	v_mov_b32_e32 v22, v82
	v_mov_b32_e32 v23, v83
.LBB228_928:                            ;   in Loop: Header=BB228_10 Depth=1
	s_or_b32 exec_lo, exec_lo, s17
.LBB228_929:                            ;   in Loop: Header=BB228_10 Depth=1
	s_or_b32 exec_lo, exec_lo, s7
.LBB228_930:                            ;   in Loop: Header=BB228_10 Depth=1
	s_or_b32 exec_lo, exec_lo, s6
	s_mov_b32 s6, exec_lo
	v_cmpx_lt_u32_e32 0xffffff, v8
	s_cbranch_execz .LBB228_938
; %bb.931:                              ;   in Loop: Header=BB228_10 Depth=1
	v_mov_b32_e32 v54, v83
	v_cmp_ne_u32_sdwa s5, v8, v114 src0_sel:BYTE_3 src1_sel:DWORD
	v_mov_b32_e32 v4, v54
	v_mov_b32_e32 v5, v55
	s_and_saveexec_b32 s7, s5
	s_cbranch_execz .LBB228_937
; %bb.932:                              ;   in Loop: Header=BB228_10 Depth=1
	v_mov_b32_e32 v48, v83
	v_bfe_u32 v9, v8, 24, 7
	s_mov_b32 s17, exec_lo
	v_mov_b32_e32 v4, v48
	v_mov_b32_e32 v5, v49
	v_cmpx_ne_u32_e32 0x7f, v9
	s_cbranch_execz .LBB228_936
; %bb.933:                              ;   in Loop: Header=BB228_10 Depth=1
	v_mov_b32_e32 v0, 7
	v_lshrrev_b32_e32 v4, 3, v9
	s_mov_b32 s18, exec_lo
	v_and_b32_sdwa v82, v8, v0 dst_sel:DWORD dst_unused:UNUSED_PAD src0_sel:BYTE_3 src1_sel:DWORD
	v_cmpx_gt_u32_e32 8, v9
; %bb.934:                              ;   in Loop: Header=BB228_10 Depth=1
	v_ffbh_u32_e32 v4, v82
	v_min_u32_e32 v4, 32, v4
	v_subrev_nc_u32_e32 v5, 28, v4
	v_sub_nc_u32_e32 v4, 29, v4
	v_lshlrev_b64 v[12:13], v5, v[82:83]
	v_and_b32_e32 v82, 7, v12
; %bb.935:                              ;   in Loop: Header=BB228_10 Depth=1
	s_or_b32 exec_lo, exec_lo, s18
	v_mov_b32_e32 v0, 24
	v_lshl_add_u32 v4, v4, 23, 0x3c000000
	v_lshlrev_b32_sdwa v5, v0, v8 dst_sel:DWORD dst_unused:UNUSED_PAD src0_sel:DWORD src1_sel:BYTE_3
	v_lshlrev_b32_e32 v0, 20, v82
	v_and_b32_e32 v5, 0x80000000, v5
	v_or3_b32 v5, v0, v5, v4
	v_mov_b32_e32 v4, v83
.LBB228_936:                            ;   in Loop: Header=BB228_10 Depth=1
	s_or_b32 exec_lo, exec_lo, s17
.LBB228_937:                            ;   in Loop: Header=BB228_10 Depth=1
	s_or_b32 exec_lo, exec_lo, s7
.LBB228_938:                            ;   in Loop: Header=BB228_10 Depth=1
	s_or_b32 exec_lo, exec_lo, s6
	flat_load_dword v8, v[50:51] offset:1540
	v_mov_b32_e32 v16, 0
	v_mov_b32_e32 v24, 0
	;; [unrolled: 1-line block ×4, first 2 shown]
	s_waitcnt vmcnt(0) lgkmcnt(0)
	v_cmp_ne_u16_sdwa s5, v8, v83 src0_sel:BYTE_0 src1_sel:DWORD
	s_and_saveexec_b32 s6, s5
	s_cbranch_execz .LBB228_946
; %bb.939:                              ;   in Loop: Header=BB228_10 Depth=1
	v_bfrev_b32_e32 v24, 1
	v_mov_b32_e32 v25, 0
	v_cmp_ne_u16_sdwa s5, v8, v114 src0_sel:BYTE_0 src1_sel:DWORD
	s_and_saveexec_b32 s7, s5
	s_cbranch_execz .LBB228_945
; %bb.940:                              ;   in Loop: Header=BB228_10 Depth=1
	v_mov_b32_e32 v24, 0x7f800001
	v_and_b32_e32 v12, 0x7f, v8
	v_mov_b32_e32 v25, 0
	s_mov_b32 s17, exec_lo
	v_cmpx_ne_u32_e32 0x7f, v12
	s_cbranch_execz .LBB228_944
; %bb.941:                              ;   in Loop: Header=BB228_10 Depth=1
	v_and_b32_e32 v82, 7, v8
	v_lshrrev_b32_e32 v9, 3, v12
	s_mov_b32 s18, exec_lo
	v_cmpx_gt_u32_e32 8, v12
; %bb.942:                              ;   in Loop: Header=BB228_10 Depth=1
	v_ffbh_u32_e32 v9, v82
	v_min_u32_e32 v9, 32, v9
	v_subrev_nc_u32_e32 v12, 28, v9
	v_sub_nc_u32_e32 v9, 29, v9
	v_lshlrev_b64 v[12:13], v12, v[82:83]
	v_and_b32_e32 v82, 7, v12
; %bb.943:                              ;   in Loop: Header=BB228_10 Depth=1
	s_or_b32 exec_lo, exec_lo, s18
	v_lshlrev_b32_e32 v12, 24, v8
	v_lshlrev_b32_e32 v0, 20, v82
	v_lshl_add_u32 v9, v9, 23, 0x3c000000
	v_and_b32_e32 v12, 0x80000000, v12
	v_or3_b32 v82, v0, v12, v9
	v_mov_b32_e32 v24, v82
	v_mov_b32_e32 v25, v83
.LBB228_944:                            ;   in Loop: Header=BB228_10 Depth=1
	s_or_b32 exec_lo, exec_lo, s17
.LBB228_945:                            ;   in Loop: Header=BB228_10 Depth=1
	s_or_b32 exec_lo, exec_lo, s7
.LBB228_946:                            ;   in Loop: Header=BB228_10 Depth=1
	s_or_b32 exec_lo, exec_lo, s6
	v_cmp_ne_u16_sdwa s5, v8, v83 src0_sel:BYTE_1 src1_sel:DWORD
	s_and_saveexec_b32 s6, s5
	s_cbranch_execz .LBB228_954
; %bb.947:                              ;   in Loop: Header=BB228_10 Depth=1
	v_mov_b32_e32 v54, v83
	v_cmp_ne_u16_sdwa s5, v8, v114 src0_sel:BYTE_1 src1_sel:DWORD
	v_mov_b32_e32 v16, v54
	v_mov_b32_e32 v17, v55
	s_and_saveexec_b32 s7, s5
	s_cbranch_execz .LBB228_953
; %bb.948:                              ;   in Loop: Header=BB228_10 Depth=1
	v_mov_b32_e32 v0, 0xffff
	v_mov_b32_e32 v48, v83
	s_mov_b32 s17, exec_lo
	v_and_b32_sdwa v0, v0, v8 dst_sel:DWORD dst_unused:UNUSED_PAD src0_sel:DWORD src1_sel:BYTE_1
	v_mov_b32_e32 v16, v48
	v_mov_b32_e32 v17, v49
	v_and_b32_e32 v12, 0x7f, v0
	v_cmpx_ne_u32_e32 0x7f, v12
	s_cbranch_execz .LBB228_952
; %bb.949:                              ;   in Loop: Header=BB228_10 Depth=1
	v_and_b32_e32 v82, 7, v0
	v_lshrrev_b32_e32 v9, 3, v12
	s_mov_b32 s18, exec_lo
	v_cmpx_gt_u32_e32 8, v12
; %bb.950:                              ;   in Loop: Header=BB228_10 Depth=1
	v_ffbh_u32_e32 v9, v82
	v_min_u32_e32 v9, 32, v9
	v_subrev_nc_u32_e32 v12, 28, v9
	v_sub_nc_u32_e32 v9, 29, v9
	v_lshlrev_b64 v[12:13], v12, v[82:83]
	v_and_b32_e32 v82, 7, v12
; %bb.951:                              ;   in Loop: Header=BB228_10 Depth=1
	s_or_b32 exec_lo, exec_lo, s18
	v_lshlrev_b32_e32 v12, 16, v8
	v_lshlrev_b32_e32 v0, 20, v82
	v_lshl_add_u32 v9, v9, 23, 0x3c000000
	v_mov_b32_e32 v16, v83
	v_and_b32_e32 v12, 0x80000000, v12
	v_or3_b32 v17, v0, v12, v9
.LBB228_952:                            ;   in Loop: Header=BB228_10 Depth=1
	s_or_b32 exec_lo, exec_lo, s17
.LBB228_953:                            ;   in Loop: Header=BB228_10 Depth=1
	s_or_b32 exec_lo, exec_lo, s7
.LBB228_954:                            ;   in Loop: Header=BB228_10 Depth=1
	s_or_b32 exec_lo, exec_lo, s6
	v_mov_b32_e32 v0, 0xff
	v_mov_b32_e32 v20, 0
	;; [unrolled: 1-line block ×5, first 2 shown]
	v_and_b32_sdwa v0, v8, v0 dst_sel:DWORD dst_unused:UNUSED_PAD src0_sel:WORD_1 src1_sel:DWORD
	s_mov_b32 s6, exec_lo
	v_cmpx_ne_u16_e32 0, v0
	s_cbranch_execz .LBB228_962
; %bb.955:                              ;   in Loop: Header=BB228_10 Depth=1
	v_bfrev_b32_e32 v26, 1
	v_mov_b32_e32 v27, 0
	s_mov_b32 s7, exec_lo
	v_cmpx_ne_u16_e32 0x80, v0
	s_cbranch_execz .LBB228_961
; %bb.956:                              ;   in Loop: Header=BB228_10 Depth=1
	v_mov_b32_e32 v26, 0x7f800001
	v_bfe_u32 v12, v8, 16, 7
	v_mov_b32_e32 v27, 0
	s_mov_b32 s17, exec_lo
	v_cmpx_ne_u32_e32 0x7f, v12
	s_cbranch_execz .LBB228_960
; %bb.957:                              ;   in Loop: Header=BB228_10 Depth=1
	v_mov_b32_e32 v0, 7
	v_lshrrev_b32_e32 v9, 3, v12
	s_mov_b32 s18, exec_lo
	v_and_b32_sdwa v82, v8, v0 dst_sel:DWORD dst_unused:UNUSED_PAD src0_sel:WORD_1 src1_sel:DWORD
	v_cmpx_gt_u32_e32 8, v12
; %bb.958:                              ;   in Loop: Header=BB228_10 Depth=1
	v_ffbh_u32_e32 v9, v82
	v_min_u32_e32 v9, 32, v9
	v_subrev_nc_u32_e32 v12, 28, v9
	v_sub_nc_u32_e32 v9, 29, v9
	v_lshlrev_b64 v[12:13], v12, v[82:83]
	v_and_b32_e32 v82, 7, v12
; %bb.959:                              ;   in Loop: Header=BB228_10 Depth=1
	s_or_b32 exec_lo, exec_lo, s18
	v_mov_b32_e32 v0, 24
	v_lshl_add_u32 v9, v9, 23, 0x3c000000
	v_lshlrev_b32_sdwa v12, v0, v8 dst_sel:DWORD dst_unused:UNUSED_PAD src0_sel:DWORD src1_sel:WORD_1
	v_lshlrev_b32_e32 v0, 20, v82
	v_and_b32_e32 v12, 0x80000000, v12
	v_or3_b32 v82, v0, v12, v9
	v_mov_b32_e32 v26, v82
	v_mov_b32_e32 v27, v83
.LBB228_960:                            ;   in Loop: Header=BB228_10 Depth=1
	s_or_b32 exec_lo, exec_lo, s17
.LBB228_961:                            ;   in Loop: Header=BB228_10 Depth=1
	s_or_b32 exec_lo, exec_lo, s7
.LBB228_962:                            ;   in Loop: Header=BB228_10 Depth=1
	s_or_b32 exec_lo, exec_lo, s6
	s_mov_b32 s6, exec_lo
	v_cmpx_lt_u32_e32 0xffffff, v8
	s_cbranch_execz .LBB228_970
; %bb.963:                              ;   in Loop: Header=BB228_10 Depth=1
	v_mov_b32_e32 v54, v83
	v_cmp_ne_u32_sdwa s5, v8, v114 src0_sel:BYTE_3 src1_sel:DWORD
	v_mov_b32_e32 v20, v54
	v_mov_b32_e32 v21, v55
	s_and_saveexec_b32 s7, s5
	s_cbranch_execz .LBB228_969
; %bb.964:                              ;   in Loop: Header=BB228_10 Depth=1
	v_mov_b32_e32 v48, v83
	v_bfe_u32 v12, v8, 24, 7
	s_mov_b32 s17, exec_lo
	v_mov_b32_e32 v20, v48
	v_mov_b32_e32 v21, v49
	v_cmpx_ne_u32_e32 0x7f, v12
	s_cbranch_execz .LBB228_968
; %bb.965:                              ;   in Loop: Header=BB228_10 Depth=1
	v_mov_b32_e32 v0, 7
	v_lshrrev_b32_e32 v9, 3, v12
	s_mov_b32 s18, exec_lo
	v_and_b32_sdwa v82, v8, v0 dst_sel:DWORD dst_unused:UNUSED_PAD src0_sel:BYTE_3 src1_sel:DWORD
	v_cmpx_gt_u32_e32 8, v12
; %bb.966:                              ;   in Loop: Header=BB228_10 Depth=1
	v_ffbh_u32_e32 v9, v82
	v_min_u32_e32 v9, 32, v9
	v_subrev_nc_u32_e32 v12, 28, v9
	v_sub_nc_u32_e32 v9, 29, v9
	v_lshlrev_b64 v[12:13], v12, v[82:83]
	v_and_b32_e32 v82, 7, v12
; %bb.967:                              ;   in Loop: Header=BB228_10 Depth=1
	s_or_b32 exec_lo, exec_lo, s18
	v_mov_b32_e32 v0, 24
	v_lshl_add_u32 v9, v9, 23, 0x3c000000
	v_mov_b32_e32 v20, v83
	v_lshlrev_b32_sdwa v8, v0, v8 dst_sel:DWORD dst_unused:UNUSED_PAD src0_sel:DWORD src1_sel:BYTE_3
	v_lshlrev_b32_e32 v0, 20, v82
	v_and_b32_e32 v8, 0x80000000, v8
	v_or3_b32 v21, v0, v8, v9
.LBB228_968:                            ;   in Loop: Header=BB228_10 Depth=1
	s_or_b32 exec_lo, exec_lo, s17
.LBB228_969:                            ;   in Loop: Header=BB228_10 Depth=1
	s_or_b32 exec_lo, exec_lo, s7
.LBB228_970:                            ;   in Loop: Header=BB228_10 Depth=1
	s_or_b32 exec_lo, exec_lo, s6
	flat_load_dword v8, v[50:51] offset:1544
	v_mov_b32_e32 v30, 0
	v_mov_b32_e32 v32, 0
	;; [unrolled: 1-line block ×4, first 2 shown]
	s_waitcnt vmcnt(0) lgkmcnt(0)
	v_cmp_ne_u16_sdwa s5, v8, v83 src0_sel:BYTE_0 src1_sel:DWORD
	s_and_saveexec_b32 s6, s5
	s_cbranch_execz .LBB228_978
; %bb.971:                              ;   in Loop: Header=BB228_10 Depth=1
	v_bfrev_b32_e32 v32, 1
	v_mov_b32_e32 v33, 0
	v_cmp_ne_u16_sdwa s5, v8, v114 src0_sel:BYTE_0 src1_sel:DWORD
	s_and_saveexec_b32 s7, s5
	s_cbranch_execz .LBB228_977
; %bb.972:                              ;   in Loop: Header=BB228_10 Depth=1
	v_mov_b32_e32 v32, 0x7f800001
	v_and_b32_e32 v12, 0x7f, v8
	v_mov_b32_e32 v33, 0
	s_mov_b32 s17, exec_lo
	v_cmpx_ne_u32_e32 0x7f, v12
	s_cbranch_execz .LBB228_976
; %bb.973:                              ;   in Loop: Header=BB228_10 Depth=1
	v_and_b32_e32 v82, 7, v8
	v_lshrrev_b32_e32 v9, 3, v12
	s_mov_b32 s18, exec_lo
	v_cmpx_gt_u32_e32 8, v12
; %bb.974:                              ;   in Loop: Header=BB228_10 Depth=1
	v_ffbh_u32_e32 v9, v82
	v_min_u32_e32 v9, 32, v9
	v_subrev_nc_u32_e32 v12, 28, v9
	v_sub_nc_u32_e32 v9, 29, v9
	v_lshlrev_b64 v[12:13], v12, v[82:83]
	v_and_b32_e32 v82, 7, v12
; %bb.975:                              ;   in Loop: Header=BB228_10 Depth=1
	s_or_b32 exec_lo, exec_lo, s18
	v_lshlrev_b32_e32 v12, 24, v8
	v_lshlrev_b32_e32 v0, 20, v82
	v_lshl_add_u32 v9, v9, 23, 0x3c000000
	v_and_b32_e32 v12, 0x80000000, v12
	v_or3_b32 v82, v0, v12, v9
	v_mov_b32_e32 v32, v82
	v_mov_b32_e32 v33, v83
.LBB228_976:                            ;   in Loop: Header=BB228_10 Depth=1
	s_or_b32 exec_lo, exec_lo, s17
.LBB228_977:                            ;   in Loop: Header=BB228_10 Depth=1
	s_or_b32 exec_lo, exec_lo, s7
.LBB228_978:                            ;   in Loop: Header=BB228_10 Depth=1
	s_or_b32 exec_lo, exec_lo, s6
	v_cmp_ne_u16_sdwa s5, v8, v83 src0_sel:BYTE_1 src1_sel:DWORD
	s_and_saveexec_b32 s6, s5
	s_cbranch_execz .LBB228_986
; %bb.979:                              ;   in Loop: Header=BB228_10 Depth=1
	v_mov_b32_e32 v54, v83
	v_cmp_ne_u16_sdwa s5, v8, v114 src0_sel:BYTE_1 src1_sel:DWORD
	v_mov_b32_e32 v30, v54
	v_mov_b32_e32 v31, v55
	s_and_saveexec_b32 s7, s5
	s_cbranch_execz .LBB228_985
; %bb.980:                              ;   in Loop: Header=BB228_10 Depth=1
	v_mov_b32_e32 v0, 0xffff
	v_mov_b32_e32 v48, v83
	s_mov_b32 s17, exec_lo
	v_and_b32_sdwa v0, v0, v8 dst_sel:DWORD dst_unused:UNUSED_PAD src0_sel:DWORD src1_sel:BYTE_1
	v_mov_b32_e32 v30, v48
	v_mov_b32_e32 v31, v49
	v_and_b32_e32 v12, 0x7f, v0
	v_cmpx_ne_u32_e32 0x7f, v12
	s_cbranch_execz .LBB228_984
; %bb.981:                              ;   in Loop: Header=BB228_10 Depth=1
	v_and_b32_e32 v82, 7, v0
	v_lshrrev_b32_e32 v9, 3, v12
	s_mov_b32 s18, exec_lo
	v_cmpx_gt_u32_e32 8, v12
; %bb.982:                              ;   in Loop: Header=BB228_10 Depth=1
	v_ffbh_u32_e32 v9, v82
	v_min_u32_e32 v9, 32, v9
	v_subrev_nc_u32_e32 v12, 28, v9
	v_sub_nc_u32_e32 v9, 29, v9
	v_lshlrev_b64 v[12:13], v12, v[82:83]
	v_and_b32_e32 v82, 7, v12
; %bb.983:                              ;   in Loop: Header=BB228_10 Depth=1
	s_or_b32 exec_lo, exec_lo, s18
	v_lshlrev_b32_e32 v12, 16, v8
	v_lshlrev_b32_e32 v0, 20, v82
	v_lshl_add_u32 v9, v9, 23, 0x3c000000
	v_mov_b32_e32 v30, v83
	v_and_b32_e32 v12, 0x80000000, v12
	v_or3_b32 v31, v0, v12, v9
.LBB228_984:                            ;   in Loop: Header=BB228_10 Depth=1
	s_or_b32 exec_lo, exec_lo, s17
.LBB228_985:                            ;   in Loop: Header=BB228_10 Depth=1
	s_or_b32 exec_lo, exec_lo, s7
.LBB228_986:                            ;   in Loop: Header=BB228_10 Depth=1
	s_or_b32 exec_lo, exec_lo, s6
	v_mov_b32_e32 v0, 0xff
	v_mov_b32_e32 v12, 0
	;; [unrolled: 1-line block ×5, first 2 shown]
	v_and_b32_sdwa v0, v8, v0 dst_sel:DWORD dst_unused:UNUSED_PAD src0_sel:WORD_1 src1_sel:DWORD
	s_mov_b32 s6, exec_lo
	v_cmpx_ne_u16_e32 0, v0
	s_cbranch_execz .LBB228_994
; %bb.987:                              ;   in Loop: Header=BB228_10 Depth=1
	v_bfrev_b32_e32 v34, 1
	v_mov_b32_e32 v35, 0
	s_mov_b32 s7, exec_lo
	v_cmpx_ne_u16_e32 0x80, v0
	s_cbranch_execz .LBB228_993
; %bb.988:                              ;   in Loop: Header=BB228_10 Depth=1
	v_mov_b32_e32 v34, 0x7f800001
	v_bfe_u32 v14, v8, 16, 7
	v_mov_b32_e32 v35, 0
	s_mov_b32 s17, exec_lo
	v_cmpx_ne_u32_e32 0x7f, v14
	s_cbranch_execz .LBB228_992
; %bb.989:                              ;   in Loop: Header=BB228_10 Depth=1
	v_mov_b32_e32 v0, 7
	v_lshrrev_b32_e32 v9, 3, v14
	s_mov_b32 s18, exec_lo
	v_and_b32_sdwa v82, v8, v0 dst_sel:DWORD dst_unused:UNUSED_PAD src0_sel:WORD_1 src1_sel:DWORD
	v_cmpx_gt_u32_e32 8, v14
; %bb.990:                              ;   in Loop: Header=BB228_10 Depth=1
	v_ffbh_u32_e32 v9, v82
	v_min_u32_e32 v9, 32, v9
	v_subrev_nc_u32_e32 v14, 28, v9
	v_sub_nc_u32_e32 v9, 29, v9
	v_lshlrev_b64 v[14:15], v14, v[82:83]
	v_and_b32_e32 v82, 7, v14
; %bb.991:                              ;   in Loop: Header=BB228_10 Depth=1
	s_or_b32 exec_lo, exec_lo, s18
	v_mov_b32_e32 v0, 24
	v_lshl_add_u32 v9, v9, 23, 0x3c000000
	v_lshlrev_b32_sdwa v14, v0, v8 dst_sel:DWORD dst_unused:UNUSED_PAD src0_sel:DWORD src1_sel:WORD_1
	v_lshlrev_b32_e32 v0, 20, v82
	v_and_b32_e32 v14, 0x80000000, v14
	v_or3_b32 v82, v0, v14, v9
	v_mov_b32_e32 v34, v82
	v_mov_b32_e32 v35, v83
.LBB228_992:                            ;   in Loop: Header=BB228_10 Depth=1
	s_or_b32 exec_lo, exec_lo, s17
.LBB228_993:                            ;   in Loop: Header=BB228_10 Depth=1
	s_or_b32 exec_lo, exec_lo, s7
.LBB228_994:                            ;   in Loop: Header=BB228_10 Depth=1
	s_or_b32 exec_lo, exec_lo, s6
	s_mov_b32 s6, exec_lo
	v_cmpx_lt_u32_e32 0xffffff, v8
	s_cbranch_execz .LBB228_1002
; %bb.995:                              ;   in Loop: Header=BB228_10 Depth=1
	v_mov_b32_e32 v54, v83
	v_cmp_ne_u32_sdwa s5, v8, v114 src0_sel:BYTE_3 src1_sel:DWORD
	v_mov_b32_e32 v12, v54
	v_mov_b32_e32 v13, v55
	s_and_saveexec_b32 s7, s5
	s_cbranch_execz .LBB228_1001
; %bb.996:                              ;   in Loop: Header=BB228_10 Depth=1
	v_mov_b32_e32 v48, v83
	v_bfe_u32 v14, v8, 24, 7
	s_mov_b32 s17, exec_lo
	v_mov_b32_e32 v12, v48
	v_mov_b32_e32 v13, v49
	v_cmpx_ne_u32_e32 0x7f, v14
	s_cbranch_execz .LBB228_1000
; %bb.997:                              ;   in Loop: Header=BB228_10 Depth=1
	v_mov_b32_e32 v0, 7
	v_lshrrev_b32_e32 v9, 3, v14
	s_mov_b32 s18, exec_lo
	v_and_b32_sdwa v82, v8, v0 dst_sel:DWORD dst_unused:UNUSED_PAD src0_sel:BYTE_3 src1_sel:DWORD
	v_cmpx_gt_u32_e32 8, v14
; %bb.998:                              ;   in Loop: Header=BB228_10 Depth=1
	v_ffbh_u32_e32 v9, v82
	v_min_u32_e32 v9, 32, v9
	v_subrev_nc_u32_e32 v12, 28, v9
	v_sub_nc_u32_e32 v9, 29, v9
	v_lshlrev_b64 v[12:13], v12, v[82:83]
	v_and_b32_e32 v82, 7, v12
; %bb.999:                              ;   in Loop: Header=BB228_10 Depth=1
	s_or_b32 exec_lo, exec_lo, s18
	v_mov_b32_e32 v0, 24
	v_lshl_add_u32 v9, v9, 23, 0x3c000000
	v_mov_b32_e32 v12, v83
	v_lshlrev_b32_sdwa v8, v0, v8 dst_sel:DWORD dst_unused:UNUSED_PAD src0_sel:DWORD src1_sel:BYTE_3
	v_lshlrev_b32_e32 v0, 20, v82
	v_and_b32_e32 v8, 0x80000000, v8
	v_or3_b32 v13, v0, v8, v9
.LBB228_1000:                           ;   in Loop: Header=BB228_10 Depth=1
	s_or_b32 exec_lo, exec_lo, s17
.LBB228_1001:                           ;   in Loop: Header=BB228_10 Depth=1
	s_or_b32 exec_lo, exec_lo, s7
.LBB228_1002:                           ;   in Loop: Header=BB228_10 Depth=1
	s_or_b32 exec_lo, exec_lo, s6
	flat_load_dword v64, v[50:51] offset:1548
	v_mov_b32_e32 v14, 0
	v_mov_b32_e32 v50, 0
	;; [unrolled: 1-line block ×4, first 2 shown]
	s_waitcnt vmcnt(0) lgkmcnt(0)
	v_cmp_ne_u16_sdwa s5, v64, v83 src0_sel:BYTE_0 src1_sel:DWORD
	s_and_saveexec_b32 s6, s5
	s_cbranch_execz .LBB228_1010
; %bb.1003:                             ;   in Loop: Header=BB228_10 Depth=1
	v_bfrev_b32_e32 v50, 1
	v_mov_b32_e32 v51, 0
	v_cmp_ne_u16_sdwa s5, v64, v114 src0_sel:BYTE_0 src1_sel:DWORD
	s_and_saveexec_b32 s7, s5
	s_cbranch_execz .LBB228_1009
; %bb.1004:                             ;   in Loop: Header=BB228_10 Depth=1
	v_mov_b32_e32 v50, 0x7f800001
	v_and_b32_e32 v9, 0x7f, v64
	v_mov_b32_e32 v51, 0
	s_mov_b32 s17, exec_lo
	v_cmpx_ne_u32_e32 0x7f, v9
	s_cbranch_execz .LBB228_1008
; %bb.1005:                             ;   in Loop: Header=BB228_10 Depth=1
	v_and_b32_e32 v82, 7, v64
	v_lshrrev_b32_e32 v8, 3, v9
	s_mov_b32 s18, exec_lo
	v_cmpx_gt_u32_e32 8, v9
; %bb.1006:                             ;   in Loop: Header=BB228_10 Depth=1
	v_ffbh_u32_e32 v8, v82
	v_min_u32_e32 v8, 32, v8
	v_subrev_nc_u32_e32 v9, 28, v8
	v_sub_nc_u32_e32 v8, 29, v8
	v_lshlrev_b64 v[38:39], v9, v[82:83]
	v_and_b32_e32 v82, 7, v38
; %bb.1007:                             ;   in Loop: Header=BB228_10 Depth=1
	s_or_b32 exec_lo, exec_lo, s18
	v_lshlrev_b32_e32 v9, 24, v64
	v_lshlrev_b32_e32 v0, 20, v82
	v_lshl_add_u32 v8, v8, 23, 0x3c000000
	v_and_b32_e32 v9, 0x80000000, v9
	v_or3_b32 v82, v0, v9, v8
	v_mov_b32_e32 v50, v82
	v_mov_b32_e32 v51, v83
.LBB228_1008:                           ;   in Loop: Header=BB228_10 Depth=1
	s_or_b32 exec_lo, exec_lo, s17
.LBB228_1009:                           ;   in Loop: Header=BB228_10 Depth=1
	s_or_b32 exec_lo, exec_lo, s7
.LBB228_1010:                           ;   in Loop: Header=BB228_10 Depth=1
	s_or_b32 exec_lo, exec_lo, s6
	v_cmp_ne_u16_sdwa s5, v64, v83 src0_sel:BYTE_1 src1_sel:DWORD
	s_and_saveexec_b32 s6, s5
	s_cbranch_execz .LBB228_1018
; %bb.1011:                             ;   in Loop: Header=BB228_10 Depth=1
	v_mov_b32_e32 v54, v83
	v_cmp_ne_u16_sdwa s5, v64, v114 src0_sel:BYTE_1 src1_sel:DWORD
	v_mov_b32_e32 v14, v54
	v_mov_b32_e32 v15, v55
	s_and_saveexec_b32 s7, s5
	s_cbranch_execz .LBB228_1017
; %bb.1012:                             ;   in Loop: Header=BB228_10 Depth=1
	v_mov_b32_e32 v0, 0xffff
	v_mov_b32_e32 v48, v83
	s_mov_b32 s17, exec_lo
	v_and_b32_sdwa v0, v0, v64 dst_sel:DWORD dst_unused:UNUSED_PAD src0_sel:DWORD src1_sel:BYTE_1
	v_mov_b32_e32 v14, v48
	v_mov_b32_e32 v15, v49
	v_and_b32_e32 v9, 0x7f, v0
	v_cmpx_ne_u32_e32 0x7f, v9
	s_cbranch_execz .LBB228_1016
; %bb.1013:                             ;   in Loop: Header=BB228_10 Depth=1
	v_and_b32_e32 v82, 7, v0
	v_lshrrev_b32_e32 v8, 3, v9
	s_mov_b32 s18, exec_lo
	v_cmpx_gt_u32_e32 8, v9
; %bb.1014:                             ;   in Loop: Header=BB228_10 Depth=1
	v_ffbh_u32_e32 v8, v82
	v_min_u32_e32 v8, 32, v8
	v_subrev_nc_u32_e32 v9, 28, v8
	v_sub_nc_u32_e32 v8, 29, v8
	v_lshlrev_b64 v[14:15], v9, v[82:83]
	v_and_b32_e32 v82, 7, v14
; %bb.1015:                             ;   in Loop: Header=BB228_10 Depth=1
	s_or_b32 exec_lo, exec_lo, s18
	v_lshlrev_b32_e32 v9, 16, v64
	v_lshlrev_b32_e32 v0, 20, v82
	v_lshl_add_u32 v8, v8, 23, 0x3c000000
	v_mov_b32_e32 v14, v83
	v_and_b32_e32 v9, 0x80000000, v9
	v_or3_b32 v15, v0, v9, v8
.LBB228_1016:                           ;   in Loop: Header=BB228_10 Depth=1
	s_or_b32 exec_lo, exec_lo, s17
.LBB228_1017:                           ;   in Loop: Header=BB228_10 Depth=1
	s_or_b32 exec_lo, exec_lo, s7
.LBB228_1018:                           ;   in Loop: Header=BB228_10 Depth=1
	s_or_b32 exec_lo, exec_lo, s6
	v_mov_b32_e32 v0, 0xff
	v_mov_b32_e32 v8, 0
	;; [unrolled: 1-line block ×5, first 2 shown]
	v_and_b32_sdwa v0, v64, v0 dst_sel:DWORD dst_unused:UNUSED_PAD src0_sel:WORD_1 src1_sel:DWORD
	s_mov_b32 s6, exec_lo
	v_cmpx_ne_u16_e32 0, v0
	s_cbranch_execz .LBB228_1026
; %bb.1019:                             ;   in Loop: Header=BB228_10 Depth=1
	v_bfrev_b32_e32 v38, 1
	v_mov_b32_e32 v39, 0
	s_mov_b32 s7, exec_lo
	v_cmpx_ne_u16_e32 0x80, v0
	s_cbranch_execz .LBB228_1025
; %bb.1020:                             ;   in Loop: Header=BB228_10 Depth=1
	v_mov_b32_e32 v38, 0x7f800001
	v_bfe_u32 v48, v64, 16, 7
	v_mov_b32_e32 v39, 0
	s_mov_b32 s17, exec_lo
	v_cmpx_ne_u32_e32 0x7f, v48
	s_cbranch_execz .LBB228_1024
; %bb.1021:                             ;   in Loop: Header=BB228_10 Depth=1
	v_mov_b32_e32 v0, 7
	v_lshrrev_b32_e32 v38, 3, v48
	s_mov_b32 s18, exec_lo
	v_and_b32_sdwa v82, v64, v0 dst_sel:DWORD dst_unused:UNUSED_PAD src0_sel:WORD_1 src1_sel:DWORD
	v_cmpx_gt_u32_e32 8, v48
; %bb.1022:                             ;   in Loop: Header=BB228_10 Depth=1
	v_ffbh_u32_e32 v38, v82
	v_min_u32_e32 v38, 32, v38
	v_subrev_nc_u32_e32 v39, 28, v38
	v_sub_nc_u32_e32 v38, 29, v38
	v_lshlrev_b64 v[80:81], v39, v[82:83]
	v_and_b32_e32 v82, 7, v80
; %bb.1023:                             ;   in Loop: Header=BB228_10 Depth=1
	s_or_b32 exec_lo, exec_lo, s18
	v_mov_b32_e32 v0, 24
	v_lshl_add_u32 v38, v38, 23, 0x3c000000
	v_lshlrev_b32_sdwa v39, v0, v64 dst_sel:DWORD dst_unused:UNUSED_PAD src0_sel:DWORD src1_sel:WORD_1
	v_lshlrev_b32_e32 v0, 20, v82
	v_and_b32_e32 v39, 0x80000000, v39
	v_or3_b32 v82, v0, v39, v38
	v_mov_b32_e32 v38, v82
	v_mov_b32_e32 v39, v83
.LBB228_1024:                           ;   in Loop: Header=BB228_10 Depth=1
	s_or_b32 exec_lo, exec_lo, s17
.LBB228_1025:                           ;   in Loop: Header=BB228_10 Depth=1
	s_or_b32 exec_lo, exec_lo, s7
.LBB228_1026:                           ;   in Loop: Header=BB228_10 Depth=1
	s_or_b32 exec_lo, exec_lo, s6
	v_cmp_lt_u32_e64 s5, 0xffffff, v64
	s_mov_b32 s6, exec_lo
	v_mov_b32_e32 v82, v65
	v_mov_b32_e32 v40, v70
	s_and_b32 s5, s6, s5
	s_mov_b32 exec_lo, s5
	s_cbranch_execz .LBB228_9
; %bb.1027:                             ;   in Loop: Header=BB228_10 Depth=1
	v_mov_b32_e32 v54, v83
	v_cmp_ne_u32_sdwa s5, v64, v114 src0_sel:BYTE_3 src1_sel:DWORD
	v_mov_b32_e32 v8, v54
	v_mov_b32_e32 v9, v55
	s_and_saveexec_b32 s7, s5
	s_cbranch_execz .LBB228_8
; %bb.1028:                             ;   in Loop: Header=BB228_10 Depth=1
	v_mov_b32_e32 v48, v83
	v_bfe_u32 v54, v64, 24, 7
	s_mov_b32 s17, exec_lo
	v_mov_b32_e32 v8, v48
	v_mov_b32_e32 v9, v49
	v_cmpx_ne_u32_e32 0x7f, v54
	s_cbranch_execz .LBB228_7
; %bb.1029:                             ;   in Loop: Header=BB228_10 Depth=1
	v_mov_b32_e32 v0, 7
	v_lshrrev_b32_e32 v8, 3, v54
	s_mov_b32 s18, exec_lo
	v_and_b32_sdwa v82, v64, v0 dst_sel:DWORD dst_unused:UNUSED_PAD src0_sel:BYTE_3 src1_sel:DWORD
	v_cmpx_gt_u32_e32 8, v54
	s_cbranch_execz .LBB228_6
; %bb.1030:                             ;   in Loop: Header=BB228_10 Depth=1
	v_ffbh_u32_e32 v8, v82
	v_min_u32_e32 v8, 32, v8
	v_subrev_nc_u32_e32 v9, 28, v8
	v_sub_nc_u32_e32 v8, 29, v8
	v_lshlrev_b64 v[80:81], v9, v[82:83]
	v_and_b32_e32 v82, 7, v80
	s_branch .LBB228_6
.LBB228_1031:
	s_or_b32 exec_lo, exec_lo, s15
	s_clause 0x1
	buffer_load_dword v12, off, s[0:3], s32 offset:1440
	buffer_load_dword v9, off, s[0:3], s32 offset:1500
.LBB228_1032:
	s_or_b32 exec_lo, exec_lo, s9
	v_mbcnt_lo_u32_b32 v0, -1, 0
	v_max_f32_e32 v4, v10, v10
	s_lshr_b32 s9, s13, 16
	v_xor_b32_e32 v1, 16, v0
	v_xor_b32_e32 v3, 8, v0
	v_cmp_gt_i32_e32 vcc_lo, 32, v1
	v_cndmask_b32_e32 v1, v0, v1, vcc_lo
	v_cmp_gt_i32_e32 vcc_lo, 32, v3
	v_lshlrev_b32_e32 v1, 2, v1
	v_cndmask_b32_e32 v3, v0, v3, vcc_lo
	ds_bpermute_b32 v2, v1, v10
	s_waitcnt lgkmcnt(0)
	v_max_f32_e32 v5, v2, v2
	v_lshlrev_b32_e32 v2, 2, v3
	v_max_f32_e32 v3, v4, v5
	v_xor_b32_e32 v5, 4, v0
	ds_bpermute_b32 v4, v2, v3
	v_cmp_gt_i32_e32 vcc_lo, 32, v5
	v_cndmask_b32_e32 v5, v0, v5, vcc_lo
	v_lshlrev_b32_e32 v31, 2, v5
	v_xor_b32_e32 v5, 2, v0
	v_cmp_gt_i32_e32 vcc_lo, 32, v5
	s_waitcnt lgkmcnt(0)
	v_max_f32_e32 v4, v4, v4
	v_cndmask_b32_e32 v5, v0, v5, vcc_lo
	v_max_f32_e32 v3, v3, v4
	v_lshlrev_b32_e32 v101, 2, v5
	v_xor_b32_e32 v5, 1, v0
	ds_bpermute_b32 v4, v31, v3
	v_cmp_gt_i32_e32 vcc_lo, 32, v5
	v_cndmask_b32_e32 v5, v0, v5, vcc_lo
	v_lshlrev_b32_e32 v100, 2, v5
	s_waitcnt lgkmcnt(0)
	v_max_f32_e32 v4, v4, v4
	v_max_f32_e32 v3, v3, v4
	ds_bpermute_b32 v4, v101, v3
	s_waitcnt lgkmcnt(0)
	v_max_f32_e32 v4, v4, v4
	v_max_f32_e32 v0, v3, v4
	buffer_load_dword v3, off, s[0:3], s32 offset:1436 ; 4-byte Folded Reload
	ds_bpermute_b32 v4, v100, v0
	s_waitcnt vmcnt(0)
	v_cmp_eq_u32_e32 vcc_lo, 0, v3
	buffer_load_dword v3, off, s[0:3], s32 offset:1444 ; 4-byte Folded Reload
	s_waitcnt vmcnt(0)
	v_lshlrev_b32_e32 v3, 2, v3
	s_and_saveexec_b32 s5, vcc_lo
	s_cbranch_execz .LBB228_1034
; %bb.1033:
	s_waitcnt lgkmcnt(0)
	v_max_f32_e32 v4, v4, v4
	v_max_f32_e32 v0, v0, v0
	;; [unrolled: 1-line block ×3, first 2 shown]
	ds_write_b32 v3, v0 offset:512
.LBB228_1034:
	s_or_b32 exec_lo, exec_lo, s5
	buffer_load_dword v0, off, s[0:3], s32 offset:1436 ; 4-byte Folded Reload
	s_waitcnt vmcnt(0) lgkmcnt(0)
	s_waitcnt_vscnt null, 0x0
	s_barrier
	buffer_gl0_inv
	v_cmp_gt_u32_e64 s5, 4, v0
	v_mov_b32_e32 v0, 0xff7fffff
	s_and_saveexec_b32 s6, s5
; %bb.1035:
	ds_read_b32 v0, v9 offset:512
; %bb.1036:
	s_or_b32 exec_lo, exec_lo, s6
	s_waitcnt lgkmcnt(0)
	ds_bpermute_b32 v4, v101, v0
	v_max_f32_e32 v0, v0, v0
	v_mov_b32_e32 v5, 0
	s_waitcnt lgkmcnt(0)
	v_max_f32_e32 v4, v4, v4
	v_max_f32_e32 v0, v0, v4
	ds_bpermute_b32 v4, v100, v0
	s_waitcnt lgkmcnt(0)
	v_max_f32_e32 v4, v4, v4
	v_max_f32_e32 v0, v0, v4
	ds_bpermute_b32 v4, v5, v0
	v_lshlrev_b32_e32 v0, 5, v29
	v_min_i32_e32 v0, v0, v28
	v_cmp_lt_i32_e64 s6, v12, v0
	s_and_saveexec_b32 s13, s6
	s_cbranch_execz .LBB228_1040
; %bb.1037:
	s_getpc_b64 s[18:19]
	s_add_u32 s18, s18, llvm.amdgcn.dynlds.offset.table@rel32@lo+4
	s_addc_u32 s19, s19, llvm.amdgcn.dynlds.offset.table@rel32@hi+12
	s_ashr_i32 s17, s16, 31
	v_mov_b32_e32 v5, 0
	s_lshl_b64 s[20:21], s[16:17], 2
	v_mov_b32_e32 v7, v12
	s_add_u32 s18, s18, s20
	s_addc_u32 s19, s19, s21
	s_mov_b32 s15, 0
	s_load_dword s7, s[18:19], 0x0
	s_waitcnt lgkmcnt(0)
	v_lshl_add_u32 v6, v12, 2, s7
	.p2align	6
.LBB228_1038:                           ; =>This Inner Loop Header: Depth=1
	ds_read_b32 v8, v6
	v_add_nc_u32_e32 v7, 0x80, v7
	v_cmp_ge_i32_e64 s7, v7, v0
	s_or_b32 s15, s7, s15
	s_waitcnt lgkmcnt(0)
	v_sub_f32_e32 v8, v8, v4
	v_mul_f32_e32 v8, 0x3fb8aa3b, v8
	v_exp_f32_e32 v8, v8
	ds_write_b32 v6, v8
	v_add_f32_e32 v5, v5, v8
	v_add_nc_u32_e32 v6, 0x200, v6
	s_andn2_b32 exec_lo, exec_lo, s15
	s_cbranch_execnz .LBB228_1038
; %bb.1039:
	s_or_b32 exec_lo, exec_lo, s15
.LBB228_1040:
	s_or_b32 exec_lo, exec_lo, s13
	ds_bpermute_b32 v1, v1, v5
	s_waitcnt lgkmcnt(0)
	v_add_f32_e32 v1, v5, v1
	ds_bpermute_b32 v2, v2, v1
	s_waitcnt lgkmcnt(0)
	v_add_f32_e32 v1, v1, v2
	;; [unrolled: 3-line block ×5, first 2 shown]
	s_and_saveexec_b32 s7, vcc_lo
; %bb.1041:
	ds_write_b32 v3, v1 offset:528
; %bb.1042:
	s_or_b32 exec_lo, exec_lo, s7
	s_waitcnt lgkmcnt(0)
	s_barrier
	buffer_gl0_inv
	s_and_saveexec_b32 s7, s5
; %bb.1043:
	ds_read_b32 v1, v9 offset:528
; %bb.1044:
	s_or_b32 exec_lo, exec_lo, s7
	s_waitcnt lgkmcnt(0)
	ds_bpermute_b32 v2, v101, v1
	s_waitcnt lgkmcnt(0)
	v_add_f32_e32 v1, v1, v2
	ds_bpermute_b32 v2, v100, v1
	s_waitcnt lgkmcnt(0)
	v_add_f32_e32 v1, v1, v2
	v_mov_b32_e32 v2, 0
	ds_bpermute_b32 v1, v2, v1
	s_and_saveexec_b32 s5, s6
	s_cbranch_execz .LBB228_1047
; %bb.1045:
	s_waitcnt lgkmcnt(0)
	v_add_f32_e32 v2, 0x358637bd, v1
	s_getpc_b64 s[6:7]
	s_add_u32 s6, s6, llvm.amdgcn.dynlds.offset.table@rel32@lo+4
	s_addc_u32 s7, s7, llvm.amdgcn.dynlds.offset.table@rel32@hi+12
	s_ashr_i32 s17, s16, 31
	s_lshl_b64 s[18:19], s[16:17], 2
	v_div_scale_f32 v1, null, v2, v2, 1.0
	v_div_scale_f32 v5, vcc_lo, 1.0, v2, 1.0
	s_add_u32 s6, s6, s18
	v_rcp_f32_e32 v3, v1
	s_addc_u32 s7, s7, s19
	s_load_dword s6, s[6:7], 0x0
	v_fma_f32 v4, -v1, v3, 1.0
	v_fmac_f32_e32 v3, v4, v3
	v_mul_f32_e32 v4, v5, v3
	v_fma_f32 v6, -v1, v4, v5
	v_fmac_f32_e32 v4, v6, v3
	v_fma_f32 v1, -v1, v4, v5
	v_div_fmas_f32 v3, v1, v3, v4
	s_waitcnt lgkmcnt(0)
	v_lshl_add_u32 v1, v12, 2, s6
	s_mov_b32 s6, 0
	v_div_fixup_f32 v2, v3, v2, 1.0
	v_mov_b32_e32 v3, v12
.LBB228_1046:                           ; =>This Inner Loop Header: Depth=1
	ds_read_b32 v4, v1
	v_add_nc_u32_e32 v3, 0x80, v3
	v_cmp_ge_i32_e32 vcc_lo, v3, v0
	s_or_b32 s6, vcc_lo, s6
	s_waitcnt lgkmcnt(0)
	v_mul_f32_e32 v4, v2, v4
	ds_write_b32 v1, v4
	v_add_nc_u32_e32 v1, 0x200, v1
	s_andn2_b32 exec_lo, exec_lo, s6
	s_cbranch_execnz .LBB228_1046
.LBB228_1047:
	s_or_b32 exec_lo, exec_lo, s5
	s_waitcnt lgkmcnt(0)
	s_barrier
	buffer_gl0_inv
	s_and_saveexec_b32 s5, s4
	s_xor_b32 s4, exec_lo, s5
; %bb.1048:
                                        ; implicit-def: $vgpr0
                                        ; kill: killed $vgpr0
	s_ashr_i32 s17, s16, 31
                                        ; implicit-def: $vgpr0
                                        ; kill: killed $vgpr0
                                        ; implicit-def: $vgpr28
                                        ; implicit-def: $vgpr29
                                        ; implicit-def: $vgpr0
                                        ; kill: killed $vgpr0
                                        ; implicit-def: $vgpr0
                                        ; kill: killed $vgpr0
	;; [unrolled: 2-line block ×3, first 2 shown]
                                        ; implicit-def: $vgpr0_vgpr1
                                        ; kill: killed $vgpr0_vgpr1
                                        ; implicit-def: $vgpr0
                                        ; kill: killed $vgpr0
                                        ; implicit-def: $vgpr0
                                        ; kill: killed $vgpr0
	;; [unrolled: 2-line block ×3, first 2 shown]
                                        ; implicit-def: $vgpr0_vgpr1
                                        ; kill: killed $vgpr0_vgpr1
; %bb.1049:
	s_or_saveexec_b32 s5, s4
	v_mov_b32_e32 v0, s16
	v_mov_b32_e32 v84, 0
	;; [unrolled: 1-line block ×3, first 2 shown]
	v_and_b32_e32 v102, 7, v12
	v_mov_b32_e32 v87, 0
	v_mov_b32_e32 v86, 0
	v_mov_b32_e32 v85, 0
	v_mov_b32_e32 v83, 0
	v_mov_b32_e32 v82, 0
	v_mov_b32_e32 v81, 0
	v_mov_b32_e32 v80, 0
	v_mov_b32_e32 v71, 0
	v_mov_b32_e32 v70, 0
	v_mov_b32_e32 v69, 0
	v_mov_b32_e32 v68, 0
	v_mov_b32_e32 v67, 0
	v_mov_b32_e32 v66, 0
	v_mov_b32_e32 v65, 0
	v_mov_b32_e32 v64, 0
	v_mov_b32_e32 v55, 0
	v_mov_b32_e32 v54, 0
	v_mov_b32_e32 v53, 0
	v_mov_b32_e32 v52, 0
	v_mov_b32_e32 v51, 0
	v_mov_b32_e32 v50, 0
	v_mov_b32_e32 v49, 0
	v_mov_b32_e32 v48, 0
	v_mov_b32_e32 v39, 0
	v_mov_b32_e32 v38, 0
	v_mov_b32_e32 v37, 0
	v_mov_b32_e32 v36, 0
	v_mov_b32_e32 v35, 0
	v_mov_b32_e32 v34, 0
	v_mov_b32_e32 v33, 0
	v_mov_b32_e32 v32, 0
	s_xor_b32 exec_lo, exec_lo, s5
	s_cbranch_execz .LBB228_2141
; %bb.1050:
	buffer_store_dword v31, off, s[0:3], s32 offset:728 ; 4-byte Folded Spill
	buffer_store_dword v101, off, s[0:3], s32 offset:720 ; 4-byte Folded Spill
	;; [unrolled: 1-line block ×3, first 2 shown]
	s_clause 0x1
	buffer_load_dword v0, off, s[0:3], s32 offset:1484
	buffer_load_dword v1, off, s[0:3], s32 offset:1488
	s_ashr_i32 s17, s16, 31
	s_getpc_b64 s[6:7]
	s_add_u32 s6, s6, llvm.amdgcn.dynlds.offset.table@rel32@lo+4
	s_addc_u32 s7, s7, llvm.amdgcn.dynlds.offset.table@rel32@hi+12
	s_lshl_b64 s[18:19], s[16:17], 2
	v_mov_b32_e32 v9, 0
	s_add_u32 s6, s6, s18
	s_addc_u32 s7, s7, s19
	v_mov_b32_e32 v97, 0x80
	v_bfrev_b32_e32 v11, 1
	v_mov_b32_e32 v13, 0x7f800001
	v_mov_b32_e32 v99, 0xff
	;; [unrolled: 1-line block ×34, first 2 shown]
	s_waitcnt vmcnt(0)
	flat_load_dword v96, v[0:1]
	s_clause 0x2
	buffer_load_dword v0, off, s[0:3], s32 offset:1440
	buffer_load_dword v1, off, s[0:3], s32 offset:1496
	;; [unrolled: 1-line block ×3, first 2 shown]
	s_waitcnt vmcnt(3) lgkmcnt(0)
	v_mov_b32_e32 v114, v96
	s_waitcnt vmcnt(2)
	v_lshlrev_b32_e32 v0, 2, v0
	s_waitcnt vmcnt(0)
	v_add_co_u32 v2, vcc_lo, v1, v2
	s_clause 0x1
	buffer_load_dword v1, off, s[0:3], s32 offset:1492
	buffer_load_dword v3, off, s[0:3], s32 offset:1472
	v_and_b32_e32 v4, 28, v0
	v_and_b32_e32 v5, 0x7c, v0
	v_or_b32_e32 v0, 0xf80, v0
	s_waitcnt vmcnt(0)
	v_add_co_ci_u32_e64 v3, null, v1, v3, vcc_lo
	buffer_store_dword v2, off, s[0:3], s32 offset:688 ; 4-byte Folded Spill
	buffer_store_dword v3, off, s[0:3], s32 offset:692 ; 4-byte Folded Spill
	s_clause 0x1
	buffer_load_dword v1, off, s[0:3], s32 offset:1464
	buffer_load_dword v115, off, s[0:3], s32 offset:1444
	buffer_store_dword v102, off, s[0:3], s32 offset:736 ; 4-byte Folded Spill
	buffer_store_dword v5, off, s[0:3], s32 offset:696 ; 4-byte Folded Spill
	;; [unrolled: 1-line block ×3, first 2 shown]
	s_load_dword s4, s[6:7], 0x0
	s_clause 0x1
	buffer_load_dword v5, off, s[0:3], s32 offset:1456
	buffer_load_dword v6, off, s[0:3], s32 offset:1460
	v_lshlrev_b32_e32 v3, 4, v102
	s_mov_b32 s6, 0
	s_waitcnt vmcnt(3)
	v_and_b32_e32 v1, 0x7c, v1
	s_waitcnt vmcnt(2)
	v_lshlrev_b32_e32 v2, 5, v115
	v_lshl_or_b32 v3, v115, 7, v3
	s_waitcnt vmcnt(1)
	v_add_co_u32 v0, vcc_lo, v1, v5
	buffer_load_dword v5, off, s[0:3], s32 offset:1452 ; 4-byte Folded Reload
	s_waitcnt vmcnt(1)
	v_add_co_ci_u32_e64 v1, null, 0, v6, vcc_lo
	v_or3_b32 v112, v2, v4, 3
	s_waitcnt lgkmcnt(0)
	v_add_nc_u32_e32 v113, s4, v3
	s_waitcnt vmcnt(0)
	v_add_co_u32 v0, vcc_lo, v5, v0
	buffer_load_dword v5, off, s[0:3], s32 offset:1448 ; 4-byte Folded Reload
	s_waitcnt vmcnt(0)
	v_add_co_ci_u32_e64 v1, null, v5, v1, vcc_lo
	s_branch .LBB228_1052
.LBB228_1051:                           ;   in Loop: Header=BB228_1052 Depth=1
	s_or_b32 exec_lo, exec_lo, s4
	v_mul_f32_e32 v15, v3, v116
	v_add_nc_u32_e32 v115, 4, v115
	v_add_co_u32 v0, vcc_lo, v0, 16
	v_add_co_ci_u32_e64 v1, null, 0, v1, vcc_lo
	v_fmac_f32_e32 v15, v2, v27
	v_cmp_ge_i32_e32 vcc_lo, v115, v29
	v_add_nc_u32_e32 v112, 0x80, v112
	v_add_nc_u32_e32 v113, 0x200, v113
	v_fmac_f32_e32 v15, v4, v23
	s_or_b32 s6, vcc_lo, s6
	v_fmac_f32_e32 v15, v5, v22
	v_add_f32_e32 v33, v33, v15
	v_mul_f32_e32 v15, v3, v26
	v_fmac_f32_e32 v15, v2, v30
	v_fmac_f32_e32 v15, v4, v25
	;; [unrolled: 1-line block ×3, first 2 shown]
	v_add_f32_e32 v34, v34, v15
	v_mul_f32_e32 v15, v3, v103
	v_fmac_f32_e32 v15, v2, v7
	buffer_load_dword v7, off, s[0:3], s32 offset:672 ; 4-byte Folded Reload
	v_fmac_f32_e32 v15, v4, v6
	v_mul_f32_e32 v6, v3, v126
	v_fmac_f32_e32 v15, v5, v127
	v_fmac_f32_e32 v6, v2, v102
	v_add_f32_e32 v35, v35, v15
	v_fmac_f32_e32 v6, v4, v31
	v_fmac_f32_e32 v6, v5, v125
	v_add_f32_e32 v36, v36, v6
	v_mul_f32_e32 v6, v3, v124
	v_fmac_f32_e32 v6, v2, v123
	v_fmac_f32_e32 v6, v4, v122
	v_fmac_f32_e32 v6, v5, v121
	v_add_f32_e32 v37, v37, v6
	v_mul_f32_e32 v6, v3, v120
	v_fmac_f32_e32 v6, v2, v111
	;; [unrolled: 5-line block ×11, first 2 shown]
	v_fmac_f32_e32 v6, v4, v42
	v_fmac_f32_e32 v6, v5, v41
	v_add_f32_e32 v55, v55, v6
	buffer_load_dword v6, off, s[0:3], s32 offset:680 ; 4-byte Folded Reload
	s_waitcnt vmcnt(0)
	v_mul_f32_e32 v6, v3, v6
	v_fmac_f32_e32 v6, v2, v40
	v_fmac_f32_e32 v6, v4, v119
	;; [unrolled: 1-line block ×3, first 2 shown]
	buffer_load_dword v7, off, s[0:3], s32 offset:656 ; 4-byte Folded Reload
	v_add_f32_e32 v64, v64, v6
	buffer_load_dword v6, off, s[0:3], s32 offset:664 ; 4-byte Folded Reload
	s_waitcnt vmcnt(0)
	v_mul_f32_e32 v6, v3, v6
	v_fmac_f32_e32 v6, v2, v7
	buffer_load_dword v7, off, s[0:3], s32 offset:648 ; 4-byte Folded Reload
	s_waitcnt vmcnt(0)
	v_fmac_f32_e32 v6, v4, v7
	buffer_load_dword v7, off, s[0:3], s32 offset:640 ; 4-byte Folded Reload
	s_waitcnt vmcnt(0)
	v_fmac_f32_e32 v6, v5, v7
	buffer_load_dword v7, off, s[0:3], s32 offset:624 ; 4-byte Folded Reload
	v_add_f32_e32 v65, v65, v6
	buffer_load_dword v6, off, s[0:3], s32 offset:632 ; 4-byte Folded Reload
	s_waitcnt vmcnt(0)
	v_mul_f32_e32 v6, v3, v6
	v_fmac_f32_e32 v6, v2, v7
	buffer_load_dword v7, off, s[0:3], s32 offset:616 ; 4-byte Folded Reload
	s_waitcnt vmcnt(0)
	v_fmac_f32_e32 v6, v4, v7
	buffer_load_dword v7, off, s[0:3], s32 offset:608 ; 4-byte Folded Reload
	s_waitcnt vmcnt(0)
	v_fmac_f32_e32 v6, v5, v7
	;; [unrolled: 12-line block ×14, first 2 shown]
	buffer_load_dword v7, off, s[0:3], s32 offset:216 ; 4-byte Folded Reload
	v_add_f32_e32 v87, v87, v6
	buffer_load_dword v6, off, s[0:3], s32 offset:208 ; 4-byte Folded Reload
	s_waitcnt vmcnt(0)
	v_mul_f32_e32 v6, v3, v6
	v_mul_f32_e32 v3, v3, v14
	v_fmac_f32_e32 v6, v2, v7
	buffer_load_dword v7, off, s[0:3], s32 offset:200 ; 4-byte Folded Reload
	v_fmac_f32_e32 v3, v2, v12
	v_fmac_f32_e32 v3, v4, v10
	v_fmac_f32_e32 v3, v5, v8
	v_add_f32_e32 v32, v32, v3
	s_waitcnt vmcnt(0)
	v_fmac_f32_e32 v6, v4, v7
	buffer_load_dword v7, off, s[0:3], s32 offset:192 ; 4-byte Folded Reload
	s_waitcnt vmcnt(0)
	v_fmac_f32_e32 v6, v5, v7
	v_add_f32_e32 v84, v84, v6
	s_andn2_b32 exec_lo, exec_lo, s6
	s_cbranch_execz .LBB228_2140
.LBB228_1052:                           ; =>This Inner Loop Header: Depth=1
	flat_load_dword v2, v[0:1]
	s_clause 0x2
	buffer_load_dword v3, off, s[0:3], s32 offset:784
	buffer_load_dword v4, off, s[0:3], s32 offset:688
	;; [unrolled: 1-line block ×3, first 2 shown]
	v_mov_b32_e32 v20, 0
	v_mov_b32_e32 v18, 0
	;; [unrolled: 1-line block ×4, first 2 shown]
	s_waitcnt vmcnt(0) lgkmcnt(0)
	v_mad_i64_i32 v[14:15], null, v2, v3, v[4:5]
	buffer_load_dword v2, off, s[0:3], s32 offset:696 ; 4-byte Folded Reload
	s_waitcnt vmcnt(0)
	v_add_co_u32 v16, vcc_lo, v14, v2
	v_add_co_ci_u32_e64 v17, null, 0, v15, vcc_lo
	ds_read_b128 v[2:5], v113
	flat_load_dword v6, v[16:17]
	s_waitcnt vmcnt(0) lgkmcnt(0)
	v_cmp_ne_u16_sdwa s7, v6, v9 src0_sel:BYTE_0 src1_sel:DWORD
	s_and_saveexec_b32 s4, s7
	s_cbranch_execz .LBB228_1060
; %bb.1053:                             ;   in Loop: Header=BB228_1052 Depth=1
	v_bfrev_b32_e32 v18, 1
	v_mov_b32_e32 v19, 0
	v_cmp_ne_u16_sdwa s13, v6, v97 src0_sel:BYTE_0 src1_sel:DWORD
	s_and_saveexec_b32 s7, s13
	s_cbranch_execz .LBB228_1059
; %bb.1054:                             ;   in Loop: Header=BB228_1052 Depth=1
	v_mov_b32_e32 v18, 0x7f800001
	v_and_b32_e32 v10, 0x7f, v6
	v_mov_b32_e32 v19, 0
	s_mov_b32 s13, exec_lo
	v_cmpx_ne_u32_e32 0x7f, v10
	s_cbranch_execz .LBB228_1058
; %bb.1055:                             ;   in Loop: Header=BB228_1052 Depth=1
	v_and_b32_e32 v8, 7, v6
	v_lshrrev_b32_e32 v7, 3, v10
	s_mov_b32 s15, exec_lo
	v_cmpx_gt_u32_e32 8, v10
; %bb.1056:                             ;   in Loop: Header=BB228_1052 Depth=1
	v_ffbh_u32_e32 v7, v8
	v_min_u32_e32 v7, 32, v7
	v_subrev_nc_u32_e32 v10, 28, v7
	v_sub_nc_u32_e32 v7, 29, v7
	v_lshlrev_b64 v[18:19], v10, v[8:9]
	v_and_b32_e32 v8, 7, v18
; %bb.1057:                             ;   in Loop: Header=BB228_1052 Depth=1
	s_or_b32 exec_lo, exec_lo, s15
	v_lshlrev_b32_e32 v10, 24, v6
	v_lshlrev_b32_e32 v8, 20, v8
	v_lshl_add_u32 v7, v7, 23, 0x3c000000
	v_and_b32_e32 v10, 0x80000000, v10
	v_or3_b32 v8, v8, v10, v7
	v_mov_b32_e32 v19, v9
	v_mov_b32_e32 v18, v8
.LBB228_1058:                           ;   in Loop: Header=BB228_1052 Depth=1
	s_or_b32 exec_lo, exec_lo, s13
.LBB228_1059:                           ;   in Loop: Header=BB228_1052 Depth=1
	s_or_b32 exec_lo, exec_lo, s7
.LBB228_1060:                           ;   in Loop: Header=BB228_1052 Depth=1
	s_or_b32 exec_lo, exec_lo, s4
	v_cmp_ne_u16_sdwa s7, v6, v9 src0_sel:BYTE_1 src1_sel:DWORD
	s_and_saveexec_b32 s4, s7
	s_cbranch_execz .LBB228_1068
; %bb.1061:                             ;   in Loop: Header=BB228_1052 Depth=1
	v_mov_b32_e32 v10, v9
	v_mov_b32_e32 v21, v11
	v_cmp_ne_u16_sdwa s13, v6, v97 src0_sel:BYTE_1 src1_sel:DWORD
	v_mov_b32_e32 v20, v10
	s_and_saveexec_b32 s7, s13
	s_cbranch_execz .LBB228_1067
; %bb.1062:                             ;   in Loop: Header=BB228_1052 Depth=1
	v_mov_b32_e32 v7, 0xffff
	v_mov_b32_e32 v12, v9
	;; [unrolled: 1-line block ×3, first 2 shown]
	s_mov_b32 s13, exec_lo
	v_and_b32_sdwa v7, v7, v6 dst_sel:DWORD dst_unused:UNUSED_PAD src0_sel:DWORD src1_sel:BYTE_1
	v_mov_b32_e32 v20, v12
	v_and_b32_e32 v10, 0x7f, v7
	v_cmpx_ne_u32_e32 0x7f, v10
	s_cbranch_execz .LBB228_1066
; %bb.1063:                             ;   in Loop: Header=BB228_1052 Depth=1
	v_and_b32_e32 v8, 7, v7
	v_lshrrev_b32_e32 v7, 3, v10
	s_mov_b32 s15, exec_lo
	v_cmpx_gt_u32_e32 8, v10
; %bb.1064:                             ;   in Loop: Header=BB228_1052 Depth=1
	v_ffbh_u32_e32 v7, v8
	v_min_u32_e32 v7, 32, v7
	v_subrev_nc_u32_e32 v10, 28, v7
	v_sub_nc_u32_e32 v7, 29, v7
	v_lshlrev_b64 v[20:21], v10, v[8:9]
	v_and_b32_e32 v8, 7, v20
; %bb.1065:                             ;   in Loop: Header=BB228_1052 Depth=1
	s_or_b32 exec_lo, exec_lo, s15
	v_lshlrev_b32_e32 v10, 16, v6
	v_lshlrev_b32_e32 v8, 20, v8
	v_lshl_add_u32 v7, v7, 23, 0x3c000000
	v_mov_b32_e32 v20, v9
	v_and_b32_e32 v10, 0x80000000, v10
	v_or3_b32 v21, v8, v10, v7
.LBB228_1066:                           ;   in Loop: Header=BB228_1052 Depth=1
	s_or_b32 exec_lo, exec_lo, s13
.LBB228_1067:                           ;   in Loop: Header=BB228_1052 Depth=1
	s_or_b32 exec_lo, exec_lo, s7
.LBB228_1068:                           ;   in Loop: Header=BB228_1052 Depth=1
	s_or_b32 exec_lo, exec_lo, s4
	v_mov_b32_e32 v24, 0
	v_mov_b32_e32 v22, 0
	v_and_b32_sdwa v7, v6, v99 dst_sel:DWORD dst_unused:UNUSED_PAD src0_sel:WORD_1 src1_sel:DWORD
	v_mov_b32_e32 v25, 0
	v_mov_b32_e32 v23, 0
	s_mov_b32 s4, exec_lo
	v_cmpx_ne_u16_e32 0, v7
	s_cbranch_execz .LBB228_1076
; %bb.1069:                             ;   in Loop: Header=BB228_1052 Depth=1
	v_bfrev_b32_e32 v22, 1
	v_mov_b32_e32 v23, 0
	s_mov_b32 s7, exec_lo
	v_cmpx_ne_u16_e32 0x80, v7
	s_cbranch_execz .LBB228_1075
; %bb.1070:                             ;   in Loop: Header=BB228_1052 Depth=1
	v_mov_b32_e32 v22, 0x7f800001
	v_bfe_u32 v10, v6, 16, 7
	v_mov_b32_e32 v23, 0
	s_mov_b32 s13, exec_lo
	v_cmpx_ne_u32_e32 0x7f, v10
	s_cbranch_execz .LBB228_1074
; %bb.1071:                             ;   in Loop: Header=BB228_1052 Depth=1
	v_mov_b32_e32 v7, 7
	s_mov_b32 s15, exec_lo
	v_and_b32_sdwa v8, v6, v7 dst_sel:DWORD dst_unused:UNUSED_PAD src0_sel:WORD_1 src1_sel:DWORD
	v_lshrrev_b32_e32 v7, 3, v10
	v_cmpx_gt_u32_e32 8, v10
; %bb.1072:                             ;   in Loop: Header=BB228_1052 Depth=1
	v_ffbh_u32_e32 v7, v8
	v_min_u32_e32 v7, 32, v7
	v_subrev_nc_u32_e32 v10, 28, v7
	v_sub_nc_u32_e32 v7, 29, v7
	v_lshlrev_b64 v[22:23], v10, v[8:9]
	v_and_b32_e32 v8, 7, v22
; %bb.1073:                             ;   in Loop: Header=BB228_1052 Depth=1
	s_or_b32 exec_lo, exec_lo, s15
	v_mov_b32_e32 v10, 24
	v_lshlrev_b32_e32 v8, 20, v8
	v_lshl_add_u32 v7, v7, 23, 0x3c000000
	v_lshlrev_b32_sdwa v10, v10, v6 dst_sel:DWORD dst_unused:UNUSED_PAD src0_sel:DWORD src1_sel:WORD_1
	v_and_b32_e32 v10, 0x80000000, v10
	v_or3_b32 v8, v8, v10, v7
	v_mov_b32_e32 v23, v9
	v_mov_b32_e32 v22, v8
.LBB228_1074:                           ;   in Loop: Header=BB228_1052 Depth=1
	s_or_b32 exec_lo, exec_lo, s13
.LBB228_1075:                           ;   in Loop: Header=BB228_1052 Depth=1
	s_or_b32 exec_lo, exec_lo, s7
.LBB228_1076:                           ;   in Loop: Header=BB228_1052 Depth=1
	s_or_b32 exec_lo, exec_lo, s4
	s_mov_b32 s4, exec_lo
	v_cmpx_lt_u32_e32 0xffffff, v6
	s_cbranch_execz .LBB228_1084
; %bb.1077:                             ;   in Loop: Header=BB228_1052 Depth=1
	v_mov_b32_e32 v10, v9
	v_mov_b32_e32 v25, v11
	v_cmp_ne_u32_sdwa s13, v6, v97 src0_sel:BYTE_3 src1_sel:DWORD
	v_mov_b32_e32 v24, v10
	s_and_saveexec_b32 s7, s13
	s_cbranch_execz .LBB228_1083
; %bb.1078:                             ;   in Loop: Header=BB228_1052 Depth=1
	v_mov_b32_e32 v12, v9
	v_mov_b32_e32 v25, v13
	v_bfe_u32 v10, v6, 24, 7
	s_mov_b32 s13, exec_lo
	v_mov_b32_e32 v24, v12
	v_cmpx_ne_u32_e32 0x7f, v10
	s_cbranch_execz .LBB228_1082
; %bb.1079:                             ;   in Loop: Header=BB228_1052 Depth=1
	v_mov_b32_e32 v7, 7
	s_mov_b32 s15, exec_lo
	v_and_b32_sdwa v8, v6, v7 dst_sel:DWORD dst_unused:UNUSED_PAD src0_sel:BYTE_3 src1_sel:DWORD
	v_lshrrev_b32_e32 v7, 3, v10
	v_cmpx_gt_u32_e32 8, v10
; %bb.1080:                             ;   in Loop: Header=BB228_1052 Depth=1
	v_ffbh_u32_e32 v7, v8
	v_min_u32_e32 v7, 32, v7
	v_subrev_nc_u32_e32 v10, 28, v7
	v_sub_nc_u32_e32 v7, 29, v7
	v_lshlrev_b64 v[24:25], v10, v[8:9]
	v_and_b32_e32 v8, 7, v24
; %bb.1081:                             ;   in Loop: Header=BB228_1052 Depth=1
	s_or_b32 exec_lo, exec_lo, s15
	v_mov_b32_e32 v10, 24
	v_lshlrev_b32_e32 v8, 20, v8
	v_lshl_add_u32 v7, v7, 23, 0x3c000000
	v_mov_b32_e32 v24, v9
	v_lshlrev_b32_sdwa v6, v10, v6 dst_sel:DWORD dst_unused:UNUSED_PAD src0_sel:DWORD src1_sel:BYTE_3
	v_and_b32_e32 v6, 0x80000000, v6
	v_or3_b32 v25, v8, v6, v7
.LBB228_1082:                           ;   in Loop: Header=BB228_1052 Depth=1
	s_or_b32 exec_lo, exec_lo, s13
.LBB228_1083:                           ;   in Loop: Header=BB228_1052 Depth=1
	s_or_b32 exec_lo, exec_lo, s7
.LBB228_1084:                           ;   in Loop: Header=BB228_1052 Depth=1
	s_or_b32 exec_lo, exec_lo, s4
	v_add_nc_u32_e32 v6, -1, v29
	v_or_b32_e32 v7, v21, v19
	v_or_b32_e32 v8, v20, v18
	;; [unrolled: 1-line block ×4, first 2 shown]
	v_cmp_eq_u32_e32 vcc_lo, v6, v115
	v_mul_f32_e32 v6, v114, v7
	v_add_nc_u32_e32 v47, -3, v112
	v_add_nc_u32_e32 v57, -2, v112
	;; [unrolled: 1-line block ×3, first 2 shown]
	buffer_store_dword v6, off, s[0:3], s32 offset:208 ; 4-byte Folded Spill
	v_mul_f32_e32 v6, v96, v8
	buffer_store_dword v6, off, s[0:3], s32 offset:216 ; 4-byte Folded Spill
	v_mul_f32_e32 v6, v96, v10
	;; [unrolled: 2-line block ×3, first 2 shown]
	buffer_store_dword v6, off, s[0:3], s32 offset:192 ; 4-byte Folded Spill
	s_and_saveexec_b32 s7, vcc_lo
	s_cbranch_execz .LBB228_1086
; %bb.1085:                             ;   in Loop: Header=BB228_1052 Depth=1
	buffer_load_dword v6, off, s[0:3], s32 offset:216 ; 4-byte Folded Reload
	v_cmp_lt_i32_e64 s4, v47, v28
	s_waitcnt vmcnt(0)
	v_cndmask_b32_e64 v6, 0, v6, s4
	v_cmp_lt_i32_e64 s4, v57, v28
	buffer_store_dword v6, off, s[0:3], s32 offset:216 ; 4-byte Folded Spill
	buffer_load_dword v6, off, s[0:3], s32 offset:208 ; 4-byte Folded Reload
	s_waitcnt vmcnt(0)
	v_cndmask_b32_e64 v6, 0, v6, s4
	v_cmp_lt_i32_e64 s4, v56, v28
	buffer_store_dword v6, off, s[0:3], s32 offset:208 ; 4-byte Folded Spill
	buffer_load_dword v6, off, s[0:3], s32 offset:200 ; 4-byte Folded Reload
	s_waitcnt vmcnt(0)
	v_cndmask_b32_e64 v6, 0, v6, s4
	v_cmp_lt_i32_e64 s4, v112, v28
	buffer_store_dword v6, off, s[0:3], s32 offset:200 ; 4-byte Folded Spill
	buffer_load_dword v6, off, s[0:3], s32 offset:192 ; 4-byte Folded Reload
	s_waitcnt vmcnt(0)
	v_cndmask_b32_e64 v6, 0, v6, s4
	buffer_store_dword v6, off, s[0:3], s32 offset:192 ; 4-byte Folded Spill
.LBB228_1086:                           ;   in Loop: Header=BB228_1052 Depth=1
	s_or_b32 exec_lo, exec_lo, s7
	flat_load_dword v6, v[16:17] offset:128
	v_mov_b32_e32 v20, 0
	v_mov_b32_e32 v18, 0
	;; [unrolled: 1-line block ×4, first 2 shown]
	s_waitcnt vmcnt(0) lgkmcnt(0)
	v_cmp_ne_u16_sdwa s4, v6, v9 src0_sel:BYTE_0 src1_sel:DWORD
	s_and_saveexec_b32 s7, s4
	s_cbranch_execz .LBB228_1094
; %bb.1087:                             ;   in Loop: Header=BB228_1052 Depth=1
	v_bfrev_b32_e32 v18, 1
	v_mov_b32_e32 v19, 0
	v_cmp_ne_u16_sdwa s4, v6, v97 src0_sel:BYTE_0 src1_sel:DWORD
	s_and_saveexec_b32 s13, s4
	s_cbranch_execz .LBB228_1093
; %bb.1088:                             ;   in Loop: Header=BB228_1052 Depth=1
	v_mov_b32_e32 v18, 0x7f800001
	v_and_b32_e32 v10, 0x7f, v6
	v_mov_b32_e32 v19, 0
	s_mov_b32 s15, exec_lo
	v_cmpx_ne_u32_e32 0x7f, v10
	s_cbranch_execz .LBB228_1092
; %bb.1089:                             ;   in Loop: Header=BB228_1052 Depth=1
	v_and_b32_e32 v8, 7, v6
	v_lshrrev_b32_e32 v7, 3, v10
	s_mov_b32 s18, exec_lo
	v_cmpx_gt_u32_e32 8, v10
; %bb.1090:                             ;   in Loop: Header=BB228_1052 Depth=1
	v_ffbh_u32_e32 v7, v8
	v_min_u32_e32 v7, 32, v7
	v_subrev_nc_u32_e32 v10, 28, v7
	v_sub_nc_u32_e32 v7, 29, v7
	v_lshlrev_b64 v[18:19], v10, v[8:9]
	v_and_b32_e32 v8, 7, v18
; %bb.1091:                             ;   in Loop: Header=BB228_1052 Depth=1
	s_or_b32 exec_lo, exec_lo, s18
	v_lshlrev_b32_e32 v10, 24, v6
	v_lshlrev_b32_e32 v8, 20, v8
	v_lshl_add_u32 v7, v7, 23, 0x3c000000
	v_and_b32_e32 v10, 0x80000000, v10
	v_or3_b32 v8, v8, v10, v7
	v_mov_b32_e32 v19, v9
	v_mov_b32_e32 v18, v8
.LBB228_1092:                           ;   in Loop: Header=BB228_1052 Depth=1
	s_or_b32 exec_lo, exec_lo, s15
.LBB228_1093:                           ;   in Loop: Header=BB228_1052 Depth=1
	s_or_b32 exec_lo, exec_lo, s13
.LBB228_1094:                           ;   in Loop: Header=BB228_1052 Depth=1
	s_or_b32 exec_lo, exec_lo, s7
	v_cmp_ne_u16_sdwa s4, v6, v9 src0_sel:BYTE_1 src1_sel:DWORD
	s_and_saveexec_b32 s7, s4
	s_cbranch_execz .LBB228_1102
; %bb.1095:                             ;   in Loop: Header=BB228_1052 Depth=1
	v_mov_b32_e32 v10, v9
	v_mov_b32_e32 v21, v11
	v_cmp_ne_u16_sdwa s4, v6, v97 src0_sel:BYTE_1 src1_sel:DWORD
	v_mov_b32_e32 v20, v10
	s_and_saveexec_b32 s13, s4
	s_cbranch_execz .LBB228_1101
; %bb.1096:                             ;   in Loop: Header=BB228_1052 Depth=1
	v_mov_b32_e32 v7, 0xffff
	v_mov_b32_e32 v12, v9
	;; [unrolled: 1-line block ×3, first 2 shown]
	s_mov_b32 s15, exec_lo
	v_and_b32_sdwa v7, v7, v6 dst_sel:DWORD dst_unused:UNUSED_PAD src0_sel:DWORD src1_sel:BYTE_1
	v_mov_b32_e32 v20, v12
	v_and_b32_e32 v10, 0x7f, v7
	v_cmpx_ne_u32_e32 0x7f, v10
	s_cbranch_execz .LBB228_1100
; %bb.1097:                             ;   in Loop: Header=BB228_1052 Depth=1
	v_and_b32_e32 v8, 7, v7
	v_lshrrev_b32_e32 v7, 3, v10
	s_mov_b32 s18, exec_lo
	v_cmpx_gt_u32_e32 8, v10
; %bb.1098:                             ;   in Loop: Header=BB228_1052 Depth=1
	v_ffbh_u32_e32 v7, v8
	v_min_u32_e32 v7, 32, v7
	v_subrev_nc_u32_e32 v10, 28, v7
	v_sub_nc_u32_e32 v7, 29, v7
	v_lshlrev_b64 v[20:21], v10, v[8:9]
	v_and_b32_e32 v8, 7, v20
; %bb.1099:                             ;   in Loop: Header=BB228_1052 Depth=1
	s_or_b32 exec_lo, exec_lo, s18
	v_lshlrev_b32_e32 v10, 16, v6
	v_lshlrev_b32_e32 v8, 20, v8
	v_lshl_add_u32 v7, v7, 23, 0x3c000000
	v_mov_b32_e32 v20, v9
	v_and_b32_e32 v10, 0x80000000, v10
	v_or3_b32 v21, v8, v10, v7
.LBB228_1100:                           ;   in Loop: Header=BB228_1052 Depth=1
	s_or_b32 exec_lo, exec_lo, s15
.LBB228_1101:                           ;   in Loop: Header=BB228_1052 Depth=1
	s_or_b32 exec_lo, exec_lo, s13
.LBB228_1102:                           ;   in Loop: Header=BB228_1052 Depth=1
	s_or_b32 exec_lo, exec_lo, s7
	v_mov_b32_e32 v24, 0
	v_mov_b32_e32 v22, 0
	v_and_b32_sdwa v7, v6, v99 dst_sel:DWORD dst_unused:UNUSED_PAD src0_sel:WORD_1 src1_sel:DWORD
	v_mov_b32_e32 v25, 0
	v_mov_b32_e32 v23, 0
	s_mov_b32 s7, exec_lo
	v_cmpx_ne_u16_e32 0, v7
	s_cbranch_execz .LBB228_1110
; %bb.1103:                             ;   in Loop: Header=BB228_1052 Depth=1
	v_bfrev_b32_e32 v22, 1
	v_mov_b32_e32 v23, 0
	s_mov_b32 s13, exec_lo
	v_cmpx_ne_u16_e32 0x80, v7
	s_cbranch_execz .LBB228_1109
; %bb.1104:                             ;   in Loop: Header=BB228_1052 Depth=1
	v_mov_b32_e32 v22, 0x7f800001
	v_bfe_u32 v10, v6, 16, 7
	v_mov_b32_e32 v23, 0
	s_mov_b32 s15, exec_lo
	v_cmpx_ne_u32_e32 0x7f, v10
	s_cbranch_execz .LBB228_1108
; %bb.1105:                             ;   in Loop: Header=BB228_1052 Depth=1
	v_mov_b32_e32 v7, 7
	s_mov_b32 s18, exec_lo
	v_and_b32_sdwa v8, v6, v7 dst_sel:DWORD dst_unused:UNUSED_PAD src0_sel:WORD_1 src1_sel:DWORD
	v_lshrrev_b32_e32 v7, 3, v10
	v_cmpx_gt_u32_e32 8, v10
; %bb.1106:                             ;   in Loop: Header=BB228_1052 Depth=1
	v_ffbh_u32_e32 v7, v8
	v_min_u32_e32 v7, 32, v7
	v_subrev_nc_u32_e32 v10, 28, v7
	v_sub_nc_u32_e32 v7, 29, v7
	v_lshlrev_b64 v[22:23], v10, v[8:9]
	v_and_b32_e32 v8, 7, v22
; %bb.1107:                             ;   in Loop: Header=BB228_1052 Depth=1
	s_or_b32 exec_lo, exec_lo, s18
	v_mov_b32_e32 v10, 24
	v_lshlrev_b32_e32 v8, 20, v8
	v_lshl_add_u32 v7, v7, 23, 0x3c000000
	v_lshlrev_b32_sdwa v10, v10, v6 dst_sel:DWORD dst_unused:UNUSED_PAD src0_sel:DWORD src1_sel:WORD_1
	v_and_b32_e32 v10, 0x80000000, v10
	v_or3_b32 v8, v8, v10, v7
	v_mov_b32_e32 v23, v9
	v_mov_b32_e32 v22, v8
.LBB228_1108:                           ;   in Loop: Header=BB228_1052 Depth=1
	s_or_b32 exec_lo, exec_lo, s15
.LBB228_1109:                           ;   in Loop: Header=BB228_1052 Depth=1
	s_or_b32 exec_lo, exec_lo, s13
.LBB228_1110:                           ;   in Loop: Header=BB228_1052 Depth=1
	s_or_b32 exec_lo, exec_lo, s7
	s_mov_b32 s7, exec_lo
	v_cmpx_lt_u32_e32 0xffffff, v6
	s_cbranch_execz .LBB228_1118
; %bb.1111:                             ;   in Loop: Header=BB228_1052 Depth=1
	v_mov_b32_e32 v10, v9
	v_mov_b32_e32 v25, v11
	v_cmp_ne_u32_sdwa s4, v6, v97 src0_sel:BYTE_3 src1_sel:DWORD
	v_mov_b32_e32 v24, v10
	s_and_saveexec_b32 s13, s4
	s_cbranch_execz .LBB228_1117
; %bb.1112:                             ;   in Loop: Header=BB228_1052 Depth=1
	v_mov_b32_e32 v12, v9
	v_mov_b32_e32 v25, v13
	v_bfe_u32 v10, v6, 24, 7
	s_mov_b32 s15, exec_lo
	v_mov_b32_e32 v24, v12
	v_cmpx_ne_u32_e32 0x7f, v10
	s_cbranch_execz .LBB228_1116
; %bb.1113:                             ;   in Loop: Header=BB228_1052 Depth=1
	v_mov_b32_e32 v7, 7
	s_mov_b32 s18, exec_lo
	v_and_b32_sdwa v8, v6, v7 dst_sel:DWORD dst_unused:UNUSED_PAD src0_sel:BYTE_3 src1_sel:DWORD
	v_lshrrev_b32_e32 v7, 3, v10
	v_cmpx_gt_u32_e32 8, v10
; %bb.1114:                             ;   in Loop: Header=BB228_1052 Depth=1
	v_ffbh_u32_e32 v7, v8
	v_min_u32_e32 v7, 32, v7
	v_subrev_nc_u32_e32 v10, 28, v7
	v_sub_nc_u32_e32 v7, 29, v7
	v_lshlrev_b64 v[24:25], v10, v[8:9]
	v_and_b32_e32 v8, 7, v24
; %bb.1115:                             ;   in Loop: Header=BB228_1052 Depth=1
	s_or_b32 exec_lo, exec_lo, s18
	v_mov_b32_e32 v10, 24
	v_lshlrev_b32_e32 v8, 20, v8
	v_lshl_add_u32 v7, v7, 23, 0x3c000000
	v_mov_b32_e32 v24, v9
	v_lshlrev_b32_sdwa v6, v10, v6 dst_sel:DWORD dst_unused:UNUSED_PAD src0_sel:DWORD src1_sel:BYTE_3
	v_and_b32_e32 v6, 0x80000000, v6
	v_or3_b32 v25, v8, v6, v7
.LBB228_1116:                           ;   in Loop: Header=BB228_1052 Depth=1
	s_or_b32 exec_lo, exec_lo, s15
.LBB228_1117:                           ;   in Loop: Header=BB228_1052 Depth=1
	s_or_b32 exec_lo, exec_lo, s13
.LBB228_1118:                           ;   in Loop: Header=BB228_1052 Depth=1
	s_or_b32 exec_lo, exec_lo, s7
	v_or_b32_e32 v6, v21, v19
	v_or_b32_e32 v7, v20, v18
	v_or_b32_e32 v8, v24, v22
	v_or_b32_e32 v10, v25, v23
	v_mul_f32_e32 v6, v114, v6
	buffer_store_dword v6, off, s[0:3], s32 offset:240 ; 4-byte Folded Spill
	v_mul_f32_e32 v6, v96, v7
	buffer_store_dword v6, off, s[0:3], s32 offset:248 ; 4-byte Folded Spill
	;; [unrolled: 2-line block ×4, first 2 shown]
	s_and_saveexec_b32 s7, vcc_lo
	s_cbranch_execz .LBB228_1120
; %bb.1119:                             ;   in Loop: Header=BB228_1052 Depth=1
	buffer_load_dword v6, off, s[0:3], s32 offset:248 ; 4-byte Folded Reload
	v_cmp_lt_i32_e64 s4, v47, v28
	s_waitcnt vmcnt(0)
	v_cndmask_b32_e64 v6, 0, v6, s4
	v_cmp_lt_i32_e64 s4, v57, v28
	buffer_store_dword v6, off, s[0:3], s32 offset:248 ; 4-byte Folded Spill
	buffer_load_dword v6, off, s[0:3], s32 offset:240 ; 4-byte Folded Reload
	s_waitcnt vmcnt(0)
	v_cndmask_b32_e64 v6, 0, v6, s4
	v_cmp_lt_i32_e64 s4, v56, v28
	buffer_store_dword v6, off, s[0:3], s32 offset:240 ; 4-byte Folded Spill
	buffer_load_dword v6, off, s[0:3], s32 offset:232 ; 4-byte Folded Reload
	;; [unrolled: 5-line block ×3, first 2 shown]
	s_waitcnt vmcnt(0)
	v_cndmask_b32_e64 v6, 0, v6, s4
	buffer_store_dword v6, off, s[0:3], s32 offset:224 ; 4-byte Folded Spill
.LBB228_1120:                           ;   in Loop: Header=BB228_1052 Depth=1
	s_or_b32 exec_lo, exec_lo, s7
	flat_load_dword v6, v[16:17] offset:256
	v_mov_b32_e32 v20, 0
	v_mov_b32_e32 v18, 0
	;; [unrolled: 1-line block ×4, first 2 shown]
	s_waitcnt vmcnt(0) lgkmcnt(0)
	v_cmp_ne_u16_sdwa s4, v6, v9 src0_sel:BYTE_0 src1_sel:DWORD
	s_and_saveexec_b32 s7, s4
	s_cbranch_execz .LBB228_1128
; %bb.1121:                             ;   in Loop: Header=BB228_1052 Depth=1
	v_bfrev_b32_e32 v18, 1
	v_mov_b32_e32 v19, 0
	v_cmp_ne_u16_sdwa s4, v6, v97 src0_sel:BYTE_0 src1_sel:DWORD
	s_and_saveexec_b32 s13, s4
	s_cbranch_execz .LBB228_1127
; %bb.1122:                             ;   in Loop: Header=BB228_1052 Depth=1
	v_mov_b32_e32 v18, 0x7f800001
	v_and_b32_e32 v10, 0x7f, v6
	v_mov_b32_e32 v19, 0
	s_mov_b32 s15, exec_lo
	v_cmpx_ne_u32_e32 0x7f, v10
	s_cbranch_execz .LBB228_1126
; %bb.1123:                             ;   in Loop: Header=BB228_1052 Depth=1
	v_and_b32_e32 v8, 7, v6
	v_lshrrev_b32_e32 v7, 3, v10
	s_mov_b32 s18, exec_lo
	v_cmpx_gt_u32_e32 8, v10
; %bb.1124:                             ;   in Loop: Header=BB228_1052 Depth=1
	v_ffbh_u32_e32 v7, v8
	v_min_u32_e32 v7, 32, v7
	v_subrev_nc_u32_e32 v10, 28, v7
	v_sub_nc_u32_e32 v7, 29, v7
	v_lshlrev_b64 v[18:19], v10, v[8:9]
	v_and_b32_e32 v8, 7, v18
; %bb.1125:                             ;   in Loop: Header=BB228_1052 Depth=1
	s_or_b32 exec_lo, exec_lo, s18
	v_lshlrev_b32_e32 v10, 24, v6
	v_lshlrev_b32_e32 v8, 20, v8
	v_lshl_add_u32 v7, v7, 23, 0x3c000000
	v_and_b32_e32 v10, 0x80000000, v10
	v_or3_b32 v8, v8, v10, v7
	v_mov_b32_e32 v19, v9
	v_mov_b32_e32 v18, v8
.LBB228_1126:                           ;   in Loop: Header=BB228_1052 Depth=1
	s_or_b32 exec_lo, exec_lo, s15
.LBB228_1127:                           ;   in Loop: Header=BB228_1052 Depth=1
	s_or_b32 exec_lo, exec_lo, s13
.LBB228_1128:                           ;   in Loop: Header=BB228_1052 Depth=1
	s_or_b32 exec_lo, exec_lo, s7
	v_cmp_ne_u16_sdwa s4, v6, v9 src0_sel:BYTE_1 src1_sel:DWORD
	s_and_saveexec_b32 s7, s4
	s_cbranch_execz .LBB228_1136
; %bb.1129:                             ;   in Loop: Header=BB228_1052 Depth=1
	v_mov_b32_e32 v10, v9
	v_mov_b32_e32 v21, v11
	v_cmp_ne_u16_sdwa s4, v6, v97 src0_sel:BYTE_1 src1_sel:DWORD
	v_mov_b32_e32 v20, v10
	s_and_saveexec_b32 s13, s4
	s_cbranch_execz .LBB228_1135
; %bb.1130:                             ;   in Loop: Header=BB228_1052 Depth=1
	v_mov_b32_e32 v7, 0xffff
	v_mov_b32_e32 v12, v9
	;; [unrolled: 1-line block ×3, first 2 shown]
	s_mov_b32 s15, exec_lo
	v_and_b32_sdwa v7, v7, v6 dst_sel:DWORD dst_unused:UNUSED_PAD src0_sel:DWORD src1_sel:BYTE_1
	v_mov_b32_e32 v20, v12
	v_and_b32_e32 v10, 0x7f, v7
	v_cmpx_ne_u32_e32 0x7f, v10
	s_cbranch_execz .LBB228_1134
; %bb.1131:                             ;   in Loop: Header=BB228_1052 Depth=1
	v_and_b32_e32 v8, 7, v7
	v_lshrrev_b32_e32 v7, 3, v10
	s_mov_b32 s18, exec_lo
	v_cmpx_gt_u32_e32 8, v10
; %bb.1132:                             ;   in Loop: Header=BB228_1052 Depth=1
	v_ffbh_u32_e32 v7, v8
	v_min_u32_e32 v7, 32, v7
	v_subrev_nc_u32_e32 v10, 28, v7
	v_sub_nc_u32_e32 v7, 29, v7
	v_lshlrev_b64 v[20:21], v10, v[8:9]
	v_and_b32_e32 v8, 7, v20
; %bb.1133:                             ;   in Loop: Header=BB228_1052 Depth=1
	s_or_b32 exec_lo, exec_lo, s18
	v_lshlrev_b32_e32 v10, 16, v6
	v_lshlrev_b32_e32 v8, 20, v8
	v_lshl_add_u32 v7, v7, 23, 0x3c000000
	v_mov_b32_e32 v20, v9
	v_and_b32_e32 v10, 0x80000000, v10
	v_or3_b32 v21, v8, v10, v7
.LBB228_1134:                           ;   in Loop: Header=BB228_1052 Depth=1
	s_or_b32 exec_lo, exec_lo, s15
.LBB228_1135:                           ;   in Loop: Header=BB228_1052 Depth=1
	s_or_b32 exec_lo, exec_lo, s13
.LBB228_1136:                           ;   in Loop: Header=BB228_1052 Depth=1
	s_or_b32 exec_lo, exec_lo, s7
	v_mov_b32_e32 v24, 0
	v_mov_b32_e32 v22, 0
	v_and_b32_sdwa v7, v6, v99 dst_sel:DWORD dst_unused:UNUSED_PAD src0_sel:WORD_1 src1_sel:DWORD
	v_mov_b32_e32 v25, 0
	v_mov_b32_e32 v23, 0
	s_mov_b32 s7, exec_lo
	v_cmpx_ne_u16_e32 0, v7
	s_cbranch_execz .LBB228_1144
; %bb.1137:                             ;   in Loop: Header=BB228_1052 Depth=1
	v_bfrev_b32_e32 v22, 1
	v_mov_b32_e32 v23, 0
	s_mov_b32 s13, exec_lo
	v_cmpx_ne_u16_e32 0x80, v7
	s_cbranch_execz .LBB228_1143
; %bb.1138:                             ;   in Loop: Header=BB228_1052 Depth=1
	v_mov_b32_e32 v22, 0x7f800001
	v_bfe_u32 v10, v6, 16, 7
	v_mov_b32_e32 v23, 0
	s_mov_b32 s15, exec_lo
	v_cmpx_ne_u32_e32 0x7f, v10
	s_cbranch_execz .LBB228_1142
; %bb.1139:                             ;   in Loop: Header=BB228_1052 Depth=1
	v_mov_b32_e32 v7, 7
	s_mov_b32 s18, exec_lo
	v_and_b32_sdwa v8, v6, v7 dst_sel:DWORD dst_unused:UNUSED_PAD src0_sel:WORD_1 src1_sel:DWORD
	v_lshrrev_b32_e32 v7, 3, v10
	v_cmpx_gt_u32_e32 8, v10
; %bb.1140:                             ;   in Loop: Header=BB228_1052 Depth=1
	v_ffbh_u32_e32 v7, v8
	v_min_u32_e32 v7, 32, v7
	v_subrev_nc_u32_e32 v10, 28, v7
	v_sub_nc_u32_e32 v7, 29, v7
	v_lshlrev_b64 v[22:23], v10, v[8:9]
	v_and_b32_e32 v8, 7, v22
; %bb.1141:                             ;   in Loop: Header=BB228_1052 Depth=1
	s_or_b32 exec_lo, exec_lo, s18
	v_mov_b32_e32 v10, 24
	v_lshlrev_b32_e32 v8, 20, v8
	v_lshl_add_u32 v7, v7, 23, 0x3c000000
	v_lshlrev_b32_sdwa v10, v10, v6 dst_sel:DWORD dst_unused:UNUSED_PAD src0_sel:DWORD src1_sel:WORD_1
	v_and_b32_e32 v10, 0x80000000, v10
	v_or3_b32 v8, v8, v10, v7
	v_mov_b32_e32 v23, v9
	v_mov_b32_e32 v22, v8
.LBB228_1142:                           ;   in Loop: Header=BB228_1052 Depth=1
	s_or_b32 exec_lo, exec_lo, s15
.LBB228_1143:                           ;   in Loop: Header=BB228_1052 Depth=1
	s_or_b32 exec_lo, exec_lo, s13
.LBB228_1144:                           ;   in Loop: Header=BB228_1052 Depth=1
	s_or_b32 exec_lo, exec_lo, s7
	s_mov_b32 s7, exec_lo
	v_cmpx_lt_u32_e32 0xffffff, v6
	s_cbranch_execz .LBB228_1152
; %bb.1145:                             ;   in Loop: Header=BB228_1052 Depth=1
	v_mov_b32_e32 v10, v9
	v_mov_b32_e32 v25, v11
	v_cmp_ne_u32_sdwa s4, v6, v97 src0_sel:BYTE_3 src1_sel:DWORD
	v_mov_b32_e32 v24, v10
	s_and_saveexec_b32 s13, s4
	s_cbranch_execz .LBB228_1151
; %bb.1146:                             ;   in Loop: Header=BB228_1052 Depth=1
	v_mov_b32_e32 v12, v9
	v_mov_b32_e32 v25, v13
	v_bfe_u32 v10, v6, 24, 7
	s_mov_b32 s15, exec_lo
	v_mov_b32_e32 v24, v12
	v_cmpx_ne_u32_e32 0x7f, v10
	s_cbranch_execz .LBB228_1150
; %bb.1147:                             ;   in Loop: Header=BB228_1052 Depth=1
	v_mov_b32_e32 v7, 7
	s_mov_b32 s18, exec_lo
	v_and_b32_sdwa v8, v6, v7 dst_sel:DWORD dst_unused:UNUSED_PAD src0_sel:BYTE_3 src1_sel:DWORD
	v_lshrrev_b32_e32 v7, 3, v10
	v_cmpx_gt_u32_e32 8, v10
; %bb.1148:                             ;   in Loop: Header=BB228_1052 Depth=1
	v_ffbh_u32_e32 v7, v8
	v_min_u32_e32 v7, 32, v7
	v_subrev_nc_u32_e32 v10, 28, v7
	v_sub_nc_u32_e32 v7, 29, v7
	v_lshlrev_b64 v[24:25], v10, v[8:9]
	v_and_b32_e32 v8, 7, v24
; %bb.1149:                             ;   in Loop: Header=BB228_1052 Depth=1
	s_or_b32 exec_lo, exec_lo, s18
	v_mov_b32_e32 v10, 24
	v_lshlrev_b32_e32 v8, 20, v8
	v_lshl_add_u32 v7, v7, 23, 0x3c000000
	v_mov_b32_e32 v24, v9
	v_lshlrev_b32_sdwa v6, v10, v6 dst_sel:DWORD dst_unused:UNUSED_PAD src0_sel:DWORD src1_sel:BYTE_3
	v_and_b32_e32 v6, 0x80000000, v6
	v_or3_b32 v25, v8, v6, v7
.LBB228_1150:                           ;   in Loop: Header=BB228_1052 Depth=1
	s_or_b32 exec_lo, exec_lo, s15
.LBB228_1151:                           ;   in Loop: Header=BB228_1052 Depth=1
	s_or_b32 exec_lo, exec_lo, s13
.LBB228_1152:                           ;   in Loop: Header=BB228_1052 Depth=1
	s_or_b32 exec_lo, exec_lo, s7
	v_or_b32_e32 v6, v21, v19
	v_or_b32_e32 v7, v20, v18
	v_or_b32_e32 v8, v24, v22
	v_or_b32_e32 v10, v25, v23
	v_mul_f32_e32 v6, v114, v6
	buffer_store_dword v6, off, s[0:3], s32 offset:272 ; 4-byte Folded Spill
	v_mul_f32_e32 v6, v96, v7
	buffer_store_dword v6, off, s[0:3], s32 offset:280 ; 4-byte Folded Spill
	;; [unrolled: 2-line block ×4, first 2 shown]
	s_and_saveexec_b32 s7, vcc_lo
	s_cbranch_execz .LBB228_1154
; %bb.1153:                             ;   in Loop: Header=BB228_1052 Depth=1
	buffer_load_dword v6, off, s[0:3], s32 offset:280 ; 4-byte Folded Reload
	v_cmp_lt_i32_e64 s4, v47, v28
	s_waitcnt vmcnt(0)
	v_cndmask_b32_e64 v6, 0, v6, s4
	v_cmp_lt_i32_e64 s4, v57, v28
	buffer_store_dword v6, off, s[0:3], s32 offset:280 ; 4-byte Folded Spill
	buffer_load_dword v6, off, s[0:3], s32 offset:272 ; 4-byte Folded Reload
	s_waitcnt vmcnt(0)
	v_cndmask_b32_e64 v6, 0, v6, s4
	v_cmp_lt_i32_e64 s4, v56, v28
	buffer_store_dword v6, off, s[0:3], s32 offset:272 ; 4-byte Folded Spill
	buffer_load_dword v6, off, s[0:3], s32 offset:264 ; 4-byte Folded Reload
	;; [unrolled: 5-line block ×3, first 2 shown]
	s_waitcnt vmcnt(0)
	v_cndmask_b32_e64 v6, 0, v6, s4
	buffer_store_dword v6, off, s[0:3], s32 offset:256 ; 4-byte Folded Spill
.LBB228_1154:                           ;   in Loop: Header=BB228_1052 Depth=1
	s_or_b32 exec_lo, exec_lo, s7
	flat_load_dword v6, v[16:17] offset:384
	v_mov_b32_e32 v20, 0
	v_mov_b32_e32 v18, 0
	;; [unrolled: 1-line block ×4, first 2 shown]
	s_waitcnt vmcnt(0) lgkmcnt(0)
	v_cmp_ne_u16_sdwa s4, v6, v9 src0_sel:BYTE_0 src1_sel:DWORD
	s_and_saveexec_b32 s7, s4
	s_cbranch_execz .LBB228_1162
; %bb.1155:                             ;   in Loop: Header=BB228_1052 Depth=1
	v_bfrev_b32_e32 v18, 1
	v_mov_b32_e32 v19, 0
	v_cmp_ne_u16_sdwa s4, v6, v97 src0_sel:BYTE_0 src1_sel:DWORD
	s_and_saveexec_b32 s13, s4
	s_cbranch_execz .LBB228_1161
; %bb.1156:                             ;   in Loop: Header=BB228_1052 Depth=1
	v_mov_b32_e32 v18, 0x7f800001
	v_and_b32_e32 v10, 0x7f, v6
	v_mov_b32_e32 v19, 0
	s_mov_b32 s15, exec_lo
	v_cmpx_ne_u32_e32 0x7f, v10
	s_cbranch_execz .LBB228_1160
; %bb.1157:                             ;   in Loop: Header=BB228_1052 Depth=1
	v_and_b32_e32 v8, 7, v6
	v_lshrrev_b32_e32 v7, 3, v10
	s_mov_b32 s18, exec_lo
	v_cmpx_gt_u32_e32 8, v10
; %bb.1158:                             ;   in Loop: Header=BB228_1052 Depth=1
	v_ffbh_u32_e32 v7, v8
	v_min_u32_e32 v7, 32, v7
	v_subrev_nc_u32_e32 v10, 28, v7
	v_sub_nc_u32_e32 v7, 29, v7
	v_lshlrev_b64 v[18:19], v10, v[8:9]
	v_and_b32_e32 v8, 7, v18
; %bb.1159:                             ;   in Loop: Header=BB228_1052 Depth=1
	s_or_b32 exec_lo, exec_lo, s18
	v_lshlrev_b32_e32 v10, 24, v6
	v_lshlrev_b32_e32 v8, 20, v8
	v_lshl_add_u32 v7, v7, 23, 0x3c000000
	v_and_b32_e32 v10, 0x80000000, v10
	v_or3_b32 v8, v8, v10, v7
	v_mov_b32_e32 v19, v9
	v_mov_b32_e32 v18, v8
.LBB228_1160:                           ;   in Loop: Header=BB228_1052 Depth=1
	s_or_b32 exec_lo, exec_lo, s15
.LBB228_1161:                           ;   in Loop: Header=BB228_1052 Depth=1
	s_or_b32 exec_lo, exec_lo, s13
.LBB228_1162:                           ;   in Loop: Header=BB228_1052 Depth=1
	s_or_b32 exec_lo, exec_lo, s7
	v_cmp_ne_u16_sdwa s4, v6, v9 src0_sel:BYTE_1 src1_sel:DWORD
	s_and_saveexec_b32 s7, s4
	s_cbranch_execz .LBB228_1170
; %bb.1163:                             ;   in Loop: Header=BB228_1052 Depth=1
	v_mov_b32_e32 v10, v9
	v_mov_b32_e32 v21, v11
	v_cmp_ne_u16_sdwa s4, v6, v97 src0_sel:BYTE_1 src1_sel:DWORD
	v_mov_b32_e32 v20, v10
	s_and_saveexec_b32 s13, s4
	s_cbranch_execz .LBB228_1169
; %bb.1164:                             ;   in Loop: Header=BB228_1052 Depth=1
	v_mov_b32_e32 v7, 0xffff
	v_mov_b32_e32 v12, v9
	v_mov_b32_e32 v21, v13
	s_mov_b32 s15, exec_lo
	v_and_b32_sdwa v7, v7, v6 dst_sel:DWORD dst_unused:UNUSED_PAD src0_sel:DWORD src1_sel:BYTE_1
	v_mov_b32_e32 v20, v12
	v_and_b32_e32 v10, 0x7f, v7
	v_cmpx_ne_u32_e32 0x7f, v10
	s_cbranch_execz .LBB228_1168
; %bb.1165:                             ;   in Loop: Header=BB228_1052 Depth=1
	v_and_b32_e32 v8, 7, v7
	v_lshrrev_b32_e32 v7, 3, v10
	s_mov_b32 s18, exec_lo
	v_cmpx_gt_u32_e32 8, v10
; %bb.1166:                             ;   in Loop: Header=BB228_1052 Depth=1
	v_ffbh_u32_e32 v7, v8
	v_min_u32_e32 v7, 32, v7
	v_subrev_nc_u32_e32 v10, 28, v7
	v_sub_nc_u32_e32 v7, 29, v7
	v_lshlrev_b64 v[20:21], v10, v[8:9]
	v_and_b32_e32 v8, 7, v20
; %bb.1167:                             ;   in Loop: Header=BB228_1052 Depth=1
	s_or_b32 exec_lo, exec_lo, s18
	v_lshlrev_b32_e32 v10, 16, v6
	v_lshlrev_b32_e32 v8, 20, v8
	v_lshl_add_u32 v7, v7, 23, 0x3c000000
	v_mov_b32_e32 v20, v9
	v_and_b32_e32 v10, 0x80000000, v10
	v_or3_b32 v21, v8, v10, v7
.LBB228_1168:                           ;   in Loop: Header=BB228_1052 Depth=1
	s_or_b32 exec_lo, exec_lo, s15
.LBB228_1169:                           ;   in Loop: Header=BB228_1052 Depth=1
	s_or_b32 exec_lo, exec_lo, s13
.LBB228_1170:                           ;   in Loop: Header=BB228_1052 Depth=1
	s_or_b32 exec_lo, exec_lo, s7
	v_mov_b32_e32 v24, 0
	v_mov_b32_e32 v22, 0
	v_and_b32_sdwa v7, v6, v99 dst_sel:DWORD dst_unused:UNUSED_PAD src0_sel:WORD_1 src1_sel:DWORD
	v_mov_b32_e32 v25, 0
	v_mov_b32_e32 v23, 0
	s_mov_b32 s7, exec_lo
	v_cmpx_ne_u16_e32 0, v7
	s_cbranch_execz .LBB228_1178
; %bb.1171:                             ;   in Loop: Header=BB228_1052 Depth=1
	v_bfrev_b32_e32 v22, 1
	v_mov_b32_e32 v23, 0
	s_mov_b32 s13, exec_lo
	v_cmpx_ne_u16_e32 0x80, v7
	s_cbranch_execz .LBB228_1177
; %bb.1172:                             ;   in Loop: Header=BB228_1052 Depth=1
	v_mov_b32_e32 v22, 0x7f800001
	v_bfe_u32 v10, v6, 16, 7
	v_mov_b32_e32 v23, 0
	s_mov_b32 s15, exec_lo
	v_cmpx_ne_u32_e32 0x7f, v10
	s_cbranch_execz .LBB228_1176
; %bb.1173:                             ;   in Loop: Header=BB228_1052 Depth=1
	v_mov_b32_e32 v7, 7
	s_mov_b32 s18, exec_lo
	v_and_b32_sdwa v8, v6, v7 dst_sel:DWORD dst_unused:UNUSED_PAD src0_sel:WORD_1 src1_sel:DWORD
	v_lshrrev_b32_e32 v7, 3, v10
	v_cmpx_gt_u32_e32 8, v10
; %bb.1174:                             ;   in Loop: Header=BB228_1052 Depth=1
	v_ffbh_u32_e32 v7, v8
	v_min_u32_e32 v7, 32, v7
	v_subrev_nc_u32_e32 v10, 28, v7
	v_sub_nc_u32_e32 v7, 29, v7
	v_lshlrev_b64 v[22:23], v10, v[8:9]
	v_and_b32_e32 v8, 7, v22
; %bb.1175:                             ;   in Loop: Header=BB228_1052 Depth=1
	s_or_b32 exec_lo, exec_lo, s18
	v_mov_b32_e32 v10, 24
	v_lshlrev_b32_e32 v8, 20, v8
	v_lshl_add_u32 v7, v7, 23, 0x3c000000
	v_lshlrev_b32_sdwa v10, v10, v6 dst_sel:DWORD dst_unused:UNUSED_PAD src0_sel:DWORD src1_sel:WORD_1
	v_and_b32_e32 v10, 0x80000000, v10
	v_or3_b32 v8, v8, v10, v7
	v_mov_b32_e32 v23, v9
	v_mov_b32_e32 v22, v8
.LBB228_1176:                           ;   in Loop: Header=BB228_1052 Depth=1
	s_or_b32 exec_lo, exec_lo, s15
.LBB228_1177:                           ;   in Loop: Header=BB228_1052 Depth=1
	s_or_b32 exec_lo, exec_lo, s13
.LBB228_1178:                           ;   in Loop: Header=BB228_1052 Depth=1
	s_or_b32 exec_lo, exec_lo, s7
	s_mov_b32 s7, exec_lo
	v_cmpx_lt_u32_e32 0xffffff, v6
	s_cbranch_execz .LBB228_1186
; %bb.1179:                             ;   in Loop: Header=BB228_1052 Depth=1
	v_mov_b32_e32 v10, v9
	v_mov_b32_e32 v25, v11
	v_cmp_ne_u32_sdwa s4, v6, v97 src0_sel:BYTE_3 src1_sel:DWORD
	v_mov_b32_e32 v24, v10
	s_and_saveexec_b32 s13, s4
	s_cbranch_execz .LBB228_1185
; %bb.1180:                             ;   in Loop: Header=BB228_1052 Depth=1
	v_mov_b32_e32 v12, v9
	v_mov_b32_e32 v25, v13
	v_bfe_u32 v10, v6, 24, 7
	s_mov_b32 s15, exec_lo
	v_mov_b32_e32 v24, v12
	v_cmpx_ne_u32_e32 0x7f, v10
	s_cbranch_execz .LBB228_1184
; %bb.1181:                             ;   in Loop: Header=BB228_1052 Depth=1
	v_mov_b32_e32 v7, 7
	s_mov_b32 s18, exec_lo
	v_and_b32_sdwa v8, v6, v7 dst_sel:DWORD dst_unused:UNUSED_PAD src0_sel:BYTE_3 src1_sel:DWORD
	v_lshrrev_b32_e32 v7, 3, v10
	v_cmpx_gt_u32_e32 8, v10
; %bb.1182:                             ;   in Loop: Header=BB228_1052 Depth=1
	v_ffbh_u32_e32 v7, v8
	v_min_u32_e32 v7, 32, v7
	v_subrev_nc_u32_e32 v10, 28, v7
	v_sub_nc_u32_e32 v7, 29, v7
	v_lshlrev_b64 v[24:25], v10, v[8:9]
	v_and_b32_e32 v8, 7, v24
; %bb.1183:                             ;   in Loop: Header=BB228_1052 Depth=1
	s_or_b32 exec_lo, exec_lo, s18
	v_mov_b32_e32 v10, 24
	v_lshlrev_b32_e32 v8, 20, v8
	v_lshl_add_u32 v7, v7, 23, 0x3c000000
	v_mov_b32_e32 v24, v9
	v_lshlrev_b32_sdwa v6, v10, v6 dst_sel:DWORD dst_unused:UNUSED_PAD src0_sel:DWORD src1_sel:BYTE_3
	v_and_b32_e32 v6, 0x80000000, v6
	v_or3_b32 v25, v8, v6, v7
.LBB228_1184:                           ;   in Loop: Header=BB228_1052 Depth=1
	s_or_b32 exec_lo, exec_lo, s15
.LBB228_1185:                           ;   in Loop: Header=BB228_1052 Depth=1
	s_or_b32 exec_lo, exec_lo, s13
.LBB228_1186:                           ;   in Loop: Header=BB228_1052 Depth=1
	s_or_b32 exec_lo, exec_lo, s7
	v_or_b32_e32 v6, v21, v19
	v_or_b32_e32 v7, v20, v18
	;; [unrolled: 1-line block ×4, first 2 shown]
	v_mul_f32_e32 v6, v114, v6
	buffer_store_dword v6, off, s[0:3], s32 offset:312 ; 4-byte Folded Spill
	v_mul_f32_e32 v6, v96, v7
	buffer_store_dword v6, off, s[0:3], s32 offset:304 ; 4-byte Folded Spill
	;; [unrolled: 2-line block ×4, first 2 shown]
	s_and_saveexec_b32 s7, vcc_lo
	s_cbranch_execz .LBB228_1188
; %bb.1187:                             ;   in Loop: Header=BB228_1052 Depth=1
	buffer_load_dword v6, off, s[0:3], s32 offset:304 ; 4-byte Folded Reload
	v_cmp_lt_i32_e64 s4, v47, v28
	s_waitcnt vmcnt(0)
	v_cndmask_b32_e64 v6, 0, v6, s4
	v_cmp_lt_i32_e64 s4, v57, v28
	buffer_store_dword v6, off, s[0:3], s32 offset:304 ; 4-byte Folded Spill
	buffer_load_dword v6, off, s[0:3], s32 offset:312 ; 4-byte Folded Reload
	s_waitcnt vmcnt(0)
	v_cndmask_b32_e64 v6, 0, v6, s4
	v_cmp_lt_i32_e64 s4, v56, v28
	buffer_store_dword v6, off, s[0:3], s32 offset:312 ; 4-byte Folded Spill
	buffer_load_dword v6, off, s[0:3], s32 offset:296 ; 4-byte Folded Reload
	;; [unrolled: 5-line block ×3, first 2 shown]
	s_waitcnt vmcnt(0)
	v_cndmask_b32_e64 v6, 0, v6, s4
	buffer_store_dword v6, off, s[0:3], s32 offset:288 ; 4-byte Folded Spill
.LBB228_1188:                           ;   in Loop: Header=BB228_1052 Depth=1
	s_or_b32 exec_lo, exec_lo, s7
	flat_load_dword v6, v[16:17] offset:512
	v_mov_b32_e32 v20, 0
	v_mov_b32_e32 v18, 0
	;; [unrolled: 1-line block ×4, first 2 shown]
	s_waitcnt vmcnt(0) lgkmcnt(0)
	v_cmp_ne_u16_sdwa s4, v6, v9 src0_sel:BYTE_0 src1_sel:DWORD
	s_and_saveexec_b32 s7, s4
	s_cbranch_execz .LBB228_1196
; %bb.1189:                             ;   in Loop: Header=BB228_1052 Depth=1
	v_bfrev_b32_e32 v18, 1
	v_mov_b32_e32 v19, 0
	v_cmp_ne_u16_sdwa s4, v6, v97 src0_sel:BYTE_0 src1_sel:DWORD
	s_and_saveexec_b32 s13, s4
	s_cbranch_execz .LBB228_1195
; %bb.1190:                             ;   in Loop: Header=BB228_1052 Depth=1
	v_mov_b32_e32 v18, 0x7f800001
	v_and_b32_e32 v10, 0x7f, v6
	v_mov_b32_e32 v19, 0
	s_mov_b32 s15, exec_lo
	v_cmpx_ne_u32_e32 0x7f, v10
	s_cbranch_execz .LBB228_1194
; %bb.1191:                             ;   in Loop: Header=BB228_1052 Depth=1
	v_and_b32_e32 v8, 7, v6
	v_lshrrev_b32_e32 v7, 3, v10
	s_mov_b32 s18, exec_lo
	v_cmpx_gt_u32_e32 8, v10
; %bb.1192:                             ;   in Loop: Header=BB228_1052 Depth=1
	v_ffbh_u32_e32 v7, v8
	v_min_u32_e32 v7, 32, v7
	v_subrev_nc_u32_e32 v10, 28, v7
	v_sub_nc_u32_e32 v7, 29, v7
	v_lshlrev_b64 v[18:19], v10, v[8:9]
	v_and_b32_e32 v8, 7, v18
; %bb.1193:                             ;   in Loop: Header=BB228_1052 Depth=1
	s_or_b32 exec_lo, exec_lo, s18
	v_lshlrev_b32_e32 v10, 24, v6
	v_lshlrev_b32_e32 v8, 20, v8
	v_lshl_add_u32 v7, v7, 23, 0x3c000000
	v_and_b32_e32 v10, 0x80000000, v10
	v_or3_b32 v8, v8, v10, v7
	v_mov_b32_e32 v19, v9
	v_mov_b32_e32 v18, v8
.LBB228_1194:                           ;   in Loop: Header=BB228_1052 Depth=1
	s_or_b32 exec_lo, exec_lo, s15
.LBB228_1195:                           ;   in Loop: Header=BB228_1052 Depth=1
	s_or_b32 exec_lo, exec_lo, s13
.LBB228_1196:                           ;   in Loop: Header=BB228_1052 Depth=1
	s_or_b32 exec_lo, exec_lo, s7
	v_cmp_ne_u16_sdwa s4, v6, v9 src0_sel:BYTE_1 src1_sel:DWORD
	s_and_saveexec_b32 s7, s4
	s_cbranch_execz .LBB228_1204
; %bb.1197:                             ;   in Loop: Header=BB228_1052 Depth=1
	v_mov_b32_e32 v10, v9
	v_mov_b32_e32 v21, v11
	v_cmp_ne_u16_sdwa s4, v6, v97 src0_sel:BYTE_1 src1_sel:DWORD
	v_mov_b32_e32 v20, v10
	s_and_saveexec_b32 s13, s4
	s_cbranch_execz .LBB228_1203
; %bb.1198:                             ;   in Loop: Header=BB228_1052 Depth=1
	v_mov_b32_e32 v7, 0xffff
	v_mov_b32_e32 v12, v9
	;; [unrolled: 1-line block ×3, first 2 shown]
	s_mov_b32 s15, exec_lo
	v_and_b32_sdwa v7, v7, v6 dst_sel:DWORD dst_unused:UNUSED_PAD src0_sel:DWORD src1_sel:BYTE_1
	v_mov_b32_e32 v20, v12
	v_and_b32_e32 v10, 0x7f, v7
	v_cmpx_ne_u32_e32 0x7f, v10
	s_cbranch_execz .LBB228_1202
; %bb.1199:                             ;   in Loop: Header=BB228_1052 Depth=1
	v_and_b32_e32 v8, 7, v7
	v_lshrrev_b32_e32 v7, 3, v10
	s_mov_b32 s18, exec_lo
	v_cmpx_gt_u32_e32 8, v10
; %bb.1200:                             ;   in Loop: Header=BB228_1052 Depth=1
	v_ffbh_u32_e32 v7, v8
	v_min_u32_e32 v7, 32, v7
	v_subrev_nc_u32_e32 v10, 28, v7
	v_sub_nc_u32_e32 v7, 29, v7
	v_lshlrev_b64 v[20:21], v10, v[8:9]
	v_and_b32_e32 v8, 7, v20
; %bb.1201:                             ;   in Loop: Header=BB228_1052 Depth=1
	s_or_b32 exec_lo, exec_lo, s18
	v_lshlrev_b32_e32 v10, 16, v6
	v_lshlrev_b32_e32 v8, 20, v8
	v_lshl_add_u32 v7, v7, 23, 0x3c000000
	v_mov_b32_e32 v20, v9
	v_and_b32_e32 v10, 0x80000000, v10
	v_or3_b32 v21, v8, v10, v7
.LBB228_1202:                           ;   in Loop: Header=BB228_1052 Depth=1
	s_or_b32 exec_lo, exec_lo, s15
.LBB228_1203:                           ;   in Loop: Header=BB228_1052 Depth=1
	s_or_b32 exec_lo, exec_lo, s13
.LBB228_1204:                           ;   in Loop: Header=BB228_1052 Depth=1
	s_or_b32 exec_lo, exec_lo, s7
	v_mov_b32_e32 v24, 0
	v_mov_b32_e32 v22, 0
	v_and_b32_sdwa v7, v6, v99 dst_sel:DWORD dst_unused:UNUSED_PAD src0_sel:WORD_1 src1_sel:DWORD
	v_mov_b32_e32 v25, 0
	v_mov_b32_e32 v23, 0
	s_mov_b32 s7, exec_lo
	v_cmpx_ne_u16_e32 0, v7
	s_cbranch_execz .LBB228_1212
; %bb.1205:                             ;   in Loop: Header=BB228_1052 Depth=1
	v_bfrev_b32_e32 v22, 1
	v_mov_b32_e32 v23, 0
	s_mov_b32 s13, exec_lo
	v_cmpx_ne_u16_e32 0x80, v7
	s_cbranch_execz .LBB228_1211
; %bb.1206:                             ;   in Loop: Header=BB228_1052 Depth=1
	v_mov_b32_e32 v22, 0x7f800001
	v_bfe_u32 v10, v6, 16, 7
	v_mov_b32_e32 v23, 0
	s_mov_b32 s15, exec_lo
	v_cmpx_ne_u32_e32 0x7f, v10
	s_cbranch_execz .LBB228_1210
; %bb.1207:                             ;   in Loop: Header=BB228_1052 Depth=1
	v_mov_b32_e32 v7, 7
	s_mov_b32 s18, exec_lo
	v_and_b32_sdwa v8, v6, v7 dst_sel:DWORD dst_unused:UNUSED_PAD src0_sel:WORD_1 src1_sel:DWORD
	v_lshrrev_b32_e32 v7, 3, v10
	v_cmpx_gt_u32_e32 8, v10
; %bb.1208:                             ;   in Loop: Header=BB228_1052 Depth=1
	v_ffbh_u32_e32 v7, v8
	v_min_u32_e32 v7, 32, v7
	v_subrev_nc_u32_e32 v10, 28, v7
	v_sub_nc_u32_e32 v7, 29, v7
	v_lshlrev_b64 v[22:23], v10, v[8:9]
	v_and_b32_e32 v8, 7, v22
; %bb.1209:                             ;   in Loop: Header=BB228_1052 Depth=1
	s_or_b32 exec_lo, exec_lo, s18
	v_mov_b32_e32 v10, 24
	v_lshlrev_b32_e32 v8, 20, v8
	v_lshl_add_u32 v7, v7, 23, 0x3c000000
	v_lshlrev_b32_sdwa v10, v10, v6 dst_sel:DWORD dst_unused:UNUSED_PAD src0_sel:DWORD src1_sel:WORD_1
	v_and_b32_e32 v10, 0x80000000, v10
	v_or3_b32 v8, v8, v10, v7
	v_mov_b32_e32 v23, v9
	v_mov_b32_e32 v22, v8
.LBB228_1210:                           ;   in Loop: Header=BB228_1052 Depth=1
	s_or_b32 exec_lo, exec_lo, s15
.LBB228_1211:                           ;   in Loop: Header=BB228_1052 Depth=1
	s_or_b32 exec_lo, exec_lo, s13
.LBB228_1212:                           ;   in Loop: Header=BB228_1052 Depth=1
	s_or_b32 exec_lo, exec_lo, s7
	s_mov_b32 s7, exec_lo
	v_cmpx_lt_u32_e32 0xffffff, v6
	s_cbranch_execz .LBB228_1220
; %bb.1213:                             ;   in Loop: Header=BB228_1052 Depth=1
	v_mov_b32_e32 v10, v9
	v_mov_b32_e32 v25, v11
	v_cmp_ne_u32_sdwa s4, v6, v97 src0_sel:BYTE_3 src1_sel:DWORD
	v_mov_b32_e32 v24, v10
	s_and_saveexec_b32 s13, s4
	s_cbranch_execz .LBB228_1219
; %bb.1214:                             ;   in Loop: Header=BB228_1052 Depth=1
	v_mov_b32_e32 v12, v9
	v_mov_b32_e32 v25, v13
	v_bfe_u32 v10, v6, 24, 7
	s_mov_b32 s15, exec_lo
	v_mov_b32_e32 v24, v12
	v_cmpx_ne_u32_e32 0x7f, v10
	s_cbranch_execz .LBB228_1218
; %bb.1215:                             ;   in Loop: Header=BB228_1052 Depth=1
	v_mov_b32_e32 v7, 7
	s_mov_b32 s18, exec_lo
	v_and_b32_sdwa v8, v6, v7 dst_sel:DWORD dst_unused:UNUSED_PAD src0_sel:BYTE_3 src1_sel:DWORD
	v_lshrrev_b32_e32 v7, 3, v10
	v_cmpx_gt_u32_e32 8, v10
; %bb.1216:                             ;   in Loop: Header=BB228_1052 Depth=1
	v_ffbh_u32_e32 v7, v8
	v_min_u32_e32 v7, 32, v7
	v_subrev_nc_u32_e32 v10, 28, v7
	v_sub_nc_u32_e32 v7, 29, v7
	v_lshlrev_b64 v[24:25], v10, v[8:9]
	v_and_b32_e32 v8, 7, v24
; %bb.1217:                             ;   in Loop: Header=BB228_1052 Depth=1
	s_or_b32 exec_lo, exec_lo, s18
	v_mov_b32_e32 v10, 24
	v_lshlrev_b32_e32 v8, 20, v8
	v_lshl_add_u32 v7, v7, 23, 0x3c000000
	v_mov_b32_e32 v24, v9
	v_lshlrev_b32_sdwa v6, v10, v6 dst_sel:DWORD dst_unused:UNUSED_PAD src0_sel:DWORD src1_sel:BYTE_3
	v_and_b32_e32 v6, 0x80000000, v6
	v_or3_b32 v25, v8, v6, v7
.LBB228_1218:                           ;   in Loop: Header=BB228_1052 Depth=1
	s_or_b32 exec_lo, exec_lo, s15
.LBB228_1219:                           ;   in Loop: Header=BB228_1052 Depth=1
	s_or_b32 exec_lo, exec_lo, s13
.LBB228_1220:                           ;   in Loop: Header=BB228_1052 Depth=1
	s_or_b32 exec_lo, exec_lo, s7
	v_or_b32_e32 v6, v21, v19
	v_or_b32_e32 v7, v20, v18
	;; [unrolled: 1-line block ×4, first 2 shown]
	v_mul_f32_e32 v6, v114, v6
	buffer_store_dword v6, off, s[0:3], s32 offset:344 ; 4-byte Folded Spill
	v_mul_f32_e32 v6, v96, v7
	buffer_store_dword v6, off, s[0:3], s32 offset:336 ; 4-byte Folded Spill
	;; [unrolled: 2-line block ×4, first 2 shown]
	s_and_saveexec_b32 s7, vcc_lo
	s_cbranch_execz .LBB228_1222
; %bb.1221:                             ;   in Loop: Header=BB228_1052 Depth=1
	buffer_load_dword v6, off, s[0:3], s32 offset:336 ; 4-byte Folded Reload
	v_cmp_lt_i32_e64 s4, v47, v28
	s_waitcnt vmcnt(0)
	v_cndmask_b32_e64 v6, 0, v6, s4
	v_cmp_lt_i32_e64 s4, v57, v28
	buffer_store_dword v6, off, s[0:3], s32 offset:336 ; 4-byte Folded Spill
	buffer_load_dword v6, off, s[0:3], s32 offset:344 ; 4-byte Folded Reload
	s_waitcnt vmcnt(0)
	v_cndmask_b32_e64 v6, 0, v6, s4
	v_cmp_lt_i32_e64 s4, v56, v28
	buffer_store_dword v6, off, s[0:3], s32 offset:344 ; 4-byte Folded Spill
	buffer_load_dword v6, off, s[0:3], s32 offset:328 ; 4-byte Folded Reload
	;; [unrolled: 5-line block ×3, first 2 shown]
	s_waitcnt vmcnt(0)
	v_cndmask_b32_e64 v6, 0, v6, s4
	buffer_store_dword v6, off, s[0:3], s32 offset:320 ; 4-byte Folded Spill
.LBB228_1222:                           ;   in Loop: Header=BB228_1052 Depth=1
	s_or_b32 exec_lo, exec_lo, s7
	flat_load_dword v6, v[16:17] offset:640
	v_mov_b32_e32 v20, 0
	v_mov_b32_e32 v18, 0
	;; [unrolled: 1-line block ×4, first 2 shown]
	s_waitcnt vmcnt(0) lgkmcnt(0)
	v_cmp_ne_u16_sdwa s4, v6, v9 src0_sel:BYTE_0 src1_sel:DWORD
	s_and_saveexec_b32 s7, s4
	s_cbranch_execz .LBB228_1230
; %bb.1223:                             ;   in Loop: Header=BB228_1052 Depth=1
	v_bfrev_b32_e32 v18, 1
	v_mov_b32_e32 v19, 0
	v_cmp_ne_u16_sdwa s4, v6, v97 src0_sel:BYTE_0 src1_sel:DWORD
	s_and_saveexec_b32 s13, s4
	s_cbranch_execz .LBB228_1229
; %bb.1224:                             ;   in Loop: Header=BB228_1052 Depth=1
	v_mov_b32_e32 v18, 0x7f800001
	v_and_b32_e32 v10, 0x7f, v6
	v_mov_b32_e32 v19, 0
	s_mov_b32 s15, exec_lo
	v_cmpx_ne_u32_e32 0x7f, v10
	s_cbranch_execz .LBB228_1228
; %bb.1225:                             ;   in Loop: Header=BB228_1052 Depth=1
	v_and_b32_e32 v8, 7, v6
	v_lshrrev_b32_e32 v7, 3, v10
	s_mov_b32 s18, exec_lo
	v_cmpx_gt_u32_e32 8, v10
; %bb.1226:                             ;   in Loop: Header=BB228_1052 Depth=1
	v_ffbh_u32_e32 v7, v8
	v_min_u32_e32 v7, 32, v7
	v_subrev_nc_u32_e32 v10, 28, v7
	v_sub_nc_u32_e32 v7, 29, v7
	v_lshlrev_b64 v[18:19], v10, v[8:9]
	v_and_b32_e32 v8, 7, v18
; %bb.1227:                             ;   in Loop: Header=BB228_1052 Depth=1
	s_or_b32 exec_lo, exec_lo, s18
	v_lshlrev_b32_e32 v10, 24, v6
	v_lshlrev_b32_e32 v8, 20, v8
	v_lshl_add_u32 v7, v7, 23, 0x3c000000
	v_and_b32_e32 v10, 0x80000000, v10
	v_or3_b32 v8, v8, v10, v7
	v_mov_b32_e32 v19, v9
	v_mov_b32_e32 v18, v8
.LBB228_1228:                           ;   in Loop: Header=BB228_1052 Depth=1
	s_or_b32 exec_lo, exec_lo, s15
.LBB228_1229:                           ;   in Loop: Header=BB228_1052 Depth=1
	s_or_b32 exec_lo, exec_lo, s13
.LBB228_1230:                           ;   in Loop: Header=BB228_1052 Depth=1
	s_or_b32 exec_lo, exec_lo, s7
	v_cmp_ne_u16_sdwa s4, v6, v9 src0_sel:BYTE_1 src1_sel:DWORD
	s_and_saveexec_b32 s7, s4
	s_cbranch_execz .LBB228_1238
; %bb.1231:                             ;   in Loop: Header=BB228_1052 Depth=1
	v_mov_b32_e32 v10, v9
	v_mov_b32_e32 v21, v11
	v_cmp_ne_u16_sdwa s4, v6, v97 src0_sel:BYTE_1 src1_sel:DWORD
	v_mov_b32_e32 v20, v10
	s_and_saveexec_b32 s13, s4
	s_cbranch_execz .LBB228_1237
; %bb.1232:                             ;   in Loop: Header=BB228_1052 Depth=1
	v_mov_b32_e32 v7, 0xffff
	v_mov_b32_e32 v12, v9
	;; [unrolled: 1-line block ×3, first 2 shown]
	s_mov_b32 s15, exec_lo
	v_and_b32_sdwa v7, v7, v6 dst_sel:DWORD dst_unused:UNUSED_PAD src0_sel:DWORD src1_sel:BYTE_1
	v_mov_b32_e32 v20, v12
	v_and_b32_e32 v10, 0x7f, v7
	v_cmpx_ne_u32_e32 0x7f, v10
	s_cbranch_execz .LBB228_1236
; %bb.1233:                             ;   in Loop: Header=BB228_1052 Depth=1
	v_and_b32_e32 v8, 7, v7
	v_lshrrev_b32_e32 v7, 3, v10
	s_mov_b32 s18, exec_lo
	v_cmpx_gt_u32_e32 8, v10
; %bb.1234:                             ;   in Loop: Header=BB228_1052 Depth=1
	v_ffbh_u32_e32 v7, v8
	v_min_u32_e32 v7, 32, v7
	v_subrev_nc_u32_e32 v10, 28, v7
	v_sub_nc_u32_e32 v7, 29, v7
	v_lshlrev_b64 v[20:21], v10, v[8:9]
	v_and_b32_e32 v8, 7, v20
; %bb.1235:                             ;   in Loop: Header=BB228_1052 Depth=1
	s_or_b32 exec_lo, exec_lo, s18
	v_lshlrev_b32_e32 v10, 16, v6
	v_lshlrev_b32_e32 v8, 20, v8
	v_lshl_add_u32 v7, v7, 23, 0x3c000000
	v_mov_b32_e32 v20, v9
	v_and_b32_e32 v10, 0x80000000, v10
	v_or3_b32 v21, v8, v10, v7
.LBB228_1236:                           ;   in Loop: Header=BB228_1052 Depth=1
	s_or_b32 exec_lo, exec_lo, s15
.LBB228_1237:                           ;   in Loop: Header=BB228_1052 Depth=1
	s_or_b32 exec_lo, exec_lo, s13
.LBB228_1238:                           ;   in Loop: Header=BB228_1052 Depth=1
	s_or_b32 exec_lo, exec_lo, s7
	v_mov_b32_e32 v24, 0
	v_mov_b32_e32 v22, 0
	v_and_b32_sdwa v7, v6, v99 dst_sel:DWORD dst_unused:UNUSED_PAD src0_sel:WORD_1 src1_sel:DWORD
	v_mov_b32_e32 v25, 0
	v_mov_b32_e32 v23, 0
	s_mov_b32 s7, exec_lo
	v_cmpx_ne_u16_e32 0, v7
	s_cbranch_execz .LBB228_1246
; %bb.1239:                             ;   in Loop: Header=BB228_1052 Depth=1
	v_bfrev_b32_e32 v22, 1
	v_mov_b32_e32 v23, 0
	s_mov_b32 s13, exec_lo
	v_cmpx_ne_u16_e32 0x80, v7
	s_cbranch_execz .LBB228_1245
; %bb.1240:                             ;   in Loop: Header=BB228_1052 Depth=1
	v_mov_b32_e32 v22, 0x7f800001
	v_bfe_u32 v10, v6, 16, 7
	v_mov_b32_e32 v23, 0
	s_mov_b32 s15, exec_lo
	v_cmpx_ne_u32_e32 0x7f, v10
	s_cbranch_execz .LBB228_1244
; %bb.1241:                             ;   in Loop: Header=BB228_1052 Depth=1
	v_mov_b32_e32 v7, 7
	s_mov_b32 s18, exec_lo
	v_and_b32_sdwa v8, v6, v7 dst_sel:DWORD dst_unused:UNUSED_PAD src0_sel:WORD_1 src1_sel:DWORD
	v_lshrrev_b32_e32 v7, 3, v10
	v_cmpx_gt_u32_e32 8, v10
; %bb.1242:                             ;   in Loop: Header=BB228_1052 Depth=1
	v_ffbh_u32_e32 v7, v8
	v_min_u32_e32 v7, 32, v7
	v_subrev_nc_u32_e32 v10, 28, v7
	v_sub_nc_u32_e32 v7, 29, v7
	v_lshlrev_b64 v[22:23], v10, v[8:9]
	v_and_b32_e32 v8, 7, v22
; %bb.1243:                             ;   in Loop: Header=BB228_1052 Depth=1
	s_or_b32 exec_lo, exec_lo, s18
	v_mov_b32_e32 v10, 24
	v_lshlrev_b32_e32 v8, 20, v8
	v_lshl_add_u32 v7, v7, 23, 0x3c000000
	v_lshlrev_b32_sdwa v10, v10, v6 dst_sel:DWORD dst_unused:UNUSED_PAD src0_sel:DWORD src1_sel:WORD_1
	v_and_b32_e32 v10, 0x80000000, v10
	v_or3_b32 v8, v8, v10, v7
	v_mov_b32_e32 v23, v9
	v_mov_b32_e32 v22, v8
.LBB228_1244:                           ;   in Loop: Header=BB228_1052 Depth=1
	s_or_b32 exec_lo, exec_lo, s15
.LBB228_1245:                           ;   in Loop: Header=BB228_1052 Depth=1
	s_or_b32 exec_lo, exec_lo, s13
.LBB228_1246:                           ;   in Loop: Header=BB228_1052 Depth=1
	s_or_b32 exec_lo, exec_lo, s7
	s_mov_b32 s7, exec_lo
	v_cmpx_lt_u32_e32 0xffffff, v6
	s_cbranch_execz .LBB228_1254
; %bb.1247:                             ;   in Loop: Header=BB228_1052 Depth=1
	v_mov_b32_e32 v10, v9
	v_mov_b32_e32 v25, v11
	v_cmp_ne_u32_sdwa s4, v6, v97 src0_sel:BYTE_3 src1_sel:DWORD
	v_mov_b32_e32 v24, v10
	s_and_saveexec_b32 s13, s4
	s_cbranch_execz .LBB228_1253
; %bb.1248:                             ;   in Loop: Header=BB228_1052 Depth=1
	v_mov_b32_e32 v12, v9
	v_mov_b32_e32 v25, v13
	v_bfe_u32 v10, v6, 24, 7
	s_mov_b32 s15, exec_lo
	v_mov_b32_e32 v24, v12
	v_cmpx_ne_u32_e32 0x7f, v10
	s_cbranch_execz .LBB228_1252
; %bb.1249:                             ;   in Loop: Header=BB228_1052 Depth=1
	v_mov_b32_e32 v7, 7
	s_mov_b32 s18, exec_lo
	v_and_b32_sdwa v8, v6, v7 dst_sel:DWORD dst_unused:UNUSED_PAD src0_sel:BYTE_3 src1_sel:DWORD
	v_lshrrev_b32_e32 v7, 3, v10
	v_cmpx_gt_u32_e32 8, v10
; %bb.1250:                             ;   in Loop: Header=BB228_1052 Depth=1
	v_ffbh_u32_e32 v7, v8
	v_min_u32_e32 v7, 32, v7
	v_subrev_nc_u32_e32 v10, 28, v7
	v_sub_nc_u32_e32 v7, 29, v7
	v_lshlrev_b64 v[24:25], v10, v[8:9]
	v_and_b32_e32 v8, 7, v24
; %bb.1251:                             ;   in Loop: Header=BB228_1052 Depth=1
	s_or_b32 exec_lo, exec_lo, s18
	v_mov_b32_e32 v10, 24
	v_lshlrev_b32_e32 v8, 20, v8
	v_lshl_add_u32 v7, v7, 23, 0x3c000000
	v_mov_b32_e32 v24, v9
	v_lshlrev_b32_sdwa v6, v10, v6 dst_sel:DWORD dst_unused:UNUSED_PAD src0_sel:DWORD src1_sel:BYTE_3
	v_and_b32_e32 v6, 0x80000000, v6
	v_or3_b32 v25, v8, v6, v7
.LBB228_1252:                           ;   in Loop: Header=BB228_1052 Depth=1
	s_or_b32 exec_lo, exec_lo, s15
.LBB228_1253:                           ;   in Loop: Header=BB228_1052 Depth=1
	s_or_b32 exec_lo, exec_lo, s13
.LBB228_1254:                           ;   in Loop: Header=BB228_1052 Depth=1
	s_or_b32 exec_lo, exec_lo, s7
	v_or_b32_e32 v6, v21, v19
	v_or_b32_e32 v7, v20, v18
	;; [unrolled: 1-line block ×4, first 2 shown]
	v_mul_f32_e32 v6, v114, v6
	buffer_store_dword v6, off, s[0:3], s32 offset:368 ; 4-byte Folded Spill
	v_mul_f32_e32 v6, v96, v7
	buffer_store_dword v6, off, s[0:3], s32 offset:376 ; 4-byte Folded Spill
	;; [unrolled: 2-line block ×4, first 2 shown]
	s_and_saveexec_b32 s7, vcc_lo
	s_cbranch_execz .LBB228_1256
; %bb.1255:                             ;   in Loop: Header=BB228_1052 Depth=1
	buffer_load_dword v6, off, s[0:3], s32 offset:376 ; 4-byte Folded Reload
	v_cmp_lt_i32_e64 s4, v47, v28
	s_waitcnt vmcnt(0)
	v_cndmask_b32_e64 v6, 0, v6, s4
	v_cmp_lt_i32_e64 s4, v57, v28
	buffer_store_dword v6, off, s[0:3], s32 offset:376 ; 4-byte Folded Spill
	buffer_load_dword v6, off, s[0:3], s32 offset:368 ; 4-byte Folded Reload
	s_waitcnt vmcnt(0)
	v_cndmask_b32_e64 v6, 0, v6, s4
	v_cmp_lt_i32_e64 s4, v56, v28
	buffer_store_dword v6, off, s[0:3], s32 offset:368 ; 4-byte Folded Spill
	buffer_load_dword v6, off, s[0:3], s32 offset:360 ; 4-byte Folded Reload
	;; [unrolled: 5-line block ×3, first 2 shown]
	s_waitcnt vmcnt(0)
	v_cndmask_b32_e64 v6, 0, v6, s4
	buffer_store_dword v6, off, s[0:3], s32 offset:352 ; 4-byte Folded Spill
.LBB228_1256:                           ;   in Loop: Header=BB228_1052 Depth=1
	s_or_b32 exec_lo, exec_lo, s7
	flat_load_dword v6, v[16:17] offset:768
	v_mov_b32_e32 v20, 0
	v_mov_b32_e32 v18, 0
	;; [unrolled: 1-line block ×4, first 2 shown]
	s_waitcnt vmcnt(0) lgkmcnt(0)
	v_cmp_ne_u16_sdwa s4, v6, v9 src0_sel:BYTE_0 src1_sel:DWORD
	s_and_saveexec_b32 s7, s4
	s_cbranch_execz .LBB228_1264
; %bb.1257:                             ;   in Loop: Header=BB228_1052 Depth=1
	v_bfrev_b32_e32 v18, 1
	v_mov_b32_e32 v19, 0
	v_cmp_ne_u16_sdwa s4, v6, v97 src0_sel:BYTE_0 src1_sel:DWORD
	s_and_saveexec_b32 s13, s4
	s_cbranch_execz .LBB228_1263
; %bb.1258:                             ;   in Loop: Header=BB228_1052 Depth=1
	v_mov_b32_e32 v18, 0x7f800001
	v_and_b32_e32 v10, 0x7f, v6
	v_mov_b32_e32 v19, 0
	s_mov_b32 s15, exec_lo
	v_cmpx_ne_u32_e32 0x7f, v10
	s_cbranch_execz .LBB228_1262
; %bb.1259:                             ;   in Loop: Header=BB228_1052 Depth=1
	v_and_b32_e32 v8, 7, v6
	v_lshrrev_b32_e32 v7, 3, v10
	s_mov_b32 s18, exec_lo
	v_cmpx_gt_u32_e32 8, v10
; %bb.1260:                             ;   in Loop: Header=BB228_1052 Depth=1
	v_ffbh_u32_e32 v7, v8
	v_min_u32_e32 v7, 32, v7
	v_subrev_nc_u32_e32 v10, 28, v7
	v_sub_nc_u32_e32 v7, 29, v7
	v_lshlrev_b64 v[18:19], v10, v[8:9]
	v_and_b32_e32 v8, 7, v18
; %bb.1261:                             ;   in Loop: Header=BB228_1052 Depth=1
	s_or_b32 exec_lo, exec_lo, s18
	v_lshlrev_b32_e32 v10, 24, v6
	v_lshlrev_b32_e32 v8, 20, v8
	v_lshl_add_u32 v7, v7, 23, 0x3c000000
	v_and_b32_e32 v10, 0x80000000, v10
	v_or3_b32 v8, v8, v10, v7
	v_mov_b32_e32 v19, v9
	v_mov_b32_e32 v18, v8
.LBB228_1262:                           ;   in Loop: Header=BB228_1052 Depth=1
	s_or_b32 exec_lo, exec_lo, s15
.LBB228_1263:                           ;   in Loop: Header=BB228_1052 Depth=1
	s_or_b32 exec_lo, exec_lo, s13
.LBB228_1264:                           ;   in Loop: Header=BB228_1052 Depth=1
	s_or_b32 exec_lo, exec_lo, s7
	v_cmp_ne_u16_sdwa s4, v6, v9 src0_sel:BYTE_1 src1_sel:DWORD
	s_and_saveexec_b32 s7, s4
	s_cbranch_execz .LBB228_1272
; %bb.1265:                             ;   in Loop: Header=BB228_1052 Depth=1
	v_mov_b32_e32 v10, v9
	v_mov_b32_e32 v21, v11
	v_cmp_ne_u16_sdwa s4, v6, v97 src0_sel:BYTE_1 src1_sel:DWORD
	v_mov_b32_e32 v20, v10
	s_and_saveexec_b32 s13, s4
	s_cbranch_execz .LBB228_1271
; %bb.1266:                             ;   in Loop: Header=BB228_1052 Depth=1
	v_mov_b32_e32 v7, 0xffff
	v_mov_b32_e32 v12, v9
	;; [unrolled: 1-line block ×3, first 2 shown]
	s_mov_b32 s15, exec_lo
	v_and_b32_sdwa v7, v7, v6 dst_sel:DWORD dst_unused:UNUSED_PAD src0_sel:DWORD src1_sel:BYTE_1
	v_mov_b32_e32 v20, v12
	v_and_b32_e32 v10, 0x7f, v7
	v_cmpx_ne_u32_e32 0x7f, v10
	s_cbranch_execz .LBB228_1270
; %bb.1267:                             ;   in Loop: Header=BB228_1052 Depth=1
	v_and_b32_e32 v8, 7, v7
	v_lshrrev_b32_e32 v7, 3, v10
	s_mov_b32 s18, exec_lo
	v_cmpx_gt_u32_e32 8, v10
; %bb.1268:                             ;   in Loop: Header=BB228_1052 Depth=1
	v_ffbh_u32_e32 v7, v8
	v_min_u32_e32 v7, 32, v7
	v_subrev_nc_u32_e32 v10, 28, v7
	v_sub_nc_u32_e32 v7, 29, v7
	v_lshlrev_b64 v[20:21], v10, v[8:9]
	v_and_b32_e32 v8, 7, v20
; %bb.1269:                             ;   in Loop: Header=BB228_1052 Depth=1
	s_or_b32 exec_lo, exec_lo, s18
	v_lshlrev_b32_e32 v10, 16, v6
	v_lshlrev_b32_e32 v8, 20, v8
	v_lshl_add_u32 v7, v7, 23, 0x3c000000
	v_mov_b32_e32 v20, v9
	v_and_b32_e32 v10, 0x80000000, v10
	v_or3_b32 v21, v8, v10, v7
.LBB228_1270:                           ;   in Loop: Header=BB228_1052 Depth=1
	s_or_b32 exec_lo, exec_lo, s15
.LBB228_1271:                           ;   in Loop: Header=BB228_1052 Depth=1
	s_or_b32 exec_lo, exec_lo, s13
.LBB228_1272:                           ;   in Loop: Header=BB228_1052 Depth=1
	s_or_b32 exec_lo, exec_lo, s7
	v_mov_b32_e32 v24, 0
	v_mov_b32_e32 v22, 0
	v_and_b32_sdwa v7, v6, v99 dst_sel:DWORD dst_unused:UNUSED_PAD src0_sel:WORD_1 src1_sel:DWORD
	v_mov_b32_e32 v25, 0
	v_mov_b32_e32 v23, 0
	s_mov_b32 s7, exec_lo
	v_cmpx_ne_u16_e32 0, v7
	s_cbranch_execz .LBB228_1280
; %bb.1273:                             ;   in Loop: Header=BB228_1052 Depth=1
	v_bfrev_b32_e32 v22, 1
	v_mov_b32_e32 v23, 0
	s_mov_b32 s13, exec_lo
	v_cmpx_ne_u16_e32 0x80, v7
	s_cbranch_execz .LBB228_1279
; %bb.1274:                             ;   in Loop: Header=BB228_1052 Depth=1
	v_mov_b32_e32 v22, 0x7f800001
	v_bfe_u32 v10, v6, 16, 7
	v_mov_b32_e32 v23, 0
	s_mov_b32 s15, exec_lo
	v_cmpx_ne_u32_e32 0x7f, v10
	s_cbranch_execz .LBB228_1278
; %bb.1275:                             ;   in Loop: Header=BB228_1052 Depth=1
	v_mov_b32_e32 v7, 7
	s_mov_b32 s18, exec_lo
	v_and_b32_sdwa v8, v6, v7 dst_sel:DWORD dst_unused:UNUSED_PAD src0_sel:WORD_1 src1_sel:DWORD
	v_lshrrev_b32_e32 v7, 3, v10
	v_cmpx_gt_u32_e32 8, v10
; %bb.1276:                             ;   in Loop: Header=BB228_1052 Depth=1
	v_ffbh_u32_e32 v7, v8
	v_min_u32_e32 v7, 32, v7
	v_subrev_nc_u32_e32 v10, 28, v7
	v_sub_nc_u32_e32 v7, 29, v7
	v_lshlrev_b64 v[22:23], v10, v[8:9]
	v_and_b32_e32 v8, 7, v22
; %bb.1277:                             ;   in Loop: Header=BB228_1052 Depth=1
	s_or_b32 exec_lo, exec_lo, s18
	v_mov_b32_e32 v10, 24
	v_lshlrev_b32_e32 v8, 20, v8
	v_lshl_add_u32 v7, v7, 23, 0x3c000000
	v_lshlrev_b32_sdwa v10, v10, v6 dst_sel:DWORD dst_unused:UNUSED_PAD src0_sel:DWORD src1_sel:WORD_1
	v_and_b32_e32 v10, 0x80000000, v10
	v_or3_b32 v8, v8, v10, v7
	v_mov_b32_e32 v23, v9
	v_mov_b32_e32 v22, v8
.LBB228_1278:                           ;   in Loop: Header=BB228_1052 Depth=1
	s_or_b32 exec_lo, exec_lo, s15
.LBB228_1279:                           ;   in Loop: Header=BB228_1052 Depth=1
	s_or_b32 exec_lo, exec_lo, s13
.LBB228_1280:                           ;   in Loop: Header=BB228_1052 Depth=1
	s_or_b32 exec_lo, exec_lo, s7
	s_mov_b32 s7, exec_lo
	v_cmpx_lt_u32_e32 0xffffff, v6
	s_cbranch_execz .LBB228_1288
; %bb.1281:                             ;   in Loop: Header=BB228_1052 Depth=1
	v_mov_b32_e32 v10, v9
	v_mov_b32_e32 v25, v11
	v_cmp_ne_u32_sdwa s4, v6, v97 src0_sel:BYTE_3 src1_sel:DWORD
	v_mov_b32_e32 v24, v10
	s_and_saveexec_b32 s13, s4
	s_cbranch_execz .LBB228_1287
; %bb.1282:                             ;   in Loop: Header=BB228_1052 Depth=1
	v_mov_b32_e32 v12, v9
	v_mov_b32_e32 v25, v13
	v_bfe_u32 v10, v6, 24, 7
	s_mov_b32 s15, exec_lo
	v_mov_b32_e32 v24, v12
	v_cmpx_ne_u32_e32 0x7f, v10
	s_cbranch_execz .LBB228_1286
; %bb.1283:                             ;   in Loop: Header=BB228_1052 Depth=1
	v_mov_b32_e32 v7, 7
	s_mov_b32 s18, exec_lo
	v_and_b32_sdwa v8, v6, v7 dst_sel:DWORD dst_unused:UNUSED_PAD src0_sel:BYTE_3 src1_sel:DWORD
	v_lshrrev_b32_e32 v7, 3, v10
	v_cmpx_gt_u32_e32 8, v10
; %bb.1284:                             ;   in Loop: Header=BB228_1052 Depth=1
	v_ffbh_u32_e32 v7, v8
	v_min_u32_e32 v7, 32, v7
	v_subrev_nc_u32_e32 v10, 28, v7
	v_sub_nc_u32_e32 v7, 29, v7
	v_lshlrev_b64 v[24:25], v10, v[8:9]
	v_and_b32_e32 v8, 7, v24
; %bb.1285:                             ;   in Loop: Header=BB228_1052 Depth=1
	s_or_b32 exec_lo, exec_lo, s18
	v_mov_b32_e32 v10, 24
	v_lshlrev_b32_e32 v8, 20, v8
	v_lshl_add_u32 v7, v7, 23, 0x3c000000
	v_mov_b32_e32 v24, v9
	v_lshlrev_b32_sdwa v6, v10, v6 dst_sel:DWORD dst_unused:UNUSED_PAD src0_sel:DWORD src1_sel:BYTE_3
	v_and_b32_e32 v6, 0x80000000, v6
	v_or3_b32 v25, v8, v6, v7
.LBB228_1286:                           ;   in Loop: Header=BB228_1052 Depth=1
	s_or_b32 exec_lo, exec_lo, s15
.LBB228_1287:                           ;   in Loop: Header=BB228_1052 Depth=1
	s_or_b32 exec_lo, exec_lo, s13
.LBB228_1288:                           ;   in Loop: Header=BB228_1052 Depth=1
	s_or_b32 exec_lo, exec_lo, s7
	v_or_b32_e32 v6, v21, v19
	v_or_b32_e32 v7, v20, v18
	v_or_b32_e32 v8, v24, v22
	v_or_b32_e32 v10, v25, v23
	v_mul_f32_e32 v6, v114, v6
	buffer_store_dword v6, off, s[0:3], s32 offset:400 ; 4-byte Folded Spill
	v_mul_f32_e32 v6, v96, v7
	buffer_store_dword v6, off, s[0:3], s32 offset:408 ; 4-byte Folded Spill
	;; [unrolled: 2-line block ×4, first 2 shown]
	s_and_saveexec_b32 s7, vcc_lo
	s_cbranch_execz .LBB228_1290
; %bb.1289:                             ;   in Loop: Header=BB228_1052 Depth=1
	buffer_load_dword v6, off, s[0:3], s32 offset:408 ; 4-byte Folded Reload
	v_cmp_lt_i32_e64 s4, v47, v28
	s_waitcnt vmcnt(0)
	v_cndmask_b32_e64 v6, 0, v6, s4
	v_cmp_lt_i32_e64 s4, v57, v28
	buffer_store_dword v6, off, s[0:3], s32 offset:408 ; 4-byte Folded Spill
	buffer_load_dword v6, off, s[0:3], s32 offset:400 ; 4-byte Folded Reload
	s_waitcnt vmcnt(0)
	v_cndmask_b32_e64 v6, 0, v6, s4
	v_cmp_lt_i32_e64 s4, v56, v28
	buffer_store_dword v6, off, s[0:3], s32 offset:400 ; 4-byte Folded Spill
	buffer_load_dword v6, off, s[0:3], s32 offset:392 ; 4-byte Folded Reload
	;; [unrolled: 5-line block ×3, first 2 shown]
	s_waitcnt vmcnt(0)
	v_cndmask_b32_e64 v6, 0, v6, s4
	buffer_store_dword v6, off, s[0:3], s32 offset:384 ; 4-byte Folded Spill
.LBB228_1290:                           ;   in Loop: Header=BB228_1052 Depth=1
	s_or_b32 exec_lo, exec_lo, s7
	flat_load_dword v6, v[16:17] offset:896
	v_mov_b32_e32 v20, 0
	v_mov_b32_e32 v18, 0
	;; [unrolled: 1-line block ×4, first 2 shown]
	s_waitcnt vmcnt(0) lgkmcnt(0)
	v_cmp_ne_u16_sdwa s4, v6, v9 src0_sel:BYTE_0 src1_sel:DWORD
	s_and_saveexec_b32 s7, s4
	s_cbranch_execz .LBB228_1298
; %bb.1291:                             ;   in Loop: Header=BB228_1052 Depth=1
	v_bfrev_b32_e32 v18, 1
	v_mov_b32_e32 v19, 0
	v_cmp_ne_u16_sdwa s4, v6, v97 src0_sel:BYTE_0 src1_sel:DWORD
	s_and_saveexec_b32 s13, s4
	s_cbranch_execz .LBB228_1297
; %bb.1292:                             ;   in Loop: Header=BB228_1052 Depth=1
	v_mov_b32_e32 v18, 0x7f800001
	v_and_b32_e32 v10, 0x7f, v6
	v_mov_b32_e32 v19, 0
	s_mov_b32 s15, exec_lo
	v_cmpx_ne_u32_e32 0x7f, v10
	s_cbranch_execz .LBB228_1296
; %bb.1293:                             ;   in Loop: Header=BB228_1052 Depth=1
	v_and_b32_e32 v8, 7, v6
	v_lshrrev_b32_e32 v7, 3, v10
	s_mov_b32 s18, exec_lo
	v_cmpx_gt_u32_e32 8, v10
; %bb.1294:                             ;   in Loop: Header=BB228_1052 Depth=1
	v_ffbh_u32_e32 v7, v8
	v_min_u32_e32 v7, 32, v7
	v_subrev_nc_u32_e32 v10, 28, v7
	v_sub_nc_u32_e32 v7, 29, v7
	v_lshlrev_b64 v[18:19], v10, v[8:9]
	v_and_b32_e32 v8, 7, v18
; %bb.1295:                             ;   in Loop: Header=BB228_1052 Depth=1
	s_or_b32 exec_lo, exec_lo, s18
	v_lshlrev_b32_e32 v10, 24, v6
	v_lshlrev_b32_e32 v8, 20, v8
	v_lshl_add_u32 v7, v7, 23, 0x3c000000
	v_and_b32_e32 v10, 0x80000000, v10
	v_or3_b32 v8, v8, v10, v7
	v_mov_b32_e32 v19, v9
	v_mov_b32_e32 v18, v8
.LBB228_1296:                           ;   in Loop: Header=BB228_1052 Depth=1
	s_or_b32 exec_lo, exec_lo, s15
.LBB228_1297:                           ;   in Loop: Header=BB228_1052 Depth=1
	s_or_b32 exec_lo, exec_lo, s13
.LBB228_1298:                           ;   in Loop: Header=BB228_1052 Depth=1
	s_or_b32 exec_lo, exec_lo, s7
	v_cmp_ne_u16_sdwa s4, v6, v9 src0_sel:BYTE_1 src1_sel:DWORD
	s_and_saveexec_b32 s7, s4
	s_cbranch_execz .LBB228_1306
; %bb.1299:                             ;   in Loop: Header=BB228_1052 Depth=1
	v_mov_b32_e32 v10, v9
	v_mov_b32_e32 v21, v11
	v_cmp_ne_u16_sdwa s4, v6, v97 src0_sel:BYTE_1 src1_sel:DWORD
	v_mov_b32_e32 v20, v10
	s_and_saveexec_b32 s13, s4
	s_cbranch_execz .LBB228_1305
; %bb.1300:                             ;   in Loop: Header=BB228_1052 Depth=1
	v_mov_b32_e32 v7, 0xffff
	v_mov_b32_e32 v12, v9
	;; [unrolled: 1-line block ×3, first 2 shown]
	s_mov_b32 s15, exec_lo
	v_and_b32_sdwa v7, v7, v6 dst_sel:DWORD dst_unused:UNUSED_PAD src0_sel:DWORD src1_sel:BYTE_1
	v_mov_b32_e32 v20, v12
	v_and_b32_e32 v10, 0x7f, v7
	v_cmpx_ne_u32_e32 0x7f, v10
	s_cbranch_execz .LBB228_1304
; %bb.1301:                             ;   in Loop: Header=BB228_1052 Depth=1
	v_and_b32_e32 v8, 7, v7
	v_lshrrev_b32_e32 v7, 3, v10
	s_mov_b32 s18, exec_lo
	v_cmpx_gt_u32_e32 8, v10
; %bb.1302:                             ;   in Loop: Header=BB228_1052 Depth=1
	v_ffbh_u32_e32 v7, v8
	v_min_u32_e32 v7, 32, v7
	v_subrev_nc_u32_e32 v10, 28, v7
	v_sub_nc_u32_e32 v7, 29, v7
	v_lshlrev_b64 v[20:21], v10, v[8:9]
	v_and_b32_e32 v8, 7, v20
; %bb.1303:                             ;   in Loop: Header=BB228_1052 Depth=1
	s_or_b32 exec_lo, exec_lo, s18
	v_lshlrev_b32_e32 v10, 16, v6
	v_lshlrev_b32_e32 v8, 20, v8
	v_lshl_add_u32 v7, v7, 23, 0x3c000000
	v_mov_b32_e32 v20, v9
	v_and_b32_e32 v10, 0x80000000, v10
	v_or3_b32 v21, v8, v10, v7
.LBB228_1304:                           ;   in Loop: Header=BB228_1052 Depth=1
	s_or_b32 exec_lo, exec_lo, s15
.LBB228_1305:                           ;   in Loop: Header=BB228_1052 Depth=1
	s_or_b32 exec_lo, exec_lo, s13
.LBB228_1306:                           ;   in Loop: Header=BB228_1052 Depth=1
	s_or_b32 exec_lo, exec_lo, s7
	v_mov_b32_e32 v24, 0
	v_mov_b32_e32 v22, 0
	v_and_b32_sdwa v7, v6, v99 dst_sel:DWORD dst_unused:UNUSED_PAD src0_sel:WORD_1 src1_sel:DWORD
	v_mov_b32_e32 v25, 0
	v_mov_b32_e32 v23, 0
	s_mov_b32 s7, exec_lo
	v_cmpx_ne_u16_e32 0, v7
	s_cbranch_execz .LBB228_1314
; %bb.1307:                             ;   in Loop: Header=BB228_1052 Depth=1
	v_bfrev_b32_e32 v22, 1
	v_mov_b32_e32 v23, 0
	s_mov_b32 s13, exec_lo
	v_cmpx_ne_u16_e32 0x80, v7
	s_cbranch_execz .LBB228_1313
; %bb.1308:                             ;   in Loop: Header=BB228_1052 Depth=1
	v_mov_b32_e32 v22, 0x7f800001
	v_bfe_u32 v10, v6, 16, 7
	v_mov_b32_e32 v23, 0
	s_mov_b32 s15, exec_lo
	v_cmpx_ne_u32_e32 0x7f, v10
	s_cbranch_execz .LBB228_1312
; %bb.1309:                             ;   in Loop: Header=BB228_1052 Depth=1
	v_mov_b32_e32 v7, 7
	s_mov_b32 s18, exec_lo
	v_and_b32_sdwa v8, v6, v7 dst_sel:DWORD dst_unused:UNUSED_PAD src0_sel:WORD_1 src1_sel:DWORD
	v_lshrrev_b32_e32 v7, 3, v10
	v_cmpx_gt_u32_e32 8, v10
; %bb.1310:                             ;   in Loop: Header=BB228_1052 Depth=1
	v_ffbh_u32_e32 v7, v8
	v_min_u32_e32 v7, 32, v7
	v_subrev_nc_u32_e32 v10, 28, v7
	v_sub_nc_u32_e32 v7, 29, v7
	v_lshlrev_b64 v[22:23], v10, v[8:9]
	v_and_b32_e32 v8, 7, v22
; %bb.1311:                             ;   in Loop: Header=BB228_1052 Depth=1
	s_or_b32 exec_lo, exec_lo, s18
	v_mov_b32_e32 v10, 24
	v_lshlrev_b32_e32 v8, 20, v8
	v_lshl_add_u32 v7, v7, 23, 0x3c000000
	v_lshlrev_b32_sdwa v10, v10, v6 dst_sel:DWORD dst_unused:UNUSED_PAD src0_sel:DWORD src1_sel:WORD_1
	v_and_b32_e32 v10, 0x80000000, v10
	v_or3_b32 v8, v8, v10, v7
	v_mov_b32_e32 v23, v9
	v_mov_b32_e32 v22, v8
.LBB228_1312:                           ;   in Loop: Header=BB228_1052 Depth=1
	s_or_b32 exec_lo, exec_lo, s15
.LBB228_1313:                           ;   in Loop: Header=BB228_1052 Depth=1
	s_or_b32 exec_lo, exec_lo, s13
.LBB228_1314:                           ;   in Loop: Header=BB228_1052 Depth=1
	s_or_b32 exec_lo, exec_lo, s7
	s_mov_b32 s7, exec_lo
	v_cmpx_lt_u32_e32 0xffffff, v6
	s_cbranch_execz .LBB228_1322
; %bb.1315:                             ;   in Loop: Header=BB228_1052 Depth=1
	v_mov_b32_e32 v10, v9
	v_mov_b32_e32 v25, v11
	v_cmp_ne_u32_sdwa s4, v6, v97 src0_sel:BYTE_3 src1_sel:DWORD
	v_mov_b32_e32 v24, v10
	s_and_saveexec_b32 s13, s4
	s_cbranch_execz .LBB228_1321
; %bb.1316:                             ;   in Loop: Header=BB228_1052 Depth=1
	v_mov_b32_e32 v12, v9
	v_mov_b32_e32 v25, v13
	v_bfe_u32 v10, v6, 24, 7
	s_mov_b32 s15, exec_lo
	v_mov_b32_e32 v24, v12
	v_cmpx_ne_u32_e32 0x7f, v10
	s_cbranch_execz .LBB228_1320
; %bb.1317:                             ;   in Loop: Header=BB228_1052 Depth=1
	v_mov_b32_e32 v7, 7
	s_mov_b32 s18, exec_lo
	v_and_b32_sdwa v8, v6, v7 dst_sel:DWORD dst_unused:UNUSED_PAD src0_sel:BYTE_3 src1_sel:DWORD
	v_lshrrev_b32_e32 v7, 3, v10
	v_cmpx_gt_u32_e32 8, v10
; %bb.1318:                             ;   in Loop: Header=BB228_1052 Depth=1
	v_ffbh_u32_e32 v7, v8
	v_min_u32_e32 v7, 32, v7
	v_subrev_nc_u32_e32 v10, 28, v7
	v_sub_nc_u32_e32 v7, 29, v7
	v_lshlrev_b64 v[24:25], v10, v[8:9]
	v_and_b32_e32 v8, 7, v24
; %bb.1319:                             ;   in Loop: Header=BB228_1052 Depth=1
	s_or_b32 exec_lo, exec_lo, s18
	v_mov_b32_e32 v10, 24
	v_lshlrev_b32_e32 v8, 20, v8
	v_lshl_add_u32 v7, v7, 23, 0x3c000000
	v_mov_b32_e32 v24, v9
	v_lshlrev_b32_sdwa v6, v10, v6 dst_sel:DWORD dst_unused:UNUSED_PAD src0_sel:DWORD src1_sel:BYTE_3
	v_and_b32_e32 v6, 0x80000000, v6
	v_or3_b32 v25, v8, v6, v7
.LBB228_1320:                           ;   in Loop: Header=BB228_1052 Depth=1
	s_or_b32 exec_lo, exec_lo, s15
.LBB228_1321:                           ;   in Loop: Header=BB228_1052 Depth=1
	s_or_b32 exec_lo, exec_lo, s13
.LBB228_1322:                           ;   in Loop: Header=BB228_1052 Depth=1
	s_or_b32 exec_lo, exec_lo, s7
	v_or_b32_e32 v6, v21, v19
	v_or_b32_e32 v7, v20, v18
	;; [unrolled: 1-line block ×4, first 2 shown]
	v_mul_f32_e32 v6, v114, v6
	buffer_store_dword v6, off, s[0:3], s32 offset:432 ; 4-byte Folded Spill
	v_mul_f32_e32 v6, v96, v7
	buffer_store_dword v6, off, s[0:3], s32 offset:440 ; 4-byte Folded Spill
	;; [unrolled: 2-line block ×4, first 2 shown]
	s_and_saveexec_b32 s7, vcc_lo
	s_cbranch_execz .LBB228_1324
; %bb.1323:                             ;   in Loop: Header=BB228_1052 Depth=1
	buffer_load_dword v6, off, s[0:3], s32 offset:440 ; 4-byte Folded Reload
	v_cmp_lt_i32_e64 s4, v47, v28
	s_waitcnt vmcnt(0)
	v_cndmask_b32_e64 v6, 0, v6, s4
	v_cmp_lt_i32_e64 s4, v57, v28
	buffer_store_dword v6, off, s[0:3], s32 offset:440 ; 4-byte Folded Spill
	buffer_load_dword v6, off, s[0:3], s32 offset:432 ; 4-byte Folded Reload
	s_waitcnt vmcnt(0)
	v_cndmask_b32_e64 v6, 0, v6, s4
	v_cmp_lt_i32_e64 s4, v56, v28
	buffer_store_dword v6, off, s[0:3], s32 offset:432 ; 4-byte Folded Spill
	buffer_load_dword v6, off, s[0:3], s32 offset:424 ; 4-byte Folded Reload
	;; [unrolled: 5-line block ×3, first 2 shown]
	s_waitcnt vmcnt(0)
	v_cndmask_b32_e64 v6, 0, v6, s4
	buffer_store_dword v6, off, s[0:3], s32 offset:416 ; 4-byte Folded Spill
.LBB228_1324:                           ;   in Loop: Header=BB228_1052 Depth=1
	s_or_b32 exec_lo, exec_lo, s7
	flat_load_dword v6, v[16:17] offset:1024
	v_mov_b32_e32 v20, 0
	v_mov_b32_e32 v18, 0
	;; [unrolled: 1-line block ×4, first 2 shown]
	s_waitcnt vmcnt(0) lgkmcnt(0)
	v_cmp_ne_u16_sdwa s4, v6, v9 src0_sel:BYTE_0 src1_sel:DWORD
	s_and_saveexec_b32 s7, s4
	s_cbranch_execz .LBB228_1332
; %bb.1325:                             ;   in Loop: Header=BB228_1052 Depth=1
	v_bfrev_b32_e32 v18, 1
	v_mov_b32_e32 v19, 0
	v_cmp_ne_u16_sdwa s4, v6, v97 src0_sel:BYTE_0 src1_sel:DWORD
	s_and_saveexec_b32 s13, s4
	s_cbranch_execz .LBB228_1331
; %bb.1326:                             ;   in Loop: Header=BB228_1052 Depth=1
	v_mov_b32_e32 v18, 0x7f800001
	v_and_b32_e32 v10, 0x7f, v6
	v_mov_b32_e32 v19, 0
	s_mov_b32 s15, exec_lo
	v_cmpx_ne_u32_e32 0x7f, v10
	s_cbranch_execz .LBB228_1330
; %bb.1327:                             ;   in Loop: Header=BB228_1052 Depth=1
	v_and_b32_e32 v8, 7, v6
	v_lshrrev_b32_e32 v7, 3, v10
	s_mov_b32 s18, exec_lo
	v_cmpx_gt_u32_e32 8, v10
; %bb.1328:                             ;   in Loop: Header=BB228_1052 Depth=1
	v_ffbh_u32_e32 v7, v8
	v_min_u32_e32 v7, 32, v7
	v_subrev_nc_u32_e32 v10, 28, v7
	v_sub_nc_u32_e32 v7, 29, v7
	v_lshlrev_b64 v[18:19], v10, v[8:9]
	v_and_b32_e32 v8, 7, v18
; %bb.1329:                             ;   in Loop: Header=BB228_1052 Depth=1
	s_or_b32 exec_lo, exec_lo, s18
	v_lshlrev_b32_e32 v10, 24, v6
	v_lshlrev_b32_e32 v8, 20, v8
	v_lshl_add_u32 v7, v7, 23, 0x3c000000
	v_and_b32_e32 v10, 0x80000000, v10
	v_or3_b32 v8, v8, v10, v7
	v_mov_b32_e32 v19, v9
	v_mov_b32_e32 v18, v8
.LBB228_1330:                           ;   in Loop: Header=BB228_1052 Depth=1
	s_or_b32 exec_lo, exec_lo, s15
.LBB228_1331:                           ;   in Loop: Header=BB228_1052 Depth=1
	s_or_b32 exec_lo, exec_lo, s13
.LBB228_1332:                           ;   in Loop: Header=BB228_1052 Depth=1
	s_or_b32 exec_lo, exec_lo, s7
	v_cmp_ne_u16_sdwa s4, v6, v9 src0_sel:BYTE_1 src1_sel:DWORD
	s_and_saveexec_b32 s7, s4
	s_cbranch_execz .LBB228_1340
; %bb.1333:                             ;   in Loop: Header=BB228_1052 Depth=1
	v_mov_b32_e32 v10, v9
	v_mov_b32_e32 v21, v11
	v_cmp_ne_u16_sdwa s4, v6, v97 src0_sel:BYTE_1 src1_sel:DWORD
	v_mov_b32_e32 v20, v10
	s_and_saveexec_b32 s13, s4
	s_cbranch_execz .LBB228_1339
; %bb.1334:                             ;   in Loop: Header=BB228_1052 Depth=1
	v_mov_b32_e32 v7, 0xffff
	v_mov_b32_e32 v12, v9
	;; [unrolled: 1-line block ×3, first 2 shown]
	s_mov_b32 s15, exec_lo
	v_and_b32_sdwa v7, v7, v6 dst_sel:DWORD dst_unused:UNUSED_PAD src0_sel:DWORD src1_sel:BYTE_1
	v_mov_b32_e32 v20, v12
	v_and_b32_e32 v10, 0x7f, v7
	v_cmpx_ne_u32_e32 0x7f, v10
	s_cbranch_execz .LBB228_1338
; %bb.1335:                             ;   in Loop: Header=BB228_1052 Depth=1
	v_and_b32_e32 v8, 7, v7
	v_lshrrev_b32_e32 v7, 3, v10
	s_mov_b32 s18, exec_lo
	v_cmpx_gt_u32_e32 8, v10
; %bb.1336:                             ;   in Loop: Header=BB228_1052 Depth=1
	v_ffbh_u32_e32 v7, v8
	v_min_u32_e32 v7, 32, v7
	v_subrev_nc_u32_e32 v10, 28, v7
	v_sub_nc_u32_e32 v7, 29, v7
	v_lshlrev_b64 v[20:21], v10, v[8:9]
	v_and_b32_e32 v8, 7, v20
; %bb.1337:                             ;   in Loop: Header=BB228_1052 Depth=1
	s_or_b32 exec_lo, exec_lo, s18
	v_lshlrev_b32_e32 v10, 16, v6
	v_lshlrev_b32_e32 v8, 20, v8
	v_lshl_add_u32 v7, v7, 23, 0x3c000000
	v_mov_b32_e32 v20, v9
	v_and_b32_e32 v10, 0x80000000, v10
	v_or3_b32 v21, v8, v10, v7
.LBB228_1338:                           ;   in Loop: Header=BB228_1052 Depth=1
	s_or_b32 exec_lo, exec_lo, s15
.LBB228_1339:                           ;   in Loop: Header=BB228_1052 Depth=1
	s_or_b32 exec_lo, exec_lo, s13
.LBB228_1340:                           ;   in Loop: Header=BB228_1052 Depth=1
	s_or_b32 exec_lo, exec_lo, s7
	v_mov_b32_e32 v24, 0
	v_mov_b32_e32 v22, 0
	v_and_b32_sdwa v7, v6, v99 dst_sel:DWORD dst_unused:UNUSED_PAD src0_sel:WORD_1 src1_sel:DWORD
	v_mov_b32_e32 v25, 0
	v_mov_b32_e32 v23, 0
	s_mov_b32 s7, exec_lo
	v_cmpx_ne_u16_e32 0, v7
	s_cbranch_execz .LBB228_1348
; %bb.1341:                             ;   in Loop: Header=BB228_1052 Depth=1
	v_bfrev_b32_e32 v22, 1
	v_mov_b32_e32 v23, 0
	s_mov_b32 s13, exec_lo
	v_cmpx_ne_u16_e32 0x80, v7
	s_cbranch_execz .LBB228_1347
; %bb.1342:                             ;   in Loop: Header=BB228_1052 Depth=1
	v_mov_b32_e32 v22, 0x7f800001
	v_bfe_u32 v10, v6, 16, 7
	v_mov_b32_e32 v23, 0
	s_mov_b32 s15, exec_lo
	v_cmpx_ne_u32_e32 0x7f, v10
	s_cbranch_execz .LBB228_1346
; %bb.1343:                             ;   in Loop: Header=BB228_1052 Depth=1
	v_mov_b32_e32 v7, 7
	s_mov_b32 s18, exec_lo
	v_and_b32_sdwa v8, v6, v7 dst_sel:DWORD dst_unused:UNUSED_PAD src0_sel:WORD_1 src1_sel:DWORD
	v_lshrrev_b32_e32 v7, 3, v10
	v_cmpx_gt_u32_e32 8, v10
; %bb.1344:                             ;   in Loop: Header=BB228_1052 Depth=1
	v_ffbh_u32_e32 v7, v8
	v_min_u32_e32 v7, 32, v7
	v_subrev_nc_u32_e32 v10, 28, v7
	v_sub_nc_u32_e32 v7, 29, v7
	v_lshlrev_b64 v[22:23], v10, v[8:9]
	v_and_b32_e32 v8, 7, v22
; %bb.1345:                             ;   in Loop: Header=BB228_1052 Depth=1
	s_or_b32 exec_lo, exec_lo, s18
	v_mov_b32_e32 v10, 24
	v_lshlrev_b32_e32 v8, 20, v8
	v_lshl_add_u32 v7, v7, 23, 0x3c000000
	v_lshlrev_b32_sdwa v10, v10, v6 dst_sel:DWORD dst_unused:UNUSED_PAD src0_sel:DWORD src1_sel:WORD_1
	v_and_b32_e32 v10, 0x80000000, v10
	v_or3_b32 v8, v8, v10, v7
	v_mov_b32_e32 v23, v9
	v_mov_b32_e32 v22, v8
.LBB228_1346:                           ;   in Loop: Header=BB228_1052 Depth=1
	s_or_b32 exec_lo, exec_lo, s15
.LBB228_1347:                           ;   in Loop: Header=BB228_1052 Depth=1
	s_or_b32 exec_lo, exec_lo, s13
.LBB228_1348:                           ;   in Loop: Header=BB228_1052 Depth=1
	s_or_b32 exec_lo, exec_lo, s7
	s_mov_b32 s7, exec_lo
	v_cmpx_lt_u32_e32 0xffffff, v6
	s_cbranch_execz .LBB228_1356
; %bb.1349:                             ;   in Loop: Header=BB228_1052 Depth=1
	v_mov_b32_e32 v10, v9
	v_mov_b32_e32 v25, v11
	v_cmp_ne_u32_sdwa s4, v6, v97 src0_sel:BYTE_3 src1_sel:DWORD
	v_mov_b32_e32 v24, v10
	s_and_saveexec_b32 s13, s4
	s_cbranch_execz .LBB228_1355
; %bb.1350:                             ;   in Loop: Header=BB228_1052 Depth=1
	v_mov_b32_e32 v12, v9
	v_mov_b32_e32 v25, v13
	v_bfe_u32 v10, v6, 24, 7
	s_mov_b32 s15, exec_lo
	v_mov_b32_e32 v24, v12
	v_cmpx_ne_u32_e32 0x7f, v10
	s_cbranch_execz .LBB228_1354
; %bb.1351:                             ;   in Loop: Header=BB228_1052 Depth=1
	v_mov_b32_e32 v7, 7
	s_mov_b32 s18, exec_lo
	v_and_b32_sdwa v8, v6, v7 dst_sel:DWORD dst_unused:UNUSED_PAD src0_sel:BYTE_3 src1_sel:DWORD
	v_lshrrev_b32_e32 v7, 3, v10
	v_cmpx_gt_u32_e32 8, v10
; %bb.1352:                             ;   in Loop: Header=BB228_1052 Depth=1
	v_ffbh_u32_e32 v7, v8
	v_min_u32_e32 v7, 32, v7
	v_subrev_nc_u32_e32 v10, 28, v7
	v_sub_nc_u32_e32 v7, 29, v7
	v_lshlrev_b64 v[24:25], v10, v[8:9]
	v_and_b32_e32 v8, 7, v24
; %bb.1353:                             ;   in Loop: Header=BB228_1052 Depth=1
	s_or_b32 exec_lo, exec_lo, s18
	v_mov_b32_e32 v10, 24
	v_lshlrev_b32_e32 v8, 20, v8
	v_lshl_add_u32 v7, v7, 23, 0x3c000000
	v_mov_b32_e32 v24, v9
	v_lshlrev_b32_sdwa v6, v10, v6 dst_sel:DWORD dst_unused:UNUSED_PAD src0_sel:DWORD src1_sel:BYTE_3
	v_and_b32_e32 v6, 0x80000000, v6
	v_or3_b32 v25, v8, v6, v7
.LBB228_1354:                           ;   in Loop: Header=BB228_1052 Depth=1
	s_or_b32 exec_lo, exec_lo, s15
.LBB228_1355:                           ;   in Loop: Header=BB228_1052 Depth=1
	s_or_b32 exec_lo, exec_lo, s13
.LBB228_1356:                           ;   in Loop: Header=BB228_1052 Depth=1
	s_or_b32 exec_lo, exec_lo, s7
	v_or_b32_e32 v6, v21, v19
	v_or_b32_e32 v7, v20, v18
	;; [unrolled: 1-line block ×4, first 2 shown]
	v_mul_f32_e32 v6, v114, v6
	buffer_store_dword v6, off, s[0:3], s32 offset:472 ; 4-byte Folded Spill
	v_mul_f32_e32 v6, v96, v7
	buffer_store_dword v6, off, s[0:3], s32 offset:464 ; 4-byte Folded Spill
	;; [unrolled: 2-line block ×4, first 2 shown]
	s_and_saveexec_b32 s7, vcc_lo
	s_cbranch_execz .LBB228_1358
; %bb.1357:                             ;   in Loop: Header=BB228_1052 Depth=1
	buffer_load_dword v6, off, s[0:3], s32 offset:464 ; 4-byte Folded Reload
	v_cmp_lt_i32_e64 s4, v47, v28
	s_waitcnt vmcnt(0)
	v_cndmask_b32_e64 v6, 0, v6, s4
	v_cmp_lt_i32_e64 s4, v57, v28
	buffer_store_dword v6, off, s[0:3], s32 offset:464 ; 4-byte Folded Spill
	buffer_load_dword v6, off, s[0:3], s32 offset:472 ; 4-byte Folded Reload
	s_waitcnt vmcnt(0)
	v_cndmask_b32_e64 v6, 0, v6, s4
	v_cmp_lt_i32_e64 s4, v56, v28
	buffer_store_dword v6, off, s[0:3], s32 offset:472 ; 4-byte Folded Spill
	buffer_load_dword v6, off, s[0:3], s32 offset:456 ; 4-byte Folded Reload
	;; [unrolled: 5-line block ×3, first 2 shown]
	s_waitcnt vmcnt(0)
	v_cndmask_b32_e64 v6, 0, v6, s4
	buffer_store_dword v6, off, s[0:3], s32 offset:448 ; 4-byte Folded Spill
.LBB228_1358:                           ;   in Loop: Header=BB228_1052 Depth=1
	s_or_b32 exec_lo, exec_lo, s7
	flat_load_dword v6, v[16:17] offset:1152
	v_mov_b32_e32 v20, 0
	v_mov_b32_e32 v18, 0
	;; [unrolled: 1-line block ×4, first 2 shown]
	s_waitcnt vmcnt(0) lgkmcnt(0)
	v_cmp_ne_u16_sdwa s4, v6, v9 src0_sel:BYTE_0 src1_sel:DWORD
	s_and_saveexec_b32 s7, s4
	s_cbranch_execz .LBB228_1366
; %bb.1359:                             ;   in Loop: Header=BB228_1052 Depth=1
	v_bfrev_b32_e32 v18, 1
	v_mov_b32_e32 v19, 0
	v_cmp_ne_u16_sdwa s4, v6, v97 src0_sel:BYTE_0 src1_sel:DWORD
	s_and_saveexec_b32 s13, s4
	s_cbranch_execz .LBB228_1365
; %bb.1360:                             ;   in Loop: Header=BB228_1052 Depth=1
	v_mov_b32_e32 v18, 0x7f800001
	v_and_b32_e32 v10, 0x7f, v6
	v_mov_b32_e32 v19, 0
	s_mov_b32 s15, exec_lo
	v_cmpx_ne_u32_e32 0x7f, v10
	s_cbranch_execz .LBB228_1364
; %bb.1361:                             ;   in Loop: Header=BB228_1052 Depth=1
	v_and_b32_e32 v8, 7, v6
	v_lshrrev_b32_e32 v7, 3, v10
	s_mov_b32 s18, exec_lo
	v_cmpx_gt_u32_e32 8, v10
; %bb.1362:                             ;   in Loop: Header=BB228_1052 Depth=1
	v_ffbh_u32_e32 v7, v8
	v_min_u32_e32 v7, 32, v7
	v_subrev_nc_u32_e32 v10, 28, v7
	v_sub_nc_u32_e32 v7, 29, v7
	v_lshlrev_b64 v[18:19], v10, v[8:9]
	v_and_b32_e32 v8, 7, v18
; %bb.1363:                             ;   in Loop: Header=BB228_1052 Depth=1
	s_or_b32 exec_lo, exec_lo, s18
	v_lshlrev_b32_e32 v10, 24, v6
	v_lshlrev_b32_e32 v8, 20, v8
	v_lshl_add_u32 v7, v7, 23, 0x3c000000
	v_and_b32_e32 v10, 0x80000000, v10
	v_or3_b32 v8, v8, v10, v7
	v_mov_b32_e32 v19, v9
	v_mov_b32_e32 v18, v8
.LBB228_1364:                           ;   in Loop: Header=BB228_1052 Depth=1
	s_or_b32 exec_lo, exec_lo, s15
.LBB228_1365:                           ;   in Loop: Header=BB228_1052 Depth=1
	s_or_b32 exec_lo, exec_lo, s13
.LBB228_1366:                           ;   in Loop: Header=BB228_1052 Depth=1
	s_or_b32 exec_lo, exec_lo, s7
	v_cmp_ne_u16_sdwa s4, v6, v9 src0_sel:BYTE_1 src1_sel:DWORD
	s_and_saveexec_b32 s7, s4
	s_cbranch_execz .LBB228_1374
; %bb.1367:                             ;   in Loop: Header=BB228_1052 Depth=1
	v_mov_b32_e32 v10, v9
	v_mov_b32_e32 v21, v11
	v_cmp_ne_u16_sdwa s4, v6, v97 src0_sel:BYTE_1 src1_sel:DWORD
	v_mov_b32_e32 v20, v10
	s_and_saveexec_b32 s13, s4
	s_cbranch_execz .LBB228_1373
; %bb.1368:                             ;   in Loop: Header=BB228_1052 Depth=1
	v_mov_b32_e32 v7, 0xffff
	v_mov_b32_e32 v12, v9
	;; [unrolled: 1-line block ×3, first 2 shown]
	s_mov_b32 s15, exec_lo
	v_and_b32_sdwa v7, v7, v6 dst_sel:DWORD dst_unused:UNUSED_PAD src0_sel:DWORD src1_sel:BYTE_1
	v_mov_b32_e32 v20, v12
	v_and_b32_e32 v10, 0x7f, v7
	v_cmpx_ne_u32_e32 0x7f, v10
	s_cbranch_execz .LBB228_1372
; %bb.1369:                             ;   in Loop: Header=BB228_1052 Depth=1
	v_and_b32_e32 v8, 7, v7
	v_lshrrev_b32_e32 v7, 3, v10
	s_mov_b32 s18, exec_lo
	v_cmpx_gt_u32_e32 8, v10
; %bb.1370:                             ;   in Loop: Header=BB228_1052 Depth=1
	v_ffbh_u32_e32 v7, v8
	v_min_u32_e32 v7, 32, v7
	v_subrev_nc_u32_e32 v10, 28, v7
	v_sub_nc_u32_e32 v7, 29, v7
	v_lshlrev_b64 v[20:21], v10, v[8:9]
	v_and_b32_e32 v8, 7, v20
; %bb.1371:                             ;   in Loop: Header=BB228_1052 Depth=1
	s_or_b32 exec_lo, exec_lo, s18
	v_lshlrev_b32_e32 v10, 16, v6
	v_lshlrev_b32_e32 v8, 20, v8
	v_lshl_add_u32 v7, v7, 23, 0x3c000000
	v_mov_b32_e32 v20, v9
	v_and_b32_e32 v10, 0x80000000, v10
	v_or3_b32 v21, v8, v10, v7
.LBB228_1372:                           ;   in Loop: Header=BB228_1052 Depth=1
	s_or_b32 exec_lo, exec_lo, s15
.LBB228_1373:                           ;   in Loop: Header=BB228_1052 Depth=1
	s_or_b32 exec_lo, exec_lo, s13
.LBB228_1374:                           ;   in Loop: Header=BB228_1052 Depth=1
	s_or_b32 exec_lo, exec_lo, s7
	v_mov_b32_e32 v24, 0
	v_mov_b32_e32 v22, 0
	v_and_b32_sdwa v7, v6, v99 dst_sel:DWORD dst_unused:UNUSED_PAD src0_sel:WORD_1 src1_sel:DWORD
	v_mov_b32_e32 v25, 0
	v_mov_b32_e32 v23, 0
	s_mov_b32 s7, exec_lo
	v_cmpx_ne_u16_e32 0, v7
	s_cbranch_execz .LBB228_1382
; %bb.1375:                             ;   in Loop: Header=BB228_1052 Depth=1
	v_bfrev_b32_e32 v22, 1
	v_mov_b32_e32 v23, 0
	s_mov_b32 s13, exec_lo
	v_cmpx_ne_u16_e32 0x80, v7
	s_cbranch_execz .LBB228_1381
; %bb.1376:                             ;   in Loop: Header=BB228_1052 Depth=1
	v_mov_b32_e32 v22, 0x7f800001
	v_bfe_u32 v10, v6, 16, 7
	v_mov_b32_e32 v23, 0
	s_mov_b32 s15, exec_lo
	v_cmpx_ne_u32_e32 0x7f, v10
	s_cbranch_execz .LBB228_1380
; %bb.1377:                             ;   in Loop: Header=BB228_1052 Depth=1
	v_mov_b32_e32 v7, 7
	s_mov_b32 s18, exec_lo
	v_and_b32_sdwa v8, v6, v7 dst_sel:DWORD dst_unused:UNUSED_PAD src0_sel:WORD_1 src1_sel:DWORD
	v_lshrrev_b32_e32 v7, 3, v10
	v_cmpx_gt_u32_e32 8, v10
; %bb.1378:                             ;   in Loop: Header=BB228_1052 Depth=1
	v_ffbh_u32_e32 v7, v8
	v_min_u32_e32 v7, 32, v7
	v_subrev_nc_u32_e32 v10, 28, v7
	v_sub_nc_u32_e32 v7, 29, v7
	v_lshlrev_b64 v[22:23], v10, v[8:9]
	v_and_b32_e32 v8, 7, v22
; %bb.1379:                             ;   in Loop: Header=BB228_1052 Depth=1
	s_or_b32 exec_lo, exec_lo, s18
	v_mov_b32_e32 v10, 24
	v_lshlrev_b32_e32 v8, 20, v8
	v_lshl_add_u32 v7, v7, 23, 0x3c000000
	v_lshlrev_b32_sdwa v10, v10, v6 dst_sel:DWORD dst_unused:UNUSED_PAD src0_sel:DWORD src1_sel:WORD_1
	v_and_b32_e32 v10, 0x80000000, v10
	v_or3_b32 v8, v8, v10, v7
	v_mov_b32_e32 v23, v9
	v_mov_b32_e32 v22, v8
.LBB228_1380:                           ;   in Loop: Header=BB228_1052 Depth=1
	s_or_b32 exec_lo, exec_lo, s15
.LBB228_1381:                           ;   in Loop: Header=BB228_1052 Depth=1
	s_or_b32 exec_lo, exec_lo, s13
.LBB228_1382:                           ;   in Loop: Header=BB228_1052 Depth=1
	s_or_b32 exec_lo, exec_lo, s7
	s_mov_b32 s7, exec_lo
	v_cmpx_lt_u32_e32 0xffffff, v6
	s_cbranch_execz .LBB228_1390
; %bb.1383:                             ;   in Loop: Header=BB228_1052 Depth=1
	v_mov_b32_e32 v10, v9
	v_mov_b32_e32 v25, v11
	v_cmp_ne_u32_sdwa s4, v6, v97 src0_sel:BYTE_3 src1_sel:DWORD
	v_mov_b32_e32 v24, v10
	s_and_saveexec_b32 s13, s4
	s_cbranch_execz .LBB228_1389
; %bb.1384:                             ;   in Loop: Header=BB228_1052 Depth=1
	v_mov_b32_e32 v12, v9
	v_mov_b32_e32 v25, v13
	v_bfe_u32 v10, v6, 24, 7
	s_mov_b32 s15, exec_lo
	v_mov_b32_e32 v24, v12
	v_cmpx_ne_u32_e32 0x7f, v10
	s_cbranch_execz .LBB228_1388
; %bb.1385:                             ;   in Loop: Header=BB228_1052 Depth=1
	v_mov_b32_e32 v7, 7
	s_mov_b32 s18, exec_lo
	v_and_b32_sdwa v8, v6, v7 dst_sel:DWORD dst_unused:UNUSED_PAD src0_sel:BYTE_3 src1_sel:DWORD
	v_lshrrev_b32_e32 v7, 3, v10
	v_cmpx_gt_u32_e32 8, v10
; %bb.1386:                             ;   in Loop: Header=BB228_1052 Depth=1
	v_ffbh_u32_e32 v7, v8
	v_min_u32_e32 v7, 32, v7
	v_subrev_nc_u32_e32 v10, 28, v7
	v_sub_nc_u32_e32 v7, 29, v7
	v_lshlrev_b64 v[24:25], v10, v[8:9]
	v_and_b32_e32 v8, 7, v24
; %bb.1387:                             ;   in Loop: Header=BB228_1052 Depth=1
	s_or_b32 exec_lo, exec_lo, s18
	v_mov_b32_e32 v10, 24
	v_lshlrev_b32_e32 v8, 20, v8
	v_lshl_add_u32 v7, v7, 23, 0x3c000000
	v_mov_b32_e32 v24, v9
	v_lshlrev_b32_sdwa v6, v10, v6 dst_sel:DWORD dst_unused:UNUSED_PAD src0_sel:DWORD src1_sel:BYTE_3
	v_and_b32_e32 v6, 0x80000000, v6
	v_or3_b32 v25, v8, v6, v7
.LBB228_1388:                           ;   in Loop: Header=BB228_1052 Depth=1
	s_or_b32 exec_lo, exec_lo, s15
.LBB228_1389:                           ;   in Loop: Header=BB228_1052 Depth=1
	s_or_b32 exec_lo, exec_lo, s13
.LBB228_1390:                           ;   in Loop: Header=BB228_1052 Depth=1
	s_or_b32 exec_lo, exec_lo, s7
	v_or_b32_e32 v6, v21, v19
	v_or_b32_e32 v7, v20, v18
	;; [unrolled: 1-line block ×4, first 2 shown]
	v_mul_f32_e32 v6, v114, v6
	buffer_store_dword v6, off, s[0:3], s32 offset:504 ; 4-byte Folded Spill
	v_mul_f32_e32 v6, v96, v7
	buffer_store_dword v6, off, s[0:3], s32 offset:496 ; 4-byte Folded Spill
	v_mul_f32_e32 v6, v96, v8
	buffer_store_dword v6, off, s[0:3], s32 offset:488 ; 4-byte Folded Spill
	v_mul_f32_e32 v6, v114, v10
	buffer_store_dword v6, off, s[0:3], s32 offset:480 ; 4-byte Folded Spill
	s_and_saveexec_b32 s7, vcc_lo
	s_cbranch_execz .LBB228_1392
; %bb.1391:                             ;   in Loop: Header=BB228_1052 Depth=1
	buffer_load_dword v6, off, s[0:3], s32 offset:496 ; 4-byte Folded Reload
	v_cmp_lt_i32_e64 s4, v47, v28
	s_waitcnt vmcnt(0)
	v_cndmask_b32_e64 v6, 0, v6, s4
	v_cmp_lt_i32_e64 s4, v57, v28
	buffer_store_dword v6, off, s[0:3], s32 offset:496 ; 4-byte Folded Spill
	buffer_load_dword v6, off, s[0:3], s32 offset:504 ; 4-byte Folded Reload
	s_waitcnt vmcnt(0)
	v_cndmask_b32_e64 v6, 0, v6, s4
	v_cmp_lt_i32_e64 s4, v56, v28
	buffer_store_dword v6, off, s[0:3], s32 offset:504 ; 4-byte Folded Spill
	buffer_load_dword v6, off, s[0:3], s32 offset:488 ; 4-byte Folded Reload
	;; [unrolled: 5-line block ×3, first 2 shown]
	s_waitcnt vmcnt(0)
	v_cndmask_b32_e64 v6, 0, v6, s4
	buffer_store_dword v6, off, s[0:3], s32 offset:480 ; 4-byte Folded Spill
.LBB228_1392:                           ;   in Loop: Header=BB228_1052 Depth=1
	s_or_b32 exec_lo, exec_lo, s7
	flat_load_dword v6, v[16:17] offset:1280
	v_mov_b32_e32 v20, 0
	v_mov_b32_e32 v18, 0
	;; [unrolled: 1-line block ×4, first 2 shown]
	s_waitcnt vmcnt(0) lgkmcnt(0)
	v_cmp_ne_u16_sdwa s4, v6, v9 src0_sel:BYTE_0 src1_sel:DWORD
	s_and_saveexec_b32 s7, s4
	s_cbranch_execz .LBB228_1400
; %bb.1393:                             ;   in Loop: Header=BB228_1052 Depth=1
	v_bfrev_b32_e32 v18, 1
	v_mov_b32_e32 v19, 0
	v_cmp_ne_u16_sdwa s4, v6, v97 src0_sel:BYTE_0 src1_sel:DWORD
	s_and_saveexec_b32 s13, s4
	s_cbranch_execz .LBB228_1399
; %bb.1394:                             ;   in Loop: Header=BB228_1052 Depth=1
	v_mov_b32_e32 v18, 0x7f800001
	v_and_b32_e32 v10, 0x7f, v6
	v_mov_b32_e32 v19, 0
	s_mov_b32 s15, exec_lo
	v_cmpx_ne_u32_e32 0x7f, v10
	s_cbranch_execz .LBB228_1398
; %bb.1395:                             ;   in Loop: Header=BB228_1052 Depth=1
	v_and_b32_e32 v8, 7, v6
	v_lshrrev_b32_e32 v7, 3, v10
	s_mov_b32 s18, exec_lo
	v_cmpx_gt_u32_e32 8, v10
; %bb.1396:                             ;   in Loop: Header=BB228_1052 Depth=1
	v_ffbh_u32_e32 v7, v8
	v_min_u32_e32 v7, 32, v7
	v_subrev_nc_u32_e32 v10, 28, v7
	v_sub_nc_u32_e32 v7, 29, v7
	v_lshlrev_b64 v[18:19], v10, v[8:9]
	v_and_b32_e32 v8, 7, v18
; %bb.1397:                             ;   in Loop: Header=BB228_1052 Depth=1
	s_or_b32 exec_lo, exec_lo, s18
	v_lshlrev_b32_e32 v10, 24, v6
	v_lshlrev_b32_e32 v8, 20, v8
	v_lshl_add_u32 v7, v7, 23, 0x3c000000
	v_and_b32_e32 v10, 0x80000000, v10
	v_or3_b32 v8, v8, v10, v7
	v_mov_b32_e32 v19, v9
	v_mov_b32_e32 v18, v8
.LBB228_1398:                           ;   in Loop: Header=BB228_1052 Depth=1
	s_or_b32 exec_lo, exec_lo, s15
.LBB228_1399:                           ;   in Loop: Header=BB228_1052 Depth=1
	s_or_b32 exec_lo, exec_lo, s13
.LBB228_1400:                           ;   in Loop: Header=BB228_1052 Depth=1
	s_or_b32 exec_lo, exec_lo, s7
	v_cmp_ne_u16_sdwa s4, v6, v9 src0_sel:BYTE_1 src1_sel:DWORD
	s_and_saveexec_b32 s7, s4
	s_cbranch_execz .LBB228_1408
; %bb.1401:                             ;   in Loop: Header=BB228_1052 Depth=1
	v_mov_b32_e32 v10, v9
	v_mov_b32_e32 v21, v11
	v_cmp_ne_u16_sdwa s4, v6, v97 src0_sel:BYTE_1 src1_sel:DWORD
	v_mov_b32_e32 v20, v10
	s_and_saveexec_b32 s13, s4
	s_cbranch_execz .LBB228_1407
; %bb.1402:                             ;   in Loop: Header=BB228_1052 Depth=1
	v_mov_b32_e32 v7, 0xffff
	v_mov_b32_e32 v12, v9
	;; [unrolled: 1-line block ×3, first 2 shown]
	s_mov_b32 s15, exec_lo
	v_and_b32_sdwa v7, v7, v6 dst_sel:DWORD dst_unused:UNUSED_PAD src0_sel:DWORD src1_sel:BYTE_1
	v_mov_b32_e32 v20, v12
	v_and_b32_e32 v10, 0x7f, v7
	v_cmpx_ne_u32_e32 0x7f, v10
	s_cbranch_execz .LBB228_1406
; %bb.1403:                             ;   in Loop: Header=BB228_1052 Depth=1
	v_and_b32_e32 v8, 7, v7
	v_lshrrev_b32_e32 v7, 3, v10
	s_mov_b32 s18, exec_lo
	v_cmpx_gt_u32_e32 8, v10
; %bb.1404:                             ;   in Loop: Header=BB228_1052 Depth=1
	v_ffbh_u32_e32 v7, v8
	v_min_u32_e32 v7, 32, v7
	v_subrev_nc_u32_e32 v10, 28, v7
	v_sub_nc_u32_e32 v7, 29, v7
	v_lshlrev_b64 v[20:21], v10, v[8:9]
	v_and_b32_e32 v8, 7, v20
; %bb.1405:                             ;   in Loop: Header=BB228_1052 Depth=1
	s_or_b32 exec_lo, exec_lo, s18
	v_lshlrev_b32_e32 v10, 16, v6
	v_lshlrev_b32_e32 v8, 20, v8
	v_lshl_add_u32 v7, v7, 23, 0x3c000000
	v_mov_b32_e32 v20, v9
	v_and_b32_e32 v10, 0x80000000, v10
	v_or3_b32 v21, v8, v10, v7
.LBB228_1406:                           ;   in Loop: Header=BB228_1052 Depth=1
	s_or_b32 exec_lo, exec_lo, s15
.LBB228_1407:                           ;   in Loop: Header=BB228_1052 Depth=1
	s_or_b32 exec_lo, exec_lo, s13
.LBB228_1408:                           ;   in Loop: Header=BB228_1052 Depth=1
	s_or_b32 exec_lo, exec_lo, s7
	v_mov_b32_e32 v24, 0
	v_mov_b32_e32 v22, 0
	v_and_b32_sdwa v7, v6, v99 dst_sel:DWORD dst_unused:UNUSED_PAD src0_sel:WORD_1 src1_sel:DWORD
	v_mov_b32_e32 v25, 0
	v_mov_b32_e32 v23, 0
	s_mov_b32 s7, exec_lo
	v_cmpx_ne_u16_e32 0, v7
	s_cbranch_execz .LBB228_1416
; %bb.1409:                             ;   in Loop: Header=BB228_1052 Depth=1
	v_bfrev_b32_e32 v22, 1
	v_mov_b32_e32 v23, 0
	s_mov_b32 s13, exec_lo
	v_cmpx_ne_u16_e32 0x80, v7
	s_cbranch_execz .LBB228_1415
; %bb.1410:                             ;   in Loop: Header=BB228_1052 Depth=1
	v_mov_b32_e32 v22, 0x7f800001
	v_bfe_u32 v10, v6, 16, 7
	v_mov_b32_e32 v23, 0
	s_mov_b32 s15, exec_lo
	v_cmpx_ne_u32_e32 0x7f, v10
	s_cbranch_execz .LBB228_1414
; %bb.1411:                             ;   in Loop: Header=BB228_1052 Depth=1
	v_mov_b32_e32 v7, 7
	s_mov_b32 s18, exec_lo
	v_and_b32_sdwa v8, v6, v7 dst_sel:DWORD dst_unused:UNUSED_PAD src0_sel:WORD_1 src1_sel:DWORD
	v_lshrrev_b32_e32 v7, 3, v10
	v_cmpx_gt_u32_e32 8, v10
; %bb.1412:                             ;   in Loop: Header=BB228_1052 Depth=1
	v_ffbh_u32_e32 v7, v8
	v_min_u32_e32 v7, 32, v7
	v_subrev_nc_u32_e32 v10, 28, v7
	v_sub_nc_u32_e32 v7, 29, v7
	v_lshlrev_b64 v[22:23], v10, v[8:9]
	v_and_b32_e32 v8, 7, v22
; %bb.1413:                             ;   in Loop: Header=BB228_1052 Depth=1
	s_or_b32 exec_lo, exec_lo, s18
	v_mov_b32_e32 v10, 24
	v_lshlrev_b32_e32 v8, 20, v8
	v_lshl_add_u32 v7, v7, 23, 0x3c000000
	v_lshlrev_b32_sdwa v10, v10, v6 dst_sel:DWORD dst_unused:UNUSED_PAD src0_sel:DWORD src1_sel:WORD_1
	v_and_b32_e32 v10, 0x80000000, v10
	v_or3_b32 v8, v8, v10, v7
	v_mov_b32_e32 v23, v9
	v_mov_b32_e32 v22, v8
.LBB228_1414:                           ;   in Loop: Header=BB228_1052 Depth=1
	s_or_b32 exec_lo, exec_lo, s15
.LBB228_1415:                           ;   in Loop: Header=BB228_1052 Depth=1
	s_or_b32 exec_lo, exec_lo, s13
.LBB228_1416:                           ;   in Loop: Header=BB228_1052 Depth=1
	s_or_b32 exec_lo, exec_lo, s7
	s_mov_b32 s7, exec_lo
	v_cmpx_lt_u32_e32 0xffffff, v6
	s_cbranch_execz .LBB228_1424
; %bb.1417:                             ;   in Loop: Header=BB228_1052 Depth=1
	v_mov_b32_e32 v10, v9
	v_mov_b32_e32 v25, v11
	v_cmp_ne_u32_sdwa s4, v6, v97 src0_sel:BYTE_3 src1_sel:DWORD
	v_mov_b32_e32 v24, v10
	s_and_saveexec_b32 s13, s4
	s_cbranch_execz .LBB228_1423
; %bb.1418:                             ;   in Loop: Header=BB228_1052 Depth=1
	v_mov_b32_e32 v12, v9
	v_mov_b32_e32 v25, v13
	v_bfe_u32 v10, v6, 24, 7
	s_mov_b32 s15, exec_lo
	v_mov_b32_e32 v24, v12
	v_cmpx_ne_u32_e32 0x7f, v10
	s_cbranch_execz .LBB228_1422
; %bb.1419:                             ;   in Loop: Header=BB228_1052 Depth=1
	v_mov_b32_e32 v7, 7
	s_mov_b32 s18, exec_lo
	v_and_b32_sdwa v8, v6, v7 dst_sel:DWORD dst_unused:UNUSED_PAD src0_sel:BYTE_3 src1_sel:DWORD
	v_lshrrev_b32_e32 v7, 3, v10
	v_cmpx_gt_u32_e32 8, v10
; %bb.1420:                             ;   in Loop: Header=BB228_1052 Depth=1
	v_ffbh_u32_e32 v7, v8
	v_min_u32_e32 v7, 32, v7
	v_subrev_nc_u32_e32 v10, 28, v7
	v_sub_nc_u32_e32 v7, 29, v7
	v_lshlrev_b64 v[24:25], v10, v[8:9]
	v_and_b32_e32 v8, 7, v24
; %bb.1421:                             ;   in Loop: Header=BB228_1052 Depth=1
	s_or_b32 exec_lo, exec_lo, s18
	v_mov_b32_e32 v10, 24
	v_lshlrev_b32_e32 v8, 20, v8
	v_lshl_add_u32 v7, v7, 23, 0x3c000000
	v_mov_b32_e32 v24, v9
	v_lshlrev_b32_sdwa v6, v10, v6 dst_sel:DWORD dst_unused:UNUSED_PAD src0_sel:DWORD src1_sel:BYTE_3
	v_and_b32_e32 v6, 0x80000000, v6
	v_or3_b32 v25, v8, v6, v7
.LBB228_1422:                           ;   in Loop: Header=BB228_1052 Depth=1
	s_or_b32 exec_lo, exec_lo, s15
.LBB228_1423:                           ;   in Loop: Header=BB228_1052 Depth=1
	s_or_b32 exec_lo, exec_lo, s13
.LBB228_1424:                           ;   in Loop: Header=BB228_1052 Depth=1
	s_or_b32 exec_lo, exec_lo, s7
	v_or_b32_e32 v6, v21, v19
	v_or_b32_e32 v7, v20, v18
	;; [unrolled: 1-line block ×4, first 2 shown]
	v_mul_f32_e32 v6, v114, v6
	buffer_store_dword v6, off, s[0:3], s32 offset:528 ; 4-byte Folded Spill
	v_mul_f32_e32 v6, v96, v7
	buffer_store_dword v6, off, s[0:3], s32 offset:536 ; 4-byte Folded Spill
	v_mul_f32_e32 v6, v96, v8
	buffer_store_dword v6, off, s[0:3], s32 offset:520 ; 4-byte Folded Spill
	v_mul_f32_e32 v6, v114, v10
	buffer_store_dword v6, off, s[0:3], s32 offset:512 ; 4-byte Folded Spill
	s_and_saveexec_b32 s7, vcc_lo
	s_cbranch_execz .LBB228_1426
; %bb.1425:                             ;   in Loop: Header=BB228_1052 Depth=1
	buffer_load_dword v6, off, s[0:3], s32 offset:536 ; 4-byte Folded Reload
	v_cmp_lt_i32_e64 s4, v47, v28
	s_waitcnt vmcnt(0)
	v_cndmask_b32_e64 v6, 0, v6, s4
	v_cmp_lt_i32_e64 s4, v57, v28
	buffer_store_dword v6, off, s[0:3], s32 offset:536 ; 4-byte Folded Spill
	buffer_load_dword v6, off, s[0:3], s32 offset:528 ; 4-byte Folded Reload
	s_waitcnt vmcnt(0)
	v_cndmask_b32_e64 v6, 0, v6, s4
	v_cmp_lt_i32_e64 s4, v56, v28
	buffer_store_dword v6, off, s[0:3], s32 offset:528 ; 4-byte Folded Spill
	buffer_load_dword v6, off, s[0:3], s32 offset:520 ; 4-byte Folded Reload
	;; [unrolled: 5-line block ×3, first 2 shown]
	s_waitcnt vmcnt(0)
	v_cndmask_b32_e64 v6, 0, v6, s4
	buffer_store_dword v6, off, s[0:3], s32 offset:512 ; 4-byte Folded Spill
.LBB228_1426:                           ;   in Loop: Header=BB228_1052 Depth=1
	s_or_b32 exec_lo, exec_lo, s7
	flat_load_dword v6, v[16:17] offset:1408
	v_mov_b32_e32 v20, 0
	v_mov_b32_e32 v18, 0
	;; [unrolled: 1-line block ×4, first 2 shown]
	s_waitcnt vmcnt(0) lgkmcnt(0)
	v_cmp_ne_u16_sdwa s4, v6, v9 src0_sel:BYTE_0 src1_sel:DWORD
	s_and_saveexec_b32 s7, s4
	s_cbranch_execz .LBB228_1434
; %bb.1427:                             ;   in Loop: Header=BB228_1052 Depth=1
	v_bfrev_b32_e32 v18, 1
	v_mov_b32_e32 v19, 0
	v_cmp_ne_u16_sdwa s4, v6, v97 src0_sel:BYTE_0 src1_sel:DWORD
	s_and_saveexec_b32 s13, s4
	s_cbranch_execz .LBB228_1433
; %bb.1428:                             ;   in Loop: Header=BB228_1052 Depth=1
	v_mov_b32_e32 v18, 0x7f800001
	v_and_b32_e32 v10, 0x7f, v6
	v_mov_b32_e32 v19, 0
	s_mov_b32 s15, exec_lo
	v_cmpx_ne_u32_e32 0x7f, v10
	s_cbranch_execz .LBB228_1432
; %bb.1429:                             ;   in Loop: Header=BB228_1052 Depth=1
	v_and_b32_e32 v8, 7, v6
	v_lshrrev_b32_e32 v7, 3, v10
	s_mov_b32 s18, exec_lo
	v_cmpx_gt_u32_e32 8, v10
; %bb.1430:                             ;   in Loop: Header=BB228_1052 Depth=1
	v_ffbh_u32_e32 v7, v8
	v_min_u32_e32 v7, 32, v7
	v_subrev_nc_u32_e32 v10, 28, v7
	v_sub_nc_u32_e32 v7, 29, v7
	v_lshlrev_b64 v[18:19], v10, v[8:9]
	v_and_b32_e32 v8, 7, v18
; %bb.1431:                             ;   in Loop: Header=BB228_1052 Depth=1
	s_or_b32 exec_lo, exec_lo, s18
	v_lshlrev_b32_e32 v10, 24, v6
	v_lshlrev_b32_e32 v8, 20, v8
	v_lshl_add_u32 v7, v7, 23, 0x3c000000
	v_and_b32_e32 v10, 0x80000000, v10
	v_or3_b32 v8, v8, v10, v7
	v_mov_b32_e32 v19, v9
	v_mov_b32_e32 v18, v8
.LBB228_1432:                           ;   in Loop: Header=BB228_1052 Depth=1
	s_or_b32 exec_lo, exec_lo, s15
.LBB228_1433:                           ;   in Loop: Header=BB228_1052 Depth=1
	s_or_b32 exec_lo, exec_lo, s13
.LBB228_1434:                           ;   in Loop: Header=BB228_1052 Depth=1
	s_or_b32 exec_lo, exec_lo, s7
	v_cmp_ne_u16_sdwa s4, v6, v9 src0_sel:BYTE_1 src1_sel:DWORD
	s_and_saveexec_b32 s7, s4
	s_cbranch_execz .LBB228_1442
; %bb.1435:                             ;   in Loop: Header=BB228_1052 Depth=1
	v_mov_b32_e32 v10, v9
	v_mov_b32_e32 v21, v11
	v_cmp_ne_u16_sdwa s4, v6, v97 src0_sel:BYTE_1 src1_sel:DWORD
	v_mov_b32_e32 v20, v10
	s_and_saveexec_b32 s13, s4
	s_cbranch_execz .LBB228_1441
; %bb.1436:                             ;   in Loop: Header=BB228_1052 Depth=1
	v_mov_b32_e32 v7, 0xffff
	v_mov_b32_e32 v12, v9
	;; [unrolled: 1-line block ×3, first 2 shown]
	s_mov_b32 s15, exec_lo
	v_and_b32_sdwa v7, v7, v6 dst_sel:DWORD dst_unused:UNUSED_PAD src0_sel:DWORD src1_sel:BYTE_1
	v_mov_b32_e32 v20, v12
	v_and_b32_e32 v10, 0x7f, v7
	v_cmpx_ne_u32_e32 0x7f, v10
	s_cbranch_execz .LBB228_1440
; %bb.1437:                             ;   in Loop: Header=BB228_1052 Depth=1
	v_and_b32_e32 v8, 7, v7
	v_lshrrev_b32_e32 v7, 3, v10
	s_mov_b32 s18, exec_lo
	v_cmpx_gt_u32_e32 8, v10
; %bb.1438:                             ;   in Loop: Header=BB228_1052 Depth=1
	v_ffbh_u32_e32 v7, v8
	v_min_u32_e32 v7, 32, v7
	v_subrev_nc_u32_e32 v10, 28, v7
	v_sub_nc_u32_e32 v7, 29, v7
	v_lshlrev_b64 v[20:21], v10, v[8:9]
	v_and_b32_e32 v8, 7, v20
; %bb.1439:                             ;   in Loop: Header=BB228_1052 Depth=1
	s_or_b32 exec_lo, exec_lo, s18
	v_lshlrev_b32_e32 v10, 16, v6
	v_lshlrev_b32_e32 v8, 20, v8
	v_lshl_add_u32 v7, v7, 23, 0x3c000000
	v_mov_b32_e32 v20, v9
	v_and_b32_e32 v10, 0x80000000, v10
	v_or3_b32 v21, v8, v10, v7
.LBB228_1440:                           ;   in Loop: Header=BB228_1052 Depth=1
	s_or_b32 exec_lo, exec_lo, s15
.LBB228_1441:                           ;   in Loop: Header=BB228_1052 Depth=1
	s_or_b32 exec_lo, exec_lo, s13
.LBB228_1442:                           ;   in Loop: Header=BB228_1052 Depth=1
	s_or_b32 exec_lo, exec_lo, s7
	v_mov_b32_e32 v22, 0
	v_mov_b32_e32 v24, 0
	v_and_b32_sdwa v7, v6, v99 dst_sel:DWORD dst_unused:UNUSED_PAD src0_sel:WORD_1 src1_sel:DWORD
	v_mov_b32_e32 v23, 0
	v_mov_b32_e32 v25, 0
	s_mov_b32 s7, exec_lo
	v_cmpx_ne_u16_e32 0, v7
	s_cbranch_execz .LBB228_1450
; %bb.1443:                             ;   in Loop: Header=BB228_1052 Depth=1
	v_bfrev_b32_e32 v24, 1
	v_mov_b32_e32 v25, 0
	s_mov_b32 s13, exec_lo
	v_cmpx_ne_u16_e32 0x80, v7
	s_cbranch_execz .LBB228_1449
; %bb.1444:                             ;   in Loop: Header=BB228_1052 Depth=1
	v_mov_b32_e32 v24, 0x7f800001
	v_bfe_u32 v10, v6, 16, 7
	v_mov_b32_e32 v25, 0
	s_mov_b32 s15, exec_lo
	v_cmpx_ne_u32_e32 0x7f, v10
	s_cbranch_execz .LBB228_1448
; %bb.1445:                             ;   in Loop: Header=BB228_1052 Depth=1
	v_mov_b32_e32 v7, 7
	s_mov_b32 s18, exec_lo
	v_and_b32_sdwa v8, v6, v7 dst_sel:DWORD dst_unused:UNUSED_PAD src0_sel:WORD_1 src1_sel:DWORD
	v_lshrrev_b32_e32 v7, 3, v10
	v_cmpx_gt_u32_e32 8, v10
; %bb.1446:                             ;   in Loop: Header=BB228_1052 Depth=1
	v_ffbh_u32_e32 v7, v8
	v_min_u32_e32 v7, 32, v7
	v_subrev_nc_u32_e32 v10, 28, v7
	v_sub_nc_u32_e32 v7, 29, v7
	v_lshlrev_b64 v[24:25], v10, v[8:9]
	v_and_b32_e32 v8, 7, v24
; %bb.1447:                             ;   in Loop: Header=BB228_1052 Depth=1
	s_or_b32 exec_lo, exec_lo, s18
	v_mov_b32_e32 v10, 24
	v_lshlrev_b32_e32 v8, 20, v8
	v_lshl_add_u32 v7, v7, 23, 0x3c000000
	v_lshlrev_b32_sdwa v10, v10, v6 dst_sel:DWORD dst_unused:UNUSED_PAD src0_sel:DWORD src1_sel:WORD_1
	v_and_b32_e32 v10, 0x80000000, v10
	v_or3_b32 v8, v8, v10, v7
	v_mov_b32_e32 v25, v9
	v_mov_b32_e32 v24, v8
.LBB228_1448:                           ;   in Loop: Header=BB228_1052 Depth=1
	s_or_b32 exec_lo, exec_lo, s15
.LBB228_1449:                           ;   in Loop: Header=BB228_1052 Depth=1
	s_or_b32 exec_lo, exec_lo, s13
.LBB228_1450:                           ;   in Loop: Header=BB228_1052 Depth=1
	s_or_b32 exec_lo, exec_lo, s7
	s_mov_b32 s7, exec_lo
	v_cmpx_lt_u32_e32 0xffffff, v6
	s_cbranch_execz .LBB228_1458
; %bb.1451:                             ;   in Loop: Header=BB228_1052 Depth=1
	v_mov_b32_e32 v10, v9
	v_mov_b32_e32 v23, v11
	v_cmp_ne_u32_sdwa s4, v6, v97 src0_sel:BYTE_3 src1_sel:DWORD
	v_mov_b32_e32 v22, v10
	s_and_saveexec_b32 s13, s4
	s_cbranch_execz .LBB228_1457
; %bb.1452:                             ;   in Loop: Header=BB228_1052 Depth=1
	v_mov_b32_e32 v12, v9
	v_mov_b32_e32 v23, v13
	v_bfe_u32 v10, v6, 24, 7
	s_mov_b32 s15, exec_lo
	v_mov_b32_e32 v22, v12
	v_cmpx_ne_u32_e32 0x7f, v10
	s_cbranch_execz .LBB228_1456
; %bb.1453:                             ;   in Loop: Header=BB228_1052 Depth=1
	v_mov_b32_e32 v7, 7
	s_mov_b32 s18, exec_lo
	v_and_b32_sdwa v8, v6, v7 dst_sel:DWORD dst_unused:UNUSED_PAD src0_sel:BYTE_3 src1_sel:DWORD
	v_lshrrev_b32_e32 v7, 3, v10
	v_cmpx_gt_u32_e32 8, v10
; %bb.1454:                             ;   in Loop: Header=BB228_1052 Depth=1
	v_ffbh_u32_e32 v7, v8
	v_min_u32_e32 v7, 32, v7
	v_subrev_nc_u32_e32 v10, 28, v7
	v_sub_nc_u32_e32 v7, 29, v7
	v_lshlrev_b64 v[22:23], v10, v[8:9]
	v_and_b32_e32 v8, 7, v22
; %bb.1455:                             ;   in Loop: Header=BB228_1052 Depth=1
	s_or_b32 exec_lo, exec_lo, s18
	v_mov_b32_e32 v10, 24
	v_lshlrev_b32_e32 v8, 20, v8
	v_lshl_add_u32 v7, v7, 23, 0x3c000000
	v_mov_b32_e32 v22, v9
	v_lshlrev_b32_sdwa v6, v10, v6 dst_sel:DWORD dst_unused:UNUSED_PAD src0_sel:DWORD src1_sel:BYTE_3
	v_and_b32_e32 v6, 0x80000000, v6
	v_or3_b32 v23, v8, v6, v7
.LBB228_1456:                           ;   in Loop: Header=BB228_1052 Depth=1
	s_or_b32 exec_lo, exec_lo, s15
.LBB228_1457:                           ;   in Loop: Header=BB228_1052 Depth=1
	s_or_b32 exec_lo, exec_lo, s13
.LBB228_1458:                           ;   in Loop: Header=BB228_1052 Depth=1
	s_or_b32 exec_lo, exec_lo, s7
	v_or_b32_e32 v6, v21, v19
	v_or_b32_e32 v7, v20, v18
	v_or_b32_e32 v8, v22, v24
	v_or_b32_e32 v10, v23, v25
	v_mul_f32_e32 v6, v114, v6
	buffer_store_dword v6, off, s[0:3], s32 offset:560 ; 4-byte Folded Spill
	v_mul_f32_e32 v6, v96, v7
	buffer_store_dword v6, off, s[0:3], s32 offset:568 ; 4-byte Folded Spill
	;; [unrolled: 2-line block ×4, first 2 shown]
	s_and_saveexec_b32 s7, vcc_lo
	s_cbranch_execz .LBB228_1460
; %bb.1459:                             ;   in Loop: Header=BB228_1052 Depth=1
	buffer_load_dword v6, off, s[0:3], s32 offset:568 ; 4-byte Folded Reload
	v_cmp_lt_i32_e64 s4, v47, v28
	s_waitcnt vmcnt(0)
	v_cndmask_b32_e64 v6, 0, v6, s4
	v_cmp_lt_i32_e64 s4, v57, v28
	buffer_store_dword v6, off, s[0:3], s32 offset:568 ; 4-byte Folded Spill
	buffer_load_dword v6, off, s[0:3], s32 offset:560 ; 4-byte Folded Reload
	s_waitcnt vmcnt(0)
	v_cndmask_b32_e64 v6, 0, v6, s4
	v_cmp_lt_i32_e64 s4, v56, v28
	buffer_store_dword v6, off, s[0:3], s32 offset:560 ; 4-byte Folded Spill
	buffer_load_dword v6, off, s[0:3], s32 offset:552 ; 4-byte Folded Reload
	;; [unrolled: 5-line block ×3, first 2 shown]
	s_waitcnt vmcnt(0)
	v_cndmask_b32_e64 v6, 0, v6, s4
	buffer_store_dword v6, off, s[0:3], s32 offset:544 ; 4-byte Folded Spill
.LBB228_1460:                           ;   in Loop: Header=BB228_1052 Depth=1
	s_or_b32 exec_lo, exec_lo, s7
	flat_load_dword v6, v[16:17] offset:1536
	v_mov_b32_e32 v20, 0
	v_mov_b32_e32 v18, 0
	;; [unrolled: 1-line block ×4, first 2 shown]
	s_waitcnt vmcnt(0) lgkmcnt(0)
	v_cmp_ne_u16_sdwa s4, v6, v9 src0_sel:BYTE_0 src1_sel:DWORD
	s_and_saveexec_b32 s7, s4
	s_cbranch_execz .LBB228_1468
; %bb.1461:                             ;   in Loop: Header=BB228_1052 Depth=1
	v_bfrev_b32_e32 v18, 1
	v_mov_b32_e32 v19, 0
	v_cmp_ne_u16_sdwa s4, v6, v97 src0_sel:BYTE_0 src1_sel:DWORD
	s_and_saveexec_b32 s13, s4
	s_cbranch_execz .LBB228_1467
; %bb.1462:                             ;   in Loop: Header=BB228_1052 Depth=1
	v_mov_b32_e32 v18, 0x7f800001
	v_and_b32_e32 v10, 0x7f, v6
	v_mov_b32_e32 v19, 0
	s_mov_b32 s15, exec_lo
	v_cmpx_ne_u32_e32 0x7f, v10
	s_cbranch_execz .LBB228_1466
; %bb.1463:                             ;   in Loop: Header=BB228_1052 Depth=1
	v_and_b32_e32 v8, 7, v6
	v_lshrrev_b32_e32 v7, 3, v10
	s_mov_b32 s18, exec_lo
	v_cmpx_gt_u32_e32 8, v10
; %bb.1464:                             ;   in Loop: Header=BB228_1052 Depth=1
	v_ffbh_u32_e32 v7, v8
	v_min_u32_e32 v7, 32, v7
	v_subrev_nc_u32_e32 v10, 28, v7
	v_sub_nc_u32_e32 v7, 29, v7
	v_lshlrev_b64 v[18:19], v10, v[8:9]
	v_and_b32_e32 v8, 7, v18
; %bb.1465:                             ;   in Loop: Header=BB228_1052 Depth=1
	s_or_b32 exec_lo, exec_lo, s18
	v_lshlrev_b32_e32 v10, 24, v6
	v_lshlrev_b32_e32 v8, 20, v8
	v_lshl_add_u32 v7, v7, 23, 0x3c000000
	v_and_b32_e32 v10, 0x80000000, v10
	v_or3_b32 v8, v8, v10, v7
	v_mov_b32_e32 v19, v9
	v_mov_b32_e32 v18, v8
.LBB228_1466:                           ;   in Loop: Header=BB228_1052 Depth=1
	s_or_b32 exec_lo, exec_lo, s15
.LBB228_1467:                           ;   in Loop: Header=BB228_1052 Depth=1
	s_or_b32 exec_lo, exec_lo, s13
.LBB228_1468:                           ;   in Loop: Header=BB228_1052 Depth=1
	s_or_b32 exec_lo, exec_lo, s7
	v_cmp_ne_u16_sdwa s4, v6, v9 src0_sel:BYTE_1 src1_sel:DWORD
	s_and_saveexec_b32 s7, s4
	s_cbranch_execz .LBB228_1476
; %bb.1469:                             ;   in Loop: Header=BB228_1052 Depth=1
	v_mov_b32_e32 v10, v9
	v_mov_b32_e32 v21, v11
	v_cmp_ne_u16_sdwa s4, v6, v97 src0_sel:BYTE_1 src1_sel:DWORD
	v_mov_b32_e32 v20, v10
	s_and_saveexec_b32 s13, s4
	s_cbranch_execz .LBB228_1475
; %bb.1470:                             ;   in Loop: Header=BB228_1052 Depth=1
	v_mov_b32_e32 v7, 0xffff
	v_mov_b32_e32 v12, v9
	;; [unrolled: 1-line block ×3, first 2 shown]
	s_mov_b32 s15, exec_lo
	v_and_b32_sdwa v7, v7, v6 dst_sel:DWORD dst_unused:UNUSED_PAD src0_sel:DWORD src1_sel:BYTE_1
	v_mov_b32_e32 v20, v12
	v_and_b32_e32 v10, 0x7f, v7
	v_cmpx_ne_u32_e32 0x7f, v10
	s_cbranch_execz .LBB228_1474
; %bb.1471:                             ;   in Loop: Header=BB228_1052 Depth=1
	v_and_b32_e32 v8, 7, v7
	v_lshrrev_b32_e32 v7, 3, v10
	s_mov_b32 s18, exec_lo
	v_cmpx_gt_u32_e32 8, v10
; %bb.1472:                             ;   in Loop: Header=BB228_1052 Depth=1
	v_ffbh_u32_e32 v7, v8
	v_min_u32_e32 v7, 32, v7
	v_subrev_nc_u32_e32 v10, 28, v7
	v_sub_nc_u32_e32 v7, 29, v7
	v_lshlrev_b64 v[20:21], v10, v[8:9]
	v_and_b32_e32 v8, 7, v20
; %bb.1473:                             ;   in Loop: Header=BB228_1052 Depth=1
	s_or_b32 exec_lo, exec_lo, s18
	v_lshlrev_b32_e32 v10, 16, v6
	v_lshlrev_b32_e32 v8, 20, v8
	v_lshl_add_u32 v7, v7, 23, 0x3c000000
	v_mov_b32_e32 v20, v9
	v_and_b32_e32 v10, 0x80000000, v10
	v_or3_b32 v21, v8, v10, v7
.LBB228_1474:                           ;   in Loop: Header=BB228_1052 Depth=1
	s_or_b32 exec_lo, exec_lo, s15
.LBB228_1475:                           ;   in Loop: Header=BB228_1052 Depth=1
	s_or_b32 exec_lo, exec_lo, s13
.LBB228_1476:                           ;   in Loop: Header=BB228_1052 Depth=1
	s_or_b32 exec_lo, exec_lo, s7
	v_mov_b32_e32 v22, 0
	v_mov_b32_e32 v24, 0
	v_and_b32_sdwa v7, v6, v99 dst_sel:DWORD dst_unused:UNUSED_PAD src0_sel:WORD_1 src1_sel:DWORD
	v_mov_b32_e32 v23, 0
	v_mov_b32_e32 v25, 0
	s_mov_b32 s7, exec_lo
	v_cmpx_ne_u16_e32 0, v7
	s_cbranch_execz .LBB228_1484
; %bb.1477:                             ;   in Loop: Header=BB228_1052 Depth=1
	v_bfrev_b32_e32 v24, 1
	v_mov_b32_e32 v25, 0
	s_mov_b32 s13, exec_lo
	v_cmpx_ne_u16_e32 0x80, v7
	s_cbranch_execz .LBB228_1483
; %bb.1478:                             ;   in Loop: Header=BB228_1052 Depth=1
	v_mov_b32_e32 v24, 0x7f800001
	v_bfe_u32 v10, v6, 16, 7
	v_mov_b32_e32 v25, 0
	s_mov_b32 s15, exec_lo
	v_cmpx_ne_u32_e32 0x7f, v10
	s_cbranch_execz .LBB228_1482
; %bb.1479:                             ;   in Loop: Header=BB228_1052 Depth=1
	v_mov_b32_e32 v7, 7
	s_mov_b32 s18, exec_lo
	v_and_b32_sdwa v8, v6, v7 dst_sel:DWORD dst_unused:UNUSED_PAD src0_sel:WORD_1 src1_sel:DWORD
	v_lshrrev_b32_e32 v7, 3, v10
	v_cmpx_gt_u32_e32 8, v10
; %bb.1480:                             ;   in Loop: Header=BB228_1052 Depth=1
	v_ffbh_u32_e32 v7, v8
	v_min_u32_e32 v7, 32, v7
	v_subrev_nc_u32_e32 v10, 28, v7
	v_sub_nc_u32_e32 v7, 29, v7
	v_lshlrev_b64 v[24:25], v10, v[8:9]
	v_and_b32_e32 v8, 7, v24
; %bb.1481:                             ;   in Loop: Header=BB228_1052 Depth=1
	s_or_b32 exec_lo, exec_lo, s18
	v_mov_b32_e32 v10, 24
	v_lshlrev_b32_e32 v8, 20, v8
	v_lshl_add_u32 v7, v7, 23, 0x3c000000
	v_lshlrev_b32_sdwa v10, v10, v6 dst_sel:DWORD dst_unused:UNUSED_PAD src0_sel:DWORD src1_sel:WORD_1
	v_and_b32_e32 v10, 0x80000000, v10
	v_or3_b32 v8, v8, v10, v7
	v_mov_b32_e32 v25, v9
	v_mov_b32_e32 v24, v8
.LBB228_1482:                           ;   in Loop: Header=BB228_1052 Depth=1
	s_or_b32 exec_lo, exec_lo, s15
.LBB228_1483:                           ;   in Loop: Header=BB228_1052 Depth=1
	s_or_b32 exec_lo, exec_lo, s13
.LBB228_1484:                           ;   in Loop: Header=BB228_1052 Depth=1
	s_or_b32 exec_lo, exec_lo, s7
	s_mov_b32 s7, exec_lo
	v_cmpx_lt_u32_e32 0xffffff, v6
	s_cbranch_execz .LBB228_1492
; %bb.1485:                             ;   in Loop: Header=BB228_1052 Depth=1
	v_mov_b32_e32 v10, v9
	v_mov_b32_e32 v23, v11
	v_cmp_ne_u32_sdwa s4, v6, v97 src0_sel:BYTE_3 src1_sel:DWORD
	v_mov_b32_e32 v22, v10
	s_and_saveexec_b32 s13, s4
	s_cbranch_execz .LBB228_1491
; %bb.1486:                             ;   in Loop: Header=BB228_1052 Depth=1
	v_mov_b32_e32 v12, v9
	v_mov_b32_e32 v23, v13
	v_bfe_u32 v10, v6, 24, 7
	s_mov_b32 s15, exec_lo
	v_mov_b32_e32 v22, v12
	v_cmpx_ne_u32_e32 0x7f, v10
	s_cbranch_execz .LBB228_1490
; %bb.1487:                             ;   in Loop: Header=BB228_1052 Depth=1
	v_mov_b32_e32 v7, 7
	s_mov_b32 s18, exec_lo
	v_and_b32_sdwa v8, v6, v7 dst_sel:DWORD dst_unused:UNUSED_PAD src0_sel:BYTE_3 src1_sel:DWORD
	v_lshrrev_b32_e32 v7, 3, v10
	v_cmpx_gt_u32_e32 8, v10
; %bb.1488:                             ;   in Loop: Header=BB228_1052 Depth=1
	v_ffbh_u32_e32 v7, v8
	v_min_u32_e32 v7, 32, v7
	v_subrev_nc_u32_e32 v10, 28, v7
	v_sub_nc_u32_e32 v7, 29, v7
	v_lshlrev_b64 v[22:23], v10, v[8:9]
	v_and_b32_e32 v8, 7, v22
; %bb.1489:                             ;   in Loop: Header=BB228_1052 Depth=1
	s_or_b32 exec_lo, exec_lo, s18
	v_mov_b32_e32 v10, 24
	v_lshlrev_b32_e32 v8, 20, v8
	v_lshl_add_u32 v7, v7, 23, 0x3c000000
	v_mov_b32_e32 v22, v9
	v_lshlrev_b32_sdwa v6, v10, v6 dst_sel:DWORD dst_unused:UNUSED_PAD src0_sel:DWORD src1_sel:BYTE_3
	v_and_b32_e32 v6, 0x80000000, v6
	v_or3_b32 v23, v8, v6, v7
.LBB228_1490:                           ;   in Loop: Header=BB228_1052 Depth=1
	s_or_b32 exec_lo, exec_lo, s15
.LBB228_1491:                           ;   in Loop: Header=BB228_1052 Depth=1
	s_or_b32 exec_lo, exec_lo, s13
.LBB228_1492:                           ;   in Loop: Header=BB228_1052 Depth=1
	s_or_b32 exec_lo, exec_lo, s7
	v_or_b32_e32 v6, v21, v19
	v_or_b32_e32 v7, v20, v18
	v_or_b32_e32 v8, v22, v24
	v_or_b32_e32 v10, v23, v25
	v_mul_f32_e32 v6, v114, v6
	buffer_store_dword v6, off, s[0:3], s32 offset:592 ; 4-byte Folded Spill
	v_mul_f32_e32 v6, v96, v7
	buffer_store_dword v6, off, s[0:3], s32 offset:600 ; 4-byte Folded Spill
	;; [unrolled: 2-line block ×4, first 2 shown]
	s_and_saveexec_b32 s7, vcc_lo
	s_cbranch_execz .LBB228_1494
; %bb.1493:                             ;   in Loop: Header=BB228_1052 Depth=1
	buffer_load_dword v6, off, s[0:3], s32 offset:600 ; 4-byte Folded Reload
	v_cmp_lt_i32_e64 s4, v47, v28
	s_waitcnt vmcnt(0)
	v_cndmask_b32_e64 v6, 0, v6, s4
	v_cmp_lt_i32_e64 s4, v57, v28
	buffer_store_dword v6, off, s[0:3], s32 offset:600 ; 4-byte Folded Spill
	buffer_load_dword v6, off, s[0:3], s32 offset:592 ; 4-byte Folded Reload
	s_waitcnt vmcnt(0)
	v_cndmask_b32_e64 v6, 0, v6, s4
	v_cmp_lt_i32_e64 s4, v56, v28
	buffer_store_dword v6, off, s[0:3], s32 offset:592 ; 4-byte Folded Spill
	buffer_load_dword v6, off, s[0:3], s32 offset:584 ; 4-byte Folded Reload
	;; [unrolled: 5-line block ×3, first 2 shown]
	s_waitcnt vmcnt(0)
	v_cndmask_b32_e64 v6, 0, v6, s4
	buffer_store_dword v6, off, s[0:3], s32 offset:576 ; 4-byte Folded Spill
.LBB228_1494:                           ;   in Loop: Header=BB228_1052 Depth=1
	s_or_b32 exec_lo, exec_lo, s7
	flat_load_dword v6, v[16:17] offset:1664
	v_mov_b32_e32 v20, 0
	v_mov_b32_e32 v18, 0
	;; [unrolled: 1-line block ×4, first 2 shown]
	s_waitcnt vmcnt(0) lgkmcnt(0)
	v_cmp_ne_u16_sdwa s4, v6, v9 src0_sel:BYTE_0 src1_sel:DWORD
	s_and_saveexec_b32 s7, s4
	s_cbranch_execz .LBB228_1502
; %bb.1495:                             ;   in Loop: Header=BB228_1052 Depth=1
	v_bfrev_b32_e32 v18, 1
	v_mov_b32_e32 v19, 0
	v_cmp_ne_u16_sdwa s4, v6, v97 src0_sel:BYTE_0 src1_sel:DWORD
	s_and_saveexec_b32 s13, s4
	s_cbranch_execz .LBB228_1501
; %bb.1496:                             ;   in Loop: Header=BB228_1052 Depth=1
	v_mov_b32_e32 v18, 0x7f800001
	v_and_b32_e32 v10, 0x7f, v6
	v_mov_b32_e32 v19, 0
	s_mov_b32 s15, exec_lo
	v_cmpx_ne_u32_e32 0x7f, v10
	s_cbranch_execz .LBB228_1500
; %bb.1497:                             ;   in Loop: Header=BB228_1052 Depth=1
	v_and_b32_e32 v8, 7, v6
	v_lshrrev_b32_e32 v7, 3, v10
	s_mov_b32 s18, exec_lo
	v_cmpx_gt_u32_e32 8, v10
; %bb.1498:                             ;   in Loop: Header=BB228_1052 Depth=1
	v_ffbh_u32_e32 v7, v8
	v_min_u32_e32 v7, 32, v7
	v_subrev_nc_u32_e32 v10, 28, v7
	v_sub_nc_u32_e32 v7, 29, v7
	v_lshlrev_b64 v[18:19], v10, v[8:9]
	v_and_b32_e32 v8, 7, v18
; %bb.1499:                             ;   in Loop: Header=BB228_1052 Depth=1
	s_or_b32 exec_lo, exec_lo, s18
	v_lshlrev_b32_e32 v10, 24, v6
	v_lshlrev_b32_e32 v8, 20, v8
	v_lshl_add_u32 v7, v7, 23, 0x3c000000
	v_and_b32_e32 v10, 0x80000000, v10
	v_or3_b32 v8, v8, v10, v7
	v_mov_b32_e32 v19, v9
	v_mov_b32_e32 v18, v8
.LBB228_1500:                           ;   in Loop: Header=BB228_1052 Depth=1
	s_or_b32 exec_lo, exec_lo, s15
.LBB228_1501:                           ;   in Loop: Header=BB228_1052 Depth=1
	s_or_b32 exec_lo, exec_lo, s13
.LBB228_1502:                           ;   in Loop: Header=BB228_1052 Depth=1
	s_or_b32 exec_lo, exec_lo, s7
	v_cmp_ne_u16_sdwa s4, v6, v9 src0_sel:BYTE_1 src1_sel:DWORD
	s_and_saveexec_b32 s7, s4
	s_cbranch_execz .LBB228_1510
; %bb.1503:                             ;   in Loop: Header=BB228_1052 Depth=1
	v_mov_b32_e32 v10, v9
	v_mov_b32_e32 v21, v11
	v_cmp_ne_u16_sdwa s4, v6, v97 src0_sel:BYTE_1 src1_sel:DWORD
	v_mov_b32_e32 v20, v10
	s_and_saveexec_b32 s13, s4
	s_cbranch_execz .LBB228_1509
; %bb.1504:                             ;   in Loop: Header=BB228_1052 Depth=1
	v_mov_b32_e32 v7, 0xffff
	v_mov_b32_e32 v12, v9
	;; [unrolled: 1-line block ×3, first 2 shown]
	s_mov_b32 s15, exec_lo
	v_and_b32_sdwa v7, v7, v6 dst_sel:DWORD dst_unused:UNUSED_PAD src0_sel:DWORD src1_sel:BYTE_1
	v_mov_b32_e32 v20, v12
	v_and_b32_e32 v10, 0x7f, v7
	v_cmpx_ne_u32_e32 0x7f, v10
	s_cbranch_execz .LBB228_1508
; %bb.1505:                             ;   in Loop: Header=BB228_1052 Depth=1
	v_and_b32_e32 v8, 7, v7
	v_lshrrev_b32_e32 v7, 3, v10
	s_mov_b32 s18, exec_lo
	v_cmpx_gt_u32_e32 8, v10
; %bb.1506:                             ;   in Loop: Header=BB228_1052 Depth=1
	v_ffbh_u32_e32 v7, v8
	v_min_u32_e32 v7, 32, v7
	v_subrev_nc_u32_e32 v10, 28, v7
	v_sub_nc_u32_e32 v7, 29, v7
	v_lshlrev_b64 v[20:21], v10, v[8:9]
	v_and_b32_e32 v8, 7, v20
; %bb.1507:                             ;   in Loop: Header=BB228_1052 Depth=1
	s_or_b32 exec_lo, exec_lo, s18
	v_lshlrev_b32_e32 v10, 16, v6
	v_lshlrev_b32_e32 v8, 20, v8
	v_lshl_add_u32 v7, v7, 23, 0x3c000000
	v_mov_b32_e32 v20, v9
	v_and_b32_e32 v10, 0x80000000, v10
	v_or3_b32 v21, v8, v10, v7
.LBB228_1508:                           ;   in Loop: Header=BB228_1052 Depth=1
	s_or_b32 exec_lo, exec_lo, s15
.LBB228_1509:                           ;   in Loop: Header=BB228_1052 Depth=1
	s_or_b32 exec_lo, exec_lo, s13
.LBB228_1510:                           ;   in Loop: Header=BB228_1052 Depth=1
	s_or_b32 exec_lo, exec_lo, s7
	v_mov_b32_e32 v22, 0
	v_mov_b32_e32 v24, 0
	v_and_b32_sdwa v7, v6, v99 dst_sel:DWORD dst_unused:UNUSED_PAD src0_sel:WORD_1 src1_sel:DWORD
	v_mov_b32_e32 v23, 0
	v_mov_b32_e32 v25, 0
	s_mov_b32 s7, exec_lo
	v_cmpx_ne_u16_e32 0, v7
	s_cbranch_execz .LBB228_1518
; %bb.1511:                             ;   in Loop: Header=BB228_1052 Depth=1
	v_bfrev_b32_e32 v24, 1
	v_mov_b32_e32 v25, 0
	s_mov_b32 s13, exec_lo
	v_cmpx_ne_u16_e32 0x80, v7
	s_cbranch_execz .LBB228_1517
; %bb.1512:                             ;   in Loop: Header=BB228_1052 Depth=1
	v_mov_b32_e32 v24, 0x7f800001
	v_bfe_u32 v10, v6, 16, 7
	v_mov_b32_e32 v25, 0
	s_mov_b32 s15, exec_lo
	v_cmpx_ne_u32_e32 0x7f, v10
	s_cbranch_execz .LBB228_1516
; %bb.1513:                             ;   in Loop: Header=BB228_1052 Depth=1
	v_mov_b32_e32 v7, 7
	s_mov_b32 s18, exec_lo
	v_and_b32_sdwa v8, v6, v7 dst_sel:DWORD dst_unused:UNUSED_PAD src0_sel:WORD_1 src1_sel:DWORD
	v_lshrrev_b32_e32 v7, 3, v10
	v_cmpx_gt_u32_e32 8, v10
; %bb.1514:                             ;   in Loop: Header=BB228_1052 Depth=1
	v_ffbh_u32_e32 v7, v8
	v_min_u32_e32 v7, 32, v7
	v_subrev_nc_u32_e32 v10, 28, v7
	v_sub_nc_u32_e32 v7, 29, v7
	v_lshlrev_b64 v[24:25], v10, v[8:9]
	v_and_b32_e32 v8, 7, v24
; %bb.1515:                             ;   in Loop: Header=BB228_1052 Depth=1
	s_or_b32 exec_lo, exec_lo, s18
	v_mov_b32_e32 v10, 24
	v_lshlrev_b32_e32 v8, 20, v8
	v_lshl_add_u32 v7, v7, 23, 0x3c000000
	v_lshlrev_b32_sdwa v10, v10, v6 dst_sel:DWORD dst_unused:UNUSED_PAD src0_sel:DWORD src1_sel:WORD_1
	v_and_b32_e32 v10, 0x80000000, v10
	v_or3_b32 v8, v8, v10, v7
	v_mov_b32_e32 v25, v9
	v_mov_b32_e32 v24, v8
.LBB228_1516:                           ;   in Loop: Header=BB228_1052 Depth=1
	s_or_b32 exec_lo, exec_lo, s15
.LBB228_1517:                           ;   in Loop: Header=BB228_1052 Depth=1
	s_or_b32 exec_lo, exec_lo, s13
.LBB228_1518:                           ;   in Loop: Header=BB228_1052 Depth=1
	s_or_b32 exec_lo, exec_lo, s7
	s_mov_b32 s7, exec_lo
	v_cmpx_lt_u32_e32 0xffffff, v6
	s_cbranch_execz .LBB228_1526
; %bb.1519:                             ;   in Loop: Header=BB228_1052 Depth=1
	v_mov_b32_e32 v10, v9
	v_mov_b32_e32 v23, v11
	v_cmp_ne_u32_sdwa s4, v6, v97 src0_sel:BYTE_3 src1_sel:DWORD
	v_mov_b32_e32 v22, v10
	s_and_saveexec_b32 s13, s4
	s_cbranch_execz .LBB228_1525
; %bb.1520:                             ;   in Loop: Header=BB228_1052 Depth=1
	v_mov_b32_e32 v12, v9
	v_mov_b32_e32 v23, v13
	v_bfe_u32 v10, v6, 24, 7
	s_mov_b32 s15, exec_lo
	v_mov_b32_e32 v22, v12
	v_cmpx_ne_u32_e32 0x7f, v10
	s_cbranch_execz .LBB228_1524
; %bb.1521:                             ;   in Loop: Header=BB228_1052 Depth=1
	v_mov_b32_e32 v7, 7
	s_mov_b32 s18, exec_lo
	v_and_b32_sdwa v8, v6, v7 dst_sel:DWORD dst_unused:UNUSED_PAD src0_sel:BYTE_3 src1_sel:DWORD
	v_lshrrev_b32_e32 v7, 3, v10
	v_cmpx_gt_u32_e32 8, v10
; %bb.1522:                             ;   in Loop: Header=BB228_1052 Depth=1
	v_ffbh_u32_e32 v7, v8
	v_min_u32_e32 v7, 32, v7
	v_subrev_nc_u32_e32 v10, 28, v7
	v_sub_nc_u32_e32 v7, 29, v7
	v_lshlrev_b64 v[22:23], v10, v[8:9]
	v_and_b32_e32 v8, 7, v22
; %bb.1523:                             ;   in Loop: Header=BB228_1052 Depth=1
	s_or_b32 exec_lo, exec_lo, s18
	v_mov_b32_e32 v10, 24
	v_lshlrev_b32_e32 v8, 20, v8
	v_lshl_add_u32 v7, v7, 23, 0x3c000000
	v_mov_b32_e32 v22, v9
	v_lshlrev_b32_sdwa v6, v10, v6 dst_sel:DWORD dst_unused:UNUSED_PAD src0_sel:DWORD src1_sel:BYTE_3
	v_and_b32_e32 v6, 0x80000000, v6
	v_or3_b32 v23, v8, v6, v7
.LBB228_1524:                           ;   in Loop: Header=BB228_1052 Depth=1
	s_or_b32 exec_lo, exec_lo, s15
.LBB228_1525:                           ;   in Loop: Header=BB228_1052 Depth=1
	s_or_b32 exec_lo, exec_lo, s13
.LBB228_1526:                           ;   in Loop: Header=BB228_1052 Depth=1
	s_or_b32 exec_lo, exec_lo, s7
	v_or_b32_e32 v6, v21, v19
	v_or_b32_e32 v7, v20, v18
	;; [unrolled: 1-line block ×4, first 2 shown]
	v_mul_f32_e32 v6, v114, v6
	buffer_store_dword v6, off, s[0:3], s32 offset:632 ; 4-byte Folded Spill
	v_mul_f32_e32 v6, v96, v7
	buffer_store_dword v6, off, s[0:3], s32 offset:624 ; 4-byte Folded Spill
	;; [unrolled: 2-line block ×4, first 2 shown]
	s_and_saveexec_b32 s7, vcc_lo
	s_cbranch_execz .LBB228_1528
; %bb.1527:                             ;   in Loop: Header=BB228_1052 Depth=1
	buffer_load_dword v6, off, s[0:3], s32 offset:624 ; 4-byte Folded Reload
	v_cmp_lt_i32_e64 s4, v47, v28
	s_waitcnt vmcnt(0)
	v_cndmask_b32_e64 v6, 0, v6, s4
	v_cmp_lt_i32_e64 s4, v57, v28
	buffer_store_dword v6, off, s[0:3], s32 offset:624 ; 4-byte Folded Spill
	buffer_load_dword v6, off, s[0:3], s32 offset:632 ; 4-byte Folded Reload
	s_waitcnt vmcnt(0)
	v_cndmask_b32_e64 v6, 0, v6, s4
	v_cmp_lt_i32_e64 s4, v56, v28
	buffer_store_dword v6, off, s[0:3], s32 offset:632 ; 4-byte Folded Spill
	buffer_load_dword v6, off, s[0:3], s32 offset:616 ; 4-byte Folded Reload
	;; [unrolled: 5-line block ×3, first 2 shown]
	s_waitcnt vmcnt(0)
	v_cndmask_b32_e64 v6, 0, v6, s4
	buffer_store_dword v6, off, s[0:3], s32 offset:608 ; 4-byte Folded Spill
.LBB228_1528:                           ;   in Loop: Header=BB228_1052 Depth=1
	s_or_b32 exec_lo, exec_lo, s7
	flat_load_dword v6, v[16:17] offset:1792
	v_mov_b32_e32 v20, 0
	v_mov_b32_e32 v18, 0
	;; [unrolled: 1-line block ×4, first 2 shown]
	s_waitcnt vmcnt(0) lgkmcnt(0)
	v_cmp_ne_u16_sdwa s4, v6, v9 src0_sel:BYTE_0 src1_sel:DWORD
	s_and_saveexec_b32 s7, s4
	s_cbranch_execz .LBB228_1536
; %bb.1529:                             ;   in Loop: Header=BB228_1052 Depth=1
	v_bfrev_b32_e32 v18, 1
	v_mov_b32_e32 v19, 0
	v_cmp_ne_u16_sdwa s4, v6, v97 src0_sel:BYTE_0 src1_sel:DWORD
	s_and_saveexec_b32 s13, s4
	s_cbranch_execz .LBB228_1535
; %bb.1530:                             ;   in Loop: Header=BB228_1052 Depth=1
	v_mov_b32_e32 v18, 0x7f800001
	v_and_b32_e32 v10, 0x7f, v6
	v_mov_b32_e32 v19, 0
	s_mov_b32 s15, exec_lo
	v_cmpx_ne_u32_e32 0x7f, v10
	s_cbranch_execz .LBB228_1534
; %bb.1531:                             ;   in Loop: Header=BB228_1052 Depth=1
	v_and_b32_e32 v8, 7, v6
	v_lshrrev_b32_e32 v7, 3, v10
	s_mov_b32 s18, exec_lo
	v_cmpx_gt_u32_e32 8, v10
; %bb.1532:                             ;   in Loop: Header=BB228_1052 Depth=1
	v_ffbh_u32_e32 v7, v8
	v_min_u32_e32 v7, 32, v7
	v_subrev_nc_u32_e32 v10, 28, v7
	v_sub_nc_u32_e32 v7, 29, v7
	v_lshlrev_b64 v[18:19], v10, v[8:9]
	v_and_b32_e32 v8, 7, v18
; %bb.1533:                             ;   in Loop: Header=BB228_1052 Depth=1
	s_or_b32 exec_lo, exec_lo, s18
	v_lshlrev_b32_e32 v10, 24, v6
	v_lshlrev_b32_e32 v8, 20, v8
	v_lshl_add_u32 v7, v7, 23, 0x3c000000
	v_and_b32_e32 v10, 0x80000000, v10
	v_or3_b32 v8, v8, v10, v7
	v_mov_b32_e32 v19, v9
	v_mov_b32_e32 v18, v8
.LBB228_1534:                           ;   in Loop: Header=BB228_1052 Depth=1
	s_or_b32 exec_lo, exec_lo, s15
.LBB228_1535:                           ;   in Loop: Header=BB228_1052 Depth=1
	s_or_b32 exec_lo, exec_lo, s13
.LBB228_1536:                           ;   in Loop: Header=BB228_1052 Depth=1
	s_or_b32 exec_lo, exec_lo, s7
	v_cmp_ne_u16_sdwa s4, v6, v9 src0_sel:BYTE_1 src1_sel:DWORD
	s_and_saveexec_b32 s7, s4
	s_cbranch_execz .LBB228_1544
; %bb.1537:                             ;   in Loop: Header=BB228_1052 Depth=1
	v_mov_b32_e32 v10, v9
	v_mov_b32_e32 v21, v11
	v_cmp_ne_u16_sdwa s4, v6, v97 src0_sel:BYTE_1 src1_sel:DWORD
	v_mov_b32_e32 v20, v10
	s_and_saveexec_b32 s13, s4
	s_cbranch_execz .LBB228_1543
; %bb.1538:                             ;   in Loop: Header=BB228_1052 Depth=1
	v_mov_b32_e32 v7, 0xffff
	v_mov_b32_e32 v12, v9
	;; [unrolled: 1-line block ×3, first 2 shown]
	s_mov_b32 s15, exec_lo
	v_and_b32_sdwa v7, v7, v6 dst_sel:DWORD dst_unused:UNUSED_PAD src0_sel:DWORD src1_sel:BYTE_1
	v_mov_b32_e32 v20, v12
	v_and_b32_e32 v10, 0x7f, v7
	v_cmpx_ne_u32_e32 0x7f, v10
	s_cbranch_execz .LBB228_1542
; %bb.1539:                             ;   in Loop: Header=BB228_1052 Depth=1
	v_and_b32_e32 v8, 7, v7
	v_lshrrev_b32_e32 v7, 3, v10
	s_mov_b32 s18, exec_lo
	v_cmpx_gt_u32_e32 8, v10
; %bb.1540:                             ;   in Loop: Header=BB228_1052 Depth=1
	v_ffbh_u32_e32 v7, v8
	v_min_u32_e32 v7, 32, v7
	v_subrev_nc_u32_e32 v10, 28, v7
	v_sub_nc_u32_e32 v7, 29, v7
	v_lshlrev_b64 v[20:21], v10, v[8:9]
	v_and_b32_e32 v8, 7, v20
; %bb.1541:                             ;   in Loop: Header=BB228_1052 Depth=1
	s_or_b32 exec_lo, exec_lo, s18
	v_lshlrev_b32_e32 v10, 16, v6
	v_lshlrev_b32_e32 v8, 20, v8
	v_lshl_add_u32 v7, v7, 23, 0x3c000000
	v_mov_b32_e32 v20, v9
	v_and_b32_e32 v10, 0x80000000, v10
	v_or3_b32 v21, v8, v10, v7
.LBB228_1542:                           ;   in Loop: Header=BB228_1052 Depth=1
	s_or_b32 exec_lo, exec_lo, s15
.LBB228_1543:                           ;   in Loop: Header=BB228_1052 Depth=1
	s_or_b32 exec_lo, exec_lo, s13
.LBB228_1544:                           ;   in Loop: Header=BB228_1052 Depth=1
	s_or_b32 exec_lo, exec_lo, s7
	v_mov_b32_e32 v22, 0
	v_mov_b32_e32 v24, 0
	v_and_b32_sdwa v7, v6, v99 dst_sel:DWORD dst_unused:UNUSED_PAD src0_sel:WORD_1 src1_sel:DWORD
	v_mov_b32_e32 v23, 0
	v_mov_b32_e32 v25, 0
	s_mov_b32 s7, exec_lo
	v_cmpx_ne_u16_e32 0, v7
	s_cbranch_execz .LBB228_1552
; %bb.1545:                             ;   in Loop: Header=BB228_1052 Depth=1
	v_bfrev_b32_e32 v24, 1
	v_mov_b32_e32 v25, 0
	s_mov_b32 s13, exec_lo
	v_cmpx_ne_u16_e32 0x80, v7
	s_cbranch_execz .LBB228_1551
; %bb.1546:                             ;   in Loop: Header=BB228_1052 Depth=1
	v_mov_b32_e32 v24, 0x7f800001
	v_bfe_u32 v10, v6, 16, 7
	v_mov_b32_e32 v25, 0
	s_mov_b32 s15, exec_lo
	v_cmpx_ne_u32_e32 0x7f, v10
	s_cbranch_execz .LBB228_1550
; %bb.1547:                             ;   in Loop: Header=BB228_1052 Depth=1
	v_mov_b32_e32 v7, 7
	s_mov_b32 s18, exec_lo
	v_and_b32_sdwa v8, v6, v7 dst_sel:DWORD dst_unused:UNUSED_PAD src0_sel:WORD_1 src1_sel:DWORD
	v_lshrrev_b32_e32 v7, 3, v10
	v_cmpx_gt_u32_e32 8, v10
; %bb.1548:                             ;   in Loop: Header=BB228_1052 Depth=1
	v_ffbh_u32_e32 v7, v8
	v_min_u32_e32 v7, 32, v7
	v_subrev_nc_u32_e32 v10, 28, v7
	v_sub_nc_u32_e32 v7, 29, v7
	v_lshlrev_b64 v[24:25], v10, v[8:9]
	v_and_b32_e32 v8, 7, v24
; %bb.1549:                             ;   in Loop: Header=BB228_1052 Depth=1
	s_or_b32 exec_lo, exec_lo, s18
	v_mov_b32_e32 v10, 24
	v_lshlrev_b32_e32 v8, 20, v8
	v_lshl_add_u32 v7, v7, 23, 0x3c000000
	v_lshlrev_b32_sdwa v10, v10, v6 dst_sel:DWORD dst_unused:UNUSED_PAD src0_sel:DWORD src1_sel:WORD_1
	v_and_b32_e32 v10, 0x80000000, v10
	v_or3_b32 v8, v8, v10, v7
	v_mov_b32_e32 v25, v9
	v_mov_b32_e32 v24, v8
.LBB228_1550:                           ;   in Loop: Header=BB228_1052 Depth=1
	s_or_b32 exec_lo, exec_lo, s15
.LBB228_1551:                           ;   in Loop: Header=BB228_1052 Depth=1
	s_or_b32 exec_lo, exec_lo, s13
.LBB228_1552:                           ;   in Loop: Header=BB228_1052 Depth=1
	s_or_b32 exec_lo, exec_lo, s7
	s_mov_b32 s7, exec_lo
	v_cmpx_lt_u32_e32 0xffffff, v6
	s_cbranch_execz .LBB228_1560
; %bb.1553:                             ;   in Loop: Header=BB228_1052 Depth=1
	v_mov_b32_e32 v10, v9
	v_mov_b32_e32 v23, v11
	v_cmp_ne_u32_sdwa s4, v6, v97 src0_sel:BYTE_3 src1_sel:DWORD
	v_mov_b32_e32 v22, v10
	s_and_saveexec_b32 s13, s4
	s_cbranch_execz .LBB228_1559
; %bb.1554:                             ;   in Loop: Header=BB228_1052 Depth=1
	v_mov_b32_e32 v12, v9
	v_mov_b32_e32 v23, v13
	v_bfe_u32 v10, v6, 24, 7
	s_mov_b32 s15, exec_lo
	v_mov_b32_e32 v22, v12
	v_cmpx_ne_u32_e32 0x7f, v10
	s_cbranch_execz .LBB228_1558
; %bb.1555:                             ;   in Loop: Header=BB228_1052 Depth=1
	v_mov_b32_e32 v7, 7
	s_mov_b32 s18, exec_lo
	v_and_b32_sdwa v8, v6, v7 dst_sel:DWORD dst_unused:UNUSED_PAD src0_sel:BYTE_3 src1_sel:DWORD
	v_lshrrev_b32_e32 v7, 3, v10
	v_cmpx_gt_u32_e32 8, v10
; %bb.1556:                             ;   in Loop: Header=BB228_1052 Depth=1
	v_ffbh_u32_e32 v7, v8
	v_min_u32_e32 v7, 32, v7
	v_subrev_nc_u32_e32 v10, 28, v7
	v_sub_nc_u32_e32 v7, 29, v7
	v_lshlrev_b64 v[22:23], v10, v[8:9]
	v_and_b32_e32 v8, 7, v22
; %bb.1557:                             ;   in Loop: Header=BB228_1052 Depth=1
	s_or_b32 exec_lo, exec_lo, s18
	v_mov_b32_e32 v10, 24
	v_lshlrev_b32_e32 v8, 20, v8
	v_lshl_add_u32 v7, v7, 23, 0x3c000000
	v_mov_b32_e32 v22, v9
	v_lshlrev_b32_sdwa v6, v10, v6 dst_sel:DWORD dst_unused:UNUSED_PAD src0_sel:DWORD src1_sel:BYTE_3
	v_and_b32_e32 v6, 0x80000000, v6
	v_or3_b32 v23, v8, v6, v7
.LBB228_1558:                           ;   in Loop: Header=BB228_1052 Depth=1
	s_or_b32 exec_lo, exec_lo, s15
.LBB228_1559:                           ;   in Loop: Header=BB228_1052 Depth=1
	s_or_b32 exec_lo, exec_lo, s13
.LBB228_1560:                           ;   in Loop: Header=BB228_1052 Depth=1
	s_or_b32 exec_lo, exec_lo, s7
	v_or_b32_e32 v6, v21, v19
	v_or_b32_e32 v7, v20, v18
	;; [unrolled: 1-line block ×4, first 2 shown]
	v_mul_f32_e32 v6, v114, v6
	buffer_store_dword v6, off, s[0:3], s32 offset:664 ; 4-byte Folded Spill
	v_mul_f32_e32 v6, v96, v7
	buffer_store_dword v6, off, s[0:3], s32 offset:656 ; 4-byte Folded Spill
	;; [unrolled: 2-line block ×4, first 2 shown]
	s_and_saveexec_b32 s7, vcc_lo
	s_cbranch_execz .LBB228_1562
; %bb.1561:                             ;   in Loop: Header=BB228_1052 Depth=1
	buffer_load_dword v6, off, s[0:3], s32 offset:656 ; 4-byte Folded Reload
	v_cmp_lt_i32_e64 s4, v47, v28
	s_waitcnt vmcnt(0)
	v_cndmask_b32_e64 v6, 0, v6, s4
	v_cmp_lt_i32_e64 s4, v57, v28
	buffer_store_dword v6, off, s[0:3], s32 offset:656 ; 4-byte Folded Spill
	buffer_load_dword v6, off, s[0:3], s32 offset:664 ; 4-byte Folded Reload
	s_waitcnt vmcnt(0)
	v_cndmask_b32_e64 v6, 0, v6, s4
	v_cmp_lt_i32_e64 s4, v56, v28
	buffer_store_dword v6, off, s[0:3], s32 offset:664 ; 4-byte Folded Spill
	buffer_load_dword v6, off, s[0:3], s32 offset:648 ; 4-byte Folded Reload
	;; [unrolled: 5-line block ×3, first 2 shown]
	s_waitcnt vmcnt(0)
	v_cndmask_b32_e64 v6, 0, v6, s4
	buffer_store_dword v6, off, s[0:3], s32 offset:640 ; 4-byte Folded Spill
.LBB228_1562:                           ;   in Loop: Header=BB228_1052 Depth=1
	s_or_b32 exec_lo, exec_lo, s7
	flat_load_dword v6, v[16:17] offset:1920
	v_mov_b32_e32 v20, 0
	v_mov_b32_e32 v18, 0
	;; [unrolled: 1-line block ×4, first 2 shown]
	s_waitcnt vmcnt(0) lgkmcnt(0)
	v_cmp_ne_u16_sdwa s4, v6, v9 src0_sel:BYTE_0 src1_sel:DWORD
	s_and_saveexec_b32 s7, s4
	s_cbranch_execz .LBB228_1570
; %bb.1563:                             ;   in Loop: Header=BB228_1052 Depth=1
	v_bfrev_b32_e32 v18, 1
	v_mov_b32_e32 v19, 0
	v_cmp_ne_u16_sdwa s4, v6, v97 src0_sel:BYTE_0 src1_sel:DWORD
	s_and_saveexec_b32 s13, s4
	s_cbranch_execz .LBB228_1569
; %bb.1564:                             ;   in Loop: Header=BB228_1052 Depth=1
	v_mov_b32_e32 v18, 0x7f800001
	v_and_b32_e32 v10, 0x7f, v6
	v_mov_b32_e32 v19, 0
	s_mov_b32 s15, exec_lo
	v_cmpx_ne_u32_e32 0x7f, v10
	s_cbranch_execz .LBB228_1568
; %bb.1565:                             ;   in Loop: Header=BB228_1052 Depth=1
	v_and_b32_e32 v8, 7, v6
	v_lshrrev_b32_e32 v7, 3, v10
	s_mov_b32 s18, exec_lo
	v_cmpx_gt_u32_e32 8, v10
; %bb.1566:                             ;   in Loop: Header=BB228_1052 Depth=1
	v_ffbh_u32_e32 v7, v8
	v_min_u32_e32 v7, 32, v7
	v_subrev_nc_u32_e32 v10, 28, v7
	v_sub_nc_u32_e32 v7, 29, v7
	v_lshlrev_b64 v[18:19], v10, v[8:9]
	v_and_b32_e32 v8, 7, v18
; %bb.1567:                             ;   in Loop: Header=BB228_1052 Depth=1
	s_or_b32 exec_lo, exec_lo, s18
	v_lshlrev_b32_e32 v10, 24, v6
	v_lshlrev_b32_e32 v8, 20, v8
	v_lshl_add_u32 v7, v7, 23, 0x3c000000
	v_and_b32_e32 v10, 0x80000000, v10
	v_or3_b32 v8, v8, v10, v7
	v_mov_b32_e32 v19, v9
	v_mov_b32_e32 v18, v8
.LBB228_1568:                           ;   in Loop: Header=BB228_1052 Depth=1
	s_or_b32 exec_lo, exec_lo, s15
.LBB228_1569:                           ;   in Loop: Header=BB228_1052 Depth=1
	s_or_b32 exec_lo, exec_lo, s13
.LBB228_1570:                           ;   in Loop: Header=BB228_1052 Depth=1
	s_or_b32 exec_lo, exec_lo, s7
	v_cmp_ne_u16_sdwa s4, v6, v9 src0_sel:BYTE_1 src1_sel:DWORD
	s_and_saveexec_b32 s7, s4
	s_cbranch_execz .LBB228_1578
; %bb.1571:                             ;   in Loop: Header=BB228_1052 Depth=1
	v_mov_b32_e32 v10, v9
	v_mov_b32_e32 v21, v11
	v_cmp_ne_u16_sdwa s4, v6, v97 src0_sel:BYTE_1 src1_sel:DWORD
	v_mov_b32_e32 v20, v10
	s_and_saveexec_b32 s13, s4
	s_cbranch_execz .LBB228_1577
; %bb.1572:                             ;   in Loop: Header=BB228_1052 Depth=1
	v_mov_b32_e32 v7, 0xffff
	v_mov_b32_e32 v12, v9
	;; [unrolled: 1-line block ×3, first 2 shown]
	s_mov_b32 s15, exec_lo
	v_and_b32_sdwa v7, v7, v6 dst_sel:DWORD dst_unused:UNUSED_PAD src0_sel:DWORD src1_sel:BYTE_1
	v_mov_b32_e32 v20, v12
	v_and_b32_e32 v10, 0x7f, v7
	v_cmpx_ne_u32_e32 0x7f, v10
	s_cbranch_execz .LBB228_1576
; %bb.1573:                             ;   in Loop: Header=BB228_1052 Depth=1
	v_and_b32_e32 v8, 7, v7
	v_lshrrev_b32_e32 v7, 3, v10
	s_mov_b32 s18, exec_lo
	v_cmpx_gt_u32_e32 8, v10
; %bb.1574:                             ;   in Loop: Header=BB228_1052 Depth=1
	v_ffbh_u32_e32 v7, v8
	v_min_u32_e32 v7, 32, v7
	v_subrev_nc_u32_e32 v10, 28, v7
	v_sub_nc_u32_e32 v7, 29, v7
	v_lshlrev_b64 v[20:21], v10, v[8:9]
	v_and_b32_e32 v8, 7, v20
; %bb.1575:                             ;   in Loop: Header=BB228_1052 Depth=1
	s_or_b32 exec_lo, exec_lo, s18
	v_lshlrev_b32_e32 v10, 16, v6
	v_lshlrev_b32_e32 v8, 20, v8
	v_lshl_add_u32 v7, v7, 23, 0x3c000000
	v_mov_b32_e32 v20, v9
	v_and_b32_e32 v10, 0x80000000, v10
	v_or3_b32 v21, v8, v10, v7
.LBB228_1576:                           ;   in Loop: Header=BB228_1052 Depth=1
	s_or_b32 exec_lo, exec_lo, s15
.LBB228_1577:                           ;   in Loop: Header=BB228_1052 Depth=1
	s_or_b32 exec_lo, exec_lo, s13
.LBB228_1578:                           ;   in Loop: Header=BB228_1052 Depth=1
	s_or_b32 exec_lo, exec_lo, s7
	v_mov_b32_e32 v22, 0
	v_mov_b32_e32 v24, 0
	v_and_b32_sdwa v7, v6, v99 dst_sel:DWORD dst_unused:UNUSED_PAD src0_sel:WORD_1 src1_sel:DWORD
	v_mov_b32_e32 v23, 0
	v_mov_b32_e32 v25, 0
	s_mov_b32 s7, exec_lo
	v_cmpx_ne_u16_e32 0, v7
	s_cbranch_execz .LBB228_1586
; %bb.1579:                             ;   in Loop: Header=BB228_1052 Depth=1
	v_bfrev_b32_e32 v24, 1
	v_mov_b32_e32 v25, 0
	s_mov_b32 s13, exec_lo
	v_cmpx_ne_u16_e32 0x80, v7
	s_cbranch_execz .LBB228_1585
; %bb.1580:                             ;   in Loop: Header=BB228_1052 Depth=1
	v_mov_b32_e32 v24, 0x7f800001
	v_bfe_u32 v10, v6, 16, 7
	v_mov_b32_e32 v25, 0
	s_mov_b32 s15, exec_lo
	v_cmpx_ne_u32_e32 0x7f, v10
	s_cbranch_execz .LBB228_1584
; %bb.1581:                             ;   in Loop: Header=BB228_1052 Depth=1
	v_mov_b32_e32 v7, 7
	s_mov_b32 s18, exec_lo
	v_and_b32_sdwa v8, v6, v7 dst_sel:DWORD dst_unused:UNUSED_PAD src0_sel:WORD_1 src1_sel:DWORD
	v_lshrrev_b32_e32 v7, 3, v10
	v_cmpx_gt_u32_e32 8, v10
; %bb.1582:                             ;   in Loop: Header=BB228_1052 Depth=1
	v_ffbh_u32_e32 v7, v8
	v_min_u32_e32 v7, 32, v7
	v_subrev_nc_u32_e32 v10, 28, v7
	v_sub_nc_u32_e32 v7, 29, v7
	v_lshlrev_b64 v[24:25], v10, v[8:9]
	v_and_b32_e32 v8, 7, v24
; %bb.1583:                             ;   in Loop: Header=BB228_1052 Depth=1
	s_or_b32 exec_lo, exec_lo, s18
	v_mov_b32_e32 v10, 24
	v_lshlrev_b32_e32 v8, 20, v8
	v_lshl_add_u32 v7, v7, 23, 0x3c000000
	v_lshlrev_b32_sdwa v10, v10, v6 dst_sel:DWORD dst_unused:UNUSED_PAD src0_sel:DWORD src1_sel:WORD_1
	v_and_b32_e32 v10, 0x80000000, v10
	v_or3_b32 v8, v8, v10, v7
	v_mov_b32_e32 v25, v9
	v_mov_b32_e32 v24, v8
.LBB228_1584:                           ;   in Loop: Header=BB228_1052 Depth=1
	s_or_b32 exec_lo, exec_lo, s15
.LBB228_1585:                           ;   in Loop: Header=BB228_1052 Depth=1
	s_or_b32 exec_lo, exec_lo, s13
.LBB228_1586:                           ;   in Loop: Header=BB228_1052 Depth=1
	s_or_b32 exec_lo, exec_lo, s7
	s_mov_b32 s7, exec_lo
	v_cmpx_lt_u32_e32 0xffffff, v6
	s_cbranch_execz .LBB228_1594
; %bb.1587:                             ;   in Loop: Header=BB228_1052 Depth=1
	v_mov_b32_e32 v10, v9
	v_mov_b32_e32 v23, v11
	v_cmp_ne_u32_sdwa s4, v6, v97 src0_sel:BYTE_3 src1_sel:DWORD
	v_mov_b32_e32 v22, v10
	s_and_saveexec_b32 s13, s4
	s_cbranch_execz .LBB228_1593
; %bb.1588:                             ;   in Loop: Header=BB228_1052 Depth=1
	v_mov_b32_e32 v12, v9
	v_mov_b32_e32 v23, v13
	v_bfe_u32 v10, v6, 24, 7
	s_mov_b32 s15, exec_lo
	v_mov_b32_e32 v22, v12
	v_cmpx_ne_u32_e32 0x7f, v10
	s_cbranch_execz .LBB228_1592
; %bb.1589:                             ;   in Loop: Header=BB228_1052 Depth=1
	v_mov_b32_e32 v7, 7
	s_mov_b32 s18, exec_lo
	v_and_b32_sdwa v8, v6, v7 dst_sel:DWORD dst_unused:UNUSED_PAD src0_sel:BYTE_3 src1_sel:DWORD
	v_lshrrev_b32_e32 v7, 3, v10
	v_cmpx_gt_u32_e32 8, v10
; %bb.1590:                             ;   in Loop: Header=BB228_1052 Depth=1
	v_ffbh_u32_e32 v7, v8
	v_min_u32_e32 v7, 32, v7
	v_subrev_nc_u32_e32 v10, 28, v7
	v_sub_nc_u32_e32 v7, 29, v7
	v_lshlrev_b64 v[22:23], v10, v[8:9]
	v_and_b32_e32 v8, 7, v22
; %bb.1591:                             ;   in Loop: Header=BB228_1052 Depth=1
	s_or_b32 exec_lo, exec_lo, s18
	v_mov_b32_e32 v10, 24
	v_lshlrev_b32_e32 v8, 20, v8
	v_lshl_add_u32 v7, v7, 23, 0x3c000000
	v_mov_b32_e32 v22, v9
	v_lshlrev_b32_sdwa v6, v10, v6 dst_sel:DWORD dst_unused:UNUSED_PAD src0_sel:DWORD src1_sel:BYTE_3
	v_and_b32_e32 v6, 0x80000000, v6
	v_or3_b32 v23, v8, v6, v7
.LBB228_1592:                           ;   in Loop: Header=BB228_1052 Depth=1
	s_or_b32 exec_lo, exec_lo, s15
.LBB228_1593:                           ;   in Loop: Header=BB228_1052 Depth=1
	s_or_b32 exec_lo, exec_lo, s13
.LBB228_1594:                           ;   in Loop: Header=BB228_1052 Depth=1
	s_or_b32 exec_lo, exec_lo, s7
	v_or_b32_e32 v6, v21, v19
	v_or_b32_e32 v7, v20, v18
	;; [unrolled: 1-line block ×4, first 2 shown]
	v_mul_f32_e32 v6, v114, v6
	v_mul_f32_e32 v40, v96, v7
	;; [unrolled: 1-line block ×3, first 2 shown]
	buffer_store_dword v6, off, s[0:3], s32 offset:680 ; 4-byte Folded Spill
	v_mul_f32_e32 v6, v114, v10
	buffer_store_dword v6, off, s[0:3], s32 offset:672 ; 4-byte Folded Spill
	s_and_saveexec_b32 s7, vcc_lo
	s_cbranch_execz .LBB228_1596
; %bb.1595:                             ;   in Loop: Header=BB228_1052 Depth=1
	buffer_load_dword v6, off, s[0:3], s32 offset:680 ; 4-byte Folded Reload
	v_cmp_lt_i32_e64 s4, v47, v28
	v_cndmask_b32_e64 v40, 0, v40, s4
	v_cmp_lt_i32_e64 s4, v57, v28
	s_waitcnt vmcnt(0)
	v_cndmask_b32_e64 v6, 0, v6, s4
	v_cmp_lt_i32_e64 s4, v56, v28
	buffer_store_dword v6, off, s[0:3], s32 offset:680 ; 4-byte Folded Spill
	buffer_load_dword v6, off, s[0:3], s32 offset:672 ; 4-byte Folded Reload
	v_cndmask_b32_e64 v119, 0, v119, s4
	v_cmp_lt_i32_e64 s4, v112, v28
	s_waitcnt vmcnt(0)
	v_cndmask_b32_e64 v6, 0, v6, s4
	buffer_store_dword v6, off, s[0:3], s32 offset:672 ; 4-byte Folded Spill
.LBB228_1596:                           ;   in Loop: Header=BB228_1052 Depth=1
	s_or_b32 exec_lo, exec_lo, s7
	v_add_co_u32 v16, s4, 0x800, v16
	v_add_co_ci_u32_e64 v17, null, 0, v17, s4
	v_mov_b32_e32 v20, 0
	v_mov_b32_e32 v18, 0
	;; [unrolled: 1-line block ×3, first 2 shown]
	flat_load_dword v6, v[16:17]
	v_mov_b32_e32 v19, 0
	s_waitcnt vmcnt(0) lgkmcnt(0)
	v_cmp_ne_u16_sdwa s4, v6, v9 src0_sel:BYTE_0 src1_sel:DWORD
	s_and_saveexec_b32 s7, s4
	s_cbranch_execz .LBB228_1604
; %bb.1597:                             ;   in Loop: Header=BB228_1052 Depth=1
	v_bfrev_b32_e32 v18, 1
	v_mov_b32_e32 v19, 0
	v_cmp_ne_u16_sdwa s4, v6, v97 src0_sel:BYTE_0 src1_sel:DWORD
	s_and_saveexec_b32 s13, s4
	s_cbranch_execz .LBB228_1603
; %bb.1598:                             ;   in Loop: Header=BB228_1052 Depth=1
	v_mov_b32_e32 v18, 0x7f800001
	v_and_b32_e32 v10, 0x7f, v6
	v_mov_b32_e32 v19, 0
	s_mov_b32 s15, exec_lo
	v_cmpx_ne_u32_e32 0x7f, v10
	s_cbranch_execz .LBB228_1602
; %bb.1599:                             ;   in Loop: Header=BB228_1052 Depth=1
	v_and_b32_e32 v8, 7, v6
	v_lshrrev_b32_e32 v7, 3, v10
	s_mov_b32 s18, exec_lo
	v_cmpx_gt_u32_e32 8, v10
; %bb.1600:                             ;   in Loop: Header=BB228_1052 Depth=1
	v_ffbh_u32_e32 v7, v8
	v_min_u32_e32 v7, 32, v7
	v_subrev_nc_u32_e32 v10, 28, v7
	v_sub_nc_u32_e32 v7, 29, v7
	v_lshlrev_b64 v[18:19], v10, v[8:9]
	v_and_b32_e32 v8, 7, v18
; %bb.1601:                             ;   in Loop: Header=BB228_1052 Depth=1
	s_or_b32 exec_lo, exec_lo, s18
	v_lshlrev_b32_e32 v10, 24, v6
	v_lshlrev_b32_e32 v8, 20, v8
	v_lshl_add_u32 v7, v7, 23, 0x3c000000
	v_and_b32_e32 v10, 0x80000000, v10
	v_or3_b32 v8, v8, v10, v7
	v_mov_b32_e32 v19, v9
	v_mov_b32_e32 v18, v8
.LBB228_1602:                           ;   in Loop: Header=BB228_1052 Depth=1
	s_or_b32 exec_lo, exec_lo, s15
.LBB228_1603:                           ;   in Loop: Header=BB228_1052 Depth=1
	s_or_b32 exec_lo, exec_lo, s13
.LBB228_1604:                           ;   in Loop: Header=BB228_1052 Depth=1
	s_or_b32 exec_lo, exec_lo, s7
	v_cmp_ne_u16_sdwa s4, v6, v9 src0_sel:BYTE_1 src1_sel:DWORD
	s_and_saveexec_b32 s7, s4
	s_cbranch_execz .LBB228_1612
; %bb.1605:                             ;   in Loop: Header=BB228_1052 Depth=1
	v_mov_b32_e32 v10, v9
	v_mov_b32_e32 v21, v11
	v_cmp_ne_u16_sdwa s4, v6, v97 src0_sel:BYTE_1 src1_sel:DWORD
	v_mov_b32_e32 v20, v10
	s_and_saveexec_b32 s13, s4
	s_cbranch_execz .LBB228_1611
; %bb.1606:                             ;   in Loop: Header=BB228_1052 Depth=1
	v_mov_b32_e32 v7, 0xffff
	v_mov_b32_e32 v12, v9
	;; [unrolled: 1-line block ×3, first 2 shown]
	s_mov_b32 s15, exec_lo
	v_and_b32_sdwa v7, v7, v6 dst_sel:DWORD dst_unused:UNUSED_PAD src0_sel:DWORD src1_sel:BYTE_1
	v_mov_b32_e32 v20, v12
	v_and_b32_e32 v10, 0x7f, v7
	v_cmpx_ne_u32_e32 0x7f, v10
	s_cbranch_execz .LBB228_1610
; %bb.1607:                             ;   in Loop: Header=BB228_1052 Depth=1
	v_and_b32_e32 v8, 7, v7
	v_lshrrev_b32_e32 v7, 3, v10
	s_mov_b32 s18, exec_lo
	v_cmpx_gt_u32_e32 8, v10
; %bb.1608:                             ;   in Loop: Header=BB228_1052 Depth=1
	v_ffbh_u32_e32 v7, v8
	v_min_u32_e32 v7, 32, v7
	v_subrev_nc_u32_e32 v10, 28, v7
	v_sub_nc_u32_e32 v7, 29, v7
	v_lshlrev_b64 v[20:21], v10, v[8:9]
	v_and_b32_e32 v8, 7, v20
; %bb.1609:                             ;   in Loop: Header=BB228_1052 Depth=1
	s_or_b32 exec_lo, exec_lo, s18
	v_lshlrev_b32_e32 v10, 16, v6
	v_lshlrev_b32_e32 v8, 20, v8
	v_lshl_add_u32 v7, v7, 23, 0x3c000000
	v_mov_b32_e32 v20, v9
	v_and_b32_e32 v10, 0x80000000, v10
	v_or3_b32 v21, v8, v10, v7
.LBB228_1610:                           ;   in Loop: Header=BB228_1052 Depth=1
	s_or_b32 exec_lo, exec_lo, s15
.LBB228_1611:                           ;   in Loop: Header=BB228_1052 Depth=1
	s_or_b32 exec_lo, exec_lo, s13
.LBB228_1612:                           ;   in Loop: Header=BB228_1052 Depth=1
	s_or_b32 exec_lo, exec_lo, s7
	v_mov_b32_e32 v22, 0
	v_mov_b32_e32 v24, 0
	v_and_b32_sdwa v7, v6, v99 dst_sel:DWORD dst_unused:UNUSED_PAD src0_sel:WORD_1 src1_sel:DWORD
	v_mov_b32_e32 v23, 0
	v_mov_b32_e32 v25, 0
	s_mov_b32 s7, exec_lo
	v_cmpx_ne_u16_e32 0, v7
	s_cbranch_execz .LBB228_1620
; %bb.1613:                             ;   in Loop: Header=BB228_1052 Depth=1
	v_bfrev_b32_e32 v24, 1
	v_mov_b32_e32 v25, 0
	s_mov_b32 s13, exec_lo
	v_cmpx_ne_u16_e32 0x80, v7
	s_cbranch_execz .LBB228_1619
; %bb.1614:                             ;   in Loop: Header=BB228_1052 Depth=1
	v_mov_b32_e32 v24, 0x7f800001
	v_bfe_u32 v10, v6, 16, 7
	v_mov_b32_e32 v25, 0
	s_mov_b32 s15, exec_lo
	v_cmpx_ne_u32_e32 0x7f, v10
	s_cbranch_execz .LBB228_1618
; %bb.1615:                             ;   in Loop: Header=BB228_1052 Depth=1
	v_mov_b32_e32 v7, 7
	s_mov_b32 s18, exec_lo
	v_and_b32_sdwa v8, v6, v7 dst_sel:DWORD dst_unused:UNUSED_PAD src0_sel:WORD_1 src1_sel:DWORD
	v_lshrrev_b32_e32 v7, 3, v10
	v_cmpx_gt_u32_e32 8, v10
; %bb.1616:                             ;   in Loop: Header=BB228_1052 Depth=1
	v_ffbh_u32_e32 v7, v8
	v_min_u32_e32 v7, 32, v7
	v_subrev_nc_u32_e32 v10, 28, v7
	v_sub_nc_u32_e32 v7, 29, v7
	v_lshlrev_b64 v[24:25], v10, v[8:9]
	v_and_b32_e32 v8, 7, v24
; %bb.1617:                             ;   in Loop: Header=BB228_1052 Depth=1
	s_or_b32 exec_lo, exec_lo, s18
	v_mov_b32_e32 v10, 24
	v_lshlrev_b32_e32 v8, 20, v8
	v_lshl_add_u32 v7, v7, 23, 0x3c000000
	v_lshlrev_b32_sdwa v10, v10, v6 dst_sel:DWORD dst_unused:UNUSED_PAD src0_sel:DWORD src1_sel:WORD_1
	v_and_b32_e32 v10, 0x80000000, v10
	v_or3_b32 v8, v8, v10, v7
	v_mov_b32_e32 v25, v9
	v_mov_b32_e32 v24, v8
.LBB228_1618:                           ;   in Loop: Header=BB228_1052 Depth=1
	s_or_b32 exec_lo, exec_lo, s15
.LBB228_1619:                           ;   in Loop: Header=BB228_1052 Depth=1
	s_or_b32 exec_lo, exec_lo, s13
.LBB228_1620:                           ;   in Loop: Header=BB228_1052 Depth=1
	s_or_b32 exec_lo, exec_lo, s7
	s_mov_b32 s7, exec_lo
	v_cmpx_lt_u32_e32 0xffffff, v6
	s_cbranch_execz .LBB228_1628
; %bb.1621:                             ;   in Loop: Header=BB228_1052 Depth=1
	v_mov_b32_e32 v10, v9
	v_mov_b32_e32 v23, v11
	v_cmp_ne_u32_sdwa s4, v6, v97 src0_sel:BYTE_3 src1_sel:DWORD
	v_mov_b32_e32 v22, v10
	s_and_saveexec_b32 s13, s4
	s_cbranch_execz .LBB228_1627
; %bb.1622:                             ;   in Loop: Header=BB228_1052 Depth=1
	v_mov_b32_e32 v12, v9
	v_mov_b32_e32 v23, v13
	v_bfe_u32 v10, v6, 24, 7
	s_mov_b32 s15, exec_lo
	v_mov_b32_e32 v22, v12
	v_cmpx_ne_u32_e32 0x7f, v10
	s_cbranch_execz .LBB228_1626
; %bb.1623:                             ;   in Loop: Header=BB228_1052 Depth=1
	v_mov_b32_e32 v7, 7
	s_mov_b32 s18, exec_lo
	v_and_b32_sdwa v8, v6, v7 dst_sel:DWORD dst_unused:UNUSED_PAD src0_sel:BYTE_3 src1_sel:DWORD
	v_lshrrev_b32_e32 v7, 3, v10
	v_cmpx_gt_u32_e32 8, v10
; %bb.1624:                             ;   in Loop: Header=BB228_1052 Depth=1
	v_ffbh_u32_e32 v7, v8
	v_min_u32_e32 v7, 32, v7
	v_subrev_nc_u32_e32 v10, 28, v7
	v_sub_nc_u32_e32 v7, 29, v7
	v_lshlrev_b64 v[22:23], v10, v[8:9]
	v_and_b32_e32 v8, 7, v22
; %bb.1625:                             ;   in Loop: Header=BB228_1052 Depth=1
	s_or_b32 exec_lo, exec_lo, s18
	v_mov_b32_e32 v10, 24
	v_lshlrev_b32_e32 v8, 20, v8
	v_lshl_add_u32 v7, v7, 23, 0x3c000000
	v_mov_b32_e32 v22, v9
	v_lshlrev_b32_sdwa v6, v10, v6 dst_sel:DWORD dst_unused:UNUSED_PAD src0_sel:DWORD src1_sel:BYTE_3
	v_and_b32_e32 v6, 0x80000000, v6
	v_or3_b32 v23, v8, v6, v7
.LBB228_1626:                           ;   in Loop: Header=BB228_1052 Depth=1
	s_or_b32 exec_lo, exec_lo, s15
.LBB228_1627:                           ;   in Loop: Header=BB228_1052 Depth=1
	s_or_b32 exec_lo, exec_lo, s13
.LBB228_1628:                           ;   in Loop: Header=BB228_1052 Depth=1
	s_or_b32 exec_lo, exec_lo, s7
	v_or_b32_e32 v6, v21, v19
	v_or_b32_e32 v7, v20, v18
	;; [unrolled: 1-line block ×4, first 2 shown]
	v_mul_f32_e32 v43, v114, v6
	v_mul_f32_e32 v44, v96, v7
	;; [unrolled: 1-line block ×4, first 2 shown]
	s_and_saveexec_b32 s7, vcc_lo
	s_cbranch_execz .LBB228_1630
; %bb.1629:                             ;   in Loop: Header=BB228_1052 Depth=1
	v_cmp_lt_i32_e64 s4, v47, v28
	v_cndmask_b32_e64 v44, 0, v44, s4
	v_cmp_lt_i32_e64 s4, v57, v28
	v_cndmask_b32_e64 v43, 0, v43, s4
	;; [unrolled: 2-line block ×4, first 2 shown]
.LBB228_1630:                           ;   in Loop: Header=BB228_1052 Depth=1
	s_or_b32 exec_lo, exec_lo, s7
	flat_load_dword v6, v[16:17] offset:128
	v_mov_b32_e32 v20, 0
	v_mov_b32_e32 v18, 0
	;; [unrolled: 1-line block ×4, first 2 shown]
	s_waitcnt vmcnt(0) lgkmcnt(0)
	v_cmp_ne_u16_sdwa s4, v6, v9 src0_sel:BYTE_0 src1_sel:DWORD
	s_and_saveexec_b32 s7, s4
	s_cbranch_execz .LBB228_1638
; %bb.1631:                             ;   in Loop: Header=BB228_1052 Depth=1
	v_bfrev_b32_e32 v18, 1
	v_mov_b32_e32 v19, 0
	v_cmp_ne_u16_sdwa s4, v6, v97 src0_sel:BYTE_0 src1_sel:DWORD
	s_and_saveexec_b32 s13, s4
	s_cbranch_execz .LBB228_1637
; %bb.1632:                             ;   in Loop: Header=BB228_1052 Depth=1
	v_mov_b32_e32 v18, 0x7f800001
	v_and_b32_e32 v10, 0x7f, v6
	v_mov_b32_e32 v19, 0
	s_mov_b32 s15, exec_lo
	v_cmpx_ne_u32_e32 0x7f, v10
	s_cbranch_execz .LBB228_1636
; %bb.1633:                             ;   in Loop: Header=BB228_1052 Depth=1
	v_and_b32_e32 v8, 7, v6
	v_lshrrev_b32_e32 v7, 3, v10
	s_mov_b32 s18, exec_lo
	v_cmpx_gt_u32_e32 8, v10
; %bb.1634:                             ;   in Loop: Header=BB228_1052 Depth=1
	v_ffbh_u32_e32 v7, v8
	v_min_u32_e32 v7, 32, v7
	v_subrev_nc_u32_e32 v10, 28, v7
	v_sub_nc_u32_e32 v7, 29, v7
	v_lshlrev_b64 v[18:19], v10, v[8:9]
	v_and_b32_e32 v8, 7, v18
; %bb.1635:                             ;   in Loop: Header=BB228_1052 Depth=1
	s_or_b32 exec_lo, exec_lo, s18
	v_lshlrev_b32_e32 v10, 24, v6
	v_lshlrev_b32_e32 v8, 20, v8
	v_lshl_add_u32 v7, v7, 23, 0x3c000000
	v_and_b32_e32 v10, 0x80000000, v10
	v_or3_b32 v8, v8, v10, v7
	v_mov_b32_e32 v19, v9
	v_mov_b32_e32 v18, v8
.LBB228_1636:                           ;   in Loop: Header=BB228_1052 Depth=1
	s_or_b32 exec_lo, exec_lo, s15
.LBB228_1637:                           ;   in Loop: Header=BB228_1052 Depth=1
	s_or_b32 exec_lo, exec_lo, s13
.LBB228_1638:                           ;   in Loop: Header=BB228_1052 Depth=1
	s_or_b32 exec_lo, exec_lo, s7
	v_cmp_ne_u16_sdwa s4, v6, v9 src0_sel:BYTE_1 src1_sel:DWORD
	s_and_saveexec_b32 s7, s4
	s_cbranch_execz .LBB228_1646
; %bb.1639:                             ;   in Loop: Header=BB228_1052 Depth=1
	v_mov_b32_e32 v10, v9
	v_mov_b32_e32 v21, v11
	v_cmp_ne_u16_sdwa s4, v6, v97 src0_sel:BYTE_1 src1_sel:DWORD
	v_mov_b32_e32 v20, v10
	s_and_saveexec_b32 s13, s4
	s_cbranch_execz .LBB228_1645
; %bb.1640:                             ;   in Loop: Header=BB228_1052 Depth=1
	v_mov_b32_e32 v7, 0xffff
	v_mov_b32_e32 v12, v9
	;; [unrolled: 1-line block ×3, first 2 shown]
	s_mov_b32 s15, exec_lo
	v_and_b32_sdwa v7, v7, v6 dst_sel:DWORD dst_unused:UNUSED_PAD src0_sel:DWORD src1_sel:BYTE_1
	v_mov_b32_e32 v20, v12
	v_and_b32_e32 v10, 0x7f, v7
	v_cmpx_ne_u32_e32 0x7f, v10
	s_cbranch_execz .LBB228_1644
; %bb.1641:                             ;   in Loop: Header=BB228_1052 Depth=1
	v_and_b32_e32 v8, 7, v7
	v_lshrrev_b32_e32 v7, 3, v10
	s_mov_b32 s18, exec_lo
	v_cmpx_gt_u32_e32 8, v10
; %bb.1642:                             ;   in Loop: Header=BB228_1052 Depth=1
	v_ffbh_u32_e32 v7, v8
	v_min_u32_e32 v7, 32, v7
	v_subrev_nc_u32_e32 v10, 28, v7
	v_sub_nc_u32_e32 v7, 29, v7
	v_lshlrev_b64 v[20:21], v10, v[8:9]
	v_and_b32_e32 v8, 7, v20
; %bb.1643:                             ;   in Loop: Header=BB228_1052 Depth=1
	s_or_b32 exec_lo, exec_lo, s18
	v_lshlrev_b32_e32 v10, 16, v6
	v_lshlrev_b32_e32 v8, 20, v8
	v_lshl_add_u32 v7, v7, 23, 0x3c000000
	v_mov_b32_e32 v20, v9
	v_and_b32_e32 v10, 0x80000000, v10
	v_or3_b32 v21, v8, v10, v7
.LBB228_1644:                           ;   in Loop: Header=BB228_1052 Depth=1
	s_or_b32 exec_lo, exec_lo, s15
.LBB228_1645:                           ;   in Loop: Header=BB228_1052 Depth=1
	s_or_b32 exec_lo, exec_lo, s13
.LBB228_1646:                           ;   in Loop: Header=BB228_1052 Depth=1
	s_or_b32 exec_lo, exec_lo, s7
	v_mov_b32_e32 v22, 0
	v_mov_b32_e32 v24, 0
	v_and_b32_sdwa v7, v6, v99 dst_sel:DWORD dst_unused:UNUSED_PAD src0_sel:WORD_1 src1_sel:DWORD
	v_mov_b32_e32 v23, 0
	v_mov_b32_e32 v25, 0
	s_mov_b32 s7, exec_lo
	v_cmpx_ne_u16_e32 0, v7
	s_cbranch_execz .LBB228_1654
; %bb.1647:                             ;   in Loop: Header=BB228_1052 Depth=1
	v_bfrev_b32_e32 v24, 1
	v_mov_b32_e32 v25, 0
	s_mov_b32 s13, exec_lo
	v_cmpx_ne_u16_e32 0x80, v7
	s_cbranch_execz .LBB228_1653
; %bb.1648:                             ;   in Loop: Header=BB228_1052 Depth=1
	v_mov_b32_e32 v24, 0x7f800001
	v_bfe_u32 v10, v6, 16, 7
	v_mov_b32_e32 v25, 0
	s_mov_b32 s15, exec_lo
	v_cmpx_ne_u32_e32 0x7f, v10
	s_cbranch_execz .LBB228_1652
; %bb.1649:                             ;   in Loop: Header=BB228_1052 Depth=1
	v_mov_b32_e32 v7, 7
	s_mov_b32 s18, exec_lo
	v_and_b32_sdwa v8, v6, v7 dst_sel:DWORD dst_unused:UNUSED_PAD src0_sel:WORD_1 src1_sel:DWORD
	v_lshrrev_b32_e32 v7, 3, v10
	v_cmpx_gt_u32_e32 8, v10
; %bb.1650:                             ;   in Loop: Header=BB228_1052 Depth=1
	v_ffbh_u32_e32 v7, v8
	v_min_u32_e32 v7, 32, v7
	v_subrev_nc_u32_e32 v10, 28, v7
	v_sub_nc_u32_e32 v7, 29, v7
	v_lshlrev_b64 v[24:25], v10, v[8:9]
	v_and_b32_e32 v8, 7, v24
; %bb.1651:                             ;   in Loop: Header=BB228_1052 Depth=1
	s_or_b32 exec_lo, exec_lo, s18
	v_mov_b32_e32 v10, 24
	v_lshlrev_b32_e32 v8, 20, v8
	v_lshl_add_u32 v7, v7, 23, 0x3c000000
	v_lshlrev_b32_sdwa v10, v10, v6 dst_sel:DWORD dst_unused:UNUSED_PAD src0_sel:DWORD src1_sel:WORD_1
	v_and_b32_e32 v10, 0x80000000, v10
	v_or3_b32 v8, v8, v10, v7
	v_mov_b32_e32 v25, v9
	v_mov_b32_e32 v24, v8
.LBB228_1652:                           ;   in Loop: Header=BB228_1052 Depth=1
	s_or_b32 exec_lo, exec_lo, s15
.LBB228_1653:                           ;   in Loop: Header=BB228_1052 Depth=1
	s_or_b32 exec_lo, exec_lo, s13
.LBB228_1654:                           ;   in Loop: Header=BB228_1052 Depth=1
	s_or_b32 exec_lo, exec_lo, s7
	s_mov_b32 s7, exec_lo
	v_cmpx_lt_u32_e32 0xffffff, v6
	s_cbranch_execz .LBB228_1662
; %bb.1655:                             ;   in Loop: Header=BB228_1052 Depth=1
	v_mov_b32_e32 v10, v9
	v_mov_b32_e32 v23, v11
	v_cmp_ne_u32_sdwa s4, v6, v97 src0_sel:BYTE_3 src1_sel:DWORD
	v_mov_b32_e32 v22, v10
	s_and_saveexec_b32 s13, s4
	s_cbranch_execz .LBB228_1661
; %bb.1656:                             ;   in Loop: Header=BB228_1052 Depth=1
	v_mov_b32_e32 v12, v9
	v_mov_b32_e32 v23, v13
	v_bfe_u32 v10, v6, 24, 7
	s_mov_b32 s15, exec_lo
	v_mov_b32_e32 v22, v12
	v_cmpx_ne_u32_e32 0x7f, v10
	s_cbranch_execz .LBB228_1660
; %bb.1657:                             ;   in Loop: Header=BB228_1052 Depth=1
	v_mov_b32_e32 v7, 7
	s_mov_b32 s18, exec_lo
	v_and_b32_sdwa v8, v6, v7 dst_sel:DWORD dst_unused:UNUSED_PAD src0_sel:BYTE_3 src1_sel:DWORD
	v_lshrrev_b32_e32 v7, 3, v10
	v_cmpx_gt_u32_e32 8, v10
; %bb.1658:                             ;   in Loop: Header=BB228_1052 Depth=1
	v_ffbh_u32_e32 v7, v8
	v_min_u32_e32 v7, 32, v7
	v_subrev_nc_u32_e32 v10, 28, v7
	v_sub_nc_u32_e32 v7, 29, v7
	v_lshlrev_b64 v[22:23], v10, v[8:9]
	v_and_b32_e32 v8, 7, v22
; %bb.1659:                             ;   in Loop: Header=BB228_1052 Depth=1
	s_or_b32 exec_lo, exec_lo, s18
	v_mov_b32_e32 v10, 24
	v_lshlrev_b32_e32 v8, 20, v8
	v_lshl_add_u32 v7, v7, 23, 0x3c000000
	v_mov_b32_e32 v22, v9
	v_lshlrev_b32_sdwa v6, v10, v6 dst_sel:DWORD dst_unused:UNUSED_PAD src0_sel:DWORD src1_sel:BYTE_3
	v_and_b32_e32 v6, 0x80000000, v6
	v_or3_b32 v23, v8, v6, v7
.LBB228_1660:                           ;   in Loop: Header=BB228_1052 Depth=1
	s_or_b32 exec_lo, exec_lo, s15
.LBB228_1661:                           ;   in Loop: Header=BB228_1052 Depth=1
	s_or_b32 exec_lo, exec_lo, s13
.LBB228_1662:                           ;   in Loop: Header=BB228_1052 Depth=1
	s_or_b32 exec_lo, exec_lo, s7
	v_or_b32_e32 v6, v21, v19
	v_or_b32_e32 v7, v20, v18
	;; [unrolled: 1-line block ×4, first 2 shown]
	v_mul_f32_e32 v58, v114, v6
	v_mul_f32_e32 v59, v96, v7
	;; [unrolled: 1-line block ×4, first 2 shown]
	s_and_saveexec_b32 s7, vcc_lo
	s_cbranch_execz .LBB228_1664
; %bb.1663:                             ;   in Loop: Header=BB228_1052 Depth=1
	v_cmp_lt_i32_e64 s4, v47, v28
	v_cndmask_b32_e64 v59, 0, v59, s4
	v_cmp_lt_i32_e64 s4, v57, v28
	v_cndmask_b32_e64 v58, 0, v58, s4
	;; [unrolled: 2-line block ×4, first 2 shown]
.LBB228_1664:                           ;   in Loop: Header=BB228_1052 Depth=1
	s_or_b32 exec_lo, exec_lo, s7
	flat_load_dword v6, v[16:17] offset:256
	v_mov_b32_e32 v20, 0
	v_mov_b32_e32 v18, 0
	;; [unrolled: 1-line block ×4, first 2 shown]
	s_waitcnt vmcnt(0) lgkmcnt(0)
	v_cmp_ne_u16_sdwa s4, v6, v9 src0_sel:BYTE_0 src1_sel:DWORD
	s_and_saveexec_b32 s7, s4
	s_cbranch_execz .LBB228_1672
; %bb.1665:                             ;   in Loop: Header=BB228_1052 Depth=1
	v_bfrev_b32_e32 v18, 1
	v_mov_b32_e32 v19, 0
	v_cmp_ne_u16_sdwa s4, v6, v97 src0_sel:BYTE_0 src1_sel:DWORD
	s_and_saveexec_b32 s13, s4
	s_cbranch_execz .LBB228_1671
; %bb.1666:                             ;   in Loop: Header=BB228_1052 Depth=1
	v_mov_b32_e32 v18, 0x7f800001
	v_and_b32_e32 v10, 0x7f, v6
	v_mov_b32_e32 v19, 0
	s_mov_b32 s15, exec_lo
	v_cmpx_ne_u32_e32 0x7f, v10
	s_cbranch_execz .LBB228_1670
; %bb.1667:                             ;   in Loop: Header=BB228_1052 Depth=1
	v_and_b32_e32 v8, 7, v6
	v_lshrrev_b32_e32 v7, 3, v10
	s_mov_b32 s18, exec_lo
	v_cmpx_gt_u32_e32 8, v10
; %bb.1668:                             ;   in Loop: Header=BB228_1052 Depth=1
	v_ffbh_u32_e32 v7, v8
	v_min_u32_e32 v7, 32, v7
	v_subrev_nc_u32_e32 v10, 28, v7
	v_sub_nc_u32_e32 v7, 29, v7
	v_lshlrev_b64 v[18:19], v10, v[8:9]
	v_and_b32_e32 v8, 7, v18
; %bb.1669:                             ;   in Loop: Header=BB228_1052 Depth=1
	s_or_b32 exec_lo, exec_lo, s18
	v_lshlrev_b32_e32 v10, 24, v6
	v_lshlrev_b32_e32 v8, 20, v8
	v_lshl_add_u32 v7, v7, 23, 0x3c000000
	v_and_b32_e32 v10, 0x80000000, v10
	v_or3_b32 v8, v8, v10, v7
	v_mov_b32_e32 v19, v9
	v_mov_b32_e32 v18, v8
.LBB228_1670:                           ;   in Loop: Header=BB228_1052 Depth=1
	s_or_b32 exec_lo, exec_lo, s15
.LBB228_1671:                           ;   in Loop: Header=BB228_1052 Depth=1
	s_or_b32 exec_lo, exec_lo, s13
.LBB228_1672:                           ;   in Loop: Header=BB228_1052 Depth=1
	s_or_b32 exec_lo, exec_lo, s7
	v_cmp_ne_u16_sdwa s4, v6, v9 src0_sel:BYTE_1 src1_sel:DWORD
	s_and_saveexec_b32 s7, s4
	s_cbranch_execz .LBB228_1680
; %bb.1673:                             ;   in Loop: Header=BB228_1052 Depth=1
	v_mov_b32_e32 v10, v9
	v_mov_b32_e32 v21, v11
	v_cmp_ne_u16_sdwa s4, v6, v97 src0_sel:BYTE_1 src1_sel:DWORD
	v_mov_b32_e32 v20, v10
	s_and_saveexec_b32 s13, s4
	s_cbranch_execz .LBB228_1679
; %bb.1674:                             ;   in Loop: Header=BB228_1052 Depth=1
	v_mov_b32_e32 v7, 0xffff
	v_mov_b32_e32 v12, v9
	;; [unrolled: 1-line block ×3, first 2 shown]
	s_mov_b32 s15, exec_lo
	v_and_b32_sdwa v7, v7, v6 dst_sel:DWORD dst_unused:UNUSED_PAD src0_sel:DWORD src1_sel:BYTE_1
	v_mov_b32_e32 v20, v12
	v_and_b32_e32 v10, 0x7f, v7
	v_cmpx_ne_u32_e32 0x7f, v10
	s_cbranch_execz .LBB228_1678
; %bb.1675:                             ;   in Loop: Header=BB228_1052 Depth=1
	v_and_b32_e32 v8, 7, v7
	v_lshrrev_b32_e32 v7, 3, v10
	s_mov_b32 s18, exec_lo
	v_cmpx_gt_u32_e32 8, v10
; %bb.1676:                             ;   in Loop: Header=BB228_1052 Depth=1
	v_ffbh_u32_e32 v7, v8
	v_min_u32_e32 v7, 32, v7
	v_subrev_nc_u32_e32 v10, 28, v7
	v_sub_nc_u32_e32 v7, 29, v7
	v_lshlrev_b64 v[20:21], v10, v[8:9]
	v_and_b32_e32 v8, 7, v20
; %bb.1677:                             ;   in Loop: Header=BB228_1052 Depth=1
	s_or_b32 exec_lo, exec_lo, s18
	v_lshlrev_b32_e32 v10, 16, v6
	v_lshlrev_b32_e32 v8, 20, v8
	v_lshl_add_u32 v7, v7, 23, 0x3c000000
	v_mov_b32_e32 v20, v9
	v_and_b32_e32 v10, 0x80000000, v10
	v_or3_b32 v21, v8, v10, v7
.LBB228_1678:                           ;   in Loop: Header=BB228_1052 Depth=1
	s_or_b32 exec_lo, exec_lo, s15
.LBB228_1679:                           ;   in Loop: Header=BB228_1052 Depth=1
	s_or_b32 exec_lo, exec_lo, s13
.LBB228_1680:                           ;   in Loop: Header=BB228_1052 Depth=1
	s_or_b32 exec_lo, exec_lo, s7
	v_mov_b32_e32 v22, 0
	v_mov_b32_e32 v24, 0
	v_and_b32_sdwa v7, v6, v99 dst_sel:DWORD dst_unused:UNUSED_PAD src0_sel:WORD_1 src1_sel:DWORD
	v_mov_b32_e32 v23, 0
	v_mov_b32_e32 v25, 0
	s_mov_b32 s7, exec_lo
	v_cmpx_ne_u16_e32 0, v7
	s_cbranch_execz .LBB228_1688
; %bb.1681:                             ;   in Loop: Header=BB228_1052 Depth=1
	v_bfrev_b32_e32 v24, 1
	v_mov_b32_e32 v25, 0
	s_mov_b32 s13, exec_lo
	v_cmpx_ne_u16_e32 0x80, v7
	s_cbranch_execz .LBB228_1687
; %bb.1682:                             ;   in Loop: Header=BB228_1052 Depth=1
	v_mov_b32_e32 v24, 0x7f800001
	v_bfe_u32 v10, v6, 16, 7
	v_mov_b32_e32 v25, 0
	s_mov_b32 s15, exec_lo
	v_cmpx_ne_u32_e32 0x7f, v10
	s_cbranch_execz .LBB228_1686
; %bb.1683:                             ;   in Loop: Header=BB228_1052 Depth=1
	v_mov_b32_e32 v7, 7
	s_mov_b32 s18, exec_lo
	v_and_b32_sdwa v8, v6, v7 dst_sel:DWORD dst_unused:UNUSED_PAD src0_sel:WORD_1 src1_sel:DWORD
	v_lshrrev_b32_e32 v7, 3, v10
	v_cmpx_gt_u32_e32 8, v10
; %bb.1684:                             ;   in Loop: Header=BB228_1052 Depth=1
	v_ffbh_u32_e32 v7, v8
	v_min_u32_e32 v7, 32, v7
	v_subrev_nc_u32_e32 v10, 28, v7
	v_sub_nc_u32_e32 v7, 29, v7
	v_lshlrev_b64 v[24:25], v10, v[8:9]
	v_and_b32_e32 v8, 7, v24
; %bb.1685:                             ;   in Loop: Header=BB228_1052 Depth=1
	s_or_b32 exec_lo, exec_lo, s18
	v_mov_b32_e32 v10, 24
	v_lshlrev_b32_e32 v8, 20, v8
	v_lshl_add_u32 v7, v7, 23, 0x3c000000
	v_lshlrev_b32_sdwa v10, v10, v6 dst_sel:DWORD dst_unused:UNUSED_PAD src0_sel:DWORD src1_sel:WORD_1
	v_and_b32_e32 v10, 0x80000000, v10
	v_or3_b32 v8, v8, v10, v7
	v_mov_b32_e32 v25, v9
	v_mov_b32_e32 v24, v8
.LBB228_1686:                           ;   in Loop: Header=BB228_1052 Depth=1
	s_or_b32 exec_lo, exec_lo, s15
.LBB228_1687:                           ;   in Loop: Header=BB228_1052 Depth=1
	s_or_b32 exec_lo, exec_lo, s13
.LBB228_1688:                           ;   in Loop: Header=BB228_1052 Depth=1
	s_or_b32 exec_lo, exec_lo, s7
	s_mov_b32 s7, exec_lo
	v_cmpx_lt_u32_e32 0xffffff, v6
	s_cbranch_execz .LBB228_1696
; %bb.1689:                             ;   in Loop: Header=BB228_1052 Depth=1
	v_mov_b32_e32 v10, v9
	v_mov_b32_e32 v23, v11
	v_cmp_ne_u32_sdwa s4, v6, v97 src0_sel:BYTE_3 src1_sel:DWORD
	v_mov_b32_e32 v22, v10
	s_and_saveexec_b32 s13, s4
	s_cbranch_execz .LBB228_1695
; %bb.1690:                             ;   in Loop: Header=BB228_1052 Depth=1
	v_mov_b32_e32 v12, v9
	v_mov_b32_e32 v23, v13
	v_bfe_u32 v10, v6, 24, 7
	s_mov_b32 s15, exec_lo
	v_mov_b32_e32 v22, v12
	v_cmpx_ne_u32_e32 0x7f, v10
	s_cbranch_execz .LBB228_1694
; %bb.1691:                             ;   in Loop: Header=BB228_1052 Depth=1
	v_mov_b32_e32 v7, 7
	s_mov_b32 s18, exec_lo
	v_and_b32_sdwa v8, v6, v7 dst_sel:DWORD dst_unused:UNUSED_PAD src0_sel:BYTE_3 src1_sel:DWORD
	v_lshrrev_b32_e32 v7, 3, v10
	v_cmpx_gt_u32_e32 8, v10
; %bb.1692:                             ;   in Loop: Header=BB228_1052 Depth=1
	v_ffbh_u32_e32 v7, v8
	v_min_u32_e32 v7, 32, v7
	v_subrev_nc_u32_e32 v10, 28, v7
	v_sub_nc_u32_e32 v7, 29, v7
	v_lshlrev_b64 v[22:23], v10, v[8:9]
	v_and_b32_e32 v8, 7, v22
; %bb.1693:                             ;   in Loop: Header=BB228_1052 Depth=1
	s_or_b32 exec_lo, exec_lo, s18
	v_mov_b32_e32 v10, 24
	v_lshlrev_b32_e32 v8, 20, v8
	v_lshl_add_u32 v7, v7, 23, 0x3c000000
	v_mov_b32_e32 v22, v9
	v_lshlrev_b32_sdwa v6, v10, v6 dst_sel:DWORD dst_unused:UNUSED_PAD src0_sel:DWORD src1_sel:BYTE_3
	v_and_b32_e32 v6, 0x80000000, v6
	v_or3_b32 v23, v8, v6, v7
.LBB228_1694:                           ;   in Loop: Header=BB228_1052 Depth=1
	s_or_b32 exec_lo, exec_lo, s15
.LBB228_1695:                           ;   in Loop: Header=BB228_1052 Depth=1
	s_or_b32 exec_lo, exec_lo, s13
.LBB228_1696:                           ;   in Loop: Header=BB228_1052 Depth=1
	s_or_b32 exec_lo, exec_lo, s7
	v_or_b32_e32 v6, v21, v19
	v_or_b32_e32 v7, v20, v18
	;; [unrolled: 1-line block ×4, first 2 shown]
	v_mul_f32_e32 v63, v114, v6
	v_mul_f32_e32 v62, v96, v7
	;; [unrolled: 1-line block ×4, first 2 shown]
	s_and_saveexec_b32 s7, vcc_lo
	s_cbranch_execz .LBB228_1698
; %bb.1697:                             ;   in Loop: Header=BB228_1052 Depth=1
	v_cmp_lt_i32_e64 s4, v47, v28
	v_cndmask_b32_e64 v62, 0, v62, s4
	v_cmp_lt_i32_e64 s4, v57, v28
	v_cndmask_b32_e64 v63, 0, v63, s4
	v_cmp_lt_i32_e64 s4, v56, v28
	v_cndmask_b32_e64 v61, 0, v61, s4
	v_cmp_lt_i32_e64 s4, v112, v28
	v_cndmask_b32_e64 v60, 0, v60, s4
.LBB228_1698:                           ;   in Loop: Header=BB228_1052 Depth=1
	s_or_b32 exec_lo, exec_lo, s7
	flat_load_dword v6, v[16:17] offset:384
	v_mov_b32_e32 v20, 0
	v_mov_b32_e32 v18, 0
	;; [unrolled: 1-line block ×4, first 2 shown]
	s_waitcnt vmcnt(0) lgkmcnt(0)
	v_cmp_ne_u16_sdwa s4, v6, v9 src0_sel:BYTE_0 src1_sel:DWORD
	s_and_saveexec_b32 s7, s4
	s_cbranch_execz .LBB228_1706
; %bb.1699:                             ;   in Loop: Header=BB228_1052 Depth=1
	v_bfrev_b32_e32 v18, 1
	v_mov_b32_e32 v19, 0
	v_cmp_ne_u16_sdwa s4, v6, v97 src0_sel:BYTE_0 src1_sel:DWORD
	s_and_saveexec_b32 s13, s4
	s_cbranch_execz .LBB228_1705
; %bb.1700:                             ;   in Loop: Header=BB228_1052 Depth=1
	v_mov_b32_e32 v18, 0x7f800001
	v_and_b32_e32 v10, 0x7f, v6
	v_mov_b32_e32 v19, 0
	s_mov_b32 s15, exec_lo
	v_cmpx_ne_u32_e32 0x7f, v10
	s_cbranch_execz .LBB228_1704
; %bb.1701:                             ;   in Loop: Header=BB228_1052 Depth=1
	v_and_b32_e32 v8, 7, v6
	v_lshrrev_b32_e32 v7, 3, v10
	s_mov_b32 s18, exec_lo
	v_cmpx_gt_u32_e32 8, v10
; %bb.1702:                             ;   in Loop: Header=BB228_1052 Depth=1
	v_ffbh_u32_e32 v7, v8
	v_min_u32_e32 v7, 32, v7
	v_subrev_nc_u32_e32 v10, 28, v7
	v_sub_nc_u32_e32 v7, 29, v7
	v_lshlrev_b64 v[18:19], v10, v[8:9]
	v_and_b32_e32 v8, 7, v18
; %bb.1703:                             ;   in Loop: Header=BB228_1052 Depth=1
	s_or_b32 exec_lo, exec_lo, s18
	v_lshlrev_b32_e32 v10, 24, v6
	v_lshlrev_b32_e32 v8, 20, v8
	v_lshl_add_u32 v7, v7, 23, 0x3c000000
	v_and_b32_e32 v10, 0x80000000, v10
	v_or3_b32 v8, v8, v10, v7
	v_mov_b32_e32 v19, v9
	v_mov_b32_e32 v18, v8
.LBB228_1704:                           ;   in Loop: Header=BB228_1052 Depth=1
	s_or_b32 exec_lo, exec_lo, s15
.LBB228_1705:                           ;   in Loop: Header=BB228_1052 Depth=1
	s_or_b32 exec_lo, exec_lo, s13
.LBB228_1706:                           ;   in Loop: Header=BB228_1052 Depth=1
	s_or_b32 exec_lo, exec_lo, s7
	v_cmp_ne_u16_sdwa s4, v6, v9 src0_sel:BYTE_1 src1_sel:DWORD
	s_and_saveexec_b32 s7, s4
	s_cbranch_execz .LBB228_1714
; %bb.1707:                             ;   in Loop: Header=BB228_1052 Depth=1
	v_mov_b32_e32 v10, v9
	v_mov_b32_e32 v21, v11
	v_cmp_ne_u16_sdwa s4, v6, v97 src0_sel:BYTE_1 src1_sel:DWORD
	v_mov_b32_e32 v20, v10
	s_and_saveexec_b32 s13, s4
	s_cbranch_execz .LBB228_1713
; %bb.1708:                             ;   in Loop: Header=BB228_1052 Depth=1
	v_mov_b32_e32 v7, 0xffff
	v_mov_b32_e32 v12, v9
	;; [unrolled: 1-line block ×3, first 2 shown]
	s_mov_b32 s15, exec_lo
	v_and_b32_sdwa v7, v7, v6 dst_sel:DWORD dst_unused:UNUSED_PAD src0_sel:DWORD src1_sel:BYTE_1
	v_mov_b32_e32 v20, v12
	v_and_b32_e32 v10, 0x7f, v7
	v_cmpx_ne_u32_e32 0x7f, v10
	s_cbranch_execz .LBB228_1712
; %bb.1709:                             ;   in Loop: Header=BB228_1052 Depth=1
	v_and_b32_e32 v8, 7, v7
	v_lshrrev_b32_e32 v7, 3, v10
	s_mov_b32 s18, exec_lo
	v_cmpx_gt_u32_e32 8, v10
; %bb.1710:                             ;   in Loop: Header=BB228_1052 Depth=1
	v_ffbh_u32_e32 v7, v8
	v_min_u32_e32 v7, 32, v7
	v_subrev_nc_u32_e32 v10, 28, v7
	v_sub_nc_u32_e32 v7, 29, v7
	v_lshlrev_b64 v[20:21], v10, v[8:9]
	v_and_b32_e32 v8, 7, v20
; %bb.1711:                             ;   in Loop: Header=BB228_1052 Depth=1
	s_or_b32 exec_lo, exec_lo, s18
	v_lshlrev_b32_e32 v10, 16, v6
	v_lshlrev_b32_e32 v8, 20, v8
	v_lshl_add_u32 v7, v7, 23, 0x3c000000
	v_mov_b32_e32 v20, v9
	v_and_b32_e32 v10, 0x80000000, v10
	v_or3_b32 v21, v8, v10, v7
.LBB228_1712:                           ;   in Loop: Header=BB228_1052 Depth=1
	s_or_b32 exec_lo, exec_lo, s15
.LBB228_1713:                           ;   in Loop: Header=BB228_1052 Depth=1
	s_or_b32 exec_lo, exec_lo, s13
.LBB228_1714:                           ;   in Loop: Header=BB228_1052 Depth=1
	s_or_b32 exec_lo, exec_lo, s7
	v_mov_b32_e32 v22, 0
	v_mov_b32_e32 v24, 0
	v_and_b32_sdwa v7, v6, v99 dst_sel:DWORD dst_unused:UNUSED_PAD src0_sel:WORD_1 src1_sel:DWORD
	v_mov_b32_e32 v23, 0
	v_mov_b32_e32 v25, 0
	s_mov_b32 s7, exec_lo
	v_cmpx_ne_u16_e32 0, v7
	s_cbranch_execz .LBB228_1722
; %bb.1715:                             ;   in Loop: Header=BB228_1052 Depth=1
	v_bfrev_b32_e32 v24, 1
	v_mov_b32_e32 v25, 0
	s_mov_b32 s13, exec_lo
	v_cmpx_ne_u16_e32 0x80, v7
	s_cbranch_execz .LBB228_1721
; %bb.1716:                             ;   in Loop: Header=BB228_1052 Depth=1
	v_mov_b32_e32 v24, 0x7f800001
	v_bfe_u32 v10, v6, 16, 7
	v_mov_b32_e32 v25, 0
	s_mov_b32 s15, exec_lo
	v_cmpx_ne_u32_e32 0x7f, v10
	s_cbranch_execz .LBB228_1720
; %bb.1717:                             ;   in Loop: Header=BB228_1052 Depth=1
	v_mov_b32_e32 v7, 7
	s_mov_b32 s18, exec_lo
	v_and_b32_sdwa v8, v6, v7 dst_sel:DWORD dst_unused:UNUSED_PAD src0_sel:WORD_1 src1_sel:DWORD
	v_lshrrev_b32_e32 v7, 3, v10
	v_cmpx_gt_u32_e32 8, v10
; %bb.1718:                             ;   in Loop: Header=BB228_1052 Depth=1
	v_ffbh_u32_e32 v7, v8
	v_min_u32_e32 v7, 32, v7
	v_subrev_nc_u32_e32 v10, 28, v7
	v_sub_nc_u32_e32 v7, 29, v7
	v_lshlrev_b64 v[24:25], v10, v[8:9]
	v_and_b32_e32 v8, 7, v24
; %bb.1719:                             ;   in Loop: Header=BB228_1052 Depth=1
	s_or_b32 exec_lo, exec_lo, s18
	v_mov_b32_e32 v10, 24
	v_lshlrev_b32_e32 v8, 20, v8
	v_lshl_add_u32 v7, v7, 23, 0x3c000000
	v_lshlrev_b32_sdwa v10, v10, v6 dst_sel:DWORD dst_unused:UNUSED_PAD src0_sel:DWORD src1_sel:WORD_1
	v_and_b32_e32 v10, 0x80000000, v10
	v_or3_b32 v8, v8, v10, v7
	v_mov_b32_e32 v25, v9
	v_mov_b32_e32 v24, v8
.LBB228_1720:                           ;   in Loop: Header=BB228_1052 Depth=1
	s_or_b32 exec_lo, exec_lo, s15
.LBB228_1721:                           ;   in Loop: Header=BB228_1052 Depth=1
	s_or_b32 exec_lo, exec_lo, s13
.LBB228_1722:                           ;   in Loop: Header=BB228_1052 Depth=1
	s_or_b32 exec_lo, exec_lo, s7
	s_mov_b32 s7, exec_lo
	v_cmpx_lt_u32_e32 0xffffff, v6
	s_cbranch_execz .LBB228_1730
; %bb.1723:                             ;   in Loop: Header=BB228_1052 Depth=1
	v_mov_b32_e32 v10, v9
	v_mov_b32_e32 v23, v11
	v_cmp_ne_u32_sdwa s4, v6, v97 src0_sel:BYTE_3 src1_sel:DWORD
	v_mov_b32_e32 v22, v10
	s_and_saveexec_b32 s13, s4
	s_cbranch_execz .LBB228_1729
; %bb.1724:                             ;   in Loop: Header=BB228_1052 Depth=1
	v_mov_b32_e32 v12, v9
	v_mov_b32_e32 v23, v13
	v_bfe_u32 v10, v6, 24, 7
	s_mov_b32 s15, exec_lo
	v_mov_b32_e32 v22, v12
	v_cmpx_ne_u32_e32 0x7f, v10
	s_cbranch_execz .LBB228_1728
; %bb.1725:                             ;   in Loop: Header=BB228_1052 Depth=1
	v_mov_b32_e32 v7, 7
	s_mov_b32 s18, exec_lo
	v_and_b32_sdwa v8, v6, v7 dst_sel:DWORD dst_unused:UNUSED_PAD src0_sel:BYTE_3 src1_sel:DWORD
	v_lshrrev_b32_e32 v7, 3, v10
	v_cmpx_gt_u32_e32 8, v10
; %bb.1726:                             ;   in Loop: Header=BB228_1052 Depth=1
	v_ffbh_u32_e32 v7, v8
	v_min_u32_e32 v7, 32, v7
	v_subrev_nc_u32_e32 v10, 28, v7
	v_sub_nc_u32_e32 v7, 29, v7
	v_lshlrev_b64 v[22:23], v10, v[8:9]
	v_and_b32_e32 v8, 7, v22
; %bb.1727:                             ;   in Loop: Header=BB228_1052 Depth=1
	s_or_b32 exec_lo, exec_lo, s18
	v_mov_b32_e32 v10, 24
	v_lshlrev_b32_e32 v8, 20, v8
	v_lshl_add_u32 v7, v7, 23, 0x3c000000
	v_mov_b32_e32 v22, v9
	v_lshlrev_b32_sdwa v6, v10, v6 dst_sel:DWORD dst_unused:UNUSED_PAD src0_sel:DWORD src1_sel:BYTE_3
	v_and_b32_e32 v6, 0x80000000, v6
	v_or3_b32 v23, v8, v6, v7
.LBB228_1728:                           ;   in Loop: Header=BB228_1052 Depth=1
	s_or_b32 exec_lo, exec_lo, s15
.LBB228_1729:                           ;   in Loop: Header=BB228_1052 Depth=1
	s_or_b32 exec_lo, exec_lo, s13
.LBB228_1730:                           ;   in Loop: Header=BB228_1052 Depth=1
	s_or_b32 exec_lo, exec_lo, s7
	v_or_b32_e32 v6, v21, v19
	v_or_b32_e32 v7, v20, v18
	;; [unrolled: 1-line block ×4, first 2 shown]
	v_mul_f32_e32 v75, v114, v6
	v_mul_f32_e32 v74, v96, v7
	;; [unrolled: 1-line block ×4, first 2 shown]
	s_and_saveexec_b32 s7, vcc_lo
	s_cbranch_execz .LBB228_1732
; %bb.1731:                             ;   in Loop: Header=BB228_1052 Depth=1
	v_cmp_lt_i32_e64 s4, v47, v28
	v_cndmask_b32_e64 v74, 0, v74, s4
	v_cmp_lt_i32_e64 s4, v57, v28
	v_cndmask_b32_e64 v75, 0, v75, s4
	;; [unrolled: 2-line block ×4, first 2 shown]
.LBB228_1732:                           ;   in Loop: Header=BB228_1052 Depth=1
	s_or_b32 exec_lo, exec_lo, s7
	flat_load_dword v6, v[16:17] offset:512
	v_mov_b32_e32 v20, 0
	v_mov_b32_e32 v18, 0
	;; [unrolled: 1-line block ×4, first 2 shown]
	s_waitcnt vmcnt(0) lgkmcnt(0)
	v_cmp_ne_u16_sdwa s4, v6, v9 src0_sel:BYTE_0 src1_sel:DWORD
	s_and_saveexec_b32 s7, s4
	s_cbranch_execz .LBB228_1740
; %bb.1733:                             ;   in Loop: Header=BB228_1052 Depth=1
	v_bfrev_b32_e32 v18, 1
	v_mov_b32_e32 v19, 0
	v_cmp_ne_u16_sdwa s4, v6, v97 src0_sel:BYTE_0 src1_sel:DWORD
	s_and_saveexec_b32 s13, s4
	s_cbranch_execz .LBB228_1739
; %bb.1734:                             ;   in Loop: Header=BB228_1052 Depth=1
	v_mov_b32_e32 v18, 0x7f800001
	v_and_b32_e32 v10, 0x7f, v6
	v_mov_b32_e32 v19, 0
	s_mov_b32 s15, exec_lo
	v_cmpx_ne_u32_e32 0x7f, v10
	s_cbranch_execz .LBB228_1738
; %bb.1735:                             ;   in Loop: Header=BB228_1052 Depth=1
	v_and_b32_e32 v8, 7, v6
	v_lshrrev_b32_e32 v7, 3, v10
	s_mov_b32 s18, exec_lo
	v_cmpx_gt_u32_e32 8, v10
; %bb.1736:                             ;   in Loop: Header=BB228_1052 Depth=1
	v_ffbh_u32_e32 v7, v8
	v_min_u32_e32 v7, 32, v7
	v_subrev_nc_u32_e32 v10, 28, v7
	v_sub_nc_u32_e32 v7, 29, v7
	v_lshlrev_b64 v[18:19], v10, v[8:9]
	v_and_b32_e32 v8, 7, v18
; %bb.1737:                             ;   in Loop: Header=BB228_1052 Depth=1
	s_or_b32 exec_lo, exec_lo, s18
	v_lshlrev_b32_e32 v10, 24, v6
	v_lshlrev_b32_e32 v8, 20, v8
	v_lshl_add_u32 v7, v7, 23, 0x3c000000
	v_and_b32_e32 v10, 0x80000000, v10
	v_or3_b32 v8, v8, v10, v7
	v_mov_b32_e32 v19, v9
	v_mov_b32_e32 v18, v8
.LBB228_1738:                           ;   in Loop: Header=BB228_1052 Depth=1
	s_or_b32 exec_lo, exec_lo, s15
.LBB228_1739:                           ;   in Loop: Header=BB228_1052 Depth=1
	s_or_b32 exec_lo, exec_lo, s13
.LBB228_1740:                           ;   in Loop: Header=BB228_1052 Depth=1
	s_or_b32 exec_lo, exec_lo, s7
	v_cmp_ne_u16_sdwa s4, v6, v9 src0_sel:BYTE_1 src1_sel:DWORD
	s_and_saveexec_b32 s7, s4
	s_cbranch_execz .LBB228_1748
; %bb.1741:                             ;   in Loop: Header=BB228_1052 Depth=1
	v_mov_b32_e32 v10, v9
	v_mov_b32_e32 v21, v11
	v_cmp_ne_u16_sdwa s4, v6, v97 src0_sel:BYTE_1 src1_sel:DWORD
	v_mov_b32_e32 v20, v10
	s_and_saveexec_b32 s13, s4
	s_cbranch_execz .LBB228_1747
; %bb.1742:                             ;   in Loop: Header=BB228_1052 Depth=1
	v_mov_b32_e32 v7, 0xffff
	v_mov_b32_e32 v12, v9
	;; [unrolled: 1-line block ×3, first 2 shown]
	s_mov_b32 s15, exec_lo
	v_and_b32_sdwa v7, v7, v6 dst_sel:DWORD dst_unused:UNUSED_PAD src0_sel:DWORD src1_sel:BYTE_1
	v_mov_b32_e32 v20, v12
	v_and_b32_e32 v10, 0x7f, v7
	v_cmpx_ne_u32_e32 0x7f, v10
	s_cbranch_execz .LBB228_1746
; %bb.1743:                             ;   in Loop: Header=BB228_1052 Depth=1
	v_and_b32_e32 v8, 7, v7
	v_lshrrev_b32_e32 v7, 3, v10
	s_mov_b32 s18, exec_lo
	v_cmpx_gt_u32_e32 8, v10
; %bb.1744:                             ;   in Loop: Header=BB228_1052 Depth=1
	v_ffbh_u32_e32 v7, v8
	v_min_u32_e32 v7, 32, v7
	v_subrev_nc_u32_e32 v10, 28, v7
	v_sub_nc_u32_e32 v7, 29, v7
	v_lshlrev_b64 v[20:21], v10, v[8:9]
	v_and_b32_e32 v8, 7, v20
; %bb.1745:                             ;   in Loop: Header=BB228_1052 Depth=1
	s_or_b32 exec_lo, exec_lo, s18
	v_lshlrev_b32_e32 v10, 16, v6
	v_lshlrev_b32_e32 v8, 20, v8
	v_lshl_add_u32 v7, v7, 23, 0x3c000000
	v_mov_b32_e32 v20, v9
	v_and_b32_e32 v10, 0x80000000, v10
	v_or3_b32 v21, v8, v10, v7
.LBB228_1746:                           ;   in Loop: Header=BB228_1052 Depth=1
	s_or_b32 exec_lo, exec_lo, s15
.LBB228_1747:                           ;   in Loop: Header=BB228_1052 Depth=1
	s_or_b32 exec_lo, exec_lo, s13
.LBB228_1748:                           ;   in Loop: Header=BB228_1052 Depth=1
	s_or_b32 exec_lo, exec_lo, s7
	v_mov_b32_e32 v22, 0
	v_mov_b32_e32 v24, 0
	v_and_b32_sdwa v7, v6, v99 dst_sel:DWORD dst_unused:UNUSED_PAD src0_sel:WORD_1 src1_sel:DWORD
	v_mov_b32_e32 v23, 0
	v_mov_b32_e32 v25, 0
	s_mov_b32 s7, exec_lo
	v_cmpx_ne_u16_e32 0, v7
	s_cbranch_execz .LBB228_1756
; %bb.1749:                             ;   in Loop: Header=BB228_1052 Depth=1
	v_bfrev_b32_e32 v24, 1
	v_mov_b32_e32 v25, 0
	s_mov_b32 s13, exec_lo
	v_cmpx_ne_u16_e32 0x80, v7
	s_cbranch_execz .LBB228_1755
; %bb.1750:                             ;   in Loop: Header=BB228_1052 Depth=1
	v_mov_b32_e32 v24, 0x7f800001
	v_bfe_u32 v10, v6, 16, 7
	v_mov_b32_e32 v25, 0
	s_mov_b32 s15, exec_lo
	v_cmpx_ne_u32_e32 0x7f, v10
	s_cbranch_execz .LBB228_1754
; %bb.1751:                             ;   in Loop: Header=BB228_1052 Depth=1
	v_mov_b32_e32 v7, 7
	s_mov_b32 s18, exec_lo
	v_and_b32_sdwa v8, v6, v7 dst_sel:DWORD dst_unused:UNUSED_PAD src0_sel:WORD_1 src1_sel:DWORD
	v_lshrrev_b32_e32 v7, 3, v10
	v_cmpx_gt_u32_e32 8, v10
; %bb.1752:                             ;   in Loop: Header=BB228_1052 Depth=1
	v_ffbh_u32_e32 v7, v8
	v_min_u32_e32 v7, 32, v7
	v_subrev_nc_u32_e32 v10, 28, v7
	v_sub_nc_u32_e32 v7, 29, v7
	v_lshlrev_b64 v[24:25], v10, v[8:9]
	v_and_b32_e32 v8, 7, v24
; %bb.1753:                             ;   in Loop: Header=BB228_1052 Depth=1
	s_or_b32 exec_lo, exec_lo, s18
	v_mov_b32_e32 v10, 24
	v_lshlrev_b32_e32 v8, 20, v8
	v_lshl_add_u32 v7, v7, 23, 0x3c000000
	v_lshlrev_b32_sdwa v10, v10, v6 dst_sel:DWORD dst_unused:UNUSED_PAD src0_sel:DWORD src1_sel:WORD_1
	v_and_b32_e32 v10, 0x80000000, v10
	v_or3_b32 v8, v8, v10, v7
	v_mov_b32_e32 v25, v9
	v_mov_b32_e32 v24, v8
.LBB228_1754:                           ;   in Loop: Header=BB228_1052 Depth=1
	s_or_b32 exec_lo, exec_lo, s15
.LBB228_1755:                           ;   in Loop: Header=BB228_1052 Depth=1
	s_or_b32 exec_lo, exec_lo, s13
.LBB228_1756:                           ;   in Loop: Header=BB228_1052 Depth=1
	s_or_b32 exec_lo, exec_lo, s7
	s_mov_b32 s7, exec_lo
	v_cmpx_lt_u32_e32 0xffffff, v6
	s_cbranch_execz .LBB228_1764
; %bb.1757:                             ;   in Loop: Header=BB228_1052 Depth=1
	v_mov_b32_e32 v10, v9
	v_mov_b32_e32 v23, v11
	v_cmp_ne_u32_sdwa s4, v6, v97 src0_sel:BYTE_3 src1_sel:DWORD
	v_mov_b32_e32 v22, v10
	s_and_saveexec_b32 s13, s4
	s_cbranch_execz .LBB228_1763
; %bb.1758:                             ;   in Loop: Header=BB228_1052 Depth=1
	v_mov_b32_e32 v12, v9
	v_mov_b32_e32 v23, v13
	v_bfe_u32 v10, v6, 24, 7
	s_mov_b32 s15, exec_lo
	v_mov_b32_e32 v22, v12
	v_cmpx_ne_u32_e32 0x7f, v10
	s_cbranch_execz .LBB228_1762
; %bb.1759:                             ;   in Loop: Header=BB228_1052 Depth=1
	v_mov_b32_e32 v7, 7
	s_mov_b32 s18, exec_lo
	v_and_b32_sdwa v8, v6, v7 dst_sel:DWORD dst_unused:UNUSED_PAD src0_sel:BYTE_3 src1_sel:DWORD
	v_lshrrev_b32_e32 v7, 3, v10
	v_cmpx_gt_u32_e32 8, v10
; %bb.1760:                             ;   in Loop: Header=BB228_1052 Depth=1
	v_ffbh_u32_e32 v7, v8
	v_min_u32_e32 v7, 32, v7
	v_subrev_nc_u32_e32 v10, 28, v7
	v_sub_nc_u32_e32 v7, 29, v7
	v_lshlrev_b64 v[22:23], v10, v[8:9]
	v_and_b32_e32 v8, 7, v22
; %bb.1761:                             ;   in Loop: Header=BB228_1052 Depth=1
	s_or_b32 exec_lo, exec_lo, s18
	v_mov_b32_e32 v10, 24
	v_lshlrev_b32_e32 v8, 20, v8
	v_lshl_add_u32 v7, v7, 23, 0x3c000000
	v_mov_b32_e32 v22, v9
	v_lshlrev_b32_sdwa v6, v10, v6 dst_sel:DWORD dst_unused:UNUSED_PAD src0_sel:DWORD src1_sel:BYTE_3
	v_and_b32_e32 v6, 0x80000000, v6
	v_or3_b32 v23, v8, v6, v7
.LBB228_1762:                           ;   in Loop: Header=BB228_1052 Depth=1
	s_or_b32 exec_lo, exec_lo, s15
.LBB228_1763:                           ;   in Loop: Header=BB228_1052 Depth=1
	s_or_b32 exec_lo, exec_lo, s13
.LBB228_1764:                           ;   in Loop: Header=BB228_1052 Depth=1
	s_or_b32 exec_lo, exec_lo, s7
	v_or_b32_e32 v6, v21, v19
	v_or_b32_e32 v7, v20, v18
	;; [unrolled: 1-line block ×4, first 2 shown]
	v_mul_f32_e32 v79, v114, v6
	v_mul_f32_e32 v78, v96, v7
	v_mul_f32_e32 v77, v96, v8
	v_mul_f32_e32 v76, v114, v10
	s_and_saveexec_b32 s7, vcc_lo
	s_cbranch_execz .LBB228_1766
; %bb.1765:                             ;   in Loop: Header=BB228_1052 Depth=1
	v_cmp_lt_i32_e64 s4, v47, v28
	v_cndmask_b32_e64 v78, 0, v78, s4
	v_cmp_lt_i32_e64 s4, v57, v28
	v_cndmask_b32_e64 v79, 0, v79, s4
	;; [unrolled: 2-line block ×4, first 2 shown]
.LBB228_1766:                           ;   in Loop: Header=BB228_1052 Depth=1
	s_or_b32 exec_lo, exec_lo, s7
	flat_load_dword v6, v[16:17] offset:640
	v_mov_b32_e32 v20, 0
	v_mov_b32_e32 v18, 0
	;; [unrolled: 1-line block ×4, first 2 shown]
	s_waitcnt vmcnt(0) lgkmcnt(0)
	v_cmp_ne_u16_sdwa s4, v6, v9 src0_sel:BYTE_0 src1_sel:DWORD
	s_and_saveexec_b32 s7, s4
	s_cbranch_execz .LBB228_1774
; %bb.1767:                             ;   in Loop: Header=BB228_1052 Depth=1
	v_bfrev_b32_e32 v18, 1
	v_mov_b32_e32 v19, 0
	v_cmp_ne_u16_sdwa s4, v6, v97 src0_sel:BYTE_0 src1_sel:DWORD
	s_and_saveexec_b32 s13, s4
	s_cbranch_execz .LBB228_1773
; %bb.1768:                             ;   in Loop: Header=BB228_1052 Depth=1
	v_mov_b32_e32 v18, 0x7f800001
	v_and_b32_e32 v10, 0x7f, v6
	v_mov_b32_e32 v19, 0
	s_mov_b32 s15, exec_lo
	v_cmpx_ne_u32_e32 0x7f, v10
	s_cbranch_execz .LBB228_1772
; %bb.1769:                             ;   in Loop: Header=BB228_1052 Depth=1
	v_and_b32_e32 v8, 7, v6
	v_lshrrev_b32_e32 v7, 3, v10
	s_mov_b32 s18, exec_lo
	v_cmpx_gt_u32_e32 8, v10
; %bb.1770:                             ;   in Loop: Header=BB228_1052 Depth=1
	v_ffbh_u32_e32 v7, v8
	v_min_u32_e32 v7, 32, v7
	v_subrev_nc_u32_e32 v10, 28, v7
	v_sub_nc_u32_e32 v7, 29, v7
	v_lshlrev_b64 v[18:19], v10, v[8:9]
	v_and_b32_e32 v8, 7, v18
; %bb.1771:                             ;   in Loop: Header=BB228_1052 Depth=1
	s_or_b32 exec_lo, exec_lo, s18
	v_lshlrev_b32_e32 v10, 24, v6
	v_lshlrev_b32_e32 v8, 20, v8
	v_lshl_add_u32 v7, v7, 23, 0x3c000000
	v_and_b32_e32 v10, 0x80000000, v10
	v_or3_b32 v8, v8, v10, v7
	v_mov_b32_e32 v19, v9
	v_mov_b32_e32 v18, v8
.LBB228_1772:                           ;   in Loop: Header=BB228_1052 Depth=1
	s_or_b32 exec_lo, exec_lo, s15
.LBB228_1773:                           ;   in Loop: Header=BB228_1052 Depth=1
	s_or_b32 exec_lo, exec_lo, s13
.LBB228_1774:                           ;   in Loop: Header=BB228_1052 Depth=1
	s_or_b32 exec_lo, exec_lo, s7
	v_cmp_ne_u16_sdwa s4, v6, v9 src0_sel:BYTE_1 src1_sel:DWORD
	s_and_saveexec_b32 s7, s4
	s_cbranch_execz .LBB228_1782
; %bb.1775:                             ;   in Loop: Header=BB228_1052 Depth=1
	v_mov_b32_e32 v10, v9
	v_mov_b32_e32 v21, v11
	v_cmp_ne_u16_sdwa s4, v6, v97 src0_sel:BYTE_1 src1_sel:DWORD
	v_mov_b32_e32 v20, v10
	s_and_saveexec_b32 s13, s4
	s_cbranch_execz .LBB228_1781
; %bb.1776:                             ;   in Loop: Header=BB228_1052 Depth=1
	v_mov_b32_e32 v7, 0xffff
	v_mov_b32_e32 v12, v9
	;; [unrolled: 1-line block ×3, first 2 shown]
	s_mov_b32 s15, exec_lo
	v_and_b32_sdwa v7, v7, v6 dst_sel:DWORD dst_unused:UNUSED_PAD src0_sel:DWORD src1_sel:BYTE_1
	v_mov_b32_e32 v20, v12
	v_and_b32_e32 v10, 0x7f, v7
	v_cmpx_ne_u32_e32 0x7f, v10
	s_cbranch_execz .LBB228_1780
; %bb.1777:                             ;   in Loop: Header=BB228_1052 Depth=1
	v_and_b32_e32 v8, 7, v7
	v_lshrrev_b32_e32 v7, 3, v10
	s_mov_b32 s18, exec_lo
	v_cmpx_gt_u32_e32 8, v10
; %bb.1778:                             ;   in Loop: Header=BB228_1052 Depth=1
	v_ffbh_u32_e32 v7, v8
	v_min_u32_e32 v7, 32, v7
	v_subrev_nc_u32_e32 v10, 28, v7
	v_sub_nc_u32_e32 v7, 29, v7
	v_lshlrev_b64 v[20:21], v10, v[8:9]
	v_and_b32_e32 v8, 7, v20
; %bb.1779:                             ;   in Loop: Header=BB228_1052 Depth=1
	s_or_b32 exec_lo, exec_lo, s18
	v_lshlrev_b32_e32 v10, 16, v6
	v_lshlrev_b32_e32 v8, 20, v8
	v_lshl_add_u32 v7, v7, 23, 0x3c000000
	v_mov_b32_e32 v20, v9
	v_and_b32_e32 v10, 0x80000000, v10
	v_or3_b32 v21, v8, v10, v7
.LBB228_1780:                           ;   in Loop: Header=BB228_1052 Depth=1
	s_or_b32 exec_lo, exec_lo, s15
.LBB228_1781:                           ;   in Loop: Header=BB228_1052 Depth=1
	s_or_b32 exec_lo, exec_lo, s13
.LBB228_1782:                           ;   in Loop: Header=BB228_1052 Depth=1
	s_or_b32 exec_lo, exec_lo, s7
	v_mov_b32_e32 v22, 0
	v_mov_b32_e32 v24, 0
	v_and_b32_sdwa v7, v6, v99 dst_sel:DWORD dst_unused:UNUSED_PAD src0_sel:WORD_1 src1_sel:DWORD
	v_mov_b32_e32 v23, 0
	v_mov_b32_e32 v25, 0
	s_mov_b32 s7, exec_lo
	v_cmpx_ne_u16_e32 0, v7
	s_cbranch_execz .LBB228_1790
; %bb.1783:                             ;   in Loop: Header=BB228_1052 Depth=1
	v_bfrev_b32_e32 v24, 1
	v_mov_b32_e32 v25, 0
	s_mov_b32 s13, exec_lo
	v_cmpx_ne_u16_e32 0x80, v7
	s_cbranch_execz .LBB228_1789
; %bb.1784:                             ;   in Loop: Header=BB228_1052 Depth=1
	v_mov_b32_e32 v24, 0x7f800001
	v_bfe_u32 v10, v6, 16, 7
	v_mov_b32_e32 v25, 0
	s_mov_b32 s15, exec_lo
	v_cmpx_ne_u32_e32 0x7f, v10
	s_cbranch_execz .LBB228_1788
; %bb.1785:                             ;   in Loop: Header=BB228_1052 Depth=1
	v_mov_b32_e32 v7, 7
	s_mov_b32 s18, exec_lo
	v_and_b32_sdwa v8, v6, v7 dst_sel:DWORD dst_unused:UNUSED_PAD src0_sel:WORD_1 src1_sel:DWORD
	v_lshrrev_b32_e32 v7, 3, v10
	v_cmpx_gt_u32_e32 8, v10
; %bb.1786:                             ;   in Loop: Header=BB228_1052 Depth=1
	v_ffbh_u32_e32 v7, v8
	v_min_u32_e32 v7, 32, v7
	v_subrev_nc_u32_e32 v10, 28, v7
	v_sub_nc_u32_e32 v7, 29, v7
	v_lshlrev_b64 v[24:25], v10, v[8:9]
	v_and_b32_e32 v8, 7, v24
; %bb.1787:                             ;   in Loop: Header=BB228_1052 Depth=1
	s_or_b32 exec_lo, exec_lo, s18
	v_mov_b32_e32 v10, 24
	v_lshlrev_b32_e32 v8, 20, v8
	v_lshl_add_u32 v7, v7, 23, 0x3c000000
	v_lshlrev_b32_sdwa v10, v10, v6 dst_sel:DWORD dst_unused:UNUSED_PAD src0_sel:DWORD src1_sel:WORD_1
	v_and_b32_e32 v10, 0x80000000, v10
	v_or3_b32 v8, v8, v10, v7
	v_mov_b32_e32 v25, v9
	v_mov_b32_e32 v24, v8
.LBB228_1788:                           ;   in Loop: Header=BB228_1052 Depth=1
	s_or_b32 exec_lo, exec_lo, s15
.LBB228_1789:                           ;   in Loop: Header=BB228_1052 Depth=1
	s_or_b32 exec_lo, exec_lo, s13
.LBB228_1790:                           ;   in Loop: Header=BB228_1052 Depth=1
	s_or_b32 exec_lo, exec_lo, s7
	s_mov_b32 s7, exec_lo
	v_cmpx_lt_u32_e32 0xffffff, v6
	s_cbranch_execz .LBB228_1798
; %bb.1791:                             ;   in Loop: Header=BB228_1052 Depth=1
	v_mov_b32_e32 v10, v9
	v_mov_b32_e32 v23, v11
	v_cmp_ne_u32_sdwa s4, v6, v97 src0_sel:BYTE_3 src1_sel:DWORD
	v_mov_b32_e32 v22, v10
	s_and_saveexec_b32 s13, s4
	s_cbranch_execz .LBB228_1797
; %bb.1792:                             ;   in Loop: Header=BB228_1052 Depth=1
	v_mov_b32_e32 v12, v9
	v_mov_b32_e32 v23, v13
	v_bfe_u32 v10, v6, 24, 7
	s_mov_b32 s15, exec_lo
	v_mov_b32_e32 v22, v12
	v_cmpx_ne_u32_e32 0x7f, v10
	s_cbranch_execz .LBB228_1796
; %bb.1793:                             ;   in Loop: Header=BB228_1052 Depth=1
	v_mov_b32_e32 v7, 7
	s_mov_b32 s18, exec_lo
	v_and_b32_sdwa v8, v6, v7 dst_sel:DWORD dst_unused:UNUSED_PAD src0_sel:BYTE_3 src1_sel:DWORD
	v_lshrrev_b32_e32 v7, 3, v10
	v_cmpx_gt_u32_e32 8, v10
; %bb.1794:                             ;   in Loop: Header=BB228_1052 Depth=1
	v_ffbh_u32_e32 v7, v8
	v_min_u32_e32 v7, 32, v7
	v_subrev_nc_u32_e32 v10, 28, v7
	v_sub_nc_u32_e32 v7, 29, v7
	v_lshlrev_b64 v[22:23], v10, v[8:9]
	v_and_b32_e32 v8, 7, v22
; %bb.1795:                             ;   in Loop: Header=BB228_1052 Depth=1
	s_or_b32 exec_lo, exec_lo, s18
	v_mov_b32_e32 v10, 24
	v_lshlrev_b32_e32 v8, 20, v8
	v_lshl_add_u32 v7, v7, 23, 0x3c000000
	v_mov_b32_e32 v22, v9
	v_lshlrev_b32_sdwa v6, v10, v6 dst_sel:DWORD dst_unused:UNUSED_PAD src0_sel:DWORD src1_sel:BYTE_3
	v_and_b32_e32 v6, 0x80000000, v6
	v_or3_b32 v23, v8, v6, v7
.LBB228_1796:                           ;   in Loop: Header=BB228_1052 Depth=1
	s_or_b32 exec_lo, exec_lo, s15
.LBB228_1797:                           ;   in Loop: Header=BB228_1052 Depth=1
	s_or_b32 exec_lo, exec_lo, s13
.LBB228_1798:                           ;   in Loop: Header=BB228_1052 Depth=1
	s_or_b32 exec_lo, exec_lo, s7
	v_or_b32_e32 v6, v21, v19
	v_or_b32_e32 v7, v20, v18
	;; [unrolled: 1-line block ×4, first 2 shown]
	v_mul_f32_e32 v100, v114, v6
	v_mul_f32_e32 v98, v96, v7
	;; [unrolled: 1-line block ×4, first 2 shown]
	s_and_saveexec_b32 s7, vcc_lo
	s_cbranch_execz .LBB228_1800
; %bb.1799:                             ;   in Loop: Header=BB228_1052 Depth=1
	v_cmp_lt_i32_e64 s4, v47, v28
	v_cndmask_b32_e64 v98, 0, v98, s4
	v_cmp_lt_i32_e64 s4, v57, v28
	v_cndmask_b32_e64 v100, 0, v100, s4
	;; [unrolled: 2-line block ×4, first 2 shown]
.LBB228_1800:                           ;   in Loop: Header=BB228_1052 Depth=1
	s_or_b32 exec_lo, exec_lo, s7
	flat_load_dword v6, v[16:17] offset:768
	v_mov_b32_e32 v20, 0
	v_mov_b32_e32 v18, 0
	;; [unrolled: 1-line block ×4, first 2 shown]
	s_waitcnt vmcnt(0) lgkmcnt(0)
	v_cmp_ne_u16_sdwa s4, v6, v9 src0_sel:BYTE_0 src1_sel:DWORD
	s_and_saveexec_b32 s7, s4
	s_cbranch_execz .LBB228_1808
; %bb.1801:                             ;   in Loop: Header=BB228_1052 Depth=1
	v_bfrev_b32_e32 v18, 1
	v_mov_b32_e32 v19, 0
	v_cmp_ne_u16_sdwa s4, v6, v97 src0_sel:BYTE_0 src1_sel:DWORD
	s_and_saveexec_b32 s13, s4
	s_cbranch_execz .LBB228_1807
; %bb.1802:                             ;   in Loop: Header=BB228_1052 Depth=1
	v_mov_b32_e32 v18, 0x7f800001
	v_and_b32_e32 v10, 0x7f, v6
	v_mov_b32_e32 v19, 0
	s_mov_b32 s15, exec_lo
	v_cmpx_ne_u32_e32 0x7f, v10
	s_cbranch_execz .LBB228_1806
; %bb.1803:                             ;   in Loop: Header=BB228_1052 Depth=1
	v_and_b32_e32 v8, 7, v6
	v_lshrrev_b32_e32 v7, 3, v10
	s_mov_b32 s18, exec_lo
	v_cmpx_gt_u32_e32 8, v10
; %bb.1804:                             ;   in Loop: Header=BB228_1052 Depth=1
	v_ffbh_u32_e32 v7, v8
	v_min_u32_e32 v7, 32, v7
	v_subrev_nc_u32_e32 v10, 28, v7
	v_sub_nc_u32_e32 v7, 29, v7
	v_lshlrev_b64 v[18:19], v10, v[8:9]
	v_and_b32_e32 v8, 7, v18
; %bb.1805:                             ;   in Loop: Header=BB228_1052 Depth=1
	s_or_b32 exec_lo, exec_lo, s18
	v_lshlrev_b32_e32 v10, 24, v6
	v_lshlrev_b32_e32 v8, 20, v8
	v_lshl_add_u32 v7, v7, 23, 0x3c000000
	v_and_b32_e32 v10, 0x80000000, v10
	v_or3_b32 v8, v8, v10, v7
	v_mov_b32_e32 v19, v9
	v_mov_b32_e32 v18, v8
.LBB228_1806:                           ;   in Loop: Header=BB228_1052 Depth=1
	s_or_b32 exec_lo, exec_lo, s15
.LBB228_1807:                           ;   in Loop: Header=BB228_1052 Depth=1
	s_or_b32 exec_lo, exec_lo, s13
.LBB228_1808:                           ;   in Loop: Header=BB228_1052 Depth=1
	s_or_b32 exec_lo, exec_lo, s7
	v_cmp_ne_u16_sdwa s4, v6, v9 src0_sel:BYTE_1 src1_sel:DWORD
	s_and_saveexec_b32 s7, s4
	s_cbranch_execz .LBB228_1816
; %bb.1809:                             ;   in Loop: Header=BB228_1052 Depth=1
	v_mov_b32_e32 v10, v9
	v_mov_b32_e32 v21, v11
	v_cmp_ne_u16_sdwa s4, v6, v97 src0_sel:BYTE_1 src1_sel:DWORD
	v_mov_b32_e32 v20, v10
	s_and_saveexec_b32 s13, s4
	s_cbranch_execz .LBB228_1815
; %bb.1810:                             ;   in Loop: Header=BB228_1052 Depth=1
	v_mov_b32_e32 v7, 0xffff
	v_mov_b32_e32 v12, v9
	;; [unrolled: 1-line block ×3, first 2 shown]
	s_mov_b32 s15, exec_lo
	v_and_b32_sdwa v7, v7, v6 dst_sel:DWORD dst_unused:UNUSED_PAD src0_sel:DWORD src1_sel:BYTE_1
	v_mov_b32_e32 v20, v12
	v_and_b32_e32 v10, 0x7f, v7
	v_cmpx_ne_u32_e32 0x7f, v10
	s_cbranch_execz .LBB228_1814
; %bb.1811:                             ;   in Loop: Header=BB228_1052 Depth=1
	v_and_b32_e32 v8, 7, v7
	v_lshrrev_b32_e32 v7, 3, v10
	s_mov_b32 s18, exec_lo
	v_cmpx_gt_u32_e32 8, v10
; %bb.1812:                             ;   in Loop: Header=BB228_1052 Depth=1
	v_ffbh_u32_e32 v7, v8
	v_min_u32_e32 v7, 32, v7
	v_subrev_nc_u32_e32 v10, 28, v7
	v_sub_nc_u32_e32 v7, 29, v7
	v_lshlrev_b64 v[20:21], v10, v[8:9]
	v_and_b32_e32 v8, 7, v20
; %bb.1813:                             ;   in Loop: Header=BB228_1052 Depth=1
	s_or_b32 exec_lo, exec_lo, s18
	v_lshlrev_b32_e32 v10, 16, v6
	v_lshlrev_b32_e32 v8, 20, v8
	v_lshl_add_u32 v7, v7, 23, 0x3c000000
	v_mov_b32_e32 v20, v9
	v_and_b32_e32 v10, 0x80000000, v10
	v_or3_b32 v21, v8, v10, v7
.LBB228_1814:                           ;   in Loop: Header=BB228_1052 Depth=1
	s_or_b32 exec_lo, exec_lo, s15
.LBB228_1815:                           ;   in Loop: Header=BB228_1052 Depth=1
	s_or_b32 exec_lo, exec_lo, s13
.LBB228_1816:                           ;   in Loop: Header=BB228_1052 Depth=1
	s_or_b32 exec_lo, exec_lo, s7
	v_mov_b32_e32 v22, 0
	v_mov_b32_e32 v24, 0
	v_and_b32_sdwa v7, v6, v99 dst_sel:DWORD dst_unused:UNUSED_PAD src0_sel:WORD_1 src1_sel:DWORD
	v_mov_b32_e32 v23, 0
	v_mov_b32_e32 v25, 0
	s_mov_b32 s7, exec_lo
	v_cmpx_ne_u16_e32 0, v7
	s_cbranch_execz .LBB228_1824
; %bb.1817:                             ;   in Loop: Header=BB228_1052 Depth=1
	v_bfrev_b32_e32 v24, 1
	v_mov_b32_e32 v25, 0
	s_mov_b32 s13, exec_lo
	v_cmpx_ne_u16_e32 0x80, v7
	s_cbranch_execz .LBB228_1823
; %bb.1818:                             ;   in Loop: Header=BB228_1052 Depth=1
	v_mov_b32_e32 v24, 0x7f800001
	v_bfe_u32 v10, v6, 16, 7
	v_mov_b32_e32 v25, 0
	s_mov_b32 s15, exec_lo
	v_cmpx_ne_u32_e32 0x7f, v10
	s_cbranch_execz .LBB228_1822
; %bb.1819:                             ;   in Loop: Header=BB228_1052 Depth=1
	v_mov_b32_e32 v7, 7
	s_mov_b32 s18, exec_lo
	v_and_b32_sdwa v8, v6, v7 dst_sel:DWORD dst_unused:UNUSED_PAD src0_sel:WORD_1 src1_sel:DWORD
	v_lshrrev_b32_e32 v7, 3, v10
	v_cmpx_gt_u32_e32 8, v10
; %bb.1820:                             ;   in Loop: Header=BB228_1052 Depth=1
	v_ffbh_u32_e32 v7, v8
	v_min_u32_e32 v7, 32, v7
	v_subrev_nc_u32_e32 v10, 28, v7
	v_sub_nc_u32_e32 v7, 29, v7
	v_lshlrev_b64 v[24:25], v10, v[8:9]
	v_and_b32_e32 v8, 7, v24
; %bb.1821:                             ;   in Loop: Header=BB228_1052 Depth=1
	s_or_b32 exec_lo, exec_lo, s18
	v_mov_b32_e32 v10, 24
	v_lshlrev_b32_e32 v8, 20, v8
	v_lshl_add_u32 v7, v7, 23, 0x3c000000
	v_lshlrev_b32_sdwa v10, v10, v6 dst_sel:DWORD dst_unused:UNUSED_PAD src0_sel:DWORD src1_sel:WORD_1
	v_and_b32_e32 v10, 0x80000000, v10
	v_or3_b32 v8, v8, v10, v7
	v_mov_b32_e32 v25, v9
	v_mov_b32_e32 v24, v8
.LBB228_1822:                           ;   in Loop: Header=BB228_1052 Depth=1
	s_or_b32 exec_lo, exec_lo, s15
.LBB228_1823:                           ;   in Loop: Header=BB228_1052 Depth=1
	s_or_b32 exec_lo, exec_lo, s13
.LBB228_1824:                           ;   in Loop: Header=BB228_1052 Depth=1
	s_or_b32 exec_lo, exec_lo, s7
	s_mov_b32 s7, exec_lo
	v_cmpx_lt_u32_e32 0xffffff, v6
	s_cbranch_execz .LBB228_1832
; %bb.1825:                             ;   in Loop: Header=BB228_1052 Depth=1
	v_mov_b32_e32 v10, v9
	v_mov_b32_e32 v23, v11
	v_cmp_ne_u32_sdwa s4, v6, v97 src0_sel:BYTE_3 src1_sel:DWORD
	v_mov_b32_e32 v22, v10
	s_and_saveexec_b32 s13, s4
	s_cbranch_execz .LBB228_1831
; %bb.1826:                             ;   in Loop: Header=BB228_1052 Depth=1
	v_mov_b32_e32 v12, v9
	v_mov_b32_e32 v23, v13
	v_bfe_u32 v10, v6, 24, 7
	s_mov_b32 s15, exec_lo
	v_mov_b32_e32 v22, v12
	v_cmpx_ne_u32_e32 0x7f, v10
	s_cbranch_execz .LBB228_1830
; %bb.1827:                             ;   in Loop: Header=BB228_1052 Depth=1
	v_mov_b32_e32 v7, 7
	s_mov_b32 s18, exec_lo
	v_and_b32_sdwa v8, v6, v7 dst_sel:DWORD dst_unused:UNUSED_PAD src0_sel:BYTE_3 src1_sel:DWORD
	v_lshrrev_b32_e32 v7, 3, v10
	v_cmpx_gt_u32_e32 8, v10
; %bb.1828:                             ;   in Loop: Header=BB228_1052 Depth=1
	v_ffbh_u32_e32 v7, v8
	v_min_u32_e32 v7, 32, v7
	v_subrev_nc_u32_e32 v10, 28, v7
	v_sub_nc_u32_e32 v7, 29, v7
	v_lshlrev_b64 v[22:23], v10, v[8:9]
	v_and_b32_e32 v8, 7, v22
; %bb.1829:                             ;   in Loop: Header=BB228_1052 Depth=1
	s_or_b32 exec_lo, exec_lo, s18
	v_mov_b32_e32 v10, 24
	v_lshlrev_b32_e32 v8, 20, v8
	v_lshl_add_u32 v7, v7, 23, 0x3c000000
	v_mov_b32_e32 v22, v9
	v_lshlrev_b32_sdwa v6, v10, v6 dst_sel:DWORD dst_unused:UNUSED_PAD src0_sel:DWORD src1_sel:BYTE_3
	v_and_b32_e32 v6, 0x80000000, v6
	v_or3_b32 v23, v8, v6, v7
.LBB228_1830:                           ;   in Loop: Header=BB228_1052 Depth=1
	s_or_b32 exec_lo, exec_lo, s15
.LBB228_1831:                           ;   in Loop: Header=BB228_1052 Depth=1
	s_or_b32 exec_lo, exec_lo, s13
.LBB228_1832:                           ;   in Loop: Header=BB228_1052 Depth=1
	s_or_b32 exec_lo, exec_lo, s7
	v_or_b32_e32 v6, v21, v19
	v_or_b32_e32 v7, v20, v18
	;; [unrolled: 1-line block ×4, first 2 shown]
	v_mul_f32_e32 v92, v114, v6
	v_mul_f32_e32 v91, v96, v7
	v_mul_f32_e32 v90, v96, v8
	v_mul_f32_e32 v101, v114, v10
	s_and_saveexec_b32 s7, vcc_lo
	s_cbranch_execz .LBB228_1834
; %bb.1833:                             ;   in Loop: Header=BB228_1052 Depth=1
	v_cmp_lt_i32_e64 s4, v47, v28
	v_cndmask_b32_e64 v91, 0, v91, s4
	v_cmp_lt_i32_e64 s4, v57, v28
	v_cndmask_b32_e64 v92, 0, v92, s4
	;; [unrolled: 2-line block ×4, first 2 shown]
.LBB228_1834:                           ;   in Loop: Header=BB228_1052 Depth=1
	s_or_b32 exec_lo, exec_lo, s7
	flat_load_dword v6, v[16:17] offset:896
	v_mov_b32_e32 v20, 0
	v_mov_b32_e32 v18, 0
	;; [unrolled: 1-line block ×4, first 2 shown]
	s_waitcnt vmcnt(0) lgkmcnt(0)
	v_cmp_ne_u16_sdwa s4, v6, v9 src0_sel:BYTE_0 src1_sel:DWORD
	s_and_saveexec_b32 s7, s4
	s_cbranch_execz .LBB228_1842
; %bb.1835:                             ;   in Loop: Header=BB228_1052 Depth=1
	v_bfrev_b32_e32 v18, 1
	v_mov_b32_e32 v19, 0
	v_cmp_ne_u16_sdwa s4, v6, v97 src0_sel:BYTE_0 src1_sel:DWORD
	s_and_saveexec_b32 s13, s4
	s_cbranch_execz .LBB228_1841
; %bb.1836:                             ;   in Loop: Header=BB228_1052 Depth=1
	v_mov_b32_e32 v18, 0x7f800001
	v_and_b32_e32 v10, 0x7f, v6
	v_mov_b32_e32 v19, 0
	s_mov_b32 s15, exec_lo
	v_cmpx_ne_u32_e32 0x7f, v10
	s_cbranch_execz .LBB228_1840
; %bb.1837:                             ;   in Loop: Header=BB228_1052 Depth=1
	v_and_b32_e32 v8, 7, v6
	v_lshrrev_b32_e32 v7, 3, v10
	s_mov_b32 s18, exec_lo
	v_cmpx_gt_u32_e32 8, v10
; %bb.1838:                             ;   in Loop: Header=BB228_1052 Depth=1
	v_ffbh_u32_e32 v7, v8
	v_min_u32_e32 v7, 32, v7
	v_subrev_nc_u32_e32 v10, 28, v7
	v_sub_nc_u32_e32 v7, 29, v7
	v_lshlrev_b64 v[18:19], v10, v[8:9]
	v_and_b32_e32 v8, 7, v18
; %bb.1839:                             ;   in Loop: Header=BB228_1052 Depth=1
	s_or_b32 exec_lo, exec_lo, s18
	v_lshlrev_b32_e32 v10, 24, v6
	v_lshlrev_b32_e32 v8, 20, v8
	v_lshl_add_u32 v7, v7, 23, 0x3c000000
	v_and_b32_e32 v10, 0x80000000, v10
	v_or3_b32 v8, v8, v10, v7
	v_mov_b32_e32 v19, v9
	v_mov_b32_e32 v18, v8
.LBB228_1840:                           ;   in Loop: Header=BB228_1052 Depth=1
	s_or_b32 exec_lo, exec_lo, s15
.LBB228_1841:                           ;   in Loop: Header=BB228_1052 Depth=1
	s_or_b32 exec_lo, exec_lo, s13
.LBB228_1842:                           ;   in Loop: Header=BB228_1052 Depth=1
	s_or_b32 exec_lo, exec_lo, s7
	v_cmp_ne_u16_sdwa s4, v6, v9 src0_sel:BYTE_1 src1_sel:DWORD
	s_and_saveexec_b32 s7, s4
	s_cbranch_execz .LBB228_1850
; %bb.1843:                             ;   in Loop: Header=BB228_1052 Depth=1
	v_mov_b32_e32 v10, v9
	v_mov_b32_e32 v21, v11
	v_cmp_ne_u16_sdwa s4, v6, v97 src0_sel:BYTE_1 src1_sel:DWORD
	v_mov_b32_e32 v20, v10
	s_and_saveexec_b32 s13, s4
	s_cbranch_execz .LBB228_1849
; %bb.1844:                             ;   in Loop: Header=BB228_1052 Depth=1
	v_mov_b32_e32 v7, 0xffff
	v_mov_b32_e32 v12, v9
	;; [unrolled: 1-line block ×3, first 2 shown]
	s_mov_b32 s15, exec_lo
	v_and_b32_sdwa v7, v7, v6 dst_sel:DWORD dst_unused:UNUSED_PAD src0_sel:DWORD src1_sel:BYTE_1
	v_mov_b32_e32 v20, v12
	v_and_b32_e32 v10, 0x7f, v7
	v_cmpx_ne_u32_e32 0x7f, v10
	s_cbranch_execz .LBB228_1848
; %bb.1845:                             ;   in Loop: Header=BB228_1052 Depth=1
	v_and_b32_e32 v8, 7, v7
	v_lshrrev_b32_e32 v7, 3, v10
	s_mov_b32 s18, exec_lo
	v_cmpx_gt_u32_e32 8, v10
; %bb.1846:                             ;   in Loop: Header=BB228_1052 Depth=1
	v_ffbh_u32_e32 v7, v8
	v_min_u32_e32 v7, 32, v7
	v_subrev_nc_u32_e32 v10, 28, v7
	v_sub_nc_u32_e32 v7, 29, v7
	v_lshlrev_b64 v[20:21], v10, v[8:9]
	v_and_b32_e32 v8, 7, v20
; %bb.1847:                             ;   in Loop: Header=BB228_1052 Depth=1
	s_or_b32 exec_lo, exec_lo, s18
	v_lshlrev_b32_e32 v10, 16, v6
	v_lshlrev_b32_e32 v8, 20, v8
	v_lshl_add_u32 v7, v7, 23, 0x3c000000
	v_mov_b32_e32 v20, v9
	v_and_b32_e32 v10, 0x80000000, v10
	v_or3_b32 v21, v8, v10, v7
.LBB228_1848:                           ;   in Loop: Header=BB228_1052 Depth=1
	s_or_b32 exec_lo, exec_lo, s15
.LBB228_1849:                           ;   in Loop: Header=BB228_1052 Depth=1
	s_or_b32 exec_lo, exec_lo, s13
.LBB228_1850:                           ;   in Loop: Header=BB228_1052 Depth=1
	s_or_b32 exec_lo, exec_lo, s7
	v_mov_b32_e32 v22, 0
	v_mov_b32_e32 v24, 0
	v_and_b32_sdwa v7, v6, v99 dst_sel:DWORD dst_unused:UNUSED_PAD src0_sel:WORD_1 src1_sel:DWORD
	v_mov_b32_e32 v23, 0
	v_mov_b32_e32 v25, 0
	s_mov_b32 s7, exec_lo
	v_cmpx_ne_u16_e32 0, v7
	s_cbranch_execz .LBB228_1858
; %bb.1851:                             ;   in Loop: Header=BB228_1052 Depth=1
	v_bfrev_b32_e32 v24, 1
	v_mov_b32_e32 v25, 0
	s_mov_b32 s13, exec_lo
	v_cmpx_ne_u16_e32 0x80, v7
	s_cbranch_execz .LBB228_1857
; %bb.1852:                             ;   in Loop: Header=BB228_1052 Depth=1
	v_mov_b32_e32 v24, 0x7f800001
	v_bfe_u32 v10, v6, 16, 7
	v_mov_b32_e32 v25, 0
	s_mov_b32 s15, exec_lo
	v_cmpx_ne_u32_e32 0x7f, v10
	s_cbranch_execz .LBB228_1856
; %bb.1853:                             ;   in Loop: Header=BB228_1052 Depth=1
	v_mov_b32_e32 v7, 7
	s_mov_b32 s18, exec_lo
	v_and_b32_sdwa v8, v6, v7 dst_sel:DWORD dst_unused:UNUSED_PAD src0_sel:WORD_1 src1_sel:DWORD
	v_lshrrev_b32_e32 v7, 3, v10
	v_cmpx_gt_u32_e32 8, v10
; %bb.1854:                             ;   in Loop: Header=BB228_1052 Depth=1
	v_ffbh_u32_e32 v7, v8
	v_min_u32_e32 v7, 32, v7
	v_subrev_nc_u32_e32 v10, 28, v7
	v_sub_nc_u32_e32 v7, 29, v7
	v_lshlrev_b64 v[24:25], v10, v[8:9]
	v_and_b32_e32 v8, 7, v24
; %bb.1855:                             ;   in Loop: Header=BB228_1052 Depth=1
	s_or_b32 exec_lo, exec_lo, s18
	v_mov_b32_e32 v10, 24
	v_lshlrev_b32_e32 v8, 20, v8
	v_lshl_add_u32 v7, v7, 23, 0x3c000000
	v_lshlrev_b32_sdwa v10, v10, v6 dst_sel:DWORD dst_unused:UNUSED_PAD src0_sel:DWORD src1_sel:WORD_1
	v_and_b32_e32 v10, 0x80000000, v10
	v_or3_b32 v8, v8, v10, v7
	v_mov_b32_e32 v25, v9
	v_mov_b32_e32 v24, v8
.LBB228_1856:                           ;   in Loop: Header=BB228_1052 Depth=1
	s_or_b32 exec_lo, exec_lo, s15
.LBB228_1857:                           ;   in Loop: Header=BB228_1052 Depth=1
	s_or_b32 exec_lo, exec_lo, s13
.LBB228_1858:                           ;   in Loop: Header=BB228_1052 Depth=1
	s_or_b32 exec_lo, exec_lo, s7
	s_mov_b32 s7, exec_lo
	v_cmpx_lt_u32_e32 0xffffff, v6
	s_cbranch_execz .LBB228_1866
; %bb.1859:                             ;   in Loop: Header=BB228_1052 Depth=1
	v_mov_b32_e32 v10, v9
	v_mov_b32_e32 v23, v11
	v_cmp_ne_u32_sdwa s4, v6, v97 src0_sel:BYTE_3 src1_sel:DWORD
	v_mov_b32_e32 v22, v10
	s_and_saveexec_b32 s13, s4
	s_cbranch_execz .LBB228_1865
; %bb.1860:                             ;   in Loop: Header=BB228_1052 Depth=1
	v_mov_b32_e32 v12, v9
	v_mov_b32_e32 v23, v13
	v_bfe_u32 v10, v6, 24, 7
	s_mov_b32 s15, exec_lo
	v_mov_b32_e32 v22, v12
	v_cmpx_ne_u32_e32 0x7f, v10
	s_cbranch_execz .LBB228_1864
; %bb.1861:                             ;   in Loop: Header=BB228_1052 Depth=1
	v_mov_b32_e32 v7, 7
	s_mov_b32 s18, exec_lo
	v_and_b32_sdwa v8, v6, v7 dst_sel:DWORD dst_unused:UNUSED_PAD src0_sel:BYTE_3 src1_sel:DWORD
	v_lshrrev_b32_e32 v7, 3, v10
	v_cmpx_gt_u32_e32 8, v10
; %bb.1862:                             ;   in Loop: Header=BB228_1052 Depth=1
	v_ffbh_u32_e32 v7, v8
	v_min_u32_e32 v7, 32, v7
	v_subrev_nc_u32_e32 v10, 28, v7
	v_sub_nc_u32_e32 v7, 29, v7
	v_lshlrev_b64 v[22:23], v10, v[8:9]
	v_and_b32_e32 v8, 7, v22
; %bb.1863:                             ;   in Loop: Header=BB228_1052 Depth=1
	s_or_b32 exec_lo, exec_lo, s18
	v_mov_b32_e32 v10, 24
	v_lshlrev_b32_e32 v8, 20, v8
	v_lshl_add_u32 v7, v7, 23, 0x3c000000
	v_mov_b32_e32 v22, v9
	v_lshlrev_b32_sdwa v6, v10, v6 dst_sel:DWORD dst_unused:UNUSED_PAD src0_sel:DWORD src1_sel:BYTE_3
	v_and_b32_e32 v6, 0x80000000, v6
	v_or3_b32 v23, v8, v6, v7
.LBB228_1864:                           ;   in Loop: Header=BB228_1052 Depth=1
	s_or_b32 exec_lo, exec_lo, s15
.LBB228_1865:                           ;   in Loop: Header=BB228_1052 Depth=1
	s_or_b32 exec_lo, exec_lo, s13
.LBB228_1866:                           ;   in Loop: Header=BB228_1052 Depth=1
	s_or_b32 exec_lo, exec_lo, s7
	v_or_b32_e32 v6, v21, v19
	v_or_b32_e32 v7, v20, v18
	;; [unrolled: 1-line block ×4, first 2 shown]
	v_mul_f32_e32 v104, v114, v6
	v_mul_f32_e32 v95, v96, v7
	;; [unrolled: 1-line block ×4, first 2 shown]
	s_and_saveexec_b32 s7, vcc_lo
	s_cbranch_execz .LBB228_1868
; %bb.1867:                             ;   in Loop: Header=BB228_1052 Depth=1
	v_cmp_lt_i32_e64 s4, v47, v28
	v_cndmask_b32_e64 v95, 0, v95, s4
	v_cmp_lt_i32_e64 s4, v57, v28
	v_cndmask_b32_e64 v104, 0, v104, s4
	;; [unrolled: 2-line block ×4, first 2 shown]
.LBB228_1868:                           ;   in Loop: Header=BB228_1052 Depth=1
	s_or_b32 exec_lo, exec_lo, s7
	flat_load_dword v6, v[16:17] offset:1024
	v_mov_b32_e32 v20, 0
	v_mov_b32_e32 v18, 0
	;; [unrolled: 1-line block ×4, first 2 shown]
	s_waitcnt vmcnt(0) lgkmcnt(0)
	v_cmp_ne_u16_sdwa s4, v6, v9 src0_sel:BYTE_0 src1_sel:DWORD
	s_and_saveexec_b32 s7, s4
	s_cbranch_execz .LBB228_1876
; %bb.1869:                             ;   in Loop: Header=BB228_1052 Depth=1
	v_bfrev_b32_e32 v18, 1
	v_mov_b32_e32 v19, 0
	v_cmp_ne_u16_sdwa s4, v6, v97 src0_sel:BYTE_0 src1_sel:DWORD
	s_and_saveexec_b32 s13, s4
	s_cbranch_execz .LBB228_1875
; %bb.1870:                             ;   in Loop: Header=BB228_1052 Depth=1
	v_mov_b32_e32 v18, 0x7f800001
	v_and_b32_e32 v10, 0x7f, v6
	v_mov_b32_e32 v19, 0
	s_mov_b32 s15, exec_lo
	v_cmpx_ne_u32_e32 0x7f, v10
	s_cbranch_execz .LBB228_1874
; %bb.1871:                             ;   in Loop: Header=BB228_1052 Depth=1
	v_and_b32_e32 v8, 7, v6
	v_lshrrev_b32_e32 v7, 3, v10
	s_mov_b32 s18, exec_lo
	v_cmpx_gt_u32_e32 8, v10
; %bb.1872:                             ;   in Loop: Header=BB228_1052 Depth=1
	v_ffbh_u32_e32 v7, v8
	v_min_u32_e32 v7, 32, v7
	v_subrev_nc_u32_e32 v10, 28, v7
	v_sub_nc_u32_e32 v7, 29, v7
	v_lshlrev_b64 v[18:19], v10, v[8:9]
	v_and_b32_e32 v8, 7, v18
; %bb.1873:                             ;   in Loop: Header=BB228_1052 Depth=1
	s_or_b32 exec_lo, exec_lo, s18
	v_lshlrev_b32_e32 v10, 24, v6
	v_lshlrev_b32_e32 v8, 20, v8
	v_lshl_add_u32 v7, v7, 23, 0x3c000000
	v_and_b32_e32 v10, 0x80000000, v10
	v_or3_b32 v8, v8, v10, v7
	v_mov_b32_e32 v19, v9
	v_mov_b32_e32 v18, v8
.LBB228_1874:                           ;   in Loop: Header=BB228_1052 Depth=1
	s_or_b32 exec_lo, exec_lo, s15
.LBB228_1875:                           ;   in Loop: Header=BB228_1052 Depth=1
	s_or_b32 exec_lo, exec_lo, s13
.LBB228_1876:                           ;   in Loop: Header=BB228_1052 Depth=1
	s_or_b32 exec_lo, exec_lo, s7
	v_cmp_ne_u16_sdwa s4, v6, v9 src0_sel:BYTE_1 src1_sel:DWORD
	s_and_saveexec_b32 s7, s4
	s_cbranch_execz .LBB228_1884
; %bb.1877:                             ;   in Loop: Header=BB228_1052 Depth=1
	v_mov_b32_e32 v10, v9
	v_mov_b32_e32 v21, v11
	v_cmp_ne_u16_sdwa s4, v6, v97 src0_sel:BYTE_1 src1_sel:DWORD
	v_mov_b32_e32 v20, v10
	s_and_saveexec_b32 s13, s4
	s_cbranch_execz .LBB228_1883
; %bb.1878:                             ;   in Loop: Header=BB228_1052 Depth=1
	v_mov_b32_e32 v7, 0xffff
	v_mov_b32_e32 v12, v9
	;; [unrolled: 1-line block ×3, first 2 shown]
	s_mov_b32 s15, exec_lo
	v_and_b32_sdwa v7, v7, v6 dst_sel:DWORD dst_unused:UNUSED_PAD src0_sel:DWORD src1_sel:BYTE_1
	v_mov_b32_e32 v20, v12
	v_and_b32_e32 v10, 0x7f, v7
	v_cmpx_ne_u32_e32 0x7f, v10
	s_cbranch_execz .LBB228_1882
; %bb.1879:                             ;   in Loop: Header=BB228_1052 Depth=1
	v_and_b32_e32 v8, 7, v7
	v_lshrrev_b32_e32 v7, 3, v10
	s_mov_b32 s18, exec_lo
	v_cmpx_gt_u32_e32 8, v10
; %bb.1880:                             ;   in Loop: Header=BB228_1052 Depth=1
	v_ffbh_u32_e32 v7, v8
	v_min_u32_e32 v7, 32, v7
	v_subrev_nc_u32_e32 v10, 28, v7
	v_sub_nc_u32_e32 v7, 29, v7
	v_lshlrev_b64 v[20:21], v10, v[8:9]
	v_and_b32_e32 v8, 7, v20
; %bb.1881:                             ;   in Loop: Header=BB228_1052 Depth=1
	s_or_b32 exec_lo, exec_lo, s18
	v_lshlrev_b32_e32 v10, 16, v6
	v_lshlrev_b32_e32 v8, 20, v8
	v_lshl_add_u32 v7, v7, 23, 0x3c000000
	v_mov_b32_e32 v20, v9
	v_and_b32_e32 v10, 0x80000000, v10
	v_or3_b32 v21, v8, v10, v7
.LBB228_1882:                           ;   in Loop: Header=BB228_1052 Depth=1
	s_or_b32 exec_lo, exec_lo, s15
.LBB228_1883:                           ;   in Loop: Header=BB228_1052 Depth=1
	s_or_b32 exec_lo, exec_lo, s13
.LBB228_1884:                           ;   in Loop: Header=BB228_1052 Depth=1
	s_or_b32 exec_lo, exec_lo, s7
	v_mov_b32_e32 v22, 0
	v_mov_b32_e32 v24, 0
	v_and_b32_sdwa v7, v6, v99 dst_sel:DWORD dst_unused:UNUSED_PAD src0_sel:WORD_1 src1_sel:DWORD
	v_mov_b32_e32 v23, 0
	v_mov_b32_e32 v25, 0
	s_mov_b32 s7, exec_lo
	v_cmpx_ne_u16_e32 0, v7
	s_cbranch_execz .LBB228_1892
; %bb.1885:                             ;   in Loop: Header=BB228_1052 Depth=1
	v_bfrev_b32_e32 v24, 1
	v_mov_b32_e32 v25, 0
	s_mov_b32 s13, exec_lo
	v_cmpx_ne_u16_e32 0x80, v7
	s_cbranch_execz .LBB228_1891
; %bb.1886:                             ;   in Loop: Header=BB228_1052 Depth=1
	v_mov_b32_e32 v24, 0x7f800001
	v_bfe_u32 v10, v6, 16, 7
	v_mov_b32_e32 v25, 0
	s_mov_b32 s15, exec_lo
	v_cmpx_ne_u32_e32 0x7f, v10
	s_cbranch_execz .LBB228_1890
; %bb.1887:                             ;   in Loop: Header=BB228_1052 Depth=1
	v_mov_b32_e32 v7, 7
	s_mov_b32 s18, exec_lo
	v_and_b32_sdwa v8, v6, v7 dst_sel:DWORD dst_unused:UNUSED_PAD src0_sel:WORD_1 src1_sel:DWORD
	v_lshrrev_b32_e32 v7, 3, v10
	v_cmpx_gt_u32_e32 8, v10
; %bb.1888:                             ;   in Loop: Header=BB228_1052 Depth=1
	v_ffbh_u32_e32 v7, v8
	v_min_u32_e32 v7, 32, v7
	v_subrev_nc_u32_e32 v10, 28, v7
	v_sub_nc_u32_e32 v7, 29, v7
	v_lshlrev_b64 v[24:25], v10, v[8:9]
	v_and_b32_e32 v8, 7, v24
; %bb.1889:                             ;   in Loop: Header=BB228_1052 Depth=1
	s_or_b32 exec_lo, exec_lo, s18
	v_mov_b32_e32 v10, 24
	v_lshlrev_b32_e32 v8, 20, v8
	v_lshl_add_u32 v7, v7, 23, 0x3c000000
	v_lshlrev_b32_sdwa v10, v10, v6 dst_sel:DWORD dst_unused:UNUSED_PAD src0_sel:DWORD src1_sel:WORD_1
	v_and_b32_e32 v10, 0x80000000, v10
	v_or3_b32 v8, v8, v10, v7
	v_mov_b32_e32 v25, v9
	v_mov_b32_e32 v24, v8
.LBB228_1890:                           ;   in Loop: Header=BB228_1052 Depth=1
	s_or_b32 exec_lo, exec_lo, s15
.LBB228_1891:                           ;   in Loop: Header=BB228_1052 Depth=1
	s_or_b32 exec_lo, exec_lo, s13
.LBB228_1892:                           ;   in Loop: Header=BB228_1052 Depth=1
	s_or_b32 exec_lo, exec_lo, s7
	s_mov_b32 s7, exec_lo
	v_cmpx_lt_u32_e32 0xffffff, v6
	s_cbranch_execz .LBB228_1900
; %bb.1893:                             ;   in Loop: Header=BB228_1052 Depth=1
	v_mov_b32_e32 v10, v9
	v_mov_b32_e32 v23, v11
	v_cmp_ne_u32_sdwa s4, v6, v97 src0_sel:BYTE_3 src1_sel:DWORD
	v_mov_b32_e32 v22, v10
	s_and_saveexec_b32 s13, s4
	s_cbranch_execz .LBB228_1899
; %bb.1894:                             ;   in Loop: Header=BB228_1052 Depth=1
	v_mov_b32_e32 v12, v9
	v_mov_b32_e32 v23, v13
	v_bfe_u32 v10, v6, 24, 7
	s_mov_b32 s15, exec_lo
	v_mov_b32_e32 v22, v12
	v_cmpx_ne_u32_e32 0x7f, v10
	s_cbranch_execz .LBB228_1898
; %bb.1895:                             ;   in Loop: Header=BB228_1052 Depth=1
	v_mov_b32_e32 v7, 7
	s_mov_b32 s18, exec_lo
	v_and_b32_sdwa v8, v6, v7 dst_sel:DWORD dst_unused:UNUSED_PAD src0_sel:BYTE_3 src1_sel:DWORD
	v_lshrrev_b32_e32 v7, 3, v10
	v_cmpx_gt_u32_e32 8, v10
; %bb.1896:                             ;   in Loop: Header=BB228_1052 Depth=1
	v_ffbh_u32_e32 v7, v8
	v_min_u32_e32 v7, 32, v7
	v_subrev_nc_u32_e32 v10, 28, v7
	v_sub_nc_u32_e32 v7, 29, v7
	v_lshlrev_b64 v[22:23], v10, v[8:9]
	v_and_b32_e32 v8, 7, v22
; %bb.1897:                             ;   in Loop: Header=BB228_1052 Depth=1
	s_or_b32 exec_lo, exec_lo, s18
	v_mov_b32_e32 v10, 24
	v_lshlrev_b32_e32 v8, 20, v8
	v_lshl_add_u32 v7, v7, 23, 0x3c000000
	v_mov_b32_e32 v22, v9
	v_lshlrev_b32_sdwa v6, v10, v6 dst_sel:DWORD dst_unused:UNUSED_PAD src0_sel:DWORD src1_sel:BYTE_3
	v_and_b32_e32 v6, 0x80000000, v6
	v_or3_b32 v23, v8, v6, v7
.LBB228_1898:                           ;   in Loop: Header=BB228_1052 Depth=1
	s_or_b32 exec_lo, exec_lo, s15
.LBB228_1899:                           ;   in Loop: Header=BB228_1052 Depth=1
	s_or_b32 exec_lo, exec_lo, s13
.LBB228_1900:                           ;   in Loop: Header=BB228_1052 Depth=1
	s_or_b32 exec_lo, exec_lo, s7
	v_or_b32_e32 v6, v21, v19
	v_or_b32_e32 v7, v20, v18
	;; [unrolled: 1-line block ×4, first 2 shown]
	v_mul_f32_e32 v108, v114, v6
	v_mul_f32_e32 v107, v96, v7
	;; [unrolled: 1-line block ×4, first 2 shown]
	s_and_saveexec_b32 s7, vcc_lo
	s_cbranch_execz .LBB228_1902
; %bb.1901:                             ;   in Loop: Header=BB228_1052 Depth=1
	v_cmp_lt_i32_e64 s4, v47, v28
	v_cndmask_b32_e64 v107, 0, v107, s4
	v_cmp_lt_i32_e64 s4, v57, v28
	v_cndmask_b32_e64 v108, 0, v108, s4
	;; [unrolled: 2-line block ×4, first 2 shown]
.LBB228_1902:                           ;   in Loop: Header=BB228_1052 Depth=1
	s_or_b32 exec_lo, exec_lo, s7
	flat_load_dword v6, v[16:17] offset:1152
	v_mov_b32_e32 v20, 0
	v_mov_b32_e32 v18, 0
	;; [unrolled: 1-line block ×4, first 2 shown]
	s_waitcnt vmcnt(0) lgkmcnt(0)
	v_cmp_ne_u16_sdwa s4, v6, v9 src0_sel:BYTE_0 src1_sel:DWORD
	s_and_saveexec_b32 s7, s4
	s_cbranch_execz .LBB228_1910
; %bb.1903:                             ;   in Loop: Header=BB228_1052 Depth=1
	v_bfrev_b32_e32 v18, 1
	v_mov_b32_e32 v19, 0
	v_cmp_ne_u16_sdwa s4, v6, v97 src0_sel:BYTE_0 src1_sel:DWORD
	s_and_saveexec_b32 s13, s4
	s_cbranch_execz .LBB228_1909
; %bb.1904:                             ;   in Loop: Header=BB228_1052 Depth=1
	v_mov_b32_e32 v18, 0x7f800001
	v_and_b32_e32 v10, 0x7f, v6
	v_mov_b32_e32 v19, 0
	s_mov_b32 s15, exec_lo
	v_cmpx_ne_u32_e32 0x7f, v10
	s_cbranch_execz .LBB228_1908
; %bb.1905:                             ;   in Loop: Header=BB228_1052 Depth=1
	v_and_b32_e32 v8, 7, v6
	v_lshrrev_b32_e32 v7, 3, v10
	s_mov_b32 s18, exec_lo
	v_cmpx_gt_u32_e32 8, v10
; %bb.1906:                             ;   in Loop: Header=BB228_1052 Depth=1
	v_ffbh_u32_e32 v7, v8
	v_min_u32_e32 v7, 32, v7
	v_subrev_nc_u32_e32 v10, 28, v7
	v_sub_nc_u32_e32 v7, 29, v7
	v_lshlrev_b64 v[18:19], v10, v[8:9]
	v_and_b32_e32 v8, 7, v18
; %bb.1907:                             ;   in Loop: Header=BB228_1052 Depth=1
	s_or_b32 exec_lo, exec_lo, s18
	v_lshlrev_b32_e32 v10, 24, v6
	v_lshlrev_b32_e32 v8, 20, v8
	v_lshl_add_u32 v7, v7, 23, 0x3c000000
	v_and_b32_e32 v10, 0x80000000, v10
	v_or3_b32 v8, v8, v10, v7
	v_mov_b32_e32 v19, v9
	v_mov_b32_e32 v18, v8
.LBB228_1908:                           ;   in Loop: Header=BB228_1052 Depth=1
	s_or_b32 exec_lo, exec_lo, s15
.LBB228_1909:                           ;   in Loop: Header=BB228_1052 Depth=1
	s_or_b32 exec_lo, exec_lo, s13
.LBB228_1910:                           ;   in Loop: Header=BB228_1052 Depth=1
	s_or_b32 exec_lo, exec_lo, s7
	v_cmp_ne_u16_sdwa s4, v6, v9 src0_sel:BYTE_1 src1_sel:DWORD
	s_and_saveexec_b32 s7, s4
	s_cbranch_execz .LBB228_1918
; %bb.1911:                             ;   in Loop: Header=BB228_1052 Depth=1
	v_mov_b32_e32 v10, v9
	v_mov_b32_e32 v21, v11
	v_cmp_ne_u16_sdwa s4, v6, v97 src0_sel:BYTE_1 src1_sel:DWORD
	v_mov_b32_e32 v20, v10
	s_and_saveexec_b32 s13, s4
	s_cbranch_execz .LBB228_1917
; %bb.1912:                             ;   in Loop: Header=BB228_1052 Depth=1
	v_mov_b32_e32 v7, 0xffff
	v_mov_b32_e32 v12, v9
	;; [unrolled: 1-line block ×3, first 2 shown]
	s_mov_b32 s15, exec_lo
	v_and_b32_sdwa v7, v7, v6 dst_sel:DWORD dst_unused:UNUSED_PAD src0_sel:DWORD src1_sel:BYTE_1
	v_mov_b32_e32 v20, v12
	v_and_b32_e32 v10, 0x7f, v7
	v_cmpx_ne_u32_e32 0x7f, v10
	s_cbranch_execz .LBB228_1916
; %bb.1913:                             ;   in Loop: Header=BB228_1052 Depth=1
	v_and_b32_e32 v8, 7, v7
	v_lshrrev_b32_e32 v7, 3, v10
	s_mov_b32 s18, exec_lo
	v_cmpx_gt_u32_e32 8, v10
; %bb.1914:                             ;   in Loop: Header=BB228_1052 Depth=1
	v_ffbh_u32_e32 v7, v8
	v_min_u32_e32 v7, 32, v7
	v_subrev_nc_u32_e32 v10, 28, v7
	v_sub_nc_u32_e32 v7, 29, v7
	v_lshlrev_b64 v[20:21], v10, v[8:9]
	v_and_b32_e32 v8, 7, v20
; %bb.1915:                             ;   in Loop: Header=BB228_1052 Depth=1
	s_or_b32 exec_lo, exec_lo, s18
	v_lshlrev_b32_e32 v10, 16, v6
	v_lshlrev_b32_e32 v8, 20, v8
	v_lshl_add_u32 v7, v7, 23, 0x3c000000
	v_mov_b32_e32 v20, v9
	v_and_b32_e32 v10, 0x80000000, v10
	v_or3_b32 v21, v8, v10, v7
.LBB228_1916:                           ;   in Loop: Header=BB228_1052 Depth=1
	s_or_b32 exec_lo, exec_lo, s15
.LBB228_1917:                           ;   in Loop: Header=BB228_1052 Depth=1
	s_or_b32 exec_lo, exec_lo, s13
.LBB228_1918:                           ;   in Loop: Header=BB228_1052 Depth=1
	s_or_b32 exec_lo, exec_lo, s7
	v_mov_b32_e32 v22, 0
	v_mov_b32_e32 v24, 0
	v_and_b32_sdwa v7, v6, v99 dst_sel:DWORD dst_unused:UNUSED_PAD src0_sel:WORD_1 src1_sel:DWORD
	v_mov_b32_e32 v23, 0
	v_mov_b32_e32 v25, 0
	s_mov_b32 s7, exec_lo
	v_cmpx_ne_u16_e32 0, v7
	s_cbranch_execz .LBB228_1926
; %bb.1919:                             ;   in Loop: Header=BB228_1052 Depth=1
	v_bfrev_b32_e32 v24, 1
	v_mov_b32_e32 v25, 0
	s_mov_b32 s13, exec_lo
	v_cmpx_ne_u16_e32 0x80, v7
	s_cbranch_execz .LBB228_1925
; %bb.1920:                             ;   in Loop: Header=BB228_1052 Depth=1
	v_mov_b32_e32 v24, 0x7f800001
	v_bfe_u32 v10, v6, 16, 7
	v_mov_b32_e32 v25, 0
	s_mov_b32 s15, exec_lo
	v_cmpx_ne_u32_e32 0x7f, v10
	s_cbranch_execz .LBB228_1924
; %bb.1921:                             ;   in Loop: Header=BB228_1052 Depth=1
	v_mov_b32_e32 v7, 7
	s_mov_b32 s18, exec_lo
	v_and_b32_sdwa v8, v6, v7 dst_sel:DWORD dst_unused:UNUSED_PAD src0_sel:WORD_1 src1_sel:DWORD
	v_lshrrev_b32_e32 v7, 3, v10
	v_cmpx_gt_u32_e32 8, v10
; %bb.1922:                             ;   in Loop: Header=BB228_1052 Depth=1
	v_ffbh_u32_e32 v7, v8
	v_min_u32_e32 v7, 32, v7
	v_subrev_nc_u32_e32 v10, 28, v7
	v_sub_nc_u32_e32 v7, 29, v7
	v_lshlrev_b64 v[24:25], v10, v[8:9]
	v_and_b32_e32 v8, 7, v24
; %bb.1923:                             ;   in Loop: Header=BB228_1052 Depth=1
	s_or_b32 exec_lo, exec_lo, s18
	v_mov_b32_e32 v10, 24
	v_lshlrev_b32_e32 v8, 20, v8
	v_lshl_add_u32 v7, v7, 23, 0x3c000000
	v_lshlrev_b32_sdwa v10, v10, v6 dst_sel:DWORD dst_unused:UNUSED_PAD src0_sel:DWORD src1_sel:WORD_1
	v_and_b32_e32 v10, 0x80000000, v10
	v_or3_b32 v8, v8, v10, v7
	v_mov_b32_e32 v25, v9
	v_mov_b32_e32 v24, v8
.LBB228_1924:                           ;   in Loop: Header=BB228_1052 Depth=1
	s_or_b32 exec_lo, exec_lo, s15
.LBB228_1925:                           ;   in Loop: Header=BB228_1052 Depth=1
	s_or_b32 exec_lo, exec_lo, s13
.LBB228_1926:                           ;   in Loop: Header=BB228_1052 Depth=1
	s_or_b32 exec_lo, exec_lo, s7
	s_mov_b32 s7, exec_lo
	v_cmpx_lt_u32_e32 0xffffff, v6
	s_cbranch_execz .LBB228_1934
; %bb.1927:                             ;   in Loop: Header=BB228_1052 Depth=1
	v_mov_b32_e32 v10, v9
	v_mov_b32_e32 v23, v11
	v_cmp_ne_u32_sdwa s4, v6, v97 src0_sel:BYTE_3 src1_sel:DWORD
	v_mov_b32_e32 v22, v10
	s_and_saveexec_b32 s13, s4
	s_cbranch_execz .LBB228_1933
; %bb.1928:                             ;   in Loop: Header=BB228_1052 Depth=1
	v_mov_b32_e32 v12, v9
	v_mov_b32_e32 v23, v13
	v_bfe_u32 v10, v6, 24, 7
	s_mov_b32 s15, exec_lo
	v_mov_b32_e32 v22, v12
	v_cmpx_ne_u32_e32 0x7f, v10
	s_cbranch_execz .LBB228_1932
; %bb.1929:                             ;   in Loop: Header=BB228_1052 Depth=1
	v_mov_b32_e32 v7, 7
	s_mov_b32 s18, exec_lo
	v_and_b32_sdwa v8, v6, v7 dst_sel:DWORD dst_unused:UNUSED_PAD src0_sel:BYTE_3 src1_sel:DWORD
	v_lshrrev_b32_e32 v7, 3, v10
	v_cmpx_gt_u32_e32 8, v10
; %bb.1930:                             ;   in Loop: Header=BB228_1052 Depth=1
	v_ffbh_u32_e32 v7, v8
	v_min_u32_e32 v7, 32, v7
	v_subrev_nc_u32_e32 v10, 28, v7
	v_sub_nc_u32_e32 v7, 29, v7
	v_lshlrev_b64 v[22:23], v10, v[8:9]
	v_and_b32_e32 v8, 7, v22
; %bb.1931:                             ;   in Loop: Header=BB228_1052 Depth=1
	s_or_b32 exec_lo, exec_lo, s18
	v_mov_b32_e32 v10, 24
	v_lshlrev_b32_e32 v8, 20, v8
	v_lshl_add_u32 v7, v7, 23, 0x3c000000
	v_mov_b32_e32 v22, v9
	v_lshlrev_b32_sdwa v6, v10, v6 dst_sel:DWORD dst_unused:UNUSED_PAD src0_sel:DWORD src1_sel:BYTE_3
	v_and_b32_e32 v6, 0x80000000, v6
	v_or3_b32 v23, v8, v6, v7
.LBB228_1932:                           ;   in Loop: Header=BB228_1052 Depth=1
	s_or_b32 exec_lo, exec_lo, s15
.LBB228_1933:                           ;   in Loop: Header=BB228_1052 Depth=1
	s_or_b32 exec_lo, exec_lo, s13
.LBB228_1934:                           ;   in Loop: Header=BB228_1052 Depth=1
	s_or_b32 exec_lo, exec_lo, s7
	v_or_b32_e32 v6, v21, v19
	v_or_b32_e32 v7, v20, v18
	;; [unrolled: 1-line block ×4, first 2 shown]
	v_mul_f32_e32 v120, v114, v6
	v_mul_f32_e32 v111, v96, v7
	v_mul_f32_e32 v110, v96, v8
	v_mul_f32_e32 v109, v114, v10
	s_and_saveexec_b32 s7, vcc_lo
	s_cbranch_execz .LBB228_1936
; %bb.1935:                             ;   in Loop: Header=BB228_1052 Depth=1
	v_cmp_lt_i32_e64 s4, v47, v28
	v_cndmask_b32_e64 v111, 0, v111, s4
	v_cmp_lt_i32_e64 s4, v57, v28
	v_cndmask_b32_e64 v120, 0, v120, s4
	;; [unrolled: 2-line block ×4, first 2 shown]
.LBB228_1936:                           ;   in Loop: Header=BB228_1052 Depth=1
	s_or_b32 exec_lo, exec_lo, s7
	flat_load_dword v6, v[16:17] offset:1280
	v_mov_b32_e32 v20, 0
	v_mov_b32_e32 v18, 0
	;; [unrolled: 1-line block ×4, first 2 shown]
	s_waitcnt vmcnt(0) lgkmcnt(0)
	v_cmp_ne_u16_sdwa s4, v6, v9 src0_sel:BYTE_0 src1_sel:DWORD
	s_and_saveexec_b32 s7, s4
	s_cbranch_execz .LBB228_1944
; %bb.1937:                             ;   in Loop: Header=BB228_1052 Depth=1
	v_bfrev_b32_e32 v18, 1
	v_mov_b32_e32 v19, 0
	v_cmp_ne_u16_sdwa s4, v6, v97 src0_sel:BYTE_0 src1_sel:DWORD
	s_and_saveexec_b32 s13, s4
	s_cbranch_execz .LBB228_1943
; %bb.1938:                             ;   in Loop: Header=BB228_1052 Depth=1
	v_mov_b32_e32 v18, 0x7f800001
	v_and_b32_e32 v10, 0x7f, v6
	v_mov_b32_e32 v19, 0
	s_mov_b32 s15, exec_lo
	v_cmpx_ne_u32_e32 0x7f, v10
	s_cbranch_execz .LBB228_1942
; %bb.1939:                             ;   in Loop: Header=BB228_1052 Depth=1
	v_and_b32_e32 v8, 7, v6
	v_lshrrev_b32_e32 v7, 3, v10
	s_mov_b32 s18, exec_lo
	v_cmpx_gt_u32_e32 8, v10
; %bb.1940:                             ;   in Loop: Header=BB228_1052 Depth=1
	v_ffbh_u32_e32 v7, v8
	v_min_u32_e32 v7, 32, v7
	v_subrev_nc_u32_e32 v10, 28, v7
	v_sub_nc_u32_e32 v7, 29, v7
	v_lshlrev_b64 v[18:19], v10, v[8:9]
	v_and_b32_e32 v8, 7, v18
; %bb.1941:                             ;   in Loop: Header=BB228_1052 Depth=1
	s_or_b32 exec_lo, exec_lo, s18
	v_lshlrev_b32_e32 v10, 24, v6
	v_lshlrev_b32_e32 v8, 20, v8
	v_lshl_add_u32 v7, v7, 23, 0x3c000000
	v_and_b32_e32 v10, 0x80000000, v10
	v_or3_b32 v8, v8, v10, v7
	v_mov_b32_e32 v19, v9
	v_mov_b32_e32 v18, v8
.LBB228_1942:                           ;   in Loop: Header=BB228_1052 Depth=1
	s_or_b32 exec_lo, exec_lo, s15
.LBB228_1943:                           ;   in Loop: Header=BB228_1052 Depth=1
	s_or_b32 exec_lo, exec_lo, s13
.LBB228_1944:                           ;   in Loop: Header=BB228_1052 Depth=1
	s_or_b32 exec_lo, exec_lo, s7
	v_cmp_ne_u16_sdwa s4, v6, v9 src0_sel:BYTE_1 src1_sel:DWORD
	s_and_saveexec_b32 s7, s4
	s_cbranch_execz .LBB228_1952
; %bb.1945:                             ;   in Loop: Header=BB228_1052 Depth=1
	v_mov_b32_e32 v10, v9
	v_mov_b32_e32 v21, v11
	v_cmp_ne_u16_sdwa s4, v6, v97 src0_sel:BYTE_1 src1_sel:DWORD
	v_mov_b32_e32 v20, v10
	s_and_saveexec_b32 s13, s4
	s_cbranch_execz .LBB228_1951
; %bb.1946:                             ;   in Loop: Header=BB228_1052 Depth=1
	v_mov_b32_e32 v7, 0xffff
	v_mov_b32_e32 v12, v9
	v_mov_b32_e32 v21, v13
	s_mov_b32 s15, exec_lo
	v_and_b32_sdwa v7, v7, v6 dst_sel:DWORD dst_unused:UNUSED_PAD src0_sel:DWORD src1_sel:BYTE_1
	v_mov_b32_e32 v20, v12
	v_and_b32_e32 v10, 0x7f, v7
	v_cmpx_ne_u32_e32 0x7f, v10
	s_cbranch_execz .LBB228_1950
; %bb.1947:                             ;   in Loop: Header=BB228_1052 Depth=1
	v_and_b32_e32 v8, 7, v7
	v_lshrrev_b32_e32 v7, 3, v10
	s_mov_b32 s18, exec_lo
	v_cmpx_gt_u32_e32 8, v10
; %bb.1948:                             ;   in Loop: Header=BB228_1052 Depth=1
	v_ffbh_u32_e32 v7, v8
	v_min_u32_e32 v7, 32, v7
	v_subrev_nc_u32_e32 v10, 28, v7
	v_sub_nc_u32_e32 v7, 29, v7
	v_lshlrev_b64 v[20:21], v10, v[8:9]
	v_and_b32_e32 v8, 7, v20
; %bb.1949:                             ;   in Loop: Header=BB228_1052 Depth=1
	s_or_b32 exec_lo, exec_lo, s18
	v_lshlrev_b32_e32 v10, 16, v6
	v_lshlrev_b32_e32 v8, 20, v8
	v_lshl_add_u32 v7, v7, 23, 0x3c000000
	v_mov_b32_e32 v20, v9
	v_and_b32_e32 v10, 0x80000000, v10
	v_or3_b32 v21, v8, v10, v7
.LBB228_1950:                           ;   in Loop: Header=BB228_1052 Depth=1
	s_or_b32 exec_lo, exec_lo, s15
.LBB228_1951:                           ;   in Loop: Header=BB228_1052 Depth=1
	s_or_b32 exec_lo, exec_lo, s13
.LBB228_1952:                           ;   in Loop: Header=BB228_1052 Depth=1
	s_or_b32 exec_lo, exec_lo, s7
	v_mov_b32_e32 v22, 0
	v_mov_b32_e32 v24, 0
	v_and_b32_sdwa v7, v6, v99 dst_sel:DWORD dst_unused:UNUSED_PAD src0_sel:WORD_1 src1_sel:DWORD
	v_mov_b32_e32 v23, 0
	v_mov_b32_e32 v25, 0
	s_mov_b32 s7, exec_lo
	v_cmpx_ne_u16_e32 0, v7
	s_cbranch_execz .LBB228_1960
; %bb.1953:                             ;   in Loop: Header=BB228_1052 Depth=1
	v_bfrev_b32_e32 v24, 1
	v_mov_b32_e32 v25, 0
	s_mov_b32 s13, exec_lo
	v_cmpx_ne_u16_e32 0x80, v7
	s_cbranch_execz .LBB228_1959
; %bb.1954:                             ;   in Loop: Header=BB228_1052 Depth=1
	v_mov_b32_e32 v24, 0x7f800001
	v_bfe_u32 v10, v6, 16, 7
	v_mov_b32_e32 v25, 0
	s_mov_b32 s15, exec_lo
	v_cmpx_ne_u32_e32 0x7f, v10
	s_cbranch_execz .LBB228_1958
; %bb.1955:                             ;   in Loop: Header=BB228_1052 Depth=1
	v_mov_b32_e32 v7, 7
	s_mov_b32 s18, exec_lo
	v_and_b32_sdwa v8, v6, v7 dst_sel:DWORD dst_unused:UNUSED_PAD src0_sel:WORD_1 src1_sel:DWORD
	v_lshrrev_b32_e32 v7, 3, v10
	v_cmpx_gt_u32_e32 8, v10
; %bb.1956:                             ;   in Loop: Header=BB228_1052 Depth=1
	v_ffbh_u32_e32 v7, v8
	v_min_u32_e32 v7, 32, v7
	v_subrev_nc_u32_e32 v10, 28, v7
	v_sub_nc_u32_e32 v7, 29, v7
	v_lshlrev_b64 v[24:25], v10, v[8:9]
	v_and_b32_e32 v8, 7, v24
; %bb.1957:                             ;   in Loop: Header=BB228_1052 Depth=1
	s_or_b32 exec_lo, exec_lo, s18
	v_mov_b32_e32 v10, 24
	v_lshlrev_b32_e32 v8, 20, v8
	v_lshl_add_u32 v7, v7, 23, 0x3c000000
	v_lshlrev_b32_sdwa v10, v10, v6 dst_sel:DWORD dst_unused:UNUSED_PAD src0_sel:DWORD src1_sel:WORD_1
	v_and_b32_e32 v10, 0x80000000, v10
	v_or3_b32 v8, v8, v10, v7
	v_mov_b32_e32 v25, v9
	v_mov_b32_e32 v24, v8
.LBB228_1958:                           ;   in Loop: Header=BB228_1052 Depth=1
	s_or_b32 exec_lo, exec_lo, s15
.LBB228_1959:                           ;   in Loop: Header=BB228_1052 Depth=1
	s_or_b32 exec_lo, exec_lo, s13
.LBB228_1960:                           ;   in Loop: Header=BB228_1052 Depth=1
	s_or_b32 exec_lo, exec_lo, s7
	s_mov_b32 s7, exec_lo
	v_cmpx_lt_u32_e32 0xffffff, v6
	s_cbranch_execz .LBB228_1968
; %bb.1961:                             ;   in Loop: Header=BB228_1052 Depth=1
	v_mov_b32_e32 v10, v9
	v_mov_b32_e32 v23, v11
	v_cmp_ne_u32_sdwa s4, v6, v97 src0_sel:BYTE_3 src1_sel:DWORD
	v_mov_b32_e32 v22, v10
	s_and_saveexec_b32 s13, s4
	s_cbranch_execz .LBB228_1967
; %bb.1962:                             ;   in Loop: Header=BB228_1052 Depth=1
	v_mov_b32_e32 v12, v9
	v_mov_b32_e32 v23, v13
	v_bfe_u32 v10, v6, 24, 7
	s_mov_b32 s15, exec_lo
	v_mov_b32_e32 v22, v12
	v_cmpx_ne_u32_e32 0x7f, v10
	s_cbranch_execz .LBB228_1966
; %bb.1963:                             ;   in Loop: Header=BB228_1052 Depth=1
	v_mov_b32_e32 v7, 7
	s_mov_b32 s18, exec_lo
	v_and_b32_sdwa v8, v6, v7 dst_sel:DWORD dst_unused:UNUSED_PAD src0_sel:BYTE_3 src1_sel:DWORD
	v_lshrrev_b32_e32 v7, 3, v10
	v_cmpx_gt_u32_e32 8, v10
; %bb.1964:                             ;   in Loop: Header=BB228_1052 Depth=1
	v_ffbh_u32_e32 v7, v8
	v_min_u32_e32 v7, 32, v7
	v_subrev_nc_u32_e32 v10, 28, v7
	v_sub_nc_u32_e32 v7, 29, v7
	v_lshlrev_b64 v[22:23], v10, v[8:9]
	v_and_b32_e32 v8, 7, v22
; %bb.1965:                             ;   in Loop: Header=BB228_1052 Depth=1
	s_or_b32 exec_lo, exec_lo, s18
	v_mov_b32_e32 v10, 24
	v_lshlrev_b32_e32 v8, 20, v8
	v_lshl_add_u32 v7, v7, 23, 0x3c000000
	v_mov_b32_e32 v22, v9
	v_lshlrev_b32_sdwa v6, v10, v6 dst_sel:DWORD dst_unused:UNUSED_PAD src0_sel:DWORD src1_sel:BYTE_3
	v_and_b32_e32 v6, 0x80000000, v6
	v_or3_b32 v23, v8, v6, v7
.LBB228_1966:                           ;   in Loop: Header=BB228_1052 Depth=1
	s_or_b32 exec_lo, exec_lo, s15
.LBB228_1967:                           ;   in Loop: Header=BB228_1052 Depth=1
	s_or_b32 exec_lo, exec_lo, s13
.LBB228_1968:                           ;   in Loop: Header=BB228_1052 Depth=1
	s_or_b32 exec_lo, exec_lo, s7
	v_or_b32_e32 v6, v21, v19
	v_or_b32_e32 v7, v20, v18
	;; [unrolled: 1-line block ×4, first 2 shown]
	v_mul_f32_e32 v124, v114, v6
	v_mul_f32_e32 v123, v96, v7
	;; [unrolled: 1-line block ×4, first 2 shown]
	s_and_saveexec_b32 s7, vcc_lo
	s_cbranch_execz .LBB228_1970
; %bb.1969:                             ;   in Loop: Header=BB228_1052 Depth=1
	v_cmp_lt_i32_e64 s4, v47, v28
	v_cndmask_b32_e64 v123, 0, v123, s4
	v_cmp_lt_i32_e64 s4, v57, v28
	v_cndmask_b32_e64 v124, 0, v124, s4
	v_cmp_lt_i32_e64 s4, v56, v28
	v_cndmask_b32_e64 v122, 0, v122, s4
	v_cmp_lt_i32_e64 s4, v112, v28
	v_cndmask_b32_e64 v121, 0, v121, s4
.LBB228_1970:                           ;   in Loop: Header=BB228_1052 Depth=1
	s_or_b32 exec_lo, exec_lo, s7
	flat_load_dword v6, v[16:17] offset:1408
	v_mov_b32_e32 v20, 0
	v_mov_b32_e32 v18, 0
	;; [unrolled: 1-line block ×4, first 2 shown]
	s_waitcnt vmcnt(0) lgkmcnt(0)
	v_cmp_ne_u16_sdwa s4, v6, v9 src0_sel:BYTE_0 src1_sel:DWORD
	s_and_saveexec_b32 s7, s4
	s_cbranch_execz .LBB228_1978
; %bb.1971:                             ;   in Loop: Header=BB228_1052 Depth=1
	v_bfrev_b32_e32 v18, 1
	v_mov_b32_e32 v19, 0
	v_cmp_ne_u16_sdwa s4, v6, v97 src0_sel:BYTE_0 src1_sel:DWORD
	s_and_saveexec_b32 s13, s4
	s_cbranch_execz .LBB228_1977
; %bb.1972:                             ;   in Loop: Header=BB228_1052 Depth=1
	v_mov_b32_e32 v18, 0x7f800001
	v_and_b32_e32 v10, 0x7f, v6
	v_mov_b32_e32 v19, 0
	s_mov_b32 s15, exec_lo
	v_cmpx_ne_u32_e32 0x7f, v10
	s_cbranch_execz .LBB228_1976
; %bb.1973:                             ;   in Loop: Header=BB228_1052 Depth=1
	v_and_b32_e32 v8, 7, v6
	v_lshrrev_b32_e32 v7, 3, v10
	s_mov_b32 s18, exec_lo
	v_cmpx_gt_u32_e32 8, v10
; %bb.1974:                             ;   in Loop: Header=BB228_1052 Depth=1
	v_ffbh_u32_e32 v7, v8
	v_min_u32_e32 v7, 32, v7
	v_subrev_nc_u32_e32 v10, 28, v7
	v_sub_nc_u32_e32 v7, 29, v7
	v_lshlrev_b64 v[18:19], v10, v[8:9]
	v_and_b32_e32 v8, 7, v18
; %bb.1975:                             ;   in Loop: Header=BB228_1052 Depth=1
	s_or_b32 exec_lo, exec_lo, s18
	v_lshlrev_b32_e32 v10, 24, v6
	v_lshlrev_b32_e32 v8, 20, v8
	v_lshl_add_u32 v7, v7, 23, 0x3c000000
	v_and_b32_e32 v10, 0x80000000, v10
	v_or3_b32 v8, v8, v10, v7
	v_mov_b32_e32 v19, v9
	v_mov_b32_e32 v18, v8
.LBB228_1976:                           ;   in Loop: Header=BB228_1052 Depth=1
	s_or_b32 exec_lo, exec_lo, s15
.LBB228_1977:                           ;   in Loop: Header=BB228_1052 Depth=1
	s_or_b32 exec_lo, exec_lo, s13
.LBB228_1978:                           ;   in Loop: Header=BB228_1052 Depth=1
	s_or_b32 exec_lo, exec_lo, s7
	v_cmp_ne_u16_sdwa s4, v6, v9 src0_sel:BYTE_1 src1_sel:DWORD
	s_and_saveexec_b32 s7, s4
	s_cbranch_execz .LBB228_1986
; %bb.1979:                             ;   in Loop: Header=BB228_1052 Depth=1
	v_mov_b32_e32 v10, v9
	v_mov_b32_e32 v21, v11
	v_cmp_ne_u16_sdwa s4, v6, v97 src0_sel:BYTE_1 src1_sel:DWORD
	v_mov_b32_e32 v20, v10
	s_and_saveexec_b32 s13, s4
	s_cbranch_execz .LBB228_1985
; %bb.1980:                             ;   in Loop: Header=BB228_1052 Depth=1
	v_mov_b32_e32 v7, 0xffff
	v_mov_b32_e32 v12, v9
	;; [unrolled: 1-line block ×3, first 2 shown]
	s_mov_b32 s15, exec_lo
	v_and_b32_sdwa v7, v7, v6 dst_sel:DWORD dst_unused:UNUSED_PAD src0_sel:DWORD src1_sel:BYTE_1
	v_mov_b32_e32 v20, v12
	v_and_b32_e32 v10, 0x7f, v7
	v_cmpx_ne_u32_e32 0x7f, v10
	s_cbranch_execz .LBB228_1984
; %bb.1981:                             ;   in Loop: Header=BB228_1052 Depth=1
	v_and_b32_e32 v8, 7, v7
	v_lshrrev_b32_e32 v7, 3, v10
	s_mov_b32 s18, exec_lo
	v_cmpx_gt_u32_e32 8, v10
; %bb.1982:                             ;   in Loop: Header=BB228_1052 Depth=1
	v_ffbh_u32_e32 v7, v8
	v_min_u32_e32 v7, 32, v7
	v_subrev_nc_u32_e32 v10, 28, v7
	v_sub_nc_u32_e32 v7, 29, v7
	v_lshlrev_b64 v[20:21], v10, v[8:9]
	v_and_b32_e32 v8, 7, v20
; %bb.1983:                             ;   in Loop: Header=BB228_1052 Depth=1
	s_or_b32 exec_lo, exec_lo, s18
	v_lshlrev_b32_e32 v10, 16, v6
	v_lshlrev_b32_e32 v8, 20, v8
	v_lshl_add_u32 v7, v7, 23, 0x3c000000
	v_mov_b32_e32 v20, v9
	v_and_b32_e32 v10, 0x80000000, v10
	v_or3_b32 v21, v8, v10, v7
.LBB228_1984:                           ;   in Loop: Header=BB228_1052 Depth=1
	s_or_b32 exec_lo, exec_lo, s15
.LBB228_1985:                           ;   in Loop: Header=BB228_1052 Depth=1
	s_or_b32 exec_lo, exec_lo, s13
.LBB228_1986:                           ;   in Loop: Header=BB228_1052 Depth=1
	s_or_b32 exec_lo, exec_lo, s7
	v_mov_b32_e32 v22, 0
	v_mov_b32_e32 v24, 0
	v_and_b32_sdwa v7, v6, v99 dst_sel:DWORD dst_unused:UNUSED_PAD src0_sel:WORD_1 src1_sel:DWORD
	v_mov_b32_e32 v23, 0
	v_mov_b32_e32 v25, 0
	s_mov_b32 s7, exec_lo
	v_cmpx_ne_u16_e32 0, v7
	s_cbranch_execz .LBB228_1994
; %bb.1987:                             ;   in Loop: Header=BB228_1052 Depth=1
	v_bfrev_b32_e32 v24, 1
	v_mov_b32_e32 v25, 0
	s_mov_b32 s13, exec_lo
	v_cmpx_ne_u16_e32 0x80, v7
	s_cbranch_execz .LBB228_1993
; %bb.1988:                             ;   in Loop: Header=BB228_1052 Depth=1
	v_mov_b32_e32 v24, 0x7f800001
	v_bfe_u32 v10, v6, 16, 7
	v_mov_b32_e32 v25, 0
	s_mov_b32 s15, exec_lo
	v_cmpx_ne_u32_e32 0x7f, v10
	s_cbranch_execz .LBB228_1992
; %bb.1989:                             ;   in Loop: Header=BB228_1052 Depth=1
	v_mov_b32_e32 v7, 7
	s_mov_b32 s18, exec_lo
	v_and_b32_sdwa v8, v6, v7 dst_sel:DWORD dst_unused:UNUSED_PAD src0_sel:WORD_1 src1_sel:DWORD
	v_lshrrev_b32_e32 v7, 3, v10
	v_cmpx_gt_u32_e32 8, v10
; %bb.1990:                             ;   in Loop: Header=BB228_1052 Depth=1
	v_ffbh_u32_e32 v7, v8
	v_min_u32_e32 v7, 32, v7
	v_subrev_nc_u32_e32 v10, 28, v7
	v_sub_nc_u32_e32 v7, 29, v7
	v_lshlrev_b64 v[24:25], v10, v[8:9]
	v_and_b32_e32 v8, 7, v24
; %bb.1991:                             ;   in Loop: Header=BB228_1052 Depth=1
	s_or_b32 exec_lo, exec_lo, s18
	v_mov_b32_e32 v10, 24
	v_lshlrev_b32_e32 v8, 20, v8
	v_lshl_add_u32 v7, v7, 23, 0x3c000000
	v_lshlrev_b32_sdwa v10, v10, v6 dst_sel:DWORD dst_unused:UNUSED_PAD src0_sel:DWORD src1_sel:WORD_1
	v_and_b32_e32 v10, 0x80000000, v10
	v_or3_b32 v8, v8, v10, v7
	v_mov_b32_e32 v25, v9
	v_mov_b32_e32 v24, v8
.LBB228_1992:                           ;   in Loop: Header=BB228_1052 Depth=1
	s_or_b32 exec_lo, exec_lo, s15
.LBB228_1993:                           ;   in Loop: Header=BB228_1052 Depth=1
	s_or_b32 exec_lo, exec_lo, s13
.LBB228_1994:                           ;   in Loop: Header=BB228_1052 Depth=1
	s_or_b32 exec_lo, exec_lo, s7
	s_mov_b32 s7, exec_lo
	v_cmpx_lt_u32_e32 0xffffff, v6
	s_cbranch_execz .LBB228_2002
; %bb.1995:                             ;   in Loop: Header=BB228_1052 Depth=1
	v_mov_b32_e32 v10, v9
	v_mov_b32_e32 v23, v11
	v_cmp_ne_u32_sdwa s4, v6, v97 src0_sel:BYTE_3 src1_sel:DWORD
	v_mov_b32_e32 v22, v10
	s_and_saveexec_b32 s13, s4
	s_cbranch_execz .LBB228_2001
; %bb.1996:                             ;   in Loop: Header=BB228_1052 Depth=1
	v_mov_b32_e32 v12, v9
	v_mov_b32_e32 v23, v13
	v_bfe_u32 v10, v6, 24, 7
	s_mov_b32 s15, exec_lo
	v_mov_b32_e32 v22, v12
	v_cmpx_ne_u32_e32 0x7f, v10
	s_cbranch_execz .LBB228_2000
; %bb.1997:                             ;   in Loop: Header=BB228_1052 Depth=1
	v_mov_b32_e32 v7, 7
	s_mov_b32 s18, exec_lo
	v_and_b32_sdwa v8, v6, v7 dst_sel:DWORD dst_unused:UNUSED_PAD src0_sel:BYTE_3 src1_sel:DWORD
	v_lshrrev_b32_e32 v7, 3, v10
	v_cmpx_gt_u32_e32 8, v10
; %bb.1998:                             ;   in Loop: Header=BB228_1052 Depth=1
	v_ffbh_u32_e32 v7, v8
	v_min_u32_e32 v7, 32, v7
	v_subrev_nc_u32_e32 v10, 28, v7
	v_sub_nc_u32_e32 v7, 29, v7
	v_lshlrev_b64 v[22:23], v10, v[8:9]
	v_and_b32_e32 v8, 7, v22
; %bb.1999:                             ;   in Loop: Header=BB228_1052 Depth=1
	s_or_b32 exec_lo, exec_lo, s18
	v_mov_b32_e32 v10, 24
	v_lshlrev_b32_e32 v8, 20, v8
	v_lshl_add_u32 v7, v7, 23, 0x3c000000
	v_mov_b32_e32 v22, v9
	v_lshlrev_b32_sdwa v6, v10, v6 dst_sel:DWORD dst_unused:UNUSED_PAD src0_sel:DWORD src1_sel:BYTE_3
	v_and_b32_e32 v6, 0x80000000, v6
	v_or3_b32 v23, v8, v6, v7
.LBB228_2000:                           ;   in Loop: Header=BB228_1052 Depth=1
	s_or_b32 exec_lo, exec_lo, s15
.LBB228_2001:                           ;   in Loop: Header=BB228_1052 Depth=1
	s_or_b32 exec_lo, exec_lo, s13
.LBB228_2002:                           ;   in Loop: Header=BB228_1052 Depth=1
	s_or_b32 exec_lo, exec_lo, s7
	v_or_b32_e32 v6, v21, v19
	v_or_b32_e32 v7, v20, v18
	;; [unrolled: 1-line block ×4, first 2 shown]
	v_mul_f32_e32 v126, v114, v6
	v_mul_f32_e32 v102, v96, v7
	;; [unrolled: 1-line block ×4, first 2 shown]
	s_and_saveexec_b32 s7, vcc_lo
	s_cbranch_execz .LBB228_2004
; %bb.2003:                             ;   in Loop: Header=BB228_1052 Depth=1
	v_cmp_lt_i32_e64 s4, v47, v28
	v_cndmask_b32_e64 v102, 0, v102, s4
	v_cmp_lt_i32_e64 s4, v57, v28
	v_cndmask_b32_e64 v126, 0, v126, s4
	;; [unrolled: 2-line block ×4, first 2 shown]
.LBB228_2004:                           ;   in Loop: Header=BB228_1052 Depth=1
	s_or_b32 exec_lo, exec_lo, s7
	flat_load_dword v6, v[16:17] offset:1536
	v_mov_b32_e32 v20, 0
	v_mov_b32_e32 v18, 0
	;; [unrolled: 1-line block ×4, first 2 shown]
	s_waitcnt vmcnt(0) lgkmcnt(0)
	v_cmp_ne_u16_sdwa s4, v6, v9 src0_sel:BYTE_0 src1_sel:DWORD
	s_and_saveexec_b32 s7, s4
	s_cbranch_execz .LBB228_2012
; %bb.2005:                             ;   in Loop: Header=BB228_1052 Depth=1
	v_bfrev_b32_e32 v18, 1
	v_mov_b32_e32 v19, 0
	v_cmp_ne_u16_sdwa s4, v6, v97 src0_sel:BYTE_0 src1_sel:DWORD
	s_and_saveexec_b32 s13, s4
	s_cbranch_execz .LBB228_2011
; %bb.2006:                             ;   in Loop: Header=BB228_1052 Depth=1
	v_mov_b32_e32 v18, 0x7f800001
	v_and_b32_e32 v10, 0x7f, v6
	v_mov_b32_e32 v19, 0
	s_mov_b32 s15, exec_lo
	v_cmpx_ne_u32_e32 0x7f, v10
	s_cbranch_execz .LBB228_2010
; %bb.2007:                             ;   in Loop: Header=BB228_1052 Depth=1
	v_and_b32_e32 v8, 7, v6
	v_lshrrev_b32_e32 v7, 3, v10
	s_mov_b32 s18, exec_lo
	v_cmpx_gt_u32_e32 8, v10
; %bb.2008:                             ;   in Loop: Header=BB228_1052 Depth=1
	v_ffbh_u32_e32 v7, v8
	v_min_u32_e32 v7, 32, v7
	v_subrev_nc_u32_e32 v10, 28, v7
	v_sub_nc_u32_e32 v7, 29, v7
	v_lshlrev_b64 v[18:19], v10, v[8:9]
	v_and_b32_e32 v8, 7, v18
; %bb.2009:                             ;   in Loop: Header=BB228_1052 Depth=1
	s_or_b32 exec_lo, exec_lo, s18
	v_lshlrev_b32_e32 v10, 24, v6
	v_lshlrev_b32_e32 v8, 20, v8
	v_lshl_add_u32 v7, v7, 23, 0x3c000000
	v_and_b32_e32 v10, 0x80000000, v10
	v_or3_b32 v8, v8, v10, v7
	v_mov_b32_e32 v19, v9
	v_mov_b32_e32 v18, v8
.LBB228_2010:                           ;   in Loop: Header=BB228_1052 Depth=1
	s_or_b32 exec_lo, exec_lo, s15
.LBB228_2011:                           ;   in Loop: Header=BB228_1052 Depth=1
	s_or_b32 exec_lo, exec_lo, s13
.LBB228_2012:                           ;   in Loop: Header=BB228_1052 Depth=1
	s_or_b32 exec_lo, exec_lo, s7
	v_cmp_ne_u16_sdwa s4, v6, v9 src0_sel:BYTE_1 src1_sel:DWORD
	s_and_saveexec_b32 s7, s4
	s_cbranch_execz .LBB228_2020
; %bb.2013:                             ;   in Loop: Header=BB228_1052 Depth=1
	v_mov_b32_e32 v10, v9
	v_mov_b32_e32 v21, v11
	v_cmp_ne_u16_sdwa s4, v6, v97 src0_sel:BYTE_1 src1_sel:DWORD
	v_mov_b32_e32 v20, v10
	s_and_saveexec_b32 s13, s4
	s_cbranch_execz .LBB228_2019
; %bb.2014:                             ;   in Loop: Header=BB228_1052 Depth=1
	v_mov_b32_e32 v7, 0xffff
	v_mov_b32_e32 v12, v9
	;; [unrolled: 1-line block ×3, first 2 shown]
	s_mov_b32 s15, exec_lo
	v_and_b32_sdwa v7, v7, v6 dst_sel:DWORD dst_unused:UNUSED_PAD src0_sel:DWORD src1_sel:BYTE_1
	v_mov_b32_e32 v20, v12
	v_and_b32_e32 v10, 0x7f, v7
	v_cmpx_ne_u32_e32 0x7f, v10
	s_cbranch_execz .LBB228_2018
; %bb.2015:                             ;   in Loop: Header=BB228_1052 Depth=1
	v_and_b32_e32 v8, 7, v7
	v_lshrrev_b32_e32 v7, 3, v10
	s_mov_b32 s18, exec_lo
	v_cmpx_gt_u32_e32 8, v10
; %bb.2016:                             ;   in Loop: Header=BB228_1052 Depth=1
	v_ffbh_u32_e32 v7, v8
	v_min_u32_e32 v7, 32, v7
	v_subrev_nc_u32_e32 v10, 28, v7
	v_sub_nc_u32_e32 v7, 29, v7
	v_lshlrev_b64 v[20:21], v10, v[8:9]
	v_and_b32_e32 v8, 7, v20
; %bb.2017:                             ;   in Loop: Header=BB228_1052 Depth=1
	s_or_b32 exec_lo, exec_lo, s18
	v_lshlrev_b32_e32 v10, 16, v6
	v_lshlrev_b32_e32 v8, 20, v8
	v_lshl_add_u32 v7, v7, 23, 0x3c000000
	v_mov_b32_e32 v20, v9
	v_and_b32_e32 v10, 0x80000000, v10
	v_or3_b32 v21, v8, v10, v7
.LBB228_2018:                           ;   in Loop: Header=BB228_1052 Depth=1
	s_or_b32 exec_lo, exec_lo, s15
.LBB228_2019:                           ;   in Loop: Header=BB228_1052 Depth=1
	s_or_b32 exec_lo, exec_lo, s13
.LBB228_2020:                           ;   in Loop: Header=BB228_1052 Depth=1
	s_or_b32 exec_lo, exec_lo, s7
	v_mov_b32_e32 v22, 0
	v_mov_b32_e32 v24, 0
	v_and_b32_sdwa v7, v6, v99 dst_sel:DWORD dst_unused:UNUSED_PAD src0_sel:WORD_1 src1_sel:DWORD
	v_mov_b32_e32 v23, 0
	v_mov_b32_e32 v25, 0
	s_mov_b32 s7, exec_lo
	v_cmpx_ne_u16_e32 0, v7
	s_cbranch_execz .LBB228_2028
; %bb.2021:                             ;   in Loop: Header=BB228_1052 Depth=1
	v_bfrev_b32_e32 v24, 1
	v_mov_b32_e32 v25, 0
	s_mov_b32 s13, exec_lo
	v_cmpx_ne_u16_e32 0x80, v7
	s_cbranch_execz .LBB228_2027
; %bb.2022:                             ;   in Loop: Header=BB228_1052 Depth=1
	v_mov_b32_e32 v24, 0x7f800001
	v_bfe_u32 v10, v6, 16, 7
	v_mov_b32_e32 v25, 0
	s_mov_b32 s15, exec_lo
	v_cmpx_ne_u32_e32 0x7f, v10
	s_cbranch_execz .LBB228_2026
; %bb.2023:                             ;   in Loop: Header=BB228_1052 Depth=1
	v_mov_b32_e32 v7, 7
	s_mov_b32 s18, exec_lo
	v_and_b32_sdwa v8, v6, v7 dst_sel:DWORD dst_unused:UNUSED_PAD src0_sel:WORD_1 src1_sel:DWORD
	v_lshrrev_b32_e32 v7, 3, v10
	v_cmpx_gt_u32_e32 8, v10
; %bb.2024:                             ;   in Loop: Header=BB228_1052 Depth=1
	v_ffbh_u32_e32 v7, v8
	v_min_u32_e32 v7, 32, v7
	v_subrev_nc_u32_e32 v10, 28, v7
	v_sub_nc_u32_e32 v7, 29, v7
	v_lshlrev_b64 v[24:25], v10, v[8:9]
	v_and_b32_e32 v8, 7, v24
; %bb.2025:                             ;   in Loop: Header=BB228_1052 Depth=1
	s_or_b32 exec_lo, exec_lo, s18
	v_mov_b32_e32 v10, 24
	v_lshlrev_b32_e32 v8, 20, v8
	v_lshl_add_u32 v7, v7, 23, 0x3c000000
	v_lshlrev_b32_sdwa v10, v10, v6 dst_sel:DWORD dst_unused:UNUSED_PAD src0_sel:DWORD src1_sel:WORD_1
	v_and_b32_e32 v10, 0x80000000, v10
	v_or3_b32 v8, v8, v10, v7
	v_mov_b32_e32 v25, v9
	v_mov_b32_e32 v24, v8
.LBB228_2026:                           ;   in Loop: Header=BB228_1052 Depth=1
	s_or_b32 exec_lo, exec_lo, s15
.LBB228_2027:                           ;   in Loop: Header=BB228_1052 Depth=1
	s_or_b32 exec_lo, exec_lo, s13
.LBB228_2028:                           ;   in Loop: Header=BB228_1052 Depth=1
	s_or_b32 exec_lo, exec_lo, s7
	s_mov_b32 s7, exec_lo
	v_cmpx_lt_u32_e32 0xffffff, v6
	s_cbranch_execz .LBB228_2036
; %bb.2029:                             ;   in Loop: Header=BB228_1052 Depth=1
	v_mov_b32_e32 v10, v9
	v_mov_b32_e32 v23, v11
	v_cmp_ne_u32_sdwa s4, v6, v97 src0_sel:BYTE_3 src1_sel:DWORD
	v_mov_b32_e32 v22, v10
	s_and_saveexec_b32 s13, s4
	s_cbranch_execz .LBB228_2035
; %bb.2030:                             ;   in Loop: Header=BB228_1052 Depth=1
	v_mov_b32_e32 v12, v9
	v_mov_b32_e32 v23, v13
	v_bfe_u32 v10, v6, 24, 7
	s_mov_b32 s15, exec_lo
	v_mov_b32_e32 v22, v12
	v_cmpx_ne_u32_e32 0x7f, v10
	s_cbranch_execz .LBB228_2034
; %bb.2031:                             ;   in Loop: Header=BB228_1052 Depth=1
	v_mov_b32_e32 v7, 7
	s_mov_b32 s18, exec_lo
	v_and_b32_sdwa v8, v6, v7 dst_sel:DWORD dst_unused:UNUSED_PAD src0_sel:BYTE_3 src1_sel:DWORD
	v_lshrrev_b32_e32 v7, 3, v10
	v_cmpx_gt_u32_e32 8, v10
; %bb.2032:                             ;   in Loop: Header=BB228_1052 Depth=1
	v_ffbh_u32_e32 v7, v8
	v_min_u32_e32 v7, 32, v7
	v_subrev_nc_u32_e32 v10, 28, v7
	v_sub_nc_u32_e32 v7, 29, v7
	v_lshlrev_b64 v[22:23], v10, v[8:9]
	v_and_b32_e32 v8, 7, v22
; %bb.2033:                             ;   in Loop: Header=BB228_1052 Depth=1
	s_or_b32 exec_lo, exec_lo, s18
	v_mov_b32_e32 v10, 24
	v_lshlrev_b32_e32 v8, 20, v8
	v_lshl_add_u32 v7, v7, 23, 0x3c000000
	v_mov_b32_e32 v22, v9
	v_lshlrev_b32_sdwa v6, v10, v6 dst_sel:DWORD dst_unused:UNUSED_PAD src0_sel:DWORD src1_sel:BYTE_3
	v_and_b32_e32 v6, 0x80000000, v6
	v_or3_b32 v23, v8, v6, v7
.LBB228_2034:                           ;   in Loop: Header=BB228_1052 Depth=1
	s_or_b32 exec_lo, exec_lo, s15
.LBB228_2035:                           ;   in Loop: Header=BB228_1052 Depth=1
	s_or_b32 exec_lo, exec_lo, s13
.LBB228_2036:                           ;   in Loop: Header=BB228_1052 Depth=1
	s_or_b32 exec_lo, exec_lo, s7
	v_or_b32_e32 v6, v21, v19
	v_or_b32_e32 v7, v20, v18
	;; [unrolled: 1-line block ×4, first 2 shown]
	v_mul_f32_e32 v103, v114, v6
	v_mul_f32_e32 v7, v96, v7
	;; [unrolled: 1-line block ×4, first 2 shown]
	s_and_saveexec_b32 s7, vcc_lo
	s_cbranch_execz .LBB228_2038
; %bb.2037:                             ;   in Loop: Header=BB228_1052 Depth=1
	v_cmp_lt_i32_e64 s4, v47, v28
	v_cndmask_b32_e64 v7, 0, v7, s4
	v_cmp_lt_i32_e64 s4, v57, v28
	v_cndmask_b32_e64 v103, 0, v103, s4
	;; [unrolled: 2-line block ×4, first 2 shown]
.LBB228_2038:                           ;   in Loop: Header=BB228_1052 Depth=1
	s_or_b32 exec_lo, exec_lo, s7
	flat_load_dword v26, v[16:17] offset:1664
	v_mov_b32_e32 v20, 0
	v_mov_b32_e32 v18, 0
	v_mov_b32_e32 v21, 0
	v_mov_b32_e32 v19, 0
	s_waitcnt vmcnt(0) lgkmcnt(0)
	v_cmp_ne_u16_sdwa s4, v26, v9 src0_sel:BYTE_0 src1_sel:DWORD
	s_and_saveexec_b32 s7, s4
	s_cbranch_execz .LBB228_2046
; %bb.2039:                             ;   in Loop: Header=BB228_1052 Depth=1
	v_bfrev_b32_e32 v18, 1
	v_mov_b32_e32 v19, 0
	v_cmp_ne_u16_sdwa s4, v26, v97 src0_sel:BYTE_0 src1_sel:DWORD
	s_and_saveexec_b32 s13, s4
	s_cbranch_execz .LBB228_2045
; %bb.2040:                             ;   in Loop: Header=BB228_1052 Depth=1
	v_mov_b32_e32 v18, 0x7f800001
	v_and_b32_e32 v12, 0x7f, v26
	v_mov_b32_e32 v19, 0
	s_mov_b32 s15, exec_lo
	v_cmpx_ne_u32_e32 0x7f, v12
	s_cbranch_execz .LBB228_2044
; %bb.2041:                             ;   in Loop: Header=BB228_1052 Depth=1
	v_and_b32_e32 v8, 7, v26
	v_lshrrev_b32_e32 v10, 3, v12
	s_mov_b32 s18, exec_lo
	v_cmpx_gt_u32_e32 8, v12
; %bb.2042:                             ;   in Loop: Header=BB228_1052 Depth=1
	v_ffbh_u32_e32 v10, v8
	v_min_u32_e32 v10, 32, v10
	v_subrev_nc_u32_e32 v12, 28, v10
	v_sub_nc_u32_e32 v10, 29, v10
	v_lshlrev_b64 v[18:19], v12, v[8:9]
	v_and_b32_e32 v8, 7, v18
; %bb.2043:                             ;   in Loop: Header=BB228_1052 Depth=1
	s_or_b32 exec_lo, exec_lo, s18
	v_lshlrev_b32_e32 v12, 24, v26
	v_lshlrev_b32_e32 v8, 20, v8
	v_lshl_add_u32 v10, v10, 23, 0x3c000000
	v_and_b32_e32 v12, 0x80000000, v12
	v_or3_b32 v8, v8, v12, v10
	v_mov_b32_e32 v19, v9
	v_mov_b32_e32 v18, v8
.LBB228_2044:                           ;   in Loop: Header=BB228_1052 Depth=1
	s_or_b32 exec_lo, exec_lo, s15
.LBB228_2045:                           ;   in Loop: Header=BB228_1052 Depth=1
	s_or_b32 exec_lo, exec_lo, s13
.LBB228_2046:                           ;   in Loop: Header=BB228_1052 Depth=1
	s_or_b32 exec_lo, exec_lo, s7
	v_cmp_ne_u16_sdwa s4, v26, v9 src0_sel:BYTE_1 src1_sel:DWORD
	s_and_saveexec_b32 s7, s4
	s_cbranch_execz .LBB228_2054
; %bb.2047:                             ;   in Loop: Header=BB228_1052 Depth=1
	v_mov_b32_e32 v10, v9
	v_mov_b32_e32 v21, v11
	v_cmp_ne_u16_sdwa s4, v26, v97 src0_sel:BYTE_1 src1_sel:DWORD
	v_mov_b32_e32 v20, v10
	s_and_saveexec_b32 s13, s4
	s_cbranch_execz .LBB228_2053
; %bb.2048:                             ;   in Loop: Header=BB228_1052 Depth=1
	v_mov_b32_e32 v8, 0xffff
	v_mov_b32_e32 v12, v9
	;; [unrolled: 1-line block ×3, first 2 shown]
	s_mov_b32 s15, exec_lo
	v_and_b32_sdwa v8, v8, v26 dst_sel:DWORD dst_unused:UNUSED_PAD src0_sel:DWORD src1_sel:BYTE_1
	v_mov_b32_e32 v20, v12
	v_and_b32_e32 v22, 0x7f, v8
	v_cmpx_ne_u32_e32 0x7f, v22
	s_cbranch_execz .LBB228_2052
; %bb.2049:                             ;   in Loop: Header=BB228_1052 Depth=1
	v_and_b32_e32 v8, 7, v8
	v_lshrrev_b32_e32 v10, 3, v22
	s_mov_b32 s18, exec_lo
	v_cmpx_gt_u32_e32 8, v22
; %bb.2050:                             ;   in Loop: Header=BB228_1052 Depth=1
	v_ffbh_u32_e32 v10, v8
	v_min_u32_e32 v10, 32, v10
	v_subrev_nc_u32_e32 v12, 28, v10
	v_sub_nc_u32_e32 v10, 29, v10
	v_lshlrev_b64 v[20:21], v12, v[8:9]
	v_and_b32_e32 v8, 7, v20
; %bb.2051:                             ;   in Loop: Header=BB228_1052 Depth=1
	s_or_b32 exec_lo, exec_lo, s18
	v_lshlrev_b32_e32 v12, 16, v26
	v_lshlrev_b32_e32 v8, 20, v8
	v_lshl_add_u32 v10, v10, 23, 0x3c000000
	v_mov_b32_e32 v20, v9
	v_and_b32_e32 v12, 0x80000000, v12
	v_or3_b32 v21, v8, v12, v10
.LBB228_2052:                           ;   in Loop: Header=BB228_1052 Depth=1
	s_or_b32 exec_lo, exec_lo, s15
.LBB228_2053:                           ;   in Loop: Header=BB228_1052 Depth=1
	s_or_b32 exec_lo, exec_lo, s13
.LBB228_2054:                           ;   in Loop: Header=BB228_1052 Depth=1
	s_or_b32 exec_lo, exec_lo, s7
	v_mov_b32_e32 v22, 0
	v_mov_b32_e32 v24, 0
	v_and_b32_sdwa v8, v26, v99 dst_sel:DWORD dst_unused:UNUSED_PAD src0_sel:WORD_1 src1_sel:DWORD
	v_mov_b32_e32 v23, 0
	v_mov_b32_e32 v25, 0
	s_mov_b32 s7, exec_lo
	v_cmpx_ne_u16_e32 0, v8
	s_cbranch_execz .LBB228_2062
; %bb.2055:                             ;   in Loop: Header=BB228_1052 Depth=1
	v_bfrev_b32_e32 v24, 1
	v_mov_b32_e32 v25, 0
	s_mov_b32 s13, exec_lo
	v_cmpx_ne_u16_e32 0x80, v8
	s_cbranch_execz .LBB228_2061
; %bb.2056:                             ;   in Loop: Header=BB228_1052 Depth=1
	v_mov_b32_e32 v24, 0x7f800001
	v_bfe_u32 v12, v26, 16, 7
	v_mov_b32_e32 v25, 0
	s_mov_b32 s15, exec_lo
	v_cmpx_ne_u32_e32 0x7f, v12
	s_cbranch_execz .LBB228_2060
; %bb.2057:                             ;   in Loop: Header=BB228_1052 Depth=1
	v_mov_b32_e32 v8, 7
	v_lshrrev_b32_e32 v10, 3, v12
	s_mov_b32 s18, exec_lo
	v_and_b32_sdwa v8, v26, v8 dst_sel:DWORD dst_unused:UNUSED_PAD src0_sel:WORD_1 src1_sel:DWORD
	v_cmpx_gt_u32_e32 8, v12
; %bb.2058:                             ;   in Loop: Header=BB228_1052 Depth=1
	v_ffbh_u32_e32 v10, v8
	v_min_u32_e32 v10, 32, v10
	v_subrev_nc_u32_e32 v12, 28, v10
	v_sub_nc_u32_e32 v10, 29, v10
	v_lshlrev_b64 v[24:25], v12, v[8:9]
	v_and_b32_e32 v8, 7, v24
; %bb.2059:                             ;   in Loop: Header=BB228_1052 Depth=1
	s_or_b32 exec_lo, exec_lo, s18
	v_mov_b32_e32 v12, 24
	v_lshlrev_b32_e32 v8, 20, v8
	v_lshl_add_u32 v10, v10, 23, 0x3c000000
	v_lshlrev_b32_sdwa v12, v12, v26 dst_sel:DWORD dst_unused:UNUSED_PAD src0_sel:DWORD src1_sel:WORD_1
	v_and_b32_e32 v12, 0x80000000, v12
	v_or3_b32 v8, v8, v12, v10
	v_mov_b32_e32 v25, v9
	v_mov_b32_e32 v24, v8
.LBB228_2060:                           ;   in Loop: Header=BB228_1052 Depth=1
	s_or_b32 exec_lo, exec_lo, s15
.LBB228_2061:                           ;   in Loop: Header=BB228_1052 Depth=1
	s_or_b32 exec_lo, exec_lo, s13
.LBB228_2062:                           ;   in Loop: Header=BB228_1052 Depth=1
	s_or_b32 exec_lo, exec_lo, s7
	s_mov_b32 s7, exec_lo
	v_cmpx_lt_u32_e32 0xffffff, v26
	s_cbranch_execz .LBB228_2070
; %bb.2063:                             ;   in Loop: Header=BB228_1052 Depth=1
	v_mov_b32_e32 v10, v9
	v_mov_b32_e32 v23, v11
	v_cmp_ne_u32_sdwa s4, v26, v97 src0_sel:BYTE_3 src1_sel:DWORD
	v_mov_b32_e32 v22, v10
	s_and_saveexec_b32 s13, s4
	s_cbranch_execz .LBB228_2069
; %bb.2064:                             ;   in Loop: Header=BB228_1052 Depth=1
	v_mov_b32_e32 v12, v9
	v_mov_b32_e32 v23, v13
	v_bfe_u32 v27, v26, 24, 7
	s_mov_b32 s15, exec_lo
	v_mov_b32_e32 v22, v12
	v_cmpx_ne_u32_e32 0x7f, v27
	s_cbranch_execz .LBB228_2068
; %bb.2065:                             ;   in Loop: Header=BB228_1052 Depth=1
	v_mov_b32_e32 v8, 7
	v_lshrrev_b32_e32 v10, 3, v27
	s_mov_b32 s18, exec_lo
	v_and_b32_sdwa v8, v26, v8 dst_sel:DWORD dst_unused:UNUSED_PAD src0_sel:BYTE_3 src1_sel:DWORD
	v_cmpx_gt_u32_e32 8, v27
; %bb.2066:                             ;   in Loop: Header=BB228_1052 Depth=1
	v_ffbh_u32_e32 v10, v8
	v_min_u32_e32 v10, 32, v10
	v_subrev_nc_u32_e32 v12, 28, v10
	v_sub_nc_u32_e32 v10, 29, v10
	v_lshlrev_b64 v[22:23], v12, v[8:9]
	v_and_b32_e32 v8, 7, v22
; %bb.2067:                             ;   in Loop: Header=BB228_1052 Depth=1
	s_or_b32 exec_lo, exec_lo, s18
	v_mov_b32_e32 v12, 24
	v_lshlrev_b32_e32 v8, 20, v8
	v_lshl_add_u32 v10, v10, 23, 0x3c000000
	v_mov_b32_e32 v22, v9
	v_lshlrev_b32_sdwa v12, v12, v26 dst_sel:DWORD dst_unused:UNUSED_PAD src0_sel:DWORD src1_sel:BYTE_3
	v_and_b32_e32 v12, 0x80000000, v12
	v_or3_b32 v23, v8, v12, v10
.LBB228_2068:                           ;   in Loop: Header=BB228_1052 Depth=1
	s_or_b32 exec_lo, exec_lo, s15
.LBB228_2069:                           ;   in Loop: Header=BB228_1052 Depth=1
	s_or_b32 exec_lo, exec_lo, s13
.LBB228_2070:                           ;   in Loop: Header=BB228_1052 Depth=1
	s_or_b32 exec_lo, exec_lo, s7
	v_or_b32_e32 v8, v21, v19
	v_or_b32_e32 v10, v20, v18
	;; [unrolled: 1-line block ×4, first 2 shown]
	v_mul_f32_e32 v26, v114, v8
	v_mul_f32_e32 v30, v96, v10
	;; [unrolled: 1-line block ×4, first 2 shown]
	s_and_saveexec_b32 s7, vcc_lo
	s_cbranch_execz .LBB228_2072
; %bb.2071:                             ;   in Loop: Header=BB228_1052 Depth=1
	v_cmp_lt_i32_e64 s4, v47, v28
	v_cndmask_b32_e64 v30, 0, v30, s4
	v_cmp_lt_i32_e64 s4, v57, v28
	v_cndmask_b32_e64 v26, 0, v26, s4
	;; [unrolled: 2-line block ×4, first 2 shown]
.LBB228_2072:                           ;   in Loop: Header=BB228_1052 Depth=1
	s_or_b32 exec_lo, exec_lo, s7
	flat_load_dword v27, v[16:17] offset:1792
	v_mov_b32_e32 v18, 0
	v_mov_b32_e32 v16, 0
	;; [unrolled: 1-line block ×4, first 2 shown]
	s_waitcnt vmcnt(0) lgkmcnt(0)
	v_cmp_ne_u16_sdwa s4, v27, v9 src0_sel:BYTE_0 src1_sel:DWORD
	s_and_saveexec_b32 s7, s4
	s_cbranch_execz .LBB228_2080
; %bb.2073:                             ;   in Loop: Header=BB228_1052 Depth=1
	v_bfrev_b32_e32 v16, 1
	v_mov_b32_e32 v17, 0
	v_cmp_ne_u16_sdwa s4, v27, v97 src0_sel:BYTE_0 src1_sel:DWORD
	s_and_saveexec_b32 s13, s4
	s_cbranch_execz .LBB228_2079
; %bb.2074:                             ;   in Loop: Header=BB228_1052 Depth=1
	v_mov_b32_e32 v16, 0x7f800001
	v_and_b32_e32 v12, 0x7f, v27
	v_mov_b32_e32 v17, 0
	s_mov_b32 s15, exec_lo
	v_cmpx_ne_u32_e32 0x7f, v12
	s_cbranch_execz .LBB228_2078
; %bb.2075:                             ;   in Loop: Header=BB228_1052 Depth=1
	v_and_b32_e32 v8, 7, v27
	v_lshrrev_b32_e32 v10, 3, v12
	s_mov_b32 s18, exec_lo
	v_cmpx_gt_u32_e32 8, v12
; %bb.2076:                             ;   in Loop: Header=BB228_1052 Depth=1
	v_ffbh_u32_e32 v10, v8
	v_min_u32_e32 v10, 32, v10
	v_subrev_nc_u32_e32 v12, 28, v10
	v_sub_nc_u32_e32 v10, 29, v10
	v_lshlrev_b64 v[16:17], v12, v[8:9]
	v_and_b32_e32 v8, 7, v16
; %bb.2077:                             ;   in Loop: Header=BB228_1052 Depth=1
	s_or_b32 exec_lo, exec_lo, s18
	v_lshlrev_b32_e32 v12, 24, v27
	v_lshlrev_b32_e32 v8, 20, v8
	v_lshl_add_u32 v10, v10, 23, 0x3c000000
	v_and_b32_e32 v12, 0x80000000, v12
	v_or3_b32 v8, v8, v12, v10
	v_mov_b32_e32 v17, v9
	v_mov_b32_e32 v16, v8
.LBB228_2078:                           ;   in Loop: Header=BB228_1052 Depth=1
	s_or_b32 exec_lo, exec_lo, s15
.LBB228_2079:                           ;   in Loop: Header=BB228_1052 Depth=1
	s_or_b32 exec_lo, exec_lo, s13
.LBB228_2080:                           ;   in Loop: Header=BB228_1052 Depth=1
	s_or_b32 exec_lo, exec_lo, s7
	v_cmp_ne_u16_sdwa s4, v27, v9 src0_sel:BYTE_1 src1_sel:DWORD
	s_and_saveexec_b32 s7, s4
	s_cbranch_execz .LBB228_2088
; %bb.2081:                             ;   in Loop: Header=BB228_1052 Depth=1
	v_mov_b32_e32 v10, v9
	v_mov_b32_e32 v19, v11
	v_cmp_ne_u16_sdwa s4, v27, v97 src0_sel:BYTE_1 src1_sel:DWORD
	v_mov_b32_e32 v18, v10
	s_and_saveexec_b32 s13, s4
	s_cbranch_execz .LBB228_2087
; %bb.2082:                             ;   in Loop: Header=BB228_1052 Depth=1
	v_mov_b32_e32 v8, 0xffff
	v_mov_b32_e32 v12, v9
	;; [unrolled: 1-line block ×3, first 2 shown]
	s_mov_b32 s15, exec_lo
	v_and_b32_sdwa v8, v8, v27 dst_sel:DWORD dst_unused:UNUSED_PAD src0_sel:DWORD src1_sel:BYTE_1
	v_mov_b32_e32 v18, v12
	v_and_b32_e32 v20, 0x7f, v8
	v_cmpx_ne_u32_e32 0x7f, v20
	s_cbranch_execz .LBB228_2086
; %bb.2083:                             ;   in Loop: Header=BB228_1052 Depth=1
	v_and_b32_e32 v8, 7, v8
	v_lshrrev_b32_e32 v10, 3, v20
	s_mov_b32 s18, exec_lo
	v_cmpx_gt_u32_e32 8, v20
; %bb.2084:                             ;   in Loop: Header=BB228_1052 Depth=1
	v_ffbh_u32_e32 v10, v8
	v_min_u32_e32 v10, 32, v10
	v_subrev_nc_u32_e32 v12, 28, v10
	v_sub_nc_u32_e32 v10, 29, v10
	v_lshlrev_b64 v[18:19], v12, v[8:9]
	v_and_b32_e32 v8, 7, v18
; %bb.2085:                             ;   in Loop: Header=BB228_1052 Depth=1
	s_or_b32 exec_lo, exec_lo, s18
	v_lshlrev_b32_e32 v12, 16, v27
	v_lshlrev_b32_e32 v8, 20, v8
	v_lshl_add_u32 v10, v10, 23, 0x3c000000
	v_mov_b32_e32 v18, v9
	v_and_b32_e32 v12, 0x80000000, v12
	v_or3_b32 v19, v8, v12, v10
.LBB228_2086:                           ;   in Loop: Header=BB228_1052 Depth=1
	s_or_b32 exec_lo, exec_lo, s15
.LBB228_2087:                           ;   in Loop: Header=BB228_1052 Depth=1
	s_or_b32 exec_lo, exec_lo, s13
.LBB228_2088:                           ;   in Loop: Header=BB228_1052 Depth=1
	s_or_b32 exec_lo, exec_lo, s7
	v_mov_b32_e32 v20, 0
	v_mov_b32_e32 v22, 0
	v_and_b32_sdwa v8, v27, v99 dst_sel:DWORD dst_unused:UNUSED_PAD src0_sel:WORD_1 src1_sel:DWORD
	v_mov_b32_e32 v21, 0
	v_mov_b32_e32 v23, 0
	s_mov_b32 s7, exec_lo
	v_cmpx_ne_u16_e32 0, v8
	s_cbranch_execz .LBB228_2096
; %bb.2089:                             ;   in Loop: Header=BB228_1052 Depth=1
	v_bfrev_b32_e32 v22, 1
	v_mov_b32_e32 v23, 0
	s_mov_b32 s13, exec_lo
	v_cmpx_ne_u16_e32 0x80, v8
	s_cbranch_execz .LBB228_2095
; %bb.2090:                             ;   in Loop: Header=BB228_1052 Depth=1
	v_mov_b32_e32 v22, 0x7f800001
	v_bfe_u32 v12, v27, 16, 7
	v_mov_b32_e32 v23, 0
	s_mov_b32 s15, exec_lo
	v_cmpx_ne_u32_e32 0x7f, v12
	s_cbranch_execz .LBB228_2094
; %bb.2091:                             ;   in Loop: Header=BB228_1052 Depth=1
	v_mov_b32_e32 v8, 7
	v_lshrrev_b32_e32 v10, 3, v12
	s_mov_b32 s18, exec_lo
	v_and_b32_sdwa v8, v27, v8 dst_sel:DWORD dst_unused:UNUSED_PAD src0_sel:WORD_1 src1_sel:DWORD
	v_cmpx_gt_u32_e32 8, v12
; %bb.2092:                             ;   in Loop: Header=BB228_1052 Depth=1
	v_ffbh_u32_e32 v10, v8
	v_min_u32_e32 v10, 32, v10
	v_subrev_nc_u32_e32 v12, 28, v10
	v_sub_nc_u32_e32 v10, 29, v10
	v_lshlrev_b64 v[22:23], v12, v[8:9]
	v_and_b32_e32 v8, 7, v22
; %bb.2093:                             ;   in Loop: Header=BB228_1052 Depth=1
	s_or_b32 exec_lo, exec_lo, s18
	v_mov_b32_e32 v12, 24
	v_lshlrev_b32_e32 v8, 20, v8
	v_lshl_add_u32 v10, v10, 23, 0x3c000000
	v_lshlrev_b32_sdwa v12, v12, v27 dst_sel:DWORD dst_unused:UNUSED_PAD src0_sel:DWORD src1_sel:WORD_1
	v_and_b32_e32 v12, 0x80000000, v12
	v_or3_b32 v8, v8, v12, v10
	v_mov_b32_e32 v23, v9
	v_mov_b32_e32 v22, v8
.LBB228_2094:                           ;   in Loop: Header=BB228_1052 Depth=1
	s_or_b32 exec_lo, exec_lo, s15
.LBB228_2095:                           ;   in Loop: Header=BB228_1052 Depth=1
	s_or_b32 exec_lo, exec_lo, s13
.LBB228_2096:                           ;   in Loop: Header=BB228_1052 Depth=1
	s_or_b32 exec_lo, exec_lo, s7
	s_mov_b32 s7, exec_lo
	v_cmpx_lt_u32_e32 0xffffff, v27
	s_cbranch_execz .LBB228_2104
; %bb.2097:                             ;   in Loop: Header=BB228_1052 Depth=1
	v_mov_b32_e32 v10, v9
	v_mov_b32_e32 v21, v11
	v_cmp_ne_u32_sdwa s4, v27, v97 src0_sel:BYTE_3 src1_sel:DWORD
	v_mov_b32_e32 v20, v10
	s_and_saveexec_b32 s13, s4
	s_cbranch_execz .LBB228_2103
; %bb.2098:                             ;   in Loop: Header=BB228_1052 Depth=1
	v_mov_b32_e32 v12, v9
	v_mov_b32_e32 v21, v13
	v_bfe_u32 v116, v27, 24, 7
	s_mov_b32 s15, exec_lo
	v_mov_b32_e32 v20, v12
	v_cmpx_ne_u32_e32 0x7f, v116
	s_cbranch_execz .LBB228_2102
; %bb.2099:                             ;   in Loop: Header=BB228_1052 Depth=1
	v_mov_b32_e32 v8, 7
	v_lshrrev_b32_e32 v10, 3, v116
	s_mov_b32 s18, exec_lo
	v_and_b32_sdwa v8, v27, v8 dst_sel:DWORD dst_unused:UNUSED_PAD src0_sel:BYTE_3 src1_sel:DWORD
	v_cmpx_gt_u32_e32 8, v116
; %bb.2100:                             ;   in Loop: Header=BB228_1052 Depth=1
	v_ffbh_u32_e32 v10, v8
	v_min_u32_e32 v10, 32, v10
	v_subrev_nc_u32_e32 v12, 28, v10
	v_sub_nc_u32_e32 v10, 29, v10
	v_lshlrev_b64 v[20:21], v12, v[8:9]
	v_and_b32_e32 v8, 7, v20
; %bb.2101:                             ;   in Loop: Header=BB228_1052 Depth=1
	s_or_b32 exec_lo, exec_lo, s18
	v_mov_b32_e32 v12, 24
	v_lshlrev_b32_e32 v8, 20, v8
	v_lshl_add_u32 v10, v10, 23, 0x3c000000
	v_mov_b32_e32 v20, v9
	v_lshlrev_b32_sdwa v12, v12, v27 dst_sel:DWORD dst_unused:UNUSED_PAD src0_sel:DWORD src1_sel:BYTE_3
	v_and_b32_e32 v12, 0x80000000, v12
	v_or3_b32 v21, v8, v12, v10
.LBB228_2102:                           ;   in Loop: Header=BB228_1052 Depth=1
	s_or_b32 exec_lo, exec_lo, s15
.LBB228_2103:                           ;   in Loop: Header=BB228_1052 Depth=1
	s_or_b32 exec_lo, exec_lo, s13
.LBB228_2104:                           ;   in Loop: Header=BB228_1052 Depth=1
	s_or_b32 exec_lo, exec_lo, s7
	v_or_b32_e32 v8, v19, v17
	v_or_b32_e32 v10, v18, v16
	;; [unrolled: 1-line block ×4, first 2 shown]
	v_mul_f32_e32 v116, v114, v8
	v_mul_f32_e32 v27, v96, v10
	;; [unrolled: 1-line block ×4, first 2 shown]
	s_and_saveexec_b32 s7, vcc_lo
	s_cbranch_execz .LBB228_2106
; %bb.2105:                             ;   in Loop: Header=BB228_1052 Depth=1
	v_cmp_lt_i32_e64 s4, v47, v28
	v_cndmask_b32_e64 v27, 0, v27, s4
	v_cmp_lt_i32_e64 s4, v57, v28
	v_cndmask_b32_e64 v116, 0, v116, s4
	;; [unrolled: 2-line block ×4, first 2 shown]
.LBB228_2106:                           ;   in Loop: Header=BB228_1052 Depth=1
	s_or_b32 exec_lo, exec_lo, s7
	buffer_load_dword v8, off, s[0:3], s32 offset:704 ; 4-byte Folded Reload
	v_mov_b32_e32 v16, 0
	v_mov_b32_e32 v17, 0
	s_waitcnt vmcnt(0)
	v_add_co_u32 v14, s4, v14, v8
	v_add_co_ci_u32_e64 v15, null, 0, v15, s4
	flat_load_dword v117, v[14:15]
	v_mov_b32_e32 v14, 0
	v_mov_b32_e32 v15, 0
	s_waitcnt vmcnt(0) lgkmcnt(0)
	v_cmp_ne_u16_sdwa s4, v117, v9 src0_sel:BYTE_0 src1_sel:DWORD
	s_and_saveexec_b32 s7, s4
	s_cbranch_execz .LBB228_2114
; %bb.2107:                             ;   in Loop: Header=BB228_1052 Depth=1
	v_bfrev_b32_e32 v14, 1
	v_mov_b32_e32 v15, 0
	v_cmp_ne_u16_sdwa s4, v117, v97 src0_sel:BYTE_0 src1_sel:DWORD
	s_and_saveexec_b32 s13, s4
	s_cbranch_execz .LBB228_2113
; %bb.2108:                             ;   in Loop: Header=BB228_1052 Depth=1
	v_mov_b32_e32 v14, 0x7f800001
	v_and_b32_e32 v12, 0x7f, v117
	v_mov_b32_e32 v15, 0
	s_mov_b32 s15, exec_lo
	v_cmpx_ne_u32_e32 0x7f, v12
	s_cbranch_execz .LBB228_2112
; %bb.2109:                             ;   in Loop: Header=BB228_1052 Depth=1
	v_and_b32_e32 v8, 7, v117
	v_lshrrev_b32_e32 v10, 3, v12
	s_mov_b32 s18, exec_lo
	v_cmpx_gt_u32_e32 8, v12
; %bb.2110:                             ;   in Loop: Header=BB228_1052 Depth=1
	v_ffbh_u32_e32 v10, v8
	v_min_u32_e32 v10, 32, v10
	v_subrev_nc_u32_e32 v12, 28, v10
	v_sub_nc_u32_e32 v10, 29, v10
	v_lshlrev_b64 v[14:15], v12, v[8:9]
	v_and_b32_e32 v8, 7, v14
; %bb.2111:                             ;   in Loop: Header=BB228_1052 Depth=1
	s_or_b32 exec_lo, exec_lo, s18
	v_lshlrev_b32_e32 v12, 24, v117
	v_lshlrev_b32_e32 v8, 20, v8
	v_lshl_add_u32 v10, v10, 23, 0x3c000000
	v_and_b32_e32 v12, 0x80000000, v12
	v_or3_b32 v8, v8, v12, v10
	v_mov_b32_e32 v15, v9
	v_mov_b32_e32 v14, v8
.LBB228_2112:                           ;   in Loop: Header=BB228_1052 Depth=1
	s_or_b32 exec_lo, exec_lo, s15
.LBB228_2113:                           ;   in Loop: Header=BB228_1052 Depth=1
	s_or_b32 exec_lo, exec_lo, s13
.LBB228_2114:                           ;   in Loop: Header=BB228_1052 Depth=1
	s_or_b32 exec_lo, exec_lo, s7
	v_cmp_ne_u16_sdwa s4, v117, v9 src0_sel:BYTE_1 src1_sel:DWORD
	s_and_saveexec_b32 s7, s4
	s_cbranch_execz .LBB228_2122
; %bb.2115:                             ;   in Loop: Header=BB228_1052 Depth=1
	v_mov_b32_e32 v10, v9
	v_mov_b32_e32 v17, v11
	v_cmp_ne_u16_sdwa s4, v117, v97 src0_sel:BYTE_1 src1_sel:DWORD
	v_mov_b32_e32 v16, v10
	s_and_saveexec_b32 s13, s4
	s_cbranch_execz .LBB228_2121
; %bb.2116:                             ;   in Loop: Header=BB228_1052 Depth=1
	v_mov_b32_e32 v8, 0xffff
	v_mov_b32_e32 v12, v9
	;; [unrolled: 1-line block ×3, first 2 shown]
	s_mov_b32 s15, exec_lo
	v_and_b32_sdwa v8, v8, v117 dst_sel:DWORD dst_unused:UNUSED_PAD src0_sel:DWORD src1_sel:BYTE_1
	v_mov_b32_e32 v16, v12
	v_and_b32_e32 v18, 0x7f, v8
	v_cmpx_ne_u32_e32 0x7f, v18
	s_cbranch_execz .LBB228_2120
; %bb.2117:                             ;   in Loop: Header=BB228_1052 Depth=1
	v_and_b32_e32 v8, 7, v8
	v_lshrrev_b32_e32 v10, 3, v18
	s_mov_b32 s18, exec_lo
	v_cmpx_gt_u32_e32 8, v18
; %bb.2118:                             ;   in Loop: Header=BB228_1052 Depth=1
	v_ffbh_u32_e32 v10, v8
	v_min_u32_e32 v10, 32, v10
	v_subrev_nc_u32_e32 v12, 28, v10
	v_sub_nc_u32_e32 v10, 29, v10
	v_lshlrev_b64 v[16:17], v12, v[8:9]
	v_and_b32_e32 v8, 7, v16
; %bb.2119:                             ;   in Loop: Header=BB228_1052 Depth=1
	s_or_b32 exec_lo, exec_lo, s18
	v_lshlrev_b32_e32 v12, 16, v117
	v_lshlrev_b32_e32 v8, 20, v8
	v_lshl_add_u32 v10, v10, 23, 0x3c000000
	v_mov_b32_e32 v16, v9
	v_and_b32_e32 v12, 0x80000000, v12
	v_or3_b32 v17, v8, v12, v10
.LBB228_2120:                           ;   in Loop: Header=BB228_1052 Depth=1
	s_or_b32 exec_lo, exec_lo, s15
.LBB228_2121:                           ;   in Loop: Header=BB228_1052 Depth=1
	s_or_b32 exec_lo, exec_lo, s13
.LBB228_2122:                           ;   in Loop: Header=BB228_1052 Depth=1
	s_or_b32 exec_lo, exec_lo, s7
	v_mov_b32_e32 v18, 0
	v_mov_b32_e32 v20, 0
	v_and_b32_sdwa v8, v117, v99 dst_sel:DWORD dst_unused:UNUSED_PAD src0_sel:WORD_1 src1_sel:DWORD
	v_mov_b32_e32 v19, 0
	v_mov_b32_e32 v21, 0
	s_mov_b32 s7, exec_lo
	v_cmpx_ne_u16_e32 0, v8
	s_cbranch_execz .LBB228_2130
; %bb.2123:                             ;   in Loop: Header=BB228_1052 Depth=1
	v_bfrev_b32_e32 v20, 1
	v_mov_b32_e32 v21, 0
	s_mov_b32 s13, exec_lo
	v_cmpx_ne_u16_e32 0x80, v8
	s_cbranch_execz .LBB228_2129
; %bb.2124:                             ;   in Loop: Header=BB228_1052 Depth=1
	v_mov_b32_e32 v20, 0x7f800001
	v_bfe_u32 v12, v117, 16, 7
	v_mov_b32_e32 v21, 0
	s_mov_b32 s15, exec_lo
	v_cmpx_ne_u32_e32 0x7f, v12
	s_cbranch_execz .LBB228_2128
; %bb.2125:                             ;   in Loop: Header=BB228_1052 Depth=1
	v_mov_b32_e32 v8, 7
	v_lshrrev_b32_e32 v10, 3, v12
	s_mov_b32 s18, exec_lo
	v_and_b32_sdwa v8, v117, v8 dst_sel:DWORD dst_unused:UNUSED_PAD src0_sel:WORD_1 src1_sel:DWORD
	v_cmpx_gt_u32_e32 8, v12
; %bb.2126:                             ;   in Loop: Header=BB228_1052 Depth=1
	v_ffbh_u32_e32 v10, v8
	v_min_u32_e32 v10, 32, v10
	v_subrev_nc_u32_e32 v12, 28, v10
	v_sub_nc_u32_e32 v10, 29, v10
	v_lshlrev_b64 v[20:21], v12, v[8:9]
	v_and_b32_e32 v8, 7, v20
; %bb.2127:                             ;   in Loop: Header=BB228_1052 Depth=1
	s_or_b32 exec_lo, exec_lo, s18
	v_mov_b32_e32 v12, 24
	v_lshlrev_b32_e32 v8, 20, v8
	v_lshl_add_u32 v10, v10, 23, 0x3c000000
	v_lshlrev_b32_sdwa v12, v12, v117 dst_sel:DWORD dst_unused:UNUSED_PAD src0_sel:DWORD src1_sel:WORD_1
	v_and_b32_e32 v12, 0x80000000, v12
	v_or3_b32 v8, v8, v12, v10
	v_mov_b32_e32 v21, v9
	v_mov_b32_e32 v20, v8
.LBB228_2128:                           ;   in Loop: Header=BB228_1052 Depth=1
	s_or_b32 exec_lo, exec_lo, s15
.LBB228_2129:                           ;   in Loop: Header=BB228_1052 Depth=1
	s_or_b32 exec_lo, exec_lo, s13
.LBB228_2130:                           ;   in Loop: Header=BB228_1052 Depth=1
	s_or_b32 exec_lo, exec_lo, s7
	s_mov_b32 s7, exec_lo
	v_cmpx_lt_u32_e32 0xffffff, v117
	s_cbranch_execz .LBB228_2138
; %bb.2131:                             ;   in Loop: Header=BB228_1052 Depth=1
	v_mov_b32_e32 v10, v9
	v_mov_b32_e32 v19, v11
	v_cmp_ne_u32_sdwa s4, v117, v97 src0_sel:BYTE_3 src1_sel:DWORD
	v_mov_b32_e32 v18, v10
	s_and_saveexec_b32 s13, s4
	s_cbranch_execz .LBB228_2137
; %bb.2132:                             ;   in Loop: Header=BB228_1052 Depth=1
	v_mov_b32_e32 v12, v9
	v_mov_b32_e32 v19, v13
	v_mov_b32_e32 v118, v29
	v_bfe_u32 v29, v117, 24, 7
	s_mov_b32 s15, exec_lo
	v_mov_b32_e32 v18, v12
	v_cmpx_ne_u32_e32 0x7f, v29
	s_cbranch_execz .LBB228_2136
; %bb.2133:                             ;   in Loop: Header=BB228_1052 Depth=1
	v_mov_b32_e32 v8, 7
	v_lshrrev_b32_e32 v10, 3, v29
	s_mov_b32 s18, exec_lo
	v_and_b32_sdwa v8, v117, v8 dst_sel:DWORD dst_unused:UNUSED_PAD src0_sel:BYTE_3 src1_sel:DWORD
	v_cmpx_gt_u32_e32 8, v29
; %bb.2134:                             ;   in Loop: Header=BB228_1052 Depth=1
	v_ffbh_u32_e32 v10, v8
	v_min_u32_e32 v10, 32, v10
	v_subrev_nc_u32_e32 v12, 28, v10
	v_sub_nc_u32_e32 v10, 29, v10
	v_lshlrev_b64 v[18:19], v12, v[8:9]
	v_and_b32_e32 v8, 7, v18
; %bb.2135:                             ;   in Loop: Header=BB228_1052 Depth=1
	s_or_b32 exec_lo, exec_lo, s18
	v_mov_b32_e32 v12, 24
	v_lshlrev_b32_e32 v8, 20, v8
	v_lshl_add_u32 v10, v10, 23, 0x3c000000
	v_mov_b32_e32 v18, v9
	v_lshlrev_b32_sdwa v12, v12, v117 dst_sel:DWORD dst_unused:UNUSED_PAD src0_sel:DWORD src1_sel:BYTE_3
	v_and_b32_e32 v12, 0x80000000, v12
	v_or3_b32 v19, v8, v12, v10
.LBB228_2136:                           ;   in Loop: Header=BB228_1052 Depth=1
	s_or_b32 exec_lo, exec_lo, s15
	v_mov_b32_e32 v29, v118
.LBB228_2137:                           ;   in Loop: Header=BB228_1052 Depth=1
	s_or_b32 exec_lo, exec_lo, s13
.LBB228_2138:                           ;   in Loop: Header=BB228_1052 Depth=1
	s_or_b32 exec_lo, exec_lo, s7
	v_or_b32_e32 v8, v17, v15
	v_or_b32_e32 v10, v16, v14
	v_or_b32_e32 v15, v18, v20
	v_or_b32_e32 v16, v19, v21
	v_mul_f32_e32 v14, v114, v8
	v_mul_f32_e32 v12, v96, v10
	;; [unrolled: 1-line block ×4, first 2 shown]
	s_and_saveexec_b32 s4, vcc_lo
	s_cbranch_execz .LBB228_1051
; %bb.2139:                             ;   in Loop: Header=BB228_1052 Depth=1
	v_cmp_lt_i32_e32 vcc_lo, v47, v28
	v_cndmask_b32_e32 v12, 0, v12, vcc_lo
	v_cmp_lt_i32_e32 vcc_lo, v57, v28
	v_cndmask_b32_e32 v14, 0, v14, vcc_lo
	;; [unrolled: 2-line block ×4, first 2 shown]
	s_branch .LBB228_1051
.LBB228_2140:
	s_or_b32 exec_lo, exec_lo, s6
	s_clause 0x3
	buffer_load_dword v100, off, s[0:3], s32 offset:712
	buffer_load_dword v101, off, s[0:3], s32 offset:720
	buffer_load_dword v31, off, s[0:3], s32 offset:728
	buffer_load_dword v102, off, s[0:3], s32 offset:736
	v_mov_b32_e32 v0, s16
	v_mov_b32_e32 v1, s17
.LBB228_2141:
	s_or_b32 exec_lo, exec_lo, s5
	v_lshlrev_b64 v[0:1], 2, v[0:1]
	s_getpc_b64 s[4:5]
	s_add_u32 s4, s4, llvm.amdgcn.dynlds.offset.table@rel32@lo+4
	s_addc_u32 s5, s5, llvm.amdgcn.dynlds.offset.table@rel32@hi+12
	s_waitcnt vmcnt(0)
	s_waitcnt_vscnt null, 0x0
	s_barrier
	buffer_gl0_inv
	s_clause 0x2
	buffer_load_dword v97, off, s[0:3], s32 offset:1436
	buffer_load_dword v98, off, s[0:3], s32 offset:1444
	buffer_load_dword v99, off, s[0:3], s32 offset:1440
	v_add_co_u32 v0, vcc_lo, s4, v0
	v_add_co_ci_u32_e64 v1, null, s5, v1, vcc_lo
	ds_bpermute_b32 v2, v31, v86
	ds_bpermute_b32 v3, v31, v85
	ds_bpermute_b32 v4, v31, v83
	global_load_dword v96, v[0:1], off
	ds_bpermute_b32 v0, v31, v84
	ds_bpermute_b32 v1, v31, v87
	;; [unrolled: 1-line block ×29, first 2 shown]
	s_waitcnt lgkmcnt(28)
	v_add_f32_e32 v0, v84, v0
	s_waitcnt lgkmcnt(27)
	v_add_f32_e32 v1, v87, v1
	v_add_f32_e32 v2, v86, v2
	;; [unrolled: 1-line block ×4, first 2 shown]
	s_waitcnt lgkmcnt(26)
	v_add_f32_e32 v5, v82, v5
	s_waitcnt lgkmcnt(25)
	v_add_f32_e32 v6, v81, v6
	s_waitcnt lgkmcnt(24)
	v_add_f32_e32 v7, v80, v7
	s_waitcnt lgkmcnt(23)
	v_add_f32_e32 v8, v71, v8
	s_waitcnt lgkmcnt(22)
	v_add_f32_e32 v9, v70, v9
	s_waitcnt lgkmcnt(21)
	v_add_f32_e32 v10, v69, v10
	s_waitcnt lgkmcnt(20)
	v_add_f32_e32 v11, v68, v11
	s_waitcnt lgkmcnt(19)
	v_add_f32_e32 v12, v67, v12
	s_waitcnt lgkmcnt(18)
	v_add_f32_e32 v13, v66, v13
	s_waitcnt lgkmcnt(17)
	v_add_f32_e32 v14, v65, v14
	s_waitcnt lgkmcnt(16)
	v_add_f32_e32 v15, v64, v15
	s_waitcnt lgkmcnt(15)
	v_add_f32_e32 v16, v55, v16
	s_waitcnt lgkmcnt(14)
	v_add_f32_e32 v17, v54, v17
	s_waitcnt lgkmcnt(13)
	v_add_f32_e32 v18, v53, v18
	s_waitcnt lgkmcnt(12)
	v_add_f32_e32 v19, v52, v19
	s_waitcnt lgkmcnt(11)
	v_add_f32_e32 v20, v51, v20
	s_waitcnt lgkmcnt(10)
	v_add_f32_e32 v21, v50, v21
	s_waitcnt lgkmcnt(9)
	v_add_f32_e32 v22, v49, v22
	s_waitcnt lgkmcnt(8)
	v_add_f32_e32 v23, v48, v23
	s_waitcnt lgkmcnt(7)
	v_add_f32_e32 v24, v39, v24
	s_waitcnt lgkmcnt(6)
	v_add_f32_e32 v25, v38, v25
	s_waitcnt lgkmcnt(5)
	v_add_f32_e32 v26, v37, v26
	s_waitcnt lgkmcnt(4)
	v_add_f32_e32 v27, v36, v27
	s_waitcnt lgkmcnt(3)
	v_add_f32_e32 v28, v35, v28
	s_waitcnt lgkmcnt(2)
	v_add_f32_e32 v29, v34, v29
	s_waitcnt lgkmcnt(1)
	v_add_f32_e32 v30, v33, v30
	s_waitcnt lgkmcnt(0)
	v_add_f32_e32 v31, v32, v31
	ds_bpermute_b32 v32, v101, v0
	ds_bpermute_b32 v33, v101, v1
	ds_bpermute_b32 v34, v101, v2
	ds_bpermute_b32 v35, v101, v3
	ds_bpermute_b32 v36, v101, v4
	ds_bpermute_b32 v37, v101, v5
	ds_bpermute_b32 v38, v101, v6
	ds_bpermute_b32 v39, v101, v7
	ds_bpermute_b32 v48, v101, v8
	ds_bpermute_b32 v49, v101, v9
	ds_bpermute_b32 v50, v101, v10
	ds_bpermute_b32 v51, v101, v11
	ds_bpermute_b32 v52, v101, v12
	ds_bpermute_b32 v53, v101, v13
	ds_bpermute_b32 v54, v101, v14
	ds_bpermute_b32 v55, v101, v15
	ds_bpermute_b32 v64, v101, v16
	ds_bpermute_b32 v65, v101, v17
	ds_bpermute_b32 v66, v101, v18
	ds_bpermute_b32 v67, v101, v19
	ds_bpermute_b32 v68, v101, v20
	ds_bpermute_b32 v69, v101, v21
	ds_bpermute_b32 v70, v101, v22
	ds_bpermute_b32 v71, v101, v23
	ds_bpermute_b32 v80, v101, v24
	ds_bpermute_b32 v81, v101, v25
	ds_bpermute_b32 v82, v101, v26
	ds_bpermute_b32 v83, v101, v27
	ds_bpermute_b32 v84, v101, v28
	ds_bpermute_b32 v85, v101, v29
	ds_bpermute_b32 v86, v101, v30
	ds_bpermute_b32 v87, v101, v31
	s_waitcnt lgkmcnt(31)
	v_add_f32_e32 v0, v0, v32
	s_waitcnt lgkmcnt(30)
	v_add_f32_e32 v1, v1, v33
	;; [unrolled: 2-line block ×32, first 2 shown]
	ds_bpermute_b32 v32, v100, v0
	ds_bpermute_b32 v33, v100, v1
	ds_bpermute_b32 v34, v100, v2
	ds_bpermute_b32 v35, v100, v3
	ds_bpermute_b32 v36, v100, v4
	ds_bpermute_b32 v37, v100, v5
	ds_bpermute_b32 v38, v100, v6
	ds_bpermute_b32 v39, v100, v7
	ds_bpermute_b32 v48, v100, v8
	ds_bpermute_b32 v49, v100, v9
	ds_bpermute_b32 v50, v100, v10
	ds_bpermute_b32 v51, v100, v11
	ds_bpermute_b32 v52, v100, v12
	ds_bpermute_b32 v53, v100, v13
	ds_bpermute_b32 v54, v100, v14
	ds_bpermute_b32 v55, v100, v15
	ds_bpermute_b32 v64, v100, v16
	ds_bpermute_b32 v65, v100, v17
	ds_bpermute_b32 v66, v100, v18
	ds_bpermute_b32 v67, v100, v19
	ds_bpermute_b32 v68, v100, v20
	ds_bpermute_b32 v69, v100, v21
	ds_bpermute_b32 v70, v100, v22
	ds_bpermute_b32 v71, v100, v23
	ds_bpermute_b32 v80, v100, v24
	ds_bpermute_b32 v81, v100, v25
	ds_bpermute_b32 v82, v100, v26
	ds_bpermute_b32 v83, v100, v27
	ds_bpermute_b32 v84, v100, v28
	ds_bpermute_b32 v85, v100, v29
	ds_bpermute_b32 v86, v100, v30
	ds_bpermute_b32 v87, v100, v31
	s_waitcnt lgkmcnt(31)
	v_add_f32_e32 v0, v0, v32
	s_waitcnt lgkmcnt(30)
	v_add_f32_e32 v1, v1, v33
	;; [unrolled: 2-line block ×32, first 2 shown]
	s_mov_b32 s4, exec_lo
	s_waitcnt vmcnt(3)
	v_lshrrev_b32_e32 v97, 3, v97
	s_waitcnt vmcnt(2)
	v_lshlrev_b32_e32 v98, 9, v98
	s_waitcnt vmcnt(1)
	v_and_b32_e32 v99, 0x3c7, v99
	s_waitcnt vmcnt(0)
	v_lshl_add_u32 v33, v97, 2, v96
	v_cmpx_eq_u32_e32 64, v99
	s_cbranch_execz .LBB228_2143
; %bb.2142:
	v_add_nc_u32_e32 v32, v33, v98
	v_add_nc_u32_e32 v34, 0xfffffc00, v32
	;; [unrolled: 1-line block ×8, first 2 shown]
	ds_write_b32 v34, v0
	ds_write_b32 v35, v1
	ds_write_b32 v36, v2
	ds_write_b32 v37, v3
	ds_write_b32 v38, v4
	ds_write_b32 v39, v5
	ds_write_b32 v48, v6
	v_add_nc_u32_e32 v34, 0xfffffc70, v32
	v_add_nc_u32_e32 v35, 0xfffffc80, v32
	v_add_nc_u32_e32 v36, 0xfffffc90, v32
	v_add_nc_u32_e32 v37, 0xfffffca0, v32
	v_add_nc_u32_e32 v38, 0xfffffcb0, v32
	ds_write_b32 v34, v7
	ds_write_b32 v35, v8
	ds_write_b32 v36, v9
	ds_write_b32 v37, v10
	ds_write_b32 v38, v11
	v_add_nc_u32_e32 v34, 0xfffffcc0, v32
	v_add_nc_u32_e32 v35, 0xfffffcd0, v32
	v_add_nc_u32_e32 v36, 0xfffffce0, v32
	v_add_nc_u32_e32 v37, 0xfffffcf0, v32
	v_add_nc_u32_e32 v38, 0xfffffd00, v32
	ds_write_b32 v34, v12
	ds_write_b32 v35, v13
	ds_write_b32 v36, v14
	ds_write_b32 v37, v15
	ds_write_b32 v38, v16
	;; [unrolled: 10-line block ×5, first 2 shown]
.LBB228_2143:
	s_or_b32 exec_lo, exec_lo, s4
	buffer_load_dword v35, off, s[0:3], s32 offset:1440 ; 4-byte Folded Reload
	v_lshlrev_b32_e32 v32, 2, v97
	s_mov_b32 s5, exec_lo
	v_cmp_eq_u32_e32 vcc_lo, 0, v102
	s_waitcnt vmcnt(0) lgkmcnt(0)
	s_barrier
	v_add3_u32 v32, v96, v98, v32
	buffer_gl0_inv
	v_cmpx_gt_u32_e32 64, v35
	s_cbranch_execz .LBB228_2178
; %bb.2144:
	s_and_saveexec_b32 s4, vcc_lo
	s_cbranch_execnz .LBB228_2218
; %bb.2145:
	s_or_b32 exec_lo, exec_lo, s4
	s_and_saveexec_b32 s4, vcc_lo
	s_cbranch_execnz .LBB228_2219
.LBB228_2146:
	s_or_b32 exec_lo, exec_lo, s4
	s_and_saveexec_b32 s4, vcc_lo
	s_cbranch_execnz .LBB228_2220
.LBB228_2147:
	s_or_b32 exec_lo, exec_lo, s4
	s_and_saveexec_b32 s4, vcc_lo
	s_cbranch_execnz .LBB228_2221
.LBB228_2148:
	s_or_b32 exec_lo, exec_lo, s4
	s_and_saveexec_b32 s4, vcc_lo
	s_cbranch_execnz .LBB228_2222
.LBB228_2149:
	s_or_b32 exec_lo, exec_lo, s4
	s_and_saveexec_b32 s4, vcc_lo
	s_cbranch_execnz .LBB228_2223
.LBB228_2150:
	s_or_b32 exec_lo, exec_lo, s4
	s_and_saveexec_b32 s4, vcc_lo
	s_cbranch_execnz .LBB228_2224
.LBB228_2151:
	s_or_b32 exec_lo, exec_lo, s4
	s_and_saveexec_b32 s4, vcc_lo
	s_cbranch_execnz .LBB228_2225
.LBB228_2152:
	s_or_b32 exec_lo, exec_lo, s4
	s_and_saveexec_b32 s4, vcc_lo
	s_cbranch_execnz .LBB228_2226
.LBB228_2153:
	s_or_b32 exec_lo, exec_lo, s4
	s_and_saveexec_b32 s4, vcc_lo
	s_cbranch_execnz .LBB228_2227
.LBB228_2154:
	s_or_b32 exec_lo, exec_lo, s4
	s_and_saveexec_b32 s4, vcc_lo
	s_cbranch_execnz .LBB228_2228
.LBB228_2155:
	s_or_b32 exec_lo, exec_lo, s4
	s_and_saveexec_b32 s4, vcc_lo
	s_cbranch_execnz .LBB228_2229
.LBB228_2156:
	s_or_b32 exec_lo, exec_lo, s4
	s_and_saveexec_b32 s4, vcc_lo
	s_cbranch_execnz .LBB228_2230
.LBB228_2157:
	s_or_b32 exec_lo, exec_lo, s4
	s_and_saveexec_b32 s4, vcc_lo
	s_cbranch_execnz .LBB228_2231
.LBB228_2158:
	s_or_b32 exec_lo, exec_lo, s4
	s_and_saveexec_b32 s4, vcc_lo
	s_cbranch_execnz .LBB228_2232
.LBB228_2159:
	s_or_b32 exec_lo, exec_lo, s4
	s_and_saveexec_b32 s4, vcc_lo
	s_cbranch_execnz .LBB228_2233
.LBB228_2160:
	s_or_b32 exec_lo, exec_lo, s4
	s_and_saveexec_b32 s4, vcc_lo
	s_cbranch_execnz .LBB228_2234
.LBB228_2161:
	s_or_b32 exec_lo, exec_lo, s4
	s_and_saveexec_b32 s4, vcc_lo
	s_cbranch_execnz .LBB228_2235
.LBB228_2162:
	s_or_b32 exec_lo, exec_lo, s4
	s_and_saveexec_b32 s4, vcc_lo
	s_cbranch_execnz .LBB228_2236
.LBB228_2163:
	s_or_b32 exec_lo, exec_lo, s4
	s_and_saveexec_b32 s4, vcc_lo
	s_cbranch_execnz .LBB228_2237
.LBB228_2164:
	s_or_b32 exec_lo, exec_lo, s4
	s_and_saveexec_b32 s4, vcc_lo
	s_cbranch_execnz .LBB228_2238
.LBB228_2165:
	s_or_b32 exec_lo, exec_lo, s4
	s_and_saveexec_b32 s4, vcc_lo
	s_cbranch_execnz .LBB228_2239
.LBB228_2166:
	s_or_b32 exec_lo, exec_lo, s4
	s_and_saveexec_b32 s4, vcc_lo
	s_cbranch_execnz .LBB228_2240
.LBB228_2167:
	s_or_b32 exec_lo, exec_lo, s4
	s_and_saveexec_b32 s4, vcc_lo
	s_cbranch_execnz .LBB228_2241
.LBB228_2168:
	s_or_b32 exec_lo, exec_lo, s4
	s_and_saveexec_b32 s4, vcc_lo
	s_cbranch_execnz .LBB228_2242
.LBB228_2169:
	s_or_b32 exec_lo, exec_lo, s4
	s_and_saveexec_b32 s4, vcc_lo
	s_cbranch_execnz .LBB228_2243
.LBB228_2170:
	s_or_b32 exec_lo, exec_lo, s4
	s_and_saveexec_b32 s4, vcc_lo
	s_cbranch_execnz .LBB228_2244
.LBB228_2171:
	s_or_b32 exec_lo, exec_lo, s4
	s_and_saveexec_b32 s4, vcc_lo
	s_cbranch_execnz .LBB228_2245
.LBB228_2172:
	s_or_b32 exec_lo, exec_lo, s4
	s_and_saveexec_b32 s4, vcc_lo
	s_cbranch_execnz .LBB228_2246
.LBB228_2173:
	s_or_b32 exec_lo, exec_lo, s4
	s_and_saveexec_b32 s4, vcc_lo
	s_cbranch_execnz .LBB228_2247
.LBB228_2174:
	s_or_b32 exec_lo, exec_lo, s4
	s_and_saveexec_b32 s4, vcc_lo
	s_cbranch_execnz .LBB228_2248
.LBB228_2175:
	s_or_b32 exec_lo, exec_lo, s4
	s_and_saveexec_b32 s4, vcc_lo
	s_cbranch_execz .LBB228_2177
.LBB228_2176:
	ds_read_b32 v34, v32 offset:496
	s_waitcnt lgkmcnt(0)
	v_add_f32_e32 v31, v34, v31
.LBB228_2177:
	s_or_b32 exec_lo, exec_lo, s4
.LBB228_2178:
	s_or_b32 exec_lo, exec_lo, s5
	v_and_b32_e32 v34, 0x3e7, v35
	s_mov_b32 s5, exec_lo
	s_barrier
	buffer_gl0_inv
	v_cmpx_eq_u32_e32 32, v34
	s_cbranch_execz .LBB228_2180
; %bb.2179:
	ds_write2_b32 v33, v0, v1 offset1:4
	ds_write2_b32 v33, v2, v3 offset0:8 offset1:12
	ds_write2_b32 v33, v4, v5 offset0:16 offset1:20
	;; [unrolled: 1-line block ×15, first 2 shown]
.LBB228_2180:
	s_or_b32 exec_lo, exec_lo, s5
	s_mov_b32 s5, exec_lo
	s_waitcnt lgkmcnt(0)
	s_barrier
	buffer_gl0_inv
	v_cmpx_gt_u32_e32 32, v35
	s_cbranch_execz .LBB228_2215
; %bb.2181:
	s_and_saveexec_b32 s4, vcc_lo
	s_cbranch_execnz .LBB228_2249
; %bb.2182:
	s_or_b32 exec_lo, exec_lo, s4
	s_and_saveexec_b32 s4, vcc_lo
	s_cbranch_execnz .LBB228_2250
.LBB228_2183:
	s_or_b32 exec_lo, exec_lo, s4
	s_and_saveexec_b32 s4, vcc_lo
	s_cbranch_execnz .LBB228_2251
.LBB228_2184:
	s_or_b32 exec_lo, exec_lo, s4
	s_and_saveexec_b32 s4, vcc_lo
	s_cbranch_execnz .LBB228_2252
.LBB228_2185:
	s_or_b32 exec_lo, exec_lo, s4
	s_and_saveexec_b32 s4, vcc_lo
	s_cbranch_execnz .LBB228_2253
.LBB228_2186:
	s_or_b32 exec_lo, exec_lo, s4
	s_and_saveexec_b32 s4, vcc_lo
	s_cbranch_execnz .LBB228_2254
.LBB228_2187:
	s_or_b32 exec_lo, exec_lo, s4
	s_and_saveexec_b32 s4, vcc_lo
	s_cbranch_execnz .LBB228_2255
.LBB228_2188:
	s_or_b32 exec_lo, exec_lo, s4
	s_and_saveexec_b32 s4, vcc_lo
	s_cbranch_execnz .LBB228_2256
.LBB228_2189:
	s_or_b32 exec_lo, exec_lo, s4
	s_and_saveexec_b32 s4, vcc_lo
	s_cbranch_execnz .LBB228_2257
.LBB228_2190:
	s_or_b32 exec_lo, exec_lo, s4
	s_and_saveexec_b32 s4, vcc_lo
	s_cbranch_execnz .LBB228_2258
.LBB228_2191:
	s_or_b32 exec_lo, exec_lo, s4
	s_and_saveexec_b32 s4, vcc_lo
	s_cbranch_execnz .LBB228_2259
.LBB228_2192:
	s_or_b32 exec_lo, exec_lo, s4
	s_and_saveexec_b32 s4, vcc_lo
	s_cbranch_execnz .LBB228_2260
.LBB228_2193:
	s_or_b32 exec_lo, exec_lo, s4
	s_and_saveexec_b32 s4, vcc_lo
	s_cbranch_execnz .LBB228_2261
.LBB228_2194:
	s_or_b32 exec_lo, exec_lo, s4
	s_and_saveexec_b32 s4, vcc_lo
	s_cbranch_execnz .LBB228_2262
.LBB228_2195:
	s_or_b32 exec_lo, exec_lo, s4
	s_and_saveexec_b32 s4, vcc_lo
	s_cbranch_execnz .LBB228_2263
.LBB228_2196:
	s_or_b32 exec_lo, exec_lo, s4
	s_and_saveexec_b32 s4, vcc_lo
	s_cbranch_execnz .LBB228_2264
.LBB228_2197:
	s_or_b32 exec_lo, exec_lo, s4
	s_and_saveexec_b32 s4, vcc_lo
	s_cbranch_execnz .LBB228_2265
.LBB228_2198:
	s_or_b32 exec_lo, exec_lo, s4
	s_and_saveexec_b32 s4, vcc_lo
	s_cbranch_execnz .LBB228_2266
.LBB228_2199:
	s_or_b32 exec_lo, exec_lo, s4
	s_and_saveexec_b32 s4, vcc_lo
	s_cbranch_execnz .LBB228_2267
.LBB228_2200:
	s_or_b32 exec_lo, exec_lo, s4
	s_and_saveexec_b32 s4, vcc_lo
	s_cbranch_execnz .LBB228_2268
.LBB228_2201:
	s_or_b32 exec_lo, exec_lo, s4
	s_and_saveexec_b32 s4, vcc_lo
	s_cbranch_execnz .LBB228_2269
.LBB228_2202:
	s_or_b32 exec_lo, exec_lo, s4
	s_and_saveexec_b32 s4, vcc_lo
	s_cbranch_execnz .LBB228_2270
.LBB228_2203:
	s_or_b32 exec_lo, exec_lo, s4
	s_and_saveexec_b32 s4, vcc_lo
	s_cbranch_execnz .LBB228_2271
.LBB228_2204:
	s_or_b32 exec_lo, exec_lo, s4
	s_and_saveexec_b32 s4, vcc_lo
	s_cbranch_execnz .LBB228_2272
.LBB228_2205:
	s_or_b32 exec_lo, exec_lo, s4
	s_and_saveexec_b32 s4, vcc_lo
	s_cbranch_execnz .LBB228_2273
.LBB228_2206:
	s_or_b32 exec_lo, exec_lo, s4
	s_and_saveexec_b32 s4, vcc_lo
	s_cbranch_execnz .LBB228_2274
.LBB228_2207:
	s_or_b32 exec_lo, exec_lo, s4
	s_and_saveexec_b32 s4, vcc_lo
	s_cbranch_execnz .LBB228_2275
.LBB228_2208:
	s_or_b32 exec_lo, exec_lo, s4
	s_and_saveexec_b32 s4, vcc_lo
	s_cbranch_execnz .LBB228_2276
.LBB228_2209:
	s_or_b32 exec_lo, exec_lo, s4
	s_and_saveexec_b32 s4, vcc_lo
	s_cbranch_execnz .LBB228_2277
.LBB228_2210:
	s_or_b32 exec_lo, exec_lo, s4
	s_and_saveexec_b32 s4, vcc_lo
	s_cbranch_execnz .LBB228_2278
.LBB228_2211:
	s_or_b32 exec_lo, exec_lo, s4
	s_and_saveexec_b32 s4, vcc_lo
	s_cbranch_execnz .LBB228_2279
.LBB228_2212:
	s_or_b32 exec_lo, exec_lo, s4
	s_and_saveexec_b32 s4, vcc_lo
	s_cbranch_execz .LBB228_2214
.LBB228_2213:
	ds_read_b32 v32, v32 offset:496
	s_waitcnt lgkmcnt(0)
	v_add_f32_e32 v31, v32, v31
.LBB228_2214:
	s_or_b32 exec_lo, exec_lo, s4
.LBB228_2215:
	s_or_b32 exec_lo, exec_lo, s5
	s_mov_b32 s4, exec_lo
	s_barrier
	buffer_gl0_inv
	v_cmpx_eq_u32_e32 0, v34
	s_cbranch_execz .LBB228_2217
; %bb.2216:
	s_clause 0x1
	buffer_load_dword v33, off, s[0:3], s32 offset:1480
	buffer_load_dword v34, off, s[0:3], s32 offset:1476
	s_and_b32 s5, 0xffff, s9
	v_lshrrev_b32_e32 v32, 1, v35
	s_cmp_lg_u32 s5, 0
	s_cselect_b32 s5, -1, 0
	s_cmp_lg_u32 s5, 0
	s_addc_u32 s5, s8, 0
	s_lshl_b32 s6, s14, 7
	s_mul_i32 s7, s10, s5
	s_mul_i32 s8, s12, s5
	;; [unrolled: 1-line block ×3, first 2 shown]
	s_ashr_i32 s9, s8, 31
	s_lshl_b32 s10, s7, 7
	s_lshl_b64 s[8:9], s[8:9], 2
	s_ashr_i32 s11, s10, 31
	s_ashr_i32 s7, s6, 31
	s_lshl_b64 s[10:11], s[10:11], 2
	s_lshl_b64 s[6:7], s[6:7], 2
	s_waitcnt vmcnt(1)
	v_add_co_u32 v33, vcc_lo, v33, s10
	s_waitcnt vmcnt(0)
	v_add_co_ci_u32_e64 v34, null, s11, v34, vcc_lo
	v_add_co_u32 v33, vcc_lo, v33, s8
	v_add_co_ci_u32_e64 v34, null, s9, v34, vcc_lo
	v_add_co_u32 v33, vcc_lo, v33, s6
	;; [unrolled: 2-line block ×3, first 2 shown]
	v_add_co_ci_u32_e64 v33, null, 0, v34, vcc_lo
	flat_store_dword v[32:33], v0
	flat_store_dword v[32:33], v1 offset:16
	flat_store_dword v[32:33], v2 offset:32
	;; [unrolled: 1-line block ×31, first 2 shown]
.LBB228_2217:
	s_or_b32 exec_lo, exec_lo, s4
	s_clause 0x2f
	buffer_load_dword v127, off, s[0:3], s32
	buffer_load_dword v126, off, s[0:3], s32 offset:4
	buffer_load_dword v125, off, s[0:3], s32 offset:8
	buffer_load_dword v124, off, s[0:3], s32 offset:12
	buffer_load_dword v123, off, s[0:3], s32 offset:16
	buffer_load_dword v122, off, s[0:3], s32 offset:20
	buffer_load_dword v121, off, s[0:3], s32 offset:24
	buffer_load_dword v120, off, s[0:3], s32 offset:28
	buffer_load_dword v111, off, s[0:3], s32 offset:32
	buffer_load_dword v110, off, s[0:3], s32 offset:36
	buffer_load_dword v109, off, s[0:3], s32 offset:40
	buffer_load_dword v108, off, s[0:3], s32 offset:44
	buffer_load_dword v107, off, s[0:3], s32 offset:48
	buffer_load_dword v106, off, s[0:3], s32 offset:52
	buffer_load_dword v105, off, s[0:3], s32 offset:56
	buffer_load_dword v104, off, s[0:3], s32 offset:60
	buffer_load_dword v95, off, s[0:3], s32 offset:64
	buffer_load_dword v94, off, s[0:3], s32 offset:68
	buffer_load_dword v93, off, s[0:3], s32 offset:72
	buffer_load_dword v92, off, s[0:3], s32 offset:76
	buffer_load_dword v91, off, s[0:3], s32 offset:80
	buffer_load_dword v90, off, s[0:3], s32 offset:84
	buffer_load_dword v89, off, s[0:3], s32 offset:88
	buffer_load_dword v88, off, s[0:3], s32 offset:92
	buffer_load_dword v79, off, s[0:3], s32 offset:96
	buffer_load_dword v78, off, s[0:3], s32 offset:100
	buffer_load_dword v77, off, s[0:3], s32 offset:104
	buffer_load_dword v76, off, s[0:3], s32 offset:108
	buffer_load_dword v75, off, s[0:3], s32 offset:112
	buffer_load_dword v74, off, s[0:3], s32 offset:116
	buffer_load_dword v73, off, s[0:3], s32 offset:120
	buffer_load_dword v72, off, s[0:3], s32 offset:124
	buffer_load_dword v63, off, s[0:3], s32 offset:128
	buffer_load_dword v62, off, s[0:3], s32 offset:132
	buffer_load_dword v61, off, s[0:3], s32 offset:136
	buffer_load_dword v60, off, s[0:3], s32 offset:140
	buffer_load_dword v59, off, s[0:3], s32 offset:144
	buffer_load_dword v58, off, s[0:3], s32 offset:148
	buffer_load_dword v57, off, s[0:3], s32 offset:152
	buffer_load_dword v56, off, s[0:3], s32 offset:156
	buffer_load_dword v47, off, s[0:3], s32 offset:160
	buffer_load_dword v46, off, s[0:3], s32 offset:164
	buffer_load_dword v45, off, s[0:3], s32 offset:168
	buffer_load_dword v44, off, s[0:3], s32 offset:172
	buffer_load_dword v43, off, s[0:3], s32 offset:176
	buffer_load_dword v42, off, s[0:3], s32 offset:180
	buffer_load_dword v41, off, s[0:3], s32 offset:184
	buffer_load_dword v40, off, s[0:3], s32 offset:188
	s_waitcnt vmcnt(0) lgkmcnt(0)
	s_setpc_b64 s[30:31]
.LBB228_2218:
	ds_read_b32 v34, v32
	s_waitcnt lgkmcnt(0)
	v_add_f32_e32 v0, v34, v0
	s_or_b32 exec_lo, exec_lo, s4
	s_and_saveexec_b32 s4, vcc_lo
	s_cbranch_execz .LBB228_2146
.LBB228_2219:
	ds_read_b32 v34, v32 offset:16
	s_waitcnt lgkmcnt(0)
	v_add_f32_e32 v1, v34, v1
	s_or_b32 exec_lo, exec_lo, s4
	s_and_saveexec_b32 s4, vcc_lo
	s_cbranch_execz .LBB228_2147
.LBB228_2220:
	ds_read_b32 v34, v32 offset:32
	s_waitcnt lgkmcnt(0)
	v_add_f32_e32 v2, v34, v2
	s_or_b32 exec_lo, exec_lo, s4
	s_and_saveexec_b32 s4, vcc_lo
	s_cbranch_execz .LBB228_2148
.LBB228_2221:
	ds_read_b32 v34, v32 offset:48
	s_waitcnt lgkmcnt(0)
	v_add_f32_e32 v3, v34, v3
	s_or_b32 exec_lo, exec_lo, s4
	s_and_saveexec_b32 s4, vcc_lo
	s_cbranch_execz .LBB228_2149
.LBB228_2222:
	ds_read_b32 v34, v32 offset:64
	s_waitcnt lgkmcnt(0)
	v_add_f32_e32 v4, v34, v4
	s_or_b32 exec_lo, exec_lo, s4
	s_and_saveexec_b32 s4, vcc_lo
	s_cbranch_execz .LBB228_2150
.LBB228_2223:
	ds_read_b32 v34, v32 offset:80
	s_waitcnt lgkmcnt(0)
	v_add_f32_e32 v5, v34, v5
	s_or_b32 exec_lo, exec_lo, s4
	s_and_saveexec_b32 s4, vcc_lo
	s_cbranch_execz .LBB228_2151
.LBB228_2224:
	ds_read_b32 v34, v32 offset:96
	s_waitcnt lgkmcnt(0)
	v_add_f32_e32 v6, v34, v6
	s_or_b32 exec_lo, exec_lo, s4
	s_and_saveexec_b32 s4, vcc_lo
	s_cbranch_execz .LBB228_2152
.LBB228_2225:
	ds_read_b32 v34, v32 offset:112
	s_waitcnt lgkmcnt(0)
	v_add_f32_e32 v7, v34, v7
	s_or_b32 exec_lo, exec_lo, s4
	s_and_saveexec_b32 s4, vcc_lo
	s_cbranch_execz .LBB228_2153
.LBB228_2226:
	ds_read_b32 v34, v32 offset:128
	s_waitcnt lgkmcnt(0)
	v_add_f32_e32 v8, v34, v8
	s_or_b32 exec_lo, exec_lo, s4
	s_and_saveexec_b32 s4, vcc_lo
	s_cbranch_execz .LBB228_2154
.LBB228_2227:
	ds_read_b32 v34, v32 offset:144
	s_waitcnt lgkmcnt(0)
	v_add_f32_e32 v9, v34, v9
	s_or_b32 exec_lo, exec_lo, s4
	s_and_saveexec_b32 s4, vcc_lo
	s_cbranch_execz .LBB228_2155
.LBB228_2228:
	ds_read_b32 v34, v32 offset:160
	s_waitcnt lgkmcnt(0)
	v_add_f32_e32 v10, v34, v10
	s_or_b32 exec_lo, exec_lo, s4
	s_and_saveexec_b32 s4, vcc_lo
	s_cbranch_execz .LBB228_2156
.LBB228_2229:
	ds_read_b32 v34, v32 offset:176
	s_waitcnt lgkmcnt(0)
	v_add_f32_e32 v11, v34, v11
	s_or_b32 exec_lo, exec_lo, s4
	s_and_saveexec_b32 s4, vcc_lo
	s_cbranch_execz .LBB228_2157
.LBB228_2230:
	ds_read_b32 v34, v32 offset:192
	s_waitcnt lgkmcnt(0)
	v_add_f32_e32 v12, v34, v12
	s_or_b32 exec_lo, exec_lo, s4
	s_and_saveexec_b32 s4, vcc_lo
	s_cbranch_execz .LBB228_2158
.LBB228_2231:
	ds_read_b32 v34, v32 offset:208
	s_waitcnt lgkmcnt(0)
	v_add_f32_e32 v13, v34, v13
	s_or_b32 exec_lo, exec_lo, s4
	s_and_saveexec_b32 s4, vcc_lo
	s_cbranch_execz .LBB228_2159
.LBB228_2232:
	ds_read_b32 v34, v32 offset:224
	s_waitcnt lgkmcnt(0)
	v_add_f32_e32 v14, v34, v14
	s_or_b32 exec_lo, exec_lo, s4
	s_and_saveexec_b32 s4, vcc_lo
	s_cbranch_execz .LBB228_2160
.LBB228_2233:
	ds_read_b32 v34, v32 offset:240
	s_waitcnt lgkmcnt(0)
	v_add_f32_e32 v15, v34, v15
	s_or_b32 exec_lo, exec_lo, s4
	s_and_saveexec_b32 s4, vcc_lo
	s_cbranch_execz .LBB228_2161
.LBB228_2234:
	ds_read_b32 v34, v32 offset:256
	s_waitcnt lgkmcnt(0)
	v_add_f32_e32 v16, v34, v16
	s_or_b32 exec_lo, exec_lo, s4
	s_and_saveexec_b32 s4, vcc_lo
	s_cbranch_execz .LBB228_2162
.LBB228_2235:
	ds_read_b32 v34, v32 offset:272
	s_waitcnt lgkmcnt(0)
	v_add_f32_e32 v17, v34, v17
	s_or_b32 exec_lo, exec_lo, s4
	s_and_saveexec_b32 s4, vcc_lo
	s_cbranch_execz .LBB228_2163
.LBB228_2236:
	ds_read_b32 v34, v32 offset:288
	s_waitcnt lgkmcnt(0)
	v_add_f32_e32 v18, v34, v18
	s_or_b32 exec_lo, exec_lo, s4
	s_and_saveexec_b32 s4, vcc_lo
	s_cbranch_execz .LBB228_2164
.LBB228_2237:
	ds_read_b32 v34, v32 offset:304
	s_waitcnt lgkmcnt(0)
	v_add_f32_e32 v19, v34, v19
	s_or_b32 exec_lo, exec_lo, s4
	s_and_saveexec_b32 s4, vcc_lo
	s_cbranch_execz .LBB228_2165
.LBB228_2238:
	ds_read_b32 v34, v32 offset:320
	s_waitcnt lgkmcnt(0)
	v_add_f32_e32 v20, v34, v20
	s_or_b32 exec_lo, exec_lo, s4
	s_and_saveexec_b32 s4, vcc_lo
	s_cbranch_execz .LBB228_2166
.LBB228_2239:
	ds_read_b32 v34, v32 offset:336
	s_waitcnt lgkmcnt(0)
	v_add_f32_e32 v21, v34, v21
	s_or_b32 exec_lo, exec_lo, s4
	s_and_saveexec_b32 s4, vcc_lo
	s_cbranch_execz .LBB228_2167
.LBB228_2240:
	ds_read_b32 v34, v32 offset:352
	s_waitcnt lgkmcnt(0)
	v_add_f32_e32 v22, v34, v22
	s_or_b32 exec_lo, exec_lo, s4
	s_and_saveexec_b32 s4, vcc_lo
	s_cbranch_execz .LBB228_2168
.LBB228_2241:
	ds_read_b32 v34, v32 offset:368
	s_waitcnt lgkmcnt(0)
	v_add_f32_e32 v23, v34, v23
	s_or_b32 exec_lo, exec_lo, s4
	s_and_saveexec_b32 s4, vcc_lo
	s_cbranch_execz .LBB228_2169
.LBB228_2242:
	ds_read_b32 v34, v32 offset:384
	s_waitcnt lgkmcnt(0)
	v_add_f32_e32 v24, v34, v24
	s_or_b32 exec_lo, exec_lo, s4
	s_and_saveexec_b32 s4, vcc_lo
	s_cbranch_execz .LBB228_2170
.LBB228_2243:
	ds_read_b32 v34, v32 offset:400
	s_waitcnt lgkmcnt(0)
	v_add_f32_e32 v25, v34, v25
	s_or_b32 exec_lo, exec_lo, s4
	s_and_saveexec_b32 s4, vcc_lo
	s_cbranch_execz .LBB228_2171
.LBB228_2244:
	ds_read_b32 v34, v32 offset:416
	s_waitcnt lgkmcnt(0)
	v_add_f32_e32 v26, v34, v26
	s_or_b32 exec_lo, exec_lo, s4
	s_and_saveexec_b32 s4, vcc_lo
	s_cbranch_execz .LBB228_2172
.LBB228_2245:
	ds_read_b32 v34, v32 offset:432
	s_waitcnt lgkmcnt(0)
	v_add_f32_e32 v27, v34, v27
	s_or_b32 exec_lo, exec_lo, s4
	s_and_saveexec_b32 s4, vcc_lo
	s_cbranch_execz .LBB228_2173
.LBB228_2246:
	ds_read_b32 v34, v32 offset:448
	s_waitcnt lgkmcnt(0)
	v_add_f32_e32 v28, v34, v28
	s_or_b32 exec_lo, exec_lo, s4
	s_and_saveexec_b32 s4, vcc_lo
	s_cbranch_execz .LBB228_2174
.LBB228_2247:
	ds_read_b32 v34, v32 offset:464
	s_waitcnt lgkmcnt(0)
	v_add_f32_e32 v29, v34, v29
	s_or_b32 exec_lo, exec_lo, s4
	s_and_saveexec_b32 s4, vcc_lo
	s_cbranch_execz .LBB228_2175
.LBB228_2248:
	ds_read_b32 v34, v32 offset:480
	s_waitcnt lgkmcnt(0)
	v_add_f32_e32 v30, v34, v30
	s_or_b32 exec_lo, exec_lo, s4
	s_and_saveexec_b32 s4, vcc_lo
	s_cbranch_execnz .LBB228_2176
	s_branch .LBB228_2177
.LBB228_2249:
	ds_read_b32 v33, v32
	s_waitcnt lgkmcnt(0)
	v_add_f32_e32 v0, v33, v0
	s_or_b32 exec_lo, exec_lo, s4
	s_and_saveexec_b32 s4, vcc_lo
	s_cbranch_execz .LBB228_2183
.LBB228_2250:
	ds_read_b32 v33, v32 offset:16
	s_waitcnt lgkmcnt(0)
	v_add_f32_e32 v1, v33, v1
	s_or_b32 exec_lo, exec_lo, s4
	s_and_saveexec_b32 s4, vcc_lo
	s_cbranch_execz .LBB228_2184
.LBB228_2251:
	ds_read_b32 v33, v32 offset:32
	s_waitcnt lgkmcnt(0)
	v_add_f32_e32 v2, v33, v2
	s_or_b32 exec_lo, exec_lo, s4
	s_and_saveexec_b32 s4, vcc_lo
	s_cbranch_execz .LBB228_2185
.LBB228_2252:
	ds_read_b32 v33, v32 offset:48
	s_waitcnt lgkmcnt(0)
	v_add_f32_e32 v3, v33, v3
	s_or_b32 exec_lo, exec_lo, s4
	s_and_saveexec_b32 s4, vcc_lo
	s_cbranch_execz .LBB228_2186
.LBB228_2253:
	ds_read_b32 v33, v32 offset:64
	s_waitcnt lgkmcnt(0)
	v_add_f32_e32 v4, v33, v4
	s_or_b32 exec_lo, exec_lo, s4
	s_and_saveexec_b32 s4, vcc_lo
	s_cbranch_execz .LBB228_2187
.LBB228_2254:
	ds_read_b32 v33, v32 offset:80
	s_waitcnt lgkmcnt(0)
	v_add_f32_e32 v5, v33, v5
	s_or_b32 exec_lo, exec_lo, s4
	s_and_saveexec_b32 s4, vcc_lo
	s_cbranch_execz .LBB228_2188
.LBB228_2255:
	ds_read_b32 v33, v32 offset:96
	s_waitcnt lgkmcnt(0)
	v_add_f32_e32 v6, v33, v6
	s_or_b32 exec_lo, exec_lo, s4
	s_and_saveexec_b32 s4, vcc_lo
	s_cbranch_execz .LBB228_2189
.LBB228_2256:
	ds_read_b32 v33, v32 offset:112
	s_waitcnt lgkmcnt(0)
	v_add_f32_e32 v7, v33, v7
	s_or_b32 exec_lo, exec_lo, s4
	s_and_saveexec_b32 s4, vcc_lo
	s_cbranch_execz .LBB228_2190
.LBB228_2257:
	ds_read_b32 v33, v32 offset:128
	s_waitcnt lgkmcnt(0)
	v_add_f32_e32 v8, v33, v8
	s_or_b32 exec_lo, exec_lo, s4
	s_and_saveexec_b32 s4, vcc_lo
	s_cbranch_execz .LBB228_2191
.LBB228_2258:
	ds_read_b32 v33, v32 offset:144
	s_waitcnt lgkmcnt(0)
	v_add_f32_e32 v9, v33, v9
	s_or_b32 exec_lo, exec_lo, s4
	s_and_saveexec_b32 s4, vcc_lo
	s_cbranch_execz .LBB228_2192
.LBB228_2259:
	ds_read_b32 v33, v32 offset:160
	s_waitcnt lgkmcnt(0)
	v_add_f32_e32 v10, v33, v10
	s_or_b32 exec_lo, exec_lo, s4
	s_and_saveexec_b32 s4, vcc_lo
	s_cbranch_execz .LBB228_2193
.LBB228_2260:
	ds_read_b32 v33, v32 offset:176
	s_waitcnt lgkmcnt(0)
	v_add_f32_e32 v11, v33, v11
	s_or_b32 exec_lo, exec_lo, s4
	s_and_saveexec_b32 s4, vcc_lo
	s_cbranch_execz .LBB228_2194
.LBB228_2261:
	ds_read_b32 v33, v32 offset:192
	s_waitcnt lgkmcnt(0)
	v_add_f32_e32 v12, v33, v12
	s_or_b32 exec_lo, exec_lo, s4
	s_and_saveexec_b32 s4, vcc_lo
	s_cbranch_execz .LBB228_2195
.LBB228_2262:
	ds_read_b32 v33, v32 offset:208
	s_waitcnt lgkmcnt(0)
	v_add_f32_e32 v13, v33, v13
	s_or_b32 exec_lo, exec_lo, s4
	s_and_saveexec_b32 s4, vcc_lo
	s_cbranch_execz .LBB228_2196
.LBB228_2263:
	ds_read_b32 v33, v32 offset:224
	s_waitcnt lgkmcnt(0)
	v_add_f32_e32 v14, v33, v14
	s_or_b32 exec_lo, exec_lo, s4
	s_and_saveexec_b32 s4, vcc_lo
	s_cbranch_execz .LBB228_2197
.LBB228_2264:
	ds_read_b32 v33, v32 offset:240
	s_waitcnt lgkmcnt(0)
	v_add_f32_e32 v15, v33, v15
	s_or_b32 exec_lo, exec_lo, s4
	s_and_saveexec_b32 s4, vcc_lo
	s_cbranch_execz .LBB228_2198
.LBB228_2265:
	ds_read_b32 v33, v32 offset:256
	s_waitcnt lgkmcnt(0)
	v_add_f32_e32 v16, v33, v16
	s_or_b32 exec_lo, exec_lo, s4
	s_and_saveexec_b32 s4, vcc_lo
	s_cbranch_execz .LBB228_2199
.LBB228_2266:
	ds_read_b32 v33, v32 offset:272
	s_waitcnt lgkmcnt(0)
	v_add_f32_e32 v17, v33, v17
	s_or_b32 exec_lo, exec_lo, s4
	s_and_saveexec_b32 s4, vcc_lo
	s_cbranch_execz .LBB228_2200
.LBB228_2267:
	ds_read_b32 v33, v32 offset:288
	s_waitcnt lgkmcnt(0)
	v_add_f32_e32 v18, v33, v18
	s_or_b32 exec_lo, exec_lo, s4
	s_and_saveexec_b32 s4, vcc_lo
	s_cbranch_execz .LBB228_2201
.LBB228_2268:
	ds_read_b32 v33, v32 offset:304
	s_waitcnt lgkmcnt(0)
	v_add_f32_e32 v19, v33, v19
	s_or_b32 exec_lo, exec_lo, s4
	s_and_saveexec_b32 s4, vcc_lo
	s_cbranch_execz .LBB228_2202
.LBB228_2269:
	ds_read_b32 v33, v32 offset:320
	s_waitcnt lgkmcnt(0)
	v_add_f32_e32 v20, v33, v20
	s_or_b32 exec_lo, exec_lo, s4
	s_and_saveexec_b32 s4, vcc_lo
	s_cbranch_execz .LBB228_2203
.LBB228_2270:
	ds_read_b32 v33, v32 offset:336
	s_waitcnt lgkmcnt(0)
	v_add_f32_e32 v21, v33, v21
	s_or_b32 exec_lo, exec_lo, s4
	s_and_saveexec_b32 s4, vcc_lo
	s_cbranch_execz .LBB228_2204
.LBB228_2271:
	ds_read_b32 v33, v32 offset:352
	s_waitcnt lgkmcnt(0)
	v_add_f32_e32 v22, v33, v22
	s_or_b32 exec_lo, exec_lo, s4
	s_and_saveexec_b32 s4, vcc_lo
	s_cbranch_execz .LBB228_2205
.LBB228_2272:
	ds_read_b32 v33, v32 offset:368
	s_waitcnt lgkmcnt(0)
	v_add_f32_e32 v23, v33, v23
	s_or_b32 exec_lo, exec_lo, s4
	s_and_saveexec_b32 s4, vcc_lo
	s_cbranch_execz .LBB228_2206
.LBB228_2273:
	ds_read_b32 v33, v32 offset:384
	s_waitcnt lgkmcnt(0)
	v_add_f32_e32 v24, v33, v24
	s_or_b32 exec_lo, exec_lo, s4
	s_and_saveexec_b32 s4, vcc_lo
	s_cbranch_execz .LBB228_2207
.LBB228_2274:
	ds_read_b32 v33, v32 offset:400
	s_waitcnt lgkmcnt(0)
	v_add_f32_e32 v25, v33, v25
	s_or_b32 exec_lo, exec_lo, s4
	s_and_saveexec_b32 s4, vcc_lo
	s_cbranch_execz .LBB228_2208
.LBB228_2275:
	ds_read_b32 v33, v32 offset:416
	s_waitcnt lgkmcnt(0)
	v_add_f32_e32 v26, v33, v26
	s_or_b32 exec_lo, exec_lo, s4
	s_and_saveexec_b32 s4, vcc_lo
	s_cbranch_execz .LBB228_2209
.LBB228_2276:
	ds_read_b32 v33, v32 offset:432
	s_waitcnt lgkmcnt(0)
	v_add_f32_e32 v27, v33, v27
	s_or_b32 exec_lo, exec_lo, s4
	s_and_saveexec_b32 s4, vcc_lo
	s_cbranch_execz .LBB228_2210
.LBB228_2277:
	ds_read_b32 v33, v32 offset:448
	s_waitcnt lgkmcnt(0)
	v_add_f32_e32 v28, v33, v28
	s_or_b32 exec_lo, exec_lo, s4
	s_and_saveexec_b32 s4, vcc_lo
	s_cbranch_execz .LBB228_2211
.LBB228_2278:
	ds_read_b32 v33, v32 offset:464
	s_waitcnt lgkmcnt(0)
	v_add_f32_e32 v29, v33, v29
	s_or_b32 exec_lo, exec_lo, s4
	s_and_saveexec_b32 s4, vcc_lo
	s_cbranch_execz .LBB228_2212
.LBB228_2279:
	ds_read_b32 v33, v32 offset:480
	s_waitcnt lgkmcnt(0)
	v_add_f32_e32 v30, v33, v30
	s_or_b32 exec_lo, exec_lo, s4
	s_and_saveexec_b32 s4, vcc_lo
	s_cbranch_execnz .LBB228_2213
	s_branch .LBB228_2214
.Lfunc_end228:
	.size	_ZN4vllm22paged_attention_kernelIfhLi128ELi32ELi128ELNS_18Fp8KVCacheDataTypeE1ELb0ELi0EEEvPfS2_PT_PKS3_PKT0_S9_ifPKiSB_iPKfiiiSD_SD_iiiii, .Lfunc_end228-_ZN4vllm22paged_attention_kernelIfhLi128ELi32ELi128ELNS_18Fp8KVCacheDataTypeE1ELb0ELi0EEEvPfS2_PT_PKS3_PKT0_S9_ifPKiSB_iPKfiiiSD_SD_iiiii
                                        ; -- End function
	.set .L_ZN4vllm22paged_attention_kernelIfhLi128ELi32ELi128ELNS_18Fp8KVCacheDataTypeE1ELb0ELi0EEEvPfS2_PT_PKS3_PKT0_S9_ifPKiSB_iPKfiiiSD_SD_iiiii.num_vgpr, 128
	.set .L_ZN4vllm22paged_attention_kernelIfhLi128ELi32ELi128ELNS_18Fp8KVCacheDataTypeE1ELb0ELi0EEEvPfS2_PT_PKS3_PKT0_S9_ifPKiSB_iPKfiiiSD_SD_iiiii.num_agpr, 0
	.set .L_ZN4vllm22paged_attention_kernelIfhLi128ELi32ELi128ELNS_18Fp8KVCacheDataTypeE1ELb0ELi0EEEvPfS2_PT_PKS3_PKT0_S9_ifPKiSB_iPKfiiiSD_SD_iiiii.numbered_sgpr, 33
	.set .L_ZN4vllm22paged_attention_kernelIfhLi128ELi32ELi128ELNS_18Fp8KVCacheDataTypeE1ELb0ELi0EEEvPfS2_PT_PKS3_PKT0_S9_ifPKiSB_iPKfiiiSD_SD_iiiii.num_named_barrier, 0
	.set .L_ZN4vllm22paged_attention_kernelIfhLi128ELi32ELi128ELNS_18Fp8KVCacheDataTypeE1ELb0ELi0EEEvPfS2_PT_PKS3_PKT0_S9_ifPKiSB_iPKfiiiSD_SD_iiiii.private_seg_size, 1508
	.set .L_ZN4vllm22paged_attention_kernelIfhLi128ELi32ELi128ELNS_18Fp8KVCacheDataTypeE1ELb0ELi0EEEvPfS2_PT_PKS3_PKT0_S9_ifPKiSB_iPKfiiiSD_SD_iiiii.uses_vcc, 1
	.set .L_ZN4vllm22paged_attention_kernelIfhLi128ELi32ELi128ELNS_18Fp8KVCacheDataTypeE1ELb0ELi0EEEvPfS2_PT_PKS3_PKT0_S9_ifPKiSB_iPKfiiiSD_SD_iiiii.uses_flat_scratch, 0
	.set .L_ZN4vllm22paged_attention_kernelIfhLi128ELi32ELi128ELNS_18Fp8KVCacheDataTypeE1ELb0ELi0EEEvPfS2_PT_PKS3_PKT0_S9_ifPKiSB_iPKfiiiSD_SD_iiiii.has_dyn_sized_stack, 0
	.set .L_ZN4vllm22paged_attention_kernelIfhLi128ELi32ELi128ELNS_18Fp8KVCacheDataTypeE1ELb0ELi0EEEvPfS2_PT_PKS3_PKT0_S9_ifPKiSB_iPKfiiiSD_SD_iiiii.has_recursion, 0
	.set .L_ZN4vllm22paged_attention_kernelIfhLi128ELi32ELi128ELNS_18Fp8KVCacheDataTypeE1ELb0ELi0EEEvPfS2_PT_PKS3_PKT0_S9_ifPKiSB_iPKfiiiSD_SD_iiiii.has_indirect_call, 0
	.section	.AMDGPU.csdata,"",@progbits
; Function info:
; codeLenInByte = 79280
; TotalNumSgprs: 35
; NumVgprs: 128
; ScratchSize: 1508
; MemoryBound: 0
	.section	.text._ZN4vllm25paged_attention_v1_kernelIfhLi128ELi32ELi128ELNS_18Fp8KVCacheDataTypeE1ELb0EEEvPT_PKS2_PKT0_S8_ifPKiSA_iPKfiiiSC_SC_iiiii,"axG",@progbits,_ZN4vllm25paged_attention_v1_kernelIfhLi128ELi32ELi128ELNS_18Fp8KVCacheDataTypeE1ELb0EEEvPT_PKS2_PKT0_S8_ifPKiSA_iPKfiiiSC_SC_iiiii,comdat
	.protected	_ZN4vllm25paged_attention_v1_kernelIfhLi128ELi32ELi128ELNS_18Fp8KVCacheDataTypeE1ELb0EEEvPT_PKS2_PKT0_S8_ifPKiSA_iPKfiiiSC_SC_iiiii ; -- Begin function _ZN4vllm25paged_attention_v1_kernelIfhLi128ELi32ELi128ELNS_18Fp8KVCacheDataTypeE1ELb0EEEvPT_PKS2_PKT0_S8_ifPKiSA_iPKfiiiSC_SC_iiiii
	.globl	_ZN4vllm25paged_attention_v1_kernelIfhLi128ELi32ELi128ELNS_18Fp8KVCacheDataTypeE1ELb0EEEvPT_PKS2_PKT0_S8_ifPKiSA_iPKfiiiSC_SC_iiiii
	.p2align	8
	.type	_ZN4vllm25paged_attention_v1_kernelIfhLi128ELi32ELi128ELNS_18Fp8KVCacheDataTypeE1ELb0EEEvPT_PKS2_PKT0_S8_ifPKiSA_iPKfiiiSC_SC_iiiii,@function
_ZN4vllm25paged_attention_v1_kernelIfhLi128ELi32ELi128ELNS_18Fp8KVCacheDataTypeE1ELb0EEEvPT_PKS2_PKT0_S8_ifPKiSA_iPKfiiiSC_SC_iiiii: ; @_ZN4vllm25paged_attention_v1_kernelIfhLi128ELi32ELi128ELNS_18Fp8KVCacheDataTypeE1ELb0EEEvPT_PKS2_PKT0_S8_ifPKiSA_iPKfiiiSC_SC_iiiii
; %bb.0:
	s_clause 0x5
	s_load_dwordx8 s[16:23], s[4:5], 0x0
	s_load_dwordx4 s[36:39], s[4:5], 0x20
	s_load_dwordx2 s[10:11], s[4:5], 0x30
	s_load_dword s13, s[4:5], 0x38
	s_load_dwordx2 s[34:35], s[4:5], 0x40
	s_load_dwordx8 s[24:31], s[4:5], 0x48
	s_add_u32 s0, s0, s9
	s_addc_u32 s1, s1, 0
	v_mov_b32_e32 v31, v0
	s_mov_b32 s14, s8
	s_add_u32 s8, s4, 0x80
	s_addc_u32 s9, s5, 0
	s_getpc_b64 s[4:5]
	s_add_u32 s4, s4, _ZN4vllm22paged_attention_kernelIfhLi128ELi32ELi128ELNS_18Fp8KVCacheDataTypeE1ELb0ELi0EEEvPfS2_PT_PKS3_PKT0_S9_ifPKiSB_iPKfiiiSD_SD_iiiii@rel32@lo+4
	s_addc_u32 s5, s5, _ZN4vllm22paged_attention_kernelIfhLi128ELi32ELi128ELNS_18Fp8KVCacheDataTypeE1ELb0ELi0EEEvPfS2_PT_PKS3_PKT0_S9_ifPKiSB_iPKfiiiSD_SD_iiiii@rel32@hi+12
	s_mov_b32 s12, s6
	s_mov_b32 s15, 20
	;; [unrolled: 1-line block ×3, first 2 shown]
	s_waitcnt lgkmcnt(0)
	v_mov_b32_e32 v0, s16
	v_mov_b32_e32 v1, s17
	;; [unrolled: 1-line block ×24, first 2 shown]
	s_mov_b32 s13, s7
	s_swappc_b64 s[30:31], s[4:5]
	s_endpgm
	.section	.rodata,"a",@progbits
	.p2align	6, 0x0
	.amdhsa_kernel _ZN4vllm25paged_attention_v1_kernelIfhLi128ELi32ELi128ELNS_18Fp8KVCacheDataTypeE1ELb0EEEvPT_PKS2_PKT0_S8_ifPKiSA_iPKfiiiSC_SC_iiiii
		.amdhsa_group_segment_fixed_size 544
		.amdhsa_private_segment_fixed_size 1508
		.amdhsa_kernarg_size 384
		.amdhsa_user_sgpr_count 6
		.amdhsa_user_sgpr_private_segment_buffer 1
		.amdhsa_user_sgpr_dispatch_ptr 0
		.amdhsa_user_sgpr_queue_ptr 0
		.amdhsa_user_sgpr_kernarg_segment_ptr 1
		.amdhsa_user_sgpr_dispatch_id 0
		.amdhsa_user_sgpr_flat_scratch_init 0
		.amdhsa_user_sgpr_private_segment_size 0
		.amdhsa_wavefront_size32 1
		.amdhsa_uses_dynamic_stack 0
		.amdhsa_system_sgpr_private_segment_wavefront_offset 1
		.amdhsa_system_sgpr_workgroup_id_x 1
		.amdhsa_system_sgpr_workgroup_id_y 1
		.amdhsa_system_sgpr_workgroup_id_z 1
		.amdhsa_system_sgpr_workgroup_info 0
		.amdhsa_system_vgpr_workitem_id 0
		.amdhsa_next_free_vgpr 128
		.amdhsa_next_free_sgpr 40
		.amdhsa_reserve_vcc 1
		.amdhsa_reserve_flat_scratch 0
		.amdhsa_float_round_mode_32 0
		.amdhsa_float_round_mode_16_64 0
		.amdhsa_float_denorm_mode_32 3
		.amdhsa_float_denorm_mode_16_64 3
		.amdhsa_dx10_clamp 1
		.amdhsa_ieee_mode 1
		.amdhsa_fp16_overflow 0
		.amdhsa_workgroup_processor_mode 1
		.amdhsa_memory_ordered 1
		.amdhsa_forward_progress 1
		.amdhsa_shared_vgpr_count 0
		.amdhsa_exception_fp_ieee_invalid_op 0
		.amdhsa_exception_fp_denorm_src 0
		.amdhsa_exception_fp_ieee_div_zero 0
		.amdhsa_exception_fp_ieee_overflow 0
		.amdhsa_exception_fp_ieee_underflow 0
		.amdhsa_exception_fp_ieee_inexact 0
		.amdhsa_exception_int_div_zero 0
	.end_amdhsa_kernel
	.section	.text._ZN4vllm25paged_attention_v1_kernelIfhLi128ELi32ELi128ELNS_18Fp8KVCacheDataTypeE1ELb0EEEvPT_PKS2_PKT0_S8_ifPKiSA_iPKfiiiSC_SC_iiiii,"axG",@progbits,_ZN4vllm25paged_attention_v1_kernelIfhLi128ELi32ELi128ELNS_18Fp8KVCacheDataTypeE1ELb0EEEvPT_PKS2_PKT0_S8_ifPKiSA_iPKfiiiSC_SC_iiiii,comdat
.Lfunc_end229:
	.size	_ZN4vllm25paged_attention_v1_kernelIfhLi128ELi32ELi128ELNS_18Fp8KVCacheDataTypeE1ELb0EEEvPT_PKS2_PKT0_S8_ifPKiSA_iPKfiiiSC_SC_iiiii, .Lfunc_end229-_ZN4vllm25paged_attention_v1_kernelIfhLi128ELi32ELi128ELNS_18Fp8KVCacheDataTypeE1ELb0EEEvPT_PKS2_PKT0_S8_ifPKiSA_iPKfiiiSC_SC_iiiii
                                        ; -- End function
	.set _ZN4vllm25paged_attention_v1_kernelIfhLi128ELi32ELi128ELNS_18Fp8KVCacheDataTypeE1ELb0EEEvPT_PKS2_PKT0_S8_ifPKiSA_iPKfiiiSC_SC_iiiii.num_vgpr, max(32, .L_ZN4vllm22paged_attention_kernelIfhLi128ELi32ELi128ELNS_18Fp8KVCacheDataTypeE1ELb0ELi0EEEvPfS2_PT_PKS3_PKT0_S9_ifPKiSB_iPKfiiiSD_SD_iiiii.num_vgpr)
	.set _ZN4vllm25paged_attention_v1_kernelIfhLi128ELi32ELi128ELNS_18Fp8KVCacheDataTypeE1ELb0EEEvPT_PKS2_PKT0_S8_ifPKiSA_iPKfiiiSC_SC_iiiii.num_agpr, max(0, .L_ZN4vllm22paged_attention_kernelIfhLi128ELi32ELi128ELNS_18Fp8KVCacheDataTypeE1ELb0ELi0EEEvPfS2_PT_PKS3_PKT0_S9_ifPKiSB_iPKfiiiSD_SD_iiiii.num_agpr)
	.set _ZN4vllm25paged_attention_v1_kernelIfhLi128ELi32ELi128ELNS_18Fp8KVCacheDataTypeE1ELb0EEEvPT_PKS2_PKT0_S8_ifPKiSA_iPKfiiiSC_SC_iiiii.numbered_sgpr, max(40, .L_ZN4vllm22paged_attention_kernelIfhLi128ELi32ELi128ELNS_18Fp8KVCacheDataTypeE1ELb0ELi0EEEvPfS2_PT_PKS3_PKT0_S9_ifPKiSB_iPKfiiiSD_SD_iiiii.numbered_sgpr)
	.set _ZN4vllm25paged_attention_v1_kernelIfhLi128ELi32ELi128ELNS_18Fp8KVCacheDataTypeE1ELb0EEEvPT_PKS2_PKT0_S8_ifPKiSA_iPKfiiiSC_SC_iiiii.num_named_barrier, max(0, .L_ZN4vllm22paged_attention_kernelIfhLi128ELi32ELi128ELNS_18Fp8KVCacheDataTypeE1ELb0ELi0EEEvPfS2_PT_PKS3_PKT0_S9_ifPKiSB_iPKfiiiSD_SD_iiiii.num_named_barrier)
	.set _ZN4vllm25paged_attention_v1_kernelIfhLi128ELi32ELi128ELNS_18Fp8KVCacheDataTypeE1ELb0EEEvPT_PKS2_PKT0_S8_ifPKiSA_iPKfiiiSC_SC_iiiii.private_seg_size, 0+max(.L_ZN4vllm22paged_attention_kernelIfhLi128ELi32ELi128ELNS_18Fp8KVCacheDataTypeE1ELb0ELi0EEEvPfS2_PT_PKS3_PKT0_S9_ifPKiSB_iPKfiiiSD_SD_iiiii.private_seg_size)
	.set _ZN4vllm25paged_attention_v1_kernelIfhLi128ELi32ELi128ELNS_18Fp8KVCacheDataTypeE1ELb0EEEvPT_PKS2_PKT0_S8_ifPKiSA_iPKfiiiSC_SC_iiiii.uses_vcc, or(1, .L_ZN4vllm22paged_attention_kernelIfhLi128ELi32ELi128ELNS_18Fp8KVCacheDataTypeE1ELb0ELi0EEEvPfS2_PT_PKS3_PKT0_S9_ifPKiSB_iPKfiiiSD_SD_iiiii.uses_vcc)
	.set _ZN4vllm25paged_attention_v1_kernelIfhLi128ELi32ELi128ELNS_18Fp8KVCacheDataTypeE1ELb0EEEvPT_PKS2_PKT0_S8_ifPKiSA_iPKfiiiSC_SC_iiiii.uses_flat_scratch, or(0, .L_ZN4vllm22paged_attention_kernelIfhLi128ELi32ELi128ELNS_18Fp8KVCacheDataTypeE1ELb0ELi0EEEvPfS2_PT_PKS3_PKT0_S9_ifPKiSB_iPKfiiiSD_SD_iiiii.uses_flat_scratch)
	.set _ZN4vllm25paged_attention_v1_kernelIfhLi128ELi32ELi128ELNS_18Fp8KVCacheDataTypeE1ELb0EEEvPT_PKS2_PKT0_S8_ifPKiSA_iPKfiiiSC_SC_iiiii.has_dyn_sized_stack, or(0, .L_ZN4vllm22paged_attention_kernelIfhLi128ELi32ELi128ELNS_18Fp8KVCacheDataTypeE1ELb0ELi0EEEvPfS2_PT_PKS3_PKT0_S9_ifPKiSB_iPKfiiiSD_SD_iiiii.has_dyn_sized_stack)
	.set _ZN4vllm25paged_attention_v1_kernelIfhLi128ELi32ELi128ELNS_18Fp8KVCacheDataTypeE1ELb0EEEvPT_PKS2_PKT0_S8_ifPKiSA_iPKfiiiSC_SC_iiiii.has_recursion, or(0, .L_ZN4vllm22paged_attention_kernelIfhLi128ELi32ELi128ELNS_18Fp8KVCacheDataTypeE1ELb0ELi0EEEvPfS2_PT_PKS3_PKT0_S9_ifPKiSB_iPKfiiiSD_SD_iiiii.has_recursion)
	.set _ZN4vllm25paged_attention_v1_kernelIfhLi128ELi32ELi128ELNS_18Fp8KVCacheDataTypeE1ELb0EEEvPT_PKS2_PKT0_S8_ifPKiSA_iPKfiiiSC_SC_iiiii.has_indirect_call, or(0, .L_ZN4vllm22paged_attention_kernelIfhLi128ELi32ELi128ELNS_18Fp8KVCacheDataTypeE1ELb0ELi0EEEvPfS2_PT_PKS3_PKT0_S9_ifPKiSB_iPKfiiiSD_SD_iiiii.has_indirect_call)
	.section	.AMDGPU.csdata,"",@progbits
; Kernel info:
; codeLenInByte = 224
; TotalNumSgprs: 42
; NumVgprs: 128
; ScratchSize: 1508
; MemoryBound: 0
; FloatMode: 240
; IeeeMode: 1
; LDSByteSize: 544 bytes/workgroup (compile time only)
; SGPRBlocks: 0
; VGPRBlocks: 15
; NumSGPRsForWavesPerEU: 42
; NumVGPRsForWavesPerEU: 128
; Occupancy: 8
; WaveLimiterHint : 1
; COMPUTE_PGM_RSRC2:SCRATCH_EN: 1
; COMPUTE_PGM_RSRC2:USER_SGPR: 6
; COMPUTE_PGM_RSRC2:TRAP_HANDLER: 0
; COMPUTE_PGM_RSRC2:TGID_X_EN: 1
; COMPUTE_PGM_RSRC2:TGID_Y_EN: 1
; COMPUTE_PGM_RSRC2:TGID_Z_EN: 1
; COMPUTE_PGM_RSRC2:TIDIG_COMP_CNT: 0
	.text
	.p2align	2                               ; -- Begin function _ZN4vllm22paged_attention_kernelIfhLi192ELi32ELi128ELNS_18Fp8KVCacheDataTypeE1ELb0ELi0EEEvPfS2_PT_PKS3_PKT0_S9_ifPKiSB_iPKfiiiSD_SD_iiiii
	.type	_ZN4vllm22paged_attention_kernelIfhLi192ELi32ELi128ELNS_18Fp8KVCacheDataTypeE1ELb0ELi0EEEvPfS2_PT_PKS3_PKT0_S9_ifPKiSB_iPKfiiiSD_SD_iiiii,@function
_ZN4vllm22paged_attention_kernelIfhLi192ELi32ELi128ELNS_18Fp8KVCacheDataTypeE1ELb0ELi0EEEvPfS2_PT_PKS3_PKT0_S9_ifPKiSB_iPKfiiiSD_SD_iiiii: ; @_ZN4vllm22paged_attention_kernelIfhLi192ELi32ELi128ELNS_18Fp8KVCacheDataTypeE1ELb0ELi0EEEvPfS2_PT_PKS3_PKT0_S9_ifPKiSB_iPKfiiiSD_SD_iiiii
; %bb.0:
	s_waitcnt vmcnt(0) expcnt(0) lgkmcnt(0)
	buffer_store_dword v40, off, s[0:3], s32 offset:188 ; 4-byte Folded Spill
	buffer_store_dword v41, off, s[0:3], s32 offset:184 ; 4-byte Folded Spill
	;; [unrolled: 1-line block ×47, first 2 shown]
	buffer_store_dword v127, off, s[0:3], s32 ; 4-byte Folded Spill
	s_mov_b32 s10, s13
	s_ashr_i32 s11, s13, 31
	buffer_store_dword v20, off, s[0:3], s32 offset:1532 ; 4-byte Folded Spill
	buffer_store_dword v21, off, s[0:3], s32 offset:1536 ; 4-byte Folded Spill
	buffer_store_dword v18, off, s[0:3], s32 offset:1308 ; 4-byte Folded Spill
	buffer_store_dword v9, off, s[0:3], s32 offset:1540 ; 4-byte Folded Spill
	s_lshl_b64 s[4:5], s[10:11], 2
	buffer_store_dword v1, off, s[0:3], s32 offset:2332 ; 4-byte Folded Spill
	buffer_store_dword v0, off, s[0:3], s32 offset:2336 ; 4-byte Folded Spill
	v_add_co_u32 v0, vcc_lo, v12, s4
	v_add_co_ci_u32_e64 v1, null, s5, v13, vcc_lo
	s_clause 0x1
	s_load_dword s4, s[8:9], 0x10
	s_load_dword s5, s[8:9], 0x0
	v_mov_b32_e32 v21, v6
	flat_load_dword v73, v[0:1]
	v_sub_nc_u32_e32 v0, 0, v8
	v_mov_b32_e32 v20, v7
	s_mov_b32 s16, s15
	v_max_i32_e32 v0, v8, v0
	v_cvt_f32_u32_e32 v1, v0
	v_sub_nc_u32_e32 v6, 0, v0
	v_rcp_iflag_f32_e32 v1, v1
	s_waitcnt lgkmcnt(0)
	s_lshr_b32 s4, s4, 16
	s_cmp_lg_u32 s4, 0
	s_cselect_b32 s4, -1, 0
	s_cmp_lg_u32 s4, 0
	s_addc_u32 s11, s5, 0
	v_mul_f32_e32 v1, 0x4f7ffffe, v1
	s_abs_i32 s4, s11
	s_mov_b32 s5, exec_lo
	v_cvt_u32_f32_e32 v1, v1
	v_mul_lo_u32 v6, v6, v1
	v_mul_hi_u32 v6, v1, v6
	v_add_nc_u32_e32 v1, v1, v6
	v_mul_hi_u32 v1, s4, v1
	v_mul_lo_u32 v6, v1, v0
	v_add_nc_u32_e32 v7, 1, v1
	v_sub_nc_u32_e32 v6, s4, v6
	s_abs_i32 s4, s12
	v_sub_nc_u32_e32 v9, v6, v0
	v_cmp_ge_u32_e32 vcc_lo, v6, v0
	v_cndmask_b32_e32 v1, v1, v7, vcc_lo
	v_cndmask_b32_e32 v6, v6, v9, vcc_lo
	v_xor_b32_e32 v7, s11, v8
	v_add_nc_u32_e32 v8, 1, v1
	v_cmp_ge_u32_e32 vcc_lo, v6, v0
	v_ashrrev_i32_e32 v7, 31, v7
	v_cndmask_b32_e32 v0, v1, v8, vcc_lo
	v_xor_b32_e32 v0, v0, v7
	v_sub_nc_u32_e32 v7, v0, v7
	v_sub_nc_u32_e32 v0, 0, v7
	v_max_i32_e32 v6, v7, v0
	v_cvt_f32_u32_e32 v0, v6
	v_sub_nc_u32_e32 v1, 0, v6
	v_rcp_iflag_f32_e32 v0, v0
	v_mul_f32_e32 v0, 0x4f7ffffe, v0
	v_cvt_u32_f32_e32 v0, v0
	v_mul_lo_u32 v1, v1, v0
	v_mul_hi_u32 v1, v0, v1
	v_add_nc_u32_e32 v0, v0, v1
	v_mad_u64_u32 v[0:1], null, s4, v0, 0
	v_mov_b32_e32 v0, 0
	buffer_store_dword v0, off, s[0:3], s32 offset:1528 ; 4-byte Folded Spill
	v_cmpx_ne_u64_e32 0, v[15:16]
	s_cbranch_execz .LBB230_2
; %bb.1:
	s_ashr_i32 s13, s12, 31
	s_lshl_b64 s[6:7], s[12:13], 2
	v_add_co_u32 v8, vcc_lo, v15, s6
	v_add_co_ci_u32_e64 v9, null, s7, v16, vcc_lo
	flat_load_dword v0, v[8:9]
	s_waitcnt vmcnt(0) lgkmcnt(0)
	buffer_store_dword v0, off, s[0:3], s32 offset:1528 ; 4-byte Folded Spill
.LBB230_2:
	s_or_b32 exec_lo, exec_lo, s5
	v_and_b32_e32 v12, 0x3ff, v31
	v_ashrrev_i32_e32 v0, 31, v7
	s_ashr_i32 s5, s12, 31
	s_mulk_i32 s12, 0xc0
	s_mov_b32 s6, exec_lo
	v_cmpx_gt_u32_e32 48, v12
	s_cbranch_execz .LBB230_4
; %bb.3:
	v_mul_lo_u32 v7, v17, s10
	s_ashr_i32 s13, s12, 31
	v_lshlrev_b32_e32 v13, 4, v12
	s_lshl_b64 s[18:19], s[12:13], 2
	v_ashrrev_i32_e32 v8, 31, v7
	v_lshlrev_b64 v[7:8], 2, v[7:8]
	v_add_co_u32 v2, vcc_lo, v2, v7
	v_add_co_ci_u32_e64 v3, null, v3, v8, vcc_lo
	v_add_co_u32 v2, vcc_lo, v2, s18
	v_add_co_ci_u32_e64 v3, null, s19, v3, vcc_lo
	;; [unrolled: 2-line block ×3, first 2 shown]
	flat_load_dwordx4 v[15:18], v[2:3]
	s_waitcnt vmcnt(0) lgkmcnt(0)
	ds_write_b128 v13, v[15:18]
.LBB230_4:
	s_or_b32 exec_lo, exec_lo, s6
	v_mul_lo_u32 v2, v1, v6
	v_add_nc_u32_e32 v3, 1, v1
	v_xor_b32_e32 v8, s5, v0
	s_clause 0x1
	s_load_dword s13, s[8:9], 0x14
	s_load_dword s8, s[8:9], 0x8
	v_mul_lo_u32 v0, v14, s10
	v_mov_b32_e32 v28, 0xff7fffff
	v_lshrrev_b32_e32 v13, 3, v12
	s_mov_b32 s9, exec_lo
	v_sub_nc_u32_e32 v2, s4, v2
	buffer_store_dword v12, off, s[0:3], s32 offset:2320 ; 4-byte Folded Spill
	v_sub_nc_u32_e32 v7, v2, v6
	v_cmp_ge_u32_e32 vcc_lo, v2, v6
	v_cndmask_b32_e32 v1, v1, v3, vcc_lo
	v_cndmask_b32_e32 v2, v2, v7, vcc_lo
	s_waitcnt vmcnt(0)
	v_add_nc_u32_e32 v7, 31, v73
	v_add_nc_u32_e32 v3, 1, v1
	v_cmp_ge_u32_e32 vcc_lo, v2, v6
	v_ashrrev_i32_e32 v2, 31, v7
	v_lshrrev_b32_e32 v6, 5, v12
	v_cndmask_b32_e32 v1, v1, v3, vcc_lo
	v_lshrrev_b32_e32 v2, 27, v2
	v_xor_b32_e32 v1, v1, v8
	v_add_nc_u32_e32 v2, v7, v2
	v_sub_nc_u32_e32 v3, v1, v8
	v_ashrrev_i32_e32 v1, 31, v0
	v_mul_lo_u32 v17, v3, v19
	v_ashrrev_i32_e32 v3, 5, v2
	v_and_b32_e32 v2, 31, v12
	v_lshlrev_b64 v[14:15], 2, v[0:1]
	buffer_store_dword v6, off, s[0:3], s32 offset:2328 ; 4-byte Folded Spill
	buffer_store_dword v3, off, s[0:3], s32 offset:192 ; 4-byte Folded Spill
	v_cmp_ge_i32_e64 s4, v6, v3
	v_lshlrev_b32_e32 v16, 2, v2
	v_ashrrev_i32_e32 v18, 31, v17
	buffer_store_dword v2, off, s[0:3], s32 offset:2324 ; 4-byte Folded Spill
	s_waitcnt lgkmcnt(0)
	s_waitcnt_vscnt null, 0x0
	s_barrier
	buffer_gl0_inv
	v_cmpx_lt_i32_e64 v6, v3
	s_cbranch_execz .LBB230_1544
; %bb.5:
	buffer_store_dword v21, off, s[0:3], s32 offset:2360 ; 4-byte Folded Spill
	buffer_store_dword v20, off, s[0:3], s32 offset:2356 ; 4-byte Folded Spill
	;; [unrolled: 1-line block ×5, first 2 shown]
	v_add_co_u32 v0, vcc_lo, v4, v17
	buffer_load_dword v4, off, s[0:3], s32 offset:2324 ; 4-byte Folded Reload
	v_add_co_ci_u32_e64 v2, null, v5, v18, vcc_lo
	v_mov_b32_e32 v27, 0
	buffer_store_dword v18, off, s[0:3], s32 offset:2380 ; 4-byte Folded Spill
	s_ashr_i32 s17, s16, 31
	v_mov_b32_e32 v28, 0xff7fffff
	s_lshl_b64 s[6:7], s[16:17], 2
	s_getpc_b64 s[18:19]
	s_add_u32 s18, s18, llvm.amdgcn.dynlds.offset.table@rel32@lo+4
	s_addc_u32 s19, s19, llvm.amdgcn.dynlds.offset.table@rel32@hi+12
	s_add_u32 s6, s18, s6
	s_addc_u32 s7, s19, s7
	v_bfrev_b32_e32 v77, 1
	v_mov_b32_e32 v107, 0x7f800001
	s_mov_b32 s15, 0
	s_waitcnt vmcnt(0)
	v_lshlrev_b32_e32 v3, 4, v4
	v_add_co_u32 v5, vcc_lo, v0, v3
	v_add_co_ci_u32_e64 v6, null, 0, v2, vcc_lo
	buffer_store_dword v5, off, s[0:3], s32 offset:1544 ; 4-byte Folded Spill
	buffer_store_dword v6, off, s[0:3], s32 offset:1548 ; 4-byte Folded Spill
	ds_read_b128 v[5:8], v27
	s_waitcnt lgkmcnt(0)
	buffer_store_dword v5, off, s[0:3], s32 offset:1552 ; 4-byte Folded Spill
	buffer_store_dword v6, off, s[0:3], s32 offset:1556 ; 4-byte Folded Spill
	buffer_store_dword v7, off, s[0:3], s32 offset:1560 ; 4-byte Folded Spill
	buffer_store_dword v8, off, s[0:3], s32 offset:1564 ; 4-byte Folded Spill
	ds_read_b128 v[0:3], v27 offset:16
	s_waitcnt lgkmcnt(0)
	buffer_store_dword v0, off, s[0:3], s32 offset:1568 ; 4-byte Folded Spill
	buffer_store_dword v1, off, s[0:3], s32 offset:1572 ; 4-byte Folded Spill
	buffer_store_dword v2, off, s[0:3], s32 offset:1576 ; 4-byte Folded Spill
	buffer_store_dword v3, off, s[0:3], s32 offset:1580 ; 4-byte Folded Spill
	ds_read_b128 v[0:3], v27 offset:32
	s_waitcnt lgkmcnt(0)
	buffer_store_dword v0, off, s[0:3], s32 offset:1584 ; 4-byte Folded Spill
	buffer_store_dword v1, off, s[0:3], s32 offset:1588 ; 4-byte Folded Spill
	buffer_store_dword v2, off, s[0:3], s32 offset:1592 ; 4-byte Folded Spill
	buffer_store_dword v3, off, s[0:3], s32 offset:1596 ; 4-byte Folded Spill
	ds_read_b128 v[0:3], v27 offset:48
	s_waitcnt lgkmcnt(0)
	buffer_store_dword v0, off, s[0:3], s32 offset:1600 ; 4-byte Folded Spill
	buffer_store_dword v1, off, s[0:3], s32 offset:1604 ; 4-byte Folded Spill
	buffer_store_dword v2, off, s[0:3], s32 offset:1608 ; 4-byte Folded Spill
	buffer_store_dword v3, off, s[0:3], s32 offset:1612 ; 4-byte Folded Spill
	ds_read_b128 v[0:3], v27 offset:64
	s_waitcnt lgkmcnt(0)
	buffer_store_dword v0, off, s[0:3], s32 offset:1616 ; 4-byte Folded Spill
	buffer_store_dword v1, off, s[0:3], s32 offset:1620 ; 4-byte Folded Spill
	buffer_store_dword v2, off, s[0:3], s32 offset:1624 ; 4-byte Folded Spill
	buffer_store_dword v3, off, s[0:3], s32 offset:1628 ; 4-byte Folded Spill
	ds_read_b128 v[0:3], v27 offset:80
	s_waitcnt lgkmcnt(0)
	buffer_store_dword v0, off, s[0:3], s32 offset:1632 ; 4-byte Folded Spill
	buffer_store_dword v1, off, s[0:3], s32 offset:1636 ; 4-byte Folded Spill
	buffer_store_dword v2, off, s[0:3], s32 offset:1640 ; 4-byte Folded Spill
	buffer_store_dword v3, off, s[0:3], s32 offset:1644 ; 4-byte Folded Spill
	ds_read_b128 v[0:3], v27 offset:96
	s_waitcnt lgkmcnt(0)
	buffer_store_dword v0, off, s[0:3], s32 offset:1648 ; 4-byte Folded Spill
	buffer_store_dword v1, off, s[0:3], s32 offset:1652 ; 4-byte Folded Spill
	buffer_store_dword v2, off, s[0:3], s32 offset:1656 ; 4-byte Folded Spill
	buffer_store_dword v3, off, s[0:3], s32 offset:1660 ; 4-byte Folded Spill
	ds_read_b128 v[0:3], v27 offset:112
	s_waitcnt lgkmcnt(0)
	buffer_store_dword v0, off, s[0:3], s32 offset:1664 ; 4-byte Folded Spill
	buffer_store_dword v1, off, s[0:3], s32 offset:1668 ; 4-byte Folded Spill
	buffer_store_dword v2, off, s[0:3], s32 offset:1672 ; 4-byte Folded Spill
	buffer_store_dword v3, off, s[0:3], s32 offset:1676 ; 4-byte Folded Spill
	ds_read_b128 v[0:3], v27 offset:128
	s_waitcnt lgkmcnt(0)
	buffer_store_dword v0, off, s[0:3], s32 offset:1680 ; 4-byte Folded Spill
	buffer_store_dword v1, off, s[0:3], s32 offset:1684 ; 4-byte Folded Spill
	buffer_store_dword v2, off, s[0:3], s32 offset:1688 ; 4-byte Folded Spill
	buffer_store_dword v3, off, s[0:3], s32 offset:1692 ; 4-byte Folded Spill
	ds_read_b128 v[0:3], v27 offset:144
	s_waitcnt lgkmcnt(0)
	buffer_store_dword v0, off, s[0:3], s32 offset:1696 ; 4-byte Folded Spill
	buffer_store_dword v1, off, s[0:3], s32 offset:1700 ; 4-byte Folded Spill
	buffer_store_dword v2, off, s[0:3], s32 offset:1704 ; 4-byte Folded Spill
	buffer_store_dword v3, off, s[0:3], s32 offset:1708 ; 4-byte Folded Spill
	ds_read_b128 v[0:3], v27 offset:160
	s_waitcnt lgkmcnt(0)
	buffer_store_dword v0, off, s[0:3], s32 offset:1712 ; 4-byte Folded Spill
	buffer_store_dword v1, off, s[0:3], s32 offset:1716 ; 4-byte Folded Spill
	buffer_store_dword v2, off, s[0:3], s32 offset:1720 ; 4-byte Folded Spill
	buffer_store_dword v3, off, s[0:3], s32 offset:1724 ; 4-byte Folded Spill
	ds_read_b128 v[0:3], v27 offset:176
	s_waitcnt lgkmcnt(0)
	buffer_store_dword v0, off, s[0:3], s32 offset:1728 ; 4-byte Folded Spill
	buffer_store_dword v1, off, s[0:3], s32 offset:1732 ; 4-byte Folded Spill
	buffer_store_dword v2, off, s[0:3], s32 offset:1736 ; 4-byte Folded Spill
	buffer_store_dword v3, off, s[0:3], s32 offset:1740 ; 4-byte Folded Spill
	ds_read_b128 v[0:3], v27 offset:192
	s_waitcnt lgkmcnt(0)
	buffer_store_dword v0, off, s[0:3], s32 offset:1744 ; 4-byte Folded Spill
	buffer_store_dword v1, off, s[0:3], s32 offset:1748 ; 4-byte Folded Spill
	buffer_store_dword v2, off, s[0:3], s32 offset:1752 ; 4-byte Folded Spill
	buffer_store_dword v3, off, s[0:3], s32 offset:1756 ; 4-byte Folded Spill
	ds_read_b128 v[0:3], v27 offset:208
	s_waitcnt lgkmcnt(0)
	buffer_store_dword v0, off, s[0:3], s32 offset:1760 ; 4-byte Folded Spill
	buffer_store_dword v1, off, s[0:3], s32 offset:1764 ; 4-byte Folded Spill
	buffer_store_dword v2, off, s[0:3], s32 offset:1768 ; 4-byte Folded Spill
	buffer_store_dword v3, off, s[0:3], s32 offset:1772 ; 4-byte Folded Spill
	ds_read_b128 v[0:3], v27 offset:224
	s_waitcnt lgkmcnt(0)
	buffer_store_dword v0, off, s[0:3], s32 offset:1776 ; 4-byte Folded Spill
	buffer_store_dword v1, off, s[0:3], s32 offset:1780 ; 4-byte Folded Spill
	buffer_store_dword v2, off, s[0:3], s32 offset:1784 ; 4-byte Folded Spill
	buffer_store_dword v3, off, s[0:3], s32 offset:1788 ; 4-byte Folded Spill
	ds_read_b128 v[0:3], v27 offset:240
	s_waitcnt lgkmcnt(0)
	buffer_store_dword v0, off, s[0:3], s32 offset:1792 ; 4-byte Folded Spill
	buffer_store_dword v1, off, s[0:3], s32 offset:1796 ; 4-byte Folded Spill
	buffer_store_dword v2, off, s[0:3], s32 offset:1800 ; 4-byte Folded Spill
	buffer_store_dword v3, off, s[0:3], s32 offset:1804 ; 4-byte Folded Spill
	ds_read_b128 v[0:3], v27 offset:256
	s_waitcnt lgkmcnt(0)
	buffer_store_dword v0, off, s[0:3], s32 offset:1808 ; 4-byte Folded Spill
	buffer_store_dword v1, off, s[0:3], s32 offset:1812 ; 4-byte Folded Spill
	buffer_store_dword v2, off, s[0:3], s32 offset:1816 ; 4-byte Folded Spill
	buffer_store_dword v3, off, s[0:3], s32 offset:1820 ; 4-byte Folded Spill
	ds_read_b128 v[0:3], v27 offset:272
	s_waitcnt lgkmcnt(0)
	buffer_store_dword v0, off, s[0:3], s32 offset:1824 ; 4-byte Folded Spill
	buffer_store_dword v1, off, s[0:3], s32 offset:1828 ; 4-byte Folded Spill
	buffer_store_dword v2, off, s[0:3], s32 offset:1832 ; 4-byte Folded Spill
	buffer_store_dword v3, off, s[0:3], s32 offset:1836 ; 4-byte Folded Spill
	ds_read_b128 v[0:3], v27 offset:288
	s_waitcnt lgkmcnt(0)
	buffer_store_dword v0, off, s[0:3], s32 offset:1840 ; 4-byte Folded Spill
	buffer_store_dword v1, off, s[0:3], s32 offset:1844 ; 4-byte Folded Spill
	buffer_store_dword v2, off, s[0:3], s32 offset:1848 ; 4-byte Folded Spill
	buffer_store_dword v3, off, s[0:3], s32 offset:1852 ; 4-byte Folded Spill
	ds_read_b128 v[0:3], v27 offset:304
	s_waitcnt lgkmcnt(0)
	buffer_store_dword v0, off, s[0:3], s32 offset:1856 ; 4-byte Folded Spill
	buffer_store_dword v1, off, s[0:3], s32 offset:1860 ; 4-byte Folded Spill
	buffer_store_dword v2, off, s[0:3], s32 offset:1864 ; 4-byte Folded Spill
	buffer_store_dword v3, off, s[0:3], s32 offset:1868 ; 4-byte Folded Spill
	ds_read_b128 v[0:3], v27 offset:320
	s_waitcnt lgkmcnt(0)
	buffer_store_dword v0, off, s[0:3], s32 offset:1872 ; 4-byte Folded Spill
	buffer_store_dword v1, off, s[0:3], s32 offset:1876 ; 4-byte Folded Spill
	buffer_store_dword v2, off, s[0:3], s32 offset:1880 ; 4-byte Folded Spill
	buffer_store_dword v3, off, s[0:3], s32 offset:1884 ; 4-byte Folded Spill
	ds_read_b128 v[0:3], v27 offset:336
	s_waitcnt lgkmcnt(0)
	buffer_store_dword v0, off, s[0:3], s32 offset:1888 ; 4-byte Folded Spill
	buffer_store_dword v1, off, s[0:3], s32 offset:1892 ; 4-byte Folded Spill
	buffer_store_dword v2, off, s[0:3], s32 offset:1896 ; 4-byte Folded Spill
	buffer_store_dword v3, off, s[0:3], s32 offset:1900 ; 4-byte Folded Spill
	ds_read_b128 v[0:3], v27 offset:352
	s_waitcnt lgkmcnt(0)
	buffer_store_dword v0, off, s[0:3], s32 offset:1904 ; 4-byte Folded Spill
	buffer_store_dword v1, off, s[0:3], s32 offset:1908 ; 4-byte Folded Spill
	buffer_store_dword v2, off, s[0:3], s32 offset:1912 ; 4-byte Folded Spill
	buffer_store_dword v3, off, s[0:3], s32 offset:1916 ; 4-byte Folded Spill
	ds_read_b128 v[0:3], v27 offset:368
	s_waitcnt lgkmcnt(0)
	buffer_store_dword v0, off, s[0:3], s32 offset:1920 ; 4-byte Folded Spill
	buffer_store_dword v1, off, s[0:3], s32 offset:1924 ; 4-byte Folded Spill
	buffer_store_dword v2, off, s[0:3], s32 offset:1928 ; 4-byte Folded Spill
	buffer_store_dword v3, off, s[0:3], s32 offset:1932 ; 4-byte Folded Spill
	ds_read_b128 v[0:3], v27 offset:384
	s_waitcnt lgkmcnt(0)
	buffer_store_dword v0, off, s[0:3], s32 offset:1936 ; 4-byte Folded Spill
	buffer_store_dword v1, off, s[0:3], s32 offset:1940 ; 4-byte Folded Spill
	;; [unrolled: 1-line block ×4, first 2 shown]
	buffer_load_dword v0, off, s[0:3], s32 offset:1528 ; 4-byte Folded Reload
	s_waitcnt vmcnt(0)
	v_cmp_neq_f32_e32 vcc_lo, 0, v0
	ds_read_b128 v[0:3], v27 offset:400
	s_waitcnt lgkmcnt(0)
	buffer_store_dword v0, off, s[0:3], s32 offset:1952 ; 4-byte Folded Spill
	buffer_store_dword v1, off, s[0:3], s32 offset:1956 ; 4-byte Folded Spill
	buffer_store_dword v2, off, s[0:3], s32 offset:1960 ; 4-byte Folded Spill
	buffer_store_dword v3, off, s[0:3], s32 offset:1964 ; 4-byte Folded Spill
	ds_read_b128 v[0:3], v27 offset:416
	s_waitcnt lgkmcnt(0)
	buffer_store_dword v0, off, s[0:3], s32 offset:1968 ; 4-byte Folded Spill
	buffer_store_dword v1, off, s[0:3], s32 offset:1972 ; 4-byte Folded Spill
	buffer_store_dword v2, off, s[0:3], s32 offset:1976 ; 4-byte Folded Spill
	buffer_store_dword v3, off, s[0:3], s32 offset:1980 ; 4-byte Folded Spill
	;; [unrolled: 6-line block ×23, first 2 shown]
	v_and_b32_e32 v0, 0x7c, v13
	s_load_dword s6, s[6:7], 0x0
	buffer_store_dword v13, off, s[0:3], s32 offset:2372 ; 4-byte Folded Spill
	v_add_co_u32 v0, s5, v0, v14
	buffer_store_dword v14, off, s[0:3], s32 offset:2364 ; 4-byte Folded Spill
	buffer_store_dword v15, off, s[0:3], s32 offset:2368 ; 4-byte Folded Spill
	buffer_load_dword v76, off, s[0:3], s32 offset:2328 ; 4-byte Folded Reload
	buffer_store_dword v10, off, s[0:3], s32 offset:2344 ; 4-byte Folded Spill
	buffer_store_dword v11, off, s[0:3], s32 offset:2340 ; 4-byte Folded Spill
	;; [unrolled: 1-line block ×3, first 2 shown]
	v_add_co_ci_u32_e64 v2, null, 0, v15, s5
	v_add_co_u32 v5, s5, v10, v0
	s_waitcnt vmcnt(0)
	v_lshl_or_b32 v0, v76, 7, v16
	v_add_co_ci_u32_e64 v6, null, v11, v2, s5
	v_lshl_or_b32 v1, v76, 5, v4
	s_waitcnt lgkmcnt(0)
	v_add_nc_u32_e32 v45, s6, v0
	s_branch .LBB230_10
.LBB230_6:                              ;   in Loop: Header=BB230_10 Depth=1
	s_or_b32 exec_lo, exec_lo, s18
	v_mov_b32_e32 v0, 24
	v_lshl_add_u32 v53, v53, 23, 0x3c000000
	v_lshlrev_b32_sdwa v0, v0, v52 dst_sel:DWORD dst_unused:UNUSED_PAD src0_sel:DWORD src1_sel:BYTE_3
	v_lshlrev_b32_e32 v52, 20, v104
	v_mov_b32_e32 v104, v27
	v_and_b32_e32 v0, 0x80000000, v0
	v_or3_b32 v105, v52, v0, v53
.LBB230_7:                              ;   in Loop: Header=BB230_10 Depth=1
	s_or_b32 exec_lo, exec_lo, s17
.LBB230_8:                              ;   in Loop: Header=BB230_10 Depth=1
	s_or_b32 exec_lo, exec_lo, s7
	v_mov_b32_e32 v45, v113
	v_mov_b32_e32 v76, v40
.LBB230_9:                              ;   in Loop: Header=BB230_10 Depth=1
	s_or_b32 exec_lo, exec_lo, s6
	v_or_b32_e32 v0, v61, v9
	v_or_b32_e32 v8, v60, v8
	;; [unrolled: 1-line block ×5, first 2 shown]
	v_mul_f32_e32 v0, v122, v0
	v_cmp_lt_i32_e64 s5, v1, v73
	v_or_b32_e32 v63, v63, v17
	v_mul_f32_e32 v17, v122, v62
	v_or_b32_e32 v62, v105, v89
	buffer_store_dword v0, off, s[0:3], s32 offset:1324 ; 4-byte Folded Spill
	v_mul_f32_e32 v0, v122, v8
	v_or_b32_e32 v8, v46, v108
	v_mul_f32_e32 v105, v122, v88
	v_mul_f32_e32 v16, v122, v63
	;; [unrolled: 1-line block ×3, first 2 shown]
	buffer_store_dword v0, off, s[0:3], s32 offset:1336 ; 4-byte Folded Spill
	v_or_b32_e32 v0, v47, v109
	v_add_nc_u32_e32 v76, 4, v76
	v_mul_f32_e32 v0, v122, v0
	buffer_store_dword v0, off, s[0:3], s32 offset:1328 ; 4-byte Folded Spill
	v_mul_f32_e32 v0, v122, v8
	v_or_b32_e32 v8, v56, v74
	buffer_store_dword v0, off, s[0:3], s32 offset:1340 ; 4-byte Folded Spill
	v_or_b32_e32 v0, v57, v75
	v_mul_f32_e32 v0, v122, v0
	buffer_store_dword v0, off, s[0:3], s32 offset:1344 ; 4-byte Folded Spill
	v_mul_f32_e32 v0, v122, v8
	v_or_b32_e32 v8, v78, v43
	buffer_store_dword v0, off, s[0:3], s32 offset:1352 ; 4-byte Folded Spill
	v_or_b32_e32 v0, v79, v44
	;; [unrolled: 6-line block ×3, first 2 shown]
	v_mul_f32_e32 v0, v122, v0
	buffer_store_dword v0, off, s[0:3], s32 offset:1360 ; 4-byte Folded Spill
	v_mul_f32_e32 v0, v122, v8
	v_or_b32_e32 v8, v58, v92
	v_sub_nc_u32_e32 v58, 1, v73
	buffer_store_dword v0, off, s[0:3], s32 offset:1368 ; 4-byte Folded Spill
	v_or_b32_e32 v0, v59, v93
	v_add_nc_u32_e32 v58, v58, v1
	v_mul_f32_e32 v0, v122, v0
	v_cvt_f32_i32_e32 v58, v58
	buffer_store_dword v0, off, s[0:3], s32 offset:1364 ; 4-byte Folded Spill
	v_mul_f32_e32 v0, v122, v8
	v_or_b32_e32 v8, v100, v90
	buffer_store_dword v0, off, s[0:3], s32 offset:1372 ; 4-byte Folded Spill
	v_or_b32_e32 v0, v101, v91
	v_mul_f32_e32 v0, v122, v0
	buffer_store_dword v0, off, s[0:3], s32 offset:1376 ; 4-byte Folded Spill
	v_mul_f32_e32 v0, v122, v8
	v_or_b32_e32 v8, v41, v31
	buffer_store_dword v0, off, s[0:3], s32 offset:1384 ; 4-byte Folded Spill
	v_or_b32_e32 v0, v42, v32
	v_mul_f32_e32 v0, v122, v0
	buffer_store_dword v0, off, s[0:3], s32 offset:1380 ; 4-byte Folded Spill
	v_mul_f32_e32 v0, v122, v8
	buffer_store_dword v0, off, s[0:3], s32 offset:1388 ; 4-byte Folded Spill
	v_or_b32_e32 v0, v85, v3
	v_mul_f32_e32 v0, v122, v0
	buffer_store_dword v0, off, s[0:3], s32 offset:1392 ; 4-byte Folded Spill
	v_mul_f32_e32 v0, v122, v2
	v_or_b32_e32 v2, v114, v126
	buffer_store_dword v0, off, s[0:3], s32 offset:1400 ; 4-byte Folded Spill
	v_or_b32_e32 v0, v115, v127
	v_mul_f32_e32 v0, v122, v0
	buffer_store_dword v0, off, s[0:3], s32 offset:1396 ; 4-byte Folded Spill
	v_mul_f32_e32 v0, v122, v2
	v_or_b32_e32 v2, v118, v82
	;; [unrolled: 6-line block ×15, first 2 shown]
	buffer_store_dword v0, off, s[0:3], s32 offset:1512 ; 4-byte Folded Spill
	v_or_b32_e32 v0, v13, v34
	v_mul_f32_e32 v0, v122, v0
	buffer_store_dword v0, off, s[0:3], s32 offset:1508 ; 4-byte Folded Spill
	v_mul_f32_e32 v0, v122, v2
	buffer_store_dword v0, off, s[0:3], s32 offset:1516 ; 4-byte Folded Spill
	s_clause 0x3
	buffer_load_dword v2, off, s[0:3], s32 offset:1284
	buffer_load_dword v3, off, s[0:3], s32 offset:1288
	;; [unrolled: 1-line block ×4, first 2 shown]
	s_waitcnt vmcnt(1)
	v_or_b32_e32 v2, v4, v2
	s_waitcnt vmcnt(0)
	v_or_b32_e32 v0, v5, v3
	v_mul_f32_e32 v0, v122, v0
	buffer_store_dword v0, off, s[0:3], s32 offset:1284 ; 4-byte Folded Spill
	v_mul_f32_e32 v0, v122, v2
	buffer_store_dword v0, off, s[0:3], s32 offset:1520 ; 4-byte Folded Spill
	s_clause 0x1
	buffer_load_dword v2, off, s[0:3], s32 offset:1300
	buffer_load_dword v3, off, s[0:3], s32 offset:1304
	s_waitcnt vmcnt(1)
	v_or_b32_e32 v2, v50, v2
	s_waitcnt vmcnt(0)
	v_or_b32_e32 v0, v51, v3
	v_mul_f32_e32 v0, v122, v0
	buffer_store_dword v0, off, s[0:3], s32 offset:1292 ; 4-byte Folded Spill
	v_mul_f32_e32 v0, v122, v2
	buffer_store_dword v0, off, s[0:3], s32 offset:1300 ; 4-byte Folded Spill
	s_clause 0x3
	buffer_load_dword v2, off, s[0:3], s32 offset:1252
	buffer_load_dword v3, off, s[0:3], s32 offset:1256
	buffer_load_dword v4, off, s[0:3], s32 offset:1260
	buffer_load_dword v5, off, s[0:3], s32 offset:1264
	s_waitcnt vmcnt(1)
	v_or_b32_e32 v2, v4, v2
	s_waitcnt vmcnt(0)
	v_or_b32_e32 v0, v5, v3
	v_mul_f32_e32 v0, v122, v0
	buffer_store_dword v0, off, s[0:3], s32 offset:1252 ; 4-byte Folded Spill
	v_mul_f32_e32 v0, v122, v2
	buffer_store_dword v0, off, s[0:3], s32 offset:1524 ; 4-byte Folded Spill
	s_clause 0x3
	buffer_load_dword v2, off, s[0:3], s32 offset:1268
	buffer_load_dword v3, off, s[0:3], s32 offset:1272
	;; [unrolled: 13-line block ×15, first 2 shown]
	buffer_load_dword v4, off, s[0:3], s32 offset:1036
	buffer_load_dword v5, off, s[0:3], s32 offset:1040
	s_waitcnt vmcnt(1)
	v_or_b32_e32 v2, v4, v2
	s_waitcnt vmcnt(0)
	v_or_b32_e32 v0, v5, v3
	v_mul_f32_e32 v46, v122, v2
	s_clause 0x3
	buffer_load_dword v2, off, s[0:3], s32 offset:1044
	buffer_load_dword v3, off, s[0:3], s32 offset:1048
	buffer_load_dword v4, off, s[0:3], s32 offset:1052
	buffer_load_dword v5, off, s[0:3], s32 offset:1056
	v_mul_f32_e32 v57, v122, v0
	s_waitcnt vmcnt(1)
	v_or_b32_e32 v2, v2, v4
	s_waitcnt vmcnt(0)
	v_or_b32_e32 v0, v3, v5
	v_mul_f32_e32 v47, v122, v2
	v_mul_f32_e32 v0, v122, v0
	buffer_store_dword v0, off, s[0:3], s32 offset:1028 ; 4-byte Folded Spill
	s_clause 0x3
	buffer_load_dword v2, off, s[0:3], s32 offset:996
	buffer_load_dword v3, off, s[0:3], s32 offset:1000
	buffer_load_dword v4, off, s[0:3], s32 offset:1004
	buffer_load_dword v5, off, s[0:3], s32 offset:1008
	s_waitcnt vmcnt(1)
	v_or_b32_e32 v6, v4, v2
	s_waitcnt vmcnt(0)
	v_or_b32_e32 v0, v5, v3
	v_mul_f32_e32 v43, v122, v0
	v_mul_f32_e32 v0, v122, v6
	buffer_store_dword v0, off, s[0:3], s32 offset:996 ; 4-byte Folded Spill
	s_clause 0x3
	buffer_load_dword v2, off, s[0:3], s32 offset:1012
	buffer_load_dword v3, off, s[0:3], s32 offset:1016
	buffer_load_dword v4, off, s[0:3], s32 offset:1020
	buffer_load_dword v5, off, s[0:3], s32 offset:1024
	;; [unrolled: 12-line block ×5, first 2 shown]
	s_waitcnt vmcnt(1)
	v_or_b32_e32 v6, v4, v2
	s_waitcnt vmcnt(0)
	v_or_b32_e32 v0, v5, v3
	s_clause 0x3
	buffer_load_dword v2, off, s[0:3], s32 offset:948
	buffer_load_dword v3, off, s[0:3], s32 offset:952
	buffer_load_dword v4, off, s[0:3], s32 offset:956
	buffer_load_dword v5, off, s[0:3], s32 offset:960
	v_mul_f32_e32 v41, v122, v6
	v_mul_f32_e32 v74, v122, v0
	s_waitcnt vmcnt(1)
	v_or_b32_e32 v6, v2, v4
	s_waitcnt vmcnt(0)
	v_or_b32_e32 v0, v3, v5
	s_clause 0x3
	buffer_load_dword v2, off, s[0:3], s32 offset:900
	buffer_load_dword v3, off, s[0:3], s32 offset:904
	buffer_load_dword v4, off, s[0:3], s32 offset:908
	buffer_load_dword v5, off, s[0:3], s32 offset:912
	v_mul_f32_e32 v78, v122, v6
	v_mul_f32_e32 v75, v122, v0
	;; [unrolled: 11-line block ×46, first 2 shown]
	s_waitcnt vmcnt(1)
	v_or_b32_e32 v85, v4, v2
	s_waitcnt vmcnt(0)
	v_or_b32_e32 v84, v5, v3
	s_clause 0x4
	buffer_load_dword v2, off, s[0:3], s32 offset:212
	buffer_load_dword v3, off, s[0:3], s32 offset:216
	;; [unrolled: 1-line block ×5, first 2 shown]
	v_mul_f32_e32 v85, v122, v85
	v_mul_f32_e32 v84, v122, v84
	s_waitcnt vmcnt(2)
	v_or_b32_e32 v40, v2, v4
	s_waitcnt vmcnt(1)
	v_or_b32_e32 v127, v3, v5
	s_clause 0x3
	buffer_load_dword v4, off, s[0:3], s32 offset:1568
	buffer_load_dword v5, off, s[0:3], s32 offset:1572
	;; [unrolled: 1-line block ×4, first 2 shown]
	s_waitcnt vmcnt(4)
	v_mul_f32_e32 v58, v56, v58
	v_mul_f32_e32 v40, v122, v40
	;; [unrolled: 1-line block ×3, first 2 shown]
	v_cndmask_b32_e32 v62, 0, v58, vcc_lo
	s_waitcnt vmcnt(3)
	v_mul_f32_e32 v88, v4, v28
	v_mov_b32_e32 v4, v1
	s_clause 0x3
	buffer_load_dword v0, off, s[0:3], s32 offset:1552
	buffer_load_dword v1, off, s[0:3], s32 offset:1556
	;; [unrolled: 1-line block ×4, first 2 shown]
	s_waitcnt vmcnt(6)
	v_mul_f32_e32 v89, v5, v94
	s_waitcnt vmcnt(5)
	v_mul_f32_e32 v94, v6, v126
	;; [unrolled: 2-line block ×3, first 2 shown]
	s_waitcnt vmcnt(3)
	v_fmac_f32_e32 v88, v0, v85
	s_waitcnt vmcnt(2)
	v_fmac_f32_e32 v89, v1, v84
	s_waitcnt vmcnt(1)
	v_fmac_f32_e32 v94, v2, v40
	s_waitcnt vmcnt(0)
	v_fmac_f32_e32 v104, v3, v127
	s_clause 0x3
	buffer_load_dword v0, off, s[0:3], s32 offset:1584
	buffer_load_dword v1, off, s[0:3], s32 offset:1588
	buffer_load_dword v2, off, s[0:3], s32 offset:1592
	buffer_load_dword v3, off, s[0:3], s32 offset:1596
	s_waitcnt vmcnt(3)
	v_fmac_f32_e32 v88, v0, v110
	s_waitcnt vmcnt(2)
	v_fmac_f32_e32 v89, v1, v111
	s_waitcnt vmcnt(1)
	v_fmac_f32_e32 v94, v2, v124
	s_waitcnt vmcnt(0)
	v_fmac_f32_e32 v104, v3, v32
	s_clause 0x3
	buffer_load_dword v0, off, s[0:3], s32 offset:1600
	buffer_load_dword v1, off, s[0:3], s32 offset:1604
	buffer_load_dword v2, off, s[0:3], s32 offset:1608
	buffer_load_dword v3, off, s[0:3], s32 offset:1612
	;; [unrolled: 13-line block ×23, first 2 shown]
	s_waitcnt vmcnt(3)
	v_fmac_f32_e32 v88, v0, v61
	buffer_load_dword v0, off, s[0:3], s32 offset:964 ; 4-byte Folded Reload
	s_waitcnt vmcnt(2)
	v_fmac_f32_e32 v94, v2, v60
	s_waitcnt vmcnt(0)
	v_fmac_f32_e32 v89, v1, v0
	buffer_load_dword v0, off, s[0:3], s32 offset:972 ; 4-byte Folded Reload
	s_waitcnt vmcnt(0)
	v_fmac_f32_e32 v104, v3, v0
	s_clause 0x4
	buffer_load_dword v0, off, s[0:3], s32 offset:1952
	buffer_load_dword v1, off, s[0:3], s32 offset:1956
	;; [unrolled: 1-line block ×5, first 2 shown]
	s_waitcnt vmcnt(3)
	v_fmac_f32_e32 v89, v1, v43
	s_waitcnt vmcnt(1)
	v_fmac_f32_e32 v104, v3, v44
	;; [unrolled: 2-line block ×3, first 2 shown]
	buffer_load_dword v0, off, s[0:3], s32 offset:1004 ; 4-byte Folded Reload
	s_waitcnt vmcnt(0)
	v_fmac_f32_e32 v94, v2, v0
	s_clause 0x3
	buffer_load_dword v0, off, s[0:3], s32 offset:1968
	buffer_load_dword v1, off, s[0:3], s32 offset:1972
	;; [unrolled: 1-line block ×4, first 2 shown]
	s_waitcnt vmcnt(3)
	v_fmac_f32_e32 v88, v0, v46
	buffer_load_dword v0, off, s[0:3], s32 offset:1028 ; 4-byte Folded Reload
	s_waitcnt vmcnt(3)
	v_fmac_f32_e32 v89, v1, v57
	s_waitcnt vmcnt(2)
	v_fmac_f32_e32 v94, v2, v47
	;; [unrolled: 2-line block ×3, first 2 shown]
	s_clause 0x4
	buffer_load_dword v0, off, s[0:3], s32 offset:1984
	buffer_load_dword v1, off, s[0:3], s32 offset:1988
	buffer_load_dword v2, off, s[0:3], s32 offset:1992
	buffer_load_dword v3, off, s[0:3], s32 offset:1996
	buffer_load_dword v5, off, s[0:3], s32 offset:1116
	s_waitcnt vmcnt(0)
	v_fmac_f32_e32 v88, v0, v5
	buffer_load_dword v0, off, s[0:3], s32 offset:1060 ; 4-byte Folded Reload
	s_waitcnt vmcnt(0)
	v_fmac_f32_e32 v89, v1, v0
	buffer_load_dword v0, off, s[0:3], s32 offset:1076 ; 4-byte Folded Reload
	s_waitcnt vmcnt(0)
	v_fmac_f32_e32 v94, v2, v0
	buffer_load_dword v0, off, s[0:3], s32 offset:1068 ; 4-byte Folded Reload
	s_waitcnt vmcnt(0)
	v_fmac_f32_e32 v104, v3, v0
	s_clause 0x4
	buffer_load_dword v0, off, s[0:3], s32 offset:2000
	buffer_load_dword v1, off, s[0:3], s32 offset:2004
	buffer_load_dword v2, off, s[0:3], s32 offset:2008
	buffer_load_dword v3, off, s[0:3], s32 offset:2012
	buffer_load_dword v5, off, s[0:3], s32 offset:1148
	s_waitcnt vmcnt(0)
	v_fmac_f32_e32 v88, v0, v5
	buffer_load_dword v0, off, s[0:3], s32 offset:1092 ; 4-byte Folded Reload
	s_waitcnt vmcnt(0)
	v_fmac_f32_e32 v89, v1, v0
	buffer_load_dword v0, off, s[0:3], s32 offset:1108 ; 4-byte Folded Reload
	s_waitcnt vmcnt(0)
	v_fmac_f32_e32 v94, v2, v0
	buffer_load_dword v0, off, s[0:3], s32 offset:1100 ; 4-byte Folded Reload
	s_waitcnt vmcnt(0)
	v_fmac_f32_e32 v104, v3, v0
	;; [unrolled: 17-line block ×20, first 2 shown]
	s_clause 0x4
	buffer_load_dword v0, off, s[0:3], s32 offset:2304
	buffer_load_dword v1, off, s[0:3], s32 offset:2308
	;; [unrolled: 1-line block ×5, first 2 shown]
	s_waitcnt vmcnt(4)
	v_fmac_f32_e32 v88, v0, v17
	s_waitcnt vmcnt(3)
	v_fmac_f32_e32 v89, v1, v16
	;; [unrolled: 2-line block ×3, first 2 shown]
	buffer_load_dword v2, off, s[0:3], s32 offset:1540 ; 4-byte Folded Reload
	s_waitcnt vmcnt(2)
	v_fmac_f32_e32 v104, v3, v63
	v_mov_b32_e32 v1, v4
	v_add_f32_e32 v0, v88, v89
	v_add_nc_u32_e32 v1, 0x80, v1
	v_add_f32_e32 v0, v94, v0
	v_add_f32_e32 v0, v104, v0
	s_waitcnt vmcnt(0)
	v_fmac_f32_e32 v62, v2, v0
	v_cndmask_b32_e64 v0, 0, v62, s5
	ds_write_b32 v45, v0
	v_max_f32_e32 v0, v28, v28
	s_clause 0x1
	buffer_load_dword v5, off, s[0:3], s32 offset:1316
	buffer_load_dword v6, off, s[0:3], s32 offset:1320
	v_add_nc_u32_e32 v45, 0x200, v45
	v_max_f32_e32 v0, v0, v62
	v_cndmask_b32_e64 v28, v28, v0, s5
	buffer_load_dword v0, off, s[0:3], s32 offset:192 ; 4-byte Folded Reload
	s_waitcnt vmcnt(2)
	v_add_co_u32 v5, s5, v5, 16
	s_waitcnt vmcnt(1)
	v_add_co_ci_u32_e64 v6, null, 0, v6, s5
	s_waitcnt vmcnt(0)
	v_cmp_ge_i32_e64 s5, v76, v0
	s_or_b32 s15, s5, s15
	s_andn2_b32 exec_lo, exec_lo, s15
	s_cbranch_execz .LBB230_1543
.LBB230_10:                             ; =>This Inner Loop Header: Depth=1
	buffer_store_dword v5, off, s[0:3], s32 offset:1316 ; 4-byte Folded Spill
	buffer_store_dword v6, off, s[0:3], s32 offset:1320 ; 4-byte Folded Spill
	v_mov_b32_e32 v40, v76
	v_mov_b32_e32 v113, v45
	flat_load_dword v0, v[5:6]
	s_clause 0x2
	buffer_load_dword v2, off, s[0:3], s32 offset:1308
	buffer_load_dword v3, off, s[0:3], s32 offset:1544
	;; [unrolled: 1-line block ×3, first 2 shown]
	s_waitcnt vmcnt(0) lgkmcnt(0)
	v_mad_i64_i32 v[2:3], null, v0, v2, v[3:4]
	flat_load_dword v4, v[2:3]
	s_clause 0x1
	buffer_load_dword v5, off, s[0:3], s32 offset:1532
	buffer_load_dword v6, off, s[0:3], s32 offset:1536
	s_waitcnt vmcnt(2) lgkmcnt(0)
	v_cmp_ne_u16_sdwa s5, v4, v27 src0_sel:BYTE_0 src1_sel:DWORD
	s_waitcnt vmcnt(0)
	flat_load_dword v122, v[5:6]
	v_mov_b32_e32 v5, 0
	v_mov_b32_e32 v6, 0
	buffer_store_dword v5, off, s[0:3], s32 offset:204 ; 4-byte Folded Spill
	buffer_store_dword v6, off, s[0:3], s32 offset:208 ; 4-byte Folded Spill
	v_mov_b32_e32 v5, 0
	v_mov_b32_e32 v6, 0
	buffer_store_dword v5, off, s[0:3], s32 offset:196 ; 4-byte Folded Spill
	buffer_store_dword v6, off, s[0:3], s32 offset:200 ; 4-byte Folded Spill
	s_and_saveexec_b32 s6, s5
	s_cbranch_execz .LBB230_18
; %bb.11:                               ;   in Loop: Header=BB230_10 Depth=1
	v_mov_b32_e32 v0, 0x80
	v_bfrev_b32_e32 v5, 1
	v_mov_b32_e32 v6, 0
	buffer_store_dword v5, off, s[0:3], s32 offset:196 ; 4-byte Folded Spill
	buffer_store_dword v6, off, s[0:3], s32 offset:200 ; 4-byte Folded Spill
	v_cmp_ne_u16_sdwa s5, v4, v0 src0_sel:BYTE_0 src1_sel:DWORD
	s_and_saveexec_b32 s7, s5
	s_cbranch_execz .LBB230_17
; %bb.12:                               ;   in Loop: Header=BB230_10 Depth=1
	v_mov_b32_e32 v7, 0x7f800001
	v_and_b32_e32 v6, 0x7f, v4
	v_mov_b32_e32 v8, 0
	s_mov_b32 s17, exec_lo
	buffer_store_dword v7, off, s[0:3], s32 offset:196 ; 4-byte Folded Spill
	buffer_store_dword v8, off, s[0:3], s32 offset:200 ; 4-byte Folded Spill
	v_cmpx_ne_u32_e32 0x7f, v6
	s_cbranch_execz .LBB230_16
; %bb.13:                               ;   in Loop: Header=BB230_10 Depth=1
	v_and_b32_e32 v26, 7, v4
	v_lshrrev_b32_e32 v5, 3, v6
	s_mov_b32 s18, exec_lo
	v_cmpx_gt_u32_e32 8, v6
; %bb.14:                               ;   in Loop: Header=BB230_10 Depth=1
	v_ffbh_u32_e32 v5, v26
	v_min_u32_e32 v5, 32, v5
	v_subrev_nc_u32_e32 v6, 28, v5
	v_sub_nc_u32_e32 v5, 29, v5
	v_lshlrev_b64 v[6:7], v6, v[26:27]
	v_and_b32_e32 v26, 7, v6
; %bb.15:                               ;   in Loop: Header=BB230_10 Depth=1
	s_or_b32 exec_lo, exec_lo, s18
	v_lshlrev_b32_e32 v6, 24, v4
	v_lshlrev_b32_e32 v0, 20, v26
	v_lshl_add_u32 v5, v5, 23, 0x3c000000
	v_and_b32_e32 v6, 0x80000000, v6
	v_or3_b32 v26, v0, v6, v5
	buffer_store_dword v26, off, s[0:3], s32 offset:196 ; 4-byte Folded Spill
	buffer_store_dword v27, off, s[0:3], s32 offset:200 ; 4-byte Folded Spill
.LBB230_16:                             ;   in Loop: Header=BB230_10 Depth=1
	s_or_b32 exec_lo, exec_lo, s17
.LBB230_17:                             ;   in Loop: Header=BB230_10 Depth=1
	s_or_b32 exec_lo, exec_lo, s7
.LBB230_18:                             ;   in Loop: Header=BB230_10 Depth=1
	s_or_b32 exec_lo, exec_lo, s6
	v_cmp_ne_u16_sdwa s5, v4, v27 src0_sel:BYTE_1 src1_sel:DWORD
	s_and_saveexec_b32 s6, s5
	s_cbranch_execz .LBB230_26
; %bb.19:                               ;   in Loop: Header=BB230_10 Depth=1
	v_mov_b32_e32 v0, 0x80
	v_mov_b32_e32 v76, v27
	buffer_store_dword v76, off, s[0:3], s32 offset:204 ; 4-byte Folded Spill
	buffer_store_dword v77, off, s[0:3], s32 offset:208 ; 4-byte Folded Spill
	v_cmp_ne_u16_sdwa s5, v4, v0 src0_sel:BYTE_1 src1_sel:DWORD
	s_and_saveexec_b32 s7, s5
	s_cbranch_execz .LBB230_25
; %bb.20:                               ;   in Loop: Header=BB230_10 Depth=1
	v_mov_b32_e32 v0, 0xffff
	v_mov_b32_e32 v106, v27
	s_mov_b32 s17, exec_lo
	buffer_store_dword v106, off, s[0:3], s32 offset:204 ; 4-byte Folded Spill
	buffer_store_dword v107, off, s[0:3], s32 offset:208 ; 4-byte Folded Spill
	v_and_b32_sdwa v0, v0, v4 dst_sel:DWORD dst_unused:UNUSED_PAD src0_sel:DWORD src1_sel:BYTE_1
	v_and_b32_e32 v6, 0x7f, v0
	v_cmpx_ne_u32_e32 0x7f, v6
	s_cbranch_execz .LBB230_24
; %bb.21:                               ;   in Loop: Header=BB230_10 Depth=1
	v_and_b32_e32 v26, 7, v0
	v_lshrrev_b32_e32 v5, 3, v6
	s_mov_b32 s18, exec_lo
	v_cmpx_gt_u32_e32 8, v6
; %bb.22:                               ;   in Loop: Header=BB230_10 Depth=1
	v_ffbh_u32_e32 v5, v26
	v_min_u32_e32 v5, 32, v5
	v_subrev_nc_u32_e32 v6, 28, v5
	v_sub_nc_u32_e32 v5, 29, v5
	v_lshlrev_b64 v[6:7], v6, v[26:27]
	v_and_b32_e32 v26, 7, v6
; %bb.23:                               ;   in Loop: Header=BB230_10 Depth=1
	s_or_b32 exec_lo, exec_lo, s18
	v_lshlrev_b32_e32 v6, 16, v4
	v_lshlrev_b32_e32 v0, 20, v26
	v_lshl_add_u32 v5, v5, 23, 0x3c000000
	v_and_b32_e32 v6, 0x80000000, v6
	v_or3_b32 v6, v0, v6, v5
	v_mov_b32_e32 v5, v27
	buffer_store_dword v5, off, s[0:3], s32 offset:204 ; 4-byte Folded Spill
	buffer_store_dword v6, off, s[0:3], s32 offset:208 ; 4-byte Folded Spill
.LBB230_24:                             ;   in Loop: Header=BB230_10 Depth=1
	s_or_b32 exec_lo, exec_lo, s17
.LBB230_25:                             ;   in Loop: Header=BB230_10 Depth=1
	s_or_b32 exec_lo, exec_lo, s7
.LBB230_26:                             ;   in Loop: Header=BB230_10 Depth=1
	s_or_b32 exec_lo, exec_lo, s6
	v_mov_b32_e32 v5, 0
	v_mov_b32_e32 v6, 0
	;; [unrolled: 1-line block ×3, first 2 shown]
	s_mov_b32 s6, exec_lo
	buffer_store_dword v5, off, s[0:3], s32 offset:212 ; 4-byte Folded Spill
	buffer_store_dword v6, off, s[0:3], s32 offset:216 ; 4-byte Folded Spill
	v_mov_b32_e32 v5, 0
	v_and_b32_sdwa v0, v4, v0 dst_sel:DWORD dst_unused:UNUSED_PAD src0_sel:WORD_1 src1_sel:DWORD
	v_mov_b32_e32 v6, 0
	buffer_store_dword v5, off, s[0:3], s32 offset:220 ; 4-byte Folded Spill
	buffer_store_dword v6, off, s[0:3], s32 offset:224 ; 4-byte Folded Spill
	v_cmpx_ne_u16_e32 0, v0
	s_cbranch_execz .LBB230_34
; %bb.27:                               ;   in Loop: Header=BB230_10 Depth=1
	v_bfrev_b32_e32 v5, 1
	v_mov_b32_e32 v6, 0
	s_mov_b32 s7, exec_lo
	buffer_store_dword v5, off, s[0:3], s32 offset:220 ; 4-byte Folded Spill
	buffer_store_dword v6, off, s[0:3], s32 offset:224 ; 4-byte Folded Spill
	v_cmpx_ne_u16_e32 0x80, v0
	s_cbranch_execz .LBB230_33
; %bb.28:                               ;   in Loop: Header=BB230_10 Depth=1
	v_mov_b32_e32 v7, 0x7f800001
	v_bfe_u32 v6, v4, 16, 7
	v_mov_b32_e32 v8, 0
	s_mov_b32 s17, exec_lo
	buffer_store_dword v7, off, s[0:3], s32 offset:220 ; 4-byte Folded Spill
	buffer_store_dword v8, off, s[0:3], s32 offset:224 ; 4-byte Folded Spill
	v_cmpx_ne_u32_e32 0x7f, v6
	s_cbranch_execz .LBB230_32
; %bb.29:                               ;   in Loop: Header=BB230_10 Depth=1
	v_mov_b32_e32 v0, 7
	v_lshrrev_b32_e32 v5, 3, v6
	s_mov_b32 s18, exec_lo
	v_and_b32_sdwa v26, v4, v0 dst_sel:DWORD dst_unused:UNUSED_PAD src0_sel:WORD_1 src1_sel:DWORD
	v_cmpx_gt_u32_e32 8, v6
; %bb.30:                               ;   in Loop: Header=BB230_10 Depth=1
	v_ffbh_u32_e32 v5, v26
	v_min_u32_e32 v5, 32, v5
	v_subrev_nc_u32_e32 v6, 28, v5
	v_sub_nc_u32_e32 v5, 29, v5
	v_lshlrev_b64 v[6:7], v6, v[26:27]
	v_and_b32_e32 v26, 7, v6
; %bb.31:                               ;   in Loop: Header=BB230_10 Depth=1
	s_or_b32 exec_lo, exec_lo, s18
	v_mov_b32_e32 v0, 24
	v_lshl_add_u32 v5, v5, 23, 0x3c000000
	v_lshlrev_b32_sdwa v6, v0, v4 dst_sel:DWORD dst_unused:UNUSED_PAD src0_sel:DWORD src1_sel:WORD_1
	v_lshlrev_b32_e32 v0, 20, v26
	v_and_b32_e32 v6, 0x80000000, v6
	v_or3_b32 v26, v0, v6, v5
	buffer_store_dword v26, off, s[0:3], s32 offset:220 ; 4-byte Folded Spill
	buffer_store_dword v27, off, s[0:3], s32 offset:224 ; 4-byte Folded Spill
.LBB230_32:                             ;   in Loop: Header=BB230_10 Depth=1
	s_or_b32 exec_lo, exec_lo, s17
.LBB230_33:                             ;   in Loop: Header=BB230_10 Depth=1
	s_or_b32 exec_lo, exec_lo, s7
.LBB230_34:                             ;   in Loop: Header=BB230_10 Depth=1
	s_or_b32 exec_lo, exec_lo, s6
	s_mov_b32 s6, exec_lo
	v_cmpx_lt_u32_e32 0xffffff, v4
	s_cbranch_execz .LBB230_42
; %bb.35:                               ;   in Loop: Header=BB230_10 Depth=1
	v_mov_b32_e32 v0, 0x80
	v_mov_b32_e32 v76, v27
	buffer_store_dword v76, off, s[0:3], s32 offset:212 ; 4-byte Folded Spill
	buffer_store_dword v77, off, s[0:3], s32 offset:216 ; 4-byte Folded Spill
	v_cmp_ne_u32_sdwa s5, v4, v0 src0_sel:BYTE_3 src1_sel:DWORD
	s_and_saveexec_b32 s7, s5
	s_cbranch_execz .LBB230_41
; %bb.36:                               ;   in Loop: Header=BB230_10 Depth=1
	v_bfe_u32 v6, v4, 24, 7
	v_mov_b32_e32 v106, v27
	s_mov_b32 s17, exec_lo
	buffer_store_dword v106, off, s[0:3], s32 offset:212 ; 4-byte Folded Spill
	buffer_store_dword v107, off, s[0:3], s32 offset:216 ; 4-byte Folded Spill
	v_cmpx_ne_u32_e32 0x7f, v6
	s_cbranch_execz .LBB230_40
; %bb.37:                               ;   in Loop: Header=BB230_10 Depth=1
	v_mov_b32_e32 v0, 7
	v_lshrrev_b32_e32 v5, 3, v6
	s_mov_b32 s18, exec_lo
	v_and_b32_sdwa v26, v4, v0 dst_sel:DWORD dst_unused:UNUSED_PAD src0_sel:BYTE_3 src1_sel:DWORD
	v_cmpx_gt_u32_e32 8, v6
; %bb.38:                               ;   in Loop: Header=BB230_10 Depth=1
	v_ffbh_u32_e32 v5, v26
	v_min_u32_e32 v5, 32, v5
	v_subrev_nc_u32_e32 v6, 28, v5
	v_sub_nc_u32_e32 v5, 29, v5
	v_lshlrev_b64 v[6:7], v6, v[26:27]
	v_and_b32_e32 v26, 7, v6
; %bb.39:                               ;   in Loop: Header=BB230_10 Depth=1
	s_or_b32 exec_lo, exec_lo, s18
	v_mov_b32_e32 v0, 24
	v_lshl_add_u32 v5, v5, 23, 0x3c000000
	v_lshlrev_b32_sdwa v4, v0, v4 dst_sel:DWORD dst_unused:UNUSED_PAD src0_sel:DWORD src1_sel:BYTE_3
	v_lshlrev_b32_e32 v0, 20, v26
	v_and_b32_e32 v4, 0x80000000, v4
	v_or3_b32 v5, v0, v4, v5
	v_mov_b32_e32 v4, v27
	buffer_store_dword v4, off, s[0:3], s32 offset:212 ; 4-byte Folded Spill
	buffer_store_dword v5, off, s[0:3], s32 offset:216 ; 4-byte Folded Spill
.LBB230_40:                             ;   in Loop: Header=BB230_10 Depth=1
	s_or_b32 exec_lo, exec_lo, s17
.LBB230_41:                             ;   in Loop: Header=BB230_10 Depth=1
	s_or_b32 exec_lo, exec_lo, s7
.LBB230_42:                             ;   in Loop: Header=BB230_10 Depth=1
	s_or_b32 exec_lo, exec_lo, s6
	flat_load_dword v4, v[2:3] offset:4
	v_mov_b32_e32 v5, 0
	v_mov_b32_e32 v6, 0
	buffer_store_dword v5, off, s[0:3], s32 offset:236 ; 4-byte Folded Spill
	buffer_store_dword v6, off, s[0:3], s32 offset:240 ; 4-byte Folded Spill
	v_mov_b32_e32 v5, 0
	v_mov_b32_e32 v6, 0
	buffer_store_dword v5, off, s[0:3], s32 offset:228 ; 4-byte Folded Spill
	buffer_store_dword v6, off, s[0:3], s32 offset:232 ; 4-byte Folded Spill
	s_waitcnt vmcnt(0) lgkmcnt(0)
	v_cmp_ne_u16_sdwa s5, v4, v27 src0_sel:BYTE_0 src1_sel:DWORD
	s_and_saveexec_b32 s6, s5
	s_cbranch_execz .LBB230_50
; %bb.43:                               ;   in Loop: Header=BB230_10 Depth=1
	v_mov_b32_e32 v0, 0x80
	v_bfrev_b32_e32 v5, 1
	v_mov_b32_e32 v6, 0
	buffer_store_dword v5, off, s[0:3], s32 offset:228 ; 4-byte Folded Spill
	buffer_store_dword v6, off, s[0:3], s32 offset:232 ; 4-byte Folded Spill
	v_cmp_ne_u16_sdwa s5, v4, v0 src0_sel:BYTE_0 src1_sel:DWORD
	s_and_saveexec_b32 s7, s5
	s_cbranch_execz .LBB230_49
; %bb.44:                               ;   in Loop: Header=BB230_10 Depth=1
	v_mov_b32_e32 v7, 0x7f800001
	v_and_b32_e32 v6, 0x7f, v4
	v_mov_b32_e32 v8, 0
	s_mov_b32 s17, exec_lo
	buffer_store_dword v7, off, s[0:3], s32 offset:228 ; 4-byte Folded Spill
	buffer_store_dword v8, off, s[0:3], s32 offset:232 ; 4-byte Folded Spill
	v_cmpx_ne_u32_e32 0x7f, v6
	s_cbranch_execz .LBB230_48
; %bb.45:                               ;   in Loop: Header=BB230_10 Depth=1
	v_and_b32_e32 v26, 7, v4
	v_lshrrev_b32_e32 v5, 3, v6
	s_mov_b32 s18, exec_lo
	v_cmpx_gt_u32_e32 8, v6
; %bb.46:                               ;   in Loop: Header=BB230_10 Depth=1
	v_ffbh_u32_e32 v5, v26
	v_min_u32_e32 v5, 32, v5
	v_subrev_nc_u32_e32 v6, 28, v5
	v_sub_nc_u32_e32 v5, 29, v5
	v_lshlrev_b64 v[6:7], v6, v[26:27]
	v_and_b32_e32 v26, 7, v6
; %bb.47:                               ;   in Loop: Header=BB230_10 Depth=1
	s_or_b32 exec_lo, exec_lo, s18
	v_lshlrev_b32_e32 v6, 24, v4
	v_lshlrev_b32_e32 v0, 20, v26
	v_lshl_add_u32 v5, v5, 23, 0x3c000000
	v_and_b32_e32 v6, 0x80000000, v6
	v_or3_b32 v26, v0, v6, v5
	buffer_store_dword v26, off, s[0:3], s32 offset:228 ; 4-byte Folded Spill
	buffer_store_dword v27, off, s[0:3], s32 offset:232 ; 4-byte Folded Spill
.LBB230_48:                             ;   in Loop: Header=BB230_10 Depth=1
	s_or_b32 exec_lo, exec_lo, s17
.LBB230_49:                             ;   in Loop: Header=BB230_10 Depth=1
	s_or_b32 exec_lo, exec_lo, s7
.LBB230_50:                             ;   in Loop: Header=BB230_10 Depth=1
	s_or_b32 exec_lo, exec_lo, s6
	v_cmp_ne_u16_sdwa s5, v4, v27 src0_sel:BYTE_1 src1_sel:DWORD
	s_and_saveexec_b32 s6, s5
	s_cbranch_execz .LBB230_58
; %bb.51:                               ;   in Loop: Header=BB230_10 Depth=1
	v_mov_b32_e32 v0, 0x80
	v_mov_b32_e32 v76, v27
	buffer_store_dword v76, off, s[0:3], s32 offset:236 ; 4-byte Folded Spill
	buffer_store_dword v77, off, s[0:3], s32 offset:240 ; 4-byte Folded Spill
	v_cmp_ne_u16_sdwa s5, v4, v0 src0_sel:BYTE_1 src1_sel:DWORD
	s_and_saveexec_b32 s7, s5
	s_cbranch_execz .LBB230_57
; %bb.52:                               ;   in Loop: Header=BB230_10 Depth=1
	v_mov_b32_e32 v0, 0xffff
	v_mov_b32_e32 v106, v27
	s_mov_b32 s17, exec_lo
	buffer_store_dword v106, off, s[0:3], s32 offset:236 ; 4-byte Folded Spill
	buffer_store_dword v107, off, s[0:3], s32 offset:240 ; 4-byte Folded Spill
	v_and_b32_sdwa v0, v0, v4 dst_sel:DWORD dst_unused:UNUSED_PAD src0_sel:DWORD src1_sel:BYTE_1
	v_and_b32_e32 v6, 0x7f, v0
	v_cmpx_ne_u32_e32 0x7f, v6
	s_cbranch_execz .LBB230_56
; %bb.53:                               ;   in Loop: Header=BB230_10 Depth=1
	v_and_b32_e32 v26, 7, v0
	v_lshrrev_b32_e32 v5, 3, v6
	s_mov_b32 s18, exec_lo
	v_cmpx_gt_u32_e32 8, v6
; %bb.54:                               ;   in Loop: Header=BB230_10 Depth=1
	v_ffbh_u32_e32 v5, v26
	v_min_u32_e32 v5, 32, v5
	v_subrev_nc_u32_e32 v6, 28, v5
	v_sub_nc_u32_e32 v5, 29, v5
	v_lshlrev_b64 v[6:7], v6, v[26:27]
	v_and_b32_e32 v26, 7, v6
; %bb.55:                               ;   in Loop: Header=BB230_10 Depth=1
	s_or_b32 exec_lo, exec_lo, s18
	v_lshlrev_b32_e32 v6, 16, v4
	v_lshlrev_b32_e32 v0, 20, v26
	v_lshl_add_u32 v5, v5, 23, 0x3c000000
	v_and_b32_e32 v6, 0x80000000, v6
	v_or3_b32 v6, v0, v6, v5
	v_mov_b32_e32 v5, v27
	buffer_store_dword v5, off, s[0:3], s32 offset:236 ; 4-byte Folded Spill
	buffer_store_dword v6, off, s[0:3], s32 offset:240 ; 4-byte Folded Spill
.LBB230_56:                             ;   in Loop: Header=BB230_10 Depth=1
	s_or_b32 exec_lo, exec_lo, s17
.LBB230_57:                             ;   in Loop: Header=BB230_10 Depth=1
	s_or_b32 exec_lo, exec_lo, s7
.LBB230_58:                             ;   in Loop: Header=BB230_10 Depth=1
	s_or_b32 exec_lo, exec_lo, s6
	v_mov_b32_e32 v5, 0
	v_mov_b32_e32 v6, 0
	v_mov_b32_e32 v0, 0xff
	s_mov_b32 s6, exec_lo
	buffer_store_dword v5, off, s[0:3], s32 offset:244 ; 4-byte Folded Spill
	buffer_store_dword v6, off, s[0:3], s32 offset:248 ; 4-byte Folded Spill
	v_mov_b32_e32 v5, 0
	v_and_b32_sdwa v0, v4, v0 dst_sel:DWORD dst_unused:UNUSED_PAD src0_sel:WORD_1 src1_sel:DWORD
	v_mov_b32_e32 v6, 0
	buffer_store_dword v5, off, s[0:3], s32 offset:252 ; 4-byte Folded Spill
	buffer_store_dword v6, off, s[0:3], s32 offset:256 ; 4-byte Folded Spill
	v_cmpx_ne_u16_e32 0, v0
	s_cbranch_execz .LBB230_66
; %bb.59:                               ;   in Loop: Header=BB230_10 Depth=1
	v_bfrev_b32_e32 v5, 1
	v_mov_b32_e32 v6, 0
	s_mov_b32 s7, exec_lo
	buffer_store_dword v5, off, s[0:3], s32 offset:252 ; 4-byte Folded Spill
	buffer_store_dword v6, off, s[0:3], s32 offset:256 ; 4-byte Folded Spill
	v_cmpx_ne_u16_e32 0x80, v0
	s_cbranch_execz .LBB230_65
; %bb.60:                               ;   in Loop: Header=BB230_10 Depth=1
	v_mov_b32_e32 v7, 0x7f800001
	v_bfe_u32 v6, v4, 16, 7
	v_mov_b32_e32 v8, 0
	s_mov_b32 s17, exec_lo
	buffer_store_dword v7, off, s[0:3], s32 offset:252 ; 4-byte Folded Spill
	buffer_store_dword v8, off, s[0:3], s32 offset:256 ; 4-byte Folded Spill
	v_cmpx_ne_u32_e32 0x7f, v6
	s_cbranch_execz .LBB230_64
; %bb.61:                               ;   in Loop: Header=BB230_10 Depth=1
	v_mov_b32_e32 v0, 7
	v_lshrrev_b32_e32 v5, 3, v6
	s_mov_b32 s18, exec_lo
	v_and_b32_sdwa v26, v4, v0 dst_sel:DWORD dst_unused:UNUSED_PAD src0_sel:WORD_1 src1_sel:DWORD
	v_cmpx_gt_u32_e32 8, v6
; %bb.62:                               ;   in Loop: Header=BB230_10 Depth=1
	v_ffbh_u32_e32 v5, v26
	v_min_u32_e32 v5, 32, v5
	v_subrev_nc_u32_e32 v6, 28, v5
	v_sub_nc_u32_e32 v5, 29, v5
	v_lshlrev_b64 v[6:7], v6, v[26:27]
	v_and_b32_e32 v26, 7, v6
; %bb.63:                               ;   in Loop: Header=BB230_10 Depth=1
	s_or_b32 exec_lo, exec_lo, s18
	v_mov_b32_e32 v0, 24
	v_lshl_add_u32 v5, v5, 23, 0x3c000000
	v_lshlrev_b32_sdwa v6, v0, v4 dst_sel:DWORD dst_unused:UNUSED_PAD src0_sel:DWORD src1_sel:WORD_1
	v_lshlrev_b32_e32 v0, 20, v26
	v_and_b32_e32 v6, 0x80000000, v6
	v_or3_b32 v26, v0, v6, v5
	buffer_store_dword v26, off, s[0:3], s32 offset:252 ; 4-byte Folded Spill
	buffer_store_dword v27, off, s[0:3], s32 offset:256 ; 4-byte Folded Spill
.LBB230_64:                             ;   in Loop: Header=BB230_10 Depth=1
	s_or_b32 exec_lo, exec_lo, s17
.LBB230_65:                             ;   in Loop: Header=BB230_10 Depth=1
	s_or_b32 exec_lo, exec_lo, s7
.LBB230_66:                             ;   in Loop: Header=BB230_10 Depth=1
	s_or_b32 exec_lo, exec_lo, s6
	s_mov_b32 s6, exec_lo
	v_cmpx_lt_u32_e32 0xffffff, v4
	s_cbranch_execz .LBB230_74
; %bb.67:                               ;   in Loop: Header=BB230_10 Depth=1
	v_mov_b32_e32 v0, 0x80
	v_mov_b32_e32 v76, v27
	buffer_store_dword v76, off, s[0:3], s32 offset:244 ; 4-byte Folded Spill
	buffer_store_dword v77, off, s[0:3], s32 offset:248 ; 4-byte Folded Spill
	v_cmp_ne_u32_sdwa s5, v4, v0 src0_sel:BYTE_3 src1_sel:DWORD
	s_and_saveexec_b32 s7, s5
	s_cbranch_execz .LBB230_73
; %bb.68:                               ;   in Loop: Header=BB230_10 Depth=1
	v_bfe_u32 v6, v4, 24, 7
	v_mov_b32_e32 v106, v27
	s_mov_b32 s17, exec_lo
	buffer_store_dword v106, off, s[0:3], s32 offset:244 ; 4-byte Folded Spill
	buffer_store_dword v107, off, s[0:3], s32 offset:248 ; 4-byte Folded Spill
	v_cmpx_ne_u32_e32 0x7f, v6
	s_cbranch_execz .LBB230_72
; %bb.69:                               ;   in Loop: Header=BB230_10 Depth=1
	v_mov_b32_e32 v0, 7
	v_lshrrev_b32_e32 v5, 3, v6
	s_mov_b32 s18, exec_lo
	v_and_b32_sdwa v26, v4, v0 dst_sel:DWORD dst_unused:UNUSED_PAD src0_sel:BYTE_3 src1_sel:DWORD
	v_cmpx_gt_u32_e32 8, v6
; %bb.70:                               ;   in Loop: Header=BB230_10 Depth=1
	v_ffbh_u32_e32 v5, v26
	v_min_u32_e32 v5, 32, v5
	v_subrev_nc_u32_e32 v6, 28, v5
	v_sub_nc_u32_e32 v5, 29, v5
	v_lshlrev_b64 v[6:7], v6, v[26:27]
	v_and_b32_e32 v26, 7, v6
; %bb.71:                               ;   in Loop: Header=BB230_10 Depth=1
	s_or_b32 exec_lo, exec_lo, s18
	v_mov_b32_e32 v0, 24
	v_lshl_add_u32 v5, v5, 23, 0x3c000000
	v_lshlrev_b32_sdwa v4, v0, v4 dst_sel:DWORD dst_unused:UNUSED_PAD src0_sel:DWORD src1_sel:BYTE_3
	v_lshlrev_b32_e32 v0, 20, v26
	v_and_b32_e32 v4, 0x80000000, v4
	v_or3_b32 v5, v0, v4, v5
	v_mov_b32_e32 v4, v27
	buffer_store_dword v4, off, s[0:3], s32 offset:244 ; 4-byte Folded Spill
	buffer_store_dword v5, off, s[0:3], s32 offset:248 ; 4-byte Folded Spill
.LBB230_72:                             ;   in Loop: Header=BB230_10 Depth=1
	s_or_b32 exec_lo, exec_lo, s17
.LBB230_73:                             ;   in Loop: Header=BB230_10 Depth=1
	s_or_b32 exec_lo, exec_lo, s7
.LBB230_74:                             ;   in Loop: Header=BB230_10 Depth=1
	s_or_b32 exec_lo, exec_lo, s6
	flat_load_dword v4, v[2:3] offset:8
	v_mov_b32_e32 v5, 0
	v_mov_b32_e32 v6, 0
	buffer_store_dword v5, off, s[0:3], s32 offset:268 ; 4-byte Folded Spill
	buffer_store_dword v6, off, s[0:3], s32 offset:272 ; 4-byte Folded Spill
	v_mov_b32_e32 v5, 0
	v_mov_b32_e32 v6, 0
	buffer_store_dword v5, off, s[0:3], s32 offset:260 ; 4-byte Folded Spill
	buffer_store_dword v6, off, s[0:3], s32 offset:264 ; 4-byte Folded Spill
	s_waitcnt vmcnt(0) lgkmcnt(0)
	v_cmp_ne_u16_sdwa s5, v4, v27 src0_sel:BYTE_0 src1_sel:DWORD
	s_and_saveexec_b32 s6, s5
	s_cbranch_execz .LBB230_82
; %bb.75:                               ;   in Loop: Header=BB230_10 Depth=1
	v_mov_b32_e32 v0, 0x80
	v_bfrev_b32_e32 v5, 1
	v_mov_b32_e32 v6, 0
	buffer_store_dword v5, off, s[0:3], s32 offset:260 ; 4-byte Folded Spill
	buffer_store_dword v6, off, s[0:3], s32 offset:264 ; 4-byte Folded Spill
	v_cmp_ne_u16_sdwa s5, v4, v0 src0_sel:BYTE_0 src1_sel:DWORD
	s_and_saveexec_b32 s7, s5
	s_cbranch_execz .LBB230_81
; %bb.76:                               ;   in Loop: Header=BB230_10 Depth=1
	v_mov_b32_e32 v7, 0x7f800001
	v_and_b32_e32 v6, 0x7f, v4
	v_mov_b32_e32 v8, 0
	s_mov_b32 s17, exec_lo
	buffer_store_dword v7, off, s[0:3], s32 offset:260 ; 4-byte Folded Spill
	buffer_store_dword v8, off, s[0:3], s32 offset:264 ; 4-byte Folded Spill
	v_cmpx_ne_u32_e32 0x7f, v6
	s_cbranch_execz .LBB230_80
; %bb.77:                               ;   in Loop: Header=BB230_10 Depth=1
	v_and_b32_e32 v26, 7, v4
	v_lshrrev_b32_e32 v5, 3, v6
	s_mov_b32 s18, exec_lo
	v_cmpx_gt_u32_e32 8, v6
; %bb.78:                               ;   in Loop: Header=BB230_10 Depth=1
	v_ffbh_u32_e32 v5, v26
	v_min_u32_e32 v5, 32, v5
	v_subrev_nc_u32_e32 v6, 28, v5
	v_sub_nc_u32_e32 v5, 29, v5
	v_lshlrev_b64 v[6:7], v6, v[26:27]
	v_and_b32_e32 v26, 7, v6
; %bb.79:                               ;   in Loop: Header=BB230_10 Depth=1
	s_or_b32 exec_lo, exec_lo, s18
	v_lshlrev_b32_e32 v6, 24, v4
	v_lshlrev_b32_e32 v0, 20, v26
	v_lshl_add_u32 v5, v5, 23, 0x3c000000
	v_and_b32_e32 v6, 0x80000000, v6
	v_or3_b32 v26, v0, v6, v5
	buffer_store_dword v26, off, s[0:3], s32 offset:260 ; 4-byte Folded Spill
	buffer_store_dword v27, off, s[0:3], s32 offset:264 ; 4-byte Folded Spill
.LBB230_80:                             ;   in Loop: Header=BB230_10 Depth=1
	s_or_b32 exec_lo, exec_lo, s17
.LBB230_81:                             ;   in Loop: Header=BB230_10 Depth=1
	s_or_b32 exec_lo, exec_lo, s7
.LBB230_82:                             ;   in Loop: Header=BB230_10 Depth=1
	s_or_b32 exec_lo, exec_lo, s6
	v_cmp_ne_u16_sdwa s5, v4, v27 src0_sel:BYTE_1 src1_sel:DWORD
	s_and_saveexec_b32 s6, s5
	s_cbranch_execz .LBB230_90
; %bb.83:                               ;   in Loop: Header=BB230_10 Depth=1
	v_mov_b32_e32 v0, 0x80
	v_mov_b32_e32 v76, v27
	buffer_store_dword v76, off, s[0:3], s32 offset:268 ; 4-byte Folded Spill
	buffer_store_dword v77, off, s[0:3], s32 offset:272 ; 4-byte Folded Spill
	v_cmp_ne_u16_sdwa s5, v4, v0 src0_sel:BYTE_1 src1_sel:DWORD
	s_and_saveexec_b32 s7, s5
	s_cbranch_execz .LBB230_89
; %bb.84:                               ;   in Loop: Header=BB230_10 Depth=1
	v_mov_b32_e32 v0, 0xffff
	v_mov_b32_e32 v106, v27
	s_mov_b32 s17, exec_lo
	buffer_store_dword v106, off, s[0:3], s32 offset:268 ; 4-byte Folded Spill
	buffer_store_dword v107, off, s[0:3], s32 offset:272 ; 4-byte Folded Spill
	v_and_b32_sdwa v0, v0, v4 dst_sel:DWORD dst_unused:UNUSED_PAD src0_sel:DWORD src1_sel:BYTE_1
	v_and_b32_e32 v6, 0x7f, v0
	v_cmpx_ne_u32_e32 0x7f, v6
	s_cbranch_execz .LBB230_88
; %bb.85:                               ;   in Loop: Header=BB230_10 Depth=1
	v_and_b32_e32 v26, 7, v0
	v_lshrrev_b32_e32 v5, 3, v6
	s_mov_b32 s18, exec_lo
	v_cmpx_gt_u32_e32 8, v6
; %bb.86:                               ;   in Loop: Header=BB230_10 Depth=1
	v_ffbh_u32_e32 v5, v26
	v_min_u32_e32 v5, 32, v5
	v_subrev_nc_u32_e32 v6, 28, v5
	v_sub_nc_u32_e32 v5, 29, v5
	v_lshlrev_b64 v[6:7], v6, v[26:27]
	v_and_b32_e32 v26, 7, v6
; %bb.87:                               ;   in Loop: Header=BB230_10 Depth=1
	s_or_b32 exec_lo, exec_lo, s18
	v_lshlrev_b32_e32 v6, 16, v4
	v_lshlrev_b32_e32 v0, 20, v26
	v_lshl_add_u32 v5, v5, 23, 0x3c000000
	v_and_b32_e32 v6, 0x80000000, v6
	v_or3_b32 v6, v0, v6, v5
	v_mov_b32_e32 v5, v27
	buffer_store_dword v5, off, s[0:3], s32 offset:268 ; 4-byte Folded Spill
	buffer_store_dword v6, off, s[0:3], s32 offset:272 ; 4-byte Folded Spill
.LBB230_88:                             ;   in Loop: Header=BB230_10 Depth=1
	s_or_b32 exec_lo, exec_lo, s17
.LBB230_89:                             ;   in Loop: Header=BB230_10 Depth=1
	s_or_b32 exec_lo, exec_lo, s7
.LBB230_90:                             ;   in Loop: Header=BB230_10 Depth=1
	s_or_b32 exec_lo, exec_lo, s6
	v_mov_b32_e32 v5, 0
	v_mov_b32_e32 v6, 0
	v_mov_b32_e32 v0, 0xff
	s_mov_b32 s6, exec_lo
	buffer_store_dword v5, off, s[0:3], s32 offset:276 ; 4-byte Folded Spill
	buffer_store_dword v6, off, s[0:3], s32 offset:280 ; 4-byte Folded Spill
	v_mov_b32_e32 v5, 0
	v_and_b32_sdwa v0, v4, v0 dst_sel:DWORD dst_unused:UNUSED_PAD src0_sel:WORD_1 src1_sel:DWORD
	v_mov_b32_e32 v6, 0
	buffer_store_dword v5, off, s[0:3], s32 offset:284 ; 4-byte Folded Spill
	buffer_store_dword v6, off, s[0:3], s32 offset:288 ; 4-byte Folded Spill
	v_cmpx_ne_u16_e32 0, v0
	s_cbranch_execz .LBB230_98
; %bb.91:                               ;   in Loop: Header=BB230_10 Depth=1
	v_bfrev_b32_e32 v5, 1
	v_mov_b32_e32 v6, 0
	s_mov_b32 s7, exec_lo
	buffer_store_dword v5, off, s[0:3], s32 offset:284 ; 4-byte Folded Spill
	buffer_store_dword v6, off, s[0:3], s32 offset:288 ; 4-byte Folded Spill
	v_cmpx_ne_u16_e32 0x80, v0
	s_cbranch_execz .LBB230_97
; %bb.92:                               ;   in Loop: Header=BB230_10 Depth=1
	v_mov_b32_e32 v7, 0x7f800001
	v_bfe_u32 v6, v4, 16, 7
	v_mov_b32_e32 v8, 0
	s_mov_b32 s17, exec_lo
	buffer_store_dword v7, off, s[0:3], s32 offset:284 ; 4-byte Folded Spill
	buffer_store_dword v8, off, s[0:3], s32 offset:288 ; 4-byte Folded Spill
	v_cmpx_ne_u32_e32 0x7f, v6
	s_cbranch_execz .LBB230_96
; %bb.93:                               ;   in Loop: Header=BB230_10 Depth=1
	v_mov_b32_e32 v0, 7
	v_lshrrev_b32_e32 v5, 3, v6
	s_mov_b32 s18, exec_lo
	v_and_b32_sdwa v26, v4, v0 dst_sel:DWORD dst_unused:UNUSED_PAD src0_sel:WORD_1 src1_sel:DWORD
	v_cmpx_gt_u32_e32 8, v6
; %bb.94:                               ;   in Loop: Header=BB230_10 Depth=1
	v_ffbh_u32_e32 v5, v26
	v_min_u32_e32 v5, 32, v5
	v_subrev_nc_u32_e32 v6, 28, v5
	v_sub_nc_u32_e32 v5, 29, v5
	v_lshlrev_b64 v[6:7], v6, v[26:27]
	v_and_b32_e32 v26, 7, v6
; %bb.95:                               ;   in Loop: Header=BB230_10 Depth=1
	s_or_b32 exec_lo, exec_lo, s18
	v_mov_b32_e32 v0, 24
	v_lshl_add_u32 v5, v5, 23, 0x3c000000
	v_lshlrev_b32_sdwa v6, v0, v4 dst_sel:DWORD dst_unused:UNUSED_PAD src0_sel:DWORD src1_sel:WORD_1
	v_lshlrev_b32_e32 v0, 20, v26
	v_and_b32_e32 v6, 0x80000000, v6
	v_or3_b32 v26, v0, v6, v5
	buffer_store_dword v26, off, s[0:3], s32 offset:284 ; 4-byte Folded Spill
	buffer_store_dword v27, off, s[0:3], s32 offset:288 ; 4-byte Folded Spill
.LBB230_96:                             ;   in Loop: Header=BB230_10 Depth=1
	s_or_b32 exec_lo, exec_lo, s17
.LBB230_97:                             ;   in Loop: Header=BB230_10 Depth=1
	s_or_b32 exec_lo, exec_lo, s7
.LBB230_98:                             ;   in Loop: Header=BB230_10 Depth=1
	s_or_b32 exec_lo, exec_lo, s6
	s_mov_b32 s6, exec_lo
	v_cmpx_lt_u32_e32 0xffffff, v4
	s_cbranch_execz .LBB230_106
; %bb.99:                               ;   in Loop: Header=BB230_10 Depth=1
	v_mov_b32_e32 v0, 0x80
	v_mov_b32_e32 v76, v27
	buffer_store_dword v76, off, s[0:3], s32 offset:276 ; 4-byte Folded Spill
	buffer_store_dword v77, off, s[0:3], s32 offset:280 ; 4-byte Folded Spill
	v_cmp_ne_u32_sdwa s5, v4, v0 src0_sel:BYTE_3 src1_sel:DWORD
	s_and_saveexec_b32 s7, s5
	s_cbranch_execz .LBB230_105
; %bb.100:                              ;   in Loop: Header=BB230_10 Depth=1
	v_bfe_u32 v6, v4, 24, 7
	v_mov_b32_e32 v106, v27
	s_mov_b32 s17, exec_lo
	buffer_store_dword v106, off, s[0:3], s32 offset:276 ; 4-byte Folded Spill
	buffer_store_dword v107, off, s[0:3], s32 offset:280 ; 4-byte Folded Spill
	v_cmpx_ne_u32_e32 0x7f, v6
	s_cbranch_execz .LBB230_104
; %bb.101:                              ;   in Loop: Header=BB230_10 Depth=1
	v_mov_b32_e32 v0, 7
	v_lshrrev_b32_e32 v5, 3, v6
	s_mov_b32 s18, exec_lo
	v_and_b32_sdwa v26, v4, v0 dst_sel:DWORD dst_unused:UNUSED_PAD src0_sel:BYTE_3 src1_sel:DWORD
	v_cmpx_gt_u32_e32 8, v6
; %bb.102:                              ;   in Loop: Header=BB230_10 Depth=1
	v_ffbh_u32_e32 v5, v26
	v_min_u32_e32 v5, 32, v5
	v_subrev_nc_u32_e32 v6, 28, v5
	v_sub_nc_u32_e32 v5, 29, v5
	v_lshlrev_b64 v[6:7], v6, v[26:27]
	v_and_b32_e32 v26, 7, v6
; %bb.103:                              ;   in Loop: Header=BB230_10 Depth=1
	s_or_b32 exec_lo, exec_lo, s18
	v_mov_b32_e32 v0, 24
	v_lshl_add_u32 v5, v5, 23, 0x3c000000
	v_lshlrev_b32_sdwa v4, v0, v4 dst_sel:DWORD dst_unused:UNUSED_PAD src0_sel:DWORD src1_sel:BYTE_3
	v_lshlrev_b32_e32 v0, 20, v26
	v_and_b32_e32 v4, 0x80000000, v4
	v_or3_b32 v5, v0, v4, v5
	v_mov_b32_e32 v4, v27
	buffer_store_dword v4, off, s[0:3], s32 offset:276 ; 4-byte Folded Spill
	buffer_store_dword v5, off, s[0:3], s32 offset:280 ; 4-byte Folded Spill
.LBB230_104:                            ;   in Loop: Header=BB230_10 Depth=1
	s_or_b32 exec_lo, exec_lo, s17
.LBB230_105:                            ;   in Loop: Header=BB230_10 Depth=1
	s_or_b32 exec_lo, exec_lo, s7
.LBB230_106:                            ;   in Loop: Header=BB230_10 Depth=1
	s_or_b32 exec_lo, exec_lo, s6
	flat_load_dword v4, v[2:3] offset:12
	v_mov_b32_e32 v5, 0
	v_mov_b32_e32 v6, 0
	buffer_store_dword v5, off, s[0:3], s32 offset:300 ; 4-byte Folded Spill
	buffer_store_dword v6, off, s[0:3], s32 offset:304 ; 4-byte Folded Spill
	v_mov_b32_e32 v5, 0
	v_mov_b32_e32 v6, 0
	buffer_store_dword v5, off, s[0:3], s32 offset:292 ; 4-byte Folded Spill
	buffer_store_dword v6, off, s[0:3], s32 offset:296 ; 4-byte Folded Spill
	s_waitcnt vmcnt(0) lgkmcnt(0)
	v_cmp_ne_u16_sdwa s5, v4, v27 src0_sel:BYTE_0 src1_sel:DWORD
	s_and_saveexec_b32 s6, s5
	s_cbranch_execz .LBB230_114
; %bb.107:                              ;   in Loop: Header=BB230_10 Depth=1
	v_mov_b32_e32 v0, 0x80
	v_bfrev_b32_e32 v5, 1
	v_mov_b32_e32 v6, 0
	buffer_store_dword v5, off, s[0:3], s32 offset:292 ; 4-byte Folded Spill
	buffer_store_dword v6, off, s[0:3], s32 offset:296 ; 4-byte Folded Spill
	v_cmp_ne_u16_sdwa s5, v4, v0 src0_sel:BYTE_0 src1_sel:DWORD
	s_and_saveexec_b32 s7, s5
	s_cbranch_execz .LBB230_113
; %bb.108:                              ;   in Loop: Header=BB230_10 Depth=1
	v_mov_b32_e32 v7, 0x7f800001
	v_and_b32_e32 v6, 0x7f, v4
	v_mov_b32_e32 v8, 0
	s_mov_b32 s17, exec_lo
	buffer_store_dword v7, off, s[0:3], s32 offset:292 ; 4-byte Folded Spill
	buffer_store_dword v8, off, s[0:3], s32 offset:296 ; 4-byte Folded Spill
	v_cmpx_ne_u32_e32 0x7f, v6
	s_cbranch_execz .LBB230_112
; %bb.109:                              ;   in Loop: Header=BB230_10 Depth=1
	v_and_b32_e32 v26, 7, v4
	v_lshrrev_b32_e32 v5, 3, v6
	s_mov_b32 s18, exec_lo
	v_cmpx_gt_u32_e32 8, v6
; %bb.110:                              ;   in Loop: Header=BB230_10 Depth=1
	v_ffbh_u32_e32 v5, v26
	v_min_u32_e32 v5, 32, v5
	v_subrev_nc_u32_e32 v6, 28, v5
	v_sub_nc_u32_e32 v5, 29, v5
	v_lshlrev_b64 v[6:7], v6, v[26:27]
	v_and_b32_e32 v26, 7, v6
; %bb.111:                              ;   in Loop: Header=BB230_10 Depth=1
	s_or_b32 exec_lo, exec_lo, s18
	v_lshlrev_b32_e32 v6, 24, v4
	v_lshlrev_b32_e32 v0, 20, v26
	v_lshl_add_u32 v5, v5, 23, 0x3c000000
	v_and_b32_e32 v6, 0x80000000, v6
	v_or3_b32 v26, v0, v6, v5
	buffer_store_dword v26, off, s[0:3], s32 offset:292 ; 4-byte Folded Spill
	buffer_store_dword v27, off, s[0:3], s32 offset:296 ; 4-byte Folded Spill
.LBB230_112:                            ;   in Loop: Header=BB230_10 Depth=1
	s_or_b32 exec_lo, exec_lo, s17
.LBB230_113:                            ;   in Loop: Header=BB230_10 Depth=1
	s_or_b32 exec_lo, exec_lo, s7
.LBB230_114:                            ;   in Loop: Header=BB230_10 Depth=1
	s_or_b32 exec_lo, exec_lo, s6
	v_cmp_ne_u16_sdwa s5, v4, v27 src0_sel:BYTE_1 src1_sel:DWORD
	s_and_saveexec_b32 s6, s5
	s_cbranch_execz .LBB230_122
; %bb.115:                              ;   in Loop: Header=BB230_10 Depth=1
	v_mov_b32_e32 v0, 0x80
	v_mov_b32_e32 v76, v27
	buffer_store_dword v76, off, s[0:3], s32 offset:300 ; 4-byte Folded Spill
	buffer_store_dword v77, off, s[0:3], s32 offset:304 ; 4-byte Folded Spill
	v_cmp_ne_u16_sdwa s5, v4, v0 src0_sel:BYTE_1 src1_sel:DWORD
	s_and_saveexec_b32 s7, s5
	s_cbranch_execz .LBB230_121
; %bb.116:                              ;   in Loop: Header=BB230_10 Depth=1
	v_mov_b32_e32 v0, 0xffff
	v_mov_b32_e32 v106, v27
	s_mov_b32 s17, exec_lo
	buffer_store_dword v106, off, s[0:3], s32 offset:300 ; 4-byte Folded Spill
	buffer_store_dword v107, off, s[0:3], s32 offset:304 ; 4-byte Folded Spill
	v_and_b32_sdwa v0, v0, v4 dst_sel:DWORD dst_unused:UNUSED_PAD src0_sel:DWORD src1_sel:BYTE_1
	v_and_b32_e32 v6, 0x7f, v0
	v_cmpx_ne_u32_e32 0x7f, v6
	s_cbranch_execz .LBB230_120
; %bb.117:                              ;   in Loop: Header=BB230_10 Depth=1
	v_and_b32_e32 v26, 7, v0
	v_lshrrev_b32_e32 v5, 3, v6
	s_mov_b32 s18, exec_lo
	v_cmpx_gt_u32_e32 8, v6
; %bb.118:                              ;   in Loop: Header=BB230_10 Depth=1
	v_ffbh_u32_e32 v5, v26
	v_min_u32_e32 v5, 32, v5
	v_subrev_nc_u32_e32 v6, 28, v5
	v_sub_nc_u32_e32 v5, 29, v5
	v_lshlrev_b64 v[6:7], v6, v[26:27]
	v_and_b32_e32 v26, 7, v6
; %bb.119:                              ;   in Loop: Header=BB230_10 Depth=1
	s_or_b32 exec_lo, exec_lo, s18
	v_lshlrev_b32_e32 v6, 16, v4
	v_lshlrev_b32_e32 v0, 20, v26
	v_lshl_add_u32 v5, v5, 23, 0x3c000000
	v_and_b32_e32 v6, 0x80000000, v6
	v_or3_b32 v6, v0, v6, v5
	v_mov_b32_e32 v5, v27
	buffer_store_dword v5, off, s[0:3], s32 offset:300 ; 4-byte Folded Spill
	buffer_store_dword v6, off, s[0:3], s32 offset:304 ; 4-byte Folded Spill
.LBB230_120:                            ;   in Loop: Header=BB230_10 Depth=1
	s_or_b32 exec_lo, exec_lo, s17
.LBB230_121:                            ;   in Loop: Header=BB230_10 Depth=1
	s_or_b32 exec_lo, exec_lo, s7
.LBB230_122:                            ;   in Loop: Header=BB230_10 Depth=1
	s_or_b32 exec_lo, exec_lo, s6
	v_mov_b32_e32 v5, 0
	v_mov_b32_e32 v6, 0
	;; [unrolled: 1-line block ×3, first 2 shown]
	s_mov_b32 s6, exec_lo
	buffer_store_dword v5, off, s[0:3], s32 offset:308 ; 4-byte Folded Spill
	buffer_store_dword v6, off, s[0:3], s32 offset:312 ; 4-byte Folded Spill
	v_mov_b32_e32 v5, 0
	v_and_b32_sdwa v0, v4, v0 dst_sel:DWORD dst_unused:UNUSED_PAD src0_sel:WORD_1 src1_sel:DWORD
	v_mov_b32_e32 v6, 0
	buffer_store_dword v5, off, s[0:3], s32 offset:316 ; 4-byte Folded Spill
	buffer_store_dword v6, off, s[0:3], s32 offset:320 ; 4-byte Folded Spill
	v_cmpx_ne_u16_e32 0, v0
	s_cbranch_execz .LBB230_130
; %bb.123:                              ;   in Loop: Header=BB230_10 Depth=1
	v_bfrev_b32_e32 v5, 1
	v_mov_b32_e32 v6, 0
	s_mov_b32 s7, exec_lo
	buffer_store_dword v5, off, s[0:3], s32 offset:316 ; 4-byte Folded Spill
	buffer_store_dword v6, off, s[0:3], s32 offset:320 ; 4-byte Folded Spill
	v_cmpx_ne_u16_e32 0x80, v0
	s_cbranch_execz .LBB230_129
; %bb.124:                              ;   in Loop: Header=BB230_10 Depth=1
	v_mov_b32_e32 v7, 0x7f800001
	v_bfe_u32 v6, v4, 16, 7
	v_mov_b32_e32 v8, 0
	s_mov_b32 s17, exec_lo
	buffer_store_dword v7, off, s[0:3], s32 offset:316 ; 4-byte Folded Spill
	buffer_store_dword v8, off, s[0:3], s32 offset:320 ; 4-byte Folded Spill
	v_cmpx_ne_u32_e32 0x7f, v6
	s_cbranch_execz .LBB230_128
; %bb.125:                              ;   in Loop: Header=BB230_10 Depth=1
	v_mov_b32_e32 v0, 7
	v_lshrrev_b32_e32 v5, 3, v6
	s_mov_b32 s18, exec_lo
	v_and_b32_sdwa v26, v4, v0 dst_sel:DWORD dst_unused:UNUSED_PAD src0_sel:WORD_1 src1_sel:DWORD
	v_cmpx_gt_u32_e32 8, v6
; %bb.126:                              ;   in Loop: Header=BB230_10 Depth=1
	v_ffbh_u32_e32 v5, v26
	v_min_u32_e32 v5, 32, v5
	v_subrev_nc_u32_e32 v6, 28, v5
	v_sub_nc_u32_e32 v5, 29, v5
	v_lshlrev_b64 v[6:7], v6, v[26:27]
	v_and_b32_e32 v26, 7, v6
; %bb.127:                              ;   in Loop: Header=BB230_10 Depth=1
	s_or_b32 exec_lo, exec_lo, s18
	v_mov_b32_e32 v0, 24
	v_lshl_add_u32 v5, v5, 23, 0x3c000000
	v_lshlrev_b32_sdwa v6, v0, v4 dst_sel:DWORD dst_unused:UNUSED_PAD src0_sel:DWORD src1_sel:WORD_1
	v_lshlrev_b32_e32 v0, 20, v26
	v_and_b32_e32 v6, 0x80000000, v6
	v_or3_b32 v26, v0, v6, v5
	buffer_store_dword v26, off, s[0:3], s32 offset:316 ; 4-byte Folded Spill
	buffer_store_dword v27, off, s[0:3], s32 offset:320 ; 4-byte Folded Spill
.LBB230_128:                            ;   in Loop: Header=BB230_10 Depth=1
	s_or_b32 exec_lo, exec_lo, s17
.LBB230_129:                            ;   in Loop: Header=BB230_10 Depth=1
	s_or_b32 exec_lo, exec_lo, s7
.LBB230_130:                            ;   in Loop: Header=BB230_10 Depth=1
	s_or_b32 exec_lo, exec_lo, s6
	s_mov_b32 s6, exec_lo
	v_cmpx_lt_u32_e32 0xffffff, v4
	s_cbranch_execz .LBB230_138
; %bb.131:                              ;   in Loop: Header=BB230_10 Depth=1
	v_mov_b32_e32 v0, 0x80
	v_mov_b32_e32 v76, v27
	buffer_store_dword v76, off, s[0:3], s32 offset:308 ; 4-byte Folded Spill
	buffer_store_dword v77, off, s[0:3], s32 offset:312 ; 4-byte Folded Spill
	v_cmp_ne_u32_sdwa s5, v4, v0 src0_sel:BYTE_3 src1_sel:DWORD
	s_and_saveexec_b32 s7, s5
	s_cbranch_execz .LBB230_137
; %bb.132:                              ;   in Loop: Header=BB230_10 Depth=1
	v_bfe_u32 v6, v4, 24, 7
	v_mov_b32_e32 v106, v27
	s_mov_b32 s17, exec_lo
	buffer_store_dword v106, off, s[0:3], s32 offset:308 ; 4-byte Folded Spill
	buffer_store_dword v107, off, s[0:3], s32 offset:312 ; 4-byte Folded Spill
	v_cmpx_ne_u32_e32 0x7f, v6
	s_cbranch_execz .LBB230_136
; %bb.133:                              ;   in Loop: Header=BB230_10 Depth=1
	v_mov_b32_e32 v0, 7
	v_lshrrev_b32_e32 v5, 3, v6
	s_mov_b32 s18, exec_lo
	v_and_b32_sdwa v26, v4, v0 dst_sel:DWORD dst_unused:UNUSED_PAD src0_sel:BYTE_3 src1_sel:DWORD
	v_cmpx_gt_u32_e32 8, v6
; %bb.134:                              ;   in Loop: Header=BB230_10 Depth=1
	v_ffbh_u32_e32 v5, v26
	v_min_u32_e32 v5, 32, v5
	v_subrev_nc_u32_e32 v6, 28, v5
	v_sub_nc_u32_e32 v5, 29, v5
	v_lshlrev_b64 v[6:7], v6, v[26:27]
	v_and_b32_e32 v26, 7, v6
; %bb.135:                              ;   in Loop: Header=BB230_10 Depth=1
	s_or_b32 exec_lo, exec_lo, s18
	v_mov_b32_e32 v0, 24
	v_lshl_add_u32 v5, v5, 23, 0x3c000000
	v_lshlrev_b32_sdwa v4, v0, v4 dst_sel:DWORD dst_unused:UNUSED_PAD src0_sel:DWORD src1_sel:BYTE_3
	v_lshlrev_b32_e32 v0, 20, v26
	v_and_b32_e32 v4, 0x80000000, v4
	v_or3_b32 v5, v0, v4, v5
	v_mov_b32_e32 v4, v27
	buffer_store_dword v4, off, s[0:3], s32 offset:308 ; 4-byte Folded Spill
	buffer_store_dword v5, off, s[0:3], s32 offset:312 ; 4-byte Folded Spill
.LBB230_136:                            ;   in Loop: Header=BB230_10 Depth=1
	s_or_b32 exec_lo, exec_lo, s17
.LBB230_137:                            ;   in Loop: Header=BB230_10 Depth=1
	s_or_b32 exec_lo, exec_lo, s7
.LBB230_138:                            ;   in Loop: Header=BB230_10 Depth=1
	s_or_b32 exec_lo, exec_lo, s6
	flat_load_dword v4, v[2:3] offset:512
	v_mov_b32_e32 v5, 0
	v_mov_b32_e32 v6, 0
	buffer_store_dword v5, off, s[0:3], s32 offset:332 ; 4-byte Folded Spill
	buffer_store_dword v6, off, s[0:3], s32 offset:336 ; 4-byte Folded Spill
	v_mov_b32_e32 v5, 0
	v_mov_b32_e32 v6, 0
	buffer_store_dword v5, off, s[0:3], s32 offset:324 ; 4-byte Folded Spill
	buffer_store_dword v6, off, s[0:3], s32 offset:328 ; 4-byte Folded Spill
	s_waitcnt vmcnt(0) lgkmcnt(0)
	v_cmp_ne_u16_sdwa s5, v4, v27 src0_sel:BYTE_0 src1_sel:DWORD
	s_and_saveexec_b32 s6, s5
	s_cbranch_execz .LBB230_146
; %bb.139:                              ;   in Loop: Header=BB230_10 Depth=1
	v_mov_b32_e32 v0, 0x80
	v_bfrev_b32_e32 v5, 1
	v_mov_b32_e32 v6, 0
	buffer_store_dword v5, off, s[0:3], s32 offset:324 ; 4-byte Folded Spill
	buffer_store_dword v6, off, s[0:3], s32 offset:328 ; 4-byte Folded Spill
	v_cmp_ne_u16_sdwa s5, v4, v0 src0_sel:BYTE_0 src1_sel:DWORD
	s_and_saveexec_b32 s7, s5
	s_cbranch_execz .LBB230_145
; %bb.140:                              ;   in Loop: Header=BB230_10 Depth=1
	v_mov_b32_e32 v7, 0x7f800001
	v_and_b32_e32 v6, 0x7f, v4
	v_mov_b32_e32 v8, 0
	s_mov_b32 s17, exec_lo
	buffer_store_dword v7, off, s[0:3], s32 offset:324 ; 4-byte Folded Spill
	buffer_store_dword v8, off, s[0:3], s32 offset:328 ; 4-byte Folded Spill
	v_cmpx_ne_u32_e32 0x7f, v6
	s_cbranch_execz .LBB230_144
; %bb.141:                              ;   in Loop: Header=BB230_10 Depth=1
	v_and_b32_e32 v26, 7, v4
	v_lshrrev_b32_e32 v5, 3, v6
	s_mov_b32 s18, exec_lo
	v_cmpx_gt_u32_e32 8, v6
; %bb.142:                              ;   in Loop: Header=BB230_10 Depth=1
	v_ffbh_u32_e32 v5, v26
	v_min_u32_e32 v5, 32, v5
	v_subrev_nc_u32_e32 v6, 28, v5
	v_sub_nc_u32_e32 v5, 29, v5
	v_lshlrev_b64 v[6:7], v6, v[26:27]
	v_and_b32_e32 v26, 7, v6
; %bb.143:                              ;   in Loop: Header=BB230_10 Depth=1
	s_or_b32 exec_lo, exec_lo, s18
	v_lshlrev_b32_e32 v6, 24, v4
	v_lshlrev_b32_e32 v0, 20, v26
	v_lshl_add_u32 v5, v5, 23, 0x3c000000
	v_and_b32_e32 v6, 0x80000000, v6
	v_or3_b32 v26, v0, v6, v5
	buffer_store_dword v26, off, s[0:3], s32 offset:324 ; 4-byte Folded Spill
	buffer_store_dword v27, off, s[0:3], s32 offset:328 ; 4-byte Folded Spill
.LBB230_144:                            ;   in Loop: Header=BB230_10 Depth=1
	s_or_b32 exec_lo, exec_lo, s17
.LBB230_145:                            ;   in Loop: Header=BB230_10 Depth=1
	s_or_b32 exec_lo, exec_lo, s7
.LBB230_146:                            ;   in Loop: Header=BB230_10 Depth=1
	s_or_b32 exec_lo, exec_lo, s6
	v_cmp_ne_u16_sdwa s5, v4, v27 src0_sel:BYTE_1 src1_sel:DWORD
	s_and_saveexec_b32 s6, s5
	s_cbranch_execz .LBB230_154
; %bb.147:                              ;   in Loop: Header=BB230_10 Depth=1
	v_mov_b32_e32 v0, 0x80
	v_mov_b32_e32 v76, v27
	buffer_store_dword v76, off, s[0:3], s32 offset:332 ; 4-byte Folded Spill
	buffer_store_dword v77, off, s[0:3], s32 offset:336 ; 4-byte Folded Spill
	v_cmp_ne_u16_sdwa s5, v4, v0 src0_sel:BYTE_1 src1_sel:DWORD
	s_and_saveexec_b32 s7, s5
	s_cbranch_execz .LBB230_153
; %bb.148:                              ;   in Loop: Header=BB230_10 Depth=1
	v_mov_b32_e32 v0, 0xffff
	v_mov_b32_e32 v106, v27
	s_mov_b32 s17, exec_lo
	buffer_store_dword v106, off, s[0:3], s32 offset:332 ; 4-byte Folded Spill
	buffer_store_dword v107, off, s[0:3], s32 offset:336 ; 4-byte Folded Spill
	v_and_b32_sdwa v0, v0, v4 dst_sel:DWORD dst_unused:UNUSED_PAD src0_sel:DWORD src1_sel:BYTE_1
	v_and_b32_e32 v6, 0x7f, v0
	v_cmpx_ne_u32_e32 0x7f, v6
	s_cbranch_execz .LBB230_152
; %bb.149:                              ;   in Loop: Header=BB230_10 Depth=1
	v_and_b32_e32 v26, 7, v0
	v_lshrrev_b32_e32 v5, 3, v6
	s_mov_b32 s18, exec_lo
	v_cmpx_gt_u32_e32 8, v6
; %bb.150:                              ;   in Loop: Header=BB230_10 Depth=1
	v_ffbh_u32_e32 v5, v26
	v_min_u32_e32 v5, 32, v5
	v_subrev_nc_u32_e32 v6, 28, v5
	v_sub_nc_u32_e32 v5, 29, v5
	v_lshlrev_b64 v[6:7], v6, v[26:27]
	v_and_b32_e32 v26, 7, v6
; %bb.151:                              ;   in Loop: Header=BB230_10 Depth=1
	s_or_b32 exec_lo, exec_lo, s18
	v_lshlrev_b32_e32 v6, 16, v4
	v_lshlrev_b32_e32 v0, 20, v26
	v_lshl_add_u32 v5, v5, 23, 0x3c000000
	v_and_b32_e32 v6, 0x80000000, v6
	v_or3_b32 v6, v0, v6, v5
	v_mov_b32_e32 v5, v27
	buffer_store_dword v5, off, s[0:3], s32 offset:332 ; 4-byte Folded Spill
	buffer_store_dword v6, off, s[0:3], s32 offset:336 ; 4-byte Folded Spill
.LBB230_152:                            ;   in Loop: Header=BB230_10 Depth=1
	s_or_b32 exec_lo, exec_lo, s17
.LBB230_153:                            ;   in Loop: Header=BB230_10 Depth=1
	s_or_b32 exec_lo, exec_lo, s7
.LBB230_154:                            ;   in Loop: Header=BB230_10 Depth=1
	s_or_b32 exec_lo, exec_lo, s6
	v_mov_b32_e32 v5, 0
	v_mov_b32_e32 v6, 0
	;; [unrolled: 1-line block ×3, first 2 shown]
	s_mov_b32 s6, exec_lo
	buffer_store_dword v5, off, s[0:3], s32 offset:340 ; 4-byte Folded Spill
	buffer_store_dword v6, off, s[0:3], s32 offset:344 ; 4-byte Folded Spill
	v_mov_b32_e32 v5, 0
	v_and_b32_sdwa v0, v4, v0 dst_sel:DWORD dst_unused:UNUSED_PAD src0_sel:WORD_1 src1_sel:DWORD
	v_mov_b32_e32 v6, 0
	buffer_store_dword v5, off, s[0:3], s32 offset:348 ; 4-byte Folded Spill
	buffer_store_dword v6, off, s[0:3], s32 offset:352 ; 4-byte Folded Spill
	v_cmpx_ne_u16_e32 0, v0
	s_cbranch_execz .LBB230_162
; %bb.155:                              ;   in Loop: Header=BB230_10 Depth=1
	v_bfrev_b32_e32 v5, 1
	v_mov_b32_e32 v6, 0
	s_mov_b32 s7, exec_lo
	buffer_store_dword v5, off, s[0:3], s32 offset:348 ; 4-byte Folded Spill
	buffer_store_dword v6, off, s[0:3], s32 offset:352 ; 4-byte Folded Spill
	v_cmpx_ne_u16_e32 0x80, v0
	s_cbranch_execz .LBB230_161
; %bb.156:                              ;   in Loop: Header=BB230_10 Depth=1
	v_mov_b32_e32 v7, 0x7f800001
	v_bfe_u32 v6, v4, 16, 7
	v_mov_b32_e32 v8, 0
	s_mov_b32 s17, exec_lo
	buffer_store_dword v7, off, s[0:3], s32 offset:348 ; 4-byte Folded Spill
	buffer_store_dword v8, off, s[0:3], s32 offset:352 ; 4-byte Folded Spill
	v_cmpx_ne_u32_e32 0x7f, v6
	s_cbranch_execz .LBB230_160
; %bb.157:                              ;   in Loop: Header=BB230_10 Depth=1
	v_mov_b32_e32 v0, 7
	v_lshrrev_b32_e32 v5, 3, v6
	s_mov_b32 s18, exec_lo
	v_and_b32_sdwa v26, v4, v0 dst_sel:DWORD dst_unused:UNUSED_PAD src0_sel:WORD_1 src1_sel:DWORD
	v_cmpx_gt_u32_e32 8, v6
; %bb.158:                              ;   in Loop: Header=BB230_10 Depth=1
	v_ffbh_u32_e32 v5, v26
	v_min_u32_e32 v5, 32, v5
	v_subrev_nc_u32_e32 v6, 28, v5
	v_sub_nc_u32_e32 v5, 29, v5
	v_lshlrev_b64 v[6:7], v6, v[26:27]
	v_and_b32_e32 v26, 7, v6
; %bb.159:                              ;   in Loop: Header=BB230_10 Depth=1
	s_or_b32 exec_lo, exec_lo, s18
	v_mov_b32_e32 v0, 24
	v_lshl_add_u32 v5, v5, 23, 0x3c000000
	v_lshlrev_b32_sdwa v6, v0, v4 dst_sel:DWORD dst_unused:UNUSED_PAD src0_sel:DWORD src1_sel:WORD_1
	v_lshlrev_b32_e32 v0, 20, v26
	v_and_b32_e32 v6, 0x80000000, v6
	v_or3_b32 v26, v0, v6, v5
	buffer_store_dword v26, off, s[0:3], s32 offset:348 ; 4-byte Folded Spill
	buffer_store_dword v27, off, s[0:3], s32 offset:352 ; 4-byte Folded Spill
.LBB230_160:                            ;   in Loop: Header=BB230_10 Depth=1
	s_or_b32 exec_lo, exec_lo, s17
.LBB230_161:                            ;   in Loop: Header=BB230_10 Depth=1
	s_or_b32 exec_lo, exec_lo, s7
.LBB230_162:                            ;   in Loop: Header=BB230_10 Depth=1
	s_or_b32 exec_lo, exec_lo, s6
	s_mov_b32 s6, exec_lo
	v_cmpx_lt_u32_e32 0xffffff, v4
	s_cbranch_execz .LBB230_170
; %bb.163:                              ;   in Loop: Header=BB230_10 Depth=1
	v_mov_b32_e32 v0, 0x80
	v_mov_b32_e32 v76, v27
	buffer_store_dword v76, off, s[0:3], s32 offset:340 ; 4-byte Folded Spill
	buffer_store_dword v77, off, s[0:3], s32 offset:344 ; 4-byte Folded Spill
	v_cmp_ne_u32_sdwa s5, v4, v0 src0_sel:BYTE_3 src1_sel:DWORD
	s_and_saveexec_b32 s7, s5
	s_cbranch_execz .LBB230_169
; %bb.164:                              ;   in Loop: Header=BB230_10 Depth=1
	v_bfe_u32 v6, v4, 24, 7
	v_mov_b32_e32 v106, v27
	s_mov_b32 s17, exec_lo
	buffer_store_dword v106, off, s[0:3], s32 offset:340 ; 4-byte Folded Spill
	buffer_store_dword v107, off, s[0:3], s32 offset:344 ; 4-byte Folded Spill
	v_cmpx_ne_u32_e32 0x7f, v6
	s_cbranch_execz .LBB230_168
; %bb.165:                              ;   in Loop: Header=BB230_10 Depth=1
	v_mov_b32_e32 v0, 7
	v_lshrrev_b32_e32 v5, 3, v6
	s_mov_b32 s18, exec_lo
	v_and_b32_sdwa v26, v4, v0 dst_sel:DWORD dst_unused:UNUSED_PAD src0_sel:BYTE_3 src1_sel:DWORD
	v_cmpx_gt_u32_e32 8, v6
; %bb.166:                              ;   in Loop: Header=BB230_10 Depth=1
	v_ffbh_u32_e32 v5, v26
	v_min_u32_e32 v5, 32, v5
	v_subrev_nc_u32_e32 v6, 28, v5
	v_sub_nc_u32_e32 v5, 29, v5
	v_lshlrev_b64 v[6:7], v6, v[26:27]
	v_and_b32_e32 v26, 7, v6
; %bb.167:                              ;   in Loop: Header=BB230_10 Depth=1
	s_or_b32 exec_lo, exec_lo, s18
	v_mov_b32_e32 v0, 24
	v_lshl_add_u32 v5, v5, 23, 0x3c000000
	v_lshlrev_b32_sdwa v4, v0, v4 dst_sel:DWORD dst_unused:UNUSED_PAD src0_sel:DWORD src1_sel:BYTE_3
	v_lshlrev_b32_e32 v0, 20, v26
	v_and_b32_e32 v4, 0x80000000, v4
	v_or3_b32 v5, v0, v4, v5
	v_mov_b32_e32 v4, v27
	buffer_store_dword v4, off, s[0:3], s32 offset:340 ; 4-byte Folded Spill
	buffer_store_dword v5, off, s[0:3], s32 offset:344 ; 4-byte Folded Spill
.LBB230_168:                            ;   in Loop: Header=BB230_10 Depth=1
	s_or_b32 exec_lo, exec_lo, s17
.LBB230_169:                            ;   in Loop: Header=BB230_10 Depth=1
	s_or_b32 exec_lo, exec_lo, s7
.LBB230_170:                            ;   in Loop: Header=BB230_10 Depth=1
	s_or_b32 exec_lo, exec_lo, s6
	flat_load_dword v4, v[2:3] offset:516
	v_mov_b32_e32 v5, 0
	v_mov_b32_e32 v6, 0
	buffer_store_dword v5, off, s[0:3], s32 offset:364 ; 4-byte Folded Spill
	buffer_store_dword v6, off, s[0:3], s32 offset:368 ; 4-byte Folded Spill
	v_mov_b32_e32 v5, 0
	v_mov_b32_e32 v6, 0
	buffer_store_dword v5, off, s[0:3], s32 offset:356 ; 4-byte Folded Spill
	buffer_store_dword v6, off, s[0:3], s32 offset:360 ; 4-byte Folded Spill
	s_waitcnt vmcnt(0) lgkmcnt(0)
	v_cmp_ne_u16_sdwa s5, v4, v27 src0_sel:BYTE_0 src1_sel:DWORD
	s_and_saveexec_b32 s6, s5
	s_cbranch_execz .LBB230_178
; %bb.171:                              ;   in Loop: Header=BB230_10 Depth=1
	v_mov_b32_e32 v0, 0x80
	v_bfrev_b32_e32 v5, 1
	v_mov_b32_e32 v6, 0
	buffer_store_dword v5, off, s[0:3], s32 offset:356 ; 4-byte Folded Spill
	buffer_store_dword v6, off, s[0:3], s32 offset:360 ; 4-byte Folded Spill
	v_cmp_ne_u16_sdwa s5, v4, v0 src0_sel:BYTE_0 src1_sel:DWORD
	s_and_saveexec_b32 s7, s5
	s_cbranch_execz .LBB230_177
; %bb.172:                              ;   in Loop: Header=BB230_10 Depth=1
	v_mov_b32_e32 v7, 0x7f800001
	v_and_b32_e32 v6, 0x7f, v4
	v_mov_b32_e32 v8, 0
	s_mov_b32 s17, exec_lo
	buffer_store_dword v7, off, s[0:3], s32 offset:356 ; 4-byte Folded Spill
	buffer_store_dword v8, off, s[0:3], s32 offset:360 ; 4-byte Folded Spill
	v_cmpx_ne_u32_e32 0x7f, v6
	s_cbranch_execz .LBB230_176
; %bb.173:                              ;   in Loop: Header=BB230_10 Depth=1
	v_and_b32_e32 v26, 7, v4
	v_lshrrev_b32_e32 v5, 3, v6
	s_mov_b32 s18, exec_lo
	v_cmpx_gt_u32_e32 8, v6
; %bb.174:                              ;   in Loop: Header=BB230_10 Depth=1
	v_ffbh_u32_e32 v5, v26
	v_min_u32_e32 v5, 32, v5
	v_subrev_nc_u32_e32 v6, 28, v5
	v_sub_nc_u32_e32 v5, 29, v5
	v_lshlrev_b64 v[6:7], v6, v[26:27]
	v_and_b32_e32 v26, 7, v6
; %bb.175:                              ;   in Loop: Header=BB230_10 Depth=1
	s_or_b32 exec_lo, exec_lo, s18
	v_lshlrev_b32_e32 v6, 24, v4
	v_lshlrev_b32_e32 v0, 20, v26
	v_lshl_add_u32 v5, v5, 23, 0x3c000000
	v_and_b32_e32 v6, 0x80000000, v6
	v_or3_b32 v26, v0, v6, v5
	buffer_store_dword v26, off, s[0:3], s32 offset:356 ; 4-byte Folded Spill
	buffer_store_dword v27, off, s[0:3], s32 offset:360 ; 4-byte Folded Spill
.LBB230_176:                            ;   in Loop: Header=BB230_10 Depth=1
	s_or_b32 exec_lo, exec_lo, s17
.LBB230_177:                            ;   in Loop: Header=BB230_10 Depth=1
	s_or_b32 exec_lo, exec_lo, s7
.LBB230_178:                            ;   in Loop: Header=BB230_10 Depth=1
	s_or_b32 exec_lo, exec_lo, s6
	v_cmp_ne_u16_sdwa s5, v4, v27 src0_sel:BYTE_1 src1_sel:DWORD
	s_and_saveexec_b32 s6, s5
	s_cbranch_execz .LBB230_186
; %bb.179:                              ;   in Loop: Header=BB230_10 Depth=1
	v_mov_b32_e32 v0, 0x80
	v_mov_b32_e32 v76, v27
	buffer_store_dword v76, off, s[0:3], s32 offset:364 ; 4-byte Folded Spill
	buffer_store_dword v77, off, s[0:3], s32 offset:368 ; 4-byte Folded Spill
	v_cmp_ne_u16_sdwa s5, v4, v0 src0_sel:BYTE_1 src1_sel:DWORD
	s_and_saveexec_b32 s7, s5
	s_cbranch_execz .LBB230_185
; %bb.180:                              ;   in Loop: Header=BB230_10 Depth=1
	v_mov_b32_e32 v0, 0xffff
	v_mov_b32_e32 v106, v27
	s_mov_b32 s17, exec_lo
	buffer_store_dword v106, off, s[0:3], s32 offset:364 ; 4-byte Folded Spill
	buffer_store_dword v107, off, s[0:3], s32 offset:368 ; 4-byte Folded Spill
	v_and_b32_sdwa v0, v0, v4 dst_sel:DWORD dst_unused:UNUSED_PAD src0_sel:DWORD src1_sel:BYTE_1
	v_and_b32_e32 v6, 0x7f, v0
	v_cmpx_ne_u32_e32 0x7f, v6
	s_cbranch_execz .LBB230_184
; %bb.181:                              ;   in Loop: Header=BB230_10 Depth=1
	v_and_b32_e32 v26, 7, v0
	v_lshrrev_b32_e32 v5, 3, v6
	s_mov_b32 s18, exec_lo
	v_cmpx_gt_u32_e32 8, v6
; %bb.182:                              ;   in Loop: Header=BB230_10 Depth=1
	v_ffbh_u32_e32 v5, v26
	v_min_u32_e32 v5, 32, v5
	v_subrev_nc_u32_e32 v6, 28, v5
	v_sub_nc_u32_e32 v5, 29, v5
	v_lshlrev_b64 v[6:7], v6, v[26:27]
	v_and_b32_e32 v26, 7, v6
; %bb.183:                              ;   in Loop: Header=BB230_10 Depth=1
	s_or_b32 exec_lo, exec_lo, s18
	v_lshlrev_b32_e32 v6, 16, v4
	v_lshlrev_b32_e32 v0, 20, v26
	v_lshl_add_u32 v5, v5, 23, 0x3c000000
	v_and_b32_e32 v6, 0x80000000, v6
	v_or3_b32 v6, v0, v6, v5
	v_mov_b32_e32 v5, v27
	buffer_store_dword v5, off, s[0:3], s32 offset:364 ; 4-byte Folded Spill
	buffer_store_dword v6, off, s[0:3], s32 offset:368 ; 4-byte Folded Spill
.LBB230_184:                            ;   in Loop: Header=BB230_10 Depth=1
	s_or_b32 exec_lo, exec_lo, s17
.LBB230_185:                            ;   in Loop: Header=BB230_10 Depth=1
	s_or_b32 exec_lo, exec_lo, s7
.LBB230_186:                            ;   in Loop: Header=BB230_10 Depth=1
	s_or_b32 exec_lo, exec_lo, s6
	v_mov_b32_e32 v5, 0
	v_mov_b32_e32 v6, 0
	;; [unrolled: 1-line block ×3, first 2 shown]
	s_mov_b32 s6, exec_lo
	buffer_store_dword v5, off, s[0:3], s32 offset:372 ; 4-byte Folded Spill
	buffer_store_dword v6, off, s[0:3], s32 offset:376 ; 4-byte Folded Spill
	v_mov_b32_e32 v5, 0
	v_and_b32_sdwa v0, v4, v0 dst_sel:DWORD dst_unused:UNUSED_PAD src0_sel:WORD_1 src1_sel:DWORD
	v_mov_b32_e32 v6, 0
	buffer_store_dword v5, off, s[0:3], s32 offset:380 ; 4-byte Folded Spill
	buffer_store_dword v6, off, s[0:3], s32 offset:384 ; 4-byte Folded Spill
	v_cmpx_ne_u16_e32 0, v0
	s_cbranch_execz .LBB230_194
; %bb.187:                              ;   in Loop: Header=BB230_10 Depth=1
	v_bfrev_b32_e32 v5, 1
	v_mov_b32_e32 v6, 0
	s_mov_b32 s7, exec_lo
	buffer_store_dword v5, off, s[0:3], s32 offset:380 ; 4-byte Folded Spill
	buffer_store_dword v6, off, s[0:3], s32 offset:384 ; 4-byte Folded Spill
	v_cmpx_ne_u16_e32 0x80, v0
	s_cbranch_execz .LBB230_193
; %bb.188:                              ;   in Loop: Header=BB230_10 Depth=1
	v_mov_b32_e32 v7, 0x7f800001
	v_bfe_u32 v6, v4, 16, 7
	v_mov_b32_e32 v8, 0
	s_mov_b32 s17, exec_lo
	buffer_store_dword v7, off, s[0:3], s32 offset:380 ; 4-byte Folded Spill
	buffer_store_dword v8, off, s[0:3], s32 offset:384 ; 4-byte Folded Spill
	v_cmpx_ne_u32_e32 0x7f, v6
	s_cbranch_execz .LBB230_192
; %bb.189:                              ;   in Loop: Header=BB230_10 Depth=1
	v_mov_b32_e32 v0, 7
	v_lshrrev_b32_e32 v5, 3, v6
	s_mov_b32 s18, exec_lo
	v_and_b32_sdwa v26, v4, v0 dst_sel:DWORD dst_unused:UNUSED_PAD src0_sel:WORD_1 src1_sel:DWORD
	v_cmpx_gt_u32_e32 8, v6
; %bb.190:                              ;   in Loop: Header=BB230_10 Depth=1
	v_ffbh_u32_e32 v5, v26
	v_min_u32_e32 v5, 32, v5
	v_subrev_nc_u32_e32 v6, 28, v5
	v_sub_nc_u32_e32 v5, 29, v5
	v_lshlrev_b64 v[6:7], v6, v[26:27]
	v_and_b32_e32 v26, 7, v6
; %bb.191:                              ;   in Loop: Header=BB230_10 Depth=1
	s_or_b32 exec_lo, exec_lo, s18
	v_mov_b32_e32 v0, 24
	v_lshl_add_u32 v5, v5, 23, 0x3c000000
	v_lshlrev_b32_sdwa v6, v0, v4 dst_sel:DWORD dst_unused:UNUSED_PAD src0_sel:DWORD src1_sel:WORD_1
	v_lshlrev_b32_e32 v0, 20, v26
	v_and_b32_e32 v6, 0x80000000, v6
	v_or3_b32 v26, v0, v6, v5
	buffer_store_dword v26, off, s[0:3], s32 offset:380 ; 4-byte Folded Spill
	buffer_store_dword v27, off, s[0:3], s32 offset:384 ; 4-byte Folded Spill
.LBB230_192:                            ;   in Loop: Header=BB230_10 Depth=1
	s_or_b32 exec_lo, exec_lo, s17
.LBB230_193:                            ;   in Loop: Header=BB230_10 Depth=1
	s_or_b32 exec_lo, exec_lo, s7
.LBB230_194:                            ;   in Loop: Header=BB230_10 Depth=1
	s_or_b32 exec_lo, exec_lo, s6
	s_mov_b32 s6, exec_lo
	v_cmpx_lt_u32_e32 0xffffff, v4
	s_cbranch_execz .LBB230_202
; %bb.195:                              ;   in Loop: Header=BB230_10 Depth=1
	v_mov_b32_e32 v0, 0x80
	v_mov_b32_e32 v76, v27
	buffer_store_dword v76, off, s[0:3], s32 offset:372 ; 4-byte Folded Spill
	buffer_store_dword v77, off, s[0:3], s32 offset:376 ; 4-byte Folded Spill
	v_cmp_ne_u32_sdwa s5, v4, v0 src0_sel:BYTE_3 src1_sel:DWORD
	s_and_saveexec_b32 s7, s5
	s_cbranch_execz .LBB230_201
; %bb.196:                              ;   in Loop: Header=BB230_10 Depth=1
	v_bfe_u32 v6, v4, 24, 7
	v_mov_b32_e32 v106, v27
	s_mov_b32 s17, exec_lo
	buffer_store_dword v106, off, s[0:3], s32 offset:372 ; 4-byte Folded Spill
	buffer_store_dword v107, off, s[0:3], s32 offset:376 ; 4-byte Folded Spill
	v_cmpx_ne_u32_e32 0x7f, v6
	s_cbranch_execz .LBB230_200
; %bb.197:                              ;   in Loop: Header=BB230_10 Depth=1
	v_mov_b32_e32 v0, 7
	v_lshrrev_b32_e32 v5, 3, v6
	s_mov_b32 s18, exec_lo
	v_and_b32_sdwa v26, v4, v0 dst_sel:DWORD dst_unused:UNUSED_PAD src0_sel:BYTE_3 src1_sel:DWORD
	v_cmpx_gt_u32_e32 8, v6
; %bb.198:                              ;   in Loop: Header=BB230_10 Depth=1
	v_ffbh_u32_e32 v5, v26
	v_min_u32_e32 v5, 32, v5
	v_subrev_nc_u32_e32 v6, 28, v5
	v_sub_nc_u32_e32 v5, 29, v5
	v_lshlrev_b64 v[6:7], v6, v[26:27]
	v_and_b32_e32 v26, 7, v6
; %bb.199:                              ;   in Loop: Header=BB230_10 Depth=1
	s_or_b32 exec_lo, exec_lo, s18
	v_mov_b32_e32 v0, 24
	v_lshl_add_u32 v5, v5, 23, 0x3c000000
	v_lshlrev_b32_sdwa v4, v0, v4 dst_sel:DWORD dst_unused:UNUSED_PAD src0_sel:DWORD src1_sel:BYTE_3
	v_lshlrev_b32_e32 v0, 20, v26
	v_and_b32_e32 v4, 0x80000000, v4
	v_or3_b32 v5, v0, v4, v5
	v_mov_b32_e32 v4, v27
	buffer_store_dword v4, off, s[0:3], s32 offset:372 ; 4-byte Folded Spill
	buffer_store_dword v5, off, s[0:3], s32 offset:376 ; 4-byte Folded Spill
.LBB230_200:                            ;   in Loop: Header=BB230_10 Depth=1
	s_or_b32 exec_lo, exec_lo, s17
.LBB230_201:                            ;   in Loop: Header=BB230_10 Depth=1
	s_or_b32 exec_lo, exec_lo, s7
.LBB230_202:                            ;   in Loop: Header=BB230_10 Depth=1
	s_or_b32 exec_lo, exec_lo, s6
	flat_load_dword v4, v[2:3] offset:520
	v_mov_b32_e32 v5, 0
	v_mov_b32_e32 v6, 0
	buffer_store_dword v5, off, s[0:3], s32 offset:396 ; 4-byte Folded Spill
	buffer_store_dword v6, off, s[0:3], s32 offset:400 ; 4-byte Folded Spill
	v_mov_b32_e32 v5, 0
	v_mov_b32_e32 v6, 0
	buffer_store_dword v5, off, s[0:3], s32 offset:388 ; 4-byte Folded Spill
	buffer_store_dword v6, off, s[0:3], s32 offset:392 ; 4-byte Folded Spill
	s_waitcnt vmcnt(0) lgkmcnt(0)
	v_cmp_ne_u16_sdwa s5, v4, v27 src0_sel:BYTE_0 src1_sel:DWORD
	s_and_saveexec_b32 s6, s5
	s_cbranch_execz .LBB230_210
; %bb.203:                              ;   in Loop: Header=BB230_10 Depth=1
	v_mov_b32_e32 v0, 0x80
	v_bfrev_b32_e32 v5, 1
	v_mov_b32_e32 v6, 0
	buffer_store_dword v5, off, s[0:3], s32 offset:388 ; 4-byte Folded Spill
	buffer_store_dword v6, off, s[0:3], s32 offset:392 ; 4-byte Folded Spill
	v_cmp_ne_u16_sdwa s5, v4, v0 src0_sel:BYTE_0 src1_sel:DWORD
	s_and_saveexec_b32 s7, s5
	s_cbranch_execz .LBB230_209
; %bb.204:                              ;   in Loop: Header=BB230_10 Depth=1
	v_mov_b32_e32 v7, 0x7f800001
	v_and_b32_e32 v6, 0x7f, v4
	v_mov_b32_e32 v8, 0
	s_mov_b32 s17, exec_lo
	buffer_store_dword v7, off, s[0:3], s32 offset:388 ; 4-byte Folded Spill
	buffer_store_dword v8, off, s[0:3], s32 offset:392 ; 4-byte Folded Spill
	v_cmpx_ne_u32_e32 0x7f, v6
	s_cbranch_execz .LBB230_208
; %bb.205:                              ;   in Loop: Header=BB230_10 Depth=1
	v_and_b32_e32 v26, 7, v4
	v_lshrrev_b32_e32 v5, 3, v6
	s_mov_b32 s18, exec_lo
	v_cmpx_gt_u32_e32 8, v6
; %bb.206:                              ;   in Loop: Header=BB230_10 Depth=1
	v_ffbh_u32_e32 v5, v26
	v_min_u32_e32 v5, 32, v5
	v_subrev_nc_u32_e32 v6, 28, v5
	v_sub_nc_u32_e32 v5, 29, v5
	v_lshlrev_b64 v[6:7], v6, v[26:27]
	v_and_b32_e32 v26, 7, v6
; %bb.207:                              ;   in Loop: Header=BB230_10 Depth=1
	s_or_b32 exec_lo, exec_lo, s18
	v_lshlrev_b32_e32 v6, 24, v4
	v_lshlrev_b32_e32 v0, 20, v26
	v_lshl_add_u32 v5, v5, 23, 0x3c000000
	v_and_b32_e32 v6, 0x80000000, v6
	v_or3_b32 v26, v0, v6, v5
	buffer_store_dword v26, off, s[0:3], s32 offset:388 ; 4-byte Folded Spill
	buffer_store_dword v27, off, s[0:3], s32 offset:392 ; 4-byte Folded Spill
.LBB230_208:                            ;   in Loop: Header=BB230_10 Depth=1
	s_or_b32 exec_lo, exec_lo, s17
.LBB230_209:                            ;   in Loop: Header=BB230_10 Depth=1
	s_or_b32 exec_lo, exec_lo, s7
.LBB230_210:                            ;   in Loop: Header=BB230_10 Depth=1
	s_or_b32 exec_lo, exec_lo, s6
	v_cmp_ne_u16_sdwa s5, v4, v27 src0_sel:BYTE_1 src1_sel:DWORD
	s_and_saveexec_b32 s6, s5
	s_cbranch_execz .LBB230_218
; %bb.211:                              ;   in Loop: Header=BB230_10 Depth=1
	v_mov_b32_e32 v0, 0x80
	v_mov_b32_e32 v76, v27
	buffer_store_dword v76, off, s[0:3], s32 offset:396 ; 4-byte Folded Spill
	buffer_store_dword v77, off, s[0:3], s32 offset:400 ; 4-byte Folded Spill
	v_cmp_ne_u16_sdwa s5, v4, v0 src0_sel:BYTE_1 src1_sel:DWORD
	s_and_saveexec_b32 s7, s5
	s_cbranch_execz .LBB230_217
; %bb.212:                              ;   in Loop: Header=BB230_10 Depth=1
	v_mov_b32_e32 v0, 0xffff
	v_mov_b32_e32 v106, v27
	s_mov_b32 s17, exec_lo
	buffer_store_dword v106, off, s[0:3], s32 offset:396 ; 4-byte Folded Spill
	buffer_store_dword v107, off, s[0:3], s32 offset:400 ; 4-byte Folded Spill
	v_and_b32_sdwa v0, v0, v4 dst_sel:DWORD dst_unused:UNUSED_PAD src0_sel:DWORD src1_sel:BYTE_1
	v_and_b32_e32 v6, 0x7f, v0
	v_cmpx_ne_u32_e32 0x7f, v6
	s_cbranch_execz .LBB230_216
; %bb.213:                              ;   in Loop: Header=BB230_10 Depth=1
	v_and_b32_e32 v26, 7, v0
	v_lshrrev_b32_e32 v5, 3, v6
	s_mov_b32 s18, exec_lo
	v_cmpx_gt_u32_e32 8, v6
; %bb.214:                              ;   in Loop: Header=BB230_10 Depth=1
	v_ffbh_u32_e32 v5, v26
	v_min_u32_e32 v5, 32, v5
	v_subrev_nc_u32_e32 v6, 28, v5
	v_sub_nc_u32_e32 v5, 29, v5
	v_lshlrev_b64 v[6:7], v6, v[26:27]
	v_and_b32_e32 v26, 7, v6
; %bb.215:                              ;   in Loop: Header=BB230_10 Depth=1
	s_or_b32 exec_lo, exec_lo, s18
	v_lshlrev_b32_e32 v6, 16, v4
	v_lshlrev_b32_e32 v0, 20, v26
	v_lshl_add_u32 v5, v5, 23, 0x3c000000
	v_and_b32_e32 v6, 0x80000000, v6
	v_or3_b32 v6, v0, v6, v5
	v_mov_b32_e32 v5, v27
	buffer_store_dword v5, off, s[0:3], s32 offset:396 ; 4-byte Folded Spill
	buffer_store_dword v6, off, s[0:3], s32 offset:400 ; 4-byte Folded Spill
.LBB230_216:                            ;   in Loop: Header=BB230_10 Depth=1
	s_or_b32 exec_lo, exec_lo, s17
.LBB230_217:                            ;   in Loop: Header=BB230_10 Depth=1
	s_or_b32 exec_lo, exec_lo, s7
.LBB230_218:                            ;   in Loop: Header=BB230_10 Depth=1
	s_or_b32 exec_lo, exec_lo, s6
	v_mov_b32_e32 v5, 0
	v_mov_b32_e32 v6, 0
	;; [unrolled: 1-line block ×3, first 2 shown]
	s_mov_b32 s6, exec_lo
	buffer_store_dword v5, off, s[0:3], s32 offset:404 ; 4-byte Folded Spill
	buffer_store_dword v6, off, s[0:3], s32 offset:408 ; 4-byte Folded Spill
	v_mov_b32_e32 v5, 0
	v_and_b32_sdwa v0, v4, v0 dst_sel:DWORD dst_unused:UNUSED_PAD src0_sel:WORD_1 src1_sel:DWORD
	v_mov_b32_e32 v6, 0
	buffer_store_dword v5, off, s[0:3], s32 offset:412 ; 4-byte Folded Spill
	buffer_store_dword v6, off, s[0:3], s32 offset:416 ; 4-byte Folded Spill
	v_cmpx_ne_u16_e32 0, v0
	s_cbranch_execz .LBB230_226
; %bb.219:                              ;   in Loop: Header=BB230_10 Depth=1
	v_bfrev_b32_e32 v5, 1
	v_mov_b32_e32 v6, 0
	s_mov_b32 s7, exec_lo
	buffer_store_dword v5, off, s[0:3], s32 offset:412 ; 4-byte Folded Spill
	buffer_store_dword v6, off, s[0:3], s32 offset:416 ; 4-byte Folded Spill
	v_cmpx_ne_u16_e32 0x80, v0
	s_cbranch_execz .LBB230_225
; %bb.220:                              ;   in Loop: Header=BB230_10 Depth=1
	v_mov_b32_e32 v7, 0x7f800001
	v_bfe_u32 v6, v4, 16, 7
	v_mov_b32_e32 v8, 0
	s_mov_b32 s17, exec_lo
	buffer_store_dword v7, off, s[0:3], s32 offset:412 ; 4-byte Folded Spill
	buffer_store_dword v8, off, s[0:3], s32 offset:416 ; 4-byte Folded Spill
	v_cmpx_ne_u32_e32 0x7f, v6
	s_cbranch_execz .LBB230_224
; %bb.221:                              ;   in Loop: Header=BB230_10 Depth=1
	v_mov_b32_e32 v0, 7
	v_lshrrev_b32_e32 v5, 3, v6
	s_mov_b32 s18, exec_lo
	v_and_b32_sdwa v26, v4, v0 dst_sel:DWORD dst_unused:UNUSED_PAD src0_sel:WORD_1 src1_sel:DWORD
	v_cmpx_gt_u32_e32 8, v6
; %bb.222:                              ;   in Loop: Header=BB230_10 Depth=1
	v_ffbh_u32_e32 v5, v26
	v_min_u32_e32 v5, 32, v5
	v_subrev_nc_u32_e32 v6, 28, v5
	v_sub_nc_u32_e32 v5, 29, v5
	v_lshlrev_b64 v[6:7], v6, v[26:27]
	v_and_b32_e32 v26, 7, v6
; %bb.223:                              ;   in Loop: Header=BB230_10 Depth=1
	s_or_b32 exec_lo, exec_lo, s18
	v_mov_b32_e32 v0, 24
	v_lshl_add_u32 v5, v5, 23, 0x3c000000
	v_lshlrev_b32_sdwa v6, v0, v4 dst_sel:DWORD dst_unused:UNUSED_PAD src0_sel:DWORD src1_sel:WORD_1
	v_lshlrev_b32_e32 v0, 20, v26
	v_and_b32_e32 v6, 0x80000000, v6
	v_or3_b32 v26, v0, v6, v5
	buffer_store_dword v26, off, s[0:3], s32 offset:412 ; 4-byte Folded Spill
	buffer_store_dword v27, off, s[0:3], s32 offset:416 ; 4-byte Folded Spill
.LBB230_224:                            ;   in Loop: Header=BB230_10 Depth=1
	s_or_b32 exec_lo, exec_lo, s17
.LBB230_225:                            ;   in Loop: Header=BB230_10 Depth=1
	s_or_b32 exec_lo, exec_lo, s7
.LBB230_226:                            ;   in Loop: Header=BB230_10 Depth=1
	s_or_b32 exec_lo, exec_lo, s6
	s_mov_b32 s6, exec_lo
	v_cmpx_lt_u32_e32 0xffffff, v4
	s_cbranch_execz .LBB230_234
; %bb.227:                              ;   in Loop: Header=BB230_10 Depth=1
	v_mov_b32_e32 v0, 0x80
	v_mov_b32_e32 v76, v27
	buffer_store_dword v76, off, s[0:3], s32 offset:404 ; 4-byte Folded Spill
	buffer_store_dword v77, off, s[0:3], s32 offset:408 ; 4-byte Folded Spill
	v_cmp_ne_u32_sdwa s5, v4, v0 src0_sel:BYTE_3 src1_sel:DWORD
	s_and_saveexec_b32 s7, s5
	s_cbranch_execz .LBB230_233
; %bb.228:                              ;   in Loop: Header=BB230_10 Depth=1
	v_bfe_u32 v6, v4, 24, 7
	v_mov_b32_e32 v106, v27
	s_mov_b32 s17, exec_lo
	buffer_store_dword v106, off, s[0:3], s32 offset:404 ; 4-byte Folded Spill
	buffer_store_dword v107, off, s[0:3], s32 offset:408 ; 4-byte Folded Spill
	v_cmpx_ne_u32_e32 0x7f, v6
	s_cbranch_execz .LBB230_232
; %bb.229:                              ;   in Loop: Header=BB230_10 Depth=1
	v_mov_b32_e32 v0, 7
	v_lshrrev_b32_e32 v5, 3, v6
	s_mov_b32 s18, exec_lo
	v_and_b32_sdwa v26, v4, v0 dst_sel:DWORD dst_unused:UNUSED_PAD src0_sel:BYTE_3 src1_sel:DWORD
	v_cmpx_gt_u32_e32 8, v6
; %bb.230:                              ;   in Loop: Header=BB230_10 Depth=1
	v_ffbh_u32_e32 v5, v26
	v_min_u32_e32 v5, 32, v5
	v_subrev_nc_u32_e32 v6, 28, v5
	v_sub_nc_u32_e32 v5, 29, v5
	v_lshlrev_b64 v[6:7], v6, v[26:27]
	v_and_b32_e32 v26, 7, v6
; %bb.231:                              ;   in Loop: Header=BB230_10 Depth=1
	s_or_b32 exec_lo, exec_lo, s18
	v_mov_b32_e32 v0, 24
	v_lshl_add_u32 v5, v5, 23, 0x3c000000
	v_lshlrev_b32_sdwa v4, v0, v4 dst_sel:DWORD dst_unused:UNUSED_PAD src0_sel:DWORD src1_sel:BYTE_3
	v_lshlrev_b32_e32 v0, 20, v26
	v_and_b32_e32 v4, 0x80000000, v4
	v_or3_b32 v5, v0, v4, v5
	v_mov_b32_e32 v4, v27
	buffer_store_dword v4, off, s[0:3], s32 offset:404 ; 4-byte Folded Spill
	buffer_store_dword v5, off, s[0:3], s32 offset:408 ; 4-byte Folded Spill
.LBB230_232:                            ;   in Loop: Header=BB230_10 Depth=1
	s_or_b32 exec_lo, exec_lo, s17
.LBB230_233:                            ;   in Loop: Header=BB230_10 Depth=1
	s_or_b32 exec_lo, exec_lo, s7
.LBB230_234:                            ;   in Loop: Header=BB230_10 Depth=1
	s_or_b32 exec_lo, exec_lo, s6
	flat_load_dword v4, v[2:3] offset:524
	v_mov_b32_e32 v5, 0
	v_mov_b32_e32 v6, 0
	buffer_store_dword v5, off, s[0:3], s32 offset:428 ; 4-byte Folded Spill
	buffer_store_dword v6, off, s[0:3], s32 offset:432 ; 4-byte Folded Spill
	v_mov_b32_e32 v5, 0
	v_mov_b32_e32 v6, 0
	buffer_store_dword v5, off, s[0:3], s32 offset:420 ; 4-byte Folded Spill
	buffer_store_dword v6, off, s[0:3], s32 offset:424 ; 4-byte Folded Spill
	s_waitcnt vmcnt(0) lgkmcnt(0)
	v_cmp_ne_u16_sdwa s5, v4, v27 src0_sel:BYTE_0 src1_sel:DWORD
	s_and_saveexec_b32 s6, s5
	s_cbranch_execz .LBB230_242
; %bb.235:                              ;   in Loop: Header=BB230_10 Depth=1
	v_mov_b32_e32 v0, 0x80
	v_bfrev_b32_e32 v5, 1
	v_mov_b32_e32 v6, 0
	buffer_store_dword v5, off, s[0:3], s32 offset:420 ; 4-byte Folded Spill
	buffer_store_dword v6, off, s[0:3], s32 offset:424 ; 4-byte Folded Spill
	v_cmp_ne_u16_sdwa s5, v4, v0 src0_sel:BYTE_0 src1_sel:DWORD
	s_and_saveexec_b32 s7, s5
	s_cbranch_execz .LBB230_241
; %bb.236:                              ;   in Loop: Header=BB230_10 Depth=1
	v_mov_b32_e32 v7, 0x7f800001
	v_and_b32_e32 v6, 0x7f, v4
	v_mov_b32_e32 v8, 0
	s_mov_b32 s17, exec_lo
	buffer_store_dword v7, off, s[0:3], s32 offset:420 ; 4-byte Folded Spill
	buffer_store_dword v8, off, s[0:3], s32 offset:424 ; 4-byte Folded Spill
	v_cmpx_ne_u32_e32 0x7f, v6
	s_cbranch_execz .LBB230_240
; %bb.237:                              ;   in Loop: Header=BB230_10 Depth=1
	v_and_b32_e32 v26, 7, v4
	v_lshrrev_b32_e32 v5, 3, v6
	s_mov_b32 s18, exec_lo
	v_cmpx_gt_u32_e32 8, v6
; %bb.238:                              ;   in Loop: Header=BB230_10 Depth=1
	v_ffbh_u32_e32 v5, v26
	v_min_u32_e32 v5, 32, v5
	v_subrev_nc_u32_e32 v6, 28, v5
	v_sub_nc_u32_e32 v5, 29, v5
	v_lshlrev_b64 v[6:7], v6, v[26:27]
	v_and_b32_e32 v26, 7, v6
; %bb.239:                              ;   in Loop: Header=BB230_10 Depth=1
	s_or_b32 exec_lo, exec_lo, s18
	v_lshlrev_b32_e32 v6, 24, v4
	v_lshlrev_b32_e32 v0, 20, v26
	v_lshl_add_u32 v5, v5, 23, 0x3c000000
	v_and_b32_e32 v6, 0x80000000, v6
	v_or3_b32 v26, v0, v6, v5
	buffer_store_dword v26, off, s[0:3], s32 offset:420 ; 4-byte Folded Spill
	buffer_store_dword v27, off, s[0:3], s32 offset:424 ; 4-byte Folded Spill
.LBB230_240:                            ;   in Loop: Header=BB230_10 Depth=1
	s_or_b32 exec_lo, exec_lo, s17
.LBB230_241:                            ;   in Loop: Header=BB230_10 Depth=1
	s_or_b32 exec_lo, exec_lo, s7
.LBB230_242:                            ;   in Loop: Header=BB230_10 Depth=1
	s_or_b32 exec_lo, exec_lo, s6
	v_cmp_ne_u16_sdwa s5, v4, v27 src0_sel:BYTE_1 src1_sel:DWORD
	s_and_saveexec_b32 s6, s5
	s_cbranch_execz .LBB230_250
; %bb.243:                              ;   in Loop: Header=BB230_10 Depth=1
	v_mov_b32_e32 v0, 0x80
	v_mov_b32_e32 v76, v27
	buffer_store_dword v76, off, s[0:3], s32 offset:428 ; 4-byte Folded Spill
	buffer_store_dword v77, off, s[0:3], s32 offset:432 ; 4-byte Folded Spill
	v_cmp_ne_u16_sdwa s5, v4, v0 src0_sel:BYTE_1 src1_sel:DWORD
	s_and_saveexec_b32 s7, s5
	s_cbranch_execz .LBB230_249
; %bb.244:                              ;   in Loop: Header=BB230_10 Depth=1
	v_mov_b32_e32 v0, 0xffff
	v_mov_b32_e32 v106, v27
	s_mov_b32 s17, exec_lo
	buffer_store_dword v106, off, s[0:3], s32 offset:428 ; 4-byte Folded Spill
	buffer_store_dword v107, off, s[0:3], s32 offset:432 ; 4-byte Folded Spill
	v_and_b32_sdwa v0, v0, v4 dst_sel:DWORD dst_unused:UNUSED_PAD src0_sel:DWORD src1_sel:BYTE_1
	v_and_b32_e32 v6, 0x7f, v0
	v_cmpx_ne_u32_e32 0x7f, v6
	s_cbranch_execz .LBB230_248
; %bb.245:                              ;   in Loop: Header=BB230_10 Depth=1
	v_and_b32_e32 v26, 7, v0
	v_lshrrev_b32_e32 v5, 3, v6
	s_mov_b32 s18, exec_lo
	v_cmpx_gt_u32_e32 8, v6
; %bb.246:                              ;   in Loop: Header=BB230_10 Depth=1
	v_ffbh_u32_e32 v5, v26
	v_min_u32_e32 v5, 32, v5
	v_subrev_nc_u32_e32 v6, 28, v5
	v_sub_nc_u32_e32 v5, 29, v5
	v_lshlrev_b64 v[6:7], v6, v[26:27]
	v_and_b32_e32 v26, 7, v6
; %bb.247:                              ;   in Loop: Header=BB230_10 Depth=1
	s_or_b32 exec_lo, exec_lo, s18
	v_lshlrev_b32_e32 v6, 16, v4
	v_lshlrev_b32_e32 v0, 20, v26
	v_lshl_add_u32 v5, v5, 23, 0x3c000000
	v_and_b32_e32 v6, 0x80000000, v6
	v_or3_b32 v6, v0, v6, v5
	v_mov_b32_e32 v5, v27
	buffer_store_dword v5, off, s[0:3], s32 offset:428 ; 4-byte Folded Spill
	buffer_store_dword v6, off, s[0:3], s32 offset:432 ; 4-byte Folded Spill
.LBB230_248:                            ;   in Loop: Header=BB230_10 Depth=1
	s_or_b32 exec_lo, exec_lo, s17
.LBB230_249:                            ;   in Loop: Header=BB230_10 Depth=1
	s_or_b32 exec_lo, exec_lo, s7
.LBB230_250:                            ;   in Loop: Header=BB230_10 Depth=1
	s_or_b32 exec_lo, exec_lo, s6
	v_mov_b32_e32 v5, 0
	v_mov_b32_e32 v6, 0
	;; [unrolled: 1-line block ×3, first 2 shown]
	s_mov_b32 s6, exec_lo
	buffer_store_dword v5, off, s[0:3], s32 offset:436 ; 4-byte Folded Spill
	buffer_store_dword v6, off, s[0:3], s32 offset:440 ; 4-byte Folded Spill
	v_mov_b32_e32 v5, 0
	v_and_b32_sdwa v0, v4, v0 dst_sel:DWORD dst_unused:UNUSED_PAD src0_sel:WORD_1 src1_sel:DWORD
	v_mov_b32_e32 v6, 0
	buffer_store_dword v5, off, s[0:3], s32 offset:444 ; 4-byte Folded Spill
	buffer_store_dword v6, off, s[0:3], s32 offset:448 ; 4-byte Folded Spill
	v_cmpx_ne_u16_e32 0, v0
	s_cbranch_execz .LBB230_258
; %bb.251:                              ;   in Loop: Header=BB230_10 Depth=1
	v_bfrev_b32_e32 v5, 1
	v_mov_b32_e32 v6, 0
	s_mov_b32 s7, exec_lo
	buffer_store_dword v5, off, s[0:3], s32 offset:444 ; 4-byte Folded Spill
	buffer_store_dword v6, off, s[0:3], s32 offset:448 ; 4-byte Folded Spill
	v_cmpx_ne_u16_e32 0x80, v0
	s_cbranch_execz .LBB230_257
; %bb.252:                              ;   in Loop: Header=BB230_10 Depth=1
	v_mov_b32_e32 v7, 0x7f800001
	v_bfe_u32 v6, v4, 16, 7
	v_mov_b32_e32 v8, 0
	s_mov_b32 s17, exec_lo
	buffer_store_dword v7, off, s[0:3], s32 offset:444 ; 4-byte Folded Spill
	buffer_store_dword v8, off, s[0:3], s32 offset:448 ; 4-byte Folded Spill
	v_cmpx_ne_u32_e32 0x7f, v6
	s_cbranch_execz .LBB230_256
; %bb.253:                              ;   in Loop: Header=BB230_10 Depth=1
	v_mov_b32_e32 v0, 7
	v_lshrrev_b32_e32 v5, 3, v6
	s_mov_b32 s18, exec_lo
	v_and_b32_sdwa v26, v4, v0 dst_sel:DWORD dst_unused:UNUSED_PAD src0_sel:WORD_1 src1_sel:DWORD
	v_cmpx_gt_u32_e32 8, v6
; %bb.254:                              ;   in Loop: Header=BB230_10 Depth=1
	v_ffbh_u32_e32 v5, v26
	v_min_u32_e32 v5, 32, v5
	v_subrev_nc_u32_e32 v6, 28, v5
	v_sub_nc_u32_e32 v5, 29, v5
	v_lshlrev_b64 v[6:7], v6, v[26:27]
	v_and_b32_e32 v26, 7, v6
; %bb.255:                              ;   in Loop: Header=BB230_10 Depth=1
	s_or_b32 exec_lo, exec_lo, s18
	v_mov_b32_e32 v0, 24
	v_lshl_add_u32 v5, v5, 23, 0x3c000000
	v_lshlrev_b32_sdwa v6, v0, v4 dst_sel:DWORD dst_unused:UNUSED_PAD src0_sel:DWORD src1_sel:WORD_1
	v_lshlrev_b32_e32 v0, 20, v26
	v_and_b32_e32 v6, 0x80000000, v6
	v_or3_b32 v26, v0, v6, v5
	buffer_store_dword v26, off, s[0:3], s32 offset:444 ; 4-byte Folded Spill
	buffer_store_dword v27, off, s[0:3], s32 offset:448 ; 4-byte Folded Spill
.LBB230_256:                            ;   in Loop: Header=BB230_10 Depth=1
	s_or_b32 exec_lo, exec_lo, s17
.LBB230_257:                            ;   in Loop: Header=BB230_10 Depth=1
	s_or_b32 exec_lo, exec_lo, s7
.LBB230_258:                            ;   in Loop: Header=BB230_10 Depth=1
	s_or_b32 exec_lo, exec_lo, s6
	s_mov_b32 s6, exec_lo
	v_cmpx_lt_u32_e32 0xffffff, v4
	s_cbranch_execz .LBB230_266
; %bb.259:                              ;   in Loop: Header=BB230_10 Depth=1
	v_mov_b32_e32 v0, 0x80
	v_mov_b32_e32 v76, v27
	buffer_store_dword v76, off, s[0:3], s32 offset:436 ; 4-byte Folded Spill
	buffer_store_dword v77, off, s[0:3], s32 offset:440 ; 4-byte Folded Spill
	v_cmp_ne_u32_sdwa s5, v4, v0 src0_sel:BYTE_3 src1_sel:DWORD
	s_and_saveexec_b32 s7, s5
	s_cbranch_execz .LBB230_265
; %bb.260:                              ;   in Loop: Header=BB230_10 Depth=1
	v_bfe_u32 v6, v4, 24, 7
	v_mov_b32_e32 v106, v27
	s_mov_b32 s17, exec_lo
	buffer_store_dword v106, off, s[0:3], s32 offset:436 ; 4-byte Folded Spill
	buffer_store_dword v107, off, s[0:3], s32 offset:440 ; 4-byte Folded Spill
	v_cmpx_ne_u32_e32 0x7f, v6
	s_cbranch_execz .LBB230_264
; %bb.261:                              ;   in Loop: Header=BB230_10 Depth=1
	v_mov_b32_e32 v0, 7
	v_lshrrev_b32_e32 v5, 3, v6
	s_mov_b32 s18, exec_lo
	v_and_b32_sdwa v26, v4, v0 dst_sel:DWORD dst_unused:UNUSED_PAD src0_sel:BYTE_3 src1_sel:DWORD
	v_cmpx_gt_u32_e32 8, v6
; %bb.262:                              ;   in Loop: Header=BB230_10 Depth=1
	v_ffbh_u32_e32 v5, v26
	v_min_u32_e32 v5, 32, v5
	v_subrev_nc_u32_e32 v6, 28, v5
	v_sub_nc_u32_e32 v5, 29, v5
	v_lshlrev_b64 v[6:7], v6, v[26:27]
	v_and_b32_e32 v26, 7, v6
; %bb.263:                              ;   in Loop: Header=BB230_10 Depth=1
	s_or_b32 exec_lo, exec_lo, s18
	v_mov_b32_e32 v0, 24
	v_lshl_add_u32 v5, v5, 23, 0x3c000000
	v_lshlrev_b32_sdwa v4, v0, v4 dst_sel:DWORD dst_unused:UNUSED_PAD src0_sel:DWORD src1_sel:BYTE_3
	v_lshlrev_b32_e32 v0, 20, v26
	v_and_b32_e32 v4, 0x80000000, v4
	v_or3_b32 v5, v0, v4, v5
	v_mov_b32_e32 v4, v27
	buffer_store_dword v4, off, s[0:3], s32 offset:436 ; 4-byte Folded Spill
	buffer_store_dword v5, off, s[0:3], s32 offset:440 ; 4-byte Folded Spill
.LBB230_264:                            ;   in Loop: Header=BB230_10 Depth=1
	s_or_b32 exec_lo, exec_lo, s17
.LBB230_265:                            ;   in Loop: Header=BB230_10 Depth=1
	s_or_b32 exec_lo, exec_lo, s7
.LBB230_266:                            ;   in Loop: Header=BB230_10 Depth=1
	s_or_b32 exec_lo, exec_lo, s6
	flat_load_dword v4, v[2:3] offset:1024
	v_mov_b32_e32 v5, 0
	v_mov_b32_e32 v6, 0
	buffer_store_dword v5, off, s[0:3], s32 offset:460 ; 4-byte Folded Spill
	buffer_store_dword v6, off, s[0:3], s32 offset:464 ; 4-byte Folded Spill
	v_mov_b32_e32 v5, 0
	v_mov_b32_e32 v6, 0
	buffer_store_dword v5, off, s[0:3], s32 offset:452 ; 4-byte Folded Spill
	buffer_store_dword v6, off, s[0:3], s32 offset:456 ; 4-byte Folded Spill
	s_waitcnt vmcnt(0) lgkmcnt(0)
	v_cmp_ne_u16_sdwa s5, v4, v27 src0_sel:BYTE_0 src1_sel:DWORD
	s_and_saveexec_b32 s6, s5
	s_cbranch_execz .LBB230_274
; %bb.267:                              ;   in Loop: Header=BB230_10 Depth=1
	v_mov_b32_e32 v0, 0x80
	v_bfrev_b32_e32 v5, 1
	v_mov_b32_e32 v6, 0
	buffer_store_dword v5, off, s[0:3], s32 offset:452 ; 4-byte Folded Spill
	buffer_store_dword v6, off, s[0:3], s32 offset:456 ; 4-byte Folded Spill
	v_cmp_ne_u16_sdwa s5, v4, v0 src0_sel:BYTE_0 src1_sel:DWORD
	s_and_saveexec_b32 s7, s5
	s_cbranch_execz .LBB230_273
; %bb.268:                              ;   in Loop: Header=BB230_10 Depth=1
	v_mov_b32_e32 v7, 0x7f800001
	v_and_b32_e32 v6, 0x7f, v4
	v_mov_b32_e32 v8, 0
	s_mov_b32 s17, exec_lo
	buffer_store_dword v7, off, s[0:3], s32 offset:452 ; 4-byte Folded Spill
	buffer_store_dword v8, off, s[0:3], s32 offset:456 ; 4-byte Folded Spill
	v_cmpx_ne_u32_e32 0x7f, v6
	s_cbranch_execz .LBB230_272
; %bb.269:                              ;   in Loop: Header=BB230_10 Depth=1
	v_and_b32_e32 v26, 7, v4
	v_lshrrev_b32_e32 v5, 3, v6
	s_mov_b32 s18, exec_lo
	v_cmpx_gt_u32_e32 8, v6
; %bb.270:                              ;   in Loop: Header=BB230_10 Depth=1
	v_ffbh_u32_e32 v5, v26
	v_min_u32_e32 v5, 32, v5
	v_subrev_nc_u32_e32 v6, 28, v5
	v_sub_nc_u32_e32 v5, 29, v5
	v_lshlrev_b64 v[6:7], v6, v[26:27]
	v_and_b32_e32 v26, 7, v6
; %bb.271:                              ;   in Loop: Header=BB230_10 Depth=1
	s_or_b32 exec_lo, exec_lo, s18
	v_lshlrev_b32_e32 v6, 24, v4
	v_lshlrev_b32_e32 v0, 20, v26
	v_lshl_add_u32 v5, v5, 23, 0x3c000000
	v_and_b32_e32 v6, 0x80000000, v6
	v_or3_b32 v26, v0, v6, v5
	buffer_store_dword v26, off, s[0:3], s32 offset:452 ; 4-byte Folded Spill
	buffer_store_dword v27, off, s[0:3], s32 offset:456 ; 4-byte Folded Spill
.LBB230_272:                            ;   in Loop: Header=BB230_10 Depth=1
	s_or_b32 exec_lo, exec_lo, s17
.LBB230_273:                            ;   in Loop: Header=BB230_10 Depth=1
	s_or_b32 exec_lo, exec_lo, s7
.LBB230_274:                            ;   in Loop: Header=BB230_10 Depth=1
	s_or_b32 exec_lo, exec_lo, s6
	v_cmp_ne_u16_sdwa s5, v4, v27 src0_sel:BYTE_1 src1_sel:DWORD
	s_and_saveexec_b32 s6, s5
	s_cbranch_execz .LBB230_282
; %bb.275:                              ;   in Loop: Header=BB230_10 Depth=1
	v_mov_b32_e32 v0, 0x80
	v_mov_b32_e32 v76, v27
	buffer_store_dword v76, off, s[0:3], s32 offset:460 ; 4-byte Folded Spill
	buffer_store_dword v77, off, s[0:3], s32 offset:464 ; 4-byte Folded Spill
	v_cmp_ne_u16_sdwa s5, v4, v0 src0_sel:BYTE_1 src1_sel:DWORD
	s_and_saveexec_b32 s7, s5
	s_cbranch_execz .LBB230_281
; %bb.276:                              ;   in Loop: Header=BB230_10 Depth=1
	v_mov_b32_e32 v0, 0xffff
	v_mov_b32_e32 v106, v27
	s_mov_b32 s17, exec_lo
	buffer_store_dword v106, off, s[0:3], s32 offset:460 ; 4-byte Folded Spill
	buffer_store_dword v107, off, s[0:3], s32 offset:464 ; 4-byte Folded Spill
	v_and_b32_sdwa v0, v0, v4 dst_sel:DWORD dst_unused:UNUSED_PAD src0_sel:DWORD src1_sel:BYTE_1
	v_and_b32_e32 v6, 0x7f, v0
	v_cmpx_ne_u32_e32 0x7f, v6
	s_cbranch_execz .LBB230_280
; %bb.277:                              ;   in Loop: Header=BB230_10 Depth=1
	v_and_b32_e32 v26, 7, v0
	v_lshrrev_b32_e32 v5, 3, v6
	s_mov_b32 s18, exec_lo
	v_cmpx_gt_u32_e32 8, v6
; %bb.278:                              ;   in Loop: Header=BB230_10 Depth=1
	v_ffbh_u32_e32 v5, v26
	v_min_u32_e32 v5, 32, v5
	v_subrev_nc_u32_e32 v6, 28, v5
	v_sub_nc_u32_e32 v5, 29, v5
	v_lshlrev_b64 v[6:7], v6, v[26:27]
	v_and_b32_e32 v26, 7, v6
; %bb.279:                              ;   in Loop: Header=BB230_10 Depth=1
	s_or_b32 exec_lo, exec_lo, s18
	v_lshlrev_b32_e32 v6, 16, v4
	v_lshlrev_b32_e32 v0, 20, v26
	v_lshl_add_u32 v5, v5, 23, 0x3c000000
	v_and_b32_e32 v6, 0x80000000, v6
	v_or3_b32 v6, v0, v6, v5
	v_mov_b32_e32 v5, v27
	buffer_store_dword v5, off, s[0:3], s32 offset:460 ; 4-byte Folded Spill
	buffer_store_dword v6, off, s[0:3], s32 offset:464 ; 4-byte Folded Spill
.LBB230_280:                            ;   in Loop: Header=BB230_10 Depth=1
	s_or_b32 exec_lo, exec_lo, s17
.LBB230_281:                            ;   in Loop: Header=BB230_10 Depth=1
	s_or_b32 exec_lo, exec_lo, s7
.LBB230_282:                            ;   in Loop: Header=BB230_10 Depth=1
	s_or_b32 exec_lo, exec_lo, s6
	v_mov_b32_e32 v5, 0
	v_mov_b32_e32 v6, 0
	;; [unrolled: 1-line block ×3, first 2 shown]
	s_mov_b32 s6, exec_lo
	buffer_store_dword v5, off, s[0:3], s32 offset:468 ; 4-byte Folded Spill
	buffer_store_dword v6, off, s[0:3], s32 offset:472 ; 4-byte Folded Spill
	v_mov_b32_e32 v5, 0
	v_and_b32_sdwa v0, v4, v0 dst_sel:DWORD dst_unused:UNUSED_PAD src0_sel:WORD_1 src1_sel:DWORD
	v_mov_b32_e32 v6, 0
	buffer_store_dword v5, off, s[0:3], s32 offset:476 ; 4-byte Folded Spill
	buffer_store_dword v6, off, s[0:3], s32 offset:480 ; 4-byte Folded Spill
	v_cmpx_ne_u16_e32 0, v0
	s_cbranch_execz .LBB230_290
; %bb.283:                              ;   in Loop: Header=BB230_10 Depth=1
	v_bfrev_b32_e32 v5, 1
	v_mov_b32_e32 v6, 0
	s_mov_b32 s7, exec_lo
	buffer_store_dword v5, off, s[0:3], s32 offset:476 ; 4-byte Folded Spill
	buffer_store_dword v6, off, s[0:3], s32 offset:480 ; 4-byte Folded Spill
	v_cmpx_ne_u16_e32 0x80, v0
	s_cbranch_execz .LBB230_289
; %bb.284:                              ;   in Loop: Header=BB230_10 Depth=1
	v_mov_b32_e32 v7, 0x7f800001
	v_bfe_u32 v6, v4, 16, 7
	v_mov_b32_e32 v8, 0
	s_mov_b32 s17, exec_lo
	buffer_store_dword v7, off, s[0:3], s32 offset:476 ; 4-byte Folded Spill
	buffer_store_dword v8, off, s[0:3], s32 offset:480 ; 4-byte Folded Spill
	v_cmpx_ne_u32_e32 0x7f, v6
	s_cbranch_execz .LBB230_288
; %bb.285:                              ;   in Loop: Header=BB230_10 Depth=1
	v_mov_b32_e32 v0, 7
	v_lshrrev_b32_e32 v5, 3, v6
	s_mov_b32 s18, exec_lo
	v_and_b32_sdwa v26, v4, v0 dst_sel:DWORD dst_unused:UNUSED_PAD src0_sel:WORD_1 src1_sel:DWORD
	v_cmpx_gt_u32_e32 8, v6
; %bb.286:                              ;   in Loop: Header=BB230_10 Depth=1
	v_ffbh_u32_e32 v5, v26
	v_min_u32_e32 v5, 32, v5
	v_subrev_nc_u32_e32 v6, 28, v5
	v_sub_nc_u32_e32 v5, 29, v5
	v_lshlrev_b64 v[6:7], v6, v[26:27]
	v_and_b32_e32 v26, 7, v6
; %bb.287:                              ;   in Loop: Header=BB230_10 Depth=1
	s_or_b32 exec_lo, exec_lo, s18
	v_mov_b32_e32 v0, 24
	v_lshl_add_u32 v5, v5, 23, 0x3c000000
	v_lshlrev_b32_sdwa v6, v0, v4 dst_sel:DWORD dst_unused:UNUSED_PAD src0_sel:DWORD src1_sel:WORD_1
	v_lshlrev_b32_e32 v0, 20, v26
	v_and_b32_e32 v6, 0x80000000, v6
	v_or3_b32 v26, v0, v6, v5
	buffer_store_dword v26, off, s[0:3], s32 offset:476 ; 4-byte Folded Spill
	buffer_store_dword v27, off, s[0:3], s32 offset:480 ; 4-byte Folded Spill
.LBB230_288:                            ;   in Loop: Header=BB230_10 Depth=1
	s_or_b32 exec_lo, exec_lo, s17
.LBB230_289:                            ;   in Loop: Header=BB230_10 Depth=1
	s_or_b32 exec_lo, exec_lo, s7
.LBB230_290:                            ;   in Loop: Header=BB230_10 Depth=1
	s_or_b32 exec_lo, exec_lo, s6
	s_mov_b32 s6, exec_lo
	v_cmpx_lt_u32_e32 0xffffff, v4
	s_cbranch_execz .LBB230_298
; %bb.291:                              ;   in Loop: Header=BB230_10 Depth=1
	v_mov_b32_e32 v0, 0x80
	v_mov_b32_e32 v76, v27
	buffer_store_dword v76, off, s[0:3], s32 offset:468 ; 4-byte Folded Spill
	buffer_store_dword v77, off, s[0:3], s32 offset:472 ; 4-byte Folded Spill
	v_cmp_ne_u32_sdwa s5, v4, v0 src0_sel:BYTE_3 src1_sel:DWORD
	s_and_saveexec_b32 s7, s5
	s_cbranch_execz .LBB230_297
; %bb.292:                              ;   in Loop: Header=BB230_10 Depth=1
	v_bfe_u32 v6, v4, 24, 7
	v_mov_b32_e32 v106, v27
	s_mov_b32 s17, exec_lo
	buffer_store_dword v106, off, s[0:3], s32 offset:468 ; 4-byte Folded Spill
	buffer_store_dword v107, off, s[0:3], s32 offset:472 ; 4-byte Folded Spill
	v_cmpx_ne_u32_e32 0x7f, v6
	s_cbranch_execz .LBB230_296
; %bb.293:                              ;   in Loop: Header=BB230_10 Depth=1
	v_mov_b32_e32 v0, 7
	v_lshrrev_b32_e32 v5, 3, v6
	s_mov_b32 s18, exec_lo
	v_and_b32_sdwa v26, v4, v0 dst_sel:DWORD dst_unused:UNUSED_PAD src0_sel:BYTE_3 src1_sel:DWORD
	v_cmpx_gt_u32_e32 8, v6
; %bb.294:                              ;   in Loop: Header=BB230_10 Depth=1
	v_ffbh_u32_e32 v5, v26
	v_min_u32_e32 v5, 32, v5
	v_subrev_nc_u32_e32 v6, 28, v5
	v_sub_nc_u32_e32 v5, 29, v5
	v_lshlrev_b64 v[6:7], v6, v[26:27]
	v_and_b32_e32 v26, 7, v6
; %bb.295:                              ;   in Loop: Header=BB230_10 Depth=1
	s_or_b32 exec_lo, exec_lo, s18
	v_mov_b32_e32 v0, 24
	v_lshl_add_u32 v5, v5, 23, 0x3c000000
	v_lshlrev_b32_sdwa v4, v0, v4 dst_sel:DWORD dst_unused:UNUSED_PAD src0_sel:DWORD src1_sel:BYTE_3
	v_lshlrev_b32_e32 v0, 20, v26
	v_and_b32_e32 v4, 0x80000000, v4
	v_or3_b32 v5, v0, v4, v5
	v_mov_b32_e32 v4, v27
	buffer_store_dword v4, off, s[0:3], s32 offset:468 ; 4-byte Folded Spill
	buffer_store_dword v5, off, s[0:3], s32 offset:472 ; 4-byte Folded Spill
.LBB230_296:                            ;   in Loop: Header=BB230_10 Depth=1
	s_or_b32 exec_lo, exec_lo, s17
.LBB230_297:                            ;   in Loop: Header=BB230_10 Depth=1
	s_or_b32 exec_lo, exec_lo, s7
.LBB230_298:                            ;   in Loop: Header=BB230_10 Depth=1
	s_or_b32 exec_lo, exec_lo, s6
	flat_load_dword v4, v[2:3] offset:1028
	v_mov_b32_e32 v5, 0
	v_mov_b32_e32 v6, 0
	buffer_store_dword v5, off, s[0:3], s32 offset:492 ; 4-byte Folded Spill
	buffer_store_dword v6, off, s[0:3], s32 offset:496 ; 4-byte Folded Spill
	v_mov_b32_e32 v5, 0
	v_mov_b32_e32 v6, 0
	buffer_store_dword v5, off, s[0:3], s32 offset:484 ; 4-byte Folded Spill
	buffer_store_dword v6, off, s[0:3], s32 offset:488 ; 4-byte Folded Spill
	s_waitcnt vmcnt(0) lgkmcnt(0)
	v_cmp_ne_u16_sdwa s5, v4, v27 src0_sel:BYTE_0 src1_sel:DWORD
	s_and_saveexec_b32 s6, s5
	s_cbranch_execz .LBB230_306
; %bb.299:                              ;   in Loop: Header=BB230_10 Depth=1
	v_mov_b32_e32 v0, 0x80
	v_bfrev_b32_e32 v5, 1
	v_mov_b32_e32 v6, 0
	buffer_store_dword v5, off, s[0:3], s32 offset:484 ; 4-byte Folded Spill
	buffer_store_dword v6, off, s[0:3], s32 offset:488 ; 4-byte Folded Spill
	v_cmp_ne_u16_sdwa s5, v4, v0 src0_sel:BYTE_0 src1_sel:DWORD
	s_and_saveexec_b32 s7, s5
	s_cbranch_execz .LBB230_305
; %bb.300:                              ;   in Loop: Header=BB230_10 Depth=1
	v_mov_b32_e32 v7, 0x7f800001
	v_and_b32_e32 v6, 0x7f, v4
	v_mov_b32_e32 v8, 0
	s_mov_b32 s17, exec_lo
	buffer_store_dword v7, off, s[0:3], s32 offset:484 ; 4-byte Folded Spill
	buffer_store_dword v8, off, s[0:3], s32 offset:488 ; 4-byte Folded Spill
	v_cmpx_ne_u32_e32 0x7f, v6
	s_cbranch_execz .LBB230_304
; %bb.301:                              ;   in Loop: Header=BB230_10 Depth=1
	v_and_b32_e32 v26, 7, v4
	v_lshrrev_b32_e32 v5, 3, v6
	s_mov_b32 s18, exec_lo
	v_cmpx_gt_u32_e32 8, v6
; %bb.302:                              ;   in Loop: Header=BB230_10 Depth=1
	v_ffbh_u32_e32 v5, v26
	v_min_u32_e32 v5, 32, v5
	v_subrev_nc_u32_e32 v6, 28, v5
	v_sub_nc_u32_e32 v5, 29, v5
	v_lshlrev_b64 v[6:7], v6, v[26:27]
	v_and_b32_e32 v26, 7, v6
; %bb.303:                              ;   in Loop: Header=BB230_10 Depth=1
	s_or_b32 exec_lo, exec_lo, s18
	v_lshlrev_b32_e32 v6, 24, v4
	v_lshlrev_b32_e32 v0, 20, v26
	v_lshl_add_u32 v5, v5, 23, 0x3c000000
	v_and_b32_e32 v6, 0x80000000, v6
	v_or3_b32 v26, v0, v6, v5
	buffer_store_dword v26, off, s[0:3], s32 offset:484 ; 4-byte Folded Spill
	buffer_store_dword v27, off, s[0:3], s32 offset:488 ; 4-byte Folded Spill
.LBB230_304:                            ;   in Loop: Header=BB230_10 Depth=1
	s_or_b32 exec_lo, exec_lo, s17
.LBB230_305:                            ;   in Loop: Header=BB230_10 Depth=1
	s_or_b32 exec_lo, exec_lo, s7
.LBB230_306:                            ;   in Loop: Header=BB230_10 Depth=1
	s_or_b32 exec_lo, exec_lo, s6
	v_cmp_ne_u16_sdwa s5, v4, v27 src0_sel:BYTE_1 src1_sel:DWORD
	s_and_saveexec_b32 s6, s5
	s_cbranch_execz .LBB230_314
; %bb.307:                              ;   in Loop: Header=BB230_10 Depth=1
	v_mov_b32_e32 v0, 0x80
	v_mov_b32_e32 v76, v27
	buffer_store_dword v76, off, s[0:3], s32 offset:492 ; 4-byte Folded Spill
	buffer_store_dword v77, off, s[0:3], s32 offset:496 ; 4-byte Folded Spill
	v_cmp_ne_u16_sdwa s5, v4, v0 src0_sel:BYTE_1 src1_sel:DWORD
	s_and_saveexec_b32 s7, s5
	s_cbranch_execz .LBB230_313
; %bb.308:                              ;   in Loop: Header=BB230_10 Depth=1
	v_mov_b32_e32 v0, 0xffff
	v_mov_b32_e32 v106, v27
	s_mov_b32 s17, exec_lo
	buffer_store_dword v106, off, s[0:3], s32 offset:492 ; 4-byte Folded Spill
	buffer_store_dword v107, off, s[0:3], s32 offset:496 ; 4-byte Folded Spill
	v_and_b32_sdwa v0, v0, v4 dst_sel:DWORD dst_unused:UNUSED_PAD src0_sel:DWORD src1_sel:BYTE_1
	v_and_b32_e32 v6, 0x7f, v0
	v_cmpx_ne_u32_e32 0x7f, v6
	s_cbranch_execz .LBB230_312
; %bb.309:                              ;   in Loop: Header=BB230_10 Depth=1
	v_and_b32_e32 v26, 7, v0
	v_lshrrev_b32_e32 v5, 3, v6
	s_mov_b32 s18, exec_lo
	v_cmpx_gt_u32_e32 8, v6
; %bb.310:                              ;   in Loop: Header=BB230_10 Depth=1
	v_ffbh_u32_e32 v5, v26
	v_min_u32_e32 v5, 32, v5
	v_subrev_nc_u32_e32 v6, 28, v5
	v_sub_nc_u32_e32 v5, 29, v5
	v_lshlrev_b64 v[6:7], v6, v[26:27]
	v_and_b32_e32 v26, 7, v6
; %bb.311:                              ;   in Loop: Header=BB230_10 Depth=1
	s_or_b32 exec_lo, exec_lo, s18
	v_lshlrev_b32_e32 v6, 16, v4
	v_lshlrev_b32_e32 v0, 20, v26
	v_lshl_add_u32 v5, v5, 23, 0x3c000000
	v_and_b32_e32 v6, 0x80000000, v6
	v_or3_b32 v6, v0, v6, v5
	v_mov_b32_e32 v5, v27
	buffer_store_dword v5, off, s[0:3], s32 offset:492 ; 4-byte Folded Spill
	buffer_store_dword v6, off, s[0:3], s32 offset:496 ; 4-byte Folded Spill
.LBB230_312:                            ;   in Loop: Header=BB230_10 Depth=1
	s_or_b32 exec_lo, exec_lo, s17
.LBB230_313:                            ;   in Loop: Header=BB230_10 Depth=1
	s_or_b32 exec_lo, exec_lo, s7
.LBB230_314:                            ;   in Loop: Header=BB230_10 Depth=1
	s_or_b32 exec_lo, exec_lo, s6
	v_mov_b32_e32 v5, 0
	v_mov_b32_e32 v6, 0
	;; [unrolled: 1-line block ×3, first 2 shown]
	s_mov_b32 s6, exec_lo
	buffer_store_dword v5, off, s[0:3], s32 offset:500 ; 4-byte Folded Spill
	buffer_store_dword v6, off, s[0:3], s32 offset:504 ; 4-byte Folded Spill
	v_mov_b32_e32 v5, 0
	v_and_b32_sdwa v0, v4, v0 dst_sel:DWORD dst_unused:UNUSED_PAD src0_sel:WORD_1 src1_sel:DWORD
	v_mov_b32_e32 v6, 0
	buffer_store_dword v5, off, s[0:3], s32 offset:508 ; 4-byte Folded Spill
	buffer_store_dword v6, off, s[0:3], s32 offset:512 ; 4-byte Folded Spill
	v_cmpx_ne_u16_e32 0, v0
	s_cbranch_execz .LBB230_322
; %bb.315:                              ;   in Loop: Header=BB230_10 Depth=1
	v_bfrev_b32_e32 v5, 1
	v_mov_b32_e32 v6, 0
	s_mov_b32 s7, exec_lo
	buffer_store_dword v5, off, s[0:3], s32 offset:508 ; 4-byte Folded Spill
	buffer_store_dword v6, off, s[0:3], s32 offset:512 ; 4-byte Folded Spill
	v_cmpx_ne_u16_e32 0x80, v0
	s_cbranch_execz .LBB230_321
; %bb.316:                              ;   in Loop: Header=BB230_10 Depth=1
	v_mov_b32_e32 v7, 0x7f800001
	v_bfe_u32 v6, v4, 16, 7
	v_mov_b32_e32 v8, 0
	s_mov_b32 s17, exec_lo
	buffer_store_dword v7, off, s[0:3], s32 offset:508 ; 4-byte Folded Spill
	buffer_store_dword v8, off, s[0:3], s32 offset:512 ; 4-byte Folded Spill
	v_cmpx_ne_u32_e32 0x7f, v6
	s_cbranch_execz .LBB230_320
; %bb.317:                              ;   in Loop: Header=BB230_10 Depth=1
	v_mov_b32_e32 v0, 7
	v_lshrrev_b32_e32 v5, 3, v6
	s_mov_b32 s18, exec_lo
	v_and_b32_sdwa v26, v4, v0 dst_sel:DWORD dst_unused:UNUSED_PAD src0_sel:WORD_1 src1_sel:DWORD
	v_cmpx_gt_u32_e32 8, v6
; %bb.318:                              ;   in Loop: Header=BB230_10 Depth=1
	v_ffbh_u32_e32 v5, v26
	v_min_u32_e32 v5, 32, v5
	v_subrev_nc_u32_e32 v6, 28, v5
	v_sub_nc_u32_e32 v5, 29, v5
	v_lshlrev_b64 v[6:7], v6, v[26:27]
	v_and_b32_e32 v26, 7, v6
; %bb.319:                              ;   in Loop: Header=BB230_10 Depth=1
	s_or_b32 exec_lo, exec_lo, s18
	v_mov_b32_e32 v0, 24
	v_lshl_add_u32 v5, v5, 23, 0x3c000000
	v_lshlrev_b32_sdwa v6, v0, v4 dst_sel:DWORD dst_unused:UNUSED_PAD src0_sel:DWORD src1_sel:WORD_1
	v_lshlrev_b32_e32 v0, 20, v26
	v_and_b32_e32 v6, 0x80000000, v6
	v_or3_b32 v26, v0, v6, v5
	buffer_store_dword v26, off, s[0:3], s32 offset:508 ; 4-byte Folded Spill
	buffer_store_dword v27, off, s[0:3], s32 offset:512 ; 4-byte Folded Spill
.LBB230_320:                            ;   in Loop: Header=BB230_10 Depth=1
	s_or_b32 exec_lo, exec_lo, s17
.LBB230_321:                            ;   in Loop: Header=BB230_10 Depth=1
	s_or_b32 exec_lo, exec_lo, s7
.LBB230_322:                            ;   in Loop: Header=BB230_10 Depth=1
	s_or_b32 exec_lo, exec_lo, s6
	s_mov_b32 s6, exec_lo
	v_cmpx_lt_u32_e32 0xffffff, v4
	s_cbranch_execz .LBB230_330
; %bb.323:                              ;   in Loop: Header=BB230_10 Depth=1
	v_mov_b32_e32 v0, 0x80
	v_mov_b32_e32 v76, v27
	buffer_store_dword v76, off, s[0:3], s32 offset:500 ; 4-byte Folded Spill
	buffer_store_dword v77, off, s[0:3], s32 offset:504 ; 4-byte Folded Spill
	v_cmp_ne_u32_sdwa s5, v4, v0 src0_sel:BYTE_3 src1_sel:DWORD
	s_and_saveexec_b32 s7, s5
	s_cbranch_execz .LBB230_329
; %bb.324:                              ;   in Loop: Header=BB230_10 Depth=1
	v_bfe_u32 v6, v4, 24, 7
	v_mov_b32_e32 v106, v27
	s_mov_b32 s17, exec_lo
	buffer_store_dword v106, off, s[0:3], s32 offset:500 ; 4-byte Folded Spill
	buffer_store_dword v107, off, s[0:3], s32 offset:504 ; 4-byte Folded Spill
	v_cmpx_ne_u32_e32 0x7f, v6
	s_cbranch_execz .LBB230_328
; %bb.325:                              ;   in Loop: Header=BB230_10 Depth=1
	v_mov_b32_e32 v0, 7
	v_lshrrev_b32_e32 v5, 3, v6
	s_mov_b32 s18, exec_lo
	v_and_b32_sdwa v26, v4, v0 dst_sel:DWORD dst_unused:UNUSED_PAD src0_sel:BYTE_3 src1_sel:DWORD
	v_cmpx_gt_u32_e32 8, v6
; %bb.326:                              ;   in Loop: Header=BB230_10 Depth=1
	v_ffbh_u32_e32 v5, v26
	v_min_u32_e32 v5, 32, v5
	v_subrev_nc_u32_e32 v6, 28, v5
	v_sub_nc_u32_e32 v5, 29, v5
	v_lshlrev_b64 v[6:7], v6, v[26:27]
	v_and_b32_e32 v26, 7, v6
; %bb.327:                              ;   in Loop: Header=BB230_10 Depth=1
	s_or_b32 exec_lo, exec_lo, s18
	v_mov_b32_e32 v0, 24
	v_lshl_add_u32 v5, v5, 23, 0x3c000000
	v_lshlrev_b32_sdwa v4, v0, v4 dst_sel:DWORD dst_unused:UNUSED_PAD src0_sel:DWORD src1_sel:BYTE_3
	v_lshlrev_b32_e32 v0, 20, v26
	v_and_b32_e32 v4, 0x80000000, v4
	v_or3_b32 v5, v0, v4, v5
	v_mov_b32_e32 v4, v27
	buffer_store_dword v4, off, s[0:3], s32 offset:500 ; 4-byte Folded Spill
	buffer_store_dword v5, off, s[0:3], s32 offset:504 ; 4-byte Folded Spill
.LBB230_328:                            ;   in Loop: Header=BB230_10 Depth=1
	s_or_b32 exec_lo, exec_lo, s17
.LBB230_329:                            ;   in Loop: Header=BB230_10 Depth=1
	s_or_b32 exec_lo, exec_lo, s7
.LBB230_330:                            ;   in Loop: Header=BB230_10 Depth=1
	s_or_b32 exec_lo, exec_lo, s6
	flat_load_dword v4, v[2:3] offset:1032
	v_mov_b32_e32 v5, 0
	v_mov_b32_e32 v6, 0
	buffer_store_dword v5, off, s[0:3], s32 offset:524 ; 4-byte Folded Spill
	buffer_store_dword v6, off, s[0:3], s32 offset:528 ; 4-byte Folded Spill
	v_mov_b32_e32 v5, 0
	v_mov_b32_e32 v6, 0
	buffer_store_dword v5, off, s[0:3], s32 offset:516 ; 4-byte Folded Spill
	buffer_store_dword v6, off, s[0:3], s32 offset:520 ; 4-byte Folded Spill
	s_waitcnt vmcnt(0) lgkmcnt(0)
	v_cmp_ne_u16_sdwa s5, v4, v27 src0_sel:BYTE_0 src1_sel:DWORD
	s_and_saveexec_b32 s6, s5
	s_cbranch_execz .LBB230_338
; %bb.331:                              ;   in Loop: Header=BB230_10 Depth=1
	v_mov_b32_e32 v0, 0x80
	v_bfrev_b32_e32 v5, 1
	v_mov_b32_e32 v6, 0
	buffer_store_dword v5, off, s[0:3], s32 offset:516 ; 4-byte Folded Spill
	buffer_store_dword v6, off, s[0:3], s32 offset:520 ; 4-byte Folded Spill
	v_cmp_ne_u16_sdwa s5, v4, v0 src0_sel:BYTE_0 src1_sel:DWORD
	s_and_saveexec_b32 s7, s5
	s_cbranch_execz .LBB230_337
; %bb.332:                              ;   in Loop: Header=BB230_10 Depth=1
	v_mov_b32_e32 v7, 0x7f800001
	v_and_b32_e32 v6, 0x7f, v4
	v_mov_b32_e32 v8, 0
	s_mov_b32 s17, exec_lo
	buffer_store_dword v7, off, s[0:3], s32 offset:516 ; 4-byte Folded Spill
	buffer_store_dword v8, off, s[0:3], s32 offset:520 ; 4-byte Folded Spill
	v_cmpx_ne_u32_e32 0x7f, v6
	s_cbranch_execz .LBB230_336
; %bb.333:                              ;   in Loop: Header=BB230_10 Depth=1
	v_and_b32_e32 v26, 7, v4
	v_lshrrev_b32_e32 v5, 3, v6
	s_mov_b32 s18, exec_lo
	v_cmpx_gt_u32_e32 8, v6
; %bb.334:                              ;   in Loop: Header=BB230_10 Depth=1
	v_ffbh_u32_e32 v5, v26
	v_min_u32_e32 v5, 32, v5
	v_subrev_nc_u32_e32 v6, 28, v5
	v_sub_nc_u32_e32 v5, 29, v5
	v_lshlrev_b64 v[6:7], v6, v[26:27]
	v_and_b32_e32 v26, 7, v6
; %bb.335:                              ;   in Loop: Header=BB230_10 Depth=1
	s_or_b32 exec_lo, exec_lo, s18
	v_lshlrev_b32_e32 v6, 24, v4
	v_lshlrev_b32_e32 v0, 20, v26
	v_lshl_add_u32 v5, v5, 23, 0x3c000000
	v_and_b32_e32 v6, 0x80000000, v6
	v_or3_b32 v26, v0, v6, v5
	buffer_store_dword v26, off, s[0:3], s32 offset:516 ; 4-byte Folded Spill
	buffer_store_dword v27, off, s[0:3], s32 offset:520 ; 4-byte Folded Spill
.LBB230_336:                            ;   in Loop: Header=BB230_10 Depth=1
	s_or_b32 exec_lo, exec_lo, s17
.LBB230_337:                            ;   in Loop: Header=BB230_10 Depth=1
	s_or_b32 exec_lo, exec_lo, s7
.LBB230_338:                            ;   in Loop: Header=BB230_10 Depth=1
	s_or_b32 exec_lo, exec_lo, s6
	v_cmp_ne_u16_sdwa s5, v4, v27 src0_sel:BYTE_1 src1_sel:DWORD
	s_and_saveexec_b32 s6, s5
	s_cbranch_execz .LBB230_346
; %bb.339:                              ;   in Loop: Header=BB230_10 Depth=1
	v_mov_b32_e32 v0, 0x80
	v_mov_b32_e32 v76, v27
	buffer_store_dword v76, off, s[0:3], s32 offset:524 ; 4-byte Folded Spill
	buffer_store_dword v77, off, s[0:3], s32 offset:528 ; 4-byte Folded Spill
	v_cmp_ne_u16_sdwa s5, v4, v0 src0_sel:BYTE_1 src1_sel:DWORD
	s_and_saveexec_b32 s7, s5
	s_cbranch_execz .LBB230_345
; %bb.340:                              ;   in Loop: Header=BB230_10 Depth=1
	v_mov_b32_e32 v0, 0xffff
	v_mov_b32_e32 v106, v27
	s_mov_b32 s17, exec_lo
	buffer_store_dword v106, off, s[0:3], s32 offset:524 ; 4-byte Folded Spill
	buffer_store_dword v107, off, s[0:3], s32 offset:528 ; 4-byte Folded Spill
	v_and_b32_sdwa v0, v0, v4 dst_sel:DWORD dst_unused:UNUSED_PAD src0_sel:DWORD src1_sel:BYTE_1
	v_and_b32_e32 v6, 0x7f, v0
	v_cmpx_ne_u32_e32 0x7f, v6
	s_cbranch_execz .LBB230_344
; %bb.341:                              ;   in Loop: Header=BB230_10 Depth=1
	v_and_b32_e32 v26, 7, v0
	v_lshrrev_b32_e32 v5, 3, v6
	s_mov_b32 s18, exec_lo
	v_cmpx_gt_u32_e32 8, v6
; %bb.342:                              ;   in Loop: Header=BB230_10 Depth=1
	v_ffbh_u32_e32 v5, v26
	v_min_u32_e32 v5, 32, v5
	v_subrev_nc_u32_e32 v6, 28, v5
	v_sub_nc_u32_e32 v5, 29, v5
	v_lshlrev_b64 v[6:7], v6, v[26:27]
	v_and_b32_e32 v26, 7, v6
; %bb.343:                              ;   in Loop: Header=BB230_10 Depth=1
	s_or_b32 exec_lo, exec_lo, s18
	v_lshlrev_b32_e32 v6, 16, v4
	v_lshlrev_b32_e32 v0, 20, v26
	v_lshl_add_u32 v5, v5, 23, 0x3c000000
	v_and_b32_e32 v6, 0x80000000, v6
	v_or3_b32 v6, v0, v6, v5
	v_mov_b32_e32 v5, v27
	buffer_store_dword v5, off, s[0:3], s32 offset:524 ; 4-byte Folded Spill
	buffer_store_dword v6, off, s[0:3], s32 offset:528 ; 4-byte Folded Spill
.LBB230_344:                            ;   in Loop: Header=BB230_10 Depth=1
	s_or_b32 exec_lo, exec_lo, s17
.LBB230_345:                            ;   in Loop: Header=BB230_10 Depth=1
	s_or_b32 exec_lo, exec_lo, s7
.LBB230_346:                            ;   in Loop: Header=BB230_10 Depth=1
	s_or_b32 exec_lo, exec_lo, s6
	v_mov_b32_e32 v5, 0
	v_mov_b32_e32 v6, 0
	;; [unrolled: 1-line block ×3, first 2 shown]
	s_mov_b32 s6, exec_lo
	buffer_store_dword v5, off, s[0:3], s32 offset:532 ; 4-byte Folded Spill
	buffer_store_dword v6, off, s[0:3], s32 offset:536 ; 4-byte Folded Spill
	v_mov_b32_e32 v5, 0
	v_and_b32_sdwa v0, v4, v0 dst_sel:DWORD dst_unused:UNUSED_PAD src0_sel:WORD_1 src1_sel:DWORD
	v_mov_b32_e32 v6, 0
	buffer_store_dword v5, off, s[0:3], s32 offset:540 ; 4-byte Folded Spill
	buffer_store_dword v6, off, s[0:3], s32 offset:544 ; 4-byte Folded Spill
	v_cmpx_ne_u16_e32 0, v0
	s_cbranch_execz .LBB230_354
; %bb.347:                              ;   in Loop: Header=BB230_10 Depth=1
	v_bfrev_b32_e32 v5, 1
	v_mov_b32_e32 v6, 0
	s_mov_b32 s7, exec_lo
	buffer_store_dword v5, off, s[0:3], s32 offset:540 ; 4-byte Folded Spill
	buffer_store_dword v6, off, s[0:3], s32 offset:544 ; 4-byte Folded Spill
	v_cmpx_ne_u16_e32 0x80, v0
	s_cbranch_execz .LBB230_353
; %bb.348:                              ;   in Loop: Header=BB230_10 Depth=1
	v_mov_b32_e32 v7, 0x7f800001
	v_bfe_u32 v6, v4, 16, 7
	v_mov_b32_e32 v8, 0
	s_mov_b32 s17, exec_lo
	buffer_store_dword v7, off, s[0:3], s32 offset:540 ; 4-byte Folded Spill
	buffer_store_dword v8, off, s[0:3], s32 offset:544 ; 4-byte Folded Spill
	v_cmpx_ne_u32_e32 0x7f, v6
	s_cbranch_execz .LBB230_352
; %bb.349:                              ;   in Loop: Header=BB230_10 Depth=1
	v_mov_b32_e32 v0, 7
	v_lshrrev_b32_e32 v5, 3, v6
	s_mov_b32 s18, exec_lo
	v_and_b32_sdwa v26, v4, v0 dst_sel:DWORD dst_unused:UNUSED_PAD src0_sel:WORD_1 src1_sel:DWORD
	v_cmpx_gt_u32_e32 8, v6
; %bb.350:                              ;   in Loop: Header=BB230_10 Depth=1
	v_ffbh_u32_e32 v5, v26
	v_min_u32_e32 v5, 32, v5
	v_subrev_nc_u32_e32 v6, 28, v5
	v_sub_nc_u32_e32 v5, 29, v5
	v_lshlrev_b64 v[6:7], v6, v[26:27]
	v_and_b32_e32 v26, 7, v6
; %bb.351:                              ;   in Loop: Header=BB230_10 Depth=1
	s_or_b32 exec_lo, exec_lo, s18
	v_mov_b32_e32 v0, 24
	v_lshl_add_u32 v5, v5, 23, 0x3c000000
	v_lshlrev_b32_sdwa v6, v0, v4 dst_sel:DWORD dst_unused:UNUSED_PAD src0_sel:DWORD src1_sel:WORD_1
	v_lshlrev_b32_e32 v0, 20, v26
	v_and_b32_e32 v6, 0x80000000, v6
	v_or3_b32 v26, v0, v6, v5
	buffer_store_dword v26, off, s[0:3], s32 offset:540 ; 4-byte Folded Spill
	buffer_store_dword v27, off, s[0:3], s32 offset:544 ; 4-byte Folded Spill
.LBB230_352:                            ;   in Loop: Header=BB230_10 Depth=1
	s_or_b32 exec_lo, exec_lo, s17
.LBB230_353:                            ;   in Loop: Header=BB230_10 Depth=1
	s_or_b32 exec_lo, exec_lo, s7
.LBB230_354:                            ;   in Loop: Header=BB230_10 Depth=1
	s_or_b32 exec_lo, exec_lo, s6
	s_mov_b32 s6, exec_lo
	v_cmpx_lt_u32_e32 0xffffff, v4
	s_cbranch_execz .LBB230_362
; %bb.355:                              ;   in Loop: Header=BB230_10 Depth=1
	v_mov_b32_e32 v0, 0x80
	v_mov_b32_e32 v76, v27
	buffer_store_dword v76, off, s[0:3], s32 offset:532 ; 4-byte Folded Spill
	buffer_store_dword v77, off, s[0:3], s32 offset:536 ; 4-byte Folded Spill
	v_cmp_ne_u32_sdwa s5, v4, v0 src0_sel:BYTE_3 src1_sel:DWORD
	s_and_saveexec_b32 s7, s5
	s_cbranch_execz .LBB230_361
; %bb.356:                              ;   in Loop: Header=BB230_10 Depth=1
	v_bfe_u32 v6, v4, 24, 7
	v_mov_b32_e32 v106, v27
	s_mov_b32 s17, exec_lo
	buffer_store_dword v106, off, s[0:3], s32 offset:532 ; 4-byte Folded Spill
	buffer_store_dword v107, off, s[0:3], s32 offset:536 ; 4-byte Folded Spill
	v_cmpx_ne_u32_e32 0x7f, v6
	s_cbranch_execz .LBB230_360
; %bb.357:                              ;   in Loop: Header=BB230_10 Depth=1
	v_mov_b32_e32 v0, 7
	v_lshrrev_b32_e32 v5, 3, v6
	s_mov_b32 s18, exec_lo
	v_and_b32_sdwa v26, v4, v0 dst_sel:DWORD dst_unused:UNUSED_PAD src0_sel:BYTE_3 src1_sel:DWORD
	v_cmpx_gt_u32_e32 8, v6
; %bb.358:                              ;   in Loop: Header=BB230_10 Depth=1
	v_ffbh_u32_e32 v5, v26
	v_min_u32_e32 v5, 32, v5
	v_subrev_nc_u32_e32 v6, 28, v5
	v_sub_nc_u32_e32 v5, 29, v5
	v_lshlrev_b64 v[6:7], v6, v[26:27]
	v_and_b32_e32 v26, 7, v6
; %bb.359:                              ;   in Loop: Header=BB230_10 Depth=1
	s_or_b32 exec_lo, exec_lo, s18
	v_mov_b32_e32 v0, 24
	v_lshl_add_u32 v5, v5, 23, 0x3c000000
	v_lshlrev_b32_sdwa v4, v0, v4 dst_sel:DWORD dst_unused:UNUSED_PAD src0_sel:DWORD src1_sel:BYTE_3
	v_lshlrev_b32_e32 v0, 20, v26
	v_and_b32_e32 v4, 0x80000000, v4
	v_or3_b32 v5, v0, v4, v5
	v_mov_b32_e32 v4, v27
	buffer_store_dword v4, off, s[0:3], s32 offset:532 ; 4-byte Folded Spill
	buffer_store_dword v5, off, s[0:3], s32 offset:536 ; 4-byte Folded Spill
.LBB230_360:                            ;   in Loop: Header=BB230_10 Depth=1
	s_or_b32 exec_lo, exec_lo, s17
.LBB230_361:                            ;   in Loop: Header=BB230_10 Depth=1
	s_or_b32 exec_lo, exec_lo, s7
.LBB230_362:                            ;   in Loop: Header=BB230_10 Depth=1
	s_or_b32 exec_lo, exec_lo, s6
	flat_load_dword v4, v[2:3] offset:1036
	v_mov_b32_e32 v5, 0
	v_mov_b32_e32 v6, 0
	buffer_store_dword v5, off, s[0:3], s32 offset:556 ; 4-byte Folded Spill
	buffer_store_dword v6, off, s[0:3], s32 offset:560 ; 4-byte Folded Spill
	v_mov_b32_e32 v5, 0
	v_mov_b32_e32 v6, 0
	buffer_store_dword v5, off, s[0:3], s32 offset:548 ; 4-byte Folded Spill
	buffer_store_dword v6, off, s[0:3], s32 offset:552 ; 4-byte Folded Spill
	s_waitcnt vmcnt(0) lgkmcnt(0)
	v_cmp_ne_u16_sdwa s5, v4, v27 src0_sel:BYTE_0 src1_sel:DWORD
	s_and_saveexec_b32 s6, s5
	s_cbranch_execz .LBB230_370
; %bb.363:                              ;   in Loop: Header=BB230_10 Depth=1
	v_mov_b32_e32 v0, 0x80
	v_bfrev_b32_e32 v5, 1
	v_mov_b32_e32 v6, 0
	buffer_store_dword v5, off, s[0:3], s32 offset:548 ; 4-byte Folded Spill
	buffer_store_dword v6, off, s[0:3], s32 offset:552 ; 4-byte Folded Spill
	v_cmp_ne_u16_sdwa s5, v4, v0 src0_sel:BYTE_0 src1_sel:DWORD
	s_and_saveexec_b32 s7, s5
	s_cbranch_execz .LBB230_369
; %bb.364:                              ;   in Loop: Header=BB230_10 Depth=1
	v_mov_b32_e32 v7, 0x7f800001
	v_and_b32_e32 v6, 0x7f, v4
	v_mov_b32_e32 v8, 0
	s_mov_b32 s17, exec_lo
	buffer_store_dword v7, off, s[0:3], s32 offset:548 ; 4-byte Folded Spill
	buffer_store_dword v8, off, s[0:3], s32 offset:552 ; 4-byte Folded Spill
	v_cmpx_ne_u32_e32 0x7f, v6
	s_cbranch_execz .LBB230_368
; %bb.365:                              ;   in Loop: Header=BB230_10 Depth=1
	v_and_b32_e32 v26, 7, v4
	v_lshrrev_b32_e32 v5, 3, v6
	s_mov_b32 s18, exec_lo
	v_cmpx_gt_u32_e32 8, v6
; %bb.366:                              ;   in Loop: Header=BB230_10 Depth=1
	v_ffbh_u32_e32 v5, v26
	v_min_u32_e32 v5, 32, v5
	v_subrev_nc_u32_e32 v6, 28, v5
	v_sub_nc_u32_e32 v5, 29, v5
	v_lshlrev_b64 v[6:7], v6, v[26:27]
	v_and_b32_e32 v26, 7, v6
; %bb.367:                              ;   in Loop: Header=BB230_10 Depth=1
	s_or_b32 exec_lo, exec_lo, s18
	v_lshlrev_b32_e32 v6, 24, v4
	v_lshlrev_b32_e32 v0, 20, v26
	v_lshl_add_u32 v5, v5, 23, 0x3c000000
	v_and_b32_e32 v6, 0x80000000, v6
	v_or3_b32 v26, v0, v6, v5
	buffer_store_dword v26, off, s[0:3], s32 offset:548 ; 4-byte Folded Spill
	buffer_store_dword v27, off, s[0:3], s32 offset:552 ; 4-byte Folded Spill
.LBB230_368:                            ;   in Loop: Header=BB230_10 Depth=1
	s_or_b32 exec_lo, exec_lo, s17
.LBB230_369:                            ;   in Loop: Header=BB230_10 Depth=1
	s_or_b32 exec_lo, exec_lo, s7
.LBB230_370:                            ;   in Loop: Header=BB230_10 Depth=1
	s_or_b32 exec_lo, exec_lo, s6
	v_cmp_ne_u16_sdwa s5, v4, v27 src0_sel:BYTE_1 src1_sel:DWORD
	s_and_saveexec_b32 s6, s5
	s_cbranch_execz .LBB230_378
; %bb.371:                              ;   in Loop: Header=BB230_10 Depth=1
	v_mov_b32_e32 v0, 0x80
	v_mov_b32_e32 v76, v27
	buffer_store_dword v76, off, s[0:3], s32 offset:556 ; 4-byte Folded Spill
	buffer_store_dword v77, off, s[0:3], s32 offset:560 ; 4-byte Folded Spill
	v_cmp_ne_u16_sdwa s5, v4, v0 src0_sel:BYTE_1 src1_sel:DWORD
	s_and_saveexec_b32 s7, s5
	s_cbranch_execz .LBB230_377
; %bb.372:                              ;   in Loop: Header=BB230_10 Depth=1
	v_mov_b32_e32 v0, 0xffff
	v_mov_b32_e32 v106, v27
	s_mov_b32 s17, exec_lo
	buffer_store_dword v106, off, s[0:3], s32 offset:556 ; 4-byte Folded Spill
	buffer_store_dword v107, off, s[0:3], s32 offset:560 ; 4-byte Folded Spill
	v_and_b32_sdwa v0, v0, v4 dst_sel:DWORD dst_unused:UNUSED_PAD src0_sel:DWORD src1_sel:BYTE_1
	v_and_b32_e32 v6, 0x7f, v0
	v_cmpx_ne_u32_e32 0x7f, v6
	s_cbranch_execz .LBB230_376
; %bb.373:                              ;   in Loop: Header=BB230_10 Depth=1
	v_and_b32_e32 v26, 7, v0
	v_lshrrev_b32_e32 v5, 3, v6
	s_mov_b32 s18, exec_lo
	v_cmpx_gt_u32_e32 8, v6
; %bb.374:                              ;   in Loop: Header=BB230_10 Depth=1
	v_ffbh_u32_e32 v5, v26
	v_min_u32_e32 v5, 32, v5
	v_subrev_nc_u32_e32 v6, 28, v5
	v_sub_nc_u32_e32 v5, 29, v5
	v_lshlrev_b64 v[6:7], v6, v[26:27]
	v_and_b32_e32 v26, 7, v6
; %bb.375:                              ;   in Loop: Header=BB230_10 Depth=1
	s_or_b32 exec_lo, exec_lo, s18
	v_lshlrev_b32_e32 v6, 16, v4
	v_lshlrev_b32_e32 v0, 20, v26
	v_lshl_add_u32 v5, v5, 23, 0x3c000000
	v_and_b32_e32 v6, 0x80000000, v6
	v_or3_b32 v6, v0, v6, v5
	v_mov_b32_e32 v5, v27
	buffer_store_dword v5, off, s[0:3], s32 offset:556 ; 4-byte Folded Spill
	buffer_store_dword v6, off, s[0:3], s32 offset:560 ; 4-byte Folded Spill
.LBB230_376:                            ;   in Loop: Header=BB230_10 Depth=1
	s_or_b32 exec_lo, exec_lo, s17
.LBB230_377:                            ;   in Loop: Header=BB230_10 Depth=1
	s_or_b32 exec_lo, exec_lo, s7
.LBB230_378:                            ;   in Loop: Header=BB230_10 Depth=1
	s_or_b32 exec_lo, exec_lo, s6
	v_mov_b32_e32 v5, 0
	v_mov_b32_e32 v6, 0
	;; [unrolled: 1-line block ×3, first 2 shown]
	s_mov_b32 s6, exec_lo
	buffer_store_dword v5, off, s[0:3], s32 offset:564 ; 4-byte Folded Spill
	buffer_store_dword v6, off, s[0:3], s32 offset:568 ; 4-byte Folded Spill
	v_mov_b32_e32 v5, 0
	v_and_b32_sdwa v0, v4, v0 dst_sel:DWORD dst_unused:UNUSED_PAD src0_sel:WORD_1 src1_sel:DWORD
	v_mov_b32_e32 v6, 0
	buffer_store_dword v5, off, s[0:3], s32 offset:572 ; 4-byte Folded Spill
	buffer_store_dword v6, off, s[0:3], s32 offset:576 ; 4-byte Folded Spill
	v_cmpx_ne_u16_e32 0, v0
	s_cbranch_execz .LBB230_386
; %bb.379:                              ;   in Loop: Header=BB230_10 Depth=1
	v_bfrev_b32_e32 v5, 1
	v_mov_b32_e32 v6, 0
	s_mov_b32 s7, exec_lo
	buffer_store_dword v5, off, s[0:3], s32 offset:572 ; 4-byte Folded Spill
	buffer_store_dword v6, off, s[0:3], s32 offset:576 ; 4-byte Folded Spill
	v_cmpx_ne_u16_e32 0x80, v0
	s_cbranch_execz .LBB230_385
; %bb.380:                              ;   in Loop: Header=BB230_10 Depth=1
	v_mov_b32_e32 v7, 0x7f800001
	v_bfe_u32 v6, v4, 16, 7
	v_mov_b32_e32 v8, 0
	s_mov_b32 s17, exec_lo
	buffer_store_dword v7, off, s[0:3], s32 offset:572 ; 4-byte Folded Spill
	buffer_store_dword v8, off, s[0:3], s32 offset:576 ; 4-byte Folded Spill
	v_cmpx_ne_u32_e32 0x7f, v6
	s_cbranch_execz .LBB230_384
; %bb.381:                              ;   in Loop: Header=BB230_10 Depth=1
	v_mov_b32_e32 v0, 7
	v_lshrrev_b32_e32 v5, 3, v6
	s_mov_b32 s18, exec_lo
	v_and_b32_sdwa v26, v4, v0 dst_sel:DWORD dst_unused:UNUSED_PAD src0_sel:WORD_1 src1_sel:DWORD
	v_cmpx_gt_u32_e32 8, v6
; %bb.382:                              ;   in Loop: Header=BB230_10 Depth=1
	v_ffbh_u32_e32 v5, v26
	v_min_u32_e32 v5, 32, v5
	v_subrev_nc_u32_e32 v6, 28, v5
	v_sub_nc_u32_e32 v5, 29, v5
	v_lshlrev_b64 v[6:7], v6, v[26:27]
	v_and_b32_e32 v26, 7, v6
; %bb.383:                              ;   in Loop: Header=BB230_10 Depth=1
	s_or_b32 exec_lo, exec_lo, s18
	v_mov_b32_e32 v0, 24
	v_lshl_add_u32 v5, v5, 23, 0x3c000000
	v_lshlrev_b32_sdwa v6, v0, v4 dst_sel:DWORD dst_unused:UNUSED_PAD src0_sel:DWORD src1_sel:WORD_1
	v_lshlrev_b32_e32 v0, 20, v26
	v_and_b32_e32 v6, 0x80000000, v6
	v_or3_b32 v26, v0, v6, v5
	buffer_store_dword v26, off, s[0:3], s32 offset:572 ; 4-byte Folded Spill
	buffer_store_dword v27, off, s[0:3], s32 offset:576 ; 4-byte Folded Spill
.LBB230_384:                            ;   in Loop: Header=BB230_10 Depth=1
	s_or_b32 exec_lo, exec_lo, s17
.LBB230_385:                            ;   in Loop: Header=BB230_10 Depth=1
	s_or_b32 exec_lo, exec_lo, s7
.LBB230_386:                            ;   in Loop: Header=BB230_10 Depth=1
	s_or_b32 exec_lo, exec_lo, s6
	s_mov_b32 s6, exec_lo
	v_cmpx_lt_u32_e32 0xffffff, v4
	s_cbranch_execz .LBB230_394
; %bb.387:                              ;   in Loop: Header=BB230_10 Depth=1
	v_mov_b32_e32 v0, 0x80
	v_mov_b32_e32 v76, v27
	buffer_store_dword v76, off, s[0:3], s32 offset:564 ; 4-byte Folded Spill
	buffer_store_dword v77, off, s[0:3], s32 offset:568 ; 4-byte Folded Spill
	v_cmp_ne_u32_sdwa s5, v4, v0 src0_sel:BYTE_3 src1_sel:DWORD
	s_and_saveexec_b32 s7, s5
	s_cbranch_execz .LBB230_393
; %bb.388:                              ;   in Loop: Header=BB230_10 Depth=1
	v_bfe_u32 v6, v4, 24, 7
	v_mov_b32_e32 v106, v27
	s_mov_b32 s17, exec_lo
	buffer_store_dword v106, off, s[0:3], s32 offset:564 ; 4-byte Folded Spill
	buffer_store_dword v107, off, s[0:3], s32 offset:568 ; 4-byte Folded Spill
	v_cmpx_ne_u32_e32 0x7f, v6
	s_cbranch_execz .LBB230_392
; %bb.389:                              ;   in Loop: Header=BB230_10 Depth=1
	v_mov_b32_e32 v0, 7
	v_lshrrev_b32_e32 v5, 3, v6
	s_mov_b32 s18, exec_lo
	v_and_b32_sdwa v26, v4, v0 dst_sel:DWORD dst_unused:UNUSED_PAD src0_sel:BYTE_3 src1_sel:DWORD
	v_cmpx_gt_u32_e32 8, v6
; %bb.390:                              ;   in Loop: Header=BB230_10 Depth=1
	v_ffbh_u32_e32 v5, v26
	v_min_u32_e32 v5, 32, v5
	v_subrev_nc_u32_e32 v6, 28, v5
	v_sub_nc_u32_e32 v5, 29, v5
	v_lshlrev_b64 v[6:7], v6, v[26:27]
	v_and_b32_e32 v26, 7, v6
; %bb.391:                              ;   in Loop: Header=BB230_10 Depth=1
	s_or_b32 exec_lo, exec_lo, s18
	v_mov_b32_e32 v0, 24
	v_lshl_add_u32 v5, v5, 23, 0x3c000000
	v_lshlrev_b32_sdwa v4, v0, v4 dst_sel:DWORD dst_unused:UNUSED_PAD src0_sel:DWORD src1_sel:BYTE_3
	v_lshlrev_b32_e32 v0, 20, v26
	v_and_b32_e32 v4, 0x80000000, v4
	v_or3_b32 v5, v0, v4, v5
	v_mov_b32_e32 v4, v27
	buffer_store_dword v4, off, s[0:3], s32 offset:564 ; 4-byte Folded Spill
	buffer_store_dword v5, off, s[0:3], s32 offset:568 ; 4-byte Folded Spill
.LBB230_392:                            ;   in Loop: Header=BB230_10 Depth=1
	s_or_b32 exec_lo, exec_lo, s17
.LBB230_393:                            ;   in Loop: Header=BB230_10 Depth=1
	s_or_b32 exec_lo, exec_lo, s7
.LBB230_394:                            ;   in Loop: Header=BB230_10 Depth=1
	s_or_b32 exec_lo, exec_lo, s6
	flat_load_dword v4, v[2:3] offset:1536
	v_mov_b32_e32 v5, 0
	v_mov_b32_e32 v6, 0
	buffer_store_dword v5, off, s[0:3], s32 offset:588 ; 4-byte Folded Spill
	buffer_store_dword v6, off, s[0:3], s32 offset:592 ; 4-byte Folded Spill
	v_mov_b32_e32 v5, 0
	v_mov_b32_e32 v6, 0
	buffer_store_dword v5, off, s[0:3], s32 offset:580 ; 4-byte Folded Spill
	buffer_store_dword v6, off, s[0:3], s32 offset:584 ; 4-byte Folded Spill
	s_waitcnt vmcnt(0) lgkmcnt(0)
	v_cmp_ne_u16_sdwa s5, v4, v27 src0_sel:BYTE_0 src1_sel:DWORD
	s_and_saveexec_b32 s6, s5
	s_cbranch_execz .LBB230_402
; %bb.395:                              ;   in Loop: Header=BB230_10 Depth=1
	v_mov_b32_e32 v0, 0x80
	v_bfrev_b32_e32 v5, 1
	v_mov_b32_e32 v6, 0
	buffer_store_dword v5, off, s[0:3], s32 offset:580 ; 4-byte Folded Spill
	buffer_store_dword v6, off, s[0:3], s32 offset:584 ; 4-byte Folded Spill
	v_cmp_ne_u16_sdwa s5, v4, v0 src0_sel:BYTE_0 src1_sel:DWORD
	s_and_saveexec_b32 s7, s5
	s_cbranch_execz .LBB230_401
; %bb.396:                              ;   in Loop: Header=BB230_10 Depth=1
	v_mov_b32_e32 v7, 0x7f800001
	v_and_b32_e32 v6, 0x7f, v4
	v_mov_b32_e32 v8, 0
	s_mov_b32 s17, exec_lo
	buffer_store_dword v7, off, s[0:3], s32 offset:580 ; 4-byte Folded Spill
	buffer_store_dword v8, off, s[0:3], s32 offset:584 ; 4-byte Folded Spill
	v_cmpx_ne_u32_e32 0x7f, v6
	s_cbranch_execz .LBB230_400
; %bb.397:                              ;   in Loop: Header=BB230_10 Depth=1
	v_and_b32_e32 v26, 7, v4
	v_lshrrev_b32_e32 v5, 3, v6
	s_mov_b32 s18, exec_lo
	v_cmpx_gt_u32_e32 8, v6
; %bb.398:                              ;   in Loop: Header=BB230_10 Depth=1
	v_ffbh_u32_e32 v5, v26
	v_min_u32_e32 v5, 32, v5
	v_subrev_nc_u32_e32 v6, 28, v5
	v_sub_nc_u32_e32 v5, 29, v5
	v_lshlrev_b64 v[6:7], v6, v[26:27]
	v_and_b32_e32 v26, 7, v6
; %bb.399:                              ;   in Loop: Header=BB230_10 Depth=1
	s_or_b32 exec_lo, exec_lo, s18
	v_lshlrev_b32_e32 v6, 24, v4
	v_lshlrev_b32_e32 v0, 20, v26
	v_lshl_add_u32 v5, v5, 23, 0x3c000000
	v_and_b32_e32 v6, 0x80000000, v6
	v_or3_b32 v26, v0, v6, v5
	buffer_store_dword v26, off, s[0:3], s32 offset:580 ; 4-byte Folded Spill
	buffer_store_dword v27, off, s[0:3], s32 offset:584 ; 4-byte Folded Spill
.LBB230_400:                            ;   in Loop: Header=BB230_10 Depth=1
	s_or_b32 exec_lo, exec_lo, s17
.LBB230_401:                            ;   in Loop: Header=BB230_10 Depth=1
	s_or_b32 exec_lo, exec_lo, s7
.LBB230_402:                            ;   in Loop: Header=BB230_10 Depth=1
	s_or_b32 exec_lo, exec_lo, s6
	v_cmp_ne_u16_sdwa s5, v4, v27 src0_sel:BYTE_1 src1_sel:DWORD
	s_and_saveexec_b32 s6, s5
	s_cbranch_execz .LBB230_410
; %bb.403:                              ;   in Loop: Header=BB230_10 Depth=1
	v_mov_b32_e32 v0, 0x80
	v_mov_b32_e32 v76, v27
	buffer_store_dword v76, off, s[0:3], s32 offset:588 ; 4-byte Folded Spill
	buffer_store_dword v77, off, s[0:3], s32 offset:592 ; 4-byte Folded Spill
	v_cmp_ne_u16_sdwa s5, v4, v0 src0_sel:BYTE_1 src1_sel:DWORD
	s_and_saveexec_b32 s7, s5
	s_cbranch_execz .LBB230_409
; %bb.404:                              ;   in Loop: Header=BB230_10 Depth=1
	v_mov_b32_e32 v0, 0xffff
	v_mov_b32_e32 v106, v27
	s_mov_b32 s17, exec_lo
	buffer_store_dword v106, off, s[0:3], s32 offset:588 ; 4-byte Folded Spill
	buffer_store_dword v107, off, s[0:3], s32 offset:592 ; 4-byte Folded Spill
	v_and_b32_sdwa v0, v0, v4 dst_sel:DWORD dst_unused:UNUSED_PAD src0_sel:DWORD src1_sel:BYTE_1
	v_and_b32_e32 v6, 0x7f, v0
	v_cmpx_ne_u32_e32 0x7f, v6
	s_cbranch_execz .LBB230_408
; %bb.405:                              ;   in Loop: Header=BB230_10 Depth=1
	v_and_b32_e32 v26, 7, v0
	v_lshrrev_b32_e32 v5, 3, v6
	s_mov_b32 s18, exec_lo
	v_cmpx_gt_u32_e32 8, v6
; %bb.406:                              ;   in Loop: Header=BB230_10 Depth=1
	v_ffbh_u32_e32 v5, v26
	v_min_u32_e32 v5, 32, v5
	v_subrev_nc_u32_e32 v6, 28, v5
	v_sub_nc_u32_e32 v5, 29, v5
	v_lshlrev_b64 v[6:7], v6, v[26:27]
	v_and_b32_e32 v26, 7, v6
; %bb.407:                              ;   in Loop: Header=BB230_10 Depth=1
	s_or_b32 exec_lo, exec_lo, s18
	v_lshlrev_b32_e32 v6, 16, v4
	v_lshlrev_b32_e32 v0, 20, v26
	v_lshl_add_u32 v5, v5, 23, 0x3c000000
	v_and_b32_e32 v6, 0x80000000, v6
	v_or3_b32 v6, v0, v6, v5
	v_mov_b32_e32 v5, v27
	buffer_store_dword v5, off, s[0:3], s32 offset:588 ; 4-byte Folded Spill
	buffer_store_dword v6, off, s[0:3], s32 offset:592 ; 4-byte Folded Spill
.LBB230_408:                            ;   in Loop: Header=BB230_10 Depth=1
	s_or_b32 exec_lo, exec_lo, s17
.LBB230_409:                            ;   in Loop: Header=BB230_10 Depth=1
	s_or_b32 exec_lo, exec_lo, s7
.LBB230_410:                            ;   in Loop: Header=BB230_10 Depth=1
	s_or_b32 exec_lo, exec_lo, s6
	v_mov_b32_e32 v5, 0
	v_mov_b32_e32 v6, 0
	;; [unrolled: 1-line block ×3, first 2 shown]
	s_mov_b32 s6, exec_lo
	buffer_store_dword v5, off, s[0:3], s32 offset:596 ; 4-byte Folded Spill
	buffer_store_dword v6, off, s[0:3], s32 offset:600 ; 4-byte Folded Spill
	v_mov_b32_e32 v5, 0
	v_and_b32_sdwa v0, v4, v0 dst_sel:DWORD dst_unused:UNUSED_PAD src0_sel:WORD_1 src1_sel:DWORD
	v_mov_b32_e32 v6, 0
	buffer_store_dword v5, off, s[0:3], s32 offset:604 ; 4-byte Folded Spill
	buffer_store_dword v6, off, s[0:3], s32 offset:608 ; 4-byte Folded Spill
	v_cmpx_ne_u16_e32 0, v0
	s_cbranch_execz .LBB230_418
; %bb.411:                              ;   in Loop: Header=BB230_10 Depth=1
	v_bfrev_b32_e32 v5, 1
	v_mov_b32_e32 v6, 0
	s_mov_b32 s7, exec_lo
	buffer_store_dword v5, off, s[0:3], s32 offset:604 ; 4-byte Folded Spill
	buffer_store_dword v6, off, s[0:3], s32 offset:608 ; 4-byte Folded Spill
	v_cmpx_ne_u16_e32 0x80, v0
	s_cbranch_execz .LBB230_417
; %bb.412:                              ;   in Loop: Header=BB230_10 Depth=1
	v_mov_b32_e32 v7, 0x7f800001
	v_bfe_u32 v6, v4, 16, 7
	v_mov_b32_e32 v8, 0
	s_mov_b32 s17, exec_lo
	buffer_store_dword v7, off, s[0:3], s32 offset:604 ; 4-byte Folded Spill
	buffer_store_dword v8, off, s[0:3], s32 offset:608 ; 4-byte Folded Spill
	v_cmpx_ne_u32_e32 0x7f, v6
	s_cbranch_execz .LBB230_416
; %bb.413:                              ;   in Loop: Header=BB230_10 Depth=1
	v_mov_b32_e32 v0, 7
	v_lshrrev_b32_e32 v5, 3, v6
	s_mov_b32 s18, exec_lo
	v_and_b32_sdwa v26, v4, v0 dst_sel:DWORD dst_unused:UNUSED_PAD src0_sel:WORD_1 src1_sel:DWORD
	v_cmpx_gt_u32_e32 8, v6
; %bb.414:                              ;   in Loop: Header=BB230_10 Depth=1
	v_ffbh_u32_e32 v5, v26
	v_min_u32_e32 v5, 32, v5
	v_subrev_nc_u32_e32 v6, 28, v5
	v_sub_nc_u32_e32 v5, 29, v5
	v_lshlrev_b64 v[6:7], v6, v[26:27]
	v_and_b32_e32 v26, 7, v6
; %bb.415:                              ;   in Loop: Header=BB230_10 Depth=1
	s_or_b32 exec_lo, exec_lo, s18
	v_mov_b32_e32 v0, 24
	v_lshl_add_u32 v5, v5, 23, 0x3c000000
	v_lshlrev_b32_sdwa v6, v0, v4 dst_sel:DWORD dst_unused:UNUSED_PAD src0_sel:DWORD src1_sel:WORD_1
	v_lshlrev_b32_e32 v0, 20, v26
	v_and_b32_e32 v6, 0x80000000, v6
	v_or3_b32 v26, v0, v6, v5
	buffer_store_dword v26, off, s[0:3], s32 offset:604 ; 4-byte Folded Spill
	buffer_store_dword v27, off, s[0:3], s32 offset:608 ; 4-byte Folded Spill
.LBB230_416:                            ;   in Loop: Header=BB230_10 Depth=1
	s_or_b32 exec_lo, exec_lo, s17
.LBB230_417:                            ;   in Loop: Header=BB230_10 Depth=1
	s_or_b32 exec_lo, exec_lo, s7
.LBB230_418:                            ;   in Loop: Header=BB230_10 Depth=1
	s_or_b32 exec_lo, exec_lo, s6
	s_mov_b32 s6, exec_lo
	v_cmpx_lt_u32_e32 0xffffff, v4
	s_cbranch_execz .LBB230_426
; %bb.419:                              ;   in Loop: Header=BB230_10 Depth=1
	v_mov_b32_e32 v0, 0x80
	v_mov_b32_e32 v76, v27
	buffer_store_dword v76, off, s[0:3], s32 offset:596 ; 4-byte Folded Spill
	buffer_store_dword v77, off, s[0:3], s32 offset:600 ; 4-byte Folded Spill
	v_cmp_ne_u32_sdwa s5, v4, v0 src0_sel:BYTE_3 src1_sel:DWORD
	s_and_saveexec_b32 s7, s5
	s_cbranch_execz .LBB230_425
; %bb.420:                              ;   in Loop: Header=BB230_10 Depth=1
	v_bfe_u32 v6, v4, 24, 7
	v_mov_b32_e32 v106, v27
	s_mov_b32 s17, exec_lo
	buffer_store_dword v106, off, s[0:3], s32 offset:596 ; 4-byte Folded Spill
	buffer_store_dword v107, off, s[0:3], s32 offset:600 ; 4-byte Folded Spill
	v_cmpx_ne_u32_e32 0x7f, v6
	s_cbranch_execz .LBB230_424
; %bb.421:                              ;   in Loop: Header=BB230_10 Depth=1
	v_mov_b32_e32 v0, 7
	v_lshrrev_b32_e32 v5, 3, v6
	s_mov_b32 s18, exec_lo
	v_and_b32_sdwa v26, v4, v0 dst_sel:DWORD dst_unused:UNUSED_PAD src0_sel:BYTE_3 src1_sel:DWORD
	v_cmpx_gt_u32_e32 8, v6
; %bb.422:                              ;   in Loop: Header=BB230_10 Depth=1
	v_ffbh_u32_e32 v5, v26
	v_min_u32_e32 v5, 32, v5
	v_subrev_nc_u32_e32 v6, 28, v5
	v_sub_nc_u32_e32 v5, 29, v5
	v_lshlrev_b64 v[6:7], v6, v[26:27]
	v_and_b32_e32 v26, 7, v6
; %bb.423:                              ;   in Loop: Header=BB230_10 Depth=1
	s_or_b32 exec_lo, exec_lo, s18
	v_mov_b32_e32 v0, 24
	v_lshl_add_u32 v5, v5, 23, 0x3c000000
	v_lshlrev_b32_sdwa v4, v0, v4 dst_sel:DWORD dst_unused:UNUSED_PAD src0_sel:DWORD src1_sel:BYTE_3
	v_lshlrev_b32_e32 v0, 20, v26
	v_and_b32_e32 v4, 0x80000000, v4
	v_or3_b32 v5, v0, v4, v5
	v_mov_b32_e32 v4, v27
	buffer_store_dword v4, off, s[0:3], s32 offset:596 ; 4-byte Folded Spill
	buffer_store_dword v5, off, s[0:3], s32 offset:600 ; 4-byte Folded Spill
.LBB230_424:                            ;   in Loop: Header=BB230_10 Depth=1
	s_or_b32 exec_lo, exec_lo, s17
.LBB230_425:                            ;   in Loop: Header=BB230_10 Depth=1
	s_or_b32 exec_lo, exec_lo, s7
.LBB230_426:                            ;   in Loop: Header=BB230_10 Depth=1
	s_or_b32 exec_lo, exec_lo, s6
	flat_load_dword v4, v[2:3] offset:1540
	v_mov_b32_e32 v5, 0
	v_mov_b32_e32 v6, 0
	buffer_store_dword v5, off, s[0:3], s32 offset:620 ; 4-byte Folded Spill
	buffer_store_dword v6, off, s[0:3], s32 offset:624 ; 4-byte Folded Spill
	v_mov_b32_e32 v5, 0
	v_mov_b32_e32 v6, 0
	buffer_store_dword v5, off, s[0:3], s32 offset:612 ; 4-byte Folded Spill
	buffer_store_dword v6, off, s[0:3], s32 offset:616 ; 4-byte Folded Spill
	s_waitcnt vmcnt(0) lgkmcnt(0)
	v_cmp_ne_u16_sdwa s5, v4, v27 src0_sel:BYTE_0 src1_sel:DWORD
	s_and_saveexec_b32 s6, s5
	s_cbranch_execz .LBB230_434
; %bb.427:                              ;   in Loop: Header=BB230_10 Depth=1
	v_mov_b32_e32 v0, 0x80
	v_bfrev_b32_e32 v5, 1
	v_mov_b32_e32 v6, 0
	buffer_store_dword v5, off, s[0:3], s32 offset:612 ; 4-byte Folded Spill
	buffer_store_dword v6, off, s[0:3], s32 offset:616 ; 4-byte Folded Spill
	v_cmp_ne_u16_sdwa s5, v4, v0 src0_sel:BYTE_0 src1_sel:DWORD
	s_and_saveexec_b32 s7, s5
	s_cbranch_execz .LBB230_433
; %bb.428:                              ;   in Loop: Header=BB230_10 Depth=1
	v_mov_b32_e32 v7, 0x7f800001
	v_and_b32_e32 v6, 0x7f, v4
	v_mov_b32_e32 v8, 0
	s_mov_b32 s17, exec_lo
	buffer_store_dword v7, off, s[0:3], s32 offset:612 ; 4-byte Folded Spill
	buffer_store_dword v8, off, s[0:3], s32 offset:616 ; 4-byte Folded Spill
	v_cmpx_ne_u32_e32 0x7f, v6
	s_cbranch_execz .LBB230_432
; %bb.429:                              ;   in Loop: Header=BB230_10 Depth=1
	v_and_b32_e32 v26, 7, v4
	v_lshrrev_b32_e32 v5, 3, v6
	s_mov_b32 s18, exec_lo
	v_cmpx_gt_u32_e32 8, v6
; %bb.430:                              ;   in Loop: Header=BB230_10 Depth=1
	v_ffbh_u32_e32 v5, v26
	v_min_u32_e32 v5, 32, v5
	v_subrev_nc_u32_e32 v6, 28, v5
	v_sub_nc_u32_e32 v5, 29, v5
	v_lshlrev_b64 v[6:7], v6, v[26:27]
	v_and_b32_e32 v26, 7, v6
; %bb.431:                              ;   in Loop: Header=BB230_10 Depth=1
	s_or_b32 exec_lo, exec_lo, s18
	v_lshlrev_b32_e32 v6, 24, v4
	v_lshlrev_b32_e32 v0, 20, v26
	v_lshl_add_u32 v5, v5, 23, 0x3c000000
	v_and_b32_e32 v6, 0x80000000, v6
	v_or3_b32 v26, v0, v6, v5
	buffer_store_dword v26, off, s[0:3], s32 offset:612 ; 4-byte Folded Spill
	buffer_store_dword v27, off, s[0:3], s32 offset:616 ; 4-byte Folded Spill
.LBB230_432:                            ;   in Loop: Header=BB230_10 Depth=1
	s_or_b32 exec_lo, exec_lo, s17
.LBB230_433:                            ;   in Loop: Header=BB230_10 Depth=1
	s_or_b32 exec_lo, exec_lo, s7
.LBB230_434:                            ;   in Loop: Header=BB230_10 Depth=1
	s_or_b32 exec_lo, exec_lo, s6
	v_cmp_ne_u16_sdwa s5, v4, v27 src0_sel:BYTE_1 src1_sel:DWORD
	s_and_saveexec_b32 s6, s5
	s_cbranch_execz .LBB230_442
; %bb.435:                              ;   in Loop: Header=BB230_10 Depth=1
	v_mov_b32_e32 v0, 0x80
	v_mov_b32_e32 v76, v27
	buffer_store_dword v76, off, s[0:3], s32 offset:620 ; 4-byte Folded Spill
	buffer_store_dword v77, off, s[0:3], s32 offset:624 ; 4-byte Folded Spill
	v_cmp_ne_u16_sdwa s5, v4, v0 src0_sel:BYTE_1 src1_sel:DWORD
	s_and_saveexec_b32 s7, s5
	s_cbranch_execz .LBB230_441
; %bb.436:                              ;   in Loop: Header=BB230_10 Depth=1
	v_mov_b32_e32 v0, 0xffff
	v_mov_b32_e32 v106, v27
	s_mov_b32 s17, exec_lo
	buffer_store_dword v106, off, s[0:3], s32 offset:620 ; 4-byte Folded Spill
	buffer_store_dword v107, off, s[0:3], s32 offset:624 ; 4-byte Folded Spill
	v_and_b32_sdwa v0, v0, v4 dst_sel:DWORD dst_unused:UNUSED_PAD src0_sel:DWORD src1_sel:BYTE_1
	v_and_b32_e32 v6, 0x7f, v0
	v_cmpx_ne_u32_e32 0x7f, v6
	s_cbranch_execz .LBB230_440
; %bb.437:                              ;   in Loop: Header=BB230_10 Depth=1
	v_and_b32_e32 v26, 7, v0
	v_lshrrev_b32_e32 v5, 3, v6
	s_mov_b32 s18, exec_lo
	v_cmpx_gt_u32_e32 8, v6
; %bb.438:                              ;   in Loop: Header=BB230_10 Depth=1
	v_ffbh_u32_e32 v5, v26
	v_min_u32_e32 v5, 32, v5
	v_subrev_nc_u32_e32 v6, 28, v5
	v_sub_nc_u32_e32 v5, 29, v5
	v_lshlrev_b64 v[6:7], v6, v[26:27]
	v_and_b32_e32 v26, 7, v6
; %bb.439:                              ;   in Loop: Header=BB230_10 Depth=1
	s_or_b32 exec_lo, exec_lo, s18
	v_lshlrev_b32_e32 v6, 16, v4
	v_lshlrev_b32_e32 v0, 20, v26
	v_lshl_add_u32 v5, v5, 23, 0x3c000000
	v_and_b32_e32 v6, 0x80000000, v6
	v_or3_b32 v6, v0, v6, v5
	v_mov_b32_e32 v5, v27
	buffer_store_dword v5, off, s[0:3], s32 offset:620 ; 4-byte Folded Spill
	buffer_store_dword v6, off, s[0:3], s32 offset:624 ; 4-byte Folded Spill
.LBB230_440:                            ;   in Loop: Header=BB230_10 Depth=1
	s_or_b32 exec_lo, exec_lo, s17
.LBB230_441:                            ;   in Loop: Header=BB230_10 Depth=1
	s_or_b32 exec_lo, exec_lo, s7
.LBB230_442:                            ;   in Loop: Header=BB230_10 Depth=1
	s_or_b32 exec_lo, exec_lo, s6
	v_mov_b32_e32 v5, 0
	v_mov_b32_e32 v6, 0
	;; [unrolled: 1-line block ×3, first 2 shown]
	s_mov_b32 s6, exec_lo
	buffer_store_dword v5, off, s[0:3], s32 offset:628 ; 4-byte Folded Spill
	buffer_store_dword v6, off, s[0:3], s32 offset:632 ; 4-byte Folded Spill
	v_mov_b32_e32 v5, 0
	v_and_b32_sdwa v0, v4, v0 dst_sel:DWORD dst_unused:UNUSED_PAD src0_sel:WORD_1 src1_sel:DWORD
	v_mov_b32_e32 v6, 0
	buffer_store_dword v5, off, s[0:3], s32 offset:636 ; 4-byte Folded Spill
	buffer_store_dword v6, off, s[0:3], s32 offset:640 ; 4-byte Folded Spill
	v_cmpx_ne_u16_e32 0, v0
	s_cbranch_execz .LBB230_450
; %bb.443:                              ;   in Loop: Header=BB230_10 Depth=1
	v_bfrev_b32_e32 v5, 1
	v_mov_b32_e32 v6, 0
	s_mov_b32 s7, exec_lo
	buffer_store_dword v5, off, s[0:3], s32 offset:636 ; 4-byte Folded Spill
	buffer_store_dword v6, off, s[0:3], s32 offset:640 ; 4-byte Folded Spill
	v_cmpx_ne_u16_e32 0x80, v0
	s_cbranch_execz .LBB230_449
; %bb.444:                              ;   in Loop: Header=BB230_10 Depth=1
	v_mov_b32_e32 v7, 0x7f800001
	v_bfe_u32 v6, v4, 16, 7
	v_mov_b32_e32 v8, 0
	s_mov_b32 s17, exec_lo
	buffer_store_dword v7, off, s[0:3], s32 offset:636 ; 4-byte Folded Spill
	buffer_store_dword v8, off, s[0:3], s32 offset:640 ; 4-byte Folded Spill
	v_cmpx_ne_u32_e32 0x7f, v6
	s_cbranch_execz .LBB230_448
; %bb.445:                              ;   in Loop: Header=BB230_10 Depth=1
	v_mov_b32_e32 v0, 7
	v_lshrrev_b32_e32 v5, 3, v6
	s_mov_b32 s18, exec_lo
	v_and_b32_sdwa v26, v4, v0 dst_sel:DWORD dst_unused:UNUSED_PAD src0_sel:WORD_1 src1_sel:DWORD
	v_cmpx_gt_u32_e32 8, v6
; %bb.446:                              ;   in Loop: Header=BB230_10 Depth=1
	v_ffbh_u32_e32 v5, v26
	v_min_u32_e32 v5, 32, v5
	v_subrev_nc_u32_e32 v6, 28, v5
	v_sub_nc_u32_e32 v5, 29, v5
	v_lshlrev_b64 v[6:7], v6, v[26:27]
	v_and_b32_e32 v26, 7, v6
; %bb.447:                              ;   in Loop: Header=BB230_10 Depth=1
	s_or_b32 exec_lo, exec_lo, s18
	v_mov_b32_e32 v0, 24
	v_lshl_add_u32 v5, v5, 23, 0x3c000000
	v_lshlrev_b32_sdwa v6, v0, v4 dst_sel:DWORD dst_unused:UNUSED_PAD src0_sel:DWORD src1_sel:WORD_1
	v_lshlrev_b32_e32 v0, 20, v26
	v_and_b32_e32 v6, 0x80000000, v6
	v_or3_b32 v26, v0, v6, v5
	buffer_store_dword v26, off, s[0:3], s32 offset:636 ; 4-byte Folded Spill
	buffer_store_dword v27, off, s[0:3], s32 offset:640 ; 4-byte Folded Spill
.LBB230_448:                            ;   in Loop: Header=BB230_10 Depth=1
	s_or_b32 exec_lo, exec_lo, s17
.LBB230_449:                            ;   in Loop: Header=BB230_10 Depth=1
	s_or_b32 exec_lo, exec_lo, s7
.LBB230_450:                            ;   in Loop: Header=BB230_10 Depth=1
	s_or_b32 exec_lo, exec_lo, s6
	s_mov_b32 s6, exec_lo
	v_cmpx_lt_u32_e32 0xffffff, v4
	s_cbranch_execz .LBB230_458
; %bb.451:                              ;   in Loop: Header=BB230_10 Depth=1
	v_mov_b32_e32 v0, 0x80
	v_mov_b32_e32 v76, v27
	buffer_store_dword v76, off, s[0:3], s32 offset:628 ; 4-byte Folded Spill
	buffer_store_dword v77, off, s[0:3], s32 offset:632 ; 4-byte Folded Spill
	v_cmp_ne_u32_sdwa s5, v4, v0 src0_sel:BYTE_3 src1_sel:DWORD
	s_and_saveexec_b32 s7, s5
	s_cbranch_execz .LBB230_457
; %bb.452:                              ;   in Loop: Header=BB230_10 Depth=1
	v_bfe_u32 v6, v4, 24, 7
	v_mov_b32_e32 v106, v27
	s_mov_b32 s17, exec_lo
	buffer_store_dword v106, off, s[0:3], s32 offset:628 ; 4-byte Folded Spill
	buffer_store_dword v107, off, s[0:3], s32 offset:632 ; 4-byte Folded Spill
	v_cmpx_ne_u32_e32 0x7f, v6
	s_cbranch_execz .LBB230_456
; %bb.453:                              ;   in Loop: Header=BB230_10 Depth=1
	v_mov_b32_e32 v0, 7
	v_lshrrev_b32_e32 v5, 3, v6
	s_mov_b32 s18, exec_lo
	v_and_b32_sdwa v26, v4, v0 dst_sel:DWORD dst_unused:UNUSED_PAD src0_sel:BYTE_3 src1_sel:DWORD
	v_cmpx_gt_u32_e32 8, v6
; %bb.454:                              ;   in Loop: Header=BB230_10 Depth=1
	v_ffbh_u32_e32 v5, v26
	v_min_u32_e32 v5, 32, v5
	v_subrev_nc_u32_e32 v6, 28, v5
	v_sub_nc_u32_e32 v5, 29, v5
	v_lshlrev_b64 v[6:7], v6, v[26:27]
	v_and_b32_e32 v26, 7, v6
; %bb.455:                              ;   in Loop: Header=BB230_10 Depth=1
	s_or_b32 exec_lo, exec_lo, s18
	v_mov_b32_e32 v0, 24
	v_lshl_add_u32 v5, v5, 23, 0x3c000000
	v_lshlrev_b32_sdwa v4, v0, v4 dst_sel:DWORD dst_unused:UNUSED_PAD src0_sel:DWORD src1_sel:BYTE_3
	v_lshlrev_b32_e32 v0, 20, v26
	v_and_b32_e32 v4, 0x80000000, v4
	v_or3_b32 v5, v0, v4, v5
	v_mov_b32_e32 v4, v27
	buffer_store_dword v4, off, s[0:3], s32 offset:628 ; 4-byte Folded Spill
	buffer_store_dword v5, off, s[0:3], s32 offset:632 ; 4-byte Folded Spill
.LBB230_456:                            ;   in Loop: Header=BB230_10 Depth=1
	s_or_b32 exec_lo, exec_lo, s17
.LBB230_457:                            ;   in Loop: Header=BB230_10 Depth=1
	s_or_b32 exec_lo, exec_lo, s7
.LBB230_458:                            ;   in Loop: Header=BB230_10 Depth=1
	s_or_b32 exec_lo, exec_lo, s6
	flat_load_dword v4, v[2:3] offset:1544
	v_mov_b32_e32 v5, 0
	v_mov_b32_e32 v6, 0
	buffer_store_dword v5, off, s[0:3], s32 offset:652 ; 4-byte Folded Spill
	buffer_store_dword v6, off, s[0:3], s32 offset:656 ; 4-byte Folded Spill
	v_mov_b32_e32 v5, 0
	v_mov_b32_e32 v6, 0
	buffer_store_dword v5, off, s[0:3], s32 offset:644 ; 4-byte Folded Spill
	buffer_store_dword v6, off, s[0:3], s32 offset:648 ; 4-byte Folded Spill
	s_waitcnt vmcnt(0) lgkmcnt(0)
	v_cmp_ne_u16_sdwa s5, v4, v27 src0_sel:BYTE_0 src1_sel:DWORD
	s_and_saveexec_b32 s6, s5
	s_cbranch_execz .LBB230_466
; %bb.459:                              ;   in Loop: Header=BB230_10 Depth=1
	v_mov_b32_e32 v0, 0x80
	v_bfrev_b32_e32 v5, 1
	v_mov_b32_e32 v6, 0
	buffer_store_dword v5, off, s[0:3], s32 offset:644 ; 4-byte Folded Spill
	buffer_store_dword v6, off, s[0:3], s32 offset:648 ; 4-byte Folded Spill
	v_cmp_ne_u16_sdwa s5, v4, v0 src0_sel:BYTE_0 src1_sel:DWORD
	s_and_saveexec_b32 s7, s5
	s_cbranch_execz .LBB230_465
; %bb.460:                              ;   in Loop: Header=BB230_10 Depth=1
	v_mov_b32_e32 v7, 0x7f800001
	v_and_b32_e32 v6, 0x7f, v4
	v_mov_b32_e32 v8, 0
	s_mov_b32 s17, exec_lo
	buffer_store_dword v7, off, s[0:3], s32 offset:644 ; 4-byte Folded Spill
	buffer_store_dword v8, off, s[0:3], s32 offset:648 ; 4-byte Folded Spill
	v_cmpx_ne_u32_e32 0x7f, v6
	s_cbranch_execz .LBB230_464
; %bb.461:                              ;   in Loop: Header=BB230_10 Depth=1
	v_and_b32_e32 v26, 7, v4
	v_lshrrev_b32_e32 v5, 3, v6
	s_mov_b32 s18, exec_lo
	v_cmpx_gt_u32_e32 8, v6
; %bb.462:                              ;   in Loop: Header=BB230_10 Depth=1
	v_ffbh_u32_e32 v5, v26
	v_min_u32_e32 v5, 32, v5
	v_subrev_nc_u32_e32 v6, 28, v5
	v_sub_nc_u32_e32 v5, 29, v5
	v_lshlrev_b64 v[6:7], v6, v[26:27]
	v_and_b32_e32 v26, 7, v6
; %bb.463:                              ;   in Loop: Header=BB230_10 Depth=1
	s_or_b32 exec_lo, exec_lo, s18
	v_lshlrev_b32_e32 v6, 24, v4
	v_lshlrev_b32_e32 v0, 20, v26
	v_lshl_add_u32 v5, v5, 23, 0x3c000000
	v_and_b32_e32 v6, 0x80000000, v6
	v_or3_b32 v26, v0, v6, v5
	buffer_store_dword v26, off, s[0:3], s32 offset:644 ; 4-byte Folded Spill
	buffer_store_dword v27, off, s[0:3], s32 offset:648 ; 4-byte Folded Spill
.LBB230_464:                            ;   in Loop: Header=BB230_10 Depth=1
	s_or_b32 exec_lo, exec_lo, s17
.LBB230_465:                            ;   in Loop: Header=BB230_10 Depth=1
	s_or_b32 exec_lo, exec_lo, s7
.LBB230_466:                            ;   in Loop: Header=BB230_10 Depth=1
	s_or_b32 exec_lo, exec_lo, s6
	v_cmp_ne_u16_sdwa s5, v4, v27 src0_sel:BYTE_1 src1_sel:DWORD
	s_and_saveexec_b32 s6, s5
	s_cbranch_execz .LBB230_474
; %bb.467:                              ;   in Loop: Header=BB230_10 Depth=1
	v_mov_b32_e32 v0, 0x80
	v_mov_b32_e32 v76, v27
	buffer_store_dword v76, off, s[0:3], s32 offset:652 ; 4-byte Folded Spill
	buffer_store_dword v77, off, s[0:3], s32 offset:656 ; 4-byte Folded Spill
	v_cmp_ne_u16_sdwa s5, v4, v0 src0_sel:BYTE_1 src1_sel:DWORD
	s_and_saveexec_b32 s7, s5
	s_cbranch_execz .LBB230_473
; %bb.468:                              ;   in Loop: Header=BB230_10 Depth=1
	v_mov_b32_e32 v0, 0xffff
	v_mov_b32_e32 v106, v27
	s_mov_b32 s17, exec_lo
	buffer_store_dword v106, off, s[0:3], s32 offset:652 ; 4-byte Folded Spill
	buffer_store_dword v107, off, s[0:3], s32 offset:656 ; 4-byte Folded Spill
	v_and_b32_sdwa v0, v0, v4 dst_sel:DWORD dst_unused:UNUSED_PAD src0_sel:DWORD src1_sel:BYTE_1
	v_and_b32_e32 v6, 0x7f, v0
	v_cmpx_ne_u32_e32 0x7f, v6
	s_cbranch_execz .LBB230_472
; %bb.469:                              ;   in Loop: Header=BB230_10 Depth=1
	v_and_b32_e32 v26, 7, v0
	v_lshrrev_b32_e32 v5, 3, v6
	s_mov_b32 s18, exec_lo
	v_cmpx_gt_u32_e32 8, v6
; %bb.470:                              ;   in Loop: Header=BB230_10 Depth=1
	v_ffbh_u32_e32 v5, v26
	v_min_u32_e32 v5, 32, v5
	v_subrev_nc_u32_e32 v6, 28, v5
	v_sub_nc_u32_e32 v5, 29, v5
	v_lshlrev_b64 v[6:7], v6, v[26:27]
	v_and_b32_e32 v26, 7, v6
; %bb.471:                              ;   in Loop: Header=BB230_10 Depth=1
	s_or_b32 exec_lo, exec_lo, s18
	v_lshlrev_b32_e32 v6, 16, v4
	v_lshlrev_b32_e32 v0, 20, v26
	v_lshl_add_u32 v5, v5, 23, 0x3c000000
	v_and_b32_e32 v6, 0x80000000, v6
	v_or3_b32 v6, v0, v6, v5
	v_mov_b32_e32 v5, v27
	buffer_store_dword v5, off, s[0:3], s32 offset:652 ; 4-byte Folded Spill
	buffer_store_dword v6, off, s[0:3], s32 offset:656 ; 4-byte Folded Spill
.LBB230_472:                            ;   in Loop: Header=BB230_10 Depth=1
	s_or_b32 exec_lo, exec_lo, s17
.LBB230_473:                            ;   in Loop: Header=BB230_10 Depth=1
	s_or_b32 exec_lo, exec_lo, s7
.LBB230_474:                            ;   in Loop: Header=BB230_10 Depth=1
	s_or_b32 exec_lo, exec_lo, s6
	v_mov_b32_e32 v5, 0
	v_mov_b32_e32 v6, 0
	v_mov_b32_e32 v0, 0xff
	s_mov_b32 s6, exec_lo
	buffer_store_dword v5, off, s[0:3], s32 offset:660 ; 4-byte Folded Spill
	buffer_store_dword v6, off, s[0:3], s32 offset:664 ; 4-byte Folded Spill
	v_mov_b32_e32 v5, 0
	v_and_b32_sdwa v0, v4, v0 dst_sel:DWORD dst_unused:UNUSED_PAD src0_sel:WORD_1 src1_sel:DWORD
	v_mov_b32_e32 v6, 0
	buffer_store_dword v5, off, s[0:3], s32 offset:668 ; 4-byte Folded Spill
	buffer_store_dword v6, off, s[0:3], s32 offset:672 ; 4-byte Folded Spill
	v_cmpx_ne_u16_e32 0, v0
	s_cbranch_execz .LBB230_482
; %bb.475:                              ;   in Loop: Header=BB230_10 Depth=1
	v_bfrev_b32_e32 v5, 1
	v_mov_b32_e32 v6, 0
	s_mov_b32 s7, exec_lo
	buffer_store_dword v5, off, s[0:3], s32 offset:668 ; 4-byte Folded Spill
	buffer_store_dword v6, off, s[0:3], s32 offset:672 ; 4-byte Folded Spill
	v_cmpx_ne_u16_e32 0x80, v0
	s_cbranch_execz .LBB230_481
; %bb.476:                              ;   in Loop: Header=BB230_10 Depth=1
	v_mov_b32_e32 v7, 0x7f800001
	v_bfe_u32 v6, v4, 16, 7
	v_mov_b32_e32 v8, 0
	s_mov_b32 s17, exec_lo
	buffer_store_dword v7, off, s[0:3], s32 offset:668 ; 4-byte Folded Spill
	buffer_store_dword v8, off, s[0:3], s32 offset:672 ; 4-byte Folded Spill
	v_cmpx_ne_u32_e32 0x7f, v6
	s_cbranch_execz .LBB230_480
; %bb.477:                              ;   in Loop: Header=BB230_10 Depth=1
	v_mov_b32_e32 v0, 7
	v_lshrrev_b32_e32 v5, 3, v6
	s_mov_b32 s18, exec_lo
	v_and_b32_sdwa v26, v4, v0 dst_sel:DWORD dst_unused:UNUSED_PAD src0_sel:WORD_1 src1_sel:DWORD
	v_cmpx_gt_u32_e32 8, v6
; %bb.478:                              ;   in Loop: Header=BB230_10 Depth=1
	v_ffbh_u32_e32 v5, v26
	v_min_u32_e32 v5, 32, v5
	v_subrev_nc_u32_e32 v6, 28, v5
	v_sub_nc_u32_e32 v5, 29, v5
	v_lshlrev_b64 v[6:7], v6, v[26:27]
	v_and_b32_e32 v26, 7, v6
; %bb.479:                              ;   in Loop: Header=BB230_10 Depth=1
	s_or_b32 exec_lo, exec_lo, s18
	v_mov_b32_e32 v0, 24
	v_lshl_add_u32 v5, v5, 23, 0x3c000000
	v_lshlrev_b32_sdwa v6, v0, v4 dst_sel:DWORD dst_unused:UNUSED_PAD src0_sel:DWORD src1_sel:WORD_1
	v_lshlrev_b32_e32 v0, 20, v26
	v_and_b32_e32 v6, 0x80000000, v6
	v_or3_b32 v26, v0, v6, v5
	buffer_store_dword v26, off, s[0:3], s32 offset:668 ; 4-byte Folded Spill
	buffer_store_dword v27, off, s[0:3], s32 offset:672 ; 4-byte Folded Spill
.LBB230_480:                            ;   in Loop: Header=BB230_10 Depth=1
	s_or_b32 exec_lo, exec_lo, s17
.LBB230_481:                            ;   in Loop: Header=BB230_10 Depth=1
	s_or_b32 exec_lo, exec_lo, s7
.LBB230_482:                            ;   in Loop: Header=BB230_10 Depth=1
	s_or_b32 exec_lo, exec_lo, s6
	s_mov_b32 s6, exec_lo
	v_cmpx_lt_u32_e32 0xffffff, v4
	s_cbranch_execz .LBB230_490
; %bb.483:                              ;   in Loop: Header=BB230_10 Depth=1
	v_mov_b32_e32 v0, 0x80
	v_mov_b32_e32 v76, v27
	buffer_store_dword v76, off, s[0:3], s32 offset:660 ; 4-byte Folded Spill
	buffer_store_dword v77, off, s[0:3], s32 offset:664 ; 4-byte Folded Spill
	v_cmp_ne_u32_sdwa s5, v4, v0 src0_sel:BYTE_3 src1_sel:DWORD
	s_and_saveexec_b32 s7, s5
	s_cbranch_execz .LBB230_489
; %bb.484:                              ;   in Loop: Header=BB230_10 Depth=1
	v_bfe_u32 v6, v4, 24, 7
	v_mov_b32_e32 v106, v27
	s_mov_b32 s17, exec_lo
	buffer_store_dword v106, off, s[0:3], s32 offset:660 ; 4-byte Folded Spill
	buffer_store_dword v107, off, s[0:3], s32 offset:664 ; 4-byte Folded Spill
	v_cmpx_ne_u32_e32 0x7f, v6
	s_cbranch_execz .LBB230_488
; %bb.485:                              ;   in Loop: Header=BB230_10 Depth=1
	v_mov_b32_e32 v0, 7
	v_lshrrev_b32_e32 v5, 3, v6
	s_mov_b32 s18, exec_lo
	v_and_b32_sdwa v26, v4, v0 dst_sel:DWORD dst_unused:UNUSED_PAD src0_sel:BYTE_3 src1_sel:DWORD
	v_cmpx_gt_u32_e32 8, v6
; %bb.486:                              ;   in Loop: Header=BB230_10 Depth=1
	v_ffbh_u32_e32 v5, v26
	v_min_u32_e32 v5, 32, v5
	v_subrev_nc_u32_e32 v6, 28, v5
	v_sub_nc_u32_e32 v5, 29, v5
	v_lshlrev_b64 v[6:7], v6, v[26:27]
	v_and_b32_e32 v26, 7, v6
; %bb.487:                              ;   in Loop: Header=BB230_10 Depth=1
	s_or_b32 exec_lo, exec_lo, s18
	v_mov_b32_e32 v0, 24
	v_lshl_add_u32 v5, v5, 23, 0x3c000000
	v_lshlrev_b32_sdwa v4, v0, v4 dst_sel:DWORD dst_unused:UNUSED_PAD src0_sel:DWORD src1_sel:BYTE_3
	v_lshlrev_b32_e32 v0, 20, v26
	v_and_b32_e32 v4, 0x80000000, v4
	v_or3_b32 v5, v0, v4, v5
	v_mov_b32_e32 v4, v27
	buffer_store_dword v4, off, s[0:3], s32 offset:660 ; 4-byte Folded Spill
	buffer_store_dword v5, off, s[0:3], s32 offset:664 ; 4-byte Folded Spill
.LBB230_488:                            ;   in Loop: Header=BB230_10 Depth=1
	s_or_b32 exec_lo, exec_lo, s17
.LBB230_489:                            ;   in Loop: Header=BB230_10 Depth=1
	s_or_b32 exec_lo, exec_lo, s7
.LBB230_490:                            ;   in Loop: Header=BB230_10 Depth=1
	s_or_b32 exec_lo, exec_lo, s6
	flat_load_dword v4, v[2:3] offset:1548
	v_mov_b32_e32 v5, 0
	v_mov_b32_e32 v6, 0
	buffer_store_dword v5, off, s[0:3], s32 offset:684 ; 4-byte Folded Spill
	buffer_store_dword v6, off, s[0:3], s32 offset:688 ; 4-byte Folded Spill
	v_mov_b32_e32 v5, 0
	v_mov_b32_e32 v6, 0
	buffer_store_dword v5, off, s[0:3], s32 offset:676 ; 4-byte Folded Spill
	buffer_store_dword v6, off, s[0:3], s32 offset:680 ; 4-byte Folded Spill
	s_waitcnt vmcnt(0) lgkmcnt(0)
	v_cmp_ne_u16_sdwa s5, v4, v27 src0_sel:BYTE_0 src1_sel:DWORD
	s_and_saveexec_b32 s6, s5
	s_cbranch_execz .LBB230_498
; %bb.491:                              ;   in Loop: Header=BB230_10 Depth=1
	v_mov_b32_e32 v0, 0x80
	v_bfrev_b32_e32 v5, 1
	v_mov_b32_e32 v6, 0
	buffer_store_dword v5, off, s[0:3], s32 offset:676 ; 4-byte Folded Spill
	buffer_store_dword v6, off, s[0:3], s32 offset:680 ; 4-byte Folded Spill
	v_cmp_ne_u16_sdwa s5, v4, v0 src0_sel:BYTE_0 src1_sel:DWORD
	s_and_saveexec_b32 s7, s5
	s_cbranch_execz .LBB230_497
; %bb.492:                              ;   in Loop: Header=BB230_10 Depth=1
	v_mov_b32_e32 v7, 0x7f800001
	v_and_b32_e32 v6, 0x7f, v4
	v_mov_b32_e32 v8, 0
	s_mov_b32 s17, exec_lo
	buffer_store_dword v7, off, s[0:3], s32 offset:676 ; 4-byte Folded Spill
	buffer_store_dword v8, off, s[0:3], s32 offset:680 ; 4-byte Folded Spill
	v_cmpx_ne_u32_e32 0x7f, v6
	s_cbranch_execz .LBB230_496
; %bb.493:                              ;   in Loop: Header=BB230_10 Depth=1
	v_and_b32_e32 v26, 7, v4
	v_lshrrev_b32_e32 v5, 3, v6
	s_mov_b32 s18, exec_lo
	v_cmpx_gt_u32_e32 8, v6
; %bb.494:                              ;   in Loop: Header=BB230_10 Depth=1
	v_ffbh_u32_e32 v5, v26
	v_min_u32_e32 v5, 32, v5
	v_subrev_nc_u32_e32 v6, 28, v5
	v_sub_nc_u32_e32 v5, 29, v5
	v_lshlrev_b64 v[6:7], v6, v[26:27]
	v_and_b32_e32 v26, 7, v6
; %bb.495:                              ;   in Loop: Header=BB230_10 Depth=1
	s_or_b32 exec_lo, exec_lo, s18
	v_lshlrev_b32_e32 v6, 24, v4
	v_lshlrev_b32_e32 v0, 20, v26
	v_lshl_add_u32 v5, v5, 23, 0x3c000000
	v_and_b32_e32 v6, 0x80000000, v6
	v_or3_b32 v26, v0, v6, v5
	buffer_store_dword v26, off, s[0:3], s32 offset:676 ; 4-byte Folded Spill
	buffer_store_dword v27, off, s[0:3], s32 offset:680 ; 4-byte Folded Spill
.LBB230_496:                            ;   in Loop: Header=BB230_10 Depth=1
	s_or_b32 exec_lo, exec_lo, s17
.LBB230_497:                            ;   in Loop: Header=BB230_10 Depth=1
	s_or_b32 exec_lo, exec_lo, s7
.LBB230_498:                            ;   in Loop: Header=BB230_10 Depth=1
	s_or_b32 exec_lo, exec_lo, s6
	v_cmp_ne_u16_sdwa s5, v4, v27 src0_sel:BYTE_1 src1_sel:DWORD
	s_and_saveexec_b32 s6, s5
	s_cbranch_execz .LBB230_506
; %bb.499:                              ;   in Loop: Header=BB230_10 Depth=1
	v_mov_b32_e32 v0, 0x80
	v_mov_b32_e32 v76, v27
	buffer_store_dword v76, off, s[0:3], s32 offset:684 ; 4-byte Folded Spill
	buffer_store_dword v77, off, s[0:3], s32 offset:688 ; 4-byte Folded Spill
	v_cmp_ne_u16_sdwa s5, v4, v0 src0_sel:BYTE_1 src1_sel:DWORD
	s_and_saveexec_b32 s7, s5
	s_cbranch_execz .LBB230_505
; %bb.500:                              ;   in Loop: Header=BB230_10 Depth=1
	v_mov_b32_e32 v0, 0xffff
	v_mov_b32_e32 v106, v27
	s_mov_b32 s17, exec_lo
	buffer_store_dword v106, off, s[0:3], s32 offset:684 ; 4-byte Folded Spill
	buffer_store_dword v107, off, s[0:3], s32 offset:688 ; 4-byte Folded Spill
	v_and_b32_sdwa v0, v0, v4 dst_sel:DWORD dst_unused:UNUSED_PAD src0_sel:DWORD src1_sel:BYTE_1
	v_and_b32_e32 v6, 0x7f, v0
	v_cmpx_ne_u32_e32 0x7f, v6
	s_cbranch_execz .LBB230_504
; %bb.501:                              ;   in Loop: Header=BB230_10 Depth=1
	v_and_b32_e32 v26, 7, v0
	v_lshrrev_b32_e32 v5, 3, v6
	s_mov_b32 s18, exec_lo
	v_cmpx_gt_u32_e32 8, v6
; %bb.502:                              ;   in Loop: Header=BB230_10 Depth=1
	v_ffbh_u32_e32 v5, v26
	v_min_u32_e32 v5, 32, v5
	v_subrev_nc_u32_e32 v6, 28, v5
	v_sub_nc_u32_e32 v5, 29, v5
	v_lshlrev_b64 v[6:7], v6, v[26:27]
	v_and_b32_e32 v26, 7, v6
; %bb.503:                              ;   in Loop: Header=BB230_10 Depth=1
	s_or_b32 exec_lo, exec_lo, s18
	v_lshlrev_b32_e32 v6, 16, v4
	v_lshlrev_b32_e32 v0, 20, v26
	v_lshl_add_u32 v5, v5, 23, 0x3c000000
	v_and_b32_e32 v6, 0x80000000, v6
	v_or3_b32 v6, v0, v6, v5
	v_mov_b32_e32 v5, v27
	buffer_store_dword v5, off, s[0:3], s32 offset:684 ; 4-byte Folded Spill
	buffer_store_dword v6, off, s[0:3], s32 offset:688 ; 4-byte Folded Spill
.LBB230_504:                            ;   in Loop: Header=BB230_10 Depth=1
	s_or_b32 exec_lo, exec_lo, s17
.LBB230_505:                            ;   in Loop: Header=BB230_10 Depth=1
	s_or_b32 exec_lo, exec_lo, s7
.LBB230_506:                            ;   in Loop: Header=BB230_10 Depth=1
	s_or_b32 exec_lo, exec_lo, s6
	v_mov_b32_e32 v5, 0
	v_mov_b32_e32 v6, 0
	;; [unrolled: 1-line block ×3, first 2 shown]
	s_mov_b32 s6, exec_lo
	buffer_store_dword v5, off, s[0:3], s32 offset:692 ; 4-byte Folded Spill
	buffer_store_dword v6, off, s[0:3], s32 offset:696 ; 4-byte Folded Spill
	v_mov_b32_e32 v5, 0
	v_and_b32_sdwa v0, v4, v0 dst_sel:DWORD dst_unused:UNUSED_PAD src0_sel:WORD_1 src1_sel:DWORD
	v_mov_b32_e32 v6, 0
	buffer_store_dword v5, off, s[0:3], s32 offset:700 ; 4-byte Folded Spill
	buffer_store_dword v6, off, s[0:3], s32 offset:704 ; 4-byte Folded Spill
	v_cmpx_ne_u16_e32 0, v0
	s_cbranch_execz .LBB230_514
; %bb.507:                              ;   in Loop: Header=BB230_10 Depth=1
	v_bfrev_b32_e32 v5, 1
	v_mov_b32_e32 v6, 0
	s_mov_b32 s7, exec_lo
	buffer_store_dword v5, off, s[0:3], s32 offset:700 ; 4-byte Folded Spill
	buffer_store_dword v6, off, s[0:3], s32 offset:704 ; 4-byte Folded Spill
	v_cmpx_ne_u16_e32 0x80, v0
	s_cbranch_execz .LBB230_513
; %bb.508:                              ;   in Loop: Header=BB230_10 Depth=1
	v_mov_b32_e32 v7, 0x7f800001
	v_bfe_u32 v6, v4, 16, 7
	v_mov_b32_e32 v8, 0
	s_mov_b32 s17, exec_lo
	buffer_store_dword v7, off, s[0:3], s32 offset:700 ; 4-byte Folded Spill
	buffer_store_dword v8, off, s[0:3], s32 offset:704 ; 4-byte Folded Spill
	v_cmpx_ne_u32_e32 0x7f, v6
	s_cbranch_execz .LBB230_512
; %bb.509:                              ;   in Loop: Header=BB230_10 Depth=1
	v_mov_b32_e32 v0, 7
	v_lshrrev_b32_e32 v5, 3, v6
	s_mov_b32 s18, exec_lo
	v_and_b32_sdwa v26, v4, v0 dst_sel:DWORD dst_unused:UNUSED_PAD src0_sel:WORD_1 src1_sel:DWORD
	v_cmpx_gt_u32_e32 8, v6
; %bb.510:                              ;   in Loop: Header=BB230_10 Depth=1
	v_ffbh_u32_e32 v5, v26
	v_min_u32_e32 v5, 32, v5
	v_subrev_nc_u32_e32 v6, 28, v5
	v_sub_nc_u32_e32 v5, 29, v5
	v_lshlrev_b64 v[6:7], v6, v[26:27]
	v_and_b32_e32 v26, 7, v6
; %bb.511:                              ;   in Loop: Header=BB230_10 Depth=1
	s_or_b32 exec_lo, exec_lo, s18
	v_mov_b32_e32 v0, 24
	v_lshl_add_u32 v5, v5, 23, 0x3c000000
	v_lshlrev_b32_sdwa v6, v0, v4 dst_sel:DWORD dst_unused:UNUSED_PAD src0_sel:DWORD src1_sel:WORD_1
	v_lshlrev_b32_e32 v0, 20, v26
	v_and_b32_e32 v6, 0x80000000, v6
	v_or3_b32 v26, v0, v6, v5
	buffer_store_dword v26, off, s[0:3], s32 offset:700 ; 4-byte Folded Spill
	buffer_store_dword v27, off, s[0:3], s32 offset:704 ; 4-byte Folded Spill
.LBB230_512:                            ;   in Loop: Header=BB230_10 Depth=1
	s_or_b32 exec_lo, exec_lo, s17
.LBB230_513:                            ;   in Loop: Header=BB230_10 Depth=1
	s_or_b32 exec_lo, exec_lo, s7
.LBB230_514:                            ;   in Loop: Header=BB230_10 Depth=1
	s_or_b32 exec_lo, exec_lo, s6
	s_mov_b32 s6, exec_lo
	v_cmpx_lt_u32_e32 0xffffff, v4
	s_cbranch_execz .LBB230_522
; %bb.515:                              ;   in Loop: Header=BB230_10 Depth=1
	v_mov_b32_e32 v0, 0x80
	v_mov_b32_e32 v76, v27
	buffer_store_dword v76, off, s[0:3], s32 offset:692 ; 4-byte Folded Spill
	buffer_store_dword v77, off, s[0:3], s32 offset:696 ; 4-byte Folded Spill
	v_cmp_ne_u32_sdwa s5, v4, v0 src0_sel:BYTE_3 src1_sel:DWORD
	s_and_saveexec_b32 s7, s5
	s_cbranch_execz .LBB230_521
; %bb.516:                              ;   in Loop: Header=BB230_10 Depth=1
	v_bfe_u32 v6, v4, 24, 7
	v_mov_b32_e32 v106, v27
	s_mov_b32 s17, exec_lo
	buffer_store_dword v106, off, s[0:3], s32 offset:692 ; 4-byte Folded Spill
	buffer_store_dword v107, off, s[0:3], s32 offset:696 ; 4-byte Folded Spill
	v_cmpx_ne_u32_e32 0x7f, v6
	s_cbranch_execz .LBB230_520
; %bb.517:                              ;   in Loop: Header=BB230_10 Depth=1
	v_mov_b32_e32 v0, 7
	v_lshrrev_b32_e32 v5, 3, v6
	s_mov_b32 s18, exec_lo
	v_and_b32_sdwa v26, v4, v0 dst_sel:DWORD dst_unused:UNUSED_PAD src0_sel:BYTE_3 src1_sel:DWORD
	v_cmpx_gt_u32_e32 8, v6
; %bb.518:                              ;   in Loop: Header=BB230_10 Depth=1
	v_ffbh_u32_e32 v5, v26
	v_min_u32_e32 v5, 32, v5
	v_subrev_nc_u32_e32 v6, 28, v5
	v_sub_nc_u32_e32 v5, 29, v5
	v_lshlrev_b64 v[6:7], v6, v[26:27]
	v_and_b32_e32 v26, 7, v6
; %bb.519:                              ;   in Loop: Header=BB230_10 Depth=1
	s_or_b32 exec_lo, exec_lo, s18
	v_mov_b32_e32 v0, 24
	v_lshl_add_u32 v5, v5, 23, 0x3c000000
	v_lshlrev_b32_sdwa v4, v0, v4 dst_sel:DWORD dst_unused:UNUSED_PAD src0_sel:DWORD src1_sel:BYTE_3
	v_lshlrev_b32_e32 v0, 20, v26
	v_and_b32_e32 v4, 0x80000000, v4
	v_or3_b32 v5, v0, v4, v5
	v_mov_b32_e32 v4, v27
	buffer_store_dword v4, off, s[0:3], s32 offset:692 ; 4-byte Folded Spill
	buffer_store_dword v5, off, s[0:3], s32 offset:696 ; 4-byte Folded Spill
.LBB230_520:                            ;   in Loop: Header=BB230_10 Depth=1
	s_or_b32 exec_lo, exec_lo, s17
.LBB230_521:                            ;   in Loop: Header=BB230_10 Depth=1
	s_or_b32 exec_lo, exec_lo, s7
.LBB230_522:                            ;   in Loop: Header=BB230_10 Depth=1
	s_or_b32 exec_lo, exec_lo, s6
	v_add_co_u32 v4, s5, 0x800, v2
	v_add_co_ci_u32_e64 v5, null, 0, v3, s5
	v_mov_b32_e32 v7, 0
	v_mov_b32_e32 v8, 0
	flat_load_dword v6, v[4:5]
	buffer_store_dword v7, off, s[0:3], s32 offset:716 ; 4-byte Folded Spill
	buffer_store_dword v8, off, s[0:3], s32 offset:720 ; 4-byte Folded Spill
	v_mov_b32_e32 v7, 0
	v_mov_b32_e32 v8, 0
	buffer_store_dword v7, off, s[0:3], s32 offset:708 ; 4-byte Folded Spill
	buffer_store_dword v8, off, s[0:3], s32 offset:712 ; 4-byte Folded Spill
	s_waitcnt vmcnt(0) lgkmcnt(0)
	v_cmp_ne_u16_sdwa s5, v6, v27 src0_sel:BYTE_0 src1_sel:DWORD
	s_and_saveexec_b32 s6, s5
	s_cbranch_execz .LBB230_530
; %bb.523:                              ;   in Loop: Header=BB230_10 Depth=1
	v_mov_b32_e32 v0, 0x80
	v_bfrev_b32_e32 v7, 1
	v_mov_b32_e32 v8, 0
	buffer_store_dword v7, off, s[0:3], s32 offset:708 ; 4-byte Folded Spill
	buffer_store_dword v8, off, s[0:3], s32 offset:712 ; 4-byte Folded Spill
	v_cmp_ne_u16_sdwa s5, v6, v0 src0_sel:BYTE_0 src1_sel:DWORD
	s_and_saveexec_b32 s7, s5
	s_cbranch_execz .LBB230_529
; %bb.524:                              ;   in Loop: Header=BB230_10 Depth=1
	v_mov_b32_e32 v9, 0x7f800001
	v_and_b32_e32 v8, 0x7f, v6
	v_mov_b32_e32 v10, 0
	s_mov_b32 s17, exec_lo
	buffer_store_dword v9, off, s[0:3], s32 offset:708 ; 4-byte Folded Spill
	buffer_store_dword v10, off, s[0:3], s32 offset:712 ; 4-byte Folded Spill
	v_cmpx_ne_u32_e32 0x7f, v8
	s_cbranch_execz .LBB230_528
; %bb.525:                              ;   in Loop: Header=BB230_10 Depth=1
	v_and_b32_e32 v26, 7, v6
	v_lshrrev_b32_e32 v7, 3, v8
	s_mov_b32 s18, exec_lo
	v_cmpx_gt_u32_e32 8, v8
; %bb.526:                              ;   in Loop: Header=BB230_10 Depth=1
	v_ffbh_u32_e32 v7, v26
	v_min_u32_e32 v7, 32, v7
	v_subrev_nc_u32_e32 v8, 28, v7
	v_sub_nc_u32_e32 v7, 29, v7
	v_lshlrev_b64 v[8:9], v8, v[26:27]
	v_and_b32_e32 v26, 7, v8
; %bb.527:                              ;   in Loop: Header=BB230_10 Depth=1
	s_or_b32 exec_lo, exec_lo, s18
	v_lshlrev_b32_e32 v8, 24, v6
	v_lshlrev_b32_e32 v0, 20, v26
	v_lshl_add_u32 v7, v7, 23, 0x3c000000
	v_and_b32_e32 v8, 0x80000000, v8
	v_or3_b32 v26, v0, v8, v7
	buffer_store_dword v26, off, s[0:3], s32 offset:708 ; 4-byte Folded Spill
	buffer_store_dword v27, off, s[0:3], s32 offset:712 ; 4-byte Folded Spill
.LBB230_528:                            ;   in Loop: Header=BB230_10 Depth=1
	s_or_b32 exec_lo, exec_lo, s17
.LBB230_529:                            ;   in Loop: Header=BB230_10 Depth=1
	s_or_b32 exec_lo, exec_lo, s7
.LBB230_530:                            ;   in Loop: Header=BB230_10 Depth=1
	s_or_b32 exec_lo, exec_lo, s6
	v_cmp_ne_u16_sdwa s5, v6, v27 src0_sel:BYTE_1 src1_sel:DWORD
	s_and_saveexec_b32 s6, s5
	s_cbranch_execz .LBB230_538
; %bb.531:                              ;   in Loop: Header=BB230_10 Depth=1
	v_mov_b32_e32 v0, 0x80
	v_mov_b32_e32 v76, v27
	buffer_store_dword v76, off, s[0:3], s32 offset:716 ; 4-byte Folded Spill
	buffer_store_dword v77, off, s[0:3], s32 offset:720 ; 4-byte Folded Spill
	v_cmp_ne_u16_sdwa s5, v6, v0 src0_sel:BYTE_1 src1_sel:DWORD
	s_and_saveexec_b32 s7, s5
	s_cbranch_execz .LBB230_537
; %bb.532:                              ;   in Loop: Header=BB230_10 Depth=1
	v_mov_b32_e32 v0, 0xffff
	v_mov_b32_e32 v106, v27
	s_mov_b32 s17, exec_lo
	buffer_store_dword v106, off, s[0:3], s32 offset:716 ; 4-byte Folded Spill
	buffer_store_dword v107, off, s[0:3], s32 offset:720 ; 4-byte Folded Spill
	v_and_b32_sdwa v0, v0, v6 dst_sel:DWORD dst_unused:UNUSED_PAD src0_sel:DWORD src1_sel:BYTE_1
	v_and_b32_e32 v8, 0x7f, v0
	v_cmpx_ne_u32_e32 0x7f, v8
	s_cbranch_execz .LBB230_536
; %bb.533:                              ;   in Loop: Header=BB230_10 Depth=1
	v_and_b32_e32 v26, 7, v0
	v_lshrrev_b32_e32 v7, 3, v8
	s_mov_b32 s18, exec_lo
	v_cmpx_gt_u32_e32 8, v8
; %bb.534:                              ;   in Loop: Header=BB230_10 Depth=1
	v_ffbh_u32_e32 v7, v26
	v_min_u32_e32 v7, 32, v7
	v_subrev_nc_u32_e32 v8, 28, v7
	v_sub_nc_u32_e32 v7, 29, v7
	v_lshlrev_b64 v[8:9], v8, v[26:27]
	v_and_b32_e32 v26, 7, v8
; %bb.535:                              ;   in Loop: Header=BB230_10 Depth=1
	s_or_b32 exec_lo, exec_lo, s18
	v_lshlrev_b32_e32 v8, 16, v6
	v_lshlrev_b32_e32 v0, 20, v26
	v_lshl_add_u32 v7, v7, 23, 0x3c000000
	v_and_b32_e32 v8, 0x80000000, v8
	v_or3_b32 v8, v0, v8, v7
	v_mov_b32_e32 v7, v27
	buffer_store_dword v7, off, s[0:3], s32 offset:716 ; 4-byte Folded Spill
	buffer_store_dword v8, off, s[0:3], s32 offset:720 ; 4-byte Folded Spill
.LBB230_536:                            ;   in Loop: Header=BB230_10 Depth=1
	s_or_b32 exec_lo, exec_lo, s17
.LBB230_537:                            ;   in Loop: Header=BB230_10 Depth=1
	s_or_b32 exec_lo, exec_lo, s7
.LBB230_538:                            ;   in Loop: Header=BB230_10 Depth=1
	s_or_b32 exec_lo, exec_lo, s6
	v_mov_b32_e32 v7, 0
	v_mov_b32_e32 v8, 0
	;; [unrolled: 1-line block ×3, first 2 shown]
	s_mov_b32 s6, exec_lo
	buffer_store_dword v7, off, s[0:3], s32 offset:724 ; 4-byte Folded Spill
	buffer_store_dword v8, off, s[0:3], s32 offset:728 ; 4-byte Folded Spill
	v_mov_b32_e32 v7, 0
	v_and_b32_sdwa v0, v6, v0 dst_sel:DWORD dst_unused:UNUSED_PAD src0_sel:WORD_1 src1_sel:DWORD
	v_mov_b32_e32 v8, 0
	buffer_store_dword v7, off, s[0:3], s32 offset:732 ; 4-byte Folded Spill
	buffer_store_dword v8, off, s[0:3], s32 offset:736 ; 4-byte Folded Spill
	v_cmpx_ne_u16_e32 0, v0
	s_cbranch_execz .LBB230_546
; %bb.539:                              ;   in Loop: Header=BB230_10 Depth=1
	v_bfrev_b32_e32 v7, 1
	v_mov_b32_e32 v8, 0
	s_mov_b32 s7, exec_lo
	buffer_store_dword v7, off, s[0:3], s32 offset:732 ; 4-byte Folded Spill
	buffer_store_dword v8, off, s[0:3], s32 offset:736 ; 4-byte Folded Spill
	v_cmpx_ne_u16_e32 0x80, v0
	s_cbranch_execz .LBB230_545
; %bb.540:                              ;   in Loop: Header=BB230_10 Depth=1
	v_mov_b32_e32 v9, 0x7f800001
	v_bfe_u32 v8, v6, 16, 7
	v_mov_b32_e32 v10, 0
	s_mov_b32 s17, exec_lo
	buffer_store_dword v9, off, s[0:3], s32 offset:732 ; 4-byte Folded Spill
	buffer_store_dword v10, off, s[0:3], s32 offset:736 ; 4-byte Folded Spill
	v_cmpx_ne_u32_e32 0x7f, v8
	s_cbranch_execz .LBB230_544
; %bb.541:                              ;   in Loop: Header=BB230_10 Depth=1
	v_mov_b32_e32 v0, 7
	v_lshrrev_b32_e32 v7, 3, v8
	s_mov_b32 s18, exec_lo
	v_and_b32_sdwa v26, v6, v0 dst_sel:DWORD dst_unused:UNUSED_PAD src0_sel:WORD_1 src1_sel:DWORD
	v_cmpx_gt_u32_e32 8, v8
; %bb.542:                              ;   in Loop: Header=BB230_10 Depth=1
	v_ffbh_u32_e32 v7, v26
	v_min_u32_e32 v7, 32, v7
	v_subrev_nc_u32_e32 v8, 28, v7
	v_sub_nc_u32_e32 v7, 29, v7
	v_lshlrev_b64 v[8:9], v8, v[26:27]
	v_and_b32_e32 v26, 7, v8
; %bb.543:                              ;   in Loop: Header=BB230_10 Depth=1
	s_or_b32 exec_lo, exec_lo, s18
	v_mov_b32_e32 v0, 24
	v_lshl_add_u32 v7, v7, 23, 0x3c000000
	v_lshlrev_b32_sdwa v8, v0, v6 dst_sel:DWORD dst_unused:UNUSED_PAD src0_sel:DWORD src1_sel:WORD_1
	v_lshlrev_b32_e32 v0, 20, v26
	v_and_b32_e32 v8, 0x80000000, v8
	v_or3_b32 v26, v0, v8, v7
	buffer_store_dword v26, off, s[0:3], s32 offset:732 ; 4-byte Folded Spill
	buffer_store_dword v27, off, s[0:3], s32 offset:736 ; 4-byte Folded Spill
.LBB230_544:                            ;   in Loop: Header=BB230_10 Depth=1
	s_or_b32 exec_lo, exec_lo, s17
.LBB230_545:                            ;   in Loop: Header=BB230_10 Depth=1
	s_or_b32 exec_lo, exec_lo, s7
.LBB230_546:                            ;   in Loop: Header=BB230_10 Depth=1
	s_or_b32 exec_lo, exec_lo, s6
	s_mov_b32 s6, exec_lo
	v_cmpx_lt_u32_e32 0xffffff, v6
	s_cbranch_execz .LBB230_554
; %bb.547:                              ;   in Loop: Header=BB230_10 Depth=1
	v_mov_b32_e32 v0, 0x80
	v_mov_b32_e32 v76, v27
	buffer_store_dword v76, off, s[0:3], s32 offset:724 ; 4-byte Folded Spill
	buffer_store_dword v77, off, s[0:3], s32 offset:728 ; 4-byte Folded Spill
	v_cmp_ne_u32_sdwa s5, v6, v0 src0_sel:BYTE_3 src1_sel:DWORD
	s_and_saveexec_b32 s7, s5
	s_cbranch_execz .LBB230_553
; %bb.548:                              ;   in Loop: Header=BB230_10 Depth=1
	v_bfe_u32 v8, v6, 24, 7
	v_mov_b32_e32 v106, v27
	s_mov_b32 s17, exec_lo
	buffer_store_dword v106, off, s[0:3], s32 offset:724 ; 4-byte Folded Spill
	buffer_store_dword v107, off, s[0:3], s32 offset:728 ; 4-byte Folded Spill
	v_cmpx_ne_u32_e32 0x7f, v8
	s_cbranch_execz .LBB230_552
; %bb.549:                              ;   in Loop: Header=BB230_10 Depth=1
	v_mov_b32_e32 v0, 7
	v_lshrrev_b32_e32 v7, 3, v8
	s_mov_b32 s18, exec_lo
	v_and_b32_sdwa v26, v6, v0 dst_sel:DWORD dst_unused:UNUSED_PAD src0_sel:BYTE_3 src1_sel:DWORD
	v_cmpx_gt_u32_e32 8, v8
; %bb.550:                              ;   in Loop: Header=BB230_10 Depth=1
	v_ffbh_u32_e32 v7, v26
	v_min_u32_e32 v7, 32, v7
	v_subrev_nc_u32_e32 v8, 28, v7
	v_sub_nc_u32_e32 v7, 29, v7
	v_lshlrev_b64 v[8:9], v8, v[26:27]
	v_and_b32_e32 v26, 7, v8
; %bb.551:                              ;   in Loop: Header=BB230_10 Depth=1
	s_or_b32 exec_lo, exec_lo, s18
	v_mov_b32_e32 v0, 24
	v_lshl_add_u32 v7, v7, 23, 0x3c000000
	v_lshlrev_b32_sdwa v6, v0, v6 dst_sel:DWORD dst_unused:UNUSED_PAD src0_sel:DWORD src1_sel:BYTE_3
	v_lshlrev_b32_e32 v0, 20, v26
	v_and_b32_e32 v6, 0x80000000, v6
	v_or3_b32 v7, v0, v6, v7
	v_mov_b32_e32 v6, v27
	buffer_store_dword v6, off, s[0:3], s32 offset:724 ; 4-byte Folded Spill
	buffer_store_dword v7, off, s[0:3], s32 offset:728 ; 4-byte Folded Spill
.LBB230_552:                            ;   in Loop: Header=BB230_10 Depth=1
	s_or_b32 exec_lo, exec_lo, s17
.LBB230_553:                            ;   in Loop: Header=BB230_10 Depth=1
	s_or_b32 exec_lo, exec_lo, s7
.LBB230_554:                            ;   in Loop: Header=BB230_10 Depth=1
	s_or_b32 exec_lo, exec_lo, s6
	flat_load_dword v6, v[4:5] offset:4
	v_mov_b32_e32 v7, 0
	v_mov_b32_e32 v8, 0
	buffer_store_dword v7, off, s[0:3], s32 offset:748 ; 4-byte Folded Spill
	buffer_store_dword v8, off, s[0:3], s32 offset:752 ; 4-byte Folded Spill
	v_mov_b32_e32 v7, 0
	v_mov_b32_e32 v8, 0
	buffer_store_dword v7, off, s[0:3], s32 offset:740 ; 4-byte Folded Spill
	buffer_store_dword v8, off, s[0:3], s32 offset:744 ; 4-byte Folded Spill
	s_waitcnt vmcnt(0) lgkmcnt(0)
	v_cmp_ne_u16_sdwa s5, v6, v27 src0_sel:BYTE_0 src1_sel:DWORD
	s_and_saveexec_b32 s6, s5
	s_cbranch_execz .LBB230_562
; %bb.555:                              ;   in Loop: Header=BB230_10 Depth=1
	v_mov_b32_e32 v0, 0x80
	v_bfrev_b32_e32 v7, 1
	v_mov_b32_e32 v8, 0
	buffer_store_dword v7, off, s[0:3], s32 offset:740 ; 4-byte Folded Spill
	buffer_store_dword v8, off, s[0:3], s32 offset:744 ; 4-byte Folded Spill
	v_cmp_ne_u16_sdwa s5, v6, v0 src0_sel:BYTE_0 src1_sel:DWORD
	s_and_saveexec_b32 s7, s5
	s_cbranch_execz .LBB230_561
; %bb.556:                              ;   in Loop: Header=BB230_10 Depth=1
	v_mov_b32_e32 v9, 0x7f800001
	v_and_b32_e32 v8, 0x7f, v6
	v_mov_b32_e32 v10, 0
	s_mov_b32 s17, exec_lo
	buffer_store_dword v9, off, s[0:3], s32 offset:740 ; 4-byte Folded Spill
	buffer_store_dword v10, off, s[0:3], s32 offset:744 ; 4-byte Folded Spill
	v_cmpx_ne_u32_e32 0x7f, v8
	s_cbranch_execz .LBB230_560
; %bb.557:                              ;   in Loop: Header=BB230_10 Depth=1
	v_and_b32_e32 v26, 7, v6
	v_lshrrev_b32_e32 v7, 3, v8
	s_mov_b32 s18, exec_lo
	v_cmpx_gt_u32_e32 8, v8
; %bb.558:                              ;   in Loop: Header=BB230_10 Depth=1
	v_ffbh_u32_e32 v7, v26
	v_min_u32_e32 v7, 32, v7
	v_subrev_nc_u32_e32 v8, 28, v7
	v_sub_nc_u32_e32 v7, 29, v7
	v_lshlrev_b64 v[8:9], v8, v[26:27]
	v_and_b32_e32 v26, 7, v8
; %bb.559:                              ;   in Loop: Header=BB230_10 Depth=1
	s_or_b32 exec_lo, exec_lo, s18
	v_lshlrev_b32_e32 v8, 24, v6
	v_lshlrev_b32_e32 v0, 20, v26
	v_lshl_add_u32 v7, v7, 23, 0x3c000000
	v_and_b32_e32 v8, 0x80000000, v8
	v_or3_b32 v26, v0, v8, v7
	buffer_store_dword v26, off, s[0:3], s32 offset:740 ; 4-byte Folded Spill
	buffer_store_dword v27, off, s[0:3], s32 offset:744 ; 4-byte Folded Spill
.LBB230_560:                            ;   in Loop: Header=BB230_10 Depth=1
	s_or_b32 exec_lo, exec_lo, s17
.LBB230_561:                            ;   in Loop: Header=BB230_10 Depth=1
	s_or_b32 exec_lo, exec_lo, s7
.LBB230_562:                            ;   in Loop: Header=BB230_10 Depth=1
	s_or_b32 exec_lo, exec_lo, s6
	v_cmp_ne_u16_sdwa s5, v6, v27 src0_sel:BYTE_1 src1_sel:DWORD
	s_and_saveexec_b32 s6, s5
	s_cbranch_execz .LBB230_570
; %bb.563:                              ;   in Loop: Header=BB230_10 Depth=1
	v_mov_b32_e32 v0, 0x80
	v_mov_b32_e32 v76, v27
	buffer_store_dword v76, off, s[0:3], s32 offset:748 ; 4-byte Folded Spill
	buffer_store_dword v77, off, s[0:3], s32 offset:752 ; 4-byte Folded Spill
	v_cmp_ne_u16_sdwa s5, v6, v0 src0_sel:BYTE_1 src1_sel:DWORD
	s_and_saveexec_b32 s7, s5
	s_cbranch_execz .LBB230_569
; %bb.564:                              ;   in Loop: Header=BB230_10 Depth=1
	v_mov_b32_e32 v0, 0xffff
	v_mov_b32_e32 v106, v27
	s_mov_b32 s17, exec_lo
	buffer_store_dword v106, off, s[0:3], s32 offset:748 ; 4-byte Folded Spill
	buffer_store_dword v107, off, s[0:3], s32 offset:752 ; 4-byte Folded Spill
	v_and_b32_sdwa v0, v0, v6 dst_sel:DWORD dst_unused:UNUSED_PAD src0_sel:DWORD src1_sel:BYTE_1
	v_and_b32_e32 v8, 0x7f, v0
	v_cmpx_ne_u32_e32 0x7f, v8
	s_cbranch_execz .LBB230_568
; %bb.565:                              ;   in Loop: Header=BB230_10 Depth=1
	v_and_b32_e32 v26, 7, v0
	v_lshrrev_b32_e32 v7, 3, v8
	s_mov_b32 s18, exec_lo
	v_cmpx_gt_u32_e32 8, v8
; %bb.566:                              ;   in Loop: Header=BB230_10 Depth=1
	v_ffbh_u32_e32 v7, v26
	v_min_u32_e32 v7, 32, v7
	v_subrev_nc_u32_e32 v8, 28, v7
	v_sub_nc_u32_e32 v7, 29, v7
	v_lshlrev_b64 v[8:9], v8, v[26:27]
	v_and_b32_e32 v26, 7, v8
; %bb.567:                              ;   in Loop: Header=BB230_10 Depth=1
	s_or_b32 exec_lo, exec_lo, s18
	v_lshlrev_b32_e32 v8, 16, v6
	v_lshlrev_b32_e32 v0, 20, v26
	v_lshl_add_u32 v7, v7, 23, 0x3c000000
	v_and_b32_e32 v8, 0x80000000, v8
	v_or3_b32 v8, v0, v8, v7
	v_mov_b32_e32 v7, v27
	buffer_store_dword v7, off, s[0:3], s32 offset:748 ; 4-byte Folded Spill
	buffer_store_dword v8, off, s[0:3], s32 offset:752 ; 4-byte Folded Spill
.LBB230_568:                            ;   in Loop: Header=BB230_10 Depth=1
	s_or_b32 exec_lo, exec_lo, s17
.LBB230_569:                            ;   in Loop: Header=BB230_10 Depth=1
	s_or_b32 exec_lo, exec_lo, s7
.LBB230_570:                            ;   in Loop: Header=BB230_10 Depth=1
	s_or_b32 exec_lo, exec_lo, s6
	v_mov_b32_e32 v7, 0
	v_mov_b32_e32 v8, 0
	;; [unrolled: 1-line block ×3, first 2 shown]
	s_mov_b32 s6, exec_lo
	buffer_store_dword v7, off, s[0:3], s32 offset:756 ; 4-byte Folded Spill
	buffer_store_dword v8, off, s[0:3], s32 offset:760 ; 4-byte Folded Spill
	v_mov_b32_e32 v7, 0
	v_and_b32_sdwa v0, v6, v0 dst_sel:DWORD dst_unused:UNUSED_PAD src0_sel:WORD_1 src1_sel:DWORD
	v_mov_b32_e32 v8, 0
	buffer_store_dword v7, off, s[0:3], s32 offset:764 ; 4-byte Folded Spill
	buffer_store_dword v8, off, s[0:3], s32 offset:768 ; 4-byte Folded Spill
	v_cmpx_ne_u16_e32 0, v0
	s_cbranch_execz .LBB230_578
; %bb.571:                              ;   in Loop: Header=BB230_10 Depth=1
	v_bfrev_b32_e32 v7, 1
	v_mov_b32_e32 v8, 0
	s_mov_b32 s7, exec_lo
	buffer_store_dword v7, off, s[0:3], s32 offset:764 ; 4-byte Folded Spill
	buffer_store_dword v8, off, s[0:3], s32 offset:768 ; 4-byte Folded Spill
	v_cmpx_ne_u16_e32 0x80, v0
	s_cbranch_execz .LBB230_577
; %bb.572:                              ;   in Loop: Header=BB230_10 Depth=1
	v_mov_b32_e32 v9, 0x7f800001
	v_bfe_u32 v8, v6, 16, 7
	v_mov_b32_e32 v10, 0
	s_mov_b32 s17, exec_lo
	buffer_store_dword v9, off, s[0:3], s32 offset:764 ; 4-byte Folded Spill
	buffer_store_dword v10, off, s[0:3], s32 offset:768 ; 4-byte Folded Spill
	v_cmpx_ne_u32_e32 0x7f, v8
	s_cbranch_execz .LBB230_576
; %bb.573:                              ;   in Loop: Header=BB230_10 Depth=1
	v_mov_b32_e32 v0, 7
	v_lshrrev_b32_e32 v7, 3, v8
	s_mov_b32 s18, exec_lo
	v_and_b32_sdwa v26, v6, v0 dst_sel:DWORD dst_unused:UNUSED_PAD src0_sel:WORD_1 src1_sel:DWORD
	v_cmpx_gt_u32_e32 8, v8
; %bb.574:                              ;   in Loop: Header=BB230_10 Depth=1
	v_ffbh_u32_e32 v7, v26
	v_min_u32_e32 v7, 32, v7
	v_subrev_nc_u32_e32 v8, 28, v7
	v_sub_nc_u32_e32 v7, 29, v7
	v_lshlrev_b64 v[8:9], v8, v[26:27]
	v_and_b32_e32 v26, 7, v8
; %bb.575:                              ;   in Loop: Header=BB230_10 Depth=1
	s_or_b32 exec_lo, exec_lo, s18
	v_mov_b32_e32 v0, 24
	v_lshl_add_u32 v7, v7, 23, 0x3c000000
	v_lshlrev_b32_sdwa v8, v0, v6 dst_sel:DWORD dst_unused:UNUSED_PAD src0_sel:DWORD src1_sel:WORD_1
	v_lshlrev_b32_e32 v0, 20, v26
	v_and_b32_e32 v8, 0x80000000, v8
	v_or3_b32 v26, v0, v8, v7
	buffer_store_dword v26, off, s[0:3], s32 offset:764 ; 4-byte Folded Spill
	buffer_store_dword v27, off, s[0:3], s32 offset:768 ; 4-byte Folded Spill
.LBB230_576:                            ;   in Loop: Header=BB230_10 Depth=1
	s_or_b32 exec_lo, exec_lo, s17
.LBB230_577:                            ;   in Loop: Header=BB230_10 Depth=1
	s_or_b32 exec_lo, exec_lo, s7
.LBB230_578:                            ;   in Loop: Header=BB230_10 Depth=1
	s_or_b32 exec_lo, exec_lo, s6
	s_mov_b32 s6, exec_lo
	v_cmpx_lt_u32_e32 0xffffff, v6
	s_cbranch_execz .LBB230_586
; %bb.579:                              ;   in Loop: Header=BB230_10 Depth=1
	v_mov_b32_e32 v0, 0x80
	v_mov_b32_e32 v76, v27
	buffer_store_dword v76, off, s[0:3], s32 offset:756 ; 4-byte Folded Spill
	buffer_store_dword v77, off, s[0:3], s32 offset:760 ; 4-byte Folded Spill
	v_cmp_ne_u32_sdwa s5, v6, v0 src0_sel:BYTE_3 src1_sel:DWORD
	s_and_saveexec_b32 s7, s5
	s_cbranch_execz .LBB230_585
; %bb.580:                              ;   in Loop: Header=BB230_10 Depth=1
	v_bfe_u32 v8, v6, 24, 7
	v_mov_b32_e32 v106, v27
	s_mov_b32 s17, exec_lo
	buffer_store_dword v106, off, s[0:3], s32 offset:756 ; 4-byte Folded Spill
	buffer_store_dword v107, off, s[0:3], s32 offset:760 ; 4-byte Folded Spill
	v_cmpx_ne_u32_e32 0x7f, v8
	s_cbranch_execz .LBB230_584
; %bb.581:                              ;   in Loop: Header=BB230_10 Depth=1
	v_mov_b32_e32 v0, 7
	v_lshrrev_b32_e32 v7, 3, v8
	s_mov_b32 s18, exec_lo
	v_and_b32_sdwa v26, v6, v0 dst_sel:DWORD dst_unused:UNUSED_PAD src0_sel:BYTE_3 src1_sel:DWORD
	v_cmpx_gt_u32_e32 8, v8
; %bb.582:                              ;   in Loop: Header=BB230_10 Depth=1
	v_ffbh_u32_e32 v7, v26
	v_min_u32_e32 v7, 32, v7
	v_subrev_nc_u32_e32 v8, 28, v7
	v_sub_nc_u32_e32 v7, 29, v7
	v_lshlrev_b64 v[8:9], v8, v[26:27]
	v_and_b32_e32 v26, 7, v8
; %bb.583:                              ;   in Loop: Header=BB230_10 Depth=1
	s_or_b32 exec_lo, exec_lo, s18
	v_mov_b32_e32 v0, 24
	v_lshl_add_u32 v7, v7, 23, 0x3c000000
	v_lshlrev_b32_sdwa v6, v0, v6 dst_sel:DWORD dst_unused:UNUSED_PAD src0_sel:DWORD src1_sel:BYTE_3
	v_lshlrev_b32_e32 v0, 20, v26
	v_and_b32_e32 v6, 0x80000000, v6
	v_or3_b32 v7, v0, v6, v7
	v_mov_b32_e32 v6, v27
	buffer_store_dword v6, off, s[0:3], s32 offset:756 ; 4-byte Folded Spill
	buffer_store_dword v7, off, s[0:3], s32 offset:760 ; 4-byte Folded Spill
.LBB230_584:                            ;   in Loop: Header=BB230_10 Depth=1
	s_or_b32 exec_lo, exec_lo, s17
.LBB230_585:                            ;   in Loop: Header=BB230_10 Depth=1
	s_or_b32 exec_lo, exec_lo, s7
.LBB230_586:                            ;   in Loop: Header=BB230_10 Depth=1
	s_or_b32 exec_lo, exec_lo, s6
	flat_load_dword v6, v[4:5] offset:8
	v_mov_b32_e32 v7, 0
	v_mov_b32_e32 v8, 0
	buffer_store_dword v7, off, s[0:3], s32 offset:780 ; 4-byte Folded Spill
	buffer_store_dword v8, off, s[0:3], s32 offset:784 ; 4-byte Folded Spill
	v_mov_b32_e32 v7, 0
	v_mov_b32_e32 v8, 0
	buffer_store_dword v7, off, s[0:3], s32 offset:772 ; 4-byte Folded Spill
	buffer_store_dword v8, off, s[0:3], s32 offset:776 ; 4-byte Folded Spill
	s_waitcnt vmcnt(0) lgkmcnt(0)
	v_cmp_ne_u16_sdwa s5, v6, v27 src0_sel:BYTE_0 src1_sel:DWORD
	s_and_saveexec_b32 s6, s5
	s_cbranch_execz .LBB230_594
; %bb.587:                              ;   in Loop: Header=BB230_10 Depth=1
	v_mov_b32_e32 v0, 0x80
	v_bfrev_b32_e32 v7, 1
	v_mov_b32_e32 v8, 0
	buffer_store_dword v7, off, s[0:3], s32 offset:772 ; 4-byte Folded Spill
	buffer_store_dword v8, off, s[0:3], s32 offset:776 ; 4-byte Folded Spill
	v_cmp_ne_u16_sdwa s5, v6, v0 src0_sel:BYTE_0 src1_sel:DWORD
	s_and_saveexec_b32 s7, s5
	s_cbranch_execz .LBB230_593
; %bb.588:                              ;   in Loop: Header=BB230_10 Depth=1
	v_mov_b32_e32 v9, 0x7f800001
	v_and_b32_e32 v8, 0x7f, v6
	v_mov_b32_e32 v10, 0
	s_mov_b32 s17, exec_lo
	buffer_store_dword v9, off, s[0:3], s32 offset:772 ; 4-byte Folded Spill
	buffer_store_dword v10, off, s[0:3], s32 offset:776 ; 4-byte Folded Spill
	v_cmpx_ne_u32_e32 0x7f, v8
	s_cbranch_execz .LBB230_592
; %bb.589:                              ;   in Loop: Header=BB230_10 Depth=1
	v_and_b32_e32 v26, 7, v6
	v_lshrrev_b32_e32 v7, 3, v8
	s_mov_b32 s18, exec_lo
	v_cmpx_gt_u32_e32 8, v8
; %bb.590:                              ;   in Loop: Header=BB230_10 Depth=1
	v_ffbh_u32_e32 v7, v26
	v_min_u32_e32 v7, 32, v7
	v_subrev_nc_u32_e32 v8, 28, v7
	v_sub_nc_u32_e32 v7, 29, v7
	v_lshlrev_b64 v[8:9], v8, v[26:27]
	v_and_b32_e32 v26, 7, v8
; %bb.591:                              ;   in Loop: Header=BB230_10 Depth=1
	s_or_b32 exec_lo, exec_lo, s18
	v_lshlrev_b32_e32 v8, 24, v6
	v_lshlrev_b32_e32 v0, 20, v26
	v_lshl_add_u32 v7, v7, 23, 0x3c000000
	v_and_b32_e32 v8, 0x80000000, v8
	v_or3_b32 v26, v0, v8, v7
	buffer_store_dword v26, off, s[0:3], s32 offset:772 ; 4-byte Folded Spill
	buffer_store_dword v27, off, s[0:3], s32 offset:776 ; 4-byte Folded Spill
.LBB230_592:                            ;   in Loop: Header=BB230_10 Depth=1
	s_or_b32 exec_lo, exec_lo, s17
.LBB230_593:                            ;   in Loop: Header=BB230_10 Depth=1
	s_or_b32 exec_lo, exec_lo, s7
.LBB230_594:                            ;   in Loop: Header=BB230_10 Depth=1
	s_or_b32 exec_lo, exec_lo, s6
	v_cmp_ne_u16_sdwa s5, v6, v27 src0_sel:BYTE_1 src1_sel:DWORD
	s_and_saveexec_b32 s6, s5
	s_cbranch_execz .LBB230_602
; %bb.595:                              ;   in Loop: Header=BB230_10 Depth=1
	v_mov_b32_e32 v0, 0x80
	v_mov_b32_e32 v76, v27
	buffer_store_dword v76, off, s[0:3], s32 offset:780 ; 4-byte Folded Spill
	buffer_store_dword v77, off, s[0:3], s32 offset:784 ; 4-byte Folded Spill
	v_cmp_ne_u16_sdwa s5, v6, v0 src0_sel:BYTE_1 src1_sel:DWORD
	s_and_saveexec_b32 s7, s5
	s_cbranch_execz .LBB230_601
; %bb.596:                              ;   in Loop: Header=BB230_10 Depth=1
	v_mov_b32_e32 v0, 0xffff
	v_mov_b32_e32 v106, v27
	s_mov_b32 s17, exec_lo
	buffer_store_dword v106, off, s[0:3], s32 offset:780 ; 4-byte Folded Spill
	buffer_store_dword v107, off, s[0:3], s32 offset:784 ; 4-byte Folded Spill
	v_and_b32_sdwa v0, v0, v6 dst_sel:DWORD dst_unused:UNUSED_PAD src0_sel:DWORD src1_sel:BYTE_1
	v_and_b32_e32 v8, 0x7f, v0
	v_cmpx_ne_u32_e32 0x7f, v8
	s_cbranch_execz .LBB230_600
; %bb.597:                              ;   in Loop: Header=BB230_10 Depth=1
	v_and_b32_e32 v26, 7, v0
	v_lshrrev_b32_e32 v7, 3, v8
	s_mov_b32 s18, exec_lo
	v_cmpx_gt_u32_e32 8, v8
; %bb.598:                              ;   in Loop: Header=BB230_10 Depth=1
	v_ffbh_u32_e32 v7, v26
	v_min_u32_e32 v7, 32, v7
	v_subrev_nc_u32_e32 v8, 28, v7
	v_sub_nc_u32_e32 v7, 29, v7
	v_lshlrev_b64 v[8:9], v8, v[26:27]
	v_and_b32_e32 v26, 7, v8
; %bb.599:                              ;   in Loop: Header=BB230_10 Depth=1
	s_or_b32 exec_lo, exec_lo, s18
	v_lshlrev_b32_e32 v8, 16, v6
	v_lshlrev_b32_e32 v0, 20, v26
	v_lshl_add_u32 v7, v7, 23, 0x3c000000
	v_and_b32_e32 v8, 0x80000000, v8
	v_or3_b32 v8, v0, v8, v7
	v_mov_b32_e32 v7, v27
	buffer_store_dword v7, off, s[0:3], s32 offset:780 ; 4-byte Folded Spill
	buffer_store_dword v8, off, s[0:3], s32 offset:784 ; 4-byte Folded Spill
.LBB230_600:                            ;   in Loop: Header=BB230_10 Depth=1
	s_or_b32 exec_lo, exec_lo, s17
.LBB230_601:                            ;   in Loop: Header=BB230_10 Depth=1
	s_or_b32 exec_lo, exec_lo, s7
.LBB230_602:                            ;   in Loop: Header=BB230_10 Depth=1
	s_or_b32 exec_lo, exec_lo, s6
	v_mov_b32_e32 v7, 0
	v_mov_b32_e32 v8, 0
	;; [unrolled: 1-line block ×3, first 2 shown]
	s_mov_b32 s6, exec_lo
	buffer_store_dword v7, off, s[0:3], s32 offset:788 ; 4-byte Folded Spill
	buffer_store_dword v8, off, s[0:3], s32 offset:792 ; 4-byte Folded Spill
	v_mov_b32_e32 v7, 0
	v_and_b32_sdwa v0, v6, v0 dst_sel:DWORD dst_unused:UNUSED_PAD src0_sel:WORD_1 src1_sel:DWORD
	v_mov_b32_e32 v8, 0
	buffer_store_dword v7, off, s[0:3], s32 offset:796 ; 4-byte Folded Spill
	buffer_store_dword v8, off, s[0:3], s32 offset:800 ; 4-byte Folded Spill
	v_cmpx_ne_u16_e32 0, v0
	s_cbranch_execz .LBB230_610
; %bb.603:                              ;   in Loop: Header=BB230_10 Depth=1
	v_bfrev_b32_e32 v7, 1
	v_mov_b32_e32 v8, 0
	s_mov_b32 s7, exec_lo
	buffer_store_dword v7, off, s[0:3], s32 offset:796 ; 4-byte Folded Spill
	buffer_store_dword v8, off, s[0:3], s32 offset:800 ; 4-byte Folded Spill
	v_cmpx_ne_u16_e32 0x80, v0
	s_cbranch_execz .LBB230_609
; %bb.604:                              ;   in Loop: Header=BB230_10 Depth=1
	v_mov_b32_e32 v9, 0x7f800001
	v_bfe_u32 v8, v6, 16, 7
	v_mov_b32_e32 v10, 0
	s_mov_b32 s17, exec_lo
	buffer_store_dword v9, off, s[0:3], s32 offset:796 ; 4-byte Folded Spill
	buffer_store_dword v10, off, s[0:3], s32 offset:800 ; 4-byte Folded Spill
	v_cmpx_ne_u32_e32 0x7f, v8
	s_cbranch_execz .LBB230_608
; %bb.605:                              ;   in Loop: Header=BB230_10 Depth=1
	v_mov_b32_e32 v0, 7
	v_lshrrev_b32_e32 v7, 3, v8
	s_mov_b32 s18, exec_lo
	v_and_b32_sdwa v26, v6, v0 dst_sel:DWORD dst_unused:UNUSED_PAD src0_sel:WORD_1 src1_sel:DWORD
	v_cmpx_gt_u32_e32 8, v8
; %bb.606:                              ;   in Loop: Header=BB230_10 Depth=1
	v_ffbh_u32_e32 v7, v26
	v_min_u32_e32 v7, 32, v7
	v_subrev_nc_u32_e32 v8, 28, v7
	v_sub_nc_u32_e32 v7, 29, v7
	v_lshlrev_b64 v[8:9], v8, v[26:27]
	v_and_b32_e32 v26, 7, v8
; %bb.607:                              ;   in Loop: Header=BB230_10 Depth=1
	s_or_b32 exec_lo, exec_lo, s18
	v_mov_b32_e32 v0, 24
	v_lshl_add_u32 v7, v7, 23, 0x3c000000
	v_lshlrev_b32_sdwa v8, v0, v6 dst_sel:DWORD dst_unused:UNUSED_PAD src0_sel:DWORD src1_sel:WORD_1
	v_lshlrev_b32_e32 v0, 20, v26
	v_and_b32_e32 v8, 0x80000000, v8
	v_or3_b32 v26, v0, v8, v7
	buffer_store_dword v26, off, s[0:3], s32 offset:796 ; 4-byte Folded Spill
	buffer_store_dword v27, off, s[0:3], s32 offset:800 ; 4-byte Folded Spill
.LBB230_608:                            ;   in Loop: Header=BB230_10 Depth=1
	s_or_b32 exec_lo, exec_lo, s17
.LBB230_609:                            ;   in Loop: Header=BB230_10 Depth=1
	s_or_b32 exec_lo, exec_lo, s7
.LBB230_610:                            ;   in Loop: Header=BB230_10 Depth=1
	s_or_b32 exec_lo, exec_lo, s6
	s_mov_b32 s6, exec_lo
	v_cmpx_lt_u32_e32 0xffffff, v6
	s_cbranch_execz .LBB230_618
; %bb.611:                              ;   in Loop: Header=BB230_10 Depth=1
	v_mov_b32_e32 v0, 0x80
	v_mov_b32_e32 v76, v27
	buffer_store_dword v76, off, s[0:3], s32 offset:788 ; 4-byte Folded Spill
	buffer_store_dword v77, off, s[0:3], s32 offset:792 ; 4-byte Folded Spill
	v_cmp_ne_u32_sdwa s5, v6, v0 src0_sel:BYTE_3 src1_sel:DWORD
	s_and_saveexec_b32 s7, s5
	s_cbranch_execz .LBB230_617
; %bb.612:                              ;   in Loop: Header=BB230_10 Depth=1
	v_bfe_u32 v8, v6, 24, 7
	v_mov_b32_e32 v106, v27
	s_mov_b32 s17, exec_lo
	buffer_store_dword v106, off, s[0:3], s32 offset:788 ; 4-byte Folded Spill
	buffer_store_dword v107, off, s[0:3], s32 offset:792 ; 4-byte Folded Spill
	v_cmpx_ne_u32_e32 0x7f, v8
	s_cbranch_execz .LBB230_616
; %bb.613:                              ;   in Loop: Header=BB230_10 Depth=1
	v_mov_b32_e32 v0, 7
	v_lshrrev_b32_e32 v7, 3, v8
	s_mov_b32 s18, exec_lo
	v_and_b32_sdwa v26, v6, v0 dst_sel:DWORD dst_unused:UNUSED_PAD src0_sel:BYTE_3 src1_sel:DWORD
	v_cmpx_gt_u32_e32 8, v8
; %bb.614:                              ;   in Loop: Header=BB230_10 Depth=1
	v_ffbh_u32_e32 v7, v26
	v_min_u32_e32 v7, 32, v7
	v_subrev_nc_u32_e32 v8, 28, v7
	v_sub_nc_u32_e32 v7, 29, v7
	v_lshlrev_b64 v[8:9], v8, v[26:27]
	v_and_b32_e32 v26, 7, v8
; %bb.615:                              ;   in Loop: Header=BB230_10 Depth=1
	s_or_b32 exec_lo, exec_lo, s18
	v_mov_b32_e32 v0, 24
	v_lshl_add_u32 v7, v7, 23, 0x3c000000
	v_lshlrev_b32_sdwa v6, v0, v6 dst_sel:DWORD dst_unused:UNUSED_PAD src0_sel:DWORD src1_sel:BYTE_3
	v_lshlrev_b32_e32 v0, 20, v26
	v_and_b32_e32 v6, 0x80000000, v6
	v_or3_b32 v7, v0, v6, v7
	v_mov_b32_e32 v6, v27
	buffer_store_dword v6, off, s[0:3], s32 offset:788 ; 4-byte Folded Spill
	buffer_store_dword v7, off, s[0:3], s32 offset:792 ; 4-byte Folded Spill
.LBB230_616:                            ;   in Loop: Header=BB230_10 Depth=1
	s_or_b32 exec_lo, exec_lo, s17
.LBB230_617:                            ;   in Loop: Header=BB230_10 Depth=1
	s_or_b32 exec_lo, exec_lo, s7
.LBB230_618:                            ;   in Loop: Header=BB230_10 Depth=1
	s_or_b32 exec_lo, exec_lo, s6
	flat_load_dword v6, v[4:5] offset:12
	v_mov_b32_e32 v7, 0
	v_mov_b32_e32 v8, 0
	buffer_store_dword v7, off, s[0:3], s32 offset:812 ; 4-byte Folded Spill
	buffer_store_dword v8, off, s[0:3], s32 offset:816 ; 4-byte Folded Spill
	v_mov_b32_e32 v7, 0
	v_mov_b32_e32 v8, 0
	buffer_store_dword v7, off, s[0:3], s32 offset:804 ; 4-byte Folded Spill
	buffer_store_dword v8, off, s[0:3], s32 offset:808 ; 4-byte Folded Spill
	s_waitcnt vmcnt(0) lgkmcnt(0)
	v_cmp_ne_u16_sdwa s5, v6, v27 src0_sel:BYTE_0 src1_sel:DWORD
	s_and_saveexec_b32 s6, s5
	s_cbranch_execz .LBB230_626
; %bb.619:                              ;   in Loop: Header=BB230_10 Depth=1
	v_mov_b32_e32 v0, 0x80
	v_bfrev_b32_e32 v7, 1
	v_mov_b32_e32 v8, 0
	buffer_store_dword v7, off, s[0:3], s32 offset:804 ; 4-byte Folded Spill
	buffer_store_dword v8, off, s[0:3], s32 offset:808 ; 4-byte Folded Spill
	v_cmp_ne_u16_sdwa s5, v6, v0 src0_sel:BYTE_0 src1_sel:DWORD
	s_and_saveexec_b32 s7, s5
	s_cbranch_execz .LBB230_625
; %bb.620:                              ;   in Loop: Header=BB230_10 Depth=1
	v_mov_b32_e32 v9, 0x7f800001
	v_and_b32_e32 v8, 0x7f, v6
	v_mov_b32_e32 v10, 0
	s_mov_b32 s17, exec_lo
	buffer_store_dword v9, off, s[0:3], s32 offset:804 ; 4-byte Folded Spill
	buffer_store_dword v10, off, s[0:3], s32 offset:808 ; 4-byte Folded Spill
	v_cmpx_ne_u32_e32 0x7f, v8
	s_cbranch_execz .LBB230_624
; %bb.621:                              ;   in Loop: Header=BB230_10 Depth=1
	v_and_b32_e32 v26, 7, v6
	v_lshrrev_b32_e32 v7, 3, v8
	s_mov_b32 s18, exec_lo
	v_cmpx_gt_u32_e32 8, v8
; %bb.622:                              ;   in Loop: Header=BB230_10 Depth=1
	v_ffbh_u32_e32 v7, v26
	v_min_u32_e32 v7, 32, v7
	v_subrev_nc_u32_e32 v8, 28, v7
	v_sub_nc_u32_e32 v7, 29, v7
	v_lshlrev_b64 v[8:9], v8, v[26:27]
	v_and_b32_e32 v26, 7, v8
; %bb.623:                              ;   in Loop: Header=BB230_10 Depth=1
	s_or_b32 exec_lo, exec_lo, s18
	v_lshlrev_b32_e32 v8, 24, v6
	v_lshlrev_b32_e32 v0, 20, v26
	v_lshl_add_u32 v7, v7, 23, 0x3c000000
	v_and_b32_e32 v8, 0x80000000, v8
	v_or3_b32 v26, v0, v8, v7
	buffer_store_dword v26, off, s[0:3], s32 offset:804 ; 4-byte Folded Spill
	buffer_store_dword v27, off, s[0:3], s32 offset:808 ; 4-byte Folded Spill
.LBB230_624:                            ;   in Loop: Header=BB230_10 Depth=1
	s_or_b32 exec_lo, exec_lo, s17
.LBB230_625:                            ;   in Loop: Header=BB230_10 Depth=1
	s_or_b32 exec_lo, exec_lo, s7
.LBB230_626:                            ;   in Loop: Header=BB230_10 Depth=1
	s_or_b32 exec_lo, exec_lo, s6
	v_cmp_ne_u16_sdwa s5, v6, v27 src0_sel:BYTE_1 src1_sel:DWORD
	s_and_saveexec_b32 s6, s5
	s_cbranch_execz .LBB230_634
; %bb.627:                              ;   in Loop: Header=BB230_10 Depth=1
	v_mov_b32_e32 v0, 0x80
	v_mov_b32_e32 v76, v27
	buffer_store_dword v76, off, s[0:3], s32 offset:812 ; 4-byte Folded Spill
	buffer_store_dword v77, off, s[0:3], s32 offset:816 ; 4-byte Folded Spill
	v_cmp_ne_u16_sdwa s5, v6, v0 src0_sel:BYTE_1 src1_sel:DWORD
	s_and_saveexec_b32 s7, s5
	s_cbranch_execz .LBB230_633
; %bb.628:                              ;   in Loop: Header=BB230_10 Depth=1
	v_mov_b32_e32 v0, 0xffff
	v_mov_b32_e32 v106, v27
	s_mov_b32 s17, exec_lo
	buffer_store_dword v106, off, s[0:3], s32 offset:812 ; 4-byte Folded Spill
	buffer_store_dword v107, off, s[0:3], s32 offset:816 ; 4-byte Folded Spill
	v_and_b32_sdwa v0, v0, v6 dst_sel:DWORD dst_unused:UNUSED_PAD src0_sel:DWORD src1_sel:BYTE_1
	v_and_b32_e32 v8, 0x7f, v0
	v_cmpx_ne_u32_e32 0x7f, v8
	s_cbranch_execz .LBB230_632
; %bb.629:                              ;   in Loop: Header=BB230_10 Depth=1
	v_and_b32_e32 v26, 7, v0
	v_lshrrev_b32_e32 v7, 3, v8
	s_mov_b32 s18, exec_lo
	v_cmpx_gt_u32_e32 8, v8
; %bb.630:                              ;   in Loop: Header=BB230_10 Depth=1
	v_ffbh_u32_e32 v7, v26
	v_min_u32_e32 v7, 32, v7
	v_subrev_nc_u32_e32 v8, 28, v7
	v_sub_nc_u32_e32 v7, 29, v7
	v_lshlrev_b64 v[8:9], v8, v[26:27]
	v_and_b32_e32 v26, 7, v8
; %bb.631:                              ;   in Loop: Header=BB230_10 Depth=1
	s_or_b32 exec_lo, exec_lo, s18
	v_lshlrev_b32_e32 v8, 16, v6
	v_lshlrev_b32_e32 v0, 20, v26
	v_lshl_add_u32 v7, v7, 23, 0x3c000000
	v_and_b32_e32 v8, 0x80000000, v8
	v_or3_b32 v8, v0, v8, v7
	v_mov_b32_e32 v7, v27
	buffer_store_dword v7, off, s[0:3], s32 offset:812 ; 4-byte Folded Spill
	buffer_store_dword v8, off, s[0:3], s32 offset:816 ; 4-byte Folded Spill
.LBB230_632:                            ;   in Loop: Header=BB230_10 Depth=1
	s_or_b32 exec_lo, exec_lo, s17
.LBB230_633:                            ;   in Loop: Header=BB230_10 Depth=1
	s_or_b32 exec_lo, exec_lo, s7
.LBB230_634:                            ;   in Loop: Header=BB230_10 Depth=1
	s_or_b32 exec_lo, exec_lo, s6
	v_mov_b32_e32 v7, 0
	v_mov_b32_e32 v8, 0
	;; [unrolled: 1-line block ×3, first 2 shown]
	s_mov_b32 s6, exec_lo
	buffer_store_dword v7, off, s[0:3], s32 offset:820 ; 4-byte Folded Spill
	buffer_store_dword v8, off, s[0:3], s32 offset:824 ; 4-byte Folded Spill
	v_mov_b32_e32 v7, 0
	v_and_b32_sdwa v0, v6, v0 dst_sel:DWORD dst_unused:UNUSED_PAD src0_sel:WORD_1 src1_sel:DWORD
	v_mov_b32_e32 v8, 0
	buffer_store_dword v7, off, s[0:3], s32 offset:828 ; 4-byte Folded Spill
	buffer_store_dword v8, off, s[0:3], s32 offset:832 ; 4-byte Folded Spill
	v_cmpx_ne_u16_e32 0, v0
	s_cbranch_execz .LBB230_642
; %bb.635:                              ;   in Loop: Header=BB230_10 Depth=1
	v_bfrev_b32_e32 v7, 1
	v_mov_b32_e32 v8, 0
	s_mov_b32 s7, exec_lo
	buffer_store_dword v7, off, s[0:3], s32 offset:828 ; 4-byte Folded Spill
	buffer_store_dword v8, off, s[0:3], s32 offset:832 ; 4-byte Folded Spill
	v_cmpx_ne_u16_e32 0x80, v0
	s_cbranch_execz .LBB230_641
; %bb.636:                              ;   in Loop: Header=BB230_10 Depth=1
	v_mov_b32_e32 v9, 0x7f800001
	v_bfe_u32 v8, v6, 16, 7
	v_mov_b32_e32 v10, 0
	s_mov_b32 s17, exec_lo
	buffer_store_dword v9, off, s[0:3], s32 offset:828 ; 4-byte Folded Spill
	buffer_store_dword v10, off, s[0:3], s32 offset:832 ; 4-byte Folded Spill
	v_cmpx_ne_u32_e32 0x7f, v8
	s_cbranch_execz .LBB230_640
; %bb.637:                              ;   in Loop: Header=BB230_10 Depth=1
	v_mov_b32_e32 v0, 7
	v_lshrrev_b32_e32 v7, 3, v8
	s_mov_b32 s18, exec_lo
	v_and_b32_sdwa v26, v6, v0 dst_sel:DWORD dst_unused:UNUSED_PAD src0_sel:WORD_1 src1_sel:DWORD
	v_cmpx_gt_u32_e32 8, v8
; %bb.638:                              ;   in Loop: Header=BB230_10 Depth=1
	v_ffbh_u32_e32 v7, v26
	v_min_u32_e32 v7, 32, v7
	v_subrev_nc_u32_e32 v8, 28, v7
	v_sub_nc_u32_e32 v7, 29, v7
	v_lshlrev_b64 v[8:9], v8, v[26:27]
	v_and_b32_e32 v26, 7, v8
; %bb.639:                              ;   in Loop: Header=BB230_10 Depth=1
	s_or_b32 exec_lo, exec_lo, s18
	v_mov_b32_e32 v0, 24
	v_lshl_add_u32 v7, v7, 23, 0x3c000000
	v_lshlrev_b32_sdwa v8, v0, v6 dst_sel:DWORD dst_unused:UNUSED_PAD src0_sel:DWORD src1_sel:WORD_1
	v_lshlrev_b32_e32 v0, 20, v26
	v_and_b32_e32 v8, 0x80000000, v8
	v_or3_b32 v26, v0, v8, v7
	buffer_store_dword v26, off, s[0:3], s32 offset:828 ; 4-byte Folded Spill
	buffer_store_dword v27, off, s[0:3], s32 offset:832 ; 4-byte Folded Spill
.LBB230_640:                            ;   in Loop: Header=BB230_10 Depth=1
	s_or_b32 exec_lo, exec_lo, s17
.LBB230_641:                            ;   in Loop: Header=BB230_10 Depth=1
	s_or_b32 exec_lo, exec_lo, s7
.LBB230_642:                            ;   in Loop: Header=BB230_10 Depth=1
	s_or_b32 exec_lo, exec_lo, s6
	s_mov_b32 s6, exec_lo
	v_cmpx_lt_u32_e32 0xffffff, v6
	s_cbranch_execz .LBB230_650
; %bb.643:                              ;   in Loop: Header=BB230_10 Depth=1
	v_mov_b32_e32 v0, 0x80
	v_mov_b32_e32 v76, v27
	buffer_store_dword v76, off, s[0:3], s32 offset:820 ; 4-byte Folded Spill
	buffer_store_dword v77, off, s[0:3], s32 offset:824 ; 4-byte Folded Spill
	v_cmp_ne_u32_sdwa s5, v6, v0 src0_sel:BYTE_3 src1_sel:DWORD
	s_and_saveexec_b32 s7, s5
	s_cbranch_execz .LBB230_649
; %bb.644:                              ;   in Loop: Header=BB230_10 Depth=1
	v_bfe_u32 v8, v6, 24, 7
	v_mov_b32_e32 v106, v27
	s_mov_b32 s17, exec_lo
	buffer_store_dword v106, off, s[0:3], s32 offset:820 ; 4-byte Folded Spill
	buffer_store_dword v107, off, s[0:3], s32 offset:824 ; 4-byte Folded Spill
	v_cmpx_ne_u32_e32 0x7f, v8
	s_cbranch_execz .LBB230_648
; %bb.645:                              ;   in Loop: Header=BB230_10 Depth=1
	v_mov_b32_e32 v0, 7
	v_lshrrev_b32_e32 v7, 3, v8
	s_mov_b32 s18, exec_lo
	v_and_b32_sdwa v26, v6, v0 dst_sel:DWORD dst_unused:UNUSED_PAD src0_sel:BYTE_3 src1_sel:DWORD
	v_cmpx_gt_u32_e32 8, v8
; %bb.646:                              ;   in Loop: Header=BB230_10 Depth=1
	v_ffbh_u32_e32 v7, v26
	v_min_u32_e32 v7, 32, v7
	v_subrev_nc_u32_e32 v8, 28, v7
	v_sub_nc_u32_e32 v7, 29, v7
	v_lshlrev_b64 v[8:9], v8, v[26:27]
	v_and_b32_e32 v26, 7, v8
; %bb.647:                              ;   in Loop: Header=BB230_10 Depth=1
	s_or_b32 exec_lo, exec_lo, s18
	v_mov_b32_e32 v0, 24
	v_lshl_add_u32 v7, v7, 23, 0x3c000000
	v_lshlrev_b32_sdwa v6, v0, v6 dst_sel:DWORD dst_unused:UNUSED_PAD src0_sel:DWORD src1_sel:BYTE_3
	v_lshlrev_b32_e32 v0, 20, v26
	v_and_b32_e32 v6, 0x80000000, v6
	v_or3_b32 v7, v0, v6, v7
	v_mov_b32_e32 v6, v27
	buffer_store_dword v6, off, s[0:3], s32 offset:820 ; 4-byte Folded Spill
	buffer_store_dword v7, off, s[0:3], s32 offset:824 ; 4-byte Folded Spill
.LBB230_648:                            ;   in Loop: Header=BB230_10 Depth=1
	s_or_b32 exec_lo, exec_lo, s17
.LBB230_649:                            ;   in Loop: Header=BB230_10 Depth=1
	s_or_b32 exec_lo, exec_lo, s7
.LBB230_650:                            ;   in Loop: Header=BB230_10 Depth=1
	s_or_b32 exec_lo, exec_lo, s6
	flat_load_dword v6, v[4:5] offset:512
	v_mov_b32_e32 v7, 0
	v_mov_b32_e32 v8, 0
	buffer_store_dword v7, off, s[0:3], s32 offset:844 ; 4-byte Folded Spill
	buffer_store_dword v8, off, s[0:3], s32 offset:848 ; 4-byte Folded Spill
	v_mov_b32_e32 v7, 0
	v_mov_b32_e32 v8, 0
	buffer_store_dword v7, off, s[0:3], s32 offset:836 ; 4-byte Folded Spill
	buffer_store_dword v8, off, s[0:3], s32 offset:840 ; 4-byte Folded Spill
	s_waitcnt vmcnt(0) lgkmcnt(0)
	v_cmp_ne_u16_sdwa s5, v6, v27 src0_sel:BYTE_0 src1_sel:DWORD
	s_and_saveexec_b32 s6, s5
	s_cbranch_execz .LBB230_658
; %bb.651:                              ;   in Loop: Header=BB230_10 Depth=1
	v_mov_b32_e32 v0, 0x80
	v_bfrev_b32_e32 v7, 1
	v_mov_b32_e32 v8, 0
	buffer_store_dword v7, off, s[0:3], s32 offset:836 ; 4-byte Folded Spill
	buffer_store_dword v8, off, s[0:3], s32 offset:840 ; 4-byte Folded Spill
	v_cmp_ne_u16_sdwa s5, v6, v0 src0_sel:BYTE_0 src1_sel:DWORD
	s_and_saveexec_b32 s7, s5
	s_cbranch_execz .LBB230_657
; %bb.652:                              ;   in Loop: Header=BB230_10 Depth=1
	v_mov_b32_e32 v9, 0x7f800001
	v_and_b32_e32 v8, 0x7f, v6
	v_mov_b32_e32 v10, 0
	s_mov_b32 s17, exec_lo
	buffer_store_dword v9, off, s[0:3], s32 offset:836 ; 4-byte Folded Spill
	buffer_store_dword v10, off, s[0:3], s32 offset:840 ; 4-byte Folded Spill
	v_cmpx_ne_u32_e32 0x7f, v8
	s_cbranch_execz .LBB230_656
; %bb.653:                              ;   in Loop: Header=BB230_10 Depth=1
	v_and_b32_e32 v26, 7, v6
	v_lshrrev_b32_e32 v7, 3, v8
	s_mov_b32 s18, exec_lo
	v_cmpx_gt_u32_e32 8, v8
; %bb.654:                              ;   in Loop: Header=BB230_10 Depth=1
	v_ffbh_u32_e32 v7, v26
	v_min_u32_e32 v7, 32, v7
	v_subrev_nc_u32_e32 v8, 28, v7
	v_sub_nc_u32_e32 v7, 29, v7
	v_lshlrev_b64 v[8:9], v8, v[26:27]
	v_and_b32_e32 v26, 7, v8
; %bb.655:                              ;   in Loop: Header=BB230_10 Depth=1
	s_or_b32 exec_lo, exec_lo, s18
	v_lshlrev_b32_e32 v8, 24, v6
	v_lshlrev_b32_e32 v0, 20, v26
	v_lshl_add_u32 v7, v7, 23, 0x3c000000
	v_and_b32_e32 v8, 0x80000000, v8
	v_or3_b32 v26, v0, v8, v7
	buffer_store_dword v26, off, s[0:3], s32 offset:836 ; 4-byte Folded Spill
	buffer_store_dword v27, off, s[0:3], s32 offset:840 ; 4-byte Folded Spill
.LBB230_656:                            ;   in Loop: Header=BB230_10 Depth=1
	s_or_b32 exec_lo, exec_lo, s17
.LBB230_657:                            ;   in Loop: Header=BB230_10 Depth=1
	s_or_b32 exec_lo, exec_lo, s7
.LBB230_658:                            ;   in Loop: Header=BB230_10 Depth=1
	s_or_b32 exec_lo, exec_lo, s6
	v_cmp_ne_u16_sdwa s5, v6, v27 src0_sel:BYTE_1 src1_sel:DWORD
	s_and_saveexec_b32 s6, s5
	s_cbranch_execz .LBB230_666
; %bb.659:                              ;   in Loop: Header=BB230_10 Depth=1
	v_mov_b32_e32 v0, 0x80
	v_mov_b32_e32 v76, v27
	buffer_store_dword v76, off, s[0:3], s32 offset:844 ; 4-byte Folded Spill
	buffer_store_dword v77, off, s[0:3], s32 offset:848 ; 4-byte Folded Spill
	v_cmp_ne_u16_sdwa s5, v6, v0 src0_sel:BYTE_1 src1_sel:DWORD
	s_and_saveexec_b32 s7, s5
	s_cbranch_execz .LBB230_665
; %bb.660:                              ;   in Loop: Header=BB230_10 Depth=1
	v_mov_b32_e32 v0, 0xffff
	v_mov_b32_e32 v106, v27
	s_mov_b32 s17, exec_lo
	buffer_store_dword v106, off, s[0:3], s32 offset:844 ; 4-byte Folded Spill
	buffer_store_dword v107, off, s[0:3], s32 offset:848 ; 4-byte Folded Spill
	v_and_b32_sdwa v0, v0, v6 dst_sel:DWORD dst_unused:UNUSED_PAD src0_sel:DWORD src1_sel:BYTE_1
	v_and_b32_e32 v8, 0x7f, v0
	v_cmpx_ne_u32_e32 0x7f, v8
	s_cbranch_execz .LBB230_664
; %bb.661:                              ;   in Loop: Header=BB230_10 Depth=1
	v_and_b32_e32 v26, 7, v0
	v_lshrrev_b32_e32 v7, 3, v8
	s_mov_b32 s18, exec_lo
	v_cmpx_gt_u32_e32 8, v8
; %bb.662:                              ;   in Loop: Header=BB230_10 Depth=1
	v_ffbh_u32_e32 v7, v26
	v_min_u32_e32 v7, 32, v7
	v_subrev_nc_u32_e32 v8, 28, v7
	v_sub_nc_u32_e32 v7, 29, v7
	v_lshlrev_b64 v[8:9], v8, v[26:27]
	v_and_b32_e32 v26, 7, v8
; %bb.663:                              ;   in Loop: Header=BB230_10 Depth=1
	s_or_b32 exec_lo, exec_lo, s18
	v_lshlrev_b32_e32 v8, 16, v6
	v_lshlrev_b32_e32 v0, 20, v26
	v_lshl_add_u32 v7, v7, 23, 0x3c000000
	v_and_b32_e32 v8, 0x80000000, v8
	v_or3_b32 v8, v0, v8, v7
	v_mov_b32_e32 v7, v27
	buffer_store_dword v7, off, s[0:3], s32 offset:844 ; 4-byte Folded Spill
	buffer_store_dword v8, off, s[0:3], s32 offset:848 ; 4-byte Folded Spill
.LBB230_664:                            ;   in Loop: Header=BB230_10 Depth=1
	s_or_b32 exec_lo, exec_lo, s17
.LBB230_665:                            ;   in Loop: Header=BB230_10 Depth=1
	s_or_b32 exec_lo, exec_lo, s7
.LBB230_666:                            ;   in Loop: Header=BB230_10 Depth=1
	s_or_b32 exec_lo, exec_lo, s6
	v_mov_b32_e32 v7, 0
	v_mov_b32_e32 v8, 0
	;; [unrolled: 1-line block ×3, first 2 shown]
	s_mov_b32 s6, exec_lo
	buffer_store_dword v7, off, s[0:3], s32 offset:852 ; 4-byte Folded Spill
	buffer_store_dword v8, off, s[0:3], s32 offset:856 ; 4-byte Folded Spill
	v_mov_b32_e32 v7, 0
	v_and_b32_sdwa v0, v6, v0 dst_sel:DWORD dst_unused:UNUSED_PAD src0_sel:WORD_1 src1_sel:DWORD
	v_mov_b32_e32 v8, 0
	buffer_store_dword v7, off, s[0:3], s32 offset:860 ; 4-byte Folded Spill
	buffer_store_dword v8, off, s[0:3], s32 offset:864 ; 4-byte Folded Spill
	v_cmpx_ne_u16_e32 0, v0
	s_cbranch_execz .LBB230_674
; %bb.667:                              ;   in Loop: Header=BB230_10 Depth=1
	v_bfrev_b32_e32 v7, 1
	v_mov_b32_e32 v8, 0
	s_mov_b32 s7, exec_lo
	buffer_store_dword v7, off, s[0:3], s32 offset:860 ; 4-byte Folded Spill
	buffer_store_dword v8, off, s[0:3], s32 offset:864 ; 4-byte Folded Spill
	v_cmpx_ne_u16_e32 0x80, v0
	s_cbranch_execz .LBB230_673
; %bb.668:                              ;   in Loop: Header=BB230_10 Depth=1
	v_mov_b32_e32 v9, 0x7f800001
	v_bfe_u32 v8, v6, 16, 7
	v_mov_b32_e32 v10, 0
	s_mov_b32 s17, exec_lo
	buffer_store_dword v9, off, s[0:3], s32 offset:860 ; 4-byte Folded Spill
	buffer_store_dword v10, off, s[0:3], s32 offset:864 ; 4-byte Folded Spill
	v_cmpx_ne_u32_e32 0x7f, v8
	s_cbranch_execz .LBB230_672
; %bb.669:                              ;   in Loop: Header=BB230_10 Depth=1
	v_mov_b32_e32 v0, 7
	v_lshrrev_b32_e32 v7, 3, v8
	s_mov_b32 s18, exec_lo
	v_and_b32_sdwa v26, v6, v0 dst_sel:DWORD dst_unused:UNUSED_PAD src0_sel:WORD_1 src1_sel:DWORD
	v_cmpx_gt_u32_e32 8, v8
; %bb.670:                              ;   in Loop: Header=BB230_10 Depth=1
	v_ffbh_u32_e32 v7, v26
	v_min_u32_e32 v7, 32, v7
	v_subrev_nc_u32_e32 v8, 28, v7
	v_sub_nc_u32_e32 v7, 29, v7
	v_lshlrev_b64 v[8:9], v8, v[26:27]
	v_and_b32_e32 v26, 7, v8
; %bb.671:                              ;   in Loop: Header=BB230_10 Depth=1
	s_or_b32 exec_lo, exec_lo, s18
	v_mov_b32_e32 v0, 24
	v_lshl_add_u32 v7, v7, 23, 0x3c000000
	v_lshlrev_b32_sdwa v8, v0, v6 dst_sel:DWORD dst_unused:UNUSED_PAD src0_sel:DWORD src1_sel:WORD_1
	v_lshlrev_b32_e32 v0, 20, v26
	v_and_b32_e32 v8, 0x80000000, v8
	v_or3_b32 v26, v0, v8, v7
	buffer_store_dword v26, off, s[0:3], s32 offset:860 ; 4-byte Folded Spill
	buffer_store_dword v27, off, s[0:3], s32 offset:864 ; 4-byte Folded Spill
.LBB230_672:                            ;   in Loop: Header=BB230_10 Depth=1
	s_or_b32 exec_lo, exec_lo, s17
.LBB230_673:                            ;   in Loop: Header=BB230_10 Depth=1
	s_or_b32 exec_lo, exec_lo, s7
.LBB230_674:                            ;   in Loop: Header=BB230_10 Depth=1
	s_or_b32 exec_lo, exec_lo, s6
	s_mov_b32 s6, exec_lo
	v_cmpx_lt_u32_e32 0xffffff, v6
	s_cbranch_execz .LBB230_682
; %bb.675:                              ;   in Loop: Header=BB230_10 Depth=1
	v_mov_b32_e32 v0, 0x80
	v_mov_b32_e32 v76, v27
	buffer_store_dword v76, off, s[0:3], s32 offset:852 ; 4-byte Folded Spill
	buffer_store_dword v77, off, s[0:3], s32 offset:856 ; 4-byte Folded Spill
	v_cmp_ne_u32_sdwa s5, v6, v0 src0_sel:BYTE_3 src1_sel:DWORD
	s_and_saveexec_b32 s7, s5
	s_cbranch_execz .LBB230_681
; %bb.676:                              ;   in Loop: Header=BB230_10 Depth=1
	v_bfe_u32 v8, v6, 24, 7
	v_mov_b32_e32 v106, v27
	s_mov_b32 s17, exec_lo
	buffer_store_dword v106, off, s[0:3], s32 offset:852 ; 4-byte Folded Spill
	buffer_store_dword v107, off, s[0:3], s32 offset:856 ; 4-byte Folded Spill
	v_cmpx_ne_u32_e32 0x7f, v8
	s_cbranch_execz .LBB230_680
; %bb.677:                              ;   in Loop: Header=BB230_10 Depth=1
	v_mov_b32_e32 v0, 7
	v_lshrrev_b32_e32 v7, 3, v8
	s_mov_b32 s18, exec_lo
	v_and_b32_sdwa v26, v6, v0 dst_sel:DWORD dst_unused:UNUSED_PAD src0_sel:BYTE_3 src1_sel:DWORD
	v_cmpx_gt_u32_e32 8, v8
; %bb.678:                              ;   in Loop: Header=BB230_10 Depth=1
	v_ffbh_u32_e32 v7, v26
	v_min_u32_e32 v7, 32, v7
	v_subrev_nc_u32_e32 v8, 28, v7
	v_sub_nc_u32_e32 v7, 29, v7
	v_lshlrev_b64 v[8:9], v8, v[26:27]
	v_and_b32_e32 v26, 7, v8
; %bb.679:                              ;   in Loop: Header=BB230_10 Depth=1
	s_or_b32 exec_lo, exec_lo, s18
	v_mov_b32_e32 v0, 24
	v_lshl_add_u32 v7, v7, 23, 0x3c000000
	v_lshlrev_b32_sdwa v6, v0, v6 dst_sel:DWORD dst_unused:UNUSED_PAD src0_sel:DWORD src1_sel:BYTE_3
	v_lshlrev_b32_e32 v0, 20, v26
	v_and_b32_e32 v6, 0x80000000, v6
	v_or3_b32 v7, v0, v6, v7
	v_mov_b32_e32 v6, v27
	buffer_store_dword v6, off, s[0:3], s32 offset:852 ; 4-byte Folded Spill
	buffer_store_dword v7, off, s[0:3], s32 offset:856 ; 4-byte Folded Spill
.LBB230_680:                            ;   in Loop: Header=BB230_10 Depth=1
	s_or_b32 exec_lo, exec_lo, s17
.LBB230_681:                            ;   in Loop: Header=BB230_10 Depth=1
	s_or_b32 exec_lo, exec_lo, s7
.LBB230_682:                            ;   in Loop: Header=BB230_10 Depth=1
	s_or_b32 exec_lo, exec_lo, s6
	flat_load_dword v6, v[4:5] offset:516
	v_mov_b32_e32 v7, 0
	v_mov_b32_e32 v8, 0
	buffer_store_dword v7, off, s[0:3], s32 offset:876 ; 4-byte Folded Spill
	buffer_store_dword v8, off, s[0:3], s32 offset:880 ; 4-byte Folded Spill
	v_mov_b32_e32 v7, 0
	v_mov_b32_e32 v8, 0
	buffer_store_dword v7, off, s[0:3], s32 offset:868 ; 4-byte Folded Spill
	buffer_store_dword v8, off, s[0:3], s32 offset:872 ; 4-byte Folded Spill
	s_waitcnt vmcnt(0) lgkmcnt(0)
	v_cmp_ne_u16_sdwa s5, v6, v27 src0_sel:BYTE_0 src1_sel:DWORD
	s_and_saveexec_b32 s6, s5
	s_cbranch_execz .LBB230_690
; %bb.683:                              ;   in Loop: Header=BB230_10 Depth=1
	v_mov_b32_e32 v0, 0x80
	v_bfrev_b32_e32 v7, 1
	v_mov_b32_e32 v8, 0
	buffer_store_dword v7, off, s[0:3], s32 offset:868 ; 4-byte Folded Spill
	buffer_store_dword v8, off, s[0:3], s32 offset:872 ; 4-byte Folded Spill
	v_cmp_ne_u16_sdwa s5, v6, v0 src0_sel:BYTE_0 src1_sel:DWORD
	s_and_saveexec_b32 s7, s5
	s_cbranch_execz .LBB230_689
; %bb.684:                              ;   in Loop: Header=BB230_10 Depth=1
	v_mov_b32_e32 v9, 0x7f800001
	v_and_b32_e32 v8, 0x7f, v6
	v_mov_b32_e32 v10, 0
	s_mov_b32 s17, exec_lo
	buffer_store_dword v9, off, s[0:3], s32 offset:868 ; 4-byte Folded Spill
	buffer_store_dword v10, off, s[0:3], s32 offset:872 ; 4-byte Folded Spill
	v_cmpx_ne_u32_e32 0x7f, v8
	s_cbranch_execz .LBB230_688
; %bb.685:                              ;   in Loop: Header=BB230_10 Depth=1
	v_and_b32_e32 v26, 7, v6
	v_lshrrev_b32_e32 v7, 3, v8
	s_mov_b32 s18, exec_lo
	v_cmpx_gt_u32_e32 8, v8
; %bb.686:                              ;   in Loop: Header=BB230_10 Depth=1
	v_ffbh_u32_e32 v7, v26
	v_min_u32_e32 v7, 32, v7
	v_subrev_nc_u32_e32 v8, 28, v7
	v_sub_nc_u32_e32 v7, 29, v7
	v_lshlrev_b64 v[8:9], v8, v[26:27]
	v_and_b32_e32 v26, 7, v8
; %bb.687:                              ;   in Loop: Header=BB230_10 Depth=1
	s_or_b32 exec_lo, exec_lo, s18
	v_lshlrev_b32_e32 v8, 24, v6
	v_lshlrev_b32_e32 v0, 20, v26
	v_lshl_add_u32 v7, v7, 23, 0x3c000000
	v_and_b32_e32 v8, 0x80000000, v8
	v_or3_b32 v26, v0, v8, v7
	buffer_store_dword v26, off, s[0:3], s32 offset:868 ; 4-byte Folded Spill
	buffer_store_dword v27, off, s[0:3], s32 offset:872 ; 4-byte Folded Spill
.LBB230_688:                            ;   in Loop: Header=BB230_10 Depth=1
	s_or_b32 exec_lo, exec_lo, s17
.LBB230_689:                            ;   in Loop: Header=BB230_10 Depth=1
	s_or_b32 exec_lo, exec_lo, s7
.LBB230_690:                            ;   in Loop: Header=BB230_10 Depth=1
	s_or_b32 exec_lo, exec_lo, s6
	v_cmp_ne_u16_sdwa s5, v6, v27 src0_sel:BYTE_1 src1_sel:DWORD
	s_and_saveexec_b32 s6, s5
	s_cbranch_execz .LBB230_698
; %bb.691:                              ;   in Loop: Header=BB230_10 Depth=1
	v_mov_b32_e32 v0, 0x80
	v_mov_b32_e32 v76, v27
	buffer_store_dword v76, off, s[0:3], s32 offset:876 ; 4-byte Folded Spill
	buffer_store_dword v77, off, s[0:3], s32 offset:880 ; 4-byte Folded Spill
	v_cmp_ne_u16_sdwa s5, v6, v0 src0_sel:BYTE_1 src1_sel:DWORD
	s_and_saveexec_b32 s7, s5
	s_cbranch_execz .LBB230_697
; %bb.692:                              ;   in Loop: Header=BB230_10 Depth=1
	v_mov_b32_e32 v0, 0xffff
	v_mov_b32_e32 v106, v27
	s_mov_b32 s17, exec_lo
	buffer_store_dword v106, off, s[0:3], s32 offset:876 ; 4-byte Folded Spill
	buffer_store_dword v107, off, s[0:3], s32 offset:880 ; 4-byte Folded Spill
	v_and_b32_sdwa v0, v0, v6 dst_sel:DWORD dst_unused:UNUSED_PAD src0_sel:DWORD src1_sel:BYTE_1
	v_and_b32_e32 v8, 0x7f, v0
	v_cmpx_ne_u32_e32 0x7f, v8
	s_cbranch_execz .LBB230_696
; %bb.693:                              ;   in Loop: Header=BB230_10 Depth=1
	v_and_b32_e32 v26, 7, v0
	v_lshrrev_b32_e32 v7, 3, v8
	s_mov_b32 s18, exec_lo
	v_cmpx_gt_u32_e32 8, v8
; %bb.694:                              ;   in Loop: Header=BB230_10 Depth=1
	v_ffbh_u32_e32 v7, v26
	v_min_u32_e32 v7, 32, v7
	v_subrev_nc_u32_e32 v8, 28, v7
	v_sub_nc_u32_e32 v7, 29, v7
	v_lshlrev_b64 v[8:9], v8, v[26:27]
	v_and_b32_e32 v26, 7, v8
; %bb.695:                              ;   in Loop: Header=BB230_10 Depth=1
	s_or_b32 exec_lo, exec_lo, s18
	v_lshlrev_b32_e32 v8, 16, v6
	v_lshlrev_b32_e32 v0, 20, v26
	v_lshl_add_u32 v7, v7, 23, 0x3c000000
	v_and_b32_e32 v8, 0x80000000, v8
	v_or3_b32 v8, v0, v8, v7
	v_mov_b32_e32 v7, v27
	buffer_store_dword v7, off, s[0:3], s32 offset:876 ; 4-byte Folded Spill
	buffer_store_dword v8, off, s[0:3], s32 offset:880 ; 4-byte Folded Spill
.LBB230_696:                            ;   in Loop: Header=BB230_10 Depth=1
	s_or_b32 exec_lo, exec_lo, s17
.LBB230_697:                            ;   in Loop: Header=BB230_10 Depth=1
	s_or_b32 exec_lo, exec_lo, s7
.LBB230_698:                            ;   in Loop: Header=BB230_10 Depth=1
	s_or_b32 exec_lo, exec_lo, s6
	v_mov_b32_e32 v7, 0
	v_mov_b32_e32 v8, 0
	;; [unrolled: 1-line block ×3, first 2 shown]
	s_mov_b32 s6, exec_lo
	buffer_store_dword v7, off, s[0:3], s32 offset:884 ; 4-byte Folded Spill
	buffer_store_dword v8, off, s[0:3], s32 offset:888 ; 4-byte Folded Spill
	v_mov_b32_e32 v7, 0
	v_and_b32_sdwa v0, v6, v0 dst_sel:DWORD dst_unused:UNUSED_PAD src0_sel:WORD_1 src1_sel:DWORD
	v_mov_b32_e32 v8, 0
	buffer_store_dword v7, off, s[0:3], s32 offset:892 ; 4-byte Folded Spill
	buffer_store_dword v8, off, s[0:3], s32 offset:896 ; 4-byte Folded Spill
	v_cmpx_ne_u16_e32 0, v0
	s_cbranch_execz .LBB230_706
; %bb.699:                              ;   in Loop: Header=BB230_10 Depth=1
	v_bfrev_b32_e32 v7, 1
	v_mov_b32_e32 v8, 0
	s_mov_b32 s7, exec_lo
	buffer_store_dword v7, off, s[0:3], s32 offset:892 ; 4-byte Folded Spill
	buffer_store_dword v8, off, s[0:3], s32 offset:896 ; 4-byte Folded Spill
	v_cmpx_ne_u16_e32 0x80, v0
	s_cbranch_execz .LBB230_705
; %bb.700:                              ;   in Loop: Header=BB230_10 Depth=1
	v_mov_b32_e32 v9, 0x7f800001
	v_bfe_u32 v8, v6, 16, 7
	v_mov_b32_e32 v10, 0
	s_mov_b32 s17, exec_lo
	buffer_store_dword v9, off, s[0:3], s32 offset:892 ; 4-byte Folded Spill
	buffer_store_dword v10, off, s[0:3], s32 offset:896 ; 4-byte Folded Spill
	v_cmpx_ne_u32_e32 0x7f, v8
	s_cbranch_execz .LBB230_704
; %bb.701:                              ;   in Loop: Header=BB230_10 Depth=1
	v_mov_b32_e32 v0, 7
	v_lshrrev_b32_e32 v7, 3, v8
	s_mov_b32 s18, exec_lo
	v_and_b32_sdwa v26, v6, v0 dst_sel:DWORD dst_unused:UNUSED_PAD src0_sel:WORD_1 src1_sel:DWORD
	v_cmpx_gt_u32_e32 8, v8
; %bb.702:                              ;   in Loop: Header=BB230_10 Depth=1
	v_ffbh_u32_e32 v7, v26
	v_min_u32_e32 v7, 32, v7
	v_subrev_nc_u32_e32 v8, 28, v7
	v_sub_nc_u32_e32 v7, 29, v7
	v_lshlrev_b64 v[8:9], v8, v[26:27]
	v_and_b32_e32 v26, 7, v8
; %bb.703:                              ;   in Loop: Header=BB230_10 Depth=1
	s_or_b32 exec_lo, exec_lo, s18
	v_mov_b32_e32 v0, 24
	v_lshl_add_u32 v7, v7, 23, 0x3c000000
	v_lshlrev_b32_sdwa v8, v0, v6 dst_sel:DWORD dst_unused:UNUSED_PAD src0_sel:DWORD src1_sel:WORD_1
	v_lshlrev_b32_e32 v0, 20, v26
	v_and_b32_e32 v8, 0x80000000, v8
	v_or3_b32 v26, v0, v8, v7
	buffer_store_dword v26, off, s[0:3], s32 offset:892 ; 4-byte Folded Spill
	buffer_store_dword v27, off, s[0:3], s32 offset:896 ; 4-byte Folded Spill
.LBB230_704:                            ;   in Loop: Header=BB230_10 Depth=1
	s_or_b32 exec_lo, exec_lo, s17
.LBB230_705:                            ;   in Loop: Header=BB230_10 Depth=1
	s_or_b32 exec_lo, exec_lo, s7
.LBB230_706:                            ;   in Loop: Header=BB230_10 Depth=1
	s_or_b32 exec_lo, exec_lo, s6
	s_mov_b32 s6, exec_lo
	v_cmpx_lt_u32_e32 0xffffff, v6
	s_cbranch_execz .LBB230_714
; %bb.707:                              ;   in Loop: Header=BB230_10 Depth=1
	v_mov_b32_e32 v0, 0x80
	v_mov_b32_e32 v76, v27
	buffer_store_dword v76, off, s[0:3], s32 offset:884 ; 4-byte Folded Spill
	buffer_store_dword v77, off, s[0:3], s32 offset:888 ; 4-byte Folded Spill
	v_cmp_ne_u32_sdwa s5, v6, v0 src0_sel:BYTE_3 src1_sel:DWORD
	s_and_saveexec_b32 s7, s5
	s_cbranch_execz .LBB230_713
; %bb.708:                              ;   in Loop: Header=BB230_10 Depth=1
	v_bfe_u32 v8, v6, 24, 7
	v_mov_b32_e32 v106, v27
	s_mov_b32 s17, exec_lo
	buffer_store_dword v106, off, s[0:3], s32 offset:884 ; 4-byte Folded Spill
	buffer_store_dword v107, off, s[0:3], s32 offset:888 ; 4-byte Folded Spill
	v_cmpx_ne_u32_e32 0x7f, v8
	s_cbranch_execz .LBB230_712
; %bb.709:                              ;   in Loop: Header=BB230_10 Depth=1
	v_mov_b32_e32 v0, 7
	v_lshrrev_b32_e32 v7, 3, v8
	s_mov_b32 s18, exec_lo
	v_and_b32_sdwa v26, v6, v0 dst_sel:DWORD dst_unused:UNUSED_PAD src0_sel:BYTE_3 src1_sel:DWORD
	v_cmpx_gt_u32_e32 8, v8
; %bb.710:                              ;   in Loop: Header=BB230_10 Depth=1
	v_ffbh_u32_e32 v7, v26
	v_min_u32_e32 v7, 32, v7
	v_subrev_nc_u32_e32 v8, 28, v7
	v_sub_nc_u32_e32 v7, 29, v7
	v_lshlrev_b64 v[8:9], v8, v[26:27]
	v_and_b32_e32 v26, 7, v8
; %bb.711:                              ;   in Loop: Header=BB230_10 Depth=1
	s_or_b32 exec_lo, exec_lo, s18
	v_mov_b32_e32 v0, 24
	v_lshl_add_u32 v7, v7, 23, 0x3c000000
	v_lshlrev_b32_sdwa v6, v0, v6 dst_sel:DWORD dst_unused:UNUSED_PAD src0_sel:DWORD src1_sel:BYTE_3
	v_lshlrev_b32_e32 v0, 20, v26
	v_and_b32_e32 v6, 0x80000000, v6
	v_or3_b32 v7, v0, v6, v7
	v_mov_b32_e32 v6, v27
	buffer_store_dword v6, off, s[0:3], s32 offset:884 ; 4-byte Folded Spill
	buffer_store_dword v7, off, s[0:3], s32 offset:888 ; 4-byte Folded Spill
.LBB230_712:                            ;   in Loop: Header=BB230_10 Depth=1
	s_or_b32 exec_lo, exec_lo, s17
.LBB230_713:                            ;   in Loop: Header=BB230_10 Depth=1
	s_or_b32 exec_lo, exec_lo, s7
.LBB230_714:                            ;   in Loop: Header=BB230_10 Depth=1
	s_or_b32 exec_lo, exec_lo, s6
	flat_load_dword v6, v[4:5] offset:520
	v_mov_b32_e32 v7, 0
	v_mov_b32_e32 v8, 0
	buffer_store_dword v7, off, s[0:3], s32 offset:908 ; 4-byte Folded Spill
	buffer_store_dword v8, off, s[0:3], s32 offset:912 ; 4-byte Folded Spill
	v_mov_b32_e32 v7, 0
	v_mov_b32_e32 v8, 0
	buffer_store_dword v7, off, s[0:3], s32 offset:900 ; 4-byte Folded Spill
	buffer_store_dword v8, off, s[0:3], s32 offset:904 ; 4-byte Folded Spill
	s_waitcnt vmcnt(0) lgkmcnt(0)
	v_cmp_ne_u16_sdwa s5, v6, v27 src0_sel:BYTE_0 src1_sel:DWORD
	s_and_saveexec_b32 s6, s5
	s_cbranch_execz .LBB230_722
; %bb.715:                              ;   in Loop: Header=BB230_10 Depth=1
	v_mov_b32_e32 v0, 0x80
	v_bfrev_b32_e32 v7, 1
	v_mov_b32_e32 v8, 0
	buffer_store_dword v7, off, s[0:3], s32 offset:900 ; 4-byte Folded Spill
	buffer_store_dword v8, off, s[0:3], s32 offset:904 ; 4-byte Folded Spill
	v_cmp_ne_u16_sdwa s5, v6, v0 src0_sel:BYTE_0 src1_sel:DWORD
	s_and_saveexec_b32 s7, s5
	s_cbranch_execz .LBB230_721
; %bb.716:                              ;   in Loop: Header=BB230_10 Depth=1
	v_mov_b32_e32 v9, 0x7f800001
	v_and_b32_e32 v8, 0x7f, v6
	v_mov_b32_e32 v10, 0
	s_mov_b32 s17, exec_lo
	buffer_store_dword v9, off, s[0:3], s32 offset:900 ; 4-byte Folded Spill
	buffer_store_dword v10, off, s[0:3], s32 offset:904 ; 4-byte Folded Spill
	v_cmpx_ne_u32_e32 0x7f, v8
	s_cbranch_execz .LBB230_720
; %bb.717:                              ;   in Loop: Header=BB230_10 Depth=1
	v_and_b32_e32 v26, 7, v6
	v_lshrrev_b32_e32 v7, 3, v8
	s_mov_b32 s18, exec_lo
	v_cmpx_gt_u32_e32 8, v8
; %bb.718:                              ;   in Loop: Header=BB230_10 Depth=1
	v_ffbh_u32_e32 v7, v26
	v_min_u32_e32 v7, 32, v7
	v_subrev_nc_u32_e32 v8, 28, v7
	v_sub_nc_u32_e32 v7, 29, v7
	v_lshlrev_b64 v[8:9], v8, v[26:27]
	v_and_b32_e32 v26, 7, v8
; %bb.719:                              ;   in Loop: Header=BB230_10 Depth=1
	s_or_b32 exec_lo, exec_lo, s18
	v_lshlrev_b32_e32 v8, 24, v6
	v_lshlrev_b32_e32 v0, 20, v26
	v_lshl_add_u32 v7, v7, 23, 0x3c000000
	v_and_b32_e32 v8, 0x80000000, v8
	v_or3_b32 v26, v0, v8, v7
	buffer_store_dword v26, off, s[0:3], s32 offset:900 ; 4-byte Folded Spill
	buffer_store_dword v27, off, s[0:3], s32 offset:904 ; 4-byte Folded Spill
.LBB230_720:                            ;   in Loop: Header=BB230_10 Depth=1
	s_or_b32 exec_lo, exec_lo, s17
.LBB230_721:                            ;   in Loop: Header=BB230_10 Depth=1
	s_or_b32 exec_lo, exec_lo, s7
.LBB230_722:                            ;   in Loop: Header=BB230_10 Depth=1
	s_or_b32 exec_lo, exec_lo, s6
	v_cmp_ne_u16_sdwa s5, v6, v27 src0_sel:BYTE_1 src1_sel:DWORD
	s_and_saveexec_b32 s6, s5
	s_cbranch_execz .LBB230_730
; %bb.723:                              ;   in Loop: Header=BB230_10 Depth=1
	v_mov_b32_e32 v0, 0x80
	v_mov_b32_e32 v76, v27
	buffer_store_dword v76, off, s[0:3], s32 offset:908 ; 4-byte Folded Spill
	buffer_store_dword v77, off, s[0:3], s32 offset:912 ; 4-byte Folded Spill
	v_cmp_ne_u16_sdwa s5, v6, v0 src0_sel:BYTE_1 src1_sel:DWORD
	s_and_saveexec_b32 s7, s5
	s_cbranch_execz .LBB230_729
; %bb.724:                              ;   in Loop: Header=BB230_10 Depth=1
	v_mov_b32_e32 v0, 0xffff
	v_mov_b32_e32 v106, v27
	s_mov_b32 s17, exec_lo
	buffer_store_dword v106, off, s[0:3], s32 offset:908 ; 4-byte Folded Spill
	buffer_store_dword v107, off, s[0:3], s32 offset:912 ; 4-byte Folded Spill
	v_and_b32_sdwa v0, v0, v6 dst_sel:DWORD dst_unused:UNUSED_PAD src0_sel:DWORD src1_sel:BYTE_1
	v_and_b32_e32 v8, 0x7f, v0
	v_cmpx_ne_u32_e32 0x7f, v8
	s_cbranch_execz .LBB230_728
; %bb.725:                              ;   in Loop: Header=BB230_10 Depth=1
	v_and_b32_e32 v26, 7, v0
	v_lshrrev_b32_e32 v7, 3, v8
	s_mov_b32 s18, exec_lo
	v_cmpx_gt_u32_e32 8, v8
; %bb.726:                              ;   in Loop: Header=BB230_10 Depth=1
	v_ffbh_u32_e32 v7, v26
	v_min_u32_e32 v7, 32, v7
	v_subrev_nc_u32_e32 v8, 28, v7
	v_sub_nc_u32_e32 v7, 29, v7
	v_lshlrev_b64 v[8:9], v8, v[26:27]
	v_and_b32_e32 v26, 7, v8
; %bb.727:                              ;   in Loop: Header=BB230_10 Depth=1
	s_or_b32 exec_lo, exec_lo, s18
	v_lshlrev_b32_e32 v8, 16, v6
	v_lshlrev_b32_e32 v0, 20, v26
	v_lshl_add_u32 v7, v7, 23, 0x3c000000
	v_and_b32_e32 v8, 0x80000000, v8
	v_or3_b32 v8, v0, v8, v7
	v_mov_b32_e32 v7, v27
	buffer_store_dword v7, off, s[0:3], s32 offset:908 ; 4-byte Folded Spill
	buffer_store_dword v8, off, s[0:3], s32 offset:912 ; 4-byte Folded Spill
.LBB230_728:                            ;   in Loop: Header=BB230_10 Depth=1
	s_or_b32 exec_lo, exec_lo, s17
.LBB230_729:                            ;   in Loop: Header=BB230_10 Depth=1
	s_or_b32 exec_lo, exec_lo, s7
.LBB230_730:                            ;   in Loop: Header=BB230_10 Depth=1
	s_or_b32 exec_lo, exec_lo, s6
	v_mov_b32_e32 v7, 0
	v_mov_b32_e32 v8, 0
	;; [unrolled: 1-line block ×3, first 2 shown]
	s_mov_b32 s6, exec_lo
	buffer_store_dword v7, off, s[0:3], s32 offset:916 ; 4-byte Folded Spill
	buffer_store_dword v8, off, s[0:3], s32 offset:920 ; 4-byte Folded Spill
	v_mov_b32_e32 v7, 0
	v_and_b32_sdwa v0, v6, v0 dst_sel:DWORD dst_unused:UNUSED_PAD src0_sel:WORD_1 src1_sel:DWORD
	v_mov_b32_e32 v8, 0
	buffer_store_dword v7, off, s[0:3], s32 offset:924 ; 4-byte Folded Spill
	buffer_store_dword v8, off, s[0:3], s32 offset:928 ; 4-byte Folded Spill
	v_cmpx_ne_u16_e32 0, v0
	s_cbranch_execz .LBB230_738
; %bb.731:                              ;   in Loop: Header=BB230_10 Depth=1
	v_bfrev_b32_e32 v7, 1
	v_mov_b32_e32 v8, 0
	s_mov_b32 s7, exec_lo
	buffer_store_dword v7, off, s[0:3], s32 offset:924 ; 4-byte Folded Spill
	buffer_store_dword v8, off, s[0:3], s32 offset:928 ; 4-byte Folded Spill
	v_cmpx_ne_u16_e32 0x80, v0
	s_cbranch_execz .LBB230_737
; %bb.732:                              ;   in Loop: Header=BB230_10 Depth=1
	v_mov_b32_e32 v9, 0x7f800001
	v_bfe_u32 v8, v6, 16, 7
	v_mov_b32_e32 v10, 0
	s_mov_b32 s17, exec_lo
	buffer_store_dword v9, off, s[0:3], s32 offset:924 ; 4-byte Folded Spill
	buffer_store_dword v10, off, s[0:3], s32 offset:928 ; 4-byte Folded Spill
	v_cmpx_ne_u32_e32 0x7f, v8
	s_cbranch_execz .LBB230_736
; %bb.733:                              ;   in Loop: Header=BB230_10 Depth=1
	v_mov_b32_e32 v0, 7
	v_lshrrev_b32_e32 v7, 3, v8
	s_mov_b32 s18, exec_lo
	v_and_b32_sdwa v26, v6, v0 dst_sel:DWORD dst_unused:UNUSED_PAD src0_sel:WORD_1 src1_sel:DWORD
	v_cmpx_gt_u32_e32 8, v8
; %bb.734:                              ;   in Loop: Header=BB230_10 Depth=1
	v_ffbh_u32_e32 v7, v26
	v_min_u32_e32 v7, 32, v7
	v_subrev_nc_u32_e32 v8, 28, v7
	v_sub_nc_u32_e32 v7, 29, v7
	v_lshlrev_b64 v[8:9], v8, v[26:27]
	v_and_b32_e32 v26, 7, v8
; %bb.735:                              ;   in Loop: Header=BB230_10 Depth=1
	s_or_b32 exec_lo, exec_lo, s18
	v_mov_b32_e32 v0, 24
	v_lshl_add_u32 v7, v7, 23, 0x3c000000
	v_lshlrev_b32_sdwa v8, v0, v6 dst_sel:DWORD dst_unused:UNUSED_PAD src0_sel:DWORD src1_sel:WORD_1
	v_lshlrev_b32_e32 v0, 20, v26
	v_and_b32_e32 v8, 0x80000000, v8
	v_or3_b32 v26, v0, v8, v7
	buffer_store_dword v26, off, s[0:3], s32 offset:924 ; 4-byte Folded Spill
	buffer_store_dword v27, off, s[0:3], s32 offset:928 ; 4-byte Folded Spill
.LBB230_736:                            ;   in Loop: Header=BB230_10 Depth=1
	s_or_b32 exec_lo, exec_lo, s17
.LBB230_737:                            ;   in Loop: Header=BB230_10 Depth=1
	s_or_b32 exec_lo, exec_lo, s7
.LBB230_738:                            ;   in Loop: Header=BB230_10 Depth=1
	s_or_b32 exec_lo, exec_lo, s6
	s_mov_b32 s6, exec_lo
	v_cmpx_lt_u32_e32 0xffffff, v6
	s_cbranch_execz .LBB230_746
; %bb.739:                              ;   in Loop: Header=BB230_10 Depth=1
	v_mov_b32_e32 v0, 0x80
	v_mov_b32_e32 v76, v27
	buffer_store_dword v76, off, s[0:3], s32 offset:916 ; 4-byte Folded Spill
	buffer_store_dword v77, off, s[0:3], s32 offset:920 ; 4-byte Folded Spill
	v_cmp_ne_u32_sdwa s5, v6, v0 src0_sel:BYTE_3 src1_sel:DWORD
	s_and_saveexec_b32 s7, s5
	s_cbranch_execz .LBB230_745
; %bb.740:                              ;   in Loop: Header=BB230_10 Depth=1
	v_bfe_u32 v8, v6, 24, 7
	v_mov_b32_e32 v106, v27
	s_mov_b32 s17, exec_lo
	buffer_store_dword v106, off, s[0:3], s32 offset:916 ; 4-byte Folded Spill
	buffer_store_dword v107, off, s[0:3], s32 offset:920 ; 4-byte Folded Spill
	v_cmpx_ne_u32_e32 0x7f, v8
	s_cbranch_execz .LBB230_744
; %bb.741:                              ;   in Loop: Header=BB230_10 Depth=1
	v_mov_b32_e32 v0, 7
	v_lshrrev_b32_e32 v7, 3, v8
	s_mov_b32 s18, exec_lo
	v_and_b32_sdwa v26, v6, v0 dst_sel:DWORD dst_unused:UNUSED_PAD src0_sel:BYTE_3 src1_sel:DWORD
	v_cmpx_gt_u32_e32 8, v8
; %bb.742:                              ;   in Loop: Header=BB230_10 Depth=1
	v_ffbh_u32_e32 v7, v26
	v_min_u32_e32 v7, 32, v7
	v_subrev_nc_u32_e32 v8, 28, v7
	v_sub_nc_u32_e32 v7, 29, v7
	v_lshlrev_b64 v[8:9], v8, v[26:27]
	v_and_b32_e32 v26, 7, v8
; %bb.743:                              ;   in Loop: Header=BB230_10 Depth=1
	s_or_b32 exec_lo, exec_lo, s18
	v_mov_b32_e32 v0, 24
	v_lshl_add_u32 v7, v7, 23, 0x3c000000
	v_lshlrev_b32_sdwa v6, v0, v6 dst_sel:DWORD dst_unused:UNUSED_PAD src0_sel:DWORD src1_sel:BYTE_3
	v_lshlrev_b32_e32 v0, 20, v26
	v_and_b32_e32 v6, 0x80000000, v6
	v_or3_b32 v7, v0, v6, v7
	v_mov_b32_e32 v6, v27
	buffer_store_dword v6, off, s[0:3], s32 offset:916 ; 4-byte Folded Spill
	buffer_store_dword v7, off, s[0:3], s32 offset:920 ; 4-byte Folded Spill
.LBB230_744:                            ;   in Loop: Header=BB230_10 Depth=1
	s_or_b32 exec_lo, exec_lo, s17
.LBB230_745:                            ;   in Loop: Header=BB230_10 Depth=1
	s_or_b32 exec_lo, exec_lo, s7
.LBB230_746:                            ;   in Loop: Header=BB230_10 Depth=1
	s_or_b32 exec_lo, exec_lo, s6
	flat_load_dword v6, v[4:5] offset:524
	v_mov_b32_e32 v7, 0
	v_mov_b32_e32 v8, 0
	buffer_store_dword v7, off, s[0:3], s32 offset:940 ; 4-byte Folded Spill
	buffer_store_dword v8, off, s[0:3], s32 offset:944 ; 4-byte Folded Spill
	v_mov_b32_e32 v7, 0
	v_mov_b32_e32 v8, 0
	buffer_store_dword v7, off, s[0:3], s32 offset:932 ; 4-byte Folded Spill
	buffer_store_dword v8, off, s[0:3], s32 offset:936 ; 4-byte Folded Spill
	s_waitcnt vmcnt(0) lgkmcnt(0)
	v_cmp_ne_u16_sdwa s5, v6, v27 src0_sel:BYTE_0 src1_sel:DWORD
	s_and_saveexec_b32 s6, s5
	s_cbranch_execz .LBB230_754
; %bb.747:                              ;   in Loop: Header=BB230_10 Depth=1
	v_mov_b32_e32 v0, 0x80
	v_bfrev_b32_e32 v7, 1
	v_mov_b32_e32 v8, 0
	buffer_store_dword v7, off, s[0:3], s32 offset:932 ; 4-byte Folded Spill
	buffer_store_dword v8, off, s[0:3], s32 offset:936 ; 4-byte Folded Spill
	v_cmp_ne_u16_sdwa s5, v6, v0 src0_sel:BYTE_0 src1_sel:DWORD
	s_and_saveexec_b32 s7, s5
	s_cbranch_execz .LBB230_753
; %bb.748:                              ;   in Loop: Header=BB230_10 Depth=1
	v_mov_b32_e32 v9, 0x7f800001
	v_and_b32_e32 v8, 0x7f, v6
	v_mov_b32_e32 v10, 0
	s_mov_b32 s17, exec_lo
	buffer_store_dword v9, off, s[0:3], s32 offset:932 ; 4-byte Folded Spill
	buffer_store_dword v10, off, s[0:3], s32 offset:936 ; 4-byte Folded Spill
	v_cmpx_ne_u32_e32 0x7f, v8
	s_cbranch_execz .LBB230_752
; %bb.749:                              ;   in Loop: Header=BB230_10 Depth=1
	v_and_b32_e32 v26, 7, v6
	v_lshrrev_b32_e32 v7, 3, v8
	s_mov_b32 s18, exec_lo
	v_cmpx_gt_u32_e32 8, v8
; %bb.750:                              ;   in Loop: Header=BB230_10 Depth=1
	v_ffbh_u32_e32 v7, v26
	v_min_u32_e32 v7, 32, v7
	v_subrev_nc_u32_e32 v8, 28, v7
	v_sub_nc_u32_e32 v7, 29, v7
	v_lshlrev_b64 v[8:9], v8, v[26:27]
	v_and_b32_e32 v26, 7, v8
; %bb.751:                              ;   in Loop: Header=BB230_10 Depth=1
	s_or_b32 exec_lo, exec_lo, s18
	v_lshlrev_b32_e32 v8, 24, v6
	v_lshlrev_b32_e32 v0, 20, v26
	v_lshl_add_u32 v7, v7, 23, 0x3c000000
	v_and_b32_e32 v8, 0x80000000, v8
	v_or3_b32 v26, v0, v8, v7
	buffer_store_dword v26, off, s[0:3], s32 offset:932 ; 4-byte Folded Spill
	buffer_store_dword v27, off, s[0:3], s32 offset:936 ; 4-byte Folded Spill
.LBB230_752:                            ;   in Loop: Header=BB230_10 Depth=1
	s_or_b32 exec_lo, exec_lo, s17
.LBB230_753:                            ;   in Loop: Header=BB230_10 Depth=1
	s_or_b32 exec_lo, exec_lo, s7
.LBB230_754:                            ;   in Loop: Header=BB230_10 Depth=1
	s_or_b32 exec_lo, exec_lo, s6
	v_cmp_ne_u16_sdwa s5, v6, v27 src0_sel:BYTE_1 src1_sel:DWORD
	s_and_saveexec_b32 s6, s5
	s_cbranch_execz .LBB230_762
; %bb.755:                              ;   in Loop: Header=BB230_10 Depth=1
	v_mov_b32_e32 v0, 0x80
	v_mov_b32_e32 v76, v27
	buffer_store_dword v76, off, s[0:3], s32 offset:940 ; 4-byte Folded Spill
	buffer_store_dword v77, off, s[0:3], s32 offset:944 ; 4-byte Folded Spill
	v_cmp_ne_u16_sdwa s5, v6, v0 src0_sel:BYTE_1 src1_sel:DWORD
	s_and_saveexec_b32 s7, s5
	s_cbranch_execz .LBB230_761
; %bb.756:                              ;   in Loop: Header=BB230_10 Depth=1
	v_mov_b32_e32 v0, 0xffff
	v_mov_b32_e32 v106, v27
	s_mov_b32 s17, exec_lo
	buffer_store_dword v106, off, s[0:3], s32 offset:940 ; 4-byte Folded Spill
	buffer_store_dword v107, off, s[0:3], s32 offset:944 ; 4-byte Folded Spill
	v_and_b32_sdwa v0, v0, v6 dst_sel:DWORD dst_unused:UNUSED_PAD src0_sel:DWORD src1_sel:BYTE_1
	v_and_b32_e32 v8, 0x7f, v0
	v_cmpx_ne_u32_e32 0x7f, v8
	s_cbranch_execz .LBB230_760
; %bb.757:                              ;   in Loop: Header=BB230_10 Depth=1
	v_and_b32_e32 v26, 7, v0
	v_lshrrev_b32_e32 v7, 3, v8
	s_mov_b32 s18, exec_lo
	v_cmpx_gt_u32_e32 8, v8
; %bb.758:                              ;   in Loop: Header=BB230_10 Depth=1
	v_ffbh_u32_e32 v7, v26
	v_min_u32_e32 v7, 32, v7
	v_subrev_nc_u32_e32 v8, 28, v7
	v_sub_nc_u32_e32 v7, 29, v7
	v_lshlrev_b64 v[8:9], v8, v[26:27]
	v_and_b32_e32 v26, 7, v8
; %bb.759:                              ;   in Loop: Header=BB230_10 Depth=1
	s_or_b32 exec_lo, exec_lo, s18
	v_lshlrev_b32_e32 v8, 16, v6
	v_lshlrev_b32_e32 v0, 20, v26
	v_lshl_add_u32 v7, v7, 23, 0x3c000000
	v_and_b32_e32 v8, 0x80000000, v8
	v_or3_b32 v8, v0, v8, v7
	v_mov_b32_e32 v7, v27
	buffer_store_dword v7, off, s[0:3], s32 offset:940 ; 4-byte Folded Spill
	buffer_store_dword v8, off, s[0:3], s32 offset:944 ; 4-byte Folded Spill
.LBB230_760:                            ;   in Loop: Header=BB230_10 Depth=1
	s_or_b32 exec_lo, exec_lo, s17
.LBB230_761:                            ;   in Loop: Header=BB230_10 Depth=1
	s_or_b32 exec_lo, exec_lo, s7
.LBB230_762:                            ;   in Loop: Header=BB230_10 Depth=1
	s_or_b32 exec_lo, exec_lo, s6
	v_mov_b32_e32 v7, 0
	v_mov_b32_e32 v8, 0
	;; [unrolled: 1-line block ×3, first 2 shown]
	s_mov_b32 s6, exec_lo
	buffer_store_dword v7, off, s[0:3], s32 offset:948 ; 4-byte Folded Spill
	buffer_store_dword v8, off, s[0:3], s32 offset:952 ; 4-byte Folded Spill
	v_mov_b32_e32 v7, 0
	v_and_b32_sdwa v0, v6, v0 dst_sel:DWORD dst_unused:UNUSED_PAD src0_sel:WORD_1 src1_sel:DWORD
	v_mov_b32_e32 v8, 0
	buffer_store_dword v7, off, s[0:3], s32 offset:956 ; 4-byte Folded Spill
	buffer_store_dword v8, off, s[0:3], s32 offset:960 ; 4-byte Folded Spill
	v_cmpx_ne_u16_e32 0, v0
	s_cbranch_execz .LBB230_770
; %bb.763:                              ;   in Loop: Header=BB230_10 Depth=1
	v_bfrev_b32_e32 v7, 1
	v_mov_b32_e32 v8, 0
	s_mov_b32 s7, exec_lo
	buffer_store_dword v7, off, s[0:3], s32 offset:956 ; 4-byte Folded Spill
	buffer_store_dword v8, off, s[0:3], s32 offset:960 ; 4-byte Folded Spill
	v_cmpx_ne_u16_e32 0x80, v0
	s_cbranch_execz .LBB230_769
; %bb.764:                              ;   in Loop: Header=BB230_10 Depth=1
	v_mov_b32_e32 v9, 0x7f800001
	v_bfe_u32 v8, v6, 16, 7
	v_mov_b32_e32 v10, 0
	s_mov_b32 s17, exec_lo
	buffer_store_dword v9, off, s[0:3], s32 offset:956 ; 4-byte Folded Spill
	buffer_store_dword v10, off, s[0:3], s32 offset:960 ; 4-byte Folded Spill
	v_cmpx_ne_u32_e32 0x7f, v8
	s_cbranch_execz .LBB230_768
; %bb.765:                              ;   in Loop: Header=BB230_10 Depth=1
	v_mov_b32_e32 v0, 7
	v_lshrrev_b32_e32 v7, 3, v8
	s_mov_b32 s18, exec_lo
	v_and_b32_sdwa v26, v6, v0 dst_sel:DWORD dst_unused:UNUSED_PAD src0_sel:WORD_1 src1_sel:DWORD
	v_cmpx_gt_u32_e32 8, v8
; %bb.766:                              ;   in Loop: Header=BB230_10 Depth=1
	v_ffbh_u32_e32 v7, v26
	v_min_u32_e32 v7, 32, v7
	v_subrev_nc_u32_e32 v8, 28, v7
	v_sub_nc_u32_e32 v7, 29, v7
	v_lshlrev_b64 v[8:9], v8, v[26:27]
	v_and_b32_e32 v26, 7, v8
; %bb.767:                              ;   in Loop: Header=BB230_10 Depth=1
	s_or_b32 exec_lo, exec_lo, s18
	v_mov_b32_e32 v0, 24
	v_lshl_add_u32 v7, v7, 23, 0x3c000000
	v_lshlrev_b32_sdwa v8, v0, v6 dst_sel:DWORD dst_unused:UNUSED_PAD src0_sel:DWORD src1_sel:WORD_1
	v_lshlrev_b32_e32 v0, 20, v26
	v_and_b32_e32 v8, 0x80000000, v8
	v_or3_b32 v26, v0, v8, v7
	buffer_store_dword v26, off, s[0:3], s32 offset:956 ; 4-byte Folded Spill
	buffer_store_dword v27, off, s[0:3], s32 offset:960 ; 4-byte Folded Spill
.LBB230_768:                            ;   in Loop: Header=BB230_10 Depth=1
	s_or_b32 exec_lo, exec_lo, s17
.LBB230_769:                            ;   in Loop: Header=BB230_10 Depth=1
	s_or_b32 exec_lo, exec_lo, s7
.LBB230_770:                            ;   in Loop: Header=BB230_10 Depth=1
	s_or_b32 exec_lo, exec_lo, s6
	s_mov_b32 s6, exec_lo
	v_cmpx_lt_u32_e32 0xffffff, v6
	s_cbranch_execz .LBB230_778
; %bb.771:                              ;   in Loop: Header=BB230_10 Depth=1
	v_mov_b32_e32 v0, 0x80
	v_mov_b32_e32 v76, v27
	buffer_store_dword v76, off, s[0:3], s32 offset:948 ; 4-byte Folded Spill
	buffer_store_dword v77, off, s[0:3], s32 offset:952 ; 4-byte Folded Spill
	v_cmp_ne_u32_sdwa s5, v6, v0 src0_sel:BYTE_3 src1_sel:DWORD
	s_and_saveexec_b32 s7, s5
	s_cbranch_execz .LBB230_777
; %bb.772:                              ;   in Loop: Header=BB230_10 Depth=1
	v_bfe_u32 v8, v6, 24, 7
	v_mov_b32_e32 v106, v27
	s_mov_b32 s17, exec_lo
	buffer_store_dword v106, off, s[0:3], s32 offset:948 ; 4-byte Folded Spill
	buffer_store_dword v107, off, s[0:3], s32 offset:952 ; 4-byte Folded Spill
	v_cmpx_ne_u32_e32 0x7f, v8
	s_cbranch_execz .LBB230_776
; %bb.773:                              ;   in Loop: Header=BB230_10 Depth=1
	v_mov_b32_e32 v0, 7
	v_lshrrev_b32_e32 v7, 3, v8
	s_mov_b32 s18, exec_lo
	v_and_b32_sdwa v26, v6, v0 dst_sel:DWORD dst_unused:UNUSED_PAD src0_sel:BYTE_3 src1_sel:DWORD
	v_cmpx_gt_u32_e32 8, v8
; %bb.774:                              ;   in Loop: Header=BB230_10 Depth=1
	v_ffbh_u32_e32 v7, v26
	v_min_u32_e32 v7, 32, v7
	v_subrev_nc_u32_e32 v8, 28, v7
	v_sub_nc_u32_e32 v7, 29, v7
	v_lshlrev_b64 v[8:9], v8, v[26:27]
	v_and_b32_e32 v26, 7, v8
; %bb.775:                              ;   in Loop: Header=BB230_10 Depth=1
	s_or_b32 exec_lo, exec_lo, s18
	v_mov_b32_e32 v0, 24
	v_lshl_add_u32 v7, v7, 23, 0x3c000000
	v_lshlrev_b32_sdwa v6, v0, v6 dst_sel:DWORD dst_unused:UNUSED_PAD src0_sel:DWORD src1_sel:BYTE_3
	v_lshlrev_b32_e32 v0, 20, v26
	v_and_b32_e32 v6, 0x80000000, v6
	v_or3_b32 v7, v0, v6, v7
	v_mov_b32_e32 v6, v27
	buffer_store_dword v6, off, s[0:3], s32 offset:948 ; 4-byte Folded Spill
	buffer_store_dword v7, off, s[0:3], s32 offset:952 ; 4-byte Folded Spill
.LBB230_776:                            ;   in Loop: Header=BB230_10 Depth=1
	s_or_b32 exec_lo, exec_lo, s17
.LBB230_777:                            ;   in Loop: Header=BB230_10 Depth=1
	s_or_b32 exec_lo, exec_lo, s7
.LBB230_778:                            ;   in Loop: Header=BB230_10 Depth=1
	s_or_b32 exec_lo, exec_lo, s6
	flat_load_dword v6, v[4:5] offset:1024
	v_mov_b32_e32 v7, 0
	v_mov_b32_e32 v8, 0
	buffer_store_dword v7, off, s[0:3], s32 offset:972 ; 4-byte Folded Spill
	buffer_store_dword v8, off, s[0:3], s32 offset:976 ; 4-byte Folded Spill
	v_mov_b32_e32 v7, 0
	v_mov_b32_e32 v8, 0
	buffer_store_dword v7, off, s[0:3], s32 offset:964 ; 4-byte Folded Spill
	buffer_store_dword v8, off, s[0:3], s32 offset:968 ; 4-byte Folded Spill
	s_waitcnt vmcnt(0) lgkmcnt(0)
	v_cmp_ne_u16_sdwa s5, v6, v27 src0_sel:BYTE_0 src1_sel:DWORD
	s_and_saveexec_b32 s6, s5
	s_cbranch_execz .LBB230_786
; %bb.779:                              ;   in Loop: Header=BB230_10 Depth=1
	v_mov_b32_e32 v0, 0x80
	v_bfrev_b32_e32 v7, 1
	v_mov_b32_e32 v8, 0
	buffer_store_dword v7, off, s[0:3], s32 offset:964 ; 4-byte Folded Spill
	buffer_store_dword v8, off, s[0:3], s32 offset:968 ; 4-byte Folded Spill
	v_cmp_ne_u16_sdwa s5, v6, v0 src0_sel:BYTE_0 src1_sel:DWORD
	s_and_saveexec_b32 s7, s5
	s_cbranch_execz .LBB230_785
; %bb.780:                              ;   in Loop: Header=BB230_10 Depth=1
	v_mov_b32_e32 v9, 0x7f800001
	v_and_b32_e32 v8, 0x7f, v6
	v_mov_b32_e32 v10, 0
	s_mov_b32 s17, exec_lo
	buffer_store_dword v9, off, s[0:3], s32 offset:964 ; 4-byte Folded Spill
	buffer_store_dword v10, off, s[0:3], s32 offset:968 ; 4-byte Folded Spill
	v_cmpx_ne_u32_e32 0x7f, v8
	s_cbranch_execz .LBB230_784
; %bb.781:                              ;   in Loop: Header=BB230_10 Depth=1
	v_and_b32_e32 v26, 7, v6
	v_lshrrev_b32_e32 v7, 3, v8
	s_mov_b32 s18, exec_lo
	v_cmpx_gt_u32_e32 8, v8
; %bb.782:                              ;   in Loop: Header=BB230_10 Depth=1
	v_ffbh_u32_e32 v7, v26
	v_min_u32_e32 v7, 32, v7
	v_subrev_nc_u32_e32 v8, 28, v7
	v_sub_nc_u32_e32 v7, 29, v7
	v_lshlrev_b64 v[8:9], v8, v[26:27]
	v_and_b32_e32 v26, 7, v8
; %bb.783:                              ;   in Loop: Header=BB230_10 Depth=1
	s_or_b32 exec_lo, exec_lo, s18
	v_lshlrev_b32_e32 v8, 24, v6
	v_lshlrev_b32_e32 v0, 20, v26
	v_lshl_add_u32 v7, v7, 23, 0x3c000000
	v_and_b32_e32 v8, 0x80000000, v8
	v_or3_b32 v26, v0, v8, v7
	buffer_store_dword v26, off, s[0:3], s32 offset:964 ; 4-byte Folded Spill
	buffer_store_dword v27, off, s[0:3], s32 offset:968 ; 4-byte Folded Spill
.LBB230_784:                            ;   in Loop: Header=BB230_10 Depth=1
	s_or_b32 exec_lo, exec_lo, s17
.LBB230_785:                            ;   in Loop: Header=BB230_10 Depth=1
	s_or_b32 exec_lo, exec_lo, s7
.LBB230_786:                            ;   in Loop: Header=BB230_10 Depth=1
	s_or_b32 exec_lo, exec_lo, s6
	v_cmp_ne_u16_sdwa s5, v6, v27 src0_sel:BYTE_1 src1_sel:DWORD
	s_and_saveexec_b32 s6, s5
	s_cbranch_execz .LBB230_794
; %bb.787:                              ;   in Loop: Header=BB230_10 Depth=1
	v_mov_b32_e32 v0, 0x80
	v_mov_b32_e32 v76, v27
	buffer_store_dword v76, off, s[0:3], s32 offset:972 ; 4-byte Folded Spill
	buffer_store_dword v77, off, s[0:3], s32 offset:976 ; 4-byte Folded Spill
	v_cmp_ne_u16_sdwa s5, v6, v0 src0_sel:BYTE_1 src1_sel:DWORD
	s_and_saveexec_b32 s7, s5
	s_cbranch_execz .LBB230_793
; %bb.788:                              ;   in Loop: Header=BB230_10 Depth=1
	v_mov_b32_e32 v0, 0xffff
	v_mov_b32_e32 v106, v27
	s_mov_b32 s17, exec_lo
	buffer_store_dword v106, off, s[0:3], s32 offset:972 ; 4-byte Folded Spill
	buffer_store_dword v107, off, s[0:3], s32 offset:976 ; 4-byte Folded Spill
	v_and_b32_sdwa v0, v0, v6 dst_sel:DWORD dst_unused:UNUSED_PAD src0_sel:DWORD src1_sel:BYTE_1
	v_and_b32_e32 v8, 0x7f, v0
	v_cmpx_ne_u32_e32 0x7f, v8
	s_cbranch_execz .LBB230_792
; %bb.789:                              ;   in Loop: Header=BB230_10 Depth=1
	v_and_b32_e32 v26, 7, v0
	v_lshrrev_b32_e32 v7, 3, v8
	s_mov_b32 s18, exec_lo
	v_cmpx_gt_u32_e32 8, v8
; %bb.790:                              ;   in Loop: Header=BB230_10 Depth=1
	v_ffbh_u32_e32 v7, v26
	v_min_u32_e32 v7, 32, v7
	v_subrev_nc_u32_e32 v8, 28, v7
	v_sub_nc_u32_e32 v7, 29, v7
	v_lshlrev_b64 v[8:9], v8, v[26:27]
	v_and_b32_e32 v26, 7, v8
; %bb.791:                              ;   in Loop: Header=BB230_10 Depth=1
	s_or_b32 exec_lo, exec_lo, s18
	v_lshlrev_b32_e32 v8, 16, v6
	v_lshlrev_b32_e32 v0, 20, v26
	v_lshl_add_u32 v7, v7, 23, 0x3c000000
	v_and_b32_e32 v8, 0x80000000, v8
	v_or3_b32 v8, v0, v8, v7
	v_mov_b32_e32 v7, v27
	buffer_store_dword v7, off, s[0:3], s32 offset:972 ; 4-byte Folded Spill
	buffer_store_dword v8, off, s[0:3], s32 offset:976 ; 4-byte Folded Spill
.LBB230_792:                            ;   in Loop: Header=BB230_10 Depth=1
	s_or_b32 exec_lo, exec_lo, s17
.LBB230_793:                            ;   in Loop: Header=BB230_10 Depth=1
	s_or_b32 exec_lo, exec_lo, s7
.LBB230_794:                            ;   in Loop: Header=BB230_10 Depth=1
	s_or_b32 exec_lo, exec_lo, s6
	v_mov_b32_e32 v7, 0
	v_mov_b32_e32 v8, 0
	;; [unrolled: 1-line block ×3, first 2 shown]
	s_mov_b32 s6, exec_lo
	buffer_store_dword v7, off, s[0:3], s32 offset:980 ; 4-byte Folded Spill
	buffer_store_dword v8, off, s[0:3], s32 offset:984 ; 4-byte Folded Spill
	v_mov_b32_e32 v7, 0
	v_and_b32_sdwa v0, v6, v0 dst_sel:DWORD dst_unused:UNUSED_PAD src0_sel:WORD_1 src1_sel:DWORD
	v_mov_b32_e32 v8, 0
	buffer_store_dword v7, off, s[0:3], s32 offset:988 ; 4-byte Folded Spill
	buffer_store_dword v8, off, s[0:3], s32 offset:992 ; 4-byte Folded Spill
	v_cmpx_ne_u16_e32 0, v0
	s_cbranch_execz .LBB230_802
; %bb.795:                              ;   in Loop: Header=BB230_10 Depth=1
	v_bfrev_b32_e32 v7, 1
	v_mov_b32_e32 v8, 0
	s_mov_b32 s7, exec_lo
	buffer_store_dword v7, off, s[0:3], s32 offset:988 ; 4-byte Folded Spill
	buffer_store_dword v8, off, s[0:3], s32 offset:992 ; 4-byte Folded Spill
	v_cmpx_ne_u16_e32 0x80, v0
	s_cbranch_execz .LBB230_801
; %bb.796:                              ;   in Loop: Header=BB230_10 Depth=1
	v_mov_b32_e32 v9, 0x7f800001
	v_bfe_u32 v8, v6, 16, 7
	v_mov_b32_e32 v10, 0
	s_mov_b32 s17, exec_lo
	buffer_store_dword v9, off, s[0:3], s32 offset:988 ; 4-byte Folded Spill
	buffer_store_dword v10, off, s[0:3], s32 offset:992 ; 4-byte Folded Spill
	v_cmpx_ne_u32_e32 0x7f, v8
	s_cbranch_execz .LBB230_800
; %bb.797:                              ;   in Loop: Header=BB230_10 Depth=1
	v_mov_b32_e32 v0, 7
	v_lshrrev_b32_e32 v7, 3, v8
	s_mov_b32 s18, exec_lo
	v_and_b32_sdwa v26, v6, v0 dst_sel:DWORD dst_unused:UNUSED_PAD src0_sel:WORD_1 src1_sel:DWORD
	v_cmpx_gt_u32_e32 8, v8
; %bb.798:                              ;   in Loop: Header=BB230_10 Depth=1
	v_ffbh_u32_e32 v7, v26
	v_min_u32_e32 v7, 32, v7
	v_subrev_nc_u32_e32 v8, 28, v7
	v_sub_nc_u32_e32 v7, 29, v7
	v_lshlrev_b64 v[8:9], v8, v[26:27]
	v_and_b32_e32 v26, 7, v8
; %bb.799:                              ;   in Loop: Header=BB230_10 Depth=1
	s_or_b32 exec_lo, exec_lo, s18
	v_mov_b32_e32 v0, 24
	v_lshl_add_u32 v7, v7, 23, 0x3c000000
	v_lshlrev_b32_sdwa v8, v0, v6 dst_sel:DWORD dst_unused:UNUSED_PAD src0_sel:DWORD src1_sel:WORD_1
	v_lshlrev_b32_e32 v0, 20, v26
	v_and_b32_e32 v8, 0x80000000, v8
	v_or3_b32 v26, v0, v8, v7
	buffer_store_dword v26, off, s[0:3], s32 offset:988 ; 4-byte Folded Spill
	buffer_store_dword v27, off, s[0:3], s32 offset:992 ; 4-byte Folded Spill
.LBB230_800:                            ;   in Loop: Header=BB230_10 Depth=1
	s_or_b32 exec_lo, exec_lo, s17
.LBB230_801:                            ;   in Loop: Header=BB230_10 Depth=1
	s_or_b32 exec_lo, exec_lo, s7
.LBB230_802:                            ;   in Loop: Header=BB230_10 Depth=1
	s_or_b32 exec_lo, exec_lo, s6
	s_mov_b32 s6, exec_lo
	v_cmpx_lt_u32_e32 0xffffff, v6
	s_cbranch_execz .LBB230_810
; %bb.803:                              ;   in Loop: Header=BB230_10 Depth=1
	v_mov_b32_e32 v0, 0x80
	v_mov_b32_e32 v76, v27
	buffer_store_dword v76, off, s[0:3], s32 offset:980 ; 4-byte Folded Spill
	buffer_store_dword v77, off, s[0:3], s32 offset:984 ; 4-byte Folded Spill
	v_cmp_ne_u32_sdwa s5, v6, v0 src0_sel:BYTE_3 src1_sel:DWORD
	s_and_saveexec_b32 s7, s5
	s_cbranch_execz .LBB230_809
; %bb.804:                              ;   in Loop: Header=BB230_10 Depth=1
	v_bfe_u32 v8, v6, 24, 7
	v_mov_b32_e32 v106, v27
	s_mov_b32 s17, exec_lo
	buffer_store_dword v106, off, s[0:3], s32 offset:980 ; 4-byte Folded Spill
	buffer_store_dword v107, off, s[0:3], s32 offset:984 ; 4-byte Folded Spill
	v_cmpx_ne_u32_e32 0x7f, v8
	s_cbranch_execz .LBB230_808
; %bb.805:                              ;   in Loop: Header=BB230_10 Depth=1
	v_mov_b32_e32 v0, 7
	v_lshrrev_b32_e32 v7, 3, v8
	s_mov_b32 s18, exec_lo
	v_and_b32_sdwa v26, v6, v0 dst_sel:DWORD dst_unused:UNUSED_PAD src0_sel:BYTE_3 src1_sel:DWORD
	v_cmpx_gt_u32_e32 8, v8
; %bb.806:                              ;   in Loop: Header=BB230_10 Depth=1
	v_ffbh_u32_e32 v7, v26
	v_min_u32_e32 v7, 32, v7
	v_subrev_nc_u32_e32 v8, 28, v7
	v_sub_nc_u32_e32 v7, 29, v7
	v_lshlrev_b64 v[8:9], v8, v[26:27]
	v_and_b32_e32 v26, 7, v8
; %bb.807:                              ;   in Loop: Header=BB230_10 Depth=1
	s_or_b32 exec_lo, exec_lo, s18
	v_mov_b32_e32 v0, 24
	v_lshl_add_u32 v7, v7, 23, 0x3c000000
	v_lshlrev_b32_sdwa v6, v0, v6 dst_sel:DWORD dst_unused:UNUSED_PAD src0_sel:DWORD src1_sel:BYTE_3
	v_lshlrev_b32_e32 v0, 20, v26
	v_and_b32_e32 v6, 0x80000000, v6
	v_or3_b32 v7, v0, v6, v7
	v_mov_b32_e32 v6, v27
	buffer_store_dword v6, off, s[0:3], s32 offset:980 ; 4-byte Folded Spill
	buffer_store_dword v7, off, s[0:3], s32 offset:984 ; 4-byte Folded Spill
.LBB230_808:                            ;   in Loop: Header=BB230_10 Depth=1
	s_or_b32 exec_lo, exec_lo, s17
.LBB230_809:                            ;   in Loop: Header=BB230_10 Depth=1
	s_or_b32 exec_lo, exec_lo, s7
.LBB230_810:                            ;   in Loop: Header=BB230_10 Depth=1
	s_or_b32 exec_lo, exec_lo, s6
	flat_load_dword v6, v[4:5] offset:1028
	v_mov_b32_e32 v7, 0
	v_mov_b32_e32 v8, 0
	buffer_store_dword v7, off, s[0:3], s32 offset:1004 ; 4-byte Folded Spill
	buffer_store_dword v8, off, s[0:3], s32 offset:1008 ; 4-byte Folded Spill
	v_mov_b32_e32 v7, 0
	v_mov_b32_e32 v8, 0
	buffer_store_dword v7, off, s[0:3], s32 offset:996 ; 4-byte Folded Spill
	buffer_store_dword v8, off, s[0:3], s32 offset:1000 ; 4-byte Folded Spill
	s_waitcnt vmcnt(0) lgkmcnt(0)
	v_cmp_ne_u16_sdwa s5, v6, v27 src0_sel:BYTE_0 src1_sel:DWORD
	s_and_saveexec_b32 s6, s5
	s_cbranch_execz .LBB230_818
; %bb.811:                              ;   in Loop: Header=BB230_10 Depth=1
	v_mov_b32_e32 v0, 0x80
	v_bfrev_b32_e32 v7, 1
	v_mov_b32_e32 v8, 0
	buffer_store_dword v7, off, s[0:3], s32 offset:996 ; 4-byte Folded Spill
	buffer_store_dword v8, off, s[0:3], s32 offset:1000 ; 4-byte Folded Spill
	v_cmp_ne_u16_sdwa s5, v6, v0 src0_sel:BYTE_0 src1_sel:DWORD
	s_and_saveexec_b32 s7, s5
	s_cbranch_execz .LBB230_817
; %bb.812:                              ;   in Loop: Header=BB230_10 Depth=1
	v_mov_b32_e32 v9, 0x7f800001
	v_and_b32_e32 v8, 0x7f, v6
	v_mov_b32_e32 v10, 0
	s_mov_b32 s17, exec_lo
	buffer_store_dword v9, off, s[0:3], s32 offset:996 ; 4-byte Folded Spill
	buffer_store_dword v10, off, s[0:3], s32 offset:1000 ; 4-byte Folded Spill
	v_cmpx_ne_u32_e32 0x7f, v8
	s_cbranch_execz .LBB230_816
; %bb.813:                              ;   in Loop: Header=BB230_10 Depth=1
	v_and_b32_e32 v26, 7, v6
	v_lshrrev_b32_e32 v7, 3, v8
	s_mov_b32 s18, exec_lo
	v_cmpx_gt_u32_e32 8, v8
; %bb.814:                              ;   in Loop: Header=BB230_10 Depth=1
	v_ffbh_u32_e32 v7, v26
	v_min_u32_e32 v7, 32, v7
	v_subrev_nc_u32_e32 v8, 28, v7
	v_sub_nc_u32_e32 v7, 29, v7
	v_lshlrev_b64 v[8:9], v8, v[26:27]
	v_and_b32_e32 v26, 7, v8
; %bb.815:                              ;   in Loop: Header=BB230_10 Depth=1
	s_or_b32 exec_lo, exec_lo, s18
	v_lshlrev_b32_e32 v8, 24, v6
	v_lshlrev_b32_e32 v0, 20, v26
	v_lshl_add_u32 v7, v7, 23, 0x3c000000
	v_and_b32_e32 v8, 0x80000000, v8
	v_or3_b32 v26, v0, v8, v7
	buffer_store_dword v26, off, s[0:3], s32 offset:996 ; 4-byte Folded Spill
	buffer_store_dword v27, off, s[0:3], s32 offset:1000 ; 4-byte Folded Spill
.LBB230_816:                            ;   in Loop: Header=BB230_10 Depth=1
	s_or_b32 exec_lo, exec_lo, s17
.LBB230_817:                            ;   in Loop: Header=BB230_10 Depth=1
	s_or_b32 exec_lo, exec_lo, s7
.LBB230_818:                            ;   in Loop: Header=BB230_10 Depth=1
	s_or_b32 exec_lo, exec_lo, s6
	v_cmp_ne_u16_sdwa s5, v6, v27 src0_sel:BYTE_1 src1_sel:DWORD
	s_and_saveexec_b32 s6, s5
	s_cbranch_execz .LBB230_826
; %bb.819:                              ;   in Loop: Header=BB230_10 Depth=1
	v_mov_b32_e32 v0, 0x80
	v_mov_b32_e32 v76, v27
	buffer_store_dword v76, off, s[0:3], s32 offset:1004 ; 4-byte Folded Spill
	buffer_store_dword v77, off, s[0:3], s32 offset:1008 ; 4-byte Folded Spill
	v_cmp_ne_u16_sdwa s5, v6, v0 src0_sel:BYTE_1 src1_sel:DWORD
	s_and_saveexec_b32 s7, s5
	s_cbranch_execz .LBB230_825
; %bb.820:                              ;   in Loop: Header=BB230_10 Depth=1
	v_mov_b32_e32 v0, 0xffff
	v_mov_b32_e32 v106, v27
	s_mov_b32 s17, exec_lo
	buffer_store_dword v106, off, s[0:3], s32 offset:1004 ; 4-byte Folded Spill
	buffer_store_dword v107, off, s[0:3], s32 offset:1008 ; 4-byte Folded Spill
	v_and_b32_sdwa v0, v0, v6 dst_sel:DWORD dst_unused:UNUSED_PAD src0_sel:DWORD src1_sel:BYTE_1
	v_and_b32_e32 v8, 0x7f, v0
	v_cmpx_ne_u32_e32 0x7f, v8
	s_cbranch_execz .LBB230_824
; %bb.821:                              ;   in Loop: Header=BB230_10 Depth=1
	v_and_b32_e32 v26, 7, v0
	v_lshrrev_b32_e32 v7, 3, v8
	s_mov_b32 s18, exec_lo
	v_cmpx_gt_u32_e32 8, v8
; %bb.822:                              ;   in Loop: Header=BB230_10 Depth=1
	v_ffbh_u32_e32 v7, v26
	v_min_u32_e32 v7, 32, v7
	v_subrev_nc_u32_e32 v8, 28, v7
	v_sub_nc_u32_e32 v7, 29, v7
	v_lshlrev_b64 v[8:9], v8, v[26:27]
	v_and_b32_e32 v26, 7, v8
; %bb.823:                              ;   in Loop: Header=BB230_10 Depth=1
	s_or_b32 exec_lo, exec_lo, s18
	v_lshlrev_b32_e32 v8, 16, v6
	v_lshlrev_b32_e32 v0, 20, v26
	v_lshl_add_u32 v7, v7, 23, 0x3c000000
	v_and_b32_e32 v8, 0x80000000, v8
	v_or3_b32 v8, v0, v8, v7
	v_mov_b32_e32 v7, v27
	buffer_store_dword v7, off, s[0:3], s32 offset:1004 ; 4-byte Folded Spill
	buffer_store_dword v8, off, s[0:3], s32 offset:1008 ; 4-byte Folded Spill
.LBB230_824:                            ;   in Loop: Header=BB230_10 Depth=1
	s_or_b32 exec_lo, exec_lo, s17
.LBB230_825:                            ;   in Loop: Header=BB230_10 Depth=1
	s_or_b32 exec_lo, exec_lo, s7
.LBB230_826:                            ;   in Loop: Header=BB230_10 Depth=1
	s_or_b32 exec_lo, exec_lo, s6
	v_mov_b32_e32 v7, 0
	v_mov_b32_e32 v8, 0
	;; [unrolled: 1-line block ×3, first 2 shown]
	s_mov_b32 s6, exec_lo
	buffer_store_dword v7, off, s[0:3], s32 offset:1012 ; 4-byte Folded Spill
	buffer_store_dword v8, off, s[0:3], s32 offset:1016 ; 4-byte Folded Spill
	v_mov_b32_e32 v7, 0
	v_and_b32_sdwa v0, v6, v0 dst_sel:DWORD dst_unused:UNUSED_PAD src0_sel:WORD_1 src1_sel:DWORD
	v_mov_b32_e32 v8, 0
	buffer_store_dword v7, off, s[0:3], s32 offset:1020 ; 4-byte Folded Spill
	buffer_store_dword v8, off, s[0:3], s32 offset:1024 ; 4-byte Folded Spill
	v_cmpx_ne_u16_e32 0, v0
	s_cbranch_execz .LBB230_834
; %bb.827:                              ;   in Loop: Header=BB230_10 Depth=1
	v_bfrev_b32_e32 v7, 1
	v_mov_b32_e32 v8, 0
	s_mov_b32 s7, exec_lo
	buffer_store_dword v7, off, s[0:3], s32 offset:1020 ; 4-byte Folded Spill
	buffer_store_dword v8, off, s[0:3], s32 offset:1024 ; 4-byte Folded Spill
	v_cmpx_ne_u16_e32 0x80, v0
	s_cbranch_execz .LBB230_833
; %bb.828:                              ;   in Loop: Header=BB230_10 Depth=1
	v_mov_b32_e32 v9, 0x7f800001
	v_bfe_u32 v8, v6, 16, 7
	v_mov_b32_e32 v10, 0
	s_mov_b32 s17, exec_lo
	buffer_store_dword v9, off, s[0:3], s32 offset:1020 ; 4-byte Folded Spill
	buffer_store_dword v10, off, s[0:3], s32 offset:1024 ; 4-byte Folded Spill
	v_cmpx_ne_u32_e32 0x7f, v8
	s_cbranch_execz .LBB230_832
; %bb.829:                              ;   in Loop: Header=BB230_10 Depth=1
	v_mov_b32_e32 v0, 7
	v_lshrrev_b32_e32 v7, 3, v8
	s_mov_b32 s18, exec_lo
	v_and_b32_sdwa v26, v6, v0 dst_sel:DWORD dst_unused:UNUSED_PAD src0_sel:WORD_1 src1_sel:DWORD
	v_cmpx_gt_u32_e32 8, v8
; %bb.830:                              ;   in Loop: Header=BB230_10 Depth=1
	v_ffbh_u32_e32 v7, v26
	v_min_u32_e32 v7, 32, v7
	v_subrev_nc_u32_e32 v8, 28, v7
	v_sub_nc_u32_e32 v7, 29, v7
	v_lshlrev_b64 v[8:9], v8, v[26:27]
	v_and_b32_e32 v26, 7, v8
; %bb.831:                              ;   in Loop: Header=BB230_10 Depth=1
	s_or_b32 exec_lo, exec_lo, s18
	v_mov_b32_e32 v0, 24
	v_lshl_add_u32 v7, v7, 23, 0x3c000000
	v_lshlrev_b32_sdwa v8, v0, v6 dst_sel:DWORD dst_unused:UNUSED_PAD src0_sel:DWORD src1_sel:WORD_1
	v_lshlrev_b32_e32 v0, 20, v26
	v_and_b32_e32 v8, 0x80000000, v8
	v_or3_b32 v26, v0, v8, v7
	buffer_store_dword v26, off, s[0:3], s32 offset:1020 ; 4-byte Folded Spill
	buffer_store_dword v27, off, s[0:3], s32 offset:1024 ; 4-byte Folded Spill
.LBB230_832:                            ;   in Loop: Header=BB230_10 Depth=1
	s_or_b32 exec_lo, exec_lo, s17
.LBB230_833:                            ;   in Loop: Header=BB230_10 Depth=1
	s_or_b32 exec_lo, exec_lo, s7
.LBB230_834:                            ;   in Loop: Header=BB230_10 Depth=1
	s_or_b32 exec_lo, exec_lo, s6
	s_mov_b32 s6, exec_lo
	v_cmpx_lt_u32_e32 0xffffff, v6
	s_cbranch_execz .LBB230_842
; %bb.835:                              ;   in Loop: Header=BB230_10 Depth=1
	v_mov_b32_e32 v0, 0x80
	v_mov_b32_e32 v76, v27
	buffer_store_dword v76, off, s[0:3], s32 offset:1012 ; 4-byte Folded Spill
	buffer_store_dword v77, off, s[0:3], s32 offset:1016 ; 4-byte Folded Spill
	v_cmp_ne_u32_sdwa s5, v6, v0 src0_sel:BYTE_3 src1_sel:DWORD
	s_and_saveexec_b32 s7, s5
	s_cbranch_execz .LBB230_841
; %bb.836:                              ;   in Loop: Header=BB230_10 Depth=1
	v_bfe_u32 v8, v6, 24, 7
	v_mov_b32_e32 v106, v27
	s_mov_b32 s17, exec_lo
	buffer_store_dword v106, off, s[0:3], s32 offset:1012 ; 4-byte Folded Spill
	buffer_store_dword v107, off, s[0:3], s32 offset:1016 ; 4-byte Folded Spill
	v_cmpx_ne_u32_e32 0x7f, v8
	s_cbranch_execz .LBB230_840
; %bb.837:                              ;   in Loop: Header=BB230_10 Depth=1
	v_mov_b32_e32 v0, 7
	v_lshrrev_b32_e32 v7, 3, v8
	s_mov_b32 s18, exec_lo
	v_and_b32_sdwa v26, v6, v0 dst_sel:DWORD dst_unused:UNUSED_PAD src0_sel:BYTE_3 src1_sel:DWORD
	v_cmpx_gt_u32_e32 8, v8
; %bb.838:                              ;   in Loop: Header=BB230_10 Depth=1
	v_ffbh_u32_e32 v7, v26
	v_min_u32_e32 v7, 32, v7
	v_subrev_nc_u32_e32 v8, 28, v7
	v_sub_nc_u32_e32 v7, 29, v7
	v_lshlrev_b64 v[8:9], v8, v[26:27]
	v_and_b32_e32 v26, 7, v8
; %bb.839:                              ;   in Loop: Header=BB230_10 Depth=1
	s_or_b32 exec_lo, exec_lo, s18
	v_mov_b32_e32 v0, 24
	v_lshl_add_u32 v7, v7, 23, 0x3c000000
	v_lshlrev_b32_sdwa v6, v0, v6 dst_sel:DWORD dst_unused:UNUSED_PAD src0_sel:DWORD src1_sel:BYTE_3
	v_lshlrev_b32_e32 v0, 20, v26
	v_and_b32_e32 v6, 0x80000000, v6
	v_or3_b32 v7, v0, v6, v7
	v_mov_b32_e32 v6, v27
	buffer_store_dword v6, off, s[0:3], s32 offset:1012 ; 4-byte Folded Spill
	buffer_store_dword v7, off, s[0:3], s32 offset:1016 ; 4-byte Folded Spill
.LBB230_840:                            ;   in Loop: Header=BB230_10 Depth=1
	s_or_b32 exec_lo, exec_lo, s17
.LBB230_841:                            ;   in Loop: Header=BB230_10 Depth=1
	s_or_b32 exec_lo, exec_lo, s7
.LBB230_842:                            ;   in Loop: Header=BB230_10 Depth=1
	s_or_b32 exec_lo, exec_lo, s6
	flat_load_dword v6, v[4:5] offset:1032
	v_mov_b32_e32 v7, 0
	v_mov_b32_e32 v8, 0
	buffer_store_dword v7, off, s[0:3], s32 offset:1036 ; 4-byte Folded Spill
	buffer_store_dword v8, off, s[0:3], s32 offset:1040 ; 4-byte Folded Spill
	v_mov_b32_e32 v7, 0
	v_mov_b32_e32 v8, 0
	buffer_store_dword v7, off, s[0:3], s32 offset:1028 ; 4-byte Folded Spill
	buffer_store_dword v8, off, s[0:3], s32 offset:1032 ; 4-byte Folded Spill
	s_waitcnt vmcnt(0) lgkmcnt(0)
	v_cmp_ne_u16_sdwa s5, v6, v27 src0_sel:BYTE_0 src1_sel:DWORD
	s_and_saveexec_b32 s6, s5
	s_cbranch_execz .LBB230_850
; %bb.843:                              ;   in Loop: Header=BB230_10 Depth=1
	v_mov_b32_e32 v0, 0x80
	v_bfrev_b32_e32 v7, 1
	v_mov_b32_e32 v8, 0
	buffer_store_dword v7, off, s[0:3], s32 offset:1028 ; 4-byte Folded Spill
	buffer_store_dword v8, off, s[0:3], s32 offset:1032 ; 4-byte Folded Spill
	v_cmp_ne_u16_sdwa s5, v6, v0 src0_sel:BYTE_0 src1_sel:DWORD
	s_and_saveexec_b32 s7, s5
	s_cbranch_execz .LBB230_849
; %bb.844:                              ;   in Loop: Header=BB230_10 Depth=1
	v_mov_b32_e32 v9, 0x7f800001
	v_and_b32_e32 v8, 0x7f, v6
	v_mov_b32_e32 v10, 0
	s_mov_b32 s17, exec_lo
	buffer_store_dword v9, off, s[0:3], s32 offset:1028 ; 4-byte Folded Spill
	buffer_store_dword v10, off, s[0:3], s32 offset:1032 ; 4-byte Folded Spill
	v_cmpx_ne_u32_e32 0x7f, v8
	s_cbranch_execz .LBB230_848
; %bb.845:                              ;   in Loop: Header=BB230_10 Depth=1
	v_and_b32_e32 v26, 7, v6
	v_lshrrev_b32_e32 v7, 3, v8
	s_mov_b32 s18, exec_lo
	v_cmpx_gt_u32_e32 8, v8
; %bb.846:                              ;   in Loop: Header=BB230_10 Depth=1
	v_ffbh_u32_e32 v7, v26
	v_min_u32_e32 v7, 32, v7
	v_subrev_nc_u32_e32 v8, 28, v7
	v_sub_nc_u32_e32 v7, 29, v7
	v_lshlrev_b64 v[8:9], v8, v[26:27]
	v_and_b32_e32 v26, 7, v8
; %bb.847:                              ;   in Loop: Header=BB230_10 Depth=1
	s_or_b32 exec_lo, exec_lo, s18
	v_lshlrev_b32_e32 v8, 24, v6
	v_lshlrev_b32_e32 v0, 20, v26
	v_lshl_add_u32 v7, v7, 23, 0x3c000000
	v_and_b32_e32 v8, 0x80000000, v8
	v_or3_b32 v26, v0, v8, v7
	buffer_store_dword v26, off, s[0:3], s32 offset:1028 ; 4-byte Folded Spill
	buffer_store_dword v27, off, s[0:3], s32 offset:1032 ; 4-byte Folded Spill
.LBB230_848:                            ;   in Loop: Header=BB230_10 Depth=1
	s_or_b32 exec_lo, exec_lo, s17
.LBB230_849:                            ;   in Loop: Header=BB230_10 Depth=1
	s_or_b32 exec_lo, exec_lo, s7
.LBB230_850:                            ;   in Loop: Header=BB230_10 Depth=1
	s_or_b32 exec_lo, exec_lo, s6
	v_cmp_ne_u16_sdwa s5, v6, v27 src0_sel:BYTE_1 src1_sel:DWORD
	s_and_saveexec_b32 s6, s5
	s_cbranch_execz .LBB230_858
; %bb.851:                              ;   in Loop: Header=BB230_10 Depth=1
	v_mov_b32_e32 v0, 0x80
	v_mov_b32_e32 v76, v27
	buffer_store_dword v76, off, s[0:3], s32 offset:1036 ; 4-byte Folded Spill
	buffer_store_dword v77, off, s[0:3], s32 offset:1040 ; 4-byte Folded Spill
	v_cmp_ne_u16_sdwa s5, v6, v0 src0_sel:BYTE_1 src1_sel:DWORD
	s_and_saveexec_b32 s7, s5
	s_cbranch_execz .LBB230_857
; %bb.852:                              ;   in Loop: Header=BB230_10 Depth=1
	v_mov_b32_e32 v0, 0xffff
	v_mov_b32_e32 v106, v27
	s_mov_b32 s17, exec_lo
	buffer_store_dword v106, off, s[0:3], s32 offset:1036 ; 4-byte Folded Spill
	buffer_store_dword v107, off, s[0:3], s32 offset:1040 ; 4-byte Folded Spill
	v_and_b32_sdwa v0, v0, v6 dst_sel:DWORD dst_unused:UNUSED_PAD src0_sel:DWORD src1_sel:BYTE_1
	v_and_b32_e32 v8, 0x7f, v0
	v_cmpx_ne_u32_e32 0x7f, v8
	s_cbranch_execz .LBB230_856
; %bb.853:                              ;   in Loop: Header=BB230_10 Depth=1
	v_and_b32_e32 v26, 7, v0
	v_lshrrev_b32_e32 v7, 3, v8
	s_mov_b32 s18, exec_lo
	v_cmpx_gt_u32_e32 8, v8
; %bb.854:                              ;   in Loop: Header=BB230_10 Depth=1
	v_ffbh_u32_e32 v7, v26
	v_min_u32_e32 v7, 32, v7
	v_subrev_nc_u32_e32 v8, 28, v7
	v_sub_nc_u32_e32 v7, 29, v7
	v_lshlrev_b64 v[8:9], v8, v[26:27]
	v_and_b32_e32 v26, 7, v8
; %bb.855:                              ;   in Loop: Header=BB230_10 Depth=1
	s_or_b32 exec_lo, exec_lo, s18
	v_lshlrev_b32_e32 v8, 16, v6
	v_lshlrev_b32_e32 v0, 20, v26
	v_lshl_add_u32 v7, v7, 23, 0x3c000000
	v_and_b32_e32 v8, 0x80000000, v8
	v_or3_b32 v8, v0, v8, v7
	v_mov_b32_e32 v7, v27
	buffer_store_dword v7, off, s[0:3], s32 offset:1036 ; 4-byte Folded Spill
	buffer_store_dword v8, off, s[0:3], s32 offset:1040 ; 4-byte Folded Spill
.LBB230_856:                            ;   in Loop: Header=BB230_10 Depth=1
	s_or_b32 exec_lo, exec_lo, s17
.LBB230_857:                            ;   in Loop: Header=BB230_10 Depth=1
	s_or_b32 exec_lo, exec_lo, s7
.LBB230_858:                            ;   in Loop: Header=BB230_10 Depth=1
	s_or_b32 exec_lo, exec_lo, s6
	v_mov_b32_e32 v7, 0
	v_mov_b32_e32 v8, 0
	;; [unrolled: 1-line block ×3, first 2 shown]
	s_mov_b32 s6, exec_lo
	buffer_store_dword v7, off, s[0:3], s32 offset:1044 ; 4-byte Folded Spill
	buffer_store_dword v8, off, s[0:3], s32 offset:1048 ; 4-byte Folded Spill
	v_mov_b32_e32 v7, 0
	v_and_b32_sdwa v0, v6, v0 dst_sel:DWORD dst_unused:UNUSED_PAD src0_sel:WORD_1 src1_sel:DWORD
	v_mov_b32_e32 v8, 0
	buffer_store_dword v7, off, s[0:3], s32 offset:1052 ; 4-byte Folded Spill
	buffer_store_dword v8, off, s[0:3], s32 offset:1056 ; 4-byte Folded Spill
	v_cmpx_ne_u16_e32 0, v0
	s_cbranch_execz .LBB230_866
; %bb.859:                              ;   in Loop: Header=BB230_10 Depth=1
	v_bfrev_b32_e32 v7, 1
	v_mov_b32_e32 v8, 0
	s_mov_b32 s7, exec_lo
	buffer_store_dword v7, off, s[0:3], s32 offset:1052 ; 4-byte Folded Spill
	buffer_store_dword v8, off, s[0:3], s32 offset:1056 ; 4-byte Folded Spill
	v_cmpx_ne_u16_e32 0x80, v0
	s_cbranch_execz .LBB230_865
; %bb.860:                              ;   in Loop: Header=BB230_10 Depth=1
	v_mov_b32_e32 v9, 0x7f800001
	v_bfe_u32 v8, v6, 16, 7
	v_mov_b32_e32 v10, 0
	s_mov_b32 s17, exec_lo
	buffer_store_dword v9, off, s[0:3], s32 offset:1052 ; 4-byte Folded Spill
	buffer_store_dword v10, off, s[0:3], s32 offset:1056 ; 4-byte Folded Spill
	v_cmpx_ne_u32_e32 0x7f, v8
	s_cbranch_execz .LBB230_864
; %bb.861:                              ;   in Loop: Header=BB230_10 Depth=1
	v_mov_b32_e32 v0, 7
	v_lshrrev_b32_e32 v7, 3, v8
	s_mov_b32 s18, exec_lo
	v_and_b32_sdwa v26, v6, v0 dst_sel:DWORD dst_unused:UNUSED_PAD src0_sel:WORD_1 src1_sel:DWORD
	v_cmpx_gt_u32_e32 8, v8
; %bb.862:                              ;   in Loop: Header=BB230_10 Depth=1
	v_ffbh_u32_e32 v7, v26
	v_min_u32_e32 v7, 32, v7
	v_subrev_nc_u32_e32 v8, 28, v7
	v_sub_nc_u32_e32 v7, 29, v7
	v_lshlrev_b64 v[8:9], v8, v[26:27]
	v_and_b32_e32 v26, 7, v8
; %bb.863:                              ;   in Loop: Header=BB230_10 Depth=1
	s_or_b32 exec_lo, exec_lo, s18
	v_mov_b32_e32 v0, 24
	v_lshl_add_u32 v7, v7, 23, 0x3c000000
	v_lshlrev_b32_sdwa v8, v0, v6 dst_sel:DWORD dst_unused:UNUSED_PAD src0_sel:DWORD src1_sel:WORD_1
	v_lshlrev_b32_e32 v0, 20, v26
	v_and_b32_e32 v8, 0x80000000, v8
	v_or3_b32 v26, v0, v8, v7
	buffer_store_dword v26, off, s[0:3], s32 offset:1052 ; 4-byte Folded Spill
	buffer_store_dword v27, off, s[0:3], s32 offset:1056 ; 4-byte Folded Spill
.LBB230_864:                            ;   in Loop: Header=BB230_10 Depth=1
	s_or_b32 exec_lo, exec_lo, s17
.LBB230_865:                            ;   in Loop: Header=BB230_10 Depth=1
	s_or_b32 exec_lo, exec_lo, s7
.LBB230_866:                            ;   in Loop: Header=BB230_10 Depth=1
	s_or_b32 exec_lo, exec_lo, s6
	s_mov_b32 s6, exec_lo
	v_cmpx_lt_u32_e32 0xffffff, v6
	s_cbranch_execz .LBB230_874
; %bb.867:                              ;   in Loop: Header=BB230_10 Depth=1
	v_mov_b32_e32 v0, 0x80
	v_mov_b32_e32 v76, v27
	buffer_store_dword v76, off, s[0:3], s32 offset:1044 ; 4-byte Folded Spill
	buffer_store_dword v77, off, s[0:3], s32 offset:1048 ; 4-byte Folded Spill
	v_cmp_ne_u32_sdwa s5, v6, v0 src0_sel:BYTE_3 src1_sel:DWORD
	s_and_saveexec_b32 s7, s5
	s_cbranch_execz .LBB230_873
; %bb.868:                              ;   in Loop: Header=BB230_10 Depth=1
	v_bfe_u32 v8, v6, 24, 7
	v_mov_b32_e32 v106, v27
	s_mov_b32 s17, exec_lo
	buffer_store_dword v106, off, s[0:3], s32 offset:1044 ; 4-byte Folded Spill
	buffer_store_dword v107, off, s[0:3], s32 offset:1048 ; 4-byte Folded Spill
	v_cmpx_ne_u32_e32 0x7f, v8
	s_cbranch_execz .LBB230_872
; %bb.869:                              ;   in Loop: Header=BB230_10 Depth=1
	v_mov_b32_e32 v0, 7
	v_lshrrev_b32_e32 v7, 3, v8
	s_mov_b32 s18, exec_lo
	v_and_b32_sdwa v26, v6, v0 dst_sel:DWORD dst_unused:UNUSED_PAD src0_sel:BYTE_3 src1_sel:DWORD
	v_cmpx_gt_u32_e32 8, v8
; %bb.870:                              ;   in Loop: Header=BB230_10 Depth=1
	v_ffbh_u32_e32 v7, v26
	v_min_u32_e32 v7, 32, v7
	v_subrev_nc_u32_e32 v8, 28, v7
	v_sub_nc_u32_e32 v7, 29, v7
	v_lshlrev_b64 v[8:9], v8, v[26:27]
	v_and_b32_e32 v26, 7, v8
; %bb.871:                              ;   in Loop: Header=BB230_10 Depth=1
	s_or_b32 exec_lo, exec_lo, s18
	v_mov_b32_e32 v0, 24
	v_lshl_add_u32 v7, v7, 23, 0x3c000000
	v_lshlrev_b32_sdwa v6, v0, v6 dst_sel:DWORD dst_unused:UNUSED_PAD src0_sel:DWORD src1_sel:BYTE_3
	v_lshlrev_b32_e32 v0, 20, v26
	v_and_b32_e32 v6, 0x80000000, v6
	v_or3_b32 v7, v0, v6, v7
	v_mov_b32_e32 v6, v27
	buffer_store_dword v6, off, s[0:3], s32 offset:1044 ; 4-byte Folded Spill
	buffer_store_dword v7, off, s[0:3], s32 offset:1048 ; 4-byte Folded Spill
.LBB230_872:                            ;   in Loop: Header=BB230_10 Depth=1
	s_or_b32 exec_lo, exec_lo, s17
.LBB230_873:                            ;   in Loop: Header=BB230_10 Depth=1
	s_or_b32 exec_lo, exec_lo, s7
.LBB230_874:                            ;   in Loop: Header=BB230_10 Depth=1
	s_or_b32 exec_lo, exec_lo, s6
	flat_load_dword v6, v[4:5] offset:1036
	v_mov_b32_e32 v7, 0
	v_mov_b32_e32 v8, 0
	buffer_store_dword v7, off, s[0:3], s32 offset:1068 ; 4-byte Folded Spill
	buffer_store_dword v8, off, s[0:3], s32 offset:1072 ; 4-byte Folded Spill
	v_mov_b32_e32 v7, 0
	v_mov_b32_e32 v8, 0
	buffer_store_dword v7, off, s[0:3], s32 offset:1060 ; 4-byte Folded Spill
	buffer_store_dword v8, off, s[0:3], s32 offset:1064 ; 4-byte Folded Spill
	s_waitcnt vmcnt(0) lgkmcnt(0)
	v_cmp_ne_u16_sdwa s5, v6, v27 src0_sel:BYTE_0 src1_sel:DWORD
	s_and_saveexec_b32 s6, s5
	s_cbranch_execz .LBB230_882
; %bb.875:                              ;   in Loop: Header=BB230_10 Depth=1
	v_mov_b32_e32 v0, 0x80
	v_bfrev_b32_e32 v7, 1
	v_mov_b32_e32 v8, 0
	buffer_store_dword v7, off, s[0:3], s32 offset:1060 ; 4-byte Folded Spill
	buffer_store_dword v8, off, s[0:3], s32 offset:1064 ; 4-byte Folded Spill
	v_cmp_ne_u16_sdwa s5, v6, v0 src0_sel:BYTE_0 src1_sel:DWORD
	s_and_saveexec_b32 s7, s5
	s_cbranch_execz .LBB230_881
; %bb.876:                              ;   in Loop: Header=BB230_10 Depth=1
	v_mov_b32_e32 v9, 0x7f800001
	v_and_b32_e32 v8, 0x7f, v6
	v_mov_b32_e32 v10, 0
	s_mov_b32 s17, exec_lo
	buffer_store_dword v9, off, s[0:3], s32 offset:1060 ; 4-byte Folded Spill
	buffer_store_dword v10, off, s[0:3], s32 offset:1064 ; 4-byte Folded Spill
	v_cmpx_ne_u32_e32 0x7f, v8
	s_cbranch_execz .LBB230_880
; %bb.877:                              ;   in Loop: Header=BB230_10 Depth=1
	v_and_b32_e32 v26, 7, v6
	v_lshrrev_b32_e32 v7, 3, v8
	s_mov_b32 s18, exec_lo
	v_cmpx_gt_u32_e32 8, v8
; %bb.878:                              ;   in Loop: Header=BB230_10 Depth=1
	v_ffbh_u32_e32 v7, v26
	v_min_u32_e32 v7, 32, v7
	v_subrev_nc_u32_e32 v8, 28, v7
	v_sub_nc_u32_e32 v7, 29, v7
	v_lshlrev_b64 v[8:9], v8, v[26:27]
	v_and_b32_e32 v26, 7, v8
; %bb.879:                              ;   in Loop: Header=BB230_10 Depth=1
	s_or_b32 exec_lo, exec_lo, s18
	v_lshlrev_b32_e32 v8, 24, v6
	v_lshlrev_b32_e32 v0, 20, v26
	v_lshl_add_u32 v7, v7, 23, 0x3c000000
	v_and_b32_e32 v8, 0x80000000, v8
	v_or3_b32 v26, v0, v8, v7
	buffer_store_dword v26, off, s[0:3], s32 offset:1060 ; 4-byte Folded Spill
	buffer_store_dword v27, off, s[0:3], s32 offset:1064 ; 4-byte Folded Spill
.LBB230_880:                            ;   in Loop: Header=BB230_10 Depth=1
	s_or_b32 exec_lo, exec_lo, s17
.LBB230_881:                            ;   in Loop: Header=BB230_10 Depth=1
	s_or_b32 exec_lo, exec_lo, s7
.LBB230_882:                            ;   in Loop: Header=BB230_10 Depth=1
	s_or_b32 exec_lo, exec_lo, s6
	v_cmp_ne_u16_sdwa s5, v6, v27 src0_sel:BYTE_1 src1_sel:DWORD
	s_and_saveexec_b32 s6, s5
	s_cbranch_execz .LBB230_890
; %bb.883:                              ;   in Loop: Header=BB230_10 Depth=1
	v_mov_b32_e32 v0, 0x80
	v_mov_b32_e32 v76, v27
	buffer_store_dword v76, off, s[0:3], s32 offset:1068 ; 4-byte Folded Spill
	buffer_store_dword v77, off, s[0:3], s32 offset:1072 ; 4-byte Folded Spill
	v_cmp_ne_u16_sdwa s5, v6, v0 src0_sel:BYTE_1 src1_sel:DWORD
	s_and_saveexec_b32 s7, s5
	s_cbranch_execz .LBB230_889
; %bb.884:                              ;   in Loop: Header=BB230_10 Depth=1
	v_mov_b32_e32 v0, 0xffff
	v_mov_b32_e32 v106, v27
	s_mov_b32 s17, exec_lo
	buffer_store_dword v106, off, s[0:3], s32 offset:1068 ; 4-byte Folded Spill
	buffer_store_dword v107, off, s[0:3], s32 offset:1072 ; 4-byte Folded Spill
	v_and_b32_sdwa v0, v0, v6 dst_sel:DWORD dst_unused:UNUSED_PAD src0_sel:DWORD src1_sel:BYTE_1
	v_and_b32_e32 v8, 0x7f, v0
	v_cmpx_ne_u32_e32 0x7f, v8
	s_cbranch_execz .LBB230_888
; %bb.885:                              ;   in Loop: Header=BB230_10 Depth=1
	v_and_b32_e32 v26, 7, v0
	v_lshrrev_b32_e32 v7, 3, v8
	s_mov_b32 s18, exec_lo
	v_cmpx_gt_u32_e32 8, v8
; %bb.886:                              ;   in Loop: Header=BB230_10 Depth=1
	v_ffbh_u32_e32 v7, v26
	v_min_u32_e32 v7, 32, v7
	v_subrev_nc_u32_e32 v8, 28, v7
	v_sub_nc_u32_e32 v7, 29, v7
	v_lshlrev_b64 v[8:9], v8, v[26:27]
	v_and_b32_e32 v26, 7, v8
; %bb.887:                              ;   in Loop: Header=BB230_10 Depth=1
	s_or_b32 exec_lo, exec_lo, s18
	v_lshlrev_b32_e32 v8, 16, v6
	v_lshlrev_b32_e32 v0, 20, v26
	v_lshl_add_u32 v7, v7, 23, 0x3c000000
	v_and_b32_e32 v8, 0x80000000, v8
	v_or3_b32 v8, v0, v8, v7
	v_mov_b32_e32 v7, v27
	buffer_store_dword v7, off, s[0:3], s32 offset:1068 ; 4-byte Folded Spill
	buffer_store_dword v8, off, s[0:3], s32 offset:1072 ; 4-byte Folded Spill
.LBB230_888:                            ;   in Loop: Header=BB230_10 Depth=1
	s_or_b32 exec_lo, exec_lo, s17
.LBB230_889:                            ;   in Loop: Header=BB230_10 Depth=1
	s_or_b32 exec_lo, exec_lo, s7
.LBB230_890:                            ;   in Loop: Header=BB230_10 Depth=1
	s_or_b32 exec_lo, exec_lo, s6
	v_mov_b32_e32 v7, 0
	v_mov_b32_e32 v8, 0
	;; [unrolled: 1-line block ×3, first 2 shown]
	s_mov_b32 s6, exec_lo
	buffer_store_dword v7, off, s[0:3], s32 offset:1076 ; 4-byte Folded Spill
	buffer_store_dword v8, off, s[0:3], s32 offset:1080 ; 4-byte Folded Spill
	v_mov_b32_e32 v7, 0
	v_and_b32_sdwa v0, v6, v0 dst_sel:DWORD dst_unused:UNUSED_PAD src0_sel:WORD_1 src1_sel:DWORD
	v_mov_b32_e32 v8, 0
	buffer_store_dword v7, off, s[0:3], s32 offset:1084 ; 4-byte Folded Spill
	buffer_store_dword v8, off, s[0:3], s32 offset:1088 ; 4-byte Folded Spill
	v_cmpx_ne_u16_e32 0, v0
	s_cbranch_execz .LBB230_898
; %bb.891:                              ;   in Loop: Header=BB230_10 Depth=1
	v_bfrev_b32_e32 v7, 1
	v_mov_b32_e32 v8, 0
	s_mov_b32 s7, exec_lo
	buffer_store_dword v7, off, s[0:3], s32 offset:1084 ; 4-byte Folded Spill
	buffer_store_dword v8, off, s[0:3], s32 offset:1088 ; 4-byte Folded Spill
	v_cmpx_ne_u16_e32 0x80, v0
	s_cbranch_execz .LBB230_897
; %bb.892:                              ;   in Loop: Header=BB230_10 Depth=1
	v_mov_b32_e32 v9, 0x7f800001
	v_bfe_u32 v8, v6, 16, 7
	v_mov_b32_e32 v10, 0
	s_mov_b32 s17, exec_lo
	buffer_store_dword v9, off, s[0:3], s32 offset:1084 ; 4-byte Folded Spill
	buffer_store_dword v10, off, s[0:3], s32 offset:1088 ; 4-byte Folded Spill
	v_cmpx_ne_u32_e32 0x7f, v8
	s_cbranch_execz .LBB230_896
; %bb.893:                              ;   in Loop: Header=BB230_10 Depth=1
	v_mov_b32_e32 v0, 7
	v_lshrrev_b32_e32 v7, 3, v8
	s_mov_b32 s18, exec_lo
	v_and_b32_sdwa v26, v6, v0 dst_sel:DWORD dst_unused:UNUSED_PAD src0_sel:WORD_1 src1_sel:DWORD
	v_cmpx_gt_u32_e32 8, v8
; %bb.894:                              ;   in Loop: Header=BB230_10 Depth=1
	v_ffbh_u32_e32 v7, v26
	v_min_u32_e32 v7, 32, v7
	v_subrev_nc_u32_e32 v8, 28, v7
	v_sub_nc_u32_e32 v7, 29, v7
	v_lshlrev_b64 v[8:9], v8, v[26:27]
	v_and_b32_e32 v26, 7, v8
; %bb.895:                              ;   in Loop: Header=BB230_10 Depth=1
	s_or_b32 exec_lo, exec_lo, s18
	v_mov_b32_e32 v0, 24
	v_lshl_add_u32 v7, v7, 23, 0x3c000000
	v_lshlrev_b32_sdwa v8, v0, v6 dst_sel:DWORD dst_unused:UNUSED_PAD src0_sel:DWORD src1_sel:WORD_1
	v_lshlrev_b32_e32 v0, 20, v26
	v_and_b32_e32 v8, 0x80000000, v8
	v_or3_b32 v26, v0, v8, v7
	buffer_store_dword v26, off, s[0:3], s32 offset:1084 ; 4-byte Folded Spill
	buffer_store_dword v27, off, s[0:3], s32 offset:1088 ; 4-byte Folded Spill
.LBB230_896:                            ;   in Loop: Header=BB230_10 Depth=1
	s_or_b32 exec_lo, exec_lo, s17
.LBB230_897:                            ;   in Loop: Header=BB230_10 Depth=1
	s_or_b32 exec_lo, exec_lo, s7
.LBB230_898:                            ;   in Loop: Header=BB230_10 Depth=1
	s_or_b32 exec_lo, exec_lo, s6
	s_mov_b32 s6, exec_lo
	v_cmpx_lt_u32_e32 0xffffff, v6
	s_cbranch_execz .LBB230_906
; %bb.899:                              ;   in Loop: Header=BB230_10 Depth=1
	v_mov_b32_e32 v0, 0x80
	v_mov_b32_e32 v76, v27
	buffer_store_dword v76, off, s[0:3], s32 offset:1076 ; 4-byte Folded Spill
	buffer_store_dword v77, off, s[0:3], s32 offset:1080 ; 4-byte Folded Spill
	v_cmp_ne_u32_sdwa s5, v6, v0 src0_sel:BYTE_3 src1_sel:DWORD
	s_and_saveexec_b32 s7, s5
	s_cbranch_execz .LBB230_905
; %bb.900:                              ;   in Loop: Header=BB230_10 Depth=1
	v_bfe_u32 v8, v6, 24, 7
	v_mov_b32_e32 v106, v27
	s_mov_b32 s17, exec_lo
	buffer_store_dword v106, off, s[0:3], s32 offset:1076 ; 4-byte Folded Spill
	buffer_store_dword v107, off, s[0:3], s32 offset:1080 ; 4-byte Folded Spill
	v_cmpx_ne_u32_e32 0x7f, v8
	s_cbranch_execz .LBB230_904
; %bb.901:                              ;   in Loop: Header=BB230_10 Depth=1
	v_mov_b32_e32 v0, 7
	v_lshrrev_b32_e32 v7, 3, v8
	s_mov_b32 s18, exec_lo
	v_and_b32_sdwa v26, v6, v0 dst_sel:DWORD dst_unused:UNUSED_PAD src0_sel:BYTE_3 src1_sel:DWORD
	v_cmpx_gt_u32_e32 8, v8
; %bb.902:                              ;   in Loop: Header=BB230_10 Depth=1
	v_ffbh_u32_e32 v7, v26
	v_min_u32_e32 v7, 32, v7
	v_subrev_nc_u32_e32 v8, 28, v7
	v_sub_nc_u32_e32 v7, 29, v7
	v_lshlrev_b64 v[8:9], v8, v[26:27]
	v_and_b32_e32 v26, 7, v8
; %bb.903:                              ;   in Loop: Header=BB230_10 Depth=1
	s_or_b32 exec_lo, exec_lo, s18
	v_mov_b32_e32 v0, 24
	v_lshl_add_u32 v7, v7, 23, 0x3c000000
	v_lshlrev_b32_sdwa v6, v0, v6 dst_sel:DWORD dst_unused:UNUSED_PAD src0_sel:DWORD src1_sel:BYTE_3
	v_lshlrev_b32_e32 v0, 20, v26
	v_and_b32_e32 v6, 0x80000000, v6
	v_or3_b32 v7, v0, v6, v7
	v_mov_b32_e32 v6, v27
	buffer_store_dword v6, off, s[0:3], s32 offset:1076 ; 4-byte Folded Spill
	buffer_store_dword v7, off, s[0:3], s32 offset:1080 ; 4-byte Folded Spill
.LBB230_904:                            ;   in Loop: Header=BB230_10 Depth=1
	s_or_b32 exec_lo, exec_lo, s17
.LBB230_905:                            ;   in Loop: Header=BB230_10 Depth=1
	s_or_b32 exec_lo, exec_lo, s7
.LBB230_906:                            ;   in Loop: Header=BB230_10 Depth=1
	s_or_b32 exec_lo, exec_lo, s6
	flat_load_dword v6, v[4:5] offset:1536
	v_mov_b32_e32 v7, 0
	v_mov_b32_e32 v8, 0
	buffer_store_dword v7, off, s[0:3], s32 offset:1100 ; 4-byte Folded Spill
	buffer_store_dword v8, off, s[0:3], s32 offset:1104 ; 4-byte Folded Spill
	v_mov_b32_e32 v7, 0
	v_mov_b32_e32 v8, 0
	buffer_store_dword v7, off, s[0:3], s32 offset:1092 ; 4-byte Folded Spill
	buffer_store_dword v8, off, s[0:3], s32 offset:1096 ; 4-byte Folded Spill
	s_waitcnt vmcnt(0) lgkmcnt(0)
	v_cmp_ne_u16_sdwa s5, v6, v27 src0_sel:BYTE_0 src1_sel:DWORD
	s_and_saveexec_b32 s6, s5
	s_cbranch_execz .LBB230_914
; %bb.907:                              ;   in Loop: Header=BB230_10 Depth=1
	v_mov_b32_e32 v0, 0x80
	v_bfrev_b32_e32 v7, 1
	v_mov_b32_e32 v8, 0
	buffer_store_dword v7, off, s[0:3], s32 offset:1092 ; 4-byte Folded Spill
	buffer_store_dword v8, off, s[0:3], s32 offset:1096 ; 4-byte Folded Spill
	v_cmp_ne_u16_sdwa s5, v6, v0 src0_sel:BYTE_0 src1_sel:DWORD
	s_and_saveexec_b32 s7, s5
	s_cbranch_execz .LBB230_913
; %bb.908:                              ;   in Loop: Header=BB230_10 Depth=1
	v_mov_b32_e32 v9, 0x7f800001
	v_and_b32_e32 v8, 0x7f, v6
	v_mov_b32_e32 v10, 0
	s_mov_b32 s17, exec_lo
	buffer_store_dword v9, off, s[0:3], s32 offset:1092 ; 4-byte Folded Spill
	buffer_store_dword v10, off, s[0:3], s32 offset:1096 ; 4-byte Folded Spill
	v_cmpx_ne_u32_e32 0x7f, v8
	s_cbranch_execz .LBB230_912
; %bb.909:                              ;   in Loop: Header=BB230_10 Depth=1
	v_and_b32_e32 v26, 7, v6
	v_lshrrev_b32_e32 v7, 3, v8
	s_mov_b32 s18, exec_lo
	v_cmpx_gt_u32_e32 8, v8
; %bb.910:                              ;   in Loop: Header=BB230_10 Depth=1
	v_ffbh_u32_e32 v7, v26
	v_min_u32_e32 v7, 32, v7
	v_subrev_nc_u32_e32 v8, 28, v7
	v_sub_nc_u32_e32 v7, 29, v7
	v_lshlrev_b64 v[8:9], v8, v[26:27]
	v_and_b32_e32 v26, 7, v8
; %bb.911:                              ;   in Loop: Header=BB230_10 Depth=1
	s_or_b32 exec_lo, exec_lo, s18
	v_lshlrev_b32_e32 v8, 24, v6
	v_lshlrev_b32_e32 v0, 20, v26
	v_lshl_add_u32 v7, v7, 23, 0x3c000000
	v_and_b32_e32 v8, 0x80000000, v8
	v_or3_b32 v26, v0, v8, v7
	buffer_store_dword v26, off, s[0:3], s32 offset:1092 ; 4-byte Folded Spill
	buffer_store_dword v27, off, s[0:3], s32 offset:1096 ; 4-byte Folded Spill
.LBB230_912:                            ;   in Loop: Header=BB230_10 Depth=1
	s_or_b32 exec_lo, exec_lo, s17
.LBB230_913:                            ;   in Loop: Header=BB230_10 Depth=1
	s_or_b32 exec_lo, exec_lo, s7
.LBB230_914:                            ;   in Loop: Header=BB230_10 Depth=1
	s_or_b32 exec_lo, exec_lo, s6
	v_cmp_ne_u16_sdwa s5, v6, v27 src0_sel:BYTE_1 src1_sel:DWORD
	s_and_saveexec_b32 s6, s5
	s_cbranch_execz .LBB230_922
; %bb.915:                              ;   in Loop: Header=BB230_10 Depth=1
	v_mov_b32_e32 v0, 0x80
	v_mov_b32_e32 v76, v27
	buffer_store_dword v76, off, s[0:3], s32 offset:1100 ; 4-byte Folded Spill
	buffer_store_dword v77, off, s[0:3], s32 offset:1104 ; 4-byte Folded Spill
	v_cmp_ne_u16_sdwa s5, v6, v0 src0_sel:BYTE_1 src1_sel:DWORD
	s_and_saveexec_b32 s7, s5
	s_cbranch_execz .LBB230_921
; %bb.916:                              ;   in Loop: Header=BB230_10 Depth=1
	v_mov_b32_e32 v0, 0xffff
	v_mov_b32_e32 v106, v27
	s_mov_b32 s17, exec_lo
	buffer_store_dword v106, off, s[0:3], s32 offset:1100 ; 4-byte Folded Spill
	buffer_store_dword v107, off, s[0:3], s32 offset:1104 ; 4-byte Folded Spill
	v_and_b32_sdwa v0, v0, v6 dst_sel:DWORD dst_unused:UNUSED_PAD src0_sel:DWORD src1_sel:BYTE_1
	v_and_b32_e32 v8, 0x7f, v0
	v_cmpx_ne_u32_e32 0x7f, v8
	s_cbranch_execz .LBB230_920
; %bb.917:                              ;   in Loop: Header=BB230_10 Depth=1
	v_and_b32_e32 v26, 7, v0
	v_lshrrev_b32_e32 v7, 3, v8
	s_mov_b32 s18, exec_lo
	v_cmpx_gt_u32_e32 8, v8
; %bb.918:                              ;   in Loop: Header=BB230_10 Depth=1
	v_ffbh_u32_e32 v7, v26
	v_min_u32_e32 v7, 32, v7
	v_subrev_nc_u32_e32 v8, 28, v7
	v_sub_nc_u32_e32 v7, 29, v7
	v_lshlrev_b64 v[8:9], v8, v[26:27]
	v_and_b32_e32 v26, 7, v8
; %bb.919:                              ;   in Loop: Header=BB230_10 Depth=1
	s_or_b32 exec_lo, exec_lo, s18
	v_lshlrev_b32_e32 v8, 16, v6
	v_lshlrev_b32_e32 v0, 20, v26
	v_lshl_add_u32 v7, v7, 23, 0x3c000000
	v_and_b32_e32 v8, 0x80000000, v8
	v_or3_b32 v8, v0, v8, v7
	v_mov_b32_e32 v7, v27
	buffer_store_dword v7, off, s[0:3], s32 offset:1100 ; 4-byte Folded Spill
	buffer_store_dword v8, off, s[0:3], s32 offset:1104 ; 4-byte Folded Spill
.LBB230_920:                            ;   in Loop: Header=BB230_10 Depth=1
	s_or_b32 exec_lo, exec_lo, s17
.LBB230_921:                            ;   in Loop: Header=BB230_10 Depth=1
	s_or_b32 exec_lo, exec_lo, s7
.LBB230_922:                            ;   in Loop: Header=BB230_10 Depth=1
	s_or_b32 exec_lo, exec_lo, s6
	v_mov_b32_e32 v7, 0
	v_mov_b32_e32 v8, 0
	;; [unrolled: 1-line block ×3, first 2 shown]
	s_mov_b32 s6, exec_lo
	buffer_store_dword v7, off, s[0:3], s32 offset:1108 ; 4-byte Folded Spill
	buffer_store_dword v8, off, s[0:3], s32 offset:1112 ; 4-byte Folded Spill
	v_mov_b32_e32 v7, 0
	v_and_b32_sdwa v0, v6, v0 dst_sel:DWORD dst_unused:UNUSED_PAD src0_sel:WORD_1 src1_sel:DWORD
	v_mov_b32_e32 v8, 0
	buffer_store_dword v7, off, s[0:3], s32 offset:1116 ; 4-byte Folded Spill
	buffer_store_dword v8, off, s[0:3], s32 offset:1120 ; 4-byte Folded Spill
	v_cmpx_ne_u16_e32 0, v0
	s_cbranch_execz .LBB230_930
; %bb.923:                              ;   in Loop: Header=BB230_10 Depth=1
	v_bfrev_b32_e32 v7, 1
	v_mov_b32_e32 v8, 0
	s_mov_b32 s7, exec_lo
	buffer_store_dword v7, off, s[0:3], s32 offset:1116 ; 4-byte Folded Spill
	buffer_store_dword v8, off, s[0:3], s32 offset:1120 ; 4-byte Folded Spill
	v_cmpx_ne_u16_e32 0x80, v0
	s_cbranch_execz .LBB230_929
; %bb.924:                              ;   in Loop: Header=BB230_10 Depth=1
	v_mov_b32_e32 v9, 0x7f800001
	v_bfe_u32 v8, v6, 16, 7
	v_mov_b32_e32 v10, 0
	s_mov_b32 s17, exec_lo
	buffer_store_dword v9, off, s[0:3], s32 offset:1116 ; 4-byte Folded Spill
	buffer_store_dword v10, off, s[0:3], s32 offset:1120 ; 4-byte Folded Spill
	v_cmpx_ne_u32_e32 0x7f, v8
	s_cbranch_execz .LBB230_928
; %bb.925:                              ;   in Loop: Header=BB230_10 Depth=1
	v_mov_b32_e32 v0, 7
	v_lshrrev_b32_e32 v7, 3, v8
	s_mov_b32 s18, exec_lo
	v_and_b32_sdwa v26, v6, v0 dst_sel:DWORD dst_unused:UNUSED_PAD src0_sel:WORD_1 src1_sel:DWORD
	v_cmpx_gt_u32_e32 8, v8
; %bb.926:                              ;   in Loop: Header=BB230_10 Depth=1
	v_ffbh_u32_e32 v7, v26
	v_min_u32_e32 v7, 32, v7
	v_subrev_nc_u32_e32 v8, 28, v7
	v_sub_nc_u32_e32 v7, 29, v7
	v_lshlrev_b64 v[8:9], v8, v[26:27]
	v_and_b32_e32 v26, 7, v8
; %bb.927:                              ;   in Loop: Header=BB230_10 Depth=1
	s_or_b32 exec_lo, exec_lo, s18
	v_mov_b32_e32 v0, 24
	v_lshl_add_u32 v7, v7, 23, 0x3c000000
	v_lshlrev_b32_sdwa v8, v0, v6 dst_sel:DWORD dst_unused:UNUSED_PAD src0_sel:DWORD src1_sel:WORD_1
	v_lshlrev_b32_e32 v0, 20, v26
	v_and_b32_e32 v8, 0x80000000, v8
	v_or3_b32 v26, v0, v8, v7
	buffer_store_dword v26, off, s[0:3], s32 offset:1116 ; 4-byte Folded Spill
	buffer_store_dword v27, off, s[0:3], s32 offset:1120 ; 4-byte Folded Spill
.LBB230_928:                            ;   in Loop: Header=BB230_10 Depth=1
	s_or_b32 exec_lo, exec_lo, s17
.LBB230_929:                            ;   in Loop: Header=BB230_10 Depth=1
	s_or_b32 exec_lo, exec_lo, s7
.LBB230_930:                            ;   in Loop: Header=BB230_10 Depth=1
	s_or_b32 exec_lo, exec_lo, s6
	s_mov_b32 s6, exec_lo
	v_cmpx_lt_u32_e32 0xffffff, v6
	s_cbranch_execz .LBB230_938
; %bb.931:                              ;   in Loop: Header=BB230_10 Depth=1
	v_mov_b32_e32 v0, 0x80
	v_mov_b32_e32 v76, v27
	buffer_store_dword v76, off, s[0:3], s32 offset:1108 ; 4-byte Folded Spill
	buffer_store_dword v77, off, s[0:3], s32 offset:1112 ; 4-byte Folded Spill
	v_cmp_ne_u32_sdwa s5, v6, v0 src0_sel:BYTE_3 src1_sel:DWORD
	s_and_saveexec_b32 s7, s5
	s_cbranch_execz .LBB230_937
; %bb.932:                              ;   in Loop: Header=BB230_10 Depth=1
	v_bfe_u32 v8, v6, 24, 7
	v_mov_b32_e32 v106, v27
	s_mov_b32 s17, exec_lo
	buffer_store_dword v106, off, s[0:3], s32 offset:1108 ; 4-byte Folded Spill
	buffer_store_dword v107, off, s[0:3], s32 offset:1112 ; 4-byte Folded Spill
	v_cmpx_ne_u32_e32 0x7f, v8
	s_cbranch_execz .LBB230_936
; %bb.933:                              ;   in Loop: Header=BB230_10 Depth=1
	v_mov_b32_e32 v0, 7
	v_lshrrev_b32_e32 v7, 3, v8
	s_mov_b32 s18, exec_lo
	v_and_b32_sdwa v26, v6, v0 dst_sel:DWORD dst_unused:UNUSED_PAD src0_sel:BYTE_3 src1_sel:DWORD
	v_cmpx_gt_u32_e32 8, v8
; %bb.934:                              ;   in Loop: Header=BB230_10 Depth=1
	v_ffbh_u32_e32 v7, v26
	v_min_u32_e32 v7, 32, v7
	v_subrev_nc_u32_e32 v8, 28, v7
	v_sub_nc_u32_e32 v7, 29, v7
	v_lshlrev_b64 v[8:9], v8, v[26:27]
	v_and_b32_e32 v26, 7, v8
; %bb.935:                              ;   in Loop: Header=BB230_10 Depth=1
	s_or_b32 exec_lo, exec_lo, s18
	v_mov_b32_e32 v0, 24
	v_lshl_add_u32 v7, v7, 23, 0x3c000000
	v_lshlrev_b32_sdwa v6, v0, v6 dst_sel:DWORD dst_unused:UNUSED_PAD src0_sel:DWORD src1_sel:BYTE_3
	v_lshlrev_b32_e32 v0, 20, v26
	v_and_b32_e32 v6, 0x80000000, v6
	v_or3_b32 v7, v0, v6, v7
	v_mov_b32_e32 v6, v27
	buffer_store_dword v6, off, s[0:3], s32 offset:1108 ; 4-byte Folded Spill
	buffer_store_dword v7, off, s[0:3], s32 offset:1112 ; 4-byte Folded Spill
.LBB230_936:                            ;   in Loop: Header=BB230_10 Depth=1
	s_or_b32 exec_lo, exec_lo, s17
.LBB230_937:                            ;   in Loop: Header=BB230_10 Depth=1
	s_or_b32 exec_lo, exec_lo, s7
.LBB230_938:                            ;   in Loop: Header=BB230_10 Depth=1
	s_or_b32 exec_lo, exec_lo, s6
	flat_load_dword v6, v[4:5] offset:1540
	v_mov_b32_e32 v7, 0
	v_mov_b32_e32 v8, 0
	buffer_store_dword v7, off, s[0:3], s32 offset:1132 ; 4-byte Folded Spill
	buffer_store_dword v8, off, s[0:3], s32 offset:1136 ; 4-byte Folded Spill
	v_mov_b32_e32 v7, 0
	v_mov_b32_e32 v8, 0
	buffer_store_dword v7, off, s[0:3], s32 offset:1124 ; 4-byte Folded Spill
	buffer_store_dword v8, off, s[0:3], s32 offset:1128 ; 4-byte Folded Spill
	s_waitcnt vmcnt(0) lgkmcnt(0)
	v_cmp_ne_u16_sdwa s5, v6, v27 src0_sel:BYTE_0 src1_sel:DWORD
	s_and_saveexec_b32 s6, s5
	s_cbranch_execz .LBB230_946
; %bb.939:                              ;   in Loop: Header=BB230_10 Depth=1
	v_mov_b32_e32 v0, 0x80
	v_bfrev_b32_e32 v7, 1
	v_mov_b32_e32 v8, 0
	buffer_store_dword v7, off, s[0:3], s32 offset:1124 ; 4-byte Folded Spill
	buffer_store_dword v8, off, s[0:3], s32 offset:1128 ; 4-byte Folded Spill
	v_cmp_ne_u16_sdwa s5, v6, v0 src0_sel:BYTE_0 src1_sel:DWORD
	s_and_saveexec_b32 s7, s5
	s_cbranch_execz .LBB230_945
; %bb.940:                              ;   in Loop: Header=BB230_10 Depth=1
	v_mov_b32_e32 v9, 0x7f800001
	v_and_b32_e32 v8, 0x7f, v6
	v_mov_b32_e32 v10, 0
	s_mov_b32 s17, exec_lo
	buffer_store_dword v9, off, s[0:3], s32 offset:1124 ; 4-byte Folded Spill
	buffer_store_dword v10, off, s[0:3], s32 offset:1128 ; 4-byte Folded Spill
	v_cmpx_ne_u32_e32 0x7f, v8
	s_cbranch_execz .LBB230_944
; %bb.941:                              ;   in Loop: Header=BB230_10 Depth=1
	v_and_b32_e32 v26, 7, v6
	v_lshrrev_b32_e32 v7, 3, v8
	s_mov_b32 s18, exec_lo
	v_cmpx_gt_u32_e32 8, v8
; %bb.942:                              ;   in Loop: Header=BB230_10 Depth=1
	v_ffbh_u32_e32 v7, v26
	v_min_u32_e32 v7, 32, v7
	v_subrev_nc_u32_e32 v8, 28, v7
	v_sub_nc_u32_e32 v7, 29, v7
	v_lshlrev_b64 v[8:9], v8, v[26:27]
	v_and_b32_e32 v26, 7, v8
; %bb.943:                              ;   in Loop: Header=BB230_10 Depth=1
	s_or_b32 exec_lo, exec_lo, s18
	v_lshlrev_b32_e32 v8, 24, v6
	v_lshlrev_b32_e32 v0, 20, v26
	v_lshl_add_u32 v7, v7, 23, 0x3c000000
	v_and_b32_e32 v8, 0x80000000, v8
	v_or3_b32 v26, v0, v8, v7
	buffer_store_dword v26, off, s[0:3], s32 offset:1124 ; 4-byte Folded Spill
	buffer_store_dword v27, off, s[0:3], s32 offset:1128 ; 4-byte Folded Spill
.LBB230_944:                            ;   in Loop: Header=BB230_10 Depth=1
	s_or_b32 exec_lo, exec_lo, s17
.LBB230_945:                            ;   in Loop: Header=BB230_10 Depth=1
	s_or_b32 exec_lo, exec_lo, s7
.LBB230_946:                            ;   in Loop: Header=BB230_10 Depth=1
	s_or_b32 exec_lo, exec_lo, s6
	v_cmp_ne_u16_sdwa s5, v6, v27 src0_sel:BYTE_1 src1_sel:DWORD
	s_and_saveexec_b32 s6, s5
	s_cbranch_execz .LBB230_954
; %bb.947:                              ;   in Loop: Header=BB230_10 Depth=1
	v_mov_b32_e32 v0, 0x80
	v_mov_b32_e32 v76, v27
	buffer_store_dword v76, off, s[0:3], s32 offset:1132 ; 4-byte Folded Spill
	buffer_store_dword v77, off, s[0:3], s32 offset:1136 ; 4-byte Folded Spill
	v_cmp_ne_u16_sdwa s5, v6, v0 src0_sel:BYTE_1 src1_sel:DWORD
	s_and_saveexec_b32 s7, s5
	s_cbranch_execz .LBB230_953
; %bb.948:                              ;   in Loop: Header=BB230_10 Depth=1
	v_mov_b32_e32 v0, 0xffff
	v_mov_b32_e32 v106, v27
	s_mov_b32 s17, exec_lo
	buffer_store_dword v106, off, s[0:3], s32 offset:1132 ; 4-byte Folded Spill
	buffer_store_dword v107, off, s[0:3], s32 offset:1136 ; 4-byte Folded Spill
	v_and_b32_sdwa v0, v0, v6 dst_sel:DWORD dst_unused:UNUSED_PAD src0_sel:DWORD src1_sel:BYTE_1
	v_and_b32_e32 v8, 0x7f, v0
	v_cmpx_ne_u32_e32 0x7f, v8
	s_cbranch_execz .LBB230_952
; %bb.949:                              ;   in Loop: Header=BB230_10 Depth=1
	v_and_b32_e32 v26, 7, v0
	v_lshrrev_b32_e32 v7, 3, v8
	s_mov_b32 s18, exec_lo
	v_cmpx_gt_u32_e32 8, v8
; %bb.950:                              ;   in Loop: Header=BB230_10 Depth=1
	v_ffbh_u32_e32 v7, v26
	v_min_u32_e32 v7, 32, v7
	v_subrev_nc_u32_e32 v8, 28, v7
	v_sub_nc_u32_e32 v7, 29, v7
	v_lshlrev_b64 v[8:9], v8, v[26:27]
	v_and_b32_e32 v26, 7, v8
; %bb.951:                              ;   in Loop: Header=BB230_10 Depth=1
	s_or_b32 exec_lo, exec_lo, s18
	v_lshlrev_b32_e32 v8, 16, v6
	v_lshlrev_b32_e32 v0, 20, v26
	v_lshl_add_u32 v7, v7, 23, 0x3c000000
	v_and_b32_e32 v8, 0x80000000, v8
	v_or3_b32 v8, v0, v8, v7
	v_mov_b32_e32 v7, v27
	buffer_store_dword v7, off, s[0:3], s32 offset:1132 ; 4-byte Folded Spill
	buffer_store_dword v8, off, s[0:3], s32 offset:1136 ; 4-byte Folded Spill
.LBB230_952:                            ;   in Loop: Header=BB230_10 Depth=1
	s_or_b32 exec_lo, exec_lo, s17
.LBB230_953:                            ;   in Loop: Header=BB230_10 Depth=1
	s_or_b32 exec_lo, exec_lo, s7
.LBB230_954:                            ;   in Loop: Header=BB230_10 Depth=1
	s_or_b32 exec_lo, exec_lo, s6
	v_mov_b32_e32 v7, 0
	v_mov_b32_e32 v8, 0
	;; [unrolled: 1-line block ×3, first 2 shown]
	s_mov_b32 s6, exec_lo
	buffer_store_dword v7, off, s[0:3], s32 offset:1140 ; 4-byte Folded Spill
	buffer_store_dword v8, off, s[0:3], s32 offset:1144 ; 4-byte Folded Spill
	v_mov_b32_e32 v7, 0
	v_and_b32_sdwa v0, v6, v0 dst_sel:DWORD dst_unused:UNUSED_PAD src0_sel:WORD_1 src1_sel:DWORD
	v_mov_b32_e32 v8, 0
	buffer_store_dword v7, off, s[0:3], s32 offset:1148 ; 4-byte Folded Spill
	buffer_store_dword v8, off, s[0:3], s32 offset:1152 ; 4-byte Folded Spill
	v_cmpx_ne_u16_e32 0, v0
	s_cbranch_execz .LBB230_962
; %bb.955:                              ;   in Loop: Header=BB230_10 Depth=1
	v_bfrev_b32_e32 v7, 1
	v_mov_b32_e32 v8, 0
	s_mov_b32 s7, exec_lo
	buffer_store_dword v7, off, s[0:3], s32 offset:1148 ; 4-byte Folded Spill
	buffer_store_dword v8, off, s[0:3], s32 offset:1152 ; 4-byte Folded Spill
	v_cmpx_ne_u16_e32 0x80, v0
	s_cbranch_execz .LBB230_961
; %bb.956:                              ;   in Loop: Header=BB230_10 Depth=1
	v_mov_b32_e32 v9, 0x7f800001
	v_bfe_u32 v8, v6, 16, 7
	v_mov_b32_e32 v10, 0
	s_mov_b32 s17, exec_lo
	buffer_store_dword v9, off, s[0:3], s32 offset:1148 ; 4-byte Folded Spill
	buffer_store_dword v10, off, s[0:3], s32 offset:1152 ; 4-byte Folded Spill
	v_cmpx_ne_u32_e32 0x7f, v8
	s_cbranch_execz .LBB230_960
; %bb.957:                              ;   in Loop: Header=BB230_10 Depth=1
	v_mov_b32_e32 v0, 7
	v_lshrrev_b32_e32 v7, 3, v8
	s_mov_b32 s18, exec_lo
	v_and_b32_sdwa v26, v6, v0 dst_sel:DWORD dst_unused:UNUSED_PAD src0_sel:WORD_1 src1_sel:DWORD
	v_cmpx_gt_u32_e32 8, v8
; %bb.958:                              ;   in Loop: Header=BB230_10 Depth=1
	v_ffbh_u32_e32 v7, v26
	v_min_u32_e32 v7, 32, v7
	v_subrev_nc_u32_e32 v8, 28, v7
	v_sub_nc_u32_e32 v7, 29, v7
	v_lshlrev_b64 v[8:9], v8, v[26:27]
	v_and_b32_e32 v26, 7, v8
; %bb.959:                              ;   in Loop: Header=BB230_10 Depth=1
	s_or_b32 exec_lo, exec_lo, s18
	v_mov_b32_e32 v0, 24
	v_lshl_add_u32 v7, v7, 23, 0x3c000000
	v_lshlrev_b32_sdwa v8, v0, v6 dst_sel:DWORD dst_unused:UNUSED_PAD src0_sel:DWORD src1_sel:WORD_1
	v_lshlrev_b32_e32 v0, 20, v26
	v_and_b32_e32 v8, 0x80000000, v8
	v_or3_b32 v26, v0, v8, v7
	buffer_store_dword v26, off, s[0:3], s32 offset:1148 ; 4-byte Folded Spill
	buffer_store_dword v27, off, s[0:3], s32 offset:1152 ; 4-byte Folded Spill
.LBB230_960:                            ;   in Loop: Header=BB230_10 Depth=1
	s_or_b32 exec_lo, exec_lo, s17
.LBB230_961:                            ;   in Loop: Header=BB230_10 Depth=1
	s_or_b32 exec_lo, exec_lo, s7
.LBB230_962:                            ;   in Loop: Header=BB230_10 Depth=1
	s_or_b32 exec_lo, exec_lo, s6
	s_mov_b32 s6, exec_lo
	v_cmpx_lt_u32_e32 0xffffff, v6
	s_cbranch_execz .LBB230_970
; %bb.963:                              ;   in Loop: Header=BB230_10 Depth=1
	v_mov_b32_e32 v0, 0x80
	v_mov_b32_e32 v76, v27
	buffer_store_dword v76, off, s[0:3], s32 offset:1140 ; 4-byte Folded Spill
	buffer_store_dword v77, off, s[0:3], s32 offset:1144 ; 4-byte Folded Spill
	v_cmp_ne_u32_sdwa s5, v6, v0 src0_sel:BYTE_3 src1_sel:DWORD
	s_and_saveexec_b32 s7, s5
	s_cbranch_execz .LBB230_969
; %bb.964:                              ;   in Loop: Header=BB230_10 Depth=1
	v_bfe_u32 v8, v6, 24, 7
	v_mov_b32_e32 v106, v27
	s_mov_b32 s17, exec_lo
	buffer_store_dword v106, off, s[0:3], s32 offset:1140 ; 4-byte Folded Spill
	buffer_store_dword v107, off, s[0:3], s32 offset:1144 ; 4-byte Folded Spill
	v_cmpx_ne_u32_e32 0x7f, v8
	s_cbranch_execz .LBB230_968
; %bb.965:                              ;   in Loop: Header=BB230_10 Depth=1
	v_mov_b32_e32 v0, 7
	v_lshrrev_b32_e32 v7, 3, v8
	s_mov_b32 s18, exec_lo
	v_and_b32_sdwa v26, v6, v0 dst_sel:DWORD dst_unused:UNUSED_PAD src0_sel:BYTE_3 src1_sel:DWORD
	v_cmpx_gt_u32_e32 8, v8
; %bb.966:                              ;   in Loop: Header=BB230_10 Depth=1
	v_ffbh_u32_e32 v7, v26
	v_min_u32_e32 v7, 32, v7
	v_subrev_nc_u32_e32 v8, 28, v7
	v_sub_nc_u32_e32 v7, 29, v7
	v_lshlrev_b64 v[8:9], v8, v[26:27]
	v_and_b32_e32 v26, 7, v8
; %bb.967:                              ;   in Loop: Header=BB230_10 Depth=1
	s_or_b32 exec_lo, exec_lo, s18
	v_mov_b32_e32 v0, 24
	v_lshl_add_u32 v7, v7, 23, 0x3c000000
	v_lshlrev_b32_sdwa v6, v0, v6 dst_sel:DWORD dst_unused:UNUSED_PAD src0_sel:DWORD src1_sel:BYTE_3
	v_lshlrev_b32_e32 v0, 20, v26
	v_and_b32_e32 v6, 0x80000000, v6
	v_or3_b32 v7, v0, v6, v7
	v_mov_b32_e32 v6, v27
	buffer_store_dword v6, off, s[0:3], s32 offset:1140 ; 4-byte Folded Spill
	buffer_store_dword v7, off, s[0:3], s32 offset:1144 ; 4-byte Folded Spill
.LBB230_968:                            ;   in Loop: Header=BB230_10 Depth=1
	s_or_b32 exec_lo, exec_lo, s17
.LBB230_969:                            ;   in Loop: Header=BB230_10 Depth=1
	s_or_b32 exec_lo, exec_lo, s7
.LBB230_970:                            ;   in Loop: Header=BB230_10 Depth=1
	s_or_b32 exec_lo, exec_lo, s6
	flat_load_dword v6, v[4:5] offset:1544
	v_mov_b32_e32 v7, 0
	v_mov_b32_e32 v8, 0
	buffer_store_dword v7, off, s[0:3], s32 offset:1164 ; 4-byte Folded Spill
	buffer_store_dword v8, off, s[0:3], s32 offset:1168 ; 4-byte Folded Spill
	v_mov_b32_e32 v7, 0
	v_mov_b32_e32 v8, 0
	buffer_store_dword v7, off, s[0:3], s32 offset:1156 ; 4-byte Folded Spill
	buffer_store_dword v8, off, s[0:3], s32 offset:1160 ; 4-byte Folded Spill
	s_waitcnt vmcnt(0) lgkmcnt(0)
	v_cmp_ne_u16_sdwa s5, v6, v27 src0_sel:BYTE_0 src1_sel:DWORD
	s_and_saveexec_b32 s6, s5
	s_cbranch_execz .LBB230_978
; %bb.971:                              ;   in Loop: Header=BB230_10 Depth=1
	v_mov_b32_e32 v0, 0x80
	v_bfrev_b32_e32 v7, 1
	v_mov_b32_e32 v8, 0
	buffer_store_dword v7, off, s[0:3], s32 offset:1156 ; 4-byte Folded Spill
	buffer_store_dword v8, off, s[0:3], s32 offset:1160 ; 4-byte Folded Spill
	v_cmp_ne_u16_sdwa s5, v6, v0 src0_sel:BYTE_0 src1_sel:DWORD
	s_and_saveexec_b32 s7, s5
	s_cbranch_execz .LBB230_977
; %bb.972:                              ;   in Loop: Header=BB230_10 Depth=1
	v_mov_b32_e32 v9, 0x7f800001
	v_and_b32_e32 v8, 0x7f, v6
	v_mov_b32_e32 v10, 0
	s_mov_b32 s17, exec_lo
	buffer_store_dword v9, off, s[0:3], s32 offset:1156 ; 4-byte Folded Spill
	buffer_store_dword v10, off, s[0:3], s32 offset:1160 ; 4-byte Folded Spill
	v_cmpx_ne_u32_e32 0x7f, v8
	s_cbranch_execz .LBB230_976
; %bb.973:                              ;   in Loop: Header=BB230_10 Depth=1
	v_and_b32_e32 v26, 7, v6
	v_lshrrev_b32_e32 v7, 3, v8
	s_mov_b32 s18, exec_lo
	v_cmpx_gt_u32_e32 8, v8
; %bb.974:                              ;   in Loop: Header=BB230_10 Depth=1
	v_ffbh_u32_e32 v7, v26
	v_min_u32_e32 v7, 32, v7
	v_subrev_nc_u32_e32 v8, 28, v7
	v_sub_nc_u32_e32 v7, 29, v7
	v_lshlrev_b64 v[8:9], v8, v[26:27]
	v_and_b32_e32 v26, 7, v8
; %bb.975:                              ;   in Loop: Header=BB230_10 Depth=1
	s_or_b32 exec_lo, exec_lo, s18
	v_lshlrev_b32_e32 v8, 24, v6
	v_lshlrev_b32_e32 v0, 20, v26
	v_lshl_add_u32 v7, v7, 23, 0x3c000000
	v_and_b32_e32 v8, 0x80000000, v8
	v_or3_b32 v26, v0, v8, v7
	buffer_store_dword v26, off, s[0:3], s32 offset:1156 ; 4-byte Folded Spill
	buffer_store_dword v27, off, s[0:3], s32 offset:1160 ; 4-byte Folded Spill
.LBB230_976:                            ;   in Loop: Header=BB230_10 Depth=1
	s_or_b32 exec_lo, exec_lo, s17
.LBB230_977:                            ;   in Loop: Header=BB230_10 Depth=1
	s_or_b32 exec_lo, exec_lo, s7
.LBB230_978:                            ;   in Loop: Header=BB230_10 Depth=1
	s_or_b32 exec_lo, exec_lo, s6
	v_cmp_ne_u16_sdwa s5, v6, v27 src0_sel:BYTE_1 src1_sel:DWORD
	s_and_saveexec_b32 s6, s5
	s_cbranch_execz .LBB230_986
; %bb.979:                              ;   in Loop: Header=BB230_10 Depth=1
	v_mov_b32_e32 v0, 0x80
	v_mov_b32_e32 v76, v27
	buffer_store_dword v76, off, s[0:3], s32 offset:1164 ; 4-byte Folded Spill
	buffer_store_dword v77, off, s[0:3], s32 offset:1168 ; 4-byte Folded Spill
	v_cmp_ne_u16_sdwa s5, v6, v0 src0_sel:BYTE_1 src1_sel:DWORD
	s_and_saveexec_b32 s7, s5
	s_cbranch_execz .LBB230_985
; %bb.980:                              ;   in Loop: Header=BB230_10 Depth=1
	v_mov_b32_e32 v0, 0xffff
	v_mov_b32_e32 v106, v27
	s_mov_b32 s17, exec_lo
	buffer_store_dword v106, off, s[0:3], s32 offset:1164 ; 4-byte Folded Spill
	buffer_store_dword v107, off, s[0:3], s32 offset:1168 ; 4-byte Folded Spill
	v_and_b32_sdwa v0, v0, v6 dst_sel:DWORD dst_unused:UNUSED_PAD src0_sel:DWORD src1_sel:BYTE_1
	v_and_b32_e32 v8, 0x7f, v0
	v_cmpx_ne_u32_e32 0x7f, v8
	s_cbranch_execz .LBB230_984
; %bb.981:                              ;   in Loop: Header=BB230_10 Depth=1
	v_and_b32_e32 v26, 7, v0
	v_lshrrev_b32_e32 v7, 3, v8
	s_mov_b32 s18, exec_lo
	v_cmpx_gt_u32_e32 8, v8
; %bb.982:                              ;   in Loop: Header=BB230_10 Depth=1
	v_ffbh_u32_e32 v7, v26
	v_min_u32_e32 v7, 32, v7
	v_subrev_nc_u32_e32 v8, 28, v7
	v_sub_nc_u32_e32 v7, 29, v7
	v_lshlrev_b64 v[8:9], v8, v[26:27]
	v_and_b32_e32 v26, 7, v8
; %bb.983:                              ;   in Loop: Header=BB230_10 Depth=1
	s_or_b32 exec_lo, exec_lo, s18
	v_lshlrev_b32_e32 v8, 16, v6
	v_lshlrev_b32_e32 v0, 20, v26
	v_lshl_add_u32 v7, v7, 23, 0x3c000000
	v_and_b32_e32 v8, 0x80000000, v8
	v_or3_b32 v8, v0, v8, v7
	v_mov_b32_e32 v7, v27
	buffer_store_dword v7, off, s[0:3], s32 offset:1164 ; 4-byte Folded Spill
	buffer_store_dword v8, off, s[0:3], s32 offset:1168 ; 4-byte Folded Spill
.LBB230_984:                            ;   in Loop: Header=BB230_10 Depth=1
	s_or_b32 exec_lo, exec_lo, s17
.LBB230_985:                            ;   in Loop: Header=BB230_10 Depth=1
	s_or_b32 exec_lo, exec_lo, s7
.LBB230_986:                            ;   in Loop: Header=BB230_10 Depth=1
	s_or_b32 exec_lo, exec_lo, s6
	v_mov_b32_e32 v7, 0
	v_mov_b32_e32 v8, 0
	;; [unrolled: 1-line block ×3, first 2 shown]
	s_mov_b32 s6, exec_lo
	buffer_store_dword v7, off, s[0:3], s32 offset:1172 ; 4-byte Folded Spill
	buffer_store_dword v8, off, s[0:3], s32 offset:1176 ; 4-byte Folded Spill
	v_mov_b32_e32 v7, 0
	v_and_b32_sdwa v0, v6, v0 dst_sel:DWORD dst_unused:UNUSED_PAD src0_sel:WORD_1 src1_sel:DWORD
	v_mov_b32_e32 v8, 0
	buffer_store_dword v7, off, s[0:3], s32 offset:1180 ; 4-byte Folded Spill
	buffer_store_dword v8, off, s[0:3], s32 offset:1184 ; 4-byte Folded Spill
	v_cmpx_ne_u16_e32 0, v0
	s_cbranch_execz .LBB230_994
; %bb.987:                              ;   in Loop: Header=BB230_10 Depth=1
	v_bfrev_b32_e32 v7, 1
	v_mov_b32_e32 v8, 0
	s_mov_b32 s7, exec_lo
	buffer_store_dword v7, off, s[0:3], s32 offset:1180 ; 4-byte Folded Spill
	buffer_store_dword v8, off, s[0:3], s32 offset:1184 ; 4-byte Folded Spill
	v_cmpx_ne_u16_e32 0x80, v0
	s_cbranch_execz .LBB230_993
; %bb.988:                              ;   in Loop: Header=BB230_10 Depth=1
	v_mov_b32_e32 v9, 0x7f800001
	v_bfe_u32 v8, v6, 16, 7
	v_mov_b32_e32 v10, 0
	s_mov_b32 s17, exec_lo
	buffer_store_dword v9, off, s[0:3], s32 offset:1180 ; 4-byte Folded Spill
	buffer_store_dword v10, off, s[0:3], s32 offset:1184 ; 4-byte Folded Spill
	v_cmpx_ne_u32_e32 0x7f, v8
	s_cbranch_execz .LBB230_992
; %bb.989:                              ;   in Loop: Header=BB230_10 Depth=1
	v_mov_b32_e32 v0, 7
	v_lshrrev_b32_e32 v7, 3, v8
	s_mov_b32 s18, exec_lo
	v_and_b32_sdwa v26, v6, v0 dst_sel:DWORD dst_unused:UNUSED_PAD src0_sel:WORD_1 src1_sel:DWORD
	v_cmpx_gt_u32_e32 8, v8
; %bb.990:                              ;   in Loop: Header=BB230_10 Depth=1
	v_ffbh_u32_e32 v7, v26
	v_min_u32_e32 v7, 32, v7
	v_subrev_nc_u32_e32 v8, 28, v7
	v_sub_nc_u32_e32 v7, 29, v7
	v_lshlrev_b64 v[8:9], v8, v[26:27]
	v_and_b32_e32 v26, 7, v8
; %bb.991:                              ;   in Loop: Header=BB230_10 Depth=1
	s_or_b32 exec_lo, exec_lo, s18
	v_mov_b32_e32 v0, 24
	v_lshl_add_u32 v7, v7, 23, 0x3c000000
	v_lshlrev_b32_sdwa v8, v0, v6 dst_sel:DWORD dst_unused:UNUSED_PAD src0_sel:DWORD src1_sel:WORD_1
	v_lshlrev_b32_e32 v0, 20, v26
	v_and_b32_e32 v8, 0x80000000, v8
	v_or3_b32 v26, v0, v8, v7
	buffer_store_dword v26, off, s[0:3], s32 offset:1180 ; 4-byte Folded Spill
	buffer_store_dword v27, off, s[0:3], s32 offset:1184 ; 4-byte Folded Spill
.LBB230_992:                            ;   in Loop: Header=BB230_10 Depth=1
	s_or_b32 exec_lo, exec_lo, s17
.LBB230_993:                            ;   in Loop: Header=BB230_10 Depth=1
	s_or_b32 exec_lo, exec_lo, s7
.LBB230_994:                            ;   in Loop: Header=BB230_10 Depth=1
	s_or_b32 exec_lo, exec_lo, s6
	s_mov_b32 s6, exec_lo
	v_cmpx_lt_u32_e32 0xffffff, v6
	s_cbranch_execz .LBB230_1002
; %bb.995:                              ;   in Loop: Header=BB230_10 Depth=1
	v_mov_b32_e32 v0, 0x80
	v_mov_b32_e32 v76, v27
	buffer_store_dword v76, off, s[0:3], s32 offset:1172 ; 4-byte Folded Spill
	buffer_store_dword v77, off, s[0:3], s32 offset:1176 ; 4-byte Folded Spill
	v_cmp_ne_u32_sdwa s5, v6, v0 src0_sel:BYTE_3 src1_sel:DWORD
	s_and_saveexec_b32 s7, s5
	s_cbranch_execz .LBB230_1001
; %bb.996:                              ;   in Loop: Header=BB230_10 Depth=1
	v_bfe_u32 v8, v6, 24, 7
	v_mov_b32_e32 v106, v27
	s_mov_b32 s17, exec_lo
	buffer_store_dword v106, off, s[0:3], s32 offset:1172 ; 4-byte Folded Spill
	buffer_store_dword v107, off, s[0:3], s32 offset:1176 ; 4-byte Folded Spill
	v_cmpx_ne_u32_e32 0x7f, v8
	s_cbranch_execz .LBB230_1000
; %bb.997:                              ;   in Loop: Header=BB230_10 Depth=1
	v_mov_b32_e32 v0, 7
	v_lshrrev_b32_e32 v7, 3, v8
	s_mov_b32 s18, exec_lo
	v_and_b32_sdwa v26, v6, v0 dst_sel:DWORD dst_unused:UNUSED_PAD src0_sel:BYTE_3 src1_sel:DWORD
	v_cmpx_gt_u32_e32 8, v8
; %bb.998:                              ;   in Loop: Header=BB230_10 Depth=1
	v_ffbh_u32_e32 v7, v26
	v_min_u32_e32 v7, 32, v7
	v_subrev_nc_u32_e32 v8, 28, v7
	v_sub_nc_u32_e32 v7, 29, v7
	v_lshlrev_b64 v[8:9], v8, v[26:27]
	v_and_b32_e32 v26, 7, v8
; %bb.999:                              ;   in Loop: Header=BB230_10 Depth=1
	s_or_b32 exec_lo, exec_lo, s18
	v_mov_b32_e32 v0, 24
	v_lshl_add_u32 v7, v7, 23, 0x3c000000
	v_lshlrev_b32_sdwa v6, v0, v6 dst_sel:DWORD dst_unused:UNUSED_PAD src0_sel:DWORD src1_sel:BYTE_3
	v_lshlrev_b32_e32 v0, 20, v26
	v_and_b32_e32 v6, 0x80000000, v6
	v_or3_b32 v7, v0, v6, v7
	v_mov_b32_e32 v6, v27
	buffer_store_dword v6, off, s[0:3], s32 offset:1172 ; 4-byte Folded Spill
	buffer_store_dword v7, off, s[0:3], s32 offset:1176 ; 4-byte Folded Spill
.LBB230_1000:                           ;   in Loop: Header=BB230_10 Depth=1
	s_or_b32 exec_lo, exec_lo, s17
.LBB230_1001:                           ;   in Loop: Header=BB230_10 Depth=1
	s_or_b32 exec_lo, exec_lo, s7
.LBB230_1002:                           ;   in Loop: Header=BB230_10 Depth=1
	s_or_b32 exec_lo, exec_lo, s6
	flat_load_dword v4, v[4:5] offset:1548
	v_mov_b32_e32 v5, 0
	v_mov_b32_e32 v6, 0
	buffer_store_dword v5, off, s[0:3], s32 offset:1196 ; 4-byte Folded Spill
	buffer_store_dword v6, off, s[0:3], s32 offset:1200 ; 4-byte Folded Spill
	v_mov_b32_e32 v5, 0
	v_mov_b32_e32 v6, 0
	buffer_store_dword v5, off, s[0:3], s32 offset:1188 ; 4-byte Folded Spill
	buffer_store_dword v6, off, s[0:3], s32 offset:1192 ; 4-byte Folded Spill
	s_waitcnt vmcnt(0) lgkmcnt(0)
	v_cmp_ne_u16_sdwa s5, v4, v27 src0_sel:BYTE_0 src1_sel:DWORD
	s_and_saveexec_b32 s6, s5
	s_cbranch_execz .LBB230_1010
; %bb.1003:                             ;   in Loop: Header=BB230_10 Depth=1
	v_mov_b32_e32 v0, 0x80
	v_bfrev_b32_e32 v5, 1
	v_mov_b32_e32 v6, 0
	buffer_store_dword v5, off, s[0:3], s32 offset:1188 ; 4-byte Folded Spill
	buffer_store_dword v6, off, s[0:3], s32 offset:1192 ; 4-byte Folded Spill
	v_cmp_ne_u16_sdwa s5, v4, v0 src0_sel:BYTE_0 src1_sel:DWORD
	s_and_saveexec_b32 s7, s5
	s_cbranch_execz .LBB230_1009
; %bb.1004:                             ;   in Loop: Header=BB230_10 Depth=1
	v_mov_b32_e32 v7, 0x7f800001
	v_and_b32_e32 v6, 0x7f, v4
	v_mov_b32_e32 v8, 0
	s_mov_b32 s17, exec_lo
	buffer_store_dword v7, off, s[0:3], s32 offset:1188 ; 4-byte Folded Spill
	buffer_store_dword v8, off, s[0:3], s32 offset:1192 ; 4-byte Folded Spill
	v_cmpx_ne_u32_e32 0x7f, v6
	s_cbranch_execz .LBB230_1008
; %bb.1005:                             ;   in Loop: Header=BB230_10 Depth=1
	v_and_b32_e32 v26, 7, v4
	v_lshrrev_b32_e32 v5, 3, v6
	s_mov_b32 s18, exec_lo
	v_cmpx_gt_u32_e32 8, v6
; %bb.1006:                             ;   in Loop: Header=BB230_10 Depth=1
	v_ffbh_u32_e32 v5, v26
	v_min_u32_e32 v5, 32, v5
	v_subrev_nc_u32_e32 v6, 28, v5
	v_sub_nc_u32_e32 v5, 29, v5
	v_lshlrev_b64 v[6:7], v6, v[26:27]
	v_and_b32_e32 v26, 7, v6
; %bb.1007:                             ;   in Loop: Header=BB230_10 Depth=1
	s_or_b32 exec_lo, exec_lo, s18
	v_lshlrev_b32_e32 v6, 24, v4
	v_lshlrev_b32_e32 v0, 20, v26
	v_lshl_add_u32 v5, v5, 23, 0x3c000000
	v_and_b32_e32 v6, 0x80000000, v6
	v_or3_b32 v26, v0, v6, v5
	buffer_store_dword v26, off, s[0:3], s32 offset:1188 ; 4-byte Folded Spill
	buffer_store_dword v27, off, s[0:3], s32 offset:1192 ; 4-byte Folded Spill
.LBB230_1008:                           ;   in Loop: Header=BB230_10 Depth=1
	s_or_b32 exec_lo, exec_lo, s17
.LBB230_1009:                           ;   in Loop: Header=BB230_10 Depth=1
	s_or_b32 exec_lo, exec_lo, s7
.LBB230_1010:                           ;   in Loop: Header=BB230_10 Depth=1
	s_or_b32 exec_lo, exec_lo, s6
	v_cmp_ne_u16_sdwa s5, v4, v27 src0_sel:BYTE_1 src1_sel:DWORD
	s_and_saveexec_b32 s6, s5
	s_cbranch_execz .LBB230_1018
; %bb.1011:                             ;   in Loop: Header=BB230_10 Depth=1
	v_mov_b32_e32 v0, 0x80
	v_mov_b32_e32 v76, v27
	buffer_store_dword v76, off, s[0:3], s32 offset:1196 ; 4-byte Folded Spill
	buffer_store_dword v77, off, s[0:3], s32 offset:1200 ; 4-byte Folded Spill
	v_cmp_ne_u16_sdwa s5, v4, v0 src0_sel:BYTE_1 src1_sel:DWORD
	s_and_saveexec_b32 s7, s5
	s_cbranch_execz .LBB230_1017
; %bb.1012:                             ;   in Loop: Header=BB230_10 Depth=1
	v_mov_b32_e32 v0, 0xffff
	v_mov_b32_e32 v106, v27
	s_mov_b32 s17, exec_lo
	buffer_store_dword v106, off, s[0:3], s32 offset:1196 ; 4-byte Folded Spill
	buffer_store_dword v107, off, s[0:3], s32 offset:1200 ; 4-byte Folded Spill
	v_and_b32_sdwa v0, v0, v4 dst_sel:DWORD dst_unused:UNUSED_PAD src0_sel:DWORD src1_sel:BYTE_1
	v_and_b32_e32 v6, 0x7f, v0
	v_cmpx_ne_u32_e32 0x7f, v6
	s_cbranch_execz .LBB230_1016
; %bb.1013:                             ;   in Loop: Header=BB230_10 Depth=1
	v_and_b32_e32 v26, 7, v0
	v_lshrrev_b32_e32 v5, 3, v6
	s_mov_b32 s18, exec_lo
	v_cmpx_gt_u32_e32 8, v6
; %bb.1014:                             ;   in Loop: Header=BB230_10 Depth=1
	v_ffbh_u32_e32 v5, v26
	v_min_u32_e32 v5, 32, v5
	v_subrev_nc_u32_e32 v6, 28, v5
	v_sub_nc_u32_e32 v5, 29, v5
	v_lshlrev_b64 v[6:7], v6, v[26:27]
	v_and_b32_e32 v26, 7, v6
; %bb.1015:                             ;   in Loop: Header=BB230_10 Depth=1
	s_or_b32 exec_lo, exec_lo, s18
	v_lshlrev_b32_e32 v6, 16, v4
	v_lshlrev_b32_e32 v0, 20, v26
	v_lshl_add_u32 v5, v5, 23, 0x3c000000
	v_and_b32_e32 v6, 0x80000000, v6
	v_or3_b32 v6, v0, v6, v5
	v_mov_b32_e32 v5, v27
	buffer_store_dword v5, off, s[0:3], s32 offset:1196 ; 4-byte Folded Spill
	buffer_store_dword v6, off, s[0:3], s32 offset:1200 ; 4-byte Folded Spill
.LBB230_1016:                           ;   in Loop: Header=BB230_10 Depth=1
	s_or_b32 exec_lo, exec_lo, s17
.LBB230_1017:                           ;   in Loop: Header=BB230_10 Depth=1
	s_or_b32 exec_lo, exec_lo, s7
.LBB230_1018:                           ;   in Loop: Header=BB230_10 Depth=1
	s_or_b32 exec_lo, exec_lo, s6
	v_mov_b32_e32 v5, 0
	v_mov_b32_e32 v6, 0
	;; [unrolled: 1-line block ×3, first 2 shown]
	s_mov_b32 s6, exec_lo
	buffer_store_dword v5, off, s[0:3], s32 offset:1204 ; 4-byte Folded Spill
	buffer_store_dword v6, off, s[0:3], s32 offset:1208 ; 4-byte Folded Spill
	v_mov_b32_e32 v5, 0
	v_and_b32_sdwa v0, v4, v0 dst_sel:DWORD dst_unused:UNUSED_PAD src0_sel:WORD_1 src1_sel:DWORD
	v_mov_b32_e32 v6, 0
	buffer_store_dword v5, off, s[0:3], s32 offset:1212 ; 4-byte Folded Spill
	buffer_store_dword v6, off, s[0:3], s32 offset:1216 ; 4-byte Folded Spill
	v_cmpx_ne_u16_e32 0, v0
	s_cbranch_execz .LBB230_1026
; %bb.1019:                             ;   in Loop: Header=BB230_10 Depth=1
	v_bfrev_b32_e32 v5, 1
	v_mov_b32_e32 v6, 0
	s_mov_b32 s7, exec_lo
	buffer_store_dword v5, off, s[0:3], s32 offset:1212 ; 4-byte Folded Spill
	buffer_store_dword v6, off, s[0:3], s32 offset:1216 ; 4-byte Folded Spill
	v_cmpx_ne_u16_e32 0x80, v0
	s_cbranch_execz .LBB230_1025
; %bb.1020:                             ;   in Loop: Header=BB230_10 Depth=1
	v_mov_b32_e32 v7, 0x7f800001
	v_bfe_u32 v6, v4, 16, 7
	v_mov_b32_e32 v8, 0
	s_mov_b32 s17, exec_lo
	buffer_store_dword v7, off, s[0:3], s32 offset:1212 ; 4-byte Folded Spill
	buffer_store_dword v8, off, s[0:3], s32 offset:1216 ; 4-byte Folded Spill
	v_cmpx_ne_u32_e32 0x7f, v6
	s_cbranch_execz .LBB230_1024
; %bb.1021:                             ;   in Loop: Header=BB230_10 Depth=1
	v_mov_b32_e32 v0, 7
	v_lshrrev_b32_e32 v5, 3, v6
	s_mov_b32 s18, exec_lo
	v_and_b32_sdwa v26, v4, v0 dst_sel:DWORD dst_unused:UNUSED_PAD src0_sel:WORD_1 src1_sel:DWORD
	v_cmpx_gt_u32_e32 8, v6
; %bb.1022:                             ;   in Loop: Header=BB230_10 Depth=1
	v_ffbh_u32_e32 v5, v26
	v_min_u32_e32 v5, 32, v5
	v_subrev_nc_u32_e32 v6, 28, v5
	v_sub_nc_u32_e32 v5, 29, v5
	v_lshlrev_b64 v[6:7], v6, v[26:27]
	v_and_b32_e32 v26, 7, v6
; %bb.1023:                             ;   in Loop: Header=BB230_10 Depth=1
	s_or_b32 exec_lo, exec_lo, s18
	v_mov_b32_e32 v0, 24
	v_lshl_add_u32 v5, v5, 23, 0x3c000000
	v_lshlrev_b32_sdwa v6, v0, v4 dst_sel:DWORD dst_unused:UNUSED_PAD src0_sel:DWORD src1_sel:WORD_1
	v_lshlrev_b32_e32 v0, 20, v26
	v_and_b32_e32 v6, 0x80000000, v6
	v_or3_b32 v26, v0, v6, v5
	buffer_store_dword v26, off, s[0:3], s32 offset:1212 ; 4-byte Folded Spill
	buffer_store_dword v27, off, s[0:3], s32 offset:1216 ; 4-byte Folded Spill
.LBB230_1024:                           ;   in Loop: Header=BB230_10 Depth=1
	s_or_b32 exec_lo, exec_lo, s17
.LBB230_1025:                           ;   in Loop: Header=BB230_10 Depth=1
	s_or_b32 exec_lo, exec_lo, s7
.LBB230_1026:                           ;   in Loop: Header=BB230_10 Depth=1
	s_or_b32 exec_lo, exec_lo, s6
	s_mov_b32 s6, exec_lo
	v_cmpx_lt_u32_e32 0xffffff, v4
	s_cbranch_execz .LBB230_1034
; %bb.1027:                             ;   in Loop: Header=BB230_10 Depth=1
	v_mov_b32_e32 v0, 0x80
	v_mov_b32_e32 v76, v27
	buffer_store_dword v76, off, s[0:3], s32 offset:1204 ; 4-byte Folded Spill
	buffer_store_dword v77, off, s[0:3], s32 offset:1208 ; 4-byte Folded Spill
	v_cmp_ne_u32_sdwa s5, v4, v0 src0_sel:BYTE_3 src1_sel:DWORD
	s_and_saveexec_b32 s7, s5
	s_cbranch_execz .LBB230_1033
; %bb.1028:                             ;   in Loop: Header=BB230_10 Depth=1
	v_bfe_u32 v6, v4, 24, 7
	v_mov_b32_e32 v106, v27
	s_mov_b32 s17, exec_lo
	buffer_store_dword v106, off, s[0:3], s32 offset:1204 ; 4-byte Folded Spill
	buffer_store_dword v107, off, s[0:3], s32 offset:1208 ; 4-byte Folded Spill
	v_cmpx_ne_u32_e32 0x7f, v6
	s_cbranch_execz .LBB230_1032
; %bb.1029:                             ;   in Loop: Header=BB230_10 Depth=1
	v_mov_b32_e32 v0, 7
	v_lshrrev_b32_e32 v5, 3, v6
	s_mov_b32 s18, exec_lo
	v_and_b32_sdwa v26, v4, v0 dst_sel:DWORD dst_unused:UNUSED_PAD src0_sel:BYTE_3 src1_sel:DWORD
	v_cmpx_gt_u32_e32 8, v6
; %bb.1030:                             ;   in Loop: Header=BB230_10 Depth=1
	v_ffbh_u32_e32 v5, v26
	v_min_u32_e32 v5, 32, v5
	v_subrev_nc_u32_e32 v6, 28, v5
	v_sub_nc_u32_e32 v5, 29, v5
	v_lshlrev_b64 v[6:7], v6, v[26:27]
	v_and_b32_e32 v26, 7, v6
; %bb.1031:                             ;   in Loop: Header=BB230_10 Depth=1
	s_or_b32 exec_lo, exec_lo, s18
	v_mov_b32_e32 v0, 24
	v_lshl_add_u32 v5, v5, 23, 0x3c000000
	v_lshlrev_b32_sdwa v4, v0, v4 dst_sel:DWORD dst_unused:UNUSED_PAD src0_sel:DWORD src1_sel:BYTE_3
	v_lshlrev_b32_e32 v0, 20, v26
	v_and_b32_e32 v4, 0x80000000, v4
	v_or3_b32 v5, v0, v4, v5
	v_mov_b32_e32 v4, v27
	buffer_store_dword v4, off, s[0:3], s32 offset:1204 ; 4-byte Folded Spill
	buffer_store_dword v5, off, s[0:3], s32 offset:1208 ; 4-byte Folded Spill
.LBB230_1032:                           ;   in Loop: Header=BB230_10 Depth=1
	s_or_b32 exec_lo, exec_lo, s17
.LBB230_1033:                           ;   in Loop: Header=BB230_10 Depth=1
	s_or_b32 exec_lo, exec_lo, s7
.LBB230_1034:                           ;   in Loop: Header=BB230_10 Depth=1
	s_or_b32 exec_lo, exec_lo, s6
	v_add_co_u32 v124, s5, 0x1000, v2
	v_add_co_ci_u32_e64 v125, null, 0, v3, s5
	v_mov_b32_e32 v3, 0
	v_mov_b32_e32 v4, 0
	flat_load_dword v2, v[124:125]
	buffer_store_dword v3, off, s[0:3], s32 offset:1228 ; 4-byte Folded Spill
	buffer_store_dword v4, off, s[0:3], s32 offset:1232 ; 4-byte Folded Spill
	v_mov_b32_e32 v3, 0
	v_mov_b32_e32 v4, 0
	buffer_store_dword v3, off, s[0:3], s32 offset:1220 ; 4-byte Folded Spill
	buffer_store_dword v4, off, s[0:3], s32 offset:1224 ; 4-byte Folded Spill
	s_waitcnt vmcnt(0) lgkmcnt(0)
	v_cmp_ne_u16_sdwa s5, v2, v27 src0_sel:BYTE_0 src1_sel:DWORD
	s_and_saveexec_b32 s6, s5
	s_cbranch_execz .LBB230_1042
; %bb.1035:                             ;   in Loop: Header=BB230_10 Depth=1
	v_mov_b32_e32 v0, 0x80
	v_bfrev_b32_e32 v3, 1
	v_mov_b32_e32 v4, 0
	buffer_store_dword v3, off, s[0:3], s32 offset:1220 ; 4-byte Folded Spill
	buffer_store_dword v4, off, s[0:3], s32 offset:1224 ; 4-byte Folded Spill
	v_cmp_ne_u16_sdwa s5, v2, v0 src0_sel:BYTE_0 src1_sel:DWORD
	s_and_saveexec_b32 s7, s5
	s_cbranch_execz .LBB230_1041
; %bb.1036:                             ;   in Loop: Header=BB230_10 Depth=1
	v_mov_b32_e32 v5, 0x7f800001
	v_and_b32_e32 v4, 0x7f, v2
	v_mov_b32_e32 v6, 0
	s_mov_b32 s17, exec_lo
	buffer_store_dword v5, off, s[0:3], s32 offset:1220 ; 4-byte Folded Spill
	buffer_store_dword v6, off, s[0:3], s32 offset:1224 ; 4-byte Folded Spill
	v_cmpx_ne_u32_e32 0x7f, v4
	s_cbranch_execz .LBB230_1040
; %bb.1037:                             ;   in Loop: Header=BB230_10 Depth=1
	v_and_b32_e32 v26, 7, v2
	v_lshrrev_b32_e32 v3, 3, v4
	s_mov_b32 s18, exec_lo
	v_cmpx_gt_u32_e32 8, v4
; %bb.1038:                             ;   in Loop: Header=BB230_10 Depth=1
	v_ffbh_u32_e32 v3, v26
	v_min_u32_e32 v3, 32, v3
	v_subrev_nc_u32_e32 v4, 28, v3
	v_sub_nc_u32_e32 v3, 29, v3
	v_lshlrev_b64 v[4:5], v4, v[26:27]
	v_and_b32_e32 v26, 7, v4
; %bb.1039:                             ;   in Loop: Header=BB230_10 Depth=1
	s_or_b32 exec_lo, exec_lo, s18
	v_lshlrev_b32_e32 v4, 24, v2
	v_lshlrev_b32_e32 v0, 20, v26
	v_lshl_add_u32 v3, v3, 23, 0x3c000000
	v_and_b32_e32 v4, 0x80000000, v4
	v_or3_b32 v26, v0, v4, v3
	buffer_store_dword v26, off, s[0:3], s32 offset:1220 ; 4-byte Folded Spill
	buffer_store_dword v27, off, s[0:3], s32 offset:1224 ; 4-byte Folded Spill
.LBB230_1040:                           ;   in Loop: Header=BB230_10 Depth=1
	s_or_b32 exec_lo, exec_lo, s17
.LBB230_1041:                           ;   in Loop: Header=BB230_10 Depth=1
	s_or_b32 exec_lo, exec_lo, s7
.LBB230_1042:                           ;   in Loop: Header=BB230_10 Depth=1
	s_or_b32 exec_lo, exec_lo, s6
	v_cmp_ne_u16_sdwa s5, v2, v27 src0_sel:BYTE_1 src1_sel:DWORD
	s_and_saveexec_b32 s6, s5
	s_cbranch_execz .LBB230_1050
; %bb.1043:                             ;   in Loop: Header=BB230_10 Depth=1
	v_mov_b32_e32 v0, 0x80
	v_mov_b32_e32 v76, v27
	buffer_store_dword v76, off, s[0:3], s32 offset:1228 ; 4-byte Folded Spill
	buffer_store_dword v77, off, s[0:3], s32 offset:1232 ; 4-byte Folded Spill
	v_cmp_ne_u16_sdwa s5, v2, v0 src0_sel:BYTE_1 src1_sel:DWORD
	s_and_saveexec_b32 s7, s5
	s_cbranch_execz .LBB230_1049
; %bb.1044:                             ;   in Loop: Header=BB230_10 Depth=1
	v_mov_b32_e32 v0, 0xffff
	v_mov_b32_e32 v106, v27
	s_mov_b32 s17, exec_lo
	buffer_store_dword v106, off, s[0:3], s32 offset:1228 ; 4-byte Folded Spill
	buffer_store_dword v107, off, s[0:3], s32 offset:1232 ; 4-byte Folded Spill
	v_and_b32_sdwa v0, v0, v2 dst_sel:DWORD dst_unused:UNUSED_PAD src0_sel:DWORD src1_sel:BYTE_1
	v_and_b32_e32 v4, 0x7f, v0
	v_cmpx_ne_u32_e32 0x7f, v4
	s_cbranch_execz .LBB230_1048
; %bb.1045:                             ;   in Loop: Header=BB230_10 Depth=1
	v_and_b32_e32 v26, 7, v0
	v_lshrrev_b32_e32 v3, 3, v4
	s_mov_b32 s18, exec_lo
	v_cmpx_gt_u32_e32 8, v4
; %bb.1046:                             ;   in Loop: Header=BB230_10 Depth=1
	v_ffbh_u32_e32 v3, v26
	v_min_u32_e32 v3, 32, v3
	v_subrev_nc_u32_e32 v4, 28, v3
	v_sub_nc_u32_e32 v3, 29, v3
	v_lshlrev_b64 v[4:5], v4, v[26:27]
	v_and_b32_e32 v26, 7, v4
; %bb.1047:                             ;   in Loop: Header=BB230_10 Depth=1
	s_or_b32 exec_lo, exec_lo, s18
	v_lshlrev_b32_e32 v4, 16, v2
	v_lshlrev_b32_e32 v0, 20, v26
	v_lshl_add_u32 v3, v3, 23, 0x3c000000
	v_and_b32_e32 v4, 0x80000000, v4
	v_or3_b32 v4, v0, v4, v3
	v_mov_b32_e32 v3, v27
	buffer_store_dword v3, off, s[0:3], s32 offset:1228 ; 4-byte Folded Spill
	buffer_store_dword v4, off, s[0:3], s32 offset:1232 ; 4-byte Folded Spill
.LBB230_1048:                           ;   in Loop: Header=BB230_10 Depth=1
	s_or_b32 exec_lo, exec_lo, s17
.LBB230_1049:                           ;   in Loop: Header=BB230_10 Depth=1
	s_or_b32 exec_lo, exec_lo, s7
.LBB230_1050:                           ;   in Loop: Header=BB230_10 Depth=1
	s_or_b32 exec_lo, exec_lo, s6
	v_mov_b32_e32 v3, 0
	v_mov_b32_e32 v4, 0
	;; [unrolled: 1-line block ×3, first 2 shown]
	s_mov_b32 s6, exec_lo
	buffer_store_dword v3, off, s[0:3], s32 offset:1236 ; 4-byte Folded Spill
	buffer_store_dword v4, off, s[0:3], s32 offset:1240 ; 4-byte Folded Spill
	v_mov_b32_e32 v3, 0
	v_and_b32_sdwa v0, v2, v0 dst_sel:DWORD dst_unused:UNUSED_PAD src0_sel:WORD_1 src1_sel:DWORD
	v_mov_b32_e32 v4, 0
	buffer_store_dword v3, off, s[0:3], s32 offset:1244 ; 4-byte Folded Spill
	buffer_store_dword v4, off, s[0:3], s32 offset:1248 ; 4-byte Folded Spill
	v_cmpx_ne_u16_e32 0, v0
	s_cbranch_execz .LBB230_1058
; %bb.1051:                             ;   in Loop: Header=BB230_10 Depth=1
	v_bfrev_b32_e32 v3, 1
	v_mov_b32_e32 v4, 0
	s_mov_b32 s7, exec_lo
	buffer_store_dword v3, off, s[0:3], s32 offset:1244 ; 4-byte Folded Spill
	buffer_store_dword v4, off, s[0:3], s32 offset:1248 ; 4-byte Folded Spill
	v_cmpx_ne_u16_e32 0x80, v0
	s_cbranch_execz .LBB230_1057
; %bb.1052:                             ;   in Loop: Header=BB230_10 Depth=1
	v_mov_b32_e32 v5, 0x7f800001
	v_bfe_u32 v4, v2, 16, 7
	v_mov_b32_e32 v6, 0
	s_mov_b32 s17, exec_lo
	buffer_store_dword v5, off, s[0:3], s32 offset:1244 ; 4-byte Folded Spill
	buffer_store_dword v6, off, s[0:3], s32 offset:1248 ; 4-byte Folded Spill
	v_cmpx_ne_u32_e32 0x7f, v4
	s_cbranch_execz .LBB230_1056
; %bb.1053:                             ;   in Loop: Header=BB230_10 Depth=1
	v_mov_b32_e32 v0, 7
	v_lshrrev_b32_e32 v3, 3, v4
	s_mov_b32 s18, exec_lo
	v_and_b32_sdwa v26, v2, v0 dst_sel:DWORD dst_unused:UNUSED_PAD src0_sel:WORD_1 src1_sel:DWORD
	v_cmpx_gt_u32_e32 8, v4
; %bb.1054:                             ;   in Loop: Header=BB230_10 Depth=1
	v_ffbh_u32_e32 v3, v26
	v_min_u32_e32 v3, 32, v3
	v_subrev_nc_u32_e32 v4, 28, v3
	v_sub_nc_u32_e32 v3, 29, v3
	v_lshlrev_b64 v[4:5], v4, v[26:27]
	v_and_b32_e32 v26, 7, v4
; %bb.1055:                             ;   in Loop: Header=BB230_10 Depth=1
	s_or_b32 exec_lo, exec_lo, s18
	v_mov_b32_e32 v0, 24
	v_lshl_add_u32 v3, v3, 23, 0x3c000000
	v_lshlrev_b32_sdwa v4, v0, v2 dst_sel:DWORD dst_unused:UNUSED_PAD src0_sel:DWORD src1_sel:WORD_1
	v_lshlrev_b32_e32 v0, 20, v26
	v_and_b32_e32 v4, 0x80000000, v4
	v_or3_b32 v26, v0, v4, v3
	buffer_store_dword v26, off, s[0:3], s32 offset:1244 ; 4-byte Folded Spill
	buffer_store_dword v27, off, s[0:3], s32 offset:1248 ; 4-byte Folded Spill
.LBB230_1056:                           ;   in Loop: Header=BB230_10 Depth=1
	s_or_b32 exec_lo, exec_lo, s17
.LBB230_1057:                           ;   in Loop: Header=BB230_10 Depth=1
	s_or_b32 exec_lo, exec_lo, s7
.LBB230_1058:                           ;   in Loop: Header=BB230_10 Depth=1
	s_or_b32 exec_lo, exec_lo, s6
	s_mov_b32 s6, exec_lo
	v_cmpx_lt_u32_e32 0xffffff, v2
	s_cbranch_execz .LBB230_1066
; %bb.1059:                             ;   in Loop: Header=BB230_10 Depth=1
	v_mov_b32_e32 v0, 0x80
	v_mov_b32_e32 v76, v27
	buffer_store_dword v76, off, s[0:3], s32 offset:1236 ; 4-byte Folded Spill
	buffer_store_dword v77, off, s[0:3], s32 offset:1240 ; 4-byte Folded Spill
	v_cmp_ne_u32_sdwa s5, v2, v0 src0_sel:BYTE_3 src1_sel:DWORD
	s_and_saveexec_b32 s7, s5
	s_cbranch_execz .LBB230_1065
; %bb.1060:                             ;   in Loop: Header=BB230_10 Depth=1
	v_bfe_u32 v4, v2, 24, 7
	v_mov_b32_e32 v106, v27
	s_mov_b32 s17, exec_lo
	buffer_store_dword v106, off, s[0:3], s32 offset:1236 ; 4-byte Folded Spill
	buffer_store_dword v107, off, s[0:3], s32 offset:1240 ; 4-byte Folded Spill
	v_cmpx_ne_u32_e32 0x7f, v4
	s_cbranch_execz .LBB230_1064
; %bb.1061:                             ;   in Loop: Header=BB230_10 Depth=1
	v_mov_b32_e32 v0, 7
	v_lshrrev_b32_e32 v3, 3, v4
	s_mov_b32 s18, exec_lo
	v_and_b32_sdwa v26, v2, v0 dst_sel:DWORD dst_unused:UNUSED_PAD src0_sel:BYTE_3 src1_sel:DWORD
	v_cmpx_gt_u32_e32 8, v4
; %bb.1062:                             ;   in Loop: Header=BB230_10 Depth=1
	v_ffbh_u32_e32 v3, v26
	v_min_u32_e32 v3, 32, v3
	v_subrev_nc_u32_e32 v4, 28, v3
	v_sub_nc_u32_e32 v3, 29, v3
	v_lshlrev_b64 v[4:5], v4, v[26:27]
	v_and_b32_e32 v26, 7, v4
; %bb.1063:                             ;   in Loop: Header=BB230_10 Depth=1
	s_or_b32 exec_lo, exec_lo, s18
	v_mov_b32_e32 v0, 24
	v_lshl_add_u32 v3, v3, 23, 0x3c000000
	v_lshlrev_b32_sdwa v2, v0, v2 dst_sel:DWORD dst_unused:UNUSED_PAD src0_sel:DWORD src1_sel:BYTE_3
	v_lshlrev_b32_e32 v0, 20, v26
	v_and_b32_e32 v2, 0x80000000, v2
	v_or3_b32 v3, v0, v2, v3
	v_mov_b32_e32 v2, v27
	buffer_store_dword v2, off, s[0:3], s32 offset:1236 ; 4-byte Folded Spill
	buffer_store_dword v3, off, s[0:3], s32 offset:1240 ; 4-byte Folded Spill
.LBB230_1064:                           ;   in Loop: Header=BB230_10 Depth=1
	s_or_b32 exec_lo, exec_lo, s17
.LBB230_1065:                           ;   in Loop: Header=BB230_10 Depth=1
	s_or_b32 exec_lo, exec_lo, s7
.LBB230_1066:                           ;   in Loop: Header=BB230_10 Depth=1
	s_or_b32 exec_lo, exec_lo, s6
	flat_load_dword v2, v[124:125] offset:4
	v_mov_b32_e32 v3, 0
	v_mov_b32_e32 v4, 0
	buffer_store_dword v3, off, s[0:3], s32 offset:1260 ; 4-byte Folded Spill
	buffer_store_dword v4, off, s[0:3], s32 offset:1264 ; 4-byte Folded Spill
	v_mov_b32_e32 v3, 0
	v_mov_b32_e32 v4, 0
	buffer_store_dword v3, off, s[0:3], s32 offset:1252 ; 4-byte Folded Spill
	buffer_store_dword v4, off, s[0:3], s32 offset:1256 ; 4-byte Folded Spill
	s_waitcnt vmcnt(0) lgkmcnt(0)
	v_cmp_ne_u16_sdwa s5, v2, v27 src0_sel:BYTE_0 src1_sel:DWORD
	s_and_saveexec_b32 s6, s5
	s_cbranch_execz .LBB230_1074
; %bb.1067:                             ;   in Loop: Header=BB230_10 Depth=1
	v_mov_b32_e32 v0, 0x80
	v_bfrev_b32_e32 v3, 1
	v_mov_b32_e32 v4, 0
	buffer_store_dword v3, off, s[0:3], s32 offset:1252 ; 4-byte Folded Spill
	buffer_store_dword v4, off, s[0:3], s32 offset:1256 ; 4-byte Folded Spill
	v_cmp_ne_u16_sdwa s5, v2, v0 src0_sel:BYTE_0 src1_sel:DWORD
	s_and_saveexec_b32 s7, s5
	s_cbranch_execz .LBB230_1073
; %bb.1068:                             ;   in Loop: Header=BB230_10 Depth=1
	v_mov_b32_e32 v5, 0x7f800001
	v_and_b32_e32 v4, 0x7f, v2
	v_mov_b32_e32 v6, 0
	s_mov_b32 s17, exec_lo
	buffer_store_dword v5, off, s[0:3], s32 offset:1252 ; 4-byte Folded Spill
	buffer_store_dword v6, off, s[0:3], s32 offset:1256 ; 4-byte Folded Spill
	v_cmpx_ne_u32_e32 0x7f, v4
	s_cbranch_execz .LBB230_1072
; %bb.1069:                             ;   in Loop: Header=BB230_10 Depth=1
	v_and_b32_e32 v26, 7, v2
	v_lshrrev_b32_e32 v3, 3, v4
	s_mov_b32 s18, exec_lo
	v_cmpx_gt_u32_e32 8, v4
; %bb.1070:                             ;   in Loop: Header=BB230_10 Depth=1
	v_ffbh_u32_e32 v3, v26
	v_min_u32_e32 v3, 32, v3
	v_subrev_nc_u32_e32 v4, 28, v3
	v_sub_nc_u32_e32 v3, 29, v3
	v_lshlrev_b64 v[4:5], v4, v[26:27]
	v_and_b32_e32 v26, 7, v4
; %bb.1071:                             ;   in Loop: Header=BB230_10 Depth=1
	s_or_b32 exec_lo, exec_lo, s18
	v_lshlrev_b32_e32 v4, 24, v2
	v_lshlrev_b32_e32 v0, 20, v26
	v_lshl_add_u32 v3, v3, 23, 0x3c000000
	v_and_b32_e32 v4, 0x80000000, v4
	v_or3_b32 v26, v0, v4, v3
	buffer_store_dword v26, off, s[0:3], s32 offset:1252 ; 4-byte Folded Spill
	buffer_store_dword v27, off, s[0:3], s32 offset:1256 ; 4-byte Folded Spill
.LBB230_1072:                           ;   in Loop: Header=BB230_10 Depth=1
	s_or_b32 exec_lo, exec_lo, s17
.LBB230_1073:                           ;   in Loop: Header=BB230_10 Depth=1
	s_or_b32 exec_lo, exec_lo, s7
.LBB230_1074:                           ;   in Loop: Header=BB230_10 Depth=1
	s_or_b32 exec_lo, exec_lo, s6
	v_cmp_ne_u16_sdwa s5, v2, v27 src0_sel:BYTE_1 src1_sel:DWORD
	s_and_saveexec_b32 s6, s5
	s_cbranch_execz .LBB230_1082
; %bb.1075:                             ;   in Loop: Header=BB230_10 Depth=1
	v_mov_b32_e32 v0, 0x80
	v_mov_b32_e32 v76, v27
	buffer_store_dword v76, off, s[0:3], s32 offset:1260 ; 4-byte Folded Spill
	buffer_store_dword v77, off, s[0:3], s32 offset:1264 ; 4-byte Folded Spill
	v_cmp_ne_u16_sdwa s5, v2, v0 src0_sel:BYTE_1 src1_sel:DWORD
	s_and_saveexec_b32 s7, s5
	s_cbranch_execz .LBB230_1081
; %bb.1076:                             ;   in Loop: Header=BB230_10 Depth=1
	v_mov_b32_e32 v0, 0xffff
	v_mov_b32_e32 v106, v27
	s_mov_b32 s17, exec_lo
	buffer_store_dword v106, off, s[0:3], s32 offset:1260 ; 4-byte Folded Spill
	buffer_store_dword v107, off, s[0:3], s32 offset:1264 ; 4-byte Folded Spill
	v_and_b32_sdwa v0, v0, v2 dst_sel:DWORD dst_unused:UNUSED_PAD src0_sel:DWORD src1_sel:BYTE_1
	v_and_b32_e32 v4, 0x7f, v0
	v_cmpx_ne_u32_e32 0x7f, v4
	s_cbranch_execz .LBB230_1080
; %bb.1077:                             ;   in Loop: Header=BB230_10 Depth=1
	v_and_b32_e32 v26, 7, v0
	v_lshrrev_b32_e32 v3, 3, v4
	s_mov_b32 s18, exec_lo
	v_cmpx_gt_u32_e32 8, v4
; %bb.1078:                             ;   in Loop: Header=BB230_10 Depth=1
	v_ffbh_u32_e32 v3, v26
	v_min_u32_e32 v3, 32, v3
	v_subrev_nc_u32_e32 v4, 28, v3
	v_sub_nc_u32_e32 v3, 29, v3
	v_lshlrev_b64 v[4:5], v4, v[26:27]
	v_and_b32_e32 v26, 7, v4
; %bb.1079:                             ;   in Loop: Header=BB230_10 Depth=1
	s_or_b32 exec_lo, exec_lo, s18
	v_lshlrev_b32_e32 v4, 16, v2
	v_lshlrev_b32_e32 v0, 20, v26
	v_lshl_add_u32 v3, v3, 23, 0x3c000000
	v_and_b32_e32 v4, 0x80000000, v4
	v_or3_b32 v4, v0, v4, v3
	v_mov_b32_e32 v3, v27
	buffer_store_dword v3, off, s[0:3], s32 offset:1260 ; 4-byte Folded Spill
	buffer_store_dword v4, off, s[0:3], s32 offset:1264 ; 4-byte Folded Spill
.LBB230_1080:                           ;   in Loop: Header=BB230_10 Depth=1
	s_or_b32 exec_lo, exec_lo, s17
.LBB230_1081:                           ;   in Loop: Header=BB230_10 Depth=1
	s_or_b32 exec_lo, exec_lo, s7
.LBB230_1082:                           ;   in Loop: Header=BB230_10 Depth=1
	s_or_b32 exec_lo, exec_lo, s6
	v_mov_b32_e32 v3, 0
	v_mov_b32_e32 v4, 0
	;; [unrolled: 1-line block ×3, first 2 shown]
	s_mov_b32 s6, exec_lo
	buffer_store_dword v3, off, s[0:3], s32 offset:1268 ; 4-byte Folded Spill
	buffer_store_dword v4, off, s[0:3], s32 offset:1272 ; 4-byte Folded Spill
	v_mov_b32_e32 v3, 0
	v_and_b32_sdwa v0, v2, v0 dst_sel:DWORD dst_unused:UNUSED_PAD src0_sel:WORD_1 src1_sel:DWORD
	v_mov_b32_e32 v4, 0
	buffer_store_dword v3, off, s[0:3], s32 offset:1276 ; 4-byte Folded Spill
	buffer_store_dword v4, off, s[0:3], s32 offset:1280 ; 4-byte Folded Spill
	v_cmpx_ne_u16_e32 0, v0
	s_cbranch_execz .LBB230_1090
; %bb.1083:                             ;   in Loop: Header=BB230_10 Depth=1
	v_bfrev_b32_e32 v3, 1
	v_mov_b32_e32 v4, 0
	s_mov_b32 s7, exec_lo
	buffer_store_dword v3, off, s[0:3], s32 offset:1276 ; 4-byte Folded Spill
	buffer_store_dword v4, off, s[0:3], s32 offset:1280 ; 4-byte Folded Spill
	v_cmpx_ne_u16_e32 0x80, v0
	s_cbranch_execz .LBB230_1089
; %bb.1084:                             ;   in Loop: Header=BB230_10 Depth=1
	v_mov_b32_e32 v5, 0x7f800001
	v_bfe_u32 v4, v2, 16, 7
	v_mov_b32_e32 v6, 0
	s_mov_b32 s17, exec_lo
	buffer_store_dword v5, off, s[0:3], s32 offset:1276 ; 4-byte Folded Spill
	buffer_store_dword v6, off, s[0:3], s32 offset:1280 ; 4-byte Folded Spill
	v_cmpx_ne_u32_e32 0x7f, v4
	s_cbranch_execz .LBB230_1088
; %bb.1085:                             ;   in Loop: Header=BB230_10 Depth=1
	v_mov_b32_e32 v0, 7
	v_lshrrev_b32_e32 v3, 3, v4
	s_mov_b32 s18, exec_lo
	v_and_b32_sdwa v26, v2, v0 dst_sel:DWORD dst_unused:UNUSED_PAD src0_sel:WORD_1 src1_sel:DWORD
	v_cmpx_gt_u32_e32 8, v4
; %bb.1086:                             ;   in Loop: Header=BB230_10 Depth=1
	v_ffbh_u32_e32 v3, v26
	v_min_u32_e32 v3, 32, v3
	v_subrev_nc_u32_e32 v4, 28, v3
	v_sub_nc_u32_e32 v3, 29, v3
	v_lshlrev_b64 v[4:5], v4, v[26:27]
	v_and_b32_e32 v26, 7, v4
; %bb.1087:                             ;   in Loop: Header=BB230_10 Depth=1
	s_or_b32 exec_lo, exec_lo, s18
	v_mov_b32_e32 v0, 24
	v_lshl_add_u32 v3, v3, 23, 0x3c000000
	v_lshlrev_b32_sdwa v4, v0, v2 dst_sel:DWORD dst_unused:UNUSED_PAD src0_sel:DWORD src1_sel:WORD_1
	v_lshlrev_b32_e32 v0, 20, v26
	v_and_b32_e32 v4, 0x80000000, v4
	v_or3_b32 v26, v0, v4, v3
	buffer_store_dword v26, off, s[0:3], s32 offset:1276 ; 4-byte Folded Spill
	buffer_store_dword v27, off, s[0:3], s32 offset:1280 ; 4-byte Folded Spill
.LBB230_1088:                           ;   in Loop: Header=BB230_10 Depth=1
	s_or_b32 exec_lo, exec_lo, s17
.LBB230_1089:                           ;   in Loop: Header=BB230_10 Depth=1
	s_or_b32 exec_lo, exec_lo, s7
.LBB230_1090:                           ;   in Loop: Header=BB230_10 Depth=1
	s_or_b32 exec_lo, exec_lo, s6
	s_mov_b32 s6, exec_lo
	v_cmpx_lt_u32_e32 0xffffff, v2
	s_cbranch_execz .LBB230_1098
; %bb.1091:                             ;   in Loop: Header=BB230_10 Depth=1
	v_mov_b32_e32 v0, 0x80
	v_mov_b32_e32 v76, v27
	buffer_store_dword v76, off, s[0:3], s32 offset:1268 ; 4-byte Folded Spill
	buffer_store_dword v77, off, s[0:3], s32 offset:1272 ; 4-byte Folded Spill
	v_cmp_ne_u32_sdwa s5, v2, v0 src0_sel:BYTE_3 src1_sel:DWORD
	s_and_saveexec_b32 s7, s5
	s_cbranch_execz .LBB230_1097
; %bb.1092:                             ;   in Loop: Header=BB230_10 Depth=1
	v_bfe_u32 v4, v2, 24, 7
	v_mov_b32_e32 v106, v27
	s_mov_b32 s17, exec_lo
	buffer_store_dword v106, off, s[0:3], s32 offset:1268 ; 4-byte Folded Spill
	buffer_store_dword v107, off, s[0:3], s32 offset:1272 ; 4-byte Folded Spill
	v_cmpx_ne_u32_e32 0x7f, v4
	s_cbranch_execz .LBB230_1096
; %bb.1093:                             ;   in Loop: Header=BB230_10 Depth=1
	v_mov_b32_e32 v0, 7
	v_lshrrev_b32_e32 v3, 3, v4
	s_mov_b32 s18, exec_lo
	v_and_b32_sdwa v26, v2, v0 dst_sel:DWORD dst_unused:UNUSED_PAD src0_sel:BYTE_3 src1_sel:DWORD
	v_cmpx_gt_u32_e32 8, v4
; %bb.1094:                             ;   in Loop: Header=BB230_10 Depth=1
	v_ffbh_u32_e32 v3, v26
	v_min_u32_e32 v3, 32, v3
	v_subrev_nc_u32_e32 v4, 28, v3
	v_sub_nc_u32_e32 v3, 29, v3
	v_lshlrev_b64 v[4:5], v4, v[26:27]
	v_and_b32_e32 v26, 7, v4
; %bb.1095:                             ;   in Loop: Header=BB230_10 Depth=1
	s_or_b32 exec_lo, exec_lo, s18
	v_mov_b32_e32 v0, 24
	v_lshl_add_u32 v3, v3, 23, 0x3c000000
	v_lshlrev_b32_sdwa v2, v0, v2 dst_sel:DWORD dst_unused:UNUSED_PAD src0_sel:DWORD src1_sel:BYTE_3
	v_lshlrev_b32_e32 v0, 20, v26
	v_and_b32_e32 v2, 0x80000000, v2
	v_or3_b32 v3, v0, v2, v3
	v_mov_b32_e32 v2, v27
	buffer_store_dword v2, off, s[0:3], s32 offset:1268 ; 4-byte Folded Spill
	buffer_store_dword v3, off, s[0:3], s32 offset:1272 ; 4-byte Folded Spill
.LBB230_1096:                           ;   in Loop: Header=BB230_10 Depth=1
	s_or_b32 exec_lo, exec_lo, s17
.LBB230_1097:                           ;   in Loop: Header=BB230_10 Depth=1
	s_or_b32 exec_lo, exec_lo, s7
.LBB230_1098:                           ;   in Loop: Header=BB230_10 Depth=1
	s_or_b32 exec_lo, exec_lo, s6
	flat_load_dword v2, v[124:125] offset:8
	v_mov_b32_e32 v3, 0
	v_mov_b32_e32 v4, 0
	buffer_store_dword v3, off, s[0:3], s32 offset:1292 ; 4-byte Folded Spill
	buffer_store_dword v4, off, s[0:3], s32 offset:1296 ; 4-byte Folded Spill
	v_mov_b32_e32 v3, 0
	v_mov_b32_e32 v4, 0
	buffer_store_dword v3, off, s[0:3], s32 offset:1284 ; 4-byte Folded Spill
	buffer_store_dword v4, off, s[0:3], s32 offset:1288 ; 4-byte Folded Spill
	s_waitcnt vmcnt(0) lgkmcnt(0)
	v_cmp_ne_u16_sdwa s5, v2, v27 src0_sel:BYTE_0 src1_sel:DWORD
	s_and_saveexec_b32 s6, s5
	s_cbranch_execz .LBB230_1106
; %bb.1099:                             ;   in Loop: Header=BB230_10 Depth=1
	v_mov_b32_e32 v0, 0x80
	v_bfrev_b32_e32 v3, 1
	v_mov_b32_e32 v4, 0
	buffer_store_dword v3, off, s[0:3], s32 offset:1284 ; 4-byte Folded Spill
	buffer_store_dword v4, off, s[0:3], s32 offset:1288 ; 4-byte Folded Spill
	v_cmp_ne_u16_sdwa s5, v2, v0 src0_sel:BYTE_0 src1_sel:DWORD
	s_and_saveexec_b32 s7, s5
	s_cbranch_execz .LBB230_1105
; %bb.1100:                             ;   in Loop: Header=BB230_10 Depth=1
	v_mov_b32_e32 v5, 0x7f800001
	v_and_b32_e32 v4, 0x7f, v2
	v_mov_b32_e32 v6, 0
	s_mov_b32 s17, exec_lo
	buffer_store_dword v5, off, s[0:3], s32 offset:1284 ; 4-byte Folded Spill
	buffer_store_dword v6, off, s[0:3], s32 offset:1288 ; 4-byte Folded Spill
	v_cmpx_ne_u32_e32 0x7f, v4
	s_cbranch_execz .LBB230_1104
; %bb.1101:                             ;   in Loop: Header=BB230_10 Depth=1
	v_and_b32_e32 v26, 7, v2
	v_lshrrev_b32_e32 v3, 3, v4
	s_mov_b32 s18, exec_lo
	v_cmpx_gt_u32_e32 8, v4
; %bb.1102:                             ;   in Loop: Header=BB230_10 Depth=1
	v_ffbh_u32_e32 v3, v26
	v_min_u32_e32 v3, 32, v3
	v_subrev_nc_u32_e32 v4, 28, v3
	v_sub_nc_u32_e32 v3, 29, v3
	v_lshlrev_b64 v[4:5], v4, v[26:27]
	v_and_b32_e32 v26, 7, v4
; %bb.1103:                             ;   in Loop: Header=BB230_10 Depth=1
	s_or_b32 exec_lo, exec_lo, s18
	v_lshlrev_b32_e32 v4, 24, v2
	v_lshlrev_b32_e32 v0, 20, v26
	v_lshl_add_u32 v3, v3, 23, 0x3c000000
	v_and_b32_e32 v4, 0x80000000, v4
	v_or3_b32 v26, v0, v4, v3
	buffer_store_dword v26, off, s[0:3], s32 offset:1284 ; 4-byte Folded Spill
	buffer_store_dword v27, off, s[0:3], s32 offset:1288 ; 4-byte Folded Spill
.LBB230_1104:                           ;   in Loop: Header=BB230_10 Depth=1
	s_or_b32 exec_lo, exec_lo, s17
.LBB230_1105:                           ;   in Loop: Header=BB230_10 Depth=1
	s_or_b32 exec_lo, exec_lo, s7
.LBB230_1106:                           ;   in Loop: Header=BB230_10 Depth=1
	s_or_b32 exec_lo, exec_lo, s6
	v_cmp_ne_u16_sdwa s5, v2, v27 src0_sel:BYTE_1 src1_sel:DWORD
	s_and_saveexec_b32 s6, s5
	s_cbranch_execz .LBB230_1114
; %bb.1107:                             ;   in Loop: Header=BB230_10 Depth=1
	v_mov_b32_e32 v0, 0x80
	v_mov_b32_e32 v76, v27
	buffer_store_dword v76, off, s[0:3], s32 offset:1292 ; 4-byte Folded Spill
	buffer_store_dword v77, off, s[0:3], s32 offset:1296 ; 4-byte Folded Spill
	v_cmp_ne_u16_sdwa s5, v2, v0 src0_sel:BYTE_1 src1_sel:DWORD
	s_and_saveexec_b32 s7, s5
	s_cbranch_execz .LBB230_1113
; %bb.1108:                             ;   in Loop: Header=BB230_10 Depth=1
	v_mov_b32_e32 v0, 0xffff
	v_mov_b32_e32 v106, v27
	s_mov_b32 s17, exec_lo
	buffer_store_dword v106, off, s[0:3], s32 offset:1292 ; 4-byte Folded Spill
	buffer_store_dword v107, off, s[0:3], s32 offset:1296 ; 4-byte Folded Spill
	v_and_b32_sdwa v0, v0, v2 dst_sel:DWORD dst_unused:UNUSED_PAD src0_sel:DWORD src1_sel:BYTE_1
	v_and_b32_e32 v4, 0x7f, v0
	v_cmpx_ne_u32_e32 0x7f, v4
	s_cbranch_execz .LBB230_1112
; %bb.1109:                             ;   in Loop: Header=BB230_10 Depth=1
	v_and_b32_e32 v26, 7, v0
	v_lshrrev_b32_e32 v3, 3, v4
	s_mov_b32 s18, exec_lo
	v_cmpx_gt_u32_e32 8, v4
; %bb.1110:                             ;   in Loop: Header=BB230_10 Depth=1
	v_ffbh_u32_e32 v3, v26
	v_min_u32_e32 v3, 32, v3
	v_subrev_nc_u32_e32 v4, 28, v3
	v_sub_nc_u32_e32 v3, 29, v3
	v_lshlrev_b64 v[4:5], v4, v[26:27]
	v_and_b32_e32 v26, 7, v4
; %bb.1111:                             ;   in Loop: Header=BB230_10 Depth=1
	s_or_b32 exec_lo, exec_lo, s18
	v_lshlrev_b32_e32 v4, 16, v2
	v_lshlrev_b32_e32 v0, 20, v26
	v_lshl_add_u32 v3, v3, 23, 0x3c000000
	v_and_b32_e32 v4, 0x80000000, v4
	v_or3_b32 v4, v0, v4, v3
	v_mov_b32_e32 v3, v27
	buffer_store_dword v3, off, s[0:3], s32 offset:1292 ; 4-byte Folded Spill
	buffer_store_dword v4, off, s[0:3], s32 offset:1296 ; 4-byte Folded Spill
.LBB230_1112:                           ;   in Loop: Header=BB230_10 Depth=1
	s_or_b32 exec_lo, exec_lo, s17
.LBB230_1113:                           ;   in Loop: Header=BB230_10 Depth=1
	s_or_b32 exec_lo, exec_lo, s7
.LBB230_1114:                           ;   in Loop: Header=BB230_10 Depth=1
	s_or_b32 exec_lo, exec_lo, s6
	v_mov_b32_e32 v0, 0xff
	v_mov_b32_e32 v50, 0
	;; [unrolled: 1-line block ×5, first 2 shown]
	v_and_b32_sdwa v0, v2, v0 dst_sel:DWORD dst_unused:UNUSED_PAD src0_sel:WORD_1 src1_sel:DWORD
	s_mov_b32 s6, exec_lo
	buffer_store_dword v3, off, s[0:3], s32 offset:1300 ; 4-byte Folded Spill
	buffer_store_dword v4, off, s[0:3], s32 offset:1304 ; 4-byte Folded Spill
	v_cmpx_ne_u16_e32 0, v0
	s_cbranch_execz .LBB230_1122
; %bb.1115:                             ;   in Loop: Header=BB230_10 Depth=1
	v_bfrev_b32_e32 v3, 1
	v_mov_b32_e32 v4, 0
	s_mov_b32 s7, exec_lo
	buffer_store_dword v3, off, s[0:3], s32 offset:1300 ; 4-byte Folded Spill
	buffer_store_dword v4, off, s[0:3], s32 offset:1304 ; 4-byte Folded Spill
	v_cmpx_ne_u16_e32 0x80, v0
	s_cbranch_execz .LBB230_1121
; %bb.1116:                             ;   in Loop: Header=BB230_10 Depth=1
	v_mov_b32_e32 v5, 0x7f800001
	v_bfe_u32 v4, v2, 16, 7
	v_mov_b32_e32 v6, 0
	s_mov_b32 s17, exec_lo
	buffer_store_dword v5, off, s[0:3], s32 offset:1300 ; 4-byte Folded Spill
	buffer_store_dword v6, off, s[0:3], s32 offset:1304 ; 4-byte Folded Spill
	v_cmpx_ne_u32_e32 0x7f, v4
	s_cbranch_execz .LBB230_1120
; %bb.1117:                             ;   in Loop: Header=BB230_10 Depth=1
	v_mov_b32_e32 v0, 7
	v_lshrrev_b32_e32 v3, 3, v4
	s_mov_b32 s18, exec_lo
	v_and_b32_sdwa v26, v2, v0 dst_sel:DWORD dst_unused:UNUSED_PAD src0_sel:WORD_1 src1_sel:DWORD
	v_cmpx_gt_u32_e32 8, v4
; %bb.1118:                             ;   in Loop: Header=BB230_10 Depth=1
	v_ffbh_u32_e32 v3, v26
	v_min_u32_e32 v3, 32, v3
	v_subrev_nc_u32_e32 v4, 28, v3
	v_sub_nc_u32_e32 v3, 29, v3
	v_lshlrev_b64 v[4:5], v4, v[26:27]
	v_and_b32_e32 v26, 7, v4
; %bb.1119:                             ;   in Loop: Header=BB230_10 Depth=1
	s_or_b32 exec_lo, exec_lo, s18
	v_mov_b32_e32 v0, 24
	v_lshl_add_u32 v3, v3, 23, 0x3c000000
	v_lshlrev_b32_sdwa v4, v0, v2 dst_sel:DWORD dst_unused:UNUSED_PAD src0_sel:DWORD src1_sel:WORD_1
	v_lshlrev_b32_e32 v0, 20, v26
	v_and_b32_e32 v4, 0x80000000, v4
	v_or3_b32 v26, v0, v4, v3
	buffer_store_dword v26, off, s[0:3], s32 offset:1300 ; 4-byte Folded Spill
	buffer_store_dword v27, off, s[0:3], s32 offset:1304 ; 4-byte Folded Spill
.LBB230_1120:                           ;   in Loop: Header=BB230_10 Depth=1
	s_or_b32 exec_lo, exec_lo, s17
.LBB230_1121:                           ;   in Loop: Header=BB230_10 Depth=1
	s_or_b32 exec_lo, exec_lo, s7
.LBB230_1122:                           ;   in Loop: Header=BB230_10 Depth=1
	s_or_b32 exec_lo, exec_lo, s6
	s_mov_b32 s6, exec_lo
	v_cmpx_lt_u32_e32 0xffffff, v2
	s_cbranch_execz .LBB230_1130
; %bb.1123:                             ;   in Loop: Header=BB230_10 Depth=1
	v_mov_b32_e32 v76, v27
	v_mov_b32_e32 v0, 0x80
	;; [unrolled: 1-line block ×3, first 2 shown]
	v_cmp_ne_u32_sdwa s5, v2, v0 src0_sel:BYTE_3 src1_sel:DWORD
	v_mov_b32_e32 v51, v77
	s_and_saveexec_b32 s7, s5
	s_cbranch_execz .LBB230_1129
; %bb.1124:                             ;   in Loop: Header=BB230_10 Depth=1
	v_mov_b32_e32 v106, v27
	v_bfe_u32 v4, v2, 24, 7
	s_mov_b32 s17, exec_lo
	v_mov_b32_e32 v50, v106
	v_mov_b32_e32 v51, v107
	v_cmpx_ne_u32_e32 0x7f, v4
	s_cbranch_execz .LBB230_1128
; %bb.1125:                             ;   in Loop: Header=BB230_10 Depth=1
	v_mov_b32_e32 v0, 7
	v_lshrrev_b32_e32 v3, 3, v4
	s_mov_b32 s18, exec_lo
	v_and_b32_sdwa v26, v2, v0 dst_sel:DWORD dst_unused:UNUSED_PAD src0_sel:BYTE_3 src1_sel:DWORD
	v_cmpx_gt_u32_e32 8, v4
; %bb.1126:                             ;   in Loop: Header=BB230_10 Depth=1
	v_ffbh_u32_e32 v3, v26
	v_min_u32_e32 v3, 32, v3
	v_subrev_nc_u32_e32 v4, 28, v3
	v_sub_nc_u32_e32 v3, 29, v3
	v_lshlrev_b64 v[4:5], v4, v[26:27]
	v_and_b32_e32 v26, 7, v4
; %bb.1127:                             ;   in Loop: Header=BB230_10 Depth=1
	s_or_b32 exec_lo, exec_lo, s18
	v_mov_b32_e32 v0, 24
	v_lshl_add_u32 v3, v3, 23, 0x3c000000
	v_mov_b32_e32 v50, v27
	v_lshlrev_b32_sdwa v2, v0, v2 dst_sel:DWORD dst_unused:UNUSED_PAD src0_sel:DWORD src1_sel:BYTE_3
	v_lshlrev_b32_e32 v0, 20, v26
	v_and_b32_e32 v2, 0x80000000, v2
	v_or3_b32 v51, v0, v2, v3
.LBB230_1128:                           ;   in Loop: Header=BB230_10 Depth=1
	s_or_b32 exec_lo, exec_lo, s17
.LBB230_1129:                           ;   in Loop: Header=BB230_10 Depth=1
	s_or_b32 exec_lo, exec_lo, s7
.LBB230_1130:                           ;   in Loop: Header=BB230_10 Depth=1
	s_or_b32 exec_lo, exec_lo, s6
	flat_load_dword v2, v[124:125] offset:12
	v_mov_b32_e32 v6, 0
	v_mov_b32_e32 v98, 0
	;; [unrolled: 1-line block ×4, first 2 shown]
	s_waitcnt vmcnt(0) lgkmcnt(0)
	v_cmp_ne_u16_sdwa s5, v2, v27 src0_sel:BYTE_0 src1_sel:DWORD
	s_and_saveexec_b32 s6, s5
	s_cbranch_execz .LBB230_1138
; %bb.1131:                             ;   in Loop: Header=BB230_10 Depth=1
	v_mov_b32_e32 v0, 0x80
	v_bfrev_b32_e32 v98, 1
	v_mov_b32_e32 v99, 0
	v_cmp_ne_u16_sdwa s5, v2, v0 src0_sel:BYTE_0 src1_sel:DWORD
	s_and_saveexec_b32 s7, s5
	s_cbranch_execz .LBB230_1137
; %bb.1132:                             ;   in Loop: Header=BB230_10 Depth=1
	v_mov_b32_e32 v98, 0x7f800001
	v_and_b32_e32 v4, 0x7f, v2
	v_mov_b32_e32 v99, 0
	s_mov_b32 s17, exec_lo
	v_cmpx_ne_u32_e32 0x7f, v4
	s_cbranch_execz .LBB230_1136
; %bb.1133:                             ;   in Loop: Header=BB230_10 Depth=1
	v_and_b32_e32 v26, 7, v2
	v_lshrrev_b32_e32 v3, 3, v4
	s_mov_b32 s18, exec_lo
	v_cmpx_gt_u32_e32 8, v4
; %bb.1134:                             ;   in Loop: Header=BB230_10 Depth=1
	v_ffbh_u32_e32 v3, v26
	v_min_u32_e32 v3, 32, v3
	v_subrev_nc_u32_e32 v4, 28, v3
	v_sub_nc_u32_e32 v3, 29, v3
	v_lshlrev_b64 v[4:5], v4, v[26:27]
	v_and_b32_e32 v26, 7, v4
; %bb.1135:                             ;   in Loop: Header=BB230_10 Depth=1
	s_or_b32 exec_lo, exec_lo, s18
	v_lshlrev_b32_e32 v4, 24, v2
	v_lshlrev_b32_e32 v0, 20, v26
	v_lshl_add_u32 v3, v3, 23, 0x3c000000
	v_and_b32_e32 v4, 0x80000000, v4
	v_or3_b32 v26, v0, v4, v3
	v_mov_b32_e32 v99, v27
	v_mov_b32_e32 v98, v26
.LBB230_1136:                           ;   in Loop: Header=BB230_10 Depth=1
	s_or_b32 exec_lo, exec_lo, s17
.LBB230_1137:                           ;   in Loop: Header=BB230_10 Depth=1
	s_or_b32 exec_lo, exec_lo, s7
.LBB230_1138:                           ;   in Loop: Header=BB230_10 Depth=1
	s_or_b32 exec_lo, exec_lo, s6
	v_cmp_ne_u16_sdwa s5, v2, v27 src0_sel:BYTE_1 src1_sel:DWORD
	s_and_saveexec_b32 s6, s5
	s_cbranch_execz .LBB230_1146
; %bb.1139:                             ;   in Loop: Header=BB230_10 Depth=1
	v_mov_b32_e32 v76, v27
	v_mov_b32_e32 v0, 0x80
	v_mov_b32_e32 v6, v76
	v_cmp_ne_u16_sdwa s5, v2, v0 src0_sel:BYTE_1 src1_sel:DWORD
	v_mov_b32_e32 v7, v77
	s_and_saveexec_b32 s7, s5
	s_cbranch_execz .LBB230_1145
; %bb.1140:                             ;   in Loop: Header=BB230_10 Depth=1
	v_mov_b32_e32 v0, 0xffff
	v_mov_b32_e32 v106, v27
	s_mov_b32 s17, exec_lo
	v_and_b32_sdwa v0, v0, v2 dst_sel:DWORD dst_unused:UNUSED_PAD src0_sel:DWORD src1_sel:BYTE_1
	v_mov_b32_e32 v6, v106
	v_mov_b32_e32 v7, v107
	v_and_b32_e32 v4, 0x7f, v0
	v_cmpx_ne_u32_e32 0x7f, v4
	s_cbranch_execz .LBB230_1144
; %bb.1141:                             ;   in Loop: Header=BB230_10 Depth=1
	v_and_b32_e32 v26, 7, v0
	v_lshrrev_b32_e32 v3, 3, v4
	s_mov_b32 s18, exec_lo
	v_cmpx_gt_u32_e32 8, v4
; %bb.1142:                             ;   in Loop: Header=BB230_10 Depth=1
	v_ffbh_u32_e32 v3, v26
	v_min_u32_e32 v3, 32, v3
	v_subrev_nc_u32_e32 v4, 28, v3
	v_sub_nc_u32_e32 v3, 29, v3
	v_lshlrev_b64 v[4:5], v4, v[26:27]
	v_and_b32_e32 v26, 7, v4
; %bb.1143:                             ;   in Loop: Header=BB230_10 Depth=1
	s_or_b32 exec_lo, exec_lo, s18
	v_lshlrev_b32_e32 v4, 16, v2
	v_lshlrev_b32_e32 v0, 20, v26
	v_lshl_add_u32 v3, v3, 23, 0x3c000000
	v_mov_b32_e32 v6, v27
	v_and_b32_e32 v4, 0x80000000, v4
	v_or3_b32 v7, v0, v4, v3
.LBB230_1144:                           ;   in Loop: Header=BB230_10 Depth=1
	s_or_b32 exec_lo, exec_lo, s17
.LBB230_1145:                           ;   in Loop: Header=BB230_10 Depth=1
	s_or_b32 exec_lo, exec_lo, s7
.LBB230_1146:                           ;   in Loop: Header=BB230_10 Depth=1
	s_or_b32 exec_lo, exec_lo, s6
	v_mov_b32_e32 v0, 0xff
	v_mov_b32_e32 v12, 0
	;; [unrolled: 1-line block ×5, first 2 shown]
	v_and_b32_sdwa v0, v2, v0 dst_sel:DWORD dst_unused:UNUSED_PAD src0_sel:WORD_1 src1_sel:DWORD
	s_mov_b32 s6, exec_lo
	v_cmpx_ne_u16_e32 0, v0
	s_cbranch_execz .LBB230_1154
; %bb.1147:                             ;   in Loop: Header=BB230_10 Depth=1
	v_bfrev_b32_e32 v33, 1
	v_mov_b32_e32 v34, 0
	s_mov_b32 s7, exec_lo
	v_cmpx_ne_u16_e32 0x80, v0
	s_cbranch_execz .LBB230_1153
; %bb.1148:                             ;   in Loop: Header=BB230_10 Depth=1
	v_mov_b32_e32 v33, 0x7f800001
	v_bfe_u32 v4, v2, 16, 7
	v_mov_b32_e32 v34, 0
	s_mov_b32 s17, exec_lo
	v_cmpx_ne_u32_e32 0x7f, v4
	s_cbranch_execz .LBB230_1152
; %bb.1149:                             ;   in Loop: Header=BB230_10 Depth=1
	v_mov_b32_e32 v0, 7
	v_lshrrev_b32_e32 v3, 3, v4
	s_mov_b32 s18, exec_lo
	v_and_b32_sdwa v26, v2, v0 dst_sel:DWORD dst_unused:UNUSED_PAD src0_sel:WORD_1 src1_sel:DWORD
	v_cmpx_gt_u32_e32 8, v4
; %bb.1150:                             ;   in Loop: Header=BB230_10 Depth=1
	v_ffbh_u32_e32 v3, v26
	v_min_u32_e32 v3, 32, v3
	v_subrev_nc_u32_e32 v4, 28, v3
	v_sub_nc_u32_e32 v3, 29, v3
	v_lshlrev_b64 v[4:5], v4, v[26:27]
	v_and_b32_e32 v26, 7, v4
; %bb.1151:                             ;   in Loop: Header=BB230_10 Depth=1
	s_or_b32 exec_lo, exec_lo, s18
	v_mov_b32_e32 v0, 24
	v_lshl_add_u32 v3, v3, 23, 0x3c000000
	v_lshlrev_b32_sdwa v4, v0, v2 dst_sel:DWORD dst_unused:UNUSED_PAD src0_sel:DWORD src1_sel:WORD_1
	v_lshlrev_b32_e32 v0, 20, v26
	v_and_b32_e32 v4, 0x80000000, v4
	v_or3_b32 v26, v0, v4, v3
	v_mov_b32_e32 v34, v27
	v_mov_b32_e32 v33, v26
.LBB230_1152:                           ;   in Loop: Header=BB230_10 Depth=1
	s_or_b32 exec_lo, exec_lo, s17
.LBB230_1153:                           ;   in Loop: Header=BB230_10 Depth=1
	s_or_b32 exec_lo, exec_lo, s7
.LBB230_1154:                           ;   in Loop: Header=BB230_10 Depth=1
	s_or_b32 exec_lo, exec_lo, s6
	s_mov_b32 s6, exec_lo
	v_cmpx_lt_u32_e32 0xffffff, v2
	s_cbranch_execz .LBB230_1162
; %bb.1155:                             ;   in Loop: Header=BB230_10 Depth=1
	v_mov_b32_e32 v76, v27
	v_mov_b32_e32 v0, 0x80
	;; [unrolled: 1-line block ×3, first 2 shown]
	v_cmp_ne_u32_sdwa s5, v2, v0 src0_sel:BYTE_3 src1_sel:DWORD
	v_mov_b32_e32 v13, v77
	s_and_saveexec_b32 s7, s5
	s_cbranch_execz .LBB230_1161
; %bb.1156:                             ;   in Loop: Header=BB230_10 Depth=1
	v_mov_b32_e32 v106, v27
	v_bfe_u32 v4, v2, 24, 7
	s_mov_b32 s17, exec_lo
	v_mov_b32_e32 v12, v106
	v_mov_b32_e32 v13, v107
	v_cmpx_ne_u32_e32 0x7f, v4
	s_cbranch_execz .LBB230_1160
; %bb.1157:                             ;   in Loop: Header=BB230_10 Depth=1
	v_mov_b32_e32 v0, 7
	v_lshrrev_b32_e32 v3, 3, v4
	s_mov_b32 s18, exec_lo
	v_and_b32_sdwa v26, v2, v0 dst_sel:DWORD dst_unused:UNUSED_PAD src0_sel:BYTE_3 src1_sel:DWORD
	v_cmpx_gt_u32_e32 8, v4
; %bb.1158:                             ;   in Loop: Header=BB230_10 Depth=1
	v_ffbh_u32_e32 v3, v26
	v_min_u32_e32 v3, 32, v3
	v_subrev_nc_u32_e32 v4, 28, v3
	v_sub_nc_u32_e32 v3, 29, v3
	v_lshlrev_b64 v[4:5], v4, v[26:27]
	v_and_b32_e32 v26, 7, v4
; %bb.1159:                             ;   in Loop: Header=BB230_10 Depth=1
	s_or_b32 exec_lo, exec_lo, s18
	v_mov_b32_e32 v0, 24
	v_lshl_add_u32 v3, v3, 23, 0x3c000000
	v_mov_b32_e32 v12, v27
	v_lshlrev_b32_sdwa v2, v0, v2 dst_sel:DWORD dst_unused:UNUSED_PAD src0_sel:DWORD src1_sel:BYTE_3
	v_lshlrev_b32_e32 v0, 20, v26
	v_and_b32_e32 v2, 0x80000000, v2
	v_or3_b32 v13, v0, v2, v3
.LBB230_1160:                           ;   in Loop: Header=BB230_10 Depth=1
	s_or_b32 exec_lo, exec_lo, s17
.LBB230_1161:                           ;   in Loop: Header=BB230_10 Depth=1
	s_or_b32 exec_lo, exec_lo, s7
.LBB230_1162:                           ;   in Loop: Header=BB230_10 Depth=1
	s_or_b32 exec_lo, exec_lo, s6
	flat_load_dword v2, v[124:125] offset:512
	v_mov_b32_e32 v48, 0
	v_mov_b32_e32 v110, 0
	;; [unrolled: 1-line block ×4, first 2 shown]
	s_waitcnt vmcnt(0) lgkmcnt(0)
	v_cmp_ne_u16_sdwa s5, v2, v27 src0_sel:BYTE_0 src1_sel:DWORD
	s_and_saveexec_b32 s6, s5
	s_cbranch_execz .LBB230_1170
; %bb.1163:                             ;   in Loop: Header=BB230_10 Depth=1
	v_mov_b32_e32 v0, 0x80
	v_bfrev_b32_e32 v110, 1
	v_mov_b32_e32 v111, 0
	v_cmp_ne_u16_sdwa s5, v2, v0 src0_sel:BYTE_0 src1_sel:DWORD
	s_and_saveexec_b32 s7, s5
	s_cbranch_execz .LBB230_1169
; %bb.1164:                             ;   in Loop: Header=BB230_10 Depth=1
	v_mov_b32_e32 v110, 0x7f800001
	v_and_b32_e32 v4, 0x7f, v2
	v_mov_b32_e32 v111, 0
	s_mov_b32 s17, exec_lo
	v_cmpx_ne_u32_e32 0x7f, v4
	s_cbranch_execz .LBB230_1168
; %bb.1165:                             ;   in Loop: Header=BB230_10 Depth=1
	v_and_b32_e32 v26, 7, v2
	v_lshrrev_b32_e32 v3, 3, v4
	s_mov_b32 s18, exec_lo
	v_cmpx_gt_u32_e32 8, v4
; %bb.1166:                             ;   in Loop: Header=BB230_10 Depth=1
	v_ffbh_u32_e32 v3, v26
	v_min_u32_e32 v3, 32, v3
	v_subrev_nc_u32_e32 v4, 28, v3
	v_sub_nc_u32_e32 v3, 29, v3
	v_lshlrev_b64 v[4:5], v4, v[26:27]
	v_and_b32_e32 v26, 7, v4
; %bb.1167:                             ;   in Loop: Header=BB230_10 Depth=1
	s_or_b32 exec_lo, exec_lo, s18
	v_lshlrev_b32_e32 v4, 24, v2
	v_lshlrev_b32_e32 v0, 20, v26
	v_lshl_add_u32 v3, v3, 23, 0x3c000000
	v_and_b32_e32 v4, 0x80000000, v4
	v_or3_b32 v26, v0, v4, v3
	v_mov_b32_e32 v111, v27
	v_mov_b32_e32 v110, v26
.LBB230_1168:                           ;   in Loop: Header=BB230_10 Depth=1
	s_or_b32 exec_lo, exec_lo, s17
.LBB230_1169:                           ;   in Loop: Header=BB230_10 Depth=1
	s_or_b32 exec_lo, exec_lo, s7
.LBB230_1170:                           ;   in Loop: Header=BB230_10 Depth=1
	s_or_b32 exec_lo, exec_lo, s6
	v_cmp_ne_u16_sdwa s5, v2, v27 src0_sel:BYTE_1 src1_sel:DWORD
	s_and_saveexec_b32 s6, s5
	s_cbranch_execz .LBB230_1178
; %bb.1171:                             ;   in Loop: Header=BB230_10 Depth=1
	v_mov_b32_e32 v76, v27
	v_mov_b32_e32 v0, 0x80
	;; [unrolled: 1-line block ×3, first 2 shown]
	v_cmp_ne_u16_sdwa s5, v2, v0 src0_sel:BYTE_1 src1_sel:DWORD
	v_mov_b32_e32 v49, v77
	s_and_saveexec_b32 s7, s5
	s_cbranch_execz .LBB230_1177
; %bb.1172:                             ;   in Loop: Header=BB230_10 Depth=1
	v_mov_b32_e32 v0, 0xffff
	v_mov_b32_e32 v106, v27
	s_mov_b32 s17, exec_lo
	v_and_b32_sdwa v0, v0, v2 dst_sel:DWORD dst_unused:UNUSED_PAD src0_sel:DWORD src1_sel:BYTE_1
	v_mov_b32_e32 v48, v106
	v_mov_b32_e32 v49, v107
	v_and_b32_e32 v4, 0x7f, v0
	v_cmpx_ne_u32_e32 0x7f, v4
	s_cbranch_execz .LBB230_1176
; %bb.1173:                             ;   in Loop: Header=BB230_10 Depth=1
	v_and_b32_e32 v26, 7, v0
	v_lshrrev_b32_e32 v3, 3, v4
	s_mov_b32 s18, exec_lo
	v_cmpx_gt_u32_e32 8, v4
; %bb.1174:                             ;   in Loop: Header=BB230_10 Depth=1
	v_ffbh_u32_e32 v3, v26
	v_min_u32_e32 v3, 32, v3
	v_subrev_nc_u32_e32 v4, 28, v3
	v_sub_nc_u32_e32 v3, 29, v3
	v_lshlrev_b64 v[4:5], v4, v[26:27]
	v_and_b32_e32 v26, 7, v4
; %bb.1175:                             ;   in Loop: Header=BB230_10 Depth=1
	s_or_b32 exec_lo, exec_lo, s18
	v_lshlrev_b32_e32 v4, 16, v2
	v_lshlrev_b32_e32 v0, 20, v26
	v_lshl_add_u32 v3, v3, 23, 0x3c000000
	v_mov_b32_e32 v48, v27
	v_and_b32_e32 v4, 0x80000000, v4
	v_or3_b32 v49, v0, v4, v3
.LBB230_1176:                           ;   in Loop: Header=BB230_10 Depth=1
	s_or_b32 exec_lo, exec_lo, s17
.LBB230_1177:                           ;   in Loop: Header=BB230_10 Depth=1
	s_or_b32 exec_lo, exec_lo, s7
.LBB230_1178:                           ;   in Loop: Header=BB230_10 Depth=1
	s_or_b32 exec_lo, exec_lo, s6
	v_mov_b32_e32 v0, 0xff
	v_mov_b32_e32 v18, 0
	;; [unrolled: 1-line block ×5, first 2 shown]
	v_and_b32_sdwa v0, v2, v0 dst_sel:DWORD dst_unused:UNUSED_PAD src0_sel:WORD_1 src1_sel:DWORD
	s_mov_b32 s6, exec_lo
	v_cmpx_ne_u16_e32 0, v0
	s_cbranch_execz .LBB230_1186
; %bb.1179:                             ;   in Loop: Header=BB230_10 Depth=1
	v_bfrev_b32_e32 v20, 1
	v_mov_b32_e32 v21, 0
	s_mov_b32 s7, exec_lo
	v_cmpx_ne_u16_e32 0x80, v0
	s_cbranch_execz .LBB230_1185
; %bb.1180:                             ;   in Loop: Header=BB230_10 Depth=1
	v_mov_b32_e32 v20, 0x7f800001
	v_bfe_u32 v4, v2, 16, 7
	v_mov_b32_e32 v21, 0
	s_mov_b32 s17, exec_lo
	v_cmpx_ne_u32_e32 0x7f, v4
	s_cbranch_execz .LBB230_1184
; %bb.1181:                             ;   in Loop: Header=BB230_10 Depth=1
	v_mov_b32_e32 v0, 7
	v_lshrrev_b32_e32 v3, 3, v4
	s_mov_b32 s18, exec_lo
	v_and_b32_sdwa v26, v2, v0 dst_sel:DWORD dst_unused:UNUSED_PAD src0_sel:WORD_1 src1_sel:DWORD
	v_cmpx_gt_u32_e32 8, v4
; %bb.1182:                             ;   in Loop: Header=BB230_10 Depth=1
	v_ffbh_u32_e32 v3, v26
	v_min_u32_e32 v3, 32, v3
	v_subrev_nc_u32_e32 v4, 28, v3
	v_sub_nc_u32_e32 v3, 29, v3
	v_lshlrev_b64 v[4:5], v4, v[26:27]
	v_and_b32_e32 v26, 7, v4
; %bb.1183:                             ;   in Loop: Header=BB230_10 Depth=1
	s_or_b32 exec_lo, exec_lo, s18
	v_mov_b32_e32 v0, 24
	v_lshl_add_u32 v3, v3, 23, 0x3c000000
	v_lshlrev_b32_sdwa v4, v0, v2 dst_sel:DWORD dst_unused:UNUSED_PAD src0_sel:DWORD src1_sel:WORD_1
	v_lshlrev_b32_e32 v0, 20, v26
	v_and_b32_e32 v4, 0x80000000, v4
	v_or3_b32 v26, v0, v4, v3
	v_mov_b32_e32 v20, v26
	v_mov_b32_e32 v21, v27
.LBB230_1184:                           ;   in Loop: Header=BB230_10 Depth=1
	s_or_b32 exec_lo, exec_lo, s17
.LBB230_1185:                           ;   in Loop: Header=BB230_10 Depth=1
	s_or_b32 exec_lo, exec_lo, s7
.LBB230_1186:                           ;   in Loop: Header=BB230_10 Depth=1
	s_or_b32 exec_lo, exec_lo, s6
	s_mov_b32 s6, exec_lo
	v_cmpx_lt_u32_e32 0xffffff, v2
	s_cbranch_execz .LBB230_1194
; %bb.1187:                             ;   in Loop: Header=BB230_10 Depth=1
	v_mov_b32_e32 v76, v27
	v_mov_b32_e32 v0, 0x80
	;; [unrolled: 1-line block ×3, first 2 shown]
	v_cmp_ne_u32_sdwa s5, v2, v0 src0_sel:BYTE_3 src1_sel:DWORD
	v_mov_b32_e32 v19, v77
	s_and_saveexec_b32 s7, s5
	s_cbranch_execz .LBB230_1193
; %bb.1188:                             ;   in Loop: Header=BB230_10 Depth=1
	v_mov_b32_e32 v106, v27
	v_bfe_u32 v4, v2, 24, 7
	s_mov_b32 s17, exec_lo
	v_mov_b32_e32 v18, v106
	v_mov_b32_e32 v19, v107
	v_cmpx_ne_u32_e32 0x7f, v4
	s_cbranch_execz .LBB230_1192
; %bb.1189:                             ;   in Loop: Header=BB230_10 Depth=1
	v_mov_b32_e32 v0, 7
	v_lshrrev_b32_e32 v3, 3, v4
	s_mov_b32 s18, exec_lo
	v_and_b32_sdwa v26, v2, v0 dst_sel:DWORD dst_unused:UNUSED_PAD src0_sel:BYTE_3 src1_sel:DWORD
	v_cmpx_gt_u32_e32 8, v4
; %bb.1190:                             ;   in Loop: Header=BB230_10 Depth=1
	v_ffbh_u32_e32 v3, v26
	v_min_u32_e32 v3, 32, v3
	v_subrev_nc_u32_e32 v4, 28, v3
	v_sub_nc_u32_e32 v3, 29, v3
	v_lshlrev_b64 v[4:5], v4, v[26:27]
	v_and_b32_e32 v26, 7, v4
; %bb.1191:                             ;   in Loop: Header=BB230_10 Depth=1
	s_or_b32 exec_lo, exec_lo, s18
	v_mov_b32_e32 v0, 24
	v_lshl_add_u32 v3, v3, 23, 0x3c000000
	v_mov_b32_e32 v18, v27
	v_lshlrev_b32_sdwa v2, v0, v2 dst_sel:DWORD dst_unused:UNUSED_PAD src0_sel:DWORD src1_sel:BYTE_3
	v_lshlrev_b32_e32 v0, 20, v26
	v_and_b32_e32 v2, 0x80000000, v2
	v_or3_b32 v19, v0, v2, v3
.LBB230_1192:                           ;   in Loop: Header=BB230_10 Depth=1
	s_or_b32 exec_lo, exec_lo, s17
.LBB230_1193:                           ;   in Loop: Header=BB230_10 Depth=1
	s_or_b32 exec_lo, exec_lo, s7
.LBB230_1194:                           ;   in Loop: Header=BB230_10 Depth=1
	s_or_b32 exec_lo, exec_lo, s6
	flat_load_dword v2, v[124:125] offset:516
	v_mov_b32_e32 v14, 0
	v_mov_b32_e32 v4, 0
	;; [unrolled: 1-line block ×4, first 2 shown]
	s_waitcnt vmcnt(0) lgkmcnt(0)
	v_cmp_ne_u16_sdwa s5, v2, v27 src0_sel:BYTE_0 src1_sel:DWORD
	s_and_saveexec_b32 s6, s5
	s_cbranch_execz .LBB230_1202
; %bb.1195:                             ;   in Loop: Header=BB230_10 Depth=1
	v_mov_b32_e32 v0, 0x80
	v_bfrev_b32_e32 v4, 1
	v_mov_b32_e32 v5, 0
	v_cmp_ne_u16_sdwa s5, v2, v0 src0_sel:BYTE_0 src1_sel:DWORD
	s_and_saveexec_b32 s7, s5
	s_cbranch_execz .LBB230_1201
; %bb.1196:                             ;   in Loop: Header=BB230_10 Depth=1
	v_mov_b32_e32 v4, 0x7f800001
	v_and_b32_e32 v8, 0x7f, v2
	v_mov_b32_e32 v5, 0
	s_mov_b32 s17, exec_lo
	v_cmpx_ne_u32_e32 0x7f, v8
	s_cbranch_execz .LBB230_1200
; %bb.1197:                             ;   in Loop: Header=BB230_10 Depth=1
	v_and_b32_e32 v26, 7, v2
	v_lshrrev_b32_e32 v3, 3, v8
	s_mov_b32 s18, exec_lo
	v_cmpx_gt_u32_e32 8, v8
; %bb.1198:                             ;   in Loop: Header=BB230_10 Depth=1
	v_ffbh_u32_e32 v3, v26
	v_min_u32_e32 v3, 32, v3
	v_subrev_nc_u32_e32 v4, 28, v3
	v_sub_nc_u32_e32 v3, 29, v3
	v_lshlrev_b64 v[4:5], v4, v[26:27]
	v_and_b32_e32 v26, 7, v4
; %bb.1199:                             ;   in Loop: Header=BB230_10 Depth=1
	s_or_b32 exec_lo, exec_lo, s18
	v_lshlrev_b32_e32 v4, 24, v2
	v_lshlrev_b32_e32 v0, 20, v26
	v_lshl_add_u32 v3, v3, 23, 0x3c000000
	v_and_b32_e32 v4, 0x80000000, v4
	v_or3_b32 v26, v0, v4, v3
	v_mov_b32_e32 v4, v26
	v_mov_b32_e32 v5, v27
.LBB230_1200:                           ;   in Loop: Header=BB230_10 Depth=1
	s_or_b32 exec_lo, exec_lo, s17
.LBB230_1201:                           ;   in Loop: Header=BB230_10 Depth=1
	s_or_b32 exec_lo, exec_lo, s7
.LBB230_1202:                           ;   in Loop: Header=BB230_10 Depth=1
	s_or_b32 exec_lo, exec_lo, s6
	v_cmp_ne_u16_sdwa s5, v2, v27 src0_sel:BYTE_1 src1_sel:DWORD
	s_and_saveexec_b32 s6, s5
	s_cbranch_execz .LBB230_1210
; %bb.1203:                             ;   in Loop: Header=BB230_10 Depth=1
	v_mov_b32_e32 v76, v27
	v_mov_b32_e32 v0, 0x80
	;; [unrolled: 1-line block ×3, first 2 shown]
	v_cmp_ne_u16_sdwa s5, v2, v0 src0_sel:BYTE_1 src1_sel:DWORD
	v_mov_b32_e32 v15, v77
	s_and_saveexec_b32 s7, s5
	s_cbranch_execz .LBB230_1209
; %bb.1204:                             ;   in Loop: Header=BB230_10 Depth=1
	v_mov_b32_e32 v0, 0xffff
	v_mov_b32_e32 v106, v27
	s_mov_b32 s17, exec_lo
	v_and_b32_sdwa v0, v0, v2 dst_sel:DWORD dst_unused:UNUSED_PAD src0_sel:DWORD src1_sel:BYTE_1
	v_mov_b32_e32 v14, v106
	v_mov_b32_e32 v15, v107
	v_and_b32_e32 v8, 0x7f, v0
	v_cmpx_ne_u32_e32 0x7f, v8
	s_cbranch_execz .LBB230_1208
; %bb.1205:                             ;   in Loop: Header=BB230_10 Depth=1
	v_and_b32_e32 v26, 7, v0
	v_lshrrev_b32_e32 v3, 3, v8
	s_mov_b32 s18, exec_lo
	v_cmpx_gt_u32_e32 8, v8
; %bb.1206:                             ;   in Loop: Header=BB230_10 Depth=1
	v_ffbh_u32_e32 v3, v26
	v_min_u32_e32 v3, 32, v3
	v_subrev_nc_u32_e32 v8, 28, v3
	v_sub_nc_u32_e32 v3, 29, v3
	v_lshlrev_b64 v[8:9], v8, v[26:27]
	v_and_b32_e32 v26, 7, v8
; %bb.1207:                             ;   in Loop: Header=BB230_10 Depth=1
	s_or_b32 exec_lo, exec_lo, s18
	v_lshlrev_b32_e32 v8, 16, v2
	v_lshlrev_b32_e32 v0, 20, v26
	v_lshl_add_u32 v3, v3, 23, 0x3c000000
	v_mov_b32_e32 v14, v27
	v_and_b32_e32 v8, 0x80000000, v8
	v_or3_b32 v15, v0, v8, v3
.LBB230_1208:                           ;   in Loop: Header=BB230_10 Depth=1
	s_or_b32 exec_lo, exec_lo, s17
.LBB230_1209:                           ;   in Loop: Header=BB230_10 Depth=1
	s_or_b32 exec_lo, exec_lo, s7
.LBB230_1210:                           ;   in Loop: Header=BB230_10 Depth=1
	s_or_b32 exec_lo, exec_lo, s6
	v_mov_b32_e32 v0, 0xff
	v_mov_b32_e32 v24, 0
	;; [unrolled: 1-line block ×5, first 2 shown]
	v_and_b32_sdwa v0, v2, v0 dst_sel:DWORD dst_unused:UNUSED_PAD src0_sel:WORD_1 src1_sel:DWORD
	s_mov_b32 s6, exec_lo
	v_cmpx_ne_u16_e32 0, v0
	s_cbranch_execz .LBB230_1218
; %bb.1211:                             ;   in Loop: Header=BB230_10 Depth=1
	v_bfrev_b32_e32 v29, 1
	v_mov_b32_e32 v30, 0
	s_mov_b32 s7, exec_lo
	v_cmpx_ne_u16_e32 0x80, v0
	s_cbranch_execz .LBB230_1217
; %bb.1212:                             ;   in Loop: Header=BB230_10 Depth=1
	v_mov_b32_e32 v29, 0x7f800001
	v_bfe_u32 v8, v2, 16, 7
	v_mov_b32_e32 v30, 0
	s_mov_b32 s17, exec_lo
	v_cmpx_ne_u32_e32 0x7f, v8
	s_cbranch_execz .LBB230_1216
; %bb.1213:                             ;   in Loop: Header=BB230_10 Depth=1
	v_mov_b32_e32 v0, 7
	v_lshrrev_b32_e32 v3, 3, v8
	s_mov_b32 s18, exec_lo
	v_and_b32_sdwa v26, v2, v0 dst_sel:DWORD dst_unused:UNUSED_PAD src0_sel:WORD_1 src1_sel:DWORD
	v_cmpx_gt_u32_e32 8, v8
; %bb.1214:                             ;   in Loop: Header=BB230_10 Depth=1
	v_ffbh_u32_e32 v3, v26
	v_min_u32_e32 v3, 32, v3
	v_subrev_nc_u32_e32 v8, 28, v3
	v_sub_nc_u32_e32 v3, 29, v3
	v_lshlrev_b64 v[8:9], v8, v[26:27]
	v_and_b32_e32 v26, 7, v8
; %bb.1215:                             ;   in Loop: Header=BB230_10 Depth=1
	s_or_b32 exec_lo, exec_lo, s18
	v_mov_b32_e32 v0, 24
	v_lshl_add_u32 v3, v3, 23, 0x3c000000
	v_lshlrev_b32_sdwa v8, v0, v2 dst_sel:DWORD dst_unused:UNUSED_PAD src0_sel:DWORD src1_sel:WORD_1
	v_lshlrev_b32_e32 v0, 20, v26
	v_and_b32_e32 v8, 0x80000000, v8
	v_or3_b32 v26, v0, v8, v3
	v_mov_b32_e32 v30, v27
	v_mov_b32_e32 v29, v26
.LBB230_1216:                           ;   in Loop: Header=BB230_10 Depth=1
	s_or_b32 exec_lo, exec_lo, s17
.LBB230_1217:                           ;   in Loop: Header=BB230_10 Depth=1
	s_or_b32 exec_lo, exec_lo, s7
.LBB230_1218:                           ;   in Loop: Header=BB230_10 Depth=1
	s_or_b32 exec_lo, exec_lo, s6
	s_mov_b32 s6, exec_lo
	v_cmpx_lt_u32_e32 0xffffff, v2
	s_cbranch_execz .LBB230_1226
; %bb.1219:                             ;   in Loop: Header=BB230_10 Depth=1
	v_mov_b32_e32 v76, v27
	v_mov_b32_e32 v0, 0x80
	;; [unrolled: 1-line block ×3, first 2 shown]
	v_cmp_ne_u32_sdwa s5, v2, v0 src0_sel:BYTE_3 src1_sel:DWORD
	v_mov_b32_e32 v25, v77
	s_and_saveexec_b32 s7, s5
	s_cbranch_execz .LBB230_1225
; %bb.1220:                             ;   in Loop: Header=BB230_10 Depth=1
	v_mov_b32_e32 v106, v27
	v_bfe_u32 v8, v2, 24, 7
	s_mov_b32 s17, exec_lo
	v_mov_b32_e32 v24, v106
	v_mov_b32_e32 v25, v107
	v_cmpx_ne_u32_e32 0x7f, v8
	s_cbranch_execz .LBB230_1224
; %bb.1221:                             ;   in Loop: Header=BB230_10 Depth=1
	v_mov_b32_e32 v0, 7
	v_lshrrev_b32_e32 v3, 3, v8
	s_mov_b32 s18, exec_lo
	v_and_b32_sdwa v26, v2, v0 dst_sel:DWORD dst_unused:UNUSED_PAD src0_sel:BYTE_3 src1_sel:DWORD
	v_cmpx_gt_u32_e32 8, v8
; %bb.1222:                             ;   in Loop: Header=BB230_10 Depth=1
	v_ffbh_u32_e32 v3, v26
	v_min_u32_e32 v3, 32, v3
	v_subrev_nc_u32_e32 v8, 28, v3
	v_sub_nc_u32_e32 v3, 29, v3
	v_lshlrev_b64 v[8:9], v8, v[26:27]
	v_and_b32_e32 v26, 7, v8
; %bb.1223:                             ;   in Loop: Header=BB230_10 Depth=1
	s_or_b32 exec_lo, exec_lo, s18
	v_mov_b32_e32 v0, 24
	v_lshl_add_u32 v3, v3, 23, 0x3c000000
	v_mov_b32_e32 v24, v27
	v_lshlrev_b32_sdwa v2, v0, v2 dst_sel:DWORD dst_unused:UNUSED_PAD src0_sel:DWORD src1_sel:BYTE_3
	v_lshlrev_b32_e32 v0, 20, v26
	v_and_b32_e32 v2, 0x80000000, v2
	v_or3_b32 v25, v0, v2, v3
.LBB230_1224:                           ;   in Loop: Header=BB230_10 Depth=1
	s_or_b32 exec_lo, exec_lo, s17
.LBB230_1225:                           ;   in Loop: Header=BB230_10 Depth=1
	s_or_b32 exec_lo, exec_lo, s7
.LBB230_1226:                           ;   in Loop: Header=BB230_10 Depth=1
	s_or_b32 exec_lo, exec_lo, s6
	flat_load_dword v2, v[124:125] offset:520
	v_mov_b32_e32 v22, 0
	v_mov_b32_e32 v64, 0
	;; [unrolled: 1-line block ×4, first 2 shown]
	s_waitcnt vmcnt(0) lgkmcnt(0)
	v_cmp_ne_u16_sdwa s5, v2, v27 src0_sel:BYTE_0 src1_sel:DWORD
	s_and_saveexec_b32 s6, s5
	s_cbranch_execz .LBB230_1234
; %bb.1227:                             ;   in Loop: Header=BB230_10 Depth=1
	v_mov_b32_e32 v0, 0x80
	v_bfrev_b32_e32 v64, 1
	v_mov_b32_e32 v65, 0
	v_cmp_ne_u16_sdwa s5, v2, v0 src0_sel:BYTE_0 src1_sel:DWORD
	s_and_saveexec_b32 s7, s5
	s_cbranch_execz .LBB230_1233
; %bb.1228:                             ;   in Loop: Header=BB230_10 Depth=1
	v_mov_b32_e32 v64, 0x7f800001
	v_and_b32_e32 v8, 0x7f, v2
	v_mov_b32_e32 v65, 0
	s_mov_b32 s17, exec_lo
	v_cmpx_ne_u32_e32 0x7f, v8
	s_cbranch_execz .LBB230_1232
; %bb.1229:                             ;   in Loop: Header=BB230_10 Depth=1
	v_and_b32_e32 v26, 7, v2
	v_lshrrev_b32_e32 v3, 3, v8
	s_mov_b32 s18, exec_lo
	v_cmpx_gt_u32_e32 8, v8
; %bb.1230:                             ;   in Loop: Header=BB230_10 Depth=1
	v_ffbh_u32_e32 v3, v26
	v_min_u32_e32 v3, 32, v3
	v_subrev_nc_u32_e32 v8, 28, v3
	v_sub_nc_u32_e32 v3, 29, v3
	v_lshlrev_b64 v[8:9], v8, v[26:27]
	v_and_b32_e32 v26, 7, v8
; %bb.1231:                             ;   in Loop: Header=BB230_10 Depth=1
	s_or_b32 exec_lo, exec_lo, s18
	v_lshlrev_b32_e32 v8, 24, v2
	v_lshlrev_b32_e32 v0, 20, v26
	v_lshl_add_u32 v3, v3, 23, 0x3c000000
	v_and_b32_e32 v8, 0x80000000, v8
	v_or3_b32 v26, v0, v8, v3
	v_mov_b32_e32 v65, v27
	v_mov_b32_e32 v64, v26
.LBB230_1232:                           ;   in Loop: Header=BB230_10 Depth=1
	s_or_b32 exec_lo, exec_lo, s17
.LBB230_1233:                           ;   in Loop: Header=BB230_10 Depth=1
	s_or_b32 exec_lo, exec_lo, s7
.LBB230_1234:                           ;   in Loop: Header=BB230_10 Depth=1
	s_or_b32 exec_lo, exec_lo, s6
	v_cmp_ne_u16_sdwa s5, v2, v27 src0_sel:BYTE_1 src1_sel:DWORD
	s_and_saveexec_b32 s6, s5
	s_cbranch_execz .LBB230_1242
; %bb.1235:                             ;   in Loop: Header=BB230_10 Depth=1
	v_mov_b32_e32 v76, v27
	v_mov_b32_e32 v0, 0x80
	;; [unrolled: 1-line block ×3, first 2 shown]
	v_cmp_ne_u16_sdwa s5, v2, v0 src0_sel:BYTE_1 src1_sel:DWORD
	v_mov_b32_e32 v23, v77
	s_and_saveexec_b32 s7, s5
	s_cbranch_execz .LBB230_1241
; %bb.1236:                             ;   in Loop: Header=BB230_10 Depth=1
	v_mov_b32_e32 v0, 0xffff
	v_mov_b32_e32 v106, v27
	s_mov_b32 s17, exec_lo
	v_and_b32_sdwa v0, v0, v2 dst_sel:DWORD dst_unused:UNUSED_PAD src0_sel:DWORD src1_sel:BYTE_1
	v_mov_b32_e32 v22, v106
	v_mov_b32_e32 v23, v107
	v_and_b32_e32 v8, 0x7f, v0
	v_cmpx_ne_u32_e32 0x7f, v8
	s_cbranch_execz .LBB230_1240
; %bb.1237:                             ;   in Loop: Header=BB230_10 Depth=1
	v_and_b32_e32 v26, 7, v0
	v_lshrrev_b32_e32 v3, 3, v8
	s_mov_b32 s18, exec_lo
	v_cmpx_gt_u32_e32 8, v8
; %bb.1238:                             ;   in Loop: Header=BB230_10 Depth=1
	v_ffbh_u32_e32 v3, v26
	v_min_u32_e32 v3, 32, v3
	v_subrev_nc_u32_e32 v8, 28, v3
	v_sub_nc_u32_e32 v3, 29, v3
	v_lshlrev_b64 v[8:9], v8, v[26:27]
	v_and_b32_e32 v26, 7, v8
; %bb.1239:                             ;   in Loop: Header=BB230_10 Depth=1
	s_or_b32 exec_lo, exec_lo, s18
	v_lshlrev_b32_e32 v8, 16, v2
	v_lshlrev_b32_e32 v0, 20, v26
	v_lshl_add_u32 v3, v3, 23, 0x3c000000
	v_mov_b32_e32 v22, v27
	v_and_b32_e32 v8, 0x80000000, v8
	v_or3_b32 v23, v0, v8, v3
.LBB230_1240:                           ;   in Loop: Header=BB230_10 Depth=1
	s_or_b32 exec_lo, exec_lo, s17
.LBB230_1241:                           ;   in Loop: Header=BB230_10 Depth=1
	s_or_b32 exec_lo, exec_lo, s7
.LBB230_1242:                           ;   in Loop: Header=BB230_10 Depth=1
	s_or_b32 exec_lo, exec_lo, s6
	v_mov_b32_e32 v0, 0xff
	v_mov_b32_e32 v10, 0
	;; [unrolled: 1-line block ×5, first 2 shown]
	v_and_b32_sdwa v0, v2, v0 dst_sel:DWORD dst_unused:UNUSED_PAD src0_sel:WORD_1 src1_sel:DWORD
	s_mov_b32 s6, exec_lo
	v_cmpx_ne_u16_e32 0, v0
	s_cbranch_execz .LBB230_1250
; %bb.1243:                             ;   in Loop: Header=BB230_10 Depth=1
	v_bfrev_b32_e32 v54, 1
	v_mov_b32_e32 v55, 0
	s_mov_b32 s7, exec_lo
	v_cmpx_ne_u16_e32 0x80, v0
	s_cbranch_execz .LBB230_1249
; %bb.1244:                             ;   in Loop: Header=BB230_10 Depth=1
	v_mov_b32_e32 v54, 0x7f800001
	v_bfe_u32 v8, v2, 16, 7
	v_mov_b32_e32 v55, 0
	s_mov_b32 s17, exec_lo
	v_cmpx_ne_u32_e32 0x7f, v8
	s_cbranch_execz .LBB230_1248
; %bb.1245:                             ;   in Loop: Header=BB230_10 Depth=1
	v_mov_b32_e32 v0, 7
	v_lshrrev_b32_e32 v3, 3, v8
	s_mov_b32 s18, exec_lo
	v_and_b32_sdwa v26, v2, v0 dst_sel:DWORD dst_unused:UNUSED_PAD src0_sel:WORD_1 src1_sel:DWORD
	v_cmpx_gt_u32_e32 8, v8
; %bb.1246:                             ;   in Loop: Header=BB230_10 Depth=1
	v_ffbh_u32_e32 v3, v26
	v_min_u32_e32 v3, 32, v3
	v_subrev_nc_u32_e32 v8, 28, v3
	v_sub_nc_u32_e32 v3, 29, v3
	v_lshlrev_b64 v[8:9], v8, v[26:27]
	v_and_b32_e32 v26, 7, v8
; %bb.1247:                             ;   in Loop: Header=BB230_10 Depth=1
	s_or_b32 exec_lo, exec_lo, s18
	v_mov_b32_e32 v0, 24
	v_lshl_add_u32 v3, v3, 23, 0x3c000000
	v_lshlrev_b32_sdwa v8, v0, v2 dst_sel:DWORD dst_unused:UNUSED_PAD src0_sel:DWORD src1_sel:WORD_1
	v_lshlrev_b32_e32 v0, 20, v26
	v_and_b32_e32 v8, 0x80000000, v8
	v_or3_b32 v26, v0, v8, v3
	v_mov_b32_e32 v55, v27
	v_mov_b32_e32 v54, v26
.LBB230_1248:                           ;   in Loop: Header=BB230_10 Depth=1
	s_or_b32 exec_lo, exec_lo, s17
.LBB230_1249:                           ;   in Loop: Header=BB230_10 Depth=1
	s_or_b32 exec_lo, exec_lo, s7
.LBB230_1250:                           ;   in Loop: Header=BB230_10 Depth=1
	s_or_b32 exec_lo, exec_lo, s6
	s_mov_b32 s6, exec_lo
	v_cmpx_lt_u32_e32 0xffffff, v2
	s_cbranch_execz .LBB230_1258
; %bb.1251:                             ;   in Loop: Header=BB230_10 Depth=1
	v_mov_b32_e32 v76, v27
	v_mov_b32_e32 v0, 0x80
	;; [unrolled: 1-line block ×3, first 2 shown]
	v_cmp_ne_u32_sdwa s5, v2, v0 src0_sel:BYTE_3 src1_sel:DWORD
	v_mov_b32_e32 v11, v77
	s_and_saveexec_b32 s7, s5
	s_cbranch_execz .LBB230_1257
; %bb.1252:                             ;   in Loop: Header=BB230_10 Depth=1
	v_mov_b32_e32 v106, v27
	v_bfe_u32 v8, v2, 24, 7
	s_mov_b32 s17, exec_lo
	v_mov_b32_e32 v10, v106
	v_mov_b32_e32 v11, v107
	v_cmpx_ne_u32_e32 0x7f, v8
	s_cbranch_execz .LBB230_1256
; %bb.1253:                             ;   in Loop: Header=BB230_10 Depth=1
	v_mov_b32_e32 v0, 7
	v_lshrrev_b32_e32 v3, 3, v8
	s_mov_b32 s18, exec_lo
	v_and_b32_sdwa v26, v2, v0 dst_sel:DWORD dst_unused:UNUSED_PAD src0_sel:BYTE_3 src1_sel:DWORD
	v_cmpx_gt_u32_e32 8, v8
; %bb.1254:                             ;   in Loop: Header=BB230_10 Depth=1
	v_ffbh_u32_e32 v3, v26
	v_min_u32_e32 v3, 32, v3
	v_subrev_nc_u32_e32 v8, 28, v3
	v_sub_nc_u32_e32 v3, 29, v3
	v_lshlrev_b64 v[8:9], v8, v[26:27]
	v_and_b32_e32 v26, 7, v8
; %bb.1255:                             ;   in Loop: Header=BB230_10 Depth=1
	s_or_b32 exec_lo, exec_lo, s18
	v_mov_b32_e32 v0, 24
	v_lshl_add_u32 v3, v3, 23, 0x3c000000
	v_mov_b32_e32 v10, v27
	v_lshlrev_b32_sdwa v2, v0, v2 dst_sel:DWORD dst_unused:UNUSED_PAD src0_sel:DWORD src1_sel:BYTE_3
	v_lshlrev_b32_e32 v0, 20, v26
	v_and_b32_e32 v2, 0x80000000, v2
	v_or3_b32 v11, v0, v2, v3
.LBB230_1256:                           ;   in Loop: Header=BB230_10 Depth=1
	s_or_b32 exec_lo, exec_lo, s17
.LBB230_1257:                           ;   in Loop: Header=BB230_10 Depth=1
	s_or_b32 exec_lo, exec_lo, s7
.LBB230_1258:                           ;   in Loop: Header=BB230_10 Depth=1
	s_or_b32 exec_lo, exec_lo, s6
	flat_load_dword v2, v[124:125] offset:524
	v_mov_b32_e32 v37, 0
	v_mov_b32_e32 v35, 0
	;; [unrolled: 1-line block ×4, first 2 shown]
	s_waitcnt vmcnt(0) lgkmcnt(0)
	v_cmp_ne_u16_sdwa s5, v2, v27 src0_sel:BYTE_0 src1_sel:DWORD
	s_and_saveexec_b32 s6, s5
	s_cbranch_execz .LBB230_1266
; %bb.1259:                             ;   in Loop: Header=BB230_10 Depth=1
	v_mov_b32_e32 v0, 0x80
	v_bfrev_b32_e32 v35, 1
	v_mov_b32_e32 v36, 0
	v_cmp_ne_u16_sdwa s5, v2, v0 src0_sel:BYTE_0 src1_sel:DWORD
	s_and_saveexec_b32 s7, s5
	s_cbranch_execz .LBB230_1265
; %bb.1260:                             ;   in Loop: Header=BB230_10 Depth=1
	v_mov_b32_e32 v35, 0x7f800001
	v_and_b32_e32 v8, 0x7f, v2
	v_mov_b32_e32 v36, 0
	s_mov_b32 s17, exec_lo
	v_cmpx_ne_u32_e32 0x7f, v8
	s_cbranch_execz .LBB230_1264
; %bb.1261:                             ;   in Loop: Header=BB230_10 Depth=1
	v_and_b32_e32 v26, 7, v2
	v_lshrrev_b32_e32 v3, 3, v8
	s_mov_b32 s18, exec_lo
	v_cmpx_gt_u32_e32 8, v8
; %bb.1262:                             ;   in Loop: Header=BB230_10 Depth=1
	v_ffbh_u32_e32 v3, v26
	v_min_u32_e32 v3, 32, v3
	v_subrev_nc_u32_e32 v8, 28, v3
	v_sub_nc_u32_e32 v3, 29, v3
	v_lshlrev_b64 v[8:9], v8, v[26:27]
	v_and_b32_e32 v26, 7, v8
; %bb.1263:                             ;   in Loop: Header=BB230_10 Depth=1
	s_or_b32 exec_lo, exec_lo, s18
	v_lshlrev_b32_e32 v8, 24, v2
	v_lshlrev_b32_e32 v0, 20, v26
	v_lshl_add_u32 v3, v3, 23, 0x3c000000
	v_and_b32_e32 v8, 0x80000000, v8
	v_or3_b32 v26, v0, v8, v3
	v_mov_b32_e32 v36, v27
	v_mov_b32_e32 v35, v26
.LBB230_1264:                           ;   in Loop: Header=BB230_10 Depth=1
	s_or_b32 exec_lo, exec_lo, s17
.LBB230_1265:                           ;   in Loop: Header=BB230_10 Depth=1
	s_or_b32 exec_lo, exec_lo, s7
.LBB230_1266:                           ;   in Loop: Header=BB230_10 Depth=1
	s_or_b32 exec_lo, exec_lo, s6
	v_cmp_ne_u16_sdwa s5, v2, v27 src0_sel:BYTE_1 src1_sel:DWORD
	s_and_saveexec_b32 s6, s5
	s_cbranch_execz .LBB230_1274
; %bb.1267:                             ;   in Loop: Header=BB230_10 Depth=1
	v_mov_b32_e32 v76, v27
	v_mov_b32_e32 v0, 0x80
	;; [unrolled: 1-line block ×3, first 2 shown]
	v_cmp_ne_u16_sdwa s5, v2, v0 src0_sel:BYTE_1 src1_sel:DWORD
	v_mov_b32_e32 v38, v77
	s_and_saveexec_b32 s7, s5
	s_cbranch_execz .LBB230_1273
; %bb.1268:                             ;   in Loop: Header=BB230_10 Depth=1
	v_mov_b32_e32 v0, 0xffff
	v_mov_b32_e32 v106, v27
	s_mov_b32 s17, exec_lo
	v_and_b32_sdwa v0, v0, v2 dst_sel:DWORD dst_unused:UNUSED_PAD src0_sel:DWORD src1_sel:BYTE_1
	v_mov_b32_e32 v37, v106
	v_mov_b32_e32 v38, v107
	v_and_b32_e32 v8, 0x7f, v0
	v_cmpx_ne_u32_e32 0x7f, v8
	s_cbranch_execz .LBB230_1272
; %bb.1269:                             ;   in Loop: Header=BB230_10 Depth=1
	v_and_b32_e32 v26, 7, v0
	v_lshrrev_b32_e32 v3, 3, v8
	s_mov_b32 s18, exec_lo
	v_cmpx_gt_u32_e32 8, v8
; %bb.1270:                             ;   in Loop: Header=BB230_10 Depth=1
	v_ffbh_u32_e32 v3, v26
	v_min_u32_e32 v3, 32, v3
	v_subrev_nc_u32_e32 v8, 28, v3
	v_sub_nc_u32_e32 v3, 29, v3
	v_lshlrev_b64 v[8:9], v8, v[26:27]
	v_and_b32_e32 v26, 7, v8
; %bb.1271:                             ;   in Loop: Header=BB230_10 Depth=1
	s_or_b32 exec_lo, exec_lo, s18
	v_lshlrev_b32_e32 v8, 16, v2
	v_lshlrev_b32_e32 v0, 20, v26
	v_lshl_add_u32 v3, v3, 23, 0x3c000000
	v_mov_b32_e32 v37, v27
	v_and_b32_e32 v8, 0x80000000, v8
	v_or3_b32 v38, v0, v8, v3
.LBB230_1272:                           ;   in Loop: Header=BB230_10 Depth=1
	s_or_b32 exec_lo, exec_lo, s17
.LBB230_1273:                           ;   in Loop: Header=BB230_10 Depth=1
	s_or_b32 exec_lo, exec_lo, s7
.LBB230_1274:                           ;   in Loop: Header=BB230_10 Depth=1
	s_or_b32 exec_lo, exec_lo, s6
	v_mov_b32_e32 v0, 0xff
	v_mov_b32_e32 v70, 0
	;; [unrolled: 1-line block ×5, first 2 shown]
	v_and_b32_sdwa v0, v2, v0 dst_sel:DWORD dst_unused:UNUSED_PAD src0_sel:WORD_1 src1_sel:DWORD
	s_mov_b32 s6, exec_lo
	v_cmpx_ne_u16_e32 0, v0
	s_cbranch_execz .LBB230_1282
; %bb.1275:                             ;   in Loop: Header=BB230_10 Depth=1
	v_bfrev_b32_e32 v66, 1
	v_mov_b32_e32 v67, 0
	s_mov_b32 s7, exec_lo
	v_cmpx_ne_u16_e32 0x80, v0
	s_cbranch_execz .LBB230_1281
; %bb.1276:                             ;   in Loop: Header=BB230_10 Depth=1
	v_mov_b32_e32 v66, 0x7f800001
	v_bfe_u32 v8, v2, 16, 7
	v_mov_b32_e32 v67, 0
	s_mov_b32 s17, exec_lo
	v_cmpx_ne_u32_e32 0x7f, v8
	s_cbranch_execz .LBB230_1280
; %bb.1277:                             ;   in Loop: Header=BB230_10 Depth=1
	v_mov_b32_e32 v0, 7
	v_lshrrev_b32_e32 v3, 3, v8
	s_mov_b32 s18, exec_lo
	v_and_b32_sdwa v26, v2, v0 dst_sel:DWORD dst_unused:UNUSED_PAD src0_sel:WORD_1 src1_sel:DWORD
	v_cmpx_gt_u32_e32 8, v8
; %bb.1278:                             ;   in Loop: Header=BB230_10 Depth=1
	v_ffbh_u32_e32 v3, v26
	v_min_u32_e32 v3, 32, v3
	v_subrev_nc_u32_e32 v8, 28, v3
	v_sub_nc_u32_e32 v3, 29, v3
	v_lshlrev_b64 v[8:9], v8, v[26:27]
	v_and_b32_e32 v26, 7, v8
; %bb.1279:                             ;   in Loop: Header=BB230_10 Depth=1
	s_or_b32 exec_lo, exec_lo, s18
	v_mov_b32_e32 v0, 24
	v_lshl_add_u32 v3, v3, 23, 0x3c000000
	v_lshlrev_b32_sdwa v8, v0, v2 dst_sel:DWORD dst_unused:UNUSED_PAD src0_sel:DWORD src1_sel:WORD_1
	v_lshlrev_b32_e32 v0, 20, v26
	v_and_b32_e32 v8, 0x80000000, v8
	v_or3_b32 v26, v0, v8, v3
	v_mov_b32_e32 v67, v27
	v_mov_b32_e32 v66, v26
.LBB230_1280:                           ;   in Loop: Header=BB230_10 Depth=1
	s_or_b32 exec_lo, exec_lo, s17
.LBB230_1281:                           ;   in Loop: Header=BB230_10 Depth=1
	s_or_b32 exec_lo, exec_lo, s7
.LBB230_1282:                           ;   in Loop: Header=BB230_10 Depth=1
	s_or_b32 exec_lo, exec_lo, s6
	s_mov_b32 s6, exec_lo
	v_cmpx_lt_u32_e32 0xffffff, v2
	s_cbranch_execz .LBB230_1290
; %bb.1283:                             ;   in Loop: Header=BB230_10 Depth=1
	v_mov_b32_e32 v76, v27
	v_mov_b32_e32 v0, 0x80
	;; [unrolled: 1-line block ×3, first 2 shown]
	v_cmp_ne_u32_sdwa s5, v2, v0 src0_sel:BYTE_3 src1_sel:DWORD
	v_mov_b32_e32 v71, v77
	s_and_saveexec_b32 s7, s5
	s_cbranch_execz .LBB230_1289
; %bb.1284:                             ;   in Loop: Header=BB230_10 Depth=1
	v_mov_b32_e32 v106, v27
	v_bfe_u32 v8, v2, 24, 7
	s_mov_b32 s17, exec_lo
	v_mov_b32_e32 v70, v106
	v_mov_b32_e32 v71, v107
	v_cmpx_ne_u32_e32 0x7f, v8
	s_cbranch_execz .LBB230_1288
; %bb.1285:                             ;   in Loop: Header=BB230_10 Depth=1
	v_mov_b32_e32 v0, 7
	v_lshrrev_b32_e32 v3, 3, v8
	s_mov_b32 s18, exec_lo
	v_and_b32_sdwa v26, v2, v0 dst_sel:DWORD dst_unused:UNUSED_PAD src0_sel:BYTE_3 src1_sel:DWORD
	v_cmpx_gt_u32_e32 8, v8
; %bb.1286:                             ;   in Loop: Header=BB230_10 Depth=1
	v_ffbh_u32_e32 v3, v26
	v_min_u32_e32 v3, 32, v3
	v_subrev_nc_u32_e32 v8, 28, v3
	v_sub_nc_u32_e32 v3, 29, v3
	v_lshlrev_b64 v[8:9], v8, v[26:27]
	v_and_b32_e32 v26, 7, v8
; %bb.1287:                             ;   in Loop: Header=BB230_10 Depth=1
	s_or_b32 exec_lo, exec_lo, s18
	v_mov_b32_e32 v0, 24
	v_lshl_add_u32 v3, v3, 23, 0x3c000000
	v_mov_b32_e32 v70, v27
	v_lshlrev_b32_sdwa v2, v0, v2 dst_sel:DWORD dst_unused:UNUSED_PAD src0_sel:DWORD src1_sel:BYTE_3
	v_lshlrev_b32_e32 v0, 20, v26
	v_and_b32_e32 v2, 0x80000000, v2
	v_or3_b32 v71, v0, v2, v3
.LBB230_1288:                           ;   in Loop: Header=BB230_10 Depth=1
	s_or_b32 exec_lo, exec_lo, s17
.LBB230_1289:                           ;   in Loop: Header=BB230_10 Depth=1
	s_or_b32 exec_lo, exec_lo, s7
.LBB230_1290:                           ;   in Loop: Header=BB230_10 Depth=1
	s_or_b32 exec_lo, exec_lo, s6
	flat_load_dword v2, v[124:125] offset:1024
	v_mov_b32_e32 v96, 0
	v_mov_b32_e32 v80, 0
	;; [unrolled: 1-line block ×4, first 2 shown]
	s_waitcnt vmcnt(0) lgkmcnt(0)
	v_cmp_ne_u16_sdwa s5, v2, v27 src0_sel:BYTE_0 src1_sel:DWORD
	s_and_saveexec_b32 s6, s5
	s_cbranch_execz .LBB230_1298
; %bb.1291:                             ;   in Loop: Header=BB230_10 Depth=1
	v_mov_b32_e32 v0, 0x80
	v_bfrev_b32_e32 v80, 1
	v_mov_b32_e32 v81, 0
	v_cmp_ne_u16_sdwa s5, v2, v0 src0_sel:BYTE_0 src1_sel:DWORD
	s_and_saveexec_b32 s7, s5
	s_cbranch_execz .LBB230_1297
; %bb.1292:                             ;   in Loop: Header=BB230_10 Depth=1
	v_mov_b32_e32 v80, 0x7f800001
	v_and_b32_e32 v8, 0x7f, v2
	v_mov_b32_e32 v81, 0
	s_mov_b32 s17, exec_lo
	v_cmpx_ne_u32_e32 0x7f, v8
	s_cbranch_execz .LBB230_1296
; %bb.1293:                             ;   in Loop: Header=BB230_10 Depth=1
	v_and_b32_e32 v26, 7, v2
	v_lshrrev_b32_e32 v3, 3, v8
	s_mov_b32 s18, exec_lo
	v_cmpx_gt_u32_e32 8, v8
; %bb.1294:                             ;   in Loop: Header=BB230_10 Depth=1
	v_ffbh_u32_e32 v3, v26
	v_min_u32_e32 v3, 32, v3
	v_subrev_nc_u32_e32 v8, 28, v3
	v_sub_nc_u32_e32 v3, 29, v3
	v_lshlrev_b64 v[8:9], v8, v[26:27]
	v_and_b32_e32 v26, 7, v8
; %bb.1295:                             ;   in Loop: Header=BB230_10 Depth=1
	s_or_b32 exec_lo, exec_lo, s18
	v_lshlrev_b32_e32 v8, 24, v2
	v_lshlrev_b32_e32 v0, 20, v26
	v_lshl_add_u32 v3, v3, 23, 0x3c000000
	v_and_b32_e32 v8, 0x80000000, v8
	v_or3_b32 v26, v0, v8, v3
	v_mov_b32_e32 v81, v27
	v_mov_b32_e32 v80, v26
.LBB230_1296:                           ;   in Loop: Header=BB230_10 Depth=1
	s_or_b32 exec_lo, exec_lo, s17
.LBB230_1297:                           ;   in Loop: Header=BB230_10 Depth=1
	s_or_b32 exec_lo, exec_lo, s7
.LBB230_1298:                           ;   in Loop: Header=BB230_10 Depth=1
	s_or_b32 exec_lo, exec_lo, s6
	v_cmp_ne_u16_sdwa s5, v2, v27 src0_sel:BYTE_1 src1_sel:DWORD
	s_and_saveexec_b32 s6, s5
	s_cbranch_execz .LBB230_1306
; %bb.1299:                             ;   in Loop: Header=BB230_10 Depth=1
	v_mov_b32_e32 v76, v27
	v_mov_b32_e32 v0, 0x80
	;; [unrolled: 1-line block ×4, first 2 shown]
	v_cmp_ne_u16_sdwa s5, v2, v0 src0_sel:BYTE_1 src1_sel:DWORD
	s_and_saveexec_b32 s7, s5
	s_cbranch_execz .LBB230_1305
; %bb.1300:                             ;   in Loop: Header=BB230_10 Depth=1
	v_mov_b32_e32 v0, 0xffff
	v_mov_b32_e32 v106, v27
	s_mov_b32 s17, exec_lo
	v_and_b32_sdwa v0, v0, v2 dst_sel:DWORD dst_unused:UNUSED_PAD src0_sel:DWORD src1_sel:BYTE_1
	v_mov_b32_e32 v96, v106
	v_mov_b32_e32 v97, v107
	v_and_b32_e32 v8, 0x7f, v0
	v_cmpx_ne_u32_e32 0x7f, v8
	s_cbranch_execz .LBB230_1304
; %bb.1301:                             ;   in Loop: Header=BB230_10 Depth=1
	v_and_b32_e32 v26, 7, v0
	v_lshrrev_b32_e32 v3, 3, v8
	s_mov_b32 s18, exec_lo
	v_cmpx_gt_u32_e32 8, v8
; %bb.1302:                             ;   in Loop: Header=BB230_10 Depth=1
	v_ffbh_u32_e32 v3, v26
	v_min_u32_e32 v3, 32, v3
	v_subrev_nc_u32_e32 v8, 28, v3
	v_sub_nc_u32_e32 v3, 29, v3
	v_lshlrev_b64 v[8:9], v8, v[26:27]
	v_and_b32_e32 v26, 7, v8
; %bb.1303:                             ;   in Loop: Header=BB230_10 Depth=1
	s_or_b32 exec_lo, exec_lo, s18
	v_lshlrev_b32_e32 v8, 16, v2
	v_lshlrev_b32_e32 v0, 20, v26
	v_lshl_add_u32 v3, v3, 23, 0x3c000000
	v_mov_b32_e32 v96, v27
	v_and_b32_e32 v8, 0x80000000, v8
	v_or3_b32 v97, v0, v8, v3
.LBB230_1304:                           ;   in Loop: Header=BB230_10 Depth=1
	s_or_b32 exec_lo, exec_lo, s17
.LBB230_1305:                           ;   in Loop: Header=BB230_10 Depth=1
	s_or_b32 exec_lo, exec_lo, s7
.LBB230_1306:                           ;   in Loop: Header=BB230_10 Depth=1
	s_or_b32 exec_lo, exec_lo, s6
	v_mov_b32_e32 v0, 0xff
	v_mov_b32_e32 v102, 0
	;; [unrolled: 1-line block ×5, first 2 shown]
	v_and_b32_sdwa v0, v2, v0 dst_sel:DWORD dst_unused:UNUSED_PAD src0_sel:WORD_1 src1_sel:DWORD
	s_mov_b32 s6, exec_lo
	v_cmpx_ne_u16_e32 0, v0
	s_cbranch_execz .LBB230_1314
; %bb.1307:                             ;   in Loop: Header=BB230_10 Depth=1
	v_bfrev_b32_e32 v86, 1
	v_mov_b32_e32 v87, 0
	s_mov_b32 s7, exec_lo
	v_cmpx_ne_u16_e32 0x80, v0
	s_cbranch_execz .LBB230_1313
; %bb.1308:                             ;   in Loop: Header=BB230_10 Depth=1
	v_mov_b32_e32 v86, 0x7f800001
	v_bfe_u32 v8, v2, 16, 7
	v_mov_b32_e32 v87, 0
	s_mov_b32 s17, exec_lo
	v_cmpx_ne_u32_e32 0x7f, v8
	s_cbranch_execz .LBB230_1312
; %bb.1309:                             ;   in Loop: Header=BB230_10 Depth=1
	v_mov_b32_e32 v0, 7
	v_lshrrev_b32_e32 v3, 3, v8
	s_mov_b32 s18, exec_lo
	v_and_b32_sdwa v26, v2, v0 dst_sel:DWORD dst_unused:UNUSED_PAD src0_sel:WORD_1 src1_sel:DWORD
	v_cmpx_gt_u32_e32 8, v8
; %bb.1310:                             ;   in Loop: Header=BB230_10 Depth=1
	v_ffbh_u32_e32 v3, v26
	v_min_u32_e32 v3, 32, v3
	v_subrev_nc_u32_e32 v8, 28, v3
	v_sub_nc_u32_e32 v3, 29, v3
	v_lshlrev_b64 v[8:9], v8, v[26:27]
	v_and_b32_e32 v26, 7, v8
; %bb.1311:                             ;   in Loop: Header=BB230_10 Depth=1
	s_or_b32 exec_lo, exec_lo, s18
	v_mov_b32_e32 v0, 24
	v_lshl_add_u32 v3, v3, 23, 0x3c000000
	v_lshlrev_b32_sdwa v8, v0, v2 dst_sel:DWORD dst_unused:UNUSED_PAD src0_sel:DWORD src1_sel:WORD_1
	v_lshlrev_b32_e32 v0, 20, v26
	v_and_b32_e32 v8, 0x80000000, v8
	v_or3_b32 v26, v0, v8, v3
	v_mov_b32_e32 v87, v27
	v_mov_b32_e32 v86, v26
.LBB230_1312:                           ;   in Loop: Header=BB230_10 Depth=1
	s_or_b32 exec_lo, exec_lo, s17
.LBB230_1313:                           ;   in Loop: Header=BB230_10 Depth=1
	s_or_b32 exec_lo, exec_lo, s7
.LBB230_1314:                           ;   in Loop: Header=BB230_10 Depth=1
	s_or_b32 exec_lo, exec_lo, s6
	s_mov_b32 s6, exec_lo
	v_cmpx_lt_u32_e32 0xffffff, v2
	s_cbranch_execz .LBB230_1322
; %bb.1315:                             ;   in Loop: Header=BB230_10 Depth=1
	v_mov_b32_e32 v76, v27
	v_mov_b32_e32 v0, 0x80
	;; [unrolled: 1-line block ×4, first 2 shown]
	v_cmp_ne_u32_sdwa s5, v2, v0 src0_sel:BYTE_3 src1_sel:DWORD
	s_and_saveexec_b32 s7, s5
	s_cbranch_execz .LBB230_1321
; %bb.1316:                             ;   in Loop: Header=BB230_10 Depth=1
	v_mov_b32_e32 v106, v27
	v_bfe_u32 v8, v2, 24, 7
	s_mov_b32 s17, exec_lo
	v_mov_b32_e32 v102, v106
	v_mov_b32_e32 v103, v107
	v_cmpx_ne_u32_e32 0x7f, v8
	s_cbranch_execz .LBB230_1320
; %bb.1317:                             ;   in Loop: Header=BB230_10 Depth=1
	v_mov_b32_e32 v0, 7
	v_lshrrev_b32_e32 v3, 3, v8
	s_mov_b32 s18, exec_lo
	v_and_b32_sdwa v26, v2, v0 dst_sel:DWORD dst_unused:UNUSED_PAD src0_sel:BYTE_3 src1_sel:DWORD
	v_cmpx_gt_u32_e32 8, v8
; %bb.1318:                             ;   in Loop: Header=BB230_10 Depth=1
	v_ffbh_u32_e32 v3, v26
	v_min_u32_e32 v3, 32, v3
	v_subrev_nc_u32_e32 v8, 28, v3
	v_sub_nc_u32_e32 v3, 29, v3
	v_lshlrev_b64 v[8:9], v8, v[26:27]
	v_and_b32_e32 v26, 7, v8
; %bb.1319:                             ;   in Loop: Header=BB230_10 Depth=1
	s_or_b32 exec_lo, exec_lo, s18
	v_mov_b32_e32 v0, 24
	v_lshl_add_u32 v3, v3, 23, 0x3c000000
	v_mov_b32_e32 v102, v27
	v_lshlrev_b32_sdwa v2, v0, v2 dst_sel:DWORD dst_unused:UNUSED_PAD src0_sel:DWORD src1_sel:BYTE_3
	v_lshlrev_b32_e32 v0, 20, v26
	v_and_b32_e32 v2, 0x80000000, v2
	v_or3_b32 v103, v0, v2, v3
.LBB230_1320:                           ;   in Loop: Header=BB230_10 Depth=1
	s_or_b32 exec_lo, exec_lo, s17
.LBB230_1321:                           ;   in Loop: Header=BB230_10 Depth=1
	s_or_b32 exec_lo, exec_lo, s7
.LBB230_1322:                           ;   in Loop: Header=BB230_10 Depth=1
	s_or_b32 exec_lo, exec_lo, s6
	flat_load_dword v8, v[124:125] offset:1028
	v_mov_b32_e32 v118, 0
	v_mov_b32_e32 v82, 0
	;; [unrolled: 1-line block ×4, first 2 shown]
	s_waitcnt vmcnt(0) lgkmcnt(0)
	v_cmp_ne_u16_sdwa s5, v8, v27 src0_sel:BYTE_0 src1_sel:DWORD
	s_and_saveexec_b32 s6, s5
	s_cbranch_execz .LBB230_1330
; %bb.1323:                             ;   in Loop: Header=BB230_10 Depth=1
	v_mov_b32_e32 v0, 0x80
	v_bfrev_b32_e32 v82, 1
	v_mov_b32_e32 v83, 0
	v_cmp_ne_u16_sdwa s5, v8, v0 src0_sel:BYTE_0 src1_sel:DWORD
	s_and_saveexec_b32 s7, s5
	s_cbranch_execz .LBB230_1329
; %bb.1324:                             ;   in Loop: Header=BB230_10 Depth=1
	v_mov_b32_e32 v82, 0x7f800001
	v_and_b32_e32 v3, 0x7f, v8
	v_mov_b32_e32 v83, 0
	s_mov_b32 s17, exec_lo
	v_cmpx_ne_u32_e32 0x7f, v3
	s_cbranch_execz .LBB230_1328
; %bb.1325:                             ;   in Loop: Header=BB230_10 Depth=1
	v_and_b32_e32 v26, 7, v8
	v_lshrrev_b32_e32 v2, 3, v3
	s_mov_b32 s18, exec_lo
	v_cmpx_gt_u32_e32 8, v3
; %bb.1326:                             ;   in Loop: Header=BB230_10 Depth=1
	v_ffbh_u32_e32 v2, v26
	v_min_u32_e32 v2, 32, v2
	v_subrev_nc_u32_e32 v3, 28, v2
	v_sub_nc_u32_e32 v2, 29, v2
	v_lshlrev_b64 v[52:53], v3, v[26:27]
	v_and_b32_e32 v26, 7, v52
; %bb.1327:                             ;   in Loop: Header=BB230_10 Depth=1
	s_or_b32 exec_lo, exec_lo, s18
	v_lshlrev_b32_e32 v3, 24, v8
	v_lshlrev_b32_e32 v0, 20, v26
	v_lshl_add_u32 v2, v2, 23, 0x3c000000
	v_and_b32_e32 v3, 0x80000000, v3
	v_or3_b32 v26, v0, v3, v2
	v_mov_b32_e32 v83, v27
	v_mov_b32_e32 v82, v26
.LBB230_1328:                           ;   in Loop: Header=BB230_10 Depth=1
	s_or_b32 exec_lo, exec_lo, s17
.LBB230_1329:                           ;   in Loop: Header=BB230_10 Depth=1
	s_or_b32 exec_lo, exec_lo, s7
.LBB230_1330:                           ;   in Loop: Header=BB230_10 Depth=1
	s_or_b32 exec_lo, exec_lo, s6
	v_cmp_ne_u16_sdwa s5, v8, v27 src0_sel:BYTE_1 src1_sel:DWORD
	s_and_saveexec_b32 s6, s5
	s_cbranch_execz .LBB230_1338
; %bb.1331:                             ;   in Loop: Header=BB230_10 Depth=1
	v_mov_b32_e32 v76, v27
	v_mov_b32_e32 v0, 0x80
	;; [unrolled: 1-line block ×4, first 2 shown]
	v_cmp_ne_u16_sdwa s5, v8, v0 src0_sel:BYTE_1 src1_sel:DWORD
	s_and_saveexec_b32 s7, s5
	s_cbranch_execz .LBB230_1337
; %bb.1332:                             ;   in Loop: Header=BB230_10 Depth=1
	v_mov_b32_e32 v0, 0xffff
	v_mov_b32_e32 v106, v27
	v_mov_b32_e32 v119, v107
	s_mov_b32 s17, exec_lo
	v_and_b32_sdwa v0, v0, v8 dst_sel:DWORD dst_unused:UNUSED_PAD src0_sel:DWORD src1_sel:BYTE_1
	v_mov_b32_e32 v118, v106
	v_and_b32_e32 v3, 0x7f, v0
	v_cmpx_ne_u32_e32 0x7f, v3
	s_cbranch_execz .LBB230_1336
; %bb.1333:                             ;   in Loop: Header=BB230_10 Depth=1
	v_and_b32_e32 v26, 7, v0
	v_lshrrev_b32_e32 v2, 3, v3
	s_mov_b32 s18, exec_lo
	v_cmpx_gt_u32_e32 8, v3
; %bb.1334:                             ;   in Loop: Header=BB230_10 Depth=1
	v_ffbh_u32_e32 v2, v26
	v_min_u32_e32 v2, 32, v2
	v_subrev_nc_u32_e32 v3, 28, v2
	v_sub_nc_u32_e32 v2, 29, v2
	v_lshlrev_b64 v[52:53], v3, v[26:27]
	v_and_b32_e32 v26, 7, v52
; %bb.1335:                             ;   in Loop: Header=BB230_10 Depth=1
	s_or_b32 exec_lo, exec_lo, s18
	v_lshlrev_b32_e32 v3, 16, v8
	v_lshlrev_b32_e32 v0, 20, v26
	v_lshl_add_u32 v2, v2, 23, 0x3c000000
	v_mov_b32_e32 v118, v27
	v_and_b32_e32 v3, 0x80000000, v3
	v_or3_b32 v119, v0, v3, v2
.LBB230_1336:                           ;   in Loop: Header=BB230_10 Depth=1
	s_or_b32 exec_lo, exec_lo, s17
.LBB230_1337:                           ;   in Loop: Header=BB230_10 Depth=1
	s_or_b32 exec_lo, exec_lo, s7
.LBB230_1338:                           ;   in Loop: Header=BB230_10 Depth=1
	s_or_b32 exec_lo, exec_lo, s6
	v_mov_b32_e32 v0, 0xff
	v_mov_b32_e32 v94, 0
	;; [unrolled: 1-line block ×5, first 2 shown]
	v_and_b32_sdwa v0, v8, v0 dst_sel:DWORD dst_unused:UNUSED_PAD src0_sel:WORD_1 src1_sel:DWORD
	s_mov_b32 s6, exec_lo
	v_cmpx_ne_u16_e32 0, v0
	s_cbranch_execz .LBB230_1346
; %bb.1339:                             ;   in Loop: Header=BB230_10 Depth=1
	v_bfrev_b32_e32 v68, 1
	v_mov_b32_e32 v69, 0
	s_mov_b32 s7, exec_lo
	v_cmpx_ne_u16_e32 0x80, v0
	s_cbranch_execz .LBB230_1345
; %bb.1340:                             ;   in Loop: Header=BB230_10 Depth=1
	v_mov_b32_e32 v68, 0x7f800001
	v_bfe_u32 v3, v8, 16, 7
	v_mov_b32_e32 v69, 0
	s_mov_b32 s17, exec_lo
	v_cmpx_ne_u32_e32 0x7f, v3
	s_cbranch_execz .LBB230_1344
; %bb.1341:                             ;   in Loop: Header=BB230_10 Depth=1
	v_mov_b32_e32 v0, 7
	v_lshrrev_b32_e32 v2, 3, v3
	s_mov_b32 s18, exec_lo
	v_and_b32_sdwa v26, v8, v0 dst_sel:DWORD dst_unused:UNUSED_PAD src0_sel:WORD_1 src1_sel:DWORD
	v_cmpx_gt_u32_e32 8, v3
; %bb.1342:                             ;   in Loop: Header=BB230_10 Depth=1
	v_ffbh_u32_e32 v2, v26
	v_min_u32_e32 v2, 32, v2
	v_subrev_nc_u32_e32 v3, 28, v2
	v_sub_nc_u32_e32 v2, 29, v2
	v_lshlrev_b64 v[52:53], v3, v[26:27]
	v_and_b32_e32 v26, 7, v52
; %bb.1343:                             ;   in Loop: Header=BB230_10 Depth=1
	s_or_b32 exec_lo, exec_lo, s18
	v_mov_b32_e32 v0, 24
	v_lshl_add_u32 v2, v2, 23, 0x3c000000
	v_lshlrev_b32_sdwa v3, v0, v8 dst_sel:DWORD dst_unused:UNUSED_PAD src0_sel:DWORD src1_sel:WORD_1
	v_lshlrev_b32_e32 v0, 20, v26
	v_and_b32_e32 v3, 0x80000000, v3
	v_or3_b32 v26, v0, v3, v2
	v_mov_b32_e32 v69, v27
	v_mov_b32_e32 v68, v26
.LBB230_1344:                           ;   in Loop: Header=BB230_10 Depth=1
	s_or_b32 exec_lo, exec_lo, s17
.LBB230_1345:                           ;   in Loop: Header=BB230_10 Depth=1
	s_or_b32 exec_lo, exec_lo, s7
.LBB230_1346:                           ;   in Loop: Header=BB230_10 Depth=1
	s_or_b32 exec_lo, exec_lo, s6
	s_mov_b32 s6, exec_lo
	v_cmpx_lt_u32_e32 0xffffff, v8
	s_cbranch_execz .LBB230_1354
; %bb.1347:                             ;   in Loop: Header=BB230_10 Depth=1
	v_mov_b32_e32 v76, v27
	v_mov_b32_e32 v0, 0x80
	;; [unrolled: 1-line block ×4, first 2 shown]
	v_cmp_ne_u32_sdwa s5, v8, v0 src0_sel:BYTE_3 src1_sel:DWORD
	s_and_saveexec_b32 s7, s5
	s_cbranch_execz .LBB230_1353
; %bb.1348:                             ;   in Loop: Header=BB230_10 Depth=1
	v_mov_b32_e32 v106, v27
	v_bfe_u32 v2, v8, 24, 7
	s_mov_b32 s17, exec_lo
	v_mov_b32_e32 v94, v106
	v_mov_b32_e32 v95, v107
	v_cmpx_ne_u32_e32 0x7f, v2
	s_cbranch_execz .LBB230_1352
; %bb.1349:                             ;   in Loop: Header=BB230_10 Depth=1
	v_mov_b32_e32 v0, 7
	v_lshrrev_b32_e32 v9, 3, v2
	v_cmp_gt_u32_e64 s5, 8, v2
	v_and_b32_sdwa v26, v8, v0 dst_sel:DWORD dst_unused:UNUSED_PAD src0_sel:BYTE_3 src1_sel:DWORD
	v_mov_b32_e32 v2, v26
	v_mov_b32_e32 v3, v27
	s_and_saveexec_b32 s18, s5
; %bb.1350:                             ;   in Loop: Header=BB230_10 Depth=1
	v_ffbh_u32_e32 v2, v26
	v_min_u32_e32 v9, 32, v2
	v_subrev_nc_u32_e32 v2, 28, v9
	v_sub_nc_u32_e32 v9, 29, v9
	v_lshlrev_b64 v[2:3], v2, v[26:27]
	v_and_b32_e32 v2, 7, v2
; %bb.1351:                             ;   in Loop: Header=BB230_10 Depth=1
	s_or_b32 exec_lo, exec_lo, s18
	v_mov_b32_e32 v0, 24
	v_lshlrev_b32_e32 v2, 20, v2
	v_lshl_add_u32 v3, v9, 23, 0x3c000000
	v_mov_b32_e32 v94, v27
	v_lshlrev_b32_sdwa v0, v0, v8 dst_sel:DWORD dst_unused:UNUSED_PAD src0_sel:DWORD src1_sel:BYTE_3
	v_and_b32_e32 v0, 0x80000000, v0
	v_or3_b32 v95, v2, v0, v3
.LBB230_1352:                           ;   in Loop: Header=BB230_10 Depth=1
	s_or_b32 exec_lo, exec_lo, s17
.LBB230_1353:                           ;   in Loop: Header=BB230_10 Depth=1
	s_or_b32 exec_lo, exec_lo, s7
.LBB230_1354:                           ;   in Loop: Header=BB230_10 Depth=1
	s_or_b32 exec_lo, exec_lo, s6
	flat_load_dword v52, v[124:125] offset:1032
	v_mov_b32_e32 v84, 0
	v_mov_b32_e32 v2, 0
	v_mov_b32_e32 v85, 0
	v_mov_b32_e32 v3, 0
	s_waitcnt vmcnt(0) lgkmcnt(0)
	v_cmp_ne_u16_sdwa s5, v52, v27 src0_sel:BYTE_0 src1_sel:DWORD
	s_and_saveexec_b32 s6, s5
	s_cbranch_execz .LBB230_1362
; %bb.1355:                             ;   in Loop: Header=BB230_10 Depth=1
	v_mov_b32_e32 v0, 0x80
	v_bfrev_b32_e32 v2, 1
	v_mov_b32_e32 v3, 0
	v_cmp_ne_u16_sdwa s5, v52, v0 src0_sel:BYTE_0 src1_sel:DWORD
	s_and_saveexec_b32 s7, s5
	s_cbranch_execz .LBB230_1361
; %bb.1356:                             ;   in Loop: Header=BB230_10 Depth=1
	v_mov_b32_e32 v2, 0x7f800001
	v_and_b32_e32 v9, 0x7f, v52
	v_mov_b32_e32 v3, 0
	s_mov_b32 s17, exec_lo
	v_cmpx_ne_u32_e32 0x7f, v9
	s_cbranch_execz .LBB230_1360
; %bb.1357:                             ;   in Loop: Header=BB230_10 Depth=1
	v_and_b32_e32 v26, 7, v52
	v_lshrrev_b32_e32 v8, 3, v9
	s_mov_b32 s18, exec_lo
	v_mov_b32_e32 v2, v26
	v_mov_b32_e32 v3, v27
	v_cmpx_gt_u32_e32 8, v9
; %bb.1358:                             ;   in Loop: Header=BB230_10 Depth=1
	v_ffbh_u32_e32 v2, v26
	v_min_u32_e32 v8, 32, v2
	v_subrev_nc_u32_e32 v2, 28, v8
	v_sub_nc_u32_e32 v8, 29, v8
	v_lshlrev_b64 v[2:3], v2, v[26:27]
	v_and_b32_e32 v2, 7, v2
; %bb.1359:                             ;   in Loop: Header=BB230_10 Depth=1
	s_or_b32 exec_lo, exec_lo, s18
	v_lshlrev_b32_e32 v0, 24, v52
	v_lshlrev_b32_e32 v2, 20, v2
	v_lshl_add_u32 v3, v8, 23, 0x3c000000
	v_and_b32_e32 v0, 0x80000000, v0
	v_or3_b32 v26, v2, v0, v3
	v_mov_b32_e32 v2, v26
	v_mov_b32_e32 v3, v27
.LBB230_1360:                           ;   in Loop: Header=BB230_10 Depth=1
	s_or_b32 exec_lo, exec_lo, s17
.LBB230_1361:                           ;   in Loop: Header=BB230_10 Depth=1
	s_or_b32 exec_lo, exec_lo, s7
.LBB230_1362:                           ;   in Loop: Header=BB230_10 Depth=1
	s_or_b32 exec_lo, exec_lo, s6
	v_cmp_ne_u16_sdwa s5, v52, v27 src0_sel:BYTE_1 src1_sel:DWORD
	s_and_saveexec_b32 s6, s5
	s_cbranch_execz .LBB230_1370
; %bb.1363:                             ;   in Loop: Header=BB230_10 Depth=1
	v_mov_b32_e32 v76, v27
	v_mov_b32_e32 v0, 0x80
	;; [unrolled: 1-line block ×4, first 2 shown]
	v_cmp_ne_u16_sdwa s5, v52, v0 src0_sel:BYTE_1 src1_sel:DWORD
	s_and_saveexec_b32 s7, s5
	s_cbranch_execz .LBB230_1369
; %bb.1364:                             ;   in Loop: Header=BB230_10 Depth=1
	v_mov_b32_e32 v0, 0xffff
	v_mov_b32_e32 v106, v27
	s_mov_b32 s17, exec_lo
	v_and_b32_sdwa v0, v0, v52 dst_sel:DWORD dst_unused:UNUSED_PAD src0_sel:DWORD src1_sel:BYTE_1
	v_mov_b32_e32 v84, v106
	v_mov_b32_e32 v85, v107
	v_and_b32_e32 v8, 0x7f, v0
	v_cmpx_ne_u32_e32 0x7f, v8
	s_cbranch_execz .LBB230_1368
; %bb.1365:                             ;   in Loop: Header=BB230_10 Depth=1
	v_and_b32_e32 v26, 7, v0
	v_lshrrev_b32_e32 v39, 3, v8
	v_cmp_gt_u32_e64 s5, 8, v8
	v_mov_b32_e32 v8, v26
	v_mov_b32_e32 v9, v27
	s_and_saveexec_b32 s18, s5
; %bb.1366:                             ;   in Loop: Header=BB230_10 Depth=1
	v_ffbh_u32_e32 v8, v26
	v_min_u32_e32 v39, 32, v8
	v_subrev_nc_u32_e32 v8, 28, v39
	v_sub_nc_u32_e32 v39, 29, v39
	v_lshlrev_b64 v[8:9], v8, v[26:27]
	v_and_b32_e32 v8, 7, v8
; %bb.1367:                             ;   in Loop: Header=BB230_10 Depth=1
	s_or_b32 exec_lo, exec_lo, s18
	v_lshlrev_b32_e32 v0, 16, v52
	v_lshlrev_b32_e32 v8, 20, v8
	v_lshl_add_u32 v9, v39, 23, 0x3c000000
	v_mov_b32_e32 v84, v27
	v_and_b32_e32 v0, 0x80000000, v0
	v_or3_b32 v85, v8, v0, v9
.LBB230_1368:                           ;   in Loop: Header=BB230_10 Depth=1
	s_or_b32 exec_lo, exec_lo, s17
.LBB230_1369:                           ;   in Loop: Header=BB230_10 Depth=1
	s_or_b32 exec_lo, exec_lo, s7
.LBB230_1370:                           ;   in Loop: Header=BB230_10 Depth=1
	s_or_b32 exec_lo, exec_lo, s6
	v_mov_b32_e32 v0, 0xff
	v_mov_b32_e32 v114, 0
	;; [unrolled: 1-line block ×5, first 2 shown]
	v_and_b32_sdwa v0, v52, v0 dst_sel:DWORD dst_unused:UNUSED_PAD src0_sel:WORD_1 src1_sel:DWORD
	s_mov_b32 s6, exec_lo
	v_cmpx_ne_u16_e32 0, v0
	s_cbranch_execz .LBB230_1378
; %bb.1371:                             ;   in Loop: Header=BB230_10 Depth=1
	v_bfrev_b32_e32 v126, 1
	v_mov_b32_e32 v127, 0
	s_mov_b32 s7, exec_lo
	v_cmpx_ne_u16_e32 0x80, v0
	s_cbranch_execz .LBB230_1377
; %bb.1372:                             ;   in Loop: Header=BB230_10 Depth=1
	v_mov_b32_e32 v126, 0x7f800001
	v_bfe_u32 v8, v52, 16, 7
	v_mov_b32_e32 v127, 0
	s_mov_b32 s17, exec_lo
	v_cmpx_ne_u32_e32 0x7f, v8
	s_cbranch_execz .LBB230_1376
; %bb.1373:                             ;   in Loop: Header=BB230_10 Depth=1
	v_mov_b32_e32 v0, 7
	v_lshrrev_b32_e32 v39, 3, v8
	v_cmp_gt_u32_e64 s5, 8, v8
	v_and_b32_sdwa v26, v52, v0 dst_sel:DWORD dst_unused:UNUSED_PAD src0_sel:WORD_1 src1_sel:DWORD
	v_mov_b32_e32 v8, v26
	v_mov_b32_e32 v9, v27
	s_and_saveexec_b32 s18, s5
; %bb.1374:                             ;   in Loop: Header=BB230_10 Depth=1
	v_ffbh_u32_e32 v8, v26
	v_min_u32_e32 v39, 32, v8
	v_subrev_nc_u32_e32 v8, 28, v39
	v_sub_nc_u32_e32 v39, 29, v39
	v_lshlrev_b64 v[8:9], v8, v[26:27]
	v_and_b32_e32 v8, 7, v8
; %bb.1375:                             ;   in Loop: Header=BB230_10 Depth=1
	s_or_b32 exec_lo, exec_lo, s18
	v_mov_b32_e32 v0, 24
	v_lshlrev_b32_e32 v8, 20, v8
	v_lshl_add_u32 v9, v39, 23, 0x3c000000
	v_lshlrev_b32_sdwa v0, v0, v52 dst_sel:DWORD dst_unused:UNUSED_PAD src0_sel:DWORD src1_sel:WORD_1
	v_and_b32_e32 v0, 0x80000000, v0
	v_or3_b32 v26, v8, v0, v9
	v_mov_b32_e32 v127, v27
	v_mov_b32_e32 v126, v26
.LBB230_1376:                           ;   in Loop: Header=BB230_10 Depth=1
	s_or_b32 exec_lo, exec_lo, s17
.LBB230_1377:                           ;   in Loop: Header=BB230_10 Depth=1
	s_or_b32 exec_lo, exec_lo, s7
.LBB230_1378:                           ;   in Loop: Header=BB230_10 Depth=1
	s_or_b32 exec_lo, exec_lo, s6
	s_mov_b32 s6, exec_lo
	v_cmpx_lt_u32_e32 0xffffff, v52
	s_cbranch_execz .LBB230_1386
; %bb.1379:                             ;   in Loop: Header=BB230_10 Depth=1
	v_mov_b32_e32 v76, v27
	v_mov_b32_e32 v0, 0x80
	;; [unrolled: 1-line block ×4, first 2 shown]
	v_cmp_ne_u32_sdwa s5, v52, v0 src0_sel:BYTE_3 src1_sel:DWORD
	s_and_saveexec_b32 s7, s5
	s_cbranch_execz .LBB230_1385
; %bb.1380:                             ;   in Loop: Header=BB230_10 Depth=1
	v_mov_b32_e32 v106, v27
	v_mov_b32_e32 v115, v107
	v_bfe_u32 v8, v52, 24, 7
	s_mov_b32 s17, exec_lo
	v_mov_b32_e32 v114, v106
	v_cmpx_ne_u32_e32 0x7f, v8
	s_cbranch_execz .LBB230_1384
; %bb.1381:                             ;   in Loop: Header=BB230_10 Depth=1
	v_mov_b32_e32 v0, 7
	v_lshrrev_b32_e32 v53, 3, v8
	v_cmp_gt_u32_e64 s5, 8, v8
	v_and_b32_sdwa v26, v52, v0 dst_sel:DWORD dst_unused:UNUSED_PAD src0_sel:BYTE_3 src1_sel:DWORD
	v_mov_b32_e32 v8, v26
	v_mov_b32_e32 v9, v27
	s_and_saveexec_b32 s18, s5
; %bb.1382:                             ;   in Loop: Header=BB230_10 Depth=1
	v_ffbh_u32_e32 v8, v26
	v_min_u32_e32 v53, 32, v8
	v_subrev_nc_u32_e32 v8, 28, v53
	v_sub_nc_u32_e32 v53, 29, v53
	v_lshlrev_b64 v[8:9], v8, v[26:27]
	v_and_b32_e32 v8, 7, v8
; %bb.1383:                             ;   in Loop: Header=BB230_10 Depth=1
	s_or_b32 exec_lo, exec_lo, s18
	v_mov_b32_e32 v0, 24
	v_lshlrev_b32_e32 v8, 20, v8
	v_lshl_add_u32 v9, v53, 23, 0x3c000000
	v_mov_b32_e32 v114, v27
	v_lshlrev_b32_sdwa v0, v0, v52 dst_sel:DWORD dst_unused:UNUSED_PAD src0_sel:DWORD src1_sel:BYTE_3
	v_and_b32_e32 v0, 0x80000000, v0
	v_or3_b32 v115, v8, v0, v9
.LBB230_1384:                           ;   in Loop: Header=BB230_10 Depth=1
	s_or_b32 exec_lo, exec_lo, s17
.LBB230_1385:                           ;   in Loop: Header=BB230_10 Depth=1
	s_or_b32 exec_lo, exec_lo, s7
.LBB230_1386:                           ;   in Loop: Header=BB230_10 Depth=1
	s_or_b32 exec_lo, exec_lo, s6
	flat_load_dword v52, v[124:125] offset:1036
	v_mov_b32_e32 v100, 0
	v_mov_b32_e32 v90, 0
	;; [unrolled: 1-line block ×4, first 2 shown]
	s_waitcnt vmcnt(0) lgkmcnt(0)
	v_cmp_ne_u16_sdwa s5, v52, v27 src0_sel:BYTE_0 src1_sel:DWORD
	s_and_saveexec_b32 s6, s5
	s_cbranch_execz .LBB230_1394
; %bb.1387:                             ;   in Loop: Header=BB230_10 Depth=1
	v_mov_b32_e32 v0, 0x80
	v_bfrev_b32_e32 v90, 1
	v_mov_b32_e32 v91, 0
	v_cmp_ne_u16_sdwa s5, v52, v0 src0_sel:BYTE_0 src1_sel:DWORD
	s_and_saveexec_b32 s7, s5
	s_cbranch_execz .LBB230_1393
; %bb.1388:                             ;   in Loop: Header=BB230_10 Depth=1
	v_mov_b32_e32 v90, 0x7f800001
	v_and_b32_e32 v8, 0x7f, v52
	v_mov_b32_e32 v91, 0
	s_mov_b32 s17, exec_lo
	v_cmpx_ne_u32_e32 0x7f, v8
	s_cbranch_execz .LBB230_1392
; %bb.1389:                             ;   in Loop: Header=BB230_10 Depth=1
	v_and_b32_e32 v26, 7, v52
	v_lshrrev_b32_e32 v53, 3, v8
	v_cmp_gt_u32_e64 s5, 8, v8
	v_mov_b32_e32 v8, v26
	v_mov_b32_e32 v9, v27
	s_and_saveexec_b32 s18, s5
; %bb.1390:                             ;   in Loop: Header=BB230_10 Depth=1
	v_ffbh_u32_e32 v8, v26
	v_min_u32_e32 v53, 32, v8
	v_subrev_nc_u32_e32 v8, 28, v53
	v_sub_nc_u32_e32 v53, 29, v53
	v_lshlrev_b64 v[8:9], v8, v[26:27]
	v_and_b32_e32 v8, 7, v8
; %bb.1391:                             ;   in Loop: Header=BB230_10 Depth=1
	s_or_b32 exec_lo, exec_lo, s18
	v_lshlrev_b32_e32 v0, 24, v52
	v_lshlrev_b32_e32 v8, 20, v8
	v_lshl_add_u32 v9, v53, 23, 0x3c000000
	v_and_b32_e32 v0, 0x80000000, v0
	v_or3_b32 v26, v8, v0, v9
	v_mov_b32_e32 v91, v27
	v_mov_b32_e32 v90, v26
.LBB230_1392:                           ;   in Loop: Header=BB230_10 Depth=1
	s_or_b32 exec_lo, exec_lo, s17
.LBB230_1393:                           ;   in Loop: Header=BB230_10 Depth=1
	s_or_b32 exec_lo, exec_lo, s7
.LBB230_1394:                           ;   in Loop: Header=BB230_10 Depth=1
	s_or_b32 exec_lo, exec_lo, s6
	v_cmp_ne_u16_sdwa s5, v52, v27 src0_sel:BYTE_1 src1_sel:DWORD
	s_and_saveexec_b32 s6, s5
	s_cbranch_execz .LBB230_1402
; %bb.1395:                             ;   in Loop: Header=BB230_10 Depth=1
	v_mov_b32_e32 v76, v27
	v_mov_b32_e32 v0, 0x80
	;; [unrolled: 1-line block ×4, first 2 shown]
	v_cmp_ne_u16_sdwa s5, v52, v0 src0_sel:BYTE_1 src1_sel:DWORD
	s_and_saveexec_b32 s7, s5
	s_cbranch_execz .LBB230_1401
; %bb.1396:                             ;   in Loop: Header=BB230_10 Depth=1
	v_mov_b32_e32 v0, 0xffff
	v_mov_b32_e32 v106, v27
	s_mov_b32 s17, exec_lo
	v_and_b32_sdwa v0, v0, v52 dst_sel:DWORD dst_unused:UNUSED_PAD src0_sel:DWORD src1_sel:BYTE_1
	v_mov_b32_e32 v100, v106
	v_mov_b32_e32 v101, v107
	v_and_b32_e32 v8, 0x7f, v0
	v_cmpx_ne_u32_e32 0x7f, v8
	s_cbranch_execz .LBB230_1400
; %bb.1397:                             ;   in Loop: Header=BB230_10 Depth=1
	v_and_b32_e32 v26, 7, v0
	v_lshrrev_b32_e32 v53, 3, v8
	v_cmp_gt_u32_e64 s5, 8, v8
	v_mov_b32_e32 v8, v26
	v_mov_b32_e32 v9, v27
	s_and_saveexec_b32 s18, s5
; %bb.1398:                             ;   in Loop: Header=BB230_10 Depth=1
	v_ffbh_u32_e32 v8, v26
	v_min_u32_e32 v53, 32, v8
	v_subrev_nc_u32_e32 v8, 28, v53
	v_sub_nc_u32_e32 v53, 29, v53
	v_lshlrev_b64 v[8:9], v8, v[26:27]
	v_and_b32_e32 v8, 7, v8
; %bb.1399:                             ;   in Loop: Header=BB230_10 Depth=1
	s_or_b32 exec_lo, exec_lo, s18
	v_lshlrev_b32_e32 v0, 16, v52
	v_lshlrev_b32_e32 v8, 20, v8
	v_lshl_add_u32 v9, v53, 23, 0x3c000000
	v_mov_b32_e32 v100, v27
	v_and_b32_e32 v0, 0x80000000, v0
	v_or3_b32 v101, v8, v0, v9
.LBB230_1400:                           ;   in Loop: Header=BB230_10 Depth=1
	s_or_b32 exec_lo, exec_lo, s17
.LBB230_1401:                           ;   in Loop: Header=BB230_10 Depth=1
	s_or_b32 exec_lo, exec_lo, s7
.LBB230_1402:                           ;   in Loop: Header=BB230_10 Depth=1
	s_or_b32 exec_lo, exec_lo, s6
	v_mov_b32_e32 v0, 0xff
	v_mov_b32_e32 v41, 0
	;; [unrolled: 1-line block ×5, first 2 shown]
	v_and_b32_sdwa v0, v52, v0 dst_sel:DWORD dst_unused:UNUSED_PAD src0_sel:WORD_1 src1_sel:DWORD
	s_mov_b32 s6, exec_lo
	v_cmpx_ne_u16_e32 0, v0
	s_cbranch_execz .LBB230_1410
; %bb.1403:                             ;   in Loop: Header=BB230_10 Depth=1
	v_bfrev_b32_e32 v31, 1
	v_mov_b32_e32 v32, 0
	s_mov_b32 s7, exec_lo
	v_cmpx_ne_u16_e32 0x80, v0
	s_cbranch_execz .LBB230_1409
; %bb.1404:                             ;   in Loop: Header=BB230_10 Depth=1
	v_mov_b32_e32 v31, 0x7f800001
	v_bfe_u32 v8, v52, 16, 7
	v_mov_b32_e32 v32, 0
	s_mov_b32 s17, exec_lo
	v_cmpx_ne_u32_e32 0x7f, v8
	s_cbranch_execz .LBB230_1408
; %bb.1405:                             ;   in Loop: Header=BB230_10 Depth=1
	v_mov_b32_e32 v0, 7
	v_lshrrev_b32_e32 v53, 3, v8
	v_cmp_gt_u32_e64 s5, 8, v8
	v_and_b32_sdwa v26, v52, v0 dst_sel:DWORD dst_unused:UNUSED_PAD src0_sel:WORD_1 src1_sel:DWORD
	v_mov_b32_e32 v8, v26
	v_mov_b32_e32 v9, v27
	s_and_saveexec_b32 s18, s5
; %bb.1406:                             ;   in Loop: Header=BB230_10 Depth=1
	v_ffbh_u32_e32 v8, v26
	v_min_u32_e32 v53, 32, v8
	v_subrev_nc_u32_e32 v8, 28, v53
	v_sub_nc_u32_e32 v53, 29, v53
	v_lshlrev_b64 v[8:9], v8, v[26:27]
	v_and_b32_e32 v8, 7, v8
; %bb.1407:                             ;   in Loop: Header=BB230_10 Depth=1
	s_or_b32 exec_lo, exec_lo, s18
	v_mov_b32_e32 v0, 24
	v_lshlrev_b32_e32 v8, 20, v8
	v_lshl_add_u32 v9, v53, 23, 0x3c000000
	v_lshlrev_b32_sdwa v0, v0, v52 dst_sel:DWORD dst_unused:UNUSED_PAD src0_sel:DWORD src1_sel:WORD_1
	v_and_b32_e32 v0, 0x80000000, v0
	v_or3_b32 v26, v8, v0, v9
	v_mov_b32_e32 v32, v27
	v_mov_b32_e32 v31, v26
.LBB230_1408:                           ;   in Loop: Header=BB230_10 Depth=1
	s_or_b32 exec_lo, exec_lo, s17
.LBB230_1409:                           ;   in Loop: Header=BB230_10 Depth=1
	s_or_b32 exec_lo, exec_lo, s7
.LBB230_1410:                           ;   in Loop: Header=BB230_10 Depth=1
	s_or_b32 exec_lo, exec_lo, s6
	s_mov_b32 s6, exec_lo
	v_cmpx_lt_u32_e32 0xffffff, v52
	s_cbranch_execz .LBB230_1418
; %bb.1411:                             ;   in Loop: Header=BB230_10 Depth=1
	v_mov_b32_e32 v76, v27
	v_mov_b32_e32 v0, 0x80
	;; [unrolled: 1-line block ×3, first 2 shown]
	v_cmp_ne_u32_sdwa s5, v52, v0 src0_sel:BYTE_3 src1_sel:DWORD
	v_mov_b32_e32 v42, v77
	s_and_saveexec_b32 s7, s5
	s_cbranch_execz .LBB230_1417
; %bb.1412:                             ;   in Loop: Header=BB230_10 Depth=1
	v_mov_b32_e32 v106, v27
	v_bfe_u32 v8, v52, 24, 7
	s_mov_b32 s17, exec_lo
	v_mov_b32_e32 v41, v106
	v_mov_b32_e32 v42, v107
	v_cmpx_ne_u32_e32 0x7f, v8
	s_cbranch_execz .LBB230_1416
; %bb.1413:                             ;   in Loop: Header=BB230_10 Depth=1
	v_mov_b32_e32 v0, 7
	v_lshrrev_b32_e32 v53, 3, v8
	v_cmp_gt_u32_e64 s5, 8, v8
	v_and_b32_sdwa v26, v52, v0 dst_sel:DWORD dst_unused:UNUSED_PAD src0_sel:BYTE_3 src1_sel:DWORD
	v_mov_b32_e32 v8, v26
	v_mov_b32_e32 v9, v27
	s_and_saveexec_b32 s18, s5
; %bb.1414:                             ;   in Loop: Header=BB230_10 Depth=1
	v_ffbh_u32_e32 v8, v26
	v_min_u32_e32 v53, 32, v8
	v_subrev_nc_u32_e32 v8, 28, v53
	v_sub_nc_u32_e32 v53, 29, v53
	v_lshlrev_b64 v[8:9], v8, v[26:27]
	v_and_b32_e32 v8, 7, v8
; %bb.1415:                             ;   in Loop: Header=BB230_10 Depth=1
	s_or_b32 exec_lo, exec_lo, s18
	v_mov_b32_e32 v0, 24
	v_lshlrev_b32_e32 v8, 20, v8
	v_lshl_add_u32 v9, v53, 23, 0x3c000000
	v_mov_b32_e32 v41, v27
	v_lshlrev_b32_sdwa v0, v0, v52 dst_sel:DWORD dst_unused:UNUSED_PAD src0_sel:DWORD src1_sel:BYTE_3
	v_and_b32_e32 v0, 0x80000000, v0
	v_or3_b32 v42, v8, v0, v9
.LBB230_1416:                           ;   in Loop: Header=BB230_10 Depth=1
	s_or_b32 exec_lo, exec_lo, s17
.LBB230_1417:                           ;   in Loop: Header=BB230_10 Depth=1
	s_or_b32 exec_lo, exec_lo, s7
.LBB230_1418:                           ;   in Loop: Header=BB230_10 Depth=1
	s_or_b32 exec_lo, exec_lo, s6
	flat_load_dword v52, v[124:125] offset:1536
	v_mov_b32_e32 v120, 0
	v_mov_b32_e32 v116, 0
	;; [unrolled: 1-line block ×4, first 2 shown]
	s_waitcnt vmcnt(0) lgkmcnt(0)
	v_cmp_ne_u16_sdwa s5, v52, v27 src0_sel:BYTE_0 src1_sel:DWORD
	s_and_saveexec_b32 s6, s5
	s_cbranch_execz .LBB230_1426
; %bb.1419:                             ;   in Loop: Header=BB230_10 Depth=1
	v_mov_b32_e32 v0, 0x80
	v_bfrev_b32_e32 v116, 1
	v_mov_b32_e32 v117, 0
	v_cmp_ne_u16_sdwa s5, v52, v0 src0_sel:BYTE_0 src1_sel:DWORD
	s_and_saveexec_b32 s7, s5
	s_cbranch_execz .LBB230_1425
; %bb.1420:                             ;   in Loop: Header=BB230_10 Depth=1
	v_mov_b32_e32 v116, 0x7f800001
	v_and_b32_e32 v8, 0x7f, v52
	v_mov_b32_e32 v117, 0
	s_mov_b32 s17, exec_lo
	v_cmpx_ne_u32_e32 0x7f, v8
	s_cbranch_execz .LBB230_1424
; %bb.1421:                             ;   in Loop: Header=BB230_10 Depth=1
	v_and_b32_e32 v26, 7, v52
	v_lshrrev_b32_e32 v53, 3, v8
	v_cmp_gt_u32_e64 s5, 8, v8
	v_mov_b32_e32 v8, v26
	v_mov_b32_e32 v9, v27
	s_and_saveexec_b32 s18, s5
; %bb.1422:                             ;   in Loop: Header=BB230_10 Depth=1
	v_ffbh_u32_e32 v8, v26
	v_min_u32_e32 v53, 32, v8
	v_subrev_nc_u32_e32 v8, 28, v53
	v_sub_nc_u32_e32 v53, 29, v53
	v_lshlrev_b64 v[8:9], v8, v[26:27]
	v_and_b32_e32 v8, 7, v8
; %bb.1423:                             ;   in Loop: Header=BB230_10 Depth=1
	s_or_b32 exec_lo, exec_lo, s18
	v_lshlrev_b32_e32 v0, 24, v52
	v_lshlrev_b32_e32 v8, 20, v8
	v_lshl_add_u32 v9, v53, 23, 0x3c000000
	v_and_b32_e32 v0, 0x80000000, v0
	v_or3_b32 v26, v8, v0, v9
	v_mov_b32_e32 v117, v27
	v_mov_b32_e32 v116, v26
.LBB230_1424:                           ;   in Loop: Header=BB230_10 Depth=1
	s_or_b32 exec_lo, exec_lo, s17
.LBB230_1425:                           ;   in Loop: Header=BB230_10 Depth=1
	s_or_b32 exec_lo, exec_lo, s7
.LBB230_1426:                           ;   in Loop: Header=BB230_10 Depth=1
	s_or_b32 exec_lo, exec_lo, s6
	v_cmp_ne_u16_sdwa s5, v52, v27 src0_sel:BYTE_1 src1_sel:DWORD
	s_and_saveexec_b32 s6, s5
	s_cbranch_execz .LBB230_1434
; %bb.1427:                             ;   in Loop: Header=BB230_10 Depth=1
	v_mov_b32_e32 v76, v27
	v_mov_b32_e32 v0, 0x80
	;; [unrolled: 1-line block ×4, first 2 shown]
	v_cmp_ne_u16_sdwa s5, v52, v0 src0_sel:BYTE_1 src1_sel:DWORD
	s_and_saveexec_b32 s7, s5
	s_cbranch_execz .LBB230_1433
; %bb.1428:                             ;   in Loop: Header=BB230_10 Depth=1
	v_mov_b32_e32 v0, 0xffff
	v_mov_b32_e32 v106, v27
	;; [unrolled: 1-line block ×3, first 2 shown]
	s_mov_b32 s17, exec_lo
	v_and_b32_sdwa v0, v0, v52 dst_sel:DWORD dst_unused:UNUSED_PAD src0_sel:DWORD src1_sel:BYTE_1
	v_mov_b32_e32 v120, v106
	v_and_b32_e32 v8, 0x7f, v0
	v_cmpx_ne_u32_e32 0x7f, v8
	s_cbranch_execz .LBB230_1432
; %bb.1429:                             ;   in Loop: Header=BB230_10 Depth=1
	v_and_b32_e32 v26, 7, v0
	v_lshrrev_b32_e32 v53, 3, v8
	v_cmp_gt_u32_e64 s5, 8, v8
	v_mov_b32_e32 v8, v26
	v_mov_b32_e32 v9, v27
	s_and_saveexec_b32 s18, s5
; %bb.1430:                             ;   in Loop: Header=BB230_10 Depth=1
	v_ffbh_u32_e32 v8, v26
	v_min_u32_e32 v53, 32, v8
	v_subrev_nc_u32_e32 v8, 28, v53
	v_sub_nc_u32_e32 v53, 29, v53
	v_lshlrev_b64 v[8:9], v8, v[26:27]
	v_and_b32_e32 v8, 7, v8
; %bb.1431:                             ;   in Loop: Header=BB230_10 Depth=1
	s_or_b32 exec_lo, exec_lo, s18
	v_lshlrev_b32_e32 v0, 16, v52
	v_lshlrev_b32_e32 v8, 20, v8
	v_lshl_add_u32 v9, v53, 23, 0x3c000000
	v_mov_b32_e32 v120, v27
	v_and_b32_e32 v0, 0x80000000, v0
	v_or3_b32 v121, v8, v0, v9
.LBB230_1432:                           ;   in Loop: Header=BB230_10 Depth=1
	s_or_b32 exec_lo, exec_lo, s17
.LBB230_1433:                           ;   in Loop: Header=BB230_10 Depth=1
	s_or_b32 exec_lo, exec_lo, s7
.LBB230_1434:                           ;   in Loop: Header=BB230_10 Depth=1
	s_or_b32 exec_lo, exec_lo, s6
	v_mov_b32_e32 v0, 0xff
	v_mov_b32_e32 v58, 0
	;; [unrolled: 1-line block ×5, first 2 shown]
	v_and_b32_sdwa v0, v52, v0 dst_sel:DWORD dst_unused:UNUSED_PAD src0_sel:WORD_1 src1_sel:DWORD
	s_mov_b32 s6, exec_lo
	v_cmpx_ne_u16_e32 0, v0
	s_cbranch_execz .LBB230_1442
; %bb.1435:                             ;   in Loop: Header=BB230_10 Depth=1
	v_bfrev_b32_e32 v92, 1
	v_mov_b32_e32 v93, 0
	s_mov_b32 s7, exec_lo
	v_cmpx_ne_u16_e32 0x80, v0
	s_cbranch_execz .LBB230_1441
; %bb.1436:                             ;   in Loop: Header=BB230_10 Depth=1
	v_mov_b32_e32 v92, 0x7f800001
	v_bfe_u32 v8, v52, 16, 7
	v_mov_b32_e32 v93, 0
	s_mov_b32 s17, exec_lo
	v_cmpx_ne_u32_e32 0x7f, v8
	s_cbranch_execz .LBB230_1440
; %bb.1437:                             ;   in Loop: Header=BB230_10 Depth=1
	v_mov_b32_e32 v0, 7
	v_lshrrev_b32_e32 v53, 3, v8
	v_cmp_gt_u32_e64 s5, 8, v8
	v_and_b32_sdwa v26, v52, v0 dst_sel:DWORD dst_unused:UNUSED_PAD src0_sel:WORD_1 src1_sel:DWORD
	v_mov_b32_e32 v8, v26
	v_mov_b32_e32 v9, v27
	s_and_saveexec_b32 s18, s5
; %bb.1438:                             ;   in Loop: Header=BB230_10 Depth=1
	v_ffbh_u32_e32 v8, v26
	v_min_u32_e32 v53, 32, v8
	v_subrev_nc_u32_e32 v8, 28, v53
	v_sub_nc_u32_e32 v53, 29, v53
	v_lshlrev_b64 v[8:9], v8, v[26:27]
	v_and_b32_e32 v8, 7, v8
; %bb.1439:                             ;   in Loop: Header=BB230_10 Depth=1
	s_or_b32 exec_lo, exec_lo, s18
	v_mov_b32_e32 v0, 24
	v_lshlrev_b32_e32 v8, 20, v8
	v_lshl_add_u32 v9, v53, 23, 0x3c000000
	v_lshlrev_b32_sdwa v0, v0, v52 dst_sel:DWORD dst_unused:UNUSED_PAD src0_sel:DWORD src1_sel:WORD_1
	v_and_b32_e32 v0, 0x80000000, v0
	v_or3_b32 v26, v8, v0, v9
	v_mov_b32_e32 v93, v27
	v_mov_b32_e32 v92, v26
.LBB230_1440:                           ;   in Loop: Header=BB230_10 Depth=1
	s_or_b32 exec_lo, exec_lo, s17
.LBB230_1441:                           ;   in Loop: Header=BB230_10 Depth=1
	s_or_b32 exec_lo, exec_lo, s7
.LBB230_1442:                           ;   in Loop: Header=BB230_10 Depth=1
	s_or_b32 exec_lo, exec_lo, s6
	s_mov_b32 s6, exec_lo
	v_cmpx_lt_u32_e32 0xffffff, v52
	s_cbranch_execz .LBB230_1450
; %bb.1443:                             ;   in Loop: Header=BB230_10 Depth=1
	v_mov_b32_e32 v76, v27
	v_mov_b32_e32 v0, 0x80
	;; [unrolled: 1-line block ×3, first 2 shown]
	v_cmp_ne_u32_sdwa s5, v52, v0 src0_sel:BYTE_3 src1_sel:DWORD
	v_mov_b32_e32 v59, v77
	s_and_saveexec_b32 s7, s5
	s_cbranch_execz .LBB230_1449
; %bb.1444:                             ;   in Loop: Header=BB230_10 Depth=1
	v_mov_b32_e32 v106, v27
	v_bfe_u32 v8, v52, 24, 7
	s_mov_b32 s17, exec_lo
	v_mov_b32_e32 v58, v106
	v_mov_b32_e32 v59, v107
	v_cmpx_ne_u32_e32 0x7f, v8
	s_cbranch_execz .LBB230_1448
; %bb.1445:                             ;   in Loop: Header=BB230_10 Depth=1
	v_mov_b32_e32 v0, 7
	v_lshrrev_b32_e32 v53, 3, v8
	v_cmp_gt_u32_e64 s5, 8, v8
	v_and_b32_sdwa v26, v52, v0 dst_sel:DWORD dst_unused:UNUSED_PAD src0_sel:BYTE_3 src1_sel:DWORD
	v_mov_b32_e32 v8, v26
	v_mov_b32_e32 v9, v27
	s_and_saveexec_b32 s18, s5
; %bb.1446:                             ;   in Loop: Header=BB230_10 Depth=1
	v_ffbh_u32_e32 v8, v26
	v_min_u32_e32 v53, 32, v8
	v_subrev_nc_u32_e32 v8, 28, v53
	v_sub_nc_u32_e32 v53, 29, v53
	v_lshlrev_b64 v[8:9], v8, v[26:27]
	v_and_b32_e32 v8, 7, v8
; %bb.1447:                             ;   in Loop: Header=BB230_10 Depth=1
	s_or_b32 exec_lo, exec_lo, s18
	v_mov_b32_e32 v0, 24
	v_lshlrev_b32_e32 v8, 20, v8
	v_lshl_add_u32 v9, v53, 23, 0x3c000000
	v_mov_b32_e32 v58, v27
	v_lshlrev_b32_sdwa v0, v0, v52 dst_sel:DWORD dst_unused:UNUSED_PAD src0_sel:DWORD src1_sel:BYTE_3
	v_and_b32_e32 v0, 0x80000000, v0
	v_or3_b32 v59, v8, v0, v9
.LBB230_1448:                           ;   in Loop: Header=BB230_10 Depth=1
	s_or_b32 exec_lo, exec_lo, s17
.LBB230_1449:                           ;   in Loop: Header=BB230_10 Depth=1
	s_or_b32 exec_lo, exec_lo, s7
.LBB230_1450:                           ;   in Loop: Header=BB230_10 Depth=1
	s_or_b32 exec_lo, exec_lo, s6
	flat_load_dword v52, v[124:125] offset:1540
	v_mov_b32_e32 v56, 0
	v_mov_b32_e32 v74, 0
	;; [unrolled: 1-line block ×4, first 2 shown]
	s_waitcnt vmcnt(0) lgkmcnt(0)
	v_cmp_ne_u16_sdwa s5, v52, v27 src0_sel:BYTE_0 src1_sel:DWORD
	s_and_saveexec_b32 s6, s5
	s_cbranch_execz .LBB230_1458
; %bb.1451:                             ;   in Loop: Header=BB230_10 Depth=1
	v_mov_b32_e32 v0, 0x80
	v_bfrev_b32_e32 v74, 1
	v_mov_b32_e32 v75, 0
	v_cmp_ne_u16_sdwa s5, v52, v0 src0_sel:BYTE_0 src1_sel:DWORD
	s_and_saveexec_b32 s7, s5
	s_cbranch_execz .LBB230_1457
; %bb.1452:                             ;   in Loop: Header=BB230_10 Depth=1
	v_mov_b32_e32 v74, 0x7f800001
	v_and_b32_e32 v8, 0x7f, v52
	v_mov_b32_e32 v75, 0
	s_mov_b32 s17, exec_lo
	v_cmpx_ne_u32_e32 0x7f, v8
	s_cbranch_execz .LBB230_1456
; %bb.1453:                             ;   in Loop: Header=BB230_10 Depth=1
	v_and_b32_e32 v26, 7, v52
	v_lshrrev_b32_e32 v53, 3, v8
	v_cmp_gt_u32_e64 s5, 8, v8
	v_mov_b32_e32 v8, v26
	v_mov_b32_e32 v9, v27
	s_and_saveexec_b32 s18, s5
; %bb.1454:                             ;   in Loop: Header=BB230_10 Depth=1
	v_ffbh_u32_e32 v8, v26
	v_min_u32_e32 v53, 32, v8
	v_subrev_nc_u32_e32 v8, 28, v53
	v_sub_nc_u32_e32 v53, 29, v53
	v_lshlrev_b64 v[8:9], v8, v[26:27]
	v_and_b32_e32 v8, 7, v8
; %bb.1455:                             ;   in Loop: Header=BB230_10 Depth=1
	s_or_b32 exec_lo, exec_lo, s18
	v_lshlrev_b32_e32 v0, 24, v52
	v_lshlrev_b32_e32 v8, 20, v8
	v_lshl_add_u32 v9, v53, 23, 0x3c000000
	v_and_b32_e32 v0, 0x80000000, v0
	v_or3_b32 v26, v8, v0, v9
	v_mov_b32_e32 v75, v27
	v_mov_b32_e32 v74, v26
.LBB230_1456:                           ;   in Loop: Header=BB230_10 Depth=1
	s_or_b32 exec_lo, exec_lo, s17
.LBB230_1457:                           ;   in Loop: Header=BB230_10 Depth=1
	s_or_b32 exec_lo, exec_lo, s7
.LBB230_1458:                           ;   in Loop: Header=BB230_10 Depth=1
	s_or_b32 exec_lo, exec_lo, s6
	v_cmp_ne_u16_sdwa s5, v52, v27 src0_sel:BYTE_1 src1_sel:DWORD
	s_and_saveexec_b32 s6, s5
	s_cbranch_execz .LBB230_1466
; %bb.1459:                             ;   in Loop: Header=BB230_10 Depth=1
	v_mov_b32_e32 v76, v27
	v_mov_b32_e32 v0, 0x80
	;; [unrolled: 1-line block ×3, first 2 shown]
	v_cmp_ne_u16_sdwa s5, v52, v0 src0_sel:BYTE_1 src1_sel:DWORD
	v_mov_b32_e32 v57, v77
	s_and_saveexec_b32 s7, s5
	s_cbranch_execz .LBB230_1465
; %bb.1460:                             ;   in Loop: Header=BB230_10 Depth=1
	v_mov_b32_e32 v0, 0xffff
	v_mov_b32_e32 v106, v27
	s_mov_b32 s17, exec_lo
	v_and_b32_sdwa v0, v0, v52 dst_sel:DWORD dst_unused:UNUSED_PAD src0_sel:DWORD src1_sel:BYTE_1
	v_mov_b32_e32 v56, v106
	v_mov_b32_e32 v57, v107
	v_and_b32_e32 v8, 0x7f, v0
	v_cmpx_ne_u32_e32 0x7f, v8
	s_cbranch_execz .LBB230_1464
; %bb.1461:                             ;   in Loop: Header=BB230_10 Depth=1
	v_and_b32_e32 v26, 7, v0
	v_lshrrev_b32_e32 v53, 3, v8
	v_cmp_gt_u32_e64 s5, 8, v8
	v_mov_b32_e32 v8, v26
	v_mov_b32_e32 v9, v27
	s_and_saveexec_b32 s18, s5
; %bb.1462:                             ;   in Loop: Header=BB230_10 Depth=1
	v_ffbh_u32_e32 v8, v26
	v_min_u32_e32 v53, 32, v8
	v_subrev_nc_u32_e32 v8, 28, v53
	v_sub_nc_u32_e32 v53, 29, v53
	v_lshlrev_b64 v[8:9], v8, v[26:27]
	v_and_b32_e32 v8, 7, v8
; %bb.1463:                             ;   in Loop: Header=BB230_10 Depth=1
	s_or_b32 exec_lo, exec_lo, s18
	v_lshlrev_b32_e32 v0, 16, v52
	v_lshlrev_b32_e32 v8, 20, v8
	v_lshl_add_u32 v9, v53, 23, 0x3c000000
	v_mov_b32_e32 v56, v27
	v_and_b32_e32 v0, 0x80000000, v0
	v_or3_b32 v57, v8, v0, v9
.LBB230_1464:                           ;   in Loop: Header=BB230_10 Depth=1
	s_or_b32 exec_lo, exec_lo, s17
.LBB230_1465:                           ;   in Loop: Header=BB230_10 Depth=1
	s_or_b32 exec_lo, exec_lo, s7
.LBB230_1466:                           ;   in Loop: Header=BB230_10 Depth=1
	s_or_b32 exec_lo, exec_lo, s6
	v_mov_b32_e32 v0, 0xff
	v_mov_b32_e32 v78, 0
	;; [unrolled: 1-line block ×5, first 2 shown]
	v_and_b32_sdwa v0, v52, v0 dst_sel:DWORD dst_unused:UNUSED_PAD src0_sel:WORD_1 src1_sel:DWORD
	s_mov_b32 s6, exec_lo
	v_cmpx_ne_u16_e32 0, v0
	s_cbranch_execz .LBB230_1474
; %bb.1467:                             ;   in Loop: Header=BB230_10 Depth=1
	v_bfrev_b32_e32 v43, 1
	v_mov_b32_e32 v44, 0
	s_mov_b32 s7, exec_lo
	v_cmpx_ne_u16_e32 0x80, v0
	s_cbranch_execz .LBB230_1473
; %bb.1468:                             ;   in Loop: Header=BB230_10 Depth=1
	v_mov_b32_e32 v43, 0x7f800001
	v_bfe_u32 v8, v52, 16, 7
	v_mov_b32_e32 v44, 0
	s_mov_b32 s17, exec_lo
	v_cmpx_ne_u32_e32 0x7f, v8
	s_cbranch_execz .LBB230_1472
; %bb.1469:                             ;   in Loop: Header=BB230_10 Depth=1
	v_mov_b32_e32 v0, 7
	v_lshrrev_b32_e32 v53, 3, v8
	v_cmp_gt_u32_e64 s5, 8, v8
	v_and_b32_sdwa v26, v52, v0 dst_sel:DWORD dst_unused:UNUSED_PAD src0_sel:WORD_1 src1_sel:DWORD
	v_mov_b32_e32 v8, v26
	v_mov_b32_e32 v9, v27
	s_and_saveexec_b32 s18, s5
; %bb.1470:                             ;   in Loop: Header=BB230_10 Depth=1
	v_ffbh_u32_e32 v8, v26
	v_min_u32_e32 v53, 32, v8
	v_subrev_nc_u32_e32 v8, 28, v53
	v_sub_nc_u32_e32 v53, 29, v53
	v_lshlrev_b64 v[8:9], v8, v[26:27]
	v_and_b32_e32 v8, 7, v8
; %bb.1471:                             ;   in Loop: Header=BB230_10 Depth=1
	s_or_b32 exec_lo, exec_lo, s18
	v_mov_b32_e32 v0, 24
	v_lshlrev_b32_e32 v8, 20, v8
	v_lshl_add_u32 v9, v53, 23, 0x3c000000
	v_lshlrev_b32_sdwa v0, v0, v52 dst_sel:DWORD dst_unused:UNUSED_PAD src0_sel:DWORD src1_sel:WORD_1
	v_and_b32_e32 v0, 0x80000000, v0
	v_or3_b32 v26, v8, v0, v9
	v_mov_b32_e32 v44, v27
	v_mov_b32_e32 v43, v26
.LBB230_1472:                           ;   in Loop: Header=BB230_10 Depth=1
	s_or_b32 exec_lo, exec_lo, s17
.LBB230_1473:                           ;   in Loop: Header=BB230_10 Depth=1
	s_or_b32 exec_lo, exec_lo, s7
.LBB230_1474:                           ;   in Loop: Header=BB230_10 Depth=1
	s_or_b32 exec_lo, exec_lo, s6
	s_mov_b32 s6, exec_lo
	v_cmpx_lt_u32_e32 0xffffff, v52
	s_cbranch_execz .LBB230_1482
; %bb.1475:                             ;   in Loop: Header=BB230_10 Depth=1
	v_mov_b32_e32 v76, v27
	v_mov_b32_e32 v0, 0x80
	;; [unrolled: 1-line block ×4, first 2 shown]
	v_cmp_ne_u32_sdwa s5, v52, v0 src0_sel:BYTE_3 src1_sel:DWORD
	s_and_saveexec_b32 s7, s5
	s_cbranch_execz .LBB230_1481
; %bb.1476:                             ;   in Loop: Header=BB230_10 Depth=1
	v_mov_b32_e32 v106, v27
	v_bfe_u32 v8, v52, 24, 7
	s_mov_b32 s17, exec_lo
	v_mov_b32_e32 v78, v106
	v_mov_b32_e32 v79, v107
	v_cmpx_ne_u32_e32 0x7f, v8
	s_cbranch_execz .LBB230_1480
; %bb.1477:                             ;   in Loop: Header=BB230_10 Depth=1
	v_mov_b32_e32 v0, 7
	v_lshrrev_b32_e32 v53, 3, v8
	v_cmp_gt_u32_e64 s5, 8, v8
	v_and_b32_sdwa v26, v52, v0 dst_sel:DWORD dst_unused:UNUSED_PAD src0_sel:BYTE_3 src1_sel:DWORD
	v_mov_b32_e32 v8, v26
	v_mov_b32_e32 v9, v27
	s_and_saveexec_b32 s18, s5
; %bb.1478:                             ;   in Loop: Header=BB230_10 Depth=1
	v_ffbh_u32_e32 v8, v26
	v_min_u32_e32 v53, 32, v8
	v_subrev_nc_u32_e32 v8, 28, v53
	v_sub_nc_u32_e32 v53, 29, v53
	v_lshlrev_b64 v[8:9], v8, v[26:27]
	v_and_b32_e32 v8, 7, v8
; %bb.1479:                             ;   in Loop: Header=BB230_10 Depth=1
	s_or_b32 exec_lo, exec_lo, s18
	v_mov_b32_e32 v0, 24
	v_lshlrev_b32_e32 v8, 20, v8
	v_lshl_add_u32 v9, v53, 23, 0x3c000000
	v_mov_b32_e32 v78, v27
	v_lshlrev_b32_sdwa v0, v0, v52 dst_sel:DWORD dst_unused:UNUSED_PAD src0_sel:DWORD src1_sel:BYTE_3
	v_and_b32_e32 v0, 0x80000000, v0
	v_or3_b32 v79, v8, v0, v9
.LBB230_1480:                           ;   in Loop: Header=BB230_10 Depth=1
	s_or_b32 exec_lo, exec_lo, s17
.LBB230_1481:                           ;   in Loop: Header=BB230_10 Depth=1
	s_or_b32 exec_lo, exec_lo, s7
.LBB230_1482:                           ;   in Loop: Header=BB230_10 Depth=1
	s_or_b32 exec_lo, exec_lo, s6
	flat_load_dword v52, v[124:125] offset:1544
	v_mov_b32_e32 v60, 0
	v_mov_b32_e32 v8, 0
	;; [unrolled: 1-line block ×4, first 2 shown]
	s_waitcnt vmcnt(0) lgkmcnt(0)
	v_cmp_ne_u16_sdwa s5, v52, v27 src0_sel:BYTE_0 src1_sel:DWORD
	s_and_saveexec_b32 s6, s5
	s_cbranch_execz .LBB230_1490
; %bb.1483:                             ;   in Loop: Header=BB230_10 Depth=1
	v_mov_b32_e32 v0, 0x80
	v_bfrev_b32_e32 v8, 1
	v_mov_b32_e32 v9, 0
	v_cmp_ne_u16_sdwa s5, v52, v0 src0_sel:BYTE_0 src1_sel:DWORD
	s_and_saveexec_b32 s7, s5
	s_cbranch_execz .LBB230_1489
; %bb.1484:                             ;   in Loop: Header=BB230_10 Depth=1
	v_mov_b32_e32 v8, 0x7f800001
	v_and_b32_e32 v112, 0x7f, v52
	v_mov_b32_e32 v9, 0
	s_mov_b32 s17, exec_lo
	v_cmpx_ne_u32_e32 0x7f, v112
	s_cbranch_execz .LBB230_1488
; %bb.1485:                             ;   in Loop: Header=BB230_10 Depth=1
	v_and_b32_e32 v26, 7, v52
	v_lshrrev_b32_e32 v53, 3, v112
	s_mov_b32 s18, exec_lo
	v_mov_b32_e32 v8, v26
	v_mov_b32_e32 v9, v27
	v_cmpx_gt_u32_e32 8, v112
; %bb.1486:                             ;   in Loop: Header=BB230_10 Depth=1
	v_ffbh_u32_e32 v8, v26
	v_min_u32_e32 v53, 32, v8
	v_subrev_nc_u32_e32 v8, 28, v53
	v_sub_nc_u32_e32 v53, 29, v53
	v_lshlrev_b64 v[8:9], v8, v[26:27]
	v_and_b32_e32 v8, 7, v8
; %bb.1487:                             ;   in Loop: Header=BB230_10 Depth=1
	s_or_b32 exec_lo, exec_lo, s18
	v_lshlrev_b32_e32 v0, 24, v52
	v_lshlrev_b32_e32 v8, 20, v8
	v_lshl_add_u32 v9, v53, 23, 0x3c000000
	v_and_b32_e32 v0, 0x80000000, v0
	v_or3_b32 v26, v8, v0, v9
	v_mov_b32_e32 v8, v26
	v_mov_b32_e32 v9, v27
.LBB230_1488:                           ;   in Loop: Header=BB230_10 Depth=1
	s_or_b32 exec_lo, exec_lo, s17
.LBB230_1489:                           ;   in Loop: Header=BB230_10 Depth=1
	s_or_b32 exec_lo, exec_lo, s7
.LBB230_1490:                           ;   in Loop: Header=BB230_10 Depth=1
	s_or_b32 exec_lo, exec_lo, s6
	v_cmp_ne_u16_sdwa s5, v52, v27 src0_sel:BYTE_1 src1_sel:DWORD
	s_and_saveexec_b32 s6, s5
	s_cbranch_execz .LBB230_1498
; %bb.1491:                             ;   in Loop: Header=BB230_10 Depth=1
	v_mov_b32_e32 v76, v27
	v_mov_b32_e32 v0, 0x80
	;; [unrolled: 1-line block ×3, first 2 shown]
	v_cmp_ne_u16_sdwa s5, v52, v0 src0_sel:BYTE_1 src1_sel:DWORD
	v_mov_b32_e32 v61, v77
	s_and_saveexec_b32 s7, s5
	s_cbranch_execz .LBB230_1497
; %bb.1492:                             ;   in Loop: Header=BB230_10 Depth=1
	v_mov_b32_e32 v0, 0xffff
	v_mov_b32_e32 v106, v27
	s_mov_b32 s17, exec_lo
	v_and_b32_sdwa v0, v0, v52 dst_sel:DWORD dst_unused:UNUSED_PAD src0_sel:DWORD src1_sel:BYTE_1
	v_mov_b32_e32 v60, v106
	v_mov_b32_e32 v61, v107
	v_and_b32_e32 v112, 0x7f, v0
	v_cmpx_ne_u32_e32 0x7f, v112
	s_cbranch_execz .LBB230_1496
; %bb.1493:                             ;   in Loop: Header=BB230_10 Depth=1
	v_and_b32_e32 v26, 7, v0
	v_mov_b32_e32 v46, v27
	v_lshrrev_b32_e32 v53, 3, v112
	s_mov_b32 s18, exec_lo
	v_mov_b32_e32 v45, v26
	v_cmpx_gt_u32_e32 8, v112
; %bb.1494:                             ;   in Loop: Header=BB230_10 Depth=1
	v_ffbh_u32_e32 v53, v26
	v_min_u32_e32 v53, 32, v53
	v_subrev_nc_u32_e32 v112, 28, v53
	v_sub_nc_u32_e32 v53, 29, v53
	v_lshlrev_b64 v[45:46], v112, v[26:27]
	v_and_b32_e32 v45, 7, v45
; %bb.1495:                             ;   in Loop: Header=BB230_10 Depth=1
	s_or_b32 exec_lo, exec_lo, s18
	v_lshlrev_b32_e32 v0, 16, v52
	v_lshlrev_b32_e32 v112, 20, v45
	v_lshl_add_u32 v53, v53, 23, 0x3c000000
	v_mov_b32_e32 v60, v27
	v_and_b32_e32 v0, 0x80000000, v0
	v_or3_b32 v61, v112, v0, v53
.LBB230_1496:                           ;   in Loop: Header=BB230_10 Depth=1
	s_or_b32 exec_lo, exec_lo, s17
.LBB230_1497:                           ;   in Loop: Header=BB230_10 Depth=1
	s_or_b32 exec_lo, exec_lo, s7
.LBB230_1498:                           ;   in Loop: Header=BB230_10 Depth=1
	s_or_b32 exec_lo, exec_lo, s6
	v_mov_b32_e32 v0, 0xff
	v_mov_b32_e32 v46, 0
	;; [unrolled: 1-line block ×5, first 2 shown]
	v_and_b32_sdwa v0, v52, v0 dst_sel:DWORD dst_unused:UNUSED_PAD src0_sel:WORD_1 src1_sel:DWORD
	s_mov_b32 s6, exec_lo
	v_cmpx_ne_u16_e32 0, v0
	s_cbranch_execz .LBB230_1506
; %bb.1499:                             ;   in Loop: Header=BB230_10 Depth=1
	v_bfrev_b32_e32 v108, 1
	v_mov_b32_e32 v109, 0
	s_mov_b32 s7, exec_lo
	v_cmpx_ne_u16_e32 0x80, v0
	s_cbranch_execz .LBB230_1505
; %bb.1500:                             ;   in Loop: Header=BB230_10 Depth=1
	v_mov_b32_e32 v108, 0x7f800001
	v_bfe_u32 v112, v52, 16, 7
	v_mov_b32_e32 v109, 0
	s_mov_b32 s17, exec_lo
	v_cmpx_ne_u32_e32 0x7f, v112
	s_cbranch_execz .LBB230_1504
; %bb.1501:                             ;   in Loop: Header=BB230_10 Depth=1
	v_mov_b32_e32 v0, 7
	v_lshrrev_b32_e32 v53, 3, v112
	s_mov_b32 s18, exec_lo
	v_and_b32_sdwa v26, v52, v0 dst_sel:DWORD dst_unused:UNUSED_PAD src0_sel:WORD_1 src1_sel:DWORD
	v_mov_b32_e32 v63, v27
	v_mov_b32_e32 v62, v26
	v_cmpx_gt_u32_e32 8, v112
; %bb.1502:                             ;   in Loop: Header=BB230_10 Depth=1
	v_ffbh_u32_e32 v53, v26
	v_min_u32_e32 v53, 32, v53
	v_subrev_nc_u32_e32 v112, 28, v53
	v_sub_nc_u32_e32 v53, 29, v53
	v_lshlrev_b64 v[62:63], v112, v[26:27]
	v_and_b32_e32 v62, 7, v62
; %bb.1503:                             ;   in Loop: Header=BB230_10 Depth=1
	s_or_b32 exec_lo, exec_lo, s18
	v_mov_b32_e32 v0, 24
	v_lshlrev_b32_e32 v112, 20, v62
	v_lshl_add_u32 v53, v53, 23, 0x3c000000
	v_lshlrev_b32_sdwa v0, v0, v52 dst_sel:DWORD dst_unused:UNUSED_PAD src0_sel:DWORD src1_sel:WORD_1
	v_and_b32_e32 v0, 0x80000000, v0
	v_or3_b32 v26, v112, v0, v53
	v_mov_b32_e32 v109, v27
	v_mov_b32_e32 v108, v26
.LBB230_1504:                           ;   in Loop: Header=BB230_10 Depth=1
	s_or_b32 exec_lo, exec_lo, s17
.LBB230_1505:                           ;   in Loop: Header=BB230_10 Depth=1
	s_or_b32 exec_lo, exec_lo, s7
.LBB230_1506:                           ;   in Loop: Header=BB230_10 Depth=1
	s_or_b32 exec_lo, exec_lo, s6
	s_mov_b32 s6, exec_lo
	v_cmpx_lt_u32_e32 0xffffff, v52
	s_cbranch_execz .LBB230_1514
; %bb.1507:                             ;   in Loop: Header=BB230_10 Depth=1
	v_mov_b32_e32 v76, v27
	v_mov_b32_e32 v0, 0x80
	;; [unrolled: 1-line block ×3, first 2 shown]
	v_cmp_ne_u32_sdwa s5, v52, v0 src0_sel:BYTE_3 src1_sel:DWORD
	v_mov_b32_e32 v47, v77
	s_and_saveexec_b32 s7, s5
	s_cbranch_execz .LBB230_1513
; %bb.1508:                             ;   in Loop: Header=BB230_10 Depth=1
	v_mov_b32_e32 v106, v27
	v_bfe_u32 v112, v52, 24, 7
	s_mov_b32 s17, exec_lo
	v_mov_b32_e32 v46, v106
	v_mov_b32_e32 v47, v107
	v_cmpx_ne_u32_e32 0x7f, v112
	s_cbranch_execz .LBB230_1512
; %bb.1509:                             ;   in Loop: Header=BB230_10 Depth=1
	v_mov_b32_e32 v0, 7
	v_lshrrev_b32_e32 v53, 3, v112
	s_mov_b32 s18, exec_lo
	v_and_b32_sdwa v26, v52, v0 dst_sel:DWORD dst_unused:UNUSED_PAD src0_sel:BYTE_3 src1_sel:DWORD
	v_mov_b32_e32 v46, v27
	v_mov_b32_e32 v45, v26
	v_cmpx_gt_u32_e32 8, v112
; %bb.1510:                             ;   in Loop: Header=BB230_10 Depth=1
	v_ffbh_u32_e32 v53, v26
	v_min_u32_e32 v53, 32, v53
	v_subrev_nc_u32_e32 v112, 28, v53
	v_sub_nc_u32_e32 v53, 29, v53
	v_lshlrev_b64 v[45:46], v112, v[26:27]
	v_and_b32_e32 v45, 7, v45
; %bb.1511:                             ;   in Loop: Header=BB230_10 Depth=1
	s_or_b32 exec_lo, exec_lo, s18
	v_mov_b32_e32 v0, 24
	v_lshl_add_u32 v53, v53, 23, 0x3c000000
	v_mov_b32_e32 v46, v27
	v_lshlrev_b32_sdwa v0, v0, v52 dst_sel:DWORD dst_unused:UNUSED_PAD src0_sel:DWORD src1_sel:BYTE_3
	v_lshlrev_b32_e32 v52, 20, v45
	v_and_b32_e32 v0, 0x80000000, v0
	v_or3_b32 v47, v52, v0, v53
.LBB230_1512:                           ;   in Loop: Header=BB230_10 Depth=1
	s_or_b32 exec_lo, exec_lo, s17
.LBB230_1513:                           ;   in Loop: Header=BB230_10 Depth=1
	s_or_b32 exec_lo, exec_lo, s7
.LBB230_1514:                           ;   in Loop: Header=BB230_10 Depth=1
	s_or_b32 exec_lo, exec_lo, s6
	flat_load_dword v52, v[124:125] offset:1548
	v_mov_b32_e32 v62, 0
	v_mov_b32_e32 v16, 0
	;; [unrolled: 1-line block ×4, first 2 shown]
	s_waitcnt vmcnt(0) lgkmcnt(0)
	v_cmp_ne_u16_sdwa s5, v52, v27 src0_sel:BYTE_0 src1_sel:DWORD
	s_and_saveexec_b32 s6, s5
	s_cbranch_execz .LBB230_1522
; %bb.1515:                             ;   in Loop: Header=BB230_10 Depth=1
	v_mov_b32_e32 v0, 0x80
	v_bfrev_b32_e32 v16, 1
	v_mov_b32_e32 v17, 0
	v_cmp_ne_u16_sdwa s5, v52, v0 src0_sel:BYTE_0 src1_sel:DWORD
	s_and_saveexec_b32 s7, s5
	s_cbranch_execz .LBB230_1521
; %bb.1516:                             ;   in Loop: Header=BB230_10 Depth=1
	v_mov_b32_e32 v16, 0x7f800001
	v_and_b32_e32 v112, 0x7f, v52
	v_mov_b32_e32 v17, 0
	s_mov_b32 s17, exec_lo
	v_cmpx_ne_u32_e32 0x7f, v112
	s_cbranch_execz .LBB230_1520
; %bb.1517:                             ;   in Loop: Header=BB230_10 Depth=1
	v_and_b32_e32 v26, 7, v52
	v_mov_b32_e32 v89, v27
	v_lshrrev_b32_e32 v53, 3, v112
	s_mov_b32 s18, exec_lo
	v_mov_b32_e32 v88, v26
	v_cmpx_gt_u32_e32 8, v112
; %bb.1518:                             ;   in Loop: Header=BB230_10 Depth=1
	v_ffbh_u32_e32 v53, v26
	v_min_u32_e32 v53, 32, v53
	v_subrev_nc_u32_e32 v112, 28, v53
	v_sub_nc_u32_e32 v53, 29, v53
	v_lshlrev_b64 v[88:89], v112, v[26:27]
	v_and_b32_e32 v88, 7, v88
; %bb.1519:                             ;   in Loop: Header=BB230_10 Depth=1
	s_or_b32 exec_lo, exec_lo, s18
	v_lshlrev_b32_e32 v0, 24, v52
	v_lshlrev_b32_e32 v112, 20, v88
	v_lshl_add_u32 v53, v53, 23, 0x3c000000
	v_and_b32_e32 v0, 0x80000000, v0
	v_or3_b32 v26, v112, v0, v53
	v_mov_b32_e32 v16, v26
	v_mov_b32_e32 v17, v27
.LBB230_1520:                           ;   in Loop: Header=BB230_10 Depth=1
	s_or_b32 exec_lo, exec_lo, s17
.LBB230_1521:                           ;   in Loop: Header=BB230_10 Depth=1
	s_or_b32 exec_lo, exec_lo, s7
.LBB230_1522:                           ;   in Loop: Header=BB230_10 Depth=1
	s_or_b32 exec_lo, exec_lo, s6
	v_cmp_ne_u16_sdwa s5, v52, v27 src0_sel:BYTE_1 src1_sel:DWORD
	s_and_saveexec_b32 s6, s5
	s_cbranch_execz .LBB230_1530
; %bb.1523:                             ;   in Loop: Header=BB230_10 Depth=1
	v_mov_b32_e32 v76, v27
	v_mov_b32_e32 v0, 0x80
	;; [unrolled: 1-line block ×3, first 2 shown]
	v_cmp_ne_u16_sdwa s5, v52, v0 src0_sel:BYTE_1 src1_sel:DWORD
	v_mov_b32_e32 v63, v77
	s_and_saveexec_b32 s7, s5
	s_cbranch_execz .LBB230_1529
; %bb.1524:                             ;   in Loop: Header=BB230_10 Depth=1
	v_mov_b32_e32 v0, 0xffff
	v_mov_b32_e32 v106, v27
	s_mov_b32 s17, exec_lo
	v_and_b32_sdwa v0, v0, v52 dst_sel:DWORD dst_unused:UNUSED_PAD src0_sel:DWORD src1_sel:BYTE_1
	v_mov_b32_e32 v62, v106
	v_mov_b32_e32 v63, v107
	v_and_b32_e32 v112, 0x7f, v0
	v_cmpx_ne_u32_e32 0x7f, v112
	s_cbranch_execz .LBB230_1528
; %bb.1525:                             ;   in Loop: Header=BB230_10 Depth=1
	v_and_b32_e32 v26, 7, v0
	v_mov_b32_e32 v63, v27
	v_lshrrev_b32_e32 v53, 3, v112
	s_mov_b32 s18, exec_lo
	v_mov_b32_e32 v62, v26
	v_cmpx_gt_u32_e32 8, v112
; %bb.1526:                             ;   in Loop: Header=BB230_10 Depth=1
	v_ffbh_u32_e32 v53, v26
	v_min_u32_e32 v53, 32, v53
	v_subrev_nc_u32_e32 v112, 28, v53
	v_sub_nc_u32_e32 v53, 29, v53
	v_lshlrev_b64 v[62:63], v112, v[26:27]
	v_and_b32_e32 v62, 7, v62
; %bb.1527:                             ;   in Loop: Header=BB230_10 Depth=1
	s_or_b32 exec_lo, exec_lo, s18
	v_lshlrev_b32_e32 v0, 16, v52
	v_lshlrev_b32_e32 v112, 20, v62
	v_lshl_add_u32 v53, v53, 23, 0x3c000000
	v_mov_b32_e32 v62, v27
	v_and_b32_e32 v0, 0x80000000, v0
	v_or3_b32 v63, v112, v0, v53
.LBB230_1528:                           ;   in Loop: Header=BB230_10 Depth=1
	s_or_b32 exec_lo, exec_lo, s17
.LBB230_1529:                           ;   in Loop: Header=BB230_10 Depth=1
	s_or_b32 exec_lo, exec_lo, s7
.LBB230_1530:                           ;   in Loop: Header=BB230_10 Depth=1
	s_or_b32 exec_lo, exec_lo, s6
	v_mov_b32_e32 v0, 0xff
	v_mov_b32_e32 v104, 0
	v_mov_b32_e32 v88, 0
	v_mov_b32_e32 v105, 0
	v_mov_b32_e32 v89, 0
	v_and_b32_sdwa v0, v52, v0 dst_sel:DWORD dst_unused:UNUSED_PAD src0_sel:WORD_1 src1_sel:DWORD
	s_mov_b32 s6, exec_lo
	v_cmpx_ne_u16_e32 0, v0
	s_cbranch_execz .LBB230_1538
; %bb.1531:                             ;   in Loop: Header=BB230_10 Depth=1
	v_bfrev_b32_e32 v88, 1
	v_mov_b32_e32 v89, 0
	s_mov_b32 s7, exec_lo
	v_cmpx_ne_u16_e32 0x80, v0
	s_cbranch_execz .LBB230_1537
; %bb.1532:                             ;   in Loop: Header=BB230_10 Depth=1
	v_mov_b32_e32 v88, 0x7f800001
	v_bfe_u32 v112, v52, 16, 7
	v_mov_b32_e32 v89, 0
	s_mov_b32 s17, exec_lo
	v_cmpx_ne_u32_e32 0x7f, v112
	s_cbranch_execz .LBB230_1536
; %bb.1533:                             ;   in Loop: Header=BB230_10 Depth=1
	v_mov_b32_e32 v0, 7
	v_lshrrev_b32_e32 v53, 3, v112
	s_mov_b32 s18, exec_lo
	v_and_b32_sdwa v26, v52, v0 dst_sel:DWORD dst_unused:UNUSED_PAD src0_sel:WORD_1 src1_sel:DWORD
	v_mov_b32_e32 v89, v27
	v_mov_b32_e32 v88, v26
	v_cmpx_gt_u32_e32 8, v112
; %bb.1534:                             ;   in Loop: Header=BB230_10 Depth=1
	v_ffbh_u32_e32 v53, v26
	v_min_u32_e32 v53, 32, v53
	v_subrev_nc_u32_e32 v112, 28, v53
	v_sub_nc_u32_e32 v53, 29, v53
	v_lshlrev_b64 v[88:89], v112, v[26:27]
	v_and_b32_e32 v88, 7, v88
; %bb.1535:                             ;   in Loop: Header=BB230_10 Depth=1
	s_or_b32 exec_lo, exec_lo, s18
	v_mov_b32_e32 v0, 24
	v_lshlrev_b32_e32 v112, 20, v88
	v_lshl_add_u32 v53, v53, 23, 0x3c000000
	v_lshlrev_b32_sdwa v0, v0, v52 dst_sel:DWORD dst_unused:UNUSED_PAD src0_sel:DWORD src1_sel:WORD_1
	v_and_b32_e32 v0, 0x80000000, v0
	v_or3_b32 v26, v112, v0, v53
	v_mov_b32_e32 v89, v27
	v_mov_b32_e32 v88, v26
.LBB230_1536:                           ;   in Loop: Header=BB230_10 Depth=1
	s_or_b32 exec_lo, exec_lo, s17
.LBB230_1537:                           ;   in Loop: Header=BB230_10 Depth=1
	s_or_b32 exec_lo, exec_lo, s7
.LBB230_1538:                           ;   in Loop: Header=BB230_10 Depth=1
	s_or_b32 exec_lo, exec_lo, s6
	buffer_store_dword v28, off, s[0:3], s32 offset:1312 ; 4-byte Folded Spill
	v_cmp_lt_u32_e64 s5, 0xffffff, v52
	s_mov_b32 s6, exec_lo
	v_mov_b32_e32 v45, v113
	v_mov_b32_e32 v76, v40
	s_and_b32 s5, s6, s5
	s_mov_b32 exec_lo, s5
	s_cbranch_execz .LBB230_9
; %bb.1539:                             ;   in Loop: Header=BB230_10 Depth=1
	v_mov_b32_e32 v76, v27
	v_mov_b32_e32 v0, 0x80
	;; [unrolled: 1-line block ×4, first 2 shown]
	v_cmp_ne_u32_sdwa s5, v52, v0 src0_sel:BYTE_3 src1_sel:DWORD
	s_and_saveexec_b32 s7, s5
	s_cbranch_execz .LBB230_8
; %bb.1540:                             ;   in Loop: Header=BB230_10 Depth=1
	v_mov_b32_e32 v106, v27
	v_bfe_u32 v112, v52, 24, 7
	s_mov_b32 s17, exec_lo
	v_mov_b32_e32 v104, v106
	v_mov_b32_e32 v105, v107
	v_cmpx_ne_u32_e32 0x7f, v112
	s_cbranch_execz .LBB230_7
; %bb.1541:                             ;   in Loop: Header=BB230_10 Depth=1
	v_mov_b32_e32 v0, 7
	v_lshrrev_b32_e32 v53, 3, v112
	s_mov_b32 s18, exec_lo
	v_and_b32_sdwa v26, v52, v0 dst_sel:DWORD dst_unused:UNUSED_PAD src0_sel:BYTE_3 src1_sel:DWORD
	v_mov_b32_e32 v105, v27
	v_mov_b32_e32 v104, v26
	v_cmpx_gt_u32_e32 8, v112
	s_cbranch_execz .LBB230_6
; %bb.1542:                             ;   in Loop: Header=BB230_10 Depth=1
	v_ffbh_u32_e32 v53, v26
	v_min_u32_e32 v53, 32, v53
	v_subrev_nc_u32_e32 v112, 28, v53
	v_sub_nc_u32_e32 v53, 29, v53
	v_lshlrev_b64 v[104:105], v112, v[26:27]
	v_and_b32_e32 v104, 7, v104
	s_branch .LBB230_6
.LBB230_1543:
	s_or_b32 exec_lo, exec_lo, s15
	s_clause 0xb
	buffer_load_dword v11, off, s[0:3], s32 offset:2340
	buffer_load_dword v10, off, s[0:3], s32 offset:2344
	;; [unrolled: 1-line block ×12, first 2 shown]
.LBB230_1544:
	s_or_b32 exec_lo, exec_lo, s9
	v_mbcnt_lo_u32_b32 v0, -1, 0
	v_max_f32_e32 v4, v28, v28
	s_lshr_b32 s9, s13, 16
	v_xor_b32_e32 v1, 16, v0
	v_xor_b32_e32 v3, 8, v0
	v_cmp_gt_i32_e32 vcc_lo, 32, v1
	v_cndmask_b32_e32 v1, v0, v1, vcc_lo
	v_cmp_gt_i32_e32 vcc_lo, 32, v3
	v_lshlrev_b32_e32 v1, 2, v1
	v_cndmask_b32_e32 v3, v0, v3, vcc_lo
	ds_bpermute_b32 v2, v1, v28
	s_waitcnt lgkmcnt(0)
	v_max_f32_e32 v5, v2, v2
	v_lshlrev_b32_e32 v2, 2, v3
	v_max_f32_e32 v3, v4, v5
	v_xor_b32_e32 v5, 4, v0
	ds_bpermute_b32 v4, v2, v3
	v_cmp_gt_i32_e32 vcc_lo, 32, v5
	v_cndmask_b32_e32 v5, v0, v5, vcc_lo
	v_lshlrev_b32_e32 v55, 2, v5
	v_xor_b32_e32 v5, 2, v0
	v_cmp_gt_i32_e32 vcc_lo, 32, v5
	s_waitcnt lgkmcnt(0)
	v_max_f32_e32 v4, v4, v4
	v_cndmask_b32_e32 v5, v0, v5, vcc_lo
	v_max_f32_e32 v3, v3, v4
	v_lshlrev_b32_e32 v12, 2, v5
	v_xor_b32_e32 v5, 1, v0
	ds_bpermute_b32 v4, v55, v3
	v_cmp_gt_i32_e32 vcc_lo, 32, v5
	v_cndmask_b32_e32 v5, v0, v5, vcc_lo
	v_lshlrev_b32_e32 v9, 2, v5
	s_waitcnt lgkmcnt(0)
	v_max_f32_e32 v4, v4, v4
	v_max_f32_e32 v3, v3, v4
	ds_bpermute_b32 v4, v12, v3
	s_waitcnt lgkmcnt(0)
	v_max_f32_e32 v4, v4, v4
	v_max_f32_e32 v0, v3, v4
	buffer_load_dword v3, off, s[0:3], s32 offset:2324 ; 4-byte Folded Reload
	ds_bpermute_b32 v4, v9, v0
	s_waitcnt vmcnt(0)
	v_cmp_eq_u32_e32 vcc_lo, 0, v3
	buffer_load_dword v3, off, s[0:3], s32 offset:2328 ; 4-byte Folded Reload
	s_waitcnt vmcnt(0)
	v_lshlrev_b32_e32 v3, 2, v3
	s_and_saveexec_b32 s5, vcc_lo
	s_cbranch_execz .LBB230_1546
; %bb.1545:
	s_waitcnt lgkmcnt(0)
	v_max_f32_e32 v4, v4, v4
	v_max_f32_e32 v0, v0, v0
	;; [unrolled: 1-line block ×3, first 2 shown]
	ds_write_b32 v3, v0 offset:768
.LBB230_1546:
	s_or_b32 exec_lo, exec_lo, s5
	buffer_load_dword v0, off, s[0:3], s32 offset:2324 ; 4-byte Folded Reload
	s_waitcnt vmcnt(0) lgkmcnt(0)
	s_waitcnt_vscnt null, 0x0
	s_barrier
	buffer_gl0_inv
	v_cmp_gt_u32_e64 s5, 4, v0
	v_mov_b32_e32 v0, 0xff7fffff
	s_and_saveexec_b32 s6, s5
; %bb.1547:
	ds_read_b32 v0, v16 offset:768
; %bb.1548:
	s_or_b32 exec_lo, exec_lo, s6
	s_waitcnt lgkmcnt(0)
	ds_bpermute_b32 v4, v12, v0
	v_max_f32_e32 v0, v0, v0
	v_mov_b32_e32 v5, 0
	buffer_load_dword v6, off, s[0:3], s32 offset:2320 ; 4-byte Folded Reload
	s_waitcnt lgkmcnt(0)
	v_max_f32_e32 v4, v4, v4
	v_max_f32_e32 v0, v0, v4
	ds_bpermute_b32 v4, v9, v0
	s_waitcnt lgkmcnt(0)
	v_max_f32_e32 v4, v4, v4
	v_max_f32_e32 v0, v0, v4
	ds_bpermute_b32 v4, v5, v0
	buffer_load_dword v0, off, s[0:3], s32 offset:192 ; 4-byte Folded Reload
	s_waitcnt vmcnt(0)
	v_lshlrev_b32_e32 v0, 5, v0
	v_min_i32_e32 v0, v0, v73
	v_cmp_lt_i32_e64 s6, v6, v0
	s_and_saveexec_b32 s13, s6
	s_cbranch_execz .LBB230_1552
; %bb.1549:
	buffer_load_dword v7, off, s[0:3], s32 offset:2320 ; 4-byte Folded Reload
	s_getpc_b64 s[18:19]
	s_add_u32 s18, s18, llvm.amdgcn.dynlds.offset.table@rel32@lo+4
	s_addc_u32 s19, s19, llvm.amdgcn.dynlds.offset.table@rel32@hi+12
	s_ashr_i32 s17, s16, 31
	v_mov_b32_e32 v5, 0
	s_lshl_b64 s[20:21], s[16:17], 2
	s_mov_b32 s15, 0
	s_add_u32 s18, s18, s20
	s_addc_u32 s19, s19, s21
	s_load_dword s7, s[18:19], 0x0
	s_waitcnt vmcnt(0) lgkmcnt(0)
	v_lshl_add_u32 v6, v7, 2, s7
	.p2align	6
.LBB230_1550:                           ; =>This Inner Loop Header: Depth=1
	ds_read_b32 v8, v6
	v_add_nc_u32_e32 v7, 0x80, v7
	v_cmp_ge_i32_e64 s7, v7, v0
	s_or_b32 s15, s7, s15
	s_waitcnt lgkmcnt(0)
	v_sub_f32_e32 v8, v8, v4
	v_mul_f32_e32 v8, 0x3fb8aa3b, v8
	v_exp_f32_e32 v8, v8
	ds_write_b32 v6, v8
	v_add_f32_e32 v5, v5, v8
	v_add_nc_u32_e32 v6, 0x200, v6
	s_andn2_b32 exec_lo, exec_lo, s15
	s_cbranch_execnz .LBB230_1550
; %bb.1551:
	s_or_b32 exec_lo, exec_lo, s15
.LBB230_1552:
	s_or_b32 exec_lo, exec_lo, s13
	ds_bpermute_b32 v1, v1, v5
	s_waitcnt lgkmcnt(0)
	v_add_f32_e32 v1, v5, v1
	ds_bpermute_b32 v2, v2, v1
	s_waitcnt lgkmcnt(0)
	v_add_f32_e32 v1, v1, v2
	;; [unrolled: 3-line block ×5, first 2 shown]
	s_and_saveexec_b32 s7, vcc_lo
; %bb.1553:
	ds_write_b32 v3, v1 offset:784
; %bb.1554:
	s_or_b32 exec_lo, exec_lo, s7
	s_waitcnt lgkmcnt(0)
	s_barrier
	buffer_gl0_inv
	s_and_saveexec_b32 s7, s5
; %bb.1555:
	ds_read_b32 v1, v16 offset:784
; %bb.1556:
	s_or_b32 exec_lo, exec_lo, s7
	s_waitcnt lgkmcnt(0)
	ds_bpermute_b32 v2, v12, v1
	s_waitcnt lgkmcnt(0)
	v_add_f32_e32 v1, v1, v2
	ds_bpermute_b32 v2, v9, v1
	s_waitcnt lgkmcnt(0)
	v_add_f32_e32 v1, v1, v2
	v_mov_b32_e32 v2, 0
	ds_bpermute_b32 v1, v2, v1
	s_and_saveexec_b32 s5, s6
	s_cbranch_execz .LBB230_1559
; %bb.1557:
	s_waitcnt lgkmcnt(0)
	v_add_f32_e32 v2, 0x358637bd, v1
	s_getpc_b64 s[6:7]
	s_add_u32 s6, s6, llvm.amdgcn.dynlds.offset.table@rel32@lo+4
	s_addc_u32 s7, s7, llvm.amdgcn.dynlds.offset.table@rel32@hi+12
	s_ashr_i32 s17, s16, 31
	s_lshl_b64 s[18:19], s[16:17], 2
	v_div_scale_f32 v1, null, v2, v2, 1.0
	v_div_scale_f32 v5, vcc_lo, 1.0, v2, 1.0
	s_add_u32 s6, s6, s18
	v_rcp_f32_e32 v3, v1
	s_addc_u32 s7, s7, s19
	s_load_dword s6, s[6:7], 0x0
	v_fma_f32 v4, -v1, v3, 1.0
	v_fmac_f32_e32 v3, v4, v3
	v_mul_f32_e32 v4, v5, v3
	v_fma_f32 v6, -v1, v4, v5
	v_fmac_f32_e32 v4, v6, v3
	v_fma_f32 v1, -v1, v4, v5
	v_div_fmas_f32 v3, v1, v3, v4
	buffer_load_dword v4, off, s[0:3], s32 offset:2320 ; 4-byte Folded Reload
	v_div_fixup_f32 v2, v3, v2, 1.0
	s_waitcnt vmcnt(0) lgkmcnt(0)
	v_lshl_add_u32 v1, v4, 2, s6
	v_mov_b32_e32 v3, v4
	s_mov_b32 s6, 0
.LBB230_1558:                           ; =>This Inner Loop Header: Depth=1
	ds_read_b32 v4, v1
	v_add_nc_u32_e32 v3, 0x80, v3
	v_cmp_ge_i32_e32 vcc_lo, v3, v0
	s_or_b32 s6, vcc_lo, s6
	s_waitcnt lgkmcnt(0)
	v_mul_f32_e32 v4, v2, v4
	ds_write_b32 v1, v4
	v_add_nc_u32_e32 v1, 0x200, v1
	s_andn2_b32 exec_lo, exec_lo, s6
	s_cbranch_execnz .LBB230_1558
.LBB230_1559:
	s_or_b32 exec_lo, exec_lo, s5
	s_waitcnt lgkmcnt(0)
	s_barrier
	buffer_gl0_inv
	s_mov_b32 s5, exec_lo
	buffer_load_dword v2, off, s[0:3], s32 offset:2320 ; 4-byte Folded Reload
	s_and_b32 s6, s5, s4
	s_xor_b32 s4, s6, s5
	s_mov_b32 exec_lo, s6
; %bb.1560:
	s_ashr_i32 s17, s16, 31
                                        ; implicit-def: $vgpr0
                                        ; implicit-def: $vgpr73
                                        ; kill: killed $vgpr0
                                        ; implicit-def: $vgpr21
                                        ; implicit-def: $vgpr20
                                        ; implicit-def: $vgpr10
                                        ; implicit-def: $vgpr11
                                        ; implicit-def: $vgpr0
                                        ; kill: killed $vgpr0
                                        ; implicit-def: $vgpr22_vgpr23
                                        ; implicit-def: $vgpr17
                                        ; implicit-def: $vgpr18
                                        ; implicit-def: $vgpr13
                                        ; implicit-def: $vgpr14_vgpr15
; %bb.1561:
	s_or_saveexec_b32 s5, s4
	v_mov_b32_e32 v0, s16
	buffer_store_dword v12, off, s[0:3], s32 offset:1348 ; 4-byte Folded Spill
	buffer_store_dword v9, off, s[0:3], s32 offset:1344 ; 4-byte Folded Spill
	v_mov_b32_e32 v3, 0
	v_mov_b32_e32 v1, s17
	s_waitcnt vmcnt(0)
	v_and_b32_e32 v65, 7, v2
	v_mov_b32_e32 v9, 0
	v_mov_b32_e32 v8, 0
	;; [unrolled: 1-line block ×47, first 2 shown]
	s_xor_b32 exec_lo, exec_lo, s5
	s_cbranch_execz .LBB230_3197
; %bb.1562:
	v_add_co_u32 v1, vcc_lo, v21, v17
	v_lshlrev_b32_e32 v0, 2, v2
	v_add_co_ci_u32_e64 v2, null, v20, v18, vcc_lo
	buffer_store_dword v55, off, s[0:3], s32 offset:1352 ; 4-byte Folded Spill
	flat_load_dword v41, v[22:23]
	buffer_store_dword v1, off, s[0:3], s32 offset:1328 ; 4-byte Folded Spill
	buffer_store_dword v2, off, s[0:3], s32 offset:1332 ; 4-byte Folded Spill
	buffer_load_dword v60, off, s[0:3], s32 offset:2328 ; 4-byte Folded Reload
	v_mov_b32_e32 v4, 0
	s_ashr_i32 s17, s16, 31
	s_getpc_b64 s[6:7]
	s_add_u32 s6, s6, llvm.amdgcn.dynlds.offset.table@rel32@lo+4
	s_addc_u32 s7, s7, llvm.amdgcn.dynlds.offset.table@rel32@hi+12
	s_lshl_b64 s[18:19], s[16:17], 2
	v_and_b32_e32 v1, 0x7c, v13
	buffer_store_dword v4, off, s[0:3], s32 offset:1316 ; 4-byte Folded Spill
	v_mov_b32_e32 v4, 0
	s_add_u32 s6, s6, s18
	s_addc_u32 s7, s7, s19
	v_and_b32_e32 v5, 0x7c, v0
	s_load_dword s4, s[6:7], 0x0
	buffer_store_dword v4, off, s[0:3], s32 offset:964 ; 4-byte Folded Spill
	v_mov_b32_e32 v4, 0
	v_lshlrev_b32_e32 v3, 4, v65
	v_mov_b32_e32 v9, 0
	v_mov_b32_e32 v42, 0x80
	v_bfrev_b32_e32 v105, 1
	buffer_store_dword v4, off, s[0:3], s32 offset:972 ; 4-byte Folded Spill
	v_mov_b32_e32 v4, 0
	v_mov_b32_e32 v13, 0x7f800001
	;; [unrolled: 1-line block ×5, first 2 shown]
	buffer_store_dword v4, off, s[0:3], s32 offset:980 ; 4-byte Folded Spill
	v_mov_b32_e32 v4, 0
	v_mov_b32_e32 v16, 0
	s_mov_b32 s6, 0
	buffer_store_dword v65, off, s[0:3], s32 offset:1356 ; 4-byte Folded Spill
	buffer_store_dword v5, off, s[0:3], s32 offset:1336 ; 4-byte Folded Spill
	;; [unrolled: 1-line block ×3, first 2 shown]
	v_mov_b32_e32 v4, 0
	buffer_store_dword v4, off, s[0:3], s32 offset:996 ; 4-byte Folded Spill
	v_mov_b32_e32 v4, 0
	buffer_store_dword v4, off, s[0:3], s32 offset:1004 ; 4-byte Folded Spill
	;; [unrolled: 2-line block ×40, first 2 shown]
	v_and_b32_e32 v4, 28, v0
	v_or_b32_e32 v0, 0xf80, v0
	buffer_store_dword v0, off, s[0:3], s32 offset:1340 ; 4-byte Folded Spill
	v_add_co_u32 v0, vcc_lo, v1, v14
	v_add_co_ci_u32_e64 v1, null, 0, v15, vcc_lo
	v_add_co_u32 v14, vcc_lo, v10, v0
	v_add_co_ci_u32_e64 v15, null, v11, v1, vcc_lo
	s_waitcnt vmcnt(1) lgkmcnt(0)
	v_mov_b32_e32 v59, v41
	s_waitcnt vmcnt(0)
	v_lshlrev_b32_e32 v2, 5, v60
	v_lshl_or_b32 v3, v60, 7, v3
	v_or3_b32 v57, v2, v4, 3
	v_add_nc_u32_e32 v58, s4, v3
	s_branch .LBB230_1564
.LBB230_1563:                           ;   in Loop: Header=BB230_1564 Depth=1
	s_or_b32 exec_lo, exec_lo, s4
	buffer_load_dword v16, off, s[0:3], s32 offset:1316 ; 4-byte Folded Reload
	v_mul_f32_e32 v12, v3, v115
	v_mul_f32_e32 v6, v3, v6
	v_add_nc_u32_e32 v60, 4, v60
	v_add_co_u32 v14, vcc_lo, v14, 16
	v_fmac_f32_e32 v12, v2, v114
	v_fmac_f32_e32 v6, v2, v56
	v_add_co_ci_u32_e64 v15, null, 0, v15, vcc_lo
	v_add_nc_u32_e32 v57, 0x80, v57
	v_fmac_f32_e32 v12, v4, v23
	v_fmac_f32_e32 v6, v4, v47
	v_add_nc_u32_e32 v58, 0x200, v58
	v_fmac_f32_e32 v12, v5, v22
	v_fmac_f32_e32 v6, v5, v40
	s_waitcnt vmcnt(0)
	v_add_f32_e32 v16, v16, v12
	v_mul_f32_e32 v12, v3, v113
	buffer_store_dword v16, off, s[0:3], s32 offset:1316 ; 4-byte Folded Spill
	buffer_load_dword v16, off, s[0:3], s32 offset:964 ; 4-byte Folded Reload
	v_fmac_f32_e32 v12, v2, v112
	v_fmac_f32_e32 v12, v4, v103
	;; [unrolled: 1-line block ×3, first 2 shown]
	v_add_f32_e32 v127, v127, v12
	v_mul_f32_e32 v12, v3, v101
	v_fmac_f32_e32 v12, v2, v100
	v_fmac_f32_e32 v12, v4, v99
	v_fmac_f32_e32 v12, v5, v98
	s_waitcnt vmcnt(0)
	v_add_f32_e32 v16, v16, v12
	v_mul_f32_e32 v12, v3, v97
	buffer_store_dword v16, off, s[0:3], s32 offset:964 ; 4-byte Folded Spill
	buffer_load_dword v16, off, s[0:3], s32 offset:972 ; 4-byte Folded Reload
	v_fmac_f32_e32 v12, v2, v96
	v_fmac_f32_e32 v12, v4, v87
	v_fmac_f32_e32 v12, v5, v86
	s_waitcnt vmcnt(0)
	v_add_f32_e32 v16, v16, v12
	v_mul_f32_e32 v12, v3, v84
	buffer_store_dword v16, off, s[0:3], s32 offset:972 ; 4-byte Folded Spill
	buffer_load_dword v16, off, s[0:3], s32 offset:980 ; 4-byte Folded Reload
	;; [unrolled: 8-line block ×14, first 2 shown]
	v_fmac_f32_e32 v12, v2, v61
	v_fmac_f32_e32 v12, v4, v25
	v_fmac_f32_e32 v12, v5, v24
	s_waitcnt vmcnt(0)
	v_add_f32_e32 v16, v16, v12
	v_mul_f32_e32 v12, v3, v31
	buffer_store_dword v16, off, s[0:3], s32 offset:1076 ; 4-byte Folded Spill
	v_fmac_f32_e32 v12, v2, v7
	s_clause 0x1
	buffer_load_dword v7, off, s[0:3], s32 offset:1084
	buffer_load_dword v16, off, s[0:3], s32 offset:1324
	v_fmac_f32_e32 v12, v4, v27
	v_fmac_f32_e32 v12, v5, v26
	s_waitcnt vmcnt(1)
	v_add_f32_e32 v7, v7, v12
	buffer_store_dword v7, off, s[0:3], s32 offset:1084 ; 4-byte Folded Spill
	buffer_load_dword v7, off, s[0:3], s32 offset:1092 ; 4-byte Folded Reload
	s_waitcnt vmcnt(0)
	v_add_f32_e32 v7, v7, v6
	v_mul_f32_e32 v6, v3, v85
	buffer_store_dword v7, off, s[0:3], s32 offset:1092 ; 4-byte Folded Spill
	buffer_load_dword v7, off, s[0:3], s32 offset:1100 ; 4-byte Folded Reload
	v_fmac_f32_e32 v6, v2, v123
	v_fmac_f32_e32 v6, v4, v125
	v_fmac_f32_e32 v6, v5, v124
	s_waitcnt vmcnt(0)
	v_add_f32_e32 v7, v7, v6
	v_mul_f32_e32 v6, v3, v28
	buffer_store_dword v7, off, s[0:3], s32 offset:1100 ; 4-byte Folded Spill
	buffer_load_dword v7, off, s[0:3], s32 offset:1108 ; 4-byte Folded Reload
	v_fmac_f32_e32 v6, v2, v122
	v_fmac_f32_e32 v6, v4, v121
	v_fmac_f32_e32 v6, v5, v120
	s_waitcnt vmcnt(0)
	v_add_f32_e32 v7, v7, v6
	v_mul_f32_e32 v6, v3, v111
	buffer_store_dword v7, off, s[0:3], s32 offset:1108 ; 4-byte Folded Spill
	buffer_load_dword v7, off, s[0:3], s32 offset:1116 ; 4-byte Folded Reload
	v_fmac_f32_e32 v6, v2, v110
	v_fmac_f32_e32 v6, v4, v109
	v_fmac_f32_e32 v6, v5, v108
	s_waitcnt vmcnt(0)
	v_add_f32_e32 v7, v7, v6
	v_mul_f32_e32 v6, v3, v107
	buffer_store_dword v7, off, s[0:3], s32 offset:1116 ; 4-byte Folded Spill
	buffer_load_dword v7, off, s[0:3], s32 offset:1124 ; 4-byte Folded Reload
	v_fmac_f32_e32 v6, v2, v106
	v_fmac_f32_e32 v6, v4, v119
	v_fmac_f32_e32 v6, v5, v11
	s_waitcnt vmcnt(0)
	v_add_f32_e32 v7, v7, v6
	buffer_load_dword v6, off, s[0:3], s32 offset:956 ; 4-byte Folded Reload
	buffer_store_dword v7, off, s[0:3], s32 offset:1124 ; 4-byte Folded Spill
	buffer_load_dword v7, off, s[0:3], s32 offset:948 ; 4-byte Folded Reload
	s_waitcnt vmcnt(1)
	v_mul_f32_e32 v6, v3, v6
	s_waitcnt vmcnt(0)
	v_fmac_f32_e32 v6, v2, v7
	buffer_load_dword v7, off, s[0:3], s32 offset:940 ; 4-byte Folded Reload
	s_waitcnt vmcnt(0)
	v_fmac_f32_e32 v6, v4, v7
	buffer_load_dword v7, off, s[0:3], s32 offset:932 ; 4-byte Folded Reload
	s_waitcnt vmcnt(0)
	v_fmac_f32_e32 v6, v5, v7
	buffer_load_dword v7, off, s[0:3], s32 offset:1132 ; 4-byte Folded Reload
	s_waitcnt vmcnt(0)
	v_add_f32_e32 v7, v7, v6
	buffer_load_dword v6, off, s[0:3], s32 offset:924 ; 4-byte Folded Reload
	buffer_store_dword v7, off, s[0:3], s32 offset:1132 ; 4-byte Folded Spill
	buffer_load_dword v7, off, s[0:3], s32 offset:916 ; 4-byte Folded Reload
	s_waitcnt vmcnt(1)
	v_mul_f32_e32 v6, v3, v6
	s_waitcnt vmcnt(0)
	v_fmac_f32_e32 v6, v2, v7
	buffer_load_dword v7, off, s[0:3], s32 offset:908 ; 4-byte Folded Reload
	s_waitcnt vmcnt(0)
	v_fmac_f32_e32 v6, v4, v7
	buffer_load_dword v7, off, s[0:3], s32 offset:900 ; 4-byte Folded Reload
	s_waitcnt vmcnt(0)
	v_fmac_f32_e32 v6, v5, v7
	buffer_load_dword v7, off, s[0:3], s32 offset:1140 ; 4-byte Folded Reload
	;; [unrolled: 16-line block ×8, first 2 shown]
	v_add_f32_e32 v16, v16, v6
	buffer_load_dword v6, off, s[0:3], s32 offset:700 ; 4-byte Folded Reload
	s_waitcnt vmcnt(0)
	v_mul_f32_e32 v6, v3, v6
	v_fmac_f32_e32 v6, v2, v7
	buffer_load_dword v7, off, s[0:3], s32 offset:684 ; 4-byte Folded Reload
	s_waitcnt vmcnt(0)
	v_fmac_f32_e32 v6, v4, v7
	buffer_load_dword v7, off, s[0:3], s32 offset:676 ; 4-byte Folded Reload
	s_waitcnt vmcnt(0)
	v_fmac_f32_e32 v6, v5, v7
	buffer_load_dword v7, off, s[0:3], s32 offset:1188 ; 4-byte Folded Reload
	s_waitcnt vmcnt(0)
	v_add_f32_e32 v7, v7, v6
	buffer_load_dword v6, off, s[0:3], s32 offset:668 ; 4-byte Folded Reload
	buffer_store_dword v7, off, s[0:3], s32 offset:1188 ; 4-byte Folded Spill
	buffer_load_dword v7, off, s[0:3], s32 offset:660 ; 4-byte Folded Reload
	s_waitcnt vmcnt(1)
	v_mul_f32_e32 v6, v3, v6
	s_waitcnt vmcnt(0)
	v_fmac_f32_e32 v6, v2, v7
	buffer_load_dword v7, off, s[0:3], s32 offset:652 ; 4-byte Folded Reload
	s_waitcnt vmcnt(0)
	v_fmac_f32_e32 v6, v4, v7
	buffer_load_dword v7, off, s[0:3], s32 offset:644 ; 4-byte Folded Reload
	s_waitcnt vmcnt(0)
	v_fmac_f32_e32 v6, v5, v7
	buffer_load_dword v7, off, s[0:3], s32 offset:1196 ; 4-byte Folded Reload
	s_waitcnt vmcnt(0)
	v_add_f32_e32 v7, v7, v6
	buffer_load_dword v6, off, s[0:3], s32 offset:636 ; 4-byte Folded Reload
	buffer_store_dword v7, off, s[0:3], s32 offset:1196 ; 4-byte Folded Spill
	buffer_load_dword v7, off, s[0:3], s32 offset:628 ; 4-byte Folded Reload
	s_waitcnt vmcnt(1)
	v_mul_f32_e32 v6, v3, v6
	s_waitcnt vmcnt(0)
	v_fmac_f32_e32 v6, v2, v7
	buffer_load_dword v7, off, s[0:3], s32 offset:620 ; 4-byte Folded Reload
	s_waitcnt vmcnt(0)
	v_fmac_f32_e32 v6, v4, v7
	buffer_load_dword v7, off, s[0:3], s32 offset:612 ; 4-byte Folded Reload
	s_waitcnt vmcnt(0)
	v_fmac_f32_e32 v6, v5, v7
	buffer_load_dword v7, off, s[0:3], s32 offset:1204 ; 4-byte Folded Reload
	s_waitcnt vmcnt(0)
	v_add_f32_e32 v7, v7, v6
	buffer_load_dword v6, off, s[0:3], s32 offset:596 ; 4-byte Folded Reload
	buffer_store_dword v7, off, s[0:3], s32 offset:1204 ; 4-byte Folded Spill
	buffer_load_dword v7, off, s[0:3], s32 offset:604 ; 4-byte Folded Reload
	s_waitcnt vmcnt(1)
	v_mul_f32_e32 v6, v3, v6
	s_waitcnt vmcnt(0)
	v_fmac_f32_e32 v6, v2, v7
	buffer_load_dword v7, off, s[0:3], s32 offset:588 ; 4-byte Folded Reload
	s_waitcnt vmcnt(0)
	v_fmac_f32_e32 v6, v4, v7
	buffer_load_dword v7, off, s[0:3], s32 offset:580 ; 4-byte Folded Reload
	s_waitcnt vmcnt(0)
	v_fmac_f32_e32 v6, v5, v7
	buffer_load_dword v7, off, s[0:3], s32 offset:1212 ; 4-byte Folded Reload
	s_waitcnt vmcnt(0)
	v_add_f32_e32 v7, v7, v6
	buffer_load_dword v6, off, s[0:3], s32 offset:564 ; 4-byte Folded Reload
	buffer_store_dword v7, off, s[0:3], s32 offset:1212 ; 4-byte Folded Spill
	buffer_load_dword v7, off, s[0:3], s32 offset:572 ; 4-byte Folded Reload
	s_waitcnt vmcnt(1)
	v_mul_f32_e32 v6, v3, v6
	s_waitcnt vmcnt(0)
	v_fmac_f32_e32 v6, v2, v7
	buffer_load_dword v7, off, s[0:3], s32 offset:556 ; 4-byte Folded Reload
	s_waitcnt vmcnt(0)
	v_fmac_f32_e32 v6, v4, v7
	buffer_load_dword v7, off, s[0:3], s32 offset:548 ; 4-byte Folded Reload
	s_waitcnt vmcnt(0)
	v_fmac_f32_e32 v6, v5, v7
	buffer_load_dword v7, off, s[0:3], s32 offset:1220 ; 4-byte Folded Reload
	s_waitcnt vmcnt(0)
	v_add_f32_e32 v7, v7, v6
	buffer_load_dword v6, off, s[0:3], s32 offset:532 ; 4-byte Folded Reload
	buffer_store_dword v7, off, s[0:3], s32 offset:1220 ; 4-byte Folded Spill
	buffer_load_dword v7, off, s[0:3], s32 offset:540 ; 4-byte Folded Reload
	s_waitcnt vmcnt(1)
	v_mul_f32_e32 v6, v3, v6
	s_waitcnt vmcnt(0)
	v_fmac_f32_e32 v6, v2, v7
	buffer_load_dword v7, off, s[0:3], s32 offset:524 ; 4-byte Folded Reload
	s_waitcnt vmcnt(0)
	v_fmac_f32_e32 v6, v4, v7
	buffer_load_dword v7, off, s[0:3], s32 offset:516 ; 4-byte Folded Reload
	s_waitcnt vmcnt(0)
	v_fmac_f32_e32 v6, v5, v7
	buffer_load_dword v7, off, s[0:3], s32 offset:1228 ; 4-byte Folded Reload
	s_waitcnt vmcnt(0)
	v_add_f32_e32 v7, v7, v6
	buffer_load_dword v6, off, s[0:3], s32 offset:508 ; 4-byte Folded Reload
	buffer_store_dword v7, off, s[0:3], s32 offset:1228 ; 4-byte Folded Spill
	buffer_load_dword v7, off, s[0:3], s32 offset:500 ; 4-byte Folded Reload
	s_waitcnt vmcnt(1)
	v_mul_f32_e32 v6, v3, v6
	s_waitcnt vmcnt(0)
	v_fmac_f32_e32 v6, v2, v7
	buffer_load_dword v7, off, s[0:3], s32 offset:492 ; 4-byte Folded Reload
	s_waitcnt vmcnt(0)
	v_fmac_f32_e32 v6, v4, v7
	buffer_load_dword v7, off, s[0:3], s32 offset:484 ; 4-byte Folded Reload
	s_waitcnt vmcnt(0)
	v_fmac_f32_e32 v6, v5, v7
	buffer_load_dword v7, off, s[0:3], s32 offset:1236 ; 4-byte Folded Reload
	s_waitcnt vmcnt(0)
	v_add_f32_e32 v7, v7, v6
	buffer_load_dword v6, off, s[0:3], s32 offset:476 ; 4-byte Folded Reload
	buffer_store_dword v7, off, s[0:3], s32 offset:1236 ; 4-byte Folded Spill
	buffer_load_dword v7, off, s[0:3], s32 offset:468 ; 4-byte Folded Reload
	s_waitcnt vmcnt(1)
	v_mul_f32_e32 v6, v3, v6
	s_waitcnt vmcnt(0)
	v_fmac_f32_e32 v6, v2, v7
	buffer_load_dword v7, off, s[0:3], s32 offset:460 ; 4-byte Folded Reload
	s_waitcnt vmcnt(0)
	v_fmac_f32_e32 v6, v4, v7
	buffer_load_dword v7, off, s[0:3], s32 offset:452 ; 4-byte Folded Reload
	s_waitcnt vmcnt(0)
	v_fmac_f32_e32 v6, v5, v7
	buffer_load_dword v7, off, s[0:3], s32 offset:1244 ; 4-byte Folded Reload
	s_waitcnt vmcnt(0)
	v_add_f32_e32 v7, v7, v6
	buffer_load_dword v6, off, s[0:3], s32 offset:436 ; 4-byte Folded Reload
	buffer_store_dword v7, off, s[0:3], s32 offset:1244 ; 4-byte Folded Spill
	buffer_load_dword v7, off, s[0:3], s32 offset:444 ; 4-byte Folded Reload
	s_waitcnt vmcnt(1)
	v_mul_f32_e32 v6, v3, v6
	s_waitcnt vmcnt(0)
	v_fmac_f32_e32 v6, v2, v7
	buffer_load_dword v7, off, s[0:3], s32 offset:428 ; 4-byte Folded Reload
	s_waitcnt vmcnt(0)
	v_fmac_f32_e32 v6, v4, v7
	buffer_load_dword v7, off, s[0:3], s32 offset:420 ; 4-byte Folded Reload
	s_waitcnt vmcnt(0)
	;; [unrolled: 3-line block ×3, first 2 shown]
	v_add_f32_e32 v7, v7, v6
	buffer_load_dword v6, off, s[0:3], s32 offset:412 ; 4-byte Folded Reload
	buffer_store_dword v7, off, s[0:3], s32 offset:1252 ; 4-byte Folded Spill
	s_waitcnt vmcnt(0)
	v_mul_f32_e32 v7, v3, v6
	buffer_load_dword v6, off, s[0:3], s32 offset:196 ; 4-byte Folded Reload
	s_waitcnt vmcnt(0)
	v_fmac_f32_e32 v7, v2, v6
	buffer_load_dword v6, off, s[0:3], s32 offset:404 ; 4-byte Folded Reload
	s_waitcnt vmcnt(0)
	v_fmac_f32_e32 v7, v4, v6
	;; [unrolled: 3-line block ×3, first 2 shown]
	buffer_load_dword v6, off, s[0:3], s32 offset:1260 ; 4-byte Folded Reload
	s_waitcnt vmcnt(0)
	v_add_f32_e32 v6, v6, v7
	buffer_load_dword v7, off, s[0:3], s32 offset:388 ; 4-byte Folded Reload
	buffer_store_dword v6, off, s[0:3], s32 offset:1260 ; 4-byte Folded Spill
	buffer_load_dword v6, off, s[0:3], s32 offset:380 ; 4-byte Folded Reload
	s_waitcnt vmcnt(0)
	v_mul_f32_e32 v6, v3, v6
	v_fmac_f32_e32 v6, v2, v7
	buffer_load_dword v7, off, s[0:3], s32 offset:372 ; 4-byte Folded Reload
	s_waitcnt vmcnt(0)
	v_fmac_f32_e32 v6, v4, v7
	buffer_load_dword v7, off, s[0:3], s32 offset:364 ; 4-byte Folded Reload
	s_waitcnt vmcnt(0)
	v_fmac_f32_e32 v6, v5, v7
	buffer_load_dword v7, off, s[0:3], s32 offset:1268 ; 4-byte Folded Reload
	s_waitcnt vmcnt(0)
	v_add_f32_e32 v7, v7, v6
	buffer_load_dword v6, off, s[0:3], s32 offset:356 ; 4-byte Folded Reload
	buffer_store_dword v7, off, s[0:3], s32 offset:1268 ; 4-byte Folded Spill
	buffer_load_dword v7, off, s[0:3], s32 offset:348 ; 4-byte Folded Reload
	s_waitcnt vmcnt(1)
	v_mul_f32_e32 v6, v3, v6
	s_waitcnt vmcnt(0)
	v_fmac_f32_e32 v6, v2, v7
	buffer_load_dword v7, off, s[0:3], s32 offset:340 ; 4-byte Folded Reload
	s_waitcnt vmcnt(0)
	v_fmac_f32_e32 v6, v4, v7
	buffer_load_dword v7, off, s[0:3], s32 offset:332 ; 4-byte Folded Reload
	s_waitcnt vmcnt(0)
	v_fmac_f32_e32 v6, v5, v7
	buffer_load_dword v7, off, s[0:3], s32 offset:1276 ; 4-byte Folded Reload
	s_waitcnt vmcnt(0)
	v_add_f32_e32 v7, v7, v6
	buffer_load_dword v6, off, s[0:3], s32 offset:324 ; 4-byte Folded Reload
	buffer_store_dword v7, off, s[0:3], s32 offset:1276 ; 4-byte Folded Spill
	buffer_load_dword v7, off, s[0:3], s32 offset:316 ; 4-byte Folded Reload
	s_waitcnt vmcnt(1)
	v_mul_f32_e32 v6, v3, v6
	s_waitcnt vmcnt(0)
	v_fmac_f32_e32 v6, v2, v7
	buffer_load_dword v7, off, s[0:3], s32 offset:308 ; 4-byte Folded Reload
	s_waitcnt vmcnt(0)
	v_fmac_f32_e32 v6, v4, v7
	buffer_load_dword v7, off, s[0:3], s32 offset:300 ; 4-byte Folded Reload
	s_waitcnt vmcnt(0)
	v_fmac_f32_e32 v6, v5, v7
	buffer_load_dword v7, off, s[0:3], s32 offset:1292 ; 4-byte Folded Reload
	s_waitcnt vmcnt(0)
	v_add_f32_e32 v7, v7, v6
	buffer_load_dword v6, off, s[0:3], s32 offset:284 ; 4-byte Folded Reload
	buffer_store_dword v7, off, s[0:3], s32 offset:1292 ; 4-byte Folded Spill
	buffer_load_dword v7, off, s[0:3], s32 offset:292 ; 4-byte Folded Reload
	s_waitcnt vmcnt(1)
	v_mul_f32_e32 v6, v3, v6
	s_waitcnt vmcnt(0)
	v_fmac_f32_e32 v6, v2, v7
	buffer_load_dword v7, off, s[0:3], s32 offset:276 ; 4-byte Folded Reload
	s_waitcnt vmcnt(0)
	v_fmac_f32_e32 v6, v4, v7
	buffer_load_dword v7, off, s[0:3], s32 offset:268 ; 4-byte Folded Reload
	s_waitcnt vmcnt(0)
	v_fmac_f32_e32 v6, v5, v7
	buffer_load_dword v7, off, s[0:3], s32 offset:1300 ; 4-byte Folded Reload
	s_waitcnt vmcnt(0)
	v_add_f32_e32 v7, v7, v6
	buffer_load_dword v6, off, s[0:3], s32 offset:252 ; 4-byte Folded Reload
	buffer_store_dword v7, off, s[0:3], s32 offset:1300 ; 4-byte Folded Spill
	buffer_load_dword v7, off, s[0:3], s32 offset:260 ; 4-byte Folded Reload
	s_waitcnt vmcnt(1)
	v_mul_f32_e32 v6, v3, v6
	s_waitcnt vmcnt(0)
	v_fmac_f32_e32 v6, v2, v7
	buffer_load_dword v7, off, s[0:3], s32 offset:244 ; 4-byte Folded Reload
	s_waitcnt vmcnt(0)
	v_fmac_f32_e32 v6, v4, v7
	buffer_load_dword v7, off, s[0:3], s32 offset:236 ; 4-byte Folded Reload
	s_waitcnt vmcnt(0)
	;; [unrolled: 3-line block ×3, first 2 shown]
	v_add_f32_e32 v7, v7, v6
	buffer_load_dword v6, off, s[0:3], s32 offset:220 ; 4-byte Folded Reload
	buffer_store_dword v7, off, s[0:3], s32 offset:1312 ; 4-byte Folded Spill
	buffer_load_dword v7, off, s[0:3], s32 offset:228 ; 4-byte Folded Reload
	s_waitcnt vmcnt(1)
	v_mul_f32_e32 v6, v3, v6
	v_mul_f32_e32 v3, v3, v10
	s_waitcnt vmcnt(0)
	v_fmac_f32_e32 v6, v2, v7
	buffer_load_dword v7, off, s[0:3], s32 offset:212 ; 4-byte Folded Reload
	v_fmac_f32_e32 v3, v2, v8
	v_fmac_f32_e32 v3, v4, v1
	;; [unrolled: 1-line block ×3, first 2 shown]
	buffer_load_dword v0, off, s[0:3], s32 offset:192 ; 4-byte Folded Reload
	v_add_f32_e32 v117, v117, v3
	s_waitcnt vmcnt(1)
	v_fmac_f32_e32 v6, v4, v7
	buffer_load_dword v7, off, s[0:3], s32 offset:204 ; 4-byte Folded Reload
	s_waitcnt vmcnt(1)
	v_cmp_ge_i32_e32 vcc_lo, v60, v0
	s_or_b32 s6, vcc_lo, s6
	s_waitcnt vmcnt(0)
	v_fmac_f32_e32 v6, v5, v7
	buffer_load_dword v7, off, s[0:3], s32 offset:1284 ; 4-byte Folded Reload
	s_waitcnt vmcnt(0)
	v_add_f32_e32 v7, v7, v6
	buffer_store_dword v7, off, s[0:3], s32 offset:1284 ; 4-byte Folded Spill
	s_andn2_b32 exec_lo, exec_lo, s6
	s_cbranch_execz .LBB230_3196
.LBB230_1564:                           ; =>This Inner Loop Header: Depth=1
	buffer_store_dword v16, off, s[0:3], s32 offset:1324 ; 4-byte Folded Spill
	flat_load_dword v0, v[14:15]
	s_clause 0x2
	buffer_load_dword v1, off, s[0:3], s32 offset:1308
	buffer_load_dword v2, off, s[0:3], s32 offset:1328
	;; [unrolled: 1-line block ×3, first 2 shown]
	v_mov_b32_e32 v20, 0
	v_mov_b32_e32 v18, 0
	v_mov_b32_e32 v21, 0
	v_mov_b32_e32 v19, 0
	s_waitcnt vmcnt(0) lgkmcnt(0)
	v_mad_i64_i32 v[16:17], null, v0, v1, v[2:3]
	buffer_load_dword v0, off, s[0:3], s32 offset:1336 ; 4-byte Folded Reload
	ds_read_b128 v[2:5], v58
	s_waitcnt vmcnt(0)
	v_add_co_u32 v0, vcc_lo, v16, v0
	v_add_co_ci_u32_e64 v1, null, 0, v17, vcc_lo
	flat_load_dword v6, v[0:1]
	s_waitcnt vmcnt(0) lgkmcnt(0)
	v_cmp_ne_u16_sdwa s7, v6, v9 src0_sel:BYTE_0 src1_sel:DWORD
	s_and_saveexec_b32 s4, s7
	s_cbranch_execz .LBB230_1572
; %bb.1565:                             ;   in Loop: Header=BB230_1564 Depth=1
	v_bfrev_b32_e32 v18, 1
	v_mov_b32_e32 v19, 0
	v_cmp_ne_u16_sdwa s13, v6, v42 src0_sel:BYTE_0 src1_sel:DWORD
	s_and_saveexec_b32 s7, s13
	s_cbranch_execz .LBB230_1571
; %bb.1566:                             ;   in Loop: Header=BB230_1564 Depth=1
	v_mov_b32_e32 v18, 0x7f800001
	v_and_b32_e32 v10, 0x7f, v6
	v_mov_b32_e32 v19, 0
	s_mov_b32 s13, exec_lo
	v_cmpx_ne_u32_e32 0x7f, v10
	s_cbranch_execz .LBB230_1570
; %bb.1567:                             ;   in Loop: Header=BB230_1564 Depth=1
	v_and_b32_e32 v8, 7, v6
	v_lshrrev_b32_e32 v7, 3, v10
	s_mov_b32 s15, exec_lo
	v_cmpx_gt_u32_e32 8, v10
; %bb.1568:                             ;   in Loop: Header=BB230_1564 Depth=1
	v_ffbh_u32_e32 v7, v8
	v_min_u32_e32 v7, 32, v7
	v_subrev_nc_u32_e32 v10, 28, v7
	v_sub_nc_u32_e32 v7, 29, v7
	v_lshlrev_b64 v[18:19], v10, v[8:9]
	v_and_b32_e32 v8, 7, v18
; %bb.1569:                             ;   in Loop: Header=BB230_1564 Depth=1
	s_or_b32 exec_lo, exec_lo, s15
	v_lshlrev_b32_e32 v10, 24, v6
	v_lshlrev_b32_e32 v8, 20, v8
	v_lshl_add_u32 v7, v7, 23, 0x3c000000
	v_and_b32_e32 v10, 0x80000000, v10
	v_or3_b32 v8, v8, v10, v7
	v_mov_b32_e32 v19, v9
	v_mov_b32_e32 v18, v8
.LBB230_1570:                           ;   in Loop: Header=BB230_1564 Depth=1
	s_or_b32 exec_lo, exec_lo, s13
.LBB230_1571:                           ;   in Loop: Header=BB230_1564 Depth=1
	s_or_b32 exec_lo, exec_lo, s7
.LBB230_1572:                           ;   in Loop: Header=BB230_1564 Depth=1
	s_or_b32 exec_lo, exec_lo, s4
	v_cmp_ne_u16_sdwa s7, v6, v9 src0_sel:BYTE_1 src1_sel:DWORD
	s_and_saveexec_b32 s4, s7
	s_cbranch_execz .LBB230_1580
; %bb.1573:                             ;   in Loop: Header=BB230_1564 Depth=1
	v_mov_b32_e32 v104, v9
	v_cmp_ne_u16_sdwa s13, v6, v42 src0_sel:BYTE_1 src1_sel:DWORD
	v_mov_b32_e32 v20, v104
	v_mov_b32_e32 v21, v105
	s_and_saveexec_b32 s7, s13
	s_cbranch_execz .LBB230_1579
; %bb.1574:                             ;   in Loop: Header=BB230_1564 Depth=1
	v_mov_b32_e32 v7, 0xffff
	v_mov_b32_e32 v12, v9
	;; [unrolled: 1-line block ×3, first 2 shown]
	s_mov_b32 s13, exec_lo
	v_and_b32_sdwa v7, v7, v6 dst_sel:DWORD dst_unused:UNUSED_PAD src0_sel:DWORD src1_sel:BYTE_1
	v_mov_b32_e32 v20, v12
	v_and_b32_e32 v10, 0x7f, v7
	v_cmpx_ne_u32_e32 0x7f, v10
	s_cbranch_execz .LBB230_1578
; %bb.1575:                             ;   in Loop: Header=BB230_1564 Depth=1
	v_and_b32_e32 v8, 7, v7
	v_lshrrev_b32_e32 v7, 3, v10
	s_mov_b32 s15, exec_lo
	v_cmpx_gt_u32_e32 8, v10
; %bb.1576:                             ;   in Loop: Header=BB230_1564 Depth=1
	v_ffbh_u32_e32 v7, v8
	v_min_u32_e32 v7, 32, v7
	v_subrev_nc_u32_e32 v10, 28, v7
	v_sub_nc_u32_e32 v7, 29, v7
	v_lshlrev_b64 v[20:21], v10, v[8:9]
	v_and_b32_e32 v8, 7, v20
; %bb.1577:                             ;   in Loop: Header=BB230_1564 Depth=1
	s_or_b32 exec_lo, exec_lo, s15
	v_lshlrev_b32_e32 v10, 16, v6
	v_lshlrev_b32_e32 v8, 20, v8
	v_lshl_add_u32 v7, v7, 23, 0x3c000000
	v_mov_b32_e32 v20, v9
	v_and_b32_e32 v10, 0x80000000, v10
	v_or3_b32 v21, v8, v10, v7
.LBB230_1578:                           ;   in Loop: Header=BB230_1564 Depth=1
	s_or_b32 exec_lo, exec_lo, s13
.LBB230_1579:                           ;   in Loop: Header=BB230_1564 Depth=1
	s_or_b32 exec_lo, exec_lo, s7
.LBB230_1580:                           ;   in Loop: Header=BB230_1564 Depth=1
	s_or_b32 exec_lo, exec_lo, s4
	v_mov_b32_e32 v24, 0
	v_mov_b32_e32 v22, 0
	v_and_b32_sdwa v7, v6, v44 dst_sel:DWORD dst_unused:UNUSED_PAD src0_sel:WORD_1 src1_sel:DWORD
	v_mov_b32_e32 v25, 0
	v_mov_b32_e32 v23, 0
	s_mov_b32 s4, exec_lo
	v_cmpx_ne_u16_e32 0, v7
	s_cbranch_execz .LBB230_1588
; %bb.1581:                             ;   in Loop: Header=BB230_1564 Depth=1
	v_bfrev_b32_e32 v22, 1
	v_mov_b32_e32 v23, 0
	s_mov_b32 s7, exec_lo
	v_cmpx_ne_u16_e32 0x80, v7
	s_cbranch_execz .LBB230_1587
; %bb.1582:                             ;   in Loop: Header=BB230_1564 Depth=1
	v_mov_b32_e32 v22, 0x7f800001
	v_bfe_u32 v10, v6, 16, 7
	v_mov_b32_e32 v23, 0
	s_mov_b32 s13, exec_lo
	v_cmpx_ne_u32_e32 0x7f, v10
	s_cbranch_execz .LBB230_1586
; %bb.1583:                             ;   in Loop: Header=BB230_1564 Depth=1
	v_mov_b32_e32 v7, 7
	s_mov_b32 s15, exec_lo
	v_and_b32_sdwa v8, v6, v7 dst_sel:DWORD dst_unused:UNUSED_PAD src0_sel:WORD_1 src1_sel:DWORD
	v_lshrrev_b32_e32 v7, 3, v10
	v_cmpx_gt_u32_e32 8, v10
; %bb.1584:                             ;   in Loop: Header=BB230_1564 Depth=1
	v_ffbh_u32_e32 v7, v8
	v_min_u32_e32 v7, 32, v7
	v_subrev_nc_u32_e32 v10, 28, v7
	v_sub_nc_u32_e32 v7, 29, v7
	v_lshlrev_b64 v[22:23], v10, v[8:9]
	v_and_b32_e32 v8, 7, v22
; %bb.1585:                             ;   in Loop: Header=BB230_1564 Depth=1
	s_or_b32 exec_lo, exec_lo, s15
	v_mov_b32_e32 v10, 24
	v_lshlrev_b32_e32 v8, 20, v8
	v_lshl_add_u32 v7, v7, 23, 0x3c000000
	v_lshlrev_b32_sdwa v10, v10, v6 dst_sel:DWORD dst_unused:UNUSED_PAD src0_sel:DWORD src1_sel:WORD_1
	v_and_b32_e32 v10, 0x80000000, v10
	v_or3_b32 v8, v8, v10, v7
	v_mov_b32_e32 v23, v9
	v_mov_b32_e32 v22, v8
.LBB230_1586:                           ;   in Loop: Header=BB230_1564 Depth=1
	s_or_b32 exec_lo, exec_lo, s13
.LBB230_1587:                           ;   in Loop: Header=BB230_1564 Depth=1
	s_or_b32 exec_lo, exec_lo, s7
.LBB230_1588:                           ;   in Loop: Header=BB230_1564 Depth=1
	s_or_b32 exec_lo, exec_lo, s4
	s_mov_b32 s4, exec_lo
	v_cmpx_lt_u32_e32 0xffffff, v6
	s_cbranch_execz .LBB230_1596
; %bb.1589:                             ;   in Loop: Header=BB230_1564 Depth=1
	v_mov_b32_e32 v104, v9
	v_cmp_ne_u32_sdwa s13, v6, v42 src0_sel:BYTE_3 src1_sel:DWORD
	v_mov_b32_e32 v24, v104
	v_mov_b32_e32 v25, v105
	s_and_saveexec_b32 s7, s13
	s_cbranch_execz .LBB230_1595
; %bb.1590:                             ;   in Loop: Header=BB230_1564 Depth=1
	v_mov_b32_e32 v12, v9
	v_mov_b32_e32 v25, v13
	v_bfe_u32 v10, v6, 24, 7
	s_mov_b32 s13, exec_lo
	v_mov_b32_e32 v24, v12
	v_cmpx_ne_u32_e32 0x7f, v10
	s_cbranch_execz .LBB230_1594
; %bb.1591:                             ;   in Loop: Header=BB230_1564 Depth=1
	v_mov_b32_e32 v7, 7
	s_mov_b32 s15, exec_lo
	v_and_b32_sdwa v8, v6, v7 dst_sel:DWORD dst_unused:UNUSED_PAD src0_sel:BYTE_3 src1_sel:DWORD
	v_lshrrev_b32_e32 v7, 3, v10
	v_cmpx_gt_u32_e32 8, v10
; %bb.1592:                             ;   in Loop: Header=BB230_1564 Depth=1
	v_ffbh_u32_e32 v7, v8
	v_min_u32_e32 v7, 32, v7
	v_subrev_nc_u32_e32 v10, 28, v7
	v_sub_nc_u32_e32 v7, 29, v7
	v_lshlrev_b64 v[24:25], v10, v[8:9]
	v_and_b32_e32 v8, 7, v24
; %bb.1593:                             ;   in Loop: Header=BB230_1564 Depth=1
	s_or_b32 exec_lo, exec_lo, s15
	v_mov_b32_e32 v10, 24
	v_lshlrev_b32_e32 v8, 20, v8
	v_lshl_add_u32 v7, v7, 23, 0x3c000000
	v_mov_b32_e32 v24, v9
	v_lshlrev_b32_sdwa v6, v10, v6 dst_sel:DWORD dst_unused:UNUSED_PAD src0_sel:DWORD src1_sel:BYTE_3
	v_and_b32_e32 v6, 0x80000000, v6
	v_or3_b32 v25, v8, v6, v7
.LBB230_1594:                           ;   in Loop: Header=BB230_1564 Depth=1
	s_or_b32 exec_lo, exec_lo, s13
.LBB230_1595:                           ;   in Loop: Header=BB230_1564 Depth=1
	s_or_b32 exec_lo, exec_lo, s7
.LBB230_1596:                           ;   in Loop: Header=BB230_1564 Depth=1
	s_or_b32 exec_lo, exec_lo, s4
	buffer_load_dword v6, off, s[0:3], s32 offset:192 ; 4-byte Folded Reload
	v_or_b32_e32 v7, v21, v19
	v_or_b32_e32 v8, v20, v18
	v_or_b32_e32 v10, v24, v22
	v_or_b32_e32 v12, v25, v23
	v_add_nc_u32_e32 v93, -3, v57
	v_add_nc_u32_e32 v95, -2, v57
	v_add_nc_u32_e32 v94, -1, v57
	s_waitcnt vmcnt(0)
	v_add_nc_u32_e32 v6, -1, v6
	v_cmp_eq_u32_e32 vcc_lo, v6, v60
	v_mul_f32_e32 v6, v59, v7
	buffer_store_dword v6, off, s[0:3], s32 offset:220 ; 4-byte Folded Spill
	v_mul_f32_e32 v6, v41, v8
	buffer_store_dword v6, off, s[0:3], s32 offset:228 ; 4-byte Folded Spill
	v_mul_f32_e32 v6, v41, v10
	buffer_store_dword v6, off, s[0:3], s32 offset:212 ; 4-byte Folded Spill
	v_mul_f32_e32 v6, v59, v12
	buffer_store_dword v6, off, s[0:3], s32 offset:204 ; 4-byte Folded Spill
	s_and_saveexec_b32 s7, vcc_lo
	s_cbranch_execz .LBB230_1598
; %bb.1597:                             ;   in Loop: Header=BB230_1564 Depth=1
	buffer_load_dword v6, off, s[0:3], s32 offset:228 ; 4-byte Folded Reload
	v_cmp_lt_i32_e64 s4, v93, v73
	s_waitcnt vmcnt(0)
	v_cndmask_b32_e64 v6, 0, v6, s4
	v_cmp_lt_i32_e64 s4, v95, v73
	buffer_store_dword v6, off, s[0:3], s32 offset:228 ; 4-byte Folded Spill
	buffer_load_dword v6, off, s[0:3], s32 offset:220 ; 4-byte Folded Reload
	s_waitcnt vmcnt(0)
	v_cndmask_b32_e64 v6, 0, v6, s4
	v_cmp_lt_i32_e64 s4, v94, v73
	buffer_store_dword v6, off, s[0:3], s32 offset:220 ; 4-byte Folded Spill
	buffer_load_dword v6, off, s[0:3], s32 offset:212 ; 4-byte Folded Reload
	;; [unrolled: 5-line block ×3, first 2 shown]
	s_waitcnt vmcnt(0)
	v_cndmask_b32_e64 v6, 0, v6, s4
	buffer_store_dword v6, off, s[0:3], s32 offset:204 ; 4-byte Folded Spill
.LBB230_1598:                           ;   in Loop: Header=BB230_1564 Depth=1
	s_or_b32 exec_lo, exec_lo, s7
	flat_load_dword v6, v[0:1] offset:128
	v_mov_b32_e32 v20, 0
	v_mov_b32_e32 v18, 0
	;; [unrolled: 1-line block ×4, first 2 shown]
	s_waitcnt vmcnt(0) lgkmcnt(0)
	v_cmp_ne_u16_sdwa s4, v6, v9 src0_sel:BYTE_0 src1_sel:DWORD
	s_and_saveexec_b32 s7, s4
	s_cbranch_execz .LBB230_1606
; %bb.1599:                             ;   in Loop: Header=BB230_1564 Depth=1
	v_bfrev_b32_e32 v18, 1
	v_mov_b32_e32 v19, 0
	v_cmp_ne_u16_sdwa s4, v6, v42 src0_sel:BYTE_0 src1_sel:DWORD
	s_and_saveexec_b32 s13, s4
	s_cbranch_execz .LBB230_1605
; %bb.1600:                             ;   in Loop: Header=BB230_1564 Depth=1
	v_mov_b32_e32 v18, 0x7f800001
	v_and_b32_e32 v10, 0x7f, v6
	v_mov_b32_e32 v19, 0
	s_mov_b32 s15, exec_lo
	v_cmpx_ne_u32_e32 0x7f, v10
	s_cbranch_execz .LBB230_1604
; %bb.1601:                             ;   in Loop: Header=BB230_1564 Depth=1
	v_and_b32_e32 v8, 7, v6
	v_lshrrev_b32_e32 v7, 3, v10
	s_mov_b32 s18, exec_lo
	v_cmpx_gt_u32_e32 8, v10
; %bb.1602:                             ;   in Loop: Header=BB230_1564 Depth=1
	v_ffbh_u32_e32 v7, v8
	v_min_u32_e32 v7, 32, v7
	v_subrev_nc_u32_e32 v10, 28, v7
	v_sub_nc_u32_e32 v7, 29, v7
	v_lshlrev_b64 v[18:19], v10, v[8:9]
	v_and_b32_e32 v8, 7, v18
; %bb.1603:                             ;   in Loop: Header=BB230_1564 Depth=1
	s_or_b32 exec_lo, exec_lo, s18
	v_lshlrev_b32_e32 v10, 24, v6
	v_lshlrev_b32_e32 v8, 20, v8
	v_lshl_add_u32 v7, v7, 23, 0x3c000000
	v_and_b32_e32 v10, 0x80000000, v10
	v_or3_b32 v8, v8, v10, v7
	v_mov_b32_e32 v19, v9
	v_mov_b32_e32 v18, v8
.LBB230_1604:                           ;   in Loop: Header=BB230_1564 Depth=1
	s_or_b32 exec_lo, exec_lo, s15
.LBB230_1605:                           ;   in Loop: Header=BB230_1564 Depth=1
	s_or_b32 exec_lo, exec_lo, s13
.LBB230_1606:                           ;   in Loop: Header=BB230_1564 Depth=1
	s_or_b32 exec_lo, exec_lo, s7
	v_cmp_ne_u16_sdwa s4, v6, v9 src0_sel:BYTE_1 src1_sel:DWORD
	s_and_saveexec_b32 s7, s4
	s_cbranch_execz .LBB230_1614
; %bb.1607:                             ;   in Loop: Header=BB230_1564 Depth=1
	v_mov_b32_e32 v104, v9
	v_cmp_ne_u16_sdwa s4, v6, v42 src0_sel:BYTE_1 src1_sel:DWORD
	v_mov_b32_e32 v20, v104
	v_mov_b32_e32 v21, v105
	s_and_saveexec_b32 s13, s4
	s_cbranch_execz .LBB230_1613
; %bb.1608:                             ;   in Loop: Header=BB230_1564 Depth=1
	v_mov_b32_e32 v7, 0xffff
	v_mov_b32_e32 v12, v9
	;; [unrolled: 1-line block ×3, first 2 shown]
	s_mov_b32 s15, exec_lo
	v_and_b32_sdwa v7, v7, v6 dst_sel:DWORD dst_unused:UNUSED_PAD src0_sel:DWORD src1_sel:BYTE_1
	v_mov_b32_e32 v20, v12
	v_and_b32_e32 v10, 0x7f, v7
	v_cmpx_ne_u32_e32 0x7f, v10
	s_cbranch_execz .LBB230_1612
; %bb.1609:                             ;   in Loop: Header=BB230_1564 Depth=1
	v_and_b32_e32 v8, 7, v7
	v_lshrrev_b32_e32 v7, 3, v10
	s_mov_b32 s18, exec_lo
	v_cmpx_gt_u32_e32 8, v10
; %bb.1610:                             ;   in Loop: Header=BB230_1564 Depth=1
	v_ffbh_u32_e32 v7, v8
	v_min_u32_e32 v7, 32, v7
	v_subrev_nc_u32_e32 v10, 28, v7
	v_sub_nc_u32_e32 v7, 29, v7
	v_lshlrev_b64 v[20:21], v10, v[8:9]
	v_and_b32_e32 v8, 7, v20
; %bb.1611:                             ;   in Loop: Header=BB230_1564 Depth=1
	s_or_b32 exec_lo, exec_lo, s18
	v_lshlrev_b32_e32 v10, 16, v6
	v_lshlrev_b32_e32 v8, 20, v8
	v_lshl_add_u32 v7, v7, 23, 0x3c000000
	v_mov_b32_e32 v20, v9
	v_and_b32_e32 v10, 0x80000000, v10
	v_or3_b32 v21, v8, v10, v7
.LBB230_1612:                           ;   in Loop: Header=BB230_1564 Depth=1
	s_or_b32 exec_lo, exec_lo, s15
.LBB230_1613:                           ;   in Loop: Header=BB230_1564 Depth=1
	s_or_b32 exec_lo, exec_lo, s13
.LBB230_1614:                           ;   in Loop: Header=BB230_1564 Depth=1
	s_or_b32 exec_lo, exec_lo, s7
	v_mov_b32_e32 v24, 0
	v_mov_b32_e32 v22, 0
	v_and_b32_sdwa v7, v6, v44 dst_sel:DWORD dst_unused:UNUSED_PAD src0_sel:WORD_1 src1_sel:DWORD
	v_mov_b32_e32 v25, 0
	v_mov_b32_e32 v23, 0
	s_mov_b32 s7, exec_lo
	v_cmpx_ne_u16_e32 0, v7
	s_cbranch_execz .LBB230_1622
; %bb.1615:                             ;   in Loop: Header=BB230_1564 Depth=1
	v_bfrev_b32_e32 v22, 1
	v_mov_b32_e32 v23, 0
	s_mov_b32 s13, exec_lo
	v_cmpx_ne_u16_e32 0x80, v7
	s_cbranch_execz .LBB230_1621
; %bb.1616:                             ;   in Loop: Header=BB230_1564 Depth=1
	v_mov_b32_e32 v22, 0x7f800001
	v_bfe_u32 v10, v6, 16, 7
	v_mov_b32_e32 v23, 0
	s_mov_b32 s15, exec_lo
	v_cmpx_ne_u32_e32 0x7f, v10
	s_cbranch_execz .LBB230_1620
; %bb.1617:                             ;   in Loop: Header=BB230_1564 Depth=1
	v_mov_b32_e32 v7, 7
	s_mov_b32 s18, exec_lo
	v_and_b32_sdwa v8, v6, v7 dst_sel:DWORD dst_unused:UNUSED_PAD src0_sel:WORD_1 src1_sel:DWORD
	v_lshrrev_b32_e32 v7, 3, v10
	v_cmpx_gt_u32_e32 8, v10
; %bb.1618:                             ;   in Loop: Header=BB230_1564 Depth=1
	v_ffbh_u32_e32 v7, v8
	v_min_u32_e32 v7, 32, v7
	v_subrev_nc_u32_e32 v10, 28, v7
	v_sub_nc_u32_e32 v7, 29, v7
	v_lshlrev_b64 v[22:23], v10, v[8:9]
	v_and_b32_e32 v8, 7, v22
; %bb.1619:                             ;   in Loop: Header=BB230_1564 Depth=1
	s_or_b32 exec_lo, exec_lo, s18
	v_mov_b32_e32 v10, 24
	v_lshlrev_b32_e32 v8, 20, v8
	v_lshl_add_u32 v7, v7, 23, 0x3c000000
	v_lshlrev_b32_sdwa v10, v10, v6 dst_sel:DWORD dst_unused:UNUSED_PAD src0_sel:DWORD src1_sel:WORD_1
	v_and_b32_e32 v10, 0x80000000, v10
	v_or3_b32 v8, v8, v10, v7
	v_mov_b32_e32 v23, v9
	v_mov_b32_e32 v22, v8
.LBB230_1620:                           ;   in Loop: Header=BB230_1564 Depth=1
	s_or_b32 exec_lo, exec_lo, s15
.LBB230_1621:                           ;   in Loop: Header=BB230_1564 Depth=1
	s_or_b32 exec_lo, exec_lo, s13
.LBB230_1622:                           ;   in Loop: Header=BB230_1564 Depth=1
	s_or_b32 exec_lo, exec_lo, s7
	s_mov_b32 s7, exec_lo
	v_cmpx_lt_u32_e32 0xffffff, v6
	s_cbranch_execz .LBB230_1630
; %bb.1623:                             ;   in Loop: Header=BB230_1564 Depth=1
	v_mov_b32_e32 v104, v9
	v_cmp_ne_u32_sdwa s4, v6, v42 src0_sel:BYTE_3 src1_sel:DWORD
	v_mov_b32_e32 v24, v104
	v_mov_b32_e32 v25, v105
	s_and_saveexec_b32 s13, s4
	s_cbranch_execz .LBB230_1629
; %bb.1624:                             ;   in Loop: Header=BB230_1564 Depth=1
	v_mov_b32_e32 v12, v9
	v_mov_b32_e32 v25, v13
	v_bfe_u32 v10, v6, 24, 7
	s_mov_b32 s15, exec_lo
	v_mov_b32_e32 v24, v12
	v_cmpx_ne_u32_e32 0x7f, v10
	s_cbranch_execz .LBB230_1628
; %bb.1625:                             ;   in Loop: Header=BB230_1564 Depth=1
	v_mov_b32_e32 v7, 7
	s_mov_b32 s18, exec_lo
	v_and_b32_sdwa v8, v6, v7 dst_sel:DWORD dst_unused:UNUSED_PAD src0_sel:BYTE_3 src1_sel:DWORD
	v_lshrrev_b32_e32 v7, 3, v10
	v_cmpx_gt_u32_e32 8, v10
; %bb.1626:                             ;   in Loop: Header=BB230_1564 Depth=1
	v_ffbh_u32_e32 v7, v8
	v_min_u32_e32 v7, 32, v7
	v_subrev_nc_u32_e32 v10, 28, v7
	v_sub_nc_u32_e32 v7, 29, v7
	v_lshlrev_b64 v[24:25], v10, v[8:9]
	v_and_b32_e32 v8, 7, v24
; %bb.1627:                             ;   in Loop: Header=BB230_1564 Depth=1
	s_or_b32 exec_lo, exec_lo, s18
	v_mov_b32_e32 v10, 24
	v_lshlrev_b32_e32 v8, 20, v8
	v_lshl_add_u32 v7, v7, 23, 0x3c000000
	v_mov_b32_e32 v24, v9
	v_lshlrev_b32_sdwa v6, v10, v6 dst_sel:DWORD dst_unused:UNUSED_PAD src0_sel:DWORD src1_sel:BYTE_3
	v_and_b32_e32 v6, 0x80000000, v6
	v_or3_b32 v25, v8, v6, v7
.LBB230_1628:                           ;   in Loop: Header=BB230_1564 Depth=1
	s_or_b32 exec_lo, exec_lo, s15
.LBB230_1629:                           ;   in Loop: Header=BB230_1564 Depth=1
	s_or_b32 exec_lo, exec_lo, s13
.LBB230_1630:                           ;   in Loop: Header=BB230_1564 Depth=1
	s_or_b32 exec_lo, exec_lo, s7
	v_or_b32_e32 v6, v21, v19
	v_or_b32_e32 v7, v20, v18
	v_or_b32_e32 v8, v24, v22
	v_or_b32_e32 v10, v25, v23
	v_mul_f32_e32 v6, v59, v6
	buffer_store_dword v6, off, s[0:3], s32 offset:252 ; 4-byte Folded Spill
	v_mul_f32_e32 v6, v41, v7
	buffer_store_dword v6, off, s[0:3], s32 offset:260 ; 4-byte Folded Spill
	;; [unrolled: 2-line block ×4, first 2 shown]
	s_and_saveexec_b32 s7, vcc_lo
	s_cbranch_execz .LBB230_1632
; %bb.1631:                             ;   in Loop: Header=BB230_1564 Depth=1
	buffer_load_dword v6, off, s[0:3], s32 offset:260 ; 4-byte Folded Reload
	v_cmp_lt_i32_e64 s4, v93, v73
	s_waitcnt vmcnt(0)
	v_cndmask_b32_e64 v6, 0, v6, s4
	v_cmp_lt_i32_e64 s4, v95, v73
	buffer_store_dword v6, off, s[0:3], s32 offset:260 ; 4-byte Folded Spill
	buffer_load_dword v6, off, s[0:3], s32 offset:252 ; 4-byte Folded Reload
	s_waitcnt vmcnt(0)
	v_cndmask_b32_e64 v6, 0, v6, s4
	v_cmp_lt_i32_e64 s4, v94, v73
	buffer_store_dword v6, off, s[0:3], s32 offset:252 ; 4-byte Folded Spill
	buffer_load_dword v6, off, s[0:3], s32 offset:244 ; 4-byte Folded Reload
	;; [unrolled: 5-line block ×3, first 2 shown]
	s_waitcnt vmcnt(0)
	v_cndmask_b32_e64 v6, 0, v6, s4
	buffer_store_dword v6, off, s[0:3], s32 offset:236 ; 4-byte Folded Spill
.LBB230_1632:                           ;   in Loop: Header=BB230_1564 Depth=1
	s_or_b32 exec_lo, exec_lo, s7
	flat_load_dword v6, v[0:1] offset:256
	v_mov_b32_e32 v20, 0
	v_mov_b32_e32 v18, 0
	;; [unrolled: 1-line block ×4, first 2 shown]
	s_waitcnt vmcnt(0) lgkmcnt(0)
	v_cmp_ne_u16_sdwa s4, v6, v9 src0_sel:BYTE_0 src1_sel:DWORD
	s_and_saveexec_b32 s7, s4
	s_cbranch_execz .LBB230_1640
; %bb.1633:                             ;   in Loop: Header=BB230_1564 Depth=1
	v_bfrev_b32_e32 v18, 1
	v_mov_b32_e32 v19, 0
	v_cmp_ne_u16_sdwa s4, v6, v42 src0_sel:BYTE_0 src1_sel:DWORD
	s_and_saveexec_b32 s13, s4
	s_cbranch_execz .LBB230_1639
; %bb.1634:                             ;   in Loop: Header=BB230_1564 Depth=1
	v_mov_b32_e32 v18, 0x7f800001
	v_and_b32_e32 v10, 0x7f, v6
	v_mov_b32_e32 v19, 0
	s_mov_b32 s15, exec_lo
	v_cmpx_ne_u32_e32 0x7f, v10
	s_cbranch_execz .LBB230_1638
; %bb.1635:                             ;   in Loop: Header=BB230_1564 Depth=1
	v_and_b32_e32 v8, 7, v6
	v_lshrrev_b32_e32 v7, 3, v10
	s_mov_b32 s18, exec_lo
	v_cmpx_gt_u32_e32 8, v10
; %bb.1636:                             ;   in Loop: Header=BB230_1564 Depth=1
	v_ffbh_u32_e32 v7, v8
	v_min_u32_e32 v7, 32, v7
	v_subrev_nc_u32_e32 v10, 28, v7
	v_sub_nc_u32_e32 v7, 29, v7
	v_lshlrev_b64 v[18:19], v10, v[8:9]
	v_and_b32_e32 v8, 7, v18
; %bb.1637:                             ;   in Loop: Header=BB230_1564 Depth=1
	s_or_b32 exec_lo, exec_lo, s18
	v_lshlrev_b32_e32 v10, 24, v6
	v_lshlrev_b32_e32 v8, 20, v8
	v_lshl_add_u32 v7, v7, 23, 0x3c000000
	v_and_b32_e32 v10, 0x80000000, v10
	v_or3_b32 v8, v8, v10, v7
	v_mov_b32_e32 v19, v9
	v_mov_b32_e32 v18, v8
.LBB230_1638:                           ;   in Loop: Header=BB230_1564 Depth=1
	s_or_b32 exec_lo, exec_lo, s15
.LBB230_1639:                           ;   in Loop: Header=BB230_1564 Depth=1
	s_or_b32 exec_lo, exec_lo, s13
.LBB230_1640:                           ;   in Loop: Header=BB230_1564 Depth=1
	s_or_b32 exec_lo, exec_lo, s7
	v_cmp_ne_u16_sdwa s4, v6, v9 src0_sel:BYTE_1 src1_sel:DWORD
	s_and_saveexec_b32 s7, s4
	s_cbranch_execz .LBB230_1648
; %bb.1641:                             ;   in Loop: Header=BB230_1564 Depth=1
	v_mov_b32_e32 v104, v9
	v_cmp_ne_u16_sdwa s4, v6, v42 src0_sel:BYTE_1 src1_sel:DWORD
	v_mov_b32_e32 v20, v104
	v_mov_b32_e32 v21, v105
	s_and_saveexec_b32 s13, s4
	s_cbranch_execz .LBB230_1647
; %bb.1642:                             ;   in Loop: Header=BB230_1564 Depth=1
	v_mov_b32_e32 v7, 0xffff
	v_mov_b32_e32 v12, v9
	;; [unrolled: 1-line block ×3, first 2 shown]
	s_mov_b32 s15, exec_lo
	v_and_b32_sdwa v7, v7, v6 dst_sel:DWORD dst_unused:UNUSED_PAD src0_sel:DWORD src1_sel:BYTE_1
	v_mov_b32_e32 v20, v12
	v_and_b32_e32 v10, 0x7f, v7
	v_cmpx_ne_u32_e32 0x7f, v10
	s_cbranch_execz .LBB230_1646
; %bb.1643:                             ;   in Loop: Header=BB230_1564 Depth=1
	v_and_b32_e32 v8, 7, v7
	v_lshrrev_b32_e32 v7, 3, v10
	s_mov_b32 s18, exec_lo
	v_cmpx_gt_u32_e32 8, v10
; %bb.1644:                             ;   in Loop: Header=BB230_1564 Depth=1
	v_ffbh_u32_e32 v7, v8
	v_min_u32_e32 v7, 32, v7
	v_subrev_nc_u32_e32 v10, 28, v7
	v_sub_nc_u32_e32 v7, 29, v7
	v_lshlrev_b64 v[20:21], v10, v[8:9]
	v_and_b32_e32 v8, 7, v20
; %bb.1645:                             ;   in Loop: Header=BB230_1564 Depth=1
	s_or_b32 exec_lo, exec_lo, s18
	v_lshlrev_b32_e32 v10, 16, v6
	v_lshlrev_b32_e32 v8, 20, v8
	v_lshl_add_u32 v7, v7, 23, 0x3c000000
	v_mov_b32_e32 v20, v9
	v_and_b32_e32 v10, 0x80000000, v10
	v_or3_b32 v21, v8, v10, v7
.LBB230_1646:                           ;   in Loop: Header=BB230_1564 Depth=1
	s_or_b32 exec_lo, exec_lo, s15
.LBB230_1647:                           ;   in Loop: Header=BB230_1564 Depth=1
	s_or_b32 exec_lo, exec_lo, s13
.LBB230_1648:                           ;   in Loop: Header=BB230_1564 Depth=1
	s_or_b32 exec_lo, exec_lo, s7
	v_mov_b32_e32 v24, 0
	v_mov_b32_e32 v22, 0
	v_and_b32_sdwa v7, v6, v44 dst_sel:DWORD dst_unused:UNUSED_PAD src0_sel:WORD_1 src1_sel:DWORD
	v_mov_b32_e32 v25, 0
	v_mov_b32_e32 v23, 0
	s_mov_b32 s7, exec_lo
	v_cmpx_ne_u16_e32 0, v7
	s_cbranch_execz .LBB230_1656
; %bb.1649:                             ;   in Loop: Header=BB230_1564 Depth=1
	v_bfrev_b32_e32 v22, 1
	v_mov_b32_e32 v23, 0
	s_mov_b32 s13, exec_lo
	v_cmpx_ne_u16_e32 0x80, v7
	s_cbranch_execz .LBB230_1655
; %bb.1650:                             ;   in Loop: Header=BB230_1564 Depth=1
	v_mov_b32_e32 v22, 0x7f800001
	v_bfe_u32 v10, v6, 16, 7
	v_mov_b32_e32 v23, 0
	s_mov_b32 s15, exec_lo
	v_cmpx_ne_u32_e32 0x7f, v10
	s_cbranch_execz .LBB230_1654
; %bb.1651:                             ;   in Loop: Header=BB230_1564 Depth=1
	v_mov_b32_e32 v7, 7
	s_mov_b32 s18, exec_lo
	v_and_b32_sdwa v8, v6, v7 dst_sel:DWORD dst_unused:UNUSED_PAD src0_sel:WORD_1 src1_sel:DWORD
	v_lshrrev_b32_e32 v7, 3, v10
	v_cmpx_gt_u32_e32 8, v10
; %bb.1652:                             ;   in Loop: Header=BB230_1564 Depth=1
	v_ffbh_u32_e32 v7, v8
	v_min_u32_e32 v7, 32, v7
	v_subrev_nc_u32_e32 v10, 28, v7
	v_sub_nc_u32_e32 v7, 29, v7
	v_lshlrev_b64 v[22:23], v10, v[8:9]
	v_and_b32_e32 v8, 7, v22
; %bb.1653:                             ;   in Loop: Header=BB230_1564 Depth=1
	s_or_b32 exec_lo, exec_lo, s18
	v_mov_b32_e32 v10, 24
	v_lshlrev_b32_e32 v8, 20, v8
	v_lshl_add_u32 v7, v7, 23, 0x3c000000
	v_lshlrev_b32_sdwa v10, v10, v6 dst_sel:DWORD dst_unused:UNUSED_PAD src0_sel:DWORD src1_sel:WORD_1
	v_and_b32_e32 v10, 0x80000000, v10
	v_or3_b32 v8, v8, v10, v7
	v_mov_b32_e32 v23, v9
	v_mov_b32_e32 v22, v8
.LBB230_1654:                           ;   in Loop: Header=BB230_1564 Depth=1
	s_or_b32 exec_lo, exec_lo, s15
.LBB230_1655:                           ;   in Loop: Header=BB230_1564 Depth=1
	s_or_b32 exec_lo, exec_lo, s13
.LBB230_1656:                           ;   in Loop: Header=BB230_1564 Depth=1
	s_or_b32 exec_lo, exec_lo, s7
	s_mov_b32 s7, exec_lo
	v_cmpx_lt_u32_e32 0xffffff, v6
	s_cbranch_execz .LBB230_1664
; %bb.1657:                             ;   in Loop: Header=BB230_1564 Depth=1
	v_mov_b32_e32 v104, v9
	v_cmp_ne_u32_sdwa s4, v6, v42 src0_sel:BYTE_3 src1_sel:DWORD
	v_mov_b32_e32 v24, v104
	v_mov_b32_e32 v25, v105
	s_and_saveexec_b32 s13, s4
	s_cbranch_execz .LBB230_1663
; %bb.1658:                             ;   in Loop: Header=BB230_1564 Depth=1
	v_mov_b32_e32 v12, v9
	v_mov_b32_e32 v25, v13
	v_bfe_u32 v10, v6, 24, 7
	s_mov_b32 s15, exec_lo
	v_mov_b32_e32 v24, v12
	v_cmpx_ne_u32_e32 0x7f, v10
	s_cbranch_execz .LBB230_1662
; %bb.1659:                             ;   in Loop: Header=BB230_1564 Depth=1
	v_mov_b32_e32 v7, 7
	s_mov_b32 s18, exec_lo
	v_and_b32_sdwa v8, v6, v7 dst_sel:DWORD dst_unused:UNUSED_PAD src0_sel:BYTE_3 src1_sel:DWORD
	v_lshrrev_b32_e32 v7, 3, v10
	v_cmpx_gt_u32_e32 8, v10
; %bb.1660:                             ;   in Loop: Header=BB230_1564 Depth=1
	v_ffbh_u32_e32 v7, v8
	v_min_u32_e32 v7, 32, v7
	v_subrev_nc_u32_e32 v10, 28, v7
	v_sub_nc_u32_e32 v7, 29, v7
	v_lshlrev_b64 v[24:25], v10, v[8:9]
	v_and_b32_e32 v8, 7, v24
; %bb.1661:                             ;   in Loop: Header=BB230_1564 Depth=1
	s_or_b32 exec_lo, exec_lo, s18
	v_mov_b32_e32 v10, 24
	v_lshlrev_b32_e32 v8, 20, v8
	v_lshl_add_u32 v7, v7, 23, 0x3c000000
	v_mov_b32_e32 v24, v9
	v_lshlrev_b32_sdwa v6, v10, v6 dst_sel:DWORD dst_unused:UNUSED_PAD src0_sel:DWORD src1_sel:BYTE_3
	v_and_b32_e32 v6, 0x80000000, v6
	v_or3_b32 v25, v8, v6, v7
.LBB230_1662:                           ;   in Loop: Header=BB230_1564 Depth=1
	s_or_b32 exec_lo, exec_lo, s15
.LBB230_1663:                           ;   in Loop: Header=BB230_1564 Depth=1
	s_or_b32 exec_lo, exec_lo, s13
.LBB230_1664:                           ;   in Loop: Header=BB230_1564 Depth=1
	s_or_b32 exec_lo, exec_lo, s7
	v_or_b32_e32 v6, v21, v19
	v_or_b32_e32 v7, v20, v18
	;; [unrolled: 1-line block ×4, first 2 shown]
	v_mul_f32_e32 v6, v59, v6
	buffer_store_dword v6, off, s[0:3], s32 offset:284 ; 4-byte Folded Spill
	v_mul_f32_e32 v6, v41, v7
	buffer_store_dword v6, off, s[0:3], s32 offset:292 ; 4-byte Folded Spill
	;; [unrolled: 2-line block ×4, first 2 shown]
	s_and_saveexec_b32 s7, vcc_lo
	s_cbranch_execz .LBB230_1666
; %bb.1665:                             ;   in Loop: Header=BB230_1564 Depth=1
	buffer_load_dword v6, off, s[0:3], s32 offset:292 ; 4-byte Folded Reload
	v_cmp_lt_i32_e64 s4, v93, v73
	s_waitcnt vmcnt(0)
	v_cndmask_b32_e64 v6, 0, v6, s4
	v_cmp_lt_i32_e64 s4, v95, v73
	buffer_store_dword v6, off, s[0:3], s32 offset:292 ; 4-byte Folded Spill
	buffer_load_dword v6, off, s[0:3], s32 offset:284 ; 4-byte Folded Reload
	s_waitcnt vmcnt(0)
	v_cndmask_b32_e64 v6, 0, v6, s4
	v_cmp_lt_i32_e64 s4, v94, v73
	buffer_store_dword v6, off, s[0:3], s32 offset:284 ; 4-byte Folded Spill
	buffer_load_dword v6, off, s[0:3], s32 offset:276 ; 4-byte Folded Reload
	;; [unrolled: 5-line block ×3, first 2 shown]
	s_waitcnt vmcnt(0)
	v_cndmask_b32_e64 v6, 0, v6, s4
	buffer_store_dword v6, off, s[0:3], s32 offset:268 ; 4-byte Folded Spill
.LBB230_1666:                           ;   in Loop: Header=BB230_1564 Depth=1
	s_or_b32 exec_lo, exec_lo, s7
	flat_load_dword v6, v[0:1] offset:384
	v_mov_b32_e32 v20, 0
	v_mov_b32_e32 v18, 0
	;; [unrolled: 1-line block ×4, first 2 shown]
	s_waitcnt vmcnt(0) lgkmcnt(0)
	v_cmp_ne_u16_sdwa s4, v6, v9 src0_sel:BYTE_0 src1_sel:DWORD
	s_and_saveexec_b32 s7, s4
	s_cbranch_execz .LBB230_1674
; %bb.1667:                             ;   in Loop: Header=BB230_1564 Depth=1
	v_bfrev_b32_e32 v18, 1
	v_mov_b32_e32 v19, 0
	v_cmp_ne_u16_sdwa s4, v6, v42 src0_sel:BYTE_0 src1_sel:DWORD
	s_and_saveexec_b32 s13, s4
	s_cbranch_execz .LBB230_1673
; %bb.1668:                             ;   in Loop: Header=BB230_1564 Depth=1
	v_mov_b32_e32 v18, 0x7f800001
	v_and_b32_e32 v10, 0x7f, v6
	v_mov_b32_e32 v19, 0
	s_mov_b32 s15, exec_lo
	v_cmpx_ne_u32_e32 0x7f, v10
	s_cbranch_execz .LBB230_1672
; %bb.1669:                             ;   in Loop: Header=BB230_1564 Depth=1
	v_and_b32_e32 v8, 7, v6
	v_lshrrev_b32_e32 v7, 3, v10
	s_mov_b32 s18, exec_lo
	v_cmpx_gt_u32_e32 8, v10
; %bb.1670:                             ;   in Loop: Header=BB230_1564 Depth=1
	v_ffbh_u32_e32 v7, v8
	v_min_u32_e32 v7, 32, v7
	v_subrev_nc_u32_e32 v10, 28, v7
	v_sub_nc_u32_e32 v7, 29, v7
	v_lshlrev_b64 v[18:19], v10, v[8:9]
	v_and_b32_e32 v8, 7, v18
; %bb.1671:                             ;   in Loop: Header=BB230_1564 Depth=1
	s_or_b32 exec_lo, exec_lo, s18
	v_lshlrev_b32_e32 v10, 24, v6
	v_lshlrev_b32_e32 v8, 20, v8
	v_lshl_add_u32 v7, v7, 23, 0x3c000000
	v_and_b32_e32 v10, 0x80000000, v10
	v_or3_b32 v8, v8, v10, v7
	v_mov_b32_e32 v19, v9
	v_mov_b32_e32 v18, v8
.LBB230_1672:                           ;   in Loop: Header=BB230_1564 Depth=1
	s_or_b32 exec_lo, exec_lo, s15
.LBB230_1673:                           ;   in Loop: Header=BB230_1564 Depth=1
	s_or_b32 exec_lo, exec_lo, s13
.LBB230_1674:                           ;   in Loop: Header=BB230_1564 Depth=1
	s_or_b32 exec_lo, exec_lo, s7
	v_cmp_ne_u16_sdwa s4, v6, v9 src0_sel:BYTE_1 src1_sel:DWORD
	s_and_saveexec_b32 s7, s4
	s_cbranch_execz .LBB230_1682
; %bb.1675:                             ;   in Loop: Header=BB230_1564 Depth=1
	v_mov_b32_e32 v104, v9
	v_cmp_ne_u16_sdwa s4, v6, v42 src0_sel:BYTE_1 src1_sel:DWORD
	v_mov_b32_e32 v20, v104
	v_mov_b32_e32 v21, v105
	s_and_saveexec_b32 s13, s4
	s_cbranch_execz .LBB230_1681
; %bb.1676:                             ;   in Loop: Header=BB230_1564 Depth=1
	v_mov_b32_e32 v7, 0xffff
	v_mov_b32_e32 v12, v9
	;; [unrolled: 1-line block ×3, first 2 shown]
	s_mov_b32 s15, exec_lo
	v_and_b32_sdwa v7, v7, v6 dst_sel:DWORD dst_unused:UNUSED_PAD src0_sel:DWORD src1_sel:BYTE_1
	v_mov_b32_e32 v20, v12
	v_and_b32_e32 v10, 0x7f, v7
	v_cmpx_ne_u32_e32 0x7f, v10
	s_cbranch_execz .LBB230_1680
; %bb.1677:                             ;   in Loop: Header=BB230_1564 Depth=1
	v_and_b32_e32 v8, 7, v7
	v_lshrrev_b32_e32 v7, 3, v10
	s_mov_b32 s18, exec_lo
	v_cmpx_gt_u32_e32 8, v10
; %bb.1678:                             ;   in Loop: Header=BB230_1564 Depth=1
	v_ffbh_u32_e32 v7, v8
	v_min_u32_e32 v7, 32, v7
	v_subrev_nc_u32_e32 v10, 28, v7
	v_sub_nc_u32_e32 v7, 29, v7
	v_lshlrev_b64 v[20:21], v10, v[8:9]
	v_and_b32_e32 v8, 7, v20
; %bb.1679:                             ;   in Loop: Header=BB230_1564 Depth=1
	s_or_b32 exec_lo, exec_lo, s18
	v_lshlrev_b32_e32 v10, 16, v6
	v_lshlrev_b32_e32 v8, 20, v8
	v_lshl_add_u32 v7, v7, 23, 0x3c000000
	v_mov_b32_e32 v20, v9
	v_and_b32_e32 v10, 0x80000000, v10
	v_or3_b32 v21, v8, v10, v7
.LBB230_1680:                           ;   in Loop: Header=BB230_1564 Depth=1
	s_or_b32 exec_lo, exec_lo, s15
.LBB230_1681:                           ;   in Loop: Header=BB230_1564 Depth=1
	s_or_b32 exec_lo, exec_lo, s13
.LBB230_1682:                           ;   in Loop: Header=BB230_1564 Depth=1
	s_or_b32 exec_lo, exec_lo, s7
	v_mov_b32_e32 v24, 0
	v_mov_b32_e32 v22, 0
	v_and_b32_sdwa v7, v6, v44 dst_sel:DWORD dst_unused:UNUSED_PAD src0_sel:WORD_1 src1_sel:DWORD
	v_mov_b32_e32 v25, 0
	v_mov_b32_e32 v23, 0
	s_mov_b32 s7, exec_lo
	v_cmpx_ne_u16_e32 0, v7
	s_cbranch_execz .LBB230_1690
; %bb.1683:                             ;   in Loop: Header=BB230_1564 Depth=1
	v_bfrev_b32_e32 v22, 1
	v_mov_b32_e32 v23, 0
	s_mov_b32 s13, exec_lo
	v_cmpx_ne_u16_e32 0x80, v7
	s_cbranch_execz .LBB230_1689
; %bb.1684:                             ;   in Loop: Header=BB230_1564 Depth=1
	v_mov_b32_e32 v22, 0x7f800001
	v_bfe_u32 v10, v6, 16, 7
	v_mov_b32_e32 v23, 0
	s_mov_b32 s15, exec_lo
	v_cmpx_ne_u32_e32 0x7f, v10
	s_cbranch_execz .LBB230_1688
; %bb.1685:                             ;   in Loop: Header=BB230_1564 Depth=1
	v_mov_b32_e32 v7, 7
	s_mov_b32 s18, exec_lo
	v_and_b32_sdwa v8, v6, v7 dst_sel:DWORD dst_unused:UNUSED_PAD src0_sel:WORD_1 src1_sel:DWORD
	v_lshrrev_b32_e32 v7, 3, v10
	v_cmpx_gt_u32_e32 8, v10
; %bb.1686:                             ;   in Loop: Header=BB230_1564 Depth=1
	v_ffbh_u32_e32 v7, v8
	v_min_u32_e32 v7, 32, v7
	v_subrev_nc_u32_e32 v10, 28, v7
	v_sub_nc_u32_e32 v7, 29, v7
	v_lshlrev_b64 v[22:23], v10, v[8:9]
	v_and_b32_e32 v8, 7, v22
; %bb.1687:                             ;   in Loop: Header=BB230_1564 Depth=1
	s_or_b32 exec_lo, exec_lo, s18
	v_mov_b32_e32 v10, 24
	v_lshlrev_b32_e32 v8, 20, v8
	v_lshl_add_u32 v7, v7, 23, 0x3c000000
	v_lshlrev_b32_sdwa v10, v10, v6 dst_sel:DWORD dst_unused:UNUSED_PAD src0_sel:DWORD src1_sel:WORD_1
	v_and_b32_e32 v10, 0x80000000, v10
	v_or3_b32 v8, v8, v10, v7
	v_mov_b32_e32 v23, v9
	v_mov_b32_e32 v22, v8
.LBB230_1688:                           ;   in Loop: Header=BB230_1564 Depth=1
	s_or_b32 exec_lo, exec_lo, s15
.LBB230_1689:                           ;   in Loop: Header=BB230_1564 Depth=1
	s_or_b32 exec_lo, exec_lo, s13
.LBB230_1690:                           ;   in Loop: Header=BB230_1564 Depth=1
	s_or_b32 exec_lo, exec_lo, s7
	s_mov_b32 s7, exec_lo
	v_cmpx_lt_u32_e32 0xffffff, v6
	s_cbranch_execz .LBB230_1698
; %bb.1691:                             ;   in Loop: Header=BB230_1564 Depth=1
	v_mov_b32_e32 v104, v9
	v_cmp_ne_u32_sdwa s4, v6, v42 src0_sel:BYTE_3 src1_sel:DWORD
	v_mov_b32_e32 v24, v104
	v_mov_b32_e32 v25, v105
	s_and_saveexec_b32 s13, s4
	s_cbranch_execz .LBB230_1697
; %bb.1692:                             ;   in Loop: Header=BB230_1564 Depth=1
	v_mov_b32_e32 v12, v9
	v_mov_b32_e32 v25, v13
	v_bfe_u32 v10, v6, 24, 7
	s_mov_b32 s15, exec_lo
	v_mov_b32_e32 v24, v12
	v_cmpx_ne_u32_e32 0x7f, v10
	s_cbranch_execz .LBB230_1696
; %bb.1693:                             ;   in Loop: Header=BB230_1564 Depth=1
	v_mov_b32_e32 v7, 7
	s_mov_b32 s18, exec_lo
	v_and_b32_sdwa v8, v6, v7 dst_sel:DWORD dst_unused:UNUSED_PAD src0_sel:BYTE_3 src1_sel:DWORD
	v_lshrrev_b32_e32 v7, 3, v10
	v_cmpx_gt_u32_e32 8, v10
; %bb.1694:                             ;   in Loop: Header=BB230_1564 Depth=1
	v_ffbh_u32_e32 v7, v8
	v_min_u32_e32 v7, 32, v7
	v_subrev_nc_u32_e32 v10, 28, v7
	v_sub_nc_u32_e32 v7, 29, v7
	v_lshlrev_b64 v[24:25], v10, v[8:9]
	v_and_b32_e32 v8, 7, v24
; %bb.1695:                             ;   in Loop: Header=BB230_1564 Depth=1
	s_or_b32 exec_lo, exec_lo, s18
	v_mov_b32_e32 v10, 24
	v_lshlrev_b32_e32 v8, 20, v8
	v_lshl_add_u32 v7, v7, 23, 0x3c000000
	v_mov_b32_e32 v24, v9
	v_lshlrev_b32_sdwa v6, v10, v6 dst_sel:DWORD dst_unused:UNUSED_PAD src0_sel:DWORD src1_sel:BYTE_3
	v_and_b32_e32 v6, 0x80000000, v6
	v_or3_b32 v25, v8, v6, v7
.LBB230_1696:                           ;   in Loop: Header=BB230_1564 Depth=1
	s_or_b32 exec_lo, exec_lo, s15
.LBB230_1697:                           ;   in Loop: Header=BB230_1564 Depth=1
	s_or_b32 exec_lo, exec_lo, s13
.LBB230_1698:                           ;   in Loop: Header=BB230_1564 Depth=1
	s_or_b32 exec_lo, exec_lo, s7
	v_or_b32_e32 v6, v21, v19
	v_or_b32_e32 v7, v20, v18
	;; [unrolled: 1-line block ×4, first 2 shown]
	v_mul_f32_e32 v6, v59, v6
	buffer_store_dword v6, off, s[0:3], s32 offset:324 ; 4-byte Folded Spill
	v_mul_f32_e32 v6, v41, v7
	buffer_store_dword v6, off, s[0:3], s32 offset:316 ; 4-byte Folded Spill
	;; [unrolled: 2-line block ×4, first 2 shown]
	s_and_saveexec_b32 s7, vcc_lo
	s_cbranch_execz .LBB230_1700
; %bb.1699:                             ;   in Loop: Header=BB230_1564 Depth=1
	buffer_load_dword v6, off, s[0:3], s32 offset:316 ; 4-byte Folded Reload
	v_cmp_lt_i32_e64 s4, v93, v73
	s_waitcnt vmcnt(0)
	v_cndmask_b32_e64 v6, 0, v6, s4
	v_cmp_lt_i32_e64 s4, v95, v73
	buffer_store_dword v6, off, s[0:3], s32 offset:316 ; 4-byte Folded Spill
	buffer_load_dword v6, off, s[0:3], s32 offset:324 ; 4-byte Folded Reload
	s_waitcnt vmcnt(0)
	v_cndmask_b32_e64 v6, 0, v6, s4
	v_cmp_lt_i32_e64 s4, v94, v73
	buffer_store_dword v6, off, s[0:3], s32 offset:324 ; 4-byte Folded Spill
	buffer_load_dword v6, off, s[0:3], s32 offset:308 ; 4-byte Folded Reload
	;; [unrolled: 5-line block ×3, first 2 shown]
	s_waitcnt vmcnt(0)
	v_cndmask_b32_e64 v6, 0, v6, s4
	buffer_store_dword v6, off, s[0:3], s32 offset:300 ; 4-byte Folded Spill
.LBB230_1700:                           ;   in Loop: Header=BB230_1564 Depth=1
	s_or_b32 exec_lo, exec_lo, s7
	flat_load_dword v6, v[0:1] offset:512
	v_mov_b32_e32 v20, 0
	v_mov_b32_e32 v18, 0
	;; [unrolled: 1-line block ×4, first 2 shown]
	s_waitcnt vmcnt(0) lgkmcnt(0)
	v_cmp_ne_u16_sdwa s4, v6, v9 src0_sel:BYTE_0 src1_sel:DWORD
	s_and_saveexec_b32 s7, s4
	s_cbranch_execz .LBB230_1708
; %bb.1701:                             ;   in Loop: Header=BB230_1564 Depth=1
	v_bfrev_b32_e32 v18, 1
	v_mov_b32_e32 v19, 0
	v_cmp_ne_u16_sdwa s4, v6, v42 src0_sel:BYTE_0 src1_sel:DWORD
	s_and_saveexec_b32 s13, s4
	s_cbranch_execz .LBB230_1707
; %bb.1702:                             ;   in Loop: Header=BB230_1564 Depth=1
	v_mov_b32_e32 v18, 0x7f800001
	v_and_b32_e32 v10, 0x7f, v6
	v_mov_b32_e32 v19, 0
	s_mov_b32 s15, exec_lo
	v_cmpx_ne_u32_e32 0x7f, v10
	s_cbranch_execz .LBB230_1706
; %bb.1703:                             ;   in Loop: Header=BB230_1564 Depth=1
	v_and_b32_e32 v8, 7, v6
	v_lshrrev_b32_e32 v7, 3, v10
	s_mov_b32 s18, exec_lo
	v_cmpx_gt_u32_e32 8, v10
; %bb.1704:                             ;   in Loop: Header=BB230_1564 Depth=1
	v_ffbh_u32_e32 v7, v8
	v_min_u32_e32 v7, 32, v7
	v_subrev_nc_u32_e32 v10, 28, v7
	v_sub_nc_u32_e32 v7, 29, v7
	v_lshlrev_b64 v[18:19], v10, v[8:9]
	v_and_b32_e32 v8, 7, v18
; %bb.1705:                             ;   in Loop: Header=BB230_1564 Depth=1
	s_or_b32 exec_lo, exec_lo, s18
	v_lshlrev_b32_e32 v10, 24, v6
	v_lshlrev_b32_e32 v8, 20, v8
	v_lshl_add_u32 v7, v7, 23, 0x3c000000
	v_and_b32_e32 v10, 0x80000000, v10
	v_or3_b32 v8, v8, v10, v7
	v_mov_b32_e32 v19, v9
	v_mov_b32_e32 v18, v8
.LBB230_1706:                           ;   in Loop: Header=BB230_1564 Depth=1
	s_or_b32 exec_lo, exec_lo, s15
.LBB230_1707:                           ;   in Loop: Header=BB230_1564 Depth=1
	s_or_b32 exec_lo, exec_lo, s13
.LBB230_1708:                           ;   in Loop: Header=BB230_1564 Depth=1
	s_or_b32 exec_lo, exec_lo, s7
	v_cmp_ne_u16_sdwa s4, v6, v9 src0_sel:BYTE_1 src1_sel:DWORD
	s_and_saveexec_b32 s7, s4
	s_cbranch_execz .LBB230_1716
; %bb.1709:                             ;   in Loop: Header=BB230_1564 Depth=1
	v_mov_b32_e32 v104, v9
	v_cmp_ne_u16_sdwa s4, v6, v42 src0_sel:BYTE_1 src1_sel:DWORD
	v_mov_b32_e32 v20, v104
	v_mov_b32_e32 v21, v105
	s_and_saveexec_b32 s13, s4
	s_cbranch_execz .LBB230_1715
; %bb.1710:                             ;   in Loop: Header=BB230_1564 Depth=1
	v_mov_b32_e32 v7, 0xffff
	v_mov_b32_e32 v12, v9
	;; [unrolled: 1-line block ×3, first 2 shown]
	s_mov_b32 s15, exec_lo
	v_and_b32_sdwa v7, v7, v6 dst_sel:DWORD dst_unused:UNUSED_PAD src0_sel:DWORD src1_sel:BYTE_1
	v_mov_b32_e32 v20, v12
	v_and_b32_e32 v10, 0x7f, v7
	v_cmpx_ne_u32_e32 0x7f, v10
	s_cbranch_execz .LBB230_1714
; %bb.1711:                             ;   in Loop: Header=BB230_1564 Depth=1
	v_and_b32_e32 v8, 7, v7
	v_lshrrev_b32_e32 v7, 3, v10
	s_mov_b32 s18, exec_lo
	v_cmpx_gt_u32_e32 8, v10
; %bb.1712:                             ;   in Loop: Header=BB230_1564 Depth=1
	v_ffbh_u32_e32 v7, v8
	v_min_u32_e32 v7, 32, v7
	v_subrev_nc_u32_e32 v10, 28, v7
	v_sub_nc_u32_e32 v7, 29, v7
	v_lshlrev_b64 v[20:21], v10, v[8:9]
	v_and_b32_e32 v8, 7, v20
; %bb.1713:                             ;   in Loop: Header=BB230_1564 Depth=1
	s_or_b32 exec_lo, exec_lo, s18
	v_lshlrev_b32_e32 v10, 16, v6
	v_lshlrev_b32_e32 v8, 20, v8
	v_lshl_add_u32 v7, v7, 23, 0x3c000000
	v_mov_b32_e32 v20, v9
	v_and_b32_e32 v10, 0x80000000, v10
	v_or3_b32 v21, v8, v10, v7
.LBB230_1714:                           ;   in Loop: Header=BB230_1564 Depth=1
	s_or_b32 exec_lo, exec_lo, s15
.LBB230_1715:                           ;   in Loop: Header=BB230_1564 Depth=1
	s_or_b32 exec_lo, exec_lo, s13
.LBB230_1716:                           ;   in Loop: Header=BB230_1564 Depth=1
	s_or_b32 exec_lo, exec_lo, s7
	v_mov_b32_e32 v24, 0
	v_mov_b32_e32 v22, 0
	v_and_b32_sdwa v7, v6, v44 dst_sel:DWORD dst_unused:UNUSED_PAD src0_sel:WORD_1 src1_sel:DWORD
	v_mov_b32_e32 v25, 0
	v_mov_b32_e32 v23, 0
	s_mov_b32 s7, exec_lo
	v_cmpx_ne_u16_e32 0, v7
	s_cbranch_execz .LBB230_1724
; %bb.1717:                             ;   in Loop: Header=BB230_1564 Depth=1
	v_bfrev_b32_e32 v22, 1
	v_mov_b32_e32 v23, 0
	s_mov_b32 s13, exec_lo
	v_cmpx_ne_u16_e32 0x80, v7
	s_cbranch_execz .LBB230_1723
; %bb.1718:                             ;   in Loop: Header=BB230_1564 Depth=1
	v_mov_b32_e32 v22, 0x7f800001
	v_bfe_u32 v10, v6, 16, 7
	v_mov_b32_e32 v23, 0
	s_mov_b32 s15, exec_lo
	v_cmpx_ne_u32_e32 0x7f, v10
	s_cbranch_execz .LBB230_1722
; %bb.1719:                             ;   in Loop: Header=BB230_1564 Depth=1
	v_mov_b32_e32 v7, 7
	s_mov_b32 s18, exec_lo
	v_and_b32_sdwa v8, v6, v7 dst_sel:DWORD dst_unused:UNUSED_PAD src0_sel:WORD_1 src1_sel:DWORD
	v_lshrrev_b32_e32 v7, 3, v10
	v_cmpx_gt_u32_e32 8, v10
; %bb.1720:                             ;   in Loop: Header=BB230_1564 Depth=1
	v_ffbh_u32_e32 v7, v8
	v_min_u32_e32 v7, 32, v7
	v_subrev_nc_u32_e32 v10, 28, v7
	v_sub_nc_u32_e32 v7, 29, v7
	v_lshlrev_b64 v[22:23], v10, v[8:9]
	v_and_b32_e32 v8, 7, v22
; %bb.1721:                             ;   in Loop: Header=BB230_1564 Depth=1
	s_or_b32 exec_lo, exec_lo, s18
	v_mov_b32_e32 v10, 24
	v_lshlrev_b32_e32 v8, 20, v8
	v_lshl_add_u32 v7, v7, 23, 0x3c000000
	v_lshlrev_b32_sdwa v10, v10, v6 dst_sel:DWORD dst_unused:UNUSED_PAD src0_sel:DWORD src1_sel:WORD_1
	v_and_b32_e32 v10, 0x80000000, v10
	v_or3_b32 v8, v8, v10, v7
	v_mov_b32_e32 v23, v9
	v_mov_b32_e32 v22, v8
.LBB230_1722:                           ;   in Loop: Header=BB230_1564 Depth=1
	s_or_b32 exec_lo, exec_lo, s15
.LBB230_1723:                           ;   in Loop: Header=BB230_1564 Depth=1
	s_or_b32 exec_lo, exec_lo, s13
.LBB230_1724:                           ;   in Loop: Header=BB230_1564 Depth=1
	s_or_b32 exec_lo, exec_lo, s7
	s_mov_b32 s7, exec_lo
	v_cmpx_lt_u32_e32 0xffffff, v6
	s_cbranch_execz .LBB230_1732
; %bb.1725:                             ;   in Loop: Header=BB230_1564 Depth=1
	v_mov_b32_e32 v104, v9
	v_cmp_ne_u32_sdwa s4, v6, v42 src0_sel:BYTE_3 src1_sel:DWORD
	v_mov_b32_e32 v24, v104
	v_mov_b32_e32 v25, v105
	s_and_saveexec_b32 s13, s4
	s_cbranch_execz .LBB230_1731
; %bb.1726:                             ;   in Loop: Header=BB230_1564 Depth=1
	v_mov_b32_e32 v12, v9
	v_mov_b32_e32 v25, v13
	v_bfe_u32 v10, v6, 24, 7
	s_mov_b32 s15, exec_lo
	v_mov_b32_e32 v24, v12
	v_cmpx_ne_u32_e32 0x7f, v10
	s_cbranch_execz .LBB230_1730
; %bb.1727:                             ;   in Loop: Header=BB230_1564 Depth=1
	v_mov_b32_e32 v7, 7
	s_mov_b32 s18, exec_lo
	v_and_b32_sdwa v8, v6, v7 dst_sel:DWORD dst_unused:UNUSED_PAD src0_sel:BYTE_3 src1_sel:DWORD
	v_lshrrev_b32_e32 v7, 3, v10
	v_cmpx_gt_u32_e32 8, v10
; %bb.1728:                             ;   in Loop: Header=BB230_1564 Depth=1
	v_ffbh_u32_e32 v7, v8
	v_min_u32_e32 v7, 32, v7
	v_subrev_nc_u32_e32 v10, 28, v7
	v_sub_nc_u32_e32 v7, 29, v7
	v_lshlrev_b64 v[24:25], v10, v[8:9]
	v_and_b32_e32 v8, 7, v24
; %bb.1729:                             ;   in Loop: Header=BB230_1564 Depth=1
	s_or_b32 exec_lo, exec_lo, s18
	v_mov_b32_e32 v10, 24
	v_lshlrev_b32_e32 v8, 20, v8
	v_lshl_add_u32 v7, v7, 23, 0x3c000000
	v_mov_b32_e32 v24, v9
	v_lshlrev_b32_sdwa v6, v10, v6 dst_sel:DWORD dst_unused:UNUSED_PAD src0_sel:DWORD src1_sel:BYTE_3
	v_and_b32_e32 v6, 0x80000000, v6
	v_or3_b32 v25, v8, v6, v7
.LBB230_1730:                           ;   in Loop: Header=BB230_1564 Depth=1
	s_or_b32 exec_lo, exec_lo, s15
.LBB230_1731:                           ;   in Loop: Header=BB230_1564 Depth=1
	s_or_b32 exec_lo, exec_lo, s13
.LBB230_1732:                           ;   in Loop: Header=BB230_1564 Depth=1
	s_or_b32 exec_lo, exec_lo, s7
	v_or_b32_e32 v6, v21, v19
	v_or_b32_e32 v7, v20, v18
	v_or_b32_e32 v8, v24, v22
	v_or_b32_e32 v10, v25, v23
	v_mul_f32_e32 v6, v59, v6
	buffer_store_dword v6, off, s[0:3], s32 offset:356 ; 4-byte Folded Spill
	v_mul_f32_e32 v6, v41, v7
	buffer_store_dword v6, off, s[0:3], s32 offset:348 ; 4-byte Folded Spill
	;; [unrolled: 2-line block ×4, first 2 shown]
	s_and_saveexec_b32 s7, vcc_lo
	s_cbranch_execz .LBB230_1734
; %bb.1733:                             ;   in Loop: Header=BB230_1564 Depth=1
	buffer_load_dword v6, off, s[0:3], s32 offset:348 ; 4-byte Folded Reload
	v_cmp_lt_i32_e64 s4, v93, v73
	s_waitcnt vmcnt(0)
	v_cndmask_b32_e64 v6, 0, v6, s4
	v_cmp_lt_i32_e64 s4, v95, v73
	buffer_store_dword v6, off, s[0:3], s32 offset:348 ; 4-byte Folded Spill
	buffer_load_dword v6, off, s[0:3], s32 offset:356 ; 4-byte Folded Reload
	s_waitcnt vmcnt(0)
	v_cndmask_b32_e64 v6, 0, v6, s4
	v_cmp_lt_i32_e64 s4, v94, v73
	buffer_store_dword v6, off, s[0:3], s32 offset:356 ; 4-byte Folded Spill
	buffer_load_dword v6, off, s[0:3], s32 offset:340 ; 4-byte Folded Reload
	;; [unrolled: 5-line block ×3, first 2 shown]
	s_waitcnt vmcnt(0)
	v_cndmask_b32_e64 v6, 0, v6, s4
	buffer_store_dword v6, off, s[0:3], s32 offset:332 ; 4-byte Folded Spill
.LBB230_1734:                           ;   in Loop: Header=BB230_1564 Depth=1
	s_or_b32 exec_lo, exec_lo, s7
	flat_load_dword v6, v[0:1] offset:640
	v_mov_b32_e32 v20, 0
	v_mov_b32_e32 v18, 0
	v_mov_b32_e32 v21, 0
	v_mov_b32_e32 v19, 0
	s_waitcnt vmcnt(0) lgkmcnt(0)
	v_cmp_ne_u16_sdwa s4, v6, v9 src0_sel:BYTE_0 src1_sel:DWORD
	s_and_saveexec_b32 s7, s4
	s_cbranch_execz .LBB230_1742
; %bb.1735:                             ;   in Loop: Header=BB230_1564 Depth=1
	v_bfrev_b32_e32 v18, 1
	v_mov_b32_e32 v19, 0
	v_cmp_ne_u16_sdwa s4, v6, v42 src0_sel:BYTE_0 src1_sel:DWORD
	s_and_saveexec_b32 s13, s4
	s_cbranch_execz .LBB230_1741
; %bb.1736:                             ;   in Loop: Header=BB230_1564 Depth=1
	v_mov_b32_e32 v18, 0x7f800001
	v_and_b32_e32 v10, 0x7f, v6
	v_mov_b32_e32 v19, 0
	s_mov_b32 s15, exec_lo
	v_cmpx_ne_u32_e32 0x7f, v10
	s_cbranch_execz .LBB230_1740
; %bb.1737:                             ;   in Loop: Header=BB230_1564 Depth=1
	v_and_b32_e32 v8, 7, v6
	v_lshrrev_b32_e32 v7, 3, v10
	s_mov_b32 s18, exec_lo
	v_cmpx_gt_u32_e32 8, v10
; %bb.1738:                             ;   in Loop: Header=BB230_1564 Depth=1
	v_ffbh_u32_e32 v7, v8
	v_min_u32_e32 v7, 32, v7
	v_subrev_nc_u32_e32 v10, 28, v7
	v_sub_nc_u32_e32 v7, 29, v7
	v_lshlrev_b64 v[18:19], v10, v[8:9]
	v_and_b32_e32 v8, 7, v18
; %bb.1739:                             ;   in Loop: Header=BB230_1564 Depth=1
	s_or_b32 exec_lo, exec_lo, s18
	v_lshlrev_b32_e32 v10, 24, v6
	v_lshlrev_b32_e32 v8, 20, v8
	v_lshl_add_u32 v7, v7, 23, 0x3c000000
	v_and_b32_e32 v10, 0x80000000, v10
	v_or3_b32 v8, v8, v10, v7
	v_mov_b32_e32 v19, v9
	v_mov_b32_e32 v18, v8
.LBB230_1740:                           ;   in Loop: Header=BB230_1564 Depth=1
	s_or_b32 exec_lo, exec_lo, s15
.LBB230_1741:                           ;   in Loop: Header=BB230_1564 Depth=1
	s_or_b32 exec_lo, exec_lo, s13
.LBB230_1742:                           ;   in Loop: Header=BB230_1564 Depth=1
	s_or_b32 exec_lo, exec_lo, s7
	v_cmp_ne_u16_sdwa s4, v6, v9 src0_sel:BYTE_1 src1_sel:DWORD
	s_and_saveexec_b32 s7, s4
	s_cbranch_execz .LBB230_1750
; %bb.1743:                             ;   in Loop: Header=BB230_1564 Depth=1
	v_mov_b32_e32 v104, v9
	v_cmp_ne_u16_sdwa s4, v6, v42 src0_sel:BYTE_1 src1_sel:DWORD
	v_mov_b32_e32 v20, v104
	v_mov_b32_e32 v21, v105
	s_and_saveexec_b32 s13, s4
	s_cbranch_execz .LBB230_1749
; %bb.1744:                             ;   in Loop: Header=BB230_1564 Depth=1
	v_mov_b32_e32 v7, 0xffff
	v_mov_b32_e32 v12, v9
	;; [unrolled: 1-line block ×3, first 2 shown]
	s_mov_b32 s15, exec_lo
	v_and_b32_sdwa v7, v7, v6 dst_sel:DWORD dst_unused:UNUSED_PAD src0_sel:DWORD src1_sel:BYTE_1
	v_mov_b32_e32 v20, v12
	v_and_b32_e32 v10, 0x7f, v7
	v_cmpx_ne_u32_e32 0x7f, v10
	s_cbranch_execz .LBB230_1748
; %bb.1745:                             ;   in Loop: Header=BB230_1564 Depth=1
	v_and_b32_e32 v8, 7, v7
	v_lshrrev_b32_e32 v7, 3, v10
	s_mov_b32 s18, exec_lo
	v_cmpx_gt_u32_e32 8, v10
; %bb.1746:                             ;   in Loop: Header=BB230_1564 Depth=1
	v_ffbh_u32_e32 v7, v8
	v_min_u32_e32 v7, 32, v7
	v_subrev_nc_u32_e32 v10, 28, v7
	v_sub_nc_u32_e32 v7, 29, v7
	v_lshlrev_b64 v[20:21], v10, v[8:9]
	v_and_b32_e32 v8, 7, v20
; %bb.1747:                             ;   in Loop: Header=BB230_1564 Depth=1
	s_or_b32 exec_lo, exec_lo, s18
	v_lshlrev_b32_e32 v10, 16, v6
	v_lshlrev_b32_e32 v8, 20, v8
	v_lshl_add_u32 v7, v7, 23, 0x3c000000
	v_mov_b32_e32 v20, v9
	v_and_b32_e32 v10, 0x80000000, v10
	v_or3_b32 v21, v8, v10, v7
.LBB230_1748:                           ;   in Loop: Header=BB230_1564 Depth=1
	s_or_b32 exec_lo, exec_lo, s15
.LBB230_1749:                           ;   in Loop: Header=BB230_1564 Depth=1
	s_or_b32 exec_lo, exec_lo, s13
.LBB230_1750:                           ;   in Loop: Header=BB230_1564 Depth=1
	s_or_b32 exec_lo, exec_lo, s7
	v_mov_b32_e32 v24, 0
	v_mov_b32_e32 v22, 0
	v_and_b32_sdwa v7, v6, v44 dst_sel:DWORD dst_unused:UNUSED_PAD src0_sel:WORD_1 src1_sel:DWORD
	v_mov_b32_e32 v25, 0
	v_mov_b32_e32 v23, 0
	s_mov_b32 s7, exec_lo
	v_cmpx_ne_u16_e32 0, v7
	s_cbranch_execz .LBB230_1758
; %bb.1751:                             ;   in Loop: Header=BB230_1564 Depth=1
	v_bfrev_b32_e32 v22, 1
	v_mov_b32_e32 v23, 0
	s_mov_b32 s13, exec_lo
	v_cmpx_ne_u16_e32 0x80, v7
	s_cbranch_execz .LBB230_1757
; %bb.1752:                             ;   in Loop: Header=BB230_1564 Depth=1
	v_mov_b32_e32 v22, 0x7f800001
	v_bfe_u32 v10, v6, 16, 7
	v_mov_b32_e32 v23, 0
	s_mov_b32 s15, exec_lo
	v_cmpx_ne_u32_e32 0x7f, v10
	s_cbranch_execz .LBB230_1756
; %bb.1753:                             ;   in Loop: Header=BB230_1564 Depth=1
	v_mov_b32_e32 v7, 7
	s_mov_b32 s18, exec_lo
	v_and_b32_sdwa v8, v6, v7 dst_sel:DWORD dst_unused:UNUSED_PAD src0_sel:WORD_1 src1_sel:DWORD
	v_lshrrev_b32_e32 v7, 3, v10
	v_cmpx_gt_u32_e32 8, v10
; %bb.1754:                             ;   in Loop: Header=BB230_1564 Depth=1
	v_ffbh_u32_e32 v7, v8
	v_min_u32_e32 v7, 32, v7
	v_subrev_nc_u32_e32 v10, 28, v7
	v_sub_nc_u32_e32 v7, 29, v7
	v_lshlrev_b64 v[22:23], v10, v[8:9]
	v_and_b32_e32 v8, 7, v22
; %bb.1755:                             ;   in Loop: Header=BB230_1564 Depth=1
	s_or_b32 exec_lo, exec_lo, s18
	v_mov_b32_e32 v10, 24
	v_lshlrev_b32_e32 v8, 20, v8
	v_lshl_add_u32 v7, v7, 23, 0x3c000000
	v_lshlrev_b32_sdwa v10, v10, v6 dst_sel:DWORD dst_unused:UNUSED_PAD src0_sel:DWORD src1_sel:WORD_1
	v_and_b32_e32 v10, 0x80000000, v10
	v_or3_b32 v8, v8, v10, v7
	v_mov_b32_e32 v23, v9
	v_mov_b32_e32 v22, v8
.LBB230_1756:                           ;   in Loop: Header=BB230_1564 Depth=1
	s_or_b32 exec_lo, exec_lo, s15
.LBB230_1757:                           ;   in Loop: Header=BB230_1564 Depth=1
	s_or_b32 exec_lo, exec_lo, s13
.LBB230_1758:                           ;   in Loop: Header=BB230_1564 Depth=1
	s_or_b32 exec_lo, exec_lo, s7
	s_mov_b32 s7, exec_lo
	v_cmpx_lt_u32_e32 0xffffff, v6
	s_cbranch_execz .LBB230_1766
; %bb.1759:                             ;   in Loop: Header=BB230_1564 Depth=1
	v_mov_b32_e32 v104, v9
	v_cmp_ne_u32_sdwa s4, v6, v42 src0_sel:BYTE_3 src1_sel:DWORD
	v_mov_b32_e32 v24, v104
	v_mov_b32_e32 v25, v105
	s_and_saveexec_b32 s13, s4
	s_cbranch_execz .LBB230_1765
; %bb.1760:                             ;   in Loop: Header=BB230_1564 Depth=1
	v_mov_b32_e32 v12, v9
	v_mov_b32_e32 v25, v13
	v_bfe_u32 v10, v6, 24, 7
	s_mov_b32 s15, exec_lo
	v_mov_b32_e32 v24, v12
	v_cmpx_ne_u32_e32 0x7f, v10
	s_cbranch_execz .LBB230_1764
; %bb.1761:                             ;   in Loop: Header=BB230_1564 Depth=1
	v_mov_b32_e32 v7, 7
	s_mov_b32 s18, exec_lo
	v_and_b32_sdwa v8, v6, v7 dst_sel:DWORD dst_unused:UNUSED_PAD src0_sel:BYTE_3 src1_sel:DWORD
	v_lshrrev_b32_e32 v7, 3, v10
	v_cmpx_gt_u32_e32 8, v10
; %bb.1762:                             ;   in Loop: Header=BB230_1564 Depth=1
	v_ffbh_u32_e32 v7, v8
	v_min_u32_e32 v7, 32, v7
	v_subrev_nc_u32_e32 v10, 28, v7
	v_sub_nc_u32_e32 v7, 29, v7
	v_lshlrev_b64 v[24:25], v10, v[8:9]
	v_and_b32_e32 v8, 7, v24
; %bb.1763:                             ;   in Loop: Header=BB230_1564 Depth=1
	s_or_b32 exec_lo, exec_lo, s18
	v_mov_b32_e32 v10, 24
	v_lshlrev_b32_e32 v8, 20, v8
	v_lshl_add_u32 v7, v7, 23, 0x3c000000
	v_mov_b32_e32 v24, v9
	v_lshlrev_b32_sdwa v6, v10, v6 dst_sel:DWORD dst_unused:UNUSED_PAD src0_sel:DWORD src1_sel:BYTE_3
	v_and_b32_e32 v6, 0x80000000, v6
	v_or3_b32 v25, v8, v6, v7
.LBB230_1764:                           ;   in Loop: Header=BB230_1564 Depth=1
	s_or_b32 exec_lo, exec_lo, s15
.LBB230_1765:                           ;   in Loop: Header=BB230_1564 Depth=1
	s_or_b32 exec_lo, exec_lo, s13
.LBB230_1766:                           ;   in Loop: Header=BB230_1564 Depth=1
	s_or_b32 exec_lo, exec_lo, s7
	v_or_b32_e32 v6, v21, v19
	v_or_b32_e32 v7, v20, v18
	;; [unrolled: 1-line block ×4, first 2 shown]
	v_mul_f32_e32 v6, v59, v6
	buffer_store_dword v6, off, s[0:3], s32 offset:380 ; 4-byte Folded Spill
	v_mul_f32_e32 v6, v41, v7
	buffer_store_dword v6, off, s[0:3], s32 offset:388 ; 4-byte Folded Spill
	;; [unrolled: 2-line block ×4, first 2 shown]
	s_and_saveexec_b32 s7, vcc_lo
	s_cbranch_execz .LBB230_1768
; %bb.1767:                             ;   in Loop: Header=BB230_1564 Depth=1
	buffer_load_dword v6, off, s[0:3], s32 offset:388 ; 4-byte Folded Reload
	v_cmp_lt_i32_e64 s4, v93, v73
	s_waitcnt vmcnt(0)
	v_cndmask_b32_e64 v6, 0, v6, s4
	v_cmp_lt_i32_e64 s4, v95, v73
	buffer_store_dword v6, off, s[0:3], s32 offset:388 ; 4-byte Folded Spill
	buffer_load_dword v6, off, s[0:3], s32 offset:380 ; 4-byte Folded Reload
	s_waitcnt vmcnt(0)
	v_cndmask_b32_e64 v6, 0, v6, s4
	v_cmp_lt_i32_e64 s4, v94, v73
	buffer_store_dword v6, off, s[0:3], s32 offset:380 ; 4-byte Folded Spill
	buffer_load_dword v6, off, s[0:3], s32 offset:372 ; 4-byte Folded Reload
	;; [unrolled: 5-line block ×3, first 2 shown]
	s_waitcnt vmcnt(0)
	v_cndmask_b32_e64 v6, 0, v6, s4
	buffer_store_dword v6, off, s[0:3], s32 offset:364 ; 4-byte Folded Spill
.LBB230_1768:                           ;   in Loop: Header=BB230_1564 Depth=1
	s_or_b32 exec_lo, exec_lo, s7
	flat_load_dword v6, v[0:1] offset:768
	v_mov_b32_e32 v20, 0
	v_mov_b32_e32 v18, 0
	;; [unrolled: 1-line block ×4, first 2 shown]
	s_waitcnt vmcnt(0) lgkmcnt(0)
	v_cmp_ne_u16_sdwa s4, v6, v9 src0_sel:BYTE_0 src1_sel:DWORD
	s_and_saveexec_b32 s7, s4
	s_cbranch_execz .LBB230_1776
; %bb.1769:                             ;   in Loop: Header=BB230_1564 Depth=1
	v_bfrev_b32_e32 v18, 1
	v_mov_b32_e32 v19, 0
	v_cmp_ne_u16_sdwa s4, v6, v42 src0_sel:BYTE_0 src1_sel:DWORD
	s_and_saveexec_b32 s13, s4
	s_cbranch_execz .LBB230_1775
; %bb.1770:                             ;   in Loop: Header=BB230_1564 Depth=1
	v_mov_b32_e32 v18, 0x7f800001
	v_and_b32_e32 v10, 0x7f, v6
	v_mov_b32_e32 v19, 0
	s_mov_b32 s15, exec_lo
	v_cmpx_ne_u32_e32 0x7f, v10
	s_cbranch_execz .LBB230_1774
; %bb.1771:                             ;   in Loop: Header=BB230_1564 Depth=1
	v_and_b32_e32 v8, 7, v6
	v_lshrrev_b32_e32 v7, 3, v10
	s_mov_b32 s18, exec_lo
	v_cmpx_gt_u32_e32 8, v10
; %bb.1772:                             ;   in Loop: Header=BB230_1564 Depth=1
	v_ffbh_u32_e32 v7, v8
	v_min_u32_e32 v7, 32, v7
	v_subrev_nc_u32_e32 v10, 28, v7
	v_sub_nc_u32_e32 v7, 29, v7
	v_lshlrev_b64 v[18:19], v10, v[8:9]
	v_and_b32_e32 v8, 7, v18
; %bb.1773:                             ;   in Loop: Header=BB230_1564 Depth=1
	s_or_b32 exec_lo, exec_lo, s18
	v_lshlrev_b32_e32 v10, 24, v6
	v_lshlrev_b32_e32 v8, 20, v8
	v_lshl_add_u32 v7, v7, 23, 0x3c000000
	v_and_b32_e32 v10, 0x80000000, v10
	v_or3_b32 v8, v8, v10, v7
	v_mov_b32_e32 v19, v9
	v_mov_b32_e32 v18, v8
.LBB230_1774:                           ;   in Loop: Header=BB230_1564 Depth=1
	s_or_b32 exec_lo, exec_lo, s15
.LBB230_1775:                           ;   in Loop: Header=BB230_1564 Depth=1
	s_or_b32 exec_lo, exec_lo, s13
.LBB230_1776:                           ;   in Loop: Header=BB230_1564 Depth=1
	s_or_b32 exec_lo, exec_lo, s7
	v_cmp_ne_u16_sdwa s4, v6, v9 src0_sel:BYTE_1 src1_sel:DWORD
	s_and_saveexec_b32 s7, s4
	s_cbranch_execz .LBB230_1784
; %bb.1777:                             ;   in Loop: Header=BB230_1564 Depth=1
	v_mov_b32_e32 v104, v9
	v_cmp_ne_u16_sdwa s4, v6, v42 src0_sel:BYTE_1 src1_sel:DWORD
	v_mov_b32_e32 v20, v104
	v_mov_b32_e32 v21, v105
	s_and_saveexec_b32 s13, s4
	s_cbranch_execz .LBB230_1783
; %bb.1778:                             ;   in Loop: Header=BB230_1564 Depth=1
	v_mov_b32_e32 v7, 0xffff
	v_mov_b32_e32 v12, v9
	;; [unrolled: 1-line block ×3, first 2 shown]
	s_mov_b32 s15, exec_lo
	v_and_b32_sdwa v7, v7, v6 dst_sel:DWORD dst_unused:UNUSED_PAD src0_sel:DWORD src1_sel:BYTE_1
	v_mov_b32_e32 v20, v12
	v_and_b32_e32 v10, 0x7f, v7
	v_cmpx_ne_u32_e32 0x7f, v10
	s_cbranch_execz .LBB230_1782
; %bb.1779:                             ;   in Loop: Header=BB230_1564 Depth=1
	v_and_b32_e32 v8, 7, v7
	v_lshrrev_b32_e32 v7, 3, v10
	s_mov_b32 s18, exec_lo
	v_cmpx_gt_u32_e32 8, v10
; %bb.1780:                             ;   in Loop: Header=BB230_1564 Depth=1
	v_ffbh_u32_e32 v7, v8
	v_min_u32_e32 v7, 32, v7
	v_subrev_nc_u32_e32 v10, 28, v7
	v_sub_nc_u32_e32 v7, 29, v7
	v_lshlrev_b64 v[20:21], v10, v[8:9]
	v_and_b32_e32 v8, 7, v20
; %bb.1781:                             ;   in Loop: Header=BB230_1564 Depth=1
	s_or_b32 exec_lo, exec_lo, s18
	v_lshlrev_b32_e32 v10, 16, v6
	v_lshlrev_b32_e32 v8, 20, v8
	v_lshl_add_u32 v7, v7, 23, 0x3c000000
	v_mov_b32_e32 v20, v9
	v_and_b32_e32 v10, 0x80000000, v10
	v_or3_b32 v21, v8, v10, v7
.LBB230_1782:                           ;   in Loop: Header=BB230_1564 Depth=1
	s_or_b32 exec_lo, exec_lo, s15
.LBB230_1783:                           ;   in Loop: Header=BB230_1564 Depth=1
	s_or_b32 exec_lo, exec_lo, s13
.LBB230_1784:                           ;   in Loop: Header=BB230_1564 Depth=1
	s_or_b32 exec_lo, exec_lo, s7
	v_mov_b32_e32 v24, 0
	v_mov_b32_e32 v22, 0
	v_and_b32_sdwa v7, v6, v44 dst_sel:DWORD dst_unused:UNUSED_PAD src0_sel:WORD_1 src1_sel:DWORD
	v_mov_b32_e32 v25, 0
	v_mov_b32_e32 v23, 0
	s_mov_b32 s7, exec_lo
	v_cmpx_ne_u16_e32 0, v7
	s_cbranch_execz .LBB230_1792
; %bb.1785:                             ;   in Loop: Header=BB230_1564 Depth=1
	v_bfrev_b32_e32 v22, 1
	v_mov_b32_e32 v23, 0
	s_mov_b32 s13, exec_lo
	v_cmpx_ne_u16_e32 0x80, v7
	s_cbranch_execz .LBB230_1791
; %bb.1786:                             ;   in Loop: Header=BB230_1564 Depth=1
	v_mov_b32_e32 v22, 0x7f800001
	v_bfe_u32 v10, v6, 16, 7
	v_mov_b32_e32 v23, 0
	s_mov_b32 s15, exec_lo
	v_cmpx_ne_u32_e32 0x7f, v10
	s_cbranch_execz .LBB230_1790
; %bb.1787:                             ;   in Loop: Header=BB230_1564 Depth=1
	v_mov_b32_e32 v7, 7
	s_mov_b32 s18, exec_lo
	v_and_b32_sdwa v8, v6, v7 dst_sel:DWORD dst_unused:UNUSED_PAD src0_sel:WORD_1 src1_sel:DWORD
	v_lshrrev_b32_e32 v7, 3, v10
	v_cmpx_gt_u32_e32 8, v10
; %bb.1788:                             ;   in Loop: Header=BB230_1564 Depth=1
	v_ffbh_u32_e32 v7, v8
	v_min_u32_e32 v7, 32, v7
	v_subrev_nc_u32_e32 v10, 28, v7
	v_sub_nc_u32_e32 v7, 29, v7
	v_lshlrev_b64 v[22:23], v10, v[8:9]
	v_and_b32_e32 v8, 7, v22
; %bb.1789:                             ;   in Loop: Header=BB230_1564 Depth=1
	s_or_b32 exec_lo, exec_lo, s18
	v_mov_b32_e32 v10, 24
	v_lshlrev_b32_e32 v8, 20, v8
	v_lshl_add_u32 v7, v7, 23, 0x3c000000
	v_lshlrev_b32_sdwa v10, v10, v6 dst_sel:DWORD dst_unused:UNUSED_PAD src0_sel:DWORD src1_sel:WORD_1
	v_and_b32_e32 v10, 0x80000000, v10
	v_or3_b32 v8, v8, v10, v7
	v_mov_b32_e32 v23, v9
	v_mov_b32_e32 v22, v8
.LBB230_1790:                           ;   in Loop: Header=BB230_1564 Depth=1
	s_or_b32 exec_lo, exec_lo, s15
.LBB230_1791:                           ;   in Loop: Header=BB230_1564 Depth=1
	s_or_b32 exec_lo, exec_lo, s13
.LBB230_1792:                           ;   in Loop: Header=BB230_1564 Depth=1
	s_or_b32 exec_lo, exec_lo, s7
	s_mov_b32 s7, exec_lo
	v_cmpx_lt_u32_e32 0xffffff, v6
	s_cbranch_execz .LBB230_1800
; %bb.1793:                             ;   in Loop: Header=BB230_1564 Depth=1
	v_mov_b32_e32 v104, v9
	v_cmp_ne_u32_sdwa s4, v6, v42 src0_sel:BYTE_3 src1_sel:DWORD
	v_mov_b32_e32 v24, v104
	v_mov_b32_e32 v25, v105
	s_and_saveexec_b32 s13, s4
	s_cbranch_execz .LBB230_1799
; %bb.1794:                             ;   in Loop: Header=BB230_1564 Depth=1
	v_mov_b32_e32 v12, v9
	v_mov_b32_e32 v25, v13
	v_bfe_u32 v10, v6, 24, 7
	s_mov_b32 s15, exec_lo
	v_mov_b32_e32 v24, v12
	v_cmpx_ne_u32_e32 0x7f, v10
	s_cbranch_execz .LBB230_1798
; %bb.1795:                             ;   in Loop: Header=BB230_1564 Depth=1
	v_mov_b32_e32 v7, 7
	s_mov_b32 s18, exec_lo
	v_and_b32_sdwa v8, v6, v7 dst_sel:DWORD dst_unused:UNUSED_PAD src0_sel:BYTE_3 src1_sel:DWORD
	v_lshrrev_b32_e32 v7, 3, v10
	v_cmpx_gt_u32_e32 8, v10
; %bb.1796:                             ;   in Loop: Header=BB230_1564 Depth=1
	v_ffbh_u32_e32 v7, v8
	v_min_u32_e32 v7, 32, v7
	v_subrev_nc_u32_e32 v10, 28, v7
	v_sub_nc_u32_e32 v7, 29, v7
	v_lshlrev_b64 v[24:25], v10, v[8:9]
	v_and_b32_e32 v8, 7, v24
; %bb.1797:                             ;   in Loop: Header=BB230_1564 Depth=1
	s_or_b32 exec_lo, exec_lo, s18
	v_mov_b32_e32 v10, 24
	v_lshlrev_b32_e32 v8, 20, v8
	v_lshl_add_u32 v7, v7, 23, 0x3c000000
	v_mov_b32_e32 v24, v9
	v_lshlrev_b32_sdwa v6, v10, v6 dst_sel:DWORD dst_unused:UNUSED_PAD src0_sel:DWORD src1_sel:BYTE_3
	v_and_b32_e32 v6, 0x80000000, v6
	v_or3_b32 v25, v8, v6, v7
.LBB230_1798:                           ;   in Loop: Header=BB230_1564 Depth=1
	s_or_b32 exec_lo, exec_lo, s15
.LBB230_1799:                           ;   in Loop: Header=BB230_1564 Depth=1
	s_or_b32 exec_lo, exec_lo, s13
.LBB230_1800:                           ;   in Loop: Header=BB230_1564 Depth=1
	s_or_b32 exec_lo, exec_lo, s7
	v_or_b32_e32 v6, v21, v19
	v_or_b32_e32 v7, v20, v18
	;; [unrolled: 1-line block ×4, first 2 shown]
	v_mul_f32_e32 v6, v59, v6
	buffer_store_dword v6, off, s[0:3], s32 offset:412 ; 4-byte Folded Spill
	v_mul_f32_e32 v6, v41, v7
	buffer_store_dword v6, off, s[0:3], s32 offset:196 ; 4-byte Folded Spill
	;; [unrolled: 2-line block ×4, first 2 shown]
	s_and_saveexec_b32 s7, vcc_lo
	s_cbranch_execz .LBB230_1802
; %bb.1801:                             ;   in Loop: Header=BB230_1564 Depth=1
	buffer_load_dword v6, off, s[0:3], s32 offset:196 ; 4-byte Folded Reload
	v_cmp_lt_i32_e64 s4, v93, v73
	s_waitcnt vmcnt(0)
	v_cndmask_b32_e64 v6, 0, v6, s4
	v_cmp_lt_i32_e64 s4, v95, v73
	buffer_store_dword v6, off, s[0:3], s32 offset:196 ; 4-byte Folded Spill
	buffer_load_dword v6, off, s[0:3], s32 offset:412 ; 4-byte Folded Reload
	s_waitcnt vmcnt(0)
	v_cndmask_b32_e64 v6, 0, v6, s4
	v_cmp_lt_i32_e64 s4, v94, v73
	buffer_store_dword v6, off, s[0:3], s32 offset:412 ; 4-byte Folded Spill
	buffer_load_dword v6, off, s[0:3], s32 offset:404 ; 4-byte Folded Reload
	s_waitcnt vmcnt(0)
	v_cndmask_b32_e64 v6, 0, v6, s4
	v_cmp_lt_i32_e64 s4, v57, v73
	buffer_store_dword v6, off, s[0:3], s32 offset:404 ; 4-byte Folded Spill
	buffer_load_dword v6, off, s[0:3], s32 offset:396 ; 4-byte Folded Reload
	s_waitcnt vmcnt(0)
	v_cndmask_b32_e64 v6, 0, v6, s4
	buffer_store_dword v6, off, s[0:3], s32 offset:396 ; 4-byte Folded Spill
.LBB230_1802:                           ;   in Loop: Header=BB230_1564 Depth=1
	s_or_b32 exec_lo, exec_lo, s7
	flat_load_dword v6, v[0:1] offset:896
	v_mov_b32_e32 v20, 0
	v_mov_b32_e32 v18, 0
	;; [unrolled: 1-line block ×4, first 2 shown]
	s_waitcnt vmcnt(0) lgkmcnt(0)
	v_cmp_ne_u16_sdwa s4, v6, v9 src0_sel:BYTE_0 src1_sel:DWORD
	s_and_saveexec_b32 s7, s4
	s_cbranch_execz .LBB230_1810
; %bb.1803:                             ;   in Loop: Header=BB230_1564 Depth=1
	v_bfrev_b32_e32 v18, 1
	v_mov_b32_e32 v19, 0
	v_cmp_ne_u16_sdwa s4, v6, v42 src0_sel:BYTE_0 src1_sel:DWORD
	s_and_saveexec_b32 s13, s4
	s_cbranch_execz .LBB230_1809
; %bb.1804:                             ;   in Loop: Header=BB230_1564 Depth=1
	v_mov_b32_e32 v18, 0x7f800001
	v_and_b32_e32 v10, 0x7f, v6
	v_mov_b32_e32 v19, 0
	s_mov_b32 s15, exec_lo
	v_cmpx_ne_u32_e32 0x7f, v10
	s_cbranch_execz .LBB230_1808
; %bb.1805:                             ;   in Loop: Header=BB230_1564 Depth=1
	v_and_b32_e32 v8, 7, v6
	v_lshrrev_b32_e32 v7, 3, v10
	s_mov_b32 s18, exec_lo
	v_cmpx_gt_u32_e32 8, v10
; %bb.1806:                             ;   in Loop: Header=BB230_1564 Depth=1
	v_ffbh_u32_e32 v7, v8
	v_min_u32_e32 v7, 32, v7
	v_subrev_nc_u32_e32 v10, 28, v7
	v_sub_nc_u32_e32 v7, 29, v7
	v_lshlrev_b64 v[18:19], v10, v[8:9]
	v_and_b32_e32 v8, 7, v18
; %bb.1807:                             ;   in Loop: Header=BB230_1564 Depth=1
	s_or_b32 exec_lo, exec_lo, s18
	v_lshlrev_b32_e32 v10, 24, v6
	v_lshlrev_b32_e32 v8, 20, v8
	v_lshl_add_u32 v7, v7, 23, 0x3c000000
	v_and_b32_e32 v10, 0x80000000, v10
	v_or3_b32 v8, v8, v10, v7
	v_mov_b32_e32 v19, v9
	v_mov_b32_e32 v18, v8
.LBB230_1808:                           ;   in Loop: Header=BB230_1564 Depth=1
	s_or_b32 exec_lo, exec_lo, s15
.LBB230_1809:                           ;   in Loop: Header=BB230_1564 Depth=1
	s_or_b32 exec_lo, exec_lo, s13
.LBB230_1810:                           ;   in Loop: Header=BB230_1564 Depth=1
	s_or_b32 exec_lo, exec_lo, s7
	v_cmp_ne_u16_sdwa s4, v6, v9 src0_sel:BYTE_1 src1_sel:DWORD
	s_and_saveexec_b32 s7, s4
	s_cbranch_execz .LBB230_1818
; %bb.1811:                             ;   in Loop: Header=BB230_1564 Depth=1
	v_mov_b32_e32 v104, v9
	v_cmp_ne_u16_sdwa s4, v6, v42 src0_sel:BYTE_1 src1_sel:DWORD
	v_mov_b32_e32 v20, v104
	v_mov_b32_e32 v21, v105
	s_and_saveexec_b32 s13, s4
	s_cbranch_execz .LBB230_1817
; %bb.1812:                             ;   in Loop: Header=BB230_1564 Depth=1
	v_mov_b32_e32 v7, 0xffff
	v_mov_b32_e32 v12, v9
	v_mov_b32_e32 v21, v13
	s_mov_b32 s15, exec_lo
	v_and_b32_sdwa v7, v7, v6 dst_sel:DWORD dst_unused:UNUSED_PAD src0_sel:DWORD src1_sel:BYTE_1
	v_mov_b32_e32 v20, v12
	v_and_b32_e32 v10, 0x7f, v7
	v_cmpx_ne_u32_e32 0x7f, v10
	s_cbranch_execz .LBB230_1816
; %bb.1813:                             ;   in Loop: Header=BB230_1564 Depth=1
	v_and_b32_e32 v8, 7, v7
	v_lshrrev_b32_e32 v7, 3, v10
	s_mov_b32 s18, exec_lo
	v_cmpx_gt_u32_e32 8, v10
; %bb.1814:                             ;   in Loop: Header=BB230_1564 Depth=1
	v_ffbh_u32_e32 v7, v8
	v_min_u32_e32 v7, 32, v7
	v_subrev_nc_u32_e32 v10, 28, v7
	v_sub_nc_u32_e32 v7, 29, v7
	v_lshlrev_b64 v[20:21], v10, v[8:9]
	v_and_b32_e32 v8, 7, v20
; %bb.1815:                             ;   in Loop: Header=BB230_1564 Depth=1
	s_or_b32 exec_lo, exec_lo, s18
	v_lshlrev_b32_e32 v10, 16, v6
	v_lshlrev_b32_e32 v8, 20, v8
	v_lshl_add_u32 v7, v7, 23, 0x3c000000
	v_mov_b32_e32 v20, v9
	v_and_b32_e32 v10, 0x80000000, v10
	v_or3_b32 v21, v8, v10, v7
.LBB230_1816:                           ;   in Loop: Header=BB230_1564 Depth=1
	s_or_b32 exec_lo, exec_lo, s15
.LBB230_1817:                           ;   in Loop: Header=BB230_1564 Depth=1
	s_or_b32 exec_lo, exec_lo, s13
.LBB230_1818:                           ;   in Loop: Header=BB230_1564 Depth=1
	s_or_b32 exec_lo, exec_lo, s7
	v_mov_b32_e32 v22, 0
	v_mov_b32_e32 v24, 0
	v_and_b32_sdwa v7, v6, v44 dst_sel:DWORD dst_unused:UNUSED_PAD src0_sel:WORD_1 src1_sel:DWORD
	v_mov_b32_e32 v23, 0
	v_mov_b32_e32 v25, 0
	s_mov_b32 s7, exec_lo
	v_cmpx_ne_u16_e32 0, v7
	s_cbranch_execz .LBB230_1826
; %bb.1819:                             ;   in Loop: Header=BB230_1564 Depth=1
	v_bfrev_b32_e32 v24, 1
	v_mov_b32_e32 v25, 0
	s_mov_b32 s13, exec_lo
	v_cmpx_ne_u16_e32 0x80, v7
	s_cbranch_execz .LBB230_1825
; %bb.1820:                             ;   in Loop: Header=BB230_1564 Depth=1
	v_mov_b32_e32 v24, 0x7f800001
	v_bfe_u32 v10, v6, 16, 7
	v_mov_b32_e32 v25, 0
	s_mov_b32 s15, exec_lo
	v_cmpx_ne_u32_e32 0x7f, v10
	s_cbranch_execz .LBB230_1824
; %bb.1821:                             ;   in Loop: Header=BB230_1564 Depth=1
	v_mov_b32_e32 v7, 7
	s_mov_b32 s18, exec_lo
	v_and_b32_sdwa v8, v6, v7 dst_sel:DWORD dst_unused:UNUSED_PAD src0_sel:WORD_1 src1_sel:DWORD
	v_lshrrev_b32_e32 v7, 3, v10
	v_cmpx_gt_u32_e32 8, v10
; %bb.1822:                             ;   in Loop: Header=BB230_1564 Depth=1
	v_ffbh_u32_e32 v7, v8
	v_min_u32_e32 v7, 32, v7
	v_subrev_nc_u32_e32 v10, 28, v7
	v_sub_nc_u32_e32 v7, 29, v7
	v_lshlrev_b64 v[24:25], v10, v[8:9]
	v_and_b32_e32 v8, 7, v24
; %bb.1823:                             ;   in Loop: Header=BB230_1564 Depth=1
	s_or_b32 exec_lo, exec_lo, s18
	v_mov_b32_e32 v10, 24
	v_lshlrev_b32_e32 v8, 20, v8
	v_lshl_add_u32 v7, v7, 23, 0x3c000000
	v_lshlrev_b32_sdwa v10, v10, v6 dst_sel:DWORD dst_unused:UNUSED_PAD src0_sel:DWORD src1_sel:WORD_1
	v_and_b32_e32 v10, 0x80000000, v10
	v_or3_b32 v8, v8, v10, v7
	v_mov_b32_e32 v25, v9
	v_mov_b32_e32 v24, v8
.LBB230_1824:                           ;   in Loop: Header=BB230_1564 Depth=1
	s_or_b32 exec_lo, exec_lo, s15
.LBB230_1825:                           ;   in Loop: Header=BB230_1564 Depth=1
	s_or_b32 exec_lo, exec_lo, s13
.LBB230_1826:                           ;   in Loop: Header=BB230_1564 Depth=1
	s_or_b32 exec_lo, exec_lo, s7
	s_mov_b32 s7, exec_lo
	v_cmpx_lt_u32_e32 0xffffff, v6
	s_cbranch_execz .LBB230_1834
; %bb.1827:                             ;   in Loop: Header=BB230_1564 Depth=1
	v_mov_b32_e32 v104, v9
	v_cmp_ne_u32_sdwa s4, v6, v42 src0_sel:BYTE_3 src1_sel:DWORD
	v_mov_b32_e32 v22, v104
	v_mov_b32_e32 v23, v105
	s_and_saveexec_b32 s13, s4
	s_cbranch_execz .LBB230_1833
; %bb.1828:                             ;   in Loop: Header=BB230_1564 Depth=1
	v_mov_b32_e32 v12, v9
	v_mov_b32_e32 v23, v13
	v_bfe_u32 v10, v6, 24, 7
	s_mov_b32 s15, exec_lo
	v_mov_b32_e32 v22, v12
	v_cmpx_ne_u32_e32 0x7f, v10
	s_cbranch_execz .LBB230_1832
; %bb.1829:                             ;   in Loop: Header=BB230_1564 Depth=1
	v_mov_b32_e32 v7, 7
	s_mov_b32 s18, exec_lo
	v_and_b32_sdwa v8, v6, v7 dst_sel:DWORD dst_unused:UNUSED_PAD src0_sel:BYTE_3 src1_sel:DWORD
	v_lshrrev_b32_e32 v7, 3, v10
	v_cmpx_gt_u32_e32 8, v10
; %bb.1830:                             ;   in Loop: Header=BB230_1564 Depth=1
	v_ffbh_u32_e32 v7, v8
	v_min_u32_e32 v7, 32, v7
	v_subrev_nc_u32_e32 v10, 28, v7
	v_sub_nc_u32_e32 v7, 29, v7
	v_lshlrev_b64 v[22:23], v10, v[8:9]
	v_and_b32_e32 v8, 7, v22
; %bb.1831:                             ;   in Loop: Header=BB230_1564 Depth=1
	s_or_b32 exec_lo, exec_lo, s18
	v_mov_b32_e32 v10, 24
	v_lshlrev_b32_e32 v8, 20, v8
	v_lshl_add_u32 v7, v7, 23, 0x3c000000
	v_mov_b32_e32 v22, v9
	v_lshlrev_b32_sdwa v6, v10, v6 dst_sel:DWORD dst_unused:UNUSED_PAD src0_sel:DWORD src1_sel:BYTE_3
	v_and_b32_e32 v6, 0x80000000, v6
	v_or3_b32 v23, v8, v6, v7
.LBB230_1832:                           ;   in Loop: Header=BB230_1564 Depth=1
	s_or_b32 exec_lo, exec_lo, s15
.LBB230_1833:                           ;   in Loop: Header=BB230_1564 Depth=1
	s_or_b32 exec_lo, exec_lo, s13
.LBB230_1834:                           ;   in Loop: Header=BB230_1564 Depth=1
	s_or_b32 exec_lo, exec_lo, s7
	v_or_b32_e32 v6, v21, v19
	v_or_b32_e32 v7, v20, v18
	;; [unrolled: 1-line block ×4, first 2 shown]
	v_mul_f32_e32 v6, v59, v6
	buffer_store_dword v6, off, s[0:3], s32 offset:436 ; 4-byte Folded Spill
	v_mul_f32_e32 v6, v41, v7
	buffer_store_dword v6, off, s[0:3], s32 offset:444 ; 4-byte Folded Spill
	;; [unrolled: 2-line block ×4, first 2 shown]
	s_and_saveexec_b32 s7, vcc_lo
	s_cbranch_execz .LBB230_1836
; %bb.1835:                             ;   in Loop: Header=BB230_1564 Depth=1
	buffer_load_dword v6, off, s[0:3], s32 offset:444 ; 4-byte Folded Reload
	v_cmp_lt_i32_e64 s4, v93, v73
	s_waitcnt vmcnt(0)
	v_cndmask_b32_e64 v6, 0, v6, s4
	v_cmp_lt_i32_e64 s4, v95, v73
	buffer_store_dword v6, off, s[0:3], s32 offset:444 ; 4-byte Folded Spill
	buffer_load_dword v6, off, s[0:3], s32 offset:436 ; 4-byte Folded Reload
	s_waitcnt vmcnt(0)
	v_cndmask_b32_e64 v6, 0, v6, s4
	v_cmp_lt_i32_e64 s4, v94, v73
	buffer_store_dword v6, off, s[0:3], s32 offset:436 ; 4-byte Folded Spill
	buffer_load_dword v6, off, s[0:3], s32 offset:428 ; 4-byte Folded Reload
	;; [unrolled: 5-line block ×3, first 2 shown]
	s_waitcnt vmcnt(0)
	v_cndmask_b32_e64 v6, 0, v6, s4
	buffer_store_dword v6, off, s[0:3], s32 offset:420 ; 4-byte Folded Spill
.LBB230_1836:                           ;   in Loop: Header=BB230_1564 Depth=1
	s_or_b32 exec_lo, exec_lo, s7
	flat_load_dword v6, v[0:1] offset:1024
	v_mov_b32_e32 v20, 0
	v_mov_b32_e32 v18, 0
	;; [unrolled: 1-line block ×4, first 2 shown]
	s_waitcnt vmcnt(0) lgkmcnt(0)
	v_cmp_ne_u16_sdwa s4, v6, v9 src0_sel:BYTE_0 src1_sel:DWORD
	s_and_saveexec_b32 s7, s4
	s_cbranch_execz .LBB230_1844
; %bb.1837:                             ;   in Loop: Header=BB230_1564 Depth=1
	v_bfrev_b32_e32 v18, 1
	v_mov_b32_e32 v19, 0
	v_cmp_ne_u16_sdwa s4, v6, v42 src0_sel:BYTE_0 src1_sel:DWORD
	s_and_saveexec_b32 s13, s4
	s_cbranch_execz .LBB230_1843
; %bb.1838:                             ;   in Loop: Header=BB230_1564 Depth=1
	v_mov_b32_e32 v18, 0x7f800001
	v_and_b32_e32 v10, 0x7f, v6
	v_mov_b32_e32 v19, 0
	s_mov_b32 s15, exec_lo
	v_cmpx_ne_u32_e32 0x7f, v10
	s_cbranch_execz .LBB230_1842
; %bb.1839:                             ;   in Loop: Header=BB230_1564 Depth=1
	v_and_b32_e32 v8, 7, v6
	v_lshrrev_b32_e32 v7, 3, v10
	s_mov_b32 s18, exec_lo
	v_cmpx_gt_u32_e32 8, v10
; %bb.1840:                             ;   in Loop: Header=BB230_1564 Depth=1
	v_ffbh_u32_e32 v7, v8
	v_min_u32_e32 v7, 32, v7
	v_subrev_nc_u32_e32 v10, 28, v7
	v_sub_nc_u32_e32 v7, 29, v7
	v_lshlrev_b64 v[18:19], v10, v[8:9]
	v_and_b32_e32 v8, 7, v18
; %bb.1841:                             ;   in Loop: Header=BB230_1564 Depth=1
	s_or_b32 exec_lo, exec_lo, s18
	v_lshlrev_b32_e32 v10, 24, v6
	v_lshlrev_b32_e32 v8, 20, v8
	v_lshl_add_u32 v7, v7, 23, 0x3c000000
	v_and_b32_e32 v10, 0x80000000, v10
	v_or3_b32 v8, v8, v10, v7
	v_mov_b32_e32 v19, v9
	v_mov_b32_e32 v18, v8
.LBB230_1842:                           ;   in Loop: Header=BB230_1564 Depth=1
	s_or_b32 exec_lo, exec_lo, s15
.LBB230_1843:                           ;   in Loop: Header=BB230_1564 Depth=1
	s_or_b32 exec_lo, exec_lo, s13
.LBB230_1844:                           ;   in Loop: Header=BB230_1564 Depth=1
	s_or_b32 exec_lo, exec_lo, s7
	v_cmp_ne_u16_sdwa s4, v6, v9 src0_sel:BYTE_1 src1_sel:DWORD
	s_and_saveexec_b32 s7, s4
	s_cbranch_execz .LBB230_1852
; %bb.1845:                             ;   in Loop: Header=BB230_1564 Depth=1
	v_mov_b32_e32 v104, v9
	v_cmp_ne_u16_sdwa s4, v6, v42 src0_sel:BYTE_1 src1_sel:DWORD
	v_mov_b32_e32 v20, v104
	v_mov_b32_e32 v21, v105
	s_and_saveexec_b32 s13, s4
	s_cbranch_execz .LBB230_1851
; %bb.1846:                             ;   in Loop: Header=BB230_1564 Depth=1
	v_mov_b32_e32 v7, 0xffff
	v_mov_b32_e32 v12, v9
	v_mov_b32_e32 v21, v13
	s_mov_b32 s15, exec_lo
	v_and_b32_sdwa v7, v7, v6 dst_sel:DWORD dst_unused:UNUSED_PAD src0_sel:DWORD src1_sel:BYTE_1
	v_mov_b32_e32 v20, v12
	v_and_b32_e32 v10, 0x7f, v7
	v_cmpx_ne_u32_e32 0x7f, v10
	s_cbranch_execz .LBB230_1850
; %bb.1847:                             ;   in Loop: Header=BB230_1564 Depth=1
	v_and_b32_e32 v8, 7, v7
	v_lshrrev_b32_e32 v7, 3, v10
	s_mov_b32 s18, exec_lo
	v_cmpx_gt_u32_e32 8, v10
; %bb.1848:                             ;   in Loop: Header=BB230_1564 Depth=1
	v_ffbh_u32_e32 v7, v8
	v_min_u32_e32 v7, 32, v7
	v_subrev_nc_u32_e32 v10, 28, v7
	v_sub_nc_u32_e32 v7, 29, v7
	v_lshlrev_b64 v[20:21], v10, v[8:9]
	v_and_b32_e32 v8, 7, v20
; %bb.1849:                             ;   in Loop: Header=BB230_1564 Depth=1
	s_or_b32 exec_lo, exec_lo, s18
	v_lshlrev_b32_e32 v10, 16, v6
	v_lshlrev_b32_e32 v8, 20, v8
	v_lshl_add_u32 v7, v7, 23, 0x3c000000
	v_mov_b32_e32 v20, v9
	v_and_b32_e32 v10, 0x80000000, v10
	v_or3_b32 v21, v8, v10, v7
.LBB230_1850:                           ;   in Loop: Header=BB230_1564 Depth=1
	s_or_b32 exec_lo, exec_lo, s15
.LBB230_1851:                           ;   in Loop: Header=BB230_1564 Depth=1
	s_or_b32 exec_lo, exec_lo, s13
.LBB230_1852:                           ;   in Loop: Header=BB230_1564 Depth=1
	s_or_b32 exec_lo, exec_lo, s7
	v_mov_b32_e32 v22, 0
	v_mov_b32_e32 v24, 0
	v_and_b32_sdwa v7, v6, v44 dst_sel:DWORD dst_unused:UNUSED_PAD src0_sel:WORD_1 src1_sel:DWORD
	v_mov_b32_e32 v23, 0
	v_mov_b32_e32 v25, 0
	s_mov_b32 s7, exec_lo
	v_cmpx_ne_u16_e32 0, v7
	s_cbranch_execz .LBB230_1860
; %bb.1853:                             ;   in Loop: Header=BB230_1564 Depth=1
	v_bfrev_b32_e32 v24, 1
	v_mov_b32_e32 v25, 0
	s_mov_b32 s13, exec_lo
	v_cmpx_ne_u16_e32 0x80, v7
	s_cbranch_execz .LBB230_1859
; %bb.1854:                             ;   in Loop: Header=BB230_1564 Depth=1
	v_mov_b32_e32 v24, 0x7f800001
	v_bfe_u32 v10, v6, 16, 7
	v_mov_b32_e32 v25, 0
	s_mov_b32 s15, exec_lo
	v_cmpx_ne_u32_e32 0x7f, v10
	s_cbranch_execz .LBB230_1858
; %bb.1855:                             ;   in Loop: Header=BB230_1564 Depth=1
	v_mov_b32_e32 v7, 7
	s_mov_b32 s18, exec_lo
	v_and_b32_sdwa v8, v6, v7 dst_sel:DWORD dst_unused:UNUSED_PAD src0_sel:WORD_1 src1_sel:DWORD
	v_lshrrev_b32_e32 v7, 3, v10
	v_cmpx_gt_u32_e32 8, v10
; %bb.1856:                             ;   in Loop: Header=BB230_1564 Depth=1
	v_ffbh_u32_e32 v7, v8
	v_min_u32_e32 v7, 32, v7
	v_subrev_nc_u32_e32 v10, 28, v7
	v_sub_nc_u32_e32 v7, 29, v7
	v_lshlrev_b64 v[24:25], v10, v[8:9]
	v_and_b32_e32 v8, 7, v24
; %bb.1857:                             ;   in Loop: Header=BB230_1564 Depth=1
	s_or_b32 exec_lo, exec_lo, s18
	v_mov_b32_e32 v10, 24
	v_lshlrev_b32_e32 v8, 20, v8
	v_lshl_add_u32 v7, v7, 23, 0x3c000000
	v_lshlrev_b32_sdwa v10, v10, v6 dst_sel:DWORD dst_unused:UNUSED_PAD src0_sel:DWORD src1_sel:WORD_1
	v_and_b32_e32 v10, 0x80000000, v10
	v_or3_b32 v8, v8, v10, v7
	v_mov_b32_e32 v25, v9
	v_mov_b32_e32 v24, v8
.LBB230_1858:                           ;   in Loop: Header=BB230_1564 Depth=1
	s_or_b32 exec_lo, exec_lo, s15
.LBB230_1859:                           ;   in Loop: Header=BB230_1564 Depth=1
	s_or_b32 exec_lo, exec_lo, s13
.LBB230_1860:                           ;   in Loop: Header=BB230_1564 Depth=1
	s_or_b32 exec_lo, exec_lo, s7
	s_mov_b32 s7, exec_lo
	v_cmpx_lt_u32_e32 0xffffff, v6
	s_cbranch_execz .LBB230_1868
; %bb.1861:                             ;   in Loop: Header=BB230_1564 Depth=1
	v_mov_b32_e32 v104, v9
	v_cmp_ne_u32_sdwa s4, v6, v42 src0_sel:BYTE_3 src1_sel:DWORD
	v_mov_b32_e32 v22, v104
	v_mov_b32_e32 v23, v105
	s_and_saveexec_b32 s13, s4
	s_cbranch_execz .LBB230_1867
; %bb.1862:                             ;   in Loop: Header=BB230_1564 Depth=1
	v_mov_b32_e32 v12, v9
	v_mov_b32_e32 v23, v13
	v_bfe_u32 v10, v6, 24, 7
	s_mov_b32 s15, exec_lo
	v_mov_b32_e32 v22, v12
	v_cmpx_ne_u32_e32 0x7f, v10
	s_cbranch_execz .LBB230_1866
; %bb.1863:                             ;   in Loop: Header=BB230_1564 Depth=1
	v_mov_b32_e32 v7, 7
	s_mov_b32 s18, exec_lo
	v_and_b32_sdwa v8, v6, v7 dst_sel:DWORD dst_unused:UNUSED_PAD src0_sel:BYTE_3 src1_sel:DWORD
	v_lshrrev_b32_e32 v7, 3, v10
	v_cmpx_gt_u32_e32 8, v10
; %bb.1864:                             ;   in Loop: Header=BB230_1564 Depth=1
	v_ffbh_u32_e32 v7, v8
	v_min_u32_e32 v7, 32, v7
	v_subrev_nc_u32_e32 v10, 28, v7
	v_sub_nc_u32_e32 v7, 29, v7
	v_lshlrev_b64 v[22:23], v10, v[8:9]
	v_and_b32_e32 v8, 7, v22
; %bb.1865:                             ;   in Loop: Header=BB230_1564 Depth=1
	s_or_b32 exec_lo, exec_lo, s18
	v_mov_b32_e32 v10, 24
	v_lshlrev_b32_e32 v8, 20, v8
	v_lshl_add_u32 v7, v7, 23, 0x3c000000
	v_mov_b32_e32 v22, v9
	v_lshlrev_b32_sdwa v6, v10, v6 dst_sel:DWORD dst_unused:UNUSED_PAD src0_sel:DWORD src1_sel:BYTE_3
	v_and_b32_e32 v6, 0x80000000, v6
	v_or3_b32 v23, v8, v6, v7
.LBB230_1866:                           ;   in Loop: Header=BB230_1564 Depth=1
	s_or_b32 exec_lo, exec_lo, s15
.LBB230_1867:                           ;   in Loop: Header=BB230_1564 Depth=1
	s_or_b32 exec_lo, exec_lo, s13
.LBB230_1868:                           ;   in Loop: Header=BB230_1564 Depth=1
	s_or_b32 exec_lo, exec_lo, s7
	v_or_b32_e32 v6, v21, v19
	v_or_b32_e32 v7, v20, v18
	;; [unrolled: 1-line block ×4, first 2 shown]
	v_mul_f32_e32 v6, v59, v6
	buffer_store_dword v6, off, s[0:3], s32 offset:476 ; 4-byte Folded Spill
	v_mul_f32_e32 v6, v41, v7
	buffer_store_dword v6, off, s[0:3], s32 offset:468 ; 4-byte Folded Spill
	;; [unrolled: 2-line block ×4, first 2 shown]
	s_and_saveexec_b32 s7, vcc_lo
	s_cbranch_execz .LBB230_1870
; %bb.1869:                             ;   in Loop: Header=BB230_1564 Depth=1
	buffer_load_dword v6, off, s[0:3], s32 offset:468 ; 4-byte Folded Reload
	v_cmp_lt_i32_e64 s4, v93, v73
	s_waitcnt vmcnt(0)
	v_cndmask_b32_e64 v6, 0, v6, s4
	v_cmp_lt_i32_e64 s4, v95, v73
	buffer_store_dword v6, off, s[0:3], s32 offset:468 ; 4-byte Folded Spill
	buffer_load_dword v6, off, s[0:3], s32 offset:476 ; 4-byte Folded Reload
	s_waitcnt vmcnt(0)
	v_cndmask_b32_e64 v6, 0, v6, s4
	v_cmp_lt_i32_e64 s4, v94, v73
	buffer_store_dword v6, off, s[0:3], s32 offset:476 ; 4-byte Folded Spill
	buffer_load_dword v6, off, s[0:3], s32 offset:460 ; 4-byte Folded Reload
	;; [unrolled: 5-line block ×3, first 2 shown]
	s_waitcnt vmcnt(0)
	v_cndmask_b32_e64 v6, 0, v6, s4
	buffer_store_dword v6, off, s[0:3], s32 offset:452 ; 4-byte Folded Spill
.LBB230_1870:                           ;   in Loop: Header=BB230_1564 Depth=1
	s_or_b32 exec_lo, exec_lo, s7
	flat_load_dword v6, v[0:1] offset:1152
	v_mov_b32_e32 v20, 0
	v_mov_b32_e32 v18, 0
	;; [unrolled: 1-line block ×4, first 2 shown]
	s_waitcnt vmcnt(0) lgkmcnt(0)
	v_cmp_ne_u16_sdwa s4, v6, v9 src0_sel:BYTE_0 src1_sel:DWORD
	s_and_saveexec_b32 s7, s4
	s_cbranch_execz .LBB230_1878
; %bb.1871:                             ;   in Loop: Header=BB230_1564 Depth=1
	v_bfrev_b32_e32 v18, 1
	v_mov_b32_e32 v19, 0
	v_cmp_ne_u16_sdwa s4, v6, v42 src0_sel:BYTE_0 src1_sel:DWORD
	s_and_saveexec_b32 s13, s4
	s_cbranch_execz .LBB230_1877
; %bb.1872:                             ;   in Loop: Header=BB230_1564 Depth=1
	v_mov_b32_e32 v18, 0x7f800001
	v_and_b32_e32 v10, 0x7f, v6
	v_mov_b32_e32 v19, 0
	s_mov_b32 s15, exec_lo
	v_cmpx_ne_u32_e32 0x7f, v10
	s_cbranch_execz .LBB230_1876
; %bb.1873:                             ;   in Loop: Header=BB230_1564 Depth=1
	v_and_b32_e32 v8, 7, v6
	v_lshrrev_b32_e32 v7, 3, v10
	s_mov_b32 s18, exec_lo
	v_cmpx_gt_u32_e32 8, v10
; %bb.1874:                             ;   in Loop: Header=BB230_1564 Depth=1
	v_ffbh_u32_e32 v7, v8
	v_min_u32_e32 v7, 32, v7
	v_subrev_nc_u32_e32 v10, 28, v7
	v_sub_nc_u32_e32 v7, 29, v7
	v_lshlrev_b64 v[18:19], v10, v[8:9]
	v_and_b32_e32 v8, 7, v18
; %bb.1875:                             ;   in Loop: Header=BB230_1564 Depth=1
	s_or_b32 exec_lo, exec_lo, s18
	v_lshlrev_b32_e32 v10, 24, v6
	v_lshlrev_b32_e32 v8, 20, v8
	v_lshl_add_u32 v7, v7, 23, 0x3c000000
	v_and_b32_e32 v10, 0x80000000, v10
	v_or3_b32 v8, v8, v10, v7
	v_mov_b32_e32 v19, v9
	v_mov_b32_e32 v18, v8
.LBB230_1876:                           ;   in Loop: Header=BB230_1564 Depth=1
	s_or_b32 exec_lo, exec_lo, s15
.LBB230_1877:                           ;   in Loop: Header=BB230_1564 Depth=1
	s_or_b32 exec_lo, exec_lo, s13
.LBB230_1878:                           ;   in Loop: Header=BB230_1564 Depth=1
	s_or_b32 exec_lo, exec_lo, s7
	v_cmp_ne_u16_sdwa s4, v6, v9 src0_sel:BYTE_1 src1_sel:DWORD
	s_and_saveexec_b32 s7, s4
	s_cbranch_execz .LBB230_1886
; %bb.1879:                             ;   in Loop: Header=BB230_1564 Depth=1
	v_mov_b32_e32 v104, v9
	v_cmp_ne_u16_sdwa s4, v6, v42 src0_sel:BYTE_1 src1_sel:DWORD
	v_mov_b32_e32 v20, v104
	v_mov_b32_e32 v21, v105
	s_and_saveexec_b32 s13, s4
	s_cbranch_execz .LBB230_1885
; %bb.1880:                             ;   in Loop: Header=BB230_1564 Depth=1
	v_mov_b32_e32 v7, 0xffff
	v_mov_b32_e32 v12, v9
	;; [unrolled: 1-line block ×3, first 2 shown]
	s_mov_b32 s15, exec_lo
	v_and_b32_sdwa v7, v7, v6 dst_sel:DWORD dst_unused:UNUSED_PAD src0_sel:DWORD src1_sel:BYTE_1
	v_mov_b32_e32 v20, v12
	v_and_b32_e32 v10, 0x7f, v7
	v_cmpx_ne_u32_e32 0x7f, v10
	s_cbranch_execz .LBB230_1884
; %bb.1881:                             ;   in Loop: Header=BB230_1564 Depth=1
	v_and_b32_e32 v8, 7, v7
	v_lshrrev_b32_e32 v7, 3, v10
	s_mov_b32 s18, exec_lo
	v_cmpx_gt_u32_e32 8, v10
; %bb.1882:                             ;   in Loop: Header=BB230_1564 Depth=1
	v_ffbh_u32_e32 v7, v8
	v_min_u32_e32 v7, 32, v7
	v_subrev_nc_u32_e32 v10, 28, v7
	v_sub_nc_u32_e32 v7, 29, v7
	v_lshlrev_b64 v[20:21], v10, v[8:9]
	v_and_b32_e32 v8, 7, v20
; %bb.1883:                             ;   in Loop: Header=BB230_1564 Depth=1
	s_or_b32 exec_lo, exec_lo, s18
	v_lshlrev_b32_e32 v10, 16, v6
	v_lshlrev_b32_e32 v8, 20, v8
	v_lshl_add_u32 v7, v7, 23, 0x3c000000
	v_mov_b32_e32 v20, v9
	v_and_b32_e32 v10, 0x80000000, v10
	v_or3_b32 v21, v8, v10, v7
.LBB230_1884:                           ;   in Loop: Header=BB230_1564 Depth=1
	s_or_b32 exec_lo, exec_lo, s15
.LBB230_1885:                           ;   in Loop: Header=BB230_1564 Depth=1
	s_or_b32 exec_lo, exec_lo, s13
.LBB230_1886:                           ;   in Loop: Header=BB230_1564 Depth=1
	s_or_b32 exec_lo, exec_lo, s7
	v_mov_b32_e32 v22, 0
	v_mov_b32_e32 v24, 0
	v_and_b32_sdwa v7, v6, v44 dst_sel:DWORD dst_unused:UNUSED_PAD src0_sel:WORD_1 src1_sel:DWORD
	v_mov_b32_e32 v23, 0
	v_mov_b32_e32 v25, 0
	s_mov_b32 s7, exec_lo
	v_cmpx_ne_u16_e32 0, v7
	s_cbranch_execz .LBB230_1894
; %bb.1887:                             ;   in Loop: Header=BB230_1564 Depth=1
	v_bfrev_b32_e32 v24, 1
	v_mov_b32_e32 v25, 0
	s_mov_b32 s13, exec_lo
	v_cmpx_ne_u16_e32 0x80, v7
	s_cbranch_execz .LBB230_1893
; %bb.1888:                             ;   in Loop: Header=BB230_1564 Depth=1
	v_mov_b32_e32 v24, 0x7f800001
	v_bfe_u32 v10, v6, 16, 7
	v_mov_b32_e32 v25, 0
	s_mov_b32 s15, exec_lo
	v_cmpx_ne_u32_e32 0x7f, v10
	s_cbranch_execz .LBB230_1892
; %bb.1889:                             ;   in Loop: Header=BB230_1564 Depth=1
	v_mov_b32_e32 v7, 7
	s_mov_b32 s18, exec_lo
	v_and_b32_sdwa v8, v6, v7 dst_sel:DWORD dst_unused:UNUSED_PAD src0_sel:WORD_1 src1_sel:DWORD
	v_lshrrev_b32_e32 v7, 3, v10
	v_cmpx_gt_u32_e32 8, v10
; %bb.1890:                             ;   in Loop: Header=BB230_1564 Depth=1
	v_ffbh_u32_e32 v7, v8
	v_min_u32_e32 v7, 32, v7
	v_subrev_nc_u32_e32 v10, 28, v7
	v_sub_nc_u32_e32 v7, 29, v7
	v_lshlrev_b64 v[24:25], v10, v[8:9]
	v_and_b32_e32 v8, 7, v24
; %bb.1891:                             ;   in Loop: Header=BB230_1564 Depth=1
	s_or_b32 exec_lo, exec_lo, s18
	v_mov_b32_e32 v10, 24
	v_lshlrev_b32_e32 v8, 20, v8
	v_lshl_add_u32 v7, v7, 23, 0x3c000000
	v_lshlrev_b32_sdwa v10, v10, v6 dst_sel:DWORD dst_unused:UNUSED_PAD src0_sel:DWORD src1_sel:WORD_1
	v_and_b32_e32 v10, 0x80000000, v10
	v_or3_b32 v8, v8, v10, v7
	v_mov_b32_e32 v25, v9
	v_mov_b32_e32 v24, v8
.LBB230_1892:                           ;   in Loop: Header=BB230_1564 Depth=1
	s_or_b32 exec_lo, exec_lo, s15
.LBB230_1893:                           ;   in Loop: Header=BB230_1564 Depth=1
	s_or_b32 exec_lo, exec_lo, s13
.LBB230_1894:                           ;   in Loop: Header=BB230_1564 Depth=1
	s_or_b32 exec_lo, exec_lo, s7
	s_mov_b32 s7, exec_lo
	v_cmpx_lt_u32_e32 0xffffff, v6
	s_cbranch_execz .LBB230_1902
; %bb.1895:                             ;   in Loop: Header=BB230_1564 Depth=1
	v_mov_b32_e32 v104, v9
	v_cmp_ne_u32_sdwa s4, v6, v42 src0_sel:BYTE_3 src1_sel:DWORD
	v_mov_b32_e32 v22, v104
	v_mov_b32_e32 v23, v105
	s_and_saveexec_b32 s13, s4
	s_cbranch_execz .LBB230_1901
; %bb.1896:                             ;   in Loop: Header=BB230_1564 Depth=1
	v_mov_b32_e32 v12, v9
	v_mov_b32_e32 v23, v13
	v_bfe_u32 v10, v6, 24, 7
	s_mov_b32 s15, exec_lo
	v_mov_b32_e32 v22, v12
	v_cmpx_ne_u32_e32 0x7f, v10
	s_cbranch_execz .LBB230_1900
; %bb.1897:                             ;   in Loop: Header=BB230_1564 Depth=1
	v_mov_b32_e32 v7, 7
	s_mov_b32 s18, exec_lo
	v_and_b32_sdwa v8, v6, v7 dst_sel:DWORD dst_unused:UNUSED_PAD src0_sel:BYTE_3 src1_sel:DWORD
	v_lshrrev_b32_e32 v7, 3, v10
	v_cmpx_gt_u32_e32 8, v10
; %bb.1898:                             ;   in Loop: Header=BB230_1564 Depth=1
	v_ffbh_u32_e32 v7, v8
	v_min_u32_e32 v7, 32, v7
	v_subrev_nc_u32_e32 v10, 28, v7
	v_sub_nc_u32_e32 v7, 29, v7
	v_lshlrev_b64 v[22:23], v10, v[8:9]
	v_and_b32_e32 v8, 7, v22
; %bb.1899:                             ;   in Loop: Header=BB230_1564 Depth=1
	s_or_b32 exec_lo, exec_lo, s18
	v_mov_b32_e32 v10, 24
	v_lshlrev_b32_e32 v8, 20, v8
	v_lshl_add_u32 v7, v7, 23, 0x3c000000
	v_mov_b32_e32 v22, v9
	v_lshlrev_b32_sdwa v6, v10, v6 dst_sel:DWORD dst_unused:UNUSED_PAD src0_sel:DWORD src1_sel:BYTE_3
	v_and_b32_e32 v6, 0x80000000, v6
	v_or3_b32 v23, v8, v6, v7
.LBB230_1900:                           ;   in Loop: Header=BB230_1564 Depth=1
	s_or_b32 exec_lo, exec_lo, s15
.LBB230_1901:                           ;   in Loop: Header=BB230_1564 Depth=1
	s_or_b32 exec_lo, exec_lo, s13
.LBB230_1902:                           ;   in Loop: Header=BB230_1564 Depth=1
	s_or_b32 exec_lo, exec_lo, s7
	v_or_b32_e32 v6, v21, v19
	v_or_b32_e32 v7, v20, v18
	;; [unrolled: 1-line block ×4, first 2 shown]
	v_mul_f32_e32 v6, v59, v6
	buffer_store_dword v6, off, s[0:3], s32 offset:508 ; 4-byte Folded Spill
	v_mul_f32_e32 v6, v41, v7
	buffer_store_dword v6, off, s[0:3], s32 offset:500 ; 4-byte Folded Spill
	v_mul_f32_e32 v6, v41, v8
	buffer_store_dword v6, off, s[0:3], s32 offset:492 ; 4-byte Folded Spill
	v_mul_f32_e32 v6, v59, v10
	buffer_store_dword v6, off, s[0:3], s32 offset:484 ; 4-byte Folded Spill
	s_and_saveexec_b32 s7, vcc_lo
	s_cbranch_execz .LBB230_1904
; %bb.1903:                             ;   in Loop: Header=BB230_1564 Depth=1
	buffer_load_dword v6, off, s[0:3], s32 offset:500 ; 4-byte Folded Reload
	v_cmp_lt_i32_e64 s4, v93, v73
	s_waitcnt vmcnt(0)
	v_cndmask_b32_e64 v6, 0, v6, s4
	v_cmp_lt_i32_e64 s4, v95, v73
	buffer_store_dword v6, off, s[0:3], s32 offset:500 ; 4-byte Folded Spill
	buffer_load_dword v6, off, s[0:3], s32 offset:508 ; 4-byte Folded Reload
	s_waitcnt vmcnt(0)
	v_cndmask_b32_e64 v6, 0, v6, s4
	v_cmp_lt_i32_e64 s4, v94, v73
	buffer_store_dword v6, off, s[0:3], s32 offset:508 ; 4-byte Folded Spill
	buffer_load_dword v6, off, s[0:3], s32 offset:492 ; 4-byte Folded Reload
	;; [unrolled: 5-line block ×3, first 2 shown]
	s_waitcnt vmcnt(0)
	v_cndmask_b32_e64 v6, 0, v6, s4
	buffer_store_dword v6, off, s[0:3], s32 offset:484 ; 4-byte Folded Spill
.LBB230_1904:                           ;   in Loop: Header=BB230_1564 Depth=1
	s_or_b32 exec_lo, exec_lo, s7
	flat_load_dword v6, v[0:1] offset:1280
	v_mov_b32_e32 v20, 0
	v_mov_b32_e32 v18, 0
	;; [unrolled: 1-line block ×4, first 2 shown]
	s_waitcnt vmcnt(0) lgkmcnt(0)
	v_cmp_ne_u16_sdwa s4, v6, v9 src0_sel:BYTE_0 src1_sel:DWORD
	s_and_saveexec_b32 s7, s4
	s_cbranch_execz .LBB230_1912
; %bb.1905:                             ;   in Loop: Header=BB230_1564 Depth=1
	v_bfrev_b32_e32 v18, 1
	v_mov_b32_e32 v19, 0
	v_cmp_ne_u16_sdwa s4, v6, v42 src0_sel:BYTE_0 src1_sel:DWORD
	s_and_saveexec_b32 s13, s4
	s_cbranch_execz .LBB230_1911
; %bb.1906:                             ;   in Loop: Header=BB230_1564 Depth=1
	v_mov_b32_e32 v18, 0x7f800001
	v_and_b32_e32 v10, 0x7f, v6
	v_mov_b32_e32 v19, 0
	s_mov_b32 s15, exec_lo
	v_cmpx_ne_u32_e32 0x7f, v10
	s_cbranch_execz .LBB230_1910
; %bb.1907:                             ;   in Loop: Header=BB230_1564 Depth=1
	v_and_b32_e32 v8, 7, v6
	v_lshrrev_b32_e32 v7, 3, v10
	s_mov_b32 s18, exec_lo
	v_cmpx_gt_u32_e32 8, v10
; %bb.1908:                             ;   in Loop: Header=BB230_1564 Depth=1
	v_ffbh_u32_e32 v7, v8
	v_min_u32_e32 v7, 32, v7
	v_subrev_nc_u32_e32 v10, 28, v7
	v_sub_nc_u32_e32 v7, 29, v7
	v_lshlrev_b64 v[18:19], v10, v[8:9]
	v_and_b32_e32 v8, 7, v18
; %bb.1909:                             ;   in Loop: Header=BB230_1564 Depth=1
	s_or_b32 exec_lo, exec_lo, s18
	v_lshlrev_b32_e32 v10, 24, v6
	v_lshlrev_b32_e32 v8, 20, v8
	v_lshl_add_u32 v7, v7, 23, 0x3c000000
	v_and_b32_e32 v10, 0x80000000, v10
	v_or3_b32 v8, v8, v10, v7
	v_mov_b32_e32 v19, v9
	v_mov_b32_e32 v18, v8
.LBB230_1910:                           ;   in Loop: Header=BB230_1564 Depth=1
	s_or_b32 exec_lo, exec_lo, s15
.LBB230_1911:                           ;   in Loop: Header=BB230_1564 Depth=1
	s_or_b32 exec_lo, exec_lo, s13
.LBB230_1912:                           ;   in Loop: Header=BB230_1564 Depth=1
	s_or_b32 exec_lo, exec_lo, s7
	v_cmp_ne_u16_sdwa s4, v6, v9 src0_sel:BYTE_1 src1_sel:DWORD
	s_and_saveexec_b32 s7, s4
	s_cbranch_execz .LBB230_1920
; %bb.1913:                             ;   in Loop: Header=BB230_1564 Depth=1
	v_mov_b32_e32 v104, v9
	v_cmp_ne_u16_sdwa s4, v6, v42 src0_sel:BYTE_1 src1_sel:DWORD
	v_mov_b32_e32 v20, v104
	v_mov_b32_e32 v21, v105
	s_and_saveexec_b32 s13, s4
	s_cbranch_execz .LBB230_1919
; %bb.1914:                             ;   in Loop: Header=BB230_1564 Depth=1
	v_mov_b32_e32 v7, 0xffff
	v_mov_b32_e32 v12, v9
	v_mov_b32_e32 v21, v13
	s_mov_b32 s15, exec_lo
	v_and_b32_sdwa v7, v7, v6 dst_sel:DWORD dst_unused:UNUSED_PAD src0_sel:DWORD src1_sel:BYTE_1
	v_mov_b32_e32 v20, v12
	v_and_b32_e32 v10, 0x7f, v7
	v_cmpx_ne_u32_e32 0x7f, v10
	s_cbranch_execz .LBB230_1918
; %bb.1915:                             ;   in Loop: Header=BB230_1564 Depth=1
	v_and_b32_e32 v8, 7, v7
	v_lshrrev_b32_e32 v7, 3, v10
	s_mov_b32 s18, exec_lo
	v_cmpx_gt_u32_e32 8, v10
; %bb.1916:                             ;   in Loop: Header=BB230_1564 Depth=1
	v_ffbh_u32_e32 v7, v8
	v_min_u32_e32 v7, 32, v7
	v_subrev_nc_u32_e32 v10, 28, v7
	v_sub_nc_u32_e32 v7, 29, v7
	v_lshlrev_b64 v[20:21], v10, v[8:9]
	v_and_b32_e32 v8, 7, v20
; %bb.1917:                             ;   in Loop: Header=BB230_1564 Depth=1
	s_or_b32 exec_lo, exec_lo, s18
	v_lshlrev_b32_e32 v10, 16, v6
	v_lshlrev_b32_e32 v8, 20, v8
	v_lshl_add_u32 v7, v7, 23, 0x3c000000
	v_mov_b32_e32 v20, v9
	v_and_b32_e32 v10, 0x80000000, v10
	v_or3_b32 v21, v8, v10, v7
.LBB230_1918:                           ;   in Loop: Header=BB230_1564 Depth=1
	s_or_b32 exec_lo, exec_lo, s15
.LBB230_1919:                           ;   in Loop: Header=BB230_1564 Depth=1
	s_or_b32 exec_lo, exec_lo, s13
.LBB230_1920:                           ;   in Loop: Header=BB230_1564 Depth=1
	s_or_b32 exec_lo, exec_lo, s7
	v_mov_b32_e32 v22, 0
	v_mov_b32_e32 v24, 0
	v_and_b32_sdwa v7, v6, v44 dst_sel:DWORD dst_unused:UNUSED_PAD src0_sel:WORD_1 src1_sel:DWORD
	v_mov_b32_e32 v23, 0
	v_mov_b32_e32 v25, 0
	s_mov_b32 s7, exec_lo
	v_cmpx_ne_u16_e32 0, v7
	s_cbranch_execz .LBB230_1928
; %bb.1921:                             ;   in Loop: Header=BB230_1564 Depth=1
	v_bfrev_b32_e32 v24, 1
	v_mov_b32_e32 v25, 0
	s_mov_b32 s13, exec_lo
	v_cmpx_ne_u16_e32 0x80, v7
	s_cbranch_execz .LBB230_1927
; %bb.1922:                             ;   in Loop: Header=BB230_1564 Depth=1
	v_mov_b32_e32 v24, 0x7f800001
	v_bfe_u32 v10, v6, 16, 7
	v_mov_b32_e32 v25, 0
	s_mov_b32 s15, exec_lo
	v_cmpx_ne_u32_e32 0x7f, v10
	s_cbranch_execz .LBB230_1926
; %bb.1923:                             ;   in Loop: Header=BB230_1564 Depth=1
	v_mov_b32_e32 v7, 7
	s_mov_b32 s18, exec_lo
	v_and_b32_sdwa v8, v6, v7 dst_sel:DWORD dst_unused:UNUSED_PAD src0_sel:WORD_1 src1_sel:DWORD
	v_lshrrev_b32_e32 v7, 3, v10
	v_cmpx_gt_u32_e32 8, v10
; %bb.1924:                             ;   in Loop: Header=BB230_1564 Depth=1
	v_ffbh_u32_e32 v7, v8
	v_min_u32_e32 v7, 32, v7
	v_subrev_nc_u32_e32 v10, 28, v7
	v_sub_nc_u32_e32 v7, 29, v7
	v_lshlrev_b64 v[24:25], v10, v[8:9]
	v_and_b32_e32 v8, 7, v24
; %bb.1925:                             ;   in Loop: Header=BB230_1564 Depth=1
	s_or_b32 exec_lo, exec_lo, s18
	v_mov_b32_e32 v10, 24
	v_lshlrev_b32_e32 v8, 20, v8
	v_lshl_add_u32 v7, v7, 23, 0x3c000000
	v_lshlrev_b32_sdwa v10, v10, v6 dst_sel:DWORD dst_unused:UNUSED_PAD src0_sel:DWORD src1_sel:WORD_1
	v_and_b32_e32 v10, 0x80000000, v10
	v_or3_b32 v8, v8, v10, v7
	v_mov_b32_e32 v25, v9
	v_mov_b32_e32 v24, v8
.LBB230_1926:                           ;   in Loop: Header=BB230_1564 Depth=1
	s_or_b32 exec_lo, exec_lo, s15
.LBB230_1927:                           ;   in Loop: Header=BB230_1564 Depth=1
	s_or_b32 exec_lo, exec_lo, s13
.LBB230_1928:                           ;   in Loop: Header=BB230_1564 Depth=1
	s_or_b32 exec_lo, exec_lo, s7
	s_mov_b32 s7, exec_lo
	v_cmpx_lt_u32_e32 0xffffff, v6
	s_cbranch_execz .LBB230_1936
; %bb.1929:                             ;   in Loop: Header=BB230_1564 Depth=1
	v_mov_b32_e32 v104, v9
	v_cmp_ne_u32_sdwa s4, v6, v42 src0_sel:BYTE_3 src1_sel:DWORD
	v_mov_b32_e32 v22, v104
	v_mov_b32_e32 v23, v105
	s_and_saveexec_b32 s13, s4
	s_cbranch_execz .LBB230_1935
; %bb.1930:                             ;   in Loop: Header=BB230_1564 Depth=1
	v_mov_b32_e32 v12, v9
	v_mov_b32_e32 v23, v13
	v_bfe_u32 v10, v6, 24, 7
	s_mov_b32 s15, exec_lo
	v_mov_b32_e32 v22, v12
	v_cmpx_ne_u32_e32 0x7f, v10
	s_cbranch_execz .LBB230_1934
; %bb.1931:                             ;   in Loop: Header=BB230_1564 Depth=1
	v_mov_b32_e32 v7, 7
	s_mov_b32 s18, exec_lo
	v_and_b32_sdwa v8, v6, v7 dst_sel:DWORD dst_unused:UNUSED_PAD src0_sel:BYTE_3 src1_sel:DWORD
	v_lshrrev_b32_e32 v7, 3, v10
	v_cmpx_gt_u32_e32 8, v10
; %bb.1932:                             ;   in Loop: Header=BB230_1564 Depth=1
	v_ffbh_u32_e32 v7, v8
	v_min_u32_e32 v7, 32, v7
	v_subrev_nc_u32_e32 v10, 28, v7
	v_sub_nc_u32_e32 v7, 29, v7
	v_lshlrev_b64 v[22:23], v10, v[8:9]
	v_and_b32_e32 v8, 7, v22
; %bb.1933:                             ;   in Loop: Header=BB230_1564 Depth=1
	s_or_b32 exec_lo, exec_lo, s18
	v_mov_b32_e32 v10, 24
	v_lshlrev_b32_e32 v8, 20, v8
	v_lshl_add_u32 v7, v7, 23, 0x3c000000
	v_mov_b32_e32 v22, v9
	v_lshlrev_b32_sdwa v6, v10, v6 dst_sel:DWORD dst_unused:UNUSED_PAD src0_sel:DWORD src1_sel:BYTE_3
	v_and_b32_e32 v6, 0x80000000, v6
	v_or3_b32 v23, v8, v6, v7
.LBB230_1934:                           ;   in Loop: Header=BB230_1564 Depth=1
	s_or_b32 exec_lo, exec_lo, s15
.LBB230_1935:                           ;   in Loop: Header=BB230_1564 Depth=1
	s_or_b32 exec_lo, exec_lo, s13
.LBB230_1936:                           ;   in Loop: Header=BB230_1564 Depth=1
	s_or_b32 exec_lo, exec_lo, s7
	v_or_b32_e32 v6, v21, v19
	v_or_b32_e32 v7, v20, v18
	;; [unrolled: 1-line block ×4, first 2 shown]
	v_mul_f32_e32 v6, v59, v6
	buffer_store_dword v6, off, s[0:3], s32 offset:532 ; 4-byte Folded Spill
	v_mul_f32_e32 v6, v41, v7
	buffer_store_dword v6, off, s[0:3], s32 offset:540 ; 4-byte Folded Spill
	v_mul_f32_e32 v6, v41, v8
	buffer_store_dword v6, off, s[0:3], s32 offset:524 ; 4-byte Folded Spill
	v_mul_f32_e32 v6, v59, v10
	buffer_store_dword v6, off, s[0:3], s32 offset:516 ; 4-byte Folded Spill
	s_and_saveexec_b32 s7, vcc_lo
	s_cbranch_execz .LBB230_1938
; %bb.1937:                             ;   in Loop: Header=BB230_1564 Depth=1
	buffer_load_dword v6, off, s[0:3], s32 offset:540 ; 4-byte Folded Reload
	v_cmp_lt_i32_e64 s4, v93, v73
	s_waitcnt vmcnt(0)
	v_cndmask_b32_e64 v6, 0, v6, s4
	v_cmp_lt_i32_e64 s4, v95, v73
	buffer_store_dword v6, off, s[0:3], s32 offset:540 ; 4-byte Folded Spill
	buffer_load_dword v6, off, s[0:3], s32 offset:532 ; 4-byte Folded Reload
	s_waitcnt vmcnt(0)
	v_cndmask_b32_e64 v6, 0, v6, s4
	v_cmp_lt_i32_e64 s4, v94, v73
	buffer_store_dword v6, off, s[0:3], s32 offset:532 ; 4-byte Folded Spill
	buffer_load_dword v6, off, s[0:3], s32 offset:524 ; 4-byte Folded Reload
	;; [unrolled: 5-line block ×3, first 2 shown]
	s_waitcnt vmcnt(0)
	v_cndmask_b32_e64 v6, 0, v6, s4
	buffer_store_dword v6, off, s[0:3], s32 offset:516 ; 4-byte Folded Spill
.LBB230_1938:                           ;   in Loop: Header=BB230_1564 Depth=1
	s_or_b32 exec_lo, exec_lo, s7
	flat_load_dword v6, v[0:1] offset:1408
	v_mov_b32_e32 v20, 0
	v_mov_b32_e32 v18, 0
	;; [unrolled: 1-line block ×4, first 2 shown]
	s_waitcnt vmcnt(0) lgkmcnt(0)
	v_cmp_ne_u16_sdwa s4, v6, v9 src0_sel:BYTE_0 src1_sel:DWORD
	s_and_saveexec_b32 s7, s4
	s_cbranch_execz .LBB230_1946
; %bb.1939:                             ;   in Loop: Header=BB230_1564 Depth=1
	v_bfrev_b32_e32 v18, 1
	v_mov_b32_e32 v19, 0
	v_cmp_ne_u16_sdwa s4, v6, v42 src0_sel:BYTE_0 src1_sel:DWORD
	s_and_saveexec_b32 s13, s4
	s_cbranch_execz .LBB230_1945
; %bb.1940:                             ;   in Loop: Header=BB230_1564 Depth=1
	v_mov_b32_e32 v18, 0x7f800001
	v_and_b32_e32 v10, 0x7f, v6
	v_mov_b32_e32 v19, 0
	s_mov_b32 s15, exec_lo
	v_cmpx_ne_u32_e32 0x7f, v10
	s_cbranch_execz .LBB230_1944
; %bb.1941:                             ;   in Loop: Header=BB230_1564 Depth=1
	v_and_b32_e32 v8, 7, v6
	v_lshrrev_b32_e32 v7, 3, v10
	s_mov_b32 s18, exec_lo
	v_cmpx_gt_u32_e32 8, v10
; %bb.1942:                             ;   in Loop: Header=BB230_1564 Depth=1
	v_ffbh_u32_e32 v7, v8
	v_min_u32_e32 v7, 32, v7
	v_subrev_nc_u32_e32 v10, 28, v7
	v_sub_nc_u32_e32 v7, 29, v7
	v_lshlrev_b64 v[18:19], v10, v[8:9]
	v_and_b32_e32 v8, 7, v18
; %bb.1943:                             ;   in Loop: Header=BB230_1564 Depth=1
	s_or_b32 exec_lo, exec_lo, s18
	v_lshlrev_b32_e32 v10, 24, v6
	v_lshlrev_b32_e32 v8, 20, v8
	v_lshl_add_u32 v7, v7, 23, 0x3c000000
	v_and_b32_e32 v10, 0x80000000, v10
	v_or3_b32 v8, v8, v10, v7
	v_mov_b32_e32 v19, v9
	v_mov_b32_e32 v18, v8
.LBB230_1944:                           ;   in Loop: Header=BB230_1564 Depth=1
	s_or_b32 exec_lo, exec_lo, s15
.LBB230_1945:                           ;   in Loop: Header=BB230_1564 Depth=1
	s_or_b32 exec_lo, exec_lo, s13
.LBB230_1946:                           ;   in Loop: Header=BB230_1564 Depth=1
	s_or_b32 exec_lo, exec_lo, s7
	v_cmp_ne_u16_sdwa s4, v6, v9 src0_sel:BYTE_1 src1_sel:DWORD
	s_and_saveexec_b32 s7, s4
	s_cbranch_execz .LBB230_1954
; %bb.1947:                             ;   in Loop: Header=BB230_1564 Depth=1
	v_mov_b32_e32 v104, v9
	v_cmp_ne_u16_sdwa s4, v6, v42 src0_sel:BYTE_1 src1_sel:DWORD
	v_mov_b32_e32 v20, v104
	v_mov_b32_e32 v21, v105
	s_and_saveexec_b32 s13, s4
	s_cbranch_execz .LBB230_1953
; %bb.1948:                             ;   in Loop: Header=BB230_1564 Depth=1
	v_mov_b32_e32 v7, 0xffff
	v_mov_b32_e32 v12, v9
	v_mov_b32_e32 v21, v13
	s_mov_b32 s15, exec_lo
	v_and_b32_sdwa v7, v7, v6 dst_sel:DWORD dst_unused:UNUSED_PAD src0_sel:DWORD src1_sel:BYTE_1
	v_mov_b32_e32 v20, v12
	v_and_b32_e32 v10, 0x7f, v7
	v_cmpx_ne_u32_e32 0x7f, v10
	s_cbranch_execz .LBB230_1952
; %bb.1949:                             ;   in Loop: Header=BB230_1564 Depth=1
	v_and_b32_e32 v8, 7, v7
	v_lshrrev_b32_e32 v7, 3, v10
	s_mov_b32 s18, exec_lo
	v_cmpx_gt_u32_e32 8, v10
; %bb.1950:                             ;   in Loop: Header=BB230_1564 Depth=1
	v_ffbh_u32_e32 v7, v8
	v_min_u32_e32 v7, 32, v7
	v_subrev_nc_u32_e32 v10, 28, v7
	v_sub_nc_u32_e32 v7, 29, v7
	v_lshlrev_b64 v[20:21], v10, v[8:9]
	v_and_b32_e32 v8, 7, v20
; %bb.1951:                             ;   in Loop: Header=BB230_1564 Depth=1
	s_or_b32 exec_lo, exec_lo, s18
	v_lshlrev_b32_e32 v10, 16, v6
	v_lshlrev_b32_e32 v8, 20, v8
	v_lshl_add_u32 v7, v7, 23, 0x3c000000
	v_mov_b32_e32 v20, v9
	v_and_b32_e32 v10, 0x80000000, v10
	v_or3_b32 v21, v8, v10, v7
.LBB230_1952:                           ;   in Loop: Header=BB230_1564 Depth=1
	s_or_b32 exec_lo, exec_lo, s15
.LBB230_1953:                           ;   in Loop: Header=BB230_1564 Depth=1
	s_or_b32 exec_lo, exec_lo, s13
.LBB230_1954:                           ;   in Loop: Header=BB230_1564 Depth=1
	s_or_b32 exec_lo, exec_lo, s7
	v_mov_b32_e32 v22, 0
	v_mov_b32_e32 v24, 0
	v_and_b32_sdwa v7, v6, v44 dst_sel:DWORD dst_unused:UNUSED_PAD src0_sel:WORD_1 src1_sel:DWORD
	v_mov_b32_e32 v23, 0
	v_mov_b32_e32 v25, 0
	s_mov_b32 s7, exec_lo
	v_cmpx_ne_u16_e32 0, v7
	s_cbranch_execz .LBB230_1962
; %bb.1955:                             ;   in Loop: Header=BB230_1564 Depth=1
	v_bfrev_b32_e32 v24, 1
	v_mov_b32_e32 v25, 0
	s_mov_b32 s13, exec_lo
	v_cmpx_ne_u16_e32 0x80, v7
	s_cbranch_execz .LBB230_1961
; %bb.1956:                             ;   in Loop: Header=BB230_1564 Depth=1
	v_mov_b32_e32 v24, 0x7f800001
	v_bfe_u32 v10, v6, 16, 7
	v_mov_b32_e32 v25, 0
	s_mov_b32 s15, exec_lo
	v_cmpx_ne_u32_e32 0x7f, v10
	s_cbranch_execz .LBB230_1960
; %bb.1957:                             ;   in Loop: Header=BB230_1564 Depth=1
	v_mov_b32_e32 v7, 7
	s_mov_b32 s18, exec_lo
	v_and_b32_sdwa v8, v6, v7 dst_sel:DWORD dst_unused:UNUSED_PAD src0_sel:WORD_1 src1_sel:DWORD
	v_lshrrev_b32_e32 v7, 3, v10
	v_cmpx_gt_u32_e32 8, v10
; %bb.1958:                             ;   in Loop: Header=BB230_1564 Depth=1
	v_ffbh_u32_e32 v7, v8
	v_min_u32_e32 v7, 32, v7
	v_subrev_nc_u32_e32 v10, 28, v7
	v_sub_nc_u32_e32 v7, 29, v7
	v_lshlrev_b64 v[24:25], v10, v[8:9]
	v_and_b32_e32 v8, 7, v24
; %bb.1959:                             ;   in Loop: Header=BB230_1564 Depth=1
	s_or_b32 exec_lo, exec_lo, s18
	v_mov_b32_e32 v10, 24
	v_lshlrev_b32_e32 v8, 20, v8
	v_lshl_add_u32 v7, v7, 23, 0x3c000000
	v_lshlrev_b32_sdwa v10, v10, v6 dst_sel:DWORD dst_unused:UNUSED_PAD src0_sel:DWORD src1_sel:WORD_1
	v_and_b32_e32 v10, 0x80000000, v10
	v_or3_b32 v8, v8, v10, v7
	v_mov_b32_e32 v25, v9
	v_mov_b32_e32 v24, v8
.LBB230_1960:                           ;   in Loop: Header=BB230_1564 Depth=1
	s_or_b32 exec_lo, exec_lo, s15
.LBB230_1961:                           ;   in Loop: Header=BB230_1564 Depth=1
	s_or_b32 exec_lo, exec_lo, s13
.LBB230_1962:                           ;   in Loop: Header=BB230_1564 Depth=1
	s_or_b32 exec_lo, exec_lo, s7
	s_mov_b32 s7, exec_lo
	v_cmpx_lt_u32_e32 0xffffff, v6
	s_cbranch_execz .LBB230_1970
; %bb.1963:                             ;   in Loop: Header=BB230_1564 Depth=1
	v_mov_b32_e32 v104, v9
	v_cmp_ne_u32_sdwa s4, v6, v42 src0_sel:BYTE_3 src1_sel:DWORD
	v_mov_b32_e32 v22, v104
	v_mov_b32_e32 v23, v105
	s_and_saveexec_b32 s13, s4
	s_cbranch_execz .LBB230_1969
; %bb.1964:                             ;   in Loop: Header=BB230_1564 Depth=1
	v_mov_b32_e32 v12, v9
	v_mov_b32_e32 v23, v13
	v_bfe_u32 v10, v6, 24, 7
	s_mov_b32 s15, exec_lo
	v_mov_b32_e32 v22, v12
	v_cmpx_ne_u32_e32 0x7f, v10
	s_cbranch_execz .LBB230_1968
; %bb.1965:                             ;   in Loop: Header=BB230_1564 Depth=1
	v_mov_b32_e32 v7, 7
	s_mov_b32 s18, exec_lo
	v_and_b32_sdwa v8, v6, v7 dst_sel:DWORD dst_unused:UNUSED_PAD src0_sel:BYTE_3 src1_sel:DWORD
	v_lshrrev_b32_e32 v7, 3, v10
	v_cmpx_gt_u32_e32 8, v10
; %bb.1966:                             ;   in Loop: Header=BB230_1564 Depth=1
	v_ffbh_u32_e32 v7, v8
	v_min_u32_e32 v7, 32, v7
	v_subrev_nc_u32_e32 v10, 28, v7
	v_sub_nc_u32_e32 v7, 29, v7
	v_lshlrev_b64 v[22:23], v10, v[8:9]
	v_and_b32_e32 v8, 7, v22
; %bb.1967:                             ;   in Loop: Header=BB230_1564 Depth=1
	s_or_b32 exec_lo, exec_lo, s18
	v_mov_b32_e32 v10, 24
	v_lshlrev_b32_e32 v8, 20, v8
	v_lshl_add_u32 v7, v7, 23, 0x3c000000
	v_mov_b32_e32 v22, v9
	v_lshlrev_b32_sdwa v6, v10, v6 dst_sel:DWORD dst_unused:UNUSED_PAD src0_sel:DWORD src1_sel:BYTE_3
	v_and_b32_e32 v6, 0x80000000, v6
	v_or3_b32 v23, v8, v6, v7
.LBB230_1968:                           ;   in Loop: Header=BB230_1564 Depth=1
	s_or_b32 exec_lo, exec_lo, s15
.LBB230_1969:                           ;   in Loop: Header=BB230_1564 Depth=1
	s_or_b32 exec_lo, exec_lo, s13
.LBB230_1970:                           ;   in Loop: Header=BB230_1564 Depth=1
	s_or_b32 exec_lo, exec_lo, s7
	v_or_b32_e32 v6, v21, v19
	v_or_b32_e32 v7, v20, v18
	;; [unrolled: 1-line block ×4, first 2 shown]
	v_mul_f32_e32 v6, v59, v6
	buffer_store_dword v6, off, s[0:3], s32 offset:564 ; 4-byte Folded Spill
	v_mul_f32_e32 v6, v41, v7
	buffer_store_dword v6, off, s[0:3], s32 offset:572 ; 4-byte Folded Spill
	;; [unrolled: 2-line block ×4, first 2 shown]
	s_and_saveexec_b32 s7, vcc_lo
	s_cbranch_execz .LBB230_1972
; %bb.1971:                             ;   in Loop: Header=BB230_1564 Depth=1
	buffer_load_dword v6, off, s[0:3], s32 offset:572 ; 4-byte Folded Reload
	v_cmp_lt_i32_e64 s4, v93, v73
	s_waitcnt vmcnt(0)
	v_cndmask_b32_e64 v6, 0, v6, s4
	v_cmp_lt_i32_e64 s4, v95, v73
	buffer_store_dword v6, off, s[0:3], s32 offset:572 ; 4-byte Folded Spill
	buffer_load_dword v6, off, s[0:3], s32 offset:564 ; 4-byte Folded Reload
	s_waitcnt vmcnt(0)
	v_cndmask_b32_e64 v6, 0, v6, s4
	v_cmp_lt_i32_e64 s4, v94, v73
	buffer_store_dword v6, off, s[0:3], s32 offset:564 ; 4-byte Folded Spill
	buffer_load_dword v6, off, s[0:3], s32 offset:556 ; 4-byte Folded Reload
	;; [unrolled: 5-line block ×3, first 2 shown]
	s_waitcnt vmcnt(0)
	v_cndmask_b32_e64 v6, 0, v6, s4
	buffer_store_dword v6, off, s[0:3], s32 offset:548 ; 4-byte Folded Spill
.LBB230_1972:                           ;   in Loop: Header=BB230_1564 Depth=1
	s_or_b32 exec_lo, exec_lo, s7
	flat_load_dword v6, v[0:1] offset:1536
	v_mov_b32_e32 v20, 0
	v_mov_b32_e32 v18, 0
	v_mov_b32_e32 v21, 0
	v_mov_b32_e32 v19, 0
	s_waitcnt vmcnt(0) lgkmcnt(0)
	v_cmp_ne_u16_sdwa s4, v6, v9 src0_sel:BYTE_0 src1_sel:DWORD
	s_and_saveexec_b32 s7, s4
	s_cbranch_execz .LBB230_1980
; %bb.1973:                             ;   in Loop: Header=BB230_1564 Depth=1
	v_bfrev_b32_e32 v18, 1
	v_mov_b32_e32 v19, 0
	v_cmp_ne_u16_sdwa s4, v6, v42 src0_sel:BYTE_0 src1_sel:DWORD
	s_and_saveexec_b32 s13, s4
	s_cbranch_execz .LBB230_1979
; %bb.1974:                             ;   in Loop: Header=BB230_1564 Depth=1
	v_mov_b32_e32 v18, 0x7f800001
	v_and_b32_e32 v10, 0x7f, v6
	v_mov_b32_e32 v19, 0
	s_mov_b32 s15, exec_lo
	v_cmpx_ne_u32_e32 0x7f, v10
	s_cbranch_execz .LBB230_1978
; %bb.1975:                             ;   in Loop: Header=BB230_1564 Depth=1
	v_and_b32_e32 v8, 7, v6
	v_lshrrev_b32_e32 v7, 3, v10
	s_mov_b32 s18, exec_lo
	v_cmpx_gt_u32_e32 8, v10
; %bb.1976:                             ;   in Loop: Header=BB230_1564 Depth=1
	v_ffbh_u32_e32 v7, v8
	v_min_u32_e32 v7, 32, v7
	v_subrev_nc_u32_e32 v10, 28, v7
	v_sub_nc_u32_e32 v7, 29, v7
	v_lshlrev_b64 v[18:19], v10, v[8:9]
	v_and_b32_e32 v8, 7, v18
; %bb.1977:                             ;   in Loop: Header=BB230_1564 Depth=1
	s_or_b32 exec_lo, exec_lo, s18
	v_lshlrev_b32_e32 v10, 24, v6
	v_lshlrev_b32_e32 v8, 20, v8
	v_lshl_add_u32 v7, v7, 23, 0x3c000000
	v_and_b32_e32 v10, 0x80000000, v10
	v_or3_b32 v8, v8, v10, v7
	v_mov_b32_e32 v19, v9
	v_mov_b32_e32 v18, v8
.LBB230_1978:                           ;   in Loop: Header=BB230_1564 Depth=1
	s_or_b32 exec_lo, exec_lo, s15
.LBB230_1979:                           ;   in Loop: Header=BB230_1564 Depth=1
	s_or_b32 exec_lo, exec_lo, s13
.LBB230_1980:                           ;   in Loop: Header=BB230_1564 Depth=1
	s_or_b32 exec_lo, exec_lo, s7
	v_cmp_ne_u16_sdwa s4, v6, v9 src0_sel:BYTE_1 src1_sel:DWORD
	s_and_saveexec_b32 s7, s4
	s_cbranch_execz .LBB230_1988
; %bb.1981:                             ;   in Loop: Header=BB230_1564 Depth=1
	v_mov_b32_e32 v104, v9
	v_cmp_ne_u16_sdwa s4, v6, v42 src0_sel:BYTE_1 src1_sel:DWORD
	v_mov_b32_e32 v20, v104
	v_mov_b32_e32 v21, v105
	s_and_saveexec_b32 s13, s4
	s_cbranch_execz .LBB230_1987
; %bb.1982:                             ;   in Loop: Header=BB230_1564 Depth=1
	v_mov_b32_e32 v7, 0xffff
	v_mov_b32_e32 v12, v9
	v_mov_b32_e32 v21, v13
	s_mov_b32 s15, exec_lo
	v_and_b32_sdwa v7, v7, v6 dst_sel:DWORD dst_unused:UNUSED_PAD src0_sel:DWORD src1_sel:BYTE_1
	v_mov_b32_e32 v20, v12
	v_and_b32_e32 v10, 0x7f, v7
	v_cmpx_ne_u32_e32 0x7f, v10
	s_cbranch_execz .LBB230_1986
; %bb.1983:                             ;   in Loop: Header=BB230_1564 Depth=1
	v_and_b32_e32 v8, 7, v7
	v_lshrrev_b32_e32 v7, 3, v10
	s_mov_b32 s18, exec_lo
	v_cmpx_gt_u32_e32 8, v10
; %bb.1984:                             ;   in Loop: Header=BB230_1564 Depth=1
	v_ffbh_u32_e32 v7, v8
	v_min_u32_e32 v7, 32, v7
	v_subrev_nc_u32_e32 v10, 28, v7
	v_sub_nc_u32_e32 v7, 29, v7
	v_lshlrev_b64 v[20:21], v10, v[8:9]
	v_and_b32_e32 v8, 7, v20
; %bb.1985:                             ;   in Loop: Header=BB230_1564 Depth=1
	s_or_b32 exec_lo, exec_lo, s18
	v_lshlrev_b32_e32 v10, 16, v6
	v_lshlrev_b32_e32 v8, 20, v8
	v_lshl_add_u32 v7, v7, 23, 0x3c000000
	v_mov_b32_e32 v20, v9
	v_and_b32_e32 v10, 0x80000000, v10
	v_or3_b32 v21, v8, v10, v7
.LBB230_1986:                           ;   in Loop: Header=BB230_1564 Depth=1
	s_or_b32 exec_lo, exec_lo, s15
.LBB230_1987:                           ;   in Loop: Header=BB230_1564 Depth=1
	s_or_b32 exec_lo, exec_lo, s13
.LBB230_1988:                           ;   in Loop: Header=BB230_1564 Depth=1
	s_or_b32 exec_lo, exec_lo, s7
	v_mov_b32_e32 v22, 0
	v_mov_b32_e32 v24, 0
	v_and_b32_sdwa v7, v6, v44 dst_sel:DWORD dst_unused:UNUSED_PAD src0_sel:WORD_1 src1_sel:DWORD
	v_mov_b32_e32 v23, 0
	v_mov_b32_e32 v25, 0
	s_mov_b32 s7, exec_lo
	v_cmpx_ne_u16_e32 0, v7
	s_cbranch_execz .LBB230_1996
; %bb.1989:                             ;   in Loop: Header=BB230_1564 Depth=1
	v_bfrev_b32_e32 v24, 1
	v_mov_b32_e32 v25, 0
	s_mov_b32 s13, exec_lo
	v_cmpx_ne_u16_e32 0x80, v7
	s_cbranch_execz .LBB230_1995
; %bb.1990:                             ;   in Loop: Header=BB230_1564 Depth=1
	v_mov_b32_e32 v24, 0x7f800001
	v_bfe_u32 v10, v6, 16, 7
	v_mov_b32_e32 v25, 0
	s_mov_b32 s15, exec_lo
	v_cmpx_ne_u32_e32 0x7f, v10
	s_cbranch_execz .LBB230_1994
; %bb.1991:                             ;   in Loop: Header=BB230_1564 Depth=1
	v_mov_b32_e32 v7, 7
	s_mov_b32 s18, exec_lo
	v_and_b32_sdwa v8, v6, v7 dst_sel:DWORD dst_unused:UNUSED_PAD src0_sel:WORD_1 src1_sel:DWORD
	v_lshrrev_b32_e32 v7, 3, v10
	v_cmpx_gt_u32_e32 8, v10
; %bb.1992:                             ;   in Loop: Header=BB230_1564 Depth=1
	v_ffbh_u32_e32 v7, v8
	v_min_u32_e32 v7, 32, v7
	v_subrev_nc_u32_e32 v10, 28, v7
	v_sub_nc_u32_e32 v7, 29, v7
	v_lshlrev_b64 v[24:25], v10, v[8:9]
	v_and_b32_e32 v8, 7, v24
; %bb.1993:                             ;   in Loop: Header=BB230_1564 Depth=1
	s_or_b32 exec_lo, exec_lo, s18
	v_mov_b32_e32 v10, 24
	v_lshlrev_b32_e32 v8, 20, v8
	v_lshl_add_u32 v7, v7, 23, 0x3c000000
	v_lshlrev_b32_sdwa v10, v10, v6 dst_sel:DWORD dst_unused:UNUSED_PAD src0_sel:DWORD src1_sel:WORD_1
	v_and_b32_e32 v10, 0x80000000, v10
	v_or3_b32 v8, v8, v10, v7
	v_mov_b32_e32 v25, v9
	v_mov_b32_e32 v24, v8
.LBB230_1994:                           ;   in Loop: Header=BB230_1564 Depth=1
	s_or_b32 exec_lo, exec_lo, s15
.LBB230_1995:                           ;   in Loop: Header=BB230_1564 Depth=1
	s_or_b32 exec_lo, exec_lo, s13
.LBB230_1996:                           ;   in Loop: Header=BB230_1564 Depth=1
	s_or_b32 exec_lo, exec_lo, s7
	s_mov_b32 s7, exec_lo
	v_cmpx_lt_u32_e32 0xffffff, v6
	s_cbranch_execz .LBB230_2004
; %bb.1997:                             ;   in Loop: Header=BB230_1564 Depth=1
	v_mov_b32_e32 v104, v9
	v_cmp_ne_u32_sdwa s4, v6, v42 src0_sel:BYTE_3 src1_sel:DWORD
	v_mov_b32_e32 v22, v104
	v_mov_b32_e32 v23, v105
	s_and_saveexec_b32 s13, s4
	s_cbranch_execz .LBB230_2003
; %bb.1998:                             ;   in Loop: Header=BB230_1564 Depth=1
	v_mov_b32_e32 v12, v9
	v_mov_b32_e32 v23, v13
	v_bfe_u32 v10, v6, 24, 7
	s_mov_b32 s15, exec_lo
	v_mov_b32_e32 v22, v12
	v_cmpx_ne_u32_e32 0x7f, v10
	s_cbranch_execz .LBB230_2002
; %bb.1999:                             ;   in Loop: Header=BB230_1564 Depth=1
	v_mov_b32_e32 v7, 7
	s_mov_b32 s18, exec_lo
	v_and_b32_sdwa v8, v6, v7 dst_sel:DWORD dst_unused:UNUSED_PAD src0_sel:BYTE_3 src1_sel:DWORD
	v_lshrrev_b32_e32 v7, 3, v10
	v_cmpx_gt_u32_e32 8, v10
; %bb.2000:                             ;   in Loop: Header=BB230_1564 Depth=1
	v_ffbh_u32_e32 v7, v8
	v_min_u32_e32 v7, 32, v7
	v_subrev_nc_u32_e32 v10, 28, v7
	v_sub_nc_u32_e32 v7, 29, v7
	v_lshlrev_b64 v[22:23], v10, v[8:9]
	v_and_b32_e32 v8, 7, v22
; %bb.2001:                             ;   in Loop: Header=BB230_1564 Depth=1
	s_or_b32 exec_lo, exec_lo, s18
	v_mov_b32_e32 v10, 24
	v_lshlrev_b32_e32 v8, 20, v8
	v_lshl_add_u32 v7, v7, 23, 0x3c000000
	v_mov_b32_e32 v22, v9
	v_lshlrev_b32_sdwa v6, v10, v6 dst_sel:DWORD dst_unused:UNUSED_PAD src0_sel:DWORD src1_sel:BYTE_3
	v_and_b32_e32 v6, 0x80000000, v6
	v_or3_b32 v23, v8, v6, v7
.LBB230_2002:                           ;   in Loop: Header=BB230_1564 Depth=1
	s_or_b32 exec_lo, exec_lo, s15
.LBB230_2003:                           ;   in Loop: Header=BB230_1564 Depth=1
	s_or_b32 exec_lo, exec_lo, s13
.LBB230_2004:                           ;   in Loop: Header=BB230_1564 Depth=1
	s_or_b32 exec_lo, exec_lo, s7
	v_or_b32_e32 v6, v21, v19
	v_or_b32_e32 v7, v20, v18
	;; [unrolled: 1-line block ×4, first 2 shown]
	v_mul_f32_e32 v6, v59, v6
	buffer_store_dword v6, off, s[0:3], s32 offset:596 ; 4-byte Folded Spill
	v_mul_f32_e32 v6, v41, v7
	buffer_store_dword v6, off, s[0:3], s32 offset:604 ; 4-byte Folded Spill
	;; [unrolled: 2-line block ×4, first 2 shown]
	s_and_saveexec_b32 s7, vcc_lo
	s_cbranch_execz .LBB230_2006
; %bb.2005:                             ;   in Loop: Header=BB230_1564 Depth=1
	buffer_load_dword v6, off, s[0:3], s32 offset:604 ; 4-byte Folded Reload
	v_cmp_lt_i32_e64 s4, v93, v73
	s_waitcnt vmcnt(0)
	v_cndmask_b32_e64 v6, 0, v6, s4
	v_cmp_lt_i32_e64 s4, v95, v73
	buffer_store_dword v6, off, s[0:3], s32 offset:604 ; 4-byte Folded Spill
	buffer_load_dword v6, off, s[0:3], s32 offset:596 ; 4-byte Folded Reload
	s_waitcnt vmcnt(0)
	v_cndmask_b32_e64 v6, 0, v6, s4
	v_cmp_lt_i32_e64 s4, v94, v73
	buffer_store_dword v6, off, s[0:3], s32 offset:596 ; 4-byte Folded Spill
	buffer_load_dword v6, off, s[0:3], s32 offset:588 ; 4-byte Folded Reload
	;; [unrolled: 5-line block ×3, first 2 shown]
	s_waitcnt vmcnt(0)
	v_cndmask_b32_e64 v6, 0, v6, s4
	buffer_store_dword v6, off, s[0:3], s32 offset:580 ; 4-byte Folded Spill
.LBB230_2006:                           ;   in Loop: Header=BB230_1564 Depth=1
	s_or_b32 exec_lo, exec_lo, s7
	flat_load_dword v6, v[0:1] offset:1664
	v_mov_b32_e32 v20, 0
	v_mov_b32_e32 v18, 0
	;; [unrolled: 1-line block ×4, first 2 shown]
	s_waitcnt vmcnt(0) lgkmcnt(0)
	v_cmp_ne_u16_sdwa s4, v6, v9 src0_sel:BYTE_0 src1_sel:DWORD
	s_and_saveexec_b32 s7, s4
	s_cbranch_execz .LBB230_2014
; %bb.2007:                             ;   in Loop: Header=BB230_1564 Depth=1
	v_bfrev_b32_e32 v18, 1
	v_mov_b32_e32 v19, 0
	v_cmp_ne_u16_sdwa s4, v6, v42 src0_sel:BYTE_0 src1_sel:DWORD
	s_and_saveexec_b32 s13, s4
	s_cbranch_execz .LBB230_2013
; %bb.2008:                             ;   in Loop: Header=BB230_1564 Depth=1
	v_mov_b32_e32 v18, 0x7f800001
	v_and_b32_e32 v10, 0x7f, v6
	v_mov_b32_e32 v19, 0
	s_mov_b32 s15, exec_lo
	v_cmpx_ne_u32_e32 0x7f, v10
	s_cbranch_execz .LBB230_2012
; %bb.2009:                             ;   in Loop: Header=BB230_1564 Depth=1
	v_and_b32_e32 v8, 7, v6
	v_lshrrev_b32_e32 v7, 3, v10
	s_mov_b32 s18, exec_lo
	v_cmpx_gt_u32_e32 8, v10
; %bb.2010:                             ;   in Loop: Header=BB230_1564 Depth=1
	v_ffbh_u32_e32 v7, v8
	v_min_u32_e32 v7, 32, v7
	v_subrev_nc_u32_e32 v10, 28, v7
	v_sub_nc_u32_e32 v7, 29, v7
	v_lshlrev_b64 v[18:19], v10, v[8:9]
	v_and_b32_e32 v8, 7, v18
; %bb.2011:                             ;   in Loop: Header=BB230_1564 Depth=1
	s_or_b32 exec_lo, exec_lo, s18
	v_lshlrev_b32_e32 v10, 24, v6
	v_lshlrev_b32_e32 v8, 20, v8
	v_lshl_add_u32 v7, v7, 23, 0x3c000000
	v_and_b32_e32 v10, 0x80000000, v10
	v_or3_b32 v8, v8, v10, v7
	v_mov_b32_e32 v19, v9
	v_mov_b32_e32 v18, v8
.LBB230_2012:                           ;   in Loop: Header=BB230_1564 Depth=1
	s_or_b32 exec_lo, exec_lo, s15
.LBB230_2013:                           ;   in Loop: Header=BB230_1564 Depth=1
	s_or_b32 exec_lo, exec_lo, s13
.LBB230_2014:                           ;   in Loop: Header=BB230_1564 Depth=1
	s_or_b32 exec_lo, exec_lo, s7
	v_cmp_ne_u16_sdwa s4, v6, v9 src0_sel:BYTE_1 src1_sel:DWORD
	s_and_saveexec_b32 s7, s4
	s_cbranch_execz .LBB230_2022
; %bb.2015:                             ;   in Loop: Header=BB230_1564 Depth=1
	v_mov_b32_e32 v104, v9
	v_cmp_ne_u16_sdwa s4, v6, v42 src0_sel:BYTE_1 src1_sel:DWORD
	v_mov_b32_e32 v20, v104
	v_mov_b32_e32 v21, v105
	s_and_saveexec_b32 s13, s4
	s_cbranch_execz .LBB230_2021
; %bb.2016:                             ;   in Loop: Header=BB230_1564 Depth=1
	v_mov_b32_e32 v7, 0xffff
	v_mov_b32_e32 v12, v9
	;; [unrolled: 1-line block ×3, first 2 shown]
	s_mov_b32 s15, exec_lo
	v_and_b32_sdwa v7, v7, v6 dst_sel:DWORD dst_unused:UNUSED_PAD src0_sel:DWORD src1_sel:BYTE_1
	v_mov_b32_e32 v20, v12
	v_and_b32_e32 v10, 0x7f, v7
	v_cmpx_ne_u32_e32 0x7f, v10
	s_cbranch_execz .LBB230_2020
; %bb.2017:                             ;   in Loop: Header=BB230_1564 Depth=1
	v_and_b32_e32 v8, 7, v7
	v_lshrrev_b32_e32 v7, 3, v10
	s_mov_b32 s18, exec_lo
	v_cmpx_gt_u32_e32 8, v10
; %bb.2018:                             ;   in Loop: Header=BB230_1564 Depth=1
	v_ffbh_u32_e32 v7, v8
	v_min_u32_e32 v7, 32, v7
	v_subrev_nc_u32_e32 v10, 28, v7
	v_sub_nc_u32_e32 v7, 29, v7
	v_lshlrev_b64 v[20:21], v10, v[8:9]
	v_and_b32_e32 v8, 7, v20
; %bb.2019:                             ;   in Loop: Header=BB230_1564 Depth=1
	s_or_b32 exec_lo, exec_lo, s18
	v_lshlrev_b32_e32 v10, 16, v6
	v_lshlrev_b32_e32 v8, 20, v8
	v_lshl_add_u32 v7, v7, 23, 0x3c000000
	v_mov_b32_e32 v20, v9
	v_and_b32_e32 v10, 0x80000000, v10
	v_or3_b32 v21, v8, v10, v7
.LBB230_2020:                           ;   in Loop: Header=BB230_1564 Depth=1
	s_or_b32 exec_lo, exec_lo, s15
.LBB230_2021:                           ;   in Loop: Header=BB230_1564 Depth=1
	s_or_b32 exec_lo, exec_lo, s13
.LBB230_2022:                           ;   in Loop: Header=BB230_1564 Depth=1
	s_or_b32 exec_lo, exec_lo, s7
	v_mov_b32_e32 v22, 0
	v_mov_b32_e32 v24, 0
	v_and_b32_sdwa v7, v6, v44 dst_sel:DWORD dst_unused:UNUSED_PAD src0_sel:WORD_1 src1_sel:DWORD
	v_mov_b32_e32 v23, 0
	v_mov_b32_e32 v25, 0
	s_mov_b32 s7, exec_lo
	v_cmpx_ne_u16_e32 0, v7
	s_cbranch_execz .LBB230_2030
; %bb.2023:                             ;   in Loop: Header=BB230_1564 Depth=1
	v_bfrev_b32_e32 v24, 1
	v_mov_b32_e32 v25, 0
	s_mov_b32 s13, exec_lo
	v_cmpx_ne_u16_e32 0x80, v7
	s_cbranch_execz .LBB230_2029
; %bb.2024:                             ;   in Loop: Header=BB230_1564 Depth=1
	v_mov_b32_e32 v24, 0x7f800001
	v_bfe_u32 v10, v6, 16, 7
	v_mov_b32_e32 v25, 0
	s_mov_b32 s15, exec_lo
	v_cmpx_ne_u32_e32 0x7f, v10
	s_cbranch_execz .LBB230_2028
; %bb.2025:                             ;   in Loop: Header=BB230_1564 Depth=1
	v_mov_b32_e32 v7, 7
	s_mov_b32 s18, exec_lo
	v_and_b32_sdwa v8, v6, v7 dst_sel:DWORD dst_unused:UNUSED_PAD src0_sel:WORD_1 src1_sel:DWORD
	v_lshrrev_b32_e32 v7, 3, v10
	v_cmpx_gt_u32_e32 8, v10
; %bb.2026:                             ;   in Loop: Header=BB230_1564 Depth=1
	v_ffbh_u32_e32 v7, v8
	v_min_u32_e32 v7, 32, v7
	v_subrev_nc_u32_e32 v10, 28, v7
	v_sub_nc_u32_e32 v7, 29, v7
	v_lshlrev_b64 v[24:25], v10, v[8:9]
	v_and_b32_e32 v8, 7, v24
; %bb.2027:                             ;   in Loop: Header=BB230_1564 Depth=1
	s_or_b32 exec_lo, exec_lo, s18
	v_mov_b32_e32 v10, 24
	v_lshlrev_b32_e32 v8, 20, v8
	v_lshl_add_u32 v7, v7, 23, 0x3c000000
	v_lshlrev_b32_sdwa v10, v10, v6 dst_sel:DWORD dst_unused:UNUSED_PAD src0_sel:DWORD src1_sel:WORD_1
	v_and_b32_e32 v10, 0x80000000, v10
	v_or3_b32 v8, v8, v10, v7
	v_mov_b32_e32 v25, v9
	v_mov_b32_e32 v24, v8
.LBB230_2028:                           ;   in Loop: Header=BB230_1564 Depth=1
	s_or_b32 exec_lo, exec_lo, s15
.LBB230_2029:                           ;   in Loop: Header=BB230_1564 Depth=1
	s_or_b32 exec_lo, exec_lo, s13
.LBB230_2030:                           ;   in Loop: Header=BB230_1564 Depth=1
	s_or_b32 exec_lo, exec_lo, s7
	s_mov_b32 s7, exec_lo
	v_cmpx_lt_u32_e32 0xffffff, v6
	s_cbranch_execz .LBB230_2038
; %bb.2031:                             ;   in Loop: Header=BB230_1564 Depth=1
	v_mov_b32_e32 v104, v9
	v_cmp_ne_u32_sdwa s4, v6, v42 src0_sel:BYTE_3 src1_sel:DWORD
	v_mov_b32_e32 v22, v104
	v_mov_b32_e32 v23, v105
	s_and_saveexec_b32 s13, s4
	s_cbranch_execz .LBB230_2037
; %bb.2032:                             ;   in Loop: Header=BB230_1564 Depth=1
	v_mov_b32_e32 v12, v9
	v_mov_b32_e32 v23, v13
	v_bfe_u32 v10, v6, 24, 7
	s_mov_b32 s15, exec_lo
	v_mov_b32_e32 v22, v12
	v_cmpx_ne_u32_e32 0x7f, v10
	s_cbranch_execz .LBB230_2036
; %bb.2033:                             ;   in Loop: Header=BB230_1564 Depth=1
	v_mov_b32_e32 v7, 7
	s_mov_b32 s18, exec_lo
	v_and_b32_sdwa v8, v6, v7 dst_sel:DWORD dst_unused:UNUSED_PAD src0_sel:BYTE_3 src1_sel:DWORD
	v_lshrrev_b32_e32 v7, 3, v10
	v_cmpx_gt_u32_e32 8, v10
; %bb.2034:                             ;   in Loop: Header=BB230_1564 Depth=1
	v_ffbh_u32_e32 v7, v8
	v_min_u32_e32 v7, 32, v7
	v_subrev_nc_u32_e32 v10, 28, v7
	v_sub_nc_u32_e32 v7, 29, v7
	v_lshlrev_b64 v[22:23], v10, v[8:9]
	v_and_b32_e32 v8, 7, v22
; %bb.2035:                             ;   in Loop: Header=BB230_1564 Depth=1
	s_or_b32 exec_lo, exec_lo, s18
	v_mov_b32_e32 v10, 24
	v_lshlrev_b32_e32 v8, 20, v8
	v_lshl_add_u32 v7, v7, 23, 0x3c000000
	v_mov_b32_e32 v22, v9
	v_lshlrev_b32_sdwa v6, v10, v6 dst_sel:DWORD dst_unused:UNUSED_PAD src0_sel:DWORD src1_sel:BYTE_3
	v_and_b32_e32 v6, 0x80000000, v6
	v_or3_b32 v23, v8, v6, v7
.LBB230_2036:                           ;   in Loop: Header=BB230_1564 Depth=1
	s_or_b32 exec_lo, exec_lo, s15
.LBB230_2037:                           ;   in Loop: Header=BB230_1564 Depth=1
	s_or_b32 exec_lo, exec_lo, s13
.LBB230_2038:                           ;   in Loop: Header=BB230_1564 Depth=1
	s_or_b32 exec_lo, exec_lo, s7
	v_or_b32_e32 v6, v21, v19
	v_or_b32_e32 v7, v20, v18
	;; [unrolled: 1-line block ×4, first 2 shown]
	v_mul_f32_e32 v6, v59, v6
	buffer_store_dword v6, off, s[0:3], s32 offset:636 ; 4-byte Folded Spill
	v_mul_f32_e32 v6, v41, v7
	buffer_store_dword v6, off, s[0:3], s32 offset:628 ; 4-byte Folded Spill
	;; [unrolled: 2-line block ×4, first 2 shown]
	s_and_saveexec_b32 s7, vcc_lo
	s_cbranch_execz .LBB230_2040
; %bb.2039:                             ;   in Loop: Header=BB230_1564 Depth=1
	buffer_load_dword v6, off, s[0:3], s32 offset:628 ; 4-byte Folded Reload
	v_cmp_lt_i32_e64 s4, v93, v73
	s_waitcnt vmcnt(0)
	v_cndmask_b32_e64 v6, 0, v6, s4
	v_cmp_lt_i32_e64 s4, v95, v73
	buffer_store_dword v6, off, s[0:3], s32 offset:628 ; 4-byte Folded Spill
	buffer_load_dword v6, off, s[0:3], s32 offset:636 ; 4-byte Folded Reload
	s_waitcnt vmcnt(0)
	v_cndmask_b32_e64 v6, 0, v6, s4
	v_cmp_lt_i32_e64 s4, v94, v73
	buffer_store_dword v6, off, s[0:3], s32 offset:636 ; 4-byte Folded Spill
	buffer_load_dword v6, off, s[0:3], s32 offset:620 ; 4-byte Folded Reload
	;; [unrolled: 5-line block ×3, first 2 shown]
	s_waitcnt vmcnt(0)
	v_cndmask_b32_e64 v6, 0, v6, s4
	buffer_store_dword v6, off, s[0:3], s32 offset:612 ; 4-byte Folded Spill
.LBB230_2040:                           ;   in Loop: Header=BB230_1564 Depth=1
	s_or_b32 exec_lo, exec_lo, s7
	flat_load_dword v6, v[0:1] offset:1792
	v_mov_b32_e32 v20, 0
	v_mov_b32_e32 v18, 0
	v_mov_b32_e32 v21, 0
	v_mov_b32_e32 v19, 0
	s_waitcnt vmcnt(0) lgkmcnt(0)
	v_cmp_ne_u16_sdwa s4, v6, v9 src0_sel:BYTE_0 src1_sel:DWORD
	s_and_saveexec_b32 s7, s4
	s_cbranch_execz .LBB230_2048
; %bb.2041:                             ;   in Loop: Header=BB230_1564 Depth=1
	v_bfrev_b32_e32 v18, 1
	v_mov_b32_e32 v19, 0
	v_cmp_ne_u16_sdwa s4, v6, v42 src0_sel:BYTE_0 src1_sel:DWORD
	s_and_saveexec_b32 s13, s4
	s_cbranch_execz .LBB230_2047
; %bb.2042:                             ;   in Loop: Header=BB230_1564 Depth=1
	v_mov_b32_e32 v18, 0x7f800001
	v_and_b32_e32 v10, 0x7f, v6
	v_mov_b32_e32 v19, 0
	s_mov_b32 s15, exec_lo
	v_cmpx_ne_u32_e32 0x7f, v10
	s_cbranch_execz .LBB230_2046
; %bb.2043:                             ;   in Loop: Header=BB230_1564 Depth=1
	v_and_b32_e32 v8, 7, v6
	v_lshrrev_b32_e32 v7, 3, v10
	s_mov_b32 s18, exec_lo
	v_cmpx_gt_u32_e32 8, v10
; %bb.2044:                             ;   in Loop: Header=BB230_1564 Depth=1
	v_ffbh_u32_e32 v7, v8
	v_min_u32_e32 v7, 32, v7
	v_subrev_nc_u32_e32 v10, 28, v7
	v_sub_nc_u32_e32 v7, 29, v7
	v_lshlrev_b64 v[18:19], v10, v[8:9]
	v_and_b32_e32 v8, 7, v18
; %bb.2045:                             ;   in Loop: Header=BB230_1564 Depth=1
	s_or_b32 exec_lo, exec_lo, s18
	v_lshlrev_b32_e32 v10, 24, v6
	v_lshlrev_b32_e32 v8, 20, v8
	v_lshl_add_u32 v7, v7, 23, 0x3c000000
	v_and_b32_e32 v10, 0x80000000, v10
	v_or3_b32 v8, v8, v10, v7
	v_mov_b32_e32 v19, v9
	v_mov_b32_e32 v18, v8
.LBB230_2046:                           ;   in Loop: Header=BB230_1564 Depth=1
	s_or_b32 exec_lo, exec_lo, s15
.LBB230_2047:                           ;   in Loop: Header=BB230_1564 Depth=1
	s_or_b32 exec_lo, exec_lo, s13
.LBB230_2048:                           ;   in Loop: Header=BB230_1564 Depth=1
	s_or_b32 exec_lo, exec_lo, s7
	v_cmp_ne_u16_sdwa s4, v6, v9 src0_sel:BYTE_1 src1_sel:DWORD
	s_and_saveexec_b32 s7, s4
	s_cbranch_execz .LBB230_2056
; %bb.2049:                             ;   in Loop: Header=BB230_1564 Depth=1
	v_mov_b32_e32 v104, v9
	v_cmp_ne_u16_sdwa s4, v6, v42 src0_sel:BYTE_1 src1_sel:DWORD
	v_mov_b32_e32 v20, v104
	v_mov_b32_e32 v21, v105
	s_and_saveexec_b32 s13, s4
	s_cbranch_execz .LBB230_2055
; %bb.2050:                             ;   in Loop: Header=BB230_1564 Depth=1
	v_mov_b32_e32 v7, 0xffff
	v_mov_b32_e32 v12, v9
	;; [unrolled: 1-line block ×3, first 2 shown]
	s_mov_b32 s15, exec_lo
	v_and_b32_sdwa v7, v7, v6 dst_sel:DWORD dst_unused:UNUSED_PAD src0_sel:DWORD src1_sel:BYTE_1
	v_mov_b32_e32 v20, v12
	v_and_b32_e32 v10, 0x7f, v7
	v_cmpx_ne_u32_e32 0x7f, v10
	s_cbranch_execz .LBB230_2054
; %bb.2051:                             ;   in Loop: Header=BB230_1564 Depth=1
	v_and_b32_e32 v8, 7, v7
	v_lshrrev_b32_e32 v7, 3, v10
	s_mov_b32 s18, exec_lo
	v_cmpx_gt_u32_e32 8, v10
; %bb.2052:                             ;   in Loop: Header=BB230_1564 Depth=1
	v_ffbh_u32_e32 v7, v8
	v_min_u32_e32 v7, 32, v7
	v_subrev_nc_u32_e32 v10, 28, v7
	v_sub_nc_u32_e32 v7, 29, v7
	v_lshlrev_b64 v[20:21], v10, v[8:9]
	v_and_b32_e32 v8, 7, v20
; %bb.2053:                             ;   in Loop: Header=BB230_1564 Depth=1
	s_or_b32 exec_lo, exec_lo, s18
	v_lshlrev_b32_e32 v10, 16, v6
	v_lshlrev_b32_e32 v8, 20, v8
	v_lshl_add_u32 v7, v7, 23, 0x3c000000
	v_mov_b32_e32 v20, v9
	v_and_b32_e32 v10, 0x80000000, v10
	v_or3_b32 v21, v8, v10, v7
.LBB230_2054:                           ;   in Loop: Header=BB230_1564 Depth=1
	s_or_b32 exec_lo, exec_lo, s15
.LBB230_2055:                           ;   in Loop: Header=BB230_1564 Depth=1
	s_or_b32 exec_lo, exec_lo, s13
.LBB230_2056:                           ;   in Loop: Header=BB230_1564 Depth=1
	s_or_b32 exec_lo, exec_lo, s7
	v_mov_b32_e32 v22, 0
	v_mov_b32_e32 v24, 0
	v_and_b32_sdwa v7, v6, v44 dst_sel:DWORD dst_unused:UNUSED_PAD src0_sel:WORD_1 src1_sel:DWORD
	v_mov_b32_e32 v23, 0
	v_mov_b32_e32 v25, 0
	s_mov_b32 s7, exec_lo
	v_cmpx_ne_u16_e32 0, v7
	s_cbranch_execz .LBB230_2064
; %bb.2057:                             ;   in Loop: Header=BB230_1564 Depth=1
	v_bfrev_b32_e32 v24, 1
	v_mov_b32_e32 v25, 0
	s_mov_b32 s13, exec_lo
	v_cmpx_ne_u16_e32 0x80, v7
	s_cbranch_execz .LBB230_2063
; %bb.2058:                             ;   in Loop: Header=BB230_1564 Depth=1
	v_mov_b32_e32 v24, 0x7f800001
	v_bfe_u32 v10, v6, 16, 7
	v_mov_b32_e32 v25, 0
	s_mov_b32 s15, exec_lo
	v_cmpx_ne_u32_e32 0x7f, v10
	s_cbranch_execz .LBB230_2062
; %bb.2059:                             ;   in Loop: Header=BB230_1564 Depth=1
	v_mov_b32_e32 v7, 7
	s_mov_b32 s18, exec_lo
	v_and_b32_sdwa v8, v6, v7 dst_sel:DWORD dst_unused:UNUSED_PAD src0_sel:WORD_1 src1_sel:DWORD
	v_lshrrev_b32_e32 v7, 3, v10
	v_cmpx_gt_u32_e32 8, v10
; %bb.2060:                             ;   in Loop: Header=BB230_1564 Depth=1
	v_ffbh_u32_e32 v7, v8
	v_min_u32_e32 v7, 32, v7
	v_subrev_nc_u32_e32 v10, 28, v7
	v_sub_nc_u32_e32 v7, 29, v7
	v_lshlrev_b64 v[24:25], v10, v[8:9]
	v_and_b32_e32 v8, 7, v24
; %bb.2061:                             ;   in Loop: Header=BB230_1564 Depth=1
	s_or_b32 exec_lo, exec_lo, s18
	v_mov_b32_e32 v10, 24
	v_lshlrev_b32_e32 v8, 20, v8
	v_lshl_add_u32 v7, v7, 23, 0x3c000000
	v_lshlrev_b32_sdwa v10, v10, v6 dst_sel:DWORD dst_unused:UNUSED_PAD src0_sel:DWORD src1_sel:WORD_1
	v_and_b32_e32 v10, 0x80000000, v10
	v_or3_b32 v8, v8, v10, v7
	v_mov_b32_e32 v25, v9
	v_mov_b32_e32 v24, v8
.LBB230_2062:                           ;   in Loop: Header=BB230_1564 Depth=1
	s_or_b32 exec_lo, exec_lo, s15
.LBB230_2063:                           ;   in Loop: Header=BB230_1564 Depth=1
	s_or_b32 exec_lo, exec_lo, s13
.LBB230_2064:                           ;   in Loop: Header=BB230_1564 Depth=1
	s_or_b32 exec_lo, exec_lo, s7
	s_mov_b32 s7, exec_lo
	v_cmpx_lt_u32_e32 0xffffff, v6
	s_cbranch_execz .LBB230_2072
; %bb.2065:                             ;   in Loop: Header=BB230_1564 Depth=1
	v_mov_b32_e32 v104, v9
	v_cmp_ne_u32_sdwa s4, v6, v42 src0_sel:BYTE_3 src1_sel:DWORD
	v_mov_b32_e32 v22, v104
	v_mov_b32_e32 v23, v105
	s_and_saveexec_b32 s13, s4
	s_cbranch_execz .LBB230_2071
; %bb.2066:                             ;   in Loop: Header=BB230_1564 Depth=1
	v_mov_b32_e32 v12, v9
	v_mov_b32_e32 v23, v13
	v_bfe_u32 v10, v6, 24, 7
	s_mov_b32 s15, exec_lo
	v_mov_b32_e32 v22, v12
	v_cmpx_ne_u32_e32 0x7f, v10
	s_cbranch_execz .LBB230_2070
; %bb.2067:                             ;   in Loop: Header=BB230_1564 Depth=1
	v_mov_b32_e32 v7, 7
	s_mov_b32 s18, exec_lo
	v_and_b32_sdwa v8, v6, v7 dst_sel:DWORD dst_unused:UNUSED_PAD src0_sel:BYTE_3 src1_sel:DWORD
	v_lshrrev_b32_e32 v7, 3, v10
	v_cmpx_gt_u32_e32 8, v10
; %bb.2068:                             ;   in Loop: Header=BB230_1564 Depth=1
	v_ffbh_u32_e32 v7, v8
	v_min_u32_e32 v7, 32, v7
	v_subrev_nc_u32_e32 v10, 28, v7
	v_sub_nc_u32_e32 v7, 29, v7
	v_lshlrev_b64 v[22:23], v10, v[8:9]
	v_and_b32_e32 v8, 7, v22
; %bb.2069:                             ;   in Loop: Header=BB230_1564 Depth=1
	s_or_b32 exec_lo, exec_lo, s18
	v_mov_b32_e32 v10, 24
	v_lshlrev_b32_e32 v8, 20, v8
	v_lshl_add_u32 v7, v7, 23, 0x3c000000
	v_mov_b32_e32 v22, v9
	v_lshlrev_b32_sdwa v6, v10, v6 dst_sel:DWORD dst_unused:UNUSED_PAD src0_sel:DWORD src1_sel:BYTE_3
	v_and_b32_e32 v6, 0x80000000, v6
	v_or3_b32 v23, v8, v6, v7
.LBB230_2070:                           ;   in Loop: Header=BB230_1564 Depth=1
	s_or_b32 exec_lo, exec_lo, s15
.LBB230_2071:                           ;   in Loop: Header=BB230_1564 Depth=1
	s_or_b32 exec_lo, exec_lo, s13
.LBB230_2072:                           ;   in Loop: Header=BB230_1564 Depth=1
	s_or_b32 exec_lo, exec_lo, s7
	v_or_b32_e32 v6, v21, v19
	v_or_b32_e32 v7, v20, v18
	;; [unrolled: 1-line block ×4, first 2 shown]
	v_mul_f32_e32 v6, v59, v6
	buffer_store_dword v6, off, s[0:3], s32 offset:668 ; 4-byte Folded Spill
	v_mul_f32_e32 v6, v41, v7
	buffer_store_dword v6, off, s[0:3], s32 offset:660 ; 4-byte Folded Spill
	;; [unrolled: 2-line block ×4, first 2 shown]
	s_and_saveexec_b32 s7, vcc_lo
	s_cbranch_execz .LBB230_2074
; %bb.2073:                             ;   in Loop: Header=BB230_1564 Depth=1
	buffer_load_dword v6, off, s[0:3], s32 offset:660 ; 4-byte Folded Reload
	v_cmp_lt_i32_e64 s4, v93, v73
	s_waitcnt vmcnt(0)
	v_cndmask_b32_e64 v6, 0, v6, s4
	v_cmp_lt_i32_e64 s4, v95, v73
	buffer_store_dword v6, off, s[0:3], s32 offset:660 ; 4-byte Folded Spill
	buffer_load_dword v6, off, s[0:3], s32 offset:668 ; 4-byte Folded Reload
	s_waitcnt vmcnt(0)
	v_cndmask_b32_e64 v6, 0, v6, s4
	v_cmp_lt_i32_e64 s4, v94, v73
	buffer_store_dword v6, off, s[0:3], s32 offset:668 ; 4-byte Folded Spill
	buffer_load_dword v6, off, s[0:3], s32 offset:652 ; 4-byte Folded Reload
	;; [unrolled: 5-line block ×3, first 2 shown]
	s_waitcnt vmcnt(0)
	v_cndmask_b32_e64 v6, 0, v6, s4
	buffer_store_dword v6, off, s[0:3], s32 offset:644 ; 4-byte Folded Spill
.LBB230_2074:                           ;   in Loop: Header=BB230_1564 Depth=1
	s_or_b32 exec_lo, exec_lo, s7
	flat_load_dword v6, v[0:1] offset:1920
	v_mov_b32_e32 v20, 0
	v_mov_b32_e32 v18, 0
	v_mov_b32_e32 v21, 0
	v_mov_b32_e32 v19, 0
	s_waitcnt vmcnt(0) lgkmcnt(0)
	v_cmp_ne_u16_sdwa s4, v6, v9 src0_sel:BYTE_0 src1_sel:DWORD
	s_and_saveexec_b32 s7, s4
	s_cbranch_execz .LBB230_2082
; %bb.2075:                             ;   in Loop: Header=BB230_1564 Depth=1
	v_bfrev_b32_e32 v18, 1
	v_mov_b32_e32 v19, 0
	v_cmp_ne_u16_sdwa s4, v6, v42 src0_sel:BYTE_0 src1_sel:DWORD
	s_and_saveexec_b32 s13, s4
	s_cbranch_execz .LBB230_2081
; %bb.2076:                             ;   in Loop: Header=BB230_1564 Depth=1
	v_mov_b32_e32 v18, 0x7f800001
	v_and_b32_e32 v10, 0x7f, v6
	v_mov_b32_e32 v19, 0
	s_mov_b32 s15, exec_lo
	v_cmpx_ne_u32_e32 0x7f, v10
	s_cbranch_execz .LBB230_2080
; %bb.2077:                             ;   in Loop: Header=BB230_1564 Depth=1
	v_and_b32_e32 v8, 7, v6
	v_lshrrev_b32_e32 v7, 3, v10
	s_mov_b32 s18, exec_lo
	v_cmpx_gt_u32_e32 8, v10
; %bb.2078:                             ;   in Loop: Header=BB230_1564 Depth=1
	v_ffbh_u32_e32 v7, v8
	v_min_u32_e32 v7, 32, v7
	v_subrev_nc_u32_e32 v10, 28, v7
	v_sub_nc_u32_e32 v7, 29, v7
	v_lshlrev_b64 v[18:19], v10, v[8:9]
	v_and_b32_e32 v8, 7, v18
; %bb.2079:                             ;   in Loop: Header=BB230_1564 Depth=1
	s_or_b32 exec_lo, exec_lo, s18
	v_lshlrev_b32_e32 v10, 24, v6
	v_lshlrev_b32_e32 v8, 20, v8
	v_lshl_add_u32 v7, v7, 23, 0x3c000000
	v_and_b32_e32 v10, 0x80000000, v10
	v_or3_b32 v8, v8, v10, v7
	v_mov_b32_e32 v19, v9
	v_mov_b32_e32 v18, v8
.LBB230_2080:                           ;   in Loop: Header=BB230_1564 Depth=1
	s_or_b32 exec_lo, exec_lo, s15
.LBB230_2081:                           ;   in Loop: Header=BB230_1564 Depth=1
	s_or_b32 exec_lo, exec_lo, s13
.LBB230_2082:                           ;   in Loop: Header=BB230_1564 Depth=1
	s_or_b32 exec_lo, exec_lo, s7
	v_cmp_ne_u16_sdwa s4, v6, v9 src0_sel:BYTE_1 src1_sel:DWORD
	s_and_saveexec_b32 s7, s4
	s_cbranch_execz .LBB230_2090
; %bb.2083:                             ;   in Loop: Header=BB230_1564 Depth=1
	v_mov_b32_e32 v104, v9
	v_cmp_ne_u16_sdwa s4, v6, v42 src0_sel:BYTE_1 src1_sel:DWORD
	v_mov_b32_e32 v20, v104
	v_mov_b32_e32 v21, v105
	s_and_saveexec_b32 s13, s4
	s_cbranch_execz .LBB230_2089
; %bb.2084:                             ;   in Loop: Header=BB230_1564 Depth=1
	v_mov_b32_e32 v7, 0xffff
	v_mov_b32_e32 v12, v9
	;; [unrolled: 1-line block ×3, first 2 shown]
	s_mov_b32 s15, exec_lo
	v_and_b32_sdwa v7, v7, v6 dst_sel:DWORD dst_unused:UNUSED_PAD src0_sel:DWORD src1_sel:BYTE_1
	v_mov_b32_e32 v20, v12
	v_and_b32_e32 v10, 0x7f, v7
	v_cmpx_ne_u32_e32 0x7f, v10
	s_cbranch_execz .LBB230_2088
; %bb.2085:                             ;   in Loop: Header=BB230_1564 Depth=1
	v_and_b32_e32 v8, 7, v7
	v_lshrrev_b32_e32 v7, 3, v10
	s_mov_b32 s18, exec_lo
	v_cmpx_gt_u32_e32 8, v10
; %bb.2086:                             ;   in Loop: Header=BB230_1564 Depth=1
	v_ffbh_u32_e32 v7, v8
	v_min_u32_e32 v7, 32, v7
	v_subrev_nc_u32_e32 v10, 28, v7
	v_sub_nc_u32_e32 v7, 29, v7
	v_lshlrev_b64 v[20:21], v10, v[8:9]
	v_and_b32_e32 v8, 7, v20
; %bb.2087:                             ;   in Loop: Header=BB230_1564 Depth=1
	s_or_b32 exec_lo, exec_lo, s18
	v_lshlrev_b32_e32 v10, 16, v6
	v_lshlrev_b32_e32 v8, 20, v8
	v_lshl_add_u32 v7, v7, 23, 0x3c000000
	v_mov_b32_e32 v20, v9
	v_and_b32_e32 v10, 0x80000000, v10
	v_or3_b32 v21, v8, v10, v7
.LBB230_2088:                           ;   in Loop: Header=BB230_1564 Depth=1
	s_or_b32 exec_lo, exec_lo, s15
.LBB230_2089:                           ;   in Loop: Header=BB230_1564 Depth=1
	s_or_b32 exec_lo, exec_lo, s13
.LBB230_2090:                           ;   in Loop: Header=BB230_1564 Depth=1
	s_or_b32 exec_lo, exec_lo, s7
	v_mov_b32_e32 v22, 0
	v_mov_b32_e32 v24, 0
	v_and_b32_sdwa v7, v6, v44 dst_sel:DWORD dst_unused:UNUSED_PAD src0_sel:WORD_1 src1_sel:DWORD
	v_mov_b32_e32 v23, 0
	v_mov_b32_e32 v25, 0
	s_mov_b32 s7, exec_lo
	v_cmpx_ne_u16_e32 0, v7
	s_cbranch_execz .LBB230_2098
; %bb.2091:                             ;   in Loop: Header=BB230_1564 Depth=1
	v_bfrev_b32_e32 v24, 1
	v_mov_b32_e32 v25, 0
	s_mov_b32 s13, exec_lo
	v_cmpx_ne_u16_e32 0x80, v7
	s_cbranch_execz .LBB230_2097
; %bb.2092:                             ;   in Loop: Header=BB230_1564 Depth=1
	v_mov_b32_e32 v24, 0x7f800001
	v_bfe_u32 v10, v6, 16, 7
	v_mov_b32_e32 v25, 0
	s_mov_b32 s15, exec_lo
	v_cmpx_ne_u32_e32 0x7f, v10
	s_cbranch_execz .LBB230_2096
; %bb.2093:                             ;   in Loop: Header=BB230_1564 Depth=1
	v_mov_b32_e32 v7, 7
	s_mov_b32 s18, exec_lo
	v_and_b32_sdwa v8, v6, v7 dst_sel:DWORD dst_unused:UNUSED_PAD src0_sel:WORD_1 src1_sel:DWORD
	v_lshrrev_b32_e32 v7, 3, v10
	v_cmpx_gt_u32_e32 8, v10
; %bb.2094:                             ;   in Loop: Header=BB230_1564 Depth=1
	v_ffbh_u32_e32 v7, v8
	v_min_u32_e32 v7, 32, v7
	v_subrev_nc_u32_e32 v10, 28, v7
	v_sub_nc_u32_e32 v7, 29, v7
	v_lshlrev_b64 v[24:25], v10, v[8:9]
	v_and_b32_e32 v8, 7, v24
; %bb.2095:                             ;   in Loop: Header=BB230_1564 Depth=1
	s_or_b32 exec_lo, exec_lo, s18
	v_mov_b32_e32 v10, 24
	v_lshlrev_b32_e32 v8, 20, v8
	v_lshl_add_u32 v7, v7, 23, 0x3c000000
	v_lshlrev_b32_sdwa v10, v10, v6 dst_sel:DWORD dst_unused:UNUSED_PAD src0_sel:DWORD src1_sel:WORD_1
	v_and_b32_e32 v10, 0x80000000, v10
	v_or3_b32 v8, v8, v10, v7
	v_mov_b32_e32 v25, v9
	v_mov_b32_e32 v24, v8
.LBB230_2096:                           ;   in Loop: Header=BB230_1564 Depth=1
	s_or_b32 exec_lo, exec_lo, s15
.LBB230_2097:                           ;   in Loop: Header=BB230_1564 Depth=1
	s_or_b32 exec_lo, exec_lo, s13
.LBB230_2098:                           ;   in Loop: Header=BB230_1564 Depth=1
	s_or_b32 exec_lo, exec_lo, s7
	s_mov_b32 s7, exec_lo
	v_cmpx_lt_u32_e32 0xffffff, v6
	s_cbranch_execz .LBB230_2106
; %bb.2099:                             ;   in Loop: Header=BB230_1564 Depth=1
	v_mov_b32_e32 v104, v9
	v_cmp_ne_u32_sdwa s4, v6, v42 src0_sel:BYTE_3 src1_sel:DWORD
	v_mov_b32_e32 v22, v104
	v_mov_b32_e32 v23, v105
	s_and_saveexec_b32 s13, s4
	s_cbranch_execz .LBB230_2105
; %bb.2100:                             ;   in Loop: Header=BB230_1564 Depth=1
	v_mov_b32_e32 v12, v9
	v_mov_b32_e32 v23, v13
	v_bfe_u32 v10, v6, 24, 7
	s_mov_b32 s15, exec_lo
	v_mov_b32_e32 v22, v12
	v_cmpx_ne_u32_e32 0x7f, v10
	s_cbranch_execz .LBB230_2104
; %bb.2101:                             ;   in Loop: Header=BB230_1564 Depth=1
	v_mov_b32_e32 v7, 7
	s_mov_b32 s18, exec_lo
	v_and_b32_sdwa v8, v6, v7 dst_sel:DWORD dst_unused:UNUSED_PAD src0_sel:BYTE_3 src1_sel:DWORD
	v_lshrrev_b32_e32 v7, 3, v10
	v_cmpx_gt_u32_e32 8, v10
; %bb.2102:                             ;   in Loop: Header=BB230_1564 Depth=1
	v_ffbh_u32_e32 v7, v8
	v_min_u32_e32 v7, 32, v7
	v_subrev_nc_u32_e32 v10, 28, v7
	v_sub_nc_u32_e32 v7, 29, v7
	v_lshlrev_b64 v[22:23], v10, v[8:9]
	v_and_b32_e32 v8, 7, v22
; %bb.2103:                             ;   in Loop: Header=BB230_1564 Depth=1
	s_or_b32 exec_lo, exec_lo, s18
	v_mov_b32_e32 v10, 24
	v_lshlrev_b32_e32 v8, 20, v8
	v_lshl_add_u32 v7, v7, 23, 0x3c000000
	v_mov_b32_e32 v22, v9
	v_lshlrev_b32_sdwa v6, v10, v6 dst_sel:DWORD dst_unused:UNUSED_PAD src0_sel:DWORD src1_sel:BYTE_3
	v_and_b32_e32 v6, 0x80000000, v6
	v_or3_b32 v23, v8, v6, v7
.LBB230_2104:                           ;   in Loop: Header=BB230_1564 Depth=1
	s_or_b32 exec_lo, exec_lo, s15
.LBB230_2105:                           ;   in Loop: Header=BB230_1564 Depth=1
	s_or_b32 exec_lo, exec_lo, s13
.LBB230_2106:                           ;   in Loop: Header=BB230_1564 Depth=1
	s_or_b32 exec_lo, exec_lo, s7
	v_or_b32_e32 v6, v21, v19
	v_or_b32_e32 v7, v20, v18
	;; [unrolled: 1-line block ×4, first 2 shown]
	v_mul_f32_e32 v6, v59, v6
	buffer_store_dword v6, off, s[0:3], s32 offset:700 ; 4-byte Folded Spill
	v_mul_f32_e32 v6, v41, v7
	buffer_store_dword v6, off, s[0:3], s32 offset:692 ; 4-byte Folded Spill
	;; [unrolled: 2-line block ×4, first 2 shown]
	s_and_saveexec_b32 s7, vcc_lo
	s_cbranch_execz .LBB230_2108
; %bb.2107:                             ;   in Loop: Header=BB230_1564 Depth=1
	buffer_load_dword v6, off, s[0:3], s32 offset:692 ; 4-byte Folded Reload
	v_cmp_lt_i32_e64 s4, v93, v73
	s_waitcnt vmcnt(0)
	v_cndmask_b32_e64 v6, 0, v6, s4
	v_cmp_lt_i32_e64 s4, v95, v73
	buffer_store_dword v6, off, s[0:3], s32 offset:692 ; 4-byte Folded Spill
	buffer_load_dword v6, off, s[0:3], s32 offset:700 ; 4-byte Folded Reload
	s_waitcnt vmcnt(0)
	v_cndmask_b32_e64 v6, 0, v6, s4
	v_cmp_lt_i32_e64 s4, v94, v73
	buffer_store_dword v6, off, s[0:3], s32 offset:700 ; 4-byte Folded Spill
	buffer_load_dword v6, off, s[0:3], s32 offset:684 ; 4-byte Folded Reload
	;; [unrolled: 5-line block ×3, first 2 shown]
	s_waitcnt vmcnt(0)
	v_cndmask_b32_e64 v6, 0, v6, s4
	buffer_store_dword v6, off, s[0:3], s32 offset:676 ; 4-byte Folded Spill
.LBB230_2108:                           ;   in Loop: Header=BB230_1564 Depth=1
	s_or_b32 exec_lo, exec_lo, s7
	v_add_co_u32 v18, s4, 0x800, v0
	v_add_co_ci_u32_e64 v19, null, 0, v1, s4
	v_mov_b32_e32 v22, 0
	v_mov_b32_e32 v20, 0
	;; [unrolled: 1-line block ×3, first 2 shown]
	flat_load_dword v6, v[18:19]
	v_mov_b32_e32 v21, 0
	s_waitcnt vmcnt(0) lgkmcnt(0)
	v_cmp_ne_u16_sdwa s4, v6, v9 src0_sel:BYTE_0 src1_sel:DWORD
	s_and_saveexec_b32 s7, s4
	s_cbranch_execz .LBB230_2116
; %bb.2109:                             ;   in Loop: Header=BB230_1564 Depth=1
	v_bfrev_b32_e32 v20, 1
	v_mov_b32_e32 v21, 0
	v_cmp_ne_u16_sdwa s4, v6, v42 src0_sel:BYTE_0 src1_sel:DWORD
	s_and_saveexec_b32 s13, s4
	s_cbranch_execz .LBB230_2115
; %bb.2110:                             ;   in Loop: Header=BB230_1564 Depth=1
	v_mov_b32_e32 v20, 0x7f800001
	v_and_b32_e32 v10, 0x7f, v6
	v_mov_b32_e32 v21, 0
	s_mov_b32 s15, exec_lo
	v_cmpx_ne_u32_e32 0x7f, v10
	s_cbranch_execz .LBB230_2114
; %bb.2111:                             ;   in Loop: Header=BB230_1564 Depth=1
	v_and_b32_e32 v8, 7, v6
	v_lshrrev_b32_e32 v7, 3, v10
	s_mov_b32 s18, exec_lo
	v_cmpx_gt_u32_e32 8, v10
; %bb.2112:                             ;   in Loop: Header=BB230_1564 Depth=1
	v_ffbh_u32_e32 v7, v8
	v_min_u32_e32 v7, 32, v7
	v_subrev_nc_u32_e32 v10, 28, v7
	v_sub_nc_u32_e32 v7, 29, v7
	v_lshlrev_b64 v[20:21], v10, v[8:9]
	v_and_b32_e32 v8, 7, v20
; %bb.2113:                             ;   in Loop: Header=BB230_1564 Depth=1
	s_or_b32 exec_lo, exec_lo, s18
	v_lshlrev_b32_e32 v10, 24, v6
	v_lshlrev_b32_e32 v8, 20, v8
	v_lshl_add_u32 v7, v7, 23, 0x3c000000
	v_and_b32_e32 v10, 0x80000000, v10
	v_or3_b32 v8, v8, v10, v7
	v_mov_b32_e32 v21, v9
	v_mov_b32_e32 v20, v8
.LBB230_2114:                           ;   in Loop: Header=BB230_1564 Depth=1
	s_or_b32 exec_lo, exec_lo, s15
.LBB230_2115:                           ;   in Loop: Header=BB230_1564 Depth=1
	s_or_b32 exec_lo, exec_lo, s13
.LBB230_2116:                           ;   in Loop: Header=BB230_1564 Depth=1
	s_or_b32 exec_lo, exec_lo, s7
	v_cmp_ne_u16_sdwa s4, v6, v9 src0_sel:BYTE_1 src1_sel:DWORD
	s_and_saveexec_b32 s7, s4
	s_cbranch_execz .LBB230_2124
; %bb.2117:                             ;   in Loop: Header=BB230_1564 Depth=1
	v_mov_b32_e32 v104, v9
	v_cmp_ne_u16_sdwa s4, v6, v42 src0_sel:BYTE_1 src1_sel:DWORD
	v_mov_b32_e32 v22, v104
	v_mov_b32_e32 v23, v105
	s_and_saveexec_b32 s13, s4
	s_cbranch_execz .LBB230_2123
; %bb.2118:                             ;   in Loop: Header=BB230_1564 Depth=1
	v_mov_b32_e32 v7, 0xffff
	v_mov_b32_e32 v12, v9
	;; [unrolled: 1-line block ×3, first 2 shown]
	s_mov_b32 s15, exec_lo
	v_and_b32_sdwa v7, v7, v6 dst_sel:DWORD dst_unused:UNUSED_PAD src0_sel:DWORD src1_sel:BYTE_1
	v_mov_b32_e32 v22, v12
	v_and_b32_e32 v10, 0x7f, v7
	v_cmpx_ne_u32_e32 0x7f, v10
	s_cbranch_execz .LBB230_2122
; %bb.2119:                             ;   in Loop: Header=BB230_1564 Depth=1
	v_and_b32_e32 v8, 7, v7
	v_lshrrev_b32_e32 v7, 3, v10
	s_mov_b32 s18, exec_lo
	v_cmpx_gt_u32_e32 8, v10
; %bb.2120:                             ;   in Loop: Header=BB230_1564 Depth=1
	v_ffbh_u32_e32 v7, v8
	v_min_u32_e32 v7, 32, v7
	v_subrev_nc_u32_e32 v10, 28, v7
	v_sub_nc_u32_e32 v7, 29, v7
	v_lshlrev_b64 v[22:23], v10, v[8:9]
	v_and_b32_e32 v8, 7, v22
; %bb.2121:                             ;   in Loop: Header=BB230_1564 Depth=1
	s_or_b32 exec_lo, exec_lo, s18
	v_lshlrev_b32_e32 v10, 16, v6
	v_lshlrev_b32_e32 v8, 20, v8
	v_lshl_add_u32 v7, v7, 23, 0x3c000000
	v_mov_b32_e32 v22, v9
	v_and_b32_e32 v10, 0x80000000, v10
	v_or3_b32 v23, v8, v10, v7
.LBB230_2122:                           ;   in Loop: Header=BB230_1564 Depth=1
	s_or_b32 exec_lo, exec_lo, s15
.LBB230_2123:                           ;   in Loop: Header=BB230_1564 Depth=1
	s_or_b32 exec_lo, exec_lo, s13
.LBB230_2124:                           ;   in Loop: Header=BB230_1564 Depth=1
	s_or_b32 exec_lo, exec_lo, s7
	v_mov_b32_e32 v24, 0
	v_mov_b32_e32 v26, 0
	v_and_b32_sdwa v7, v6, v44 dst_sel:DWORD dst_unused:UNUSED_PAD src0_sel:WORD_1 src1_sel:DWORD
	v_mov_b32_e32 v25, 0
	v_mov_b32_e32 v27, 0
	s_mov_b32 s7, exec_lo
	v_cmpx_ne_u16_e32 0, v7
	s_cbranch_execz .LBB230_2132
; %bb.2125:                             ;   in Loop: Header=BB230_1564 Depth=1
	v_bfrev_b32_e32 v26, 1
	v_mov_b32_e32 v27, 0
	s_mov_b32 s13, exec_lo
	v_cmpx_ne_u16_e32 0x80, v7
	s_cbranch_execz .LBB230_2131
; %bb.2126:                             ;   in Loop: Header=BB230_1564 Depth=1
	v_mov_b32_e32 v26, 0x7f800001
	v_bfe_u32 v10, v6, 16, 7
	v_mov_b32_e32 v27, 0
	s_mov_b32 s15, exec_lo
	v_cmpx_ne_u32_e32 0x7f, v10
	s_cbranch_execz .LBB230_2130
; %bb.2127:                             ;   in Loop: Header=BB230_1564 Depth=1
	v_mov_b32_e32 v7, 7
	s_mov_b32 s18, exec_lo
	v_and_b32_sdwa v8, v6, v7 dst_sel:DWORD dst_unused:UNUSED_PAD src0_sel:WORD_1 src1_sel:DWORD
	v_lshrrev_b32_e32 v7, 3, v10
	v_cmpx_gt_u32_e32 8, v10
; %bb.2128:                             ;   in Loop: Header=BB230_1564 Depth=1
	v_ffbh_u32_e32 v7, v8
	v_min_u32_e32 v7, 32, v7
	v_subrev_nc_u32_e32 v10, 28, v7
	v_sub_nc_u32_e32 v7, 29, v7
	v_lshlrev_b64 v[26:27], v10, v[8:9]
	v_and_b32_e32 v8, 7, v26
; %bb.2129:                             ;   in Loop: Header=BB230_1564 Depth=1
	s_or_b32 exec_lo, exec_lo, s18
	v_mov_b32_e32 v10, 24
	v_lshlrev_b32_e32 v8, 20, v8
	v_lshl_add_u32 v7, v7, 23, 0x3c000000
	v_lshlrev_b32_sdwa v10, v10, v6 dst_sel:DWORD dst_unused:UNUSED_PAD src0_sel:DWORD src1_sel:WORD_1
	v_and_b32_e32 v10, 0x80000000, v10
	v_or3_b32 v8, v8, v10, v7
	v_mov_b32_e32 v27, v9
	v_mov_b32_e32 v26, v8
.LBB230_2130:                           ;   in Loop: Header=BB230_1564 Depth=1
	s_or_b32 exec_lo, exec_lo, s15
.LBB230_2131:                           ;   in Loop: Header=BB230_1564 Depth=1
	s_or_b32 exec_lo, exec_lo, s13
.LBB230_2132:                           ;   in Loop: Header=BB230_1564 Depth=1
	s_or_b32 exec_lo, exec_lo, s7
	s_mov_b32 s7, exec_lo
	v_cmpx_lt_u32_e32 0xffffff, v6
	s_cbranch_execz .LBB230_2140
; %bb.2133:                             ;   in Loop: Header=BB230_1564 Depth=1
	v_mov_b32_e32 v104, v9
	v_cmp_ne_u32_sdwa s4, v6, v42 src0_sel:BYTE_3 src1_sel:DWORD
	v_mov_b32_e32 v24, v104
	v_mov_b32_e32 v25, v105
	s_and_saveexec_b32 s13, s4
	s_cbranch_execz .LBB230_2139
; %bb.2134:                             ;   in Loop: Header=BB230_1564 Depth=1
	v_mov_b32_e32 v12, v9
	v_mov_b32_e32 v25, v13
	v_bfe_u32 v10, v6, 24, 7
	s_mov_b32 s15, exec_lo
	v_mov_b32_e32 v24, v12
	v_cmpx_ne_u32_e32 0x7f, v10
	s_cbranch_execz .LBB230_2138
; %bb.2135:                             ;   in Loop: Header=BB230_1564 Depth=1
	v_mov_b32_e32 v7, 7
	s_mov_b32 s18, exec_lo
	v_and_b32_sdwa v8, v6, v7 dst_sel:DWORD dst_unused:UNUSED_PAD src0_sel:BYTE_3 src1_sel:DWORD
	v_lshrrev_b32_e32 v7, 3, v10
	v_cmpx_gt_u32_e32 8, v10
; %bb.2136:                             ;   in Loop: Header=BB230_1564 Depth=1
	v_ffbh_u32_e32 v7, v8
	v_min_u32_e32 v7, 32, v7
	v_subrev_nc_u32_e32 v10, 28, v7
	v_sub_nc_u32_e32 v7, 29, v7
	v_lshlrev_b64 v[24:25], v10, v[8:9]
	v_and_b32_e32 v8, 7, v24
; %bb.2137:                             ;   in Loop: Header=BB230_1564 Depth=1
	s_or_b32 exec_lo, exec_lo, s18
	v_mov_b32_e32 v10, 24
	v_lshlrev_b32_e32 v8, 20, v8
	v_lshl_add_u32 v7, v7, 23, 0x3c000000
	v_mov_b32_e32 v24, v9
	v_lshlrev_b32_sdwa v6, v10, v6 dst_sel:DWORD dst_unused:UNUSED_PAD src0_sel:DWORD src1_sel:BYTE_3
	v_and_b32_e32 v6, 0x80000000, v6
	v_or3_b32 v25, v8, v6, v7
.LBB230_2138:                           ;   in Loop: Header=BB230_1564 Depth=1
	s_or_b32 exec_lo, exec_lo, s15
.LBB230_2139:                           ;   in Loop: Header=BB230_1564 Depth=1
	s_or_b32 exec_lo, exec_lo, s13
.LBB230_2140:                           ;   in Loop: Header=BB230_1564 Depth=1
	s_or_b32 exec_lo, exec_lo, s7
	v_or_b32_e32 v6, v23, v21
	v_or_b32_e32 v7, v22, v20
	;; [unrolled: 1-line block ×4, first 2 shown]
	v_mul_f32_e32 v6, v59, v6
	buffer_store_dword v6, off, s[0:3], s32 offset:732 ; 4-byte Folded Spill
	v_mul_f32_e32 v6, v41, v7
	buffer_store_dword v6, off, s[0:3], s32 offset:724 ; 4-byte Folded Spill
	;; [unrolled: 2-line block ×4, first 2 shown]
	s_and_saveexec_b32 s7, vcc_lo
	s_cbranch_execz .LBB230_2142
; %bb.2141:                             ;   in Loop: Header=BB230_1564 Depth=1
	buffer_load_dword v6, off, s[0:3], s32 offset:724 ; 4-byte Folded Reload
	v_cmp_lt_i32_e64 s4, v93, v73
	s_waitcnt vmcnt(0)
	v_cndmask_b32_e64 v6, 0, v6, s4
	v_cmp_lt_i32_e64 s4, v95, v73
	buffer_store_dword v6, off, s[0:3], s32 offset:724 ; 4-byte Folded Spill
	buffer_load_dword v6, off, s[0:3], s32 offset:732 ; 4-byte Folded Reload
	s_waitcnt vmcnt(0)
	v_cndmask_b32_e64 v6, 0, v6, s4
	v_cmp_lt_i32_e64 s4, v94, v73
	buffer_store_dword v6, off, s[0:3], s32 offset:732 ; 4-byte Folded Spill
	buffer_load_dword v6, off, s[0:3], s32 offset:716 ; 4-byte Folded Reload
	;; [unrolled: 5-line block ×3, first 2 shown]
	s_waitcnt vmcnt(0)
	v_cndmask_b32_e64 v6, 0, v6, s4
	buffer_store_dword v6, off, s[0:3], s32 offset:708 ; 4-byte Folded Spill
.LBB230_2142:                           ;   in Loop: Header=BB230_1564 Depth=1
	s_or_b32 exec_lo, exec_lo, s7
	flat_load_dword v6, v[18:19] offset:128
	v_mov_b32_e32 v22, 0
	v_mov_b32_e32 v20, 0
	;; [unrolled: 1-line block ×4, first 2 shown]
	s_waitcnt vmcnt(0) lgkmcnt(0)
	v_cmp_ne_u16_sdwa s4, v6, v9 src0_sel:BYTE_0 src1_sel:DWORD
	s_and_saveexec_b32 s7, s4
	s_cbranch_execz .LBB230_2150
; %bb.2143:                             ;   in Loop: Header=BB230_1564 Depth=1
	v_bfrev_b32_e32 v20, 1
	v_mov_b32_e32 v21, 0
	v_cmp_ne_u16_sdwa s4, v6, v42 src0_sel:BYTE_0 src1_sel:DWORD
	s_and_saveexec_b32 s13, s4
	s_cbranch_execz .LBB230_2149
; %bb.2144:                             ;   in Loop: Header=BB230_1564 Depth=1
	v_mov_b32_e32 v20, 0x7f800001
	v_and_b32_e32 v10, 0x7f, v6
	v_mov_b32_e32 v21, 0
	s_mov_b32 s15, exec_lo
	v_cmpx_ne_u32_e32 0x7f, v10
	s_cbranch_execz .LBB230_2148
; %bb.2145:                             ;   in Loop: Header=BB230_1564 Depth=1
	v_and_b32_e32 v8, 7, v6
	v_lshrrev_b32_e32 v7, 3, v10
	s_mov_b32 s18, exec_lo
	v_cmpx_gt_u32_e32 8, v10
; %bb.2146:                             ;   in Loop: Header=BB230_1564 Depth=1
	v_ffbh_u32_e32 v7, v8
	v_min_u32_e32 v7, 32, v7
	v_subrev_nc_u32_e32 v10, 28, v7
	v_sub_nc_u32_e32 v7, 29, v7
	v_lshlrev_b64 v[20:21], v10, v[8:9]
	v_and_b32_e32 v8, 7, v20
; %bb.2147:                             ;   in Loop: Header=BB230_1564 Depth=1
	s_or_b32 exec_lo, exec_lo, s18
	v_lshlrev_b32_e32 v10, 24, v6
	v_lshlrev_b32_e32 v8, 20, v8
	v_lshl_add_u32 v7, v7, 23, 0x3c000000
	v_and_b32_e32 v10, 0x80000000, v10
	v_or3_b32 v8, v8, v10, v7
	v_mov_b32_e32 v21, v9
	v_mov_b32_e32 v20, v8
.LBB230_2148:                           ;   in Loop: Header=BB230_1564 Depth=1
	s_or_b32 exec_lo, exec_lo, s15
.LBB230_2149:                           ;   in Loop: Header=BB230_1564 Depth=1
	s_or_b32 exec_lo, exec_lo, s13
.LBB230_2150:                           ;   in Loop: Header=BB230_1564 Depth=1
	s_or_b32 exec_lo, exec_lo, s7
	v_cmp_ne_u16_sdwa s4, v6, v9 src0_sel:BYTE_1 src1_sel:DWORD
	s_and_saveexec_b32 s7, s4
	s_cbranch_execz .LBB230_2158
; %bb.2151:                             ;   in Loop: Header=BB230_1564 Depth=1
	v_mov_b32_e32 v104, v9
	v_cmp_ne_u16_sdwa s4, v6, v42 src0_sel:BYTE_1 src1_sel:DWORD
	v_mov_b32_e32 v22, v104
	v_mov_b32_e32 v23, v105
	s_and_saveexec_b32 s13, s4
	s_cbranch_execz .LBB230_2157
; %bb.2152:                             ;   in Loop: Header=BB230_1564 Depth=1
	v_mov_b32_e32 v7, 0xffff
	v_mov_b32_e32 v12, v9
	;; [unrolled: 1-line block ×3, first 2 shown]
	s_mov_b32 s15, exec_lo
	v_and_b32_sdwa v7, v7, v6 dst_sel:DWORD dst_unused:UNUSED_PAD src0_sel:DWORD src1_sel:BYTE_1
	v_mov_b32_e32 v22, v12
	v_and_b32_e32 v10, 0x7f, v7
	v_cmpx_ne_u32_e32 0x7f, v10
	s_cbranch_execz .LBB230_2156
; %bb.2153:                             ;   in Loop: Header=BB230_1564 Depth=1
	v_and_b32_e32 v8, 7, v7
	v_lshrrev_b32_e32 v7, 3, v10
	s_mov_b32 s18, exec_lo
	v_cmpx_gt_u32_e32 8, v10
; %bb.2154:                             ;   in Loop: Header=BB230_1564 Depth=1
	v_ffbh_u32_e32 v7, v8
	v_min_u32_e32 v7, 32, v7
	v_subrev_nc_u32_e32 v10, 28, v7
	v_sub_nc_u32_e32 v7, 29, v7
	v_lshlrev_b64 v[22:23], v10, v[8:9]
	v_and_b32_e32 v8, 7, v22
; %bb.2155:                             ;   in Loop: Header=BB230_1564 Depth=1
	s_or_b32 exec_lo, exec_lo, s18
	v_lshlrev_b32_e32 v10, 16, v6
	v_lshlrev_b32_e32 v8, 20, v8
	v_lshl_add_u32 v7, v7, 23, 0x3c000000
	v_mov_b32_e32 v22, v9
	v_and_b32_e32 v10, 0x80000000, v10
	v_or3_b32 v23, v8, v10, v7
.LBB230_2156:                           ;   in Loop: Header=BB230_1564 Depth=1
	s_or_b32 exec_lo, exec_lo, s15
.LBB230_2157:                           ;   in Loop: Header=BB230_1564 Depth=1
	s_or_b32 exec_lo, exec_lo, s13
.LBB230_2158:                           ;   in Loop: Header=BB230_1564 Depth=1
	s_or_b32 exec_lo, exec_lo, s7
	v_mov_b32_e32 v24, 0
	v_mov_b32_e32 v26, 0
	v_and_b32_sdwa v7, v6, v44 dst_sel:DWORD dst_unused:UNUSED_PAD src0_sel:WORD_1 src1_sel:DWORD
	v_mov_b32_e32 v25, 0
	v_mov_b32_e32 v27, 0
	s_mov_b32 s7, exec_lo
	v_cmpx_ne_u16_e32 0, v7
	s_cbranch_execz .LBB230_2166
; %bb.2159:                             ;   in Loop: Header=BB230_1564 Depth=1
	v_bfrev_b32_e32 v26, 1
	v_mov_b32_e32 v27, 0
	s_mov_b32 s13, exec_lo
	v_cmpx_ne_u16_e32 0x80, v7
	s_cbranch_execz .LBB230_2165
; %bb.2160:                             ;   in Loop: Header=BB230_1564 Depth=1
	v_mov_b32_e32 v26, 0x7f800001
	v_bfe_u32 v10, v6, 16, 7
	v_mov_b32_e32 v27, 0
	s_mov_b32 s15, exec_lo
	v_cmpx_ne_u32_e32 0x7f, v10
	s_cbranch_execz .LBB230_2164
; %bb.2161:                             ;   in Loop: Header=BB230_1564 Depth=1
	v_mov_b32_e32 v7, 7
	s_mov_b32 s18, exec_lo
	v_and_b32_sdwa v8, v6, v7 dst_sel:DWORD dst_unused:UNUSED_PAD src0_sel:WORD_1 src1_sel:DWORD
	v_lshrrev_b32_e32 v7, 3, v10
	v_cmpx_gt_u32_e32 8, v10
; %bb.2162:                             ;   in Loop: Header=BB230_1564 Depth=1
	v_ffbh_u32_e32 v7, v8
	v_min_u32_e32 v7, 32, v7
	v_subrev_nc_u32_e32 v10, 28, v7
	v_sub_nc_u32_e32 v7, 29, v7
	v_lshlrev_b64 v[26:27], v10, v[8:9]
	v_and_b32_e32 v8, 7, v26
; %bb.2163:                             ;   in Loop: Header=BB230_1564 Depth=1
	s_or_b32 exec_lo, exec_lo, s18
	v_mov_b32_e32 v10, 24
	v_lshlrev_b32_e32 v8, 20, v8
	v_lshl_add_u32 v7, v7, 23, 0x3c000000
	v_lshlrev_b32_sdwa v10, v10, v6 dst_sel:DWORD dst_unused:UNUSED_PAD src0_sel:DWORD src1_sel:WORD_1
	v_and_b32_e32 v10, 0x80000000, v10
	v_or3_b32 v8, v8, v10, v7
	v_mov_b32_e32 v27, v9
	v_mov_b32_e32 v26, v8
.LBB230_2164:                           ;   in Loop: Header=BB230_1564 Depth=1
	s_or_b32 exec_lo, exec_lo, s15
.LBB230_2165:                           ;   in Loop: Header=BB230_1564 Depth=1
	s_or_b32 exec_lo, exec_lo, s13
.LBB230_2166:                           ;   in Loop: Header=BB230_1564 Depth=1
	s_or_b32 exec_lo, exec_lo, s7
	s_mov_b32 s7, exec_lo
	v_cmpx_lt_u32_e32 0xffffff, v6
	s_cbranch_execz .LBB230_2174
; %bb.2167:                             ;   in Loop: Header=BB230_1564 Depth=1
	v_mov_b32_e32 v104, v9
	v_cmp_ne_u32_sdwa s4, v6, v42 src0_sel:BYTE_3 src1_sel:DWORD
	v_mov_b32_e32 v24, v104
	v_mov_b32_e32 v25, v105
	s_and_saveexec_b32 s13, s4
	s_cbranch_execz .LBB230_2173
; %bb.2168:                             ;   in Loop: Header=BB230_1564 Depth=1
	v_mov_b32_e32 v12, v9
	v_mov_b32_e32 v25, v13
	v_bfe_u32 v10, v6, 24, 7
	s_mov_b32 s15, exec_lo
	v_mov_b32_e32 v24, v12
	v_cmpx_ne_u32_e32 0x7f, v10
	s_cbranch_execz .LBB230_2172
; %bb.2169:                             ;   in Loop: Header=BB230_1564 Depth=1
	v_mov_b32_e32 v7, 7
	s_mov_b32 s18, exec_lo
	v_and_b32_sdwa v8, v6, v7 dst_sel:DWORD dst_unused:UNUSED_PAD src0_sel:BYTE_3 src1_sel:DWORD
	v_lshrrev_b32_e32 v7, 3, v10
	v_cmpx_gt_u32_e32 8, v10
; %bb.2170:                             ;   in Loop: Header=BB230_1564 Depth=1
	v_ffbh_u32_e32 v7, v8
	v_min_u32_e32 v7, 32, v7
	v_subrev_nc_u32_e32 v10, 28, v7
	v_sub_nc_u32_e32 v7, 29, v7
	v_lshlrev_b64 v[24:25], v10, v[8:9]
	v_and_b32_e32 v8, 7, v24
; %bb.2171:                             ;   in Loop: Header=BB230_1564 Depth=1
	s_or_b32 exec_lo, exec_lo, s18
	v_mov_b32_e32 v10, 24
	v_lshlrev_b32_e32 v8, 20, v8
	v_lshl_add_u32 v7, v7, 23, 0x3c000000
	v_mov_b32_e32 v24, v9
	v_lshlrev_b32_sdwa v6, v10, v6 dst_sel:DWORD dst_unused:UNUSED_PAD src0_sel:DWORD src1_sel:BYTE_3
	v_and_b32_e32 v6, 0x80000000, v6
	v_or3_b32 v25, v8, v6, v7
.LBB230_2172:                           ;   in Loop: Header=BB230_1564 Depth=1
	s_or_b32 exec_lo, exec_lo, s15
.LBB230_2173:                           ;   in Loop: Header=BB230_1564 Depth=1
	s_or_b32 exec_lo, exec_lo, s13
.LBB230_2174:                           ;   in Loop: Header=BB230_1564 Depth=1
	s_or_b32 exec_lo, exec_lo, s7
	v_or_b32_e32 v6, v23, v21
	v_or_b32_e32 v7, v22, v20
	;; [unrolled: 1-line block ×4, first 2 shown]
	v_mul_f32_e32 v6, v59, v6
	buffer_store_dword v6, off, s[0:3], s32 offset:764 ; 4-byte Folded Spill
	v_mul_f32_e32 v6, v41, v7
	buffer_store_dword v6, off, s[0:3], s32 offset:756 ; 4-byte Folded Spill
	v_mul_f32_e32 v6, v41, v8
	buffer_store_dword v6, off, s[0:3], s32 offset:748 ; 4-byte Folded Spill
	v_mul_f32_e32 v6, v59, v10
	buffer_store_dword v6, off, s[0:3], s32 offset:740 ; 4-byte Folded Spill
	s_and_saveexec_b32 s7, vcc_lo
	s_cbranch_execz .LBB230_2176
; %bb.2175:                             ;   in Loop: Header=BB230_1564 Depth=1
	buffer_load_dword v6, off, s[0:3], s32 offset:756 ; 4-byte Folded Reload
	v_cmp_lt_i32_e64 s4, v93, v73
	s_waitcnt vmcnt(0)
	v_cndmask_b32_e64 v6, 0, v6, s4
	v_cmp_lt_i32_e64 s4, v95, v73
	buffer_store_dword v6, off, s[0:3], s32 offset:756 ; 4-byte Folded Spill
	buffer_load_dword v6, off, s[0:3], s32 offset:764 ; 4-byte Folded Reload
	s_waitcnt vmcnt(0)
	v_cndmask_b32_e64 v6, 0, v6, s4
	v_cmp_lt_i32_e64 s4, v94, v73
	buffer_store_dword v6, off, s[0:3], s32 offset:764 ; 4-byte Folded Spill
	buffer_load_dword v6, off, s[0:3], s32 offset:748 ; 4-byte Folded Reload
	;; [unrolled: 5-line block ×3, first 2 shown]
	s_waitcnt vmcnt(0)
	v_cndmask_b32_e64 v6, 0, v6, s4
	buffer_store_dword v6, off, s[0:3], s32 offset:740 ; 4-byte Folded Spill
.LBB230_2176:                           ;   in Loop: Header=BB230_1564 Depth=1
	s_or_b32 exec_lo, exec_lo, s7
	flat_load_dword v6, v[18:19] offset:256
	v_mov_b32_e32 v22, 0
	v_mov_b32_e32 v20, 0
	v_mov_b32_e32 v23, 0
	v_mov_b32_e32 v21, 0
	s_waitcnt vmcnt(0) lgkmcnt(0)
	v_cmp_ne_u16_sdwa s4, v6, v9 src0_sel:BYTE_0 src1_sel:DWORD
	s_and_saveexec_b32 s7, s4
	s_cbranch_execz .LBB230_2184
; %bb.2177:                             ;   in Loop: Header=BB230_1564 Depth=1
	v_bfrev_b32_e32 v20, 1
	v_mov_b32_e32 v21, 0
	v_cmp_ne_u16_sdwa s4, v6, v42 src0_sel:BYTE_0 src1_sel:DWORD
	s_and_saveexec_b32 s13, s4
	s_cbranch_execz .LBB230_2183
; %bb.2178:                             ;   in Loop: Header=BB230_1564 Depth=1
	v_mov_b32_e32 v20, 0x7f800001
	v_and_b32_e32 v10, 0x7f, v6
	v_mov_b32_e32 v21, 0
	s_mov_b32 s15, exec_lo
	v_cmpx_ne_u32_e32 0x7f, v10
	s_cbranch_execz .LBB230_2182
; %bb.2179:                             ;   in Loop: Header=BB230_1564 Depth=1
	v_and_b32_e32 v8, 7, v6
	v_lshrrev_b32_e32 v7, 3, v10
	s_mov_b32 s18, exec_lo
	v_cmpx_gt_u32_e32 8, v10
; %bb.2180:                             ;   in Loop: Header=BB230_1564 Depth=1
	v_ffbh_u32_e32 v7, v8
	v_min_u32_e32 v7, 32, v7
	v_subrev_nc_u32_e32 v10, 28, v7
	v_sub_nc_u32_e32 v7, 29, v7
	v_lshlrev_b64 v[20:21], v10, v[8:9]
	v_and_b32_e32 v8, 7, v20
; %bb.2181:                             ;   in Loop: Header=BB230_1564 Depth=1
	s_or_b32 exec_lo, exec_lo, s18
	v_lshlrev_b32_e32 v10, 24, v6
	v_lshlrev_b32_e32 v8, 20, v8
	v_lshl_add_u32 v7, v7, 23, 0x3c000000
	v_and_b32_e32 v10, 0x80000000, v10
	v_or3_b32 v8, v8, v10, v7
	v_mov_b32_e32 v21, v9
	v_mov_b32_e32 v20, v8
.LBB230_2182:                           ;   in Loop: Header=BB230_1564 Depth=1
	s_or_b32 exec_lo, exec_lo, s15
.LBB230_2183:                           ;   in Loop: Header=BB230_1564 Depth=1
	s_or_b32 exec_lo, exec_lo, s13
.LBB230_2184:                           ;   in Loop: Header=BB230_1564 Depth=1
	s_or_b32 exec_lo, exec_lo, s7
	v_cmp_ne_u16_sdwa s4, v6, v9 src0_sel:BYTE_1 src1_sel:DWORD
	s_and_saveexec_b32 s7, s4
	s_cbranch_execz .LBB230_2192
; %bb.2185:                             ;   in Loop: Header=BB230_1564 Depth=1
	v_mov_b32_e32 v104, v9
	v_cmp_ne_u16_sdwa s4, v6, v42 src0_sel:BYTE_1 src1_sel:DWORD
	v_mov_b32_e32 v22, v104
	v_mov_b32_e32 v23, v105
	s_and_saveexec_b32 s13, s4
	s_cbranch_execz .LBB230_2191
; %bb.2186:                             ;   in Loop: Header=BB230_1564 Depth=1
	v_mov_b32_e32 v7, 0xffff
	v_mov_b32_e32 v12, v9
	;; [unrolled: 1-line block ×3, first 2 shown]
	s_mov_b32 s15, exec_lo
	v_and_b32_sdwa v7, v7, v6 dst_sel:DWORD dst_unused:UNUSED_PAD src0_sel:DWORD src1_sel:BYTE_1
	v_mov_b32_e32 v22, v12
	v_and_b32_e32 v10, 0x7f, v7
	v_cmpx_ne_u32_e32 0x7f, v10
	s_cbranch_execz .LBB230_2190
; %bb.2187:                             ;   in Loop: Header=BB230_1564 Depth=1
	v_and_b32_e32 v8, 7, v7
	v_lshrrev_b32_e32 v7, 3, v10
	s_mov_b32 s18, exec_lo
	v_cmpx_gt_u32_e32 8, v10
; %bb.2188:                             ;   in Loop: Header=BB230_1564 Depth=1
	v_ffbh_u32_e32 v7, v8
	v_min_u32_e32 v7, 32, v7
	v_subrev_nc_u32_e32 v10, 28, v7
	v_sub_nc_u32_e32 v7, 29, v7
	v_lshlrev_b64 v[22:23], v10, v[8:9]
	v_and_b32_e32 v8, 7, v22
; %bb.2189:                             ;   in Loop: Header=BB230_1564 Depth=1
	s_or_b32 exec_lo, exec_lo, s18
	v_lshlrev_b32_e32 v10, 16, v6
	v_lshlrev_b32_e32 v8, 20, v8
	v_lshl_add_u32 v7, v7, 23, 0x3c000000
	v_mov_b32_e32 v22, v9
	v_and_b32_e32 v10, 0x80000000, v10
	v_or3_b32 v23, v8, v10, v7
.LBB230_2190:                           ;   in Loop: Header=BB230_1564 Depth=1
	s_or_b32 exec_lo, exec_lo, s15
.LBB230_2191:                           ;   in Loop: Header=BB230_1564 Depth=1
	s_or_b32 exec_lo, exec_lo, s13
.LBB230_2192:                           ;   in Loop: Header=BB230_1564 Depth=1
	s_or_b32 exec_lo, exec_lo, s7
	v_mov_b32_e32 v24, 0
	v_mov_b32_e32 v26, 0
	v_and_b32_sdwa v7, v6, v44 dst_sel:DWORD dst_unused:UNUSED_PAD src0_sel:WORD_1 src1_sel:DWORD
	v_mov_b32_e32 v25, 0
	v_mov_b32_e32 v27, 0
	s_mov_b32 s7, exec_lo
	v_cmpx_ne_u16_e32 0, v7
	s_cbranch_execz .LBB230_2200
; %bb.2193:                             ;   in Loop: Header=BB230_1564 Depth=1
	v_bfrev_b32_e32 v26, 1
	v_mov_b32_e32 v27, 0
	s_mov_b32 s13, exec_lo
	v_cmpx_ne_u16_e32 0x80, v7
	s_cbranch_execz .LBB230_2199
; %bb.2194:                             ;   in Loop: Header=BB230_1564 Depth=1
	v_mov_b32_e32 v26, 0x7f800001
	v_bfe_u32 v10, v6, 16, 7
	v_mov_b32_e32 v27, 0
	s_mov_b32 s15, exec_lo
	v_cmpx_ne_u32_e32 0x7f, v10
	s_cbranch_execz .LBB230_2198
; %bb.2195:                             ;   in Loop: Header=BB230_1564 Depth=1
	v_mov_b32_e32 v7, 7
	s_mov_b32 s18, exec_lo
	v_and_b32_sdwa v8, v6, v7 dst_sel:DWORD dst_unused:UNUSED_PAD src0_sel:WORD_1 src1_sel:DWORD
	v_lshrrev_b32_e32 v7, 3, v10
	v_cmpx_gt_u32_e32 8, v10
; %bb.2196:                             ;   in Loop: Header=BB230_1564 Depth=1
	v_ffbh_u32_e32 v7, v8
	v_min_u32_e32 v7, 32, v7
	v_subrev_nc_u32_e32 v10, 28, v7
	v_sub_nc_u32_e32 v7, 29, v7
	v_lshlrev_b64 v[26:27], v10, v[8:9]
	v_and_b32_e32 v8, 7, v26
; %bb.2197:                             ;   in Loop: Header=BB230_1564 Depth=1
	s_or_b32 exec_lo, exec_lo, s18
	v_mov_b32_e32 v10, 24
	v_lshlrev_b32_e32 v8, 20, v8
	v_lshl_add_u32 v7, v7, 23, 0x3c000000
	v_lshlrev_b32_sdwa v10, v10, v6 dst_sel:DWORD dst_unused:UNUSED_PAD src0_sel:DWORD src1_sel:WORD_1
	v_and_b32_e32 v10, 0x80000000, v10
	v_or3_b32 v8, v8, v10, v7
	v_mov_b32_e32 v27, v9
	v_mov_b32_e32 v26, v8
.LBB230_2198:                           ;   in Loop: Header=BB230_1564 Depth=1
	s_or_b32 exec_lo, exec_lo, s15
.LBB230_2199:                           ;   in Loop: Header=BB230_1564 Depth=1
	s_or_b32 exec_lo, exec_lo, s13
.LBB230_2200:                           ;   in Loop: Header=BB230_1564 Depth=1
	s_or_b32 exec_lo, exec_lo, s7
	s_mov_b32 s7, exec_lo
	v_cmpx_lt_u32_e32 0xffffff, v6
	s_cbranch_execz .LBB230_2208
; %bb.2201:                             ;   in Loop: Header=BB230_1564 Depth=1
	v_mov_b32_e32 v104, v9
	v_cmp_ne_u32_sdwa s4, v6, v42 src0_sel:BYTE_3 src1_sel:DWORD
	v_mov_b32_e32 v24, v104
	v_mov_b32_e32 v25, v105
	s_and_saveexec_b32 s13, s4
	s_cbranch_execz .LBB230_2207
; %bb.2202:                             ;   in Loop: Header=BB230_1564 Depth=1
	v_mov_b32_e32 v12, v9
	v_mov_b32_e32 v25, v13
	v_bfe_u32 v10, v6, 24, 7
	s_mov_b32 s15, exec_lo
	v_mov_b32_e32 v24, v12
	v_cmpx_ne_u32_e32 0x7f, v10
	s_cbranch_execz .LBB230_2206
; %bb.2203:                             ;   in Loop: Header=BB230_1564 Depth=1
	v_mov_b32_e32 v7, 7
	s_mov_b32 s18, exec_lo
	v_and_b32_sdwa v8, v6, v7 dst_sel:DWORD dst_unused:UNUSED_PAD src0_sel:BYTE_3 src1_sel:DWORD
	v_lshrrev_b32_e32 v7, 3, v10
	v_cmpx_gt_u32_e32 8, v10
; %bb.2204:                             ;   in Loop: Header=BB230_1564 Depth=1
	v_ffbh_u32_e32 v7, v8
	v_min_u32_e32 v7, 32, v7
	v_subrev_nc_u32_e32 v10, 28, v7
	v_sub_nc_u32_e32 v7, 29, v7
	v_lshlrev_b64 v[24:25], v10, v[8:9]
	v_and_b32_e32 v8, 7, v24
; %bb.2205:                             ;   in Loop: Header=BB230_1564 Depth=1
	s_or_b32 exec_lo, exec_lo, s18
	v_mov_b32_e32 v10, 24
	v_lshlrev_b32_e32 v8, 20, v8
	v_lshl_add_u32 v7, v7, 23, 0x3c000000
	v_mov_b32_e32 v24, v9
	v_lshlrev_b32_sdwa v6, v10, v6 dst_sel:DWORD dst_unused:UNUSED_PAD src0_sel:DWORD src1_sel:BYTE_3
	v_and_b32_e32 v6, 0x80000000, v6
	v_or3_b32 v25, v8, v6, v7
.LBB230_2206:                           ;   in Loop: Header=BB230_1564 Depth=1
	s_or_b32 exec_lo, exec_lo, s15
.LBB230_2207:                           ;   in Loop: Header=BB230_1564 Depth=1
	s_or_b32 exec_lo, exec_lo, s13
.LBB230_2208:                           ;   in Loop: Header=BB230_1564 Depth=1
	s_or_b32 exec_lo, exec_lo, s7
	v_or_b32_e32 v6, v23, v21
	v_or_b32_e32 v7, v22, v20
	;; [unrolled: 1-line block ×4, first 2 shown]
	v_mul_f32_e32 v6, v59, v6
	buffer_store_dword v6, off, s[0:3], s32 offset:796 ; 4-byte Folded Spill
	v_mul_f32_e32 v6, v41, v7
	buffer_store_dword v6, off, s[0:3], s32 offset:788 ; 4-byte Folded Spill
	;; [unrolled: 2-line block ×4, first 2 shown]
	s_and_saveexec_b32 s7, vcc_lo
	s_cbranch_execz .LBB230_2210
; %bb.2209:                             ;   in Loop: Header=BB230_1564 Depth=1
	buffer_load_dword v6, off, s[0:3], s32 offset:788 ; 4-byte Folded Reload
	v_cmp_lt_i32_e64 s4, v93, v73
	s_waitcnt vmcnt(0)
	v_cndmask_b32_e64 v6, 0, v6, s4
	v_cmp_lt_i32_e64 s4, v95, v73
	buffer_store_dword v6, off, s[0:3], s32 offset:788 ; 4-byte Folded Spill
	buffer_load_dword v6, off, s[0:3], s32 offset:796 ; 4-byte Folded Reload
	s_waitcnt vmcnt(0)
	v_cndmask_b32_e64 v6, 0, v6, s4
	v_cmp_lt_i32_e64 s4, v94, v73
	buffer_store_dword v6, off, s[0:3], s32 offset:796 ; 4-byte Folded Spill
	buffer_load_dword v6, off, s[0:3], s32 offset:780 ; 4-byte Folded Reload
	;; [unrolled: 5-line block ×3, first 2 shown]
	s_waitcnt vmcnt(0)
	v_cndmask_b32_e64 v6, 0, v6, s4
	buffer_store_dword v6, off, s[0:3], s32 offset:772 ; 4-byte Folded Spill
.LBB230_2210:                           ;   in Loop: Header=BB230_1564 Depth=1
	s_or_b32 exec_lo, exec_lo, s7
	flat_load_dword v6, v[18:19] offset:384
	v_mov_b32_e32 v22, 0
	v_mov_b32_e32 v20, 0
	;; [unrolled: 1-line block ×4, first 2 shown]
	s_waitcnt vmcnt(0) lgkmcnt(0)
	v_cmp_ne_u16_sdwa s4, v6, v9 src0_sel:BYTE_0 src1_sel:DWORD
	s_and_saveexec_b32 s7, s4
	s_cbranch_execz .LBB230_2218
; %bb.2211:                             ;   in Loop: Header=BB230_1564 Depth=1
	v_bfrev_b32_e32 v20, 1
	v_mov_b32_e32 v21, 0
	v_cmp_ne_u16_sdwa s4, v6, v42 src0_sel:BYTE_0 src1_sel:DWORD
	s_and_saveexec_b32 s13, s4
	s_cbranch_execz .LBB230_2217
; %bb.2212:                             ;   in Loop: Header=BB230_1564 Depth=1
	v_mov_b32_e32 v20, 0x7f800001
	v_and_b32_e32 v10, 0x7f, v6
	v_mov_b32_e32 v21, 0
	s_mov_b32 s15, exec_lo
	v_cmpx_ne_u32_e32 0x7f, v10
	s_cbranch_execz .LBB230_2216
; %bb.2213:                             ;   in Loop: Header=BB230_1564 Depth=1
	v_and_b32_e32 v8, 7, v6
	v_lshrrev_b32_e32 v7, 3, v10
	s_mov_b32 s18, exec_lo
	v_cmpx_gt_u32_e32 8, v10
; %bb.2214:                             ;   in Loop: Header=BB230_1564 Depth=1
	v_ffbh_u32_e32 v7, v8
	v_min_u32_e32 v7, 32, v7
	v_subrev_nc_u32_e32 v10, 28, v7
	v_sub_nc_u32_e32 v7, 29, v7
	v_lshlrev_b64 v[20:21], v10, v[8:9]
	v_and_b32_e32 v8, 7, v20
; %bb.2215:                             ;   in Loop: Header=BB230_1564 Depth=1
	s_or_b32 exec_lo, exec_lo, s18
	v_lshlrev_b32_e32 v10, 24, v6
	v_lshlrev_b32_e32 v8, 20, v8
	v_lshl_add_u32 v7, v7, 23, 0x3c000000
	v_and_b32_e32 v10, 0x80000000, v10
	v_or3_b32 v8, v8, v10, v7
	v_mov_b32_e32 v21, v9
	v_mov_b32_e32 v20, v8
.LBB230_2216:                           ;   in Loop: Header=BB230_1564 Depth=1
	s_or_b32 exec_lo, exec_lo, s15
.LBB230_2217:                           ;   in Loop: Header=BB230_1564 Depth=1
	s_or_b32 exec_lo, exec_lo, s13
.LBB230_2218:                           ;   in Loop: Header=BB230_1564 Depth=1
	s_or_b32 exec_lo, exec_lo, s7
	v_cmp_ne_u16_sdwa s4, v6, v9 src0_sel:BYTE_1 src1_sel:DWORD
	s_and_saveexec_b32 s7, s4
	s_cbranch_execz .LBB230_2226
; %bb.2219:                             ;   in Loop: Header=BB230_1564 Depth=1
	v_mov_b32_e32 v104, v9
	v_cmp_ne_u16_sdwa s4, v6, v42 src0_sel:BYTE_1 src1_sel:DWORD
	v_mov_b32_e32 v22, v104
	v_mov_b32_e32 v23, v105
	s_and_saveexec_b32 s13, s4
	s_cbranch_execz .LBB230_2225
; %bb.2220:                             ;   in Loop: Header=BB230_1564 Depth=1
	v_mov_b32_e32 v7, 0xffff
	v_mov_b32_e32 v12, v9
	;; [unrolled: 1-line block ×3, first 2 shown]
	s_mov_b32 s15, exec_lo
	v_and_b32_sdwa v7, v7, v6 dst_sel:DWORD dst_unused:UNUSED_PAD src0_sel:DWORD src1_sel:BYTE_1
	v_mov_b32_e32 v22, v12
	v_and_b32_e32 v10, 0x7f, v7
	v_cmpx_ne_u32_e32 0x7f, v10
	s_cbranch_execz .LBB230_2224
; %bb.2221:                             ;   in Loop: Header=BB230_1564 Depth=1
	v_and_b32_e32 v8, 7, v7
	v_lshrrev_b32_e32 v7, 3, v10
	s_mov_b32 s18, exec_lo
	v_cmpx_gt_u32_e32 8, v10
; %bb.2222:                             ;   in Loop: Header=BB230_1564 Depth=1
	v_ffbh_u32_e32 v7, v8
	v_min_u32_e32 v7, 32, v7
	v_subrev_nc_u32_e32 v10, 28, v7
	v_sub_nc_u32_e32 v7, 29, v7
	v_lshlrev_b64 v[22:23], v10, v[8:9]
	v_and_b32_e32 v8, 7, v22
; %bb.2223:                             ;   in Loop: Header=BB230_1564 Depth=1
	s_or_b32 exec_lo, exec_lo, s18
	v_lshlrev_b32_e32 v10, 16, v6
	v_lshlrev_b32_e32 v8, 20, v8
	v_lshl_add_u32 v7, v7, 23, 0x3c000000
	v_mov_b32_e32 v22, v9
	v_and_b32_e32 v10, 0x80000000, v10
	v_or3_b32 v23, v8, v10, v7
.LBB230_2224:                           ;   in Loop: Header=BB230_1564 Depth=1
	s_or_b32 exec_lo, exec_lo, s15
.LBB230_2225:                           ;   in Loop: Header=BB230_1564 Depth=1
	s_or_b32 exec_lo, exec_lo, s13
.LBB230_2226:                           ;   in Loop: Header=BB230_1564 Depth=1
	s_or_b32 exec_lo, exec_lo, s7
	v_mov_b32_e32 v24, 0
	v_mov_b32_e32 v26, 0
	v_and_b32_sdwa v7, v6, v44 dst_sel:DWORD dst_unused:UNUSED_PAD src0_sel:WORD_1 src1_sel:DWORD
	v_mov_b32_e32 v25, 0
	v_mov_b32_e32 v27, 0
	s_mov_b32 s7, exec_lo
	v_cmpx_ne_u16_e32 0, v7
	s_cbranch_execz .LBB230_2234
; %bb.2227:                             ;   in Loop: Header=BB230_1564 Depth=1
	v_bfrev_b32_e32 v26, 1
	v_mov_b32_e32 v27, 0
	s_mov_b32 s13, exec_lo
	v_cmpx_ne_u16_e32 0x80, v7
	s_cbranch_execz .LBB230_2233
; %bb.2228:                             ;   in Loop: Header=BB230_1564 Depth=1
	v_mov_b32_e32 v26, 0x7f800001
	v_bfe_u32 v10, v6, 16, 7
	v_mov_b32_e32 v27, 0
	s_mov_b32 s15, exec_lo
	v_cmpx_ne_u32_e32 0x7f, v10
	s_cbranch_execz .LBB230_2232
; %bb.2229:                             ;   in Loop: Header=BB230_1564 Depth=1
	v_mov_b32_e32 v7, 7
	s_mov_b32 s18, exec_lo
	v_and_b32_sdwa v8, v6, v7 dst_sel:DWORD dst_unused:UNUSED_PAD src0_sel:WORD_1 src1_sel:DWORD
	v_lshrrev_b32_e32 v7, 3, v10
	v_cmpx_gt_u32_e32 8, v10
; %bb.2230:                             ;   in Loop: Header=BB230_1564 Depth=1
	v_ffbh_u32_e32 v7, v8
	v_min_u32_e32 v7, 32, v7
	v_subrev_nc_u32_e32 v10, 28, v7
	v_sub_nc_u32_e32 v7, 29, v7
	v_lshlrev_b64 v[26:27], v10, v[8:9]
	v_and_b32_e32 v8, 7, v26
; %bb.2231:                             ;   in Loop: Header=BB230_1564 Depth=1
	s_or_b32 exec_lo, exec_lo, s18
	v_mov_b32_e32 v10, 24
	v_lshlrev_b32_e32 v8, 20, v8
	v_lshl_add_u32 v7, v7, 23, 0x3c000000
	v_lshlrev_b32_sdwa v10, v10, v6 dst_sel:DWORD dst_unused:UNUSED_PAD src0_sel:DWORD src1_sel:WORD_1
	v_and_b32_e32 v10, 0x80000000, v10
	v_or3_b32 v8, v8, v10, v7
	v_mov_b32_e32 v27, v9
	v_mov_b32_e32 v26, v8
.LBB230_2232:                           ;   in Loop: Header=BB230_1564 Depth=1
	s_or_b32 exec_lo, exec_lo, s15
.LBB230_2233:                           ;   in Loop: Header=BB230_1564 Depth=1
	s_or_b32 exec_lo, exec_lo, s13
.LBB230_2234:                           ;   in Loop: Header=BB230_1564 Depth=1
	s_or_b32 exec_lo, exec_lo, s7
	s_mov_b32 s7, exec_lo
	v_cmpx_lt_u32_e32 0xffffff, v6
	s_cbranch_execz .LBB230_2242
; %bb.2235:                             ;   in Loop: Header=BB230_1564 Depth=1
	v_mov_b32_e32 v104, v9
	v_cmp_ne_u32_sdwa s4, v6, v42 src0_sel:BYTE_3 src1_sel:DWORD
	v_mov_b32_e32 v24, v104
	v_mov_b32_e32 v25, v105
	s_and_saveexec_b32 s13, s4
	s_cbranch_execz .LBB230_2241
; %bb.2236:                             ;   in Loop: Header=BB230_1564 Depth=1
	v_mov_b32_e32 v12, v9
	v_mov_b32_e32 v25, v13
	v_bfe_u32 v10, v6, 24, 7
	s_mov_b32 s15, exec_lo
	v_mov_b32_e32 v24, v12
	v_cmpx_ne_u32_e32 0x7f, v10
	s_cbranch_execz .LBB230_2240
; %bb.2237:                             ;   in Loop: Header=BB230_1564 Depth=1
	v_mov_b32_e32 v7, 7
	s_mov_b32 s18, exec_lo
	v_and_b32_sdwa v8, v6, v7 dst_sel:DWORD dst_unused:UNUSED_PAD src0_sel:BYTE_3 src1_sel:DWORD
	v_lshrrev_b32_e32 v7, 3, v10
	v_cmpx_gt_u32_e32 8, v10
; %bb.2238:                             ;   in Loop: Header=BB230_1564 Depth=1
	v_ffbh_u32_e32 v7, v8
	v_min_u32_e32 v7, 32, v7
	v_subrev_nc_u32_e32 v10, 28, v7
	v_sub_nc_u32_e32 v7, 29, v7
	v_lshlrev_b64 v[24:25], v10, v[8:9]
	v_and_b32_e32 v8, 7, v24
; %bb.2239:                             ;   in Loop: Header=BB230_1564 Depth=1
	s_or_b32 exec_lo, exec_lo, s18
	v_mov_b32_e32 v10, 24
	v_lshlrev_b32_e32 v8, 20, v8
	v_lshl_add_u32 v7, v7, 23, 0x3c000000
	v_mov_b32_e32 v24, v9
	v_lshlrev_b32_sdwa v6, v10, v6 dst_sel:DWORD dst_unused:UNUSED_PAD src0_sel:DWORD src1_sel:BYTE_3
	v_and_b32_e32 v6, 0x80000000, v6
	v_or3_b32 v25, v8, v6, v7
.LBB230_2240:                           ;   in Loop: Header=BB230_1564 Depth=1
	s_or_b32 exec_lo, exec_lo, s15
.LBB230_2241:                           ;   in Loop: Header=BB230_1564 Depth=1
	s_or_b32 exec_lo, exec_lo, s13
.LBB230_2242:                           ;   in Loop: Header=BB230_1564 Depth=1
	s_or_b32 exec_lo, exec_lo, s7
	v_or_b32_e32 v6, v23, v21
	v_or_b32_e32 v7, v22, v20
	;; [unrolled: 1-line block ×4, first 2 shown]
	v_mul_f32_e32 v6, v59, v6
	buffer_store_dword v6, off, s[0:3], s32 offset:828 ; 4-byte Folded Spill
	v_mul_f32_e32 v6, v41, v7
	buffer_store_dword v6, off, s[0:3], s32 offset:820 ; 4-byte Folded Spill
	;; [unrolled: 2-line block ×4, first 2 shown]
	s_and_saveexec_b32 s7, vcc_lo
	s_cbranch_execz .LBB230_2244
; %bb.2243:                             ;   in Loop: Header=BB230_1564 Depth=1
	buffer_load_dword v6, off, s[0:3], s32 offset:820 ; 4-byte Folded Reload
	v_cmp_lt_i32_e64 s4, v93, v73
	s_waitcnt vmcnt(0)
	v_cndmask_b32_e64 v6, 0, v6, s4
	v_cmp_lt_i32_e64 s4, v95, v73
	buffer_store_dword v6, off, s[0:3], s32 offset:820 ; 4-byte Folded Spill
	buffer_load_dword v6, off, s[0:3], s32 offset:828 ; 4-byte Folded Reload
	s_waitcnt vmcnt(0)
	v_cndmask_b32_e64 v6, 0, v6, s4
	v_cmp_lt_i32_e64 s4, v94, v73
	buffer_store_dword v6, off, s[0:3], s32 offset:828 ; 4-byte Folded Spill
	buffer_load_dword v6, off, s[0:3], s32 offset:812 ; 4-byte Folded Reload
	;; [unrolled: 5-line block ×3, first 2 shown]
	s_waitcnt vmcnt(0)
	v_cndmask_b32_e64 v6, 0, v6, s4
	buffer_store_dword v6, off, s[0:3], s32 offset:804 ; 4-byte Folded Spill
.LBB230_2244:                           ;   in Loop: Header=BB230_1564 Depth=1
	s_or_b32 exec_lo, exec_lo, s7
	flat_load_dword v6, v[18:19] offset:512
	v_mov_b32_e32 v22, 0
	v_mov_b32_e32 v20, 0
	v_mov_b32_e32 v23, 0
	v_mov_b32_e32 v21, 0
	s_waitcnt vmcnt(0) lgkmcnt(0)
	v_cmp_ne_u16_sdwa s4, v6, v9 src0_sel:BYTE_0 src1_sel:DWORD
	s_and_saveexec_b32 s7, s4
	s_cbranch_execz .LBB230_2252
; %bb.2245:                             ;   in Loop: Header=BB230_1564 Depth=1
	v_bfrev_b32_e32 v20, 1
	v_mov_b32_e32 v21, 0
	v_cmp_ne_u16_sdwa s4, v6, v42 src0_sel:BYTE_0 src1_sel:DWORD
	s_and_saveexec_b32 s13, s4
	s_cbranch_execz .LBB230_2251
; %bb.2246:                             ;   in Loop: Header=BB230_1564 Depth=1
	v_mov_b32_e32 v20, 0x7f800001
	v_and_b32_e32 v10, 0x7f, v6
	v_mov_b32_e32 v21, 0
	s_mov_b32 s15, exec_lo
	v_cmpx_ne_u32_e32 0x7f, v10
	s_cbranch_execz .LBB230_2250
; %bb.2247:                             ;   in Loop: Header=BB230_1564 Depth=1
	v_and_b32_e32 v8, 7, v6
	v_lshrrev_b32_e32 v7, 3, v10
	s_mov_b32 s18, exec_lo
	v_cmpx_gt_u32_e32 8, v10
; %bb.2248:                             ;   in Loop: Header=BB230_1564 Depth=1
	v_ffbh_u32_e32 v7, v8
	v_min_u32_e32 v7, 32, v7
	v_subrev_nc_u32_e32 v10, 28, v7
	v_sub_nc_u32_e32 v7, 29, v7
	v_lshlrev_b64 v[20:21], v10, v[8:9]
	v_and_b32_e32 v8, 7, v20
; %bb.2249:                             ;   in Loop: Header=BB230_1564 Depth=1
	s_or_b32 exec_lo, exec_lo, s18
	v_lshlrev_b32_e32 v10, 24, v6
	v_lshlrev_b32_e32 v8, 20, v8
	v_lshl_add_u32 v7, v7, 23, 0x3c000000
	v_and_b32_e32 v10, 0x80000000, v10
	v_or3_b32 v8, v8, v10, v7
	v_mov_b32_e32 v21, v9
	v_mov_b32_e32 v20, v8
.LBB230_2250:                           ;   in Loop: Header=BB230_1564 Depth=1
	s_or_b32 exec_lo, exec_lo, s15
.LBB230_2251:                           ;   in Loop: Header=BB230_1564 Depth=1
	s_or_b32 exec_lo, exec_lo, s13
.LBB230_2252:                           ;   in Loop: Header=BB230_1564 Depth=1
	s_or_b32 exec_lo, exec_lo, s7
	v_cmp_ne_u16_sdwa s4, v6, v9 src0_sel:BYTE_1 src1_sel:DWORD
	s_and_saveexec_b32 s7, s4
	s_cbranch_execz .LBB230_2260
; %bb.2253:                             ;   in Loop: Header=BB230_1564 Depth=1
	v_mov_b32_e32 v104, v9
	v_cmp_ne_u16_sdwa s4, v6, v42 src0_sel:BYTE_1 src1_sel:DWORD
	v_mov_b32_e32 v22, v104
	v_mov_b32_e32 v23, v105
	s_and_saveexec_b32 s13, s4
	s_cbranch_execz .LBB230_2259
; %bb.2254:                             ;   in Loop: Header=BB230_1564 Depth=1
	v_mov_b32_e32 v7, 0xffff
	v_mov_b32_e32 v12, v9
	;; [unrolled: 1-line block ×3, first 2 shown]
	s_mov_b32 s15, exec_lo
	v_and_b32_sdwa v7, v7, v6 dst_sel:DWORD dst_unused:UNUSED_PAD src0_sel:DWORD src1_sel:BYTE_1
	v_mov_b32_e32 v22, v12
	v_and_b32_e32 v10, 0x7f, v7
	v_cmpx_ne_u32_e32 0x7f, v10
	s_cbranch_execz .LBB230_2258
; %bb.2255:                             ;   in Loop: Header=BB230_1564 Depth=1
	v_and_b32_e32 v8, 7, v7
	v_lshrrev_b32_e32 v7, 3, v10
	s_mov_b32 s18, exec_lo
	v_cmpx_gt_u32_e32 8, v10
; %bb.2256:                             ;   in Loop: Header=BB230_1564 Depth=1
	v_ffbh_u32_e32 v7, v8
	v_min_u32_e32 v7, 32, v7
	v_subrev_nc_u32_e32 v10, 28, v7
	v_sub_nc_u32_e32 v7, 29, v7
	v_lshlrev_b64 v[22:23], v10, v[8:9]
	v_and_b32_e32 v8, 7, v22
; %bb.2257:                             ;   in Loop: Header=BB230_1564 Depth=1
	s_or_b32 exec_lo, exec_lo, s18
	v_lshlrev_b32_e32 v10, 16, v6
	v_lshlrev_b32_e32 v8, 20, v8
	v_lshl_add_u32 v7, v7, 23, 0x3c000000
	v_mov_b32_e32 v22, v9
	v_and_b32_e32 v10, 0x80000000, v10
	v_or3_b32 v23, v8, v10, v7
.LBB230_2258:                           ;   in Loop: Header=BB230_1564 Depth=1
	s_or_b32 exec_lo, exec_lo, s15
.LBB230_2259:                           ;   in Loop: Header=BB230_1564 Depth=1
	s_or_b32 exec_lo, exec_lo, s13
.LBB230_2260:                           ;   in Loop: Header=BB230_1564 Depth=1
	s_or_b32 exec_lo, exec_lo, s7
	v_mov_b32_e32 v24, 0
	v_mov_b32_e32 v26, 0
	v_and_b32_sdwa v7, v6, v44 dst_sel:DWORD dst_unused:UNUSED_PAD src0_sel:WORD_1 src1_sel:DWORD
	v_mov_b32_e32 v25, 0
	v_mov_b32_e32 v27, 0
	s_mov_b32 s7, exec_lo
	v_cmpx_ne_u16_e32 0, v7
	s_cbranch_execz .LBB230_2268
; %bb.2261:                             ;   in Loop: Header=BB230_1564 Depth=1
	v_bfrev_b32_e32 v26, 1
	v_mov_b32_e32 v27, 0
	s_mov_b32 s13, exec_lo
	v_cmpx_ne_u16_e32 0x80, v7
	s_cbranch_execz .LBB230_2267
; %bb.2262:                             ;   in Loop: Header=BB230_1564 Depth=1
	v_mov_b32_e32 v26, 0x7f800001
	v_bfe_u32 v10, v6, 16, 7
	v_mov_b32_e32 v27, 0
	s_mov_b32 s15, exec_lo
	v_cmpx_ne_u32_e32 0x7f, v10
	s_cbranch_execz .LBB230_2266
; %bb.2263:                             ;   in Loop: Header=BB230_1564 Depth=1
	v_mov_b32_e32 v7, 7
	s_mov_b32 s18, exec_lo
	v_and_b32_sdwa v8, v6, v7 dst_sel:DWORD dst_unused:UNUSED_PAD src0_sel:WORD_1 src1_sel:DWORD
	v_lshrrev_b32_e32 v7, 3, v10
	v_cmpx_gt_u32_e32 8, v10
; %bb.2264:                             ;   in Loop: Header=BB230_1564 Depth=1
	v_ffbh_u32_e32 v7, v8
	v_min_u32_e32 v7, 32, v7
	v_subrev_nc_u32_e32 v10, 28, v7
	v_sub_nc_u32_e32 v7, 29, v7
	v_lshlrev_b64 v[26:27], v10, v[8:9]
	v_and_b32_e32 v8, 7, v26
; %bb.2265:                             ;   in Loop: Header=BB230_1564 Depth=1
	s_or_b32 exec_lo, exec_lo, s18
	v_mov_b32_e32 v10, 24
	v_lshlrev_b32_e32 v8, 20, v8
	v_lshl_add_u32 v7, v7, 23, 0x3c000000
	v_lshlrev_b32_sdwa v10, v10, v6 dst_sel:DWORD dst_unused:UNUSED_PAD src0_sel:DWORD src1_sel:WORD_1
	v_and_b32_e32 v10, 0x80000000, v10
	v_or3_b32 v8, v8, v10, v7
	v_mov_b32_e32 v27, v9
	v_mov_b32_e32 v26, v8
.LBB230_2266:                           ;   in Loop: Header=BB230_1564 Depth=1
	s_or_b32 exec_lo, exec_lo, s15
.LBB230_2267:                           ;   in Loop: Header=BB230_1564 Depth=1
	s_or_b32 exec_lo, exec_lo, s13
.LBB230_2268:                           ;   in Loop: Header=BB230_1564 Depth=1
	s_or_b32 exec_lo, exec_lo, s7
	s_mov_b32 s7, exec_lo
	v_cmpx_lt_u32_e32 0xffffff, v6
	s_cbranch_execz .LBB230_2276
; %bb.2269:                             ;   in Loop: Header=BB230_1564 Depth=1
	v_mov_b32_e32 v104, v9
	v_cmp_ne_u32_sdwa s4, v6, v42 src0_sel:BYTE_3 src1_sel:DWORD
	v_mov_b32_e32 v24, v104
	v_mov_b32_e32 v25, v105
	s_and_saveexec_b32 s13, s4
	s_cbranch_execz .LBB230_2275
; %bb.2270:                             ;   in Loop: Header=BB230_1564 Depth=1
	v_mov_b32_e32 v12, v9
	v_mov_b32_e32 v25, v13
	v_bfe_u32 v10, v6, 24, 7
	s_mov_b32 s15, exec_lo
	v_mov_b32_e32 v24, v12
	v_cmpx_ne_u32_e32 0x7f, v10
	s_cbranch_execz .LBB230_2274
; %bb.2271:                             ;   in Loop: Header=BB230_1564 Depth=1
	v_mov_b32_e32 v7, 7
	s_mov_b32 s18, exec_lo
	v_and_b32_sdwa v8, v6, v7 dst_sel:DWORD dst_unused:UNUSED_PAD src0_sel:BYTE_3 src1_sel:DWORD
	v_lshrrev_b32_e32 v7, 3, v10
	v_cmpx_gt_u32_e32 8, v10
; %bb.2272:                             ;   in Loop: Header=BB230_1564 Depth=1
	v_ffbh_u32_e32 v7, v8
	v_min_u32_e32 v7, 32, v7
	v_subrev_nc_u32_e32 v10, 28, v7
	v_sub_nc_u32_e32 v7, 29, v7
	v_lshlrev_b64 v[24:25], v10, v[8:9]
	v_and_b32_e32 v8, 7, v24
; %bb.2273:                             ;   in Loop: Header=BB230_1564 Depth=1
	s_or_b32 exec_lo, exec_lo, s18
	v_mov_b32_e32 v10, 24
	v_lshlrev_b32_e32 v8, 20, v8
	v_lshl_add_u32 v7, v7, 23, 0x3c000000
	v_mov_b32_e32 v24, v9
	v_lshlrev_b32_sdwa v6, v10, v6 dst_sel:DWORD dst_unused:UNUSED_PAD src0_sel:DWORD src1_sel:BYTE_3
	v_and_b32_e32 v6, 0x80000000, v6
	v_or3_b32 v25, v8, v6, v7
.LBB230_2274:                           ;   in Loop: Header=BB230_1564 Depth=1
	s_or_b32 exec_lo, exec_lo, s15
.LBB230_2275:                           ;   in Loop: Header=BB230_1564 Depth=1
	s_or_b32 exec_lo, exec_lo, s13
.LBB230_2276:                           ;   in Loop: Header=BB230_1564 Depth=1
	s_or_b32 exec_lo, exec_lo, s7
	v_or_b32_e32 v6, v23, v21
	v_or_b32_e32 v7, v22, v20
	;; [unrolled: 1-line block ×4, first 2 shown]
	v_mul_f32_e32 v6, v59, v6
	buffer_store_dword v6, off, s[0:3], s32 offset:860 ; 4-byte Folded Spill
	v_mul_f32_e32 v6, v41, v7
	buffer_store_dword v6, off, s[0:3], s32 offset:852 ; 4-byte Folded Spill
	;; [unrolled: 2-line block ×4, first 2 shown]
	s_and_saveexec_b32 s7, vcc_lo
	s_cbranch_execz .LBB230_2278
; %bb.2277:                             ;   in Loop: Header=BB230_1564 Depth=1
	buffer_load_dword v6, off, s[0:3], s32 offset:852 ; 4-byte Folded Reload
	v_cmp_lt_i32_e64 s4, v93, v73
	s_waitcnt vmcnt(0)
	v_cndmask_b32_e64 v6, 0, v6, s4
	v_cmp_lt_i32_e64 s4, v95, v73
	buffer_store_dword v6, off, s[0:3], s32 offset:852 ; 4-byte Folded Spill
	buffer_load_dword v6, off, s[0:3], s32 offset:860 ; 4-byte Folded Reload
	s_waitcnt vmcnt(0)
	v_cndmask_b32_e64 v6, 0, v6, s4
	v_cmp_lt_i32_e64 s4, v94, v73
	buffer_store_dword v6, off, s[0:3], s32 offset:860 ; 4-byte Folded Spill
	buffer_load_dword v6, off, s[0:3], s32 offset:844 ; 4-byte Folded Reload
	;; [unrolled: 5-line block ×3, first 2 shown]
	s_waitcnt vmcnt(0)
	v_cndmask_b32_e64 v6, 0, v6, s4
	buffer_store_dword v6, off, s[0:3], s32 offset:836 ; 4-byte Folded Spill
.LBB230_2278:                           ;   in Loop: Header=BB230_1564 Depth=1
	s_or_b32 exec_lo, exec_lo, s7
	flat_load_dword v6, v[18:19] offset:640
	v_mov_b32_e32 v22, 0
	v_mov_b32_e32 v20, 0
	;; [unrolled: 1-line block ×4, first 2 shown]
	s_waitcnt vmcnt(0) lgkmcnt(0)
	v_cmp_ne_u16_sdwa s4, v6, v9 src0_sel:BYTE_0 src1_sel:DWORD
	s_and_saveexec_b32 s7, s4
	s_cbranch_execz .LBB230_2286
; %bb.2279:                             ;   in Loop: Header=BB230_1564 Depth=1
	v_bfrev_b32_e32 v20, 1
	v_mov_b32_e32 v21, 0
	v_cmp_ne_u16_sdwa s4, v6, v42 src0_sel:BYTE_0 src1_sel:DWORD
	s_and_saveexec_b32 s13, s4
	s_cbranch_execz .LBB230_2285
; %bb.2280:                             ;   in Loop: Header=BB230_1564 Depth=1
	v_mov_b32_e32 v20, 0x7f800001
	v_and_b32_e32 v10, 0x7f, v6
	v_mov_b32_e32 v21, 0
	s_mov_b32 s15, exec_lo
	v_cmpx_ne_u32_e32 0x7f, v10
	s_cbranch_execz .LBB230_2284
; %bb.2281:                             ;   in Loop: Header=BB230_1564 Depth=1
	v_and_b32_e32 v8, 7, v6
	v_lshrrev_b32_e32 v7, 3, v10
	s_mov_b32 s18, exec_lo
	v_cmpx_gt_u32_e32 8, v10
; %bb.2282:                             ;   in Loop: Header=BB230_1564 Depth=1
	v_ffbh_u32_e32 v7, v8
	v_min_u32_e32 v7, 32, v7
	v_subrev_nc_u32_e32 v10, 28, v7
	v_sub_nc_u32_e32 v7, 29, v7
	v_lshlrev_b64 v[20:21], v10, v[8:9]
	v_and_b32_e32 v8, 7, v20
; %bb.2283:                             ;   in Loop: Header=BB230_1564 Depth=1
	s_or_b32 exec_lo, exec_lo, s18
	v_lshlrev_b32_e32 v10, 24, v6
	v_lshlrev_b32_e32 v8, 20, v8
	v_lshl_add_u32 v7, v7, 23, 0x3c000000
	v_and_b32_e32 v10, 0x80000000, v10
	v_or3_b32 v8, v8, v10, v7
	v_mov_b32_e32 v21, v9
	v_mov_b32_e32 v20, v8
.LBB230_2284:                           ;   in Loop: Header=BB230_1564 Depth=1
	s_or_b32 exec_lo, exec_lo, s15
.LBB230_2285:                           ;   in Loop: Header=BB230_1564 Depth=1
	s_or_b32 exec_lo, exec_lo, s13
.LBB230_2286:                           ;   in Loop: Header=BB230_1564 Depth=1
	s_or_b32 exec_lo, exec_lo, s7
	v_cmp_ne_u16_sdwa s4, v6, v9 src0_sel:BYTE_1 src1_sel:DWORD
	s_and_saveexec_b32 s7, s4
	s_cbranch_execz .LBB230_2294
; %bb.2287:                             ;   in Loop: Header=BB230_1564 Depth=1
	v_mov_b32_e32 v104, v9
	v_cmp_ne_u16_sdwa s4, v6, v42 src0_sel:BYTE_1 src1_sel:DWORD
	v_mov_b32_e32 v22, v104
	v_mov_b32_e32 v23, v105
	s_and_saveexec_b32 s13, s4
	s_cbranch_execz .LBB230_2293
; %bb.2288:                             ;   in Loop: Header=BB230_1564 Depth=1
	v_mov_b32_e32 v7, 0xffff
	v_mov_b32_e32 v12, v9
	;; [unrolled: 1-line block ×3, first 2 shown]
	s_mov_b32 s15, exec_lo
	v_and_b32_sdwa v7, v7, v6 dst_sel:DWORD dst_unused:UNUSED_PAD src0_sel:DWORD src1_sel:BYTE_1
	v_mov_b32_e32 v22, v12
	v_and_b32_e32 v10, 0x7f, v7
	v_cmpx_ne_u32_e32 0x7f, v10
	s_cbranch_execz .LBB230_2292
; %bb.2289:                             ;   in Loop: Header=BB230_1564 Depth=1
	v_and_b32_e32 v8, 7, v7
	v_lshrrev_b32_e32 v7, 3, v10
	s_mov_b32 s18, exec_lo
	v_cmpx_gt_u32_e32 8, v10
; %bb.2290:                             ;   in Loop: Header=BB230_1564 Depth=1
	v_ffbh_u32_e32 v7, v8
	v_min_u32_e32 v7, 32, v7
	v_subrev_nc_u32_e32 v10, 28, v7
	v_sub_nc_u32_e32 v7, 29, v7
	v_lshlrev_b64 v[22:23], v10, v[8:9]
	v_and_b32_e32 v8, 7, v22
; %bb.2291:                             ;   in Loop: Header=BB230_1564 Depth=1
	s_or_b32 exec_lo, exec_lo, s18
	v_lshlrev_b32_e32 v10, 16, v6
	v_lshlrev_b32_e32 v8, 20, v8
	v_lshl_add_u32 v7, v7, 23, 0x3c000000
	v_mov_b32_e32 v22, v9
	v_and_b32_e32 v10, 0x80000000, v10
	v_or3_b32 v23, v8, v10, v7
.LBB230_2292:                           ;   in Loop: Header=BB230_1564 Depth=1
	s_or_b32 exec_lo, exec_lo, s15
.LBB230_2293:                           ;   in Loop: Header=BB230_1564 Depth=1
	s_or_b32 exec_lo, exec_lo, s13
.LBB230_2294:                           ;   in Loop: Header=BB230_1564 Depth=1
	s_or_b32 exec_lo, exec_lo, s7
	v_mov_b32_e32 v24, 0
	v_mov_b32_e32 v26, 0
	v_and_b32_sdwa v7, v6, v44 dst_sel:DWORD dst_unused:UNUSED_PAD src0_sel:WORD_1 src1_sel:DWORD
	v_mov_b32_e32 v25, 0
	v_mov_b32_e32 v27, 0
	s_mov_b32 s7, exec_lo
	v_cmpx_ne_u16_e32 0, v7
	s_cbranch_execz .LBB230_2302
; %bb.2295:                             ;   in Loop: Header=BB230_1564 Depth=1
	v_bfrev_b32_e32 v26, 1
	v_mov_b32_e32 v27, 0
	s_mov_b32 s13, exec_lo
	v_cmpx_ne_u16_e32 0x80, v7
	s_cbranch_execz .LBB230_2301
; %bb.2296:                             ;   in Loop: Header=BB230_1564 Depth=1
	v_mov_b32_e32 v26, 0x7f800001
	v_bfe_u32 v10, v6, 16, 7
	v_mov_b32_e32 v27, 0
	s_mov_b32 s15, exec_lo
	v_cmpx_ne_u32_e32 0x7f, v10
	s_cbranch_execz .LBB230_2300
; %bb.2297:                             ;   in Loop: Header=BB230_1564 Depth=1
	v_mov_b32_e32 v7, 7
	s_mov_b32 s18, exec_lo
	v_and_b32_sdwa v8, v6, v7 dst_sel:DWORD dst_unused:UNUSED_PAD src0_sel:WORD_1 src1_sel:DWORD
	v_lshrrev_b32_e32 v7, 3, v10
	v_cmpx_gt_u32_e32 8, v10
; %bb.2298:                             ;   in Loop: Header=BB230_1564 Depth=1
	v_ffbh_u32_e32 v7, v8
	v_min_u32_e32 v7, 32, v7
	v_subrev_nc_u32_e32 v10, 28, v7
	v_sub_nc_u32_e32 v7, 29, v7
	v_lshlrev_b64 v[26:27], v10, v[8:9]
	v_and_b32_e32 v8, 7, v26
; %bb.2299:                             ;   in Loop: Header=BB230_1564 Depth=1
	s_or_b32 exec_lo, exec_lo, s18
	v_mov_b32_e32 v10, 24
	v_lshlrev_b32_e32 v8, 20, v8
	v_lshl_add_u32 v7, v7, 23, 0x3c000000
	v_lshlrev_b32_sdwa v10, v10, v6 dst_sel:DWORD dst_unused:UNUSED_PAD src0_sel:DWORD src1_sel:WORD_1
	v_and_b32_e32 v10, 0x80000000, v10
	v_or3_b32 v8, v8, v10, v7
	v_mov_b32_e32 v27, v9
	v_mov_b32_e32 v26, v8
.LBB230_2300:                           ;   in Loop: Header=BB230_1564 Depth=1
	s_or_b32 exec_lo, exec_lo, s15
.LBB230_2301:                           ;   in Loop: Header=BB230_1564 Depth=1
	s_or_b32 exec_lo, exec_lo, s13
.LBB230_2302:                           ;   in Loop: Header=BB230_1564 Depth=1
	s_or_b32 exec_lo, exec_lo, s7
	s_mov_b32 s7, exec_lo
	v_cmpx_lt_u32_e32 0xffffff, v6
	s_cbranch_execz .LBB230_2310
; %bb.2303:                             ;   in Loop: Header=BB230_1564 Depth=1
	v_mov_b32_e32 v104, v9
	v_cmp_ne_u32_sdwa s4, v6, v42 src0_sel:BYTE_3 src1_sel:DWORD
	v_mov_b32_e32 v24, v104
	v_mov_b32_e32 v25, v105
	s_and_saveexec_b32 s13, s4
	s_cbranch_execz .LBB230_2309
; %bb.2304:                             ;   in Loop: Header=BB230_1564 Depth=1
	v_mov_b32_e32 v12, v9
	v_mov_b32_e32 v25, v13
	v_bfe_u32 v10, v6, 24, 7
	s_mov_b32 s15, exec_lo
	v_mov_b32_e32 v24, v12
	v_cmpx_ne_u32_e32 0x7f, v10
	s_cbranch_execz .LBB230_2308
; %bb.2305:                             ;   in Loop: Header=BB230_1564 Depth=1
	v_mov_b32_e32 v7, 7
	s_mov_b32 s18, exec_lo
	v_and_b32_sdwa v8, v6, v7 dst_sel:DWORD dst_unused:UNUSED_PAD src0_sel:BYTE_3 src1_sel:DWORD
	v_lshrrev_b32_e32 v7, 3, v10
	v_cmpx_gt_u32_e32 8, v10
; %bb.2306:                             ;   in Loop: Header=BB230_1564 Depth=1
	v_ffbh_u32_e32 v7, v8
	v_min_u32_e32 v7, 32, v7
	v_subrev_nc_u32_e32 v10, 28, v7
	v_sub_nc_u32_e32 v7, 29, v7
	v_lshlrev_b64 v[24:25], v10, v[8:9]
	v_and_b32_e32 v8, 7, v24
; %bb.2307:                             ;   in Loop: Header=BB230_1564 Depth=1
	s_or_b32 exec_lo, exec_lo, s18
	v_mov_b32_e32 v10, 24
	v_lshlrev_b32_e32 v8, 20, v8
	v_lshl_add_u32 v7, v7, 23, 0x3c000000
	v_mov_b32_e32 v24, v9
	v_lshlrev_b32_sdwa v6, v10, v6 dst_sel:DWORD dst_unused:UNUSED_PAD src0_sel:DWORD src1_sel:BYTE_3
	v_and_b32_e32 v6, 0x80000000, v6
	v_or3_b32 v25, v8, v6, v7
.LBB230_2308:                           ;   in Loop: Header=BB230_1564 Depth=1
	s_or_b32 exec_lo, exec_lo, s15
.LBB230_2309:                           ;   in Loop: Header=BB230_1564 Depth=1
	s_or_b32 exec_lo, exec_lo, s13
.LBB230_2310:                           ;   in Loop: Header=BB230_1564 Depth=1
	s_or_b32 exec_lo, exec_lo, s7
	v_or_b32_e32 v6, v23, v21
	v_or_b32_e32 v7, v22, v20
	;; [unrolled: 1-line block ×4, first 2 shown]
	v_mul_f32_e32 v6, v59, v6
	buffer_store_dword v6, off, s[0:3], s32 offset:892 ; 4-byte Folded Spill
	v_mul_f32_e32 v6, v41, v7
	buffer_store_dword v6, off, s[0:3], s32 offset:884 ; 4-byte Folded Spill
	;; [unrolled: 2-line block ×4, first 2 shown]
	s_and_saveexec_b32 s7, vcc_lo
	s_cbranch_execz .LBB230_2312
; %bb.2311:                             ;   in Loop: Header=BB230_1564 Depth=1
	buffer_load_dword v6, off, s[0:3], s32 offset:884 ; 4-byte Folded Reload
	v_cmp_lt_i32_e64 s4, v93, v73
	s_waitcnt vmcnt(0)
	v_cndmask_b32_e64 v6, 0, v6, s4
	v_cmp_lt_i32_e64 s4, v95, v73
	buffer_store_dword v6, off, s[0:3], s32 offset:884 ; 4-byte Folded Spill
	buffer_load_dword v6, off, s[0:3], s32 offset:892 ; 4-byte Folded Reload
	s_waitcnt vmcnt(0)
	v_cndmask_b32_e64 v6, 0, v6, s4
	v_cmp_lt_i32_e64 s4, v94, v73
	buffer_store_dword v6, off, s[0:3], s32 offset:892 ; 4-byte Folded Spill
	buffer_load_dword v6, off, s[0:3], s32 offset:876 ; 4-byte Folded Reload
	;; [unrolled: 5-line block ×3, first 2 shown]
	s_waitcnt vmcnt(0)
	v_cndmask_b32_e64 v6, 0, v6, s4
	buffer_store_dword v6, off, s[0:3], s32 offset:868 ; 4-byte Folded Spill
.LBB230_2312:                           ;   in Loop: Header=BB230_1564 Depth=1
	s_or_b32 exec_lo, exec_lo, s7
	flat_load_dword v6, v[18:19] offset:768
	v_mov_b32_e32 v22, 0
	v_mov_b32_e32 v20, 0
	;; [unrolled: 1-line block ×4, first 2 shown]
	s_waitcnt vmcnt(0) lgkmcnt(0)
	v_cmp_ne_u16_sdwa s4, v6, v9 src0_sel:BYTE_0 src1_sel:DWORD
	s_and_saveexec_b32 s7, s4
	s_cbranch_execz .LBB230_2320
; %bb.2313:                             ;   in Loop: Header=BB230_1564 Depth=1
	v_bfrev_b32_e32 v20, 1
	v_mov_b32_e32 v21, 0
	v_cmp_ne_u16_sdwa s4, v6, v42 src0_sel:BYTE_0 src1_sel:DWORD
	s_and_saveexec_b32 s13, s4
	s_cbranch_execz .LBB230_2319
; %bb.2314:                             ;   in Loop: Header=BB230_1564 Depth=1
	v_mov_b32_e32 v20, 0x7f800001
	v_and_b32_e32 v10, 0x7f, v6
	v_mov_b32_e32 v21, 0
	s_mov_b32 s15, exec_lo
	v_cmpx_ne_u32_e32 0x7f, v10
	s_cbranch_execz .LBB230_2318
; %bb.2315:                             ;   in Loop: Header=BB230_1564 Depth=1
	v_and_b32_e32 v8, 7, v6
	v_lshrrev_b32_e32 v7, 3, v10
	s_mov_b32 s18, exec_lo
	v_cmpx_gt_u32_e32 8, v10
; %bb.2316:                             ;   in Loop: Header=BB230_1564 Depth=1
	v_ffbh_u32_e32 v7, v8
	v_min_u32_e32 v7, 32, v7
	v_subrev_nc_u32_e32 v10, 28, v7
	v_sub_nc_u32_e32 v7, 29, v7
	v_lshlrev_b64 v[20:21], v10, v[8:9]
	v_and_b32_e32 v8, 7, v20
; %bb.2317:                             ;   in Loop: Header=BB230_1564 Depth=1
	s_or_b32 exec_lo, exec_lo, s18
	v_lshlrev_b32_e32 v10, 24, v6
	v_lshlrev_b32_e32 v8, 20, v8
	v_lshl_add_u32 v7, v7, 23, 0x3c000000
	v_and_b32_e32 v10, 0x80000000, v10
	v_or3_b32 v8, v8, v10, v7
	v_mov_b32_e32 v21, v9
	v_mov_b32_e32 v20, v8
.LBB230_2318:                           ;   in Loop: Header=BB230_1564 Depth=1
	s_or_b32 exec_lo, exec_lo, s15
.LBB230_2319:                           ;   in Loop: Header=BB230_1564 Depth=1
	s_or_b32 exec_lo, exec_lo, s13
.LBB230_2320:                           ;   in Loop: Header=BB230_1564 Depth=1
	s_or_b32 exec_lo, exec_lo, s7
	v_cmp_ne_u16_sdwa s4, v6, v9 src0_sel:BYTE_1 src1_sel:DWORD
	s_and_saveexec_b32 s7, s4
	s_cbranch_execz .LBB230_2328
; %bb.2321:                             ;   in Loop: Header=BB230_1564 Depth=1
	v_mov_b32_e32 v104, v9
	v_cmp_ne_u16_sdwa s4, v6, v42 src0_sel:BYTE_1 src1_sel:DWORD
	v_mov_b32_e32 v22, v104
	v_mov_b32_e32 v23, v105
	s_and_saveexec_b32 s13, s4
	s_cbranch_execz .LBB230_2327
; %bb.2322:                             ;   in Loop: Header=BB230_1564 Depth=1
	v_mov_b32_e32 v7, 0xffff
	v_mov_b32_e32 v12, v9
	;; [unrolled: 1-line block ×3, first 2 shown]
	s_mov_b32 s15, exec_lo
	v_and_b32_sdwa v7, v7, v6 dst_sel:DWORD dst_unused:UNUSED_PAD src0_sel:DWORD src1_sel:BYTE_1
	v_mov_b32_e32 v22, v12
	v_and_b32_e32 v10, 0x7f, v7
	v_cmpx_ne_u32_e32 0x7f, v10
	s_cbranch_execz .LBB230_2326
; %bb.2323:                             ;   in Loop: Header=BB230_1564 Depth=1
	v_and_b32_e32 v8, 7, v7
	v_lshrrev_b32_e32 v7, 3, v10
	s_mov_b32 s18, exec_lo
	v_cmpx_gt_u32_e32 8, v10
; %bb.2324:                             ;   in Loop: Header=BB230_1564 Depth=1
	v_ffbh_u32_e32 v7, v8
	v_min_u32_e32 v7, 32, v7
	v_subrev_nc_u32_e32 v10, 28, v7
	v_sub_nc_u32_e32 v7, 29, v7
	v_lshlrev_b64 v[22:23], v10, v[8:9]
	v_and_b32_e32 v8, 7, v22
; %bb.2325:                             ;   in Loop: Header=BB230_1564 Depth=1
	s_or_b32 exec_lo, exec_lo, s18
	v_lshlrev_b32_e32 v10, 16, v6
	v_lshlrev_b32_e32 v8, 20, v8
	v_lshl_add_u32 v7, v7, 23, 0x3c000000
	v_mov_b32_e32 v22, v9
	v_and_b32_e32 v10, 0x80000000, v10
	v_or3_b32 v23, v8, v10, v7
.LBB230_2326:                           ;   in Loop: Header=BB230_1564 Depth=1
	s_or_b32 exec_lo, exec_lo, s15
.LBB230_2327:                           ;   in Loop: Header=BB230_1564 Depth=1
	s_or_b32 exec_lo, exec_lo, s13
.LBB230_2328:                           ;   in Loop: Header=BB230_1564 Depth=1
	s_or_b32 exec_lo, exec_lo, s7
	v_mov_b32_e32 v24, 0
	v_mov_b32_e32 v26, 0
	v_and_b32_sdwa v7, v6, v44 dst_sel:DWORD dst_unused:UNUSED_PAD src0_sel:WORD_1 src1_sel:DWORD
	v_mov_b32_e32 v25, 0
	v_mov_b32_e32 v27, 0
	s_mov_b32 s7, exec_lo
	v_cmpx_ne_u16_e32 0, v7
	s_cbranch_execz .LBB230_2336
; %bb.2329:                             ;   in Loop: Header=BB230_1564 Depth=1
	v_bfrev_b32_e32 v26, 1
	v_mov_b32_e32 v27, 0
	s_mov_b32 s13, exec_lo
	v_cmpx_ne_u16_e32 0x80, v7
	s_cbranch_execz .LBB230_2335
; %bb.2330:                             ;   in Loop: Header=BB230_1564 Depth=1
	v_mov_b32_e32 v26, 0x7f800001
	v_bfe_u32 v10, v6, 16, 7
	v_mov_b32_e32 v27, 0
	s_mov_b32 s15, exec_lo
	v_cmpx_ne_u32_e32 0x7f, v10
	s_cbranch_execz .LBB230_2334
; %bb.2331:                             ;   in Loop: Header=BB230_1564 Depth=1
	v_mov_b32_e32 v7, 7
	s_mov_b32 s18, exec_lo
	v_and_b32_sdwa v8, v6, v7 dst_sel:DWORD dst_unused:UNUSED_PAD src0_sel:WORD_1 src1_sel:DWORD
	v_lshrrev_b32_e32 v7, 3, v10
	v_cmpx_gt_u32_e32 8, v10
; %bb.2332:                             ;   in Loop: Header=BB230_1564 Depth=1
	v_ffbh_u32_e32 v7, v8
	v_min_u32_e32 v7, 32, v7
	v_subrev_nc_u32_e32 v10, 28, v7
	v_sub_nc_u32_e32 v7, 29, v7
	v_lshlrev_b64 v[26:27], v10, v[8:9]
	v_and_b32_e32 v8, 7, v26
; %bb.2333:                             ;   in Loop: Header=BB230_1564 Depth=1
	s_or_b32 exec_lo, exec_lo, s18
	v_mov_b32_e32 v10, 24
	v_lshlrev_b32_e32 v8, 20, v8
	v_lshl_add_u32 v7, v7, 23, 0x3c000000
	v_lshlrev_b32_sdwa v10, v10, v6 dst_sel:DWORD dst_unused:UNUSED_PAD src0_sel:DWORD src1_sel:WORD_1
	v_and_b32_e32 v10, 0x80000000, v10
	v_or3_b32 v8, v8, v10, v7
	v_mov_b32_e32 v27, v9
	v_mov_b32_e32 v26, v8
.LBB230_2334:                           ;   in Loop: Header=BB230_1564 Depth=1
	s_or_b32 exec_lo, exec_lo, s15
.LBB230_2335:                           ;   in Loop: Header=BB230_1564 Depth=1
	s_or_b32 exec_lo, exec_lo, s13
.LBB230_2336:                           ;   in Loop: Header=BB230_1564 Depth=1
	s_or_b32 exec_lo, exec_lo, s7
	s_mov_b32 s7, exec_lo
	v_cmpx_lt_u32_e32 0xffffff, v6
	s_cbranch_execz .LBB230_2344
; %bb.2337:                             ;   in Loop: Header=BB230_1564 Depth=1
	v_mov_b32_e32 v104, v9
	v_cmp_ne_u32_sdwa s4, v6, v42 src0_sel:BYTE_3 src1_sel:DWORD
	v_mov_b32_e32 v24, v104
	v_mov_b32_e32 v25, v105
	s_and_saveexec_b32 s13, s4
	s_cbranch_execz .LBB230_2343
; %bb.2338:                             ;   in Loop: Header=BB230_1564 Depth=1
	v_mov_b32_e32 v12, v9
	v_mov_b32_e32 v25, v13
	v_bfe_u32 v10, v6, 24, 7
	s_mov_b32 s15, exec_lo
	v_mov_b32_e32 v24, v12
	v_cmpx_ne_u32_e32 0x7f, v10
	s_cbranch_execz .LBB230_2342
; %bb.2339:                             ;   in Loop: Header=BB230_1564 Depth=1
	v_mov_b32_e32 v7, 7
	s_mov_b32 s18, exec_lo
	v_and_b32_sdwa v8, v6, v7 dst_sel:DWORD dst_unused:UNUSED_PAD src0_sel:BYTE_3 src1_sel:DWORD
	v_lshrrev_b32_e32 v7, 3, v10
	v_cmpx_gt_u32_e32 8, v10
; %bb.2340:                             ;   in Loop: Header=BB230_1564 Depth=1
	v_ffbh_u32_e32 v7, v8
	v_min_u32_e32 v7, 32, v7
	v_subrev_nc_u32_e32 v10, 28, v7
	v_sub_nc_u32_e32 v7, 29, v7
	v_lshlrev_b64 v[24:25], v10, v[8:9]
	v_and_b32_e32 v8, 7, v24
; %bb.2341:                             ;   in Loop: Header=BB230_1564 Depth=1
	s_or_b32 exec_lo, exec_lo, s18
	v_mov_b32_e32 v10, 24
	v_lshlrev_b32_e32 v8, 20, v8
	v_lshl_add_u32 v7, v7, 23, 0x3c000000
	v_mov_b32_e32 v24, v9
	v_lshlrev_b32_sdwa v6, v10, v6 dst_sel:DWORD dst_unused:UNUSED_PAD src0_sel:DWORD src1_sel:BYTE_3
	v_and_b32_e32 v6, 0x80000000, v6
	v_or3_b32 v25, v8, v6, v7
.LBB230_2342:                           ;   in Loop: Header=BB230_1564 Depth=1
	s_or_b32 exec_lo, exec_lo, s15
.LBB230_2343:                           ;   in Loop: Header=BB230_1564 Depth=1
	s_or_b32 exec_lo, exec_lo, s13
.LBB230_2344:                           ;   in Loop: Header=BB230_1564 Depth=1
	s_or_b32 exec_lo, exec_lo, s7
	v_or_b32_e32 v6, v23, v21
	v_or_b32_e32 v7, v22, v20
	;; [unrolled: 1-line block ×4, first 2 shown]
	v_mul_f32_e32 v6, v59, v6
	buffer_store_dword v6, off, s[0:3], s32 offset:924 ; 4-byte Folded Spill
	v_mul_f32_e32 v6, v41, v7
	buffer_store_dword v6, off, s[0:3], s32 offset:916 ; 4-byte Folded Spill
	;; [unrolled: 2-line block ×4, first 2 shown]
	s_and_saveexec_b32 s7, vcc_lo
	s_cbranch_execz .LBB230_2346
; %bb.2345:                             ;   in Loop: Header=BB230_1564 Depth=1
	buffer_load_dword v6, off, s[0:3], s32 offset:916 ; 4-byte Folded Reload
	v_cmp_lt_i32_e64 s4, v93, v73
	s_waitcnt vmcnt(0)
	v_cndmask_b32_e64 v6, 0, v6, s4
	v_cmp_lt_i32_e64 s4, v95, v73
	buffer_store_dword v6, off, s[0:3], s32 offset:916 ; 4-byte Folded Spill
	buffer_load_dword v6, off, s[0:3], s32 offset:924 ; 4-byte Folded Reload
	s_waitcnt vmcnt(0)
	v_cndmask_b32_e64 v6, 0, v6, s4
	v_cmp_lt_i32_e64 s4, v94, v73
	buffer_store_dword v6, off, s[0:3], s32 offset:924 ; 4-byte Folded Spill
	buffer_load_dword v6, off, s[0:3], s32 offset:908 ; 4-byte Folded Reload
	;; [unrolled: 5-line block ×3, first 2 shown]
	s_waitcnt vmcnt(0)
	v_cndmask_b32_e64 v6, 0, v6, s4
	buffer_store_dword v6, off, s[0:3], s32 offset:900 ; 4-byte Folded Spill
.LBB230_2346:                           ;   in Loop: Header=BB230_1564 Depth=1
	s_or_b32 exec_lo, exec_lo, s7
	flat_load_dword v6, v[18:19] offset:896
	v_mov_b32_e32 v22, 0
	v_mov_b32_e32 v20, 0
	;; [unrolled: 1-line block ×4, first 2 shown]
	s_waitcnt vmcnt(0) lgkmcnt(0)
	v_cmp_ne_u16_sdwa s4, v6, v9 src0_sel:BYTE_0 src1_sel:DWORD
	s_and_saveexec_b32 s7, s4
	s_cbranch_execz .LBB230_2354
; %bb.2347:                             ;   in Loop: Header=BB230_1564 Depth=1
	v_bfrev_b32_e32 v20, 1
	v_mov_b32_e32 v21, 0
	v_cmp_ne_u16_sdwa s4, v6, v42 src0_sel:BYTE_0 src1_sel:DWORD
	s_and_saveexec_b32 s13, s4
	s_cbranch_execz .LBB230_2353
; %bb.2348:                             ;   in Loop: Header=BB230_1564 Depth=1
	v_mov_b32_e32 v20, 0x7f800001
	v_and_b32_e32 v10, 0x7f, v6
	v_mov_b32_e32 v21, 0
	s_mov_b32 s15, exec_lo
	v_cmpx_ne_u32_e32 0x7f, v10
	s_cbranch_execz .LBB230_2352
; %bb.2349:                             ;   in Loop: Header=BB230_1564 Depth=1
	v_and_b32_e32 v8, 7, v6
	v_lshrrev_b32_e32 v7, 3, v10
	s_mov_b32 s18, exec_lo
	v_cmpx_gt_u32_e32 8, v10
; %bb.2350:                             ;   in Loop: Header=BB230_1564 Depth=1
	v_ffbh_u32_e32 v7, v8
	v_min_u32_e32 v7, 32, v7
	v_subrev_nc_u32_e32 v10, 28, v7
	v_sub_nc_u32_e32 v7, 29, v7
	v_lshlrev_b64 v[20:21], v10, v[8:9]
	v_and_b32_e32 v8, 7, v20
; %bb.2351:                             ;   in Loop: Header=BB230_1564 Depth=1
	s_or_b32 exec_lo, exec_lo, s18
	v_lshlrev_b32_e32 v10, 24, v6
	v_lshlrev_b32_e32 v8, 20, v8
	v_lshl_add_u32 v7, v7, 23, 0x3c000000
	v_and_b32_e32 v10, 0x80000000, v10
	v_or3_b32 v8, v8, v10, v7
	v_mov_b32_e32 v21, v9
	v_mov_b32_e32 v20, v8
.LBB230_2352:                           ;   in Loop: Header=BB230_1564 Depth=1
	s_or_b32 exec_lo, exec_lo, s15
.LBB230_2353:                           ;   in Loop: Header=BB230_1564 Depth=1
	s_or_b32 exec_lo, exec_lo, s13
.LBB230_2354:                           ;   in Loop: Header=BB230_1564 Depth=1
	s_or_b32 exec_lo, exec_lo, s7
	v_cmp_ne_u16_sdwa s4, v6, v9 src0_sel:BYTE_1 src1_sel:DWORD
	s_and_saveexec_b32 s7, s4
	s_cbranch_execz .LBB230_2362
; %bb.2355:                             ;   in Loop: Header=BB230_1564 Depth=1
	v_mov_b32_e32 v104, v9
	v_cmp_ne_u16_sdwa s4, v6, v42 src0_sel:BYTE_1 src1_sel:DWORD
	v_mov_b32_e32 v22, v104
	v_mov_b32_e32 v23, v105
	s_and_saveexec_b32 s13, s4
	s_cbranch_execz .LBB230_2361
; %bb.2356:                             ;   in Loop: Header=BB230_1564 Depth=1
	v_mov_b32_e32 v7, 0xffff
	v_mov_b32_e32 v12, v9
	;; [unrolled: 1-line block ×3, first 2 shown]
	s_mov_b32 s15, exec_lo
	v_and_b32_sdwa v7, v7, v6 dst_sel:DWORD dst_unused:UNUSED_PAD src0_sel:DWORD src1_sel:BYTE_1
	v_mov_b32_e32 v22, v12
	v_and_b32_e32 v10, 0x7f, v7
	v_cmpx_ne_u32_e32 0x7f, v10
	s_cbranch_execz .LBB230_2360
; %bb.2357:                             ;   in Loop: Header=BB230_1564 Depth=1
	v_and_b32_e32 v8, 7, v7
	v_lshrrev_b32_e32 v7, 3, v10
	s_mov_b32 s18, exec_lo
	v_cmpx_gt_u32_e32 8, v10
; %bb.2358:                             ;   in Loop: Header=BB230_1564 Depth=1
	v_ffbh_u32_e32 v7, v8
	v_min_u32_e32 v7, 32, v7
	v_subrev_nc_u32_e32 v10, 28, v7
	v_sub_nc_u32_e32 v7, 29, v7
	v_lshlrev_b64 v[22:23], v10, v[8:9]
	v_and_b32_e32 v8, 7, v22
; %bb.2359:                             ;   in Loop: Header=BB230_1564 Depth=1
	s_or_b32 exec_lo, exec_lo, s18
	v_lshlrev_b32_e32 v10, 16, v6
	v_lshlrev_b32_e32 v8, 20, v8
	v_lshl_add_u32 v7, v7, 23, 0x3c000000
	v_mov_b32_e32 v22, v9
	v_and_b32_e32 v10, 0x80000000, v10
	v_or3_b32 v23, v8, v10, v7
.LBB230_2360:                           ;   in Loop: Header=BB230_1564 Depth=1
	s_or_b32 exec_lo, exec_lo, s15
.LBB230_2361:                           ;   in Loop: Header=BB230_1564 Depth=1
	s_or_b32 exec_lo, exec_lo, s13
.LBB230_2362:                           ;   in Loop: Header=BB230_1564 Depth=1
	s_or_b32 exec_lo, exec_lo, s7
	v_mov_b32_e32 v24, 0
	v_mov_b32_e32 v26, 0
	v_and_b32_sdwa v7, v6, v44 dst_sel:DWORD dst_unused:UNUSED_PAD src0_sel:WORD_1 src1_sel:DWORD
	v_mov_b32_e32 v25, 0
	v_mov_b32_e32 v27, 0
	s_mov_b32 s7, exec_lo
	v_cmpx_ne_u16_e32 0, v7
	s_cbranch_execz .LBB230_2370
; %bb.2363:                             ;   in Loop: Header=BB230_1564 Depth=1
	v_bfrev_b32_e32 v26, 1
	v_mov_b32_e32 v27, 0
	s_mov_b32 s13, exec_lo
	v_cmpx_ne_u16_e32 0x80, v7
	s_cbranch_execz .LBB230_2369
; %bb.2364:                             ;   in Loop: Header=BB230_1564 Depth=1
	v_mov_b32_e32 v26, 0x7f800001
	v_bfe_u32 v10, v6, 16, 7
	v_mov_b32_e32 v27, 0
	s_mov_b32 s15, exec_lo
	v_cmpx_ne_u32_e32 0x7f, v10
	s_cbranch_execz .LBB230_2368
; %bb.2365:                             ;   in Loop: Header=BB230_1564 Depth=1
	v_mov_b32_e32 v7, 7
	s_mov_b32 s18, exec_lo
	v_and_b32_sdwa v8, v6, v7 dst_sel:DWORD dst_unused:UNUSED_PAD src0_sel:WORD_1 src1_sel:DWORD
	v_lshrrev_b32_e32 v7, 3, v10
	v_cmpx_gt_u32_e32 8, v10
; %bb.2366:                             ;   in Loop: Header=BB230_1564 Depth=1
	v_ffbh_u32_e32 v7, v8
	v_min_u32_e32 v7, 32, v7
	v_subrev_nc_u32_e32 v10, 28, v7
	v_sub_nc_u32_e32 v7, 29, v7
	v_lshlrev_b64 v[26:27], v10, v[8:9]
	v_and_b32_e32 v8, 7, v26
; %bb.2367:                             ;   in Loop: Header=BB230_1564 Depth=1
	s_or_b32 exec_lo, exec_lo, s18
	v_mov_b32_e32 v10, 24
	v_lshlrev_b32_e32 v8, 20, v8
	v_lshl_add_u32 v7, v7, 23, 0x3c000000
	v_lshlrev_b32_sdwa v10, v10, v6 dst_sel:DWORD dst_unused:UNUSED_PAD src0_sel:DWORD src1_sel:WORD_1
	v_and_b32_e32 v10, 0x80000000, v10
	v_or3_b32 v8, v8, v10, v7
	v_mov_b32_e32 v27, v9
	v_mov_b32_e32 v26, v8
.LBB230_2368:                           ;   in Loop: Header=BB230_1564 Depth=1
	s_or_b32 exec_lo, exec_lo, s15
.LBB230_2369:                           ;   in Loop: Header=BB230_1564 Depth=1
	s_or_b32 exec_lo, exec_lo, s13
.LBB230_2370:                           ;   in Loop: Header=BB230_1564 Depth=1
	s_or_b32 exec_lo, exec_lo, s7
	s_mov_b32 s7, exec_lo
	v_cmpx_lt_u32_e32 0xffffff, v6
	s_cbranch_execz .LBB230_2378
; %bb.2371:                             ;   in Loop: Header=BB230_1564 Depth=1
	v_mov_b32_e32 v104, v9
	v_cmp_ne_u32_sdwa s4, v6, v42 src0_sel:BYTE_3 src1_sel:DWORD
	v_mov_b32_e32 v24, v104
	v_mov_b32_e32 v25, v105
	s_and_saveexec_b32 s13, s4
	s_cbranch_execz .LBB230_2377
; %bb.2372:                             ;   in Loop: Header=BB230_1564 Depth=1
	v_mov_b32_e32 v12, v9
	v_mov_b32_e32 v25, v13
	v_bfe_u32 v10, v6, 24, 7
	s_mov_b32 s15, exec_lo
	v_mov_b32_e32 v24, v12
	v_cmpx_ne_u32_e32 0x7f, v10
	s_cbranch_execz .LBB230_2376
; %bb.2373:                             ;   in Loop: Header=BB230_1564 Depth=1
	v_mov_b32_e32 v7, 7
	s_mov_b32 s18, exec_lo
	v_and_b32_sdwa v8, v6, v7 dst_sel:DWORD dst_unused:UNUSED_PAD src0_sel:BYTE_3 src1_sel:DWORD
	v_lshrrev_b32_e32 v7, 3, v10
	v_cmpx_gt_u32_e32 8, v10
; %bb.2374:                             ;   in Loop: Header=BB230_1564 Depth=1
	v_ffbh_u32_e32 v7, v8
	v_min_u32_e32 v7, 32, v7
	v_subrev_nc_u32_e32 v10, 28, v7
	v_sub_nc_u32_e32 v7, 29, v7
	v_lshlrev_b64 v[24:25], v10, v[8:9]
	v_and_b32_e32 v8, 7, v24
; %bb.2375:                             ;   in Loop: Header=BB230_1564 Depth=1
	s_or_b32 exec_lo, exec_lo, s18
	v_mov_b32_e32 v10, 24
	v_lshlrev_b32_e32 v8, 20, v8
	v_lshl_add_u32 v7, v7, 23, 0x3c000000
	v_mov_b32_e32 v24, v9
	v_lshlrev_b32_sdwa v6, v10, v6 dst_sel:DWORD dst_unused:UNUSED_PAD src0_sel:DWORD src1_sel:BYTE_3
	v_and_b32_e32 v6, 0x80000000, v6
	v_or3_b32 v25, v8, v6, v7
.LBB230_2376:                           ;   in Loop: Header=BB230_1564 Depth=1
	s_or_b32 exec_lo, exec_lo, s15
.LBB230_2377:                           ;   in Loop: Header=BB230_1564 Depth=1
	s_or_b32 exec_lo, exec_lo, s13
.LBB230_2378:                           ;   in Loop: Header=BB230_1564 Depth=1
	s_or_b32 exec_lo, exec_lo, s7
	v_or_b32_e32 v6, v23, v21
	v_or_b32_e32 v7, v22, v20
	;; [unrolled: 1-line block ×4, first 2 shown]
	v_mul_f32_e32 v6, v59, v6
	buffer_store_dword v6, off, s[0:3], s32 offset:956 ; 4-byte Folded Spill
	v_mul_f32_e32 v6, v41, v7
	buffer_store_dword v6, off, s[0:3], s32 offset:948 ; 4-byte Folded Spill
	;; [unrolled: 2-line block ×4, first 2 shown]
	s_and_saveexec_b32 s7, vcc_lo
	s_cbranch_execz .LBB230_2380
; %bb.2379:                             ;   in Loop: Header=BB230_1564 Depth=1
	buffer_load_dword v6, off, s[0:3], s32 offset:948 ; 4-byte Folded Reload
	v_cmp_lt_i32_e64 s4, v93, v73
	s_waitcnt vmcnt(0)
	v_cndmask_b32_e64 v6, 0, v6, s4
	v_cmp_lt_i32_e64 s4, v95, v73
	buffer_store_dword v6, off, s[0:3], s32 offset:948 ; 4-byte Folded Spill
	buffer_load_dword v6, off, s[0:3], s32 offset:956 ; 4-byte Folded Reload
	s_waitcnt vmcnt(0)
	v_cndmask_b32_e64 v6, 0, v6, s4
	v_cmp_lt_i32_e64 s4, v94, v73
	buffer_store_dword v6, off, s[0:3], s32 offset:956 ; 4-byte Folded Spill
	buffer_load_dword v6, off, s[0:3], s32 offset:940 ; 4-byte Folded Reload
	;; [unrolled: 5-line block ×3, first 2 shown]
	s_waitcnt vmcnt(0)
	v_cndmask_b32_e64 v6, 0, v6, s4
	buffer_store_dword v6, off, s[0:3], s32 offset:932 ; 4-byte Folded Spill
.LBB230_2380:                           ;   in Loop: Header=BB230_1564 Depth=1
	s_or_b32 exec_lo, exec_lo, s7
	flat_load_dword v6, v[18:19] offset:1024
	v_mov_b32_e32 v22, 0
	v_mov_b32_e32 v20, 0
	;; [unrolled: 1-line block ×4, first 2 shown]
	s_waitcnt vmcnt(0) lgkmcnt(0)
	v_cmp_ne_u16_sdwa s4, v6, v9 src0_sel:BYTE_0 src1_sel:DWORD
	s_and_saveexec_b32 s7, s4
	s_cbranch_execz .LBB230_2388
; %bb.2381:                             ;   in Loop: Header=BB230_1564 Depth=1
	v_bfrev_b32_e32 v20, 1
	v_mov_b32_e32 v21, 0
	v_cmp_ne_u16_sdwa s4, v6, v42 src0_sel:BYTE_0 src1_sel:DWORD
	s_and_saveexec_b32 s13, s4
	s_cbranch_execz .LBB230_2387
; %bb.2382:                             ;   in Loop: Header=BB230_1564 Depth=1
	v_mov_b32_e32 v20, 0x7f800001
	v_and_b32_e32 v10, 0x7f, v6
	v_mov_b32_e32 v21, 0
	s_mov_b32 s15, exec_lo
	v_cmpx_ne_u32_e32 0x7f, v10
	s_cbranch_execz .LBB230_2386
; %bb.2383:                             ;   in Loop: Header=BB230_1564 Depth=1
	v_and_b32_e32 v8, 7, v6
	v_lshrrev_b32_e32 v7, 3, v10
	s_mov_b32 s18, exec_lo
	v_cmpx_gt_u32_e32 8, v10
; %bb.2384:                             ;   in Loop: Header=BB230_1564 Depth=1
	v_ffbh_u32_e32 v7, v8
	v_min_u32_e32 v7, 32, v7
	v_subrev_nc_u32_e32 v10, 28, v7
	v_sub_nc_u32_e32 v7, 29, v7
	v_lshlrev_b64 v[20:21], v10, v[8:9]
	v_and_b32_e32 v8, 7, v20
; %bb.2385:                             ;   in Loop: Header=BB230_1564 Depth=1
	s_or_b32 exec_lo, exec_lo, s18
	v_lshlrev_b32_e32 v10, 24, v6
	v_lshlrev_b32_e32 v8, 20, v8
	v_lshl_add_u32 v7, v7, 23, 0x3c000000
	v_and_b32_e32 v10, 0x80000000, v10
	v_or3_b32 v8, v8, v10, v7
	v_mov_b32_e32 v21, v9
	v_mov_b32_e32 v20, v8
.LBB230_2386:                           ;   in Loop: Header=BB230_1564 Depth=1
	s_or_b32 exec_lo, exec_lo, s15
.LBB230_2387:                           ;   in Loop: Header=BB230_1564 Depth=1
	s_or_b32 exec_lo, exec_lo, s13
.LBB230_2388:                           ;   in Loop: Header=BB230_1564 Depth=1
	s_or_b32 exec_lo, exec_lo, s7
	v_cmp_ne_u16_sdwa s4, v6, v9 src0_sel:BYTE_1 src1_sel:DWORD
	s_and_saveexec_b32 s7, s4
	s_cbranch_execz .LBB230_2396
; %bb.2389:                             ;   in Loop: Header=BB230_1564 Depth=1
	v_mov_b32_e32 v104, v9
	v_cmp_ne_u16_sdwa s4, v6, v42 src0_sel:BYTE_1 src1_sel:DWORD
	v_mov_b32_e32 v22, v104
	v_mov_b32_e32 v23, v105
	s_and_saveexec_b32 s13, s4
	s_cbranch_execz .LBB230_2395
; %bb.2390:                             ;   in Loop: Header=BB230_1564 Depth=1
	v_mov_b32_e32 v7, 0xffff
	v_mov_b32_e32 v12, v9
	;; [unrolled: 1-line block ×3, first 2 shown]
	s_mov_b32 s15, exec_lo
	v_and_b32_sdwa v7, v7, v6 dst_sel:DWORD dst_unused:UNUSED_PAD src0_sel:DWORD src1_sel:BYTE_1
	v_mov_b32_e32 v22, v12
	v_and_b32_e32 v10, 0x7f, v7
	v_cmpx_ne_u32_e32 0x7f, v10
	s_cbranch_execz .LBB230_2394
; %bb.2391:                             ;   in Loop: Header=BB230_1564 Depth=1
	v_and_b32_e32 v8, 7, v7
	v_lshrrev_b32_e32 v7, 3, v10
	s_mov_b32 s18, exec_lo
	v_cmpx_gt_u32_e32 8, v10
; %bb.2392:                             ;   in Loop: Header=BB230_1564 Depth=1
	v_ffbh_u32_e32 v7, v8
	v_min_u32_e32 v7, 32, v7
	v_subrev_nc_u32_e32 v10, 28, v7
	v_sub_nc_u32_e32 v7, 29, v7
	v_lshlrev_b64 v[22:23], v10, v[8:9]
	v_and_b32_e32 v8, 7, v22
; %bb.2393:                             ;   in Loop: Header=BB230_1564 Depth=1
	s_or_b32 exec_lo, exec_lo, s18
	v_lshlrev_b32_e32 v10, 16, v6
	v_lshlrev_b32_e32 v8, 20, v8
	v_lshl_add_u32 v7, v7, 23, 0x3c000000
	v_mov_b32_e32 v22, v9
	v_and_b32_e32 v10, 0x80000000, v10
	v_or3_b32 v23, v8, v10, v7
.LBB230_2394:                           ;   in Loop: Header=BB230_1564 Depth=1
	s_or_b32 exec_lo, exec_lo, s15
.LBB230_2395:                           ;   in Loop: Header=BB230_1564 Depth=1
	s_or_b32 exec_lo, exec_lo, s13
.LBB230_2396:                           ;   in Loop: Header=BB230_1564 Depth=1
	s_or_b32 exec_lo, exec_lo, s7
	v_mov_b32_e32 v24, 0
	v_mov_b32_e32 v26, 0
	v_and_b32_sdwa v7, v6, v44 dst_sel:DWORD dst_unused:UNUSED_PAD src0_sel:WORD_1 src1_sel:DWORD
	v_mov_b32_e32 v25, 0
	v_mov_b32_e32 v27, 0
	s_mov_b32 s7, exec_lo
	v_cmpx_ne_u16_e32 0, v7
	s_cbranch_execz .LBB230_2404
; %bb.2397:                             ;   in Loop: Header=BB230_1564 Depth=1
	v_bfrev_b32_e32 v26, 1
	v_mov_b32_e32 v27, 0
	s_mov_b32 s13, exec_lo
	v_cmpx_ne_u16_e32 0x80, v7
	s_cbranch_execz .LBB230_2403
; %bb.2398:                             ;   in Loop: Header=BB230_1564 Depth=1
	v_mov_b32_e32 v26, 0x7f800001
	v_bfe_u32 v10, v6, 16, 7
	v_mov_b32_e32 v27, 0
	s_mov_b32 s15, exec_lo
	v_cmpx_ne_u32_e32 0x7f, v10
	s_cbranch_execz .LBB230_2402
; %bb.2399:                             ;   in Loop: Header=BB230_1564 Depth=1
	v_mov_b32_e32 v7, 7
	s_mov_b32 s18, exec_lo
	v_and_b32_sdwa v8, v6, v7 dst_sel:DWORD dst_unused:UNUSED_PAD src0_sel:WORD_1 src1_sel:DWORD
	v_lshrrev_b32_e32 v7, 3, v10
	v_cmpx_gt_u32_e32 8, v10
; %bb.2400:                             ;   in Loop: Header=BB230_1564 Depth=1
	v_ffbh_u32_e32 v7, v8
	v_min_u32_e32 v7, 32, v7
	v_subrev_nc_u32_e32 v10, 28, v7
	v_sub_nc_u32_e32 v7, 29, v7
	v_lshlrev_b64 v[26:27], v10, v[8:9]
	v_and_b32_e32 v8, 7, v26
; %bb.2401:                             ;   in Loop: Header=BB230_1564 Depth=1
	s_or_b32 exec_lo, exec_lo, s18
	v_mov_b32_e32 v10, 24
	v_lshlrev_b32_e32 v8, 20, v8
	v_lshl_add_u32 v7, v7, 23, 0x3c000000
	v_lshlrev_b32_sdwa v10, v10, v6 dst_sel:DWORD dst_unused:UNUSED_PAD src0_sel:DWORD src1_sel:WORD_1
	v_and_b32_e32 v10, 0x80000000, v10
	v_or3_b32 v8, v8, v10, v7
	v_mov_b32_e32 v27, v9
	v_mov_b32_e32 v26, v8
.LBB230_2402:                           ;   in Loop: Header=BB230_1564 Depth=1
	s_or_b32 exec_lo, exec_lo, s15
.LBB230_2403:                           ;   in Loop: Header=BB230_1564 Depth=1
	s_or_b32 exec_lo, exec_lo, s13
.LBB230_2404:                           ;   in Loop: Header=BB230_1564 Depth=1
	s_or_b32 exec_lo, exec_lo, s7
	s_mov_b32 s7, exec_lo
	v_cmpx_lt_u32_e32 0xffffff, v6
	s_cbranch_execz .LBB230_2412
; %bb.2405:                             ;   in Loop: Header=BB230_1564 Depth=1
	v_mov_b32_e32 v104, v9
	v_cmp_ne_u32_sdwa s4, v6, v42 src0_sel:BYTE_3 src1_sel:DWORD
	v_mov_b32_e32 v24, v104
	v_mov_b32_e32 v25, v105
	s_and_saveexec_b32 s13, s4
	s_cbranch_execz .LBB230_2411
; %bb.2406:                             ;   in Loop: Header=BB230_1564 Depth=1
	v_mov_b32_e32 v12, v9
	v_mov_b32_e32 v25, v13
	v_bfe_u32 v10, v6, 24, 7
	s_mov_b32 s15, exec_lo
	v_mov_b32_e32 v24, v12
	v_cmpx_ne_u32_e32 0x7f, v10
	s_cbranch_execz .LBB230_2410
; %bb.2407:                             ;   in Loop: Header=BB230_1564 Depth=1
	v_mov_b32_e32 v7, 7
	s_mov_b32 s18, exec_lo
	v_and_b32_sdwa v8, v6, v7 dst_sel:DWORD dst_unused:UNUSED_PAD src0_sel:BYTE_3 src1_sel:DWORD
	v_lshrrev_b32_e32 v7, 3, v10
	v_cmpx_gt_u32_e32 8, v10
; %bb.2408:                             ;   in Loop: Header=BB230_1564 Depth=1
	v_ffbh_u32_e32 v7, v8
	v_min_u32_e32 v7, 32, v7
	v_subrev_nc_u32_e32 v10, 28, v7
	v_sub_nc_u32_e32 v7, 29, v7
	v_lshlrev_b64 v[24:25], v10, v[8:9]
	v_and_b32_e32 v8, 7, v24
; %bb.2409:                             ;   in Loop: Header=BB230_1564 Depth=1
	s_or_b32 exec_lo, exec_lo, s18
	v_mov_b32_e32 v10, 24
	v_lshlrev_b32_e32 v8, 20, v8
	v_lshl_add_u32 v7, v7, 23, 0x3c000000
	v_mov_b32_e32 v24, v9
	v_lshlrev_b32_sdwa v6, v10, v6 dst_sel:DWORD dst_unused:UNUSED_PAD src0_sel:DWORD src1_sel:BYTE_3
	v_and_b32_e32 v6, 0x80000000, v6
	v_or3_b32 v25, v8, v6, v7
.LBB230_2410:                           ;   in Loop: Header=BB230_1564 Depth=1
	s_or_b32 exec_lo, exec_lo, s15
.LBB230_2411:                           ;   in Loop: Header=BB230_1564 Depth=1
	s_or_b32 exec_lo, exec_lo, s13
.LBB230_2412:                           ;   in Loop: Header=BB230_1564 Depth=1
	s_or_b32 exec_lo, exec_lo, s7
	v_or_b32_e32 v6, v23, v21
	v_or_b32_e32 v7, v22, v20
	;; [unrolled: 1-line block ×4, first 2 shown]
	v_mul_f32_e32 v107, v59, v6
	v_mul_f32_e32 v106, v41, v7
	;; [unrolled: 1-line block ×4, first 2 shown]
	s_and_saveexec_b32 s7, vcc_lo
	s_cbranch_execz .LBB230_2414
; %bb.2413:                             ;   in Loop: Header=BB230_1564 Depth=1
	v_cmp_lt_i32_e64 s4, v93, v73
	v_cndmask_b32_e64 v106, 0, v106, s4
	v_cmp_lt_i32_e64 s4, v95, v73
	v_cndmask_b32_e64 v107, 0, v107, s4
	;; [unrolled: 2-line block ×4, first 2 shown]
.LBB230_2414:                           ;   in Loop: Header=BB230_1564 Depth=1
	s_or_b32 exec_lo, exec_lo, s7
	flat_load_dword v6, v[18:19] offset:1152
	v_mov_b32_e32 v22, 0
	v_mov_b32_e32 v20, 0
	;; [unrolled: 1-line block ×4, first 2 shown]
	s_waitcnt vmcnt(0) lgkmcnt(0)
	v_cmp_ne_u16_sdwa s4, v6, v9 src0_sel:BYTE_0 src1_sel:DWORD
	s_and_saveexec_b32 s7, s4
	s_cbranch_execz .LBB230_2422
; %bb.2415:                             ;   in Loop: Header=BB230_1564 Depth=1
	v_bfrev_b32_e32 v20, 1
	v_mov_b32_e32 v21, 0
	v_cmp_ne_u16_sdwa s4, v6, v42 src0_sel:BYTE_0 src1_sel:DWORD
	s_and_saveexec_b32 s13, s4
	s_cbranch_execz .LBB230_2421
; %bb.2416:                             ;   in Loop: Header=BB230_1564 Depth=1
	v_mov_b32_e32 v20, 0x7f800001
	v_and_b32_e32 v10, 0x7f, v6
	v_mov_b32_e32 v21, 0
	s_mov_b32 s15, exec_lo
	v_cmpx_ne_u32_e32 0x7f, v10
	s_cbranch_execz .LBB230_2420
; %bb.2417:                             ;   in Loop: Header=BB230_1564 Depth=1
	v_and_b32_e32 v8, 7, v6
	v_lshrrev_b32_e32 v7, 3, v10
	s_mov_b32 s18, exec_lo
	v_cmpx_gt_u32_e32 8, v10
; %bb.2418:                             ;   in Loop: Header=BB230_1564 Depth=1
	v_ffbh_u32_e32 v7, v8
	v_min_u32_e32 v7, 32, v7
	v_subrev_nc_u32_e32 v10, 28, v7
	v_sub_nc_u32_e32 v7, 29, v7
	v_lshlrev_b64 v[20:21], v10, v[8:9]
	v_and_b32_e32 v8, 7, v20
; %bb.2419:                             ;   in Loop: Header=BB230_1564 Depth=1
	s_or_b32 exec_lo, exec_lo, s18
	v_lshlrev_b32_e32 v10, 24, v6
	v_lshlrev_b32_e32 v8, 20, v8
	v_lshl_add_u32 v7, v7, 23, 0x3c000000
	v_and_b32_e32 v10, 0x80000000, v10
	v_or3_b32 v8, v8, v10, v7
	v_mov_b32_e32 v21, v9
	v_mov_b32_e32 v20, v8
.LBB230_2420:                           ;   in Loop: Header=BB230_1564 Depth=1
	s_or_b32 exec_lo, exec_lo, s15
.LBB230_2421:                           ;   in Loop: Header=BB230_1564 Depth=1
	s_or_b32 exec_lo, exec_lo, s13
.LBB230_2422:                           ;   in Loop: Header=BB230_1564 Depth=1
	s_or_b32 exec_lo, exec_lo, s7
	v_cmp_ne_u16_sdwa s4, v6, v9 src0_sel:BYTE_1 src1_sel:DWORD
	s_and_saveexec_b32 s7, s4
	s_cbranch_execz .LBB230_2430
; %bb.2423:                             ;   in Loop: Header=BB230_1564 Depth=1
	v_mov_b32_e32 v104, v9
	v_cmp_ne_u16_sdwa s4, v6, v42 src0_sel:BYTE_1 src1_sel:DWORD
	v_mov_b32_e32 v22, v104
	v_mov_b32_e32 v23, v105
	s_and_saveexec_b32 s13, s4
	s_cbranch_execz .LBB230_2429
; %bb.2424:                             ;   in Loop: Header=BB230_1564 Depth=1
	v_mov_b32_e32 v7, 0xffff
	v_mov_b32_e32 v12, v9
	;; [unrolled: 1-line block ×3, first 2 shown]
	s_mov_b32 s15, exec_lo
	v_and_b32_sdwa v7, v7, v6 dst_sel:DWORD dst_unused:UNUSED_PAD src0_sel:DWORD src1_sel:BYTE_1
	v_mov_b32_e32 v22, v12
	v_and_b32_e32 v10, 0x7f, v7
	v_cmpx_ne_u32_e32 0x7f, v10
	s_cbranch_execz .LBB230_2428
; %bb.2425:                             ;   in Loop: Header=BB230_1564 Depth=1
	v_and_b32_e32 v8, 7, v7
	v_lshrrev_b32_e32 v7, 3, v10
	s_mov_b32 s18, exec_lo
	v_cmpx_gt_u32_e32 8, v10
; %bb.2426:                             ;   in Loop: Header=BB230_1564 Depth=1
	v_ffbh_u32_e32 v7, v8
	v_min_u32_e32 v7, 32, v7
	v_subrev_nc_u32_e32 v10, 28, v7
	v_sub_nc_u32_e32 v7, 29, v7
	v_lshlrev_b64 v[22:23], v10, v[8:9]
	v_and_b32_e32 v8, 7, v22
; %bb.2427:                             ;   in Loop: Header=BB230_1564 Depth=1
	s_or_b32 exec_lo, exec_lo, s18
	v_lshlrev_b32_e32 v10, 16, v6
	v_lshlrev_b32_e32 v8, 20, v8
	v_lshl_add_u32 v7, v7, 23, 0x3c000000
	v_mov_b32_e32 v22, v9
	v_and_b32_e32 v10, 0x80000000, v10
	v_or3_b32 v23, v8, v10, v7
.LBB230_2428:                           ;   in Loop: Header=BB230_1564 Depth=1
	s_or_b32 exec_lo, exec_lo, s15
.LBB230_2429:                           ;   in Loop: Header=BB230_1564 Depth=1
	s_or_b32 exec_lo, exec_lo, s13
.LBB230_2430:                           ;   in Loop: Header=BB230_1564 Depth=1
	s_or_b32 exec_lo, exec_lo, s7
	v_mov_b32_e32 v24, 0
	v_mov_b32_e32 v26, 0
	v_and_b32_sdwa v7, v6, v44 dst_sel:DWORD dst_unused:UNUSED_PAD src0_sel:WORD_1 src1_sel:DWORD
	v_mov_b32_e32 v25, 0
	v_mov_b32_e32 v27, 0
	s_mov_b32 s7, exec_lo
	v_cmpx_ne_u16_e32 0, v7
	s_cbranch_execz .LBB230_2438
; %bb.2431:                             ;   in Loop: Header=BB230_1564 Depth=1
	v_bfrev_b32_e32 v26, 1
	v_mov_b32_e32 v27, 0
	s_mov_b32 s13, exec_lo
	v_cmpx_ne_u16_e32 0x80, v7
	s_cbranch_execz .LBB230_2437
; %bb.2432:                             ;   in Loop: Header=BB230_1564 Depth=1
	v_mov_b32_e32 v26, 0x7f800001
	v_bfe_u32 v10, v6, 16, 7
	v_mov_b32_e32 v27, 0
	s_mov_b32 s15, exec_lo
	v_cmpx_ne_u32_e32 0x7f, v10
	s_cbranch_execz .LBB230_2436
; %bb.2433:                             ;   in Loop: Header=BB230_1564 Depth=1
	v_mov_b32_e32 v7, 7
	s_mov_b32 s18, exec_lo
	v_and_b32_sdwa v8, v6, v7 dst_sel:DWORD dst_unused:UNUSED_PAD src0_sel:WORD_1 src1_sel:DWORD
	v_lshrrev_b32_e32 v7, 3, v10
	v_cmpx_gt_u32_e32 8, v10
; %bb.2434:                             ;   in Loop: Header=BB230_1564 Depth=1
	v_ffbh_u32_e32 v7, v8
	v_min_u32_e32 v7, 32, v7
	v_subrev_nc_u32_e32 v10, 28, v7
	v_sub_nc_u32_e32 v7, 29, v7
	v_lshlrev_b64 v[26:27], v10, v[8:9]
	v_and_b32_e32 v8, 7, v26
; %bb.2435:                             ;   in Loop: Header=BB230_1564 Depth=1
	s_or_b32 exec_lo, exec_lo, s18
	v_mov_b32_e32 v10, 24
	v_lshlrev_b32_e32 v8, 20, v8
	v_lshl_add_u32 v7, v7, 23, 0x3c000000
	v_lshlrev_b32_sdwa v10, v10, v6 dst_sel:DWORD dst_unused:UNUSED_PAD src0_sel:DWORD src1_sel:WORD_1
	v_and_b32_e32 v10, 0x80000000, v10
	v_or3_b32 v8, v8, v10, v7
	v_mov_b32_e32 v27, v9
	v_mov_b32_e32 v26, v8
.LBB230_2436:                           ;   in Loop: Header=BB230_1564 Depth=1
	s_or_b32 exec_lo, exec_lo, s15
.LBB230_2437:                           ;   in Loop: Header=BB230_1564 Depth=1
	s_or_b32 exec_lo, exec_lo, s13
.LBB230_2438:                           ;   in Loop: Header=BB230_1564 Depth=1
	s_or_b32 exec_lo, exec_lo, s7
	s_mov_b32 s7, exec_lo
	v_cmpx_lt_u32_e32 0xffffff, v6
	s_cbranch_execz .LBB230_2446
; %bb.2439:                             ;   in Loop: Header=BB230_1564 Depth=1
	v_mov_b32_e32 v104, v9
	v_cmp_ne_u32_sdwa s4, v6, v42 src0_sel:BYTE_3 src1_sel:DWORD
	v_mov_b32_e32 v24, v104
	v_mov_b32_e32 v25, v105
	s_and_saveexec_b32 s13, s4
	s_cbranch_execz .LBB230_2445
; %bb.2440:                             ;   in Loop: Header=BB230_1564 Depth=1
	v_mov_b32_e32 v12, v9
	v_mov_b32_e32 v25, v13
	v_bfe_u32 v10, v6, 24, 7
	s_mov_b32 s15, exec_lo
	v_mov_b32_e32 v24, v12
	v_cmpx_ne_u32_e32 0x7f, v10
	s_cbranch_execz .LBB230_2444
; %bb.2441:                             ;   in Loop: Header=BB230_1564 Depth=1
	v_mov_b32_e32 v7, 7
	s_mov_b32 s18, exec_lo
	v_and_b32_sdwa v8, v6, v7 dst_sel:DWORD dst_unused:UNUSED_PAD src0_sel:BYTE_3 src1_sel:DWORD
	v_lshrrev_b32_e32 v7, 3, v10
	v_cmpx_gt_u32_e32 8, v10
; %bb.2442:                             ;   in Loop: Header=BB230_1564 Depth=1
	v_ffbh_u32_e32 v7, v8
	v_min_u32_e32 v7, 32, v7
	v_subrev_nc_u32_e32 v10, 28, v7
	v_sub_nc_u32_e32 v7, 29, v7
	v_lshlrev_b64 v[24:25], v10, v[8:9]
	v_and_b32_e32 v8, 7, v24
; %bb.2443:                             ;   in Loop: Header=BB230_1564 Depth=1
	s_or_b32 exec_lo, exec_lo, s18
	v_mov_b32_e32 v10, 24
	v_lshlrev_b32_e32 v8, 20, v8
	v_lshl_add_u32 v7, v7, 23, 0x3c000000
	v_mov_b32_e32 v24, v9
	v_lshlrev_b32_sdwa v6, v10, v6 dst_sel:DWORD dst_unused:UNUSED_PAD src0_sel:DWORD src1_sel:BYTE_3
	v_and_b32_e32 v6, 0x80000000, v6
	v_or3_b32 v25, v8, v6, v7
.LBB230_2444:                           ;   in Loop: Header=BB230_1564 Depth=1
	s_or_b32 exec_lo, exec_lo, s15
.LBB230_2445:                           ;   in Loop: Header=BB230_1564 Depth=1
	s_or_b32 exec_lo, exec_lo, s13
.LBB230_2446:                           ;   in Loop: Header=BB230_1564 Depth=1
	s_or_b32 exec_lo, exec_lo, s7
	v_or_b32_e32 v6, v23, v21
	v_or_b32_e32 v7, v22, v20
	;; [unrolled: 1-line block ×4, first 2 shown]
	v_mul_f32_e32 v111, v59, v6
	v_mul_f32_e32 v110, v41, v7
	;; [unrolled: 1-line block ×4, first 2 shown]
	s_and_saveexec_b32 s7, vcc_lo
	s_cbranch_execz .LBB230_2448
; %bb.2447:                             ;   in Loop: Header=BB230_1564 Depth=1
	v_cmp_lt_i32_e64 s4, v93, v73
	v_cndmask_b32_e64 v110, 0, v110, s4
	v_cmp_lt_i32_e64 s4, v95, v73
	v_cndmask_b32_e64 v111, 0, v111, s4
	;; [unrolled: 2-line block ×4, first 2 shown]
.LBB230_2448:                           ;   in Loop: Header=BB230_1564 Depth=1
	s_or_b32 exec_lo, exec_lo, s7
	flat_load_dword v6, v[18:19] offset:1280
	v_mov_b32_e32 v22, 0
	v_mov_b32_e32 v20, 0
	;; [unrolled: 1-line block ×4, first 2 shown]
	s_waitcnt vmcnt(0) lgkmcnt(0)
	v_cmp_ne_u16_sdwa s4, v6, v9 src0_sel:BYTE_0 src1_sel:DWORD
	s_and_saveexec_b32 s7, s4
	s_cbranch_execz .LBB230_2456
; %bb.2449:                             ;   in Loop: Header=BB230_1564 Depth=1
	v_bfrev_b32_e32 v20, 1
	v_mov_b32_e32 v21, 0
	v_cmp_ne_u16_sdwa s4, v6, v42 src0_sel:BYTE_0 src1_sel:DWORD
	s_and_saveexec_b32 s13, s4
	s_cbranch_execz .LBB230_2455
; %bb.2450:                             ;   in Loop: Header=BB230_1564 Depth=1
	v_mov_b32_e32 v20, 0x7f800001
	v_and_b32_e32 v10, 0x7f, v6
	v_mov_b32_e32 v21, 0
	s_mov_b32 s15, exec_lo
	v_cmpx_ne_u32_e32 0x7f, v10
	s_cbranch_execz .LBB230_2454
; %bb.2451:                             ;   in Loop: Header=BB230_1564 Depth=1
	v_and_b32_e32 v8, 7, v6
	v_lshrrev_b32_e32 v7, 3, v10
	s_mov_b32 s18, exec_lo
	v_cmpx_gt_u32_e32 8, v10
; %bb.2452:                             ;   in Loop: Header=BB230_1564 Depth=1
	v_ffbh_u32_e32 v7, v8
	v_min_u32_e32 v7, 32, v7
	v_subrev_nc_u32_e32 v10, 28, v7
	v_sub_nc_u32_e32 v7, 29, v7
	v_lshlrev_b64 v[20:21], v10, v[8:9]
	v_and_b32_e32 v8, 7, v20
; %bb.2453:                             ;   in Loop: Header=BB230_1564 Depth=1
	s_or_b32 exec_lo, exec_lo, s18
	v_lshlrev_b32_e32 v10, 24, v6
	v_lshlrev_b32_e32 v8, 20, v8
	v_lshl_add_u32 v7, v7, 23, 0x3c000000
	v_and_b32_e32 v10, 0x80000000, v10
	v_or3_b32 v8, v8, v10, v7
	v_mov_b32_e32 v21, v9
	v_mov_b32_e32 v20, v8
.LBB230_2454:                           ;   in Loop: Header=BB230_1564 Depth=1
	s_or_b32 exec_lo, exec_lo, s15
.LBB230_2455:                           ;   in Loop: Header=BB230_1564 Depth=1
	s_or_b32 exec_lo, exec_lo, s13
.LBB230_2456:                           ;   in Loop: Header=BB230_1564 Depth=1
	s_or_b32 exec_lo, exec_lo, s7
	v_cmp_ne_u16_sdwa s4, v6, v9 src0_sel:BYTE_1 src1_sel:DWORD
	s_and_saveexec_b32 s7, s4
	s_cbranch_execz .LBB230_2464
; %bb.2457:                             ;   in Loop: Header=BB230_1564 Depth=1
	v_mov_b32_e32 v104, v9
	v_cmp_ne_u16_sdwa s4, v6, v42 src0_sel:BYTE_1 src1_sel:DWORD
	v_mov_b32_e32 v22, v104
	v_mov_b32_e32 v23, v105
	s_and_saveexec_b32 s13, s4
	s_cbranch_execz .LBB230_2463
; %bb.2458:                             ;   in Loop: Header=BB230_1564 Depth=1
	v_mov_b32_e32 v7, 0xffff
	v_mov_b32_e32 v12, v9
	;; [unrolled: 1-line block ×3, first 2 shown]
	s_mov_b32 s15, exec_lo
	v_and_b32_sdwa v7, v7, v6 dst_sel:DWORD dst_unused:UNUSED_PAD src0_sel:DWORD src1_sel:BYTE_1
	v_mov_b32_e32 v22, v12
	v_and_b32_e32 v10, 0x7f, v7
	v_cmpx_ne_u32_e32 0x7f, v10
	s_cbranch_execz .LBB230_2462
; %bb.2459:                             ;   in Loop: Header=BB230_1564 Depth=1
	v_and_b32_e32 v8, 7, v7
	v_lshrrev_b32_e32 v7, 3, v10
	s_mov_b32 s18, exec_lo
	v_cmpx_gt_u32_e32 8, v10
; %bb.2460:                             ;   in Loop: Header=BB230_1564 Depth=1
	v_ffbh_u32_e32 v7, v8
	v_min_u32_e32 v7, 32, v7
	v_subrev_nc_u32_e32 v10, 28, v7
	v_sub_nc_u32_e32 v7, 29, v7
	v_lshlrev_b64 v[22:23], v10, v[8:9]
	v_and_b32_e32 v8, 7, v22
; %bb.2461:                             ;   in Loop: Header=BB230_1564 Depth=1
	s_or_b32 exec_lo, exec_lo, s18
	v_lshlrev_b32_e32 v10, 16, v6
	v_lshlrev_b32_e32 v8, 20, v8
	v_lshl_add_u32 v7, v7, 23, 0x3c000000
	v_mov_b32_e32 v22, v9
	v_and_b32_e32 v10, 0x80000000, v10
	v_or3_b32 v23, v8, v10, v7
.LBB230_2462:                           ;   in Loop: Header=BB230_1564 Depth=1
	s_or_b32 exec_lo, exec_lo, s15
.LBB230_2463:                           ;   in Loop: Header=BB230_1564 Depth=1
	s_or_b32 exec_lo, exec_lo, s13
.LBB230_2464:                           ;   in Loop: Header=BB230_1564 Depth=1
	s_or_b32 exec_lo, exec_lo, s7
	v_mov_b32_e32 v24, 0
	v_mov_b32_e32 v26, 0
	v_and_b32_sdwa v7, v6, v44 dst_sel:DWORD dst_unused:UNUSED_PAD src0_sel:WORD_1 src1_sel:DWORD
	v_mov_b32_e32 v25, 0
	v_mov_b32_e32 v27, 0
	s_mov_b32 s7, exec_lo
	v_cmpx_ne_u16_e32 0, v7
	s_cbranch_execz .LBB230_2472
; %bb.2465:                             ;   in Loop: Header=BB230_1564 Depth=1
	v_bfrev_b32_e32 v26, 1
	v_mov_b32_e32 v27, 0
	s_mov_b32 s13, exec_lo
	v_cmpx_ne_u16_e32 0x80, v7
	s_cbranch_execz .LBB230_2471
; %bb.2466:                             ;   in Loop: Header=BB230_1564 Depth=1
	v_mov_b32_e32 v26, 0x7f800001
	v_bfe_u32 v10, v6, 16, 7
	v_mov_b32_e32 v27, 0
	s_mov_b32 s15, exec_lo
	v_cmpx_ne_u32_e32 0x7f, v10
	s_cbranch_execz .LBB230_2470
; %bb.2467:                             ;   in Loop: Header=BB230_1564 Depth=1
	v_mov_b32_e32 v7, 7
	s_mov_b32 s18, exec_lo
	v_and_b32_sdwa v8, v6, v7 dst_sel:DWORD dst_unused:UNUSED_PAD src0_sel:WORD_1 src1_sel:DWORD
	v_lshrrev_b32_e32 v7, 3, v10
	v_cmpx_gt_u32_e32 8, v10
; %bb.2468:                             ;   in Loop: Header=BB230_1564 Depth=1
	v_ffbh_u32_e32 v7, v8
	v_min_u32_e32 v7, 32, v7
	v_subrev_nc_u32_e32 v10, 28, v7
	v_sub_nc_u32_e32 v7, 29, v7
	v_lshlrev_b64 v[26:27], v10, v[8:9]
	v_and_b32_e32 v8, 7, v26
; %bb.2469:                             ;   in Loop: Header=BB230_1564 Depth=1
	s_or_b32 exec_lo, exec_lo, s18
	v_mov_b32_e32 v10, 24
	v_lshlrev_b32_e32 v8, 20, v8
	v_lshl_add_u32 v7, v7, 23, 0x3c000000
	v_lshlrev_b32_sdwa v10, v10, v6 dst_sel:DWORD dst_unused:UNUSED_PAD src0_sel:DWORD src1_sel:WORD_1
	v_and_b32_e32 v10, 0x80000000, v10
	v_or3_b32 v8, v8, v10, v7
	v_mov_b32_e32 v27, v9
	v_mov_b32_e32 v26, v8
.LBB230_2470:                           ;   in Loop: Header=BB230_1564 Depth=1
	s_or_b32 exec_lo, exec_lo, s15
.LBB230_2471:                           ;   in Loop: Header=BB230_1564 Depth=1
	s_or_b32 exec_lo, exec_lo, s13
.LBB230_2472:                           ;   in Loop: Header=BB230_1564 Depth=1
	s_or_b32 exec_lo, exec_lo, s7
	s_mov_b32 s7, exec_lo
	v_cmpx_lt_u32_e32 0xffffff, v6
	s_cbranch_execz .LBB230_2480
; %bb.2473:                             ;   in Loop: Header=BB230_1564 Depth=1
	v_mov_b32_e32 v104, v9
	v_cmp_ne_u32_sdwa s4, v6, v42 src0_sel:BYTE_3 src1_sel:DWORD
	v_mov_b32_e32 v24, v104
	v_mov_b32_e32 v25, v105
	s_and_saveexec_b32 s13, s4
	s_cbranch_execz .LBB230_2479
; %bb.2474:                             ;   in Loop: Header=BB230_1564 Depth=1
	v_mov_b32_e32 v12, v9
	v_mov_b32_e32 v25, v13
	v_bfe_u32 v10, v6, 24, 7
	s_mov_b32 s15, exec_lo
	v_mov_b32_e32 v24, v12
	v_cmpx_ne_u32_e32 0x7f, v10
	s_cbranch_execz .LBB230_2478
; %bb.2475:                             ;   in Loop: Header=BB230_1564 Depth=1
	v_mov_b32_e32 v7, 7
	s_mov_b32 s18, exec_lo
	v_and_b32_sdwa v8, v6, v7 dst_sel:DWORD dst_unused:UNUSED_PAD src0_sel:BYTE_3 src1_sel:DWORD
	v_lshrrev_b32_e32 v7, 3, v10
	v_cmpx_gt_u32_e32 8, v10
; %bb.2476:                             ;   in Loop: Header=BB230_1564 Depth=1
	v_ffbh_u32_e32 v7, v8
	v_min_u32_e32 v7, 32, v7
	v_subrev_nc_u32_e32 v10, 28, v7
	v_sub_nc_u32_e32 v7, 29, v7
	v_lshlrev_b64 v[24:25], v10, v[8:9]
	v_and_b32_e32 v8, 7, v24
; %bb.2477:                             ;   in Loop: Header=BB230_1564 Depth=1
	s_or_b32 exec_lo, exec_lo, s18
	v_mov_b32_e32 v10, 24
	v_lshlrev_b32_e32 v8, 20, v8
	v_lshl_add_u32 v7, v7, 23, 0x3c000000
	v_mov_b32_e32 v24, v9
	v_lshlrev_b32_sdwa v6, v10, v6 dst_sel:DWORD dst_unused:UNUSED_PAD src0_sel:DWORD src1_sel:BYTE_3
	v_and_b32_e32 v6, 0x80000000, v6
	v_or3_b32 v25, v8, v6, v7
.LBB230_2478:                           ;   in Loop: Header=BB230_1564 Depth=1
	s_or_b32 exec_lo, exec_lo, s15
.LBB230_2479:                           ;   in Loop: Header=BB230_1564 Depth=1
	s_or_b32 exec_lo, exec_lo, s13
.LBB230_2480:                           ;   in Loop: Header=BB230_1564 Depth=1
	s_or_b32 exec_lo, exec_lo, s7
	v_or_b32_e32 v6, v23, v21
	v_or_b32_e32 v7, v22, v20
	;; [unrolled: 1-line block ×4, first 2 shown]
	v_mul_f32_e32 v28, v59, v6
	v_mul_f32_e32 v122, v41, v7
	v_mul_f32_e32 v121, v41, v8
	v_mul_f32_e32 v120, v59, v10
	s_and_saveexec_b32 s7, vcc_lo
	s_cbranch_execz .LBB230_2482
; %bb.2481:                             ;   in Loop: Header=BB230_1564 Depth=1
	v_cmp_lt_i32_e64 s4, v93, v73
	v_cndmask_b32_e64 v122, 0, v122, s4
	v_cmp_lt_i32_e64 s4, v95, v73
	v_cndmask_b32_e64 v28, 0, v28, s4
	;; [unrolled: 2-line block ×4, first 2 shown]
.LBB230_2482:                           ;   in Loop: Header=BB230_1564 Depth=1
	s_or_b32 exec_lo, exec_lo, s7
	flat_load_dword v6, v[18:19] offset:1408
	v_mov_b32_e32 v22, 0
	v_mov_b32_e32 v20, 0
	;; [unrolled: 1-line block ×4, first 2 shown]
	s_waitcnt vmcnt(0) lgkmcnt(0)
	v_cmp_ne_u16_sdwa s4, v6, v9 src0_sel:BYTE_0 src1_sel:DWORD
	s_and_saveexec_b32 s7, s4
	s_cbranch_execz .LBB230_2490
; %bb.2483:                             ;   in Loop: Header=BB230_1564 Depth=1
	v_bfrev_b32_e32 v20, 1
	v_mov_b32_e32 v21, 0
	v_cmp_ne_u16_sdwa s4, v6, v42 src0_sel:BYTE_0 src1_sel:DWORD
	s_and_saveexec_b32 s13, s4
	s_cbranch_execz .LBB230_2489
; %bb.2484:                             ;   in Loop: Header=BB230_1564 Depth=1
	v_mov_b32_e32 v20, 0x7f800001
	v_and_b32_e32 v10, 0x7f, v6
	v_mov_b32_e32 v21, 0
	s_mov_b32 s15, exec_lo
	v_cmpx_ne_u32_e32 0x7f, v10
	s_cbranch_execz .LBB230_2488
; %bb.2485:                             ;   in Loop: Header=BB230_1564 Depth=1
	v_and_b32_e32 v8, 7, v6
	v_lshrrev_b32_e32 v7, 3, v10
	s_mov_b32 s18, exec_lo
	v_cmpx_gt_u32_e32 8, v10
; %bb.2486:                             ;   in Loop: Header=BB230_1564 Depth=1
	v_ffbh_u32_e32 v7, v8
	v_min_u32_e32 v7, 32, v7
	v_subrev_nc_u32_e32 v10, 28, v7
	v_sub_nc_u32_e32 v7, 29, v7
	v_lshlrev_b64 v[20:21], v10, v[8:9]
	v_and_b32_e32 v8, 7, v20
; %bb.2487:                             ;   in Loop: Header=BB230_1564 Depth=1
	s_or_b32 exec_lo, exec_lo, s18
	v_lshlrev_b32_e32 v10, 24, v6
	v_lshlrev_b32_e32 v8, 20, v8
	v_lshl_add_u32 v7, v7, 23, 0x3c000000
	v_and_b32_e32 v10, 0x80000000, v10
	v_or3_b32 v8, v8, v10, v7
	v_mov_b32_e32 v21, v9
	v_mov_b32_e32 v20, v8
.LBB230_2488:                           ;   in Loop: Header=BB230_1564 Depth=1
	s_or_b32 exec_lo, exec_lo, s15
.LBB230_2489:                           ;   in Loop: Header=BB230_1564 Depth=1
	s_or_b32 exec_lo, exec_lo, s13
.LBB230_2490:                           ;   in Loop: Header=BB230_1564 Depth=1
	s_or_b32 exec_lo, exec_lo, s7
	v_cmp_ne_u16_sdwa s4, v6, v9 src0_sel:BYTE_1 src1_sel:DWORD
	s_and_saveexec_b32 s7, s4
	s_cbranch_execz .LBB230_2498
; %bb.2491:                             ;   in Loop: Header=BB230_1564 Depth=1
	v_mov_b32_e32 v104, v9
	v_cmp_ne_u16_sdwa s4, v6, v42 src0_sel:BYTE_1 src1_sel:DWORD
	v_mov_b32_e32 v22, v104
	v_mov_b32_e32 v23, v105
	s_and_saveexec_b32 s13, s4
	s_cbranch_execz .LBB230_2497
; %bb.2492:                             ;   in Loop: Header=BB230_1564 Depth=1
	v_mov_b32_e32 v7, 0xffff
	v_mov_b32_e32 v12, v9
	;; [unrolled: 1-line block ×3, first 2 shown]
	s_mov_b32 s15, exec_lo
	v_and_b32_sdwa v7, v7, v6 dst_sel:DWORD dst_unused:UNUSED_PAD src0_sel:DWORD src1_sel:BYTE_1
	v_mov_b32_e32 v22, v12
	v_and_b32_e32 v10, 0x7f, v7
	v_cmpx_ne_u32_e32 0x7f, v10
	s_cbranch_execz .LBB230_2496
; %bb.2493:                             ;   in Loop: Header=BB230_1564 Depth=1
	v_and_b32_e32 v8, 7, v7
	v_lshrrev_b32_e32 v7, 3, v10
	s_mov_b32 s18, exec_lo
	v_cmpx_gt_u32_e32 8, v10
; %bb.2494:                             ;   in Loop: Header=BB230_1564 Depth=1
	v_ffbh_u32_e32 v7, v8
	v_min_u32_e32 v7, 32, v7
	v_subrev_nc_u32_e32 v10, 28, v7
	v_sub_nc_u32_e32 v7, 29, v7
	v_lshlrev_b64 v[22:23], v10, v[8:9]
	v_and_b32_e32 v8, 7, v22
; %bb.2495:                             ;   in Loop: Header=BB230_1564 Depth=1
	s_or_b32 exec_lo, exec_lo, s18
	v_lshlrev_b32_e32 v10, 16, v6
	v_lshlrev_b32_e32 v8, 20, v8
	v_lshl_add_u32 v7, v7, 23, 0x3c000000
	v_mov_b32_e32 v22, v9
	v_and_b32_e32 v10, 0x80000000, v10
	v_or3_b32 v23, v8, v10, v7
.LBB230_2496:                           ;   in Loop: Header=BB230_1564 Depth=1
	s_or_b32 exec_lo, exec_lo, s15
.LBB230_2497:                           ;   in Loop: Header=BB230_1564 Depth=1
	s_or_b32 exec_lo, exec_lo, s13
.LBB230_2498:                           ;   in Loop: Header=BB230_1564 Depth=1
	s_or_b32 exec_lo, exec_lo, s7
	v_mov_b32_e32 v24, 0
	v_mov_b32_e32 v26, 0
	v_and_b32_sdwa v7, v6, v44 dst_sel:DWORD dst_unused:UNUSED_PAD src0_sel:WORD_1 src1_sel:DWORD
	v_mov_b32_e32 v25, 0
	v_mov_b32_e32 v27, 0
	s_mov_b32 s7, exec_lo
	v_cmpx_ne_u16_e32 0, v7
	s_cbranch_execz .LBB230_2506
; %bb.2499:                             ;   in Loop: Header=BB230_1564 Depth=1
	v_bfrev_b32_e32 v26, 1
	v_mov_b32_e32 v27, 0
	s_mov_b32 s13, exec_lo
	v_cmpx_ne_u16_e32 0x80, v7
	s_cbranch_execz .LBB230_2505
; %bb.2500:                             ;   in Loop: Header=BB230_1564 Depth=1
	v_mov_b32_e32 v26, 0x7f800001
	v_bfe_u32 v10, v6, 16, 7
	v_mov_b32_e32 v27, 0
	s_mov_b32 s15, exec_lo
	v_cmpx_ne_u32_e32 0x7f, v10
	s_cbranch_execz .LBB230_2504
; %bb.2501:                             ;   in Loop: Header=BB230_1564 Depth=1
	v_mov_b32_e32 v7, 7
	s_mov_b32 s18, exec_lo
	v_and_b32_sdwa v8, v6, v7 dst_sel:DWORD dst_unused:UNUSED_PAD src0_sel:WORD_1 src1_sel:DWORD
	v_lshrrev_b32_e32 v7, 3, v10
	v_cmpx_gt_u32_e32 8, v10
; %bb.2502:                             ;   in Loop: Header=BB230_1564 Depth=1
	v_ffbh_u32_e32 v7, v8
	v_min_u32_e32 v7, 32, v7
	v_subrev_nc_u32_e32 v10, 28, v7
	v_sub_nc_u32_e32 v7, 29, v7
	v_lshlrev_b64 v[26:27], v10, v[8:9]
	v_and_b32_e32 v8, 7, v26
; %bb.2503:                             ;   in Loop: Header=BB230_1564 Depth=1
	s_or_b32 exec_lo, exec_lo, s18
	v_mov_b32_e32 v10, 24
	v_lshlrev_b32_e32 v8, 20, v8
	v_lshl_add_u32 v7, v7, 23, 0x3c000000
	v_lshlrev_b32_sdwa v10, v10, v6 dst_sel:DWORD dst_unused:UNUSED_PAD src0_sel:DWORD src1_sel:WORD_1
	v_and_b32_e32 v10, 0x80000000, v10
	v_or3_b32 v8, v8, v10, v7
	v_mov_b32_e32 v27, v9
	v_mov_b32_e32 v26, v8
.LBB230_2504:                           ;   in Loop: Header=BB230_1564 Depth=1
	s_or_b32 exec_lo, exec_lo, s15
.LBB230_2505:                           ;   in Loop: Header=BB230_1564 Depth=1
	s_or_b32 exec_lo, exec_lo, s13
.LBB230_2506:                           ;   in Loop: Header=BB230_1564 Depth=1
	s_or_b32 exec_lo, exec_lo, s7
	s_mov_b32 s7, exec_lo
	v_cmpx_lt_u32_e32 0xffffff, v6
	s_cbranch_execz .LBB230_2514
; %bb.2507:                             ;   in Loop: Header=BB230_1564 Depth=1
	v_mov_b32_e32 v104, v9
	v_cmp_ne_u32_sdwa s4, v6, v42 src0_sel:BYTE_3 src1_sel:DWORD
	v_mov_b32_e32 v24, v104
	v_mov_b32_e32 v25, v105
	s_and_saveexec_b32 s13, s4
	s_cbranch_execz .LBB230_2513
; %bb.2508:                             ;   in Loop: Header=BB230_1564 Depth=1
	v_mov_b32_e32 v12, v9
	v_mov_b32_e32 v25, v13
	v_bfe_u32 v10, v6, 24, 7
	s_mov_b32 s15, exec_lo
	v_mov_b32_e32 v24, v12
	v_cmpx_ne_u32_e32 0x7f, v10
	s_cbranch_execz .LBB230_2512
; %bb.2509:                             ;   in Loop: Header=BB230_1564 Depth=1
	v_mov_b32_e32 v7, 7
	s_mov_b32 s18, exec_lo
	v_and_b32_sdwa v8, v6, v7 dst_sel:DWORD dst_unused:UNUSED_PAD src0_sel:BYTE_3 src1_sel:DWORD
	v_lshrrev_b32_e32 v7, 3, v10
	v_cmpx_gt_u32_e32 8, v10
; %bb.2510:                             ;   in Loop: Header=BB230_1564 Depth=1
	v_ffbh_u32_e32 v7, v8
	v_min_u32_e32 v7, 32, v7
	v_subrev_nc_u32_e32 v10, 28, v7
	v_sub_nc_u32_e32 v7, 29, v7
	v_lshlrev_b64 v[24:25], v10, v[8:9]
	v_and_b32_e32 v8, 7, v24
; %bb.2511:                             ;   in Loop: Header=BB230_1564 Depth=1
	s_or_b32 exec_lo, exec_lo, s18
	v_mov_b32_e32 v10, 24
	v_lshlrev_b32_e32 v8, 20, v8
	v_lshl_add_u32 v7, v7, 23, 0x3c000000
	v_mov_b32_e32 v24, v9
	v_lshlrev_b32_sdwa v6, v10, v6 dst_sel:DWORD dst_unused:UNUSED_PAD src0_sel:DWORD src1_sel:BYTE_3
	v_and_b32_e32 v6, 0x80000000, v6
	v_or3_b32 v25, v8, v6, v7
.LBB230_2512:                           ;   in Loop: Header=BB230_1564 Depth=1
	s_or_b32 exec_lo, exec_lo, s15
.LBB230_2513:                           ;   in Loop: Header=BB230_1564 Depth=1
	s_or_b32 exec_lo, exec_lo, s13
.LBB230_2514:                           ;   in Loop: Header=BB230_1564 Depth=1
	s_or_b32 exec_lo, exec_lo, s7
	v_or_b32_e32 v6, v23, v21
	v_or_b32_e32 v7, v22, v20
	;; [unrolled: 1-line block ×4, first 2 shown]
	v_mul_f32_e32 v85, v59, v6
	v_mul_f32_e32 v123, v41, v7
	;; [unrolled: 1-line block ×4, first 2 shown]
	s_and_saveexec_b32 s7, vcc_lo
	s_cbranch_execz .LBB230_2516
; %bb.2515:                             ;   in Loop: Header=BB230_1564 Depth=1
	v_cmp_lt_i32_e64 s4, v93, v73
	v_cndmask_b32_e64 v123, 0, v123, s4
	v_cmp_lt_i32_e64 s4, v95, v73
	v_cndmask_b32_e64 v85, 0, v85, s4
	;; [unrolled: 2-line block ×4, first 2 shown]
.LBB230_2516:                           ;   in Loop: Header=BB230_1564 Depth=1
	s_or_b32 exec_lo, exec_lo, s7
	flat_load_dword v6, v[18:19] offset:1536
	v_mov_b32_e32 v22, 0
	v_mov_b32_e32 v20, 0
	;; [unrolled: 1-line block ×4, first 2 shown]
	s_waitcnt vmcnt(0) lgkmcnt(0)
	v_cmp_ne_u16_sdwa s4, v6, v9 src0_sel:BYTE_0 src1_sel:DWORD
	s_and_saveexec_b32 s7, s4
	s_cbranch_execz .LBB230_2524
; %bb.2517:                             ;   in Loop: Header=BB230_1564 Depth=1
	v_bfrev_b32_e32 v20, 1
	v_mov_b32_e32 v21, 0
	v_cmp_ne_u16_sdwa s4, v6, v42 src0_sel:BYTE_0 src1_sel:DWORD
	s_and_saveexec_b32 s13, s4
	s_cbranch_execz .LBB230_2523
; %bb.2518:                             ;   in Loop: Header=BB230_1564 Depth=1
	v_mov_b32_e32 v20, 0x7f800001
	v_and_b32_e32 v10, 0x7f, v6
	v_mov_b32_e32 v21, 0
	s_mov_b32 s15, exec_lo
	v_cmpx_ne_u32_e32 0x7f, v10
	s_cbranch_execz .LBB230_2522
; %bb.2519:                             ;   in Loop: Header=BB230_1564 Depth=1
	v_and_b32_e32 v8, 7, v6
	v_lshrrev_b32_e32 v7, 3, v10
	s_mov_b32 s18, exec_lo
	v_cmpx_gt_u32_e32 8, v10
; %bb.2520:                             ;   in Loop: Header=BB230_1564 Depth=1
	v_ffbh_u32_e32 v7, v8
	v_min_u32_e32 v7, 32, v7
	v_subrev_nc_u32_e32 v10, 28, v7
	v_sub_nc_u32_e32 v7, 29, v7
	v_lshlrev_b64 v[20:21], v10, v[8:9]
	v_and_b32_e32 v8, 7, v20
; %bb.2521:                             ;   in Loop: Header=BB230_1564 Depth=1
	s_or_b32 exec_lo, exec_lo, s18
	v_lshlrev_b32_e32 v10, 24, v6
	v_lshlrev_b32_e32 v8, 20, v8
	v_lshl_add_u32 v7, v7, 23, 0x3c000000
	v_and_b32_e32 v10, 0x80000000, v10
	v_or3_b32 v8, v8, v10, v7
	v_mov_b32_e32 v21, v9
	v_mov_b32_e32 v20, v8
.LBB230_2522:                           ;   in Loop: Header=BB230_1564 Depth=1
	s_or_b32 exec_lo, exec_lo, s15
.LBB230_2523:                           ;   in Loop: Header=BB230_1564 Depth=1
	s_or_b32 exec_lo, exec_lo, s13
.LBB230_2524:                           ;   in Loop: Header=BB230_1564 Depth=1
	s_or_b32 exec_lo, exec_lo, s7
	v_cmp_ne_u16_sdwa s4, v6, v9 src0_sel:BYTE_1 src1_sel:DWORD
	s_and_saveexec_b32 s7, s4
	s_cbranch_execz .LBB230_2532
; %bb.2525:                             ;   in Loop: Header=BB230_1564 Depth=1
	v_mov_b32_e32 v104, v9
	v_cmp_ne_u16_sdwa s4, v6, v42 src0_sel:BYTE_1 src1_sel:DWORD
	v_mov_b32_e32 v22, v104
	v_mov_b32_e32 v23, v105
	s_and_saveexec_b32 s13, s4
	s_cbranch_execz .LBB230_2531
; %bb.2526:                             ;   in Loop: Header=BB230_1564 Depth=1
	v_mov_b32_e32 v7, 0xffff
	v_mov_b32_e32 v12, v9
	;; [unrolled: 1-line block ×3, first 2 shown]
	s_mov_b32 s15, exec_lo
	v_and_b32_sdwa v7, v7, v6 dst_sel:DWORD dst_unused:UNUSED_PAD src0_sel:DWORD src1_sel:BYTE_1
	v_mov_b32_e32 v22, v12
	v_and_b32_e32 v10, 0x7f, v7
	v_cmpx_ne_u32_e32 0x7f, v10
	s_cbranch_execz .LBB230_2530
; %bb.2527:                             ;   in Loop: Header=BB230_1564 Depth=1
	v_and_b32_e32 v8, 7, v7
	v_lshrrev_b32_e32 v7, 3, v10
	s_mov_b32 s18, exec_lo
	v_cmpx_gt_u32_e32 8, v10
; %bb.2528:                             ;   in Loop: Header=BB230_1564 Depth=1
	v_ffbh_u32_e32 v7, v8
	v_min_u32_e32 v7, 32, v7
	v_subrev_nc_u32_e32 v10, 28, v7
	v_sub_nc_u32_e32 v7, 29, v7
	v_lshlrev_b64 v[22:23], v10, v[8:9]
	v_and_b32_e32 v8, 7, v22
; %bb.2529:                             ;   in Loop: Header=BB230_1564 Depth=1
	s_or_b32 exec_lo, exec_lo, s18
	v_lshlrev_b32_e32 v10, 16, v6
	v_lshlrev_b32_e32 v8, 20, v8
	v_lshl_add_u32 v7, v7, 23, 0x3c000000
	v_mov_b32_e32 v22, v9
	v_and_b32_e32 v10, 0x80000000, v10
	v_or3_b32 v23, v8, v10, v7
.LBB230_2530:                           ;   in Loop: Header=BB230_1564 Depth=1
	s_or_b32 exec_lo, exec_lo, s15
.LBB230_2531:                           ;   in Loop: Header=BB230_1564 Depth=1
	s_or_b32 exec_lo, exec_lo, s13
.LBB230_2532:                           ;   in Loop: Header=BB230_1564 Depth=1
	s_or_b32 exec_lo, exec_lo, s7
	v_mov_b32_e32 v24, 0
	v_mov_b32_e32 v26, 0
	v_and_b32_sdwa v7, v6, v44 dst_sel:DWORD dst_unused:UNUSED_PAD src0_sel:WORD_1 src1_sel:DWORD
	v_mov_b32_e32 v25, 0
	v_mov_b32_e32 v27, 0
	s_mov_b32 s7, exec_lo
	v_cmpx_ne_u16_e32 0, v7
	s_cbranch_execz .LBB230_2540
; %bb.2533:                             ;   in Loop: Header=BB230_1564 Depth=1
	v_bfrev_b32_e32 v26, 1
	v_mov_b32_e32 v27, 0
	s_mov_b32 s13, exec_lo
	v_cmpx_ne_u16_e32 0x80, v7
	s_cbranch_execz .LBB230_2539
; %bb.2534:                             ;   in Loop: Header=BB230_1564 Depth=1
	v_mov_b32_e32 v26, 0x7f800001
	v_bfe_u32 v10, v6, 16, 7
	v_mov_b32_e32 v27, 0
	s_mov_b32 s15, exec_lo
	v_cmpx_ne_u32_e32 0x7f, v10
	s_cbranch_execz .LBB230_2538
; %bb.2535:                             ;   in Loop: Header=BB230_1564 Depth=1
	v_mov_b32_e32 v7, 7
	s_mov_b32 s18, exec_lo
	v_and_b32_sdwa v8, v6, v7 dst_sel:DWORD dst_unused:UNUSED_PAD src0_sel:WORD_1 src1_sel:DWORD
	v_lshrrev_b32_e32 v7, 3, v10
	v_cmpx_gt_u32_e32 8, v10
; %bb.2536:                             ;   in Loop: Header=BB230_1564 Depth=1
	v_ffbh_u32_e32 v7, v8
	v_min_u32_e32 v7, 32, v7
	v_subrev_nc_u32_e32 v10, 28, v7
	v_sub_nc_u32_e32 v7, 29, v7
	v_lshlrev_b64 v[26:27], v10, v[8:9]
	v_and_b32_e32 v8, 7, v26
; %bb.2537:                             ;   in Loop: Header=BB230_1564 Depth=1
	s_or_b32 exec_lo, exec_lo, s18
	v_mov_b32_e32 v10, 24
	v_lshlrev_b32_e32 v8, 20, v8
	v_lshl_add_u32 v7, v7, 23, 0x3c000000
	v_lshlrev_b32_sdwa v10, v10, v6 dst_sel:DWORD dst_unused:UNUSED_PAD src0_sel:DWORD src1_sel:WORD_1
	v_and_b32_e32 v10, 0x80000000, v10
	v_or3_b32 v8, v8, v10, v7
	v_mov_b32_e32 v27, v9
	v_mov_b32_e32 v26, v8
.LBB230_2538:                           ;   in Loop: Header=BB230_1564 Depth=1
	s_or_b32 exec_lo, exec_lo, s15
.LBB230_2539:                           ;   in Loop: Header=BB230_1564 Depth=1
	s_or_b32 exec_lo, exec_lo, s13
.LBB230_2540:                           ;   in Loop: Header=BB230_1564 Depth=1
	s_or_b32 exec_lo, exec_lo, s7
	s_mov_b32 s7, exec_lo
	v_cmpx_lt_u32_e32 0xffffff, v6
	s_cbranch_execz .LBB230_2548
; %bb.2541:                             ;   in Loop: Header=BB230_1564 Depth=1
	v_mov_b32_e32 v104, v9
	v_cmp_ne_u32_sdwa s4, v6, v42 src0_sel:BYTE_3 src1_sel:DWORD
	v_mov_b32_e32 v24, v104
	v_mov_b32_e32 v25, v105
	s_and_saveexec_b32 s13, s4
	s_cbranch_execz .LBB230_2547
; %bb.2542:                             ;   in Loop: Header=BB230_1564 Depth=1
	v_mov_b32_e32 v12, v9
	v_mov_b32_e32 v25, v13
	v_bfe_u32 v10, v6, 24, 7
	s_mov_b32 s15, exec_lo
	v_mov_b32_e32 v24, v12
	v_cmpx_ne_u32_e32 0x7f, v10
	s_cbranch_execz .LBB230_2546
; %bb.2543:                             ;   in Loop: Header=BB230_1564 Depth=1
	v_mov_b32_e32 v7, 7
	s_mov_b32 s18, exec_lo
	v_and_b32_sdwa v8, v6, v7 dst_sel:DWORD dst_unused:UNUSED_PAD src0_sel:BYTE_3 src1_sel:DWORD
	v_lshrrev_b32_e32 v7, 3, v10
	v_cmpx_gt_u32_e32 8, v10
; %bb.2544:                             ;   in Loop: Header=BB230_1564 Depth=1
	v_ffbh_u32_e32 v7, v8
	v_min_u32_e32 v7, 32, v7
	v_subrev_nc_u32_e32 v10, 28, v7
	v_sub_nc_u32_e32 v7, 29, v7
	v_lshlrev_b64 v[24:25], v10, v[8:9]
	v_and_b32_e32 v8, 7, v24
; %bb.2545:                             ;   in Loop: Header=BB230_1564 Depth=1
	s_or_b32 exec_lo, exec_lo, s18
	v_mov_b32_e32 v10, 24
	v_lshlrev_b32_e32 v8, 20, v8
	v_lshl_add_u32 v7, v7, 23, 0x3c000000
	v_mov_b32_e32 v24, v9
	v_lshlrev_b32_sdwa v6, v10, v6 dst_sel:DWORD dst_unused:UNUSED_PAD src0_sel:DWORD src1_sel:BYTE_3
	v_and_b32_e32 v6, 0x80000000, v6
	v_or3_b32 v25, v8, v6, v7
.LBB230_2546:                           ;   in Loop: Header=BB230_1564 Depth=1
	s_or_b32 exec_lo, exec_lo, s15
.LBB230_2547:                           ;   in Loop: Header=BB230_1564 Depth=1
	s_or_b32 exec_lo, exec_lo, s13
.LBB230_2548:                           ;   in Loop: Header=BB230_1564 Depth=1
	s_or_b32 exec_lo, exec_lo, s7
	v_or_b32_e32 v6, v23, v21
	v_or_b32_e32 v7, v22, v20
	;; [unrolled: 1-line block ×4, first 2 shown]
	v_mul_f32_e32 v6, v59, v6
	v_mul_f32_e32 v56, v41, v7
	;; [unrolled: 1-line block ×4, first 2 shown]
	s_and_saveexec_b32 s7, vcc_lo
	s_cbranch_execz .LBB230_2550
; %bb.2549:                             ;   in Loop: Header=BB230_1564 Depth=1
	v_cmp_lt_i32_e64 s4, v93, v73
	v_cndmask_b32_e64 v56, 0, v56, s4
	v_cmp_lt_i32_e64 s4, v95, v73
	v_cndmask_b32_e64 v6, 0, v6, s4
	;; [unrolled: 2-line block ×4, first 2 shown]
.LBB230_2550:                           ;   in Loop: Header=BB230_1564 Depth=1
	s_or_b32 exec_lo, exec_lo, s7
	flat_load_dword v7, v[18:19] offset:1664
	v_mov_b32_e32 v22, 0
	v_mov_b32_e32 v20, 0
	;; [unrolled: 1-line block ×4, first 2 shown]
	s_waitcnt vmcnt(0) lgkmcnt(0)
	v_cmp_ne_u16_sdwa s4, v7, v9 src0_sel:BYTE_0 src1_sel:DWORD
	s_and_saveexec_b32 s7, s4
	s_cbranch_execz .LBB230_2558
; %bb.2551:                             ;   in Loop: Header=BB230_1564 Depth=1
	v_bfrev_b32_e32 v20, 1
	v_mov_b32_e32 v21, 0
	v_cmp_ne_u16_sdwa s4, v7, v42 src0_sel:BYTE_0 src1_sel:DWORD
	s_and_saveexec_b32 s13, s4
	s_cbranch_execz .LBB230_2557
; %bb.2552:                             ;   in Loop: Header=BB230_1564 Depth=1
	v_mov_b32_e32 v20, 0x7f800001
	v_and_b32_e32 v12, 0x7f, v7
	v_mov_b32_e32 v21, 0
	s_mov_b32 s15, exec_lo
	v_cmpx_ne_u32_e32 0x7f, v12
	s_cbranch_execz .LBB230_2556
; %bb.2553:                             ;   in Loop: Header=BB230_1564 Depth=1
	v_and_b32_e32 v8, 7, v7
	v_lshrrev_b32_e32 v10, 3, v12
	s_mov_b32 s18, exec_lo
	v_cmpx_gt_u32_e32 8, v12
; %bb.2554:                             ;   in Loop: Header=BB230_1564 Depth=1
	v_ffbh_u32_e32 v10, v8
	v_min_u32_e32 v10, 32, v10
	v_subrev_nc_u32_e32 v12, 28, v10
	v_sub_nc_u32_e32 v10, 29, v10
	v_lshlrev_b64 v[20:21], v12, v[8:9]
	v_and_b32_e32 v8, 7, v20
; %bb.2555:                             ;   in Loop: Header=BB230_1564 Depth=1
	s_or_b32 exec_lo, exec_lo, s18
	v_lshlrev_b32_e32 v12, 24, v7
	v_lshlrev_b32_e32 v8, 20, v8
	v_lshl_add_u32 v10, v10, 23, 0x3c000000
	v_and_b32_e32 v12, 0x80000000, v12
	v_or3_b32 v8, v8, v12, v10
	v_mov_b32_e32 v21, v9
	v_mov_b32_e32 v20, v8
.LBB230_2556:                           ;   in Loop: Header=BB230_1564 Depth=1
	s_or_b32 exec_lo, exec_lo, s15
.LBB230_2557:                           ;   in Loop: Header=BB230_1564 Depth=1
	s_or_b32 exec_lo, exec_lo, s13
.LBB230_2558:                           ;   in Loop: Header=BB230_1564 Depth=1
	s_or_b32 exec_lo, exec_lo, s7
	v_cmp_ne_u16_sdwa s4, v7, v9 src0_sel:BYTE_1 src1_sel:DWORD
	s_and_saveexec_b32 s7, s4
	s_cbranch_execz .LBB230_2566
; %bb.2559:                             ;   in Loop: Header=BB230_1564 Depth=1
	v_mov_b32_e32 v104, v9
	v_cmp_ne_u16_sdwa s4, v7, v42 src0_sel:BYTE_1 src1_sel:DWORD
	v_mov_b32_e32 v22, v104
	v_mov_b32_e32 v23, v105
	s_and_saveexec_b32 s13, s4
	s_cbranch_execz .LBB230_2565
; %bb.2560:                             ;   in Loop: Header=BB230_1564 Depth=1
	v_mov_b32_e32 v8, 0xffff
	v_mov_b32_e32 v12, v9
	v_mov_b32_e32 v23, v13
	s_mov_b32 s15, exec_lo
	v_and_b32_sdwa v8, v8, v7 dst_sel:DWORD dst_unused:UNUSED_PAD src0_sel:DWORD src1_sel:BYTE_1
	v_mov_b32_e32 v22, v12
	v_and_b32_e32 v24, 0x7f, v8
	v_cmpx_ne_u32_e32 0x7f, v24
	s_cbranch_execz .LBB230_2564
; %bb.2561:                             ;   in Loop: Header=BB230_1564 Depth=1
	v_and_b32_e32 v8, 7, v8
	v_lshrrev_b32_e32 v10, 3, v24
	s_mov_b32 s18, exec_lo
	v_cmpx_gt_u32_e32 8, v24
; %bb.2562:                             ;   in Loop: Header=BB230_1564 Depth=1
	v_ffbh_u32_e32 v10, v8
	v_min_u32_e32 v10, 32, v10
	v_subrev_nc_u32_e32 v12, 28, v10
	v_sub_nc_u32_e32 v10, 29, v10
	v_lshlrev_b64 v[22:23], v12, v[8:9]
	v_and_b32_e32 v8, 7, v22
; %bb.2563:                             ;   in Loop: Header=BB230_1564 Depth=1
	s_or_b32 exec_lo, exec_lo, s18
	v_lshlrev_b32_e32 v12, 16, v7
	v_lshlrev_b32_e32 v8, 20, v8
	v_lshl_add_u32 v10, v10, 23, 0x3c000000
	v_mov_b32_e32 v22, v9
	v_and_b32_e32 v12, 0x80000000, v12
	v_or3_b32 v23, v8, v12, v10
.LBB230_2564:                           ;   in Loop: Header=BB230_1564 Depth=1
	s_or_b32 exec_lo, exec_lo, s15
.LBB230_2565:                           ;   in Loop: Header=BB230_1564 Depth=1
	s_or_b32 exec_lo, exec_lo, s13
.LBB230_2566:                           ;   in Loop: Header=BB230_1564 Depth=1
	s_or_b32 exec_lo, exec_lo, s7
	v_mov_b32_e32 v24, 0
	v_mov_b32_e32 v26, 0
	v_and_b32_sdwa v8, v7, v44 dst_sel:DWORD dst_unused:UNUSED_PAD src0_sel:WORD_1 src1_sel:DWORD
	v_mov_b32_e32 v25, 0
	v_mov_b32_e32 v27, 0
	s_mov_b32 s7, exec_lo
	v_cmpx_ne_u16_e32 0, v8
	s_cbranch_execz .LBB230_2574
; %bb.2567:                             ;   in Loop: Header=BB230_1564 Depth=1
	v_bfrev_b32_e32 v26, 1
	v_mov_b32_e32 v27, 0
	s_mov_b32 s13, exec_lo
	v_cmpx_ne_u16_e32 0x80, v8
	s_cbranch_execz .LBB230_2573
; %bb.2568:                             ;   in Loop: Header=BB230_1564 Depth=1
	v_mov_b32_e32 v26, 0x7f800001
	v_bfe_u32 v12, v7, 16, 7
	v_mov_b32_e32 v27, 0
	s_mov_b32 s15, exec_lo
	v_cmpx_ne_u32_e32 0x7f, v12
	s_cbranch_execz .LBB230_2572
; %bb.2569:                             ;   in Loop: Header=BB230_1564 Depth=1
	v_mov_b32_e32 v8, 7
	v_lshrrev_b32_e32 v10, 3, v12
	s_mov_b32 s18, exec_lo
	v_and_b32_sdwa v8, v7, v8 dst_sel:DWORD dst_unused:UNUSED_PAD src0_sel:WORD_1 src1_sel:DWORD
	v_cmpx_gt_u32_e32 8, v12
; %bb.2570:                             ;   in Loop: Header=BB230_1564 Depth=1
	v_ffbh_u32_e32 v10, v8
	v_min_u32_e32 v10, 32, v10
	v_subrev_nc_u32_e32 v12, 28, v10
	v_sub_nc_u32_e32 v10, 29, v10
	v_lshlrev_b64 v[26:27], v12, v[8:9]
	v_and_b32_e32 v8, 7, v26
; %bb.2571:                             ;   in Loop: Header=BB230_1564 Depth=1
	s_or_b32 exec_lo, exec_lo, s18
	v_mov_b32_e32 v12, 24
	v_lshlrev_b32_e32 v8, 20, v8
	v_lshl_add_u32 v10, v10, 23, 0x3c000000
	v_lshlrev_b32_sdwa v12, v12, v7 dst_sel:DWORD dst_unused:UNUSED_PAD src0_sel:DWORD src1_sel:WORD_1
	v_and_b32_e32 v12, 0x80000000, v12
	v_or3_b32 v8, v8, v12, v10
	v_mov_b32_e32 v27, v9
	v_mov_b32_e32 v26, v8
.LBB230_2572:                           ;   in Loop: Header=BB230_1564 Depth=1
	s_or_b32 exec_lo, exec_lo, s15
.LBB230_2573:                           ;   in Loop: Header=BB230_1564 Depth=1
	s_or_b32 exec_lo, exec_lo, s13
.LBB230_2574:                           ;   in Loop: Header=BB230_1564 Depth=1
	s_or_b32 exec_lo, exec_lo, s7
	s_mov_b32 s7, exec_lo
	v_cmpx_lt_u32_e32 0xffffff, v7
	s_cbranch_execz .LBB230_2582
; %bb.2575:                             ;   in Loop: Header=BB230_1564 Depth=1
	v_mov_b32_e32 v104, v9
	v_cmp_ne_u32_sdwa s4, v7, v42 src0_sel:BYTE_3 src1_sel:DWORD
	v_mov_b32_e32 v24, v104
	v_mov_b32_e32 v25, v105
	s_and_saveexec_b32 s13, s4
	s_cbranch_execz .LBB230_2581
; %bb.2576:                             ;   in Loop: Header=BB230_1564 Depth=1
	v_mov_b32_e32 v12, v9
	v_mov_b32_e32 v25, v13
	v_bfe_u32 v29, v7, 24, 7
	s_mov_b32 s15, exec_lo
	v_mov_b32_e32 v24, v12
	v_cmpx_ne_u32_e32 0x7f, v29
	s_cbranch_execz .LBB230_2580
; %bb.2577:                             ;   in Loop: Header=BB230_1564 Depth=1
	v_mov_b32_e32 v8, 7
	v_lshrrev_b32_e32 v10, 3, v29
	s_mov_b32 s18, exec_lo
	v_and_b32_sdwa v8, v7, v8 dst_sel:DWORD dst_unused:UNUSED_PAD src0_sel:BYTE_3 src1_sel:DWORD
	v_cmpx_gt_u32_e32 8, v29
; %bb.2578:                             ;   in Loop: Header=BB230_1564 Depth=1
	v_ffbh_u32_e32 v10, v8
	v_min_u32_e32 v10, 32, v10
	v_subrev_nc_u32_e32 v12, 28, v10
	v_sub_nc_u32_e32 v10, 29, v10
	v_lshlrev_b64 v[24:25], v12, v[8:9]
	v_and_b32_e32 v8, 7, v24
; %bb.2579:                             ;   in Loop: Header=BB230_1564 Depth=1
	s_or_b32 exec_lo, exec_lo, s18
	v_mov_b32_e32 v12, 24
	v_lshlrev_b32_e32 v8, 20, v8
	v_lshl_add_u32 v10, v10, 23, 0x3c000000
	v_mov_b32_e32 v24, v9
	v_lshlrev_b32_sdwa v7, v12, v7 dst_sel:DWORD dst_unused:UNUSED_PAD src0_sel:DWORD src1_sel:BYTE_3
	v_and_b32_e32 v7, 0x80000000, v7
	v_or3_b32 v25, v8, v7, v10
.LBB230_2580:                           ;   in Loop: Header=BB230_1564 Depth=1
	s_or_b32 exec_lo, exec_lo, s15
.LBB230_2581:                           ;   in Loop: Header=BB230_1564 Depth=1
	s_or_b32 exec_lo, exec_lo, s13
.LBB230_2582:                           ;   in Loop: Header=BB230_1564 Depth=1
	s_or_b32 exec_lo, exec_lo, s7
	v_or_b32_e32 v7, v23, v21
	v_or_b32_e32 v8, v22, v20
	;; [unrolled: 1-line block ×4, first 2 shown]
	v_mul_f32_e32 v31, v59, v7
	v_mul_f32_e32 v7, v41, v8
	;; [unrolled: 1-line block ×4, first 2 shown]
	s_and_saveexec_b32 s7, vcc_lo
	s_cbranch_execz .LBB230_2584
; %bb.2583:                             ;   in Loop: Header=BB230_1564 Depth=1
	v_cmp_lt_i32_e64 s4, v93, v73
	v_cndmask_b32_e64 v7, 0, v7, s4
	v_cmp_lt_i32_e64 s4, v95, v73
	v_cndmask_b32_e64 v31, 0, v31, s4
	;; [unrolled: 2-line block ×4, first 2 shown]
.LBB230_2584:                           ;   in Loop: Header=BB230_1564 Depth=1
	s_or_b32 exec_lo, exec_lo, s7
	flat_load_dword v29, v[18:19] offset:1792
	v_mov_b32_e32 v20, 0
	v_mov_b32_e32 v18, 0
	;; [unrolled: 1-line block ×4, first 2 shown]
	s_waitcnt vmcnt(0) lgkmcnt(0)
	v_cmp_ne_u16_sdwa s4, v29, v9 src0_sel:BYTE_0 src1_sel:DWORD
	s_and_saveexec_b32 s7, s4
	s_cbranch_execz .LBB230_2592
; %bb.2585:                             ;   in Loop: Header=BB230_1564 Depth=1
	v_bfrev_b32_e32 v18, 1
	v_mov_b32_e32 v19, 0
	v_cmp_ne_u16_sdwa s4, v29, v42 src0_sel:BYTE_0 src1_sel:DWORD
	s_and_saveexec_b32 s13, s4
	s_cbranch_execz .LBB230_2591
; %bb.2586:                             ;   in Loop: Header=BB230_1564 Depth=1
	v_mov_b32_e32 v18, 0x7f800001
	v_and_b32_e32 v12, 0x7f, v29
	v_mov_b32_e32 v19, 0
	s_mov_b32 s15, exec_lo
	v_cmpx_ne_u32_e32 0x7f, v12
	s_cbranch_execz .LBB230_2590
; %bb.2587:                             ;   in Loop: Header=BB230_1564 Depth=1
	v_and_b32_e32 v8, 7, v29
	v_lshrrev_b32_e32 v10, 3, v12
	s_mov_b32 s18, exec_lo
	v_cmpx_gt_u32_e32 8, v12
; %bb.2588:                             ;   in Loop: Header=BB230_1564 Depth=1
	v_ffbh_u32_e32 v10, v8
	v_min_u32_e32 v10, 32, v10
	v_subrev_nc_u32_e32 v12, 28, v10
	v_sub_nc_u32_e32 v10, 29, v10
	v_lshlrev_b64 v[18:19], v12, v[8:9]
	v_and_b32_e32 v8, 7, v18
; %bb.2589:                             ;   in Loop: Header=BB230_1564 Depth=1
	s_or_b32 exec_lo, exec_lo, s18
	v_lshlrev_b32_e32 v12, 24, v29
	v_lshlrev_b32_e32 v8, 20, v8
	v_lshl_add_u32 v10, v10, 23, 0x3c000000
	v_and_b32_e32 v12, 0x80000000, v12
	v_or3_b32 v8, v8, v12, v10
	v_mov_b32_e32 v19, v9
	v_mov_b32_e32 v18, v8
.LBB230_2590:                           ;   in Loop: Header=BB230_1564 Depth=1
	s_or_b32 exec_lo, exec_lo, s15
.LBB230_2591:                           ;   in Loop: Header=BB230_1564 Depth=1
	s_or_b32 exec_lo, exec_lo, s13
.LBB230_2592:                           ;   in Loop: Header=BB230_1564 Depth=1
	s_or_b32 exec_lo, exec_lo, s7
	v_cmp_ne_u16_sdwa s4, v29, v9 src0_sel:BYTE_1 src1_sel:DWORD
	s_and_saveexec_b32 s7, s4
	s_cbranch_execz .LBB230_2600
; %bb.2593:                             ;   in Loop: Header=BB230_1564 Depth=1
	v_mov_b32_e32 v104, v9
	v_cmp_ne_u16_sdwa s4, v29, v42 src0_sel:BYTE_1 src1_sel:DWORD
	v_mov_b32_e32 v20, v104
	v_mov_b32_e32 v21, v105
	s_and_saveexec_b32 s13, s4
	s_cbranch_execz .LBB230_2599
; %bb.2594:                             ;   in Loop: Header=BB230_1564 Depth=1
	v_mov_b32_e32 v8, 0xffff
	v_mov_b32_e32 v12, v9
	;; [unrolled: 1-line block ×3, first 2 shown]
	s_mov_b32 s15, exec_lo
	v_and_b32_sdwa v8, v8, v29 dst_sel:DWORD dst_unused:UNUSED_PAD src0_sel:DWORD src1_sel:BYTE_1
	v_mov_b32_e32 v20, v12
	v_and_b32_e32 v22, 0x7f, v8
	v_cmpx_ne_u32_e32 0x7f, v22
	s_cbranch_execz .LBB230_2598
; %bb.2595:                             ;   in Loop: Header=BB230_1564 Depth=1
	v_and_b32_e32 v8, 7, v8
	v_lshrrev_b32_e32 v10, 3, v22
	s_mov_b32 s18, exec_lo
	v_cmpx_gt_u32_e32 8, v22
; %bb.2596:                             ;   in Loop: Header=BB230_1564 Depth=1
	v_ffbh_u32_e32 v10, v8
	v_min_u32_e32 v10, 32, v10
	v_subrev_nc_u32_e32 v12, 28, v10
	v_sub_nc_u32_e32 v10, 29, v10
	v_lshlrev_b64 v[20:21], v12, v[8:9]
	v_and_b32_e32 v8, 7, v20
; %bb.2597:                             ;   in Loop: Header=BB230_1564 Depth=1
	s_or_b32 exec_lo, exec_lo, s18
	v_lshlrev_b32_e32 v12, 16, v29
	v_lshlrev_b32_e32 v8, 20, v8
	v_lshl_add_u32 v10, v10, 23, 0x3c000000
	v_mov_b32_e32 v20, v9
	v_and_b32_e32 v12, 0x80000000, v12
	v_or3_b32 v21, v8, v12, v10
.LBB230_2598:                           ;   in Loop: Header=BB230_1564 Depth=1
	s_or_b32 exec_lo, exec_lo, s15
.LBB230_2599:                           ;   in Loop: Header=BB230_1564 Depth=1
	s_or_b32 exec_lo, exec_lo, s13
.LBB230_2600:                           ;   in Loop: Header=BB230_1564 Depth=1
	s_or_b32 exec_lo, exec_lo, s7
	v_mov_b32_e32 v22, 0
	v_mov_b32_e32 v24, 0
	v_and_b32_sdwa v8, v29, v44 dst_sel:DWORD dst_unused:UNUSED_PAD src0_sel:WORD_1 src1_sel:DWORD
	v_mov_b32_e32 v23, 0
	v_mov_b32_e32 v25, 0
	s_mov_b32 s7, exec_lo
	v_cmpx_ne_u16_e32 0, v8
	s_cbranch_execz .LBB230_2608
; %bb.2601:                             ;   in Loop: Header=BB230_1564 Depth=1
	v_bfrev_b32_e32 v24, 1
	v_mov_b32_e32 v25, 0
	s_mov_b32 s13, exec_lo
	v_cmpx_ne_u16_e32 0x80, v8
	s_cbranch_execz .LBB230_2607
; %bb.2602:                             ;   in Loop: Header=BB230_1564 Depth=1
	v_mov_b32_e32 v24, 0x7f800001
	v_bfe_u32 v12, v29, 16, 7
	v_mov_b32_e32 v25, 0
	s_mov_b32 s15, exec_lo
	v_cmpx_ne_u32_e32 0x7f, v12
	s_cbranch_execz .LBB230_2606
; %bb.2603:                             ;   in Loop: Header=BB230_1564 Depth=1
	v_mov_b32_e32 v8, 7
	v_lshrrev_b32_e32 v10, 3, v12
	s_mov_b32 s18, exec_lo
	v_and_b32_sdwa v8, v29, v8 dst_sel:DWORD dst_unused:UNUSED_PAD src0_sel:WORD_1 src1_sel:DWORD
	v_cmpx_gt_u32_e32 8, v12
; %bb.2604:                             ;   in Loop: Header=BB230_1564 Depth=1
	v_ffbh_u32_e32 v10, v8
	v_min_u32_e32 v10, 32, v10
	v_subrev_nc_u32_e32 v12, 28, v10
	v_sub_nc_u32_e32 v10, 29, v10
	v_lshlrev_b64 v[24:25], v12, v[8:9]
	v_and_b32_e32 v8, 7, v24
; %bb.2605:                             ;   in Loop: Header=BB230_1564 Depth=1
	s_or_b32 exec_lo, exec_lo, s18
	v_mov_b32_e32 v12, 24
	v_lshlrev_b32_e32 v8, 20, v8
	v_lshl_add_u32 v10, v10, 23, 0x3c000000
	v_lshlrev_b32_sdwa v12, v12, v29 dst_sel:DWORD dst_unused:UNUSED_PAD src0_sel:DWORD src1_sel:WORD_1
	v_and_b32_e32 v12, 0x80000000, v12
	v_or3_b32 v8, v8, v12, v10
	v_mov_b32_e32 v25, v9
	v_mov_b32_e32 v24, v8
.LBB230_2606:                           ;   in Loop: Header=BB230_1564 Depth=1
	s_or_b32 exec_lo, exec_lo, s15
.LBB230_2607:                           ;   in Loop: Header=BB230_1564 Depth=1
	s_or_b32 exec_lo, exec_lo, s13
.LBB230_2608:                           ;   in Loop: Header=BB230_1564 Depth=1
	s_or_b32 exec_lo, exec_lo, s7
	s_mov_b32 s7, exec_lo
	v_cmpx_lt_u32_e32 0xffffff, v29
	s_cbranch_execz .LBB230_2616
; %bb.2609:                             ;   in Loop: Header=BB230_1564 Depth=1
	v_mov_b32_e32 v104, v9
	v_cmp_ne_u32_sdwa s4, v29, v42 src0_sel:BYTE_3 src1_sel:DWORD
	v_mov_b32_e32 v22, v104
	v_mov_b32_e32 v23, v105
	s_and_saveexec_b32 s13, s4
	s_cbranch_execz .LBB230_2615
; %bb.2610:                             ;   in Loop: Header=BB230_1564 Depth=1
	v_mov_b32_e32 v12, v9
	v_mov_b32_e32 v23, v13
	v_bfe_u32 v30, v29, 24, 7
	s_mov_b32 s15, exec_lo
	v_mov_b32_e32 v22, v12
	v_cmpx_ne_u32_e32 0x7f, v30
	s_cbranch_execz .LBB230_2614
; %bb.2611:                             ;   in Loop: Header=BB230_1564 Depth=1
	v_mov_b32_e32 v8, 7
	v_lshrrev_b32_e32 v10, 3, v30
	s_mov_b32 s18, exec_lo
	v_and_b32_sdwa v8, v29, v8 dst_sel:DWORD dst_unused:UNUSED_PAD src0_sel:BYTE_3 src1_sel:DWORD
	v_cmpx_gt_u32_e32 8, v30
; %bb.2612:                             ;   in Loop: Header=BB230_1564 Depth=1
	v_ffbh_u32_e32 v10, v8
	v_min_u32_e32 v10, 32, v10
	v_subrev_nc_u32_e32 v12, 28, v10
	v_sub_nc_u32_e32 v10, 29, v10
	v_lshlrev_b64 v[22:23], v12, v[8:9]
	v_and_b32_e32 v8, 7, v22
; %bb.2613:                             ;   in Loop: Header=BB230_1564 Depth=1
	s_or_b32 exec_lo, exec_lo, s18
	v_mov_b32_e32 v12, 24
	v_lshlrev_b32_e32 v8, 20, v8
	v_lshl_add_u32 v10, v10, 23, 0x3c000000
	v_mov_b32_e32 v22, v9
	v_lshlrev_b32_sdwa v12, v12, v29 dst_sel:DWORD dst_unused:UNUSED_PAD src0_sel:DWORD src1_sel:BYTE_3
	v_and_b32_e32 v12, 0x80000000, v12
	v_or3_b32 v23, v8, v12, v10
.LBB230_2614:                           ;   in Loop: Header=BB230_1564 Depth=1
	s_or_b32 exec_lo, exec_lo, s15
.LBB230_2615:                           ;   in Loop: Header=BB230_1564 Depth=1
	s_or_b32 exec_lo, exec_lo, s13
.LBB230_2616:                           ;   in Loop: Header=BB230_1564 Depth=1
	s_or_b32 exec_lo, exec_lo, s7
	v_or_b32_e32 v8, v21, v19
	v_or_b32_e32 v10, v20, v18
	;; [unrolled: 1-line block ×4, first 2 shown]
	v_mul_f32_e32 v62, v59, v8
	v_mul_f32_e32 v61, v41, v10
	;; [unrolled: 1-line block ×4, first 2 shown]
	s_and_saveexec_b32 s7, vcc_lo
	s_cbranch_execz .LBB230_2618
; %bb.2617:                             ;   in Loop: Header=BB230_1564 Depth=1
	v_cmp_lt_i32_e64 s4, v93, v73
	v_cndmask_b32_e64 v61, 0, v61, s4
	v_cmp_lt_i32_e64 s4, v95, v73
	v_cndmask_b32_e64 v62, 0, v62, s4
	;; [unrolled: 2-line block ×4, first 2 shown]
.LBB230_2618:                           ;   in Loop: Header=BB230_1564 Depth=1
	s_or_b32 exec_lo, exec_lo, s7
	buffer_load_dword v8, off, s[0:3], s32 offset:1340 ; 4-byte Folded Reload
	v_mov_b32_e32 v18, 0
	v_mov_b32_e32 v19, 0
	s_waitcnt vmcnt(0)
	v_add_co_u32 v16, s4, v16, v8
	v_add_co_ci_u32_e64 v17, null, 0, v17, s4
	flat_load_dword v29, v[16:17]
	v_mov_b32_e32 v16, 0
	v_mov_b32_e32 v17, 0
	s_waitcnt vmcnt(0) lgkmcnt(0)
	v_cmp_ne_u16_sdwa s4, v29, v9 src0_sel:BYTE_0 src1_sel:DWORD
	s_and_saveexec_b32 s7, s4
	s_cbranch_execz .LBB230_2626
; %bb.2619:                             ;   in Loop: Header=BB230_1564 Depth=1
	v_bfrev_b32_e32 v16, 1
	v_mov_b32_e32 v17, 0
	v_cmp_ne_u16_sdwa s4, v29, v42 src0_sel:BYTE_0 src1_sel:DWORD
	s_and_saveexec_b32 s13, s4
	s_cbranch_execz .LBB230_2625
; %bb.2620:                             ;   in Loop: Header=BB230_1564 Depth=1
	v_mov_b32_e32 v16, 0x7f800001
	v_and_b32_e32 v12, 0x7f, v29
	v_mov_b32_e32 v17, 0
	s_mov_b32 s15, exec_lo
	v_cmpx_ne_u32_e32 0x7f, v12
	s_cbranch_execz .LBB230_2624
; %bb.2621:                             ;   in Loop: Header=BB230_1564 Depth=1
	v_and_b32_e32 v8, 7, v29
	v_lshrrev_b32_e32 v10, 3, v12
	s_mov_b32 s18, exec_lo
	v_cmpx_gt_u32_e32 8, v12
; %bb.2622:                             ;   in Loop: Header=BB230_1564 Depth=1
	v_ffbh_u32_e32 v10, v8
	v_min_u32_e32 v10, 32, v10
	v_subrev_nc_u32_e32 v12, 28, v10
	v_sub_nc_u32_e32 v10, 29, v10
	v_lshlrev_b64 v[16:17], v12, v[8:9]
	v_and_b32_e32 v8, 7, v16
; %bb.2623:                             ;   in Loop: Header=BB230_1564 Depth=1
	s_or_b32 exec_lo, exec_lo, s18
	v_lshlrev_b32_e32 v12, 24, v29
	v_lshlrev_b32_e32 v8, 20, v8
	v_lshl_add_u32 v10, v10, 23, 0x3c000000
	v_and_b32_e32 v12, 0x80000000, v12
	v_or3_b32 v8, v8, v12, v10
	v_mov_b32_e32 v17, v9
	v_mov_b32_e32 v16, v8
.LBB230_2624:                           ;   in Loop: Header=BB230_1564 Depth=1
	s_or_b32 exec_lo, exec_lo, s15
.LBB230_2625:                           ;   in Loop: Header=BB230_1564 Depth=1
	s_or_b32 exec_lo, exec_lo, s13
.LBB230_2626:                           ;   in Loop: Header=BB230_1564 Depth=1
	s_or_b32 exec_lo, exec_lo, s7
	v_cmp_ne_u16_sdwa s4, v29, v9 src0_sel:BYTE_1 src1_sel:DWORD
	s_and_saveexec_b32 s7, s4
	s_cbranch_execz .LBB230_2634
; %bb.2627:                             ;   in Loop: Header=BB230_1564 Depth=1
	v_mov_b32_e32 v104, v9
	v_cmp_ne_u16_sdwa s4, v29, v42 src0_sel:BYTE_1 src1_sel:DWORD
	v_mov_b32_e32 v18, v104
	v_mov_b32_e32 v19, v105
	s_and_saveexec_b32 s13, s4
	s_cbranch_execz .LBB230_2633
; %bb.2628:                             ;   in Loop: Header=BB230_1564 Depth=1
	v_mov_b32_e32 v8, 0xffff
	v_mov_b32_e32 v12, v9
	v_mov_b32_e32 v19, v13
	s_mov_b32 s15, exec_lo
	v_and_b32_sdwa v8, v8, v29 dst_sel:DWORD dst_unused:UNUSED_PAD src0_sel:DWORD src1_sel:BYTE_1
	v_mov_b32_e32 v18, v12
	v_and_b32_e32 v20, 0x7f, v8
	v_cmpx_ne_u32_e32 0x7f, v20
	s_cbranch_execz .LBB230_2632
; %bb.2629:                             ;   in Loop: Header=BB230_1564 Depth=1
	v_and_b32_e32 v8, 7, v8
	v_lshrrev_b32_e32 v10, 3, v20
	s_mov_b32 s18, exec_lo
	v_cmpx_gt_u32_e32 8, v20
; %bb.2630:                             ;   in Loop: Header=BB230_1564 Depth=1
	v_ffbh_u32_e32 v10, v8
	v_min_u32_e32 v10, 32, v10
	v_subrev_nc_u32_e32 v12, 28, v10
	v_sub_nc_u32_e32 v10, 29, v10
	v_lshlrev_b64 v[18:19], v12, v[8:9]
	v_and_b32_e32 v8, 7, v18
; %bb.2631:                             ;   in Loop: Header=BB230_1564 Depth=1
	s_or_b32 exec_lo, exec_lo, s18
	v_lshlrev_b32_e32 v12, 16, v29
	v_lshlrev_b32_e32 v8, 20, v8
	v_lshl_add_u32 v10, v10, 23, 0x3c000000
	v_mov_b32_e32 v18, v9
	v_and_b32_e32 v12, 0x80000000, v12
	v_or3_b32 v19, v8, v12, v10
.LBB230_2632:                           ;   in Loop: Header=BB230_1564 Depth=1
	s_or_b32 exec_lo, exec_lo, s15
.LBB230_2633:                           ;   in Loop: Header=BB230_1564 Depth=1
	s_or_b32 exec_lo, exec_lo, s13
.LBB230_2634:                           ;   in Loop: Header=BB230_1564 Depth=1
	s_or_b32 exec_lo, exec_lo, s7
	v_mov_b32_e32 v20, 0
	v_mov_b32_e32 v22, 0
	v_and_b32_sdwa v8, v29, v44 dst_sel:DWORD dst_unused:UNUSED_PAD src0_sel:WORD_1 src1_sel:DWORD
	v_mov_b32_e32 v21, 0
	v_mov_b32_e32 v23, 0
	s_mov_b32 s7, exec_lo
	v_cmpx_ne_u16_e32 0, v8
	s_cbranch_execz .LBB230_2642
; %bb.2635:                             ;   in Loop: Header=BB230_1564 Depth=1
	v_bfrev_b32_e32 v22, 1
	v_mov_b32_e32 v23, 0
	s_mov_b32 s13, exec_lo
	v_cmpx_ne_u16_e32 0x80, v8
	s_cbranch_execz .LBB230_2641
; %bb.2636:                             ;   in Loop: Header=BB230_1564 Depth=1
	v_mov_b32_e32 v22, 0x7f800001
	v_bfe_u32 v12, v29, 16, 7
	v_mov_b32_e32 v23, 0
	s_mov_b32 s15, exec_lo
	v_cmpx_ne_u32_e32 0x7f, v12
	s_cbranch_execz .LBB230_2640
; %bb.2637:                             ;   in Loop: Header=BB230_1564 Depth=1
	v_mov_b32_e32 v8, 7
	v_lshrrev_b32_e32 v10, 3, v12
	s_mov_b32 s18, exec_lo
	v_and_b32_sdwa v8, v29, v8 dst_sel:DWORD dst_unused:UNUSED_PAD src0_sel:WORD_1 src1_sel:DWORD
	v_cmpx_gt_u32_e32 8, v12
; %bb.2638:                             ;   in Loop: Header=BB230_1564 Depth=1
	v_ffbh_u32_e32 v10, v8
	v_min_u32_e32 v10, 32, v10
	v_subrev_nc_u32_e32 v12, 28, v10
	v_sub_nc_u32_e32 v10, 29, v10
	v_lshlrev_b64 v[22:23], v12, v[8:9]
	v_and_b32_e32 v8, 7, v22
; %bb.2639:                             ;   in Loop: Header=BB230_1564 Depth=1
	s_or_b32 exec_lo, exec_lo, s18
	v_mov_b32_e32 v12, 24
	v_lshlrev_b32_e32 v8, 20, v8
	v_lshl_add_u32 v10, v10, 23, 0x3c000000
	v_lshlrev_b32_sdwa v12, v12, v29 dst_sel:DWORD dst_unused:UNUSED_PAD src0_sel:DWORD src1_sel:WORD_1
	v_and_b32_e32 v12, 0x80000000, v12
	v_or3_b32 v8, v8, v12, v10
	v_mov_b32_e32 v23, v9
	v_mov_b32_e32 v22, v8
.LBB230_2640:                           ;   in Loop: Header=BB230_1564 Depth=1
	s_or_b32 exec_lo, exec_lo, s15
.LBB230_2641:                           ;   in Loop: Header=BB230_1564 Depth=1
	s_or_b32 exec_lo, exec_lo, s13
.LBB230_2642:                           ;   in Loop: Header=BB230_1564 Depth=1
	s_or_b32 exec_lo, exec_lo, s7
	s_mov_b32 s7, exec_lo
	v_cmpx_lt_u32_e32 0xffffff, v29
	s_cbranch_execz .LBB230_2650
; %bb.2643:                             ;   in Loop: Header=BB230_1564 Depth=1
	v_mov_b32_e32 v104, v9
	v_cmp_ne_u32_sdwa s4, v29, v42 src0_sel:BYTE_3 src1_sel:DWORD
	v_mov_b32_e32 v20, v104
	v_mov_b32_e32 v21, v105
	s_and_saveexec_b32 s13, s4
	s_cbranch_execz .LBB230_2649
; %bb.2644:                             ;   in Loop: Header=BB230_1564 Depth=1
	v_mov_b32_e32 v12, v9
	v_mov_b32_e32 v21, v13
	v_bfe_u32 v30, v29, 24, 7
	s_mov_b32 s15, exec_lo
	v_mov_b32_e32 v20, v12
	v_cmpx_ne_u32_e32 0x7f, v30
	s_cbranch_execz .LBB230_2648
; %bb.2645:                             ;   in Loop: Header=BB230_1564 Depth=1
	v_mov_b32_e32 v8, 7
	v_lshrrev_b32_e32 v10, 3, v30
	s_mov_b32 s18, exec_lo
	v_and_b32_sdwa v8, v29, v8 dst_sel:DWORD dst_unused:UNUSED_PAD src0_sel:BYTE_3 src1_sel:DWORD
	v_cmpx_gt_u32_e32 8, v30
; %bb.2646:                             ;   in Loop: Header=BB230_1564 Depth=1
	v_ffbh_u32_e32 v10, v8
	v_min_u32_e32 v10, 32, v10
	v_subrev_nc_u32_e32 v12, 28, v10
	v_sub_nc_u32_e32 v10, 29, v10
	v_lshlrev_b64 v[20:21], v12, v[8:9]
	v_and_b32_e32 v8, 7, v20
; %bb.2647:                             ;   in Loop: Header=BB230_1564 Depth=1
	s_or_b32 exec_lo, exec_lo, s18
	v_mov_b32_e32 v12, 24
	v_lshlrev_b32_e32 v8, 20, v8
	v_lshl_add_u32 v10, v10, 23, 0x3c000000
	v_mov_b32_e32 v20, v9
	v_lshlrev_b32_sdwa v12, v12, v29 dst_sel:DWORD dst_unused:UNUSED_PAD src0_sel:DWORD src1_sel:BYTE_3
	v_and_b32_e32 v12, 0x80000000, v12
	v_or3_b32 v21, v8, v12, v10
.LBB230_2648:                           ;   in Loop: Header=BB230_1564 Depth=1
	s_or_b32 exec_lo, exec_lo, s15
.LBB230_2649:                           ;   in Loop: Header=BB230_1564 Depth=1
	s_or_b32 exec_lo, exec_lo, s13
.LBB230_2650:                           ;   in Loop: Header=BB230_1564 Depth=1
	s_or_b32 exec_lo, exec_lo, s7
	v_or_b32_e32 v8, v19, v17
	v_or_b32_e32 v10, v18, v16
	;; [unrolled: 1-line block ×4, first 2 shown]
	v_mul_f32_e32 v32, v59, v8
	v_mul_f32_e32 v63, v41, v10
	;; [unrolled: 1-line block ×4, first 2 shown]
	s_and_saveexec_b32 s7, vcc_lo
	s_cbranch_execz .LBB230_2652
; %bb.2651:                             ;   in Loop: Header=BB230_1564 Depth=1
	v_cmp_lt_i32_e64 s4, v93, v73
	v_cndmask_b32_e64 v63, 0, v63, s4
	v_cmp_lt_i32_e64 s4, v95, v73
	v_cndmask_b32_e64 v32, 0, v32, s4
	;; [unrolled: 2-line block ×4, first 2 shown]
.LBB230_2652:                           ;   in Loop: Header=BB230_1564 Depth=1
	s_or_b32 exec_lo, exec_lo, s7
	v_add_co_u32 v0, s4, 0x1000, v0
	v_add_co_ci_u32_e64 v1, null, 0, v1, s4
	v_mov_b32_e32 v18, 0
	v_mov_b32_e32 v16, 0
	;; [unrolled: 1-line block ×3, first 2 shown]
	flat_load_dword v33, v[0:1]
	v_mov_b32_e32 v17, 0
	s_waitcnt vmcnt(0) lgkmcnt(0)
	v_cmp_ne_u16_sdwa s4, v33, v9 src0_sel:BYTE_0 src1_sel:DWORD
	s_and_saveexec_b32 s7, s4
	s_cbranch_execz .LBB230_2660
; %bb.2653:                             ;   in Loop: Header=BB230_1564 Depth=1
	v_bfrev_b32_e32 v16, 1
	v_mov_b32_e32 v17, 0
	v_cmp_ne_u16_sdwa s4, v33, v42 src0_sel:BYTE_0 src1_sel:DWORD
	s_and_saveexec_b32 s13, s4
	s_cbranch_execz .LBB230_2659
; %bb.2654:                             ;   in Loop: Header=BB230_1564 Depth=1
	v_mov_b32_e32 v16, 0x7f800001
	v_and_b32_e32 v12, 0x7f, v33
	v_mov_b32_e32 v17, 0
	s_mov_b32 s15, exec_lo
	v_cmpx_ne_u32_e32 0x7f, v12
	s_cbranch_execz .LBB230_2658
; %bb.2655:                             ;   in Loop: Header=BB230_1564 Depth=1
	v_and_b32_e32 v8, 7, v33
	v_lshrrev_b32_e32 v10, 3, v12
	s_mov_b32 s18, exec_lo
	v_cmpx_gt_u32_e32 8, v12
; %bb.2656:                             ;   in Loop: Header=BB230_1564 Depth=1
	v_ffbh_u32_e32 v10, v8
	v_min_u32_e32 v10, 32, v10
	v_subrev_nc_u32_e32 v12, 28, v10
	v_sub_nc_u32_e32 v10, 29, v10
	v_lshlrev_b64 v[16:17], v12, v[8:9]
	v_and_b32_e32 v8, 7, v16
; %bb.2657:                             ;   in Loop: Header=BB230_1564 Depth=1
	s_or_b32 exec_lo, exec_lo, s18
	v_lshlrev_b32_e32 v12, 24, v33
	v_lshlrev_b32_e32 v8, 20, v8
	v_lshl_add_u32 v10, v10, 23, 0x3c000000
	v_and_b32_e32 v12, 0x80000000, v12
	v_or3_b32 v8, v8, v12, v10
	v_mov_b32_e32 v17, v9
	v_mov_b32_e32 v16, v8
.LBB230_2658:                           ;   in Loop: Header=BB230_1564 Depth=1
	s_or_b32 exec_lo, exec_lo, s15
.LBB230_2659:                           ;   in Loop: Header=BB230_1564 Depth=1
	s_or_b32 exec_lo, exec_lo, s13
.LBB230_2660:                           ;   in Loop: Header=BB230_1564 Depth=1
	s_or_b32 exec_lo, exec_lo, s7
	v_cmp_ne_u16_sdwa s4, v33, v9 src0_sel:BYTE_1 src1_sel:DWORD
	s_and_saveexec_b32 s7, s4
	s_cbranch_execz .LBB230_2668
; %bb.2661:                             ;   in Loop: Header=BB230_1564 Depth=1
	v_mov_b32_e32 v104, v9
	v_cmp_ne_u16_sdwa s4, v33, v42 src0_sel:BYTE_1 src1_sel:DWORD
	v_mov_b32_e32 v18, v104
	v_mov_b32_e32 v19, v105
	s_and_saveexec_b32 s13, s4
	s_cbranch_execz .LBB230_2667
; %bb.2662:                             ;   in Loop: Header=BB230_1564 Depth=1
	v_mov_b32_e32 v8, 0xffff
	v_mov_b32_e32 v12, v9
	;; [unrolled: 1-line block ×3, first 2 shown]
	s_mov_b32 s15, exec_lo
	v_and_b32_sdwa v8, v8, v33 dst_sel:DWORD dst_unused:UNUSED_PAD src0_sel:DWORD src1_sel:BYTE_1
	v_mov_b32_e32 v18, v12
	v_and_b32_e32 v20, 0x7f, v8
	v_cmpx_ne_u32_e32 0x7f, v20
	s_cbranch_execz .LBB230_2666
; %bb.2663:                             ;   in Loop: Header=BB230_1564 Depth=1
	v_and_b32_e32 v8, 7, v8
	v_lshrrev_b32_e32 v10, 3, v20
	s_mov_b32 s18, exec_lo
	v_cmpx_gt_u32_e32 8, v20
; %bb.2664:                             ;   in Loop: Header=BB230_1564 Depth=1
	v_ffbh_u32_e32 v10, v8
	v_min_u32_e32 v10, 32, v10
	v_subrev_nc_u32_e32 v12, 28, v10
	v_sub_nc_u32_e32 v10, 29, v10
	v_lshlrev_b64 v[18:19], v12, v[8:9]
	v_and_b32_e32 v8, 7, v18
; %bb.2665:                             ;   in Loop: Header=BB230_1564 Depth=1
	s_or_b32 exec_lo, exec_lo, s18
	v_lshlrev_b32_e32 v12, 16, v33
	v_lshlrev_b32_e32 v8, 20, v8
	v_lshl_add_u32 v10, v10, 23, 0x3c000000
	v_mov_b32_e32 v18, v9
	v_and_b32_e32 v12, 0x80000000, v12
	v_or3_b32 v19, v8, v12, v10
.LBB230_2666:                           ;   in Loop: Header=BB230_1564 Depth=1
	s_or_b32 exec_lo, exec_lo, s15
.LBB230_2667:                           ;   in Loop: Header=BB230_1564 Depth=1
	s_or_b32 exec_lo, exec_lo, s13
.LBB230_2668:                           ;   in Loop: Header=BB230_1564 Depth=1
	s_or_b32 exec_lo, exec_lo, s7
	v_mov_b32_e32 v20, 0
	v_mov_b32_e32 v22, 0
	v_and_b32_sdwa v8, v33, v44 dst_sel:DWORD dst_unused:UNUSED_PAD src0_sel:WORD_1 src1_sel:DWORD
	v_mov_b32_e32 v21, 0
	v_mov_b32_e32 v23, 0
	s_mov_b32 s7, exec_lo
	v_cmpx_ne_u16_e32 0, v8
	s_cbranch_execz .LBB230_2676
; %bb.2669:                             ;   in Loop: Header=BB230_1564 Depth=1
	v_bfrev_b32_e32 v22, 1
	v_mov_b32_e32 v23, 0
	s_mov_b32 s13, exec_lo
	v_cmpx_ne_u16_e32 0x80, v8
	s_cbranch_execz .LBB230_2675
; %bb.2670:                             ;   in Loop: Header=BB230_1564 Depth=1
	v_mov_b32_e32 v22, 0x7f800001
	v_bfe_u32 v12, v33, 16, 7
	v_mov_b32_e32 v23, 0
	s_mov_b32 s15, exec_lo
	v_cmpx_ne_u32_e32 0x7f, v12
	s_cbranch_execz .LBB230_2674
; %bb.2671:                             ;   in Loop: Header=BB230_1564 Depth=1
	v_mov_b32_e32 v8, 7
	v_lshrrev_b32_e32 v10, 3, v12
	s_mov_b32 s18, exec_lo
	v_and_b32_sdwa v8, v33, v8 dst_sel:DWORD dst_unused:UNUSED_PAD src0_sel:WORD_1 src1_sel:DWORD
	v_cmpx_gt_u32_e32 8, v12
; %bb.2672:                             ;   in Loop: Header=BB230_1564 Depth=1
	v_ffbh_u32_e32 v10, v8
	v_min_u32_e32 v10, 32, v10
	v_subrev_nc_u32_e32 v12, 28, v10
	v_sub_nc_u32_e32 v10, 29, v10
	v_lshlrev_b64 v[22:23], v12, v[8:9]
	v_and_b32_e32 v8, 7, v22
; %bb.2673:                             ;   in Loop: Header=BB230_1564 Depth=1
	s_or_b32 exec_lo, exec_lo, s18
	v_mov_b32_e32 v12, 24
	v_lshlrev_b32_e32 v8, 20, v8
	v_lshl_add_u32 v10, v10, 23, 0x3c000000
	v_lshlrev_b32_sdwa v12, v12, v33 dst_sel:DWORD dst_unused:UNUSED_PAD src0_sel:DWORD src1_sel:WORD_1
	v_and_b32_e32 v12, 0x80000000, v12
	v_or3_b32 v8, v8, v12, v10
	v_mov_b32_e32 v23, v9
	v_mov_b32_e32 v22, v8
.LBB230_2674:                           ;   in Loop: Header=BB230_1564 Depth=1
	s_or_b32 exec_lo, exec_lo, s15
.LBB230_2675:                           ;   in Loop: Header=BB230_1564 Depth=1
	s_or_b32 exec_lo, exec_lo, s13
.LBB230_2676:                           ;   in Loop: Header=BB230_1564 Depth=1
	s_or_b32 exec_lo, exec_lo, s7
	s_mov_b32 s7, exec_lo
	v_cmpx_lt_u32_e32 0xffffff, v33
	s_cbranch_execz .LBB230_2684
; %bb.2677:                             ;   in Loop: Header=BB230_1564 Depth=1
	v_mov_b32_e32 v104, v9
	v_cmp_ne_u32_sdwa s4, v33, v42 src0_sel:BYTE_3 src1_sel:DWORD
	v_mov_b32_e32 v20, v104
	v_mov_b32_e32 v21, v105
	s_and_saveexec_b32 s13, s4
	s_cbranch_execz .LBB230_2683
; %bb.2678:                             ;   in Loop: Header=BB230_1564 Depth=1
	v_mov_b32_e32 v12, v9
	v_mov_b32_e32 v21, v13
	v_bfe_u32 v34, v33, 24, 7
	s_mov_b32 s15, exec_lo
	v_mov_b32_e32 v20, v12
	v_cmpx_ne_u32_e32 0x7f, v34
	s_cbranch_execz .LBB230_2682
; %bb.2679:                             ;   in Loop: Header=BB230_1564 Depth=1
	v_mov_b32_e32 v8, 7
	v_lshrrev_b32_e32 v10, 3, v34
	s_mov_b32 s18, exec_lo
	v_and_b32_sdwa v8, v33, v8 dst_sel:DWORD dst_unused:UNUSED_PAD src0_sel:BYTE_3 src1_sel:DWORD
	v_cmpx_gt_u32_e32 8, v34
; %bb.2680:                             ;   in Loop: Header=BB230_1564 Depth=1
	v_ffbh_u32_e32 v10, v8
	v_min_u32_e32 v10, 32, v10
	v_subrev_nc_u32_e32 v12, 28, v10
	v_sub_nc_u32_e32 v10, 29, v10
	v_lshlrev_b64 v[20:21], v12, v[8:9]
	v_and_b32_e32 v8, 7, v20
; %bb.2681:                             ;   in Loop: Header=BB230_1564 Depth=1
	s_or_b32 exec_lo, exec_lo, s18
	v_mov_b32_e32 v12, 24
	v_lshlrev_b32_e32 v8, 20, v8
	v_lshl_add_u32 v10, v10, 23, 0x3c000000
	v_mov_b32_e32 v20, v9
	v_lshlrev_b32_sdwa v12, v12, v33 dst_sel:DWORD dst_unused:UNUSED_PAD src0_sel:DWORD src1_sel:BYTE_3
	v_and_b32_e32 v12, 0x80000000, v12
	v_or3_b32 v21, v8, v12, v10
.LBB230_2682:                           ;   in Loop: Header=BB230_1564 Depth=1
	s_or_b32 exec_lo, exec_lo, s15
.LBB230_2683:                           ;   in Loop: Header=BB230_1564 Depth=1
	s_or_b32 exec_lo, exec_lo, s13
.LBB230_2684:                           ;   in Loop: Header=BB230_1564 Depth=1
	s_or_b32 exec_lo, exec_lo, s7
	v_or_b32_e32 v8, v19, v17
	v_or_b32_e32 v10, v18, v16
	;; [unrolled: 1-line block ×4, first 2 shown]
	v_mul_f32_e32 v76, v59, v8
	v_mul_f32_e32 v75, v41, v10
	;; [unrolled: 1-line block ×4, first 2 shown]
	s_and_saveexec_b32 s7, vcc_lo
	s_cbranch_execz .LBB230_2686
; %bb.2685:                             ;   in Loop: Header=BB230_1564 Depth=1
	v_cmp_lt_i32_e64 s4, v93, v73
	v_cndmask_b32_e64 v75, 0, v75, s4
	v_cmp_lt_i32_e64 s4, v95, v73
	v_cndmask_b32_e64 v76, 0, v76, s4
	;; [unrolled: 2-line block ×4, first 2 shown]
.LBB230_2686:                           ;   in Loop: Header=BB230_1564 Depth=1
	s_or_b32 exec_lo, exec_lo, s7
	flat_load_dword v33, v[0:1] offset:128
	v_mov_b32_e32 v18, 0
	v_mov_b32_e32 v16, 0
	v_mov_b32_e32 v19, 0
	v_mov_b32_e32 v17, 0
	s_waitcnt vmcnt(0) lgkmcnt(0)
	v_cmp_ne_u16_sdwa s4, v33, v9 src0_sel:BYTE_0 src1_sel:DWORD
	s_and_saveexec_b32 s7, s4
	s_cbranch_execz .LBB230_2694
; %bb.2687:                             ;   in Loop: Header=BB230_1564 Depth=1
	v_bfrev_b32_e32 v16, 1
	v_mov_b32_e32 v17, 0
	v_cmp_ne_u16_sdwa s4, v33, v42 src0_sel:BYTE_0 src1_sel:DWORD
	s_and_saveexec_b32 s13, s4
	s_cbranch_execz .LBB230_2693
; %bb.2688:                             ;   in Loop: Header=BB230_1564 Depth=1
	v_mov_b32_e32 v16, 0x7f800001
	v_and_b32_e32 v12, 0x7f, v33
	v_mov_b32_e32 v17, 0
	s_mov_b32 s15, exec_lo
	v_cmpx_ne_u32_e32 0x7f, v12
	s_cbranch_execz .LBB230_2692
; %bb.2689:                             ;   in Loop: Header=BB230_1564 Depth=1
	v_and_b32_e32 v8, 7, v33
	v_lshrrev_b32_e32 v10, 3, v12
	s_mov_b32 s18, exec_lo
	v_cmpx_gt_u32_e32 8, v12
; %bb.2690:                             ;   in Loop: Header=BB230_1564 Depth=1
	v_ffbh_u32_e32 v10, v8
	v_min_u32_e32 v10, 32, v10
	v_subrev_nc_u32_e32 v12, 28, v10
	v_sub_nc_u32_e32 v10, 29, v10
	v_lshlrev_b64 v[16:17], v12, v[8:9]
	v_and_b32_e32 v8, 7, v16
; %bb.2691:                             ;   in Loop: Header=BB230_1564 Depth=1
	s_or_b32 exec_lo, exec_lo, s18
	v_lshlrev_b32_e32 v12, 24, v33
	v_lshlrev_b32_e32 v8, 20, v8
	v_lshl_add_u32 v10, v10, 23, 0x3c000000
	v_and_b32_e32 v12, 0x80000000, v12
	v_or3_b32 v8, v8, v12, v10
	v_mov_b32_e32 v17, v9
	v_mov_b32_e32 v16, v8
.LBB230_2692:                           ;   in Loop: Header=BB230_1564 Depth=1
	s_or_b32 exec_lo, exec_lo, s15
.LBB230_2693:                           ;   in Loop: Header=BB230_1564 Depth=1
	s_or_b32 exec_lo, exec_lo, s13
.LBB230_2694:                           ;   in Loop: Header=BB230_1564 Depth=1
	s_or_b32 exec_lo, exec_lo, s7
	v_cmp_ne_u16_sdwa s4, v33, v9 src0_sel:BYTE_1 src1_sel:DWORD
	s_and_saveexec_b32 s7, s4
	s_cbranch_execz .LBB230_2702
; %bb.2695:                             ;   in Loop: Header=BB230_1564 Depth=1
	v_mov_b32_e32 v104, v9
	v_cmp_ne_u16_sdwa s4, v33, v42 src0_sel:BYTE_1 src1_sel:DWORD
	v_mov_b32_e32 v18, v104
	v_mov_b32_e32 v19, v105
	s_and_saveexec_b32 s13, s4
	s_cbranch_execz .LBB230_2701
; %bb.2696:                             ;   in Loop: Header=BB230_1564 Depth=1
	v_mov_b32_e32 v8, 0xffff
	v_mov_b32_e32 v12, v9
	;; [unrolled: 1-line block ×3, first 2 shown]
	s_mov_b32 s15, exec_lo
	v_and_b32_sdwa v8, v8, v33 dst_sel:DWORD dst_unused:UNUSED_PAD src0_sel:DWORD src1_sel:BYTE_1
	v_mov_b32_e32 v18, v12
	v_and_b32_e32 v20, 0x7f, v8
	v_cmpx_ne_u32_e32 0x7f, v20
	s_cbranch_execz .LBB230_2700
; %bb.2697:                             ;   in Loop: Header=BB230_1564 Depth=1
	v_and_b32_e32 v8, 7, v8
	v_lshrrev_b32_e32 v10, 3, v20
	s_mov_b32 s18, exec_lo
	v_cmpx_gt_u32_e32 8, v20
; %bb.2698:                             ;   in Loop: Header=BB230_1564 Depth=1
	v_ffbh_u32_e32 v10, v8
	v_min_u32_e32 v10, 32, v10
	v_subrev_nc_u32_e32 v12, 28, v10
	v_sub_nc_u32_e32 v10, 29, v10
	v_lshlrev_b64 v[18:19], v12, v[8:9]
	v_and_b32_e32 v8, 7, v18
; %bb.2699:                             ;   in Loop: Header=BB230_1564 Depth=1
	s_or_b32 exec_lo, exec_lo, s18
	v_lshlrev_b32_e32 v12, 16, v33
	v_lshlrev_b32_e32 v8, 20, v8
	v_lshl_add_u32 v10, v10, 23, 0x3c000000
	v_mov_b32_e32 v18, v9
	v_and_b32_e32 v12, 0x80000000, v12
	v_or3_b32 v19, v8, v12, v10
.LBB230_2700:                           ;   in Loop: Header=BB230_1564 Depth=1
	s_or_b32 exec_lo, exec_lo, s15
.LBB230_2701:                           ;   in Loop: Header=BB230_1564 Depth=1
	s_or_b32 exec_lo, exec_lo, s13
.LBB230_2702:                           ;   in Loop: Header=BB230_1564 Depth=1
	s_or_b32 exec_lo, exec_lo, s7
	v_mov_b32_e32 v20, 0
	v_mov_b32_e32 v22, 0
	v_and_b32_sdwa v8, v33, v44 dst_sel:DWORD dst_unused:UNUSED_PAD src0_sel:WORD_1 src1_sel:DWORD
	v_mov_b32_e32 v21, 0
	v_mov_b32_e32 v23, 0
	s_mov_b32 s7, exec_lo
	v_cmpx_ne_u16_e32 0, v8
	s_cbranch_execz .LBB230_2710
; %bb.2703:                             ;   in Loop: Header=BB230_1564 Depth=1
	v_bfrev_b32_e32 v22, 1
	v_mov_b32_e32 v23, 0
	s_mov_b32 s13, exec_lo
	v_cmpx_ne_u16_e32 0x80, v8
	s_cbranch_execz .LBB230_2709
; %bb.2704:                             ;   in Loop: Header=BB230_1564 Depth=1
	v_mov_b32_e32 v22, 0x7f800001
	v_bfe_u32 v12, v33, 16, 7
	v_mov_b32_e32 v23, 0
	s_mov_b32 s15, exec_lo
	v_cmpx_ne_u32_e32 0x7f, v12
	s_cbranch_execz .LBB230_2708
; %bb.2705:                             ;   in Loop: Header=BB230_1564 Depth=1
	v_mov_b32_e32 v8, 7
	v_lshrrev_b32_e32 v10, 3, v12
	s_mov_b32 s18, exec_lo
	v_and_b32_sdwa v8, v33, v8 dst_sel:DWORD dst_unused:UNUSED_PAD src0_sel:WORD_1 src1_sel:DWORD
	v_cmpx_gt_u32_e32 8, v12
; %bb.2706:                             ;   in Loop: Header=BB230_1564 Depth=1
	v_ffbh_u32_e32 v10, v8
	v_min_u32_e32 v10, 32, v10
	v_subrev_nc_u32_e32 v12, 28, v10
	v_sub_nc_u32_e32 v10, 29, v10
	v_lshlrev_b64 v[22:23], v12, v[8:9]
	v_and_b32_e32 v8, 7, v22
; %bb.2707:                             ;   in Loop: Header=BB230_1564 Depth=1
	s_or_b32 exec_lo, exec_lo, s18
	v_mov_b32_e32 v12, 24
	v_lshlrev_b32_e32 v8, 20, v8
	v_lshl_add_u32 v10, v10, 23, 0x3c000000
	v_lshlrev_b32_sdwa v12, v12, v33 dst_sel:DWORD dst_unused:UNUSED_PAD src0_sel:DWORD src1_sel:WORD_1
	v_and_b32_e32 v12, 0x80000000, v12
	v_or3_b32 v8, v8, v12, v10
	v_mov_b32_e32 v23, v9
	v_mov_b32_e32 v22, v8
.LBB230_2708:                           ;   in Loop: Header=BB230_1564 Depth=1
	s_or_b32 exec_lo, exec_lo, s15
.LBB230_2709:                           ;   in Loop: Header=BB230_1564 Depth=1
	s_or_b32 exec_lo, exec_lo, s13
.LBB230_2710:                           ;   in Loop: Header=BB230_1564 Depth=1
	s_or_b32 exec_lo, exec_lo, s7
	s_mov_b32 s7, exec_lo
	v_cmpx_lt_u32_e32 0xffffff, v33
	s_cbranch_execz .LBB230_2718
; %bb.2711:                             ;   in Loop: Header=BB230_1564 Depth=1
	v_mov_b32_e32 v104, v9
	v_cmp_ne_u32_sdwa s4, v33, v42 src0_sel:BYTE_3 src1_sel:DWORD
	v_mov_b32_e32 v20, v104
	v_mov_b32_e32 v21, v105
	s_and_saveexec_b32 s13, s4
	s_cbranch_execz .LBB230_2717
; %bb.2712:                             ;   in Loop: Header=BB230_1564 Depth=1
	v_mov_b32_e32 v12, v9
	v_mov_b32_e32 v21, v13
	v_bfe_u32 v34, v33, 24, 7
	s_mov_b32 s15, exec_lo
	v_mov_b32_e32 v20, v12
	v_cmpx_ne_u32_e32 0x7f, v34
	s_cbranch_execz .LBB230_2716
; %bb.2713:                             ;   in Loop: Header=BB230_1564 Depth=1
	v_mov_b32_e32 v8, 7
	v_lshrrev_b32_e32 v10, 3, v34
	s_mov_b32 s18, exec_lo
	v_and_b32_sdwa v8, v33, v8 dst_sel:DWORD dst_unused:UNUSED_PAD src0_sel:BYTE_3 src1_sel:DWORD
	v_mov_b32_e32 v21, v9
	v_mov_b32_e32 v20, v8
	v_cmpx_gt_u32_e32 8, v34
; %bb.2714:                             ;   in Loop: Header=BB230_1564 Depth=1
	v_ffbh_u32_e32 v10, v8
	v_min_u32_e32 v10, 32, v10
	v_subrev_nc_u32_e32 v12, 28, v10
	v_sub_nc_u32_e32 v10, 29, v10
	v_lshlrev_b64 v[20:21], v12, v[8:9]
	v_and_b32_e32 v20, 7, v20
; %bb.2715:                             ;   in Loop: Header=BB230_1564 Depth=1
	s_or_b32 exec_lo, exec_lo, s18
	v_mov_b32_e32 v8, 24
	v_lshlrev_b32_e32 v12, 20, v20
	v_lshl_add_u32 v10, v10, 23, 0x3c000000
	v_mov_b32_e32 v20, v9
	v_lshlrev_b32_sdwa v8, v8, v33 dst_sel:DWORD dst_unused:UNUSED_PAD src0_sel:DWORD src1_sel:BYTE_3
	v_and_b32_e32 v8, 0x80000000, v8
	v_or3_b32 v21, v12, v8, v10
.LBB230_2716:                           ;   in Loop: Header=BB230_1564 Depth=1
	s_or_b32 exec_lo, exec_lo, s15
.LBB230_2717:                           ;   in Loop: Header=BB230_1564 Depth=1
	s_or_b32 exec_lo, exec_lo, s13
.LBB230_2718:                           ;   in Loop: Header=BB230_1564 Depth=1
	s_or_b32 exec_lo, exec_lo, s7
	v_or_b32_e32 v8, v19, v17
	v_or_b32_e32 v10, v18, v16
	;; [unrolled: 1-line block ×4, first 2 shown]
	v_mul_f32_e32 v88, v59, v8
	v_mul_f32_e32 v79, v41, v10
	;; [unrolled: 1-line block ×4, first 2 shown]
	s_and_saveexec_b32 s7, vcc_lo
	s_cbranch_execz .LBB230_2720
; %bb.2719:                             ;   in Loop: Header=BB230_1564 Depth=1
	v_cmp_lt_i32_e64 s4, v93, v73
	v_cndmask_b32_e64 v79, 0, v79, s4
	v_cmp_lt_i32_e64 s4, v95, v73
	v_cndmask_b32_e64 v88, 0, v88, s4
	;; [unrolled: 2-line block ×4, first 2 shown]
.LBB230_2720:                           ;   in Loop: Header=BB230_1564 Depth=1
	s_or_b32 exec_lo, exec_lo, s7
	flat_load_dword v33, v[0:1] offset:256
	v_mov_b32_e32 v18, 0
	v_mov_b32_e32 v16, 0
	;; [unrolled: 1-line block ×4, first 2 shown]
	s_waitcnt vmcnt(0) lgkmcnt(0)
	v_cmp_ne_u16_sdwa s4, v33, v9 src0_sel:BYTE_0 src1_sel:DWORD
	s_and_saveexec_b32 s7, s4
	s_cbranch_execz .LBB230_2728
; %bb.2721:                             ;   in Loop: Header=BB230_1564 Depth=1
	v_bfrev_b32_e32 v16, 1
	v_mov_b32_e32 v17, 0
	v_cmp_ne_u16_sdwa s4, v33, v42 src0_sel:BYTE_0 src1_sel:DWORD
	s_and_saveexec_b32 s13, s4
	s_cbranch_execz .LBB230_2727
; %bb.2722:                             ;   in Loop: Header=BB230_1564 Depth=1
	v_mov_b32_e32 v16, 0x7f800001
	v_and_b32_e32 v12, 0x7f, v33
	v_mov_b32_e32 v17, 0
	s_mov_b32 s15, exec_lo
	v_cmpx_ne_u32_e32 0x7f, v12
	s_cbranch_execz .LBB230_2726
; %bb.2723:                             ;   in Loop: Header=BB230_1564 Depth=1
	v_and_b32_e32 v8, 7, v33
	v_mov_b32_e32 v17, v9
	v_lshrrev_b32_e32 v10, 3, v12
	s_mov_b32 s18, exec_lo
	v_mov_b32_e32 v16, v8
	v_cmpx_gt_u32_e32 8, v12
; %bb.2724:                             ;   in Loop: Header=BB230_1564 Depth=1
	v_ffbh_u32_e32 v10, v8
	v_min_u32_e32 v10, 32, v10
	v_subrev_nc_u32_e32 v12, 28, v10
	v_sub_nc_u32_e32 v10, 29, v10
	v_lshlrev_b64 v[16:17], v12, v[8:9]
	v_and_b32_e32 v16, 7, v16
; %bb.2725:                             ;   in Loop: Header=BB230_1564 Depth=1
	s_or_b32 exec_lo, exec_lo, s18
	v_lshlrev_b32_e32 v8, 24, v33
	v_lshlrev_b32_e32 v12, 20, v16
	v_lshl_add_u32 v10, v10, 23, 0x3c000000
	v_and_b32_e32 v8, 0x80000000, v8
	v_or3_b32 v8, v12, v8, v10
	v_mov_b32_e32 v17, v9
	v_mov_b32_e32 v16, v8
.LBB230_2726:                           ;   in Loop: Header=BB230_1564 Depth=1
	s_or_b32 exec_lo, exec_lo, s15
.LBB230_2727:                           ;   in Loop: Header=BB230_1564 Depth=1
	s_or_b32 exec_lo, exec_lo, s13
.LBB230_2728:                           ;   in Loop: Header=BB230_1564 Depth=1
	s_or_b32 exec_lo, exec_lo, s7
	v_cmp_ne_u16_sdwa s4, v33, v9 src0_sel:BYTE_1 src1_sel:DWORD
	s_and_saveexec_b32 s7, s4
	s_cbranch_execz .LBB230_2736
; %bb.2729:                             ;   in Loop: Header=BB230_1564 Depth=1
	v_mov_b32_e32 v104, v9
	v_cmp_ne_u16_sdwa s4, v33, v42 src0_sel:BYTE_1 src1_sel:DWORD
	v_mov_b32_e32 v18, v104
	v_mov_b32_e32 v19, v105
	s_and_saveexec_b32 s13, s4
	s_cbranch_execz .LBB230_2735
; %bb.2730:                             ;   in Loop: Header=BB230_1564 Depth=1
	v_mov_b32_e32 v8, 0xffff
	v_mov_b32_e32 v12, v9
	;; [unrolled: 1-line block ×3, first 2 shown]
	s_mov_b32 s15, exec_lo
	v_and_b32_sdwa v8, v8, v33 dst_sel:DWORD dst_unused:UNUSED_PAD src0_sel:DWORD src1_sel:BYTE_1
	v_mov_b32_e32 v18, v12
	v_and_b32_e32 v20, 0x7f, v8
	v_cmpx_ne_u32_e32 0x7f, v20
	s_cbranch_execz .LBB230_2734
; %bb.2731:                             ;   in Loop: Header=BB230_1564 Depth=1
	v_and_b32_e32 v8, 7, v8
	v_mov_b32_e32 v19, v9
	v_lshrrev_b32_e32 v10, 3, v20
	s_mov_b32 s18, exec_lo
	v_mov_b32_e32 v18, v8
	v_cmpx_gt_u32_e32 8, v20
; %bb.2732:                             ;   in Loop: Header=BB230_1564 Depth=1
	v_ffbh_u32_e32 v10, v8
	v_min_u32_e32 v10, 32, v10
	v_subrev_nc_u32_e32 v12, 28, v10
	v_sub_nc_u32_e32 v10, 29, v10
	v_lshlrev_b64 v[18:19], v12, v[8:9]
	v_and_b32_e32 v18, 7, v18
; %bb.2733:                             ;   in Loop: Header=BB230_1564 Depth=1
	s_or_b32 exec_lo, exec_lo, s18
	v_lshlrev_b32_e32 v8, 16, v33
	v_lshlrev_b32_e32 v12, 20, v18
	v_lshl_add_u32 v10, v10, 23, 0x3c000000
	v_mov_b32_e32 v18, v9
	v_and_b32_e32 v8, 0x80000000, v8
	v_or3_b32 v19, v12, v8, v10
.LBB230_2734:                           ;   in Loop: Header=BB230_1564 Depth=1
	s_or_b32 exec_lo, exec_lo, s15
.LBB230_2735:                           ;   in Loop: Header=BB230_1564 Depth=1
	s_or_b32 exec_lo, exec_lo, s13
.LBB230_2736:                           ;   in Loop: Header=BB230_1564 Depth=1
	s_or_b32 exec_lo, exec_lo, s7
	v_mov_b32_e32 v20, 0
	v_mov_b32_e32 v22, 0
	v_and_b32_sdwa v8, v33, v44 dst_sel:DWORD dst_unused:UNUSED_PAD src0_sel:WORD_1 src1_sel:DWORD
	v_mov_b32_e32 v21, 0
	v_mov_b32_e32 v23, 0
	s_mov_b32 s7, exec_lo
	v_cmpx_ne_u16_e32 0, v8
	s_cbranch_execz .LBB230_2744
; %bb.2737:                             ;   in Loop: Header=BB230_1564 Depth=1
	v_bfrev_b32_e32 v22, 1
	v_mov_b32_e32 v23, 0
	s_mov_b32 s13, exec_lo
	v_cmpx_ne_u16_e32 0x80, v8
	s_cbranch_execz .LBB230_2743
; %bb.2738:                             ;   in Loop: Header=BB230_1564 Depth=1
	v_mov_b32_e32 v22, 0x7f800001
	v_bfe_u32 v12, v33, 16, 7
	v_mov_b32_e32 v23, 0
	s_mov_b32 s15, exec_lo
	v_cmpx_ne_u32_e32 0x7f, v12
	s_cbranch_execz .LBB230_2742
; %bb.2739:                             ;   in Loop: Header=BB230_1564 Depth=1
	v_mov_b32_e32 v8, 7
	v_lshrrev_b32_e32 v10, 3, v12
	s_mov_b32 s18, exec_lo
	v_and_b32_sdwa v8, v33, v8 dst_sel:DWORD dst_unused:UNUSED_PAD src0_sel:WORD_1 src1_sel:DWORD
	v_mov_b32_e32 v23, v9
	v_mov_b32_e32 v22, v8
	v_cmpx_gt_u32_e32 8, v12
; %bb.2740:                             ;   in Loop: Header=BB230_1564 Depth=1
	v_ffbh_u32_e32 v10, v8
	v_min_u32_e32 v10, 32, v10
	v_subrev_nc_u32_e32 v12, 28, v10
	v_sub_nc_u32_e32 v10, 29, v10
	v_lshlrev_b64 v[22:23], v12, v[8:9]
	v_and_b32_e32 v22, 7, v22
; %bb.2741:                             ;   in Loop: Header=BB230_1564 Depth=1
	s_or_b32 exec_lo, exec_lo, s18
	v_mov_b32_e32 v8, 24
	v_lshlrev_b32_e32 v12, 20, v22
	v_lshl_add_u32 v10, v10, 23, 0x3c000000
	v_lshlrev_b32_sdwa v8, v8, v33 dst_sel:DWORD dst_unused:UNUSED_PAD src0_sel:DWORD src1_sel:WORD_1
	v_and_b32_e32 v8, 0x80000000, v8
	v_or3_b32 v8, v12, v8, v10
	v_mov_b32_e32 v23, v9
	v_mov_b32_e32 v22, v8
.LBB230_2742:                           ;   in Loop: Header=BB230_1564 Depth=1
	s_or_b32 exec_lo, exec_lo, s15
.LBB230_2743:                           ;   in Loop: Header=BB230_1564 Depth=1
	s_or_b32 exec_lo, exec_lo, s13
.LBB230_2744:                           ;   in Loop: Header=BB230_1564 Depth=1
	s_or_b32 exec_lo, exec_lo, s7
	s_mov_b32 s7, exec_lo
	v_cmpx_lt_u32_e32 0xffffff, v33
	s_cbranch_execz .LBB230_2752
; %bb.2745:                             ;   in Loop: Header=BB230_1564 Depth=1
	v_mov_b32_e32 v104, v9
	v_cmp_ne_u32_sdwa s4, v33, v42 src0_sel:BYTE_3 src1_sel:DWORD
	v_mov_b32_e32 v20, v104
	v_mov_b32_e32 v21, v105
	s_and_saveexec_b32 s13, s4
	s_cbranch_execz .LBB230_2751
; %bb.2746:                             ;   in Loop: Header=BB230_1564 Depth=1
	v_mov_b32_e32 v12, v9
	v_mov_b32_e32 v21, v13
	v_bfe_u32 v34, v33, 24, 7
	s_mov_b32 s15, exec_lo
	v_mov_b32_e32 v20, v12
	v_cmpx_ne_u32_e32 0x7f, v34
	s_cbranch_execz .LBB230_2750
; %bb.2747:                             ;   in Loop: Header=BB230_1564 Depth=1
	v_mov_b32_e32 v8, 7
	v_lshrrev_b32_e32 v10, 3, v34
	s_mov_b32 s18, exec_lo
	v_and_b32_sdwa v8, v33, v8 dst_sel:DWORD dst_unused:UNUSED_PAD src0_sel:BYTE_3 src1_sel:DWORD
	v_mov_b32_e32 v21, v9
	v_mov_b32_e32 v20, v8
	v_cmpx_gt_u32_e32 8, v34
; %bb.2748:                             ;   in Loop: Header=BB230_1564 Depth=1
	v_ffbh_u32_e32 v10, v8
	v_min_u32_e32 v10, 32, v10
	v_subrev_nc_u32_e32 v12, 28, v10
	v_sub_nc_u32_e32 v10, 29, v10
	v_lshlrev_b64 v[20:21], v12, v[8:9]
	v_and_b32_e32 v20, 7, v20
; %bb.2749:                             ;   in Loop: Header=BB230_1564 Depth=1
	s_or_b32 exec_lo, exec_lo, s18
	v_mov_b32_e32 v8, 24
	v_lshlrev_b32_e32 v12, 20, v20
	v_lshl_add_u32 v10, v10, 23, 0x3c000000
	v_mov_b32_e32 v20, v9
	v_lshlrev_b32_sdwa v8, v8, v33 dst_sel:DWORD dst_unused:UNUSED_PAD src0_sel:DWORD src1_sel:BYTE_3
	v_and_b32_e32 v8, 0x80000000, v8
	v_or3_b32 v21, v12, v8, v10
.LBB230_2750:                           ;   in Loop: Header=BB230_1564 Depth=1
	s_or_b32 exec_lo, exec_lo, s15
.LBB230_2751:                           ;   in Loop: Header=BB230_1564 Depth=1
	s_or_b32 exec_lo, exec_lo, s13
.LBB230_2752:                           ;   in Loop: Header=BB230_1564 Depth=1
	s_or_b32 exec_lo, exec_lo, s7
	v_or_b32_e32 v8, v19, v17
	v_or_b32_e32 v10, v18, v16
	;; [unrolled: 1-line block ×4, first 2 shown]
	v_mul_f32_e32 v89, v59, v8
	v_mul_f32_e32 v46, v41, v10
	;; [unrolled: 1-line block ×4, first 2 shown]
	s_and_saveexec_b32 s7, vcc_lo
	s_cbranch_execz .LBB230_2754
; %bb.2753:                             ;   in Loop: Header=BB230_1564 Depth=1
	v_cmp_lt_i32_e64 s4, v93, v73
	v_cndmask_b32_e64 v46, 0, v46, s4
	v_cmp_lt_i32_e64 s4, v95, v73
	v_cndmask_b32_e64 v89, 0, v89, s4
	;; [unrolled: 2-line block ×4, first 2 shown]
.LBB230_2754:                           ;   in Loop: Header=BB230_1564 Depth=1
	s_or_b32 exec_lo, exec_lo, s7
	flat_load_dword v33, v[0:1] offset:384
	v_mov_b32_e32 v18, 0
	v_mov_b32_e32 v16, 0
	;; [unrolled: 1-line block ×4, first 2 shown]
	s_waitcnt vmcnt(0) lgkmcnt(0)
	v_cmp_ne_u16_sdwa s4, v33, v9 src0_sel:BYTE_0 src1_sel:DWORD
	s_and_saveexec_b32 s7, s4
	s_cbranch_execz .LBB230_2762
; %bb.2755:                             ;   in Loop: Header=BB230_1564 Depth=1
	v_bfrev_b32_e32 v16, 1
	v_mov_b32_e32 v17, 0
	v_cmp_ne_u16_sdwa s4, v33, v42 src0_sel:BYTE_0 src1_sel:DWORD
	s_and_saveexec_b32 s13, s4
	s_cbranch_execz .LBB230_2761
; %bb.2756:                             ;   in Loop: Header=BB230_1564 Depth=1
	v_mov_b32_e32 v16, 0x7f800001
	v_and_b32_e32 v12, 0x7f, v33
	v_mov_b32_e32 v17, 0
	s_mov_b32 s15, exec_lo
	v_cmpx_ne_u32_e32 0x7f, v12
	s_cbranch_execz .LBB230_2760
; %bb.2757:                             ;   in Loop: Header=BB230_1564 Depth=1
	v_and_b32_e32 v8, 7, v33
	v_mov_b32_e32 v17, v9
	v_lshrrev_b32_e32 v10, 3, v12
	s_mov_b32 s18, exec_lo
	v_mov_b32_e32 v16, v8
	v_cmpx_gt_u32_e32 8, v12
; %bb.2758:                             ;   in Loop: Header=BB230_1564 Depth=1
	v_ffbh_u32_e32 v10, v8
	v_min_u32_e32 v10, 32, v10
	v_subrev_nc_u32_e32 v12, 28, v10
	v_sub_nc_u32_e32 v10, 29, v10
	v_lshlrev_b64 v[16:17], v12, v[8:9]
	v_and_b32_e32 v16, 7, v16
; %bb.2759:                             ;   in Loop: Header=BB230_1564 Depth=1
	s_or_b32 exec_lo, exec_lo, s18
	v_lshlrev_b32_e32 v8, 24, v33
	v_lshlrev_b32_e32 v12, 20, v16
	v_lshl_add_u32 v10, v10, 23, 0x3c000000
	v_and_b32_e32 v8, 0x80000000, v8
	v_or3_b32 v8, v12, v8, v10
	v_mov_b32_e32 v17, v9
	v_mov_b32_e32 v16, v8
.LBB230_2760:                           ;   in Loop: Header=BB230_1564 Depth=1
	s_or_b32 exec_lo, exec_lo, s15
.LBB230_2761:                           ;   in Loop: Header=BB230_1564 Depth=1
	s_or_b32 exec_lo, exec_lo, s13
.LBB230_2762:                           ;   in Loop: Header=BB230_1564 Depth=1
	s_or_b32 exec_lo, exec_lo, s7
	v_cmp_ne_u16_sdwa s4, v33, v9 src0_sel:BYTE_1 src1_sel:DWORD
	s_and_saveexec_b32 s7, s4
	s_cbranch_execz .LBB230_2770
; %bb.2763:                             ;   in Loop: Header=BB230_1564 Depth=1
	v_mov_b32_e32 v104, v9
	v_cmp_ne_u16_sdwa s4, v33, v42 src0_sel:BYTE_1 src1_sel:DWORD
	v_mov_b32_e32 v18, v104
	v_mov_b32_e32 v19, v105
	s_and_saveexec_b32 s13, s4
	s_cbranch_execz .LBB230_2769
; %bb.2764:                             ;   in Loop: Header=BB230_1564 Depth=1
	v_mov_b32_e32 v8, 0xffff
	v_mov_b32_e32 v12, v9
	;; [unrolled: 1-line block ×3, first 2 shown]
	s_mov_b32 s15, exec_lo
	v_and_b32_sdwa v8, v8, v33 dst_sel:DWORD dst_unused:UNUSED_PAD src0_sel:DWORD src1_sel:BYTE_1
	v_mov_b32_e32 v18, v12
	v_and_b32_e32 v20, 0x7f, v8
	v_cmpx_ne_u32_e32 0x7f, v20
	s_cbranch_execz .LBB230_2768
; %bb.2765:                             ;   in Loop: Header=BB230_1564 Depth=1
	v_and_b32_e32 v8, 7, v8
	v_mov_b32_e32 v19, v9
	v_lshrrev_b32_e32 v10, 3, v20
	s_mov_b32 s18, exec_lo
	v_mov_b32_e32 v18, v8
	v_cmpx_gt_u32_e32 8, v20
; %bb.2766:                             ;   in Loop: Header=BB230_1564 Depth=1
	v_ffbh_u32_e32 v10, v8
	v_min_u32_e32 v10, 32, v10
	v_subrev_nc_u32_e32 v12, 28, v10
	v_sub_nc_u32_e32 v10, 29, v10
	v_lshlrev_b64 v[18:19], v12, v[8:9]
	v_and_b32_e32 v18, 7, v18
; %bb.2767:                             ;   in Loop: Header=BB230_1564 Depth=1
	s_or_b32 exec_lo, exec_lo, s18
	v_lshlrev_b32_e32 v8, 16, v33
	v_lshlrev_b32_e32 v12, 20, v18
	v_lshl_add_u32 v10, v10, 23, 0x3c000000
	v_mov_b32_e32 v18, v9
	v_and_b32_e32 v8, 0x80000000, v8
	v_or3_b32 v19, v12, v8, v10
.LBB230_2768:                           ;   in Loop: Header=BB230_1564 Depth=1
	s_or_b32 exec_lo, exec_lo, s15
.LBB230_2769:                           ;   in Loop: Header=BB230_1564 Depth=1
	s_or_b32 exec_lo, exec_lo, s13
.LBB230_2770:                           ;   in Loop: Header=BB230_1564 Depth=1
	s_or_b32 exec_lo, exec_lo, s7
	v_mov_b32_e32 v20, 0
	v_mov_b32_e32 v22, 0
	v_and_b32_sdwa v8, v33, v44 dst_sel:DWORD dst_unused:UNUSED_PAD src0_sel:WORD_1 src1_sel:DWORD
	v_mov_b32_e32 v21, 0
	v_mov_b32_e32 v23, 0
	s_mov_b32 s7, exec_lo
	v_cmpx_ne_u16_e32 0, v8
	s_cbranch_execz .LBB230_2778
; %bb.2771:                             ;   in Loop: Header=BB230_1564 Depth=1
	v_bfrev_b32_e32 v22, 1
	v_mov_b32_e32 v23, 0
	s_mov_b32 s13, exec_lo
	v_cmpx_ne_u16_e32 0x80, v8
	s_cbranch_execz .LBB230_2777
; %bb.2772:                             ;   in Loop: Header=BB230_1564 Depth=1
	v_mov_b32_e32 v22, 0x7f800001
	v_bfe_u32 v12, v33, 16, 7
	v_mov_b32_e32 v23, 0
	s_mov_b32 s15, exec_lo
	v_cmpx_ne_u32_e32 0x7f, v12
	s_cbranch_execz .LBB230_2776
; %bb.2773:                             ;   in Loop: Header=BB230_1564 Depth=1
	v_mov_b32_e32 v8, 7
	v_lshrrev_b32_e32 v10, 3, v12
	s_mov_b32 s18, exec_lo
	v_and_b32_sdwa v8, v33, v8 dst_sel:DWORD dst_unused:UNUSED_PAD src0_sel:WORD_1 src1_sel:DWORD
	v_mov_b32_e32 v23, v9
	v_mov_b32_e32 v22, v8
	v_cmpx_gt_u32_e32 8, v12
; %bb.2774:                             ;   in Loop: Header=BB230_1564 Depth=1
	v_ffbh_u32_e32 v10, v8
	v_min_u32_e32 v10, 32, v10
	v_subrev_nc_u32_e32 v12, 28, v10
	v_sub_nc_u32_e32 v10, 29, v10
	v_lshlrev_b64 v[22:23], v12, v[8:9]
	v_and_b32_e32 v22, 7, v22
; %bb.2775:                             ;   in Loop: Header=BB230_1564 Depth=1
	s_or_b32 exec_lo, exec_lo, s18
	v_mov_b32_e32 v8, 24
	v_lshlrev_b32_e32 v12, 20, v22
	v_lshl_add_u32 v10, v10, 23, 0x3c000000
	v_lshlrev_b32_sdwa v8, v8, v33 dst_sel:DWORD dst_unused:UNUSED_PAD src0_sel:DWORD src1_sel:WORD_1
	v_and_b32_e32 v8, 0x80000000, v8
	v_or3_b32 v8, v12, v8, v10
	v_mov_b32_e32 v23, v9
	v_mov_b32_e32 v22, v8
.LBB230_2776:                           ;   in Loop: Header=BB230_1564 Depth=1
	s_or_b32 exec_lo, exec_lo, s15
.LBB230_2777:                           ;   in Loop: Header=BB230_1564 Depth=1
	s_or_b32 exec_lo, exec_lo, s13
.LBB230_2778:                           ;   in Loop: Header=BB230_1564 Depth=1
	s_or_b32 exec_lo, exec_lo, s7
	s_mov_b32 s7, exec_lo
	v_cmpx_lt_u32_e32 0xffffff, v33
	s_cbranch_execz .LBB230_2786
; %bb.2779:                             ;   in Loop: Header=BB230_1564 Depth=1
	v_mov_b32_e32 v104, v9
	v_cmp_ne_u32_sdwa s4, v33, v42 src0_sel:BYTE_3 src1_sel:DWORD
	v_mov_b32_e32 v20, v104
	v_mov_b32_e32 v21, v105
	s_and_saveexec_b32 s13, s4
	s_cbranch_execz .LBB230_2785
; %bb.2780:                             ;   in Loop: Header=BB230_1564 Depth=1
	v_mov_b32_e32 v12, v9
	v_mov_b32_e32 v21, v13
	v_bfe_u32 v34, v33, 24, 7
	s_mov_b32 s15, exec_lo
	v_mov_b32_e32 v20, v12
	v_cmpx_ne_u32_e32 0x7f, v34
	s_cbranch_execz .LBB230_2784
; %bb.2781:                             ;   in Loop: Header=BB230_1564 Depth=1
	v_mov_b32_e32 v8, 7
	v_lshrrev_b32_e32 v10, 3, v34
	s_mov_b32 s18, exec_lo
	v_and_b32_sdwa v8, v33, v8 dst_sel:DWORD dst_unused:UNUSED_PAD src0_sel:BYTE_3 src1_sel:DWORD
	v_mov_b32_e32 v21, v9
	v_mov_b32_e32 v20, v8
	v_cmpx_gt_u32_e32 8, v34
; %bb.2782:                             ;   in Loop: Header=BB230_1564 Depth=1
	v_ffbh_u32_e32 v10, v8
	v_min_u32_e32 v10, 32, v10
	v_subrev_nc_u32_e32 v12, 28, v10
	v_sub_nc_u32_e32 v10, 29, v10
	v_lshlrev_b64 v[20:21], v12, v[8:9]
	v_and_b32_e32 v20, 7, v20
; %bb.2783:                             ;   in Loop: Header=BB230_1564 Depth=1
	s_or_b32 exec_lo, exec_lo, s18
	v_mov_b32_e32 v8, 24
	v_lshlrev_b32_e32 v12, 20, v20
	v_lshl_add_u32 v10, v10, 23, 0x3c000000
	v_mov_b32_e32 v20, v9
	v_lshlrev_b32_sdwa v8, v8, v33 dst_sel:DWORD dst_unused:UNUSED_PAD src0_sel:DWORD src1_sel:BYTE_3
	v_and_b32_e32 v8, 0x80000000, v8
	v_or3_b32 v21, v12, v8, v10
.LBB230_2784:                           ;   in Loop: Header=BB230_1564 Depth=1
	s_or_b32 exec_lo, exec_lo, s15
.LBB230_2785:                           ;   in Loop: Header=BB230_1564 Depth=1
	s_or_b32 exec_lo, exec_lo, s13
.LBB230_2786:                           ;   in Loop: Header=BB230_1564 Depth=1
	s_or_b32 exec_lo, exec_lo, s7
	v_or_b32_e32 v8, v19, v17
	v_or_b32_e32 v10, v18, v16
	;; [unrolled: 1-line block ×4, first 2 shown]
	v_mul_f32_e32 v33, v59, v8
	v_mul_f32_e32 v92, v41, v10
	;; [unrolled: 1-line block ×4, first 2 shown]
	s_and_saveexec_b32 s7, vcc_lo
	s_cbranch_execz .LBB230_2788
; %bb.2787:                             ;   in Loop: Header=BB230_1564 Depth=1
	v_cmp_lt_i32_e64 s4, v93, v73
	v_cndmask_b32_e64 v92, 0, v92, s4
	v_cmp_lt_i32_e64 s4, v95, v73
	v_cndmask_b32_e64 v33, 0, v33, s4
	;; [unrolled: 2-line block ×4, first 2 shown]
.LBB230_2788:                           ;   in Loop: Header=BB230_1564 Depth=1
	s_or_b32 exec_lo, exec_lo, s7
	flat_load_dword v34, v[0:1] offset:512
	v_mov_b32_e32 v18, 0
	v_mov_b32_e32 v16, 0
	;; [unrolled: 1-line block ×4, first 2 shown]
	s_waitcnt vmcnt(0) lgkmcnt(0)
	v_cmp_ne_u16_sdwa s4, v34, v9 src0_sel:BYTE_0 src1_sel:DWORD
	s_and_saveexec_b32 s7, s4
	s_cbranch_execz .LBB230_2796
; %bb.2789:                             ;   in Loop: Header=BB230_1564 Depth=1
	v_bfrev_b32_e32 v16, 1
	v_mov_b32_e32 v17, 0
	v_cmp_ne_u16_sdwa s4, v34, v42 src0_sel:BYTE_0 src1_sel:DWORD
	s_and_saveexec_b32 s13, s4
	s_cbranch_execz .LBB230_2795
; %bb.2790:                             ;   in Loop: Header=BB230_1564 Depth=1
	v_mov_b32_e32 v16, 0x7f800001
	v_and_b32_e32 v12, 0x7f, v34
	v_mov_b32_e32 v17, 0
	s_mov_b32 s15, exec_lo
	v_cmpx_ne_u32_e32 0x7f, v12
	s_cbranch_execz .LBB230_2794
; %bb.2791:                             ;   in Loop: Header=BB230_1564 Depth=1
	v_and_b32_e32 v8, 7, v34
	v_mov_b32_e32 v17, v9
	v_lshrrev_b32_e32 v10, 3, v12
	s_mov_b32 s18, exec_lo
	v_mov_b32_e32 v16, v8
	v_cmpx_gt_u32_e32 8, v12
; %bb.2792:                             ;   in Loop: Header=BB230_1564 Depth=1
	v_ffbh_u32_e32 v10, v8
	v_min_u32_e32 v10, 32, v10
	v_subrev_nc_u32_e32 v12, 28, v10
	v_sub_nc_u32_e32 v10, 29, v10
	v_lshlrev_b64 v[16:17], v12, v[8:9]
	v_and_b32_e32 v16, 7, v16
; %bb.2793:                             ;   in Loop: Header=BB230_1564 Depth=1
	s_or_b32 exec_lo, exec_lo, s18
	v_lshlrev_b32_e32 v8, 24, v34
	v_lshlrev_b32_e32 v12, 20, v16
	v_lshl_add_u32 v10, v10, 23, 0x3c000000
	v_and_b32_e32 v8, 0x80000000, v8
	v_or3_b32 v8, v12, v8, v10
	v_mov_b32_e32 v17, v9
	v_mov_b32_e32 v16, v8
.LBB230_2794:                           ;   in Loop: Header=BB230_1564 Depth=1
	s_or_b32 exec_lo, exec_lo, s15
.LBB230_2795:                           ;   in Loop: Header=BB230_1564 Depth=1
	s_or_b32 exec_lo, exec_lo, s13
.LBB230_2796:                           ;   in Loop: Header=BB230_1564 Depth=1
	s_or_b32 exec_lo, exec_lo, s7
	v_cmp_ne_u16_sdwa s4, v34, v9 src0_sel:BYTE_1 src1_sel:DWORD
	s_and_saveexec_b32 s7, s4
	s_cbranch_execz .LBB230_2804
; %bb.2797:                             ;   in Loop: Header=BB230_1564 Depth=1
	v_mov_b32_e32 v104, v9
	v_cmp_ne_u16_sdwa s4, v34, v42 src0_sel:BYTE_1 src1_sel:DWORD
	v_mov_b32_e32 v18, v104
	v_mov_b32_e32 v19, v105
	s_and_saveexec_b32 s13, s4
	s_cbranch_execz .LBB230_2803
; %bb.2798:                             ;   in Loop: Header=BB230_1564 Depth=1
	v_mov_b32_e32 v8, 0xffff
	v_mov_b32_e32 v12, v9
	;; [unrolled: 1-line block ×3, first 2 shown]
	s_mov_b32 s15, exec_lo
	v_and_b32_sdwa v8, v8, v34 dst_sel:DWORD dst_unused:UNUSED_PAD src0_sel:DWORD src1_sel:BYTE_1
	v_mov_b32_e32 v18, v12
	v_and_b32_e32 v20, 0x7f, v8
	v_cmpx_ne_u32_e32 0x7f, v20
	s_cbranch_execz .LBB230_2802
; %bb.2799:                             ;   in Loop: Header=BB230_1564 Depth=1
	v_and_b32_e32 v8, 7, v8
	v_mov_b32_e32 v19, v9
	v_lshrrev_b32_e32 v10, 3, v20
	s_mov_b32 s18, exec_lo
	v_mov_b32_e32 v18, v8
	v_cmpx_gt_u32_e32 8, v20
; %bb.2800:                             ;   in Loop: Header=BB230_1564 Depth=1
	v_ffbh_u32_e32 v10, v8
	v_min_u32_e32 v10, 32, v10
	v_subrev_nc_u32_e32 v12, 28, v10
	v_sub_nc_u32_e32 v10, 29, v10
	v_lshlrev_b64 v[18:19], v12, v[8:9]
	v_and_b32_e32 v18, 7, v18
; %bb.2801:                             ;   in Loop: Header=BB230_1564 Depth=1
	s_or_b32 exec_lo, exec_lo, s18
	v_lshlrev_b32_e32 v8, 16, v34
	v_lshlrev_b32_e32 v12, 20, v18
	v_lshl_add_u32 v10, v10, 23, 0x3c000000
	v_mov_b32_e32 v18, v9
	v_and_b32_e32 v8, 0x80000000, v8
	v_or3_b32 v19, v12, v8, v10
.LBB230_2802:                           ;   in Loop: Header=BB230_1564 Depth=1
	s_or_b32 exec_lo, exec_lo, s15
.LBB230_2803:                           ;   in Loop: Header=BB230_1564 Depth=1
	s_or_b32 exec_lo, exec_lo, s13
.LBB230_2804:                           ;   in Loop: Header=BB230_1564 Depth=1
	s_or_b32 exec_lo, exec_lo, s7
	v_mov_b32_e32 v20, 0
	v_mov_b32_e32 v22, 0
	v_and_b32_sdwa v8, v34, v44 dst_sel:DWORD dst_unused:UNUSED_PAD src0_sel:WORD_1 src1_sel:DWORD
	v_mov_b32_e32 v21, 0
	v_mov_b32_e32 v23, 0
	s_mov_b32 s7, exec_lo
	v_cmpx_ne_u16_e32 0, v8
	s_cbranch_execz .LBB230_2812
; %bb.2805:                             ;   in Loop: Header=BB230_1564 Depth=1
	v_bfrev_b32_e32 v22, 1
	v_mov_b32_e32 v23, 0
	s_mov_b32 s13, exec_lo
	v_cmpx_ne_u16_e32 0x80, v8
	s_cbranch_execz .LBB230_2811
; %bb.2806:                             ;   in Loop: Header=BB230_1564 Depth=1
	v_mov_b32_e32 v22, 0x7f800001
	v_bfe_u32 v12, v34, 16, 7
	v_mov_b32_e32 v23, 0
	s_mov_b32 s15, exec_lo
	v_cmpx_ne_u32_e32 0x7f, v12
	s_cbranch_execz .LBB230_2810
; %bb.2807:                             ;   in Loop: Header=BB230_1564 Depth=1
	v_mov_b32_e32 v8, 7
	v_lshrrev_b32_e32 v10, 3, v12
	s_mov_b32 s18, exec_lo
	v_and_b32_sdwa v8, v34, v8 dst_sel:DWORD dst_unused:UNUSED_PAD src0_sel:WORD_1 src1_sel:DWORD
	v_mov_b32_e32 v23, v9
	v_mov_b32_e32 v22, v8
	v_cmpx_gt_u32_e32 8, v12
; %bb.2808:                             ;   in Loop: Header=BB230_1564 Depth=1
	v_ffbh_u32_e32 v10, v8
	v_min_u32_e32 v10, 32, v10
	v_subrev_nc_u32_e32 v12, 28, v10
	v_sub_nc_u32_e32 v10, 29, v10
	v_lshlrev_b64 v[22:23], v12, v[8:9]
	v_and_b32_e32 v22, 7, v22
; %bb.2809:                             ;   in Loop: Header=BB230_1564 Depth=1
	s_or_b32 exec_lo, exec_lo, s18
	v_mov_b32_e32 v8, 24
	v_lshlrev_b32_e32 v12, 20, v22
	v_lshl_add_u32 v10, v10, 23, 0x3c000000
	v_lshlrev_b32_sdwa v8, v8, v34 dst_sel:DWORD dst_unused:UNUSED_PAD src0_sel:DWORD src1_sel:WORD_1
	v_and_b32_e32 v8, 0x80000000, v8
	v_or3_b32 v8, v12, v8, v10
	v_mov_b32_e32 v23, v9
	v_mov_b32_e32 v22, v8
.LBB230_2810:                           ;   in Loop: Header=BB230_1564 Depth=1
	s_or_b32 exec_lo, exec_lo, s15
.LBB230_2811:                           ;   in Loop: Header=BB230_1564 Depth=1
	s_or_b32 exec_lo, exec_lo, s13
.LBB230_2812:                           ;   in Loop: Header=BB230_1564 Depth=1
	s_or_b32 exec_lo, exec_lo, s7
	s_mov_b32 s7, exec_lo
	v_cmpx_lt_u32_e32 0xffffff, v34
	s_cbranch_execz .LBB230_2820
; %bb.2813:                             ;   in Loop: Header=BB230_1564 Depth=1
	v_mov_b32_e32 v104, v9
	v_cmp_ne_u32_sdwa s4, v34, v42 src0_sel:BYTE_3 src1_sel:DWORD
	v_mov_b32_e32 v20, v104
	v_mov_b32_e32 v21, v105
	s_and_saveexec_b32 s13, s4
	s_cbranch_execz .LBB230_2819
; %bb.2814:                             ;   in Loop: Header=BB230_1564 Depth=1
	v_mov_b32_e32 v12, v9
	v_mov_b32_e32 v21, v13
	v_bfe_u32 v35, v34, 24, 7
	s_mov_b32 s15, exec_lo
	v_mov_b32_e32 v20, v12
	v_cmpx_ne_u32_e32 0x7f, v35
	s_cbranch_execz .LBB230_2818
; %bb.2815:                             ;   in Loop: Header=BB230_1564 Depth=1
	v_mov_b32_e32 v8, 7
	v_lshrrev_b32_e32 v10, 3, v35
	s_mov_b32 s18, exec_lo
	v_and_b32_sdwa v8, v34, v8 dst_sel:DWORD dst_unused:UNUSED_PAD src0_sel:BYTE_3 src1_sel:DWORD
	v_mov_b32_e32 v21, v9
	v_mov_b32_e32 v20, v8
	v_cmpx_gt_u32_e32 8, v35
; %bb.2816:                             ;   in Loop: Header=BB230_1564 Depth=1
	v_ffbh_u32_e32 v10, v8
	v_min_u32_e32 v10, 32, v10
	v_subrev_nc_u32_e32 v12, 28, v10
	v_sub_nc_u32_e32 v10, 29, v10
	v_lshlrev_b64 v[20:21], v12, v[8:9]
	v_and_b32_e32 v20, 7, v20
; %bb.2817:                             ;   in Loop: Header=BB230_1564 Depth=1
	s_or_b32 exec_lo, exec_lo, s18
	v_mov_b32_e32 v8, 24
	v_lshlrev_b32_e32 v12, 20, v20
	v_lshl_add_u32 v10, v10, 23, 0x3c000000
	v_mov_b32_e32 v20, v9
	v_lshlrev_b32_sdwa v8, v8, v34 dst_sel:DWORD dst_unused:UNUSED_PAD src0_sel:DWORD src1_sel:BYTE_3
	v_and_b32_e32 v8, 0x80000000, v8
	v_or3_b32 v21, v12, v8, v10
.LBB230_2818:                           ;   in Loop: Header=BB230_1564 Depth=1
	s_or_b32 exec_lo, exec_lo, s15
.LBB230_2819:                           ;   in Loop: Header=BB230_1564 Depth=1
	s_or_b32 exec_lo, exec_lo, s13
.LBB230_2820:                           ;   in Loop: Header=BB230_1564 Depth=1
	s_or_b32 exec_lo, exec_lo, s7
	v_or_b32_e32 v8, v19, v17
	v_or_b32_e32 v10, v18, v16
	;; [unrolled: 1-line block ×4, first 2 shown]
	v_mul_f32_e32 v37, v59, v8
	v_mul_f32_e32 v36, v41, v10
	;; [unrolled: 1-line block ×4, first 2 shown]
	s_and_saveexec_b32 s7, vcc_lo
	s_cbranch_execz .LBB230_2822
; %bb.2821:                             ;   in Loop: Header=BB230_1564 Depth=1
	v_cmp_lt_i32_e64 s4, v93, v73
	v_cndmask_b32_e64 v36, 0, v36, s4
	v_cmp_lt_i32_e64 s4, v95, v73
	v_cndmask_b32_e64 v37, 0, v37, s4
	;; [unrolled: 2-line block ×4, first 2 shown]
.LBB230_2822:                           ;   in Loop: Header=BB230_1564 Depth=1
	s_or_b32 exec_lo, exec_lo, s7
	flat_load_dword v38, v[0:1] offset:640
	v_mov_b32_e32 v18, 0
	v_mov_b32_e32 v16, 0
	;; [unrolled: 1-line block ×4, first 2 shown]
	s_waitcnt vmcnt(0) lgkmcnt(0)
	v_cmp_ne_u16_sdwa s4, v38, v9 src0_sel:BYTE_0 src1_sel:DWORD
	s_and_saveexec_b32 s7, s4
	s_cbranch_execz .LBB230_2830
; %bb.2823:                             ;   in Loop: Header=BB230_1564 Depth=1
	v_bfrev_b32_e32 v16, 1
	v_mov_b32_e32 v17, 0
	v_cmp_ne_u16_sdwa s4, v38, v42 src0_sel:BYTE_0 src1_sel:DWORD
	s_and_saveexec_b32 s13, s4
	s_cbranch_execz .LBB230_2829
; %bb.2824:                             ;   in Loop: Header=BB230_1564 Depth=1
	v_mov_b32_e32 v16, 0x7f800001
	v_and_b32_e32 v12, 0x7f, v38
	v_mov_b32_e32 v17, 0
	s_mov_b32 s15, exec_lo
	v_cmpx_ne_u32_e32 0x7f, v12
	s_cbranch_execz .LBB230_2828
; %bb.2825:                             ;   in Loop: Header=BB230_1564 Depth=1
	v_and_b32_e32 v8, 7, v38
	v_mov_b32_e32 v17, v9
	v_lshrrev_b32_e32 v10, 3, v12
	s_mov_b32 s18, exec_lo
	v_mov_b32_e32 v16, v8
	v_cmpx_gt_u32_e32 8, v12
; %bb.2826:                             ;   in Loop: Header=BB230_1564 Depth=1
	v_ffbh_u32_e32 v10, v8
	v_min_u32_e32 v10, 32, v10
	v_subrev_nc_u32_e32 v12, 28, v10
	v_sub_nc_u32_e32 v10, 29, v10
	v_lshlrev_b64 v[16:17], v12, v[8:9]
	v_and_b32_e32 v16, 7, v16
; %bb.2827:                             ;   in Loop: Header=BB230_1564 Depth=1
	s_or_b32 exec_lo, exec_lo, s18
	v_lshlrev_b32_e32 v8, 24, v38
	v_lshlrev_b32_e32 v12, 20, v16
	v_lshl_add_u32 v10, v10, 23, 0x3c000000
	v_and_b32_e32 v8, 0x80000000, v8
	v_or3_b32 v8, v12, v8, v10
	v_mov_b32_e32 v17, v9
	v_mov_b32_e32 v16, v8
.LBB230_2828:                           ;   in Loop: Header=BB230_1564 Depth=1
	s_or_b32 exec_lo, exec_lo, s15
.LBB230_2829:                           ;   in Loop: Header=BB230_1564 Depth=1
	s_or_b32 exec_lo, exec_lo, s13
.LBB230_2830:                           ;   in Loop: Header=BB230_1564 Depth=1
	s_or_b32 exec_lo, exec_lo, s7
	v_cmp_ne_u16_sdwa s4, v38, v9 src0_sel:BYTE_1 src1_sel:DWORD
	s_and_saveexec_b32 s7, s4
	s_cbranch_execz .LBB230_2838
; %bb.2831:                             ;   in Loop: Header=BB230_1564 Depth=1
	v_mov_b32_e32 v104, v9
	v_cmp_ne_u16_sdwa s4, v38, v42 src0_sel:BYTE_1 src1_sel:DWORD
	v_mov_b32_e32 v18, v104
	v_mov_b32_e32 v19, v105
	s_and_saveexec_b32 s13, s4
	s_cbranch_execz .LBB230_2837
; %bb.2832:                             ;   in Loop: Header=BB230_1564 Depth=1
	v_mov_b32_e32 v8, 0xffff
	v_mov_b32_e32 v12, v9
	;; [unrolled: 1-line block ×3, first 2 shown]
	s_mov_b32 s15, exec_lo
	v_and_b32_sdwa v8, v8, v38 dst_sel:DWORD dst_unused:UNUSED_PAD src0_sel:DWORD src1_sel:BYTE_1
	v_mov_b32_e32 v18, v12
	v_and_b32_e32 v20, 0x7f, v8
	v_cmpx_ne_u32_e32 0x7f, v20
	s_cbranch_execz .LBB230_2836
; %bb.2833:                             ;   in Loop: Header=BB230_1564 Depth=1
	v_and_b32_e32 v8, 7, v8
	v_mov_b32_e32 v19, v9
	v_lshrrev_b32_e32 v10, 3, v20
	s_mov_b32 s18, exec_lo
	v_mov_b32_e32 v18, v8
	v_cmpx_gt_u32_e32 8, v20
; %bb.2834:                             ;   in Loop: Header=BB230_1564 Depth=1
	v_ffbh_u32_e32 v10, v8
	v_min_u32_e32 v10, 32, v10
	v_subrev_nc_u32_e32 v12, 28, v10
	v_sub_nc_u32_e32 v10, 29, v10
	v_lshlrev_b64 v[18:19], v12, v[8:9]
	v_and_b32_e32 v18, 7, v18
; %bb.2835:                             ;   in Loop: Header=BB230_1564 Depth=1
	s_or_b32 exec_lo, exec_lo, s18
	v_lshlrev_b32_e32 v8, 16, v38
	v_lshlrev_b32_e32 v12, 20, v18
	v_lshl_add_u32 v10, v10, 23, 0x3c000000
	v_mov_b32_e32 v18, v9
	v_and_b32_e32 v8, 0x80000000, v8
	v_or3_b32 v19, v12, v8, v10
.LBB230_2836:                           ;   in Loop: Header=BB230_1564 Depth=1
	s_or_b32 exec_lo, exec_lo, s15
.LBB230_2837:                           ;   in Loop: Header=BB230_1564 Depth=1
	s_or_b32 exec_lo, exec_lo, s13
.LBB230_2838:                           ;   in Loop: Header=BB230_1564 Depth=1
	s_or_b32 exec_lo, exec_lo, s7
	v_mov_b32_e32 v20, 0
	v_mov_b32_e32 v22, 0
	v_and_b32_sdwa v8, v38, v44 dst_sel:DWORD dst_unused:UNUSED_PAD src0_sel:WORD_1 src1_sel:DWORD
	v_mov_b32_e32 v21, 0
	v_mov_b32_e32 v23, 0
	s_mov_b32 s7, exec_lo
	v_cmpx_ne_u16_e32 0, v8
	s_cbranch_execz .LBB230_2846
; %bb.2839:                             ;   in Loop: Header=BB230_1564 Depth=1
	v_bfrev_b32_e32 v22, 1
	v_mov_b32_e32 v23, 0
	s_mov_b32 s13, exec_lo
	v_cmpx_ne_u16_e32 0x80, v8
	s_cbranch_execz .LBB230_2845
; %bb.2840:                             ;   in Loop: Header=BB230_1564 Depth=1
	v_mov_b32_e32 v22, 0x7f800001
	v_bfe_u32 v12, v38, 16, 7
	v_mov_b32_e32 v23, 0
	s_mov_b32 s15, exec_lo
	v_cmpx_ne_u32_e32 0x7f, v12
	s_cbranch_execz .LBB230_2844
; %bb.2841:                             ;   in Loop: Header=BB230_1564 Depth=1
	v_mov_b32_e32 v8, 7
	v_lshrrev_b32_e32 v10, 3, v12
	s_mov_b32 s18, exec_lo
	v_and_b32_sdwa v8, v38, v8 dst_sel:DWORD dst_unused:UNUSED_PAD src0_sel:WORD_1 src1_sel:DWORD
	v_mov_b32_e32 v23, v9
	v_mov_b32_e32 v22, v8
	v_cmpx_gt_u32_e32 8, v12
; %bb.2842:                             ;   in Loop: Header=BB230_1564 Depth=1
	v_ffbh_u32_e32 v10, v8
	v_min_u32_e32 v10, 32, v10
	v_subrev_nc_u32_e32 v12, 28, v10
	v_sub_nc_u32_e32 v10, 29, v10
	v_lshlrev_b64 v[22:23], v12, v[8:9]
	v_and_b32_e32 v22, 7, v22
; %bb.2843:                             ;   in Loop: Header=BB230_1564 Depth=1
	s_or_b32 exec_lo, exec_lo, s18
	v_mov_b32_e32 v8, 24
	v_lshlrev_b32_e32 v12, 20, v22
	v_lshl_add_u32 v10, v10, 23, 0x3c000000
	v_lshlrev_b32_sdwa v8, v8, v38 dst_sel:DWORD dst_unused:UNUSED_PAD src0_sel:DWORD src1_sel:WORD_1
	v_and_b32_e32 v8, 0x80000000, v8
	v_or3_b32 v8, v12, v8, v10
	v_mov_b32_e32 v23, v9
	v_mov_b32_e32 v22, v8
.LBB230_2844:                           ;   in Loop: Header=BB230_1564 Depth=1
	s_or_b32 exec_lo, exec_lo, s15
.LBB230_2845:                           ;   in Loop: Header=BB230_1564 Depth=1
	s_or_b32 exec_lo, exec_lo, s13
.LBB230_2846:                           ;   in Loop: Header=BB230_1564 Depth=1
	s_or_b32 exec_lo, exec_lo, s7
	s_mov_b32 s7, exec_lo
	v_cmpx_lt_u32_e32 0xffffff, v38
	s_cbranch_execz .LBB230_2854
; %bb.2847:                             ;   in Loop: Header=BB230_1564 Depth=1
	v_mov_b32_e32 v104, v9
	v_cmp_ne_u32_sdwa s4, v38, v42 src0_sel:BYTE_3 src1_sel:DWORD
	v_mov_b32_e32 v20, v104
	v_mov_b32_e32 v21, v105
	s_and_saveexec_b32 s13, s4
	s_cbranch_execz .LBB230_2853
; %bb.2848:                             ;   in Loop: Header=BB230_1564 Depth=1
	v_mov_b32_e32 v12, v9
	v_mov_b32_e32 v21, v13
	v_bfe_u32 v39, v38, 24, 7
	s_mov_b32 s15, exec_lo
	v_mov_b32_e32 v20, v12
	v_cmpx_ne_u32_e32 0x7f, v39
	s_cbranch_execz .LBB230_2852
; %bb.2849:                             ;   in Loop: Header=BB230_1564 Depth=1
	v_mov_b32_e32 v8, 7
	v_lshrrev_b32_e32 v10, 3, v39
	s_mov_b32 s18, exec_lo
	v_and_b32_sdwa v8, v38, v8 dst_sel:DWORD dst_unused:UNUSED_PAD src0_sel:BYTE_3 src1_sel:DWORD
	v_mov_b32_e32 v21, v9
	v_mov_b32_e32 v20, v8
	v_cmpx_gt_u32_e32 8, v39
; %bb.2850:                             ;   in Loop: Header=BB230_1564 Depth=1
	v_ffbh_u32_e32 v10, v8
	v_min_u32_e32 v10, 32, v10
	v_subrev_nc_u32_e32 v12, 28, v10
	v_sub_nc_u32_e32 v10, 29, v10
	v_lshlrev_b64 v[20:21], v12, v[8:9]
	v_and_b32_e32 v20, 7, v20
; %bb.2851:                             ;   in Loop: Header=BB230_1564 Depth=1
	s_or_b32 exec_lo, exec_lo, s18
	v_mov_b32_e32 v8, 24
	v_lshlrev_b32_e32 v12, 20, v20
	v_lshl_add_u32 v10, v10, 23, 0x3c000000
	v_mov_b32_e32 v20, v9
	v_lshlrev_b32_sdwa v8, v8, v38 dst_sel:DWORD dst_unused:UNUSED_PAD src0_sel:DWORD src1_sel:BYTE_3
	v_and_b32_e32 v8, 0x80000000, v8
	v_or3_b32 v21, v12, v8, v10
.LBB230_2852:                           ;   in Loop: Header=BB230_1564 Depth=1
	s_or_b32 exec_lo, exec_lo, s15
.LBB230_2853:                           ;   in Loop: Header=BB230_1564 Depth=1
	s_or_b32 exec_lo, exec_lo, s13
.LBB230_2854:                           ;   in Loop: Header=BB230_1564 Depth=1
	s_or_b32 exec_lo, exec_lo, s7
	v_or_b32_e32 v8, v19, v17
	v_or_b32_e32 v10, v18, v16
	;; [unrolled: 1-line block ×4, first 2 shown]
	v_mul_f32_e32 v49, v59, v8
	v_mul_f32_e32 v48, v41, v10
	;; [unrolled: 1-line block ×4, first 2 shown]
	s_and_saveexec_b32 s7, vcc_lo
	s_cbranch_execz .LBB230_2856
; %bb.2855:                             ;   in Loop: Header=BB230_1564 Depth=1
	v_cmp_lt_i32_e64 s4, v93, v73
	v_cndmask_b32_e64 v48, 0, v48, s4
	v_cmp_lt_i32_e64 s4, v95, v73
	v_cndmask_b32_e64 v49, 0, v49, s4
	;; [unrolled: 2-line block ×4, first 2 shown]
.LBB230_2856:                           ;   in Loop: Header=BB230_1564 Depth=1
	s_or_b32 exec_lo, exec_lo, s7
	flat_load_dword v50, v[0:1] offset:768
	v_mov_b32_e32 v18, 0
	v_mov_b32_e32 v16, 0
	;; [unrolled: 1-line block ×4, first 2 shown]
	s_waitcnt vmcnt(0) lgkmcnt(0)
	v_cmp_ne_u16_sdwa s4, v50, v9 src0_sel:BYTE_0 src1_sel:DWORD
	s_and_saveexec_b32 s7, s4
	s_cbranch_execz .LBB230_2864
; %bb.2857:                             ;   in Loop: Header=BB230_1564 Depth=1
	v_bfrev_b32_e32 v16, 1
	v_mov_b32_e32 v17, 0
	v_cmp_ne_u16_sdwa s4, v50, v42 src0_sel:BYTE_0 src1_sel:DWORD
	s_and_saveexec_b32 s13, s4
	s_cbranch_execz .LBB230_2863
; %bb.2858:                             ;   in Loop: Header=BB230_1564 Depth=1
	v_mov_b32_e32 v16, 0x7f800001
	v_and_b32_e32 v12, 0x7f, v50
	v_mov_b32_e32 v17, 0
	s_mov_b32 s15, exec_lo
	v_cmpx_ne_u32_e32 0x7f, v12
	s_cbranch_execz .LBB230_2862
; %bb.2859:                             ;   in Loop: Header=BB230_1564 Depth=1
	v_and_b32_e32 v8, 7, v50
	v_mov_b32_e32 v17, v9
	v_lshrrev_b32_e32 v10, 3, v12
	s_mov_b32 s18, exec_lo
	v_mov_b32_e32 v16, v8
	v_cmpx_gt_u32_e32 8, v12
; %bb.2860:                             ;   in Loop: Header=BB230_1564 Depth=1
	v_ffbh_u32_e32 v10, v8
	v_min_u32_e32 v10, 32, v10
	v_subrev_nc_u32_e32 v12, 28, v10
	v_sub_nc_u32_e32 v10, 29, v10
	v_lshlrev_b64 v[16:17], v12, v[8:9]
	v_and_b32_e32 v16, 7, v16
; %bb.2861:                             ;   in Loop: Header=BB230_1564 Depth=1
	s_or_b32 exec_lo, exec_lo, s18
	v_lshlrev_b32_e32 v8, 24, v50
	v_lshlrev_b32_e32 v12, 20, v16
	v_lshl_add_u32 v10, v10, 23, 0x3c000000
	v_and_b32_e32 v8, 0x80000000, v8
	v_or3_b32 v8, v12, v8, v10
	v_mov_b32_e32 v17, v9
	v_mov_b32_e32 v16, v8
.LBB230_2862:                           ;   in Loop: Header=BB230_1564 Depth=1
	s_or_b32 exec_lo, exec_lo, s15
.LBB230_2863:                           ;   in Loop: Header=BB230_1564 Depth=1
	s_or_b32 exec_lo, exec_lo, s13
.LBB230_2864:                           ;   in Loop: Header=BB230_1564 Depth=1
	s_or_b32 exec_lo, exec_lo, s7
	v_cmp_ne_u16_sdwa s4, v50, v9 src0_sel:BYTE_1 src1_sel:DWORD
	s_and_saveexec_b32 s7, s4
	s_cbranch_execz .LBB230_2872
; %bb.2865:                             ;   in Loop: Header=BB230_1564 Depth=1
	v_mov_b32_e32 v104, v9
	v_cmp_ne_u16_sdwa s4, v50, v42 src0_sel:BYTE_1 src1_sel:DWORD
	v_mov_b32_e32 v18, v104
	v_mov_b32_e32 v19, v105
	s_and_saveexec_b32 s13, s4
	s_cbranch_execz .LBB230_2871
; %bb.2866:                             ;   in Loop: Header=BB230_1564 Depth=1
	v_mov_b32_e32 v8, 0xffff
	v_mov_b32_e32 v12, v9
	;; [unrolled: 1-line block ×3, first 2 shown]
	s_mov_b32 s15, exec_lo
	v_and_b32_sdwa v8, v8, v50 dst_sel:DWORD dst_unused:UNUSED_PAD src0_sel:DWORD src1_sel:BYTE_1
	v_mov_b32_e32 v18, v12
	v_and_b32_e32 v20, 0x7f, v8
	v_cmpx_ne_u32_e32 0x7f, v20
	s_cbranch_execz .LBB230_2870
; %bb.2867:                             ;   in Loop: Header=BB230_1564 Depth=1
	v_and_b32_e32 v8, 7, v8
	v_mov_b32_e32 v19, v9
	v_lshrrev_b32_e32 v10, 3, v20
	s_mov_b32 s18, exec_lo
	v_mov_b32_e32 v18, v8
	v_cmpx_gt_u32_e32 8, v20
; %bb.2868:                             ;   in Loop: Header=BB230_1564 Depth=1
	v_ffbh_u32_e32 v10, v8
	v_min_u32_e32 v10, 32, v10
	v_subrev_nc_u32_e32 v12, 28, v10
	v_sub_nc_u32_e32 v10, 29, v10
	v_lshlrev_b64 v[18:19], v12, v[8:9]
	v_and_b32_e32 v18, 7, v18
; %bb.2869:                             ;   in Loop: Header=BB230_1564 Depth=1
	s_or_b32 exec_lo, exec_lo, s18
	v_lshlrev_b32_e32 v8, 16, v50
	v_lshlrev_b32_e32 v12, 20, v18
	v_lshl_add_u32 v10, v10, 23, 0x3c000000
	v_mov_b32_e32 v18, v9
	v_and_b32_e32 v8, 0x80000000, v8
	v_or3_b32 v19, v12, v8, v10
.LBB230_2870:                           ;   in Loop: Header=BB230_1564 Depth=1
	s_or_b32 exec_lo, exec_lo, s15
.LBB230_2871:                           ;   in Loop: Header=BB230_1564 Depth=1
	s_or_b32 exec_lo, exec_lo, s13
.LBB230_2872:                           ;   in Loop: Header=BB230_1564 Depth=1
	s_or_b32 exec_lo, exec_lo, s7
	v_mov_b32_e32 v20, 0
	v_mov_b32_e32 v22, 0
	v_and_b32_sdwa v8, v50, v44 dst_sel:DWORD dst_unused:UNUSED_PAD src0_sel:WORD_1 src1_sel:DWORD
	v_mov_b32_e32 v21, 0
	v_mov_b32_e32 v23, 0
	s_mov_b32 s7, exec_lo
	v_cmpx_ne_u16_e32 0, v8
	s_cbranch_execz .LBB230_2880
; %bb.2873:                             ;   in Loop: Header=BB230_1564 Depth=1
	v_bfrev_b32_e32 v22, 1
	v_mov_b32_e32 v23, 0
	s_mov_b32 s13, exec_lo
	v_cmpx_ne_u16_e32 0x80, v8
	s_cbranch_execz .LBB230_2879
; %bb.2874:                             ;   in Loop: Header=BB230_1564 Depth=1
	v_mov_b32_e32 v22, 0x7f800001
	v_bfe_u32 v12, v50, 16, 7
	v_mov_b32_e32 v23, 0
	s_mov_b32 s15, exec_lo
	v_cmpx_ne_u32_e32 0x7f, v12
	s_cbranch_execz .LBB230_2878
; %bb.2875:                             ;   in Loop: Header=BB230_1564 Depth=1
	v_mov_b32_e32 v8, 7
	v_lshrrev_b32_e32 v10, 3, v12
	s_mov_b32 s18, exec_lo
	v_and_b32_sdwa v8, v50, v8 dst_sel:DWORD dst_unused:UNUSED_PAD src0_sel:WORD_1 src1_sel:DWORD
	v_mov_b32_e32 v23, v9
	v_mov_b32_e32 v22, v8
	v_cmpx_gt_u32_e32 8, v12
; %bb.2876:                             ;   in Loop: Header=BB230_1564 Depth=1
	v_ffbh_u32_e32 v10, v8
	v_min_u32_e32 v10, 32, v10
	v_subrev_nc_u32_e32 v12, 28, v10
	v_sub_nc_u32_e32 v10, 29, v10
	v_lshlrev_b64 v[22:23], v12, v[8:9]
	v_and_b32_e32 v22, 7, v22
; %bb.2877:                             ;   in Loop: Header=BB230_1564 Depth=1
	s_or_b32 exec_lo, exec_lo, s18
	v_mov_b32_e32 v8, 24
	v_lshlrev_b32_e32 v12, 20, v22
	v_lshl_add_u32 v10, v10, 23, 0x3c000000
	v_lshlrev_b32_sdwa v8, v8, v50 dst_sel:DWORD dst_unused:UNUSED_PAD src0_sel:DWORD src1_sel:WORD_1
	v_and_b32_e32 v8, 0x80000000, v8
	v_or3_b32 v8, v12, v8, v10
	v_mov_b32_e32 v23, v9
	v_mov_b32_e32 v22, v8
.LBB230_2878:                           ;   in Loop: Header=BB230_1564 Depth=1
	s_or_b32 exec_lo, exec_lo, s15
.LBB230_2879:                           ;   in Loop: Header=BB230_1564 Depth=1
	s_or_b32 exec_lo, exec_lo, s13
.LBB230_2880:                           ;   in Loop: Header=BB230_1564 Depth=1
	s_or_b32 exec_lo, exec_lo, s7
	s_mov_b32 s7, exec_lo
	v_cmpx_lt_u32_e32 0xffffff, v50
	s_cbranch_execz .LBB230_2888
; %bb.2881:                             ;   in Loop: Header=BB230_1564 Depth=1
	v_mov_b32_e32 v104, v9
	v_cmp_ne_u32_sdwa s4, v50, v42 src0_sel:BYTE_3 src1_sel:DWORD
	v_mov_b32_e32 v20, v104
	v_mov_b32_e32 v21, v105
	s_and_saveexec_b32 s13, s4
	s_cbranch_execz .LBB230_2887
; %bb.2882:                             ;   in Loop: Header=BB230_1564 Depth=1
	v_mov_b32_e32 v12, v9
	v_mov_b32_e32 v21, v13
	v_bfe_u32 v51, v50, 24, 7
	s_mov_b32 s15, exec_lo
	v_mov_b32_e32 v20, v12
	v_cmpx_ne_u32_e32 0x7f, v51
	s_cbranch_execz .LBB230_2886
; %bb.2883:                             ;   in Loop: Header=BB230_1564 Depth=1
	v_mov_b32_e32 v8, 7
	v_lshrrev_b32_e32 v10, 3, v51
	s_mov_b32 s18, exec_lo
	v_and_b32_sdwa v8, v50, v8 dst_sel:DWORD dst_unused:UNUSED_PAD src0_sel:BYTE_3 src1_sel:DWORD
	v_mov_b32_e32 v21, v9
	v_mov_b32_e32 v20, v8
	v_cmpx_gt_u32_e32 8, v51
; %bb.2884:                             ;   in Loop: Header=BB230_1564 Depth=1
	v_ffbh_u32_e32 v10, v8
	v_min_u32_e32 v10, 32, v10
	v_subrev_nc_u32_e32 v12, 28, v10
	v_sub_nc_u32_e32 v10, 29, v10
	v_lshlrev_b64 v[20:21], v12, v[8:9]
	v_and_b32_e32 v20, 7, v20
; %bb.2885:                             ;   in Loop: Header=BB230_1564 Depth=1
	s_or_b32 exec_lo, exec_lo, s18
	v_mov_b32_e32 v8, 24
	v_lshlrev_b32_e32 v12, 20, v20
	v_lshl_add_u32 v10, v10, 23, 0x3c000000
	v_mov_b32_e32 v20, v9
	v_lshlrev_b32_sdwa v8, v8, v50 dst_sel:DWORD dst_unused:UNUSED_PAD src0_sel:DWORD src1_sel:BYTE_3
	v_and_b32_e32 v8, 0x80000000, v8
	v_or3_b32 v21, v12, v8, v10
.LBB230_2886:                           ;   in Loop: Header=BB230_1564 Depth=1
	s_or_b32 exec_lo, exec_lo, s15
.LBB230_2887:                           ;   in Loop: Header=BB230_1564 Depth=1
	s_or_b32 exec_lo, exec_lo, s13
.LBB230_2888:                           ;   in Loop: Header=BB230_1564 Depth=1
	s_or_b32 exec_lo, exec_lo, s7
	v_or_b32_e32 v8, v19, v17
	v_or_b32_e32 v10, v18, v16
	;; [unrolled: 1-line block ×4, first 2 shown]
	v_mul_f32_e32 v53, v59, v8
	v_mul_f32_e32 v52, v41, v10
	v_mul_f32_e32 v51, v41, v12
	v_mul_f32_e32 v50, v59, v16
	s_and_saveexec_b32 s7, vcc_lo
	s_cbranch_execz .LBB230_2890
; %bb.2889:                             ;   in Loop: Header=BB230_1564 Depth=1
	v_cmp_lt_i32_e64 s4, v93, v73
	v_cndmask_b32_e64 v52, 0, v52, s4
	v_cmp_lt_i32_e64 s4, v95, v73
	v_cndmask_b32_e64 v53, 0, v53, s4
	;; [unrolled: 2-line block ×4, first 2 shown]
.LBB230_2890:                           ;   in Loop: Header=BB230_1564 Depth=1
	s_or_b32 exec_lo, exec_lo, s7
	flat_load_dword v54, v[0:1] offset:896
	v_mov_b32_e32 v18, 0
	v_mov_b32_e32 v16, 0
	;; [unrolled: 1-line block ×4, first 2 shown]
	s_waitcnt vmcnt(0) lgkmcnt(0)
	v_cmp_ne_u16_sdwa s4, v54, v9 src0_sel:BYTE_0 src1_sel:DWORD
	s_and_saveexec_b32 s7, s4
	s_cbranch_execz .LBB230_2898
; %bb.2891:                             ;   in Loop: Header=BB230_1564 Depth=1
	v_bfrev_b32_e32 v16, 1
	v_mov_b32_e32 v17, 0
	v_cmp_ne_u16_sdwa s4, v54, v42 src0_sel:BYTE_0 src1_sel:DWORD
	s_and_saveexec_b32 s13, s4
	s_cbranch_execz .LBB230_2897
; %bb.2892:                             ;   in Loop: Header=BB230_1564 Depth=1
	v_mov_b32_e32 v16, 0x7f800001
	v_and_b32_e32 v12, 0x7f, v54
	v_mov_b32_e32 v17, 0
	s_mov_b32 s15, exec_lo
	v_cmpx_ne_u32_e32 0x7f, v12
	s_cbranch_execz .LBB230_2896
; %bb.2893:                             ;   in Loop: Header=BB230_1564 Depth=1
	v_and_b32_e32 v8, 7, v54
	v_mov_b32_e32 v17, v9
	v_lshrrev_b32_e32 v10, 3, v12
	s_mov_b32 s18, exec_lo
	v_mov_b32_e32 v16, v8
	v_cmpx_gt_u32_e32 8, v12
; %bb.2894:                             ;   in Loop: Header=BB230_1564 Depth=1
	v_ffbh_u32_e32 v10, v8
	v_min_u32_e32 v10, 32, v10
	v_subrev_nc_u32_e32 v12, 28, v10
	v_sub_nc_u32_e32 v10, 29, v10
	v_lshlrev_b64 v[16:17], v12, v[8:9]
	v_and_b32_e32 v16, 7, v16
; %bb.2895:                             ;   in Loop: Header=BB230_1564 Depth=1
	s_or_b32 exec_lo, exec_lo, s18
	v_lshlrev_b32_e32 v8, 24, v54
	v_lshlrev_b32_e32 v12, 20, v16
	v_lshl_add_u32 v10, v10, 23, 0x3c000000
	v_and_b32_e32 v8, 0x80000000, v8
	v_or3_b32 v8, v12, v8, v10
	v_mov_b32_e32 v17, v9
	v_mov_b32_e32 v16, v8
.LBB230_2896:                           ;   in Loop: Header=BB230_1564 Depth=1
	s_or_b32 exec_lo, exec_lo, s15
.LBB230_2897:                           ;   in Loop: Header=BB230_1564 Depth=1
	s_or_b32 exec_lo, exec_lo, s13
.LBB230_2898:                           ;   in Loop: Header=BB230_1564 Depth=1
	s_or_b32 exec_lo, exec_lo, s7
	v_cmp_ne_u16_sdwa s4, v54, v9 src0_sel:BYTE_1 src1_sel:DWORD
	s_and_saveexec_b32 s7, s4
	s_cbranch_execz .LBB230_2906
; %bb.2899:                             ;   in Loop: Header=BB230_1564 Depth=1
	v_mov_b32_e32 v104, v9
	v_cmp_ne_u16_sdwa s4, v54, v42 src0_sel:BYTE_1 src1_sel:DWORD
	v_mov_b32_e32 v18, v104
	v_mov_b32_e32 v19, v105
	s_and_saveexec_b32 s13, s4
	s_cbranch_execz .LBB230_2905
; %bb.2900:                             ;   in Loop: Header=BB230_1564 Depth=1
	v_mov_b32_e32 v8, 0xffff
	v_mov_b32_e32 v12, v9
	;; [unrolled: 1-line block ×3, first 2 shown]
	s_mov_b32 s15, exec_lo
	v_and_b32_sdwa v8, v8, v54 dst_sel:DWORD dst_unused:UNUSED_PAD src0_sel:DWORD src1_sel:BYTE_1
	v_mov_b32_e32 v18, v12
	v_and_b32_e32 v20, 0x7f, v8
	v_cmpx_ne_u32_e32 0x7f, v20
	s_cbranch_execz .LBB230_2904
; %bb.2901:                             ;   in Loop: Header=BB230_1564 Depth=1
	v_and_b32_e32 v8, 7, v8
	v_mov_b32_e32 v19, v9
	v_lshrrev_b32_e32 v10, 3, v20
	s_mov_b32 s18, exec_lo
	v_mov_b32_e32 v18, v8
	v_cmpx_gt_u32_e32 8, v20
; %bb.2902:                             ;   in Loop: Header=BB230_1564 Depth=1
	v_ffbh_u32_e32 v10, v8
	v_min_u32_e32 v10, 32, v10
	v_subrev_nc_u32_e32 v12, 28, v10
	v_sub_nc_u32_e32 v10, 29, v10
	v_lshlrev_b64 v[18:19], v12, v[8:9]
	v_and_b32_e32 v18, 7, v18
; %bb.2903:                             ;   in Loop: Header=BB230_1564 Depth=1
	s_or_b32 exec_lo, exec_lo, s18
	v_lshlrev_b32_e32 v8, 16, v54
	v_lshlrev_b32_e32 v12, 20, v18
	v_lshl_add_u32 v10, v10, 23, 0x3c000000
	v_mov_b32_e32 v18, v9
	v_and_b32_e32 v8, 0x80000000, v8
	v_or3_b32 v19, v12, v8, v10
.LBB230_2904:                           ;   in Loop: Header=BB230_1564 Depth=1
	s_or_b32 exec_lo, exec_lo, s15
.LBB230_2905:                           ;   in Loop: Header=BB230_1564 Depth=1
	s_or_b32 exec_lo, exec_lo, s13
.LBB230_2906:                           ;   in Loop: Header=BB230_1564 Depth=1
	s_or_b32 exec_lo, exec_lo, s7
	v_mov_b32_e32 v20, 0
	v_mov_b32_e32 v22, 0
	v_and_b32_sdwa v8, v54, v44 dst_sel:DWORD dst_unused:UNUSED_PAD src0_sel:WORD_1 src1_sel:DWORD
	v_mov_b32_e32 v21, 0
	v_mov_b32_e32 v23, 0
	s_mov_b32 s7, exec_lo
	v_cmpx_ne_u16_e32 0, v8
	s_cbranch_execz .LBB230_2914
; %bb.2907:                             ;   in Loop: Header=BB230_1564 Depth=1
	v_bfrev_b32_e32 v22, 1
	v_mov_b32_e32 v23, 0
	s_mov_b32 s13, exec_lo
	v_cmpx_ne_u16_e32 0x80, v8
	s_cbranch_execz .LBB230_2913
; %bb.2908:                             ;   in Loop: Header=BB230_1564 Depth=1
	v_mov_b32_e32 v22, 0x7f800001
	v_bfe_u32 v12, v54, 16, 7
	v_mov_b32_e32 v23, 0
	s_mov_b32 s15, exec_lo
	v_cmpx_ne_u32_e32 0x7f, v12
	s_cbranch_execz .LBB230_2912
; %bb.2909:                             ;   in Loop: Header=BB230_1564 Depth=1
	v_mov_b32_e32 v8, 7
	v_lshrrev_b32_e32 v10, 3, v12
	s_mov_b32 s18, exec_lo
	v_and_b32_sdwa v8, v54, v8 dst_sel:DWORD dst_unused:UNUSED_PAD src0_sel:WORD_1 src1_sel:DWORD
	v_mov_b32_e32 v23, v9
	v_mov_b32_e32 v22, v8
	v_cmpx_gt_u32_e32 8, v12
; %bb.2910:                             ;   in Loop: Header=BB230_1564 Depth=1
	v_ffbh_u32_e32 v10, v8
	v_min_u32_e32 v10, 32, v10
	v_subrev_nc_u32_e32 v12, 28, v10
	v_sub_nc_u32_e32 v10, 29, v10
	v_lshlrev_b64 v[22:23], v12, v[8:9]
	v_and_b32_e32 v22, 7, v22
; %bb.2911:                             ;   in Loop: Header=BB230_1564 Depth=1
	s_or_b32 exec_lo, exec_lo, s18
	v_mov_b32_e32 v8, 24
	v_lshlrev_b32_e32 v12, 20, v22
	v_lshl_add_u32 v10, v10, 23, 0x3c000000
	v_lshlrev_b32_sdwa v8, v8, v54 dst_sel:DWORD dst_unused:UNUSED_PAD src0_sel:DWORD src1_sel:WORD_1
	v_and_b32_e32 v8, 0x80000000, v8
	v_or3_b32 v8, v12, v8, v10
	v_mov_b32_e32 v23, v9
	v_mov_b32_e32 v22, v8
.LBB230_2912:                           ;   in Loop: Header=BB230_1564 Depth=1
	s_or_b32 exec_lo, exec_lo, s15
.LBB230_2913:                           ;   in Loop: Header=BB230_1564 Depth=1
	s_or_b32 exec_lo, exec_lo, s13
.LBB230_2914:                           ;   in Loop: Header=BB230_1564 Depth=1
	s_or_b32 exec_lo, exec_lo, s7
	s_mov_b32 s7, exec_lo
	v_cmpx_lt_u32_e32 0xffffff, v54
	s_cbranch_execz .LBB230_2922
; %bb.2915:                             ;   in Loop: Header=BB230_1564 Depth=1
	v_mov_b32_e32 v104, v9
	v_cmp_ne_u32_sdwa s4, v54, v42 src0_sel:BYTE_3 src1_sel:DWORD
	v_mov_b32_e32 v20, v104
	v_mov_b32_e32 v21, v105
	s_and_saveexec_b32 s13, s4
	s_cbranch_execz .LBB230_2921
; %bb.2916:                             ;   in Loop: Header=BB230_1564 Depth=1
	v_mov_b32_e32 v12, v9
	v_mov_b32_e32 v21, v13
	v_bfe_u32 v55, v54, 24, 7
	s_mov_b32 s15, exec_lo
	v_mov_b32_e32 v20, v12
	v_cmpx_ne_u32_e32 0x7f, v55
	s_cbranch_execz .LBB230_2920
; %bb.2917:                             ;   in Loop: Header=BB230_1564 Depth=1
	v_mov_b32_e32 v8, 7
	v_lshrrev_b32_e32 v10, 3, v55
	s_mov_b32 s18, exec_lo
	v_and_b32_sdwa v8, v54, v8 dst_sel:DWORD dst_unused:UNUSED_PAD src0_sel:BYTE_3 src1_sel:DWORD
	v_mov_b32_e32 v21, v9
	v_mov_b32_e32 v20, v8
	v_cmpx_gt_u32_e32 8, v55
; %bb.2918:                             ;   in Loop: Header=BB230_1564 Depth=1
	v_ffbh_u32_e32 v10, v8
	v_min_u32_e32 v10, 32, v10
	v_subrev_nc_u32_e32 v12, 28, v10
	v_sub_nc_u32_e32 v10, 29, v10
	v_lshlrev_b64 v[20:21], v12, v[8:9]
	v_and_b32_e32 v20, 7, v20
; %bb.2919:                             ;   in Loop: Header=BB230_1564 Depth=1
	s_or_b32 exec_lo, exec_lo, s18
	v_mov_b32_e32 v8, 24
	v_lshlrev_b32_e32 v12, 20, v20
	v_lshl_add_u32 v10, v10, 23, 0x3c000000
	v_mov_b32_e32 v20, v9
	v_lshlrev_b32_sdwa v8, v8, v54 dst_sel:DWORD dst_unused:UNUSED_PAD src0_sel:DWORD src1_sel:BYTE_3
	v_and_b32_e32 v8, 0x80000000, v8
	v_or3_b32 v21, v12, v8, v10
.LBB230_2920:                           ;   in Loop: Header=BB230_1564 Depth=1
	s_or_b32 exec_lo, exec_lo, s15
.LBB230_2921:                           ;   in Loop: Header=BB230_1564 Depth=1
	s_or_b32 exec_lo, exec_lo, s13
.LBB230_2922:                           ;   in Loop: Header=BB230_1564 Depth=1
	s_or_b32 exec_lo, exec_lo, s7
	v_or_b32_e32 v8, v19, v17
	v_or_b32_e32 v10, v18, v16
	;; [unrolled: 1-line block ×4, first 2 shown]
	v_mul_f32_e32 v65, v59, v8
	v_mul_f32_e32 v64, v41, v10
	;; [unrolled: 1-line block ×4, first 2 shown]
	s_and_saveexec_b32 s7, vcc_lo
	s_cbranch_execz .LBB230_2924
; %bb.2923:                             ;   in Loop: Header=BB230_1564 Depth=1
	v_cmp_lt_i32_e64 s4, v93, v73
	v_cndmask_b32_e64 v64, 0, v64, s4
	v_cmp_lt_i32_e64 s4, v95, v73
	v_cndmask_b32_e64 v65, 0, v65, s4
	;; [unrolled: 2-line block ×4, first 2 shown]
.LBB230_2924:                           ;   in Loop: Header=BB230_1564 Depth=1
	s_or_b32 exec_lo, exec_lo, s7
	flat_load_dword v66, v[0:1] offset:1024
	v_mov_b32_e32 v18, 0
	v_mov_b32_e32 v16, 0
	;; [unrolled: 1-line block ×4, first 2 shown]
	s_waitcnt vmcnt(0) lgkmcnt(0)
	v_cmp_ne_u16_sdwa s4, v66, v9 src0_sel:BYTE_0 src1_sel:DWORD
	s_and_saveexec_b32 s7, s4
	s_cbranch_execz .LBB230_2932
; %bb.2925:                             ;   in Loop: Header=BB230_1564 Depth=1
	v_bfrev_b32_e32 v16, 1
	v_mov_b32_e32 v17, 0
	v_cmp_ne_u16_sdwa s4, v66, v42 src0_sel:BYTE_0 src1_sel:DWORD
	s_and_saveexec_b32 s13, s4
	s_cbranch_execz .LBB230_2931
; %bb.2926:                             ;   in Loop: Header=BB230_1564 Depth=1
	v_mov_b32_e32 v16, 0x7f800001
	v_and_b32_e32 v12, 0x7f, v66
	v_mov_b32_e32 v17, 0
	s_mov_b32 s15, exec_lo
	v_cmpx_ne_u32_e32 0x7f, v12
	s_cbranch_execz .LBB230_2930
; %bb.2927:                             ;   in Loop: Header=BB230_1564 Depth=1
	v_and_b32_e32 v8, 7, v66
	v_mov_b32_e32 v17, v9
	v_lshrrev_b32_e32 v10, 3, v12
	s_mov_b32 s18, exec_lo
	v_mov_b32_e32 v16, v8
	v_cmpx_gt_u32_e32 8, v12
; %bb.2928:                             ;   in Loop: Header=BB230_1564 Depth=1
	v_ffbh_u32_e32 v10, v8
	v_min_u32_e32 v10, 32, v10
	v_subrev_nc_u32_e32 v12, 28, v10
	v_sub_nc_u32_e32 v10, 29, v10
	v_lshlrev_b64 v[16:17], v12, v[8:9]
	v_and_b32_e32 v16, 7, v16
; %bb.2929:                             ;   in Loop: Header=BB230_1564 Depth=1
	s_or_b32 exec_lo, exec_lo, s18
	v_lshlrev_b32_e32 v8, 24, v66
	v_lshlrev_b32_e32 v12, 20, v16
	v_lshl_add_u32 v10, v10, 23, 0x3c000000
	v_and_b32_e32 v8, 0x80000000, v8
	v_or3_b32 v8, v12, v8, v10
	v_mov_b32_e32 v17, v9
	v_mov_b32_e32 v16, v8
.LBB230_2930:                           ;   in Loop: Header=BB230_1564 Depth=1
	s_or_b32 exec_lo, exec_lo, s15
.LBB230_2931:                           ;   in Loop: Header=BB230_1564 Depth=1
	s_or_b32 exec_lo, exec_lo, s13
.LBB230_2932:                           ;   in Loop: Header=BB230_1564 Depth=1
	s_or_b32 exec_lo, exec_lo, s7
	v_cmp_ne_u16_sdwa s4, v66, v9 src0_sel:BYTE_1 src1_sel:DWORD
	s_and_saveexec_b32 s7, s4
	s_cbranch_execz .LBB230_2940
; %bb.2933:                             ;   in Loop: Header=BB230_1564 Depth=1
	v_mov_b32_e32 v104, v9
	v_cmp_ne_u16_sdwa s4, v66, v42 src0_sel:BYTE_1 src1_sel:DWORD
	v_mov_b32_e32 v18, v104
	v_mov_b32_e32 v19, v105
	s_and_saveexec_b32 s13, s4
	s_cbranch_execz .LBB230_2939
; %bb.2934:                             ;   in Loop: Header=BB230_1564 Depth=1
	v_mov_b32_e32 v8, 0xffff
	v_mov_b32_e32 v12, v9
	;; [unrolled: 1-line block ×3, first 2 shown]
	s_mov_b32 s15, exec_lo
	v_and_b32_sdwa v8, v8, v66 dst_sel:DWORD dst_unused:UNUSED_PAD src0_sel:DWORD src1_sel:BYTE_1
	v_mov_b32_e32 v18, v12
	v_and_b32_e32 v20, 0x7f, v8
	v_cmpx_ne_u32_e32 0x7f, v20
	s_cbranch_execz .LBB230_2938
; %bb.2935:                             ;   in Loop: Header=BB230_1564 Depth=1
	v_and_b32_e32 v8, 7, v8
	v_mov_b32_e32 v19, v9
	v_lshrrev_b32_e32 v10, 3, v20
	s_mov_b32 s18, exec_lo
	v_mov_b32_e32 v18, v8
	v_cmpx_gt_u32_e32 8, v20
; %bb.2936:                             ;   in Loop: Header=BB230_1564 Depth=1
	v_ffbh_u32_e32 v10, v8
	v_min_u32_e32 v10, 32, v10
	v_subrev_nc_u32_e32 v12, 28, v10
	v_sub_nc_u32_e32 v10, 29, v10
	v_lshlrev_b64 v[18:19], v12, v[8:9]
	v_and_b32_e32 v18, 7, v18
; %bb.2937:                             ;   in Loop: Header=BB230_1564 Depth=1
	s_or_b32 exec_lo, exec_lo, s18
	v_lshlrev_b32_e32 v8, 16, v66
	v_lshlrev_b32_e32 v12, 20, v18
	v_lshl_add_u32 v10, v10, 23, 0x3c000000
	v_mov_b32_e32 v18, v9
	v_and_b32_e32 v8, 0x80000000, v8
	v_or3_b32 v19, v12, v8, v10
.LBB230_2938:                           ;   in Loop: Header=BB230_1564 Depth=1
	s_or_b32 exec_lo, exec_lo, s15
.LBB230_2939:                           ;   in Loop: Header=BB230_1564 Depth=1
	s_or_b32 exec_lo, exec_lo, s13
.LBB230_2940:                           ;   in Loop: Header=BB230_1564 Depth=1
	s_or_b32 exec_lo, exec_lo, s7
	v_mov_b32_e32 v20, 0
	v_mov_b32_e32 v22, 0
	v_and_b32_sdwa v8, v66, v44 dst_sel:DWORD dst_unused:UNUSED_PAD src0_sel:WORD_1 src1_sel:DWORD
	v_mov_b32_e32 v21, 0
	v_mov_b32_e32 v23, 0
	s_mov_b32 s7, exec_lo
	v_cmpx_ne_u16_e32 0, v8
	s_cbranch_execz .LBB230_2948
; %bb.2941:                             ;   in Loop: Header=BB230_1564 Depth=1
	v_bfrev_b32_e32 v22, 1
	v_mov_b32_e32 v23, 0
	s_mov_b32 s13, exec_lo
	v_cmpx_ne_u16_e32 0x80, v8
	s_cbranch_execz .LBB230_2947
; %bb.2942:                             ;   in Loop: Header=BB230_1564 Depth=1
	v_mov_b32_e32 v22, 0x7f800001
	v_bfe_u32 v12, v66, 16, 7
	v_mov_b32_e32 v23, 0
	s_mov_b32 s15, exec_lo
	v_cmpx_ne_u32_e32 0x7f, v12
	s_cbranch_execz .LBB230_2946
; %bb.2943:                             ;   in Loop: Header=BB230_1564 Depth=1
	v_mov_b32_e32 v8, 7
	v_lshrrev_b32_e32 v10, 3, v12
	s_mov_b32 s18, exec_lo
	v_and_b32_sdwa v8, v66, v8 dst_sel:DWORD dst_unused:UNUSED_PAD src0_sel:WORD_1 src1_sel:DWORD
	v_mov_b32_e32 v23, v9
	v_mov_b32_e32 v22, v8
	v_cmpx_gt_u32_e32 8, v12
; %bb.2944:                             ;   in Loop: Header=BB230_1564 Depth=1
	v_ffbh_u32_e32 v10, v8
	v_min_u32_e32 v10, 32, v10
	v_subrev_nc_u32_e32 v12, 28, v10
	v_sub_nc_u32_e32 v10, 29, v10
	v_lshlrev_b64 v[22:23], v12, v[8:9]
	v_and_b32_e32 v22, 7, v22
; %bb.2945:                             ;   in Loop: Header=BB230_1564 Depth=1
	s_or_b32 exec_lo, exec_lo, s18
	v_mov_b32_e32 v8, 24
	v_lshlrev_b32_e32 v12, 20, v22
	v_lshl_add_u32 v10, v10, 23, 0x3c000000
	v_lshlrev_b32_sdwa v8, v8, v66 dst_sel:DWORD dst_unused:UNUSED_PAD src0_sel:DWORD src1_sel:WORD_1
	v_and_b32_e32 v8, 0x80000000, v8
	v_or3_b32 v8, v12, v8, v10
	v_mov_b32_e32 v23, v9
	v_mov_b32_e32 v22, v8
.LBB230_2946:                           ;   in Loop: Header=BB230_1564 Depth=1
	s_or_b32 exec_lo, exec_lo, s15
.LBB230_2947:                           ;   in Loop: Header=BB230_1564 Depth=1
	s_or_b32 exec_lo, exec_lo, s13
.LBB230_2948:                           ;   in Loop: Header=BB230_1564 Depth=1
	s_or_b32 exec_lo, exec_lo, s7
	s_mov_b32 s7, exec_lo
	v_cmpx_lt_u32_e32 0xffffff, v66
	s_cbranch_execz .LBB230_2956
; %bb.2949:                             ;   in Loop: Header=BB230_1564 Depth=1
	v_mov_b32_e32 v104, v9
	v_cmp_ne_u32_sdwa s4, v66, v42 src0_sel:BYTE_3 src1_sel:DWORD
	v_mov_b32_e32 v20, v104
	v_mov_b32_e32 v21, v105
	s_and_saveexec_b32 s13, s4
	s_cbranch_execz .LBB230_2955
; %bb.2950:                             ;   in Loop: Header=BB230_1564 Depth=1
	v_mov_b32_e32 v12, v9
	v_mov_b32_e32 v21, v13
	v_bfe_u32 v67, v66, 24, 7
	s_mov_b32 s15, exec_lo
	v_mov_b32_e32 v20, v12
	v_cmpx_ne_u32_e32 0x7f, v67
	s_cbranch_execz .LBB230_2954
; %bb.2951:                             ;   in Loop: Header=BB230_1564 Depth=1
	v_mov_b32_e32 v8, 7
	v_lshrrev_b32_e32 v10, 3, v67
	s_mov_b32 s18, exec_lo
	v_and_b32_sdwa v8, v66, v8 dst_sel:DWORD dst_unused:UNUSED_PAD src0_sel:BYTE_3 src1_sel:DWORD
	v_mov_b32_e32 v21, v9
	v_mov_b32_e32 v20, v8
	v_cmpx_gt_u32_e32 8, v67
; %bb.2952:                             ;   in Loop: Header=BB230_1564 Depth=1
	v_ffbh_u32_e32 v10, v8
	v_min_u32_e32 v10, 32, v10
	v_subrev_nc_u32_e32 v12, 28, v10
	v_sub_nc_u32_e32 v10, 29, v10
	v_lshlrev_b64 v[20:21], v12, v[8:9]
	v_and_b32_e32 v20, 7, v20
; %bb.2953:                             ;   in Loop: Header=BB230_1564 Depth=1
	s_or_b32 exec_lo, exec_lo, s18
	v_mov_b32_e32 v8, 24
	v_lshlrev_b32_e32 v12, 20, v20
	v_lshl_add_u32 v10, v10, 23, 0x3c000000
	v_mov_b32_e32 v20, v9
	v_lshlrev_b32_sdwa v8, v8, v66 dst_sel:DWORD dst_unused:UNUSED_PAD src0_sel:DWORD src1_sel:BYTE_3
	v_and_b32_e32 v8, 0x80000000, v8
	v_or3_b32 v21, v12, v8, v10
.LBB230_2954:                           ;   in Loop: Header=BB230_1564 Depth=1
	s_or_b32 exec_lo, exec_lo, s15
.LBB230_2955:                           ;   in Loop: Header=BB230_1564 Depth=1
	s_or_b32 exec_lo, exec_lo, s13
.LBB230_2956:                           ;   in Loop: Header=BB230_1564 Depth=1
	s_or_b32 exec_lo, exec_lo, s7
	v_or_b32_e32 v8, v19, v17
	v_or_b32_e32 v10, v18, v16
	;; [unrolled: 1-line block ×4, first 2 shown]
	v_mul_f32_e32 v69, v59, v8
	v_mul_f32_e32 v68, v41, v10
	;; [unrolled: 1-line block ×4, first 2 shown]
	s_and_saveexec_b32 s7, vcc_lo
	s_cbranch_execz .LBB230_2958
; %bb.2957:                             ;   in Loop: Header=BB230_1564 Depth=1
	v_cmp_lt_i32_e64 s4, v93, v73
	v_cndmask_b32_e64 v68, 0, v68, s4
	v_cmp_lt_i32_e64 s4, v95, v73
	v_cndmask_b32_e64 v69, 0, v69, s4
	;; [unrolled: 2-line block ×4, first 2 shown]
.LBB230_2958:                           ;   in Loop: Header=BB230_1564 Depth=1
	s_or_b32 exec_lo, exec_lo, s7
	flat_load_dword v70, v[0:1] offset:1152
	v_mov_b32_e32 v18, 0
	v_mov_b32_e32 v16, 0
	;; [unrolled: 1-line block ×4, first 2 shown]
	s_waitcnt vmcnt(0) lgkmcnt(0)
	v_cmp_ne_u16_sdwa s4, v70, v9 src0_sel:BYTE_0 src1_sel:DWORD
	s_and_saveexec_b32 s7, s4
	s_cbranch_execz .LBB230_2966
; %bb.2959:                             ;   in Loop: Header=BB230_1564 Depth=1
	v_bfrev_b32_e32 v16, 1
	v_mov_b32_e32 v17, 0
	v_cmp_ne_u16_sdwa s4, v70, v42 src0_sel:BYTE_0 src1_sel:DWORD
	s_and_saveexec_b32 s13, s4
	s_cbranch_execz .LBB230_2965
; %bb.2960:                             ;   in Loop: Header=BB230_1564 Depth=1
	v_mov_b32_e32 v16, 0x7f800001
	v_and_b32_e32 v12, 0x7f, v70
	v_mov_b32_e32 v17, 0
	s_mov_b32 s15, exec_lo
	v_cmpx_ne_u32_e32 0x7f, v12
	s_cbranch_execz .LBB230_2964
; %bb.2961:                             ;   in Loop: Header=BB230_1564 Depth=1
	v_and_b32_e32 v8, 7, v70
	v_mov_b32_e32 v17, v9
	v_lshrrev_b32_e32 v10, 3, v12
	s_mov_b32 s18, exec_lo
	v_mov_b32_e32 v16, v8
	v_cmpx_gt_u32_e32 8, v12
; %bb.2962:                             ;   in Loop: Header=BB230_1564 Depth=1
	v_ffbh_u32_e32 v10, v8
	v_min_u32_e32 v10, 32, v10
	v_subrev_nc_u32_e32 v12, 28, v10
	v_sub_nc_u32_e32 v10, 29, v10
	v_lshlrev_b64 v[16:17], v12, v[8:9]
	v_and_b32_e32 v16, 7, v16
; %bb.2963:                             ;   in Loop: Header=BB230_1564 Depth=1
	s_or_b32 exec_lo, exec_lo, s18
	v_lshlrev_b32_e32 v8, 24, v70
	v_lshlrev_b32_e32 v12, 20, v16
	v_lshl_add_u32 v10, v10, 23, 0x3c000000
	v_and_b32_e32 v8, 0x80000000, v8
	v_or3_b32 v8, v12, v8, v10
	v_mov_b32_e32 v17, v9
	v_mov_b32_e32 v16, v8
.LBB230_2964:                           ;   in Loop: Header=BB230_1564 Depth=1
	s_or_b32 exec_lo, exec_lo, s15
.LBB230_2965:                           ;   in Loop: Header=BB230_1564 Depth=1
	s_or_b32 exec_lo, exec_lo, s13
.LBB230_2966:                           ;   in Loop: Header=BB230_1564 Depth=1
	s_or_b32 exec_lo, exec_lo, s7
	v_cmp_ne_u16_sdwa s4, v70, v9 src0_sel:BYTE_1 src1_sel:DWORD
	s_and_saveexec_b32 s7, s4
	s_cbranch_execz .LBB230_2974
; %bb.2967:                             ;   in Loop: Header=BB230_1564 Depth=1
	v_mov_b32_e32 v104, v9
	v_cmp_ne_u16_sdwa s4, v70, v42 src0_sel:BYTE_1 src1_sel:DWORD
	v_mov_b32_e32 v18, v104
	v_mov_b32_e32 v19, v105
	s_and_saveexec_b32 s13, s4
	s_cbranch_execz .LBB230_2973
; %bb.2968:                             ;   in Loop: Header=BB230_1564 Depth=1
	v_mov_b32_e32 v8, 0xffff
	v_mov_b32_e32 v12, v9
	;; [unrolled: 1-line block ×3, first 2 shown]
	s_mov_b32 s15, exec_lo
	v_and_b32_sdwa v8, v8, v70 dst_sel:DWORD dst_unused:UNUSED_PAD src0_sel:DWORD src1_sel:BYTE_1
	v_mov_b32_e32 v18, v12
	v_and_b32_e32 v20, 0x7f, v8
	v_cmpx_ne_u32_e32 0x7f, v20
	s_cbranch_execz .LBB230_2972
; %bb.2969:                             ;   in Loop: Header=BB230_1564 Depth=1
	v_and_b32_e32 v8, 7, v8
	v_mov_b32_e32 v19, v9
	v_lshrrev_b32_e32 v10, 3, v20
	s_mov_b32 s18, exec_lo
	v_mov_b32_e32 v18, v8
	v_cmpx_gt_u32_e32 8, v20
; %bb.2970:                             ;   in Loop: Header=BB230_1564 Depth=1
	v_ffbh_u32_e32 v10, v8
	v_min_u32_e32 v10, 32, v10
	v_subrev_nc_u32_e32 v12, 28, v10
	v_sub_nc_u32_e32 v10, 29, v10
	v_lshlrev_b64 v[18:19], v12, v[8:9]
	v_and_b32_e32 v18, 7, v18
; %bb.2971:                             ;   in Loop: Header=BB230_1564 Depth=1
	s_or_b32 exec_lo, exec_lo, s18
	v_lshlrev_b32_e32 v8, 16, v70
	v_lshlrev_b32_e32 v12, 20, v18
	v_lshl_add_u32 v10, v10, 23, 0x3c000000
	v_mov_b32_e32 v18, v9
	v_and_b32_e32 v8, 0x80000000, v8
	v_or3_b32 v19, v12, v8, v10
.LBB230_2972:                           ;   in Loop: Header=BB230_1564 Depth=1
	s_or_b32 exec_lo, exec_lo, s15
.LBB230_2973:                           ;   in Loop: Header=BB230_1564 Depth=1
	s_or_b32 exec_lo, exec_lo, s13
.LBB230_2974:                           ;   in Loop: Header=BB230_1564 Depth=1
	s_or_b32 exec_lo, exec_lo, s7
	v_mov_b32_e32 v20, 0
	v_mov_b32_e32 v22, 0
	v_and_b32_sdwa v8, v70, v44 dst_sel:DWORD dst_unused:UNUSED_PAD src0_sel:WORD_1 src1_sel:DWORD
	v_mov_b32_e32 v21, 0
	v_mov_b32_e32 v23, 0
	s_mov_b32 s7, exec_lo
	v_cmpx_ne_u16_e32 0, v8
	s_cbranch_execz .LBB230_2982
; %bb.2975:                             ;   in Loop: Header=BB230_1564 Depth=1
	v_bfrev_b32_e32 v22, 1
	v_mov_b32_e32 v23, 0
	s_mov_b32 s13, exec_lo
	v_cmpx_ne_u16_e32 0x80, v8
	s_cbranch_execz .LBB230_2981
; %bb.2976:                             ;   in Loop: Header=BB230_1564 Depth=1
	v_mov_b32_e32 v22, 0x7f800001
	v_bfe_u32 v12, v70, 16, 7
	v_mov_b32_e32 v23, 0
	s_mov_b32 s15, exec_lo
	v_cmpx_ne_u32_e32 0x7f, v12
	s_cbranch_execz .LBB230_2980
; %bb.2977:                             ;   in Loop: Header=BB230_1564 Depth=1
	v_mov_b32_e32 v8, 7
	v_lshrrev_b32_e32 v10, 3, v12
	s_mov_b32 s18, exec_lo
	v_and_b32_sdwa v8, v70, v8 dst_sel:DWORD dst_unused:UNUSED_PAD src0_sel:WORD_1 src1_sel:DWORD
	v_mov_b32_e32 v23, v9
	v_mov_b32_e32 v22, v8
	v_cmpx_gt_u32_e32 8, v12
; %bb.2978:                             ;   in Loop: Header=BB230_1564 Depth=1
	v_ffbh_u32_e32 v10, v8
	v_min_u32_e32 v10, 32, v10
	v_subrev_nc_u32_e32 v12, 28, v10
	v_sub_nc_u32_e32 v10, 29, v10
	v_lshlrev_b64 v[22:23], v12, v[8:9]
	v_and_b32_e32 v22, 7, v22
; %bb.2979:                             ;   in Loop: Header=BB230_1564 Depth=1
	s_or_b32 exec_lo, exec_lo, s18
	v_mov_b32_e32 v8, 24
	v_lshlrev_b32_e32 v12, 20, v22
	v_lshl_add_u32 v10, v10, 23, 0x3c000000
	v_lshlrev_b32_sdwa v8, v8, v70 dst_sel:DWORD dst_unused:UNUSED_PAD src0_sel:DWORD src1_sel:WORD_1
	v_and_b32_e32 v8, 0x80000000, v8
	v_or3_b32 v8, v12, v8, v10
	v_mov_b32_e32 v23, v9
	v_mov_b32_e32 v22, v8
.LBB230_2980:                           ;   in Loop: Header=BB230_1564 Depth=1
	s_or_b32 exec_lo, exec_lo, s15
.LBB230_2981:                           ;   in Loop: Header=BB230_1564 Depth=1
	s_or_b32 exec_lo, exec_lo, s13
.LBB230_2982:                           ;   in Loop: Header=BB230_1564 Depth=1
	s_or_b32 exec_lo, exec_lo, s7
	s_mov_b32 s7, exec_lo
	v_cmpx_lt_u32_e32 0xffffff, v70
	s_cbranch_execz .LBB230_2990
; %bb.2983:                             ;   in Loop: Header=BB230_1564 Depth=1
	v_mov_b32_e32 v104, v9
	v_cmp_ne_u32_sdwa s4, v70, v42 src0_sel:BYTE_3 src1_sel:DWORD
	v_mov_b32_e32 v20, v104
	v_mov_b32_e32 v21, v105
	s_and_saveexec_b32 s13, s4
	s_cbranch_execz .LBB230_2989
; %bb.2984:                             ;   in Loop: Header=BB230_1564 Depth=1
	v_mov_b32_e32 v12, v9
	v_mov_b32_e32 v21, v13
	v_bfe_u32 v71, v70, 24, 7
	s_mov_b32 s15, exec_lo
	v_mov_b32_e32 v20, v12
	v_cmpx_ne_u32_e32 0x7f, v71
	s_cbranch_execz .LBB230_2988
; %bb.2985:                             ;   in Loop: Header=BB230_1564 Depth=1
	v_mov_b32_e32 v8, 7
	v_lshrrev_b32_e32 v10, 3, v71
	s_mov_b32 s18, exec_lo
	v_and_b32_sdwa v8, v70, v8 dst_sel:DWORD dst_unused:UNUSED_PAD src0_sel:BYTE_3 src1_sel:DWORD
	v_mov_b32_e32 v21, v9
	v_mov_b32_e32 v20, v8
	v_cmpx_gt_u32_e32 8, v71
; %bb.2986:                             ;   in Loop: Header=BB230_1564 Depth=1
	v_ffbh_u32_e32 v10, v8
	v_min_u32_e32 v10, 32, v10
	v_subrev_nc_u32_e32 v12, 28, v10
	v_sub_nc_u32_e32 v10, 29, v10
	v_lshlrev_b64 v[20:21], v12, v[8:9]
	v_and_b32_e32 v20, 7, v20
; %bb.2987:                             ;   in Loop: Header=BB230_1564 Depth=1
	s_or_b32 exec_lo, exec_lo, s18
	v_mov_b32_e32 v8, 24
	v_lshlrev_b32_e32 v12, 20, v20
	v_lshl_add_u32 v10, v10, 23, 0x3c000000
	v_mov_b32_e32 v20, v9
	v_lshlrev_b32_sdwa v8, v8, v70 dst_sel:DWORD dst_unused:UNUSED_PAD src0_sel:DWORD src1_sel:BYTE_3
	v_and_b32_e32 v8, 0x80000000, v8
	v_or3_b32 v21, v12, v8, v10
.LBB230_2988:                           ;   in Loop: Header=BB230_1564 Depth=1
	s_or_b32 exec_lo, exec_lo, s15
.LBB230_2989:                           ;   in Loop: Header=BB230_1564 Depth=1
	s_or_b32 exec_lo, exec_lo, s13
.LBB230_2990:                           ;   in Loop: Header=BB230_1564 Depth=1
	s_or_b32 exec_lo, exec_lo, s7
	v_or_b32_e32 v8, v19, v17
	v_or_b32_e32 v10, v18, v16
	;; [unrolled: 1-line block ×4, first 2 shown]
	v_mul_f32_e32 v81, v59, v8
	v_mul_f32_e32 v80, v41, v10
	;; [unrolled: 1-line block ×4, first 2 shown]
	s_and_saveexec_b32 s7, vcc_lo
	s_cbranch_execz .LBB230_2992
; %bb.2991:                             ;   in Loop: Header=BB230_1564 Depth=1
	v_cmp_lt_i32_e64 s4, v93, v73
	v_cndmask_b32_e64 v80, 0, v80, s4
	v_cmp_lt_i32_e64 s4, v95, v73
	v_cndmask_b32_e64 v81, 0, v81, s4
	;; [unrolled: 2-line block ×4, first 2 shown]
.LBB230_2992:                           ;   in Loop: Header=BB230_1564 Depth=1
	s_or_b32 exec_lo, exec_lo, s7
	flat_load_dword v82, v[0:1] offset:1280
	v_mov_b32_e32 v18, 0
	v_mov_b32_e32 v16, 0
	;; [unrolled: 1-line block ×4, first 2 shown]
	s_waitcnt vmcnt(0) lgkmcnt(0)
	v_cmp_ne_u16_sdwa s4, v82, v9 src0_sel:BYTE_0 src1_sel:DWORD
	s_and_saveexec_b32 s7, s4
	s_cbranch_execz .LBB230_3000
; %bb.2993:                             ;   in Loop: Header=BB230_1564 Depth=1
	v_bfrev_b32_e32 v16, 1
	v_mov_b32_e32 v17, 0
	v_cmp_ne_u16_sdwa s4, v82, v42 src0_sel:BYTE_0 src1_sel:DWORD
	s_and_saveexec_b32 s13, s4
	s_cbranch_execz .LBB230_2999
; %bb.2994:                             ;   in Loop: Header=BB230_1564 Depth=1
	v_mov_b32_e32 v16, 0x7f800001
	v_and_b32_e32 v12, 0x7f, v82
	v_mov_b32_e32 v17, 0
	s_mov_b32 s15, exec_lo
	v_cmpx_ne_u32_e32 0x7f, v12
	s_cbranch_execz .LBB230_2998
; %bb.2995:                             ;   in Loop: Header=BB230_1564 Depth=1
	v_and_b32_e32 v8, 7, v82
	v_mov_b32_e32 v17, v9
	v_lshrrev_b32_e32 v10, 3, v12
	s_mov_b32 s18, exec_lo
	v_mov_b32_e32 v16, v8
	v_cmpx_gt_u32_e32 8, v12
; %bb.2996:                             ;   in Loop: Header=BB230_1564 Depth=1
	v_ffbh_u32_e32 v10, v8
	v_min_u32_e32 v10, 32, v10
	v_subrev_nc_u32_e32 v12, 28, v10
	v_sub_nc_u32_e32 v10, 29, v10
	v_lshlrev_b64 v[16:17], v12, v[8:9]
	v_and_b32_e32 v16, 7, v16
; %bb.2997:                             ;   in Loop: Header=BB230_1564 Depth=1
	s_or_b32 exec_lo, exec_lo, s18
	v_lshlrev_b32_e32 v8, 24, v82
	v_lshlrev_b32_e32 v12, 20, v16
	v_lshl_add_u32 v10, v10, 23, 0x3c000000
	v_and_b32_e32 v8, 0x80000000, v8
	v_or3_b32 v8, v12, v8, v10
	v_mov_b32_e32 v17, v9
	v_mov_b32_e32 v16, v8
.LBB230_2998:                           ;   in Loop: Header=BB230_1564 Depth=1
	s_or_b32 exec_lo, exec_lo, s15
.LBB230_2999:                           ;   in Loop: Header=BB230_1564 Depth=1
	s_or_b32 exec_lo, exec_lo, s13
.LBB230_3000:                           ;   in Loop: Header=BB230_1564 Depth=1
	s_or_b32 exec_lo, exec_lo, s7
	v_cmp_ne_u16_sdwa s4, v82, v9 src0_sel:BYTE_1 src1_sel:DWORD
	s_and_saveexec_b32 s7, s4
	s_cbranch_execz .LBB230_3008
; %bb.3001:                             ;   in Loop: Header=BB230_1564 Depth=1
	v_mov_b32_e32 v104, v9
	v_cmp_ne_u16_sdwa s4, v82, v42 src0_sel:BYTE_1 src1_sel:DWORD
	v_mov_b32_e32 v18, v104
	v_mov_b32_e32 v19, v105
	s_and_saveexec_b32 s13, s4
	s_cbranch_execz .LBB230_3007
; %bb.3002:                             ;   in Loop: Header=BB230_1564 Depth=1
	v_mov_b32_e32 v8, 0xffff
	v_mov_b32_e32 v12, v9
	;; [unrolled: 1-line block ×3, first 2 shown]
	s_mov_b32 s15, exec_lo
	v_and_b32_sdwa v8, v8, v82 dst_sel:DWORD dst_unused:UNUSED_PAD src0_sel:DWORD src1_sel:BYTE_1
	v_mov_b32_e32 v18, v12
	v_and_b32_e32 v20, 0x7f, v8
	v_cmpx_ne_u32_e32 0x7f, v20
	s_cbranch_execz .LBB230_3006
; %bb.3003:                             ;   in Loop: Header=BB230_1564 Depth=1
	v_and_b32_e32 v8, 7, v8
	v_mov_b32_e32 v19, v9
	v_lshrrev_b32_e32 v10, 3, v20
	s_mov_b32 s18, exec_lo
	v_mov_b32_e32 v18, v8
	v_cmpx_gt_u32_e32 8, v20
; %bb.3004:                             ;   in Loop: Header=BB230_1564 Depth=1
	v_ffbh_u32_e32 v10, v8
	v_min_u32_e32 v10, 32, v10
	v_subrev_nc_u32_e32 v12, 28, v10
	v_sub_nc_u32_e32 v10, 29, v10
	v_lshlrev_b64 v[18:19], v12, v[8:9]
	v_and_b32_e32 v18, 7, v18
; %bb.3005:                             ;   in Loop: Header=BB230_1564 Depth=1
	s_or_b32 exec_lo, exec_lo, s18
	v_lshlrev_b32_e32 v8, 16, v82
	v_lshlrev_b32_e32 v12, 20, v18
	v_lshl_add_u32 v10, v10, 23, 0x3c000000
	v_mov_b32_e32 v18, v9
	v_and_b32_e32 v8, 0x80000000, v8
	v_or3_b32 v19, v12, v8, v10
.LBB230_3006:                           ;   in Loop: Header=BB230_1564 Depth=1
	s_or_b32 exec_lo, exec_lo, s15
.LBB230_3007:                           ;   in Loop: Header=BB230_1564 Depth=1
	s_or_b32 exec_lo, exec_lo, s13
.LBB230_3008:                           ;   in Loop: Header=BB230_1564 Depth=1
	s_or_b32 exec_lo, exec_lo, s7
	v_mov_b32_e32 v20, 0
	v_mov_b32_e32 v22, 0
	v_and_b32_sdwa v8, v82, v44 dst_sel:DWORD dst_unused:UNUSED_PAD src0_sel:WORD_1 src1_sel:DWORD
	v_mov_b32_e32 v21, 0
	v_mov_b32_e32 v23, 0
	s_mov_b32 s7, exec_lo
	v_cmpx_ne_u16_e32 0, v8
	s_cbranch_execz .LBB230_3016
; %bb.3009:                             ;   in Loop: Header=BB230_1564 Depth=1
	v_bfrev_b32_e32 v22, 1
	v_mov_b32_e32 v23, 0
	s_mov_b32 s13, exec_lo
	v_cmpx_ne_u16_e32 0x80, v8
	s_cbranch_execz .LBB230_3015
; %bb.3010:                             ;   in Loop: Header=BB230_1564 Depth=1
	v_mov_b32_e32 v22, 0x7f800001
	v_bfe_u32 v12, v82, 16, 7
	v_mov_b32_e32 v23, 0
	s_mov_b32 s15, exec_lo
	v_cmpx_ne_u32_e32 0x7f, v12
	s_cbranch_execz .LBB230_3014
; %bb.3011:                             ;   in Loop: Header=BB230_1564 Depth=1
	v_mov_b32_e32 v8, 7
	v_lshrrev_b32_e32 v10, 3, v12
	s_mov_b32 s18, exec_lo
	v_and_b32_sdwa v8, v82, v8 dst_sel:DWORD dst_unused:UNUSED_PAD src0_sel:WORD_1 src1_sel:DWORD
	v_mov_b32_e32 v23, v9
	v_mov_b32_e32 v22, v8
	v_cmpx_gt_u32_e32 8, v12
; %bb.3012:                             ;   in Loop: Header=BB230_1564 Depth=1
	v_ffbh_u32_e32 v10, v8
	v_min_u32_e32 v10, 32, v10
	v_subrev_nc_u32_e32 v12, 28, v10
	v_sub_nc_u32_e32 v10, 29, v10
	v_lshlrev_b64 v[22:23], v12, v[8:9]
	v_and_b32_e32 v22, 7, v22
; %bb.3013:                             ;   in Loop: Header=BB230_1564 Depth=1
	s_or_b32 exec_lo, exec_lo, s18
	v_mov_b32_e32 v8, 24
	v_lshlrev_b32_e32 v12, 20, v22
	v_lshl_add_u32 v10, v10, 23, 0x3c000000
	v_lshlrev_b32_sdwa v8, v8, v82 dst_sel:DWORD dst_unused:UNUSED_PAD src0_sel:DWORD src1_sel:WORD_1
	v_and_b32_e32 v8, 0x80000000, v8
	v_or3_b32 v8, v12, v8, v10
	v_mov_b32_e32 v23, v9
	v_mov_b32_e32 v22, v8
.LBB230_3014:                           ;   in Loop: Header=BB230_1564 Depth=1
	s_or_b32 exec_lo, exec_lo, s15
.LBB230_3015:                           ;   in Loop: Header=BB230_1564 Depth=1
	s_or_b32 exec_lo, exec_lo, s13
.LBB230_3016:                           ;   in Loop: Header=BB230_1564 Depth=1
	s_or_b32 exec_lo, exec_lo, s7
	s_mov_b32 s7, exec_lo
	v_cmpx_lt_u32_e32 0xffffff, v82
	s_cbranch_execz .LBB230_3024
; %bb.3017:                             ;   in Loop: Header=BB230_1564 Depth=1
	v_mov_b32_e32 v104, v9
	v_cmp_ne_u32_sdwa s4, v82, v42 src0_sel:BYTE_3 src1_sel:DWORD
	v_mov_b32_e32 v20, v104
	v_mov_b32_e32 v21, v105
	s_and_saveexec_b32 s13, s4
	s_cbranch_execz .LBB230_3023
; %bb.3018:                             ;   in Loop: Header=BB230_1564 Depth=1
	v_mov_b32_e32 v12, v9
	v_mov_b32_e32 v21, v13
	v_bfe_u32 v83, v82, 24, 7
	s_mov_b32 s15, exec_lo
	v_mov_b32_e32 v20, v12
	v_cmpx_ne_u32_e32 0x7f, v83
	s_cbranch_execz .LBB230_3022
; %bb.3019:                             ;   in Loop: Header=BB230_1564 Depth=1
	v_mov_b32_e32 v8, 7
	v_lshrrev_b32_e32 v10, 3, v83
	s_mov_b32 s18, exec_lo
	v_and_b32_sdwa v8, v82, v8 dst_sel:DWORD dst_unused:UNUSED_PAD src0_sel:BYTE_3 src1_sel:DWORD
	v_mov_b32_e32 v21, v9
	v_mov_b32_e32 v20, v8
	v_cmpx_gt_u32_e32 8, v83
; %bb.3020:                             ;   in Loop: Header=BB230_1564 Depth=1
	v_ffbh_u32_e32 v10, v8
	v_min_u32_e32 v10, 32, v10
	v_subrev_nc_u32_e32 v12, 28, v10
	v_sub_nc_u32_e32 v10, 29, v10
	v_lshlrev_b64 v[20:21], v12, v[8:9]
	v_and_b32_e32 v20, 7, v20
; %bb.3021:                             ;   in Loop: Header=BB230_1564 Depth=1
	s_or_b32 exec_lo, exec_lo, s18
	v_mov_b32_e32 v8, 24
	v_lshlrev_b32_e32 v12, 20, v20
	v_lshl_add_u32 v10, v10, 23, 0x3c000000
	v_mov_b32_e32 v20, v9
	v_lshlrev_b32_sdwa v8, v8, v82 dst_sel:DWORD dst_unused:UNUSED_PAD src0_sel:DWORD src1_sel:BYTE_3
	v_and_b32_e32 v8, 0x80000000, v8
	v_or3_b32 v21, v12, v8, v10
.LBB230_3022:                           ;   in Loop: Header=BB230_1564 Depth=1
	s_or_b32 exec_lo, exec_lo, s15
.LBB230_3023:                           ;   in Loop: Header=BB230_1564 Depth=1
	s_or_b32 exec_lo, exec_lo, s13
.LBB230_3024:                           ;   in Loop: Header=BB230_1564 Depth=1
	s_or_b32 exec_lo, exec_lo, s7
	v_or_b32_e32 v8, v19, v17
	v_or_b32_e32 v10, v18, v16
	;; [unrolled: 1-line block ×4, first 2 shown]
	v_mul_f32_e32 v84, v59, v8
	v_mul_f32_e32 v126, v41, v10
	;; [unrolled: 1-line block ×4, first 2 shown]
	s_and_saveexec_b32 s7, vcc_lo
	s_cbranch_execz .LBB230_3026
; %bb.3025:                             ;   in Loop: Header=BB230_1564 Depth=1
	v_cmp_lt_i32_e64 s4, v93, v73
	v_cndmask_b32_e64 v126, 0, v126, s4
	v_cmp_lt_i32_e64 s4, v95, v73
	v_cndmask_b32_e64 v84, 0, v84, s4
	;; [unrolled: 2-line block ×4, first 2 shown]
.LBB230_3026:                           ;   in Loop: Header=BB230_1564 Depth=1
	s_or_b32 exec_lo, exec_lo, s7
	flat_load_dword v86, v[0:1] offset:1408
	v_mov_b32_e32 v18, 0
	v_mov_b32_e32 v16, 0
	v_mov_b32_e32 v19, 0
	v_mov_b32_e32 v17, 0
	s_waitcnt vmcnt(0) lgkmcnt(0)
	v_cmp_ne_u16_sdwa s4, v86, v9 src0_sel:BYTE_0 src1_sel:DWORD
	s_and_saveexec_b32 s7, s4
	s_cbranch_execz .LBB230_3034
; %bb.3027:                             ;   in Loop: Header=BB230_1564 Depth=1
	v_bfrev_b32_e32 v16, 1
	v_mov_b32_e32 v17, 0
	v_cmp_ne_u16_sdwa s4, v86, v42 src0_sel:BYTE_0 src1_sel:DWORD
	s_and_saveexec_b32 s13, s4
	s_cbranch_execz .LBB230_3033
; %bb.3028:                             ;   in Loop: Header=BB230_1564 Depth=1
	v_mov_b32_e32 v16, 0x7f800001
	v_and_b32_e32 v12, 0x7f, v86
	v_mov_b32_e32 v17, 0
	s_mov_b32 s15, exec_lo
	v_cmpx_ne_u32_e32 0x7f, v12
	s_cbranch_execz .LBB230_3032
; %bb.3029:                             ;   in Loop: Header=BB230_1564 Depth=1
	v_and_b32_e32 v8, 7, v86
	v_mov_b32_e32 v17, v9
	v_lshrrev_b32_e32 v10, 3, v12
	s_mov_b32 s18, exec_lo
	v_mov_b32_e32 v16, v8
	v_cmpx_gt_u32_e32 8, v12
; %bb.3030:                             ;   in Loop: Header=BB230_1564 Depth=1
	v_ffbh_u32_e32 v10, v8
	v_min_u32_e32 v10, 32, v10
	v_subrev_nc_u32_e32 v12, 28, v10
	v_sub_nc_u32_e32 v10, 29, v10
	v_lshlrev_b64 v[16:17], v12, v[8:9]
	v_and_b32_e32 v16, 7, v16
; %bb.3031:                             ;   in Loop: Header=BB230_1564 Depth=1
	s_or_b32 exec_lo, exec_lo, s18
	v_lshlrev_b32_e32 v8, 24, v86
	v_lshlrev_b32_e32 v12, 20, v16
	v_lshl_add_u32 v10, v10, 23, 0x3c000000
	v_and_b32_e32 v8, 0x80000000, v8
	v_or3_b32 v8, v12, v8, v10
	v_mov_b32_e32 v17, v9
	v_mov_b32_e32 v16, v8
.LBB230_3032:                           ;   in Loop: Header=BB230_1564 Depth=1
	s_or_b32 exec_lo, exec_lo, s15
.LBB230_3033:                           ;   in Loop: Header=BB230_1564 Depth=1
	s_or_b32 exec_lo, exec_lo, s13
.LBB230_3034:                           ;   in Loop: Header=BB230_1564 Depth=1
	s_or_b32 exec_lo, exec_lo, s7
	v_cmp_ne_u16_sdwa s4, v86, v9 src0_sel:BYTE_1 src1_sel:DWORD
	s_and_saveexec_b32 s7, s4
	s_cbranch_execz .LBB230_3042
; %bb.3035:                             ;   in Loop: Header=BB230_1564 Depth=1
	v_mov_b32_e32 v104, v9
	v_cmp_ne_u16_sdwa s4, v86, v42 src0_sel:BYTE_1 src1_sel:DWORD
	v_mov_b32_e32 v18, v104
	v_mov_b32_e32 v19, v105
	s_and_saveexec_b32 s13, s4
	s_cbranch_execz .LBB230_3041
; %bb.3036:                             ;   in Loop: Header=BB230_1564 Depth=1
	v_mov_b32_e32 v8, 0xffff
	v_mov_b32_e32 v12, v9
	;; [unrolled: 1-line block ×3, first 2 shown]
	s_mov_b32 s15, exec_lo
	v_and_b32_sdwa v8, v8, v86 dst_sel:DWORD dst_unused:UNUSED_PAD src0_sel:DWORD src1_sel:BYTE_1
	v_mov_b32_e32 v18, v12
	v_and_b32_e32 v20, 0x7f, v8
	v_cmpx_ne_u32_e32 0x7f, v20
	s_cbranch_execz .LBB230_3040
; %bb.3037:                             ;   in Loop: Header=BB230_1564 Depth=1
	v_and_b32_e32 v8, 7, v8
	v_mov_b32_e32 v19, v9
	v_lshrrev_b32_e32 v10, 3, v20
	s_mov_b32 s18, exec_lo
	v_mov_b32_e32 v18, v8
	v_cmpx_gt_u32_e32 8, v20
; %bb.3038:                             ;   in Loop: Header=BB230_1564 Depth=1
	v_ffbh_u32_e32 v10, v8
	v_min_u32_e32 v10, 32, v10
	v_subrev_nc_u32_e32 v12, 28, v10
	v_sub_nc_u32_e32 v10, 29, v10
	v_lshlrev_b64 v[18:19], v12, v[8:9]
	v_and_b32_e32 v18, 7, v18
; %bb.3039:                             ;   in Loop: Header=BB230_1564 Depth=1
	s_or_b32 exec_lo, exec_lo, s18
	v_lshlrev_b32_e32 v8, 16, v86
	v_lshlrev_b32_e32 v12, 20, v18
	v_lshl_add_u32 v10, v10, 23, 0x3c000000
	v_mov_b32_e32 v18, v9
	v_and_b32_e32 v8, 0x80000000, v8
	v_or3_b32 v19, v12, v8, v10
.LBB230_3040:                           ;   in Loop: Header=BB230_1564 Depth=1
	s_or_b32 exec_lo, exec_lo, s15
.LBB230_3041:                           ;   in Loop: Header=BB230_1564 Depth=1
	s_or_b32 exec_lo, exec_lo, s13
.LBB230_3042:                           ;   in Loop: Header=BB230_1564 Depth=1
	s_or_b32 exec_lo, exec_lo, s7
	v_mov_b32_e32 v20, 0
	v_mov_b32_e32 v22, 0
	v_and_b32_sdwa v8, v86, v44 dst_sel:DWORD dst_unused:UNUSED_PAD src0_sel:WORD_1 src1_sel:DWORD
	v_mov_b32_e32 v21, 0
	v_mov_b32_e32 v23, 0
	s_mov_b32 s7, exec_lo
	v_cmpx_ne_u16_e32 0, v8
	s_cbranch_execz .LBB230_3050
; %bb.3043:                             ;   in Loop: Header=BB230_1564 Depth=1
	v_bfrev_b32_e32 v22, 1
	v_mov_b32_e32 v23, 0
	s_mov_b32 s13, exec_lo
	v_cmpx_ne_u16_e32 0x80, v8
	s_cbranch_execz .LBB230_3049
; %bb.3044:                             ;   in Loop: Header=BB230_1564 Depth=1
	v_mov_b32_e32 v22, 0x7f800001
	v_bfe_u32 v12, v86, 16, 7
	v_mov_b32_e32 v23, 0
	s_mov_b32 s15, exec_lo
	v_cmpx_ne_u32_e32 0x7f, v12
	s_cbranch_execz .LBB230_3048
; %bb.3045:                             ;   in Loop: Header=BB230_1564 Depth=1
	v_mov_b32_e32 v8, 7
	v_lshrrev_b32_e32 v10, 3, v12
	s_mov_b32 s18, exec_lo
	v_and_b32_sdwa v8, v86, v8 dst_sel:DWORD dst_unused:UNUSED_PAD src0_sel:WORD_1 src1_sel:DWORD
	v_mov_b32_e32 v23, v9
	v_mov_b32_e32 v22, v8
	v_cmpx_gt_u32_e32 8, v12
; %bb.3046:                             ;   in Loop: Header=BB230_1564 Depth=1
	v_ffbh_u32_e32 v10, v8
	v_min_u32_e32 v10, 32, v10
	v_subrev_nc_u32_e32 v12, 28, v10
	v_sub_nc_u32_e32 v10, 29, v10
	v_lshlrev_b64 v[22:23], v12, v[8:9]
	v_and_b32_e32 v22, 7, v22
; %bb.3047:                             ;   in Loop: Header=BB230_1564 Depth=1
	s_or_b32 exec_lo, exec_lo, s18
	v_mov_b32_e32 v8, 24
	v_lshlrev_b32_e32 v12, 20, v22
	v_lshl_add_u32 v10, v10, 23, 0x3c000000
	v_lshlrev_b32_sdwa v8, v8, v86 dst_sel:DWORD dst_unused:UNUSED_PAD src0_sel:DWORD src1_sel:WORD_1
	v_and_b32_e32 v8, 0x80000000, v8
	v_or3_b32 v8, v12, v8, v10
	v_mov_b32_e32 v23, v9
	v_mov_b32_e32 v22, v8
.LBB230_3048:                           ;   in Loop: Header=BB230_1564 Depth=1
	s_or_b32 exec_lo, exec_lo, s15
.LBB230_3049:                           ;   in Loop: Header=BB230_1564 Depth=1
	s_or_b32 exec_lo, exec_lo, s13
.LBB230_3050:                           ;   in Loop: Header=BB230_1564 Depth=1
	s_or_b32 exec_lo, exec_lo, s7
	s_mov_b32 s7, exec_lo
	v_cmpx_lt_u32_e32 0xffffff, v86
	s_cbranch_execz .LBB230_3058
; %bb.3051:                             ;   in Loop: Header=BB230_1564 Depth=1
	v_mov_b32_e32 v104, v9
	v_cmp_ne_u32_sdwa s4, v86, v42 src0_sel:BYTE_3 src1_sel:DWORD
	v_mov_b32_e32 v20, v104
	v_mov_b32_e32 v21, v105
	s_and_saveexec_b32 s13, s4
	s_cbranch_execz .LBB230_3057
; %bb.3052:                             ;   in Loop: Header=BB230_1564 Depth=1
	v_mov_b32_e32 v12, v9
	v_mov_b32_e32 v21, v13
	v_bfe_u32 v87, v86, 24, 7
	s_mov_b32 s15, exec_lo
	v_mov_b32_e32 v20, v12
	v_cmpx_ne_u32_e32 0x7f, v87
	s_cbranch_execz .LBB230_3056
; %bb.3053:                             ;   in Loop: Header=BB230_1564 Depth=1
	v_mov_b32_e32 v8, 7
	v_lshrrev_b32_e32 v10, 3, v87
	s_mov_b32 s18, exec_lo
	v_and_b32_sdwa v8, v86, v8 dst_sel:DWORD dst_unused:UNUSED_PAD src0_sel:BYTE_3 src1_sel:DWORD
	v_mov_b32_e32 v21, v9
	v_mov_b32_e32 v20, v8
	v_cmpx_gt_u32_e32 8, v87
; %bb.3054:                             ;   in Loop: Header=BB230_1564 Depth=1
	v_ffbh_u32_e32 v10, v8
	v_min_u32_e32 v10, 32, v10
	v_subrev_nc_u32_e32 v12, 28, v10
	v_sub_nc_u32_e32 v10, 29, v10
	v_lshlrev_b64 v[20:21], v12, v[8:9]
	v_and_b32_e32 v20, 7, v20
; %bb.3055:                             ;   in Loop: Header=BB230_1564 Depth=1
	s_or_b32 exec_lo, exec_lo, s18
	v_mov_b32_e32 v8, 24
	v_lshlrev_b32_e32 v12, 20, v20
	v_lshl_add_u32 v10, v10, 23, 0x3c000000
	v_mov_b32_e32 v20, v9
	v_lshlrev_b32_sdwa v8, v8, v86 dst_sel:DWORD dst_unused:UNUSED_PAD src0_sel:DWORD src1_sel:BYTE_3
	v_and_b32_e32 v8, 0x80000000, v8
	v_or3_b32 v21, v12, v8, v10
.LBB230_3056:                           ;   in Loop: Header=BB230_1564 Depth=1
	s_or_b32 exec_lo, exec_lo, s15
.LBB230_3057:                           ;   in Loop: Header=BB230_1564 Depth=1
	s_or_b32 exec_lo, exec_lo, s13
.LBB230_3058:                           ;   in Loop: Header=BB230_1564 Depth=1
	s_or_b32 exec_lo, exec_lo, s7
	v_or_b32_e32 v8, v19, v17
	v_or_b32_e32 v10, v18, v16
	;; [unrolled: 1-line block ×4, first 2 shown]
	v_mul_f32_e32 v97, v59, v8
	v_mul_f32_e32 v96, v41, v10
	;; [unrolled: 1-line block ×4, first 2 shown]
	s_and_saveexec_b32 s7, vcc_lo
	s_cbranch_execz .LBB230_3060
; %bb.3059:                             ;   in Loop: Header=BB230_1564 Depth=1
	v_cmp_lt_i32_e64 s4, v93, v73
	v_cndmask_b32_e64 v96, 0, v96, s4
	v_cmp_lt_i32_e64 s4, v95, v73
	v_cndmask_b32_e64 v97, 0, v97, s4
	;; [unrolled: 2-line block ×4, first 2 shown]
.LBB230_3060:                           ;   in Loop: Header=BB230_1564 Depth=1
	s_or_b32 exec_lo, exec_lo, s7
	flat_load_dword v98, v[0:1] offset:1536
	v_mov_b32_e32 v18, 0
	v_mov_b32_e32 v16, 0
	;; [unrolled: 1-line block ×4, first 2 shown]
	s_waitcnt vmcnt(0) lgkmcnt(0)
	v_cmp_ne_u16_sdwa s4, v98, v9 src0_sel:BYTE_0 src1_sel:DWORD
	s_and_saveexec_b32 s7, s4
	s_cbranch_execz .LBB230_3068
; %bb.3061:                             ;   in Loop: Header=BB230_1564 Depth=1
	v_bfrev_b32_e32 v16, 1
	v_mov_b32_e32 v17, 0
	v_cmp_ne_u16_sdwa s4, v98, v42 src0_sel:BYTE_0 src1_sel:DWORD
	s_and_saveexec_b32 s13, s4
	s_cbranch_execz .LBB230_3067
; %bb.3062:                             ;   in Loop: Header=BB230_1564 Depth=1
	v_mov_b32_e32 v16, 0x7f800001
	v_and_b32_e32 v12, 0x7f, v98
	v_mov_b32_e32 v17, 0
	s_mov_b32 s15, exec_lo
	v_cmpx_ne_u32_e32 0x7f, v12
	s_cbranch_execz .LBB230_3066
; %bb.3063:                             ;   in Loop: Header=BB230_1564 Depth=1
	v_and_b32_e32 v8, 7, v98
	v_mov_b32_e32 v17, v9
	v_lshrrev_b32_e32 v10, 3, v12
	s_mov_b32 s18, exec_lo
	v_mov_b32_e32 v16, v8
	v_cmpx_gt_u32_e32 8, v12
; %bb.3064:                             ;   in Loop: Header=BB230_1564 Depth=1
	v_ffbh_u32_e32 v10, v8
	v_min_u32_e32 v10, 32, v10
	v_subrev_nc_u32_e32 v12, 28, v10
	v_sub_nc_u32_e32 v10, 29, v10
	v_lshlrev_b64 v[16:17], v12, v[8:9]
	v_and_b32_e32 v16, 7, v16
; %bb.3065:                             ;   in Loop: Header=BB230_1564 Depth=1
	s_or_b32 exec_lo, exec_lo, s18
	v_lshlrev_b32_e32 v8, 24, v98
	v_lshlrev_b32_e32 v12, 20, v16
	v_lshl_add_u32 v10, v10, 23, 0x3c000000
	v_and_b32_e32 v8, 0x80000000, v8
	v_or3_b32 v8, v12, v8, v10
	v_mov_b32_e32 v17, v9
	v_mov_b32_e32 v16, v8
.LBB230_3066:                           ;   in Loop: Header=BB230_1564 Depth=1
	s_or_b32 exec_lo, exec_lo, s15
.LBB230_3067:                           ;   in Loop: Header=BB230_1564 Depth=1
	s_or_b32 exec_lo, exec_lo, s13
.LBB230_3068:                           ;   in Loop: Header=BB230_1564 Depth=1
	s_or_b32 exec_lo, exec_lo, s7
	v_cmp_ne_u16_sdwa s4, v98, v9 src0_sel:BYTE_1 src1_sel:DWORD
	s_and_saveexec_b32 s7, s4
	s_cbranch_execz .LBB230_3076
; %bb.3069:                             ;   in Loop: Header=BB230_1564 Depth=1
	v_mov_b32_e32 v104, v9
	v_cmp_ne_u16_sdwa s4, v98, v42 src0_sel:BYTE_1 src1_sel:DWORD
	v_mov_b32_e32 v18, v104
	v_mov_b32_e32 v19, v105
	s_and_saveexec_b32 s13, s4
	s_cbranch_execz .LBB230_3075
; %bb.3070:                             ;   in Loop: Header=BB230_1564 Depth=1
	v_mov_b32_e32 v8, 0xffff
	v_mov_b32_e32 v12, v9
	;; [unrolled: 1-line block ×3, first 2 shown]
	s_mov_b32 s15, exec_lo
	v_and_b32_sdwa v8, v8, v98 dst_sel:DWORD dst_unused:UNUSED_PAD src0_sel:DWORD src1_sel:BYTE_1
	v_mov_b32_e32 v18, v12
	v_and_b32_e32 v20, 0x7f, v8
	v_cmpx_ne_u32_e32 0x7f, v20
	s_cbranch_execz .LBB230_3074
; %bb.3071:                             ;   in Loop: Header=BB230_1564 Depth=1
	v_and_b32_e32 v8, 7, v8
	v_mov_b32_e32 v19, v9
	v_lshrrev_b32_e32 v10, 3, v20
	s_mov_b32 s18, exec_lo
	v_mov_b32_e32 v18, v8
	v_cmpx_gt_u32_e32 8, v20
; %bb.3072:                             ;   in Loop: Header=BB230_1564 Depth=1
	v_ffbh_u32_e32 v10, v8
	v_min_u32_e32 v10, 32, v10
	v_subrev_nc_u32_e32 v12, 28, v10
	v_sub_nc_u32_e32 v10, 29, v10
	v_lshlrev_b64 v[18:19], v12, v[8:9]
	v_and_b32_e32 v18, 7, v18
; %bb.3073:                             ;   in Loop: Header=BB230_1564 Depth=1
	s_or_b32 exec_lo, exec_lo, s18
	v_lshlrev_b32_e32 v8, 16, v98
	v_lshlrev_b32_e32 v12, 20, v18
	v_lshl_add_u32 v10, v10, 23, 0x3c000000
	v_mov_b32_e32 v18, v9
	v_and_b32_e32 v8, 0x80000000, v8
	v_or3_b32 v19, v12, v8, v10
.LBB230_3074:                           ;   in Loop: Header=BB230_1564 Depth=1
	s_or_b32 exec_lo, exec_lo, s15
.LBB230_3075:                           ;   in Loop: Header=BB230_1564 Depth=1
	s_or_b32 exec_lo, exec_lo, s13
.LBB230_3076:                           ;   in Loop: Header=BB230_1564 Depth=1
	s_or_b32 exec_lo, exec_lo, s7
	v_mov_b32_e32 v20, 0
	v_mov_b32_e32 v22, 0
	v_and_b32_sdwa v8, v98, v44 dst_sel:DWORD dst_unused:UNUSED_PAD src0_sel:WORD_1 src1_sel:DWORD
	v_mov_b32_e32 v21, 0
	v_mov_b32_e32 v23, 0
	s_mov_b32 s7, exec_lo
	v_cmpx_ne_u16_e32 0, v8
	s_cbranch_execz .LBB230_3084
; %bb.3077:                             ;   in Loop: Header=BB230_1564 Depth=1
	v_bfrev_b32_e32 v22, 1
	v_mov_b32_e32 v23, 0
	s_mov_b32 s13, exec_lo
	v_cmpx_ne_u16_e32 0x80, v8
	s_cbranch_execz .LBB230_3083
; %bb.3078:                             ;   in Loop: Header=BB230_1564 Depth=1
	v_mov_b32_e32 v22, 0x7f800001
	v_bfe_u32 v12, v98, 16, 7
	v_mov_b32_e32 v23, 0
	s_mov_b32 s15, exec_lo
	v_cmpx_ne_u32_e32 0x7f, v12
	s_cbranch_execz .LBB230_3082
; %bb.3079:                             ;   in Loop: Header=BB230_1564 Depth=1
	v_mov_b32_e32 v8, 7
	v_lshrrev_b32_e32 v10, 3, v12
	s_mov_b32 s18, exec_lo
	v_and_b32_sdwa v8, v98, v8 dst_sel:DWORD dst_unused:UNUSED_PAD src0_sel:WORD_1 src1_sel:DWORD
	v_mov_b32_e32 v23, v9
	v_mov_b32_e32 v22, v8
	v_cmpx_gt_u32_e32 8, v12
; %bb.3080:                             ;   in Loop: Header=BB230_1564 Depth=1
	v_ffbh_u32_e32 v10, v8
	v_min_u32_e32 v10, 32, v10
	v_subrev_nc_u32_e32 v12, 28, v10
	v_sub_nc_u32_e32 v10, 29, v10
	v_lshlrev_b64 v[22:23], v12, v[8:9]
	v_and_b32_e32 v22, 7, v22
; %bb.3081:                             ;   in Loop: Header=BB230_1564 Depth=1
	s_or_b32 exec_lo, exec_lo, s18
	v_mov_b32_e32 v8, 24
	v_lshlrev_b32_e32 v12, 20, v22
	v_lshl_add_u32 v10, v10, 23, 0x3c000000
	v_lshlrev_b32_sdwa v8, v8, v98 dst_sel:DWORD dst_unused:UNUSED_PAD src0_sel:DWORD src1_sel:WORD_1
	v_and_b32_e32 v8, 0x80000000, v8
	v_or3_b32 v8, v12, v8, v10
	v_mov_b32_e32 v23, v9
	v_mov_b32_e32 v22, v8
.LBB230_3082:                           ;   in Loop: Header=BB230_1564 Depth=1
	s_or_b32 exec_lo, exec_lo, s15
.LBB230_3083:                           ;   in Loop: Header=BB230_1564 Depth=1
	s_or_b32 exec_lo, exec_lo, s13
.LBB230_3084:                           ;   in Loop: Header=BB230_1564 Depth=1
	s_or_b32 exec_lo, exec_lo, s7
	s_mov_b32 s7, exec_lo
	v_cmpx_lt_u32_e32 0xffffff, v98
	s_cbranch_execz .LBB230_3092
; %bb.3085:                             ;   in Loop: Header=BB230_1564 Depth=1
	v_mov_b32_e32 v104, v9
	v_cmp_ne_u32_sdwa s4, v98, v42 src0_sel:BYTE_3 src1_sel:DWORD
	v_mov_b32_e32 v20, v104
	v_mov_b32_e32 v21, v105
	s_and_saveexec_b32 s13, s4
	s_cbranch_execz .LBB230_3091
; %bb.3086:                             ;   in Loop: Header=BB230_1564 Depth=1
	v_mov_b32_e32 v12, v9
	v_mov_b32_e32 v21, v13
	v_bfe_u32 v99, v98, 24, 7
	s_mov_b32 s15, exec_lo
	v_mov_b32_e32 v20, v12
	v_cmpx_ne_u32_e32 0x7f, v99
	s_cbranch_execz .LBB230_3090
; %bb.3087:                             ;   in Loop: Header=BB230_1564 Depth=1
	v_mov_b32_e32 v8, 7
	v_lshrrev_b32_e32 v10, 3, v99
	s_mov_b32 s18, exec_lo
	v_and_b32_sdwa v8, v98, v8 dst_sel:DWORD dst_unused:UNUSED_PAD src0_sel:BYTE_3 src1_sel:DWORD
	v_mov_b32_e32 v21, v9
	v_mov_b32_e32 v20, v8
	v_cmpx_gt_u32_e32 8, v99
; %bb.3088:                             ;   in Loop: Header=BB230_1564 Depth=1
	v_ffbh_u32_e32 v10, v8
	v_min_u32_e32 v10, 32, v10
	v_subrev_nc_u32_e32 v12, 28, v10
	v_sub_nc_u32_e32 v10, 29, v10
	v_lshlrev_b64 v[20:21], v12, v[8:9]
	v_and_b32_e32 v20, 7, v20
; %bb.3089:                             ;   in Loop: Header=BB230_1564 Depth=1
	s_or_b32 exec_lo, exec_lo, s18
	v_mov_b32_e32 v8, 24
	v_lshlrev_b32_e32 v12, 20, v20
	v_lshl_add_u32 v10, v10, 23, 0x3c000000
	v_mov_b32_e32 v20, v9
	v_lshlrev_b32_sdwa v8, v8, v98 dst_sel:DWORD dst_unused:UNUSED_PAD src0_sel:DWORD src1_sel:BYTE_3
	v_and_b32_e32 v8, 0x80000000, v8
	v_or3_b32 v21, v12, v8, v10
.LBB230_3090:                           ;   in Loop: Header=BB230_1564 Depth=1
	s_or_b32 exec_lo, exec_lo, s15
.LBB230_3091:                           ;   in Loop: Header=BB230_1564 Depth=1
	s_or_b32 exec_lo, exec_lo, s13
.LBB230_3092:                           ;   in Loop: Header=BB230_1564 Depth=1
	s_or_b32 exec_lo, exec_lo, s7
	v_or_b32_e32 v8, v19, v17
	v_or_b32_e32 v10, v18, v16
	;; [unrolled: 1-line block ×4, first 2 shown]
	v_mul_f32_e32 v101, v59, v8
	v_mul_f32_e32 v100, v41, v10
	;; [unrolled: 1-line block ×4, first 2 shown]
	s_and_saveexec_b32 s7, vcc_lo
	s_cbranch_execz .LBB230_3094
; %bb.3093:                             ;   in Loop: Header=BB230_1564 Depth=1
	v_cmp_lt_i32_e64 s4, v93, v73
	v_cndmask_b32_e64 v100, 0, v100, s4
	v_cmp_lt_i32_e64 s4, v95, v73
	v_cndmask_b32_e64 v101, 0, v101, s4
	;; [unrolled: 2-line block ×4, first 2 shown]
.LBB230_3094:                           ;   in Loop: Header=BB230_1564 Depth=1
	s_or_b32 exec_lo, exec_lo, s7
	flat_load_dword v102, v[0:1] offset:1664
	v_mov_b32_e32 v18, 0
	v_mov_b32_e32 v16, 0
	v_mov_b32_e32 v19, 0
	v_mov_b32_e32 v17, 0
	s_waitcnt vmcnt(0) lgkmcnt(0)
	v_cmp_ne_u16_sdwa s4, v102, v9 src0_sel:BYTE_0 src1_sel:DWORD
	s_and_saveexec_b32 s7, s4
	s_cbranch_execz .LBB230_3102
; %bb.3095:                             ;   in Loop: Header=BB230_1564 Depth=1
	v_bfrev_b32_e32 v16, 1
	v_mov_b32_e32 v17, 0
	v_cmp_ne_u16_sdwa s4, v102, v42 src0_sel:BYTE_0 src1_sel:DWORD
	s_and_saveexec_b32 s13, s4
	s_cbranch_execz .LBB230_3101
; %bb.3096:                             ;   in Loop: Header=BB230_1564 Depth=1
	v_mov_b32_e32 v16, 0x7f800001
	v_and_b32_e32 v12, 0x7f, v102
	v_mov_b32_e32 v17, 0
	s_mov_b32 s15, exec_lo
	v_cmpx_ne_u32_e32 0x7f, v12
	s_cbranch_execz .LBB230_3100
; %bb.3097:                             ;   in Loop: Header=BB230_1564 Depth=1
	v_and_b32_e32 v8, 7, v102
	v_mov_b32_e32 v17, v9
	v_lshrrev_b32_e32 v10, 3, v12
	s_mov_b32 s18, exec_lo
	v_mov_b32_e32 v16, v8
	v_cmpx_gt_u32_e32 8, v12
; %bb.3098:                             ;   in Loop: Header=BB230_1564 Depth=1
	v_ffbh_u32_e32 v10, v8
	v_min_u32_e32 v10, 32, v10
	v_subrev_nc_u32_e32 v12, 28, v10
	v_sub_nc_u32_e32 v10, 29, v10
	v_lshlrev_b64 v[16:17], v12, v[8:9]
	v_and_b32_e32 v16, 7, v16
; %bb.3099:                             ;   in Loop: Header=BB230_1564 Depth=1
	s_or_b32 exec_lo, exec_lo, s18
	v_lshlrev_b32_e32 v8, 24, v102
	v_lshlrev_b32_e32 v12, 20, v16
	v_lshl_add_u32 v10, v10, 23, 0x3c000000
	v_and_b32_e32 v8, 0x80000000, v8
	v_or3_b32 v8, v12, v8, v10
	v_mov_b32_e32 v17, v9
	v_mov_b32_e32 v16, v8
.LBB230_3100:                           ;   in Loop: Header=BB230_1564 Depth=1
	s_or_b32 exec_lo, exec_lo, s15
.LBB230_3101:                           ;   in Loop: Header=BB230_1564 Depth=1
	s_or_b32 exec_lo, exec_lo, s13
.LBB230_3102:                           ;   in Loop: Header=BB230_1564 Depth=1
	s_or_b32 exec_lo, exec_lo, s7
	v_cmp_ne_u16_sdwa s4, v102, v9 src0_sel:BYTE_1 src1_sel:DWORD
	s_and_saveexec_b32 s7, s4
	s_cbranch_execz .LBB230_3110
; %bb.3103:                             ;   in Loop: Header=BB230_1564 Depth=1
	v_mov_b32_e32 v104, v9
	v_cmp_ne_u16_sdwa s4, v102, v42 src0_sel:BYTE_1 src1_sel:DWORD
	v_mov_b32_e32 v18, v104
	v_mov_b32_e32 v19, v105
	s_and_saveexec_b32 s13, s4
	s_cbranch_execz .LBB230_3109
; %bb.3104:                             ;   in Loop: Header=BB230_1564 Depth=1
	v_mov_b32_e32 v8, 0xffff
	v_mov_b32_e32 v12, v9
	;; [unrolled: 1-line block ×3, first 2 shown]
	s_mov_b32 s15, exec_lo
	v_and_b32_sdwa v8, v8, v102 dst_sel:DWORD dst_unused:UNUSED_PAD src0_sel:DWORD src1_sel:BYTE_1
	v_mov_b32_e32 v18, v12
	v_and_b32_e32 v20, 0x7f, v8
	v_cmpx_ne_u32_e32 0x7f, v20
	s_cbranch_execz .LBB230_3108
; %bb.3105:                             ;   in Loop: Header=BB230_1564 Depth=1
	v_and_b32_e32 v8, 7, v8
	v_mov_b32_e32 v19, v9
	v_lshrrev_b32_e32 v10, 3, v20
	s_mov_b32 s18, exec_lo
	v_mov_b32_e32 v18, v8
	v_cmpx_gt_u32_e32 8, v20
; %bb.3106:                             ;   in Loop: Header=BB230_1564 Depth=1
	v_ffbh_u32_e32 v10, v8
	v_min_u32_e32 v10, 32, v10
	v_subrev_nc_u32_e32 v12, 28, v10
	v_sub_nc_u32_e32 v10, 29, v10
	v_lshlrev_b64 v[18:19], v12, v[8:9]
	v_and_b32_e32 v18, 7, v18
; %bb.3107:                             ;   in Loop: Header=BB230_1564 Depth=1
	s_or_b32 exec_lo, exec_lo, s18
	v_lshlrev_b32_e32 v8, 16, v102
	v_lshlrev_b32_e32 v12, 20, v18
	v_lshl_add_u32 v10, v10, 23, 0x3c000000
	v_mov_b32_e32 v18, v9
	v_and_b32_e32 v8, 0x80000000, v8
	v_or3_b32 v19, v12, v8, v10
.LBB230_3108:                           ;   in Loop: Header=BB230_1564 Depth=1
	s_or_b32 exec_lo, exec_lo, s15
.LBB230_3109:                           ;   in Loop: Header=BB230_1564 Depth=1
	s_or_b32 exec_lo, exec_lo, s13
.LBB230_3110:                           ;   in Loop: Header=BB230_1564 Depth=1
	s_or_b32 exec_lo, exec_lo, s7
	v_mov_b32_e32 v20, 0
	v_mov_b32_e32 v22, 0
	v_and_b32_sdwa v8, v102, v44 dst_sel:DWORD dst_unused:UNUSED_PAD src0_sel:WORD_1 src1_sel:DWORD
	v_mov_b32_e32 v21, 0
	v_mov_b32_e32 v23, 0
	s_mov_b32 s7, exec_lo
	v_cmpx_ne_u16_e32 0, v8
	s_cbranch_execz .LBB230_3118
; %bb.3111:                             ;   in Loop: Header=BB230_1564 Depth=1
	v_bfrev_b32_e32 v22, 1
	v_mov_b32_e32 v23, 0
	s_mov_b32 s13, exec_lo
	v_cmpx_ne_u16_e32 0x80, v8
	s_cbranch_execz .LBB230_3117
; %bb.3112:                             ;   in Loop: Header=BB230_1564 Depth=1
	v_mov_b32_e32 v22, 0x7f800001
	v_bfe_u32 v12, v102, 16, 7
	v_mov_b32_e32 v23, 0
	s_mov_b32 s15, exec_lo
	v_cmpx_ne_u32_e32 0x7f, v12
	s_cbranch_execz .LBB230_3116
; %bb.3113:                             ;   in Loop: Header=BB230_1564 Depth=1
	v_mov_b32_e32 v8, 7
	v_lshrrev_b32_e32 v10, 3, v12
	s_mov_b32 s18, exec_lo
	v_and_b32_sdwa v8, v102, v8 dst_sel:DWORD dst_unused:UNUSED_PAD src0_sel:WORD_1 src1_sel:DWORD
	v_mov_b32_e32 v23, v9
	v_mov_b32_e32 v22, v8
	v_cmpx_gt_u32_e32 8, v12
; %bb.3114:                             ;   in Loop: Header=BB230_1564 Depth=1
	v_ffbh_u32_e32 v10, v8
	v_min_u32_e32 v10, 32, v10
	v_subrev_nc_u32_e32 v12, 28, v10
	v_sub_nc_u32_e32 v10, 29, v10
	v_lshlrev_b64 v[22:23], v12, v[8:9]
	v_and_b32_e32 v22, 7, v22
; %bb.3115:                             ;   in Loop: Header=BB230_1564 Depth=1
	s_or_b32 exec_lo, exec_lo, s18
	v_mov_b32_e32 v8, 24
	v_lshlrev_b32_e32 v12, 20, v22
	v_lshl_add_u32 v10, v10, 23, 0x3c000000
	v_lshlrev_b32_sdwa v8, v8, v102 dst_sel:DWORD dst_unused:UNUSED_PAD src0_sel:DWORD src1_sel:WORD_1
	v_and_b32_e32 v8, 0x80000000, v8
	v_or3_b32 v8, v12, v8, v10
	v_mov_b32_e32 v23, v9
	v_mov_b32_e32 v22, v8
.LBB230_3116:                           ;   in Loop: Header=BB230_1564 Depth=1
	s_or_b32 exec_lo, exec_lo, s15
.LBB230_3117:                           ;   in Loop: Header=BB230_1564 Depth=1
	s_or_b32 exec_lo, exec_lo, s13
.LBB230_3118:                           ;   in Loop: Header=BB230_1564 Depth=1
	s_or_b32 exec_lo, exec_lo, s7
	s_mov_b32 s7, exec_lo
	v_cmpx_lt_u32_e32 0xffffff, v102
	s_cbranch_execz .LBB230_3126
; %bb.3119:                             ;   in Loop: Header=BB230_1564 Depth=1
	v_mov_b32_e32 v104, v9
	v_cmp_ne_u32_sdwa s4, v102, v42 src0_sel:BYTE_3 src1_sel:DWORD
	v_mov_b32_e32 v20, v104
	v_mov_b32_e32 v21, v105
	s_and_saveexec_b32 s13, s4
	s_cbranch_execz .LBB230_3125
; %bb.3120:                             ;   in Loop: Header=BB230_1564 Depth=1
	v_mov_b32_e32 v12, v9
	v_mov_b32_e32 v21, v13
	v_bfe_u32 v103, v102, 24, 7
	s_mov_b32 s15, exec_lo
	v_mov_b32_e32 v20, v12
	v_cmpx_ne_u32_e32 0x7f, v103
	s_cbranch_execz .LBB230_3124
; %bb.3121:                             ;   in Loop: Header=BB230_1564 Depth=1
	v_mov_b32_e32 v8, 7
	v_lshrrev_b32_e32 v10, 3, v103
	s_mov_b32 s18, exec_lo
	v_and_b32_sdwa v8, v102, v8 dst_sel:DWORD dst_unused:UNUSED_PAD src0_sel:BYTE_3 src1_sel:DWORD
	v_mov_b32_e32 v21, v9
	v_mov_b32_e32 v20, v8
	v_cmpx_gt_u32_e32 8, v103
; %bb.3122:                             ;   in Loop: Header=BB230_1564 Depth=1
	v_ffbh_u32_e32 v10, v8
	v_min_u32_e32 v10, 32, v10
	v_subrev_nc_u32_e32 v12, 28, v10
	v_sub_nc_u32_e32 v10, 29, v10
	v_lshlrev_b64 v[20:21], v12, v[8:9]
	v_and_b32_e32 v20, 7, v20
; %bb.3123:                             ;   in Loop: Header=BB230_1564 Depth=1
	s_or_b32 exec_lo, exec_lo, s18
	v_mov_b32_e32 v8, 24
	v_lshlrev_b32_e32 v12, 20, v20
	v_lshl_add_u32 v10, v10, 23, 0x3c000000
	v_mov_b32_e32 v20, v9
	v_lshlrev_b32_sdwa v8, v8, v102 dst_sel:DWORD dst_unused:UNUSED_PAD src0_sel:DWORD src1_sel:BYTE_3
	v_and_b32_e32 v8, 0x80000000, v8
	v_or3_b32 v21, v12, v8, v10
.LBB230_3124:                           ;   in Loop: Header=BB230_1564 Depth=1
	s_or_b32 exec_lo, exec_lo, s15
.LBB230_3125:                           ;   in Loop: Header=BB230_1564 Depth=1
	s_or_b32 exec_lo, exec_lo, s13
.LBB230_3126:                           ;   in Loop: Header=BB230_1564 Depth=1
	s_or_b32 exec_lo, exec_lo, s7
	v_or_b32_e32 v8, v19, v17
	v_or_b32_e32 v10, v18, v16
	;; [unrolled: 1-line block ×4, first 2 shown]
	v_mul_f32_e32 v113, v59, v8
	v_mul_f32_e32 v112, v41, v10
	;; [unrolled: 1-line block ×4, first 2 shown]
	s_and_saveexec_b32 s7, vcc_lo
	s_cbranch_execz .LBB230_3128
; %bb.3127:                             ;   in Loop: Header=BB230_1564 Depth=1
	v_cmp_lt_i32_e64 s4, v93, v73
	v_cndmask_b32_e64 v112, 0, v112, s4
	v_cmp_lt_i32_e64 s4, v95, v73
	v_cndmask_b32_e64 v113, 0, v113, s4
	;; [unrolled: 2-line block ×4, first 2 shown]
.LBB230_3128:                           ;   in Loop: Header=BB230_1564 Depth=1
	s_or_b32 exec_lo, exec_lo, s7
	flat_load_dword v114, v[0:1] offset:1792
	v_mov_b32_e32 v18, 0
	v_mov_b32_e32 v16, 0
	;; [unrolled: 1-line block ×4, first 2 shown]
	s_waitcnt vmcnt(0) lgkmcnt(0)
	v_cmp_ne_u16_sdwa s4, v114, v9 src0_sel:BYTE_0 src1_sel:DWORD
	s_and_saveexec_b32 s7, s4
	s_cbranch_execz .LBB230_3136
; %bb.3129:                             ;   in Loop: Header=BB230_1564 Depth=1
	v_bfrev_b32_e32 v16, 1
	v_mov_b32_e32 v17, 0
	v_cmp_ne_u16_sdwa s4, v114, v42 src0_sel:BYTE_0 src1_sel:DWORD
	s_and_saveexec_b32 s13, s4
	s_cbranch_execz .LBB230_3135
; %bb.3130:                             ;   in Loop: Header=BB230_1564 Depth=1
	v_mov_b32_e32 v16, 0x7f800001
	v_and_b32_e32 v12, 0x7f, v114
	v_mov_b32_e32 v17, 0
	s_mov_b32 s15, exec_lo
	v_cmpx_ne_u32_e32 0x7f, v12
	s_cbranch_execz .LBB230_3134
; %bb.3131:                             ;   in Loop: Header=BB230_1564 Depth=1
	v_and_b32_e32 v8, 7, v114
	v_mov_b32_e32 v17, v9
	v_lshrrev_b32_e32 v10, 3, v12
	s_mov_b32 s18, exec_lo
	v_mov_b32_e32 v16, v8
	v_cmpx_gt_u32_e32 8, v12
; %bb.3132:                             ;   in Loop: Header=BB230_1564 Depth=1
	v_ffbh_u32_e32 v10, v8
	v_min_u32_e32 v10, 32, v10
	v_subrev_nc_u32_e32 v12, 28, v10
	v_sub_nc_u32_e32 v10, 29, v10
	v_lshlrev_b64 v[16:17], v12, v[8:9]
	v_and_b32_e32 v16, 7, v16
; %bb.3133:                             ;   in Loop: Header=BB230_1564 Depth=1
	s_or_b32 exec_lo, exec_lo, s18
	v_lshlrev_b32_e32 v8, 24, v114
	v_lshlrev_b32_e32 v12, 20, v16
	v_lshl_add_u32 v10, v10, 23, 0x3c000000
	v_and_b32_e32 v8, 0x80000000, v8
	v_or3_b32 v8, v12, v8, v10
	v_mov_b32_e32 v17, v9
	v_mov_b32_e32 v16, v8
.LBB230_3134:                           ;   in Loop: Header=BB230_1564 Depth=1
	s_or_b32 exec_lo, exec_lo, s15
.LBB230_3135:                           ;   in Loop: Header=BB230_1564 Depth=1
	s_or_b32 exec_lo, exec_lo, s13
.LBB230_3136:                           ;   in Loop: Header=BB230_1564 Depth=1
	s_or_b32 exec_lo, exec_lo, s7
	v_cmp_ne_u16_sdwa s4, v114, v9 src0_sel:BYTE_1 src1_sel:DWORD
	s_and_saveexec_b32 s7, s4
	s_cbranch_execz .LBB230_3144
; %bb.3137:                             ;   in Loop: Header=BB230_1564 Depth=1
	v_mov_b32_e32 v104, v9
	v_cmp_ne_u16_sdwa s4, v114, v42 src0_sel:BYTE_1 src1_sel:DWORD
	v_mov_b32_e32 v18, v104
	v_mov_b32_e32 v19, v105
	s_and_saveexec_b32 s13, s4
	s_cbranch_execz .LBB230_3143
; %bb.3138:                             ;   in Loop: Header=BB230_1564 Depth=1
	v_mov_b32_e32 v8, 0xffff
	v_mov_b32_e32 v12, v9
	;; [unrolled: 1-line block ×3, first 2 shown]
	s_mov_b32 s15, exec_lo
	v_and_b32_sdwa v8, v8, v114 dst_sel:DWORD dst_unused:UNUSED_PAD src0_sel:DWORD src1_sel:BYTE_1
	v_mov_b32_e32 v18, v12
	v_and_b32_e32 v20, 0x7f, v8
	v_cmpx_ne_u32_e32 0x7f, v20
	s_cbranch_execz .LBB230_3142
; %bb.3139:                             ;   in Loop: Header=BB230_1564 Depth=1
	v_and_b32_e32 v8, 7, v8
	v_mov_b32_e32 v19, v9
	v_lshrrev_b32_e32 v10, 3, v20
	s_mov_b32 s18, exec_lo
	v_mov_b32_e32 v18, v8
	v_cmpx_gt_u32_e32 8, v20
; %bb.3140:                             ;   in Loop: Header=BB230_1564 Depth=1
	v_ffbh_u32_e32 v10, v8
	v_min_u32_e32 v10, 32, v10
	v_subrev_nc_u32_e32 v12, 28, v10
	v_sub_nc_u32_e32 v10, 29, v10
	v_lshlrev_b64 v[18:19], v12, v[8:9]
	v_and_b32_e32 v18, 7, v18
; %bb.3141:                             ;   in Loop: Header=BB230_1564 Depth=1
	s_or_b32 exec_lo, exec_lo, s18
	v_lshlrev_b32_e32 v8, 16, v114
	v_lshlrev_b32_e32 v12, 20, v18
	v_lshl_add_u32 v10, v10, 23, 0x3c000000
	v_mov_b32_e32 v18, v9
	v_and_b32_e32 v8, 0x80000000, v8
	v_or3_b32 v19, v12, v8, v10
.LBB230_3142:                           ;   in Loop: Header=BB230_1564 Depth=1
	s_or_b32 exec_lo, exec_lo, s15
.LBB230_3143:                           ;   in Loop: Header=BB230_1564 Depth=1
	s_or_b32 exec_lo, exec_lo, s13
.LBB230_3144:                           ;   in Loop: Header=BB230_1564 Depth=1
	s_or_b32 exec_lo, exec_lo, s7
	v_mov_b32_e32 v20, 0
	v_mov_b32_e32 v22, 0
	v_and_b32_sdwa v8, v114, v44 dst_sel:DWORD dst_unused:UNUSED_PAD src0_sel:WORD_1 src1_sel:DWORD
	v_mov_b32_e32 v21, 0
	v_mov_b32_e32 v23, 0
	s_mov_b32 s7, exec_lo
	v_cmpx_ne_u16_e32 0, v8
	s_cbranch_execz .LBB230_3152
; %bb.3145:                             ;   in Loop: Header=BB230_1564 Depth=1
	v_bfrev_b32_e32 v22, 1
	v_mov_b32_e32 v23, 0
	s_mov_b32 s13, exec_lo
	v_cmpx_ne_u16_e32 0x80, v8
	s_cbranch_execz .LBB230_3151
; %bb.3146:                             ;   in Loop: Header=BB230_1564 Depth=1
	v_mov_b32_e32 v22, 0x7f800001
	v_bfe_u32 v12, v114, 16, 7
	v_mov_b32_e32 v23, 0
	s_mov_b32 s15, exec_lo
	v_cmpx_ne_u32_e32 0x7f, v12
	s_cbranch_execz .LBB230_3150
; %bb.3147:                             ;   in Loop: Header=BB230_1564 Depth=1
	v_mov_b32_e32 v8, 7
	v_lshrrev_b32_e32 v10, 3, v12
	s_mov_b32 s18, exec_lo
	v_and_b32_sdwa v8, v114, v8 dst_sel:DWORD dst_unused:UNUSED_PAD src0_sel:WORD_1 src1_sel:DWORD
	v_mov_b32_e32 v23, v9
	v_mov_b32_e32 v22, v8
	v_cmpx_gt_u32_e32 8, v12
; %bb.3148:                             ;   in Loop: Header=BB230_1564 Depth=1
	v_ffbh_u32_e32 v10, v8
	v_min_u32_e32 v10, 32, v10
	v_subrev_nc_u32_e32 v12, 28, v10
	v_sub_nc_u32_e32 v10, 29, v10
	v_lshlrev_b64 v[22:23], v12, v[8:9]
	v_and_b32_e32 v22, 7, v22
; %bb.3149:                             ;   in Loop: Header=BB230_1564 Depth=1
	s_or_b32 exec_lo, exec_lo, s18
	v_mov_b32_e32 v8, 24
	v_lshlrev_b32_e32 v12, 20, v22
	v_lshl_add_u32 v10, v10, 23, 0x3c000000
	v_lshlrev_b32_sdwa v8, v8, v114 dst_sel:DWORD dst_unused:UNUSED_PAD src0_sel:DWORD src1_sel:WORD_1
	v_and_b32_e32 v8, 0x80000000, v8
	v_or3_b32 v8, v12, v8, v10
	v_mov_b32_e32 v23, v9
	v_mov_b32_e32 v22, v8
.LBB230_3150:                           ;   in Loop: Header=BB230_1564 Depth=1
	s_or_b32 exec_lo, exec_lo, s15
.LBB230_3151:                           ;   in Loop: Header=BB230_1564 Depth=1
	s_or_b32 exec_lo, exec_lo, s13
.LBB230_3152:                           ;   in Loop: Header=BB230_1564 Depth=1
	s_or_b32 exec_lo, exec_lo, s7
	s_mov_b32 s7, exec_lo
	v_cmpx_lt_u32_e32 0xffffff, v114
	s_cbranch_execz .LBB230_3160
; %bb.3153:                             ;   in Loop: Header=BB230_1564 Depth=1
	v_mov_b32_e32 v104, v9
	v_cmp_ne_u32_sdwa s4, v114, v42 src0_sel:BYTE_3 src1_sel:DWORD
	v_mov_b32_e32 v20, v104
	v_mov_b32_e32 v21, v105
	s_and_saveexec_b32 s13, s4
	s_cbranch_execz .LBB230_3159
; %bb.3154:                             ;   in Loop: Header=BB230_1564 Depth=1
	v_mov_b32_e32 v12, v9
	v_mov_b32_e32 v21, v13
	v_bfe_u32 v115, v114, 24, 7
	s_mov_b32 s15, exec_lo
	v_mov_b32_e32 v20, v12
	v_cmpx_ne_u32_e32 0x7f, v115
	s_cbranch_execz .LBB230_3158
; %bb.3155:                             ;   in Loop: Header=BB230_1564 Depth=1
	v_mov_b32_e32 v8, 7
	v_lshrrev_b32_e32 v10, 3, v115
	s_mov_b32 s18, exec_lo
	v_and_b32_sdwa v8, v114, v8 dst_sel:DWORD dst_unused:UNUSED_PAD src0_sel:BYTE_3 src1_sel:DWORD
	v_mov_b32_e32 v21, v9
	v_mov_b32_e32 v20, v8
	v_cmpx_gt_u32_e32 8, v115
; %bb.3156:                             ;   in Loop: Header=BB230_1564 Depth=1
	v_ffbh_u32_e32 v10, v8
	v_min_u32_e32 v10, 32, v10
	v_subrev_nc_u32_e32 v12, 28, v10
	v_sub_nc_u32_e32 v10, 29, v10
	v_lshlrev_b64 v[20:21], v12, v[8:9]
	v_and_b32_e32 v20, 7, v20
; %bb.3157:                             ;   in Loop: Header=BB230_1564 Depth=1
	s_or_b32 exec_lo, exec_lo, s18
	v_mov_b32_e32 v8, 24
	v_lshlrev_b32_e32 v12, 20, v20
	v_lshl_add_u32 v10, v10, 23, 0x3c000000
	v_mov_b32_e32 v20, v9
	v_lshlrev_b32_sdwa v8, v8, v114 dst_sel:DWORD dst_unused:UNUSED_PAD src0_sel:DWORD src1_sel:BYTE_3
	v_and_b32_e32 v8, 0x80000000, v8
	v_or3_b32 v21, v12, v8, v10
.LBB230_3158:                           ;   in Loop: Header=BB230_1564 Depth=1
	s_or_b32 exec_lo, exec_lo, s15
.LBB230_3159:                           ;   in Loop: Header=BB230_1564 Depth=1
	s_or_b32 exec_lo, exec_lo, s13
.LBB230_3160:                           ;   in Loop: Header=BB230_1564 Depth=1
	s_or_b32 exec_lo, exec_lo, s7
	v_or_b32_e32 v8, v19, v17
	v_or_b32_e32 v10, v18, v16
	;; [unrolled: 1-line block ×4, first 2 shown]
	v_mul_f32_e32 v115, v59, v8
	v_mul_f32_e32 v114, v41, v10
	;; [unrolled: 1-line block ×4, first 2 shown]
	s_and_saveexec_b32 s7, vcc_lo
	s_cbranch_execz .LBB230_3162
; %bb.3161:                             ;   in Loop: Header=BB230_1564 Depth=1
	v_cmp_lt_i32_e64 s4, v93, v73
	v_cndmask_b32_e64 v114, 0, v114, s4
	v_cmp_lt_i32_e64 s4, v95, v73
	v_cndmask_b32_e64 v115, 0, v115, s4
	;; [unrolled: 2-line block ×4, first 2 shown]
.LBB230_3162:                           ;   in Loop: Header=BB230_1564 Depth=1
	s_or_b32 exec_lo, exec_lo, s7
	flat_load_dword v116, v[0:1] offset:1920
	v_mov_b32_e32 v16, 0
	v_mov_b32_e32 v0, 0
	;; [unrolled: 1-line block ×4, first 2 shown]
	s_waitcnt vmcnt(0) lgkmcnt(0)
	v_cmp_ne_u16_sdwa s4, v116, v9 src0_sel:BYTE_0 src1_sel:DWORD
	s_and_saveexec_b32 s7, s4
	s_cbranch_execz .LBB230_3170
; %bb.3163:                             ;   in Loop: Header=BB230_1564 Depth=1
	v_bfrev_b32_e32 v0, 1
	v_mov_b32_e32 v1, 0
	v_cmp_ne_u16_sdwa s4, v116, v42 src0_sel:BYTE_0 src1_sel:DWORD
	s_and_saveexec_b32 s13, s4
	s_cbranch_execz .LBB230_3169
; %bb.3164:                             ;   in Loop: Header=BB230_1564 Depth=1
	v_mov_b32_e32 v0, 0x7f800001
	v_and_b32_e32 v12, 0x7f, v116
	v_mov_b32_e32 v1, 0
	s_mov_b32 s15, exec_lo
	v_cmpx_ne_u32_e32 0x7f, v12
	s_cbranch_execz .LBB230_3168
; %bb.3165:                             ;   in Loop: Header=BB230_1564 Depth=1
	v_and_b32_e32 v8, 7, v116
	v_lshrrev_b32_e32 v10, 3, v12
	s_mov_b32 s18, exec_lo
	v_mov_b32_e32 v0, v8
	v_mov_b32_e32 v1, v9
	v_cmpx_gt_u32_e32 8, v12
; %bb.3166:                             ;   in Loop: Header=BB230_1564 Depth=1
	v_ffbh_u32_e32 v0, v8
	v_min_u32_e32 v10, 32, v0
	v_subrev_nc_u32_e32 v0, 28, v10
	v_sub_nc_u32_e32 v10, 29, v10
	v_lshlrev_b64 v[0:1], v0, v[8:9]
	v_and_b32_e32 v0, 7, v0
; %bb.3167:                             ;   in Loop: Header=BB230_1564 Depth=1
	s_or_b32 exec_lo, exec_lo, s18
	v_lshlrev_b32_e32 v1, 24, v116
	v_lshlrev_b32_e32 v0, 20, v0
	v_lshl_add_u32 v8, v10, 23, 0x3c000000
	v_and_b32_e32 v1, 0x80000000, v1
	v_or3_b32 v8, v0, v1, v8
	v_mov_b32_e32 v0, v8
	v_mov_b32_e32 v1, v9
.LBB230_3168:                           ;   in Loop: Header=BB230_1564 Depth=1
	s_or_b32 exec_lo, exec_lo, s15
.LBB230_3169:                           ;   in Loop: Header=BB230_1564 Depth=1
	s_or_b32 exec_lo, exec_lo, s13
.LBB230_3170:                           ;   in Loop: Header=BB230_1564 Depth=1
	s_or_b32 exec_lo, exec_lo, s7
	v_cmp_ne_u16_sdwa s4, v116, v9 src0_sel:BYTE_1 src1_sel:DWORD
	s_and_saveexec_b32 s7, s4
	s_cbranch_execz .LBB230_3178
; %bb.3171:                             ;   in Loop: Header=BB230_1564 Depth=1
	v_mov_b32_e32 v104, v9
	v_cmp_ne_u16_sdwa s4, v116, v42 src0_sel:BYTE_1 src1_sel:DWORD
	v_mov_b32_e32 v16, v104
	v_mov_b32_e32 v17, v105
	s_and_saveexec_b32 s13, s4
	s_cbranch_execz .LBB230_3177
; %bb.3172:                             ;   in Loop: Header=BB230_1564 Depth=1
	v_mov_b32_e32 v8, 0xffff
	v_mov_b32_e32 v12, v9
	v_mov_b32_e32 v17, v13
	s_mov_b32 s15, exec_lo
	v_and_b32_sdwa v8, v8, v116 dst_sel:DWORD dst_unused:UNUSED_PAD src0_sel:DWORD src1_sel:BYTE_1
	v_mov_b32_e32 v16, v12
	v_and_b32_e32 v18, 0x7f, v8
	v_cmpx_ne_u32_e32 0x7f, v18
	s_cbranch_execz .LBB230_3176
; %bb.3173:                             ;   in Loop: Header=BB230_1564 Depth=1
	v_and_b32_e32 v8, 7, v8
	v_mov_b32_e32 v17, v9
	v_lshrrev_b32_e32 v10, 3, v18
	s_mov_b32 s18, exec_lo
	v_mov_b32_e32 v16, v8
	v_cmpx_gt_u32_e32 8, v18
; %bb.3174:                             ;   in Loop: Header=BB230_1564 Depth=1
	v_ffbh_u32_e32 v10, v8
	v_min_u32_e32 v10, 32, v10
	v_subrev_nc_u32_e32 v12, 28, v10
	v_sub_nc_u32_e32 v10, 29, v10
	v_lshlrev_b64 v[16:17], v12, v[8:9]
	v_and_b32_e32 v16, 7, v16
; %bb.3175:                             ;   in Loop: Header=BB230_1564 Depth=1
	s_or_b32 exec_lo, exec_lo, s18
	v_lshlrev_b32_e32 v8, 16, v116
	v_lshlrev_b32_e32 v12, 20, v16
	v_lshl_add_u32 v10, v10, 23, 0x3c000000
	v_mov_b32_e32 v16, v9
	v_and_b32_e32 v8, 0x80000000, v8
	v_or3_b32 v17, v12, v8, v10
.LBB230_3176:                           ;   in Loop: Header=BB230_1564 Depth=1
	s_or_b32 exec_lo, exec_lo, s15
.LBB230_3177:                           ;   in Loop: Header=BB230_1564 Depth=1
	s_or_b32 exec_lo, exec_lo, s13
.LBB230_3178:                           ;   in Loop: Header=BB230_1564 Depth=1
	s_or_b32 exec_lo, exec_lo, s7
	v_mov_b32_e32 v18, 0
	v_mov_b32_e32 v20, 0
	v_and_b32_sdwa v8, v116, v44 dst_sel:DWORD dst_unused:UNUSED_PAD src0_sel:WORD_1 src1_sel:DWORD
	v_mov_b32_e32 v19, 0
	v_mov_b32_e32 v21, 0
	s_mov_b32 s7, exec_lo
	v_cmpx_ne_u16_e32 0, v8
	s_cbranch_execz .LBB230_3186
; %bb.3179:                             ;   in Loop: Header=BB230_1564 Depth=1
	v_bfrev_b32_e32 v20, 1
	v_mov_b32_e32 v21, 0
	s_mov_b32 s13, exec_lo
	v_cmpx_ne_u16_e32 0x80, v8
	s_cbranch_execz .LBB230_3185
; %bb.3180:                             ;   in Loop: Header=BB230_1564 Depth=1
	v_mov_b32_e32 v20, 0x7f800001
	v_bfe_u32 v12, v116, 16, 7
	v_mov_b32_e32 v21, 0
	s_mov_b32 s15, exec_lo
	v_cmpx_ne_u32_e32 0x7f, v12
	s_cbranch_execz .LBB230_3184
; %bb.3181:                             ;   in Loop: Header=BB230_1564 Depth=1
	v_mov_b32_e32 v8, 7
	v_lshrrev_b32_e32 v10, 3, v12
	s_mov_b32 s18, exec_lo
	v_and_b32_sdwa v8, v116, v8 dst_sel:DWORD dst_unused:UNUSED_PAD src0_sel:WORD_1 src1_sel:DWORD
	v_mov_b32_e32 v21, v9
	v_mov_b32_e32 v20, v8
	v_cmpx_gt_u32_e32 8, v12
; %bb.3182:                             ;   in Loop: Header=BB230_1564 Depth=1
	v_ffbh_u32_e32 v10, v8
	v_min_u32_e32 v10, 32, v10
	v_subrev_nc_u32_e32 v12, 28, v10
	v_sub_nc_u32_e32 v10, 29, v10
	v_lshlrev_b64 v[20:21], v12, v[8:9]
	v_and_b32_e32 v20, 7, v20
; %bb.3183:                             ;   in Loop: Header=BB230_1564 Depth=1
	s_or_b32 exec_lo, exec_lo, s18
	v_mov_b32_e32 v8, 24
	v_lshlrev_b32_e32 v12, 20, v20
	v_lshl_add_u32 v10, v10, 23, 0x3c000000
	v_lshlrev_b32_sdwa v8, v8, v116 dst_sel:DWORD dst_unused:UNUSED_PAD src0_sel:DWORD src1_sel:WORD_1
	v_and_b32_e32 v8, 0x80000000, v8
	v_or3_b32 v8, v12, v8, v10
	v_mov_b32_e32 v21, v9
	v_mov_b32_e32 v20, v8
.LBB230_3184:                           ;   in Loop: Header=BB230_1564 Depth=1
	s_or_b32 exec_lo, exec_lo, s15
.LBB230_3185:                           ;   in Loop: Header=BB230_1564 Depth=1
	s_or_b32 exec_lo, exec_lo, s13
.LBB230_3186:                           ;   in Loop: Header=BB230_1564 Depth=1
	s_or_b32 exec_lo, exec_lo, s7
	s_mov_b32 s7, exec_lo
	v_cmpx_lt_u32_e32 0xffffff, v116
	s_cbranch_execz .LBB230_3194
; %bb.3187:                             ;   in Loop: Header=BB230_1564 Depth=1
	v_mov_b32_e32 v104, v9
	v_cmp_ne_u32_sdwa s4, v116, v42 src0_sel:BYTE_3 src1_sel:DWORD
	v_mov_b32_e32 v18, v104
	v_mov_b32_e32 v19, v105
	s_and_saveexec_b32 s13, s4
	s_cbranch_execz .LBB230_3193
; %bb.3188:                             ;   in Loop: Header=BB230_1564 Depth=1
	v_mov_b32_e32 v12, v9
	v_mov_b32_e32 v19, v13
	;; [unrolled: 1-line block ×3, first 2 shown]
	v_bfe_u32 v117, v116, 24, 7
	s_mov_b32 s15, exec_lo
	v_mov_b32_e32 v18, v12
	v_cmpx_ne_u32_e32 0x7f, v117
	s_cbranch_execz .LBB230_3192
; %bb.3189:                             ;   in Loop: Header=BB230_1564 Depth=1
	v_mov_b32_e32 v8, 7
	v_lshrrev_b32_e32 v10, 3, v117
	s_mov_b32 s18, exec_lo
	v_and_b32_sdwa v8, v116, v8 dst_sel:DWORD dst_unused:UNUSED_PAD src0_sel:BYTE_3 src1_sel:DWORD
	v_mov_b32_e32 v19, v9
	v_mov_b32_e32 v18, v8
	v_cmpx_gt_u32_e32 8, v117
; %bb.3190:                             ;   in Loop: Header=BB230_1564 Depth=1
	v_ffbh_u32_e32 v10, v8
	v_min_u32_e32 v10, 32, v10
	v_subrev_nc_u32_e32 v12, 28, v10
	v_sub_nc_u32_e32 v10, 29, v10
	v_lshlrev_b64 v[18:19], v12, v[8:9]
	v_and_b32_e32 v18, 7, v18
; %bb.3191:                             ;   in Loop: Header=BB230_1564 Depth=1
	s_or_b32 exec_lo, exec_lo, s18
	v_mov_b32_e32 v8, 24
	v_lshlrev_b32_e32 v12, 20, v18
	v_lshl_add_u32 v10, v10, 23, 0x3c000000
	v_mov_b32_e32 v18, v9
	v_lshlrev_b32_sdwa v8, v8, v116 dst_sel:DWORD dst_unused:UNUSED_PAD src0_sel:DWORD src1_sel:BYTE_3
	v_and_b32_e32 v8, 0x80000000, v8
	v_or3_b32 v19, v12, v8, v10
.LBB230_3192:                           ;   in Loop: Header=BB230_1564 Depth=1
	s_or_b32 exec_lo, exec_lo, s15
	v_mov_b32_e32 v117, v118
.LBB230_3193:                           ;   in Loop: Header=BB230_1564 Depth=1
	s_or_b32 exec_lo, exec_lo, s13
.LBB230_3194:                           ;   in Loop: Header=BB230_1564 Depth=1
	s_or_b32 exec_lo, exec_lo, s7
	v_or_b32_e32 v1, v17, v1
	v_or_b32_e32 v0, v16, v0
	;; [unrolled: 1-line block ×4, first 2 shown]
	v_mul_f32_e32 v10, v59, v1
	v_mul_f32_e32 v8, v41, v0
	;; [unrolled: 1-line block ×4, first 2 shown]
	s_and_saveexec_b32 s4, vcc_lo
	s_cbranch_execz .LBB230_1563
; %bb.3195:                             ;   in Loop: Header=BB230_1564 Depth=1
	v_cmp_lt_i32_e32 vcc_lo, v93, v73
	v_cndmask_b32_e32 v8, 0, v8, vcc_lo
	v_cmp_lt_i32_e32 vcc_lo, v95, v73
	v_cndmask_b32_e32 v10, 0, v10, vcc_lo
	;; [unrolled: 2-line block ×4, first 2 shown]
	s_branch .LBB230_1563
.LBB230_3196:
	s_or_b32 exec_lo, exec_lo, s6
	s_clause 0x2e
	buffer_load_dword v55, off, s[0:3], s32 offset:1352
	buffer_load_dword v65, off, s[0:3], s32 offset:1356
	;; [unrolled: 1-line block ×47, first 2 shown]
	v_mov_b32_e32 v0, s16
	v_mov_b32_e32 v1, s17
.LBB230_3197:
	s_or_b32 exec_lo, exec_lo, s5
	v_lshlrev_b64 v[0:1], 2, v[0:1]
	s_getpc_b64 s[4:5]
	s_add_u32 s4, s4, llvm.amdgcn.dynlds.offset.table@rel32@lo+4
	s_addc_u32 s5, s5, llvm.amdgcn.dynlds.offset.table@rel32@hi+12
	s_waitcnt vmcnt(0)
	s_waitcnt_vscnt null, 0x0
	s_barrier
	buffer_gl0_inv
	v_mov_b32_e32 v75, v9
	v_add_co_u32 v0, vcc_lo, s4, v0
	v_add_co_ci_u32_e64 v1, null, s5, v1, vcc_lo
	v_cmp_eq_u32_e32 vcc_lo, 0, v65
	buffer_load_dword v65, off, s[0:3], s32 offset:2324 ; 4-byte Folded Reload
	ds_bpermute_b32 v2, v55, v8
	global_load_dword v64, v[0:1], off
	ds_bpermute_b32 v1, v55, v9
	ds_bpermute_b32 v0, v55, v3
	v_mov_b32_e32 v72, v3
	ds_bpermute_b32 v3, v55, v7
	v_mov_b32_e32 v63, v4
	;; [unrolled: 2-line block ×6, first 2 shown]
	ds_bpermute_b32 v8, v55, v59
	ds_bpermute_b32 v9, v55, v58
	;; [unrolled: 1-line block ×7, first 2 shown]
	s_waitcnt lgkmcnt(13)
	v_add_f32_e32 v1, v75, v1
	ds_bpermute_b32 v15, v55, v44
	v_mov_b32_e32 v43, v16
	ds_bpermute_b32 v16, v55, v16
	ds_bpermute_b32 v17, v55, v42
	;; [unrolled: 1-line block ×32, first 2 shown]
	s_waitcnt lgkmcnt(45)
	v_add_f32_e32 v0, v72, v0
	v_add_f32_e32 v2, v74, v2
	s_waitcnt lgkmcnt(44)
	v_add_f32_e32 v3, v73, v3
	s_waitcnt lgkmcnt(43)
	v_add_f32_e32 v4, v63, v4
	s_waitcnt lgkmcnt(42)
	v_add_f32_e32 v5, v62, v5
	s_waitcnt lgkmcnt(41)
	v_add_f32_e32 v6, v61, v6
	s_waitcnt lgkmcnt(40)
	v_add_f32_e32 v7, v60, v7
	s_waitcnt lgkmcnt(39)
	v_add_f32_e32 v8, v59, v8
	s_waitcnt lgkmcnt(38)
	v_add_f32_e32 v9, v58, v9
	s_waitcnt lgkmcnt(37)
	v_add_f32_e32 v10, v57, v10
	s_waitcnt lgkmcnt(36)
	v_add_f32_e32 v11, v56, v11
	s_waitcnt lgkmcnt(35)
	v_add_f32_e32 v12, v47, v12
	s_waitcnt lgkmcnt(34)
	v_add_f32_e32 v13, v46, v13
	s_waitcnt lgkmcnt(33)
	v_add_f32_e32 v14, v45, v14
	s_waitcnt lgkmcnt(32)
	v_add_f32_e32 v15, v44, v15
	s_waitcnt lgkmcnt(31)
	v_add_f32_e32 v16, v43, v16
	s_waitcnt lgkmcnt(30)
	v_add_f32_e32 v17, v42, v17
	s_waitcnt lgkmcnt(29)
	v_add_f32_e32 v18, v41, v18
	s_waitcnt lgkmcnt(28)
	v_add_f32_e32 v19, v40, v19
	s_waitcnt lgkmcnt(27)
	v_add_f32_e32 v20, v118, v20
	s_waitcnt lgkmcnt(26)
	v_add_f32_e32 v21, v116, v21
	s_waitcnt lgkmcnt(25)
	v_add_f32_e32 v22, v115, v22
	s_waitcnt lgkmcnt(24)
	v_add_f32_e32 v23, v114, v23
	s_waitcnt lgkmcnt(23)
	v_add_f32_e32 v24, v113, v24
	s_waitcnt lgkmcnt(22)
	v_add_f32_e32 v25, v112, v25
	s_waitcnt lgkmcnt(21)
	v_add_f32_e32 v26, v103, v26
	s_waitcnt lgkmcnt(20)
	v_add_f32_e32 v27, v102, v27
	s_waitcnt lgkmcnt(19)
	v_add_f32_e32 v28, v101, v28
	s_waitcnt lgkmcnt(18)
	v_add_f32_e32 v29, v100, v29
	s_waitcnt lgkmcnt(17)
	v_add_f32_e32 v30, v99, v30
	s_waitcnt lgkmcnt(16)
	v_add_f32_e32 v31, v98, v31
	s_waitcnt lgkmcnt(15)
	v_add_f32_e32 v32, v97, v32
	s_waitcnt lgkmcnt(14)
	v_add_f32_e32 v33, v96, v33
	s_waitcnt lgkmcnt(13)
	v_add_f32_e32 v34, v87, v34
	s_waitcnt lgkmcnt(12)
	v_add_f32_e32 v35, v86, v35
	s_waitcnt lgkmcnt(11)
	v_add_f32_e32 v36, v85, v36
	s_waitcnt lgkmcnt(10)
	v_add_f32_e32 v37, v84, v37
	s_waitcnt lgkmcnt(9)
	v_add_f32_e32 v38, v83, v38
	s_waitcnt lgkmcnt(8)
	v_add_f32_e32 v39, v82, v39
	s_waitcnt lgkmcnt(7)
	v_add_f32_e32 v48, v81, v48
	s_waitcnt lgkmcnt(6)
	v_add_f32_e32 v49, v80, v49
	s_waitcnt lgkmcnt(5)
	v_add_f32_e32 v50, v71, v50
	s_waitcnt lgkmcnt(4)
	v_add_f32_e32 v51, v70, v51
	s_waitcnt lgkmcnt(3)
	v_add_f32_e32 v52, v69, v52
	s_waitcnt lgkmcnt(2)
	v_add_f32_e32 v53, v127, v53
	s_waitcnt lgkmcnt(1)
	v_add_f32_e32 v54, v119, v54
	s_waitcnt lgkmcnt(0)
	v_add_f32_e32 v55, v117, v55
	s_mov_b32 s5, exec_lo
	buffer_load_dword v75, off, s[0:3], s32 offset:1348 ; 4-byte Folded Reload
	s_waitcnt vmcnt(2)
	v_lshrrev_b32_e32 v66, 3, v65
	buffer_load_dword v65, off, s[0:3], s32 offset:2328 ; 4-byte Folded Reload
	s_waitcnt vmcnt(1)
	ds_bpermute_b32 v69, v75, v1
	ds_bpermute_b32 v70, v75, v2
	;; [unrolled: 1-line block ×46, first 2 shown]
	s_waitcnt lgkmcnt(45)
	v_add_f32_e32 v1, v1, v69
	s_waitcnt lgkmcnt(44)
	v_add_f32_e32 v2, v2, v70
	;; [unrolled: 2-line block ×46, first 2 shown]
	s_waitcnt vmcnt(0)
	v_mul_u32_u24_e32 v67, 0x300, v65
	buffer_load_dword v65, off, s[0:3], s32 offset:2320 ; 4-byte Folded Reload
	s_waitcnt vmcnt(0)
	v_and_b32_e32 v68, 0x3c0, v65
	ds_bpermute_b32 v65, v75, v0
	ds_bpermute_b32 v75, v75, v55
	s_waitcnt lgkmcnt(1)
	v_add_f32_e32 v0, v0, v65
	s_waitcnt lgkmcnt(0)
	v_add_f32_e32 v55, v55, v75
	buffer_load_dword v75, off, s[0:3], s32 offset:1344 ; 4-byte Folded Reload
	s_waitcnt vmcnt(0)
	ds_bpermute_b32 v65, v75, v0
	ds_bpermute_b32 v69, v75, v1
	;; [unrolled: 1-line block ×48, first 2 shown]
	s_waitcnt lgkmcnt(47)
	v_add_f32_e32 v0, v0, v65
	s_waitcnt lgkmcnt(46)
	v_add_f32_e32 v1, v1, v69
	;; [unrolled: 2-line block ×48, first 2 shown]
	v_lshl_add_u32 v65, v66, 2, v64
	v_cmpx_eq_u32_e32 64, v68
	s_cbranch_execz .LBB230_3200
; %bb.3198:
	s_and_b32 exec_lo, exec_lo, vcc_lo
	s_cbranch_execz .LBB230_3200
; %bb.3199:
	v_add_nc_u32_e32 v68, v65, v67
	v_add_nc_u32_e32 v69, 0xfffffa00, v68
	;; [unrolled: 1-line block ×8, first 2 shown]
	ds_write_b32 v69, v0
	ds_write_b32 v70, v1
	;; [unrolled: 1-line block ×3, first 2 shown]
	v_add_nc_u32_e32 v69, 0xfffffa70, v68
	ds_write_b32 v80, v3
	ds_write_b32 v81, v4
	ds_write_b32 v82, v5
	ds_write_b32 v83, v6
	ds_write_b32 v69, v7
	v_add_nc_u32_e32 v69, 0xfffffa80, v68
	v_add_nc_u32_e32 v70, 0xfffffa90, v68
	v_add_nc_u32_e32 v71, 0xfffffaa0, v68
	v_add_nc_u32_e32 v80, 0xfffffab0, v68
	v_add_nc_u32_e32 v81, 0xfffffac0, v68
	ds_write_b32 v69, v8
	ds_write_b32 v70, v9
	ds_write_b32 v71, v10
	ds_write_b32 v80, v11
	ds_write_b32 v81, v12
	v_add_nc_u32_e32 v69, 0xfffffad0, v68
	v_add_nc_u32_e32 v70, 0xfffffae0, v68
	v_add_nc_u32_e32 v71, 0xfffffaf0, v68
	v_add_nc_u32_e32 v80, 0xfffffb00, v68
	;; [unrolled: 10-line block ×8, first 2 shown]
	v_add_nc_u32_e32 v68, 0xfffffcf0, v68
	ds_write_b32 v69, v51
	ds_write_b32 v70, v52
	;; [unrolled: 1-line block ×5, first 2 shown]
.LBB230_3200:
	s_or_b32 exec_lo, exec_lo, s5
	v_lshlrev_b32_e32 v66, 2, v66
	s_mov_b32 s5, exec_lo
	v_add3_u32 v64, v64, v67, v66
	buffer_load_dword v66, off, s[0:3], s32 offset:2320 ; 4-byte Folded Reload
	s_waitcnt vmcnt(0) lgkmcnt(0)
	s_barrier
	buffer_gl0_inv
	v_cmpx_gt_u32_e32 64, v66
	s_cbranch_execz .LBB230_3251
; %bb.3201:
	s_and_saveexec_b32 s4, vcc_lo
	s_cbranch_execnz .LBB230_3308
; %bb.3202:
	s_or_b32 exec_lo, exec_lo, s4
	s_and_saveexec_b32 s4, vcc_lo
	s_cbranch_execnz .LBB230_3309
.LBB230_3203:
	s_or_b32 exec_lo, exec_lo, s4
	s_and_saveexec_b32 s4, vcc_lo
	s_cbranch_execnz .LBB230_3310
.LBB230_3204:
	s_or_b32 exec_lo, exec_lo, s4
	s_and_saveexec_b32 s4, vcc_lo
	s_cbranch_execnz .LBB230_3311
.LBB230_3205:
	s_or_b32 exec_lo, exec_lo, s4
	s_and_saveexec_b32 s4, vcc_lo
	s_cbranch_execnz .LBB230_3312
.LBB230_3206:
	s_or_b32 exec_lo, exec_lo, s4
	s_and_saveexec_b32 s4, vcc_lo
	s_cbranch_execnz .LBB230_3313
.LBB230_3207:
	s_or_b32 exec_lo, exec_lo, s4
	s_and_saveexec_b32 s4, vcc_lo
	s_cbranch_execnz .LBB230_3314
.LBB230_3208:
	s_or_b32 exec_lo, exec_lo, s4
	s_and_saveexec_b32 s4, vcc_lo
	s_cbranch_execnz .LBB230_3315
.LBB230_3209:
	s_or_b32 exec_lo, exec_lo, s4
	s_and_saveexec_b32 s4, vcc_lo
	s_cbranch_execnz .LBB230_3316
.LBB230_3210:
	s_or_b32 exec_lo, exec_lo, s4
	s_and_saveexec_b32 s4, vcc_lo
	s_cbranch_execnz .LBB230_3317
.LBB230_3211:
	s_or_b32 exec_lo, exec_lo, s4
	s_and_saveexec_b32 s4, vcc_lo
	s_cbranch_execnz .LBB230_3318
.LBB230_3212:
	s_or_b32 exec_lo, exec_lo, s4
	s_and_saveexec_b32 s4, vcc_lo
	s_cbranch_execnz .LBB230_3319
.LBB230_3213:
	s_or_b32 exec_lo, exec_lo, s4
	s_and_saveexec_b32 s4, vcc_lo
	s_cbranch_execnz .LBB230_3320
.LBB230_3214:
	s_or_b32 exec_lo, exec_lo, s4
	s_and_saveexec_b32 s4, vcc_lo
	s_cbranch_execnz .LBB230_3321
.LBB230_3215:
	s_or_b32 exec_lo, exec_lo, s4
	s_and_saveexec_b32 s4, vcc_lo
	s_cbranch_execnz .LBB230_3322
.LBB230_3216:
	s_or_b32 exec_lo, exec_lo, s4
	s_and_saveexec_b32 s4, vcc_lo
	s_cbranch_execnz .LBB230_3323
.LBB230_3217:
	s_or_b32 exec_lo, exec_lo, s4
	s_and_saveexec_b32 s4, vcc_lo
	s_cbranch_execnz .LBB230_3324
.LBB230_3218:
	s_or_b32 exec_lo, exec_lo, s4
	s_and_saveexec_b32 s4, vcc_lo
	s_cbranch_execnz .LBB230_3325
.LBB230_3219:
	s_or_b32 exec_lo, exec_lo, s4
	s_and_saveexec_b32 s4, vcc_lo
	s_cbranch_execnz .LBB230_3326
.LBB230_3220:
	s_or_b32 exec_lo, exec_lo, s4
	s_and_saveexec_b32 s4, vcc_lo
	s_cbranch_execnz .LBB230_3327
.LBB230_3221:
	s_or_b32 exec_lo, exec_lo, s4
	s_and_saveexec_b32 s4, vcc_lo
	s_cbranch_execnz .LBB230_3328
.LBB230_3222:
	s_or_b32 exec_lo, exec_lo, s4
	s_and_saveexec_b32 s4, vcc_lo
	s_cbranch_execnz .LBB230_3329
.LBB230_3223:
	s_or_b32 exec_lo, exec_lo, s4
	s_and_saveexec_b32 s4, vcc_lo
	s_cbranch_execnz .LBB230_3330
.LBB230_3224:
	s_or_b32 exec_lo, exec_lo, s4
	s_and_saveexec_b32 s4, vcc_lo
	s_cbranch_execnz .LBB230_3331
.LBB230_3225:
	s_or_b32 exec_lo, exec_lo, s4
	s_and_saveexec_b32 s4, vcc_lo
	s_cbranch_execnz .LBB230_3332
.LBB230_3226:
	s_or_b32 exec_lo, exec_lo, s4
	s_and_saveexec_b32 s4, vcc_lo
	s_cbranch_execnz .LBB230_3333
.LBB230_3227:
	s_or_b32 exec_lo, exec_lo, s4
	s_and_saveexec_b32 s4, vcc_lo
	s_cbranch_execnz .LBB230_3334
.LBB230_3228:
	s_or_b32 exec_lo, exec_lo, s4
	s_and_saveexec_b32 s4, vcc_lo
	s_cbranch_execnz .LBB230_3335
.LBB230_3229:
	s_or_b32 exec_lo, exec_lo, s4
	s_and_saveexec_b32 s4, vcc_lo
	s_cbranch_execnz .LBB230_3336
.LBB230_3230:
	s_or_b32 exec_lo, exec_lo, s4
	s_and_saveexec_b32 s4, vcc_lo
	s_cbranch_execnz .LBB230_3337
.LBB230_3231:
	s_or_b32 exec_lo, exec_lo, s4
	s_and_saveexec_b32 s4, vcc_lo
	s_cbranch_execnz .LBB230_3338
.LBB230_3232:
	s_or_b32 exec_lo, exec_lo, s4
	s_and_saveexec_b32 s4, vcc_lo
	s_cbranch_execnz .LBB230_3339
.LBB230_3233:
	s_or_b32 exec_lo, exec_lo, s4
	s_and_saveexec_b32 s4, vcc_lo
	s_cbranch_execnz .LBB230_3340
.LBB230_3234:
	s_or_b32 exec_lo, exec_lo, s4
	s_and_saveexec_b32 s4, vcc_lo
	s_cbranch_execnz .LBB230_3341
.LBB230_3235:
	s_or_b32 exec_lo, exec_lo, s4
	s_and_saveexec_b32 s4, vcc_lo
	s_cbranch_execnz .LBB230_3342
.LBB230_3236:
	s_or_b32 exec_lo, exec_lo, s4
	s_and_saveexec_b32 s4, vcc_lo
	s_cbranch_execnz .LBB230_3343
.LBB230_3237:
	s_or_b32 exec_lo, exec_lo, s4
	s_and_saveexec_b32 s4, vcc_lo
	s_cbranch_execnz .LBB230_3344
.LBB230_3238:
	s_or_b32 exec_lo, exec_lo, s4
	s_and_saveexec_b32 s4, vcc_lo
	s_cbranch_execnz .LBB230_3345
.LBB230_3239:
	s_or_b32 exec_lo, exec_lo, s4
	s_and_saveexec_b32 s4, vcc_lo
	s_cbranch_execnz .LBB230_3346
.LBB230_3240:
	s_or_b32 exec_lo, exec_lo, s4
	s_and_saveexec_b32 s4, vcc_lo
	s_cbranch_execnz .LBB230_3347
.LBB230_3241:
	s_or_b32 exec_lo, exec_lo, s4
	s_and_saveexec_b32 s4, vcc_lo
	s_cbranch_execnz .LBB230_3348
.LBB230_3242:
	s_or_b32 exec_lo, exec_lo, s4
	s_and_saveexec_b32 s4, vcc_lo
	s_cbranch_execnz .LBB230_3349
.LBB230_3243:
	s_or_b32 exec_lo, exec_lo, s4
	s_and_saveexec_b32 s4, vcc_lo
	s_cbranch_execnz .LBB230_3350
.LBB230_3244:
	s_or_b32 exec_lo, exec_lo, s4
	s_and_saveexec_b32 s4, vcc_lo
	s_cbranch_execnz .LBB230_3351
.LBB230_3245:
	s_or_b32 exec_lo, exec_lo, s4
	s_and_saveexec_b32 s4, vcc_lo
	s_cbranch_execnz .LBB230_3352
.LBB230_3246:
	s_or_b32 exec_lo, exec_lo, s4
	s_and_saveexec_b32 s4, vcc_lo
	s_cbranch_execnz .LBB230_3353
.LBB230_3247:
	s_or_b32 exec_lo, exec_lo, s4
	s_and_saveexec_b32 s4, vcc_lo
	s_cbranch_execnz .LBB230_3354
.LBB230_3248:
	s_or_b32 exec_lo, exec_lo, s4
	s_and_saveexec_b32 s4, vcc_lo
	s_cbranch_execz .LBB230_3250
.LBB230_3249:
	ds_read_b32 v66, v64 offset:752
	s_waitcnt lgkmcnt(0)
	v_add_f32_e32 v55, v66, v55
.LBB230_3250:
	s_or_b32 exec_lo, exec_lo, s4
.LBB230_3251:
	s_or_b32 exec_lo, exec_lo, s5
	buffer_load_dword v66, off, s[0:3], s32 offset:2320 ; 4-byte Folded Reload
	s_mov_b32 s5, exec_lo
	s_waitcnt vmcnt(0)
	s_barrier
	buffer_gl0_inv
	v_and_b32_e32 v66, 0x3e7, v66
	v_cmpx_eq_u32_e32 32, v66
	s_cbranch_execz .LBB230_3253
; %bb.3252:
	ds_write2_b32 v65, v0, v1 offset1:4
	ds_write2_b32 v65, v2, v3 offset0:8 offset1:12
	ds_write2_b32 v65, v4, v5 offset0:16 offset1:20
	;; [unrolled: 1-line block ×23, first 2 shown]
.LBB230_3253:
	s_or_b32 exec_lo, exec_lo, s5
	buffer_load_dword v65, off, s[0:3], s32 offset:2320 ; 4-byte Folded Reload
	s_waitcnt vmcnt(0) lgkmcnt(0)
	s_barrier
	buffer_gl0_inv
	v_cmp_gt_u32_e64 s4, 32, v65
	s_and_saveexec_b32 s5, s4
	s_cbranch_execz .LBB230_3304
; %bb.3254:
	s_and_saveexec_b32 s6, vcc_lo
	s_cbranch_execnz .LBB230_3355
; %bb.3255:
	s_or_b32 exec_lo, exec_lo, s6
	s_and_saveexec_b32 s6, vcc_lo
	s_cbranch_execnz .LBB230_3356
.LBB230_3256:
	s_or_b32 exec_lo, exec_lo, s6
	s_and_saveexec_b32 s6, vcc_lo
	s_cbranch_execnz .LBB230_3357
.LBB230_3257:
	s_or_b32 exec_lo, exec_lo, s6
	s_and_saveexec_b32 s6, vcc_lo
	s_cbranch_execnz .LBB230_3358
.LBB230_3258:
	s_or_b32 exec_lo, exec_lo, s6
	s_and_saveexec_b32 s6, vcc_lo
	s_cbranch_execnz .LBB230_3359
.LBB230_3259:
	s_or_b32 exec_lo, exec_lo, s6
	s_and_saveexec_b32 s6, vcc_lo
	s_cbranch_execnz .LBB230_3360
.LBB230_3260:
	s_or_b32 exec_lo, exec_lo, s6
	s_and_saveexec_b32 s6, vcc_lo
	s_cbranch_execnz .LBB230_3361
.LBB230_3261:
	s_or_b32 exec_lo, exec_lo, s6
	s_and_saveexec_b32 s6, vcc_lo
	s_cbranch_execnz .LBB230_3362
.LBB230_3262:
	s_or_b32 exec_lo, exec_lo, s6
	s_and_saveexec_b32 s6, vcc_lo
	s_cbranch_execnz .LBB230_3363
.LBB230_3263:
	s_or_b32 exec_lo, exec_lo, s6
	s_and_saveexec_b32 s6, vcc_lo
	s_cbranch_execnz .LBB230_3364
.LBB230_3264:
	s_or_b32 exec_lo, exec_lo, s6
	s_and_saveexec_b32 s6, vcc_lo
	s_cbranch_execnz .LBB230_3365
.LBB230_3265:
	s_or_b32 exec_lo, exec_lo, s6
	s_and_saveexec_b32 s6, vcc_lo
	s_cbranch_execnz .LBB230_3366
.LBB230_3266:
	s_or_b32 exec_lo, exec_lo, s6
	s_and_saveexec_b32 s6, vcc_lo
	s_cbranch_execnz .LBB230_3367
.LBB230_3267:
	s_or_b32 exec_lo, exec_lo, s6
	s_and_saveexec_b32 s6, vcc_lo
	s_cbranch_execnz .LBB230_3368
.LBB230_3268:
	s_or_b32 exec_lo, exec_lo, s6
	s_and_saveexec_b32 s6, vcc_lo
	s_cbranch_execnz .LBB230_3369
.LBB230_3269:
	s_or_b32 exec_lo, exec_lo, s6
	s_and_saveexec_b32 s6, vcc_lo
	s_cbranch_execnz .LBB230_3370
.LBB230_3270:
	s_or_b32 exec_lo, exec_lo, s6
	s_and_saveexec_b32 s6, vcc_lo
	s_cbranch_execnz .LBB230_3371
.LBB230_3271:
	s_or_b32 exec_lo, exec_lo, s6
	s_and_saveexec_b32 s6, vcc_lo
	s_cbranch_execnz .LBB230_3372
.LBB230_3272:
	s_or_b32 exec_lo, exec_lo, s6
	s_and_saveexec_b32 s6, vcc_lo
	s_cbranch_execnz .LBB230_3373
.LBB230_3273:
	s_or_b32 exec_lo, exec_lo, s6
	s_and_saveexec_b32 s6, vcc_lo
	s_cbranch_execnz .LBB230_3374
.LBB230_3274:
	s_or_b32 exec_lo, exec_lo, s6
	s_and_saveexec_b32 s6, vcc_lo
	s_cbranch_execnz .LBB230_3375
.LBB230_3275:
	s_or_b32 exec_lo, exec_lo, s6
	s_and_saveexec_b32 s6, vcc_lo
	s_cbranch_execnz .LBB230_3376
.LBB230_3276:
	s_or_b32 exec_lo, exec_lo, s6
	s_and_saveexec_b32 s6, vcc_lo
	s_cbranch_execnz .LBB230_3377
.LBB230_3277:
	s_or_b32 exec_lo, exec_lo, s6
	s_and_saveexec_b32 s6, vcc_lo
	s_cbranch_execnz .LBB230_3378
.LBB230_3278:
	s_or_b32 exec_lo, exec_lo, s6
	s_and_saveexec_b32 s6, vcc_lo
	s_cbranch_execnz .LBB230_3379
.LBB230_3279:
	s_or_b32 exec_lo, exec_lo, s6
	s_and_saveexec_b32 s6, vcc_lo
	s_cbranch_execnz .LBB230_3380
.LBB230_3280:
	s_or_b32 exec_lo, exec_lo, s6
	s_and_saveexec_b32 s6, vcc_lo
	s_cbranch_execnz .LBB230_3381
.LBB230_3281:
	s_or_b32 exec_lo, exec_lo, s6
	s_and_saveexec_b32 s6, vcc_lo
	s_cbranch_execnz .LBB230_3382
.LBB230_3282:
	s_or_b32 exec_lo, exec_lo, s6
	s_and_saveexec_b32 s6, vcc_lo
	s_cbranch_execnz .LBB230_3383
.LBB230_3283:
	s_or_b32 exec_lo, exec_lo, s6
	s_and_saveexec_b32 s6, vcc_lo
	s_cbranch_execnz .LBB230_3384
.LBB230_3284:
	s_or_b32 exec_lo, exec_lo, s6
	s_and_saveexec_b32 s6, vcc_lo
	s_cbranch_execnz .LBB230_3385
.LBB230_3285:
	s_or_b32 exec_lo, exec_lo, s6
	s_and_saveexec_b32 s6, vcc_lo
	s_cbranch_execnz .LBB230_3386
.LBB230_3286:
	s_or_b32 exec_lo, exec_lo, s6
	s_and_saveexec_b32 s6, vcc_lo
	s_cbranch_execnz .LBB230_3387
.LBB230_3287:
	s_or_b32 exec_lo, exec_lo, s6
	s_and_saveexec_b32 s6, vcc_lo
	s_cbranch_execnz .LBB230_3388
.LBB230_3288:
	s_or_b32 exec_lo, exec_lo, s6
	s_and_saveexec_b32 s6, vcc_lo
	s_cbranch_execnz .LBB230_3389
.LBB230_3289:
	s_or_b32 exec_lo, exec_lo, s6
	s_and_saveexec_b32 s6, vcc_lo
	s_cbranch_execnz .LBB230_3390
.LBB230_3290:
	s_or_b32 exec_lo, exec_lo, s6
	s_and_saveexec_b32 s6, vcc_lo
	s_cbranch_execnz .LBB230_3391
.LBB230_3291:
	s_or_b32 exec_lo, exec_lo, s6
	s_and_saveexec_b32 s6, vcc_lo
	s_cbranch_execnz .LBB230_3392
.LBB230_3292:
	s_or_b32 exec_lo, exec_lo, s6
	s_and_saveexec_b32 s6, vcc_lo
	s_cbranch_execnz .LBB230_3393
.LBB230_3293:
	s_or_b32 exec_lo, exec_lo, s6
	s_and_saveexec_b32 s6, vcc_lo
	s_cbranch_execnz .LBB230_3394
.LBB230_3294:
	s_or_b32 exec_lo, exec_lo, s6
	s_and_saveexec_b32 s6, vcc_lo
	s_cbranch_execnz .LBB230_3395
.LBB230_3295:
	s_or_b32 exec_lo, exec_lo, s6
	s_and_saveexec_b32 s6, vcc_lo
	s_cbranch_execnz .LBB230_3396
.LBB230_3296:
	s_or_b32 exec_lo, exec_lo, s6
	s_and_saveexec_b32 s6, vcc_lo
	s_cbranch_execnz .LBB230_3397
.LBB230_3297:
	s_or_b32 exec_lo, exec_lo, s6
	s_and_saveexec_b32 s6, vcc_lo
	s_cbranch_execnz .LBB230_3398
.LBB230_3298:
	s_or_b32 exec_lo, exec_lo, s6
	s_and_saveexec_b32 s6, vcc_lo
	s_cbranch_execnz .LBB230_3399
.LBB230_3299:
	s_or_b32 exec_lo, exec_lo, s6
	s_and_saveexec_b32 s6, vcc_lo
	s_cbranch_execnz .LBB230_3400
.LBB230_3300:
	s_or_b32 exec_lo, exec_lo, s6
	s_and_saveexec_b32 s6, vcc_lo
	s_cbranch_execnz .LBB230_3401
.LBB230_3301:
	s_or_b32 exec_lo, exec_lo, s6
	s_and_saveexec_b32 s6, vcc_lo
	s_cbranch_execz .LBB230_3303
.LBB230_3302:
	ds_read_b32 v64, v64 offset:752
	s_waitcnt lgkmcnt(0)
	v_add_f32_e32 v55, v64, v55
.LBB230_3303:
	s_or_b32 exec_lo, exec_lo, s6
.LBB230_3304:
	s_or_b32 exec_lo, exec_lo, s5
	s_barrier
	buffer_gl0_inv
	s_and_saveexec_b32 s5, s4
	s_cbranch_execz .LBB230_3307
; %bb.3305:
	s_and_b32 exec_lo, exec_lo, vcc_lo
	s_cbranch_execz .LBB230_3307
; %bb.3306:
	s_clause 0x2
	buffer_load_dword v65, off, s[0:3], s32 offset:2336
	buffer_load_dword v64, off, s[0:3], s32 offset:2320
	;; [unrolled: 1-line block ×3, first 2 shown]
	s_and_b32 s4, 0xffff, s9
	s_mul_i32 s6, s14, 0xc0
	s_cmp_lg_u32 s4, 0
	s_cselect_b32 s4, -1, 0
	s_cmp_lg_u32 s4, 0
	s_addc_u32 s4, s8, 0
	s_mul_i32 s7, s4, s10
	s_mul_i32 s10, s12, s4
	;; [unrolled: 1-line block ×3, first 2 shown]
	s_ashr_i32 s11, s10, 31
	s_mulk_i32 s8, 0xc0
	s_ashr_i32 s7, s6, 31
	s_ashr_i32 s9, s8, 31
	s_lshl_b64 s[6:7], s[6:7], 2
	s_lshl_b64 s[8:9], s[8:9], 2
	s_waitcnt vmcnt(2)
	v_add_co_u32 v65, vcc_lo, v65, s8
	s_waitcnt vmcnt(0)
	v_add_co_ci_u32_e64 v66, null, s9, v66, vcc_lo
	s_lshl_b64 s[8:9], s[10:11], 2
	v_lshrrev_b32_e32 v64, 1, v64
	v_add_co_u32 v65, vcc_lo, v65, s8
	v_add_co_ci_u32_e64 v66, null, s9, v66, vcc_lo
	v_and_b32_e32 v64, 0x1fc, v64
	v_add_co_u32 v65, vcc_lo, v65, s6
	v_add_co_ci_u32_e64 v66, null, s7, v66, vcc_lo
	v_add_co_u32 v64, vcc_lo, v65, v64
	v_add_co_ci_u32_e64 v65, null, 0, v66, vcc_lo
	flat_store_dword v[64:65], v0
	flat_store_dword v[64:65], v1 offset:16
	flat_store_dword v[64:65], v2 offset:32
	flat_store_dword v[64:65], v3 offset:48
	flat_store_dword v[64:65], v4 offset:64
	flat_store_dword v[64:65], v5 offset:80
	flat_store_dword v[64:65], v6 offset:96
	flat_store_dword v[64:65], v7 offset:112
	flat_store_dword v[64:65], v8 offset:128
	flat_store_dword v[64:65], v9 offset:144
	flat_store_dword v[64:65], v10 offset:160
	flat_store_dword v[64:65], v11 offset:176
	flat_store_dword v[64:65], v12 offset:192
	flat_store_dword v[64:65], v13 offset:208
	flat_store_dword v[64:65], v14 offset:224
	flat_store_dword v[64:65], v15 offset:240
	flat_store_dword v[64:65], v16 offset:256
	flat_store_dword v[64:65], v17 offset:272
	flat_store_dword v[64:65], v18 offset:288
	flat_store_dword v[64:65], v19 offset:304
	flat_store_dword v[64:65], v20 offset:320
	flat_store_dword v[64:65], v21 offset:336
	flat_store_dword v[64:65], v22 offset:352
	flat_store_dword v[64:65], v23 offset:368
	flat_store_dword v[64:65], v24 offset:384
	flat_store_dword v[64:65], v25 offset:400
	flat_store_dword v[64:65], v26 offset:416
	flat_store_dword v[64:65], v27 offset:432
	flat_store_dword v[64:65], v28 offset:448
	flat_store_dword v[64:65], v29 offset:464
	flat_store_dword v[64:65], v30 offset:480
	flat_store_dword v[64:65], v31 offset:496
	flat_store_dword v[64:65], v32 offset:512
	flat_store_dword v[64:65], v33 offset:528
	flat_store_dword v[64:65], v34 offset:544
	flat_store_dword v[64:65], v35 offset:560
	flat_store_dword v[64:65], v36 offset:576
	flat_store_dword v[64:65], v37 offset:592
	flat_store_dword v[64:65], v38 offset:608
	flat_store_dword v[64:65], v39 offset:624
	flat_store_dword v[64:65], v48 offset:640
	flat_store_dword v[64:65], v49 offset:656
	flat_store_dword v[64:65], v50 offset:672
	flat_store_dword v[64:65], v51 offset:688
	flat_store_dword v[64:65], v52 offset:704
	flat_store_dword v[64:65], v53 offset:720
	flat_store_dword v[64:65], v54 offset:736
	flat_store_dword v[64:65], v55 offset:752
.LBB230_3307:
	s_or_b32 exec_lo, exec_lo, s5
	s_clause 0x2f
	buffer_load_dword v127, off, s[0:3], s32
	buffer_load_dword v126, off, s[0:3], s32 offset:4
	buffer_load_dword v125, off, s[0:3], s32 offset:8
	;; [unrolled: 1-line block ×47, first 2 shown]
	s_waitcnt vmcnt(0) lgkmcnt(0)
	s_setpc_b64 s[30:31]
.LBB230_3308:
	ds_read_b32 v66, v64
	s_waitcnt lgkmcnt(0)
	v_add_f32_e32 v0, v66, v0
	s_or_b32 exec_lo, exec_lo, s4
	s_and_saveexec_b32 s4, vcc_lo
	s_cbranch_execz .LBB230_3203
.LBB230_3309:
	ds_read_b32 v66, v64 offset:16
	s_waitcnt lgkmcnt(0)
	v_add_f32_e32 v1, v66, v1
	s_or_b32 exec_lo, exec_lo, s4
	s_and_saveexec_b32 s4, vcc_lo
	s_cbranch_execz .LBB230_3204
.LBB230_3310:
	ds_read_b32 v66, v64 offset:32
	s_waitcnt lgkmcnt(0)
	v_add_f32_e32 v2, v66, v2
	s_or_b32 exec_lo, exec_lo, s4
	s_and_saveexec_b32 s4, vcc_lo
	s_cbranch_execz .LBB230_3205
.LBB230_3311:
	ds_read_b32 v66, v64 offset:48
	s_waitcnt lgkmcnt(0)
	v_add_f32_e32 v3, v66, v3
	s_or_b32 exec_lo, exec_lo, s4
	s_and_saveexec_b32 s4, vcc_lo
	s_cbranch_execz .LBB230_3206
.LBB230_3312:
	ds_read_b32 v66, v64 offset:64
	s_waitcnt lgkmcnt(0)
	v_add_f32_e32 v4, v66, v4
	s_or_b32 exec_lo, exec_lo, s4
	s_and_saveexec_b32 s4, vcc_lo
	s_cbranch_execz .LBB230_3207
.LBB230_3313:
	ds_read_b32 v66, v64 offset:80
	s_waitcnt lgkmcnt(0)
	v_add_f32_e32 v5, v66, v5
	s_or_b32 exec_lo, exec_lo, s4
	s_and_saveexec_b32 s4, vcc_lo
	s_cbranch_execz .LBB230_3208
.LBB230_3314:
	ds_read_b32 v66, v64 offset:96
	s_waitcnt lgkmcnt(0)
	v_add_f32_e32 v6, v66, v6
	s_or_b32 exec_lo, exec_lo, s4
	s_and_saveexec_b32 s4, vcc_lo
	s_cbranch_execz .LBB230_3209
.LBB230_3315:
	ds_read_b32 v66, v64 offset:112
	s_waitcnt lgkmcnt(0)
	v_add_f32_e32 v7, v66, v7
	s_or_b32 exec_lo, exec_lo, s4
	s_and_saveexec_b32 s4, vcc_lo
	s_cbranch_execz .LBB230_3210
.LBB230_3316:
	ds_read_b32 v66, v64 offset:128
	s_waitcnt lgkmcnt(0)
	v_add_f32_e32 v8, v66, v8
	s_or_b32 exec_lo, exec_lo, s4
	s_and_saveexec_b32 s4, vcc_lo
	s_cbranch_execz .LBB230_3211
.LBB230_3317:
	ds_read_b32 v66, v64 offset:144
	s_waitcnt lgkmcnt(0)
	v_add_f32_e32 v9, v66, v9
	s_or_b32 exec_lo, exec_lo, s4
	s_and_saveexec_b32 s4, vcc_lo
	s_cbranch_execz .LBB230_3212
.LBB230_3318:
	ds_read_b32 v66, v64 offset:160
	s_waitcnt lgkmcnt(0)
	v_add_f32_e32 v10, v66, v10
	s_or_b32 exec_lo, exec_lo, s4
	s_and_saveexec_b32 s4, vcc_lo
	s_cbranch_execz .LBB230_3213
.LBB230_3319:
	ds_read_b32 v66, v64 offset:176
	s_waitcnt lgkmcnt(0)
	v_add_f32_e32 v11, v66, v11
	s_or_b32 exec_lo, exec_lo, s4
	s_and_saveexec_b32 s4, vcc_lo
	s_cbranch_execz .LBB230_3214
.LBB230_3320:
	ds_read_b32 v66, v64 offset:192
	s_waitcnt lgkmcnt(0)
	v_add_f32_e32 v12, v66, v12
	s_or_b32 exec_lo, exec_lo, s4
	s_and_saveexec_b32 s4, vcc_lo
	s_cbranch_execz .LBB230_3215
.LBB230_3321:
	ds_read_b32 v66, v64 offset:208
	s_waitcnt lgkmcnt(0)
	v_add_f32_e32 v13, v66, v13
	s_or_b32 exec_lo, exec_lo, s4
	s_and_saveexec_b32 s4, vcc_lo
	s_cbranch_execz .LBB230_3216
.LBB230_3322:
	ds_read_b32 v66, v64 offset:224
	s_waitcnt lgkmcnt(0)
	v_add_f32_e32 v14, v66, v14
	s_or_b32 exec_lo, exec_lo, s4
	s_and_saveexec_b32 s4, vcc_lo
	s_cbranch_execz .LBB230_3217
.LBB230_3323:
	ds_read_b32 v66, v64 offset:240
	s_waitcnt lgkmcnt(0)
	v_add_f32_e32 v15, v66, v15
	s_or_b32 exec_lo, exec_lo, s4
	s_and_saveexec_b32 s4, vcc_lo
	s_cbranch_execz .LBB230_3218
.LBB230_3324:
	ds_read_b32 v66, v64 offset:256
	s_waitcnt lgkmcnt(0)
	v_add_f32_e32 v16, v66, v16
	s_or_b32 exec_lo, exec_lo, s4
	s_and_saveexec_b32 s4, vcc_lo
	s_cbranch_execz .LBB230_3219
.LBB230_3325:
	ds_read_b32 v66, v64 offset:272
	s_waitcnt lgkmcnt(0)
	v_add_f32_e32 v17, v66, v17
	s_or_b32 exec_lo, exec_lo, s4
	s_and_saveexec_b32 s4, vcc_lo
	s_cbranch_execz .LBB230_3220
.LBB230_3326:
	ds_read_b32 v66, v64 offset:288
	s_waitcnt lgkmcnt(0)
	v_add_f32_e32 v18, v66, v18
	s_or_b32 exec_lo, exec_lo, s4
	s_and_saveexec_b32 s4, vcc_lo
	s_cbranch_execz .LBB230_3221
.LBB230_3327:
	ds_read_b32 v66, v64 offset:304
	s_waitcnt lgkmcnt(0)
	v_add_f32_e32 v19, v66, v19
	s_or_b32 exec_lo, exec_lo, s4
	s_and_saveexec_b32 s4, vcc_lo
	s_cbranch_execz .LBB230_3222
.LBB230_3328:
	ds_read_b32 v66, v64 offset:320
	s_waitcnt lgkmcnt(0)
	v_add_f32_e32 v20, v66, v20
	s_or_b32 exec_lo, exec_lo, s4
	s_and_saveexec_b32 s4, vcc_lo
	s_cbranch_execz .LBB230_3223
.LBB230_3329:
	ds_read_b32 v66, v64 offset:336
	s_waitcnt lgkmcnt(0)
	v_add_f32_e32 v21, v66, v21
	s_or_b32 exec_lo, exec_lo, s4
	s_and_saveexec_b32 s4, vcc_lo
	s_cbranch_execz .LBB230_3224
.LBB230_3330:
	ds_read_b32 v66, v64 offset:352
	s_waitcnt lgkmcnt(0)
	v_add_f32_e32 v22, v66, v22
	s_or_b32 exec_lo, exec_lo, s4
	s_and_saveexec_b32 s4, vcc_lo
	s_cbranch_execz .LBB230_3225
.LBB230_3331:
	ds_read_b32 v66, v64 offset:368
	s_waitcnt lgkmcnt(0)
	v_add_f32_e32 v23, v66, v23
	s_or_b32 exec_lo, exec_lo, s4
	s_and_saveexec_b32 s4, vcc_lo
	s_cbranch_execz .LBB230_3226
.LBB230_3332:
	ds_read_b32 v66, v64 offset:384
	s_waitcnt lgkmcnt(0)
	v_add_f32_e32 v24, v66, v24
	s_or_b32 exec_lo, exec_lo, s4
	s_and_saveexec_b32 s4, vcc_lo
	s_cbranch_execz .LBB230_3227
.LBB230_3333:
	ds_read_b32 v66, v64 offset:400
	s_waitcnt lgkmcnt(0)
	v_add_f32_e32 v25, v66, v25
	s_or_b32 exec_lo, exec_lo, s4
	s_and_saveexec_b32 s4, vcc_lo
	s_cbranch_execz .LBB230_3228
.LBB230_3334:
	ds_read_b32 v66, v64 offset:416
	s_waitcnt lgkmcnt(0)
	v_add_f32_e32 v26, v66, v26
	s_or_b32 exec_lo, exec_lo, s4
	s_and_saveexec_b32 s4, vcc_lo
	s_cbranch_execz .LBB230_3229
.LBB230_3335:
	ds_read_b32 v66, v64 offset:432
	s_waitcnt lgkmcnt(0)
	v_add_f32_e32 v27, v66, v27
	s_or_b32 exec_lo, exec_lo, s4
	s_and_saveexec_b32 s4, vcc_lo
	s_cbranch_execz .LBB230_3230
.LBB230_3336:
	ds_read_b32 v66, v64 offset:448
	s_waitcnt lgkmcnt(0)
	v_add_f32_e32 v28, v66, v28
	s_or_b32 exec_lo, exec_lo, s4
	s_and_saveexec_b32 s4, vcc_lo
	s_cbranch_execz .LBB230_3231
.LBB230_3337:
	ds_read_b32 v66, v64 offset:464
	s_waitcnt lgkmcnt(0)
	v_add_f32_e32 v29, v66, v29
	s_or_b32 exec_lo, exec_lo, s4
	s_and_saveexec_b32 s4, vcc_lo
	s_cbranch_execz .LBB230_3232
.LBB230_3338:
	ds_read_b32 v66, v64 offset:480
	s_waitcnt lgkmcnt(0)
	v_add_f32_e32 v30, v66, v30
	s_or_b32 exec_lo, exec_lo, s4
	s_and_saveexec_b32 s4, vcc_lo
	s_cbranch_execz .LBB230_3233
.LBB230_3339:
	ds_read_b32 v66, v64 offset:496
	s_waitcnt lgkmcnt(0)
	v_add_f32_e32 v31, v66, v31
	s_or_b32 exec_lo, exec_lo, s4
	s_and_saveexec_b32 s4, vcc_lo
	s_cbranch_execz .LBB230_3234
.LBB230_3340:
	ds_read_b32 v66, v64 offset:512
	s_waitcnt lgkmcnt(0)
	v_add_f32_e32 v32, v66, v32
	s_or_b32 exec_lo, exec_lo, s4
	s_and_saveexec_b32 s4, vcc_lo
	s_cbranch_execz .LBB230_3235
.LBB230_3341:
	ds_read_b32 v66, v64 offset:528
	s_waitcnt lgkmcnt(0)
	v_add_f32_e32 v33, v66, v33
	s_or_b32 exec_lo, exec_lo, s4
	s_and_saveexec_b32 s4, vcc_lo
	s_cbranch_execz .LBB230_3236
.LBB230_3342:
	ds_read_b32 v66, v64 offset:544
	s_waitcnt lgkmcnt(0)
	v_add_f32_e32 v34, v66, v34
	s_or_b32 exec_lo, exec_lo, s4
	s_and_saveexec_b32 s4, vcc_lo
	s_cbranch_execz .LBB230_3237
.LBB230_3343:
	ds_read_b32 v66, v64 offset:560
	s_waitcnt lgkmcnt(0)
	v_add_f32_e32 v35, v66, v35
	s_or_b32 exec_lo, exec_lo, s4
	s_and_saveexec_b32 s4, vcc_lo
	s_cbranch_execz .LBB230_3238
.LBB230_3344:
	ds_read_b32 v66, v64 offset:576
	s_waitcnt lgkmcnt(0)
	v_add_f32_e32 v36, v66, v36
	s_or_b32 exec_lo, exec_lo, s4
	s_and_saveexec_b32 s4, vcc_lo
	s_cbranch_execz .LBB230_3239
.LBB230_3345:
	ds_read_b32 v66, v64 offset:592
	s_waitcnt lgkmcnt(0)
	v_add_f32_e32 v37, v66, v37
	s_or_b32 exec_lo, exec_lo, s4
	s_and_saveexec_b32 s4, vcc_lo
	s_cbranch_execz .LBB230_3240
.LBB230_3346:
	ds_read_b32 v66, v64 offset:608
	s_waitcnt lgkmcnt(0)
	v_add_f32_e32 v38, v66, v38
	s_or_b32 exec_lo, exec_lo, s4
	s_and_saveexec_b32 s4, vcc_lo
	s_cbranch_execz .LBB230_3241
.LBB230_3347:
	ds_read_b32 v66, v64 offset:624
	s_waitcnt lgkmcnt(0)
	v_add_f32_e32 v39, v66, v39
	s_or_b32 exec_lo, exec_lo, s4
	s_and_saveexec_b32 s4, vcc_lo
	s_cbranch_execz .LBB230_3242
.LBB230_3348:
	ds_read_b32 v66, v64 offset:640
	s_waitcnt lgkmcnt(0)
	v_add_f32_e32 v48, v66, v48
	s_or_b32 exec_lo, exec_lo, s4
	s_and_saveexec_b32 s4, vcc_lo
	s_cbranch_execz .LBB230_3243
.LBB230_3349:
	ds_read_b32 v66, v64 offset:656
	s_waitcnt lgkmcnt(0)
	v_add_f32_e32 v49, v66, v49
	s_or_b32 exec_lo, exec_lo, s4
	s_and_saveexec_b32 s4, vcc_lo
	s_cbranch_execz .LBB230_3244
.LBB230_3350:
	ds_read_b32 v66, v64 offset:672
	s_waitcnt lgkmcnt(0)
	v_add_f32_e32 v50, v66, v50
	s_or_b32 exec_lo, exec_lo, s4
	s_and_saveexec_b32 s4, vcc_lo
	s_cbranch_execz .LBB230_3245
.LBB230_3351:
	ds_read_b32 v66, v64 offset:688
	s_waitcnt lgkmcnt(0)
	v_add_f32_e32 v51, v66, v51
	s_or_b32 exec_lo, exec_lo, s4
	s_and_saveexec_b32 s4, vcc_lo
	s_cbranch_execz .LBB230_3246
.LBB230_3352:
	ds_read_b32 v66, v64 offset:704
	s_waitcnt lgkmcnt(0)
	v_add_f32_e32 v52, v66, v52
	s_or_b32 exec_lo, exec_lo, s4
	s_and_saveexec_b32 s4, vcc_lo
	s_cbranch_execz .LBB230_3247
.LBB230_3353:
	ds_read_b32 v66, v64 offset:720
	s_waitcnt lgkmcnt(0)
	v_add_f32_e32 v53, v66, v53
	s_or_b32 exec_lo, exec_lo, s4
	s_and_saveexec_b32 s4, vcc_lo
	s_cbranch_execz .LBB230_3248
.LBB230_3354:
	ds_read_b32 v66, v64 offset:736
	s_waitcnt lgkmcnt(0)
	v_add_f32_e32 v54, v66, v54
	s_or_b32 exec_lo, exec_lo, s4
	s_and_saveexec_b32 s4, vcc_lo
	s_cbranch_execnz .LBB230_3249
	s_branch .LBB230_3250
.LBB230_3355:
	ds_read_b32 v65, v64
	s_waitcnt lgkmcnt(0)
	v_add_f32_e32 v0, v65, v0
	s_or_b32 exec_lo, exec_lo, s6
	s_and_saveexec_b32 s6, vcc_lo
	s_cbranch_execz .LBB230_3256
.LBB230_3356:
	ds_read_b32 v65, v64 offset:16
	s_waitcnt lgkmcnt(0)
	v_add_f32_e32 v1, v65, v1
	s_or_b32 exec_lo, exec_lo, s6
	s_and_saveexec_b32 s6, vcc_lo
	s_cbranch_execz .LBB230_3257
.LBB230_3357:
	ds_read_b32 v65, v64 offset:32
	s_waitcnt lgkmcnt(0)
	v_add_f32_e32 v2, v65, v2
	s_or_b32 exec_lo, exec_lo, s6
	s_and_saveexec_b32 s6, vcc_lo
	s_cbranch_execz .LBB230_3258
.LBB230_3358:
	ds_read_b32 v65, v64 offset:48
	s_waitcnt lgkmcnt(0)
	v_add_f32_e32 v3, v65, v3
	s_or_b32 exec_lo, exec_lo, s6
	s_and_saveexec_b32 s6, vcc_lo
	s_cbranch_execz .LBB230_3259
.LBB230_3359:
	ds_read_b32 v65, v64 offset:64
	s_waitcnt lgkmcnt(0)
	v_add_f32_e32 v4, v65, v4
	s_or_b32 exec_lo, exec_lo, s6
	s_and_saveexec_b32 s6, vcc_lo
	s_cbranch_execz .LBB230_3260
.LBB230_3360:
	ds_read_b32 v65, v64 offset:80
	s_waitcnt lgkmcnt(0)
	v_add_f32_e32 v5, v65, v5
	s_or_b32 exec_lo, exec_lo, s6
	s_and_saveexec_b32 s6, vcc_lo
	s_cbranch_execz .LBB230_3261
.LBB230_3361:
	ds_read_b32 v65, v64 offset:96
	s_waitcnt lgkmcnt(0)
	v_add_f32_e32 v6, v65, v6
	s_or_b32 exec_lo, exec_lo, s6
	s_and_saveexec_b32 s6, vcc_lo
	s_cbranch_execz .LBB230_3262
.LBB230_3362:
	ds_read_b32 v65, v64 offset:112
	s_waitcnt lgkmcnt(0)
	v_add_f32_e32 v7, v65, v7
	s_or_b32 exec_lo, exec_lo, s6
	s_and_saveexec_b32 s6, vcc_lo
	s_cbranch_execz .LBB230_3263
.LBB230_3363:
	ds_read_b32 v65, v64 offset:128
	s_waitcnt lgkmcnt(0)
	v_add_f32_e32 v8, v65, v8
	s_or_b32 exec_lo, exec_lo, s6
	s_and_saveexec_b32 s6, vcc_lo
	s_cbranch_execz .LBB230_3264
.LBB230_3364:
	ds_read_b32 v65, v64 offset:144
	s_waitcnt lgkmcnt(0)
	v_add_f32_e32 v9, v65, v9
	s_or_b32 exec_lo, exec_lo, s6
	s_and_saveexec_b32 s6, vcc_lo
	s_cbranch_execz .LBB230_3265
.LBB230_3365:
	ds_read_b32 v65, v64 offset:160
	s_waitcnt lgkmcnt(0)
	v_add_f32_e32 v10, v65, v10
	s_or_b32 exec_lo, exec_lo, s6
	s_and_saveexec_b32 s6, vcc_lo
	s_cbranch_execz .LBB230_3266
.LBB230_3366:
	ds_read_b32 v65, v64 offset:176
	s_waitcnt lgkmcnt(0)
	v_add_f32_e32 v11, v65, v11
	s_or_b32 exec_lo, exec_lo, s6
	s_and_saveexec_b32 s6, vcc_lo
	s_cbranch_execz .LBB230_3267
.LBB230_3367:
	ds_read_b32 v65, v64 offset:192
	s_waitcnt lgkmcnt(0)
	v_add_f32_e32 v12, v65, v12
	s_or_b32 exec_lo, exec_lo, s6
	s_and_saveexec_b32 s6, vcc_lo
	s_cbranch_execz .LBB230_3268
.LBB230_3368:
	ds_read_b32 v65, v64 offset:208
	s_waitcnt lgkmcnt(0)
	v_add_f32_e32 v13, v65, v13
	s_or_b32 exec_lo, exec_lo, s6
	s_and_saveexec_b32 s6, vcc_lo
	s_cbranch_execz .LBB230_3269
.LBB230_3369:
	ds_read_b32 v65, v64 offset:224
	s_waitcnt lgkmcnt(0)
	v_add_f32_e32 v14, v65, v14
	s_or_b32 exec_lo, exec_lo, s6
	s_and_saveexec_b32 s6, vcc_lo
	s_cbranch_execz .LBB230_3270
.LBB230_3370:
	ds_read_b32 v65, v64 offset:240
	s_waitcnt lgkmcnt(0)
	v_add_f32_e32 v15, v65, v15
	s_or_b32 exec_lo, exec_lo, s6
	s_and_saveexec_b32 s6, vcc_lo
	s_cbranch_execz .LBB230_3271
.LBB230_3371:
	ds_read_b32 v65, v64 offset:256
	s_waitcnt lgkmcnt(0)
	v_add_f32_e32 v16, v65, v16
	s_or_b32 exec_lo, exec_lo, s6
	s_and_saveexec_b32 s6, vcc_lo
	s_cbranch_execz .LBB230_3272
.LBB230_3372:
	ds_read_b32 v65, v64 offset:272
	s_waitcnt lgkmcnt(0)
	v_add_f32_e32 v17, v65, v17
	s_or_b32 exec_lo, exec_lo, s6
	s_and_saveexec_b32 s6, vcc_lo
	s_cbranch_execz .LBB230_3273
.LBB230_3373:
	ds_read_b32 v65, v64 offset:288
	s_waitcnt lgkmcnt(0)
	v_add_f32_e32 v18, v65, v18
	s_or_b32 exec_lo, exec_lo, s6
	s_and_saveexec_b32 s6, vcc_lo
	s_cbranch_execz .LBB230_3274
.LBB230_3374:
	ds_read_b32 v65, v64 offset:304
	s_waitcnt lgkmcnt(0)
	v_add_f32_e32 v19, v65, v19
	s_or_b32 exec_lo, exec_lo, s6
	s_and_saveexec_b32 s6, vcc_lo
	s_cbranch_execz .LBB230_3275
.LBB230_3375:
	ds_read_b32 v65, v64 offset:320
	s_waitcnt lgkmcnt(0)
	v_add_f32_e32 v20, v65, v20
	s_or_b32 exec_lo, exec_lo, s6
	s_and_saveexec_b32 s6, vcc_lo
	s_cbranch_execz .LBB230_3276
.LBB230_3376:
	ds_read_b32 v65, v64 offset:336
	s_waitcnt lgkmcnt(0)
	v_add_f32_e32 v21, v65, v21
	s_or_b32 exec_lo, exec_lo, s6
	s_and_saveexec_b32 s6, vcc_lo
	s_cbranch_execz .LBB230_3277
.LBB230_3377:
	ds_read_b32 v65, v64 offset:352
	s_waitcnt lgkmcnt(0)
	v_add_f32_e32 v22, v65, v22
	s_or_b32 exec_lo, exec_lo, s6
	s_and_saveexec_b32 s6, vcc_lo
	s_cbranch_execz .LBB230_3278
.LBB230_3378:
	ds_read_b32 v65, v64 offset:368
	s_waitcnt lgkmcnt(0)
	v_add_f32_e32 v23, v65, v23
	s_or_b32 exec_lo, exec_lo, s6
	s_and_saveexec_b32 s6, vcc_lo
	s_cbranch_execz .LBB230_3279
.LBB230_3379:
	ds_read_b32 v65, v64 offset:384
	s_waitcnt lgkmcnt(0)
	v_add_f32_e32 v24, v65, v24
	s_or_b32 exec_lo, exec_lo, s6
	s_and_saveexec_b32 s6, vcc_lo
	s_cbranch_execz .LBB230_3280
.LBB230_3380:
	ds_read_b32 v65, v64 offset:400
	s_waitcnt lgkmcnt(0)
	v_add_f32_e32 v25, v65, v25
	s_or_b32 exec_lo, exec_lo, s6
	s_and_saveexec_b32 s6, vcc_lo
	s_cbranch_execz .LBB230_3281
.LBB230_3381:
	ds_read_b32 v65, v64 offset:416
	s_waitcnt lgkmcnt(0)
	v_add_f32_e32 v26, v65, v26
	s_or_b32 exec_lo, exec_lo, s6
	s_and_saveexec_b32 s6, vcc_lo
	s_cbranch_execz .LBB230_3282
.LBB230_3382:
	ds_read_b32 v65, v64 offset:432
	s_waitcnt lgkmcnt(0)
	v_add_f32_e32 v27, v65, v27
	s_or_b32 exec_lo, exec_lo, s6
	s_and_saveexec_b32 s6, vcc_lo
	s_cbranch_execz .LBB230_3283
.LBB230_3383:
	ds_read_b32 v65, v64 offset:448
	s_waitcnt lgkmcnt(0)
	v_add_f32_e32 v28, v65, v28
	s_or_b32 exec_lo, exec_lo, s6
	s_and_saveexec_b32 s6, vcc_lo
	s_cbranch_execz .LBB230_3284
.LBB230_3384:
	ds_read_b32 v65, v64 offset:464
	s_waitcnt lgkmcnt(0)
	v_add_f32_e32 v29, v65, v29
	s_or_b32 exec_lo, exec_lo, s6
	s_and_saveexec_b32 s6, vcc_lo
	s_cbranch_execz .LBB230_3285
.LBB230_3385:
	ds_read_b32 v65, v64 offset:480
	s_waitcnt lgkmcnt(0)
	v_add_f32_e32 v30, v65, v30
	s_or_b32 exec_lo, exec_lo, s6
	s_and_saveexec_b32 s6, vcc_lo
	s_cbranch_execz .LBB230_3286
.LBB230_3386:
	ds_read_b32 v65, v64 offset:496
	s_waitcnt lgkmcnt(0)
	v_add_f32_e32 v31, v65, v31
	s_or_b32 exec_lo, exec_lo, s6
	s_and_saveexec_b32 s6, vcc_lo
	s_cbranch_execz .LBB230_3287
.LBB230_3387:
	ds_read_b32 v65, v64 offset:512
	s_waitcnt lgkmcnt(0)
	v_add_f32_e32 v32, v65, v32
	s_or_b32 exec_lo, exec_lo, s6
	s_and_saveexec_b32 s6, vcc_lo
	s_cbranch_execz .LBB230_3288
.LBB230_3388:
	ds_read_b32 v65, v64 offset:528
	s_waitcnt lgkmcnt(0)
	v_add_f32_e32 v33, v65, v33
	s_or_b32 exec_lo, exec_lo, s6
	s_and_saveexec_b32 s6, vcc_lo
	s_cbranch_execz .LBB230_3289
.LBB230_3389:
	ds_read_b32 v65, v64 offset:544
	s_waitcnt lgkmcnt(0)
	v_add_f32_e32 v34, v65, v34
	s_or_b32 exec_lo, exec_lo, s6
	s_and_saveexec_b32 s6, vcc_lo
	s_cbranch_execz .LBB230_3290
.LBB230_3390:
	ds_read_b32 v65, v64 offset:560
	s_waitcnt lgkmcnt(0)
	v_add_f32_e32 v35, v65, v35
	s_or_b32 exec_lo, exec_lo, s6
	s_and_saveexec_b32 s6, vcc_lo
	s_cbranch_execz .LBB230_3291
.LBB230_3391:
	ds_read_b32 v65, v64 offset:576
	s_waitcnt lgkmcnt(0)
	v_add_f32_e32 v36, v65, v36
	s_or_b32 exec_lo, exec_lo, s6
	s_and_saveexec_b32 s6, vcc_lo
	s_cbranch_execz .LBB230_3292
.LBB230_3392:
	ds_read_b32 v65, v64 offset:592
	s_waitcnt lgkmcnt(0)
	v_add_f32_e32 v37, v65, v37
	s_or_b32 exec_lo, exec_lo, s6
	s_and_saveexec_b32 s6, vcc_lo
	s_cbranch_execz .LBB230_3293
.LBB230_3393:
	ds_read_b32 v65, v64 offset:608
	s_waitcnt lgkmcnt(0)
	v_add_f32_e32 v38, v65, v38
	s_or_b32 exec_lo, exec_lo, s6
	s_and_saveexec_b32 s6, vcc_lo
	s_cbranch_execz .LBB230_3294
.LBB230_3394:
	ds_read_b32 v65, v64 offset:624
	s_waitcnt lgkmcnt(0)
	v_add_f32_e32 v39, v65, v39
	s_or_b32 exec_lo, exec_lo, s6
	s_and_saveexec_b32 s6, vcc_lo
	s_cbranch_execz .LBB230_3295
.LBB230_3395:
	ds_read_b32 v65, v64 offset:640
	s_waitcnt lgkmcnt(0)
	v_add_f32_e32 v48, v65, v48
	s_or_b32 exec_lo, exec_lo, s6
	s_and_saveexec_b32 s6, vcc_lo
	s_cbranch_execz .LBB230_3296
.LBB230_3396:
	ds_read_b32 v65, v64 offset:656
	s_waitcnt lgkmcnt(0)
	v_add_f32_e32 v49, v65, v49
	s_or_b32 exec_lo, exec_lo, s6
	s_and_saveexec_b32 s6, vcc_lo
	s_cbranch_execz .LBB230_3297
.LBB230_3397:
	ds_read_b32 v65, v64 offset:672
	s_waitcnt lgkmcnt(0)
	v_add_f32_e32 v50, v65, v50
	s_or_b32 exec_lo, exec_lo, s6
	s_and_saveexec_b32 s6, vcc_lo
	s_cbranch_execz .LBB230_3298
.LBB230_3398:
	ds_read_b32 v65, v64 offset:688
	s_waitcnt lgkmcnt(0)
	v_add_f32_e32 v51, v65, v51
	s_or_b32 exec_lo, exec_lo, s6
	s_and_saveexec_b32 s6, vcc_lo
	s_cbranch_execz .LBB230_3299
.LBB230_3399:
	ds_read_b32 v65, v64 offset:704
	s_waitcnt lgkmcnt(0)
	v_add_f32_e32 v52, v65, v52
	s_or_b32 exec_lo, exec_lo, s6
	s_and_saveexec_b32 s6, vcc_lo
	s_cbranch_execz .LBB230_3300
.LBB230_3400:
	ds_read_b32 v65, v64 offset:720
	s_waitcnt lgkmcnt(0)
	v_add_f32_e32 v53, v65, v53
	s_or_b32 exec_lo, exec_lo, s6
	s_and_saveexec_b32 s6, vcc_lo
	s_cbranch_execz .LBB230_3301
.LBB230_3401:
	ds_read_b32 v65, v64 offset:736
	s_waitcnt lgkmcnt(0)
	v_add_f32_e32 v54, v65, v54
	s_or_b32 exec_lo, exec_lo, s6
	s_and_saveexec_b32 s6, vcc_lo
	s_cbranch_execnz .LBB230_3302
	s_branch .LBB230_3303
.Lfunc_end230:
	.size	_ZN4vllm22paged_attention_kernelIfhLi192ELi32ELi128ELNS_18Fp8KVCacheDataTypeE1ELb0ELi0EEEvPfS2_PT_PKS3_PKT0_S9_ifPKiSB_iPKfiiiSD_SD_iiiii, .Lfunc_end230-_ZN4vllm22paged_attention_kernelIfhLi192ELi32ELi128ELNS_18Fp8KVCacheDataTypeE1ELb0ELi0EEEvPfS2_PT_PKS3_PKT0_S9_ifPKiSB_iPKfiiiSD_SD_iiiii
                                        ; -- End function
	.set .L_ZN4vllm22paged_attention_kernelIfhLi192ELi32ELi128ELNS_18Fp8KVCacheDataTypeE1ELb0ELi0EEEvPfS2_PT_PKS3_PKT0_S9_ifPKiSB_iPKfiiiSD_SD_iiiii.num_vgpr, 128
	.set .L_ZN4vllm22paged_attention_kernelIfhLi192ELi32ELi128ELNS_18Fp8KVCacheDataTypeE1ELb0ELi0EEEvPfS2_PT_PKS3_PKT0_S9_ifPKiSB_iPKfiiiSD_SD_iiiii.num_agpr, 0
	.set .L_ZN4vllm22paged_attention_kernelIfhLi192ELi32ELi128ELNS_18Fp8KVCacheDataTypeE1ELb0ELi0EEEvPfS2_PT_PKS3_PKT0_S9_ifPKiSB_iPKfiiiSD_SD_iiiii.numbered_sgpr, 33
	.set .L_ZN4vllm22paged_attention_kernelIfhLi192ELi32ELi128ELNS_18Fp8KVCacheDataTypeE1ELb0ELi0EEEvPfS2_PT_PKS3_PKT0_S9_ifPKiSB_iPKfiiiSD_SD_iiiii.num_named_barrier, 0
	.set .L_ZN4vllm22paged_attention_kernelIfhLi192ELi32ELi128ELNS_18Fp8KVCacheDataTypeE1ELb0ELi0EEEvPfS2_PT_PKS3_PKT0_S9_ifPKiSB_iPKfiiiSD_SD_iiiii.private_seg_size, 2392
	.set .L_ZN4vllm22paged_attention_kernelIfhLi192ELi32ELi128ELNS_18Fp8KVCacheDataTypeE1ELb0ELi0EEEvPfS2_PT_PKS3_PKT0_S9_ifPKiSB_iPKfiiiSD_SD_iiiii.uses_vcc, 1
	.set .L_ZN4vllm22paged_attention_kernelIfhLi192ELi32ELi128ELNS_18Fp8KVCacheDataTypeE1ELb0ELi0EEEvPfS2_PT_PKS3_PKT0_S9_ifPKiSB_iPKfiiiSD_SD_iiiii.uses_flat_scratch, 0
	.set .L_ZN4vllm22paged_attention_kernelIfhLi192ELi32ELi128ELNS_18Fp8KVCacheDataTypeE1ELb0ELi0EEEvPfS2_PT_PKS3_PKT0_S9_ifPKiSB_iPKfiiiSD_SD_iiiii.has_dyn_sized_stack, 0
	.set .L_ZN4vllm22paged_attention_kernelIfhLi192ELi32ELi128ELNS_18Fp8KVCacheDataTypeE1ELb0ELi0EEEvPfS2_PT_PKS3_PKT0_S9_ifPKiSB_iPKfiiiSD_SD_iiiii.has_recursion, 0
	.set .L_ZN4vllm22paged_attention_kernelIfhLi192ELi32ELi128ELNS_18Fp8KVCacheDataTypeE1ELb0ELi0EEEvPfS2_PT_PKS3_PKT0_S9_ifPKiSB_iPKfiiiSD_SD_iiiii.has_indirect_call, 0
	.section	.AMDGPU.csdata,"",@progbits
; Function info:
; codeLenInByte = 123192
; TotalNumSgprs: 35
; NumVgprs: 128
; ScratchSize: 2392
; MemoryBound: 0
	.section	.text._ZN4vllm25paged_attention_v1_kernelIfhLi192ELi32ELi128ELNS_18Fp8KVCacheDataTypeE1ELb0EEEvPT_PKS2_PKT0_S8_ifPKiSA_iPKfiiiSC_SC_iiiii,"axG",@progbits,_ZN4vllm25paged_attention_v1_kernelIfhLi192ELi32ELi128ELNS_18Fp8KVCacheDataTypeE1ELb0EEEvPT_PKS2_PKT0_S8_ifPKiSA_iPKfiiiSC_SC_iiiii,comdat
	.protected	_ZN4vllm25paged_attention_v1_kernelIfhLi192ELi32ELi128ELNS_18Fp8KVCacheDataTypeE1ELb0EEEvPT_PKS2_PKT0_S8_ifPKiSA_iPKfiiiSC_SC_iiiii ; -- Begin function _ZN4vllm25paged_attention_v1_kernelIfhLi192ELi32ELi128ELNS_18Fp8KVCacheDataTypeE1ELb0EEEvPT_PKS2_PKT0_S8_ifPKiSA_iPKfiiiSC_SC_iiiii
	.globl	_ZN4vllm25paged_attention_v1_kernelIfhLi192ELi32ELi128ELNS_18Fp8KVCacheDataTypeE1ELb0EEEvPT_PKS2_PKT0_S8_ifPKiSA_iPKfiiiSC_SC_iiiii
	.p2align	8
	.type	_ZN4vllm25paged_attention_v1_kernelIfhLi192ELi32ELi128ELNS_18Fp8KVCacheDataTypeE1ELb0EEEvPT_PKS2_PKT0_S8_ifPKiSA_iPKfiiiSC_SC_iiiii,@function
_ZN4vllm25paged_attention_v1_kernelIfhLi192ELi32ELi128ELNS_18Fp8KVCacheDataTypeE1ELb0EEEvPT_PKS2_PKT0_S8_ifPKiSA_iPKfiiiSC_SC_iiiii: ; @_ZN4vllm25paged_attention_v1_kernelIfhLi192ELi32ELi128ELNS_18Fp8KVCacheDataTypeE1ELb0EEEvPT_PKS2_PKT0_S8_ifPKiSA_iPKfiiiSC_SC_iiiii
; %bb.0:
	s_clause 0x5
	s_load_dwordx8 s[16:23], s[4:5], 0x0
	s_load_dwordx4 s[36:39], s[4:5], 0x20
	s_load_dwordx2 s[10:11], s[4:5], 0x30
	s_load_dword s13, s[4:5], 0x38
	s_load_dwordx2 s[34:35], s[4:5], 0x40
	s_load_dwordx8 s[24:31], s[4:5], 0x48
	s_add_u32 s0, s0, s9
	s_addc_u32 s1, s1, 0
	v_mov_b32_e32 v31, v0
	s_mov_b32 s14, s8
	s_add_u32 s8, s4, 0x80
	s_addc_u32 s9, s5, 0
	s_getpc_b64 s[4:5]
	s_add_u32 s4, s4, _ZN4vllm22paged_attention_kernelIfhLi192ELi32ELi128ELNS_18Fp8KVCacheDataTypeE1ELb0ELi0EEEvPfS2_PT_PKS3_PKT0_S9_ifPKiSB_iPKfiiiSD_SD_iiiii@rel32@lo+4
	s_addc_u32 s5, s5, _ZN4vllm22paged_attention_kernelIfhLi192ELi32ELi128ELNS_18Fp8KVCacheDataTypeE1ELb0ELi0EEEvPfS2_PT_PKS3_PKT0_S9_ifPKiSB_iPKfiiiSD_SD_iiiii@rel32@hi+12
	s_mov_b32 s12, s6
	s_mov_b32 s15, 24
	;; [unrolled: 1-line block ×3, first 2 shown]
	s_waitcnt lgkmcnt(0)
	v_mov_b32_e32 v0, s16
	v_mov_b32_e32 v1, s17
	;; [unrolled: 1-line block ×24, first 2 shown]
	s_mov_b32 s13, s7
	s_swappc_b64 s[30:31], s[4:5]
	s_endpgm
	.section	.rodata,"a",@progbits
	.p2align	6, 0x0
	.amdhsa_kernel _ZN4vllm25paged_attention_v1_kernelIfhLi192ELi32ELi128ELNS_18Fp8KVCacheDataTypeE1ELb0EEEvPT_PKS2_PKT0_S8_ifPKiSA_iPKfiiiSC_SC_iiiii
		.amdhsa_group_segment_fixed_size 800
		.amdhsa_private_segment_fixed_size 2392
		.amdhsa_kernarg_size 384
		.amdhsa_user_sgpr_count 6
		.amdhsa_user_sgpr_private_segment_buffer 1
		.amdhsa_user_sgpr_dispatch_ptr 0
		.amdhsa_user_sgpr_queue_ptr 0
		.amdhsa_user_sgpr_kernarg_segment_ptr 1
		.amdhsa_user_sgpr_dispatch_id 0
		.amdhsa_user_sgpr_flat_scratch_init 0
		.amdhsa_user_sgpr_private_segment_size 0
		.amdhsa_wavefront_size32 1
		.amdhsa_uses_dynamic_stack 0
		.amdhsa_system_sgpr_private_segment_wavefront_offset 1
		.amdhsa_system_sgpr_workgroup_id_x 1
		.amdhsa_system_sgpr_workgroup_id_y 1
		.amdhsa_system_sgpr_workgroup_id_z 1
		.amdhsa_system_sgpr_workgroup_info 0
		.amdhsa_system_vgpr_workitem_id 0
		.amdhsa_next_free_vgpr 128
		.amdhsa_next_free_sgpr 40
		.amdhsa_reserve_vcc 1
		.amdhsa_reserve_flat_scratch 0
		.amdhsa_float_round_mode_32 0
		.amdhsa_float_round_mode_16_64 0
		.amdhsa_float_denorm_mode_32 3
		.amdhsa_float_denorm_mode_16_64 3
		.amdhsa_dx10_clamp 1
		.amdhsa_ieee_mode 1
		.amdhsa_fp16_overflow 0
		.amdhsa_workgroup_processor_mode 1
		.amdhsa_memory_ordered 1
		.amdhsa_forward_progress 1
		.amdhsa_shared_vgpr_count 0
		.amdhsa_exception_fp_ieee_invalid_op 0
		.amdhsa_exception_fp_denorm_src 0
		.amdhsa_exception_fp_ieee_div_zero 0
		.amdhsa_exception_fp_ieee_overflow 0
		.amdhsa_exception_fp_ieee_underflow 0
		.amdhsa_exception_fp_ieee_inexact 0
		.amdhsa_exception_int_div_zero 0
	.end_amdhsa_kernel
	.section	.text._ZN4vllm25paged_attention_v1_kernelIfhLi192ELi32ELi128ELNS_18Fp8KVCacheDataTypeE1ELb0EEEvPT_PKS2_PKT0_S8_ifPKiSA_iPKfiiiSC_SC_iiiii,"axG",@progbits,_ZN4vllm25paged_attention_v1_kernelIfhLi192ELi32ELi128ELNS_18Fp8KVCacheDataTypeE1ELb0EEEvPT_PKS2_PKT0_S8_ifPKiSA_iPKfiiiSC_SC_iiiii,comdat
.Lfunc_end231:
	.size	_ZN4vllm25paged_attention_v1_kernelIfhLi192ELi32ELi128ELNS_18Fp8KVCacheDataTypeE1ELb0EEEvPT_PKS2_PKT0_S8_ifPKiSA_iPKfiiiSC_SC_iiiii, .Lfunc_end231-_ZN4vllm25paged_attention_v1_kernelIfhLi192ELi32ELi128ELNS_18Fp8KVCacheDataTypeE1ELb0EEEvPT_PKS2_PKT0_S8_ifPKiSA_iPKfiiiSC_SC_iiiii
                                        ; -- End function
	.set _ZN4vllm25paged_attention_v1_kernelIfhLi192ELi32ELi128ELNS_18Fp8KVCacheDataTypeE1ELb0EEEvPT_PKS2_PKT0_S8_ifPKiSA_iPKfiiiSC_SC_iiiii.num_vgpr, max(32, .L_ZN4vllm22paged_attention_kernelIfhLi192ELi32ELi128ELNS_18Fp8KVCacheDataTypeE1ELb0ELi0EEEvPfS2_PT_PKS3_PKT0_S9_ifPKiSB_iPKfiiiSD_SD_iiiii.num_vgpr)
	.set _ZN4vllm25paged_attention_v1_kernelIfhLi192ELi32ELi128ELNS_18Fp8KVCacheDataTypeE1ELb0EEEvPT_PKS2_PKT0_S8_ifPKiSA_iPKfiiiSC_SC_iiiii.num_agpr, max(0, .L_ZN4vllm22paged_attention_kernelIfhLi192ELi32ELi128ELNS_18Fp8KVCacheDataTypeE1ELb0ELi0EEEvPfS2_PT_PKS3_PKT0_S9_ifPKiSB_iPKfiiiSD_SD_iiiii.num_agpr)
	.set _ZN4vllm25paged_attention_v1_kernelIfhLi192ELi32ELi128ELNS_18Fp8KVCacheDataTypeE1ELb0EEEvPT_PKS2_PKT0_S8_ifPKiSA_iPKfiiiSC_SC_iiiii.numbered_sgpr, max(40, .L_ZN4vllm22paged_attention_kernelIfhLi192ELi32ELi128ELNS_18Fp8KVCacheDataTypeE1ELb0ELi0EEEvPfS2_PT_PKS3_PKT0_S9_ifPKiSB_iPKfiiiSD_SD_iiiii.numbered_sgpr)
	.set _ZN4vllm25paged_attention_v1_kernelIfhLi192ELi32ELi128ELNS_18Fp8KVCacheDataTypeE1ELb0EEEvPT_PKS2_PKT0_S8_ifPKiSA_iPKfiiiSC_SC_iiiii.num_named_barrier, max(0, .L_ZN4vllm22paged_attention_kernelIfhLi192ELi32ELi128ELNS_18Fp8KVCacheDataTypeE1ELb0ELi0EEEvPfS2_PT_PKS3_PKT0_S9_ifPKiSB_iPKfiiiSD_SD_iiiii.num_named_barrier)
	.set _ZN4vllm25paged_attention_v1_kernelIfhLi192ELi32ELi128ELNS_18Fp8KVCacheDataTypeE1ELb0EEEvPT_PKS2_PKT0_S8_ifPKiSA_iPKfiiiSC_SC_iiiii.private_seg_size, 0+max(.L_ZN4vllm22paged_attention_kernelIfhLi192ELi32ELi128ELNS_18Fp8KVCacheDataTypeE1ELb0ELi0EEEvPfS2_PT_PKS3_PKT0_S9_ifPKiSB_iPKfiiiSD_SD_iiiii.private_seg_size)
	.set _ZN4vllm25paged_attention_v1_kernelIfhLi192ELi32ELi128ELNS_18Fp8KVCacheDataTypeE1ELb0EEEvPT_PKS2_PKT0_S8_ifPKiSA_iPKfiiiSC_SC_iiiii.uses_vcc, or(1, .L_ZN4vllm22paged_attention_kernelIfhLi192ELi32ELi128ELNS_18Fp8KVCacheDataTypeE1ELb0ELi0EEEvPfS2_PT_PKS3_PKT0_S9_ifPKiSB_iPKfiiiSD_SD_iiiii.uses_vcc)
	.set _ZN4vllm25paged_attention_v1_kernelIfhLi192ELi32ELi128ELNS_18Fp8KVCacheDataTypeE1ELb0EEEvPT_PKS2_PKT0_S8_ifPKiSA_iPKfiiiSC_SC_iiiii.uses_flat_scratch, or(0, .L_ZN4vllm22paged_attention_kernelIfhLi192ELi32ELi128ELNS_18Fp8KVCacheDataTypeE1ELb0ELi0EEEvPfS2_PT_PKS3_PKT0_S9_ifPKiSB_iPKfiiiSD_SD_iiiii.uses_flat_scratch)
	.set _ZN4vllm25paged_attention_v1_kernelIfhLi192ELi32ELi128ELNS_18Fp8KVCacheDataTypeE1ELb0EEEvPT_PKS2_PKT0_S8_ifPKiSA_iPKfiiiSC_SC_iiiii.has_dyn_sized_stack, or(0, .L_ZN4vllm22paged_attention_kernelIfhLi192ELi32ELi128ELNS_18Fp8KVCacheDataTypeE1ELb0ELi0EEEvPfS2_PT_PKS3_PKT0_S9_ifPKiSB_iPKfiiiSD_SD_iiiii.has_dyn_sized_stack)
	.set _ZN4vllm25paged_attention_v1_kernelIfhLi192ELi32ELi128ELNS_18Fp8KVCacheDataTypeE1ELb0EEEvPT_PKS2_PKT0_S8_ifPKiSA_iPKfiiiSC_SC_iiiii.has_recursion, or(0, .L_ZN4vllm22paged_attention_kernelIfhLi192ELi32ELi128ELNS_18Fp8KVCacheDataTypeE1ELb0ELi0EEEvPfS2_PT_PKS3_PKT0_S9_ifPKiSB_iPKfiiiSD_SD_iiiii.has_recursion)
	.set _ZN4vllm25paged_attention_v1_kernelIfhLi192ELi32ELi128ELNS_18Fp8KVCacheDataTypeE1ELb0EEEvPT_PKS2_PKT0_S8_ifPKiSA_iPKfiiiSC_SC_iiiii.has_indirect_call, or(0, .L_ZN4vllm22paged_attention_kernelIfhLi192ELi32ELi128ELNS_18Fp8KVCacheDataTypeE1ELb0ELi0EEEvPfS2_PT_PKS3_PKT0_S9_ifPKiSB_iPKfiiiSD_SD_iiiii.has_indirect_call)
	.section	.AMDGPU.csdata,"",@progbits
; Kernel info:
; codeLenInByte = 224
; TotalNumSgprs: 42
; NumVgprs: 128
; ScratchSize: 2392
; MemoryBound: 0
; FloatMode: 240
; IeeeMode: 1
; LDSByteSize: 800 bytes/workgroup (compile time only)
; SGPRBlocks: 0
; VGPRBlocks: 15
; NumSGPRsForWavesPerEU: 42
; NumVGPRsForWavesPerEU: 128
; Occupancy: 8
; WaveLimiterHint : 1
; COMPUTE_PGM_RSRC2:SCRATCH_EN: 1
; COMPUTE_PGM_RSRC2:USER_SGPR: 6
; COMPUTE_PGM_RSRC2:TRAP_HANDLER: 0
; COMPUTE_PGM_RSRC2:TGID_X_EN: 1
; COMPUTE_PGM_RSRC2:TGID_Y_EN: 1
; COMPUTE_PGM_RSRC2:TGID_Z_EN: 1
; COMPUTE_PGM_RSRC2:TIDIG_COMP_CNT: 0
	.text
	.p2align	2                               ; -- Begin function _ZN4vllm22paged_attention_kernelIfhLi256ELi32ELi128ELNS_18Fp8KVCacheDataTypeE1ELb0ELi0EEEvPfS2_PT_PKS3_PKT0_S9_ifPKiSB_iPKfiiiSD_SD_iiiii
	.type	_ZN4vllm22paged_attention_kernelIfhLi256ELi32ELi128ELNS_18Fp8KVCacheDataTypeE1ELb0ELi0EEEvPfS2_PT_PKS3_PKT0_S9_ifPKiSB_iPKfiiiSD_SD_iiiii,@function
_ZN4vllm22paged_attention_kernelIfhLi256ELi32ELi128ELNS_18Fp8KVCacheDataTypeE1ELb0ELi0EEEvPfS2_PT_PKS3_PKT0_S9_ifPKiSB_iPKfiiiSD_SD_iiiii: ; @_ZN4vllm22paged_attention_kernelIfhLi256ELi32ELi128ELNS_18Fp8KVCacheDataTypeE1ELb0ELi0EEEvPfS2_PT_PKS3_PKT0_S9_ifPKiSB_iPKfiiiSD_SD_iiiii
; %bb.0:
	s_waitcnt vmcnt(0) expcnt(0) lgkmcnt(0)
	buffer_store_dword v40, off, s[0:3], s32 offset:188 ; 4-byte Folded Spill
	buffer_store_dword v41, off, s[0:3], s32 offset:184 ; 4-byte Folded Spill
	;; [unrolled: 1-line block ×47, first 2 shown]
	buffer_store_dword v127, off, s[0:3], s32 ; 4-byte Folded Spill
	s_mov_b32 s10, s13
	s_ashr_i32 s11, s13, 31
	buffer_store_dword v22, off, s[0:3], s32 offset:3128 ; 4-byte Folded Spill
	buffer_store_dword v23, off, s[0:3], s32 offset:3132 ; 4-byte Folded Spill
	;; [unrolled: 1-line block ×12, first 2 shown]
	s_lshl_b64 s[4:5], s[10:11], 2
	s_mov_b32 s16, s15
	v_add_co_u32 v0, vcc_lo, v12, s4
	v_add_co_ci_u32_e64 v1, null, s5, v13, vcc_lo
	s_clause 0x1
	s_load_dword s4, s[8:9], 0x10
	s_load_dword s5, s[8:9], 0x0
	flat_load_dword v0, v[0:1]
	s_waitcnt lgkmcnt(0)
	s_lshr_b32 s4, s4, 16
	s_cmp_lg_u32 s4, 0
	s_cselect_b32 s4, -1, 0
	s_cmp_lg_u32 s4, 0
	s_addc_u32 s11, s5, 0
	s_mov_b32 s5, exec_lo
	s_abs_i32 s4, s11
	s_waitcnt vmcnt(0)
	buffer_store_dword v0, off, s[0:3], s32 offset:1804 ; 4-byte Folded Spill
	v_sub_nc_u32_e32 v0, 0, v8
	v_max_i32_e32 v0, v8, v0
	v_cvt_f32_u32_e32 v1, v0
	v_sub_nc_u32_e32 v6, 0, v0
	v_rcp_iflag_f32_e32 v1, v1
	v_mul_f32_e32 v1, 0x4f7ffffe, v1
	v_cvt_u32_f32_e32 v1, v1
	v_mul_lo_u32 v6, v6, v1
	v_mul_hi_u32 v6, v1, v6
	v_add_nc_u32_e32 v1, v1, v6
	v_mul_hi_u32 v1, s4, v1
	v_mul_lo_u32 v6, v1, v0
	v_add_nc_u32_e32 v7, 1, v1
	v_sub_nc_u32_e32 v6, s4, v6
	s_abs_i32 s4, s12
	v_sub_nc_u32_e32 v9, v6, v0
	v_cmp_ge_u32_e32 vcc_lo, v6, v0
	v_cndmask_b32_e32 v1, v1, v7, vcc_lo
	v_cndmask_b32_e32 v6, v6, v9, vcc_lo
	v_xor_b32_e32 v7, s11, v8
	v_add_nc_u32_e32 v8, 1, v1
	v_cmp_ge_u32_e32 vcc_lo, v6, v0
	v_ashrrev_i32_e32 v7, 31, v7
	v_cndmask_b32_e32 v0, v1, v8, vcc_lo
	v_xor_b32_e32 v0, v0, v7
	v_sub_nc_u32_e32 v7, v0, v7
	v_sub_nc_u32_e32 v0, 0, v7
	v_max_i32_e32 v6, v7, v0
	v_cvt_f32_u32_e32 v0, v6
	v_sub_nc_u32_e32 v1, 0, v6
	v_rcp_iflag_f32_e32 v0, v0
	v_mul_f32_e32 v0, 0x4f7ffffe, v0
	v_cvt_u32_f32_e32 v0, v0
	v_mul_lo_u32 v1, v1, v0
	v_mul_hi_u32 v1, v0, v1
	v_add_nc_u32_e32 v0, v0, v1
	v_mad_u64_u32 v[0:1], null, s4, v0, 0
	v_mov_b32_e32 v0, 0
	buffer_store_dword v0, off, s[0:3], s32 offset:2040 ; 4-byte Folded Spill
	v_cmpx_ne_u64_e32 0, v[15:16]
	s_cbranch_execz .LBB232_2
; %bb.1:
	s_ashr_i32 s13, s12, 31
	s_lshl_b64 s[6:7], s[12:13], 2
	v_add_co_u32 v8, vcc_lo, v15, s6
	v_add_co_ci_u32_e64 v9, null, s7, v16, vcc_lo
	flat_load_dword v0, v[8:9]
	s_waitcnt vmcnt(0) lgkmcnt(0)
	buffer_store_dword v0, off, s[0:3], s32 offset:2040 ; 4-byte Folded Spill
.LBB232_2:
	s_or_b32 exec_lo, exec_lo, s5
	v_and_b32_e32 v12, 0x3ff, v31
	v_ashrrev_i32_e32 v0, 31, v7
	s_ashr_i32 s5, s12, 31
	s_lshl_b32 s12, s12, 8
	s_mov_b32 s6, exec_lo
	v_cmpx_gt_u32_e32 64, v12
	s_cbranch_execz .LBB232_4
; %bb.3:
	v_mul_lo_u32 v7, v17, s10
	s_ashr_i32 s13, s12, 31
	v_lshlrev_b32_e32 v11, 4, v12
	s_lshl_b64 s[18:19], s[12:13], 2
	v_ashrrev_i32_e32 v8, 31, v7
	v_lshlrev_b64 v[7:8], 2, v[7:8]
	v_add_co_u32 v2, vcc_lo, v2, v7
	v_add_co_ci_u32_e64 v3, null, v3, v8, vcc_lo
	v_add_co_u32 v2, vcc_lo, v2, s18
	v_add_co_ci_u32_e64 v3, null, s19, v3, vcc_lo
	;; [unrolled: 2-line block ×3, first 2 shown]
	flat_load_dwordx4 v[7:10], v[2:3]
	s_waitcnt vmcnt(0) lgkmcnt(0)
	ds_write_b128 v11, v[7:10]
.LBB232_4:
	s_or_b32 exec_lo, exec_lo, s6
	v_mul_lo_u32 v2, v1, v6
	v_add_nc_u32_e32 v3, 1, v1
	v_xor_b32_e32 v8, s5, v0
	v_mul_lo_u32 v0, v14, s10
	v_mov_b32_e32 v10, 0xff7fffff
	v_sub_nc_u32_e32 v2, s4, v2
	v_sub_nc_u32_e32 v7, v2, v6
	v_cmp_ge_u32_e32 vcc_lo, v2, v6
	v_cndmask_b32_e32 v2, v2, v7, vcc_lo
	buffer_load_dword v7, off, s[0:3], s32 offset:1804 ; 4-byte Folded Reload
	v_cndmask_b32_e32 v1, v1, v3, vcc_lo
	s_clause 0x1
	s_load_dword s13, s[8:9], 0x14
	s_load_dword s9, s[8:9], 0x8
	v_cmp_ge_u32_e32 vcc_lo, v2, v6
	v_lshrrev_b32_e32 v6, 5, v12
	v_add_nc_u32_e32 v3, 1, v1
	v_cndmask_b32_e32 v1, v1, v3, vcc_lo
	v_xor_b32_e32 v1, v1, v8
	v_sub_nc_u32_e32 v3, v1, v8
	v_ashrrev_i32_e32 v1, 31, v0
	v_mul_lo_u32 v8, v3, v19
	v_lshlrev_b64 v[0:1], 2, v[0:1]
	s_waitcnt vmcnt(0)
	v_add_nc_u32_e32 v7, 31, v7
	v_ashrrev_i32_e32 v2, 31, v7
	v_lshrrev_b32_e32 v2, 27, v2
	v_add_nc_u32_e32 v2, v7, v2
	v_lshrrev_b32_e32 v7, 3, v12
	v_ashrrev_i32_e32 v3, 5, v2
	v_and_b32_e32 v2, 31, v12
	buffer_store_dword v7, off, s[0:3], s32 offset:3116 ; 4-byte Folded Spill
	buffer_store_dword v0, off, s[0:3], s32 offset:3108 ; 4-byte Folded Spill
	;; [unrolled: 1-line block ×3, first 2 shown]
	v_ashrrev_i32_e32 v0, 31, v8
	v_cmp_ge_i32_e64 s4, v6, v3
	v_lshlrev_b32_e32 v9, 2, v2
	buffer_store_dword v6, off, s[0:3], s32 offset:3096 ; 4-byte Folded Spill
	buffer_store_dword v3, off, s[0:3], s32 offset:192 ; 4-byte Folded Spill
	v_cmp_lt_i32_e32 vcc_lo, v6, v3
	buffer_store_dword v8, off, s[0:3], s32 offset:3120 ; 4-byte Folded Spill
	buffer_store_dword v0, off, s[0:3], s32 offset:3124 ; 4-byte Folded Spill
	;; [unrolled: 1-line block ×3, first 2 shown]
	s_waitcnt lgkmcnt(0)
	s_waitcnt_vscnt null, 0x0
	s_barrier
	buffer_gl0_inv
	s_mov_b32 s8, exec_lo
	v_mov_b32_e32 v7, v12
	s_and_b32 s5, s8, vcc_lo
	buffer_store_dword v7, off, s[0:3], s32 offset:3088 ; 4-byte Folded Spill
	s_mov_b32 exec_lo, s5
	s_cbranch_execz .LBB232_2056
; %bb.5:
	s_clause 0x2
	buffer_load_dword v0, off, s[0:3], s32 offset:3120
	buffer_load_dword v1, off, s[0:3], s32 offset:3124
	;; [unrolled: 1-line block ×3, first 2 shown]
	v_mov_b32_e32 v61, 0
	s_ashr_i32 s17, s16, 31
	v_bfrev_b32_e32 v85, 1
	s_lshl_b64 s[6:7], s[16:17], 2
	s_getpc_b64 s[18:19]
	s_add_u32 s18, s18, llvm.amdgcn.dynlds.offset.table@rel32@lo+4
	s_addc_u32 s19, s19, llvm.amdgcn.dynlds.offset.table@rel32@hi+12
	s_add_u32 s6, s18, s6
	s_addc_u32 s7, s19, s7
	v_mov_b32_e32 v87, 0x7f800001
	s_mov_b32 s15, 0
	s_waitcnt vmcnt(2)
	v_add_co_u32 v0, vcc_lo, v4, v0
	s_waitcnt vmcnt(0)
	v_lshlrev_b32_e32 v2, 4, v3
	v_add_co_ci_u32_e64 v1, null, v5, v1, vcc_lo
	v_add_co_u32 v0, vcc_lo, v0, v2
	v_add_co_ci_u32_e64 v1, null, 0, v1, vcc_lo
	buffer_store_dword v0, off, s[0:3], s32 offset:2056 ; 4-byte Folded Spill
	buffer_store_dword v1, off, s[0:3], s32 offset:2060 ; 4-byte Folded Spill
	ds_read_b128 v[10:13], v61
	s_waitcnt lgkmcnt(0)
	buffer_store_dword v10, off, s[0:3], s32 offset:2064 ; 4-byte Folded Spill
	buffer_store_dword v11, off, s[0:3], s32 offset:2068 ; 4-byte Folded Spill
	;; [unrolled: 1-line block ×4, first 2 shown]
	ds_read_b128 v[10:13], v61 offset:16
	s_waitcnt lgkmcnt(0)
	buffer_store_dword v10, off, s[0:3], s32 offset:2080 ; 4-byte Folded Spill
	buffer_store_dword v11, off, s[0:3], s32 offset:2084 ; 4-byte Folded Spill
	buffer_store_dword v12, off, s[0:3], s32 offset:2088 ; 4-byte Folded Spill
	buffer_store_dword v13, off, s[0:3], s32 offset:2092 ; 4-byte Folded Spill
	ds_read_b128 v[4:7], v61 offset:32
	v_mov_b32_e32 v10, 0xff7fffff
	s_waitcnt lgkmcnt(0)
	buffer_store_dword v4, off, s[0:3], s32 offset:2096 ; 4-byte Folded Spill
	buffer_store_dword v5, off, s[0:3], s32 offset:2100 ; 4-byte Folded Spill
	buffer_store_dword v6, off, s[0:3], s32 offset:2104 ; 4-byte Folded Spill
	buffer_store_dword v7, off, s[0:3], s32 offset:2108 ; 4-byte Folded Spill
	ds_read_b128 v[4:7], v61 offset:48
	s_waitcnt lgkmcnt(0)
	buffer_store_dword v4, off, s[0:3], s32 offset:2112 ; 4-byte Folded Spill
	buffer_store_dword v5, off, s[0:3], s32 offset:2116 ; 4-byte Folded Spill
	buffer_store_dword v6, off, s[0:3], s32 offset:2120 ; 4-byte Folded Spill
	buffer_store_dword v7, off, s[0:3], s32 offset:2124 ; 4-byte Folded Spill
	ds_read_b128 v[4:7], v61 offset:64
	;; [unrolled: 6-line block ×23, first 2 shown]
	buffer_load_dword v0, off, s[0:3], s32 offset:2040 ; 4-byte Folded Reload
	s_waitcnt lgkmcnt(0)
	buffer_store_dword v4, off, s[0:3], s32 offset:2464 ; 4-byte Folded Spill
	buffer_store_dword v5, off, s[0:3], s32 offset:2468 ; 4-byte Folded Spill
	buffer_store_dword v6, off, s[0:3], s32 offset:2472 ; 4-byte Folded Spill
	buffer_store_dword v7, off, s[0:3], s32 offset:2476 ; 4-byte Folded Spill
	ds_read_b128 v[4:7], v61 offset:416
	s_waitcnt lgkmcnt(0)
	buffer_store_dword v4, off, s[0:3], s32 offset:2480 ; 4-byte Folded Spill
	buffer_store_dword v5, off, s[0:3], s32 offset:2484 ; 4-byte Folded Spill
	buffer_store_dword v6, off, s[0:3], s32 offset:2488 ; 4-byte Folded Spill
	buffer_store_dword v7, off, s[0:3], s32 offset:2492 ; 4-byte Folded Spill
	ds_read_b128 v[4:7], v61 offset:432
	;; [unrolled: 6-line block ×16, first 2 shown]
	s_waitcnt vmcnt(0)
	v_cmp_neq_f32_e32 vcc_lo, 0, v0
	s_waitcnt lgkmcnt(0)
	buffer_store_dword v4, off, s[0:3], s32 offset:2720 ; 4-byte Folded Spill
	buffer_store_dword v5, off, s[0:3], s32 offset:2724 ; 4-byte Folded Spill
	buffer_store_dword v6, off, s[0:3], s32 offset:2728 ; 4-byte Folded Spill
	buffer_store_dword v7, off, s[0:3], s32 offset:2732 ; 4-byte Folded Spill
	ds_read_b128 v[4:7], v61 offset:672
	s_waitcnt lgkmcnt(0)
	buffer_store_dword v4, off, s[0:3], s32 offset:2736 ; 4-byte Folded Spill
	buffer_store_dword v5, off, s[0:3], s32 offset:2740 ; 4-byte Folded Spill
	buffer_store_dword v6, off, s[0:3], s32 offset:2744 ; 4-byte Folded Spill
	buffer_store_dword v7, off, s[0:3], s32 offset:2748 ; 4-byte Folded Spill
	ds_read_b128 v[4:7], v61 offset:688
	;; [unrolled: 6-line block ×22, first 2 shown]
	s_waitcnt lgkmcnt(0)
	buffer_store_dword v4, off, s[0:3], s32 offset:3072 ; 4-byte Folded Spill
	buffer_store_dword v5, off, s[0:3], s32 offset:3076 ; 4-byte Folded Spill
	;; [unrolled: 1-line block ×4, first 2 shown]
	buffer_load_dword v0, off, s[0:3], s32 offset:3116 ; 4-byte Folded Reload
	s_load_dword s6, s[6:7], 0x0
	s_clause 0x1
	buffer_load_dword v1, off, s[0:3], s32 offset:3108
	buffer_load_dword v2, off, s[0:3], s32 offset:3112
	buffer_store_dword v9, off, s[0:3], s32 offset:3152 ; 4-byte Folded Spill
	buffer_load_dword v86, off, s[0:3], s32 offset:3096 ; 4-byte Folded Reload
	s_waitcnt vmcnt(3)
	v_and_b32_e32 v0, 0x7c, v0
	s_waitcnt vmcnt(0)
	v_lshl_or_b32 v7, v86, 5, v3
	v_add_co_u32 v0, s5, v0, v1
	v_add_co_ci_u32_e64 v1, null, 0, v2, s5
	buffer_load_dword v2, off, s[0:3], s32 offset:3104 ; 4-byte Folded Reload
	s_waitcnt vmcnt(0)
	v_add_co_u32 v4, s5, v2, v0
	buffer_load_dword v0, off, s[0:3], s32 offset:3100 ; 4-byte Folded Reload
	s_waitcnt vmcnt(0)
	v_add_co_ci_u32_e64 v5, null, v0, v1, s5
	v_lshl_or_b32 v0, v86, 7, v9
	s_waitcnt lgkmcnt(0)
	v_add_nc_u32_e32 v84, s6, v0
	s_branch .LBB232_10
.LBB232_6:                              ;   in Loop: Header=BB232_10 Depth=1
	s_or_b32 exec_lo, exec_lo, s18
	v_mov_b32_e32 v2, 24
	v_lshlrev_b32_sdwa v6, v2, v26 dst_sel:DWORD dst_unused:UNUSED_PAD src0_sel:DWORD src1_sel:BYTE_3
	v_lshlrev_b32_e32 v26, 20, v52
	v_lshl_add_u32 v52, v70, 23, 0x3c000000
	v_and_b32_e32 v6, 0x80000000, v6
	v_or3_b32 v53, v26, v6, v52
	v_mov_b32_e32 v52, v61
.LBB232_7:                              ;   in Loop: Header=BB232_10 Depth=1
	s_or_b32 exec_lo, exec_lo, s17
.LBB232_8:                              ;   in Loop: Header=BB232_10 Depth=1
	s_or_b32 exec_lo, exec_lo, s7
	v_mov_b32_e32 v84, v71
	v_mov_b32_e32 v86, v116
.LBB232_9:                              ;   in Loop: Header=BB232_10 Depth=1
	s_or_b32 exec_lo, exec_lo, s6
	v_or_b32_e32 v0, v0, v12
	v_or_b32_e32 v1, v1, v13
	v_or_b32_e32 v6, v73, v69
	v_or_b32_e32 v26, v72, v68
	v_or_b32_e32 v18, v35, v18
	v_mul_f32_e32 v0, v117, v0
	v_mul_f32_e32 v1, v117, v1
	;; [unrolled: 1-line block ×3, first 2 shown]
	v_or_b32_e32 v6, v30, v46
	v_or_b32_e32 v8, v8, v56
	buffer_store_dword v0, off, s[0:3], s32 offset:1916 ; 4-byte Folded Spill
	v_or_b32_e32 v0, v121, v91
	buffer_store_dword v1, off, s[0:3], s32 offset:1908 ; 4-byte Folded Spill
	;; [unrolled: 2-line block ×3, first 2 shown]
	v_mul_f32_e32 v2, v117, v26
	v_mul_f32_e32 v0, v117, v0
	v_or_b32_e32 v26, v29, v45
	v_or_b32_e32 v52, v52, v102
	v_add_nc_u32_e32 v86, 4, v86
	buffer_store_dword v2, off, s[0:3], s32 offset:1832 ; 4-byte Folded Spill
	buffer_store_dword v0, off, s[0:3], s32 offset:1912 ; 4-byte Folded Spill
	v_mul_f32_e32 v0, v117, v1
	v_or_b32_e32 v1, v37, v126
	v_mul_f32_e32 v2, v117, v6
	v_or_b32_e32 v6, v28, v32
	v_mul_f32_e32 v52, v117, v52
	buffer_store_dword v0, off, s[0:3], s32 offset:1920 ; 4-byte Folded Spill
	v_or_b32_e32 v0, v38, v127
	buffer_store_dword v2, off, s[0:3], s32 offset:1828 ; 4-byte Folded Spill
	v_mul_f32_e32 v2, v117, v26
	v_or_b32_e32 v26, v27, v31
	v_mul_f32_e32 v0, v117, v0
	buffer_store_dword v2, off, s[0:3], s32 offset:1836 ; 4-byte Folded Spill
	v_mul_f32_e32 v2, v117, v6
	v_or_b32_e32 v6, v113, v40
	buffer_store_dword v0, off, s[0:3], s32 offset:1924 ; 4-byte Folded Spill
	v_mul_f32_e32 v0, v117, v1
	v_or_b32_e32 v1, v122, v78
	;; [unrolled: 3-line block ×3, first 2 shown]
	buffer_store_dword v0, off, s[0:3], s32 offset:1932 ; 4-byte Folded Spill
	v_or_b32_e32 v0, v123, v79
	buffer_store_dword v2, off, s[0:3], s32 offset:1848 ; 4-byte Folded Spill
	v_mul_f32_e32 v2, v117, v6
	v_or_b32_e32 v6, v36, v19
	v_mul_f32_e32 v0, v117, v0
	buffer_store_dword v2, off, s[0:3], s32 offset:1844 ; 4-byte Folded Spill
	v_mul_f32_e32 v2, v117, v26
	buffer_store_dword v0, off, s[0:3], s32 offset:1928 ; 4-byte Folded Spill
	v_mul_f32_e32 v0, v117, v1
	v_or_b32_e32 v1, v10, v20
	buffer_store_dword v2, off, s[0:3], s32 offset:1852 ; 4-byte Folded Spill
	v_mul_f32_e32 v2, v117, v6
	buffer_store_dword v0, off, s[0:3], s32 offset:1936 ; 4-byte Folded Spill
	v_or_b32_e32 v0, v11, v21
	v_or_b32_e32 v6, v81, v55
	buffer_store_dword v2, off, s[0:3], s32 offset:1856 ; 4-byte Folded Spill
	v_mul_f32_e32 v2, v117, v18
	v_mul_f32_e32 v0, v117, v0
	v_or_b32_e32 v18, v80, v54
	buffer_store_dword v2, off, s[0:3], s32 offset:1864 ; 4-byte Folded Spill
	buffer_store_dword v0, off, s[0:3], s32 offset:1940 ; 4-byte Folded Spill
	v_mul_f32_e32 v0, v117, v1
	v_or_b32_e32 v1, v118, v96
	v_mul_f32_e32 v2, v117, v6
	v_or_b32_e32 v6, v65, v83
	buffer_store_dword v0, off, s[0:3], s32 offset:1948 ; 4-byte Folded Spill
	v_or_b32_e32 v0, v119, v97
	buffer_store_dword v2, off, s[0:3], s32 offset:1860 ; 4-byte Folded Spill
	v_mul_f32_e32 v2, v117, v18
	v_or_b32_e32 v18, v64, v82
	v_mul_f32_e32 v0, v117, v0
	buffer_store_dword v2, off, s[0:3], s32 offset:1868 ; 4-byte Folded Spill
	v_mul_f32_e32 v2, v117, v6
	v_or_b32_e32 v6, v9, v57
	buffer_store_dword v0, off, s[0:3], s32 offset:1944 ; 4-byte Folded Spill
	v_mul_f32_e32 v0, v117, v1
	v_or_b32_e32 v1, v33, v104
	buffer_store_dword v2, off, s[0:3], s32 offset:1872 ; 4-byte Folded Spill
	v_mul_f32_e32 v2, v117, v18
	buffer_store_dword v0, off, s[0:3], s32 offset:1952 ; 4-byte Folded Spill
	v_or_b32_e32 v0, v34, v105
	buffer_store_dword v2, off, s[0:3], s32 offset:1880 ; 4-byte Folded Spill
	v_mul_f32_e32 v2, v117, v6
	v_or_b32_e32 v6, v99, v59
	v_mul_f32_e32 v0, v117, v0
	buffer_store_dword v2, off, s[0:3], s32 offset:1876 ; 4-byte Folded Spill
	v_mul_f32_e32 v2, v117, v8
	buffer_store_dword v0, off, s[0:3], s32 offset:1956 ; 4-byte Folded Spill
	v_mul_f32_e32 v0, v117, v1
	v_or_b32_e32 v1, v22, v110
	v_or_b32_e32 v8, v98, v58
	buffer_store_dword v2, off, s[0:3], s32 offset:1884 ; 4-byte Folded Spill
	v_mul_f32_e32 v2, v117, v6
	buffer_store_dword v0, off, s[0:3], s32 offset:1964 ; 4-byte Folded Spill
	v_or_b32_e32 v0, v23, v111
	v_or_b32_e32 v6, v25, v125
	buffer_store_dword v2, off, s[0:3], s32 offset:1888 ; 4-byte Folded Spill
	v_mul_f32_e32 v2, v117, v8
	v_mul_f32_e32 v0, v117, v0
	v_or_b32_e32 v8, v24, v124
	buffer_store_dword v2, off, s[0:3], s32 offset:1900 ; 4-byte Folded Spill
	buffer_store_dword v0, off, s[0:3], s32 offset:1960 ; 4-byte Folded Spill
	v_mul_f32_e32 v0, v117, v1
	v_or_b32_e32 v1, v94, v41
	v_mul_f32_e32 v2, v117, v6
	buffer_store_dword v0, off, s[0:3], s32 offset:1968 ; 4-byte Folded Spill
	v_or_b32_e32 v0, v95, v42
	buffer_store_dword v2, off, s[0:3], s32 offset:1892 ; 4-byte Folded Spill
	v_mul_f32_e32 v2, v117, v8
	v_mul_f32_e32 v0, v117, v0
	buffer_store_dword v2, off, s[0:3], s32 offset:1904 ; 4-byte Folded Spill
	buffer_store_dword v0, off, s[0:3], s32 offset:1972 ; 4-byte Folded Spill
	v_mul_f32_e32 v0, v117, v1
	v_or_b32_e32 v1, v74, v66
	buffer_store_dword v0, off, s[0:3], s32 offset:1980 ; 4-byte Folded Spill
	v_or_b32_e32 v0, v75, v67
	v_mul_f32_e32 v0, v117, v0
	buffer_store_dword v0, off, s[0:3], s32 offset:1976 ; 4-byte Folded Spill
	v_mul_f32_e32 v0, v117, v1
	v_or_b32_e32 v1, v114, v106
	buffer_store_dword v0, off, s[0:3], s32 offset:1984 ; 4-byte Folded Spill
	v_or_b32_e32 v0, v115, v107
	v_mul_f32_e32 v0, v117, v0
	;; [unrolled: 6-line block ×5, first 2 shown]
	buffer_store_dword v0, off, s[0:3], s32 offset:2008 ; 4-byte Folded Spill
	v_mul_f32_e32 v0, v117, v1
	buffer_store_dword v0, off, s[0:3], s32 offset:2016 ; 4-byte Folded Spill
	s_clause 0x1
	buffer_load_dword v1, off, s[0:3], s32 offset:1796
	buffer_load_dword v2, off, s[0:3], s32 offset:1800
	s_waitcnt vmcnt(1)
	v_or_b32_e32 v1, v1, v100
	s_waitcnt vmcnt(0)
	v_or_b32_e32 v0, v2, v101
	v_mul_f32_e32 v0, v117, v0
	buffer_store_dword v0, off, s[0:3], s32 offset:1796 ; 4-byte Folded Spill
	v_mul_f32_e32 v0, v117, v1
	v_or_b32_e32 v1, v16, v14
	buffer_store_dword v0, off, s[0:3], s32 offset:2024 ; 4-byte Folded Spill
	v_or_b32_e32 v0, v17, v15
	v_mul_f32_e32 v0, v117, v0
	buffer_store_dword v0, off, s[0:3], s32 offset:2020 ; 4-byte Folded Spill
	v_mul_f32_e32 v0, v117, v1
	buffer_store_dword v0, off, s[0:3], s32 offset:2028 ; 4-byte Folded Spill
	s_clause 0x3
	buffer_load_dword v100, off, s[0:3], s32 offset:1788
	buffer_load_dword v101, off, s[0:3], s32 offset:1792
	buffer_load_dword v1, off, s[0:3], s32 offset:1764
	buffer_load_dword v2, off, s[0:3], s32 offset:1768
	s_waitcnt vmcnt(1)
	v_or_b32_e32 v1, v1, v100
	s_waitcnt vmcnt(0)
	v_or_b32_e32 v0, v2, v101
	v_mul_f32_e32 v0, v117, v0
	buffer_store_dword v0, off, s[0:3], s32 offset:1764 ; 4-byte Folded Spill
	v_mul_f32_e32 v0, v117, v1
	buffer_store_dword v0, off, s[0:3], s32 offset:1788 ; 4-byte Folded Spill
	s_clause 0x3
	buffer_load_dword v1, off, s[0:3], s32 offset:1772
	buffer_load_dword v2, off, s[0:3], s32 offset:1776
	buffer_load_dword v5, off, s[0:3], s32 offset:1780
	buffer_load_dword v6, off, s[0:3], s32 offset:1784
	s_waitcnt vmcnt(1)
	v_or_b32_e32 v1, v1, v5
	s_waitcnt vmcnt(0)
	;; [unrolled: 13-line block ×45, first 2 shown]
	v_or_b32_e32 v0, v2, v101
	v_mul_f32_e32 v73, v117, v1
	v_mul_f32_e32 v0, v117, v0
	buffer_store_dword v0, off, s[0:3], s32 offset:1060 ; 4-byte Folded Spill
	s_clause 0x3
	buffer_load_dword v1, off, s[0:3], s32 offset:1068
	buffer_load_dword v2, off, s[0:3], s32 offset:1072
	;; [unrolled: 1-line block ×4, first 2 shown]
	s_waitcnt vmcnt(1)
	v_or_b32_e32 v1, v1, v5
	s_waitcnt vmcnt(0)
	v_or_b32_e32 v0, v2, v6
	v_mul_f32_e32 v0, v117, v0
	buffer_store_dword v0, off, s[0:3], s32 offset:1068 ; 4-byte Folded Spill
	v_mul_f32_e32 v0, v117, v1
	buffer_store_dword v0, off, s[0:3], s32 offset:1076 ; 4-byte Folded Spill
	s_clause 0x3
	buffer_load_dword v100, off, s[0:3], s32 offset:1052
	buffer_load_dword v101, off, s[0:3], s32 offset:1056
	;; [unrolled: 1-line block ×4, first 2 shown]
	s_waitcnt vmcnt(1)
	v_or_b32_e32 v1, v1, v100
	s_waitcnt vmcnt(0)
	v_or_b32_e32 v0, v2, v101
	v_mul_f32_e32 v40, v117, v1
	s_clause 0x3
	buffer_load_dword v1, off, s[0:3], s32 offset:1036
	buffer_load_dword v2, off, s[0:3], s32 offset:1040
	;; [unrolled: 1-line block ×4, first 2 shown]
	v_mul_f32_e32 v56, v117, v0
	s_waitcnt vmcnt(1)
	v_or_b32_e32 v1, v1, v5
	s_waitcnt vmcnt(0)
	v_or_b32_e32 v0, v2, v6
	v_mul_f32_e32 v45, v117, v1
	s_clause 0x3
	buffer_load_dword v100, off, s[0:3], s32 offset:1020
	buffer_load_dword v101, off, s[0:3], s32 offset:1024
	;; [unrolled: 1-line block ×4, first 2 shown]
	v_mul_f32_e32 v46, v117, v0
	s_waitcnt vmcnt(1)
	v_or_b32_e32 v1, v1, v100
	s_waitcnt vmcnt(0)
	v_or_b32_e32 v0, v2, v101
	v_mul_f32_e32 v112, v117, v0
	v_mul_f32_e32 v0, v117, v1
	buffer_store_dword v0, off, s[0:3], s32 offset:996 ; 4-byte Folded Spill
	s_clause 0x3
	buffer_load_dword v1, off, s[0:3], s32 offset:1004
	buffer_load_dword v2, off, s[0:3], s32 offset:1008
	;; [unrolled: 1-line block ×4, first 2 shown]
	s_waitcnt vmcnt(1)
	v_or_b32_e32 v1, v1, v5
	s_waitcnt vmcnt(0)
	v_or_b32_e32 v0, v2, v6
	v_mul_f32_e32 v80, v117, v1
	s_clause 0x3
	buffer_load_dword v100, off, s[0:3], s32 offset:988
	buffer_load_dword v101, off, s[0:3], s32 offset:992
	buffer_load_dword v1, off, s[0:3], s32 offset:964
	buffer_load_dword v2, off, s[0:3], s32 offset:968
	v_mul_f32_e32 v113, v117, v0
	s_waitcnt vmcnt(1)
	v_or_b32_e32 v1, v1, v100
	s_waitcnt vmcnt(0)
	v_or_b32_e32 v0, v2, v101
	v_mul_f32_e32 v65, v117, v1
	s_clause 0x3
	buffer_load_dword v1, off, s[0:3], s32 offset:972
	buffer_load_dword v2, off, s[0:3], s32 offset:976
	buffer_load_dword v5, off, s[0:3], s32 offset:980
	buffer_load_dword v6, off, s[0:3], s32 offset:984
	v_mul_f32_e32 v81, v117, v0
	;; [unrolled: 11-line block ×6, first 2 shown]
	s_waitcnt vmcnt(1)
	v_or_b32_e32 v1, v1, v5
	s_waitcnt vmcnt(0)
	v_or_b32_e32 v0, v2, v6
	v_mul_f32_e32 v36, v117, v1
	v_mul_f32_e32 v0, v117, v0
	buffer_store_dword v0, off, s[0:3], s32 offset:900 ; 4-byte Folded Spill
	s_clause 0x3
	buffer_load_dword v100, off, s[0:3], s32 offset:892
	buffer_load_dword v101, off, s[0:3], s32 offset:896
	;; [unrolled: 1-line block ×4, first 2 shown]
	s_waitcnt vmcnt(1)
	v_or_b32_e32 v1, v1, v100
	s_waitcnt vmcnt(0)
	v_or_b32_e32 v0, v2, v101
	v_mul_f32_e32 v28, v117, v1
	s_clause 0x3
	buffer_load_dword v1, off, s[0:3], s32 offset:876
	buffer_load_dword v2, off, s[0:3], s32 offset:880
	;; [unrolled: 1-line block ×4, first 2 shown]
	v_mul_f32_e32 v30, v117, v0
	s_waitcnt vmcnt(0)
	v_or_b32_e32 v0, v2, v6
	v_or_b32_e32 v2, v1, v5
	v_mul_f32_e32 v32, v117, v0
	v_mul_f32_e32 v29, v117, v2
	s_clause 0x3
	buffer_load_dword v100, off, s[0:3], s32 offset:860
	buffer_load_dword v101, off, s[0:3], s32 offset:864
	;; [unrolled: 1-line block ×4, first 2 shown]
	s_waitcnt vmcnt(1)
	v_or_b32_e32 v10, v1, v100
	s_waitcnt vmcnt(0)
	v_or_b32_e32 v0, v2, v101
	s_clause 0x3
	buffer_load_dword v1, off, s[0:3], s32 offset:844
	buffer_load_dword v2, off, s[0:3], s32 offset:848
	;; [unrolled: 1-line block ×4, first 2 shown]
	v_mul_f32_e32 v125, v117, v10
	v_mul_f32_e32 v27, v117, v0
	s_waitcnt vmcnt(1)
	v_or_b32_e32 v10, v1, v5
	s_waitcnt vmcnt(0)
	v_or_b32_e32 v0, v2, v6
	v_mul_f32_e32 v26, v117, v0
	v_mul_f32_e32 v0, v117, v10
	buffer_store_dword v0, off, s[0:3], s32 offset:836 ; 4-byte Folded Spill
	s_clause 0x3
	buffer_load_dword v100, off, s[0:3], s32 offset:828
	buffer_load_dword v101, off, s[0:3], s32 offset:832
	;; [unrolled: 1-line block ×4, first 2 shown]
	s_waitcnt vmcnt(1)
	v_or_b32_e32 v10, v1, v100
	s_waitcnt vmcnt(0)
	v_or_b32_e32 v0, v2, v101
	s_clause 0x3
	buffer_load_dword v1, off, s[0:3], s32 offset:812
	buffer_load_dword v2, off, s[0:3], s32 offset:816
	;; [unrolled: 1-line block ×4, first 2 shown]
	v_mul_f32_e32 v59, v117, v10
	v_mul_f32_e32 v25, v117, v0
	s_waitcnt vmcnt(1)
	v_or_b32_e32 v10, v1, v5
	s_waitcnt vmcnt(0)
	v_or_b32_e32 v0, v2, v6
	v_mul_f32_e32 v64, v117, v10
	v_mul_f32_e32 v19, v117, v0
	s_clause 0x3
	buffer_load_dword v100, off, s[0:3], s32 offset:796
	buffer_load_dword v101, off, s[0:3], s32 offset:800
	buffer_load_dword v0, off, s[0:3], s32 offset:772
	buffer_load_dword v1, off, s[0:3], s32 offset:776
	s_waitcnt vmcnt(1)
	v_or_b32_e32 v11, v0, v100
	s_waitcnt vmcnt(0)
	v_or_b32_e32 v10, v1, v101
	s_clause 0x3
	buffer_load_dword v0, off, s[0:3], s32 offset:780
	buffer_load_dword v1, off, s[0:3], s32 offset:784
	buffer_load_dword v5, off, s[0:3], s32 offset:788
	buffer_load_dword v6, off, s[0:3], s32 offset:792
	v_mul_f32_e32 v116, v117, v11
	v_mul_f32_e32 v47, v117, v10
	s_waitcnt vmcnt(1)
	v_or_b32_e32 v12, v0, v5
	s_waitcnt vmcnt(0)
	v_or_b32_e32 v10, v1, v6
	s_clause 0x3
	buffer_load_dword v100, off, s[0:3], s32 offset:764
	buffer_load_dword v101, off, s[0:3], s32 offset:768
	buffer_load_dword v0, off, s[0:3], s32 offset:740
	buffer_load_dword v1, off, s[0:3], s32 offset:744
	v_mul_f32_e32 v97, v117, v12
	v_mul_f32_e32 v51, v117, v10
	;; [unrolled: 11-line block ×31, first 2 shown]
	s_waitcnt vmcnt(1)
	v_or_b32_e32 v0, v0, v5
	s_waitcnt vmcnt(0)
	v_or_b32_e32 v91, v1, v6
	v_mul_f32_e32 v11, v117, v0
	s_clause 0x3
	buffer_load_dword v100, off, s[0:3], s32 offset:284
	buffer_load_dword v101, off, s[0:3], s32 offset:288
	;; [unrolled: 1-line block ×4, first 2 shown]
	v_mul_f32_e32 v91, v117, v91
	s_waitcnt vmcnt(1)
	v_or_b32_e32 v63, v0, v100
	s_waitcnt vmcnt(0)
	v_or_b32_e32 v62, v1, v101
	s_clause 0x3
	buffer_load_dword v0, off, s[0:3], s32 offset:268
	buffer_load_dword v1, off, s[0:3], s32 offset:272
	buffer_load_dword v5, off, s[0:3], s32 offset:276
	buffer_load_dword v6, off, s[0:3], s32 offset:280
	v_mul_f32_e32 v50, v117, v63
	v_mul_f32_e32 v101, v117, v62
	s_waitcnt vmcnt(1)
	v_or_b32_e32 v63, v0, v5
	s_waitcnt vmcnt(0)
	v_or_b32_e32 v62, v1, v6
	s_clause 0x3
	buffer_load_dword v0, off, s[0:3], s32 offset:228
	buffer_load_dword v1, off, s[0:3], s32 offset:232
	buffer_load_dword v5, off, s[0:3], s32 offset:236
	buffer_load_dword v6, off, s[0:3], s32 offset:240
	v_mul_f32_e32 v24, v117, v63
	;; [unrolled: 11-line block ×4, first 2 shown]
	v_mul_f32_e32 v106, v117, v106
	s_waitcnt vmcnt(1)
	v_or_b32_e32 v20, v5, v0
	s_waitcnt vmcnt(0)
	v_or_b32_e32 v96, v6, v1
	s_clause 0x5
	buffer_load_dword v0, off, s[0:3], s32 offset:212
	buffer_load_dword v1, off, s[0:3], s32 offset:216
	;; [unrolled: 1-line block ×6, first 2 shown]
	v_mul_f32_e32 v20, v117, v20
	v_mul_f32_e32 v96, v117, v96
	s_waitcnt vmcnt(3)
	v_or_b32_e32 v100, v0, v5
	s_waitcnt vmcnt(2)
	v_or_b32_e32 v82, v1, v6
	s_clause 0x1
	buffer_load_dword v0, off, s[0:3], s32 offset:2032
	buffer_load_dword v1, off, s[0:3], s32 offset:2036
	s_waitcnt vmcnt(3)
	v_sub_nc_u32_e32 v72, 1, v48
	v_cmp_lt_i32_e64 s5, v7, v48
	v_mul_f32_e32 v100, v117, v100
	v_mul_f32_e32 v82, v117, v82
	v_add_nc_u32_e32 v72, v72, v7
	v_cvt_f32_i32_e32 v72, v72
	s_waitcnt vmcnt(2)
	v_mul_f32_e32 v72, v57, v72
	s_waitcnt vmcnt(1)
	v_or_b32_e32 v48, v3, v0
	s_waitcnt vmcnt(0)
	v_or_b32_e32 v67, v4, v1
	v_mul_f32_e32 v57, v117, v67
	v_mul_f32_e32 v67, v117, v48
	v_or_b32_e32 v48, v53, v103
	v_mov_b32_e32 v103, v7
	s_clause 0x7
	buffer_load_dword v4, off, s[0:3], s32 offset:2080
	buffer_load_dword v5, off, s[0:3], s32 offset:2084
	;; [unrolled: 1-line block ×8, first 2 shown]
	v_mul_f32_e32 v102, v117, v48
	v_cndmask_b32_e32 v48, 0, v72, vcc_lo
	s_waitcnt vmcnt(7)
	v_mul_f32_e32 v53, v4, v63
	s_waitcnt vmcnt(6)
	v_mul_f32_e32 v117, v5, v62
	s_waitcnt vmcnt(5)
	v_mul_f32_e32 v62, v6, v107
	s_waitcnt vmcnt(4)
	v_mul_f32_e32 v63, v7, v106
	v_mov_b32_e32 v7, v103
	s_waitcnt vmcnt(3)
	v_fmac_f32_e32 v53, v0, v20
	s_waitcnt vmcnt(2)
	v_fmac_f32_e32 v117, v1, v96
	s_waitcnt vmcnt(1)
	v_fmac_f32_e32 v62, v2, v100
	s_waitcnt vmcnt(0)
	v_fmac_f32_e32 v63, v3, v82
	s_clause 0x3
	buffer_load_dword v0, off, s[0:3], s32 offset:2096
	buffer_load_dword v1, off, s[0:3], s32 offset:2100
	;; [unrolled: 1-line block ×4, first 2 shown]
	v_add_nc_u32_e32 v7, 0x80, v7
	s_waitcnt vmcnt(3)
	v_fmac_f32_e32 v53, v0, v50
	s_waitcnt vmcnt(2)
	v_fmac_f32_e32 v117, v1, v101
	s_waitcnt vmcnt(1)
	v_fmac_f32_e32 v62, v2, v24
	s_waitcnt vmcnt(0)
	v_fmac_f32_e32 v63, v3, v124
	s_clause 0x3
	buffer_load_dword v0, off, s[0:3], s32 offset:2112
	buffer_load_dword v1, off, s[0:3], s32 offset:2116
	buffer_load_dword v2, off, s[0:3], s32 offset:2120
	buffer_load_dword v3, off, s[0:3], s32 offset:2124
	s_waitcnt vmcnt(3)
	v_fmac_f32_e32 v53, v0, v58
	s_waitcnt vmcnt(2)
	v_fmac_f32_e32 v117, v1, v71
	s_waitcnt vmcnt(1)
	v_fmac_f32_e32 v62, v2, v11
	s_waitcnt vmcnt(0)
	v_fmac_f32_e32 v63, v3, v91
	s_clause 0x3
	buffer_load_dword v0, off, s[0:3], s32 offset:2128
	buffer_load_dword v1, off, s[0:3], s32 offset:2132
	buffer_load_dword v2, off, s[0:3], s32 offset:2136
	buffer_load_dword v3, off, s[0:3], s32 offset:2140
	;; [unrolled: 13-line block ×18, first 2 shown]
	s_waitcnt vmcnt(3)
	v_fmac_f32_e32 v53, v0, v125
	buffer_load_dword v0, off, s[0:3], s32 offset:836 ; 4-byte Folded Reload
	s_waitcnt vmcnt(3)
	v_fmac_f32_e32 v117, v1, v27
	s_waitcnt vmcnt(1)
	v_fmac_f32_e32 v63, v3, v26
	;; [unrolled: 2-line block ×3, first 2 shown]
	s_clause 0x3
	buffer_load_dword v0, off, s[0:3], s32 offset:2400
	buffer_load_dword v1, off, s[0:3], s32 offset:2404
	;; [unrolled: 1-line block ×4, first 2 shown]
	s_waitcnt vmcnt(3)
	v_fmac_f32_e32 v53, v0, v28
	s_waitcnt vmcnt(2)
	v_fmac_f32_e32 v117, v1, v30
	;; [unrolled: 2-line block ×4, first 2 shown]
	s_clause 0x3
	buffer_load_dword v0, off, s[0:3], s32 offset:2416
	buffer_load_dword v1, off, s[0:3], s32 offset:2420
	;; [unrolled: 1-line block ×4, first 2 shown]
	s_waitcnt vmcnt(3)
	v_fmac_f32_e32 v53, v0, v31
	buffer_load_dword v0, off, s[0:3], s32 offset:900 ; 4-byte Folded Reload
	s_waitcnt vmcnt(3)
	v_fmac_f32_e32 v117, v1, v35
	s_waitcnt vmcnt(2)
	v_fmac_f32_e32 v62, v2, v36
	;; [unrolled: 2-line block ×3, first 2 shown]
	s_clause 0x3
	buffer_load_dword v0, off, s[0:3], s32 offset:2432
	buffer_load_dword v1, off, s[0:3], s32 offset:2436
	;; [unrolled: 1-line block ×4, first 2 shown]
	s_waitcnt vmcnt(3)
	v_fmac_f32_e32 v53, v0, v39
	s_waitcnt vmcnt(2)
	v_fmac_f32_e32 v117, v1, v55
	;; [unrolled: 2-line block ×4, first 2 shown]
	s_clause 0x3
	buffer_load_dword v0, off, s[0:3], s32 offset:2448
	buffer_load_dword v1, off, s[0:3], s32 offset:2452
	buffer_load_dword v2, off, s[0:3], s32 offset:2456
	buffer_load_dword v3, off, s[0:3], s32 offset:2460
	s_waitcnt vmcnt(3)
	v_fmac_f32_e32 v53, v0, v65
	s_waitcnt vmcnt(2)
	v_fmac_f32_e32 v117, v1, v81
	;; [unrolled: 2-line block ×4, first 2 shown]
	s_clause 0x4
	buffer_load_dword v0, off, s[0:3], s32 offset:2464
	buffer_load_dword v1, off, s[0:3], s32 offset:2468
	;; [unrolled: 1-line block ×5, first 2 shown]
	s_waitcnt vmcnt(3)
	v_fmac_f32_e32 v117, v1, v112
	s_waitcnt vmcnt(2)
	v_fmac_f32_e32 v62, v2, v80
	;; [unrolled: 2-line block ×4, first 2 shown]
	s_clause 0x3
	buffer_load_dword v0, off, s[0:3], s32 offset:2480
	buffer_load_dword v1, off, s[0:3], s32 offset:2484
	;; [unrolled: 1-line block ×4, first 2 shown]
	s_waitcnt vmcnt(3)
	v_fmac_f32_e32 v53, v0, v40
	s_waitcnt vmcnt(2)
	v_fmac_f32_e32 v117, v1, v56
	;; [unrolled: 2-line block ×4, first 2 shown]
	s_clause 0x3
	buffer_load_dword v0, off, s[0:3], s32 offset:2496
	buffer_load_dword v1, off, s[0:3], s32 offset:2500
	buffer_load_dword v2, off, s[0:3], s32 offset:2504
	buffer_load_dword v3, off, s[0:3], s32 offset:2508
	s_waitcnt vmcnt(3)
	v_fmac_f32_e32 v53, v0, v73
	buffer_load_dword v0, off, s[0:3], s32 offset:1060 ; 4-byte Folded Reload
	s_waitcnt vmcnt(0)
	v_fmac_f32_e32 v117, v1, v0
	buffer_load_dword v0, off, s[0:3], s32 offset:1076 ; 4-byte Folded Reload
	s_waitcnt vmcnt(0)
	v_fmac_f32_e32 v62, v2, v0
	buffer_load_dword v0, off, s[0:3], s32 offset:1068 ; 4-byte Folded Reload
	s_waitcnt vmcnt(0)
	v_fmac_f32_e32 v63, v3, v0
	s_clause 0x4
	buffer_load_dword v0, off, s[0:3], s32 offset:2512
	buffer_load_dword v1, off, s[0:3], s32 offset:2516
	buffer_load_dword v2, off, s[0:3], s32 offset:2520
	buffer_load_dword v3, off, s[0:3], s32 offset:2524
	buffer_load_dword v4, off, s[0:3], s32 offset:1116
	s_waitcnt vmcnt(0)
	v_fmac_f32_e32 v53, v0, v4
	buffer_load_dword v0, off, s[0:3], s32 offset:1092 ; 4-byte Folded Reload
	s_waitcnt vmcnt(0)
	v_fmac_f32_e32 v117, v1, v0
	buffer_load_dword v0, off, s[0:3], s32 offset:1108 ; 4-byte Folded Reload
	s_waitcnt vmcnt(0)
	v_fmac_f32_e32 v62, v2, v0
	buffer_load_dword v0, off, s[0:3], s32 offset:1100 ; 4-byte Folded Reload
	s_waitcnt vmcnt(0)
	v_fmac_f32_e32 v63, v3, v0
	s_clause 0x4
	buffer_load_dword v0, off, s[0:3], s32 offset:2528
	;; [unrolled: 17-line block ×36, first 2 shown]
	buffer_load_dword v1, off, s[0:3], s32 offset:3076
	buffer_load_dword v2, off, s[0:3], s32 offset:3080
	;; [unrolled: 1-line block ×4, first 2 shown]
	s_waitcnt vmcnt(4)
	v_fmac_f32_e32 v53, v0, v67
	s_waitcnt vmcnt(3)
	v_fmac_f32_e32 v117, v1, v57
	buffer_load_dword v1, off, s[0:3], s32 offset:2052 ; 4-byte Folded Reload
	s_waitcnt vmcnt(3)
	v_fmac_f32_e32 v62, v2, v52
	s_waitcnt vmcnt(2)
	v_fmac_f32_e32 v63, v3, v102
	v_add_f32_e32 v0, v53, v117
	v_add_f32_e32 v0, v62, v0
	;; [unrolled: 1-line block ×3, first 2 shown]
	s_waitcnt vmcnt(0)
	v_fmac_f32_e32 v48, v1, v0
	v_cndmask_b32_e64 v0, 0, v48, s5
	ds_write_b32 v84, v0
	v_max_f32_e32 v0, v10, v10
	s_clause 0x1
	buffer_load_dword v4, off, s[0:3], s32 offset:1816
	buffer_load_dword v5, off, s[0:3], s32 offset:1820
	v_add_nc_u32_e32 v84, 0x200, v84
	v_max_f32_e32 v0, v0, v48
	v_cndmask_b32_e64 v10, v10, v0, s5
	buffer_load_dword v0, off, s[0:3], s32 offset:192 ; 4-byte Folded Reload
	s_waitcnt vmcnt(2)
	v_add_co_u32 v4, s5, v4, 16
	s_waitcnt vmcnt(1)
	v_add_co_ci_u32_e64 v5, null, 0, v5, s5
	s_waitcnt vmcnt(0)
	v_cmp_ge_i32_e64 s5, v86, v0
	s_or_b32 s15, s5, s15
	s_andn2_b32 exec_lo, exec_lo, s15
	s_cbranch_execz .LBB232_2055
.LBB232_10:                             ; =>This Inner Loop Header: Depth=1
	buffer_store_dword v10, off, s[0:3], s32 offset:1812 ; 4-byte Folded Spill
	buffer_store_dword v4, off, s[0:3], s32 offset:1816 ; 4-byte Folded Spill
	;; [unrolled: 1-line block ×3, first 2 shown]
	v_mov_b32_e32 v116, v86
	v_mov_b32_e32 v71, v84
	flat_load_dword v0, v[4:5]
	s_clause 0x2
	buffer_load_dword v1, off, s[0:3], s32 offset:1808
	buffer_load_dword v2, off, s[0:3], s32 offset:2056
	;; [unrolled: 1-line block ×3, first 2 shown]
	s_waitcnt vmcnt(0) lgkmcnt(0)
	v_mad_i64_i32 v[39:40], null, v0, v1, v[2:3]
	flat_load_dword v0, v[39:40]
	s_clause 0x1
	buffer_load_dword v1, off, s[0:3], s32 offset:2044
	buffer_load_dword v2, off, s[0:3], s32 offset:2048
	s_waitcnt vmcnt(2) lgkmcnt(0)
	v_cmp_ne_u16_sdwa s5, v0, v61 src0_sel:BYTE_0 src1_sel:DWORD
	s_waitcnt vmcnt(0)
	flat_load_dword v117, v[1:2]
	v_mov_b32_e32 v1, 0
	v_mov_b32_e32 v2, 0
	buffer_store_dword v1, off, s[0:3], s32 offset:204 ; 4-byte Folded Spill
	buffer_store_dword v2, off, s[0:3], s32 offset:208 ; 4-byte Folded Spill
	v_mov_b32_e32 v1, 0
	v_mov_b32_e32 v2, 0
	buffer_store_dword v1, off, s[0:3], s32 offset:196 ; 4-byte Folded Spill
	buffer_store_dword v2, off, s[0:3], s32 offset:200 ; 4-byte Folded Spill
	s_and_saveexec_b32 s6, s5
	s_cbranch_execz .LBB232_18
; %bb.11:                               ;   in Loop: Header=BB232_10 Depth=1
	v_bfrev_b32_e32 v1, 1
	v_mov_b32_e32 v2, 0
	buffer_store_dword v1, off, s[0:3], s32 offset:196 ; 4-byte Folded Spill
	buffer_store_dword v2, off, s[0:3], s32 offset:200 ; 4-byte Folded Spill
	v_mov_b32_e32 v1, 0x80
	v_cmp_ne_u16_sdwa s5, v0, v1 src0_sel:BYTE_0 src1_sel:DWORD
	s_and_saveexec_b32 s7, s5
	s_cbranch_execz .LBB232_17
; %bb.12:                               ;   in Loop: Header=BB232_10 Depth=1
	v_mov_b32_e32 v3, 0x7f800001
	v_and_b32_e32 v2, 0x7f, v0
	v_mov_b32_e32 v4, 0
	s_mov_b32 s17, exec_lo
	buffer_store_dword v3, off, s[0:3], s32 offset:196 ; 4-byte Folded Spill
	buffer_store_dword v4, off, s[0:3], s32 offset:200 ; 4-byte Folded Spill
	v_cmpx_ne_u32_e32 0x7f, v2
	s_cbranch_execz .LBB232_16
; %bb.13:                               ;   in Loop: Header=BB232_10 Depth=1
	v_and_b32_e32 v60, 7, v0
	v_lshrrev_b32_e32 v1, 3, v2
	s_mov_b32 s18, exec_lo
	v_cmpx_gt_u32_e32 8, v2
; %bb.14:                               ;   in Loop: Header=BB232_10 Depth=1
	v_ffbh_u32_e32 v1, v60
	v_min_u32_e32 v1, 32, v1
	v_subrev_nc_u32_e32 v2, 28, v1
	v_sub_nc_u32_e32 v1, 29, v1
	v_lshlrev_b64 v[2:3], v2, v[60:61]
	v_and_b32_e32 v60, 7, v2
; %bb.15:                               ;   in Loop: Header=BB232_10 Depth=1
	s_or_b32 exec_lo, exec_lo, s18
	v_lshlrev_b32_e32 v2, 24, v0
	v_lshlrev_b32_e32 v3, 20, v60
	v_lshl_add_u32 v1, v1, 23, 0x3c000000
	v_and_b32_e32 v2, 0x80000000, v2
	v_or3_b32 v60, v3, v2, v1
	buffer_store_dword v60, off, s[0:3], s32 offset:196 ; 4-byte Folded Spill
	buffer_store_dword v61, off, s[0:3], s32 offset:200 ; 4-byte Folded Spill
.LBB232_16:                             ;   in Loop: Header=BB232_10 Depth=1
	s_or_b32 exec_lo, exec_lo, s17
.LBB232_17:                             ;   in Loop: Header=BB232_10 Depth=1
	s_or_b32 exec_lo, exec_lo, s7
.LBB232_18:                             ;   in Loop: Header=BB232_10 Depth=1
	s_or_b32 exec_lo, exec_lo, s6
	v_cmp_ne_u16_sdwa s5, v0, v61 src0_sel:BYTE_1 src1_sel:DWORD
	s_and_saveexec_b32 s6, s5
	s_cbranch_execz .LBB232_26
; %bb.19:                               ;   in Loop: Header=BB232_10 Depth=1
	v_mov_b32_e32 v1, 0x80
	v_mov_b32_e32 v84, v61
	buffer_store_dword v84, off, s[0:3], s32 offset:204 ; 4-byte Folded Spill
	buffer_store_dword v85, off, s[0:3], s32 offset:208 ; 4-byte Folded Spill
	v_cmp_ne_u16_sdwa s5, v0, v1 src0_sel:BYTE_1 src1_sel:DWORD
	s_and_saveexec_b32 s7, s5
	s_cbranch_execz .LBB232_25
; %bb.20:                               ;   in Loop: Header=BB232_10 Depth=1
	v_mov_b32_e32 v1, 0xffff
	v_mov_b32_e32 v86, v61
	s_mov_b32 s17, exec_lo
	buffer_store_dword v86, off, s[0:3], s32 offset:204 ; 4-byte Folded Spill
	buffer_store_dword v87, off, s[0:3], s32 offset:208 ; 4-byte Folded Spill
	v_and_b32_sdwa v1, v1, v0 dst_sel:DWORD dst_unused:UNUSED_PAD src0_sel:DWORD src1_sel:BYTE_1
	v_and_b32_e32 v2, 0x7f, v1
	v_cmpx_ne_u32_e32 0x7f, v2
	s_cbranch_execz .LBB232_24
; %bb.21:                               ;   in Loop: Header=BB232_10 Depth=1
	v_and_b32_e32 v60, 7, v1
	v_lshrrev_b32_e32 v1, 3, v2
	s_mov_b32 s18, exec_lo
	v_cmpx_gt_u32_e32 8, v2
; %bb.22:                               ;   in Loop: Header=BB232_10 Depth=1
	v_ffbh_u32_e32 v1, v60
	v_min_u32_e32 v1, 32, v1
	v_subrev_nc_u32_e32 v2, 28, v1
	v_sub_nc_u32_e32 v1, 29, v1
	v_lshlrev_b64 v[2:3], v2, v[60:61]
	v_and_b32_e32 v60, 7, v2
; %bb.23:                               ;   in Loop: Header=BB232_10 Depth=1
	s_or_b32 exec_lo, exec_lo, s18
	v_lshlrev_b32_e32 v2, 16, v0
	v_lshlrev_b32_e32 v3, 20, v60
	v_lshl_add_u32 v1, v1, 23, 0x3c000000
	v_and_b32_e32 v2, 0x80000000, v2
	v_or3_b32 v2, v3, v2, v1
	v_mov_b32_e32 v1, v61
	buffer_store_dword v1, off, s[0:3], s32 offset:204 ; 4-byte Folded Spill
	buffer_store_dword v2, off, s[0:3], s32 offset:208 ; 4-byte Folded Spill
.LBB232_24:                             ;   in Loop: Header=BB232_10 Depth=1
	s_or_b32 exec_lo, exec_lo, s17
.LBB232_25:                             ;   in Loop: Header=BB232_10 Depth=1
	s_or_b32 exec_lo, exec_lo, s7
.LBB232_26:                             ;   in Loop: Header=BB232_10 Depth=1
	s_or_b32 exec_lo, exec_lo, s6
	v_mov_b32_e32 v2, 0
	v_mov_b32_e32 v3, 0
	;; [unrolled: 1-line block ×3, first 2 shown]
	s_mov_b32 s6, exec_lo
	buffer_store_dword v2, off, s[0:3], s32 offset:212 ; 4-byte Folded Spill
	buffer_store_dword v3, off, s[0:3], s32 offset:216 ; 4-byte Folded Spill
	v_mov_b32_e32 v2, 0
	v_and_b32_sdwa v1, v0, v1 dst_sel:DWORD dst_unused:UNUSED_PAD src0_sel:WORD_1 src1_sel:DWORD
	v_mov_b32_e32 v3, 0
	buffer_store_dword v2, off, s[0:3], s32 offset:220 ; 4-byte Folded Spill
	buffer_store_dword v3, off, s[0:3], s32 offset:224 ; 4-byte Folded Spill
	v_cmpx_ne_u16_e32 0, v1
	s_cbranch_execz .LBB232_34
; %bb.27:                               ;   in Loop: Header=BB232_10 Depth=1
	v_cmp_ne_u16_e64 s5, 0x80, v1
	v_bfrev_b32_e32 v1, 1
	v_mov_b32_e32 v2, 0
	buffer_store_dword v1, off, s[0:3], s32 offset:220 ; 4-byte Folded Spill
	buffer_store_dword v2, off, s[0:3], s32 offset:224 ; 4-byte Folded Spill
	s_and_saveexec_b32 s7, s5
	s_cbranch_execz .LBB232_33
; %bb.28:                               ;   in Loop: Header=BB232_10 Depth=1
	v_mov_b32_e32 v3, 0x7f800001
	v_bfe_u32 v2, v0, 16, 7
	v_mov_b32_e32 v4, 0
	s_mov_b32 s17, exec_lo
	buffer_store_dword v3, off, s[0:3], s32 offset:220 ; 4-byte Folded Spill
	buffer_store_dword v4, off, s[0:3], s32 offset:224 ; 4-byte Folded Spill
	v_cmpx_ne_u32_e32 0x7f, v2
	s_cbranch_execz .LBB232_32
; %bb.29:                               ;   in Loop: Header=BB232_10 Depth=1
	v_mov_b32_e32 v1, 7
	s_mov_b32 s18, exec_lo
	v_and_b32_sdwa v60, v0, v1 dst_sel:DWORD dst_unused:UNUSED_PAD src0_sel:WORD_1 src1_sel:DWORD
	v_lshrrev_b32_e32 v1, 3, v2
	v_cmpx_gt_u32_e32 8, v2
; %bb.30:                               ;   in Loop: Header=BB232_10 Depth=1
	v_ffbh_u32_e32 v1, v60
	v_min_u32_e32 v1, 32, v1
	v_subrev_nc_u32_e32 v2, 28, v1
	v_sub_nc_u32_e32 v1, 29, v1
	v_lshlrev_b64 v[2:3], v2, v[60:61]
	v_and_b32_e32 v60, 7, v2
; %bb.31:                               ;   in Loop: Header=BB232_10 Depth=1
	s_or_b32 exec_lo, exec_lo, s18
	v_mov_b32_e32 v2, 24
	v_lshlrev_b32_e32 v3, 20, v60
	v_lshl_add_u32 v1, v1, 23, 0x3c000000
	v_lshlrev_b32_sdwa v2, v2, v0 dst_sel:DWORD dst_unused:UNUSED_PAD src0_sel:DWORD src1_sel:WORD_1
	v_and_b32_e32 v2, 0x80000000, v2
	v_or3_b32 v60, v3, v2, v1
	buffer_store_dword v60, off, s[0:3], s32 offset:220 ; 4-byte Folded Spill
	buffer_store_dword v61, off, s[0:3], s32 offset:224 ; 4-byte Folded Spill
.LBB232_32:                             ;   in Loop: Header=BB232_10 Depth=1
	s_or_b32 exec_lo, exec_lo, s17
.LBB232_33:                             ;   in Loop: Header=BB232_10 Depth=1
	s_or_b32 exec_lo, exec_lo, s7
.LBB232_34:                             ;   in Loop: Header=BB232_10 Depth=1
	s_or_b32 exec_lo, exec_lo, s6
	s_mov_b32 s6, exec_lo
	v_cmpx_lt_u32_e32 0xffffff, v0
	s_cbranch_execz .LBB232_42
; %bb.35:                               ;   in Loop: Header=BB232_10 Depth=1
	v_mov_b32_e32 v1, 0x80
	v_mov_b32_e32 v84, v61
	buffer_store_dword v84, off, s[0:3], s32 offset:212 ; 4-byte Folded Spill
	buffer_store_dword v85, off, s[0:3], s32 offset:216 ; 4-byte Folded Spill
	v_cmp_ne_u32_sdwa s5, v0, v1 src0_sel:BYTE_3 src1_sel:DWORD
	s_and_saveexec_b32 s7, s5
	s_cbranch_execz .LBB232_41
; %bb.36:                               ;   in Loop: Header=BB232_10 Depth=1
	v_bfe_u32 v2, v0, 24, 7
	v_mov_b32_e32 v86, v61
	s_mov_b32 s17, exec_lo
	buffer_store_dword v86, off, s[0:3], s32 offset:212 ; 4-byte Folded Spill
	buffer_store_dword v87, off, s[0:3], s32 offset:216 ; 4-byte Folded Spill
	v_cmpx_ne_u32_e32 0x7f, v2
	s_cbranch_execz .LBB232_40
; %bb.37:                               ;   in Loop: Header=BB232_10 Depth=1
	v_mov_b32_e32 v1, 7
	s_mov_b32 s18, exec_lo
	v_and_b32_sdwa v60, v0, v1 dst_sel:DWORD dst_unused:UNUSED_PAD src0_sel:BYTE_3 src1_sel:DWORD
	v_lshrrev_b32_e32 v1, 3, v2
	v_cmpx_gt_u32_e32 8, v2
; %bb.38:                               ;   in Loop: Header=BB232_10 Depth=1
	v_ffbh_u32_e32 v1, v60
	v_min_u32_e32 v1, 32, v1
	v_subrev_nc_u32_e32 v2, 28, v1
	v_sub_nc_u32_e32 v1, 29, v1
	v_lshlrev_b64 v[2:3], v2, v[60:61]
	v_and_b32_e32 v60, 7, v2
; %bb.39:                               ;   in Loop: Header=BB232_10 Depth=1
	s_or_b32 exec_lo, exec_lo, s18
	v_mov_b32_e32 v2, 24
	v_lshl_add_u32 v1, v1, 23, 0x3c000000
	v_lshlrev_b32_sdwa v0, v2, v0 dst_sel:DWORD dst_unused:UNUSED_PAD src0_sel:DWORD src1_sel:BYTE_3
	v_lshlrev_b32_e32 v2, 20, v60
	v_and_b32_e32 v0, 0x80000000, v0
	v_or3_b32 v1, v2, v0, v1
	v_mov_b32_e32 v0, v61
	buffer_store_dword v0, off, s[0:3], s32 offset:212 ; 4-byte Folded Spill
	buffer_store_dword v1, off, s[0:3], s32 offset:216 ; 4-byte Folded Spill
.LBB232_40:                             ;   in Loop: Header=BB232_10 Depth=1
	s_or_b32 exec_lo, exec_lo, s17
.LBB232_41:                             ;   in Loop: Header=BB232_10 Depth=1
	s_or_b32 exec_lo, exec_lo, s7
.LBB232_42:                             ;   in Loop: Header=BB232_10 Depth=1
	s_or_b32 exec_lo, exec_lo, s6
	flat_load_dword v0, v[39:40] offset:4
	v_mov_b32_e32 v1, 0
	v_mov_b32_e32 v2, 0
	buffer_store_dword v1, off, s[0:3], s32 offset:236 ; 4-byte Folded Spill
	buffer_store_dword v2, off, s[0:3], s32 offset:240 ; 4-byte Folded Spill
	v_mov_b32_e32 v1, 0
	v_mov_b32_e32 v2, 0
	buffer_store_dword v1, off, s[0:3], s32 offset:228 ; 4-byte Folded Spill
	buffer_store_dword v2, off, s[0:3], s32 offset:232 ; 4-byte Folded Spill
	s_waitcnt vmcnt(0) lgkmcnt(0)
	v_cmp_ne_u16_sdwa s5, v0, v61 src0_sel:BYTE_0 src1_sel:DWORD
	s_and_saveexec_b32 s6, s5
	s_cbranch_execz .LBB232_50
; %bb.43:                               ;   in Loop: Header=BB232_10 Depth=1
	v_bfrev_b32_e32 v1, 1
	v_mov_b32_e32 v2, 0
	buffer_store_dword v1, off, s[0:3], s32 offset:228 ; 4-byte Folded Spill
	buffer_store_dword v2, off, s[0:3], s32 offset:232 ; 4-byte Folded Spill
	v_mov_b32_e32 v1, 0x80
	v_cmp_ne_u16_sdwa s5, v0, v1 src0_sel:BYTE_0 src1_sel:DWORD
	s_and_saveexec_b32 s7, s5
	s_cbranch_execz .LBB232_49
; %bb.44:                               ;   in Loop: Header=BB232_10 Depth=1
	v_mov_b32_e32 v3, 0x7f800001
	v_and_b32_e32 v2, 0x7f, v0
	v_mov_b32_e32 v4, 0
	s_mov_b32 s17, exec_lo
	buffer_store_dword v3, off, s[0:3], s32 offset:228 ; 4-byte Folded Spill
	buffer_store_dword v4, off, s[0:3], s32 offset:232 ; 4-byte Folded Spill
	v_cmpx_ne_u32_e32 0x7f, v2
	s_cbranch_execz .LBB232_48
; %bb.45:                               ;   in Loop: Header=BB232_10 Depth=1
	v_and_b32_e32 v60, 7, v0
	v_lshrrev_b32_e32 v1, 3, v2
	s_mov_b32 s18, exec_lo
	v_cmpx_gt_u32_e32 8, v2
; %bb.46:                               ;   in Loop: Header=BB232_10 Depth=1
	v_ffbh_u32_e32 v1, v60
	v_min_u32_e32 v1, 32, v1
	v_subrev_nc_u32_e32 v2, 28, v1
	v_sub_nc_u32_e32 v1, 29, v1
	v_lshlrev_b64 v[2:3], v2, v[60:61]
	v_and_b32_e32 v60, 7, v2
; %bb.47:                               ;   in Loop: Header=BB232_10 Depth=1
	s_or_b32 exec_lo, exec_lo, s18
	v_lshlrev_b32_e32 v2, 24, v0
	v_lshlrev_b32_e32 v3, 20, v60
	v_lshl_add_u32 v1, v1, 23, 0x3c000000
	v_and_b32_e32 v2, 0x80000000, v2
	v_or3_b32 v60, v3, v2, v1
	buffer_store_dword v60, off, s[0:3], s32 offset:228 ; 4-byte Folded Spill
	buffer_store_dword v61, off, s[0:3], s32 offset:232 ; 4-byte Folded Spill
.LBB232_48:                             ;   in Loop: Header=BB232_10 Depth=1
	s_or_b32 exec_lo, exec_lo, s17
.LBB232_49:                             ;   in Loop: Header=BB232_10 Depth=1
	s_or_b32 exec_lo, exec_lo, s7
.LBB232_50:                             ;   in Loop: Header=BB232_10 Depth=1
	s_or_b32 exec_lo, exec_lo, s6
	v_cmp_ne_u16_sdwa s5, v0, v61 src0_sel:BYTE_1 src1_sel:DWORD
	s_and_saveexec_b32 s6, s5
	s_cbranch_execz .LBB232_58
; %bb.51:                               ;   in Loop: Header=BB232_10 Depth=1
	v_mov_b32_e32 v1, 0x80
	v_mov_b32_e32 v84, v61
	buffer_store_dword v84, off, s[0:3], s32 offset:236 ; 4-byte Folded Spill
	buffer_store_dword v85, off, s[0:3], s32 offset:240 ; 4-byte Folded Spill
	v_cmp_ne_u16_sdwa s5, v0, v1 src0_sel:BYTE_1 src1_sel:DWORD
	s_and_saveexec_b32 s7, s5
	s_cbranch_execz .LBB232_57
; %bb.52:                               ;   in Loop: Header=BB232_10 Depth=1
	v_mov_b32_e32 v1, 0xffff
	v_mov_b32_e32 v86, v61
	s_mov_b32 s17, exec_lo
	buffer_store_dword v86, off, s[0:3], s32 offset:236 ; 4-byte Folded Spill
	buffer_store_dword v87, off, s[0:3], s32 offset:240 ; 4-byte Folded Spill
	v_and_b32_sdwa v1, v1, v0 dst_sel:DWORD dst_unused:UNUSED_PAD src0_sel:DWORD src1_sel:BYTE_1
	v_and_b32_e32 v2, 0x7f, v1
	v_cmpx_ne_u32_e32 0x7f, v2
	s_cbranch_execz .LBB232_56
; %bb.53:                               ;   in Loop: Header=BB232_10 Depth=1
	v_and_b32_e32 v60, 7, v1
	v_lshrrev_b32_e32 v1, 3, v2
	s_mov_b32 s18, exec_lo
	v_cmpx_gt_u32_e32 8, v2
; %bb.54:                               ;   in Loop: Header=BB232_10 Depth=1
	v_ffbh_u32_e32 v1, v60
	v_min_u32_e32 v1, 32, v1
	v_subrev_nc_u32_e32 v2, 28, v1
	v_sub_nc_u32_e32 v1, 29, v1
	v_lshlrev_b64 v[2:3], v2, v[60:61]
	v_and_b32_e32 v60, 7, v2
; %bb.55:                               ;   in Loop: Header=BB232_10 Depth=1
	s_or_b32 exec_lo, exec_lo, s18
	v_lshlrev_b32_e32 v2, 16, v0
	v_lshlrev_b32_e32 v3, 20, v60
	v_lshl_add_u32 v1, v1, 23, 0x3c000000
	v_and_b32_e32 v2, 0x80000000, v2
	v_or3_b32 v2, v3, v2, v1
	v_mov_b32_e32 v1, v61
	buffer_store_dword v1, off, s[0:3], s32 offset:236 ; 4-byte Folded Spill
	buffer_store_dword v2, off, s[0:3], s32 offset:240 ; 4-byte Folded Spill
.LBB232_56:                             ;   in Loop: Header=BB232_10 Depth=1
	s_or_b32 exec_lo, exec_lo, s17
.LBB232_57:                             ;   in Loop: Header=BB232_10 Depth=1
	s_or_b32 exec_lo, exec_lo, s7
.LBB232_58:                             ;   in Loop: Header=BB232_10 Depth=1
	s_or_b32 exec_lo, exec_lo, s6
	v_mov_b32_e32 v2, 0
	v_mov_b32_e32 v3, 0
	;; [unrolled: 1-line block ×3, first 2 shown]
	s_mov_b32 s6, exec_lo
	buffer_store_dword v2, off, s[0:3], s32 offset:244 ; 4-byte Folded Spill
	buffer_store_dword v3, off, s[0:3], s32 offset:248 ; 4-byte Folded Spill
	v_mov_b32_e32 v2, 0
	v_and_b32_sdwa v1, v0, v1 dst_sel:DWORD dst_unused:UNUSED_PAD src0_sel:WORD_1 src1_sel:DWORD
	v_mov_b32_e32 v3, 0
	buffer_store_dword v2, off, s[0:3], s32 offset:252 ; 4-byte Folded Spill
	buffer_store_dword v3, off, s[0:3], s32 offset:256 ; 4-byte Folded Spill
	v_cmpx_ne_u16_e32 0, v1
	s_cbranch_execz .LBB232_66
; %bb.59:                               ;   in Loop: Header=BB232_10 Depth=1
	v_cmp_ne_u16_e64 s5, 0x80, v1
	v_bfrev_b32_e32 v1, 1
	v_mov_b32_e32 v2, 0
	buffer_store_dword v1, off, s[0:3], s32 offset:252 ; 4-byte Folded Spill
	buffer_store_dword v2, off, s[0:3], s32 offset:256 ; 4-byte Folded Spill
	s_and_saveexec_b32 s7, s5
	s_cbranch_execz .LBB232_65
; %bb.60:                               ;   in Loop: Header=BB232_10 Depth=1
	v_mov_b32_e32 v3, 0x7f800001
	v_bfe_u32 v2, v0, 16, 7
	v_mov_b32_e32 v4, 0
	s_mov_b32 s17, exec_lo
	buffer_store_dword v3, off, s[0:3], s32 offset:252 ; 4-byte Folded Spill
	buffer_store_dword v4, off, s[0:3], s32 offset:256 ; 4-byte Folded Spill
	v_cmpx_ne_u32_e32 0x7f, v2
	s_cbranch_execz .LBB232_64
; %bb.61:                               ;   in Loop: Header=BB232_10 Depth=1
	v_mov_b32_e32 v1, 7
	s_mov_b32 s18, exec_lo
	v_and_b32_sdwa v60, v0, v1 dst_sel:DWORD dst_unused:UNUSED_PAD src0_sel:WORD_1 src1_sel:DWORD
	v_lshrrev_b32_e32 v1, 3, v2
	v_cmpx_gt_u32_e32 8, v2
; %bb.62:                               ;   in Loop: Header=BB232_10 Depth=1
	v_ffbh_u32_e32 v1, v60
	v_min_u32_e32 v1, 32, v1
	v_subrev_nc_u32_e32 v2, 28, v1
	v_sub_nc_u32_e32 v1, 29, v1
	v_lshlrev_b64 v[2:3], v2, v[60:61]
	v_and_b32_e32 v60, 7, v2
; %bb.63:                               ;   in Loop: Header=BB232_10 Depth=1
	s_or_b32 exec_lo, exec_lo, s18
	v_mov_b32_e32 v2, 24
	v_lshlrev_b32_e32 v3, 20, v60
	v_lshl_add_u32 v1, v1, 23, 0x3c000000
	v_lshlrev_b32_sdwa v2, v2, v0 dst_sel:DWORD dst_unused:UNUSED_PAD src0_sel:DWORD src1_sel:WORD_1
	v_and_b32_e32 v2, 0x80000000, v2
	v_or3_b32 v60, v3, v2, v1
	buffer_store_dword v60, off, s[0:3], s32 offset:252 ; 4-byte Folded Spill
	buffer_store_dword v61, off, s[0:3], s32 offset:256 ; 4-byte Folded Spill
.LBB232_64:                             ;   in Loop: Header=BB232_10 Depth=1
	s_or_b32 exec_lo, exec_lo, s17
.LBB232_65:                             ;   in Loop: Header=BB232_10 Depth=1
	s_or_b32 exec_lo, exec_lo, s7
.LBB232_66:                             ;   in Loop: Header=BB232_10 Depth=1
	s_or_b32 exec_lo, exec_lo, s6
	s_mov_b32 s6, exec_lo
	v_cmpx_lt_u32_e32 0xffffff, v0
	s_cbranch_execz .LBB232_74
; %bb.67:                               ;   in Loop: Header=BB232_10 Depth=1
	v_mov_b32_e32 v1, 0x80
	v_mov_b32_e32 v84, v61
	buffer_store_dword v84, off, s[0:3], s32 offset:244 ; 4-byte Folded Spill
	buffer_store_dword v85, off, s[0:3], s32 offset:248 ; 4-byte Folded Spill
	v_cmp_ne_u32_sdwa s5, v0, v1 src0_sel:BYTE_3 src1_sel:DWORD
	s_and_saveexec_b32 s7, s5
	s_cbranch_execz .LBB232_73
; %bb.68:                               ;   in Loop: Header=BB232_10 Depth=1
	v_bfe_u32 v2, v0, 24, 7
	v_mov_b32_e32 v86, v61
	s_mov_b32 s17, exec_lo
	buffer_store_dword v86, off, s[0:3], s32 offset:244 ; 4-byte Folded Spill
	buffer_store_dword v87, off, s[0:3], s32 offset:248 ; 4-byte Folded Spill
	v_cmpx_ne_u32_e32 0x7f, v2
	s_cbranch_execz .LBB232_72
; %bb.69:                               ;   in Loop: Header=BB232_10 Depth=1
	v_mov_b32_e32 v1, 7
	s_mov_b32 s18, exec_lo
	v_and_b32_sdwa v60, v0, v1 dst_sel:DWORD dst_unused:UNUSED_PAD src0_sel:BYTE_3 src1_sel:DWORD
	v_lshrrev_b32_e32 v1, 3, v2
	v_cmpx_gt_u32_e32 8, v2
; %bb.70:                               ;   in Loop: Header=BB232_10 Depth=1
	v_ffbh_u32_e32 v1, v60
	v_min_u32_e32 v1, 32, v1
	v_subrev_nc_u32_e32 v2, 28, v1
	v_sub_nc_u32_e32 v1, 29, v1
	v_lshlrev_b64 v[2:3], v2, v[60:61]
	v_and_b32_e32 v60, 7, v2
; %bb.71:                               ;   in Loop: Header=BB232_10 Depth=1
	s_or_b32 exec_lo, exec_lo, s18
	v_mov_b32_e32 v2, 24
	v_lshl_add_u32 v1, v1, 23, 0x3c000000
	v_lshlrev_b32_sdwa v0, v2, v0 dst_sel:DWORD dst_unused:UNUSED_PAD src0_sel:DWORD src1_sel:BYTE_3
	v_lshlrev_b32_e32 v2, 20, v60
	v_and_b32_e32 v0, 0x80000000, v0
	v_or3_b32 v1, v2, v0, v1
	v_mov_b32_e32 v0, v61
	buffer_store_dword v0, off, s[0:3], s32 offset:244 ; 4-byte Folded Spill
	buffer_store_dword v1, off, s[0:3], s32 offset:248 ; 4-byte Folded Spill
.LBB232_72:                             ;   in Loop: Header=BB232_10 Depth=1
	s_or_b32 exec_lo, exec_lo, s17
.LBB232_73:                             ;   in Loop: Header=BB232_10 Depth=1
	s_or_b32 exec_lo, exec_lo, s7
.LBB232_74:                             ;   in Loop: Header=BB232_10 Depth=1
	s_or_b32 exec_lo, exec_lo, s6
	flat_load_dword v0, v[39:40] offset:8
	v_mov_b32_e32 v1, 0
	v_mov_b32_e32 v2, 0
	buffer_store_dword v1, off, s[0:3], s32 offset:260 ; 4-byte Folded Spill
	buffer_store_dword v2, off, s[0:3], s32 offset:264 ; 4-byte Folded Spill
	v_mov_b32_e32 v1, 0
	v_mov_b32_e32 v2, 0
	buffer_store_dword v1, off, s[0:3], s32 offset:284 ; 4-byte Folded Spill
	buffer_store_dword v2, off, s[0:3], s32 offset:288 ; 4-byte Folded Spill
	s_waitcnt vmcnt(0) lgkmcnt(0)
	v_cmp_ne_u16_sdwa s5, v0, v61 src0_sel:BYTE_0 src1_sel:DWORD
	s_and_saveexec_b32 s6, s5
	s_cbranch_execz .LBB232_82
; %bb.75:                               ;   in Loop: Header=BB232_10 Depth=1
	v_bfrev_b32_e32 v1, 1
	v_mov_b32_e32 v2, 0
	buffer_store_dword v1, off, s[0:3], s32 offset:284 ; 4-byte Folded Spill
	buffer_store_dword v2, off, s[0:3], s32 offset:288 ; 4-byte Folded Spill
	v_mov_b32_e32 v1, 0x80
	v_cmp_ne_u16_sdwa s5, v0, v1 src0_sel:BYTE_0 src1_sel:DWORD
	s_and_saveexec_b32 s7, s5
	s_cbranch_execz .LBB232_81
; %bb.76:                               ;   in Loop: Header=BB232_10 Depth=1
	v_mov_b32_e32 v3, 0x7f800001
	v_and_b32_e32 v2, 0x7f, v0
	v_mov_b32_e32 v4, 0
	s_mov_b32 s17, exec_lo
	buffer_store_dword v3, off, s[0:3], s32 offset:284 ; 4-byte Folded Spill
	buffer_store_dword v4, off, s[0:3], s32 offset:288 ; 4-byte Folded Spill
	v_cmpx_ne_u32_e32 0x7f, v2
	s_cbranch_execz .LBB232_80
; %bb.77:                               ;   in Loop: Header=BB232_10 Depth=1
	v_and_b32_e32 v60, 7, v0
	v_lshrrev_b32_e32 v1, 3, v2
	s_mov_b32 s18, exec_lo
	v_cmpx_gt_u32_e32 8, v2
; %bb.78:                               ;   in Loop: Header=BB232_10 Depth=1
	v_ffbh_u32_e32 v1, v60
	v_min_u32_e32 v1, 32, v1
	v_subrev_nc_u32_e32 v2, 28, v1
	v_sub_nc_u32_e32 v1, 29, v1
	v_lshlrev_b64 v[2:3], v2, v[60:61]
	v_and_b32_e32 v60, 7, v2
; %bb.79:                               ;   in Loop: Header=BB232_10 Depth=1
	s_or_b32 exec_lo, exec_lo, s18
	v_lshlrev_b32_e32 v2, 24, v0
	v_lshlrev_b32_e32 v3, 20, v60
	v_lshl_add_u32 v1, v1, 23, 0x3c000000
	v_and_b32_e32 v2, 0x80000000, v2
	v_or3_b32 v60, v3, v2, v1
	buffer_store_dword v60, off, s[0:3], s32 offset:284 ; 4-byte Folded Spill
	buffer_store_dword v61, off, s[0:3], s32 offset:288 ; 4-byte Folded Spill
.LBB232_80:                             ;   in Loop: Header=BB232_10 Depth=1
	s_or_b32 exec_lo, exec_lo, s17
.LBB232_81:                             ;   in Loop: Header=BB232_10 Depth=1
	s_or_b32 exec_lo, exec_lo, s7
.LBB232_82:                             ;   in Loop: Header=BB232_10 Depth=1
	s_or_b32 exec_lo, exec_lo, s6
	v_cmp_ne_u16_sdwa s5, v0, v61 src0_sel:BYTE_1 src1_sel:DWORD
	s_and_saveexec_b32 s6, s5
	s_cbranch_execz .LBB232_90
; %bb.83:                               ;   in Loop: Header=BB232_10 Depth=1
	v_mov_b32_e32 v1, 0x80
	v_mov_b32_e32 v84, v61
	buffer_store_dword v84, off, s[0:3], s32 offset:260 ; 4-byte Folded Spill
	buffer_store_dword v85, off, s[0:3], s32 offset:264 ; 4-byte Folded Spill
	v_cmp_ne_u16_sdwa s5, v0, v1 src0_sel:BYTE_1 src1_sel:DWORD
	s_and_saveexec_b32 s7, s5
	s_cbranch_execz .LBB232_89
; %bb.84:                               ;   in Loop: Header=BB232_10 Depth=1
	v_mov_b32_e32 v1, 0xffff
	v_mov_b32_e32 v86, v61
	s_mov_b32 s17, exec_lo
	buffer_store_dword v86, off, s[0:3], s32 offset:260 ; 4-byte Folded Spill
	buffer_store_dword v87, off, s[0:3], s32 offset:264 ; 4-byte Folded Spill
	v_and_b32_sdwa v1, v1, v0 dst_sel:DWORD dst_unused:UNUSED_PAD src0_sel:DWORD src1_sel:BYTE_1
	v_and_b32_e32 v2, 0x7f, v1
	v_cmpx_ne_u32_e32 0x7f, v2
	s_cbranch_execz .LBB232_88
; %bb.85:                               ;   in Loop: Header=BB232_10 Depth=1
	v_and_b32_e32 v60, 7, v1
	v_lshrrev_b32_e32 v1, 3, v2
	s_mov_b32 s18, exec_lo
	v_cmpx_gt_u32_e32 8, v2
; %bb.86:                               ;   in Loop: Header=BB232_10 Depth=1
	v_ffbh_u32_e32 v1, v60
	v_min_u32_e32 v1, 32, v1
	v_subrev_nc_u32_e32 v2, 28, v1
	v_sub_nc_u32_e32 v1, 29, v1
	v_lshlrev_b64 v[2:3], v2, v[60:61]
	v_and_b32_e32 v60, 7, v2
; %bb.87:                               ;   in Loop: Header=BB232_10 Depth=1
	s_or_b32 exec_lo, exec_lo, s18
	v_lshlrev_b32_e32 v2, 16, v0
	v_lshlrev_b32_e32 v3, 20, v60
	v_lshl_add_u32 v1, v1, 23, 0x3c000000
	v_and_b32_e32 v2, 0x80000000, v2
	v_or3_b32 v2, v3, v2, v1
	v_mov_b32_e32 v1, v61
	buffer_store_dword v1, off, s[0:3], s32 offset:260 ; 4-byte Folded Spill
	buffer_store_dword v2, off, s[0:3], s32 offset:264 ; 4-byte Folded Spill
.LBB232_88:                             ;   in Loop: Header=BB232_10 Depth=1
	s_or_b32 exec_lo, exec_lo, s17
.LBB232_89:                             ;   in Loop: Header=BB232_10 Depth=1
	s_or_b32 exec_lo, exec_lo, s7
.LBB232_90:                             ;   in Loop: Header=BB232_10 Depth=1
	s_or_b32 exec_lo, exec_lo, s6
	v_mov_b32_e32 v2, 0
	v_mov_b32_e32 v3, 0
	;; [unrolled: 1-line block ×3, first 2 shown]
	s_mov_b32 s6, exec_lo
	buffer_store_dword v2, off, s[0:3], s32 offset:268 ; 4-byte Folded Spill
	buffer_store_dword v3, off, s[0:3], s32 offset:272 ; 4-byte Folded Spill
	v_mov_b32_e32 v2, 0
	v_and_b32_sdwa v1, v0, v1 dst_sel:DWORD dst_unused:UNUSED_PAD src0_sel:WORD_1 src1_sel:DWORD
	v_mov_b32_e32 v3, 0
	buffer_store_dword v2, off, s[0:3], s32 offset:276 ; 4-byte Folded Spill
	buffer_store_dword v3, off, s[0:3], s32 offset:280 ; 4-byte Folded Spill
	v_cmpx_ne_u16_e32 0, v1
	s_cbranch_execz .LBB232_98
; %bb.91:                               ;   in Loop: Header=BB232_10 Depth=1
	v_cmp_ne_u16_e64 s5, 0x80, v1
	v_bfrev_b32_e32 v1, 1
	v_mov_b32_e32 v2, 0
	buffer_store_dword v1, off, s[0:3], s32 offset:276 ; 4-byte Folded Spill
	buffer_store_dword v2, off, s[0:3], s32 offset:280 ; 4-byte Folded Spill
	s_and_saveexec_b32 s7, s5
	s_cbranch_execz .LBB232_97
; %bb.92:                               ;   in Loop: Header=BB232_10 Depth=1
	v_mov_b32_e32 v3, 0x7f800001
	v_bfe_u32 v2, v0, 16, 7
	v_mov_b32_e32 v4, 0
	s_mov_b32 s17, exec_lo
	buffer_store_dword v3, off, s[0:3], s32 offset:276 ; 4-byte Folded Spill
	buffer_store_dword v4, off, s[0:3], s32 offset:280 ; 4-byte Folded Spill
	v_cmpx_ne_u32_e32 0x7f, v2
	s_cbranch_execz .LBB232_96
; %bb.93:                               ;   in Loop: Header=BB232_10 Depth=1
	v_mov_b32_e32 v1, 7
	s_mov_b32 s18, exec_lo
	v_and_b32_sdwa v60, v0, v1 dst_sel:DWORD dst_unused:UNUSED_PAD src0_sel:WORD_1 src1_sel:DWORD
	v_lshrrev_b32_e32 v1, 3, v2
	v_cmpx_gt_u32_e32 8, v2
; %bb.94:                               ;   in Loop: Header=BB232_10 Depth=1
	v_ffbh_u32_e32 v1, v60
	v_min_u32_e32 v1, 32, v1
	v_subrev_nc_u32_e32 v2, 28, v1
	v_sub_nc_u32_e32 v1, 29, v1
	v_lshlrev_b64 v[2:3], v2, v[60:61]
	v_and_b32_e32 v60, 7, v2
; %bb.95:                               ;   in Loop: Header=BB232_10 Depth=1
	s_or_b32 exec_lo, exec_lo, s18
	v_mov_b32_e32 v2, 24
	v_lshlrev_b32_e32 v3, 20, v60
	v_lshl_add_u32 v1, v1, 23, 0x3c000000
	v_lshlrev_b32_sdwa v2, v2, v0 dst_sel:DWORD dst_unused:UNUSED_PAD src0_sel:DWORD src1_sel:WORD_1
	v_and_b32_e32 v2, 0x80000000, v2
	v_or3_b32 v60, v3, v2, v1
	buffer_store_dword v60, off, s[0:3], s32 offset:276 ; 4-byte Folded Spill
	buffer_store_dword v61, off, s[0:3], s32 offset:280 ; 4-byte Folded Spill
.LBB232_96:                             ;   in Loop: Header=BB232_10 Depth=1
	s_or_b32 exec_lo, exec_lo, s17
.LBB232_97:                             ;   in Loop: Header=BB232_10 Depth=1
	s_or_b32 exec_lo, exec_lo, s7
.LBB232_98:                             ;   in Loop: Header=BB232_10 Depth=1
	s_or_b32 exec_lo, exec_lo, s6
	s_mov_b32 s6, exec_lo
	v_cmpx_lt_u32_e32 0xffffff, v0
	s_cbranch_execz .LBB232_106
; %bb.99:                               ;   in Loop: Header=BB232_10 Depth=1
	v_mov_b32_e32 v1, 0x80
	v_mov_b32_e32 v84, v61
	buffer_store_dword v84, off, s[0:3], s32 offset:268 ; 4-byte Folded Spill
	buffer_store_dword v85, off, s[0:3], s32 offset:272 ; 4-byte Folded Spill
	v_cmp_ne_u32_sdwa s5, v0, v1 src0_sel:BYTE_3 src1_sel:DWORD
	s_and_saveexec_b32 s7, s5
	s_cbranch_execz .LBB232_105
; %bb.100:                              ;   in Loop: Header=BB232_10 Depth=1
	v_bfe_u32 v2, v0, 24, 7
	v_mov_b32_e32 v86, v61
	s_mov_b32 s17, exec_lo
	buffer_store_dword v86, off, s[0:3], s32 offset:268 ; 4-byte Folded Spill
	buffer_store_dword v87, off, s[0:3], s32 offset:272 ; 4-byte Folded Spill
	v_cmpx_ne_u32_e32 0x7f, v2
	s_cbranch_execz .LBB232_104
; %bb.101:                              ;   in Loop: Header=BB232_10 Depth=1
	v_mov_b32_e32 v1, 7
	s_mov_b32 s18, exec_lo
	v_and_b32_sdwa v60, v0, v1 dst_sel:DWORD dst_unused:UNUSED_PAD src0_sel:BYTE_3 src1_sel:DWORD
	v_lshrrev_b32_e32 v1, 3, v2
	v_cmpx_gt_u32_e32 8, v2
; %bb.102:                              ;   in Loop: Header=BB232_10 Depth=1
	v_ffbh_u32_e32 v1, v60
	v_min_u32_e32 v1, 32, v1
	v_subrev_nc_u32_e32 v2, 28, v1
	v_sub_nc_u32_e32 v1, 29, v1
	v_lshlrev_b64 v[2:3], v2, v[60:61]
	v_and_b32_e32 v60, 7, v2
; %bb.103:                              ;   in Loop: Header=BB232_10 Depth=1
	s_or_b32 exec_lo, exec_lo, s18
	v_mov_b32_e32 v2, 24
	v_lshl_add_u32 v1, v1, 23, 0x3c000000
	v_lshlrev_b32_sdwa v0, v2, v0 dst_sel:DWORD dst_unused:UNUSED_PAD src0_sel:DWORD src1_sel:BYTE_3
	v_lshlrev_b32_e32 v2, 20, v60
	v_and_b32_e32 v0, 0x80000000, v0
	v_or3_b32 v1, v2, v0, v1
	v_mov_b32_e32 v0, v61
	buffer_store_dword v0, off, s[0:3], s32 offset:268 ; 4-byte Folded Spill
	buffer_store_dword v1, off, s[0:3], s32 offset:272 ; 4-byte Folded Spill
.LBB232_104:                            ;   in Loop: Header=BB232_10 Depth=1
	s_or_b32 exec_lo, exec_lo, s17
.LBB232_105:                            ;   in Loop: Header=BB232_10 Depth=1
	s_or_b32 exec_lo, exec_lo, s7
.LBB232_106:                            ;   in Loop: Header=BB232_10 Depth=1
	s_or_b32 exec_lo, exec_lo, s6
	flat_load_dword v0, v[39:40] offset:12
	v_mov_b32_e32 v1, 0
	v_mov_b32_e32 v2, 0
	buffer_store_dword v1, off, s[0:3], s32 offset:292 ; 4-byte Folded Spill
	buffer_store_dword v2, off, s[0:3], s32 offset:296 ; 4-byte Folded Spill
	v_mov_b32_e32 v1, 0
	v_mov_b32_e32 v2, 0
	buffer_store_dword v1, off, s[0:3], s32 offset:316 ; 4-byte Folded Spill
	buffer_store_dword v2, off, s[0:3], s32 offset:320 ; 4-byte Folded Spill
	s_waitcnt vmcnt(0) lgkmcnt(0)
	v_cmp_ne_u16_sdwa s5, v0, v61 src0_sel:BYTE_0 src1_sel:DWORD
	s_and_saveexec_b32 s6, s5
	s_cbranch_execz .LBB232_114
; %bb.107:                              ;   in Loop: Header=BB232_10 Depth=1
	v_bfrev_b32_e32 v1, 1
	v_mov_b32_e32 v2, 0
	buffer_store_dword v1, off, s[0:3], s32 offset:316 ; 4-byte Folded Spill
	buffer_store_dword v2, off, s[0:3], s32 offset:320 ; 4-byte Folded Spill
	v_mov_b32_e32 v1, 0x80
	v_cmp_ne_u16_sdwa s5, v0, v1 src0_sel:BYTE_0 src1_sel:DWORD
	s_and_saveexec_b32 s7, s5
	s_cbranch_execz .LBB232_113
; %bb.108:                              ;   in Loop: Header=BB232_10 Depth=1
	v_mov_b32_e32 v3, 0x7f800001
	v_and_b32_e32 v2, 0x7f, v0
	v_mov_b32_e32 v4, 0
	s_mov_b32 s17, exec_lo
	buffer_store_dword v3, off, s[0:3], s32 offset:316 ; 4-byte Folded Spill
	buffer_store_dword v4, off, s[0:3], s32 offset:320 ; 4-byte Folded Spill
	v_cmpx_ne_u32_e32 0x7f, v2
	s_cbranch_execz .LBB232_112
; %bb.109:                              ;   in Loop: Header=BB232_10 Depth=1
	v_and_b32_e32 v60, 7, v0
	v_lshrrev_b32_e32 v1, 3, v2
	s_mov_b32 s18, exec_lo
	v_cmpx_gt_u32_e32 8, v2
; %bb.110:                              ;   in Loop: Header=BB232_10 Depth=1
	v_ffbh_u32_e32 v1, v60
	v_min_u32_e32 v1, 32, v1
	v_subrev_nc_u32_e32 v2, 28, v1
	v_sub_nc_u32_e32 v1, 29, v1
	v_lshlrev_b64 v[2:3], v2, v[60:61]
	v_and_b32_e32 v60, 7, v2
; %bb.111:                              ;   in Loop: Header=BB232_10 Depth=1
	s_or_b32 exec_lo, exec_lo, s18
	v_lshlrev_b32_e32 v2, 24, v0
	v_lshlrev_b32_e32 v3, 20, v60
	v_lshl_add_u32 v1, v1, 23, 0x3c000000
	v_and_b32_e32 v2, 0x80000000, v2
	v_or3_b32 v60, v3, v2, v1
	buffer_store_dword v60, off, s[0:3], s32 offset:316 ; 4-byte Folded Spill
	buffer_store_dword v61, off, s[0:3], s32 offset:320 ; 4-byte Folded Spill
.LBB232_112:                            ;   in Loop: Header=BB232_10 Depth=1
	s_or_b32 exec_lo, exec_lo, s17
.LBB232_113:                            ;   in Loop: Header=BB232_10 Depth=1
	s_or_b32 exec_lo, exec_lo, s7
.LBB232_114:                            ;   in Loop: Header=BB232_10 Depth=1
	s_or_b32 exec_lo, exec_lo, s6
	v_cmp_ne_u16_sdwa s5, v0, v61 src0_sel:BYTE_1 src1_sel:DWORD
	s_and_saveexec_b32 s6, s5
	s_cbranch_execz .LBB232_122
; %bb.115:                              ;   in Loop: Header=BB232_10 Depth=1
	v_mov_b32_e32 v1, 0x80
	v_mov_b32_e32 v84, v61
	buffer_store_dword v84, off, s[0:3], s32 offset:292 ; 4-byte Folded Spill
	buffer_store_dword v85, off, s[0:3], s32 offset:296 ; 4-byte Folded Spill
	v_cmp_ne_u16_sdwa s5, v0, v1 src0_sel:BYTE_1 src1_sel:DWORD
	s_and_saveexec_b32 s7, s5
	s_cbranch_execz .LBB232_121
; %bb.116:                              ;   in Loop: Header=BB232_10 Depth=1
	v_mov_b32_e32 v1, 0xffff
	v_mov_b32_e32 v86, v61
	s_mov_b32 s17, exec_lo
	buffer_store_dword v86, off, s[0:3], s32 offset:292 ; 4-byte Folded Spill
	buffer_store_dword v87, off, s[0:3], s32 offset:296 ; 4-byte Folded Spill
	v_and_b32_sdwa v1, v1, v0 dst_sel:DWORD dst_unused:UNUSED_PAD src0_sel:DWORD src1_sel:BYTE_1
	v_and_b32_e32 v2, 0x7f, v1
	v_cmpx_ne_u32_e32 0x7f, v2
	s_cbranch_execz .LBB232_120
; %bb.117:                              ;   in Loop: Header=BB232_10 Depth=1
	v_and_b32_e32 v60, 7, v1
	v_lshrrev_b32_e32 v1, 3, v2
	s_mov_b32 s18, exec_lo
	v_cmpx_gt_u32_e32 8, v2
; %bb.118:                              ;   in Loop: Header=BB232_10 Depth=1
	v_ffbh_u32_e32 v1, v60
	v_min_u32_e32 v1, 32, v1
	v_subrev_nc_u32_e32 v2, 28, v1
	v_sub_nc_u32_e32 v1, 29, v1
	v_lshlrev_b64 v[2:3], v2, v[60:61]
	v_and_b32_e32 v60, 7, v2
; %bb.119:                              ;   in Loop: Header=BB232_10 Depth=1
	s_or_b32 exec_lo, exec_lo, s18
	v_lshlrev_b32_e32 v2, 16, v0
	v_lshlrev_b32_e32 v3, 20, v60
	v_lshl_add_u32 v1, v1, 23, 0x3c000000
	v_and_b32_e32 v2, 0x80000000, v2
	v_or3_b32 v2, v3, v2, v1
	v_mov_b32_e32 v1, v61
	buffer_store_dword v1, off, s[0:3], s32 offset:292 ; 4-byte Folded Spill
	buffer_store_dword v2, off, s[0:3], s32 offset:296 ; 4-byte Folded Spill
.LBB232_120:                            ;   in Loop: Header=BB232_10 Depth=1
	s_or_b32 exec_lo, exec_lo, s17
.LBB232_121:                            ;   in Loop: Header=BB232_10 Depth=1
	s_or_b32 exec_lo, exec_lo, s7
.LBB232_122:                            ;   in Loop: Header=BB232_10 Depth=1
	s_or_b32 exec_lo, exec_lo, s6
	v_mov_b32_e32 v2, 0
	v_mov_b32_e32 v3, 0
	;; [unrolled: 1-line block ×3, first 2 shown]
	s_mov_b32 s6, exec_lo
	buffer_store_dword v2, off, s[0:3], s32 offset:300 ; 4-byte Folded Spill
	buffer_store_dword v3, off, s[0:3], s32 offset:304 ; 4-byte Folded Spill
	v_mov_b32_e32 v2, 0
	v_and_b32_sdwa v1, v0, v1 dst_sel:DWORD dst_unused:UNUSED_PAD src0_sel:WORD_1 src1_sel:DWORD
	v_mov_b32_e32 v3, 0
	buffer_store_dword v2, off, s[0:3], s32 offset:308 ; 4-byte Folded Spill
	buffer_store_dword v3, off, s[0:3], s32 offset:312 ; 4-byte Folded Spill
	v_cmpx_ne_u16_e32 0, v1
	s_cbranch_execz .LBB232_130
; %bb.123:                              ;   in Loop: Header=BB232_10 Depth=1
	v_cmp_ne_u16_e64 s5, 0x80, v1
	v_bfrev_b32_e32 v1, 1
	v_mov_b32_e32 v2, 0
	buffer_store_dword v1, off, s[0:3], s32 offset:308 ; 4-byte Folded Spill
	buffer_store_dword v2, off, s[0:3], s32 offset:312 ; 4-byte Folded Spill
	s_and_saveexec_b32 s7, s5
	s_cbranch_execz .LBB232_129
; %bb.124:                              ;   in Loop: Header=BB232_10 Depth=1
	v_mov_b32_e32 v3, 0x7f800001
	v_bfe_u32 v2, v0, 16, 7
	v_mov_b32_e32 v4, 0
	s_mov_b32 s17, exec_lo
	buffer_store_dword v3, off, s[0:3], s32 offset:308 ; 4-byte Folded Spill
	buffer_store_dword v4, off, s[0:3], s32 offset:312 ; 4-byte Folded Spill
	v_cmpx_ne_u32_e32 0x7f, v2
	s_cbranch_execz .LBB232_128
; %bb.125:                              ;   in Loop: Header=BB232_10 Depth=1
	v_mov_b32_e32 v1, 7
	s_mov_b32 s18, exec_lo
	v_and_b32_sdwa v60, v0, v1 dst_sel:DWORD dst_unused:UNUSED_PAD src0_sel:WORD_1 src1_sel:DWORD
	v_lshrrev_b32_e32 v1, 3, v2
	v_cmpx_gt_u32_e32 8, v2
; %bb.126:                              ;   in Loop: Header=BB232_10 Depth=1
	v_ffbh_u32_e32 v1, v60
	v_min_u32_e32 v1, 32, v1
	v_subrev_nc_u32_e32 v2, 28, v1
	v_sub_nc_u32_e32 v1, 29, v1
	v_lshlrev_b64 v[2:3], v2, v[60:61]
	v_and_b32_e32 v60, 7, v2
; %bb.127:                              ;   in Loop: Header=BB232_10 Depth=1
	s_or_b32 exec_lo, exec_lo, s18
	v_mov_b32_e32 v2, 24
	v_lshlrev_b32_e32 v3, 20, v60
	v_lshl_add_u32 v1, v1, 23, 0x3c000000
	v_lshlrev_b32_sdwa v2, v2, v0 dst_sel:DWORD dst_unused:UNUSED_PAD src0_sel:DWORD src1_sel:WORD_1
	v_and_b32_e32 v2, 0x80000000, v2
	v_or3_b32 v60, v3, v2, v1
	buffer_store_dword v60, off, s[0:3], s32 offset:308 ; 4-byte Folded Spill
	buffer_store_dword v61, off, s[0:3], s32 offset:312 ; 4-byte Folded Spill
.LBB232_128:                            ;   in Loop: Header=BB232_10 Depth=1
	s_or_b32 exec_lo, exec_lo, s17
.LBB232_129:                            ;   in Loop: Header=BB232_10 Depth=1
	s_or_b32 exec_lo, exec_lo, s7
.LBB232_130:                            ;   in Loop: Header=BB232_10 Depth=1
	s_or_b32 exec_lo, exec_lo, s6
	s_mov_b32 s6, exec_lo
	v_cmpx_lt_u32_e32 0xffffff, v0
	s_cbranch_execz .LBB232_138
; %bb.131:                              ;   in Loop: Header=BB232_10 Depth=1
	v_mov_b32_e32 v1, 0x80
	v_mov_b32_e32 v84, v61
	buffer_store_dword v84, off, s[0:3], s32 offset:300 ; 4-byte Folded Spill
	buffer_store_dword v85, off, s[0:3], s32 offset:304 ; 4-byte Folded Spill
	v_cmp_ne_u32_sdwa s5, v0, v1 src0_sel:BYTE_3 src1_sel:DWORD
	s_and_saveexec_b32 s7, s5
	s_cbranch_execz .LBB232_137
; %bb.132:                              ;   in Loop: Header=BB232_10 Depth=1
	v_bfe_u32 v2, v0, 24, 7
	v_mov_b32_e32 v86, v61
	s_mov_b32 s17, exec_lo
	buffer_store_dword v86, off, s[0:3], s32 offset:300 ; 4-byte Folded Spill
	buffer_store_dword v87, off, s[0:3], s32 offset:304 ; 4-byte Folded Spill
	v_cmpx_ne_u32_e32 0x7f, v2
	s_cbranch_execz .LBB232_136
; %bb.133:                              ;   in Loop: Header=BB232_10 Depth=1
	v_mov_b32_e32 v1, 7
	s_mov_b32 s18, exec_lo
	v_and_b32_sdwa v60, v0, v1 dst_sel:DWORD dst_unused:UNUSED_PAD src0_sel:BYTE_3 src1_sel:DWORD
	v_lshrrev_b32_e32 v1, 3, v2
	v_cmpx_gt_u32_e32 8, v2
; %bb.134:                              ;   in Loop: Header=BB232_10 Depth=1
	v_ffbh_u32_e32 v1, v60
	v_min_u32_e32 v1, 32, v1
	v_subrev_nc_u32_e32 v2, 28, v1
	v_sub_nc_u32_e32 v1, 29, v1
	v_lshlrev_b64 v[2:3], v2, v[60:61]
	v_and_b32_e32 v60, 7, v2
; %bb.135:                              ;   in Loop: Header=BB232_10 Depth=1
	s_or_b32 exec_lo, exec_lo, s18
	v_mov_b32_e32 v2, 24
	v_lshl_add_u32 v1, v1, 23, 0x3c000000
	v_lshlrev_b32_sdwa v0, v2, v0 dst_sel:DWORD dst_unused:UNUSED_PAD src0_sel:DWORD src1_sel:BYTE_3
	v_lshlrev_b32_e32 v2, 20, v60
	v_and_b32_e32 v0, 0x80000000, v0
	v_or3_b32 v1, v2, v0, v1
	v_mov_b32_e32 v0, v61
	buffer_store_dword v0, off, s[0:3], s32 offset:300 ; 4-byte Folded Spill
	buffer_store_dword v1, off, s[0:3], s32 offset:304 ; 4-byte Folded Spill
.LBB232_136:                            ;   in Loop: Header=BB232_10 Depth=1
	s_or_b32 exec_lo, exec_lo, s17
.LBB232_137:                            ;   in Loop: Header=BB232_10 Depth=1
	s_or_b32 exec_lo, exec_lo, s7
.LBB232_138:                            ;   in Loop: Header=BB232_10 Depth=1
	s_or_b32 exec_lo, exec_lo, s6
	flat_load_dword v0, v[39:40] offset:512
	v_mov_b32_e32 v1, 0
	v_mov_b32_e32 v2, 0
	buffer_store_dword v1, off, s[0:3], s32 offset:324 ; 4-byte Folded Spill
	buffer_store_dword v2, off, s[0:3], s32 offset:328 ; 4-byte Folded Spill
	v_mov_b32_e32 v1, 0
	v_mov_b32_e32 v2, 0
	buffer_store_dword v1, off, s[0:3], s32 offset:348 ; 4-byte Folded Spill
	buffer_store_dword v2, off, s[0:3], s32 offset:352 ; 4-byte Folded Spill
	s_waitcnt vmcnt(0) lgkmcnt(0)
	v_cmp_ne_u16_sdwa s5, v0, v61 src0_sel:BYTE_0 src1_sel:DWORD
	s_and_saveexec_b32 s6, s5
	s_cbranch_execz .LBB232_146
; %bb.139:                              ;   in Loop: Header=BB232_10 Depth=1
	v_bfrev_b32_e32 v1, 1
	v_mov_b32_e32 v2, 0
	buffer_store_dword v1, off, s[0:3], s32 offset:348 ; 4-byte Folded Spill
	buffer_store_dword v2, off, s[0:3], s32 offset:352 ; 4-byte Folded Spill
	v_mov_b32_e32 v1, 0x80
	v_cmp_ne_u16_sdwa s5, v0, v1 src0_sel:BYTE_0 src1_sel:DWORD
	s_and_saveexec_b32 s7, s5
	s_cbranch_execz .LBB232_145
; %bb.140:                              ;   in Loop: Header=BB232_10 Depth=1
	v_mov_b32_e32 v3, 0x7f800001
	v_and_b32_e32 v2, 0x7f, v0
	v_mov_b32_e32 v4, 0
	s_mov_b32 s17, exec_lo
	buffer_store_dword v3, off, s[0:3], s32 offset:348 ; 4-byte Folded Spill
	buffer_store_dword v4, off, s[0:3], s32 offset:352 ; 4-byte Folded Spill
	v_cmpx_ne_u32_e32 0x7f, v2
	s_cbranch_execz .LBB232_144
; %bb.141:                              ;   in Loop: Header=BB232_10 Depth=1
	v_and_b32_e32 v60, 7, v0
	v_lshrrev_b32_e32 v1, 3, v2
	s_mov_b32 s18, exec_lo
	v_cmpx_gt_u32_e32 8, v2
; %bb.142:                              ;   in Loop: Header=BB232_10 Depth=1
	v_ffbh_u32_e32 v1, v60
	v_min_u32_e32 v1, 32, v1
	v_subrev_nc_u32_e32 v2, 28, v1
	v_sub_nc_u32_e32 v1, 29, v1
	v_lshlrev_b64 v[2:3], v2, v[60:61]
	v_and_b32_e32 v60, 7, v2
; %bb.143:                              ;   in Loop: Header=BB232_10 Depth=1
	s_or_b32 exec_lo, exec_lo, s18
	v_lshlrev_b32_e32 v2, 24, v0
	v_lshlrev_b32_e32 v3, 20, v60
	v_lshl_add_u32 v1, v1, 23, 0x3c000000
	v_and_b32_e32 v2, 0x80000000, v2
	v_or3_b32 v60, v3, v2, v1
	buffer_store_dword v60, off, s[0:3], s32 offset:348 ; 4-byte Folded Spill
	buffer_store_dword v61, off, s[0:3], s32 offset:352 ; 4-byte Folded Spill
.LBB232_144:                            ;   in Loop: Header=BB232_10 Depth=1
	s_or_b32 exec_lo, exec_lo, s17
.LBB232_145:                            ;   in Loop: Header=BB232_10 Depth=1
	s_or_b32 exec_lo, exec_lo, s7
.LBB232_146:                            ;   in Loop: Header=BB232_10 Depth=1
	s_or_b32 exec_lo, exec_lo, s6
	v_cmp_ne_u16_sdwa s5, v0, v61 src0_sel:BYTE_1 src1_sel:DWORD
	s_and_saveexec_b32 s6, s5
	s_cbranch_execz .LBB232_154
; %bb.147:                              ;   in Loop: Header=BB232_10 Depth=1
	v_mov_b32_e32 v1, 0x80
	v_mov_b32_e32 v84, v61
	buffer_store_dword v84, off, s[0:3], s32 offset:324 ; 4-byte Folded Spill
	buffer_store_dword v85, off, s[0:3], s32 offset:328 ; 4-byte Folded Spill
	v_cmp_ne_u16_sdwa s5, v0, v1 src0_sel:BYTE_1 src1_sel:DWORD
	s_and_saveexec_b32 s7, s5
	s_cbranch_execz .LBB232_153
; %bb.148:                              ;   in Loop: Header=BB232_10 Depth=1
	v_mov_b32_e32 v1, 0xffff
	v_mov_b32_e32 v86, v61
	s_mov_b32 s17, exec_lo
	buffer_store_dword v86, off, s[0:3], s32 offset:324 ; 4-byte Folded Spill
	buffer_store_dword v87, off, s[0:3], s32 offset:328 ; 4-byte Folded Spill
	v_and_b32_sdwa v1, v1, v0 dst_sel:DWORD dst_unused:UNUSED_PAD src0_sel:DWORD src1_sel:BYTE_1
	v_and_b32_e32 v2, 0x7f, v1
	v_cmpx_ne_u32_e32 0x7f, v2
	s_cbranch_execz .LBB232_152
; %bb.149:                              ;   in Loop: Header=BB232_10 Depth=1
	v_and_b32_e32 v60, 7, v1
	v_lshrrev_b32_e32 v1, 3, v2
	s_mov_b32 s18, exec_lo
	v_cmpx_gt_u32_e32 8, v2
; %bb.150:                              ;   in Loop: Header=BB232_10 Depth=1
	v_ffbh_u32_e32 v1, v60
	v_min_u32_e32 v1, 32, v1
	v_subrev_nc_u32_e32 v2, 28, v1
	v_sub_nc_u32_e32 v1, 29, v1
	v_lshlrev_b64 v[2:3], v2, v[60:61]
	v_and_b32_e32 v60, 7, v2
; %bb.151:                              ;   in Loop: Header=BB232_10 Depth=1
	s_or_b32 exec_lo, exec_lo, s18
	v_lshlrev_b32_e32 v2, 16, v0
	v_lshlrev_b32_e32 v3, 20, v60
	v_lshl_add_u32 v1, v1, 23, 0x3c000000
	v_and_b32_e32 v2, 0x80000000, v2
	v_or3_b32 v2, v3, v2, v1
	v_mov_b32_e32 v1, v61
	buffer_store_dword v1, off, s[0:3], s32 offset:324 ; 4-byte Folded Spill
	buffer_store_dword v2, off, s[0:3], s32 offset:328 ; 4-byte Folded Spill
.LBB232_152:                            ;   in Loop: Header=BB232_10 Depth=1
	s_or_b32 exec_lo, exec_lo, s17
.LBB232_153:                            ;   in Loop: Header=BB232_10 Depth=1
	s_or_b32 exec_lo, exec_lo, s7
.LBB232_154:                            ;   in Loop: Header=BB232_10 Depth=1
	s_or_b32 exec_lo, exec_lo, s6
	v_mov_b32_e32 v2, 0
	v_mov_b32_e32 v3, 0
	;; [unrolled: 1-line block ×3, first 2 shown]
	s_mov_b32 s6, exec_lo
	buffer_store_dword v2, off, s[0:3], s32 offset:332 ; 4-byte Folded Spill
	buffer_store_dword v3, off, s[0:3], s32 offset:336 ; 4-byte Folded Spill
	v_mov_b32_e32 v2, 0
	v_and_b32_sdwa v1, v0, v1 dst_sel:DWORD dst_unused:UNUSED_PAD src0_sel:WORD_1 src1_sel:DWORD
	v_mov_b32_e32 v3, 0
	buffer_store_dword v2, off, s[0:3], s32 offset:340 ; 4-byte Folded Spill
	buffer_store_dword v3, off, s[0:3], s32 offset:344 ; 4-byte Folded Spill
	v_cmpx_ne_u16_e32 0, v1
	s_cbranch_execz .LBB232_162
; %bb.155:                              ;   in Loop: Header=BB232_10 Depth=1
	v_cmp_ne_u16_e64 s5, 0x80, v1
	v_bfrev_b32_e32 v1, 1
	v_mov_b32_e32 v2, 0
	buffer_store_dword v1, off, s[0:3], s32 offset:340 ; 4-byte Folded Spill
	buffer_store_dword v2, off, s[0:3], s32 offset:344 ; 4-byte Folded Spill
	s_and_saveexec_b32 s7, s5
	s_cbranch_execz .LBB232_161
; %bb.156:                              ;   in Loop: Header=BB232_10 Depth=1
	v_mov_b32_e32 v3, 0x7f800001
	v_bfe_u32 v2, v0, 16, 7
	v_mov_b32_e32 v4, 0
	s_mov_b32 s17, exec_lo
	buffer_store_dword v3, off, s[0:3], s32 offset:340 ; 4-byte Folded Spill
	buffer_store_dword v4, off, s[0:3], s32 offset:344 ; 4-byte Folded Spill
	v_cmpx_ne_u32_e32 0x7f, v2
	s_cbranch_execz .LBB232_160
; %bb.157:                              ;   in Loop: Header=BB232_10 Depth=1
	v_mov_b32_e32 v1, 7
	s_mov_b32 s18, exec_lo
	v_and_b32_sdwa v60, v0, v1 dst_sel:DWORD dst_unused:UNUSED_PAD src0_sel:WORD_1 src1_sel:DWORD
	v_lshrrev_b32_e32 v1, 3, v2
	v_cmpx_gt_u32_e32 8, v2
; %bb.158:                              ;   in Loop: Header=BB232_10 Depth=1
	v_ffbh_u32_e32 v1, v60
	v_min_u32_e32 v1, 32, v1
	v_subrev_nc_u32_e32 v2, 28, v1
	v_sub_nc_u32_e32 v1, 29, v1
	v_lshlrev_b64 v[2:3], v2, v[60:61]
	v_and_b32_e32 v60, 7, v2
; %bb.159:                              ;   in Loop: Header=BB232_10 Depth=1
	s_or_b32 exec_lo, exec_lo, s18
	v_mov_b32_e32 v2, 24
	v_lshlrev_b32_e32 v3, 20, v60
	v_lshl_add_u32 v1, v1, 23, 0x3c000000
	v_lshlrev_b32_sdwa v2, v2, v0 dst_sel:DWORD dst_unused:UNUSED_PAD src0_sel:DWORD src1_sel:WORD_1
	v_and_b32_e32 v2, 0x80000000, v2
	v_or3_b32 v60, v3, v2, v1
	buffer_store_dword v60, off, s[0:3], s32 offset:340 ; 4-byte Folded Spill
	buffer_store_dword v61, off, s[0:3], s32 offset:344 ; 4-byte Folded Spill
.LBB232_160:                            ;   in Loop: Header=BB232_10 Depth=1
	s_or_b32 exec_lo, exec_lo, s17
.LBB232_161:                            ;   in Loop: Header=BB232_10 Depth=1
	s_or_b32 exec_lo, exec_lo, s7
.LBB232_162:                            ;   in Loop: Header=BB232_10 Depth=1
	s_or_b32 exec_lo, exec_lo, s6
	s_mov_b32 s6, exec_lo
	v_cmpx_lt_u32_e32 0xffffff, v0
	s_cbranch_execz .LBB232_170
; %bb.163:                              ;   in Loop: Header=BB232_10 Depth=1
	v_mov_b32_e32 v1, 0x80
	v_mov_b32_e32 v84, v61
	buffer_store_dword v84, off, s[0:3], s32 offset:332 ; 4-byte Folded Spill
	buffer_store_dword v85, off, s[0:3], s32 offset:336 ; 4-byte Folded Spill
	v_cmp_ne_u32_sdwa s5, v0, v1 src0_sel:BYTE_3 src1_sel:DWORD
	s_and_saveexec_b32 s7, s5
	s_cbranch_execz .LBB232_169
; %bb.164:                              ;   in Loop: Header=BB232_10 Depth=1
	v_bfe_u32 v2, v0, 24, 7
	v_mov_b32_e32 v86, v61
	s_mov_b32 s17, exec_lo
	buffer_store_dword v86, off, s[0:3], s32 offset:332 ; 4-byte Folded Spill
	buffer_store_dword v87, off, s[0:3], s32 offset:336 ; 4-byte Folded Spill
	v_cmpx_ne_u32_e32 0x7f, v2
	s_cbranch_execz .LBB232_168
; %bb.165:                              ;   in Loop: Header=BB232_10 Depth=1
	v_mov_b32_e32 v1, 7
	s_mov_b32 s18, exec_lo
	v_and_b32_sdwa v60, v0, v1 dst_sel:DWORD dst_unused:UNUSED_PAD src0_sel:BYTE_3 src1_sel:DWORD
	v_lshrrev_b32_e32 v1, 3, v2
	v_cmpx_gt_u32_e32 8, v2
; %bb.166:                              ;   in Loop: Header=BB232_10 Depth=1
	v_ffbh_u32_e32 v1, v60
	v_min_u32_e32 v1, 32, v1
	v_subrev_nc_u32_e32 v2, 28, v1
	v_sub_nc_u32_e32 v1, 29, v1
	v_lshlrev_b64 v[2:3], v2, v[60:61]
	v_and_b32_e32 v60, 7, v2
; %bb.167:                              ;   in Loop: Header=BB232_10 Depth=1
	s_or_b32 exec_lo, exec_lo, s18
	v_mov_b32_e32 v2, 24
	v_lshl_add_u32 v1, v1, 23, 0x3c000000
	v_lshlrev_b32_sdwa v0, v2, v0 dst_sel:DWORD dst_unused:UNUSED_PAD src0_sel:DWORD src1_sel:BYTE_3
	v_lshlrev_b32_e32 v2, 20, v60
	v_and_b32_e32 v0, 0x80000000, v0
	v_or3_b32 v1, v2, v0, v1
	v_mov_b32_e32 v0, v61
	buffer_store_dword v0, off, s[0:3], s32 offset:332 ; 4-byte Folded Spill
	buffer_store_dword v1, off, s[0:3], s32 offset:336 ; 4-byte Folded Spill
.LBB232_168:                            ;   in Loop: Header=BB232_10 Depth=1
	s_or_b32 exec_lo, exec_lo, s17
.LBB232_169:                            ;   in Loop: Header=BB232_10 Depth=1
	s_or_b32 exec_lo, exec_lo, s7
.LBB232_170:                            ;   in Loop: Header=BB232_10 Depth=1
	s_or_b32 exec_lo, exec_lo, s6
	flat_load_dword v0, v[39:40] offset:516
	v_mov_b32_e32 v1, 0
	v_mov_b32_e32 v2, 0
	buffer_store_dword v1, off, s[0:3], s32 offset:356 ; 4-byte Folded Spill
	buffer_store_dword v2, off, s[0:3], s32 offset:360 ; 4-byte Folded Spill
	v_mov_b32_e32 v1, 0
	v_mov_b32_e32 v2, 0
	buffer_store_dword v1, off, s[0:3], s32 offset:380 ; 4-byte Folded Spill
	buffer_store_dword v2, off, s[0:3], s32 offset:384 ; 4-byte Folded Spill
	s_waitcnt vmcnt(0) lgkmcnt(0)
	v_cmp_ne_u16_sdwa s5, v0, v61 src0_sel:BYTE_0 src1_sel:DWORD
	s_and_saveexec_b32 s6, s5
	s_cbranch_execz .LBB232_178
; %bb.171:                              ;   in Loop: Header=BB232_10 Depth=1
	v_bfrev_b32_e32 v1, 1
	v_mov_b32_e32 v2, 0
	buffer_store_dword v1, off, s[0:3], s32 offset:380 ; 4-byte Folded Spill
	buffer_store_dword v2, off, s[0:3], s32 offset:384 ; 4-byte Folded Spill
	v_mov_b32_e32 v1, 0x80
	v_cmp_ne_u16_sdwa s5, v0, v1 src0_sel:BYTE_0 src1_sel:DWORD
	s_and_saveexec_b32 s7, s5
	s_cbranch_execz .LBB232_177
; %bb.172:                              ;   in Loop: Header=BB232_10 Depth=1
	v_mov_b32_e32 v3, 0x7f800001
	v_and_b32_e32 v2, 0x7f, v0
	v_mov_b32_e32 v4, 0
	s_mov_b32 s17, exec_lo
	buffer_store_dword v3, off, s[0:3], s32 offset:380 ; 4-byte Folded Spill
	buffer_store_dword v4, off, s[0:3], s32 offset:384 ; 4-byte Folded Spill
	v_cmpx_ne_u32_e32 0x7f, v2
	s_cbranch_execz .LBB232_176
; %bb.173:                              ;   in Loop: Header=BB232_10 Depth=1
	v_and_b32_e32 v60, 7, v0
	v_lshrrev_b32_e32 v1, 3, v2
	s_mov_b32 s18, exec_lo
	v_cmpx_gt_u32_e32 8, v2
; %bb.174:                              ;   in Loop: Header=BB232_10 Depth=1
	v_ffbh_u32_e32 v1, v60
	v_min_u32_e32 v1, 32, v1
	v_subrev_nc_u32_e32 v2, 28, v1
	v_sub_nc_u32_e32 v1, 29, v1
	v_lshlrev_b64 v[2:3], v2, v[60:61]
	v_and_b32_e32 v60, 7, v2
; %bb.175:                              ;   in Loop: Header=BB232_10 Depth=1
	s_or_b32 exec_lo, exec_lo, s18
	v_lshlrev_b32_e32 v2, 24, v0
	v_lshlrev_b32_e32 v3, 20, v60
	v_lshl_add_u32 v1, v1, 23, 0x3c000000
	v_and_b32_e32 v2, 0x80000000, v2
	v_or3_b32 v60, v3, v2, v1
	buffer_store_dword v60, off, s[0:3], s32 offset:380 ; 4-byte Folded Spill
	buffer_store_dword v61, off, s[0:3], s32 offset:384 ; 4-byte Folded Spill
.LBB232_176:                            ;   in Loop: Header=BB232_10 Depth=1
	s_or_b32 exec_lo, exec_lo, s17
.LBB232_177:                            ;   in Loop: Header=BB232_10 Depth=1
	s_or_b32 exec_lo, exec_lo, s7
.LBB232_178:                            ;   in Loop: Header=BB232_10 Depth=1
	s_or_b32 exec_lo, exec_lo, s6
	v_cmp_ne_u16_sdwa s5, v0, v61 src0_sel:BYTE_1 src1_sel:DWORD
	s_and_saveexec_b32 s6, s5
	s_cbranch_execz .LBB232_186
; %bb.179:                              ;   in Loop: Header=BB232_10 Depth=1
	v_mov_b32_e32 v1, 0x80
	v_mov_b32_e32 v84, v61
	buffer_store_dword v84, off, s[0:3], s32 offset:356 ; 4-byte Folded Spill
	buffer_store_dword v85, off, s[0:3], s32 offset:360 ; 4-byte Folded Spill
	v_cmp_ne_u16_sdwa s5, v0, v1 src0_sel:BYTE_1 src1_sel:DWORD
	s_and_saveexec_b32 s7, s5
	s_cbranch_execz .LBB232_185
; %bb.180:                              ;   in Loop: Header=BB232_10 Depth=1
	v_mov_b32_e32 v1, 0xffff
	v_mov_b32_e32 v86, v61
	s_mov_b32 s17, exec_lo
	buffer_store_dword v86, off, s[0:3], s32 offset:356 ; 4-byte Folded Spill
	buffer_store_dword v87, off, s[0:3], s32 offset:360 ; 4-byte Folded Spill
	v_and_b32_sdwa v1, v1, v0 dst_sel:DWORD dst_unused:UNUSED_PAD src0_sel:DWORD src1_sel:BYTE_1
	v_and_b32_e32 v2, 0x7f, v1
	v_cmpx_ne_u32_e32 0x7f, v2
	s_cbranch_execz .LBB232_184
; %bb.181:                              ;   in Loop: Header=BB232_10 Depth=1
	v_and_b32_e32 v60, 7, v1
	v_lshrrev_b32_e32 v1, 3, v2
	s_mov_b32 s18, exec_lo
	v_cmpx_gt_u32_e32 8, v2
; %bb.182:                              ;   in Loop: Header=BB232_10 Depth=1
	v_ffbh_u32_e32 v1, v60
	v_min_u32_e32 v1, 32, v1
	v_subrev_nc_u32_e32 v2, 28, v1
	v_sub_nc_u32_e32 v1, 29, v1
	v_lshlrev_b64 v[2:3], v2, v[60:61]
	v_and_b32_e32 v60, 7, v2
; %bb.183:                              ;   in Loop: Header=BB232_10 Depth=1
	s_or_b32 exec_lo, exec_lo, s18
	v_lshlrev_b32_e32 v2, 16, v0
	v_lshlrev_b32_e32 v3, 20, v60
	v_lshl_add_u32 v1, v1, 23, 0x3c000000
	v_and_b32_e32 v2, 0x80000000, v2
	v_or3_b32 v2, v3, v2, v1
	v_mov_b32_e32 v1, v61
	buffer_store_dword v1, off, s[0:3], s32 offset:356 ; 4-byte Folded Spill
	buffer_store_dword v2, off, s[0:3], s32 offset:360 ; 4-byte Folded Spill
.LBB232_184:                            ;   in Loop: Header=BB232_10 Depth=1
	s_or_b32 exec_lo, exec_lo, s17
.LBB232_185:                            ;   in Loop: Header=BB232_10 Depth=1
	s_or_b32 exec_lo, exec_lo, s7
.LBB232_186:                            ;   in Loop: Header=BB232_10 Depth=1
	s_or_b32 exec_lo, exec_lo, s6
	v_mov_b32_e32 v2, 0
	v_mov_b32_e32 v3, 0
	;; [unrolled: 1-line block ×3, first 2 shown]
	s_mov_b32 s6, exec_lo
	buffer_store_dword v2, off, s[0:3], s32 offset:364 ; 4-byte Folded Spill
	buffer_store_dword v3, off, s[0:3], s32 offset:368 ; 4-byte Folded Spill
	v_mov_b32_e32 v2, 0
	v_and_b32_sdwa v1, v0, v1 dst_sel:DWORD dst_unused:UNUSED_PAD src0_sel:WORD_1 src1_sel:DWORD
	v_mov_b32_e32 v3, 0
	buffer_store_dword v2, off, s[0:3], s32 offset:372 ; 4-byte Folded Spill
	buffer_store_dword v3, off, s[0:3], s32 offset:376 ; 4-byte Folded Spill
	v_cmpx_ne_u16_e32 0, v1
	s_cbranch_execz .LBB232_194
; %bb.187:                              ;   in Loop: Header=BB232_10 Depth=1
	v_cmp_ne_u16_e64 s5, 0x80, v1
	v_bfrev_b32_e32 v1, 1
	v_mov_b32_e32 v2, 0
	buffer_store_dword v1, off, s[0:3], s32 offset:372 ; 4-byte Folded Spill
	buffer_store_dword v2, off, s[0:3], s32 offset:376 ; 4-byte Folded Spill
	s_and_saveexec_b32 s7, s5
	s_cbranch_execz .LBB232_193
; %bb.188:                              ;   in Loop: Header=BB232_10 Depth=1
	v_mov_b32_e32 v3, 0x7f800001
	v_bfe_u32 v2, v0, 16, 7
	v_mov_b32_e32 v4, 0
	s_mov_b32 s17, exec_lo
	buffer_store_dword v3, off, s[0:3], s32 offset:372 ; 4-byte Folded Spill
	buffer_store_dword v4, off, s[0:3], s32 offset:376 ; 4-byte Folded Spill
	v_cmpx_ne_u32_e32 0x7f, v2
	s_cbranch_execz .LBB232_192
; %bb.189:                              ;   in Loop: Header=BB232_10 Depth=1
	v_mov_b32_e32 v1, 7
	s_mov_b32 s18, exec_lo
	v_and_b32_sdwa v60, v0, v1 dst_sel:DWORD dst_unused:UNUSED_PAD src0_sel:WORD_1 src1_sel:DWORD
	v_lshrrev_b32_e32 v1, 3, v2
	v_cmpx_gt_u32_e32 8, v2
; %bb.190:                              ;   in Loop: Header=BB232_10 Depth=1
	v_ffbh_u32_e32 v1, v60
	v_min_u32_e32 v1, 32, v1
	v_subrev_nc_u32_e32 v2, 28, v1
	v_sub_nc_u32_e32 v1, 29, v1
	v_lshlrev_b64 v[2:3], v2, v[60:61]
	v_and_b32_e32 v60, 7, v2
; %bb.191:                              ;   in Loop: Header=BB232_10 Depth=1
	s_or_b32 exec_lo, exec_lo, s18
	v_mov_b32_e32 v2, 24
	v_lshlrev_b32_e32 v3, 20, v60
	v_lshl_add_u32 v1, v1, 23, 0x3c000000
	v_lshlrev_b32_sdwa v2, v2, v0 dst_sel:DWORD dst_unused:UNUSED_PAD src0_sel:DWORD src1_sel:WORD_1
	v_and_b32_e32 v2, 0x80000000, v2
	v_or3_b32 v60, v3, v2, v1
	buffer_store_dword v60, off, s[0:3], s32 offset:372 ; 4-byte Folded Spill
	buffer_store_dword v61, off, s[0:3], s32 offset:376 ; 4-byte Folded Spill
.LBB232_192:                            ;   in Loop: Header=BB232_10 Depth=1
	s_or_b32 exec_lo, exec_lo, s17
.LBB232_193:                            ;   in Loop: Header=BB232_10 Depth=1
	s_or_b32 exec_lo, exec_lo, s7
.LBB232_194:                            ;   in Loop: Header=BB232_10 Depth=1
	s_or_b32 exec_lo, exec_lo, s6
	s_mov_b32 s6, exec_lo
	v_cmpx_lt_u32_e32 0xffffff, v0
	s_cbranch_execz .LBB232_202
; %bb.195:                              ;   in Loop: Header=BB232_10 Depth=1
	v_mov_b32_e32 v1, 0x80
	v_mov_b32_e32 v84, v61
	buffer_store_dword v84, off, s[0:3], s32 offset:364 ; 4-byte Folded Spill
	buffer_store_dword v85, off, s[0:3], s32 offset:368 ; 4-byte Folded Spill
	v_cmp_ne_u32_sdwa s5, v0, v1 src0_sel:BYTE_3 src1_sel:DWORD
	s_and_saveexec_b32 s7, s5
	s_cbranch_execz .LBB232_201
; %bb.196:                              ;   in Loop: Header=BB232_10 Depth=1
	v_bfe_u32 v2, v0, 24, 7
	v_mov_b32_e32 v86, v61
	s_mov_b32 s17, exec_lo
	buffer_store_dword v86, off, s[0:3], s32 offset:364 ; 4-byte Folded Spill
	buffer_store_dword v87, off, s[0:3], s32 offset:368 ; 4-byte Folded Spill
	v_cmpx_ne_u32_e32 0x7f, v2
	s_cbranch_execz .LBB232_200
; %bb.197:                              ;   in Loop: Header=BB232_10 Depth=1
	v_mov_b32_e32 v1, 7
	s_mov_b32 s18, exec_lo
	v_and_b32_sdwa v60, v0, v1 dst_sel:DWORD dst_unused:UNUSED_PAD src0_sel:BYTE_3 src1_sel:DWORD
	v_lshrrev_b32_e32 v1, 3, v2
	v_cmpx_gt_u32_e32 8, v2
; %bb.198:                              ;   in Loop: Header=BB232_10 Depth=1
	v_ffbh_u32_e32 v1, v60
	v_min_u32_e32 v1, 32, v1
	v_subrev_nc_u32_e32 v2, 28, v1
	v_sub_nc_u32_e32 v1, 29, v1
	v_lshlrev_b64 v[2:3], v2, v[60:61]
	v_and_b32_e32 v60, 7, v2
; %bb.199:                              ;   in Loop: Header=BB232_10 Depth=1
	s_or_b32 exec_lo, exec_lo, s18
	v_mov_b32_e32 v2, 24
	v_lshl_add_u32 v1, v1, 23, 0x3c000000
	v_lshlrev_b32_sdwa v0, v2, v0 dst_sel:DWORD dst_unused:UNUSED_PAD src0_sel:DWORD src1_sel:BYTE_3
	v_lshlrev_b32_e32 v2, 20, v60
	v_and_b32_e32 v0, 0x80000000, v0
	v_or3_b32 v1, v2, v0, v1
	v_mov_b32_e32 v0, v61
	buffer_store_dword v0, off, s[0:3], s32 offset:364 ; 4-byte Folded Spill
	buffer_store_dword v1, off, s[0:3], s32 offset:368 ; 4-byte Folded Spill
.LBB232_200:                            ;   in Loop: Header=BB232_10 Depth=1
	s_or_b32 exec_lo, exec_lo, s17
.LBB232_201:                            ;   in Loop: Header=BB232_10 Depth=1
	s_or_b32 exec_lo, exec_lo, s7
.LBB232_202:                            ;   in Loop: Header=BB232_10 Depth=1
	s_or_b32 exec_lo, exec_lo, s6
	flat_load_dword v0, v[39:40] offset:520
	v_mov_b32_e32 v1, 0
	v_mov_b32_e32 v2, 0
	buffer_store_dword v1, off, s[0:3], s32 offset:388 ; 4-byte Folded Spill
	buffer_store_dword v2, off, s[0:3], s32 offset:392 ; 4-byte Folded Spill
	v_mov_b32_e32 v1, 0
	v_mov_b32_e32 v2, 0
	buffer_store_dword v1, off, s[0:3], s32 offset:412 ; 4-byte Folded Spill
	buffer_store_dword v2, off, s[0:3], s32 offset:416 ; 4-byte Folded Spill
	s_waitcnt vmcnt(0) lgkmcnt(0)
	v_cmp_ne_u16_sdwa s5, v0, v61 src0_sel:BYTE_0 src1_sel:DWORD
	s_and_saveexec_b32 s6, s5
	s_cbranch_execz .LBB232_210
; %bb.203:                              ;   in Loop: Header=BB232_10 Depth=1
	v_bfrev_b32_e32 v1, 1
	v_mov_b32_e32 v2, 0
	buffer_store_dword v1, off, s[0:3], s32 offset:412 ; 4-byte Folded Spill
	buffer_store_dword v2, off, s[0:3], s32 offset:416 ; 4-byte Folded Spill
	v_mov_b32_e32 v1, 0x80
	v_cmp_ne_u16_sdwa s5, v0, v1 src0_sel:BYTE_0 src1_sel:DWORD
	s_and_saveexec_b32 s7, s5
	s_cbranch_execz .LBB232_209
; %bb.204:                              ;   in Loop: Header=BB232_10 Depth=1
	v_mov_b32_e32 v3, 0x7f800001
	v_and_b32_e32 v2, 0x7f, v0
	v_mov_b32_e32 v4, 0
	s_mov_b32 s17, exec_lo
	buffer_store_dword v3, off, s[0:3], s32 offset:412 ; 4-byte Folded Spill
	buffer_store_dword v4, off, s[0:3], s32 offset:416 ; 4-byte Folded Spill
	v_cmpx_ne_u32_e32 0x7f, v2
	s_cbranch_execz .LBB232_208
; %bb.205:                              ;   in Loop: Header=BB232_10 Depth=1
	v_and_b32_e32 v60, 7, v0
	v_lshrrev_b32_e32 v1, 3, v2
	s_mov_b32 s18, exec_lo
	v_cmpx_gt_u32_e32 8, v2
; %bb.206:                              ;   in Loop: Header=BB232_10 Depth=1
	v_ffbh_u32_e32 v1, v60
	v_min_u32_e32 v1, 32, v1
	v_subrev_nc_u32_e32 v2, 28, v1
	v_sub_nc_u32_e32 v1, 29, v1
	v_lshlrev_b64 v[2:3], v2, v[60:61]
	v_and_b32_e32 v60, 7, v2
; %bb.207:                              ;   in Loop: Header=BB232_10 Depth=1
	s_or_b32 exec_lo, exec_lo, s18
	v_lshlrev_b32_e32 v2, 24, v0
	v_lshlrev_b32_e32 v3, 20, v60
	v_lshl_add_u32 v1, v1, 23, 0x3c000000
	v_and_b32_e32 v2, 0x80000000, v2
	v_or3_b32 v60, v3, v2, v1
	buffer_store_dword v60, off, s[0:3], s32 offset:412 ; 4-byte Folded Spill
	buffer_store_dword v61, off, s[0:3], s32 offset:416 ; 4-byte Folded Spill
.LBB232_208:                            ;   in Loop: Header=BB232_10 Depth=1
	s_or_b32 exec_lo, exec_lo, s17
.LBB232_209:                            ;   in Loop: Header=BB232_10 Depth=1
	s_or_b32 exec_lo, exec_lo, s7
.LBB232_210:                            ;   in Loop: Header=BB232_10 Depth=1
	s_or_b32 exec_lo, exec_lo, s6
	v_cmp_ne_u16_sdwa s5, v0, v61 src0_sel:BYTE_1 src1_sel:DWORD
	s_and_saveexec_b32 s6, s5
	s_cbranch_execz .LBB232_218
; %bb.211:                              ;   in Loop: Header=BB232_10 Depth=1
	v_mov_b32_e32 v1, 0x80
	v_mov_b32_e32 v84, v61
	buffer_store_dword v84, off, s[0:3], s32 offset:388 ; 4-byte Folded Spill
	buffer_store_dword v85, off, s[0:3], s32 offset:392 ; 4-byte Folded Spill
	v_cmp_ne_u16_sdwa s5, v0, v1 src0_sel:BYTE_1 src1_sel:DWORD
	s_and_saveexec_b32 s7, s5
	s_cbranch_execz .LBB232_217
; %bb.212:                              ;   in Loop: Header=BB232_10 Depth=1
	v_mov_b32_e32 v1, 0xffff
	v_mov_b32_e32 v86, v61
	s_mov_b32 s17, exec_lo
	buffer_store_dword v86, off, s[0:3], s32 offset:388 ; 4-byte Folded Spill
	buffer_store_dword v87, off, s[0:3], s32 offset:392 ; 4-byte Folded Spill
	v_and_b32_sdwa v1, v1, v0 dst_sel:DWORD dst_unused:UNUSED_PAD src0_sel:DWORD src1_sel:BYTE_1
	v_and_b32_e32 v2, 0x7f, v1
	v_cmpx_ne_u32_e32 0x7f, v2
	s_cbranch_execz .LBB232_216
; %bb.213:                              ;   in Loop: Header=BB232_10 Depth=1
	v_and_b32_e32 v60, 7, v1
	v_lshrrev_b32_e32 v1, 3, v2
	s_mov_b32 s18, exec_lo
	v_cmpx_gt_u32_e32 8, v2
; %bb.214:                              ;   in Loop: Header=BB232_10 Depth=1
	v_ffbh_u32_e32 v1, v60
	v_min_u32_e32 v1, 32, v1
	v_subrev_nc_u32_e32 v2, 28, v1
	v_sub_nc_u32_e32 v1, 29, v1
	v_lshlrev_b64 v[2:3], v2, v[60:61]
	v_and_b32_e32 v60, 7, v2
; %bb.215:                              ;   in Loop: Header=BB232_10 Depth=1
	s_or_b32 exec_lo, exec_lo, s18
	v_lshlrev_b32_e32 v2, 16, v0
	v_lshlrev_b32_e32 v3, 20, v60
	v_lshl_add_u32 v1, v1, 23, 0x3c000000
	v_and_b32_e32 v2, 0x80000000, v2
	v_or3_b32 v2, v3, v2, v1
	v_mov_b32_e32 v1, v61
	buffer_store_dword v1, off, s[0:3], s32 offset:388 ; 4-byte Folded Spill
	buffer_store_dword v2, off, s[0:3], s32 offset:392 ; 4-byte Folded Spill
.LBB232_216:                            ;   in Loop: Header=BB232_10 Depth=1
	s_or_b32 exec_lo, exec_lo, s17
.LBB232_217:                            ;   in Loop: Header=BB232_10 Depth=1
	s_or_b32 exec_lo, exec_lo, s7
.LBB232_218:                            ;   in Loop: Header=BB232_10 Depth=1
	s_or_b32 exec_lo, exec_lo, s6
	v_mov_b32_e32 v2, 0
	v_mov_b32_e32 v3, 0
	;; [unrolled: 1-line block ×3, first 2 shown]
	s_mov_b32 s6, exec_lo
	buffer_store_dword v2, off, s[0:3], s32 offset:396 ; 4-byte Folded Spill
	buffer_store_dword v3, off, s[0:3], s32 offset:400 ; 4-byte Folded Spill
	v_mov_b32_e32 v2, 0
	v_and_b32_sdwa v1, v0, v1 dst_sel:DWORD dst_unused:UNUSED_PAD src0_sel:WORD_1 src1_sel:DWORD
	v_mov_b32_e32 v3, 0
	buffer_store_dword v2, off, s[0:3], s32 offset:404 ; 4-byte Folded Spill
	buffer_store_dword v3, off, s[0:3], s32 offset:408 ; 4-byte Folded Spill
	v_cmpx_ne_u16_e32 0, v1
	s_cbranch_execz .LBB232_226
; %bb.219:                              ;   in Loop: Header=BB232_10 Depth=1
	v_cmp_ne_u16_e64 s5, 0x80, v1
	v_bfrev_b32_e32 v1, 1
	v_mov_b32_e32 v2, 0
	buffer_store_dword v1, off, s[0:3], s32 offset:404 ; 4-byte Folded Spill
	buffer_store_dword v2, off, s[0:3], s32 offset:408 ; 4-byte Folded Spill
	s_and_saveexec_b32 s7, s5
	s_cbranch_execz .LBB232_225
; %bb.220:                              ;   in Loop: Header=BB232_10 Depth=1
	v_mov_b32_e32 v3, 0x7f800001
	v_bfe_u32 v2, v0, 16, 7
	v_mov_b32_e32 v4, 0
	s_mov_b32 s17, exec_lo
	buffer_store_dword v3, off, s[0:3], s32 offset:404 ; 4-byte Folded Spill
	buffer_store_dword v4, off, s[0:3], s32 offset:408 ; 4-byte Folded Spill
	v_cmpx_ne_u32_e32 0x7f, v2
	s_cbranch_execz .LBB232_224
; %bb.221:                              ;   in Loop: Header=BB232_10 Depth=1
	v_mov_b32_e32 v1, 7
	s_mov_b32 s18, exec_lo
	v_and_b32_sdwa v60, v0, v1 dst_sel:DWORD dst_unused:UNUSED_PAD src0_sel:WORD_1 src1_sel:DWORD
	v_lshrrev_b32_e32 v1, 3, v2
	v_cmpx_gt_u32_e32 8, v2
; %bb.222:                              ;   in Loop: Header=BB232_10 Depth=1
	v_ffbh_u32_e32 v1, v60
	v_min_u32_e32 v1, 32, v1
	v_subrev_nc_u32_e32 v2, 28, v1
	v_sub_nc_u32_e32 v1, 29, v1
	v_lshlrev_b64 v[2:3], v2, v[60:61]
	v_and_b32_e32 v60, 7, v2
; %bb.223:                              ;   in Loop: Header=BB232_10 Depth=1
	s_or_b32 exec_lo, exec_lo, s18
	v_mov_b32_e32 v2, 24
	v_lshlrev_b32_e32 v3, 20, v60
	v_lshl_add_u32 v1, v1, 23, 0x3c000000
	v_lshlrev_b32_sdwa v2, v2, v0 dst_sel:DWORD dst_unused:UNUSED_PAD src0_sel:DWORD src1_sel:WORD_1
	v_and_b32_e32 v2, 0x80000000, v2
	v_or3_b32 v60, v3, v2, v1
	buffer_store_dword v60, off, s[0:3], s32 offset:404 ; 4-byte Folded Spill
	buffer_store_dword v61, off, s[0:3], s32 offset:408 ; 4-byte Folded Spill
.LBB232_224:                            ;   in Loop: Header=BB232_10 Depth=1
	s_or_b32 exec_lo, exec_lo, s17
.LBB232_225:                            ;   in Loop: Header=BB232_10 Depth=1
	s_or_b32 exec_lo, exec_lo, s7
.LBB232_226:                            ;   in Loop: Header=BB232_10 Depth=1
	s_or_b32 exec_lo, exec_lo, s6
	s_mov_b32 s6, exec_lo
	v_cmpx_lt_u32_e32 0xffffff, v0
	s_cbranch_execz .LBB232_234
; %bb.227:                              ;   in Loop: Header=BB232_10 Depth=1
	v_mov_b32_e32 v1, 0x80
	v_mov_b32_e32 v84, v61
	buffer_store_dword v84, off, s[0:3], s32 offset:396 ; 4-byte Folded Spill
	buffer_store_dword v85, off, s[0:3], s32 offset:400 ; 4-byte Folded Spill
	v_cmp_ne_u32_sdwa s5, v0, v1 src0_sel:BYTE_3 src1_sel:DWORD
	s_and_saveexec_b32 s7, s5
	s_cbranch_execz .LBB232_233
; %bb.228:                              ;   in Loop: Header=BB232_10 Depth=1
	v_bfe_u32 v2, v0, 24, 7
	v_mov_b32_e32 v86, v61
	s_mov_b32 s17, exec_lo
	buffer_store_dword v86, off, s[0:3], s32 offset:396 ; 4-byte Folded Spill
	buffer_store_dword v87, off, s[0:3], s32 offset:400 ; 4-byte Folded Spill
	v_cmpx_ne_u32_e32 0x7f, v2
	s_cbranch_execz .LBB232_232
; %bb.229:                              ;   in Loop: Header=BB232_10 Depth=1
	v_mov_b32_e32 v1, 7
	s_mov_b32 s18, exec_lo
	v_and_b32_sdwa v60, v0, v1 dst_sel:DWORD dst_unused:UNUSED_PAD src0_sel:BYTE_3 src1_sel:DWORD
	v_lshrrev_b32_e32 v1, 3, v2
	v_cmpx_gt_u32_e32 8, v2
; %bb.230:                              ;   in Loop: Header=BB232_10 Depth=1
	v_ffbh_u32_e32 v1, v60
	v_min_u32_e32 v1, 32, v1
	v_subrev_nc_u32_e32 v2, 28, v1
	v_sub_nc_u32_e32 v1, 29, v1
	v_lshlrev_b64 v[2:3], v2, v[60:61]
	v_and_b32_e32 v60, 7, v2
; %bb.231:                              ;   in Loop: Header=BB232_10 Depth=1
	s_or_b32 exec_lo, exec_lo, s18
	v_mov_b32_e32 v2, 24
	v_lshl_add_u32 v1, v1, 23, 0x3c000000
	v_lshlrev_b32_sdwa v0, v2, v0 dst_sel:DWORD dst_unused:UNUSED_PAD src0_sel:DWORD src1_sel:BYTE_3
	v_lshlrev_b32_e32 v2, 20, v60
	v_and_b32_e32 v0, 0x80000000, v0
	v_or3_b32 v1, v2, v0, v1
	v_mov_b32_e32 v0, v61
	buffer_store_dword v0, off, s[0:3], s32 offset:396 ; 4-byte Folded Spill
	buffer_store_dword v1, off, s[0:3], s32 offset:400 ; 4-byte Folded Spill
.LBB232_232:                            ;   in Loop: Header=BB232_10 Depth=1
	s_or_b32 exec_lo, exec_lo, s17
.LBB232_233:                            ;   in Loop: Header=BB232_10 Depth=1
	s_or_b32 exec_lo, exec_lo, s7
.LBB232_234:                            ;   in Loop: Header=BB232_10 Depth=1
	s_or_b32 exec_lo, exec_lo, s6
	flat_load_dword v0, v[39:40] offset:524
	v_mov_b32_e32 v1, 0
	v_mov_b32_e32 v2, 0
	buffer_store_dword v1, off, s[0:3], s32 offset:420 ; 4-byte Folded Spill
	buffer_store_dword v2, off, s[0:3], s32 offset:424 ; 4-byte Folded Spill
	v_mov_b32_e32 v1, 0
	v_mov_b32_e32 v2, 0
	buffer_store_dword v1, off, s[0:3], s32 offset:444 ; 4-byte Folded Spill
	buffer_store_dword v2, off, s[0:3], s32 offset:448 ; 4-byte Folded Spill
	s_waitcnt vmcnt(0) lgkmcnt(0)
	v_cmp_ne_u16_sdwa s5, v0, v61 src0_sel:BYTE_0 src1_sel:DWORD
	s_and_saveexec_b32 s6, s5
	s_cbranch_execz .LBB232_242
; %bb.235:                              ;   in Loop: Header=BB232_10 Depth=1
	v_bfrev_b32_e32 v1, 1
	v_mov_b32_e32 v2, 0
	buffer_store_dword v1, off, s[0:3], s32 offset:444 ; 4-byte Folded Spill
	buffer_store_dword v2, off, s[0:3], s32 offset:448 ; 4-byte Folded Spill
	v_mov_b32_e32 v1, 0x80
	v_cmp_ne_u16_sdwa s5, v0, v1 src0_sel:BYTE_0 src1_sel:DWORD
	s_and_saveexec_b32 s7, s5
	s_cbranch_execz .LBB232_241
; %bb.236:                              ;   in Loop: Header=BB232_10 Depth=1
	v_mov_b32_e32 v3, 0x7f800001
	v_and_b32_e32 v2, 0x7f, v0
	v_mov_b32_e32 v4, 0
	s_mov_b32 s17, exec_lo
	buffer_store_dword v3, off, s[0:3], s32 offset:444 ; 4-byte Folded Spill
	buffer_store_dword v4, off, s[0:3], s32 offset:448 ; 4-byte Folded Spill
	v_cmpx_ne_u32_e32 0x7f, v2
	s_cbranch_execz .LBB232_240
; %bb.237:                              ;   in Loop: Header=BB232_10 Depth=1
	v_and_b32_e32 v60, 7, v0
	v_lshrrev_b32_e32 v1, 3, v2
	s_mov_b32 s18, exec_lo
	v_cmpx_gt_u32_e32 8, v2
; %bb.238:                              ;   in Loop: Header=BB232_10 Depth=1
	v_ffbh_u32_e32 v1, v60
	v_min_u32_e32 v1, 32, v1
	v_subrev_nc_u32_e32 v2, 28, v1
	v_sub_nc_u32_e32 v1, 29, v1
	v_lshlrev_b64 v[2:3], v2, v[60:61]
	v_and_b32_e32 v60, 7, v2
; %bb.239:                              ;   in Loop: Header=BB232_10 Depth=1
	s_or_b32 exec_lo, exec_lo, s18
	v_lshlrev_b32_e32 v2, 24, v0
	v_lshlrev_b32_e32 v3, 20, v60
	v_lshl_add_u32 v1, v1, 23, 0x3c000000
	v_and_b32_e32 v2, 0x80000000, v2
	v_or3_b32 v60, v3, v2, v1
	buffer_store_dword v60, off, s[0:3], s32 offset:444 ; 4-byte Folded Spill
	buffer_store_dword v61, off, s[0:3], s32 offset:448 ; 4-byte Folded Spill
.LBB232_240:                            ;   in Loop: Header=BB232_10 Depth=1
	s_or_b32 exec_lo, exec_lo, s17
.LBB232_241:                            ;   in Loop: Header=BB232_10 Depth=1
	s_or_b32 exec_lo, exec_lo, s7
.LBB232_242:                            ;   in Loop: Header=BB232_10 Depth=1
	s_or_b32 exec_lo, exec_lo, s6
	v_cmp_ne_u16_sdwa s5, v0, v61 src0_sel:BYTE_1 src1_sel:DWORD
	s_and_saveexec_b32 s6, s5
	s_cbranch_execz .LBB232_250
; %bb.243:                              ;   in Loop: Header=BB232_10 Depth=1
	v_mov_b32_e32 v1, 0x80
	v_mov_b32_e32 v84, v61
	buffer_store_dword v84, off, s[0:3], s32 offset:420 ; 4-byte Folded Spill
	buffer_store_dword v85, off, s[0:3], s32 offset:424 ; 4-byte Folded Spill
	v_cmp_ne_u16_sdwa s5, v0, v1 src0_sel:BYTE_1 src1_sel:DWORD
	s_and_saveexec_b32 s7, s5
	s_cbranch_execz .LBB232_249
; %bb.244:                              ;   in Loop: Header=BB232_10 Depth=1
	v_mov_b32_e32 v1, 0xffff
	v_mov_b32_e32 v86, v61
	s_mov_b32 s17, exec_lo
	buffer_store_dword v86, off, s[0:3], s32 offset:420 ; 4-byte Folded Spill
	buffer_store_dword v87, off, s[0:3], s32 offset:424 ; 4-byte Folded Spill
	v_and_b32_sdwa v1, v1, v0 dst_sel:DWORD dst_unused:UNUSED_PAD src0_sel:DWORD src1_sel:BYTE_1
	v_and_b32_e32 v2, 0x7f, v1
	v_cmpx_ne_u32_e32 0x7f, v2
	s_cbranch_execz .LBB232_248
; %bb.245:                              ;   in Loop: Header=BB232_10 Depth=1
	v_and_b32_e32 v60, 7, v1
	v_lshrrev_b32_e32 v1, 3, v2
	s_mov_b32 s18, exec_lo
	v_cmpx_gt_u32_e32 8, v2
; %bb.246:                              ;   in Loop: Header=BB232_10 Depth=1
	v_ffbh_u32_e32 v1, v60
	v_min_u32_e32 v1, 32, v1
	v_subrev_nc_u32_e32 v2, 28, v1
	v_sub_nc_u32_e32 v1, 29, v1
	v_lshlrev_b64 v[2:3], v2, v[60:61]
	v_and_b32_e32 v60, 7, v2
; %bb.247:                              ;   in Loop: Header=BB232_10 Depth=1
	s_or_b32 exec_lo, exec_lo, s18
	v_lshlrev_b32_e32 v2, 16, v0
	v_lshlrev_b32_e32 v3, 20, v60
	v_lshl_add_u32 v1, v1, 23, 0x3c000000
	v_and_b32_e32 v2, 0x80000000, v2
	v_or3_b32 v2, v3, v2, v1
	v_mov_b32_e32 v1, v61
	buffer_store_dword v1, off, s[0:3], s32 offset:420 ; 4-byte Folded Spill
	buffer_store_dword v2, off, s[0:3], s32 offset:424 ; 4-byte Folded Spill
.LBB232_248:                            ;   in Loop: Header=BB232_10 Depth=1
	s_or_b32 exec_lo, exec_lo, s17
.LBB232_249:                            ;   in Loop: Header=BB232_10 Depth=1
	s_or_b32 exec_lo, exec_lo, s7
.LBB232_250:                            ;   in Loop: Header=BB232_10 Depth=1
	s_or_b32 exec_lo, exec_lo, s6
	v_mov_b32_e32 v2, 0
	v_mov_b32_e32 v3, 0
	;; [unrolled: 1-line block ×3, first 2 shown]
	s_mov_b32 s6, exec_lo
	buffer_store_dword v2, off, s[0:3], s32 offset:428 ; 4-byte Folded Spill
	buffer_store_dword v3, off, s[0:3], s32 offset:432 ; 4-byte Folded Spill
	v_mov_b32_e32 v2, 0
	v_and_b32_sdwa v1, v0, v1 dst_sel:DWORD dst_unused:UNUSED_PAD src0_sel:WORD_1 src1_sel:DWORD
	v_mov_b32_e32 v3, 0
	buffer_store_dword v2, off, s[0:3], s32 offset:436 ; 4-byte Folded Spill
	buffer_store_dword v3, off, s[0:3], s32 offset:440 ; 4-byte Folded Spill
	v_cmpx_ne_u16_e32 0, v1
	s_cbranch_execz .LBB232_258
; %bb.251:                              ;   in Loop: Header=BB232_10 Depth=1
	v_cmp_ne_u16_e64 s5, 0x80, v1
	v_bfrev_b32_e32 v1, 1
	v_mov_b32_e32 v2, 0
	buffer_store_dword v1, off, s[0:3], s32 offset:436 ; 4-byte Folded Spill
	buffer_store_dword v2, off, s[0:3], s32 offset:440 ; 4-byte Folded Spill
	s_and_saveexec_b32 s7, s5
	s_cbranch_execz .LBB232_257
; %bb.252:                              ;   in Loop: Header=BB232_10 Depth=1
	v_mov_b32_e32 v3, 0x7f800001
	v_bfe_u32 v2, v0, 16, 7
	v_mov_b32_e32 v4, 0
	s_mov_b32 s17, exec_lo
	buffer_store_dword v3, off, s[0:3], s32 offset:436 ; 4-byte Folded Spill
	buffer_store_dword v4, off, s[0:3], s32 offset:440 ; 4-byte Folded Spill
	v_cmpx_ne_u32_e32 0x7f, v2
	s_cbranch_execz .LBB232_256
; %bb.253:                              ;   in Loop: Header=BB232_10 Depth=1
	v_mov_b32_e32 v1, 7
	s_mov_b32 s18, exec_lo
	v_and_b32_sdwa v60, v0, v1 dst_sel:DWORD dst_unused:UNUSED_PAD src0_sel:WORD_1 src1_sel:DWORD
	v_lshrrev_b32_e32 v1, 3, v2
	v_cmpx_gt_u32_e32 8, v2
; %bb.254:                              ;   in Loop: Header=BB232_10 Depth=1
	v_ffbh_u32_e32 v1, v60
	v_min_u32_e32 v1, 32, v1
	v_subrev_nc_u32_e32 v2, 28, v1
	v_sub_nc_u32_e32 v1, 29, v1
	v_lshlrev_b64 v[2:3], v2, v[60:61]
	v_and_b32_e32 v60, 7, v2
; %bb.255:                              ;   in Loop: Header=BB232_10 Depth=1
	s_or_b32 exec_lo, exec_lo, s18
	v_mov_b32_e32 v2, 24
	v_lshlrev_b32_e32 v3, 20, v60
	v_lshl_add_u32 v1, v1, 23, 0x3c000000
	v_lshlrev_b32_sdwa v2, v2, v0 dst_sel:DWORD dst_unused:UNUSED_PAD src0_sel:DWORD src1_sel:WORD_1
	v_and_b32_e32 v2, 0x80000000, v2
	v_or3_b32 v60, v3, v2, v1
	buffer_store_dword v60, off, s[0:3], s32 offset:436 ; 4-byte Folded Spill
	buffer_store_dword v61, off, s[0:3], s32 offset:440 ; 4-byte Folded Spill
.LBB232_256:                            ;   in Loop: Header=BB232_10 Depth=1
	s_or_b32 exec_lo, exec_lo, s17
.LBB232_257:                            ;   in Loop: Header=BB232_10 Depth=1
	s_or_b32 exec_lo, exec_lo, s7
.LBB232_258:                            ;   in Loop: Header=BB232_10 Depth=1
	s_or_b32 exec_lo, exec_lo, s6
	s_mov_b32 s6, exec_lo
	v_cmpx_lt_u32_e32 0xffffff, v0
	s_cbranch_execz .LBB232_266
; %bb.259:                              ;   in Loop: Header=BB232_10 Depth=1
	v_mov_b32_e32 v1, 0x80
	v_mov_b32_e32 v84, v61
	buffer_store_dword v84, off, s[0:3], s32 offset:428 ; 4-byte Folded Spill
	buffer_store_dword v85, off, s[0:3], s32 offset:432 ; 4-byte Folded Spill
	v_cmp_ne_u32_sdwa s5, v0, v1 src0_sel:BYTE_3 src1_sel:DWORD
	s_and_saveexec_b32 s7, s5
	s_cbranch_execz .LBB232_265
; %bb.260:                              ;   in Loop: Header=BB232_10 Depth=1
	v_bfe_u32 v2, v0, 24, 7
	v_mov_b32_e32 v86, v61
	s_mov_b32 s17, exec_lo
	buffer_store_dword v86, off, s[0:3], s32 offset:428 ; 4-byte Folded Spill
	buffer_store_dword v87, off, s[0:3], s32 offset:432 ; 4-byte Folded Spill
	v_cmpx_ne_u32_e32 0x7f, v2
	s_cbranch_execz .LBB232_264
; %bb.261:                              ;   in Loop: Header=BB232_10 Depth=1
	v_mov_b32_e32 v1, 7
	s_mov_b32 s18, exec_lo
	v_and_b32_sdwa v60, v0, v1 dst_sel:DWORD dst_unused:UNUSED_PAD src0_sel:BYTE_3 src1_sel:DWORD
	v_lshrrev_b32_e32 v1, 3, v2
	v_cmpx_gt_u32_e32 8, v2
; %bb.262:                              ;   in Loop: Header=BB232_10 Depth=1
	v_ffbh_u32_e32 v1, v60
	v_min_u32_e32 v1, 32, v1
	v_subrev_nc_u32_e32 v2, 28, v1
	v_sub_nc_u32_e32 v1, 29, v1
	v_lshlrev_b64 v[2:3], v2, v[60:61]
	v_and_b32_e32 v60, 7, v2
; %bb.263:                              ;   in Loop: Header=BB232_10 Depth=1
	s_or_b32 exec_lo, exec_lo, s18
	v_mov_b32_e32 v2, 24
	v_lshl_add_u32 v1, v1, 23, 0x3c000000
	v_lshlrev_b32_sdwa v0, v2, v0 dst_sel:DWORD dst_unused:UNUSED_PAD src0_sel:DWORD src1_sel:BYTE_3
	v_lshlrev_b32_e32 v2, 20, v60
	v_and_b32_e32 v0, 0x80000000, v0
	v_or3_b32 v1, v2, v0, v1
	v_mov_b32_e32 v0, v61
	buffer_store_dword v0, off, s[0:3], s32 offset:428 ; 4-byte Folded Spill
	buffer_store_dword v1, off, s[0:3], s32 offset:432 ; 4-byte Folded Spill
.LBB232_264:                            ;   in Loop: Header=BB232_10 Depth=1
	s_or_b32 exec_lo, exec_lo, s17
.LBB232_265:                            ;   in Loop: Header=BB232_10 Depth=1
	s_or_b32 exec_lo, exec_lo, s7
.LBB232_266:                            ;   in Loop: Header=BB232_10 Depth=1
	s_or_b32 exec_lo, exec_lo, s6
	flat_load_dword v0, v[39:40] offset:1024
	v_mov_b32_e32 v1, 0
	v_mov_b32_e32 v2, 0
	buffer_store_dword v1, off, s[0:3], s32 offset:452 ; 4-byte Folded Spill
	buffer_store_dword v2, off, s[0:3], s32 offset:456 ; 4-byte Folded Spill
	v_mov_b32_e32 v1, 0
	v_mov_b32_e32 v2, 0
	buffer_store_dword v1, off, s[0:3], s32 offset:476 ; 4-byte Folded Spill
	buffer_store_dword v2, off, s[0:3], s32 offset:480 ; 4-byte Folded Spill
	s_waitcnt vmcnt(0) lgkmcnt(0)
	v_cmp_ne_u16_sdwa s5, v0, v61 src0_sel:BYTE_0 src1_sel:DWORD
	s_and_saveexec_b32 s6, s5
	s_cbranch_execz .LBB232_274
; %bb.267:                              ;   in Loop: Header=BB232_10 Depth=1
	v_bfrev_b32_e32 v1, 1
	v_mov_b32_e32 v2, 0
	buffer_store_dword v1, off, s[0:3], s32 offset:476 ; 4-byte Folded Spill
	buffer_store_dword v2, off, s[0:3], s32 offset:480 ; 4-byte Folded Spill
	v_mov_b32_e32 v1, 0x80
	v_cmp_ne_u16_sdwa s5, v0, v1 src0_sel:BYTE_0 src1_sel:DWORD
	s_and_saveexec_b32 s7, s5
	s_cbranch_execz .LBB232_273
; %bb.268:                              ;   in Loop: Header=BB232_10 Depth=1
	v_mov_b32_e32 v3, 0x7f800001
	v_and_b32_e32 v2, 0x7f, v0
	v_mov_b32_e32 v4, 0
	s_mov_b32 s17, exec_lo
	buffer_store_dword v3, off, s[0:3], s32 offset:476 ; 4-byte Folded Spill
	buffer_store_dword v4, off, s[0:3], s32 offset:480 ; 4-byte Folded Spill
	v_cmpx_ne_u32_e32 0x7f, v2
	s_cbranch_execz .LBB232_272
; %bb.269:                              ;   in Loop: Header=BB232_10 Depth=1
	v_and_b32_e32 v60, 7, v0
	v_lshrrev_b32_e32 v1, 3, v2
	s_mov_b32 s18, exec_lo
	v_cmpx_gt_u32_e32 8, v2
; %bb.270:                              ;   in Loop: Header=BB232_10 Depth=1
	v_ffbh_u32_e32 v1, v60
	v_min_u32_e32 v1, 32, v1
	v_subrev_nc_u32_e32 v2, 28, v1
	v_sub_nc_u32_e32 v1, 29, v1
	v_lshlrev_b64 v[2:3], v2, v[60:61]
	v_and_b32_e32 v60, 7, v2
; %bb.271:                              ;   in Loop: Header=BB232_10 Depth=1
	s_or_b32 exec_lo, exec_lo, s18
	v_lshlrev_b32_e32 v2, 24, v0
	v_lshlrev_b32_e32 v3, 20, v60
	v_lshl_add_u32 v1, v1, 23, 0x3c000000
	v_and_b32_e32 v2, 0x80000000, v2
	v_or3_b32 v60, v3, v2, v1
	buffer_store_dword v60, off, s[0:3], s32 offset:476 ; 4-byte Folded Spill
	buffer_store_dword v61, off, s[0:3], s32 offset:480 ; 4-byte Folded Spill
.LBB232_272:                            ;   in Loop: Header=BB232_10 Depth=1
	s_or_b32 exec_lo, exec_lo, s17
.LBB232_273:                            ;   in Loop: Header=BB232_10 Depth=1
	s_or_b32 exec_lo, exec_lo, s7
.LBB232_274:                            ;   in Loop: Header=BB232_10 Depth=1
	s_or_b32 exec_lo, exec_lo, s6
	v_cmp_ne_u16_sdwa s5, v0, v61 src0_sel:BYTE_1 src1_sel:DWORD
	s_and_saveexec_b32 s6, s5
	s_cbranch_execz .LBB232_282
; %bb.275:                              ;   in Loop: Header=BB232_10 Depth=1
	v_mov_b32_e32 v1, 0x80
	v_mov_b32_e32 v84, v61
	buffer_store_dword v84, off, s[0:3], s32 offset:452 ; 4-byte Folded Spill
	buffer_store_dword v85, off, s[0:3], s32 offset:456 ; 4-byte Folded Spill
	v_cmp_ne_u16_sdwa s5, v0, v1 src0_sel:BYTE_1 src1_sel:DWORD
	s_and_saveexec_b32 s7, s5
	s_cbranch_execz .LBB232_281
; %bb.276:                              ;   in Loop: Header=BB232_10 Depth=1
	v_mov_b32_e32 v1, 0xffff
	v_mov_b32_e32 v86, v61
	s_mov_b32 s17, exec_lo
	buffer_store_dword v86, off, s[0:3], s32 offset:452 ; 4-byte Folded Spill
	buffer_store_dword v87, off, s[0:3], s32 offset:456 ; 4-byte Folded Spill
	v_and_b32_sdwa v1, v1, v0 dst_sel:DWORD dst_unused:UNUSED_PAD src0_sel:DWORD src1_sel:BYTE_1
	v_and_b32_e32 v2, 0x7f, v1
	v_cmpx_ne_u32_e32 0x7f, v2
	s_cbranch_execz .LBB232_280
; %bb.277:                              ;   in Loop: Header=BB232_10 Depth=1
	v_and_b32_e32 v60, 7, v1
	v_lshrrev_b32_e32 v1, 3, v2
	s_mov_b32 s18, exec_lo
	v_cmpx_gt_u32_e32 8, v2
; %bb.278:                              ;   in Loop: Header=BB232_10 Depth=1
	v_ffbh_u32_e32 v1, v60
	v_min_u32_e32 v1, 32, v1
	v_subrev_nc_u32_e32 v2, 28, v1
	v_sub_nc_u32_e32 v1, 29, v1
	v_lshlrev_b64 v[2:3], v2, v[60:61]
	v_and_b32_e32 v60, 7, v2
; %bb.279:                              ;   in Loop: Header=BB232_10 Depth=1
	s_or_b32 exec_lo, exec_lo, s18
	v_lshlrev_b32_e32 v2, 16, v0
	v_lshlrev_b32_e32 v3, 20, v60
	v_lshl_add_u32 v1, v1, 23, 0x3c000000
	v_and_b32_e32 v2, 0x80000000, v2
	v_or3_b32 v2, v3, v2, v1
	v_mov_b32_e32 v1, v61
	buffer_store_dword v1, off, s[0:3], s32 offset:452 ; 4-byte Folded Spill
	buffer_store_dword v2, off, s[0:3], s32 offset:456 ; 4-byte Folded Spill
.LBB232_280:                            ;   in Loop: Header=BB232_10 Depth=1
	s_or_b32 exec_lo, exec_lo, s17
.LBB232_281:                            ;   in Loop: Header=BB232_10 Depth=1
	s_or_b32 exec_lo, exec_lo, s7
.LBB232_282:                            ;   in Loop: Header=BB232_10 Depth=1
	s_or_b32 exec_lo, exec_lo, s6
	v_mov_b32_e32 v2, 0
	v_mov_b32_e32 v3, 0
	;; [unrolled: 1-line block ×3, first 2 shown]
	s_mov_b32 s6, exec_lo
	buffer_store_dword v2, off, s[0:3], s32 offset:460 ; 4-byte Folded Spill
	buffer_store_dword v3, off, s[0:3], s32 offset:464 ; 4-byte Folded Spill
	v_mov_b32_e32 v2, 0
	v_and_b32_sdwa v1, v0, v1 dst_sel:DWORD dst_unused:UNUSED_PAD src0_sel:WORD_1 src1_sel:DWORD
	v_mov_b32_e32 v3, 0
	buffer_store_dword v2, off, s[0:3], s32 offset:468 ; 4-byte Folded Spill
	buffer_store_dword v3, off, s[0:3], s32 offset:472 ; 4-byte Folded Spill
	v_cmpx_ne_u16_e32 0, v1
	s_cbranch_execz .LBB232_290
; %bb.283:                              ;   in Loop: Header=BB232_10 Depth=1
	v_cmp_ne_u16_e64 s5, 0x80, v1
	v_bfrev_b32_e32 v1, 1
	v_mov_b32_e32 v2, 0
	buffer_store_dword v1, off, s[0:3], s32 offset:468 ; 4-byte Folded Spill
	buffer_store_dword v2, off, s[0:3], s32 offset:472 ; 4-byte Folded Spill
	s_and_saveexec_b32 s7, s5
	s_cbranch_execz .LBB232_289
; %bb.284:                              ;   in Loop: Header=BB232_10 Depth=1
	v_mov_b32_e32 v3, 0x7f800001
	v_bfe_u32 v2, v0, 16, 7
	v_mov_b32_e32 v4, 0
	s_mov_b32 s17, exec_lo
	buffer_store_dword v3, off, s[0:3], s32 offset:468 ; 4-byte Folded Spill
	buffer_store_dword v4, off, s[0:3], s32 offset:472 ; 4-byte Folded Spill
	v_cmpx_ne_u32_e32 0x7f, v2
	s_cbranch_execz .LBB232_288
; %bb.285:                              ;   in Loop: Header=BB232_10 Depth=1
	v_mov_b32_e32 v1, 7
	s_mov_b32 s18, exec_lo
	v_and_b32_sdwa v60, v0, v1 dst_sel:DWORD dst_unused:UNUSED_PAD src0_sel:WORD_1 src1_sel:DWORD
	v_lshrrev_b32_e32 v1, 3, v2
	v_cmpx_gt_u32_e32 8, v2
; %bb.286:                              ;   in Loop: Header=BB232_10 Depth=1
	v_ffbh_u32_e32 v1, v60
	v_min_u32_e32 v1, 32, v1
	v_subrev_nc_u32_e32 v2, 28, v1
	v_sub_nc_u32_e32 v1, 29, v1
	v_lshlrev_b64 v[2:3], v2, v[60:61]
	v_and_b32_e32 v60, 7, v2
; %bb.287:                              ;   in Loop: Header=BB232_10 Depth=1
	s_or_b32 exec_lo, exec_lo, s18
	v_mov_b32_e32 v2, 24
	v_lshlrev_b32_e32 v3, 20, v60
	v_lshl_add_u32 v1, v1, 23, 0x3c000000
	v_lshlrev_b32_sdwa v2, v2, v0 dst_sel:DWORD dst_unused:UNUSED_PAD src0_sel:DWORD src1_sel:WORD_1
	v_and_b32_e32 v2, 0x80000000, v2
	v_or3_b32 v60, v3, v2, v1
	buffer_store_dword v60, off, s[0:3], s32 offset:468 ; 4-byte Folded Spill
	buffer_store_dword v61, off, s[0:3], s32 offset:472 ; 4-byte Folded Spill
.LBB232_288:                            ;   in Loop: Header=BB232_10 Depth=1
	s_or_b32 exec_lo, exec_lo, s17
.LBB232_289:                            ;   in Loop: Header=BB232_10 Depth=1
	s_or_b32 exec_lo, exec_lo, s7
.LBB232_290:                            ;   in Loop: Header=BB232_10 Depth=1
	s_or_b32 exec_lo, exec_lo, s6
	s_mov_b32 s6, exec_lo
	v_cmpx_lt_u32_e32 0xffffff, v0
	s_cbranch_execz .LBB232_298
; %bb.291:                              ;   in Loop: Header=BB232_10 Depth=1
	v_mov_b32_e32 v1, 0x80
	v_mov_b32_e32 v84, v61
	buffer_store_dword v84, off, s[0:3], s32 offset:460 ; 4-byte Folded Spill
	buffer_store_dword v85, off, s[0:3], s32 offset:464 ; 4-byte Folded Spill
	v_cmp_ne_u32_sdwa s5, v0, v1 src0_sel:BYTE_3 src1_sel:DWORD
	s_and_saveexec_b32 s7, s5
	s_cbranch_execz .LBB232_297
; %bb.292:                              ;   in Loop: Header=BB232_10 Depth=1
	v_bfe_u32 v2, v0, 24, 7
	v_mov_b32_e32 v86, v61
	s_mov_b32 s17, exec_lo
	buffer_store_dword v86, off, s[0:3], s32 offset:460 ; 4-byte Folded Spill
	buffer_store_dword v87, off, s[0:3], s32 offset:464 ; 4-byte Folded Spill
	v_cmpx_ne_u32_e32 0x7f, v2
	s_cbranch_execz .LBB232_296
; %bb.293:                              ;   in Loop: Header=BB232_10 Depth=1
	v_mov_b32_e32 v1, 7
	s_mov_b32 s18, exec_lo
	v_and_b32_sdwa v60, v0, v1 dst_sel:DWORD dst_unused:UNUSED_PAD src0_sel:BYTE_3 src1_sel:DWORD
	v_lshrrev_b32_e32 v1, 3, v2
	v_cmpx_gt_u32_e32 8, v2
; %bb.294:                              ;   in Loop: Header=BB232_10 Depth=1
	v_ffbh_u32_e32 v1, v60
	v_min_u32_e32 v1, 32, v1
	v_subrev_nc_u32_e32 v2, 28, v1
	v_sub_nc_u32_e32 v1, 29, v1
	v_lshlrev_b64 v[2:3], v2, v[60:61]
	v_and_b32_e32 v60, 7, v2
; %bb.295:                              ;   in Loop: Header=BB232_10 Depth=1
	s_or_b32 exec_lo, exec_lo, s18
	v_mov_b32_e32 v2, 24
	v_lshl_add_u32 v1, v1, 23, 0x3c000000
	v_lshlrev_b32_sdwa v0, v2, v0 dst_sel:DWORD dst_unused:UNUSED_PAD src0_sel:DWORD src1_sel:BYTE_3
	v_lshlrev_b32_e32 v2, 20, v60
	v_and_b32_e32 v0, 0x80000000, v0
	v_or3_b32 v1, v2, v0, v1
	v_mov_b32_e32 v0, v61
	buffer_store_dword v0, off, s[0:3], s32 offset:460 ; 4-byte Folded Spill
	buffer_store_dword v1, off, s[0:3], s32 offset:464 ; 4-byte Folded Spill
.LBB232_296:                            ;   in Loop: Header=BB232_10 Depth=1
	s_or_b32 exec_lo, exec_lo, s17
.LBB232_297:                            ;   in Loop: Header=BB232_10 Depth=1
	s_or_b32 exec_lo, exec_lo, s7
.LBB232_298:                            ;   in Loop: Header=BB232_10 Depth=1
	s_or_b32 exec_lo, exec_lo, s6
	flat_load_dword v0, v[39:40] offset:1028
	v_mov_b32_e32 v1, 0
	v_mov_b32_e32 v2, 0
	buffer_store_dword v1, off, s[0:3], s32 offset:484 ; 4-byte Folded Spill
	buffer_store_dword v2, off, s[0:3], s32 offset:488 ; 4-byte Folded Spill
	v_mov_b32_e32 v1, 0
	v_mov_b32_e32 v2, 0
	buffer_store_dword v1, off, s[0:3], s32 offset:508 ; 4-byte Folded Spill
	buffer_store_dword v2, off, s[0:3], s32 offset:512 ; 4-byte Folded Spill
	s_waitcnt vmcnt(0) lgkmcnt(0)
	v_cmp_ne_u16_sdwa s5, v0, v61 src0_sel:BYTE_0 src1_sel:DWORD
	s_and_saveexec_b32 s6, s5
	s_cbranch_execz .LBB232_306
; %bb.299:                              ;   in Loop: Header=BB232_10 Depth=1
	v_bfrev_b32_e32 v1, 1
	v_mov_b32_e32 v2, 0
	buffer_store_dword v1, off, s[0:3], s32 offset:508 ; 4-byte Folded Spill
	buffer_store_dword v2, off, s[0:3], s32 offset:512 ; 4-byte Folded Spill
	v_mov_b32_e32 v1, 0x80
	v_cmp_ne_u16_sdwa s5, v0, v1 src0_sel:BYTE_0 src1_sel:DWORD
	s_and_saveexec_b32 s7, s5
	s_cbranch_execz .LBB232_305
; %bb.300:                              ;   in Loop: Header=BB232_10 Depth=1
	v_mov_b32_e32 v3, 0x7f800001
	v_and_b32_e32 v2, 0x7f, v0
	v_mov_b32_e32 v4, 0
	s_mov_b32 s17, exec_lo
	buffer_store_dword v3, off, s[0:3], s32 offset:508 ; 4-byte Folded Spill
	buffer_store_dword v4, off, s[0:3], s32 offset:512 ; 4-byte Folded Spill
	v_cmpx_ne_u32_e32 0x7f, v2
	s_cbranch_execz .LBB232_304
; %bb.301:                              ;   in Loop: Header=BB232_10 Depth=1
	v_and_b32_e32 v60, 7, v0
	v_lshrrev_b32_e32 v1, 3, v2
	s_mov_b32 s18, exec_lo
	v_cmpx_gt_u32_e32 8, v2
; %bb.302:                              ;   in Loop: Header=BB232_10 Depth=1
	v_ffbh_u32_e32 v1, v60
	v_min_u32_e32 v1, 32, v1
	v_subrev_nc_u32_e32 v2, 28, v1
	v_sub_nc_u32_e32 v1, 29, v1
	v_lshlrev_b64 v[2:3], v2, v[60:61]
	v_and_b32_e32 v60, 7, v2
; %bb.303:                              ;   in Loop: Header=BB232_10 Depth=1
	s_or_b32 exec_lo, exec_lo, s18
	v_lshlrev_b32_e32 v2, 24, v0
	v_lshlrev_b32_e32 v3, 20, v60
	v_lshl_add_u32 v1, v1, 23, 0x3c000000
	v_and_b32_e32 v2, 0x80000000, v2
	v_or3_b32 v60, v3, v2, v1
	buffer_store_dword v60, off, s[0:3], s32 offset:508 ; 4-byte Folded Spill
	buffer_store_dword v61, off, s[0:3], s32 offset:512 ; 4-byte Folded Spill
.LBB232_304:                            ;   in Loop: Header=BB232_10 Depth=1
	s_or_b32 exec_lo, exec_lo, s17
.LBB232_305:                            ;   in Loop: Header=BB232_10 Depth=1
	s_or_b32 exec_lo, exec_lo, s7
.LBB232_306:                            ;   in Loop: Header=BB232_10 Depth=1
	s_or_b32 exec_lo, exec_lo, s6
	v_cmp_ne_u16_sdwa s5, v0, v61 src0_sel:BYTE_1 src1_sel:DWORD
	s_and_saveexec_b32 s6, s5
	s_cbranch_execz .LBB232_314
; %bb.307:                              ;   in Loop: Header=BB232_10 Depth=1
	v_mov_b32_e32 v1, 0x80
	v_mov_b32_e32 v84, v61
	buffer_store_dword v84, off, s[0:3], s32 offset:484 ; 4-byte Folded Spill
	buffer_store_dword v85, off, s[0:3], s32 offset:488 ; 4-byte Folded Spill
	v_cmp_ne_u16_sdwa s5, v0, v1 src0_sel:BYTE_1 src1_sel:DWORD
	s_and_saveexec_b32 s7, s5
	s_cbranch_execz .LBB232_313
; %bb.308:                              ;   in Loop: Header=BB232_10 Depth=1
	v_mov_b32_e32 v1, 0xffff
	v_mov_b32_e32 v86, v61
	s_mov_b32 s17, exec_lo
	buffer_store_dword v86, off, s[0:3], s32 offset:484 ; 4-byte Folded Spill
	buffer_store_dword v87, off, s[0:3], s32 offset:488 ; 4-byte Folded Spill
	v_and_b32_sdwa v1, v1, v0 dst_sel:DWORD dst_unused:UNUSED_PAD src0_sel:DWORD src1_sel:BYTE_1
	v_and_b32_e32 v2, 0x7f, v1
	v_cmpx_ne_u32_e32 0x7f, v2
	s_cbranch_execz .LBB232_312
; %bb.309:                              ;   in Loop: Header=BB232_10 Depth=1
	v_and_b32_e32 v60, 7, v1
	v_lshrrev_b32_e32 v1, 3, v2
	s_mov_b32 s18, exec_lo
	v_cmpx_gt_u32_e32 8, v2
; %bb.310:                              ;   in Loop: Header=BB232_10 Depth=1
	v_ffbh_u32_e32 v1, v60
	v_min_u32_e32 v1, 32, v1
	v_subrev_nc_u32_e32 v2, 28, v1
	v_sub_nc_u32_e32 v1, 29, v1
	v_lshlrev_b64 v[2:3], v2, v[60:61]
	v_and_b32_e32 v60, 7, v2
; %bb.311:                              ;   in Loop: Header=BB232_10 Depth=1
	s_or_b32 exec_lo, exec_lo, s18
	v_lshlrev_b32_e32 v2, 16, v0
	v_lshlrev_b32_e32 v3, 20, v60
	v_lshl_add_u32 v1, v1, 23, 0x3c000000
	v_and_b32_e32 v2, 0x80000000, v2
	v_or3_b32 v2, v3, v2, v1
	v_mov_b32_e32 v1, v61
	buffer_store_dword v1, off, s[0:3], s32 offset:484 ; 4-byte Folded Spill
	buffer_store_dword v2, off, s[0:3], s32 offset:488 ; 4-byte Folded Spill
.LBB232_312:                            ;   in Loop: Header=BB232_10 Depth=1
	s_or_b32 exec_lo, exec_lo, s17
.LBB232_313:                            ;   in Loop: Header=BB232_10 Depth=1
	s_or_b32 exec_lo, exec_lo, s7
.LBB232_314:                            ;   in Loop: Header=BB232_10 Depth=1
	s_or_b32 exec_lo, exec_lo, s6
	v_mov_b32_e32 v2, 0
	v_mov_b32_e32 v3, 0
	;; [unrolled: 1-line block ×3, first 2 shown]
	s_mov_b32 s6, exec_lo
	buffer_store_dword v2, off, s[0:3], s32 offset:492 ; 4-byte Folded Spill
	buffer_store_dword v3, off, s[0:3], s32 offset:496 ; 4-byte Folded Spill
	v_mov_b32_e32 v2, 0
	v_and_b32_sdwa v1, v0, v1 dst_sel:DWORD dst_unused:UNUSED_PAD src0_sel:WORD_1 src1_sel:DWORD
	v_mov_b32_e32 v3, 0
	buffer_store_dword v2, off, s[0:3], s32 offset:500 ; 4-byte Folded Spill
	buffer_store_dword v3, off, s[0:3], s32 offset:504 ; 4-byte Folded Spill
	v_cmpx_ne_u16_e32 0, v1
	s_cbranch_execz .LBB232_322
; %bb.315:                              ;   in Loop: Header=BB232_10 Depth=1
	v_cmp_ne_u16_e64 s5, 0x80, v1
	v_bfrev_b32_e32 v1, 1
	v_mov_b32_e32 v2, 0
	buffer_store_dword v1, off, s[0:3], s32 offset:500 ; 4-byte Folded Spill
	buffer_store_dword v2, off, s[0:3], s32 offset:504 ; 4-byte Folded Spill
	s_and_saveexec_b32 s7, s5
	s_cbranch_execz .LBB232_321
; %bb.316:                              ;   in Loop: Header=BB232_10 Depth=1
	v_mov_b32_e32 v3, 0x7f800001
	v_bfe_u32 v2, v0, 16, 7
	v_mov_b32_e32 v4, 0
	s_mov_b32 s17, exec_lo
	buffer_store_dword v3, off, s[0:3], s32 offset:500 ; 4-byte Folded Spill
	buffer_store_dword v4, off, s[0:3], s32 offset:504 ; 4-byte Folded Spill
	v_cmpx_ne_u32_e32 0x7f, v2
	s_cbranch_execz .LBB232_320
; %bb.317:                              ;   in Loop: Header=BB232_10 Depth=1
	v_mov_b32_e32 v1, 7
	s_mov_b32 s18, exec_lo
	v_and_b32_sdwa v60, v0, v1 dst_sel:DWORD dst_unused:UNUSED_PAD src0_sel:WORD_1 src1_sel:DWORD
	v_lshrrev_b32_e32 v1, 3, v2
	v_cmpx_gt_u32_e32 8, v2
; %bb.318:                              ;   in Loop: Header=BB232_10 Depth=1
	v_ffbh_u32_e32 v1, v60
	v_min_u32_e32 v1, 32, v1
	v_subrev_nc_u32_e32 v2, 28, v1
	v_sub_nc_u32_e32 v1, 29, v1
	v_lshlrev_b64 v[2:3], v2, v[60:61]
	v_and_b32_e32 v60, 7, v2
; %bb.319:                              ;   in Loop: Header=BB232_10 Depth=1
	s_or_b32 exec_lo, exec_lo, s18
	v_mov_b32_e32 v2, 24
	v_lshlrev_b32_e32 v3, 20, v60
	v_lshl_add_u32 v1, v1, 23, 0x3c000000
	v_lshlrev_b32_sdwa v2, v2, v0 dst_sel:DWORD dst_unused:UNUSED_PAD src0_sel:DWORD src1_sel:WORD_1
	v_and_b32_e32 v2, 0x80000000, v2
	v_or3_b32 v60, v3, v2, v1
	buffer_store_dword v60, off, s[0:3], s32 offset:500 ; 4-byte Folded Spill
	buffer_store_dword v61, off, s[0:3], s32 offset:504 ; 4-byte Folded Spill
.LBB232_320:                            ;   in Loop: Header=BB232_10 Depth=1
	s_or_b32 exec_lo, exec_lo, s17
.LBB232_321:                            ;   in Loop: Header=BB232_10 Depth=1
	s_or_b32 exec_lo, exec_lo, s7
.LBB232_322:                            ;   in Loop: Header=BB232_10 Depth=1
	s_or_b32 exec_lo, exec_lo, s6
	s_mov_b32 s6, exec_lo
	v_cmpx_lt_u32_e32 0xffffff, v0
	s_cbranch_execz .LBB232_330
; %bb.323:                              ;   in Loop: Header=BB232_10 Depth=1
	v_mov_b32_e32 v1, 0x80
	v_mov_b32_e32 v84, v61
	buffer_store_dword v84, off, s[0:3], s32 offset:492 ; 4-byte Folded Spill
	buffer_store_dword v85, off, s[0:3], s32 offset:496 ; 4-byte Folded Spill
	v_cmp_ne_u32_sdwa s5, v0, v1 src0_sel:BYTE_3 src1_sel:DWORD
	s_and_saveexec_b32 s7, s5
	s_cbranch_execz .LBB232_329
; %bb.324:                              ;   in Loop: Header=BB232_10 Depth=1
	v_bfe_u32 v2, v0, 24, 7
	v_mov_b32_e32 v86, v61
	s_mov_b32 s17, exec_lo
	buffer_store_dword v86, off, s[0:3], s32 offset:492 ; 4-byte Folded Spill
	buffer_store_dword v87, off, s[0:3], s32 offset:496 ; 4-byte Folded Spill
	v_cmpx_ne_u32_e32 0x7f, v2
	s_cbranch_execz .LBB232_328
; %bb.325:                              ;   in Loop: Header=BB232_10 Depth=1
	v_mov_b32_e32 v1, 7
	s_mov_b32 s18, exec_lo
	v_and_b32_sdwa v60, v0, v1 dst_sel:DWORD dst_unused:UNUSED_PAD src0_sel:BYTE_3 src1_sel:DWORD
	v_lshrrev_b32_e32 v1, 3, v2
	v_cmpx_gt_u32_e32 8, v2
; %bb.326:                              ;   in Loop: Header=BB232_10 Depth=1
	v_ffbh_u32_e32 v1, v60
	v_min_u32_e32 v1, 32, v1
	v_subrev_nc_u32_e32 v2, 28, v1
	v_sub_nc_u32_e32 v1, 29, v1
	v_lshlrev_b64 v[2:3], v2, v[60:61]
	v_and_b32_e32 v60, 7, v2
; %bb.327:                              ;   in Loop: Header=BB232_10 Depth=1
	s_or_b32 exec_lo, exec_lo, s18
	v_mov_b32_e32 v2, 24
	v_lshl_add_u32 v1, v1, 23, 0x3c000000
	v_lshlrev_b32_sdwa v0, v2, v0 dst_sel:DWORD dst_unused:UNUSED_PAD src0_sel:DWORD src1_sel:BYTE_3
	v_lshlrev_b32_e32 v2, 20, v60
	v_and_b32_e32 v0, 0x80000000, v0
	v_or3_b32 v1, v2, v0, v1
	v_mov_b32_e32 v0, v61
	buffer_store_dword v0, off, s[0:3], s32 offset:492 ; 4-byte Folded Spill
	buffer_store_dword v1, off, s[0:3], s32 offset:496 ; 4-byte Folded Spill
.LBB232_328:                            ;   in Loop: Header=BB232_10 Depth=1
	s_or_b32 exec_lo, exec_lo, s17
.LBB232_329:                            ;   in Loop: Header=BB232_10 Depth=1
	s_or_b32 exec_lo, exec_lo, s7
.LBB232_330:                            ;   in Loop: Header=BB232_10 Depth=1
	s_or_b32 exec_lo, exec_lo, s6
	flat_load_dword v0, v[39:40] offset:1032
	v_mov_b32_e32 v1, 0
	v_mov_b32_e32 v2, 0
	buffer_store_dword v1, off, s[0:3], s32 offset:516 ; 4-byte Folded Spill
	buffer_store_dword v2, off, s[0:3], s32 offset:520 ; 4-byte Folded Spill
	v_mov_b32_e32 v1, 0
	v_mov_b32_e32 v2, 0
	buffer_store_dword v1, off, s[0:3], s32 offset:540 ; 4-byte Folded Spill
	buffer_store_dword v2, off, s[0:3], s32 offset:544 ; 4-byte Folded Spill
	s_waitcnt vmcnt(0) lgkmcnt(0)
	v_cmp_ne_u16_sdwa s5, v0, v61 src0_sel:BYTE_0 src1_sel:DWORD
	s_and_saveexec_b32 s6, s5
	s_cbranch_execz .LBB232_338
; %bb.331:                              ;   in Loop: Header=BB232_10 Depth=1
	v_bfrev_b32_e32 v1, 1
	v_mov_b32_e32 v2, 0
	buffer_store_dword v1, off, s[0:3], s32 offset:540 ; 4-byte Folded Spill
	buffer_store_dword v2, off, s[0:3], s32 offset:544 ; 4-byte Folded Spill
	v_mov_b32_e32 v1, 0x80
	v_cmp_ne_u16_sdwa s5, v0, v1 src0_sel:BYTE_0 src1_sel:DWORD
	s_and_saveexec_b32 s7, s5
	s_cbranch_execz .LBB232_337
; %bb.332:                              ;   in Loop: Header=BB232_10 Depth=1
	v_mov_b32_e32 v3, 0x7f800001
	v_and_b32_e32 v2, 0x7f, v0
	v_mov_b32_e32 v4, 0
	s_mov_b32 s17, exec_lo
	buffer_store_dword v3, off, s[0:3], s32 offset:540 ; 4-byte Folded Spill
	buffer_store_dword v4, off, s[0:3], s32 offset:544 ; 4-byte Folded Spill
	v_cmpx_ne_u32_e32 0x7f, v2
	s_cbranch_execz .LBB232_336
; %bb.333:                              ;   in Loop: Header=BB232_10 Depth=1
	v_and_b32_e32 v60, 7, v0
	v_lshrrev_b32_e32 v1, 3, v2
	s_mov_b32 s18, exec_lo
	v_cmpx_gt_u32_e32 8, v2
; %bb.334:                              ;   in Loop: Header=BB232_10 Depth=1
	v_ffbh_u32_e32 v1, v60
	v_min_u32_e32 v1, 32, v1
	v_subrev_nc_u32_e32 v2, 28, v1
	v_sub_nc_u32_e32 v1, 29, v1
	v_lshlrev_b64 v[2:3], v2, v[60:61]
	v_and_b32_e32 v60, 7, v2
; %bb.335:                              ;   in Loop: Header=BB232_10 Depth=1
	s_or_b32 exec_lo, exec_lo, s18
	v_lshlrev_b32_e32 v2, 24, v0
	v_lshlrev_b32_e32 v3, 20, v60
	v_lshl_add_u32 v1, v1, 23, 0x3c000000
	v_and_b32_e32 v2, 0x80000000, v2
	v_or3_b32 v60, v3, v2, v1
	buffer_store_dword v60, off, s[0:3], s32 offset:540 ; 4-byte Folded Spill
	buffer_store_dword v61, off, s[0:3], s32 offset:544 ; 4-byte Folded Spill
.LBB232_336:                            ;   in Loop: Header=BB232_10 Depth=1
	s_or_b32 exec_lo, exec_lo, s17
.LBB232_337:                            ;   in Loop: Header=BB232_10 Depth=1
	s_or_b32 exec_lo, exec_lo, s7
.LBB232_338:                            ;   in Loop: Header=BB232_10 Depth=1
	s_or_b32 exec_lo, exec_lo, s6
	v_cmp_ne_u16_sdwa s5, v0, v61 src0_sel:BYTE_1 src1_sel:DWORD
	s_and_saveexec_b32 s6, s5
	s_cbranch_execz .LBB232_346
; %bb.339:                              ;   in Loop: Header=BB232_10 Depth=1
	v_mov_b32_e32 v1, 0x80
	v_mov_b32_e32 v84, v61
	buffer_store_dword v84, off, s[0:3], s32 offset:516 ; 4-byte Folded Spill
	buffer_store_dword v85, off, s[0:3], s32 offset:520 ; 4-byte Folded Spill
	v_cmp_ne_u16_sdwa s5, v0, v1 src0_sel:BYTE_1 src1_sel:DWORD
	s_and_saveexec_b32 s7, s5
	s_cbranch_execz .LBB232_345
; %bb.340:                              ;   in Loop: Header=BB232_10 Depth=1
	v_mov_b32_e32 v1, 0xffff
	v_mov_b32_e32 v86, v61
	s_mov_b32 s17, exec_lo
	buffer_store_dword v86, off, s[0:3], s32 offset:516 ; 4-byte Folded Spill
	buffer_store_dword v87, off, s[0:3], s32 offset:520 ; 4-byte Folded Spill
	v_and_b32_sdwa v1, v1, v0 dst_sel:DWORD dst_unused:UNUSED_PAD src0_sel:DWORD src1_sel:BYTE_1
	v_and_b32_e32 v2, 0x7f, v1
	v_cmpx_ne_u32_e32 0x7f, v2
	s_cbranch_execz .LBB232_344
; %bb.341:                              ;   in Loop: Header=BB232_10 Depth=1
	v_and_b32_e32 v60, 7, v1
	v_lshrrev_b32_e32 v1, 3, v2
	s_mov_b32 s18, exec_lo
	v_cmpx_gt_u32_e32 8, v2
; %bb.342:                              ;   in Loop: Header=BB232_10 Depth=1
	v_ffbh_u32_e32 v1, v60
	v_min_u32_e32 v1, 32, v1
	v_subrev_nc_u32_e32 v2, 28, v1
	v_sub_nc_u32_e32 v1, 29, v1
	v_lshlrev_b64 v[2:3], v2, v[60:61]
	v_and_b32_e32 v60, 7, v2
; %bb.343:                              ;   in Loop: Header=BB232_10 Depth=1
	s_or_b32 exec_lo, exec_lo, s18
	v_lshlrev_b32_e32 v2, 16, v0
	v_lshlrev_b32_e32 v3, 20, v60
	v_lshl_add_u32 v1, v1, 23, 0x3c000000
	v_and_b32_e32 v2, 0x80000000, v2
	v_or3_b32 v2, v3, v2, v1
	v_mov_b32_e32 v1, v61
	buffer_store_dword v1, off, s[0:3], s32 offset:516 ; 4-byte Folded Spill
	buffer_store_dword v2, off, s[0:3], s32 offset:520 ; 4-byte Folded Spill
.LBB232_344:                            ;   in Loop: Header=BB232_10 Depth=1
	s_or_b32 exec_lo, exec_lo, s17
.LBB232_345:                            ;   in Loop: Header=BB232_10 Depth=1
	s_or_b32 exec_lo, exec_lo, s7
.LBB232_346:                            ;   in Loop: Header=BB232_10 Depth=1
	s_or_b32 exec_lo, exec_lo, s6
	v_mov_b32_e32 v2, 0
	v_mov_b32_e32 v3, 0
	;; [unrolled: 1-line block ×3, first 2 shown]
	s_mov_b32 s6, exec_lo
	buffer_store_dword v2, off, s[0:3], s32 offset:524 ; 4-byte Folded Spill
	buffer_store_dword v3, off, s[0:3], s32 offset:528 ; 4-byte Folded Spill
	v_mov_b32_e32 v2, 0
	v_and_b32_sdwa v1, v0, v1 dst_sel:DWORD dst_unused:UNUSED_PAD src0_sel:WORD_1 src1_sel:DWORD
	v_mov_b32_e32 v3, 0
	buffer_store_dword v2, off, s[0:3], s32 offset:532 ; 4-byte Folded Spill
	buffer_store_dword v3, off, s[0:3], s32 offset:536 ; 4-byte Folded Spill
	v_cmpx_ne_u16_e32 0, v1
	s_cbranch_execz .LBB232_354
; %bb.347:                              ;   in Loop: Header=BB232_10 Depth=1
	v_cmp_ne_u16_e64 s5, 0x80, v1
	v_bfrev_b32_e32 v1, 1
	v_mov_b32_e32 v2, 0
	buffer_store_dword v1, off, s[0:3], s32 offset:532 ; 4-byte Folded Spill
	buffer_store_dword v2, off, s[0:3], s32 offset:536 ; 4-byte Folded Spill
	s_and_saveexec_b32 s7, s5
	s_cbranch_execz .LBB232_353
; %bb.348:                              ;   in Loop: Header=BB232_10 Depth=1
	v_mov_b32_e32 v3, 0x7f800001
	v_bfe_u32 v2, v0, 16, 7
	v_mov_b32_e32 v4, 0
	s_mov_b32 s17, exec_lo
	buffer_store_dword v3, off, s[0:3], s32 offset:532 ; 4-byte Folded Spill
	buffer_store_dword v4, off, s[0:3], s32 offset:536 ; 4-byte Folded Spill
	v_cmpx_ne_u32_e32 0x7f, v2
	s_cbranch_execz .LBB232_352
; %bb.349:                              ;   in Loop: Header=BB232_10 Depth=1
	v_mov_b32_e32 v1, 7
	s_mov_b32 s18, exec_lo
	v_and_b32_sdwa v60, v0, v1 dst_sel:DWORD dst_unused:UNUSED_PAD src0_sel:WORD_1 src1_sel:DWORD
	v_lshrrev_b32_e32 v1, 3, v2
	v_cmpx_gt_u32_e32 8, v2
; %bb.350:                              ;   in Loop: Header=BB232_10 Depth=1
	v_ffbh_u32_e32 v1, v60
	v_min_u32_e32 v1, 32, v1
	v_subrev_nc_u32_e32 v2, 28, v1
	v_sub_nc_u32_e32 v1, 29, v1
	v_lshlrev_b64 v[2:3], v2, v[60:61]
	v_and_b32_e32 v60, 7, v2
; %bb.351:                              ;   in Loop: Header=BB232_10 Depth=1
	s_or_b32 exec_lo, exec_lo, s18
	v_mov_b32_e32 v2, 24
	v_lshlrev_b32_e32 v3, 20, v60
	v_lshl_add_u32 v1, v1, 23, 0x3c000000
	v_lshlrev_b32_sdwa v2, v2, v0 dst_sel:DWORD dst_unused:UNUSED_PAD src0_sel:DWORD src1_sel:WORD_1
	v_and_b32_e32 v2, 0x80000000, v2
	v_or3_b32 v60, v3, v2, v1
	buffer_store_dword v60, off, s[0:3], s32 offset:532 ; 4-byte Folded Spill
	buffer_store_dword v61, off, s[0:3], s32 offset:536 ; 4-byte Folded Spill
.LBB232_352:                            ;   in Loop: Header=BB232_10 Depth=1
	s_or_b32 exec_lo, exec_lo, s17
.LBB232_353:                            ;   in Loop: Header=BB232_10 Depth=1
	s_or_b32 exec_lo, exec_lo, s7
.LBB232_354:                            ;   in Loop: Header=BB232_10 Depth=1
	s_or_b32 exec_lo, exec_lo, s6
	s_mov_b32 s6, exec_lo
	v_cmpx_lt_u32_e32 0xffffff, v0
	s_cbranch_execz .LBB232_362
; %bb.355:                              ;   in Loop: Header=BB232_10 Depth=1
	v_mov_b32_e32 v1, 0x80
	v_mov_b32_e32 v84, v61
	buffer_store_dword v84, off, s[0:3], s32 offset:524 ; 4-byte Folded Spill
	buffer_store_dword v85, off, s[0:3], s32 offset:528 ; 4-byte Folded Spill
	v_cmp_ne_u32_sdwa s5, v0, v1 src0_sel:BYTE_3 src1_sel:DWORD
	s_and_saveexec_b32 s7, s5
	s_cbranch_execz .LBB232_361
; %bb.356:                              ;   in Loop: Header=BB232_10 Depth=1
	v_bfe_u32 v2, v0, 24, 7
	v_mov_b32_e32 v86, v61
	s_mov_b32 s17, exec_lo
	buffer_store_dword v86, off, s[0:3], s32 offset:524 ; 4-byte Folded Spill
	buffer_store_dword v87, off, s[0:3], s32 offset:528 ; 4-byte Folded Spill
	v_cmpx_ne_u32_e32 0x7f, v2
	s_cbranch_execz .LBB232_360
; %bb.357:                              ;   in Loop: Header=BB232_10 Depth=1
	v_mov_b32_e32 v1, 7
	s_mov_b32 s18, exec_lo
	v_and_b32_sdwa v60, v0, v1 dst_sel:DWORD dst_unused:UNUSED_PAD src0_sel:BYTE_3 src1_sel:DWORD
	v_lshrrev_b32_e32 v1, 3, v2
	v_cmpx_gt_u32_e32 8, v2
; %bb.358:                              ;   in Loop: Header=BB232_10 Depth=1
	v_ffbh_u32_e32 v1, v60
	v_min_u32_e32 v1, 32, v1
	v_subrev_nc_u32_e32 v2, 28, v1
	v_sub_nc_u32_e32 v1, 29, v1
	v_lshlrev_b64 v[2:3], v2, v[60:61]
	v_and_b32_e32 v60, 7, v2
; %bb.359:                              ;   in Loop: Header=BB232_10 Depth=1
	s_or_b32 exec_lo, exec_lo, s18
	v_mov_b32_e32 v2, 24
	v_lshl_add_u32 v1, v1, 23, 0x3c000000
	v_lshlrev_b32_sdwa v0, v2, v0 dst_sel:DWORD dst_unused:UNUSED_PAD src0_sel:DWORD src1_sel:BYTE_3
	v_lshlrev_b32_e32 v2, 20, v60
	v_and_b32_e32 v0, 0x80000000, v0
	v_or3_b32 v1, v2, v0, v1
	v_mov_b32_e32 v0, v61
	buffer_store_dword v0, off, s[0:3], s32 offset:524 ; 4-byte Folded Spill
	buffer_store_dword v1, off, s[0:3], s32 offset:528 ; 4-byte Folded Spill
.LBB232_360:                            ;   in Loop: Header=BB232_10 Depth=1
	s_or_b32 exec_lo, exec_lo, s17
.LBB232_361:                            ;   in Loop: Header=BB232_10 Depth=1
	s_or_b32 exec_lo, exec_lo, s7
.LBB232_362:                            ;   in Loop: Header=BB232_10 Depth=1
	s_or_b32 exec_lo, exec_lo, s6
	flat_load_dword v0, v[39:40] offset:1036
	v_mov_b32_e32 v1, 0
	v_mov_b32_e32 v2, 0
	buffer_store_dword v1, off, s[0:3], s32 offset:548 ; 4-byte Folded Spill
	buffer_store_dword v2, off, s[0:3], s32 offset:552 ; 4-byte Folded Spill
	v_mov_b32_e32 v1, 0
	v_mov_b32_e32 v2, 0
	buffer_store_dword v1, off, s[0:3], s32 offset:572 ; 4-byte Folded Spill
	buffer_store_dword v2, off, s[0:3], s32 offset:576 ; 4-byte Folded Spill
	s_waitcnt vmcnt(0) lgkmcnt(0)
	v_cmp_ne_u16_sdwa s5, v0, v61 src0_sel:BYTE_0 src1_sel:DWORD
	s_and_saveexec_b32 s6, s5
	s_cbranch_execz .LBB232_370
; %bb.363:                              ;   in Loop: Header=BB232_10 Depth=1
	v_bfrev_b32_e32 v1, 1
	v_mov_b32_e32 v2, 0
	buffer_store_dword v1, off, s[0:3], s32 offset:572 ; 4-byte Folded Spill
	buffer_store_dword v2, off, s[0:3], s32 offset:576 ; 4-byte Folded Spill
	v_mov_b32_e32 v1, 0x80
	v_cmp_ne_u16_sdwa s5, v0, v1 src0_sel:BYTE_0 src1_sel:DWORD
	s_and_saveexec_b32 s7, s5
	s_cbranch_execz .LBB232_369
; %bb.364:                              ;   in Loop: Header=BB232_10 Depth=1
	v_mov_b32_e32 v3, 0x7f800001
	v_and_b32_e32 v2, 0x7f, v0
	v_mov_b32_e32 v4, 0
	s_mov_b32 s17, exec_lo
	buffer_store_dword v3, off, s[0:3], s32 offset:572 ; 4-byte Folded Spill
	buffer_store_dword v4, off, s[0:3], s32 offset:576 ; 4-byte Folded Spill
	v_cmpx_ne_u32_e32 0x7f, v2
	s_cbranch_execz .LBB232_368
; %bb.365:                              ;   in Loop: Header=BB232_10 Depth=1
	v_and_b32_e32 v60, 7, v0
	v_lshrrev_b32_e32 v1, 3, v2
	s_mov_b32 s18, exec_lo
	v_cmpx_gt_u32_e32 8, v2
; %bb.366:                              ;   in Loop: Header=BB232_10 Depth=1
	v_ffbh_u32_e32 v1, v60
	v_min_u32_e32 v1, 32, v1
	v_subrev_nc_u32_e32 v2, 28, v1
	v_sub_nc_u32_e32 v1, 29, v1
	v_lshlrev_b64 v[2:3], v2, v[60:61]
	v_and_b32_e32 v60, 7, v2
; %bb.367:                              ;   in Loop: Header=BB232_10 Depth=1
	s_or_b32 exec_lo, exec_lo, s18
	v_lshlrev_b32_e32 v2, 24, v0
	v_lshlrev_b32_e32 v3, 20, v60
	v_lshl_add_u32 v1, v1, 23, 0x3c000000
	v_and_b32_e32 v2, 0x80000000, v2
	v_or3_b32 v60, v3, v2, v1
	buffer_store_dword v60, off, s[0:3], s32 offset:572 ; 4-byte Folded Spill
	buffer_store_dword v61, off, s[0:3], s32 offset:576 ; 4-byte Folded Spill
.LBB232_368:                            ;   in Loop: Header=BB232_10 Depth=1
	s_or_b32 exec_lo, exec_lo, s17
.LBB232_369:                            ;   in Loop: Header=BB232_10 Depth=1
	s_or_b32 exec_lo, exec_lo, s7
.LBB232_370:                            ;   in Loop: Header=BB232_10 Depth=1
	s_or_b32 exec_lo, exec_lo, s6
	v_cmp_ne_u16_sdwa s5, v0, v61 src0_sel:BYTE_1 src1_sel:DWORD
	s_and_saveexec_b32 s6, s5
	s_cbranch_execz .LBB232_378
; %bb.371:                              ;   in Loop: Header=BB232_10 Depth=1
	v_mov_b32_e32 v1, 0x80
	v_mov_b32_e32 v84, v61
	buffer_store_dword v84, off, s[0:3], s32 offset:548 ; 4-byte Folded Spill
	buffer_store_dword v85, off, s[0:3], s32 offset:552 ; 4-byte Folded Spill
	v_cmp_ne_u16_sdwa s5, v0, v1 src0_sel:BYTE_1 src1_sel:DWORD
	s_and_saveexec_b32 s7, s5
	s_cbranch_execz .LBB232_377
; %bb.372:                              ;   in Loop: Header=BB232_10 Depth=1
	v_mov_b32_e32 v1, 0xffff
	v_mov_b32_e32 v86, v61
	s_mov_b32 s17, exec_lo
	buffer_store_dword v86, off, s[0:3], s32 offset:548 ; 4-byte Folded Spill
	buffer_store_dword v87, off, s[0:3], s32 offset:552 ; 4-byte Folded Spill
	v_and_b32_sdwa v1, v1, v0 dst_sel:DWORD dst_unused:UNUSED_PAD src0_sel:DWORD src1_sel:BYTE_1
	v_and_b32_e32 v2, 0x7f, v1
	v_cmpx_ne_u32_e32 0x7f, v2
	s_cbranch_execz .LBB232_376
; %bb.373:                              ;   in Loop: Header=BB232_10 Depth=1
	v_and_b32_e32 v60, 7, v1
	v_lshrrev_b32_e32 v1, 3, v2
	s_mov_b32 s18, exec_lo
	v_cmpx_gt_u32_e32 8, v2
; %bb.374:                              ;   in Loop: Header=BB232_10 Depth=1
	v_ffbh_u32_e32 v1, v60
	v_min_u32_e32 v1, 32, v1
	v_subrev_nc_u32_e32 v2, 28, v1
	v_sub_nc_u32_e32 v1, 29, v1
	v_lshlrev_b64 v[2:3], v2, v[60:61]
	v_and_b32_e32 v60, 7, v2
; %bb.375:                              ;   in Loop: Header=BB232_10 Depth=1
	s_or_b32 exec_lo, exec_lo, s18
	v_lshlrev_b32_e32 v2, 16, v0
	v_lshlrev_b32_e32 v3, 20, v60
	v_lshl_add_u32 v1, v1, 23, 0x3c000000
	v_and_b32_e32 v2, 0x80000000, v2
	v_or3_b32 v2, v3, v2, v1
	v_mov_b32_e32 v1, v61
	buffer_store_dword v1, off, s[0:3], s32 offset:548 ; 4-byte Folded Spill
	buffer_store_dword v2, off, s[0:3], s32 offset:552 ; 4-byte Folded Spill
.LBB232_376:                            ;   in Loop: Header=BB232_10 Depth=1
	s_or_b32 exec_lo, exec_lo, s17
.LBB232_377:                            ;   in Loop: Header=BB232_10 Depth=1
	s_or_b32 exec_lo, exec_lo, s7
.LBB232_378:                            ;   in Loop: Header=BB232_10 Depth=1
	s_or_b32 exec_lo, exec_lo, s6
	v_mov_b32_e32 v2, 0
	v_mov_b32_e32 v3, 0
	;; [unrolled: 1-line block ×3, first 2 shown]
	s_mov_b32 s6, exec_lo
	buffer_store_dword v2, off, s[0:3], s32 offset:556 ; 4-byte Folded Spill
	buffer_store_dword v3, off, s[0:3], s32 offset:560 ; 4-byte Folded Spill
	v_mov_b32_e32 v2, 0
	v_and_b32_sdwa v1, v0, v1 dst_sel:DWORD dst_unused:UNUSED_PAD src0_sel:WORD_1 src1_sel:DWORD
	v_mov_b32_e32 v3, 0
	buffer_store_dword v2, off, s[0:3], s32 offset:564 ; 4-byte Folded Spill
	buffer_store_dword v3, off, s[0:3], s32 offset:568 ; 4-byte Folded Spill
	v_cmpx_ne_u16_e32 0, v1
	s_cbranch_execz .LBB232_386
; %bb.379:                              ;   in Loop: Header=BB232_10 Depth=1
	v_cmp_ne_u16_e64 s5, 0x80, v1
	v_bfrev_b32_e32 v1, 1
	v_mov_b32_e32 v2, 0
	buffer_store_dword v1, off, s[0:3], s32 offset:564 ; 4-byte Folded Spill
	buffer_store_dword v2, off, s[0:3], s32 offset:568 ; 4-byte Folded Spill
	s_and_saveexec_b32 s7, s5
	s_cbranch_execz .LBB232_385
; %bb.380:                              ;   in Loop: Header=BB232_10 Depth=1
	v_mov_b32_e32 v3, 0x7f800001
	v_bfe_u32 v2, v0, 16, 7
	v_mov_b32_e32 v4, 0
	s_mov_b32 s17, exec_lo
	buffer_store_dword v3, off, s[0:3], s32 offset:564 ; 4-byte Folded Spill
	buffer_store_dword v4, off, s[0:3], s32 offset:568 ; 4-byte Folded Spill
	v_cmpx_ne_u32_e32 0x7f, v2
	s_cbranch_execz .LBB232_384
; %bb.381:                              ;   in Loop: Header=BB232_10 Depth=1
	v_mov_b32_e32 v1, 7
	s_mov_b32 s18, exec_lo
	v_and_b32_sdwa v60, v0, v1 dst_sel:DWORD dst_unused:UNUSED_PAD src0_sel:WORD_1 src1_sel:DWORD
	v_lshrrev_b32_e32 v1, 3, v2
	v_cmpx_gt_u32_e32 8, v2
; %bb.382:                              ;   in Loop: Header=BB232_10 Depth=1
	v_ffbh_u32_e32 v1, v60
	v_min_u32_e32 v1, 32, v1
	v_subrev_nc_u32_e32 v2, 28, v1
	v_sub_nc_u32_e32 v1, 29, v1
	v_lshlrev_b64 v[2:3], v2, v[60:61]
	v_and_b32_e32 v60, 7, v2
; %bb.383:                              ;   in Loop: Header=BB232_10 Depth=1
	s_or_b32 exec_lo, exec_lo, s18
	v_mov_b32_e32 v2, 24
	v_lshlrev_b32_e32 v3, 20, v60
	v_lshl_add_u32 v1, v1, 23, 0x3c000000
	v_lshlrev_b32_sdwa v2, v2, v0 dst_sel:DWORD dst_unused:UNUSED_PAD src0_sel:DWORD src1_sel:WORD_1
	v_and_b32_e32 v2, 0x80000000, v2
	v_or3_b32 v60, v3, v2, v1
	buffer_store_dword v60, off, s[0:3], s32 offset:564 ; 4-byte Folded Spill
	buffer_store_dword v61, off, s[0:3], s32 offset:568 ; 4-byte Folded Spill
.LBB232_384:                            ;   in Loop: Header=BB232_10 Depth=1
	s_or_b32 exec_lo, exec_lo, s17
.LBB232_385:                            ;   in Loop: Header=BB232_10 Depth=1
	s_or_b32 exec_lo, exec_lo, s7
.LBB232_386:                            ;   in Loop: Header=BB232_10 Depth=1
	s_or_b32 exec_lo, exec_lo, s6
	s_mov_b32 s6, exec_lo
	v_cmpx_lt_u32_e32 0xffffff, v0
	s_cbranch_execz .LBB232_394
; %bb.387:                              ;   in Loop: Header=BB232_10 Depth=1
	v_mov_b32_e32 v1, 0x80
	v_mov_b32_e32 v84, v61
	buffer_store_dword v84, off, s[0:3], s32 offset:556 ; 4-byte Folded Spill
	buffer_store_dword v85, off, s[0:3], s32 offset:560 ; 4-byte Folded Spill
	v_cmp_ne_u32_sdwa s5, v0, v1 src0_sel:BYTE_3 src1_sel:DWORD
	s_and_saveexec_b32 s7, s5
	s_cbranch_execz .LBB232_393
; %bb.388:                              ;   in Loop: Header=BB232_10 Depth=1
	v_bfe_u32 v2, v0, 24, 7
	v_mov_b32_e32 v86, v61
	s_mov_b32 s17, exec_lo
	buffer_store_dword v86, off, s[0:3], s32 offset:556 ; 4-byte Folded Spill
	buffer_store_dword v87, off, s[0:3], s32 offset:560 ; 4-byte Folded Spill
	v_cmpx_ne_u32_e32 0x7f, v2
	s_cbranch_execz .LBB232_392
; %bb.389:                              ;   in Loop: Header=BB232_10 Depth=1
	v_mov_b32_e32 v1, 7
	s_mov_b32 s18, exec_lo
	v_and_b32_sdwa v60, v0, v1 dst_sel:DWORD dst_unused:UNUSED_PAD src0_sel:BYTE_3 src1_sel:DWORD
	v_lshrrev_b32_e32 v1, 3, v2
	v_cmpx_gt_u32_e32 8, v2
; %bb.390:                              ;   in Loop: Header=BB232_10 Depth=1
	v_ffbh_u32_e32 v1, v60
	v_min_u32_e32 v1, 32, v1
	v_subrev_nc_u32_e32 v2, 28, v1
	v_sub_nc_u32_e32 v1, 29, v1
	v_lshlrev_b64 v[2:3], v2, v[60:61]
	v_and_b32_e32 v60, 7, v2
; %bb.391:                              ;   in Loop: Header=BB232_10 Depth=1
	s_or_b32 exec_lo, exec_lo, s18
	v_mov_b32_e32 v2, 24
	v_lshl_add_u32 v1, v1, 23, 0x3c000000
	v_lshlrev_b32_sdwa v0, v2, v0 dst_sel:DWORD dst_unused:UNUSED_PAD src0_sel:DWORD src1_sel:BYTE_3
	v_lshlrev_b32_e32 v2, 20, v60
	v_and_b32_e32 v0, 0x80000000, v0
	v_or3_b32 v1, v2, v0, v1
	v_mov_b32_e32 v0, v61
	buffer_store_dword v0, off, s[0:3], s32 offset:556 ; 4-byte Folded Spill
	buffer_store_dword v1, off, s[0:3], s32 offset:560 ; 4-byte Folded Spill
.LBB232_392:                            ;   in Loop: Header=BB232_10 Depth=1
	s_or_b32 exec_lo, exec_lo, s17
.LBB232_393:                            ;   in Loop: Header=BB232_10 Depth=1
	s_or_b32 exec_lo, exec_lo, s7
.LBB232_394:                            ;   in Loop: Header=BB232_10 Depth=1
	s_or_b32 exec_lo, exec_lo, s6
	flat_load_dword v0, v[39:40] offset:1536
	v_mov_b32_e32 v1, 0
	v_mov_b32_e32 v2, 0
	buffer_store_dword v1, off, s[0:3], s32 offset:580 ; 4-byte Folded Spill
	buffer_store_dword v2, off, s[0:3], s32 offset:584 ; 4-byte Folded Spill
	v_mov_b32_e32 v1, 0
	v_mov_b32_e32 v2, 0
	buffer_store_dword v1, off, s[0:3], s32 offset:604 ; 4-byte Folded Spill
	buffer_store_dword v2, off, s[0:3], s32 offset:608 ; 4-byte Folded Spill
	s_waitcnt vmcnt(0) lgkmcnt(0)
	v_cmp_ne_u16_sdwa s5, v0, v61 src0_sel:BYTE_0 src1_sel:DWORD
	s_and_saveexec_b32 s6, s5
	s_cbranch_execz .LBB232_402
; %bb.395:                              ;   in Loop: Header=BB232_10 Depth=1
	v_bfrev_b32_e32 v1, 1
	v_mov_b32_e32 v2, 0
	buffer_store_dword v1, off, s[0:3], s32 offset:604 ; 4-byte Folded Spill
	buffer_store_dword v2, off, s[0:3], s32 offset:608 ; 4-byte Folded Spill
	v_mov_b32_e32 v1, 0x80
	v_cmp_ne_u16_sdwa s5, v0, v1 src0_sel:BYTE_0 src1_sel:DWORD
	s_and_saveexec_b32 s7, s5
	s_cbranch_execz .LBB232_401
; %bb.396:                              ;   in Loop: Header=BB232_10 Depth=1
	v_mov_b32_e32 v3, 0x7f800001
	v_and_b32_e32 v2, 0x7f, v0
	v_mov_b32_e32 v4, 0
	s_mov_b32 s17, exec_lo
	buffer_store_dword v3, off, s[0:3], s32 offset:604 ; 4-byte Folded Spill
	buffer_store_dword v4, off, s[0:3], s32 offset:608 ; 4-byte Folded Spill
	v_cmpx_ne_u32_e32 0x7f, v2
	s_cbranch_execz .LBB232_400
; %bb.397:                              ;   in Loop: Header=BB232_10 Depth=1
	v_and_b32_e32 v60, 7, v0
	v_lshrrev_b32_e32 v1, 3, v2
	s_mov_b32 s18, exec_lo
	v_cmpx_gt_u32_e32 8, v2
; %bb.398:                              ;   in Loop: Header=BB232_10 Depth=1
	v_ffbh_u32_e32 v1, v60
	v_min_u32_e32 v1, 32, v1
	v_subrev_nc_u32_e32 v2, 28, v1
	v_sub_nc_u32_e32 v1, 29, v1
	v_lshlrev_b64 v[2:3], v2, v[60:61]
	v_and_b32_e32 v60, 7, v2
; %bb.399:                              ;   in Loop: Header=BB232_10 Depth=1
	s_or_b32 exec_lo, exec_lo, s18
	v_lshlrev_b32_e32 v2, 24, v0
	v_lshlrev_b32_e32 v3, 20, v60
	v_lshl_add_u32 v1, v1, 23, 0x3c000000
	v_and_b32_e32 v2, 0x80000000, v2
	v_or3_b32 v60, v3, v2, v1
	buffer_store_dword v60, off, s[0:3], s32 offset:604 ; 4-byte Folded Spill
	buffer_store_dword v61, off, s[0:3], s32 offset:608 ; 4-byte Folded Spill
.LBB232_400:                            ;   in Loop: Header=BB232_10 Depth=1
	s_or_b32 exec_lo, exec_lo, s17
.LBB232_401:                            ;   in Loop: Header=BB232_10 Depth=1
	s_or_b32 exec_lo, exec_lo, s7
.LBB232_402:                            ;   in Loop: Header=BB232_10 Depth=1
	s_or_b32 exec_lo, exec_lo, s6
	v_cmp_ne_u16_sdwa s5, v0, v61 src0_sel:BYTE_1 src1_sel:DWORD
	s_and_saveexec_b32 s6, s5
	s_cbranch_execz .LBB232_410
; %bb.403:                              ;   in Loop: Header=BB232_10 Depth=1
	v_mov_b32_e32 v1, 0x80
	v_mov_b32_e32 v84, v61
	buffer_store_dword v84, off, s[0:3], s32 offset:580 ; 4-byte Folded Spill
	buffer_store_dword v85, off, s[0:3], s32 offset:584 ; 4-byte Folded Spill
	v_cmp_ne_u16_sdwa s5, v0, v1 src0_sel:BYTE_1 src1_sel:DWORD
	s_and_saveexec_b32 s7, s5
	s_cbranch_execz .LBB232_409
; %bb.404:                              ;   in Loop: Header=BB232_10 Depth=1
	v_mov_b32_e32 v1, 0xffff
	v_mov_b32_e32 v86, v61
	s_mov_b32 s17, exec_lo
	buffer_store_dword v86, off, s[0:3], s32 offset:580 ; 4-byte Folded Spill
	buffer_store_dword v87, off, s[0:3], s32 offset:584 ; 4-byte Folded Spill
	v_and_b32_sdwa v1, v1, v0 dst_sel:DWORD dst_unused:UNUSED_PAD src0_sel:DWORD src1_sel:BYTE_1
	v_and_b32_e32 v2, 0x7f, v1
	v_cmpx_ne_u32_e32 0x7f, v2
	s_cbranch_execz .LBB232_408
; %bb.405:                              ;   in Loop: Header=BB232_10 Depth=1
	v_and_b32_e32 v60, 7, v1
	v_lshrrev_b32_e32 v1, 3, v2
	s_mov_b32 s18, exec_lo
	v_cmpx_gt_u32_e32 8, v2
; %bb.406:                              ;   in Loop: Header=BB232_10 Depth=1
	v_ffbh_u32_e32 v1, v60
	v_min_u32_e32 v1, 32, v1
	v_subrev_nc_u32_e32 v2, 28, v1
	v_sub_nc_u32_e32 v1, 29, v1
	v_lshlrev_b64 v[2:3], v2, v[60:61]
	v_and_b32_e32 v60, 7, v2
; %bb.407:                              ;   in Loop: Header=BB232_10 Depth=1
	s_or_b32 exec_lo, exec_lo, s18
	v_lshlrev_b32_e32 v2, 16, v0
	v_lshlrev_b32_e32 v3, 20, v60
	v_lshl_add_u32 v1, v1, 23, 0x3c000000
	v_and_b32_e32 v2, 0x80000000, v2
	v_or3_b32 v2, v3, v2, v1
	v_mov_b32_e32 v1, v61
	buffer_store_dword v1, off, s[0:3], s32 offset:580 ; 4-byte Folded Spill
	buffer_store_dword v2, off, s[0:3], s32 offset:584 ; 4-byte Folded Spill
.LBB232_408:                            ;   in Loop: Header=BB232_10 Depth=1
	s_or_b32 exec_lo, exec_lo, s17
.LBB232_409:                            ;   in Loop: Header=BB232_10 Depth=1
	s_or_b32 exec_lo, exec_lo, s7
.LBB232_410:                            ;   in Loop: Header=BB232_10 Depth=1
	s_or_b32 exec_lo, exec_lo, s6
	v_mov_b32_e32 v2, 0
	v_mov_b32_e32 v3, 0
	;; [unrolled: 1-line block ×3, first 2 shown]
	s_mov_b32 s6, exec_lo
	buffer_store_dword v2, off, s[0:3], s32 offset:588 ; 4-byte Folded Spill
	buffer_store_dword v3, off, s[0:3], s32 offset:592 ; 4-byte Folded Spill
	v_mov_b32_e32 v2, 0
	v_and_b32_sdwa v1, v0, v1 dst_sel:DWORD dst_unused:UNUSED_PAD src0_sel:WORD_1 src1_sel:DWORD
	v_mov_b32_e32 v3, 0
	buffer_store_dword v2, off, s[0:3], s32 offset:596 ; 4-byte Folded Spill
	buffer_store_dword v3, off, s[0:3], s32 offset:600 ; 4-byte Folded Spill
	v_cmpx_ne_u16_e32 0, v1
	s_cbranch_execz .LBB232_418
; %bb.411:                              ;   in Loop: Header=BB232_10 Depth=1
	v_cmp_ne_u16_e64 s5, 0x80, v1
	v_bfrev_b32_e32 v1, 1
	v_mov_b32_e32 v2, 0
	buffer_store_dword v1, off, s[0:3], s32 offset:596 ; 4-byte Folded Spill
	buffer_store_dword v2, off, s[0:3], s32 offset:600 ; 4-byte Folded Spill
	s_and_saveexec_b32 s7, s5
	s_cbranch_execz .LBB232_417
; %bb.412:                              ;   in Loop: Header=BB232_10 Depth=1
	v_mov_b32_e32 v3, 0x7f800001
	v_bfe_u32 v2, v0, 16, 7
	v_mov_b32_e32 v4, 0
	s_mov_b32 s17, exec_lo
	buffer_store_dword v3, off, s[0:3], s32 offset:596 ; 4-byte Folded Spill
	buffer_store_dword v4, off, s[0:3], s32 offset:600 ; 4-byte Folded Spill
	v_cmpx_ne_u32_e32 0x7f, v2
	s_cbranch_execz .LBB232_416
; %bb.413:                              ;   in Loop: Header=BB232_10 Depth=1
	v_mov_b32_e32 v1, 7
	s_mov_b32 s18, exec_lo
	v_and_b32_sdwa v60, v0, v1 dst_sel:DWORD dst_unused:UNUSED_PAD src0_sel:WORD_1 src1_sel:DWORD
	v_lshrrev_b32_e32 v1, 3, v2
	v_cmpx_gt_u32_e32 8, v2
; %bb.414:                              ;   in Loop: Header=BB232_10 Depth=1
	v_ffbh_u32_e32 v1, v60
	v_min_u32_e32 v1, 32, v1
	v_subrev_nc_u32_e32 v2, 28, v1
	v_sub_nc_u32_e32 v1, 29, v1
	v_lshlrev_b64 v[2:3], v2, v[60:61]
	v_and_b32_e32 v60, 7, v2
; %bb.415:                              ;   in Loop: Header=BB232_10 Depth=1
	s_or_b32 exec_lo, exec_lo, s18
	v_mov_b32_e32 v2, 24
	v_lshlrev_b32_e32 v3, 20, v60
	v_lshl_add_u32 v1, v1, 23, 0x3c000000
	v_lshlrev_b32_sdwa v2, v2, v0 dst_sel:DWORD dst_unused:UNUSED_PAD src0_sel:DWORD src1_sel:WORD_1
	v_and_b32_e32 v2, 0x80000000, v2
	v_or3_b32 v60, v3, v2, v1
	buffer_store_dword v60, off, s[0:3], s32 offset:596 ; 4-byte Folded Spill
	buffer_store_dword v61, off, s[0:3], s32 offset:600 ; 4-byte Folded Spill
.LBB232_416:                            ;   in Loop: Header=BB232_10 Depth=1
	s_or_b32 exec_lo, exec_lo, s17
.LBB232_417:                            ;   in Loop: Header=BB232_10 Depth=1
	s_or_b32 exec_lo, exec_lo, s7
.LBB232_418:                            ;   in Loop: Header=BB232_10 Depth=1
	s_or_b32 exec_lo, exec_lo, s6
	s_mov_b32 s6, exec_lo
	v_cmpx_lt_u32_e32 0xffffff, v0
	s_cbranch_execz .LBB232_426
; %bb.419:                              ;   in Loop: Header=BB232_10 Depth=1
	v_mov_b32_e32 v1, 0x80
	v_mov_b32_e32 v84, v61
	buffer_store_dword v84, off, s[0:3], s32 offset:588 ; 4-byte Folded Spill
	buffer_store_dword v85, off, s[0:3], s32 offset:592 ; 4-byte Folded Spill
	v_cmp_ne_u32_sdwa s5, v0, v1 src0_sel:BYTE_3 src1_sel:DWORD
	s_and_saveexec_b32 s7, s5
	s_cbranch_execz .LBB232_425
; %bb.420:                              ;   in Loop: Header=BB232_10 Depth=1
	v_bfe_u32 v2, v0, 24, 7
	v_mov_b32_e32 v86, v61
	s_mov_b32 s17, exec_lo
	buffer_store_dword v86, off, s[0:3], s32 offset:588 ; 4-byte Folded Spill
	buffer_store_dword v87, off, s[0:3], s32 offset:592 ; 4-byte Folded Spill
	v_cmpx_ne_u32_e32 0x7f, v2
	s_cbranch_execz .LBB232_424
; %bb.421:                              ;   in Loop: Header=BB232_10 Depth=1
	v_mov_b32_e32 v1, 7
	s_mov_b32 s18, exec_lo
	v_and_b32_sdwa v60, v0, v1 dst_sel:DWORD dst_unused:UNUSED_PAD src0_sel:BYTE_3 src1_sel:DWORD
	v_lshrrev_b32_e32 v1, 3, v2
	v_cmpx_gt_u32_e32 8, v2
; %bb.422:                              ;   in Loop: Header=BB232_10 Depth=1
	v_ffbh_u32_e32 v1, v60
	v_min_u32_e32 v1, 32, v1
	v_subrev_nc_u32_e32 v2, 28, v1
	v_sub_nc_u32_e32 v1, 29, v1
	v_lshlrev_b64 v[2:3], v2, v[60:61]
	v_and_b32_e32 v60, 7, v2
; %bb.423:                              ;   in Loop: Header=BB232_10 Depth=1
	s_or_b32 exec_lo, exec_lo, s18
	v_mov_b32_e32 v2, 24
	v_lshl_add_u32 v1, v1, 23, 0x3c000000
	v_lshlrev_b32_sdwa v0, v2, v0 dst_sel:DWORD dst_unused:UNUSED_PAD src0_sel:DWORD src1_sel:BYTE_3
	v_lshlrev_b32_e32 v2, 20, v60
	v_and_b32_e32 v0, 0x80000000, v0
	v_or3_b32 v1, v2, v0, v1
	v_mov_b32_e32 v0, v61
	buffer_store_dword v0, off, s[0:3], s32 offset:588 ; 4-byte Folded Spill
	buffer_store_dword v1, off, s[0:3], s32 offset:592 ; 4-byte Folded Spill
.LBB232_424:                            ;   in Loop: Header=BB232_10 Depth=1
	s_or_b32 exec_lo, exec_lo, s17
.LBB232_425:                            ;   in Loop: Header=BB232_10 Depth=1
	s_or_b32 exec_lo, exec_lo, s7
.LBB232_426:                            ;   in Loop: Header=BB232_10 Depth=1
	s_or_b32 exec_lo, exec_lo, s6
	flat_load_dword v0, v[39:40] offset:1540
	v_mov_b32_e32 v1, 0
	v_mov_b32_e32 v2, 0
	buffer_store_dword v1, off, s[0:3], s32 offset:612 ; 4-byte Folded Spill
	buffer_store_dword v2, off, s[0:3], s32 offset:616 ; 4-byte Folded Spill
	v_mov_b32_e32 v1, 0
	v_mov_b32_e32 v2, 0
	buffer_store_dword v1, off, s[0:3], s32 offset:636 ; 4-byte Folded Spill
	buffer_store_dword v2, off, s[0:3], s32 offset:640 ; 4-byte Folded Spill
	s_waitcnt vmcnt(0) lgkmcnt(0)
	v_cmp_ne_u16_sdwa s5, v0, v61 src0_sel:BYTE_0 src1_sel:DWORD
	s_and_saveexec_b32 s6, s5
	s_cbranch_execz .LBB232_434
; %bb.427:                              ;   in Loop: Header=BB232_10 Depth=1
	v_bfrev_b32_e32 v1, 1
	v_mov_b32_e32 v2, 0
	buffer_store_dword v1, off, s[0:3], s32 offset:636 ; 4-byte Folded Spill
	buffer_store_dword v2, off, s[0:3], s32 offset:640 ; 4-byte Folded Spill
	v_mov_b32_e32 v1, 0x80
	v_cmp_ne_u16_sdwa s5, v0, v1 src0_sel:BYTE_0 src1_sel:DWORD
	s_and_saveexec_b32 s7, s5
	s_cbranch_execz .LBB232_433
; %bb.428:                              ;   in Loop: Header=BB232_10 Depth=1
	v_mov_b32_e32 v3, 0x7f800001
	v_and_b32_e32 v2, 0x7f, v0
	v_mov_b32_e32 v4, 0
	s_mov_b32 s17, exec_lo
	buffer_store_dword v3, off, s[0:3], s32 offset:636 ; 4-byte Folded Spill
	buffer_store_dword v4, off, s[0:3], s32 offset:640 ; 4-byte Folded Spill
	v_cmpx_ne_u32_e32 0x7f, v2
	s_cbranch_execz .LBB232_432
; %bb.429:                              ;   in Loop: Header=BB232_10 Depth=1
	v_and_b32_e32 v60, 7, v0
	v_lshrrev_b32_e32 v1, 3, v2
	s_mov_b32 s18, exec_lo
	v_cmpx_gt_u32_e32 8, v2
; %bb.430:                              ;   in Loop: Header=BB232_10 Depth=1
	v_ffbh_u32_e32 v1, v60
	v_min_u32_e32 v1, 32, v1
	v_subrev_nc_u32_e32 v2, 28, v1
	v_sub_nc_u32_e32 v1, 29, v1
	v_lshlrev_b64 v[2:3], v2, v[60:61]
	v_and_b32_e32 v60, 7, v2
; %bb.431:                              ;   in Loop: Header=BB232_10 Depth=1
	s_or_b32 exec_lo, exec_lo, s18
	v_lshlrev_b32_e32 v2, 24, v0
	v_lshlrev_b32_e32 v3, 20, v60
	v_lshl_add_u32 v1, v1, 23, 0x3c000000
	v_and_b32_e32 v2, 0x80000000, v2
	v_or3_b32 v60, v3, v2, v1
	buffer_store_dword v60, off, s[0:3], s32 offset:636 ; 4-byte Folded Spill
	buffer_store_dword v61, off, s[0:3], s32 offset:640 ; 4-byte Folded Spill
.LBB232_432:                            ;   in Loop: Header=BB232_10 Depth=1
	s_or_b32 exec_lo, exec_lo, s17
.LBB232_433:                            ;   in Loop: Header=BB232_10 Depth=1
	s_or_b32 exec_lo, exec_lo, s7
.LBB232_434:                            ;   in Loop: Header=BB232_10 Depth=1
	s_or_b32 exec_lo, exec_lo, s6
	v_cmp_ne_u16_sdwa s5, v0, v61 src0_sel:BYTE_1 src1_sel:DWORD
	s_and_saveexec_b32 s6, s5
	s_cbranch_execz .LBB232_442
; %bb.435:                              ;   in Loop: Header=BB232_10 Depth=1
	v_mov_b32_e32 v1, 0x80
	v_mov_b32_e32 v84, v61
	buffer_store_dword v84, off, s[0:3], s32 offset:612 ; 4-byte Folded Spill
	buffer_store_dword v85, off, s[0:3], s32 offset:616 ; 4-byte Folded Spill
	v_cmp_ne_u16_sdwa s5, v0, v1 src0_sel:BYTE_1 src1_sel:DWORD
	s_and_saveexec_b32 s7, s5
	s_cbranch_execz .LBB232_441
; %bb.436:                              ;   in Loop: Header=BB232_10 Depth=1
	v_mov_b32_e32 v1, 0xffff
	v_mov_b32_e32 v86, v61
	s_mov_b32 s17, exec_lo
	buffer_store_dword v86, off, s[0:3], s32 offset:612 ; 4-byte Folded Spill
	buffer_store_dword v87, off, s[0:3], s32 offset:616 ; 4-byte Folded Spill
	v_and_b32_sdwa v1, v1, v0 dst_sel:DWORD dst_unused:UNUSED_PAD src0_sel:DWORD src1_sel:BYTE_1
	v_and_b32_e32 v2, 0x7f, v1
	v_cmpx_ne_u32_e32 0x7f, v2
	s_cbranch_execz .LBB232_440
; %bb.437:                              ;   in Loop: Header=BB232_10 Depth=1
	v_and_b32_e32 v60, 7, v1
	v_lshrrev_b32_e32 v1, 3, v2
	s_mov_b32 s18, exec_lo
	v_cmpx_gt_u32_e32 8, v2
; %bb.438:                              ;   in Loop: Header=BB232_10 Depth=1
	v_ffbh_u32_e32 v1, v60
	v_min_u32_e32 v1, 32, v1
	v_subrev_nc_u32_e32 v2, 28, v1
	v_sub_nc_u32_e32 v1, 29, v1
	v_lshlrev_b64 v[2:3], v2, v[60:61]
	v_and_b32_e32 v60, 7, v2
; %bb.439:                              ;   in Loop: Header=BB232_10 Depth=1
	s_or_b32 exec_lo, exec_lo, s18
	v_lshlrev_b32_e32 v2, 16, v0
	v_lshlrev_b32_e32 v3, 20, v60
	v_lshl_add_u32 v1, v1, 23, 0x3c000000
	v_and_b32_e32 v2, 0x80000000, v2
	v_or3_b32 v2, v3, v2, v1
	v_mov_b32_e32 v1, v61
	buffer_store_dword v1, off, s[0:3], s32 offset:612 ; 4-byte Folded Spill
	buffer_store_dword v2, off, s[0:3], s32 offset:616 ; 4-byte Folded Spill
.LBB232_440:                            ;   in Loop: Header=BB232_10 Depth=1
	s_or_b32 exec_lo, exec_lo, s17
.LBB232_441:                            ;   in Loop: Header=BB232_10 Depth=1
	s_or_b32 exec_lo, exec_lo, s7
.LBB232_442:                            ;   in Loop: Header=BB232_10 Depth=1
	s_or_b32 exec_lo, exec_lo, s6
	v_mov_b32_e32 v2, 0
	v_mov_b32_e32 v3, 0
	;; [unrolled: 1-line block ×3, first 2 shown]
	s_mov_b32 s6, exec_lo
	buffer_store_dword v2, off, s[0:3], s32 offset:620 ; 4-byte Folded Spill
	buffer_store_dword v3, off, s[0:3], s32 offset:624 ; 4-byte Folded Spill
	v_mov_b32_e32 v2, 0
	v_and_b32_sdwa v1, v0, v1 dst_sel:DWORD dst_unused:UNUSED_PAD src0_sel:WORD_1 src1_sel:DWORD
	v_mov_b32_e32 v3, 0
	buffer_store_dword v2, off, s[0:3], s32 offset:628 ; 4-byte Folded Spill
	buffer_store_dword v3, off, s[0:3], s32 offset:632 ; 4-byte Folded Spill
	v_cmpx_ne_u16_e32 0, v1
	s_cbranch_execz .LBB232_450
; %bb.443:                              ;   in Loop: Header=BB232_10 Depth=1
	v_cmp_ne_u16_e64 s5, 0x80, v1
	v_bfrev_b32_e32 v1, 1
	v_mov_b32_e32 v2, 0
	buffer_store_dword v1, off, s[0:3], s32 offset:628 ; 4-byte Folded Spill
	buffer_store_dword v2, off, s[0:3], s32 offset:632 ; 4-byte Folded Spill
	s_and_saveexec_b32 s7, s5
	s_cbranch_execz .LBB232_449
; %bb.444:                              ;   in Loop: Header=BB232_10 Depth=1
	v_mov_b32_e32 v3, 0x7f800001
	v_bfe_u32 v2, v0, 16, 7
	v_mov_b32_e32 v4, 0
	s_mov_b32 s17, exec_lo
	buffer_store_dword v3, off, s[0:3], s32 offset:628 ; 4-byte Folded Spill
	buffer_store_dword v4, off, s[0:3], s32 offset:632 ; 4-byte Folded Spill
	v_cmpx_ne_u32_e32 0x7f, v2
	s_cbranch_execz .LBB232_448
; %bb.445:                              ;   in Loop: Header=BB232_10 Depth=1
	v_mov_b32_e32 v1, 7
	s_mov_b32 s18, exec_lo
	v_and_b32_sdwa v60, v0, v1 dst_sel:DWORD dst_unused:UNUSED_PAD src0_sel:WORD_1 src1_sel:DWORD
	v_lshrrev_b32_e32 v1, 3, v2
	v_cmpx_gt_u32_e32 8, v2
; %bb.446:                              ;   in Loop: Header=BB232_10 Depth=1
	v_ffbh_u32_e32 v1, v60
	v_min_u32_e32 v1, 32, v1
	v_subrev_nc_u32_e32 v2, 28, v1
	v_sub_nc_u32_e32 v1, 29, v1
	v_lshlrev_b64 v[2:3], v2, v[60:61]
	v_and_b32_e32 v60, 7, v2
; %bb.447:                              ;   in Loop: Header=BB232_10 Depth=1
	s_or_b32 exec_lo, exec_lo, s18
	v_mov_b32_e32 v2, 24
	v_lshlrev_b32_e32 v3, 20, v60
	v_lshl_add_u32 v1, v1, 23, 0x3c000000
	v_lshlrev_b32_sdwa v2, v2, v0 dst_sel:DWORD dst_unused:UNUSED_PAD src0_sel:DWORD src1_sel:WORD_1
	v_and_b32_e32 v2, 0x80000000, v2
	v_or3_b32 v60, v3, v2, v1
	buffer_store_dword v60, off, s[0:3], s32 offset:628 ; 4-byte Folded Spill
	buffer_store_dword v61, off, s[0:3], s32 offset:632 ; 4-byte Folded Spill
.LBB232_448:                            ;   in Loop: Header=BB232_10 Depth=1
	s_or_b32 exec_lo, exec_lo, s17
.LBB232_449:                            ;   in Loop: Header=BB232_10 Depth=1
	s_or_b32 exec_lo, exec_lo, s7
.LBB232_450:                            ;   in Loop: Header=BB232_10 Depth=1
	s_or_b32 exec_lo, exec_lo, s6
	s_mov_b32 s6, exec_lo
	v_cmpx_lt_u32_e32 0xffffff, v0
	s_cbranch_execz .LBB232_458
; %bb.451:                              ;   in Loop: Header=BB232_10 Depth=1
	v_mov_b32_e32 v1, 0x80
	v_mov_b32_e32 v84, v61
	buffer_store_dword v84, off, s[0:3], s32 offset:620 ; 4-byte Folded Spill
	buffer_store_dword v85, off, s[0:3], s32 offset:624 ; 4-byte Folded Spill
	v_cmp_ne_u32_sdwa s5, v0, v1 src0_sel:BYTE_3 src1_sel:DWORD
	s_and_saveexec_b32 s7, s5
	s_cbranch_execz .LBB232_457
; %bb.452:                              ;   in Loop: Header=BB232_10 Depth=1
	v_bfe_u32 v2, v0, 24, 7
	v_mov_b32_e32 v86, v61
	s_mov_b32 s17, exec_lo
	buffer_store_dword v86, off, s[0:3], s32 offset:620 ; 4-byte Folded Spill
	buffer_store_dword v87, off, s[0:3], s32 offset:624 ; 4-byte Folded Spill
	v_cmpx_ne_u32_e32 0x7f, v2
	s_cbranch_execz .LBB232_456
; %bb.453:                              ;   in Loop: Header=BB232_10 Depth=1
	v_mov_b32_e32 v1, 7
	s_mov_b32 s18, exec_lo
	v_and_b32_sdwa v60, v0, v1 dst_sel:DWORD dst_unused:UNUSED_PAD src0_sel:BYTE_3 src1_sel:DWORD
	v_lshrrev_b32_e32 v1, 3, v2
	v_cmpx_gt_u32_e32 8, v2
; %bb.454:                              ;   in Loop: Header=BB232_10 Depth=1
	v_ffbh_u32_e32 v1, v60
	v_min_u32_e32 v1, 32, v1
	v_subrev_nc_u32_e32 v2, 28, v1
	v_sub_nc_u32_e32 v1, 29, v1
	v_lshlrev_b64 v[2:3], v2, v[60:61]
	v_and_b32_e32 v60, 7, v2
; %bb.455:                              ;   in Loop: Header=BB232_10 Depth=1
	s_or_b32 exec_lo, exec_lo, s18
	v_mov_b32_e32 v2, 24
	v_lshl_add_u32 v1, v1, 23, 0x3c000000
	v_lshlrev_b32_sdwa v0, v2, v0 dst_sel:DWORD dst_unused:UNUSED_PAD src0_sel:DWORD src1_sel:BYTE_3
	v_lshlrev_b32_e32 v2, 20, v60
	v_and_b32_e32 v0, 0x80000000, v0
	v_or3_b32 v1, v2, v0, v1
	v_mov_b32_e32 v0, v61
	buffer_store_dword v0, off, s[0:3], s32 offset:620 ; 4-byte Folded Spill
	buffer_store_dword v1, off, s[0:3], s32 offset:624 ; 4-byte Folded Spill
.LBB232_456:                            ;   in Loop: Header=BB232_10 Depth=1
	s_or_b32 exec_lo, exec_lo, s17
.LBB232_457:                            ;   in Loop: Header=BB232_10 Depth=1
	s_or_b32 exec_lo, exec_lo, s7
.LBB232_458:                            ;   in Loop: Header=BB232_10 Depth=1
	s_or_b32 exec_lo, exec_lo, s6
	flat_load_dword v0, v[39:40] offset:1544
	v_mov_b32_e32 v1, 0
	v_mov_b32_e32 v2, 0
	buffer_store_dword v1, off, s[0:3], s32 offset:644 ; 4-byte Folded Spill
	buffer_store_dword v2, off, s[0:3], s32 offset:648 ; 4-byte Folded Spill
	v_mov_b32_e32 v1, 0
	v_mov_b32_e32 v2, 0
	buffer_store_dword v1, off, s[0:3], s32 offset:668 ; 4-byte Folded Spill
	buffer_store_dword v2, off, s[0:3], s32 offset:672 ; 4-byte Folded Spill
	s_waitcnt vmcnt(0) lgkmcnt(0)
	v_cmp_ne_u16_sdwa s5, v0, v61 src0_sel:BYTE_0 src1_sel:DWORD
	s_and_saveexec_b32 s6, s5
	s_cbranch_execz .LBB232_466
; %bb.459:                              ;   in Loop: Header=BB232_10 Depth=1
	v_bfrev_b32_e32 v1, 1
	v_mov_b32_e32 v2, 0
	buffer_store_dword v1, off, s[0:3], s32 offset:668 ; 4-byte Folded Spill
	buffer_store_dword v2, off, s[0:3], s32 offset:672 ; 4-byte Folded Spill
	v_mov_b32_e32 v1, 0x80
	v_cmp_ne_u16_sdwa s5, v0, v1 src0_sel:BYTE_0 src1_sel:DWORD
	s_and_saveexec_b32 s7, s5
	s_cbranch_execz .LBB232_465
; %bb.460:                              ;   in Loop: Header=BB232_10 Depth=1
	v_mov_b32_e32 v3, 0x7f800001
	v_and_b32_e32 v2, 0x7f, v0
	v_mov_b32_e32 v4, 0
	s_mov_b32 s17, exec_lo
	buffer_store_dword v3, off, s[0:3], s32 offset:668 ; 4-byte Folded Spill
	buffer_store_dword v4, off, s[0:3], s32 offset:672 ; 4-byte Folded Spill
	v_cmpx_ne_u32_e32 0x7f, v2
	s_cbranch_execz .LBB232_464
; %bb.461:                              ;   in Loop: Header=BB232_10 Depth=1
	v_and_b32_e32 v60, 7, v0
	v_lshrrev_b32_e32 v1, 3, v2
	s_mov_b32 s18, exec_lo
	v_cmpx_gt_u32_e32 8, v2
; %bb.462:                              ;   in Loop: Header=BB232_10 Depth=1
	v_ffbh_u32_e32 v1, v60
	v_min_u32_e32 v1, 32, v1
	v_subrev_nc_u32_e32 v2, 28, v1
	v_sub_nc_u32_e32 v1, 29, v1
	v_lshlrev_b64 v[2:3], v2, v[60:61]
	v_and_b32_e32 v60, 7, v2
; %bb.463:                              ;   in Loop: Header=BB232_10 Depth=1
	s_or_b32 exec_lo, exec_lo, s18
	v_lshlrev_b32_e32 v2, 24, v0
	v_lshlrev_b32_e32 v3, 20, v60
	v_lshl_add_u32 v1, v1, 23, 0x3c000000
	v_and_b32_e32 v2, 0x80000000, v2
	v_or3_b32 v60, v3, v2, v1
	buffer_store_dword v60, off, s[0:3], s32 offset:668 ; 4-byte Folded Spill
	buffer_store_dword v61, off, s[0:3], s32 offset:672 ; 4-byte Folded Spill
.LBB232_464:                            ;   in Loop: Header=BB232_10 Depth=1
	s_or_b32 exec_lo, exec_lo, s17
.LBB232_465:                            ;   in Loop: Header=BB232_10 Depth=1
	s_or_b32 exec_lo, exec_lo, s7
.LBB232_466:                            ;   in Loop: Header=BB232_10 Depth=1
	s_or_b32 exec_lo, exec_lo, s6
	v_cmp_ne_u16_sdwa s5, v0, v61 src0_sel:BYTE_1 src1_sel:DWORD
	s_and_saveexec_b32 s6, s5
	s_cbranch_execz .LBB232_474
; %bb.467:                              ;   in Loop: Header=BB232_10 Depth=1
	v_mov_b32_e32 v1, 0x80
	v_mov_b32_e32 v84, v61
	buffer_store_dword v84, off, s[0:3], s32 offset:644 ; 4-byte Folded Spill
	buffer_store_dword v85, off, s[0:3], s32 offset:648 ; 4-byte Folded Spill
	v_cmp_ne_u16_sdwa s5, v0, v1 src0_sel:BYTE_1 src1_sel:DWORD
	s_and_saveexec_b32 s7, s5
	s_cbranch_execz .LBB232_473
; %bb.468:                              ;   in Loop: Header=BB232_10 Depth=1
	v_mov_b32_e32 v1, 0xffff
	v_mov_b32_e32 v86, v61
	s_mov_b32 s17, exec_lo
	buffer_store_dword v86, off, s[0:3], s32 offset:644 ; 4-byte Folded Spill
	buffer_store_dword v87, off, s[0:3], s32 offset:648 ; 4-byte Folded Spill
	v_and_b32_sdwa v1, v1, v0 dst_sel:DWORD dst_unused:UNUSED_PAD src0_sel:DWORD src1_sel:BYTE_1
	v_and_b32_e32 v2, 0x7f, v1
	v_cmpx_ne_u32_e32 0x7f, v2
	s_cbranch_execz .LBB232_472
; %bb.469:                              ;   in Loop: Header=BB232_10 Depth=1
	v_and_b32_e32 v60, 7, v1
	v_lshrrev_b32_e32 v1, 3, v2
	s_mov_b32 s18, exec_lo
	v_cmpx_gt_u32_e32 8, v2
; %bb.470:                              ;   in Loop: Header=BB232_10 Depth=1
	v_ffbh_u32_e32 v1, v60
	v_min_u32_e32 v1, 32, v1
	v_subrev_nc_u32_e32 v2, 28, v1
	v_sub_nc_u32_e32 v1, 29, v1
	v_lshlrev_b64 v[2:3], v2, v[60:61]
	v_and_b32_e32 v60, 7, v2
; %bb.471:                              ;   in Loop: Header=BB232_10 Depth=1
	s_or_b32 exec_lo, exec_lo, s18
	v_lshlrev_b32_e32 v2, 16, v0
	v_lshlrev_b32_e32 v3, 20, v60
	v_lshl_add_u32 v1, v1, 23, 0x3c000000
	v_and_b32_e32 v2, 0x80000000, v2
	v_or3_b32 v2, v3, v2, v1
	v_mov_b32_e32 v1, v61
	buffer_store_dword v1, off, s[0:3], s32 offset:644 ; 4-byte Folded Spill
	buffer_store_dword v2, off, s[0:3], s32 offset:648 ; 4-byte Folded Spill
.LBB232_472:                            ;   in Loop: Header=BB232_10 Depth=1
	s_or_b32 exec_lo, exec_lo, s17
.LBB232_473:                            ;   in Loop: Header=BB232_10 Depth=1
	s_or_b32 exec_lo, exec_lo, s7
.LBB232_474:                            ;   in Loop: Header=BB232_10 Depth=1
	s_or_b32 exec_lo, exec_lo, s6
	v_mov_b32_e32 v2, 0
	v_mov_b32_e32 v3, 0
	v_mov_b32_e32 v1, 0xff
	s_mov_b32 s6, exec_lo
	buffer_store_dword v2, off, s[0:3], s32 offset:652 ; 4-byte Folded Spill
	buffer_store_dword v3, off, s[0:3], s32 offset:656 ; 4-byte Folded Spill
	v_mov_b32_e32 v2, 0
	v_and_b32_sdwa v1, v0, v1 dst_sel:DWORD dst_unused:UNUSED_PAD src0_sel:WORD_1 src1_sel:DWORD
	v_mov_b32_e32 v3, 0
	buffer_store_dword v2, off, s[0:3], s32 offset:660 ; 4-byte Folded Spill
	buffer_store_dword v3, off, s[0:3], s32 offset:664 ; 4-byte Folded Spill
	v_cmpx_ne_u16_e32 0, v1
	s_cbranch_execz .LBB232_482
; %bb.475:                              ;   in Loop: Header=BB232_10 Depth=1
	v_cmp_ne_u16_e64 s5, 0x80, v1
	v_bfrev_b32_e32 v1, 1
	v_mov_b32_e32 v2, 0
	buffer_store_dword v1, off, s[0:3], s32 offset:660 ; 4-byte Folded Spill
	buffer_store_dword v2, off, s[0:3], s32 offset:664 ; 4-byte Folded Spill
	s_and_saveexec_b32 s7, s5
	s_cbranch_execz .LBB232_481
; %bb.476:                              ;   in Loop: Header=BB232_10 Depth=1
	v_mov_b32_e32 v3, 0x7f800001
	v_bfe_u32 v2, v0, 16, 7
	v_mov_b32_e32 v4, 0
	s_mov_b32 s17, exec_lo
	buffer_store_dword v3, off, s[0:3], s32 offset:660 ; 4-byte Folded Spill
	buffer_store_dword v4, off, s[0:3], s32 offset:664 ; 4-byte Folded Spill
	v_cmpx_ne_u32_e32 0x7f, v2
	s_cbranch_execz .LBB232_480
; %bb.477:                              ;   in Loop: Header=BB232_10 Depth=1
	v_mov_b32_e32 v1, 7
	s_mov_b32 s18, exec_lo
	v_and_b32_sdwa v60, v0, v1 dst_sel:DWORD dst_unused:UNUSED_PAD src0_sel:WORD_1 src1_sel:DWORD
	v_lshrrev_b32_e32 v1, 3, v2
	v_cmpx_gt_u32_e32 8, v2
; %bb.478:                              ;   in Loop: Header=BB232_10 Depth=1
	v_ffbh_u32_e32 v1, v60
	v_min_u32_e32 v1, 32, v1
	v_subrev_nc_u32_e32 v2, 28, v1
	v_sub_nc_u32_e32 v1, 29, v1
	v_lshlrev_b64 v[2:3], v2, v[60:61]
	v_and_b32_e32 v60, 7, v2
; %bb.479:                              ;   in Loop: Header=BB232_10 Depth=1
	s_or_b32 exec_lo, exec_lo, s18
	v_mov_b32_e32 v2, 24
	v_lshlrev_b32_e32 v3, 20, v60
	v_lshl_add_u32 v1, v1, 23, 0x3c000000
	v_lshlrev_b32_sdwa v2, v2, v0 dst_sel:DWORD dst_unused:UNUSED_PAD src0_sel:DWORD src1_sel:WORD_1
	v_and_b32_e32 v2, 0x80000000, v2
	v_or3_b32 v60, v3, v2, v1
	buffer_store_dword v60, off, s[0:3], s32 offset:660 ; 4-byte Folded Spill
	buffer_store_dword v61, off, s[0:3], s32 offset:664 ; 4-byte Folded Spill
.LBB232_480:                            ;   in Loop: Header=BB232_10 Depth=1
	s_or_b32 exec_lo, exec_lo, s17
.LBB232_481:                            ;   in Loop: Header=BB232_10 Depth=1
	s_or_b32 exec_lo, exec_lo, s7
.LBB232_482:                            ;   in Loop: Header=BB232_10 Depth=1
	s_or_b32 exec_lo, exec_lo, s6
	s_mov_b32 s6, exec_lo
	v_cmpx_lt_u32_e32 0xffffff, v0
	s_cbranch_execz .LBB232_490
; %bb.483:                              ;   in Loop: Header=BB232_10 Depth=1
	v_mov_b32_e32 v1, 0x80
	v_mov_b32_e32 v84, v61
	buffer_store_dword v84, off, s[0:3], s32 offset:652 ; 4-byte Folded Spill
	buffer_store_dword v85, off, s[0:3], s32 offset:656 ; 4-byte Folded Spill
	v_cmp_ne_u32_sdwa s5, v0, v1 src0_sel:BYTE_3 src1_sel:DWORD
	s_and_saveexec_b32 s7, s5
	s_cbranch_execz .LBB232_489
; %bb.484:                              ;   in Loop: Header=BB232_10 Depth=1
	v_bfe_u32 v2, v0, 24, 7
	v_mov_b32_e32 v86, v61
	s_mov_b32 s17, exec_lo
	buffer_store_dword v86, off, s[0:3], s32 offset:652 ; 4-byte Folded Spill
	buffer_store_dword v87, off, s[0:3], s32 offset:656 ; 4-byte Folded Spill
	v_cmpx_ne_u32_e32 0x7f, v2
	s_cbranch_execz .LBB232_488
; %bb.485:                              ;   in Loop: Header=BB232_10 Depth=1
	v_mov_b32_e32 v1, 7
	s_mov_b32 s18, exec_lo
	v_and_b32_sdwa v60, v0, v1 dst_sel:DWORD dst_unused:UNUSED_PAD src0_sel:BYTE_3 src1_sel:DWORD
	v_lshrrev_b32_e32 v1, 3, v2
	v_cmpx_gt_u32_e32 8, v2
; %bb.486:                              ;   in Loop: Header=BB232_10 Depth=1
	v_ffbh_u32_e32 v1, v60
	v_min_u32_e32 v1, 32, v1
	v_subrev_nc_u32_e32 v2, 28, v1
	v_sub_nc_u32_e32 v1, 29, v1
	v_lshlrev_b64 v[2:3], v2, v[60:61]
	v_and_b32_e32 v60, 7, v2
; %bb.487:                              ;   in Loop: Header=BB232_10 Depth=1
	s_or_b32 exec_lo, exec_lo, s18
	v_mov_b32_e32 v2, 24
	v_lshl_add_u32 v1, v1, 23, 0x3c000000
	v_lshlrev_b32_sdwa v0, v2, v0 dst_sel:DWORD dst_unused:UNUSED_PAD src0_sel:DWORD src1_sel:BYTE_3
	v_lshlrev_b32_e32 v2, 20, v60
	v_and_b32_e32 v0, 0x80000000, v0
	v_or3_b32 v1, v2, v0, v1
	v_mov_b32_e32 v0, v61
	buffer_store_dword v0, off, s[0:3], s32 offset:652 ; 4-byte Folded Spill
	buffer_store_dword v1, off, s[0:3], s32 offset:656 ; 4-byte Folded Spill
.LBB232_488:                            ;   in Loop: Header=BB232_10 Depth=1
	s_or_b32 exec_lo, exec_lo, s17
.LBB232_489:                            ;   in Loop: Header=BB232_10 Depth=1
	s_or_b32 exec_lo, exec_lo, s7
.LBB232_490:                            ;   in Loop: Header=BB232_10 Depth=1
	s_or_b32 exec_lo, exec_lo, s6
	flat_load_dword v0, v[39:40] offset:1548
	v_mov_b32_e32 v1, 0
	v_mov_b32_e32 v2, 0
	buffer_store_dword v1, off, s[0:3], s32 offset:676 ; 4-byte Folded Spill
	buffer_store_dword v2, off, s[0:3], s32 offset:680 ; 4-byte Folded Spill
	v_mov_b32_e32 v1, 0
	v_mov_b32_e32 v2, 0
	buffer_store_dword v1, off, s[0:3], s32 offset:700 ; 4-byte Folded Spill
	buffer_store_dword v2, off, s[0:3], s32 offset:704 ; 4-byte Folded Spill
	s_waitcnt vmcnt(0) lgkmcnt(0)
	v_cmp_ne_u16_sdwa s5, v0, v61 src0_sel:BYTE_0 src1_sel:DWORD
	s_and_saveexec_b32 s6, s5
	s_cbranch_execz .LBB232_498
; %bb.491:                              ;   in Loop: Header=BB232_10 Depth=1
	v_bfrev_b32_e32 v1, 1
	v_mov_b32_e32 v2, 0
	buffer_store_dword v1, off, s[0:3], s32 offset:700 ; 4-byte Folded Spill
	buffer_store_dword v2, off, s[0:3], s32 offset:704 ; 4-byte Folded Spill
	v_mov_b32_e32 v1, 0x80
	v_cmp_ne_u16_sdwa s5, v0, v1 src0_sel:BYTE_0 src1_sel:DWORD
	s_and_saveexec_b32 s7, s5
	s_cbranch_execz .LBB232_497
; %bb.492:                              ;   in Loop: Header=BB232_10 Depth=1
	v_mov_b32_e32 v3, 0x7f800001
	v_and_b32_e32 v2, 0x7f, v0
	v_mov_b32_e32 v4, 0
	s_mov_b32 s17, exec_lo
	buffer_store_dword v3, off, s[0:3], s32 offset:700 ; 4-byte Folded Spill
	buffer_store_dword v4, off, s[0:3], s32 offset:704 ; 4-byte Folded Spill
	v_cmpx_ne_u32_e32 0x7f, v2
	s_cbranch_execz .LBB232_496
; %bb.493:                              ;   in Loop: Header=BB232_10 Depth=1
	v_and_b32_e32 v60, 7, v0
	v_lshrrev_b32_e32 v1, 3, v2
	s_mov_b32 s18, exec_lo
	v_cmpx_gt_u32_e32 8, v2
; %bb.494:                              ;   in Loop: Header=BB232_10 Depth=1
	v_ffbh_u32_e32 v1, v60
	v_min_u32_e32 v1, 32, v1
	v_subrev_nc_u32_e32 v2, 28, v1
	v_sub_nc_u32_e32 v1, 29, v1
	v_lshlrev_b64 v[2:3], v2, v[60:61]
	v_and_b32_e32 v60, 7, v2
; %bb.495:                              ;   in Loop: Header=BB232_10 Depth=1
	s_or_b32 exec_lo, exec_lo, s18
	v_lshlrev_b32_e32 v2, 24, v0
	v_lshlrev_b32_e32 v3, 20, v60
	v_lshl_add_u32 v1, v1, 23, 0x3c000000
	v_and_b32_e32 v2, 0x80000000, v2
	v_or3_b32 v60, v3, v2, v1
	buffer_store_dword v60, off, s[0:3], s32 offset:700 ; 4-byte Folded Spill
	buffer_store_dword v61, off, s[0:3], s32 offset:704 ; 4-byte Folded Spill
.LBB232_496:                            ;   in Loop: Header=BB232_10 Depth=1
	s_or_b32 exec_lo, exec_lo, s17
.LBB232_497:                            ;   in Loop: Header=BB232_10 Depth=1
	s_or_b32 exec_lo, exec_lo, s7
.LBB232_498:                            ;   in Loop: Header=BB232_10 Depth=1
	s_or_b32 exec_lo, exec_lo, s6
	v_cmp_ne_u16_sdwa s5, v0, v61 src0_sel:BYTE_1 src1_sel:DWORD
	s_and_saveexec_b32 s6, s5
	s_cbranch_execz .LBB232_506
; %bb.499:                              ;   in Loop: Header=BB232_10 Depth=1
	v_mov_b32_e32 v1, 0x80
	v_mov_b32_e32 v84, v61
	buffer_store_dword v84, off, s[0:3], s32 offset:676 ; 4-byte Folded Spill
	buffer_store_dword v85, off, s[0:3], s32 offset:680 ; 4-byte Folded Spill
	v_cmp_ne_u16_sdwa s5, v0, v1 src0_sel:BYTE_1 src1_sel:DWORD
	s_and_saveexec_b32 s7, s5
	s_cbranch_execz .LBB232_505
; %bb.500:                              ;   in Loop: Header=BB232_10 Depth=1
	v_mov_b32_e32 v1, 0xffff
	v_mov_b32_e32 v86, v61
	s_mov_b32 s17, exec_lo
	buffer_store_dword v86, off, s[0:3], s32 offset:676 ; 4-byte Folded Spill
	buffer_store_dword v87, off, s[0:3], s32 offset:680 ; 4-byte Folded Spill
	v_and_b32_sdwa v1, v1, v0 dst_sel:DWORD dst_unused:UNUSED_PAD src0_sel:DWORD src1_sel:BYTE_1
	v_and_b32_e32 v2, 0x7f, v1
	v_cmpx_ne_u32_e32 0x7f, v2
	s_cbranch_execz .LBB232_504
; %bb.501:                              ;   in Loop: Header=BB232_10 Depth=1
	v_and_b32_e32 v60, 7, v1
	v_lshrrev_b32_e32 v1, 3, v2
	s_mov_b32 s18, exec_lo
	v_cmpx_gt_u32_e32 8, v2
; %bb.502:                              ;   in Loop: Header=BB232_10 Depth=1
	v_ffbh_u32_e32 v1, v60
	v_min_u32_e32 v1, 32, v1
	v_subrev_nc_u32_e32 v2, 28, v1
	v_sub_nc_u32_e32 v1, 29, v1
	v_lshlrev_b64 v[2:3], v2, v[60:61]
	v_and_b32_e32 v60, 7, v2
; %bb.503:                              ;   in Loop: Header=BB232_10 Depth=1
	s_or_b32 exec_lo, exec_lo, s18
	v_lshlrev_b32_e32 v2, 16, v0
	v_lshlrev_b32_e32 v3, 20, v60
	v_lshl_add_u32 v1, v1, 23, 0x3c000000
	v_and_b32_e32 v2, 0x80000000, v2
	v_or3_b32 v2, v3, v2, v1
	v_mov_b32_e32 v1, v61
	buffer_store_dword v1, off, s[0:3], s32 offset:676 ; 4-byte Folded Spill
	buffer_store_dword v2, off, s[0:3], s32 offset:680 ; 4-byte Folded Spill
.LBB232_504:                            ;   in Loop: Header=BB232_10 Depth=1
	s_or_b32 exec_lo, exec_lo, s17
.LBB232_505:                            ;   in Loop: Header=BB232_10 Depth=1
	s_or_b32 exec_lo, exec_lo, s7
.LBB232_506:                            ;   in Loop: Header=BB232_10 Depth=1
	s_or_b32 exec_lo, exec_lo, s6
	v_mov_b32_e32 v2, 0
	v_mov_b32_e32 v3, 0
	;; [unrolled: 1-line block ×3, first 2 shown]
	s_mov_b32 s6, exec_lo
	buffer_store_dword v2, off, s[0:3], s32 offset:684 ; 4-byte Folded Spill
	buffer_store_dword v3, off, s[0:3], s32 offset:688 ; 4-byte Folded Spill
	v_mov_b32_e32 v2, 0
	v_and_b32_sdwa v1, v0, v1 dst_sel:DWORD dst_unused:UNUSED_PAD src0_sel:WORD_1 src1_sel:DWORD
	v_mov_b32_e32 v3, 0
	buffer_store_dword v2, off, s[0:3], s32 offset:692 ; 4-byte Folded Spill
	buffer_store_dword v3, off, s[0:3], s32 offset:696 ; 4-byte Folded Spill
	v_cmpx_ne_u16_e32 0, v1
	s_cbranch_execz .LBB232_514
; %bb.507:                              ;   in Loop: Header=BB232_10 Depth=1
	v_cmp_ne_u16_e64 s5, 0x80, v1
	v_bfrev_b32_e32 v1, 1
	v_mov_b32_e32 v2, 0
	buffer_store_dword v1, off, s[0:3], s32 offset:692 ; 4-byte Folded Spill
	buffer_store_dword v2, off, s[0:3], s32 offset:696 ; 4-byte Folded Spill
	s_and_saveexec_b32 s7, s5
	s_cbranch_execz .LBB232_513
; %bb.508:                              ;   in Loop: Header=BB232_10 Depth=1
	v_mov_b32_e32 v3, 0x7f800001
	v_bfe_u32 v2, v0, 16, 7
	v_mov_b32_e32 v4, 0
	s_mov_b32 s17, exec_lo
	buffer_store_dword v3, off, s[0:3], s32 offset:692 ; 4-byte Folded Spill
	buffer_store_dword v4, off, s[0:3], s32 offset:696 ; 4-byte Folded Spill
	v_cmpx_ne_u32_e32 0x7f, v2
	s_cbranch_execz .LBB232_512
; %bb.509:                              ;   in Loop: Header=BB232_10 Depth=1
	v_mov_b32_e32 v1, 7
	s_mov_b32 s18, exec_lo
	v_and_b32_sdwa v60, v0, v1 dst_sel:DWORD dst_unused:UNUSED_PAD src0_sel:WORD_1 src1_sel:DWORD
	v_lshrrev_b32_e32 v1, 3, v2
	v_cmpx_gt_u32_e32 8, v2
; %bb.510:                              ;   in Loop: Header=BB232_10 Depth=1
	v_ffbh_u32_e32 v1, v60
	v_min_u32_e32 v1, 32, v1
	v_subrev_nc_u32_e32 v2, 28, v1
	v_sub_nc_u32_e32 v1, 29, v1
	v_lshlrev_b64 v[2:3], v2, v[60:61]
	v_and_b32_e32 v60, 7, v2
; %bb.511:                              ;   in Loop: Header=BB232_10 Depth=1
	s_or_b32 exec_lo, exec_lo, s18
	v_mov_b32_e32 v2, 24
	v_lshlrev_b32_e32 v3, 20, v60
	v_lshl_add_u32 v1, v1, 23, 0x3c000000
	v_lshlrev_b32_sdwa v2, v2, v0 dst_sel:DWORD dst_unused:UNUSED_PAD src0_sel:DWORD src1_sel:WORD_1
	v_and_b32_e32 v2, 0x80000000, v2
	v_or3_b32 v60, v3, v2, v1
	buffer_store_dword v60, off, s[0:3], s32 offset:692 ; 4-byte Folded Spill
	buffer_store_dword v61, off, s[0:3], s32 offset:696 ; 4-byte Folded Spill
.LBB232_512:                            ;   in Loop: Header=BB232_10 Depth=1
	s_or_b32 exec_lo, exec_lo, s17
.LBB232_513:                            ;   in Loop: Header=BB232_10 Depth=1
	s_or_b32 exec_lo, exec_lo, s7
.LBB232_514:                            ;   in Loop: Header=BB232_10 Depth=1
	s_or_b32 exec_lo, exec_lo, s6
	s_mov_b32 s6, exec_lo
	v_cmpx_lt_u32_e32 0xffffff, v0
	s_cbranch_execz .LBB232_522
; %bb.515:                              ;   in Loop: Header=BB232_10 Depth=1
	v_mov_b32_e32 v1, 0x80
	v_mov_b32_e32 v84, v61
	buffer_store_dword v84, off, s[0:3], s32 offset:684 ; 4-byte Folded Spill
	buffer_store_dword v85, off, s[0:3], s32 offset:688 ; 4-byte Folded Spill
	v_cmp_ne_u32_sdwa s5, v0, v1 src0_sel:BYTE_3 src1_sel:DWORD
	s_and_saveexec_b32 s7, s5
	s_cbranch_execz .LBB232_521
; %bb.516:                              ;   in Loop: Header=BB232_10 Depth=1
	v_bfe_u32 v2, v0, 24, 7
	v_mov_b32_e32 v86, v61
	s_mov_b32 s17, exec_lo
	buffer_store_dword v86, off, s[0:3], s32 offset:684 ; 4-byte Folded Spill
	buffer_store_dword v87, off, s[0:3], s32 offset:688 ; 4-byte Folded Spill
	v_cmpx_ne_u32_e32 0x7f, v2
	s_cbranch_execz .LBB232_520
; %bb.517:                              ;   in Loop: Header=BB232_10 Depth=1
	v_mov_b32_e32 v1, 7
	s_mov_b32 s18, exec_lo
	v_and_b32_sdwa v60, v0, v1 dst_sel:DWORD dst_unused:UNUSED_PAD src0_sel:BYTE_3 src1_sel:DWORD
	v_lshrrev_b32_e32 v1, 3, v2
	v_cmpx_gt_u32_e32 8, v2
; %bb.518:                              ;   in Loop: Header=BB232_10 Depth=1
	v_ffbh_u32_e32 v1, v60
	v_min_u32_e32 v1, 32, v1
	v_subrev_nc_u32_e32 v2, 28, v1
	v_sub_nc_u32_e32 v1, 29, v1
	v_lshlrev_b64 v[2:3], v2, v[60:61]
	v_and_b32_e32 v60, 7, v2
; %bb.519:                              ;   in Loop: Header=BB232_10 Depth=1
	s_or_b32 exec_lo, exec_lo, s18
	v_mov_b32_e32 v2, 24
	v_lshl_add_u32 v1, v1, 23, 0x3c000000
	v_lshlrev_b32_sdwa v0, v2, v0 dst_sel:DWORD dst_unused:UNUSED_PAD src0_sel:DWORD src1_sel:BYTE_3
	v_lshlrev_b32_e32 v2, 20, v60
	v_and_b32_e32 v0, 0x80000000, v0
	v_or3_b32 v1, v2, v0, v1
	v_mov_b32_e32 v0, v61
	buffer_store_dword v0, off, s[0:3], s32 offset:684 ; 4-byte Folded Spill
	buffer_store_dword v1, off, s[0:3], s32 offset:688 ; 4-byte Folded Spill
.LBB232_520:                            ;   in Loop: Header=BB232_10 Depth=1
	s_or_b32 exec_lo, exec_lo, s17
.LBB232_521:                            ;   in Loop: Header=BB232_10 Depth=1
	s_or_b32 exec_lo, exec_lo, s7
.LBB232_522:                            ;   in Loop: Header=BB232_10 Depth=1
	s_or_b32 exec_lo, exec_lo, s6
	v_add_co_u32 v2, s5, 0x800, v39
	v_add_co_ci_u32_e64 v3, null, 0, v40, s5
	v_mov_b32_e32 v4, 0
	v_mov_b32_e32 v5, 0
	flat_load_dword v0, v[2:3]
	buffer_store_dword v4, off, s[0:3], s32 offset:708 ; 4-byte Folded Spill
	buffer_store_dword v5, off, s[0:3], s32 offset:712 ; 4-byte Folded Spill
	v_mov_b32_e32 v4, 0
	v_mov_b32_e32 v5, 0
	buffer_store_dword v4, off, s[0:3], s32 offset:732 ; 4-byte Folded Spill
	buffer_store_dword v5, off, s[0:3], s32 offset:736 ; 4-byte Folded Spill
	s_waitcnt vmcnt(0) lgkmcnt(0)
	v_cmp_ne_u16_sdwa s5, v0, v61 src0_sel:BYTE_0 src1_sel:DWORD
	s_and_saveexec_b32 s6, s5
	s_cbranch_execz .LBB232_530
; %bb.523:                              ;   in Loop: Header=BB232_10 Depth=1
	v_mov_b32_e32 v1, 0x80
	v_bfrev_b32_e32 v4, 1
	v_mov_b32_e32 v5, 0
	buffer_store_dword v4, off, s[0:3], s32 offset:732 ; 4-byte Folded Spill
	buffer_store_dword v5, off, s[0:3], s32 offset:736 ; 4-byte Folded Spill
	v_cmp_ne_u16_sdwa s5, v0, v1 src0_sel:BYTE_0 src1_sel:DWORD
	s_and_saveexec_b32 s7, s5
	s_cbranch_execz .LBB232_529
; %bb.524:                              ;   in Loop: Header=BB232_10 Depth=1
	v_mov_b32_e32 v5, 0x7f800001
	v_and_b32_e32 v4, 0x7f, v0
	v_mov_b32_e32 v6, 0
	s_mov_b32 s17, exec_lo
	buffer_store_dword v5, off, s[0:3], s32 offset:732 ; 4-byte Folded Spill
	buffer_store_dword v6, off, s[0:3], s32 offset:736 ; 4-byte Folded Spill
	v_cmpx_ne_u32_e32 0x7f, v4
	s_cbranch_execz .LBB232_528
; %bb.525:                              ;   in Loop: Header=BB232_10 Depth=1
	v_and_b32_e32 v60, 7, v0
	v_lshrrev_b32_e32 v1, 3, v4
	s_mov_b32 s18, exec_lo
	v_cmpx_gt_u32_e32 8, v4
; %bb.526:                              ;   in Loop: Header=BB232_10 Depth=1
	v_ffbh_u32_e32 v1, v60
	v_min_u32_e32 v1, 32, v1
	v_subrev_nc_u32_e32 v4, 28, v1
	v_sub_nc_u32_e32 v1, 29, v1
	v_lshlrev_b64 v[4:5], v4, v[60:61]
	v_and_b32_e32 v60, 7, v4
; %bb.527:                              ;   in Loop: Header=BB232_10 Depth=1
	s_or_b32 exec_lo, exec_lo, s18
	v_lshlrev_b32_e32 v4, 24, v0
	v_lshlrev_b32_e32 v5, 20, v60
	v_lshl_add_u32 v1, v1, 23, 0x3c000000
	v_and_b32_e32 v4, 0x80000000, v4
	v_or3_b32 v60, v5, v4, v1
	buffer_store_dword v60, off, s[0:3], s32 offset:732 ; 4-byte Folded Spill
	buffer_store_dword v61, off, s[0:3], s32 offset:736 ; 4-byte Folded Spill
.LBB232_528:                            ;   in Loop: Header=BB232_10 Depth=1
	s_or_b32 exec_lo, exec_lo, s17
.LBB232_529:                            ;   in Loop: Header=BB232_10 Depth=1
	s_or_b32 exec_lo, exec_lo, s7
.LBB232_530:                            ;   in Loop: Header=BB232_10 Depth=1
	s_or_b32 exec_lo, exec_lo, s6
	v_cmp_ne_u16_sdwa s5, v0, v61 src0_sel:BYTE_1 src1_sel:DWORD
	s_and_saveexec_b32 s6, s5
	s_cbranch_execz .LBB232_538
; %bb.531:                              ;   in Loop: Header=BB232_10 Depth=1
	v_mov_b32_e32 v1, 0x80
	v_mov_b32_e32 v84, v61
	buffer_store_dword v84, off, s[0:3], s32 offset:708 ; 4-byte Folded Spill
	buffer_store_dword v85, off, s[0:3], s32 offset:712 ; 4-byte Folded Spill
	v_cmp_ne_u16_sdwa s5, v0, v1 src0_sel:BYTE_1 src1_sel:DWORD
	s_and_saveexec_b32 s7, s5
	s_cbranch_execz .LBB232_537
; %bb.532:                              ;   in Loop: Header=BB232_10 Depth=1
	v_mov_b32_e32 v1, 0xffff
	v_mov_b32_e32 v86, v61
	s_mov_b32 s17, exec_lo
	buffer_store_dword v86, off, s[0:3], s32 offset:708 ; 4-byte Folded Spill
	buffer_store_dword v87, off, s[0:3], s32 offset:712 ; 4-byte Folded Spill
	v_and_b32_sdwa v1, v1, v0 dst_sel:DWORD dst_unused:UNUSED_PAD src0_sel:DWORD src1_sel:BYTE_1
	v_and_b32_e32 v4, 0x7f, v1
	v_cmpx_ne_u32_e32 0x7f, v4
	s_cbranch_execz .LBB232_536
; %bb.533:                              ;   in Loop: Header=BB232_10 Depth=1
	v_and_b32_e32 v60, 7, v1
	v_lshrrev_b32_e32 v1, 3, v4
	s_mov_b32 s18, exec_lo
	v_cmpx_gt_u32_e32 8, v4
; %bb.534:                              ;   in Loop: Header=BB232_10 Depth=1
	v_ffbh_u32_e32 v1, v60
	v_min_u32_e32 v1, 32, v1
	v_subrev_nc_u32_e32 v4, 28, v1
	v_sub_nc_u32_e32 v1, 29, v1
	v_lshlrev_b64 v[4:5], v4, v[60:61]
	v_and_b32_e32 v60, 7, v4
; %bb.535:                              ;   in Loop: Header=BB232_10 Depth=1
	s_or_b32 exec_lo, exec_lo, s18
	v_lshlrev_b32_e32 v4, 16, v0
	v_lshlrev_b32_e32 v5, 20, v60
	v_lshl_add_u32 v1, v1, 23, 0x3c000000
	v_and_b32_e32 v4, 0x80000000, v4
	v_or3_b32 v5, v5, v4, v1
	v_mov_b32_e32 v4, v61
	buffer_store_dword v4, off, s[0:3], s32 offset:708 ; 4-byte Folded Spill
	buffer_store_dword v5, off, s[0:3], s32 offset:712 ; 4-byte Folded Spill
.LBB232_536:                            ;   in Loop: Header=BB232_10 Depth=1
	s_or_b32 exec_lo, exec_lo, s17
.LBB232_537:                            ;   in Loop: Header=BB232_10 Depth=1
	s_or_b32 exec_lo, exec_lo, s7
.LBB232_538:                            ;   in Loop: Header=BB232_10 Depth=1
	s_or_b32 exec_lo, exec_lo, s6
	v_mov_b32_e32 v4, 0
	v_mov_b32_e32 v5, 0
	;; [unrolled: 1-line block ×3, first 2 shown]
	s_mov_b32 s6, exec_lo
	buffer_store_dword v4, off, s[0:3], s32 offset:716 ; 4-byte Folded Spill
	buffer_store_dword v5, off, s[0:3], s32 offset:720 ; 4-byte Folded Spill
	v_mov_b32_e32 v4, 0
	v_and_b32_sdwa v1, v0, v1 dst_sel:DWORD dst_unused:UNUSED_PAD src0_sel:WORD_1 src1_sel:DWORD
	v_mov_b32_e32 v5, 0
	buffer_store_dword v4, off, s[0:3], s32 offset:724 ; 4-byte Folded Spill
	buffer_store_dword v5, off, s[0:3], s32 offset:728 ; 4-byte Folded Spill
	v_cmpx_ne_u16_e32 0, v1
	s_cbranch_execz .LBB232_546
; %bb.539:                              ;   in Loop: Header=BB232_10 Depth=1
	v_bfrev_b32_e32 v4, 1
	v_mov_b32_e32 v5, 0
	s_mov_b32 s7, exec_lo
	buffer_store_dword v4, off, s[0:3], s32 offset:724 ; 4-byte Folded Spill
	buffer_store_dword v5, off, s[0:3], s32 offset:728 ; 4-byte Folded Spill
	v_cmpx_ne_u16_e32 0x80, v1
	s_cbranch_execz .LBB232_545
; %bb.540:                              ;   in Loop: Header=BB232_10 Depth=1
	v_mov_b32_e32 v5, 0x7f800001
	v_bfe_u32 v4, v0, 16, 7
	v_mov_b32_e32 v6, 0
	s_mov_b32 s17, exec_lo
	buffer_store_dword v5, off, s[0:3], s32 offset:724 ; 4-byte Folded Spill
	buffer_store_dword v6, off, s[0:3], s32 offset:728 ; 4-byte Folded Spill
	v_cmpx_ne_u32_e32 0x7f, v4
	s_cbranch_execz .LBB232_544
; %bb.541:                              ;   in Loop: Header=BB232_10 Depth=1
	v_mov_b32_e32 v1, 7
	s_mov_b32 s18, exec_lo
	v_and_b32_sdwa v60, v0, v1 dst_sel:DWORD dst_unused:UNUSED_PAD src0_sel:WORD_1 src1_sel:DWORD
	v_lshrrev_b32_e32 v1, 3, v4
	v_cmpx_gt_u32_e32 8, v4
; %bb.542:                              ;   in Loop: Header=BB232_10 Depth=1
	v_ffbh_u32_e32 v1, v60
	v_min_u32_e32 v1, 32, v1
	v_subrev_nc_u32_e32 v4, 28, v1
	v_sub_nc_u32_e32 v1, 29, v1
	v_lshlrev_b64 v[4:5], v4, v[60:61]
	v_and_b32_e32 v60, 7, v4
; %bb.543:                              ;   in Loop: Header=BB232_10 Depth=1
	s_or_b32 exec_lo, exec_lo, s18
	v_mov_b32_e32 v4, 24
	v_lshlrev_b32_e32 v5, 20, v60
	v_lshl_add_u32 v1, v1, 23, 0x3c000000
	v_lshlrev_b32_sdwa v4, v4, v0 dst_sel:DWORD dst_unused:UNUSED_PAD src0_sel:DWORD src1_sel:WORD_1
	v_and_b32_e32 v4, 0x80000000, v4
	v_or3_b32 v60, v5, v4, v1
	buffer_store_dword v60, off, s[0:3], s32 offset:724 ; 4-byte Folded Spill
	buffer_store_dword v61, off, s[0:3], s32 offset:728 ; 4-byte Folded Spill
.LBB232_544:                            ;   in Loop: Header=BB232_10 Depth=1
	s_or_b32 exec_lo, exec_lo, s17
.LBB232_545:                            ;   in Loop: Header=BB232_10 Depth=1
	s_or_b32 exec_lo, exec_lo, s7
.LBB232_546:                            ;   in Loop: Header=BB232_10 Depth=1
	s_or_b32 exec_lo, exec_lo, s6
	s_mov_b32 s6, exec_lo
	v_cmpx_lt_u32_e32 0xffffff, v0
	s_cbranch_execz .LBB232_554
; %bb.547:                              ;   in Loop: Header=BB232_10 Depth=1
	v_mov_b32_e32 v1, 0x80
	v_mov_b32_e32 v84, v61
	buffer_store_dword v84, off, s[0:3], s32 offset:716 ; 4-byte Folded Spill
	buffer_store_dword v85, off, s[0:3], s32 offset:720 ; 4-byte Folded Spill
	v_cmp_ne_u32_sdwa s5, v0, v1 src0_sel:BYTE_3 src1_sel:DWORD
	s_and_saveexec_b32 s7, s5
	s_cbranch_execz .LBB232_553
; %bb.548:                              ;   in Loop: Header=BB232_10 Depth=1
	v_bfe_u32 v4, v0, 24, 7
	v_mov_b32_e32 v86, v61
	s_mov_b32 s17, exec_lo
	buffer_store_dword v86, off, s[0:3], s32 offset:716 ; 4-byte Folded Spill
	buffer_store_dword v87, off, s[0:3], s32 offset:720 ; 4-byte Folded Spill
	v_cmpx_ne_u32_e32 0x7f, v4
	s_cbranch_execz .LBB232_552
; %bb.549:                              ;   in Loop: Header=BB232_10 Depth=1
	v_mov_b32_e32 v1, 7
	s_mov_b32 s18, exec_lo
	v_and_b32_sdwa v60, v0, v1 dst_sel:DWORD dst_unused:UNUSED_PAD src0_sel:BYTE_3 src1_sel:DWORD
	v_lshrrev_b32_e32 v1, 3, v4
	v_cmpx_gt_u32_e32 8, v4
; %bb.550:                              ;   in Loop: Header=BB232_10 Depth=1
	v_ffbh_u32_e32 v1, v60
	v_min_u32_e32 v1, 32, v1
	v_subrev_nc_u32_e32 v4, 28, v1
	v_sub_nc_u32_e32 v1, 29, v1
	v_lshlrev_b64 v[4:5], v4, v[60:61]
	v_and_b32_e32 v60, 7, v4
; %bb.551:                              ;   in Loop: Header=BB232_10 Depth=1
	s_or_b32 exec_lo, exec_lo, s18
	v_mov_b32_e32 v4, 24
	v_lshl_add_u32 v1, v1, 23, 0x3c000000
	v_lshlrev_b32_sdwa v0, v4, v0 dst_sel:DWORD dst_unused:UNUSED_PAD src0_sel:DWORD src1_sel:BYTE_3
	v_lshlrev_b32_e32 v4, 20, v60
	v_and_b32_e32 v0, 0x80000000, v0
	v_or3_b32 v1, v4, v0, v1
	v_mov_b32_e32 v0, v61
	buffer_store_dword v0, off, s[0:3], s32 offset:716 ; 4-byte Folded Spill
	buffer_store_dword v1, off, s[0:3], s32 offset:720 ; 4-byte Folded Spill
.LBB232_552:                            ;   in Loop: Header=BB232_10 Depth=1
	s_or_b32 exec_lo, exec_lo, s17
.LBB232_553:                            ;   in Loop: Header=BB232_10 Depth=1
	s_or_b32 exec_lo, exec_lo, s7
.LBB232_554:                            ;   in Loop: Header=BB232_10 Depth=1
	s_or_b32 exec_lo, exec_lo, s6
	flat_load_dword v0, v[2:3] offset:4
	v_mov_b32_e32 v4, 0
	v_mov_b32_e32 v5, 0
	buffer_store_dword v4, off, s[0:3], s32 offset:740 ; 4-byte Folded Spill
	buffer_store_dword v5, off, s[0:3], s32 offset:744 ; 4-byte Folded Spill
	v_mov_b32_e32 v4, 0
	v_mov_b32_e32 v5, 0
	buffer_store_dword v4, off, s[0:3], s32 offset:764 ; 4-byte Folded Spill
	buffer_store_dword v5, off, s[0:3], s32 offset:768 ; 4-byte Folded Spill
	s_waitcnt vmcnt(0) lgkmcnt(0)
	v_cmp_ne_u16_sdwa s5, v0, v61 src0_sel:BYTE_0 src1_sel:DWORD
	s_and_saveexec_b32 s6, s5
	s_cbranch_execz .LBB232_562
; %bb.555:                              ;   in Loop: Header=BB232_10 Depth=1
	v_mov_b32_e32 v1, 0x80
	v_bfrev_b32_e32 v4, 1
	v_mov_b32_e32 v5, 0
	buffer_store_dword v4, off, s[0:3], s32 offset:764 ; 4-byte Folded Spill
	buffer_store_dword v5, off, s[0:3], s32 offset:768 ; 4-byte Folded Spill
	v_cmp_ne_u16_sdwa s5, v0, v1 src0_sel:BYTE_0 src1_sel:DWORD
	s_and_saveexec_b32 s7, s5
	s_cbranch_execz .LBB232_561
; %bb.556:                              ;   in Loop: Header=BB232_10 Depth=1
	v_mov_b32_e32 v5, 0x7f800001
	v_and_b32_e32 v4, 0x7f, v0
	v_mov_b32_e32 v6, 0
	s_mov_b32 s17, exec_lo
	buffer_store_dword v5, off, s[0:3], s32 offset:764 ; 4-byte Folded Spill
	buffer_store_dword v6, off, s[0:3], s32 offset:768 ; 4-byte Folded Spill
	v_cmpx_ne_u32_e32 0x7f, v4
	s_cbranch_execz .LBB232_560
; %bb.557:                              ;   in Loop: Header=BB232_10 Depth=1
	v_and_b32_e32 v60, 7, v0
	v_lshrrev_b32_e32 v1, 3, v4
	s_mov_b32 s18, exec_lo
	v_cmpx_gt_u32_e32 8, v4
; %bb.558:                              ;   in Loop: Header=BB232_10 Depth=1
	v_ffbh_u32_e32 v1, v60
	v_min_u32_e32 v1, 32, v1
	v_subrev_nc_u32_e32 v4, 28, v1
	v_sub_nc_u32_e32 v1, 29, v1
	v_lshlrev_b64 v[4:5], v4, v[60:61]
	v_and_b32_e32 v60, 7, v4
; %bb.559:                              ;   in Loop: Header=BB232_10 Depth=1
	s_or_b32 exec_lo, exec_lo, s18
	v_lshlrev_b32_e32 v4, 24, v0
	v_lshlrev_b32_e32 v5, 20, v60
	v_lshl_add_u32 v1, v1, 23, 0x3c000000
	v_and_b32_e32 v4, 0x80000000, v4
	v_or3_b32 v60, v5, v4, v1
	buffer_store_dword v60, off, s[0:3], s32 offset:764 ; 4-byte Folded Spill
	buffer_store_dword v61, off, s[0:3], s32 offset:768 ; 4-byte Folded Spill
.LBB232_560:                            ;   in Loop: Header=BB232_10 Depth=1
	s_or_b32 exec_lo, exec_lo, s17
.LBB232_561:                            ;   in Loop: Header=BB232_10 Depth=1
	s_or_b32 exec_lo, exec_lo, s7
.LBB232_562:                            ;   in Loop: Header=BB232_10 Depth=1
	s_or_b32 exec_lo, exec_lo, s6
	v_cmp_ne_u16_sdwa s5, v0, v61 src0_sel:BYTE_1 src1_sel:DWORD
	s_and_saveexec_b32 s6, s5
	s_cbranch_execz .LBB232_570
; %bb.563:                              ;   in Loop: Header=BB232_10 Depth=1
	v_mov_b32_e32 v1, 0x80
	v_mov_b32_e32 v84, v61
	buffer_store_dword v84, off, s[0:3], s32 offset:740 ; 4-byte Folded Spill
	buffer_store_dword v85, off, s[0:3], s32 offset:744 ; 4-byte Folded Spill
	v_cmp_ne_u16_sdwa s5, v0, v1 src0_sel:BYTE_1 src1_sel:DWORD
	s_and_saveexec_b32 s7, s5
	s_cbranch_execz .LBB232_569
; %bb.564:                              ;   in Loop: Header=BB232_10 Depth=1
	v_mov_b32_e32 v1, 0xffff
	v_mov_b32_e32 v86, v61
	s_mov_b32 s17, exec_lo
	buffer_store_dword v86, off, s[0:3], s32 offset:740 ; 4-byte Folded Spill
	buffer_store_dword v87, off, s[0:3], s32 offset:744 ; 4-byte Folded Spill
	v_and_b32_sdwa v1, v1, v0 dst_sel:DWORD dst_unused:UNUSED_PAD src0_sel:DWORD src1_sel:BYTE_1
	v_and_b32_e32 v4, 0x7f, v1
	v_cmpx_ne_u32_e32 0x7f, v4
	s_cbranch_execz .LBB232_568
; %bb.565:                              ;   in Loop: Header=BB232_10 Depth=1
	v_and_b32_e32 v60, 7, v1
	v_lshrrev_b32_e32 v1, 3, v4
	s_mov_b32 s18, exec_lo
	v_cmpx_gt_u32_e32 8, v4
; %bb.566:                              ;   in Loop: Header=BB232_10 Depth=1
	v_ffbh_u32_e32 v1, v60
	v_min_u32_e32 v1, 32, v1
	v_subrev_nc_u32_e32 v4, 28, v1
	v_sub_nc_u32_e32 v1, 29, v1
	v_lshlrev_b64 v[4:5], v4, v[60:61]
	v_and_b32_e32 v60, 7, v4
; %bb.567:                              ;   in Loop: Header=BB232_10 Depth=1
	s_or_b32 exec_lo, exec_lo, s18
	v_lshlrev_b32_e32 v4, 16, v0
	v_lshlrev_b32_e32 v5, 20, v60
	v_lshl_add_u32 v1, v1, 23, 0x3c000000
	v_and_b32_e32 v4, 0x80000000, v4
	v_or3_b32 v5, v5, v4, v1
	v_mov_b32_e32 v4, v61
	buffer_store_dword v4, off, s[0:3], s32 offset:740 ; 4-byte Folded Spill
	buffer_store_dword v5, off, s[0:3], s32 offset:744 ; 4-byte Folded Spill
.LBB232_568:                            ;   in Loop: Header=BB232_10 Depth=1
	s_or_b32 exec_lo, exec_lo, s17
.LBB232_569:                            ;   in Loop: Header=BB232_10 Depth=1
	s_or_b32 exec_lo, exec_lo, s7
.LBB232_570:                            ;   in Loop: Header=BB232_10 Depth=1
	s_or_b32 exec_lo, exec_lo, s6
	v_mov_b32_e32 v4, 0
	v_mov_b32_e32 v5, 0
	;; [unrolled: 1-line block ×3, first 2 shown]
	s_mov_b32 s6, exec_lo
	buffer_store_dword v4, off, s[0:3], s32 offset:748 ; 4-byte Folded Spill
	buffer_store_dword v5, off, s[0:3], s32 offset:752 ; 4-byte Folded Spill
	v_mov_b32_e32 v4, 0
	v_and_b32_sdwa v1, v0, v1 dst_sel:DWORD dst_unused:UNUSED_PAD src0_sel:WORD_1 src1_sel:DWORD
	v_mov_b32_e32 v5, 0
	buffer_store_dword v4, off, s[0:3], s32 offset:756 ; 4-byte Folded Spill
	buffer_store_dword v5, off, s[0:3], s32 offset:760 ; 4-byte Folded Spill
	v_cmpx_ne_u16_e32 0, v1
	s_cbranch_execz .LBB232_578
; %bb.571:                              ;   in Loop: Header=BB232_10 Depth=1
	v_bfrev_b32_e32 v4, 1
	v_mov_b32_e32 v5, 0
	s_mov_b32 s7, exec_lo
	buffer_store_dword v4, off, s[0:3], s32 offset:756 ; 4-byte Folded Spill
	buffer_store_dword v5, off, s[0:3], s32 offset:760 ; 4-byte Folded Spill
	v_cmpx_ne_u16_e32 0x80, v1
	s_cbranch_execz .LBB232_577
; %bb.572:                              ;   in Loop: Header=BB232_10 Depth=1
	v_mov_b32_e32 v5, 0x7f800001
	v_bfe_u32 v4, v0, 16, 7
	v_mov_b32_e32 v6, 0
	s_mov_b32 s17, exec_lo
	buffer_store_dword v5, off, s[0:3], s32 offset:756 ; 4-byte Folded Spill
	buffer_store_dword v6, off, s[0:3], s32 offset:760 ; 4-byte Folded Spill
	v_cmpx_ne_u32_e32 0x7f, v4
	s_cbranch_execz .LBB232_576
; %bb.573:                              ;   in Loop: Header=BB232_10 Depth=1
	v_mov_b32_e32 v1, 7
	s_mov_b32 s18, exec_lo
	v_and_b32_sdwa v60, v0, v1 dst_sel:DWORD dst_unused:UNUSED_PAD src0_sel:WORD_1 src1_sel:DWORD
	v_lshrrev_b32_e32 v1, 3, v4
	v_cmpx_gt_u32_e32 8, v4
; %bb.574:                              ;   in Loop: Header=BB232_10 Depth=1
	v_ffbh_u32_e32 v1, v60
	v_min_u32_e32 v1, 32, v1
	v_subrev_nc_u32_e32 v4, 28, v1
	v_sub_nc_u32_e32 v1, 29, v1
	v_lshlrev_b64 v[4:5], v4, v[60:61]
	v_and_b32_e32 v60, 7, v4
; %bb.575:                              ;   in Loop: Header=BB232_10 Depth=1
	s_or_b32 exec_lo, exec_lo, s18
	v_mov_b32_e32 v4, 24
	v_lshlrev_b32_e32 v5, 20, v60
	v_lshl_add_u32 v1, v1, 23, 0x3c000000
	v_lshlrev_b32_sdwa v4, v4, v0 dst_sel:DWORD dst_unused:UNUSED_PAD src0_sel:DWORD src1_sel:WORD_1
	v_and_b32_e32 v4, 0x80000000, v4
	v_or3_b32 v60, v5, v4, v1
	buffer_store_dword v60, off, s[0:3], s32 offset:756 ; 4-byte Folded Spill
	buffer_store_dword v61, off, s[0:3], s32 offset:760 ; 4-byte Folded Spill
.LBB232_576:                            ;   in Loop: Header=BB232_10 Depth=1
	s_or_b32 exec_lo, exec_lo, s17
.LBB232_577:                            ;   in Loop: Header=BB232_10 Depth=1
	s_or_b32 exec_lo, exec_lo, s7
.LBB232_578:                            ;   in Loop: Header=BB232_10 Depth=1
	s_or_b32 exec_lo, exec_lo, s6
	s_mov_b32 s6, exec_lo
	v_cmpx_lt_u32_e32 0xffffff, v0
	s_cbranch_execz .LBB232_586
; %bb.579:                              ;   in Loop: Header=BB232_10 Depth=1
	v_mov_b32_e32 v1, 0x80
	v_mov_b32_e32 v84, v61
	buffer_store_dword v84, off, s[0:3], s32 offset:748 ; 4-byte Folded Spill
	buffer_store_dword v85, off, s[0:3], s32 offset:752 ; 4-byte Folded Spill
	v_cmp_ne_u32_sdwa s5, v0, v1 src0_sel:BYTE_3 src1_sel:DWORD
	s_and_saveexec_b32 s7, s5
	s_cbranch_execz .LBB232_585
; %bb.580:                              ;   in Loop: Header=BB232_10 Depth=1
	v_bfe_u32 v4, v0, 24, 7
	v_mov_b32_e32 v86, v61
	s_mov_b32 s17, exec_lo
	buffer_store_dword v86, off, s[0:3], s32 offset:748 ; 4-byte Folded Spill
	buffer_store_dword v87, off, s[0:3], s32 offset:752 ; 4-byte Folded Spill
	v_cmpx_ne_u32_e32 0x7f, v4
	s_cbranch_execz .LBB232_584
; %bb.581:                              ;   in Loop: Header=BB232_10 Depth=1
	v_mov_b32_e32 v1, 7
	s_mov_b32 s18, exec_lo
	v_and_b32_sdwa v60, v0, v1 dst_sel:DWORD dst_unused:UNUSED_PAD src0_sel:BYTE_3 src1_sel:DWORD
	v_lshrrev_b32_e32 v1, 3, v4
	v_cmpx_gt_u32_e32 8, v4
; %bb.582:                              ;   in Loop: Header=BB232_10 Depth=1
	v_ffbh_u32_e32 v1, v60
	v_min_u32_e32 v1, 32, v1
	v_subrev_nc_u32_e32 v4, 28, v1
	v_sub_nc_u32_e32 v1, 29, v1
	v_lshlrev_b64 v[4:5], v4, v[60:61]
	v_and_b32_e32 v60, 7, v4
; %bb.583:                              ;   in Loop: Header=BB232_10 Depth=1
	s_or_b32 exec_lo, exec_lo, s18
	v_mov_b32_e32 v4, 24
	v_lshl_add_u32 v1, v1, 23, 0x3c000000
	v_lshlrev_b32_sdwa v0, v4, v0 dst_sel:DWORD dst_unused:UNUSED_PAD src0_sel:DWORD src1_sel:BYTE_3
	v_lshlrev_b32_e32 v4, 20, v60
	v_and_b32_e32 v0, 0x80000000, v0
	v_or3_b32 v1, v4, v0, v1
	v_mov_b32_e32 v0, v61
	buffer_store_dword v0, off, s[0:3], s32 offset:748 ; 4-byte Folded Spill
	buffer_store_dword v1, off, s[0:3], s32 offset:752 ; 4-byte Folded Spill
.LBB232_584:                            ;   in Loop: Header=BB232_10 Depth=1
	s_or_b32 exec_lo, exec_lo, s17
.LBB232_585:                            ;   in Loop: Header=BB232_10 Depth=1
	s_or_b32 exec_lo, exec_lo, s7
.LBB232_586:                            ;   in Loop: Header=BB232_10 Depth=1
	s_or_b32 exec_lo, exec_lo, s6
	flat_load_dword v0, v[2:3] offset:8
	v_mov_b32_e32 v4, 0
	v_mov_b32_e32 v5, 0
	buffer_store_dword v4, off, s[0:3], s32 offset:772 ; 4-byte Folded Spill
	buffer_store_dword v5, off, s[0:3], s32 offset:776 ; 4-byte Folded Spill
	v_mov_b32_e32 v4, 0
	v_mov_b32_e32 v5, 0
	buffer_store_dword v4, off, s[0:3], s32 offset:796 ; 4-byte Folded Spill
	buffer_store_dword v5, off, s[0:3], s32 offset:800 ; 4-byte Folded Spill
	s_waitcnt vmcnt(0) lgkmcnt(0)
	v_cmp_ne_u16_sdwa s5, v0, v61 src0_sel:BYTE_0 src1_sel:DWORD
	s_and_saveexec_b32 s6, s5
	s_cbranch_execz .LBB232_594
; %bb.587:                              ;   in Loop: Header=BB232_10 Depth=1
	v_mov_b32_e32 v1, 0x80
	v_bfrev_b32_e32 v4, 1
	v_mov_b32_e32 v5, 0
	buffer_store_dword v4, off, s[0:3], s32 offset:796 ; 4-byte Folded Spill
	buffer_store_dword v5, off, s[0:3], s32 offset:800 ; 4-byte Folded Spill
	v_cmp_ne_u16_sdwa s5, v0, v1 src0_sel:BYTE_0 src1_sel:DWORD
	s_and_saveexec_b32 s7, s5
	s_cbranch_execz .LBB232_593
; %bb.588:                              ;   in Loop: Header=BB232_10 Depth=1
	v_mov_b32_e32 v5, 0x7f800001
	v_and_b32_e32 v4, 0x7f, v0
	v_mov_b32_e32 v6, 0
	s_mov_b32 s17, exec_lo
	buffer_store_dword v5, off, s[0:3], s32 offset:796 ; 4-byte Folded Spill
	buffer_store_dword v6, off, s[0:3], s32 offset:800 ; 4-byte Folded Spill
	v_cmpx_ne_u32_e32 0x7f, v4
	s_cbranch_execz .LBB232_592
; %bb.589:                              ;   in Loop: Header=BB232_10 Depth=1
	v_and_b32_e32 v60, 7, v0
	v_lshrrev_b32_e32 v1, 3, v4
	s_mov_b32 s18, exec_lo
	v_cmpx_gt_u32_e32 8, v4
; %bb.590:                              ;   in Loop: Header=BB232_10 Depth=1
	v_ffbh_u32_e32 v1, v60
	v_min_u32_e32 v1, 32, v1
	v_subrev_nc_u32_e32 v4, 28, v1
	v_sub_nc_u32_e32 v1, 29, v1
	v_lshlrev_b64 v[4:5], v4, v[60:61]
	v_and_b32_e32 v60, 7, v4
; %bb.591:                              ;   in Loop: Header=BB232_10 Depth=1
	s_or_b32 exec_lo, exec_lo, s18
	v_lshlrev_b32_e32 v4, 24, v0
	v_lshlrev_b32_e32 v5, 20, v60
	v_lshl_add_u32 v1, v1, 23, 0x3c000000
	v_and_b32_e32 v4, 0x80000000, v4
	v_or3_b32 v60, v5, v4, v1
	buffer_store_dword v60, off, s[0:3], s32 offset:796 ; 4-byte Folded Spill
	buffer_store_dword v61, off, s[0:3], s32 offset:800 ; 4-byte Folded Spill
.LBB232_592:                            ;   in Loop: Header=BB232_10 Depth=1
	s_or_b32 exec_lo, exec_lo, s17
.LBB232_593:                            ;   in Loop: Header=BB232_10 Depth=1
	s_or_b32 exec_lo, exec_lo, s7
.LBB232_594:                            ;   in Loop: Header=BB232_10 Depth=1
	s_or_b32 exec_lo, exec_lo, s6
	v_cmp_ne_u16_sdwa s5, v0, v61 src0_sel:BYTE_1 src1_sel:DWORD
	s_and_saveexec_b32 s6, s5
	s_cbranch_execz .LBB232_602
; %bb.595:                              ;   in Loop: Header=BB232_10 Depth=1
	v_mov_b32_e32 v1, 0x80
	v_mov_b32_e32 v84, v61
	buffer_store_dword v84, off, s[0:3], s32 offset:772 ; 4-byte Folded Spill
	buffer_store_dword v85, off, s[0:3], s32 offset:776 ; 4-byte Folded Spill
	v_cmp_ne_u16_sdwa s5, v0, v1 src0_sel:BYTE_1 src1_sel:DWORD
	s_and_saveexec_b32 s7, s5
	s_cbranch_execz .LBB232_601
; %bb.596:                              ;   in Loop: Header=BB232_10 Depth=1
	v_mov_b32_e32 v1, 0xffff
	v_mov_b32_e32 v86, v61
	s_mov_b32 s17, exec_lo
	buffer_store_dword v86, off, s[0:3], s32 offset:772 ; 4-byte Folded Spill
	buffer_store_dword v87, off, s[0:3], s32 offset:776 ; 4-byte Folded Spill
	v_and_b32_sdwa v1, v1, v0 dst_sel:DWORD dst_unused:UNUSED_PAD src0_sel:DWORD src1_sel:BYTE_1
	v_and_b32_e32 v4, 0x7f, v1
	v_cmpx_ne_u32_e32 0x7f, v4
	s_cbranch_execz .LBB232_600
; %bb.597:                              ;   in Loop: Header=BB232_10 Depth=1
	v_and_b32_e32 v60, 7, v1
	v_lshrrev_b32_e32 v1, 3, v4
	s_mov_b32 s18, exec_lo
	v_cmpx_gt_u32_e32 8, v4
; %bb.598:                              ;   in Loop: Header=BB232_10 Depth=1
	v_ffbh_u32_e32 v1, v60
	v_min_u32_e32 v1, 32, v1
	v_subrev_nc_u32_e32 v4, 28, v1
	v_sub_nc_u32_e32 v1, 29, v1
	v_lshlrev_b64 v[4:5], v4, v[60:61]
	v_and_b32_e32 v60, 7, v4
; %bb.599:                              ;   in Loop: Header=BB232_10 Depth=1
	s_or_b32 exec_lo, exec_lo, s18
	v_lshlrev_b32_e32 v4, 16, v0
	v_lshlrev_b32_e32 v5, 20, v60
	v_lshl_add_u32 v1, v1, 23, 0x3c000000
	v_and_b32_e32 v4, 0x80000000, v4
	v_or3_b32 v5, v5, v4, v1
	v_mov_b32_e32 v4, v61
	buffer_store_dword v4, off, s[0:3], s32 offset:772 ; 4-byte Folded Spill
	buffer_store_dword v5, off, s[0:3], s32 offset:776 ; 4-byte Folded Spill
.LBB232_600:                            ;   in Loop: Header=BB232_10 Depth=1
	s_or_b32 exec_lo, exec_lo, s17
.LBB232_601:                            ;   in Loop: Header=BB232_10 Depth=1
	s_or_b32 exec_lo, exec_lo, s7
.LBB232_602:                            ;   in Loop: Header=BB232_10 Depth=1
	s_or_b32 exec_lo, exec_lo, s6
	v_mov_b32_e32 v4, 0
	v_mov_b32_e32 v5, 0
	;; [unrolled: 1-line block ×3, first 2 shown]
	s_mov_b32 s6, exec_lo
	buffer_store_dword v4, off, s[0:3], s32 offset:780 ; 4-byte Folded Spill
	buffer_store_dword v5, off, s[0:3], s32 offset:784 ; 4-byte Folded Spill
	v_mov_b32_e32 v4, 0
	v_and_b32_sdwa v1, v0, v1 dst_sel:DWORD dst_unused:UNUSED_PAD src0_sel:WORD_1 src1_sel:DWORD
	v_mov_b32_e32 v5, 0
	buffer_store_dword v4, off, s[0:3], s32 offset:788 ; 4-byte Folded Spill
	buffer_store_dword v5, off, s[0:3], s32 offset:792 ; 4-byte Folded Spill
	v_cmpx_ne_u16_e32 0, v1
	s_cbranch_execz .LBB232_610
; %bb.603:                              ;   in Loop: Header=BB232_10 Depth=1
	v_bfrev_b32_e32 v4, 1
	v_mov_b32_e32 v5, 0
	s_mov_b32 s7, exec_lo
	buffer_store_dword v4, off, s[0:3], s32 offset:788 ; 4-byte Folded Spill
	buffer_store_dword v5, off, s[0:3], s32 offset:792 ; 4-byte Folded Spill
	v_cmpx_ne_u16_e32 0x80, v1
	s_cbranch_execz .LBB232_609
; %bb.604:                              ;   in Loop: Header=BB232_10 Depth=1
	v_mov_b32_e32 v5, 0x7f800001
	v_bfe_u32 v4, v0, 16, 7
	v_mov_b32_e32 v6, 0
	s_mov_b32 s17, exec_lo
	buffer_store_dword v5, off, s[0:3], s32 offset:788 ; 4-byte Folded Spill
	buffer_store_dword v6, off, s[0:3], s32 offset:792 ; 4-byte Folded Spill
	v_cmpx_ne_u32_e32 0x7f, v4
	s_cbranch_execz .LBB232_608
; %bb.605:                              ;   in Loop: Header=BB232_10 Depth=1
	v_mov_b32_e32 v1, 7
	s_mov_b32 s18, exec_lo
	v_and_b32_sdwa v60, v0, v1 dst_sel:DWORD dst_unused:UNUSED_PAD src0_sel:WORD_1 src1_sel:DWORD
	v_lshrrev_b32_e32 v1, 3, v4
	v_cmpx_gt_u32_e32 8, v4
; %bb.606:                              ;   in Loop: Header=BB232_10 Depth=1
	v_ffbh_u32_e32 v1, v60
	v_min_u32_e32 v1, 32, v1
	v_subrev_nc_u32_e32 v4, 28, v1
	v_sub_nc_u32_e32 v1, 29, v1
	v_lshlrev_b64 v[4:5], v4, v[60:61]
	v_and_b32_e32 v60, 7, v4
; %bb.607:                              ;   in Loop: Header=BB232_10 Depth=1
	s_or_b32 exec_lo, exec_lo, s18
	v_mov_b32_e32 v4, 24
	v_lshlrev_b32_e32 v5, 20, v60
	v_lshl_add_u32 v1, v1, 23, 0x3c000000
	v_lshlrev_b32_sdwa v4, v4, v0 dst_sel:DWORD dst_unused:UNUSED_PAD src0_sel:DWORD src1_sel:WORD_1
	v_and_b32_e32 v4, 0x80000000, v4
	v_or3_b32 v60, v5, v4, v1
	buffer_store_dword v60, off, s[0:3], s32 offset:788 ; 4-byte Folded Spill
	buffer_store_dword v61, off, s[0:3], s32 offset:792 ; 4-byte Folded Spill
.LBB232_608:                            ;   in Loop: Header=BB232_10 Depth=1
	s_or_b32 exec_lo, exec_lo, s17
.LBB232_609:                            ;   in Loop: Header=BB232_10 Depth=1
	s_or_b32 exec_lo, exec_lo, s7
.LBB232_610:                            ;   in Loop: Header=BB232_10 Depth=1
	s_or_b32 exec_lo, exec_lo, s6
	s_mov_b32 s6, exec_lo
	v_cmpx_lt_u32_e32 0xffffff, v0
	s_cbranch_execz .LBB232_618
; %bb.611:                              ;   in Loop: Header=BB232_10 Depth=1
	v_mov_b32_e32 v1, 0x80
	v_mov_b32_e32 v84, v61
	buffer_store_dword v84, off, s[0:3], s32 offset:780 ; 4-byte Folded Spill
	buffer_store_dword v85, off, s[0:3], s32 offset:784 ; 4-byte Folded Spill
	v_cmp_ne_u32_sdwa s5, v0, v1 src0_sel:BYTE_3 src1_sel:DWORD
	s_and_saveexec_b32 s7, s5
	s_cbranch_execz .LBB232_617
; %bb.612:                              ;   in Loop: Header=BB232_10 Depth=1
	v_bfe_u32 v4, v0, 24, 7
	v_mov_b32_e32 v86, v61
	s_mov_b32 s17, exec_lo
	buffer_store_dword v86, off, s[0:3], s32 offset:780 ; 4-byte Folded Spill
	buffer_store_dword v87, off, s[0:3], s32 offset:784 ; 4-byte Folded Spill
	v_cmpx_ne_u32_e32 0x7f, v4
	s_cbranch_execz .LBB232_616
; %bb.613:                              ;   in Loop: Header=BB232_10 Depth=1
	v_mov_b32_e32 v1, 7
	s_mov_b32 s18, exec_lo
	v_and_b32_sdwa v60, v0, v1 dst_sel:DWORD dst_unused:UNUSED_PAD src0_sel:BYTE_3 src1_sel:DWORD
	v_lshrrev_b32_e32 v1, 3, v4
	v_cmpx_gt_u32_e32 8, v4
; %bb.614:                              ;   in Loop: Header=BB232_10 Depth=1
	v_ffbh_u32_e32 v1, v60
	v_min_u32_e32 v1, 32, v1
	v_subrev_nc_u32_e32 v4, 28, v1
	v_sub_nc_u32_e32 v1, 29, v1
	v_lshlrev_b64 v[4:5], v4, v[60:61]
	v_and_b32_e32 v60, 7, v4
; %bb.615:                              ;   in Loop: Header=BB232_10 Depth=1
	s_or_b32 exec_lo, exec_lo, s18
	v_mov_b32_e32 v4, 24
	v_lshl_add_u32 v1, v1, 23, 0x3c000000
	v_lshlrev_b32_sdwa v0, v4, v0 dst_sel:DWORD dst_unused:UNUSED_PAD src0_sel:DWORD src1_sel:BYTE_3
	v_lshlrev_b32_e32 v4, 20, v60
	v_and_b32_e32 v0, 0x80000000, v0
	v_or3_b32 v1, v4, v0, v1
	v_mov_b32_e32 v0, v61
	buffer_store_dword v0, off, s[0:3], s32 offset:780 ; 4-byte Folded Spill
	buffer_store_dword v1, off, s[0:3], s32 offset:784 ; 4-byte Folded Spill
.LBB232_616:                            ;   in Loop: Header=BB232_10 Depth=1
	s_or_b32 exec_lo, exec_lo, s17
.LBB232_617:                            ;   in Loop: Header=BB232_10 Depth=1
	s_or_b32 exec_lo, exec_lo, s7
.LBB232_618:                            ;   in Loop: Header=BB232_10 Depth=1
	s_or_b32 exec_lo, exec_lo, s6
	flat_load_dword v0, v[2:3] offset:12
	v_mov_b32_e32 v4, 0
	v_mov_b32_e32 v5, 0
	buffer_store_dword v4, off, s[0:3], s32 offset:804 ; 4-byte Folded Spill
	buffer_store_dword v5, off, s[0:3], s32 offset:808 ; 4-byte Folded Spill
	v_mov_b32_e32 v4, 0
	v_mov_b32_e32 v5, 0
	buffer_store_dword v4, off, s[0:3], s32 offset:828 ; 4-byte Folded Spill
	buffer_store_dword v5, off, s[0:3], s32 offset:832 ; 4-byte Folded Spill
	s_waitcnt vmcnt(0) lgkmcnt(0)
	v_cmp_ne_u16_sdwa s5, v0, v61 src0_sel:BYTE_0 src1_sel:DWORD
	s_and_saveexec_b32 s6, s5
	s_cbranch_execz .LBB232_626
; %bb.619:                              ;   in Loop: Header=BB232_10 Depth=1
	v_mov_b32_e32 v1, 0x80
	v_bfrev_b32_e32 v4, 1
	v_mov_b32_e32 v5, 0
	buffer_store_dword v4, off, s[0:3], s32 offset:828 ; 4-byte Folded Spill
	buffer_store_dword v5, off, s[0:3], s32 offset:832 ; 4-byte Folded Spill
	v_cmp_ne_u16_sdwa s5, v0, v1 src0_sel:BYTE_0 src1_sel:DWORD
	s_and_saveexec_b32 s7, s5
	s_cbranch_execz .LBB232_625
; %bb.620:                              ;   in Loop: Header=BB232_10 Depth=1
	v_mov_b32_e32 v5, 0x7f800001
	v_and_b32_e32 v4, 0x7f, v0
	v_mov_b32_e32 v6, 0
	s_mov_b32 s17, exec_lo
	buffer_store_dword v5, off, s[0:3], s32 offset:828 ; 4-byte Folded Spill
	buffer_store_dword v6, off, s[0:3], s32 offset:832 ; 4-byte Folded Spill
	v_cmpx_ne_u32_e32 0x7f, v4
	s_cbranch_execz .LBB232_624
; %bb.621:                              ;   in Loop: Header=BB232_10 Depth=1
	v_and_b32_e32 v60, 7, v0
	v_lshrrev_b32_e32 v1, 3, v4
	s_mov_b32 s18, exec_lo
	v_cmpx_gt_u32_e32 8, v4
; %bb.622:                              ;   in Loop: Header=BB232_10 Depth=1
	v_ffbh_u32_e32 v1, v60
	v_min_u32_e32 v1, 32, v1
	v_subrev_nc_u32_e32 v4, 28, v1
	v_sub_nc_u32_e32 v1, 29, v1
	v_lshlrev_b64 v[4:5], v4, v[60:61]
	v_and_b32_e32 v60, 7, v4
; %bb.623:                              ;   in Loop: Header=BB232_10 Depth=1
	s_or_b32 exec_lo, exec_lo, s18
	v_lshlrev_b32_e32 v4, 24, v0
	v_lshlrev_b32_e32 v5, 20, v60
	v_lshl_add_u32 v1, v1, 23, 0x3c000000
	v_and_b32_e32 v4, 0x80000000, v4
	v_or3_b32 v60, v5, v4, v1
	buffer_store_dword v60, off, s[0:3], s32 offset:828 ; 4-byte Folded Spill
	buffer_store_dword v61, off, s[0:3], s32 offset:832 ; 4-byte Folded Spill
.LBB232_624:                            ;   in Loop: Header=BB232_10 Depth=1
	s_or_b32 exec_lo, exec_lo, s17
.LBB232_625:                            ;   in Loop: Header=BB232_10 Depth=1
	s_or_b32 exec_lo, exec_lo, s7
.LBB232_626:                            ;   in Loop: Header=BB232_10 Depth=1
	s_or_b32 exec_lo, exec_lo, s6
	v_cmp_ne_u16_sdwa s5, v0, v61 src0_sel:BYTE_1 src1_sel:DWORD
	s_and_saveexec_b32 s6, s5
	s_cbranch_execz .LBB232_634
; %bb.627:                              ;   in Loop: Header=BB232_10 Depth=1
	v_mov_b32_e32 v1, 0x80
	v_mov_b32_e32 v84, v61
	buffer_store_dword v84, off, s[0:3], s32 offset:804 ; 4-byte Folded Spill
	buffer_store_dword v85, off, s[0:3], s32 offset:808 ; 4-byte Folded Spill
	v_cmp_ne_u16_sdwa s5, v0, v1 src0_sel:BYTE_1 src1_sel:DWORD
	s_and_saveexec_b32 s7, s5
	s_cbranch_execz .LBB232_633
; %bb.628:                              ;   in Loop: Header=BB232_10 Depth=1
	v_mov_b32_e32 v1, 0xffff
	v_mov_b32_e32 v86, v61
	s_mov_b32 s17, exec_lo
	buffer_store_dword v86, off, s[0:3], s32 offset:804 ; 4-byte Folded Spill
	buffer_store_dword v87, off, s[0:3], s32 offset:808 ; 4-byte Folded Spill
	v_and_b32_sdwa v1, v1, v0 dst_sel:DWORD dst_unused:UNUSED_PAD src0_sel:DWORD src1_sel:BYTE_1
	v_and_b32_e32 v4, 0x7f, v1
	v_cmpx_ne_u32_e32 0x7f, v4
	s_cbranch_execz .LBB232_632
; %bb.629:                              ;   in Loop: Header=BB232_10 Depth=1
	v_and_b32_e32 v60, 7, v1
	v_lshrrev_b32_e32 v1, 3, v4
	s_mov_b32 s18, exec_lo
	v_cmpx_gt_u32_e32 8, v4
; %bb.630:                              ;   in Loop: Header=BB232_10 Depth=1
	v_ffbh_u32_e32 v1, v60
	v_min_u32_e32 v1, 32, v1
	v_subrev_nc_u32_e32 v4, 28, v1
	v_sub_nc_u32_e32 v1, 29, v1
	v_lshlrev_b64 v[4:5], v4, v[60:61]
	v_and_b32_e32 v60, 7, v4
; %bb.631:                              ;   in Loop: Header=BB232_10 Depth=1
	s_or_b32 exec_lo, exec_lo, s18
	v_lshlrev_b32_e32 v4, 16, v0
	v_lshlrev_b32_e32 v5, 20, v60
	v_lshl_add_u32 v1, v1, 23, 0x3c000000
	v_and_b32_e32 v4, 0x80000000, v4
	v_or3_b32 v5, v5, v4, v1
	v_mov_b32_e32 v4, v61
	buffer_store_dword v4, off, s[0:3], s32 offset:804 ; 4-byte Folded Spill
	buffer_store_dword v5, off, s[0:3], s32 offset:808 ; 4-byte Folded Spill
.LBB232_632:                            ;   in Loop: Header=BB232_10 Depth=1
	s_or_b32 exec_lo, exec_lo, s17
.LBB232_633:                            ;   in Loop: Header=BB232_10 Depth=1
	s_or_b32 exec_lo, exec_lo, s7
.LBB232_634:                            ;   in Loop: Header=BB232_10 Depth=1
	s_or_b32 exec_lo, exec_lo, s6
	v_mov_b32_e32 v4, 0
	v_mov_b32_e32 v5, 0
	;; [unrolled: 1-line block ×3, first 2 shown]
	s_mov_b32 s6, exec_lo
	buffer_store_dword v4, off, s[0:3], s32 offset:812 ; 4-byte Folded Spill
	buffer_store_dword v5, off, s[0:3], s32 offset:816 ; 4-byte Folded Spill
	v_mov_b32_e32 v4, 0
	v_and_b32_sdwa v1, v0, v1 dst_sel:DWORD dst_unused:UNUSED_PAD src0_sel:WORD_1 src1_sel:DWORD
	v_mov_b32_e32 v5, 0
	buffer_store_dword v4, off, s[0:3], s32 offset:820 ; 4-byte Folded Spill
	buffer_store_dword v5, off, s[0:3], s32 offset:824 ; 4-byte Folded Spill
	v_cmpx_ne_u16_e32 0, v1
	s_cbranch_execz .LBB232_642
; %bb.635:                              ;   in Loop: Header=BB232_10 Depth=1
	v_bfrev_b32_e32 v4, 1
	v_mov_b32_e32 v5, 0
	s_mov_b32 s7, exec_lo
	buffer_store_dword v4, off, s[0:3], s32 offset:820 ; 4-byte Folded Spill
	buffer_store_dword v5, off, s[0:3], s32 offset:824 ; 4-byte Folded Spill
	v_cmpx_ne_u16_e32 0x80, v1
	s_cbranch_execz .LBB232_641
; %bb.636:                              ;   in Loop: Header=BB232_10 Depth=1
	v_mov_b32_e32 v5, 0x7f800001
	v_bfe_u32 v4, v0, 16, 7
	v_mov_b32_e32 v6, 0
	s_mov_b32 s17, exec_lo
	buffer_store_dword v5, off, s[0:3], s32 offset:820 ; 4-byte Folded Spill
	buffer_store_dword v6, off, s[0:3], s32 offset:824 ; 4-byte Folded Spill
	v_cmpx_ne_u32_e32 0x7f, v4
	s_cbranch_execz .LBB232_640
; %bb.637:                              ;   in Loop: Header=BB232_10 Depth=1
	v_mov_b32_e32 v1, 7
	s_mov_b32 s18, exec_lo
	v_and_b32_sdwa v60, v0, v1 dst_sel:DWORD dst_unused:UNUSED_PAD src0_sel:WORD_1 src1_sel:DWORD
	v_lshrrev_b32_e32 v1, 3, v4
	v_cmpx_gt_u32_e32 8, v4
; %bb.638:                              ;   in Loop: Header=BB232_10 Depth=1
	v_ffbh_u32_e32 v1, v60
	v_min_u32_e32 v1, 32, v1
	v_subrev_nc_u32_e32 v4, 28, v1
	v_sub_nc_u32_e32 v1, 29, v1
	v_lshlrev_b64 v[4:5], v4, v[60:61]
	v_and_b32_e32 v60, 7, v4
; %bb.639:                              ;   in Loop: Header=BB232_10 Depth=1
	s_or_b32 exec_lo, exec_lo, s18
	v_mov_b32_e32 v4, 24
	v_lshlrev_b32_e32 v5, 20, v60
	v_lshl_add_u32 v1, v1, 23, 0x3c000000
	v_lshlrev_b32_sdwa v4, v4, v0 dst_sel:DWORD dst_unused:UNUSED_PAD src0_sel:DWORD src1_sel:WORD_1
	v_and_b32_e32 v4, 0x80000000, v4
	v_or3_b32 v60, v5, v4, v1
	buffer_store_dword v60, off, s[0:3], s32 offset:820 ; 4-byte Folded Spill
	buffer_store_dword v61, off, s[0:3], s32 offset:824 ; 4-byte Folded Spill
.LBB232_640:                            ;   in Loop: Header=BB232_10 Depth=1
	s_or_b32 exec_lo, exec_lo, s17
.LBB232_641:                            ;   in Loop: Header=BB232_10 Depth=1
	s_or_b32 exec_lo, exec_lo, s7
.LBB232_642:                            ;   in Loop: Header=BB232_10 Depth=1
	s_or_b32 exec_lo, exec_lo, s6
	s_mov_b32 s6, exec_lo
	v_cmpx_lt_u32_e32 0xffffff, v0
	s_cbranch_execz .LBB232_650
; %bb.643:                              ;   in Loop: Header=BB232_10 Depth=1
	v_mov_b32_e32 v1, 0x80
	v_mov_b32_e32 v84, v61
	buffer_store_dword v84, off, s[0:3], s32 offset:812 ; 4-byte Folded Spill
	buffer_store_dword v85, off, s[0:3], s32 offset:816 ; 4-byte Folded Spill
	v_cmp_ne_u32_sdwa s5, v0, v1 src0_sel:BYTE_3 src1_sel:DWORD
	s_and_saveexec_b32 s7, s5
	s_cbranch_execz .LBB232_649
; %bb.644:                              ;   in Loop: Header=BB232_10 Depth=1
	v_bfe_u32 v4, v0, 24, 7
	v_mov_b32_e32 v86, v61
	s_mov_b32 s17, exec_lo
	buffer_store_dword v86, off, s[0:3], s32 offset:812 ; 4-byte Folded Spill
	buffer_store_dword v87, off, s[0:3], s32 offset:816 ; 4-byte Folded Spill
	v_cmpx_ne_u32_e32 0x7f, v4
	s_cbranch_execz .LBB232_648
; %bb.645:                              ;   in Loop: Header=BB232_10 Depth=1
	v_mov_b32_e32 v1, 7
	s_mov_b32 s18, exec_lo
	v_and_b32_sdwa v60, v0, v1 dst_sel:DWORD dst_unused:UNUSED_PAD src0_sel:BYTE_3 src1_sel:DWORD
	v_lshrrev_b32_e32 v1, 3, v4
	v_cmpx_gt_u32_e32 8, v4
; %bb.646:                              ;   in Loop: Header=BB232_10 Depth=1
	v_ffbh_u32_e32 v1, v60
	v_min_u32_e32 v1, 32, v1
	v_subrev_nc_u32_e32 v4, 28, v1
	v_sub_nc_u32_e32 v1, 29, v1
	v_lshlrev_b64 v[4:5], v4, v[60:61]
	v_and_b32_e32 v60, 7, v4
; %bb.647:                              ;   in Loop: Header=BB232_10 Depth=1
	s_or_b32 exec_lo, exec_lo, s18
	v_mov_b32_e32 v4, 24
	v_lshl_add_u32 v1, v1, 23, 0x3c000000
	v_lshlrev_b32_sdwa v0, v4, v0 dst_sel:DWORD dst_unused:UNUSED_PAD src0_sel:DWORD src1_sel:BYTE_3
	v_lshlrev_b32_e32 v4, 20, v60
	v_and_b32_e32 v0, 0x80000000, v0
	v_or3_b32 v1, v4, v0, v1
	v_mov_b32_e32 v0, v61
	buffer_store_dword v0, off, s[0:3], s32 offset:812 ; 4-byte Folded Spill
	buffer_store_dword v1, off, s[0:3], s32 offset:816 ; 4-byte Folded Spill
.LBB232_648:                            ;   in Loop: Header=BB232_10 Depth=1
	s_or_b32 exec_lo, exec_lo, s17
.LBB232_649:                            ;   in Loop: Header=BB232_10 Depth=1
	s_or_b32 exec_lo, exec_lo, s7
.LBB232_650:                            ;   in Loop: Header=BB232_10 Depth=1
	s_or_b32 exec_lo, exec_lo, s6
	flat_load_dword v0, v[2:3] offset:512
	v_mov_b32_e32 v4, 0
	v_mov_b32_e32 v5, 0
	buffer_store_dword v4, off, s[0:3], s32 offset:836 ; 4-byte Folded Spill
	buffer_store_dword v5, off, s[0:3], s32 offset:840 ; 4-byte Folded Spill
	v_mov_b32_e32 v4, 0
	v_mov_b32_e32 v5, 0
	buffer_store_dword v4, off, s[0:3], s32 offset:860 ; 4-byte Folded Spill
	buffer_store_dword v5, off, s[0:3], s32 offset:864 ; 4-byte Folded Spill
	s_waitcnt vmcnt(0) lgkmcnt(0)
	v_cmp_ne_u16_sdwa s5, v0, v61 src0_sel:BYTE_0 src1_sel:DWORD
	s_and_saveexec_b32 s6, s5
	s_cbranch_execz .LBB232_658
; %bb.651:                              ;   in Loop: Header=BB232_10 Depth=1
	v_mov_b32_e32 v1, 0x80
	v_bfrev_b32_e32 v4, 1
	v_mov_b32_e32 v5, 0
	buffer_store_dword v4, off, s[0:3], s32 offset:860 ; 4-byte Folded Spill
	buffer_store_dword v5, off, s[0:3], s32 offset:864 ; 4-byte Folded Spill
	v_cmp_ne_u16_sdwa s5, v0, v1 src0_sel:BYTE_0 src1_sel:DWORD
	s_and_saveexec_b32 s7, s5
	s_cbranch_execz .LBB232_657
; %bb.652:                              ;   in Loop: Header=BB232_10 Depth=1
	v_mov_b32_e32 v5, 0x7f800001
	v_and_b32_e32 v4, 0x7f, v0
	v_mov_b32_e32 v6, 0
	s_mov_b32 s17, exec_lo
	buffer_store_dword v5, off, s[0:3], s32 offset:860 ; 4-byte Folded Spill
	buffer_store_dword v6, off, s[0:3], s32 offset:864 ; 4-byte Folded Spill
	v_cmpx_ne_u32_e32 0x7f, v4
	s_cbranch_execz .LBB232_656
; %bb.653:                              ;   in Loop: Header=BB232_10 Depth=1
	v_and_b32_e32 v60, 7, v0
	v_lshrrev_b32_e32 v1, 3, v4
	s_mov_b32 s18, exec_lo
	v_cmpx_gt_u32_e32 8, v4
; %bb.654:                              ;   in Loop: Header=BB232_10 Depth=1
	v_ffbh_u32_e32 v1, v60
	v_min_u32_e32 v1, 32, v1
	v_subrev_nc_u32_e32 v4, 28, v1
	v_sub_nc_u32_e32 v1, 29, v1
	v_lshlrev_b64 v[4:5], v4, v[60:61]
	v_and_b32_e32 v60, 7, v4
; %bb.655:                              ;   in Loop: Header=BB232_10 Depth=1
	s_or_b32 exec_lo, exec_lo, s18
	v_lshlrev_b32_e32 v4, 24, v0
	v_lshlrev_b32_e32 v5, 20, v60
	v_lshl_add_u32 v1, v1, 23, 0x3c000000
	v_and_b32_e32 v4, 0x80000000, v4
	v_or3_b32 v60, v5, v4, v1
	buffer_store_dword v60, off, s[0:3], s32 offset:860 ; 4-byte Folded Spill
	buffer_store_dword v61, off, s[0:3], s32 offset:864 ; 4-byte Folded Spill
.LBB232_656:                            ;   in Loop: Header=BB232_10 Depth=1
	s_or_b32 exec_lo, exec_lo, s17
.LBB232_657:                            ;   in Loop: Header=BB232_10 Depth=1
	s_or_b32 exec_lo, exec_lo, s7
.LBB232_658:                            ;   in Loop: Header=BB232_10 Depth=1
	s_or_b32 exec_lo, exec_lo, s6
	v_cmp_ne_u16_sdwa s5, v0, v61 src0_sel:BYTE_1 src1_sel:DWORD
	s_and_saveexec_b32 s6, s5
	s_cbranch_execz .LBB232_666
; %bb.659:                              ;   in Loop: Header=BB232_10 Depth=1
	v_mov_b32_e32 v1, 0x80
	v_mov_b32_e32 v84, v61
	buffer_store_dword v84, off, s[0:3], s32 offset:836 ; 4-byte Folded Spill
	buffer_store_dword v85, off, s[0:3], s32 offset:840 ; 4-byte Folded Spill
	v_cmp_ne_u16_sdwa s5, v0, v1 src0_sel:BYTE_1 src1_sel:DWORD
	s_and_saveexec_b32 s7, s5
	s_cbranch_execz .LBB232_665
; %bb.660:                              ;   in Loop: Header=BB232_10 Depth=1
	v_mov_b32_e32 v1, 0xffff
	v_mov_b32_e32 v86, v61
	s_mov_b32 s17, exec_lo
	buffer_store_dword v86, off, s[0:3], s32 offset:836 ; 4-byte Folded Spill
	buffer_store_dword v87, off, s[0:3], s32 offset:840 ; 4-byte Folded Spill
	v_and_b32_sdwa v1, v1, v0 dst_sel:DWORD dst_unused:UNUSED_PAD src0_sel:DWORD src1_sel:BYTE_1
	v_and_b32_e32 v4, 0x7f, v1
	v_cmpx_ne_u32_e32 0x7f, v4
	s_cbranch_execz .LBB232_664
; %bb.661:                              ;   in Loop: Header=BB232_10 Depth=1
	v_and_b32_e32 v60, 7, v1
	v_lshrrev_b32_e32 v1, 3, v4
	s_mov_b32 s18, exec_lo
	v_cmpx_gt_u32_e32 8, v4
; %bb.662:                              ;   in Loop: Header=BB232_10 Depth=1
	v_ffbh_u32_e32 v1, v60
	v_min_u32_e32 v1, 32, v1
	v_subrev_nc_u32_e32 v4, 28, v1
	v_sub_nc_u32_e32 v1, 29, v1
	v_lshlrev_b64 v[4:5], v4, v[60:61]
	v_and_b32_e32 v60, 7, v4
; %bb.663:                              ;   in Loop: Header=BB232_10 Depth=1
	s_or_b32 exec_lo, exec_lo, s18
	v_lshlrev_b32_e32 v4, 16, v0
	v_lshlrev_b32_e32 v5, 20, v60
	v_lshl_add_u32 v1, v1, 23, 0x3c000000
	v_and_b32_e32 v4, 0x80000000, v4
	v_or3_b32 v5, v5, v4, v1
	v_mov_b32_e32 v4, v61
	buffer_store_dword v4, off, s[0:3], s32 offset:836 ; 4-byte Folded Spill
	buffer_store_dword v5, off, s[0:3], s32 offset:840 ; 4-byte Folded Spill
.LBB232_664:                            ;   in Loop: Header=BB232_10 Depth=1
	s_or_b32 exec_lo, exec_lo, s17
.LBB232_665:                            ;   in Loop: Header=BB232_10 Depth=1
	s_or_b32 exec_lo, exec_lo, s7
.LBB232_666:                            ;   in Loop: Header=BB232_10 Depth=1
	s_or_b32 exec_lo, exec_lo, s6
	v_mov_b32_e32 v4, 0
	v_mov_b32_e32 v5, 0
	;; [unrolled: 1-line block ×3, first 2 shown]
	s_mov_b32 s6, exec_lo
	buffer_store_dword v4, off, s[0:3], s32 offset:844 ; 4-byte Folded Spill
	buffer_store_dword v5, off, s[0:3], s32 offset:848 ; 4-byte Folded Spill
	v_mov_b32_e32 v4, 0
	v_and_b32_sdwa v1, v0, v1 dst_sel:DWORD dst_unused:UNUSED_PAD src0_sel:WORD_1 src1_sel:DWORD
	v_mov_b32_e32 v5, 0
	buffer_store_dword v4, off, s[0:3], s32 offset:852 ; 4-byte Folded Spill
	buffer_store_dword v5, off, s[0:3], s32 offset:856 ; 4-byte Folded Spill
	v_cmpx_ne_u16_e32 0, v1
	s_cbranch_execz .LBB232_674
; %bb.667:                              ;   in Loop: Header=BB232_10 Depth=1
	v_bfrev_b32_e32 v4, 1
	v_mov_b32_e32 v5, 0
	s_mov_b32 s7, exec_lo
	buffer_store_dword v4, off, s[0:3], s32 offset:852 ; 4-byte Folded Spill
	buffer_store_dword v5, off, s[0:3], s32 offset:856 ; 4-byte Folded Spill
	v_cmpx_ne_u16_e32 0x80, v1
	s_cbranch_execz .LBB232_673
; %bb.668:                              ;   in Loop: Header=BB232_10 Depth=1
	v_mov_b32_e32 v5, 0x7f800001
	v_bfe_u32 v4, v0, 16, 7
	v_mov_b32_e32 v6, 0
	s_mov_b32 s17, exec_lo
	buffer_store_dword v5, off, s[0:3], s32 offset:852 ; 4-byte Folded Spill
	buffer_store_dword v6, off, s[0:3], s32 offset:856 ; 4-byte Folded Spill
	v_cmpx_ne_u32_e32 0x7f, v4
	s_cbranch_execz .LBB232_672
; %bb.669:                              ;   in Loop: Header=BB232_10 Depth=1
	v_mov_b32_e32 v1, 7
	s_mov_b32 s18, exec_lo
	v_and_b32_sdwa v60, v0, v1 dst_sel:DWORD dst_unused:UNUSED_PAD src0_sel:WORD_1 src1_sel:DWORD
	v_lshrrev_b32_e32 v1, 3, v4
	v_cmpx_gt_u32_e32 8, v4
; %bb.670:                              ;   in Loop: Header=BB232_10 Depth=1
	v_ffbh_u32_e32 v1, v60
	v_min_u32_e32 v1, 32, v1
	v_subrev_nc_u32_e32 v4, 28, v1
	v_sub_nc_u32_e32 v1, 29, v1
	v_lshlrev_b64 v[4:5], v4, v[60:61]
	v_and_b32_e32 v60, 7, v4
; %bb.671:                              ;   in Loop: Header=BB232_10 Depth=1
	s_or_b32 exec_lo, exec_lo, s18
	v_mov_b32_e32 v4, 24
	v_lshlrev_b32_e32 v5, 20, v60
	v_lshl_add_u32 v1, v1, 23, 0x3c000000
	v_lshlrev_b32_sdwa v4, v4, v0 dst_sel:DWORD dst_unused:UNUSED_PAD src0_sel:DWORD src1_sel:WORD_1
	v_and_b32_e32 v4, 0x80000000, v4
	v_or3_b32 v60, v5, v4, v1
	buffer_store_dword v60, off, s[0:3], s32 offset:852 ; 4-byte Folded Spill
	buffer_store_dword v61, off, s[0:3], s32 offset:856 ; 4-byte Folded Spill
.LBB232_672:                            ;   in Loop: Header=BB232_10 Depth=1
	s_or_b32 exec_lo, exec_lo, s17
.LBB232_673:                            ;   in Loop: Header=BB232_10 Depth=1
	s_or_b32 exec_lo, exec_lo, s7
.LBB232_674:                            ;   in Loop: Header=BB232_10 Depth=1
	s_or_b32 exec_lo, exec_lo, s6
	s_mov_b32 s6, exec_lo
	v_cmpx_lt_u32_e32 0xffffff, v0
	s_cbranch_execz .LBB232_682
; %bb.675:                              ;   in Loop: Header=BB232_10 Depth=1
	v_mov_b32_e32 v1, 0x80
	v_mov_b32_e32 v84, v61
	buffer_store_dword v84, off, s[0:3], s32 offset:844 ; 4-byte Folded Spill
	buffer_store_dword v85, off, s[0:3], s32 offset:848 ; 4-byte Folded Spill
	v_cmp_ne_u32_sdwa s5, v0, v1 src0_sel:BYTE_3 src1_sel:DWORD
	s_and_saveexec_b32 s7, s5
	s_cbranch_execz .LBB232_681
; %bb.676:                              ;   in Loop: Header=BB232_10 Depth=1
	v_bfe_u32 v4, v0, 24, 7
	v_mov_b32_e32 v86, v61
	s_mov_b32 s17, exec_lo
	buffer_store_dword v86, off, s[0:3], s32 offset:844 ; 4-byte Folded Spill
	buffer_store_dword v87, off, s[0:3], s32 offset:848 ; 4-byte Folded Spill
	v_cmpx_ne_u32_e32 0x7f, v4
	s_cbranch_execz .LBB232_680
; %bb.677:                              ;   in Loop: Header=BB232_10 Depth=1
	v_mov_b32_e32 v1, 7
	s_mov_b32 s18, exec_lo
	v_and_b32_sdwa v60, v0, v1 dst_sel:DWORD dst_unused:UNUSED_PAD src0_sel:BYTE_3 src1_sel:DWORD
	v_lshrrev_b32_e32 v1, 3, v4
	v_cmpx_gt_u32_e32 8, v4
; %bb.678:                              ;   in Loop: Header=BB232_10 Depth=1
	v_ffbh_u32_e32 v1, v60
	v_min_u32_e32 v1, 32, v1
	v_subrev_nc_u32_e32 v4, 28, v1
	v_sub_nc_u32_e32 v1, 29, v1
	v_lshlrev_b64 v[4:5], v4, v[60:61]
	v_and_b32_e32 v60, 7, v4
; %bb.679:                              ;   in Loop: Header=BB232_10 Depth=1
	s_or_b32 exec_lo, exec_lo, s18
	v_mov_b32_e32 v4, 24
	v_lshl_add_u32 v1, v1, 23, 0x3c000000
	v_lshlrev_b32_sdwa v0, v4, v0 dst_sel:DWORD dst_unused:UNUSED_PAD src0_sel:DWORD src1_sel:BYTE_3
	v_lshlrev_b32_e32 v4, 20, v60
	v_and_b32_e32 v0, 0x80000000, v0
	v_or3_b32 v1, v4, v0, v1
	v_mov_b32_e32 v0, v61
	buffer_store_dword v0, off, s[0:3], s32 offset:844 ; 4-byte Folded Spill
	buffer_store_dword v1, off, s[0:3], s32 offset:848 ; 4-byte Folded Spill
.LBB232_680:                            ;   in Loop: Header=BB232_10 Depth=1
	s_or_b32 exec_lo, exec_lo, s17
.LBB232_681:                            ;   in Loop: Header=BB232_10 Depth=1
	s_or_b32 exec_lo, exec_lo, s7
.LBB232_682:                            ;   in Loop: Header=BB232_10 Depth=1
	s_or_b32 exec_lo, exec_lo, s6
	flat_load_dword v0, v[2:3] offset:516
	v_mov_b32_e32 v4, 0
	v_mov_b32_e32 v5, 0
	buffer_store_dword v4, off, s[0:3], s32 offset:868 ; 4-byte Folded Spill
	buffer_store_dword v5, off, s[0:3], s32 offset:872 ; 4-byte Folded Spill
	v_mov_b32_e32 v4, 0
	v_mov_b32_e32 v5, 0
	buffer_store_dword v4, off, s[0:3], s32 offset:892 ; 4-byte Folded Spill
	buffer_store_dword v5, off, s[0:3], s32 offset:896 ; 4-byte Folded Spill
	s_waitcnt vmcnt(0) lgkmcnt(0)
	v_cmp_ne_u16_sdwa s5, v0, v61 src0_sel:BYTE_0 src1_sel:DWORD
	s_and_saveexec_b32 s6, s5
	s_cbranch_execz .LBB232_690
; %bb.683:                              ;   in Loop: Header=BB232_10 Depth=1
	v_mov_b32_e32 v1, 0x80
	v_bfrev_b32_e32 v4, 1
	v_mov_b32_e32 v5, 0
	buffer_store_dword v4, off, s[0:3], s32 offset:892 ; 4-byte Folded Spill
	buffer_store_dword v5, off, s[0:3], s32 offset:896 ; 4-byte Folded Spill
	v_cmp_ne_u16_sdwa s5, v0, v1 src0_sel:BYTE_0 src1_sel:DWORD
	s_and_saveexec_b32 s7, s5
	s_cbranch_execz .LBB232_689
; %bb.684:                              ;   in Loop: Header=BB232_10 Depth=1
	v_mov_b32_e32 v5, 0x7f800001
	v_and_b32_e32 v4, 0x7f, v0
	v_mov_b32_e32 v6, 0
	s_mov_b32 s17, exec_lo
	buffer_store_dword v5, off, s[0:3], s32 offset:892 ; 4-byte Folded Spill
	buffer_store_dword v6, off, s[0:3], s32 offset:896 ; 4-byte Folded Spill
	v_cmpx_ne_u32_e32 0x7f, v4
	s_cbranch_execz .LBB232_688
; %bb.685:                              ;   in Loop: Header=BB232_10 Depth=1
	v_and_b32_e32 v60, 7, v0
	v_lshrrev_b32_e32 v1, 3, v4
	s_mov_b32 s18, exec_lo
	v_cmpx_gt_u32_e32 8, v4
; %bb.686:                              ;   in Loop: Header=BB232_10 Depth=1
	v_ffbh_u32_e32 v1, v60
	v_min_u32_e32 v1, 32, v1
	v_subrev_nc_u32_e32 v4, 28, v1
	v_sub_nc_u32_e32 v1, 29, v1
	v_lshlrev_b64 v[4:5], v4, v[60:61]
	v_and_b32_e32 v60, 7, v4
; %bb.687:                              ;   in Loop: Header=BB232_10 Depth=1
	s_or_b32 exec_lo, exec_lo, s18
	v_lshlrev_b32_e32 v4, 24, v0
	v_lshlrev_b32_e32 v5, 20, v60
	v_lshl_add_u32 v1, v1, 23, 0x3c000000
	v_and_b32_e32 v4, 0x80000000, v4
	v_or3_b32 v60, v5, v4, v1
	buffer_store_dword v60, off, s[0:3], s32 offset:892 ; 4-byte Folded Spill
	buffer_store_dword v61, off, s[0:3], s32 offset:896 ; 4-byte Folded Spill
.LBB232_688:                            ;   in Loop: Header=BB232_10 Depth=1
	s_or_b32 exec_lo, exec_lo, s17
.LBB232_689:                            ;   in Loop: Header=BB232_10 Depth=1
	s_or_b32 exec_lo, exec_lo, s7
.LBB232_690:                            ;   in Loop: Header=BB232_10 Depth=1
	s_or_b32 exec_lo, exec_lo, s6
	v_cmp_ne_u16_sdwa s5, v0, v61 src0_sel:BYTE_1 src1_sel:DWORD
	s_and_saveexec_b32 s6, s5
	s_cbranch_execz .LBB232_698
; %bb.691:                              ;   in Loop: Header=BB232_10 Depth=1
	v_mov_b32_e32 v1, 0x80
	v_mov_b32_e32 v84, v61
	buffer_store_dword v84, off, s[0:3], s32 offset:868 ; 4-byte Folded Spill
	buffer_store_dword v85, off, s[0:3], s32 offset:872 ; 4-byte Folded Spill
	v_cmp_ne_u16_sdwa s5, v0, v1 src0_sel:BYTE_1 src1_sel:DWORD
	s_and_saveexec_b32 s7, s5
	s_cbranch_execz .LBB232_697
; %bb.692:                              ;   in Loop: Header=BB232_10 Depth=1
	v_mov_b32_e32 v1, 0xffff
	v_mov_b32_e32 v86, v61
	s_mov_b32 s17, exec_lo
	buffer_store_dword v86, off, s[0:3], s32 offset:868 ; 4-byte Folded Spill
	buffer_store_dword v87, off, s[0:3], s32 offset:872 ; 4-byte Folded Spill
	v_and_b32_sdwa v1, v1, v0 dst_sel:DWORD dst_unused:UNUSED_PAD src0_sel:DWORD src1_sel:BYTE_1
	v_and_b32_e32 v4, 0x7f, v1
	v_cmpx_ne_u32_e32 0x7f, v4
	s_cbranch_execz .LBB232_696
; %bb.693:                              ;   in Loop: Header=BB232_10 Depth=1
	v_and_b32_e32 v60, 7, v1
	v_lshrrev_b32_e32 v1, 3, v4
	s_mov_b32 s18, exec_lo
	v_cmpx_gt_u32_e32 8, v4
; %bb.694:                              ;   in Loop: Header=BB232_10 Depth=1
	v_ffbh_u32_e32 v1, v60
	v_min_u32_e32 v1, 32, v1
	v_subrev_nc_u32_e32 v4, 28, v1
	v_sub_nc_u32_e32 v1, 29, v1
	v_lshlrev_b64 v[4:5], v4, v[60:61]
	v_and_b32_e32 v60, 7, v4
; %bb.695:                              ;   in Loop: Header=BB232_10 Depth=1
	s_or_b32 exec_lo, exec_lo, s18
	v_lshlrev_b32_e32 v4, 16, v0
	v_lshlrev_b32_e32 v5, 20, v60
	v_lshl_add_u32 v1, v1, 23, 0x3c000000
	v_and_b32_e32 v4, 0x80000000, v4
	v_or3_b32 v5, v5, v4, v1
	v_mov_b32_e32 v4, v61
	buffer_store_dword v4, off, s[0:3], s32 offset:868 ; 4-byte Folded Spill
	buffer_store_dword v5, off, s[0:3], s32 offset:872 ; 4-byte Folded Spill
.LBB232_696:                            ;   in Loop: Header=BB232_10 Depth=1
	s_or_b32 exec_lo, exec_lo, s17
.LBB232_697:                            ;   in Loop: Header=BB232_10 Depth=1
	s_or_b32 exec_lo, exec_lo, s7
.LBB232_698:                            ;   in Loop: Header=BB232_10 Depth=1
	s_or_b32 exec_lo, exec_lo, s6
	v_mov_b32_e32 v4, 0
	v_mov_b32_e32 v5, 0
	;; [unrolled: 1-line block ×3, first 2 shown]
	s_mov_b32 s6, exec_lo
	buffer_store_dword v4, off, s[0:3], s32 offset:876 ; 4-byte Folded Spill
	buffer_store_dword v5, off, s[0:3], s32 offset:880 ; 4-byte Folded Spill
	v_mov_b32_e32 v4, 0
	v_and_b32_sdwa v1, v0, v1 dst_sel:DWORD dst_unused:UNUSED_PAD src0_sel:WORD_1 src1_sel:DWORD
	v_mov_b32_e32 v5, 0
	buffer_store_dword v4, off, s[0:3], s32 offset:884 ; 4-byte Folded Spill
	buffer_store_dword v5, off, s[0:3], s32 offset:888 ; 4-byte Folded Spill
	v_cmpx_ne_u16_e32 0, v1
	s_cbranch_execz .LBB232_706
; %bb.699:                              ;   in Loop: Header=BB232_10 Depth=1
	v_bfrev_b32_e32 v4, 1
	v_mov_b32_e32 v5, 0
	s_mov_b32 s7, exec_lo
	buffer_store_dword v4, off, s[0:3], s32 offset:884 ; 4-byte Folded Spill
	buffer_store_dword v5, off, s[0:3], s32 offset:888 ; 4-byte Folded Spill
	v_cmpx_ne_u16_e32 0x80, v1
	s_cbranch_execz .LBB232_705
; %bb.700:                              ;   in Loop: Header=BB232_10 Depth=1
	v_mov_b32_e32 v5, 0x7f800001
	v_bfe_u32 v4, v0, 16, 7
	v_mov_b32_e32 v6, 0
	s_mov_b32 s17, exec_lo
	buffer_store_dword v5, off, s[0:3], s32 offset:884 ; 4-byte Folded Spill
	buffer_store_dword v6, off, s[0:3], s32 offset:888 ; 4-byte Folded Spill
	v_cmpx_ne_u32_e32 0x7f, v4
	s_cbranch_execz .LBB232_704
; %bb.701:                              ;   in Loop: Header=BB232_10 Depth=1
	v_mov_b32_e32 v1, 7
	s_mov_b32 s18, exec_lo
	v_and_b32_sdwa v60, v0, v1 dst_sel:DWORD dst_unused:UNUSED_PAD src0_sel:WORD_1 src1_sel:DWORD
	v_lshrrev_b32_e32 v1, 3, v4
	v_cmpx_gt_u32_e32 8, v4
; %bb.702:                              ;   in Loop: Header=BB232_10 Depth=1
	v_ffbh_u32_e32 v1, v60
	v_min_u32_e32 v1, 32, v1
	v_subrev_nc_u32_e32 v4, 28, v1
	v_sub_nc_u32_e32 v1, 29, v1
	v_lshlrev_b64 v[4:5], v4, v[60:61]
	v_and_b32_e32 v60, 7, v4
; %bb.703:                              ;   in Loop: Header=BB232_10 Depth=1
	s_or_b32 exec_lo, exec_lo, s18
	v_mov_b32_e32 v4, 24
	v_lshlrev_b32_e32 v5, 20, v60
	v_lshl_add_u32 v1, v1, 23, 0x3c000000
	v_lshlrev_b32_sdwa v4, v4, v0 dst_sel:DWORD dst_unused:UNUSED_PAD src0_sel:DWORD src1_sel:WORD_1
	v_and_b32_e32 v4, 0x80000000, v4
	v_or3_b32 v60, v5, v4, v1
	buffer_store_dword v60, off, s[0:3], s32 offset:884 ; 4-byte Folded Spill
	buffer_store_dword v61, off, s[0:3], s32 offset:888 ; 4-byte Folded Spill
.LBB232_704:                            ;   in Loop: Header=BB232_10 Depth=1
	s_or_b32 exec_lo, exec_lo, s17
.LBB232_705:                            ;   in Loop: Header=BB232_10 Depth=1
	s_or_b32 exec_lo, exec_lo, s7
.LBB232_706:                            ;   in Loop: Header=BB232_10 Depth=1
	s_or_b32 exec_lo, exec_lo, s6
	s_mov_b32 s6, exec_lo
	v_cmpx_lt_u32_e32 0xffffff, v0
	s_cbranch_execz .LBB232_714
; %bb.707:                              ;   in Loop: Header=BB232_10 Depth=1
	v_mov_b32_e32 v1, 0x80
	v_mov_b32_e32 v84, v61
	buffer_store_dword v84, off, s[0:3], s32 offset:876 ; 4-byte Folded Spill
	buffer_store_dword v85, off, s[0:3], s32 offset:880 ; 4-byte Folded Spill
	v_cmp_ne_u32_sdwa s5, v0, v1 src0_sel:BYTE_3 src1_sel:DWORD
	s_and_saveexec_b32 s7, s5
	s_cbranch_execz .LBB232_713
; %bb.708:                              ;   in Loop: Header=BB232_10 Depth=1
	v_bfe_u32 v4, v0, 24, 7
	v_mov_b32_e32 v86, v61
	s_mov_b32 s17, exec_lo
	buffer_store_dword v86, off, s[0:3], s32 offset:876 ; 4-byte Folded Spill
	buffer_store_dword v87, off, s[0:3], s32 offset:880 ; 4-byte Folded Spill
	v_cmpx_ne_u32_e32 0x7f, v4
	s_cbranch_execz .LBB232_712
; %bb.709:                              ;   in Loop: Header=BB232_10 Depth=1
	v_mov_b32_e32 v1, 7
	s_mov_b32 s18, exec_lo
	v_and_b32_sdwa v60, v0, v1 dst_sel:DWORD dst_unused:UNUSED_PAD src0_sel:BYTE_3 src1_sel:DWORD
	v_lshrrev_b32_e32 v1, 3, v4
	v_cmpx_gt_u32_e32 8, v4
; %bb.710:                              ;   in Loop: Header=BB232_10 Depth=1
	v_ffbh_u32_e32 v1, v60
	v_min_u32_e32 v1, 32, v1
	v_subrev_nc_u32_e32 v4, 28, v1
	v_sub_nc_u32_e32 v1, 29, v1
	v_lshlrev_b64 v[4:5], v4, v[60:61]
	v_and_b32_e32 v60, 7, v4
; %bb.711:                              ;   in Loop: Header=BB232_10 Depth=1
	s_or_b32 exec_lo, exec_lo, s18
	v_mov_b32_e32 v4, 24
	v_lshl_add_u32 v1, v1, 23, 0x3c000000
	v_lshlrev_b32_sdwa v0, v4, v0 dst_sel:DWORD dst_unused:UNUSED_PAD src0_sel:DWORD src1_sel:BYTE_3
	v_lshlrev_b32_e32 v4, 20, v60
	v_and_b32_e32 v0, 0x80000000, v0
	v_or3_b32 v1, v4, v0, v1
	v_mov_b32_e32 v0, v61
	buffer_store_dword v0, off, s[0:3], s32 offset:876 ; 4-byte Folded Spill
	buffer_store_dword v1, off, s[0:3], s32 offset:880 ; 4-byte Folded Spill
.LBB232_712:                            ;   in Loop: Header=BB232_10 Depth=1
	s_or_b32 exec_lo, exec_lo, s17
.LBB232_713:                            ;   in Loop: Header=BB232_10 Depth=1
	s_or_b32 exec_lo, exec_lo, s7
.LBB232_714:                            ;   in Loop: Header=BB232_10 Depth=1
	s_or_b32 exec_lo, exec_lo, s6
	flat_load_dword v0, v[2:3] offset:520
	v_mov_b32_e32 v4, 0
	v_mov_b32_e32 v5, 0
	buffer_store_dword v4, off, s[0:3], s32 offset:900 ; 4-byte Folded Spill
	buffer_store_dword v5, off, s[0:3], s32 offset:904 ; 4-byte Folded Spill
	v_mov_b32_e32 v4, 0
	v_mov_b32_e32 v5, 0
	buffer_store_dword v4, off, s[0:3], s32 offset:924 ; 4-byte Folded Spill
	buffer_store_dword v5, off, s[0:3], s32 offset:928 ; 4-byte Folded Spill
	s_waitcnt vmcnt(0) lgkmcnt(0)
	v_cmp_ne_u16_sdwa s5, v0, v61 src0_sel:BYTE_0 src1_sel:DWORD
	s_and_saveexec_b32 s6, s5
	s_cbranch_execz .LBB232_722
; %bb.715:                              ;   in Loop: Header=BB232_10 Depth=1
	v_mov_b32_e32 v1, 0x80
	v_bfrev_b32_e32 v4, 1
	v_mov_b32_e32 v5, 0
	buffer_store_dword v4, off, s[0:3], s32 offset:924 ; 4-byte Folded Spill
	buffer_store_dword v5, off, s[0:3], s32 offset:928 ; 4-byte Folded Spill
	v_cmp_ne_u16_sdwa s5, v0, v1 src0_sel:BYTE_0 src1_sel:DWORD
	s_and_saveexec_b32 s7, s5
	s_cbranch_execz .LBB232_721
; %bb.716:                              ;   in Loop: Header=BB232_10 Depth=1
	v_mov_b32_e32 v5, 0x7f800001
	v_and_b32_e32 v4, 0x7f, v0
	v_mov_b32_e32 v6, 0
	s_mov_b32 s17, exec_lo
	buffer_store_dword v5, off, s[0:3], s32 offset:924 ; 4-byte Folded Spill
	buffer_store_dword v6, off, s[0:3], s32 offset:928 ; 4-byte Folded Spill
	v_cmpx_ne_u32_e32 0x7f, v4
	s_cbranch_execz .LBB232_720
; %bb.717:                              ;   in Loop: Header=BB232_10 Depth=1
	v_and_b32_e32 v60, 7, v0
	v_lshrrev_b32_e32 v1, 3, v4
	s_mov_b32 s18, exec_lo
	v_cmpx_gt_u32_e32 8, v4
; %bb.718:                              ;   in Loop: Header=BB232_10 Depth=1
	v_ffbh_u32_e32 v1, v60
	v_min_u32_e32 v1, 32, v1
	v_subrev_nc_u32_e32 v4, 28, v1
	v_sub_nc_u32_e32 v1, 29, v1
	v_lshlrev_b64 v[4:5], v4, v[60:61]
	v_and_b32_e32 v60, 7, v4
; %bb.719:                              ;   in Loop: Header=BB232_10 Depth=1
	s_or_b32 exec_lo, exec_lo, s18
	v_lshlrev_b32_e32 v4, 24, v0
	v_lshlrev_b32_e32 v5, 20, v60
	v_lshl_add_u32 v1, v1, 23, 0x3c000000
	v_and_b32_e32 v4, 0x80000000, v4
	v_or3_b32 v60, v5, v4, v1
	buffer_store_dword v60, off, s[0:3], s32 offset:924 ; 4-byte Folded Spill
	buffer_store_dword v61, off, s[0:3], s32 offset:928 ; 4-byte Folded Spill
.LBB232_720:                            ;   in Loop: Header=BB232_10 Depth=1
	s_or_b32 exec_lo, exec_lo, s17
.LBB232_721:                            ;   in Loop: Header=BB232_10 Depth=1
	s_or_b32 exec_lo, exec_lo, s7
.LBB232_722:                            ;   in Loop: Header=BB232_10 Depth=1
	s_or_b32 exec_lo, exec_lo, s6
	v_cmp_ne_u16_sdwa s5, v0, v61 src0_sel:BYTE_1 src1_sel:DWORD
	s_and_saveexec_b32 s6, s5
	s_cbranch_execz .LBB232_730
; %bb.723:                              ;   in Loop: Header=BB232_10 Depth=1
	v_mov_b32_e32 v1, 0x80
	v_mov_b32_e32 v84, v61
	buffer_store_dword v84, off, s[0:3], s32 offset:900 ; 4-byte Folded Spill
	buffer_store_dword v85, off, s[0:3], s32 offset:904 ; 4-byte Folded Spill
	v_cmp_ne_u16_sdwa s5, v0, v1 src0_sel:BYTE_1 src1_sel:DWORD
	s_and_saveexec_b32 s7, s5
	s_cbranch_execz .LBB232_729
; %bb.724:                              ;   in Loop: Header=BB232_10 Depth=1
	v_mov_b32_e32 v1, 0xffff
	v_mov_b32_e32 v86, v61
	s_mov_b32 s17, exec_lo
	buffer_store_dword v86, off, s[0:3], s32 offset:900 ; 4-byte Folded Spill
	buffer_store_dword v87, off, s[0:3], s32 offset:904 ; 4-byte Folded Spill
	v_and_b32_sdwa v1, v1, v0 dst_sel:DWORD dst_unused:UNUSED_PAD src0_sel:DWORD src1_sel:BYTE_1
	v_and_b32_e32 v4, 0x7f, v1
	v_cmpx_ne_u32_e32 0x7f, v4
	s_cbranch_execz .LBB232_728
; %bb.725:                              ;   in Loop: Header=BB232_10 Depth=1
	v_and_b32_e32 v60, 7, v1
	v_lshrrev_b32_e32 v1, 3, v4
	s_mov_b32 s18, exec_lo
	v_cmpx_gt_u32_e32 8, v4
; %bb.726:                              ;   in Loop: Header=BB232_10 Depth=1
	v_ffbh_u32_e32 v1, v60
	v_min_u32_e32 v1, 32, v1
	v_subrev_nc_u32_e32 v4, 28, v1
	v_sub_nc_u32_e32 v1, 29, v1
	v_lshlrev_b64 v[4:5], v4, v[60:61]
	v_and_b32_e32 v60, 7, v4
; %bb.727:                              ;   in Loop: Header=BB232_10 Depth=1
	s_or_b32 exec_lo, exec_lo, s18
	v_lshlrev_b32_e32 v4, 16, v0
	v_lshlrev_b32_e32 v5, 20, v60
	v_lshl_add_u32 v1, v1, 23, 0x3c000000
	v_and_b32_e32 v4, 0x80000000, v4
	v_or3_b32 v5, v5, v4, v1
	v_mov_b32_e32 v4, v61
	buffer_store_dword v4, off, s[0:3], s32 offset:900 ; 4-byte Folded Spill
	buffer_store_dword v5, off, s[0:3], s32 offset:904 ; 4-byte Folded Spill
.LBB232_728:                            ;   in Loop: Header=BB232_10 Depth=1
	s_or_b32 exec_lo, exec_lo, s17
.LBB232_729:                            ;   in Loop: Header=BB232_10 Depth=1
	s_or_b32 exec_lo, exec_lo, s7
.LBB232_730:                            ;   in Loop: Header=BB232_10 Depth=1
	s_or_b32 exec_lo, exec_lo, s6
	v_mov_b32_e32 v4, 0
	v_mov_b32_e32 v5, 0
	;; [unrolled: 1-line block ×3, first 2 shown]
	s_mov_b32 s6, exec_lo
	buffer_store_dword v4, off, s[0:3], s32 offset:908 ; 4-byte Folded Spill
	buffer_store_dword v5, off, s[0:3], s32 offset:912 ; 4-byte Folded Spill
	v_mov_b32_e32 v4, 0
	v_and_b32_sdwa v1, v0, v1 dst_sel:DWORD dst_unused:UNUSED_PAD src0_sel:WORD_1 src1_sel:DWORD
	v_mov_b32_e32 v5, 0
	buffer_store_dword v4, off, s[0:3], s32 offset:916 ; 4-byte Folded Spill
	buffer_store_dword v5, off, s[0:3], s32 offset:920 ; 4-byte Folded Spill
	v_cmpx_ne_u16_e32 0, v1
	s_cbranch_execz .LBB232_738
; %bb.731:                              ;   in Loop: Header=BB232_10 Depth=1
	v_bfrev_b32_e32 v4, 1
	v_mov_b32_e32 v5, 0
	s_mov_b32 s7, exec_lo
	buffer_store_dword v4, off, s[0:3], s32 offset:916 ; 4-byte Folded Spill
	buffer_store_dword v5, off, s[0:3], s32 offset:920 ; 4-byte Folded Spill
	v_cmpx_ne_u16_e32 0x80, v1
	s_cbranch_execz .LBB232_737
; %bb.732:                              ;   in Loop: Header=BB232_10 Depth=1
	v_mov_b32_e32 v5, 0x7f800001
	v_bfe_u32 v4, v0, 16, 7
	v_mov_b32_e32 v6, 0
	s_mov_b32 s17, exec_lo
	buffer_store_dword v5, off, s[0:3], s32 offset:916 ; 4-byte Folded Spill
	buffer_store_dword v6, off, s[0:3], s32 offset:920 ; 4-byte Folded Spill
	v_cmpx_ne_u32_e32 0x7f, v4
	s_cbranch_execz .LBB232_736
; %bb.733:                              ;   in Loop: Header=BB232_10 Depth=1
	v_mov_b32_e32 v1, 7
	s_mov_b32 s18, exec_lo
	v_and_b32_sdwa v60, v0, v1 dst_sel:DWORD dst_unused:UNUSED_PAD src0_sel:WORD_1 src1_sel:DWORD
	v_lshrrev_b32_e32 v1, 3, v4
	v_cmpx_gt_u32_e32 8, v4
; %bb.734:                              ;   in Loop: Header=BB232_10 Depth=1
	v_ffbh_u32_e32 v1, v60
	v_min_u32_e32 v1, 32, v1
	v_subrev_nc_u32_e32 v4, 28, v1
	v_sub_nc_u32_e32 v1, 29, v1
	v_lshlrev_b64 v[4:5], v4, v[60:61]
	v_and_b32_e32 v60, 7, v4
; %bb.735:                              ;   in Loop: Header=BB232_10 Depth=1
	s_or_b32 exec_lo, exec_lo, s18
	v_mov_b32_e32 v4, 24
	v_lshlrev_b32_e32 v5, 20, v60
	v_lshl_add_u32 v1, v1, 23, 0x3c000000
	v_lshlrev_b32_sdwa v4, v4, v0 dst_sel:DWORD dst_unused:UNUSED_PAD src0_sel:DWORD src1_sel:WORD_1
	v_and_b32_e32 v4, 0x80000000, v4
	v_or3_b32 v60, v5, v4, v1
	buffer_store_dword v60, off, s[0:3], s32 offset:916 ; 4-byte Folded Spill
	buffer_store_dword v61, off, s[0:3], s32 offset:920 ; 4-byte Folded Spill
.LBB232_736:                            ;   in Loop: Header=BB232_10 Depth=1
	s_or_b32 exec_lo, exec_lo, s17
.LBB232_737:                            ;   in Loop: Header=BB232_10 Depth=1
	s_or_b32 exec_lo, exec_lo, s7
.LBB232_738:                            ;   in Loop: Header=BB232_10 Depth=1
	s_or_b32 exec_lo, exec_lo, s6
	s_mov_b32 s6, exec_lo
	v_cmpx_lt_u32_e32 0xffffff, v0
	s_cbranch_execz .LBB232_746
; %bb.739:                              ;   in Loop: Header=BB232_10 Depth=1
	v_mov_b32_e32 v1, 0x80
	v_mov_b32_e32 v84, v61
	buffer_store_dword v84, off, s[0:3], s32 offset:908 ; 4-byte Folded Spill
	buffer_store_dword v85, off, s[0:3], s32 offset:912 ; 4-byte Folded Spill
	v_cmp_ne_u32_sdwa s5, v0, v1 src0_sel:BYTE_3 src1_sel:DWORD
	s_and_saveexec_b32 s7, s5
	s_cbranch_execz .LBB232_745
; %bb.740:                              ;   in Loop: Header=BB232_10 Depth=1
	v_bfe_u32 v4, v0, 24, 7
	v_mov_b32_e32 v86, v61
	s_mov_b32 s17, exec_lo
	buffer_store_dword v86, off, s[0:3], s32 offset:908 ; 4-byte Folded Spill
	buffer_store_dword v87, off, s[0:3], s32 offset:912 ; 4-byte Folded Spill
	v_cmpx_ne_u32_e32 0x7f, v4
	s_cbranch_execz .LBB232_744
; %bb.741:                              ;   in Loop: Header=BB232_10 Depth=1
	v_mov_b32_e32 v1, 7
	s_mov_b32 s18, exec_lo
	v_and_b32_sdwa v60, v0, v1 dst_sel:DWORD dst_unused:UNUSED_PAD src0_sel:BYTE_3 src1_sel:DWORD
	v_lshrrev_b32_e32 v1, 3, v4
	v_cmpx_gt_u32_e32 8, v4
; %bb.742:                              ;   in Loop: Header=BB232_10 Depth=1
	v_ffbh_u32_e32 v1, v60
	v_min_u32_e32 v1, 32, v1
	v_subrev_nc_u32_e32 v4, 28, v1
	v_sub_nc_u32_e32 v1, 29, v1
	v_lshlrev_b64 v[4:5], v4, v[60:61]
	v_and_b32_e32 v60, 7, v4
; %bb.743:                              ;   in Loop: Header=BB232_10 Depth=1
	s_or_b32 exec_lo, exec_lo, s18
	v_mov_b32_e32 v4, 24
	v_lshl_add_u32 v1, v1, 23, 0x3c000000
	v_lshlrev_b32_sdwa v0, v4, v0 dst_sel:DWORD dst_unused:UNUSED_PAD src0_sel:DWORD src1_sel:BYTE_3
	v_lshlrev_b32_e32 v4, 20, v60
	v_and_b32_e32 v0, 0x80000000, v0
	v_or3_b32 v1, v4, v0, v1
	v_mov_b32_e32 v0, v61
	buffer_store_dword v0, off, s[0:3], s32 offset:908 ; 4-byte Folded Spill
	buffer_store_dword v1, off, s[0:3], s32 offset:912 ; 4-byte Folded Spill
.LBB232_744:                            ;   in Loop: Header=BB232_10 Depth=1
	s_or_b32 exec_lo, exec_lo, s17
.LBB232_745:                            ;   in Loop: Header=BB232_10 Depth=1
	s_or_b32 exec_lo, exec_lo, s7
.LBB232_746:                            ;   in Loop: Header=BB232_10 Depth=1
	s_or_b32 exec_lo, exec_lo, s6
	flat_load_dword v0, v[2:3] offset:524
	v_mov_b32_e32 v4, 0
	v_mov_b32_e32 v5, 0
	buffer_store_dword v4, off, s[0:3], s32 offset:932 ; 4-byte Folded Spill
	buffer_store_dword v5, off, s[0:3], s32 offset:936 ; 4-byte Folded Spill
	v_mov_b32_e32 v4, 0
	v_mov_b32_e32 v5, 0
	buffer_store_dword v4, off, s[0:3], s32 offset:956 ; 4-byte Folded Spill
	buffer_store_dword v5, off, s[0:3], s32 offset:960 ; 4-byte Folded Spill
	s_waitcnt vmcnt(0) lgkmcnt(0)
	v_cmp_ne_u16_sdwa s5, v0, v61 src0_sel:BYTE_0 src1_sel:DWORD
	s_and_saveexec_b32 s6, s5
	s_cbranch_execz .LBB232_754
; %bb.747:                              ;   in Loop: Header=BB232_10 Depth=1
	v_mov_b32_e32 v1, 0x80
	v_bfrev_b32_e32 v4, 1
	v_mov_b32_e32 v5, 0
	buffer_store_dword v4, off, s[0:3], s32 offset:956 ; 4-byte Folded Spill
	buffer_store_dword v5, off, s[0:3], s32 offset:960 ; 4-byte Folded Spill
	v_cmp_ne_u16_sdwa s5, v0, v1 src0_sel:BYTE_0 src1_sel:DWORD
	s_and_saveexec_b32 s7, s5
	s_cbranch_execz .LBB232_753
; %bb.748:                              ;   in Loop: Header=BB232_10 Depth=1
	v_mov_b32_e32 v5, 0x7f800001
	v_and_b32_e32 v4, 0x7f, v0
	v_mov_b32_e32 v6, 0
	s_mov_b32 s17, exec_lo
	buffer_store_dword v5, off, s[0:3], s32 offset:956 ; 4-byte Folded Spill
	buffer_store_dword v6, off, s[0:3], s32 offset:960 ; 4-byte Folded Spill
	v_cmpx_ne_u32_e32 0x7f, v4
	s_cbranch_execz .LBB232_752
; %bb.749:                              ;   in Loop: Header=BB232_10 Depth=1
	v_and_b32_e32 v60, 7, v0
	v_lshrrev_b32_e32 v1, 3, v4
	s_mov_b32 s18, exec_lo
	v_cmpx_gt_u32_e32 8, v4
; %bb.750:                              ;   in Loop: Header=BB232_10 Depth=1
	v_ffbh_u32_e32 v1, v60
	v_min_u32_e32 v1, 32, v1
	v_subrev_nc_u32_e32 v4, 28, v1
	v_sub_nc_u32_e32 v1, 29, v1
	v_lshlrev_b64 v[4:5], v4, v[60:61]
	v_and_b32_e32 v60, 7, v4
; %bb.751:                              ;   in Loop: Header=BB232_10 Depth=1
	s_or_b32 exec_lo, exec_lo, s18
	v_lshlrev_b32_e32 v4, 24, v0
	v_lshlrev_b32_e32 v5, 20, v60
	v_lshl_add_u32 v1, v1, 23, 0x3c000000
	v_and_b32_e32 v4, 0x80000000, v4
	v_or3_b32 v60, v5, v4, v1
	buffer_store_dword v60, off, s[0:3], s32 offset:956 ; 4-byte Folded Spill
	buffer_store_dword v61, off, s[0:3], s32 offset:960 ; 4-byte Folded Spill
.LBB232_752:                            ;   in Loop: Header=BB232_10 Depth=1
	s_or_b32 exec_lo, exec_lo, s17
.LBB232_753:                            ;   in Loop: Header=BB232_10 Depth=1
	s_or_b32 exec_lo, exec_lo, s7
.LBB232_754:                            ;   in Loop: Header=BB232_10 Depth=1
	s_or_b32 exec_lo, exec_lo, s6
	v_cmp_ne_u16_sdwa s5, v0, v61 src0_sel:BYTE_1 src1_sel:DWORD
	s_and_saveexec_b32 s6, s5
	s_cbranch_execz .LBB232_762
; %bb.755:                              ;   in Loop: Header=BB232_10 Depth=1
	v_mov_b32_e32 v1, 0x80
	v_mov_b32_e32 v84, v61
	buffer_store_dword v84, off, s[0:3], s32 offset:932 ; 4-byte Folded Spill
	buffer_store_dword v85, off, s[0:3], s32 offset:936 ; 4-byte Folded Spill
	v_cmp_ne_u16_sdwa s5, v0, v1 src0_sel:BYTE_1 src1_sel:DWORD
	s_and_saveexec_b32 s7, s5
	s_cbranch_execz .LBB232_761
; %bb.756:                              ;   in Loop: Header=BB232_10 Depth=1
	v_mov_b32_e32 v1, 0xffff
	v_mov_b32_e32 v86, v61
	s_mov_b32 s17, exec_lo
	buffer_store_dword v86, off, s[0:3], s32 offset:932 ; 4-byte Folded Spill
	buffer_store_dword v87, off, s[0:3], s32 offset:936 ; 4-byte Folded Spill
	v_and_b32_sdwa v1, v1, v0 dst_sel:DWORD dst_unused:UNUSED_PAD src0_sel:DWORD src1_sel:BYTE_1
	v_and_b32_e32 v4, 0x7f, v1
	v_cmpx_ne_u32_e32 0x7f, v4
	s_cbranch_execz .LBB232_760
; %bb.757:                              ;   in Loop: Header=BB232_10 Depth=1
	v_and_b32_e32 v60, 7, v1
	v_lshrrev_b32_e32 v1, 3, v4
	s_mov_b32 s18, exec_lo
	v_cmpx_gt_u32_e32 8, v4
; %bb.758:                              ;   in Loop: Header=BB232_10 Depth=1
	v_ffbh_u32_e32 v1, v60
	v_min_u32_e32 v1, 32, v1
	v_subrev_nc_u32_e32 v4, 28, v1
	v_sub_nc_u32_e32 v1, 29, v1
	v_lshlrev_b64 v[4:5], v4, v[60:61]
	v_and_b32_e32 v60, 7, v4
; %bb.759:                              ;   in Loop: Header=BB232_10 Depth=1
	s_or_b32 exec_lo, exec_lo, s18
	v_lshlrev_b32_e32 v4, 16, v0
	v_lshlrev_b32_e32 v5, 20, v60
	v_lshl_add_u32 v1, v1, 23, 0x3c000000
	v_and_b32_e32 v4, 0x80000000, v4
	v_or3_b32 v5, v5, v4, v1
	v_mov_b32_e32 v4, v61
	buffer_store_dword v4, off, s[0:3], s32 offset:932 ; 4-byte Folded Spill
	buffer_store_dword v5, off, s[0:3], s32 offset:936 ; 4-byte Folded Spill
.LBB232_760:                            ;   in Loop: Header=BB232_10 Depth=1
	s_or_b32 exec_lo, exec_lo, s17
.LBB232_761:                            ;   in Loop: Header=BB232_10 Depth=1
	s_or_b32 exec_lo, exec_lo, s7
.LBB232_762:                            ;   in Loop: Header=BB232_10 Depth=1
	s_or_b32 exec_lo, exec_lo, s6
	v_mov_b32_e32 v4, 0
	v_mov_b32_e32 v5, 0
	;; [unrolled: 1-line block ×3, first 2 shown]
	s_mov_b32 s6, exec_lo
	buffer_store_dword v4, off, s[0:3], s32 offset:940 ; 4-byte Folded Spill
	buffer_store_dword v5, off, s[0:3], s32 offset:944 ; 4-byte Folded Spill
	v_mov_b32_e32 v4, 0
	v_and_b32_sdwa v1, v0, v1 dst_sel:DWORD dst_unused:UNUSED_PAD src0_sel:WORD_1 src1_sel:DWORD
	v_mov_b32_e32 v5, 0
	buffer_store_dword v4, off, s[0:3], s32 offset:948 ; 4-byte Folded Spill
	buffer_store_dword v5, off, s[0:3], s32 offset:952 ; 4-byte Folded Spill
	v_cmpx_ne_u16_e32 0, v1
	s_cbranch_execz .LBB232_770
; %bb.763:                              ;   in Loop: Header=BB232_10 Depth=1
	v_bfrev_b32_e32 v4, 1
	v_mov_b32_e32 v5, 0
	s_mov_b32 s7, exec_lo
	buffer_store_dword v4, off, s[0:3], s32 offset:948 ; 4-byte Folded Spill
	buffer_store_dword v5, off, s[0:3], s32 offset:952 ; 4-byte Folded Spill
	v_cmpx_ne_u16_e32 0x80, v1
	s_cbranch_execz .LBB232_769
; %bb.764:                              ;   in Loop: Header=BB232_10 Depth=1
	v_mov_b32_e32 v5, 0x7f800001
	v_bfe_u32 v4, v0, 16, 7
	v_mov_b32_e32 v6, 0
	s_mov_b32 s17, exec_lo
	buffer_store_dword v5, off, s[0:3], s32 offset:948 ; 4-byte Folded Spill
	buffer_store_dword v6, off, s[0:3], s32 offset:952 ; 4-byte Folded Spill
	v_cmpx_ne_u32_e32 0x7f, v4
	s_cbranch_execz .LBB232_768
; %bb.765:                              ;   in Loop: Header=BB232_10 Depth=1
	v_mov_b32_e32 v1, 7
	s_mov_b32 s18, exec_lo
	v_and_b32_sdwa v60, v0, v1 dst_sel:DWORD dst_unused:UNUSED_PAD src0_sel:WORD_1 src1_sel:DWORD
	v_lshrrev_b32_e32 v1, 3, v4
	v_cmpx_gt_u32_e32 8, v4
; %bb.766:                              ;   in Loop: Header=BB232_10 Depth=1
	v_ffbh_u32_e32 v1, v60
	v_min_u32_e32 v1, 32, v1
	v_subrev_nc_u32_e32 v4, 28, v1
	v_sub_nc_u32_e32 v1, 29, v1
	v_lshlrev_b64 v[4:5], v4, v[60:61]
	v_and_b32_e32 v60, 7, v4
; %bb.767:                              ;   in Loop: Header=BB232_10 Depth=1
	s_or_b32 exec_lo, exec_lo, s18
	v_mov_b32_e32 v4, 24
	v_lshlrev_b32_e32 v5, 20, v60
	v_lshl_add_u32 v1, v1, 23, 0x3c000000
	v_lshlrev_b32_sdwa v4, v4, v0 dst_sel:DWORD dst_unused:UNUSED_PAD src0_sel:DWORD src1_sel:WORD_1
	v_and_b32_e32 v4, 0x80000000, v4
	v_or3_b32 v60, v5, v4, v1
	buffer_store_dword v60, off, s[0:3], s32 offset:948 ; 4-byte Folded Spill
	buffer_store_dword v61, off, s[0:3], s32 offset:952 ; 4-byte Folded Spill
.LBB232_768:                            ;   in Loop: Header=BB232_10 Depth=1
	s_or_b32 exec_lo, exec_lo, s17
.LBB232_769:                            ;   in Loop: Header=BB232_10 Depth=1
	s_or_b32 exec_lo, exec_lo, s7
.LBB232_770:                            ;   in Loop: Header=BB232_10 Depth=1
	s_or_b32 exec_lo, exec_lo, s6
	s_mov_b32 s6, exec_lo
	v_cmpx_lt_u32_e32 0xffffff, v0
	s_cbranch_execz .LBB232_778
; %bb.771:                              ;   in Loop: Header=BB232_10 Depth=1
	v_mov_b32_e32 v1, 0x80
	v_mov_b32_e32 v84, v61
	buffer_store_dword v84, off, s[0:3], s32 offset:940 ; 4-byte Folded Spill
	buffer_store_dword v85, off, s[0:3], s32 offset:944 ; 4-byte Folded Spill
	v_cmp_ne_u32_sdwa s5, v0, v1 src0_sel:BYTE_3 src1_sel:DWORD
	s_and_saveexec_b32 s7, s5
	s_cbranch_execz .LBB232_777
; %bb.772:                              ;   in Loop: Header=BB232_10 Depth=1
	v_bfe_u32 v4, v0, 24, 7
	v_mov_b32_e32 v86, v61
	s_mov_b32 s17, exec_lo
	buffer_store_dword v86, off, s[0:3], s32 offset:940 ; 4-byte Folded Spill
	buffer_store_dword v87, off, s[0:3], s32 offset:944 ; 4-byte Folded Spill
	v_cmpx_ne_u32_e32 0x7f, v4
	s_cbranch_execz .LBB232_776
; %bb.773:                              ;   in Loop: Header=BB232_10 Depth=1
	v_mov_b32_e32 v1, 7
	s_mov_b32 s18, exec_lo
	v_and_b32_sdwa v60, v0, v1 dst_sel:DWORD dst_unused:UNUSED_PAD src0_sel:BYTE_3 src1_sel:DWORD
	v_lshrrev_b32_e32 v1, 3, v4
	v_cmpx_gt_u32_e32 8, v4
; %bb.774:                              ;   in Loop: Header=BB232_10 Depth=1
	v_ffbh_u32_e32 v1, v60
	v_min_u32_e32 v1, 32, v1
	v_subrev_nc_u32_e32 v4, 28, v1
	v_sub_nc_u32_e32 v1, 29, v1
	v_lshlrev_b64 v[4:5], v4, v[60:61]
	v_and_b32_e32 v60, 7, v4
; %bb.775:                              ;   in Loop: Header=BB232_10 Depth=1
	s_or_b32 exec_lo, exec_lo, s18
	v_mov_b32_e32 v4, 24
	v_lshl_add_u32 v1, v1, 23, 0x3c000000
	v_lshlrev_b32_sdwa v0, v4, v0 dst_sel:DWORD dst_unused:UNUSED_PAD src0_sel:DWORD src1_sel:BYTE_3
	v_lshlrev_b32_e32 v4, 20, v60
	v_and_b32_e32 v0, 0x80000000, v0
	v_or3_b32 v1, v4, v0, v1
	v_mov_b32_e32 v0, v61
	buffer_store_dword v0, off, s[0:3], s32 offset:940 ; 4-byte Folded Spill
	buffer_store_dword v1, off, s[0:3], s32 offset:944 ; 4-byte Folded Spill
.LBB232_776:                            ;   in Loop: Header=BB232_10 Depth=1
	s_or_b32 exec_lo, exec_lo, s17
.LBB232_777:                            ;   in Loop: Header=BB232_10 Depth=1
	s_or_b32 exec_lo, exec_lo, s7
.LBB232_778:                            ;   in Loop: Header=BB232_10 Depth=1
	s_or_b32 exec_lo, exec_lo, s6
	flat_load_dword v0, v[2:3] offset:1024
	v_mov_b32_e32 v4, 0
	v_mov_b32_e32 v5, 0
	buffer_store_dword v4, off, s[0:3], s32 offset:964 ; 4-byte Folded Spill
	buffer_store_dword v5, off, s[0:3], s32 offset:968 ; 4-byte Folded Spill
	v_mov_b32_e32 v4, 0
	v_mov_b32_e32 v5, 0
	buffer_store_dword v4, off, s[0:3], s32 offset:988 ; 4-byte Folded Spill
	buffer_store_dword v5, off, s[0:3], s32 offset:992 ; 4-byte Folded Spill
	s_waitcnt vmcnt(0) lgkmcnt(0)
	v_cmp_ne_u16_sdwa s5, v0, v61 src0_sel:BYTE_0 src1_sel:DWORD
	s_and_saveexec_b32 s6, s5
	s_cbranch_execz .LBB232_786
; %bb.779:                              ;   in Loop: Header=BB232_10 Depth=1
	v_mov_b32_e32 v1, 0x80
	v_bfrev_b32_e32 v4, 1
	v_mov_b32_e32 v5, 0
	buffer_store_dword v4, off, s[0:3], s32 offset:988 ; 4-byte Folded Spill
	buffer_store_dword v5, off, s[0:3], s32 offset:992 ; 4-byte Folded Spill
	v_cmp_ne_u16_sdwa s5, v0, v1 src0_sel:BYTE_0 src1_sel:DWORD
	s_and_saveexec_b32 s7, s5
	s_cbranch_execz .LBB232_785
; %bb.780:                              ;   in Loop: Header=BB232_10 Depth=1
	v_mov_b32_e32 v5, 0x7f800001
	v_and_b32_e32 v4, 0x7f, v0
	v_mov_b32_e32 v6, 0
	s_mov_b32 s17, exec_lo
	buffer_store_dword v5, off, s[0:3], s32 offset:988 ; 4-byte Folded Spill
	buffer_store_dword v6, off, s[0:3], s32 offset:992 ; 4-byte Folded Spill
	v_cmpx_ne_u32_e32 0x7f, v4
	s_cbranch_execz .LBB232_784
; %bb.781:                              ;   in Loop: Header=BB232_10 Depth=1
	v_and_b32_e32 v60, 7, v0
	v_lshrrev_b32_e32 v1, 3, v4
	s_mov_b32 s18, exec_lo
	v_cmpx_gt_u32_e32 8, v4
; %bb.782:                              ;   in Loop: Header=BB232_10 Depth=1
	v_ffbh_u32_e32 v1, v60
	v_min_u32_e32 v1, 32, v1
	v_subrev_nc_u32_e32 v4, 28, v1
	v_sub_nc_u32_e32 v1, 29, v1
	v_lshlrev_b64 v[4:5], v4, v[60:61]
	v_and_b32_e32 v60, 7, v4
; %bb.783:                              ;   in Loop: Header=BB232_10 Depth=1
	s_or_b32 exec_lo, exec_lo, s18
	v_lshlrev_b32_e32 v4, 24, v0
	v_lshlrev_b32_e32 v5, 20, v60
	v_lshl_add_u32 v1, v1, 23, 0x3c000000
	v_and_b32_e32 v4, 0x80000000, v4
	v_or3_b32 v60, v5, v4, v1
	buffer_store_dword v60, off, s[0:3], s32 offset:988 ; 4-byte Folded Spill
	buffer_store_dword v61, off, s[0:3], s32 offset:992 ; 4-byte Folded Spill
.LBB232_784:                            ;   in Loop: Header=BB232_10 Depth=1
	s_or_b32 exec_lo, exec_lo, s17
.LBB232_785:                            ;   in Loop: Header=BB232_10 Depth=1
	s_or_b32 exec_lo, exec_lo, s7
.LBB232_786:                            ;   in Loop: Header=BB232_10 Depth=1
	s_or_b32 exec_lo, exec_lo, s6
	v_cmp_ne_u16_sdwa s5, v0, v61 src0_sel:BYTE_1 src1_sel:DWORD
	s_and_saveexec_b32 s6, s5
	s_cbranch_execz .LBB232_794
; %bb.787:                              ;   in Loop: Header=BB232_10 Depth=1
	v_mov_b32_e32 v1, 0x80
	v_mov_b32_e32 v84, v61
	buffer_store_dword v84, off, s[0:3], s32 offset:964 ; 4-byte Folded Spill
	buffer_store_dword v85, off, s[0:3], s32 offset:968 ; 4-byte Folded Spill
	v_cmp_ne_u16_sdwa s5, v0, v1 src0_sel:BYTE_1 src1_sel:DWORD
	s_and_saveexec_b32 s7, s5
	s_cbranch_execz .LBB232_793
; %bb.788:                              ;   in Loop: Header=BB232_10 Depth=1
	v_mov_b32_e32 v1, 0xffff
	v_mov_b32_e32 v86, v61
	s_mov_b32 s17, exec_lo
	buffer_store_dword v86, off, s[0:3], s32 offset:964 ; 4-byte Folded Spill
	buffer_store_dword v87, off, s[0:3], s32 offset:968 ; 4-byte Folded Spill
	v_and_b32_sdwa v1, v1, v0 dst_sel:DWORD dst_unused:UNUSED_PAD src0_sel:DWORD src1_sel:BYTE_1
	v_and_b32_e32 v4, 0x7f, v1
	v_cmpx_ne_u32_e32 0x7f, v4
	s_cbranch_execz .LBB232_792
; %bb.789:                              ;   in Loop: Header=BB232_10 Depth=1
	v_and_b32_e32 v60, 7, v1
	v_lshrrev_b32_e32 v1, 3, v4
	s_mov_b32 s18, exec_lo
	v_cmpx_gt_u32_e32 8, v4
; %bb.790:                              ;   in Loop: Header=BB232_10 Depth=1
	v_ffbh_u32_e32 v1, v60
	v_min_u32_e32 v1, 32, v1
	v_subrev_nc_u32_e32 v4, 28, v1
	v_sub_nc_u32_e32 v1, 29, v1
	v_lshlrev_b64 v[4:5], v4, v[60:61]
	v_and_b32_e32 v60, 7, v4
; %bb.791:                              ;   in Loop: Header=BB232_10 Depth=1
	s_or_b32 exec_lo, exec_lo, s18
	v_lshlrev_b32_e32 v4, 16, v0
	v_lshlrev_b32_e32 v5, 20, v60
	v_lshl_add_u32 v1, v1, 23, 0x3c000000
	v_and_b32_e32 v4, 0x80000000, v4
	v_or3_b32 v5, v5, v4, v1
	v_mov_b32_e32 v4, v61
	buffer_store_dword v4, off, s[0:3], s32 offset:964 ; 4-byte Folded Spill
	buffer_store_dword v5, off, s[0:3], s32 offset:968 ; 4-byte Folded Spill
.LBB232_792:                            ;   in Loop: Header=BB232_10 Depth=1
	s_or_b32 exec_lo, exec_lo, s17
.LBB232_793:                            ;   in Loop: Header=BB232_10 Depth=1
	s_or_b32 exec_lo, exec_lo, s7
.LBB232_794:                            ;   in Loop: Header=BB232_10 Depth=1
	s_or_b32 exec_lo, exec_lo, s6
	v_mov_b32_e32 v4, 0
	v_mov_b32_e32 v5, 0
	;; [unrolled: 1-line block ×3, first 2 shown]
	s_mov_b32 s6, exec_lo
	buffer_store_dword v4, off, s[0:3], s32 offset:972 ; 4-byte Folded Spill
	buffer_store_dword v5, off, s[0:3], s32 offset:976 ; 4-byte Folded Spill
	v_mov_b32_e32 v4, 0
	v_and_b32_sdwa v1, v0, v1 dst_sel:DWORD dst_unused:UNUSED_PAD src0_sel:WORD_1 src1_sel:DWORD
	v_mov_b32_e32 v5, 0
	buffer_store_dword v4, off, s[0:3], s32 offset:980 ; 4-byte Folded Spill
	buffer_store_dword v5, off, s[0:3], s32 offset:984 ; 4-byte Folded Spill
	v_cmpx_ne_u16_e32 0, v1
	s_cbranch_execz .LBB232_802
; %bb.795:                              ;   in Loop: Header=BB232_10 Depth=1
	v_bfrev_b32_e32 v4, 1
	v_mov_b32_e32 v5, 0
	s_mov_b32 s7, exec_lo
	buffer_store_dword v4, off, s[0:3], s32 offset:980 ; 4-byte Folded Spill
	buffer_store_dword v5, off, s[0:3], s32 offset:984 ; 4-byte Folded Spill
	v_cmpx_ne_u16_e32 0x80, v1
	s_cbranch_execz .LBB232_801
; %bb.796:                              ;   in Loop: Header=BB232_10 Depth=1
	v_mov_b32_e32 v5, 0x7f800001
	v_bfe_u32 v4, v0, 16, 7
	v_mov_b32_e32 v6, 0
	s_mov_b32 s17, exec_lo
	buffer_store_dword v5, off, s[0:3], s32 offset:980 ; 4-byte Folded Spill
	buffer_store_dword v6, off, s[0:3], s32 offset:984 ; 4-byte Folded Spill
	v_cmpx_ne_u32_e32 0x7f, v4
	s_cbranch_execz .LBB232_800
; %bb.797:                              ;   in Loop: Header=BB232_10 Depth=1
	v_mov_b32_e32 v1, 7
	s_mov_b32 s18, exec_lo
	v_and_b32_sdwa v60, v0, v1 dst_sel:DWORD dst_unused:UNUSED_PAD src0_sel:WORD_1 src1_sel:DWORD
	v_lshrrev_b32_e32 v1, 3, v4
	v_cmpx_gt_u32_e32 8, v4
; %bb.798:                              ;   in Loop: Header=BB232_10 Depth=1
	v_ffbh_u32_e32 v1, v60
	v_min_u32_e32 v1, 32, v1
	v_subrev_nc_u32_e32 v4, 28, v1
	v_sub_nc_u32_e32 v1, 29, v1
	v_lshlrev_b64 v[4:5], v4, v[60:61]
	v_and_b32_e32 v60, 7, v4
; %bb.799:                              ;   in Loop: Header=BB232_10 Depth=1
	s_or_b32 exec_lo, exec_lo, s18
	v_mov_b32_e32 v4, 24
	v_lshlrev_b32_e32 v5, 20, v60
	v_lshl_add_u32 v1, v1, 23, 0x3c000000
	v_lshlrev_b32_sdwa v4, v4, v0 dst_sel:DWORD dst_unused:UNUSED_PAD src0_sel:DWORD src1_sel:WORD_1
	v_and_b32_e32 v4, 0x80000000, v4
	v_or3_b32 v60, v5, v4, v1
	buffer_store_dword v60, off, s[0:3], s32 offset:980 ; 4-byte Folded Spill
	buffer_store_dword v61, off, s[0:3], s32 offset:984 ; 4-byte Folded Spill
.LBB232_800:                            ;   in Loop: Header=BB232_10 Depth=1
	s_or_b32 exec_lo, exec_lo, s17
.LBB232_801:                            ;   in Loop: Header=BB232_10 Depth=1
	s_or_b32 exec_lo, exec_lo, s7
.LBB232_802:                            ;   in Loop: Header=BB232_10 Depth=1
	s_or_b32 exec_lo, exec_lo, s6
	s_mov_b32 s6, exec_lo
	v_cmpx_lt_u32_e32 0xffffff, v0
	s_cbranch_execz .LBB232_810
; %bb.803:                              ;   in Loop: Header=BB232_10 Depth=1
	v_mov_b32_e32 v1, 0x80
	v_mov_b32_e32 v84, v61
	buffer_store_dword v84, off, s[0:3], s32 offset:972 ; 4-byte Folded Spill
	buffer_store_dword v85, off, s[0:3], s32 offset:976 ; 4-byte Folded Spill
	v_cmp_ne_u32_sdwa s5, v0, v1 src0_sel:BYTE_3 src1_sel:DWORD
	s_and_saveexec_b32 s7, s5
	s_cbranch_execz .LBB232_809
; %bb.804:                              ;   in Loop: Header=BB232_10 Depth=1
	v_bfe_u32 v4, v0, 24, 7
	v_mov_b32_e32 v86, v61
	s_mov_b32 s17, exec_lo
	buffer_store_dword v86, off, s[0:3], s32 offset:972 ; 4-byte Folded Spill
	buffer_store_dword v87, off, s[0:3], s32 offset:976 ; 4-byte Folded Spill
	v_cmpx_ne_u32_e32 0x7f, v4
	s_cbranch_execz .LBB232_808
; %bb.805:                              ;   in Loop: Header=BB232_10 Depth=1
	v_mov_b32_e32 v1, 7
	s_mov_b32 s18, exec_lo
	v_and_b32_sdwa v60, v0, v1 dst_sel:DWORD dst_unused:UNUSED_PAD src0_sel:BYTE_3 src1_sel:DWORD
	v_lshrrev_b32_e32 v1, 3, v4
	v_cmpx_gt_u32_e32 8, v4
; %bb.806:                              ;   in Loop: Header=BB232_10 Depth=1
	v_ffbh_u32_e32 v1, v60
	v_min_u32_e32 v1, 32, v1
	v_subrev_nc_u32_e32 v4, 28, v1
	v_sub_nc_u32_e32 v1, 29, v1
	v_lshlrev_b64 v[4:5], v4, v[60:61]
	v_and_b32_e32 v60, 7, v4
; %bb.807:                              ;   in Loop: Header=BB232_10 Depth=1
	s_or_b32 exec_lo, exec_lo, s18
	v_mov_b32_e32 v4, 24
	v_lshl_add_u32 v1, v1, 23, 0x3c000000
	v_lshlrev_b32_sdwa v0, v4, v0 dst_sel:DWORD dst_unused:UNUSED_PAD src0_sel:DWORD src1_sel:BYTE_3
	v_lshlrev_b32_e32 v4, 20, v60
	v_and_b32_e32 v0, 0x80000000, v0
	v_or3_b32 v1, v4, v0, v1
	v_mov_b32_e32 v0, v61
	buffer_store_dword v0, off, s[0:3], s32 offset:972 ; 4-byte Folded Spill
	buffer_store_dword v1, off, s[0:3], s32 offset:976 ; 4-byte Folded Spill
.LBB232_808:                            ;   in Loop: Header=BB232_10 Depth=1
	s_or_b32 exec_lo, exec_lo, s17
.LBB232_809:                            ;   in Loop: Header=BB232_10 Depth=1
	s_or_b32 exec_lo, exec_lo, s7
.LBB232_810:                            ;   in Loop: Header=BB232_10 Depth=1
	s_or_b32 exec_lo, exec_lo, s6
	flat_load_dword v0, v[2:3] offset:1028
	v_mov_b32_e32 v4, 0
	v_mov_b32_e32 v5, 0
	buffer_store_dword v4, off, s[0:3], s32 offset:996 ; 4-byte Folded Spill
	buffer_store_dword v5, off, s[0:3], s32 offset:1000 ; 4-byte Folded Spill
	v_mov_b32_e32 v4, 0
	v_mov_b32_e32 v5, 0
	buffer_store_dword v4, off, s[0:3], s32 offset:1020 ; 4-byte Folded Spill
	buffer_store_dword v5, off, s[0:3], s32 offset:1024 ; 4-byte Folded Spill
	s_waitcnt vmcnt(0) lgkmcnt(0)
	v_cmp_ne_u16_sdwa s5, v0, v61 src0_sel:BYTE_0 src1_sel:DWORD
	s_and_saveexec_b32 s6, s5
	s_cbranch_execz .LBB232_818
; %bb.811:                              ;   in Loop: Header=BB232_10 Depth=1
	v_mov_b32_e32 v1, 0x80
	v_bfrev_b32_e32 v4, 1
	v_mov_b32_e32 v5, 0
	buffer_store_dword v4, off, s[0:3], s32 offset:1020 ; 4-byte Folded Spill
	buffer_store_dword v5, off, s[0:3], s32 offset:1024 ; 4-byte Folded Spill
	v_cmp_ne_u16_sdwa s5, v0, v1 src0_sel:BYTE_0 src1_sel:DWORD
	s_and_saveexec_b32 s7, s5
	s_cbranch_execz .LBB232_817
; %bb.812:                              ;   in Loop: Header=BB232_10 Depth=1
	v_mov_b32_e32 v5, 0x7f800001
	v_and_b32_e32 v4, 0x7f, v0
	v_mov_b32_e32 v6, 0
	s_mov_b32 s17, exec_lo
	buffer_store_dword v5, off, s[0:3], s32 offset:1020 ; 4-byte Folded Spill
	buffer_store_dword v6, off, s[0:3], s32 offset:1024 ; 4-byte Folded Spill
	v_cmpx_ne_u32_e32 0x7f, v4
	s_cbranch_execz .LBB232_816
; %bb.813:                              ;   in Loop: Header=BB232_10 Depth=1
	v_and_b32_e32 v60, 7, v0
	v_lshrrev_b32_e32 v1, 3, v4
	s_mov_b32 s18, exec_lo
	v_cmpx_gt_u32_e32 8, v4
; %bb.814:                              ;   in Loop: Header=BB232_10 Depth=1
	v_ffbh_u32_e32 v1, v60
	v_min_u32_e32 v1, 32, v1
	v_subrev_nc_u32_e32 v4, 28, v1
	v_sub_nc_u32_e32 v1, 29, v1
	v_lshlrev_b64 v[4:5], v4, v[60:61]
	v_and_b32_e32 v60, 7, v4
; %bb.815:                              ;   in Loop: Header=BB232_10 Depth=1
	s_or_b32 exec_lo, exec_lo, s18
	v_lshlrev_b32_e32 v4, 24, v0
	v_lshlrev_b32_e32 v5, 20, v60
	v_lshl_add_u32 v1, v1, 23, 0x3c000000
	v_and_b32_e32 v4, 0x80000000, v4
	v_or3_b32 v60, v5, v4, v1
	buffer_store_dword v60, off, s[0:3], s32 offset:1020 ; 4-byte Folded Spill
	buffer_store_dword v61, off, s[0:3], s32 offset:1024 ; 4-byte Folded Spill
.LBB232_816:                            ;   in Loop: Header=BB232_10 Depth=1
	s_or_b32 exec_lo, exec_lo, s17
.LBB232_817:                            ;   in Loop: Header=BB232_10 Depth=1
	s_or_b32 exec_lo, exec_lo, s7
.LBB232_818:                            ;   in Loop: Header=BB232_10 Depth=1
	s_or_b32 exec_lo, exec_lo, s6
	v_cmp_ne_u16_sdwa s5, v0, v61 src0_sel:BYTE_1 src1_sel:DWORD
	s_and_saveexec_b32 s6, s5
	s_cbranch_execz .LBB232_826
; %bb.819:                              ;   in Loop: Header=BB232_10 Depth=1
	v_mov_b32_e32 v1, 0x80
	v_mov_b32_e32 v84, v61
	buffer_store_dword v84, off, s[0:3], s32 offset:996 ; 4-byte Folded Spill
	buffer_store_dword v85, off, s[0:3], s32 offset:1000 ; 4-byte Folded Spill
	v_cmp_ne_u16_sdwa s5, v0, v1 src0_sel:BYTE_1 src1_sel:DWORD
	s_and_saveexec_b32 s7, s5
	s_cbranch_execz .LBB232_825
; %bb.820:                              ;   in Loop: Header=BB232_10 Depth=1
	v_mov_b32_e32 v1, 0xffff
	v_mov_b32_e32 v86, v61
	s_mov_b32 s17, exec_lo
	buffer_store_dword v86, off, s[0:3], s32 offset:996 ; 4-byte Folded Spill
	buffer_store_dword v87, off, s[0:3], s32 offset:1000 ; 4-byte Folded Spill
	v_and_b32_sdwa v1, v1, v0 dst_sel:DWORD dst_unused:UNUSED_PAD src0_sel:DWORD src1_sel:BYTE_1
	v_and_b32_e32 v4, 0x7f, v1
	v_cmpx_ne_u32_e32 0x7f, v4
	s_cbranch_execz .LBB232_824
; %bb.821:                              ;   in Loop: Header=BB232_10 Depth=1
	v_and_b32_e32 v60, 7, v1
	v_lshrrev_b32_e32 v1, 3, v4
	s_mov_b32 s18, exec_lo
	v_cmpx_gt_u32_e32 8, v4
; %bb.822:                              ;   in Loop: Header=BB232_10 Depth=1
	v_ffbh_u32_e32 v1, v60
	v_min_u32_e32 v1, 32, v1
	v_subrev_nc_u32_e32 v4, 28, v1
	v_sub_nc_u32_e32 v1, 29, v1
	v_lshlrev_b64 v[4:5], v4, v[60:61]
	v_and_b32_e32 v60, 7, v4
; %bb.823:                              ;   in Loop: Header=BB232_10 Depth=1
	s_or_b32 exec_lo, exec_lo, s18
	v_lshlrev_b32_e32 v4, 16, v0
	v_lshlrev_b32_e32 v5, 20, v60
	v_lshl_add_u32 v1, v1, 23, 0x3c000000
	v_and_b32_e32 v4, 0x80000000, v4
	v_or3_b32 v5, v5, v4, v1
	v_mov_b32_e32 v4, v61
	buffer_store_dword v4, off, s[0:3], s32 offset:996 ; 4-byte Folded Spill
	buffer_store_dword v5, off, s[0:3], s32 offset:1000 ; 4-byte Folded Spill
.LBB232_824:                            ;   in Loop: Header=BB232_10 Depth=1
	s_or_b32 exec_lo, exec_lo, s17
.LBB232_825:                            ;   in Loop: Header=BB232_10 Depth=1
	s_or_b32 exec_lo, exec_lo, s7
.LBB232_826:                            ;   in Loop: Header=BB232_10 Depth=1
	s_or_b32 exec_lo, exec_lo, s6
	v_mov_b32_e32 v4, 0
	v_mov_b32_e32 v5, 0
	;; [unrolled: 1-line block ×3, first 2 shown]
	s_mov_b32 s6, exec_lo
	buffer_store_dword v4, off, s[0:3], s32 offset:1004 ; 4-byte Folded Spill
	buffer_store_dword v5, off, s[0:3], s32 offset:1008 ; 4-byte Folded Spill
	v_mov_b32_e32 v4, 0
	v_and_b32_sdwa v1, v0, v1 dst_sel:DWORD dst_unused:UNUSED_PAD src0_sel:WORD_1 src1_sel:DWORD
	v_mov_b32_e32 v5, 0
	buffer_store_dword v4, off, s[0:3], s32 offset:1012 ; 4-byte Folded Spill
	buffer_store_dword v5, off, s[0:3], s32 offset:1016 ; 4-byte Folded Spill
	v_cmpx_ne_u16_e32 0, v1
	s_cbranch_execz .LBB232_834
; %bb.827:                              ;   in Loop: Header=BB232_10 Depth=1
	v_bfrev_b32_e32 v4, 1
	v_mov_b32_e32 v5, 0
	s_mov_b32 s7, exec_lo
	buffer_store_dword v4, off, s[0:3], s32 offset:1012 ; 4-byte Folded Spill
	buffer_store_dword v5, off, s[0:3], s32 offset:1016 ; 4-byte Folded Spill
	v_cmpx_ne_u16_e32 0x80, v1
	s_cbranch_execz .LBB232_833
; %bb.828:                              ;   in Loop: Header=BB232_10 Depth=1
	v_mov_b32_e32 v5, 0x7f800001
	v_bfe_u32 v4, v0, 16, 7
	v_mov_b32_e32 v6, 0
	s_mov_b32 s17, exec_lo
	buffer_store_dword v5, off, s[0:3], s32 offset:1012 ; 4-byte Folded Spill
	buffer_store_dword v6, off, s[0:3], s32 offset:1016 ; 4-byte Folded Spill
	v_cmpx_ne_u32_e32 0x7f, v4
	s_cbranch_execz .LBB232_832
; %bb.829:                              ;   in Loop: Header=BB232_10 Depth=1
	v_mov_b32_e32 v1, 7
	s_mov_b32 s18, exec_lo
	v_and_b32_sdwa v60, v0, v1 dst_sel:DWORD dst_unused:UNUSED_PAD src0_sel:WORD_1 src1_sel:DWORD
	v_lshrrev_b32_e32 v1, 3, v4
	v_cmpx_gt_u32_e32 8, v4
; %bb.830:                              ;   in Loop: Header=BB232_10 Depth=1
	v_ffbh_u32_e32 v1, v60
	v_min_u32_e32 v1, 32, v1
	v_subrev_nc_u32_e32 v4, 28, v1
	v_sub_nc_u32_e32 v1, 29, v1
	v_lshlrev_b64 v[4:5], v4, v[60:61]
	v_and_b32_e32 v60, 7, v4
; %bb.831:                              ;   in Loop: Header=BB232_10 Depth=1
	s_or_b32 exec_lo, exec_lo, s18
	v_mov_b32_e32 v4, 24
	v_lshlrev_b32_e32 v5, 20, v60
	v_lshl_add_u32 v1, v1, 23, 0x3c000000
	v_lshlrev_b32_sdwa v4, v4, v0 dst_sel:DWORD dst_unused:UNUSED_PAD src0_sel:DWORD src1_sel:WORD_1
	v_and_b32_e32 v4, 0x80000000, v4
	v_or3_b32 v60, v5, v4, v1
	buffer_store_dword v60, off, s[0:3], s32 offset:1012 ; 4-byte Folded Spill
	buffer_store_dword v61, off, s[0:3], s32 offset:1016 ; 4-byte Folded Spill
.LBB232_832:                            ;   in Loop: Header=BB232_10 Depth=1
	s_or_b32 exec_lo, exec_lo, s17
.LBB232_833:                            ;   in Loop: Header=BB232_10 Depth=1
	s_or_b32 exec_lo, exec_lo, s7
.LBB232_834:                            ;   in Loop: Header=BB232_10 Depth=1
	s_or_b32 exec_lo, exec_lo, s6
	s_mov_b32 s6, exec_lo
	v_cmpx_lt_u32_e32 0xffffff, v0
	s_cbranch_execz .LBB232_842
; %bb.835:                              ;   in Loop: Header=BB232_10 Depth=1
	v_mov_b32_e32 v1, 0x80
	v_mov_b32_e32 v84, v61
	buffer_store_dword v84, off, s[0:3], s32 offset:1004 ; 4-byte Folded Spill
	buffer_store_dword v85, off, s[0:3], s32 offset:1008 ; 4-byte Folded Spill
	v_cmp_ne_u32_sdwa s5, v0, v1 src0_sel:BYTE_3 src1_sel:DWORD
	s_and_saveexec_b32 s7, s5
	s_cbranch_execz .LBB232_841
; %bb.836:                              ;   in Loop: Header=BB232_10 Depth=1
	v_bfe_u32 v4, v0, 24, 7
	v_mov_b32_e32 v86, v61
	s_mov_b32 s17, exec_lo
	buffer_store_dword v86, off, s[0:3], s32 offset:1004 ; 4-byte Folded Spill
	buffer_store_dword v87, off, s[0:3], s32 offset:1008 ; 4-byte Folded Spill
	v_cmpx_ne_u32_e32 0x7f, v4
	s_cbranch_execz .LBB232_840
; %bb.837:                              ;   in Loop: Header=BB232_10 Depth=1
	v_mov_b32_e32 v1, 7
	s_mov_b32 s18, exec_lo
	v_and_b32_sdwa v60, v0, v1 dst_sel:DWORD dst_unused:UNUSED_PAD src0_sel:BYTE_3 src1_sel:DWORD
	v_lshrrev_b32_e32 v1, 3, v4
	v_cmpx_gt_u32_e32 8, v4
; %bb.838:                              ;   in Loop: Header=BB232_10 Depth=1
	v_ffbh_u32_e32 v1, v60
	v_min_u32_e32 v1, 32, v1
	v_subrev_nc_u32_e32 v4, 28, v1
	v_sub_nc_u32_e32 v1, 29, v1
	v_lshlrev_b64 v[4:5], v4, v[60:61]
	v_and_b32_e32 v60, 7, v4
; %bb.839:                              ;   in Loop: Header=BB232_10 Depth=1
	s_or_b32 exec_lo, exec_lo, s18
	v_mov_b32_e32 v4, 24
	v_lshl_add_u32 v1, v1, 23, 0x3c000000
	v_lshlrev_b32_sdwa v0, v4, v0 dst_sel:DWORD dst_unused:UNUSED_PAD src0_sel:DWORD src1_sel:BYTE_3
	v_lshlrev_b32_e32 v4, 20, v60
	v_and_b32_e32 v0, 0x80000000, v0
	v_or3_b32 v1, v4, v0, v1
	v_mov_b32_e32 v0, v61
	buffer_store_dword v0, off, s[0:3], s32 offset:1004 ; 4-byte Folded Spill
	buffer_store_dword v1, off, s[0:3], s32 offset:1008 ; 4-byte Folded Spill
.LBB232_840:                            ;   in Loop: Header=BB232_10 Depth=1
	s_or_b32 exec_lo, exec_lo, s17
.LBB232_841:                            ;   in Loop: Header=BB232_10 Depth=1
	s_or_b32 exec_lo, exec_lo, s7
.LBB232_842:                            ;   in Loop: Header=BB232_10 Depth=1
	s_or_b32 exec_lo, exec_lo, s6
	flat_load_dword v0, v[2:3] offset:1032
	v_mov_b32_e32 v4, 0
	v_mov_b32_e32 v5, 0
	buffer_store_dword v4, off, s[0:3], s32 offset:1028 ; 4-byte Folded Spill
	buffer_store_dword v5, off, s[0:3], s32 offset:1032 ; 4-byte Folded Spill
	v_mov_b32_e32 v4, 0
	v_mov_b32_e32 v5, 0
	buffer_store_dword v4, off, s[0:3], s32 offset:1052 ; 4-byte Folded Spill
	buffer_store_dword v5, off, s[0:3], s32 offset:1056 ; 4-byte Folded Spill
	s_waitcnt vmcnt(0) lgkmcnt(0)
	v_cmp_ne_u16_sdwa s5, v0, v61 src0_sel:BYTE_0 src1_sel:DWORD
	s_and_saveexec_b32 s6, s5
	s_cbranch_execz .LBB232_850
; %bb.843:                              ;   in Loop: Header=BB232_10 Depth=1
	v_mov_b32_e32 v1, 0x80
	v_bfrev_b32_e32 v4, 1
	v_mov_b32_e32 v5, 0
	buffer_store_dword v4, off, s[0:3], s32 offset:1052 ; 4-byte Folded Spill
	buffer_store_dword v5, off, s[0:3], s32 offset:1056 ; 4-byte Folded Spill
	v_cmp_ne_u16_sdwa s5, v0, v1 src0_sel:BYTE_0 src1_sel:DWORD
	s_and_saveexec_b32 s7, s5
	s_cbranch_execz .LBB232_849
; %bb.844:                              ;   in Loop: Header=BB232_10 Depth=1
	v_mov_b32_e32 v5, 0x7f800001
	v_and_b32_e32 v4, 0x7f, v0
	v_mov_b32_e32 v6, 0
	s_mov_b32 s17, exec_lo
	buffer_store_dword v5, off, s[0:3], s32 offset:1052 ; 4-byte Folded Spill
	buffer_store_dword v6, off, s[0:3], s32 offset:1056 ; 4-byte Folded Spill
	v_cmpx_ne_u32_e32 0x7f, v4
	s_cbranch_execz .LBB232_848
; %bb.845:                              ;   in Loop: Header=BB232_10 Depth=1
	v_and_b32_e32 v60, 7, v0
	v_lshrrev_b32_e32 v1, 3, v4
	s_mov_b32 s18, exec_lo
	v_cmpx_gt_u32_e32 8, v4
; %bb.846:                              ;   in Loop: Header=BB232_10 Depth=1
	v_ffbh_u32_e32 v1, v60
	v_min_u32_e32 v1, 32, v1
	v_subrev_nc_u32_e32 v4, 28, v1
	v_sub_nc_u32_e32 v1, 29, v1
	v_lshlrev_b64 v[4:5], v4, v[60:61]
	v_and_b32_e32 v60, 7, v4
; %bb.847:                              ;   in Loop: Header=BB232_10 Depth=1
	s_or_b32 exec_lo, exec_lo, s18
	v_lshlrev_b32_e32 v4, 24, v0
	v_lshlrev_b32_e32 v5, 20, v60
	v_lshl_add_u32 v1, v1, 23, 0x3c000000
	v_and_b32_e32 v4, 0x80000000, v4
	v_or3_b32 v60, v5, v4, v1
	buffer_store_dword v60, off, s[0:3], s32 offset:1052 ; 4-byte Folded Spill
	buffer_store_dword v61, off, s[0:3], s32 offset:1056 ; 4-byte Folded Spill
.LBB232_848:                            ;   in Loop: Header=BB232_10 Depth=1
	s_or_b32 exec_lo, exec_lo, s17
.LBB232_849:                            ;   in Loop: Header=BB232_10 Depth=1
	s_or_b32 exec_lo, exec_lo, s7
.LBB232_850:                            ;   in Loop: Header=BB232_10 Depth=1
	s_or_b32 exec_lo, exec_lo, s6
	v_cmp_ne_u16_sdwa s5, v0, v61 src0_sel:BYTE_1 src1_sel:DWORD
	s_and_saveexec_b32 s6, s5
	s_cbranch_execz .LBB232_858
; %bb.851:                              ;   in Loop: Header=BB232_10 Depth=1
	v_mov_b32_e32 v1, 0x80
	v_mov_b32_e32 v84, v61
	buffer_store_dword v84, off, s[0:3], s32 offset:1028 ; 4-byte Folded Spill
	buffer_store_dword v85, off, s[0:3], s32 offset:1032 ; 4-byte Folded Spill
	v_cmp_ne_u16_sdwa s5, v0, v1 src0_sel:BYTE_1 src1_sel:DWORD
	s_and_saveexec_b32 s7, s5
	s_cbranch_execz .LBB232_857
; %bb.852:                              ;   in Loop: Header=BB232_10 Depth=1
	v_mov_b32_e32 v1, 0xffff
	v_mov_b32_e32 v86, v61
	s_mov_b32 s17, exec_lo
	buffer_store_dword v86, off, s[0:3], s32 offset:1028 ; 4-byte Folded Spill
	buffer_store_dword v87, off, s[0:3], s32 offset:1032 ; 4-byte Folded Spill
	v_and_b32_sdwa v1, v1, v0 dst_sel:DWORD dst_unused:UNUSED_PAD src0_sel:DWORD src1_sel:BYTE_1
	v_and_b32_e32 v4, 0x7f, v1
	v_cmpx_ne_u32_e32 0x7f, v4
	s_cbranch_execz .LBB232_856
; %bb.853:                              ;   in Loop: Header=BB232_10 Depth=1
	v_and_b32_e32 v60, 7, v1
	v_lshrrev_b32_e32 v1, 3, v4
	s_mov_b32 s18, exec_lo
	v_cmpx_gt_u32_e32 8, v4
; %bb.854:                              ;   in Loop: Header=BB232_10 Depth=1
	v_ffbh_u32_e32 v1, v60
	v_min_u32_e32 v1, 32, v1
	v_subrev_nc_u32_e32 v4, 28, v1
	v_sub_nc_u32_e32 v1, 29, v1
	v_lshlrev_b64 v[4:5], v4, v[60:61]
	v_and_b32_e32 v60, 7, v4
; %bb.855:                              ;   in Loop: Header=BB232_10 Depth=1
	s_or_b32 exec_lo, exec_lo, s18
	v_lshlrev_b32_e32 v4, 16, v0
	v_lshlrev_b32_e32 v5, 20, v60
	v_lshl_add_u32 v1, v1, 23, 0x3c000000
	v_and_b32_e32 v4, 0x80000000, v4
	v_or3_b32 v5, v5, v4, v1
	v_mov_b32_e32 v4, v61
	buffer_store_dword v4, off, s[0:3], s32 offset:1028 ; 4-byte Folded Spill
	buffer_store_dword v5, off, s[0:3], s32 offset:1032 ; 4-byte Folded Spill
.LBB232_856:                            ;   in Loop: Header=BB232_10 Depth=1
	s_or_b32 exec_lo, exec_lo, s17
.LBB232_857:                            ;   in Loop: Header=BB232_10 Depth=1
	s_or_b32 exec_lo, exec_lo, s7
.LBB232_858:                            ;   in Loop: Header=BB232_10 Depth=1
	s_or_b32 exec_lo, exec_lo, s6
	v_mov_b32_e32 v4, 0
	v_mov_b32_e32 v5, 0
	;; [unrolled: 1-line block ×3, first 2 shown]
	s_mov_b32 s6, exec_lo
	buffer_store_dword v4, off, s[0:3], s32 offset:1036 ; 4-byte Folded Spill
	buffer_store_dword v5, off, s[0:3], s32 offset:1040 ; 4-byte Folded Spill
	v_mov_b32_e32 v4, 0
	v_and_b32_sdwa v1, v0, v1 dst_sel:DWORD dst_unused:UNUSED_PAD src0_sel:WORD_1 src1_sel:DWORD
	v_mov_b32_e32 v5, 0
	buffer_store_dword v4, off, s[0:3], s32 offset:1044 ; 4-byte Folded Spill
	buffer_store_dword v5, off, s[0:3], s32 offset:1048 ; 4-byte Folded Spill
	v_cmpx_ne_u16_e32 0, v1
	s_cbranch_execz .LBB232_866
; %bb.859:                              ;   in Loop: Header=BB232_10 Depth=1
	v_bfrev_b32_e32 v4, 1
	v_mov_b32_e32 v5, 0
	s_mov_b32 s7, exec_lo
	buffer_store_dword v4, off, s[0:3], s32 offset:1044 ; 4-byte Folded Spill
	buffer_store_dword v5, off, s[0:3], s32 offset:1048 ; 4-byte Folded Spill
	v_cmpx_ne_u16_e32 0x80, v1
	s_cbranch_execz .LBB232_865
; %bb.860:                              ;   in Loop: Header=BB232_10 Depth=1
	v_mov_b32_e32 v5, 0x7f800001
	v_bfe_u32 v4, v0, 16, 7
	v_mov_b32_e32 v6, 0
	s_mov_b32 s17, exec_lo
	buffer_store_dword v5, off, s[0:3], s32 offset:1044 ; 4-byte Folded Spill
	buffer_store_dword v6, off, s[0:3], s32 offset:1048 ; 4-byte Folded Spill
	v_cmpx_ne_u32_e32 0x7f, v4
	s_cbranch_execz .LBB232_864
; %bb.861:                              ;   in Loop: Header=BB232_10 Depth=1
	v_mov_b32_e32 v1, 7
	s_mov_b32 s18, exec_lo
	v_and_b32_sdwa v60, v0, v1 dst_sel:DWORD dst_unused:UNUSED_PAD src0_sel:WORD_1 src1_sel:DWORD
	v_lshrrev_b32_e32 v1, 3, v4
	v_cmpx_gt_u32_e32 8, v4
; %bb.862:                              ;   in Loop: Header=BB232_10 Depth=1
	v_ffbh_u32_e32 v1, v60
	v_min_u32_e32 v1, 32, v1
	v_subrev_nc_u32_e32 v4, 28, v1
	v_sub_nc_u32_e32 v1, 29, v1
	v_lshlrev_b64 v[4:5], v4, v[60:61]
	v_and_b32_e32 v60, 7, v4
; %bb.863:                              ;   in Loop: Header=BB232_10 Depth=1
	s_or_b32 exec_lo, exec_lo, s18
	v_mov_b32_e32 v4, 24
	v_lshlrev_b32_e32 v5, 20, v60
	v_lshl_add_u32 v1, v1, 23, 0x3c000000
	v_lshlrev_b32_sdwa v4, v4, v0 dst_sel:DWORD dst_unused:UNUSED_PAD src0_sel:DWORD src1_sel:WORD_1
	v_and_b32_e32 v4, 0x80000000, v4
	v_or3_b32 v60, v5, v4, v1
	buffer_store_dword v60, off, s[0:3], s32 offset:1044 ; 4-byte Folded Spill
	buffer_store_dword v61, off, s[0:3], s32 offset:1048 ; 4-byte Folded Spill
.LBB232_864:                            ;   in Loop: Header=BB232_10 Depth=1
	s_or_b32 exec_lo, exec_lo, s17
.LBB232_865:                            ;   in Loop: Header=BB232_10 Depth=1
	s_or_b32 exec_lo, exec_lo, s7
.LBB232_866:                            ;   in Loop: Header=BB232_10 Depth=1
	s_or_b32 exec_lo, exec_lo, s6
	s_mov_b32 s6, exec_lo
	v_cmpx_lt_u32_e32 0xffffff, v0
	s_cbranch_execz .LBB232_874
; %bb.867:                              ;   in Loop: Header=BB232_10 Depth=1
	v_mov_b32_e32 v1, 0x80
	v_mov_b32_e32 v84, v61
	buffer_store_dword v84, off, s[0:3], s32 offset:1036 ; 4-byte Folded Spill
	buffer_store_dword v85, off, s[0:3], s32 offset:1040 ; 4-byte Folded Spill
	v_cmp_ne_u32_sdwa s5, v0, v1 src0_sel:BYTE_3 src1_sel:DWORD
	s_and_saveexec_b32 s7, s5
	s_cbranch_execz .LBB232_873
; %bb.868:                              ;   in Loop: Header=BB232_10 Depth=1
	v_bfe_u32 v4, v0, 24, 7
	v_mov_b32_e32 v86, v61
	s_mov_b32 s17, exec_lo
	buffer_store_dword v86, off, s[0:3], s32 offset:1036 ; 4-byte Folded Spill
	buffer_store_dword v87, off, s[0:3], s32 offset:1040 ; 4-byte Folded Spill
	v_cmpx_ne_u32_e32 0x7f, v4
	s_cbranch_execz .LBB232_872
; %bb.869:                              ;   in Loop: Header=BB232_10 Depth=1
	v_mov_b32_e32 v1, 7
	s_mov_b32 s18, exec_lo
	v_and_b32_sdwa v60, v0, v1 dst_sel:DWORD dst_unused:UNUSED_PAD src0_sel:BYTE_3 src1_sel:DWORD
	v_lshrrev_b32_e32 v1, 3, v4
	v_cmpx_gt_u32_e32 8, v4
; %bb.870:                              ;   in Loop: Header=BB232_10 Depth=1
	v_ffbh_u32_e32 v1, v60
	v_min_u32_e32 v1, 32, v1
	v_subrev_nc_u32_e32 v4, 28, v1
	v_sub_nc_u32_e32 v1, 29, v1
	v_lshlrev_b64 v[4:5], v4, v[60:61]
	v_and_b32_e32 v60, 7, v4
; %bb.871:                              ;   in Loop: Header=BB232_10 Depth=1
	s_or_b32 exec_lo, exec_lo, s18
	v_mov_b32_e32 v4, 24
	v_lshl_add_u32 v1, v1, 23, 0x3c000000
	v_lshlrev_b32_sdwa v0, v4, v0 dst_sel:DWORD dst_unused:UNUSED_PAD src0_sel:DWORD src1_sel:BYTE_3
	v_lshlrev_b32_e32 v4, 20, v60
	v_and_b32_e32 v0, 0x80000000, v0
	v_or3_b32 v1, v4, v0, v1
	v_mov_b32_e32 v0, v61
	buffer_store_dword v0, off, s[0:3], s32 offset:1036 ; 4-byte Folded Spill
	buffer_store_dword v1, off, s[0:3], s32 offset:1040 ; 4-byte Folded Spill
.LBB232_872:                            ;   in Loop: Header=BB232_10 Depth=1
	s_or_b32 exec_lo, exec_lo, s17
.LBB232_873:                            ;   in Loop: Header=BB232_10 Depth=1
	s_or_b32 exec_lo, exec_lo, s7
.LBB232_874:                            ;   in Loop: Header=BB232_10 Depth=1
	s_or_b32 exec_lo, exec_lo, s6
	flat_load_dword v0, v[2:3] offset:1036
	v_mov_b32_e32 v4, 0
	v_mov_b32_e32 v5, 0
	buffer_store_dword v4, off, s[0:3], s32 offset:1060 ; 4-byte Folded Spill
	buffer_store_dword v5, off, s[0:3], s32 offset:1064 ; 4-byte Folded Spill
	v_mov_b32_e32 v4, 0
	v_mov_b32_e32 v5, 0
	buffer_store_dword v4, off, s[0:3], s32 offset:1084 ; 4-byte Folded Spill
	buffer_store_dword v5, off, s[0:3], s32 offset:1088 ; 4-byte Folded Spill
	s_waitcnt vmcnt(0) lgkmcnt(0)
	v_cmp_ne_u16_sdwa s5, v0, v61 src0_sel:BYTE_0 src1_sel:DWORD
	s_and_saveexec_b32 s6, s5
	s_cbranch_execz .LBB232_882
; %bb.875:                              ;   in Loop: Header=BB232_10 Depth=1
	v_mov_b32_e32 v1, 0x80
	v_bfrev_b32_e32 v4, 1
	v_mov_b32_e32 v5, 0
	buffer_store_dword v4, off, s[0:3], s32 offset:1084 ; 4-byte Folded Spill
	buffer_store_dword v5, off, s[0:3], s32 offset:1088 ; 4-byte Folded Spill
	v_cmp_ne_u16_sdwa s5, v0, v1 src0_sel:BYTE_0 src1_sel:DWORD
	s_and_saveexec_b32 s7, s5
	s_cbranch_execz .LBB232_881
; %bb.876:                              ;   in Loop: Header=BB232_10 Depth=1
	v_mov_b32_e32 v5, 0x7f800001
	v_and_b32_e32 v4, 0x7f, v0
	v_mov_b32_e32 v6, 0
	s_mov_b32 s17, exec_lo
	buffer_store_dword v5, off, s[0:3], s32 offset:1084 ; 4-byte Folded Spill
	buffer_store_dword v6, off, s[0:3], s32 offset:1088 ; 4-byte Folded Spill
	v_cmpx_ne_u32_e32 0x7f, v4
	s_cbranch_execz .LBB232_880
; %bb.877:                              ;   in Loop: Header=BB232_10 Depth=1
	v_and_b32_e32 v60, 7, v0
	v_lshrrev_b32_e32 v1, 3, v4
	s_mov_b32 s18, exec_lo
	v_cmpx_gt_u32_e32 8, v4
; %bb.878:                              ;   in Loop: Header=BB232_10 Depth=1
	v_ffbh_u32_e32 v1, v60
	v_min_u32_e32 v1, 32, v1
	v_subrev_nc_u32_e32 v4, 28, v1
	v_sub_nc_u32_e32 v1, 29, v1
	v_lshlrev_b64 v[4:5], v4, v[60:61]
	v_and_b32_e32 v60, 7, v4
; %bb.879:                              ;   in Loop: Header=BB232_10 Depth=1
	s_or_b32 exec_lo, exec_lo, s18
	v_lshlrev_b32_e32 v4, 24, v0
	v_lshlrev_b32_e32 v5, 20, v60
	v_lshl_add_u32 v1, v1, 23, 0x3c000000
	v_and_b32_e32 v4, 0x80000000, v4
	v_or3_b32 v60, v5, v4, v1
	buffer_store_dword v60, off, s[0:3], s32 offset:1084 ; 4-byte Folded Spill
	buffer_store_dword v61, off, s[0:3], s32 offset:1088 ; 4-byte Folded Spill
.LBB232_880:                            ;   in Loop: Header=BB232_10 Depth=1
	s_or_b32 exec_lo, exec_lo, s17
.LBB232_881:                            ;   in Loop: Header=BB232_10 Depth=1
	s_or_b32 exec_lo, exec_lo, s7
.LBB232_882:                            ;   in Loop: Header=BB232_10 Depth=1
	s_or_b32 exec_lo, exec_lo, s6
	v_cmp_ne_u16_sdwa s5, v0, v61 src0_sel:BYTE_1 src1_sel:DWORD
	s_and_saveexec_b32 s6, s5
	s_cbranch_execz .LBB232_890
; %bb.883:                              ;   in Loop: Header=BB232_10 Depth=1
	v_mov_b32_e32 v1, 0x80
	v_mov_b32_e32 v84, v61
	buffer_store_dword v84, off, s[0:3], s32 offset:1060 ; 4-byte Folded Spill
	buffer_store_dword v85, off, s[0:3], s32 offset:1064 ; 4-byte Folded Spill
	v_cmp_ne_u16_sdwa s5, v0, v1 src0_sel:BYTE_1 src1_sel:DWORD
	s_and_saveexec_b32 s7, s5
	s_cbranch_execz .LBB232_889
; %bb.884:                              ;   in Loop: Header=BB232_10 Depth=1
	v_mov_b32_e32 v1, 0xffff
	v_mov_b32_e32 v86, v61
	s_mov_b32 s17, exec_lo
	buffer_store_dword v86, off, s[0:3], s32 offset:1060 ; 4-byte Folded Spill
	buffer_store_dword v87, off, s[0:3], s32 offset:1064 ; 4-byte Folded Spill
	v_and_b32_sdwa v1, v1, v0 dst_sel:DWORD dst_unused:UNUSED_PAD src0_sel:DWORD src1_sel:BYTE_1
	v_and_b32_e32 v4, 0x7f, v1
	v_cmpx_ne_u32_e32 0x7f, v4
	s_cbranch_execz .LBB232_888
; %bb.885:                              ;   in Loop: Header=BB232_10 Depth=1
	v_and_b32_e32 v60, 7, v1
	v_lshrrev_b32_e32 v1, 3, v4
	s_mov_b32 s18, exec_lo
	v_cmpx_gt_u32_e32 8, v4
; %bb.886:                              ;   in Loop: Header=BB232_10 Depth=1
	v_ffbh_u32_e32 v1, v60
	v_min_u32_e32 v1, 32, v1
	v_subrev_nc_u32_e32 v4, 28, v1
	v_sub_nc_u32_e32 v1, 29, v1
	v_lshlrev_b64 v[4:5], v4, v[60:61]
	v_and_b32_e32 v60, 7, v4
; %bb.887:                              ;   in Loop: Header=BB232_10 Depth=1
	s_or_b32 exec_lo, exec_lo, s18
	v_lshlrev_b32_e32 v4, 16, v0
	v_lshlrev_b32_e32 v5, 20, v60
	v_lshl_add_u32 v1, v1, 23, 0x3c000000
	v_and_b32_e32 v4, 0x80000000, v4
	v_or3_b32 v5, v5, v4, v1
	v_mov_b32_e32 v4, v61
	buffer_store_dword v4, off, s[0:3], s32 offset:1060 ; 4-byte Folded Spill
	buffer_store_dword v5, off, s[0:3], s32 offset:1064 ; 4-byte Folded Spill
.LBB232_888:                            ;   in Loop: Header=BB232_10 Depth=1
	s_or_b32 exec_lo, exec_lo, s17
.LBB232_889:                            ;   in Loop: Header=BB232_10 Depth=1
	s_or_b32 exec_lo, exec_lo, s7
.LBB232_890:                            ;   in Loop: Header=BB232_10 Depth=1
	s_or_b32 exec_lo, exec_lo, s6
	v_mov_b32_e32 v4, 0
	v_mov_b32_e32 v5, 0
	;; [unrolled: 1-line block ×3, first 2 shown]
	s_mov_b32 s6, exec_lo
	buffer_store_dword v4, off, s[0:3], s32 offset:1068 ; 4-byte Folded Spill
	buffer_store_dword v5, off, s[0:3], s32 offset:1072 ; 4-byte Folded Spill
	v_mov_b32_e32 v4, 0
	v_and_b32_sdwa v1, v0, v1 dst_sel:DWORD dst_unused:UNUSED_PAD src0_sel:WORD_1 src1_sel:DWORD
	v_mov_b32_e32 v5, 0
	buffer_store_dword v4, off, s[0:3], s32 offset:1076 ; 4-byte Folded Spill
	buffer_store_dword v5, off, s[0:3], s32 offset:1080 ; 4-byte Folded Spill
	v_cmpx_ne_u16_e32 0, v1
	s_cbranch_execz .LBB232_898
; %bb.891:                              ;   in Loop: Header=BB232_10 Depth=1
	v_bfrev_b32_e32 v4, 1
	v_mov_b32_e32 v5, 0
	s_mov_b32 s7, exec_lo
	buffer_store_dword v4, off, s[0:3], s32 offset:1076 ; 4-byte Folded Spill
	buffer_store_dword v5, off, s[0:3], s32 offset:1080 ; 4-byte Folded Spill
	v_cmpx_ne_u16_e32 0x80, v1
	s_cbranch_execz .LBB232_897
; %bb.892:                              ;   in Loop: Header=BB232_10 Depth=1
	v_mov_b32_e32 v5, 0x7f800001
	v_bfe_u32 v4, v0, 16, 7
	v_mov_b32_e32 v6, 0
	s_mov_b32 s17, exec_lo
	buffer_store_dword v5, off, s[0:3], s32 offset:1076 ; 4-byte Folded Spill
	buffer_store_dword v6, off, s[0:3], s32 offset:1080 ; 4-byte Folded Spill
	v_cmpx_ne_u32_e32 0x7f, v4
	s_cbranch_execz .LBB232_896
; %bb.893:                              ;   in Loop: Header=BB232_10 Depth=1
	v_mov_b32_e32 v1, 7
	s_mov_b32 s18, exec_lo
	v_and_b32_sdwa v60, v0, v1 dst_sel:DWORD dst_unused:UNUSED_PAD src0_sel:WORD_1 src1_sel:DWORD
	v_lshrrev_b32_e32 v1, 3, v4
	v_cmpx_gt_u32_e32 8, v4
; %bb.894:                              ;   in Loop: Header=BB232_10 Depth=1
	v_ffbh_u32_e32 v1, v60
	v_min_u32_e32 v1, 32, v1
	v_subrev_nc_u32_e32 v4, 28, v1
	v_sub_nc_u32_e32 v1, 29, v1
	v_lshlrev_b64 v[4:5], v4, v[60:61]
	v_and_b32_e32 v60, 7, v4
; %bb.895:                              ;   in Loop: Header=BB232_10 Depth=1
	s_or_b32 exec_lo, exec_lo, s18
	v_mov_b32_e32 v4, 24
	v_lshlrev_b32_e32 v5, 20, v60
	v_lshl_add_u32 v1, v1, 23, 0x3c000000
	v_lshlrev_b32_sdwa v4, v4, v0 dst_sel:DWORD dst_unused:UNUSED_PAD src0_sel:DWORD src1_sel:WORD_1
	v_and_b32_e32 v4, 0x80000000, v4
	v_or3_b32 v60, v5, v4, v1
	buffer_store_dword v60, off, s[0:3], s32 offset:1076 ; 4-byte Folded Spill
	buffer_store_dword v61, off, s[0:3], s32 offset:1080 ; 4-byte Folded Spill
.LBB232_896:                            ;   in Loop: Header=BB232_10 Depth=1
	s_or_b32 exec_lo, exec_lo, s17
.LBB232_897:                            ;   in Loop: Header=BB232_10 Depth=1
	s_or_b32 exec_lo, exec_lo, s7
.LBB232_898:                            ;   in Loop: Header=BB232_10 Depth=1
	s_or_b32 exec_lo, exec_lo, s6
	s_mov_b32 s6, exec_lo
	v_cmpx_lt_u32_e32 0xffffff, v0
	s_cbranch_execz .LBB232_906
; %bb.899:                              ;   in Loop: Header=BB232_10 Depth=1
	v_mov_b32_e32 v1, 0x80
	v_mov_b32_e32 v84, v61
	buffer_store_dword v84, off, s[0:3], s32 offset:1068 ; 4-byte Folded Spill
	buffer_store_dword v85, off, s[0:3], s32 offset:1072 ; 4-byte Folded Spill
	v_cmp_ne_u32_sdwa s5, v0, v1 src0_sel:BYTE_3 src1_sel:DWORD
	s_and_saveexec_b32 s7, s5
	s_cbranch_execz .LBB232_905
; %bb.900:                              ;   in Loop: Header=BB232_10 Depth=1
	v_bfe_u32 v4, v0, 24, 7
	v_mov_b32_e32 v86, v61
	s_mov_b32 s17, exec_lo
	buffer_store_dword v86, off, s[0:3], s32 offset:1068 ; 4-byte Folded Spill
	buffer_store_dword v87, off, s[0:3], s32 offset:1072 ; 4-byte Folded Spill
	v_cmpx_ne_u32_e32 0x7f, v4
	s_cbranch_execz .LBB232_904
; %bb.901:                              ;   in Loop: Header=BB232_10 Depth=1
	v_mov_b32_e32 v1, 7
	s_mov_b32 s18, exec_lo
	v_and_b32_sdwa v60, v0, v1 dst_sel:DWORD dst_unused:UNUSED_PAD src0_sel:BYTE_3 src1_sel:DWORD
	v_lshrrev_b32_e32 v1, 3, v4
	v_cmpx_gt_u32_e32 8, v4
; %bb.902:                              ;   in Loop: Header=BB232_10 Depth=1
	v_ffbh_u32_e32 v1, v60
	v_min_u32_e32 v1, 32, v1
	v_subrev_nc_u32_e32 v4, 28, v1
	v_sub_nc_u32_e32 v1, 29, v1
	v_lshlrev_b64 v[4:5], v4, v[60:61]
	v_and_b32_e32 v60, 7, v4
; %bb.903:                              ;   in Loop: Header=BB232_10 Depth=1
	s_or_b32 exec_lo, exec_lo, s18
	v_mov_b32_e32 v4, 24
	v_lshl_add_u32 v1, v1, 23, 0x3c000000
	v_lshlrev_b32_sdwa v0, v4, v0 dst_sel:DWORD dst_unused:UNUSED_PAD src0_sel:DWORD src1_sel:BYTE_3
	v_lshlrev_b32_e32 v4, 20, v60
	v_and_b32_e32 v0, 0x80000000, v0
	v_or3_b32 v1, v4, v0, v1
	v_mov_b32_e32 v0, v61
	buffer_store_dword v0, off, s[0:3], s32 offset:1068 ; 4-byte Folded Spill
	buffer_store_dword v1, off, s[0:3], s32 offset:1072 ; 4-byte Folded Spill
.LBB232_904:                            ;   in Loop: Header=BB232_10 Depth=1
	s_or_b32 exec_lo, exec_lo, s17
.LBB232_905:                            ;   in Loop: Header=BB232_10 Depth=1
	s_or_b32 exec_lo, exec_lo, s7
.LBB232_906:                            ;   in Loop: Header=BB232_10 Depth=1
	s_or_b32 exec_lo, exec_lo, s6
	flat_load_dword v0, v[2:3] offset:1536
	v_mov_b32_e32 v4, 0
	v_mov_b32_e32 v5, 0
	buffer_store_dword v4, off, s[0:3], s32 offset:1092 ; 4-byte Folded Spill
	buffer_store_dword v5, off, s[0:3], s32 offset:1096 ; 4-byte Folded Spill
	v_mov_b32_e32 v4, 0
	v_mov_b32_e32 v5, 0
	buffer_store_dword v4, off, s[0:3], s32 offset:1116 ; 4-byte Folded Spill
	buffer_store_dword v5, off, s[0:3], s32 offset:1120 ; 4-byte Folded Spill
	s_waitcnt vmcnt(0) lgkmcnt(0)
	v_cmp_ne_u16_sdwa s5, v0, v61 src0_sel:BYTE_0 src1_sel:DWORD
	s_and_saveexec_b32 s6, s5
	s_cbranch_execz .LBB232_914
; %bb.907:                              ;   in Loop: Header=BB232_10 Depth=1
	v_mov_b32_e32 v1, 0x80
	v_bfrev_b32_e32 v4, 1
	v_mov_b32_e32 v5, 0
	buffer_store_dword v4, off, s[0:3], s32 offset:1116 ; 4-byte Folded Spill
	buffer_store_dword v5, off, s[0:3], s32 offset:1120 ; 4-byte Folded Spill
	v_cmp_ne_u16_sdwa s5, v0, v1 src0_sel:BYTE_0 src1_sel:DWORD
	s_and_saveexec_b32 s7, s5
	s_cbranch_execz .LBB232_913
; %bb.908:                              ;   in Loop: Header=BB232_10 Depth=1
	v_mov_b32_e32 v5, 0x7f800001
	v_and_b32_e32 v4, 0x7f, v0
	v_mov_b32_e32 v6, 0
	s_mov_b32 s17, exec_lo
	buffer_store_dword v5, off, s[0:3], s32 offset:1116 ; 4-byte Folded Spill
	buffer_store_dword v6, off, s[0:3], s32 offset:1120 ; 4-byte Folded Spill
	v_cmpx_ne_u32_e32 0x7f, v4
	s_cbranch_execz .LBB232_912
; %bb.909:                              ;   in Loop: Header=BB232_10 Depth=1
	v_and_b32_e32 v60, 7, v0
	v_lshrrev_b32_e32 v1, 3, v4
	s_mov_b32 s18, exec_lo
	v_cmpx_gt_u32_e32 8, v4
; %bb.910:                              ;   in Loop: Header=BB232_10 Depth=1
	v_ffbh_u32_e32 v1, v60
	v_min_u32_e32 v1, 32, v1
	v_subrev_nc_u32_e32 v4, 28, v1
	v_sub_nc_u32_e32 v1, 29, v1
	v_lshlrev_b64 v[4:5], v4, v[60:61]
	v_and_b32_e32 v60, 7, v4
; %bb.911:                              ;   in Loop: Header=BB232_10 Depth=1
	s_or_b32 exec_lo, exec_lo, s18
	v_lshlrev_b32_e32 v4, 24, v0
	v_lshlrev_b32_e32 v5, 20, v60
	v_lshl_add_u32 v1, v1, 23, 0x3c000000
	v_and_b32_e32 v4, 0x80000000, v4
	v_or3_b32 v60, v5, v4, v1
	buffer_store_dword v60, off, s[0:3], s32 offset:1116 ; 4-byte Folded Spill
	buffer_store_dword v61, off, s[0:3], s32 offset:1120 ; 4-byte Folded Spill
.LBB232_912:                            ;   in Loop: Header=BB232_10 Depth=1
	s_or_b32 exec_lo, exec_lo, s17
.LBB232_913:                            ;   in Loop: Header=BB232_10 Depth=1
	s_or_b32 exec_lo, exec_lo, s7
.LBB232_914:                            ;   in Loop: Header=BB232_10 Depth=1
	s_or_b32 exec_lo, exec_lo, s6
	v_cmp_ne_u16_sdwa s5, v0, v61 src0_sel:BYTE_1 src1_sel:DWORD
	s_and_saveexec_b32 s6, s5
	s_cbranch_execz .LBB232_922
; %bb.915:                              ;   in Loop: Header=BB232_10 Depth=1
	v_mov_b32_e32 v1, 0x80
	v_mov_b32_e32 v84, v61
	buffer_store_dword v84, off, s[0:3], s32 offset:1092 ; 4-byte Folded Spill
	buffer_store_dword v85, off, s[0:3], s32 offset:1096 ; 4-byte Folded Spill
	v_cmp_ne_u16_sdwa s5, v0, v1 src0_sel:BYTE_1 src1_sel:DWORD
	s_and_saveexec_b32 s7, s5
	s_cbranch_execz .LBB232_921
; %bb.916:                              ;   in Loop: Header=BB232_10 Depth=1
	v_mov_b32_e32 v1, 0xffff
	v_mov_b32_e32 v86, v61
	s_mov_b32 s17, exec_lo
	buffer_store_dword v86, off, s[0:3], s32 offset:1092 ; 4-byte Folded Spill
	buffer_store_dword v87, off, s[0:3], s32 offset:1096 ; 4-byte Folded Spill
	v_and_b32_sdwa v1, v1, v0 dst_sel:DWORD dst_unused:UNUSED_PAD src0_sel:DWORD src1_sel:BYTE_1
	v_and_b32_e32 v4, 0x7f, v1
	v_cmpx_ne_u32_e32 0x7f, v4
	s_cbranch_execz .LBB232_920
; %bb.917:                              ;   in Loop: Header=BB232_10 Depth=1
	v_and_b32_e32 v60, 7, v1
	v_lshrrev_b32_e32 v1, 3, v4
	s_mov_b32 s18, exec_lo
	v_cmpx_gt_u32_e32 8, v4
; %bb.918:                              ;   in Loop: Header=BB232_10 Depth=1
	v_ffbh_u32_e32 v1, v60
	v_min_u32_e32 v1, 32, v1
	v_subrev_nc_u32_e32 v4, 28, v1
	v_sub_nc_u32_e32 v1, 29, v1
	v_lshlrev_b64 v[4:5], v4, v[60:61]
	v_and_b32_e32 v60, 7, v4
; %bb.919:                              ;   in Loop: Header=BB232_10 Depth=1
	s_or_b32 exec_lo, exec_lo, s18
	v_lshlrev_b32_e32 v4, 16, v0
	v_lshlrev_b32_e32 v5, 20, v60
	v_lshl_add_u32 v1, v1, 23, 0x3c000000
	v_and_b32_e32 v4, 0x80000000, v4
	v_or3_b32 v5, v5, v4, v1
	v_mov_b32_e32 v4, v61
	buffer_store_dword v4, off, s[0:3], s32 offset:1092 ; 4-byte Folded Spill
	buffer_store_dword v5, off, s[0:3], s32 offset:1096 ; 4-byte Folded Spill
.LBB232_920:                            ;   in Loop: Header=BB232_10 Depth=1
	s_or_b32 exec_lo, exec_lo, s17
.LBB232_921:                            ;   in Loop: Header=BB232_10 Depth=1
	s_or_b32 exec_lo, exec_lo, s7
.LBB232_922:                            ;   in Loop: Header=BB232_10 Depth=1
	s_or_b32 exec_lo, exec_lo, s6
	v_mov_b32_e32 v4, 0
	v_mov_b32_e32 v5, 0
	;; [unrolled: 1-line block ×3, first 2 shown]
	s_mov_b32 s6, exec_lo
	buffer_store_dword v4, off, s[0:3], s32 offset:1100 ; 4-byte Folded Spill
	buffer_store_dword v5, off, s[0:3], s32 offset:1104 ; 4-byte Folded Spill
	v_mov_b32_e32 v4, 0
	v_and_b32_sdwa v1, v0, v1 dst_sel:DWORD dst_unused:UNUSED_PAD src0_sel:WORD_1 src1_sel:DWORD
	v_mov_b32_e32 v5, 0
	buffer_store_dword v4, off, s[0:3], s32 offset:1108 ; 4-byte Folded Spill
	buffer_store_dword v5, off, s[0:3], s32 offset:1112 ; 4-byte Folded Spill
	v_cmpx_ne_u16_e32 0, v1
	s_cbranch_execz .LBB232_930
; %bb.923:                              ;   in Loop: Header=BB232_10 Depth=1
	v_bfrev_b32_e32 v4, 1
	v_mov_b32_e32 v5, 0
	s_mov_b32 s7, exec_lo
	buffer_store_dword v4, off, s[0:3], s32 offset:1108 ; 4-byte Folded Spill
	buffer_store_dword v5, off, s[0:3], s32 offset:1112 ; 4-byte Folded Spill
	v_cmpx_ne_u16_e32 0x80, v1
	s_cbranch_execz .LBB232_929
; %bb.924:                              ;   in Loop: Header=BB232_10 Depth=1
	v_mov_b32_e32 v5, 0x7f800001
	v_bfe_u32 v4, v0, 16, 7
	v_mov_b32_e32 v6, 0
	s_mov_b32 s17, exec_lo
	buffer_store_dword v5, off, s[0:3], s32 offset:1108 ; 4-byte Folded Spill
	buffer_store_dword v6, off, s[0:3], s32 offset:1112 ; 4-byte Folded Spill
	v_cmpx_ne_u32_e32 0x7f, v4
	s_cbranch_execz .LBB232_928
; %bb.925:                              ;   in Loop: Header=BB232_10 Depth=1
	v_mov_b32_e32 v1, 7
	s_mov_b32 s18, exec_lo
	v_and_b32_sdwa v60, v0, v1 dst_sel:DWORD dst_unused:UNUSED_PAD src0_sel:WORD_1 src1_sel:DWORD
	v_lshrrev_b32_e32 v1, 3, v4
	v_cmpx_gt_u32_e32 8, v4
; %bb.926:                              ;   in Loop: Header=BB232_10 Depth=1
	v_ffbh_u32_e32 v1, v60
	v_min_u32_e32 v1, 32, v1
	v_subrev_nc_u32_e32 v4, 28, v1
	v_sub_nc_u32_e32 v1, 29, v1
	v_lshlrev_b64 v[4:5], v4, v[60:61]
	v_and_b32_e32 v60, 7, v4
; %bb.927:                              ;   in Loop: Header=BB232_10 Depth=1
	s_or_b32 exec_lo, exec_lo, s18
	v_mov_b32_e32 v4, 24
	v_lshlrev_b32_e32 v5, 20, v60
	v_lshl_add_u32 v1, v1, 23, 0x3c000000
	v_lshlrev_b32_sdwa v4, v4, v0 dst_sel:DWORD dst_unused:UNUSED_PAD src0_sel:DWORD src1_sel:WORD_1
	v_and_b32_e32 v4, 0x80000000, v4
	v_or3_b32 v60, v5, v4, v1
	buffer_store_dword v60, off, s[0:3], s32 offset:1108 ; 4-byte Folded Spill
	buffer_store_dword v61, off, s[0:3], s32 offset:1112 ; 4-byte Folded Spill
.LBB232_928:                            ;   in Loop: Header=BB232_10 Depth=1
	s_or_b32 exec_lo, exec_lo, s17
.LBB232_929:                            ;   in Loop: Header=BB232_10 Depth=1
	s_or_b32 exec_lo, exec_lo, s7
.LBB232_930:                            ;   in Loop: Header=BB232_10 Depth=1
	s_or_b32 exec_lo, exec_lo, s6
	s_mov_b32 s6, exec_lo
	v_cmpx_lt_u32_e32 0xffffff, v0
	s_cbranch_execz .LBB232_938
; %bb.931:                              ;   in Loop: Header=BB232_10 Depth=1
	v_mov_b32_e32 v1, 0x80
	v_mov_b32_e32 v84, v61
	buffer_store_dword v84, off, s[0:3], s32 offset:1100 ; 4-byte Folded Spill
	buffer_store_dword v85, off, s[0:3], s32 offset:1104 ; 4-byte Folded Spill
	v_cmp_ne_u32_sdwa s5, v0, v1 src0_sel:BYTE_3 src1_sel:DWORD
	s_and_saveexec_b32 s7, s5
	s_cbranch_execz .LBB232_937
; %bb.932:                              ;   in Loop: Header=BB232_10 Depth=1
	v_bfe_u32 v4, v0, 24, 7
	v_mov_b32_e32 v86, v61
	s_mov_b32 s17, exec_lo
	buffer_store_dword v86, off, s[0:3], s32 offset:1100 ; 4-byte Folded Spill
	buffer_store_dword v87, off, s[0:3], s32 offset:1104 ; 4-byte Folded Spill
	v_cmpx_ne_u32_e32 0x7f, v4
	s_cbranch_execz .LBB232_936
; %bb.933:                              ;   in Loop: Header=BB232_10 Depth=1
	v_mov_b32_e32 v1, 7
	s_mov_b32 s18, exec_lo
	v_and_b32_sdwa v60, v0, v1 dst_sel:DWORD dst_unused:UNUSED_PAD src0_sel:BYTE_3 src1_sel:DWORD
	v_lshrrev_b32_e32 v1, 3, v4
	v_cmpx_gt_u32_e32 8, v4
; %bb.934:                              ;   in Loop: Header=BB232_10 Depth=1
	v_ffbh_u32_e32 v1, v60
	v_min_u32_e32 v1, 32, v1
	v_subrev_nc_u32_e32 v4, 28, v1
	v_sub_nc_u32_e32 v1, 29, v1
	v_lshlrev_b64 v[4:5], v4, v[60:61]
	v_and_b32_e32 v60, 7, v4
; %bb.935:                              ;   in Loop: Header=BB232_10 Depth=1
	s_or_b32 exec_lo, exec_lo, s18
	v_mov_b32_e32 v4, 24
	v_lshl_add_u32 v1, v1, 23, 0x3c000000
	v_lshlrev_b32_sdwa v0, v4, v0 dst_sel:DWORD dst_unused:UNUSED_PAD src0_sel:DWORD src1_sel:BYTE_3
	v_lshlrev_b32_e32 v4, 20, v60
	v_and_b32_e32 v0, 0x80000000, v0
	v_or3_b32 v1, v4, v0, v1
	v_mov_b32_e32 v0, v61
	buffer_store_dword v0, off, s[0:3], s32 offset:1100 ; 4-byte Folded Spill
	buffer_store_dword v1, off, s[0:3], s32 offset:1104 ; 4-byte Folded Spill
.LBB232_936:                            ;   in Loop: Header=BB232_10 Depth=1
	s_or_b32 exec_lo, exec_lo, s17
.LBB232_937:                            ;   in Loop: Header=BB232_10 Depth=1
	s_or_b32 exec_lo, exec_lo, s7
.LBB232_938:                            ;   in Loop: Header=BB232_10 Depth=1
	s_or_b32 exec_lo, exec_lo, s6
	flat_load_dword v0, v[2:3] offset:1540
	v_mov_b32_e32 v4, 0
	v_mov_b32_e32 v5, 0
	buffer_store_dword v4, off, s[0:3], s32 offset:1124 ; 4-byte Folded Spill
	buffer_store_dword v5, off, s[0:3], s32 offset:1128 ; 4-byte Folded Spill
	v_mov_b32_e32 v4, 0
	v_mov_b32_e32 v5, 0
	buffer_store_dword v4, off, s[0:3], s32 offset:1148 ; 4-byte Folded Spill
	buffer_store_dword v5, off, s[0:3], s32 offset:1152 ; 4-byte Folded Spill
	s_waitcnt vmcnt(0) lgkmcnt(0)
	v_cmp_ne_u16_sdwa s5, v0, v61 src0_sel:BYTE_0 src1_sel:DWORD
	s_and_saveexec_b32 s6, s5
	s_cbranch_execz .LBB232_946
; %bb.939:                              ;   in Loop: Header=BB232_10 Depth=1
	v_mov_b32_e32 v1, 0x80
	v_bfrev_b32_e32 v4, 1
	v_mov_b32_e32 v5, 0
	buffer_store_dword v4, off, s[0:3], s32 offset:1148 ; 4-byte Folded Spill
	buffer_store_dword v5, off, s[0:3], s32 offset:1152 ; 4-byte Folded Spill
	v_cmp_ne_u16_sdwa s5, v0, v1 src0_sel:BYTE_0 src1_sel:DWORD
	s_and_saveexec_b32 s7, s5
	s_cbranch_execz .LBB232_945
; %bb.940:                              ;   in Loop: Header=BB232_10 Depth=1
	v_mov_b32_e32 v5, 0x7f800001
	v_and_b32_e32 v4, 0x7f, v0
	v_mov_b32_e32 v6, 0
	s_mov_b32 s17, exec_lo
	buffer_store_dword v5, off, s[0:3], s32 offset:1148 ; 4-byte Folded Spill
	buffer_store_dword v6, off, s[0:3], s32 offset:1152 ; 4-byte Folded Spill
	v_cmpx_ne_u32_e32 0x7f, v4
	s_cbranch_execz .LBB232_944
; %bb.941:                              ;   in Loop: Header=BB232_10 Depth=1
	v_and_b32_e32 v60, 7, v0
	v_lshrrev_b32_e32 v1, 3, v4
	s_mov_b32 s18, exec_lo
	v_cmpx_gt_u32_e32 8, v4
; %bb.942:                              ;   in Loop: Header=BB232_10 Depth=1
	v_ffbh_u32_e32 v1, v60
	v_min_u32_e32 v1, 32, v1
	v_subrev_nc_u32_e32 v4, 28, v1
	v_sub_nc_u32_e32 v1, 29, v1
	v_lshlrev_b64 v[4:5], v4, v[60:61]
	v_and_b32_e32 v60, 7, v4
; %bb.943:                              ;   in Loop: Header=BB232_10 Depth=1
	s_or_b32 exec_lo, exec_lo, s18
	v_lshlrev_b32_e32 v4, 24, v0
	v_lshlrev_b32_e32 v5, 20, v60
	v_lshl_add_u32 v1, v1, 23, 0x3c000000
	v_and_b32_e32 v4, 0x80000000, v4
	v_or3_b32 v60, v5, v4, v1
	buffer_store_dword v60, off, s[0:3], s32 offset:1148 ; 4-byte Folded Spill
	buffer_store_dword v61, off, s[0:3], s32 offset:1152 ; 4-byte Folded Spill
.LBB232_944:                            ;   in Loop: Header=BB232_10 Depth=1
	s_or_b32 exec_lo, exec_lo, s17
.LBB232_945:                            ;   in Loop: Header=BB232_10 Depth=1
	s_or_b32 exec_lo, exec_lo, s7
.LBB232_946:                            ;   in Loop: Header=BB232_10 Depth=1
	s_or_b32 exec_lo, exec_lo, s6
	v_cmp_ne_u16_sdwa s5, v0, v61 src0_sel:BYTE_1 src1_sel:DWORD
	s_and_saveexec_b32 s6, s5
	s_cbranch_execz .LBB232_954
; %bb.947:                              ;   in Loop: Header=BB232_10 Depth=1
	v_mov_b32_e32 v1, 0x80
	v_mov_b32_e32 v84, v61
	buffer_store_dword v84, off, s[0:3], s32 offset:1124 ; 4-byte Folded Spill
	buffer_store_dword v85, off, s[0:3], s32 offset:1128 ; 4-byte Folded Spill
	v_cmp_ne_u16_sdwa s5, v0, v1 src0_sel:BYTE_1 src1_sel:DWORD
	s_and_saveexec_b32 s7, s5
	s_cbranch_execz .LBB232_953
; %bb.948:                              ;   in Loop: Header=BB232_10 Depth=1
	v_mov_b32_e32 v1, 0xffff
	v_mov_b32_e32 v86, v61
	s_mov_b32 s17, exec_lo
	buffer_store_dword v86, off, s[0:3], s32 offset:1124 ; 4-byte Folded Spill
	buffer_store_dword v87, off, s[0:3], s32 offset:1128 ; 4-byte Folded Spill
	v_and_b32_sdwa v1, v1, v0 dst_sel:DWORD dst_unused:UNUSED_PAD src0_sel:DWORD src1_sel:BYTE_1
	v_and_b32_e32 v4, 0x7f, v1
	v_cmpx_ne_u32_e32 0x7f, v4
	s_cbranch_execz .LBB232_952
; %bb.949:                              ;   in Loop: Header=BB232_10 Depth=1
	v_and_b32_e32 v60, 7, v1
	v_lshrrev_b32_e32 v1, 3, v4
	s_mov_b32 s18, exec_lo
	v_cmpx_gt_u32_e32 8, v4
; %bb.950:                              ;   in Loop: Header=BB232_10 Depth=1
	v_ffbh_u32_e32 v1, v60
	v_min_u32_e32 v1, 32, v1
	v_subrev_nc_u32_e32 v4, 28, v1
	v_sub_nc_u32_e32 v1, 29, v1
	v_lshlrev_b64 v[4:5], v4, v[60:61]
	v_and_b32_e32 v60, 7, v4
; %bb.951:                              ;   in Loop: Header=BB232_10 Depth=1
	s_or_b32 exec_lo, exec_lo, s18
	v_lshlrev_b32_e32 v4, 16, v0
	v_lshlrev_b32_e32 v5, 20, v60
	v_lshl_add_u32 v1, v1, 23, 0x3c000000
	v_and_b32_e32 v4, 0x80000000, v4
	v_or3_b32 v5, v5, v4, v1
	v_mov_b32_e32 v4, v61
	buffer_store_dword v4, off, s[0:3], s32 offset:1124 ; 4-byte Folded Spill
	buffer_store_dword v5, off, s[0:3], s32 offset:1128 ; 4-byte Folded Spill
.LBB232_952:                            ;   in Loop: Header=BB232_10 Depth=1
	s_or_b32 exec_lo, exec_lo, s17
.LBB232_953:                            ;   in Loop: Header=BB232_10 Depth=1
	s_or_b32 exec_lo, exec_lo, s7
.LBB232_954:                            ;   in Loop: Header=BB232_10 Depth=1
	s_or_b32 exec_lo, exec_lo, s6
	v_mov_b32_e32 v4, 0
	v_mov_b32_e32 v5, 0
	;; [unrolled: 1-line block ×3, first 2 shown]
	s_mov_b32 s6, exec_lo
	buffer_store_dword v4, off, s[0:3], s32 offset:1132 ; 4-byte Folded Spill
	buffer_store_dword v5, off, s[0:3], s32 offset:1136 ; 4-byte Folded Spill
	v_mov_b32_e32 v4, 0
	v_and_b32_sdwa v1, v0, v1 dst_sel:DWORD dst_unused:UNUSED_PAD src0_sel:WORD_1 src1_sel:DWORD
	v_mov_b32_e32 v5, 0
	buffer_store_dword v4, off, s[0:3], s32 offset:1140 ; 4-byte Folded Spill
	buffer_store_dword v5, off, s[0:3], s32 offset:1144 ; 4-byte Folded Spill
	v_cmpx_ne_u16_e32 0, v1
	s_cbranch_execz .LBB232_962
; %bb.955:                              ;   in Loop: Header=BB232_10 Depth=1
	v_bfrev_b32_e32 v4, 1
	v_mov_b32_e32 v5, 0
	s_mov_b32 s7, exec_lo
	buffer_store_dword v4, off, s[0:3], s32 offset:1140 ; 4-byte Folded Spill
	buffer_store_dword v5, off, s[0:3], s32 offset:1144 ; 4-byte Folded Spill
	v_cmpx_ne_u16_e32 0x80, v1
	s_cbranch_execz .LBB232_961
; %bb.956:                              ;   in Loop: Header=BB232_10 Depth=1
	v_mov_b32_e32 v5, 0x7f800001
	v_bfe_u32 v4, v0, 16, 7
	v_mov_b32_e32 v6, 0
	s_mov_b32 s17, exec_lo
	buffer_store_dword v5, off, s[0:3], s32 offset:1140 ; 4-byte Folded Spill
	buffer_store_dword v6, off, s[0:3], s32 offset:1144 ; 4-byte Folded Spill
	v_cmpx_ne_u32_e32 0x7f, v4
	s_cbranch_execz .LBB232_960
; %bb.957:                              ;   in Loop: Header=BB232_10 Depth=1
	v_mov_b32_e32 v1, 7
	s_mov_b32 s18, exec_lo
	v_and_b32_sdwa v60, v0, v1 dst_sel:DWORD dst_unused:UNUSED_PAD src0_sel:WORD_1 src1_sel:DWORD
	v_lshrrev_b32_e32 v1, 3, v4
	v_cmpx_gt_u32_e32 8, v4
; %bb.958:                              ;   in Loop: Header=BB232_10 Depth=1
	v_ffbh_u32_e32 v1, v60
	v_min_u32_e32 v1, 32, v1
	v_subrev_nc_u32_e32 v4, 28, v1
	v_sub_nc_u32_e32 v1, 29, v1
	v_lshlrev_b64 v[4:5], v4, v[60:61]
	v_and_b32_e32 v60, 7, v4
; %bb.959:                              ;   in Loop: Header=BB232_10 Depth=1
	s_or_b32 exec_lo, exec_lo, s18
	v_mov_b32_e32 v4, 24
	v_lshlrev_b32_e32 v5, 20, v60
	v_lshl_add_u32 v1, v1, 23, 0x3c000000
	v_lshlrev_b32_sdwa v4, v4, v0 dst_sel:DWORD dst_unused:UNUSED_PAD src0_sel:DWORD src1_sel:WORD_1
	v_and_b32_e32 v4, 0x80000000, v4
	v_or3_b32 v60, v5, v4, v1
	buffer_store_dword v60, off, s[0:3], s32 offset:1140 ; 4-byte Folded Spill
	buffer_store_dword v61, off, s[0:3], s32 offset:1144 ; 4-byte Folded Spill
.LBB232_960:                            ;   in Loop: Header=BB232_10 Depth=1
	s_or_b32 exec_lo, exec_lo, s17
.LBB232_961:                            ;   in Loop: Header=BB232_10 Depth=1
	s_or_b32 exec_lo, exec_lo, s7
.LBB232_962:                            ;   in Loop: Header=BB232_10 Depth=1
	s_or_b32 exec_lo, exec_lo, s6
	s_mov_b32 s6, exec_lo
	v_cmpx_lt_u32_e32 0xffffff, v0
	s_cbranch_execz .LBB232_970
; %bb.963:                              ;   in Loop: Header=BB232_10 Depth=1
	v_mov_b32_e32 v1, 0x80
	v_mov_b32_e32 v84, v61
	buffer_store_dword v84, off, s[0:3], s32 offset:1132 ; 4-byte Folded Spill
	buffer_store_dword v85, off, s[0:3], s32 offset:1136 ; 4-byte Folded Spill
	v_cmp_ne_u32_sdwa s5, v0, v1 src0_sel:BYTE_3 src1_sel:DWORD
	s_and_saveexec_b32 s7, s5
	s_cbranch_execz .LBB232_969
; %bb.964:                              ;   in Loop: Header=BB232_10 Depth=1
	v_bfe_u32 v4, v0, 24, 7
	v_mov_b32_e32 v86, v61
	s_mov_b32 s17, exec_lo
	buffer_store_dword v86, off, s[0:3], s32 offset:1132 ; 4-byte Folded Spill
	buffer_store_dword v87, off, s[0:3], s32 offset:1136 ; 4-byte Folded Spill
	v_cmpx_ne_u32_e32 0x7f, v4
	s_cbranch_execz .LBB232_968
; %bb.965:                              ;   in Loop: Header=BB232_10 Depth=1
	v_mov_b32_e32 v1, 7
	s_mov_b32 s18, exec_lo
	v_and_b32_sdwa v60, v0, v1 dst_sel:DWORD dst_unused:UNUSED_PAD src0_sel:BYTE_3 src1_sel:DWORD
	v_lshrrev_b32_e32 v1, 3, v4
	v_cmpx_gt_u32_e32 8, v4
; %bb.966:                              ;   in Loop: Header=BB232_10 Depth=1
	v_ffbh_u32_e32 v1, v60
	v_min_u32_e32 v1, 32, v1
	v_subrev_nc_u32_e32 v4, 28, v1
	v_sub_nc_u32_e32 v1, 29, v1
	v_lshlrev_b64 v[4:5], v4, v[60:61]
	v_and_b32_e32 v60, 7, v4
; %bb.967:                              ;   in Loop: Header=BB232_10 Depth=1
	s_or_b32 exec_lo, exec_lo, s18
	v_mov_b32_e32 v4, 24
	v_lshl_add_u32 v1, v1, 23, 0x3c000000
	v_lshlrev_b32_sdwa v0, v4, v0 dst_sel:DWORD dst_unused:UNUSED_PAD src0_sel:DWORD src1_sel:BYTE_3
	v_lshlrev_b32_e32 v4, 20, v60
	v_and_b32_e32 v0, 0x80000000, v0
	v_or3_b32 v1, v4, v0, v1
	v_mov_b32_e32 v0, v61
	buffer_store_dword v0, off, s[0:3], s32 offset:1132 ; 4-byte Folded Spill
	buffer_store_dword v1, off, s[0:3], s32 offset:1136 ; 4-byte Folded Spill
.LBB232_968:                            ;   in Loop: Header=BB232_10 Depth=1
	s_or_b32 exec_lo, exec_lo, s17
.LBB232_969:                            ;   in Loop: Header=BB232_10 Depth=1
	s_or_b32 exec_lo, exec_lo, s7
.LBB232_970:                            ;   in Loop: Header=BB232_10 Depth=1
	s_or_b32 exec_lo, exec_lo, s6
	flat_load_dword v0, v[2:3] offset:1544
	v_mov_b32_e32 v4, 0
	v_mov_b32_e32 v5, 0
	buffer_store_dword v4, off, s[0:3], s32 offset:1156 ; 4-byte Folded Spill
	buffer_store_dword v5, off, s[0:3], s32 offset:1160 ; 4-byte Folded Spill
	v_mov_b32_e32 v4, 0
	v_mov_b32_e32 v5, 0
	buffer_store_dword v4, off, s[0:3], s32 offset:1180 ; 4-byte Folded Spill
	buffer_store_dword v5, off, s[0:3], s32 offset:1184 ; 4-byte Folded Spill
	s_waitcnt vmcnt(0) lgkmcnt(0)
	v_cmp_ne_u16_sdwa s5, v0, v61 src0_sel:BYTE_0 src1_sel:DWORD
	s_and_saveexec_b32 s6, s5
	s_cbranch_execz .LBB232_978
; %bb.971:                              ;   in Loop: Header=BB232_10 Depth=1
	v_mov_b32_e32 v1, 0x80
	v_bfrev_b32_e32 v4, 1
	v_mov_b32_e32 v5, 0
	buffer_store_dword v4, off, s[0:3], s32 offset:1180 ; 4-byte Folded Spill
	buffer_store_dword v5, off, s[0:3], s32 offset:1184 ; 4-byte Folded Spill
	v_cmp_ne_u16_sdwa s5, v0, v1 src0_sel:BYTE_0 src1_sel:DWORD
	s_and_saveexec_b32 s7, s5
	s_cbranch_execz .LBB232_977
; %bb.972:                              ;   in Loop: Header=BB232_10 Depth=1
	v_mov_b32_e32 v5, 0x7f800001
	v_and_b32_e32 v4, 0x7f, v0
	v_mov_b32_e32 v6, 0
	s_mov_b32 s17, exec_lo
	buffer_store_dword v5, off, s[0:3], s32 offset:1180 ; 4-byte Folded Spill
	buffer_store_dword v6, off, s[0:3], s32 offset:1184 ; 4-byte Folded Spill
	v_cmpx_ne_u32_e32 0x7f, v4
	s_cbranch_execz .LBB232_976
; %bb.973:                              ;   in Loop: Header=BB232_10 Depth=1
	v_and_b32_e32 v60, 7, v0
	v_lshrrev_b32_e32 v1, 3, v4
	s_mov_b32 s18, exec_lo
	v_cmpx_gt_u32_e32 8, v4
; %bb.974:                              ;   in Loop: Header=BB232_10 Depth=1
	v_ffbh_u32_e32 v1, v60
	v_min_u32_e32 v1, 32, v1
	v_subrev_nc_u32_e32 v4, 28, v1
	v_sub_nc_u32_e32 v1, 29, v1
	v_lshlrev_b64 v[4:5], v4, v[60:61]
	v_and_b32_e32 v60, 7, v4
; %bb.975:                              ;   in Loop: Header=BB232_10 Depth=1
	s_or_b32 exec_lo, exec_lo, s18
	v_lshlrev_b32_e32 v4, 24, v0
	v_lshlrev_b32_e32 v5, 20, v60
	v_lshl_add_u32 v1, v1, 23, 0x3c000000
	v_and_b32_e32 v4, 0x80000000, v4
	v_or3_b32 v60, v5, v4, v1
	buffer_store_dword v60, off, s[0:3], s32 offset:1180 ; 4-byte Folded Spill
	buffer_store_dword v61, off, s[0:3], s32 offset:1184 ; 4-byte Folded Spill
.LBB232_976:                            ;   in Loop: Header=BB232_10 Depth=1
	s_or_b32 exec_lo, exec_lo, s17
.LBB232_977:                            ;   in Loop: Header=BB232_10 Depth=1
	s_or_b32 exec_lo, exec_lo, s7
.LBB232_978:                            ;   in Loop: Header=BB232_10 Depth=1
	s_or_b32 exec_lo, exec_lo, s6
	v_cmp_ne_u16_sdwa s5, v0, v61 src0_sel:BYTE_1 src1_sel:DWORD
	s_and_saveexec_b32 s6, s5
	s_cbranch_execz .LBB232_986
; %bb.979:                              ;   in Loop: Header=BB232_10 Depth=1
	v_mov_b32_e32 v1, 0x80
	v_mov_b32_e32 v84, v61
	buffer_store_dword v84, off, s[0:3], s32 offset:1156 ; 4-byte Folded Spill
	buffer_store_dword v85, off, s[0:3], s32 offset:1160 ; 4-byte Folded Spill
	v_cmp_ne_u16_sdwa s5, v0, v1 src0_sel:BYTE_1 src1_sel:DWORD
	s_and_saveexec_b32 s7, s5
	s_cbranch_execz .LBB232_985
; %bb.980:                              ;   in Loop: Header=BB232_10 Depth=1
	v_mov_b32_e32 v1, 0xffff
	v_mov_b32_e32 v86, v61
	s_mov_b32 s17, exec_lo
	buffer_store_dword v86, off, s[0:3], s32 offset:1156 ; 4-byte Folded Spill
	buffer_store_dword v87, off, s[0:3], s32 offset:1160 ; 4-byte Folded Spill
	v_and_b32_sdwa v1, v1, v0 dst_sel:DWORD dst_unused:UNUSED_PAD src0_sel:DWORD src1_sel:BYTE_1
	v_and_b32_e32 v4, 0x7f, v1
	v_cmpx_ne_u32_e32 0x7f, v4
	s_cbranch_execz .LBB232_984
; %bb.981:                              ;   in Loop: Header=BB232_10 Depth=1
	v_and_b32_e32 v60, 7, v1
	v_lshrrev_b32_e32 v1, 3, v4
	s_mov_b32 s18, exec_lo
	v_cmpx_gt_u32_e32 8, v4
; %bb.982:                              ;   in Loop: Header=BB232_10 Depth=1
	v_ffbh_u32_e32 v1, v60
	v_min_u32_e32 v1, 32, v1
	v_subrev_nc_u32_e32 v4, 28, v1
	v_sub_nc_u32_e32 v1, 29, v1
	v_lshlrev_b64 v[4:5], v4, v[60:61]
	v_and_b32_e32 v60, 7, v4
; %bb.983:                              ;   in Loop: Header=BB232_10 Depth=1
	s_or_b32 exec_lo, exec_lo, s18
	v_lshlrev_b32_e32 v4, 16, v0
	v_lshlrev_b32_e32 v5, 20, v60
	v_lshl_add_u32 v1, v1, 23, 0x3c000000
	v_and_b32_e32 v4, 0x80000000, v4
	v_or3_b32 v5, v5, v4, v1
	v_mov_b32_e32 v4, v61
	buffer_store_dword v4, off, s[0:3], s32 offset:1156 ; 4-byte Folded Spill
	buffer_store_dword v5, off, s[0:3], s32 offset:1160 ; 4-byte Folded Spill
.LBB232_984:                            ;   in Loop: Header=BB232_10 Depth=1
	s_or_b32 exec_lo, exec_lo, s17
.LBB232_985:                            ;   in Loop: Header=BB232_10 Depth=1
	s_or_b32 exec_lo, exec_lo, s7
.LBB232_986:                            ;   in Loop: Header=BB232_10 Depth=1
	s_or_b32 exec_lo, exec_lo, s6
	v_mov_b32_e32 v4, 0
	v_mov_b32_e32 v5, 0
	v_mov_b32_e32 v1, 0xff
	s_mov_b32 s6, exec_lo
	buffer_store_dword v4, off, s[0:3], s32 offset:1164 ; 4-byte Folded Spill
	buffer_store_dword v5, off, s[0:3], s32 offset:1168 ; 4-byte Folded Spill
	v_mov_b32_e32 v4, 0
	v_and_b32_sdwa v1, v0, v1 dst_sel:DWORD dst_unused:UNUSED_PAD src0_sel:WORD_1 src1_sel:DWORD
	v_mov_b32_e32 v5, 0
	buffer_store_dword v4, off, s[0:3], s32 offset:1172 ; 4-byte Folded Spill
	buffer_store_dword v5, off, s[0:3], s32 offset:1176 ; 4-byte Folded Spill
	v_cmpx_ne_u16_e32 0, v1
	s_cbranch_execz .LBB232_994
; %bb.987:                              ;   in Loop: Header=BB232_10 Depth=1
	v_bfrev_b32_e32 v4, 1
	v_mov_b32_e32 v5, 0
	s_mov_b32 s7, exec_lo
	buffer_store_dword v4, off, s[0:3], s32 offset:1172 ; 4-byte Folded Spill
	buffer_store_dword v5, off, s[0:3], s32 offset:1176 ; 4-byte Folded Spill
	v_cmpx_ne_u16_e32 0x80, v1
	s_cbranch_execz .LBB232_993
; %bb.988:                              ;   in Loop: Header=BB232_10 Depth=1
	v_mov_b32_e32 v5, 0x7f800001
	v_bfe_u32 v4, v0, 16, 7
	v_mov_b32_e32 v6, 0
	s_mov_b32 s17, exec_lo
	buffer_store_dword v5, off, s[0:3], s32 offset:1172 ; 4-byte Folded Spill
	buffer_store_dword v6, off, s[0:3], s32 offset:1176 ; 4-byte Folded Spill
	v_cmpx_ne_u32_e32 0x7f, v4
	s_cbranch_execz .LBB232_992
; %bb.989:                              ;   in Loop: Header=BB232_10 Depth=1
	v_mov_b32_e32 v1, 7
	s_mov_b32 s18, exec_lo
	v_and_b32_sdwa v60, v0, v1 dst_sel:DWORD dst_unused:UNUSED_PAD src0_sel:WORD_1 src1_sel:DWORD
	v_lshrrev_b32_e32 v1, 3, v4
	v_cmpx_gt_u32_e32 8, v4
; %bb.990:                              ;   in Loop: Header=BB232_10 Depth=1
	v_ffbh_u32_e32 v1, v60
	v_min_u32_e32 v1, 32, v1
	v_subrev_nc_u32_e32 v4, 28, v1
	v_sub_nc_u32_e32 v1, 29, v1
	v_lshlrev_b64 v[4:5], v4, v[60:61]
	v_and_b32_e32 v60, 7, v4
; %bb.991:                              ;   in Loop: Header=BB232_10 Depth=1
	s_or_b32 exec_lo, exec_lo, s18
	v_mov_b32_e32 v4, 24
	v_lshlrev_b32_e32 v5, 20, v60
	v_lshl_add_u32 v1, v1, 23, 0x3c000000
	v_lshlrev_b32_sdwa v4, v4, v0 dst_sel:DWORD dst_unused:UNUSED_PAD src0_sel:DWORD src1_sel:WORD_1
	v_and_b32_e32 v4, 0x80000000, v4
	v_or3_b32 v60, v5, v4, v1
	buffer_store_dword v60, off, s[0:3], s32 offset:1172 ; 4-byte Folded Spill
	buffer_store_dword v61, off, s[0:3], s32 offset:1176 ; 4-byte Folded Spill
.LBB232_992:                            ;   in Loop: Header=BB232_10 Depth=1
	s_or_b32 exec_lo, exec_lo, s17
.LBB232_993:                            ;   in Loop: Header=BB232_10 Depth=1
	s_or_b32 exec_lo, exec_lo, s7
.LBB232_994:                            ;   in Loop: Header=BB232_10 Depth=1
	s_or_b32 exec_lo, exec_lo, s6
	s_mov_b32 s6, exec_lo
	v_cmpx_lt_u32_e32 0xffffff, v0
	s_cbranch_execz .LBB232_1002
; %bb.995:                              ;   in Loop: Header=BB232_10 Depth=1
	v_mov_b32_e32 v1, 0x80
	v_mov_b32_e32 v84, v61
	buffer_store_dword v84, off, s[0:3], s32 offset:1164 ; 4-byte Folded Spill
	buffer_store_dword v85, off, s[0:3], s32 offset:1168 ; 4-byte Folded Spill
	v_cmp_ne_u32_sdwa s5, v0, v1 src0_sel:BYTE_3 src1_sel:DWORD
	s_and_saveexec_b32 s7, s5
	s_cbranch_execz .LBB232_1001
; %bb.996:                              ;   in Loop: Header=BB232_10 Depth=1
	v_bfe_u32 v4, v0, 24, 7
	v_mov_b32_e32 v86, v61
	s_mov_b32 s17, exec_lo
	buffer_store_dword v86, off, s[0:3], s32 offset:1164 ; 4-byte Folded Spill
	buffer_store_dword v87, off, s[0:3], s32 offset:1168 ; 4-byte Folded Spill
	v_cmpx_ne_u32_e32 0x7f, v4
	s_cbranch_execz .LBB232_1000
; %bb.997:                              ;   in Loop: Header=BB232_10 Depth=1
	v_mov_b32_e32 v1, 7
	s_mov_b32 s18, exec_lo
	v_and_b32_sdwa v60, v0, v1 dst_sel:DWORD dst_unused:UNUSED_PAD src0_sel:BYTE_3 src1_sel:DWORD
	v_lshrrev_b32_e32 v1, 3, v4
	v_cmpx_gt_u32_e32 8, v4
; %bb.998:                              ;   in Loop: Header=BB232_10 Depth=1
	v_ffbh_u32_e32 v1, v60
	v_min_u32_e32 v1, 32, v1
	v_subrev_nc_u32_e32 v4, 28, v1
	v_sub_nc_u32_e32 v1, 29, v1
	v_lshlrev_b64 v[4:5], v4, v[60:61]
	v_and_b32_e32 v60, 7, v4
; %bb.999:                              ;   in Loop: Header=BB232_10 Depth=1
	s_or_b32 exec_lo, exec_lo, s18
	v_mov_b32_e32 v4, 24
	v_lshl_add_u32 v1, v1, 23, 0x3c000000
	v_lshlrev_b32_sdwa v0, v4, v0 dst_sel:DWORD dst_unused:UNUSED_PAD src0_sel:DWORD src1_sel:BYTE_3
	v_lshlrev_b32_e32 v4, 20, v60
	v_and_b32_e32 v0, 0x80000000, v0
	v_or3_b32 v1, v4, v0, v1
	v_mov_b32_e32 v0, v61
	buffer_store_dword v0, off, s[0:3], s32 offset:1164 ; 4-byte Folded Spill
	buffer_store_dword v1, off, s[0:3], s32 offset:1168 ; 4-byte Folded Spill
.LBB232_1000:                           ;   in Loop: Header=BB232_10 Depth=1
	s_or_b32 exec_lo, exec_lo, s17
.LBB232_1001:                           ;   in Loop: Header=BB232_10 Depth=1
	s_or_b32 exec_lo, exec_lo, s7
.LBB232_1002:                           ;   in Loop: Header=BB232_10 Depth=1
	s_or_b32 exec_lo, exec_lo, s6
	flat_load_dword v0, v[2:3] offset:1548
	v_mov_b32_e32 v1, 0
	v_mov_b32_e32 v2, 0
	buffer_store_dword v1, off, s[0:3], s32 offset:1188 ; 4-byte Folded Spill
	buffer_store_dword v2, off, s[0:3], s32 offset:1192 ; 4-byte Folded Spill
	v_mov_b32_e32 v1, 0
	v_mov_b32_e32 v2, 0
	buffer_store_dword v1, off, s[0:3], s32 offset:1212 ; 4-byte Folded Spill
	buffer_store_dword v2, off, s[0:3], s32 offset:1216 ; 4-byte Folded Spill
	s_waitcnt vmcnt(0) lgkmcnt(0)
	v_cmp_ne_u16_sdwa s5, v0, v61 src0_sel:BYTE_0 src1_sel:DWORD
	s_and_saveexec_b32 s6, s5
	s_cbranch_execz .LBB232_1010
; %bb.1003:                             ;   in Loop: Header=BB232_10 Depth=1
	v_bfrev_b32_e32 v1, 1
	v_mov_b32_e32 v2, 0
	buffer_store_dword v1, off, s[0:3], s32 offset:1212 ; 4-byte Folded Spill
	buffer_store_dword v2, off, s[0:3], s32 offset:1216 ; 4-byte Folded Spill
	v_mov_b32_e32 v1, 0x80
	v_cmp_ne_u16_sdwa s5, v0, v1 src0_sel:BYTE_0 src1_sel:DWORD
	s_and_saveexec_b32 s7, s5
	s_cbranch_execz .LBB232_1009
; %bb.1004:                             ;   in Loop: Header=BB232_10 Depth=1
	v_mov_b32_e32 v3, 0x7f800001
	v_and_b32_e32 v2, 0x7f, v0
	v_mov_b32_e32 v4, 0
	s_mov_b32 s17, exec_lo
	buffer_store_dword v3, off, s[0:3], s32 offset:1212 ; 4-byte Folded Spill
	buffer_store_dword v4, off, s[0:3], s32 offset:1216 ; 4-byte Folded Spill
	v_cmpx_ne_u32_e32 0x7f, v2
	s_cbranch_execz .LBB232_1008
; %bb.1005:                             ;   in Loop: Header=BB232_10 Depth=1
	v_and_b32_e32 v60, 7, v0
	v_lshrrev_b32_e32 v1, 3, v2
	s_mov_b32 s18, exec_lo
	v_cmpx_gt_u32_e32 8, v2
; %bb.1006:                             ;   in Loop: Header=BB232_10 Depth=1
	v_ffbh_u32_e32 v1, v60
	v_min_u32_e32 v1, 32, v1
	v_subrev_nc_u32_e32 v2, 28, v1
	v_sub_nc_u32_e32 v1, 29, v1
	v_lshlrev_b64 v[2:3], v2, v[60:61]
	v_and_b32_e32 v60, 7, v2
; %bb.1007:                             ;   in Loop: Header=BB232_10 Depth=1
	s_or_b32 exec_lo, exec_lo, s18
	v_lshlrev_b32_e32 v2, 24, v0
	v_lshlrev_b32_e32 v3, 20, v60
	v_lshl_add_u32 v1, v1, 23, 0x3c000000
	v_and_b32_e32 v2, 0x80000000, v2
	v_or3_b32 v60, v3, v2, v1
	buffer_store_dword v60, off, s[0:3], s32 offset:1212 ; 4-byte Folded Spill
	buffer_store_dword v61, off, s[0:3], s32 offset:1216 ; 4-byte Folded Spill
.LBB232_1008:                           ;   in Loop: Header=BB232_10 Depth=1
	s_or_b32 exec_lo, exec_lo, s17
.LBB232_1009:                           ;   in Loop: Header=BB232_10 Depth=1
	s_or_b32 exec_lo, exec_lo, s7
.LBB232_1010:                           ;   in Loop: Header=BB232_10 Depth=1
	s_or_b32 exec_lo, exec_lo, s6
	v_cmp_ne_u16_sdwa s5, v0, v61 src0_sel:BYTE_1 src1_sel:DWORD
	s_and_saveexec_b32 s6, s5
	s_cbranch_execz .LBB232_1018
; %bb.1011:                             ;   in Loop: Header=BB232_10 Depth=1
	v_mov_b32_e32 v1, 0x80
	v_mov_b32_e32 v84, v61
	buffer_store_dword v84, off, s[0:3], s32 offset:1188 ; 4-byte Folded Spill
	buffer_store_dword v85, off, s[0:3], s32 offset:1192 ; 4-byte Folded Spill
	v_cmp_ne_u16_sdwa s5, v0, v1 src0_sel:BYTE_1 src1_sel:DWORD
	s_and_saveexec_b32 s7, s5
	s_cbranch_execz .LBB232_1017
; %bb.1012:                             ;   in Loop: Header=BB232_10 Depth=1
	v_mov_b32_e32 v1, 0xffff
	v_mov_b32_e32 v86, v61
	s_mov_b32 s17, exec_lo
	buffer_store_dword v86, off, s[0:3], s32 offset:1188 ; 4-byte Folded Spill
	buffer_store_dword v87, off, s[0:3], s32 offset:1192 ; 4-byte Folded Spill
	v_and_b32_sdwa v1, v1, v0 dst_sel:DWORD dst_unused:UNUSED_PAD src0_sel:DWORD src1_sel:BYTE_1
	v_and_b32_e32 v2, 0x7f, v1
	v_cmpx_ne_u32_e32 0x7f, v2
	s_cbranch_execz .LBB232_1016
; %bb.1013:                             ;   in Loop: Header=BB232_10 Depth=1
	v_and_b32_e32 v60, 7, v1
	v_lshrrev_b32_e32 v1, 3, v2
	s_mov_b32 s18, exec_lo
	v_cmpx_gt_u32_e32 8, v2
; %bb.1014:                             ;   in Loop: Header=BB232_10 Depth=1
	v_ffbh_u32_e32 v1, v60
	v_min_u32_e32 v1, 32, v1
	v_subrev_nc_u32_e32 v2, 28, v1
	v_sub_nc_u32_e32 v1, 29, v1
	v_lshlrev_b64 v[2:3], v2, v[60:61]
	v_and_b32_e32 v60, 7, v2
; %bb.1015:                             ;   in Loop: Header=BB232_10 Depth=1
	s_or_b32 exec_lo, exec_lo, s18
	v_lshlrev_b32_e32 v2, 16, v0
	v_lshlrev_b32_e32 v3, 20, v60
	v_lshl_add_u32 v1, v1, 23, 0x3c000000
	v_and_b32_e32 v2, 0x80000000, v2
	v_or3_b32 v2, v3, v2, v1
	v_mov_b32_e32 v1, v61
	buffer_store_dword v1, off, s[0:3], s32 offset:1188 ; 4-byte Folded Spill
	buffer_store_dword v2, off, s[0:3], s32 offset:1192 ; 4-byte Folded Spill
.LBB232_1016:                           ;   in Loop: Header=BB232_10 Depth=1
	s_or_b32 exec_lo, exec_lo, s17
.LBB232_1017:                           ;   in Loop: Header=BB232_10 Depth=1
	s_or_b32 exec_lo, exec_lo, s7
.LBB232_1018:                           ;   in Loop: Header=BB232_10 Depth=1
	s_or_b32 exec_lo, exec_lo, s6
	v_mov_b32_e32 v2, 0
	v_mov_b32_e32 v3, 0
	;; [unrolled: 1-line block ×3, first 2 shown]
	s_mov_b32 s6, exec_lo
	buffer_store_dword v2, off, s[0:3], s32 offset:1196 ; 4-byte Folded Spill
	buffer_store_dword v3, off, s[0:3], s32 offset:1200 ; 4-byte Folded Spill
	v_mov_b32_e32 v2, 0
	v_and_b32_sdwa v1, v0, v1 dst_sel:DWORD dst_unused:UNUSED_PAD src0_sel:WORD_1 src1_sel:DWORD
	v_mov_b32_e32 v3, 0
	buffer_store_dword v2, off, s[0:3], s32 offset:1204 ; 4-byte Folded Spill
	buffer_store_dword v3, off, s[0:3], s32 offset:1208 ; 4-byte Folded Spill
	v_cmpx_ne_u16_e32 0, v1
	s_cbranch_execz .LBB232_1026
; %bb.1019:                             ;   in Loop: Header=BB232_10 Depth=1
	v_cmp_ne_u16_e64 s5, 0x80, v1
	v_bfrev_b32_e32 v1, 1
	v_mov_b32_e32 v2, 0
	buffer_store_dword v1, off, s[0:3], s32 offset:1204 ; 4-byte Folded Spill
	buffer_store_dword v2, off, s[0:3], s32 offset:1208 ; 4-byte Folded Spill
	s_and_saveexec_b32 s7, s5
	s_cbranch_execz .LBB232_1025
; %bb.1020:                             ;   in Loop: Header=BB232_10 Depth=1
	v_mov_b32_e32 v3, 0x7f800001
	v_bfe_u32 v2, v0, 16, 7
	v_mov_b32_e32 v4, 0
	s_mov_b32 s17, exec_lo
	buffer_store_dword v3, off, s[0:3], s32 offset:1204 ; 4-byte Folded Spill
	buffer_store_dword v4, off, s[0:3], s32 offset:1208 ; 4-byte Folded Spill
	v_cmpx_ne_u32_e32 0x7f, v2
	s_cbranch_execz .LBB232_1024
; %bb.1021:                             ;   in Loop: Header=BB232_10 Depth=1
	v_mov_b32_e32 v1, 7
	s_mov_b32 s18, exec_lo
	v_and_b32_sdwa v60, v0, v1 dst_sel:DWORD dst_unused:UNUSED_PAD src0_sel:WORD_1 src1_sel:DWORD
	v_lshrrev_b32_e32 v1, 3, v2
	v_cmpx_gt_u32_e32 8, v2
; %bb.1022:                             ;   in Loop: Header=BB232_10 Depth=1
	v_ffbh_u32_e32 v1, v60
	v_min_u32_e32 v1, 32, v1
	v_subrev_nc_u32_e32 v2, 28, v1
	v_sub_nc_u32_e32 v1, 29, v1
	v_lshlrev_b64 v[2:3], v2, v[60:61]
	v_and_b32_e32 v60, 7, v2
; %bb.1023:                             ;   in Loop: Header=BB232_10 Depth=1
	s_or_b32 exec_lo, exec_lo, s18
	v_mov_b32_e32 v2, 24
	v_lshlrev_b32_e32 v3, 20, v60
	v_lshl_add_u32 v1, v1, 23, 0x3c000000
	v_lshlrev_b32_sdwa v2, v2, v0 dst_sel:DWORD dst_unused:UNUSED_PAD src0_sel:DWORD src1_sel:WORD_1
	v_and_b32_e32 v2, 0x80000000, v2
	v_or3_b32 v60, v3, v2, v1
	buffer_store_dword v60, off, s[0:3], s32 offset:1204 ; 4-byte Folded Spill
	buffer_store_dword v61, off, s[0:3], s32 offset:1208 ; 4-byte Folded Spill
.LBB232_1024:                           ;   in Loop: Header=BB232_10 Depth=1
	s_or_b32 exec_lo, exec_lo, s17
.LBB232_1025:                           ;   in Loop: Header=BB232_10 Depth=1
	s_or_b32 exec_lo, exec_lo, s7
.LBB232_1026:                           ;   in Loop: Header=BB232_10 Depth=1
	s_or_b32 exec_lo, exec_lo, s6
	s_mov_b32 s6, exec_lo
	v_cmpx_lt_u32_e32 0xffffff, v0
	s_cbranch_execz .LBB232_1034
; %bb.1027:                             ;   in Loop: Header=BB232_10 Depth=1
	v_mov_b32_e32 v1, 0x80
	v_mov_b32_e32 v84, v61
	buffer_store_dword v84, off, s[0:3], s32 offset:1196 ; 4-byte Folded Spill
	buffer_store_dword v85, off, s[0:3], s32 offset:1200 ; 4-byte Folded Spill
	v_cmp_ne_u32_sdwa s5, v0, v1 src0_sel:BYTE_3 src1_sel:DWORD
	s_and_saveexec_b32 s7, s5
	s_cbranch_execz .LBB232_1033
; %bb.1028:                             ;   in Loop: Header=BB232_10 Depth=1
	v_bfe_u32 v2, v0, 24, 7
	v_mov_b32_e32 v86, v61
	s_mov_b32 s17, exec_lo
	buffer_store_dword v86, off, s[0:3], s32 offset:1196 ; 4-byte Folded Spill
	buffer_store_dword v87, off, s[0:3], s32 offset:1200 ; 4-byte Folded Spill
	v_cmpx_ne_u32_e32 0x7f, v2
	s_cbranch_execz .LBB232_1032
; %bb.1029:                             ;   in Loop: Header=BB232_10 Depth=1
	v_mov_b32_e32 v1, 7
	s_mov_b32 s18, exec_lo
	v_and_b32_sdwa v60, v0, v1 dst_sel:DWORD dst_unused:UNUSED_PAD src0_sel:BYTE_3 src1_sel:DWORD
	v_lshrrev_b32_e32 v1, 3, v2
	v_cmpx_gt_u32_e32 8, v2
; %bb.1030:                             ;   in Loop: Header=BB232_10 Depth=1
	v_ffbh_u32_e32 v1, v60
	v_min_u32_e32 v1, 32, v1
	v_subrev_nc_u32_e32 v2, 28, v1
	v_sub_nc_u32_e32 v1, 29, v1
	v_lshlrev_b64 v[2:3], v2, v[60:61]
	v_and_b32_e32 v60, 7, v2
; %bb.1031:                             ;   in Loop: Header=BB232_10 Depth=1
	s_or_b32 exec_lo, exec_lo, s18
	v_mov_b32_e32 v2, 24
	v_lshl_add_u32 v1, v1, 23, 0x3c000000
	v_lshlrev_b32_sdwa v0, v2, v0 dst_sel:DWORD dst_unused:UNUSED_PAD src0_sel:DWORD src1_sel:BYTE_3
	v_lshlrev_b32_e32 v2, 20, v60
	v_and_b32_e32 v0, 0x80000000, v0
	v_or3_b32 v1, v2, v0, v1
	v_mov_b32_e32 v0, v61
	buffer_store_dword v0, off, s[0:3], s32 offset:1196 ; 4-byte Folded Spill
	buffer_store_dword v1, off, s[0:3], s32 offset:1200 ; 4-byte Folded Spill
.LBB232_1032:                           ;   in Loop: Header=BB232_10 Depth=1
	s_or_b32 exec_lo, exec_lo, s17
.LBB232_1033:                           ;   in Loop: Header=BB232_10 Depth=1
	s_or_b32 exec_lo, exec_lo, s7
.LBB232_1034:                           ;   in Loop: Header=BB232_10 Depth=1
	s_or_b32 exec_lo, exec_lo, s6
	v_add_co_u32 v52, s5, 0x1000, v39
	v_add_co_ci_u32_e64 v53, null, 0, v40, s5
	v_mov_b32_e32 v1, 0
	v_mov_b32_e32 v2, 0
	flat_load_dword v0, v[52:53]
	buffer_store_dword v1, off, s[0:3], s32 offset:1220 ; 4-byte Folded Spill
	buffer_store_dword v2, off, s[0:3], s32 offset:1224 ; 4-byte Folded Spill
	v_mov_b32_e32 v1, 0
	v_mov_b32_e32 v2, 0
	buffer_store_dword v1, off, s[0:3], s32 offset:1244 ; 4-byte Folded Spill
	buffer_store_dword v2, off, s[0:3], s32 offset:1248 ; 4-byte Folded Spill
	s_waitcnt vmcnt(0) lgkmcnt(0)
	v_cmp_ne_u16_sdwa s5, v0, v61 src0_sel:BYTE_0 src1_sel:DWORD
	s_and_saveexec_b32 s6, s5
	s_cbranch_execz .LBB232_1042
; %bb.1035:                             ;   in Loop: Header=BB232_10 Depth=1
	v_bfrev_b32_e32 v1, 1
	v_mov_b32_e32 v2, 0
	buffer_store_dword v1, off, s[0:3], s32 offset:1244 ; 4-byte Folded Spill
	buffer_store_dword v2, off, s[0:3], s32 offset:1248 ; 4-byte Folded Spill
	v_mov_b32_e32 v1, 0x80
	v_cmp_ne_u16_sdwa s5, v0, v1 src0_sel:BYTE_0 src1_sel:DWORD
	s_and_saveexec_b32 s7, s5
	s_cbranch_execz .LBB232_1041
; %bb.1036:                             ;   in Loop: Header=BB232_10 Depth=1
	v_mov_b32_e32 v3, 0x7f800001
	v_and_b32_e32 v2, 0x7f, v0
	v_mov_b32_e32 v4, 0
	s_mov_b32 s17, exec_lo
	buffer_store_dword v3, off, s[0:3], s32 offset:1244 ; 4-byte Folded Spill
	buffer_store_dword v4, off, s[0:3], s32 offset:1248 ; 4-byte Folded Spill
	v_cmpx_ne_u32_e32 0x7f, v2
	s_cbranch_execz .LBB232_1040
; %bb.1037:                             ;   in Loop: Header=BB232_10 Depth=1
	v_and_b32_e32 v60, 7, v0
	v_lshrrev_b32_e32 v1, 3, v2
	s_mov_b32 s18, exec_lo
	v_cmpx_gt_u32_e32 8, v2
; %bb.1038:                             ;   in Loop: Header=BB232_10 Depth=1
	v_ffbh_u32_e32 v1, v60
	v_min_u32_e32 v1, 32, v1
	v_subrev_nc_u32_e32 v2, 28, v1
	v_sub_nc_u32_e32 v1, 29, v1
	v_lshlrev_b64 v[2:3], v2, v[60:61]
	v_and_b32_e32 v60, 7, v2
; %bb.1039:                             ;   in Loop: Header=BB232_10 Depth=1
	s_or_b32 exec_lo, exec_lo, s18
	v_lshlrev_b32_e32 v2, 24, v0
	v_lshlrev_b32_e32 v3, 20, v60
	v_lshl_add_u32 v1, v1, 23, 0x3c000000
	v_and_b32_e32 v2, 0x80000000, v2
	v_or3_b32 v60, v3, v2, v1
	buffer_store_dword v60, off, s[0:3], s32 offset:1244 ; 4-byte Folded Spill
	buffer_store_dword v61, off, s[0:3], s32 offset:1248 ; 4-byte Folded Spill
.LBB232_1040:                           ;   in Loop: Header=BB232_10 Depth=1
	s_or_b32 exec_lo, exec_lo, s17
.LBB232_1041:                           ;   in Loop: Header=BB232_10 Depth=1
	s_or_b32 exec_lo, exec_lo, s7
.LBB232_1042:                           ;   in Loop: Header=BB232_10 Depth=1
	s_or_b32 exec_lo, exec_lo, s6
	v_cmp_ne_u16_sdwa s5, v0, v61 src0_sel:BYTE_1 src1_sel:DWORD
	s_and_saveexec_b32 s6, s5
	s_cbranch_execz .LBB232_1050
; %bb.1043:                             ;   in Loop: Header=BB232_10 Depth=1
	v_mov_b32_e32 v1, 0x80
	v_mov_b32_e32 v84, v61
	buffer_store_dword v84, off, s[0:3], s32 offset:1220 ; 4-byte Folded Spill
	buffer_store_dword v85, off, s[0:3], s32 offset:1224 ; 4-byte Folded Spill
	v_cmp_ne_u16_sdwa s5, v0, v1 src0_sel:BYTE_1 src1_sel:DWORD
	s_and_saveexec_b32 s7, s5
	s_cbranch_execz .LBB232_1049
; %bb.1044:                             ;   in Loop: Header=BB232_10 Depth=1
	v_mov_b32_e32 v1, 0xffff
	v_mov_b32_e32 v86, v61
	s_mov_b32 s17, exec_lo
	buffer_store_dword v86, off, s[0:3], s32 offset:1220 ; 4-byte Folded Spill
	buffer_store_dword v87, off, s[0:3], s32 offset:1224 ; 4-byte Folded Spill
	v_and_b32_sdwa v1, v1, v0 dst_sel:DWORD dst_unused:UNUSED_PAD src0_sel:DWORD src1_sel:BYTE_1
	v_and_b32_e32 v2, 0x7f, v1
	v_cmpx_ne_u32_e32 0x7f, v2
	s_cbranch_execz .LBB232_1048
; %bb.1045:                             ;   in Loop: Header=BB232_10 Depth=1
	v_and_b32_e32 v60, 7, v1
	v_lshrrev_b32_e32 v1, 3, v2
	s_mov_b32 s18, exec_lo
	v_cmpx_gt_u32_e32 8, v2
; %bb.1046:                             ;   in Loop: Header=BB232_10 Depth=1
	v_ffbh_u32_e32 v1, v60
	v_min_u32_e32 v1, 32, v1
	v_subrev_nc_u32_e32 v2, 28, v1
	v_sub_nc_u32_e32 v1, 29, v1
	v_lshlrev_b64 v[2:3], v2, v[60:61]
	v_and_b32_e32 v60, 7, v2
; %bb.1047:                             ;   in Loop: Header=BB232_10 Depth=1
	s_or_b32 exec_lo, exec_lo, s18
	v_lshlrev_b32_e32 v2, 16, v0
	v_lshlrev_b32_e32 v3, 20, v60
	v_lshl_add_u32 v1, v1, 23, 0x3c000000
	v_and_b32_e32 v2, 0x80000000, v2
	v_or3_b32 v2, v3, v2, v1
	v_mov_b32_e32 v1, v61
	buffer_store_dword v1, off, s[0:3], s32 offset:1220 ; 4-byte Folded Spill
	buffer_store_dword v2, off, s[0:3], s32 offset:1224 ; 4-byte Folded Spill
.LBB232_1048:                           ;   in Loop: Header=BB232_10 Depth=1
	s_or_b32 exec_lo, exec_lo, s17
.LBB232_1049:                           ;   in Loop: Header=BB232_10 Depth=1
	s_or_b32 exec_lo, exec_lo, s7
.LBB232_1050:                           ;   in Loop: Header=BB232_10 Depth=1
	s_or_b32 exec_lo, exec_lo, s6
	v_mov_b32_e32 v2, 0
	v_mov_b32_e32 v3, 0
	v_mov_b32_e32 v1, 0xff
	s_mov_b32 s6, exec_lo
	buffer_store_dword v2, off, s[0:3], s32 offset:1228 ; 4-byte Folded Spill
	buffer_store_dword v3, off, s[0:3], s32 offset:1232 ; 4-byte Folded Spill
	v_mov_b32_e32 v2, 0
	v_and_b32_sdwa v1, v0, v1 dst_sel:DWORD dst_unused:UNUSED_PAD src0_sel:WORD_1 src1_sel:DWORD
	v_mov_b32_e32 v3, 0
	buffer_store_dword v2, off, s[0:3], s32 offset:1236 ; 4-byte Folded Spill
	buffer_store_dword v3, off, s[0:3], s32 offset:1240 ; 4-byte Folded Spill
	v_cmpx_ne_u16_e32 0, v1
	s_cbranch_execz .LBB232_1058
; %bb.1051:                             ;   in Loop: Header=BB232_10 Depth=1
	v_cmp_ne_u16_e64 s5, 0x80, v1
	v_bfrev_b32_e32 v1, 1
	v_mov_b32_e32 v2, 0
	buffer_store_dword v1, off, s[0:3], s32 offset:1236 ; 4-byte Folded Spill
	buffer_store_dword v2, off, s[0:3], s32 offset:1240 ; 4-byte Folded Spill
	s_and_saveexec_b32 s7, s5
	s_cbranch_execz .LBB232_1057
; %bb.1052:                             ;   in Loop: Header=BB232_10 Depth=1
	v_mov_b32_e32 v3, 0x7f800001
	v_bfe_u32 v2, v0, 16, 7
	v_mov_b32_e32 v4, 0
	s_mov_b32 s17, exec_lo
	buffer_store_dword v3, off, s[0:3], s32 offset:1236 ; 4-byte Folded Spill
	buffer_store_dword v4, off, s[0:3], s32 offset:1240 ; 4-byte Folded Spill
	v_cmpx_ne_u32_e32 0x7f, v2
	s_cbranch_execz .LBB232_1056
; %bb.1053:                             ;   in Loop: Header=BB232_10 Depth=1
	v_mov_b32_e32 v1, 7
	s_mov_b32 s18, exec_lo
	v_and_b32_sdwa v60, v0, v1 dst_sel:DWORD dst_unused:UNUSED_PAD src0_sel:WORD_1 src1_sel:DWORD
	v_lshrrev_b32_e32 v1, 3, v2
	v_cmpx_gt_u32_e32 8, v2
; %bb.1054:                             ;   in Loop: Header=BB232_10 Depth=1
	v_ffbh_u32_e32 v1, v60
	v_min_u32_e32 v1, 32, v1
	v_subrev_nc_u32_e32 v2, 28, v1
	v_sub_nc_u32_e32 v1, 29, v1
	v_lshlrev_b64 v[2:3], v2, v[60:61]
	v_and_b32_e32 v60, 7, v2
; %bb.1055:                             ;   in Loop: Header=BB232_10 Depth=1
	s_or_b32 exec_lo, exec_lo, s18
	v_mov_b32_e32 v2, 24
	v_lshlrev_b32_e32 v3, 20, v60
	v_lshl_add_u32 v1, v1, 23, 0x3c000000
	v_lshlrev_b32_sdwa v2, v2, v0 dst_sel:DWORD dst_unused:UNUSED_PAD src0_sel:DWORD src1_sel:WORD_1
	v_and_b32_e32 v2, 0x80000000, v2
	v_or3_b32 v60, v3, v2, v1
	buffer_store_dword v60, off, s[0:3], s32 offset:1236 ; 4-byte Folded Spill
	buffer_store_dword v61, off, s[0:3], s32 offset:1240 ; 4-byte Folded Spill
.LBB232_1056:                           ;   in Loop: Header=BB232_10 Depth=1
	s_or_b32 exec_lo, exec_lo, s17
.LBB232_1057:                           ;   in Loop: Header=BB232_10 Depth=1
	s_or_b32 exec_lo, exec_lo, s7
.LBB232_1058:                           ;   in Loop: Header=BB232_10 Depth=1
	s_or_b32 exec_lo, exec_lo, s6
	s_mov_b32 s6, exec_lo
	v_cmpx_lt_u32_e32 0xffffff, v0
	s_cbranch_execz .LBB232_1066
; %bb.1059:                             ;   in Loop: Header=BB232_10 Depth=1
	v_mov_b32_e32 v1, 0x80
	v_mov_b32_e32 v84, v61
	buffer_store_dword v84, off, s[0:3], s32 offset:1228 ; 4-byte Folded Spill
	buffer_store_dword v85, off, s[0:3], s32 offset:1232 ; 4-byte Folded Spill
	v_cmp_ne_u32_sdwa s5, v0, v1 src0_sel:BYTE_3 src1_sel:DWORD
	s_and_saveexec_b32 s7, s5
	s_cbranch_execz .LBB232_1065
; %bb.1060:                             ;   in Loop: Header=BB232_10 Depth=1
	v_bfe_u32 v2, v0, 24, 7
	v_mov_b32_e32 v86, v61
	s_mov_b32 s17, exec_lo
	buffer_store_dword v86, off, s[0:3], s32 offset:1228 ; 4-byte Folded Spill
	buffer_store_dword v87, off, s[0:3], s32 offset:1232 ; 4-byte Folded Spill
	v_cmpx_ne_u32_e32 0x7f, v2
	s_cbranch_execz .LBB232_1064
; %bb.1061:                             ;   in Loop: Header=BB232_10 Depth=1
	v_mov_b32_e32 v1, 7
	s_mov_b32 s18, exec_lo
	v_and_b32_sdwa v60, v0, v1 dst_sel:DWORD dst_unused:UNUSED_PAD src0_sel:BYTE_3 src1_sel:DWORD
	v_lshrrev_b32_e32 v1, 3, v2
	v_cmpx_gt_u32_e32 8, v2
; %bb.1062:                             ;   in Loop: Header=BB232_10 Depth=1
	v_ffbh_u32_e32 v1, v60
	v_min_u32_e32 v1, 32, v1
	v_subrev_nc_u32_e32 v2, 28, v1
	v_sub_nc_u32_e32 v1, 29, v1
	v_lshlrev_b64 v[2:3], v2, v[60:61]
	v_and_b32_e32 v60, 7, v2
; %bb.1063:                             ;   in Loop: Header=BB232_10 Depth=1
	s_or_b32 exec_lo, exec_lo, s18
	v_mov_b32_e32 v2, 24
	v_lshl_add_u32 v1, v1, 23, 0x3c000000
	v_lshlrev_b32_sdwa v0, v2, v0 dst_sel:DWORD dst_unused:UNUSED_PAD src0_sel:DWORD src1_sel:BYTE_3
	v_lshlrev_b32_e32 v2, 20, v60
	v_and_b32_e32 v0, 0x80000000, v0
	v_or3_b32 v1, v2, v0, v1
	v_mov_b32_e32 v0, v61
	buffer_store_dword v0, off, s[0:3], s32 offset:1228 ; 4-byte Folded Spill
	buffer_store_dword v1, off, s[0:3], s32 offset:1232 ; 4-byte Folded Spill
.LBB232_1064:                           ;   in Loop: Header=BB232_10 Depth=1
	s_or_b32 exec_lo, exec_lo, s17
.LBB232_1065:                           ;   in Loop: Header=BB232_10 Depth=1
	s_or_b32 exec_lo, exec_lo, s7
.LBB232_1066:                           ;   in Loop: Header=BB232_10 Depth=1
	s_or_b32 exec_lo, exec_lo, s6
	flat_load_dword v0, v[52:53] offset:4
	v_mov_b32_e32 v1, 0
	v_mov_b32_e32 v2, 0
	buffer_store_dword v1, off, s[0:3], s32 offset:1252 ; 4-byte Folded Spill
	buffer_store_dword v2, off, s[0:3], s32 offset:1256 ; 4-byte Folded Spill
	v_mov_b32_e32 v1, 0
	v_mov_b32_e32 v2, 0
	buffer_store_dword v1, off, s[0:3], s32 offset:1276 ; 4-byte Folded Spill
	buffer_store_dword v2, off, s[0:3], s32 offset:1280 ; 4-byte Folded Spill
	s_waitcnt vmcnt(0) lgkmcnt(0)
	v_cmp_ne_u16_sdwa s5, v0, v61 src0_sel:BYTE_0 src1_sel:DWORD
	s_and_saveexec_b32 s6, s5
	s_cbranch_execz .LBB232_1074
; %bb.1067:                             ;   in Loop: Header=BB232_10 Depth=1
	v_bfrev_b32_e32 v1, 1
	v_mov_b32_e32 v2, 0
	buffer_store_dword v1, off, s[0:3], s32 offset:1276 ; 4-byte Folded Spill
	buffer_store_dword v2, off, s[0:3], s32 offset:1280 ; 4-byte Folded Spill
	v_mov_b32_e32 v1, 0x80
	v_cmp_ne_u16_sdwa s5, v0, v1 src0_sel:BYTE_0 src1_sel:DWORD
	s_and_saveexec_b32 s7, s5
	s_cbranch_execz .LBB232_1073
; %bb.1068:                             ;   in Loop: Header=BB232_10 Depth=1
	v_mov_b32_e32 v3, 0x7f800001
	v_and_b32_e32 v2, 0x7f, v0
	v_mov_b32_e32 v4, 0
	s_mov_b32 s17, exec_lo
	buffer_store_dword v3, off, s[0:3], s32 offset:1276 ; 4-byte Folded Spill
	buffer_store_dword v4, off, s[0:3], s32 offset:1280 ; 4-byte Folded Spill
	v_cmpx_ne_u32_e32 0x7f, v2
	s_cbranch_execz .LBB232_1072
; %bb.1069:                             ;   in Loop: Header=BB232_10 Depth=1
	v_and_b32_e32 v60, 7, v0
	v_lshrrev_b32_e32 v1, 3, v2
	s_mov_b32 s18, exec_lo
	v_cmpx_gt_u32_e32 8, v2
; %bb.1070:                             ;   in Loop: Header=BB232_10 Depth=1
	v_ffbh_u32_e32 v1, v60
	v_min_u32_e32 v1, 32, v1
	v_subrev_nc_u32_e32 v2, 28, v1
	v_sub_nc_u32_e32 v1, 29, v1
	v_lshlrev_b64 v[2:3], v2, v[60:61]
	v_and_b32_e32 v60, 7, v2
; %bb.1071:                             ;   in Loop: Header=BB232_10 Depth=1
	s_or_b32 exec_lo, exec_lo, s18
	v_lshlrev_b32_e32 v2, 24, v0
	v_lshlrev_b32_e32 v3, 20, v60
	v_lshl_add_u32 v1, v1, 23, 0x3c000000
	v_and_b32_e32 v2, 0x80000000, v2
	v_or3_b32 v60, v3, v2, v1
	buffer_store_dword v60, off, s[0:3], s32 offset:1276 ; 4-byte Folded Spill
	buffer_store_dword v61, off, s[0:3], s32 offset:1280 ; 4-byte Folded Spill
.LBB232_1072:                           ;   in Loop: Header=BB232_10 Depth=1
	s_or_b32 exec_lo, exec_lo, s17
.LBB232_1073:                           ;   in Loop: Header=BB232_10 Depth=1
	s_or_b32 exec_lo, exec_lo, s7
.LBB232_1074:                           ;   in Loop: Header=BB232_10 Depth=1
	s_or_b32 exec_lo, exec_lo, s6
	v_cmp_ne_u16_sdwa s5, v0, v61 src0_sel:BYTE_1 src1_sel:DWORD
	s_and_saveexec_b32 s6, s5
	s_cbranch_execz .LBB232_1082
; %bb.1075:                             ;   in Loop: Header=BB232_10 Depth=1
	v_mov_b32_e32 v1, 0x80
	v_mov_b32_e32 v84, v61
	buffer_store_dword v84, off, s[0:3], s32 offset:1252 ; 4-byte Folded Spill
	buffer_store_dword v85, off, s[0:3], s32 offset:1256 ; 4-byte Folded Spill
	v_cmp_ne_u16_sdwa s5, v0, v1 src0_sel:BYTE_1 src1_sel:DWORD
	s_and_saveexec_b32 s7, s5
	s_cbranch_execz .LBB232_1081
; %bb.1076:                             ;   in Loop: Header=BB232_10 Depth=1
	v_mov_b32_e32 v1, 0xffff
	v_mov_b32_e32 v86, v61
	s_mov_b32 s17, exec_lo
	buffer_store_dword v86, off, s[0:3], s32 offset:1252 ; 4-byte Folded Spill
	buffer_store_dword v87, off, s[0:3], s32 offset:1256 ; 4-byte Folded Spill
	v_and_b32_sdwa v1, v1, v0 dst_sel:DWORD dst_unused:UNUSED_PAD src0_sel:DWORD src1_sel:BYTE_1
	v_and_b32_e32 v2, 0x7f, v1
	v_cmpx_ne_u32_e32 0x7f, v2
	s_cbranch_execz .LBB232_1080
; %bb.1077:                             ;   in Loop: Header=BB232_10 Depth=1
	v_and_b32_e32 v60, 7, v1
	v_lshrrev_b32_e32 v1, 3, v2
	s_mov_b32 s18, exec_lo
	v_cmpx_gt_u32_e32 8, v2
; %bb.1078:                             ;   in Loop: Header=BB232_10 Depth=1
	v_ffbh_u32_e32 v1, v60
	v_min_u32_e32 v1, 32, v1
	v_subrev_nc_u32_e32 v2, 28, v1
	v_sub_nc_u32_e32 v1, 29, v1
	v_lshlrev_b64 v[2:3], v2, v[60:61]
	v_and_b32_e32 v60, 7, v2
; %bb.1079:                             ;   in Loop: Header=BB232_10 Depth=1
	s_or_b32 exec_lo, exec_lo, s18
	v_lshlrev_b32_e32 v2, 16, v0
	v_lshlrev_b32_e32 v3, 20, v60
	v_lshl_add_u32 v1, v1, 23, 0x3c000000
	v_and_b32_e32 v2, 0x80000000, v2
	v_or3_b32 v2, v3, v2, v1
	v_mov_b32_e32 v1, v61
	buffer_store_dword v1, off, s[0:3], s32 offset:1252 ; 4-byte Folded Spill
	buffer_store_dword v2, off, s[0:3], s32 offset:1256 ; 4-byte Folded Spill
.LBB232_1080:                           ;   in Loop: Header=BB232_10 Depth=1
	s_or_b32 exec_lo, exec_lo, s17
.LBB232_1081:                           ;   in Loop: Header=BB232_10 Depth=1
	s_or_b32 exec_lo, exec_lo, s7
.LBB232_1082:                           ;   in Loop: Header=BB232_10 Depth=1
	s_or_b32 exec_lo, exec_lo, s6
	v_mov_b32_e32 v2, 0
	v_mov_b32_e32 v3, 0
	;; [unrolled: 1-line block ×3, first 2 shown]
	s_mov_b32 s6, exec_lo
	buffer_store_dword v2, off, s[0:3], s32 offset:1260 ; 4-byte Folded Spill
	buffer_store_dword v3, off, s[0:3], s32 offset:1264 ; 4-byte Folded Spill
	v_mov_b32_e32 v2, 0
	v_and_b32_sdwa v1, v0, v1 dst_sel:DWORD dst_unused:UNUSED_PAD src0_sel:WORD_1 src1_sel:DWORD
	v_mov_b32_e32 v3, 0
	buffer_store_dword v2, off, s[0:3], s32 offset:1268 ; 4-byte Folded Spill
	buffer_store_dword v3, off, s[0:3], s32 offset:1272 ; 4-byte Folded Spill
	v_cmpx_ne_u16_e32 0, v1
	s_cbranch_execz .LBB232_1090
; %bb.1083:                             ;   in Loop: Header=BB232_10 Depth=1
	v_cmp_ne_u16_e64 s5, 0x80, v1
	v_bfrev_b32_e32 v1, 1
	v_mov_b32_e32 v2, 0
	buffer_store_dword v1, off, s[0:3], s32 offset:1268 ; 4-byte Folded Spill
	buffer_store_dword v2, off, s[0:3], s32 offset:1272 ; 4-byte Folded Spill
	s_and_saveexec_b32 s7, s5
	s_cbranch_execz .LBB232_1089
; %bb.1084:                             ;   in Loop: Header=BB232_10 Depth=1
	v_mov_b32_e32 v3, 0x7f800001
	v_bfe_u32 v2, v0, 16, 7
	v_mov_b32_e32 v4, 0
	s_mov_b32 s17, exec_lo
	buffer_store_dword v3, off, s[0:3], s32 offset:1268 ; 4-byte Folded Spill
	buffer_store_dword v4, off, s[0:3], s32 offset:1272 ; 4-byte Folded Spill
	v_cmpx_ne_u32_e32 0x7f, v2
	s_cbranch_execz .LBB232_1088
; %bb.1085:                             ;   in Loop: Header=BB232_10 Depth=1
	v_mov_b32_e32 v1, 7
	s_mov_b32 s18, exec_lo
	v_and_b32_sdwa v60, v0, v1 dst_sel:DWORD dst_unused:UNUSED_PAD src0_sel:WORD_1 src1_sel:DWORD
	v_lshrrev_b32_e32 v1, 3, v2
	v_cmpx_gt_u32_e32 8, v2
; %bb.1086:                             ;   in Loop: Header=BB232_10 Depth=1
	v_ffbh_u32_e32 v1, v60
	v_min_u32_e32 v1, 32, v1
	v_subrev_nc_u32_e32 v2, 28, v1
	v_sub_nc_u32_e32 v1, 29, v1
	v_lshlrev_b64 v[2:3], v2, v[60:61]
	v_and_b32_e32 v60, 7, v2
; %bb.1087:                             ;   in Loop: Header=BB232_10 Depth=1
	s_or_b32 exec_lo, exec_lo, s18
	v_mov_b32_e32 v2, 24
	v_lshlrev_b32_e32 v3, 20, v60
	v_lshl_add_u32 v1, v1, 23, 0x3c000000
	v_lshlrev_b32_sdwa v2, v2, v0 dst_sel:DWORD dst_unused:UNUSED_PAD src0_sel:DWORD src1_sel:WORD_1
	v_and_b32_e32 v2, 0x80000000, v2
	v_or3_b32 v60, v3, v2, v1
	buffer_store_dword v60, off, s[0:3], s32 offset:1268 ; 4-byte Folded Spill
	buffer_store_dword v61, off, s[0:3], s32 offset:1272 ; 4-byte Folded Spill
.LBB232_1088:                           ;   in Loop: Header=BB232_10 Depth=1
	s_or_b32 exec_lo, exec_lo, s17
.LBB232_1089:                           ;   in Loop: Header=BB232_10 Depth=1
	s_or_b32 exec_lo, exec_lo, s7
.LBB232_1090:                           ;   in Loop: Header=BB232_10 Depth=1
	s_or_b32 exec_lo, exec_lo, s6
	s_mov_b32 s6, exec_lo
	v_cmpx_lt_u32_e32 0xffffff, v0
	s_cbranch_execz .LBB232_1098
; %bb.1091:                             ;   in Loop: Header=BB232_10 Depth=1
	v_mov_b32_e32 v1, 0x80
	v_mov_b32_e32 v84, v61
	buffer_store_dword v84, off, s[0:3], s32 offset:1260 ; 4-byte Folded Spill
	buffer_store_dword v85, off, s[0:3], s32 offset:1264 ; 4-byte Folded Spill
	v_cmp_ne_u32_sdwa s5, v0, v1 src0_sel:BYTE_3 src1_sel:DWORD
	s_and_saveexec_b32 s7, s5
	s_cbranch_execz .LBB232_1097
; %bb.1092:                             ;   in Loop: Header=BB232_10 Depth=1
	v_bfe_u32 v2, v0, 24, 7
	v_mov_b32_e32 v86, v61
	s_mov_b32 s17, exec_lo
	buffer_store_dword v86, off, s[0:3], s32 offset:1260 ; 4-byte Folded Spill
	buffer_store_dword v87, off, s[0:3], s32 offset:1264 ; 4-byte Folded Spill
	v_cmpx_ne_u32_e32 0x7f, v2
	s_cbranch_execz .LBB232_1096
; %bb.1093:                             ;   in Loop: Header=BB232_10 Depth=1
	v_mov_b32_e32 v1, 7
	s_mov_b32 s18, exec_lo
	v_and_b32_sdwa v60, v0, v1 dst_sel:DWORD dst_unused:UNUSED_PAD src0_sel:BYTE_3 src1_sel:DWORD
	v_lshrrev_b32_e32 v1, 3, v2
	v_cmpx_gt_u32_e32 8, v2
; %bb.1094:                             ;   in Loop: Header=BB232_10 Depth=1
	v_ffbh_u32_e32 v1, v60
	v_min_u32_e32 v1, 32, v1
	v_subrev_nc_u32_e32 v2, 28, v1
	v_sub_nc_u32_e32 v1, 29, v1
	v_lshlrev_b64 v[2:3], v2, v[60:61]
	v_and_b32_e32 v60, 7, v2
; %bb.1095:                             ;   in Loop: Header=BB232_10 Depth=1
	s_or_b32 exec_lo, exec_lo, s18
	v_mov_b32_e32 v2, 24
	v_lshl_add_u32 v1, v1, 23, 0x3c000000
	v_lshlrev_b32_sdwa v0, v2, v0 dst_sel:DWORD dst_unused:UNUSED_PAD src0_sel:DWORD src1_sel:BYTE_3
	v_lshlrev_b32_e32 v2, 20, v60
	v_and_b32_e32 v0, 0x80000000, v0
	v_or3_b32 v1, v2, v0, v1
	v_mov_b32_e32 v0, v61
	buffer_store_dword v0, off, s[0:3], s32 offset:1260 ; 4-byte Folded Spill
	buffer_store_dword v1, off, s[0:3], s32 offset:1264 ; 4-byte Folded Spill
.LBB232_1096:                           ;   in Loop: Header=BB232_10 Depth=1
	s_or_b32 exec_lo, exec_lo, s17
.LBB232_1097:                           ;   in Loop: Header=BB232_10 Depth=1
	s_or_b32 exec_lo, exec_lo, s7
.LBB232_1098:                           ;   in Loop: Header=BB232_10 Depth=1
	s_or_b32 exec_lo, exec_lo, s6
	flat_load_dword v0, v[52:53] offset:8
	v_mov_b32_e32 v1, 0
	v_mov_b32_e32 v2, 0
	buffer_store_dword v1, off, s[0:3], s32 offset:1284 ; 4-byte Folded Spill
	buffer_store_dword v2, off, s[0:3], s32 offset:1288 ; 4-byte Folded Spill
	v_mov_b32_e32 v1, 0
	v_mov_b32_e32 v2, 0
	buffer_store_dword v1, off, s[0:3], s32 offset:1308 ; 4-byte Folded Spill
	buffer_store_dword v2, off, s[0:3], s32 offset:1312 ; 4-byte Folded Spill
	s_waitcnt vmcnt(0) lgkmcnt(0)
	v_cmp_ne_u16_sdwa s5, v0, v61 src0_sel:BYTE_0 src1_sel:DWORD
	s_and_saveexec_b32 s6, s5
	s_cbranch_execz .LBB232_1106
; %bb.1099:                             ;   in Loop: Header=BB232_10 Depth=1
	v_bfrev_b32_e32 v1, 1
	v_mov_b32_e32 v2, 0
	buffer_store_dword v1, off, s[0:3], s32 offset:1308 ; 4-byte Folded Spill
	buffer_store_dword v2, off, s[0:3], s32 offset:1312 ; 4-byte Folded Spill
	v_mov_b32_e32 v1, 0x80
	v_cmp_ne_u16_sdwa s5, v0, v1 src0_sel:BYTE_0 src1_sel:DWORD
	s_and_saveexec_b32 s7, s5
	s_cbranch_execz .LBB232_1105
; %bb.1100:                             ;   in Loop: Header=BB232_10 Depth=1
	v_mov_b32_e32 v3, 0x7f800001
	v_and_b32_e32 v2, 0x7f, v0
	v_mov_b32_e32 v4, 0
	s_mov_b32 s17, exec_lo
	buffer_store_dword v3, off, s[0:3], s32 offset:1308 ; 4-byte Folded Spill
	buffer_store_dword v4, off, s[0:3], s32 offset:1312 ; 4-byte Folded Spill
	v_cmpx_ne_u32_e32 0x7f, v2
	s_cbranch_execz .LBB232_1104
; %bb.1101:                             ;   in Loop: Header=BB232_10 Depth=1
	v_and_b32_e32 v60, 7, v0
	v_lshrrev_b32_e32 v1, 3, v2
	s_mov_b32 s18, exec_lo
	v_cmpx_gt_u32_e32 8, v2
; %bb.1102:                             ;   in Loop: Header=BB232_10 Depth=1
	v_ffbh_u32_e32 v1, v60
	v_min_u32_e32 v1, 32, v1
	v_subrev_nc_u32_e32 v2, 28, v1
	v_sub_nc_u32_e32 v1, 29, v1
	v_lshlrev_b64 v[2:3], v2, v[60:61]
	v_and_b32_e32 v60, 7, v2
; %bb.1103:                             ;   in Loop: Header=BB232_10 Depth=1
	s_or_b32 exec_lo, exec_lo, s18
	v_lshlrev_b32_e32 v2, 24, v0
	v_lshlrev_b32_e32 v3, 20, v60
	v_lshl_add_u32 v1, v1, 23, 0x3c000000
	v_and_b32_e32 v2, 0x80000000, v2
	v_or3_b32 v60, v3, v2, v1
	buffer_store_dword v60, off, s[0:3], s32 offset:1308 ; 4-byte Folded Spill
	buffer_store_dword v61, off, s[0:3], s32 offset:1312 ; 4-byte Folded Spill
.LBB232_1104:                           ;   in Loop: Header=BB232_10 Depth=1
	s_or_b32 exec_lo, exec_lo, s17
.LBB232_1105:                           ;   in Loop: Header=BB232_10 Depth=1
	s_or_b32 exec_lo, exec_lo, s7
.LBB232_1106:                           ;   in Loop: Header=BB232_10 Depth=1
	s_or_b32 exec_lo, exec_lo, s6
	v_cmp_ne_u16_sdwa s5, v0, v61 src0_sel:BYTE_1 src1_sel:DWORD
	s_and_saveexec_b32 s6, s5
	s_cbranch_execz .LBB232_1114
; %bb.1107:                             ;   in Loop: Header=BB232_10 Depth=1
	v_mov_b32_e32 v1, 0x80
	v_mov_b32_e32 v84, v61
	buffer_store_dword v84, off, s[0:3], s32 offset:1284 ; 4-byte Folded Spill
	buffer_store_dword v85, off, s[0:3], s32 offset:1288 ; 4-byte Folded Spill
	v_cmp_ne_u16_sdwa s5, v0, v1 src0_sel:BYTE_1 src1_sel:DWORD
	s_and_saveexec_b32 s7, s5
	s_cbranch_execz .LBB232_1113
; %bb.1108:                             ;   in Loop: Header=BB232_10 Depth=1
	v_mov_b32_e32 v1, 0xffff
	v_mov_b32_e32 v86, v61
	s_mov_b32 s17, exec_lo
	buffer_store_dword v86, off, s[0:3], s32 offset:1284 ; 4-byte Folded Spill
	buffer_store_dword v87, off, s[0:3], s32 offset:1288 ; 4-byte Folded Spill
	v_and_b32_sdwa v1, v1, v0 dst_sel:DWORD dst_unused:UNUSED_PAD src0_sel:DWORD src1_sel:BYTE_1
	v_and_b32_e32 v2, 0x7f, v1
	v_cmpx_ne_u32_e32 0x7f, v2
	s_cbranch_execz .LBB232_1112
; %bb.1109:                             ;   in Loop: Header=BB232_10 Depth=1
	v_and_b32_e32 v60, 7, v1
	v_lshrrev_b32_e32 v1, 3, v2
	s_mov_b32 s18, exec_lo
	v_cmpx_gt_u32_e32 8, v2
; %bb.1110:                             ;   in Loop: Header=BB232_10 Depth=1
	v_ffbh_u32_e32 v1, v60
	v_min_u32_e32 v1, 32, v1
	v_subrev_nc_u32_e32 v2, 28, v1
	v_sub_nc_u32_e32 v1, 29, v1
	v_lshlrev_b64 v[2:3], v2, v[60:61]
	v_and_b32_e32 v60, 7, v2
; %bb.1111:                             ;   in Loop: Header=BB232_10 Depth=1
	s_or_b32 exec_lo, exec_lo, s18
	v_lshlrev_b32_e32 v2, 16, v0
	v_lshlrev_b32_e32 v3, 20, v60
	v_lshl_add_u32 v1, v1, 23, 0x3c000000
	v_and_b32_e32 v2, 0x80000000, v2
	v_or3_b32 v2, v3, v2, v1
	v_mov_b32_e32 v1, v61
	buffer_store_dword v1, off, s[0:3], s32 offset:1284 ; 4-byte Folded Spill
	buffer_store_dword v2, off, s[0:3], s32 offset:1288 ; 4-byte Folded Spill
.LBB232_1112:                           ;   in Loop: Header=BB232_10 Depth=1
	s_or_b32 exec_lo, exec_lo, s17
.LBB232_1113:                           ;   in Loop: Header=BB232_10 Depth=1
	s_or_b32 exec_lo, exec_lo, s7
.LBB232_1114:                           ;   in Loop: Header=BB232_10 Depth=1
	s_or_b32 exec_lo, exec_lo, s6
	v_mov_b32_e32 v2, 0
	v_mov_b32_e32 v3, 0
	;; [unrolled: 1-line block ×3, first 2 shown]
	s_mov_b32 s6, exec_lo
	buffer_store_dword v2, off, s[0:3], s32 offset:1292 ; 4-byte Folded Spill
	buffer_store_dword v3, off, s[0:3], s32 offset:1296 ; 4-byte Folded Spill
	v_mov_b32_e32 v2, 0
	v_and_b32_sdwa v1, v0, v1 dst_sel:DWORD dst_unused:UNUSED_PAD src0_sel:WORD_1 src1_sel:DWORD
	v_mov_b32_e32 v3, 0
	buffer_store_dword v2, off, s[0:3], s32 offset:1300 ; 4-byte Folded Spill
	buffer_store_dword v3, off, s[0:3], s32 offset:1304 ; 4-byte Folded Spill
	v_cmpx_ne_u16_e32 0, v1
	s_cbranch_execz .LBB232_1122
; %bb.1115:                             ;   in Loop: Header=BB232_10 Depth=1
	v_cmp_ne_u16_e64 s5, 0x80, v1
	v_bfrev_b32_e32 v1, 1
	v_mov_b32_e32 v2, 0
	buffer_store_dword v1, off, s[0:3], s32 offset:1300 ; 4-byte Folded Spill
	buffer_store_dword v2, off, s[0:3], s32 offset:1304 ; 4-byte Folded Spill
	s_and_saveexec_b32 s7, s5
	s_cbranch_execz .LBB232_1121
; %bb.1116:                             ;   in Loop: Header=BB232_10 Depth=1
	v_mov_b32_e32 v3, 0x7f800001
	v_bfe_u32 v2, v0, 16, 7
	v_mov_b32_e32 v4, 0
	s_mov_b32 s17, exec_lo
	buffer_store_dword v3, off, s[0:3], s32 offset:1300 ; 4-byte Folded Spill
	buffer_store_dword v4, off, s[0:3], s32 offset:1304 ; 4-byte Folded Spill
	v_cmpx_ne_u32_e32 0x7f, v2
	s_cbranch_execz .LBB232_1120
; %bb.1117:                             ;   in Loop: Header=BB232_10 Depth=1
	v_mov_b32_e32 v1, 7
	s_mov_b32 s18, exec_lo
	v_and_b32_sdwa v60, v0, v1 dst_sel:DWORD dst_unused:UNUSED_PAD src0_sel:WORD_1 src1_sel:DWORD
	v_lshrrev_b32_e32 v1, 3, v2
	v_cmpx_gt_u32_e32 8, v2
; %bb.1118:                             ;   in Loop: Header=BB232_10 Depth=1
	v_ffbh_u32_e32 v1, v60
	v_min_u32_e32 v1, 32, v1
	v_subrev_nc_u32_e32 v2, 28, v1
	v_sub_nc_u32_e32 v1, 29, v1
	v_lshlrev_b64 v[2:3], v2, v[60:61]
	v_and_b32_e32 v60, 7, v2
; %bb.1119:                             ;   in Loop: Header=BB232_10 Depth=1
	s_or_b32 exec_lo, exec_lo, s18
	v_mov_b32_e32 v2, 24
	v_lshlrev_b32_e32 v3, 20, v60
	v_lshl_add_u32 v1, v1, 23, 0x3c000000
	v_lshlrev_b32_sdwa v2, v2, v0 dst_sel:DWORD dst_unused:UNUSED_PAD src0_sel:DWORD src1_sel:WORD_1
	v_and_b32_e32 v2, 0x80000000, v2
	v_or3_b32 v60, v3, v2, v1
	buffer_store_dword v60, off, s[0:3], s32 offset:1300 ; 4-byte Folded Spill
	buffer_store_dword v61, off, s[0:3], s32 offset:1304 ; 4-byte Folded Spill
.LBB232_1120:                           ;   in Loop: Header=BB232_10 Depth=1
	s_or_b32 exec_lo, exec_lo, s17
.LBB232_1121:                           ;   in Loop: Header=BB232_10 Depth=1
	s_or_b32 exec_lo, exec_lo, s7
.LBB232_1122:                           ;   in Loop: Header=BB232_10 Depth=1
	s_or_b32 exec_lo, exec_lo, s6
	s_mov_b32 s6, exec_lo
	v_cmpx_lt_u32_e32 0xffffff, v0
	s_cbranch_execz .LBB232_1130
; %bb.1123:                             ;   in Loop: Header=BB232_10 Depth=1
	v_mov_b32_e32 v1, 0x80
	v_mov_b32_e32 v84, v61
	buffer_store_dword v84, off, s[0:3], s32 offset:1292 ; 4-byte Folded Spill
	buffer_store_dword v85, off, s[0:3], s32 offset:1296 ; 4-byte Folded Spill
	v_cmp_ne_u32_sdwa s5, v0, v1 src0_sel:BYTE_3 src1_sel:DWORD
	s_and_saveexec_b32 s7, s5
	s_cbranch_execz .LBB232_1129
; %bb.1124:                             ;   in Loop: Header=BB232_10 Depth=1
	v_bfe_u32 v2, v0, 24, 7
	v_mov_b32_e32 v86, v61
	s_mov_b32 s17, exec_lo
	buffer_store_dword v86, off, s[0:3], s32 offset:1292 ; 4-byte Folded Spill
	buffer_store_dword v87, off, s[0:3], s32 offset:1296 ; 4-byte Folded Spill
	v_cmpx_ne_u32_e32 0x7f, v2
	s_cbranch_execz .LBB232_1128
; %bb.1125:                             ;   in Loop: Header=BB232_10 Depth=1
	v_mov_b32_e32 v1, 7
	s_mov_b32 s18, exec_lo
	v_and_b32_sdwa v60, v0, v1 dst_sel:DWORD dst_unused:UNUSED_PAD src0_sel:BYTE_3 src1_sel:DWORD
	v_lshrrev_b32_e32 v1, 3, v2
	v_cmpx_gt_u32_e32 8, v2
; %bb.1126:                             ;   in Loop: Header=BB232_10 Depth=1
	v_ffbh_u32_e32 v1, v60
	v_min_u32_e32 v1, 32, v1
	v_subrev_nc_u32_e32 v2, 28, v1
	v_sub_nc_u32_e32 v1, 29, v1
	v_lshlrev_b64 v[2:3], v2, v[60:61]
	v_and_b32_e32 v60, 7, v2
; %bb.1127:                             ;   in Loop: Header=BB232_10 Depth=1
	s_or_b32 exec_lo, exec_lo, s18
	v_mov_b32_e32 v2, 24
	v_lshl_add_u32 v1, v1, 23, 0x3c000000
	v_lshlrev_b32_sdwa v0, v2, v0 dst_sel:DWORD dst_unused:UNUSED_PAD src0_sel:DWORD src1_sel:BYTE_3
	v_lshlrev_b32_e32 v2, 20, v60
	v_and_b32_e32 v0, 0x80000000, v0
	v_or3_b32 v1, v2, v0, v1
	v_mov_b32_e32 v0, v61
	buffer_store_dword v0, off, s[0:3], s32 offset:1292 ; 4-byte Folded Spill
	buffer_store_dword v1, off, s[0:3], s32 offset:1296 ; 4-byte Folded Spill
.LBB232_1128:                           ;   in Loop: Header=BB232_10 Depth=1
	s_or_b32 exec_lo, exec_lo, s17
.LBB232_1129:                           ;   in Loop: Header=BB232_10 Depth=1
	s_or_b32 exec_lo, exec_lo, s7
.LBB232_1130:                           ;   in Loop: Header=BB232_10 Depth=1
	s_or_b32 exec_lo, exec_lo, s6
	flat_load_dword v0, v[52:53] offset:12
	v_mov_b32_e32 v1, 0
	v_mov_b32_e32 v2, 0
	buffer_store_dword v1, off, s[0:3], s32 offset:1316 ; 4-byte Folded Spill
	buffer_store_dword v2, off, s[0:3], s32 offset:1320 ; 4-byte Folded Spill
	v_mov_b32_e32 v1, 0
	v_mov_b32_e32 v2, 0
	buffer_store_dword v1, off, s[0:3], s32 offset:1340 ; 4-byte Folded Spill
	buffer_store_dword v2, off, s[0:3], s32 offset:1344 ; 4-byte Folded Spill
	s_waitcnt vmcnt(0) lgkmcnt(0)
	v_cmp_ne_u16_sdwa s5, v0, v61 src0_sel:BYTE_0 src1_sel:DWORD
	s_and_saveexec_b32 s6, s5
	s_cbranch_execz .LBB232_1138
; %bb.1131:                             ;   in Loop: Header=BB232_10 Depth=1
	v_bfrev_b32_e32 v1, 1
	v_mov_b32_e32 v2, 0
	buffer_store_dword v1, off, s[0:3], s32 offset:1340 ; 4-byte Folded Spill
	buffer_store_dword v2, off, s[0:3], s32 offset:1344 ; 4-byte Folded Spill
	v_mov_b32_e32 v1, 0x80
	v_cmp_ne_u16_sdwa s5, v0, v1 src0_sel:BYTE_0 src1_sel:DWORD
	s_and_saveexec_b32 s7, s5
	s_cbranch_execz .LBB232_1137
; %bb.1132:                             ;   in Loop: Header=BB232_10 Depth=1
	v_mov_b32_e32 v3, 0x7f800001
	v_and_b32_e32 v2, 0x7f, v0
	v_mov_b32_e32 v4, 0
	s_mov_b32 s17, exec_lo
	buffer_store_dword v3, off, s[0:3], s32 offset:1340 ; 4-byte Folded Spill
	buffer_store_dword v4, off, s[0:3], s32 offset:1344 ; 4-byte Folded Spill
	v_cmpx_ne_u32_e32 0x7f, v2
	s_cbranch_execz .LBB232_1136
; %bb.1133:                             ;   in Loop: Header=BB232_10 Depth=1
	v_and_b32_e32 v60, 7, v0
	v_lshrrev_b32_e32 v1, 3, v2
	s_mov_b32 s18, exec_lo
	v_cmpx_gt_u32_e32 8, v2
; %bb.1134:                             ;   in Loop: Header=BB232_10 Depth=1
	v_ffbh_u32_e32 v1, v60
	v_min_u32_e32 v1, 32, v1
	v_subrev_nc_u32_e32 v2, 28, v1
	v_sub_nc_u32_e32 v1, 29, v1
	v_lshlrev_b64 v[2:3], v2, v[60:61]
	v_and_b32_e32 v60, 7, v2
; %bb.1135:                             ;   in Loop: Header=BB232_10 Depth=1
	s_or_b32 exec_lo, exec_lo, s18
	v_lshlrev_b32_e32 v2, 24, v0
	v_lshlrev_b32_e32 v3, 20, v60
	v_lshl_add_u32 v1, v1, 23, 0x3c000000
	v_and_b32_e32 v2, 0x80000000, v2
	v_or3_b32 v60, v3, v2, v1
	buffer_store_dword v60, off, s[0:3], s32 offset:1340 ; 4-byte Folded Spill
	buffer_store_dword v61, off, s[0:3], s32 offset:1344 ; 4-byte Folded Spill
.LBB232_1136:                           ;   in Loop: Header=BB232_10 Depth=1
	s_or_b32 exec_lo, exec_lo, s17
.LBB232_1137:                           ;   in Loop: Header=BB232_10 Depth=1
	s_or_b32 exec_lo, exec_lo, s7
.LBB232_1138:                           ;   in Loop: Header=BB232_10 Depth=1
	s_or_b32 exec_lo, exec_lo, s6
	v_cmp_ne_u16_sdwa s5, v0, v61 src0_sel:BYTE_1 src1_sel:DWORD
	s_and_saveexec_b32 s6, s5
	s_cbranch_execz .LBB232_1146
; %bb.1139:                             ;   in Loop: Header=BB232_10 Depth=1
	v_mov_b32_e32 v1, 0x80
	v_mov_b32_e32 v84, v61
	buffer_store_dword v84, off, s[0:3], s32 offset:1316 ; 4-byte Folded Spill
	buffer_store_dword v85, off, s[0:3], s32 offset:1320 ; 4-byte Folded Spill
	v_cmp_ne_u16_sdwa s5, v0, v1 src0_sel:BYTE_1 src1_sel:DWORD
	s_and_saveexec_b32 s7, s5
	s_cbranch_execz .LBB232_1145
; %bb.1140:                             ;   in Loop: Header=BB232_10 Depth=1
	v_mov_b32_e32 v1, 0xffff
	v_mov_b32_e32 v86, v61
	s_mov_b32 s17, exec_lo
	buffer_store_dword v86, off, s[0:3], s32 offset:1316 ; 4-byte Folded Spill
	buffer_store_dword v87, off, s[0:3], s32 offset:1320 ; 4-byte Folded Spill
	v_and_b32_sdwa v1, v1, v0 dst_sel:DWORD dst_unused:UNUSED_PAD src0_sel:DWORD src1_sel:BYTE_1
	v_and_b32_e32 v2, 0x7f, v1
	v_cmpx_ne_u32_e32 0x7f, v2
	s_cbranch_execz .LBB232_1144
; %bb.1141:                             ;   in Loop: Header=BB232_10 Depth=1
	v_and_b32_e32 v60, 7, v1
	v_lshrrev_b32_e32 v1, 3, v2
	s_mov_b32 s18, exec_lo
	v_cmpx_gt_u32_e32 8, v2
; %bb.1142:                             ;   in Loop: Header=BB232_10 Depth=1
	v_ffbh_u32_e32 v1, v60
	v_min_u32_e32 v1, 32, v1
	v_subrev_nc_u32_e32 v2, 28, v1
	v_sub_nc_u32_e32 v1, 29, v1
	v_lshlrev_b64 v[2:3], v2, v[60:61]
	v_and_b32_e32 v60, 7, v2
; %bb.1143:                             ;   in Loop: Header=BB232_10 Depth=1
	s_or_b32 exec_lo, exec_lo, s18
	v_lshlrev_b32_e32 v2, 16, v0
	v_lshlrev_b32_e32 v3, 20, v60
	v_lshl_add_u32 v1, v1, 23, 0x3c000000
	v_and_b32_e32 v2, 0x80000000, v2
	v_or3_b32 v2, v3, v2, v1
	v_mov_b32_e32 v1, v61
	buffer_store_dword v1, off, s[0:3], s32 offset:1316 ; 4-byte Folded Spill
	buffer_store_dword v2, off, s[0:3], s32 offset:1320 ; 4-byte Folded Spill
.LBB232_1144:                           ;   in Loop: Header=BB232_10 Depth=1
	s_or_b32 exec_lo, exec_lo, s17
.LBB232_1145:                           ;   in Loop: Header=BB232_10 Depth=1
	s_or_b32 exec_lo, exec_lo, s7
.LBB232_1146:                           ;   in Loop: Header=BB232_10 Depth=1
	s_or_b32 exec_lo, exec_lo, s6
	v_mov_b32_e32 v2, 0
	v_mov_b32_e32 v3, 0
	;; [unrolled: 1-line block ×3, first 2 shown]
	s_mov_b32 s6, exec_lo
	buffer_store_dword v2, off, s[0:3], s32 offset:1324 ; 4-byte Folded Spill
	buffer_store_dword v3, off, s[0:3], s32 offset:1328 ; 4-byte Folded Spill
	v_mov_b32_e32 v2, 0
	v_and_b32_sdwa v1, v0, v1 dst_sel:DWORD dst_unused:UNUSED_PAD src0_sel:WORD_1 src1_sel:DWORD
	v_mov_b32_e32 v3, 0
	buffer_store_dword v2, off, s[0:3], s32 offset:1332 ; 4-byte Folded Spill
	buffer_store_dword v3, off, s[0:3], s32 offset:1336 ; 4-byte Folded Spill
	v_cmpx_ne_u16_e32 0, v1
	s_cbranch_execz .LBB232_1154
; %bb.1147:                             ;   in Loop: Header=BB232_10 Depth=1
	v_cmp_ne_u16_e64 s5, 0x80, v1
	v_bfrev_b32_e32 v1, 1
	v_mov_b32_e32 v2, 0
	buffer_store_dword v1, off, s[0:3], s32 offset:1332 ; 4-byte Folded Spill
	buffer_store_dword v2, off, s[0:3], s32 offset:1336 ; 4-byte Folded Spill
	s_and_saveexec_b32 s7, s5
	s_cbranch_execz .LBB232_1153
; %bb.1148:                             ;   in Loop: Header=BB232_10 Depth=1
	v_mov_b32_e32 v3, 0x7f800001
	v_bfe_u32 v2, v0, 16, 7
	v_mov_b32_e32 v4, 0
	s_mov_b32 s17, exec_lo
	buffer_store_dword v3, off, s[0:3], s32 offset:1332 ; 4-byte Folded Spill
	buffer_store_dword v4, off, s[0:3], s32 offset:1336 ; 4-byte Folded Spill
	v_cmpx_ne_u32_e32 0x7f, v2
	s_cbranch_execz .LBB232_1152
; %bb.1149:                             ;   in Loop: Header=BB232_10 Depth=1
	v_mov_b32_e32 v1, 7
	s_mov_b32 s18, exec_lo
	v_and_b32_sdwa v60, v0, v1 dst_sel:DWORD dst_unused:UNUSED_PAD src0_sel:WORD_1 src1_sel:DWORD
	v_lshrrev_b32_e32 v1, 3, v2
	v_cmpx_gt_u32_e32 8, v2
; %bb.1150:                             ;   in Loop: Header=BB232_10 Depth=1
	v_ffbh_u32_e32 v1, v60
	v_min_u32_e32 v1, 32, v1
	v_subrev_nc_u32_e32 v2, 28, v1
	v_sub_nc_u32_e32 v1, 29, v1
	v_lshlrev_b64 v[2:3], v2, v[60:61]
	v_and_b32_e32 v60, 7, v2
; %bb.1151:                             ;   in Loop: Header=BB232_10 Depth=1
	s_or_b32 exec_lo, exec_lo, s18
	v_mov_b32_e32 v2, 24
	v_lshlrev_b32_e32 v3, 20, v60
	v_lshl_add_u32 v1, v1, 23, 0x3c000000
	v_lshlrev_b32_sdwa v2, v2, v0 dst_sel:DWORD dst_unused:UNUSED_PAD src0_sel:DWORD src1_sel:WORD_1
	v_and_b32_e32 v2, 0x80000000, v2
	v_or3_b32 v60, v3, v2, v1
	buffer_store_dword v60, off, s[0:3], s32 offset:1332 ; 4-byte Folded Spill
	buffer_store_dword v61, off, s[0:3], s32 offset:1336 ; 4-byte Folded Spill
.LBB232_1152:                           ;   in Loop: Header=BB232_10 Depth=1
	s_or_b32 exec_lo, exec_lo, s17
.LBB232_1153:                           ;   in Loop: Header=BB232_10 Depth=1
	s_or_b32 exec_lo, exec_lo, s7
.LBB232_1154:                           ;   in Loop: Header=BB232_10 Depth=1
	s_or_b32 exec_lo, exec_lo, s6
	s_mov_b32 s6, exec_lo
	v_cmpx_lt_u32_e32 0xffffff, v0
	s_cbranch_execz .LBB232_1162
; %bb.1155:                             ;   in Loop: Header=BB232_10 Depth=1
	v_mov_b32_e32 v1, 0x80
	v_mov_b32_e32 v84, v61
	buffer_store_dword v84, off, s[0:3], s32 offset:1324 ; 4-byte Folded Spill
	buffer_store_dword v85, off, s[0:3], s32 offset:1328 ; 4-byte Folded Spill
	v_cmp_ne_u32_sdwa s5, v0, v1 src0_sel:BYTE_3 src1_sel:DWORD
	s_and_saveexec_b32 s7, s5
	s_cbranch_execz .LBB232_1161
; %bb.1156:                             ;   in Loop: Header=BB232_10 Depth=1
	v_bfe_u32 v2, v0, 24, 7
	v_mov_b32_e32 v86, v61
	s_mov_b32 s17, exec_lo
	buffer_store_dword v86, off, s[0:3], s32 offset:1324 ; 4-byte Folded Spill
	buffer_store_dword v87, off, s[0:3], s32 offset:1328 ; 4-byte Folded Spill
	v_cmpx_ne_u32_e32 0x7f, v2
	s_cbranch_execz .LBB232_1160
; %bb.1157:                             ;   in Loop: Header=BB232_10 Depth=1
	v_mov_b32_e32 v1, 7
	s_mov_b32 s18, exec_lo
	v_and_b32_sdwa v60, v0, v1 dst_sel:DWORD dst_unused:UNUSED_PAD src0_sel:BYTE_3 src1_sel:DWORD
	v_lshrrev_b32_e32 v1, 3, v2
	v_cmpx_gt_u32_e32 8, v2
; %bb.1158:                             ;   in Loop: Header=BB232_10 Depth=1
	v_ffbh_u32_e32 v1, v60
	v_min_u32_e32 v1, 32, v1
	v_subrev_nc_u32_e32 v2, 28, v1
	v_sub_nc_u32_e32 v1, 29, v1
	v_lshlrev_b64 v[2:3], v2, v[60:61]
	v_and_b32_e32 v60, 7, v2
; %bb.1159:                             ;   in Loop: Header=BB232_10 Depth=1
	s_or_b32 exec_lo, exec_lo, s18
	v_mov_b32_e32 v2, 24
	v_lshl_add_u32 v1, v1, 23, 0x3c000000
	v_lshlrev_b32_sdwa v0, v2, v0 dst_sel:DWORD dst_unused:UNUSED_PAD src0_sel:DWORD src1_sel:BYTE_3
	v_lshlrev_b32_e32 v2, 20, v60
	v_and_b32_e32 v0, 0x80000000, v0
	v_or3_b32 v1, v2, v0, v1
	v_mov_b32_e32 v0, v61
	buffer_store_dword v0, off, s[0:3], s32 offset:1324 ; 4-byte Folded Spill
	buffer_store_dword v1, off, s[0:3], s32 offset:1328 ; 4-byte Folded Spill
.LBB232_1160:                           ;   in Loop: Header=BB232_10 Depth=1
	s_or_b32 exec_lo, exec_lo, s17
.LBB232_1161:                           ;   in Loop: Header=BB232_10 Depth=1
	s_or_b32 exec_lo, exec_lo, s7
.LBB232_1162:                           ;   in Loop: Header=BB232_10 Depth=1
	s_or_b32 exec_lo, exec_lo, s6
	flat_load_dword v0, v[52:53] offset:512
	v_mov_b32_e32 v1, 0
	v_mov_b32_e32 v2, 0
	buffer_store_dword v1, off, s[0:3], s32 offset:1348 ; 4-byte Folded Spill
	buffer_store_dword v2, off, s[0:3], s32 offset:1352 ; 4-byte Folded Spill
	v_mov_b32_e32 v1, 0
	v_mov_b32_e32 v2, 0
	buffer_store_dword v1, off, s[0:3], s32 offset:1372 ; 4-byte Folded Spill
	buffer_store_dword v2, off, s[0:3], s32 offset:1376 ; 4-byte Folded Spill
	s_waitcnt vmcnt(0) lgkmcnt(0)
	v_cmp_ne_u16_sdwa s5, v0, v61 src0_sel:BYTE_0 src1_sel:DWORD
	s_and_saveexec_b32 s6, s5
	s_cbranch_execz .LBB232_1170
; %bb.1163:                             ;   in Loop: Header=BB232_10 Depth=1
	v_bfrev_b32_e32 v1, 1
	v_mov_b32_e32 v2, 0
	buffer_store_dword v1, off, s[0:3], s32 offset:1372 ; 4-byte Folded Spill
	buffer_store_dword v2, off, s[0:3], s32 offset:1376 ; 4-byte Folded Spill
	v_mov_b32_e32 v1, 0x80
	v_cmp_ne_u16_sdwa s5, v0, v1 src0_sel:BYTE_0 src1_sel:DWORD
	s_and_saveexec_b32 s7, s5
	s_cbranch_execz .LBB232_1169
; %bb.1164:                             ;   in Loop: Header=BB232_10 Depth=1
	v_mov_b32_e32 v3, 0x7f800001
	v_and_b32_e32 v2, 0x7f, v0
	v_mov_b32_e32 v4, 0
	s_mov_b32 s17, exec_lo
	buffer_store_dword v3, off, s[0:3], s32 offset:1372 ; 4-byte Folded Spill
	buffer_store_dword v4, off, s[0:3], s32 offset:1376 ; 4-byte Folded Spill
	v_cmpx_ne_u32_e32 0x7f, v2
	s_cbranch_execz .LBB232_1168
; %bb.1165:                             ;   in Loop: Header=BB232_10 Depth=1
	v_and_b32_e32 v60, 7, v0
	v_lshrrev_b32_e32 v1, 3, v2
	s_mov_b32 s18, exec_lo
	v_cmpx_gt_u32_e32 8, v2
; %bb.1166:                             ;   in Loop: Header=BB232_10 Depth=1
	v_ffbh_u32_e32 v1, v60
	v_min_u32_e32 v1, 32, v1
	v_subrev_nc_u32_e32 v2, 28, v1
	v_sub_nc_u32_e32 v1, 29, v1
	v_lshlrev_b64 v[2:3], v2, v[60:61]
	v_and_b32_e32 v60, 7, v2
; %bb.1167:                             ;   in Loop: Header=BB232_10 Depth=1
	s_or_b32 exec_lo, exec_lo, s18
	v_lshlrev_b32_e32 v2, 24, v0
	v_lshlrev_b32_e32 v3, 20, v60
	v_lshl_add_u32 v1, v1, 23, 0x3c000000
	v_and_b32_e32 v2, 0x80000000, v2
	v_or3_b32 v60, v3, v2, v1
	buffer_store_dword v60, off, s[0:3], s32 offset:1372 ; 4-byte Folded Spill
	buffer_store_dword v61, off, s[0:3], s32 offset:1376 ; 4-byte Folded Spill
.LBB232_1168:                           ;   in Loop: Header=BB232_10 Depth=1
	s_or_b32 exec_lo, exec_lo, s17
.LBB232_1169:                           ;   in Loop: Header=BB232_10 Depth=1
	s_or_b32 exec_lo, exec_lo, s7
.LBB232_1170:                           ;   in Loop: Header=BB232_10 Depth=1
	s_or_b32 exec_lo, exec_lo, s6
	v_cmp_ne_u16_sdwa s5, v0, v61 src0_sel:BYTE_1 src1_sel:DWORD
	s_and_saveexec_b32 s6, s5
	s_cbranch_execz .LBB232_1178
; %bb.1171:                             ;   in Loop: Header=BB232_10 Depth=1
	v_mov_b32_e32 v1, 0x80
	v_mov_b32_e32 v84, v61
	buffer_store_dword v84, off, s[0:3], s32 offset:1348 ; 4-byte Folded Spill
	buffer_store_dword v85, off, s[0:3], s32 offset:1352 ; 4-byte Folded Spill
	v_cmp_ne_u16_sdwa s5, v0, v1 src0_sel:BYTE_1 src1_sel:DWORD
	s_and_saveexec_b32 s7, s5
	s_cbranch_execz .LBB232_1177
; %bb.1172:                             ;   in Loop: Header=BB232_10 Depth=1
	v_mov_b32_e32 v1, 0xffff
	v_mov_b32_e32 v86, v61
	s_mov_b32 s17, exec_lo
	buffer_store_dword v86, off, s[0:3], s32 offset:1348 ; 4-byte Folded Spill
	buffer_store_dword v87, off, s[0:3], s32 offset:1352 ; 4-byte Folded Spill
	v_and_b32_sdwa v1, v1, v0 dst_sel:DWORD dst_unused:UNUSED_PAD src0_sel:DWORD src1_sel:BYTE_1
	v_and_b32_e32 v2, 0x7f, v1
	v_cmpx_ne_u32_e32 0x7f, v2
	s_cbranch_execz .LBB232_1176
; %bb.1173:                             ;   in Loop: Header=BB232_10 Depth=1
	v_and_b32_e32 v60, 7, v1
	v_lshrrev_b32_e32 v1, 3, v2
	s_mov_b32 s18, exec_lo
	v_cmpx_gt_u32_e32 8, v2
; %bb.1174:                             ;   in Loop: Header=BB232_10 Depth=1
	v_ffbh_u32_e32 v1, v60
	v_min_u32_e32 v1, 32, v1
	v_subrev_nc_u32_e32 v2, 28, v1
	v_sub_nc_u32_e32 v1, 29, v1
	v_lshlrev_b64 v[2:3], v2, v[60:61]
	v_and_b32_e32 v60, 7, v2
; %bb.1175:                             ;   in Loop: Header=BB232_10 Depth=1
	s_or_b32 exec_lo, exec_lo, s18
	v_lshlrev_b32_e32 v2, 16, v0
	v_lshlrev_b32_e32 v3, 20, v60
	v_lshl_add_u32 v1, v1, 23, 0x3c000000
	v_and_b32_e32 v2, 0x80000000, v2
	v_or3_b32 v2, v3, v2, v1
	v_mov_b32_e32 v1, v61
	buffer_store_dword v1, off, s[0:3], s32 offset:1348 ; 4-byte Folded Spill
	buffer_store_dword v2, off, s[0:3], s32 offset:1352 ; 4-byte Folded Spill
.LBB232_1176:                           ;   in Loop: Header=BB232_10 Depth=1
	s_or_b32 exec_lo, exec_lo, s17
.LBB232_1177:                           ;   in Loop: Header=BB232_10 Depth=1
	s_or_b32 exec_lo, exec_lo, s7
.LBB232_1178:                           ;   in Loop: Header=BB232_10 Depth=1
	s_or_b32 exec_lo, exec_lo, s6
	v_mov_b32_e32 v2, 0
	v_mov_b32_e32 v3, 0
	;; [unrolled: 1-line block ×3, first 2 shown]
	s_mov_b32 s6, exec_lo
	buffer_store_dword v2, off, s[0:3], s32 offset:1356 ; 4-byte Folded Spill
	buffer_store_dword v3, off, s[0:3], s32 offset:1360 ; 4-byte Folded Spill
	v_mov_b32_e32 v2, 0
	v_and_b32_sdwa v1, v0, v1 dst_sel:DWORD dst_unused:UNUSED_PAD src0_sel:WORD_1 src1_sel:DWORD
	v_mov_b32_e32 v3, 0
	buffer_store_dword v2, off, s[0:3], s32 offset:1364 ; 4-byte Folded Spill
	buffer_store_dword v3, off, s[0:3], s32 offset:1368 ; 4-byte Folded Spill
	v_cmpx_ne_u16_e32 0, v1
	s_cbranch_execz .LBB232_1186
; %bb.1179:                             ;   in Loop: Header=BB232_10 Depth=1
	v_cmp_ne_u16_e64 s5, 0x80, v1
	v_bfrev_b32_e32 v1, 1
	v_mov_b32_e32 v2, 0
	buffer_store_dword v1, off, s[0:3], s32 offset:1364 ; 4-byte Folded Spill
	buffer_store_dword v2, off, s[0:3], s32 offset:1368 ; 4-byte Folded Spill
	s_and_saveexec_b32 s7, s5
	s_cbranch_execz .LBB232_1185
; %bb.1180:                             ;   in Loop: Header=BB232_10 Depth=1
	v_mov_b32_e32 v3, 0x7f800001
	v_bfe_u32 v2, v0, 16, 7
	v_mov_b32_e32 v4, 0
	s_mov_b32 s17, exec_lo
	buffer_store_dword v3, off, s[0:3], s32 offset:1364 ; 4-byte Folded Spill
	buffer_store_dword v4, off, s[0:3], s32 offset:1368 ; 4-byte Folded Spill
	v_cmpx_ne_u32_e32 0x7f, v2
	s_cbranch_execz .LBB232_1184
; %bb.1181:                             ;   in Loop: Header=BB232_10 Depth=1
	v_mov_b32_e32 v1, 7
	s_mov_b32 s18, exec_lo
	v_and_b32_sdwa v60, v0, v1 dst_sel:DWORD dst_unused:UNUSED_PAD src0_sel:WORD_1 src1_sel:DWORD
	v_lshrrev_b32_e32 v1, 3, v2
	v_cmpx_gt_u32_e32 8, v2
; %bb.1182:                             ;   in Loop: Header=BB232_10 Depth=1
	v_ffbh_u32_e32 v1, v60
	v_min_u32_e32 v1, 32, v1
	v_subrev_nc_u32_e32 v2, 28, v1
	v_sub_nc_u32_e32 v1, 29, v1
	v_lshlrev_b64 v[2:3], v2, v[60:61]
	v_and_b32_e32 v60, 7, v2
; %bb.1183:                             ;   in Loop: Header=BB232_10 Depth=1
	s_or_b32 exec_lo, exec_lo, s18
	v_mov_b32_e32 v2, 24
	v_lshlrev_b32_e32 v3, 20, v60
	v_lshl_add_u32 v1, v1, 23, 0x3c000000
	v_lshlrev_b32_sdwa v2, v2, v0 dst_sel:DWORD dst_unused:UNUSED_PAD src0_sel:DWORD src1_sel:WORD_1
	v_and_b32_e32 v2, 0x80000000, v2
	v_or3_b32 v60, v3, v2, v1
	buffer_store_dword v60, off, s[0:3], s32 offset:1364 ; 4-byte Folded Spill
	buffer_store_dword v61, off, s[0:3], s32 offset:1368 ; 4-byte Folded Spill
.LBB232_1184:                           ;   in Loop: Header=BB232_10 Depth=1
	s_or_b32 exec_lo, exec_lo, s17
.LBB232_1185:                           ;   in Loop: Header=BB232_10 Depth=1
	s_or_b32 exec_lo, exec_lo, s7
.LBB232_1186:                           ;   in Loop: Header=BB232_10 Depth=1
	s_or_b32 exec_lo, exec_lo, s6
	s_mov_b32 s6, exec_lo
	v_cmpx_lt_u32_e32 0xffffff, v0
	s_cbranch_execz .LBB232_1194
; %bb.1187:                             ;   in Loop: Header=BB232_10 Depth=1
	v_mov_b32_e32 v1, 0x80
	v_mov_b32_e32 v84, v61
	buffer_store_dword v84, off, s[0:3], s32 offset:1356 ; 4-byte Folded Spill
	buffer_store_dword v85, off, s[0:3], s32 offset:1360 ; 4-byte Folded Spill
	v_cmp_ne_u32_sdwa s5, v0, v1 src0_sel:BYTE_3 src1_sel:DWORD
	s_and_saveexec_b32 s7, s5
	s_cbranch_execz .LBB232_1193
; %bb.1188:                             ;   in Loop: Header=BB232_10 Depth=1
	v_bfe_u32 v2, v0, 24, 7
	v_mov_b32_e32 v86, v61
	s_mov_b32 s17, exec_lo
	buffer_store_dword v86, off, s[0:3], s32 offset:1356 ; 4-byte Folded Spill
	buffer_store_dword v87, off, s[0:3], s32 offset:1360 ; 4-byte Folded Spill
	v_cmpx_ne_u32_e32 0x7f, v2
	s_cbranch_execz .LBB232_1192
; %bb.1189:                             ;   in Loop: Header=BB232_10 Depth=1
	v_mov_b32_e32 v1, 7
	s_mov_b32 s18, exec_lo
	v_and_b32_sdwa v60, v0, v1 dst_sel:DWORD dst_unused:UNUSED_PAD src0_sel:BYTE_3 src1_sel:DWORD
	v_lshrrev_b32_e32 v1, 3, v2
	v_cmpx_gt_u32_e32 8, v2
; %bb.1190:                             ;   in Loop: Header=BB232_10 Depth=1
	v_ffbh_u32_e32 v1, v60
	v_min_u32_e32 v1, 32, v1
	v_subrev_nc_u32_e32 v2, 28, v1
	v_sub_nc_u32_e32 v1, 29, v1
	v_lshlrev_b64 v[2:3], v2, v[60:61]
	v_and_b32_e32 v60, 7, v2
; %bb.1191:                             ;   in Loop: Header=BB232_10 Depth=1
	s_or_b32 exec_lo, exec_lo, s18
	v_mov_b32_e32 v2, 24
	v_lshl_add_u32 v1, v1, 23, 0x3c000000
	v_lshlrev_b32_sdwa v0, v2, v0 dst_sel:DWORD dst_unused:UNUSED_PAD src0_sel:DWORD src1_sel:BYTE_3
	v_lshlrev_b32_e32 v2, 20, v60
	v_and_b32_e32 v0, 0x80000000, v0
	v_or3_b32 v1, v2, v0, v1
	v_mov_b32_e32 v0, v61
	buffer_store_dword v0, off, s[0:3], s32 offset:1356 ; 4-byte Folded Spill
	buffer_store_dword v1, off, s[0:3], s32 offset:1360 ; 4-byte Folded Spill
.LBB232_1192:                           ;   in Loop: Header=BB232_10 Depth=1
	s_or_b32 exec_lo, exec_lo, s17
.LBB232_1193:                           ;   in Loop: Header=BB232_10 Depth=1
	s_or_b32 exec_lo, exec_lo, s7
.LBB232_1194:                           ;   in Loop: Header=BB232_10 Depth=1
	s_or_b32 exec_lo, exec_lo, s6
	flat_load_dword v0, v[52:53] offset:516
	v_mov_b32_e32 v1, 0
	v_mov_b32_e32 v2, 0
	buffer_store_dword v1, off, s[0:3], s32 offset:1380 ; 4-byte Folded Spill
	buffer_store_dword v2, off, s[0:3], s32 offset:1384 ; 4-byte Folded Spill
	v_mov_b32_e32 v1, 0
	v_mov_b32_e32 v2, 0
	buffer_store_dword v1, off, s[0:3], s32 offset:1404 ; 4-byte Folded Spill
	buffer_store_dword v2, off, s[0:3], s32 offset:1408 ; 4-byte Folded Spill
	s_waitcnt vmcnt(0) lgkmcnt(0)
	v_cmp_ne_u16_sdwa s5, v0, v61 src0_sel:BYTE_0 src1_sel:DWORD
	s_and_saveexec_b32 s6, s5
	s_cbranch_execz .LBB232_1202
; %bb.1195:                             ;   in Loop: Header=BB232_10 Depth=1
	v_bfrev_b32_e32 v1, 1
	v_mov_b32_e32 v2, 0
	buffer_store_dword v1, off, s[0:3], s32 offset:1404 ; 4-byte Folded Spill
	buffer_store_dword v2, off, s[0:3], s32 offset:1408 ; 4-byte Folded Spill
	v_mov_b32_e32 v1, 0x80
	v_cmp_ne_u16_sdwa s5, v0, v1 src0_sel:BYTE_0 src1_sel:DWORD
	s_and_saveexec_b32 s7, s5
	s_cbranch_execz .LBB232_1201
; %bb.1196:                             ;   in Loop: Header=BB232_10 Depth=1
	v_mov_b32_e32 v3, 0x7f800001
	v_and_b32_e32 v2, 0x7f, v0
	v_mov_b32_e32 v4, 0
	s_mov_b32 s17, exec_lo
	buffer_store_dword v3, off, s[0:3], s32 offset:1404 ; 4-byte Folded Spill
	buffer_store_dword v4, off, s[0:3], s32 offset:1408 ; 4-byte Folded Spill
	v_cmpx_ne_u32_e32 0x7f, v2
	s_cbranch_execz .LBB232_1200
; %bb.1197:                             ;   in Loop: Header=BB232_10 Depth=1
	v_and_b32_e32 v60, 7, v0
	v_lshrrev_b32_e32 v1, 3, v2
	s_mov_b32 s18, exec_lo
	v_cmpx_gt_u32_e32 8, v2
; %bb.1198:                             ;   in Loop: Header=BB232_10 Depth=1
	v_ffbh_u32_e32 v1, v60
	v_min_u32_e32 v1, 32, v1
	v_subrev_nc_u32_e32 v2, 28, v1
	v_sub_nc_u32_e32 v1, 29, v1
	v_lshlrev_b64 v[2:3], v2, v[60:61]
	v_and_b32_e32 v60, 7, v2
; %bb.1199:                             ;   in Loop: Header=BB232_10 Depth=1
	s_or_b32 exec_lo, exec_lo, s18
	v_lshlrev_b32_e32 v2, 24, v0
	v_lshlrev_b32_e32 v3, 20, v60
	v_lshl_add_u32 v1, v1, 23, 0x3c000000
	v_and_b32_e32 v2, 0x80000000, v2
	v_or3_b32 v60, v3, v2, v1
	buffer_store_dword v60, off, s[0:3], s32 offset:1404 ; 4-byte Folded Spill
	buffer_store_dword v61, off, s[0:3], s32 offset:1408 ; 4-byte Folded Spill
.LBB232_1200:                           ;   in Loop: Header=BB232_10 Depth=1
	s_or_b32 exec_lo, exec_lo, s17
.LBB232_1201:                           ;   in Loop: Header=BB232_10 Depth=1
	s_or_b32 exec_lo, exec_lo, s7
.LBB232_1202:                           ;   in Loop: Header=BB232_10 Depth=1
	s_or_b32 exec_lo, exec_lo, s6
	v_cmp_ne_u16_sdwa s5, v0, v61 src0_sel:BYTE_1 src1_sel:DWORD
	s_and_saveexec_b32 s6, s5
	s_cbranch_execz .LBB232_1210
; %bb.1203:                             ;   in Loop: Header=BB232_10 Depth=1
	v_mov_b32_e32 v1, 0x80
	v_mov_b32_e32 v84, v61
	buffer_store_dword v84, off, s[0:3], s32 offset:1380 ; 4-byte Folded Spill
	buffer_store_dword v85, off, s[0:3], s32 offset:1384 ; 4-byte Folded Spill
	v_cmp_ne_u16_sdwa s5, v0, v1 src0_sel:BYTE_1 src1_sel:DWORD
	s_and_saveexec_b32 s7, s5
	s_cbranch_execz .LBB232_1209
; %bb.1204:                             ;   in Loop: Header=BB232_10 Depth=1
	v_mov_b32_e32 v1, 0xffff
	v_mov_b32_e32 v86, v61
	s_mov_b32 s17, exec_lo
	buffer_store_dword v86, off, s[0:3], s32 offset:1380 ; 4-byte Folded Spill
	buffer_store_dword v87, off, s[0:3], s32 offset:1384 ; 4-byte Folded Spill
	v_and_b32_sdwa v1, v1, v0 dst_sel:DWORD dst_unused:UNUSED_PAD src0_sel:DWORD src1_sel:BYTE_1
	v_and_b32_e32 v2, 0x7f, v1
	v_cmpx_ne_u32_e32 0x7f, v2
	s_cbranch_execz .LBB232_1208
; %bb.1205:                             ;   in Loop: Header=BB232_10 Depth=1
	v_and_b32_e32 v60, 7, v1
	v_lshrrev_b32_e32 v1, 3, v2
	s_mov_b32 s18, exec_lo
	v_cmpx_gt_u32_e32 8, v2
; %bb.1206:                             ;   in Loop: Header=BB232_10 Depth=1
	v_ffbh_u32_e32 v1, v60
	v_min_u32_e32 v1, 32, v1
	v_subrev_nc_u32_e32 v2, 28, v1
	v_sub_nc_u32_e32 v1, 29, v1
	v_lshlrev_b64 v[2:3], v2, v[60:61]
	v_and_b32_e32 v60, 7, v2
; %bb.1207:                             ;   in Loop: Header=BB232_10 Depth=1
	s_or_b32 exec_lo, exec_lo, s18
	v_lshlrev_b32_e32 v2, 16, v0
	v_lshlrev_b32_e32 v3, 20, v60
	v_lshl_add_u32 v1, v1, 23, 0x3c000000
	v_and_b32_e32 v2, 0x80000000, v2
	v_or3_b32 v2, v3, v2, v1
	v_mov_b32_e32 v1, v61
	buffer_store_dword v1, off, s[0:3], s32 offset:1380 ; 4-byte Folded Spill
	buffer_store_dword v2, off, s[0:3], s32 offset:1384 ; 4-byte Folded Spill
.LBB232_1208:                           ;   in Loop: Header=BB232_10 Depth=1
	s_or_b32 exec_lo, exec_lo, s17
.LBB232_1209:                           ;   in Loop: Header=BB232_10 Depth=1
	s_or_b32 exec_lo, exec_lo, s7
.LBB232_1210:                           ;   in Loop: Header=BB232_10 Depth=1
	s_or_b32 exec_lo, exec_lo, s6
	v_mov_b32_e32 v2, 0
	v_mov_b32_e32 v3, 0
	;; [unrolled: 1-line block ×3, first 2 shown]
	s_mov_b32 s6, exec_lo
	buffer_store_dword v2, off, s[0:3], s32 offset:1388 ; 4-byte Folded Spill
	buffer_store_dword v3, off, s[0:3], s32 offset:1392 ; 4-byte Folded Spill
	v_mov_b32_e32 v2, 0
	v_and_b32_sdwa v1, v0, v1 dst_sel:DWORD dst_unused:UNUSED_PAD src0_sel:WORD_1 src1_sel:DWORD
	v_mov_b32_e32 v3, 0
	buffer_store_dword v2, off, s[0:3], s32 offset:1396 ; 4-byte Folded Spill
	buffer_store_dword v3, off, s[0:3], s32 offset:1400 ; 4-byte Folded Spill
	v_cmpx_ne_u16_e32 0, v1
	s_cbranch_execz .LBB232_1218
; %bb.1211:                             ;   in Loop: Header=BB232_10 Depth=1
	v_cmp_ne_u16_e64 s5, 0x80, v1
	v_bfrev_b32_e32 v1, 1
	v_mov_b32_e32 v2, 0
	buffer_store_dword v1, off, s[0:3], s32 offset:1396 ; 4-byte Folded Spill
	buffer_store_dword v2, off, s[0:3], s32 offset:1400 ; 4-byte Folded Spill
	s_and_saveexec_b32 s7, s5
	s_cbranch_execz .LBB232_1217
; %bb.1212:                             ;   in Loop: Header=BB232_10 Depth=1
	v_mov_b32_e32 v3, 0x7f800001
	v_bfe_u32 v2, v0, 16, 7
	v_mov_b32_e32 v4, 0
	s_mov_b32 s17, exec_lo
	buffer_store_dword v3, off, s[0:3], s32 offset:1396 ; 4-byte Folded Spill
	buffer_store_dword v4, off, s[0:3], s32 offset:1400 ; 4-byte Folded Spill
	v_cmpx_ne_u32_e32 0x7f, v2
	s_cbranch_execz .LBB232_1216
; %bb.1213:                             ;   in Loop: Header=BB232_10 Depth=1
	v_mov_b32_e32 v1, 7
	s_mov_b32 s18, exec_lo
	v_and_b32_sdwa v60, v0, v1 dst_sel:DWORD dst_unused:UNUSED_PAD src0_sel:WORD_1 src1_sel:DWORD
	v_lshrrev_b32_e32 v1, 3, v2
	v_cmpx_gt_u32_e32 8, v2
; %bb.1214:                             ;   in Loop: Header=BB232_10 Depth=1
	v_ffbh_u32_e32 v1, v60
	v_min_u32_e32 v1, 32, v1
	v_subrev_nc_u32_e32 v2, 28, v1
	v_sub_nc_u32_e32 v1, 29, v1
	v_lshlrev_b64 v[2:3], v2, v[60:61]
	v_and_b32_e32 v60, 7, v2
; %bb.1215:                             ;   in Loop: Header=BB232_10 Depth=1
	s_or_b32 exec_lo, exec_lo, s18
	v_mov_b32_e32 v2, 24
	v_lshlrev_b32_e32 v3, 20, v60
	v_lshl_add_u32 v1, v1, 23, 0x3c000000
	v_lshlrev_b32_sdwa v2, v2, v0 dst_sel:DWORD dst_unused:UNUSED_PAD src0_sel:DWORD src1_sel:WORD_1
	v_and_b32_e32 v2, 0x80000000, v2
	v_or3_b32 v60, v3, v2, v1
	buffer_store_dword v60, off, s[0:3], s32 offset:1396 ; 4-byte Folded Spill
	buffer_store_dword v61, off, s[0:3], s32 offset:1400 ; 4-byte Folded Spill
.LBB232_1216:                           ;   in Loop: Header=BB232_10 Depth=1
	s_or_b32 exec_lo, exec_lo, s17
.LBB232_1217:                           ;   in Loop: Header=BB232_10 Depth=1
	s_or_b32 exec_lo, exec_lo, s7
.LBB232_1218:                           ;   in Loop: Header=BB232_10 Depth=1
	s_or_b32 exec_lo, exec_lo, s6
	s_mov_b32 s6, exec_lo
	v_cmpx_lt_u32_e32 0xffffff, v0
	s_cbranch_execz .LBB232_1226
; %bb.1219:                             ;   in Loop: Header=BB232_10 Depth=1
	v_mov_b32_e32 v1, 0x80
	v_mov_b32_e32 v84, v61
	buffer_store_dword v84, off, s[0:3], s32 offset:1388 ; 4-byte Folded Spill
	buffer_store_dword v85, off, s[0:3], s32 offset:1392 ; 4-byte Folded Spill
	v_cmp_ne_u32_sdwa s5, v0, v1 src0_sel:BYTE_3 src1_sel:DWORD
	s_and_saveexec_b32 s7, s5
	s_cbranch_execz .LBB232_1225
; %bb.1220:                             ;   in Loop: Header=BB232_10 Depth=1
	v_bfe_u32 v2, v0, 24, 7
	v_mov_b32_e32 v86, v61
	s_mov_b32 s17, exec_lo
	buffer_store_dword v86, off, s[0:3], s32 offset:1388 ; 4-byte Folded Spill
	buffer_store_dword v87, off, s[0:3], s32 offset:1392 ; 4-byte Folded Spill
	v_cmpx_ne_u32_e32 0x7f, v2
	s_cbranch_execz .LBB232_1224
; %bb.1221:                             ;   in Loop: Header=BB232_10 Depth=1
	v_mov_b32_e32 v1, 7
	s_mov_b32 s18, exec_lo
	v_and_b32_sdwa v60, v0, v1 dst_sel:DWORD dst_unused:UNUSED_PAD src0_sel:BYTE_3 src1_sel:DWORD
	v_lshrrev_b32_e32 v1, 3, v2
	v_cmpx_gt_u32_e32 8, v2
; %bb.1222:                             ;   in Loop: Header=BB232_10 Depth=1
	v_ffbh_u32_e32 v1, v60
	v_min_u32_e32 v1, 32, v1
	v_subrev_nc_u32_e32 v2, 28, v1
	v_sub_nc_u32_e32 v1, 29, v1
	v_lshlrev_b64 v[2:3], v2, v[60:61]
	v_and_b32_e32 v60, 7, v2
; %bb.1223:                             ;   in Loop: Header=BB232_10 Depth=1
	s_or_b32 exec_lo, exec_lo, s18
	v_mov_b32_e32 v2, 24
	v_lshl_add_u32 v1, v1, 23, 0x3c000000
	v_lshlrev_b32_sdwa v0, v2, v0 dst_sel:DWORD dst_unused:UNUSED_PAD src0_sel:DWORD src1_sel:BYTE_3
	v_lshlrev_b32_e32 v2, 20, v60
	v_and_b32_e32 v0, 0x80000000, v0
	v_or3_b32 v1, v2, v0, v1
	v_mov_b32_e32 v0, v61
	buffer_store_dword v0, off, s[0:3], s32 offset:1388 ; 4-byte Folded Spill
	buffer_store_dword v1, off, s[0:3], s32 offset:1392 ; 4-byte Folded Spill
.LBB232_1224:                           ;   in Loop: Header=BB232_10 Depth=1
	s_or_b32 exec_lo, exec_lo, s17
.LBB232_1225:                           ;   in Loop: Header=BB232_10 Depth=1
	s_or_b32 exec_lo, exec_lo, s7
.LBB232_1226:                           ;   in Loop: Header=BB232_10 Depth=1
	s_or_b32 exec_lo, exec_lo, s6
	flat_load_dword v0, v[52:53] offset:520
	v_mov_b32_e32 v1, 0
	v_mov_b32_e32 v2, 0
	buffer_store_dword v1, off, s[0:3], s32 offset:1412 ; 4-byte Folded Spill
	buffer_store_dword v2, off, s[0:3], s32 offset:1416 ; 4-byte Folded Spill
	v_mov_b32_e32 v1, 0
	v_mov_b32_e32 v2, 0
	buffer_store_dword v1, off, s[0:3], s32 offset:1436 ; 4-byte Folded Spill
	buffer_store_dword v2, off, s[0:3], s32 offset:1440 ; 4-byte Folded Spill
	s_waitcnt vmcnt(0) lgkmcnt(0)
	v_cmp_ne_u16_sdwa s5, v0, v61 src0_sel:BYTE_0 src1_sel:DWORD
	s_and_saveexec_b32 s6, s5
	s_cbranch_execz .LBB232_1234
; %bb.1227:                             ;   in Loop: Header=BB232_10 Depth=1
	v_bfrev_b32_e32 v1, 1
	v_mov_b32_e32 v2, 0
	buffer_store_dword v1, off, s[0:3], s32 offset:1436 ; 4-byte Folded Spill
	buffer_store_dword v2, off, s[0:3], s32 offset:1440 ; 4-byte Folded Spill
	v_mov_b32_e32 v1, 0x80
	v_cmp_ne_u16_sdwa s5, v0, v1 src0_sel:BYTE_0 src1_sel:DWORD
	s_and_saveexec_b32 s7, s5
	s_cbranch_execz .LBB232_1233
; %bb.1228:                             ;   in Loop: Header=BB232_10 Depth=1
	v_mov_b32_e32 v3, 0x7f800001
	v_and_b32_e32 v2, 0x7f, v0
	v_mov_b32_e32 v4, 0
	s_mov_b32 s17, exec_lo
	buffer_store_dword v3, off, s[0:3], s32 offset:1436 ; 4-byte Folded Spill
	buffer_store_dword v4, off, s[0:3], s32 offset:1440 ; 4-byte Folded Spill
	v_cmpx_ne_u32_e32 0x7f, v2
	s_cbranch_execz .LBB232_1232
; %bb.1229:                             ;   in Loop: Header=BB232_10 Depth=1
	v_and_b32_e32 v60, 7, v0
	v_lshrrev_b32_e32 v1, 3, v2
	s_mov_b32 s18, exec_lo
	v_cmpx_gt_u32_e32 8, v2
; %bb.1230:                             ;   in Loop: Header=BB232_10 Depth=1
	v_ffbh_u32_e32 v1, v60
	v_min_u32_e32 v1, 32, v1
	v_subrev_nc_u32_e32 v2, 28, v1
	v_sub_nc_u32_e32 v1, 29, v1
	v_lshlrev_b64 v[2:3], v2, v[60:61]
	v_and_b32_e32 v60, 7, v2
; %bb.1231:                             ;   in Loop: Header=BB232_10 Depth=1
	s_or_b32 exec_lo, exec_lo, s18
	v_lshlrev_b32_e32 v2, 24, v0
	v_lshlrev_b32_e32 v3, 20, v60
	v_lshl_add_u32 v1, v1, 23, 0x3c000000
	v_and_b32_e32 v2, 0x80000000, v2
	v_or3_b32 v60, v3, v2, v1
	buffer_store_dword v60, off, s[0:3], s32 offset:1436 ; 4-byte Folded Spill
	buffer_store_dword v61, off, s[0:3], s32 offset:1440 ; 4-byte Folded Spill
.LBB232_1232:                           ;   in Loop: Header=BB232_10 Depth=1
	s_or_b32 exec_lo, exec_lo, s17
.LBB232_1233:                           ;   in Loop: Header=BB232_10 Depth=1
	s_or_b32 exec_lo, exec_lo, s7
.LBB232_1234:                           ;   in Loop: Header=BB232_10 Depth=1
	s_or_b32 exec_lo, exec_lo, s6
	v_cmp_ne_u16_sdwa s5, v0, v61 src0_sel:BYTE_1 src1_sel:DWORD
	s_and_saveexec_b32 s6, s5
	s_cbranch_execz .LBB232_1242
; %bb.1235:                             ;   in Loop: Header=BB232_10 Depth=1
	v_mov_b32_e32 v1, 0x80
	v_mov_b32_e32 v84, v61
	buffer_store_dword v84, off, s[0:3], s32 offset:1412 ; 4-byte Folded Spill
	buffer_store_dword v85, off, s[0:3], s32 offset:1416 ; 4-byte Folded Spill
	v_cmp_ne_u16_sdwa s5, v0, v1 src0_sel:BYTE_1 src1_sel:DWORD
	s_and_saveexec_b32 s7, s5
	s_cbranch_execz .LBB232_1241
; %bb.1236:                             ;   in Loop: Header=BB232_10 Depth=1
	v_mov_b32_e32 v1, 0xffff
	v_mov_b32_e32 v86, v61
	s_mov_b32 s17, exec_lo
	buffer_store_dword v86, off, s[0:3], s32 offset:1412 ; 4-byte Folded Spill
	buffer_store_dword v87, off, s[0:3], s32 offset:1416 ; 4-byte Folded Spill
	v_and_b32_sdwa v1, v1, v0 dst_sel:DWORD dst_unused:UNUSED_PAD src0_sel:DWORD src1_sel:BYTE_1
	v_and_b32_e32 v2, 0x7f, v1
	v_cmpx_ne_u32_e32 0x7f, v2
	s_cbranch_execz .LBB232_1240
; %bb.1237:                             ;   in Loop: Header=BB232_10 Depth=1
	v_and_b32_e32 v60, 7, v1
	v_lshrrev_b32_e32 v1, 3, v2
	s_mov_b32 s18, exec_lo
	v_cmpx_gt_u32_e32 8, v2
; %bb.1238:                             ;   in Loop: Header=BB232_10 Depth=1
	v_ffbh_u32_e32 v1, v60
	v_min_u32_e32 v1, 32, v1
	v_subrev_nc_u32_e32 v2, 28, v1
	v_sub_nc_u32_e32 v1, 29, v1
	v_lshlrev_b64 v[2:3], v2, v[60:61]
	v_and_b32_e32 v60, 7, v2
; %bb.1239:                             ;   in Loop: Header=BB232_10 Depth=1
	s_or_b32 exec_lo, exec_lo, s18
	v_lshlrev_b32_e32 v2, 16, v0
	v_lshlrev_b32_e32 v3, 20, v60
	v_lshl_add_u32 v1, v1, 23, 0x3c000000
	v_and_b32_e32 v2, 0x80000000, v2
	v_or3_b32 v2, v3, v2, v1
	v_mov_b32_e32 v1, v61
	buffer_store_dword v1, off, s[0:3], s32 offset:1412 ; 4-byte Folded Spill
	buffer_store_dword v2, off, s[0:3], s32 offset:1416 ; 4-byte Folded Spill
.LBB232_1240:                           ;   in Loop: Header=BB232_10 Depth=1
	s_or_b32 exec_lo, exec_lo, s17
.LBB232_1241:                           ;   in Loop: Header=BB232_10 Depth=1
	s_or_b32 exec_lo, exec_lo, s7
.LBB232_1242:                           ;   in Loop: Header=BB232_10 Depth=1
	s_or_b32 exec_lo, exec_lo, s6
	v_mov_b32_e32 v2, 0
	v_mov_b32_e32 v3, 0
	;; [unrolled: 1-line block ×3, first 2 shown]
	s_mov_b32 s6, exec_lo
	buffer_store_dword v2, off, s[0:3], s32 offset:1420 ; 4-byte Folded Spill
	buffer_store_dword v3, off, s[0:3], s32 offset:1424 ; 4-byte Folded Spill
	v_mov_b32_e32 v2, 0
	v_and_b32_sdwa v1, v0, v1 dst_sel:DWORD dst_unused:UNUSED_PAD src0_sel:WORD_1 src1_sel:DWORD
	v_mov_b32_e32 v3, 0
	buffer_store_dword v2, off, s[0:3], s32 offset:1428 ; 4-byte Folded Spill
	buffer_store_dword v3, off, s[0:3], s32 offset:1432 ; 4-byte Folded Spill
	v_cmpx_ne_u16_e32 0, v1
	s_cbranch_execz .LBB232_1250
; %bb.1243:                             ;   in Loop: Header=BB232_10 Depth=1
	v_cmp_ne_u16_e64 s5, 0x80, v1
	v_bfrev_b32_e32 v1, 1
	v_mov_b32_e32 v2, 0
	buffer_store_dword v1, off, s[0:3], s32 offset:1428 ; 4-byte Folded Spill
	buffer_store_dword v2, off, s[0:3], s32 offset:1432 ; 4-byte Folded Spill
	s_and_saveexec_b32 s7, s5
	s_cbranch_execz .LBB232_1249
; %bb.1244:                             ;   in Loop: Header=BB232_10 Depth=1
	v_mov_b32_e32 v3, 0x7f800001
	v_bfe_u32 v2, v0, 16, 7
	v_mov_b32_e32 v4, 0
	s_mov_b32 s17, exec_lo
	buffer_store_dword v3, off, s[0:3], s32 offset:1428 ; 4-byte Folded Spill
	buffer_store_dword v4, off, s[0:3], s32 offset:1432 ; 4-byte Folded Spill
	v_cmpx_ne_u32_e32 0x7f, v2
	s_cbranch_execz .LBB232_1248
; %bb.1245:                             ;   in Loop: Header=BB232_10 Depth=1
	v_mov_b32_e32 v1, 7
	s_mov_b32 s18, exec_lo
	v_and_b32_sdwa v60, v0, v1 dst_sel:DWORD dst_unused:UNUSED_PAD src0_sel:WORD_1 src1_sel:DWORD
	v_lshrrev_b32_e32 v1, 3, v2
	v_cmpx_gt_u32_e32 8, v2
; %bb.1246:                             ;   in Loop: Header=BB232_10 Depth=1
	v_ffbh_u32_e32 v1, v60
	v_min_u32_e32 v1, 32, v1
	v_subrev_nc_u32_e32 v2, 28, v1
	v_sub_nc_u32_e32 v1, 29, v1
	v_lshlrev_b64 v[2:3], v2, v[60:61]
	v_and_b32_e32 v60, 7, v2
; %bb.1247:                             ;   in Loop: Header=BB232_10 Depth=1
	s_or_b32 exec_lo, exec_lo, s18
	v_mov_b32_e32 v2, 24
	v_lshlrev_b32_e32 v3, 20, v60
	v_lshl_add_u32 v1, v1, 23, 0x3c000000
	v_lshlrev_b32_sdwa v2, v2, v0 dst_sel:DWORD dst_unused:UNUSED_PAD src0_sel:DWORD src1_sel:WORD_1
	v_and_b32_e32 v2, 0x80000000, v2
	v_or3_b32 v60, v3, v2, v1
	buffer_store_dword v60, off, s[0:3], s32 offset:1428 ; 4-byte Folded Spill
	buffer_store_dword v61, off, s[0:3], s32 offset:1432 ; 4-byte Folded Spill
.LBB232_1248:                           ;   in Loop: Header=BB232_10 Depth=1
	s_or_b32 exec_lo, exec_lo, s17
.LBB232_1249:                           ;   in Loop: Header=BB232_10 Depth=1
	s_or_b32 exec_lo, exec_lo, s7
.LBB232_1250:                           ;   in Loop: Header=BB232_10 Depth=1
	s_or_b32 exec_lo, exec_lo, s6
	s_mov_b32 s6, exec_lo
	v_cmpx_lt_u32_e32 0xffffff, v0
	s_cbranch_execz .LBB232_1258
; %bb.1251:                             ;   in Loop: Header=BB232_10 Depth=1
	v_mov_b32_e32 v1, 0x80
	v_mov_b32_e32 v84, v61
	buffer_store_dword v84, off, s[0:3], s32 offset:1420 ; 4-byte Folded Spill
	buffer_store_dword v85, off, s[0:3], s32 offset:1424 ; 4-byte Folded Spill
	v_cmp_ne_u32_sdwa s5, v0, v1 src0_sel:BYTE_3 src1_sel:DWORD
	s_and_saveexec_b32 s7, s5
	s_cbranch_execz .LBB232_1257
; %bb.1252:                             ;   in Loop: Header=BB232_10 Depth=1
	v_bfe_u32 v2, v0, 24, 7
	v_mov_b32_e32 v86, v61
	s_mov_b32 s17, exec_lo
	buffer_store_dword v86, off, s[0:3], s32 offset:1420 ; 4-byte Folded Spill
	buffer_store_dword v87, off, s[0:3], s32 offset:1424 ; 4-byte Folded Spill
	v_cmpx_ne_u32_e32 0x7f, v2
	s_cbranch_execz .LBB232_1256
; %bb.1253:                             ;   in Loop: Header=BB232_10 Depth=1
	v_mov_b32_e32 v1, 7
	s_mov_b32 s18, exec_lo
	v_and_b32_sdwa v60, v0, v1 dst_sel:DWORD dst_unused:UNUSED_PAD src0_sel:BYTE_3 src1_sel:DWORD
	v_lshrrev_b32_e32 v1, 3, v2
	v_cmpx_gt_u32_e32 8, v2
; %bb.1254:                             ;   in Loop: Header=BB232_10 Depth=1
	v_ffbh_u32_e32 v1, v60
	v_min_u32_e32 v1, 32, v1
	v_subrev_nc_u32_e32 v2, 28, v1
	v_sub_nc_u32_e32 v1, 29, v1
	v_lshlrev_b64 v[2:3], v2, v[60:61]
	v_and_b32_e32 v60, 7, v2
; %bb.1255:                             ;   in Loop: Header=BB232_10 Depth=1
	s_or_b32 exec_lo, exec_lo, s18
	v_mov_b32_e32 v2, 24
	v_lshl_add_u32 v1, v1, 23, 0x3c000000
	v_lshlrev_b32_sdwa v0, v2, v0 dst_sel:DWORD dst_unused:UNUSED_PAD src0_sel:DWORD src1_sel:BYTE_3
	v_lshlrev_b32_e32 v2, 20, v60
	v_and_b32_e32 v0, 0x80000000, v0
	v_or3_b32 v1, v2, v0, v1
	v_mov_b32_e32 v0, v61
	buffer_store_dword v0, off, s[0:3], s32 offset:1420 ; 4-byte Folded Spill
	buffer_store_dword v1, off, s[0:3], s32 offset:1424 ; 4-byte Folded Spill
.LBB232_1256:                           ;   in Loop: Header=BB232_10 Depth=1
	s_or_b32 exec_lo, exec_lo, s17
.LBB232_1257:                           ;   in Loop: Header=BB232_10 Depth=1
	s_or_b32 exec_lo, exec_lo, s7
.LBB232_1258:                           ;   in Loop: Header=BB232_10 Depth=1
	s_or_b32 exec_lo, exec_lo, s6
	flat_load_dword v0, v[52:53] offset:524
	v_mov_b32_e32 v1, 0
	v_mov_b32_e32 v2, 0
	buffer_store_dword v1, off, s[0:3], s32 offset:1444 ; 4-byte Folded Spill
	buffer_store_dword v2, off, s[0:3], s32 offset:1448 ; 4-byte Folded Spill
	v_mov_b32_e32 v1, 0
	v_mov_b32_e32 v2, 0
	buffer_store_dword v1, off, s[0:3], s32 offset:1468 ; 4-byte Folded Spill
	buffer_store_dword v2, off, s[0:3], s32 offset:1472 ; 4-byte Folded Spill
	s_waitcnt vmcnt(0) lgkmcnt(0)
	v_cmp_ne_u16_sdwa s5, v0, v61 src0_sel:BYTE_0 src1_sel:DWORD
	s_and_saveexec_b32 s6, s5
	s_cbranch_execz .LBB232_1266
; %bb.1259:                             ;   in Loop: Header=BB232_10 Depth=1
	v_bfrev_b32_e32 v1, 1
	v_mov_b32_e32 v2, 0
	buffer_store_dword v1, off, s[0:3], s32 offset:1468 ; 4-byte Folded Spill
	buffer_store_dword v2, off, s[0:3], s32 offset:1472 ; 4-byte Folded Spill
	v_mov_b32_e32 v1, 0x80
	v_cmp_ne_u16_sdwa s5, v0, v1 src0_sel:BYTE_0 src1_sel:DWORD
	s_and_saveexec_b32 s7, s5
	s_cbranch_execz .LBB232_1265
; %bb.1260:                             ;   in Loop: Header=BB232_10 Depth=1
	v_mov_b32_e32 v3, 0x7f800001
	v_and_b32_e32 v2, 0x7f, v0
	v_mov_b32_e32 v4, 0
	s_mov_b32 s17, exec_lo
	buffer_store_dword v3, off, s[0:3], s32 offset:1468 ; 4-byte Folded Spill
	buffer_store_dword v4, off, s[0:3], s32 offset:1472 ; 4-byte Folded Spill
	v_cmpx_ne_u32_e32 0x7f, v2
	s_cbranch_execz .LBB232_1264
; %bb.1261:                             ;   in Loop: Header=BB232_10 Depth=1
	v_and_b32_e32 v60, 7, v0
	v_lshrrev_b32_e32 v1, 3, v2
	s_mov_b32 s18, exec_lo
	v_cmpx_gt_u32_e32 8, v2
; %bb.1262:                             ;   in Loop: Header=BB232_10 Depth=1
	v_ffbh_u32_e32 v1, v60
	v_min_u32_e32 v1, 32, v1
	v_subrev_nc_u32_e32 v2, 28, v1
	v_sub_nc_u32_e32 v1, 29, v1
	v_lshlrev_b64 v[2:3], v2, v[60:61]
	v_and_b32_e32 v60, 7, v2
; %bb.1263:                             ;   in Loop: Header=BB232_10 Depth=1
	s_or_b32 exec_lo, exec_lo, s18
	v_lshlrev_b32_e32 v2, 24, v0
	v_lshlrev_b32_e32 v3, 20, v60
	v_lshl_add_u32 v1, v1, 23, 0x3c000000
	v_and_b32_e32 v2, 0x80000000, v2
	v_or3_b32 v60, v3, v2, v1
	buffer_store_dword v60, off, s[0:3], s32 offset:1468 ; 4-byte Folded Spill
	buffer_store_dword v61, off, s[0:3], s32 offset:1472 ; 4-byte Folded Spill
.LBB232_1264:                           ;   in Loop: Header=BB232_10 Depth=1
	s_or_b32 exec_lo, exec_lo, s17
.LBB232_1265:                           ;   in Loop: Header=BB232_10 Depth=1
	s_or_b32 exec_lo, exec_lo, s7
.LBB232_1266:                           ;   in Loop: Header=BB232_10 Depth=1
	s_or_b32 exec_lo, exec_lo, s6
	v_cmp_ne_u16_sdwa s5, v0, v61 src0_sel:BYTE_1 src1_sel:DWORD
	s_and_saveexec_b32 s6, s5
	s_cbranch_execz .LBB232_1274
; %bb.1267:                             ;   in Loop: Header=BB232_10 Depth=1
	v_mov_b32_e32 v1, 0x80
	v_mov_b32_e32 v84, v61
	buffer_store_dword v84, off, s[0:3], s32 offset:1444 ; 4-byte Folded Spill
	buffer_store_dword v85, off, s[0:3], s32 offset:1448 ; 4-byte Folded Spill
	v_cmp_ne_u16_sdwa s5, v0, v1 src0_sel:BYTE_1 src1_sel:DWORD
	s_and_saveexec_b32 s7, s5
	s_cbranch_execz .LBB232_1273
; %bb.1268:                             ;   in Loop: Header=BB232_10 Depth=1
	v_mov_b32_e32 v1, 0xffff
	v_mov_b32_e32 v86, v61
	s_mov_b32 s17, exec_lo
	buffer_store_dword v86, off, s[0:3], s32 offset:1444 ; 4-byte Folded Spill
	buffer_store_dword v87, off, s[0:3], s32 offset:1448 ; 4-byte Folded Spill
	v_and_b32_sdwa v1, v1, v0 dst_sel:DWORD dst_unused:UNUSED_PAD src0_sel:DWORD src1_sel:BYTE_1
	v_and_b32_e32 v2, 0x7f, v1
	v_cmpx_ne_u32_e32 0x7f, v2
	s_cbranch_execz .LBB232_1272
; %bb.1269:                             ;   in Loop: Header=BB232_10 Depth=1
	v_and_b32_e32 v60, 7, v1
	v_lshrrev_b32_e32 v1, 3, v2
	s_mov_b32 s18, exec_lo
	v_cmpx_gt_u32_e32 8, v2
; %bb.1270:                             ;   in Loop: Header=BB232_10 Depth=1
	v_ffbh_u32_e32 v1, v60
	v_min_u32_e32 v1, 32, v1
	v_subrev_nc_u32_e32 v2, 28, v1
	v_sub_nc_u32_e32 v1, 29, v1
	v_lshlrev_b64 v[2:3], v2, v[60:61]
	v_and_b32_e32 v60, 7, v2
; %bb.1271:                             ;   in Loop: Header=BB232_10 Depth=1
	s_or_b32 exec_lo, exec_lo, s18
	v_lshlrev_b32_e32 v2, 16, v0
	v_lshlrev_b32_e32 v3, 20, v60
	v_lshl_add_u32 v1, v1, 23, 0x3c000000
	v_and_b32_e32 v2, 0x80000000, v2
	v_or3_b32 v2, v3, v2, v1
	v_mov_b32_e32 v1, v61
	buffer_store_dword v1, off, s[0:3], s32 offset:1444 ; 4-byte Folded Spill
	buffer_store_dword v2, off, s[0:3], s32 offset:1448 ; 4-byte Folded Spill
.LBB232_1272:                           ;   in Loop: Header=BB232_10 Depth=1
	s_or_b32 exec_lo, exec_lo, s17
.LBB232_1273:                           ;   in Loop: Header=BB232_10 Depth=1
	s_or_b32 exec_lo, exec_lo, s7
.LBB232_1274:                           ;   in Loop: Header=BB232_10 Depth=1
	s_or_b32 exec_lo, exec_lo, s6
	v_mov_b32_e32 v2, 0
	v_mov_b32_e32 v3, 0
	;; [unrolled: 1-line block ×3, first 2 shown]
	s_mov_b32 s6, exec_lo
	buffer_store_dword v2, off, s[0:3], s32 offset:1452 ; 4-byte Folded Spill
	buffer_store_dword v3, off, s[0:3], s32 offset:1456 ; 4-byte Folded Spill
	v_mov_b32_e32 v2, 0
	v_and_b32_sdwa v1, v0, v1 dst_sel:DWORD dst_unused:UNUSED_PAD src0_sel:WORD_1 src1_sel:DWORD
	v_mov_b32_e32 v3, 0
	buffer_store_dword v2, off, s[0:3], s32 offset:1460 ; 4-byte Folded Spill
	buffer_store_dword v3, off, s[0:3], s32 offset:1464 ; 4-byte Folded Spill
	v_cmpx_ne_u16_e32 0, v1
	s_cbranch_execz .LBB232_1282
; %bb.1275:                             ;   in Loop: Header=BB232_10 Depth=1
	v_cmp_ne_u16_e64 s5, 0x80, v1
	v_bfrev_b32_e32 v1, 1
	v_mov_b32_e32 v2, 0
	buffer_store_dword v1, off, s[0:3], s32 offset:1460 ; 4-byte Folded Spill
	buffer_store_dword v2, off, s[0:3], s32 offset:1464 ; 4-byte Folded Spill
	s_and_saveexec_b32 s7, s5
	s_cbranch_execz .LBB232_1281
; %bb.1276:                             ;   in Loop: Header=BB232_10 Depth=1
	v_mov_b32_e32 v3, 0x7f800001
	v_bfe_u32 v2, v0, 16, 7
	v_mov_b32_e32 v4, 0
	s_mov_b32 s17, exec_lo
	buffer_store_dword v3, off, s[0:3], s32 offset:1460 ; 4-byte Folded Spill
	buffer_store_dword v4, off, s[0:3], s32 offset:1464 ; 4-byte Folded Spill
	v_cmpx_ne_u32_e32 0x7f, v2
	s_cbranch_execz .LBB232_1280
; %bb.1277:                             ;   in Loop: Header=BB232_10 Depth=1
	v_mov_b32_e32 v1, 7
	s_mov_b32 s18, exec_lo
	v_and_b32_sdwa v60, v0, v1 dst_sel:DWORD dst_unused:UNUSED_PAD src0_sel:WORD_1 src1_sel:DWORD
	v_lshrrev_b32_e32 v1, 3, v2
	v_cmpx_gt_u32_e32 8, v2
; %bb.1278:                             ;   in Loop: Header=BB232_10 Depth=1
	v_ffbh_u32_e32 v1, v60
	v_min_u32_e32 v1, 32, v1
	v_subrev_nc_u32_e32 v2, 28, v1
	v_sub_nc_u32_e32 v1, 29, v1
	v_lshlrev_b64 v[2:3], v2, v[60:61]
	v_and_b32_e32 v60, 7, v2
; %bb.1279:                             ;   in Loop: Header=BB232_10 Depth=1
	s_or_b32 exec_lo, exec_lo, s18
	v_mov_b32_e32 v2, 24
	v_lshlrev_b32_e32 v3, 20, v60
	v_lshl_add_u32 v1, v1, 23, 0x3c000000
	v_lshlrev_b32_sdwa v2, v2, v0 dst_sel:DWORD dst_unused:UNUSED_PAD src0_sel:DWORD src1_sel:WORD_1
	v_and_b32_e32 v2, 0x80000000, v2
	v_or3_b32 v60, v3, v2, v1
	buffer_store_dword v60, off, s[0:3], s32 offset:1460 ; 4-byte Folded Spill
	buffer_store_dword v61, off, s[0:3], s32 offset:1464 ; 4-byte Folded Spill
.LBB232_1280:                           ;   in Loop: Header=BB232_10 Depth=1
	s_or_b32 exec_lo, exec_lo, s17
.LBB232_1281:                           ;   in Loop: Header=BB232_10 Depth=1
	s_or_b32 exec_lo, exec_lo, s7
.LBB232_1282:                           ;   in Loop: Header=BB232_10 Depth=1
	s_or_b32 exec_lo, exec_lo, s6
	s_mov_b32 s6, exec_lo
	v_cmpx_lt_u32_e32 0xffffff, v0
	s_cbranch_execz .LBB232_1290
; %bb.1283:                             ;   in Loop: Header=BB232_10 Depth=1
	v_mov_b32_e32 v1, 0x80
	v_mov_b32_e32 v84, v61
	buffer_store_dword v84, off, s[0:3], s32 offset:1452 ; 4-byte Folded Spill
	buffer_store_dword v85, off, s[0:3], s32 offset:1456 ; 4-byte Folded Spill
	v_cmp_ne_u32_sdwa s5, v0, v1 src0_sel:BYTE_3 src1_sel:DWORD
	s_and_saveexec_b32 s7, s5
	s_cbranch_execz .LBB232_1289
; %bb.1284:                             ;   in Loop: Header=BB232_10 Depth=1
	v_bfe_u32 v2, v0, 24, 7
	v_mov_b32_e32 v86, v61
	s_mov_b32 s17, exec_lo
	buffer_store_dword v86, off, s[0:3], s32 offset:1452 ; 4-byte Folded Spill
	buffer_store_dword v87, off, s[0:3], s32 offset:1456 ; 4-byte Folded Spill
	v_cmpx_ne_u32_e32 0x7f, v2
	s_cbranch_execz .LBB232_1288
; %bb.1285:                             ;   in Loop: Header=BB232_10 Depth=1
	v_mov_b32_e32 v1, 7
	s_mov_b32 s18, exec_lo
	v_and_b32_sdwa v60, v0, v1 dst_sel:DWORD dst_unused:UNUSED_PAD src0_sel:BYTE_3 src1_sel:DWORD
	v_lshrrev_b32_e32 v1, 3, v2
	v_cmpx_gt_u32_e32 8, v2
; %bb.1286:                             ;   in Loop: Header=BB232_10 Depth=1
	v_ffbh_u32_e32 v1, v60
	v_min_u32_e32 v1, 32, v1
	v_subrev_nc_u32_e32 v2, 28, v1
	v_sub_nc_u32_e32 v1, 29, v1
	v_lshlrev_b64 v[2:3], v2, v[60:61]
	v_and_b32_e32 v60, 7, v2
; %bb.1287:                             ;   in Loop: Header=BB232_10 Depth=1
	s_or_b32 exec_lo, exec_lo, s18
	v_mov_b32_e32 v2, 24
	v_lshl_add_u32 v1, v1, 23, 0x3c000000
	v_lshlrev_b32_sdwa v0, v2, v0 dst_sel:DWORD dst_unused:UNUSED_PAD src0_sel:DWORD src1_sel:BYTE_3
	v_lshlrev_b32_e32 v2, 20, v60
	v_and_b32_e32 v0, 0x80000000, v0
	v_or3_b32 v1, v2, v0, v1
	v_mov_b32_e32 v0, v61
	buffer_store_dword v0, off, s[0:3], s32 offset:1452 ; 4-byte Folded Spill
	buffer_store_dword v1, off, s[0:3], s32 offset:1456 ; 4-byte Folded Spill
.LBB232_1288:                           ;   in Loop: Header=BB232_10 Depth=1
	s_or_b32 exec_lo, exec_lo, s17
.LBB232_1289:                           ;   in Loop: Header=BB232_10 Depth=1
	s_or_b32 exec_lo, exec_lo, s7
.LBB232_1290:                           ;   in Loop: Header=BB232_10 Depth=1
	s_or_b32 exec_lo, exec_lo, s6
	flat_load_dword v0, v[52:53] offset:1024
	v_mov_b32_e32 v1, 0
	v_mov_b32_e32 v2, 0
	buffer_store_dword v1, off, s[0:3], s32 offset:1476 ; 4-byte Folded Spill
	buffer_store_dword v2, off, s[0:3], s32 offset:1480 ; 4-byte Folded Spill
	v_mov_b32_e32 v1, 0
	v_mov_b32_e32 v2, 0
	buffer_store_dword v1, off, s[0:3], s32 offset:1500 ; 4-byte Folded Spill
	buffer_store_dword v2, off, s[0:3], s32 offset:1504 ; 4-byte Folded Spill
	s_waitcnt vmcnt(0) lgkmcnt(0)
	v_cmp_ne_u16_sdwa s5, v0, v61 src0_sel:BYTE_0 src1_sel:DWORD
	s_and_saveexec_b32 s6, s5
	s_cbranch_execz .LBB232_1298
; %bb.1291:                             ;   in Loop: Header=BB232_10 Depth=1
	v_bfrev_b32_e32 v1, 1
	v_mov_b32_e32 v2, 0
	buffer_store_dword v1, off, s[0:3], s32 offset:1500 ; 4-byte Folded Spill
	buffer_store_dword v2, off, s[0:3], s32 offset:1504 ; 4-byte Folded Spill
	v_mov_b32_e32 v1, 0x80
	v_cmp_ne_u16_sdwa s5, v0, v1 src0_sel:BYTE_0 src1_sel:DWORD
	s_and_saveexec_b32 s7, s5
	s_cbranch_execz .LBB232_1297
; %bb.1292:                             ;   in Loop: Header=BB232_10 Depth=1
	v_mov_b32_e32 v3, 0x7f800001
	v_and_b32_e32 v2, 0x7f, v0
	v_mov_b32_e32 v4, 0
	s_mov_b32 s17, exec_lo
	buffer_store_dword v3, off, s[0:3], s32 offset:1500 ; 4-byte Folded Spill
	buffer_store_dword v4, off, s[0:3], s32 offset:1504 ; 4-byte Folded Spill
	v_cmpx_ne_u32_e32 0x7f, v2
	s_cbranch_execz .LBB232_1296
; %bb.1293:                             ;   in Loop: Header=BB232_10 Depth=1
	v_and_b32_e32 v60, 7, v0
	v_lshrrev_b32_e32 v1, 3, v2
	s_mov_b32 s18, exec_lo
	v_cmpx_gt_u32_e32 8, v2
; %bb.1294:                             ;   in Loop: Header=BB232_10 Depth=1
	v_ffbh_u32_e32 v1, v60
	v_min_u32_e32 v1, 32, v1
	v_subrev_nc_u32_e32 v2, 28, v1
	v_sub_nc_u32_e32 v1, 29, v1
	v_lshlrev_b64 v[2:3], v2, v[60:61]
	v_and_b32_e32 v60, 7, v2
; %bb.1295:                             ;   in Loop: Header=BB232_10 Depth=1
	s_or_b32 exec_lo, exec_lo, s18
	v_lshlrev_b32_e32 v2, 24, v0
	v_lshlrev_b32_e32 v3, 20, v60
	v_lshl_add_u32 v1, v1, 23, 0x3c000000
	v_and_b32_e32 v2, 0x80000000, v2
	v_or3_b32 v60, v3, v2, v1
	buffer_store_dword v60, off, s[0:3], s32 offset:1500 ; 4-byte Folded Spill
	buffer_store_dword v61, off, s[0:3], s32 offset:1504 ; 4-byte Folded Spill
.LBB232_1296:                           ;   in Loop: Header=BB232_10 Depth=1
	s_or_b32 exec_lo, exec_lo, s17
.LBB232_1297:                           ;   in Loop: Header=BB232_10 Depth=1
	s_or_b32 exec_lo, exec_lo, s7
.LBB232_1298:                           ;   in Loop: Header=BB232_10 Depth=1
	s_or_b32 exec_lo, exec_lo, s6
	v_cmp_ne_u16_sdwa s5, v0, v61 src0_sel:BYTE_1 src1_sel:DWORD
	s_and_saveexec_b32 s6, s5
	s_cbranch_execz .LBB232_1306
; %bb.1299:                             ;   in Loop: Header=BB232_10 Depth=1
	v_mov_b32_e32 v1, 0x80
	v_mov_b32_e32 v84, v61
	buffer_store_dword v84, off, s[0:3], s32 offset:1476 ; 4-byte Folded Spill
	buffer_store_dword v85, off, s[0:3], s32 offset:1480 ; 4-byte Folded Spill
	v_cmp_ne_u16_sdwa s5, v0, v1 src0_sel:BYTE_1 src1_sel:DWORD
	s_and_saveexec_b32 s7, s5
	s_cbranch_execz .LBB232_1305
; %bb.1300:                             ;   in Loop: Header=BB232_10 Depth=1
	v_mov_b32_e32 v1, 0xffff
	v_mov_b32_e32 v86, v61
	s_mov_b32 s17, exec_lo
	buffer_store_dword v86, off, s[0:3], s32 offset:1476 ; 4-byte Folded Spill
	buffer_store_dword v87, off, s[0:3], s32 offset:1480 ; 4-byte Folded Spill
	v_and_b32_sdwa v1, v1, v0 dst_sel:DWORD dst_unused:UNUSED_PAD src0_sel:DWORD src1_sel:BYTE_1
	v_and_b32_e32 v2, 0x7f, v1
	v_cmpx_ne_u32_e32 0x7f, v2
	s_cbranch_execz .LBB232_1304
; %bb.1301:                             ;   in Loop: Header=BB232_10 Depth=1
	v_and_b32_e32 v60, 7, v1
	v_lshrrev_b32_e32 v1, 3, v2
	s_mov_b32 s18, exec_lo
	v_cmpx_gt_u32_e32 8, v2
; %bb.1302:                             ;   in Loop: Header=BB232_10 Depth=1
	v_ffbh_u32_e32 v1, v60
	v_min_u32_e32 v1, 32, v1
	v_subrev_nc_u32_e32 v2, 28, v1
	v_sub_nc_u32_e32 v1, 29, v1
	v_lshlrev_b64 v[2:3], v2, v[60:61]
	v_and_b32_e32 v60, 7, v2
; %bb.1303:                             ;   in Loop: Header=BB232_10 Depth=1
	s_or_b32 exec_lo, exec_lo, s18
	v_lshlrev_b32_e32 v2, 16, v0
	v_lshlrev_b32_e32 v3, 20, v60
	v_lshl_add_u32 v1, v1, 23, 0x3c000000
	v_and_b32_e32 v2, 0x80000000, v2
	v_or3_b32 v2, v3, v2, v1
	v_mov_b32_e32 v1, v61
	buffer_store_dword v1, off, s[0:3], s32 offset:1476 ; 4-byte Folded Spill
	buffer_store_dword v2, off, s[0:3], s32 offset:1480 ; 4-byte Folded Spill
.LBB232_1304:                           ;   in Loop: Header=BB232_10 Depth=1
	s_or_b32 exec_lo, exec_lo, s17
.LBB232_1305:                           ;   in Loop: Header=BB232_10 Depth=1
	s_or_b32 exec_lo, exec_lo, s7
.LBB232_1306:                           ;   in Loop: Header=BB232_10 Depth=1
	s_or_b32 exec_lo, exec_lo, s6
	v_mov_b32_e32 v2, 0
	v_mov_b32_e32 v3, 0
	;; [unrolled: 1-line block ×3, first 2 shown]
	s_mov_b32 s6, exec_lo
	buffer_store_dword v2, off, s[0:3], s32 offset:1484 ; 4-byte Folded Spill
	buffer_store_dword v3, off, s[0:3], s32 offset:1488 ; 4-byte Folded Spill
	v_mov_b32_e32 v2, 0
	v_and_b32_sdwa v1, v0, v1 dst_sel:DWORD dst_unused:UNUSED_PAD src0_sel:WORD_1 src1_sel:DWORD
	v_mov_b32_e32 v3, 0
	buffer_store_dword v2, off, s[0:3], s32 offset:1492 ; 4-byte Folded Spill
	buffer_store_dword v3, off, s[0:3], s32 offset:1496 ; 4-byte Folded Spill
	v_cmpx_ne_u16_e32 0, v1
	s_cbranch_execz .LBB232_1314
; %bb.1307:                             ;   in Loop: Header=BB232_10 Depth=1
	v_cmp_ne_u16_e64 s5, 0x80, v1
	v_bfrev_b32_e32 v1, 1
	v_mov_b32_e32 v2, 0
	buffer_store_dword v1, off, s[0:3], s32 offset:1492 ; 4-byte Folded Spill
	buffer_store_dword v2, off, s[0:3], s32 offset:1496 ; 4-byte Folded Spill
	s_and_saveexec_b32 s7, s5
	s_cbranch_execz .LBB232_1313
; %bb.1308:                             ;   in Loop: Header=BB232_10 Depth=1
	v_mov_b32_e32 v3, 0x7f800001
	v_bfe_u32 v2, v0, 16, 7
	v_mov_b32_e32 v4, 0
	s_mov_b32 s17, exec_lo
	buffer_store_dword v3, off, s[0:3], s32 offset:1492 ; 4-byte Folded Spill
	buffer_store_dword v4, off, s[0:3], s32 offset:1496 ; 4-byte Folded Spill
	v_cmpx_ne_u32_e32 0x7f, v2
	s_cbranch_execz .LBB232_1312
; %bb.1309:                             ;   in Loop: Header=BB232_10 Depth=1
	v_mov_b32_e32 v1, 7
	s_mov_b32 s18, exec_lo
	v_and_b32_sdwa v60, v0, v1 dst_sel:DWORD dst_unused:UNUSED_PAD src0_sel:WORD_1 src1_sel:DWORD
	v_lshrrev_b32_e32 v1, 3, v2
	v_cmpx_gt_u32_e32 8, v2
; %bb.1310:                             ;   in Loop: Header=BB232_10 Depth=1
	v_ffbh_u32_e32 v1, v60
	v_min_u32_e32 v1, 32, v1
	v_subrev_nc_u32_e32 v2, 28, v1
	v_sub_nc_u32_e32 v1, 29, v1
	v_lshlrev_b64 v[2:3], v2, v[60:61]
	v_and_b32_e32 v60, 7, v2
; %bb.1311:                             ;   in Loop: Header=BB232_10 Depth=1
	s_or_b32 exec_lo, exec_lo, s18
	v_mov_b32_e32 v2, 24
	v_lshlrev_b32_e32 v3, 20, v60
	v_lshl_add_u32 v1, v1, 23, 0x3c000000
	v_lshlrev_b32_sdwa v2, v2, v0 dst_sel:DWORD dst_unused:UNUSED_PAD src0_sel:DWORD src1_sel:WORD_1
	v_and_b32_e32 v2, 0x80000000, v2
	v_or3_b32 v60, v3, v2, v1
	buffer_store_dword v60, off, s[0:3], s32 offset:1492 ; 4-byte Folded Spill
	buffer_store_dword v61, off, s[0:3], s32 offset:1496 ; 4-byte Folded Spill
.LBB232_1312:                           ;   in Loop: Header=BB232_10 Depth=1
	s_or_b32 exec_lo, exec_lo, s17
.LBB232_1313:                           ;   in Loop: Header=BB232_10 Depth=1
	s_or_b32 exec_lo, exec_lo, s7
.LBB232_1314:                           ;   in Loop: Header=BB232_10 Depth=1
	s_or_b32 exec_lo, exec_lo, s6
	s_mov_b32 s6, exec_lo
	v_cmpx_lt_u32_e32 0xffffff, v0
	s_cbranch_execz .LBB232_1322
; %bb.1315:                             ;   in Loop: Header=BB232_10 Depth=1
	v_mov_b32_e32 v1, 0x80
	v_mov_b32_e32 v84, v61
	buffer_store_dword v84, off, s[0:3], s32 offset:1484 ; 4-byte Folded Spill
	buffer_store_dword v85, off, s[0:3], s32 offset:1488 ; 4-byte Folded Spill
	v_cmp_ne_u32_sdwa s5, v0, v1 src0_sel:BYTE_3 src1_sel:DWORD
	s_and_saveexec_b32 s7, s5
	s_cbranch_execz .LBB232_1321
; %bb.1316:                             ;   in Loop: Header=BB232_10 Depth=1
	v_bfe_u32 v2, v0, 24, 7
	v_mov_b32_e32 v86, v61
	s_mov_b32 s17, exec_lo
	buffer_store_dword v86, off, s[0:3], s32 offset:1484 ; 4-byte Folded Spill
	buffer_store_dword v87, off, s[0:3], s32 offset:1488 ; 4-byte Folded Spill
	v_cmpx_ne_u32_e32 0x7f, v2
	s_cbranch_execz .LBB232_1320
; %bb.1317:                             ;   in Loop: Header=BB232_10 Depth=1
	v_mov_b32_e32 v1, 7
	s_mov_b32 s18, exec_lo
	v_and_b32_sdwa v60, v0, v1 dst_sel:DWORD dst_unused:UNUSED_PAD src0_sel:BYTE_3 src1_sel:DWORD
	v_lshrrev_b32_e32 v1, 3, v2
	v_cmpx_gt_u32_e32 8, v2
; %bb.1318:                             ;   in Loop: Header=BB232_10 Depth=1
	v_ffbh_u32_e32 v1, v60
	v_min_u32_e32 v1, 32, v1
	v_subrev_nc_u32_e32 v2, 28, v1
	v_sub_nc_u32_e32 v1, 29, v1
	v_lshlrev_b64 v[2:3], v2, v[60:61]
	v_and_b32_e32 v60, 7, v2
; %bb.1319:                             ;   in Loop: Header=BB232_10 Depth=1
	s_or_b32 exec_lo, exec_lo, s18
	v_mov_b32_e32 v2, 24
	v_lshl_add_u32 v1, v1, 23, 0x3c000000
	v_lshlrev_b32_sdwa v0, v2, v0 dst_sel:DWORD dst_unused:UNUSED_PAD src0_sel:DWORD src1_sel:BYTE_3
	v_lshlrev_b32_e32 v2, 20, v60
	v_and_b32_e32 v0, 0x80000000, v0
	v_or3_b32 v1, v2, v0, v1
	v_mov_b32_e32 v0, v61
	buffer_store_dword v0, off, s[0:3], s32 offset:1484 ; 4-byte Folded Spill
	buffer_store_dword v1, off, s[0:3], s32 offset:1488 ; 4-byte Folded Spill
.LBB232_1320:                           ;   in Loop: Header=BB232_10 Depth=1
	s_or_b32 exec_lo, exec_lo, s17
.LBB232_1321:                           ;   in Loop: Header=BB232_10 Depth=1
	s_or_b32 exec_lo, exec_lo, s7
.LBB232_1322:                           ;   in Loop: Header=BB232_10 Depth=1
	s_or_b32 exec_lo, exec_lo, s6
	flat_load_dword v2, v[52:53] offset:1028
	v_mov_b32_e32 v0, 0
	v_mov_b32_e32 v1, 0
	buffer_store_dword v0, off, s[0:3], s32 offset:1508 ; 4-byte Folded Spill
	buffer_store_dword v1, off, s[0:3], s32 offset:1512 ; 4-byte Folded Spill
	v_mov_b32_e32 v0, 0
	v_mov_b32_e32 v1, 0
	buffer_store_dword v0, off, s[0:3], s32 offset:1532 ; 4-byte Folded Spill
	buffer_store_dword v1, off, s[0:3], s32 offset:1536 ; 4-byte Folded Spill
	s_waitcnt vmcnt(0) lgkmcnt(0)
	v_cmp_ne_u16_sdwa s5, v2, v61 src0_sel:BYTE_0 src1_sel:DWORD
	s_and_saveexec_b32 s6, s5
	s_cbranch_execz .LBB232_1330
; %bb.1323:                             ;   in Loop: Header=BB232_10 Depth=1
	v_bfrev_b32_e32 v0, 1
	v_mov_b32_e32 v1, 0
	buffer_store_dword v0, off, s[0:3], s32 offset:1532 ; 4-byte Folded Spill
	buffer_store_dword v1, off, s[0:3], s32 offset:1536 ; 4-byte Folded Spill
	v_mov_b32_e32 v0, 0x80
	v_cmp_ne_u16_sdwa s5, v2, v0 src0_sel:BYTE_0 src1_sel:DWORD
	s_and_saveexec_b32 s7, s5
	s_cbranch_execz .LBB232_1329
; %bb.1324:                             ;   in Loop: Header=BB232_10 Depth=1
	v_mov_b32_e32 v3, 0x7f800001
	v_and_b32_e32 v1, 0x7f, v2
	v_mov_b32_e32 v4, 0
	s_mov_b32 s17, exec_lo
	buffer_store_dword v3, off, s[0:3], s32 offset:1532 ; 4-byte Folded Spill
	buffer_store_dword v4, off, s[0:3], s32 offset:1536 ; 4-byte Folded Spill
	v_cmpx_ne_u32_e32 0x7f, v1
	s_cbranch_execz .LBB232_1328
; %bb.1325:                             ;   in Loop: Header=BB232_10 Depth=1
	v_and_b32_e32 v60, 7, v2
	v_lshrrev_b32_e32 v0, 3, v1
	s_mov_b32 s18, exec_lo
	v_cmpx_gt_u32_e32 8, v1
; %bb.1326:                             ;   in Loop: Header=BB232_10 Depth=1
	v_ffbh_u32_e32 v0, v60
	v_min_u32_e32 v0, 32, v0
	v_subrev_nc_u32_e32 v1, 28, v0
	v_sub_nc_u32_e32 v0, 29, v0
	v_lshlrev_b64 v[3:4], v1, v[60:61]
	v_and_b32_e32 v60, 7, v3
; %bb.1327:                             ;   in Loop: Header=BB232_10 Depth=1
	s_or_b32 exec_lo, exec_lo, s18
	v_lshlrev_b32_e32 v1, 24, v2
	v_lshlrev_b32_e32 v3, 20, v60
	v_lshl_add_u32 v0, v0, 23, 0x3c000000
	v_and_b32_e32 v1, 0x80000000, v1
	v_or3_b32 v60, v3, v1, v0
	buffer_store_dword v60, off, s[0:3], s32 offset:1532 ; 4-byte Folded Spill
	buffer_store_dword v61, off, s[0:3], s32 offset:1536 ; 4-byte Folded Spill
.LBB232_1328:                           ;   in Loop: Header=BB232_10 Depth=1
	s_or_b32 exec_lo, exec_lo, s17
.LBB232_1329:                           ;   in Loop: Header=BB232_10 Depth=1
	s_or_b32 exec_lo, exec_lo, s7
.LBB232_1330:                           ;   in Loop: Header=BB232_10 Depth=1
	s_or_b32 exec_lo, exec_lo, s6
	v_cmp_ne_u16_sdwa s5, v2, v61 src0_sel:BYTE_1 src1_sel:DWORD
	s_and_saveexec_b32 s6, s5
	s_cbranch_execz .LBB232_1338
; %bb.1331:                             ;   in Loop: Header=BB232_10 Depth=1
	v_mov_b32_e32 v0, 0x80
	v_mov_b32_e32 v84, v61
	buffer_store_dword v84, off, s[0:3], s32 offset:1508 ; 4-byte Folded Spill
	buffer_store_dword v85, off, s[0:3], s32 offset:1512 ; 4-byte Folded Spill
	v_cmp_ne_u16_sdwa s5, v2, v0 src0_sel:BYTE_1 src1_sel:DWORD
	s_and_saveexec_b32 s7, s5
	s_cbranch_execz .LBB232_1337
; %bb.1332:                             ;   in Loop: Header=BB232_10 Depth=1
	v_mov_b32_e32 v0, 0xffff
	v_mov_b32_e32 v86, v61
	s_mov_b32 s17, exec_lo
	buffer_store_dword v86, off, s[0:3], s32 offset:1508 ; 4-byte Folded Spill
	buffer_store_dword v87, off, s[0:3], s32 offset:1512 ; 4-byte Folded Spill
	v_and_b32_sdwa v0, v0, v2 dst_sel:DWORD dst_unused:UNUSED_PAD src0_sel:DWORD src1_sel:BYTE_1
	v_and_b32_e32 v1, 0x7f, v0
	v_cmpx_ne_u32_e32 0x7f, v1
	s_cbranch_execz .LBB232_1336
; %bb.1333:                             ;   in Loop: Header=BB232_10 Depth=1
	v_and_b32_e32 v60, 7, v0
	v_lshrrev_b32_e32 v0, 3, v1
	s_mov_b32 s18, exec_lo
	v_cmpx_gt_u32_e32 8, v1
; %bb.1334:                             ;   in Loop: Header=BB232_10 Depth=1
	v_ffbh_u32_e32 v0, v60
	v_min_u32_e32 v0, 32, v0
	v_subrev_nc_u32_e32 v1, 28, v0
	v_sub_nc_u32_e32 v0, 29, v0
	v_lshlrev_b64 v[3:4], v1, v[60:61]
	v_and_b32_e32 v60, 7, v3
; %bb.1335:                             ;   in Loop: Header=BB232_10 Depth=1
	s_or_b32 exec_lo, exec_lo, s18
	v_lshlrev_b32_e32 v1, 16, v2
	v_lshlrev_b32_e32 v3, 20, v60
	v_lshl_add_u32 v0, v0, 23, 0x3c000000
	v_and_b32_e32 v1, 0x80000000, v1
	v_or3_b32 v1, v3, v1, v0
	v_mov_b32_e32 v0, v61
	buffer_store_dword v0, off, s[0:3], s32 offset:1508 ; 4-byte Folded Spill
	buffer_store_dword v1, off, s[0:3], s32 offset:1512 ; 4-byte Folded Spill
.LBB232_1336:                           ;   in Loop: Header=BB232_10 Depth=1
	s_or_b32 exec_lo, exec_lo, s17
.LBB232_1337:                           ;   in Loop: Header=BB232_10 Depth=1
	s_or_b32 exec_lo, exec_lo, s7
.LBB232_1338:                           ;   in Loop: Header=BB232_10 Depth=1
	s_or_b32 exec_lo, exec_lo, s6
	v_mov_b32_e32 v3, 0
	v_mov_b32_e32 v4, 0
	;; [unrolled: 1-line block ×3, first 2 shown]
	s_mov_b32 s6, exec_lo
	buffer_store_dword v3, off, s[0:3], s32 offset:1516 ; 4-byte Folded Spill
	buffer_store_dword v4, off, s[0:3], s32 offset:1520 ; 4-byte Folded Spill
	v_mov_b32_e32 v3, 0
	v_and_b32_sdwa v0, v2, v0 dst_sel:DWORD dst_unused:UNUSED_PAD src0_sel:WORD_1 src1_sel:DWORD
	v_mov_b32_e32 v4, 0
	buffer_store_dword v3, off, s[0:3], s32 offset:1524 ; 4-byte Folded Spill
	buffer_store_dword v4, off, s[0:3], s32 offset:1528 ; 4-byte Folded Spill
	v_cmpx_ne_u16_e32 0, v0
	s_cbranch_execz .LBB232_1346
; %bb.1339:                             ;   in Loop: Header=BB232_10 Depth=1
	v_cmp_ne_u16_e64 s5, 0x80, v0
	v_bfrev_b32_e32 v0, 1
	v_mov_b32_e32 v1, 0
	buffer_store_dword v0, off, s[0:3], s32 offset:1524 ; 4-byte Folded Spill
	buffer_store_dword v1, off, s[0:3], s32 offset:1528 ; 4-byte Folded Spill
	s_and_saveexec_b32 s7, s5
	s_cbranch_execz .LBB232_1345
; %bb.1340:                             ;   in Loop: Header=BB232_10 Depth=1
	v_mov_b32_e32 v3, 0x7f800001
	v_bfe_u32 v1, v2, 16, 7
	v_mov_b32_e32 v4, 0
	s_mov_b32 s17, exec_lo
	buffer_store_dword v3, off, s[0:3], s32 offset:1524 ; 4-byte Folded Spill
	buffer_store_dword v4, off, s[0:3], s32 offset:1528 ; 4-byte Folded Spill
	v_cmpx_ne_u32_e32 0x7f, v1
	s_cbranch_execz .LBB232_1344
; %bb.1341:                             ;   in Loop: Header=BB232_10 Depth=1
	v_mov_b32_e32 v0, 7
	s_mov_b32 s18, exec_lo
	v_and_b32_sdwa v60, v2, v0 dst_sel:DWORD dst_unused:UNUSED_PAD src0_sel:WORD_1 src1_sel:DWORD
	v_lshrrev_b32_e32 v0, 3, v1
	v_cmpx_gt_u32_e32 8, v1
; %bb.1342:                             ;   in Loop: Header=BB232_10 Depth=1
	v_ffbh_u32_e32 v0, v60
	v_min_u32_e32 v0, 32, v0
	v_subrev_nc_u32_e32 v1, 28, v0
	v_sub_nc_u32_e32 v0, 29, v0
	v_lshlrev_b64 v[3:4], v1, v[60:61]
	v_and_b32_e32 v60, 7, v3
; %bb.1343:                             ;   in Loop: Header=BB232_10 Depth=1
	s_or_b32 exec_lo, exec_lo, s18
	v_mov_b32_e32 v1, 24
	v_lshlrev_b32_e32 v3, 20, v60
	v_lshl_add_u32 v0, v0, 23, 0x3c000000
	v_lshlrev_b32_sdwa v1, v1, v2 dst_sel:DWORD dst_unused:UNUSED_PAD src0_sel:DWORD src1_sel:WORD_1
	v_and_b32_e32 v1, 0x80000000, v1
	v_or3_b32 v60, v3, v1, v0
	buffer_store_dword v60, off, s[0:3], s32 offset:1524 ; 4-byte Folded Spill
	buffer_store_dword v61, off, s[0:3], s32 offset:1528 ; 4-byte Folded Spill
.LBB232_1344:                           ;   in Loop: Header=BB232_10 Depth=1
	s_or_b32 exec_lo, exec_lo, s17
.LBB232_1345:                           ;   in Loop: Header=BB232_10 Depth=1
	s_or_b32 exec_lo, exec_lo, s7
.LBB232_1346:                           ;   in Loop: Header=BB232_10 Depth=1
	s_or_b32 exec_lo, exec_lo, s6
	s_mov_b32 s6, exec_lo
	v_cmpx_lt_u32_e32 0xffffff, v2
	s_cbranch_execz .LBB232_1354
; %bb.1347:                             ;   in Loop: Header=BB232_10 Depth=1
	v_mov_b32_e32 v0, 0x80
	v_mov_b32_e32 v84, v61
	buffer_store_dword v84, off, s[0:3], s32 offset:1516 ; 4-byte Folded Spill
	buffer_store_dword v85, off, s[0:3], s32 offset:1520 ; 4-byte Folded Spill
	v_cmp_ne_u32_sdwa s5, v2, v0 src0_sel:BYTE_3 src1_sel:DWORD
	s_and_saveexec_b32 s7, s5
	s_cbranch_execz .LBB232_1353
; %bb.1348:                             ;   in Loop: Header=BB232_10 Depth=1
	v_bfe_u32 v0, v2, 24, 7
	v_mov_b32_e32 v86, v61
	s_mov_b32 s17, exec_lo
	buffer_store_dword v86, off, s[0:3], s32 offset:1516 ; 4-byte Folded Spill
	buffer_store_dword v87, off, s[0:3], s32 offset:1520 ; 4-byte Folded Spill
	v_cmpx_ne_u32_e32 0x7f, v0
	s_cbranch_execz .LBB232_1352
; %bb.1349:                             ;   in Loop: Header=BB232_10 Depth=1
	v_mov_b32_e32 v1, 7
	v_lshrrev_b32_e32 v3, 3, v0
	v_cmp_gt_u32_e64 s5, 8, v0
	v_and_b32_sdwa v60, v2, v1 dst_sel:DWORD dst_unused:UNUSED_PAD src0_sel:BYTE_3 src1_sel:DWORD
	v_mov_b32_e32 v0, v60
	v_mov_b32_e32 v1, v61
	s_and_saveexec_b32 s18, s5
; %bb.1350:                             ;   in Loop: Header=BB232_10 Depth=1
	v_ffbh_u32_e32 v0, v60
	v_min_u32_e32 v3, 32, v0
	v_subrev_nc_u32_e32 v0, 28, v3
	v_sub_nc_u32_e32 v3, 29, v3
	v_lshlrev_b64 v[0:1], v0, v[60:61]
	v_and_b32_e32 v0, 7, v0
; %bb.1351:                             ;   in Loop: Header=BB232_10 Depth=1
	s_or_b32 exec_lo, exec_lo, s18
	v_mov_b32_e32 v1, 24
	v_lshlrev_b32_e32 v0, 20, v0
	v_lshlrev_b32_sdwa v1, v1, v2 dst_sel:DWORD dst_unused:UNUSED_PAD src0_sel:DWORD src1_sel:BYTE_3
	v_lshl_add_u32 v2, v3, 23, 0x3c000000
	v_and_b32_e32 v1, 0x80000000, v1
	v_or3_b32 v1, v0, v1, v2
	v_mov_b32_e32 v0, v61
	buffer_store_dword v0, off, s[0:3], s32 offset:1516 ; 4-byte Folded Spill
	buffer_store_dword v1, off, s[0:3], s32 offset:1520 ; 4-byte Folded Spill
.LBB232_1352:                           ;   in Loop: Header=BB232_10 Depth=1
	s_or_b32 exec_lo, exec_lo, s17
.LBB232_1353:                           ;   in Loop: Header=BB232_10 Depth=1
	s_or_b32 exec_lo, exec_lo, s7
.LBB232_1354:                           ;   in Loop: Header=BB232_10 Depth=1
	s_or_b32 exec_lo, exec_lo, s6
	flat_load_dword v2, v[52:53] offset:1032
	v_mov_b32_e32 v0, 0
	v_mov_b32_e32 v1, 0
	buffer_store_dword v0, off, s[0:3], s32 offset:1540 ; 4-byte Folded Spill
	buffer_store_dword v1, off, s[0:3], s32 offset:1544 ; 4-byte Folded Spill
	v_mov_b32_e32 v0, 0
	v_mov_b32_e32 v1, 0
	buffer_store_dword v0, off, s[0:3], s32 offset:1564 ; 4-byte Folded Spill
	buffer_store_dword v1, off, s[0:3], s32 offset:1568 ; 4-byte Folded Spill
	s_waitcnt vmcnt(0) lgkmcnt(0)
	v_cmp_ne_u16_sdwa s5, v2, v61 src0_sel:BYTE_0 src1_sel:DWORD
	s_and_saveexec_b32 s6, s5
	s_cbranch_execz .LBB232_1362
; %bb.1355:                             ;   in Loop: Header=BB232_10 Depth=1
	v_bfrev_b32_e32 v0, 1
	v_mov_b32_e32 v1, 0
	buffer_store_dword v0, off, s[0:3], s32 offset:1564 ; 4-byte Folded Spill
	buffer_store_dword v1, off, s[0:3], s32 offset:1568 ; 4-byte Folded Spill
	v_mov_b32_e32 v0, 0x80
	v_cmp_ne_u16_sdwa s5, v2, v0 src0_sel:BYTE_0 src1_sel:DWORD
	s_and_saveexec_b32 s7, s5
	s_cbranch_execz .LBB232_1361
; %bb.1356:                             ;   in Loop: Header=BB232_10 Depth=1
	v_mov_b32_e32 v3, 0x7f800001
	v_and_b32_e32 v0, 0x7f, v2
	v_mov_b32_e32 v4, 0
	s_mov_b32 s17, exec_lo
	buffer_store_dword v3, off, s[0:3], s32 offset:1564 ; 4-byte Folded Spill
	buffer_store_dword v4, off, s[0:3], s32 offset:1568 ; 4-byte Folded Spill
	v_cmpx_ne_u32_e32 0x7f, v0
	s_cbranch_execz .LBB232_1360
; %bb.1357:                             ;   in Loop: Header=BB232_10 Depth=1
	v_and_b32_e32 v60, 7, v2
	v_lshrrev_b32_e32 v3, 3, v0
	v_cmp_gt_u32_e64 s5, 8, v0
	v_mov_b32_e32 v0, v60
	v_mov_b32_e32 v1, v61
	s_and_saveexec_b32 s18, s5
; %bb.1358:                             ;   in Loop: Header=BB232_10 Depth=1
	v_ffbh_u32_e32 v0, v60
	v_min_u32_e32 v3, 32, v0
	v_subrev_nc_u32_e32 v0, 28, v3
	v_sub_nc_u32_e32 v3, 29, v3
	v_lshlrev_b64 v[0:1], v0, v[60:61]
	v_and_b32_e32 v0, 7, v0
; %bb.1359:                             ;   in Loop: Header=BB232_10 Depth=1
	s_or_b32 exec_lo, exec_lo, s18
	v_lshlrev_b32_e32 v1, 24, v2
	v_lshlrev_b32_e32 v0, 20, v0
	v_lshl_add_u32 v3, v3, 23, 0x3c000000
	v_and_b32_e32 v1, 0x80000000, v1
	v_or3_b32 v60, v0, v1, v3
	buffer_store_dword v60, off, s[0:3], s32 offset:1564 ; 4-byte Folded Spill
	buffer_store_dword v61, off, s[0:3], s32 offset:1568 ; 4-byte Folded Spill
.LBB232_1360:                           ;   in Loop: Header=BB232_10 Depth=1
	s_or_b32 exec_lo, exec_lo, s17
.LBB232_1361:                           ;   in Loop: Header=BB232_10 Depth=1
	s_or_b32 exec_lo, exec_lo, s7
.LBB232_1362:                           ;   in Loop: Header=BB232_10 Depth=1
	s_or_b32 exec_lo, exec_lo, s6
	v_cmp_ne_u16_sdwa s5, v2, v61 src0_sel:BYTE_1 src1_sel:DWORD
	s_and_saveexec_b32 s6, s5
	s_cbranch_execz .LBB232_1370
; %bb.1363:                             ;   in Loop: Header=BB232_10 Depth=1
	v_mov_b32_e32 v0, 0x80
	v_mov_b32_e32 v84, v61
	buffer_store_dword v84, off, s[0:3], s32 offset:1540 ; 4-byte Folded Spill
	buffer_store_dword v85, off, s[0:3], s32 offset:1544 ; 4-byte Folded Spill
	v_cmp_ne_u16_sdwa s5, v2, v0 src0_sel:BYTE_1 src1_sel:DWORD
	s_and_saveexec_b32 s7, s5
	s_cbranch_execz .LBB232_1369
; %bb.1364:                             ;   in Loop: Header=BB232_10 Depth=1
	v_mov_b32_e32 v0, 0xffff
	v_mov_b32_e32 v86, v61
	s_mov_b32 s17, exec_lo
	buffer_store_dword v86, off, s[0:3], s32 offset:1540 ; 4-byte Folded Spill
	buffer_store_dword v87, off, s[0:3], s32 offset:1544 ; 4-byte Folded Spill
	v_and_b32_sdwa v1, v0, v2 dst_sel:DWORD dst_unused:UNUSED_PAD src0_sel:DWORD src1_sel:BYTE_1
	v_and_b32_e32 v0, 0x7f, v1
	v_cmpx_ne_u32_e32 0x7f, v0
	s_cbranch_execz .LBB232_1368
; %bb.1365:                             ;   in Loop: Header=BB232_10 Depth=1
	v_and_b32_e32 v60, 7, v1
	v_lshrrev_b32_e32 v3, 3, v0
	v_cmp_gt_u32_e64 s5, 8, v0
	v_mov_b32_e32 v0, v60
	v_mov_b32_e32 v1, v61
	s_and_saveexec_b32 s18, s5
; %bb.1366:                             ;   in Loop: Header=BB232_10 Depth=1
	v_ffbh_u32_e32 v0, v60
	v_min_u32_e32 v3, 32, v0
	v_subrev_nc_u32_e32 v0, 28, v3
	v_sub_nc_u32_e32 v3, 29, v3
	v_lshlrev_b64 v[0:1], v0, v[60:61]
	v_and_b32_e32 v0, 7, v0
; %bb.1367:                             ;   in Loop: Header=BB232_10 Depth=1
	s_or_b32 exec_lo, exec_lo, s18
	v_lshlrev_b32_e32 v1, 16, v2
	v_lshlrev_b32_e32 v0, 20, v0
	v_lshl_add_u32 v3, v3, 23, 0x3c000000
	v_and_b32_e32 v1, 0x80000000, v1
	v_or3_b32 v1, v0, v1, v3
	v_mov_b32_e32 v0, v61
	buffer_store_dword v0, off, s[0:3], s32 offset:1540 ; 4-byte Folded Spill
	buffer_store_dword v1, off, s[0:3], s32 offset:1544 ; 4-byte Folded Spill
.LBB232_1368:                           ;   in Loop: Header=BB232_10 Depth=1
	s_or_b32 exec_lo, exec_lo, s17
.LBB232_1369:                           ;   in Loop: Header=BB232_10 Depth=1
	s_or_b32 exec_lo, exec_lo, s7
.LBB232_1370:                           ;   in Loop: Header=BB232_10 Depth=1
	s_or_b32 exec_lo, exec_lo, s6
	v_mov_b32_e32 v3, 0
	v_mov_b32_e32 v4, 0
	v_mov_b32_e32 v0, 0xff
	s_mov_b32 s6, exec_lo
	buffer_store_dword v3, off, s[0:3], s32 offset:1548 ; 4-byte Folded Spill
	buffer_store_dword v4, off, s[0:3], s32 offset:1552 ; 4-byte Folded Spill
	v_mov_b32_e32 v3, 0
	v_and_b32_sdwa v0, v2, v0 dst_sel:DWORD dst_unused:UNUSED_PAD src0_sel:WORD_1 src1_sel:DWORD
	v_mov_b32_e32 v4, 0
	buffer_store_dword v3, off, s[0:3], s32 offset:1556 ; 4-byte Folded Spill
	buffer_store_dword v4, off, s[0:3], s32 offset:1560 ; 4-byte Folded Spill
	v_cmpx_ne_u16_e32 0, v0
	s_cbranch_execz .LBB232_1378
; %bb.1371:                             ;   in Loop: Header=BB232_10 Depth=1
	v_cmp_ne_u16_e64 s5, 0x80, v0
	v_bfrev_b32_e32 v0, 1
	v_mov_b32_e32 v1, 0
	buffer_store_dword v0, off, s[0:3], s32 offset:1556 ; 4-byte Folded Spill
	buffer_store_dword v1, off, s[0:3], s32 offset:1560 ; 4-byte Folded Spill
	s_and_saveexec_b32 s7, s5
	s_cbranch_execz .LBB232_1377
; %bb.1372:                             ;   in Loop: Header=BB232_10 Depth=1
	v_mov_b32_e32 v3, 0x7f800001
	v_bfe_u32 v0, v2, 16, 7
	v_mov_b32_e32 v4, 0
	s_mov_b32 s17, exec_lo
	buffer_store_dword v3, off, s[0:3], s32 offset:1556 ; 4-byte Folded Spill
	buffer_store_dword v4, off, s[0:3], s32 offset:1560 ; 4-byte Folded Spill
	v_cmpx_ne_u32_e32 0x7f, v0
	s_cbranch_execz .LBB232_1376
; %bb.1373:                             ;   in Loop: Header=BB232_10 Depth=1
	v_mov_b32_e32 v1, 7
	v_lshrrev_b32_e32 v3, 3, v0
	v_cmp_gt_u32_e64 s5, 8, v0
	v_and_b32_sdwa v60, v2, v1 dst_sel:DWORD dst_unused:UNUSED_PAD src0_sel:WORD_1 src1_sel:DWORD
	v_mov_b32_e32 v0, v60
	v_mov_b32_e32 v1, v61
	s_and_saveexec_b32 s18, s5
; %bb.1374:                             ;   in Loop: Header=BB232_10 Depth=1
	v_ffbh_u32_e32 v0, v60
	v_min_u32_e32 v3, 32, v0
	v_subrev_nc_u32_e32 v0, 28, v3
	v_sub_nc_u32_e32 v3, 29, v3
	v_lshlrev_b64 v[0:1], v0, v[60:61]
	v_and_b32_e32 v0, 7, v0
; %bb.1375:                             ;   in Loop: Header=BB232_10 Depth=1
	s_or_b32 exec_lo, exec_lo, s18
	v_mov_b32_e32 v1, 24
	v_lshlrev_b32_e32 v0, 20, v0
	v_lshl_add_u32 v3, v3, 23, 0x3c000000
	v_lshlrev_b32_sdwa v1, v1, v2 dst_sel:DWORD dst_unused:UNUSED_PAD src0_sel:DWORD src1_sel:WORD_1
	v_and_b32_e32 v1, 0x80000000, v1
	v_or3_b32 v60, v0, v1, v3
	buffer_store_dword v60, off, s[0:3], s32 offset:1556 ; 4-byte Folded Spill
	buffer_store_dword v61, off, s[0:3], s32 offset:1560 ; 4-byte Folded Spill
.LBB232_1376:                           ;   in Loop: Header=BB232_10 Depth=1
	s_or_b32 exec_lo, exec_lo, s17
.LBB232_1377:                           ;   in Loop: Header=BB232_10 Depth=1
	s_or_b32 exec_lo, exec_lo, s7
.LBB232_1378:                           ;   in Loop: Header=BB232_10 Depth=1
	s_or_b32 exec_lo, exec_lo, s6
	s_mov_b32 s6, exec_lo
	v_cmpx_lt_u32_e32 0xffffff, v2
	s_cbranch_execz .LBB232_1386
; %bb.1379:                             ;   in Loop: Header=BB232_10 Depth=1
	v_mov_b32_e32 v0, 0x80
	v_mov_b32_e32 v84, v61
	buffer_store_dword v84, off, s[0:3], s32 offset:1548 ; 4-byte Folded Spill
	buffer_store_dword v85, off, s[0:3], s32 offset:1552 ; 4-byte Folded Spill
	v_cmp_ne_u32_sdwa s5, v2, v0 src0_sel:BYTE_3 src1_sel:DWORD
	s_and_saveexec_b32 s7, s5
	s_cbranch_execz .LBB232_1385
; %bb.1380:                             ;   in Loop: Header=BB232_10 Depth=1
	v_bfe_u32 v0, v2, 24, 7
	v_mov_b32_e32 v86, v61
	s_mov_b32 s17, exec_lo
	buffer_store_dword v86, off, s[0:3], s32 offset:1548 ; 4-byte Folded Spill
	buffer_store_dword v87, off, s[0:3], s32 offset:1552 ; 4-byte Folded Spill
	v_cmpx_ne_u32_e32 0x7f, v0
	s_cbranch_execz .LBB232_1384
; %bb.1381:                             ;   in Loop: Header=BB232_10 Depth=1
	v_mov_b32_e32 v1, 7
	v_lshrrev_b32_e32 v3, 3, v0
	v_cmp_gt_u32_e64 s5, 8, v0
	v_and_b32_sdwa v60, v2, v1 dst_sel:DWORD dst_unused:UNUSED_PAD src0_sel:BYTE_3 src1_sel:DWORD
	v_mov_b32_e32 v0, v60
	v_mov_b32_e32 v1, v61
	s_and_saveexec_b32 s18, s5
; %bb.1382:                             ;   in Loop: Header=BB232_10 Depth=1
	v_ffbh_u32_e32 v0, v60
	v_min_u32_e32 v3, 32, v0
	v_subrev_nc_u32_e32 v0, 28, v3
	v_sub_nc_u32_e32 v3, 29, v3
	v_lshlrev_b64 v[0:1], v0, v[60:61]
	v_and_b32_e32 v0, 7, v0
; %bb.1383:                             ;   in Loop: Header=BB232_10 Depth=1
	s_or_b32 exec_lo, exec_lo, s18
	v_mov_b32_e32 v1, 24
	v_lshlrev_b32_e32 v0, 20, v0
	v_lshlrev_b32_sdwa v1, v1, v2 dst_sel:DWORD dst_unused:UNUSED_PAD src0_sel:DWORD src1_sel:BYTE_3
	v_lshl_add_u32 v2, v3, 23, 0x3c000000
	v_and_b32_e32 v1, 0x80000000, v1
	v_or3_b32 v1, v0, v1, v2
	v_mov_b32_e32 v0, v61
	buffer_store_dword v0, off, s[0:3], s32 offset:1548 ; 4-byte Folded Spill
	buffer_store_dword v1, off, s[0:3], s32 offset:1552 ; 4-byte Folded Spill
.LBB232_1384:                           ;   in Loop: Header=BB232_10 Depth=1
	s_or_b32 exec_lo, exec_lo, s17
.LBB232_1385:                           ;   in Loop: Header=BB232_10 Depth=1
	s_or_b32 exec_lo, exec_lo, s7
.LBB232_1386:                           ;   in Loop: Header=BB232_10 Depth=1
	s_or_b32 exec_lo, exec_lo, s6
	flat_load_dword v2, v[52:53] offset:1036
	v_mov_b32_e32 v0, 0
	v_mov_b32_e32 v1, 0
	buffer_store_dword v0, off, s[0:3], s32 offset:1572 ; 4-byte Folded Spill
	buffer_store_dword v1, off, s[0:3], s32 offset:1576 ; 4-byte Folded Spill
	v_mov_b32_e32 v0, 0
	v_mov_b32_e32 v1, 0
	buffer_store_dword v0, off, s[0:3], s32 offset:1596 ; 4-byte Folded Spill
	buffer_store_dword v1, off, s[0:3], s32 offset:1600 ; 4-byte Folded Spill
	s_waitcnt vmcnt(0) lgkmcnt(0)
	v_cmp_ne_u16_sdwa s5, v2, v61 src0_sel:BYTE_0 src1_sel:DWORD
	s_and_saveexec_b32 s6, s5
	s_cbranch_execz .LBB232_1394
; %bb.1387:                             ;   in Loop: Header=BB232_10 Depth=1
	v_bfrev_b32_e32 v0, 1
	v_mov_b32_e32 v1, 0
	buffer_store_dword v0, off, s[0:3], s32 offset:1596 ; 4-byte Folded Spill
	buffer_store_dword v1, off, s[0:3], s32 offset:1600 ; 4-byte Folded Spill
	v_mov_b32_e32 v0, 0x80
	v_cmp_ne_u16_sdwa s5, v2, v0 src0_sel:BYTE_0 src1_sel:DWORD
	s_and_saveexec_b32 s7, s5
	s_cbranch_execz .LBB232_1393
; %bb.1388:                             ;   in Loop: Header=BB232_10 Depth=1
	v_mov_b32_e32 v3, 0x7f800001
	v_and_b32_e32 v0, 0x7f, v2
	v_mov_b32_e32 v4, 0
	s_mov_b32 s17, exec_lo
	buffer_store_dword v3, off, s[0:3], s32 offset:1596 ; 4-byte Folded Spill
	buffer_store_dword v4, off, s[0:3], s32 offset:1600 ; 4-byte Folded Spill
	v_cmpx_ne_u32_e32 0x7f, v0
	s_cbranch_execz .LBB232_1392
; %bb.1389:                             ;   in Loop: Header=BB232_10 Depth=1
	v_and_b32_e32 v60, 7, v2
	v_lshrrev_b32_e32 v3, 3, v0
	v_cmp_gt_u32_e64 s5, 8, v0
	v_mov_b32_e32 v0, v60
	v_mov_b32_e32 v1, v61
	s_and_saveexec_b32 s18, s5
; %bb.1390:                             ;   in Loop: Header=BB232_10 Depth=1
	v_ffbh_u32_e32 v0, v60
	v_min_u32_e32 v3, 32, v0
	v_subrev_nc_u32_e32 v0, 28, v3
	v_sub_nc_u32_e32 v3, 29, v3
	v_lshlrev_b64 v[0:1], v0, v[60:61]
	v_and_b32_e32 v0, 7, v0
; %bb.1391:                             ;   in Loop: Header=BB232_10 Depth=1
	s_or_b32 exec_lo, exec_lo, s18
	v_lshlrev_b32_e32 v1, 24, v2
	v_lshlrev_b32_e32 v0, 20, v0
	v_lshl_add_u32 v3, v3, 23, 0x3c000000
	v_and_b32_e32 v1, 0x80000000, v1
	v_or3_b32 v60, v0, v1, v3
	buffer_store_dword v60, off, s[0:3], s32 offset:1596 ; 4-byte Folded Spill
	buffer_store_dword v61, off, s[0:3], s32 offset:1600 ; 4-byte Folded Spill
.LBB232_1392:                           ;   in Loop: Header=BB232_10 Depth=1
	s_or_b32 exec_lo, exec_lo, s17
.LBB232_1393:                           ;   in Loop: Header=BB232_10 Depth=1
	s_or_b32 exec_lo, exec_lo, s7
.LBB232_1394:                           ;   in Loop: Header=BB232_10 Depth=1
	s_or_b32 exec_lo, exec_lo, s6
	v_cmp_ne_u16_sdwa s5, v2, v61 src0_sel:BYTE_1 src1_sel:DWORD
	s_and_saveexec_b32 s6, s5
	s_cbranch_execz .LBB232_1402
; %bb.1395:                             ;   in Loop: Header=BB232_10 Depth=1
	v_mov_b32_e32 v0, 0x80
	v_mov_b32_e32 v84, v61
	buffer_store_dword v84, off, s[0:3], s32 offset:1572 ; 4-byte Folded Spill
	buffer_store_dword v85, off, s[0:3], s32 offset:1576 ; 4-byte Folded Spill
	v_cmp_ne_u16_sdwa s5, v2, v0 src0_sel:BYTE_1 src1_sel:DWORD
	s_and_saveexec_b32 s7, s5
	s_cbranch_execz .LBB232_1401
; %bb.1396:                             ;   in Loop: Header=BB232_10 Depth=1
	v_mov_b32_e32 v0, 0xffff
	v_mov_b32_e32 v86, v61
	s_mov_b32 s17, exec_lo
	buffer_store_dword v86, off, s[0:3], s32 offset:1572 ; 4-byte Folded Spill
	buffer_store_dword v87, off, s[0:3], s32 offset:1576 ; 4-byte Folded Spill
	v_and_b32_sdwa v1, v0, v2 dst_sel:DWORD dst_unused:UNUSED_PAD src0_sel:DWORD src1_sel:BYTE_1
	v_and_b32_e32 v0, 0x7f, v1
	v_cmpx_ne_u32_e32 0x7f, v0
	s_cbranch_execz .LBB232_1400
; %bb.1397:                             ;   in Loop: Header=BB232_10 Depth=1
	v_and_b32_e32 v60, 7, v1
	v_lshrrev_b32_e32 v3, 3, v0
	v_cmp_gt_u32_e64 s5, 8, v0
	v_mov_b32_e32 v0, v60
	v_mov_b32_e32 v1, v61
	s_and_saveexec_b32 s18, s5
; %bb.1398:                             ;   in Loop: Header=BB232_10 Depth=1
	v_ffbh_u32_e32 v0, v60
	v_min_u32_e32 v3, 32, v0
	v_subrev_nc_u32_e32 v0, 28, v3
	v_sub_nc_u32_e32 v3, 29, v3
	v_lshlrev_b64 v[0:1], v0, v[60:61]
	v_and_b32_e32 v0, 7, v0
; %bb.1399:                             ;   in Loop: Header=BB232_10 Depth=1
	s_or_b32 exec_lo, exec_lo, s18
	v_lshlrev_b32_e32 v1, 16, v2
	v_lshlrev_b32_e32 v0, 20, v0
	v_lshl_add_u32 v3, v3, 23, 0x3c000000
	v_and_b32_e32 v1, 0x80000000, v1
	v_or3_b32 v1, v0, v1, v3
	v_mov_b32_e32 v0, v61
	buffer_store_dword v0, off, s[0:3], s32 offset:1572 ; 4-byte Folded Spill
	buffer_store_dword v1, off, s[0:3], s32 offset:1576 ; 4-byte Folded Spill
.LBB232_1400:                           ;   in Loop: Header=BB232_10 Depth=1
	s_or_b32 exec_lo, exec_lo, s17
.LBB232_1401:                           ;   in Loop: Header=BB232_10 Depth=1
	s_or_b32 exec_lo, exec_lo, s7
.LBB232_1402:                           ;   in Loop: Header=BB232_10 Depth=1
	s_or_b32 exec_lo, exec_lo, s6
	v_mov_b32_e32 v3, 0
	v_mov_b32_e32 v4, 0
	;; [unrolled: 1-line block ×3, first 2 shown]
	s_mov_b32 s6, exec_lo
	buffer_store_dword v3, off, s[0:3], s32 offset:1580 ; 4-byte Folded Spill
	buffer_store_dword v4, off, s[0:3], s32 offset:1584 ; 4-byte Folded Spill
	v_mov_b32_e32 v3, 0
	v_and_b32_sdwa v0, v2, v0 dst_sel:DWORD dst_unused:UNUSED_PAD src0_sel:WORD_1 src1_sel:DWORD
	v_mov_b32_e32 v4, 0
	buffer_store_dword v3, off, s[0:3], s32 offset:1588 ; 4-byte Folded Spill
	buffer_store_dword v4, off, s[0:3], s32 offset:1592 ; 4-byte Folded Spill
	v_cmpx_ne_u16_e32 0, v0
	s_cbranch_execz .LBB232_1410
; %bb.1403:                             ;   in Loop: Header=BB232_10 Depth=1
	v_cmp_ne_u16_e64 s5, 0x80, v0
	v_bfrev_b32_e32 v0, 1
	v_mov_b32_e32 v1, 0
	buffer_store_dword v0, off, s[0:3], s32 offset:1588 ; 4-byte Folded Spill
	buffer_store_dword v1, off, s[0:3], s32 offset:1592 ; 4-byte Folded Spill
	s_and_saveexec_b32 s7, s5
	s_cbranch_execz .LBB232_1409
; %bb.1404:                             ;   in Loop: Header=BB232_10 Depth=1
	v_mov_b32_e32 v3, 0x7f800001
	v_bfe_u32 v0, v2, 16, 7
	v_mov_b32_e32 v4, 0
	s_mov_b32 s17, exec_lo
	buffer_store_dword v3, off, s[0:3], s32 offset:1588 ; 4-byte Folded Spill
	buffer_store_dword v4, off, s[0:3], s32 offset:1592 ; 4-byte Folded Spill
	v_cmpx_ne_u32_e32 0x7f, v0
	s_cbranch_execz .LBB232_1408
; %bb.1405:                             ;   in Loop: Header=BB232_10 Depth=1
	v_mov_b32_e32 v1, 7
	v_lshrrev_b32_e32 v3, 3, v0
	v_cmp_gt_u32_e64 s5, 8, v0
	v_and_b32_sdwa v60, v2, v1 dst_sel:DWORD dst_unused:UNUSED_PAD src0_sel:WORD_1 src1_sel:DWORD
	v_mov_b32_e32 v0, v60
	v_mov_b32_e32 v1, v61
	s_and_saveexec_b32 s18, s5
; %bb.1406:                             ;   in Loop: Header=BB232_10 Depth=1
	v_ffbh_u32_e32 v0, v60
	v_min_u32_e32 v3, 32, v0
	v_subrev_nc_u32_e32 v0, 28, v3
	v_sub_nc_u32_e32 v3, 29, v3
	v_lshlrev_b64 v[0:1], v0, v[60:61]
	v_and_b32_e32 v0, 7, v0
; %bb.1407:                             ;   in Loop: Header=BB232_10 Depth=1
	s_or_b32 exec_lo, exec_lo, s18
	v_mov_b32_e32 v1, 24
	v_lshlrev_b32_e32 v0, 20, v0
	v_lshl_add_u32 v3, v3, 23, 0x3c000000
	v_lshlrev_b32_sdwa v1, v1, v2 dst_sel:DWORD dst_unused:UNUSED_PAD src0_sel:DWORD src1_sel:WORD_1
	v_and_b32_e32 v1, 0x80000000, v1
	v_or3_b32 v60, v0, v1, v3
	buffer_store_dword v60, off, s[0:3], s32 offset:1588 ; 4-byte Folded Spill
	buffer_store_dword v61, off, s[0:3], s32 offset:1592 ; 4-byte Folded Spill
.LBB232_1408:                           ;   in Loop: Header=BB232_10 Depth=1
	s_or_b32 exec_lo, exec_lo, s17
.LBB232_1409:                           ;   in Loop: Header=BB232_10 Depth=1
	s_or_b32 exec_lo, exec_lo, s7
.LBB232_1410:                           ;   in Loop: Header=BB232_10 Depth=1
	s_or_b32 exec_lo, exec_lo, s6
	s_mov_b32 s6, exec_lo
	v_cmpx_lt_u32_e32 0xffffff, v2
	s_cbranch_execz .LBB232_1418
; %bb.1411:                             ;   in Loop: Header=BB232_10 Depth=1
	v_mov_b32_e32 v0, 0x80
	v_mov_b32_e32 v84, v61
	buffer_store_dword v84, off, s[0:3], s32 offset:1580 ; 4-byte Folded Spill
	buffer_store_dword v85, off, s[0:3], s32 offset:1584 ; 4-byte Folded Spill
	v_cmp_ne_u32_sdwa s5, v2, v0 src0_sel:BYTE_3 src1_sel:DWORD
	s_and_saveexec_b32 s7, s5
	s_cbranch_execz .LBB232_1417
; %bb.1412:                             ;   in Loop: Header=BB232_10 Depth=1
	v_bfe_u32 v0, v2, 24, 7
	v_mov_b32_e32 v86, v61
	s_mov_b32 s17, exec_lo
	buffer_store_dword v86, off, s[0:3], s32 offset:1580 ; 4-byte Folded Spill
	buffer_store_dword v87, off, s[0:3], s32 offset:1584 ; 4-byte Folded Spill
	v_cmpx_ne_u32_e32 0x7f, v0
	s_cbranch_execz .LBB232_1416
; %bb.1413:                             ;   in Loop: Header=BB232_10 Depth=1
	v_mov_b32_e32 v1, 7
	v_lshrrev_b32_e32 v3, 3, v0
	v_cmp_gt_u32_e64 s5, 8, v0
	v_and_b32_sdwa v60, v2, v1 dst_sel:DWORD dst_unused:UNUSED_PAD src0_sel:BYTE_3 src1_sel:DWORD
	v_mov_b32_e32 v0, v60
	v_mov_b32_e32 v1, v61
	s_and_saveexec_b32 s18, s5
; %bb.1414:                             ;   in Loop: Header=BB232_10 Depth=1
	v_ffbh_u32_e32 v0, v60
	v_min_u32_e32 v3, 32, v0
	v_subrev_nc_u32_e32 v0, 28, v3
	v_sub_nc_u32_e32 v3, 29, v3
	v_lshlrev_b64 v[0:1], v0, v[60:61]
	v_and_b32_e32 v0, 7, v0
; %bb.1415:                             ;   in Loop: Header=BB232_10 Depth=1
	s_or_b32 exec_lo, exec_lo, s18
	v_mov_b32_e32 v1, 24
	v_lshlrev_b32_e32 v0, 20, v0
	v_lshlrev_b32_sdwa v1, v1, v2 dst_sel:DWORD dst_unused:UNUSED_PAD src0_sel:DWORD src1_sel:BYTE_3
	v_lshl_add_u32 v2, v3, 23, 0x3c000000
	v_and_b32_e32 v1, 0x80000000, v1
	v_or3_b32 v1, v0, v1, v2
	v_mov_b32_e32 v0, v61
	buffer_store_dword v0, off, s[0:3], s32 offset:1580 ; 4-byte Folded Spill
	buffer_store_dword v1, off, s[0:3], s32 offset:1584 ; 4-byte Folded Spill
.LBB232_1416:                           ;   in Loop: Header=BB232_10 Depth=1
	s_or_b32 exec_lo, exec_lo, s17
.LBB232_1417:                           ;   in Loop: Header=BB232_10 Depth=1
	s_or_b32 exec_lo, exec_lo, s7
.LBB232_1418:                           ;   in Loop: Header=BB232_10 Depth=1
	s_or_b32 exec_lo, exec_lo, s6
	flat_load_dword v2, v[52:53] offset:1536
	v_mov_b32_e32 v0, 0
	v_mov_b32_e32 v1, 0
	buffer_store_dword v0, off, s[0:3], s32 offset:1604 ; 4-byte Folded Spill
	buffer_store_dword v1, off, s[0:3], s32 offset:1608 ; 4-byte Folded Spill
	v_mov_b32_e32 v0, 0
	v_mov_b32_e32 v1, 0
	buffer_store_dword v0, off, s[0:3], s32 offset:1628 ; 4-byte Folded Spill
	buffer_store_dword v1, off, s[0:3], s32 offset:1632 ; 4-byte Folded Spill
	s_waitcnt vmcnt(0) lgkmcnt(0)
	v_cmp_ne_u16_sdwa s5, v2, v61 src0_sel:BYTE_0 src1_sel:DWORD
	s_and_saveexec_b32 s6, s5
	s_cbranch_execz .LBB232_1426
; %bb.1419:                             ;   in Loop: Header=BB232_10 Depth=1
	v_bfrev_b32_e32 v0, 1
	v_mov_b32_e32 v1, 0
	buffer_store_dword v0, off, s[0:3], s32 offset:1628 ; 4-byte Folded Spill
	buffer_store_dword v1, off, s[0:3], s32 offset:1632 ; 4-byte Folded Spill
	v_mov_b32_e32 v0, 0x80
	v_cmp_ne_u16_sdwa s5, v2, v0 src0_sel:BYTE_0 src1_sel:DWORD
	s_and_saveexec_b32 s7, s5
	s_cbranch_execz .LBB232_1425
; %bb.1420:                             ;   in Loop: Header=BB232_10 Depth=1
	v_mov_b32_e32 v3, 0x7f800001
	v_and_b32_e32 v0, 0x7f, v2
	v_mov_b32_e32 v4, 0
	s_mov_b32 s17, exec_lo
	buffer_store_dword v3, off, s[0:3], s32 offset:1628 ; 4-byte Folded Spill
	buffer_store_dword v4, off, s[0:3], s32 offset:1632 ; 4-byte Folded Spill
	v_cmpx_ne_u32_e32 0x7f, v0
	s_cbranch_execz .LBB232_1424
; %bb.1421:                             ;   in Loop: Header=BB232_10 Depth=1
	v_and_b32_e32 v60, 7, v2
	v_lshrrev_b32_e32 v3, 3, v0
	v_cmp_gt_u32_e64 s5, 8, v0
	v_mov_b32_e32 v0, v60
	v_mov_b32_e32 v1, v61
	s_and_saveexec_b32 s18, s5
; %bb.1422:                             ;   in Loop: Header=BB232_10 Depth=1
	v_ffbh_u32_e32 v0, v60
	v_min_u32_e32 v3, 32, v0
	v_subrev_nc_u32_e32 v0, 28, v3
	v_sub_nc_u32_e32 v3, 29, v3
	v_lshlrev_b64 v[0:1], v0, v[60:61]
	v_and_b32_e32 v0, 7, v0
; %bb.1423:                             ;   in Loop: Header=BB232_10 Depth=1
	s_or_b32 exec_lo, exec_lo, s18
	v_lshlrev_b32_e32 v1, 24, v2
	v_lshlrev_b32_e32 v0, 20, v0
	v_lshl_add_u32 v3, v3, 23, 0x3c000000
	v_and_b32_e32 v1, 0x80000000, v1
	v_or3_b32 v60, v0, v1, v3
	buffer_store_dword v60, off, s[0:3], s32 offset:1628 ; 4-byte Folded Spill
	buffer_store_dword v61, off, s[0:3], s32 offset:1632 ; 4-byte Folded Spill
.LBB232_1424:                           ;   in Loop: Header=BB232_10 Depth=1
	s_or_b32 exec_lo, exec_lo, s17
.LBB232_1425:                           ;   in Loop: Header=BB232_10 Depth=1
	s_or_b32 exec_lo, exec_lo, s7
.LBB232_1426:                           ;   in Loop: Header=BB232_10 Depth=1
	s_or_b32 exec_lo, exec_lo, s6
	v_cmp_ne_u16_sdwa s5, v2, v61 src0_sel:BYTE_1 src1_sel:DWORD
	s_and_saveexec_b32 s6, s5
	s_cbranch_execz .LBB232_1434
; %bb.1427:                             ;   in Loop: Header=BB232_10 Depth=1
	v_mov_b32_e32 v0, 0x80
	v_mov_b32_e32 v84, v61
	buffer_store_dword v84, off, s[0:3], s32 offset:1604 ; 4-byte Folded Spill
	buffer_store_dword v85, off, s[0:3], s32 offset:1608 ; 4-byte Folded Spill
	v_cmp_ne_u16_sdwa s5, v2, v0 src0_sel:BYTE_1 src1_sel:DWORD
	s_and_saveexec_b32 s7, s5
	s_cbranch_execz .LBB232_1433
; %bb.1428:                             ;   in Loop: Header=BB232_10 Depth=1
	v_mov_b32_e32 v0, 0xffff
	v_mov_b32_e32 v86, v61
	s_mov_b32 s17, exec_lo
	buffer_store_dword v86, off, s[0:3], s32 offset:1604 ; 4-byte Folded Spill
	buffer_store_dword v87, off, s[0:3], s32 offset:1608 ; 4-byte Folded Spill
	v_and_b32_sdwa v1, v0, v2 dst_sel:DWORD dst_unused:UNUSED_PAD src0_sel:DWORD src1_sel:BYTE_1
	v_and_b32_e32 v0, 0x7f, v1
	v_cmpx_ne_u32_e32 0x7f, v0
	s_cbranch_execz .LBB232_1432
; %bb.1429:                             ;   in Loop: Header=BB232_10 Depth=1
	v_and_b32_e32 v60, 7, v1
	v_lshrrev_b32_e32 v3, 3, v0
	v_cmp_gt_u32_e64 s5, 8, v0
	v_mov_b32_e32 v0, v60
	v_mov_b32_e32 v1, v61
	s_and_saveexec_b32 s18, s5
; %bb.1430:                             ;   in Loop: Header=BB232_10 Depth=1
	v_ffbh_u32_e32 v0, v60
	v_min_u32_e32 v3, 32, v0
	v_subrev_nc_u32_e32 v0, 28, v3
	v_sub_nc_u32_e32 v3, 29, v3
	v_lshlrev_b64 v[0:1], v0, v[60:61]
	v_and_b32_e32 v0, 7, v0
; %bb.1431:                             ;   in Loop: Header=BB232_10 Depth=1
	s_or_b32 exec_lo, exec_lo, s18
	v_lshlrev_b32_e32 v1, 16, v2
	v_lshlrev_b32_e32 v0, 20, v0
	v_lshl_add_u32 v3, v3, 23, 0x3c000000
	v_and_b32_e32 v1, 0x80000000, v1
	v_or3_b32 v1, v0, v1, v3
	v_mov_b32_e32 v0, v61
	buffer_store_dword v0, off, s[0:3], s32 offset:1604 ; 4-byte Folded Spill
	buffer_store_dword v1, off, s[0:3], s32 offset:1608 ; 4-byte Folded Spill
.LBB232_1432:                           ;   in Loop: Header=BB232_10 Depth=1
	s_or_b32 exec_lo, exec_lo, s17
.LBB232_1433:                           ;   in Loop: Header=BB232_10 Depth=1
	s_or_b32 exec_lo, exec_lo, s7
.LBB232_1434:                           ;   in Loop: Header=BB232_10 Depth=1
	s_or_b32 exec_lo, exec_lo, s6
	v_mov_b32_e32 v3, 0
	v_mov_b32_e32 v4, 0
	;; [unrolled: 1-line block ×3, first 2 shown]
	s_mov_b32 s6, exec_lo
	buffer_store_dword v3, off, s[0:3], s32 offset:1612 ; 4-byte Folded Spill
	buffer_store_dword v4, off, s[0:3], s32 offset:1616 ; 4-byte Folded Spill
	v_mov_b32_e32 v3, 0
	v_and_b32_sdwa v0, v2, v0 dst_sel:DWORD dst_unused:UNUSED_PAD src0_sel:WORD_1 src1_sel:DWORD
	v_mov_b32_e32 v4, 0
	buffer_store_dword v3, off, s[0:3], s32 offset:1620 ; 4-byte Folded Spill
	buffer_store_dword v4, off, s[0:3], s32 offset:1624 ; 4-byte Folded Spill
	v_cmpx_ne_u16_e32 0, v0
	s_cbranch_execz .LBB232_1442
; %bb.1435:                             ;   in Loop: Header=BB232_10 Depth=1
	v_cmp_ne_u16_e64 s5, 0x80, v0
	v_bfrev_b32_e32 v0, 1
	v_mov_b32_e32 v1, 0
	buffer_store_dword v0, off, s[0:3], s32 offset:1620 ; 4-byte Folded Spill
	buffer_store_dword v1, off, s[0:3], s32 offset:1624 ; 4-byte Folded Spill
	s_and_saveexec_b32 s7, s5
	s_cbranch_execz .LBB232_1441
; %bb.1436:                             ;   in Loop: Header=BB232_10 Depth=1
	v_mov_b32_e32 v3, 0x7f800001
	v_bfe_u32 v0, v2, 16, 7
	v_mov_b32_e32 v4, 0
	s_mov_b32 s17, exec_lo
	buffer_store_dword v3, off, s[0:3], s32 offset:1620 ; 4-byte Folded Spill
	buffer_store_dword v4, off, s[0:3], s32 offset:1624 ; 4-byte Folded Spill
	v_cmpx_ne_u32_e32 0x7f, v0
	s_cbranch_execz .LBB232_1440
; %bb.1437:                             ;   in Loop: Header=BB232_10 Depth=1
	v_mov_b32_e32 v1, 7
	v_lshrrev_b32_e32 v3, 3, v0
	v_cmp_gt_u32_e64 s5, 8, v0
	v_and_b32_sdwa v60, v2, v1 dst_sel:DWORD dst_unused:UNUSED_PAD src0_sel:WORD_1 src1_sel:DWORD
	v_mov_b32_e32 v0, v60
	v_mov_b32_e32 v1, v61
	s_and_saveexec_b32 s18, s5
; %bb.1438:                             ;   in Loop: Header=BB232_10 Depth=1
	v_ffbh_u32_e32 v0, v60
	v_min_u32_e32 v3, 32, v0
	v_subrev_nc_u32_e32 v0, 28, v3
	v_sub_nc_u32_e32 v3, 29, v3
	v_lshlrev_b64 v[0:1], v0, v[60:61]
	v_and_b32_e32 v0, 7, v0
; %bb.1439:                             ;   in Loop: Header=BB232_10 Depth=1
	s_or_b32 exec_lo, exec_lo, s18
	v_mov_b32_e32 v1, 24
	v_lshlrev_b32_e32 v0, 20, v0
	v_lshl_add_u32 v3, v3, 23, 0x3c000000
	v_lshlrev_b32_sdwa v1, v1, v2 dst_sel:DWORD dst_unused:UNUSED_PAD src0_sel:DWORD src1_sel:WORD_1
	v_and_b32_e32 v1, 0x80000000, v1
	v_or3_b32 v60, v0, v1, v3
	buffer_store_dword v60, off, s[0:3], s32 offset:1620 ; 4-byte Folded Spill
	buffer_store_dword v61, off, s[0:3], s32 offset:1624 ; 4-byte Folded Spill
.LBB232_1440:                           ;   in Loop: Header=BB232_10 Depth=1
	s_or_b32 exec_lo, exec_lo, s17
.LBB232_1441:                           ;   in Loop: Header=BB232_10 Depth=1
	s_or_b32 exec_lo, exec_lo, s7
.LBB232_1442:                           ;   in Loop: Header=BB232_10 Depth=1
	s_or_b32 exec_lo, exec_lo, s6
	s_mov_b32 s6, exec_lo
	v_cmpx_lt_u32_e32 0xffffff, v2
	s_cbranch_execz .LBB232_1450
; %bb.1443:                             ;   in Loop: Header=BB232_10 Depth=1
	v_mov_b32_e32 v0, 0x80
	v_mov_b32_e32 v84, v61
	buffer_store_dword v84, off, s[0:3], s32 offset:1612 ; 4-byte Folded Spill
	buffer_store_dword v85, off, s[0:3], s32 offset:1616 ; 4-byte Folded Spill
	v_cmp_ne_u32_sdwa s5, v2, v0 src0_sel:BYTE_3 src1_sel:DWORD
	s_and_saveexec_b32 s7, s5
	s_cbranch_execz .LBB232_1449
; %bb.1444:                             ;   in Loop: Header=BB232_10 Depth=1
	v_bfe_u32 v0, v2, 24, 7
	v_mov_b32_e32 v86, v61
	s_mov_b32 s17, exec_lo
	buffer_store_dword v86, off, s[0:3], s32 offset:1612 ; 4-byte Folded Spill
	buffer_store_dword v87, off, s[0:3], s32 offset:1616 ; 4-byte Folded Spill
	v_cmpx_ne_u32_e32 0x7f, v0
	s_cbranch_execz .LBB232_1448
; %bb.1445:                             ;   in Loop: Header=BB232_10 Depth=1
	v_mov_b32_e32 v1, 7
	v_lshrrev_b32_e32 v3, 3, v0
	v_cmp_gt_u32_e64 s5, 8, v0
	v_and_b32_sdwa v60, v2, v1 dst_sel:DWORD dst_unused:UNUSED_PAD src0_sel:BYTE_3 src1_sel:DWORD
	v_mov_b32_e32 v0, v60
	v_mov_b32_e32 v1, v61
	s_and_saveexec_b32 s18, s5
; %bb.1446:                             ;   in Loop: Header=BB232_10 Depth=1
	v_ffbh_u32_e32 v0, v60
	v_min_u32_e32 v3, 32, v0
	v_subrev_nc_u32_e32 v0, 28, v3
	v_sub_nc_u32_e32 v3, 29, v3
	v_lshlrev_b64 v[0:1], v0, v[60:61]
	v_and_b32_e32 v0, 7, v0
; %bb.1447:                             ;   in Loop: Header=BB232_10 Depth=1
	s_or_b32 exec_lo, exec_lo, s18
	v_mov_b32_e32 v1, 24
	v_lshlrev_b32_e32 v0, 20, v0
	v_lshlrev_b32_sdwa v1, v1, v2 dst_sel:DWORD dst_unused:UNUSED_PAD src0_sel:DWORD src1_sel:BYTE_3
	v_lshl_add_u32 v2, v3, 23, 0x3c000000
	v_and_b32_e32 v1, 0x80000000, v1
	v_or3_b32 v1, v0, v1, v2
	v_mov_b32_e32 v0, v61
	buffer_store_dword v0, off, s[0:3], s32 offset:1612 ; 4-byte Folded Spill
	buffer_store_dword v1, off, s[0:3], s32 offset:1616 ; 4-byte Folded Spill
.LBB232_1448:                           ;   in Loop: Header=BB232_10 Depth=1
	s_or_b32 exec_lo, exec_lo, s17
.LBB232_1449:                           ;   in Loop: Header=BB232_10 Depth=1
	s_or_b32 exec_lo, exec_lo, s7
.LBB232_1450:                           ;   in Loop: Header=BB232_10 Depth=1
	s_or_b32 exec_lo, exec_lo, s6
	flat_load_dword v2, v[52:53] offset:1540
	v_mov_b32_e32 v0, 0
	v_mov_b32_e32 v1, 0
	buffer_store_dword v0, off, s[0:3], s32 offset:1636 ; 4-byte Folded Spill
	buffer_store_dword v1, off, s[0:3], s32 offset:1640 ; 4-byte Folded Spill
	v_mov_b32_e32 v0, 0
	v_mov_b32_e32 v1, 0
	buffer_store_dword v0, off, s[0:3], s32 offset:1660 ; 4-byte Folded Spill
	buffer_store_dword v1, off, s[0:3], s32 offset:1664 ; 4-byte Folded Spill
	s_waitcnt vmcnt(0) lgkmcnt(0)
	v_cmp_ne_u16_sdwa s5, v2, v61 src0_sel:BYTE_0 src1_sel:DWORD
	s_and_saveexec_b32 s6, s5
	s_cbranch_execz .LBB232_1458
; %bb.1451:                             ;   in Loop: Header=BB232_10 Depth=1
	v_bfrev_b32_e32 v0, 1
	v_mov_b32_e32 v1, 0
	buffer_store_dword v0, off, s[0:3], s32 offset:1660 ; 4-byte Folded Spill
	buffer_store_dword v1, off, s[0:3], s32 offset:1664 ; 4-byte Folded Spill
	v_mov_b32_e32 v0, 0x80
	v_cmp_ne_u16_sdwa s5, v2, v0 src0_sel:BYTE_0 src1_sel:DWORD
	s_and_saveexec_b32 s7, s5
	s_cbranch_execz .LBB232_1457
; %bb.1452:                             ;   in Loop: Header=BB232_10 Depth=1
	v_mov_b32_e32 v3, 0x7f800001
	v_and_b32_e32 v0, 0x7f, v2
	v_mov_b32_e32 v4, 0
	s_mov_b32 s17, exec_lo
	buffer_store_dword v3, off, s[0:3], s32 offset:1660 ; 4-byte Folded Spill
	buffer_store_dword v4, off, s[0:3], s32 offset:1664 ; 4-byte Folded Spill
	v_cmpx_ne_u32_e32 0x7f, v0
	s_cbranch_execz .LBB232_1456
; %bb.1453:                             ;   in Loop: Header=BB232_10 Depth=1
	v_and_b32_e32 v60, 7, v2
	v_lshrrev_b32_e32 v3, 3, v0
	v_cmp_gt_u32_e64 s5, 8, v0
	v_mov_b32_e32 v0, v60
	v_mov_b32_e32 v1, v61
	s_and_saveexec_b32 s18, s5
; %bb.1454:                             ;   in Loop: Header=BB232_10 Depth=1
	v_ffbh_u32_e32 v0, v60
	v_min_u32_e32 v3, 32, v0
	v_subrev_nc_u32_e32 v0, 28, v3
	v_sub_nc_u32_e32 v3, 29, v3
	v_lshlrev_b64 v[0:1], v0, v[60:61]
	v_and_b32_e32 v0, 7, v0
; %bb.1455:                             ;   in Loop: Header=BB232_10 Depth=1
	s_or_b32 exec_lo, exec_lo, s18
	v_lshlrev_b32_e32 v1, 24, v2
	v_lshlrev_b32_e32 v0, 20, v0
	v_lshl_add_u32 v3, v3, 23, 0x3c000000
	v_and_b32_e32 v1, 0x80000000, v1
	v_or3_b32 v60, v0, v1, v3
	buffer_store_dword v60, off, s[0:3], s32 offset:1660 ; 4-byte Folded Spill
	buffer_store_dword v61, off, s[0:3], s32 offset:1664 ; 4-byte Folded Spill
.LBB232_1456:                           ;   in Loop: Header=BB232_10 Depth=1
	s_or_b32 exec_lo, exec_lo, s17
.LBB232_1457:                           ;   in Loop: Header=BB232_10 Depth=1
	s_or_b32 exec_lo, exec_lo, s7
.LBB232_1458:                           ;   in Loop: Header=BB232_10 Depth=1
	s_or_b32 exec_lo, exec_lo, s6
	v_cmp_ne_u16_sdwa s5, v2, v61 src0_sel:BYTE_1 src1_sel:DWORD
	s_and_saveexec_b32 s6, s5
	s_cbranch_execz .LBB232_1466
; %bb.1459:                             ;   in Loop: Header=BB232_10 Depth=1
	v_mov_b32_e32 v0, 0x80
	v_mov_b32_e32 v84, v61
	buffer_store_dword v84, off, s[0:3], s32 offset:1636 ; 4-byte Folded Spill
	buffer_store_dword v85, off, s[0:3], s32 offset:1640 ; 4-byte Folded Spill
	v_cmp_ne_u16_sdwa s5, v2, v0 src0_sel:BYTE_1 src1_sel:DWORD
	s_and_saveexec_b32 s7, s5
	s_cbranch_execz .LBB232_1465
; %bb.1460:                             ;   in Loop: Header=BB232_10 Depth=1
	v_mov_b32_e32 v0, 0xffff
	v_mov_b32_e32 v86, v61
	s_mov_b32 s17, exec_lo
	buffer_store_dword v86, off, s[0:3], s32 offset:1636 ; 4-byte Folded Spill
	buffer_store_dword v87, off, s[0:3], s32 offset:1640 ; 4-byte Folded Spill
	v_and_b32_sdwa v1, v0, v2 dst_sel:DWORD dst_unused:UNUSED_PAD src0_sel:DWORD src1_sel:BYTE_1
	v_and_b32_e32 v0, 0x7f, v1
	v_cmpx_ne_u32_e32 0x7f, v0
	s_cbranch_execz .LBB232_1464
; %bb.1461:                             ;   in Loop: Header=BB232_10 Depth=1
	v_and_b32_e32 v60, 7, v1
	v_lshrrev_b32_e32 v3, 3, v0
	v_cmp_gt_u32_e64 s5, 8, v0
	v_mov_b32_e32 v0, v60
	v_mov_b32_e32 v1, v61
	s_and_saveexec_b32 s18, s5
; %bb.1462:                             ;   in Loop: Header=BB232_10 Depth=1
	v_ffbh_u32_e32 v0, v60
	v_min_u32_e32 v3, 32, v0
	v_subrev_nc_u32_e32 v0, 28, v3
	v_sub_nc_u32_e32 v3, 29, v3
	v_lshlrev_b64 v[0:1], v0, v[60:61]
	v_and_b32_e32 v0, 7, v0
; %bb.1463:                             ;   in Loop: Header=BB232_10 Depth=1
	s_or_b32 exec_lo, exec_lo, s18
	v_lshlrev_b32_e32 v1, 16, v2
	v_lshlrev_b32_e32 v0, 20, v0
	v_lshl_add_u32 v3, v3, 23, 0x3c000000
	v_and_b32_e32 v1, 0x80000000, v1
	v_or3_b32 v1, v0, v1, v3
	v_mov_b32_e32 v0, v61
	buffer_store_dword v0, off, s[0:3], s32 offset:1636 ; 4-byte Folded Spill
	buffer_store_dword v1, off, s[0:3], s32 offset:1640 ; 4-byte Folded Spill
.LBB232_1464:                           ;   in Loop: Header=BB232_10 Depth=1
	s_or_b32 exec_lo, exec_lo, s17
.LBB232_1465:                           ;   in Loop: Header=BB232_10 Depth=1
	s_or_b32 exec_lo, exec_lo, s7
.LBB232_1466:                           ;   in Loop: Header=BB232_10 Depth=1
	s_or_b32 exec_lo, exec_lo, s6
	v_mov_b32_e32 v3, 0
	v_mov_b32_e32 v4, 0
	v_mov_b32_e32 v0, 0xff
	s_mov_b32 s6, exec_lo
	buffer_store_dword v3, off, s[0:3], s32 offset:1644 ; 4-byte Folded Spill
	buffer_store_dword v4, off, s[0:3], s32 offset:1648 ; 4-byte Folded Spill
	v_mov_b32_e32 v3, 0
	v_and_b32_sdwa v0, v2, v0 dst_sel:DWORD dst_unused:UNUSED_PAD src0_sel:WORD_1 src1_sel:DWORD
	v_mov_b32_e32 v4, 0
	buffer_store_dword v3, off, s[0:3], s32 offset:1652 ; 4-byte Folded Spill
	buffer_store_dword v4, off, s[0:3], s32 offset:1656 ; 4-byte Folded Spill
	v_cmpx_ne_u16_e32 0, v0
	s_cbranch_execz .LBB232_1474
; %bb.1467:                             ;   in Loop: Header=BB232_10 Depth=1
	v_cmp_ne_u16_e64 s5, 0x80, v0
	v_bfrev_b32_e32 v0, 1
	v_mov_b32_e32 v1, 0
	buffer_store_dword v0, off, s[0:3], s32 offset:1652 ; 4-byte Folded Spill
	buffer_store_dword v1, off, s[0:3], s32 offset:1656 ; 4-byte Folded Spill
	s_and_saveexec_b32 s7, s5
	s_cbranch_execz .LBB232_1473
; %bb.1468:                             ;   in Loop: Header=BB232_10 Depth=1
	v_mov_b32_e32 v3, 0x7f800001
	v_bfe_u32 v0, v2, 16, 7
	v_mov_b32_e32 v4, 0
	s_mov_b32 s17, exec_lo
	buffer_store_dword v3, off, s[0:3], s32 offset:1652 ; 4-byte Folded Spill
	buffer_store_dword v4, off, s[0:3], s32 offset:1656 ; 4-byte Folded Spill
	v_cmpx_ne_u32_e32 0x7f, v0
	s_cbranch_execz .LBB232_1472
; %bb.1469:                             ;   in Loop: Header=BB232_10 Depth=1
	v_mov_b32_e32 v1, 7
	v_lshrrev_b32_e32 v3, 3, v0
	v_cmp_gt_u32_e64 s5, 8, v0
	v_and_b32_sdwa v60, v2, v1 dst_sel:DWORD dst_unused:UNUSED_PAD src0_sel:WORD_1 src1_sel:DWORD
	v_mov_b32_e32 v0, v60
	v_mov_b32_e32 v1, v61
	s_and_saveexec_b32 s18, s5
; %bb.1470:                             ;   in Loop: Header=BB232_10 Depth=1
	v_ffbh_u32_e32 v0, v60
	v_min_u32_e32 v3, 32, v0
	v_subrev_nc_u32_e32 v0, 28, v3
	v_sub_nc_u32_e32 v3, 29, v3
	v_lshlrev_b64 v[0:1], v0, v[60:61]
	v_and_b32_e32 v0, 7, v0
; %bb.1471:                             ;   in Loop: Header=BB232_10 Depth=1
	s_or_b32 exec_lo, exec_lo, s18
	v_mov_b32_e32 v1, 24
	v_lshlrev_b32_e32 v0, 20, v0
	v_lshl_add_u32 v3, v3, 23, 0x3c000000
	v_lshlrev_b32_sdwa v1, v1, v2 dst_sel:DWORD dst_unused:UNUSED_PAD src0_sel:DWORD src1_sel:WORD_1
	v_and_b32_e32 v1, 0x80000000, v1
	v_or3_b32 v60, v0, v1, v3
	buffer_store_dword v60, off, s[0:3], s32 offset:1652 ; 4-byte Folded Spill
	buffer_store_dword v61, off, s[0:3], s32 offset:1656 ; 4-byte Folded Spill
.LBB232_1472:                           ;   in Loop: Header=BB232_10 Depth=1
	s_or_b32 exec_lo, exec_lo, s17
.LBB232_1473:                           ;   in Loop: Header=BB232_10 Depth=1
	s_or_b32 exec_lo, exec_lo, s7
.LBB232_1474:                           ;   in Loop: Header=BB232_10 Depth=1
	s_or_b32 exec_lo, exec_lo, s6
	s_mov_b32 s6, exec_lo
	v_cmpx_lt_u32_e32 0xffffff, v2
	s_cbranch_execz .LBB232_1482
; %bb.1475:                             ;   in Loop: Header=BB232_10 Depth=1
	v_mov_b32_e32 v0, 0x80
	v_mov_b32_e32 v84, v61
	buffer_store_dword v84, off, s[0:3], s32 offset:1644 ; 4-byte Folded Spill
	buffer_store_dword v85, off, s[0:3], s32 offset:1648 ; 4-byte Folded Spill
	v_cmp_ne_u32_sdwa s5, v2, v0 src0_sel:BYTE_3 src1_sel:DWORD
	s_and_saveexec_b32 s7, s5
	s_cbranch_execz .LBB232_1481
; %bb.1476:                             ;   in Loop: Header=BB232_10 Depth=1
	v_bfe_u32 v0, v2, 24, 7
	v_mov_b32_e32 v86, v61
	s_mov_b32 s17, exec_lo
	buffer_store_dword v86, off, s[0:3], s32 offset:1644 ; 4-byte Folded Spill
	buffer_store_dword v87, off, s[0:3], s32 offset:1648 ; 4-byte Folded Spill
	v_cmpx_ne_u32_e32 0x7f, v0
	s_cbranch_execz .LBB232_1480
; %bb.1477:                             ;   in Loop: Header=BB232_10 Depth=1
	v_mov_b32_e32 v1, 7
	v_lshrrev_b32_e32 v3, 3, v0
	v_cmp_gt_u32_e64 s5, 8, v0
	v_and_b32_sdwa v60, v2, v1 dst_sel:DWORD dst_unused:UNUSED_PAD src0_sel:BYTE_3 src1_sel:DWORD
	v_mov_b32_e32 v0, v60
	v_mov_b32_e32 v1, v61
	s_and_saveexec_b32 s18, s5
; %bb.1478:                             ;   in Loop: Header=BB232_10 Depth=1
	v_ffbh_u32_e32 v0, v60
	v_min_u32_e32 v3, 32, v0
	v_subrev_nc_u32_e32 v0, 28, v3
	v_sub_nc_u32_e32 v3, 29, v3
	v_lshlrev_b64 v[0:1], v0, v[60:61]
	v_and_b32_e32 v0, 7, v0
; %bb.1479:                             ;   in Loop: Header=BB232_10 Depth=1
	s_or_b32 exec_lo, exec_lo, s18
	v_mov_b32_e32 v1, 24
	v_lshlrev_b32_e32 v0, 20, v0
	v_lshlrev_b32_sdwa v1, v1, v2 dst_sel:DWORD dst_unused:UNUSED_PAD src0_sel:DWORD src1_sel:BYTE_3
	v_lshl_add_u32 v2, v3, 23, 0x3c000000
	v_and_b32_e32 v1, 0x80000000, v1
	v_or3_b32 v1, v0, v1, v2
	v_mov_b32_e32 v0, v61
	buffer_store_dword v0, off, s[0:3], s32 offset:1644 ; 4-byte Folded Spill
	buffer_store_dword v1, off, s[0:3], s32 offset:1648 ; 4-byte Folded Spill
.LBB232_1480:                           ;   in Loop: Header=BB232_10 Depth=1
	s_or_b32 exec_lo, exec_lo, s17
.LBB232_1481:                           ;   in Loop: Header=BB232_10 Depth=1
	s_or_b32 exec_lo, exec_lo, s7
.LBB232_1482:                           ;   in Loop: Header=BB232_10 Depth=1
	s_or_b32 exec_lo, exec_lo, s6
	flat_load_dword v2, v[52:53] offset:1544
	v_mov_b32_e32 v0, 0
	v_mov_b32_e32 v1, 0
	buffer_store_dword v0, off, s[0:3], s32 offset:1668 ; 4-byte Folded Spill
	buffer_store_dword v1, off, s[0:3], s32 offset:1672 ; 4-byte Folded Spill
	v_mov_b32_e32 v0, 0
	v_mov_b32_e32 v1, 0
	buffer_store_dword v0, off, s[0:3], s32 offset:1692 ; 4-byte Folded Spill
	buffer_store_dword v1, off, s[0:3], s32 offset:1696 ; 4-byte Folded Spill
	s_waitcnt vmcnt(0) lgkmcnt(0)
	v_cmp_ne_u16_sdwa s5, v2, v61 src0_sel:BYTE_0 src1_sel:DWORD
	s_and_saveexec_b32 s6, s5
	s_cbranch_execz .LBB232_1490
; %bb.1483:                             ;   in Loop: Header=BB232_10 Depth=1
	v_bfrev_b32_e32 v0, 1
	v_mov_b32_e32 v1, 0
	buffer_store_dword v0, off, s[0:3], s32 offset:1692 ; 4-byte Folded Spill
	buffer_store_dword v1, off, s[0:3], s32 offset:1696 ; 4-byte Folded Spill
	v_mov_b32_e32 v0, 0x80
	v_cmp_ne_u16_sdwa s5, v2, v0 src0_sel:BYTE_0 src1_sel:DWORD
	s_and_saveexec_b32 s7, s5
	s_cbranch_execz .LBB232_1489
; %bb.1484:                             ;   in Loop: Header=BB232_10 Depth=1
	v_mov_b32_e32 v3, 0x7f800001
	v_and_b32_e32 v0, 0x7f, v2
	v_mov_b32_e32 v4, 0
	s_mov_b32 s17, exec_lo
	buffer_store_dword v3, off, s[0:3], s32 offset:1692 ; 4-byte Folded Spill
	buffer_store_dword v4, off, s[0:3], s32 offset:1696 ; 4-byte Folded Spill
	v_cmpx_ne_u32_e32 0x7f, v0
	s_cbranch_execz .LBB232_1488
; %bb.1485:                             ;   in Loop: Header=BB232_10 Depth=1
	v_and_b32_e32 v60, 7, v2
	v_lshrrev_b32_e32 v3, 3, v0
	v_cmp_gt_u32_e64 s5, 8, v0
	v_mov_b32_e32 v0, v60
	v_mov_b32_e32 v1, v61
	s_and_saveexec_b32 s18, s5
; %bb.1486:                             ;   in Loop: Header=BB232_10 Depth=1
	v_ffbh_u32_e32 v0, v60
	v_min_u32_e32 v3, 32, v0
	v_subrev_nc_u32_e32 v0, 28, v3
	v_sub_nc_u32_e32 v3, 29, v3
	v_lshlrev_b64 v[0:1], v0, v[60:61]
	v_and_b32_e32 v0, 7, v0
; %bb.1487:                             ;   in Loop: Header=BB232_10 Depth=1
	s_or_b32 exec_lo, exec_lo, s18
	v_lshlrev_b32_e32 v1, 24, v2
	v_lshlrev_b32_e32 v0, 20, v0
	v_lshl_add_u32 v3, v3, 23, 0x3c000000
	v_and_b32_e32 v1, 0x80000000, v1
	v_or3_b32 v60, v0, v1, v3
	buffer_store_dword v60, off, s[0:3], s32 offset:1692 ; 4-byte Folded Spill
	buffer_store_dword v61, off, s[0:3], s32 offset:1696 ; 4-byte Folded Spill
.LBB232_1488:                           ;   in Loop: Header=BB232_10 Depth=1
	s_or_b32 exec_lo, exec_lo, s17
.LBB232_1489:                           ;   in Loop: Header=BB232_10 Depth=1
	s_or_b32 exec_lo, exec_lo, s7
.LBB232_1490:                           ;   in Loop: Header=BB232_10 Depth=1
	s_or_b32 exec_lo, exec_lo, s6
	v_cmp_ne_u16_sdwa s5, v2, v61 src0_sel:BYTE_1 src1_sel:DWORD
	s_and_saveexec_b32 s6, s5
	s_cbranch_execz .LBB232_1498
; %bb.1491:                             ;   in Loop: Header=BB232_10 Depth=1
	v_mov_b32_e32 v0, 0x80
	v_mov_b32_e32 v84, v61
	buffer_store_dword v84, off, s[0:3], s32 offset:1668 ; 4-byte Folded Spill
	buffer_store_dword v85, off, s[0:3], s32 offset:1672 ; 4-byte Folded Spill
	v_cmp_ne_u16_sdwa s5, v2, v0 src0_sel:BYTE_1 src1_sel:DWORD
	s_and_saveexec_b32 s7, s5
	s_cbranch_execz .LBB232_1497
; %bb.1492:                             ;   in Loop: Header=BB232_10 Depth=1
	v_mov_b32_e32 v0, 0xffff
	v_mov_b32_e32 v86, v61
	s_mov_b32 s17, exec_lo
	buffer_store_dword v86, off, s[0:3], s32 offset:1668 ; 4-byte Folded Spill
	buffer_store_dword v87, off, s[0:3], s32 offset:1672 ; 4-byte Folded Spill
	v_and_b32_sdwa v1, v0, v2 dst_sel:DWORD dst_unused:UNUSED_PAD src0_sel:DWORD src1_sel:BYTE_1
	v_and_b32_e32 v0, 0x7f, v1
	v_cmpx_ne_u32_e32 0x7f, v0
	s_cbranch_execz .LBB232_1496
; %bb.1493:                             ;   in Loop: Header=BB232_10 Depth=1
	v_and_b32_e32 v60, 7, v1
	v_lshrrev_b32_e32 v3, 3, v0
	v_cmp_gt_u32_e64 s5, 8, v0
	v_mov_b32_e32 v0, v60
	v_mov_b32_e32 v1, v61
	s_and_saveexec_b32 s18, s5
; %bb.1494:                             ;   in Loop: Header=BB232_10 Depth=1
	v_ffbh_u32_e32 v0, v60
	v_min_u32_e32 v3, 32, v0
	v_subrev_nc_u32_e32 v0, 28, v3
	v_sub_nc_u32_e32 v3, 29, v3
	v_lshlrev_b64 v[0:1], v0, v[60:61]
	v_and_b32_e32 v0, 7, v0
; %bb.1495:                             ;   in Loop: Header=BB232_10 Depth=1
	s_or_b32 exec_lo, exec_lo, s18
	v_lshlrev_b32_e32 v1, 16, v2
	v_lshlrev_b32_e32 v0, 20, v0
	v_lshl_add_u32 v3, v3, 23, 0x3c000000
	v_and_b32_e32 v1, 0x80000000, v1
	v_or3_b32 v1, v0, v1, v3
	v_mov_b32_e32 v0, v61
	buffer_store_dword v0, off, s[0:3], s32 offset:1668 ; 4-byte Folded Spill
	buffer_store_dword v1, off, s[0:3], s32 offset:1672 ; 4-byte Folded Spill
.LBB232_1496:                           ;   in Loop: Header=BB232_10 Depth=1
	s_or_b32 exec_lo, exec_lo, s17
.LBB232_1497:                           ;   in Loop: Header=BB232_10 Depth=1
	s_or_b32 exec_lo, exec_lo, s7
.LBB232_1498:                           ;   in Loop: Header=BB232_10 Depth=1
	s_or_b32 exec_lo, exec_lo, s6
	v_mov_b32_e32 v3, 0
	v_mov_b32_e32 v4, 0
	;; [unrolled: 1-line block ×3, first 2 shown]
	s_mov_b32 s6, exec_lo
	buffer_store_dword v3, off, s[0:3], s32 offset:1676 ; 4-byte Folded Spill
	buffer_store_dword v4, off, s[0:3], s32 offset:1680 ; 4-byte Folded Spill
	v_mov_b32_e32 v3, 0
	v_and_b32_sdwa v0, v2, v0 dst_sel:DWORD dst_unused:UNUSED_PAD src0_sel:WORD_1 src1_sel:DWORD
	v_mov_b32_e32 v4, 0
	buffer_store_dword v3, off, s[0:3], s32 offset:1684 ; 4-byte Folded Spill
	buffer_store_dword v4, off, s[0:3], s32 offset:1688 ; 4-byte Folded Spill
	v_cmpx_ne_u16_e32 0, v0
	s_cbranch_execz .LBB232_1506
; %bb.1499:                             ;   in Loop: Header=BB232_10 Depth=1
	v_cmp_ne_u16_e64 s5, 0x80, v0
	v_bfrev_b32_e32 v0, 1
	v_mov_b32_e32 v1, 0
	buffer_store_dword v0, off, s[0:3], s32 offset:1684 ; 4-byte Folded Spill
	buffer_store_dword v1, off, s[0:3], s32 offset:1688 ; 4-byte Folded Spill
	s_and_saveexec_b32 s7, s5
	s_cbranch_execz .LBB232_1505
; %bb.1500:                             ;   in Loop: Header=BB232_10 Depth=1
	v_mov_b32_e32 v3, 0x7f800001
	v_bfe_u32 v0, v2, 16, 7
	v_mov_b32_e32 v4, 0
	s_mov_b32 s17, exec_lo
	buffer_store_dword v3, off, s[0:3], s32 offset:1684 ; 4-byte Folded Spill
	buffer_store_dword v4, off, s[0:3], s32 offset:1688 ; 4-byte Folded Spill
	v_cmpx_ne_u32_e32 0x7f, v0
	s_cbranch_execz .LBB232_1504
; %bb.1501:                             ;   in Loop: Header=BB232_10 Depth=1
	v_mov_b32_e32 v1, 7
	v_lshrrev_b32_e32 v3, 3, v0
	v_cmp_gt_u32_e64 s5, 8, v0
	v_and_b32_sdwa v60, v2, v1 dst_sel:DWORD dst_unused:UNUSED_PAD src0_sel:WORD_1 src1_sel:DWORD
	v_mov_b32_e32 v0, v60
	v_mov_b32_e32 v1, v61
	s_and_saveexec_b32 s18, s5
; %bb.1502:                             ;   in Loop: Header=BB232_10 Depth=1
	v_ffbh_u32_e32 v0, v60
	v_min_u32_e32 v3, 32, v0
	v_subrev_nc_u32_e32 v0, 28, v3
	v_sub_nc_u32_e32 v3, 29, v3
	v_lshlrev_b64 v[0:1], v0, v[60:61]
	v_and_b32_e32 v0, 7, v0
; %bb.1503:                             ;   in Loop: Header=BB232_10 Depth=1
	s_or_b32 exec_lo, exec_lo, s18
	v_mov_b32_e32 v1, 24
	v_lshlrev_b32_e32 v0, 20, v0
	v_lshl_add_u32 v3, v3, 23, 0x3c000000
	v_lshlrev_b32_sdwa v1, v1, v2 dst_sel:DWORD dst_unused:UNUSED_PAD src0_sel:DWORD src1_sel:WORD_1
	v_and_b32_e32 v1, 0x80000000, v1
	v_or3_b32 v60, v0, v1, v3
	buffer_store_dword v60, off, s[0:3], s32 offset:1684 ; 4-byte Folded Spill
	buffer_store_dword v61, off, s[0:3], s32 offset:1688 ; 4-byte Folded Spill
.LBB232_1504:                           ;   in Loop: Header=BB232_10 Depth=1
	s_or_b32 exec_lo, exec_lo, s17
.LBB232_1505:                           ;   in Loop: Header=BB232_10 Depth=1
	s_or_b32 exec_lo, exec_lo, s7
.LBB232_1506:                           ;   in Loop: Header=BB232_10 Depth=1
	s_or_b32 exec_lo, exec_lo, s6
	s_mov_b32 s6, exec_lo
	v_cmpx_lt_u32_e32 0xffffff, v2
	s_cbranch_execz .LBB232_1514
; %bb.1507:                             ;   in Loop: Header=BB232_10 Depth=1
	v_mov_b32_e32 v0, 0x80
	v_mov_b32_e32 v84, v61
	buffer_store_dword v84, off, s[0:3], s32 offset:1676 ; 4-byte Folded Spill
	buffer_store_dword v85, off, s[0:3], s32 offset:1680 ; 4-byte Folded Spill
	v_cmp_ne_u32_sdwa s5, v2, v0 src0_sel:BYTE_3 src1_sel:DWORD
	s_and_saveexec_b32 s7, s5
	s_cbranch_execz .LBB232_1513
; %bb.1508:                             ;   in Loop: Header=BB232_10 Depth=1
	v_bfe_u32 v0, v2, 24, 7
	v_mov_b32_e32 v86, v61
	s_mov_b32 s17, exec_lo
	buffer_store_dword v86, off, s[0:3], s32 offset:1676 ; 4-byte Folded Spill
	buffer_store_dword v87, off, s[0:3], s32 offset:1680 ; 4-byte Folded Spill
	v_cmpx_ne_u32_e32 0x7f, v0
	s_cbranch_execz .LBB232_1512
; %bb.1509:                             ;   in Loop: Header=BB232_10 Depth=1
	v_mov_b32_e32 v1, 7
	v_lshrrev_b32_e32 v3, 3, v0
	v_cmp_gt_u32_e64 s5, 8, v0
	v_and_b32_sdwa v60, v2, v1 dst_sel:DWORD dst_unused:UNUSED_PAD src0_sel:BYTE_3 src1_sel:DWORD
	v_mov_b32_e32 v0, v60
	v_mov_b32_e32 v1, v61
	s_and_saveexec_b32 s18, s5
; %bb.1510:                             ;   in Loop: Header=BB232_10 Depth=1
	v_ffbh_u32_e32 v0, v60
	v_min_u32_e32 v3, 32, v0
	v_subrev_nc_u32_e32 v0, 28, v3
	v_sub_nc_u32_e32 v3, 29, v3
	v_lshlrev_b64 v[0:1], v0, v[60:61]
	v_and_b32_e32 v0, 7, v0
; %bb.1511:                             ;   in Loop: Header=BB232_10 Depth=1
	s_or_b32 exec_lo, exec_lo, s18
	v_mov_b32_e32 v1, 24
	v_lshlrev_b32_e32 v0, 20, v0
	v_lshlrev_b32_sdwa v1, v1, v2 dst_sel:DWORD dst_unused:UNUSED_PAD src0_sel:DWORD src1_sel:BYTE_3
	v_lshl_add_u32 v2, v3, 23, 0x3c000000
	v_and_b32_e32 v1, 0x80000000, v1
	v_or3_b32 v1, v0, v1, v2
	v_mov_b32_e32 v0, v61
	buffer_store_dword v0, off, s[0:3], s32 offset:1676 ; 4-byte Folded Spill
	buffer_store_dword v1, off, s[0:3], s32 offset:1680 ; 4-byte Folded Spill
.LBB232_1512:                           ;   in Loop: Header=BB232_10 Depth=1
	s_or_b32 exec_lo, exec_lo, s17
.LBB232_1513:                           ;   in Loop: Header=BB232_10 Depth=1
	s_or_b32 exec_lo, exec_lo, s7
.LBB232_1514:                           ;   in Loop: Header=BB232_10 Depth=1
	s_or_b32 exec_lo, exec_lo, s6
	flat_load_dword v2, v[52:53] offset:1548
	v_mov_b32_e32 v0, 0
	v_mov_b32_e32 v1, 0
	buffer_store_dword v0, off, s[0:3], s32 offset:1700 ; 4-byte Folded Spill
	buffer_store_dword v1, off, s[0:3], s32 offset:1704 ; 4-byte Folded Spill
	v_mov_b32_e32 v0, 0
	v_mov_b32_e32 v1, 0
	buffer_store_dword v0, off, s[0:3], s32 offset:1724 ; 4-byte Folded Spill
	buffer_store_dword v1, off, s[0:3], s32 offset:1728 ; 4-byte Folded Spill
	s_waitcnt vmcnt(0) lgkmcnt(0)
	v_cmp_ne_u16_sdwa s5, v2, v61 src0_sel:BYTE_0 src1_sel:DWORD
	s_and_saveexec_b32 s6, s5
	s_cbranch_execz .LBB232_1522
; %bb.1515:                             ;   in Loop: Header=BB232_10 Depth=1
	v_bfrev_b32_e32 v0, 1
	v_mov_b32_e32 v1, 0
	buffer_store_dword v0, off, s[0:3], s32 offset:1724 ; 4-byte Folded Spill
	buffer_store_dword v1, off, s[0:3], s32 offset:1728 ; 4-byte Folded Spill
	v_mov_b32_e32 v0, 0x80
	v_cmp_ne_u16_sdwa s5, v2, v0 src0_sel:BYTE_0 src1_sel:DWORD
	s_and_saveexec_b32 s7, s5
	s_cbranch_execz .LBB232_1521
; %bb.1516:                             ;   in Loop: Header=BB232_10 Depth=1
	v_mov_b32_e32 v3, 0x7f800001
	v_and_b32_e32 v0, 0x7f, v2
	v_mov_b32_e32 v4, 0
	s_mov_b32 s17, exec_lo
	buffer_store_dword v3, off, s[0:3], s32 offset:1724 ; 4-byte Folded Spill
	buffer_store_dword v4, off, s[0:3], s32 offset:1728 ; 4-byte Folded Spill
	v_cmpx_ne_u32_e32 0x7f, v0
	s_cbranch_execz .LBB232_1520
; %bb.1517:                             ;   in Loop: Header=BB232_10 Depth=1
	v_and_b32_e32 v60, 7, v2
	v_lshrrev_b32_e32 v3, 3, v0
	v_cmp_gt_u32_e64 s5, 8, v0
	v_mov_b32_e32 v0, v60
	v_mov_b32_e32 v1, v61
	s_and_saveexec_b32 s18, s5
; %bb.1518:                             ;   in Loop: Header=BB232_10 Depth=1
	v_ffbh_u32_e32 v0, v60
	v_min_u32_e32 v3, 32, v0
	v_subrev_nc_u32_e32 v0, 28, v3
	v_sub_nc_u32_e32 v3, 29, v3
	v_lshlrev_b64 v[0:1], v0, v[60:61]
	v_and_b32_e32 v0, 7, v0
; %bb.1519:                             ;   in Loop: Header=BB232_10 Depth=1
	s_or_b32 exec_lo, exec_lo, s18
	v_lshlrev_b32_e32 v1, 24, v2
	v_lshlrev_b32_e32 v0, 20, v0
	v_lshl_add_u32 v3, v3, 23, 0x3c000000
	v_and_b32_e32 v1, 0x80000000, v1
	v_or3_b32 v60, v0, v1, v3
	buffer_store_dword v60, off, s[0:3], s32 offset:1724 ; 4-byte Folded Spill
	buffer_store_dword v61, off, s[0:3], s32 offset:1728 ; 4-byte Folded Spill
.LBB232_1520:                           ;   in Loop: Header=BB232_10 Depth=1
	s_or_b32 exec_lo, exec_lo, s17
.LBB232_1521:                           ;   in Loop: Header=BB232_10 Depth=1
	s_or_b32 exec_lo, exec_lo, s7
.LBB232_1522:                           ;   in Loop: Header=BB232_10 Depth=1
	s_or_b32 exec_lo, exec_lo, s6
	v_cmp_ne_u16_sdwa s5, v2, v61 src0_sel:BYTE_1 src1_sel:DWORD
	s_and_saveexec_b32 s6, s5
	s_cbranch_execz .LBB232_1530
; %bb.1523:                             ;   in Loop: Header=BB232_10 Depth=1
	v_mov_b32_e32 v0, 0x80
	v_mov_b32_e32 v84, v61
	buffer_store_dword v84, off, s[0:3], s32 offset:1700 ; 4-byte Folded Spill
	buffer_store_dword v85, off, s[0:3], s32 offset:1704 ; 4-byte Folded Spill
	v_cmp_ne_u16_sdwa s5, v2, v0 src0_sel:BYTE_1 src1_sel:DWORD
	s_and_saveexec_b32 s7, s5
	s_cbranch_execz .LBB232_1529
; %bb.1524:                             ;   in Loop: Header=BB232_10 Depth=1
	v_mov_b32_e32 v0, 0xffff
	v_mov_b32_e32 v86, v61
	s_mov_b32 s17, exec_lo
	buffer_store_dword v86, off, s[0:3], s32 offset:1700 ; 4-byte Folded Spill
	buffer_store_dword v87, off, s[0:3], s32 offset:1704 ; 4-byte Folded Spill
	v_and_b32_sdwa v1, v0, v2 dst_sel:DWORD dst_unused:UNUSED_PAD src0_sel:DWORD src1_sel:BYTE_1
	v_and_b32_e32 v0, 0x7f, v1
	v_cmpx_ne_u32_e32 0x7f, v0
	s_cbranch_execz .LBB232_1528
; %bb.1525:                             ;   in Loop: Header=BB232_10 Depth=1
	v_and_b32_e32 v60, 7, v1
	v_lshrrev_b32_e32 v3, 3, v0
	v_cmp_gt_u32_e64 s5, 8, v0
	v_mov_b32_e32 v0, v60
	v_mov_b32_e32 v1, v61
	s_and_saveexec_b32 s18, s5
; %bb.1526:                             ;   in Loop: Header=BB232_10 Depth=1
	v_ffbh_u32_e32 v0, v60
	v_min_u32_e32 v3, 32, v0
	v_subrev_nc_u32_e32 v0, 28, v3
	v_sub_nc_u32_e32 v3, 29, v3
	v_lshlrev_b64 v[0:1], v0, v[60:61]
	v_and_b32_e32 v0, 7, v0
; %bb.1527:                             ;   in Loop: Header=BB232_10 Depth=1
	s_or_b32 exec_lo, exec_lo, s18
	v_lshlrev_b32_e32 v1, 16, v2
	v_lshlrev_b32_e32 v0, 20, v0
	v_lshl_add_u32 v3, v3, 23, 0x3c000000
	v_and_b32_e32 v1, 0x80000000, v1
	v_or3_b32 v1, v0, v1, v3
	v_mov_b32_e32 v0, v61
	buffer_store_dword v0, off, s[0:3], s32 offset:1700 ; 4-byte Folded Spill
	buffer_store_dword v1, off, s[0:3], s32 offset:1704 ; 4-byte Folded Spill
.LBB232_1528:                           ;   in Loop: Header=BB232_10 Depth=1
	s_or_b32 exec_lo, exec_lo, s17
.LBB232_1529:                           ;   in Loop: Header=BB232_10 Depth=1
	s_or_b32 exec_lo, exec_lo, s7
.LBB232_1530:                           ;   in Loop: Header=BB232_10 Depth=1
	s_or_b32 exec_lo, exec_lo, s6
	v_mov_b32_e32 v3, 0
	v_mov_b32_e32 v4, 0
	;; [unrolled: 1-line block ×3, first 2 shown]
	s_mov_b32 s6, exec_lo
	buffer_store_dword v3, off, s[0:3], s32 offset:1708 ; 4-byte Folded Spill
	buffer_store_dword v4, off, s[0:3], s32 offset:1712 ; 4-byte Folded Spill
	v_mov_b32_e32 v3, 0
	v_and_b32_sdwa v0, v2, v0 dst_sel:DWORD dst_unused:UNUSED_PAD src0_sel:WORD_1 src1_sel:DWORD
	v_mov_b32_e32 v4, 0
	buffer_store_dword v3, off, s[0:3], s32 offset:1716 ; 4-byte Folded Spill
	buffer_store_dword v4, off, s[0:3], s32 offset:1720 ; 4-byte Folded Spill
	v_cmpx_ne_u16_e32 0, v0
	s_cbranch_execz .LBB232_1538
; %bb.1531:                             ;   in Loop: Header=BB232_10 Depth=1
	v_cmp_ne_u16_e64 s5, 0x80, v0
	v_bfrev_b32_e32 v0, 1
	v_mov_b32_e32 v1, 0
	buffer_store_dword v0, off, s[0:3], s32 offset:1716 ; 4-byte Folded Spill
	buffer_store_dword v1, off, s[0:3], s32 offset:1720 ; 4-byte Folded Spill
	s_and_saveexec_b32 s7, s5
	s_cbranch_execz .LBB232_1537
; %bb.1532:                             ;   in Loop: Header=BB232_10 Depth=1
	v_mov_b32_e32 v3, 0x7f800001
	v_bfe_u32 v0, v2, 16, 7
	v_mov_b32_e32 v4, 0
	s_mov_b32 s17, exec_lo
	buffer_store_dword v3, off, s[0:3], s32 offset:1716 ; 4-byte Folded Spill
	buffer_store_dword v4, off, s[0:3], s32 offset:1720 ; 4-byte Folded Spill
	v_cmpx_ne_u32_e32 0x7f, v0
	s_cbranch_execz .LBB232_1536
; %bb.1533:                             ;   in Loop: Header=BB232_10 Depth=1
	v_mov_b32_e32 v1, 7
	v_lshrrev_b32_e32 v3, 3, v0
	v_cmp_gt_u32_e64 s5, 8, v0
	v_and_b32_sdwa v60, v2, v1 dst_sel:DWORD dst_unused:UNUSED_PAD src0_sel:WORD_1 src1_sel:DWORD
	v_mov_b32_e32 v0, v60
	v_mov_b32_e32 v1, v61
	s_and_saveexec_b32 s18, s5
; %bb.1534:                             ;   in Loop: Header=BB232_10 Depth=1
	v_ffbh_u32_e32 v0, v60
	v_min_u32_e32 v3, 32, v0
	v_subrev_nc_u32_e32 v0, 28, v3
	v_sub_nc_u32_e32 v3, 29, v3
	v_lshlrev_b64 v[0:1], v0, v[60:61]
	v_and_b32_e32 v0, 7, v0
; %bb.1535:                             ;   in Loop: Header=BB232_10 Depth=1
	s_or_b32 exec_lo, exec_lo, s18
	v_mov_b32_e32 v1, 24
	v_lshlrev_b32_e32 v0, 20, v0
	v_lshl_add_u32 v3, v3, 23, 0x3c000000
	v_lshlrev_b32_sdwa v1, v1, v2 dst_sel:DWORD dst_unused:UNUSED_PAD src0_sel:DWORD src1_sel:WORD_1
	v_and_b32_e32 v1, 0x80000000, v1
	v_or3_b32 v60, v0, v1, v3
	buffer_store_dword v60, off, s[0:3], s32 offset:1716 ; 4-byte Folded Spill
	buffer_store_dword v61, off, s[0:3], s32 offset:1720 ; 4-byte Folded Spill
.LBB232_1536:                           ;   in Loop: Header=BB232_10 Depth=1
	s_or_b32 exec_lo, exec_lo, s17
.LBB232_1537:                           ;   in Loop: Header=BB232_10 Depth=1
	s_or_b32 exec_lo, exec_lo, s7
.LBB232_1538:                           ;   in Loop: Header=BB232_10 Depth=1
	s_or_b32 exec_lo, exec_lo, s6
	s_mov_b32 s6, exec_lo
	v_cmpx_lt_u32_e32 0xffffff, v2
	s_cbranch_execz .LBB232_1546
; %bb.1539:                             ;   in Loop: Header=BB232_10 Depth=1
	v_mov_b32_e32 v0, 0x80
	v_mov_b32_e32 v84, v61
	buffer_store_dword v84, off, s[0:3], s32 offset:1708 ; 4-byte Folded Spill
	buffer_store_dword v85, off, s[0:3], s32 offset:1712 ; 4-byte Folded Spill
	v_cmp_ne_u32_sdwa s5, v2, v0 src0_sel:BYTE_3 src1_sel:DWORD
	s_and_saveexec_b32 s7, s5
	s_cbranch_execz .LBB232_1545
; %bb.1540:                             ;   in Loop: Header=BB232_10 Depth=1
	v_bfe_u32 v0, v2, 24, 7
	v_mov_b32_e32 v86, v61
	s_mov_b32 s17, exec_lo
	buffer_store_dword v86, off, s[0:3], s32 offset:1708 ; 4-byte Folded Spill
	buffer_store_dword v87, off, s[0:3], s32 offset:1712 ; 4-byte Folded Spill
	v_cmpx_ne_u32_e32 0x7f, v0
	s_cbranch_execz .LBB232_1544
; %bb.1541:                             ;   in Loop: Header=BB232_10 Depth=1
	v_mov_b32_e32 v1, 7
	v_lshrrev_b32_e32 v3, 3, v0
	v_cmp_gt_u32_e64 s5, 8, v0
	v_and_b32_sdwa v60, v2, v1 dst_sel:DWORD dst_unused:UNUSED_PAD src0_sel:BYTE_3 src1_sel:DWORD
	v_mov_b32_e32 v0, v60
	v_mov_b32_e32 v1, v61
	s_and_saveexec_b32 s18, s5
; %bb.1542:                             ;   in Loop: Header=BB232_10 Depth=1
	v_ffbh_u32_e32 v0, v60
	v_min_u32_e32 v3, 32, v0
	v_subrev_nc_u32_e32 v0, 28, v3
	v_sub_nc_u32_e32 v3, 29, v3
	v_lshlrev_b64 v[0:1], v0, v[60:61]
	v_and_b32_e32 v0, 7, v0
; %bb.1543:                             ;   in Loop: Header=BB232_10 Depth=1
	s_or_b32 exec_lo, exec_lo, s18
	v_mov_b32_e32 v1, 24
	v_lshlrev_b32_e32 v0, 20, v0
	v_lshlrev_b32_sdwa v1, v1, v2 dst_sel:DWORD dst_unused:UNUSED_PAD src0_sel:DWORD src1_sel:BYTE_3
	v_lshl_add_u32 v2, v3, 23, 0x3c000000
	v_and_b32_e32 v1, 0x80000000, v1
	v_or3_b32 v1, v0, v1, v2
	v_mov_b32_e32 v0, v61
	buffer_store_dword v0, off, s[0:3], s32 offset:1708 ; 4-byte Folded Spill
	buffer_store_dword v1, off, s[0:3], s32 offset:1712 ; 4-byte Folded Spill
.LBB232_1544:                           ;   in Loop: Header=BB232_10 Depth=1
	s_or_b32 exec_lo, exec_lo, s17
.LBB232_1545:                           ;   in Loop: Header=BB232_10 Depth=1
	s_or_b32 exec_lo, exec_lo, s7
.LBB232_1546:                           ;   in Loop: Header=BB232_10 Depth=1
	s_or_b32 exec_lo, exec_lo, s6
	v_add_co_u32 v62, s5, 0x1800, v39
	v_add_co_ci_u32_e64 v63, null, 0, v40, s5
	v_mov_b32_e32 v0, 0
	v_mov_b32_e32 v1, 0
	flat_load_dword v2, v[62:63]
	buffer_store_dword v0, off, s[0:3], s32 offset:1732 ; 4-byte Folded Spill
	buffer_store_dword v1, off, s[0:3], s32 offset:1736 ; 4-byte Folded Spill
	v_mov_b32_e32 v0, 0
	v_mov_b32_e32 v1, 0
	buffer_store_dword v0, off, s[0:3], s32 offset:1756 ; 4-byte Folded Spill
	buffer_store_dword v1, off, s[0:3], s32 offset:1760 ; 4-byte Folded Spill
	s_waitcnt vmcnt(0) lgkmcnt(0)
	v_cmp_ne_u16_sdwa s5, v2, v61 src0_sel:BYTE_0 src1_sel:DWORD
	s_and_saveexec_b32 s6, s5
	s_cbranch_execz .LBB232_1554
; %bb.1547:                             ;   in Loop: Header=BB232_10 Depth=1
	v_bfrev_b32_e32 v0, 1
	v_mov_b32_e32 v1, 0
	buffer_store_dword v0, off, s[0:3], s32 offset:1756 ; 4-byte Folded Spill
	buffer_store_dword v1, off, s[0:3], s32 offset:1760 ; 4-byte Folded Spill
	v_mov_b32_e32 v0, 0x80
	v_cmp_ne_u16_sdwa s5, v2, v0 src0_sel:BYTE_0 src1_sel:DWORD
	s_and_saveexec_b32 s7, s5
	s_cbranch_execz .LBB232_1553
; %bb.1548:                             ;   in Loop: Header=BB232_10 Depth=1
	v_mov_b32_e32 v3, 0x7f800001
	v_and_b32_e32 v0, 0x7f, v2
	v_mov_b32_e32 v4, 0
	s_mov_b32 s17, exec_lo
	buffer_store_dword v3, off, s[0:3], s32 offset:1756 ; 4-byte Folded Spill
	buffer_store_dword v4, off, s[0:3], s32 offset:1760 ; 4-byte Folded Spill
	v_cmpx_ne_u32_e32 0x7f, v0
	s_cbranch_execz .LBB232_1552
; %bb.1549:                             ;   in Loop: Header=BB232_10 Depth=1
	v_and_b32_e32 v60, 7, v2
	v_lshrrev_b32_e32 v3, 3, v0
	v_cmp_gt_u32_e64 s5, 8, v0
	v_mov_b32_e32 v0, v60
	v_mov_b32_e32 v1, v61
	s_and_saveexec_b32 s18, s5
; %bb.1550:                             ;   in Loop: Header=BB232_10 Depth=1
	v_ffbh_u32_e32 v0, v60
	v_min_u32_e32 v3, 32, v0
	v_subrev_nc_u32_e32 v0, 28, v3
	v_sub_nc_u32_e32 v3, 29, v3
	v_lshlrev_b64 v[0:1], v0, v[60:61]
	v_and_b32_e32 v0, 7, v0
; %bb.1551:                             ;   in Loop: Header=BB232_10 Depth=1
	s_or_b32 exec_lo, exec_lo, s18
	v_lshlrev_b32_e32 v1, 24, v2
	v_lshlrev_b32_e32 v0, 20, v0
	v_lshl_add_u32 v3, v3, 23, 0x3c000000
	v_and_b32_e32 v1, 0x80000000, v1
	v_or3_b32 v60, v0, v1, v3
	buffer_store_dword v60, off, s[0:3], s32 offset:1756 ; 4-byte Folded Spill
	buffer_store_dword v61, off, s[0:3], s32 offset:1760 ; 4-byte Folded Spill
.LBB232_1552:                           ;   in Loop: Header=BB232_10 Depth=1
	s_or_b32 exec_lo, exec_lo, s17
.LBB232_1553:                           ;   in Loop: Header=BB232_10 Depth=1
	s_or_b32 exec_lo, exec_lo, s7
.LBB232_1554:                           ;   in Loop: Header=BB232_10 Depth=1
	s_or_b32 exec_lo, exec_lo, s6
	v_cmp_ne_u16_sdwa s5, v2, v61 src0_sel:BYTE_1 src1_sel:DWORD
	s_and_saveexec_b32 s6, s5
	s_cbranch_execz .LBB232_1562
; %bb.1555:                             ;   in Loop: Header=BB232_10 Depth=1
	v_mov_b32_e32 v0, 0x80
	v_mov_b32_e32 v84, v61
	buffer_store_dword v84, off, s[0:3], s32 offset:1732 ; 4-byte Folded Spill
	buffer_store_dword v85, off, s[0:3], s32 offset:1736 ; 4-byte Folded Spill
	v_cmp_ne_u16_sdwa s5, v2, v0 src0_sel:BYTE_1 src1_sel:DWORD
	s_and_saveexec_b32 s7, s5
	s_cbranch_execz .LBB232_1561
; %bb.1556:                             ;   in Loop: Header=BB232_10 Depth=1
	v_mov_b32_e32 v0, 0xffff
	v_mov_b32_e32 v86, v61
	s_mov_b32 s17, exec_lo
	buffer_store_dword v86, off, s[0:3], s32 offset:1732 ; 4-byte Folded Spill
	buffer_store_dword v87, off, s[0:3], s32 offset:1736 ; 4-byte Folded Spill
	v_and_b32_sdwa v1, v0, v2 dst_sel:DWORD dst_unused:UNUSED_PAD src0_sel:DWORD src1_sel:BYTE_1
	v_and_b32_e32 v0, 0x7f, v1
	v_cmpx_ne_u32_e32 0x7f, v0
	s_cbranch_execz .LBB232_1560
; %bb.1557:                             ;   in Loop: Header=BB232_10 Depth=1
	v_and_b32_e32 v60, 7, v1
	v_lshrrev_b32_e32 v3, 3, v0
	v_cmp_gt_u32_e64 s5, 8, v0
	v_mov_b32_e32 v0, v60
	v_mov_b32_e32 v1, v61
	s_and_saveexec_b32 s18, s5
; %bb.1558:                             ;   in Loop: Header=BB232_10 Depth=1
	v_ffbh_u32_e32 v0, v60
	v_min_u32_e32 v3, 32, v0
	v_subrev_nc_u32_e32 v0, 28, v3
	v_sub_nc_u32_e32 v3, 29, v3
	v_lshlrev_b64 v[0:1], v0, v[60:61]
	v_and_b32_e32 v0, 7, v0
; %bb.1559:                             ;   in Loop: Header=BB232_10 Depth=1
	s_or_b32 exec_lo, exec_lo, s18
	v_lshlrev_b32_e32 v1, 16, v2
	v_lshlrev_b32_e32 v0, 20, v0
	v_lshl_add_u32 v3, v3, 23, 0x3c000000
	v_and_b32_e32 v1, 0x80000000, v1
	v_or3_b32 v1, v0, v1, v3
	v_mov_b32_e32 v0, v61
	buffer_store_dword v0, off, s[0:3], s32 offset:1732 ; 4-byte Folded Spill
	buffer_store_dword v1, off, s[0:3], s32 offset:1736 ; 4-byte Folded Spill
.LBB232_1560:                           ;   in Loop: Header=BB232_10 Depth=1
	s_or_b32 exec_lo, exec_lo, s17
.LBB232_1561:                           ;   in Loop: Header=BB232_10 Depth=1
	s_or_b32 exec_lo, exec_lo, s7
.LBB232_1562:                           ;   in Loop: Header=BB232_10 Depth=1
	s_or_b32 exec_lo, exec_lo, s6
	v_mov_b32_e32 v3, 0
	v_mov_b32_e32 v4, 0
	;; [unrolled: 1-line block ×3, first 2 shown]
	s_mov_b32 s6, exec_lo
	buffer_store_dword v3, off, s[0:3], s32 offset:1740 ; 4-byte Folded Spill
	buffer_store_dword v4, off, s[0:3], s32 offset:1744 ; 4-byte Folded Spill
	v_mov_b32_e32 v3, 0
	v_and_b32_sdwa v0, v2, v0 dst_sel:DWORD dst_unused:UNUSED_PAD src0_sel:WORD_1 src1_sel:DWORD
	v_mov_b32_e32 v4, 0
	buffer_store_dword v3, off, s[0:3], s32 offset:1748 ; 4-byte Folded Spill
	buffer_store_dword v4, off, s[0:3], s32 offset:1752 ; 4-byte Folded Spill
	v_cmpx_ne_u16_e32 0, v0
	s_cbranch_execz .LBB232_1570
; %bb.1563:                             ;   in Loop: Header=BB232_10 Depth=1
	v_cmp_ne_u16_e64 s5, 0x80, v0
	v_bfrev_b32_e32 v0, 1
	v_mov_b32_e32 v1, 0
	buffer_store_dword v0, off, s[0:3], s32 offset:1748 ; 4-byte Folded Spill
	buffer_store_dword v1, off, s[0:3], s32 offset:1752 ; 4-byte Folded Spill
	s_and_saveexec_b32 s7, s5
	s_cbranch_execz .LBB232_1569
; %bb.1564:                             ;   in Loop: Header=BB232_10 Depth=1
	v_mov_b32_e32 v3, 0x7f800001
	v_bfe_u32 v0, v2, 16, 7
	v_mov_b32_e32 v4, 0
	s_mov_b32 s17, exec_lo
	buffer_store_dword v3, off, s[0:3], s32 offset:1748 ; 4-byte Folded Spill
	buffer_store_dword v4, off, s[0:3], s32 offset:1752 ; 4-byte Folded Spill
	v_cmpx_ne_u32_e32 0x7f, v0
	s_cbranch_execz .LBB232_1568
; %bb.1565:                             ;   in Loop: Header=BB232_10 Depth=1
	v_mov_b32_e32 v1, 7
	v_lshrrev_b32_e32 v3, 3, v0
	v_cmp_gt_u32_e64 s5, 8, v0
	v_and_b32_sdwa v60, v2, v1 dst_sel:DWORD dst_unused:UNUSED_PAD src0_sel:WORD_1 src1_sel:DWORD
	v_mov_b32_e32 v0, v60
	v_mov_b32_e32 v1, v61
	s_and_saveexec_b32 s18, s5
; %bb.1566:                             ;   in Loop: Header=BB232_10 Depth=1
	v_ffbh_u32_e32 v0, v60
	v_min_u32_e32 v3, 32, v0
	v_subrev_nc_u32_e32 v0, 28, v3
	v_sub_nc_u32_e32 v3, 29, v3
	v_lshlrev_b64 v[0:1], v0, v[60:61]
	v_and_b32_e32 v0, 7, v0
; %bb.1567:                             ;   in Loop: Header=BB232_10 Depth=1
	s_or_b32 exec_lo, exec_lo, s18
	v_mov_b32_e32 v1, 24
	v_lshlrev_b32_e32 v0, 20, v0
	v_lshl_add_u32 v3, v3, 23, 0x3c000000
	v_lshlrev_b32_sdwa v1, v1, v2 dst_sel:DWORD dst_unused:UNUSED_PAD src0_sel:DWORD src1_sel:WORD_1
	v_and_b32_e32 v1, 0x80000000, v1
	v_or3_b32 v60, v0, v1, v3
	buffer_store_dword v60, off, s[0:3], s32 offset:1748 ; 4-byte Folded Spill
	buffer_store_dword v61, off, s[0:3], s32 offset:1752 ; 4-byte Folded Spill
.LBB232_1568:                           ;   in Loop: Header=BB232_10 Depth=1
	s_or_b32 exec_lo, exec_lo, s17
.LBB232_1569:                           ;   in Loop: Header=BB232_10 Depth=1
	s_or_b32 exec_lo, exec_lo, s7
.LBB232_1570:                           ;   in Loop: Header=BB232_10 Depth=1
	s_or_b32 exec_lo, exec_lo, s6
	s_mov_b32 s6, exec_lo
	v_cmpx_lt_u32_e32 0xffffff, v2
	s_cbranch_execz .LBB232_1578
; %bb.1571:                             ;   in Loop: Header=BB232_10 Depth=1
	v_mov_b32_e32 v0, 0x80
	v_mov_b32_e32 v84, v61
	buffer_store_dword v84, off, s[0:3], s32 offset:1740 ; 4-byte Folded Spill
	buffer_store_dword v85, off, s[0:3], s32 offset:1744 ; 4-byte Folded Spill
	v_cmp_ne_u32_sdwa s5, v2, v0 src0_sel:BYTE_3 src1_sel:DWORD
	s_and_saveexec_b32 s7, s5
	s_cbranch_execz .LBB232_1577
; %bb.1572:                             ;   in Loop: Header=BB232_10 Depth=1
	v_bfe_u32 v0, v2, 24, 7
	v_mov_b32_e32 v86, v61
	s_mov_b32 s17, exec_lo
	buffer_store_dword v86, off, s[0:3], s32 offset:1740 ; 4-byte Folded Spill
	buffer_store_dword v87, off, s[0:3], s32 offset:1744 ; 4-byte Folded Spill
	v_cmpx_ne_u32_e32 0x7f, v0
	s_cbranch_execz .LBB232_1576
; %bb.1573:                             ;   in Loop: Header=BB232_10 Depth=1
	v_mov_b32_e32 v1, 7
	v_lshrrev_b32_e32 v3, 3, v0
	v_cmp_gt_u32_e64 s5, 8, v0
	v_and_b32_sdwa v60, v2, v1 dst_sel:DWORD dst_unused:UNUSED_PAD src0_sel:BYTE_3 src1_sel:DWORD
	v_mov_b32_e32 v0, v60
	v_mov_b32_e32 v1, v61
	s_and_saveexec_b32 s18, s5
; %bb.1574:                             ;   in Loop: Header=BB232_10 Depth=1
	v_ffbh_u32_e32 v0, v60
	v_min_u32_e32 v3, 32, v0
	v_subrev_nc_u32_e32 v0, 28, v3
	v_sub_nc_u32_e32 v3, 29, v3
	v_lshlrev_b64 v[0:1], v0, v[60:61]
	v_and_b32_e32 v0, 7, v0
; %bb.1575:                             ;   in Loop: Header=BB232_10 Depth=1
	s_or_b32 exec_lo, exec_lo, s18
	v_mov_b32_e32 v1, 24
	v_lshlrev_b32_e32 v0, 20, v0
	v_lshlrev_b32_sdwa v1, v1, v2 dst_sel:DWORD dst_unused:UNUSED_PAD src0_sel:DWORD src1_sel:BYTE_3
	v_lshl_add_u32 v2, v3, 23, 0x3c000000
	v_and_b32_e32 v1, 0x80000000, v1
	v_or3_b32 v1, v0, v1, v2
	v_mov_b32_e32 v0, v61
	buffer_store_dword v0, off, s[0:3], s32 offset:1740 ; 4-byte Folded Spill
	buffer_store_dword v1, off, s[0:3], s32 offset:1744 ; 4-byte Folded Spill
.LBB232_1576:                           ;   in Loop: Header=BB232_10 Depth=1
	s_or_b32 exec_lo, exec_lo, s17
.LBB232_1577:                           ;   in Loop: Header=BB232_10 Depth=1
	s_or_b32 exec_lo, exec_lo, s7
.LBB232_1578:                           ;   in Loop: Header=BB232_10 Depth=1
	s_or_b32 exec_lo, exec_lo, s6
	flat_load_dword v2, v[62:63] offset:4
	v_mov_b32_e32 v0, 0
	v_mov_b32_e32 v1, 0
	buffer_store_dword v0, off, s[0:3], s32 offset:1764 ; 4-byte Folded Spill
	buffer_store_dword v1, off, s[0:3], s32 offset:1768 ; 4-byte Folded Spill
	v_mov_b32_e32 v0, 0
	v_mov_b32_e32 v1, 0
	buffer_store_dword v0, off, s[0:3], s32 offset:1788 ; 4-byte Folded Spill
	buffer_store_dword v1, off, s[0:3], s32 offset:1792 ; 4-byte Folded Spill
	s_waitcnt vmcnt(0) lgkmcnt(0)
	v_cmp_ne_u16_sdwa s5, v2, v61 src0_sel:BYTE_0 src1_sel:DWORD
	s_and_saveexec_b32 s6, s5
	s_cbranch_execz .LBB232_1586
; %bb.1579:                             ;   in Loop: Header=BB232_10 Depth=1
	v_bfrev_b32_e32 v0, 1
	v_mov_b32_e32 v1, 0
	buffer_store_dword v0, off, s[0:3], s32 offset:1788 ; 4-byte Folded Spill
	buffer_store_dword v1, off, s[0:3], s32 offset:1792 ; 4-byte Folded Spill
	v_mov_b32_e32 v0, 0x80
	v_cmp_ne_u16_sdwa s5, v2, v0 src0_sel:BYTE_0 src1_sel:DWORD
	s_and_saveexec_b32 s7, s5
	s_cbranch_execz .LBB232_1585
; %bb.1580:                             ;   in Loop: Header=BB232_10 Depth=1
	v_mov_b32_e32 v3, 0x7f800001
	v_and_b32_e32 v0, 0x7f, v2
	v_mov_b32_e32 v4, 0
	s_mov_b32 s17, exec_lo
	buffer_store_dword v3, off, s[0:3], s32 offset:1788 ; 4-byte Folded Spill
	buffer_store_dword v4, off, s[0:3], s32 offset:1792 ; 4-byte Folded Spill
	v_cmpx_ne_u32_e32 0x7f, v0
	s_cbranch_execz .LBB232_1584
; %bb.1581:                             ;   in Loop: Header=BB232_10 Depth=1
	v_and_b32_e32 v60, 7, v2
	v_lshrrev_b32_e32 v3, 3, v0
	v_cmp_gt_u32_e64 s5, 8, v0
	v_mov_b32_e32 v0, v60
	v_mov_b32_e32 v1, v61
	s_and_saveexec_b32 s18, s5
; %bb.1582:                             ;   in Loop: Header=BB232_10 Depth=1
	v_ffbh_u32_e32 v0, v60
	v_min_u32_e32 v3, 32, v0
	v_subrev_nc_u32_e32 v0, 28, v3
	v_sub_nc_u32_e32 v3, 29, v3
	v_lshlrev_b64 v[0:1], v0, v[60:61]
	v_and_b32_e32 v0, 7, v0
; %bb.1583:                             ;   in Loop: Header=BB232_10 Depth=1
	s_or_b32 exec_lo, exec_lo, s18
	v_lshlrev_b32_e32 v1, 24, v2
	v_lshlrev_b32_e32 v0, 20, v0
	v_lshl_add_u32 v3, v3, 23, 0x3c000000
	v_and_b32_e32 v1, 0x80000000, v1
	v_or3_b32 v60, v0, v1, v3
	buffer_store_dword v60, off, s[0:3], s32 offset:1788 ; 4-byte Folded Spill
	buffer_store_dword v61, off, s[0:3], s32 offset:1792 ; 4-byte Folded Spill
.LBB232_1584:                           ;   in Loop: Header=BB232_10 Depth=1
	s_or_b32 exec_lo, exec_lo, s17
.LBB232_1585:                           ;   in Loop: Header=BB232_10 Depth=1
	s_or_b32 exec_lo, exec_lo, s7
.LBB232_1586:                           ;   in Loop: Header=BB232_10 Depth=1
	s_or_b32 exec_lo, exec_lo, s6
	v_cmp_ne_u16_sdwa s5, v2, v61 src0_sel:BYTE_1 src1_sel:DWORD
	s_and_saveexec_b32 s6, s5
	s_cbranch_execz .LBB232_1594
; %bb.1587:                             ;   in Loop: Header=BB232_10 Depth=1
	v_mov_b32_e32 v0, 0x80
	v_mov_b32_e32 v84, v61
	buffer_store_dword v84, off, s[0:3], s32 offset:1764 ; 4-byte Folded Spill
	buffer_store_dword v85, off, s[0:3], s32 offset:1768 ; 4-byte Folded Spill
	v_cmp_ne_u16_sdwa s5, v2, v0 src0_sel:BYTE_1 src1_sel:DWORD
	s_and_saveexec_b32 s7, s5
	s_cbranch_execz .LBB232_1593
; %bb.1588:                             ;   in Loop: Header=BB232_10 Depth=1
	v_mov_b32_e32 v0, 0xffff
	v_mov_b32_e32 v86, v61
	s_mov_b32 s17, exec_lo
	buffer_store_dword v86, off, s[0:3], s32 offset:1764 ; 4-byte Folded Spill
	buffer_store_dword v87, off, s[0:3], s32 offset:1768 ; 4-byte Folded Spill
	v_and_b32_sdwa v1, v0, v2 dst_sel:DWORD dst_unused:UNUSED_PAD src0_sel:DWORD src1_sel:BYTE_1
	v_and_b32_e32 v0, 0x7f, v1
	v_cmpx_ne_u32_e32 0x7f, v0
	s_cbranch_execz .LBB232_1592
; %bb.1589:                             ;   in Loop: Header=BB232_10 Depth=1
	v_and_b32_e32 v60, 7, v1
	v_lshrrev_b32_e32 v3, 3, v0
	v_cmp_gt_u32_e64 s5, 8, v0
	v_mov_b32_e32 v0, v60
	v_mov_b32_e32 v1, v61
	s_and_saveexec_b32 s18, s5
; %bb.1590:                             ;   in Loop: Header=BB232_10 Depth=1
	v_ffbh_u32_e32 v0, v60
	v_min_u32_e32 v3, 32, v0
	v_subrev_nc_u32_e32 v0, 28, v3
	v_sub_nc_u32_e32 v3, 29, v3
	v_lshlrev_b64 v[0:1], v0, v[60:61]
	v_and_b32_e32 v0, 7, v0
; %bb.1591:                             ;   in Loop: Header=BB232_10 Depth=1
	s_or_b32 exec_lo, exec_lo, s18
	v_lshlrev_b32_e32 v1, 16, v2
	v_lshlrev_b32_e32 v0, 20, v0
	v_lshl_add_u32 v3, v3, 23, 0x3c000000
	v_and_b32_e32 v1, 0x80000000, v1
	v_or3_b32 v1, v0, v1, v3
	v_mov_b32_e32 v0, v61
	buffer_store_dword v0, off, s[0:3], s32 offset:1764 ; 4-byte Folded Spill
	buffer_store_dword v1, off, s[0:3], s32 offset:1768 ; 4-byte Folded Spill
.LBB232_1592:                           ;   in Loop: Header=BB232_10 Depth=1
	s_or_b32 exec_lo, exec_lo, s17
.LBB232_1593:                           ;   in Loop: Header=BB232_10 Depth=1
	s_or_b32 exec_lo, exec_lo, s7
.LBB232_1594:                           ;   in Loop: Header=BB232_10 Depth=1
	s_or_b32 exec_lo, exec_lo, s6
	v_mov_b32_e32 v3, 0
	v_mov_b32_e32 v4, 0
	;; [unrolled: 1-line block ×3, first 2 shown]
	s_mov_b32 s6, exec_lo
	buffer_store_dword v3, off, s[0:3], s32 offset:1772 ; 4-byte Folded Spill
	buffer_store_dword v4, off, s[0:3], s32 offset:1776 ; 4-byte Folded Spill
	v_mov_b32_e32 v3, 0
	v_and_b32_sdwa v0, v2, v0 dst_sel:DWORD dst_unused:UNUSED_PAD src0_sel:WORD_1 src1_sel:DWORD
	v_mov_b32_e32 v4, 0
	buffer_store_dword v3, off, s[0:3], s32 offset:1780 ; 4-byte Folded Spill
	buffer_store_dword v4, off, s[0:3], s32 offset:1784 ; 4-byte Folded Spill
	v_cmpx_ne_u16_e32 0, v0
	s_cbranch_execz .LBB232_1602
; %bb.1595:                             ;   in Loop: Header=BB232_10 Depth=1
	v_cmp_ne_u16_e64 s5, 0x80, v0
	v_bfrev_b32_e32 v0, 1
	v_mov_b32_e32 v1, 0
	buffer_store_dword v0, off, s[0:3], s32 offset:1780 ; 4-byte Folded Spill
	buffer_store_dword v1, off, s[0:3], s32 offset:1784 ; 4-byte Folded Spill
	s_and_saveexec_b32 s7, s5
	s_cbranch_execz .LBB232_1601
; %bb.1596:                             ;   in Loop: Header=BB232_10 Depth=1
	v_mov_b32_e32 v3, 0x7f800001
	v_bfe_u32 v0, v2, 16, 7
	v_mov_b32_e32 v4, 0
	s_mov_b32 s17, exec_lo
	buffer_store_dword v3, off, s[0:3], s32 offset:1780 ; 4-byte Folded Spill
	buffer_store_dword v4, off, s[0:3], s32 offset:1784 ; 4-byte Folded Spill
	v_cmpx_ne_u32_e32 0x7f, v0
	s_cbranch_execz .LBB232_1600
; %bb.1597:                             ;   in Loop: Header=BB232_10 Depth=1
	v_mov_b32_e32 v1, 7
	v_lshrrev_b32_e32 v3, 3, v0
	v_cmp_gt_u32_e64 s5, 8, v0
	v_and_b32_sdwa v60, v2, v1 dst_sel:DWORD dst_unused:UNUSED_PAD src0_sel:WORD_1 src1_sel:DWORD
	v_mov_b32_e32 v0, v60
	v_mov_b32_e32 v1, v61
	s_and_saveexec_b32 s18, s5
; %bb.1598:                             ;   in Loop: Header=BB232_10 Depth=1
	v_ffbh_u32_e32 v0, v60
	v_min_u32_e32 v3, 32, v0
	v_subrev_nc_u32_e32 v0, 28, v3
	v_sub_nc_u32_e32 v3, 29, v3
	v_lshlrev_b64 v[0:1], v0, v[60:61]
	v_and_b32_e32 v0, 7, v0
; %bb.1599:                             ;   in Loop: Header=BB232_10 Depth=1
	s_or_b32 exec_lo, exec_lo, s18
	v_mov_b32_e32 v1, 24
	v_lshlrev_b32_e32 v0, 20, v0
	v_lshl_add_u32 v3, v3, 23, 0x3c000000
	v_lshlrev_b32_sdwa v1, v1, v2 dst_sel:DWORD dst_unused:UNUSED_PAD src0_sel:DWORD src1_sel:WORD_1
	v_and_b32_e32 v1, 0x80000000, v1
	v_or3_b32 v60, v0, v1, v3
	buffer_store_dword v60, off, s[0:3], s32 offset:1780 ; 4-byte Folded Spill
	buffer_store_dword v61, off, s[0:3], s32 offset:1784 ; 4-byte Folded Spill
.LBB232_1600:                           ;   in Loop: Header=BB232_10 Depth=1
	s_or_b32 exec_lo, exec_lo, s17
.LBB232_1601:                           ;   in Loop: Header=BB232_10 Depth=1
	s_or_b32 exec_lo, exec_lo, s7
.LBB232_1602:                           ;   in Loop: Header=BB232_10 Depth=1
	s_or_b32 exec_lo, exec_lo, s6
	s_mov_b32 s6, exec_lo
	v_cmpx_lt_u32_e32 0xffffff, v2
	s_cbranch_execz .LBB232_1610
; %bb.1603:                             ;   in Loop: Header=BB232_10 Depth=1
	v_mov_b32_e32 v0, 0x80
	v_mov_b32_e32 v84, v61
	buffer_store_dword v84, off, s[0:3], s32 offset:1772 ; 4-byte Folded Spill
	buffer_store_dword v85, off, s[0:3], s32 offset:1776 ; 4-byte Folded Spill
	v_cmp_ne_u32_sdwa s5, v2, v0 src0_sel:BYTE_3 src1_sel:DWORD
	s_and_saveexec_b32 s7, s5
	s_cbranch_execz .LBB232_1609
; %bb.1604:                             ;   in Loop: Header=BB232_10 Depth=1
	v_bfe_u32 v0, v2, 24, 7
	v_mov_b32_e32 v86, v61
	s_mov_b32 s17, exec_lo
	buffer_store_dword v86, off, s[0:3], s32 offset:1772 ; 4-byte Folded Spill
	buffer_store_dword v87, off, s[0:3], s32 offset:1776 ; 4-byte Folded Spill
	v_cmpx_ne_u32_e32 0x7f, v0
	s_cbranch_execz .LBB232_1608
; %bb.1605:                             ;   in Loop: Header=BB232_10 Depth=1
	v_mov_b32_e32 v1, 7
	v_lshrrev_b32_e32 v3, 3, v0
	v_cmp_gt_u32_e64 s5, 8, v0
	v_and_b32_sdwa v60, v2, v1 dst_sel:DWORD dst_unused:UNUSED_PAD src0_sel:BYTE_3 src1_sel:DWORD
	v_mov_b32_e32 v0, v60
	v_mov_b32_e32 v1, v61
	s_and_saveexec_b32 s18, s5
; %bb.1606:                             ;   in Loop: Header=BB232_10 Depth=1
	v_ffbh_u32_e32 v0, v60
	v_min_u32_e32 v3, 32, v0
	v_subrev_nc_u32_e32 v0, 28, v3
	v_sub_nc_u32_e32 v3, 29, v3
	v_lshlrev_b64 v[0:1], v0, v[60:61]
	v_and_b32_e32 v0, 7, v0
; %bb.1607:                             ;   in Loop: Header=BB232_10 Depth=1
	s_or_b32 exec_lo, exec_lo, s18
	v_mov_b32_e32 v1, 24
	v_lshlrev_b32_e32 v0, 20, v0
	v_lshlrev_b32_sdwa v1, v1, v2 dst_sel:DWORD dst_unused:UNUSED_PAD src0_sel:DWORD src1_sel:BYTE_3
	v_lshl_add_u32 v2, v3, 23, 0x3c000000
	v_and_b32_e32 v1, 0x80000000, v1
	v_or3_b32 v1, v0, v1, v2
	v_mov_b32_e32 v0, v61
	buffer_store_dword v0, off, s[0:3], s32 offset:1772 ; 4-byte Folded Spill
	buffer_store_dword v1, off, s[0:3], s32 offset:1776 ; 4-byte Folded Spill
.LBB232_1608:                           ;   in Loop: Header=BB232_10 Depth=1
	s_or_b32 exec_lo, exec_lo, s17
.LBB232_1609:                           ;   in Loop: Header=BB232_10 Depth=1
	s_or_b32 exec_lo, exec_lo, s7
.LBB232_1610:                           ;   in Loop: Header=BB232_10 Depth=1
	s_or_b32 exec_lo, exec_lo, s6
	flat_load_dword v2, v[62:63] offset:8
	v_mov_b32_e32 v0, 0
	v_mov_b32_e32 v100, 0
	;; [unrolled: 1-line block ×4, first 2 shown]
	buffer_store_dword v0, off, s[0:3], s32 offset:1796 ; 4-byte Folded Spill
	buffer_store_dword v1, off, s[0:3], s32 offset:1800 ; 4-byte Folded Spill
	s_waitcnt vmcnt(0) lgkmcnt(0)
	v_cmp_ne_u16_sdwa s5, v2, v61 src0_sel:BYTE_0 src1_sel:DWORD
	s_and_saveexec_b32 s6, s5
	s_cbranch_execz .LBB232_1618
; %bb.1611:                             ;   in Loop: Header=BB232_10 Depth=1
	v_mov_b32_e32 v0, 0x80
	v_bfrev_b32_e32 v100, 1
	v_mov_b32_e32 v101, 0
	v_cmp_ne_u16_sdwa s5, v2, v0 src0_sel:BYTE_0 src1_sel:DWORD
	s_and_saveexec_b32 s7, s5
	s_cbranch_execz .LBB232_1617
; %bb.1612:                             ;   in Loop: Header=BB232_10 Depth=1
	v_mov_b32_e32 v100, 0x7f800001
	v_and_b32_e32 v0, 0x7f, v2
	v_mov_b32_e32 v101, 0
	s_mov_b32 s17, exec_lo
	v_cmpx_ne_u32_e32 0x7f, v0
	s_cbranch_execz .LBB232_1616
; %bb.1613:                             ;   in Loop: Header=BB232_10 Depth=1
	v_and_b32_e32 v60, 7, v2
	v_lshrrev_b32_e32 v3, 3, v0
	v_cmp_gt_u32_e64 s5, 8, v0
	v_mov_b32_e32 v0, v60
	v_mov_b32_e32 v1, v61
	s_and_saveexec_b32 s18, s5
; %bb.1614:                             ;   in Loop: Header=BB232_10 Depth=1
	v_ffbh_u32_e32 v0, v60
	v_min_u32_e32 v3, 32, v0
	v_subrev_nc_u32_e32 v0, 28, v3
	v_sub_nc_u32_e32 v3, 29, v3
	v_lshlrev_b64 v[0:1], v0, v[60:61]
	v_and_b32_e32 v0, 7, v0
; %bb.1615:                             ;   in Loop: Header=BB232_10 Depth=1
	s_or_b32 exec_lo, exec_lo, s18
	v_lshlrev_b32_e32 v1, 24, v2
	v_lshlrev_b32_e32 v0, 20, v0
	v_lshl_add_u32 v3, v3, 23, 0x3c000000
	v_and_b32_e32 v1, 0x80000000, v1
	v_or3_b32 v60, v0, v1, v3
	v_mov_b32_e32 v101, v61
	v_mov_b32_e32 v100, v60
.LBB232_1616:                           ;   in Loop: Header=BB232_10 Depth=1
	s_or_b32 exec_lo, exec_lo, s17
.LBB232_1617:                           ;   in Loop: Header=BB232_10 Depth=1
	s_or_b32 exec_lo, exec_lo, s7
.LBB232_1618:                           ;   in Loop: Header=BB232_10 Depth=1
	s_or_b32 exec_lo, exec_lo, s6
	v_cmp_ne_u16_sdwa s5, v2, v61 src0_sel:BYTE_1 src1_sel:DWORD
	s_and_saveexec_b32 s6, s5
	s_cbranch_execz .LBB232_1626
; %bb.1619:                             ;   in Loop: Header=BB232_10 Depth=1
	v_mov_b32_e32 v0, 0x80
	v_mov_b32_e32 v84, v61
	buffer_store_dword v84, off, s[0:3], s32 offset:1796 ; 4-byte Folded Spill
	buffer_store_dword v85, off, s[0:3], s32 offset:1800 ; 4-byte Folded Spill
	v_cmp_ne_u16_sdwa s5, v2, v0 src0_sel:BYTE_1 src1_sel:DWORD
	s_and_saveexec_b32 s7, s5
	s_cbranch_execz .LBB232_1625
; %bb.1620:                             ;   in Loop: Header=BB232_10 Depth=1
	v_mov_b32_e32 v0, 0xffff
	v_mov_b32_e32 v86, v61
	s_mov_b32 s17, exec_lo
	buffer_store_dword v86, off, s[0:3], s32 offset:1796 ; 4-byte Folded Spill
	buffer_store_dword v87, off, s[0:3], s32 offset:1800 ; 4-byte Folded Spill
	v_and_b32_sdwa v1, v0, v2 dst_sel:DWORD dst_unused:UNUSED_PAD src0_sel:DWORD src1_sel:BYTE_1
	v_and_b32_e32 v0, 0x7f, v1
	v_cmpx_ne_u32_e32 0x7f, v0
	s_cbranch_execz .LBB232_1624
; %bb.1621:                             ;   in Loop: Header=BB232_10 Depth=1
	v_and_b32_e32 v60, 7, v1
	v_lshrrev_b32_e32 v3, 3, v0
	v_cmp_gt_u32_e64 s5, 8, v0
	v_mov_b32_e32 v0, v60
	v_mov_b32_e32 v1, v61
	s_and_saveexec_b32 s18, s5
; %bb.1622:                             ;   in Loop: Header=BB232_10 Depth=1
	v_ffbh_u32_e32 v0, v60
	v_min_u32_e32 v3, 32, v0
	v_subrev_nc_u32_e32 v0, 28, v3
	v_sub_nc_u32_e32 v3, 29, v3
	v_lshlrev_b64 v[0:1], v0, v[60:61]
	v_and_b32_e32 v0, 7, v0
; %bb.1623:                             ;   in Loop: Header=BB232_10 Depth=1
	s_or_b32 exec_lo, exec_lo, s18
	v_lshlrev_b32_e32 v1, 16, v2
	v_lshlrev_b32_e32 v0, 20, v0
	v_lshl_add_u32 v3, v3, 23, 0x3c000000
	v_and_b32_e32 v1, 0x80000000, v1
	v_or3_b32 v1, v0, v1, v3
	v_mov_b32_e32 v0, v61
	buffer_store_dword v0, off, s[0:3], s32 offset:1796 ; 4-byte Folded Spill
	buffer_store_dword v1, off, s[0:3], s32 offset:1800 ; 4-byte Folded Spill
.LBB232_1624:                           ;   in Loop: Header=BB232_10 Depth=1
	s_or_b32 exec_lo, exec_lo, s17
.LBB232_1625:                           ;   in Loop: Header=BB232_10 Depth=1
	s_or_b32 exec_lo, exec_lo, s7
.LBB232_1626:                           ;   in Loop: Header=BB232_10 Depth=1
	s_or_b32 exec_lo, exec_lo, s6
	v_mov_b32_e32 v0, 0xff
	v_mov_b32_e32 v16, 0
	;; [unrolled: 1-line block ×5, first 2 shown]
	v_and_b32_sdwa v0, v2, v0 dst_sel:DWORD dst_unused:UNUSED_PAD src0_sel:WORD_1 src1_sel:DWORD
	s_mov_b32 s6, exec_lo
	v_cmpx_ne_u16_e32 0, v0
	s_cbranch_execz .LBB232_1634
; %bb.1627:                             ;   in Loop: Header=BB232_10 Depth=1
	v_bfrev_b32_e32 v14, 1
	v_mov_b32_e32 v15, 0
	s_mov_b32 s7, exec_lo
	v_cmpx_ne_u16_e32 0x80, v0
	s_cbranch_execz .LBB232_1633
; %bb.1628:                             ;   in Loop: Header=BB232_10 Depth=1
	v_mov_b32_e32 v14, 0x7f800001
	v_bfe_u32 v0, v2, 16, 7
	v_mov_b32_e32 v15, 0
	s_mov_b32 s17, exec_lo
	v_cmpx_ne_u32_e32 0x7f, v0
	s_cbranch_execz .LBB232_1632
; %bb.1629:                             ;   in Loop: Header=BB232_10 Depth=1
	v_mov_b32_e32 v1, 7
	v_lshrrev_b32_e32 v3, 3, v0
	v_cmp_gt_u32_e64 s5, 8, v0
	v_and_b32_sdwa v60, v2, v1 dst_sel:DWORD dst_unused:UNUSED_PAD src0_sel:WORD_1 src1_sel:DWORD
	v_mov_b32_e32 v0, v60
	v_mov_b32_e32 v1, v61
	s_and_saveexec_b32 s18, s5
; %bb.1630:                             ;   in Loop: Header=BB232_10 Depth=1
	v_ffbh_u32_e32 v0, v60
	v_min_u32_e32 v3, 32, v0
	v_subrev_nc_u32_e32 v0, 28, v3
	v_sub_nc_u32_e32 v3, 29, v3
	v_lshlrev_b64 v[0:1], v0, v[60:61]
	v_and_b32_e32 v0, 7, v0
; %bb.1631:                             ;   in Loop: Header=BB232_10 Depth=1
	s_or_b32 exec_lo, exec_lo, s18
	v_mov_b32_e32 v1, 24
	v_lshlrev_b32_e32 v0, 20, v0
	v_lshl_add_u32 v3, v3, 23, 0x3c000000
	v_lshlrev_b32_sdwa v1, v1, v2 dst_sel:DWORD dst_unused:UNUSED_PAD src0_sel:DWORD src1_sel:WORD_1
	v_and_b32_e32 v1, 0x80000000, v1
	v_or3_b32 v60, v0, v1, v3
	v_mov_b32_e32 v14, v60
	v_mov_b32_e32 v15, v61
.LBB232_1632:                           ;   in Loop: Header=BB232_10 Depth=1
	s_or_b32 exec_lo, exec_lo, s17
.LBB232_1633:                           ;   in Loop: Header=BB232_10 Depth=1
	s_or_b32 exec_lo, exec_lo, s7
.LBB232_1634:                           ;   in Loop: Header=BB232_10 Depth=1
	s_or_b32 exec_lo, exec_lo, s6
	s_mov_b32 s6, exec_lo
	v_cmpx_lt_u32_e32 0xffffff, v2
	s_cbranch_execz .LBB232_1642
; %bb.1635:                             ;   in Loop: Header=BB232_10 Depth=1
	v_mov_b32_e32 v84, v61
	v_mov_b32_e32 v0, 0x80
	;; [unrolled: 1-line block ×3, first 2 shown]
	v_cmp_ne_u32_sdwa s5, v2, v0 src0_sel:BYTE_3 src1_sel:DWORD
	v_mov_b32_e32 v17, v85
	s_and_saveexec_b32 s7, s5
	s_cbranch_execz .LBB232_1641
; %bb.1636:                             ;   in Loop: Header=BB232_10 Depth=1
	v_mov_b32_e32 v86, v61
	v_bfe_u32 v0, v2, 24, 7
	s_mov_b32 s17, exec_lo
	v_mov_b32_e32 v16, v86
	v_mov_b32_e32 v17, v87
	v_cmpx_ne_u32_e32 0x7f, v0
	s_cbranch_execz .LBB232_1640
; %bb.1637:                             ;   in Loop: Header=BB232_10 Depth=1
	v_mov_b32_e32 v1, 7
	v_lshrrev_b32_e32 v3, 3, v0
	v_cmp_gt_u32_e64 s5, 8, v0
	v_and_b32_sdwa v60, v2, v1 dst_sel:DWORD dst_unused:UNUSED_PAD src0_sel:BYTE_3 src1_sel:DWORD
	v_mov_b32_e32 v0, v60
	v_mov_b32_e32 v1, v61
	s_and_saveexec_b32 s18, s5
; %bb.1638:                             ;   in Loop: Header=BB232_10 Depth=1
	v_ffbh_u32_e32 v0, v60
	v_min_u32_e32 v3, 32, v0
	v_subrev_nc_u32_e32 v0, 28, v3
	v_sub_nc_u32_e32 v3, 29, v3
	v_lshlrev_b64 v[0:1], v0, v[60:61]
	v_and_b32_e32 v0, 7, v0
; %bb.1639:                             ;   in Loop: Header=BB232_10 Depth=1
	s_or_b32 exec_lo, exec_lo, s18
	v_mov_b32_e32 v1, 24
	v_lshlrev_b32_e32 v0, 20, v0
	v_mov_b32_e32 v16, v61
	v_lshlrev_b32_sdwa v1, v1, v2 dst_sel:DWORD dst_unused:UNUSED_PAD src0_sel:DWORD src1_sel:BYTE_3
	v_lshl_add_u32 v2, v3, 23, 0x3c000000
	v_and_b32_e32 v1, 0x80000000, v1
	v_or3_b32 v17, v0, v1, v2
.LBB232_1640:                           ;   in Loop: Header=BB232_10 Depth=1
	s_or_b32 exec_lo, exec_lo, s17
.LBB232_1641:                           ;   in Loop: Header=BB232_10 Depth=1
	s_or_b32 exec_lo, exec_lo, s7
.LBB232_1642:                           ;   in Loop: Header=BB232_10 Depth=1
	s_or_b32 exec_lo, exec_lo, s6
	flat_load_dword v2, v[62:63] offset:12
	v_mov_b32_e32 v43, 0
	v_mov_b32_e32 v50, 0
	;; [unrolled: 1-line block ×4, first 2 shown]
	s_waitcnt vmcnt(0) lgkmcnt(0)
	v_cmp_ne_u16_sdwa s5, v2, v61 src0_sel:BYTE_0 src1_sel:DWORD
	s_and_saveexec_b32 s6, s5
	s_cbranch_execz .LBB232_1650
; %bb.1643:                             ;   in Loop: Header=BB232_10 Depth=1
	v_mov_b32_e32 v0, 0x80
	v_bfrev_b32_e32 v50, 1
	v_mov_b32_e32 v51, 0
	v_cmp_ne_u16_sdwa s5, v2, v0 src0_sel:BYTE_0 src1_sel:DWORD
	s_and_saveexec_b32 s7, s5
	s_cbranch_execz .LBB232_1649
; %bb.1644:                             ;   in Loop: Header=BB232_10 Depth=1
	v_mov_b32_e32 v50, 0x7f800001
	v_and_b32_e32 v0, 0x7f, v2
	v_mov_b32_e32 v51, 0
	s_mov_b32 s17, exec_lo
	v_cmpx_ne_u32_e32 0x7f, v0
	s_cbranch_execz .LBB232_1648
; %bb.1645:                             ;   in Loop: Header=BB232_10 Depth=1
	v_and_b32_e32 v60, 7, v2
	v_lshrrev_b32_e32 v3, 3, v0
	v_cmp_gt_u32_e64 s5, 8, v0
	v_mov_b32_e32 v0, v60
	v_mov_b32_e32 v1, v61
	s_and_saveexec_b32 s18, s5
; %bb.1646:                             ;   in Loop: Header=BB232_10 Depth=1
	v_ffbh_u32_e32 v0, v60
	v_min_u32_e32 v3, 32, v0
	v_subrev_nc_u32_e32 v0, 28, v3
	v_sub_nc_u32_e32 v3, 29, v3
	v_lshlrev_b64 v[0:1], v0, v[60:61]
	v_and_b32_e32 v0, 7, v0
; %bb.1647:                             ;   in Loop: Header=BB232_10 Depth=1
	s_or_b32 exec_lo, exec_lo, s18
	v_lshlrev_b32_e32 v1, 24, v2
	v_lshlrev_b32_e32 v0, 20, v0
	v_lshl_add_u32 v3, v3, 23, 0x3c000000
	v_and_b32_e32 v1, 0x80000000, v1
	v_or3_b32 v60, v0, v1, v3
	v_mov_b32_e32 v50, v60
	v_mov_b32_e32 v51, v61
.LBB232_1648:                           ;   in Loop: Header=BB232_10 Depth=1
	s_or_b32 exec_lo, exec_lo, s17
.LBB232_1649:                           ;   in Loop: Header=BB232_10 Depth=1
	s_or_b32 exec_lo, exec_lo, s7
.LBB232_1650:                           ;   in Loop: Header=BB232_10 Depth=1
	s_or_b32 exec_lo, exec_lo, s6
	v_cmp_ne_u16_sdwa s5, v2, v61 src0_sel:BYTE_1 src1_sel:DWORD
	s_and_saveexec_b32 s6, s5
	s_cbranch_execz .LBB232_1658
; %bb.1651:                             ;   in Loop: Header=BB232_10 Depth=1
	v_mov_b32_e32 v84, v61
	v_mov_b32_e32 v0, 0x80
	;; [unrolled: 1-line block ×3, first 2 shown]
	v_cmp_ne_u16_sdwa s5, v2, v0 src0_sel:BYTE_1 src1_sel:DWORD
	v_mov_b32_e32 v44, v85
	s_and_saveexec_b32 s7, s5
	s_cbranch_execz .LBB232_1657
; %bb.1652:                             ;   in Loop: Header=BB232_10 Depth=1
	v_mov_b32_e32 v0, 0xffff
	v_mov_b32_e32 v86, v61
	s_mov_b32 s17, exec_lo
	v_and_b32_sdwa v1, v0, v2 dst_sel:DWORD dst_unused:UNUSED_PAD src0_sel:DWORD src1_sel:BYTE_1
	v_mov_b32_e32 v43, v86
	v_mov_b32_e32 v44, v87
	v_and_b32_e32 v0, 0x7f, v1
	v_cmpx_ne_u32_e32 0x7f, v0
	s_cbranch_execz .LBB232_1656
; %bb.1653:                             ;   in Loop: Header=BB232_10 Depth=1
	v_and_b32_e32 v60, 7, v1
	v_lshrrev_b32_e32 v3, 3, v0
	v_cmp_gt_u32_e64 s5, 8, v0
	v_mov_b32_e32 v0, v60
	v_mov_b32_e32 v1, v61
	s_and_saveexec_b32 s18, s5
; %bb.1654:                             ;   in Loop: Header=BB232_10 Depth=1
	v_ffbh_u32_e32 v0, v60
	v_min_u32_e32 v3, 32, v0
	v_subrev_nc_u32_e32 v0, 28, v3
	v_sub_nc_u32_e32 v3, 29, v3
	v_lshlrev_b64 v[0:1], v0, v[60:61]
	v_and_b32_e32 v0, 7, v0
; %bb.1655:                             ;   in Loop: Header=BB232_10 Depth=1
	s_or_b32 exec_lo, exec_lo, s18
	v_lshlrev_b32_e32 v1, 16, v2
	v_lshlrev_b32_e32 v0, 20, v0
	v_lshl_add_u32 v3, v3, 23, 0x3c000000
	v_mov_b32_e32 v43, v61
	v_and_b32_e32 v1, 0x80000000, v1
	v_or3_b32 v44, v0, v1, v3
.LBB232_1656:                           ;   in Loop: Header=BB232_10 Depth=1
	s_or_b32 exec_lo, exec_lo, s17
.LBB232_1657:                           ;   in Loop: Header=BB232_10 Depth=1
	s_or_b32 exec_lo, exec_lo, s7
.LBB232_1658:                           ;   in Loop: Header=BB232_10 Depth=1
	s_or_b32 exec_lo, exec_lo, s6
	v_mov_b32_e32 v0, 0xff
	v_mov_b32_e32 v92, 0
	;; [unrolled: 1-line block ×5, first 2 shown]
	v_and_b32_sdwa v0, v2, v0 dst_sel:DWORD dst_unused:UNUSED_PAD src0_sel:WORD_1 src1_sel:DWORD
	s_mov_b32 s6, exec_lo
	v_cmpx_ne_u16_e32 0, v0
	s_cbranch_execz .LBB232_1666
; %bb.1659:                             ;   in Loop: Header=BB232_10 Depth=1
	v_bfrev_b32_e32 v88, 1
	v_mov_b32_e32 v89, 0
	s_mov_b32 s7, exec_lo
	v_cmpx_ne_u16_e32 0x80, v0
	s_cbranch_execz .LBB232_1665
; %bb.1660:                             ;   in Loop: Header=BB232_10 Depth=1
	v_mov_b32_e32 v88, 0x7f800001
	v_bfe_u32 v0, v2, 16, 7
	v_mov_b32_e32 v89, 0
	s_mov_b32 s17, exec_lo
	v_cmpx_ne_u32_e32 0x7f, v0
	s_cbranch_execz .LBB232_1664
; %bb.1661:                             ;   in Loop: Header=BB232_10 Depth=1
	v_mov_b32_e32 v1, 7
	v_lshrrev_b32_e32 v3, 3, v0
	v_cmp_gt_u32_e64 s5, 8, v0
	v_and_b32_sdwa v60, v2, v1 dst_sel:DWORD dst_unused:UNUSED_PAD src0_sel:WORD_1 src1_sel:DWORD
	v_mov_b32_e32 v0, v60
	v_mov_b32_e32 v1, v61
	s_and_saveexec_b32 s18, s5
; %bb.1662:                             ;   in Loop: Header=BB232_10 Depth=1
	v_ffbh_u32_e32 v0, v60
	v_min_u32_e32 v3, 32, v0
	v_subrev_nc_u32_e32 v0, 28, v3
	v_sub_nc_u32_e32 v3, 29, v3
	v_lshlrev_b64 v[0:1], v0, v[60:61]
	v_and_b32_e32 v0, 7, v0
; %bb.1663:                             ;   in Loop: Header=BB232_10 Depth=1
	s_or_b32 exec_lo, exec_lo, s18
	v_mov_b32_e32 v1, 24
	v_lshlrev_b32_e32 v0, 20, v0
	v_lshl_add_u32 v3, v3, 23, 0x3c000000
	v_lshlrev_b32_sdwa v1, v1, v2 dst_sel:DWORD dst_unused:UNUSED_PAD src0_sel:DWORD src1_sel:WORD_1
	v_and_b32_e32 v1, 0x80000000, v1
	v_or3_b32 v60, v0, v1, v3
	v_mov_b32_e32 v89, v61
	v_mov_b32_e32 v88, v60
.LBB232_1664:                           ;   in Loop: Header=BB232_10 Depth=1
	s_or_b32 exec_lo, exec_lo, s17
.LBB232_1665:                           ;   in Loop: Header=BB232_10 Depth=1
	s_or_b32 exec_lo, exec_lo, s7
.LBB232_1666:                           ;   in Loop: Header=BB232_10 Depth=1
	s_or_b32 exec_lo, exec_lo, s6
	s_mov_b32 s6, exec_lo
	v_cmpx_lt_u32_e32 0xffffff, v2
	s_cbranch_execz .LBB232_1674
; %bb.1667:                             ;   in Loop: Header=BB232_10 Depth=1
	v_mov_b32_e32 v84, v61
	v_mov_b32_e32 v0, 0x80
	;; [unrolled: 1-line block ×4, first 2 shown]
	v_cmp_ne_u32_sdwa s5, v2, v0 src0_sel:BYTE_3 src1_sel:DWORD
	s_and_saveexec_b32 s7, s5
	s_cbranch_execz .LBB232_1673
; %bb.1668:                             ;   in Loop: Header=BB232_10 Depth=1
	v_mov_b32_e32 v86, v61
	v_mov_b32_e32 v93, v87
	v_bfe_u32 v0, v2, 24, 7
	s_mov_b32 s17, exec_lo
	v_mov_b32_e32 v92, v86
	v_cmpx_ne_u32_e32 0x7f, v0
	s_cbranch_execz .LBB232_1672
; %bb.1669:                             ;   in Loop: Header=BB232_10 Depth=1
	v_mov_b32_e32 v1, 7
	v_lshrrev_b32_e32 v3, 3, v0
	v_cmp_gt_u32_e64 s5, 8, v0
	v_and_b32_sdwa v60, v2, v1 dst_sel:DWORD dst_unused:UNUSED_PAD src0_sel:BYTE_3 src1_sel:DWORD
	v_mov_b32_e32 v0, v60
	v_mov_b32_e32 v1, v61
	s_and_saveexec_b32 s18, s5
; %bb.1670:                             ;   in Loop: Header=BB232_10 Depth=1
	v_ffbh_u32_e32 v0, v60
	v_min_u32_e32 v3, 32, v0
	v_subrev_nc_u32_e32 v0, 28, v3
	v_sub_nc_u32_e32 v3, 29, v3
	v_lshlrev_b64 v[0:1], v0, v[60:61]
	v_and_b32_e32 v0, 7, v0
; %bb.1671:                             ;   in Loop: Header=BB232_10 Depth=1
	s_or_b32 exec_lo, exec_lo, s18
	v_mov_b32_e32 v1, 24
	v_lshlrev_b32_e32 v0, 20, v0
	v_mov_b32_e32 v92, v61
	v_lshlrev_b32_sdwa v1, v1, v2 dst_sel:DWORD dst_unused:UNUSED_PAD src0_sel:DWORD src1_sel:BYTE_3
	v_lshl_add_u32 v2, v3, 23, 0x3c000000
	v_and_b32_e32 v1, 0x80000000, v1
	v_or3_b32 v93, v0, v1, v2
.LBB232_1672:                           ;   in Loop: Header=BB232_10 Depth=1
	s_or_b32 exec_lo, exec_lo, s17
.LBB232_1673:                           ;   in Loop: Header=BB232_10 Depth=1
	s_or_b32 exec_lo, exec_lo, s7
.LBB232_1674:                           ;   in Loop: Header=BB232_10 Depth=1
	s_or_b32 exec_lo, exec_lo, s6
	flat_load_dword v2, v[62:63] offset:512
	v_mov_b32_e32 v114, 0
	v_mov_b32_e32 v106, 0
	;; [unrolled: 1-line block ×4, first 2 shown]
	s_waitcnt vmcnt(0) lgkmcnt(0)
	v_cmp_ne_u16_sdwa s5, v2, v61 src0_sel:BYTE_0 src1_sel:DWORD
	s_and_saveexec_b32 s6, s5
	s_cbranch_execz .LBB232_1682
; %bb.1675:                             ;   in Loop: Header=BB232_10 Depth=1
	v_mov_b32_e32 v0, 0x80
	v_bfrev_b32_e32 v106, 1
	v_mov_b32_e32 v107, 0
	v_cmp_ne_u16_sdwa s5, v2, v0 src0_sel:BYTE_0 src1_sel:DWORD
	s_and_saveexec_b32 s7, s5
	s_cbranch_execz .LBB232_1681
; %bb.1676:                             ;   in Loop: Header=BB232_10 Depth=1
	v_mov_b32_e32 v106, 0x7f800001
	v_and_b32_e32 v0, 0x7f, v2
	v_mov_b32_e32 v107, 0
	s_mov_b32 s17, exec_lo
	v_cmpx_ne_u32_e32 0x7f, v0
	s_cbranch_execz .LBB232_1680
; %bb.1677:                             ;   in Loop: Header=BB232_10 Depth=1
	v_and_b32_e32 v60, 7, v2
	v_lshrrev_b32_e32 v3, 3, v0
	v_cmp_gt_u32_e64 s5, 8, v0
	v_mov_b32_e32 v0, v60
	v_mov_b32_e32 v1, v61
	s_and_saveexec_b32 s18, s5
; %bb.1678:                             ;   in Loop: Header=BB232_10 Depth=1
	v_ffbh_u32_e32 v0, v60
	v_min_u32_e32 v3, 32, v0
	v_subrev_nc_u32_e32 v0, 28, v3
	v_sub_nc_u32_e32 v3, 29, v3
	v_lshlrev_b64 v[0:1], v0, v[60:61]
	v_and_b32_e32 v0, 7, v0
; %bb.1679:                             ;   in Loop: Header=BB232_10 Depth=1
	s_or_b32 exec_lo, exec_lo, s18
	v_lshlrev_b32_e32 v1, 24, v2
	v_lshlrev_b32_e32 v0, 20, v0
	v_lshl_add_u32 v3, v3, 23, 0x3c000000
	v_and_b32_e32 v1, 0x80000000, v1
	v_or3_b32 v60, v0, v1, v3
	v_mov_b32_e32 v107, v61
	v_mov_b32_e32 v106, v60
.LBB232_1680:                           ;   in Loop: Header=BB232_10 Depth=1
	s_or_b32 exec_lo, exec_lo, s17
.LBB232_1681:                           ;   in Loop: Header=BB232_10 Depth=1
	s_or_b32 exec_lo, exec_lo, s7
.LBB232_1682:                           ;   in Loop: Header=BB232_10 Depth=1
	s_or_b32 exec_lo, exec_lo, s6
	v_cmp_ne_u16_sdwa s5, v2, v61 src0_sel:BYTE_1 src1_sel:DWORD
	s_and_saveexec_b32 s6, s5
	s_cbranch_execz .LBB232_1690
; %bb.1683:                             ;   in Loop: Header=BB232_10 Depth=1
	v_mov_b32_e32 v84, v61
	v_mov_b32_e32 v0, 0x80
	;; [unrolled: 1-line block ×4, first 2 shown]
	v_cmp_ne_u16_sdwa s5, v2, v0 src0_sel:BYTE_1 src1_sel:DWORD
	s_and_saveexec_b32 s7, s5
	s_cbranch_execz .LBB232_1689
; %bb.1684:                             ;   in Loop: Header=BB232_10 Depth=1
	v_mov_b32_e32 v0, 0xffff
	v_mov_b32_e32 v86, v61
	;; [unrolled: 1-line block ×3, first 2 shown]
	s_mov_b32 s17, exec_lo
	v_and_b32_sdwa v1, v0, v2 dst_sel:DWORD dst_unused:UNUSED_PAD src0_sel:DWORD src1_sel:BYTE_1
	v_mov_b32_e32 v114, v86
	v_and_b32_e32 v0, 0x7f, v1
	v_cmpx_ne_u32_e32 0x7f, v0
	s_cbranch_execz .LBB232_1688
; %bb.1685:                             ;   in Loop: Header=BB232_10 Depth=1
	v_and_b32_e32 v60, 7, v1
	v_lshrrev_b32_e32 v3, 3, v0
	v_cmp_gt_u32_e64 s5, 8, v0
	v_mov_b32_e32 v0, v60
	v_mov_b32_e32 v1, v61
	s_and_saveexec_b32 s18, s5
; %bb.1686:                             ;   in Loop: Header=BB232_10 Depth=1
	v_ffbh_u32_e32 v0, v60
	v_min_u32_e32 v3, 32, v0
	v_subrev_nc_u32_e32 v0, 28, v3
	v_sub_nc_u32_e32 v3, 29, v3
	v_lshlrev_b64 v[0:1], v0, v[60:61]
	v_and_b32_e32 v0, 7, v0
; %bb.1687:                             ;   in Loop: Header=BB232_10 Depth=1
	s_or_b32 exec_lo, exec_lo, s18
	v_lshlrev_b32_e32 v1, 16, v2
	v_lshlrev_b32_e32 v0, 20, v0
	v_lshl_add_u32 v3, v3, 23, 0x3c000000
	v_mov_b32_e32 v114, v61
	v_and_b32_e32 v1, 0x80000000, v1
	v_or3_b32 v115, v0, v1, v3
.LBB232_1688:                           ;   in Loop: Header=BB232_10 Depth=1
	s_or_b32 exec_lo, exec_lo, s17
.LBB232_1689:                           ;   in Loop: Header=BB232_10 Depth=1
	s_or_b32 exec_lo, exec_lo, s7
.LBB232_1690:                           ;   in Loop: Header=BB232_10 Depth=1
	s_or_b32 exec_lo, exec_lo, s6
	v_mov_b32_e32 v0, 0xff
	v_mov_b32_e32 v76, 0
	;; [unrolled: 1-line block ×5, first 2 shown]
	v_and_b32_sdwa v0, v2, v0 dst_sel:DWORD dst_unused:UNUSED_PAD src0_sel:WORD_1 src1_sel:DWORD
	s_mov_b32 s6, exec_lo
	v_cmpx_ne_u16_e32 0, v0
	s_cbranch_execz .LBB232_1698
; %bb.1691:                             ;   in Loop: Header=BB232_10 Depth=1
	v_bfrev_b32_e32 v108, 1
	v_mov_b32_e32 v109, 0
	s_mov_b32 s7, exec_lo
	v_cmpx_ne_u16_e32 0x80, v0
	s_cbranch_execz .LBB232_1697
; %bb.1692:                             ;   in Loop: Header=BB232_10 Depth=1
	v_mov_b32_e32 v108, 0x7f800001
	v_bfe_u32 v0, v2, 16, 7
	v_mov_b32_e32 v109, 0
	s_mov_b32 s17, exec_lo
	v_cmpx_ne_u32_e32 0x7f, v0
	s_cbranch_execz .LBB232_1696
; %bb.1693:                             ;   in Loop: Header=BB232_10 Depth=1
	v_mov_b32_e32 v1, 7
	v_lshrrev_b32_e32 v3, 3, v0
	v_cmp_gt_u32_e64 s5, 8, v0
	v_and_b32_sdwa v60, v2, v1 dst_sel:DWORD dst_unused:UNUSED_PAD src0_sel:WORD_1 src1_sel:DWORD
	v_mov_b32_e32 v0, v60
	v_mov_b32_e32 v1, v61
	s_and_saveexec_b32 s18, s5
; %bb.1694:                             ;   in Loop: Header=BB232_10 Depth=1
	v_ffbh_u32_e32 v0, v60
	v_min_u32_e32 v3, 32, v0
	v_subrev_nc_u32_e32 v0, 28, v3
	v_sub_nc_u32_e32 v3, 29, v3
	v_lshlrev_b64 v[0:1], v0, v[60:61]
	v_and_b32_e32 v0, 7, v0
; %bb.1695:                             ;   in Loop: Header=BB232_10 Depth=1
	s_or_b32 exec_lo, exec_lo, s18
	v_mov_b32_e32 v1, 24
	v_lshlrev_b32_e32 v0, 20, v0
	v_lshl_add_u32 v3, v3, 23, 0x3c000000
	v_lshlrev_b32_sdwa v1, v1, v2 dst_sel:DWORD dst_unused:UNUSED_PAD src0_sel:DWORD src1_sel:WORD_1
	v_and_b32_e32 v1, 0x80000000, v1
	v_or3_b32 v60, v0, v1, v3
	v_mov_b32_e32 v109, v61
	v_mov_b32_e32 v108, v60
.LBB232_1696:                           ;   in Loop: Header=BB232_10 Depth=1
	s_or_b32 exec_lo, exec_lo, s17
.LBB232_1697:                           ;   in Loop: Header=BB232_10 Depth=1
	s_or_b32 exec_lo, exec_lo, s7
.LBB232_1698:                           ;   in Loop: Header=BB232_10 Depth=1
	s_or_b32 exec_lo, exec_lo, s6
	s_mov_b32 s6, exec_lo
	v_cmpx_lt_u32_e32 0xffffff, v2
	s_cbranch_execz .LBB232_1706
; %bb.1699:                             ;   in Loop: Header=BB232_10 Depth=1
	v_mov_b32_e32 v84, v61
	v_mov_b32_e32 v0, 0x80
	;; [unrolled: 1-line block ×3, first 2 shown]
	v_cmp_ne_u32_sdwa s5, v2, v0 src0_sel:BYTE_3 src1_sel:DWORD
	v_mov_b32_e32 v77, v85
	s_and_saveexec_b32 s7, s5
	s_cbranch_execz .LBB232_1705
; %bb.1700:                             ;   in Loop: Header=BB232_10 Depth=1
	v_mov_b32_e32 v86, v61
	v_bfe_u32 v0, v2, 24, 7
	s_mov_b32 s17, exec_lo
	v_mov_b32_e32 v76, v86
	v_mov_b32_e32 v77, v87
	v_cmpx_ne_u32_e32 0x7f, v0
	s_cbranch_execz .LBB232_1704
; %bb.1701:                             ;   in Loop: Header=BB232_10 Depth=1
	v_mov_b32_e32 v1, 7
	v_lshrrev_b32_e32 v3, 3, v0
	v_cmp_gt_u32_e64 s5, 8, v0
	v_and_b32_sdwa v60, v2, v1 dst_sel:DWORD dst_unused:UNUSED_PAD src0_sel:BYTE_3 src1_sel:DWORD
	v_mov_b32_e32 v0, v60
	v_mov_b32_e32 v1, v61
	s_and_saveexec_b32 s18, s5
; %bb.1702:                             ;   in Loop: Header=BB232_10 Depth=1
	v_ffbh_u32_e32 v0, v60
	v_min_u32_e32 v3, 32, v0
	v_subrev_nc_u32_e32 v0, 28, v3
	v_sub_nc_u32_e32 v3, 29, v3
	v_lshlrev_b64 v[0:1], v0, v[60:61]
	v_and_b32_e32 v0, 7, v0
; %bb.1703:                             ;   in Loop: Header=BB232_10 Depth=1
	s_or_b32 exec_lo, exec_lo, s18
	v_mov_b32_e32 v1, 24
	v_lshlrev_b32_e32 v0, 20, v0
	v_mov_b32_e32 v76, v61
	v_lshlrev_b32_sdwa v1, v1, v2 dst_sel:DWORD dst_unused:UNUSED_PAD src0_sel:DWORD src1_sel:BYTE_3
	v_lshl_add_u32 v2, v3, 23, 0x3c000000
	v_and_b32_e32 v1, 0x80000000, v1
	v_or3_b32 v77, v0, v1, v2
.LBB232_1704:                           ;   in Loop: Header=BB232_10 Depth=1
	s_or_b32 exec_lo, exec_lo, s17
.LBB232_1705:                           ;   in Loop: Header=BB232_10 Depth=1
	s_or_b32 exec_lo, exec_lo, s7
.LBB232_1706:                           ;   in Loop: Header=BB232_10 Depth=1
	s_or_b32 exec_lo, exec_lo, s6
	flat_load_dword v4, v[62:63] offset:516
	v_mov_b32_e32 v94, 0
	v_mov_b32_e32 v41, 0
	;; [unrolled: 1-line block ×4, first 2 shown]
	s_waitcnt vmcnt(0) lgkmcnt(0)
	v_cmp_ne_u16_sdwa s5, v4, v61 src0_sel:BYTE_0 src1_sel:DWORD
	s_and_saveexec_b32 s6, s5
	s_cbranch_execz .LBB232_1714
; %bb.1707:                             ;   in Loop: Header=BB232_10 Depth=1
	v_mov_b32_e32 v0, 0x80
	v_bfrev_b32_e32 v41, 1
	v_mov_b32_e32 v42, 0
	v_cmp_ne_u16_sdwa s5, v4, v0 src0_sel:BYTE_0 src1_sel:DWORD
	s_and_saveexec_b32 s7, s5
	s_cbranch_execz .LBB232_1713
; %bb.1708:                             ;   in Loop: Header=BB232_10 Depth=1
	v_mov_b32_e32 v41, 0x7f800001
	v_and_b32_e32 v0, 0x7f, v4
	v_mov_b32_e32 v42, 0
	s_mov_b32 s17, exec_lo
	v_cmpx_ne_u32_e32 0x7f, v0
	s_cbranch_execz .LBB232_1712
; %bb.1709:                             ;   in Loop: Header=BB232_10 Depth=1
	v_and_b32_e32 v60, 7, v4
	v_lshrrev_b32_e32 v2, 3, v0
	v_cmp_gt_u32_e64 s5, 8, v0
	v_mov_b32_e32 v0, v60
	v_mov_b32_e32 v1, v61
	s_and_saveexec_b32 s18, s5
; %bb.1710:                             ;   in Loop: Header=BB232_10 Depth=1
	v_ffbh_u32_e32 v0, v60
	v_min_u32_e32 v2, 32, v0
	v_subrev_nc_u32_e32 v0, 28, v2
	v_sub_nc_u32_e32 v2, 29, v2
	v_lshlrev_b64 v[0:1], v0, v[60:61]
	v_and_b32_e32 v0, 7, v0
; %bb.1711:                             ;   in Loop: Header=BB232_10 Depth=1
	s_or_b32 exec_lo, exec_lo, s18
	v_lshlrev_b32_e32 v1, 24, v4
	v_lshlrev_b32_e32 v0, 20, v0
	v_lshl_add_u32 v2, v2, 23, 0x3c000000
	v_and_b32_e32 v1, 0x80000000, v1
	v_or3_b32 v60, v0, v1, v2
	v_mov_b32_e32 v41, v60
	v_mov_b32_e32 v42, v61
.LBB232_1712:                           ;   in Loop: Header=BB232_10 Depth=1
	s_or_b32 exec_lo, exec_lo, s17
.LBB232_1713:                           ;   in Loop: Header=BB232_10 Depth=1
	s_or_b32 exec_lo, exec_lo, s7
.LBB232_1714:                           ;   in Loop: Header=BB232_10 Depth=1
	s_or_b32 exec_lo, exec_lo, s6
	v_cmp_ne_u16_sdwa s5, v4, v61 src0_sel:BYTE_1 src1_sel:DWORD
	s_and_saveexec_b32 s6, s5
	s_cbranch_execz .LBB232_1722
; %bb.1715:                             ;   in Loop: Header=BB232_10 Depth=1
	v_mov_b32_e32 v84, v61
	v_mov_b32_e32 v0, 0x80
	v_mov_b32_e32 v95, v85
	v_mov_b32_e32 v94, v84
	v_cmp_ne_u16_sdwa s5, v4, v0 src0_sel:BYTE_1 src1_sel:DWORD
	s_and_saveexec_b32 s7, s5
	s_cbranch_execz .LBB232_1721
; %bb.1716:                             ;   in Loop: Header=BB232_10 Depth=1
	v_mov_b32_e32 v0, 0xffff
	v_mov_b32_e32 v86, v61
	;; [unrolled: 1-line block ×3, first 2 shown]
	s_mov_b32 s17, exec_lo
	v_and_b32_sdwa v1, v0, v4 dst_sel:DWORD dst_unused:UNUSED_PAD src0_sel:DWORD src1_sel:BYTE_1
	v_mov_b32_e32 v94, v86
	v_and_b32_e32 v0, 0x7f, v1
	v_cmpx_ne_u32_e32 0x7f, v0
	s_cbranch_execz .LBB232_1720
; %bb.1717:                             ;   in Loop: Header=BB232_10 Depth=1
	v_and_b32_e32 v60, 7, v1
	v_lshrrev_b32_e32 v2, 3, v0
	v_cmp_gt_u32_e64 s5, 8, v0
	v_mov_b32_e32 v0, v60
	v_mov_b32_e32 v1, v61
	s_and_saveexec_b32 s18, s5
; %bb.1718:                             ;   in Loop: Header=BB232_10 Depth=1
	v_ffbh_u32_e32 v0, v60
	v_min_u32_e32 v2, 32, v0
	v_subrev_nc_u32_e32 v0, 28, v2
	v_sub_nc_u32_e32 v2, 29, v2
	v_lshlrev_b64 v[0:1], v0, v[60:61]
	v_and_b32_e32 v0, 7, v0
; %bb.1719:                             ;   in Loop: Header=BB232_10 Depth=1
	s_or_b32 exec_lo, exec_lo, s18
	v_lshlrev_b32_e32 v1, 16, v4
	v_lshlrev_b32_e32 v0, 20, v0
	v_lshl_add_u32 v2, v2, 23, 0x3c000000
	v_mov_b32_e32 v94, v61
	v_and_b32_e32 v1, 0x80000000, v1
	v_or3_b32 v95, v0, v1, v2
.LBB232_1720:                           ;   in Loop: Header=BB232_10 Depth=1
	s_or_b32 exec_lo, exec_lo, s17
.LBB232_1721:                           ;   in Loop: Header=BB232_10 Depth=1
	s_or_b32 exec_lo, exec_lo, s7
.LBB232_1722:                           ;   in Loop: Header=BB232_10 Depth=1
	s_or_b32 exec_lo, exec_lo, s6
	v_mov_b32_e32 v0, 0xff
	v_mov_b32_e32 v74, 0
	v_mov_b32_e32 v66, 0
	v_mov_b32_e32 v75, 0
	v_mov_b32_e32 v67, 0
	v_and_b32_sdwa v0, v4, v0 dst_sel:DWORD dst_unused:UNUSED_PAD src0_sel:WORD_1 src1_sel:DWORD
	s_mov_b32 s6, exec_lo
	v_cmpx_ne_u16_e32 0, v0
	s_cbranch_execz .LBB232_1730
; %bb.1723:                             ;   in Loop: Header=BB232_10 Depth=1
	v_bfrev_b32_e32 v66, 1
	v_mov_b32_e32 v67, 0
	s_mov_b32 s7, exec_lo
	v_cmpx_ne_u16_e32 0x80, v0
	s_cbranch_execz .LBB232_1729
; %bb.1724:                             ;   in Loop: Header=BB232_10 Depth=1
	v_mov_b32_e32 v66, 0x7f800001
	v_bfe_u32 v0, v4, 16, 7
	v_mov_b32_e32 v67, 0
	s_mov_b32 s17, exec_lo
	v_cmpx_ne_u32_e32 0x7f, v0
	s_cbranch_execz .LBB232_1728
; %bb.1725:                             ;   in Loop: Header=BB232_10 Depth=1
	v_mov_b32_e32 v1, 7
	v_lshrrev_b32_e32 v2, 3, v0
	v_cmp_gt_u32_e64 s5, 8, v0
	v_and_b32_sdwa v60, v4, v1 dst_sel:DWORD dst_unused:UNUSED_PAD src0_sel:WORD_1 src1_sel:DWORD
	v_mov_b32_e32 v0, v60
	v_mov_b32_e32 v1, v61
	s_and_saveexec_b32 s18, s5
; %bb.1726:                             ;   in Loop: Header=BB232_10 Depth=1
	v_ffbh_u32_e32 v0, v60
	v_min_u32_e32 v2, 32, v0
	v_subrev_nc_u32_e32 v0, 28, v2
	v_sub_nc_u32_e32 v2, 29, v2
	v_lshlrev_b64 v[0:1], v0, v[60:61]
	v_and_b32_e32 v0, 7, v0
; %bb.1727:                             ;   in Loop: Header=BB232_10 Depth=1
	s_or_b32 exec_lo, exec_lo, s18
	v_mov_b32_e32 v1, 24
	v_lshlrev_b32_e32 v0, 20, v0
	v_lshl_add_u32 v2, v2, 23, 0x3c000000
	v_lshlrev_b32_sdwa v1, v1, v4 dst_sel:DWORD dst_unused:UNUSED_PAD src0_sel:DWORD src1_sel:WORD_1
	v_and_b32_e32 v1, 0x80000000, v1
	v_or3_b32 v60, v0, v1, v2
	v_mov_b32_e32 v67, v61
	v_mov_b32_e32 v66, v60
.LBB232_1728:                           ;   in Loop: Header=BB232_10 Depth=1
	s_or_b32 exec_lo, exec_lo, s17
.LBB232_1729:                           ;   in Loop: Header=BB232_10 Depth=1
	s_or_b32 exec_lo, exec_lo, s7
.LBB232_1730:                           ;   in Loop: Header=BB232_10 Depth=1
	s_or_b32 exec_lo, exec_lo, s6
	s_mov_b32 s6, exec_lo
	v_cmpx_lt_u32_e32 0xffffff, v4
	s_cbranch_execz .LBB232_1738
; %bb.1731:                             ;   in Loop: Header=BB232_10 Depth=1
	v_mov_b32_e32 v84, v61
	v_mov_b32_e32 v0, 0x80
	;; [unrolled: 1-line block ×3, first 2 shown]
	v_cmp_ne_u32_sdwa s5, v4, v0 src0_sel:BYTE_3 src1_sel:DWORD
	v_mov_b32_e32 v75, v85
	s_and_saveexec_b32 s7, s5
	s_cbranch_execz .LBB232_1737
; %bb.1732:                             ;   in Loop: Header=BB232_10 Depth=1
	v_mov_b32_e32 v86, v61
	v_bfe_u32 v0, v4, 24, 7
	s_mov_b32 s17, exec_lo
	v_mov_b32_e32 v74, v86
	v_mov_b32_e32 v75, v87
	v_cmpx_ne_u32_e32 0x7f, v0
	s_cbranch_execz .LBB232_1736
; %bb.1733:                             ;   in Loop: Header=BB232_10 Depth=1
	v_mov_b32_e32 v1, 7
	v_lshrrev_b32_e32 v5, 3, v0
	v_cmp_gt_u32_e64 s5, 8, v0
	v_and_b32_sdwa v60, v4, v1 dst_sel:DWORD dst_unused:UNUSED_PAD src0_sel:BYTE_3 src1_sel:DWORD
	v_mov_b32_e32 v0, v60
	v_mov_b32_e32 v1, v61
	s_and_saveexec_b32 s18, s5
; %bb.1734:                             ;   in Loop: Header=BB232_10 Depth=1
	v_ffbh_u32_e32 v0, v60
	v_min_u32_e32 v5, 32, v0
	v_subrev_nc_u32_e32 v0, 28, v5
	v_sub_nc_u32_e32 v5, 29, v5
	v_lshlrev_b64 v[0:1], v0, v[60:61]
	v_and_b32_e32 v0, 7, v0
; %bb.1735:                             ;   in Loop: Header=BB232_10 Depth=1
	s_or_b32 exec_lo, exec_lo, s18
	v_mov_b32_e32 v1, 24
	v_lshlrev_b32_e32 v0, 20, v0
	v_mov_b32_e32 v74, v61
	v_lshlrev_b32_sdwa v1, v1, v4 dst_sel:DWORD dst_unused:UNUSED_PAD src0_sel:DWORD src1_sel:BYTE_3
	v_lshl_add_u32 v4, v5, 23, 0x3c000000
	v_and_b32_e32 v1, 0x80000000, v1
	v_or3_b32 v75, v0, v1, v4
.LBB232_1736:                           ;   in Loop: Header=BB232_10 Depth=1
	s_or_b32 exec_lo, exec_lo, s17
.LBB232_1737:                           ;   in Loop: Header=BB232_10 Depth=1
	s_or_b32 exec_lo, exec_lo, s7
.LBB232_1738:                           ;   in Loop: Header=BB232_10 Depth=1
	s_or_b32 exec_lo, exec_lo, s6
	flat_load_dword v4, v[62:63] offset:520
	v_mov_b32_e32 v33, 0
	v_mov_b32_e32 v104, 0
	;; [unrolled: 1-line block ×4, first 2 shown]
	s_waitcnt vmcnt(0) lgkmcnt(0)
	v_cmp_ne_u16_sdwa s5, v4, v61 src0_sel:BYTE_0 src1_sel:DWORD
	s_and_saveexec_b32 s6, s5
	s_cbranch_execz .LBB232_1746
; %bb.1739:                             ;   in Loop: Header=BB232_10 Depth=1
	v_mov_b32_e32 v0, 0x80
	v_bfrev_b32_e32 v104, 1
	v_mov_b32_e32 v105, 0
	v_cmp_ne_u16_sdwa s5, v4, v0 src0_sel:BYTE_0 src1_sel:DWORD
	s_and_saveexec_b32 s7, s5
	s_cbranch_execz .LBB232_1745
; %bb.1740:                             ;   in Loop: Header=BB232_10 Depth=1
	v_mov_b32_e32 v104, 0x7f800001
	v_and_b32_e32 v0, 0x7f, v4
	v_mov_b32_e32 v105, 0
	s_mov_b32 s17, exec_lo
	v_cmpx_ne_u32_e32 0x7f, v0
	s_cbranch_execz .LBB232_1744
; %bb.1741:                             ;   in Loop: Header=BB232_10 Depth=1
	v_and_b32_e32 v60, 7, v4
	v_lshrrev_b32_e32 v5, 3, v0
	v_cmp_gt_u32_e64 s5, 8, v0
	v_mov_b32_e32 v0, v60
	v_mov_b32_e32 v1, v61
	s_and_saveexec_b32 s18, s5
; %bb.1742:                             ;   in Loop: Header=BB232_10 Depth=1
	v_ffbh_u32_e32 v0, v60
	v_min_u32_e32 v5, 32, v0
	v_subrev_nc_u32_e32 v0, 28, v5
	v_sub_nc_u32_e32 v5, 29, v5
	v_lshlrev_b64 v[0:1], v0, v[60:61]
	v_and_b32_e32 v0, 7, v0
; %bb.1743:                             ;   in Loop: Header=BB232_10 Depth=1
	s_or_b32 exec_lo, exec_lo, s18
	v_lshlrev_b32_e32 v1, 24, v4
	v_lshlrev_b32_e32 v0, 20, v0
	v_lshl_add_u32 v5, v5, 23, 0x3c000000
	v_and_b32_e32 v1, 0x80000000, v1
	v_or3_b32 v60, v0, v1, v5
	v_mov_b32_e32 v105, v61
	v_mov_b32_e32 v104, v60
.LBB232_1744:                           ;   in Loop: Header=BB232_10 Depth=1
	s_or_b32 exec_lo, exec_lo, s17
.LBB232_1745:                           ;   in Loop: Header=BB232_10 Depth=1
	s_or_b32 exec_lo, exec_lo, s7
.LBB232_1746:                           ;   in Loop: Header=BB232_10 Depth=1
	s_or_b32 exec_lo, exec_lo, s6
	v_cmp_ne_u16_sdwa s5, v4, v61 src0_sel:BYTE_1 src1_sel:DWORD
	s_and_saveexec_b32 s6, s5
	s_cbranch_execz .LBB232_1754
; %bb.1747:                             ;   in Loop: Header=BB232_10 Depth=1
	v_mov_b32_e32 v84, v61
	v_mov_b32_e32 v0, 0x80
	;; [unrolled: 1-line block ×3, first 2 shown]
	v_cmp_ne_u16_sdwa s5, v4, v0 src0_sel:BYTE_1 src1_sel:DWORD
	v_mov_b32_e32 v34, v85
	s_and_saveexec_b32 s7, s5
	s_cbranch_execz .LBB232_1753
; %bb.1748:                             ;   in Loop: Header=BB232_10 Depth=1
	v_mov_b32_e32 v0, 0xffff
	v_mov_b32_e32 v86, v61
	s_mov_b32 s17, exec_lo
	v_and_b32_sdwa v1, v0, v4 dst_sel:DWORD dst_unused:UNUSED_PAD src0_sel:DWORD src1_sel:BYTE_1
	v_mov_b32_e32 v33, v86
	v_mov_b32_e32 v34, v87
	v_and_b32_e32 v0, 0x7f, v1
	v_cmpx_ne_u32_e32 0x7f, v0
	s_cbranch_execz .LBB232_1752
; %bb.1749:                             ;   in Loop: Header=BB232_10 Depth=1
	v_and_b32_e32 v60, 7, v1
	v_lshrrev_b32_e32 v5, 3, v0
	v_cmp_gt_u32_e64 s5, 8, v0
	v_mov_b32_e32 v0, v60
	v_mov_b32_e32 v1, v61
	s_and_saveexec_b32 s18, s5
; %bb.1750:                             ;   in Loop: Header=BB232_10 Depth=1
	v_ffbh_u32_e32 v0, v60
	v_min_u32_e32 v5, 32, v0
	v_subrev_nc_u32_e32 v0, 28, v5
	v_sub_nc_u32_e32 v5, 29, v5
	v_lshlrev_b64 v[0:1], v0, v[60:61]
	v_and_b32_e32 v0, 7, v0
; %bb.1751:                             ;   in Loop: Header=BB232_10 Depth=1
	s_or_b32 exec_lo, exec_lo, s18
	v_lshlrev_b32_e32 v1, 16, v4
	v_lshlrev_b32_e32 v0, 20, v0
	v_lshl_add_u32 v5, v5, 23, 0x3c000000
	v_mov_b32_e32 v33, v61
	v_and_b32_e32 v1, 0x80000000, v1
	v_or3_b32 v34, v0, v1, v5
.LBB232_1752:                           ;   in Loop: Header=BB232_10 Depth=1
	s_or_b32 exec_lo, exec_lo, s17
.LBB232_1753:                           ;   in Loop: Header=BB232_10 Depth=1
	s_or_b32 exec_lo, exec_lo, s7
.LBB232_1754:                           ;   in Loop: Header=BB232_10 Depth=1
	s_or_b32 exec_lo, exec_lo, s6
	v_mov_b32_e32 v0, 0xff
	v_mov_b32_e32 v22, 0
	;; [unrolled: 1-line block ×5, first 2 shown]
	v_and_b32_sdwa v0, v4, v0 dst_sel:DWORD dst_unused:UNUSED_PAD src0_sel:WORD_1 src1_sel:DWORD
	s_mov_b32 s6, exec_lo
	v_cmpx_ne_u16_e32 0, v0
	s_cbranch_execz .LBB232_1762
; %bb.1755:                             ;   in Loop: Header=BB232_10 Depth=1
	v_bfrev_b32_e32 v110, 1
	v_mov_b32_e32 v111, 0
	s_mov_b32 s7, exec_lo
	v_cmpx_ne_u16_e32 0x80, v0
	s_cbranch_execz .LBB232_1761
; %bb.1756:                             ;   in Loop: Header=BB232_10 Depth=1
	v_mov_b32_e32 v110, 0x7f800001
	v_bfe_u32 v0, v4, 16, 7
	v_mov_b32_e32 v111, 0
	s_mov_b32 s17, exec_lo
	v_cmpx_ne_u32_e32 0x7f, v0
	s_cbranch_execz .LBB232_1760
; %bb.1757:                             ;   in Loop: Header=BB232_10 Depth=1
	v_mov_b32_e32 v1, 7
	v_lshrrev_b32_e32 v5, 3, v0
	v_cmp_gt_u32_e64 s5, 8, v0
	v_and_b32_sdwa v60, v4, v1 dst_sel:DWORD dst_unused:UNUSED_PAD src0_sel:WORD_1 src1_sel:DWORD
	v_mov_b32_e32 v0, v60
	v_mov_b32_e32 v1, v61
	s_and_saveexec_b32 s18, s5
; %bb.1758:                             ;   in Loop: Header=BB232_10 Depth=1
	v_ffbh_u32_e32 v0, v60
	v_min_u32_e32 v5, 32, v0
	v_subrev_nc_u32_e32 v0, 28, v5
	v_sub_nc_u32_e32 v5, 29, v5
	v_lshlrev_b64 v[0:1], v0, v[60:61]
	v_and_b32_e32 v0, 7, v0
; %bb.1759:                             ;   in Loop: Header=BB232_10 Depth=1
	s_or_b32 exec_lo, exec_lo, s18
	v_mov_b32_e32 v1, 24
	v_lshlrev_b32_e32 v0, 20, v0
	v_lshl_add_u32 v5, v5, 23, 0x3c000000
	v_lshlrev_b32_sdwa v1, v1, v4 dst_sel:DWORD dst_unused:UNUSED_PAD src0_sel:DWORD src1_sel:WORD_1
	v_and_b32_e32 v1, 0x80000000, v1
	v_or3_b32 v60, v0, v1, v5
	v_mov_b32_e32 v111, v61
	v_mov_b32_e32 v110, v60
.LBB232_1760:                           ;   in Loop: Header=BB232_10 Depth=1
	s_or_b32 exec_lo, exec_lo, s17
.LBB232_1761:                           ;   in Loop: Header=BB232_10 Depth=1
	s_or_b32 exec_lo, exec_lo, s7
.LBB232_1762:                           ;   in Loop: Header=BB232_10 Depth=1
	s_or_b32 exec_lo, exec_lo, s6
	s_mov_b32 s6, exec_lo
	v_cmpx_lt_u32_e32 0xffffff, v4
	s_cbranch_execz .LBB232_1770
; %bb.1763:                             ;   in Loop: Header=BB232_10 Depth=1
	v_mov_b32_e32 v84, v61
	v_mov_b32_e32 v0, 0x80
	v_mov_b32_e32 v22, v84
	v_cmp_ne_u32_sdwa s5, v4, v0 src0_sel:BYTE_3 src1_sel:DWORD
	v_mov_b32_e32 v23, v85
	s_and_saveexec_b32 s7, s5
	s_cbranch_execz .LBB232_1769
; %bb.1764:                             ;   in Loop: Header=BB232_10 Depth=1
	v_mov_b32_e32 v86, v61
	v_bfe_u32 v0, v4, 24, 7
	s_mov_b32 s17, exec_lo
	v_mov_b32_e32 v22, v86
	v_mov_b32_e32 v23, v87
	v_cmpx_ne_u32_e32 0x7f, v0
	s_cbranch_execz .LBB232_1768
; %bb.1765:                             ;   in Loop: Header=BB232_10 Depth=1
	v_mov_b32_e32 v1, 7
	v_lshrrev_b32_e32 v5, 3, v0
	v_cmp_gt_u32_e64 s5, 8, v0
	v_and_b32_sdwa v60, v4, v1 dst_sel:DWORD dst_unused:UNUSED_PAD src0_sel:BYTE_3 src1_sel:DWORD
	v_mov_b32_e32 v0, v60
	v_mov_b32_e32 v1, v61
	s_and_saveexec_b32 s18, s5
; %bb.1766:                             ;   in Loop: Header=BB232_10 Depth=1
	v_ffbh_u32_e32 v0, v60
	v_min_u32_e32 v5, 32, v0
	v_subrev_nc_u32_e32 v0, 28, v5
	v_sub_nc_u32_e32 v5, 29, v5
	v_lshlrev_b64 v[0:1], v0, v[60:61]
	v_and_b32_e32 v0, 7, v0
; %bb.1767:                             ;   in Loop: Header=BB232_10 Depth=1
	s_or_b32 exec_lo, exec_lo, s18
	v_mov_b32_e32 v1, 24
	v_lshlrev_b32_e32 v0, 20, v0
	v_mov_b32_e32 v22, v61
	v_lshlrev_b32_sdwa v1, v1, v4 dst_sel:DWORD dst_unused:UNUSED_PAD src0_sel:DWORD src1_sel:BYTE_3
	v_lshl_add_u32 v4, v5, 23, 0x3c000000
	v_and_b32_e32 v1, 0x80000000, v1
	v_or3_b32 v23, v0, v1, v4
.LBB232_1768:                           ;   in Loop: Header=BB232_10 Depth=1
	s_or_b32 exec_lo, exec_lo, s17
.LBB232_1769:                           ;   in Loop: Header=BB232_10 Depth=1
	s_or_b32 exec_lo, exec_lo, s7
.LBB232_1770:                           ;   in Loop: Header=BB232_10 Depth=1
	s_or_b32 exec_lo, exec_lo, s6
	flat_load_dword v4, v[62:63] offset:524
	v_mov_b32_e32 v10, 0
	v_mov_b32_e32 v20, 0
	;; [unrolled: 1-line block ×4, first 2 shown]
	s_waitcnt vmcnt(0) lgkmcnt(0)
	v_cmp_ne_u16_sdwa s5, v4, v61 src0_sel:BYTE_0 src1_sel:DWORD
	s_and_saveexec_b32 s6, s5
	s_cbranch_execz .LBB232_1778
; %bb.1771:                             ;   in Loop: Header=BB232_10 Depth=1
	v_mov_b32_e32 v0, 0x80
	v_bfrev_b32_e32 v20, 1
	v_mov_b32_e32 v21, 0
	v_cmp_ne_u16_sdwa s5, v4, v0 src0_sel:BYTE_0 src1_sel:DWORD
	s_and_saveexec_b32 s7, s5
	s_cbranch_execz .LBB232_1777
; %bb.1772:                             ;   in Loop: Header=BB232_10 Depth=1
	v_mov_b32_e32 v20, 0x7f800001
	v_and_b32_e32 v0, 0x7f, v4
	v_mov_b32_e32 v21, 0
	s_mov_b32 s17, exec_lo
	v_cmpx_ne_u32_e32 0x7f, v0
	s_cbranch_execz .LBB232_1776
; %bb.1773:                             ;   in Loop: Header=BB232_10 Depth=1
	v_and_b32_e32 v60, 7, v4
	v_lshrrev_b32_e32 v5, 3, v0
	v_cmp_gt_u32_e64 s5, 8, v0
	v_mov_b32_e32 v0, v60
	v_mov_b32_e32 v1, v61
	s_and_saveexec_b32 s18, s5
; %bb.1774:                             ;   in Loop: Header=BB232_10 Depth=1
	v_ffbh_u32_e32 v0, v60
	v_min_u32_e32 v5, 32, v0
	v_subrev_nc_u32_e32 v0, 28, v5
	v_sub_nc_u32_e32 v5, 29, v5
	v_lshlrev_b64 v[0:1], v0, v[60:61]
	v_and_b32_e32 v0, 7, v0
; %bb.1775:                             ;   in Loop: Header=BB232_10 Depth=1
	s_or_b32 exec_lo, exec_lo, s18
	v_lshlrev_b32_e32 v1, 24, v4
	v_lshlrev_b32_e32 v0, 20, v0
	v_lshl_add_u32 v5, v5, 23, 0x3c000000
	v_and_b32_e32 v1, 0x80000000, v1
	v_or3_b32 v60, v0, v1, v5
	v_mov_b32_e32 v20, v60
	v_mov_b32_e32 v21, v61
.LBB232_1776:                           ;   in Loop: Header=BB232_10 Depth=1
	s_or_b32 exec_lo, exec_lo, s17
.LBB232_1777:                           ;   in Loop: Header=BB232_10 Depth=1
	s_or_b32 exec_lo, exec_lo, s7
.LBB232_1778:                           ;   in Loop: Header=BB232_10 Depth=1
	s_or_b32 exec_lo, exec_lo, s6
	v_cmp_ne_u16_sdwa s5, v4, v61 src0_sel:BYTE_1 src1_sel:DWORD
	s_and_saveexec_b32 s6, s5
	s_cbranch_execz .LBB232_1786
; %bb.1779:                             ;   in Loop: Header=BB232_10 Depth=1
	v_mov_b32_e32 v84, v61
	v_mov_b32_e32 v0, 0x80
	;; [unrolled: 1-line block ×3, first 2 shown]
	v_cmp_ne_u16_sdwa s5, v4, v0 src0_sel:BYTE_1 src1_sel:DWORD
	v_mov_b32_e32 v11, v85
	s_and_saveexec_b32 s7, s5
	s_cbranch_execz .LBB232_1785
; %bb.1780:                             ;   in Loop: Header=BB232_10 Depth=1
	v_mov_b32_e32 v0, 0xffff
	v_mov_b32_e32 v86, v61
	s_mov_b32 s17, exec_lo
	v_and_b32_sdwa v1, v0, v4 dst_sel:DWORD dst_unused:UNUSED_PAD src0_sel:DWORD src1_sel:BYTE_1
	v_mov_b32_e32 v10, v86
	v_mov_b32_e32 v11, v87
	v_and_b32_e32 v0, 0x7f, v1
	v_cmpx_ne_u32_e32 0x7f, v0
	s_cbranch_execz .LBB232_1784
; %bb.1781:                             ;   in Loop: Header=BB232_10 Depth=1
	v_and_b32_e32 v60, 7, v1
	v_lshrrev_b32_e32 v5, 3, v0
	v_cmp_gt_u32_e64 s5, 8, v0
	v_mov_b32_e32 v0, v60
	v_mov_b32_e32 v1, v61
	s_and_saveexec_b32 s18, s5
; %bb.1782:                             ;   in Loop: Header=BB232_10 Depth=1
	v_ffbh_u32_e32 v0, v60
	v_min_u32_e32 v5, 32, v0
	v_subrev_nc_u32_e32 v0, 28, v5
	v_sub_nc_u32_e32 v5, 29, v5
	v_lshlrev_b64 v[0:1], v0, v[60:61]
	v_and_b32_e32 v0, 7, v0
; %bb.1783:                             ;   in Loop: Header=BB232_10 Depth=1
	s_or_b32 exec_lo, exec_lo, s18
	v_lshlrev_b32_e32 v1, 16, v4
	v_lshlrev_b32_e32 v0, 20, v0
	v_lshl_add_u32 v5, v5, 23, 0x3c000000
	v_mov_b32_e32 v10, v61
	v_and_b32_e32 v1, 0x80000000, v1
	v_or3_b32 v11, v0, v1, v5
.LBB232_1784:                           ;   in Loop: Header=BB232_10 Depth=1
	s_or_b32 exec_lo, exec_lo, s17
.LBB232_1785:                           ;   in Loop: Header=BB232_10 Depth=1
	s_or_b32 exec_lo, exec_lo, s7
.LBB232_1786:                           ;   in Loop: Header=BB232_10 Depth=1
	s_or_b32 exec_lo, exec_lo, s6
	v_mov_b32_e32 v0, 0xff
	v_mov_b32_e32 v118, 0
	;; [unrolled: 1-line block ×5, first 2 shown]
	v_and_b32_sdwa v0, v4, v0 dst_sel:DWORD dst_unused:UNUSED_PAD src0_sel:WORD_1 src1_sel:DWORD
	s_mov_b32 s6, exec_lo
	v_cmpx_ne_u16_e32 0, v0
	s_cbranch_execz .LBB232_1794
; %bb.1787:                             ;   in Loop: Header=BB232_10 Depth=1
	v_bfrev_b32_e32 v96, 1
	v_mov_b32_e32 v97, 0
	s_mov_b32 s7, exec_lo
	v_cmpx_ne_u16_e32 0x80, v0
	s_cbranch_execz .LBB232_1793
; %bb.1788:                             ;   in Loop: Header=BB232_10 Depth=1
	v_mov_b32_e32 v96, 0x7f800001
	v_bfe_u32 v0, v4, 16, 7
	v_mov_b32_e32 v97, 0
	s_mov_b32 s17, exec_lo
	v_cmpx_ne_u32_e32 0x7f, v0
	s_cbranch_execz .LBB232_1792
; %bb.1789:                             ;   in Loop: Header=BB232_10 Depth=1
	v_mov_b32_e32 v1, 7
	v_lshrrev_b32_e32 v5, 3, v0
	v_cmp_gt_u32_e64 s5, 8, v0
	v_and_b32_sdwa v60, v4, v1 dst_sel:DWORD dst_unused:UNUSED_PAD src0_sel:WORD_1 src1_sel:DWORD
	v_mov_b32_e32 v0, v60
	v_mov_b32_e32 v1, v61
	s_and_saveexec_b32 s18, s5
; %bb.1790:                             ;   in Loop: Header=BB232_10 Depth=1
	v_ffbh_u32_e32 v0, v60
	v_min_u32_e32 v5, 32, v0
	v_subrev_nc_u32_e32 v0, 28, v5
	v_sub_nc_u32_e32 v5, 29, v5
	v_lshlrev_b64 v[0:1], v0, v[60:61]
	v_and_b32_e32 v0, 7, v0
; %bb.1791:                             ;   in Loop: Header=BB232_10 Depth=1
	s_or_b32 exec_lo, exec_lo, s18
	v_mov_b32_e32 v1, 24
	v_lshlrev_b32_e32 v0, 20, v0
	v_lshl_add_u32 v5, v5, 23, 0x3c000000
	v_lshlrev_b32_sdwa v1, v1, v4 dst_sel:DWORD dst_unused:UNUSED_PAD src0_sel:DWORD src1_sel:WORD_1
	v_and_b32_e32 v1, 0x80000000, v1
	v_or3_b32 v60, v0, v1, v5
	v_mov_b32_e32 v97, v61
	v_mov_b32_e32 v96, v60
.LBB232_1792:                           ;   in Loop: Header=BB232_10 Depth=1
	s_or_b32 exec_lo, exec_lo, s17
.LBB232_1793:                           ;   in Loop: Header=BB232_10 Depth=1
	s_or_b32 exec_lo, exec_lo, s7
.LBB232_1794:                           ;   in Loop: Header=BB232_10 Depth=1
	s_or_b32 exec_lo, exec_lo, s6
	s_mov_b32 s6, exec_lo
	v_cmpx_lt_u32_e32 0xffffff, v4
	s_cbranch_execz .LBB232_1802
; %bb.1795:                             ;   in Loop: Header=BB232_10 Depth=1
	v_mov_b32_e32 v84, v61
	v_mov_b32_e32 v0, 0x80
	;; [unrolled: 1-line block ×4, first 2 shown]
	v_cmp_ne_u32_sdwa s5, v4, v0 src0_sel:BYTE_3 src1_sel:DWORD
	s_and_saveexec_b32 s7, s5
	s_cbranch_execz .LBB232_1801
; %bb.1796:                             ;   in Loop: Header=BB232_10 Depth=1
	v_mov_b32_e32 v86, v61
	v_mov_b32_e32 v119, v87
	v_bfe_u32 v0, v4, 24, 7
	s_mov_b32 s17, exec_lo
	v_mov_b32_e32 v118, v86
	v_cmpx_ne_u32_e32 0x7f, v0
	s_cbranch_execz .LBB232_1800
; %bb.1797:                             ;   in Loop: Header=BB232_10 Depth=1
	v_mov_b32_e32 v1, 7
	v_lshrrev_b32_e32 v5, 3, v0
	v_cmp_gt_u32_e64 s5, 8, v0
	v_and_b32_sdwa v60, v4, v1 dst_sel:DWORD dst_unused:UNUSED_PAD src0_sel:BYTE_3 src1_sel:DWORD
	v_mov_b32_e32 v0, v60
	v_mov_b32_e32 v1, v61
	s_and_saveexec_b32 s18, s5
; %bb.1798:                             ;   in Loop: Header=BB232_10 Depth=1
	v_ffbh_u32_e32 v0, v60
	v_min_u32_e32 v5, 32, v0
	v_subrev_nc_u32_e32 v0, 28, v5
	v_sub_nc_u32_e32 v5, 29, v5
	v_lshlrev_b64 v[0:1], v0, v[60:61]
	v_and_b32_e32 v0, 7, v0
; %bb.1799:                             ;   in Loop: Header=BB232_10 Depth=1
	s_or_b32 exec_lo, exec_lo, s18
	v_mov_b32_e32 v1, 24
	v_lshlrev_b32_e32 v0, 20, v0
	v_mov_b32_e32 v118, v61
	v_lshlrev_b32_sdwa v1, v1, v4 dst_sel:DWORD dst_unused:UNUSED_PAD src0_sel:DWORD src1_sel:BYTE_3
	v_lshl_add_u32 v4, v5, 23, 0x3c000000
	v_and_b32_e32 v1, 0x80000000, v1
	v_or3_b32 v119, v0, v1, v4
.LBB232_1800:                           ;   in Loop: Header=BB232_10 Depth=1
	s_or_b32 exec_lo, exec_lo, s17
.LBB232_1801:                           ;   in Loop: Header=BB232_10 Depth=1
	s_or_b32 exec_lo, exec_lo, s7
.LBB232_1802:                           ;   in Loop: Header=BB232_10 Depth=1
	s_or_b32 exec_lo, exec_lo, s6
	flat_load_dword v4, v[62:63] offset:1024
	v_mov_b32_e32 v37, 0
	v_mov_b32_e32 v126, 0
	;; [unrolled: 1-line block ×4, first 2 shown]
	s_waitcnt vmcnt(0) lgkmcnt(0)
	v_cmp_ne_u16_sdwa s5, v4, v61 src0_sel:BYTE_0 src1_sel:DWORD
	s_and_saveexec_b32 s6, s5
	s_cbranch_execz .LBB232_1810
; %bb.1803:                             ;   in Loop: Header=BB232_10 Depth=1
	v_mov_b32_e32 v0, 0x80
	v_bfrev_b32_e32 v126, 1
	v_mov_b32_e32 v127, 0
	v_cmp_ne_u16_sdwa s5, v4, v0 src0_sel:BYTE_0 src1_sel:DWORD
	s_and_saveexec_b32 s7, s5
	s_cbranch_execz .LBB232_1809
; %bb.1804:                             ;   in Loop: Header=BB232_10 Depth=1
	v_mov_b32_e32 v126, 0x7f800001
	v_and_b32_e32 v0, 0x7f, v4
	v_mov_b32_e32 v127, 0
	s_mov_b32 s17, exec_lo
	v_cmpx_ne_u32_e32 0x7f, v0
	s_cbranch_execz .LBB232_1808
; %bb.1805:                             ;   in Loop: Header=BB232_10 Depth=1
	v_and_b32_e32 v60, 7, v4
	v_lshrrev_b32_e32 v5, 3, v0
	v_cmp_gt_u32_e64 s5, 8, v0
	v_mov_b32_e32 v0, v60
	v_mov_b32_e32 v1, v61
	s_and_saveexec_b32 s18, s5
; %bb.1806:                             ;   in Loop: Header=BB232_10 Depth=1
	v_ffbh_u32_e32 v0, v60
	v_min_u32_e32 v5, 32, v0
	v_subrev_nc_u32_e32 v0, 28, v5
	v_sub_nc_u32_e32 v5, 29, v5
	v_lshlrev_b64 v[0:1], v0, v[60:61]
	v_and_b32_e32 v0, 7, v0
; %bb.1807:                             ;   in Loop: Header=BB232_10 Depth=1
	s_or_b32 exec_lo, exec_lo, s18
	v_lshlrev_b32_e32 v1, 24, v4
	v_lshlrev_b32_e32 v0, 20, v0
	v_lshl_add_u32 v5, v5, 23, 0x3c000000
	v_and_b32_e32 v1, 0x80000000, v1
	v_or3_b32 v60, v0, v1, v5
	v_mov_b32_e32 v127, v61
	v_mov_b32_e32 v126, v60
.LBB232_1808:                           ;   in Loop: Header=BB232_10 Depth=1
	s_or_b32 exec_lo, exec_lo, s17
.LBB232_1809:                           ;   in Loop: Header=BB232_10 Depth=1
	s_or_b32 exec_lo, exec_lo, s7
.LBB232_1810:                           ;   in Loop: Header=BB232_10 Depth=1
	s_or_b32 exec_lo, exec_lo, s6
	v_cmp_ne_u16_sdwa s5, v4, v61 src0_sel:BYTE_1 src1_sel:DWORD
	s_and_saveexec_b32 s6, s5
	s_cbranch_execz .LBB232_1818
; %bb.1811:                             ;   in Loop: Header=BB232_10 Depth=1
	v_mov_b32_e32 v84, v61
	v_mov_b32_e32 v0, 0x80
	;; [unrolled: 1-line block ×3, first 2 shown]
	v_cmp_ne_u16_sdwa s5, v4, v0 src0_sel:BYTE_1 src1_sel:DWORD
	v_mov_b32_e32 v38, v85
	s_and_saveexec_b32 s7, s5
	s_cbranch_execz .LBB232_1817
; %bb.1812:                             ;   in Loop: Header=BB232_10 Depth=1
	v_mov_b32_e32 v0, 0xffff
	v_mov_b32_e32 v86, v61
	s_mov_b32 s17, exec_lo
	v_and_b32_sdwa v1, v0, v4 dst_sel:DWORD dst_unused:UNUSED_PAD src0_sel:DWORD src1_sel:BYTE_1
	v_mov_b32_e32 v37, v86
	v_mov_b32_e32 v38, v87
	v_and_b32_e32 v0, 0x7f, v1
	v_cmpx_ne_u32_e32 0x7f, v0
	s_cbranch_execz .LBB232_1816
; %bb.1813:                             ;   in Loop: Header=BB232_10 Depth=1
	v_and_b32_e32 v60, 7, v1
	v_lshrrev_b32_e32 v5, 3, v0
	v_cmp_gt_u32_e64 s5, 8, v0
	v_mov_b32_e32 v0, v60
	v_mov_b32_e32 v1, v61
	s_and_saveexec_b32 s18, s5
; %bb.1814:                             ;   in Loop: Header=BB232_10 Depth=1
	v_ffbh_u32_e32 v0, v60
	v_min_u32_e32 v5, 32, v0
	v_subrev_nc_u32_e32 v0, 28, v5
	v_sub_nc_u32_e32 v5, 29, v5
	v_lshlrev_b64 v[0:1], v0, v[60:61]
	v_and_b32_e32 v0, 7, v0
; %bb.1815:                             ;   in Loop: Header=BB232_10 Depth=1
	s_or_b32 exec_lo, exec_lo, s18
	v_lshlrev_b32_e32 v1, 16, v4
	v_lshlrev_b32_e32 v0, 20, v0
	v_lshl_add_u32 v5, v5, 23, 0x3c000000
	v_mov_b32_e32 v37, v61
	v_and_b32_e32 v1, 0x80000000, v1
	v_or3_b32 v38, v0, v1, v5
.LBB232_1816:                           ;   in Loop: Header=BB232_10 Depth=1
	s_or_b32 exec_lo, exec_lo, s17
.LBB232_1817:                           ;   in Loop: Header=BB232_10 Depth=1
	s_or_b32 exec_lo, exec_lo, s7
.LBB232_1818:                           ;   in Loop: Header=BB232_10 Depth=1
	s_or_b32 exec_lo, exec_lo, s6
	v_mov_b32_e32 v0, 0xff
	v_mov_b32_e32 v122, 0
	;; [unrolled: 1-line block ×5, first 2 shown]
	v_and_b32_sdwa v0, v4, v0 dst_sel:DWORD dst_unused:UNUSED_PAD src0_sel:WORD_1 src1_sel:DWORD
	s_mov_b32 s6, exec_lo
	v_cmpx_ne_u16_e32 0, v0
	s_cbranch_execz .LBB232_1826
; %bb.1819:                             ;   in Loop: Header=BB232_10 Depth=1
	v_bfrev_b32_e32 v78, 1
	v_mov_b32_e32 v79, 0
	s_mov_b32 s7, exec_lo
	v_cmpx_ne_u16_e32 0x80, v0
	s_cbranch_execz .LBB232_1825
; %bb.1820:                             ;   in Loop: Header=BB232_10 Depth=1
	v_mov_b32_e32 v78, 0x7f800001
	v_bfe_u32 v0, v4, 16, 7
	v_mov_b32_e32 v79, 0
	s_mov_b32 s17, exec_lo
	v_cmpx_ne_u32_e32 0x7f, v0
	s_cbranch_execz .LBB232_1824
; %bb.1821:                             ;   in Loop: Header=BB232_10 Depth=1
	v_mov_b32_e32 v1, 7
	v_lshrrev_b32_e32 v5, 3, v0
	v_cmp_gt_u32_e64 s5, 8, v0
	v_and_b32_sdwa v60, v4, v1 dst_sel:DWORD dst_unused:UNUSED_PAD src0_sel:WORD_1 src1_sel:DWORD
	v_mov_b32_e32 v0, v60
	v_mov_b32_e32 v1, v61
	s_and_saveexec_b32 s18, s5
; %bb.1822:                             ;   in Loop: Header=BB232_10 Depth=1
	v_ffbh_u32_e32 v0, v60
	v_min_u32_e32 v5, 32, v0
	v_subrev_nc_u32_e32 v0, 28, v5
	v_sub_nc_u32_e32 v5, 29, v5
	v_lshlrev_b64 v[0:1], v0, v[60:61]
	v_and_b32_e32 v0, 7, v0
; %bb.1823:                             ;   in Loop: Header=BB232_10 Depth=1
	s_or_b32 exec_lo, exec_lo, s18
	v_mov_b32_e32 v1, 24
	v_lshlrev_b32_e32 v0, 20, v0
	v_lshl_add_u32 v5, v5, 23, 0x3c000000
	v_lshlrev_b32_sdwa v1, v1, v4 dst_sel:DWORD dst_unused:UNUSED_PAD src0_sel:DWORD src1_sel:WORD_1
	v_and_b32_e32 v1, 0x80000000, v1
	v_or3_b32 v60, v0, v1, v5
	v_mov_b32_e32 v79, v61
	v_mov_b32_e32 v78, v60
.LBB232_1824:                           ;   in Loop: Header=BB232_10 Depth=1
	s_or_b32 exec_lo, exec_lo, s17
.LBB232_1825:                           ;   in Loop: Header=BB232_10 Depth=1
	s_or_b32 exec_lo, exec_lo, s7
.LBB232_1826:                           ;   in Loop: Header=BB232_10 Depth=1
	s_or_b32 exec_lo, exec_lo, s6
	s_mov_b32 s6, exec_lo
	v_cmpx_lt_u32_e32 0xffffff, v4
	s_cbranch_execz .LBB232_1834
; %bb.1827:                             ;   in Loop: Header=BB232_10 Depth=1
	v_mov_b32_e32 v84, v61
	v_mov_b32_e32 v0, 0x80
	;; [unrolled: 1-line block ×4, first 2 shown]
	v_cmp_ne_u32_sdwa s5, v4, v0 src0_sel:BYTE_3 src1_sel:DWORD
	s_and_saveexec_b32 s7, s5
	s_cbranch_execz .LBB232_1833
; %bb.1828:                             ;   in Loop: Header=BB232_10 Depth=1
	v_mov_b32_e32 v86, v61
	v_mov_b32_e32 v123, v87
	v_bfe_u32 v0, v4, 24, 7
	s_mov_b32 s17, exec_lo
	v_mov_b32_e32 v122, v86
	v_cmpx_ne_u32_e32 0x7f, v0
	s_cbranch_execz .LBB232_1832
; %bb.1829:                             ;   in Loop: Header=BB232_10 Depth=1
	v_mov_b32_e32 v1, 7
	v_lshrrev_b32_e32 v5, 3, v0
	v_cmp_gt_u32_e64 s5, 8, v0
	v_and_b32_sdwa v60, v4, v1 dst_sel:DWORD dst_unused:UNUSED_PAD src0_sel:BYTE_3 src1_sel:DWORD
	v_mov_b32_e32 v0, v60
	v_mov_b32_e32 v1, v61
	s_and_saveexec_b32 s18, s5
; %bb.1830:                             ;   in Loop: Header=BB232_10 Depth=1
	v_ffbh_u32_e32 v0, v60
	v_min_u32_e32 v5, 32, v0
	v_subrev_nc_u32_e32 v0, 28, v5
	v_sub_nc_u32_e32 v5, 29, v5
	v_lshlrev_b64 v[0:1], v0, v[60:61]
	v_and_b32_e32 v0, 7, v0
; %bb.1831:                             ;   in Loop: Header=BB232_10 Depth=1
	s_or_b32 exec_lo, exec_lo, s18
	v_mov_b32_e32 v1, 24
	v_lshlrev_b32_e32 v0, 20, v0
	v_mov_b32_e32 v122, v61
	v_lshlrev_b32_sdwa v1, v1, v4 dst_sel:DWORD dst_unused:UNUSED_PAD src0_sel:DWORD src1_sel:BYTE_3
	v_lshl_add_u32 v4, v5, 23, 0x3c000000
	v_and_b32_e32 v1, 0x80000000, v1
	v_or3_b32 v123, v0, v1, v4
.LBB232_1832:                           ;   in Loop: Header=BB232_10 Depth=1
	s_or_b32 exec_lo, exec_lo, s17
.LBB232_1833:                           ;   in Loop: Header=BB232_10 Depth=1
	s_or_b32 exec_lo, exec_lo, s7
.LBB232_1834:                           ;   in Loop: Header=BB232_10 Depth=1
	s_or_b32 exec_lo, exec_lo, s6
	flat_load_dword v18, v[62:63] offset:1028
	v_mov_b32_e32 v0, 0
	v_mov_b32_e32 v12, 0
	;; [unrolled: 1-line block ×4, first 2 shown]
	s_waitcnt vmcnt(0) lgkmcnt(0)
	v_cmp_ne_u16_sdwa s5, v18, v61 src0_sel:BYTE_0 src1_sel:DWORD
	s_and_saveexec_b32 s6, s5
	s_cbranch_execz .LBB232_1842
; %bb.1835:                             ;   in Loop: Header=BB232_10 Depth=1
	v_mov_b32_e32 v2, 0x80
	v_bfrev_b32_e32 v12, 1
	v_mov_b32_e32 v13, 0
	v_cmp_ne_u16_sdwa s5, v18, v2 src0_sel:BYTE_0 src1_sel:DWORD
	s_and_saveexec_b32 s7, s5
	s_cbranch_execz .LBB232_1841
; %bb.1836:                             ;   in Loop: Header=BB232_10 Depth=1
	v_mov_b32_e32 v12, 0x7f800001
	v_and_b32_e32 v4, 0x7f, v18
	v_mov_b32_e32 v13, 0
	s_mov_b32 s17, exec_lo
	v_cmpx_ne_u32_e32 0x7f, v4
	s_cbranch_execz .LBB232_1840
; %bb.1837:                             ;   in Loop: Header=BB232_10 Depth=1
	v_and_b32_e32 v60, 7, v18
	v_lshrrev_b32_e32 v8, 3, v4
	v_cmp_gt_u32_e64 s5, 8, v4
	v_mov_b32_e32 v4, v60
	v_mov_b32_e32 v5, v61
	s_and_saveexec_b32 s18, s5
; %bb.1838:                             ;   in Loop: Header=BB232_10 Depth=1
	v_ffbh_u32_e32 v4, v60
	v_min_u32_e32 v8, 32, v4
	v_subrev_nc_u32_e32 v4, 28, v8
	v_sub_nc_u32_e32 v8, 29, v8
	v_lshlrev_b64 v[4:5], v4, v[60:61]
	v_and_b32_e32 v4, 7, v4
; %bb.1839:                             ;   in Loop: Header=BB232_10 Depth=1
	s_or_b32 exec_lo, exec_lo, s18
	v_lshlrev_b32_e32 v5, 24, v18
	v_lshlrev_b32_e32 v4, 20, v4
	v_lshl_add_u32 v6, v8, 23, 0x3c000000
	v_and_b32_e32 v5, 0x80000000, v5
	v_or3_b32 v60, v4, v5, v6
	v_mov_b32_e32 v12, v60
	v_mov_b32_e32 v13, v61
.LBB232_1840:                           ;   in Loop: Header=BB232_10 Depth=1
	s_or_b32 exec_lo, exec_lo, s17
.LBB232_1841:                           ;   in Loop: Header=BB232_10 Depth=1
	s_or_b32 exec_lo, exec_lo, s7
.LBB232_1842:                           ;   in Loop: Header=BB232_10 Depth=1
	s_or_b32 exec_lo, exec_lo, s6
	v_cmp_ne_u16_sdwa s5, v18, v61 src0_sel:BYTE_1 src1_sel:DWORD
	s_and_saveexec_b32 s6, s5
	s_cbranch_execz .LBB232_1850
; %bb.1843:                             ;   in Loop: Header=BB232_10 Depth=1
	v_mov_b32_e32 v84, v61
	v_mov_b32_e32 v0, 0x80
	v_cmp_ne_u16_sdwa s5, v18, v0 src0_sel:BYTE_1 src1_sel:DWORD
	v_mov_b32_e32 v0, v84
	v_mov_b32_e32 v1, v85
	s_and_saveexec_b32 s7, s5
	s_cbranch_execz .LBB232_1849
; %bb.1844:                             ;   in Loop: Header=BB232_10 Depth=1
	v_mov_b32_e32 v0, 0xffff
	v_mov_b32_e32 v86, v61
	s_mov_b32 s17, exec_lo
	v_and_b32_sdwa v4, v0, v18 dst_sel:DWORD dst_unused:UNUSED_PAD src0_sel:DWORD src1_sel:BYTE_1
	v_mov_b32_e32 v0, v86
	v_mov_b32_e32 v1, v87
	v_and_b32_e32 v5, 0x7f, v4
	v_cmpx_ne_u32_e32 0x7f, v5
	s_cbranch_execz .LBB232_1848
; %bb.1845:                             ;   in Loop: Header=BB232_10 Depth=1
	v_and_b32_e32 v60, 7, v4
	v_lshrrev_b32_e32 v4, 3, v5
	s_mov_b32 s18, exec_lo
	v_mov_b32_e32 v0, v60
	v_mov_b32_e32 v1, v61
	v_cmpx_gt_u32_e32 8, v5
; %bb.1846:                             ;   in Loop: Header=BB232_10 Depth=1
	v_ffbh_u32_e32 v0, v60
	v_min_u32_e32 v4, 32, v0
	v_subrev_nc_u32_e32 v0, 28, v4
	v_sub_nc_u32_e32 v4, 29, v4
	v_lshlrev_b64 v[0:1], v0, v[60:61]
	v_and_b32_e32 v0, 7, v0
; %bb.1847:                             ;   in Loop: Header=BB232_10 Depth=1
	s_or_b32 exec_lo, exec_lo, s18
	v_lshlrev_b32_e32 v1, 16, v18
	v_lshlrev_b32_e32 v0, 20, v0
	v_lshl_add_u32 v4, v4, 23, 0x3c000000
	v_and_b32_e32 v1, 0x80000000, v1
	v_or3_b32 v1, v0, v1, v4
	v_mov_b32_e32 v0, v61
.LBB232_1848:                           ;   in Loop: Header=BB232_10 Depth=1
	s_or_b32 exec_lo, exec_lo, s17
.LBB232_1849:                           ;   in Loop: Header=BB232_10 Depth=1
	s_or_b32 exec_lo, exec_lo, s7
.LBB232_1850:                           ;   in Loop: Header=BB232_10 Depth=1
	s_or_b32 exec_lo, exec_lo, s6
	v_mov_b32_e32 v2, 0xff
	v_mov_b32_e32 v120, 0
	;; [unrolled: 1-line block ×5, first 2 shown]
	v_and_b32_sdwa v6, v18, v2 dst_sel:DWORD dst_unused:UNUSED_PAD src0_sel:WORD_1 src1_sel:DWORD
	s_mov_b32 s6, exec_lo
	v_cmpx_ne_u16_e32 0, v6
	s_cbranch_execz .LBB232_1858
; %bb.1851:                             ;   in Loop: Header=BB232_10 Depth=1
	v_bfrev_b32_e32 v90, 1
	v_mov_b32_e32 v91, 0
	s_mov_b32 s7, exec_lo
	v_cmpx_ne_u16_e32 0x80, v6
	s_cbranch_execz .LBB232_1857
; %bb.1852:                             ;   in Loop: Header=BB232_10 Depth=1
	v_mov_b32_e32 v90, 0x7f800001
	v_bfe_u32 v9, v18, 16, 7
	v_mov_b32_e32 v91, 0
	s_mov_b32 s17, exec_lo
	v_cmpx_ne_u32_e32 0x7f, v9
	s_cbranch_execz .LBB232_1856
; %bb.1853:                             ;   in Loop: Header=BB232_10 Depth=1
	v_mov_b32_e32 v2, 7
	v_lshrrev_b32_e32 v8, 3, v9
	s_mov_b32 s18, exec_lo
	v_and_b32_sdwa v60, v18, v2 dst_sel:DWORD dst_unused:UNUSED_PAD src0_sel:WORD_1 src1_sel:DWORD
	v_mov_b32_e32 v4, v60
	v_mov_b32_e32 v5, v61
	v_cmpx_gt_u32_e32 8, v9
; %bb.1854:                             ;   in Loop: Header=BB232_10 Depth=1
	v_ffbh_u32_e32 v4, v60
	v_min_u32_e32 v8, 32, v4
	v_subrev_nc_u32_e32 v4, 28, v8
	v_sub_nc_u32_e32 v8, 29, v8
	v_lshlrev_b64 v[4:5], v4, v[60:61]
	v_and_b32_e32 v4, 7, v4
; %bb.1855:                             ;   in Loop: Header=BB232_10 Depth=1
	s_or_b32 exec_lo, exec_lo, s18
	v_mov_b32_e32 v2, 24
	v_lshlrev_b32_e32 v4, 20, v4
	v_lshl_add_u32 v6, v8, 23, 0x3c000000
	v_lshlrev_b32_sdwa v5, v2, v18 dst_sel:DWORD dst_unused:UNUSED_PAD src0_sel:DWORD src1_sel:WORD_1
	v_and_b32_e32 v5, 0x80000000, v5
	v_or3_b32 v60, v4, v5, v6
	v_mov_b32_e32 v91, v61
	v_mov_b32_e32 v90, v60
.LBB232_1856:                           ;   in Loop: Header=BB232_10 Depth=1
	s_or_b32 exec_lo, exec_lo, s17
.LBB232_1857:                           ;   in Loop: Header=BB232_10 Depth=1
	s_or_b32 exec_lo, exec_lo, s7
.LBB232_1858:                           ;   in Loop: Header=BB232_10 Depth=1
	s_or_b32 exec_lo, exec_lo, s6
	s_mov_b32 s6, exec_lo
	v_cmpx_lt_u32_e32 0xffffff, v18
	s_cbranch_execz .LBB232_1866
; %bb.1859:                             ;   in Loop: Header=BB232_10 Depth=1
	v_mov_b32_e32 v84, v61
	v_mov_b32_e32 v2, 0x80
	;; [unrolled: 1-line block ×4, first 2 shown]
	v_cmp_ne_u32_sdwa s5, v18, v2 src0_sel:BYTE_3 src1_sel:DWORD
	s_and_saveexec_b32 s7, s5
	s_cbranch_execz .LBB232_1865
; %bb.1860:                             ;   in Loop: Header=BB232_10 Depth=1
	v_mov_b32_e32 v86, v61
	v_mov_b32_e32 v121, v87
	v_bfe_u32 v8, v18, 24, 7
	s_mov_b32 s17, exec_lo
	v_mov_b32_e32 v120, v86
	v_cmpx_ne_u32_e32 0x7f, v8
	s_cbranch_execz .LBB232_1864
; %bb.1861:                             ;   in Loop: Header=BB232_10 Depth=1
	v_mov_b32_e32 v2, 7
	v_lshrrev_b32_e32 v19, 3, v8
	v_cmp_gt_u32_e64 s5, 8, v8
	v_and_b32_sdwa v60, v18, v2 dst_sel:DWORD dst_unused:UNUSED_PAD src0_sel:BYTE_3 src1_sel:DWORD
	v_mov_b32_e32 v8, v60
	v_mov_b32_e32 v9, v61
	s_and_saveexec_b32 s18, s5
; %bb.1862:                             ;   in Loop: Header=BB232_10 Depth=1
	v_ffbh_u32_e32 v8, v60
	v_min_u32_e32 v19, 32, v8
	v_subrev_nc_u32_e32 v8, 28, v19
	v_sub_nc_u32_e32 v19, 29, v19
	v_lshlrev_b64 v[8:9], v8, v[60:61]
	v_and_b32_e32 v8, 7, v8
; %bb.1863:                             ;   in Loop: Header=BB232_10 Depth=1
	s_or_b32 exec_lo, exec_lo, s18
	v_mov_b32_e32 v2, 24
	v_lshlrev_b32_e32 v8, 20, v8
	v_lshl_add_u32 v9, v19, 23, 0x3c000000
	v_mov_b32_e32 v120, v61
	v_lshlrev_b32_sdwa v6, v2, v18 dst_sel:DWORD dst_unused:UNUSED_PAD src0_sel:DWORD src1_sel:BYTE_3
	v_and_b32_e32 v6, 0x80000000, v6
	v_or3_b32 v121, v8, v6, v9
.LBB232_1864:                           ;   in Loop: Header=BB232_10 Depth=1
	s_or_b32 exec_lo, exec_lo, s17
.LBB232_1865:                           ;   in Loop: Header=BB232_10 Depth=1
	s_or_b32 exec_lo, exec_lo, s7
.LBB232_1866:                           ;   in Loop: Header=BB232_10 Depth=1
	s_or_b32 exec_lo, exec_lo, s6
	flat_load_dword v18, v[62:63] offset:1032
	v_mov_b32_e32 v98, 0
	v_mov_b32_e32 v58, 0
	;; [unrolled: 1-line block ×4, first 2 shown]
	s_waitcnt vmcnt(0) lgkmcnt(0)
	v_cmp_ne_u16_sdwa s5, v18, v61 src0_sel:BYTE_0 src1_sel:DWORD
	s_and_saveexec_b32 s6, s5
	s_cbranch_execz .LBB232_1874
; %bb.1867:                             ;   in Loop: Header=BB232_10 Depth=1
	v_mov_b32_e32 v2, 0x80
	v_bfrev_b32_e32 v58, 1
	v_mov_b32_e32 v59, 0
	v_cmp_ne_u16_sdwa s5, v18, v2 src0_sel:BYTE_0 src1_sel:DWORD
	s_and_saveexec_b32 s7, s5
	s_cbranch_execz .LBB232_1873
; %bb.1868:                             ;   in Loop: Header=BB232_10 Depth=1
	v_mov_b32_e32 v58, 0x7f800001
	v_and_b32_e32 v8, 0x7f, v18
	v_mov_b32_e32 v59, 0
	s_mov_b32 s17, exec_lo
	v_cmpx_ne_u32_e32 0x7f, v8
	s_cbranch_execz .LBB232_1872
; %bb.1869:                             ;   in Loop: Header=BB232_10 Depth=1
	v_and_b32_e32 v60, 7, v18
	v_lshrrev_b32_e32 v19, 3, v8
	v_cmp_gt_u32_e64 s5, 8, v8
	v_mov_b32_e32 v8, v60
	v_mov_b32_e32 v9, v61
	s_and_saveexec_b32 s18, s5
; %bb.1870:                             ;   in Loop: Header=BB232_10 Depth=1
	v_ffbh_u32_e32 v8, v60
	v_min_u32_e32 v19, 32, v8
	v_subrev_nc_u32_e32 v8, 28, v19
	v_sub_nc_u32_e32 v19, 29, v19
	v_lshlrev_b64 v[8:9], v8, v[60:61]
	v_and_b32_e32 v8, 7, v8
; %bb.1871:                             ;   in Loop: Header=BB232_10 Depth=1
	s_or_b32 exec_lo, exec_lo, s18
	v_lshlrev_b32_e32 v6, 24, v18
	v_lshlrev_b32_e32 v8, 20, v8
	v_lshl_add_u32 v9, v19, 23, 0x3c000000
	v_and_b32_e32 v6, 0x80000000, v6
	v_or3_b32 v60, v8, v6, v9
	v_mov_b32_e32 v58, v60
	v_mov_b32_e32 v59, v61
.LBB232_1872:                           ;   in Loop: Header=BB232_10 Depth=1
	s_or_b32 exec_lo, exec_lo, s17
.LBB232_1873:                           ;   in Loop: Header=BB232_10 Depth=1
	s_or_b32 exec_lo, exec_lo, s7
.LBB232_1874:                           ;   in Loop: Header=BB232_10 Depth=1
	s_or_b32 exec_lo, exec_lo, s6
	v_cmp_ne_u16_sdwa s5, v18, v61 src0_sel:BYTE_1 src1_sel:DWORD
	s_and_saveexec_b32 s6, s5
	s_cbranch_execz .LBB232_1882
; %bb.1875:                             ;   in Loop: Header=BB232_10 Depth=1
	v_mov_b32_e32 v84, v61
	v_mov_b32_e32 v2, 0x80
	;; [unrolled: 1-line block ×4, first 2 shown]
	v_cmp_ne_u16_sdwa s5, v18, v2 src0_sel:BYTE_1 src1_sel:DWORD
	s_and_saveexec_b32 s7, s5
	s_cbranch_execz .LBB232_1881
; %bb.1876:                             ;   in Loop: Header=BB232_10 Depth=1
	v_mov_b32_e32 v2, 0xffff
	v_mov_b32_e32 v86, v61
	;; [unrolled: 1-line block ×3, first 2 shown]
	s_mov_b32 s17, exec_lo
	v_and_b32_sdwa v6, v2, v18 dst_sel:DWORD dst_unused:UNUSED_PAD src0_sel:DWORD src1_sel:BYTE_1
	v_mov_b32_e32 v98, v86
	v_and_b32_e32 v8, 0x7f, v6
	v_cmpx_ne_u32_e32 0x7f, v8
	s_cbranch_execz .LBB232_1880
; %bb.1877:                             ;   in Loop: Header=BB232_10 Depth=1
	v_and_b32_e32 v60, 7, v6
	v_lshrrev_b32_e32 v19, 3, v8
	v_cmp_gt_u32_e64 s5, 8, v8
	v_mov_b32_e32 v8, v60
	v_mov_b32_e32 v9, v61
	s_and_saveexec_b32 s18, s5
; %bb.1878:                             ;   in Loop: Header=BB232_10 Depth=1
	v_ffbh_u32_e32 v8, v60
	v_min_u32_e32 v19, 32, v8
	v_subrev_nc_u32_e32 v8, 28, v19
	v_sub_nc_u32_e32 v19, 29, v19
	v_lshlrev_b64 v[8:9], v8, v[60:61]
	v_and_b32_e32 v8, 7, v8
; %bb.1879:                             ;   in Loop: Header=BB232_10 Depth=1
	s_or_b32 exec_lo, exec_lo, s18
	v_lshlrev_b32_e32 v6, 16, v18
	v_lshlrev_b32_e32 v8, 20, v8
	v_lshl_add_u32 v9, v19, 23, 0x3c000000
	v_mov_b32_e32 v98, v61
	v_and_b32_e32 v6, 0x80000000, v6
	v_or3_b32 v99, v8, v6, v9
.LBB232_1880:                           ;   in Loop: Header=BB232_10 Depth=1
	s_or_b32 exec_lo, exec_lo, s17
.LBB232_1881:                           ;   in Loop: Header=BB232_10 Depth=1
	s_or_b32 exec_lo, exec_lo, s7
.LBB232_1882:                           ;   in Loop: Header=BB232_10 Depth=1
	s_or_b32 exec_lo, exec_lo, s6
	v_mov_b32_e32 v2, 0xff
	v_mov_b32_e32 v24, 0
	;; [unrolled: 1-line block ×5, first 2 shown]
	v_and_b32_sdwa v6, v18, v2 dst_sel:DWORD dst_unused:UNUSED_PAD src0_sel:WORD_1 src1_sel:DWORD
	s_mov_b32 s6, exec_lo
	v_cmpx_ne_u16_e32 0, v6
	s_cbranch_execz .LBB232_1890
; %bb.1883:                             ;   in Loop: Header=BB232_10 Depth=1
	v_bfrev_b32_e32 v124, 1
	v_mov_b32_e32 v125, 0
	s_mov_b32 s7, exec_lo
	v_cmpx_ne_u16_e32 0x80, v6
	s_cbranch_execz .LBB232_1889
; %bb.1884:                             ;   in Loop: Header=BB232_10 Depth=1
	v_mov_b32_e32 v124, 0x7f800001
	v_bfe_u32 v8, v18, 16, 7
	v_mov_b32_e32 v125, 0
	s_mov_b32 s17, exec_lo
	v_cmpx_ne_u32_e32 0x7f, v8
	s_cbranch_execz .LBB232_1888
; %bb.1885:                             ;   in Loop: Header=BB232_10 Depth=1
	v_mov_b32_e32 v2, 7
	v_lshrrev_b32_e32 v19, 3, v8
	v_cmp_gt_u32_e64 s5, 8, v8
	v_and_b32_sdwa v60, v18, v2 dst_sel:DWORD dst_unused:UNUSED_PAD src0_sel:WORD_1 src1_sel:DWORD
	v_mov_b32_e32 v8, v60
	v_mov_b32_e32 v9, v61
	s_and_saveexec_b32 s18, s5
; %bb.1886:                             ;   in Loop: Header=BB232_10 Depth=1
	v_ffbh_u32_e32 v8, v60
	v_min_u32_e32 v19, 32, v8
	v_subrev_nc_u32_e32 v8, 28, v19
	v_sub_nc_u32_e32 v19, 29, v19
	v_lshlrev_b64 v[8:9], v8, v[60:61]
	v_and_b32_e32 v8, 7, v8
; %bb.1887:                             ;   in Loop: Header=BB232_10 Depth=1
	s_or_b32 exec_lo, exec_lo, s18
	v_mov_b32_e32 v2, 24
	v_lshlrev_b32_e32 v8, 20, v8
	v_lshl_add_u32 v9, v19, 23, 0x3c000000
	v_lshlrev_b32_sdwa v6, v2, v18 dst_sel:DWORD dst_unused:UNUSED_PAD src0_sel:DWORD src1_sel:WORD_1
	v_and_b32_e32 v6, 0x80000000, v6
	v_or3_b32 v60, v8, v6, v9
	v_mov_b32_e32 v125, v61
	v_mov_b32_e32 v124, v60
.LBB232_1888:                           ;   in Loop: Header=BB232_10 Depth=1
	s_or_b32 exec_lo, exec_lo, s17
.LBB232_1889:                           ;   in Loop: Header=BB232_10 Depth=1
	s_or_b32 exec_lo, exec_lo, s7
.LBB232_1890:                           ;   in Loop: Header=BB232_10 Depth=1
	s_or_b32 exec_lo, exec_lo, s6
	s_mov_b32 s6, exec_lo
	v_cmpx_lt_u32_e32 0xffffff, v18
	s_cbranch_execz .LBB232_1898
; %bb.1891:                             ;   in Loop: Header=BB232_10 Depth=1
	v_mov_b32_e32 v84, v61
	v_mov_b32_e32 v2, 0x80
	;; [unrolled: 1-line block ×3, first 2 shown]
	v_cmp_ne_u32_sdwa s5, v18, v2 src0_sel:BYTE_3 src1_sel:DWORD
	v_mov_b32_e32 v25, v85
	s_and_saveexec_b32 s7, s5
	s_cbranch_execz .LBB232_1897
; %bb.1892:                             ;   in Loop: Header=BB232_10 Depth=1
	v_mov_b32_e32 v86, v61
	v_bfe_u32 v8, v18, 24, 7
	s_mov_b32 s17, exec_lo
	v_mov_b32_e32 v24, v86
	v_mov_b32_e32 v25, v87
	v_cmpx_ne_u32_e32 0x7f, v8
	s_cbranch_execz .LBB232_1896
; %bb.1893:                             ;   in Loop: Header=BB232_10 Depth=1
	v_mov_b32_e32 v2, 7
	v_lshrrev_b32_e32 v19, 3, v8
	v_cmp_gt_u32_e64 s5, 8, v8
	v_and_b32_sdwa v60, v18, v2 dst_sel:DWORD dst_unused:UNUSED_PAD src0_sel:BYTE_3 src1_sel:DWORD
	v_mov_b32_e32 v8, v60
	v_mov_b32_e32 v9, v61
	s_and_saveexec_b32 s18, s5
; %bb.1894:                             ;   in Loop: Header=BB232_10 Depth=1
	v_ffbh_u32_e32 v8, v60
	v_min_u32_e32 v19, 32, v8
	v_subrev_nc_u32_e32 v8, 28, v19
	v_sub_nc_u32_e32 v19, 29, v19
	v_lshlrev_b64 v[8:9], v8, v[60:61]
	v_and_b32_e32 v8, 7, v8
; %bb.1895:                             ;   in Loop: Header=BB232_10 Depth=1
	s_or_b32 exec_lo, exec_lo, s18
	v_mov_b32_e32 v2, 24
	v_lshlrev_b32_e32 v8, 20, v8
	v_lshl_add_u32 v9, v19, 23, 0x3c000000
	v_mov_b32_e32 v24, v61
	v_lshlrev_b32_sdwa v6, v2, v18 dst_sel:DWORD dst_unused:UNUSED_PAD src0_sel:DWORD src1_sel:BYTE_3
	v_and_b32_e32 v6, 0x80000000, v6
	v_or3_b32 v25, v8, v6, v9
.LBB232_1896:                           ;   in Loop: Header=BB232_10 Depth=1
	s_or_b32 exec_lo, exec_lo, s17
.LBB232_1897:                           ;   in Loop: Header=BB232_10 Depth=1
	s_or_b32 exec_lo, exec_lo, s7
.LBB232_1898:                           ;   in Loop: Header=BB232_10 Depth=1
	s_or_b32 exec_lo, exec_lo, s6
	flat_load_dword v26, v[62:63] offset:1036
	v_mov_b32_e32 v64, 0
	v_mov_b32_e32 v82, 0
	;; [unrolled: 1-line block ×4, first 2 shown]
	s_waitcnt vmcnt(0) lgkmcnt(0)
	v_cmp_ne_u16_sdwa s5, v26, v61 src0_sel:BYTE_0 src1_sel:DWORD
	s_and_saveexec_b32 s6, s5
	s_cbranch_execz .LBB232_1906
; %bb.1899:                             ;   in Loop: Header=BB232_10 Depth=1
	v_mov_b32_e32 v2, 0x80
	v_bfrev_b32_e32 v82, 1
	v_mov_b32_e32 v83, 0
	v_cmp_ne_u16_sdwa s5, v26, v2 src0_sel:BYTE_0 src1_sel:DWORD
	s_and_saveexec_b32 s7, s5
	s_cbranch_execz .LBB232_1905
; %bb.1900:                             ;   in Loop: Header=BB232_10 Depth=1
	v_mov_b32_e32 v82, 0x7f800001
	v_and_b32_e32 v8, 0x7f, v26
	v_mov_b32_e32 v83, 0
	s_mov_b32 s17, exec_lo
	v_cmpx_ne_u32_e32 0x7f, v8
	s_cbranch_execz .LBB232_1904
; %bb.1901:                             ;   in Loop: Header=BB232_10 Depth=1
	v_and_b32_e32 v60, 7, v26
	v_lshrrev_b32_e32 v18, 3, v8
	v_cmp_gt_u32_e64 s5, 8, v8
	v_mov_b32_e32 v8, v60
	v_mov_b32_e32 v9, v61
	s_and_saveexec_b32 s18, s5
; %bb.1902:                             ;   in Loop: Header=BB232_10 Depth=1
	v_ffbh_u32_e32 v8, v60
	v_min_u32_e32 v18, 32, v8
	v_subrev_nc_u32_e32 v8, 28, v18
	v_sub_nc_u32_e32 v18, 29, v18
	v_lshlrev_b64 v[8:9], v8, v[60:61]
	v_and_b32_e32 v8, 7, v8
; %bb.1903:                             ;   in Loop: Header=BB232_10 Depth=1
	s_or_b32 exec_lo, exec_lo, s18
	v_lshlrev_b32_e32 v6, 24, v26
	v_lshlrev_b32_e32 v8, 20, v8
	v_lshl_add_u32 v9, v18, 23, 0x3c000000
	v_and_b32_e32 v6, 0x80000000, v6
	v_or3_b32 v60, v8, v6, v9
	v_mov_b32_e32 v83, v61
	v_mov_b32_e32 v82, v60
.LBB232_1904:                           ;   in Loop: Header=BB232_10 Depth=1
	s_or_b32 exec_lo, exec_lo, s17
.LBB232_1905:                           ;   in Loop: Header=BB232_10 Depth=1
	s_or_b32 exec_lo, exec_lo, s7
.LBB232_1906:                           ;   in Loop: Header=BB232_10 Depth=1
	s_or_b32 exec_lo, exec_lo, s6
	v_cmp_ne_u16_sdwa s5, v26, v61 src0_sel:BYTE_1 src1_sel:DWORD
	s_and_saveexec_b32 s6, s5
	s_cbranch_execz .LBB232_1914
; %bb.1907:                             ;   in Loop: Header=BB232_10 Depth=1
	v_mov_b32_e32 v84, v61
	v_mov_b32_e32 v2, 0x80
	;; [unrolled: 1-line block ×3, first 2 shown]
	v_cmp_ne_u16_sdwa s5, v26, v2 src0_sel:BYTE_1 src1_sel:DWORD
	v_mov_b32_e32 v65, v85
	s_and_saveexec_b32 s7, s5
	s_cbranch_execz .LBB232_1913
; %bb.1908:                             ;   in Loop: Header=BB232_10 Depth=1
	v_mov_b32_e32 v2, 0xffff
	v_mov_b32_e32 v86, v61
	s_mov_b32 s17, exec_lo
	v_and_b32_sdwa v6, v2, v26 dst_sel:DWORD dst_unused:UNUSED_PAD src0_sel:DWORD src1_sel:BYTE_1
	v_mov_b32_e32 v64, v86
	v_mov_b32_e32 v65, v87
	v_and_b32_e32 v8, 0x7f, v6
	v_cmpx_ne_u32_e32 0x7f, v8
	s_cbranch_execz .LBB232_1912
; %bb.1909:                             ;   in Loop: Header=BB232_10 Depth=1
	v_and_b32_e32 v60, 7, v6
	v_lshrrev_b32_e32 v18, 3, v8
	v_cmp_gt_u32_e64 s5, 8, v8
	v_mov_b32_e32 v8, v60
	v_mov_b32_e32 v9, v61
	s_and_saveexec_b32 s18, s5
; %bb.1910:                             ;   in Loop: Header=BB232_10 Depth=1
	v_ffbh_u32_e32 v8, v60
	v_min_u32_e32 v18, 32, v8
	v_subrev_nc_u32_e32 v8, 28, v18
	v_sub_nc_u32_e32 v18, 29, v18
	v_lshlrev_b64 v[8:9], v8, v[60:61]
	v_and_b32_e32 v8, 7, v8
; %bb.1911:                             ;   in Loop: Header=BB232_10 Depth=1
	s_or_b32 exec_lo, exec_lo, s18
	v_lshlrev_b32_e32 v6, 16, v26
	v_lshlrev_b32_e32 v8, 20, v8
	v_lshl_add_u32 v9, v18, 23, 0x3c000000
	v_mov_b32_e32 v64, v61
	v_and_b32_e32 v6, 0x80000000, v6
	v_or3_b32 v65, v8, v6, v9
.LBB232_1912:                           ;   in Loop: Header=BB232_10 Depth=1
	s_or_b32 exec_lo, exec_lo, s17
.LBB232_1913:                           ;   in Loop: Header=BB232_10 Depth=1
	s_or_b32 exec_lo, exec_lo, s7
.LBB232_1914:                           ;   in Loop: Header=BB232_10 Depth=1
	s_or_b32 exec_lo, exec_lo, s6
	v_mov_b32_e32 v2, 0xff
	v_mov_b32_e32 v8, 0
	;; [unrolled: 1-line block ×5, first 2 shown]
	v_and_b32_sdwa v6, v26, v2 dst_sel:DWORD dst_unused:UNUSED_PAD src0_sel:WORD_1 src1_sel:DWORD
	s_mov_b32 s6, exec_lo
	v_cmpx_ne_u16_e32 0, v6
	s_cbranch_execz .LBB232_1922
; %bb.1915:                             ;   in Loop: Header=BB232_10 Depth=1
	v_bfrev_b32_e32 v56, 1
	v_mov_b32_e32 v57, 0
	s_mov_b32 s7, exec_lo
	v_cmpx_ne_u16_e32 0x80, v6
	s_cbranch_execz .LBB232_1921
; %bb.1916:                             ;   in Loop: Header=BB232_10 Depth=1
	v_mov_b32_e32 v56, 0x7f800001
	v_bfe_u32 v18, v26, 16, 7
	v_mov_b32_e32 v57, 0
	s_mov_b32 s17, exec_lo
	v_cmpx_ne_u32_e32 0x7f, v18
	s_cbranch_execz .LBB232_1920
; %bb.1917:                             ;   in Loop: Header=BB232_10 Depth=1
	v_mov_b32_e32 v2, 7
	v_lshrrev_b32_e32 v27, 3, v18
	v_cmp_gt_u32_e64 s5, 8, v18
	v_and_b32_sdwa v60, v26, v2 dst_sel:DWORD dst_unused:UNUSED_PAD src0_sel:WORD_1 src1_sel:DWORD
	v_mov_b32_e32 v18, v60
	v_mov_b32_e32 v19, v61
	s_and_saveexec_b32 s18, s5
; %bb.1918:                             ;   in Loop: Header=BB232_10 Depth=1
	v_ffbh_u32_e32 v18, v60
	v_min_u32_e32 v27, 32, v18
	v_subrev_nc_u32_e32 v18, 28, v27
	v_sub_nc_u32_e32 v27, 29, v27
	v_lshlrev_b64 v[18:19], v18, v[60:61]
	v_and_b32_e32 v18, 7, v18
; %bb.1919:                             ;   in Loop: Header=BB232_10 Depth=1
	s_or_b32 exec_lo, exec_lo, s18
	v_mov_b32_e32 v2, 24
	v_lshlrev_b32_e32 v18, 20, v18
	v_lshl_add_u32 v19, v27, 23, 0x3c000000
	v_lshlrev_b32_sdwa v6, v2, v26 dst_sel:DWORD dst_unused:UNUSED_PAD src0_sel:DWORD src1_sel:WORD_1
	v_and_b32_e32 v6, 0x80000000, v6
	v_or3_b32 v60, v18, v6, v19
	v_mov_b32_e32 v56, v60
	v_mov_b32_e32 v57, v61
.LBB232_1920:                           ;   in Loop: Header=BB232_10 Depth=1
	s_or_b32 exec_lo, exec_lo, s17
.LBB232_1921:                           ;   in Loop: Header=BB232_10 Depth=1
	s_or_b32 exec_lo, exec_lo, s7
.LBB232_1922:                           ;   in Loop: Header=BB232_10 Depth=1
	s_or_b32 exec_lo, exec_lo, s6
	s_mov_b32 s6, exec_lo
	v_cmpx_lt_u32_e32 0xffffff, v26
	s_cbranch_execz .LBB232_1930
; %bb.1923:                             ;   in Loop: Header=BB232_10 Depth=1
	v_mov_b32_e32 v84, v61
	v_mov_b32_e32 v2, 0x80
	;; [unrolled: 1-line block ×3, first 2 shown]
	v_cmp_ne_u32_sdwa s5, v26, v2 src0_sel:BYTE_3 src1_sel:DWORD
	v_mov_b32_e32 v9, v85
	s_and_saveexec_b32 s7, s5
	s_cbranch_execz .LBB232_1929
; %bb.1924:                             ;   in Loop: Header=BB232_10 Depth=1
	v_mov_b32_e32 v86, v61
	v_bfe_u32 v19, v26, 24, 7
	s_mov_b32 s17, exec_lo
	v_mov_b32_e32 v8, v86
	v_mov_b32_e32 v9, v87
	v_cmpx_ne_u32_e32 0x7f, v19
	s_cbranch_execz .LBB232_1928
; %bb.1925:                             ;   in Loop: Header=BB232_10 Depth=1
	v_mov_b32_e32 v2, 7
	v_lshrrev_b32_e32 v18, 3, v19
	s_mov_b32 s18, exec_lo
	v_and_b32_sdwa v60, v26, v2 dst_sel:DWORD dst_unused:UNUSED_PAD src0_sel:BYTE_3 src1_sel:DWORD
	v_mov_b32_e32 v8, v60
	v_mov_b32_e32 v9, v61
	v_cmpx_gt_u32_e32 8, v19
; %bb.1926:                             ;   in Loop: Header=BB232_10 Depth=1
	v_ffbh_u32_e32 v8, v60
	v_min_u32_e32 v18, 32, v8
	v_subrev_nc_u32_e32 v8, 28, v18
	v_sub_nc_u32_e32 v18, 29, v18
	v_lshlrev_b64 v[8:9], v8, v[60:61]
	v_and_b32_e32 v8, 7, v8
; %bb.1927:                             ;   in Loop: Header=BB232_10 Depth=1
	s_or_b32 exec_lo, exec_lo, s18
	v_mov_b32_e32 v2, 24
	v_lshlrev_b32_e32 v8, 20, v8
	v_lshl_add_u32 v9, v18, 23, 0x3c000000
	v_lshlrev_b32_sdwa v6, v2, v26 dst_sel:DWORD dst_unused:UNUSED_PAD src0_sel:DWORD src1_sel:BYTE_3
	v_and_b32_e32 v6, 0x80000000, v6
	v_or3_b32 v9, v8, v6, v9
	v_mov_b32_e32 v8, v61
.LBB232_1928:                           ;   in Loop: Header=BB232_10 Depth=1
	s_or_b32 exec_lo, exec_lo, s17
.LBB232_1929:                           ;   in Loop: Header=BB232_10 Depth=1
	s_or_b32 exec_lo, exec_lo, s7
.LBB232_1930:                           ;   in Loop: Header=BB232_10 Depth=1
	s_or_b32 exec_lo, exec_lo, s6
	flat_load_dword v28, v[62:63] offset:1536
	v_mov_b32_e32 v35, 0
	v_mov_b32_e32 v18, 0
	;; [unrolled: 1-line block ×4, first 2 shown]
	s_waitcnt vmcnt(0) lgkmcnt(0)
	v_cmp_ne_u16_sdwa s5, v28, v61 src0_sel:BYTE_0 src1_sel:DWORD
	s_and_saveexec_b32 s6, s5
	s_cbranch_execz .LBB232_1938
; %bb.1931:                             ;   in Loop: Header=BB232_10 Depth=1
	v_mov_b32_e32 v2, 0x80
	v_bfrev_b32_e32 v18, 1
	v_mov_b32_e32 v19, 0
	v_cmp_ne_u16_sdwa s5, v28, v2 src0_sel:BYTE_0 src1_sel:DWORD
	s_and_saveexec_b32 s7, s5
	s_cbranch_execz .LBB232_1937
; %bb.1932:                             ;   in Loop: Header=BB232_10 Depth=1
	v_mov_b32_e32 v18, 0x7f800001
	v_and_b32_e32 v27, 0x7f, v28
	v_mov_b32_e32 v19, 0
	s_mov_b32 s17, exec_lo
	v_cmpx_ne_u32_e32 0x7f, v27
	s_cbranch_execz .LBB232_1936
; %bb.1933:                             ;   in Loop: Header=BB232_10 Depth=1
	v_and_b32_e32 v60, 7, v28
	v_lshrrev_b32_e32 v26, 3, v27
	s_mov_b32 s18, exec_lo
	v_mov_b32_e32 v18, v60
	v_mov_b32_e32 v19, v61
	v_cmpx_gt_u32_e32 8, v27
; %bb.1934:                             ;   in Loop: Header=BB232_10 Depth=1
	v_ffbh_u32_e32 v18, v60
	v_min_u32_e32 v26, 32, v18
	v_subrev_nc_u32_e32 v18, 28, v26
	v_sub_nc_u32_e32 v26, 29, v26
	v_lshlrev_b64 v[18:19], v18, v[60:61]
	v_and_b32_e32 v18, 7, v18
; %bb.1935:                             ;   in Loop: Header=BB232_10 Depth=1
	s_or_b32 exec_lo, exec_lo, s18
	v_lshlrev_b32_e32 v6, 24, v28
	v_lshlrev_b32_e32 v18, 20, v18
	v_lshl_add_u32 v19, v26, 23, 0x3c000000
	v_and_b32_e32 v6, 0x80000000, v6
	v_or3_b32 v60, v18, v6, v19
	v_mov_b32_e32 v18, v60
	v_mov_b32_e32 v19, v61
.LBB232_1936:                           ;   in Loop: Header=BB232_10 Depth=1
	s_or_b32 exec_lo, exec_lo, s17
.LBB232_1937:                           ;   in Loop: Header=BB232_10 Depth=1
	s_or_b32 exec_lo, exec_lo, s7
.LBB232_1938:                           ;   in Loop: Header=BB232_10 Depth=1
	s_or_b32 exec_lo, exec_lo, s6
	v_cmp_ne_u16_sdwa s5, v28, v61 src0_sel:BYTE_1 src1_sel:DWORD
	s_and_saveexec_b32 s6, s5
	s_cbranch_execz .LBB232_1946
; %bb.1939:                             ;   in Loop: Header=BB232_10 Depth=1
	v_mov_b32_e32 v84, v61
	v_mov_b32_e32 v2, 0x80
	;; [unrolled: 1-line block ×3, first 2 shown]
	v_cmp_ne_u16_sdwa s5, v28, v2 src0_sel:BYTE_1 src1_sel:DWORD
	v_mov_b32_e32 v36, v85
	s_and_saveexec_b32 s7, s5
	s_cbranch_execz .LBB232_1945
; %bb.1940:                             ;   in Loop: Header=BB232_10 Depth=1
	v_mov_b32_e32 v2, 0xffff
	v_mov_b32_e32 v86, v61
	s_mov_b32 s17, exec_lo
	v_and_b32_sdwa v6, v2, v28 dst_sel:DWORD dst_unused:UNUSED_PAD src0_sel:DWORD src1_sel:BYTE_1
	v_mov_b32_e32 v35, v86
	v_mov_b32_e32 v36, v87
	v_and_b32_e32 v26, 0x7f, v6
	v_cmpx_ne_u32_e32 0x7f, v26
	s_cbranch_execz .LBB232_1944
; %bb.1941:                             ;   in Loop: Header=BB232_10 Depth=1
	v_and_b32_e32 v60, 7, v6
	v_lshrrev_b32_e32 v29, 3, v26
	v_cmp_gt_u32_e64 s5, 8, v26
	v_mov_b32_e32 v26, v60
	v_mov_b32_e32 v27, v61
	s_and_saveexec_b32 s18, s5
; %bb.1942:                             ;   in Loop: Header=BB232_10 Depth=1
	v_ffbh_u32_e32 v26, v60
	v_min_u32_e32 v29, 32, v26
	v_subrev_nc_u32_e32 v26, 28, v29
	v_sub_nc_u32_e32 v29, 29, v29
	v_lshlrev_b64 v[26:27], v26, v[60:61]
	v_and_b32_e32 v26, 7, v26
; %bb.1943:                             ;   in Loop: Header=BB232_10 Depth=1
	s_or_b32 exec_lo, exec_lo, s18
	v_lshlrev_b32_e32 v6, 16, v28
	v_lshlrev_b32_e32 v26, 20, v26
	v_lshl_add_u32 v27, v29, 23, 0x3c000000
	v_mov_b32_e32 v35, v61
	v_and_b32_e32 v6, 0x80000000, v6
	v_or3_b32 v36, v26, v6, v27
.LBB232_1944:                           ;   in Loop: Header=BB232_10 Depth=1
	s_or_b32 exec_lo, exec_lo, s17
.LBB232_1945:                           ;   in Loop: Header=BB232_10 Depth=1
	s_or_b32 exec_lo, exec_lo, s7
.LBB232_1946:                           ;   in Loop: Header=BB232_10 Depth=1
	s_or_b32 exec_lo, exec_lo, s6
	v_mov_b32_e32 v2, 0xff
	v_mov_b32_e32 v80, 0
	;; [unrolled: 1-line block ×5, first 2 shown]
	v_and_b32_sdwa v6, v28, v2 dst_sel:DWORD dst_unused:UNUSED_PAD src0_sel:WORD_1 src1_sel:DWORD
	s_mov_b32 s6, exec_lo
	v_cmpx_ne_u16_e32 0, v6
	s_cbranch_execz .LBB232_1954
; %bb.1947:                             ;   in Loop: Header=BB232_10 Depth=1
	v_bfrev_b32_e32 v54, 1
	v_mov_b32_e32 v55, 0
	s_mov_b32 s7, exec_lo
	v_cmpx_ne_u16_e32 0x80, v6
	s_cbranch_execz .LBB232_1953
; %bb.1948:                             ;   in Loop: Header=BB232_10 Depth=1
	v_mov_b32_e32 v54, 0x7f800001
	v_bfe_u32 v26, v28, 16, 7
	v_mov_b32_e32 v55, 0
	s_mov_b32 s17, exec_lo
	v_cmpx_ne_u32_e32 0x7f, v26
	s_cbranch_execz .LBB232_1952
; %bb.1949:                             ;   in Loop: Header=BB232_10 Depth=1
	v_mov_b32_e32 v2, 7
	v_lshrrev_b32_e32 v29, 3, v26
	v_cmp_gt_u32_e64 s5, 8, v26
	v_and_b32_sdwa v60, v28, v2 dst_sel:DWORD dst_unused:UNUSED_PAD src0_sel:WORD_1 src1_sel:DWORD
	v_mov_b32_e32 v26, v60
	v_mov_b32_e32 v27, v61
	s_and_saveexec_b32 s18, s5
; %bb.1950:                             ;   in Loop: Header=BB232_10 Depth=1
	v_ffbh_u32_e32 v26, v60
	v_min_u32_e32 v29, 32, v26
	v_subrev_nc_u32_e32 v26, 28, v29
	v_sub_nc_u32_e32 v29, 29, v29
	v_lshlrev_b64 v[26:27], v26, v[60:61]
	v_and_b32_e32 v26, 7, v26
; %bb.1951:                             ;   in Loop: Header=BB232_10 Depth=1
	s_or_b32 exec_lo, exec_lo, s18
	v_mov_b32_e32 v2, 24
	v_lshlrev_b32_e32 v26, 20, v26
	v_lshl_add_u32 v27, v29, 23, 0x3c000000
	v_lshlrev_b32_sdwa v6, v2, v28 dst_sel:DWORD dst_unused:UNUSED_PAD src0_sel:DWORD src1_sel:WORD_1
	v_and_b32_e32 v6, 0x80000000, v6
	v_or3_b32 v60, v26, v6, v27
	v_mov_b32_e32 v54, v60
	v_mov_b32_e32 v55, v61
.LBB232_1952:                           ;   in Loop: Header=BB232_10 Depth=1
	s_or_b32 exec_lo, exec_lo, s17
.LBB232_1953:                           ;   in Loop: Header=BB232_10 Depth=1
	s_or_b32 exec_lo, exec_lo, s7
.LBB232_1954:                           ;   in Loop: Header=BB232_10 Depth=1
	s_or_b32 exec_lo, exec_lo, s6
	s_mov_b32 s6, exec_lo
	v_cmpx_lt_u32_e32 0xffffff, v28
	s_cbranch_execz .LBB232_1962
; %bb.1955:                             ;   in Loop: Header=BB232_10 Depth=1
	v_mov_b32_e32 v84, v61
	v_mov_b32_e32 v2, 0x80
	;; [unrolled: 1-line block ×3, first 2 shown]
	v_cmp_ne_u32_sdwa s5, v28, v2 src0_sel:BYTE_3 src1_sel:DWORD
	v_mov_b32_e32 v81, v85
	s_and_saveexec_b32 s7, s5
	s_cbranch_execz .LBB232_1961
; %bb.1956:                             ;   in Loop: Header=BB232_10 Depth=1
	v_mov_b32_e32 v86, v61
	v_bfe_u32 v26, v28, 24, 7
	s_mov_b32 s17, exec_lo
	v_mov_b32_e32 v80, v86
	v_mov_b32_e32 v81, v87
	v_cmpx_ne_u32_e32 0x7f, v26
	s_cbranch_execz .LBB232_1960
; %bb.1957:                             ;   in Loop: Header=BB232_10 Depth=1
	v_mov_b32_e32 v2, 7
	v_lshrrev_b32_e32 v29, 3, v26
	v_cmp_gt_u32_e64 s5, 8, v26
	v_and_b32_sdwa v60, v28, v2 dst_sel:DWORD dst_unused:UNUSED_PAD src0_sel:BYTE_3 src1_sel:DWORD
	v_mov_b32_e32 v26, v60
	v_mov_b32_e32 v27, v61
	s_and_saveexec_b32 s18, s5
; %bb.1958:                             ;   in Loop: Header=BB232_10 Depth=1
	v_ffbh_u32_e32 v26, v60
	v_min_u32_e32 v29, 32, v26
	v_subrev_nc_u32_e32 v26, 28, v29
	v_sub_nc_u32_e32 v29, 29, v29
	v_lshlrev_b64 v[26:27], v26, v[60:61]
	v_and_b32_e32 v26, 7, v26
; %bb.1959:                             ;   in Loop: Header=BB232_10 Depth=1
	s_or_b32 exec_lo, exec_lo, s18
	v_mov_b32_e32 v2, 24
	v_lshlrev_b32_e32 v26, 20, v26
	v_lshl_add_u32 v27, v29, 23, 0x3c000000
	v_mov_b32_e32 v80, v61
	v_lshlrev_b32_sdwa v6, v2, v28 dst_sel:DWORD dst_unused:UNUSED_PAD src0_sel:DWORD src1_sel:BYTE_3
	v_and_b32_e32 v6, 0x80000000, v6
	v_or3_b32 v81, v26, v6, v27
.LBB232_1960:                           ;   in Loop: Header=BB232_10 Depth=1
	s_or_b32 exec_lo, exec_lo, s17
.LBB232_1961:                           ;   in Loop: Header=BB232_10 Depth=1
	s_or_b32 exec_lo, exec_lo, s7
.LBB232_1962:                           ;   in Loop: Header=BB232_10 Depth=1
	s_or_b32 exec_lo, exec_lo, s6
	flat_load_dword v48, v[62:63] offset:1540
	v_mov_b32_e32 v27, 0
	v_mov_b32_e32 v31, 0
	;; [unrolled: 1-line block ×4, first 2 shown]
	s_waitcnt vmcnt(0) lgkmcnt(0)
	v_cmp_ne_u16_sdwa s5, v48, v61 src0_sel:BYTE_0 src1_sel:DWORD
	s_and_saveexec_b32 s6, s5
	s_cbranch_execz .LBB232_1970
; %bb.1963:                             ;   in Loop: Header=BB232_10 Depth=1
	v_mov_b32_e32 v2, 0x80
	v_bfrev_b32_e32 v31, 1
	v_mov_b32_e32 v32, 0
	v_cmp_ne_u16_sdwa s5, v48, v2 src0_sel:BYTE_0 src1_sel:DWORD
	s_and_saveexec_b32 s7, s5
	s_cbranch_execz .LBB232_1969
; %bb.1964:                             ;   in Loop: Header=BB232_10 Depth=1
	v_mov_b32_e32 v31, 0x7f800001
	v_and_b32_e32 v29, 0x7f, v48
	v_mov_b32_e32 v32, 0
	s_mov_b32 s17, exec_lo
	v_cmpx_ne_u32_e32 0x7f, v29
	s_cbranch_execz .LBB232_1968
; %bb.1965:                             ;   in Loop: Header=BB232_10 Depth=1
	v_and_b32_e32 v60, 7, v48
	v_lshrrev_b32_e32 v26, 3, v29
	v_cmp_gt_u32_e64 s5, 8, v29
	v_mov_b32_e32 v29, v60
	v_mov_b32_e32 v30, v61
	s_and_saveexec_b32 s18, s5
; %bb.1966:                             ;   in Loop: Header=BB232_10 Depth=1
	v_ffbh_u32_e32 v26, v60
	v_min_u32_e32 v26, 32, v26
	v_subrev_nc_u32_e32 v29, 28, v26
	v_sub_nc_u32_e32 v26, 29, v26
	v_lshlrev_b64 v[29:30], v29, v[60:61]
	v_and_b32_e32 v29, 7, v29
; %bb.1967:                             ;   in Loop: Header=BB232_10 Depth=1
	s_or_b32 exec_lo, exec_lo, s18
	v_lshlrev_b32_e32 v6, 24, v48
	v_lshlrev_b32_e32 v29, 20, v29
	v_lshl_add_u32 v26, v26, 23, 0x3c000000
	v_and_b32_e32 v6, 0x80000000, v6
	v_or3_b32 v60, v29, v6, v26
	v_mov_b32_e32 v31, v60
	v_mov_b32_e32 v32, v61
.LBB232_1968:                           ;   in Loop: Header=BB232_10 Depth=1
	s_or_b32 exec_lo, exec_lo, s17
.LBB232_1969:                           ;   in Loop: Header=BB232_10 Depth=1
	s_or_b32 exec_lo, exec_lo, s7
.LBB232_1970:                           ;   in Loop: Header=BB232_10 Depth=1
	s_or_b32 exec_lo, exec_lo, s6
	v_cmp_ne_u16_sdwa s5, v48, v61 src0_sel:BYTE_1 src1_sel:DWORD
	s_and_saveexec_b32 s6, s5
	s_cbranch_execz .LBB232_1978
; %bb.1971:                             ;   in Loop: Header=BB232_10 Depth=1
	v_mov_b32_e32 v84, v61
	v_mov_b32_e32 v2, 0x80
	;; [unrolled: 1-line block ×3, first 2 shown]
	v_cmp_ne_u16_sdwa s5, v48, v2 src0_sel:BYTE_1 src1_sel:DWORD
	v_mov_b32_e32 v28, v85
	s_and_saveexec_b32 s7, s5
	s_cbranch_execz .LBB232_1977
; %bb.1972:                             ;   in Loop: Header=BB232_10 Depth=1
	v_mov_b32_e32 v2, 0xffff
	v_mov_b32_e32 v86, v61
	s_mov_b32 s17, exec_lo
	v_and_b32_sdwa v6, v2, v48 dst_sel:DWORD dst_unused:UNUSED_PAD src0_sel:DWORD src1_sel:BYTE_1
	v_mov_b32_e32 v27, v86
	v_mov_b32_e32 v28, v87
	v_and_b32_e32 v26, 0x7f, v6
	v_cmpx_ne_u32_e32 0x7f, v26
	s_cbranch_execz .LBB232_1976
; %bb.1973:                             ;   in Loop: Header=BB232_10 Depth=1
	v_and_b32_e32 v60, 7, v6
	v_lshrrev_b32_e32 v28, 3, v26
	v_cmp_gt_u32_e64 s5, 8, v26
	v_mov_b32_e32 v26, v60
	v_mov_b32_e32 v27, v61
	s_and_saveexec_b32 s18, s5
; %bb.1974:                             ;   in Loop: Header=BB232_10 Depth=1
	v_ffbh_u32_e32 v26, v60
	v_min_u32_e32 v28, 32, v26
	v_subrev_nc_u32_e32 v26, 28, v28
	v_sub_nc_u32_e32 v28, 29, v28
	v_lshlrev_b64 v[26:27], v26, v[60:61]
	v_and_b32_e32 v26, 7, v26
; %bb.1975:                             ;   in Loop: Header=BB232_10 Depth=1
	s_or_b32 exec_lo, exec_lo, s18
	v_lshlrev_b32_e32 v6, 16, v48
	v_lshlrev_b32_e32 v26, 20, v26
	v_lshl_add_u32 v27, v28, 23, 0x3c000000
	v_and_b32_e32 v6, 0x80000000, v6
	v_or3_b32 v28, v26, v6, v27
	v_mov_b32_e32 v27, v61
.LBB232_1976:                           ;   in Loop: Header=BB232_10 Depth=1
	s_or_b32 exec_lo, exec_lo, s17
.LBB232_1977:                           ;   in Loop: Header=BB232_10 Depth=1
	s_or_b32 exec_lo, exec_lo, s7
.LBB232_1978:                           ;   in Loop: Header=BB232_10 Depth=1
	s_or_b32 exec_lo, exec_lo, s6
	v_mov_b32_e32 v2, 0xff
	v_mov_b32_e32 v112, 0
	;; [unrolled: 1-line block ×5, first 2 shown]
	v_and_b32_sdwa v6, v48, v2 dst_sel:DWORD dst_unused:UNUSED_PAD src0_sel:WORD_1 src1_sel:DWORD
	s_mov_b32 s6, exec_lo
	v_cmpx_ne_u16_e32 0, v6
	s_cbranch_execz .LBB232_1986
; %bb.1979:                             ;   in Loop: Header=BB232_10 Depth=1
	v_bfrev_b32_e32 v39, 1
	v_mov_b32_e32 v40, 0
	s_mov_b32 s7, exec_lo
	v_cmpx_ne_u16_e32 0x80, v6
	s_cbranch_execz .LBB232_1985
; %bb.1980:                             ;   in Loop: Header=BB232_10 Depth=1
	v_mov_b32_e32 v39, 0x7f800001
	v_bfe_u32 v29, v48, 16, 7
	v_mov_b32_e32 v40, 0
	s_mov_b32 s17, exec_lo
	v_cmpx_ne_u32_e32 0x7f, v29
	s_cbranch_execz .LBB232_1984
; %bb.1981:                             ;   in Loop: Header=BB232_10 Depth=1
	v_mov_b32_e32 v2, 7
	v_lshrrev_b32_e32 v26, 3, v29
	v_cmp_gt_u32_e64 s5, 8, v29
	v_and_b32_sdwa v60, v48, v2 dst_sel:DWORD dst_unused:UNUSED_PAD src0_sel:WORD_1 src1_sel:DWORD
	v_mov_b32_e32 v29, v60
	v_mov_b32_e32 v30, v61
	s_and_saveexec_b32 s18, s5
; %bb.1982:                             ;   in Loop: Header=BB232_10 Depth=1
	v_ffbh_u32_e32 v26, v60
	v_min_u32_e32 v26, 32, v26
	v_subrev_nc_u32_e32 v29, 28, v26
	v_sub_nc_u32_e32 v26, 29, v26
	v_lshlrev_b64 v[29:30], v29, v[60:61]
	v_and_b32_e32 v29, 7, v29
; %bb.1983:                             ;   in Loop: Header=BB232_10 Depth=1
	s_or_b32 exec_lo, exec_lo, s18
	v_mov_b32_e32 v2, 24
	v_lshlrev_b32_e32 v29, 20, v29
	v_lshl_add_u32 v26, v26, 23, 0x3c000000
	v_lshlrev_b32_sdwa v6, v2, v48 dst_sel:DWORD dst_unused:UNUSED_PAD src0_sel:DWORD src1_sel:WORD_1
	v_and_b32_e32 v6, 0x80000000, v6
	v_or3_b32 v60, v29, v6, v26
	v_mov_b32_e32 v39, v60
	v_mov_b32_e32 v40, v61
.LBB232_1984:                           ;   in Loop: Header=BB232_10 Depth=1
	s_or_b32 exec_lo, exec_lo, s17
.LBB232_1985:                           ;   in Loop: Header=BB232_10 Depth=1
	s_or_b32 exec_lo, exec_lo, s7
.LBB232_1986:                           ;   in Loop: Header=BB232_10 Depth=1
	s_or_b32 exec_lo, exec_lo, s6
	s_mov_b32 s6, exec_lo
	v_cmpx_lt_u32_e32 0xffffff, v48
	s_cbranch_execz .LBB232_1994
; %bb.1987:                             ;   in Loop: Header=BB232_10 Depth=1
	v_mov_b32_e32 v84, v61
	v_mov_b32_e32 v2, 0x80
	;; [unrolled: 1-line block ×4, first 2 shown]
	v_cmp_ne_u32_sdwa s5, v48, v2 src0_sel:BYTE_3 src1_sel:DWORD
	s_and_saveexec_b32 s7, s5
	s_cbranch_execz .LBB232_1993
; %bb.1988:                             ;   in Loop: Header=BB232_10 Depth=1
	v_mov_b32_e32 v86, v61
	v_mov_b32_e32 v113, v87
	v_bfe_u32 v29, v48, 24, 7
	s_mov_b32 s17, exec_lo
	v_mov_b32_e32 v112, v86
	v_cmpx_ne_u32_e32 0x7f, v29
	s_cbranch_execz .LBB232_1992
; %bb.1989:                             ;   in Loop: Header=BB232_10 Depth=1
	v_mov_b32_e32 v2, 7
	v_lshrrev_b32_e32 v26, 3, v29
	v_cmp_gt_u32_e64 s5, 8, v29
	v_and_b32_sdwa v60, v48, v2 dst_sel:DWORD dst_unused:UNUSED_PAD src0_sel:BYTE_3 src1_sel:DWORD
	v_mov_b32_e32 v29, v60
	v_mov_b32_e32 v30, v61
	s_and_saveexec_b32 s18, s5
; %bb.1990:                             ;   in Loop: Header=BB232_10 Depth=1
	v_ffbh_u32_e32 v26, v60
	v_min_u32_e32 v26, 32, v26
	v_subrev_nc_u32_e32 v29, 28, v26
	v_sub_nc_u32_e32 v26, 29, v26
	v_lshlrev_b64 v[29:30], v29, v[60:61]
	v_and_b32_e32 v29, 7, v29
; %bb.1991:                             ;   in Loop: Header=BB232_10 Depth=1
	s_or_b32 exec_lo, exec_lo, s18
	v_mov_b32_e32 v2, 24
	v_lshlrev_b32_e32 v29, 20, v29
	v_lshl_add_u32 v26, v26, 23, 0x3c000000
	v_mov_b32_e32 v112, v61
	v_lshlrev_b32_sdwa v6, v2, v48 dst_sel:DWORD dst_unused:UNUSED_PAD src0_sel:DWORD src1_sel:BYTE_3
	v_and_b32_e32 v6, 0x80000000, v6
	v_or3_b32 v113, v29, v6, v26
.LBB232_1992:                           ;   in Loop: Header=BB232_10 Depth=1
	s_or_b32 exec_lo, exec_lo, s17
.LBB232_1993:                           ;   in Loop: Header=BB232_10 Depth=1
	s_or_b32 exec_lo, exec_lo, s7
.LBB232_1994:                           ;   in Loop: Header=BB232_10 Depth=1
	s_or_b32 exec_lo, exec_lo, s6
	flat_load_dword v26, v[62:63] offset:1544
	v_mov_b32_e32 v72, 0
	v_mov_b32_e32 v68, 0
	;; [unrolled: 1-line block ×4, first 2 shown]
	s_waitcnt vmcnt(0) lgkmcnt(0)
	v_cmp_ne_u16_sdwa s5, v26, v61 src0_sel:BYTE_0 src1_sel:DWORD
	s_and_saveexec_b32 s6, s5
	s_cbranch_execz .LBB232_2002
; %bb.1995:                             ;   in Loop: Header=BB232_10 Depth=1
	v_mov_b32_e32 v2, 0x80
	v_bfrev_b32_e32 v68, 1
	v_mov_b32_e32 v69, 0
	v_cmp_ne_u16_sdwa s5, v26, v2 src0_sel:BYTE_0 src1_sel:DWORD
	s_and_saveexec_b32 s7, s5
	s_cbranch_execz .LBB232_2001
; %bb.1996:                             ;   in Loop: Header=BB232_10 Depth=1
	v_mov_b32_e32 v68, 0x7f800001
	v_and_b32_e32 v29, 0x7f, v26
	v_mov_b32_e32 v69, 0
	s_mov_b32 s17, exec_lo
	v_cmpx_ne_u32_e32 0x7f, v29
	s_cbranch_execz .LBB232_2000
; %bb.1997:                             ;   in Loop: Header=BB232_10 Depth=1
	v_and_b32_e32 v60, 7, v26
	v_lshrrev_b32_e32 v48, 3, v29
	v_cmp_gt_u32_e64 s5, 8, v29
	v_mov_b32_e32 v29, v60
	v_mov_b32_e32 v30, v61
	s_and_saveexec_b32 s18, s5
; %bb.1998:                             ;   in Loop: Header=BB232_10 Depth=1
	v_ffbh_u32_e32 v29, v60
	v_min_u32_e32 v48, 32, v29
	v_subrev_nc_u32_e32 v29, 28, v48
	v_sub_nc_u32_e32 v48, 29, v48
	v_lshlrev_b64 v[29:30], v29, v[60:61]
	v_and_b32_e32 v29, 7, v29
; %bb.1999:                             ;   in Loop: Header=BB232_10 Depth=1
	s_or_b32 exec_lo, exec_lo, s18
	v_lshlrev_b32_e32 v6, 24, v26
	v_lshlrev_b32_e32 v29, 20, v29
	v_lshl_add_u32 v30, v48, 23, 0x3c000000
	v_and_b32_e32 v6, 0x80000000, v6
	v_or3_b32 v60, v29, v6, v30
	v_mov_b32_e32 v69, v61
	v_mov_b32_e32 v68, v60
.LBB232_2000:                           ;   in Loop: Header=BB232_10 Depth=1
	s_or_b32 exec_lo, exec_lo, s17
.LBB232_2001:                           ;   in Loop: Header=BB232_10 Depth=1
	s_or_b32 exec_lo, exec_lo, s7
.LBB232_2002:                           ;   in Loop: Header=BB232_10 Depth=1
	s_or_b32 exec_lo, exec_lo, s6
	v_cmp_ne_u16_sdwa s5, v26, v61 src0_sel:BYTE_1 src1_sel:DWORD
	s_and_saveexec_b32 s6, s5
	s_cbranch_execz .LBB232_2010
; %bb.2003:                             ;   in Loop: Header=BB232_10 Depth=1
	v_mov_b32_e32 v84, v61
	v_mov_b32_e32 v2, 0x80
	;; [unrolled: 1-line block ×3, first 2 shown]
	v_cmp_ne_u16_sdwa s5, v26, v2 src0_sel:BYTE_1 src1_sel:DWORD
	v_mov_b32_e32 v73, v85
	s_and_saveexec_b32 s7, s5
	s_cbranch_execz .LBB232_2009
; %bb.2004:                             ;   in Loop: Header=BB232_10 Depth=1
	v_mov_b32_e32 v2, 0xffff
	v_mov_b32_e32 v86, v61
	s_mov_b32 s17, exec_lo
	v_and_b32_sdwa v6, v2, v26 dst_sel:DWORD dst_unused:UNUSED_PAD src0_sel:DWORD src1_sel:BYTE_1
	v_mov_b32_e32 v72, v86
	v_mov_b32_e32 v73, v87
	v_and_b32_e32 v29, 0x7f, v6
	v_cmpx_ne_u32_e32 0x7f, v29
	s_cbranch_execz .LBB232_2008
; %bb.2005:                             ;   in Loop: Header=BB232_10 Depth=1
	v_and_b32_e32 v60, 7, v6
	v_lshrrev_b32_e32 v48, 3, v29
	v_cmp_gt_u32_e64 s5, 8, v29
	v_mov_b32_e32 v29, v60
	v_mov_b32_e32 v30, v61
	s_and_saveexec_b32 s18, s5
; %bb.2006:                             ;   in Loop: Header=BB232_10 Depth=1
	v_ffbh_u32_e32 v29, v60
	v_min_u32_e32 v48, 32, v29
	v_subrev_nc_u32_e32 v29, 28, v48
	v_sub_nc_u32_e32 v48, 29, v48
	v_lshlrev_b64 v[29:30], v29, v[60:61]
	v_and_b32_e32 v29, 7, v29
; %bb.2007:                             ;   in Loop: Header=BB232_10 Depth=1
	s_or_b32 exec_lo, exec_lo, s18
	v_lshlrev_b32_e32 v6, 16, v26
	v_lshlrev_b32_e32 v29, 20, v29
	v_lshl_add_u32 v30, v48, 23, 0x3c000000
	v_mov_b32_e32 v72, v61
	v_and_b32_e32 v6, 0x80000000, v6
	v_or3_b32 v73, v29, v6, v30
.LBB232_2008:                           ;   in Loop: Header=BB232_10 Depth=1
	s_or_b32 exec_lo, exec_lo, s17
.LBB232_2009:                           ;   in Loop: Header=BB232_10 Depth=1
	s_or_b32 exec_lo, exec_lo, s7
.LBB232_2010:                           ;   in Loop: Header=BB232_10 Depth=1
	s_or_b32 exec_lo, exec_lo, s6
	v_mov_b32_e32 v2, 0xff
	v_mov_b32_e32 v29, 0
	v_mov_b32_e32 v45, 0
	v_mov_b32_e32 v30, 0
	v_mov_b32_e32 v46, 0
	v_and_b32_sdwa v6, v26, v2 dst_sel:DWORD dst_unused:UNUSED_PAD src0_sel:WORD_1 src1_sel:DWORD
	s_mov_b32 s6, exec_lo
	v_cmpx_ne_u16_e32 0, v6
	s_cbranch_execz .LBB232_2018
; %bb.2011:                             ;   in Loop: Header=BB232_10 Depth=1
	v_bfrev_b32_e32 v45, 1
	v_mov_b32_e32 v46, 0
	s_mov_b32 s7, exec_lo
	v_cmpx_ne_u16_e32 0x80, v6
	s_cbranch_execz .LBB232_2017
; %bb.2012:                             ;   in Loop: Header=BB232_10 Depth=1
	v_mov_b32_e32 v45, 0x7f800001
	v_bfe_u32 v48, v26, 16, 7
	v_mov_b32_e32 v46, 0
	s_mov_b32 s17, exec_lo
	v_cmpx_ne_u32_e32 0x7f, v48
	s_cbranch_execz .LBB232_2016
; %bb.2013:                             ;   in Loop: Header=BB232_10 Depth=1
	v_mov_b32_e32 v2, 7
	v_lshrrev_b32_e32 v52, 3, v48
	v_cmp_gt_u32_e64 s5, 8, v48
	v_and_b32_sdwa v60, v26, v2 dst_sel:DWORD dst_unused:UNUSED_PAD src0_sel:WORD_1 src1_sel:DWORD
	v_mov_b32_e32 v48, v60
	v_mov_b32_e32 v49, v61
	s_and_saveexec_b32 s18, s5
; %bb.2014:                             ;   in Loop: Header=BB232_10 Depth=1
	v_ffbh_u32_e32 v48, v60
	v_min_u32_e32 v52, 32, v48
	v_subrev_nc_u32_e32 v48, 28, v52
	v_sub_nc_u32_e32 v52, 29, v52
	v_lshlrev_b64 v[48:49], v48, v[60:61]
	v_and_b32_e32 v48, 7, v48
; %bb.2015:                             ;   in Loop: Header=BB232_10 Depth=1
	s_or_b32 exec_lo, exec_lo, s18
	v_mov_b32_e32 v2, 24
	v_lshlrev_b32_e32 v48, 20, v48
	v_lshl_add_u32 v49, v52, 23, 0x3c000000
	v_lshlrev_b32_sdwa v6, v2, v26 dst_sel:DWORD dst_unused:UNUSED_PAD src0_sel:DWORD src1_sel:WORD_1
	v_and_b32_e32 v6, 0x80000000, v6
	v_or3_b32 v60, v48, v6, v49
	v_mov_b32_e32 v45, v60
	v_mov_b32_e32 v46, v61
.LBB232_2016:                           ;   in Loop: Header=BB232_10 Depth=1
	s_or_b32 exec_lo, exec_lo, s17
.LBB232_2017:                           ;   in Loop: Header=BB232_10 Depth=1
	s_or_b32 exec_lo, exec_lo, s7
.LBB232_2018:                           ;   in Loop: Header=BB232_10 Depth=1
	s_or_b32 exec_lo, exec_lo, s6
	s_mov_b32 s6, exec_lo
	v_cmpx_lt_u32_e32 0xffffff, v26
	s_cbranch_execz .LBB232_2026
; %bb.2019:                             ;   in Loop: Header=BB232_10 Depth=1
	v_mov_b32_e32 v84, v61
	v_mov_b32_e32 v2, 0x80
	;; [unrolled: 1-line block ×3, first 2 shown]
	v_cmp_ne_u32_sdwa s5, v26, v2 src0_sel:BYTE_3 src1_sel:DWORD
	v_mov_b32_e32 v30, v85
	s_and_saveexec_b32 s7, s5
	s_cbranch_execz .LBB232_2025
; %bb.2020:                             ;   in Loop: Header=BB232_10 Depth=1
	v_mov_b32_e32 v86, v61
	v_bfe_u32 v49, v26, 24, 7
	s_mov_b32 s17, exec_lo
	v_mov_b32_e32 v29, v86
	v_mov_b32_e32 v30, v87
	v_cmpx_ne_u32_e32 0x7f, v49
	s_cbranch_execz .LBB232_2024
; %bb.2021:                             ;   in Loop: Header=BB232_10 Depth=1
	v_mov_b32_e32 v2, 7
	v_lshrrev_b32_e32 v48, 3, v49
	s_mov_b32 s18, exec_lo
	v_and_b32_sdwa v60, v26, v2 dst_sel:DWORD dst_unused:UNUSED_PAD src0_sel:BYTE_3 src1_sel:DWORD
	v_mov_b32_e32 v29, v60
	v_mov_b32_e32 v30, v61
	v_cmpx_gt_u32_e32 8, v49
; %bb.2022:                             ;   in Loop: Header=BB232_10 Depth=1
	v_ffbh_u32_e32 v29, v60
	v_min_u32_e32 v48, 32, v29
	v_subrev_nc_u32_e32 v29, 28, v48
	v_sub_nc_u32_e32 v48, 29, v48
	v_lshlrev_b64 v[29:30], v29, v[60:61]
	v_and_b32_e32 v29, 7, v29
; %bb.2023:                             ;   in Loop: Header=BB232_10 Depth=1
	s_or_b32 exec_lo, exec_lo, s18
	v_mov_b32_e32 v2, 24
	v_lshlrev_b32_sdwa v6, v2, v26 dst_sel:DWORD dst_unused:UNUSED_PAD src0_sel:DWORD src1_sel:BYTE_3
	v_lshlrev_b32_e32 v26, 20, v29
	v_lshl_add_u32 v29, v48, 23, 0x3c000000
	v_and_b32_e32 v6, 0x80000000, v6
	v_or3_b32 v30, v26, v6, v29
	v_mov_b32_e32 v29, v61
.LBB232_2024:                           ;   in Loop: Header=BB232_10 Depth=1
	s_or_b32 exec_lo, exec_lo, s17
.LBB232_2025:                           ;   in Loop: Header=BB232_10 Depth=1
	s_or_b32 exec_lo, exec_lo, s7
.LBB232_2026:                           ;   in Loop: Header=BB232_10 Depth=1
	s_or_b32 exec_lo, exec_lo, s6
	flat_load_dword v26, v[62:63] offset:1548
	v_mov_b32_e32 v3, 0
	v_mov_b32_e32 v62, 0
	v_mov_b32_e32 v4, 0
	v_mov_b32_e32 v63, 0
	s_waitcnt vmcnt(0) lgkmcnt(0)
	v_cmp_ne_u16_sdwa s5, v26, v61 src0_sel:BYTE_0 src1_sel:DWORD
	s_and_saveexec_b32 s6, s5
	s_cbranch_execz .LBB232_2034
; %bb.2027:                             ;   in Loop: Header=BB232_10 Depth=1
	v_mov_b32_e32 v2, 0x80
	v_bfrev_b32_e32 v62, 1
	v_mov_b32_e32 v63, 0
	v_cmp_ne_u16_sdwa s5, v26, v2 src0_sel:BYTE_0 src1_sel:DWORD
	s_and_saveexec_b32 s7, s5
	s_cbranch_execz .LBB232_2033
; %bb.2028:                             ;   in Loop: Header=BB232_10 Depth=1
	v_mov_b32_e32 v62, 0x7f800001
	v_and_b32_e32 v48, 0x7f, v26
	v_mov_b32_e32 v63, 0
	s_mov_b32 s17, exec_lo
	v_cmpx_ne_u32_e32 0x7f, v48
	s_cbranch_execz .LBB232_2032
; %bb.2029:                             ;   in Loop: Header=BB232_10 Depth=1
	v_and_b32_e32 v60, 7, v26
	v_lshrrev_b32_e32 v52, 3, v48
	v_cmp_gt_u32_e64 s5, 8, v48
	v_mov_b32_e32 v48, v60
	v_mov_b32_e32 v49, v61
	s_and_saveexec_b32 s18, s5
; %bb.2030:                             ;   in Loop: Header=BB232_10 Depth=1
	v_ffbh_u32_e32 v48, v60
	v_min_u32_e32 v52, 32, v48
	v_subrev_nc_u32_e32 v48, 28, v52
	v_sub_nc_u32_e32 v52, 29, v52
	v_lshlrev_b64 v[48:49], v48, v[60:61]
	v_and_b32_e32 v48, 7, v48
; %bb.2031:                             ;   in Loop: Header=BB232_10 Depth=1
	s_or_b32 exec_lo, exec_lo, s18
	v_lshlrev_b32_e32 v6, 24, v26
	v_lshlrev_b32_e32 v48, 20, v48
	v_lshl_add_u32 v49, v52, 23, 0x3c000000
	v_and_b32_e32 v6, 0x80000000, v6
	v_or3_b32 v60, v48, v6, v49
	v_mov_b32_e32 v63, v61
	v_mov_b32_e32 v62, v60
.LBB232_2032:                           ;   in Loop: Header=BB232_10 Depth=1
	s_or_b32 exec_lo, exec_lo, s17
.LBB232_2033:                           ;   in Loop: Header=BB232_10 Depth=1
	s_or_b32 exec_lo, exec_lo, s7
.LBB232_2034:                           ;   in Loop: Header=BB232_10 Depth=1
	s_or_b32 exec_lo, exec_lo, s6
	v_cmp_ne_u16_sdwa s5, v26, v61 src0_sel:BYTE_1 src1_sel:DWORD
	s_and_saveexec_b32 s6, s5
	s_cbranch_execz .LBB232_2042
; %bb.2035:                             ;   in Loop: Header=BB232_10 Depth=1
	v_mov_b32_e32 v84, v61
	v_mov_b32_e32 v2, 0x80
	;; [unrolled: 1-line block ×3, first 2 shown]
	v_cmp_ne_u16_sdwa s5, v26, v2 src0_sel:BYTE_1 src1_sel:DWORD
	v_mov_b32_e32 v4, v85
	s_and_saveexec_b32 s7, s5
	s_cbranch_execz .LBB232_2041
; %bb.2036:                             ;   in Loop: Header=BB232_10 Depth=1
	v_mov_b32_e32 v2, 0xffff
	v_mov_b32_e32 v86, v61
	s_mov_b32 s17, exec_lo
	v_and_b32_sdwa v6, v2, v26 dst_sel:DWORD dst_unused:UNUSED_PAD src0_sel:DWORD src1_sel:BYTE_1
	v_mov_b32_e32 v3, v86
	v_mov_b32_e32 v4, v87
	v_and_b32_e32 v48, 0x7f, v6
	v_cmpx_ne_u32_e32 0x7f, v48
	s_cbranch_execz .LBB232_2040
; %bb.2037:                             ;   in Loop: Header=BB232_10 Depth=1
	v_and_b32_e32 v60, 7, v6
	v_lshrrev_b32_e32 v52, 3, v48
	v_cmp_gt_u32_e64 s5, 8, v48
	v_mov_b32_e32 v48, v60
	v_mov_b32_e32 v49, v61
	s_and_saveexec_b32 s18, s5
; %bb.2038:                             ;   in Loop: Header=BB232_10 Depth=1
	v_ffbh_u32_e32 v48, v60
	v_min_u32_e32 v52, 32, v48
	v_subrev_nc_u32_e32 v48, 28, v52
	v_sub_nc_u32_e32 v52, 29, v52
	v_lshlrev_b64 v[48:49], v48, v[60:61]
	v_and_b32_e32 v48, 7, v48
; %bb.2039:                             ;   in Loop: Header=BB232_10 Depth=1
	s_or_b32 exec_lo, exec_lo, s18
	v_lshlrev_b32_e32 v6, 16, v26
	v_lshlrev_b32_e32 v48, 20, v48
	v_lshl_add_u32 v49, v52, 23, 0x3c000000
	v_mov_b32_e32 v3, v61
	v_and_b32_e32 v6, 0x80000000, v6
	v_or3_b32 v4, v48, v6, v49
.LBB232_2040:                           ;   in Loop: Header=BB232_10 Depth=1
	s_or_b32 exec_lo, exec_lo, s17
.LBB232_2041:                           ;   in Loop: Header=BB232_10 Depth=1
	s_or_b32 exec_lo, exec_lo, s7
.LBB232_2042:                           ;   in Loop: Header=BB232_10 Depth=1
	s_or_b32 exec_lo, exec_lo, s6
	v_mov_b32_e32 v2, 0xff
	v_mov_b32_e32 v52, 0
	;; [unrolled: 1-line block ×5, first 2 shown]
	v_and_b32_sdwa v6, v26, v2 dst_sel:DWORD dst_unused:UNUSED_PAD src0_sel:WORD_1 src1_sel:DWORD
	s_mov_b32 s6, exec_lo
	v_cmpx_ne_u16_e32 0, v6
	s_cbranch_execz .LBB232_2050
; %bb.2043:                             ;   in Loop: Header=BB232_10 Depth=1
	v_bfrev_b32_e32 v102, 1
	v_mov_b32_e32 v103, 0
	s_mov_b32 s7, exec_lo
	v_cmpx_ne_u16_e32 0x80, v6
	s_cbranch_execz .LBB232_2049
; %bb.2044:                             ;   in Loop: Header=BB232_10 Depth=1
	v_mov_b32_e32 v102, 0x7f800001
	v_bfe_u32 v84, v26, 16, 7
	v_mov_b32_e32 v103, 0
	s_mov_b32 s17, exec_lo
	v_cmpx_ne_u32_e32 0x7f, v84
	s_cbranch_execz .LBB232_2048
; %bb.2045:                             ;   in Loop: Header=BB232_10 Depth=1
	v_mov_b32_e32 v2, 7
	v_lshrrev_b32_e32 v70, 3, v84
	s_mov_b32 s18, exec_lo
	v_and_b32_sdwa v60, v26, v2 dst_sel:DWORD dst_unused:UNUSED_PAD src0_sel:WORD_1 src1_sel:DWORD
	v_mov_b32_e32 v48, v60
	v_mov_b32_e32 v49, v61
	v_cmpx_gt_u32_e32 8, v84
; %bb.2046:                             ;   in Loop: Header=BB232_10 Depth=1
	v_ffbh_u32_e32 v48, v60
	v_min_u32_e32 v70, 32, v48
	v_subrev_nc_u32_e32 v48, 28, v70
	v_sub_nc_u32_e32 v70, 29, v70
	v_lshlrev_b64 v[48:49], v48, v[60:61]
	v_and_b32_e32 v48, 7, v48
; %bb.2047:                             ;   in Loop: Header=BB232_10 Depth=1
	s_or_b32 exec_lo, exec_lo, s18
	v_mov_b32_e32 v2, 24
	v_lshlrev_b32_e32 v48, 20, v48
	v_lshl_add_u32 v49, v70, 23, 0x3c000000
	v_lshlrev_b32_sdwa v6, v2, v26 dst_sel:DWORD dst_unused:UNUSED_PAD src0_sel:DWORD src1_sel:WORD_1
	v_and_b32_e32 v6, 0x80000000, v6
	v_or3_b32 v60, v48, v6, v49
	v_mov_b32_e32 v103, v61
	v_mov_b32_e32 v102, v60
.LBB232_2048:                           ;   in Loop: Header=BB232_10 Depth=1
	s_or_b32 exec_lo, exec_lo, s17
.LBB232_2049:                           ;   in Loop: Header=BB232_10 Depth=1
	s_or_b32 exec_lo, exec_lo, s7
.LBB232_2050:                           ;   in Loop: Header=BB232_10 Depth=1
	s_or_b32 exec_lo, exec_lo, s6
	buffer_store_dword v62, off, s[0:3], s32 offset:2032 ; 4-byte Folded Spill
	buffer_store_dword v63, off, s[0:3], s32 offset:2036 ; 4-byte Folded Spill
	v_cmp_lt_u32_e64 s5, 0xffffff, v26
	s_mov_b32 s6, exec_lo
	v_mov_b32_e32 v84, v71
	v_mov_b32_e32 v86, v116
	s_and_b32 s5, s6, s5
	s_mov_b32 exec_lo, s5
	s_cbranch_execz .LBB232_9
; %bb.2051:                             ;   in Loop: Header=BB232_10 Depth=1
	v_mov_b32_e32 v84, v61
	v_mov_b32_e32 v2, 0x80
	;; [unrolled: 1-line block ×3, first 2 shown]
	v_cmp_ne_u32_sdwa s5, v26, v2 src0_sel:BYTE_3 src1_sel:DWORD
	v_mov_b32_e32 v53, v85
	s_and_saveexec_b32 s7, s5
	s_cbranch_execz .LBB232_8
; %bb.2052:                             ;   in Loop: Header=BB232_10 Depth=1
	v_mov_b32_e32 v86, v61
	v_bfe_u32 v84, v26, 24, 7
	s_mov_b32 s17, exec_lo
	v_mov_b32_e32 v52, v86
	v_mov_b32_e32 v53, v87
	v_cmpx_ne_u32_e32 0x7f, v84
	s_cbranch_execz .LBB232_7
; %bb.2053:                             ;   in Loop: Header=BB232_10 Depth=1
	v_mov_b32_e32 v2, 7
	v_lshrrev_b32_e32 v70, 3, v84
	s_mov_b32 s18, exec_lo
	v_and_b32_sdwa v60, v26, v2 dst_sel:DWORD dst_unused:UNUSED_PAD src0_sel:BYTE_3 src1_sel:DWORD
	v_mov_b32_e32 v52, v60
	v_mov_b32_e32 v53, v61
	v_cmpx_gt_u32_e32 8, v84
	s_cbranch_execz .LBB232_6
; %bb.2054:                             ;   in Loop: Header=BB232_10 Depth=1
	v_ffbh_u32_e32 v52, v60
	v_min_u32_e32 v70, 32, v52
	v_subrev_nc_u32_e32 v52, 28, v70
	v_sub_nc_u32_e32 v70, 29, v70
	v_lshlrev_b64 v[52:53], v52, v[60:61]
	v_and_b32_e32 v52, 7, v52
	s_branch .LBB232_6
.LBB232_2055:
	s_or_b32 exec_lo, exec_lo, s15
	s_clause 0x1
	buffer_load_dword v7, off, s[0:3], s32 offset:3088
	buffer_load_dword v9, off, s[0:3], s32 offset:3152
.LBB232_2056:
	s_or_b32 exec_lo, exec_lo, s8
	v_mbcnt_lo_u32_b32 v0, -1, 0
	v_max_f32_e32 v4, v10, v10
	s_lshr_b32 s13, s13, 16
	v_xor_b32_e32 v1, 16, v0
	v_xor_b32_e32 v3, 8, v0
	v_cmp_gt_i32_e32 vcc_lo, 32, v1
	v_cndmask_b32_e32 v1, v0, v1, vcc_lo
	v_cmp_gt_i32_e32 vcc_lo, 32, v3
	v_lshlrev_b32_e32 v1, 2, v1
	v_cndmask_b32_e32 v3, v0, v3, vcc_lo
	ds_bpermute_b32 v2, v1, v10
	s_waitcnt lgkmcnt(0)
	v_max_f32_e32 v5, v2, v2
	v_lshlrev_b32_e32 v2, 2, v3
	v_max_f32_e32 v3, v4, v5
	v_xor_b32_e32 v5, 4, v0
	ds_bpermute_b32 v4, v2, v3
	v_cmp_gt_i32_e32 vcc_lo, 32, v5
	v_cndmask_b32_e32 v5, v0, v5, vcc_lo
	v_lshlrev_b32_e32 v112, 2, v5
	v_xor_b32_e32 v5, 2, v0
	v_cmp_gt_i32_e32 vcc_lo, 32, v5
	s_waitcnt lgkmcnt(0)
	v_max_f32_e32 v4, v4, v4
	v_cndmask_b32_e32 v5, v0, v5, vcc_lo
	v_max_f32_e32 v3, v3, v4
	v_lshlrev_b32_e32 v42, 2, v5
	v_xor_b32_e32 v5, 1, v0
	ds_bpermute_b32 v4, v112, v3
	v_cmp_gt_i32_e32 vcc_lo, 32, v5
	v_cndmask_b32_e32 v5, v0, v5, vcc_lo
	v_lshlrev_b32_e32 v58, 2, v5
	s_waitcnt lgkmcnt(0)
	v_max_f32_e32 v4, v4, v4
	v_max_f32_e32 v3, v3, v4
	ds_bpermute_b32 v4, v42, v3
	s_waitcnt lgkmcnt(0)
	v_max_f32_e32 v4, v4, v4
	v_max_f32_e32 v0, v3, v4
	buffer_load_dword v3, off, s[0:3], s32 offset:3092 ; 4-byte Folded Reload
	ds_bpermute_b32 v4, v58, v0
	s_waitcnt vmcnt(0)
	v_cmp_eq_u32_e32 vcc_lo, 0, v3
	buffer_load_dword v3, off, s[0:3], s32 offset:3096 ; 4-byte Folded Reload
	s_waitcnt vmcnt(0)
	v_lshlrev_b32_e32 v3, 2, v3
	s_and_saveexec_b32 s5, vcc_lo
	s_cbranch_execz .LBB232_2058
; %bb.2057:
	s_waitcnt lgkmcnt(0)
	v_max_f32_e32 v4, v4, v4
	v_max_f32_e32 v0, v0, v0
	;; [unrolled: 1-line block ×3, first 2 shown]
	ds_write_b32 v3, v0 offset:1024
.LBB232_2058:
	s_or_b32 exec_lo, exec_lo, s5
	buffer_load_dword v0, off, s[0:3], s32 offset:3092 ; 4-byte Folded Reload
	s_waitcnt vmcnt(0) lgkmcnt(0)
	s_waitcnt_vscnt null, 0x0
	s_barrier
	buffer_gl0_inv
	v_cmp_gt_u32_e64 s5, 4, v0
	v_mov_b32_e32 v0, 0xff7fffff
	s_and_saveexec_b32 s6, s5
; %bb.2059:
	ds_read_b32 v0, v9 offset:1024
; %bb.2060:
	s_or_b32 exec_lo, exec_lo, s6
	s_waitcnt lgkmcnt(0)
	ds_bpermute_b32 v4, v42, v0
	v_max_f32_e32 v0, v0, v0
	v_mov_b32_e32 v5, 0
	buffer_load_dword v6, off, s[0:3], s32 offset:1804 ; 4-byte Folded Reload
	s_waitcnt lgkmcnt(0)
	v_max_f32_e32 v4, v4, v4
	v_max_f32_e32 v0, v0, v4
	ds_bpermute_b32 v4, v58, v0
	s_waitcnt lgkmcnt(0)
	v_max_f32_e32 v4, v4, v4
	v_max_f32_e32 v0, v0, v4
	ds_bpermute_b32 v4, v5, v0
	buffer_load_dword v0, off, s[0:3], s32 offset:192 ; 4-byte Folded Reload
	s_waitcnt vmcnt(0)
	v_lshlrev_b32_e32 v0, 5, v0
	v_min_i32_e32 v0, v0, v6
	v_cmp_lt_i32_e64 s6, v7, v0
	s_and_saveexec_b32 s8, s6
	s_cbranch_execz .LBB232_2064
; %bb.2061:
	s_getpc_b64 s[18:19]
	s_add_u32 s18, s18, llvm.amdgcn.dynlds.offset.table@rel32@lo+4
	s_addc_u32 s19, s19, llvm.amdgcn.dynlds.offset.table@rel32@hi+12
	s_ashr_i32 s17, s16, 31
	v_mov_b32_e32 v5, 0
	s_lshl_b64 s[20:21], s[16:17], 2
	s_mov_b32 s15, 0
	s_add_u32 s18, s18, s20
	s_addc_u32 s19, s19, s21
	s_load_dword s7, s[18:19], 0x0
	s_waitcnt lgkmcnt(0)
	v_lshl_add_u32 v6, v7, 2, s7
	.p2align	6
.LBB232_2062:                           ; =>This Inner Loop Header: Depth=1
	ds_read_b32 v8, v6
	v_add_nc_u32_e32 v7, 0x80, v7
	v_cmp_ge_i32_e64 s7, v7, v0
	s_or_b32 s15, s7, s15
	s_waitcnt lgkmcnt(0)
	v_sub_f32_e32 v8, v8, v4
	v_mul_f32_e32 v8, 0x3fb8aa3b, v8
	v_exp_f32_e32 v8, v8
	ds_write_b32 v6, v8
	v_add_f32_e32 v5, v5, v8
	v_add_nc_u32_e32 v6, 0x200, v6
	s_andn2_b32 exec_lo, exec_lo, s15
	s_cbranch_execnz .LBB232_2062
; %bb.2063:
	s_or_b32 exec_lo, exec_lo, s15
	buffer_load_dword v7, off, s[0:3], s32 offset:3088 ; 4-byte Folded Reload
.LBB232_2064:
	s_or_b32 exec_lo, exec_lo, s8
	ds_bpermute_b32 v1, v1, v5
	s_waitcnt lgkmcnt(0)
	v_add_f32_e32 v1, v5, v1
	ds_bpermute_b32 v2, v2, v1
	s_waitcnt lgkmcnt(0)
	v_add_f32_e32 v1, v1, v2
	;; [unrolled: 3-line block ×5, first 2 shown]
	s_and_saveexec_b32 s7, vcc_lo
; %bb.2065:
	ds_write_b32 v3, v1 offset:1040
; %bb.2066:
	s_or_b32 exec_lo, exec_lo, s7
	s_waitcnt vmcnt(0) lgkmcnt(0)
	s_barrier
	buffer_gl0_inv
	s_and_saveexec_b32 s7, s5
; %bb.2067:
	ds_read_b32 v1, v9 offset:1040
; %bb.2068:
	s_or_b32 exec_lo, exec_lo, s7
	s_waitcnt lgkmcnt(0)
	ds_bpermute_b32 v2, v42, v1
	s_waitcnt lgkmcnt(0)
	v_add_f32_e32 v1, v1, v2
	ds_bpermute_b32 v2, v58, v1
	s_waitcnt lgkmcnt(0)
	v_add_f32_e32 v1, v1, v2
	v_mov_b32_e32 v2, 0
	ds_bpermute_b32 v1, v2, v1
	s_and_saveexec_b32 s5, s6
	s_cbranch_execz .LBB232_2071
; %bb.2069:
	s_waitcnt lgkmcnt(0)
	v_add_f32_e32 v2, 0x358637bd, v1
	s_getpc_b64 s[6:7]
	s_add_u32 s6, s6, llvm.amdgcn.dynlds.offset.table@rel32@lo+4
	s_addc_u32 s7, s7, llvm.amdgcn.dynlds.offset.table@rel32@hi+12
	s_ashr_i32 s17, s16, 31
	s_lshl_b64 s[18:19], s[16:17], 2
	v_div_scale_f32 v1, null, v2, v2, 1.0
	v_div_scale_f32 v5, vcc_lo, 1.0, v2, 1.0
	s_add_u32 s6, s6, s18
	v_rcp_f32_e32 v3, v1
	s_addc_u32 s7, s7, s19
	s_load_dword s6, s[6:7], 0x0
	v_fma_f32 v4, -v1, v3, 1.0
	v_fmac_f32_e32 v3, v4, v3
	v_mul_f32_e32 v4, v5, v3
	v_fma_f32 v6, -v1, v4, v5
	v_fmac_f32_e32 v4, v6, v3
	v_fma_f32 v1, -v1, v4, v5
	v_div_fmas_f32 v3, v1, v3, v4
	s_waitcnt lgkmcnt(0)
	v_lshl_add_u32 v1, v7, 2, s6
	s_mov_b32 s6, 0
	v_div_fixup_f32 v2, v3, v2, 1.0
	v_mov_b32_e32 v3, v7
.LBB232_2070:                           ; =>This Inner Loop Header: Depth=1
	ds_read_b32 v4, v1
	v_add_nc_u32_e32 v3, 0x80, v3
	v_cmp_ge_i32_e32 vcc_lo, v3, v0
	s_or_b32 s6, vcc_lo, s6
	s_waitcnt lgkmcnt(0)
	v_mul_f32_e32 v4, v2, v4
	ds_write_b32 v1, v4
	v_add_nc_u32_e32 v1, 0x200, v1
	s_andn2_b32 exec_lo, exec_lo, s6
	s_cbranch_execnz .LBB232_2070
.LBB232_2071:
	s_or_b32 exec_lo, exec_lo, s5
	s_waitcnt lgkmcnt(0)
	s_barrier
	buffer_gl0_inv
	s_and_saveexec_b32 s5, s4
	s_xor_b32 s4, exec_lo, s5
; %bb.2072:
                                        ; implicit-def: $vgpr0
                                        ; kill: killed $vgpr0
	s_ashr_i32 s17, s16, 31
                                        ; implicit-def: $vgpr0
                                        ; kill: killed $vgpr0
                                        ; implicit-def: $vgpr0
                                        ; kill: killed $vgpr0
                                        ; implicit-def: $vgpr0
                                        ; kill: killed $vgpr0
                                        ; implicit-def: $vgpr0
                                        ; kill: killed $vgpr0
                                        ; implicit-def: $vgpr0
                                        ; kill: killed $vgpr0
                                        ; implicit-def: $vgpr0
                                        ; kill: killed $vgpr0
                                        ; implicit-def: $vgpr0_vgpr1
                                        ; kill: killed $vgpr0_vgpr1
                                        ; implicit-def: $vgpr0
                                        ; kill: killed $vgpr0
                                        ; implicit-def: $vgpr0
                                        ; kill: killed $vgpr0
	;; [unrolled: 2-line block ×3, first 2 shown]
                                        ; implicit-def: $vgpr0_vgpr1
                                        ; kill: killed $vgpr0_vgpr1
; %bb.2073:
	s_or_saveexec_b32 s15, s4
	v_mov_b32_e32 v0, s16
	v_mov_b32_e32 v8, 0
	;; [unrolled: 1-line block ×3, first 2 shown]
	v_and_b32_e32 v59, 7, v7
	v_mov_b32_e32 v26, 0
	v_mov_b32_e32 v17, 0
	v_mov_b32_e32 v18, 0
	v_mov_b32_e32 v25, 0
	v_mov_b32_e32 v33, 0
	v_mov_b32_e32 v24, 0
	v_mov_b32_e32 v23, 0
	v_mov_b32_e32 v22, 0
	v_mov_b32_e32 v21, 0
	v_mov_b32_e32 v20, 0
	v_mov_b32_e32 v19, 0
	v_mov_b32_e32 v32, 0
	v_mov_b32_e32 v16, 0
	v_mov_b32_e32 v56, 0
	v_mov_b32_e32 v47, 0
	v_mov_b32_e32 v46, 0
	v_mov_b32_e32 v45, 0
	v_mov_b32_e32 v97, 0
	v_mov_b32_e32 v38, 0
	v_mov_b32_e32 v37, 0
	v_mov_b32_e32 v36, 0
	v_mov_b32_e32 v87, 0
	v_mov_b32_e32 v69, 0
	v_mov_b32_e32 v53, 0
	v_mov_b32_e32 v50, 0
	v_mov_b32_e32 v49, 0
	v_mov_b32_e32 v48, 0
	v_mov_b32_e32 v39, 0
	v_mov_b32_e32 v51, 0
	v_mov_b32_e32 v52, 0
	v_mov_b32_e32 v54, 0
	v_mov_b32_e32 v68, 0
	v_mov_b32_e32 v55, 0
	v_mov_b32_e32 v64, 0
	v_mov_b32_e32 v67, 0
	v_mov_b32_e32 v66, 0
	v_mov_b32_e32 v65, 0
	v_mov_b32_e32 v83, 0
	v_mov_b32_e32 v82, 0
	v_mov_b32_e32 v70, 0
	v_mov_b32_e32 v71, 0
	v_mov_b32_e32 v80, 0
	v_mov_b32_e32 v81, 0
	v_mov_b32_e32 v86, 0
	v_mov_b32_e32 v85, 0
	v_mov_b32_e32 v84, 0
	v_mov_b32_e32 v100, 0
	v_mov_b32_e32 v99, 0
	v_mov_b32_e32 v98, 0
	v_mov_b32_e32 v41, 0
	v_mov_b32_e32 v103, 0
	v_mov_b32_e32 v101, 0
	v_mov_b32_e32 v102, 0
	v_mov_b32_e32 v114, 0
	v_mov_b32_e32 v115, 0
	v_mov_b32_e32 v44, 0
	v_mov_b32_e32 v43, 0
	v_mov_b32_e32 v116, 0
	v_mov_b32_e32 v117, 0
	v_mov_b32_e32 v118, 0
	v_mov_b32_e32 v119, 0
	v_mov_b32_e32 v40, 0
	v_mov_b32_e32 v35, 0
	s_xor_b32 exec_lo, exec_lo, s15
	s_cbranch_execz .LBB232_4253
; %bb.2074:
	buffer_store_dword v112, off, s[0:3], s32 offset:1920 ; 4-byte Folded Spill
	buffer_store_dword v42, off, s[0:3], s32 offset:1916 ; 4-byte Folded Spill
	;; [unrolled: 1-line block ×3, first 2 shown]
	s_clause 0x1
	buffer_load_dword v0, off, s[0:3], s32 offset:3128
	buffer_load_dword v1, off, s[0:3], s32 offset:3132
	s_ashr_i32 s17, s16, 31
	s_getpc_b64 s[4:5]
	s_add_u32 s4, s4, llvm.amdgcn.dynlds.offset.table@rel32@lo+4
	s_addc_u32 s5, s5, llvm.amdgcn.dynlds.offset.table@rel32@hi+12
	s_lshl_b64 s[6:7], s[16:17], 2
	v_mov_b32_e32 v11, 0
	s_add_u32 s4, s4, s6
	s_addc_u32 s5, s5, s7
	v_mov_b32_e32 v74, 0x80
	v_bfrev_b32_e32 v13, 1
	v_mov_b32_e32 v75, 0xffff
	v_mov_b32_e32 v15, 0x7f800001
	v_mov_b32_e32 v76, 0xff
	v_mov_b32_e32 v77, 7
	v_mov_b32_e32 v78, 24
	v_mov_b32_e32 v35, 0
	v_mov_b32_e32 v16, 0
	v_mov_b32_e32 v8, 0
	s_mov_b32 s18, 0
	s_waitcnt vmcnt(0)
	flat_load_dword v73, v[0:1]
	s_clause 0x1
	buffer_load_dword v1, off, s[0:3], s32 offset:3140
	buffer_load_dword v2, off, s[0:3], s32 offset:3120
	v_lshlrev_b32_e32 v0, 2, v7
	v_and_b32_e32 v4, 0x7c, v0
	s_waitcnt vmcnt(2) lgkmcnt(0)
	v_mov_b32_e32 v92, v73
	s_waitcnt vmcnt(0)
	v_add_co_u32 v2, vcc_lo, v1, v2
	s_clause 0x1
	buffer_load_dword v1, off, s[0:3], s32 offset:3136
	buffer_load_dword v3, off, s[0:3], s32 offset:3124
	s_waitcnt vmcnt(0)
	v_add_co_ci_u32_e64 v3, null, v1, v3, vcc_lo
	buffer_store_dword v2, off, s[0:3], s32 offset:1892 ; 4-byte Folded Spill
	buffer_store_dword v3, off, s[0:3], s32 offset:1896 ; 4-byte Folded Spill
	v_mov_b32_e32 v3, 0
	buffer_load_dword v1, off, s[0:3], s32 offset:3116 ; 4-byte Folded Reload
	buffer_store_dword v4, off, s[0:3], s32 offset:1900 ; 4-byte Folded Spill
	v_or_b32_e32 v4, 0xf80, v0
	buffer_store_dword v59, off, s[0:3], s32 offset:1924 ; 4-byte Folded Spill
	buffer_store_dword v3, off, s[0:3], s32 offset:1444 ; 4-byte Folded Spill
	v_mov_b32_e32 v3, 0
	s_load_dword s4, s[4:5], 0x0
	buffer_store_dword v4, off, s[0:3], s32 offset:1904 ; 4-byte Folded Spill
	v_lshlrev_b32_e32 v2, 4, v59
	buffer_store_dword v3, off, s[0:3], s32 offset:1452 ; 4-byte Folded Spill
	v_mov_b32_e32 v3, 0
	buffer_store_dword v3, off, s[0:3], s32 offset:1460 ; 4-byte Folded Spill
	v_mov_b32_e32 v3, 0
	;; [unrolled: 2-line block ×52, first 2 shown]
	s_waitcnt vmcnt(0)
	v_and_b32_e32 v1, 0x7c, v1
	buffer_store_dword v3, off, s[0:3], s32 offset:1848 ; 4-byte Folded Spill
	v_mov_b32_e32 v3, 0
	buffer_store_dword v3, off, s[0:3], s32 offset:1852 ; 4-byte Folded Spill
	v_mov_b32_e32 v3, 0
	;; [unrolled: 2-line block ×7, first 2 shown]
	buffer_store_dword v3, off, s[0:3], s32 offset:1876 ; 4-byte Folded Spill
	v_and_b32_e32 v3, 28, v0
	v_or_b32_e32 v0, 0x1f80, v0
	buffer_store_dword v0, off, s[0:3], s32 offset:1908 ; 4-byte Folded Spill
	s_clause 0x2
	buffer_load_dword v4, off, s[0:3], s32 offset:3108
	buffer_load_dword v5, off, s[0:3], s32 offset:3112
	;; [unrolled: 1-line block ×3, first 2 shown]
	s_waitcnt vmcnt(2)
	v_add_co_u32 v0, vcc_lo, v1, v4
	buffer_load_dword v4, off, s[0:3], s32 offset:3104 ; 4-byte Folded Reload
	s_waitcnt vmcnt(2)
	v_add_co_ci_u32_e64 v1, null, 0, v5, vcc_lo
	s_waitcnt vmcnt(0)
	v_add_co_u32 v6, vcc_lo, v4, v0
	buffer_load_dword v0, off, s[0:3], s32 offset:3100 ; 4-byte Folded Reload
	v_lshl_or_b32 v2, v93, 7, v2
	v_lshl_or_b32 v90, v93, 5, v3
	s_waitcnt lgkmcnt(0)
	v_add_nc_u32_e32 v4, s4, v2
	s_waitcnt vmcnt(0)
	v_add_co_ci_u32_e64 v7, null, v0, v1, vcc_lo
	s_branch .LBB232_2076
.LBB232_2075:                           ;   in Loop: Header=BB232_2076 Depth=1
	s_or_b32 exec_lo, exec_lo, s8
	buffer_load_dword v16, off, s[0:3], s32 offset:1444 ; 4-byte Folded Reload
	v_mul_f32_e32 v14, v3, v32
	v_mul_f32_e32 v8, v3, v8
	v_add_nc_u32_e32 v93, 4, v93
	v_add_co_u32 v6, vcc_lo, v6, 16
	v_fmac_f32_e32 v14, v2, v126
	v_fmac_f32_e32 v8, v2, v112
	v_add_co_ci_u32_e64 v7, null, 0, v7, vcc_lo
	v_add_nc_u32_e32 v90, 0x80, v90
	v_fmac_f32_e32 v14, v4, v23
	v_fmac_f32_e32 v8, v4, v103
	;; [unrolled: 1-line block ×4, first 2 shown]
	s_waitcnt vmcnt(0)
	v_add_f32_e32 v16, v16, v14
	v_mul_f32_e32 v14, v3, v125
	buffer_store_dword v16, off, s[0:3], s32 offset:1444 ; 4-byte Folded Spill
	buffer_load_dword v16, off, s[0:3], s32 offset:1452 ; 4-byte Folded Reload
	v_fmac_f32_e32 v14, v2, v124
	v_fmac_f32_e32 v14, v4, v25
	v_fmac_f32_e32 v14, v5, v24
	s_waitcnt vmcnt(0)
	v_add_f32_e32 v16, v16, v14
	v_mul_f32_e32 v14, v3, v123
	buffer_store_dword v16, off, s[0:3], s32 offset:1452 ; 4-byte Folded Spill
	buffer_load_dword v16, off, s[0:3], s32 offset:1460 ; 4-byte Folded Reload
	v_fmac_f32_e32 v14, v2, v29
	v_fmac_f32_e32 v14, v4, v122
	v_fmac_f32_e32 v14, v5, v121
	;; [unrolled: 8-line block ×6, first 2 shown]
	s_waitcnt vmcnt(0)
	v_add_f32_e32 v16, v16, v14
	v_mul_f32_e32 v14, v3, v88
	buffer_store_dword v16, off, s[0:3], s32 offset:1492 ; 4-byte Folded Spill
	v_fmac_f32_e32 v14, v2, v9
	s_clause 0x1
	buffer_load_dword v9, off, s[0:3], s32 offset:1500
	buffer_load_dword v16, off, s[0:3], s32 offset:1880
	v_fmac_f32_e32 v14, v4, v72
	v_fmac_f32_e32 v14, v5, v63
	s_waitcnt vmcnt(1)
	v_add_f32_e32 v9, v9, v14
	buffer_load_dword v14, off, s[0:3], s32 offset:1508 ; 4-byte Folded Reload
	buffer_store_dword v9, off, s[0:3], s32 offset:1500 ; 4-byte Folded Spill
	v_mul_f32_e32 v9, v3, v62
	v_fmac_f32_e32 v9, v2, v61
	v_fmac_f32_e32 v9, v4, v60
	v_fmac_f32_e32 v9, v5, v59
	s_waitcnt vmcnt(0)
	v_add_f32_e32 v14, v14, v9
	v_mul_f32_e32 v9, v3, v58
	buffer_store_dword v14, off, s[0:3], s32 offset:1508 ; 4-byte Folded Spill
	buffer_load_dword v14, off, s[0:3], s32 offset:1516 ; 4-byte Folded Reload
	v_fmac_f32_e32 v9, v2, v57
	v_fmac_f32_e32 v9, v4, v56
	v_fmac_f32_e32 v9, v5, v46
	s_waitcnt vmcnt(0)
	v_add_f32_e32 v14, v14, v9
	v_mul_f32_e32 v9, v3, v45
	buffer_store_dword v14, off, s[0:3], s32 offset:1516 ; 4-byte Folded Spill
	buffer_load_dword v14, off, s[0:3], s32 offset:1524 ; 4-byte Folded Reload
	;; [unrolled: 8-line block ×5, first 2 shown]
	v_fmac_f32_e32 v9, v2, v113
	v_fmac_f32_e32 v9, v4, v127
	;; [unrolled: 1-line block ×3, first 2 shown]
	s_waitcnt vmcnt(0)
	v_add_f32_e32 v14, v14, v9
	buffer_load_dword v9, off, s[0:3], s32 offset:1556 ; 4-byte Folded Reload
	buffer_store_dword v14, off, s[0:3], s32 offset:1548 ; 4-byte Folded Spill
	s_waitcnt vmcnt(0)
	v_add_f32_e32 v9, v9, v8
	v_mul_f32_e32 v8, v3, v101
	buffer_store_dword v9, off, s[0:3], s32 offset:1556 ; 4-byte Folded Spill
	buffer_load_dword v9, off, s[0:3], s32 offset:1564 ; 4-byte Folded Reload
	v_fmac_f32_e32 v8, v2, v100
	v_fmac_f32_e32 v8, v4, v99
	v_fmac_f32_e32 v8, v5, v98
	s_waitcnt vmcnt(0)
	v_add_f32_e32 v9, v9, v8
	v_mul_f32_e32 v8, v3, v97
	buffer_store_dword v9, off, s[0:3], s32 offset:1564 ; 4-byte Folded Spill
	buffer_load_dword v9, off, s[0:3], s32 offset:1572 ; 4-byte Folded Reload
	v_fmac_f32_e32 v8, v2, v96
	v_fmac_f32_e32 v8, v4, v27
	v_fmac_f32_e32 v8, v5, v26
	;; [unrolled: 8-line block ×9, first 2 shown]
	s_waitcnt vmcnt(0)
	v_add_f32_e32 v9, v9, v8
	buffer_load_dword v8, off, s[0:3], s32 offset:1436 ; 4-byte Folded Reload
	buffer_store_dword v9, off, s[0:3], s32 offset:1628 ; 4-byte Folded Spill
	buffer_load_dword v9, off, s[0:3], s32 offset:1428 ; 4-byte Folded Reload
	s_waitcnt vmcnt(1)
	v_mul_f32_e32 v8, v3, v8
	s_waitcnt vmcnt(0)
	v_fmac_f32_e32 v8, v2, v9
	buffer_load_dword v9, off, s[0:3], s32 offset:1420 ; 4-byte Folded Reload
	s_waitcnt vmcnt(0)
	v_fmac_f32_e32 v8, v4, v9
	buffer_load_dword v9, off, s[0:3], s32 offset:1412 ; 4-byte Folded Reload
	s_waitcnt vmcnt(0)
	v_fmac_f32_e32 v8, v5, v9
	buffer_load_dword v9, off, s[0:3], s32 offset:1636 ; 4-byte Folded Reload
	s_waitcnt vmcnt(0)
	v_add_f32_e32 v9, v9, v8
	buffer_load_dword v8, off, s[0:3], s32 offset:1404 ; 4-byte Folded Reload
	buffer_store_dword v9, off, s[0:3], s32 offset:1636 ; 4-byte Folded Spill
	buffer_load_dword v9, off, s[0:3], s32 offset:1396 ; 4-byte Folded Reload
	s_waitcnt vmcnt(1)
	v_mul_f32_e32 v8, v3, v8
	s_waitcnt vmcnt(0)
	v_fmac_f32_e32 v8, v2, v9
	buffer_load_dword v9, off, s[0:3], s32 offset:1388 ; 4-byte Folded Reload
	s_waitcnt vmcnt(0)
	v_fmac_f32_e32 v8, v4, v9
	buffer_load_dword v9, off, s[0:3], s32 offset:1380 ; 4-byte Folded Reload
	s_waitcnt vmcnt(0)
	v_fmac_f32_e32 v8, v5, v9
	buffer_load_dword v9, off, s[0:3], s32 offset:1644 ; 4-byte Folded Reload
	;; [unrolled: 16-line block ×26, first 2 shown]
	v_add_f32_e32 v16, v16, v8
	buffer_load_dword v8, off, s[0:3], s32 offset:604 ; 4-byte Folded Reload
	s_waitcnt vmcnt(0)
	v_mul_f32_e32 v8, v3, v8
	v_fmac_f32_e32 v8, v2, v9
	buffer_load_dword v9, off, s[0:3], s32 offset:588 ; 4-byte Folded Reload
	s_waitcnt vmcnt(0)
	v_fmac_f32_e32 v8, v4, v9
	buffer_load_dword v9, off, s[0:3], s32 offset:580 ; 4-byte Folded Reload
	s_waitcnt vmcnt(0)
	v_fmac_f32_e32 v8, v5, v9
	buffer_load_dword v9, off, s[0:3], s32 offset:1832 ; 4-byte Folded Reload
	s_waitcnt vmcnt(0)
	v_add_f32_e32 v9, v9, v8
	buffer_load_dword v8, off, s[0:3], s32 offset:572 ; 4-byte Folded Reload
	buffer_store_dword v9, off, s[0:3], s32 offset:1832 ; 4-byte Folded Spill
	buffer_load_dword v9, off, s[0:3], s32 offset:564 ; 4-byte Folded Reload
	s_waitcnt vmcnt(1)
	v_mul_f32_e32 v8, v3, v8
	s_waitcnt vmcnt(0)
	v_fmac_f32_e32 v8, v2, v9
	buffer_load_dword v9, off, s[0:3], s32 offset:556 ; 4-byte Folded Reload
	s_waitcnt vmcnt(0)
	v_fmac_f32_e32 v8, v4, v9
	buffer_load_dword v9, off, s[0:3], s32 offset:548 ; 4-byte Folded Reload
	s_waitcnt vmcnt(0)
	v_fmac_f32_e32 v8, v5, v9
	buffer_load_dword v9, off, s[0:3], s32 offset:1836 ; 4-byte Folded Reload
	s_waitcnt vmcnt(0)
	v_add_f32_e32 v9, v9, v8
	buffer_load_dword v8, off, s[0:3], s32 offset:540 ; 4-byte Folded Reload
	buffer_store_dword v9, off, s[0:3], s32 offset:1836 ; 4-byte Folded Spill
	buffer_load_dword v9, off, s[0:3], s32 offset:532 ; 4-byte Folded Reload
	s_waitcnt vmcnt(1)
	v_mul_f32_e32 v8, v3, v8
	s_waitcnt vmcnt(0)
	v_fmac_f32_e32 v8, v2, v9
	buffer_load_dword v9, off, s[0:3], s32 offset:524 ; 4-byte Folded Reload
	s_waitcnt vmcnt(0)
	v_fmac_f32_e32 v8, v4, v9
	buffer_load_dword v9, off, s[0:3], s32 offset:516 ; 4-byte Folded Reload
	s_waitcnt vmcnt(0)
	v_fmac_f32_e32 v8, v5, v9
	buffer_load_dword v9, off, s[0:3], s32 offset:1840 ; 4-byte Folded Reload
	s_waitcnt vmcnt(0)
	v_add_f32_e32 v9, v9, v8
	buffer_load_dword v8, off, s[0:3], s32 offset:508 ; 4-byte Folded Reload
	buffer_store_dword v9, off, s[0:3], s32 offset:1840 ; 4-byte Folded Spill
	buffer_load_dword v9, off, s[0:3], s32 offset:500 ; 4-byte Folded Reload
	s_waitcnt vmcnt(1)
	v_mul_f32_e32 v8, v3, v8
	s_waitcnt vmcnt(0)
	v_fmac_f32_e32 v8, v2, v9
	buffer_load_dword v9, off, s[0:3], s32 offset:492 ; 4-byte Folded Reload
	s_waitcnt vmcnt(0)
	v_fmac_f32_e32 v8, v4, v9
	buffer_load_dword v9, off, s[0:3], s32 offset:484 ; 4-byte Folded Reload
	s_waitcnt vmcnt(0)
	v_fmac_f32_e32 v8, v5, v9
	buffer_load_dword v9, off, s[0:3], s32 offset:1844 ; 4-byte Folded Reload
	s_waitcnt vmcnt(0)
	v_add_f32_e32 v9, v9, v8
	buffer_load_dword v8, off, s[0:3], s32 offset:476 ; 4-byte Folded Reload
	buffer_store_dword v9, off, s[0:3], s32 offset:1844 ; 4-byte Folded Spill
	buffer_load_dword v9, off, s[0:3], s32 offset:468 ; 4-byte Folded Reload
	s_waitcnt vmcnt(1)
	v_mul_f32_e32 v8, v3, v8
	s_waitcnt vmcnt(0)
	v_fmac_f32_e32 v8, v2, v9
	buffer_load_dword v9, off, s[0:3], s32 offset:460 ; 4-byte Folded Reload
	s_waitcnt vmcnt(0)
	v_fmac_f32_e32 v8, v4, v9
	buffer_load_dword v9, off, s[0:3], s32 offset:452 ; 4-byte Folded Reload
	s_waitcnt vmcnt(0)
	v_fmac_f32_e32 v8, v5, v9
	buffer_load_dword v9, off, s[0:3], s32 offset:1848 ; 4-byte Folded Reload
	s_waitcnt vmcnt(0)
	v_add_f32_e32 v9, v9, v8
	buffer_load_dword v8, off, s[0:3], s32 offset:436 ; 4-byte Folded Reload
	buffer_store_dword v9, off, s[0:3], s32 offset:1848 ; 4-byte Folded Spill
	buffer_load_dword v9, off, s[0:3], s32 offset:444 ; 4-byte Folded Reload
	s_waitcnt vmcnt(1)
	v_mul_f32_e32 v8, v3, v8
	s_waitcnt vmcnt(0)
	v_fmac_f32_e32 v8, v2, v9
	buffer_load_dword v9, off, s[0:3], s32 offset:428 ; 4-byte Folded Reload
	s_waitcnt vmcnt(0)
	v_fmac_f32_e32 v8, v4, v9
	buffer_load_dword v9, off, s[0:3], s32 offset:420 ; 4-byte Folded Reload
	s_waitcnt vmcnt(0)
	v_fmac_f32_e32 v8, v5, v9
	buffer_load_dword v9, off, s[0:3], s32 offset:1852 ; 4-byte Folded Reload
	s_waitcnt vmcnt(0)
	v_add_f32_e32 v9, v9, v8
	buffer_load_dword v8, off, s[0:3], s32 offset:404 ; 4-byte Folded Reload
	buffer_store_dword v9, off, s[0:3], s32 offset:1852 ; 4-byte Folded Spill
	buffer_load_dword v9, off, s[0:3], s32 offset:412 ; 4-byte Folded Reload
	s_waitcnt vmcnt(1)
	v_mul_f32_e32 v8, v3, v8
	s_waitcnt vmcnt(0)
	v_fmac_f32_e32 v8, v2, v9
	buffer_load_dword v9, off, s[0:3], s32 offset:396 ; 4-byte Folded Reload
	s_waitcnt vmcnt(0)
	v_fmac_f32_e32 v8, v4, v9
	buffer_load_dword v9, off, s[0:3], s32 offset:388 ; 4-byte Folded Reload
	s_waitcnt vmcnt(0)
	v_fmac_f32_e32 v8, v5, v9
	buffer_load_dword v9, off, s[0:3], s32 offset:1856 ; 4-byte Folded Reload
	s_waitcnt vmcnt(0)
	v_add_f32_e32 v9, v9, v8
	buffer_load_dword v8, off, s[0:3], s32 offset:372 ; 4-byte Folded Reload
	buffer_store_dword v9, off, s[0:3], s32 offset:1856 ; 4-byte Folded Spill
	buffer_load_dword v9, off, s[0:3], s32 offset:380 ; 4-byte Folded Reload
	s_waitcnt vmcnt(1)
	v_mul_f32_e32 v8, v3, v8
	s_waitcnt vmcnt(0)
	v_fmac_f32_e32 v8, v2, v9
	buffer_load_dword v9, off, s[0:3], s32 offset:364 ; 4-byte Folded Reload
	s_waitcnt vmcnt(0)
	v_fmac_f32_e32 v8, v4, v9
	buffer_load_dword v9, off, s[0:3], s32 offset:356 ; 4-byte Folded Reload
	s_waitcnt vmcnt(0)
	v_fmac_f32_e32 v8, v5, v9
	buffer_load_dword v9, off, s[0:3], s32 offset:1860 ; 4-byte Folded Reload
	s_waitcnt vmcnt(0)
	v_add_f32_e32 v9, v9, v8
	buffer_load_dword v8, off, s[0:3], s32 offset:348 ; 4-byte Folded Reload
	buffer_store_dword v9, off, s[0:3], s32 offset:1860 ; 4-byte Folded Spill
	buffer_load_dword v9, off, s[0:3], s32 offset:340 ; 4-byte Folded Reload
	s_waitcnt vmcnt(1)
	v_mul_f32_e32 v8, v3, v8
	s_waitcnt vmcnt(0)
	v_fmac_f32_e32 v8, v2, v9
	buffer_load_dword v9, off, s[0:3], s32 offset:332 ; 4-byte Folded Reload
	s_waitcnt vmcnt(0)
	v_fmac_f32_e32 v8, v4, v9
	buffer_load_dword v9, off, s[0:3], s32 offset:324 ; 4-byte Folded Reload
	s_waitcnt vmcnt(0)
	v_fmac_f32_e32 v8, v5, v9
	buffer_load_dword v9, off, s[0:3], s32 offset:1864 ; 4-byte Folded Reload
	s_waitcnt vmcnt(0)
	v_add_f32_e32 v9, v9, v8
	buffer_load_dword v8, off, s[0:3], s32 offset:316 ; 4-byte Folded Reload
	buffer_store_dword v9, off, s[0:3], s32 offset:1864 ; 4-byte Folded Spill
	buffer_load_dword v9, off, s[0:3], s32 offset:308 ; 4-byte Folded Reload
	s_waitcnt vmcnt(1)
	v_mul_f32_e32 v8, v3, v8
	s_waitcnt vmcnt(0)
	v_fmac_f32_e32 v8, v2, v9
	buffer_load_dword v9, off, s[0:3], s32 offset:300 ; 4-byte Folded Reload
	s_waitcnt vmcnt(0)
	v_fmac_f32_e32 v8, v4, v9
	buffer_load_dword v9, off, s[0:3], s32 offset:292 ; 4-byte Folded Reload
	s_waitcnt vmcnt(0)
	v_fmac_f32_e32 v8, v5, v9
	buffer_load_dword v9, off, s[0:3], s32 offset:1868 ; 4-byte Folded Reload
	s_waitcnt vmcnt(0)
	v_add_f32_e32 v9, v9, v8
	buffer_load_dword v8, off, s[0:3], s32 offset:276 ; 4-byte Folded Reload
	buffer_store_dword v9, off, s[0:3], s32 offset:1868 ; 4-byte Folded Spill
	buffer_load_dword v9, off, s[0:3], s32 offset:284 ; 4-byte Folded Reload
	s_waitcnt vmcnt(1)
	v_mul_f32_e32 v8, v3, v8
	s_waitcnt vmcnt(0)
	v_fmac_f32_e32 v8, v2, v9
	buffer_load_dword v9, off, s[0:3], s32 offset:268 ; 4-byte Folded Reload
	s_waitcnt vmcnt(0)
	v_fmac_f32_e32 v8, v4, v9
	buffer_load_dword v9, off, s[0:3], s32 offset:260 ; 4-byte Folded Reload
	s_waitcnt vmcnt(0)
	v_fmac_f32_e32 v8, v5, v9
	buffer_load_dword v9, off, s[0:3], s32 offset:1872 ; 4-byte Folded Reload
	s_waitcnt vmcnt(0)
	v_add_f32_e32 v9, v9, v8
	buffer_load_dword v8, off, s[0:3], s32 offset:244 ; 4-byte Folded Reload
	buffer_store_dword v9, off, s[0:3], s32 offset:1872 ; 4-byte Folded Spill
	buffer_load_dword v9, off, s[0:3], s32 offset:252 ; 4-byte Folded Reload
	s_waitcnt vmcnt(1)
	v_mul_f32_e32 v8, v3, v8
	s_waitcnt vmcnt(0)
	v_fmac_f32_e32 v8, v2, v9
	buffer_load_dword v9, off, s[0:3], s32 offset:236 ; 4-byte Folded Reload
	s_waitcnt vmcnt(0)
	v_fmac_f32_e32 v8, v4, v9
	buffer_load_dword v9, off, s[0:3], s32 offset:228 ; 4-byte Folded Reload
	s_waitcnt vmcnt(0)
	;; [unrolled: 3-line block ×3, first 2 shown]
	v_add_f32_e32 v9, v9, v8
	buffer_load_dword v8, off, s[0:3], s32 offset:212 ; 4-byte Folded Reload
	buffer_store_dword v9, off, s[0:3], s32 offset:1876 ; 4-byte Folded Spill
	buffer_load_dword v9, off, s[0:3], s32 offset:220 ; 4-byte Folded Reload
	s_waitcnt vmcnt(1)
	v_mul_f32_e32 v8, v3, v8
	v_mul_f32_e32 v3, v3, v12
	s_waitcnt vmcnt(0)
	v_fmac_f32_e32 v8, v2, v9
	buffer_load_dword v9, off, s[0:3], s32 offset:204 ; 4-byte Folded Reload
	v_fmac_f32_e32 v3, v2, v10
	v_fmac_f32_e32 v3, v4, v1
	;; [unrolled: 1-line block ×3, first 2 shown]
	v_add_f32_e32 v35, v35, v3
	s_waitcnt vmcnt(0)
	v_fmac_f32_e32 v8, v4, v9
	s_clause 0x2
	buffer_load_dword v9, off, s[0:3], s32 offset:196
	buffer_load_dword v4, off, s[0:3], s32 offset:1888
	;; [unrolled: 1-line block ×3, first 2 shown]
	s_waitcnt vmcnt(2)
	v_fmac_f32_e32 v8, v5, v9
	buffer_load_dword v9, off, s[0:3], s32 offset:1884 ; 4-byte Folded Reload
	s_waitcnt vmcnt(1)
	v_cmp_ge_i32_e32 vcc_lo, v93, v0
	v_add_nc_u32_e32 v4, 0x200, v4
	s_or_b32 s18, vcc_lo, s18
	s_waitcnt vmcnt(0)
	v_add_f32_e32 v8, v9, v8
	s_andn2_b32 exec_lo, exec_lo, s18
	s_cbranch_execz .LBB232_4252
.LBB232_2076:                           ; =>This Inner Loop Header: Depth=1
	buffer_store_dword v8, off, s[0:3], s32 offset:1884 ; 4-byte Folded Spill
	buffer_store_dword v16, off, s[0:3], s32 offset:1880 ; 4-byte Folded Spill
	flat_load_dword v0, v[6:7]
	s_clause 0x2
	buffer_load_dword v1, off, s[0:3], s32 offset:1808
	buffer_load_dword v2, off, s[0:3], s32 offset:1892
	;; [unrolled: 1-line block ×3, first 2 shown]
	buffer_store_dword v4, off, s[0:3], s32 offset:1888 ; 4-byte Folded Spill
	v_mov_b32_e32 v20, 0
	v_mov_b32_e32 v18, 0
	;; [unrolled: 1-line block ×4, first 2 shown]
	s_waitcnt vmcnt(0) lgkmcnt(0)
	v_mad_i64_i32 v[0:1], null, v0, v1, v[2:3]
	buffer_load_dword v2, off, s[0:3], s32 offset:1900 ; 4-byte Folded Reload
	s_waitcnt vmcnt(0)
	v_add_co_u32 v16, vcc_lo, v0, v2
	v_add_co_ci_u32_e64 v17, null, 0, v1, vcc_lo
	ds_read_b128 v[2:5], v4
	flat_load_dword v8, v[16:17]
	s_waitcnt vmcnt(0) lgkmcnt(0)
	v_cmp_ne_u16_sdwa s5, v8, v11 src0_sel:BYTE_0 src1_sel:DWORD
	s_and_saveexec_b32 s4, s5
	s_cbranch_execz .LBB232_2084
; %bb.2077:                             ;   in Loop: Header=BB232_2076 Depth=1
	v_bfrev_b32_e32 v18, 1
	v_mov_b32_e32 v19, 0
	v_cmp_ne_u16_sdwa s6, v8, v74 src0_sel:BYTE_0 src1_sel:DWORD
	s_and_saveexec_b32 s5, s6
	s_cbranch_execz .LBB232_2083
; %bb.2078:                             ;   in Loop: Header=BB232_2076 Depth=1
	v_mov_b32_e32 v18, 0x7f800001
	v_and_b32_e32 v12, 0x7f, v8
	v_mov_b32_e32 v19, 0
	s_mov_b32 s6, exec_lo
	v_cmpx_ne_u32_e32 0x7f, v12
	s_cbranch_execz .LBB232_2082
; %bb.2079:                             ;   in Loop: Header=BB232_2076 Depth=1
	v_and_b32_e32 v10, 7, v8
	v_lshrrev_b32_e32 v9, 3, v12
	s_mov_b32 s7, exec_lo
	v_cmpx_gt_u32_e32 8, v12
; %bb.2080:                             ;   in Loop: Header=BB232_2076 Depth=1
	v_ffbh_u32_e32 v9, v10
	v_min_u32_e32 v9, 32, v9
	v_subrev_nc_u32_e32 v12, 28, v9
	v_sub_nc_u32_e32 v9, 29, v9
	v_lshlrev_b64 v[18:19], v12, v[10:11]
	v_and_b32_e32 v10, 7, v18
; %bb.2081:                             ;   in Loop: Header=BB232_2076 Depth=1
	s_or_b32 exec_lo, exec_lo, s7
	v_lshlrev_b32_e32 v12, 24, v8
	v_lshlrev_b32_e32 v10, 20, v10
	v_lshl_add_u32 v9, v9, 23, 0x3c000000
	v_and_b32_e32 v12, 0x80000000, v12
	v_or3_b32 v10, v10, v12, v9
	v_mov_b32_e32 v19, v11
	v_mov_b32_e32 v18, v10
.LBB232_2082:                           ;   in Loop: Header=BB232_2076 Depth=1
	s_or_b32 exec_lo, exec_lo, s6
.LBB232_2083:                           ;   in Loop: Header=BB232_2076 Depth=1
	s_or_b32 exec_lo, exec_lo, s5
.LBB232_2084:                           ;   in Loop: Header=BB232_2076 Depth=1
	s_or_b32 exec_lo, exec_lo, s4
	v_cmp_ne_u16_sdwa s5, v8, v11 src0_sel:BYTE_1 src1_sel:DWORD
	s_and_saveexec_b32 s4, s5
	s_cbranch_execz .LBB232_2092
; %bb.2085:                             ;   in Loop: Header=BB232_2076 Depth=1
	v_mov_b32_e32 v12, v11
	v_mov_b32_e32 v21, v13
	v_cmp_ne_u16_sdwa s6, v8, v74 src0_sel:BYTE_1 src1_sel:DWORD
	v_mov_b32_e32 v20, v12
	s_and_saveexec_b32 s5, s6
	s_cbranch_execz .LBB232_2091
; %bb.2086:                             ;   in Loop: Header=BB232_2076 Depth=1
	v_and_b32_sdwa v9, v75, v8 dst_sel:DWORD dst_unused:UNUSED_PAD src0_sel:DWORD src1_sel:BYTE_1
	v_mov_b32_e32 v14, v11
	v_mov_b32_e32 v21, v15
	s_mov_b32 s6, exec_lo
	v_and_b32_e32 v12, 0x7f, v9
	v_mov_b32_e32 v20, v14
	v_cmpx_ne_u32_e32 0x7f, v12
	s_cbranch_execz .LBB232_2090
; %bb.2087:                             ;   in Loop: Header=BB232_2076 Depth=1
	v_and_b32_e32 v10, 7, v9
	v_lshrrev_b32_e32 v9, 3, v12
	s_mov_b32 s7, exec_lo
	v_cmpx_gt_u32_e32 8, v12
; %bb.2088:                             ;   in Loop: Header=BB232_2076 Depth=1
	v_ffbh_u32_e32 v9, v10
	v_min_u32_e32 v9, 32, v9
	v_subrev_nc_u32_e32 v12, 28, v9
	v_sub_nc_u32_e32 v9, 29, v9
	v_lshlrev_b64 v[20:21], v12, v[10:11]
	v_and_b32_e32 v10, 7, v20
; %bb.2089:                             ;   in Loop: Header=BB232_2076 Depth=1
	s_or_b32 exec_lo, exec_lo, s7
	v_lshlrev_b32_e32 v12, 16, v8
	v_lshlrev_b32_e32 v10, 20, v10
	v_lshl_add_u32 v9, v9, 23, 0x3c000000
	v_mov_b32_e32 v20, v11
	v_and_b32_e32 v12, 0x80000000, v12
	v_or3_b32 v21, v10, v12, v9
.LBB232_2090:                           ;   in Loop: Header=BB232_2076 Depth=1
	s_or_b32 exec_lo, exec_lo, s6
.LBB232_2091:                           ;   in Loop: Header=BB232_2076 Depth=1
	s_or_b32 exec_lo, exec_lo, s5
.LBB232_2092:                           ;   in Loop: Header=BB232_2076 Depth=1
	s_or_b32 exec_lo, exec_lo, s4
	v_mov_b32_e32 v24, 0
	v_mov_b32_e32 v22, 0
	v_and_b32_sdwa v9, v8, v76 dst_sel:DWORD dst_unused:UNUSED_PAD src0_sel:WORD_1 src1_sel:DWORD
	v_mov_b32_e32 v25, 0
	v_mov_b32_e32 v23, 0
	s_mov_b32 s4, exec_lo
	v_cmpx_ne_u16_e32 0, v9
	s_cbranch_execz .LBB232_2100
; %bb.2093:                             ;   in Loop: Header=BB232_2076 Depth=1
	v_bfrev_b32_e32 v22, 1
	v_mov_b32_e32 v23, 0
	s_mov_b32 s5, exec_lo
	v_cmpx_ne_u16_e32 0x80, v9
	s_cbranch_execz .LBB232_2099
; %bb.2094:                             ;   in Loop: Header=BB232_2076 Depth=1
	v_mov_b32_e32 v22, 0x7f800001
	v_bfe_u32 v12, v8, 16, 7
	v_mov_b32_e32 v23, 0
	s_mov_b32 s6, exec_lo
	v_cmpx_ne_u32_e32 0x7f, v12
	s_cbranch_execz .LBB232_2098
; %bb.2095:                             ;   in Loop: Header=BB232_2076 Depth=1
	v_and_b32_sdwa v10, v8, v77 dst_sel:DWORD dst_unused:UNUSED_PAD src0_sel:WORD_1 src1_sel:DWORD
	v_lshrrev_b32_e32 v9, 3, v12
	s_mov_b32 s7, exec_lo
	v_cmpx_gt_u32_e32 8, v12
; %bb.2096:                             ;   in Loop: Header=BB232_2076 Depth=1
	v_ffbh_u32_e32 v9, v10
	v_min_u32_e32 v9, 32, v9
	v_subrev_nc_u32_e32 v12, 28, v9
	v_sub_nc_u32_e32 v9, 29, v9
	v_lshlrev_b64 v[22:23], v12, v[10:11]
	v_and_b32_e32 v10, 7, v22
; %bb.2097:                             ;   in Loop: Header=BB232_2076 Depth=1
	s_or_b32 exec_lo, exec_lo, s7
	v_lshlrev_b32_sdwa v12, v78, v8 dst_sel:DWORD dst_unused:UNUSED_PAD src0_sel:DWORD src1_sel:WORD_1
	v_lshlrev_b32_e32 v10, 20, v10
	v_lshl_add_u32 v9, v9, 23, 0x3c000000
	v_and_b32_e32 v12, 0x80000000, v12
	v_or3_b32 v10, v10, v12, v9
	v_mov_b32_e32 v23, v11
	v_mov_b32_e32 v22, v10
.LBB232_2098:                           ;   in Loop: Header=BB232_2076 Depth=1
	s_or_b32 exec_lo, exec_lo, s6
.LBB232_2099:                           ;   in Loop: Header=BB232_2076 Depth=1
	s_or_b32 exec_lo, exec_lo, s5
.LBB232_2100:                           ;   in Loop: Header=BB232_2076 Depth=1
	s_or_b32 exec_lo, exec_lo, s4
	s_mov_b32 s4, exec_lo
	v_cmpx_lt_u32_e32 0xffffff, v8
	s_cbranch_execz .LBB232_2108
; %bb.2101:                             ;   in Loop: Header=BB232_2076 Depth=1
	v_mov_b32_e32 v12, v11
	v_mov_b32_e32 v25, v13
	v_cmp_ne_u32_sdwa s6, v8, v74 src0_sel:BYTE_3 src1_sel:DWORD
	v_mov_b32_e32 v24, v12
	s_and_saveexec_b32 s5, s6
	s_cbranch_execz .LBB232_2107
; %bb.2102:                             ;   in Loop: Header=BB232_2076 Depth=1
	v_mov_b32_e32 v14, v11
	v_mov_b32_e32 v25, v15
	v_bfe_u32 v12, v8, 24, 7
	s_mov_b32 s6, exec_lo
	v_mov_b32_e32 v24, v14
	v_cmpx_ne_u32_e32 0x7f, v12
	s_cbranch_execz .LBB232_2106
; %bb.2103:                             ;   in Loop: Header=BB232_2076 Depth=1
	v_and_b32_sdwa v10, v8, v77 dst_sel:DWORD dst_unused:UNUSED_PAD src0_sel:BYTE_3 src1_sel:DWORD
	v_lshrrev_b32_e32 v9, 3, v12
	s_mov_b32 s7, exec_lo
	v_cmpx_gt_u32_e32 8, v12
; %bb.2104:                             ;   in Loop: Header=BB232_2076 Depth=1
	v_ffbh_u32_e32 v9, v10
	v_min_u32_e32 v9, 32, v9
	v_subrev_nc_u32_e32 v12, 28, v9
	v_sub_nc_u32_e32 v9, 29, v9
	v_lshlrev_b64 v[24:25], v12, v[10:11]
	v_and_b32_e32 v10, 7, v24
; %bb.2105:                             ;   in Loop: Header=BB232_2076 Depth=1
	s_or_b32 exec_lo, exec_lo, s7
	v_lshlrev_b32_sdwa v8, v78, v8 dst_sel:DWORD dst_unused:UNUSED_PAD src0_sel:DWORD src1_sel:BYTE_3
	v_lshlrev_b32_e32 v10, 20, v10
	v_lshl_add_u32 v9, v9, 23, 0x3c000000
	v_mov_b32_e32 v24, v11
	v_and_b32_e32 v8, 0x80000000, v8
	v_or3_b32 v25, v10, v8, v9
.LBB232_2106:                           ;   in Loop: Header=BB232_2076 Depth=1
	s_or_b32 exec_lo, exec_lo, s6
.LBB232_2107:                           ;   in Loop: Header=BB232_2076 Depth=1
	s_or_b32 exec_lo, exec_lo, s5
.LBB232_2108:                           ;   in Loop: Header=BB232_2076 Depth=1
	s_or_b32 exec_lo, exec_lo, s4
	s_clause 0x1
	buffer_load_dword v8, off, s[0:3], s32 offset:192
	buffer_load_dword v26, off, s[0:3], s32 offset:1804
	v_add_nc_u32_e32 v9, 1, v90
	v_add_nc_u32_e32 v10, 2, v90
	v_or_b32_e32 v12, v24, v22
	v_or_b32_e32 v14, v25, v23
	s_waitcnt vmcnt(1)
	v_add_nc_u32_e32 v8, -1, v8
	s_waitcnt vmcnt(0)
	v_cmp_lt_i32_e64 s4, v9, v26
	v_or_b32_e32 v9, v21, v19
	v_cmp_lt_i32_e64 s5, v10, v26
	v_or_b32_e32 v10, v20, v18
	v_cmp_eq_u32_e64 s6, v8, v93
	v_add_nc_u32_e32 v8, 3, v90
	v_cmp_lt_i32_e32 vcc_lo, v90, v26
	v_cmp_lt_i32_e64 s7, v8, v26
	v_mul_f32_e32 v8, v92, v9
	buffer_store_dword v8, off, s[0:3], s32 offset:212 ; 4-byte Folded Spill
	v_mul_f32_e32 v8, v73, v10
	buffer_store_dword v8, off, s[0:3], s32 offset:220 ; 4-byte Folded Spill
	;; [unrolled: 2-line block ×4, first 2 shown]
	s_and_saveexec_b32 s8, s6
	s_cbranch_execz .LBB232_2110
; %bb.2109:                             ;   in Loop: Header=BB232_2076 Depth=1
	buffer_load_dword v8, off, s[0:3], s32 offset:220 ; 4-byte Folded Reload
	s_waitcnt vmcnt(0)
	v_cndmask_b32_e32 v8, 0, v8, vcc_lo
	buffer_store_dword v8, off, s[0:3], s32 offset:220 ; 4-byte Folded Spill
	buffer_load_dword v8, off, s[0:3], s32 offset:212 ; 4-byte Folded Reload
	s_waitcnt vmcnt(0)
	v_cndmask_b32_e64 v8, 0, v8, s4
	buffer_store_dword v8, off, s[0:3], s32 offset:212 ; 4-byte Folded Spill
	buffer_load_dword v8, off, s[0:3], s32 offset:204 ; 4-byte Folded Reload
	s_waitcnt vmcnt(0)
	v_cndmask_b32_e64 v8, 0, v8, s5
	;; [unrolled: 4-line block ×3, first 2 shown]
	buffer_store_dword v8, off, s[0:3], s32 offset:196 ; 4-byte Folded Spill
.LBB232_2110:                           ;   in Loop: Header=BB232_2076 Depth=1
	s_or_b32 exec_lo, exec_lo, s8
	flat_load_dword v8, v[16:17] offset:128
	v_mov_b32_e32 v20, 0
	v_mov_b32_e32 v18, 0
	;; [unrolled: 1-line block ×4, first 2 shown]
	s_waitcnt vmcnt(0) lgkmcnt(0)
	v_cmp_ne_u16_sdwa s8, v8, v11 src0_sel:BYTE_0 src1_sel:DWORD
	s_and_saveexec_b32 s19, s8
	s_cbranch_execz .LBB232_2118
; %bb.2111:                             ;   in Loop: Header=BB232_2076 Depth=1
	v_bfrev_b32_e32 v18, 1
	v_mov_b32_e32 v19, 0
	v_cmp_ne_u16_sdwa s8, v8, v74 src0_sel:BYTE_0 src1_sel:DWORD
	s_and_saveexec_b32 s20, s8
	s_cbranch_execz .LBB232_2117
; %bb.2112:                             ;   in Loop: Header=BB232_2076 Depth=1
	v_mov_b32_e32 v18, 0x7f800001
	v_and_b32_e32 v12, 0x7f, v8
	v_mov_b32_e32 v19, 0
	s_mov_b32 s21, exec_lo
	v_cmpx_ne_u32_e32 0x7f, v12
	s_cbranch_execz .LBB232_2116
; %bb.2113:                             ;   in Loop: Header=BB232_2076 Depth=1
	v_and_b32_e32 v10, 7, v8
	v_lshrrev_b32_e32 v9, 3, v12
	s_mov_b32 s22, exec_lo
	v_cmpx_gt_u32_e32 8, v12
; %bb.2114:                             ;   in Loop: Header=BB232_2076 Depth=1
	v_ffbh_u32_e32 v9, v10
	v_min_u32_e32 v9, 32, v9
	v_subrev_nc_u32_e32 v12, 28, v9
	v_sub_nc_u32_e32 v9, 29, v9
	v_lshlrev_b64 v[18:19], v12, v[10:11]
	v_and_b32_e32 v10, 7, v18
; %bb.2115:                             ;   in Loop: Header=BB232_2076 Depth=1
	s_or_b32 exec_lo, exec_lo, s22
	v_lshlrev_b32_e32 v12, 24, v8
	v_lshlrev_b32_e32 v10, 20, v10
	v_lshl_add_u32 v9, v9, 23, 0x3c000000
	v_and_b32_e32 v12, 0x80000000, v12
	v_or3_b32 v10, v10, v12, v9
	v_mov_b32_e32 v19, v11
	v_mov_b32_e32 v18, v10
.LBB232_2116:                           ;   in Loop: Header=BB232_2076 Depth=1
	s_or_b32 exec_lo, exec_lo, s21
.LBB232_2117:                           ;   in Loop: Header=BB232_2076 Depth=1
	s_or_b32 exec_lo, exec_lo, s20
.LBB232_2118:                           ;   in Loop: Header=BB232_2076 Depth=1
	s_or_b32 exec_lo, exec_lo, s19
	v_cmp_ne_u16_sdwa s8, v8, v11 src0_sel:BYTE_1 src1_sel:DWORD
	s_and_saveexec_b32 s19, s8
	s_cbranch_execz .LBB232_2126
; %bb.2119:                             ;   in Loop: Header=BB232_2076 Depth=1
	v_mov_b32_e32 v12, v11
	v_mov_b32_e32 v21, v13
	v_cmp_ne_u16_sdwa s8, v8, v74 src0_sel:BYTE_1 src1_sel:DWORD
	v_mov_b32_e32 v20, v12
	s_and_saveexec_b32 s20, s8
	s_cbranch_execz .LBB232_2125
; %bb.2120:                             ;   in Loop: Header=BB232_2076 Depth=1
	v_and_b32_sdwa v9, v75, v8 dst_sel:DWORD dst_unused:UNUSED_PAD src0_sel:DWORD src1_sel:BYTE_1
	v_mov_b32_e32 v14, v11
	v_mov_b32_e32 v21, v15
	s_mov_b32 s21, exec_lo
	v_and_b32_e32 v12, 0x7f, v9
	v_mov_b32_e32 v20, v14
	v_cmpx_ne_u32_e32 0x7f, v12
	s_cbranch_execz .LBB232_2124
; %bb.2121:                             ;   in Loop: Header=BB232_2076 Depth=1
	v_and_b32_e32 v10, 7, v9
	v_lshrrev_b32_e32 v9, 3, v12
	s_mov_b32 s22, exec_lo
	v_cmpx_gt_u32_e32 8, v12
; %bb.2122:                             ;   in Loop: Header=BB232_2076 Depth=1
	v_ffbh_u32_e32 v9, v10
	v_min_u32_e32 v9, 32, v9
	v_subrev_nc_u32_e32 v12, 28, v9
	v_sub_nc_u32_e32 v9, 29, v9
	v_lshlrev_b64 v[20:21], v12, v[10:11]
	v_and_b32_e32 v10, 7, v20
; %bb.2123:                             ;   in Loop: Header=BB232_2076 Depth=1
	s_or_b32 exec_lo, exec_lo, s22
	v_lshlrev_b32_e32 v12, 16, v8
	v_lshlrev_b32_e32 v10, 20, v10
	v_lshl_add_u32 v9, v9, 23, 0x3c000000
	v_mov_b32_e32 v20, v11
	v_and_b32_e32 v12, 0x80000000, v12
	v_or3_b32 v21, v10, v12, v9
.LBB232_2124:                           ;   in Loop: Header=BB232_2076 Depth=1
	s_or_b32 exec_lo, exec_lo, s21
.LBB232_2125:                           ;   in Loop: Header=BB232_2076 Depth=1
	s_or_b32 exec_lo, exec_lo, s20
.LBB232_2126:                           ;   in Loop: Header=BB232_2076 Depth=1
	s_or_b32 exec_lo, exec_lo, s19
	v_mov_b32_e32 v24, 0
	v_mov_b32_e32 v22, 0
	v_and_b32_sdwa v9, v8, v76 dst_sel:DWORD dst_unused:UNUSED_PAD src0_sel:WORD_1 src1_sel:DWORD
	v_mov_b32_e32 v25, 0
	v_mov_b32_e32 v23, 0
	s_mov_b32 s19, exec_lo
	v_cmpx_ne_u16_e32 0, v9
	s_cbranch_execz .LBB232_2134
; %bb.2127:                             ;   in Loop: Header=BB232_2076 Depth=1
	v_bfrev_b32_e32 v22, 1
	v_mov_b32_e32 v23, 0
	s_mov_b32 s20, exec_lo
	v_cmpx_ne_u16_e32 0x80, v9
	s_cbranch_execz .LBB232_2133
; %bb.2128:                             ;   in Loop: Header=BB232_2076 Depth=1
	v_mov_b32_e32 v22, 0x7f800001
	v_bfe_u32 v12, v8, 16, 7
	v_mov_b32_e32 v23, 0
	s_mov_b32 s21, exec_lo
	v_cmpx_ne_u32_e32 0x7f, v12
	s_cbranch_execz .LBB232_2132
; %bb.2129:                             ;   in Loop: Header=BB232_2076 Depth=1
	v_and_b32_sdwa v10, v8, v77 dst_sel:DWORD dst_unused:UNUSED_PAD src0_sel:WORD_1 src1_sel:DWORD
	v_lshrrev_b32_e32 v9, 3, v12
	s_mov_b32 s22, exec_lo
	v_cmpx_gt_u32_e32 8, v12
; %bb.2130:                             ;   in Loop: Header=BB232_2076 Depth=1
	v_ffbh_u32_e32 v9, v10
	v_min_u32_e32 v9, 32, v9
	v_subrev_nc_u32_e32 v12, 28, v9
	v_sub_nc_u32_e32 v9, 29, v9
	v_lshlrev_b64 v[22:23], v12, v[10:11]
	v_and_b32_e32 v10, 7, v22
; %bb.2131:                             ;   in Loop: Header=BB232_2076 Depth=1
	s_or_b32 exec_lo, exec_lo, s22
	v_lshlrev_b32_sdwa v12, v78, v8 dst_sel:DWORD dst_unused:UNUSED_PAD src0_sel:DWORD src1_sel:WORD_1
	v_lshlrev_b32_e32 v10, 20, v10
	v_lshl_add_u32 v9, v9, 23, 0x3c000000
	v_and_b32_e32 v12, 0x80000000, v12
	v_or3_b32 v10, v10, v12, v9
	v_mov_b32_e32 v23, v11
	v_mov_b32_e32 v22, v10
.LBB232_2132:                           ;   in Loop: Header=BB232_2076 Depth=1
	s_or_b32 exec_lo, exec_lo, s21
.LBB232_2133:                           ;   in Loop: Header=BB232_2076 Depth=1
	s_or_b32 exec_lo, exec_lo, s20
.LBB232_2134:                           ;   in Loop: Header=BB232_2076 Depth=1
	s_or_b32 exec_lo, exec_lo, s19
	s_mov_b32 s19, exec_lo
	v_cmpx_lt_u32_e32 0xffffff, v8
	s_cbranch_execz .LBB232_2142
; %bb.2135:                             ;   in Loop: Header=BB232_2076 Depth=1
	v_mov_b32_e32 v12, v11
	v_mov_b32_e32 v25, v13
	v_cmp_ne_u32_sdwa s8, v8, v74 src0_sel:BYTE_3 src1_sel:DWORD
	v_mov_b32_e32 v24, v12
	s_and_saveexec_b32 s20, s8
	s_cbranch_execz .LBB232_2141
; %bb.2136:                             ;   in Loop: Header=BB232_2076 Depth=1
	v_mov_b32_e32 v14, v11
	v_mov_b32_e32 v25, v15
	v_bfe_u32 v12, v8, 24, 7
	s_mov_b32 s21, exec_lo
	v_mov_b32_e32 v24, v14
	v_cmpx_ne_u32_e32 0x7f, v12
	s_cbranch_execz .LBB232_2140
; %bb.2137:                             ;   in Loop: Header=BB232_2076 Depth=1
	v_and_b32_sdwa v10, v8, v77 dst_sel:DWORD dst_unused:UNUSED_PAD src0_sel:BYTE_3 src1_sel:DWORD
	v_lshrrev_b32_e32 v9, 3, v12
	s_mov_b32 s22, exec_lo
	v_cmpx_gt_u32_e32 8, v12
; %bb.2138:                             ;   in Loop: Header=BB232_2076 Depth=1
	v_ffbh_u32_e32 v9, v10
	v_min_u32_e32 v9, 32, v9
	v_subrev_nc_u32_e32 v12, 28, v9
	v_sub_nc_u32_e32 v9, 29, v9
	v_lshlrev_b64 v[24:25], v12, v[10:11]
	v_and_b32_e32 v10, 7, v24
; %bb.2139:                             ;   in Loop: Header=BB232_2076 Depth=1
	s_or_b32 exec_lo, exec_lo, s22
	v_lshlrev_b32_sdwa v8, v78, v8 dst_sel:DWORD dst_unused:UNUSED_PAD src0_sel:DWORD src1_sel:BYTE_3
	v_lshlrev_b32_e32 v10, 20, v10
	v_lshl_add_u32 v9, v9, 23, 0x3c000000
	v_mov_b32_e32 v24, v11
	v_and_b32_e32 v8, 0x80000000, v8
	v_or3_b32 v25, v10, v8, v9
.LBB232_2140:                           ;   in Loop: Header=BB232_2076 Depth=1
	s_or_b32 exec_lo, exec_lo, s21
.LBB232_2141:                           ;   in Loop: Header=BB232_2076 Depth=1
	s_or_b32 exec_lo, exec_lo, s20
.LBB232_2142:                           ;   in Loop: Header=BB232_2076 Depth=1
	s_or_b32 exec_lo, exec_lo, s19
	v_or_b32_e32 v8, v21, v19
	v_or_b32_e32 v9, v20, v18
	;; [unrolled: 1-line block ×4, first 2 shown]
	v_mul_f32_e32 v8, v92, v8
	buffer_store_dword v8, off, s[0:3], s32 offset:244 ; 4-byte Folded Spill
	v_mul_f32_e32 v8, v73, v9
	buffer_store_dword v8, off, s[0:3], s32 offset:252 ; 4-byte Folded Spill
	;; [unrolled: 2-line block ×4, first 2 shown]
	s_and_saveexec_b32 s8, s6
	s_cbranch_execz .LBB232_2144
; %bb.2143:                             ;   in Loop: Header=BB232_2076 Depth=1
	buffer_load_dword v8, off, s[0:3], s32 offset:252 ; 4-byte Folded Reload
	s_waitcnt vmcnt(0)
	v_cndmask_b32_e32 v8, 0, v8, vcc_lo
	buffer_store_dword v8, off, s[0:3], s32 offset:252 ; 4-byte Folded Spill
	buffer_load_dword v8, off, s[0:3], s32 offset:244 ; 4-byte Folded Reload
	s_waitcnt vmcnt(0)
	v_cndmask_b32_e64 v8, 0, v8, s4
	buffer_store_dword v8, off, s[0:3], s32 offset:244 ; 4-byte Folded Spill
	buffer_load_dword v8, off, s[0:3], s32 offset:236 ; 4-byte Folded Reload
	s_waitcnt vmcnt(0)
	v_cndmask_b32_e64 v8, 0, v8, s5
	;; [unrolled: 4-line block ×3, first 2 shown]
	buffer_store_dword v8, off, s[0:3], s32 offset:228 ; 4-byte Folded Spill
.LBB232_2144:                           ;   in Loop: Header=BB232_2076 Depth=1
	s_or_b32 exec_lo, exec_lo, s8
	flat_load_dword v8, v[16:17] offset:256
	v_mov_b32_e32 v20, 0
	v_mov_b32_e32 v18, 0
	;; [unrolled: 1-line block ×4, first 2 shown]
	s_waitcnt vmcnt(0) lgkmcnt(0)
	v_cmp_ne_u16_sdwa s8, v8, v11 src0_sel:BYTE_0 src1_sel:DWORD
	s_and_saveexec_b32 s19, s8
	s_cbranch_execz .LBB232_2152
; %bb.2145:                             ;   in Loop: Header=BB232_2076 Depth=1
	v_bfrev_b32_e32 v18, 1
	v_mov_b32_e32 v19, 0
	v_cmp_ne_u16_sdwa s8, v8, v74 src0_sel:BYTE_0 src1_sel:DWORD
	s_and_saveexec_b32 s20, s8
	s_cbranch_execz .LBB232_2151
; %bb.2146:                             ;   in Loop: Header=BB232_2076 Depth=1
	v_mov_b32_e32 v18, 0x7f800001
	v_and_b32_e32 v12, 0x7f, v8
	v_mov_b32_e32 v19, 0
	s_mov_b32 s21, exec_lo
	v_cmpx_ne_u32_e32 0x7f, v12
	s_cbranch_execz .LBB232_2150
; %bb.2147:                             ;   in Loop: Header=BB232_2076 Depth=1
	v_and_b32_e32 v10, 7, v8
	v_lshrrev_b32_e32 v9, 3, v12
	s_mov_b32 s22, exec_lo
	v_cmpx_gt_u32_e32 8, v12
; %bb.2148:                             ;   in Loop: Header=BB232_2076 Depth=1
	v_ffbh_u32_e32 v9, v10
	v_min_u32_e32 v9, 32, v9
	v_subrev_nc_u32_e32 v12, 28, v9
	v_sub_nc_u32_e32 v9, 29, v9
	v_lshlrev_b64 v[18:19], v12, v[10:11]
	v_and_b32_e32 v10, 7, v18
; %bb.2149:                             ;   in Loop: Header=BB232_2076 Depth=1
	s_or_b32 exec_lo, exec_lo, s22
	v_lshlrev_b32_e32 v12, 24, v8
	v_lshlrev_b32_e32 v10, 20, v10
	v_lshl_add_u32 v9, v9, 23, 0x3c000000
	v_and_b32_e32 v12, 0x80000000, v12
	v_or3_b32 v10, v10, v12, v9
	v_mov_b32_e32 v19, v11
	v_mov_b32_e32 v18, v10
.LBB232_2150:                           ;   in Loop: Header=BB232_2076 Depth=1
	s_or_b32 exec_lo, exec_lo, s21
.LBB232_2151:                           ;   in Loop: Header=BB232_2076 Depth=1
	s_or_b32 exec_lo, exec_lo, s20
.LBB232_2152:                           ;   in Loop: Header=BB232_2076 Depth=1
	s_or_b32 exec_lo, exec_lo, s19
	v_cmp_ne_u16_sdwa s8, v8, v11 src0_sel:BYTE_1 src1_sel:DWORD
	s_and_saveexec_b32 s19, s8
	s_cbranch_execz .LBB232_2160
; %bb.2153:                             ;   in Loop: Header=BB232_2076 Depth=1
	v_mov_b32_e32 v12, v11
	v_mov_b32_e32 v21, v13
	v_cmp_ne_u16_sdwa s8, v8, v74 src0_sel:BYTE_1 src1_sel:DWORD
	v_mov_b32_e32 v20, v12
	s_and_saveexec_b32 s20, s8
	s_cbranch_execz .LBB232_2159
; %bb.2154:                             ;   in Loop: Header=BB232_2076 Depth=1
	v_and_b32_sdwa v9, v75, v8 dst_sel:DWORD dst_unused:UNUSED_PAD src0_sel:DWORD src1_sel:BYTE_1
	v_mov_b32_e32 v14, v11
	v_mov_b32_e32 v21, v15
	s_mov_b32 s21, exec_lo
	v_and_b32_e32 v12, 0x7f, v9
	v_mov_b32_e32 v20, v14
	v_cmpx_ne_u32_e32 0x7f, v12
	s_cbranch_execz .LBB232_2158
; %bb.2155:                             ;   in Loop: Header=BB232_2076 Depth=1
	v_and_b32_e32 v10, 7, v9
	v_lshrrev_b32_e32 v9, 3, v12
	s_mov_b32 s22, exec_lo
	v_cmpx_gt_u32_e32 8, v12
; %bb.2156:                             ;   in Loop: Header=BB232_2076 Depth=1
	v_ffbh_u32_e32 v9, v10
	v_min_u32_e32 v9, 32, v9
	v_subrev_nc_u32_e32 v12, 28, v9
	v_sub_nc_u32_e32 v9, 29, v9
	v_lshlrev_b64 v[20:21], v12, v[10:11]
	v_and_b32_e32 v10, 7, v20
; %bb.2157:                             ;   in Loop: Header=BB232_2076 Depth=1
	s_or_b32 exec_lo, exec_lo, s22
	v_lshlrev_b32_e32 v12, 16, v8
	v_lshlrev_b32_e32 v10, 20, v10
	v_lshl_add_u32 v9, v9, 23, 0x3c000000
	v_mov_b32_e32 v20, v11
	v_and_b32_e32 v12, 0x80000000, v12
	v_or3_b32 v21, v10, v12, v9
.LBB232_2158:                           ;   in Loop: Header=BB232_2076 Depth=1
	s_or_b32 exec_lo, exec_lo, s21
.LBB232_2159:                           ;   in Loop: Header=BB232_2076 Depth=1
	s_or_b32 exec_lo, exec_lo, s20
.LBB232_2160:                           ;   in Loop: Header=BB232_2076 Depth=1
	s_or_b32 exec_lo, exec_lo, s19
	v_mov_b32_e32 v24, 0
	v_mov_b32_e32 v22, 0
	v_and_b32_sdwa v9, v8, v76 dst_sel:DWORD dst_unused:UNUSED_PAD src0_sel:WORD_1 src1_sel:DWORD
	v_mov_b32_e32 v25, 0
	v_mov_b32_e32 v23, 0
	s_mov_b32 s19, exec_lo
	v_cmpx_ne_u16_e32 0, v9
	s_cbranch_execz .LBB232_2168
; %bb.2161:                             ;   in Loop: Header=BB232_2076 Depth=1
	v_bfrev_b32_e32 v22, 1
	v_mov_b32_e32 v23, 0
	s_mov_b32 s20, exec_lo
	v_cmpx_ne_u16_e32 0x80, v9
	s_cbranch_execz .LBB232_2167
; %bb.2162:                             ;   in Loop: Header=BB232_2076 Depth=1
	v_mov_b32_e32 v22, 0x7f800001
	v_bfe_u32 v12, v8, 16, 7
	v_mov_b32_e32 v23, 0
	s_mov_b32 s21, exec_lo
	v_cmpx_ne_u32_e32 0x7f, v12
	s_cbranch_execz .LBB232_2166
; %bb.2163:                             ;   in Loop: Header=BB232_2076 Depth=1
	v_and_b32_sdwa v10, v8, v77 dst_sel:DWORD dst_unused:UNUSED_PAD src0_sel:WORD_1 src1_sel:DWORD
	v_lshrrev_b32_e32 v9, 3, v12
	s_mov_b32 s22, exec_lo
	v_cmpx_gt_u32_e32 8, v12
; %bb.2164:                             ;   in Loop: Header=BB232_2076 Depth=1
	v_ffbh_u32_e32 v9, v10
	v_min_u32_e32 v9, 32, v9
	v_subrev_nc_u32_e32 v12, 28, v9
	v_sub_nc_u32_e32 v9, 29, v9
	v_lshlrev_b64 v[22:23], v12, v[10:11]
	v_and_b32_e32 v10, 7, v22
; %bb.2165:                             ;   in Loop: Header=BB232_2076 Depth=1
	s_or_b32 exec_lo, exec_lo, s22
	v_lshlrev_b32_sdwa v12, v78, v8 dst_sel:DWORD dst_unused:UNUSED_PAD src0_sel:DWORD src1_sel:WORD_1
	v_lshlrev_b32_e32 v10, 20, v10
	v_lshl_add_u32 v9, v9, 23, 0x3c000000
	v_and_b32_e32 v12, 0x80000000, v12
	v_or3_b32 v10, v10, v12, v9
	v_mov_b32_e32 v23, v11
	v_mov_b32_e32 v22, v10
.LBB232_2166:                           ;   in Loop: Header=BB232_2076 Depth=1
	s_or_b32 exec_lo, exec_lo, s21
.LBB232_2167:                           ;   in Loop: Header=BB232_2076 Depth=1
	s_or_b32 exec_lo, exec_lo, s20
.LBB232_2168:                           ;   in Loop: Header=BB232_2076 Depth=1
	s_or_b32 exec_lo, exec_lo, s19
	s_mov_b32 s19, exec_lo
	v_cmpx_lt_u32_e32 0xffffff, v8
	s_cbranch_execz .LBB232_2176
; %bb.2169:                             ;   in Loop: Header=BB232_2076 Depth=1
	v_mov_b32_e32 v12, v11
	v_mov_b32_e32 v25, v13
	v_cmp_ne_u32_sdwa s8, v8, v74 src0_sel:BYTE_3 src1_sel:DWORD
	v_mov_b32_e32 v24, v12
	s_and_saveexec_b32 s20, s8
	s_cbranch_execz .LBB232_2175
; %bb.2170:                             ;   in Loop: Header=BB232_2076 Depth=1
	v_mov_b32_e32 v14, v11
	v_mov_b32_e32 v25, v15
	v_bfe_u32 v12, v8, 24, 7
	s_mov_b32 s21, exec_lo
	v_mov_b32_e32 v24, v14
	v_cmpx_ne_u32_e32 0x7f, v12
	s_cbranch_execz .LBB232_2174
; %bb.2171:                             ;   in Loop: Header=BB232_2076 Depth=1
	v_and_b32_sdwa v10, v8, v77 dst_sel:DWORD dst_unused:UNUSED_PAD src0_sel:BYTE_3 src1_sel:DWORD
	v_lshrrev_b32_e32 v9, 3, v12
	s_mov_b32 s22, exec_lo
	v_cmpx_gt_u32_e32 8, v12
; %bb.2172:                             ;   in Loop: Header=BB232_2076 Depth=1
	v_ffbh_u32_e32 v9, v10
	v_min_u32_e32 v9, 32, v9
	v_subrev_nc_u32_e32 v12, 28, v9
	v_sub_nc_u32_e32 v9, 29, v9
	v_lshlrev_b64 v[24:25], v12, v[10:11]
	v_and_b32_e32 v10, 7, v24
; %bb.2173:                             ;   in Loop: Header=BB232_2076 Depth=1
	s_or_b32 exec_lo, exec_lo, s22
	v_lshlrev_b32_sdwa v8, v78, v8 dst_sel:DWORD dst_unused:UNUSED_PAD src0_sel:DWORD src1_sel:BYTE_3
	v_lshlrev_b32_e32 v10, 20, v10
	v_lshl_add_u32 v9, v9, 23, 0x3c000000
	v_mov_b32_e32 v24, v11
	v_and_b32_e32 v8, 0x80000000, v8
	v_or3_b32 v25, v10, v8, v9
.LBB232_2174:                           ;   in Loop: Header=BB232_2076 Depth=1
	s_or_b32 exec_lo, exec_lo, s21
.LBB232_2175:                           ;   in Loop: Header=BB232_2076 Depth=1
	s_or_b32 exec_lo, exec_lo, s20
.LBB232_2176:                           ;   in Loop: Header=BB232_2076 Depth=1
	s_or_b32 exec_lo, exec_lo, s19
	v_or_b32_e32 v8, v21, v19
	v_or_b32_e32 v9, v20, v18
	;; [unrolled: 1-line block ×4, first 2 shown]
	v_mul_f32_e32 v8, v92, v8
	buffer_store_dword v8, off, s[0:3], s32 offset:276 ; 4-byte Folded Spill
	v_mul_f32_e32 v8, v73, v9
	buffer_store_dword v8, off, s[0:3], s32 offset:284 ; 4-byte Folded Spill
	v_mul_f32_e32 v8, v73, v10
	buffer_store_dword v8, off, s[0:3], s32 offset:268 ; 4-byte Folded Spill
	v_mul_f32_e32 v8, v92, v12
	buffer_store_dword v8, off, s[0:3], s32 offset:260 ; 4-byte Folded Spill
	s_and_saveexec_b32 s8, s6
	s_cbranch_execz .LBB232_2178
; %bb.2177:                             ;   in Loop: Header=BB232_2076 Depth=1
	buffer_load_dword v8, off, s[0:3], s32 offset:284 ; 4-byte Folded Reload
	s_waitcnt vmcnt(0)
	v_cndmask_b32_e32 v8, 0, v8, vcc_lo
	buffer_store_dword v8, off, s[0:3], s32 offset:284 ; 4-byte Folded Spill
	buffer_load_dword v8, off, s[0:3], s32 offset:276 ; 4-byte Folded Reload
	s_waitcnt vmcnt(0)
	v_cndmask_b32_e64 v8, 0, v8, s4
	buffer_store_dword v8, off, s[0:3], s32 offset:276 ; 4-byte Folded Spill
	buffer_load_dword v8, off, s[0:3], s32 offset:268 ; 4-byte Folded Reload
	s_waitcnt vmcnt(0)
	v_cndmask_b32_e64 v8, 0, v8, s5
	;; [unrolled: 4-line block ×3, first 2 shown]
	buffer_store_dword v8, off, s[0:3], s32 offset:260 ; 4-byte Folded Spill
.LBB232_2178:                           ;   in Loop: Header=BB232_2076 Depth=1
	s_or_b32 exec_lo, exec_lo, s8
	flat_load_dword v8, v[16:17] offset:384
	v_mov_b32_e32 v20, 0
	v_mov_b32_e32 v18, 0
	;; [unrolled: 1-line block ×4, first 2 shown]
	s_waitcnt vmcnt(0) lgkmcnt(0)
	v_cmp_ne_u16_sdwa s8, v8, v11 src0_sel:BYTE_0 src1_sel:DWORD
	s_and_saveexec_b32 s19, s8
	s_cbranch_execz .LBB232_2186
; %bb.2179:                             ;   in Loop: Header=BB232_2076 Depth=1
	v_bfrev_b32_e32 v18, 1
	v_mov_b32_e32 v19, 0
	v_cmp_ne_u16_sdwa s8, v8, v74 src0_sel:BYTE_0 src1_sel:DWORD
	s_and_saveexec_b32 s20, s8
	s_cbranch_execz .LBB232_2185
; %bb.2180:                             ;   in Loop: Header=BB232_2076 Depth=1
	v_mov_b32_e32 v18, 0x7f800001
	v_and_b32_e32 v12, 0x7f, v8
	v_mov_b32_e32 v19, 0
	s_mov_b32 s21, exec_lo
	v_cmpx_ne_u32_e32 0x7f, v12
	s_cbranch_execz .LBB232_2184
; %bb.2181:                             ;   in Loop: Header=BB232_2076 Depth=1
	v_and_b32_e32 v10, 7, v8
	v_lshrrev_b32_e32 v9, 3, v12
	s_mov_b32 s22, exec_lo
	v_cmpx_gt_u32_e32 8, v12
; %bb.2182:                             ;   in Loop: Header=BB232_2076 Depth=1
	v_ffbh_u32_e32 v9, v10
	v_min_u32_e32 v9, 32, v9
	v_subrev_nc_u32_e32 v12, 28, v9
	v_sub_nc_u32_e32 v9, 29, v9
	v_lshlrev_b64 v[18:19], v12, v[10:11]
	v_and_b32_e32 v10, 7, v18
; %bb.2183:                             ;   in Loop: Header=BB232_2076 Depth=1
	s_or_b32 exec_lo, exec_lo, s22
	v_lshlrev_b32_e32 v12, 24, v8
	v_lshlrev_b32_e32 v10, 20, v10
	v_lshl_add_u32 v9, v9, 23, 0x3c000000
	v_and_b32_e32 v12, 0x80000000, v12
	v_or3_b32 v10, v10, v12, v9
	v_mov_b32_e32 v19, v11
	v_mov_b32_e32 v18, v10
.LBB232_2184:                           ;   in Loop: Header=BB232_2076 Depth=1
	s_or_b32 exec_lo, exec_lo, s21
.LBB232_2185:                           ;   in Loop: Header=BB232_2076 Depth=1
	s_or_b32 exec_lo, exec_lo, s20
.LBB232_2186:                           ;   in Loop: Header=BB232_2076 Depth=1
	s_or_b32 exec_lo, exec_lo, s19
	v_cmp_ne_u16_sdwa s8, v8, v11 src0_sel:BYTE_1 src1_sel:DWORD
	s_and_saveexec_b32 s19, s8
	s_cbranch_execz .LBB232_2194
; %bb.2187:                             ;   in Loop: Header=BB232_2076 Depth=1
	v_mov_b32_e32 v12, v11
	v_mov_b32_e32 v21, v13
	v_cmp_ne_u16_sdwa s8, v8, v74 src0_sel:BYTE_1 src1_sel:DWORD
	v_mov_b32_e32 v20, v12
	s_and_saveexec_b32 s20, s8
	s_cbranch_execz .LBB232_2193
; %bb.2188:                             ;   in Loop: Header=BB232_2076 Depth=1
	v_and_b32_sdwa v9, v75, v8 dst_sel:DWORD dst_unused:UNUSED_PAD src0_sel:DWORD src1_sel:BYTE_1
	v_mov_b32_e32 v14, v11
	v_mov_b32_e32 v21, v15
	s_mov_b32 s21, exec_lo
	v_and_b32_e32 v12, 0x7f, v9
	v_mov_b32_e32 v20, v14
	v_cmpx_ne_u32_e32 0x7f, v12
	s_cbranch_execz .LBB232_2192
; %bb.2189:                             ;   in Loop: Header=BB232_2076 Depth=1
	v_and_b32_e32 v10, 7, v9
	v_lshrrev_b32_e32 v9, 3, v12
	s_mov_b32 s22, exec_lo
	v_cmpx_gt_u32_e32 8, v12
; %bb.2190:                             ;   in Loop: Header=BB232_2076 Depth=1
	v_ffbh_u32_e32 v9, v10
	v_min_u32_e32 v9, 32, v9
	v_subrev_nc_u32_e32 v12, 28, v9
	v_sub_nc_u32_e32 v9, 29, v9
	v_lshlrev_b64 v[20:21], v12, v[10:11]
	v_and_b32_e32 v10, 7, v20
; %bb.2191:                             ;   in Loop: Header=BB232_2076 Depth=1
	s_or_b32 exec_lo, exec_lo, s22
	v_lshlrev_b32_e32 v12, 16, v8
	v_lshlrev_b32_e32 v10, 20, v10
	v_lshl_add_u32 v9, v9, 23, 0x3c000000
	v_mov_b32_e32 v20, v11
	v_and_b32_e32 v12, 0x80000000, v12
	v_or3_b32 v21, v10, v12, v9
.LBB232_2192:                           ;   in Loop: Header=BB232_2076 Depth=1
	s_or_b32 exec_lo, exec_lo, s21
.LBB232_2193:                           ;   in Loop: Header=BB232_2076 Depth=1
	s_or_b32 exec_lo, exec_lo, s20
.LBB232_2194:                           ;   in Loop: Header=BB232_2076 Depth=1
	s_or_b32 exec_lo, exec_lo, s19
	v_mov_b32_e32 v24, 0
	v_mov_b32_e32 v22, 0
	v_and_b32_sdwa v9, v8, v76 dst_sel:DWORD dst_unused:UNUSED_PAD src0_sel:WORD_1 src1_sel:DWORD
	v_mov_b32_e32 v25, 0
	v_mov_b32_e32 v23, 0
	s_mov_b32 s19, exec_lo
	v_cmpx_ne_u16_e32 0, v9
	s_cbranch_execz .LBB232_2202
; %bb.2195:                             ;   in Loop: Header=BB232_2076 Depth=1
	v_bfrev_b32_e32 v22, 1
	v_mov_b32_e32 v23, 0
	s_mov_b32 s20, exec_lo
	v_cmpx_ne_u16_e32 0x80, v9
	s_cbranch_execz .LBB232_2201
; %bb.2196:                             ;   in Loop: Header=BB232_2076 Depth=1
	v_mov_b32_e32 v22, 0x7f800001
	v_bfe_u32 v12, v8, 16, 7
	v_mov_b32_e32 v23, 0
	s_mov_b32 s21, exec_lo
	v_cmpx_ne_u32_e32 0x7f, v12
	s_cbranch_execz .LBB232_2200
; %bb.2197:                             ;   in Loop: Header=BB232_2076 Depth=1
	v_and_b32_sdwa v10, v8, v77 dst_sel:DWORD dst_unused:UNUSED_PAD src0_sel:WORD_1 src1_sel:DWORD
	v_lshrrev_b32_e32 v9, 3, v12
	s_mov_b32 s22, exec_lo
	v_cmpx_gt_u32_e32 8, v12
; %bb.2198:                             ;   in Loop: Header=BB232_2076 Depth=1
	v_ffbh_u32_e32 v9, v10
	v_min_u32_e32 v9, 32, v9
	v_subrev_nc_u32_e32 v12, 28, v9
	v_sub_nc_u32_e32 v9, 29, v9
	v_lshlrev_b64 v[22:23], v12, v[10:11]
	v_and_b32_e32 v10, 7, v22
; %bb.2199:                             ;   in Loop: Header=BB232_2076 Depth=1
	s_or_b32 exec_lo, exec_lo, s22
	v_lshlrev_b32_sdwa v12, v78, v8 dst_sel:DWORD dst_unused:UNUSED_PAD src0_sel:DWORD src1_sel:WORD_1
	v_lshlrev_b32_e32 v10, 20, v10
	v_lshl_add_u32 v9, v9, 23, 0x3c000000
	v_and_b32_e32 v12, 0x80000000, v12
	v_or3_b32 v10, v10, v12, v9
	v_mov_b32_e32 v23, v11
	v_mov_b32_e32 v22, v10
.LBB232_2200:                           ;   in Loop: Header=BB232_2076 Depth=1
	s_or_b32 exec_lo, exec_lo, s21
.LBB232_2201:                           ;   in Loop: Header=BB232_2076 Depth=1
	s_or_b32 exec_lo, exec_lo, s20
.LBB232_2202:                           ;   in Loop: Header=BB232_2076 Depth=1
	s_or_b32 exec_lo, exec_lo, s19
	s_mov_b32 s19, exec_lo
	v_cmpx_lt_u32_e32 0xffffff, v8
	s_cbranch_execz .LBB232_2210
; %bb.2203:                             ;   in Loop: Header=BB232_2076 Depth=1
	v_mov_b32_e32 v12, v11
	v_mov_b32_e32 v25, v13
	v_cmp_ne_u32_sdwa s8, v8, v74 src0_sel:BYTE_3 src1_sel:DWORD
	v_mov_b32_e32 v24, v12
	s_and_saveexec_b32 s20, s8
	s_cbranch_execz .LBB232_2209
; %bb.2204:                             ;   in Loop: Header=BB232_2076 Depth=1
	v_mov_b32_e32 v14, v11
	v_mov_b32_e32 v25, v15
	v_bfe_u32 v12, v8, 24, 7
	s_mov_b32 s21, exec_lo
	v_mov_b32_e32 v24, v14
	v_cmpx_ne_u32_e32 0x7f, v12
	s_cbranch_execz .LBB232_2208
; %bb.2205:                             ;   in Loop: Header=BB232_2076 Depth=1
	v_and_b32_sdwa v10, v8, v77 dst_sel:DWORD dst_unused:UNUSED_PAD src0_sel:BYTE_3 src1_sel:DWORD
	v_lshrrev_b32_e32 v9, 3, v12
	s_mov_b32 s22, exec_lo
	v_cmpx_gt_u32_e32 8, v12
; %bb.2206:                             ;   in Loop: Header=BB232_2076 Depth=1
	v_ffbh_u32_e32 v9, v10
	v_min_u32_e32 v9, 32, v9
	v_subrev_nc_u32_e32 v12, 28, v9
	v_sub_nc_u32_e32 v9, 29, v9
	v_lshlrev_b64 v[24:25], v12, v[10:11]
	v_and_b32_e32 v10, 7, v24
; %bb.2207:                             ;   in Loop: Header=BB232_2076 Depth=1
	s_or_b32 exec_lo, exec_lo, s22
	v_lshlrev_b32_sdwa v8, v78, v8 dst_sel:DWORD dst_unused:UNUSED_PAD src0_sel:DWORD src1_sel:BYTE_3
	v_lshlrev_b32_e32 v10, 20, v10
	v_lshl_add_u32 v9, v9, 23, 0x3c000000
	v_mov_b32_e32 v24, v11
	v_and_b32_e32 v8, 0x80000000, v8
	v_or3_b32 v25, v10, v8, v9
.LBB232_2208:                           ;   in Loop: Header=BB232_2076 Depth=1
	s_or_b32 exec_lo, exec_lo, s21
.LBB232_2209:                           ;   in Loop: Header=BB232_2076 Depth=1
	s_or_b32 exec_lo, exec_lo, s20
.LBB232_2210:                           ;   in Loop: Header=BB232_2076 Depth=1
	s_or_b32 exec_lo, exec_lo, s19
	v_or_b32_e32 v8, v21, v19
	v_or_b32_e32 v9, v20, v18
	;; [unrolled: 1-line block ×4, first 2 shown]
	v_mul_f32_e32 v8, v92, v8
	buffer_store_dword v8, off, s[0:3], s32 offset:316 ; 4-byte Folded Spill
	v_mul_f32_e32 v8, v73, v9
	buffer_store_dword v8, off, s[0:3], s32 offset:308 ; 4-byte Folded Spill
	;; [unrolled: 2-line block ×4, first 2 shown]
	s_and_saveexec_b32 s8, s6
	s_cbranch_execz .LBB232_2212
; %bb.2211:                             ;   in Loop: Header=BB232_2076 Depth=1
	buffer_load_dword v8, off, s[0:3], s32 offset:308 ; 4-byte Folded Reload
	s_waitcnt vmcnt(0)
	v_cndmask_b32_e32 v8, 0, v8, vcc_lo
	buffer_store_dword v8, off, s[0:3], s32 offset:308 ; 4-byte Folded Spill
	buffer_load_dword v8, off, s[0:3], s32 offset:316 ; 4-byte Folded Reload
	s_waitcnt vmcnt(0)
	v_cndmask_b32_e64 v8, 0, v8, s4
	buffer_store_dword v8, off, s[0:3], s32 offset:316 ; 4-byte Folded Spill
	buffer_load_dword v8, off, s[0:3], s32 offset:300 ; 4-byte Folded Reload
	s_waitcnt vmcnt(0)
	v_cndmask_b32_e64 v8, 0, v8, s5
	;; [unrolled: 4-line block ×3, first 2 shown]
	buffer_store_dword v8, off, s[0:3], s32 offset:292 ; 4-byte Folded Spill
.LBB232_2212:                           ;   in Loop: Header=BB232_2076 Depth=1
	s_or_b32 exec_lo, exec_lo, s8
	flat_load_dword v8, v[16:17] offset:512
	v_mov_b32_e32 v20, 0
	v_mov_b32_e32 v18, 0
	v_mov_b32_e32 v21, 0
	v_mov_b32_e32 v19, 0
	s_waitcnt vmcnt(0) lgkmcnt(0)
	v_cmp_ne_u16_sdwa s8, v8, v11 src0_sel:BYTE_0 src1_sel:DWORD
	s_and_saveexec_b32 s19, s8
	s_cbranch_execz .LBB232_2220
; %bb.2213:                             ;   in Loop: Header=BB232_2076 Depth=1
	v_bfrev_b32_e32 v18, 1
	v_mov_b32_e32 v19, 0
	v_cmp_ne_u16_sdwa s8, v8, v74 src0_sel:BYTE_0 src1_sel:DWORD
	s_and_saveexec_b32 s20, s8
	s_cbranch_execz .LBB232_2219
; %bb.2214:                             ;   in Loop: Header=BB232_2076 Depth=1
	v_mov_b32_e32 v18, 0x7f800001
	v_and_b32_e32 v12, 0x7f, v8
	v_mov_b32_e32 v19, 0
	s_mov_b32 s21, exec_lo
	v_cmpx_ne_u32_e32 0x7f, v12
	s_cbranch_execz .LBB232_2218
; %bb.2215:                             ;   in Loop: Header=BB232_2076 Depth=1
	v_and_b32_e32 v10, 7, v8
	v_lshrrev_b32_e32 v9, 3, v12
	s_mov_b32 s22, exec_lo
	v_cmpx_gt_u32_e32 8, v12
; %bb.2216:                             ;   in Loop: Header=BB232_2076 Depth=1
	v_ffbh_u32_e32 v9, v10
	v_min_u32_e32 v9, 32, v9
	v_subrev_nc_u32_e32 v12, 28, v9
	v_sub_nc_u32_e32 v9, 29, v9
	v_lshlrev_b64 v[18:19], v12, v[10:11]
	v_and_b32_e32 v10, 7, v18
; %bb.2217:                             ;   in Loop: Header=BB232_2076 Depth=1
	s_or_b32 exec_lo, exec_lo, s22
	v_lshlrev_b32_e32 v12, 24, v8
	v_lshlrev_b32_e32 v10, 20, v10
	v_lshl_add_u32 v9, v9, 23, 0x3c000000
	v_and_b32_e32 v12, 0x80000000, v12
	v_or3_b32 v10, v10, v12, v9
	v_mov_b32_e32 v19, v11
	v_mov_b32_e32 v18, v10
.LBB232_2218:                           ;   in Loop: Header=BB232_2076 Depth=1
	s_or_b32 exec_lo, exec_lo, s21
.LBB232_2219:                           ;   in Loop: Header=BB232_2076 Depth=1
	s_or_b32 exec_lo, exec_lo, s20
.LBB232_2220:                           ;   in Loop: Header=BB232_2076 Depth=1
	s_or_b32 exec_lo, exec_lo, s19
	v_cmp_ne_u16_sdwa s8, v8, v11 src0_sel:BYTE_1 src1_sel:DWORD
	s_and_saveexec_b32 s19, s8
	s_cbranch_execz .LBB232_2228
; %bb.2221:                             ;   in Loop: Header=BB232_2076 Depth=1
	v_mov_b32_e32 v12, v11
	v_mov_b32_e32 v21, v13
	v_cmp_ne_u16_sdwa s8, v8, v74 src0_sel:BYTE_1 src1_sel:DWORD
	v_mov_b32_e32 v20, v12
	s_and_saveexec_b32 s20, s8
	s_cbranch_execz .LBB232_2227
; %bb.2222:                             ;   in Loop: Header=BB232_2076 Depth=1
	v_and_b32_sdwa v9, v75, v8 dst_sel:DWORD dst_unused:UNUSED_PAD src0_sel:DWORD src1_sel:BYTE_1
	v_mov_b32_e32 v14, v11
	v_mov_b32_e32 v21, v15
	s_mov_b32 s21, exec_lo
	v_and_b32_e32 v12, 0x7f, v9
	v_mov_b32_e32 v20, v14
	v_cmpx_ne_u32_e32 0x7f, v12
	s_cbranch_execz .LBB232_2226
; %bb.2223:                             ;   in Loop: Header=BB232_2076 Depth=1
	v_and_b32_e32 v10, 7, v9
	v_lshrrev_b32_e32 v9, 3, v12
	s_mov_b32 s22, exec_lo
	v_cmpx_gt_u32_e32 8, v12
; %bb.2224:                             ;   in Loop: Header=BB232_2076 Depth=1
	v_ffbh_u32_e32 v9, v10
	v_min_u32_e32 v9, 32, v9
	v_subrev_nc_u32_e32 v12, 28, v9
	v_sub_nc_u32_e32 v9, 29, v9
	v_lshlrev_b64 v[20:21], v12, v[10:11]
	v_and_b32_e32 v10, 7, v20
; %bb.2225:                             ;   in Loop: Header=BB232_2076 Depth=1
	s_or_b32 exec_lo, exec_lo, s22
	v_lshlrev_b32_e32 v12, 16, v8
	v_lshlrev_b32_e32 v10, 20, v10
	v_lshl_add_u32 v9, v9, 23, 0x3c000000
	v_mov_b32_e32 v20, v11
	v_and_b32_e32 v12, 0x80000000, v12
	v_or3_b32 v21, v10, v12, v9
.LBB232_2226:                           ;   in Loop: Header=BB232_2076 Depth=1
	s_or_b32 exec_lo, exec_lo, s21
.LBB232_2227:                           ;   in Loop: Header=BB232_2076 Depth=1
	s_or_b32 exec_lo, exec_lo, s20
.LBB232_2228:                           ;   in Loop: Header=BB232_2076 Depth=1
	s_or_b32 exec_lo, exec_lo, s19
	v_mov_b32_e32 v22, 0
	v_mov_b32_e32 v24, 0
	v_and_b32_sdwa v9, v8, v76 dst_sel:DWORD dst_unused:UNUSED_PAD src0_sel:WORD_1 src1_sel:DWORD
	v_mov_b32_e32 v23, 0
	v_mov_b32_e32 v25, 0
	s_mov_b32 s19, exec_lo
	v_cmpx_ne_u16_e32 0, v9
	s_cbranch_execz .LBB232_2236
; %bb.2229:                             ;   in Loop: Header=BB232_2076 Depth=1
	v_bfrev_b32_e32 v24, 1
	v_mov_b32_e32 v25, 0
	s_mov_b32 s20, exec_lo
	v_cmpx_ne_u16_e32 0x80, v9
	s_cbranch_execz .LBB232_2235
; %bb.2230:                             ;   in Loop: Header=BB232_2076 Depth=1
	v_mov_b32_e32 v24, 0x7f800001
	v_bfe_u32 v12, v8, 16, 7
	v_mov_b32_e32 v25, 0
	s_mov_b32 s21, exec_lo
	v_cmpx_ne_u32_e32 0x7f, v12
	s_cbranch_execz .LBB232_2234
; %bb.2231:                             ;   in Loop: Header=BB232_2076 Depth=1
	v_and_b32_sdwa v10, v8, v77 dst_sel:DWORD dst_unused:UNUSED_PAD src0_sel:WORD_1 src1_sel:DWORD
	v_lshrrev_b32_e32 v9, 3, v12
	s_mov_b32 s22, exec_lo
	v_cmpx_gt_u32_e32 8, v12
; %bb.2232:                             ;   in Loop: Header=BB232_2076 Depth=1
	v_ffbh_u32_e32 v9, v10
	v_min_u32_e32 v9, 32, v9
	v_subrev_nc_u32_e32 v12, 28, v9
	v_sub_nc_u32_e32 v9, 29, v9
	v_lshlrev_b64 v[24:25], v12, v[10:11]
	v_and_b32_e32 v10, 7, v24
; %bb.2233:                             ;   in Loop: Header=BB232_2076 Depth=1
	s_or_b32 exec_lo, exec_lo, s22
	v_lshlrev_b32_sdwa v12, v78, v8 dst_sel:DWORD dst_unused:UNUSED_PAD src0_sel:DWORD src1_sel:WORD_1
	v_lshlrev_b32_e32 v10, 20, v10
	v_lshl_add_u32 v9, v9, 23, 0x3c000000
	v_and_b32_e32 v12, 0x80000000, v12
	v_or3_b32 v10, v10, v12, v9
	v_mov_b32_e32 v25, v11
	v_mov_b32_e32 v24, v10
.LBB232_2234:                           ;   in Loop: Header=BB232_2076 Depth=1
	s_or_b32 exec_lo, exec_lo, s21
.LBB232_2235:                           ;   in Loop: Header=BB232_2076 Depth=1
	s_or_b32 exec_lo, exec_lo, s20
.LBB232_2236:                           ;   in Loop: Header=BB232_2076 Depth=1
	s_or_b32 exec_lo, exec_lo, s19
	s_mov_b32 s19, exec_lo
	v_cmpx_lt_u32_e32 0xffffff, v8
	s_cbranch_execz .LBB232_2244
; %bb.2237:                             ;   in Loop: Header=BB232_2076 Depth=1
	v_mov_b32_e32 v12, v11
	v_mov_b32_e32 v23, v13
	v_cmp_ne_u32_sdwa s8, v8, v74 src0_sel:BYTE_3 src1_sel:DWORD
	v_mov_b32_e32 v22, v12
	s_and_saveexec_b32 s20, s8
	s_cbranch_execz .LBB232_2243
; %bb.2238:                             ;   in Loop: Header=BB232_2076 Depth=1
	v_mov_b32_e32 v14, v11
	v_mov_b32_e32 v23, v15
	v_bfe_u32 v12, v8, 24, 7
	s_mov_b32 s21, exec_lo
	v_mov_b32_e32 v22, v14
	v_cmpx_ne_u32_e32 0x7f, v12
	s_cbranch_execz .LBB232_2242
; %bb.2239:                             ;   in Loop: Header=BB232_2076 Depth=1
	v_and_b32_sdwa v10, v8, v77 dst_sel:DWORD dst_unused:UNUSED_PAD src0_sel:BYTE_3 src1_sel:DWORD
	v_lshrrev_b32_e32 v9, 3, v12
	s_mov_b32 s22, exec_lo
	v_cmpx_gt_u32_e32 8, v12
; %bb.2240:                             ;   in Loop: Header=BB232_2076 Depth=1
	v_ffbh_u32_e32 v9, v10
	v_min_u32_e32 v9, 32, v9
	v_subrev_nc_u32_e32 v12, 28, v9
	v_sub_nc_u32_e32 v9, 29, v9
	v_lshlrev_b64 v[22:23], v12, v[10:11]
	v_and_b32_e32 v10, 7, v22
; %bb.2241:                             ;   in Loop: Header=BB232_2076 Depth=1
	s_or_b32 exec_lo, exec_lo, s22
	v_lshlrev_b32_sdwa v8, v78, v8 dst_sel:DWORD dst_unused:UNUSED_PAD src0_sel:DWORD src1_sel:BYTE_3
	v_lshlrev_b32_e32 v10, 20, v10
	v_lshl_add_u32 v9, v9, 23, 0x3c000000
	v_mov_b32_e32 v22, v11
	v_and_b32_e32 v8, 0x80000000, v8
	v_or3_b32 v23, v10, v8, v9
.LBB232_2242:                           ;   in Loop: Header=BB232_2076 Depth=1
	s_or_b32 exec_lo, exec_lo, s21
.LBB232_2243:                           ;   in Loop: Header=BB232_2076 Depth=1
	s_or_b32 exec_lo, exec_lo, s20
.LBB232_2244:                           ;   in Loop: Header=BB232_2076 Depth=1
	s_or_b32 exec_lo, exec_lo, s19
	v_or_b32_e32 v8, v21, v19
	v_or_b32_e32 v9, v20, v18
	;; [unrolled: 1-line block ×4, first 2 shown]
	v_mul_f32_e32 v8, v92, v8
	buffer_store_dword v8, off, s[0:3], s32 offset:348 ; 4-byte Folded Spill
	v_mul_f32_e32 v8, v73, v9
	buffer_store_dword v8, off, s[0:3], s32 offset:340 ; 4-byte Folded Spill
	;; [unrolled: 2-line block ×4, first 2 shown]
	s_and_saveexec_b32 s8, s6
	s_cbranch_execz .LBB232_2246
; %bb.2245:                             ;   in Loop: Header=BB232_2076 Depth=1
	buffer_load_dword v8, off, s[0:3], s32 offset:340 ; 4-byte Folded Reload
	s_waitcnt vmcnt(0)
	v_cndmask_b32_e32 v8, 0, v8, vcc_lo
	buffer_store_dword v8, off, s[0:3], s32 offset:340 ; 4-byte Folded Spill
	buffer_load_dword v8, off, s[0:3], s32 offset:348 ; 4-byte Folded Reload
	s_waitcnt vmcnt(0)
	v_cndmask_b32_e64 v8, 0, v8, s4
	buffer_store_dword v8, off, s[0:3], s32 offset:348 ; 4-byte Folded Spill
	buffer_load_dword v8, off, s[0:3], s32 offset:332 ; 4-byte Folded Reload
	s_waitcnt vmcnt(0)
	v_cndmask_b32_e64 v8, 0, v8, s5
	;; [unrolled: 4-line block ×3, first 2 shown]
	buffer_store_dword v8, off, s[0:3], s32 offset:324 ; 4-byte Folded Spill
.LBB232_2246:                           ;   in Loop: Header=BB232_2076 Depth=1
	s_or_b32 exec_lo, exec_lo, s8
	flat_load_dword v8, v[16:17] offset:640
	v_mov_b32_e32 v20, 0
	v_mov_b32_e32 v18, 0
	;; [unrolled: 1-line block ×4, first 2 shown]
	s_waitcnt vmcnt(0) lgkmcnt(0)
	v_cmp_ne_u16_sdwa s8, v8, v11 src0_sel:BYTE_0 src1_sel:DWORD
	s_and_saveexec_b32 s19, s8
	s_cbranch_execz .LBB232_2254
; %bb.2247:                             ;   in Loop: Header=BB232_2076 Depth=1
	v_bfrev_b32_e32 v18, 1
	v_mov_b32_e32 v19, 0
	v_cmp_ne_u16_sdwa s8, v8, v74 src0_sel:BYTE_0 src1_sel:DWORD
	s_and_saveexec_b32 s20, s8
	s_cbranch_execz .LBB232_2253
; %bb.2248:                             ;   in Loop: Header=BB232_2076 Depth=1
	v_mov_b32_e32 v18, 0x7f800001
	v_and_b32_e32 v12, 0x7f, v8
	v_mov_b32_e32 v19, 0
	s_mov_b32 s21, exec_lo
	v_cmpx_ne_u32_e32 0x7f, v12
	s_cbranch_execz .LBB232_2252
; %bb.2249:                             ;   in Loop: Header=BB232_2076 Depth=1
	v_and_b32_e32 v10, 7, v8
	v_lshrrev_b32_e32 v9, 3, v12
	s_mov_b32 s22, exec_lo
	v_cmpx_gt_u32_e32 8, v12
; %bb.2250:                             ;   in Loop: Header=BB232_2076 Depth=1
	v_ffbh_u32_e32 v9, v10
	v_min_u32_e32 v9, 32, v9
	v_subrev_nc_u32_e32 v12, 28, v9
	v_sub_nc_u32_e32 v9, 29, v9
	v_lshlrev_b64 v[18:19], v12, v[10:11]
	v_and_b32_e32 v10, 7, v18
; %bb.2251:                             ;   in Loop: Header=BB232_2076 Depth=1
	s_or_b32 exec_lo, exec_lo, s22
	v_lshlrev_b32_e32 v12, 24, v8
	v_lshlrev_b32_e32 v10, 20, v10
	v_lshl_add_u32 v9, v9, 23, 0x3c000000
	v_and_b32_e32 v12, 0x80000000, v12
	v_or3_b32 v10, v10, v12, v9
	v_mov_b32_e32 v19, v11
	v_mov_b32_e32 v18, v10
.LBB232_2252:                           ;   in Loop: Header=BB232_2076 Depth=1
	s_or_b32 exec_lo, exec_lo, s21
.LBB232_2253:                           ;   in Loop: Header=BB232_2076 Depth=1
	s_or_b32 exec_lo, exec_lo, s20
.LBB232_2254:                           ;   in Loop: Header=BB232_2076 Depth=1
	s_or_b32 exec_lo, exec_lo, s19
	v_cmp_ne_u16_sdwa s8, v8, v11 src0_sel:BYTE_1 src1_sel:DWORD
	s_and_saveexec_b32 s19, s8
	s_cbranch_execz .LBB232_2262
; %bb.2255:                             ;   in Loop: Header=BB232_2076 Depth=1
	v_mov_b32_e32 v12, v11
	v_mov_b32_e32 v21, v13
	v_cmp_ne_u16_sdwa s8, v8, v74 src0_sel:BYTE_1 src1_sel:DWORD
	v_mov_b32_e32 v20, v12
	s_and_saveexec_b32 s20, s8
	s_cbranch_execz .LBB232_2261
; %bb.2256:                             ;   in Loop: Header=BB232_2076 Depth=1
	v_and_b32_sdwa v9, v75, v8 dst_sel:DWORD dst_unused:UNUSED_PAD src0_sel:DWORD src1_sel:BYTE_1
	v_mov_b32_e32 v14, v11
	v_mov_b32_e32 v21, v15
	s_mov_b32 s21, exec_lo
	v_and_b32_e32 v12, 0x7f, v9
	v_mov_b32_e32 v20, v14
	v_cmpx_ne_u32_e32 0x7f, v12
	s_cbranch_execz .LBB232_2260
; %bb.2257:                             ;   in Loop: Header=BB232_2076 Depth=1
	v_and_b32_e32 v10, 7, v9
	v_lshrrev_b32_e32 v9, 3, v12
	s_mov_b32 s22, exec_lo
	v_cmpx_gt_u32_e32 8, v12
; %bb.2258:                             ;   in Loop: Header=BB232_2076 Depth=1
	v_ffbh_u32_e32 v9, v10
	v_min_u32_e32 v9, 32, v9
	v_subrev_nc_u32_e32 v12, 28, v9
	v_sub_nc_u32_e32 v9, 29, v9
	v_lshlrev_b64 v[20:21], v12, v[10:11]
	v_and_b32_e32 v10, 7, v20
; %bb.2259:                             ;   in Loop: Header=BB232_2076 Depth=1
	s_or_b32 exec_lo, exec_lo, s22
	v_lshlrev_b32_e32 v12, 16, v8
	v_lshlrev_b32_e32 v10, 20, v10
	v_lshl_add_u32 v9, v9, 23, 0x3c000000
	v_mov_b32_e32 v20, v11
	v_and_b32_e32 v12, 0x80000000, v12
	v_or3_b32 v21, v10, v12, v9
.LBB232_2260:                           ;   in Loop: Header=BB232_2076 Depth=1
	s_or_b32 exec_lo, exec_lo, s21
.LBB232_2261:                           ;   in Loop: Header=BB232_2076 Depth=1
	s_or_b32 exec_lo, exec_lo, s20
.LBB232_2262:                           ;   in Loop: Header=BB232_2076 Depth=1
	s_or_b32 exec_lo, exec_lo, s19
	v_mov_b32_e32 v22, 0
	v_mov_b32_e32 v24, 0
	v_and_b32_sdwa v9, v8, v76 dst_sel:DWORD dst_unused:UNUSED_PAD src0_sel:WORD_1 src1_sel:DWORD
	v_mov_b32_e32 v23, 0
	v_mov_b32_e32 v25, 0
	s_mov_b32 s19, exec_lo
	v_cmpx_ne_u16_e32 0, v9
	s_cbranch_execz .LBB232_2270
; %bb.2263:                             ;   in Loop: Header=BB232_2076 Depth=1
	v_bfrev_b32_e32 v24, 1
	v_mov_b32_e32 v25, 0
	s_mov_b32 s20, exec_lo
	v_cmpx_ne_u16_e32 0x80, v9
	s_cbranch_execz .LBB232_2269
; %bb.2264:                             ;   in Loop: Header=BB232_2076 Depth=1
	v_mov_b32_e32 v24, 0x7f800001
	v_bfe_u32 v12, v8, 16, 7
	v_mov_b32_e32 v25, 0
	s_mov_b32 s21, exec_lo
	v_cmpx_ne_u32_e32 0x7f, v12
	s_cbranch_execz .LBB232_2268
; %bb.2265:                             ;   in Loop: Header=BB232_2076 Depth=1
	v_and_b32_sdwa v10, v8, v77 dst_sel:DWORD dst_unused:UNUSED_PAD src0_sel:WORD_1 src1_sel:DWORD
	v_lshrrev_b32_e32 v9, 3, v12
	s_mov_b32 s22, exec_lo
	v_cmpx_gt_u32_e32 8, v12
; %bb.2266:                             ;   in Loop: Header=BB232_2076 Depth=1
	v_ffbh_u32_e32 v9, v10
	v_min_u32_e32 v9, 32, v9
	v_subrev_nc_u32_e32 v12, 28, v9
	v_sub_nc_u32_e32 v9, 29, v9
	v_lshlrev_b64 v[24:25], v12, v[10:11]
	v_and_b32_e32 v10, 7, v24
; %bb.2267:                             ;   in Loop: Header=BB232_2076 Depth=1
	s_or_b32 exec_lo, exec_lo, s22
	v_lshlrev_b32_sdwa v12, v78, v8 dst_sel:DWORD dst_unused:UNUSED_PAD src0_sel:DWORD src1_sel:WORD_1
	v_lshlrev_b32_e32 v10, 20, v10
	v_lshl_add_u32 v9, v9, 23, 0x3c000000
	v_and_b32_e32 v12, 0x80000000, v12
	v_or3_b32 v10, v10, v12, v9
	v_mov_b32_e32 v25, v11
	v_mov_b32_e32 v24, v10
.LBB232_2268:                           ;   in Loop: Header=BB232_2076 Depth=1
	s_or_b32 exec_lo, exec_lo, s21
.LBB232_2269:                           ;   in Loop: Header=BB232_2076 Depth=1
	s_or_b32 exec_lo, exec_lo, s20
.LBB232_2270:                           ;   in Loop: Header=BB232_2076 Depth=1
	s_or_b32 exec_lo, exec_lo, s19
	s_mov_b32 s19, exec_lo
	v_cmpx_lt_u32_e32 0xffffff, v8
	s_cbranch_execz .LBB232_2278
; %bb.2271:                             ;   in Loop: Header=BB232_2076 Depth=1
	v_mov_b32_e32 v12, v11
	v_mov_b32_e32 v23, v13
	v_cmp_ne_u32_sdwa s8, v8, v74 src0_sel:BYTE_3 src1_sel:DWORD
	v_mov_b32_e32 v22, v12
	s_and_saveexec_b32 s20, s8
	s_cbranch_execz .LBB232_2277
; %bb.2272:                             ;   in Loop: Header=BB232_2076 Depth=1
	v_mov_b32_e32 v14, v11
	v_mov_b32_e32 v23, v15
	v_bfe_u32 v12, v8, 24, 7
	s_mov_b32 s21, exec_lo
	v_mov_b32_e32 v22, v14
	v_cmpx_ne_u32_e32 0x7f, v12
	s_cbranch_execz .LBB232_2276
; %bb.2273:                             ;   in Loop: Header=BB232_2076 Depth=1
	v_and_b32_sdwa v10, v8, v77 dst_sel:DWORD dst_unused:UNUSED_PAD src0_sel:BYTE_3 src1_sel:DWORD
	v_lshrrev_b32_e32 v9, 3, v12
	s_mov_b32 s22, exec_lo
	v_cmpx_gt_u32_e32 8, v12
; %bb.2274:                             ;   in Loop: Header=BB232_2076 Depth=1
	v_ffbh_u32_e32 v9, v10
	v_min_u32_e32 v9, 32, v9
	v_subrev_nc_u32_e32 v12, 28, v9
	v_sub_nc_u32_e32 v9, 29, v9
	v_lshlrev_b64 v[22:23], v12, v[10:11]
	v_and_b32_e32 v10, 7, v22
; %bb.2275:                             ;   in Loop: Header=BB232_2076 Depth=1
	s_or_b32 exec_lo, exec_lo, s22
	v_lshlrev_b32_sdwa v8, v78, v8 dst_sel:DWORD dst_unused:UNUSED_PAD src0_sel:DWORD src1_sel:BYTE_3
	v_lshlrev_b32_e32 v10, 20, v10
	v_lshl_add_u32 v9, v9, 23, 0x3c000000
	v_mov_b32_e32 v22, v11
	v_and_b32_e32 v8, 0x80000000, v8
	v_or3_b32 v23, v10, v8, v9
.LBB232_2276:                           ;   in Loop: Header=BB232_2076 Depth=1
	s_or_b32 exec_lo, exec_lo, s21
.LBB232_2277:                           ;   in Loop: Header=BB232_2076 Depth=1
	s_or_b32 exec_lo, exec_lo, s20
.LBB232_2278:                           ;   in Loop: Header=BB232_2076 Depth=1
	s_or_b32 exec_lo, exec_lo, s19
	v_or_b32_e32 v8, v21, v19
	v_or_b32_e32 v9, v20, v18
	;; [unrolled: 1-line block ×4, first 2 shown]
	v_mul_f32_e32 v8, v92, v8
	buffer_store_dword v8, off, s[0:3], s32 offset:372 ; 4-byte Folded Spill
	v_mul_f32_e32 v8, v73, v9
	buffer_store_dword v8, off, s[0:3], s32 offset:380 ; 4-byte Folded Spill
	;; [unrolled: 2-line block ×4, first 2 shown]
	s_and_saveexec_b32 s8, s6
	s_cbranch_execz .LBB232_2280
; %bb.2279:                             ;   in Loop: Header=BB232_2076 Depth=1
	buffer_load_dword v8, off, s[0:3], s32 offset:380 ; 4-byte Folded Reload
	s_waitcnt vmcnt(0)
	v_cndmask_b32_e32 v8, 0, v8, vcc_lo
	buffer_store_dword v8, off, s[0:3], s32 offset:380 ; 4-byte Folded Spill
	buffer_load_dword v8, off, s[0:3], s32 offset:372 ; 4-byte Folded Reload
	s_waitcnt vmcnt(0)
	v_cndmask_b32_e64 v8, 0, v8, s4
	buffer_store_dword v8, off, s[0:3], s32 offset:372 ; 4-byte Folded Spill
	buffer_load_dword v8, off, s[0:3], s32 offset:364 ; 4-byte Folded Reload
	s_waitcnt vmcnt(0)
	v_cndmask_b32_e64 v8, 0, v8, s5
	;; [unrolled: 4-line block ×3, first 2 shown]
	buffer_store_dword v8, off, s[0:3], s32 offset:356 ; 4-byte Folded Spill
.LBB232_2280:                           ;   in Loop: Header=BB232_2076 Depth=1
	s_or_b32 exec_lo, exec_lo, s8
	flat_load_dword v8, v[16:17] offset:768
	v_mov_b32_e32 v20, 0
	v_mov_b32_e32 v18, 0
	;; [unrolled: 1-line block ×4, first 2 shown]
	s_waitcnt vmcnt(0) lgkmcnt(0)
	v_cmp_ne_u16_sdwa s8, v8, v11 src0_sel:BYTE_0 src1_sel:DWORD
	s_and_saveexec_b32 s19, s8
	s_cbranch_execz .LBB232_2288
; %bb.2281:                             ;   in Loop: Header=BB232_2076 Depth=1
	v_bfrev_b32_e32 v18, 1
	v_mov_b32_e32 v19, 0
	v_cmp_ne_u16_sdwa s8, v8, v74 src0_sel:BYTE_0 src1_sel:DWORD
	s_and_saveexec_b32 s20, s8
	s_cbranch_execz .LBB232_2287
; %bb.2282:                             ;   in Loop: Header=BB232_2076 Depth=1
	v_mov_b32_e32 v18, 0x7f800001
	v_and_b32_e32 v12, 0x7f, v8
	v_mov_b32_e32 v19, 0
	s_mov_b32 s21, exec_lo
	v_cmpx_ne_u32_e32 0x7f, v12
	s_cbranch_execz .LBB232_2286
; %bb.2283:                             ;   in Loop: Header=BB232_2076 Depth=1
	v_and_b32_e32 v10, 7, v8
	v_lshrrev_b32_e32 v9, 3, v12
	s_mov_b32 s22, exec_lo
	v_cmpx_gt_u32_e32 8, v12
; %bb.2284:                             ;   in Loop: Header=BB232_2076 Depth=1
	v_ffbh_u32_e32 v9, v10
	v_min_u32_e32 v9, 32, v9
	v_subrev_nc_u32_e32 v12, 28, v9
	v_sub_nc_u32_e32 v9, 29, v9
	v_lshlrev_b64 v[18:19], v12, v[10:11]
	v_and_b32_e32 v10, 7, v18
; %bb.2285:                             ;   in Loop: Header=BB232_2076 Depth=1
	s_or_b32 exec_lo, exec_lo, s22
	v_lshlrev_b32_e32 v12, 24, v8
	v_lshlrev_b32_e32 v10, 20, v10
	v_lshl_add_u32 v9, v9, 23, 0x3c000000
	v_and_b32_e32 v12, 0x80000000, v12
	v_or3_b32 v10, v10, v12, v9
	v_mov_b32_e32 v19, v11
	v_mov_b32_e32 v18, v10
.LBB232_2286:                           ;   in Loop: Header=BB232_2076 Depth=1
	s_or_b32 exec_lo, exec_lo, s21
.LBB232_2287:                           ;   in Loop: Header=BB232_2076 Depth=1
	s_or_b32 exec_lo, exec_lo, s20
.LBB232_2288:                           ;   in Loop: Header=BB232_2076 Depth=1
	s_or_b32 exec_lo, exec_lo, s19
	v_cmp_ne_u16_sdwa s8, v8, v11 src0_sel:BYTE_1 src1_sel:DWORD
	s_and_saveexec_b32 s19, s8
	s_cbranch_execz .LBB232_2296
; %bb.2289:                             ;   in Loop: Header=BB232_2076 Depth=1
	v_mov_b32_e32 v12, v11
	v_mov_b32_e32 v21, v13
	v_cmp_ne_u16_sdwa s8, v8, v74 src0_sel:BYTE_1 src1_sel:DWORD
	v_mov_b32_e32 v20, v12
	s_and_saveexec_b32 s20, s8
	s_cbranch_execz .LBB232_2295
; %bb.2290:                             ;   in Loop: Header=BB232_2076 Depth=1
	v_and_b32_sdwa v9, v75, v8 dst_sel:DWORD dst_unused:UNUSED_PAD src0_sel:DWORD src1_sel:BYTE_1
	v_mov_b32_e32 v14, v11
	v_mov_b32_e32 v21, v15
	s_mov_b32 s21, exec_lo
	v_and_b32_e32 v12, 0x7f, v9
	v_mov_b32_e32 v20, v14
	v_cmpx_ne_u32_e32 0x7f, v12
	s_cbranch_execz .LBB232_2294
; %bb.2291:                             ;   in Loop: Header=BB232_2076 Depth=1
	v_and_b32_e32 v10, 7, v9
	v_lshrrev_b32_e32 v9, 3, v12
	s_mov_b32 s22, exec_lo
	v_cmpx_gt_u32_e32 8, v12
; %bb.2292:                             ;   in Loop: Header=BB232_2076 Depth=1
	v_ffbh_u32_e32 v9, v10
	v_min_u32_e32 v9, 32, v9
	v_subrev_nc_u32_e32 v12, 28, v9
	v_sub_nc_u32_e32 v9, 29, v9
	v_lshlrev_b64 v[20:21], v12, v[10:11]
	v_and_b32_e32 v10, 7, v20
; %bb.2293:                             ;   in Loop: Header=BB232_2076 Depth=1
	s_or_b32 exec_lo, exec_lo, s22
	v_lshlrev_b32_e32 v12, 16, v8
	v_lshlrev_b32_e32 v10, 20, v10
	v_lshl_add_u32 v9, v9, 23, 0x3c000000
	v_mov_b32_e32 v20, v11
	v_and_b32_e32 v12, 0x80000000, v12
	v_or3_b32 v21, v10, v12, v9
.LBB232_2294:                           ;   in Loop: Header=BB232_2076 Depth=1
	s_or_b32 exec_lo, exec_lo, s21
.LBB232_2295:                           ;   in Loop: Header=BB232_2076 Depth=1
	s_or_b32 exec_lo, exec_lo, s20
.LBB232_2296:                           ;   in Loop: Header=BB232_2076 Depth=1
	s_or_b32 exec_lo, exec_lo, s19
	v_mov_b32_e32 v22, 0
	v_mov_b32_e32 v24, 0
	v_and_b32_sdwa v9, v8, v76 dst_sel:DWORD dst_unused:UNUSED_PAD src0_sel:WORD_1 src1_sel:DWORD
	v_mov_b32_e32 v23, 0
	v_mov_b32_e32 v25, 0
	s_mov_b32 s19, exec_lo
	v_cmpx_ne_u16_e32 0, v9
	s_cbranch_execz .LBB232_2304
; %bb.2297:                             ;   in Loop: Header=BB232_2076 Depth=1
	v_bfrev_b32_e32 v24, 1
	v_mov_b32_e32 v25, 0
	s_mov_b32 s20, exec_lo
	v_cmpx_ne_u16_e32 0x80, v9
	s_cbranch_execz .LBB232_2303
; %bb.2298:                             ;   in Loop: Header=BB232_2076 Depth=1
	v_mov_b32_e32 v24, 0x7f800001
	v_bfe_u32 v12, v8, 16, 7
	v_mov_b32_e32 v25, 0
	s_mov_b32 s21, exec_lo
	v_cmpx_ne_u32_e32 0x7f, v12
	s_cbranch_execz .LBB232_2302
; %bb.2299:                             ;   in Loop: Header=BB232_2076 Depth=1
	v_and_b32_sdwa v10, v8, v77 dst_sel:DWORD dst_unused:UNUSED_PAD src0_sel:WORD_1 src1_sel:DWORD
	v_lshrrev_b32_e32 v9, 3, v12
	s_mov_b32 s22, exec_lo
	v_cmpx_gt_u32_e32 8, v12
; %bb.2300:                             ;   in Loop: Header=BB232_2076 Depth=1
	v_ffbh_u32_e32 v9, v10
	v_min_u32_e32 v9, 32, v9
	v_subrev_nc_u32_e32 v12, 28, v9
	v_sub_nc_u32_e32 v9, 29, v9
	v_lshlrev_b64 v[24:25], v12, v[10:11]
	v_and_b32_e32 v10, 7, v24
; %bb.2301:                             ;   in Loop: Header=BB232_2076 Depth=1
	s_or_b32 exec_lo, exec_lo, s22
	v_lshlrev_b32_sdwa v12, v78, v8 dst_sel:DWORD dst_unused:UNUSED_PAD src0_sel:DWORD src1_sel:WORD_1
	v_lshlrev_b32_e32 v10, 20, v10
	v_lshl_add_u32 v9, v9, 23, 0x3c000000
	v_and_b32_e32 v12, 0x80000000, v12
	v_or3_b32 v10, v10, v12, v9
	v_mov_b32_e32 v25, v11
	v_mov_b32_e32 v24, v10
.LBB232_2302:                           ;   in Loop: Header=BB232_2076 Depth=1
	s_or_b32 exec_lo, exec_lo, s21
.LBB232_2303:                           ;   in Loop: Header=BB232_2076 Depth=1
	s_or_b32 exec_lo, exec_lo, s20
.LBB232_2304:                           ;   in Loop: Header=BB232_2076 Depth=1
	s_or_b32 exec_lo, exec_lo, s19
	s_mov_b32 s19, exec_lo
	v_cmpx_lt_u32_e32 0xffffff, v8
	s_cbranch_execz .LBB232_2312
; %bb.2305:                             ;   in Loop: Header=BB232_2076 Depth=1
	v_mov_b32_e32 v12, v11
	v_mov_b32_e32 v23, v13
	v_cmp_ne_u32_sdwa s8, v8, v74 src0_sel:BYTE_3 src1_sel:DWORD
	v_mov_b32_e32 v22, v12
	s_and_saveexec_b32 s20, s8
	s_cbranch_execz .LBB232_2311
; %bb.2306:                             ;   in Loop: Header=BB232_2076 Depth=1
	v_mov_b32_e32 v14, v11
	v_mov_b32_e32 v23, v15
	v_bfe_u32 v12, v8, 24, 7
	s_mov_b32 s21, exec_lo
	v_mov_b32_e32 v22, v14
	v_cmpx_ne_u32_e32 0x7f, v12
	s_cbranch_execz .LBB232_2310
; %bb.2307:                             ;   in Loop: Header=BB232_2076 Depth=1
	v_and_b32_sdwa v10, v8, v77 dst_sel:DWORD dst_unused:UNUSED_PAD src0_sel:BYTE_3 src1_sel:DWORD
	v_lshrrev_b32_e32 v9, 3, v12
	s_mov_b32 s22, exec_lo
	v_cmpx_gt_u32_e32 8, v12
; %bb.2308:                             ;   in Loop: Header=BB232_2076 Depth=1
	v_ffbh_u32_e32 v9, v10
	v_min_u32_e32 v9, 32, v9
	v_subrev_nc_u32_e32 v12, 28, v9
	v_sub_nc_u32_e32 v9, 29, v9
	v_lshlrev_b64 v[22:23], v12, v[10:11]
	v_and_b32_e32 v10, 7, v22
; %bb.2309:                             ;   in Loop: Header=BB232_2076 Depth=1
	s_or_b32 exec_lo, exec_lo, s22
	v_lshlrev_b32_sdwa v8, v78, v8 dst_sel:DWORD dst_unused:UNUSED_PAD src0_sel:DWORD src1_sel:BYTE_3
	v_lshlrev_b32_e32 v10, 20, v10
	v_lshl_add_u32 v9, v9, 23, 0x3c000000
	v_mov_b32_e32 v22, v11
	v_and_b32_e32 v8, 0x80000000, v8
	v_or3_b32 v23, v10, v8, v9
.LBB232_2310:                           ;   in Loop: Header=BB232_2076 Depth=1
	s_or_b32 exec_lo, exec_lo, s21
.LBB232_2311:                           ;   in Loop: Header=BB232_2076 Depth=1
	s_or_b32 exec_lo, exec_lo, s20
.LBB232_2312:                           ;   in Loop: Header=BB232_2076 Depth=1
	s_or_b32 exec_lo, exec_lo, s19
	v_or_b32_e32 v8, v21, v19
	v_or_b32_e32 v9, v20, v18
	v_or_b32_e32 v10, v22, v24
	v_or_b32_e32 v12, v23, v25
	v_mul_f32_e32 v8, v92, v8
	buffer_store_dword v8, off, s[0:3], s32 offset:404 ; 4-byte Folded Spill
	v_mul_f32_e32 v8, v73, v9
	buffer_store_dword v8, off, s[0:3], s32 offset:412 ; 4-byte Folded Spill
	;; [unrolled: 2-line block ×4, first 2 shown]
	s_and_saveexec_b32 s8, s6
	s_cbranch_execz .LBB232_2314
; %bb.2313:                             ;   in Loop: Header=BB232_2076 Depth=1
	buffer_load_dword v8, off, s[0:3], s32 offset:412 ; 4-byte Folded Reload
	s_waitcnt vmcnt(0)
	v_cndmask_b32_e32 v8, 0, v8, vcc_lo
	buffer_store_dword v8, off, s[0:3], s32 offset:412 ; 4-byte Folded Spill
	buffer_load_dword v8, off, s[0:3], s32 offset:404 ; 4-byte Folded Reload
	s_waitcnt vmcnt(0)
	v_cndmask_b32_e64 v8, 0, v8, s4
	buffer_store_dword v8, off, s[0:3], s32 offset:404 ; 4-byte Folded Spill
	buffer_load_dword v8, off, s[0:3], s32 offset:396 ; 4-byte Folded Reload
	s_waitcnt vmcnt(0)
	v_cndmask_b32_e64 v8, 0, v8, s5
	;; [unrolled: 4-line block ×3, first 2 shown]
	buffer_store_dword v8, off, s[0:3], s32 offset:388 ; 4-byte Folded Spill
.LBB232_2314:                           ;   in Loop: Header=BB232_2076 Depth=1
	s_or_b32 exec_lo, exec_lo, s8
	flat_load_dword v8, v[16:17] offset:896
	v_mov_b32_e32 v20, 0
	v_mov_b32_e32 v18, 0
	;; [unrolled: 1-line block ×4, first 2 shown]
	s_waitcnt vmcnt(0) lgkmcnt(0)
	v_cmp_ne_u16_sdwa s8, v8, v11 src0_sel:BYTE_0 src1_sel:DWORD
	s_and_saveexec_b32 s19, s8
	s_cbranch_execz .LBB232_2322
; %bb.2315:                             ;   in Loop: Header=BB232_2076 Depth=1
	v_bfrev_b32_e32 v18, 1
	v_mov_b32_e32 v19, 0
	v_cmp_ne_u16_sdwa s8, v8, v74 src0_sel:BYTE_0 src1_sel:DWORD
	s_and_saveexec_b32 s20, s8
	s_cbranch_execz .LBB232_2321
; %bb.2316:                             ;   in Loop: Header=BB232_2076 Depth=1
	v_mov_b32_e32 v18, 0x7f800001
	v_and_b32_e32 v12, 0x7f, v8
	v_mov_b32_e32 v19, 0
	s_mov_b32 s21, exec_lo
	v_cmpx_ne_u32_e32 0x7f, v12
	s_cbranch_execz .LBB232_2320
; %bb.2317:                             ;   in Loop: Header=BB232_2076 Depth=1
	v_and_b32_e32 v10, 7, v8
	v_lshrrev_b32_e32 v9, 3, v12
	s_mov_b32 s22, exec_lo
	v_cmpx_gt_u32_e32 8, v12
; %bb.2318:                             ;   in Loop: Header=BB232_2076 Depth=1
	v_ffbh_u32_e32 v9, v10
	v_min_u32_e32 v9, 32, v9
	v_subrev_nc_u32_e32 v12, 28, v9
	v_sub_nc_u32_e32 v9, 29, v9
	v_lshlrev_b64 v[18:19], v12, v[10:11]
	v_and_b32_e32 v10, 7, v18
; %bb.2319:                             ;   in Loop: Header=BB232_2076 Depth=1
	s_or_b32 exec_lo, exec_lo, s22
	v_lshlrev_b32_e32 v12, 24, v8
	v_lshlrev_b32_e32 v10, 20, v10
	v_lshl_add_u32 v9, v9, 23, 0x3c000000
	v_and_b32_e32 v12, 0x80000000, v12
	v_or3_b32 v10, v10, v12, v9
	v_mov_b32_e32 v19, v11
	v_mov_b32_e32 v18, v10
.LBB232_2320:                           ;   in Loop: Header=BB232_2076 Depth=1
	s_or_b32 exec_lo, exec_lo, s21
.LBB232_2321:                           ;   in Loop: Header=BB232_2076 Depth=1
	s_or_b32 exec_lo, exec_lo, s20
.LBB232_2322:                           ;   in Loop: Header=BB232_2076 Depth=1
	s_or_b32 exec_lo, exec_lo, s19
	v_cmp_ne_u16_sdwa s8, v8, v11 src0_sel:BYTE_1 src1_sel:DWORD
	s_and_saveexec_b32 s19, s8
	s_cbranch_execz .LBB232_2330
; %bb.2323:                             ;   in Loop: Header=BB232_2076 Depth=1
	v_mov_b32_e32 v12, v11
	v_mov_b32_e32 v21, v13
	v_cmp_ne_u16_sdwa s8, v8, v74 src0_sel:BYTE_1 src1_sel:DWORD
	v_mov_b32_e32 v20, v12
	s_and_saveexec_b32 s20, s8
	s_cbranch_execz .LBB232_2329
; %bb.2324:                             ;   in Loop: Header=BB232_2076 Depth=1
	v_and_b32_sdwa v9, v75, v8 dst_sel:DWORD dst_unused:UNUSED_PAD src0_sel:DWORD src1_sel:BYTE_1
	v_mov_b32_e32 v14, v11
	v_mov_b32_e32 v21, v15
	s_mov_b32 s21, exec_lo
	v_and_b32_e32 v12, 0x7f, v9
	v_mov_b32_e32 v20, v14
	v_cmpx_ne_u32_e32 0x7f, v12
	s_cbranch_execz .LBB232_2328
; %bb.2325:                             ;   in Loop: Header=BB232_2076 Depth=1
	v_and_b32_e32 v10, 7, v9
	v_lshrrev_b32_e32 v9, 3, v12
	s_mov_b32 s22, exec_lo
	v_cmpx_gt_u32_e32 8, v12
; %bb.2326:                             ;   in Loop: Header=BB232_2076 Depth=1
	v_ffbh_u32_e32 v9, v10
	v_min_u32_e32 v9, 32, v9
	v_subrev_nc_u32_e32 v12, 28, v9
	v_sub_nc_u32_e32 v9, 29, v9
	v_lshlrev_b64 v[20:21], v12, v[10:11]
	v_and_b32_e32 v10, 7, v20
; %bb.2327:                             ;   in Loop: Header=BB232_2076 Depth=1
	s_or_b32 exec_lo, exec_lo, s22
	v_lshlrev_b32_e32 v12, 16, v8
	v_lshlrev_b32_e32 v10, 20, v10
	v_lshl_add_u32 v9, v9, 23, 0x3c000000
	v_mov_b32_e32 v20, v11
	v_and_b32_e32 v12, 0x80000000, v12
	v_or3_b32 v21, v10, v12, v9
.LBB232_2328:                           ;   in Loop: Header=BB232_2076 Depth=1
	s_or_b32 exec_lo, exec_lo, s21
.LBB232_2329:                           ;   in Loop: Header=BB232_2076 Depth=1
	s_or_b32 exec_lo, exec_lo, s20
.LBB232_2330:                           ;   in Loop: Header=BB232_2076 Depth=1
	s_or_b32 exec_lo, exec_lo, s19
	v_mov_b32_e32 v22, 0
	v_mov_b32_e32 v24, 0
	v_and_b32_sdwa v9, v8, v76 dst_sel:DWORD dst_unused:UNUSED_PAD src0_sel:WORD_1 src1_sel:DWORD
	v_mov_b32_e32 v23, 0
	v_mov_b32_e32 v25, 0
	s_mov_b32 s19, exec_lo
	v_cmpx_ne_u16_e32 0, v9
	s_cbranch_execz .LBB232_2338
; %bb.2331:                             ;   in Loop: Header=BB232_2076 Depth=1
	v_bfrev_b32_e32 v24, 1
	v_mov_b32_e32 v25, 0
	s_mov_b32 s20, exec_lo
	v_cmpx_ne_u16_e32 0x80, v9
	s_cbranch_execz .LBB232_2337
; %bb.2332:                             ;   in Loop: Header=BB232_2076 Depth=1
	v_mov_b32_e32 v24, 0x7f800001
	v_bfe_u32 v12, v8, 16, 7
	v_mov_b32_e32 v25, 0
	s_mov_b32 s21, exec_lo
	v_cmpx_ne_u32_e32 0x7f, v12
	s_cbranch_execz .LBB232_2336
; %bb.2333:                             ;   in Loop: Header=BB232_2076 Depth=1
	v_and_b32_sdwa v10, v8, v77 dst_sel:DWORD dst_unused:UNUSED_PAD src0_sel:WORD_1 src1_sel:DWORD
	v_lshrrev_b32_e32 v9, 3, v12
	s_mov_b32 s22, exec_lo
	v_cmpx_gt_u32_e32 8, v12
; %bb.2334:                             ;   in Loop: Header=BB232_2076 Depth=1
	v_ffbh_u32_e32 v9, v10
	v_min_u32_e32 v9, 32, v9
	v_subrev_nc_u32_e32 v12, 28, v9
	v_sub_nc_u32_e32 v9, 29, v9
	v_lshlrev_b64 v[24:25], v12, v[10:11]
	v_and_b32_e32 v10, 7, v24
; %bb.2335:                             ;   in Loop: Header=BB232_2076 Depth=1
	s_or_b32 exec_lo, exec_lo, s22
	v_lshlrev_b32_sdwa v12, v78, v8 dst_sel:DWORD dst_unused:UNUSED_PAD src0_sel:DWORD src1_sel:WORD_1
	v_lshlrev_b32_e32 v10, 20, v10
	v_lshl_add_u32 v9, v9, 23, 0x3c000000
	v_and_b32_e32 v12, 0x80000000, v12
	v_or3_b32 v10, v10, v12, v9
	v_mov_b32_e32 v25, v11
	v_mov_b32_e32 v24, v10
.LBB232_2336:                           ;   in Loop: Header=BB232_2076 Depth=1
	s_or_b32 exec_lo, exec_lo, s21
.LBB232_2337:                           ;   in Loop: Header=BB232_2076 Depth=1
	s_or_b32 exec_lo, exec_lo, s20
.LBB232_2338:                           ;   in Loop: Header=BB232_2076 Depth=1
	s_or_b32 exec_lo, exec_lo, s19
	s_mov_b32 s19, exec_lo
	v_cmpx_lt_u32_e32 0xffffff, v8
	s_cbranch_execz .LBB232_2346
; %bb.2339:                             ;   in Loop: Header=BB232_2076 Depth=1
	v_mov_b32_e32 v12, v11
	v_mov_b32_e32 v23, v13
	v_cmp_ne_u32_sdwa s8, v8, v74 src0_sel:BYTE_3 src1_sel:DWORD
	v_mov_b32_e32 v22, v12
	s_and_saveexec_b32 s20, s8
	s_cbranch_execz .LBB232_2345
; %bb.2340:                             ;   in Loop: Header=BB232_2076 Depth=1
	v_mov_b32_e32 v14, v11
	v_mov_b32_e32 v23, v15
	v_bfe_u32 v12, v8, 24, 7
	s_mov_b32 s21, exec_lo
	v_mov_b32_e32 v22, v14
	v_cmpx_ne_u32_e32 0x7f, v12
	s_cbranch_execz .LBB232_2344
; %bb.2341:                             ;   in Loop: Header=BB232_2076 Depth=1
	v_and_b32_sdwa v10, v8, v77 dst_sel:DWORD dst_unused:UNUSED_PAD src0_sel:BYTE_3 src1_sel:DWORD
	v_lshrrev_b32_e32 v9, 3, v12
	s_mov_b32 s22, exec_lo
	v_cmpx_gt_u32_e32 8, v12
; %bb.2342:                             ;   in Loop: Header=BB232_2076 Depth=1
	v_ffbh_u32_e32 v9, v10
	v_min_u32_e32 v9, 32, v9
	v_subrev_nc_u32_e32 v12, 28, v9
	v_sub_nc_u32_e32 v9, 29, v9
	v_lshlrev_b64 v[22:23], v12, v[10:11]
	v_and_b32_e32 v10, 7, v22
; %bb.2343:                             ;   in Loop: Header=BB232_2076 Depth=1
	s_or_b32 exec_lo, exec_lo, s22
	v_lshlrev_b32_sdwa v8, v78, v8 dst_sel:DWORD dst_unused:UNUSED_PAD src0_sel:DWORD src1_sel:BYTE_3
	v_lshlrev_b32_e32 v10, 20, v10
	v_lshl_add_u32 v9, v9, 23, 0x3c000000
	v_mov_b32_e32 v22, v11
	v_and_b32_e32 v8, 0x80000000, v8
	v_or3_b32 v23, v10, v8, v9
.LBB232_2344:                           ;   in Loop: Header=BB232_2076 Depth=1
	s_or_b32 exec_lo, exec_lo, s21
.LBB232_2345:                           ;   in Loop: Header=BB232_2076 Depth=1
	s_or_b32 exec_lo, exec_lo, s20
.LBB232_2346:                           ;   in Loop: Header=BB232_2076 Depth=1
	s_or_b32 exec_lo, exec_lo, s19
	v_or_b32_e32 v8, v21, v19
	v_or_b32_e32 v9, v20, v18
	;; [unrolled: 1-line block ×4, first 2 shown]
	v_mul_f32_e32 v8, v92, v8
	buffer_store_dword v8, off, s[0:3], s32 offset:436 ; 4-byte Folded Spill
	v_mul_f32_e32 v8, v73, v9
	buffer_store_dword v8, off, s[0:3], s32 offset:444 ; 4-byte Folded Spill
	;; [unrolled: 2-line block ×4, first 2 shown]
	s_and_saveexec_b32 s8, s6
	s_cbranch_execz .LBB232_2348
; %bb.2347:                             ;   in Loop: Header=BB232_2076 Depth=1
	buffer_load_dword v8, off, s[0:3], s32 offset:444 ; 4-byte Folded Reload
	s_waitcnt vmcnt(0)
	v_cndmask_b32_e32 v8, 0, v8, vcc_lo
	buffer_store_dword v8, off, s[0:3], s32 offset:444 ; 4-byte Folded Spill
	buffer_load_dword v8, off, s[0:3], s32 offset:436 ; 4-byte Folded Reload
	s_waitcnt vmcnt(0)
	v_cndmask_b32_e64 v8, 0, v8, s4
	buffer_store_dword v8, off, s[0:3], s32 offset:436 ; 4-byte Folded Spill
	buffer_load_dword v8, off, s[0:3], s32 offset:428 ; 4-byte Folded Reload
	s_waitcnt vmcnt(0)
	v_cndmask_b32_e64 v8, 0, v8, s5
	;; [unrolled: 4-line block ×3, first 2 shown]
	buffer_store_dword v8, off, s[0:3], s32 offset:420 ; 4-byte Folded Spill
.LBB232_2348:                           ;   in Loop: Header=BB232_2076 Depth=1
	s_or_b32 exec_lo, exec_lo, s8
	flat_load_dword v8, v[16:17] offset:1024
	v_mov_b32_e32 v20, 0
	v_mov_b32_e32 v18, 0
	;; [unrolled: 1-line block ×4, first 2 shown]
	s_waitcnt vmcnt(0) lgkmcnt(0)
	v_cmp_ne_u16_sdwa s8, v8, v11 src0_sel:BYTE_0 src1_sel:DWORD
	s_and_saveexec_b32 s19, s8
	s_cbranch_execz .LBB232_2356
; %bb.2349:                             ;   in Loop: Header=BB232_2076 Depth=1
	v_bfrev_b32_e32 v18, 1
	v_mov_b32_e32 v19, 0
	v_cmp_ne_u16_sdwa s8, v8, v74 src0_sel:BYTE_0 src1_sel:DWORD
	s_and_saveexec_b32 s20, s8
	s_cbranch_execz .LBB232_2355
; %bb.2350:                             ;   in Loop: Header=BB232_2076 Depth=1
	v_mov_b32_e32 v18, 0x7f800001
	v_and_b32_e32 v12, 0x7f, v8
	v_mov_b32_e32 v19, 0
	s_mov_b32 s21, exec_lo
	v_cmpx_ne_u32_e32 0x7f, v12
	s_cbranch_execz .LBB232_2354
; %bb.2351:                             ;   in Loop: Header=BB232_2076 Depth=1
	v_and_b32_e32 v10, 7, v8
	v_lshrrev_b32_e32 v9, 3, v12
	s_mov_b32 s22, exec_lo
	v_cmpx_gt_u32_e32 8, v12
; %bb.2352:                             ;   in Loop: Header=BB232_2076 Depth=1
	v_ffbh_u32_e32 v9, v10
	v_min_u32_e32 v9, 32, v9
	v_subrev_nc_u32_e32 v12, 28, v9
	v_sub_nc_u32_e32 v9, 29, v9
	v_lshlrev_b64 v[18:19], v12, v[10:11]
	v_and_b32_e32 v10, 7, v18
; %bb.2353:                             ;   in Loop: Header=BB232_2076 Depth=1
	s_or_b32 exec_lo, exec_lo, s22
	v_lshlrev_b32_e32 v12, 24, v8
	v_lshlrev_b32_e32 v10, 20, v10
	v_lshl_add_u32 v9, v9, 23, 0x3c000000
	v_and_b32_e32 v12, 0x80000000, v12
	v_or3_b32 v10, v10, v12, v9
	v_mov_b32_e32 v19, v11
	v_mov_b32_e32 v18, v10
.LBB232_2354:                           ;   in Loop: Header=BB232_2076 Depth=1
	s_or_b32 exec_lo, exec_lo, s21
.LBB232_2355:                           ;   in Loop: Header=BB232_2076 Depth=1
	s_or_b32 exec_lo, exec_lo, s20
.LBB232_2356:                           ;   in Loop: Header=BB232_2076 Depth=1
	s_or_b32 exec_lo, exec_lo, s19
	v_cmp_ne_u16_sdwa s8, v8, v11 src0_sel:BYTE_1 src1_sel:DWORD
	s_and_saveexec_b32 s19, s8
	s_cbranch_execz .LBB232_2364
; %bb.2357:                             ;   in Loop: Header=BB232_2076 Depth=1
	v_mov_b32_e32 v12, v11
	v_mov_b32_e32 v21, v13
	v_cmp_ne_u16_sdwa s8, v8, v74 src0_sel:BYTE_1 src1_sel:DWORD
	v_mov_b32_e32 v20, v12
	s_and_saveexec_b32 s20, s8
	s_cbranch_execz .LBB232_2363
; %bb.2358:                             ;   in Loop: Header=BB232_2076 Depth=1
	v_and_b32_sdwa v9, v75, v8 dst_sel:DWORD dst_unused:UNUSED_PAD src0_sel:DWORD src1_sel:BYTE_1
	v_mov_b32_e32 v14, v11
	v_mov_b32_e32 v21, v15
	s_mov_b32 s21, exec_lo
	v_and_b32_e32 v12, 0x7f, v9
	v_mov_b32_e32 v20, v14
	v_cmpx_ne_u32_e32 0x7f, v12
	s_cbranch_execz .LBB232_2362
; %bb.2359:                             ;   in Loop: Header=BB232_2076 Depth=1
	v_and_b32_e32 v10, 7, v9
	v_lshrrev_b32_e32 v9, 3, v12
	s_mov_b32 s22, exec_lo
	v_cmpx_gt_u32_e32 8, v12
; %bb.2360:                             ;   in Loop: Header=BB232_2076 Depth=1
	v_ffbh_u32_e32 v9, v10
	v_min_u32_e32 v9, 32, v9
	v_subrev_nc_u32_e32 v12, 28, v9
	v_sub_nc_u32_e32 v9, 29, v9
	v_lshlrev_b64 v[20:21], v12, v[10:11]
	v_and_b32_e32 v10, 7, v20
; %bb.2361:                             ;   in Loop: Header=BB232_2076 Depth=1
	s_or_b32 exec_lo, exec_lo, s22
	v_lshlrev_b32_e32 v12, 16, v8
	v_lshlrev_b32_e32 v10, 20, v10
	v_lshl_add_u32 v9, v9, 23, 0x3c000000
	v_mov_b32_e32 v20, v11
	v_and_b32_e32 v12, 0x80000000, v12
	v_or3_b32 v21, v10, v12, v9
.LBB232_2362:                           ;   in Loop: Header=BB232_2076 Depth=1
	s_or_b32 exec_lo, exec_lo, s21
.LBB232_2363:                           ;   in Loop: Header=BB232_2076 Depth=1
	s_or_b32 exec_lo, exec_lo, s20
.LBB232_2364:                           ;   in Loop: Header=BB232_2076 Depth=1
	s_or_b32 exec_lo, exec_lo, s19
	v_mov_b32_e32 v22, 0
	v_mov_b32_e32 v24, 0
	v_and_b32_sdwa v9, v8, v76 dst_sel:DWORD dst_unused:UNUSED_PAD src0_sel:WORD_1 src1_sel:DWORD
	v_mov_b32_e32 v23, 0
	v_mov_b32_e32 v25, 0
	s_mov_b32 s19, exec_lo
	v_cmpx_ne_u16_e32 0, v9
	s_cbranch_execz .LBB232_2372
; %bb.2365:                             ;   in Loop: Header=BB232_2076 Depth=1
	v_bfrev_b32_e32 v24, 1
	v_mov_b32_e32 v25, 0
	s_mov_b32 s20, exec_lo
	v_cmpx_ne_u16_e32 0x80, v9
	s_cbranch_execz .LBB232_2371
; %bb.2366:                             ;   in Loop: Header=BB232_2076 Depth=1
	v_mov_b32_e32 v24, 0x7f800001
	v_bfe_u32 v12, v8, 16, 7
	v_mov_b32_e32 v25, 0
	s_mov_b32 s21, exec_lo
	v_cmpx_ne_u32_e32 0x7f, v12
	s_cbranch_execz .LBB232_2370
; %bb.2367:                             ;   in Loop: Header=BB232_2076 Depth=1
	v_and_b32_sdwa v10, v8, v77 dst_sel:DWORD dst_unused:UNUSED_PAD src0_sel:WORD_1 src1_sel:DWORD
	v_lshrrev_b32_e32 v9, 3, v12
	s_mov_b32 s22, exec_lo
	v_cmpx_gt_u32_e32 8, v12
; %bb.2368:                             ;   in Loop: Header=BB232_2076 Depth=1
	v_ffbh_u32_e32 v9, v10
	v_min_u32_e32 v9, 32, v9
	v_subrev_nc_u32_e32 v12, 28, v9
	v_sub_nc_u32_e32 v9, 29, v9
	v_lshlrev_b64 v[24:25], v12, v[10:11]
	v_and_b32_e32 v10, 7, v24
; %bb.2369:                             ;   in Loop: Header=BB232_2076 Depth=1
	s_or_b32 exec_lo, exec_lo, s22
	v_lshlrev_b32_sdwa v12, v78, v8 dst_sel:DWORD dst_unused:UNUSED_PAD src0_sel:DWORD src1_sel:WORD_1
	v_lshlrev_b32_e32 v10, 20, v10
	v_lshl_add_u32 v9, v9, 23, 0x3c000000
	v_and_b32_e32 v12, 0x80000000, v12
	v_or3_b32 v10, v10, v12, v9
	v_mov_b32_e32 v25, v11
	v_mov_b32_e32 v24, v10
.LBB232_2370:                           ;   in Loop: Header=BB232_2076 Depth=1
	s_or_b32 exec_lo, exec_lo, s21
.LBB232_2371:                           ;   in Loop: Header=BB232_2076 Depth=1
	s_or_b32 exec_lo, exec_lo, s20
.LBB232_2372:                           ;   in Loop: Header=BB232_2076 Depth=1
	s_or_b32 exec_lo, exec_lo, s19
	s_mov_b32 s19, exec_lo
	v_cmpx_lt_u32_e32 0xffffff, v8
	s_cbranch_execz .LBB232_2380
; %bb.2373:                             ;   in Loop: Header=BB232_2076 Depth=1
	v_mov_b32_e32 v12, v11
	v_mov_b32_e32 v23, v13
	v_cmp_ne_u32_sdwa s8, v8, v74 src0_sel:BYTE_3 src1_sel:DWORD
	v_mov_b32_e32 v22, v12
	s_and_saveexec_b32 s20, s8
	s_cbranch_execz .LBB232_2379
; %bb.2374:                             ;   in Loop: Header=BB232_2076 Depth=1
	v_mov_b32_e32 v14, v11
	v_mov_b32_e32 v23, v15
	v_bfe_u32 v12, v8, 24, 7
	s_mov_b32 s21, exec_lo
	v_mov_b32_e32 v22, v14
	v_cmpx_ne_u32_e32 0x7f, v12
	s_cbranch_execz .LBB232_2378
; %bb.2375:                             ;   in Loop: Header=BB232_2076 Depth=1
	v_and_b32_sdwa v10, v8, v77 dst_sel:DWORD dst_unused:UNUSED_PAD src0_sel:BYTE_3 src1_sel:DWORD
	v_lshrrev_b32_e32 v9, 3, v12
	s_mov_b32 s22, exec_lo
	v_cmpx_gt_u32_e32 8, v12
; %bb.2376:                             ;   in Loop: Header=BB232_2076 Depth=1
	v_ffbh_u32_e32 v9, v10
	v_min_u32_e32 v9, 32, v9
	v_subrev_nc_u32_e32 v12, 28, v9
	v_sub_nc_u32_e32 v9, 29, v9
	v_lshlrev_b64 v[22:23], v12, v[10:11]
	v_and_b32_e32 v10, 7, v22
; %bb.2377:                             ;   in Loop: Header=BB232_2076 Depth=1
	s_or_b32 exec_lo, exec_lo, s22
	v_lshlrev_b32_sdwa v8, v78, v8 dst_sel:DWORD dst_unused:UNUSED_PAD src0_sel:DWORD src1_sel:BYTE_3
	v_lshlrev_b32_e32 v10, 20, v10
	v_lshl_add_u32 v9, v9, 23, 0x3c000000
	v_mov_b32_e32 v22, v11
	v_and_b32_e32 v8, 0x80000000, v8
	v_or3_b32 v23, v10, v8, v9
.LBB232_2378:                           ;   in Loop: Header=BB232_2076 Depth=1
	s_or_b32 exec_lo, exec_lo, s21
.LBB232_2379:                           ;   in Loop: Header=BB232_2076 Depth=1
	s_or_b32 exec_lo, exec_lo, s20
.LBB232_2380:                           ;   in Loop: Header=BB232_2076 Depth=1
	s_or_b32 exec_lo, exec_lo, s19
	v_or_b32_e32 v8, v21, v19
	v_or_b32_e32 v9, v20, v18
	;; [unrolled: 1-line block ×4, first 2 shown]
	v_mul_f32_e32 v8, v92, v8
	buffer_store_dword v8, off, s[0:3], s32 offset:476 ; 4-byte Folded Spill
	v_mul_f32_e32 v8, v73, v9
	buffer_store_dword v8, off, s[0:3], s32 offset:468 ; 4-byte Folded Spill
	;; [unrolled: 2-line block ×4, first 2 shown]
	s_and_saveexec_b32 s8, s6
	s_cbranch_execz .LBB232_2382
; %bb.2381:                             ;   in Loop: Header=BB232_2076 Depth=1
	buffer_load_dword v8, off, s[0:3], s32 offset:468 ; 4-byte Folded Reload
	s_waitcnt vmcnt(0)
	v_cndmask_b32_e32 v8, 0, v8, vcc_lo
	buffer_store_dword v8, off, s[0:3], s32 offset:468 ; 4-byte Folded Spill
	buffer_load_dword v8, off, s[0:3], s32 offset:476 ; 4-byte Folded Reload
	s_waitcnt vmcnt(0)
	v_cndmask_b32_e64 v8, 0, v8, s4
	buffer_store_dword v8, off, s[0:3], s32 offset:476 ; 4-byte Folded Spill
	buffer_load_dword v8, off, s[0:3], s32 offset:460 ; 4-byte Folded Reload
	s_waitcnt vmcnt(0)
	v_cndmask_b32_e64 v8, 0, v8, s5
	;; [unrolled: 4-line block ×3, first 2 shown]
	buffer_store_dword v8, off, s[0:3], s32 offset:452 ; 4-byte Folded Spill
.LBB232_2382:                           ;   in Loop: Header=BB232_2076 Depth=1
	s_or_b32 exec_lo, exec_lo, s8
	flat_load_dword v8, v[16:17] offset:1152
	v_mov_b32_e32 v20, 0
	v_mov_b32_e32 v18, 0
	;; [unrolled: 1-line block ×4, first 2 shown]
	s_waitcnt vmcnt(0) lgkmcnt(0)
	v_cmp_ne_u16_sdwa s8, v8, v11 src0_sel:BYTE_0 src1_sel:DWORD
	s_and_saveexec_b32 s19, s8
	s_cbranch_execz .LBB232_2390
; %bb.2383:                             ;   in Loop: Header=BB232_2076 Depth=1
	v_bfrev_b32_e32 v18, 1
	v_mov_b32_e32 v19, 0
	v_cmp_ne_u16_sdwa s8, v8, v74 src0_sel:BYTE_0 src1_sel:DWORD
	s_and_saveexec_b32 s20, s8
	s_cbranch_execz .LBB232_2389
; %bb.2384:                             ;   in Loop: Header=BB232_2076 Depth=1
	v_mov_b32_e32 v18, 0x7f800001
	v_and_b32_e32 v12, 0x7f, v8
	v_mov_b32_e32 v19, 0
	s_mov_b32 s21, exec_lo
	v_cmpx_ne_u32_e32 0x7f, v12
	s_cbranch_execz .LBB232_2388
; %bb.2385:                             ;   in Loop: Header=BB232_2076 Depth=1
	v_and_b32_e32 v10, 7, v8
	v_lshrrev_b32_e32 v9, 3, v12
	s_mov_b32 s22, exec_lo
	v_cmpx_gt_u32_e32 8, v12
; %bb.2386:                             ;   in Loop: Header=BB232_2076 Depth=1
	v_ffbh_u32_e32 v9, v10
	v_min_u32_e32 v9, 32, v9
	v_subrev_nc_u32_e32 v12, 28, v9
	v_sub_nc_u32_e32 v9, 29, v9
	v_lshlrev_b64 v[18:19], v12, v[10:11]
	v_and_b32_e32 v10, 7, v18
; %bb.2387:                             ;   in Loop: Header=BB232_2076 Depth=1
	s_or_b32 exec_lo, exec_lo, s22
	v_lshlrev_b32_e32 v12, 24, v8
	v_lshlrev_b32_e32 v10, 20, v10
	v_lshl_add_u32 v9, v9, 23, 0x3c000000
	v_and_b32_e32 v12, 0x80000000, v12
	v_or3_b32 v10, v10, v12, v9
	v_mov_b32_e32 v19, v11
	v_mov_b32_e32 v18, v10
.LBB232_2388:                           ;   in Loop: Header=BB232_2076 Depth=1
	s_or_b32 exec_lo, exec_lo, s21
.LBB232_2389:                           ;   in Loop: Header=BB232_2076 Depth=1
	s_or_b32 exec_lo, exec_lo, s20
.LBB232_2390:                           ;   in Loop: Header=BB232_2076 Depth=1
	s_or_b32 exec_lo, exec_lo, s19
	v_cmp_ne_u16_sdwa s8, v8, v11 src0_sel:BYTE_1 src1_sel:DWORD
	s_and_saveexec_b32 s19, s8
	s_cbranch_execz .LBB232_2398
; %bb.2391:                             ;   in Loop: Header=BB232_2076 Depth=1
	v_mov_b32_e32 v12, v11
	v_mov_b32_e32 v21, v13
	v_cmp_ne_u16_sdwa s8, v8, v74 src0_sel:BYTE_1 src1_sel:DWORD
	v_mov_b32_e32 v20, v12
	s_and_saveexec_b32 s20, s8
	s_cbranch_execz .LBB232_2397
; %bb.2392:                             ;   in Loop: Header=BB232_2076 Depth=1
	v_and_b32_sdwa v9, v75, v8 dst_sel:DWORD dst_unused:UNUSED_PAD src0_sel:DWORD src1_sel:BYTE_1
	v_mov_b32_e32 v14, v11
	v_mov_b32_e32 v21, v15
	s_mov_b32 s21, exec_lo
	v_and_b32_e32 v12, 0x7f, v9
	v_mov_b32_e32 v20, v14
	v_cmpx_ne_u32_e32 0x7f, v12
	s_cbranch_execz .LBB232_2396
; %bb.2393:                             ;   in Loop: Header=BB232_2076 Depth=1
	v_and_b32_e32 v10, 7, v9
	v_lshrrev_b32_e32 v9, 3, v12
	s_mov_b32 s22, exec_lo
	v_cmpx_gt_u32_e32 8, v12
; %bb.2394:                             ;   in Loop: Header=BB232_2076 Depth=1
	v_ffbh_u32_e32 v9, v10
	v_min_u32_e32 v9, 32, v9
	v_subrev_nc_u32_e32 v12, 28, v9
	v_sub_nc_u32_e32 v9, 29, v9
	v_lshlrev_b64 v[20:21], v12, v[10:11]
	v_and_b32_e32 v10, 7, v20
; %bb.2395:                             ;   in Loop: Header=BB232_2076 Depth=1
	s_or_b32 exec_lo, exec_lo, s22
	v_lshlrev_b32_e32 v12, 16, v8
	v_lshlrev_b32_e32 v10, 20, v10
	v_lshl_add_u32 v9, v9, 23, 0x3c000000
	v_mov_b32_e32 v20, v11
	v_and_b32_e32 v12, 0x80000000, v12
	v_or3_b32 v21, v10, v12, v9
.LBB232_2396:                           ;   in Loop: Header=BB232_2076 Depth=1
	s_or_b32 exec_lo, exec_lo, s21
.LBB232_2397:                           ;   in Loop: Header=BB232_2076 Depth=1
	s_or_b32 exec_lo, exec_lo, s20
.LBB232_2398:                           ;   in Loop: Header=BB232_2076 Depth=1
	s_or_b32 exec_lo, exec_lo, s19
	v_mov_b32_e32 v22, 0
	v_mov_b32_e32 v24, 0
	v_and_b32_sdwa v9, v8, v76 dst_sel:DWORD dst_unused:UNUSED_PAD src0_sel:WORD_1 src1_sel:DWORD
	v_mov_b32_e32 v23, 0
	v_mov_b32_e32 v25, 0
	s_mov_b32 s19, exec_lo
	v_cmpx_ne_u16_e32 0, v9
	s_cbranch_execz .LBB232_2406
; %bb.2399:                             ;   in Loop: Header=BB232_2076 Depth=1
	v_bfrev_b32_e32 v24, 1
	v_mov_b32_e32 v25, 0
	s_mov_b32 s20, exec_lo
	v_cmpx_ne_u16_e32 0x80, v9
	s_cbranch_execz .LBB232_2405
; %bb.2400:                             ;   in Loop: Header=BB232_2076 Depth=1
	v_mov_b32_e32 v24, 0x7f800001
	v_bfe_u32 v12, v8, 16, 7
	v_mov_b32_e32 v25, 0
	s_mov_b32 s21, exec_lo
	v_cmpx_ne_u32_e32 0x7f, v12
	s_cbranch_execz .LBB232_2404
; %bb.2401:                             ;   in Loop: Header=BB232_2076 Depth=1
	v_and_b32_sdwa v10, v8, v77 dst_sel:DWORD dst_unused:UNUSED_PAD src0_sel:WORD_1 src1_sel:DWORD
	v_lshrrev_b32_e32 v9, 3, v12
	s_mov_b32 s22, exec_lo
	v_cmpx_gt_u32_e32 8, v12
; %bb.2402:                             ;   in Loop: Header=BB232_2076 Depth=1
	v_ffbh_u32_e32 v9, v10
	v_min_u32_e32 v9, 32, v9
	v_subrev_nc_u32_e32 v12, 28, v9
	v_sub_nc_u32_e32 v9, 29, v9
	v_lshlrev_b64 v[24:25], v12, v[10:11]
	v_and_b32_e32 v10, 7, v24
; %bb.2403:                             ;   in Loop: Header=BB232_2076 Depth=1
	s_or_b32 exec_lo, exec_lo, s22
	v_lshlrev_b32_sdwa v12, v78, v8 dst_sel:DWORD dst_unused:UNUSED_PAD src0_sel:DWORD src1_sel:WORD_1
	v_lshlrev_b32_e32 v10, 20, v10
	v_lshl_add_u32 v9, v9, 23, 0x3c000000
	v_and_b32_e32 v12, 0x80000000, v12
	v_or3_b32 v10, v10, v12, v9
	v_mov_b32_e32 v25, v11
	v_mov_b32_e32 v24, v10
.LBB232_2404:                           ;   in Loop: Header=BB232_2076 Depth=1
	s_or_b32 exec_lo, exec_lo, s21
.LBB232_2405:                           ;   in Loop: Header=BB232_2076 Depth=1
	s_or_b32 exec_lo, exec_lo, s20
.LBB232_2406:                           ;   in Loop: Header=BB232_2076 Depth=1
	s_or_b32 exec_lo, exec_lo, s19
	s_mov_b32 s19, exec_lo
	v_cmpx_lt_u32_e32 0xffffff, v8
	s_cbranch_execz .LBB232_2414
; %bb.2407:                             ;   in Loop: Header=BB232_2076 Depth=1
	v_mov_b32_e32 v12, v11
	v_mov_b32_e32 v23, v13
	v_cmp_ne_u32_sdwa s8, v8, v74 src0_sel:BYTE_3 src1_sel:DWORD
	v_mov_b32_e32 v22, v12
	s_and_saveexec_b32 s20, s8
	s_cbranch_execz .LBB232_2413
; %bb.2408:                             ;   in Loop: Header=BB232_2076 Depth=1
	v_mov_b32_e32 v14, v11
	v_mov_b32_e32 v23, v15
	v_bfe_u32 v12, v8, 24, 7
	s_mov_b32 s21, exec_lo
	v_mov_b32_e32 v22, v14
	v_cmpx_ne_u32_e32 0x7f, v12
	s_cbranch_execz .LBB232_2412
; %bb.2409:                             ;   in Loop: Header=BB232_2076 Depth=1
	v_and_b32_sdwa v10, v8, v77 dst_sel:DWORD dst_unused:UNUSED_PAD src0_sel:BYTE_3 src1_sel:DWORD
	v_lshrrev_b32_e32 v9, 3, v12
	s_mov_b32 s22, exec_lo
	v_cmpx_gt_u32_e32 8, v12
; %bb.2410:                             ;   in Loop: Header=BB232_2076 Depth=1
	v_ffbh_u32_e32 v9, v10
	v_min_u32_e32 v9, 32, v9
	v_subrev_nc_u32_e32 v12, 28, v9
	v_sub_nc_u32_e32 v9, 29, v9
	v_lshlrev_b64 v[22:23], v12, v[10:11]
	v_and_b32_e32 v10, 7, v22
; %bb.2411:                             ;   in Loop: Header=BB232_2076 Depth=1
	s_or_b32 exec_lo, exec_lo, s22
	v_lshlrev_b32_sdwa v8, v78, v8 dst_sel:DWORD dst_unused:UNUSED_PAD src0_sel:DWORD src1_sel:BYTE_3
	v_lshlrev_b32_e32 v10, 20, v10
	v_lshl_add_u32 v9, v9, 23, 0x3c000000
	v_mov_b32_e32 v22, v11
	v_and_b32_e32 v8, 0x80000000, v8
	v_or3_b32 v23, v10, v8, v9
.LBB232_2412:                           ;   in Loop: Header=BB232_2076 Depth=1
	s_or_b32 exec_lo, exec_lo, s21
.LBB232_2413:                           ;   in Loop: Header=BB232_2076 Depth=1
	s_or_b32 exec_lo, exec_lo, s20
.LBB232_2414:                           ;   in Loop: Header=BB232_2076 Depth=1
	s_or_b32 exec_lo, exec_lo, s19
	v_or_b32_e32 v8, v21, v19
	v_or_b32_e32 v9, v20, v18
	;; [unrolled: 1-line block ×4, first 2 shown]
	v_mul_f32_e32 v8, v92, v8
	buffer_store_dword v8, off, s[0:3], s32 offset:508 ; 4-byte Folded Spill
	v_mul_f32_e32 v8, v73, v9
	buffer_store_dword v8, off, s[0:3], s32 offset:500 ; 4-byte Folded Spill
	;; [unrolled: 2-line block ×4, first 2 shown]
	s_and_saveexec_b32 s8, s6
	s_cbranch_execz .LBB232_2416
; %bb.2415:                             ;   in Loop: Header=BB232_2076 Depth=1
	buffer_load_dword v8, off, s[0:3], s32 offset:500 ; 4-byte Folded Reload
	s_waitcnt vmcnt(0)
	v_cndmask_b32_e32 v8, 0, v8, vcc_lo
	buffer_store_dword v8, off, s[0:3], s32 offset:500 ; 4-byte Folded Spill
	buffer_load_dword v8, off, s[0:3], s32 offset:508 ; 4-byte Folded Reload
	s_waitcnt vmcnt(0)
	v_cndmask_b32_e64 v8, 0, v8, s4
	buffer_store_dword v8, off, s[0:3], s32 offset:508 ; 4-byte Folded Spill
	buffer_load_dword v8, off, s[0:3], s32 offset:492 ; 4-byte Folded Reload
	s_waitcnt vmcnt(0)
	v_cndmask_b32_e64 v8, 0, v8, s5
	;; [unrolled: 4-line block ×3, first 2 shown]
	buffer_store_dword v8, off, s[0:3], s32 offset:484 ; 4-byte Folded Spill
.LBB232_2416:                           ;   in Loop: Header=BB232_2076 Depth=1
	s_or_b32 exec_lo, exec_lo, s8
	flat_load_dword v8, v[16:17] offset:1280
	v_mov_b32_e32 v20, 0
	v_mov_b32_e32 v18, 0
	;; [unrolled: 1-line block ×4, first 2 shown]
	s_waitcnt vmcnt(0) lgkmcnt(0)
	v_cmp_ne_u16_sdwa s8, v8, v11 src0_sel:BYTE_0 src1_sel:DWORD
	s_and_saveexec_b32 s19, s8
	s_cbranch_execz .LBB232_2424
; %bb.2417:                             ;   in Loop: Header=BB232_2076 Depth=1
	v_bfrev_b32_e32 v18, 1
	v_mov_b32_e32 v19, 0
	v_cmp_ne_u16_sdwa s8, v8, v74 src0_sel:BYTE_0 src1_sel:DWORD
	s_and_saveexec_b32 s20, s8
	s_cbranch_execz .LBB232_2423
; %bb.2418:                             ;   in Loop: Header=BB232_2076 Depth=1
	v_mov_b32_e32 v18, 0x7f800001
	v_and_b32_e32 v12, 0x7f, v8
	v_mov_b32_e32 v19, 0
	s_mov_b32 s21, exec_lo
	v_cmpx_ne_u32_e32 0x7f, v12
	s_cbranch_execz .LBB232_2422
; %bb.2419:                             ;   in Loop: Header=BB232_2076 Depth=1
	v_and_b32_e32 v10, 7, v8
	v_lshrrev_b32_e32 v9, 3, v12
	s_mov_b32 s22, exec_lo
	v_cmpx_gt_u32_e32 8, v12
; %bb.2420:                             ;   in Loop: Header=BB232_2076 Depth=1
	v_ffbh_u32_e32 v9, v10
	v_min_u32_e32 v9, 32, v9
	v_subrev_nc_u32_e32 v12, 28, v9
	v_sub_nc_u32_e32 v9, 29, v9
	v_lshlrev_b64 v[18:19], v12, v[10:11]
	v_and_b32_e32 v10, 7, v18
; %bb.2421:                             ;   in Loop: Header=BB232_2076 Depth=1
	s_or_b32 exec_lo, exec_lo, s22
	v_lshlrev_b32_e32 v12, 24, v8
	v_lshlrev_b32_e32 v10, 20, v10
	v_lshl_add_u32 v9, v9, 23, 0x3c000000
	v_and_b32_e32 v12, 0x80000000, v12
	v_or3_b32 v10, v10, v12, v9
	v_mov_b32_e32 v19, v11
	v_mov_b32_e32 v18, v10
.LBB232_2422:                           ;   in Loop: Header=BB232_2076 Depth=1
	s_or_b32 exec_lo, exec_lo, s21
.LBB232_2423:                           ;   in Loop: Header=BB232_2076 Depth=1
	s_or_b32 exec_lo, exec_lo, s20
.LBB232_2424:                           ;   in Loop: Header=BB232_2076 Depth=1
	s_or_b32 exec_lo, exec_lo, s19
	v_cmp_ne_u16_sdwa s8, v8, v11 src0_sel:BYTE_1 src1_sel:DWORD
	s_and_saveexec_b32 s19, s8
	s_cbranch_execz .LBB232_2432
; %bb.2425:                             ;   in Loop: Header=BB232_2076 Depth=1
	v_mov_b32_e32 v12, v11
	v_mov_b32_e32 v21, v13
	v_cmp_ne_u16_sdwa s8, v8, v74 src0_sel:BYTE_1 src1_sel:DWORD
	v_mov_b32_e32 v20, v12
	s_and_saveexec_b32 s20, s8
	s_cbranch_execz .LBB232_2431
; %bb.2426:                             ;   in Loop: Header=BB232_2076 Depth=1
	v_and_b32_sdwa v9, v75, v8 dst_sel:DWORD dst_unused:UNUSED_PAD src0_sel:DWORD src1_sel:BYTE_1
	v_mov_b32_e32 v14, v11
	v_mov_b32_e32 v21, v15
	s_mov_b32 s21, exec_lo
	v_and_b32_e32 v12, 0x7f, v9
	v_mov_b32_e32 v20, v14
	v_cmpx_ne_u32_e32 0x7f, v12
	s_cbranch_execz .LBB232_2430
; %bb.2427:                             ;   in Loop: Header=BB232_2076 Depth=1
	v_and_b32_e32 v10, 7, v9
	v_lshrrev_b32_e32 v9, 3, v12
	s_mov_b32 s22, exec_lo
	v_cmpx_gt_u32_e32 8, v12
; %bb.2428:                             ;   in Loop: Header=BB232_2076 Depth=1
	v_ffbh_u32_e32 v9, v10
	v_min_u32_e32 v9, 32, v9
	v_subrev_nc_u32_e32 v12, 28, v9
	v_sub_nc_u32_e32 v9, 29, v9
	v_lshlrev_b64 v[20:21], v12, v[10:11]
	v_and_b32_e32 v10, 7, v20
; %bb.2429:                             ;   in Loop: Header=BB232_2076 Depth=1
	s_or_b32 exec_lo, exec_lo, s22
	v_lshlrev_b32_e32 v12, 16, v8
	v_lshlrev_b32_e32 v10, 20, v10
	v_lshl_add_u32 v9, v9, 23, 0x3c000000
	v_mov_b32_e32 v20, v11
	v_and_b32_e32 v12, 0x80000000, v12
	v_or3_b32 v21, v10, v12, v9
.LBB232_2430:                           ;   in Loop: Header=BB232_2076 Depth=1
	s_or_b32 exec_lo, exec_lo, s21
.LBB232_2431:                           ;   in Loop: Header=BB232_2076 Depth=1
	s_or_b32 exec_lo, exec_lo, s20
.LBB232_2432:                           ;   in Loop: Header=BB232_2076 Depth=1
	s_or_b32 exec_lo, exec_lo, s19
	v_mov_b32_e32 v22, 0
	v_mov_b32_e32 v24, 0
	v_and_b32_sdwa v9, v8, v76 dst_sel:DWORD dst_unused:UNUSED_PAD src0_sel:WORD_1 src1_sel:DWORD
	v_mov_b32_e32 v23, 0
	v_mov_b32_e32 v25, 0
	s_mov_b32 s19, exec_lo
	v_cmpx_ne_u16_e32 0, v9
	s_cbranch_execz .LBB232_2440
; %bb.2433:                             ;   in Loop: Header=BB232_2076 Depth=1
	v_bfrev_b32_e32 v24, 1
	v_mov_b32_e32 v25, 0
	s_mov_b32 s20, exec_lo
	v_cmpx_ne_u16_e32 0x80, v9
	s_cbranch_execz .LBB232_2439
; %bb.2434:                             ;   in Loop: Header=BB232_2076 Depth=1
	v_mov_b32_e32 v24, 0x7f800001
	v_bfe_u32 v12, v8, 16, 7
	v_mov_b32_e32 v25, 0
	s_mov_b32 s21, exec_lo
	v_cmpx_ne_u32_e32 0x7f, v12
	s_cbranch_execz .LBB232_2438
; %bb.2435:                             ;   in Loop: Header=BB232_2076 Depth=1
	v_and_b32_sdwa v10, v8, v77 dst_sel:DWORD dst_unused:UNUSED_PAD src0_sel:WORD_1 src1_sel:DWORD
	v_lshrrev_b32_e32 v9, 3, v12
	s_mov_b32 s22, exec_lo
	v_cmpx_gt_u32_e32 8, v12
; %bb.2436:                             ;   in Loop: Header=BB232_2076 Depth=1
	v_ffbh_u32_e32 v9, v10
	v_min_u32_e32 v9, 32, v9
	v_subrev_nc_u32_e32 v12, 28, v9
	v_sub_nc_u32_e32 v9, 29, v9
	v_lshlrev_b64 v[24:25], v12, v[10:11]
	v_and_b32_e32 v10, 7, v24
; %bb.2437:                             ;   in Loop: Header=BB232_2076 Depth=1
	s_or_b32 exec_lo, exec_lo, s22
	v_lshlrev_b32_sdwa v12, v78, v8 dst_sel:DWORD dst_unused:UNUSED_PAD src0_sel:DWORD src1_sel:WORD_1
	v_lshlrev_b32_e32 v10, 20, v10
	v_lshl_add_u32 v9, v9, 23, 0x3c000000
	v_and_b32_e32 v12, 0x80000000, v12
	v_or3_b32 v10, v10, v12, v9
	v_mov_b32_e32 v25, v11
	v_mov_b32_e32 v24, v10
.LBB232_2438:                           ;   in Loop: Header=BB232_2076 Depth=1
	s_or_b32 exec_lo, exec_lo, s21
.LBB232_2439:                           ;   in Loop: Header=BB232_2076 Depth=1
	s_or_b32 exec_lo, exec_lo, s20
.LBB232_2440:                           ;   in Loop: Header=BB232_2076 Depth=1
	s_or_b32 exec_lo, exec_lo, s19
	s_mov_b32 s19, exec_lo
	v_cmpx_lt_u32_e32 0xffffff, v8
	s_cbranch_execz .LBB232_2448
; %bb.2441:                             ;   in Loop: Header=BB232_2076 Depth=1
	v_mov_b32_e32 v12, v11
	v_mov_b32_e32 v23, v13
	v_cmp_ne_u32_sdwa s8, v8, v74 src0_sel:BYTE_3 src1_sel:DWORD
	v_mov_b32_e32 v22, v12
	s_and_saveexec_b32 s20, s8
	s_cbranch_execz .LBB232_2447
; %bb.2442:                             ;   in Loop: Header=BB232_2076 Depth=1
	v_mov_b32_e32 v14, v11
	v_mov_b32_e32 v23, v15
	v_bfe_u32 v12, v8, 24, 7
	s_mov_b32 s21, exec_lo
	v_mov_b32_e32 v22, v14
	v_cmpx_ne_u32_e32 0x7f, v12
	s_cbranch_execz .LBB232_2446
; %bb.2443:                             ;   in Loop: Header=BB232_2076 Depth=1
	v_and_b32_sdwa v10, v8, v77 dst_sel:DWORD dst_unused:UNUSED_PAD src0_sel:BYTE_3 src1_sel:DWORD
	v_lshrrev_b32_e32 v9, 3, v12
	s_mov_b32 s22, exec_lo
	v_cmpx_gt_u32_e32 8, v12
; %bb.2444:                             ;   in Loop: Header=BB232_2076 Depth=1
	v_ffbh_u32_e32 v9, v10
	v_min_u32_e32 v9, 32, v9
	v_subrev_nc_u32_e32 v12, 28, v9
	v_sub_nc_u32_e32 v9, 29, v9
	v_lshlrev_b64 v[22:23], v12, v[10:11]
	v_and_b32_e32 v10, 7, v22
; %bb.2445:                             ;   in Loop: Header=BB232_2076 Depth=1
	s_or_b32 exec_lo, exec_lo, s22
	v_lshlrev_b32_sdwa v8, v78, v8 dst_sel:DWORD dst_unused:UNUSED_PAD src0_sel:DWORD src1_sel:BYTE_3
	v_lshlrev_b32_e32 v10, 20, v10
	v_lshl_add_u32 v9, v9, 23, 0x3c000000
	v_mov_b32_e32 v22, v11
	v_and_b32_e32 v8, 0x80000000, v8
	v_or3_b32 v23, v10, v8, v9
.LBB232_2446:                           ;   in Loop: Header=BB232_2076 Depth=1
	s_or_b32 exec_lo, exec_lo, s21
.LBB232_2447:                           ;   in Loop: Header=BB232_2076 Depth=1
	s_or_b32 exec_lo, exec_lo, s20
.LBB232_2448:                           ;   in Loop: Header=BB232_2076 Depth=1
	s_or_b32 exec_lo, exec_lo, s19
	v_or_b32_e32 v8, v21, v19
	v_or_b32_e32 v9, v20, v18
	;; [unrolled: 1-line block ×4, first 2 shown]
	v_mul_f32_e32 v8, v92, v8
	buffer_store_dword v8, off, s[0:3], s32 offset:540 ; 4-byte Folded Spill
	v_mul_f32_e32 v8, v73, v9
	buffer_store_dword v8, off, s[0:3], s32 offset:532 ; 4-byte Folded Spill
	;; [unrolled: 2-line block ×4, first 2 shown]
	s_and_saveexec_b32 s8, s6
	s_cbranch_execz .LBB232_2450
; %bb.2449:                             ;   in Loop: Header=BB232_2076 Depth=1
	buffer_load_dword v8, off, s[0:3], s32 offset:532 ; 4-byte Folded Reload
	s_waitcnt vmcnt(0)
	v_cndmask_b32_e32 v8, 0, v8, vcc_lo
	buffer_store_dword v8, off, s[0:3], s32 offset:532 ; 4-byte Folded Spill
	buffer_load_dword v8, off, s[0:3], s32 offset:540 ; 4-byte Folded Reload
	s_waitcnt vmcnt(0)
	v_cndmask_b32_e64 v8, 0, v8, s4
	buffer_store_dword v8, off, s[0:3], s32 offset:540 ; 4-byte Folded Spill
	buffer_load_dword v8, off, s[0:3], s32 offset:524 ; 4-byte Folded Reload
	s_waitcnt vmcnt(0)
	v_cndmask_b32_e64 v8, 0, v8, s5
	;; [unrolled: 4-line block ×3, first 2 shown]
	buffer_store_dword v8, off, s[0:3], s32 offset:516 ; 4-byte Folded Spill
.LBB232_2450:                           ;   in Loop: Header=BB232_2076 Depth=1
	s_or_b32 exec_lo, exec_lo, s8
	flat_load_dword v8, v[16:17] offset:1408
	v_mov_b32_e32 v20, 0
	v_mov_b32_e32 v18, 0
	;; [unrolled: 1-line block ×4, first 2 shown]
	s_waitcnt vmcnt(0) lgkmcnt(0)
	v_cmp_ne_u16_sdwa s8, v8, v11 src0_sel:BYTE_0 src1_sel:DWORD
	s_and_saveexec_b32 s19, s8
	s_cbranch_execz .LBB232_2458
; %bb.2451:                             ;   in Loop: Header=BB232_2076 Depth=1
	v_bfrev_b32_e32 v18, 1
	v_mov_b32_e32 v19, 0
	v_cmp_ne_u16_sdwa s8, v8, v74 src0_sel:BYTE_0 src1_sel:DWORD
	s_and_saveexec_b32 s20, s8
	s_cbranch_execz .LBB232_2457
; %bb.2452:                             ;   in Loop: Header=BB232_2076 Depth=1
	v_mov_b32_e32 v18, 0x7f800001
	v_and_b32_e32 v12, 0x7f, v8
	v_mov_b32_e32 v19, 0
	s_mov_b32 s21, exec_lo
	v_cmpx_ne_u32_e32 0x7f, v12
	s_cbranch_execz .LBB232_2456
; %bb.2453:                             ;   in Loop: Header=BB232_2076 Depth=1
	v_and_b32_e32 v10, 7, v8
	v_lshrrev_b32_e32 v9, 3, v12
	s_mov_b32 s22, exec_lo
	v_cmpx_gt_u32_e32 8, v12
; %bb.2454:                             ;   in Loop: Header=BB232_2076 Depth=1
	v_ffbh_u32_e32 v9, v10
	v_min_u32_e32 v9, 32, v9
	v_subrev_nc_u32_e32 v12, 28, v9
	v_sub_nc_u32_e32 v9, 29, v9
	v_lshlrev_b64 v[18:19], v12, v[10:11]
	v_and_b32_e32 v10, 7, v18
; %bb.2455:                             ;   in Loop: Header=BB232_2076 Depth=1
	s_or_b32 exec_lo, exec_lo, s22
	v_lshlrev_b32_e32 v12, 24, v8
	v_lshlrev_b32_e32 v10, 20, v10
	v_lshl_add_u32 v9, v9, 23, 0x3c000000
	v_and_b32_e32 v12, 0x80000000, v12
	v_or3_b32 v10, v10, v12, v9
	v_mov_b32_e32 v19, v11
	v_mov_b32_e32 v18, v10
.LBB232_2456:                           ;   in Loop: Header=BB232_2076 Depth=1
	s_or_b32 exec_lo, exec_lo, s21
.LBB232_2457:                           ;   in Loop: Header=BB232_2076 Depth=1
	s_or_b32 exec_lo, exec_lo, s20
.LBB232_2458:                           ;   in Loop: Header=BB232_2076 Depth=1
	s_or_b32 exec_lo, exec_lo, s19
	v_cmp_ne_u16_sdwa s8, v8, v11 src0_sel:BYTE_1 src1_sel:DWORD
	s_and_saveexec_b32 s19, s8
	s_cbranch_execz .LBB232_2466
; %bb.2459:                             ;   in Loop: Header=BB232_2076 Depth=1
	v_mov_b32_e32 v12, v11
	v_mov_b32_e32 v21, v13
	v_cmp_ne_u16_sdwa s8, v8, v74 src0_sel:BYTE_1 src1_sel:DWORD
	v_mov_b32_e32 v20, v12
	s_and_saveexec_b32 s20, s8
	s_cbranch_execz .LBB232_2465
; %bb.2460:                             ;   in Loop: Header=BB232_2076 Depth=1
	v_and_b32_sdwa v9, v75, v8 dst_sel:DWORD dst_unused:UNUSED_PAD src0_sel:DWORD src1_sel:BYTE_1
	v_mov_b32_e32 v14, v11
	v_mov_b32_e32 v21, v15
	s_mov_b32 s21, exec_lo
	v_and_b32_e32 v12, 0x7f, v9
	v_mov_b32_e32 v20, v14
	v_cmpx_ne_u32_e32 0x7f, v12
	s_cbranch_execz .LBB232_2464
; %bb.2461:                             ;   in Loop: Header=BB232_2076 Depth=1
	v_and_b32_e32 v10, 7, v9
	v_lshrrev_b32_e32 v9, 3, v12
	s_mov_b32 s22, exec_lo
	v_cmpx_gt_u32_e32 8, v12
; %bb.2462:                             ;   in Loop: Header=BB232_2076 Depth=1
	v_ffbh_u32_e32 v9, v10
	v_min_u32_e32 v9, 32, v9
	v_subrev_nc_u32_e32 v12, 28, v9
	v_sub_nc_u32_e32 v9, 29, v9
	v_lshlrev_b64 v[20:21], v12, v[10:11]
	v_and_b32_e32 v10, 7, v20
; %bb.2463:                             ;   in Loop: Header=BB232_2076 Depth=1
	s_or_b32 exec_lo, exec_lo, s22
	v_lshlrev_b32_e32 v12, 16, v8
	v_lshlrev_b32_e32 v10, 20, v10
	v_lshl_add_u32 v9, v9, 23, 0x3c000000
	v_mov_b32_e32 v20, v11
	v_and_b32_e32 v12, 0x80000000, v12
	v_or3_b32 v21, v10, v12, v9
.LBB232_2464:                           ;   in Loop: Header=BB232_2076 Depth=1
	s_or_b32 exec_lo, exec_lo, s21
.LBB232_2465:                           ;   in Loop: Header=BB232_2076 Depth=1
	s_or_b32 exec_lo, exec_lo, s20
.LBB232_2466:                           ;   in Loop: Header=BB232_2076 Depth=1
	s_or_b32 exec_lo, exec_lo, s19
	v_mov_b32_e32 v22, 0
	v_mov_b32_e32 v24, 0
	v_and_b32_sdwa v9, v8, v76 dst_sel:DWORD dst_unused:UNUSED_PAD src0_sel:WORD_1 src1_sel:DWORD
	v_mov_b32_e32 v23, 0
	v_mov_b32_e32 v25, 0
	s_mov_b32 s19, exec_lo
	v_cmpx_ne_u16_e32 0, v9
	s_cbranch_execz .LBB232_2474
; %bb.2467:                             ;   in Loop: Header=BB232_2076 Depth=1
	v_bfrev_b32_e32 v24, 1
	v_mov_b32_e32 v25, 0
	s_mov_b32 s20, exec_lo
	v_cmpx_ne_u16_e32 0x80, v9
	s_cbranch_execz .LBB232_2473
; %bb.2468:                             ;   in Loop: Header=BB232_2076 Depth=1
	v_mov_b32_e32 v24, 0x7f800001
	v_bfe_u32 v12, v8, 16, 7
	v_mov_b32_e32 v25, 0
	s_mov_b32 s21, exec_lo
	v_cmpx_ne_u32_e32 0x7f, v12
	s_cbranch_execz .LBB232_2472
; %bb.2469:                             ;   in Loop: Header=BB232_2076 Depth=1
	v_and_b32_sdwa v10, v8, v77 dst_sel:DWORD dst_unused:UNUSED_PAD src0_sel:WORD_1 src1_sel:DWORD
	v_lshrrev_b32_e32 v9, 3, v12
	s_mov_b32 s22, exec_lo
	v_cmpx_gt_u32_e32 8, v12
; %bb.2470:                             ;   in Loop: Header=BB232_2076 Depth=1
	v_ffbh_u32_e32 v9, v10
	v_min_u32_e32 v9, 32, v9
	v_subrev_nc_u32_e32 v12, 28, v9
	v_sub_nc_u32_e32 v9, 29, v9
	v_lshlrev_b64 v[24:25], v12, v[10:11]
	v_and_b32_e32 v10, 7, v24
; %bb.2471:                             ;   in Loop: Header=BB232_2076 Depth=1
	s_or_b32 exec_lo, exec_lo, s22
	v_lshlrev_b32_sdwa v12, v78, v8 dst_sel:DWORD dst_unused:UNUSED_PAD src0_sel:DWORD src1_sel:WORD_1
	v_lshlrev_b32_e32 v10, 20, v10
	v_lshl_add_u32 v9, v9, 23, 0x3c000000
	v_and_b32_e32 v12, 0x80000000, v12
	v_or3_b32 v10, v10, v12, v9
	v_mov_b32_e32 v25, v11
	v_mov_b32_e32 v24, v10
.LBB232_2472:                           ;   in Loop: Header=BB232_2076 Depth=1
	s_or_b32 exec_lo, exec_lo, s21
.LBB232_2473:                           ;   in Loop: Header=BB232_2076 Depth=1
	s_or_b32 exec_lo, exec_lo, s20
.LBB232_2474:                           ;   in Loop: Header=BB232_2076 Depth=1
	s_or_b32 exec_lo, exec_lo, s19
	s_mov_b32 s19, exec_lo
	v_cmpx_lt_u32_e32 0xffffff, v8
	s_cbranch_execz .LBB232_2482
; %bb.2475:                             ;   in Loop: Header=BB232_2076 Depth=1
	v_mov_b32_e32 v12, v11
	v_mov_b32_e32 v23, v13
	v_cmp_ne_u32_sdwa s8, v8, v74 src0_sel:BYTE_3 src1_sel:DWORD
	v_mov_b32_e32 v22, v12
	s_and_saveexec_b32 s20, s8
	s_cbranch_execz .LBB232_2481
; %bb.2476:                             ;   in Loop: Header=BB232_2076 Depth=1
	v_mov_b32_e32 v14, v11
	v_mov_b32_e32 v23, v15
	v_bfe_u32 v12, v8, 24, 7
	s_mov_b32 s21, exec_lo
	v_mov_b32_e32 v22, v14
	v_cmpx_ne_u32_e32 0x7f, v12
	s_cbranch_execz .LBB232_2480
; %bb.2477:                             ;   in Loop: Header=BB232_2076 Depth=1
	v_and_b32_sdwa v10, v8, v77 dst_sel:DWORD dst_unused:UNUSED_PAD src0_sel:BYTE_3 src1_sel:DWORD
	v_lshrrev_b32_e32 v9, 3, v12
	s_mov_b32 s22, exec_lo
	v_cmpx_gt_u32_e32 8, v12
; %bb.2478:                             ;   in Loop: Header=BB232_2076 Depth=1
	v_ffbh_u32_e32 v9, v10
	v_min_u32_e32 v9, 32, v9
	v_subrev_nc_u32_e32 v12, 28, v9
	v_sub_nc_u32_e32 v9, 29, v9
	v_lshlrev_b64 v[22:23], v12, v[10:11]
	v_and_b32_e32 v10, 7, v22
; %bb.2479:                             ;   in Loop: Header=BB232_2076 Depth=1
	s_or_b32 exec_lo, exec_lo, s22
	v_lshlrev_b32_sdwa v8, v78, v8 dst_sel:DWORD dst_unused:UNUSED_PAD src0_sel:DWORD src1_sel:BYTE_3
	v_lshlrev_b32_e32 v10, 20, v10
	v_lshl_add_u32 v9, v9, 23, 0x3c000000
	v_mov_b32_e32 v22, v11
	v_and_b32_e32 v8, 0x80000000, v8
	v_or3_b32 v23, v10, v8, v9
.LBB232_2480:                           ;   in Loop: Header=BB232_2076 Depth=1
	s_or_b32 exec_lo, exec_lo, s21
.LBB232_2481:                           ;   in Loop: Header=BB232_2076 Depth=1
	s_or_b32 exec_lo, exec_lo, s20
.LBB232_2482:                           ;   in Loop: Header=BB232_2076 Depth=1
	s_or_b32 exec_lo, exec_lo, s19
	v_or_b32_e32 v8, v21, v19
	v_or_b32_e32 v9, v20, v18
	;; [unrolled: 1-line block ×4, first 2 shown]
	v_mul_f32_e32 v8, v92, v8
	buffer_store_dword v8, off, s[0:3], s32 offset:572 ; 4-byte Folded Spill
	v_mul_f32_e32 v8, v73, v9
	buffer_store_dword v8, off, s[0:3], s32 offset:564 ; 4-byte Folded Spill
	;; [unrolled: 2-line block ×4, first 2 shown]
	s_and_saveexec_b32 s8, s6
	s_cbranch_execz .LBB232_2484
; %bb.2483:                             ;   in Loop: Header=BB232_2076 Depth=1
	buffer_load_dword v8, off, s[0:3], s32 offset:564 ; 4-byte Folded Reload
	s_waitcnt vmcnt(0)
	v_cndmask_b32_e32 v8, 0, v8, vcc_lo
	buffer_store_dword v8, off, s[0:3], s32 offset:564 ; 4-byte Folded Spill
	buffer_load_dword v8, off, s[0:3], s32 offset:572 ; 4-byte Folded Reload
	s_waitcnt vmcnt(0)
	v_cndmask_b32_e64 v8, 0, v8, s4
	buffer_store_dword v8, off, s[0:3], s32 offset:572 ; 4-byte Folded Spill
	buffer_load_dword v8, off, s[0:3], s32 offset:556 ; 4-byte Folded Reload
	s_waitcnt vmcnt(0)
	v_cndmask_b32_e64 v8, 0, v8, s5
	;; [unrolled: 4-line block ×3, first 2 shown]
	buffer_store_dword v8, off, s[0:3], s32 offset:548 ; 4-byte Folded Spill
.LBB232_2484:                           ;   in Loop: Header=BB232_2076 Depth=1
	s_or_b32 exec_lo, exec_lo, s8
	flat_load_dword v8, v[16:17] offset:1536
	v_mov_b32_e32 v20, 0
	v_mov_b32_e32 v18, 0
	;; [unrolled: 1-line block ×4, first 2 shown]
	s_waitcnt vmcnt(0) lgkmcnt(0)
	v_cmp_ne_u16_sdwa s8, v8, v11 src0_sel:BYTE_0 src1_sel:DWORD
	s_and_saveexec_b32 s19, s8
	s_cbranch_execz .LBB232_2492
; %bb.2485:                             ;   in Loop: Header=BB232_2076 Depth=1
	v_bfrev_b32_e32 v18, 1
	v_mov_b32_e32 v19, 0
	v_cmp_ne_u16_sdwa s8, v8, v74 src0_sel:BYTE_0 src1_sel:DWORD
	s_and_saveexec_b32 s20, s8
	s_cbranch_execz .LBB232_2491
; %bb.2486:                             ;   in Loop: Header=BB232_2076 Depth=1
	v_mov_b32_e32 v18, 0x7f800001
	v_and_b32_e32 v12, 0x7f, v8
	v_mov_b32_e32 v19, 0
	s_mov_b32 s21, exec_lo
	v_cmpx_ne_u32_e32 0x7f, v12
	s_cbranch_execz .LBB232_2490
; %bb.2487:                             ;   in Loop: Header=BB232_2076 Depth=1
	v_and_b32_e32 v10, 7, v8
	v_lshrrev_b32_e32 v9, 3, v12
	s_mov_b32 s22, exec_lo
	v_cmpx_gt_u32_e32 8, v12
; %bb.2488:                             ;   in Loop: Header=BB232_2076 Depth=1
	v_ffbh_u32_e32 v9, v10
	v_min_u32_e32 v9, 32, v9
	v_subrev_nc_u32_e32 v12, 28, v9
	v_sub_nc_u32_e32 v9, 29, v9
	v_lshlrev_b64 v[18:19], v12, v[10:11]
	v_and_b32_e32 v10, 7, v18
; %bb.2489:                             ;   in Loop: Header=BB232_2076 Depth=1
	s_or_b32 exec_lo, exec_lo, s22
	v_lshlrev_b32_e32 v12, 24, v8
	v_lshlrev_b32_e32 v10, 20, v10
	v_lshl_add_u32 v9, v9, 23, 0x3c000000
	v_and_b32_e32 v12, 0x80000000, v12
	v_or3_b32 v10, v10, v12, v9
	v_mov_b32_e32 v19, v11
	v_mov_b32_e32 v18, v10
.LBB232_2490:                           ;   in Loop: Header=BB232_2076 Depth=1
	s_or_b32 exec_lo, exec_lo, s21
.LBB232_2491:                           ;   in Loop: Header=BB232_2076 Depth=1
	s_or_b32 exec_lo, exec_lo, s20
.LBB232_2492:                           ;   in Loop: Header=BB232_2076 Depth=1
	s_or_b32 exec_lo, exec_lo, s19
	v_cmp_ne_u16_sdwa s8, v8, v11 src0_sel:BYTE_1 src1_sel:DWORD
	s_and_saveexec_b32 s19, s8
	s_cbranch_execz .LBB232_2500
; %bb.2493:                             ;   in Loop: Header=BB232_2076 Depth=1
	v_mov_b32_e32 v12, v11
	v_mov_b32_e32 v21, v13
	v_cmp_ne_u16_sdwa s8, v8, v74 src0_sel:BYTE_1 src1_sel:DWORD
	v_mov_b32_e32 v20, v12
	s_and_saveexec_b32 s20, s8
	s_cbranch_execz .LBB232_2499
; %bb.2494:                             ;   in Loop: Header=BB232_2076 Depth=1
	v_and_b32_sdwa v9, v75, v8 dst_sel:DWORD dst_unused:UNUSED_PAD src0_sel:DWORD src1_sel:BYTE_1
	v_mov_b32_e32 v14, v11
	v_mov_b32_e32 v21, v15
	s_mov_b32 s21, exec_lo
	v_and_b32_e32 v12, 0x7f, v9
	v_mov_b32_e32 v20, v14
	v_cmpx_ne_u32_e32 0x7f, v12
	s_cbranch_execz .LBB232_2498
; %bb.2495:                             ;   in Loop: Header=BB232_2076 Depth=1
	v_and_b32_e32 v10, 7, v9
	v_lshrrev_b32_e32 v9, 3, v12
	s_mov_b32 s22, exec_lo
	v_cmpx_gt_u32_e32 8, v12
; %bb.2496:                             ;   in Loop: Header=BB232_2076 Depth=1
	v_ffbh_u32_e32 v9, v10
	v_min_u32_e32 v9, 32, v9
	v_subrev_nc_u32_e32 v12, 28, v9
	v_sub_nc_u32_e32 v9, 29, v9
	v_lshlrev_b64 v[20:21], v12, v[10:11]
	v_and_b32_e32 v10, 7, v20
; %bb.2497:                             ;   in Loop: Header=BB232_2076 Depth=1
	s_or_b32 exec_lo, exec_lo, s22
	v_lshlrev_b32_e32 v12, 16, v8
	v_lshlrev_b32_e32 v10, 20, v10
	v_lshl_add_u32 v9, v9, 23, 0x3c000000
	v_mov_b32_e32 v20, v11
	v_and_b32_e32 v12, 0x80000000, v12
	v_or3_b32 v21, v10, v12, v9
.LBB232_2498:                           ;   in Loop: Header=BB232_2076 Depth=1
	s_or_b32 exec_lo, exec_lo, s21
.LBB232_2499:                           ;   in Loop: Header=BB232_2076 Depth=1
	s_or_b32 exec_lo, exec_lo, s20
.LBB232_2500:                           ;   in Loop: Header=BB232_2076 Depth=1
	s_or_b32 exec_lo, exec_lo, s19
	v_mov_b32_e32 v22, 0
	v_mov_b32_e32 v24, 0
	v_and_b32_sdwa v9, v8, v76 dst_sel:DWORD dst_unused:UNUSED_PAD src0_sel:WORD_1 src1_sel:DWORD
	v_mov_b32_e32 v23, 0
	v_mov_b32_e32 v25, 0
	s_mov_b32 s19, exec_lo
	v_cmpx_ne_u16_e32 0, v9
	s_cbranch_execz .LBB232_2508
; %bb.2501:                             ;   in Loop: Header=BB232_2076 Depth=1
	v_bfrev_b32_e32 v24, 1
	v_mov_b32_e32 v25, 0
	s_mov_b32 s20, exec_lo
	v_cmpx_ne_u16_e32 0x80, v9
	s_cbranch_execz .LBB232_2507
; %bb.2502:                             ;   in Loop: Header=BB232_2076 Depth=1
	v_mov_b32_e32 v24, 0x7f800001
	v_bfe_u32 v12, v8, 16, 7
	v_mov_b32_e32 v25, 0
	s_mov_b32 s21, exec_lo
	v_cmpx_ne_u32_e32 0x7f, v12
	s_cbranch_execz .LBB232_2506
; %bb.2503:                             ;   in Loop: Header=BB232_2076 Depth=1
	v_and_b32_sdwa v10, v8, v77 dst_sel:DWORD dst_unused:UNUSED_PAD src0_sel:WORD_1 src1_sel:DWORD
	v_lshrrev_b32_e32 v9, 3, v12
	s_mov_b32 s22, exec_lo
	v_cmpx_gt_u32_e32 8, v12
; %bb.2504:                             ;   in Loop: Header=BB232_2076 Depth=1
	v_ffbh_u32_e32 v9, v10
	v_min_u32_e32 v9, 32, v9
	v_subrev_nc_u32_e32 v12, 28, v9
	v_sub_nc_u32_e32 v9, 29, v9
	v_lshlrev_b64 v[24:25], v12, v[10:11]
	v_and_b32_e32 v10, 7, v24
; %bb.2505:                             ;   in Loop: Header=BB232_2076 Depth=1
	s_or_b32 exec_lo, exec_lo, s22
	v_lshlrev_b32_sdwa v12, v78, v8 dst_sel:DWORD dst_unused:UNUSED_PAD src0_sel:DWORD src1_sel:WORD_1
	v_lshlrev_b32_e32 v10, 20, v10
	v_lshl_add_u32 v9, v9, 23, 0x3c000000
	v_and_b32_e32 v12, 0x80000000, v12
	v_or3_b32 v10, v10, v12, v9
	v_mov_b32_e32 v25, v11
	v_mov_b32_e32 v24, v10
.LBB232_2506:                           ;   in Loop: Header=BB232_2076 Depth=1
	s_or_b32 exec_lo, exec_lo, s21
.LBB232_2507:                           ;   in Loop: Header=BB232_2076 Depth=1
	s_or_b32 exec_lo, exec_lo, s20
.LBB232_2508:                           ;   in Loop: Header=BB232_2076 Depth=1
	s_or_b32 exec_lo, exec_lo, s19
	s_mov_b32 s19, exec_lo
	v_cmpx_lt_u32_e32 0xffffff, v8
	s_cbranch_execz .LBB232_2516
; %bb.2509:                             ;   in Loop: Header=BB232_2076 Depth=1
	v_mov_b32_e32 v12, v11
	v_mov_b32_e32 v23, v13
	v_cmp_ne_u32_sdwa s8, v8, v74 src0_sel:BYTE_3 src1_sel:DWORD
	v_mov_b32_e32 v22, v12
	s_and_saveexec_b32 s20, s8
	s_cbranch_execz .LBB232_2515
; %bb.2510:                             ;   in Loop: Header=BB232_2076 Depth=1
	v_mov_b32_e32 v14, v11
	v_mov_b32_e32 v23, v15
	v_bfe_u32 v12, v8, 24, 7
	s_mov_b32 s21, exec_lo
	v_mov_b32_e32 v22, v14
	v_cmpx_ne_u32_e32 0x7f, v12
	s_cbranch_execz .LBB232_2514
; %bb.2511:                             ;   in Loop: Header=BB232_2076 Depth=1
	v_and_b32_sdwa v10, v8, v77 dst_sel:DWORD dst_unused:UNUSED_PAD src0_sel:BYTE_3 src1_sel:DWORD
	v_lshrrev_b32_e32 v9, 3, v12
	s_mov_b32 s22, exec_lo
	v_cmpx_gt_u32_e32 8, v12
; %bb.2512:                             ;   in Loop: Header=BB232_2076 Depth=1
	v_ffbh_u32_e32 v9, v10
	v_min_u32_e32 v9, 32, v9
	v_subrev_nc_u32_e32 v12, 28, v9
	v_sub_nc_u32_e32 v9, 29, v9
	v_lshlrev_b64 v[22:23], v12, v[10:11]
	v_and_b32_e32 v10, 7, v22
; %bb.2513:                             ;   in Loop: Header=BB232_2076 Depth=1
	s_or_b32 exec_lo, exec_lo, s22
	v_lshlrev_b32_sdwa v8, v78, v8 dst_sel:DWORD dst_unused:UNUSED_PAD src0_sel:DWORD src1_sel:BYTE_3
	v_lshlrev_b32_e32 v10, 20, v10
	v_lshl_add_u32 v9, v9, 23, 0x3c000000
	v_mov_b32_e32 v22, v11
	v_and_b32_e32 v8, 0x80000000, v8
	v_or3_b32 v23, v10, v8, v9
.LBB232_2514:                           ;   in Loop: Header=BB232_2076 Depth=1
	s_or_b32 exec_lo, exec_lo, s21
.LBB232_2515:                           ;   in Loop: Header=BB232_2076 Depth=1
	s_or_b32 exec_lo, exec_lo, s20
.LBB232_2516:                           ;   in Loop: Header=BB232_2076 Depth=1
	s_or_b32 exec_lo, exec_lo, s19
	v_or_b32_e32 v8, v21, v19
	v_or_b32_e32 v9, v20, v18
	;; [unrolled: 1-line block ×4, first 2 shown]
	v_mul_f32_e32 v8, v92, v8
	buffer_store_dword v8, off, s[0:3], s32 offset:604 ; 4-byte Folded Spill
	v_mul_f32_e32 v8, v73, v9
	buffer_store_dword v8, off, s[0:3], s32 offset:596 ; 4-byte Folded Spill
	;; [unrolled: 2-line block ×4, first 2 shown]
	s_and_saveexec_b32 s8, s6
	s_cbranch_execz .LBB232_2518
; %bb.2517:                             ;   in Loop: Header=BB232_2076 Depth=1
	buffer_load_dword v8, off, s[0:3], s32 offset:596 ; 4-byte Folded Reload
	s_waitcnt vmcnt(0)
	v_cndmask_b32_e32 v8, 0, v8, vcc_lo
	buffer_store_dword v8, off, s[0:3], s32 offset:596 ; 4-byte Folded Spill
	buffer_load_dword v8, off, s[0:3], s32 offset:604 ; 4-byte Folded Reload
	s_waitcnt vmcnt(0)
	v_cndmask_b32_e64 v8, 0, v8, s4
	buffer_store_dword v8, off, s[0:3], s32 offset:604 ; 4-byte Folded Spill
	buffer_load_dword v8, off, s[0:3], s32 offset:588 ; 4-byte Folded Reload
	s_waitcnt vmcnt(0)
	v_cndmask_b32_e64 v8, 0, v8, s5
	;; [unrolled: 4-line block ×3, first 2 shown]
	buffer_store_dword v8, off, s[0:3], s32 offset:580 ; 4-byte Folded Spill
.LBB232_2518:                           ;   in Loop: Header=BB232_2076 Depth=1
	s_or_b32 exec_lo, exec_lo, s8
	flat_load_dword v8, v[16:17] offset:1664
	v_mov_b32_e32 v20, 0
	v_mov_b32_e32 v18, 0
	;; [unrolled: 1-line block ×4, first 2 shown]
	s_waitcnt vmcnt(0) lgkmcnt(0)
	v_cmp_ne_u16_sdwa s8, v8, v11 src0_sel:BYTE_0 src1_sel:DWORD
	s_and_saveexec_b32 s19, s8
	s_cbranch_execz .LBB232_2526
; %bb.2519:                             ;   in Loop: Header=BB232_2076 Depth=1
	v_bfrev_b32_e32 v18, 1
	v_mov_b32_e32 v19, 0
	v_cmp_ne_u16_sdwa s8, v8, v74 src0_sel:BYTE_0 src1_sel:DWORD
	s_and_saveexec_b32 s20, s8
	s_cbranch_execz .LBB232_2525
; %bb.2520:                             ;   in Loop: Header=BB232_2076 Depth=1
	v_mov_b32_e32 v18, 0x7f800001
	v_and_b32_e32 v12, 0x7f, v8
	v_mov_b32_e32 v19, 0
	s_mov_b32 s21, exec_lo
	v_cmpx_ne_u32_e32 0x7f, v12
	s_cbranch_execz .LBB232_2524
; %bb.2521:                             ;   in Loop: Header=BB232_2076 Depth=1
	v_and_b32_e32 v10, 7, v8
	v_lshrrev_b32_e32 v9, 3, v12
	s_mov_b32 s22, exec_lo
	v_cmpx_gt_u32_e32 8, v12
; %bb.2522:                             ;   in Loop: Header=BB232_2076 Depth=1
	v_ffbh_u32_e32 v9, v10
	v_min_u32_e32 v9, 32, v9
	v_subrev_nc_u32_e32 v12, 28, v9
	v_sub_nc_u32_e32 v9, 29, v9
	v_lshlrev_b64 v[18:19], v12, v[10:11]
	v_and_b32_e32 v10, 7, v18
; %bb.2523:                             ;   in Loop: Header=BB232_2076 Depth=1
	s_or_b32 exec_lo, exec_lo, s22
	v_lshlrev_b32_e32 v12, 24, v8
	v_lshlrev_b32_e32 v10, 20, v10
	v_lshl_add_u32 v9, v9, 23, 0x3c000000
	v_and_b32_e32 v12, 0x80000000, v12
	v_or3_b32 v10, v10, v12, v9
	v_mov_b32_e32 v19, v11
	v_mov_b32_e32 v18, v10
.LBB232_2524:                           ;   in Loop: Header=BB232_2076 Depth=1
	s_or_b32 exec_lo, exec_lo, s21
.LBB232_2525:                           ;   in Loop: Header=BB232_2076 Depth=1
	s_or_b32 exec_lo, exec_lo, s20
.LBB232_2526:                           ;   in Loop: Header=BB232_2076 Depth=1
	s_or_b32 exec_lo, exec_lo, s19
	v_cmp_ne_u16_sdwa s8, v8, v11 src0_sel:BYTE_1 src1_sel:DWORD
	s_and_saveexec_b32 s19, s8
	s_cbranch_execz .LBB232_2534
; %bb.2527:                             ;   in Loop: Header=BB232_2076 Depth=1
	v_mov_b32_e32 v12, v11
	v_mov_b32_e32 v21, v13
	v_cmp_ne_u16_sdwa s8, v8, v74 src0_sel:BYTE_1 src1_sel:DWORD
	v_mov_b32_e32 v20, v12
	s_and_saveexec_b32 s20, s8
	s_cbranch_execz .LBB232_2533
; %bb.2528:                             ;   in Loop: Header=BB232_2076 Depth=1
	v_and_b32_sdwa v9, v75, v8 dst_sel:DWORD dst_unused:UNUSED_PAD src0_sel:DWORD src1_sel:BYTE_1
	v_mov_b32_e32 v14, v11
	v_mov_b32_e32 v21, v15
	s_mov_b32 s21, exec_lo
	v_and_b32_e32 v12, 0x7f, v9
	v_mov_b32_e32 v20, v14
	v_cmpx_ne_u32_e32 0x7f, v12
	s_cbranch_execz .LBB232_2532
; %bb.2529:                             ;   in Loop: Header=BB232_2076 Depth=1
	v_and_b32_e32 v10, 7, v9
	v_lshrrev_b32_e32 v9, 3, v12
	s_mov_b32 s22, exec_lo
	v_cmpx_gt_u32_e32 8, v12
; %bb.2530:                             ;   in Loop: Header=BB232_2076 Depth=1
	v_ffbh_u32_e32 v9, v10
	v_min_u32_e32 v9, 32, v9
	v_subrev_nc_u32_e32 v12, 28, v9
	v_sub_nc_u32_e32 v9, 29, v9
	v_lshlrev_b64 v[20:21], v12, v[10:11]
	v_and_b32_e32 v10, 7, v20
; %bb.2531:                             ;   in Loop: Header=BB232_2076 Depth=1
	s_or_b32 exec_lo, exec_lo, s22
	v_lshlrev_b32_e32 v12, 16, v8
	v_lshlrev_b32_e32 v10, 20, v10
	v_lshl_add_u32 v9, v9, 23, 0x3c000000
	v_mov_b32_e32 v20, v11
	v_and_b32_e32 v12, 0x80000000, v12
	v_or3_b32 v21, v10, v12, v9
.LBB232_2532:                           ;   in Loop: Header=BB232_2076 Depth=1
	s_or_b32 exec_lo, exec_lo, s21
.LBB232_2533:                           ;   in Loop: Header=BB232_2076 Depth=1
	s_or_b32 exec_lo, exec_lo, s20
.LBB232_2534:                           ;   in Loop: Header=BB232_2076 Depth=1
	s_or_b32 exec_lo, exec_lo, s19
	v_mov_b32_e32 v22, 0
	v_mov_b32_e32 v24, 0
	v_and_b32_sdwa v9, v8, v76 dst_sel:DWORD dst_unused:UNUSED_PAD src0_sel:WORD_1 src1_sel:DWORD
	v_mov_b32_e32 v23, 0
	v_mov_b32_e32 v25, 0
	s_mov_b32 s19, exec_lo
	v_cmpx_ne_u16_e32 0, v9
	s_cbranch_execz .LBB232_2542
; %bb.2535:                             ;   in Loop: Header=BB232_2076 Depth=1
	v_bfrev_b32_e32 v24, 1
	v_mov_b32_e32 v25, 0
	s_mov_b32 s20, exec_lo
	v_cmpx_ne_u16_e32 0x80, v9
	s_cbranch_execz .LBB232_2541
; %bb.2536:                             ;   in Loop: Header=BB232_2076 Depth=1
	v_mov_b32_e32 v24, 0x7f800001
	v_bfe_u32 v12, v8, 16, 7
	v_mov_b32_e32 v25, 0
	s_mov_b32 s21, exec_lo
	v_cmpx_ne_u32_e32 0x7f, v12
	s_cbranch_execz .LBB232_2540
; %bb.2537:                             ;   in Loop: Header=BB232_2076 Depth=1
	v_and_b32_sdwa v10, v8, v77 dst_sel:DWORD dst_unused:UNUSED_PAD src0_sel:WORD_1 src1_sel:DWORD
	v_lshrrev_b32_e32 v9, 3, v12
	s_mov_b32 s22, exec_lo
	v_cmpx_gt_u32_e32 8, v12
; %bb.2538:                             ;   in Loop: Header=BB232_2076 Depth=1
	v_ffbh_u32_e32 v9, v10
	v_min_u32_e32 v9, 32, v9
	v_subrev_nc_u32_e32 v12, 28, v9
	v_sub_nc_u32_e32 v9, 29, v9
	v_lshlrev_b64 v[24:25], v12, v[10:11]
	v_and_b32_e32 v10, 7, v24
; %bb.2539:                             ;   in Loop: Header=BB232_2076 Depth=1
	s_or_b32 exec_lo, exec_lo, s22
	v_lshlrev_b32_sdwa v12, v78, v8 dst_sel:DWORD dst_unused:UNUSED_PAD src0_sel:DWORD src1_sel:WORD_1
	v_lshlrev_b32_e32 v10, 20, v10
	v_lshl_add_u32 v9, v9, 23, 0x3c000000
	v_and_b32_e32 v12, 0x80000000, v12
	v_or3_b32 v10, v10, v12, v9
	v_mov_b32_e32 v25, v11
	v_mov_b32_e32 v24, v10
.LBB232_2540:                           ;   in Loop: Header=BB232_2076 Depth=1
	s_or_b32 exec_lo, exec_lo, s21
.LBB232_2541:                           ;   in Loop: Header=BB232_2076 Depth=1
	s_or_b32 exec_lo, exec_lo, s20
.LBB232_2542:                           ;   in Loop: Header=BB232_2076 Depth=1
	s_or_b32 exec_lo, exec_lo, s19
	s_mov_b32 s19, exec_lo
	v_cmpx_lt_u32_e32 0xffffff, v8
	s_cbranch_execz .LBB232_2550
; %bb.2543:                             ;   in Loop: Header=BB232_2076 Depth=1
	v_mov_b32_e32 v12, v11
	v_mov_b32_e32 v23, v13
	v_cmp_ne_u32_sdwa s8, v8, v74 src0_sel:BYTE_3 src1_sel:DWORD
	v_mov_b32_e32 v22, v12
	s_and_saveexec_b32 s20, s8
	s_cbranch_execz .LBB232_2549
; %bb.2544:                             ;   in Loop: Header=BB232_2076 Depth=1
	v_mov_b32_e32 v14, v11
	v_mov_b32_e32 v23, v15
	v_bfe_u32 v12, v8, 24, 7
	s_mov_b32 s21, exec_lo
	v_mov_b32_e32 v22, v14
	v_cmpx_ne_u32_e32 0x7f, v12
	s_cbranch_execz .LBB232_2548
; %bb.2545:                             ;   in Loop: Header=BB232_2076 Depth=1
	v_and_b32_sdwa v10, v8, v77 dst_sel:DWORD dst_unused:UNUSED_PAD src0_sel:BYTE_3 src1_sel:DWORD
	v_lshrrev_b32_e32 v9, 3, v12
	s_mov_b32 s22, exec_lo
	v_cmpx_gt_u32_e32 8, v12
; %bb.2546:                             ;   in Loop: Header=BB232_2076 Depth=1
	v_ffbh_u32_e32 v9, v10
	v_min_u32_e32 v9, 32, v9
	v_subrev_nc_u32_e32 v12, 28, v9
	v_sub_nc_u32_e32 v9, 29, v9
	v_lshlrev_b64 v[22:23], v12, v[10:11]
	v_and_b32_e32 v10, 7, v22
; %bb.2547:                             ;   in Loop: Header=BB232_2076 Depth=1
	s_or_b32 exec_lo, exec_lo, s22
	v_lshlrev_b32_sdwa v8, v78, v8 dst_sel:DWORD dst_unused:UNUSED_PAD src0_sel:DWORD src1_sel:BYTE_3
	v_lshlrev_b32_e32 v10, 20, v10
	v_lshl_add_u32 v9, v9, 23, 0x3c000000
	v_mov_b32_e32 v22, v11
	v_and_b32_e32 v8, 0x80000000, v8
	v_or3_b32 v23, v10, v8, v9
.LBB232_2548:                           ;   in Loop: Header=BB232_2076 Depth=1
	s_or_b32 exec_lo, exec_lo, s21
.LBB232_2549:                           ;   in Loop: Header=BB232_2076 Depth=1
	s_or_b32 exec_lo, exec_lo, s20
.LBB232_2550:                           ;   in Loop: Header=BB232_2076 Depth=1
	s_or_b32 exec_lo, exec_lo, s19
	v_or_b32_e32 v8, v21, v19
	v_or_b32_e32 v9, v20, v18
	;; [unrolled: 1-line block ×4, first 2 shown]
	v_mul_f32_e32 v8, v92, v8
	buffer_store_dword v8, off, s[0:3], s32 offset:636 ; 4-byte Folded Spill
	v_mul_f32_e32 v8, v73, v9
	buffer_store_dword v8, off, s[0:3], s32 offset:628 ; 4-byte Folded Spill
	;; [unrolled: 2-line block ×4, first 2 shown]
	s_and_saveexec_b32 s8, s6
	s_cbranch_execz .LBB232_2552
; %bb.2551:                             ;   in Loop: Header=BB232_2076 Depth=1
	buffer_load_dword v8, off, s[0:3], s32 offset:628 ; 4-byte Folded Reload
	s_waitcnt vmcnt(0)
	v_cndmask_b32_e32 v8, 0, v8, vcc_lo
	buffer_store_dword v8, off, s[0:3], s32 offset:628 ; 4-byte Folded Spill
	buffer_load_dword v8, off, s[0:3], s32 offset:636 ; 4-byte Folded Reload
	s_waitcnt vmcnt(0)
	v_cndmask_b32_e64 v8, 0, v8, s4
	buffer_store_dword v8, off, s[0:3], s32 offset:636 ; 4-byte Folded Spill
	buffer_load_dword v8, off, s[0:3], s32 offset:620 ; 4-byte Folded Reload
	s_waitcnt vmcnt(0)
	v_cndmask_b32_e64 v8, 0, v8, s5
	buffer_store_dword v8, off, s[0:3], s32 offset:620 ; 4-byte Folded Spill
	buffer_load_dword v8, off, s[0:3], s32 offset:612 ; 4-byte Folded Reload
	s_waitcnt vmcnt(0)
	v_cndmask_b32_e64 v8, 0, v8, s7
	buffer_store_dword v8, off, s[0:3], s32 offset:612 ; 4-byte Folded Spill
.LBB232_2552:                           ;   in Loop: Header=BB232_2076 Depth=1
	s_or_b32 exec_lo, exec_lo, s8
	flat_load_dword v8, v[16:17] offset:1792
	v_mov_b32_e32 v20, 0
	v_mov_b32_e32 v18, 0
	;; [unrolled: 1-line block ×4, first 2 shown]
	s_waitcnt vmcnt(0) lgkmcnt(0)
	v_cmp_ne_u16_sdwa s8, v8, v11 src0_sel:BYTE_0 src1_sel:DWORD
	s_and_saveexec_b32 s19, s8
	s_cbranch_execz .LBB232_2560
; %bb.2553:                             ;   in Loop: Header=BB232_2076 Depth=1
	v_bfrev_b32_e32 v18, 1
	v_mov_b32_e32 v19, 0
	v_cmp_ne_u16_sdwa s8, v8, v74 src0_sel:BYTE_0 src1_sel:DWORD
	s_and_saveexec_b32 s20, s8
	s_cbranch_execz .LBB232_2559
; %bb.2554:                             ;   in Loop: Header=BB232_2076 Depth=1
	v_mov_b32_e32 v18, 0x7f800001
	v_and_b32_e32 v12, 0x7f, v8
	v_mov_b32_e32 v19, 0
	s_mov_b32 s21, exec_lo
	v_cmpx_ne_u32_e32 0x7f, v12
	s_cbranch_execz .LBB232_2558
; %bb.2555:                             ;   in Loop: Header=BB232_2076 Depth=1
	v_and_b32_e32 v10, 7, v8
	v_lshrrev_b32_e32 v9, 3, v12
	s_mov_b32 s22, exec_lo
	v_cmpx_gt_u32_e32 8, v12
; %bb.2556:                             ;   in Loop: Header=BB232_2076 Depth=1
	v_ffbh_u32_e32 v9, v10
	v_min_u32_e32 v9, 32, v9
	v_subrev_nc_u32_e32 v12, 28, v9
	v_sub_nc_u32_e32 v9, 29, v9
	v_lshlrev_b64 v[18:19], v12, v[10:11]
	v_and_b32_e32 v10, 7, v18
; %bb.2557:                             ;   in Loop: Header=BB232_2076 Depth=1
	s_or_b32 exec_lo, exec_lo, s22
	v_lshlrev_b32_e32 v12, 24, v8
	v_lshlrev_b32_e32 v10, 20, v10
	v_lshl_add_u32 v9, v9, 23, 0x3c000000
	v_and_b32_e32 v12, 0x80000000, v12
	v_or3_b32 v10, v10, v12, v9
	v_mov_b32_e32 v19, v11
	v_mov_b32_e32 v18, v10
.LBB232_2558:                           ;   in Loop: Header=BB232_2076 Depth=1
	s_or_b32 exec_lo, exec_lo, s21
.LBB232_2559:                           ;   in Loop: Header=BB232_2076 Depth=1
	s_or_b32 exec_lo, exec_lo, s20
.LBB232_2560:                           ;   in Loop: Header=BB232_2076 Depth=1
	s_or_b32 exec_lo, exec_lo, s19
	v_cmp_ne_u16_sdwa s8, v8, v11 src0_sel:BYTE_1 src1_sel:DWORD
	s_and_saveexec_b32 s19, s8
	s_cbranch_execz .LBB232_2568
; %bb.2561:                             ;   in Loop: Header=BB232_2076 Depth=1
	v_mov_b32_e32 v12, v11
	v_mov_b32_e32 v21, v13
	v_cmp_ne_u16_sdwa s8, v8, v74 src0_sel:BYTE_1 src1_sel:DWORD
	v_mov_b32_e32 v20, v12
	s_and_saveexec_b32 s20, s8
	s_cbranch_execz .LBB232_2567
; %bb.2562:                             ;   in Loop: Header=BB232_2076 Depth=1
	v_and_b32_sdwa v9, v75, v8 dst_sel:DWORD dst_unused:UNUSED_PAD src0_sel:DWORD src1_sel:BYTE_1
	v_mov_b32_e32 v14, v11
	v_mov_b32_e32 v21, v15
	s_mov_b32 s21, exec_lo
	v_and_b32_e32 v12, 0x7f, v9
	v_mov_b32_e32 v20, v14
	v_cmpx_ne_u32_e32 0x7f, v12
	s_cbranch_execz .LBB232_2566
; %bb.2563:                             ;   in Loop: Header=BB232_2076 Depth=1
	v_and_b32_e32 v10, 7, v9
	v_lshrrev_b32_e32 v9, 3, v12
	s_mov_b32 s22, exec_lo
	v_cmpx_gt_u32_e32 8, v12
; %bb.2564:                             ;   in Loop: Header=BB232_2076 Depth=1
	v_ffbh_u32_e32 v9, v10
	v_min_u32_e32 v9, 32, v9
	v_subrev_nc_u32_e32 v12, 28, v9
	v_sub_nc_u32_e32 v9, 29, v9
	v_lshlrev_b64 v[20:21], v12, v[10:11]
	v_and_b32_e32 v10, 7, v20
; %bb.2565:                             ;   in Loop: Header=BB232_2076 Depth=1
	s_or_b32 exec_lo, exec_lo, s22
	v_lshlrev_b32_e32 v12, 16, v8
	v_lshlrev_b32_e32 v10, 20, v10
	v_lshl_add_u32 v9, v9, 23, 0x3c000000
	v_mov_b32_e32 v20, v11
	v_and_b32_e32 v12, 0x80000000, v12
	v_or3_b32 v21, v10, v12, v9
.LBB232_2566:                           ;   in Loop: Header=BB232_2076 Depth=1
	s_or_b32 exec_lo, exec_lo, s21
.LBB232_2567:                           ;   in Loop: Header=BB232_2076 Depth=1
	s_or_b32 exec_lo, exec_lo, s20
.LBB232_2568:                           ;   in Loop: Header=BB232_2076 Depth=1
	s_or_b32 exec_lo, exec_lo, s19
	v_mov_b32_e32 v22, 0
	v_mov_b32_e32 v24, 0
	v_and_b32_sdwa v9, v8, v76 dst_sel:DWORD dst_unused:UNUSED_PAD src0_sel:WORD_1 src1_sel:DWORD
	v_mov_b32_e32 v23, 0
	v_mov_b32_e32 v25, 0
	s_mov_b32 s19, exec_lo
	v_cmpx_ne_u16_e32 0, v9
	s_cbranch_execz .LBB232_2576
; %bb.2569:                             ;   in Loop: Header=BB232_2076 Depth=1
	v_bfrev_b32_e32 v24, 1
	v_mov_b32_e32 v25, 0
	s_mov_b32 s20, exec_lo
	v_cmpx_ne_u16_e32 0x80, v9
	s_cbranch_execz .LBB232_2575
; %bb.2570:                             ;   in Loop: Header=BB232_2076 Depth=1
	v_mov_b32_e32 v24, 0x7f800001
	v_bfe_u32 v12, v8, 16, 7
	v_mov_b32_e32 v25, 0
	s_mov_b32 s21, exec_lo
	v_cmpx_ne_u32_e32 0x7f, v12
	s_cbranch_execz .LBB232_2574
; %bb.2571:                             ;   in Loop: Header=BB232_2076 Depth=1
	v_and_b32_sdwa v10, v8, v77 dst_sel:DWORD dst_unused:UNUSED_PAD src0_sel:WORD_1 src1_sel:DWORD
	v_lshrrev_b32_e32 v9, 3, v12
	s_mov_b32 s22, exec_lo
	v_cmpx_gt_u32_e32 8, v12
; %bb.2572:                             ;   in Loop: Header=BB232_2076 Depth=1
	v_ffbh_u32_e32 v9, v10
	v_min_u32_e32 v9, 32, v9
	v_subrev_nc_u32_e32 v12, 28, v9
	v_sub_nc_u32_e32 v9, 29, v9
	v_lshlrev_b64 v[24:25], v12, v[10:11]
	v_and_b32_e32 v10, 7, v24
; %bb.2573:                             ;   in Loop: Header=BB232_2076 Depth=1
	s_or_b32 exec_lo, exec_lo, s22
	v_lshlrev_b32_sdwa v12, v78, v8 dst_sel:DWORD dst_unused:UNUSED_PAD src0_sel:DWORD src1_sel:WORD_1
	v_lshlrev_b32_e32 v10, 20, v10
	v_lshl_add_u32 v9, v9, 23, 0x3c000000
	v_and_b32_e32 v12, 0x80000000, v12
	v_or3_b32 v10, v10, v12, v9
	v_mov_b32_e32 v25, v11
	v_mov_b32_e32 v24, v10
.LBB232_2574:                           ;   in Loop: Header=BB232_2076 Depth=1
	s_or_b32 exec_lo, exec_lo, s21
.LBB232_2575:                           ;   in Loop: Header=BB232_2076 Depth=1
	s_or_b32 exec_lo, exec_lo, s20
.LBB232_2576:                           ;   in Loop: Header=BB232_2076 Depth=1
	s_or_b32 exec_lo, exec_lo, s19
	s_mov_b32 s19, exec_lo
	v_cmpx_lt_u32_e32 0xffffff, v8
	s_cbranch_execz .LBB232_2584
; %bb.2577:                             ;   in Loop: Header=BB232_2076 Depth=1
	v_mov_b32_e32 v12, v11
	v_mov_b32_e32 v23, v13
	v_cmp_ne_u32_sdwa s8, v8, v74 src0_sel:BYTE_3 src1_sel:DWORD
	v_mov_b32_e32 v22, v12
	s_and_saveexec_b32 s20, s8
	s_cbranch_execz .LBB232_2583
; %bb.2578:                             ;   in Loop: Header=BB232_2076 Depth=1
	v_mov_b32_e32 v14, v11
	v_mov_b32_e32 v23, v15
	v_bfe_u32 v12, v8, 24, 7
	s_mov_b32 s21, exec_lo
	v_mov_b32_e32 v22, v14
	v_cmpx_ne_u32_e32 0x7f, v12
	s_cbranch_execz .LBB232_2582
; %bb.2579:                             ;   in Loop: Header=BB232_2076 Depth=1
	v_and_b32_sdwa v10, v8, v77 dst_sel:DWORD dst_unused:UNUSED_PAD src0_sel:BYTE_3 src1_sel:DWORD
	v_lshrrev_b32_e32 v9, 3, v12
	s_mov_b32 s22, exec_lo
	v_cmpx_gt_u32_e32 8, v12
; %bb.2580:                             ;   in Loop: Header=BB232_2076 Depth=1
	v_ffbh_u32_e32 v9, v10
	v_min_u32_e32 v9, 32, v9
	v_subrev_nc_u32_e32 v12, 28, v9
	v_sub_nc_u32_e32 v9, 29, v9
	v_lshlrev_b64 v[22:23], v12, v[10:11]
	v_and_b32_e32 v10, 7, v22
; %bb.2581:                             ;   in Loop: Header=BB232_2076 Depth=1
	s_or_b32 exec_lo, exec_lo, s22
	v_lshlrev_b32_sdwa v8, v78, v8 dst_sel:DWORD dst_unused:UNUSED_PAD src0_sel:DWORD src1_sel:BYTE_3
	v_lshlrev_b32_e32 v10, 20, v10
	v_lshl_add_u32 v9, v9, 23, 0x3c000000
	v_mov_b32_e32 v22, v11
	v_and_b32_e32 v8, 0x80000000, v8
	v_or3_b32 v23, v10, v8, v9
.LBB232_2582:                           ;   in Loop: Header=BB232_2076 Depth=1
	s_or_b32 exec_lo, exec_lo, s21
.LBB232_2583:                           ;   in Loop: Header=BB232_2076 Depth=1
	s_or_b32 exec_lo, exec_lo, s20
.LBB232_2584:                           ;   in Loop: Header=BB232_2076 Depth=1
	s_or_b32 exec_lo, exec_lo, s19
	v_or_b32_e32 v8, v21, v19
	v_or_b32_e32 v9, v20, v18
	;; [unrolled: 1-line block ×4, first 2 shown]
	v_mul_f32_e32 v8, v92, v8
	buffer_store_dword v8, off, s[0:3], s32 offset:668 ; 4-byte Folded Spill
	v_mul_f32_e32 v8, v73, v9
	buffer_store_dword v8, off, s[0:3], s32 offset:660 ; 4-byte Folded Spill
	;; [unrolled: 2-line block ×4, first 2 shown]
	s_and_saveexec_b32 s8, s6
	s_cbranch_execz .LBB232_2586
; %bb.2585:                             ;   in Loop: Header=BB232_2076 Depth=1
	buffer_load_dword v8, off, s[0:3], s32 offset:660 ; 4-byte Folded Reload
	s_waitcnt vmcnt(0)
	v_cndmask_b32_e32 v8, 0, v8, vcc_lo
	buffer_store_dword v8, off, s[0:3], s32 offset:660 ; 4-byte Folded Spill
	buffer_load_dword v8, off, s[0:3], s32 offset:668 ; 4-byte Folded Reload
	s_waitcnt vmcnt(0)
	v_cndmask_b32_e64 v8, 0, v8, s4
	buffer_store_dword v8, off, s[0:3], s32 offset:668 ; 4-byte Folded Spill
	buffer_load_dword v8, off, s[0:3], s32 offset:652 ; 4-byte Folded Reload
	s_waitcnt vmcnt(0)
	v_cndmask_b32_e64 v8, 0, v8, s5
	;; [unrolled: 4-line block ×3, first 2 shown]
	buffer_store_dword v8, off, s[0:3], s32 offset:644 ; 4-byte Folded Spill
.LBB232_2586:                           ;   in Loop: Header=BB232_2076 Depth=1
	s_or_b32 exec_lo, exec_lo, s8
	flat_load_dword v8, v[16:17] offset:1920
	v_mov_b32_e32 v20, 0
	v_mov_b32_e32 v18, 0
	;; [unrolled: 1-line block ×4, first 2 shown]
	s_waitcnt vmcnt(0) lgkmcnt(0)
	v_cmp_ne_u16_sdwa s8, v8, v11 src0_sel:BYTE_0 src1_sel:DWORD
	s_and_saveexec_b32 s19, s8
	s_cbranch_execz .LBB232_2594
; %bb.2587:                             ;   in Loop: Header=BB232_2076 Depth=1
	v_bfrev_b32_e32 v18, 1
	v_mov_b32_e32 v19, 0
	v_cmp_ne_u16_sdwa s8, v8, v74 src0_sel:BYTE_0 src1_sel:DWORD
	s_and_saveexec_b32 s20, s8
	s_cbranch_execz .LBB232_2593
; %bb.2588:                             ;   in Loop: Header=BB232_2076 Depth=1
	v_mov_b32_e32 v18, 0x7f800001
	v_and_b32_e32 v12, 0x7f, v8
	v_mov_b32_e32 v19, 0
	s_mov_b32 s21, exec_lo
	v_cmpx_ne_u32_e32 0x7f, v12
	s_cbranch_execz .LBB232_2592
; %bb.2589:                             ;   in Loop: Header=BB232_2076 Depth=1
	v_and_b32_e32 v10, 7, v8
	v_lshrrev_b32_e32 v9, 3, v12
	s_mov_b32 s22, exec_lo
	v_cmpx_gt_u32_e32 8, v12
; %bb.2590:                             ;   in Loop: Header=BB232_2076 Depth=1
	v_ffbh_u32_e32 v9, v10
	v_min_u32_e32 v9, 32, v9
	v_subrev_nc_u32_e32 v12, 28, v9
	v_sub_nc_u32_e32 v9, 29, v9
	v_lshlrev_b64 v[18:19], v12, v[10:11]
	v_and_b32_e32 v10, 7, v18
; %bb.2591:                             ;   in Loop: Header=BB232_2076 Depth=1
	s_or_b32 exec_lo, exec_lo, s22
	v_lshlrev_b32_e32 v12, 24, v8
	v_lshlrev_b32_e32 v10, 20, v10
	v_lshl_add_u32 v9, v9, 23, 0x3c000000
	v_and_b32_e32 v12, 0x80000000, v12
	v_or3_b32 v10, v10, v12, v9
	v_mov_b32_e32 v19, v11
	v_mov_b32_e32 v18, v10
.LBB232_2592:                           ;   in Loop: Header=BB232_2076 Depth=1
	s_or_b32 exec_lo, exec_lo, s21
.LBB232_2593:                           ;   in Loop: Header=BB232_2076 Depth=1
	s_or_b32 exec_lo, exec_lo, s20
.LBB232_2594:                           ;   in Loop: Header=BB232_2076 Depth=1
	s_or_b32 exec_lo, exec_lo, s19
	v_cmp_ne_u16_sdwa s8, v8, v11 src0_sel:BYTE_1 src1_sel:DWORD
	s_and_saveexec_b32 s19, s8
	s_cbranch_execz .LBB232_2602
; %bb.2595:                             ;   in Loop: Header=BB232_2076 Depth=1
	v_mov_b32_e32 v12, v11
	v_mov_b32_e32 v21, v13
	v_cmp_ne_u16_sdwa s8, v8, v74 src0_sel:BYTE_1 src1_sel:DWORD
	v_mov_b32_e32 v20, v12
	s_and_saveexec_b32 s20, s8
	s_cbranch_execz .LBB232_2601
; %bb.2596:                             ;   in Loop: Header=BB232_2076 Depth=1
	v_and_b32_sdwa v9, v75, v8 dst_sel:DWORD dst_unused:UNUSED_PAD src0_sel:DWORD src1_sel:BYTE_1
	v_mov_b32_e32 v14, v11
	v_mov_b32_e32 v21, v15
	s_mov_b32 s21, exec_lo
	v_and_b32_e32 v12, 0x7f, v9
	v_mov_b32_e32 v20, v14
	v_cmpx_ne_u32_e32 0x7f, v12
	s_cbranch_execz .LBB232_2600
; %bb.2597:                             ;   in Loop: Header=BB232_2076 Depth=1
	v_and_b32_e32 v10, 7, v9
	v_lshrrev_b32_e32 v9, 3, v12
	s_mov_b32 s22, exec_lo
	v_cmpx_gt_u32_e32 8, v12
; %bb.2598:                             ;   in Loop: Header=BB232_2076 Depth=1
	v_ffbh_u32_e32 v9, v10
	v_min_u32_e32 v9, 32, v9
	v_subrev_nc_u32_e32 v12, 28, v9
	v_sub_nc_u32_e32 v9, 29, v9
	v_lshlrev_b64 v[20:21], v12, v[10:11]
	v_and_b32_e32 v10, 7, v20
; %bb.2599:                             ;   in Loop: Header=BB232_2076 Depth=1
	s_or_b32 exec_lo, exec_lo, s22
	v_lshlrev_b32_e32 v12, 16, v8
	v_lshlrev_b32_e32 v10, 20, v10
	v_lshl_add_u32 v9, v9, 23, 0x3c000000
	v_mov_b32_e32 v20, v11
	v_and_b32_e32 v12, 0x80000000, v12
	v_or3_b32 v21, v10, v12, v9
.LBB232_2600:                           ;   in Loop: Header=BB232_2076 Depth=1
	s_or_b32 exec_lo, exec_lo, s21
.LBB232_2601:                           ;   in Loop: Header=BB232_2076 Depth=1
	s_or_b32 exec_lo, exec_lo, s20
.LBB232_2602:                           ;   in Loop: Header=BB232_2076 Depth=1
	s_or_b32 exec_lo, exec_lo, s19
	v_mov_b32_e32 v22, 0
	v_mov_b32_e32 v24, 0
	v_and_b32_sdwa v9, v8, v76 dst_sel:DWORD dst_unused:UNUSED_PAD src0_sel:WORD_1 src1_sel:DWORD
	v_mov_b32_e32 v23, 0
	v_mov_b32_e32 v25, 0
	s_mov_b32 s19, exec_lo
	v_cmpx_ne_u16_e32 0, v9
	s_cbranch_execz .LBB232_2610
; %bb.2603:                             ;   in Loop: Header=BB232_2076 Depth=1
	v_bfrev_b32_e32 v24, 1
	v_mov_b32_e32 v25, 0
	s_mov_b32 s20, exec_lo
	v_cmpx_ne_u16_e32 0x80, v9
	s_cbranch_execz .LBB232_2609
; %bb.2604:                             ;   in Loop: Header=BB232_2076 Depth=1
	v_mov_b32_e32 v24, 0x7f800001
	v_bfe_u32 v12, v8, 16, 7
	v_mov_b32_e32 v25, 0
	s_mov_b32 s21, exec_lo
	v_cmpx_ne_u32_e32 0x7f, v12
	s_cbranch_execz .LBB232_2608
; %bb.2605:                             ;   in Loop: Header=BB232_2076 Depth=1
	v_and_b32_sdwa v10, v8, v77 dst_sel:DWORD dst_unused:UNUSED_PAD src0_sel:WORD_1 src1_sel:DWORD
	v_lshrrev_b32_e32 v9, 3, v12
	s_mov_b32 s22, exec_lo
	v_cmpx_gt_u32_e32 8, v12
; %bb.2606:                             ;   in Loop: Header=BB232_2076 Depth=1
	v_ffbh_u32_e32 v9, v10
	v_min_u32_e32 v9, 32, v9
	v_subrev_nc_u32_e32 v12, 28, v9
	v_sub_nc_u32_e32 v9, 29, v9
	v_lshlrev_b64 v[24:25], v12, v[10:11]
	v_and_b32_e32 v10, 7, v24
; %bb.2607:                             ;   in Loop: Header=BB232_2076 Depth=1
	s_or_b32 exec_lo, exec_lo, s22
	v_lshlrev_b32_sdwa v12, v78, v8 dst_sel:DWORD dst_unused:UNUSED_PAD src0_sel:DWORD src1_sel:WORD_1
	v_lshlrev_b32_e32 v10, 20, v10
	v_lshl_add_u32 v9, v9, 23, 0x3c000000
	v_and_b32_e32 v12, 0x80000000, v12
	v_or3_b32 v10, v10, v12, v9
	v_mov_b32_e32 v25, v11
	v_mov_b32_e32 v24, v10
.LBB232_2608:                           ;   in Loop: Header=BB232_2076 Depth=1
	s_or_b32 exec_lo, exec_lo, s21
.LBB232_2609:                           ;   in Loop: Header=BB232_2076 Depth=1
	s_or_b32 exec_lo, exec_lo, s20
.LBB232_2610:                           ;   in Loop: Header=BB232_2076 Depth=1
	s_or_b32 exec_lo, exec_lo, s19
	s_mov_b32 s19, exec_lo
	v_cmpx_lt_u32_e32 0xffffff, v8
	s_cbranch_execz .LBB232_2618
; %bb.2611:                             ;   in Loop: Header=BB232_2076 Depth=1
	v_mov_b32_e32 v12, v11
	v_mov_b32_e32 v23, v13
	v_cmp_ne_u32_sdwa s8, v8, v74 src0_sel:BYTE_3 src1_sel:DWORD
	v_mov_b32_e32 v22, v12
	s_and_saveexec_b32 s20, s8
	s_cbranch_execz .LBB232_2617
; %bb.2612:                             ;   in Loop: Header=BB232_2076 Depth=1
	v_mov_b32_e32 v14, v11
	v_mov_b32_e32 v23, v15
	v_bfe_u32 v12, v8, 24, 7
	s_mov_b32 s21, exec_lo
	v_mov_b32_e32 v22, v14
	v_cmpx_ne_u32_e32 0x7f, v12
	s_cbranch_execz .LBB232_2616
; %bb.2613:                             ;   in Loop: Header=BB232_2076 Depth=1
	v_and_b32_sdwa v10, v8, v77 dst_sel:DWORD dst_unused:UNUSED_PAD src0_sel:BYTE_3 src1_sel:DWORD
	v_lshrrev_b32_e32 v9, 3, v12
	s_mov_b32 s22, exec_lo
	v_cmpx_gt_u32_e32 8, v12
; %bb.2614:                             ;   in Loop: Header=BB232_2076 Depth=1
	v_ffbh_u32_e32 v9, v10
	v_min_u32_e32 v9, 32, v9
	v_subrev_nc_u32_e32 v12, 28, v9
	v_sub_nc_u32_e32 v9, 29, v9
	v_lshlrev_b64 v[22:23], v12, v[10:11]
	v_and_b32_e32 v10, 7, v22
; %bb.2615:                             ;   in Loop: Header=BB232_2076 Depth=1
	s_or_b32 exec_lo, exec_lo, s22
	v_lshlrev_b32_sdwa v8, v78, v8 dst_sel:DWORD dst_unused:UNUSED_PAD src0_sel:DWORD src1_sel:BYTE_3
	v_lshlrev_b32_e32 v10, 20, v10
	v_lshl_add_u32 v9, v9, 23, 0x3c000000
	v_mov_b32_e32 v22, v11
	v_and_b32_e32 v8, 0x80000000, v8
	v_or3_b32 v23, v10, v8, v9
.LBB232_2616:                           ;   in Loop: Header=BB232_2076 Depth=1
	s_or_b32 exec_lo, exec_lo, s21
.LBB232_2617:                           ;   in Loop: Header=BB232_2076 Depth=1
	s_or_b32 exec_lo, exec_lo, s20
.LBB232_2618:                           ;   in Loop: Header=BB232_2076 Depth=1
	s_or_b32 exec_lo, exec_lo, s19
	v_or_b32_e32 v8, v21, v19
	v_or_b32_e32 v9, v20, v18
	;; [unrolled: 1-line block ×4, first 2 shown]
	v_mul_f32_e32 v8, v92, v8
	buffer_store_dword v8, off, s[0:3], s32 offset:700 ; 4-byte Folded Spill
	v_mul_f32_e32 v8, v73, v9
	buffer_store_dword v8, off, s[0:3], s32 offset:692 ; 4-byte Folded Spill
	;; [unrolled: 2-line block ×4, first 2 shown]
	s_and_saveexec_b32 s8, s6
	s_cbranch_execz .LBB232_2620
; %bb.2619:                             ;   in Loop: Header=BB232_2076 Depth=1
	buffer_load_dword v8, off, s[0:3], s32 offset:692 ; 4-byte Folded Reload
	s_waitcnt vmcnt(0)
	v_cndmask_b32_e32 v8, 0, v8, vcc_lo
	buffer_store_dword v8, off, s[0:3], s32 offset:692 ; 4-byte Folded Spill
	buffer_load_dword v8, off, s[0:3], s32 offset:700 ; 4-byte Folded Reload
	s_waitcnt vmcnt(0)
	v_cndmask_b32_e64 v8, 0, v8, s4
	buffer_store_dword v8, off, s[0:3], s32 offset:700 ; 4-byte Folded Spill
	buffer_load_dword v8, off, s[0:3], s32 offset:684 ; 4-byte Folded Reload
	s_waitcnt vmcnt(0)
	v_cndmask_b32_e64 v8, 0, v8, s5
	;; [unrolled: 4-line block ×3, first 2 shown]
	buffer_store_dword v8, off, s[0:3], s32 offset:676 ; 4-byte Folded Spill
.LBB232_2620:                           ;   in Loop: Header=BB232_2076 Depth=1
	s_or_b32 exec_lo, exec_lo, s8
	v_add_co_u32 v18, s8, 0x800, v16
	v_add_co_ci_u32_e64 v19, null, 0, v17, s8
	v_mov_b32_e32 v22, 0
	v_mov_b32_e32 v20, 0
	;; [unrolled: 1-line block ×3, first 2 shown]
	flat_load_dword v8, v[18:19]
	v_mov_b32_e32 v21, 0
	s_waitcnt vmcnt(0) lgkmcnt(0)
	v_cmp_ne_u16_sdwa s8, v8, v11 src0_sel:BYTE_0 src1_sel:DWORD
	s_and_saveexec_b32 s19, s8
	s_cbranch_execz .LBB232_2628
; %bb.2621:                             ;   in Loop: Header=BB232_2076 Depth=1
	v_bfrev_b32_e32 v20, 1
	v_mov_b32_e32 v21, 0
	v_cmp_ne_u16_sdwa s8, v8, v74 src0_sel:BYTE_0 src1_sel:DWORD
	s_and_saveexec_b32 s20, s8
	s_cbranch_execz .LBB232_2627
; %bb.2622:                             ;   in Loop: Header=BB232_2076 Depth=1
	v_mov_b32_e32 v20, 0x7f800001
	v_and_b32_e32 v12, 0x7f, v8
	v_mov_b32_e32 v21, 0
	s_mov_b32 s21, exec_lo
	v_cmpx_ne_u32_e32 0x7f, v12
	s_cbranch_execz .LBB232_2626
; %bb.2623:                             ;   in Loop: Header=BB232_2076 Depth=1
	v_and_b32_e32 v10, 7, v8
	v_lshrrev_b32_e32 v9, 3, v12
	s_mov_b32 s22, exec_lo
	v_cmpx_gt_u32_e32 8, v12
; %bb.2624:                             ;   in Loop: Header=BB232_2076 Depth=1
	v_ffbh_u32_e32 v9, v10
	v_min_u32_e32 v9, 32, v9
	v_subrev_nc_u32_e32 v12, 28, v9
	v_sub_nc_u32_e32 v9, 29, v9
	v_lshlrev_b64 v[20:21], v12, v[10:11]
	v_and_b32_e32 v10, 7, v20
; %bb.2625:                             ;   in Loop: Header=BB232_2076 Depth=1
	s_or_b32 exec_lo, exec_lo, s22
	v_lshlrev_b32_e32 v12, 24, v8
	v_lshlrev_b32_e32 v10, 20, v10
	v_lshl_add_u32 v9, v9, 23, 0x3c000000
	v_and_b32_e32 v12, 0x80000000, v12
	v_or3_b32 v10, v10, v12, v9
	v_mov_b32_e32 v21, v11
	v_mov_b32_e32 v20, v10
.LBB232_2626:                           ;   in Loop: Header=BB232_2076 Depth=1
	s_or_b32 exec_lo, exec_lo, s21
.LBB232_2627:                           ;   in Loop: Header=BB232_2076 Depth=1
	s_or_b32 exec_lo, exec_lo, s20
.LBB232_2628:                           ;   in Loop: Header=BB232_2076 Depth=1
	s_or_b32 exec_lo, exec_lo, s19
	v_cmp_ne_u16_sdwa s8, v8, v11 src0_sel:BYTE_1 src1_sel:DWORD
	s_and_saveexec_b32 s19, s8
	s_cbranch_execz .LBB232_2636
; %bb.2629:                             ;   in Loop: Header=BB232_2076 Depth=1
	v_mov_b32_e32 v12, v11
	v_mov_b32_e32 v23, v13
	v_cmp_ne_u16_sdwa s8, v8, v74 src0_sel:BYTE_1 src1_sel:DWORD
	v_mov_b32_e32 v22, v12
	s_and_saveexec_b32 s20, s8
	s_cbranch_execz .LBB232_2635
; %bb.2630:                             ;   in Loop: Header=BB232_2076 Depth=1
	v_and_b32_sdwa v9, v75, v8 dst_sel:DWORD dst_unused:UNUSED_PAD src0_sel:DWORD src1_sel:BYTE_1
	v_mov_b32_e32 v14, v11
	v_mov_b32_e32 v23, v15
	s_mov_b32 s21, exec_lo
	v_and_b32_e32 v12, 0x7f, v9
	v_mov_b32_e32 v22, v14
	v_cmpx_ne_u32_e32 0x7f, v12
	s_cbranch_execz .LBB232_2634
; %bb.2631:                             ;   in Loop: Header=BB232_2076 Depth=1
	v_and_b32_e32 v10, 7, v9
	v_lshrrev_b32_e32 v9, 3, v12
	s_mov_b32 s22, exec_lo
	v_cmpx_gt_u32_e32 8, v12
; %bb.2632:                             ;   in Loop: Header=BB232_2076 Depth=1
	v_ffbh_u32_e32 v9, v10
	v_min_u32_e32 v9, 32, v9
	v_subrev_nc_u32_e32 v12, 28, v9
	v_sub_nc_u32_e32 v9, 29, v9
	v_lshlrev_b64 v[22:23], v12, v[10:11]
	v_and_b32_e32 v10, 7, v22
; %bb.2633:                             ;   in Loop: Header=BB232_2076 Depth=1
	s_or_b32 exec_lo, exec_lo, s22
	v_lshlrev_b32_e32 v12, 16, v8
	v_lshlrev_b32_e32 v10, 20, v10
	v_lshl_add_u32 v9, v9, 23, 0x3c000000
	v_mov_b32_e32 v22, v11
	v_and_b32_e32 v12, 0x80000000, v12
	v_or3_b32 v23, v10, v12, v9
.LBB232_2634:                           ;   in Loop: Header=BB232_2076 Depth=1
	s_or_b32 exec_lo, exec_lo, s21
.LBB232_2635:                           ;   in Loop: Header=BB232_2076 Depth=1
	s_or_b32 exec_lo, exec_lo, s20
.LBB232_2636:                           ;   in Loop: Header=BB232_2076 Depth=1
	s_or_b32 exec_lo, exec_lo, s19
	v_mov_b32_e32 v24, 0
	v_mov_b32_e32 v26, 0
	v_and_b32_sdwa v9, v8, v76 dst_sel:DWORD dst_unused:UNUSED_PAD src0_sel:WORD_1 src1_sel:DWORD
	v_mov_b32_e32 v25, 0
	v_mov_b32_e32 v27, 0
	s_mov_b32 s19, exec_lo
	v_cmpx_ne_u16_e32 0, v9
	s_cbranch_execz .LBB232_2644
; %bb.2637:                             ;   in Loop: Header=BB232_2076 Depth=1
	v_bfrev_b32_e32 v26, 1
	v_mov_b32_e32 v27, 0
	s_mov_b32 s20, exec_lo
	v_cmpx_ne_u16_e32 0x80, v9
	s_cbranch_execz .LBB232_2643
; %bb.2638:                             ;   in Loop: Header=BB232_2076 Depth=1
	v_mov_b32_e32 v26, 0x7f800001
	v_bfe_u32 v12, v8, 16, 7
	v_mov_b32_e32 v27, 0
	s_mov_b32 s21, exec_lo
	v_cmpx_ne_u32_e32 0x7f, v12
	s_cbranch_execz .LBB232_2642
; %bb.2639:                             ;   in Loop: Header=BB232_2076 Depth=1
	v_and_b32_sdwa v10, v8, v77 dst_sel:DWORD dst_unused:UNUSED_PAD src0_sel:WORD_1 src1_sel:DWORD
	v_lshrrev_b32_e32 v9, 3, v12
	s_mov_b32 s22, exec_lo
	v_cmpx_gt_u32_e32 8, v12
; %bb.2640:                             ;   in Loop: Header=BB232_2076 Depth=1
	v_ffbh_u32_e32 v9, v10
	v_min_u32_e32 v9, 32, v9
	v_subrev_nc_u32_e32 v12, 28, v9
	v_sub_nc_u32_e32 v9, 29, v9
	v_lshlrev_b64 v[26:27], v12, v[10:11]
	v_and_b32_e32 v10, 7, v26
; %bb.2641:                             ;   in Loop: Header=BB232_2076 Depth=1
	s_or_b32 exec_lo, exec_lo, s22
	v_lshlrev_b32_sdwa v12, v78, v8 dst_sel:DWORD dst_unused:UNUSED_PAD src0_sel:DWORD src1_sel:WORD_1
	v_lshlrev_b32_e32 v10, 20, v10
	v_lshl_add_u32 v9, v9, 23, 0x3c000000
	v_and_b32_e32 v12, 0x80000000, v12
	v_or3_b32 v10, v10, v12, v9
	v_mov_b32_e32 v27, v11
	v_mov_b32_e32 v26, v10
.LBB232_2642:                           ;   in Loop: Header=BB232_2076 Depth=1
	s_or_b32 exec_lo, exec_lo, s21
.LBB232_2643:                           ;   in Loop: Header=BB232_2076 Depth=1
	s_or_b32 exec_lo, exec_lo, s20
.LBB232_2644:                           ;   in Loop: Header=BB232_2076 Depth=1
	s_or_b32 exec_lo, exec_lo, s19
	s_mov_b32 s19, exec_lo
	v_cmpx_lt_u32_e32 0xffffff, v8
	s_cbranch_execz .LBB232_2652
; %bb.2645:                             ;   in Loop: Header=BB232_2076 Depth=1
	v_mov_b32_e32 v12, v11
	v_mov_b32_e32 v25, v13
	v_cmp_ne_u32_sdwa s8, v8, v74 src0_sel:BYTE_3 src1_sel:DWORD
	v_mov_b32_e32 v24, v12
	s_and_saveexec_b32 s20, s8
	s_cbranch_execz .LBB232_2651
; %bb.2646:                             ;   in Loop: Header=BB232_2076 Depth=1
	v_mov_b32_e32 v14, v11
	v_mov_b32_e32 v25, v15
	v_bfe_u32 v12, v8, 24, 7
	s_mov_b32 s21, exec_lo
	v_mov_b32_e32 v24, v14
	v_cmpx_ne_u32_e32 0x7f, v12
	s_cbranch_execz .LBB232_2650
; %bb.2647:                             ;   in Loop: Header=BB232_2076 Depth=1
	v_and_b32_sdwa v10, v8, v77 dst_sel:DWORD dst_unused:UNUSED_PAD src0_sel:BYTE_3 src1_sel:DWORD
	v_lshrrev_b32_e32 v9, 3, v12
	s_mov_b32 s22, exec_lo
	v_cmpx_gt_u32_e32 8, v12
; %bb.2648:                             ;   in Loop: Header=BB232_2076 Depth=1
	v_ffbh_u32_e32 v9, v10
	v_min_u32_e32 v9, 32, v9
	v_subrev_nc_u32_e32 v12, 28, v9
	v_sub_nc_u32_e32 v9, 29, v9
	v_lshlrev_b64 v[24:25], v12, v[10:11]
	v_and_b32_e32 v10, 7, v24
; %bb.2649:                             ;   in Loop: Header=BB232_2076 Depth=1
	s_or_b32 exec_lo, exec_lo, s22
	v_lshlrev_b32_sdwa v8, v78, v8 dst_sel:DWORD dst_unused:UNUSED_PAD src0_sel:DWORD src1_sel:BYTE_3
	v_lshlrev_b32_e32 v10, 20, v10
	v_lshl_add_u32 v9, v9, 23, 0x3c000000
	v_mov_b32_e32 v24, v11
	v_and_b32_e32 v8, 0x80000000, v8
	v_or3_b32 v25, v10, v8, v9
.LBB232_2650:                           ;   in Loop: Header=BB232_2076 Depth=1
	s_or_b32 exec_lo, exec_lo, s21
.LBB232_2651:                           ;   in Loop: Header=BB232_2076 Depth=1
	s_or_b32 exec_lo, exec_lo, s20
.LBB232_2652:                           ;   in Loop: Header=BB232_2076 Depth=1
	s_or_b32 exec_lo, exec_lo, s19
	v_or_b32_e32 v8, v23, v21
	v_or_b32_e32 v9, v22, v20
	v_or_b32_e32 v10, v24, v26
	v_or_b32_e32 v12, v25, v27
	v_mul_f32_e32 v8, v92, v8
	buffer_store_dword v8, off, s[0:3], s32 offset:732 ; 4-byte Folded Spill
	v_mul_f32_e32 v8, v73, v9
	buffer_store_dword v8, off, s[0:3], s32 offset:724 ; 4-byte Folded Spill
	;; [unrolled: 2-line block ×4, first 2 shown]
	s_and_saveexec_b32 s8, s6
	s_cbranch_execz .LBB232_2654
; %bb.2653:                             ;   in Loop: Header=BB232_2076 Depth=1
	buffer_load_dword v8, off, s[0:3], s32 offset:724 ; 4-byte Folded Reload
	s_waitcnt vmcnt(0)
	v_cndmask_b32_e32 v8, 0, v8, vcc_lo
	buffer_store_dword v8, off, s[0:3], s32 offset:724 ; 4-byte Folded Spill
	buffer_load_dword v8, off, s[0:3], s32 offset:732 ; 4-byte Folded Reload
	s_waitcnt vmcnt(0)
	v_cndmask_b32_e64 v8, 0, v8, s4
	buffer_store_dword v8, off, s[0:3], s32 offset:732 ; 4-byte Folded Spill
	buffer_load_dword v8, off, s[0:3], s32 offset:716 ; 4-byte Folded Reload
	s_waitcnt vmcnt(0)
	v_cndmask_b32_e64 v8, 0, v8, s5
	;; [unrolled: 4-line block ×3, first 2 shown]
	buffer_store_dword v8, off, s[0:3], s32 offset:708 ; 4-byte Folded Spill
.LBB232_2654:                           ;   in Loop: Header=BB232_2076 Depth=1
	s_or_b32 exec_lo, exec_lo, s8
	flat_load_dword v8, v[18:19] offset:128
	v_mov_b32_e32 v22, 0
	v_mov_b32_e32 v20, 0
	;; [unrolled: 1-line block ×4, first 2 shown]
	s_waitcnt vmcnt(0) lgkmcnt(0)
	v_cmp_ne_u16_sdwa s8, v8, v11 src0_sel:BYTE_0 src1_sel:DWORD
	s_and_saveexec_b32 s19, s8
	s_cbranch_execz .LBB232_2662
; %bb.2655:                             ;   in Loop: Header=BB232_2076 Depth=1
	v_bfrev_b32_e32 v20, 1
	v_mov_b32_e32 v21, 0
	v_cmp_ne_u16_sdwa s8, v8, v74 src0_sel:BYTE_0 src1_sel:DWORD
	s_and_saveexec_b32 s20, s8
	s_cbranch_execz .LBB232_2661
; %bb.2656:                             ;   in Loop: Header=BB232_2076 Depth=1
	v_mov_b32_e32 v20, 0x7f800001
	v_and_b32_e32 v12, 0x7f, v8
	v_mov_b32_e32 v21, 0
	s_mov_b32 s21, exec_lo
	v_cmpx_ne_u32_e32 0x7f, v12
	s_cbranch_execz .LBB232_2660
; %bb.2657:                             ;   in Loop: Header=BB232_2076 Depth=1
	v_and_b32_e32 v10, 7, v8
	v_lshrrev_b32_e32 v9, 3, v12
	s_mov_b32 s22, exec_lo
	v_cmpx_gt_u32_e32 8, v12
; %bb.2658:                             ;   in Loop: Header=BB232_2076 Depth=1
	v_ffbh_u32_e32 v9, v10
	v_min_u32_e32 v9, 32, v9
	v_subrev_nc_u32_e32 v12, 28, v9
	v_sub_nc_u32_e32 v9, 29, v9
	v_lshlrev_b64 v[20:21], v12, v[10:11]
	v_and_b32_e32 v10, 7, v20
; %bb.2659:                             ;   in Loop: Header=BB232_2076 Depth=1
	s_or_b32 exec_lo, exec_lo, s22
	v_lshlrev_b32_e32 v12, 24, v8
	v_lshlrev_b32_e32 v10, 20, v10
	v_lshl_add_u32 v9, v9, 23, 0x3c000000
	v_and_b32_e32 v12, 0x80000000, v12
	v_or3_b32 v10, v10, v12, v9
	v_mov_b32_e32 v21, v11
	v_mov_b32_e32 v20, v10
.LBB232_2660:                           ;   in Loop: Header=BB232_2076 Depth=1
	s_or_b32 exec_lo, exec_lo, s21
.LBB232_2661:                           ;   in Loop: Header=BB232_2076 Depth=1
	s_or_b32 exec_lo, exec_lo, s20
.LBB232_2662:                           ;   in Loop: Header=BB232_2076 Depth=1
	s_or_b32 exec_lo, exec_lo, s19
	v_cmp_ne_u16_sdwa s8, v8, v11 src0_sel:BYTE_1 src1_sel:DWORD
	s_and_saveexec_b32 s19, s8
	s_cbranch_execz .LBB232_2670
; %bb.2663:                             ;   in Loop: Header=BB232_2076 Depth=1
	v_mov_b32_e32 v12, v11
	v_mov_b32_e32 v23, v13
	v_cmp_ne_u16_sdwa s8, v8, v74 src0_sel:BYTE_1 src1_sel:DWORD
	v_mov_b32_e32 v22, v12
	s_and_saveexec_b32 s20, s8
	s_cbranch_execz .LBB232_2669
; %bb.2664:                             ;   in Loop: Header=BB232_2076 Depth=1
	v_and_b32_sdwa v9, v75, v8 dst_sel:DWORD dst_unused:UNUSED_PAD src0_sel:DWORD src1_sel:BYTE_1
	v_mov_b32_e32 v14, v11
	v_mov_b32_e32 v23, v15
	s_mov_b32 s21, exec_lo
	v_and_b32_e32 v12, 0x7f, v9
	v_mov_b32_e32 v22, v14
	v_cmpx_ne_u32_e32 0x7f, v12
	s_cbranch_execz .LBB232_2668
; %bb.2665:                             ;   in Loop: Header=BB232_2076 Depth=1
	v_and_b32_e32 v10, 7, v9
	v_lshrrev_b32_e32 v9, 3, v12
	s_mov_b32 s22, exec_lo
	v_cmpx_gt_u32_e32 8, v12
; %bb.2666:                             ;   in Loop: Header=BB232_2076 Depth=1
	v_ffbh_u32_e32 v9, v10
	v_min_u32_e32 v9, 32, v9
	v_subrev_nc_u32_e32 v12, 28, v9
	v_sub_nc_u32_e32 v9, 29, v9
	v_lshlrev_b64 v[22:23], v12, v[10:11]
	v_and_b32_e32 v10, 7, v22
; %bb.2667:                             ;   in Loop: Header=BB232_2076 Depth=1
	s_or_b32 exec_lo, exec_lo, s22
	v_lshlrev_b32_e32 v12, 16, v8
	v_lshlrev_b32_e32 v10, 20, v10
	v_lshl_add_u32 v9, v9, 23, 0x3c000000
	v_mov_b32_e32 v22, v11
	v_and_b32_e32 v12, 0x80000000, v12
	v_or3_b32 v23, v10, v12, v9
.LBB232_2668:                           ;   in Loop: Header=BB232_2076 Depth=1
	s_or_b32 exec_lo, exec_lo, s21
.LBB232_2669:                           ;   in Loop: Header=BB232_2076 Depth=1
	s_or_b32 exec_lo, exec_lo, s20
.LBB232_2670:                           ;   in Loop: Header=BB232_2076 Depth=1
	s_or_b32 exec_lo, exec_lo, s19
	v_mov_b32_e32 v24, 0
	v_mov_b32_e32 v26, 0
	v_and_b32_sdwa v9, v8, v76 dst_sel:DWORD dst_unused:UNUSED_PAD src0_sel:WORD_1 src1_sel:DWORD
	v_mov_b32_e32 v25, 0
	v_mov_b32_e32 v27, 0
	s_mov_b32 s19, exec_lo
	v_cmpx_ne_u16_e32 0, v9
	s_cbranch_execz .LBB232_2678
; %bb.2671:                             ;   in Loop: Header=BB232_2076 Depth=1
	v_bfrev_b32_e32 v26, 1
	v_mov_b32_e32 v27, 0
	s_mov_b32 s20, exec_lo
	v_cmpx_ne_u16_e32 0x80, v9
	s_cbranch_execz .LBB232_2677
; %bb.2672:                             ;   in Loop: Header=BB232_2076 Depth=1
	v_mov_b32_e32 v26, 0x7f800001
	v_bfe_u32 v12, v8, 16, 7
	v_mov_b32_e32 v27, 0
	s_mov_b32 s21, exec_lo
	v_cmpx_ne_u32_e32 0x7f, v12
	s_cbranch_execz .LBB232_2676
; %bb.2673:                             ;   in Loop: Header=BB232_2076 Depth=1
	v_and_b32_sdwa v10, v8, v77 dst_sel:DWORD dst_unused:UNUSED_PAD src0_sel:WORD_1 src1_sel:DWORD
	v_lshrrev_b32_e32 v9, 3, v12
	s_mov_b32 s22, exec_lo
	v_cmpx_gt_u32_e32 8, v12
; %bb.2674:                             ;   in Loop: Header=BB232_2076 Depth=1
	v_ffbh_u32_e32 v9, v10
	v_min_u32_e32 v9, 32, v9
	v_subrev_nc_u32_e32 v12, 28, v9
	v_sub_nc_u32_e32 v9, 29, v9
	v_lshlrev_b64 v[26:27], v12, v[10:11]
	v_and_b32_e32 v10, 7, v26
; %bb.2675:                             ;   in Loop: Header=BB232_2076 Depth=1
	s_or_b32 exec_lo, exec_lo, s22
	v_lshlrev_b32_sdwa v12, v78, v8 dst_sel:DWORD dst_unused:UNUSED_PAD src0_sel:DWORD src1_sel:WORD_1
	v_lshlrev_b32_e32 v10, 20, v10
	v_lshl_add_u32 v9, v9, 23, 0x3c000000
	v_and_b32_e32 v12, 0x80000000, v12
	v_or3_b32 v10, v10, v12, v9
	v_mov_b32_e32 v27, v11
	v_mov_b32_e32 v26, v10
.LBB232_2676:                           ;   in Loop: Header=BB232_2076 Depth=1
	s_or_b32 exec_lo, exec_lo, s21
.LBB232_2677:                           ;   in Loop: Header=BB232_2076 Depth=1
	s_or_b32 exec_lo, exec_lo, s20
.LBB232_2678:                           ;   in Loop: Header=BB232_2076 Depth=1
	s_or_b32 exec_lo, exec_lo, s19
	s_mov_b32 s19, exec_lo
	v_cmpx_lt_u32_e32 0xffffff, v8
	s_cbranch_execz .LBB232_2686
; %bb.2679:                             ;   in Loop: Header=BB232_2076 Depth=1
	v_mov_b32_e32 v12, v11
	v_mov_b32_e32 v25, v13
	v_cmp_ne_u32_sdwa s8, v8, v74 src0_sel:BYTE_3 src1_sel:DWORD
	v_mov_b32_e32 v24, v12
	s_and_saveexec_b32 s20, s8
	s_cbranch_execz .LBB232_2685
; %bb.2680:                             ;   in Loop: Header=BB232_2076 Depth=1
	v_mov_b32_e32 v14, v11
	v_mov_b32_e32 v25, v15
	v_bfe_u32 v12, v8, 24, 7
	s_mov_b32 s21, exec_lo
	v_mov_b32_e32 v24, v14
	v_cmpx_ne_u32_e32 0x7f, v12
	s_cbranch_execz .LBB232_2684
; %bb.2681:                             ;   in Loop: Header=BB232_2076 Depth=1
	v_and_b32_sdwa v10, v8, v77 dst_sel:DWORD dst_unused:UNUSED_PAD src0_sel:BYTE_3 src1_sel:DWORD
	v_lshrrev_b32_e32 v9, 3, v12
	s_mov_b32 s22, exec_lo
	v_cmpx_gt_u32_e32 8, v12
; %bb.2682:                             ;   in Loop: Header=BB232_2076 Depth=1
	v_ffbh_u32_e32 v9, v10
	v_min_u32_e32 v9, 32, v9
	v_subrev_nc_u32_e32 v12, 28, v9
	v_sub_nc_u32_e32 v9, 29, v9
	v_lshlrev_b64 v[24:25], v12, v[10:11]
	v_and_b32_e32 v10, 7, v24
; %bb.2683:                             ;   in Loop: Header=BB232_2076 Depth=1
	s_or_b32 exec_lo, exec_lo, s22
	v_lshlrev_b32_sdwa v8, v78, v8 dst_sel:DWORD dst_unused:UNUSED_PAD src0_sel:DWORD src1_sel:BYTE_3
	v_lshlrev_b32_e32 v10, 20, v10
	v_lshl_add_u32 v9, v9, 23, 0x3c000000
	v_mov_b32_e32 v24, v11
	v_and_b32_e32 v8, 0x80000000, v8
	v_or3_b32 v25, v10, v8, v9
.LBB232_2684:                           ;   in Loop: Header=BB232_2076 Depth=1
	s_or_b32 exec_lo, exec_lo, s21
.LBB232_2685:                           ;   in Loop: Header=BB232_2076 Depth=1
	s_or_b32 exec_lo, exec_lo, s20
.LBB232_2686:                           ;   in Loop: Header=BB232_2076 Depth=1
	s_or_b32 exec_lo, exec_lo, s19
	v_or_b32_e32 v8, v23, v21
	v_or_b32_e32 v9, v22, v20
	;; [unrolled: 1-line block ×4, first 2 shown]
	v_mul_f32_e32 v8, v92, v8
	buffer_store_dword v8, off, s[0:3], s32 offset:764 ; 4-byte Folded Spill
	v_mul_f32_e32 v8, v73, v9
	buffer_store_dword v8, off, s[0:3], s32 offset:756 ; 4-byte Folded Spill
	;; [unrolled: 2-line block ×4, first 2 shown]
	s_and_saveexec_b32 s8, s6
	s_cbranch_execz .LBB232_2688
; %bb.2687:                             ;   in Loop: Header=BB232_2076 Depth=1
	buffer_load_dword v8, off, s[0:3], s32 offset:756 ; 4-byte Folded Reload
	s_waitcnt vmcnt(0)
	v_cndmask_b32_e32 v8, 0, v8, vcc_lo
	buffer_store_dword v8, off, s[0:3], s32 offset:756 ; 4-byte Folded Spill
	buffer_load_dword v8, off, s[0:3], s32 offset:764 ; 4-byte Folded Reload
	s_waitcnt vmcnt(0)
	v_cndmask_b32_e64 v8, 0, v8, s4
	buffer_store_dword v8, off, s[0:3], s32 offset:764 ; 4-byte Folded Spill
	buffer_load_dword v8, off, s[0:3], s32 offset:748 ; 4-byte Folded Reload
	s_waitcnt vmcnt(0)
	v_cndmask_b32_e64 v8, 0, v8, s5
	;; [unrolled: 4-line block ×3, first 2 shown]
	buffer_store_dword v8, off, s[0:3], s32 offset:740 ; 4-byte Folded Spill
.LBB232_2688:                           ;   in Loop: Header=BB232_2076 Depth=1
	s_or_b32 exec_lo, exec_lo, s8
	flat_load_dword v8, v[18:19] offset:256
	v_mov_b32_e32 v22, 0
	v_mov_b32_e32 v20, 0
	v_mov_b32_e32 v23, 0
	v_mov_b32_e32 v21, 0
	s_waitcnt vmcnt(0) lgkmcnt(0)
	v_cmp_ne_u16_sdwa s8, v8, v11 src0_sel:BYTE_0 src1_sel:DWORD
	s_and_saveexec_b32 s19, s8
	s_cbranch_execz .LBB232_2696
; %bb.2689:                             ;   in Loop: Header=BB232_2076 Depth=1
	v_bfrev_b32_e32 v20, 1
	v_mov_b32_e32 v21, 0
	v_cmp_ne_u16_sdwa s8, v8, v74 src0_sel:BYTE_0 src1_sel:DWORD
	s_and_saveexec_b32 s20, s8
	s_cbranch_execz .LBB232_2695
; %bb.2690:                             ;   in Loop: Header=BB232_2076 Depth=1
	v_mov_b32_e32 v20, 0x7f800001
	v_and_b32_e32 v12, 0x7f, v8
	v_mov_b32_e32 v21, 0
	s_mov_b32 s21, exec_lo
	v_cmpx_ne_u32_e32 0x7f, v12
	s_cbranch_execz .LBB232_2694
; %bb.2691:                             ;   in Loop: Header=BB232_2076 Depth=1
	v_and_b32_e32 v10, 7, v8
	v_lshrrev_b32_e32 v9, 3, v12
	s_mov_b32 s22, exec_lo
	v_cmpx_gt_u32_e32 8, v12
; %bb.2692:                             ;   in Loop: Header=BB232_2076 Depth=1
	v_ffbh_u32_e32 v9, v10
	v_min_u32_e32 v9, 32, v9
	v_subrev_nc_u32_e32 v12, 28, v9
	v_sub_nc_u32_e32 v9, 29, v9
	v_lshlrev_b64 v[20:21], v12, v[10:11]
	v_and_b32_e32 v10, 7, v20
; %bb.2693:                             ;   in Loop: Header=BB232_2076 Depth=1
	s_or_b32 exec_lo, exec_lo, s22
	v_lshlrev_b32_e32 v12, 24, v8
	v_lshlrev_b32_e32 v10, 20, v10
	v_lshl_add_u32 v9, v9, 23, 0x3c000000
	v_and_b32_e32 v12, 0x80000000, v12
	v_or3_b32 v10, v10, v12, v9
	v_mov_b32_e32 v21, v11
	v_mov_b32_e32 v20, v10
.LBB232_2694:                           ;   in Loop: Header=BB232_2076 Depth=1
	s_or_b32 exec_lo, exec_lo, s21
.LBB232_2695:                           ;   in Loop: Header=BB232_2076 Depth=1
	s_or_b32 exec_lo, exec_lo, s20
.LBB232_2696:                           ;   in Loop: Header=BB232_2076 Depth=1
	s_or_b32 exec_lo, exec_lo, s19
	v_cmp_ne_u16_sdwa s8, v8, v11 src0_sel:BYTE_1 src1_sel:DWORD
	s_and_saveexec_b32 s19, s8
	s_cbranch_execz .LBB232_2704
; %bb.2697:                             ;   in Loop: Header=BB232_2076 Depth=1
	v_mov_b32_e32 v12, v11
	v_mov_b32_e32 v23, v13
	v_cmp_ne_u16_sdwa s8, v8, v74 src0_sel:BYTE_1 src1_sel:DWORD
	v_mov_b32_e32 v22, v12
	s_and_saveexec_b32 s20, s8
	s_cbranch_execz .LBB232_2703
; %bb.2698:                             ;   in Loop: Header=BB232_2076 Depth=1
	v_and_b32_sdwa v9, v75, v8 dst_sel:DWORD dst_unused:UNUSED_PAD src0_sel:DWORD src1_sel:BYTE_1
	v_mov_b32_e32 v14, v11
	v_mov_b32_e32 v23, v15
	s_mov_b32 s21, exec_lo
	v_and_b32_e32 v12, 0x7f, v9
	v_mov_b32_e32 v22, v14
	v_cmpx_ne_u32_e32 0x7f, v12
	s_cbranch_execz .LBB232_2702
; %bb.2699:                             ;   in Loop: Header=BB232_2076 Depth=1
	v_and_b32_e32 v10, 7, v9
	v_lshrrev_b32_e32 v9, 3, v12
	s_mov_b32 s22, exec_lo
	v_cmpx_gt_u32_e32 8, v12
; %bb.2700:                             ;   in Loop: Header=BB232_2076 Depth=1
	v_ffbh_u32_e32 v9, v10
	v_min_u32_e32 v9, 32, v9
	v_subrev_nc_u32_e32 v12, 28, v9
	v_sub_nc_u32_e32 v9, 29, v9
	v_lshlrev_b64 v[22:23], v12, v[10:11]
	v_and_b32_e32 v10, 7, v22
; %bb.2701:                             ;   in Loop: Header=BB232_2076 Depth=1
	s_or_b32 exec_lo, exec_lo, s22
	v_lshlrev_b32_e32 v12, 16, v8
	v_lshlrev_b32_e32 v10, 20, v10
	v_lshl_add_u32 v9, v9, 23, 0x3c000000
	v_mov_b32_e32 v22, v11
	v_and_b32_e32 v12, 0x80000000, v12
	v_or3_b32 v23, v10, v12, v9
.LBB232_2702:                           ;   in Loop: Header=BB232_2076 Depth=1
	s_or_b32 exec_lo, exec_lo, s21
.LBB232_2703:                           ;   in Loop: Header=BB232_2076 Depth=1
	s_or_b32 exec_lo, exec_lo, s20
.LBB232_2704:                           ;   in Loop: Header=BB232_2076 Depth=1
	s_or_b32 exec_lo, exec_lo, s19
	v_mov_b32_e32 v24, 0
	v_mov_b32_e32 v26, 0
	v_and_b32_sdwa v9, v8, v76 dst_sel:DWORD dst_unused:UNUSED_PAD src0_sel:WORD_1 src1_sel:DWORD
	v_mov_b32_e32 v25, 0
	v_mov_b32_e32 v27, 0
	s_mov_b32 s19, exec_lo
	v_cmpx_ne_u16_e32 0, v9
	s_cbranch_execz .LBB232_2712
; %bb.2705:                             ;   in Loop: Header=BB232_2076 Depth=1
	v_bfrev_b32_e32 v26, 1
	v_mov_b32_e32 v27, 0
	s_mov_b32 s20, exec_lo
	v_cmpx_ne_u16_e32 0x80, v9
	s_cbranch_execz .LBB232_2711
; %bb.2706:                             ;   in Loop: Header=BB232_2076 Depth=1
	v_mov_b32_e32 v26, 0x7f800001
	v_bfe_u32 v12, v8, 16, 7
	v_mov_b32_e32 v27, 0
	s_mov_b32 s21, exec_lo
	v_cmpx_ne_u32_e32 0x7f, v12
	s_cbranch_execz .LBB232_2710
; %bb.2707:                             ;   in Loop: Header=BB232_2076 Depth=1
	v_and_b32_sdwa v10, v8, v77 dst_sel:DWORD dst_unused:UNUSED_PAD src0_sel:WORD_1 src1_sel:DWORD
	v_lshrrev_b32_e32 v9, 3, v12
	s_mov_b32 s22, exec_lo
	v_cmpx_gt_u32_e32 8, v12
; %bb.2708:                             ;   in Loop: Header=BB232_2076 Depth=1
	v_ffbh_u32_e32 v9, v10
	v_min_u32_e32 v9, 32, v9
	v_subrev_nc_u32_e32 v12, 28, v9
	v_sub_nc_u32_e32 v9, 29, v9
	v_lshlrev_b64 v[26:27], v12, v[10:11]
	v_and_b32_e32 v10, 7, v26
; %bb.2709:                             ;   in Loop: Header=BB232_2076 Depth=1
	s_or_b32 exec_lo, exec_lo, s22
	v_lshlrev_b32_sdwa v12, v78, v8 dst_sel:DWORD dst_unused:UNUSED_PAD src0_sel:DWORD src1_sel:WORD_1
	v_lshlrev_b32_e32 v10, 20, v10
	v_lshl_add_u32 v9, v9, 23, 0x3c000000
	v_and_b32_e32 v12, 0x80000000, v12
	v_or3_b32 v10, v10, v12, v9
	v_mov_b32_e32 v27, v11
	v_mov_b32_e32 v26, v10
.LBB232_2710:                           ;   in Loop: Header=BB232_2076 Depth=1
	s_or_b32 exec_lo, exec_lo, s21
.LBB232_2711:                           ;   in Loop: Header=BB232_2076 Depth=1
	s_or_b32 exec_lo, exec_lo, s20
.LBB232_2712:                           ;   in Loop: Header=BB232_2076 Depth=1
	s_or_b32 exec_lo, exec_lo, s19
	s_mov_b32 s19, exec_lo
	v_cmpx_lt_u32_e32 0xffffff, v8
	s_cbranch_execz .LBB232_2720
; %bb.2713:                             ;   in Loop: Header=BB232_2076 Depth=1
	v_mov_b32_e32 v12, v11
	v_mov_b32_e32 v25, v13
	v_cmp_ne_u32_sdwa s8, v8, v74 src0_sel:BYTE_3 src1_sel:DWORD
	v_mov_b32_e32 v24, v12
	s_and_saveexec_b32 s20, s8
	s_cbranch_execz .LBB232_2719
; %bb.2714:                             ;   in Loop: Header=BB232_2076 Depth=1
	v_mov_b32_e32 v14, v11
	v_mov_b32_e32 v25, v15
	v_bfe_u32 v12, v8, 24, 7
	s_mov_b32 s21, exec_lo
	v_mov_b32_e32 v24, v14
	v_cmpx_ne_u32_e32 0x7f, v12
	s_cbranch_execz .LBB232_2718
; %bb.2715:                             ;   in Loop: Header=BB232_2076 Depth=1
	v_and_b32_sdwa v10, v8, v77 dst_sel:DWORD dst_unused:UNUSED_PAD src0_sel:BYTE_3 src1_sel:DWORD
	v_lshrrev_b32_e32 v9, 3, v12
	s_mov_b32 s22, exec_lo
	v_cmpx_gt_u32_e32 8, v12
; %bb.2716:                             ;   in Loop: Header=BB232_2076 Depth=1
	v_ffbh_u32_e32 v9, v10
	v_min_u32_e32 v9, 32, v9
	v_subrev_nc_u32_e32 v12, 28, v9
	v_sub_nc_u32_e32 v9, 29, v9
	v_lshlrev_b64 v[24:25], v12, v[10:11]
	v_and_b32_e32 v10, 7, v24
; %bb.2717:                             ;   in Loop: Header=BB232_2076 Depth=1
	s_or_b32 exec_lo, exec_lo, s22
	v_lshlrev_b32_sdwa v8, v78, v8 dst_sel:DWORD dst_unused:UNUSED_PAD src0_sel:DWORD src1_sel:BYTE_3
	v_lshlrev_b32_e32 v10, 20, v10
	v_lshl_add_u32 v9, v9, 23, 0x3c000000
	v_mov_b32_e32 v24, v11
	v_and_b32_e32 v8, 0x80000000, v8
	v_or3_b32 v25, v10, v8, v9
.LBB232_2718:                           ;   in Loop: Header=BB232_2076 Depth=1
	s_or_b32 exec_lo, exec_lo, s21
.LBB232_2719:                           ;   in Loop: Header=BB232_2076 Depth=1
	s_or_b32 exec_lo, exec_lo, s20
.LBB232_2720:                           ;   in Loop: Header=BB232_2076 Depth=1
	s_or_b32 exec_lo, exec_lo, s19
	v_or_b32_e32 v8, v23, v21
	v_or_b32_e32 v9, v22, v20
	;; [unrolled: 1-line block ×4, first 2 shown]
	v_mul_f32_e32 v8, v92, v8
	buffer_store_dword v8, off, s[0:3], s32 offset:796 ; 4-byte Folded Spill
	v_mul_f32_e32 v8, v73, v9
	buffer_store_dword v8, off, s[0:3], s32 offset:788 ; 4-byte Folded Spill
	;; [unrolled: 2-line block ×4, first 2 shown]
	s_and_saveexec_b32 s8, s6
	s_cbranch_execz .LBB232_2722
; %bb.2721:                             ;   in Loop: Header=BB232_2076 Depth=1
	buffer_load_dword v8, off, s[0:3], s32 offset:788 ; 4-byte Folded Reload
	s_waitcnt vmcnt(0)
	v_cndmask_b32_e32 v8, 0, v8, vcc_lo
	buffer_store_dword v8, off, s[0:3], s32 offset:788 ; 4-byte Folded Spill
	buffer_load_dword v8, off, s[0:3], s32 offset:796 ; 4-byte Folded Reload
	s_waitcnt vmcnt(0)
	v_cndmask_b32_e64 v8, 0, v8, s4
	buffer_store_dword v8, off, s[0:3], s32 offset:796 ; 4-byte Folded Spill
	buffer_load_dword v8, off, s[0:3], s32 offset:780 ; 4-byte Folded Reload
	s_waitcnt vmcnt(0)
	v_cndmask_b32_e64 v8, 0, v8, s5
	buffer_store_dword v8, off, s[0:3], s32 offset:780 ; 4-byte Folded Spill
	buffer_load_dword v8, off, s[0:3], s32 offset:772 ; 4-byte Folded Reload
	s_waitcnt vmcnt(0)
	v_cndmask_b32_e64 v8, 0, v8, s7
	buffer_store_dword v8, off, s[0:3], s32 offset:772 ; 4-byte Folded Spill
.LBB232_2722:                           ;   in Loop: Header=BB232_2076 Depth=1
	s_or_b32 exec_lo, exec_lo, s8
	flat_load_dword v8, v[18:19] offset:384
	v_mov_b32_e32 v22, 0
	v_mov_b32_e32 v20, 0
	;; [unrolled: 1-line block ×4, first 2 shown]
	s_waitcnt vmcnt(0) lgkmcnt(0)
	v_cmp_ne_u16_sdwa s8, v8, v11 src0_sel:BYTE_0 src1_sel:DWORD
	s_and_saveexec_b32 s19, s8
	s_cbranch_execz .LBB232_2730
; %bb.2723:                             ;   in Loop: Header=BB232_2076 Depth=1
	v_bfrev_b32_e32 v20, 1
	v_mov_b32_e32 v21, 0
	v_cmp_ne_u16_sdwa s8, v8, v74 src0_sel:BYTE_0 src1_sel:DWORD
	s_and_saveexec_b32 s20, s8
	s_cbranch_execz .LBB232_2729
; %bb.2724:                             ;   in Loop: Header=BB232_2076 Depth=1
	v_mov_b32_e32 v20, 0x7f800001
	v_and_b32_e32 v12, 0x7f, v8
	v_mov_b32_e32 v21, 0
	s_mov_b32 s21, exec_lo
	v_cmpx_ne_u32_e32 0x7f, v12
	s_cbranch_execz .LBB232_2728
; %bb.2725:                             ;   in Loop: Header=BB232_2076 Depth=1
	v_and_b32_e32 v10, 7, v8
	v_lshrrev_b32_e32 v9, 3, v12
	s_mov_b32 s22, exec_lo
	v_cmpx_gt_u32_e32 8, v12
; %bb.2726:                             ;   in Loop: Header=BB232_2076 Depth=1
	v_ffbh_u32_e32 v9, v10
	v_min_u32_e32 v9, 32, v9
	v_subrev_nc_u32_e32 v12, 28, v9
	v_sub_nc_u32_e32 v9, 29, v9
	v_lshlrev_b64 v[20:21], v12, v[10:11]
	v_and_b32_e32 v10, 7, v20
; %bb.2727:                             ;   in Loop: Header=BB232_2076 Depth=1
	s_or_b32 exec_lo, exec_lo, s22
	v_lshlrev_b32_e32 v12, 24, v8
	v_lshlrev_b32_e32 v10, 20, v10
	v_lshl_add_u32 v9, v9, 23, 0x3c000000
	v_and_b32_e32 v12, 0x80000000, v12
	v_or3_b32 v10, v10, v12, v9
	v_mov_b32_e32 v21, v11
	v_mov_b32_e32 v20, v10
.LBB232_2728:                           ;   in Loop: Header=BB232_2076 Depth=1
	s_or_b32 exec_lo, exec_lo, s21
.LBB232_2729:                           ;   in Loop: Header=BB232_2076 Depth=1
	s_or_b32 exec_lo, exec_lo, s20
.LBB232_2730:                           ;   in Loop: Header=BB232_2076 Depth=1
	s_or_b32 exec_lo, exec_lo, s19
	v_cmp_ne_u16_sdwa s8, v8, v11 src0_sel:BYTE_1 src1_sel:DWORD
	s_and_saveexec_b32 s19, s8
	s_cbranch_execz .LBB232_2738
; %bb.2731:                             ;   in Loop: Header=BB232_2076 Depth=1
	v_mov_b32_e32 v12, v11
	v_mov_b32_e32 v23, v13
	v_cmp_ne_u16_sdwa s8, v8, v74 src0_sel:BYTE_1 src1_sel:DWORD
	v_mov_b32_e32 v22, v12
	s_and_saveexec_b32 s20, s8
	s_cbranch_execz .LBB232_2737
; %bb.2732:                             ;   in Loop: Header=BB232_2076 Depth=1
	v_and_b32_sdwa v9, v75, v8 dst_sel:DWORD dst_unused:UNUSED_PAD src0_sel:DWORD src1_sel:BYTE_1
	v_mov_b32_e32 v14, v11
	v_mov_b32_e32 v23, v15
	s_mov_b32 s21, exec_lo
	v_and_b32_e32 v12, 0x7f, v9
	v_mov_b32_e32 v22, v14
	v_cmpx_ne_u32_e32 0x7f, v12
	s_cbranch_execz .LBB232_2736
; %bb.2733:                             ;   in Loop: Header=BB232_2076 Depth=1
	v_and_b32_e32 v10, 7, v9
	v_lshrrev_b32_e32 v9, 3, v12
	s_mov_b32 s22, exec_lo
	v_cmpx_gt_u32_e32 8, v12
; %bb.2734:                             ;   in Loop: Header=BB232_2076 Depth=1
	v_ffbh_u32_e32 v9, v10
	v_min_u32_e32 v9, 32, v9
	v_subrev_nc_u32_e32 v12, 28, v9
	v_sub_nc_u32_e32 v9, 29, v9
	v_lshlrev_b64 v[22:23], v12, v[10:11]
	v_and_b32_e32 v10, 7, v22
; %bb.2735:                             ;   in Loop: Header=BB232_2076 Depth=1
	s_or_b32 exec_lo, exec_lo, s22
	v_lshlrev_b32_e32 v12, 16, v8
	v_lshlrev_b32_e32 v10, 20, v10
	v_lshl_add_u32 v9, v9, 23, 0x3c000000
	v_mov_b32_e32 v22, v11
	v_and_b32_e32 v12, 0x80000000, v12
	v_or3_b32 v23, v10, v12, v9
.LBB232_2736:                           ;   in Loop: Header=BB232_2076 Depth=1
	s_or_b32 exec_lo, exec_lo, s21
.LBB232_2737:                           ;   in Loop: Header=BB232_2076 Depth=1
	s_or_b32 exec_lo, exec_lo, s20
.LBB232_2738:                           ;   in Loop: Header=BB232_2076 Depth=1
	s_or_b32 exec_lo, exec_lo, s19
	v_mov_b32_e32 v24, 0
	v_mov_b32_e32 v26, 0
	v_and_b32_sdwa v9, v8, v76 dst_sel:DWORD dst_unused:UNUSED_PAD src0_sel:WORD_1 src1_sel:DWORD
	v_mov_b32_e32 v25, 0
	v_mov_b32_e32 v27, 0
	s_mov_b32 s19, exec_lo
	v_cmpx_ne_u16_e32 0, v9
	s_cbranch_execz .LBB232_2746
; %bb.2739:                             ;   in Loop: Header=BB232_2076 Depth=1
	v_bfrev_b32_e32 v26, 1
	v_mov_b32_e32 v27, 0
	s_mov_b32 s20, exec_lo
	v_cmpx_ne_u16_e32 0x80, v9
	s_cbranch_execz .LBB232_2745
; %bb.2740:                             ;   in Loop: Header=BB232_2076 Depth=1
	v_mov_b32_e32 v26, 0x7f800001
	v_bfe_u32 v12, v8, 16, 7
	v_mov_b32_e32 v27, 0
	s_mov_b32 s21, exec_lo
	v_cmpx_ne_u32_e32 0x7f, v12
	s_cbranch_execz .LBB232_2744
; %bb.2741:                             ;   in Loop: Header=BB232_2076 Depth=1
	v_and_b32_sdwa v10, v8, v77 dst_sel:DWORD dst_unused:UNUSED_PAD src0_sel:WORD_1 src1_sel:DWORD
	v_lshrrev_b32_e32 v9, 3, v12
	s_mov_b32 s22, exec_lo
	v_cmpx_gt_u32_e32 8, v12
; %bb.2742:                             ;   in Loop: Header=BB232_2076 Depth=1
	v_ffbh_u32_e32 v9, v10
	v_min_u32_e32 v9, 32, v9
	v_subrev_nc_u32_e32 v12, 28, v9
	v_sub_nc_u32_e32 v9, 29, v9
	v_lshlrev_b64 v[26:27], v12, v[10:11]
	v_and_b32_e32 v10, 7, v26
; %bb.2743:                             ;   in Loop: Header=BB232_2076 Depth=1
	s_or_b32 exec_lo, exec_lo, s22
	v_lshlrev_b32_sdwa v12, v78, v8 dst_sel:DWORD dst_unused:UNUSED_PAD src0_sel:DWORD src1_sel:WORD_1
	v_lshlrev_b32_e32 v10, 20, v10
	v_lshl_add_u32 v9, v9, 23, 0x3c000000
	v_and_b32_e32 v12, 0x80000000, v12
	v_or3_b32 v10, v10, v12, v9
	v_mov_b32_e32 v27, v11
	v_mov_b32_e32 v26, v10
.LBB232_2744:                           ;   in Loop: Header=BB232_2076 Depth=1
	s_or_b32 exec_lo, exec_lo, s21
.LBB232_2745:                           ;   in Loop: Header=BB232_2076 Depth=1
	s_or_b32 exec_lo, exec_lo, s20
.LBB232_2746:                           ;   in Loop: Header=BB232_2076 Depth=1
	s_or_b32 exec_lo, exec_lo, s19
	s_mov_b32 s19, exec_lo
	v_cmpx_lt_u32_e32 0xffffff, v8
	s_cbranch_execz .LBB232_2754
; %bb.2747:                             ;   in Loop: Header=BB232_2076 Depth=1
	v_mov_b32_e32 v12, v11
	v_mov_b32_e32 v25, v13
	v_cmp_ne_u32_sdwa s8, v8, v74 src0_sel:BYTE_3 src1_sel:DWORD
	v_mov_b32_e32 v24, v12
	s_and_saveexec_b32 s20, s8
	s_cbranch_execz .LBB232_2753
; %bb.2748:                             ;   in Loop: Header=BB232_2076 Depth=1
	v_mov_b32_e32 v14, v11
	v_mov_b32_e32 v25, v15
	v_bfe_u32 v12, v8, 24, 7
	s_mov_b32 s21, exec_lo
	v_mov_b32_e32 v24, v14
	v_cmpx_ne_u32_e32 0x7f, v12
	s_cbranch_execz .LBB232_2752
; %bb.2749:                             ;   in Loop: Header=BB232_2076 Depth=1
	v_and_b32_sdwa v10, v8, v77 dst_sel:DWORD dst_unused:UNUSED_PAD src0_sel:BYTE_3 src1_sel:DWORD
	v_lshrrev_b32_e32 v9, 3, v12
	s_mov_b32 s22, exec_lo
	v_cmpx_gt_u32_e32 8, v12
; %bb.2750:                             ;   in Loop: Header=BB232_2076 Depth=1
	v_ffbh_u32_e32 v9, v10
	v_min_u32_e32 v9, 32, v9
	v_subrev_nc_u32_e32 v12, 28, v9
	v_sub_nc_u32_e32 v9, 29, v9
	v_lshlrev_b64 v[24:25], v12, v[10:11]
	v_and_b32_e32 v10, 7, v24
; %bb.2751:                             ;   in Loop: Header=BB232_2076 Depth=1
	s_or_b32 exec_lo, exec_lo, s22
	v_lshlrev_b32_sdwa v8, v78, v8 dst_sel:DWORD dst_unused:UNUSED_PAD src0_sel:DWORD src1_sel:BYTE_3
	v_lshlrev_b32_e32 v10, 20, v10
	v_lshl_add_u32 v9, v9, 23, 0x3c000000
	v_mov_b32_e32 v24, v11
	v_and_b32_e32 v8, 0x80000000, v8
	v_or3_b32 v25, v10, v8, v9
.LBB232_2752:                           ;   in Loop: Header=BB232_2076 Depth=1
	s_or_b32 exec_lo, exec_lo, s21
.LBB232_2753:                           ;   in Loop: Header=BB232_2076 Depth=1
	s_or_b32 exec_lo, exec_lo, s20
.LBB232_2754:                           ;   in Loop: Header=BB232_2076 Depth=1
	s_or_b32 exec_lo, exec_lo, s19
	v_or_b32_e32 v8, v23, v21
	v_or_b32_e32 v9, v22, v20
	;; [unrolled: 1-line block ×4, first 2 shown]
	v_mul_f32_e32 v8, v92, v8
	buffer_store_dword v8, off, s[0:3], s32 offset:828 ; 4-byte Folded Spill
	v_mul_f32_e32 v8, v73, v9
	buffer_store_dword v8, off, s[0:3], s32 offset:820 ; 4-byte Folded Spill
	;; [unrolled: 2-line block ×4, first 2 shown]
	s_and_saveexec_b32 s8, s6
	s_cbranch_execz .LBB232_2756
; %bb.2755:                             ;   in Loop: Header=BB232_2076 Depth=1
	buffer_load_dword v8, off, s[0:3], s32 offset:820 ; 4-byte Folded Reload
	s_waitcnt vmcnt(0)
	v_cndmask_b32_e32 v8, 0, v8, vcc_lo
	buffer_store_dword v8, off, s[0:3], s32 offset:820 ; 4-byte Folded Spill
	buffer_load_dword v8, off, s[0:3], s32 offset:828 ; 4-byte Folded Reload
	s_waitcnt vmcnt(0)
	v_cndmask_b32_e64 v8, 0, v8, s4
	buffer_store_dword v8, off, s[0:3], s32 offset:828 ; 4-byte Folded Spill
	buffer_load_dword v8, off, s[0:3], s32 offset:812 ; 4-byte Folded Reload
	s_waitcnt vmcnt(0)
	v_cndmask_b32_e64 v8, 0, v8, s5
	;; [unrolled: 4-line block ×3, first 2 shown]
	buffer_store_dword v8, off, s[0:3], s32 offset:804 ; 4-byte Folded Spill
.LBB232_2756:                           ;   in Loop: Header=BB232_2076 Depth=1
	s_or_b32 exec_lo, exec_lo, s8
	flat_load_dword v8, v[18:19] offset:512
	v_mov_b32_e32 v22, 0
	v_mov_b32_e32 v20, 0
	;; [unrolled: 1-line block ×4, first 2 shown]
	s_waitcnt vmcnt(0) lgkmcnt(0)
	v_cmp_ne_u16_sdwa s8, v8, v11 src0_sel:BYTE_0 src1_sel:DWORD
	s_and_saveexec_b32 s19, s8
	s_cbranch_execz .LBB232_2764
; %bb.2757:                             ;   in Loop: Header=BB232_2076 Depth=1
	v_bfrev_b32_e32 v20, 1
	v_mov_b32_e32 v21, 0
	v_cmp_ne_u16_sdwa s8, v8, v74 src0_sel:BYTE_0 src1_sel:DWORD
	s_and_saveexec_b32 s20, s8
	s_cbranch_execz .LBB232_2763
; %bb.2758:                             ;   in Loop: Header=BB232_2076 Depth=1
	v_mov_b32_e32 v20, 0x7f800001
	v_and_b32_e32 v12, 0x7f, v8
	v_mov_b32_e32 v21, 0
	s_mov_b32 s21, exec_lo
	v_cmpx_ne_u32_e32 0x7f, v12
	s_cbranch_execz .LBB232_2762
; %bb.2759:                             ;   in Loop: Header=BB232_2076 Depth=1
	v_and_b32_e32 v10, 7, v8
	v_lshrrev_b32_e32 v9, 3, v12
	s_mov_b32 s22, exec_lo
	v_cmpx_gt_u32_e32 8, v12
; %bb.2760:                             ;   in Loop: Header=BB232_2076 Depth=1
	v_ffbh_u32_e32 v9, v10
	v_min_u32_e32 v9, 32, v9
	v_subrev_nc_u32_e32 v12, 28, v9
	v_sub_nc_u32_e32 v9, 29, v9
	v_lshlrev_b64 v[20:21], v12, v[10:11]
	v_and_b32_e32 v10, 7, v20
; %bb.2761:                             ;   in Loop: Header=BB232_2076 Depth=1
	s_or_b32 exec_lo, exec_lo, s22
	v_lshlrev_b32_e32 v12, 24, v8
	v_lshlrev_b32_e32 v10, 20, v10
	v_lshl_add_u32 v9, v9, 23, 0x3c000000
	v_and_b32_e32 v12, 0x80000000, v12
	v_or3_b32 v10, v10, v12, v9
	v_mov_b32_e32 v21, v11
	v_mov_b32_e32 v20, v10
.LBB232_2762:                           ;   in Loop: Header=BB232_2076 Depth=1
	s_or_b32 exec_lo, exec_lo, s21
.LBB232_2763:                           ;   in Loop: Header=BB232_2076 Depth=1
	s_or_b32 exec_lo, exec_lo, s20
.LBB232_2764:                           ;   in Loop: Header=BB232_2076 Depth=1
	s_or_b32 exec_lo, exec_lo, s19
	v_cmp_ne_u16_sdwa s8, v8, v11 src0_sel:BYTE_1 src1_sel:DWORD
	s_and_saveexec_b32 s19, s8
	s_cbranch_execz .LBB232_2772
; %bb.2765:                             ;   in Loop: Header=BB232_2076 Depth=1
	v_mov_b32_e32 v12, v11
	v_mov_b32_e32 v23, v13
	v_cmp_ne_u16_sdwa s8, v8, v74 src0_sel:BYTE_1 src1_sel:DWORD
	v_mov_b32_e32 v22, v12
	s_and_saveexec_b32 s20, s8
	s_cbranch_execz .LBB232_2771
; %bb.2766:                             ;   in Loop: Header=BB232_2076 Depth=1
	v_and_b32_sdwa v9, v75, v8 dst_sel:DWORD dst_unused:UNUSED_PAD src0_sel:DWORD src1_sel:BYTE_1
	v_mov_b32_e32 v14, v11
	v_mov_b32_e32 v23, v15
	s_mov_b32 s21, exec_lo
	v_and_b32_e32 v12, 0x7f, v9
	v_mov_b32_e32 v22, v14
	v_cmpx_ne_u32_e32 0x7f, v12
	s_cbranch_execz .LBB232_2770
; %bb.2767:                             ;   in Loop: Header=BB232_2076 Depth=1
	v_and_b32_e32 v10, 7, v9
	v_lshrrev_b32_e32 v9, 3, v12
	s_mov_b32 s22, exec_lo
	v_cmpx_gt_u32_e32 8, v12
; %bb.2768:                             ;   in Loop: Header=BB232_2076 Depth=1
	v_ffbh_u32_e32 v9, v10
	v_min_u32_e32 v9, 32, v9
	v_subrev_nc_u32_e32 v12, 28, v9
	v_sub_nc_u32_e32 v9, 29, v9
	v_lshlrev_b64 v[22:23], v12, v[10:11]
	v_and_b32_e32 v10, 7, v22
; %bb.2769:                             ;   in Loop: Header=BB232_2076 Depth=1
	s_or_b32 exec_lo, exec_lo, s22
	v_lshlrev_b32_e32 v12, 16, v8
	v_lshlrev_b32_e32 v10, 20, v10
	v_lshl_add_u32 v9, v9, 23, 0x3c000000
	v_mov_b32_e32 v22, v11
	v_and_b32_e32 v12, 0x80000000, v12
	v_or3_b32 v23, v10, v12, v9
.LBB232_2770:                           ;   in Loop: Header=BB232_2076 Depth=1
	s_or_b32 exec_lo, exec_lo, s21
.LBB232_2771:                           ;   in Loop: Header=BB232_2076 Depth=1
	s_or_b32 exec_lo, exec_lo, s20
.LBB232_2772:                           ;   in Loop: Header=BB232_2076 Depth=1
	s_or_b32 exec_lo, exec_lo, s19
	v_mov_b32_e32 v24, 0
	v_mov_b32_e32 v26, 0
	v_and_b32_sdwa v9, v8, v76 dst_sel:DWORD dst_unused:UNUSED_PAD src0_sel:WORD_1 src1_sel:DWORD
	v_mov_b32_e32 v25, 0
	v_mov_b32_e32 v27, 0
	s_mov_b32 s19, exec_lo
	v_cmpx_ne_u16_e32 0, v9
	s_cbranch_execz .LBB232_2780
; %bb.2773:                             ;   in Loop: Header=BB232_2076 Depth=1
	v_bfrev_b32_e32 v26, 1
	v_mov_b32_e32 v27, 0
	s_mov_b32 s20, exec_lo
	v_cmpx_ne_u16_e32 0x80, v9
	s_cbranch_execz .LBB232_2779
; %bb.2774:                             ;   in Loop: Header=BB232_2076 Depth=1
	v_mov_b32_e32 v26, 0x7f800001
	v_bfe_u32 v12, v8, 16, 7
	v_mov_b32_e32 v27, 0
	s_mov_b32 s21, exec_lo
	v_cmpx_ne_u32_e32 0x7f, v12
	s_cbranch_execz .LBB232_2778
; %bb.2775:                             ;   in Loop: Header=BB232_2076 Depth=1
	v_and_b32_sdwa v10, v8, v77 dst_sel:DWORD dst_unused:UNUSED_PAD src0_sel:WORD_1 src1_sel:DWORD
	v_lshrrev_b32_e32 v9, 3, v12
	s_mov_b32 s22, exec_lo
	v_cmpx_gt_u32_e32 8, v12
; %bb.2776:                             ;   in Loop: Header=BB232_2076 Depth=1
	v_ffbh_u32_e32 v9, v10
	v_min_u32_e32 v9, 32, v9
	v_subrev_nc_u32_e32 v12, 28, v9
	v_sub_nc_u32_e32 v9, 29, v9
	v_lshlrev_b64 v[26:27], v12, v[10:11]
	v_and_b32_e32 v10, 7, v26
; %bb.2777:                             ;   in Loop: Header=BB232_2076 Depth=1
	s_or_b32 exec_lo, exec_lo, s22
	v_lshlrev_b32_sdwa v12, v78, v8 dst_sel:DWORD dst_unused:UNUSED_PAD src0_sel:DWORD src1_sel:WORD_1
	v_lshlrev_b32_e32 v10, 20, v10
	v_lshl_add_u32 v9, v9, 23, 0x3c000000
	v_and_b32_e32 v12, 0x80000000, v12
	v_or3_b32 v10, v10, v12, v9
	v_mov_b32_e32 v27, v11
	v_mov_b32_e32 v26, v10
.LBB232_2778:                           ;   in Loop: Header=BB232_2076 Depth=1
	s_or_b32 exec_lo, exec_lo, s21
.LBB232_2779:                           ;   in Loop: Header=BB232_2076 Depth=1
	s_or_b32 exec_lo, exec_lo, s20
.LBB232_2780:                           ;   in Loop: Header=BB232_2076 Depth=1
	s_or_b32 exec_lo, exec_lo, s19
	s_mov_b32 s19, exec_lo
	v_cmpx_lt_u32_e32 0xffffff, v8
	s_cbranch_execz .LBB232_2788
; %bb.2781:                             ;   in Loop: Header=BB232_2076 Depth=1
	v_mov_b32_e32 v12, v11
	v_mov_b32_e32 v25, v13
	v_cmp_ne_u32_sdwa s8, v8, v74 src0_sel:BYTE_3 src1_sel:DWORD
	v_mov_b32_e32 v24, v12
	s_and_saveexec_b32 s20, s8
	s_cbranch_execz .LBB232_2787
; %bb.2782:                             ;   in Loop: Header=BB232_2076 Depth=1
	v_mov_b32_e32 v14, v11
	v_mov_b32_e32 v25, v15
	v_bfe_u32 v12, v8, 24, 7
	s_mov_b32 s21, exec_lo
	v_mov_b32_e32 v24, v14
	v_cmpx_ne_u32_e32 0x7f, v12
	s_cbranch_execz .LBB232_2786
; %bb.2783:                             ;   in Loop: Header=BB232_2076 Depth=1
	v_and_b32_sdwa v10, v8, v77 dst_sel:DWORD dst_unused:UNUSED_PAD src0_sel:BYTE_3 src1_sel:DWORD
	v_lshrrev_b32_e32 v9, 3, v12
	s_mov_b32 s22, exec_lo
	v_cmpx_gt_u32_e32 8, v12
; %bb.2784:                             ;   in Loop: Header=BB232_2076 Depth=1
	v_ffbh_u32_e32 v9, v10
	v_min_u32_e32 v9, 32, v9
	v_subrev_nc_u32_e32 v12, 28, v9
	v_sub_nc_u32_e32 v9, 29, v9
	v_lshlrev_b64 v[24:25], v12, v[10:11]
	v_and_b32_e32 v10, 7, v24
; %bb.2785:                             ;   in Loop: Header=BB232_2076 Depth=1
	s_or_b32 exec_lo, exec_lo, s22
	v_lshlrev_b32_sdwa v8, v78, v8 dst_sel:DWORD dst_unused:UNUSED_PAD src0_sel:DWORD src1_sel:BYTE_3
	v_lshlrev_b32_e32 v10, 20, v10
	v_lshl_add_u32 v9, v9, 23, 0x3c000000
	v_mov_b32_e32 v24, v11
	v_and_b32_e32 v8, 0x80000000, v8
	v_or3_b32 v25, v10, v8, v9
.LBB232_2786:                           ;   in Loop: Header=BB232_2076 Depth=1
	s_or_b32 exec_lo, exec_lo, s21
.LBB232_2787:                           ;   in Loop: Header=BB232_2076 Depth=1
	s_or_b32 exec_lo, exec_lo, s20
.LBB232_2788:                           ;   in Loop: Header=BB232_2076 Depth=1
	s_or_b32 exec_lo, exec_lo, s19
	v_or_b32_e32 v8, v23, v21
	v_or_b32_e32 v9, v22, v20
	;; [unrolled: 1-line block ×4, first 2 shown]
	v_mul_f32_e32 v8, v92, v8
	buffer_store_dword v8, off, s[0:3], s32 offset:860 ; 4-byte Folded Spill
	v_mul_f32_e32 v8, v73, v9
	buffer_store_dword v8, off, s[0:3], s32 offset:852 ; 4-byte Folded Spill
	;; [unrolled: 2-line block ×4, first 2 shown]
	s_and_saveexec_b32 s8, s6
	s_cbranch_execz .LBB232_2790
; %bb.2789:                             ;   in Loop: Header=BB232_2076 Depth=1
	buffer_load_dword v8, off, s[0:3], s32 offset:852 ; 4-byte Folded Reload
	s_waitcnt vmcnt(0)
	v_cndmask_b32_e32 v8, 0, v8, vcc_lo
	buffer_store_dword v8, off, s[0:3], s32 offset:852 ; 4-byte Folded Spill
	buffer_load_dword v8, off, s[0:3], s32 offset:860 ; 4-byte Folded Reload
	s_waitcnt vmcnt(0)
	v_cndmask_b32_e64 v8, 0, v8, s4
	buffer_store_dword v8, off, s[0:3], s32 offset:860 ; 4-byte Folded Spill
	buffer_load_dword v8, off, s[0:3], s32 offset:844 ; 4-byte Folded Reload
	s_waitcnt vmcnt(0)
	v_cndmask_b32_e64 v8, 0, v8, s5
	;; [unrolled: 4-line block ×3, first 2 shown]
	buffer_store_dword v8, off, s[0:3], s32 offset:836 ; 4-byte Folded Spill
.LBB232_2790:                           ;   in Loop: Header=BB232_2076 Depth=1
	s_or_b32 exec_lo, exec_lo, s8
	flat_load_dword v8, v[18:19] offset:640
	v_mov_b32_e32 v22, 0
	v_mov_b32_e32 v20, 0
	;; [unrolled: 1-line block ×4, first 2 shown]
	s_waitcnt vmcnt(0) lgkmcnt(0)
	v_cmp_ne_u16_sdwa s8, v8, v11 src0_sel:BYTE_0 src1_sel:DWORD
	s_and_saveexec_b32 s19, s8
	s_cbranch_execz .LBB232_2798
; %bb.2791:                             ;   in Loop: Header=BB232_2076 Depth=1
	v_bfrev_b32_e32 v20, 1
	v_mov_b32_e32 v21, 0
	v_cmp_ne_u16_sdwa s8, v8, v74 src0_sel:BYTE_0 src1_sel:DWORD
	s_and_saveexec_b32 s20, s8
	s_cbranch_execz .LBB232_2797
; %bb.2792:                             ;   in Loop: Header=BB232_2076 Depth=1
	v_mov_b32_e32 v20, 0x7f800001
	v_and_b32_e32 v12, 0x7f, v8
	v_mov_b32_e32 v21, 0
	s_mov_b32 s21, exec_lo
	v_cmpx_ne_u32_e32 0x7f, v12
	s_cbranch_execz .LBB232_2796
; %bb.2793:                             ;   in Loop: Header=BB232_2076 Depth=1
	v_and_b32_e32 v10, 7, v8
	v_lshrrev_b32_e32 v9, 3, v12
	s_mov_b32 s22, exec_lo
	v_cmpx_gt_u32_e32 8, v12
; %bb.2794:                             ;   in Loop: Header=BB232_2076 Depth=1
	v_ffbh_u32_e32 v9, v10
	v_min_u32_e32 v9, 32, v9
	v_subrev_nc_u32_e32 v12, 28, v9
	v_sub_nc_u32_e32 v9, 29, v9
	v_lshlrev_b64 v[20:21], v12, v[10:11]
	v_and_b32_e32 v10, 7, v20
; %bb.2795:                             ;   in Loop: Header=BB232_2076 Depth=1
	s_or_b32 exec_lo, exec_lo, s22
	v_lshlrev_b32_e32 v12, 24, v8
	v_lshlrev_b32_e32 v10, 20, v10
	v_lshl_add_u32 v9, v9, 23, 0x3c000000
	v_and_b32_e32 v12, 0x80000000, v12
	v_or3_b32 v10, v10, v12, v9
	v_mov_b32_e32 v21, v11
	v_mov_b32_e32 v20, v10
.LBB232_2796:                           ;   in Loop: Header=BB232_2076 Depth=1
	s_or_b32 exec_lo, exec_lo, s21
.LBB232_2797:                           ;   in Loop: Header=BB232_2076 Depth=1
	s_or_b32 exec_lo, exec_lo, s20
.LBB232_2798:                           ;   in Loop: Header=BB232_2076 Depth=1
	s_or_b32 exec_lo, exec_lo, s19
	v_cmp_ne_u16_sdwa s8, v8, v11 src0_sel:BYTE_1 src1_sel:DWORD
	s_and_saveexec_b32 s19, s8
	s_cbranch_execz .LBB232_2806
; %bb.2799:                             ;   in Loop: Header=BB232_2076 Depth=1
	v_mov_b32_e32 v12, v11
	v_mov_b32_e32 v23, v13
	v_cmp_ne_u16_sdwa s8, v8, v74 src0_sel:BYTE_1 src1_sel:DWORD
	v_mov_b32_e32 v22, v12
	s_and_saveexec_b32 s20, s8
	s_cbranch_execz .LBB232_2805
; %bb.2800:                             ;   in Loop: Header=BB232_2076 Depth=1
	v_and_b32_sdwa v9, v75, v8 dst_sel:DWORD dst_unused:UNUSED_PAD src0_sel:DWORD src1_sel:BYTE_1
	v_mov_b32_e32 v14, v11
	v_mov_b32_e32 v23, v15
	s_mov_b32 s21, exec_lo
	v_and_b32_e32 v12, 0x7f, v9
	v_mov_b32_e32 v22, v14
	v_cmpx_ne_u32_e32 0x7f, v12
	s_cbranch_execz .LBB232_2804
; %bb.2801:                             ;   in Loop: Header=BB232_2076 Depth=1
	v_and_b32_e32 v10, 7, v9
	v_lshrrev_b32_e32 v9, 3, v12
	s_mov_b32 s22, exec_lo
	v_cmpx_gt_u32_e32 8, v12
; %bb.2802:                             ;   in Loop: Header=BB232_2076 Depth=1
	v_ffbh_u32_e32 v9, v10
	v_min_u32_e32 v9, 32, v9
	v_subrev_nc_u32_e32 v12, 28, v9
	v_sub_nc_u32_e32 v9, 29, v9
	v_lshlrev_b64 v[22:23], v12, v[10:11]
	v_and_b32_e32 v10, 7, v22
; %bb.2803:                             ;   in Loop: Header=BB232_2076 Depth=1
	s_or_b32 exec_lo, exec_lo, s22
	v_lshlrev_b32_e32 v12, 16, v8
	v_lshlrev_b32_e32 v10, 20, v10
	v_lshl_add_u32 v9, v9, 23, 0x3c000000
	v_mov_b32_e32 v22, v11
	v_and_b32_e32 v12, 0x80000000, v12
	v_or3_b32 v23, v10, v12, v9
.LBB232_2804:                           ;   in Loop: Header=BB232_2076 Depth=1
	s_or_b32 exec_lo, exec_lo, s21
.LBB232_2805:                           ;   in Loop: Header=BB232_2076 Depth=1
	s_or_b32 exec_lo, exec_lo, s20
.LBB232_2806:                           ;   in Loop: Header=BB232_2076 Depth=1
	s_or_b32 exec_lo, exec_lo, s19
	v_mov_b32_e32 v24, 0
	v_mov_b32_e32 v26, 0
	v_and_b32_sdwa v9, v8, v76 dst_sel:DWORD dst_unused:UNUSED_PAD src0_sel:WORD_1 src1_sel:DWORD
	v_mov_b32_e32 v25, 0
	v_mov_b32_e32 v27, 0
	s_mov_b32 s19, exec_lo
	v_cmpx_ne_u16_e32 0, v9
	s_cbranch_execz .LBB232_2814
; %bb.2807:                             ;   in Loop: Header=BB232_2076 Depth=1
	v_bfrev_b32_e32 v26, 1
	v_mov_b32_e32 v27, 0
	s_mov_b32 s20, exec_lo
	v_cmpx_ne_u16_e32 0x80, v9
	s_cbranch_execz .LBB232_2813
; %bb.2808:                             ;   in Loop: Header=BB232_2076 Depth=1
	v_mov_b32_e32 v26, 0x7f800001
	v_bfe_u32 v12, v8, 16, 7
	v_mov_b32_e32 v27, 0
	s_mov_b32 s21, exec_lo
	v_cmpx_ne_u32_e32 0x7f, v12
	s_cbranch_execz .LBB232_2812
; %bb.2809:                             ;   in Loop: Header=BB232_2076 Depth=1
	v_and_b32_sdwa v10, v8, v77 dst_sel:DWORD dst_unused:UNUSED_PAD src0_sel:WORD_1 src1_sel:DWORD
	v_lshrrev_b32_e32 v9, 3, v12
	s_mov_b32 s22, exec_lo
	v_cmpx_gt_u32_e32 8, v12
; %bb.2810:                             ;   in Loop: Header=BB232_2076 Depth=1
	v_ffbh_u32_e32 v9, v10
	v_min_u32_e32 v9, 32, v9
	v_subrev_nc_u32_e32 v12, 28, v9
	v_sub_nc_u32_e32 v9, 29, v9
	v_lshlrev_b64 v[26:27], v12, v[10:11]
	v_and_b32_e32 v10, 7, v26
; %bb.2811:                             ;   in Loop: Header=BB232_2076 Depth=1
	s_or_b32 exec_lo, exec_lo, s22
	v_lshlrev_b32_sdwa v12, v78, v8 dst_sel:DWORD dst_unused:UNUSED_PAD src0_sel:DWORD src1_sel:WORD_1
	v_lshlrev_b32_e32 v10, 20, v10
	v_lshl_add_u32 v9, v9, 23, 0x3c000000
	v_and_b32_e32 v12, 0x80000000, v12
	v_or3_b32 v10, v10, v12, v9
	v_mov_b32_e32 v27, v11
	v_mov_b32_e32 v26, v10
.LBB232_2812:                           ;   in Loop: Header=BB232_2076 Depth=1
	s_or_b32 exec_lo, exec_lo, s21
.LBB232_2813:                           ;   in Loop: Header=BB232_2076 Depth=1
	s_or_b32 exec_lo, exec_lo, s20
.LBB232_2814:                           ;   in Loop: Header=BB232_2076 Depth=1
	s_or_b32 exec_lo, exec_lo, s19
	s_mov_b32 s19, exec_lo
	v_cmpx_lt_u32_e32 0xffffff, v8
	s_cbranch_execz .LBB232_2822
; %bb.2815:                             ;   in Loop: Header=BB232_2076 Depth=1
	v_mov_b32_e32 v12, v11
	v_mov_b32_e32 v25, v13
	v_cmp_ne_u32_sdwa s8, v8, v74 src0_sel:BYTE_3 src1_sel:DWORD
	v_mov_b32_e32 v24, v12
	s_and_saveexec_b32 s20, s8
	s_cbranch_execz .LBB232_2821
; %bb.2816:                             ;   in Loop: Header=BB232_2076 Depth=1
	v_mov_b32_e32 v14, v11
	v_mov_b32_e32 v25, v15
	v_bfe_u32 v12, v8, 24, 7
	s_mov_b32 s21, exec_lo
	v_mov_b32_e32 v24, v14
	v_cmpx_ne_u32_e32 0x7f, v12
	s_cbranch_execz .LBB232_2820
; %bb.2817:                             ;   in Loop: Header=BB232_2076 Depth=1
	v_and_b32_sdwa v10, v8, v77 dst_sel:DWORD dst_unused:UNUSED_PAD src0_sel:BYTE_3 src1_sel:DWORD
	v_lshrrev_b32_e32 v9, 3, v12
	s_mov_b32 s22, exec_lo
	v_cmpx_gt_u32_e32 8, v12
; %bb.2818:                             ;   in Loop: Header=BB232_2076 Depth=1
	v_ffbh_u32_e32 v9, v10
	v_min_u32_e32 v9, 32, v9
	v_subrev_nc_u32_e32 v12, 28, v9
	v_sub_nc_u32_e32 v9, 29, v9
	v_lshlrev_b64 v[24:25], v12, v[10:11]
	v_and_b32_e32 v10, 7, v24
; %bb.2819:                             ;   in Loop: Header=BB232_2076 Depth=1
	s_or_b32 exec_lo, exec_lo, s22
	v_lshlrev_b32_sdwa v8, v78, v8 dst_sel:DWORD dst_unused:UNUSED_PAD src0_sel:DWORD src1_sel:BYTE_3
	v_lshlrev_b32_e32 v10, 20, v10
	v_lshl_add_u32 v9, v9, 23, 0x3c000000
	v_mov_b32_e32 v24, v11
	v_and_b32_e32 v8, 0x80000000, v8
	v_or3_b32 v25, v10, v8, v9
.LBB232_2820:                           ;   in Loop: Header=BB232_2076 Depth=1
	s_or_b32 exec_lo, exec_lo, s21
.LBB232_2821:                           ;   in Loop: Header=BB232_2076 Depth=1
	s_or_b32 exec_lo, exec_lo, s20
.LBB232_2822:                           ;   in Loop: Header=BB232_2076 Depth=1
	s_or_b32 exec_lo, exec_lo, s19
	v_or_b32_e32 v8, v23, v21
	v_or_b32_e32 v9, v22, v20
	;; [unrolled: 1-line block ×4, first 2 shown]
	v_mul_f32_e32 v8, v92, v8
	buffer_store_dword v8, off, s[0:3], s32 offset:892 ; 4-byte Folded Spill
	v_mul_f32_e32 v8, v73, v9
	buffer_store_dword v8, off, s[0:3], s32 offset:884 ; 4-byte Folded Spill
	;; [unrolled: 2-line block ×4, first 2 shown]
	s_and_saveexec_b32 s8, s6
	s_cbranch_execz .LBB232_2824
; %bb.2823:                             ;   in Loop: Header=BB232_2076 Depth=1
	buffer_load_dword v8, off, s[0:3], s32 offset:884 ; 4-byte Folded Reload
	s_waitcnt vmcnt(0)
	v_cndmask_b32_e32 v8, 0, v8, vcc_lo
	buffer_store_dword v8, off, s[0:3], s32 offset:884 ; 4-byte Folded Spill
	buffer_load_dword v8, off, s[0:3], s32 offset:892 ; 4-byte Folded Reload
	s_waitcnt vmcnt(0)
	v_cndmask_b32_e64 v8, 0, v8, s4
	buffer_store_dword v8, off, s[0:3], s32 offset:892 ; 4-byte Folded Spill
	buffer_load_dword v8, off, s[0:3], s32 offset:876 ; 4-byte Folded Reload
	s_waitcnt vmcnt(0)
	v_cndmask_b32_e64 v8, 0, v8, s5
	;; [unrolled: 4-line block ×3, first 2 shown]
	buffer_store_dword v8, off, s[0:3], s32 offset:868 ; 4-byte Folded Spill
.LBB232_2824:                           ;   in Loop: Header=BB232_2076 Depth=1
	s_or_b32 exec_lo, exec_lo, s8
	flat_load_dword v8, v[18:19] offset:768
	v_mov_b32_e32 v22, 0
	v_mov_b32_e32 v20, 0
	;; [unrolled: 1-line block ×4, first 2 shown]
	s_waitcnt vmcnt(0) lgkmcnt(0)
	v_cmp_ne_u16_sdwa s8, v8, v11 src0_sel:BYTE_0 src1_sel:DWORD
	s_and_saveexec_b32 s19, s8
	s_cbranch_execz .LBB232_2832
; %bb.2825:                             ;   in Loop: Header=BB232_2076 Depth=1
	v_bfrev_b32_e32 v20, 1
	v_mov_b32_e32 v21, 0
	v_cmp_ne_u16_sdwa s8, v8, v74 src0_sel:BYTE_0 src1_sel:DWORD
	s_and_saveexec_b32 s20, s8
	s_cbranch_execz .LBB232_2831
; %bb.2826:                             ;   in Loop: Header=BB232_2076 Depth=1
	v_mov_b32_e32 v20, 0x7f800001
	v_and_b32_e32 v12, 0x7f, v8
	v_mov_b32_e32 v21, 0
	s_mov_b32 s21, exec_lo
	v_cmpx_ne_u32_e32 0x7f, v12
	s_cbranch_execz .LBB232_2830
; %bb.2827:                             ;   in Loop: Header=BB232_2076 Depth=1
	v_and_b32_e32 v10, 7, v8
	v_lshrrev_b32_e32 v9, 3, v12
	s_mov_b32 s22, exec_lo
	v_cmpx_gt_u32_e32 8, v12
; %bb.2828:                             ;   in Loop: Header=BB232_2076 Depth=1
	v_ffbh_u32_e32 v9, v10
	v_min_u32_e32 v9, 32, v9
	v_subrev_nc_u32_e32 v12, 28, v9
	v_sub_nc_u32_e32 v9, 29, v9
	v_lshlrev_b64 v[20:21], v12, v[10:11]
	v_and_b32_e32 v10, 7, v20
; %bb.2829:                             ;   in Loop: Header=BB232_2076 Depth=1
	s_or_b32 exec_lo, exec_lo, s22
	v_lshlrev_b32_e32 v12, 24, v8
	v_lshlrev_b32_e32 v10, 20, v10
	v_lshl_add_u32 v9, v9, 23, 0x3c000000
	v_and_b32_e32 v12, 0x80000000, v12
	v_or3_b32 v10, v10, v12, v9
	v_mov_b32_e32 v21, v11
	v_mov_b32_e32 v20, v10
.LBB232_2830:                           ;   in Loop: Header=BB232_2076 Depth=1
	s_or_b32 exec_lo, exec_lo, s21
.LBB232_2831:                           ;   in Loop: Header=BB232_2076 Depth=1
	s_or_b32 exec_lo, exec_lo, s20
.LBB232_2832:                           ;   in Loop: Header=BB232_2076 Depth=1
	s_or_b32 exec_lo, exec_lo, s19
	v_cmp_ne_u16_sdwa s8, v8, v11 src0_sel:BYTE_1 src1_sel:DWORD
	s_and_saveexec_b32 s19, s8
	s_cbranch_execz .LBB232_2840
; %bb.2833:                             ;   in Loop: Header=BB232_2076 Depth=1
	v_mov_b32_e32 v12, v11
	v_mov_b32_e32 v23, v13
	v_cmp_ne_u16_sdwa s8, v8, v74 src0_sel:BYTE_1 src1_sel:DWORD
	v_mov_b32_e32 v22, v12
	s_and_saveexec_b32 s20, s8
	s_cbranch_execz .LBB232_2839
; %bb.2834:                             ;   in Loop: Header=BB232_2076 Depth=1
	v_and_b32_sdwa v9, v75, v8 dst_sel:DWORD dst_unused:UNUSED_PAD src0_sel:DWORD src1_sel:BYTE_1
	v_mov_b32_e32 v14, v11
	v_mov_b32_e32 v23, v15
	s_mov_b32 s21, exec_lo
	v_and_b32_e32 v12, 0x7f, v9
	v_mov_b32_e32 v22, v14
	v_cmpx_ne_u32_e32 0x7f, v12
	s_cbranch_execz .LBB232_2838
; %bb.2835:                             ;   in Loop: Header=BB232_2076 Depth=1
	v_and_b32_e32 v10, 7, v9
	v_lshrrev_b32_e32 v9, 3, v12
	s_mov_b32 s22, exec_lo
	v_cmpx_gt_u32_e32 8, v12
; %bb.2836:                             ;   in Loop: Header=BB232_2076 Depth=1
	v_ffbh_u32_e32 v9, v10
	v_min_u32_e32 v9, 32, v9
	v_subrev_nc_u32_e32 v12, 28, v9
	v_sub_nc_u32_e32 v9, 29, v9
	v_lshlrev_b64 v[22:23], v12, v[10:11]
	v_and_b32_e32 v10, 7, v22
; %bb.2837:                             ;   in Loop: Header=BB232_2076 Depth=1
	s_or_b32 exec_lo, exec_lo, s22
	v_lshlrev_b32_e32 v12, 16, v8
	v_lshlrev_b32_e32 v10, 20, v10
	v_lshl_add_u32 v9, v9, 23, 0x3c000000
	v_mov_b32_e32 v22, v11
	v_and_b32_e32 v12, 0x80000000, v12
	v_or3_b32 v23, v10, v12, v9
.LBB232_2838:                           ;   in Loop: Header=BB232_2076 Depth=1
	s_or_b32 exec_lo, exec_lo, s21
.LBB232_2839:                           ;   in Loop: Header=BB232_2076 Depth=1
	s_or_b32 exec_lo, exec_lo, s20
.LBB232_2840:                           ;   in Loop: Header=BB232_2076 Depth=1
	s_or_b32 exec_lo, exec_lo, s19
	v_mov_b32_e32 v24, 0
	v_mov_b32_e32 v26, 0
	v_and_b32_sdwa v9, v8, v76 dst_sel:DWORD dst_unused:UNUSED_PAD src0_sel:WORD_1 src1_sel:DWORD
	v_mov_b32_e32 v25, 0
	v_mov_b32_e32 v27, 0
	s_mov_b32 s19, exec_lo
	v_cmpx_ne_u16_e32 0, v9
	s_cbranch_execz .LBB232_2848
; %bb.2841:                             ;   in Loop: Header=BB232_2076 Depth=1
	v_bfrev_b32_e32 v26, 1
	v_mov_b32_e32 v27, 0
	s_mov_b32 s20, exec_lo
	v_cmpx_ne_u16_e32 0x80, v9
	s_cbranch_execz .LBB232_2847
; %bb.2842:                             ;   in Loop: Header=BB232_2076 Depth=1
	v_mov_b32_e32 v26, 0x7f800001
	v_bfe_u32 v12, v8, 16, 7
	v_mov_b32_e32 v27, 0
	s_mov_b32 s21, exec_lo
	v_cmpx_ne_u32_e32 0x7f, v12
	s_cbranch_execz .LBB232_2846
; %bb.2843:                             ;   in Loop: Header=BB232_2076 Depth=1
	v_and_b32_sdwa v10, v8, v77 dst_sel:DWORD dst_unused:UNUSED_PAD src0_sel:WORD_1 src1_sel:DWORD
	v_lshrrev_b32_e32 v9, 3, v12
	s_mov_b32 s22, exec_lo
	v_cmpx_gt_u32_e32 8, v12
; %bb.2844:                             ;   in Loop: Header=BB232_2076 Depth=1
	v_ffbh_u32_e32 v9, v10
	v_min_u32_e32 v9, 32, v9
	v_subrev_nc_u32_e32 v12, 28, v9
	v_sub_nc_u32_e32 v9, 29, v9
	v_lshlrev_b64 v[26:27], v12, v[10:11]
	v_and_b32_e32 v10, 7, v26
; %bb.2845:                             ;   in Loop: Header=BB232_2076 Depth=1
	s_or_b32 exec_lo, exec_lo, s22
	v_lshlrev_b32_sdwa v12, v78, v8 dst_sel:DWORD dst_unused:UNUSED_PAD src0_sel:DWORD src1_sel:WORD_1
	v_lshlrev_b32_e32 v10, 20, v10
	v_lshl_add_u32 v9, v9, 23, 0x3c000000
	v_and_b32_e32 v12, 0x80000000, v12
	v_or3_b32 v10, v10, v12, v9
	v_mov_b32_e32 v27, v11
	v_mov_b32_e32 v26, v10
.LBB232_2846:                           ;   in Loop: Header=BB232_2076 Depth=1
	s_or_b32 exec_lo, exec_lo, s21
.LBB232_2847:                           ;   in Loop: Header=BB232_2076 Depth=1
	s_or_b32 exec_lo, exec_lo, s20
.LBB232_2848:                           ;   in Loop: Header=BB232_2076 Depth=1
	s_or_b32 exec_lo, exec_lo, s19
	s_mov_b32 s19, exec_lo
	v_cmpx_lt_u32_e32 0xffffff, v8
	s_cbranch_execz .LBB232_2856
; %bb.2849:                             ;   in Loop: Header=BB232_2076 Depth=1
	v_mov_b32_e32 v12, v11
	v_mov_b32_e32 v25, v13
	v_cmp_ne_u32_sdwa s8, v8, v74 src0_sel:BYTE_3 src1_sel:DWORD
	v_mov_b32_e32 v24, v12
	s_and_saveexec_b32 s20, s8
	s_cbranch_execz .LBB232_2855
; %bb.2850:                             ;   in Loop: Header=BB232_2076 Depth=1
	v_mov_b32_e32 v14, v11
	v_mov_b32_e32 v25, v15
	v_bfe_u32 v12, v8, 24, 7
	s_mov_b32 s21, exec_lo
	v_mov_b32_e32 v24, v14
	v_cmpx_ne_u32_e32 0x7f, v12
	s_cbranch_execz .LBB232_2854
; %bb.2851:                             ;   in Loop: Header=BB232_2076 Depth=1
	v_and_b32_sdwa v10, v8, v77 dst_sel:DWORD dst_unused:UNUSED_PAD src0_sel:BYTE_3 src1_sel:DWORD
	v_lshrrev_b32_e32 v9, 3, v12
	s_mov_b32 s22, exec_lo
	v_cmpx_gt_u32_e32 8, v12
; %bb.2852:                             ;   in Loop: Header=BB232_2076 Depth=1
	v_ffbh_u32_e32 v9, v10
	v_min_u32_e32 v9, 32, v9
	v_subrev_nc_u32_e32 v12, 28, v9
	v_sub_nc_u32_e32 v9, 29, v9
	v_lshlrev_b64 v[24:25], v12, v[10:11]
	v_and_b32_e32 v10, 7, v24
; %bb.2853:                             ;   in Loop: Header=BB232_2076 Depth=1
	s_or_b32 exec_lo, exec_lo, s22
	v_lshlrev_b32_sdwa v8, v78, v8 dst_sel:DWORD dst_unused:UNUSED_PAD src0_sel:DWORD src1_sel:BYTE_3
	v_lshlrev_b32_e32 v10, 20, v10
	v_lshl_add_u32 v9, v9, 23, 0x3c000000
	v_mov_b32_e32 v24, v11
	v_and_b32_e32 v8, 0x80000000, v8
	v_or3_b32 v25, v10, v8, v9
.LBB232_2854:                           ;   in Loop: Header=BB232_2076 Depth=1
	s_or_b32 exec_lo, exec_lo, s21
.LBB232_2855:                           ;   in Loop: Header=BB232_2076 Depth=1
	s_or_b32 exec_lo, exec_lo, s20
.LBB232_2856:                           ;   in Loop: Header=BB232_2076 Depth=1
	s_or_b32 exec_lo, exec_lo, s19
	v_or_b32_e32 v8, v23, v21
	v_or_b32_e32 v9, v22, v20
	;; [unrolled: 1-line block ×4, first 2 shown]
	v_mul_f32_e32 v8, v92, v8
	buffer_store_dword v8, off, s[0:3], s32 offset:924 ; 4-byte Folded Spill
	v_mul_f32_e32 v8, v73, v9
	buffer_store_dword v8, off, s[0:3], s32 offset:916 ; 4-byte Folded Spill
	v_mul_f32_e32 v8, v73, v10
	buffer_store_dword v8, off, s[0:3], s32 offset:908 ; 4-byte Folded Spill
	v_mul_f32_e32 v8, v92, v12
	buffer_store_dword v8, off, s[0:3], s32 offset:900 ; 4-byte Folded Spill
	s_and_saveexec_b32 s8, s6
	s_cbranch_execz .LBB232_2858
; %bb.2857:                             ;   in Loop: Header=BB232_2076 Depth=1
	buffer_load_dword v8, off, s[0:3], s32 offset:916 ; 4-byte Folded Reload
	s_waitcnt vmcnt(0)
	v_cndmask_b32_e32 v8, 0, v8, vcc_lo
	buffer_store_dword v8, off, s[0:3], s32 offset:916 ; 4-byte Folded Spill
	buffer_load_dword v8, off, s[0:3], s32 offset:924 ; 4-byte Folded Reload
	s_waitcnt vmcnt(0)
	v_cndmask_b32_e64 v8, 0, v8, s4
	buffer_store_dword v8, off, s[0:3], s32 offset:924 ; 4-byte Folded Spill
	buffer_load_dword v8, off, s[0:3], s32 offset:908 ; 4-byte Folded Reload
	s_waitcnt vmcnt(0)
	v_cndmask_b32_e64 v8, 0, v8, s5
	;; [unrolled: 4-line block ×3, first 2 shown]
	buffer_store_dword v8, off, s[0:3], s32 offset:900 ; 4-byte Folded Spill
.LBB232_2858:                           ;   in Loop: Header=BB232_2076 Depth=1
	s_or_b32 exec_lo, exec_lo, s8
	flat_load_dword v8, v[18:19] offset:896
	v_mov_b32_e32 v22, 0
	v_mov_b32_e32 v20, 0
	v_mov_b32_e32 v23, 0
	v_mov_b32_e32 v21, 0
	s_waitcnt vmcnt(0) lgkmcnt(0)
	v_cmp_ne_u16_sdwa s8, v8, v11 src0_sel:BYTE_0 src1_sel:DWORD
	s_and_saveexec_b32 s19, s8
	s_cbranch_execz .LBB232_2866
; %bb.2859:                             ;   in Loop: Header=BB232_2076 Depth=1
	v_bfrev_b32_e32 v20, 1
	v_mov_b32_e32 v21, 0
	v_cmp_ne_u16_sdwa s8, v8, v74 src0_sel:BYTE_0 src1_sel:DWORD
	s_and_saveexec_b32 s20, s8
	s_cbranch_execz .LBB232_2865
; %bb.2860:                             ;   in Loop: Header=BB232_2076 Depth=1
	v_mov_b32_e32 v20, 0x7f800001
	v_and_b32_e32 v12, 0x7f, v8
	v_mov_b32_e32 v21, 0
	s_mov_b32 s21, exec_lo
	v_cmpx_ne_u32_e32 0x7f, v12
	s_cbranch_execz .LBB232_2864
; %bb.2861:                             ;   in Loop: Header=BB232_2076 Depth=1
	v_and_b32_e32 v10, 7, v8
	v_lshrrev_b32_e32 v9, 3, v12
	s_mov_b32 s22, exec_lo
	v_cmpx_gt_u32_e32 8, v12
; %bb.2862:                             ;   in Loop: Header=BB232_2076 Depth=1
	v_ffbh_u32_e32 v9, v10
	v_min_u32_e32 v9, 32, v9
	v_subrev_nc_u32_e32 v12, 28, v9
	v_sub_nc_u32_e32 v9, 29, v9
	v_lshlrev_b64 v[20:21], v12, v[10:11]
	v_and_b32_e32 v10, 7, v20
; %bb.2863:                             ;   in Loop: Header=BB232_2076 Depth=1
	s_or_b32 exec_lo, exec_lo, s22
	v_lshlrev_b32_e32 v12, 24, v8
	v_lshlrev_b32_e32 v10, 20, v10
	v_lshl_add_u32 v9, v9, 23, 0x3c000000
	v_and_b32_e32 v12, 0x80000000, v12
	v_or3_b32 v10, v10, v12, v9
	v_mov_b32_e32 v21, v11
	v_mov_b32_e32 v20, v10
.LBB232_2864:                           ;   in Loop: Header=BB232_2076 Depth=1
	s_or_b32 exec_lo, exec_lo, s21
.LBB232_2865:                           ;   in Loop: Header=BB232_2076 Depth=1
	s_or_b32 exec_lo, exec_lo, s20
.LBB232_2866:                           ;   in Loop: Header=BB232_2076 Depth=1
	s_or_b32 exec_lo, exec_lo, s19
	v_cmp_ne_u16_sdwa s8, v8, v11 src0_sel:BYTE_1 src1_sel:DWORD
	s_and_saveexec_b32 s19, s8
	s_cbranch_execz .LBB232_2874
; %bb.2867:                             ;   in Loop: Header=BB232_2076 Depth=1
	v_mov_b32_e32 v12, v11
	v_mov_b32_e32 v23, v13
	v_cmp_ne_u16_sdwa s8, v8, v74 src0_sel:BYTE_1 src1_sel:DWORD
	v_mov_b32_e32 v22, v12
	s_and_saveexec_b32 s20, s8
	s_cbranch_execz .LBB232_2873
; %bb.2868:                             ;   in Loop: Header=BB232_2076 Depth=1
	v_and_b32_sdwa v9, v75, v8 dst_sel:DWORD dst_unused:UNUSED_PAD src0_sel:DWORD src1_sel:BYTE_1
	v_mov_b32_e32 v14, v11
	v_mov_b32_e32 v23, v15
	s_mov_b32 s21, exec_lo
	v_and_b32_e32 v12, 0x7f, v9
	v_mov_b32_e32 v22, v14
	v_cmpx_ne_u32_e32 0x7f, v12
	s_cbranch_execz .LBB232_2872
; %bb.2869:                             ;   in Loop: Header=BB232_2076 Depth=1
	v_and_b32_e32 v10, 7, v9
	v_lshrrev_b32_e32 v9, 3, v12
	s_mov_b32 s22, exec_lo
	v_cmpx_gt_u32_e32 8, v12
; %bb.2870:                             ;   in Loop: Header=BB232_2076 Depth=1
	v_ffbh_u32_e32 v9, v10
	v_min_u32_e32 v9, 32, v9
	v_subrev_nc_u32_e32 v12, 28, v9
	v_sub_nc_u32_e32 v9, 29, v9
	v_lshlrev_b64 v[22:23], v12, v[10:11]
	v_and_b32_e32 v10, 7, v22
; %bb.2871:                             ;   in Loop: Header=BB232_2076 Depth=1
	s_or_b32 exec_lo, exec_lo, s22
	v_lshlrev_b32_e32 v12, 16, v8
	v_lshlrev_b32_e32 v10, 20, v10
	v_lshl_add_u32 v9, v9, 23, 0x3c000000
	v_mov_b32_e32 v22, v11
	v_and_b32_e32 v12, 0x80000000, v12
	v_or3_b32 v23, v10, v12, v9
.LBB232_2872:                           ;   in Loop: Header=BB232_2076 Depth=1
	s_or_b32 exec_lo, exec_lo, s21
.LBB232_2873:                           ;   in Loop: Header=BB232_2076 Depth=1
	s_or_b32 exec_lo, exec_lo, s20
.LBB232_2874:                           ;   in Loop: Header=BB232_2076 Depth=1
	s_or_b32 exec_lo, exec_lo, s19
	v_mov_b32_e32 v24, 0
	v_mov_b32_e32 v26, 0
	v_and_b32_sdwa v9, v8, v76 dst_sel:DWORD dst_unused:UNUSED_PAD src0_sel:WORD_1 src1_sel:DWORD
	v_mov_b32_e32 v25, 0
	v_mov_b32_e32 v27, 0
	s_mov_b32 s19, exec_lo
	v_cmpx_ne_u16_e32 0, v9
	s_cbranch_execz .LBB232_2882
; %bb.2875:                             ;   in Loop: Header=BB232_2076 Depth=1
	v_bfrev_b32_e32 v26, 1
	v_mov_b32_e32 v27, 0
	s_mov_b32 s20, exec_lo
	v_cmpx_ne_u16_e32 0x80, v9
	s_cbranch_execz .LBB232_2881
; %bb.2876:                             ;   in Loop: Header=BB232_2076 Depth=1
	v_mov_b32_e32 v26, 0x7f800001
	v_bfe_u32 v12, v8, 16, 7
	v_mov_b32_e32 v27, 0
	s_mov_b32 s21, exec_lo
	v_cmpx_ne_u32_e32 0x7f, v12
	s_cbranch_execz .LBB232_2880
; %bb.2877:                             ;   in Loop: Header=BB232_2076 Depth=1
	v_and_b32_sdwa v10, v8, v77 dst_sel:DWORD dst_unused:UNUSED_PAD src0_sel:WORD_1 src1_sel:DWORD
	v_lshrrev_b32_e32 v9, 3, v12
	s_mov_b32 s22, exec_lo
	v_cmpx_gt_u32_e32 8, v12
; %bb.2878:                             ;   in Loop: Header=BB232_2076 Depth=1
	v_ffbh_u32_e32 v9, v10
	v_min_u32_e32 v9, 32, v9
	v_subrev_nc_u32_e32 v12, 28, v9
	v_sub_nc_u32_e32 v9, 29, v9
	v_lshlrev_b64 v[26:27], v12, v[10:11]
	v_and_b32_e32 v10, 7, v26
; %bb.2879:                             ;   in Loop: Header=BB232_2076 Depth=1
	s_or_b32 exec_lo, exec_lo, s22
	v_lshlrev_b32_sdwa v12, v78, v8 dst_sel:DWORD dst_unused:UNUSED_PAD src0_sel:DWORD src1_sel:WORD_1
	v_lshlrev_b32_e32 v10, 20, v10
	v_lshl_add_u32 v9, v9, 23, 0x3c000000
	v_and_b32_e32 v12, 0x80000000, v12
	v_or3_b32 v10, v10, v12, v9
	v_mov_b32_e32 v27, v11
	v_mov_b32_e32 v26, v10
.LBB232_2880:                           ;   in Loop: Header=BB232_2076 Depth=1
	s_or_b32 exec_lo, exec_lo, s21
.LBB232_2881:                           ;   in Loop: Header=BB232_2076 Depth=1
	s_or_b32 exec_lo, exec_lo, s20
.LBB232_2882:                           ;   in Loop: Header=BB232_2076 Depth=1
	s_or_b32 exec_lo, exec_lo, s19
	s_mov_b32 s19, exec_lo
	v_cmpx_lt_u32_e32 0xffffff, v8
	s_cbranch_execz .LBB232_2890
; %bb.2883:                             ;   in Loop: Header=BB232_2076 Depth=1
	v_mov_b32_e32 v12, v11
	v_mov_b32_e32 v25, v13
	v_cmp_ne_u32_sdwa s8, v8, v74 src0_sel:BYTE_3 src1_sel:DWORD
	v_mov_b32_e32 v24, v12
	s_and_saveexec_b32 s20, s8
	s_cbranch_execz .LBB232_2889
; %bb.2884:                             ;   in Loop: Header=BB232_2076 Depth=1
	v_mov_b32_e32 v14, v11
	v_mov_b32_e32 v25, v15
	v_bfe_u32 v12, v8, 24, 7
	s_mov_b32 s21, exec_lo
	v_mov_b32_e32 v24, v14
	v_cmpx_ne_u32_e32 0x7f, v12
	s_cbranch_execz .LBB232_2888
; %bb.2885:                             ;   in Loop: Header=BB232_2076 Depth=1
	v_and_b32_sdwa v10, v8, v77 dst_sel:DWORD dst_unused:UNUSED_PAD src0_sel:BYTE_3 src1_sel:DWORD
	v_lshrrev_b32_e32 v9, 3, v12
	s_mov_b32 s22, exec_lo
	v_cmpx_gt_u32_e32 8, v12
; %bb.2886:                             ;   in Loop: Header=BB232_2076 Depth=1
	v_ffbh_u32_e32 v9, v10
	v_min_u32_e32 v9, 32, v9
	v_subrev_nc_u32_e32 v12, 28, v9
	v_sub_nc_u32_e32 v9, 29, v9
	v_lshlrev_b64 v[24:25], v12, v[10:11]
	v_and_b32_e32 v10, 7, v24
; %bb.2887:                             ;   in Loop: Header=BB232_2076 Depth=1
	s_or_b32 exec_lo, exec_lo, s22
	v_lshlrev_b32_sdwa v8, v78, v8 dst_sel:DWORD dst_unused:UNUSED_PAD src0_sel:DWORD src1_sel:BYTE_3
	v_lshlrev_b32_e32 v10, 20, v10
	v_lshl_add_u32 v9, v9, 23, 0x3c000000
	v_mov_b32_e32 v24, v11
	v_and_b32_e32 v8, 0x80000000, v8
	v_or3_b32 v25, v10, v8, v9
.LBB232_2888:                           ;   in Loop: Header=BB232_2076 Depth=1
	s_or_b32 exec_lo, exec_lo, s21
.LBB232_2889:                           ;   in Loop: Header=BB232_2076 Depth=1
	s_or_b32 exec_lo, exec_lo, s20
.LBB232_2890:                           ;   in Loop: Header=BB232_2076 Depth=1
	s_or_b32 exec_lo, exec_lo, s19
	v_or_b32_e32 v8, v23, v21
	v_or_b32_e32 v9, v22, v20
	;; [unrolled: 1-line block ×4, first 2 shown]
	v_mul_f32_e32 v8, v92, v8
	buffer_store_dword v8, off, s[0:3], s32 offset:956 ; 4-byte Folded Spill
	v_mul_f32_e32 v8, v73, v9
	buffer_store_dword v8, off, s[0:3], s32 offset:948 ; 4-byte Folded Spill
	v_mul_f32_e32 v8, v73, v10
	buffer_store_dword v8, off, s[0:3], s32 offset:940 ; 4-byte Folded Spill
	v_mul_f32_e32 v8, v92, v12
	buffer_store_dword v8, off, s[0:3], s32 offset:932 ; 4-byte Folded Spill
	s_and_saveexec_b32 s8, s6
	s_cbranch_execz .LBB232_2892
; %bb.2891:                             ;   in Loop: Header=BB232_2076 Depth=1
	buffer_load_dword v8, off, s[0:3], s32 offset:948 ; 4-byte Folded Reload
	s_waitcnt vmcnt(0)
	v_cndmask_b32_e32 v8, 0, v8, vcc_lo
	buffer_store_dword v8, off, s[0:3], s32 offset:948 ; 4-byte Folded Spill
	buffer_load_dword v8, off, s[0:3], s32 offset:956 ; 4-byte Folded Reload
	s_waitcnt vmcnt(0)
	v_cndmask_b32_e64 v8, 0, v8, s4
	buffer_store_dword v8, off, s[0:3], s32 offset:956 ; 4-byte Folded Spill
	buffer_load_dword v8, off, s[0:3], s32 offset:940 ; 4-byte Folded Reload
	s_waitcnt vmcnt(0)
	v_cndmask_b32_e64 v8, 0, v8, s5
	;; [unrolled: 4-line block ×3, first 2 shown]
	buffer_store_dword v8, off, s[0:3], s32 offset:932 ; 4-byte Folded Spill
.LBB232_2892:                           ;   in Loop: Header=BB232_2076 Depth=1
	s_or_b32 exec_lo, exec_lo, s8
	flat_load_dword v8, v[18:19] offset:1024
	v_mov_b32_e32 v22, 0
	v_mov_b32_e32 v20, 0
	;; [unrolled: 1-line block ×4, first 2 shown]
	s_waitcnt vmcnt(0) lgkmcnt(0)
	v_cmp_ne_u16_sdwa s8, v8, v11 src0_sel:BYTE_0 src1_sel:DWORD
	s_and_saveexec_b32 s19, s8
	s_cbranch_execz .LBB232_2900
; %bb.2893:                             ;   in Loop: Header=BB232_2076 Depth=1
	v_bfrev_b32_e32 v20, 1
	v_mov_b32_e32 v21, 0
	v_cmp_ne_u16_sdwa s8, v8, v74 src0_sel:BYTE_0 src1_sel:DWORD
	s_and_saveexec_b32 s20, s8
	s_cbranch_execz .LBB232_2899
; %bb.2894:                             ;   in Loop: Header=BB232_2076 Depth=1
	v_mov_b32_e32 v20, 0x7f800001
	v_and_b32_e32 v12, 0x7f, v8
	v_mov_b32_e32 v21, 0
	s_mov_b32 s21, exec_lo
	v_cmpx_ne_u32_e32 0x7f, v12
	s_cbranch_execz .LBB232_2898
; %bb.2895:                             ;   in Loop: Header=BB232_2076 Depth=1
	v_and_b32_e32 v10, 7, v8
	v_lshrrev_b32_e32 v9, 3, v12
	s_mov_b32 s22, exec_lo
	v_cmpx_gt_u32_e32 8, v12
; %bb.2896:                             ;   in Loop: Header=BB232_2076 Depth=1
	v_ffbh_u32_e32 v9, v10
	v_min_u32_e32 v9, 32, v9
	v_subrev_nc_u32_e32 v12, 28, v9
	v_sub_nc_u32_e32 v9, 29, v9
	v_lshlrev_b64 v[20:21], v12, v[10:11]
	v_and_b32_e32 v10, 7, v20
; %bb.2897:                             ;   in Loop: Header=BB232_2076 Depth=1
	s_or_b32 exec_lo, exec_lo, s22
	v_lshlrev_b32_e32 v12, 24, v8
	v_lshlrev_b32_e32 v10, 20, v10
	v_lshl_add_u32 v9, v9, 23, 0x3c000000
	v_and_b32_e32 v12, 0x80000000, v12
	v_or3_b32 v10, v10, v12, v9
	v_mov_b32_e32 v21, v11
	v_mov_b32_e32 v20, v10
.LBB232_2898:                           ;   in Loop: Header=BB232_2076 Depth=1
	s_or_b32 exec_lo, exec_lo, s21
.LBB232_2899:                           ;   in Loop: Header=BB232_2076 Depth=1
	s_or_b32 exec_lo, exec_lo, s20
.LBB232_2900:                           ;   in Loop: Header=BB232_2076 Depth=1
	s_or_b32 exec_lo, exec_lo, s19
	v_cmp_ne_u16_sdwa s8, v8, v11 src0_sel:BYTE_1 src1_sel:DWORD
	s_and_saveexec_b32 s19, s8
	s_cbranch_execz .LBB232_2908
; %bb.2901:                             ;   in Loop: Header=BB232_2076 Depth=1
	v_mov_b32_e32 v12, v11
	v_mov_b32_e32 v23, v13
	v_cmp_ne_u16_sdwa s8, v8, v74 src0_sel:BYTE_1 src1_sel:DWORD
	v_mov_b32_e32 v22, v12
	s_and_saveexec_b32 s20, s8
	s_cbranch_execz .LBB232_2907
; %bb.2902:                             ;   in Loop: Header=BB232_2076 Depth=1
	v_and_b32_sdwa v9, v75, v8 dst_sel:DWORD dst_unused:UNUSED_PAD src0_sel:DWORD src1_sel:BYTE_1
	v_mov_b32_e32 v14, v11
	v_mov_b32_e32 v23, v15
	s_mov_b32 s21, exec_lo
	v_and_b32_e32 v12, 0x7f, v9
	v_mov_b32_e32 v22, v14
	v_cmpx_ne_u32_e32 0x7f, v12
	s_cbranch_execz .LBB232_2906
; %bb.2903:                             ;   in Loop: Header=BB232_2076 Depth=1
	v_and_b32_e32 v10, 7, v9
	v_lshrrev_b32_e32 v9, 3, v12
	s_mov_b32 s22, exec_lo
	v_cmpx_gt_u32_e32 8, v12
; %bb.2904:                             ;   in Loop: Header=BB232_2076 Depth=1
	v_ffbh_u32_e32 v9, v10
	v_min_u32_e32 v9, 32, v9
	v_subrev_nc_u32_e32 v12, 28, v9
	v_sub_nc_u32_e32 v9, 29, v9
	v_lshlrev_b64 v[22:23], v12, v[10:11]
	v_and_b32_e32 v10, 7, v22
; %bb.2905:                             ;   in Loop: Header=BB232_2076 Depth=1
	s_or_b32 exec_lo, exec_lo, s22
	v_lshlrev_b32_e32 v12, 16, v8
	v_lshlrev_b32_e32 v10, 20, v10
	v_lshl_add_u32 v9, v9, 23, 0x3c000000
	v_mov_b32_e32 v22, v11
	v_and_b32_e32 v12, 0x80000000, v12
	v_or3_b32 v23, v10, v12, v9
.LBB232_2906:                           ;   in Loop: Header=BB232_2076 Depth=1
	s_or_b32 exec_lo, exec_lo, s21
.LBB232_2907:                           ;   in Loop: Header=BB232_2076 Depth=1
	s_or_b32 exec_lo, exec_lo, s20
.LBB232_2908:                           ;   in Loop: Header=BB232_2076 Depth=1
	s_or_b32 exec_lo, exec_lo, s19
	v_mov_b32_e32 v24, 0
	v_mov_b32_e32 v26, 0
	v_and_b32_sdwa v9, v8, v76 dst_sel:DWORD dst_unused:UNUSED_PAD src0_sel:WORD_1 src1_sel:DWORD
	v_mov_b32_e32 v25, 0
	v_mov_b32_e32 v27, 0
	s_mov_b32 s19, exec_lo
	v_cmpx_ne_u16_e32 0, v9
	s_cbranch_execz .LBB232_2916
; %bb.2909:                             ;   in Loop: Header=BB232_2076 Depth=1
	v_bfrev_b32_e32 v26, 1
	v_mov_b32_e32 v27, 0
	s_mov_b32 s20, exec_lo
	v_cmpx_ne_u16_e32 0x80, v9
	s_cbranch_execz .LBB232_2915
; %bb.2910:                             ;   in Loop: Header=BB232_2076 Depth=1
	v_mov_b32_e32 v26, 0x7f800001
	v_bfe_u32 v12, v8, 16, 7
	v_mov_b32_e32 v27, 0
	s_mov_b32 s21, exec_lo
	v_cmpx_ne_u32_e32 0x7f, v12
	s_cbranch_execz .LBB232_2914
; %bb.2911:                             ;   in Loop: Header=BB232_2076 Depth=1
	v_and_b32_sdwa v10, v8, v77 dst_sel:DWORD dst_unused:UNUSED_PAD src0_sel:WORD_1 src1_sel:DWORD
	v_lshrrev_b32_e32 v9, 3, v12
	s_mov_b32 s22, exec_lo
	v_cmpx_gt_u32_e32 8, v12
; %bb.2912:                             ;   in Loop: Header=BB232_2076 Depth=1
	v_ffbh_u32_e32 v9, v10
	v_min_u32_e32 v9, 32, v9
	v_subrev_nc_u32_e32 v12, 28, v9
	v_sub_nc_u32_e32 v9, 29, v9
	v_lshlrev_b64 v[26:27], v12, v[10:11]
	v_and_b32_e32 v10, 7, v26
; %bb.2913:                             ;   in Loop: Header=BB232_2076 Depth=1
	s_or_b32 exec_lo, exec_lo, s22
	v_lshlrev_b32_sdwa v12, v78, v8 dst_sel:DWORD dst_unused:UNUSED_PAD src0_sel:DWORD src1_sel:WORD_1
	v_lshlrev_b32_e32 v10, 20, v10
	v_lshl_add_u32 v9, v9, 23, 0x3c000000
	v_and_b32_e32 v12, 0x80000000, v12
	v_or3_b32 v10, v10, v12, v9
	v_mov_b32_e32 v27, v11
	v_mov_b32_e32 v26, v10
.LBB232_2914:                           ;   in Loop: Header=BB232_2076 Depth=1
	s_or_b32 exec_lo, exec_lo, s21
.LBB232_2915:                           ;   in Loop: Header=BB232_2076 Depth=1
	s_or_b32 exec_lo, exec_lo, s20
.LBB232_2916:                           ;   in Loop: Header=BB232_2076 Depth=1
	s_or_b32 exec_lo, exec_lo, s19
	s_mov_b32 s19, exec_lo
	v_cmpx_lt_u32_e32 0xffffff, v8
	s_cbranch_execz .LBB232_2924
; %bb.2917:                             ;   in Loop: Header=BB232_2076 Depth=1
	v_mov_b32_e32 v12, v11
	v_mov_b32_e32 v25, v13
	v_cmp_ne_u32_sdwa s8, v8, v74 src0_sel:BYTE_3 src1_sel:DWORD
	v_mov_b32_e32 v24, v12
	s_and_saveexec_b32 s20, s8
	s_cbranch_execz .LBB232_2923
; %bb.2918:                             ;   in Loop: Header=BB232_2076 Depth=1
	v_mov_b32_e32 v14, v11
	v_mov_b32_e32 v25, v15
	v_bfe_u32 v12, v8, 24, 7
	s_mov_b32 s21, exec_lo
	v_mov_b32_e32 v24, v14
	v_cmpx_ne_u32_e32 0x7f, v12
	s_cbranch_execz .LBB232_2922
; %bb.2919:                             ;   in Loop: Header=BB232_2076 Depth=1
	v_and_b32_sdwa v10, v8, v77 dst_sel:DWORD dst_unused:UNUSED_PAD src0_sel:BYTE_3 src1_sel:DWORD
	v_lshrrev_b32_e32 v9, 3, v12
	s_mov_b32 s22, exec_lo
	v_cmpx_gt_u32_e32 8, v12
; %bb.2920:                             ;   in Loop: Header=BB232_2076 Depth=1
	v_ffbh_u32_e32 v9, v10
	v_min_u32_e32 v9, 32, v9
	v_subrev_nc_u32_e32 v12, 28, v9
	v_sub_nc_u32_e32 v9, 29, v9
	v_lshlrev_b64 v[24:25], v12, v[10:11]
	v_and_b32_e32 v10, 7, v24
; %bb.2921:                             ;   in Loop: Header=BB232_2076 Depth=1
	s_or_b32 exec_lo, exec_lo, s22
	v_lshlrev_b32_sdwa v8, v78, v8 dst_sel:DWORD dst_unused:UNUSED_PAD src0_sel:DWORD src1_sel:BYTE_3
	v_lshlrev_b32_e32 v10, 20, v10
	v_lshl_add_u32 v9, v9, 23, 0x3c000000
	v_mov_b32_e32 v24, v11
	v_and_b32_e32 v8, 0x80000000, v8
	v_or3_b32 v25, v10, v8, v9
.LBB232_2922:                           ;   in Loop: Header=BB232_2076 Depth=1
	s_or_b32 exec_lo, exec_lo, s21
.LBB232_2923:                           ;   in Loop: Header=BB232_2076 Depth=1
	s_or_b32 exec_lo, exec_lo, s20
.LBB232_2924:                           ;   in Loop: Header=BB232_2076 Depth=1
	s_or_b32 exec_lo, exec_lo, s19
	v_or_b32_e32 v8, v23, v21
	v_or_b32_e32 v9, v22, v20
	;; [unrolled: 1-line block ×4, first 2 shown]
	v_mul_f32_e32 v8, v92, v8
	buffer_store_dword v8, off, s[0:3], s32 offset:988 ; 4-byte Folded Spill
	v_mul_f32_e32 v8, v73, v9
	buffer_store_dword v8, off, s[0:3], s32 offset:980 ; 4-byte Folded Spill
	;; [unrolled: 2-line block ×4, first 2 shown]
	s_and_saveexec_b32 s8, s6
	s_cbranch_execz .LBB232_2926
; %bb.2925:                             ;   in Loop: Header=BB232_2076 Depth=1
	buffer_load_dword v8, off, s[0:3], s32 offset:980 ; 4-byte Folded Reload
	s_waitcnt vmcnt(0)
	v_cndmask_b32_e32 v8, 0, v8, vcc_lo
	buffer_store_dword v8, off, s[0:3], s32 offset:980 ; 4-byte Folded Spill
	buffer_load_dword v8, off, s[0:3], s32 offset:988 ; 4-byte Folded Reload
	s_waitcnt vmcnt(0)
	v_cndmask_b32_e64 v8, 0, v8, s4
	buffer_store_dword v8, off, s[0:3], s32 offset:988 ; 4-byte Folded Spill
	buffer_load_dword v8, off, s[0:3], s32 offset:972 ; 4-byte Folded Reload
	s_waitcnt vmcnt(0)
	v_cndmask_b32_e64 v8, 0, v8, s5
	;; [unrolled: 4-line block ×3, first 2 shown]
	buffer_store_dword v8, off, s[0:3], s32 offset:964 ; 4-byte Folded Spill
.LBB232_2926:                           ;   in Loop: Header=BB232_2076 Depth=1
	s_or_b32 exec_lo, exec_lo, s8
	flat_load_dword v8, v[18:19] offset:1152
	v_mov_b32_e32 v22, 0
	v_mov_b32_e32 v20, 0
	;; [unrolled: 1-line block ×4, first 2 shown]
	s_waitcnt vmcnt(0) lgkmcnt(0)
	v_cmp_ne_u16_sdwa s8, v8, v11 src0_sel:BYTE_0 src1_sel:DWORD
	s_and_saveexec_b32 s19, s8
	s_cbranch_execz .LBB232_2934
; %bb.2927:                             ;   in Loop: Header=BB232_2076 Depth=1
	v_bfrev_b32_e32 v20, 1
	v_mov_b32_e32 v21, 0
	v_cmp_ne_u16_sdwa s8, v8, v74 src0_sel:BYTE_0 src1_sel:DWORD
	s_and_saveexec_b32 s20, s8
	s_cbranch_execz .LBB232_2933
; %bb.2928:                             ;   in Loop: Header=BB232_2076 Depth=1
	v_mov_b32_e32 v20, 0x7f800001
	v_and_b32_e32 v12, 0x7f, v8
	v_mov_b32_e32 v21, 0
	s_mov_b32 s21, exec_lo
	v_cmpx_ne_u32_e32 0x7f, v12
	s_cbranch_execz .LBB232_2932
; %bb.2929:                             ;   in Loop: Header=BB232_2076 Depth=1
	v_and_b32_e32 v10, 7, v8
	v_lshrrev_b32_e32 v9, 3, v12
	s_mov_b32 s22, exec_lo
	v_cmpx_gt_u32_e32 8, v12
; %bb.2930:                             ;   in Loop: Header=BB232_2076 Depth=1
	v_ffbh_u32_e32 v9, v10
	v_min_u32_e32 v9, 32, v9
	v_subrev_nc_u32_e32 v12, 28, v9
	v_sub_nc_u32_e32 v9, 29, v9
	v_lshlrev_b64 v[20:21], v12, v[10:11]
	v_and_b32_e32 v10, 7, v20
; %bb.2931:                             ;   in Loop: Header=BB232_2076 Depth=1
	s_or_b32 exec_lo, exec_lo, s22
	v_lshlrev_b32_e32 v12, 24, v8
	v_lshlrev_b32_e32 v10, 20, v10
	v_lshl_add_u32 v9, v9, 23, 0x3c000000
	v_and_b32_e32 v12, 0x80000000, v12
	v_or3_b32 v10, v10, v12, v9
	v_mov_b32_e32 v21, v11
	v_mov_b32_e32 v20, v10
.LBB232_2932:                           ;   in Loop: Header=BB232_2076 Depth=1
	s_or_b32 exec_lo, exec_lo, s21
.LBB232_2933:                           ;   in Loop: Header=BB232_2076 Depth=1
	s_or_b32 exec_lo, exec_lo, s20
.LBB232_2934:                           ;   in Loop: Header=BB232_2076 Depth=1
	s_or_b32 exec_lo, exec_lo, s19
	v_cmp_ne_u16_sdwa s8, v8, v11 src0_sel:BYTE_1 src1_sel:DWORD
	s_and_saveexec_b32 s19, s8
	s_cbranch_execz .LBB232_2942
; %bb.2935:                             ;   in Loop: Header=BB232_2076 Depth=1
	v_mov_b32_e32 v12, v11
	v_mov_b32_e32 v23, v13
	v_cmp_ne_u16_sdwa s8, v8, v74 src0_sel:BYTE_1 src1_sel:DWORD
	v_mov_b32_e32 v22, v12
	s_and_saveexec_b32 s20, s8
	s_cbranch_execz .LBB232_2941
; %bb.2936:                             ;   in Loop: Header=BB232_2076 Depth=1
	v_and_b32_sdwa v9, v75, v8 dst_sel:DWORD dst_unused:UNUSED_PAD src0_sel:DWORD src1_sel:BYTE_1
	v_mov_b32_e32 v14, v11
	v_mov_b32_e32 v23, v15
	s_mov_b32 s21, exec_lo
	v_and_b32_e32 v12, 0x7f, v9
	v_mov_b32_e32 v22, v14
	v_cmpx_ne_u32_e32 0x7f, v12
	s_cbranch_execz .LBB232_2940
; %bb.2937:                             ;   in Loop: Header=BB232_2076 Depth=1
	v_and_b32_e32 v10, 7, v9
	v_lshrrev_b32_e32 v9, 3, v12
	s_mov_b32 s22, exec_lo
	v_cmpx_gt_u32_e32 8, v12
; %bb.2938:                             ;   in Loop: Header=BB232_2076 Depth=1
	v_ffbh_u32_e32 v9, v10
	v_min_u32_e32 v9, 32, v9
	v_subrev_nc_u32_e32 v12, 28, v9
	v_sub_nc_u32_e32 v9, 29, v9
	v_lshlrev_b64 v[22:23], v12, v[10:11]
	v_and_b32_e32 v10, 7, v22
; %bb.2939:                             ;   in Loop: Header=BB232_2076 Depth=1
	s_or_b32 exec_lo, exec_lo, s22
	v_lshlrev_b32_e32 v12, 16, v8
	v_lshlrev_b32_e32 v10, 20, v10
	v_lshl_add_u32 v9, v9, 23, 0x3c000000
	v_mov_b32_e32 v22, v11
	v_and_b32_e32 v12, 0x80000000, v12
	v_or3_b32 v23, v10, v12, v9
.LBB232_2940:                           ;   in Loop: Header=BB232_2076 Depth=1
	s_or_b32 exec_lo, exec_lo, s21
.LBB232_2941:                           ;   in Loop: Header=BB232_2076 Depth=1
	s_or_b32 exec_lo, exec_lo, s20
.LBB232_2942:                           ;   in Loop: Header=BB232_2076 Depth=1
	s_or_b32 exec_lo, exec_lo, s19
	v_mov_b32_e32 v24, 0
	v_mov_b32_e32 v26, 0
	v_and_b32_sdwa v9, v8, v76 dst_sel:DWORD dst_unused:UNUSED_PAD src0_sel:WORD_1 src1_sel:DWORD
	v_mov_b32_e32 v25, 0
	v_mov_b32_e32 v27, 0
	s_mov_b32 s19, exec_lo
	v_cmpx_ne_u16_e32 0, v9
	s_cbranch_execz .LBB232_2950
; %bb.2943:                             ;   in Loop: Header=BB232_2076 Depth=1
	v_bfrev_b32_e32 v26, 1
	v_mov_b32_e32 v27, 0
	s_mov_b32 s20, exec_lo
	v_cmpx_ne_u16_e32 0x80, v9
	s_cbranch_execz .LBB232_2949
; %bb.2944:                             ;   in Loop: Header=BB232_2076 Depth=1
	v_mov_b32_e32 v26, 0x7f800001
	v_bfe_u32 v12, v8, 16, 7
	v_mov_b32_e32 v27, 0
	s_mov_b32 s21, exec_lo
	v_cmpx_ne_u32_e32 0x7f, v12
	s_cbranch_execz .LBB232_2948
; %bb.2945:                             ;   in Loop: Header=BB232_2076 Depth=1
	v_and_b32_sdwa v10, v8, v77 dst_sel:DWORD dst_unused:UNUSED_PAD src0_sel:WORD_1 src1_sel:DWORD
	v_lshrrev_b32_e32 v9, 3, v12
	s_mov_b32 s22, exec_lo
	v_cmpx_gt_u32_e32 8, v12
; %bb.2946:                             ;   in Loop: Header=BB232_2076 Depth=1
	v_ffbh_u32_e32 v9, v10
	v_min_u32_e32 v9, 32, v9
	v_subrev_nc_u32_e32 v12, 28, v9
	v_sub_nc_u32_e32 v9, 29, v9
	v_lshlrev_b64 v[26:27], v12, v[10:11]
	v_and_b32_e32 v10, 7, v26
; %bb.2947:                             ;   in Loop: Header=BB232_2076 Depth=1
	s_or_b32 exec_lo, exec_lo, s22
	v_lshlrev_b32_sdwa v12, v78, v8 dst_sel:DWORD dst_unused:UNUSED_PAD src0_sel:DWORD src1_sel:WORD_1
	v_lshlrev_b32_e32 v10, 20, v10
	v_lshl_add_u32 v9, v9, 23, 0x3c000000
	v_and_b32_e32 v12, 0x80000000, v12
	v_or3_b32 v10, v10, v12, v9
	v_mov_b32_e32 v27, v11
	v_mov_b32_e32 v26, v10
.LBB232_2948:                           ;   in Loop: Header=BB232_2076 Depth=1
	s_or_b32 exec_lo, exec_lo, s21
.LBB232_2949:                           ;   in Loop: Header=BB232_2076 Depth=1
	s_or_b32 exec_lo, exec_lo, s20
.LBB232_2950:                           ;   in Loop: Header=BB232_2076 Depth=1
	s_or_b32 exec_lo, exec_lo, s19
	s_mov_b32 s19, exec_lo
	v_cmpx_lt_u32_e32 0xffffff, v8
	s_cbranch_execz .LBB232_2958
; %bb.2951:                             ;   in Loop: Header=BB232_2076 Depth=1
	v_mov_b32_e32 v12, v11
	v_mov_b32_e32 v25, v13
	v_cmp_ne_u32_sdwa s8, v8, v74 src0_sel:BYTE_3 src1_sel:DWORD
	v_mov_b32_e32 v24, v12
	s_and_saveexec_b32 s20, s8
	s_cbranch_execz .LBB232_2957
; %bb.2952:                             ;   in Loop: Header=BB232_2076 Depth=1
	v_mov_b32_e32 v14, v11
	v_mov_b32_e32 v25, v15
	v_bfe_u32 v12, v8, 24, 7
	s_mov_b32 s21, exec_lo
	v_mov_b32_e32 v24, v14
	v_cmpx_ne_u32_e32 0x7f, v12
	s_cbranch_execz .LBB232_2956
; %bb.2953:                             ;   in Loop: Header=BB232_2076 Depth=1
	v_and_b32_sdwa v10, v8, v77 dst_sel:DWORD dst_unused:UNUSED_PAD src0_sel:BYTE_3 src1_sel:DWORD
	v_lshrrev_b32_e32 v9, 3, v12
	s_mov_b32 s22, exec_lo
	v_cmpx_gt_u32_e32 8, v12
; %bb.2954:                             ;   in Loop: Header=BB232_2076 Depth=1
	v_ffbh_u32_e32 v9, v10
	v_min_u32_e32 v9, 32, v9
	v_subrev_nc_u32_e32 v12, 28, v9
	v_sub_nc_u32_e32 v9, 29, v9
	v_lshlrev_b64 v[24:25], v12, v[10:11]
	v_and_b32_e32 v10, 7, v24
; %bb.2955:                             ;   in Loop: Header=BB232_2076 Depth=1
	s_or_b32 exec_lo, exec_lo, s22
	v_lshlrev_b32_sdwa v8, v78, v8 dst_sel:DWORD dst_unused:UNUSED_PAD src0_sel:DWORD src1_sel:BYTE_3
	v_lshlrev_b32_e32 v10, 20, v10
	v_lshl_add_u32 v9, v9, 23, 0x3c000000
	v_mov_b32_e32 v24, v11
	v_and_b32_e32 v8, 0x80000000, v8
	v_or3_b32 v25, v10, v8, v9
.LBB232_2956:                           ;   in Loop: Header=BB232_2076 Depth=1
	s_or_b32 exec_lo, exec_lo, s21
.LBB232_2957:                           ;   in Loop: Header=BB232_2076 Depth=1
	s_or_b32 exec_lo, exec_lo, s20
.LBB232_2958:                           ;   in Loop: Header=BB232_2076 Depth=1
	s_or_b32 exec_lo, exec_lo, s19
	v_or_b32_e32 v8, v23, v21
	v_or_b32_e32 v9, v22, v20
	v_or_b32_e32 v10, v24, v26
	v_or_b32_e32 v12, v25, v27
	v_mul_f32_e32 v8, v92, v8
	buffer_store_dword v8, off, s[0:3], s32 offset:1020 ; 4-byte Folded Spill
	v_mul_f32_e32 v8, v73, v9
	buffer_store_dword v8, off, s[0:3], s32 offset:1012 ; 4-byte Folded Spill
	;; [unrolled: 2-line block ×4, first 2 shown]
	s_and_saveexec_b32 s8, s6
	s_cbranch_execz .LBB232_2960
; %bb.2959:                             ;   in Loop: Header=BB232_2076 Depth=1
	buffer_load_dword v8, off, s[0:3], s32 offset:1012 ; 4-byte Folded Reload
	s_waitcnt vmcnt(0)
	v_cndmask_b32_e32 v8, 0, v8, vcc_lo
	buffer_store_dword v8, off, s[0:3], s32 offset:1012 ; 4-byte Folded Spill
	buffer_load_dword v8, off, s[0:3], s32 offset:1020 ; 4-byte Folded Reload
	s_waitcnt vmcnt(0)
	v_cndmask_b32_e64 v8, 0, v8, s4
	buffer_store_dword v8, off, s[0:3], s32 offset:1020 ; 4-byte Folded Spill
	buffer_load_dword v8, off, s[0:3], s32 offset:1004 ; 4-byte Folded Reload
	s_waitcnt vmcnt(0)
	v_cndmask_b32_e64 v8, 0, v8, s5
	buffer_store_dword v8, off, s[0:3], s32 offset:1004 ; 4-byte Folded Spill
	buffer_load_dword v8, off, s[0:3], s32 offset:996 ; 4-byte Folded Reload
	s_waitcnt vmcnt(0)
	v_cndmask_b32_e64 v8, 0, v8, s7
	buffer_store_dword v8, off, s[0:3], s32 offset:996 ; 4-byte Folded Spill
.LBB232_2960:                           ;   in Loop: Header=BB232_2076 Depth=1
	s_or_b32 exec_lo, exec_lo, s8
	flat_load_dword v8, v[18:19] offset:1280
	v_mov_b32_e32 v22, 0
	v_mov_b32_e32 v20, 0
	;; [unrolled: 1-line block ×4, first 2 shown]
	s_waitcnt vmcnt(0) lgkmcnt(0)
	v_cmp_ne_u16_sdwa s8, v8, v11 src0_sel:BYTE_0 src1_sel:DWORD
	s_and_saveexec_b32 s19, s8
	s_cbranch_execz .LBB232_2968
; %bb.2961:                             ;   in Loop: Header=BB232_2076 Depth=1
	v_bfrev_b32_e32 v20, 1
	v_mov_b32_e32 v21, 0
	v_cmp_ne_u16_sdwa s8, v8, v74 src0_sel:BYTE_0 src1_sel:DWORD
	s_and_saveexec_b32 s20, s8
	s_cbranch_execz .LBB232_2967
; %bb.2962:                             ;   in Loop: Header=BB232_2076 Depth=1
	v_mov_b32_e32 v20, 0x7f800001
	v_and_b32_e32 v12, 0x7f, v8
	v_mov_b32_e32 v21, 0
	s_mov_b32 s21, exec_lo
	v_cmpx_ne_u32_e32 0x7f, v12
	s_cbranch_execz .LBB232_2966
; %bb.2963:                             ;   in Loop: Header=BB232_2076 Depth=1
	v_and_b32_e32 v10, 7, v8
	v_lshrrev_b32_e32 v9, 3, v12
	s_mov_b32 s22, exec_lo
	v_cmpx_gt_u32_e32 8, v12
; %bb.2964:                             ;   in Loop: Header=BB232_2076 Depth=1
	v_ffbh_u32_e32 v9, v10
	v_min_u32_e32 v9, 32, v9
	v_subrev_nc_u32_e32 v12, 28, v9
	v_sub_nc_u32_e32 v9, 29, v9
	v_lshlrev_b64 v[20:21], v12, v[10:11]
	v_and_b32_e32 v10, 7, v20
; %bb.2965:                             ;   in Loop: Header=BB232_2076 Depth=1
	s_or_b32 exec_lo, exec_lo, s22
	v_lshlrev_b32_e32 v12, 24, v8
	v_lshlrev_b32_e32 v10, 20, v10
	v_lshl_add_u32 v9, v9, 23, 0x3c000000
	v_and_b32_e32 v12, 0x80000000, v12
	v_or3_b32 v10, v10, v12, v9
	v_mov_b32_e32 v21, v11
	v_mov_b32_e32 v20, v10
.LBB232_2966:                           ;   in Loop: Header=BB232_2076 Depth=1
	s_or_b32 exec_lo, exec_lo, s21
.LBB232_2967:                           ;   in Loop: Header=BB232_2076 Depth=1
	s_or_b32 exec_lo, exec_lo, s20
.LBB232_2968:                           ;   in Loop: Header=BB232_2076 Depth=1
	s_or_b32 exec_lo, exec_lo, s19
	v_cmp_ne_u16_sdwa s8, v8, v11 src0_sel:BYTE_1 src1_sel:DWORD
	s_and_saveexec_b32 s19, s8
	s_cbranch_execz .LBB232_2976
; %bb.2969:                             ;   in Loop: Header=BB232_2076 Depth=1
	v_mov_b32_e32 v12, v11
	v_mov_b32_e32 v23, v13
	v_cmp_ne_u16_sdwa s8, v8, v74 src0_sel:BYTE_1 src1_sel:DWORD
	v_mov_b32_e32 v22, v12
	s_and_saveexec_b32 s20, s8
	s_cbranch_execz .LBB232_2975
; %bb.2970:                             ;   in Loop: Header=BB232_2076 Depth=1
	v_and_b32_sdwa v9, v75, v8 dst_sel:DWORD dst_unused:UNUSED_PAD src0_sel:DWORD src1_sel:BYTE_1
	v_mov_b32_e32 v14, v11
	v_mov_b32_e32 v23, v15
	s_mov_b32 s21, exec_lo
	v_and_b32_e32 v12, 0x7f, v9
	v_mov_b32_e32 v22, v14
	v_cmpx_ne_u32_e32 0x7f, v12
	s_cbranch_execz .LBB232_2974
; %bb.2971:                             ;   in Loop: Header=BB232_2076 Depth=1
	v_and_b32_e32 v10, 7, v9
	v_lshrrev_b32_e32 v9, 3, v12
	s_mov_b32 s22, exec_lo
	v_cmpx_gt_u32_e32 8, v12
; %bb.2972:                             ;   in Loop: Header=BB232_2076 Depth=1
	v_ffbh_u32_e32 v9, v10
	v_min_u32_e32 v9, 32, v9
	v_subrev_nc_u32_e32 v12, 28, v9
	v_sub_nc_u32_e32 v9, 29, v9
	v_lshlrev_b64 v[22:23], v12, v[10:11]
	v_and_b32_e32 v10, 7, v22
; %bb.2973:                             ;   in Loop: Header=BB232_2076 Depth=1
	s_or_b32 exec_lo, exec_lo, s22
	v_lshlrev_b32_e32 v12, 16, v8
	v_lshlrev_b32_e32 v10, 20, v10
	v_lshl_add_u32 v9, v9, 23, 0x3c000000
	v_mov_b32_e32 v22, v11
	v_and_b32_e32 v12, 0x80000000, v12
	v_or3_b32 v23, v10, v12, v9
.LBB232_2974:                           ;   in Loop: Header=BB232_2076 Depth=1
	s_or_b32 exec_lo, exec_lo, s21
.LBB232_2975:                           ;   in Loop: Header=BB232_2076 Depth=1
	s_or_b32 exec_lo, exec_lo, s20
.LBB232_2976:                           ;   in Loop: Header=BB232_2076 Depth=1
	s_or_b32 exec_lo, exec_lo, s19
	v_mov_b32_e32 v24, 0
	v_mov_b32_e32 v26, 0
	v_and_b32_sdwa v9, v8, v76 dst_sel:DWORD dst_unused:UNUSED_PAD src0_sel:WORD_1 src1_sel:DWORD
	v_mov_b32_e32 v25, 0
	v_mov_b32_e32 v27, 0
	s_mov_b32 s19, exec_lo
	v_cmpx_ne_u16_e32 0, v9
	s_cbranch_execz .LBB232_2984
; %bb.2977:                             ;   in Loop: Header=BB232_2076 Depth=1
	v_bfrev_b32_e32 v26, 1
	v_mov_b32_e32 v27, 0
	s_mov_b32 s20, exec_lo
	v_cmpx_ne_u16_e32 0x80, v9
	s_cbranch_execz .LBB232_2983
; %bb.2978:                             ;   in Loop: Header=BB232_2076 Depth=1
	v_mov_b32_e32 v26, 0x7f800001
	v_bfe_u32 v12, v8, 16, 7
	v_mov_b32_e32 v27, 0
	s_mov_b32 s21, exec_lo
	v_cmpx_ne_u32_e32 0x7f, v12
	s_cbranch_execz .LBB232_2982
; %bb.2979:                             ;   in Loop: Header=BB232_2076 Depth=1
	v_and_b32_sdwa v10, v8, v77 dst_sel:DWORD dst_unused:UNUSED_PAD src0_sel:WORD_1 src1_sel:DWORD
	v_lshrrev_b32_e32 v9, 3, v12
	s_mov_b32 s22, exec_lo
	v_cmpx_gt_u32_e32 8, v12
; %bb.2980:                             ;   in Loop: Header=BB232_2076 Depth=1
	v_ffbh_u32_e32 v9, v10
	v_min_u32_e32 v9, 32, v9
	v_subrev_nc_u32_e32 v12, 28, v9
	v_sub_nc_u32_e32 v9, 29, v9
	v_lshlrev_b64 v[26:27], v12, v[10:11]
	v_and_b32_e32 v10, 7, v26
; %bb.2981:                             ;   in Loop: Header=BB232_2076 Depth=1
	s_or_b32 exec_lo, exec_lo, s22
	v_lshlrev_b32_sdwa v12, v78, v8 dst_sel:DWORD dst_unused:UNUSED_PAD src0_sel:DWORD src1_sel:WORD_1
	v_lshlrev_b32_e32 v10, 20, v10
	v_lshl_add_u32 v9, v9, 23, 0x3c000000
	v_and_b32_e32 v12, 0x80000000, v12
	v_or3_b32 v10, v10, v12, v9
	v_mov_b32_e32 v27, v11
	v_mov_b32_e32 v26, v10
.LBB232_2982:                           ;   in Loop: Header=BB232_2076 Depth=1
	s_or_b32 exec_lo, exec_lo, s21
.LBB232_2983:                           ;   in Loop: Header=BB232_2076 Depth=1
	s_or_b32 exec_lo, exec_lo, s20
.LBB232_2984:                           ;   in Loop: Header=BB232_2076 Depth=1
	s_or_b32 exec_lo, exec_lo, s19
	s_mov_b32 s19, exec_lo
	v_cmpx_lt_u32_e32 0xffffff, v8
	s_cbranch_execz .LBB232_2992
; %bb.2985:                             ;   in Loop: Header=BB232_2076 Depth=1
	v_mov_b32_e32 v12, v11
	v_mov_b32_e32 v25, v13
	v_cmp_ne_u32_sdwa s8, v8, v74 src0_sel:BYTE_3 src1_sel:DWORD
	v_mov_b32_e32 v24, v12
	s_and_saveexec_b32 s20, s8
	s_cbranch_execz .LBB232_2991
; %bb.2986:                             ;   in Loop: Header=BB232_2076 Depth=1
	v_mov_b32_e32 v14, v11
	v_mov_b32_e32 v25, v15
	v_bfe_u32 v12, v8, 24, 7
	s_mov_b32 s21, exec_lo
	v_mov_b32_e32 v24, v14
	v_cmpx_ne_u32_e32 0x7f, v12
	s_cbranch_execz .LBB232_2990
; %bb.2987:                             ;   in Loop: Header=BB232_2076 Depth=1
	v_and_b32_sdwa v10, v8, v77 dst_sel:DWORD dst_unused:UNUSED_PAD src0_sel:BYTE_3 src1_sel:DWORD
	v_lshrrev_b32_e32 v9, 3, v12
	s_mov_b32 s22, exec_lo
	v_cmpx_gt_u32_e32 8, v12
; %bb.2988:                             ;   in Loop: Header=BB232_2076 Depth=1
	v_ffbh_u32_e32 v9, v10
	v_min_u32_e32 v9, 32, v9
	v_subrev_nc_u32_e32 v12, 28, v9
	v_sub_nc_u32_e32 v9, 29, v9
	v_lshlrev_b64 v[24:25], v12, v[10:11]
	v_and_b32_e32 v10, 7, v24
; %bb.2989:                             ;   in Loop: Header=BB232_2076 Depth=1
	s_or_b32 exec_lo, exec_lo, s22
	v_lshlrev_b32_sdwa v8, v78, v8 dst_sel:DWORD dst_unused:UNUSED_PAD src0_sel:DWORD src1_sel:BYTE_3
	v_lshlrev_b32_e32 v10, 20, v10
	v_lshl_add_u32 v9, v9, 23, 0x3c000000
	v_mov_b32_e32 v24, v11
	v_and_b32_e32 v8, 0x80000000, v8
	v_or3_b32 v25, v10, v8, v9
.LBB232_2990:                           ;   in Loop: Header=BB232_2076 Depth=1
	s_or_b32 exec_lo, exec_lo, s21
.LBB232_2991:                           ;   in Loop: Header=BB232_2076 Depth=1
	s_or_b32 exec_lo, exec_lo, s20
.LBB232_2992:                           ;   in Loop: Header=BB232_2076 Depth=1
	s_or_b32 exec_lo, exec_lo, s19
	v_or_b32_e32 v8, v23, v21
	v_or_b32_e32 v9, v22, v20
	;; [unrolled: 1-line block ×4, first 2 shown]
	v_mul_f32_e32 v8, v92, v8
	buffer_store_dword v8, off, s[0:3], s32 offset:1052 ; 4-byte Folded Spill
	v_mul_f32_e32 v8, v73, v9
	buffer_store_dword v8, off, s[0:3], s32 offset:1044 ; 4-byte Folded Spill
	;; [unrolled: 2-line block ×4, first 2 shown]
	s_and_saveexec_b32 s8, s6
	s_cbranch_execz .LBB232_2994
; %bb.2993:                             ;   in Loop: Header=BB232_2076 Depth=1
	buffer_load_dword v8, off, s[0:3], s32 offset:1044 ; 4-byte Folded Reload
	s_waitcnt vmcnt(0)
	v_cndmask_b32_e32 v8, 0, v8, vcc_lo
	buffer_store_dword v8, off, s[0:3], s32 offset:1044 ; 4-byte Folded Spill
	buffer_load_dword v8, off, s[0:3], s32 offset:1052 ; 4-byte Folded Reload
	s_waitcnt vmcnt(0)
	v_cndmask_b32_e64 v8, 0, v8, s4
	buffer_store_dword v8, off, s[0:3], s32 offset:1052 ; 4-byte Folded Spill
	buffer_load_dword v8, off, s[0:3], s32 offset:1036 ; 4-byte Folded Reload
	s_waitcnt vmcnt(0)
	v_cndmask_b32_e64 v8, 0, v8, s5
	;; [unrolled: 4-line block ×3, first 2 shown]
	buffer_store_dword v8, off, s[0:3], s32 offset:1028 ; 4-byte Folded Spill
.LBB232_2994:                           ;   in Loop: Header=BB232_2076 Depth=1
	s_or_b32 exec_lo, exec_lo, s8
	flat_load_dword v8, v[18:19] offset:1408
	v_mov_b32_e32 v22, 0
	v_mov_b32_e32 v20, 0
	;; [unrolled: 1-line block ×4, first 2 shown]
	s_waitcnt vmcnt(0) lgkmcnt(0)
	v_cmp_ne_u16_sdwa s8, v8, v11 src0_sel:BYTE_0 src1_sel:DWORD
	s_and_saveexec_b32 s19, s8
	s_cbranch_execz .LBB232_3002
; %bb.2995:                             ;   in Loop: Header=BB232_2076 Depth=1
	v_bfrev_b32_e32 v20, 1
	v_mov_b32_e32 v21, 0
	v_cmp_ne_u16_sdwa s8, v8, v74 src0_sel:BYTE_0 src1_sel:DWORD
	s_and_saveexec_b32 s20, s8
	s_cbranch_execz .LBB232_3001
; %bb.2996:                             ;   in Loop: Header=BB232_2076 Depth=1
	v_mov_b32_e32 v20, 0x7f800001
	v_and_b32_e32 v12, 0x7f, v8
	v_mov_b32_e32 v21, 0
	s_mov_b32 s21, exec_lo
	v_cmpx_ne_u32_e32 0x7f, v12
	s_cbranch_execz .LBB232_3000
; %bb.2997:                             ;   in Loop: Header=BB232_2076 Depth=1
	v_and_b32_e32 v10, 7, v8
	v_lshrrev_b32_e32 v9, 3, v12
	s_mov_b32 s22, exec_lo
	v_cmpx_gt_u32_e32 8, v12
; %bb.2998:                             ;   in Loop: Header=BB232_2076 Depth=1
	v_ffbh_u32_e32 v9, v10
	v_min_u32_e32 v9, 32, v9
	v_subrev_nc_u32_e32 v12, 28, v9
	v_sub_nc_u32_e32 v9, 29, v9
	v_lshlrev_b64 v[20:21], v12, v[10:11]
	v_and_b32_e32 v10, 7, v20
; %bb.2999:                             ;   in Loop: Header=BB232_2076 Depth=1
	s_or_b32 exec_lo, exec_lo, s22
	v_lshlrev_b32_e32 v12, 24, v8
	v_lshlrev_b32_e32 v10, 20, v10
	v_lshl_add_u32 v9, v9, 23, 0x3c000000
	v_and_b32_e32 v12, 0x80000000, v12
	v_or3_b32 v10, v10, v12, v9
	v_mov_b32_e32 v21, v11
	v_mov_b32_e32 v20, v10
.LBB232_3000:                           ;   in Loop: Header=BB232_2076 Depth=1
	s_or_b32 exec_lo, exec_lo, s21
.LBB232_3001:                           ;   in Loop: Header=BB232_2076 Depth=1
	s_or_b32 exec_lo, exec_lo, s20
.LBB232_3002:                           ;   in Loop: Header=BB232_2076 Depth=1
	s_or_b32 exec_lo, exec_lo, s19
	v_cmp_ne_u16_sdwa s8, v8, v11 src0_sel:BYTE_1 src1_sel:DWORD
	s_and_saveexec_b32 s19, s8
	s_cbranch_execz .LBB232_3010
; %bb.3003:                             ;   in Loop: Header=BB232_2076 Depth=1
	v_mov_b32_e32 v12, v11
	v_mov_b32_e32 v23, v13
	v_cmp_ne_u16_sdwa s8, v8, v74 src0_sel:BYTE_1 src1_sel:DWORD
	v_mov_b32_e32 v22, v12
	s_and_saveexec_b32 s20, s8
	s_cbranch_execz .LBB232_3009
; %bb.3004:                             ;   in Loop: Header=BB232_2076 Depth=1
	v_and_b32_sdwa v9, v75, v8 dst_sel:DWORD dst_unused:UNUSED_PAD src0_sel:DWORD src1_sel:BYTE_1
	v_mov_b32_e32 v14, v11
	v_mov_b32_e32 v23, v15
	s_mov_b32 s21, exec_lo
	v_and_b32_e32 v12, 0x7f, v9
	v_mov_b32_e32 v22, v14
	v_cmpx_ne_u32_e32 0x7f, v12
	s_cbranch_execz .LBB232_3008
; %bb.3005:                             ;   in Loop: Header=BB232_2076 Depth=1
	v_and_b32_e32 v10, 7, v9
	v_lshrrev_b32_e32 v9, 3, v12
	s_mov_b32 s22, exec_lo
	v_cmpx_gt_u32_e32 8, v12
; %bb.3006:                             ;   in Loop: Header=BB232_2076 Depth=1
	v_ffbh_u32_e32 v9, v10
	v_min_u32_e32 v9, 32, v9
	v_subrev_nc_u32_e32 v12, 28, v9
	v_sub_nc_u32_e32 v9, 29, v9
	v_lshlrev_b64 v[22:23], v12, v[10:11]
	v_and_b32_e32 v10, 7, v22
; %bb.3007:                             ;   in Loop: Header=BB232_2076 Depth=1
	s_or_b32 exec_lo, exec_lo, s22
	v_lshlrev_b32_e32 v12, 16, v8
	v_lshlrev_b32_e32 v10, 20, v10
	v_lshl_add_u32 v9, v9, 23, 0x3c000000
	v_mov_b32_e32 v22, v11
	v_and_b32_e32 v12, 0x80000000, v12
	v_or3_b32 v23, v10, v12, v9
.LBB232_3008:                           ;   in Loop: Header=BB232_2076 Depth=1
	s_or_b32 exec_lo, exec_lo, s21
.LBB232_3009:                           ;   in Loop: Header=BB232_2076 Depth=1
	s_or_b32 exec_lo, exec_lo, s20
.LBB232_3010:                           ;   in Loop: Header=BB232_2076 Depth=1
	s_or_b32 exec_lo, exec_lo, s19
	v_mov_b32_e32 v24, 0
	v_mov_b32_e32 v26, 0
	v_and_b32_sdwa v9, v8, v76 dst_sel:DWORD dst_unused:UNUSED_PAD src0_sel:WORD_1 src1_sel:DWORD
	v_mov_b32_e32 v25, 0
	v_mov_b32_e32 v27, 0
	s_mov_b32 s19, exec_lo
	v_cmpx_ne_u16_e32 0, v9
	s_cbranch_execz .LBB232_3018
; %bb.3011:                             ;   in Loop: Header=BB232_2076 Depth=1
	v_bfrev_b32_e32 v26, 1
	v_mov_b32_e32 v27, 0
	s_mov_b32 s20, exec_lo
	v_cmpx_ne_u16_e32 0x80, v9
	s_cbranch_execz .LBB232_3017
; %bb.3012:                             ;   in Loop: Header=BB232_2076 Depth=1
	v_mov_b32_e32 v26, 0x7f800001
	v_bfe_u32 v12, v8, 16, 7
	v_mov_b32_e32 v27, 0
	s_mov_b32 s21, exec_lo
	v_cmpx_ne_u32_e32 0x7f, v12
	s_cbranch_execz .LBB232_3016
; %bb.3013:                             ;   in Loop: Header=BB232_2076 Depth=1
	v_and_b32_sdwa v10, v8, v77 dst_sel:DWORD dst_unused:UNUSED_PAD src0_sel:WORD_1 src1_sel:DWORD
	v_lshrrev_b32_e32 v9, 3, v12
	s_mov_b32 s22, exec_lo
	v_cmpx_gt_u32_e32 8, v12
; %bb.3014:                             ;   in Loop: Header=BB232_2076 Depth=1
	v_ffbh_u32_e32 v9, v10
	v_min_u32_e32 v9, 32, v9
	v_subrev_nc_u32_e32 v12, 28, v9
	v_sub_nc_u32_e32 v9, 29, v9
	v_lshlrev_b64 v[26:27], v12, v[10:11]
	v_and_b32_e32 v10, 7, v26
; %bb.3015:                             ;   in Loop: Header=BB232_2076 Depth=1
	s_or_b32 exec_lo, exec_lo, s22
	v_lshlrev_b32_sdwa v12, v78, v8 dst_sel:DWORD dst_unused:UNUSED_PAD src0_sel:DWORD src1_sel:WORD_1
	v_lshlrev_b32_e32 v10, 20, v10
	v_lshl_add_u32 v9, v9, 23, 0x3c000000
	v_and_b32_e32 v12, 0x80000000, v12
	v_or3_b32 v10, v10, v12, v9
	v_mov_b32_e32 v27, v11
	v_mov_b32_e32 v26, v10
.LBB232_3016:                           ;   in Loop: Header=BB232_2076 Depth=1
	s_or_b32 exec_lo, exec_lo, s21
.LBB232_3017:                           ;   in Loop: Header=BB232_2076 Depth=1
	s_or_b32 exec_lo, exec_lo, s20
.LBB232_3018:                           ;   in Loop: Header=BB232_2076 Depth=1
	s_or_b32 exec_lo, exec_lo, s19
	s_mov_b32 s19, exec_lo
	v_cmpx_lt_u32_e32 0xffffff, v8
	s_cbranch_execz .LBB232_3026
; %bb.3019:                             ;   in Loop: Header=BB232_2076 Depth=1
	v_mov_b32_e32 v12, v11
	v_mov_b32_e32 v25, v13
	v_cmp_ne_u32_sdwa s8, v8, v74 src0_sel:BYTE_3 src1_sel:DWORD
	v_mov_b32_e32 v24, v12
	s_and_saveexec_b32 s20, s8
	s_cbranch_execz .LBB232_3025
; %bb.3020:                             ;   in Loop: Header=BB232_2076 Depth=1
	v_mov_b32_e32 v14, v11
	v_mov_b32_e32 v25, v15
	v_bfe_u32 v12, v8, 24, 7
	s_mov_b32 s21, exec_lo
	v_mov_b32_e32 v24, v14
	v_cmpx_ne_u32_e32 0x7f, v12
	s_cbranch_execz .LBB232_3024
; %bb.3021:                             ;   in Loop: Header=BB232_2076 Depth=1
	v_and_b32_sdwa v10, v8, v77 dst_sel:DWORD dst_unused:UNUSED_PAD src0_sel:BYTE_3 src1_sel:DWORD
	v_lshrrev_b32_e32 v9, 3, v12
	s_mov_b32 s22, exec_lo
	v_cmpx_gt_u32_e32 8, v12
; %bb.3022:                             ;   in Loop: Header=BB232_2076 Depth=1
	v_ffbh_u32_e32 v9, v10
	v_min_u32_e32 v9, 32, v9
	v_subrev_nc_u32_e32 v12, 28, v9
	v_sub_nc_u32_e32 v9, 29, v9
	v_lshlrev_b64 v[24:25], v12, v[10:11]
	v_and_b32_e32 v10, 7, v24
; %bb.3023:                             ;   in Loop: Header=BB232_2076 Depth=1
	s_or_b32 exec_lo, exec_lo, s22
	v_lshlrev_b32_sdwa v8, v78, v8 dst_sel:DWORD dst_unused:UNUSED_PAD src0_sel:DWORD src1_sel:BYTE_3
	v_lshlrev_b32_e32 v10, 20, v10
	v_lshl_add_u32 v9, v9, 23, 0x3c000000
	v_mov_b32_e32 v24, v11
	v_and_b32_e32 v8, 0x80000000, v8
	v_or3_b32 v25, v10, v8, v9
.LBB232_3024:                           ;   in Loop: Header=BB232_2076 Depth=1
	s_or_b32 exec_lo, exec_lo, s21
.LBB232_3025:                           ;   in Loop: Header=BB232_2076 Depth=1
	s_or_b32 exec_lo, exec_lo, s20
.LBB232_3026:                           ;   in Loop: Header=BB232_2076 Depth=1
	s_or_b32 exec_lo, exec_lo, s19
	v_or_b32_e32 v8, v23, v21
	v_or_b32_e32 v9, v22, v20
	;; [unrolled: 1-line block ×4, first 2 shown]
	v_mul_f32_e32 v8, v92, v8
	buffer_store_dword v8, off, s[0:3], s32 offset:1084 ; 4-byte Folded Spill
	v_mul_f32_e32 v8, v73, v9
	buffer_store_dword v8, off, s[0:3], s32 offset:1076 ; 4-byte Folded Spill
	;; [unrolled: 2-line block ×4, first 2 shown]
	s_and_saveexec_b32 s8, s6
	s_cbranch_execz .LBB232_3028
; %bb.3027:                             ;   in Loop: Header=BB232_2076 Depth=1
	buffer_load_dword v8, off, s[0:3], s32 offset:1076 ; 4-byte Folded Reload
	s_waitcnt vmcnt(0)
	v_cndmask_b32_e32 v8, 0, v8, vcc_lo
	buffer_store_dword v8, off, s[0:3], s32 offset:1076 ; 4-byte Folded Spill
	buffer_load_dword v8, off, s[0:3], s32 offset:1084 ; 4-byte Folded Reload
	s_waitcnt vmcnt(0)
	v_cndmask_b32_e64 v8, 0, v8, s4
	buffer_store_dword v8, off, s[0:3], s32 offset:1084 ; 4-byte Folded Spill
	buffer_load_dword v8, off, s[0:3], s32 offset:1068 ; 4-byte Folded Reload
	s_waitcnt vmcnt(0)
	v_cndmask_b32_e64 v8, 0, v8, s5
	;; [unrolled: 4-line block ×3, first 2 shown]
	buffer_store_dword v8, off, s[0:3], s32 offset:1060 ; 4-byte Folded Spill
.LBB232_3028:                           ;   in Loop: Header=BB232_2076 Depth=1
	s_or_b32 exec_lo, exec_lo, s8
	flat_load_dword v8, v[18:19] offset:1536
	v_mov_b32_e32 v22, 0
	v_mov_b32_e32 v20, 0
	;; [unrolled: 1-line block ×4, first 2 shown]
	s_waitcnt vmcnt(0) lgkmcnt(0)
	v_cmp_ne_u16_sdwa s8, v8, v11 src0_sel:BYTE_0 src1_sel:DWORD
	s_and_saveexec_b32 s19, s8
	s_cbranch_execz .LBB232_3036
; %bb.3029:                             ;   in Loop: Header=BB232_2076 Depth=1
	v_bfrev_b32_e32 v20, 1
	v_mov_b32_e32 v21, 0
	v_cmp_ne_u16_sdwa s8, v8, v74 src0_sel:BYTE_0 src1_sel:DWORD
	s_and_saveexec_b32 s20, s8
	s_cbranch_execz .LBB232_3035
; %bb.3030:                             ;   in Loop: Header=BB232_2076 Depth=1
	v_mov_b32_e32 v20, 0x7f800001
	v_and_b32_e32 v12, 0x7f, v8
	v_mov_b32_e32 v21, 0
	s_mov_b32 s21, exec_lo
	v_cmpx_ne_u32_e32 0x7f, v12
	s_cbranch_execz .LBB232_3034
; %bb.3031:                             ;   in Loop: Header=BB232_2076 Depth=1
	v_and_b32_e32 v10, 7, v8
	v_lshrrev_b32_e32 v9, 3, v12
	s_mov_b32 s22, exec_lo
	v_cmpx_gt_u32_e32 8, v12
; %bb.3032:                             ;   in Loop: Header=BB232_2076 Depth=1
	v_ffbh_u32_e32 v9, v10
	v_min_u32_e32 v9, 32, v9
	v_subrev_nc_u32_e32 v12, 28, v9
	v_sub_nc_u32_e32 v9, 29, v9
	v_lshlrev_b64 v[20:21], v12, v[10:11]
	v_and_b32_e32 v10, 7, v20
; %bb.3033:                             ;   in Loop: Header=BB232_2076 Depth=1
	s_or_b32 exec_lo, exec_lo, s22
	v_lshlrev_b32_e32 v12, 24, v8
	v_lshlrev_b32_e32 v10, 20, v10
	v_lshl_add_u32 v9, v9, 23, 0x3c000000
	v_and_b32_e32 v12, 0x80000000, v12
	v_or3_b32 v10, v10, v12, v9
	v_mov_b32_e32 v21, v11
	v_mov_b32_e32 v20, v10
.LBB232_3034:                           ;   in Loop: Header=BB232_2076 Depth=1
	s_or_b32 exec_lo, exec_lo, s21
.LBB232_3035:                           ;   in Loop: Header=BB232_2076 Depth=1
	s_or_b32 exec_lo, exec_lo, s20
.LBB232_3036:                           ;   in Loop: Header=BB232_2076 Depth=1
	s_or_b32 exec_lo, exec_lo, s19
	v_cmp_ne_u16_sdwa s8, v8, v11 src0_sel:BYTE_1 src1_sel:DWORD
	s_and_saveexec_b32 s19, s8
	s_cbranch_execz .LBB232_3044
; %bb.3037:                             ;   in Loop: Header=BB232_2076 Depth=1
	v_mov_b32_e32 v12, v11
	v_mov_b32_e32 v23, v13
	v_cmp_ne_u16_sdwa s8, v8, v74 src0_sel:BYTE_1 src1_sel:DWORD
	v_mov_b32_e32 v22, v12
	s_and_saveexec_b32 s20, s8
	s_cbranch_execz .LBB232_3043
; %bb.3038:                             ;   in Loop: Header=BB232_2076 Depth=1
	v_and_b32_sdwa v9, v75, v8 dst_sel:DWORD dst_unused:UNUSED_PAD src0_sel:DWORD src1_sel:BYTE_1
	v_mov_b32_e32 v14, v11
	v_mov_b32_e32 v23, v15
	s_mov_b32 s21, exec_lo
	v_and_b32_e32 v12, 0x7f, v9
	v_mov_b32_e32 v22, v14
	v_cmpx_ne_u32_e32 0x7f, v12
	s_cbranch_execz .LBB232_3042
; %bb.3039:                             ;   in Loop: Header=BB232_2076 Depth=1
	v_and_b32_e32 v10, 7, v9
	v_lshrrev_b32_e32 v9, 3, v12
	s_mov_b32 s22, exec_lo
	v_cmpx_gt_u32_e32 8, v12
; %bb.3040:                             ;   in Loop: Header=BB232_2076 Depth=1
	v_ffbh_u32_e32 v9, v10
	v_min_u32_e32 v9, 32, v9
	v_subrev_nc_u32_e32 v12, 28, v9
	v_sub_nc_u32_e32 v9, 29, v9
	v_lshlrev_b64 v[22:23], v12, v[10:11]
	v_and_b32_e32 v10, 7, v22
; %bb.3041:                             ;   in Loop: Header=BB232_2076 Depth=1
	s_or_b32 exec_lo, exec_lo, s22
	v_lshlrev_b32_e32 v12, 16, v8
	v_lshlrev_b32_e32 v10, 20, v10
	v_lshl_add_u32 v9, v9, 23, 0x3c000000
	v_mov_b32_e32 v22, v11
	v_and_b32_e32 v12, 0x80000000, v12
	v_or3_b32 v23, v10, v12, v9
.LBB232_3042:                           ;   in Loop: Header=BB232_2076 Depth=1
	s_or_b32 exec_lo, exec_lo, s21
.LBB232_3043:                           ;   in Loop: Header=BB232_2076 Depth=1
	s_or_b32 exec_lo, exec_lo, s20
.LBB232_3044:                           ;   in Loop: Header=BB232_2076 Depth=1
	s_or_b32 exec_lo, exec_lo, s19
	v_mov_b32_e32 v24, 0
	v_mov_b32_e32 v26, 0
	v_and_b32_sdwa v9, v8, v76 dst_sel:DWORD dst_unused:UNUSED_PAD src0_sel:WORD_1 src1_sel:DWORD
	v_mov_b32_e32 v25, 0
	v_mov_b32_e32 v27, 0
	s_mov_b32 s19, exec_lo
	v_cmpx_ne_u16_e32 0, v9
	s_cbranch_execz .LBB232_3052
; %bb.3045:                             ;   in Loop: Header=BB232_2076 Depth=1
	v_bfrev_b32_e32 v26, 1
	v_mov_b32_e32 v27, 0
	s_mov_b32 s20, exec_lo
	v_cmpx_ne_u16_e32 0x80, v9
	s_cbranch_execz .LBB232_3051
; %bb.3046:                             ;   in Loop: Header=BB232_2076 Depth=1
	v_mov_b32_e32 v26, 0x7f800001
	v_bfe_u32 v12, v8, 16, 7
	v_mov_b32_e32 v27, 0
	s_mov_b32 s21, exec_lo
	v_cmpx_ne_u32_e32 0x7f, v12
	s_cbranch_execz .LBB232_3050
; %bb.3047:                             ;   in Loop: Header=BB232_2076 Depth=1
	v_and_b32_sdwa v10, v8, v77 dst_sel:DWORD dst_unused:UNUSED_PAD src0_sel:WORD_1 src1_sel:DWORD
	v_lshrrev_b32_e32 v9, 3, v12
	s_mov_b32 s22, exec_lo
	v_cmpx_gt_u32_e32 8, v12
; %bb.3048:                             ;   in Loop: Header=BB232_2076 Depth=1
	v_ffbh_u32_e32 v9, v10
	v_min_u32_e32 v9, 32, v9
	v_subrev_nc_u32_e32 v12, 28, v9
	v_sub_nc_u32_e32 v9, 29, v9
	v_lshlrev_b64 v[26:27], v12, v[10:11]
	v_and_b32_e32 v10, 7, v26
; %bb.3049:                             ;   in Loop: Header=BB232_2076 Depth=1
	s_or_b32 exec_lo, exec_lo, s22
	v_lshlrev_b32_sdwa v12, v78, v8 dst_sel:DWORD dst_unused:UNUSED_PAD src0_sel:DWORD src1_sel:WORD_1
	v_lshlrev_b32_e32 v10, 20, v10
	v_lshl_add_u32 v9, v9, 23, 0x3c000000
	v_and_b32_e32 v12, 0x80000000, v12
	v_or3_b32 v10, v10, v12, v9
	v_mov_b32_e32 v27, v11
	v_mov_b32_e32 v26, v10
.LBB232_3050:                           ;   in Loop: Header=BB232_2076 Depth=1
	s_or_b32 exec_lo, exec_lo, s21
.LBB232_3051:                           ;   in Loop: Header=BB232_2076 Depth=1
	s_or_b32 exec_lo, exec_lo, s20
.LBB232_3052:                           ;   in Loop: Header=BB232_2076 Depth=1
	s_or_b32 exec_lo, exec_lo, s19
	s_mov_b32 s19, exec_lo
	v_cmpx_lt_u32_e32 0xffffff, v8
	s_cbranch_execz .LBB232_3060
; %bb.3053:                             ;   in Loop: Header=BB232_2076 Depth=1
	v_mov_b32_e32 v12, v11
	v_mov_b32_e32 v25, v13
	v_cmp_ne_u32_sdwa s8, v8, v74 src0_sel:BYTE_3 src1_sel:DWORD
	v_mov_b32_e32 v24, v12
	s_and_saveexec_b32 s20, s8
	s_cbranch_execz .LBB232_3059
; %bb.3054:                             ;   in Loop: Header=BB232_2076 Depth=1
	v_mov_b32_e32 v14, v11
	v_mov_b32_e32 v25, v15
	v_bfe_u32 v12, v8, 24, 7
	s_mov_b32 s21, exec_lo
	v_mov_b32_e32 v24, v14
	v_cmpx_ne_u32_e32 0x7f, v12
	s_cbranch_execz .LBB232_3058
; %bb.3055:                             ;   in Loop: Header=BB232_2076 Depth=1
	v_and_b32_sdwa v10, v8, v77 dst_sel:DWORD dst_unused:UNUSED_PAD src0_sel:BYTE_3 src1_sel:DWORD
	v_lshrrev_b32_e32 v9, 3, v12
	s_mov_b32 s22, exec_lo
	v_cmpx_gt_u32_e32 8, v12
; %bb.3056:                             ;   in Loop: Header=BB232_2076 Depth=1
	v_ffbh_u32_e32 v9, v10
	v_min_u32_e32 v9, 32, v9
	v_subrev_nc_u32_e32 v12, 28, v9
	v_sub_nc_u32_e32 v9, 29, v9
	v_lshlrev_b64 v[24:25], v12, v[10:11]
	v_and_b32_e32 v10, 7, v24
; %bb.3057:                             ;   in Loop: Header=BB232_2076 Depth=1
	s_or_b32 exec_lo, exec_lo, s22
	v_lshlrev_b32_sdwa v8, v78, v8 dst_sel:DWORD dst_unused:UNUSED_PAD src0_sel:DWORD src1_sel:BYTE_3
	v_lshlrev_b32_e32 v10, 20, v10
	v_lshl_add_u32 v9, v9, 23, 0x3c000000
	v_mov_b32_e32 v24, v11
	v_and_b32_e32 v8, 0x80000000, v8
	v_or3_b32 v25, v10, v8, v9
.LBB232_3058:                           ;   in Loop: Header=BB232_2076 Depth=1
	s_or_b32 exec_lo, exec_lo, s21
.LBB232_3059:                           ;   in Loop: Header=BB232_2076 Depth=1
	s_or_b32 exec_lo, exec_lo, s20
.LBB232_3060:                           ;   in Loop: Header=BB232_2076 Depth=1
	s_or_b32 exec_lo, exec_lo, s19
	v_or_b32_e32 v8, v23, v21
	v_or_b32_e32 v9, v22, v20
	;; [unrolled: 1-line block ×4, first 2 shown]
	v_mul_f32_e32 v8, v92, v8
	buffer_store_dword v8, off, s[0:3], s32 offset:1116 ; 4-byte Folded Spill
	v_mul_f32_e32 v8, v73, v9
	buffer_store_dword v8, off, s[0:3], s32 offset:1108 ; 4-byte Folded Spill
	;; [unrolled: 2-line block ×4, first 2 shown]
	s_and_saveexec_b32 s8, s6
	s_cbranch_execz .LBB232_3062
; %bb.3061:                             ;   in Loop: Header=BB232_2076 Depth=1
	buffer_load_dword v8, off, s[0:3], s32 offset:1108 ; 4-byte Folded Reload
	s_waitcnt vmcnt(0)
	v_cndmask_b32_e32 v8, 0, v8, vcc_lo
	buffer_store_dword v8, off, s[0:3], s32 offset:1108 ; 4-byte Folded Spill
	buffer_load_dword v8, off, s[0:3], s32 offset:1116 ; 4-byte Folded Reload
	s_waitcnt vmcnt(0)
	v_cndmask_b32_e64 v8, 0, v8, s4
	buffer_store_dword v8, off, s[0:3], s32 offset:1116 ; 4-byte Folded Spill
	buffer_load_dword v8, off, s[0:3], s32 offset:1100 ; 4-byte Folded Reload
	s_waitcnt vmcnt(0)
	v_cndmask_b32_e64 v8, 0, v8, s5
	buffer_store_dword v8, off, s[0:3], s32 offset:1100 ; 4-byte Folded Spill
	buffer_load_dword v8, off, s[0:3], s32 offset:1092 ; 4-byte Folded Reload
	s_waitcnt vmcnt(0)
	v_cndmask_b32_e64 v8, 0, v8, s7
	buffer_store_dword v8, off, s[0:3], s32 offset:1092 ; 4-byte Folded Spill
.LBB232_3062:                           ;   in Loop: Header=BB232_2076 Depth=1
	s_or_b32 exec_lo, exec_lo, s8
	flat_load_dword v8, v[18:19] offset:1664
	v_mov_b32_e32 v22, 0
	v_mov_b32_e32 v20, 0
	;; [unrolled: 1-line block ×4, first 2 shown]
	s_waitcnt vmcnt(0) lgkmcnt(0)
	v_cmp_ne_u16_sdwa s8, v8, v11 src0_sel:BYTE_0 src1_sel:DWORD
	s_and_saveexec_b32 s19, s8
	s_cbranch_execz .LBB232_3070
; %bb.3063:                             ;   in Loop: Header=BB232_2076 Depth=1
	v_bfrev_b32_e32 v20, 1
	v_mov_b32_e32 v21, 0
	v_cmp_ne_u16_sdwa s8, v8, v74 src0_sel:BYTE_0 src1_sel:DWORD
	s_and_saveexec_b32 s20, s8
	s_cbranch_execz .LBB232_3069
; %bb.3064:                             ;   in Loop: Header=BB232_2076 Depth=1
	v_mov_b32_e32 v20, 0x7f800001
	v_and_b32_e32 v12, 0x7f, v8
	v_mov_b32_e32 v21, 0
	s_mov_b32 s21, exec_lo
	v_cmpx_ne_u32_e32 0x7f, v12
	s_cbranch_execz .LBB232_3068
; %bb.3065:                             ;   in Loop: Header=BB232_2076 Depth=1
	v_and_b32_e32 v10, 7, v8
	v_lshrrev_b32_e32 v9, 3, v12
	s_mov_b32 s22, exec_lo
	v_cmpx_gt_u32_e32 8, v12
; %bb.3066:                             ;   in Loop: Header=BB232_2076 Depth=1
	v_ffbh_u32_e32 v9, v10
	v_min_u32_e32 v9, 32, v9
	v_subrev_nc_u32_e32 v12, 28, v9
	v_sub_nc_u32_e32 v9, 29, v9
	v_lshlrev_b64 v[20:21], v12, v[10:11]
	v_and_b32_e32 v10, 7, v20
; %bb.3067:                             ;   in Loop: Header=BB232_2076 Depth=1
	s_or_b32 exec_lo, exec_lo, s22
	v_lshlrev_b32_e32 v12, 24, v8
	v_lshlrev_b32_e32 v10, 20, v10
	v_lshl_add_u32 v9, v9, 23, 0x3c000000
	v_and_b32_e32 v12, 0x80000000, v12
	v_or3_b32 v10, v10, v12, v9
	v_mov_b32_e32 v21, v11
	v_mov_b32_e32 v20, v10
.LBB232_3068:                           ;   in Loop: Header=BB232_2076 Depth=1
	s_or_b32 exec_lo, exec_lo, s21
.LBB232_3069:                           ;   in Loop: Header=BB232_2076 Depth=1
	s_or_b32 exec_lo, exec_lo, s20
.LBB232_3070:                           ;   in Loop: Header=BB232_2076 Depth=1
	s_or_b32 exec_lo, exec_lo, s19
	v_cmp_ne_u16_sdwa s8, v8, v11 src0_sel:BYTE_1 src1_sel:DWORD
	s_and_saveexec_b32 s19, s8
	s_cbranch_execz .LBB232_3078
; %bb.3071:                             ;   in Loop: Header=BB232_2076 Depth=1
	v_mov_b32_e32 v12, v11
	v_mov_b32_e32 v23, v13
	v_cmp_ne_u16_sdwa s8, v8, v74 src0_sel:BYTE_1 src1_sel:DWORD
	v_mov_b32_e32 v22, v12
	s_and_saveexec_b32 s20, s8
	s_cbranch_execz .LBB232_3077
; %bb.3072:                             ;   in Loop: Header=BB232_2076 Depth=1
	v_and_b32_sdwa v9, v75, v8 dst_sel:DWORD dst_unused:UNUSED_PAD src0_sel:DWORD src1_sel:BYTE_1
	v_mov_b32_e32 v14, v11
	v_mov_b32_e32 v23, v15
	s_mov_b32 s21, exec_lo
	v_and_b32_e32 v12, 0x7f, v9
	v_mov_b32_e32 v22, v14
	v_cmpx_ne_u32_e32 0x7f, v12
	s_cbranch_execz .LBB232_3076
; %bb.3073:                             ;   in Loop: Header=BB232_2076 Depth=1
	v_and_b32_e32 v10, 7, v9
	v_lshrrev_b32_e32 v9, 3, v12
	s_mov_b32 s22, exec_lo
	v_cmpx_gt_u32_e32 8, v12
; %bb.3074:                             ;   in Loop: Header=BB232_2076 Depth=1
	v_ffbh_u32_e32 v9, v10
	v_min_u32_e32 v9, 32, v9
	v_subrev_nc_u32_e32 v12, 28, v9
	v_sub_nc_u32_e32 v9, 29, v9
	v_lshlrev_b64 v[22:23], v12, v[10:11]
	v_and_b32_e32 v10, 7, v22
; %bb.3075:                             ;   in Loop: Header=BB232_2076 Depth=1
	s_or_b32 exec_lo, exec_lo, s22
	v_lshlrev_b32_e32 v12, 16, v8
	v_lshlrev_b32_e32 v10, 20, v10
	v_lshl_add_u32 v9, v9, 23, 0x3c000000
	v_mov_b32_e32 v22, v11
	v_and_b32_e32 v12, 0x80000000, v12
	v_or3_b32 v23, v10, v12, v9
.LBB232_3076:                           ;   in Loop: Header=BB232_2076 Depth=1
	s_or_b32 exec_lo, exec_lo, s21
.LBB232_3077:                           ;   in Loop: Header=BB232_2076 Depth=1
	s_or_b32 exec_lo, exec_lo, s20
.LBB232_3078:                           ;   in Loop: Header=BB232_2076 Depth=1
	s_or_b32 exec_lo, exec_lo, s19
	v_mov_b32_e32 v24, 0
	v_mov_b32_e32 v26, 0
	v_and_b32_sdwa v9, v8, v76 dst_sel:DWORD dst_unused:UNUSED_PAD src0_sel:WORD_1 src1_sel:DWORD
	v_mov_b32_e32 v25, 0
	v_mov_b32_e32 v27, 0
	s_mov_b32 s19, exec_lo
	v_cmpx_ne_u16_e32 0, v9
	s_cbranch_execz .LBB232_3086
; %bb.3079:                             ;   in Loop: Header=BB232_2076 Depth=1
	v_bfrev_b32_e32 v26, 1
	v_mov_b32_e32 v27, 0
	s_mov_b32 s20, exec_lo
	v_cmpx_ne_u16_e32 0x80, v9
	s_cbranch_execz .LBB232_3085
; %bb.3080:                             ;   in Loop: Header=BB232_2076 Depth=1
	v_mov_b32_e32 v26, 0x7f800001
	v_bfe_u32 v12, v8, 16, 7
	v_mov_b32_e32 v27, 0
	s_mov_b32 s21, exec_lo
	v_cmpx_ne_u32_e32 0x7f, v12
	s_cbranch_execz .LBB232_3084
; %bb.3081:                             ;   in Loop: Header=BB232_2076 Depth=1
	v_and_b32_sdwa v10, v8, v77 dst_sel:DWORD dst_unused:UNUSED_PAD src0_sel:WORD_1 src1_sel:DWORD
	v_lshrrev_b32_e32 v9, 3, v12
	s_mov_b32 s22, exec_lo
	v_cmpx_gt_u32_e32 8, v12
; %bb.3082:                             ;   in Loop: Header=BB232_2076 Depth=1
	v_ffbh_u32_e32 v9, v10
	v_min_u32_e32 v9, 32, v9
	v_subrev_nc_u32_e32 v12, 28, v9
	v_sub_nc_u32_e32 v9, 29, v9
	v_lshlrev_b64 v[26:27], v12, v[10:11]
	v_and_b32_e32 v10, 7, v26
; %bb.3083:                             ;   in Loop: Header=BB232_2076 Depth=1
	s_or_b32 exec_lo, exec_lo, s22
	v_lshlrev_b32_sdwa v12, v78, v8 dst_sel:DWORD dst_unused:UNUSED_PAD src0_sel:DWORD src1_sel:WORD_1
	v_lshlrev_b32_e32 v10, 20, v10
	v_lshl_add_u32 v9, v9, 23, 0x3c000000
	v_and_b32_e32 v12, 0x80000000, v12
	v_or3_b32 v10, v10, v12, v9
	v_mov_b32_e32 v27, v11
	v_mov_b32_e32 v26, v10
.LBB232_3084:                           ;   in Loop: Header=BB232_2076 Depth=1
	s_or_b32 exec_lo, exec_lo, s21
.LBB232_3085:                           ;   in Loop: Header=BB232_2076 Depth=1
	s_or_b32 exec_lo, exec_lo, s20
.LBB232_3086:                           ;   in Loop: Header=BB232_2076 Depth=1
	s_or_b32 exec_lo, exec_lo, s19
	s_mov_b32 s19, exec_lo
	v_cmpx_lt_u32_e32 0xffffff, v8
	s_cbranch_execz .LBB232_3094
; %bb.3087:                             ;   in Loop: Header=BB232_2076 Depth=1
	v_mov_b32_e32 v12, v11
	v_mov_b32_e32 v25, v13
	v_cmp_ne_u32_sdwa s8, v8, v74 src0_sel:BYTE_3 src1_sel:DWORD
	v_mov_b32_e32 v24, v12
	s_and_saveexec_b32 s20, s8
	s_cbranch_execz .LBB232_3093
; %bb.3088:                             ;   in Loop: Header=BB232_2076 Depth=1
	v_mov_b32_e32 v14, v11
	v_mov_b32_e32 v25, v15
	v_bfe_u32 v12, v8, 24, 7
	s_mov_b32 s21, exec_lo
	v_mov_b32_e32 v24, v14
	v_cmpx_ne_u32_e32 0x7f, v12
	s_cbranch_execz .LBB232_3092
; %bb.3089:                             ;   in Loop: Header=BB232_2076 Depth=1
	v_and_b32_sdwa v10, v8, v77 dst_sel:DWORD dst_unused:UNUSED_PAD src0_sel:BYTE_3 src1_sel:DWORD
	v_lshrrev_b32_e32 v9, 3, v12
	s_mov_b32 s22, exec_lo
	v_cmpx_gt_u32_e32 8, v12
; %bb.3090:                             ;   in Loop: Header=BB232_2076 Depth=1
	v_ffbh_u32_e32 v9, v10
	v_min_u32_e32 v9, 32, v9
	v_subrev_nc_u32_e32 v12, 28, v9
	v_sub_nc_u32_e32 v9, 29, v9
	v_lshlrev_b64 v[24:25], v12, v[10:11]
	v_and_b32_e32 v10, 7, v24
; %bb.3091:                             ;   in Loop: Header=BB232_2076 Depth=1
	s_or_b32 exec_lo, exec_lo, s22
	v_lshlrev_b32_sdwa v8, v78, v8 dst_sel:DWORD dst_unused:UNUSED_PAD src0_sel:DWORD src1_sel:BYTE_3
	v_lshlrev_b32_e32 v10, 20, v10
	v_lshl_add_u32 v9, v9, 23, 0x3c000000
	v_mov_b32_e32 v24, v11
	v_and_b32_e32 v8, 0x80000000, v8
	v_or3_b32 v25, v10, v8, v9
.LBB232_3092:                           ;   in Loop: Header=BB232_2076 Depth=1
	s_or_b32 exec_lo, exec_lo, s21
.LBB232_3093:                           ;   in Loop: Header=BB232_2076 Depth=1
	s_or_b32 exec_lo, exec_lo, s20
.LBB232_3094:                           ;   in Loop: Header=BB232_2076 Depth=1
	s_or_b32 exec_lo, exec_lo, s19
	v_or_b32_e32 v8, v23, v21
	v_or_b32_e32 v9, v22, v20
	;; [unrolled: 1-line block ×4, first 2 shown]
	v_mul_f32_e32 v8, v92, v8
	buffer_store_dword v8, off, s[0:3], s32 offset:1148 ; 4-byte Folded Spill
	v_mul_f32_e32 v8, v73, v9
	buffer_store_dword v8, off, s[0:3], s32 offset:1140 ; 4-byte Folded Spill
	;; [unrolled: 2-line block ×4, first 2 shown]
	s_and_saveexec_b32 s8, s6
	s_cbranch_execz .LBB232_3096
; %bb.3095:                             ;   in Loop: Header=BB232_2076 Depth=1
	buffer_load_dword v8, off, s[0:3], s32 offset:1140 ; 4-byte Folded Reload
	s_waitcnt vmcnt(0)
	v_cndmask_b32_e32 v8, 0, v8, vcc_lo
	buffer_store_dword v8, off, s[0:3], s32 offset:1140 ; 4-byte Folded Spill
	buffer_load_dword v8, off, s[0:3], s32 offset:1148 ; 4-byte Folded Reload
	s_waitcnt vmcnt(0)
	v_cndmask_b32_e64 v8, 0, v8, s4
	buffer_store_dword v8, off, s[0:3], s32 offset:1148 ; 4-byte Folded Spill
	buffer_load_dword v8, off, s[0:3], s32 offset:1132 ; 4-byte Folded Reload
	s_waitcnt vmcnt(0)
	v_cndmask_b32_e64 v8, 0, v8, s5
	;; [unrolled: 4-line block ×3, first 2 shown]
	buffer_store_dword v8, off, s[0:3], s32 offset:1124 ; 4-byte Folded Spill
.LBB232_3096:                           ;   in Loop: Header=BB232_2076 Depth=1
	s_or_b32 exec_lo, exec_lo, s8
	flat_load_dword v8, v[18:19] offset:1792
	v_mov_b32_e32 v20, 0
	v_mov_b32_e32 v18, 0
	;; [unrolled: 1-line block ×4, first 2 shown]
	s_waitcnt vmcnt(0) lgkmcnt(0)
	v_cmp_ne_u16_sdwa s8, v8, v11 src0_sel:BYTE_0 src1_sel:DWORD
	s_and_saveexec_b32 s19, s8
	s_cbranch_execz .LBB232_3104
; %bb.3097:                             ;   in Loop: Header=BB232_2076 Depth=1
	v_bfrev_b32_e32 v18, 1
	v_mov_b32_e32 v19, 0
	v_cmp_ne_u16_sdwa s8, v8, v74 src0_sel:BYTE_0 src1_sel:DWORD
	s_and_saveexec_b32 s20, s8
	s_cbranch_execz .LBB232_3103
; %bb.3098:                             ;   in Loop: Header=BB232_2076 Depth=1
	v_mov_b32_e32 v18, 0x7f800001
	v_and_b32_e32 v12, 0x7f, v8
	v_mov_b32_e32 v19, 0
	s_mov_b32 s21, exec_lo
	v_cmpx_ne_u32_e32 0x7f, v12
	s_cbranch_execz .LBB232_3102
; %bb.3099:                             ;   in Loop: Header=BB232_2076 Depth=1
	v_and_b32_e32 v10, 7, v8
	v_lshrrev_b32_e32 v9, 3, v12
	s_mov_b32 s22, exec_lo
	v_cmpx_gt_u32_e32 8, v12
; %bb.3100:                             ;   in Loop: Header=BB232_2076 Depth=1
	v_ffbh_u32_e32 v9, v10
	v_min_u32_e32 v9, 32, v9
	v_subrev_nc_u32_e32 v12, 28, v9
	v_sub_nc_u32_e32 v9, 29, v9
	v_lshlrev_b64 v[18:19], v12, v[10:11]
	v_and_b32_e32 v10, 7, v18
; %bb.3101:                             ;   in Loop: Header=BB232_2076 Depth=1
	s_or_b32 exec_lo, exec_lo, s22
	v_lshlrev_b32_e32 v12, 24, v8
	v_lshlrev_b32_e32 v10, 20, v10
	v_lshl_add_u32 v9, v9, 23, 0x3c000000
	v_and_b32_e32 v12, 0x80000000, v12
	v_or3_b32 v10, v10, v12, v9
	v_mov_b32_e32 v19, v11
	v_mov_b32_e32 v18, v10
.LBB232_3102:                           ;   in Loop: Header=BB232_2076 Depth=1
	s_or_b32 exec_lo, exec_lo, s21
.LBB232_3103:                           ;   in Loop: Header=BB232_2076 Depth=1
	s_or_b32 exec_lo, exec_lo, s20
.LBB232_3104:                           ;   in Loop: Header=BB232_2076 Depth=1
	s_or_b32 exec_lo, exec_lo, s19
	v_cmp_ne_u16_sdwa s8, v8, v11 src0_sel:BYTE_1 src1_sel:DWORD
	s_and_saveexec_b32 s19, s8
	s_cbranch_execz .LBB232_3112
; %bb.3105:                             ;   in Loop: Header=BB232_2076 Depth=1
	v_mov_b32_e32 v12, v11
	v_mov_b32_e32 v21, v13
	v_cmp_ne_u16_sdwa s8, v8, v74 src0_sel:BYTE_1 src1_sel:DWORD
	v_mov_b32_e32 v20, v12
	s_and_saveexec_b32 s20, s8
	s_cbranch_execz .LBB232_3111
; %bb.3106:                             ;   in Loop: Header=BB232_2076 Depth=1
	v_and_b32_sdwa v9, v75, v8 dst_sel:DWORD dst_unused:UNUSED_PAD src0_sel:DWORD src1_sel:BYTE_1
	v_mov_b32_e32 v14, v11
	v_mov_b32_e32 v21, v15
	s_mov_b32 s21, exec_lo
	v_and_b32_e32 v12, 0x7f, v9
	v_mov_b32_e32 v20, v14
	v_cmpx_ne_u32_e32 0x7f, v12
	s_cbranch_execz .LBB232_3110
; %bb.3107:                             ;   in Loop: Header=BB232_2076 Depth=1
	v_and_b32_e32 v10, 7, v9
	v_lshrrev_b32_e32 v9, 3, v12
	s_mov_b32 s22, exec_lo
	v_cmpx_gt_u32_e32 8, v12
; %bb.3108:                             ;   in Loop: Header=BB232_2076 Depth=1
	v_ffbh_u32_e32 v9, v10
	v_min_u32_e32 v9, 32, v9
	v_subrev_nc_u32_e32 v12, 28, v9
	v_sub_nc_u32_e32 v9, 29, v9
	v_lshlrev_b64 v[20:21], v12, v[10:11]
	v_and_b32_e32 v10, 7, v20
; %bb.3109:                             ;   in Loop: Header=BB232_2076 Depth=1
	s_or_b32 exec_lo, exec_lo, s22
	v_lshlrev_b32_e32 v12, 16, v8
	v_lshlrev_b32_e32 v10, 20, v10
	v_lshl_add_u32 v9, v9, 23, 0x3c000000
	v_mov_b32_e32 v20, v11
	v_and_b32_e32 v12, 0x80000000, v12
	v_or3_b32 v21, v10, v12, v9
.LBB232_3110:                           ;   in Loop: Header=BB232_2076 Depth=1
	s_or_b32 exec_lo, exec_lo, s21
.LBB232_3111:                           ;   in Loop: Header=BB232_2076 Depth=1
	s_or_b32 exec_lo, exec_lo, s20
.LBB232_3112:                           ;   in Loop: Header=BB232_2076 Depth=1
	s_or_b32 exec_lo, exec_lo, s19
	v_mov_b32_e32 v22, 0
	v_mov_b32_e32 v24, 0
	v_and_b32_sdwa v9, v8, v76 dst_sel:DWORD dst_unused:UNUSED_PAD src0_sel:WORD_1 src1_sel:DWORD
	v_mov_b32_e32 v23, 0
	v_mov_b32_e32 v25, 0
	s_mov_b32 s19, exec_lo
	v_cmpx_ne_u16_e32 0, v9
	s_cbranch_execz .LBB232_3120
; %bb.3113:                             ;   in Loop: Header=BB232_2076 Depth=1
	v_bfrev_b32_e32 v24, 1
	v_mov_b32_e32 v25, 0
	s_mov_b32 s20, exec_lo
	v_cmpx_ne_u16_e32 0x80, v9
	s_cbranch_execz .LBB232_3119
; %bb.3114:                             ;   in Loop: Header=BB232_2076 Depth=1
	v_mov_b32_e32 v24, 0x7f800001
	v_bfe_u32 v12, v8, 16, 7
	v_mov_b32_e32 v25, 0
	s_mov_b32 s21, exec_lo
	v_cmpx_ne_u32_e32 0x7f, v12
	s_cbranch_execz .LBB232_3118
; %bb.3115:                             ;   in Loop: Header=BB232_2076 Depth=1
	v_and_b32_sdwa v10, v8, v77 dst_sel:DWORD dst_unused:UNUSED_PAD src0_sel:WORD_1 src1_sel:DWORD
	v_lshrrev_b32_e32 v9, 3, v12
	s_mov_b32 s22, exec_lo
	v_cmpx_gt_u32_e32 8, v12
; %bb.3116:                             ;   in Loop: Header=BB232_2076 Depth=1
	v_ffbh_u32_e32 v9, v10
	v_min_u32_e32 v9, 32, v9
	v_subrev_nc_u32_e32 v12, 28, v9
	v_sub_nc_u32_e32 v9, 29, v9
	v_lshlrev_b64 v[24:25], v12, v[10:11]
	v_and_b32_e32 v10, 7, v24
; %bb.3117:                             ;   in Loop: Header=BB232_2076 Depth=1
	s_or_b32 exec_lo, exec_lo, s22
	v_lshlrev_b32_sdwa v12, v78, v8 dst_sel:DWORD dst_unused:UNUSED_PAD src0_sel:DWORD src1_sel:WORD_1
	v_lshlrev_b32_e32 v10, 20, v10
	v_lshl_add_u32 v9, v9, 23, 0x3c000000
	v_and_b32_e32 v12, 0x80000000, v12
	v_or3_b32 v10, v10, v12, v9
	v_mov_b32_e32 v25, v11
	v_mov_b32_e32 v24, v10
.LBB232_3118:                           ;   in Loop: Header=BB232_2076 Depth=1
	s_or_b32 exec_lo, exec_lo, s21
.LBB232_3119:                           ;   in Loop: Header=BB232_2076 Depth=1
	s_or_b32 exec_lo, exec_lo, s20
.LBB232_3120:                           ;   in Loop: Header=BB232_2076 Depth=1
	s_or_b32 exec_lo, exec_lo, s19
	s_mov_b32 s19, exec_lo
	v_cmpx_lt_u32_e32 0xffffff, v8
	s_cbranch_execz .LBB232_3128
; %bb.3121:                             ;   in Loop: Header=BB232_2076 Depth=1
	v_mov_b32_e32 v12, v11
	v_mov_b32_e32 v23, v13
	v_cmp_ne_u32_sdwa s8, v8, v74 src0_sel:BYTE_3 src1_sel:DWORD
	v_mov_b32_e32 v22, v12
	s_and_saveexec_b32 s20, s8
	s_cbranch_execz .LBB232_3127
; %bb.3122:                             ;   in Loop: Header=BB232_2076 Depth=1
	v_mov_b32_e32 v14, v11
	v_mov_b32_e32 v23, v15
	v_bfe_u32 v12, v8, 24, 7
	s_mov_b32 s21, exec_lo
	v_mov_b32_e32 v22, v14
	v_cmpx_ne_u32_e32 0x7f, v12
	s_cbranch_execz .LBB232_3126
; %bb.3123:                             ;   in Loop: Header=BB232_2076 Depth=1
	v_and_b32_sdwa v10, v8, v77 dst_sel:DWORD dst_unused:UNUSED_PAD src0_sel:BYTE_3 src1_sel:DWORD
	v_lshrrev_b32_e32 v9, 3, v12
	s_mov_b32 s22, exec_lo
	v_cmpx_gt_u32_e32 8, v12
; %bb.3124:                             ;   in Loop: Header=BB232_2076 Depth=1
	v_ffbh_u32_e32 v9, v10
	v_min_u32_e32 v9, 32, v9
	v_subrev_nc_u32_e32 v12, 28, v9
	v_sub_nc_u32_e32 v9, 29, v9
	v_lshlrev_b64 v[22:23], v12, v[10:11]
	v_and_b32_e32 v10, 7, v22
; %bb.3125:                             ;   in Loop: Header=BB232_2076 Depth=1
	s_or_b32 exec_lo, exec_lo, s22
	v_lshlrev_b32_sdwa v8, v78, v8 dst_sel:DWORD dst_unused:UNUSED_PAD src0_sel:DWORD src1_sel:BYTE_3
	v_lshlrev_b32_e32 v10, 20, v10
	v_lshl_add_u32 v9, v9, 23, 0x3c000000
	v_mov_b32_e32 v22, v11
	v_and_b32_e32 v8, 0x80000000, v8
	v_or3_b32 v23, v10, v8, v9
.LBB232_3126:                           ;   in Loop: Header=BB232_2076 Depth=1
	s_or_b32 exec_lo, exec_lo, s21
.LBB232_3127:                           ;   in Loop: Header=BB232_2076 Depth=1
	s_or_b32 exec_lo, exec_lo, s20
.LBB232_3128:                           ;   in Loop: Header=BB232_2076 Depth=1
	s_or_b32 exec_lo, exec_lo, s19
	v_or_b32_e32 v8, v21, v19
	v_or_b32_e32 v9, v20, v18
	;; [unrolled: 1-line block ×4, first 2 shown]
	v_mul_f32_e32 v8, v92, v8
	buffer_store_dword v8, off, s[0:3], s32 offset:1180 ; 4-byte Folded Spill
	v_mul_f32_e32 v8, v73, v9
	buffer_store_dword v8, off, s[0:3], s32 offset:1172 ; 4-byte Folded Spill
	;; [unrolled: 2-line block ×4, first 2 shown]
	s_and_saveexec_b32 s8, s6
	s_cbranch_execz .LBB232_3130
; %bb.3129:                             ;   in Loop: Header=BB232_2076 Depth=1
	buffer_load_dword v8, off, s[0:3], s32 offset:1172 ; 4-byte Folded Reload
	s_waitcnt vmcnt(0)
	v_cndmask_b32_e32 v8, 0, v8, vcc_lo
	buffer_store_dword v8, off, s[0:3], s32 offset:1172 ; 4-byte Folded Spill
	buffer_load_dword v8, off, s[0:3], s32 offset:1180 ; 4-byte Folded Reload
	s_waitcnt vmcnt(0)
	v_cndmask_b32_e64 v8, 0, v8, s4
	buffer_store_dword v8, off, s[0:3], s32 offset:1180 ; 4-byte Folded Spill
	buffer_load_dword v8, off, s[0:3], s32 offset:1164 ; 4-byte Folded Reload
	s_waitcnt vmcnt(0)
	v_cndmask_b32_e64 v8, 0, v8, s5
	;; [unrolled: 4-line block ×3, first 2 shown]
	buffer_store_dword v8, off, s[0:3], s32 offset:1156 ; 4-byte Folded Spill
.LBB232_3130:                           ;   in Loop: Header=BB232_2076 Depth=1
	s_or_b32 exec_lo, exec_lo, s8
	buffer_load_dword v8, off, s[0:3], s32 offset:1904 ; 4-byte Folded Reload
	v_mov_b32_e32 v20, 0
	v_mov_b32_e32 v18, 0
	;; [unrolled: 1-line block ×4, first 2 shown]
	s_waitcnt vmcnt(0)
	v_add_co_u32 v8, s8, v0, v8
	v_add_co_ci_u32_e64 v9, null, 0, v1, s8
	flat_load_dword v8, v[8:9]
	s_waitcnt vmcnt(0) lgkmcnt(0)
	v_cmp_ne_u16_sdwa s8, v8, v11 src0_sel:BYTE_0 src1_sel:DWORD
	s_and_saveexec_b32 s19, s8
	s_cbranch_execz .LBB232_3138
; %bb.3131:                             ;   in Loop: Header=BB232_2076 Depth=1
	v_bfrev_b32_e32 v18, 1
	v_mov_b32_e32 v19, 0
	v_cmp_ne_u16_sdwa s8, v8, v74 src0_sel:BYTE_0 src1_sel:DWORD
	s_and_saveexec_b32 s20, s8
	s_cbranch_execz .LBB232_3137
; %bb.3132:                             ;   in Loop: Header=BB232_2076 Depth=1
	v_mov_b32_e32 v18, 0x7f800001
	v_and_b32_e32 v12, 0x7f, v8
	v_mov_b32_e32 v19, 0
	s_mov_b32 s21, exec_lo
	v_cmpx_ne_u32_e32 0x7f, v12
	s_cbranch_execz .LBB232_3136
; %bb.3133:                             ;   in Loop: Header=BB232_2076 Depth=1
	v_and_b32_e32 v10, 7, v8
	v_lshrrev_b32_e32 v9, 3, v12
	s_mov_b32 s22, exec_lo
	v_cmpx_gt_u32_e32 8, v12
; %bb.3134:                             ;   in Loop: Header=BB232_2076 Depth=1
	v_ffbh_u32_e32 v9, v10
	v_min_u32_e32 v9, 32, v9
	v_subrev_nc_u32_e32 v12, 28, v9
	v_sub_nc_u32_e32 v9, 29, v9
	v_lshlrev_b64 v[18:19], v12, v[10:11]
	v_and_b32_e32 v10, 7, v18
; %bb.3135:                             ;   in Loop: Header=BB232_2076 Depth=1
	s_or_b32 exec_lo, exec_lo, s22
	v_lshlrev_b32_e32 v12, 24, v8
	v_lshlrev_b32_e32 v10, 20, v10
	v_lshl_add_u32 v9, v9, 23, 0x3c000000
	v_and_b32_e32 v12, 0x80000000, v12
	v_or3_b32 v10, v10, v12, v9
	v_mov_b32_e32 v19, v11
	v_mov_b32_e32 v18, v10
.LBB232_3136:                           ;   in Loop: Header=BB232_2076 Depth=1
	s_or_b32 exec_lo, exec_lo, s21
.LBB232_3137:                           ;   in Loop: Header=BB232_2076 Depth=1
	s_or_b32 exec_lo, exec_lo, s20
.LBB232_3138:                           ;   in Loop: Header=BB232_2076 Depth=1
	s_or_b32 exec_lo, exec_lo, s19
	v_cmp_ne_u16_sdwa s8, v8, v11 src0_sel:BYTE_1 src1_sel:DWORD
	s_and_saveexec_b32 s19, s8
	s_cbranch_execz .LBB232_3146
; %bb.3139:                             ;   in Loop: Header=BB232_2076 Depth=1
	v_mov_b32_e32 v12, v11
	v_mov_b32_e32 v21, v13
	v_cmp_ne_u16_sdwa s8, v8, v74 src0_sel:BYTE_1 src1_sel:DWORD
	v_mov_b32_e32 v20, v12
	s_and_saveexec_b32 s20, s8
	s_cbranch_execz .LBB232_3145
; %bb.3140:                             ;   in Loop: Header=BB232_2076 Depth=1
	v_and_b32_sdwa v9, v75, v8 dst_sel:DWORD dst_unused:UNUSED_PAD src0_sel:DWORD src1_sel:BYTE_1
	v_mov_b32_e32 v14, v11
	v_mov_b32_e32 v21, v15
	s_mov_b32 s21, exec_lo
	v_and_b32_e32 v12, 0x7f, v9
	v_mov_b32_e32 v20, v14
	v_cmpx_ne_u32_e32 0x7f, v12
	s_cbranch_execz .LBB232_3144
; %bb.3141:                             ;   in Loop: Header=BB232_2076 Depth=1
	v_and_b32_e32 v10, 7, v9
	v_mov_b32_e32 v21, v11
	v_lshrrev_b32_e32 v9, 3, v12
	s_mov_b32 s22, exec_lo
	v_mov_b32_e32 v20, v10
	v_cmpx_gt_u32_e32 8, v12
; %bb.3142:                             ;   in Loop: Header=BB232_2076 Depth=1
	v_ffbh_u32_e32 v9, v10
	v_min_u32_e32 v9, 32, v9
	v_subrev_nc_u32_e32 v12, 28, v9
	v_sub_nc_u32_e32 v9, 29, v9
	v_lshlrev_b64 v[20:21], v12, v[10:11]
	v_and_b32_e32 v20, 7, v20
; %bb.3143:                             ;   in Loop: Header=BB232_2076 Depth=1
	s_or_b32 exec_lo, exec_lo, s22
	v_lshlrev_b32_e32 v10, 16, v8
	v_lshlrev_b32_e32 v12, 20, v20
	v_lshl_add_u32 v9, v9, 23, 0x3c000000
	v_mov_b32_e32 v20, v11
	v_and_b32_e32 v10, 0x80000000, v10
	v_or3_b32 v21, v12, v10, v9
.LBB232_3144:                           ;   in Loop: Header=BB232_2076 Depth=1
	s_or_b32 exec_lo, exec_lo, s21
.LBB232_3145:                           ;   in Loop: Header=BB232_2076 Depth=1
	s_or_b32 exec_lo, exec_lo, s20
.LBB232_3146:                           ;   in Loop: Header=BB232_2076 Depth=1
	s_or_b32 exec_lo, exec_lo, s19
	v_mov_b32_e32 v22, 0
	v_mov_b32_e32 v24, 0
	v_and_b32_sdwa v9, v8, v76 dst_sel:DWORD dst_unused:UNUSED_PAD src0_sel:WORD_1 src1_sel:DWORD
	v_mov_b32_e32 v23, 0
	v_mov_b32_e32 v25, 0
	s_mov_b32 s19, exec_lo
	v_cmpx_ne_u16_e32 0, v9
	s_cbranch_execz .LBB232_3154
; %bb.3147:                             ;   in Loop: Header=BB232_2076 Depth=1
	v_bfrev_b32_e32 v24, 1
	v_mov_b32_e32 v25, 0
	s_mov_b32 s20, exec_lo
	v_cmpx_ne_u16_e32 0x80, v9
	s_cbranch_execz .LBB232_3153
; %bb.3148:                             ;   in Loop: Header=BB232_2076 Depth=1
	v_mov_b32_e32 v24, 0x7f800001
	v_bfe_u32 v12, v8, 16, 7
	v_mov_b32_e32 v25, 0
	s_mov_b32 s21, exec_lo
	v_cmpx_ne_u32_e32 0x7f, v12
	s_cbranch_execz .LBB232_3152
; %bb.3149:                             ;   in Loop: Header=BB232_2076 Depth=1
	v_and_b32_sdwa v10, v8, v77 dst_sel:DWORD dst_unused:UNUSED_PAD src0_sel:WORD_1 src1_sel:DWORD
	v_mov_b32_e32 v25, v11
	v_lshrrev_b32_e32 v9, 3, v12
	s_mov_b32 s22, exec_lo
	v_mov_b32_e32 v24, v10
	v_cmpx_gt_u32_e32 8, v12
; %bb.3150:                             ;   in Loop: Header=BB232_2076 Depth=1
	v_ffbh_u32_e32 v9, v10
	v_min_u32_e32 v9, 32, v9
	v_subrev_nc_u32_e32 v12, 28, v9
	v_sub_nc_u32_e32 v9, 29, v9
	v_lshlrev_b64 v[24:25], v12, v[10:11]
	v_and_b32_e32 v24, 7, v24
; %bb.3151:                             ;   in Loop: Header=BB232_2076 Depth=1
	s_or_b32 exec_lo, exec_lo, s22
	v_lshlrev_b32_sdwa v10, v78, v8 dst_sel:DWORD dst_unused:UNUSED_PAD src0_sel:DWORD src1_sel:WORD_1
	v_lshlrev_b32_e32 v12, 20, v24
	v_lshl_add_u32 v9, v9, 23, 0x3c000000
	v_and_b32_e32 v10, 0x80000000, v10
	v_or3_b32 v10, v12, v10, v9
	v_mov_b32_e32 v25, v11
	v_mov_b32_e32 v24, v10
.LBB232_3152:                           ;   in Loop: Header=BB232_2076 Depth=1
	s_or_b32 exec_lo, exec_lo, s21
.LBB232_3153:                           ;   in Loop: Header=BB232_2076 Depth=1
	s_or_b32 exec_lo, exec_lo, s20
.LBB232_3154:                           ;   in Loop: Header=BB232_2076 Depth=1
	s_or_b32 exec_lo, exec_lo, s19
	s_mov_b32 s19, exec_lo
	v_cmpx_lt_u32_e32 0xffffff, v8
	s_cbranch_execz .LBB232_3162
; %bb.3155:                             ;   in Loop: Header=BB232_2076 Depth=1
	v_mov_b32_e32 v12, v11
	v_mov_b32_e32 v23, v13
	v_cmp_ne_u32_sdwa s8, v8, v74 src0_sel:BYTE_3 src1_sel:DWORD
	v_mov_b32_e32 v22, v12
	s_and_saveexec_b32 s20, s8
	s_cbranch_execz .LBB232_3161
; %bb.3156:                             ;   in Loop: Header=BB232_2076 Depth=1
	v_mov_b32_e32 v14, v11
	v_mov_b32_e32 v23, v15
	v_bfe_u32 v12, v8, 24, 7
	s_mov_b32 s21, exec_lo
	v_mov_b32_e32 v22, v14
	v_cmpx_ne_u32_e32 0x7f, v12
	s_cbranch_execz .LBB232_3160
; %bb.3157:                             ;   in Loop: Header=BB232_2076 Depth=1
	v_and_b32_sdwa v10, v8, v77 dst_sel:DWORD dst_unused:UNUSED_PAD src0_sel:BYTE_3 src1_sel:DWORD
	v_mov_b32_e32 v23, v11
	v_lshrrev_b32_e32 v9, 3, v12
	s_mov_b32 s22, exec_lo
	v_mov_b32_e32 v22, v10
	v_cmpx_gt_u32_e32 8, v12
; %bb.3158:                             ;   in Loop: Header=BB232_2076 Depth=1
	v_ffbh_u32_e32 v9, v10
	v_min_u32_e32 v9, 32, v9
	v_subrev_nc_u32_e32 v12, 28, v9
	v_sub_nc_u32_e32 v9, 29, v9
	v_lshlrev_b64 v[22:23], v12, v[10:11]
	v_and_b32_e32 v22, 7, v22
; %bb.3159:                             ;   in Loop: Header=BB232_2076 Depth=1
	s_or_b32 exec_lo, exec_lo, s22
	v_lshlrev_b32_sdwa v8, v78, v8 dst_sel:DWORD dst_unused:UNUSED_PAD src0_sel:DWORD src1_sel:BYTE_3
	v_lshlrev_b32_e32 v10, 20, v22
	v_lshl_add_u32 v9, v9, 23, 0x3c000000
	v_mov_b32_e32 v22, v11
	v_and_b32_e32 v8, 0x80000000, v8
	v_or3_b32 v23, v10, v8, v9
.LBB232_3160:                           ;   in Loop: Header=BB232_2076 Depth=1
	s_or_b32 exec_lo, exec_lo, s21
.LBB232_3161:                           ;   in Loop: Header=BB232_2076 Depth=1
	s_or_b32 exec_lo, exec_lo, s20
.LBB232_3162:                           ;   in Loop: Header=BB232_2076 Depth=1
	s_or_b32 exec_lo, exec_lo, s19
	v_or_b32_e32 v8, v21, v19
	v_or_b32_e32 v9, v20, v18
	;; [unrolled: 1-line block ×4, first 2 shown]
	v_mul_f32_e32 v8, v92, v8
	buffer_store_dword v8, off, s[0:3], s32 offset:1212 ; 4-byte Folded Spill
	v_mul_f32_e32 v8, v73, v9
	buffer_store_dword v8, off, s[0:3], s32 offset:1204 ; 4-byte Folded Spill
	;; [unrolled: 2-line block ×4, first 2 shown]
	s_and_saveexec_b32 s8, s6
	s_cbranch_execz .LBB232_3164
; %bb.3163:                             ;   in Loop: Header=BB232_2076 Depth=1
	buffer_load_dword v8, off, s[0:3], s32 offset:1204 ; 4-byte Folded Reload
	s_waitcnt vmcnt(0)
	v_cndmask_b32_e32 v8, 0, v8, vcc_lo
	buffer_store_dword v8, off, s[0:3], s32 offset:1204 ; 4-byte Folded Spill
	buffer_load_dword v8, off, s[0:3], s32 offset:1212 ; 4-byte Folded Reload
	s_waitcnt vmcnt(0)
	v_cndmask_b32_e64 v8, 0, v8, s4
	buffer_store_dword v8, off, s[0:3], s32 offset:1212 ; 4-byte Folded Spill
	buffer_load_dword v8, off, s[0:3], s32 offset:1196 ; 4-byte Folded Reload
	s_waitcnt vmcnt(0)
	v_cndmask_b32_e64 v8, 0, v8, s5
	;; [unrolled: 4-line block ×3, first 2 shown]
	buffer_store_dword v8, off, s[0:3], s32 offset:1188 ; 4-byte Folded Spill
.LBB232_3164:                           ;   in Loop: Header=BB232_2076 Depth=1
	s_or_b32 exec_lo, exec_lo, s8
	v_add_co_u32 v18, s8, 0x1000, v16
	v_add_co_ci_u32_e64 v19, null, 0, v17, s8
	v_mov_b32_e32 v22, 0
	v_mov_b32_e32 v20, 0
	;; [unrolled: 1-line block ×3, first 2 shown]
	flat_load_dword v8, v[18:19]
	v_mov_b32_e32 v21, 0
	s_waitcnt vmcnt(0) lgkmcnt(0)
	v_cmp_ne_u16_sdwa s8, v8, v11 src0_sel:BYTE_0 src1_sel:DWORD
	s_and_saveexec_b32 s19, s8
	s_cbranch_execz .LBB232_3172
; %bb.3165:                             ;   in Loop: Header=BB232_2076 Depth=1
	v_bfrev_b32_e32 v20, 1
	v_mov_b32_e32 v21, 0
	v_cmp_ne_u16_sdwa s8, v8, v74 src0_sel:BYTE_0 src1_sel:DWORD
	s_and_saveexec_b32 s20, s8
	s_cbranch_execz .LBB232_3171
; %bb.3166:                             ;   in Loop: Header=BB232_2076 Depth=1
	v_mov_b32_e32 v20, 0x7f800001
	v_and_b32_e32 v12, 0x7f, v8
	v_mov_b32_e32 v21, 0
	s_mov_b32 s21, exec_lo
	v_cmpx_ne_u32_e32 0x7f, v12
	s_cbranch_execz .LBB232_3170
; %bb.3167:                             ;   in Loop: Header=BB232_2076 Depth=1
	v_and_b32_e32 v10, 7, v8
	v_mov_b32_e32 v21, v11
	v_lshrrev_b32_e32 v9, 3, v12
	s_mov_b32 s22, exec_lo
	v_mov_b32_e32 v20, v10
	v_cmpx_gt_u32_e32 8, v12
; %bb.3168:                             ;   in Loop: Header=BB232_2076 Depth=1
	v_ffbh_u32_e32 v9, v10
	v_min_u32_e32 v9, 32, v9
	v_subrev_nc_u32_e32 v12, 28, v9
	v_sub_nc_u32_e32 v9, 29, v9
	v_lshlrev_b64 v[20:21], v12, v[10:11]
	v_and_b32_e32 v20, 7, v20
; %bb.3169:                             ;   in Loop: Header=BB232_2076 Depth=1
	s_or_b32 exec_lo, exec_lo, s22
	v_lshlrev_b32_e32 v10, 24, v8
	v_lshlrev_b32_e32 v12, 20, v20
	v_lshl_add_u32 v9, v9, 23, 0x3c000000
	v_and_b32_e32 v10, 0x80000000, v10
	v_or3_b32 v10, v12, v10, v9
	v_mov_b32_e32 v21, v11
	v_mov_b32_e32 v20, v10
.LBB232_3170:                           ;   in Loop: Header=BB232_2076 Depth=1
	s_or_b32 exec_lo, exec_lo, s21
.LBB232_3171:                           ;   in Loop: Header=BB232_2076 Depth=1
	s_or_b32 exec_lo, exec_lo, s20
.LBB232_3172:                           ;   in Loop: Header=BB232_2076 Depth=1
	s_or_b32 exec_lo, exec_lo, s19
	v_cmp_ne_u16_sdwa s8, v8, v11 src0_sel:BYTE_1 src1_sel:DWORD
	s_and_saveexec_b32 s19, s8
	s_cbranch_execz .LBB232_3180
; %bb.3173:                             ;   in Loop: Header=BB232_2076 Depth=1
	v_mov_b32_e32 v12, v11
	v_mov_b32_e32 v23, v13
	v_cmp_ne_u16_sdwa s8, v8, v74 src0_sel:BYTE_1 src1_sel:DWORD
	v_mov_b32_e32 v22, v12
	s_and_saveexec_b32 s20, s8
	s_cbranch_execz .LBB232_3179
; %bb.3174:                             ;   in Loop: Header=BB232_2076 Depth=1
	v_and_b32_sdwa v9, v75, v8 dst_sel:DWORD dst_unused:UNUSED_PAD src0_sel:DWORD src1_sel:BYTE_1
	v_mov_b32_e32 v14, v11
	v_mov_b32_e32 v23, v15
	s_mov_b32 s21, exec_lo
	v_and_b32_e32 v12, 0x7f, v9
	v_mov_b32_e32 v22, v14
	v_cmpx_ne_u32_e32 0x7f, v12
	s_cbranch_execz .LBB232_3178
; %bb.3175:                             ;   in Loop: Header=BB232_2076 Depth=1
	v_and_b32_e32 v10, 7, v9
	v_mov_b32_e32 v23, v11
	v_lshrrev_b32_e32 v9, 3, v12
	s_mov_b32 s22, exec_lo
	v_mov_b32_e32 v22, v10
	v_cmpx_gt_u32_e32 8, v12
; %bb.3176:                             ;   in Loop: Header=BB232_2076 Depth=1
	v_ffbh_u32_e32 v9, v10
	v_min_u32_e32 v9, 32, v9
	v_subrev_nc_u32_e32 v12, 28, v9
	v_sub_nc_u32_e32 v9, 29, v9
	v_lshlrev_b64 v[22:23], v12, v[10:11]
	v_and_b32_e32 v22, 7, v22
; %bb.3177:                             ;   in Loop: Header=BB232_2076 Depth=1
	s_or_b32 exec_lo, exec_lo, s22
	v_lshlrev_b32_e32 v10, 16, v8
	v_lshlrev_b32_e32 v12, 20, v22
	v_lshl_add_u32 v9, v9, 23, 0x3c000000
	v_mov_b32_e32 v22, v11
	v_and_b32_e32 v10, 0x80000000, v10
	v_or3_b32 v23, v12, v10, v9
.LBB232_3178:                           ;   in Loop: Header=BB232_2076 Depth=1
	s_or_b32 exec_lo, exec_lo, s21
.LBB232_3179:                           ;   in Loop: Header=BB232_2076 Depth=1
	s_or_b32 exec_lo, exec_lo, s20
.LBB232_3180:                           ;   in Loop: Header=BB232_2076 Depth=1
	s_or_b32 exec_lo, exec_lo, s19
	v_mov_b32_e32 v24, 0
	v_mov_b32_e32 v26, 0
	v_and_b32_sdwa v9, v8, v76 dst_sel:DWORD dst_unused:UNUSED_PAD src0_sel:WORD_1 src1_sel:DWORD
	v_mov_b32_e32 v25, 0
	v_mov_b32_e32 v27, 0
	s_mov_b32 s19, exec_lo
	v_cmpx_ne_u16_e32 0, v9
	s_cbranch_execz .LBB232_3188
; %bb.3181:                             ;   in Loop: Header=BB232_2076 Depth=1
	v_bfrev_b32_e32 v26, 1
	v_mov_b32_e32 v27, 0
	s_mov_b32 s20, exec_lo
	v_cmpx_ne_u16_e32 0x80, v9
	s_cbranch_execz .LBB232_3187
; %bb.3182:                             ;   in Loop: Header=BB232_2076 Depth=1
	v_mov_b32_e32 v26, 0x7f800001
	v_bfe_u32 v12, v8, 16, 7
	v_mov_b32_e32 v27, 0
	s_mov_b32 s21, exec_lo
	v_cmpx_ne_u32_e32 0x7f, v12
	s_cbranch_execz .LBB232_3186
; %bb.3183:                             ;   in Loop: Header=BB232_2076 Depth=1
	v_and_b32_sdwa v10, v8, v77 dst_sel:DWORD dst_unused:UNUSED_PAD src0_sel:WORD_1 src1_sel:DWORD
	v_mov_b32_e32 v27, v11
	v_lshrrev_b32_e32 v9, 3, v12
	s_mov_b32 s22, exec_lo
	v_mov_b32_e32 v26, v10
	v_cmpx_gt_u32_e32 8, v12
; %bb.3184:                             ;   in Loop: Header=BB232_2076 Depth=1
	v_ffbh_u32_e32 v9, v10
	v_min_u32_e32 v9, 32, v9
	v_subrev_nc_u32_e32 v12, 28, v9
	v_sub_nc_u32_e32 v9, 29, v9
	v_lshlrev_b64 v[26:27], v12, v[10:11]
	v_and_b32_e32 v26, 7, v26
; %bb.3185:                             ;   in Loop: Header=BB232_2076 Depth=1
	s_or_b32 exec_lo, exec_lo, s22
	v_lshlrev_b32_sdwa v10, v78, v8 dst_sel:DWORD dst_unused:UNUSED_PAD src0_sel:DWORD src1_sel:WORD_1
	v_lshlrev_b32_e32 v12, 20, v26
	v_lshl_add_u32 v9, v9, 23, 0x3c000000
	v_and_b32_e32 v10, 0x80000000, v10
	v_or3_b32 v10, v12, v10, v9
	v_mov_b32_e32 v27, v11
	v_mov_b32_e32 v26, v10
.LBB232_3186:                           ;   in Loop: Header=BB232_2076 Depth=1
	s_or_b32 exec_lo, exec_lo, s21
.LBB232_3187:                           ;   in Loop: Header=BB232_2076 Depth=1
	s_or_b32 exec_lo, exec_lo, s20
.LBB232_3188:                           ;   in Loop: Header=BB232_2076 Depth=1
	s_or_b32 exec_lo, exec_lo, s19
	s_mov_b32 s19, exec_lo
	v_cmpx_lt_u32_e32 0xffffff, v8
	s_cbranch_execz .LBB232_3196
; %bb.3189:                             ;   in Loop: Header=BB232_2076 Depth=1
	v_mov_b32_e32 v12, v11
	v_mov_b32_e32 v25, v13
	v_cmp_ne_u32_sdwa s8, v8, v74 src0_sel:BYTE_3 src1_sel:DWORD
	v_mov_b32_e32 v24, v12
	s_and_saveexec_b32 s20, s8
	s_cbranch_execz .LBB232_3195
; %bb.3190:                             ;   in Loop: Header=BB232_2076 Depth=1
	v_mov_b32_e32 v14, v11
	v_mov_b32_e32 v25, v15
	v_bfe_u32 v12, v8, 24, 7
	s_mov_b32 s21, exec_lo
	v_mov_b32_e32 v24, v14
	v_cmpx_ne_u32_e32 0x7f, v12
	s_cbranch_execz .LBB232_3194
; %bb.3191:                             ;   in Loop: Header=BB232_2076 Depth=1
	v_and_b32_sdwa v10, v8, v77 dst_sel:DWORD dst_unused:UNUSED_PAD src0_sel:BYTE_3 src1_sel:DWORD
	v_mov_b32_e32 v25, v11
	v_lshrrev_b32_e32 v9, 3, v12
	s_mov_b32 s22, exec_lo
	v_mov_b32_e32 v24, v10
	v_cmpx_gt_u32_e32 8, v12
; %bb.3192:                             ;   in Loop: Header=BB232_2076 Depth=1
	v_ffbh_u32_e32 v9, v10
	v_min_u32_e32 v9, 32, v9
	v_subrev_nc_u32_e32 v12, 28, v9
	v_sub_nc_u32_e32 v9, 29, v9
	v_lshlrev_b64 v[24:25], v12, v[10:11]
	v_and_b32_e32 v24, 7, v24
; %bb.3193:                             ;   in Loop: Header=BB232_2076 Depth=1
	s_or_b32 exec_lo, exec_lo, s22
	v_lshlrev_b32_sdwa v8, v78, v8 dst_sel:DWORD dst_unused:UNUSED_PAD src0_sel:DWORD src1_sel:BYTE_3
	v_lshlrev_b32_e32 v10, 20, v24
	v_lshl_add_u32 v9, v9, 23, 0x3c000000
	v_mov_b32_e32 v24, v11
	v_and_b32_e32 v8, 0x80000000, v8
	v_or3_b32 v25, v10, v8, v9
.LBB232_3194:                           ;   in Loop: Header=BB232_2076 Depth=1
	s_or_b32 exec_lo, exec_lo, s21
.LBB232_3195:                           ;   in Loop: Header=BB232_2076 Depth=1
	s_or_b32 exec_lo, exec_lo, s20
.LBB232_3196:                           ;   in Loop: Header=BB232_2076 Depth=1
	s_or_b32 exec_lo, exec_lo, s19
	v_or_b32_e32 v8, v23, v21
	v_or_b32_e32 v9, v22, v20
	;; [unrolled: 1-line block ×4, first 2 shown]
	v_mul_f32_e32 v8, v92, v8
	buffer_store_dword v8, off, s[0:3], s32 offset:1244 ; 4-byte Folded Spill
	v_mul_f32_e32 v8, v73, v9
	buffer_store_dword v8, off, s[0:3], s32 offset:1236 ; 4-byte Folded Spill
	;; [unrolled: 2-line block ×4, first 2 shown]
	s_and_saveexec_b32 s8, s6
	s_cbranch_execz .LBB232_3198
; %bb.3197:                             ;   in Loop: Header=BB232_2076 Depth=1
	buffer_load_dword v8, off, s[0:3], s32 offset:1236 ; 4-byte Folded Reload
	s_waitcnt vmcnt(0)
	v_cndmask_b32_e32 v8, 0, v8, vcc_lo
	buffer_store_dword v8, off, s[0:3], s32 offset:1236 ; 4-byte Folded Spill
	buffer_load_dword v8, off, s[0:3], s32 offset:1244 ; 4-byte Folded Reload
	s_waitcnt vmcnt(0)
	v_cndmask_b32_e64 v8, 0, v8, s4
	buffer_store_dword v8, off, s[0:3], s32 offset:1244 ; 4-byte Folded Spill
	buffer_load_dword v8, off, s[0:3], s32 offset:1228 ; 4-byte Folded Reload
	s_waitcnt vmcnt(0)
	v_cndmask_b32_e64 v8, 0, v8, s5
	;; [unrolled: 4-line block ×3, first 2 shown]
	buffer_store_dword v8, off, s[0:3], s32 offset:1220 ; 4-byte Folded Spill
.LBB232_3198:                           ;   in Loop: Header=BB232_2076 Depth=1
	s_or_b32 exec_lo, exec_lo, s8
	flat_load_dword v8, v[18:19] offset:128
	v_mov_b32_e32 v22, 0
	v_mov_b32_e32 v20, 0
	;; [unrolled: 1-line block ×4, first 2 shown]
	s_waitcnt vmcnt(0) lgkmcnt(0)
	v_cmp_ne_u16_sdwa s8, v8, v11 src0_sel:BYTE_0 src1_sel:DWORD
	s_and_saveexec_b32 s19, s8
	s_cbranch_execz .LBB232_3206
; %bb.3199:                             ;   in Loop: Header=BB232_2076 Depth=1
	v_bfrev_b32_e32 v20, 1
	v_mov_b32_e32 v21, 0
	v_cmp_ne_u16_sdwa s8, v8, v74 src0_sel:BYTE_0 src1_sel:DWORD
	s_and_saveexec_b32 s20, s8
	s_cbranch_execz .LBB232_3205
; %bb.3200:                             ;   in Loop: Header=BB232_2076 Depth=1
	v_mov_b32_e32 v20, 0x7f800001
	v_and_b32_e32 v12, 0x7f, v8
	v_mov_b32_e32 v21, 0
	s_mov_b32 s21, exec_lo
	v_cmpx_ne_u32_e32 0x7f, v12
	s_cbranch_execz .LBB232_3204
; %bb.3201:                             ;   in Loop: Header=BB232_2076 Depth=1
	v_and_b32_e32 v10, 7, v8
	v_mov_b32_e32 v21, v11
	v_lshrrev_b32_e32 v9, 3, v12
	s_mov_b32 s22, exec_lo
	v_mov_b32_e32 v20, v10
	v_cmpx_gt_u32_e32 8, v12
; %bb.3202:                             ;   in Loop: Header=BB232_2076 Depth=1
	v_ffbh_u32_e32 v9, v10
	v_min_u32_e32 v9, 32, v9
	v_subrev_nc_u32_e32 v12, 28, v9
	v_sub_nc_u32_e32 v9, 29, v9
	v_lshlrev_b64 v[20:21], v12, v[10:11]
	v_and_b32_e32 v20, 7, v20
; %bb.3203:                             ;   in Loop: Header=BB232_2076 Depth=1
	s_or_b32 exec_lo, exec_lo, s22
	v_lshlrev_b32_e32 v10, 24, v8
	v_lshlrev_b32_e32 v12, 20, v20
	v_lshl_add_u32 v9, v9, 23, 0x3c000000
	v_and_b32_e32 v10, 0x80000000, v10
	v_or3_b32 v10, v12, v10, v9
	v_mov_b32_e32 v21, v11
	v_mov_b32_e32 v20, v10
.LBB232_3204:                           ;   in Loop: Header=BB232_2076 Depth=1
	s_or_b32 exec_lo, exec_lo, s21
.LBB232_3205:                           ;   in Loop: Header=BB232_2076 Depth=1
	s_or_b32 exec_lo, exec_lo, s20
.LBB232_3206:                           ;   in Loop: Header=BB232_2076 Depth=1
	s_or_b32 exec_lo, exec_lo, s19
	v_cmp_ne_u16_sdwa s8, v8, v11 src0_sel:BYTE_1 src1_sel:DWORD
	s_and_saveexec_b32 s19, s8
	s_cbranch_execz .LBB232_3214
; %bb.3207:                             ;   in Loop: Header=BB232_2076 Depth=1
	v_mov_b32_e32 v12, v11
	v_mov_b32_e32 v23, v13
	v_cmp_ne_u16_sdwa s8, v8, v74 src0_sel:BYTE_1 src1_sel:DWORD
	v_mov_b32_e32 v22, v12
	s_and_saveexec_b32 s20, s8
	s_cbranch_execz .LBB232_3213
; %bb.3208:                             ;   in Loop: Header=BB232_2076 Depth=1
	v_and_b32_sdwa v9, v75, v8 dst_sel:DWORD dst_unused:UNUSED_PAD src0_sel:DWORD src1_sel:BYTE_1
	v_mov_b32_e32 v14, v11
	v_mov_b32_e32 v23, v15
	s_mov_b32 s21, exec_lo
	v_and_b32_e32 v12, 0x7f, v9
	v_mov_b32_e32 v22, v14
	v_cmpx_ne_u32_e32 0x7f, v12
	s_cbranch_execz .LBB232_3212
; %bb.3209:                             ;   in Loop: Header=BB232_2076 Depth=1
	v_and_b32_e32 v10, 7, v9
	v_mov_b32_e32 v23, v11
	v_lshrrev_b32_e32 v9, 3, v12
	s_mov_b32 s22, exec_lo
	v_mov_b32_e32 v22, v10
	v_cmpx_gt_u32_e32 8, v12
; %bb.3210:                             ;   in Loop: Header=BB232_2076 Depth=1
	v_ffbh_u32_e32 v9, v10
	v_min_u32_e32 v9, 32, v9
	v_subrev_nc_u32_e32 v12, 28, v9
	v_sub_nc_u32_e32 v9, 29, v9
	v_lshlrev_b64 v[22:23], v12, v[10:11]
	v_and_b32_e32 v22, 7, v22
; %bb.3211:                             ;   in Loop: Header=BB232_2076 Depth=1
	s_or_b32 exec_lo, exec_lo, s22
	v_lshlrev_b32_e32 v10, 16, v8
	v_lshlrev_b32_e32 v12, 20, v22
	v_lshl_add_u32 v9, v9, 23, 0x3c000000
	v_mov_b32_e32 v22, v11
	v_and_b32_e32 v10, 0x80000000, v10
	v_or3_b32 v23, v12, v10, v9
.LBB232_3212:                           ;   in Loop: Header=BB232_2076 Depth=1
	s_or_b32 exec_lo, exec_lo, s21
.LBB232_3213:                           ;   in Loop: Header=BB232_2076 Depth=1
	s_or_b32 exec_lo, exec_lo, s20
.LBB232_3214:                           ;   in Loop: Header=BB232_2076 Depth=1
	s_or_b32 exec_lo, exec_lo, s19
	v_mov_b32_e32 v24, 0
	v_mov_b32_e32 v26, 0
	v_and_b32_sdwa v9, v8, v76 dst_sel:DWORD dst_unused:UNUSED_PAD src0_sel:WORD_1 src1_sel:DWORD
	v_mov_b32_e32 v25, 0
	v_mov_b32_e32 v27, 0
	s_mov_b32 s19, exec_lo
	v_cmpx_ne_u16_e32 0, v9
	s_cbranch_execz .LBB232_3222
; %bb.3215:                             ;   in Loop: Header=BB232_2076 Depth=1
	v_bfrev_b32_e32 v26, 1
	v_mov_b32_e32 v27, 0
	s_mov_b32 s20, exec_lo
	v_cmpx_ne_u16_e32 0x80, v9
	s_cbranch_execz .LBB232_3221
; %bb.3216:                             ;   in Loop: Header=BB232_2076 Depth=1
	v_mov_b32_e32 v26, 0x7f800001
	v_bfe_u32 v12, v8, 16, 7
	v_mov_b32_e32 v27, 0
	s_mov_b32 s21, exec_lo
	v_cmpx_ne_u32_e32 0x7f, v12
	s_cbranch_execz .LBB232_3220
; %bb.3217:                             ;   in Loop: Header=BB232_2076 Depth=1
	v_and_b32_sdwa v10, v8, v77 dst_sel:DWORD dst_unused:UNUSED_PAD src0_sel:WORD_1 src1_sel:DWORD
	v_mov_b32_e32 v27, v11
	v_lshrrev_b32_e32 v9, 3, v12
	s_mov_b32 s22, exec_lo
	v_mov_b32_e32 v26, v10
	v_cmpx_gt_u32_e32 8, v12
; %bb.3218:                             ;   in Loop: Header=BB232_2076 Depth=1
	v_ffbh_u32_e32 v9, v10
	v_min_u32_e32 v9, 32, v9
	v_subrev_nc_u32_e32 v12, 28, v9
	v_sub_nc_u32_e32 v9, 29, v9
	v_lshlrev_b64 v[26:27], v12, v[10:11]
	v_and_b32_e32 v26, 7, v26
; %bb.3219:                             ;   in Loop: Header=BB232_2076 Depth=1
	s_or_b32 exec_lo, exec_lo, s22
	v_lshlrev_b32_sdwa v10, v78, v8 dst_sel:DWORD dst_unused:UNUSED_PAD src0_sel:DWORD src1_sel:WORD_1
	v_lshlrev_b32_e32 v12, 20, v26
	v_lshl_add_u32 v9, v9, 23, 0x3c000000
	v_and_b32_e32 v10, 0x80000000, v10
	v_or3_b32 v10, v12, v10, v9
	v_mov_b32_e32 v27, v11
	v_mov_b32_e32 v26, v10
.LBB232_3220:                           ;   in Loop: Header=BB232_2076 Depth=1
	s_or_b32 exec_lo, exec_lo, s21
.LBB232_3221:                           ;   in Loop: Header=BB232_2076 Depth=1
	s_or_b32 exec_lo, exec_lo, s20
.LBB232_3222:                           ;   in Loop: Header=BB232_2076 Depth=1
	s_or_b32 exec_lo, exec_lo, s19
	s_mov_b32 s19, exec_lo
	v_cmpx_lt_u32_e32 0xffffff, v8
	s_cbranch_execz .LBB232_3230
; %bb.3223:                             ;   in Loop: Header=BB232_2076 Depth=1
	v_mov_b32_e32 v12, v11
	v_mov_b32_e32 v25, v13
	v_cmp_ne_u32_sdwa s8, v8, v74 src0_sel:BYTE_3 src1_sel:DWORD
	v_mov_b32_e32 v24, v12
	s_and_saveexec_b32 s20, s8
	s_cbranch_execz .LBB232_3229
; %bb.3224:                             ;   in Loop: Header=BB232_2076 Depth=1
	v_mov_b32_e32 v14, v11
	v_mov_b32_e32 v25, v15
	v_bfe_u32 v12, v8, 24, 7
	s_mov_b32 s21, exec_lo
	v_mov_b32_e32 v24, v14
	v_cmpx_ne_u32_e32 0x7f, v12
	s_cbranch_execz .LBB232_3228
; %bb.3225:                             ;   in Loop: Header=BB232_2076 Depth=1
	v_and_b32_sdwa v10, v8, v77 dst_sel:DWORD dst_unused:UNUSED_PAD src0_sel:BYTE_3 src1_sel:DWORD
	v_mov_b32_e32 v25, v11
	v_lshrrev_b32_e32 v9, 3, v12
	s_mov_b32 s22, exec_lo
	v_mov_b32_e32 v24, v10
	v_cmpx_gt_u32_e32 8, v12
; %bb.3226:                             ;   in Loop: Header=BB232_2076 Depth=1
	v_ffbh_u32_e32 v9, v10
	v_min_u32_e32 v9, 32, v9
	v_subrev_nc_u32_e32 v12, 28, v9
	v_sub_nc_u32_e32 v9, 29, v9
	v_lshlrev_b64 v[24:25], v12, v[10:11]
	v_and_b32_e32 v24, 7, v24
; %bb.3227:                             ;   in Loop: Header=BB232_2076 Depth=1
	s_or_b32 exec_lo, exec_lo, s22
	v_lshlrev_b32_sdwa v8, v78, v8 dst_sel:DWORD dst_unused:UNUSED_PAD src0_sel:DWORD src1_sel:BYTE_3
	v_lshlrev_b32_e32 v10, 20, v24
	v_lshl_add_u32 v9, v9, 23, 0x3c000000
	v_mov_b32_e32 v24, v11
	v_and_b32_e32 v8, 0x80000000, v8
	v_or3_b32 v25, v10, v8, v9
.LBB232_3228:                           ;   in Loop: Header=BB232_2076 Depth=1
	s_or_b32 exec_lo, exec_lo, s21
.LBB232_3229:                           ;   in Loop: Header=BB232_2076 Depth=1
	s_or_b32 exec_lo, exec_lo, s20
.LBB232_3230:                           ;   in Loop: Header=BB232_2076 Depth=1
	s_or_b32 exec_lo, exec_lo, s19
	v_or_b32_e32 v8, v23, v21
	v_or_b32_e32 v9, v22, v20
	;; [unrolled: 1-line block ×4, first 2 shown]
	v_mul_f32_e32 v8, v92, v8
	buffer_store_dword v8, off, s[0:3], s32 offset:1276 ; 4-byte Folded Spill
	v_mul_f32_e32 v8, v73, v9
	buffer_store_dword v8, off, s[0:3], s32 offset:1268 ; 4-byte Folded Spill
	v_mul_f32_e32 v8, v73, v10
	buffer_store_dword v8, off, s[0:3], s32 offset:1260 ; 4-byte Folded Spill
	v_mul_f32_e32 v8, v92, v12
	buffer_store_dword v8, off, s[0:3], s32 offset:1252 ; 4-byte Folded Spill
	s_and_saveexec_b32 s8, s6
	s_cbranch_execz .LBB232_3232
; %bb.3231:                             ;   in Loop: Header=BB232_2076 Depth=1
	buffer_load_dword v8, off, s[0:3], s32 offset:1268 ; 4-byte Folded Reload
	s_waitcnt vmcnt(0)
	v_cndmask_b32_e32 v8, 0, v8, vcc_lo
	buffer_store_dword v8, off, s[0:3], s32 offset:1268 ; 4-byte Folded Spill
	buffer_load_dword v8, off, s[0:3], s32 offset:1276 ; 4-byte Folded Reload
	s_waitcnt vmcnt(0)
	v_cndmask_b32_e64 v8, 0, v8, s4
	buffer_store_dword v8, off, s[0:3], s32 offset:1276 ; 4-byte Folded Spill
	buffer_load_dword v8, off, s[0:3], s32 offset:1260 ; 4-byte Folded Reload
	s_waitcnt vmcnt(0)
	v_cndmask_b32_e64 v8, 0, v8, s5
	;; [unrolled: 4-line block ×3, first 2 shown]
	buffer_store_dword v8, off, s[0:3], s32 offset:1252 ; 4-byte Folded Spill
.LBB232_3232:                           ;   in Loop: Header=BB232_2076 Depth=1
	s_or_b32 exec_lo, exec_lo, s8
	flat_load_dword v8, v[18:19] offset:256
	v_mov_b32_e32 v22, 0
	v_mov_b32_e32 v20, 0
	;; [unrolled: 1-line block ×4, first 2 shown]
	s_waitcnt vmcnt(0) lgkmcnt(0)
	v_cmp_ne_u16_sdwa s8, v8, v11 src0_sel:BYTE_0 src1_sel:DWORD
	s_and_saveexec_b32 s19, s8
	s_cbranch_execz .LBB232_3240
; %bb.3233:                             ;   in Loop: Header=BB232_2076 Depth=1
	v_bfrev_b32_e32 v20, 1
	v_mov_b32_e32 v21, 0
	v_cmp_ne_u16_sdwa s8, v8, v74 src0_sel:BYTE_0 src1_sel:DWORD
	s_and_saveexec_b32 s20, s8
	s_cbranch_execz .LBB232_3239
; %bb.3234:                             ;   in Loop: Header=BB232_2076 Depth=1
	v_mov_b32_e32 v20, 0x7f800001
	v_and_b32_e32 v12, 0x7f, v8
	v_mov_b32_e32 v21, 0
	s_mov_b32 s21, exec_lo
	v_cmpx_ne_u32_e32 0x7f, v12
	s_cbranch_execz .LBB232_3238
; %bb.3235:                             ;   in Loop: Header=BB232_2076 Depth=1
	v_and_b32_e32 v10, 7, v8
	v_mov_b32_e32 v21, v11
	v_lshrrev_b32_e32 v9, 3, v12
	s_mov_b32 s22, exec_lo
	v_mov_b32_e32 v20, v10
	v_cmpx_gt_u32_e32 8, v12
; %bb.3236:                             ;   in Loop: Header=BB232_2076 Depth=1
	v_ffbh_u32_e32 v9, v10
	v_min_u32_e32 v9, 32, v9
	v_subrev_nc_u32_e32 v12, 28, v9
	v_sub_nc_u32_e32 v9, 29, v9
	v_lshlrev_b64 v[20:21], v12, v[10:11]
	v_and_b32_e32 v20, 7, v20
; %bb.3237:                             ;   in Loop: Header=BB232_2076 Depth=1
	s_or_b32 exec_lo, exec_lo, s22
	v_lshlrev_b32_e32 v10, 24, v8
	v_lshlrev_b32_e32 v12, 20, v20
	v_lshl_add_u32 v9, v9, 23, 0x3c000000
	v_and_b32_e32 v10, 0x80000000, v10
	v_or3_b32 v10, v12, v10, v9
	v_mov_b32_e32 v21, v11
	v_mov_b32_e32 v20, v10
.LBB232_3238:                           ;   in Loop: Header=BB232_2076 Depth=1
	s_or_b32 exec_lo, exec_lo, s21
.LBB232_3239:                           ;   in Loop: Header=BB232_2076 Depth=1
	s_or_b32 exec_lo, exec_lo, s20
.LBB232_3240:                           ;   in Loop: Header=BB232_2076 Depth=1
	s_or_b32 exec_lo, exec_lo, s19
	v_cmp_ne_u16_sdwa s8, v8, v11 src0_sel:BYTE_1 src1_sel:DWORD
	s_and_saveexec_b32 s19, s8
	s_cbranch_execz .LBB232_3248
; %bb.3241:                             ;   in Loop: Header=BB232_2076 Depth=1
	v_mov_b32_e32 v12, v11
	v_mov_b32_e32 v23, v13
	v_cmp_ne_u16_sdwa s8, v8, v74 src0_sel:BYTE_1 src1_sel:DWORD
	v_mov_b32_e32 v22, v12
	s_and_saveexec_b32 s20, s8
	s_cbranch_execz .LBB232_3247
; %bb.3242:                             ;   in Loop: Header=BB232_2076 Depth=1
	v_and_b32_sdwa v9, v75, v8 dst_sel:DWORD dst_unused:UNUSED_PAD src0_sel:DWORD src1_sel:BYTE_1
	v_mov_b32_e32 v14, v11
	v_mov_b32_e32 v23, v15
	s_mov_b32 s21, exec_lo
	v_and_b32_e32 v12, 0x7f, v9
	v_mov_b32_e32 v22, v14
	v_cmpx_ne_u32_e32 0x7f, v12
	s_cbranch_execz .LBB232_3246
; %bb.3243:                             ;   in Loop: Header=BB232_2076 Depth=1
	v_and_b32_e32 v10, 7, v9
	v_mov_b32_e32 v23, v11
	v_lshrrev_b32_e32 v9, 3, v12
	s_mov_b32 s22, exec_lo
	v_mov_b32_e32 v22, v10
	v_cmpx_gt_u32_e32 8, v12
; %bb.3244:                             ;   in Loop: Header=BB232_2076 Depth=1
	v_ffbh_u32_e32 v9, v10
	v_min_u32_e32 v9, 32, v9
	v_subrev_nc_u32_e32 v12, 28, v9
	v_sub_nc_u32_e32 v9, 29, v9
	v_lshlrev_b64 v[22:23], v12, v[10:11]
	v_and_b32_e32 v22, 7, v22
; %bb.3245:                             ;   in Loop: Header=BB232_2076 Depth=1
	s_or_b32 exec_lo, exec_lo, s22
	v_lshlrev_b32_e32 v10, 16, v8
	v_lshlrev_b32_e32 v12, 20, v22
	v_lshl_add_u32 v9, v9, 23, 0x3c000000
	v_mov_b32_e32 v22, v11
	v_and_b32_e32 v10, 0x80000000, v10
	v_or3_b32 v23, v12, v10, v9
.LBB232_3246:                           ;   in Loop: Header=BB232_2076 Depth=1
	s_or_b32 exec_lo, exec_lo, s21
.LBB232_3247:                           ;   in Loop: Header=BB232_2076 Depth=1
	s_or_b32 exec_lo, exec_lo, s20
.LBB232_3248:                           ;   in Loop: Header=BB232_2076 Depth=1
	s_or_b32 exec_lo, exec_lo, s19
	v_mov_b32_e32 v24, 0
	v_mov_b32_e32 v26, 0
	v_and_b32_sdwa v9, v8, v76 dst_sel:DWORD dst_unused:UNUSED_PAD src0_sel:WORD_1 src1_sel:DWORD
	v_mov_b32_e32 v25, 0
	v_mov_b32_e32 v27, 0
	s_mov_b32 s19, exec_lo
	v_cmpx_ne_u16_e32 0, v9
	s_cbranch_execz .LBB232_3256
; %bb.3249:                             ;   in Loop: Header=BB232_2076 Depth=1
	v_bfrev_b32_e32 v26, 1
	v_mov_b32_e32 v27, 0
	s_mov_b32 s20, exec_lo
	v_cmpx_ne_u16_e32 0x80, v9
	s_cbranch_execz .LBB232_3255
; %bb.3250:                             ;   in Loop: Header=BB232_2076 Depth=1
	v_mov_b32_e32 v26, 0x7f800001
	v_bfe_u32 v12, v8, 16, 7
	v_mov_b32_e32 v27, 0
	s_mov_b32 s21, exec_lo
	v_cmpx_ne_u32_e32 0x7f, v12
	s_cbranch_execz .LBB232_3254
; %bb.3251:                             ;   in Loop: Header=BB232_2076 Depth=1
	v_and_b32_sdwa v10, v8, v77 dst_sel:DWORD dst_unused:UNUSED_PAD src0_sel:WORD_1 src1_sel:DWORD
	v_mov_b32_e32 v27, v11
	v_lshrrev_b32_e32 v9, 3, v12
	s_mov_b32 s22, exec_lo
	v_mov_b32_e32 v26, v10
	v_cmpx_gt_u32_e32 8, v12
; %bb.3252:                             ;   in Loop: Header=BB232_2076 Depth=1
	v_ffbh_u32_e32 v9, v10
	v_min_u32_e32 v9, 32, v9
	v_subrev_nc_u32_e32 v12, 28, v9
	v_sub_nc_u32_e32 v9, 29, v9
	v_lshlrev_b64 v[26:27], v12, v[10:11]
	v_and_b32_e32 v26, 7, v26
; %bb.3253:                             ;   in Loop: Header=BB232_2076 Depth=1
	s_or_b32 exec_lo, exec_lo, s22
	v_lshlrev_b32_sdwa v10, v78, v8 dst_sel:DWORD dst_unused:UNUSED_PAD src0_sel:DWORD src1_sel:WORD_1
	v_lshlrev_b32_e32 v12, 20, v26
	v_lshl_add_u32 v9, v9, 23, 0x3c000000
	v_and_b32_e32 v10, 0x80000000, v10
	v_or3_b32 v10, v12, v10, v9
	v_mov_b32_e32 v27, v11
	v_mov_b32_e32 v26, v10
.LBB232_3254:                           ;   in Loop: Header=BB232_2076 Depth=1
	s_or_b32 exec_lo, exec_lo, s21
.LBB232_3255:                           ;   in Loop: Header=BB232_2076 Depth=1
	s_or_b32 exec_lo, exec_lo, s20
.LBB232_3256:                           ;   in Loop: Header=BB232_2076 Depth=1
	s_or_b32 exec_lo, exec_lo, s19
	s_mov_b32 s19, exec_lo
	v_cmpx_lt_u32_e32 0xffffff, v8
	s_cbranch_execz .LBB232_3264
; %bb.3257:                             ;   in Loop: Header=BB232_2076 Depth=1
	v_mov_b32_e32 v12, v11
	v_mov_b32_e32 v25, v13
	v_cmp_ne_u32_sdwa s8, v8, v74 src0_sel:BYTE_3 src1_sel:DWORD
	v_mov_b32_e32 v24, v12
	s_and_saveexec_b32 s20, s8
	s_cbranch_execz .LBB232_3263
; %bb.3258:                             ;   in Loop: Header=BB232_2076 Depth=1
	v_mov_b32_e32 v14, v11
	v_mov_b32_e32 v25, v15
	v_bfe_u32 v12, v8, 24, 7
	s_mov_b32 s21, exec_lo
	v_mov_b32_e32 v24, v14
	v_cmpx_ne_u32_e32 0x7f, v12
	s_cbranch_execz .LBB232_3262
; %bb.3259:                             ;   in Loop: Header=BB232_2076 Depth=1
	v_and_b32_sdwa v10, v8, v77 dst_sel:DWORD dst_unused:UNUSED_PAD src0_sel:BYTE_3 src1_sel:DWORD
	v_mov_b32_e32 v25, v11
	v_lshrrev_b32_e32 v9, 3, v12
	s_mov_b32 s22, exec_lo
	v_mov_b32_e32 v24, v10
	v_cmpx_gt_u32_e32 8, v12
; %bb.3260:                             ;   in Loop: Header=BB232_2076 Depth=1
	v_ffbh_u32_e32 v9, v10
	v_min_u32_e32 v9, 32, v9
	v_subrev_nc_u32_e32 v12, 28, v9
	v_sub_nc_u32_e32 v9, 29, v9
	v_lshlrev_b64 v[24:25], v12, v[10:11]
	v_and_b32_e32 v24, 7, v24
; %bb.3261:                             ;   in Loop: Header=BB232_2076 Depth=1
	s_or_b32 exec_lo, exec_lo, s22
	v_lshlrev_b32_sdwa v8, v78, v8 dst_sel:DWORD dst_unused:UNUSED_PAD src0_sel:DWORD src1_sel:BYTE_3
	v_lshlrev_b32_e32 v10, 20, v24
	v_lshl_add_u32 v9, v9, 23, 0x3c000000
	v_mov_b32_e32 v24, v11
	v_and_b32_e32 v8, 0x80000000, v8
	v_or3_b32 v25, v10, v8, v9
.LBB232_3262:                           ;   in Loop: Header=BB232_2076 Depth=1
	s_or_b32 exec_lo, exec_lo, s21
.LBB232_3263:                           ;   in Loop: Header=BB232_2076 Depth=1
	s_or_b32 exec_lo, exec_lo, s20
.LBB232_3264:                           ;   in Loop: Header=BB232_2076 Depth=1
	s_or_b32 exec_lo, exec_lo, s19
	v_or_b32_e32 v8, v23, v21
	v_or_b32_e32 v9, v22, v20
	v_or_b32_e32 v10, v24, v26
	v_or_b32_e32 v12, v25, v27
	v_mul_f32_e32 v8, v92, v8
	buffer_store_dword v8, off, s[0:3], s32 offset:1308 ; 4-byte Folded Spill
	v_mul_f32_e32 v8, v73, v9
	buffer_store_dword v8, off, s[0:3], s32 offset:1300 ; 4-byte Folded Spill
	;; [unrolled: 2-line block ×4, first 2 shown]
	s_and_saveexec_b32 s8, s6
	s_cbranch_execz .LBB232_3266
; %bb.3265:                             ;   in Loop: Header=BB232_2076 Depth=1
	buffer_load_dword v8, off, s[0:3], s32 offset:1300 ; 4-byte Folded Reload
	s_waitcnt vmcnt(0)
	v_cndmask_b32_e32 v8, 0, v8, vcc_lo
	buffer_store_dword v8, off, s[0:3], s32 offset:1300 ; 4-byte Folded Spill
	buffer_load_dword v8, off, s[0:3], s32 offset:1308 ; 4-byte Folded Reload
	s_waitcnt vmcnt(0)
	v_cndmask_b32_e64 v8, 0, v8, s4
	buffer_store_dword v8, off, s[0:3], s32 offset:1308 ; 4-byte Folded Spill
	buffer_load_dword v8, off, s[0:3], s32 offset:1292 ; 4-byte Folded Reload
	s_waitcnt vmcnt(0)
	v_cndmask_b32_e64 v8, 0, v8, s5
	;; [unrolled: 4-line block ×3, first 2 shown]
	buffer_store_dword v8, off, s[0:3], s32 offset:1284 ; 4-byte Folded Spill
.LBB232_3266:                           ;   in Loop: Header=BB232_2076 Depth=1
	s_or_b32 exec_lo, exec_lo, s8
	flat_load_dword v8, v[18:19] offset:384
	v_mov_b32_e32 v22, 0
	v_mov_b32_e32 v20, 0
	;; [unrolled: 1-line block ×4, first 2 shown]
	s_waitcnt vmcnt(0) lgkmcnt(0)
	v_cmp_ne_u16_sdwa s8, v8, v11 src0_sel:BYTE_0 src1_sel:DWORD
	s_and_saveexec_b32 s19, s8
	s_cbranch_execz .LBB232_3274
; %bb.3267:                             ;   in Loop: Header=BB232_2076 Depth=1
	v_bfrev_b32_e32 v20, 1
	v_mov_b32_e32 v21, 0
	v_cmp_ne_u16_sdwa s8, v8, v74 src0_sel:BYTE_0 src1_sel:DWORD
	s_and_saveexec_b32 s20, s8
	s_cbranch_execz .LBB232_3273
; %bb.3268:                             ;   in Loop: Header=BB232_2076 Depth=1
	v_mov_b32_e32 v20, 0x7f800001
	v_and_b32_e32 v12, 0x7f, v8
	v_mov_b32_e32 v21, 0
	s_mov_b32 s21, exec_lo
	v_cmpx_ne_u32_e32 0x7f, v12
	s_cbranch_execz .LBB232_3272
; %bb.3269:                             ;   in Loop: Header=BB232_2076 Depth=1
	v_and_b32_e32 v10, 7, v8
	v_mov_b32_e32 v21, v11
	v_lshrrev_b32_e32 v9, 3, v12
	s_mov_b32 s22, exec_lo
	v_mov_b32_e32 v20, v10
	v_cmpx_gt_u32_e32 8, v12
; %bb.3270:                             ;   in Loop: Header=BB232_2076 Depth=1
	v_ffbh_u32_e32 v9, v10
	v_min_u32_e32 v9, 32, v9
	v_subrev_nc_u32_e32 v12, 28, v9
	v_sub_nc_u32_e32 v9, 29, v9
	v_lshlrev_b64 v[20:21], v12, v[10:11]
	v_and_b32_e32 v20, 7, v20
; %bb.3271:                             ;   in Loop: Header=BB232_2076 Depth=1
	s_or_b32 exec_lo, exec_lo, s22
	v_lshlrev_b32_e32 v10, 24, v8
	v_lshlrev_b32_e32 v12, 20, v20
	v_lshl_add_u32 v9, v9, 23, 0x3c000000
	v_and_b32_e32 v10, 0x80000000, v10
	v_or3_b32 v10, v12, v10, v9
	v_mov_b32_e32 v21, v11
	v_mov_b32_e32 v20, v10
.LBB232_3272:                           ;   in Loop: Header=BB232_2076 Depth=1
	s_or_b32 exec_lo, exec_lo, s21
.LBB232_3273:                           ;   in Loop: Header=BB232_2076 Depth=1
	s_or_b32 exec_lo, exec_lo, s20
.LBB232_3274:                           ;   in Loop: Header=BB232_2076 Depth=1
	s_or_b32 exec_lo, exec_lo, s19
	v_cmp_ne_u16_sdwa s8, v8, v11 src0_sel:BYTE_1 src1_sel:DWORD
	s_and_saveexec_b32 s19, s8
	s_cbranch_execz .LBB232_3282
; %bb.3275:                             ;   in Loop: Header=BB232_2076 Depth=1
	v_mov_b32_e32 v12, v11
	v_mov_b32_e32 v23, v13
	v_cmp_ne_u16_sdwa s8, v8, v74 src0_sel:BYTE_1 src1_sel:DWORD
	v_mov_b32_e32 v22, v12
	s_and_saveexec_b32 s20, s8
	s_cbranch_execz .LBB232_3281
; %bb.3276:                             ;   in Loop: Header=BB232_2076 Depth=1
	v_and_b32_sdwa v9, v75, v8 dst_sel:DWORD dst_unused:UNUSED_PAD src0_sel:DWORD src1_sel:BYTE_1
	v_mov_b32_e32 v14, v11
	v_mov_b32_e32 v23, v15
	s_mov_b32 s21, exec_lo
	v_and_b32_e32 v12, 0x7f, v9
	v_mov_b32_e32 v22, v14
	v_cmpx_ne_u32_e32 0x7f, v12
	s_cbranch_execz .LBB232_3280
; %bb.3277:                             ;   in Loop: Header=BB232_2076 Depth=1
	v_and_b32_e32 v10, 7, v9
	v_mov_b32_e32 v23, v11
	v_lshrrev_b32_e32 v9, 3, v12
	s_mov_b32 s22, exec_lo
	v_mov_b32_e32 v22, v10
	v_cmpx_gt_u32_e32 8, v12
; %bb.3278:                             ;   in Loop: Header=BB232_2076 Depth=1
	v_ffbh_u32_e32 v9, v10
	v_min_u32_e32 v9, 32, v9
	v_subrev_nc_u32_e32 v12, 28, v9
	v_sub_nc_u32_e32 v9, 29, v9
	v_lshlrev_b64 v[22:23], v12, v[10:11]
	v_and_b32_e32 v22, 7, v22
; %bb.3279:                             ;   in Loop: Header=BB232_2076 Depth=1
	s_or_b32 exec_lo, exec_lo, s22
	v_lshlrev_b32_e32 v10, 16, v8
	v_lshlrev_b32_e32 v12, 20, v22
	v_lshl_add_u32 v9, v9, 23, 0x3c000000
	v_mov_b32_e32 v22, v11
	v_and_b32_e32 v10, 0x80000000, v10
	v_or3_b32 v23, v12, v10, v9
.LBB232_3280:                           ;   in Loop: Header=BB232_2076 Depth=1
	s_or_b32 exec_lo, exec_lo, s21
.LBB232_3281:                           ;   in Loop: Header=BB232_2076 Depth=1
	s_or_b32 exec_lo, exec_lo, s20
.LBB232_3282:                           ;   in Loop: Header=BB232_2076 Depth=1
	s_or_b32 exec_lo, exec_lo, s19
	v_mov_b32_e32 v24, 0
	v_mov_b32_e32 v26, 0
	v_and_b32_sdwa v9, v8, v76 dst_sel:DWORD dst_unused:UNUSED_PAD src0_sel:WORD_1 src1_sel:DWORD
	v_mov_b32_e32 v25, 0
	v_mov_b32_e32 v27, 0
	s_mov_b32 s19, exec_lo
	v_cmpx_ne_u16_e32 0, v9
	s_cbranch_execz .LBB232_3290
; %bb.3283:                             ;   in Loop: Header=BB232_2076 Depth=1
	v_bfrev_b32_e32 v26, 1
	v_mov_b32_e32 v27, 0
	s_mov_b32 s20, exec_lo
	v_cmpx_ne_u16_e32 0x80, v9
	s_cbranch_execz .LBB232_3289
; %bb.3284:                             ;   in Loop: Header=BB232_2076 Depth=1
	v_mov_b32_e32 v26, 0x7f800001
	v_bfe_u32 v12, v8, 16, 7
	v_mov_b32_e32 v27, 0
	s_mov_b32 s21, exec_lo
	v_cmpx_ne_u32_e32 0x7f, v12
	s_cbranch_execz .LBB232_3288
; %bb.3285:                             ;   in Loop: Header=BB232_2076 Depth=1
	v_and_b32_sdwa v10, v8, v77 dst_sel:DWORD dst_unused:UNUSED_PAD src0_sel:WORD_1 src1_sel:DWORD
	v_mov_b32_e32 v27, v11
	v_lshrrev_b32_e32 v9, 3, v12
	s_mov_b32 s22, exec_lo
	v_mov_b32_e32 v26, v10
	v_cmpx_gt_u32_e32 8, v12
; %bb.3286:                             ;   in Loop: Header=BB232_2076 Depth=1
	v_ffbh_u32_e32 v9, v10
	v_min_u32_e32 v9, 32, v9
	v_subrev_nc_u32_e32 v12, 28, v9
	v_sub_nc_u32_e32 v9, 29, v9
	v_lshlrev_b64 v[26:27], v12, v[10:11]
	v_and_b32_e32 v26, 7, v26
; %bb.3287:                             ;   in Loop: Header=BB232_2076 Depth=1
	s_or_b32 exec_lo, exec_lo, s22
	v_lshlrev_b32_sdwa v10, v78, v8 dst_sel:DWORD dst_unused:UNUSED_PAD src0_sel:DWORD src1_sel:WORD_1
	v_lshlrev_b32_e32 v12, 20, v26
	v_lshl_add_u32 v9, v9, 23, 0x3c000000
	v_and_b32_e32 v10, 0x80000000, v10
	v_or3_b32 v10, v12, v10, v9
	v_mov_b32_e32 v27, v11
	v_mov_b32_e32 v26, v10
.LBB232_3288:                           ;   in Loop: Header=BB232_2076 Depth=1
	s_or_b32 exec_lo, exec_lo, s21
.LBB232_3289:                           ;   in Loop: Header=BB232_2076 Depth=1
	s_or_b32 exec_lo, exec_lo, s20
.LBB232_3290:                           ;   in Loop: Header=BB232_2076 Depth=1
	s_or_b32 exec_lo, exec_lo, s19
	s_mov_b32 s19, exec_lo
	v_cmpx_lt_u32_e32 0xffffff, v8
	s_cbranch_execz .LBB232_3298
; %bb.3291:                             ;   in Loop: Header=BB232_2076 Depth=1
	v_mov_b32_e32 v12, v11
	v_mov_b32_e32 v25, v13
	v_cmp_ne_u32_sdwa s8, v8, v74 src0_sel:BYTE_3 src1_sel:DWORD
	v_mov_b32_e32 v24, v12
	s_and_saveexec_b32 s20, s8
	s_cbranch_execz .LBB232_3297
; %bb.3292:                             ;   in Loop: Header=BB232_2076 Depth=1
	v_mov_b32_e32 v14, v11
	v_mov_b32_e32 v25, v15
	v_bfe_u32 v12, v8, 24, 7
	s_mov_b32 s21, exec_lo
	v_mov_b32_e32 v24, v14
	v_cmpx_ne_u32_e32 0x7f, v12
	s_cbranch_execz .LBB232_3296
; %bb.3293:                             ;   in Loop: Header=BB232_2076 Depth=1
	v_and_b32_sdwa v10, v8, v77 dst_sel:DWORD dst_unused:UNUSED_PAD src0_sel:BYTE_3 src1_sel:DWORD
	v_mov_b32_e32 v25, v11
	v_lshrrev_b32_e32 v9, 3, v12
	s_mov_b32 s22, exec_lo
	v_mov_b32_e32 v24, v10
	v_cmpx_gt_u32_e32 8, v12
; %bb.3294:                             ;   in Loop: Header=BB232_2076 Depth=1
	v_ffbh_u32_e32 v9, v10
	v_min_u32_e32 v9, 32, v9
	v_subrev_nc_u32_e32 v12, 28, v9
	v_sub_nc_u32_e32 v9, 29, v9
	v_lshlrev_b64 v[24:25], v12, v[10:11]
	v_and_b32_e32 v24, 7, v24
; %bb.3295:                             ;   in Loop: Header=BB232_2076 Depth=1
	s_or_b32 exec_lo, exec_lo, s22
	v_lshlrev_b32_sdwa v8, v78, v8 dst_sel:DWORD dst_unused:UNUSED_PAD src0_sel:DWORD src1_sel:BYTE_3
	v_lshlrev_b32_e32 v10, 20, v24
	v_lshl_add_u32 v9, v9, 23, 0x3c000000
	v_mov_b32_e32 v24, v11
	v_and_b32_e32 v8, 0x80000000, v8
	v_or3_b32 v25, v10, v8, v9
.LBB232_3296:                           ;   in Loop: Header=BB232_2076 Depth=1
	s_or_b32 exec_lo, exec_lo, s21
.LBB232_3297:                           ;   in Loop: Header=BB232_2076 Depth=1
	s_or_b32 exec_lo, exec_lo, s20
.LBB232_3298:                           ;   in Loop: Header=BB232_2076 Depth=1
	s_or_b32 exec_lo, exec_lo, s19
	v_or_b32_e32 v8, v23, v21
	v_or_b32_e32 v9, v22, v20
	;; [unrolled: 1-line block ×4, first 2 shown]
	v_mul_f32_e32 v8, v92, v8
	buffer_store_dword v8, off, s[0:3], s32 offset:1340 ; 4-byte Folded Spill
	v_mul_f32_e32 v8, v73, v9
	buffer_store_dword v8, off, s[0:3], s32 offset:1332 ; 4-byte Folded Spill
	;; [unrolled: 2-line block ×4, first 2 shown]
	s_and_saveexec_b32 s8, s6
	s_cbranch_execz .LBB232_3300
; %bb.3299:                             ;   in Loop: Header=BB232_2076 Depth=1
	buffer_load_dword v8, off, s[0:3], s32 offset:1332 ; 4-byte Folded Reload
	s_waitcnt vmcnt(0)
	v_cndmask_b32_e32 v8, 0, v8, vcc_lo
	buffer_store_dword v8, off, s[0:3], s32 offset:1332 ; 4-byte Folded Spill
	buffer_load_dword v8, off, s[0:3], s32 offset:1340 ; 4-byte Folded Reload
	s_waitcnt vmcnt(0)
	v_cndmask_b32_e64 v8, 0, v8, s4
	buffer_store_dword v8, off, s[0:3], s32 offset:1340 ; 4-byte Folded Spill
	buffer_load_dword v8, off, s[0:3], s32 offset:1324 ; 4-byte Folded Reload
	s_waitcnt vmcnt(0)
	v_cndmask_b32_e64 v8, 0, v8, s5
	buffer_store_dword v8, off, s[0:3], s32 offset:1324 ; 4-byte Folded Spill
	buffer_load_dword v8, off, s[0:3], s32 offset:1316 ; 4-byte Folded Reload
	s_waitcnt vmcnt(0)
	v_cndmask_b32_e64 v8, 0, v8, s7
	buffer_store_dword v8, off, s[0:3], s32 offset:1316 ; 4-byte Folded Spill
.LBB232_3300:                           ;   in Loop: Header=BB232_2076 Depth=1
	s_or_b32 exec_lo, exec_lo, s8
	flat_load_dword v8, v[18:19] offset:512
	v_mov_b32_e32 v22, 0
	v_mov_b32_e32 v20, 0
	;; [unrolled: 1-line block ×4, first 2 shown]
	s_waitcnt vmcnt(0) lgkmcnt(0)
	v_cmp_ne_u16_sdwa s8, v8, v11 src0_sel:BYTE_0 src1_sel:DWORD
	s_and_saveexec_b32 s19, s8
	s_cbranch_execz .LBB232_3308
; %bb.3301:                             ;   in Loop: Header=BB232_2076 Depth=1
	v_bfrev_b32_e32 v20, 1
	v_mov_b32_e32 v21, 0
	v_cmp_ne_u16_sdwa s8, v8, v74 src0_sel:BYTE_0 src1_sel:DWORD
	s_and_saveexec_b32 s20, s8
	s_cbranch_execz .LBB232_3307
; %bb.3302:                             ;   in Loop: Header=BB232_2076 Depth=1
	v_mov_b32_e32 v20, 0x7f800001
	v_and_b32_e32 v12, 0x7f, v8
	v_mov_b32_e32 v21, 0
	s_mov_b32 s21, exec_lo
	v_cmpx_ne_u32_e32 0x7f, v12
	s_cbranch_execz .LBB232_3306
; %bb.3303:                             ;   in Loop: Header=BB232_2076 Depth=1
	v_and_b32_e32 v10, 7, v8
	v_mov_b32_e32 v21, v11
	v_lshrrev_b32_e32 v9, 3, v12
	s_mov_b32 s22, exec_lo
	v_mov_b32_e32 v20, v10
	v_cmpx_gt_u32_e32 8, v12
; %bb.3304:                             ;   in Loop: Header=BB232_2076 Depth=1
	v_ffbh_u32_e32 v9, v10
	v_min_u32_e32 v9, 32, v9
	v_subrev_nc_u32_e32 v12, 28, v9
	v_sub_nc_u32_e32 v9, 29, v9
	v_lshlrev_b64 v[20:21], v12, v[10:11]
	v_and_b32_e32 v20, 7, v20
; %bb.3305:                             ;   in Loop: Header=BB232_2076 Depth=1
	s_or_b32 exec_lo, exec_lo, s22
	v_lshlrev_b32_e32 v10, 24, v8
	v_lshlrev_b32_e32 v12, 20, v20
	v_lshl_add_u32 v9, v9, 23, 0x3c000000
	v_and_b32_e32 v10, 0x80000000, v10
	v_or3_b32 v10, v12, v10, v9
	v_mov_b32_e32 v21, v11
	v_mov_b32_e32 v20, v10
.LBB232_3306:                           ;   in Loop: Header=BB232_2076 Depth=1
	s_or_b32 exec_lo, exec_lo, s21
.LBB232_3307:                           ;   in Loop: Header=BB232_2076 Depth=1
	s_or_b32 exec_lo, exec_lo, s20
.LBB232_3308:                           ;   in Loop: Header=BB232_2076 Depth=1
	s_or_b32 exec_lo, exec_lo, s19
	v_cmp_ne_u16_sdwa s8, v8, v11 src0_sel:BYTE_1 src1_sel:DWORD
	s_and_saveexec_b32 s19, s8
	s_cbranch_execz .LBB232_3316
; %bb.3309:                             ;   in Loop: Header=BB232_2076 Depth=1
	v_mov_b32_e32 v12, v11
	v_mov_b32_e32 v23, v13
	v_cmp_ne_u16_sdwa s8, v8, v74 src0_sel:BYTE_1 src1_sel:DWORD
	v_mov_b32_e32 v22, v12
	s_and_saveexec_b32 s20, s8
	s_cbranch_execz .LBB232_3315
; %bb.3310:                             ;   in Loop: Header=BB232_2076 Depth=1
	v_and_b32_sdwa v9, v75, v8 dst_sel:DWORD dst_unused:UNUSED_PAD src0_sel:DWORD src1_sel:BYTE_1
	v_mov_b32_e32 v14, v11
	v_mov_b32_e32 v23, v15
	s_mov_b32 s21, exec_lo
	v_and_b32_e32 v12, 0x7f, v9
	v_mov_b32_e32 v22, v14
	v_cmpx_ne_u32_e32 0x7f, v12
	s_cbranch_execz .LBB232_3314
; %bb.3311:                             ;   in Loop: Header=BB232_2076 Depth=1
	v_and_b32_e32 v10, 7, v9
	v_mov_b32_e32 v23, v11
	v_lshrrev_b32_e32 v9, 3, v12
	s_mov_b32 s22, exec_lo
	v_mov_b32_e32 v22, v10
	v_cmpx_gt_u32_e32 8, v12
; %bb.3312:                             ;   in Loop: Header=BB232_2076 Depth=1
	v_ffbh_u32_e32 v9, v10
	v_min_u32_e32 v9, 32, v9
	v_subrev_nc_u32_e32 v12, 28, v9
	v_sub_nc_u32_e32 v9, 29, v9
	v_lshlrev_b64 v[22:23], v12, v[10:11]
	v_and_b32_e32 v22, 7, v22
; %bb.3313:                             ;   in Loop: Header=BB232_2076 Depth=1
	s_or_b32 exec_lo, exec_lo, s22
	v_lshlrev_b32_e32 v10, 16, v8
	v_lshlrev_b32_e32 v12, 20, v22
	v_lshl_add_u32 v9, v9, 23, 0x3c000000
	v_mov_b32_e32 v22, v11
	v_and_b32_e32 v10, 0x80000000, v10
	v_or3_b32 v23, v12, v10, v9
.LBB232_3314:                           ;   in Loop: Header=BB232_2076 Depth=1
	s_or_b32 exec_lo, exec_lo, s21
.LBB232_3315:                           ;   in Loop: Header=BB232_2076 Depth=1
	s_or_b32 exec_lo, exec_lo, s20
.LBB232_3316:                           ;   in Loop: Header=BB232_2076 Depth=1
	s_or_b32 exec_lo, exec_lo, s19
	v_mov_b32_e32 v24, 0
	v_mov_b32_e32 v26, 0
	v_and_b32_sdwa v9, v8, v76 dst_sel:DWORD dst_unused:UNUSED_PAD src0_sel:WORD_1 src1_sel:DWORD
	v_mov_b32_e32 v25, 0
	v_mov_b32_e32 v27, 0
	s_mov_b32 s19, exec_lo
	v_cmpx_ne_u16_e32 0, v9
	s_cbranch_execz .LBB232_3324
; %bb.3317:                             ;   in Loop: Header=BB232_2076 Depth=1
	v_bfrev_b32_e32 v26, 1
	v_mov_b32_e32 v27, 0
	s_mov_b32 s20, exec_lo
	v_cmpx_ne_u16_e32 0x80, v9
	s_cbranch_execz .LBB232_3323
; %bb.3318:                             ;   in Loop: Header=BB232_2076 Depth=1
	v_mov_b32_e32 v26, 0x7f800001
	v_bfe_u32 v12, v8, 16, 7
	v_mov_b32_e32 v27, 0
	s_mov_b32 s21, exec_lo
	v_cmpx_ne_u32_e32 0x7f, v12
	s_cbranch_execz .LBB232_3322
; %bb.3319:                             ;   in Loop: Header=BB232_2076 Depth=1
	v_and_b32_sdwa v10, v8, v77 dst_sel:DWORD dst_unused:UNUSED_PAD src0_sel:WORD_1 src1_sel:DWORD
	v_mov_b32_e32 v27, v11
	v_lshrrev_b32_e32 v9, 3, v12
	s_mov_b32 s22, exec_lo
	v_mov_b32_e32 v26, v10
	v_cmpx_gt_u32_e32 8, v12
; %bb.3320:                             ;   in Loop: Header=BB232_2076 Depth=1
	v_ffbh_u32_e32 v9, v10
	v_min_u32_e32 v9, 32, v9
	v_subrev_nc_u32_e32 v12, 28, v9
	v_sub_nc_u32_e32 v9, 29, v9
	v_lshlrev_b64 v[26:27], v12, v[10:11]
	v_and_b32_e32 v26, 7, v26
; %bb.3321:                             ;   in Loop: Header=BB232_2076 Depth=1
	s_or_b32 exec_lo, exec_lo, s22
	v_lshlrev_b32_sdwa v10, v78, v8 dst_sel:DWORD dst_unused:UNUSED_PAD src0_sel:DWORD src1_sel:WORD_1
	v_lshlrev_b32_e32 v12, 20, v26
	v_lshl_add_u32 v9, v9, 23, 0x3c000000
	v_and_b32_e32 v10, 0x80000000, v10
	v_or3_b32 v10, v12, v10, v9
	v_mov_b32_e32 v27, v11
	v_mov_b32_e32 v26, v10
.LBB232_3322:                           ;   in Loop: Header=BB232_2076 Depth=1
	s_or_b32 exec_lo, exec_lo, s21
.LBB232_3323:                           ;   in Loop: Header=BB232_2076 Depth=1
	s_or_b32 exec_lo, exec_lo, s20
.LBB232_3324:                           ;   in Loop: Header=BB232_2076 Depth=1
	s_or_b32 exec_lo, exec_lo, s19
	s_mov_b32 s19, exec_lo
	v_cmpx_lt_u32_e32 0xffffff, v8
	s_cbranch_execz .LBB232_3332
; %bb.3325:                             ;   in Loop: Header=BB232_2076 Depth=1
	v_mov_b32_e32 v12, v11
	v_mov_b32_e32 v25, v13
	v_cmp_ne_u32_sdwa s8, v8, v74 src0_sel:BYTE_3 src1_sel:DWORD
	v_mov_b32_e32 v24, v12
	s_and_saveexec_b32 s20, s8
	s_cbranch_execz .LBB232_3331
; %bb.3326:                             ;   in Loop: Header=BB232_2076 Depth=1
	v_mov_b32_e32 v14, v11
	v_mov_b32_e32 v25, v15
	v_bfe_u32 v12, v8, 24, 7
	s_mov_b32 s21, exec_lo
	v_mov_b32_e32 v24, v14
	v_cmpx_ne_u32_e32 0x7f, v12
	s_cbranch_execz .LBB232_3330
; %bb.3327:                             ;   in Loop: Header=BB232_2076 Depth=1
	v_and_b32_sdwa v10, v8, v77 dst_sel:DWORD dst_unused:UNUSED_PAD src0_sel:BYTE_3 src1_sel:DWORD
	v_mov_b32_e32 v25, v11
	v_lshrrev_b32_e32 v9, 3, v12
	s_mov_b32 s22, exec_lo
	v_mov_b32_e32 v24, v10
	v_cmpx_gt_u32_e32 8, v12
; %bb.3328:                             ;   in Loop: Header=BB232_2076 Depth=1
	v_ffbh_u32_e32 v9, v10
	v_min_u32_e32 v9, 32, v9
	v_subrev_nc_u32_e32 v12, 28, v9
	v_sub_nc_u32_e32 v9, 29, v9
	v_lshlrev_b64 v[24:25], v12, v[10:11]
	v_and_b32_e32 v24, 7, v24
; %bb.3329:                             ;   in Loop: Header=BB232_2076 Depth=1
	s_or_b32 exec_lo, exec_lo, s22
	v_lshlrev_b32_sdwa v8, v78, v8 dst_sel:DWORD dst_unused:UNUSED_PAD src0_sel:DWORD src1_sel:BYTE_3
	v_lshlrev_b32_e32 v10, 20, v24
	v_lshl_add_u32 v9, v9, 23, 0x3c000000
	v_mov_b32_e32 v24, v11
	v_and_b32_e32 v8, 0x80000000, v8
	v_or3_b32 v25, v10, v8, v9
.LBB232_3330:                           ;   in Loop: Header=BB232_2076 Depth=1
	s_or_b32 exec_lo, exec_lo, s21
.LBB232_3331:                           ;   in Loop: Header=BB232_2076 Depth=1
	s_or_b32 exec_lo, exec_lo, s20
.LBB232_3332:                           ;   in Loop: Header=BB232_2076 Depth=1
	s_or_b32 exec_lo, exec_lo, s19
	v_or_b32_e32 v8, v23, v21
	v_or_b32_e32 v9, v22, v20
	;; [unrolled: 1-line block ×4, first 2 shown]
	v_mul_f32_e32 v8, v92, v8
	buffer_store_dword v8, off, s[0:3], s32 offset:1372 ; 4-byte Folded Spill
	v_mul_f32_e32 v8, v73, v9
	buffer_store_dword v8, off, s[0:3], s32 offset:1364 ; 4-byte Folded Spill
	;; [unrolled: 2-line block ×4, first 2 shown]
	s_and_saveexec_b32 s8, s6
	s_cbranch_execz .LBB232_3334
; %bb.3333:                             ;   in Loop: Header=BB232_2076 Depth=1
	buffer_load_dword v8, off, s[0:3], s32 offset:1364 ; 4-byte Folded Reload
	s_waitcnt vmcnt(0)
	v_cndmask_b32_e32 v8, 0, v8, vcc_lo
	buffer_store_dword v8, off, s[0:3], s32 offset:1364 ; 4-byte Folded Spill
	buffer_load_dword v8, off, s[0:3], s32 offset:1372 ; 4-byte Folded Reload
	s_waitcnt vmcnt(0)
	v_cndmask_b32_e64 v8, 0, v8, s4
	buffer_store_dword v8, off, s[0:3], s32 offset:1372 ; 4-byte Folded Spill
	buffer_load_dword v8, off, s[0:3], s32 offset:1356 ; 4-byte Folded Reload
	s_waitcnt vmcnt(0)
	v_cndmask_b32_e64 v8, 0, v8, s5
	;; [unrolled: 4-line block ×3, first 2 shown]
	buffer_store_dword v8, off, s[0:3], s32 offset:1348 ; 4-byte Folded Spill
.LBB232_3334:                           ;   in Loop: Header=BB232_2076 Depth=1
	s_or_b32 exec_lo, exec_lo, s8
	flat_load_dword v8, v[18:19] offset:640
	v_mov_b32_e32 v22, 0
	v_mov_b32_e32 v20, 0
	;; [unrolled: 1-line block ×4, first 2 shown]
	s_waitcnt vmcnt(0) lgkmcnt(0)
	v_cmp_ne_u16_sdwa s8, v8, v11 src0_sel:BYTE_0 src1_sel:DWORD
	s_and_saveexec_b32 s19, s8
	s_cbranch_execz .LBB232_3342
; %bb.3335:                             ;   in Loop: Header=BB232_2076 Depth=1
	v_bfrev_b32_e32 v20, 1
	v_mov_b32_e32 v21, 0
	v_cmp_ne_u16_sdwa s8, v8, v74 src0_sel:BYTE_0 src1_sel:DWORD
	s_and_saveexec_b32 s20, s8
	s_cbranch_execz .LBB232_3341
; %bb.3336:                             ;   in Loop: Header=BB232_2076 Depth=1
	v_mov_b32_e32 v20, 0x7f800001
	v_and_b32_e32 v12, 0x7f, v8
	v_mov_b32_e32 v21, 0
	s_mov_b32 s21, exec_lo
	v_cmpx_ne_u32_e32 0x7f, v12
	s_cbranch_execz .LBB232_3340
; %bb.3337:                             ;   in Loop: Header=BB232_2076 Depth=1
	v_and_b32_e32 v10, 7, v8
	v_mov_b32_e32 v21, v11
	v_lshrrev_b32_e32 v9, 3, v12
	s_mov_b32 s22, exec_lo
	v_mov_b32_e32 v20, v10
	v_cmpx_gt_u32_e32 8, v12
; %bb.3338:                             ;   in Loop: Header=BB232_2076 Depth=1
	v_ffbh_u32_e32 v9, v10
	v_min_u32_e32 v9, 32, v9
	v_subrev_nc_u32_e32 v12, 28, v9
	v_sub_nc_u32_e32 v9, 29, v9
	v_lshlrev_b64 v[20:21], v12, v[10:11]
	v_and_b32_e32 v20, 7, v20
; %bb.3339:                             ;   in Loop: Header=BB232_2076 Depth=1
	s_or_b32 exec_lo, exec_lo, s22
	v_lshlrev_b32_e32 v10, 24, v8
	v_lshlrev_b32_e32 v12, 20, v20
	v_lshl_add_u32 v9, v9, 23, 0x3c000000
	v_and_b32_e32 v10, 0x80000000, v10
	v_or3_b32 v10, v12, v10, v9
	v_mov_b32_e32 v21, v11
	v_mov_b32_e32 v20, v10
.LBB232_3340:                           ;   in Loop: Header=BB232_2076 Depth=1
	s_or_b32 exec_lo, exec_lo, s21
.LBB232_3341:                           ;   in Loop: Header=BB232_2076 Depth=1
	s_or_b32 exec_lo, exec_lo, s20
.LBB232_3342:                           ;   in Loop: Header=BB232_2076 Depth=1
	s_or_b32 exec_lo, exec_lo, s19
	v_cmp_ne_u16_sdwa s8, v8, v11 src0_sel:BYTE_1 src1_sel:DWORD
	s_and_saveexec_b32 s19, s8
	s_cbranch_execz .LBB232_3350
; %bb.3343:                             ;   in Loop: Header=BB232_2076 Depth=1
	v_mov_b32_e32 v12, v11
	v_mov_b32_e32 v23, v13
	v_cmp_ne_u16_sdwa s8, v8, v74 src0_sel:BYTE_1 src1_sel:DWORD
	v_mov_b32_e32 v22, v12
	s_and_saveexec_b32 s20, s8
	s_cbranch_execz .LBB232_3349
; %bb.3344:                             ;   in Loop: Header=BB232_2076 Depth=1
	v_and_b32_sdwa v9, v75, v8 dst_sel:DWORD dst_unused:UNUSED_PAD src0_sel:DWORD src1_sel:BYTE_1
	v_mov_b32_e32 v14, v11
	v_mov_b32_e32 v23, v15
	s_mov_b32 s21, exec_lo
	v_and_b32_e32 v12, 0x7f, v9
	v_mov_b32_e32 v22, v14
	v_cmpx_ne_u32_e32 0x7f, v12
	s_cbranch_execz .LBB232_3348
; %bb.3345:                             ;   in Loop: Header=BB232_2076 Depth=1
	v_and_b32_e32 v10, 7, v9
	v_mov_b32_e32 v23, v11
	v_lshrrev_b32_e32 v9, 3, v12
	s_mov_b32 s22, exec_lo
	v_mov_b32_e32 v22, v10
	v_cmpx_gt_u32_e32 8, v12
; %bb.3346:                             ;   in Loop: Header=BB232_2076 Depth=1
	v_ffbh_u32_e32 v9, v10
	v_min_u32_e32 v9, 32, v9
	v_subrev_nc_u32_e32 v12, 28, v9
	v_sub_nc_u32_e32 v9, 29, v9
	v_lshlrev_b64 v[22:23], v12, v[10:11]
	v_and_b32_e32 v22, 7, v22
; %bb.3347:                             ;   in Loop: Header=BB232_2076 Depth=1
	s_or_b32 exec_lo, exec_lo, s22
	v_lshlrev_b32_e32 v10, 16, v8
	v_lshlrev_b32_e32 v12, 20, v22
	v_lshl_add_u32 v9, v9, 23, 0x3c000000
	v_mov_b32_e32 v22, v11
	v_and_b32_e32 v10, 0x80000000, v10
	v_or3_b32 v23, v12, v10, v9
.LBB232_3348:                           ;   in Loop: Header=BB232_2076 Depth=1
	s_or_b32 exec_lo, exec_lo, s21
.LBB232_3349:                           ;   in Loop: Header=BB232_2076 Depth=1
	s_or_b32 exec_lo, exec_lo, s20
.LBB232_3350:                           ;   in Loop: Header=BB232_2076 Depth=1
	s_or_b32 exec_lo, exec_lo, s19
	v_mov_b32_e32 v24, 0
	v_mov_b32_e32 v26, 0
	v_and_b32_sdwa v9, v8, v76 dst_sel:DWORD dst_unused:UNUSED_PAD src0_sel:WORD_1 src1_sel:DWORD
	v_mov_b32_e32 v25, 0
	v_mov_b32_e32 v27, 0
	s_mov_b32 s19, exec_lo
	v_cmpx_ne_u16_e32 0, v9
	s_cbranch_execz .LBB232_3358
; %bb.3351:                             ;   in Loop: Header=BB232_2076 Depth=1
	v_bfrev_b32_e32 v26, 1
	v_mov_b32_e32 v27, 0
	s_mov_b32 s20, exec_lo
	v_cmpx_ne_u16_e32 0x80, v9
	s_cbranch_execz .LBB232_3357
; %bb.3352:                             ;   in Loop: Header=BB232_2076 Depth=1
	v_mov_b32_e32 v26, 0x7f800001
	v_bfe_u32 v12, v8, 16, 7
	v_mov_b32_e32 v27, 0
	s_mov_b32 s21, exec_lo
	v_cmpx_ne_u32_e32 0x7f, v12
	s_cbranch_execz .LBB232_3356
; %bb.3353:                             ;   in Loop: Header=BB232_2076 Depth=1
	v_and_b32_sdwa v10, v8, v77 dst_sel:DWORD dst_unused:UNUSED_PAD src0_sel:WORD_1 src1_sel:DWORD
	v_mov_b32_e32 v27, v11
	v_lshrrev_b32_e32 v9, 3, v12
	s_mov_b32 s22, exec_lo
	v_mov_b32_e32 v26, v10
	v_cmpx_gt_u32_e32 8, v12
; %bb.3354:                             ;   in Loop: Header=BB232_2076 Depth=1
	v_ffbh_u32_e32 v9, v10
	v_min_u32_e32 v9, 32, v9
	v_subrev_nc_u32_e32 v12, 28, v9
	v_sub_nc_u32_e32 v9, 29, v9
	v_lshlrev_b64 v[26:27], v12, v[10:11]
	v_and_b32_e32 v26, 7, v26
; %bb.3355:                             ;   in Loop: Header=BB232_2076 Depth=1
	s_or_b32 exec_lo, exec_lo, s22
	v_lshlrev_b32_sdwa v10, v78, v8 dst_sel:DWORD dst_unused:UNUSED_PAD src0_sel:DWORD src1_sel:WORD_1
	v_lshlrev_b32_e32 v12, 20, v26
	v_lshl_add_u32 v9, v9, 23, 0x3c000000
	v_and_b32_e32 v10, 0x80000000, v10
	v_or3_b32 v10, v12, v10, v9
	v_mov_b32_e32 v27, v11
	v_mov_b32_e32 v26, v10
.LBB232_3356:                           ;   in Loop: Header=BB232_2076 Depth=1
	s_or_b32 exec_lo, exec_lo, s21
.LBB232_3357:                           ;   in Loop: Header=BB232_2076 Depth=1
	s_or_b32 exec_lo, exec_lo, s20
.LBB232_3358:                           ;   in Loop: Header=BB232_2076 Depth=1
	s_or_b32 exec_lo, exec_lo, s19
	s_mov_b32 s19, exec_lo
	v_cmpx_lt_u32_e32 0xffffff, v8
	s_cbranch_execz .LBB232_3366
; %bb.3359:                             ;   in Loop: Header=BB232_2076 Depth=1
	v_mov_b32_e32 v12, v11
	v_mov_b32_e32 v25, v13
	v_cmp_ne_u32_sdwa s8, v8, v74 src0_sel:BYTE_3 src1_sel:DWORD
	v_mov_b32_e32 v24, v12
	s_and_saveexec_b32 s20, s8
	s_cbranch_execz .LBB232_3365
; %bb.3360:                             ;   in Loop: Header=BB232_2076 Depth=1
	v_mov_b32_e32 v14, v11
	v_mov_b32_e32 v25, v15
	v_bfe_u32 v12, v8, 24, 7
	s_mov_b32 s21, exec_lo
	v_mov_b32_e32 v24, v14
	v_cmpx_ne_u32_e32 0x7f, v12
	s_cbranch_execz .LBB232_3364
; %bb.3361:                             ;   in Loop: Header=BB232_2076 Depth=1
	v_and_b32_sdwa v10, v8, v77 dst_sel:DWORD dst_unused:UNUSED_PAD src0_sel:BYTE_3 src1_sel:DWORD
	v_mov_b32_e32 v25, v11
	v_lshrrev_b32_e32 v9, 3, v12
	s_mov_b32 s22, exec_lo
	v_mov_b32_e32 v24, v10
	v_cmpx_gt_u32_e32 8, v12
; %bb.3362:                             ;   in Loop: Header=BB232_2076 Depth=1
	v_ffbh_u32_e32 v9, v10
	v_min_u32_e32 v9, 32, v9
	v_subrev_nc_u32_e32 v12, 28, v9
	v_sub_nc_u32_e32 v9, 29, v9
	v_lshlrev_b64 v[24:25], v12, v[10:11]
	v_and_b32_e32 v24, 7, v24
; %bb.3363:                             ;   in Loop: Header=BB232_2076 Depth=1
	s_or_b32 exec_lo, exec_lo, s22
	v_lshlrev_b32_sdwa v8, v78, v8 dst_sel:DWORD dst_unused:UNUSED_PAD src0_sel:DWORD src1_sel:BYTE_3
	v_lshlrev_b32_e32 v10, 20, v24
	v_lshl_add_u32 v9, v9, 23, 0x3c000000
	v_mov_b32_e32 v24, v11
	v_and_b32_e32 v8, 0x80000000, v8
	v_or3_b32 v25, v10, v8, v9
.LBB232_3364:                           ;   in Loop: Header=BB232_2076 Depth=1
	s_or_b32 exec_lo, exec_lo, s21
.LBB232_3365:                           ;   in Loop: Header=BB232_2076 Depth=1
	s_or_b32 exec_lo, exec_lo, s20
.LBB232_3366:                           ;   in Loop: Header=BB232_2076 Depth=1
	s_or_b32 exec_lo, exec_lo, s19
	v_or_b32_e32 v8, v23, v21
	v_or_b32_e32 v9, v22, v20
	;; [unrolled: 1-line block ×4, first 2 shown]
	v_mul_f32_e32 v8, v92, v8
	buffer_store_dword v8, off, s[0:3], s32 offset:1404 ; 4-byte Folded Spill
	v_mul_f32_e32 v8, v73, v9
	buffer_store_dword v8, off, s[0:3], s32 offset:1396 ; 4-byte Folded Spill
	;; [unrolled: 2-line block ×4, first 2 shown]
	s_and_saveexec_b32 s8, s6
	s_cbranch_execz .LBB232_3368
; %bb.3367:                             ;   in Loop: Header=BB232_2076 Depth=1
	buffer_load_dword v8, off, s[0:3], s32 offset:1396 ; 4-byte Folded Reload
	s_waitcnt vmcnt(0)
	v_cndmask_b32_e32 v8, 0, v8, vcc_lo
	buffer_store_dword v8, off, s[0:3], s32 offset:1396 ; 4-byte Folded Spill
	buffer_load_dword v8, off, s[0:3], s32 offset:1404 ; 4-byte Folded Reload
	s_waitcnt vmcnt(0)
	v_cndmask_b32_e64 v8, 0, v8, s4
	buffer_store_dword v8, off, s[0:3], s32 offset:1404 ; 4-byte Folded Spill
	buffer_load_dword v8, off, s[0:3], s32 offset:1388 ; 4-byte Folded Reload
	s_waitcnt vmcnt(0)
	v_cndmask_b32_e64 v8, 0, v8, s5
	;; [unrolled: 4-line block ×3, first 2 shown]
	buffer_store_dword v8, off, s[0:3], s32 offset:1380 ; 4-byte Folded Spill
.LBB232_3368:                           ;   in Loop: Header=BB232_2076 Depth=1
	s_or_b32 exec_lo, exec_lo, s8
	flat_load_dword v8, v[18:19] offset:768
	v_mov_b32_e32 v22, 0
	v_mov_b32_e32 v20, 0
	;; [unrolled: 1-line block ×4, first 2 shown]
	s_waitcnt vmcnt(0) lgkmcnt(0)
	v_cmp_ne_u16_sdwa s8, v8, v11 src0_sel:BYTE_0 src1_sel:DWORD
	s_and_saveexec_b32 s19, s8
	s_cbranch_execz .LBB232_3376
; %bb.3369:                             ;   in Loop: Header=BB232_2076 Depth=1
	v_bfrev_b32_e32 v20, 1
	v_mov_b32_e32 v21, 0
	v_cmp_ne_u16_sdwa s8, v8, v74 src0_sel:BYTE_0 src1_sel:DWORD
	s_and_saveexec_b32 s20, s8
	s_cbranch_execz .LBB232_3375
; %bb.3370:                             ;   in Loop: Header=BB232_2076 Depth=1
	v_mov_b32_e32 v20, 0x7f800001
	v_and_b32_e32 v12, 0x7f, v8
	v_mov_b32_e32 v21, 0
	s_mov_b32 s21, exec_lo
	v_cmpx_ne_u32_e32 0x7f, v12
	s_cbranch_execz .LBB232_3374
; %bb.3371:                             ;   in Loop: Header=BB232_2076 Depth=1
	v_and_b32_e32 v10, 7, v8
	v_mov_b32_e32 v21, v11
	v_lshrrev_b32_e32 v9, 3, v12
	s_mov_b32 s22, exec_lo
	v_mov_b32_e32 v20, v10
	v_cmpx_gt_u32_e32 8, v12
; %bb.3372:                             ;   in Loop: Header=BB232_2076 Depth=1
	v_ffbh_u32_e32 v9, v10
	v_min_u32_e32 v9, 32, v9
	v_subrev_nc_u32_e32 v12, 28, v9
	v_sub_nc_u32_e32 v9, 29, v9
	v_lshlrev_b64 v[20:21], v12, v[10:11]
	v_and_b32_e32 v20, 7, v20
; %bb.3373:                             ;   in Loop: Header=BB232_2076 Depth=1
	s_or_b32 exec_lo, exec_lo, s22
	v_lshlrev_b32_e32 v10, 24, v8
	v_lshlrev_b32_e32 v12, 20, v20
	v_lshl_add_u32 v9, v9, 23, 0x3c000000
	v_and_b32_e32 v10, 0x80000000, v10
	v_or3_b32 v10, v12, v10, v9
	v_mov_b32_e32 v21, v11
	v_mov_b32_e32 v20, v10
.LBB232_3374:                           ;   in Loop: Header=BB232_2076 Depth=1
	s_or_b32 exec_lo, exec_lo, s21
.LBB232_3375:                           ;   in Loop: Header=BB232_2076 Depth=1
	s_or_b32 exec_lo, exec_lo, s20
.LBB232_3376:                           ;   in Loop: Header=BB232_2076 Depth=1
	s_or_b32 exec_lo, exec_lo, s19
	v_cmp_ne_u16_sdwa s8, v8, v11 src0_sel:BYTE_1 src1_sel:DWORD
	s_and_saveexec_b32 s19, s8
	s_cbranch_execz .LBB232_3384
; %bb.3377:                             ;   in Loop: Header=BB232_2076 Depth=1
	v_mov_b32_e32 v12, v11
	v_mov_b32_e32 v23, v13
	v_cmp_ne_u16_sdwa s8, v8, v74 src0_sel:BYTE_1 src1_sel:DWORD
	v_mov_b32_e32 v22, v12
	s_and_saveexec_b32 s20, s8
	s_cbranch_execz .LBB232_3383
; %bb.3378:                             ;   in Loop: Header=BB232_2076 Depth=1
	v_and_b32_sdwa v9, v75, v8 dst_sel:DWORD dst_unused:UNUSED_PAD src0_sel:DWORD src1_sel:BYTE_1
	v_mov_b32_e32 v14, v11
	v_mov_b32_e32 v23, v15
	s_mov_b32 s21, exec_lo
	v_and_b32_e32 v12, 0x7f, v9
	v_mov_b32_e32 v22, v14
	v_cmpx_ne_u32_e32 0x7f, v12
	s_cbranch_execz .LBB232_3382
; %bb.3379:                             ;   in Loop: Header=BB232_2076 Depth=1
	v_and_b32_e32 v10, 7, v9
	v_mov_b32_e32 v23, v11
	v_lshrrev_b32_e32 v9, 3, v12
	s_mov_b32 s22, exec_lo
	v_mov_b32_e32 v22, v10
	v_cmpx_gt_u32_e32 8, v12
; %bb.3380:                             ;   in Loop: Header=BB232_2076 Depth=1
	v_ffbh_u32_e32 v9, v10
	v_min_u32_e32 v9, 32, v9
	v_subrev_nc_u32_e32 v12, 28, v9
	v_sub_nc_u32_e32 v9, 29, v9
	v_lshlrev_b64 v[22:23], v12, v[10:11]
	v_and_b32_e32 v22, 7, v22
; %bb.3381:                             ;   in Loop: Header=BB232_2076 Depth=1
	s_or_b32 exec_lo, exec_lo, s22
	v_lshlrev_b32_e32 v10, 16, v8
	v_lshlrev_b32_e32 v12, 20, v22
	v_lshl_add_u32 v9, v9, 23, 0x3c000000
	v_mov_b32_e32 v22, v11
	v_and_b32_e32 v10, 0x80000000, v10
	v_or3_b32 v23, v12, v10, v9
.LBB232_3382:                           ;   in Loop: Header=BB232_2076 Depth=1
	s_or_b32 exec_lo, exec_lo, s21
.LBB232_3383:                           ;   in Loop: Header=BB232_2076 Depth=1
	s_or_b32 exec_lo, exec_lo, s20
.LBB232_3384:                           ;   in Loop: Header=BB232_2076 Depth=1
	s_or_b32 exec_lo, exec_lo, s19
	v_mov_b32_e32 v24, 0
	v_mov_b32_e32 v26, 0
	v_and_b32_sdwa v9, v8, v76 dst_sel:DWORD dst_unused:UNUSED_PAD src0_sel:WORD_1 src1_sel:DWORD
	v_mov_b32_e32 v25, 0
	v_mov_b32_e32 v27, 0
	s_mov_b32 s19, exec_lo
	v_cmpx_ne_u16_e32 0, v9
	s_cbranch_execz .LBB232_3392
; %bb.3385:                             ;   in Loop: Header=BB232_2076 Depth=1
	v_bfrev_b32_e32 v26, 1
	v_mov_b32_e32 v27, 0
	s_mov_b32 s20, exec_lo
	v_cmpx_ne_u16_e32 0x80, v9
	s_cbranch_execz .LBB232_3391
; %bb.3386:                             ;   in Loop: Header=BB232_2076 Depth=1
	v_mov_b32_e32 v26, 0x7f800001
	v_bfe_u32 v12, v8, 16, 7
	v_mov_b32_e32 v27, 0
	s_mov_b32 s21, exec_lo
	v_cmpx_ne_u32_e32 0x7f, v12
	s_cbranch_execz .LBB232_3390
; %bb.3387:                             ;   in Loop: Header=BB232_2076 Depth=1
	v_and_b32_sdwa v10, v8, v77 dst_sel:DWORD dst_unused:UNUSED_PAD src0_sel:WORD_1 src1_sel:DWORD
	v_mov_b32_e32 v27, v11
	v_lshrrev_b32_e32 v9, 3, v12
	s_mov_b32 s22, exec_lo
	v_mov_b32_e32 v26, v10
	v_cmpx_gt_u32_e32 8, v12
; %bb.3388:                             ;   in Loop: Header=BB232_2076 Depth=1
	v_ffbh_u32_e32 v9, v10
	v_min_u32_e32 v9, 32, v9
	v_subrev_nc_u32_e32 v12, 28, v9
	v_sub_nc_u32_e32 v9, 29, v9
	v_lshlrev_b64 v[26:27], v12, v[10:11]
	v_and_b32_e32 v26, 7, v26
; %bb.3389:                             ;   in Loop: Header=BB232_2076 Depth=1
	s_or_b32 exec_lo, exec_lo, s22
	v_lshlrev_b32_sdwa v10, v78, v8 dst_sel:DWORD dst_unused:UNUSED_PAD src0_sel:DWORD src1_sel:WORD_1
	v_lshlrev_b32_e32 v12, 20, v26
	v_lshl_add_u32 v9, v9, 23, 0x3c000000
	v_and_b32_e32 v10, 0x80000000, v10
	v_or3_b32 v10, v12, v10, v9
	v_mov_b32_e32 v27, v11
	v_mov_b32_e32 v26, v10
.LBB232_3390:                           ;   in Loop: Header=BB232_2076 Depth=1
	s_or_b32 exec_lo, exec_lo, s21
.LBB232_3391:                           ;   in Loop: Header=BB232_2076 Depth=1
	s_or_b32 exec_lo, exec_lo, s20
.LBB232_3392:                           ;   in Loop: Header=BB232_2076 Depth=1
	s_or_b32 exec_lo, exec_lo, s19
	s_mov_b32 s19, exec_lo
	v_cmpx_lt_u32_e32 0xffffff, v8
	s_cbranch_execz .LBB232_3400
; %bb.3393:                             ;   in Loop: Header=BB232_2076 Depth=1
	v_mov_b32_e32 v12, v11
	v_mov_b32_e32 v25, v13
	v_cmp_ne_u32_sdwa s8, v8, v74 src0_sel:BYTE_3 src1_sel:DWORD
	v_mov_b32_e32 v24, v12
	s_and_saveexec_b32 s20, s8
	s_cbranch_execz .LBB232_3399
; %bb.3394:                             ;   in Loop: Header=BB232_2076 Depth=1
	v_mov_b32_e32 v14, v11
	v_mov_b32_e32 v25, v15
	v_bfe_u32 v12, v8, 24, 7
	s_mov_b32 s21, exec_lo
	v_mov_b32_e32 v24, v14
	v_cmpx_ne_u32_e32 0x7f, v12
	s_cbranch_execz .LBB232_3398
; %bb.3395:                             ;   in Loop: Header=BB232_2076 Depth=1
	v_and_b32_sdwa v10, v8, v77 dst_sel:DWORD dst_unused:UNUSED_PAD src0_sel:BYTE_3 src1_sel:DWORD
	v_mov_b32_e32 v25, v11
	v_lshrrev_b32_e32 v9, 3, v12
	s_mov_b32 s22, exec_lo
	v_mov_b32_e32 v24, v10
	v_cmpx_gt_u32_e32 8, v12
; %bb.3396:                             ;   in Loop: Header=BB232_2076 Depth=1
	v_ffbh_u32_e32 v9, v10
	v_min_u32_e32 v9, 32, v9
	v_subrev_nc_u32_e32 v12, 28, v9
	v_sub_nc_u32_e32 v9, 29, v9
	v_lshlrev_b64 v[24:25], v12, v[10:11]
	v_and_b32_e32 v24, 7, v24
; %bb.3397:                             ;   in Loop: Header=BB232_2076 Depth=1
	s_or_b32 exec_lo, exec_lo, s22
	v_lshlrev_b32_sdwa v8, v78, v8 dst_sel:DWORD dst_unused:UNUSED_PAD src0_sel:DWORD src1_sel:BYTE_3
	v_lshlrev_b32_e32 v10, 20, v24
	v_lshl_add_u32 v9, v9, 23, 0x3c000000
	v_mov_b32_e32 v24, v11
	v_and_b32_e32 v8, 0x80000000, v8
	v_or3_b32 v25, v10, v8, v9
.LBB232_3398:                           ;   in Loop: Header=BB232_2076 Depth=1
	s_or_b32 exec_lo, exec_lo, s21
.LBB232_3399:                           ;   in Loop: Header=BB232_2076 Depth=1
	s_or_b32 exec_lo, exec_lo, s20
.LBB232_3400:                           ;   in Loop: Header=BB232_2076 Depth=1
	s_or_b32 exec_lo, exec_lo, s19
	v_or_b32_e32 v8, v23, v21
	v_or_b32_e32 v9, v22, v20
	;; [unrolled: 1-line block ×4, first 2 shown]
	v_mul_f32_e32 v8, v92, v8
	buffer_store_dword v8, off, s[0:3], s32 offset:1436 ; 4-byte Folded Spill
	v_mul_f32_e32 v8, v73, v9
	buffer_store_dword v8, off, s[0:3], s32 offset:1428 ; 4-byte Folded Spill
	;; [unrolled: 2-line block ×4, first 2 shown]
	s_and_saveexec_b32 s8, s6
	s_cbranch_execz .LBB232_3402
; %bb.3401:                             ;   in Loop: Header=BB232_2076 Depth=1
	buffer_load_dword v8, off, s[0:3], s32 offset:1428 ; 4-byte Folded Reload
	s_waitcnt vmcnt(0)
	v_cndmask_b32_e32 v8, 0, v8, vcc_lo
	buffer_store_dword v8, off, s[0:3], s32 offset:1428 ; 4-byte Folded Spill
	buffer_load_dword v8, off, s[0:3], s32 offset:1436 ; 4-byte Folded Reload
	s_waitcnt vmcnt(0)
	v_cndmask_b32_e64 v8, 0, v8, s4
	buffer_store_dword v8, off, s[0:3], s32 offset:1436 ; 4-byte Folded Spill
	buffer_load_dword v8, off, s[0:3], s32 offset:1420 ; 4-byte Folded Reload
	s_waitcnt vmcnt(0)
	v_cndmask_b32_e64 v8, 0, v8, s5
	;; [unrolled: 4-line block ×3, first 2 shown]
	buffer_store_dword v8, off, s[0:3], s32 offset:1412 ; 4-byte Folded Spill
.LBB232_3402:                           ;   in Loop: Header=BB232_2076 Depth=1
	s_or_b32 exec_lo, exec_lo, s8
	flat_load_dword v8, v[18:19] offset:896
	v_mov_b32_e32 v22, 0
	v_mov_b32_e32 v20, 0
	;; [unrolled: 1-line block ×4, first 2 shown]
	s_waitcnt vmcnt(0) lgkmcnt(0)
	v_cmp_ne_u16_sdwa s8, v8, v11 src0_sel:BYTE_0 src1_sel:DWORD
	s_and_saveexec_b32 s19, s8
	s_cbranch_execz .LBB232_3410
; %bb.3403:                             ;   in Loop: Header=BB232_2076 Depth=1
	v_bfrev_b32_e32 v20, 1
	v_mov_b32_e32 v21, 0
	v_cmp_ne_u16_sdwa s8, v8, v74 src0_sel:BYTE_0 src1_sel:DWORD
	s_and_saveexec_b32 s20, s8
	s_cbranch_execz .LBB232_3409
; %bb.3404:                             ;   in Loop: Header=BB232_2076 Depth=1
	v_mov_b32_e32 v20, 0x7f800001
	v_and_b32_e32 v12, 0x7f, v8
	v_mov_b32_e32 v21, 0
	s_mov_b32 s21, exec_lo
	v_cmpx_ne_u32_e32 0x7f, v12
	s_cbranch_execz .LBB232_3408
; %bb.3405:                             ;   in Loop: Header=BB232_2076 Depth=1
	v_and_b32_e32 v10, 7, v8
	v_mov_b32_e32 v21, v11
	v_lshrrev_b32_e32 v9, 3, v12
	s_mov_b32 s22, exec_lo
	v_mov_b32_e32 v20, v10
	v_cmpx_gt_u32_e32 8, v12
; %bb.3406:                             ;   in Loop: Header=BB232_2076 Depth=1
	v_ffbh_u32_e32 v9, v10
	v_min_u32_e32 v9, 32, v9
	v_subrev_nc_u32_e32 v12, 28, v9
	v_sub_nc_u32_e32 v9, 29, v9
	v_lshlrev_b64 v[20:21], v12, v[10:11]
	v_and_b32_e32 v20, 7, v20
; %bb.3407:                             ;   in Loop: Header=BB232_2076 Depth=1
	s_or_b32 exec_lo, exec_lo, s22
	v_lshlrev_b32_e32 v10, 24, v8
	v_lshlrev_b32_e32 v12, 20, v20
	v_lshl_add_u32 v9, v9, 23, 0x3c000000
	v_and_b32_e32 v10, 0x80000000, v10
	v_or3_b32 v10, v12, v10, v9
	v_mov_b32_e32 v21, v11
	v_mov_b32_e32 v20, v10
.LBB232_3408:                           ;   in Loop: Header=BB232_2076 Depth=1
	s_or_b32 exec_lo, exec_lo, s21
.LBB232_3409:                           ;   in Loop: Header=BB232_2076 Depth=1
	s_or_b32 exec_lo, exec_lo, s20
.LBB232_3410:                           ;   in Loop: Header=BB232_2076 Depth=1
	s_or_b32 exec_lo, exec_lo, s19
	v_cmp_ne_u16_sdwa s8, v8, v11 src0_sel:BYTE_1 src1_sel:DWORD
	s_and_saveexec_b32 s19, s8
	s_cbranch_execz .LBB232_3418
; %bb.3411:                             ;   in Loop: Header=BB232_2076 Depth=1
	v_mov_b32_e32 v12, v11
	v_mov_b32_e32 v23, v13
	v_cmp_ne_u16_sdwa s8, v8, v74 src0_sel:BYTE_1 src1_sel:DWORD
	v_mov_b32_e32 v22, v12
	s_and_saveexec_b32 s20, s8
	s_cbranch_execz .LBB232_3417
; %bb.3412:                             ;   in Loop: Header=BB232_2076 Depth=1
	v_and_b32_sdwa v9, v75, v8 dst_sel:DWORD dst_unused:UNUSED_PAD src0_sel:DWORD src1_sel:BYTE_1
	v_mov_b32_e32 v14, v11
	v_mov_b32_e32 v23, v15
	s_mov_b32 s21, exec_lo
	v_and_b32_e32 v12, 0x7f, v9
	v_mov_b32_e32 v22, v14
	v_cmpx_ne_u32_e32 0x7f, v12
	s_cbranch_execz .LBB232_3416
; %bb.3413:                             ;   in Loop: Header=BB232_2076 Depth=1
	v_and_b32_e32 v10, 7, v9
	v_mov_b32_e32 v23, v11
	v_lshrrev_b32_e32 v9, 3, v12
	s_mov_b32 s22, exec_lo
	v_mov_b32_e32 v22, v10
	v_cmpx_gt_u32_e32 8, v12
; %bb.3414:                             ;   in Loop: Header=BB232_2076 Depth=1
	v_ffbh_u32_e32 v9, v10
	v_min_u32_e32 v9, 32, v9
	v_subrev_nc_u32_e32 v12, 28, v9
	v_sub_nc_u32_e32 v9, 29, v9
	v_lshlrev_b64 v[22:23], v12, v[10:11]
	v_and_b32_e32 v22, 7, v22
; %bb.3415:                             ;   in Loop: Header=BB232_2076 Depth=1
	s_or_b32 exec_lo, exec_lo, s22
	v_lshlrev_b32_e32 v10, 16, v8
	v_lshlrev_b32_e32 v12, 20, v22
	v_lshl_add_u32 v9, v9, 23, 0x3c000000
	v_mov_b32_e32 v22, v11
	v_and_b32_e32 v10, 0x80000000, v10
	v_or3_b32 v23, v12, v10, v9
.LBB232_3416:                           ;   in Loop: Header=BB232_2076 Depth=1
	s_or_b32 exec_lo, exec_lo, s21
.LBB232_3417:                           ;   in Loop: Header=BB232_2076 Depth=1
	s_or_b32 exec_lo, exec_lo, s20
.LBB232_3418:                           ;   in Loop: Header=BB232_2076 Depth=1
	s_or_b32 exec_lo, exec_lo, s19
	v_mov_b32_e32 v24, 0
	v_mov_b32_e32 v26, 0
	v_and_b32_sdwa v9, v8, v76 dst_sel:DWORD dst_unused:UNUSED_PAD src0_sel:WORD_1 src1_sel:DWORD
	v_mov_b32_e32 v25, 0
	v_mov_b32_e32 v27, 0
	s_mov_b32 s19, exec_lo
	v_cmpx_ne_u16_e32 0, v9
	s_cbranch_execz .LBB232_3426
; %bb.3419:                             ;   in Loop: Header=BB232_2076 Depth=1
	v_bfrev_b32_e32 v26, 1
	v_mov_b32_e32 v27, 0
	s_mov_b32 s20, exec_lo
	v_cmpx_ne_u16_e32 0x80, v9
	s_cbranch_execz .LBB232_3425
; %bb.3420:                             ;   in Loop: Header=BB232_2076 Depth=1
	v_mov_b32_e32 v26, 0x7f800001
	v_bfe_u32 v12, v8, 16, 7
	v_mov_b32_e32 v27, 0
	s_mov_b32 s21, exec_lo
	v_cmpx_ne_u32_e32 0x7f, v12
	s_cbranch_execz .LBB232_3424
; %bb.3421:                             ;   in Loop: Header=BB232_2076 Depth=1
	v_and_b32_sdwa v10, v8, v77 dst_sel:DWORD dst_unused:UNUSED_PAD src0_sel:WORD_1 src1_sel:DWORD
	v_mov_b32_e32 v27, v11
	v_lshrrev_b32_e32 v9, 3, v12
	s_mov_b32 s22, exec_lo
	v_mov_b32_e32 v26, v10
	v_cmpx_gt_u32_e32 8, v12
; %bb.3422:                             ;   in Loop: Header=BB232_2076 Depth=1
	v_ffbh_u32_e32 v9, v10
	v_min_u32_e32 v9, 32, v9
	v_subrev_nc_u32_e32 v12, 28, v9
	v_sub_nc_u32_e32 v9, 29, v9
	v_lshlrev_b64 v[26:27], v12, v[10:11]
	v_and_b32_e32 v26, 7, v26
; %bb.3423:                             ;   in Loop: Header=BB232_2076 Depth=1
	s_or_b32 exec_lo, exec_lo, s22
	v_lshlrev_b32_sdwa v10, v78, v8 dst_sel:DWORD dst_unused:UNUSED_PAD src0_sel:DWORD src1_sel:WORD_1
	v_lshlrev_b32_e32 v12, 20, v26
	v_lshl_add_u32 v9, v9, 23, 0x3c000000
	v_and_b32_e32 v10, 0x80000000, v10
	v_or3_b32 v10, v12, v10, v9
	v_mov_b32_e32 v27, v11
	v_mov_b32_e32 v26, v10
.LBB232_3424:                           ;   in Loop: Header=BB232_2076 Depth=1
	s_or_b32 exec_lo, exec_lo, s21
.LBB232_3425:                           ;   in Loop: Header=BB232_2076 Depth=1
	s_or_b32 exec_lo, exec_lo, s20
.LBB232_3426:                           ;   in Loop: Header=BB232_2076 Depth=1
	s_or_b32 exec_lo, exec_lo, s19
	s_mov_b32 s19, exec_lo
	v_cmpx_lt_u32_e32 0xffffff, v8
	s_cbranch_execz .LBB232_3434
; %bb.3427:                             ;   in Loop: Header=BB232_2076 Depth=1
	v_mov_b32_e32 v12, v11
	v_mov_b32_e32 v25, v13
	v_cmp_ne_u32_sdwa s8, v8, v74 src0_sel:BYTE_3 src1_sel:DWORD
	v_mov_b32_e32 v24, v12
	s_and_saveexec_b32 s20, s8
	s_cbranch_execz .LBB232_3433
; %bb.3428:                             ;   in Loop: Header=BB232_2076 Depth=1
	v_mov_b32_e32 v14, v11
	v_mov_b32_e32 v25, v15
	v_bfe_u32 v12, v8, 24, 7
	s_mov_b32 s21, exec_lo
	v_mov_b32_e32 v24, v14
	v_cmpx_ne_u32_e32 0x7f, v12
	s_cbranch_execz .LBB232_3432
; %bb.3429:                             ;   in Loop: Header=BB232_2076 Depth=1
	v_and_b32_sdwa v10, v8, v77 dst_sel:DWORD dst_unused:UNUSED_PAD src0_sel:BYTE_3 src1_sel:DWORD
	v_mov_b32_e32 v25, v11
	v_lshrrev_b32_e32 v9, 3, v12
	s_mov_b32 s22, exec_lo
	v_mov_b32_e32 v24, v10
	v_cmpx_gt_u32_e32 8, v12
; %bb.3430:                             ;   in Loop: Header=BB232_2076 Depth=1
	v_ffbh_u32_e32 v9, v10
	v_min_u32_e32 v9, 32, v9
	v_subrev_nc_u32_e32 v12, 28, v9
	v_sub_nc_u32_e32 v9, 29, v9
	v_lshlrev_b64 v[24:25], v12, v[10:11]
	v_and_b32_e32 v24, 7, v24
; %bb.3431:                             ;   in Loop: Header=BB232_2076 Depth=1
	s_or_b32 exec_lo, exec_lo, s22
	v_lshlrev_b32_sdwa v8, v78, v8 dst_sel:DWORD dst_unused:UNUSED_PAD src0_sel:DWORD src1_sel:BYTE_3
	v_lshlrev_b32_e32 v10, 20, v24
	v_lshl_add_u32 v9, v9, 23, 0x3c000000
	v_mov_b32_e32 v24, v11
	v_and_b32_e32 v8, 0x80000000, v8
	v_or3_b32 v25, v10, v8, v9
.LBB232_3432:                           ;   in Loop: Header=BB232_2076 Depth=1
	s_or_b32 exec_lo, exec_lo, s21
.LBB232_3433:                           ;   in Loop: Header=BB232_2076 Depth=1
	s_or_b32 exec_lo, exec_lo, s20
.LBB232_3434:                           ;   in Loop: Header=BB232_2076 Depth=1
	s_or_b32 exec_lo, exec_lo, s19
	v_or_b32_e32 v8, v23, v21
	v_or_b32_e32 v9, v22, v20
	;; [unrolled: 1-line block ×4, first 2 shown]
	v_mul_f32_e32 v39, v92, v8
	v_mul_f32_e32 v38, v73, v9
	;; [unrolled: 1-line block ×4, first 2 shown]
	s_and_saveexec_b32 s8, s6
; %bb.3435:                             ;   in Loop: Header=BB232_2076 Depth=1
	v_cndmask_b32_e32 v38, 0, v38, vcc_lo
	v_cndmask_b32_e64 v39, 0, v39, s4
	v_cndmask_b32_e64 v37, 0, v37, s5
	;; [unrolled: 1-line block ×3, first 2 shown]
; %bb.3436:                             ;   in Loop: Header=BB232_2076 Depth=1
	s_or_b32 exec_lo, exec_lo, s8
	flat_load_dword v8, v[18:19] offset:1024
	v_mov_b32_e32 v22, 0
	v_mov_b32_e32 v20, 0
	;; [unrolled: 1-line block ×4, first 2 shown]
	s_waitcnt vmcnt(0) lgkmcnt(0)
	v_cmp_ne_u16_sdwa s8, v8, v11 src0_sel:BYTE_0 src1_sel:DWORD
	s_and_saveexec_b32 s19, s8
	s_cbranch_execz .LBB232_3444
; %bb.3437:                             ;   in Loop: Header=BB232_2076 Depth=1
	v_bfrev_b32_e32 v20, 1
	v_mov_b32_e32 v21, 0
	v_cmp_ne_u16_sdwa s8, v8, v74 src0_sel:BYTE_0 src1_sel:DWORD
	s_and_saveexec_b32 s20, s8
	s_cbranch_execz .LBB232_3443
; %bb.3438:                             ;   in Loop: Header=BB232_2076 Depth=1
	v_mov_b32_e32 v20, 0x7f800001
	v_and_b32_e32 v12, 0x7f, v8
	v_mov_b32_e32 v21, 0
	s_mov_b32 s21, exec_lo
	v_cmpx_ne_u32_e32 0x7f, v12
	s_cbranch_execz .LBB232_3442
; %bb.3439:                             ;   in Loop: Header=BB232_2076 Depth=1
	v_and_b32_e32 v10, 7, v8
	v_mov_b32_e32 v21, v11
	v_lshrrev_b32_e32 v9, 3, v12
	s_mov_b32 s22, exec_lo
	v_mov_b32_e32 v20, v10
	v_cmpx_gt_u32_e32 8, v12
; %bb.3440:                             ;   in Loop: Header=BB232_2076 Depth=1
	v_ffbh_u32_e32 v9, v10
	v_min_u32_e32 v9, 32, v9
	v_subrev_nc_u32_e32 v12, 28, v9
	v_sub_nc_u32_e32 v9, 29, v9
	v_lshlrev_b64 v[20:21], v12, v[10:11]
	v_and_b32_e32 v20, 7, v20
; %bb.3441:                             ;   in Loop: Header=BB232_2076 Depth=1
	s_or_b32 exec_lo, exec_lo, s22
	v_lshlrev_b32_e32 v10, 24, v8
	v_lshlrev_b32_e32 v12, 20, v20
	v_lshl_add_u32 v9, v9, 23, 0x3c000000
	v_and_b32_e32 v10, 0x80000000, v10
	v_or3_b32 v10, v12, v10, v9
	v_mov_b32_e32 v21, v11
	v_mov_b32_e32 v20, v10
.LBB232_3442:                           ;   in Loop: Header=BB232_2076 Depth=1
	s_or_b32 exec_lo, exec_lo, s21
.LBB232_3443:                           ;   in Loop: Header=BB232_2076 Depth=1
	s_or_b32 exec_lo, exec_lo, s20
.LBB232_3444:                           ;   in Loop: Header=BB232_2076 Depth=1
	s_or_b32 exec_lo, exec_lo, s19
	v_cmp_ne_u16_sdwa s8, v8, v11 src0_sel:BYTE_1 src1_sel:DWORD
	s_and_saveexec_b32 s19, s8
	s_cbranch_execz .LBB232_3452
; %bb.3445:                             ;   in Loop: Header=BB232_2076 Depth=1
	v_mov_b32_e32 v12, v11
	v_mov_b32_e32 v23, v13
	v_cmp_ne_u16_sdwa s8, v8, v74 src0_sel:BYTE_1 src1_sel:DWORD
	v_mov_b32_e32 v22, v12
	s_and_saveexec_b32 s20, s8
	s_cbranch_execz .LBB232_3451
; %bb.3446:                             ;   in Loop: Header=BB232_2076 Depth=1
	v_and_b32_sdwa v9, v75, v8 dst_sel:DWORD dst_unused:UNUSED_PAD src0_sel:DWORD src1_sel:BYTE_1
	v_mov_b32_e32 v14, v11
	v_mov_b32_e32 v23, v15
	s_mov_b32 s21, exec_lo
	v_and_b32_e32 v12, 0x7f, v9
	v_mov_b32_e32 v22, v14
	v_cmpx_ne_u32_e32 0x7f, v12
	s_cbranch_execz .LBB232_3450
; %bb.3447:                             ;   in Loop: Header=BB232_2076 Depth=1
	v_and_b32_e32 v10, 7, v9
	v_mov_b32_e32 v23, v11
	v_lshrrev_b32_e32 v9, 3, v12
	s_mov_b32 s22, exec_lo
	v_mov_b32_e32 v22, v10
	v_cmpx_gt_u32_e32 8, v12
; %bb.3448:                             ;   in Loop: Header=BB232_2076 Depth=1
	v_ffbh_u32_e32 v9, v10
	v_min_u32_e32 v9, 32, v9
	v_subrev_nc_u32_e32 v12, 28, v9
	v_sub_nc_u32_e32 v9, 29, v9
	v_lshlrev_b64 v[22:23], v12, v[10:11]
	v_and_b32_e32 v22, 7, v22
; %bb.3449:                             ;   in Loop: Header=BB232_2076 Depth=1
	s_or_b32 exec_lo, exec_lo, s22
	v_lshlrev_b32_e32 v10, 16, v8
	v_lshlrev_b32_e32 v12, 20, v22
	v_lshl_add_u32 v9, v9, 23, 0x3c000000
	v_mov_b32_e32 v22, v11
	v_and_b32_e32 v10, 0x80000000, v10
	v_or3_b32 v23, v12, v10, v9
.LBB232_3450:                           ;   in Loop: Header=BB232_2076 Depth=1
	s_or_b32 exec_lo, exec_lo, s21
.LBB232_3451:                           ;   in Loop: Header=BB232_2076 Depth=1
	s_or_b32 exec_lo, exec_lo, s20
.LBB232_3452:                           ;   in Loop: Header=BB232_2076 Depth=1
	s_or_b32 exec_lo, exec_lo, s19
	v_mov_b32_e32 v24, 0
	v_mov_b32_e32 v26, 0
	v_and_b32_sdwa v9, v8, v76 dst_sel:DWORD dst_unused:UNUSED_PAD src0_sel:WORD_1 src1_sel:DWORD
	v_mov_b32_e32 v25, 0
	v_mov_b32_e32 v27, 0
	s_mov_b32 s19, exec_lo
	v_cmpx_ne_u16_e32 0, v9
	s_cbranch_execz .LBB232_3460
; %bb.3453:                             ;   in Loop: Header=BB232_2076 Depth=1
	v_bfrev_b32_e32 v26, 1
	v_mov_b32_e32 v27, 0
	s_mov_b32 s20, exec_lo
	v_cmpx_ne_u16_e32 0x80, v9
	s_cbranch_execz .LBB232_3459
; %bb.3454:                             ;   in Loop: Header=BB232_2076 Depth=1
	v_mov_b32_e32 v26, 0x7f800001
	v_bfe_u32 v12, v8, 16, 7
	v_mov_b32_e32 v27, 0
	s_mov_b32 s21, exec_lo
	v_cmpx_ne_u32_e32 0x7f, v12
	s_cbranch_execz .LBB232_3458
; %bb.3455:                             ;   in Loop: Header=BB232_2076 Depth=1
	v_and_b32_sdwa v10, v8, v77 dst_sel:DWORD dst_unused:UNUSED_PAD src0_sel:WORD_1 src1_sel:DWORD
	v_mov_b32_e32 v27, v11
	v_lshrrev_b32_e32 v9, 3, v12
	s_mov_b32 s22, exec_lo
	v_mov_b32_e32 v26, v10
	v_cmpx_gt_u32_e32 8, v12
; %bb.3456:                             ;   in Loop: Header=BB232_2076 Depth=1
	v_ffbh_u32_e32 v9, v10
	v_min_u32_e32 v9, 32, v9
	v_subrev_nc_u32_e32 v12, 28, v9
	v_sub_nc_u32_e32 v9, 29, v9
	v_lshlrev_b64 v[26:27], v12, v[10:11]
	v_and_b32_e32 v26, 7, v26
; %bb.3457:                             ;   in Loop: Header=BB232_2076 Depth=1
	s_or_b32 exec_lo, exec_lo, s22
	v_lshlrev_b32_sdwa v10, v78, v8 dst_sel:DWORD dst_unused:UNUSED_PAD src0_sel:DWORD src1_sel:WORD_1
	v_lshlrev_b32_e32 v12, 20, v26
	v_lshl_add_u32 v9, v9, 23, 0x3c000000
	v_and_b32_e32 v10, 0x80000000, v10
	v_or3_b32 v10, v12, v10, v9
	v_mov_b32_e32 v27, v11
	v_mov_b32_e32 v26, v10
.LBB232_3458:                           ;   in Loop: Header=BB232_2076 Depth=1
	s_or_b32 exec_lo, exec_lo, s21
.LBB232_3459:                           ;   in Loop: Header=BB232_2076 Depth=1
	s_or_b32 exec_lo, exec_lo, s20
.LBB232_3460:                           ;   in Loop: Header=BB232_2076 Depth=1
	s_or_b32 exec_lo, exec_lo, s19
	s_mov_b32 s19, exec_lo
	v_cmpx_lt_u32_e32 0xffffff, v8
	s_cbranch_execz .LBB232_3468
; %bb.3461:                             ;   in Loop: Header=BB232_2076 Depth=1
	v_mov_b32_e32 v12, v11
	v_mov_b32_e32 v25, v13
	v_cmp_ne_u32_sdwa s8, v8, v74 src0_sel:BYTE_3 src1_sel:DWORD
	v_mov_b32_e32 v24, v12
	s_and_saveexec_b32 s20, s8
	s_cbranch_execz .LBB232_3467
; %bb.3462:                             ;   in Loop: Header=BB232_2076 Depth=1
	v_mov_b32_e32 v14, v11
	v_mov_b32_e32 v25, v15
	v_bfe_u32 v12, v8, 24, 7
	s_mov_b32 s21, exec_lo
	v_mov_b32_e32 v24, v14
	v_cmpx_ne_u32_e32 0x7f, v12
	s_cbranch_execz .LBB232_3466
; %bb.3463:                             ;   in Loop: Header=BB232_2076 Depth=1
	v_and_b32_sdwa v10, v8, v77 dst_sel:DWORD dst_unused:UNUSED_PAD src0_sel:BYTE_3 src1_sel:DWORD
	v_mov_b32_e32 v25, v11
	v_lshrrev_b32_e32 v9, 3, v12
	s_mov_b32 s22, exec_lo
	v_mov_b32_e32 v24, v10
	v_cmpx_gt_u32_e32 8, v12
; %bb.3464:                             ;   in Loop: Header=BB232_2076 Depth=1
	v_ffbh_u32_e32 v9, v10
	v_min_u32_e32 v9, 32, v9
	v_subrev_nc_u32_e32 v12, 28, v9
	v_sub_nc_u32_e32 v9, 29, v9
	v_lshlrev_b64 v[24:25], v12, v[10:11]
	v_and_b32_e32 v24, 7, v24
; %bb.3465:                             ;   in Loop: Header=BB232_2076 Depth=1
	s_or_b32 exec_lo, exec_lo, s22
	v_lshlrev_b32_sdwa v8, v78, v8 dst_sel:DWORD dst_unused:UNUSED_PAD src0_sel:DWORD src1_sel:BYTE_3
	v_lshlrev_b32_e32 v10, 20, v24
	v_lshl_add_u32 v9, v9, 23, 0x3c000000
	v_mov_b32_e32 v24, v11
	v_and_b32_e32 v8, 0x80000000, v8
	v_or3_b32 v25, v10, v8, v9
.LBB232_3466:                           ;   in Loop: Header=BB232_2076 Depth=1
	s_or_b32 exec_lo, exec_lo, s21
.LBB232_3467:                           ;   in Loop: Header=BB232_2076 Depth=1
	s_or_b32 exec_lo, exec_lo, s20
.LBB232_3468:                           ;   in Loop: Header=BB232_2076 Depth=1
	s_or_b32 exec_lo, exec_lo, s19
	v_or_b32_e32 v8, v23, v21
	v_or_b32_e32 v9, v22, v20
	;; [unrolled: 1-line block ×4, first 2 shown]
	v_mul_f32_e32 v51, v92, v8
	v_mul_f32_e32 v50, v73, v9
	;; [unrolled: 1-line block ×4, first 2 shown]
	s_and_saveexec_b32 s8, s6
; %bb.3469:                             ;   in Loop: Header=BB232_2076 Depth=1
	v_cndmask_b32_e32 v50, 0, v50, vcc_lo
	v_cndmask_b32_e64 v51, 0, v51, s4
	v_cndmask_b32_e64 v49, 0, v49, s5
	;; [unrolled: 1-line block ×3, first 2 shown]
; %bb.3470:                             ;   in Loop: Header=BB232_2076 Depth=1
	s_or_b32 exec_lo, exec_lo, s8
	flat_load_dword v8, v[18:19] offset:1152
	v_mov_b32_e32 v22, 0
	v_mov_b32_e32 v20, 0
	;; [unrolled: 1-line block ×4, first 2 shown]
	s_waitcnt vmcnt(0) lgkmcnt(0)
	v_cmp_ne_u16_sdwa s8, v8, v11 src0_sel:BYTE_0 src1_sel:DWORD
	s_and_saveexec_b32 s19, s8
	s_cbranch_execz .LBB232_3478
; %bb.3471:                             ;   in Loop: Header=BB232_2076 Depth=1
	v_bfrev_b32_e32 v20, 1
	v_mov_b32_e32 v21, 0
	v_cmp_ne_u16_sdwa s8, v8, v74 src0_sel:BYTE_0 src1_sel:DWORD
	s_and_saveexec_b32 s20, s8
	s_cbranch_execz .LBB232_3477
; %bb.3472:                             ;   in Loop: Header=BB232_2076 Depth=1
	v_mov_b32_e32 v20, 0x7f800001
	v_and_b32_e32 v12, 0x7f, v8
	v_mov_b32_e32 v21, 0
	s_mov_b32 s21, exec_lo
	v_cmpx_ne_u32_e32 0x7f, v12
	s_cbranch_execz .LBB232_3476
; %bb.3473:                             ;   in Loop: Header=BB232_2076 Depth=1
	v_and_b32_e32 v10, 7, v8
	v_mov_b32_e32 v21, v11
	v_lshrrev_b32_e32 v9, 3, v12
	s_mov_b32 s22, exec_lo
	v_mov_b32_e32 v20, v10
	v_cmpx_gt_u32_e32 8, v12
; %bb.3474:                             ;   in Loop: Header=BB232_2076 Depth=1
	v_ffbh_u32_e32 v9, v10
	v_min_u32_e32 v9, 32, v9
	v_subrev_nc_u32_e32 v12, 28, v9
	v_sub_nc_u32_e32 v9, 29, v9
	v_lshlrev_b64 v[20:21], v12, v[10:11]
	v_and_b32_e32 v20, 7, v20
; %bb.3475:                             ;   in Loop: Header=BB232_2076 Depth=1
	s_or_b32 exec_lo, exec_lo, s22
	v_lshlrev_b32_e32 v10, 24, v8
	v_lshlrev_b32_e32 v12, 20, v20
	v_lshl_add_u32 v9, v9, 23, 0x3c000000
	v_and_b32_e32 v10, 0x80000000, v10
	v_or3_b32 v10, v12, v10, v9
	v_mov_b32_e32 v21, v11
	v_mov_b32_e32 v20, v10
.LBB232_3476:                           ;   in Loop: Header=BB232_2076 Depth=1
	s_or_b32 exec_lo, exec_lo, s21
.LBB232_3477:                           ;   in Loop: Header=BB232_2076 Depth=1
	s_or_b32 exec_lo, exec_lo, s20
.LBB232_3478:                           ;   in Loop: Header=BB232_2076 Depth=1
	s_or_b32 exec_lo, exec_lo, s19
	v_cmp_ne_u16_sdwa s8, v8, v11 src0_sel:BYTE_1 src1_sel:DWORD
	s_and_saveexec_b32 s19, s8
	s_cbranch_execz .LBB232_3486
; %bb.3479:                             ;   in Loop: Header=BB232_2076 Depth=1
	v_mov_b32_e32 v12, v11
	v_mov_b32_e32 v23, v13
	v_cmp_ne_u16_sdwa s8, v8, v74 src0_sel:BYTE_1 src1_sel:DWORD
	v_mov_b32_e32 v22, v12
	s_and_saveexec_b32 s20, s8
	s_cbranch_execz .LBB232_3485
; %bb.3480:                             ;   in Loop: Header=BB232_2076 Depth=1
	v_and_b32_sdwa v9, v75, v8 dst_sel:DWORD dst_unused:UNUSED_PAD src0_sel:DWORD src1_sel:BYTE_1
	v_mov_b32_e32 v14, v11
	v_mov_b32_e32 v23, v15
	s_mov_b32 s21, exec_lo
	v_and_b32_e32 v12, 0x7f, v9
	v_mov_b32_e32 v22, v14
	v_cmpx_ne_u32_e32 0x7f, v12
	s_cbranch_execz .LBB232_3484
; %bb.3481:                             ;   in Loop: Header=BB232_2076 Depth=1
	v_and_b32_e32 v10, 7, v9
	v_mov_b32_e32 v23, v11
	v_lshrrev_b32_e32 v9, 3, v12
	s_mov_b32 s22, exec_lo
	v_mov_b32_e32 v22, v10
	v_cmpx_gt_u32_e32 8, v12
; %bb.3482:                             ;   in Loop: Header=BB232_2076 Depth=1
	v_ffbh_u32_e32 v9, v10
	v_min_u32_e32 v9, 32, v9
	v_subrev_nc_u32_e32 v12, 28, v9
	v_sub_nc_u32_e32 v9, 29, v9
	v_lshlrev_b64 v[22:23], v12, v[10:11]
	v_and_b32_e32 v22, 7, v22
; %bb.3483:                             ;   in Loop: Header=BB232_2076 Depth=1
	s_or_b32 exec_lo, exec_lo, s22
	v_lshlrev_b32_e32 v10, 16, v8
	v_lshlrev_b32_e32 v12, 20, v22
	v_lshl_add_u32 v9, v9, 23, 0x3c000000
	v_mov_b32_e32 v22, v11
	v_and_b32_e32 v10, 0x80000000, v10
	v_or3_b32 v23, v12, v10, v9
.LBB232_3484:                           ;   in Loop: Header=BB232_2076 Depth=1
	s_or_b32 exec_lo, exec_lo, s21
.LBB232_3485:                           ;   in Loop: Header=BB232_2076 Depth=1
	s_or_b32 exec_lo, exec_lo, s20
.LBB232_3486:                           ;   in Loop: Header=BB232_2076 Depth=1
	s_or_b32 exec_lo, exec_lo, s19
	v_mov_b32_e32 v24, 0
	v_mov_b32_e32 v26, 0
	v_and_b32_sdwa v9, v8, v76 dst_sel:DWORD dst_unused:UNUSED_PAD src0_sel:WORD_1 src1_sel:DWORD
	v_mov_b32_e32 v25, 0
	v_mov_b32_e32 v27, 0
	s_mov_b32 s19, exec_lo
	v_cmpx_ne_u16_e32 0, v9
	s_cbranch_execz .LBB232_3494
; %bb.3487:                             ;   in Loop: Header=BB232_2076 Depth=1
	v_bfrev_b32_e32 v26, 1
	v_mov_b32_e32 v27, 0
	s_mov_b32 s20, exec_lo
	v_cmpx_ne_u16_e32 0x80, v9
	s_cbranch_execz .LBB232_3493
; %bb.3488:                             ;   in Loop: Header=BB232_2076 Depth=1
	v_mov_b32_e32 v26, 0x7f800001
	v_bfe_u32 v12, v8, 16, 7
	v_mov_b32_e32 v27, 0
	s_mov_b32 s21, exec_lo
	v_cmpx_ne_u32_e32 0x7f, v12
	s_cbranch_execz .LBB232_3492
; %bb.3489:                             ;   in Loop: Header=BB232_2076 Depth=1
	v_and_b32_sdwa v10, v8, v77 dst_sel:DWORD dst_unused:UNUSED_PAD src0_sel:WORD_1 src1_sel:DWORD
	v_mov_b32_e32 v27, v11
	v_lshrrev_b32_e32 v9, 3, v12
	s_mov_b32 s22, exec_lo
	v_mov_b32_e32 v26, v10
	v_cmpx_gt_u32_e32 8, v12
; %bb.3490:                             ;   in Loop: Header=BB232_2076 Depth=1
	v_ffbh_u32_e32 v9, v10
	v_min_u32_e32 v9, 32, v9
	v_subrev_nc_u32_e32 v12, 28, v9
	v_sub_nc_u32_e32 v9, 29, v9
	v_lshlrev_b64 v[26:27], v12, v[10:11]
	v_and_b32_e32 v26, 7, v26
; %bb.3491:                             ;   in Loop: Header=BB232_2076 Depth=1
	s_or_b32 exec_lo, exec_lo, s22
	v_lshlrev_b32_sdwa v10, v78, v8 dst_sel:DWORD dst_unused:UNUSED_PAD src0_sel:DWORD src1_sel:WORD_1
	v_lshlrev_b32_e32 v12, 20, v26
	v_lshl_add_u32 v9, v9, 23, 0x3c000000
	v_and_b32_e32 v10, 0x80000000, v10
	v_or3_b32 v10, v12, v10, v9
	v_mov_b32_e32 v27, v11
	v_mov_b32_e32 v26, v10
.LBB232_3492:                           ;   in Loop: Header=BB232_2076 Depth=1
	s_or_b32 exec_lo, exec_lo, s21
.LBB232_3493:                           ;   in Loop: Header=BB232_2076 Depth=1
	s_or_b32 exec_lo, exec_lo, s20
.LBB232_3494:                           ;   in Loop: Header=BB232_2076 Depth=1
	s_or_b32 exec_lo, exec_lo, s19
	s_mov_b32 s19, exec_lo
	v_cmpx_lt_u32_e32 0xffffff, v8
	s_cbranch_execz .LBB232_3502
; %bb.3495:                             ;   in Loop: Header=BB232_2076 Depth=1
	v_mov_b32_e32 v12, v11
	v_mov_b32_e32 v25, v13
	v_cmp_ne_u32_sdwa s8, v8, v74 src0_sel:BYTE_3 src1_sel:DWORD
	v_mov_b32_e32 v24, v12
	s_and_saveexec_b32 s20, s8
	s_cbranch_execz .LBB232_3501
; %bb.3496:                             ;   in Loop: Header=BB232_2076 Depth=1
	v_mov_b32_e32 v14, v11
	v_mov_b32_e32 v25, v15
	v_bfe_u32 v12, v8, 24, 7
	s_mov_b32 s21, exec_lo
	v_mov_b32_e32 v24, v14
	v_cmpx_ne_u32_e32 0x7f, v12
	s_cbranch_execz .LBB232_3500
; %bb.3497:                             ;   in Loop: Header=BB232_2076 Depth=1
	v_and_b32_sdwa v10, v8, v77 dst_sel:DWORD dst_unused:UNUSED_PAD src0_sel:BYTE_3 src1_sel:DWORD
	v_mov_b32_e32 v25, v11
	v_lshrrev_b32_e32 v9, 3, v12
	s_mov_b32 s22, exec_lo
	v_mov_b32_e32 v24, v10
	v_cmpx_gt_u32_e32 8, v12
; %bb.3498:                             ;   in Loop: Header=BB232_2076 Depth=1
	v_ffbh_u32_e32 v9, v10
	v_min_u32_e32 v9, 32, v9
	v_subrev_nc_u32_e32 v12, 28, v9
	v_sub_nc_u32_e32 v9, 29, v9
	v_lshlrev_b64 v[24:25], v12, v[10:11]
	v_and_b32_e32 v24, 7, v24
; %bb.3499:                             ;   in Loop: Header=BB232_2076 Depth=1
	s_or_b32 exec_lo, exec_lo, s22
	v_lshlrev_b32_sdwa v8, v78, v8 dst_sel:DWORD dst_unused:UNUSED_PAD src0_sel:DWORD src1_sel:BYTE_3
	v_lshlrev_b32_e32 v10, 20, v24
	v_lshl_add_u32 v9, v9, 23, 0x3c000000
	v_mov_b32_e32 v24, v11
	v_and_b32_e32 v8, 0x80000000, v8
	v_or3_b32 v25, v10, v8, v9
.LBB232_3500:                           ;   in Loop: Header=BB232_2076 Depth=1
	s_or_b32 exec_lo, exec_lo, s21
.LBB232_3501:                           ;   in Loop: Header=BB232_2076 Depth=1
	s_or_b32 exec_lo, exec_lo, s20
.LBB232_3502:                           ;   in Loop: Header=BB232_2076 Depth=1
	s_or_b32 exec_lo, exec_lo, s19
	v_or_b32_e32 v8, v23, v21
	v_or_b32_e32 v9, v22, v20
	;; [unrolled: 1-line block ×4, first 2 shown]
	v_mul_f32_e32 v55, v92, v8
	v_mul_f32_e32 v54, v73, v9
	;; [unrolled: 1-line block ×4, first 2 shown]
	s_and_saveexec_b32 s8, s6
; %bb.3503:                             ;   in Loop: Header=BB232_2076 Depth=1
	v_cndmask_b32_e32 v54, 0, v54, vcc_lo
	v_cndmask_b32_e64 v55, 0, v55, s4
	v_cndmask_b32_e64 v53, 0, v53, s5
	;; [unrolled: 1-line block ×3, first 2 shown]
; %bb.3504:                             ;   in Loop: Header=BB232_2076 Depth=1
	s_or_b32 exec_lo, exec_lo, s8
	flat_load_dword v8, v[18:19] offset:1280
	v_mov_b32_e32 v22, 0
	v_mov_b32_e32 v20, 0
	;; [unrolled: 1-line block ×4, first 2 shown]
	s_waitcnt vmcnt(0) lgkmcnt(0)
	v_cmp_ne_u16_sdwa s8, v8, v11 src0_sel:BYTE_0 src1_sel:DWORD
	s_and_saveexec_b32 s19, s8
	s_cbranch_execz .LBB232_3512
; %bb.3505:                             ;   in Loop: Header=BB232_2076 Depth=1
	v_bfrev_b32_e32 v20, 1
	v_mov_b32_e32 v21, 0
	v_cmp_ne_u16_sdwa s8, v8, v74 src0_sel:BYTE_0 src1_sel:DWORD
	s_and_saveexec_b32 s20, s8
	s_cbranch_execz .LBB232_3511
; %bb.3506:                             ;   in Loop: Header=BB232_2076 Depth=1
	v_mov_b32_e32 v20, 0x7f800001
	v_and_b32_e32 v12, 0x7f, v8
	v_mov_b32_e32 v21, 0
	s_mov_b32 s21, exec_lo
	v_cmpx_ne_u32_e32 0x7f, v12
	s_cbranch_execz .LBB232_3510
; %bb.3507:                             ;   in Loop: Header=BB232_2076 Depth=1
	v_and_b32_e32 v10, 7, v8
	v_mov_b32_e32 v21, v11
	v_lshrrev_b32_e32 v9, 3, v12
	s_mov_b32 s22, exec_lo
	v_mov_b32_e32 v20, v10
	v_cmpx_gt_u32_e32 8, v12
; %bb.3508:                             ;   in Loop: Header=BB232_2076 Depth=1
	v_ffbh_u32_e32 v9, v10
	v_min_u32_e32 v9, 32, v9
	v_subrev_nc_u32_e32 v12, 28, v9
	v_sub_nc_u32_e32 v9, 29, v9
	v_lshlrev_b64 v[20:21], v12, v[10:11]
	v_and_b32_e32 v20, 7, v20
; %bb.3509:                             ;   in Loop: Header=BB232_2076 Depth=1
	s_or_b32 exec_lo, exec_lo, s22
	v_lshlrev_b32_e32 v10, 24, v8
	v_lshlrev_b32_e32 v12, 20, v20
	v_lshl_add_u32 v9, v9, 23, 0x3c000000
	v_and_b32_e32 v10, 0x80000000, v10
	v_or3_b32 v10, v12, v10, v9
	v_mov_b32_e32 v21, v11
	v_mov_b32_e32 v20, v10
.LBB232_3510:                           ;   in Loop: Header=BB232_2076 Depth=1
	s_or_b32 exec_lo, exec_lo, s21
.LBB232_3511:                           ;   in Loop: Header=BB232_2076 Depth=1
	s_or_b32 exec_lo, exec_lo, s20
.LBB232_3512:                           ;   in Loop: Header=BB232_2076 Depth=1
	s_or_b32 exec_lo, exec_lo, s19
	v_cmp_ne_u16_sdwa s8, v8, v11 src0_sel:BYTE_1 src1_sel:DWORD
	s_and_saveexec_b32 s19, s8
	s_cbranch_execz .LBB232_3520
; %bb.3513:                             ;   in Loop: Header=BB232_2076 Depth=1
	v_mov_b32_e32 v12, v11
	v_mov_b32_e32 v23, v13
	v_cmp_ne_u16_sdwa s8, v8, v74 src0_sel:BYTE_1 src1_sel:DWORD
	v_mov_b32_e32 v22, v12
	s_and_saveexec_b32 s20, s8
	s_cbranch_execz .LBB232_3519
; %bb.3514:                             ;   in Loop: Header=BB232_2076 Depth=1
	v_and_b32_sdwa v9, v75, v8 dst_sel:DWORD dst_unused:UNUSED_PAD src0_sel:DWORD src1_sel:BYTE_1
	v_mov_b32_e32 v14, v11
	v_mov_b32_e32 v23, v15
	s_mov_b32 s21, exec_lo
	v_and_b32_e32 v12, 0x7f, v9
	v_mov_b32_e32 v22, v14
	v_cmpx_ne_u32_e32 0x7f, v12
	s_cbranch_execz .LBB232_3518
; %bb.3515:                             ;   in Loop: Header=BB232_2076 Depth=1
	v_and_b32_e32 v10, 7, v9
	v_mov_b32_e32 v23, v11
	v_lshrrev_b32_e32 v9, 3, v12
	s_mov_b32 s22, exec_lo
	v_mov_b32_e32 v22, v10
	v_cmpx_gt_u32_e32 8, v12
; %bb.3516:                             ;   in Loop: Header=BB232_2076 Depth=1
	v_ffbh_u32_e32 v9, v10
	v_min_u32_e32 v9, 32, v9
	v_subrev_nc_u32_e32 v12, 28, v9
	v_sub_nc_u32_e32 v9, 29, v9
	v_lshlrev_b64 v[22:23], v12, v[10:11]
	v_and_b32_e32 v22, 7, v22
; %bb.3517:                             ;   in Loop: Header=BB232_2076 Depth=1
	s_or_b32 exec_lo, exec_lo, s22
	v_lshlrev_b32_e32 v10, 16, v8
	v_lshlrev_b32_e32 v12, 20, v22
	v_lshl_add_u32 v9, v9, 23, 0x3c000000
	v_mov_b32_e32 v22, v11
	v_and_b32_e32 v10, 0x80000000, v10
	v_or3_b32 v23, v12, v10, v9
.LBB232_3518:                           ;   in Loop: Header=BB232_2076 Depth=1
	s_or_b32 exec_lo, exec_lo, s21
.LBB232_3519:                           ;   in Loop: Header=BB232_2076 Depth=1
	s_or_b32 exec_lo, exec_lo, s20
.LBB232_3520:                           ;   in Loop: Header=BB232_2076 Depth=1
	s_or_b32 exec_lo, exec_lo, s19
	v_mov_b32_e32 v24, 0
	v_mov_b32_e32 v26, 0
	v_and_b32_sdwa v9, v8, v76 dst_sel:DWORD dst_unused:UNUSED_PAD src0_sel:WORD_1 src1_sel:DWORD
	v_mov_b32_e32 v25, 0
	v_mov_b32_e32 v27, 0
	s_mov_b32 s19, exec_lo
	v_cmpx_ne_u16_e32 0, v9
	s_cbranch_execz .LBB232_3528
; %bb.3521:                             ;   in Loop: Header=BB232_2076 Depth=1
	v_bfrev_b32_e32 v26, 1
	v_mov_b32_e32 v27, 0
	s_mov_b32 s20, exec_lo
	v_cmpx_ne_u16_e32 0x80, v9
	s_cbranch_execz .LBB232_3527
; %bb.3522:                             ;   in Loop: Header=BB232_2076 Depth=1
	v_mov_b32_e32 v26, 0x7f800001
	v_bfe_u32 v12, v8, 16, 7
	v_mov_b32_e32 v27, 0
	s_mov_b32 s21, exec_lo
	v_cmpx_ne_u32_e32 0x7f, v12
	s_cbranch_execz .LBB232_3526
; %bb.3523:                             ;   in Loop: Header=BB232_2076 Depth=1
	v_and_b32_sdwa v10, v8, v77 dst_sel:DWORD dst_unused:UNUSED_PAD src0_sel:WORD_1 src1_sel:DWORD
	v_mov_b32_e32 v27, v11
	v_lshrrev_b32_e32 v9, 3, v12
	s_mov_b32 s22, exec_lo
	v_mov_b32_e32 v26, v10
	v_cmpx_gt_u32_e32 8, v12
; %bb.3524:                             ;   in Loop: Header=BB232_2076 Depth=1
	v_ffbh_u32_e32 v9, v10
	v_min_u32_e32 v9, 32, v9
	v_subrev_nc_u32_e32 v12, 28, v9
	v_sub_nc_u32_e32 v9, 29, v9
	v_lshlrev_b64 v[26:27], v12, v[10:11]
	v_and_b32_e32 v26, 7, v26
; %bb.3525:                             ;   in Loop: Header=BB232_2076 Depth=1
	s_or_b32 exec_lo, exec_lo, s22
	v_lshlrev_b32_sdwa v10, v78, v8 dst_sel:DWORD dst_unused:UNUSED_PAD src0_sel:DWORD src1_sel:WORD_1
	v_lshlrev_b32_e32 v12, 20, v26
	v_lshl_add_u32 v9, v9, 23, 0x3c000000
	v_and_b32_e32 v10, 0x80000000, v10
	v_or3_b32 v10, v12, v10, v9
	v_mov_b32_e32 v27, v11
	v_mov_b32_e32 v26, v10
.LBB232_3526:                           ;   in Loop: Header=BB232_2076 Depth=1
	s_or_b32 exec_lo, exec_lo, s21
.LBB232_3527:                           ;   in Loop: Header=BB232_2076 Depth=1
	s_or_b32 exec_lo, exec_lo, s20
.LBB232_3528:                           ;   in Loop: Header=BB232_2076 Depth=1
	s_or_b32 exec_lo, exec_lo, s19
	s_mov_b32 s19, exec_lo
	v_cmpx_lt_u32_e32 0xffffff, v8
	s_cbranch_execz .LBB232_3536
; %bb.3529:                             ;   in Loop: Header=BB232_2076 Depth=1
	v_mov_b32_e32 v12, v11
	v_mov_b32_e32 v25, v13
	v_cmp_ne_u32_sdwa s8, v8, v74 src0_sel:BYTE_3 src1_sel:DWORD
	v_mov_b32_e32 v24, v12
	s_and_saveexec_b32 s20, s8
	s_cbranch_execz .LBB232_3535
; %bb.3530:                             ;   in Loop: Header=BB232_2076 Depth=1
	v_mov_b32_e32 v14, v11
	v_mov_b32_e32 v25, v15
	v_bfe_u32 v12, v8, 24, 7
	s_mov_b32 s21, exec_lo
	v_mov_b32_e32 v24, v14
	v_cmpx_ne_u32_e32 0x7f, v12
	s_cbranch_execz .LBB232_3534
; %bb.3531:                             ;   in Loop: Header=BB232_2076 Depth=1
	v_and_b32_sdwa v10, v8, v77 dst_sel:DWORD dst_unused:UNUSED_PAD src0_sel:BYTE_3 src1_sel:DWORD
	v_mov_b32_e32 v25, v11
	v_lshrrev_b32_e32 v9, 3, v12
	s_mov_b32 s22, exec_lo
	v_mov_b32_e32 v24, v10
	v_cmpx_gt_u32_e32 8, v12
; %bb.3532:                             ;   in Loop: Header=BB232_2076 Depth=1
	v_ffbh_u32_e32 v9, v10
	v_min_u32_e32 v9, 32, v9
	v_subrev_nc_u32_e32 v12, 28, v9
	v_sub_nc_u32_e32 v9, 29, v9
	v_lshlrev_b64 v[24:25], v12, v[10:11]
	v_and_b32_e32 v24, 7, v24
; %bb.3533:                             ;   in Loop: Header=BB232_2076 Depth=1
	s_or_b32 exec_lo, exec_lo, s22
	v_lshlrev_b32_sdwa v8, v78, v8 dst_sel:DWORD dst_unused:UNUSED_PAD src0_sel:DWORD src1_sel:BYTE_3
	v_lshlrev_b32_e32 v10, 20, v24
	v_lshl_add_u32 v9, v9, 23, 0x3c000000
	v_mov_b32_e32 v24, v11
	v_and_b32_e32 v8, 0x80000000, v8
	v_or3_b32 v25, v10, v8, v9
.LBB232_3534:                           ;   in Loop: Header=BB232_2076 Depth=1
	s_or_b32 exec_lo, exec_lo, s21
.LBB232_3535:                           ;   in Loop: Header=BB232_2076 Depth=1
	s_or_b32 exec_lo, exec_lo, s20
.LBB232_3536:                           ;   in Loop: Header=BB232_2076 Depth=1
	s_or_b32 exec_lo, exec_lo, s19
	v_or_b32_e32 v8, v23, v21
	v_or_b32_e32 v9, v22, v20
	;; [unrolled: 1-line block ×4, first 2 shown]
	v_mul_f32_e32 v67, v92, v8
	v_mul_f32_e32 v66, v73, v9
	;; [unrolled: 1-line block ×4, first 2 shown]
	s_and_saveexec_b32 s8, s6
; %bb.3537:                             ;   in Loop: Header=BB232_2076 Depth=1
	v_cndmask_b32_e32 v66, 0, v66, vcc_lo
	v_cndmask_b32_e64 v67, 0, v67, s4
	v_cndmask_b32_e64 v65, 0, v65, s5
	;; [unrolled: 1-line block ×3, first 2 shown]
; %bb.3538:                             ;   in Loop: Header=BB232_2076 Depth=1
	s_or_b32 exec_lo, exec_lo, s8
	flat_load_dword v8, v[18:19] offset:1408
	v_mov_b32_e32 v22, 0
	v_mov_b32_e32 v20, 0
	;; [unrolled: 1-line block ×4, first 2 shown]
	s_waitcnt vmcnt(0) lgkmcnt(0)
	v_cmp_ne_u16_sdwa s8, v8, v11 src0_sel:BYTE_0 src1_sel:DWORD
	s_and_saveexec_b32 s19, s8
	s_cbranch_execz .LBB232_3546
; %bb.3539:                             ;   in Loop: Header=BB232_2076 Depth=1
	v_bfrev_b32_e32 v20, 1
	v_mov_b32_e32 v21, 0
	v_cmp_ne_u16_sdwa s8, v8, v74 src0_sel:BYTE_0 src1_sel:DWORD
	s_and_saveexec_b32 s20, s8
	s_cbranch_execz .LBB232_3545
; %bb.3540:                             ;   in Loop: Header=BB232_2076 Depth=1
	v_mov_b32_e32 v20, 0x7f800001
	v_and_b32_e32 v12, 0x7f, v8
	v_mov_b32_e32 v21, 0
	s_mov_b32 s21, exec_lo
	v_cmpx_ne_u32_e32 0x7f, v12
	s_cbranch_execz .LBB232_3544
; %bb.3541:                             ;   in Loop: Header=BB232_2076 Depth=1
	v_and_b32_e32 v10, 7, v8
	v_mov_b32_e32 v21, v11
	v_lshrrev_b32_e32 v9, 3, v12
	s_mov_b32 s22, exec_lo
	v_mov_b32_e32 v20, v10
	v_cmpx_gt_u32_e32 8, v12
; %bb.3542:                             ;   in Loop: Header=BB232_2076 Depth=1
	v_ffbh_u32_e32 v9, v10
	v_min_u32_e32 v9, 32, v9
	v_subrev_nc_u32_e32 v12, 28, v9
	v_sub_nc_u32_e32 v9, 29, v9
	v_lshlrev_b64 v[20:21], v12, v[10:11]
	v_and_b32_e32 v20, 7, v20
; %bb.3543:                             ;   in Loop: Header=BB232_2076 Depth=1
	s_or_b32 exec_lo, exec_lo, s22
	v_lshlrev_b32_e32 v10, 24, v8
	v_lshlrev_b32_e32 v12, 20, v20
	v_lshl_add_u32 v9, v9, 23, 0x3c000000
	v_and_b32_e32 v10, 0x80000000, v10
	v_or3_b32 v10, v12, v10, v9
	v_mov_b32_e32 v21, v11
	v_mov_b32_e32 v20, v10
.LBB232_3544:                           ;   in Loop: Header=BB232_2076 Depth=1
	s_or_b32 exec_lo, exec_lo, s21
.LBB232_3545:                           ;   in Loop: Header=BB232_2076 Depth=1
	s_or_b32 exec_lo, exec_lo, s20
.LBB232_3546:                           ;   in Loop: Header=BB232_2076 Depth=1
	s_or_b32 exec_lo, exec_lo, s19
	v_cmp_ne_u16_sdwa s8, v8, v11 src0_sel:BYTE_1 src1_sel:DWORD
	s_and_saveexec_b32 s19, s8
	s_cbranch_execz .LBB232_3554
; %bb.3547:                             ;   in Loop: Header=BB232_2076 Depth=1
	v_mov_b32_e32 v12, v11
	v_mov_b32_e32 v23, v13
	v_cmp_ne_u16_sdwa s8, v8, v74 src0_sel:BYTE_1 src1_sel:DWORD
	v_mov_b32_e32 v22, v12
	s_and_saveexec_b32 s20, s8
	s_cbranch_execz .LBB232_3553
; %bb.3548:                             ;   in Loop: Header=BB232_2076 Depth=1
	v_and_b32_sdwa v9, v75, v8 dst_sel:DWORD dst_unused:UNUSED_PAD src0_sel:DWORD src1_sel:BYTE_1
	v_mov_b32_e32 v14, v11
	v_mov_b32_e32 v23, v15
	s_mov_b32 s21, exec_lo
	v_and_b32_e32 v12, 0x7f, v9
	v_mov_b32_e32 v22, v14
	v_cmpx_ne_u32_e32 0x7f, v12
	s_cbranch_execz .LBB232_3552
; %bb.3549:                             ;   in Loop: Header=BB232_2076 Depth=1
	v_and_b32_e32 v10, 7, v9
	v_mov_b32_e32 v23, v11
	v_lshrrev_b32_e32 v9, 3, v12
	s_mov_b32 s22, exec_lo
	v_mov_b32_e32 v22, v10
	v_cmpx_gt_u32_e32 8, v12
; %bb.3550:                             ;   in Loop: Header=BB232_2076 Depth=1
	v_ffbh_u32_e32 v9, v10
	v_min_u32_e32 v9, 32, v9
	v_subrev_nc_u32_e32 v12, 28, v9
	v_sub_nc_u32_e32 v9, 29, v9
	v_lshlrev_b64 v[22:23], v12, v[10:11]
	v_and_b32_e32 v22, 7, v22
; %bb.3551:                             ;   in Loop: Header=BB232_2076 Depth=1
	s_or_b32 exec_lo, exec_lo, s22
	v_lshlrev_b32_e32 v10, 16, v8
	v_lshlrev_b32_e32 v12, 20, v22
	v_lshl_add_u32 v9, v9, 23, 0x3c000000
	v_mov_b32_e32 v22, v11
	v_and_b32_e32 v10, 0x80000000, v10
	v_or3_b32 v23, v12, v10, v9
.LBB232_3552:                           ;   in Loop: Header=BB232_2076 Depth=1
	s_or_b32 exec_lo, exec_lo, s21
.LBB232_3553:                           ;   in Loop: Header=BB232_2076 Depth=1
	s_or_b32 exec_lo, exec_lo, s20
.LBB232_3554:                           ;   in Loop: Header=BB232_2076 Depth=1
	s_or_b32 exec_lo, exec_lo, s19
	v_mov_b32_e32 v24, 0
	v_mov_b32_e32 v26, 0
	v_and_b32_sdwa v9, v8, v76 dst_sel:DWORD dst_unused:UNUSED_PAD src0_sel:WORD_1 src1_sel:DWORD
	v_mov_b32_e32 v25, 0
	v_mov_b32_e32 v27, 0
	s_mov_b32 s19, exec_lo
	v_cmpx_ne_u16_e32 0, v9
	s_cbranch_execz .LBB232_3562
; %bb.3555:                             ;   in Loop: Header=BB232_2076 Depth=1
	v_bfrev_b32_e32 v26, 1
	v_mov_b32_e32 v27, 0
	s_mov_b32 s20, exec_lo
	v_cmpx_ne_u16_e32 0x80, v9
	s_cbranch_execz .LBB232_3561
; %bb.3556:                             ;   in Loop: Header=BB232_2076 Depth=1
	v_mov_b32_e32 v26, 0x7f800001
	v_bfe_u32 v12, v8, 16, 7
	v_mov_b32_e32 v27, 0
	s_mov_b32 s21, exec_lo
	v_cmpx_ne_u32_e32 0x7f, v12
	s_cbranch_execz .LBB232_3560
; %bb.3557:                             ;   in Loop: Header=BB232_2076 Depth=1
	v_and_b32_sdwa v10, v8, v77 dst_sel:DWORD dst_unused:UNUSED_PAD src0_sel:WORD_1 src1_sel:DWORD
	v_mov_b32_e32 v27, v11
	v_lshrrev_b32_e32 v9, 3, v12
	s_mov_b32 s22, exec_lo
	v_mov_b32_e32 v26, v10
	v_cmpx_gt_u32_e32 8, v12
; %bb.3558:                             ;   in Loop: Header=BB232_2076 Depth=1
	v_ffbh_u32_e32 v9, v10
	v_min_u32_e32 v9, 32, v9
	v_subrev_nc_u32_e32 v12, 28, v9
	v_sub_nc_u32_e32 v9, 29, v9
	v_lshlrev_b64 v[26:27], v12, v[10:11]
	v_and_b32_e32 v26, 7, v26
; %bb.3559:                             ;   in Loop: Header=BB232_2076 Depth=1
	s_or_b32 exec_lo, exec_lo, s22
	v_lshlrev_b32_sdwa v10, v78, v8 dst_sel:DWORD dst_unused:UNUSED_PAD src0_sel:DWORD src1_sel:WORD_1
	v_lshlrev_b32_e32 v12, 20, v26
	v_lshl_add_u32 v9, v9, 23, 0x3c000000
	v_and_b32_e32 v10, 0x80000000, v10
	v_or3_b32 v10, v12, v10, v9
	v_mov_b32_e32 v27, v11
	v_mov_b32_e32 v26, v10
.LBB232_3560:                           ;   in Loop: Header=BB232_2076 Depth=1
	s_or_b32 exec_lo, exec_lo, s21
.LBB232_3561:                           ;   in Loop: Header=BB232_2076 Depth=1
	s_or_b32 exec_lo, exec_lo, s20
.LBB232_3562:                           ;   in Loop: Header=BB232_2076 Depth=1
	s_or_b32 exec_lo, exec_lo, s19
	s_mov_b32 s19, exec_lo
	v_cmpx_lt_u32_e32 0xffffff, v8
	s_cbranch_execz .LBB232_3570
; %bb.3563:                             ;   in Loop: Header=BB232_2076 Depth=1
	v_mov_b32_e32 v12, v11
	v_mov_b32_e32 v25, v13
	v_cmp_ne_u32_sdwa s8, v8, v74 src0_sel:BYTE_3 src1_sel:DWORD
	v_mov_b32_e32 v24, v12
	s_and_saveexec_b32 s20, s8
	s_cbranch_execz .LBB232_3569
; %bb.3564:                             ;   in Loop: Header=BB232_2076 Depth=1
	v_mov_b32_e32 v14, v11
	v_mov_b32_e32 v25, v15
	v_bfe_u32 v12, v8, 24, 7
	s_mov_b32 s21, exec_lo
	v_mov_b32_e32 v24, v14
	v_cmpx_ne_u32_e32 0x7f, v12
	s_cbranch_execz .LBB232_3568
; %bb.3565:                             ;   in Loop: Header=BB232_2076 Depth=1
	v_and_b32_sdwa v10, v8, v77 dst_sel:DWORD dst_unused:UNUSED_PAD src0_sel:BYTE_3 src1_sel:DWORD
	v_mov_b32_e32 v25, v11
	v_lshrrev_b32_e32 v9, 3, v12
	s_mov_b32 s22, exec_lo
	v_mov_b32_e32 v24, v10
	v_cmpx_gt_u32_e32 8, v12
; %bb.3566:                             ;   in Loop: Header=BB232_2076 Depth=1
	v_ffbh_u32_e32 v9, v10
	v_min_u32_e32 v9, 32, v9
	v_subrev_nc_u32_e32 v12, 28, v9
	v_sub_nc_u32_e32 v9, 29, v9
	v_lshlrev_b64 v[24:25], v12, v[10:11]
	v_and_b32_e32 v24, 7, v24
; %bb.3567:                             ;   in Loop: Header=BB232_2076 Depth=1
	s_or_b32 exec_lo, exec_lo, s22
	v_lshlrev_b32_sdwa v8, v78, v8 dst_sel:DWORD dst_unused:UNUSED_PAD src0_sel:DWORD src1_sel:BYTE_3
	v_lshlrev_b32_e32 v10, 20, v24
	v_lshl_add_u32 v9, v9, 23, 0x3c000000
	v_mov_b32_e32 v24, v11
	v_and_b32_e32 v8, 0x80000000, v8
	v_or3_b32 v25, v10, v8, v9
.LBB232_3568:                           ;   in Loop: Header=BB232_2076 Depth=1
	s_or_b32 exec_lo, exec_lo, s21
.LBB232_3569:                           ;   in Loop: Header=BB232_2076 Depth=1
	s_or_b32 exec_lo, exec_lo, s20
.LBB232_3570:                           ;   in Loop: Header=BB232_2076 Depth=1
	s_or_b32 exec_lo, exec_lo, s19
	v_or_b32_e32 v8, v23, v21
	v_or_b32_e32 v9, v22, v20
	;; [unrolled: 1-line block ×4, first 2 shown]
	v_mul_f32_e32 v71, v92, v8
	v_mul_f32_e32 v70, v73, v9
	;; [unrolled: 1-line block ×4, first 2 shown]
	s_and_saveexec_b32 s8, s6
; %bb.3571:                             ;   in Loop: Header=BB232_2076 Depth=1
	v_cndmask_b32_e32 v70, 0, v70, vcc_lo
	v_cndmask_b32_e64 v71, 0, v71, s4
	v_cndmask_b32_e64 v69, 0, v69, s5
	;; [unrolled: 1-line block ×3, first 2 shown]
; %bb.3572:                             ;   in Loop: Header=BB232_2076 Depth=1
	s_or_b32 exec_lo, exec_lo, s8
	flat_load_dword v8, v[18:19] offset:1536
	v_mov_b32_e32 v22, 0
	v_mov_b32_e32 v20, 0
	;; [unrolled: 1-line block ×4, first 2 shown]
	s_waitcnt vmcnt(0) lgkmcnt(0)
	v_cmp_ne_u16_sdwa s8, v8, v11 src0_sel:BYTE_0 src1_sel:DWORD
	s_and_saveexec_b32 s19, s8
	s_cbranch_execz .LBB232_3580
; %bb.3573:                             ;   in Loop: Header=BB232_2076 Depth=1
	v_bfrev_b32_e32 v20, 1
	v_mov_b32_e32 v21, 0
	v_cmp_ne_u16_sdwa s8, v8, v74 src0_sel:BYTE_0 src1_sel:DWORD
	s_and_saveexec_b32 s20, s8
	s_cbranch_execz .LBB232_3579
; %bb.3574:                             ;   in Loop: Header=BB232_2076 Depth=1
	v_mov_b32_e32 v20, 0x7f800001
	v_and_b32_e32 v12, 0x7f, v8
	v_mov_b32_e32 v21, 0
	s_mov_b32 s21, exec_lo
	v_cmpx_ne_u32_e32 0x7f, v12
	s_cbranch_execz .LBB232_3578
; %bb.3575:                             ;   in Loop: Header=BB232_2076 Depth=1
	v_and_b32_e32 v10, 7, v8
	v_mov_b32_e32 v21, v11
	v_lshrrev_b32_e32 v9, 3, v12
	s_mov_b32 s22, exec_lo
	v_mov_b32_e32 v20, v10
	v_cmpx_gt_u32_e32 8, v12
; %bb.3576:                             ;   in Loop: Header=BB232_2076 Depth=1
	v_ffbh_u32_e32 v9, v10
	v_min_u32_e32 v9, 32, v9
	v_subrev_nc_u32_e32 v12, 28, v9
	v_sub_nc_u32_e32 v9, 29, v9
	v_lshlrev_b64 v[20:21], v12, v[10:11]
	v_and_b32_e32 v20, 7, v20
; %bb.3577:                             ;   in Loop: Header=BB232_2076 Depth=1
	s_or_b32 exec_lo, exec_lo, s22
	v_lshlrev_b32_e32 v10, 24, v8
	v_lshlrev_b32_e32 v12, 20, v20
	v_lshl_add_u32 v9, v9, 23, 0x3c000000
	v_and_b32_e32 v10, 0x80000000, v10
	v_or3_b32 v10, v12, v10, v9
	v_mov_b32_e32 v21, v11
	v_mov_b32_e32 v20, v10
.LBB232_3578:                           ;   in Loop: Header=BB232_2076 Depth=1
	s_or_b32 exec_lo, exec_lo, s21
.LBB232_3579:                           ;   in Loop: Header=BB232_2076 Depth=1
	s_or_b32 exec_lo, exec_lo, s20
.LBB232_3580:                           ;   in Loop: Header=BB232_2076 Depth=1
	s_or_b32 exec_lo, exec_lo, s19
	v_cmp_ne_u16_sdwa s8, v8, v11 src0_sel:BYTE_1 src1_sel:DWORD
	s_and_saveexec_b32 s19, s8
	s_cbranch_execz .LBB232_3588
; %bb.3581:                             ;   in Loop: Header=BB232_2076 Depth=1
	v_mov_b32_e32 v12, v11
	v_mov_b32_e32 v23, v13
	v_cmp_ne_u16_sdwa s8, v8, v74 src0_sel:BYTE_1 src1_sel:DWORD
	v_mov_b32_e32 v22, v12
	s_and_saveexec_b32 s20, s8
	s_cbranch_execz .LBB232_3587
; %bb.3582:                             ;   in Loop: Header=BB232_2076 Depth=1
	v_and_b32_sdwa v9, v75, v8 dst_sel:DWORD dst_unused:UNUSED_PAD src0_sel:DWORD src1_sel:BYTE_1
	v_mov_b32_e32 v14, v11
	v_mov_b32_e32 v23, v15
	s_mov_b32 s21, exec_lo
	v_and_b32_e32 v12, 0x7f, v9
	v_mov_b32_e32 v22, v14
	v_cmpx_ne_u32_e32 0x7f, v12
	s_cbranch_execz .LBB232_3586
; %bb.3583:                             ;   in Loop: Header=BB232_2076 Depth=1
	v_and_b32_e32 v10, 7, v9
	v_mov_b32_e32 v23, v11
	v_lshrrev_b32_e32 v9, 3, v12
	s_mov_b32 s22, exec_lo
	v_mov_b32_e32 v22, v10
	v_cmpx_gt_u32_e32 8, v12
; %bb.3584:                             ;   in Loop: Header=BB232_2076 Depth=1
	v_ffbh_u32_e32 v9, v10
	v_min_u32_e32 v9, 32, v9
	v_subrev_nc_u32_e32 v12, 28, v9
	v_sub_nc_u32_e32 v9, 29, v9
	v_lshlrev_b64 v[22:23], v12, v[10:11]
	v_and_b32_e32 v22, 7, v22
; %bb.3585:                             ;   in Loop: Header=BB232_2076 Depth=1
	s_or_b32 exec_lo, exec_lo, s22
	v_lshlrev_b32_e32 v10, 16, v8
	v_lshlrev_b32_e32 v12, 20, v22
	v_lshl_add_u32 v9, v9, 23, 0x3c000000
	v_mov_b32_e32 v22, v11
	v_and_b32_e32 v10, 0x80000000, v10
	v_or3_b32 v23, v12, v10, v9
.LBB232_3586:                           ;   in Loop: Header=BB232_2076 Depth=1
	s_or_b32 exec_lo, exec_lo, s21
.LBB232_3587:                           ;   in Loop: Header=BB232_2076 Depth=1
	s_or_b32 exec_lo, exec_lo, s20
.LBB232_3588:                           ;   in Loop: Header=BB232_2076 Depth=1
	s_or_b32 exec_lo, exec_lo, s19
	v_mov_b32_e32 v24, 0
	v_mov_b32_e32 v26, 0
	v_and_b32_sdwa v9, v8, v76 dst_sel:DWORD dst_unused:UNUSED_PAD src0_sel:WORD_1 src1_sel:DWORD
	v_mov_b32_e32 v25, 0
	v_mov_b32_e32 v27, 0
	s_mov_b32 s19, exec_lo
	v_cmpx_ne_u16_e32 0, v9
	s_cbranch_execz .LBB232_3596
; %bb.3589:                             ;   in Loop: Header=BB232_2076 Depth=1
	v_bfrev_b32_e32 v26, 1
	v_mov_b32_e32 v27, 0
	s_mov_b32 s20, exec_lo
	v_cmpx_ne_u16_e32 0x80, v9
	s_cbranch_execz .LBB232_3595
; %bb.3590:                             ;   in Loop: Header=BB232_2076 Depth=1
	v_mov_b32_e32 v26, 0x7f800001
	v_bfe_u32 v12, v8, 16, 7
	v_mov_b32_e32 v27, 0
	s_mov_b32 s21, exec_lo
	v_cmpx_ne_u32_e32 0x7f, v12
	s_cbranch_execz .LBB232_3594
; %bb.3591:                             ;   in Loop: Header=BB232_2076 Depth=1
	v_and_b32_sdwa v10, v8, v77 dst_sel:DWORD dst_unused:UNUSED_PAD src0_sel:WORD_1 src1_sel:DWORD
	v_mov_b32_e32 v27, v11
	v_lshrrev_b32_e32 v9, 3, v12
	s_mov_b32 s22, exec_lo
	v_mov_b32_e32 v26, v10
	v_cmpx_gt_u32_e32 8, v12
; %bb.3592:                             ;   in Loop: Header=BB232_2076 Depth=1
	v_ffbh_u32_e32 v9, v10
	v_min_u32_e32 v9, 32, v9
	v_subrev_nc_u32_e32 v12, 28, v9
	v_sub_nc_u32_e32 v9, 29, v9
	v_lshlrev_b64 v[26:27], v12, v[10:11]
	v_and_b32_e32 v26, 7, v26
; %bb.3593:                             ;   in Loop: Header=BB232_2076 Depth=1
	s_or_b32 exec_lo, exec_lo, s22
	v_lshlrev_b32_sdwa v10, v78, v8 dst_sel:DWORD dst_unused:UNUSED_PAD src0_sel:DWORD src1_sel:WORD_1
	v_lshlrev_b32_e32 v12, 20, v26
	v_lshl_add_u32 v9, v9, 23, 0x3c000000
	v_and_b32_e32 v10, 0x80000000, v10
	v_or3_b32 v10, v12, v10, v9
	v_mov_b32_e32 v27, v11
	v_mov_b32_e32 v26, v10
.LBB232_3594:                           ;   in Loop: Header=BB232_2076 Depth=1
	s_or_b32 exec_lo, exec_lo, s21
.LBB232_3595:                           ;   in Loop: Header=BB232_2076 Depth=1
	s_or_b32 exec_lo, exec_lo, s20
.LBB232_3596:                           ;   in Loop: Header=BB232_2076 Depth=1
	s_or_b32 exec_lo, exec_lo, s19
	s_mov_b32 s19, exec_lo
	v_cmpx_lt_u32_e32 0xffffff, v8
	s_cbranch_execz .LBB232_3604
; %bb.3597:                             ;   in Loop: Header=BB232_2076 Depth=1
	v_mov_b32_e32 v12, v11
	v_mov_b32_e32 v25, v13
	v_cmp_ne_u32_sdwa s8, v8, v74 src0_sel:BYTE_3 src1_sel:DWORD
	v_mov_b32_e32 v24, v12
	s_and_saveexec_b32 s20, s8
	s_cbranch_execz .LBB232_3603
; %bb.3598:                             ;   in Loop: Header=BB232_2076 Depth=1
	v_mov_b32_e32 v14, v11
	v_mov_b32_e32 v25, v15
	v_bfe_u32 v12, v8, 24, 7
	s_mov_b32 s21, exec_lo
	v_mov_b32_e32 v24, v14
	v_cmpx_ne_u32_e32 0x7f, v12
	s_cbranch_execz .LBB232_3602
; %bb.3599:                             ;   in Loop: Header=BB232_2076 Depth=1
	v_and_b32_sdwa v10, v8, v77 dst_sel:DWORD dst_unused:UNUSED_PAD src0_sel:BYTE_3 src1_sel:DWORD
	v_mov_b32_e32 v25, v11
	v_lshrrev_b32_e32 v9, 3, v12
	s_mov_b32 s22, exec_lo
	v_mov_b32_e32 v24, v10
	v_cmpx_gt_u32_e32 8, v12
; %bb.3600:                             ;   in Loop: Header=BB232_2076 Depth=1
	v_ffbh_u32_e32 v9, v10
	v_min_u32_e32 v9, 32, v9
	v_subrev_nc_u32_e32 v12, 28, v9
	v_sub_nc_u32_e32 v9, 29, v9
	v_lshlrev_b64 v[24:25], v12, v[10:11]
	v_and_b32_e32 v24, 7, v24
; %bb.3601:                             ;   in Loop: Header=BB232_2076 Depth=1
	s_or_b32 exec_lo, exec_lo, s22
	v_lshlrev_b32_sdwa v8, v78, v8 dst_sel:DWORD dst_unused:UNUSED_PAD src0_sel:DWORD src1_sel:BYTE_3
	v_lshlrev_b32_e32 v10, 20, v24
	v_lshl_add_u32 v9, v9, 23, 0x3c000000
	v_mov_b32_e32 v24, v11
	v_and_b32_e32 v8, 0x80000000, v8
	v_or3_b32 v25, v10, v8, v9
.LBB232_3602:                           ;   in Loop: Header=BB232_2076 Depth=1
	s_or_b32 exec_lo, exec_lo, s21
.LBB232_3603:                           ;   in Loop: Header=BB232_2076 Depth=1
	s_or_b32 exec_lo, exec_lo, s20
.LBB232_3604:                           ;   in Loop: Header=BB232_2076 Depth=1
	s_or_b32 exec_lo, exec_lo, s19
	v_or_b32_e32 v8, v23, v21
	v_or_b32_e32 v9, v22, v20
	;; [unrolled: 1-line block ×4, first 2 shown]
	v_mul_f32_e32 v83, v92, v8
	v_mul_f32_e32 v82, v73, v9
	;; [unrolled: 1-line block ×4, first 2 shown]
	s_and_saveexec_b32 s8, s6
; %bb.3605:                             ;   in Loop: Header=BB232_2076 Depth=1
	v_cndmask_b32_e32 v82, 0, v82, vcc_lo
	v_cndmask_b32_e64 v83, 0, v83, s4
	v_cndmask_b32_e64 v81, 0, v81, s5
	;; [unrolled: 1-line block ×3, first 2 shown]
; %bb.3606:                             ;   in Loop: Header=BB232_2076 Depth=1
	s_or_b32 exec_lo, exec_lo, s8
	flat_load_dword v8, v[18:19] offset:1664
	v_mov_b32_e32 v22, 0
	v_mov_b32_e32 v20, 0
	;; [unrolled: 1-line block ×4, first 2 shown]
	s_waitcnt vmcnt(0) lgkmcnt(0)
	v_cmp_ne_u16_sdwa s8, v8, v11 src0_sel:BYTE_0 src1_sel:DWORD
	s_and_saveexec_b32 s19, s8
	s_cbranch_execz .LBB232_3614
; %bb.3607:                             ;   in Loop: Header=BB232_2076 Depth=1
	v_bfrev_b32_e32 v20, 1
	v_mov_b32_e32 v21, 0
	v_cmp_ne_u16_sdwa s8, v8, v74 src0_sel:BYTE_0 src1_sel:DWORD
	s_and_saveexec_b32 s20, s8
	s_cbranch_execz .LBB232_3613
; %bb.3608:                             ;   in Loop: Header=BB232_2076 Depth=1
	v_mov_b32_e32 v20, 0x7f800001
	v_and_b32_e32 v12, 0x7f, v8
	v_mov_b32_e32 v21, 0
	s_mov_b32 s21, exec_lo
	v_cmpx_ne_u32_e32 0x7f, v12
	s_cbranch_execz .LBB232_3612
; %bb.3609:                             ;   in Loop: Header=BB232_2076 Depth=1
	v_and_b32_e32 v10, 7, v8
	v_mov_b32_e32 v21, v11
	v_lshrrev_b32_e32 v9, 3, v12
	s_mov_b32 s22, exec_lo
	v_mov_b32_e32 v20, v10
	v_cmpx_gt_u32_e32 8, v12
; %bb.3610:                             ;   in Loop: Header=BB232_2076 Depth=1
	v_ffbh_u32_e32 v9, v10
	v_min_u32_e32 v9, 32, v9
	v_subrev_nc_u32_e32 v12, 28, v9
	v_sub_nc_u32_e32 v9, 29, v9
	v_lshlrev_b64 v[20:21], v12, v[10:11]
	v_and_b32_e32 v20, 7, v20
; %bb.3611:                             ;   in Loop: Header=BB232_2076 Depth=1
	s_or_b32 exec_lo, exec_lo, s22
	v_lshlrev_b32_e32 v10, 24, v8
	v_lshlrev_b32_e32 v12, 20, v20
	v_lshl_add_u32 v9, v9, 23, 0x3c000000
	v_and_b32_e32 v10, 0x80000000, v10
	v_or3_b32 v10, v12, v10, v9
	v_mov_b32_e32 v21, v11
	v_mov_b32_e32 v20, v10
.LBB232_3612:                           ;   in Loop: Header=BB232_2076 Depth=1
	s_or_b32 exec_lo, exec_lo, s21
.LBB232_3613:                           ;   in Loop: Header=BB232_2076 Depth=1
	s_or_b32 exec_lo, exec_lo, s20
.LBB232_3614:                           ;   in Loop: Header=BB232_2076 Depth=1
	s_or_b32 exec_lo, exec_lo, s19
	v_cmp_ne_u16_sdwa s8, v8, v11 src0_sel:BYTE_1 src1_sel:DWORD
	s_and_saveexec_b32 s19, s8
	s_cbranch_execz .LBB232_3622
; %bb.3615:                             ;   in Loop: Header=BB232_2076 Depth=1
	v_mov_b32_e32 v12, v11
	v_mov_b32_e32 v23, v13
	v_cmp_ne_u16_sdwa s8, v8, v74 src0_sel:BYTE_1 src1_sel:DWORD
	v_mov_b32_e32 v22, v12
	s_and_saveexec_b32 s20, s8
	s_cbranch_execz .LBB232_3621
; %bb.3616:                             ;   in Loop: Header=BB232_2076 Depth=1
	v_and_b32_sdwa v9, v75, v8 dst_sel:DWORD dst_unused:UNUSED_PAD src0_sel:DWORD src1_sel:BYTE_1
	v_mov_b32_e32 v14, v11
	v_mov_b32_e32 v23, v15
	s_mov_b32 s21, exec_lo
	v_and_b32_e32 v12, 0x7f, v9
	v_mov_b32_e32 v22, v14
	v_cmpx_ne_u32_e32 0x7f, v12
	s_cbranch_execz .LBB232_3620
; %bb.3617:                             ;   in Loop: Header=BB232_2076 Depth=1
	v_and_b32_e32 v10, 7, v9
	v_mov_b32_e32 v23, v11
	v_lshrrev_b32_e32 v9, 3, v12
	s_mov_b32 s22, exec_lo
	v_mov_b32_e32 v22, v10
	v_cmpx_gt_u32_e32 8, v12
; %bb.3618:                             ;   in Loop: Header=BB232_2076 Depth=1
	v_ffbh_u32_e32 v9, v10
	v_min_u32_e32 v9, 32, v9
	v_subrev_nc_u32_e32 v12, 28, v9
	v_sub_nc_u32_e32 v9, 29, v9
	v_lshlrev_b64 v[22:23], v12, v[10:11]
	v_and_b32_e32 v22, 7, v22
; %bb.3619:                             ;   in Loop: Header=BB232_2076 Depth=1
	s_or_b32 exec_lo, exec_lo, s22
	v_lshlrev_b32_e32 v10, 16, v8
	v_lshlrev_b32_e32 v12, 20, v22
	v_lshl_add_u32 v9, v9, 23, 0x3c000000
	v_mov_b32_e32 v22, v11
	v_and_b32_e32 v10, 0x80000000, v10
	v_or3_b32 v23, v12, v10, v9
.LBB232_3620:                           ;   in Loop: Header=BB232_2076 Depth=1
	s_or_b32 exec_lo, exec_lo, s21
.LBB232_3621:                           ;   in Loop: Header=BB232_2076 Depth=1
	s_or_b32 exec_lo, exec_lo, s20
.LBB232_3622:                           ;   in Loop: Header=BB232_2076 Depth=1
	s_or_b32 exec_lo, exec_lo, s19
	v_mov_b32_e32 v24, 0
	v_mov_b32_e32 v26, 0
	v_and_b32_sdwa v9, v8, v76 dst_sel:DWORD dst_unused:UNUSED_PAD src0_sel:WORD_1 src1_sel:DWORD
	v_mov_b32_e32 v25, 0
	v_mov_b32_e32 v27, 0
	s_mov_b32 s19, exec_lo
	v_cmpx_ne_u16_e32 0, v9
	s_cbranch_execz .LBB232_3630
; %bb.3623:                             ;   in Loop: Header=BB232_2076 Depth=1
	v_bfrev_b32_e32 v26, 1
	v_mov_b32_e32 v27, 0
	s_mov_b32 s20, exec_lo
	v_cmpx_ne_u16_e32 0x80, v9
	s_cbranch_execz .LBB232_3629
; %bb.3624:                             ;   in Loop: Header=BB232_2076 Depth=1
	v_mov_b32_e32 v26, 0x7f800001
	v_bfe_u32 v12, v8, 16, 7
	v_mov_b32_e32 v27, 0
	s_mov_b32 s21, exec_lo
	v_cmpx_ne_u32_e32 0x7f, v12
	s_cbranch_execz .LBB232_3628
; %bb.3625:                             ;   in Loop: Header=BB232_2076 Depth=1
	v_and_b32_sdwa v10, v8, v77 dst_sel:DWORD dst_unused:UNUSED_PAD src0_sel:WORD_1 src1_sel:DWORD
	v_mov_b32_e32 v27, v11
	v_lshrrev_b32_e32 v9, 3, v12
	s_mov_b32 s22, exec_lo
	v_mov_b32_e32 v26, v10
	v_cmpx_gt_u32_e32 8, v12
; %bb.3626:                             ;   in Loop: Header=BB232_2076 Depth=1
	v_ffbh_u32_e32 v9, v10
	v_min_u32_e32 v9, 32, v9
	v_subrev_nc_u32_e32 v12, 28, v9
	v_sub_nc_u32_e32 v9, 29, v9
	v_lshlrev_b64 v[26:27], v12, v[10:11]
	v_and_b32_e32 v26, 7, v26
; %bb.3627:                             ;   in Loop: Header=BB232_2076 Depth=1
	s_or_b32 exec_lo, exec_lo, s22
	v_lshlrev_b32_sdwa v10, v78, v8 dst_sel:DWORD dst_unused:UNUSED_PAD src0_sel:DWORD src1_sel:WORD_1
	v_lshlrev_b32_e32 v12, 20, v26
	v_lshl_add_u32 v9, v9, 23, 0x3c000000
	v_and_b32_e32 v10, 0x80000000, v10
	v_or3_b32 v10, v12, v10, v9
	v_mov_b32_e32 v27, v11
	v_mov_b32_e32 v26, v10
.LBB232_3628:                           ;   in Loop: Header=BB232_2076 Depth=1
	s_or_b32 exec_lo, exec_lo, s21
.LBB232_3629:                           ;   in Loop: Header=BB232_2076 Depth=1
	s_or_b32 exec_lo, exec_lo, s20
.LBB232_3630:                           ;   in Loop: Header=BB232_2076 Depth=1
	s_or_b32 exec_lo, exec_lo, s19
	s_mov_b32 s19, exec_lo
	v_cmpx_lt_u32_e32 0xffffff, v8
	s_cbranch_execz .LBB232_3638
; %bb.3631:                             ;   in Loop: Header=BB232_2076 Depth=1
	v_mov_b32_e32 v12, v11
	v_mov_b32_e32 v25, v13
	v_cmp_ne_u32_sdwa s8, v8, v74 src0_sel:BYTE_3 src1_sel:DWORD
	v_mov_b32_e32 v24, v12
	s_and_saveexec_b32 s20, s8
	s_cbranch_execz .LBB232_3637
; %bb.3632:                             ;   in Loop: Header=BB232_2076 Depth=1
	v_mov_b32_e32 v14, v11
	v_mov_b32_e32 v25, v15
	v_bfe_u32 v12, v8, 24, 7
	s_mov_b32 s21, exec_lo
	v_mov_b32_e32 v24, v14
	v_cmpx_ne_u32_e32 0x7f, v12
	s_cbranch_execz .LBB232_3636
; %bb.3633:                             ;   in Loop: Header=BB232_2076 Depth=1
	v_and_b32_sdwa v10, v8, v77 dst_sel:DWORD dst_unused:UNUSED_PAD src0_sel:BYTE_3 src1_sel:DWORD
	v_mov_b32_e32 v25, v11
	v_lshrrev_b32_e32 v9, 3, v12
	s_mov_b32 s22, exec_lo
	v_mov_b32_e32 v24, v10
	v_cmpx_gt_u32_e32 8, v12
; %bb.3634:                             ;   in Loop: Header=BB232_2076 Depth=1
	v_ffbh_u32_e32 v9, v10
	v_min_u32_e32 v9, 32, v9
	v_subrev_nc_u32_e32 v12, 28, v9
	v_sub_nc_u32_e32 v9, 29, v9
	v_lshlrev_b64 v[24:25], v12, v[10:11]
	v_and_b32_e32 v24, 7, v24
; %bb.3635:                             ;   in Loop: Header=BB232_2076 Depth=1
	s_or_b32 exec_lo, exec_lo, s22
	v_lshlrev_b32_sdwa v8, v78, v8 dst_sel:DWORD dst_unused:UNUSED_PAD src0_sel:DWORD src1_sel:BYTE_3
	v_lshlrev_b32_e32 v10, 20, v24
	v_lshl_add_u32 v9, v9, 23, 0x3c000000
	v_mov_b32_e32 v24, v11
	v_and_b32_e32 v8, 0x80000000, v8
	v_or3_b32 v25, v10, v8, v9
.LBB232_3636:                           ;   in Loop: Header=BB232_2076 Depth=1
	s_or_b32 exec_lo, exec_lo, s21
.LBB232_3637:                           ;   in Loop: Header=BB232_2076 Depth=1
	s_or_b32 exec_lo, exec_lo, s20
.LBB232_3638:                           ;   in Loop: Header=BB232_2076 Depth=1
	s_or_b32 exec_lo, exec_lo, s19
	v_or_b32_e32 v8, v23, v21
	v_or_b32_e32 v9, v22, v20
	;; [unrolled: 1-line block ×4, first 2 shown]
	v_mul_f32_e32 v87, v92, v8
	v_mul_f32_e32 v86, v73, v9
	;; [unrolled: 1-line block ×4, first 2 shown]
	s_and_saveexec_b32 s8, s6
; %bb.3639:                             ;   in Loop: Header=BB232_2076 Depth=1
	v_cndmask_b32_e32 v86, 0, v86, vcc_lo
	v_cndmask_b32_e64 v87, 0, v87, s4
	v_cndmask_b32_e64 v85, 0, v85, s5
	;; [unrolled: 1-line block ×3, first 2 shown]
; %bb.3640:                             ;   in Loop: Header=BB232_2076 Depth=1
	s_or_b32 exec_lo, exec_lo, s8
	flat_load_dword v8, v[18:19] offset:1792
	v_mov_b32_e32 v22, 0
	v_mov_b32_e32 v20, 0
	;; [unrolled: 1-line block ×4, first 2 shown]
	s_waitcnt vmcnt(0) lgkmcnt(0)
	v_cmp_ne_u16_sdwa s8, v8, v11 src0_sel:BYTE_0 src1_sel:DWORD
	s_and_saveexec_b32 s19, s8
	s_cbranch_execz .LBB232_3648
; %bb.3641:                             ;   in Loop: Header=BB232_2076 Depth=1
	v_bfrev_b32_e32 v20, 1
	v_mov_b32_e32 v21, 0
	v_cmp_ne_u16_sdwa s8, v8, v74 src0_sel:BYTE_0 src1_sel:DWORD
	s_and_saveexec_b32 s20, s8
	s_cbranch_execz .LBB232_3647
; %bb.3642:                             ;   in Loop: Header=BB232_2076 Depth=1
	v_mov_b32_e32 v20, 0x7f800001
	v_and_b32_e32 v12, 0x7f, v8
	v_mov_b32_e32 v21, 0
	s_mov_b32 s21, exec_lo
	v_cmpx_ne_u32_e32 0x7f, v12
	s_cbranch_execz .LBB232_3646
; %bb.3643:                             ;   in Loop: Header=BB232_2076 Depth=1
	v_and_b32_e32 v10, 7, v8
	v_mov_b32_e32 v21, v11
	v_lshrrev_b32_e32 v9, 3, v12
	s_mov_b32 s22, exec_lo
	v_mov_b32_e32 v20, v10
	v_cmpx_gt_u32_e32 8, v12
; %bb.3644:                             ;   in Loop: Header=BB232_2076 Depth=1
	v_ffbh_u32_e32 v9, v10
	v_min_u32_e32 v9, 32, v9
	v_subrev_nc_u32_e32 v12, 28, v9
	v_sub_nc_u32_e32 v9, 29, v9
	v_lshlrev_b64 v[20:21], v12, v[10:11]
	v_and_b32_e32 v20, 7, v20
; %bb.3645:                             ;   in Loop: Header=BB232_2076 Depth=1
	s_or_b32 exec_lo, exec_lo, s22
	v_lshlrev_b32_e32 v10, 24, v8
	v_lshlrev_b32_e32 v12, 20, v20
	v_lshl_add_u32 v9, v9, 23, 0x3c000000
	v_and_b32_e32 v10, 0x80000000, v10
	v_or3_b32 v10, v12, v10, v9
	v_mov_b32_e32 v21, v11
	v_mov_b32_e32 v20, v10
.LBB232_3646:                           ;   in Loop: Header=BB232_2076 Depth=1
	s_or_b32 exec_lo, exec_lo, s21
.LBB232_3647:                           ;   in Loop: Header=BB232_2076 Depth=1
	s_or_b32 exec_lo, exec_lo, s20
.LBB232_3648:                           ;   in Loop: Header=BB232_2076 Depth=1
	s_or_b32 exec_lo, exec_lo, s19
	v_cmp_ne_u16_sdwa s8, v8, v11 src0_sel:BYTE_1 src1_sel:DWORD
	s_and_saveexec_b32 s19, s8
	s_cbranch_execz .LBB232_3656
; %bb.3649:                             ;   in Loop: Header=BB232_2076 Depth=1
	v_mov_b32_e32 v12, v11
	v_mov_b32_e32 v23, v13
	v_cmp_ne_u16_sdwa s8, v8, v74 src0_sel:BYTE_1 src1_sel:DWORD
	v_mov_b32_e32 v22, v12
	s_and_saveexec_b32 s20, s8
	s_cbranch_execz .LBB232_3655
; %bb.3650:                             ;   in Loop: Header=BB232_2076 Depth=1
	v_and_b32_sdwa v9, v75, v8 dst_sel:DWORD dst_unused:UNUSED_PAD src0_sel:DWORD src1_sel:BYTE_1
	v_mov_b32_e32 v14, v11
	v_mov_b32_e32 v23, v15
	s_mov_b32 s21, exec_lo
	v_and_b32_e32 v12, 0x7f, v9
	v_mov_b32_e32 v22, v14
	v_cmpx_ne_u32_e32 0x7f, v12
	s_cbranch_execz .LBB232_3654
; %bb.3651:                             ;   in Loop: Header=BB232_2076 Depth=1
	v_and_b32_e32 v10, 7, v9
	v_mov_b32_e32 v23, v11
	v_lshrrev_b32_e32 v9, 3, v12
	s_mov_b32 s22, exec_lo
	v_mov_b32_e32 v22, v10
	v_cmpx_gt_u32_e32 8, v12
; %bb.3652:                             ;   in Loop: Header=BB232_2076 Depth=1
	v_ffbh_u32_e32 v9, v10
	v_min_u32_e32 v9, 32, v9
	v_subrev_nc_u32_e32 v12, 28, v9
	v_sub_nc_u32_e32 v9, 29, v9
	v_lshlrev_b64 v[22:23], v12, v[10:11]
	v_and_b32_e32 v22, 7, v22
; %bb.3653:                             ;   in Loop: Header=BB232_2076 Depth=1
	s_or_b32 exec_lo, exec_lo, s22
	v_lshlrev_b32_e32 v10, 16, v8
	v_lshlrev_b32_e32 v12, 20, v22
	v_lshl_add_u32 v9, v9, 23, 0x3c000000
	v_mov_b32_e32 v22, v11
	v_and_b32_e32 v10, 0x80000000, v10
	v_or3_b32 v23, v12, v10, v9
.LBB232_3654:                           ;   in Loop: Header=BB232_2076 Depth=1
	s_or_b32 exec_lo, exec_lo, s21
.LBB232_3655:                           ;   in Loop: Header=BB232_2076 Depth=1
	s_or_b32 exec_lo, exec_lo, s20
.LBB232_3656:                           ;   in Loop: Header=BB232_2076 Depth=1
	s_or_b32 exec_lo, exec_lo, s19
	v_mov_b32_e32 v24, 0
	v_mov_b32_e32 v26, 0
	v_and_b32_sdwa v9, v8, v76 dst_sel:DWORD dst_unused:UNUSED_PAD src0_sel:WORD_1 src1_sel:DWORD
	v_mov_b32_e32 v25, 0
	v_mov_b32_e32 v27, 0
	s_mov_b32 s19, exec_lo
	v_cmpx_ne_u16_e32 0, v9
	s_cbranch_execz .LBB232_3664
; %bb.3657:                             ;   in Loop: Header=BB232_2076 Depth=1
	v_bfrev_b32_e32 v26, 1
	v_mov_b32_e32 v27, 0
	s_mov_b32 s20, exec_lo
	v_cmpx_ne_u16_e32 0x80, v9
	s_cbranch_execz .LBB232_3663
; %bb.3658:                             ;   in Loop: Header=BB232_2076 Depth=1
	v_mov_b32_e32 v26, 0x7f800001
	v_bfe_u32 v12, v8, 16, 7
	v_mov_b32_e32 v27, 0
	s_mov_b32 s21, exec_lo
	v_cmpx_ne_u32_e32 0x7f, v12
	s_cbranch_execz .LBB232_3662
; %bb.3659:                             ;   in Loop: Header=BB232_2076 Depth=1
	v_and_b32_sdwa v10, v8, v77 dst_sel:DWORD dst_unused:UNUSED_PAD src0_sel:WORD_1 src1_sel:DWORD
	v_mov_b32_e32 v27, v11
	v_lshrrev_b32_e32 v9, 3, v12
	s_mov_b32 s22, exec_lo
	v_mov_b32_e32 v26, v10
	v_cmpx_gt_u32_e32 8, v12
; %bb.3660:                             ;   in Loop: Header=BB232_2076 Depth=1
	v_ffbh_u32_e32 v9, v10
	v_min_u32_e32 v9, 32, v9
	v_subrev_nc_u32_e32 v12, 28, v9
	v_sub_nc_u32_e32 v9, 29, v9
	v_lshlrev_b64 v[26:27], v12, v[10:11]
	v_and_b32_e32 v26, 7, v26
; %bb.3661:                             ;   in Loop: Header=BB232_2076 Depth=1
	s_or_b32 exec_lo, exec_lo, s22
	v_lshlrev_b32_sdwa v10, v78, v8 dst_sel:DWORD dst_unused:UNUSED_PAD src0_sel:DWORD src1_sel:WORD_1
	v_lshlrev_b32_e32 v12, 20, v26
	v_lshl_add_u32 v9, v9, 23, 0x3c000000
	v_and_b32_e32 v10, 0x80000000, v10
	v_or3_b32 v10, v12, v10, v9
	v_mov_b32_e32 v27, v11
	v_mov_b32_e32 v26, v10
.LBB232_3662:                           ;   in Loop: Header=BB232_2076 Depth=1
	s_or_b32 exec_lo, exec_lo, s21
.LBB232_3663:                           ;   in Loop: Header=BB232_2076 Depth=1
	s_or_b32 exec_lo, exec_lo, s20
.LBB232_3664:                           ;   in Loop: Header=BB232_2076 Depth=1
	s_or_b32 exec_lo, exec_lo, s19
	s_mov_b32 s19, exec_lo
	v_cmpx_lt_u32_e32 0xffffff, v8
	s_cbranch_execz .LBB232_3672
; %bb.3665:                             ;   in Loop: Header=BB232_2076 Depth=1
	v_mov_b32_e32 v12, v11
	v_mov_b32_e32 v25, v13
	v_cmp_ne_u32_sdwa s8, v8, v74 src0_sel:BYTE_3 src1_sel:DWORD
	v_mov_b32_e32 v24, v12
	s_and_saveexec_b32 s20, s8
	s_cbranch_execz .LBB232_3671
; %bb.3666:                             ;   in Loop: Header=BB232_2076 Depth=1
	v_mov_b32_e32 v14, v11
	v_mov_b32_e32 v25, v15
	v_bfe_u32 v12, v8, 24, 7
	s_mov_b32 s21, exec_lo
	v_mov_b32_e32 v24, v14
	v_cmpx_ne_u32_e32 0x7f, v12
	s_cbranch_execz .LBB232_3670
; %bb.3667:                             ;   in Loop: Header=BB232_2076 Depth=1
	v_and_b32_sdwa v10, v8, v77 dst_sel:DWORD dst_unused:UNUSED_PAD src0_sel:BYTE_3 src1_sel:DWORD
	v_mov_b32_e32 v25, v11
	v_lshrrev_b32_e32 v9, 3, v12
	s_mov_b32 s22, exec_lo
	v_mov_b32_e32 v24, v10
	v_cmpx_gt_u32_e32 8, v12
; %bb.3668:                             ;   in Loop: Header=BB232_2076 Depth=1
	v_ffbh_u32_e32 v9, v10
	v_min_u32_e32 v9, 32, v9
	v_subrev_nc_u32_e32 v12, 28, v9
	v_sub_nc_u32_e32 v9, 29, v9
	v_lshlrev_b64 v[24:25], v12, v[10:11]
	v_and_b32_e32 v24, 7, v24
; %bb.3669:                             ;   in Loop: Header=BB232_2076 Depth=1
	s_or_b32 exec_lo, exec_lo, s22
	v_lshlrev_b32_sdwa v8, v78, v8 dst_sel:DWORD dst_unused:UNUSED_PAD src0_sel:DWORD src1_sel:BYTE_3
	v_lshlrev_b32_e32 v10, 20, v24
	v_lshl_add_u32 v9, v9, 23, 0x3c000000
	v_mov_b32_e32 v24, v11
	v_and_b32_e32 v8, 0x80000000, v8
	v_or3_b32 v25, v10, v8, v9
.LBB232_3670:                           ;   in Loop: Header=BB232_2076 Depth=1
	s_or_b32 exec_lo, exec_lo, s21
.LBB232_3671:                           ;   in Loop: Header=BB232_2076 Depth=1
	s_or_b32 exec_lo, exec_lo, s20
.LBB232_3672:                           ;   in Loop: Header=BB232_2076 Depth=1
	s_or_b32 exec_lo, exec_lo, s19
	v_or_b32_e32 v8, v23, v21
	v_or_b32_e32 v9, v22, v20
	;; [unrolled: 1-line block ×4, first 2 shown]
	v_mul_f32_e32 v97, v92, v8
	v_mul_f32_e32 v96, v73, v9
	;; [unrolled: 1-line block ×4, first 2 shown]
	s_and_saveexec_b32 s8, s6
; %bb.3673:                             ;   in Loop: Header=BB232_2076 Depth=1
	v_cndmask_b32_e32 v96, 0, v96, vcc_lo
	v_cndmask_b32_e64 v97, 0, v97, s4
	v_cndmask_b32_e64 v27, 0, v27, s5
	;; [unrolled: 1-line block ×3, first 2 shown]
; %bb.3674:                             ;   in Loop: Header=BB232_2076 Depth=1
	s_or_b32 exec_lo, exec_lo, s8
	flat_load_dword v8, v[18:19] offset:1920
	v_mov_b32_e32 v20, 0
	v_mov_b32_e32 v18, 0
	;; [unrolled: 1-line block ×4, first 2 shown]
	s_waitcnt vmcnt(0) lgkmcnt(0)
	v_cmp_ne_u16_sdwa s8, v8, v11 src0_sel:BYTE_0 src1_sel:DWORD
	s_and_saveexec_b32 s19, s8
	s_cbranch_execz .LBB232_3682
; %bb.3675:                             ;   in Loop: Header=BB232_2076 Depth=1
	v_bfrev_b32_e32 v18, 1
	v_mov_b32_e32 v19, 0
	v_cmp_ne_u16_sdwa s8, v8, v74 src0_sel:BYTE_0 src1_sel:DWORD
	s_and_saveexec_b32 s20, s8
	s_cbranch_execz .LBB232_3681
; %bb.3676:                             ;   in Loop: Header=BB232_2076 Depth=1
	v_mov_b32_e32 v18, 0x7f800001
	v_and_b32_e32 v12, 0x7f, v8
	v_mov_b32_e32 v19, 0
	s_mov_b32 s21, exec_lo
	v_cmpx_ne_u32_e32 0x7f, v12
	s_cbranch_execz .LBB232_3680
; %bb.3677:                             ;   in Loop: Header=BB232_2076 Depth=1
	v_and_b32_e32 v10, 7, v8
	v_mov_b32_e32 v19, v11
	v_lshrrev_b32_e32 v9, 3, v12
	s_mov_b32 s22, exec_lo
	v_mov_b32_e32 v18, v10
	v_cmpx_gt_u32_e32 8, v12
; %bb.3678:                             ;   in Loop: Header=BB232_2076 Depth=1
	v_ffbh_u32_e32 v9, v10
	v_min_u32_e32 v9, 32, v9
	v_subrev_nc_u32_e32 v12, 28, v9
	v_sub_nc_u32_e32 v9, 29, v9
	v_lshlrev_b64 v[18:19], v12, v[10:11]
	v_and_b32_e32 v18, 7, v18
; %bb.3679:                             ;   in Loop: Header=BB232_2076 Depth=1
	s_or_b32 exec_lo, exec_lo, s22
	v_lshlrev_b32_e32 v10, 24, v8
	v_lshlrev_b32_e32 v12, 20, v18
	v_lshl_add_u32 v9, v9, 23, 0x3c000000
	v_and_b32_e32 v10, 0x80000000, v10
	v_or3_b32 v10, v12, v10, v9
	v_mov_b32_e32 v19, v11
	v_mov_b32_e32 v18, v10
.LBB232_3680:                           ;   in Loop: Header=BB232_2076 Depth=1
	s_or_b32 exec_lo, exec_lo, s21
.LBB232_3681:                           ;   in Loop: Header=BB232_2076 Depth=1
	s_or_b32 exec_lo, exec_lo, s20
.LBB232_3682:                           ;   in Loop: Header=BB232_2076 Depth=1
	s_or_b32 exec_lo, exec_lo, s19
	v_cmp_ne_u16_sdwa s8, v8, v11 src0_sel:BYTE_1 src1_sel:DWORD
	s_and_saveexec_b32 s19, s8
	s_cbranch_execz .LBB232_3690
; %bb.3683:                             ;   in Loop: Header=BB232_2076 Depth=1
	v_mov_b32_e32 v12, v11
	v_mov_b32_e32 v21, v13
	v_cmp_ne_u16_sdwa s8, v8, v74 src0_sel:BYTE_1 src1_sel:DWORD
	v_mov_b32_e32 v20, v12
	s_and_saveexec_b32 s20, s8
	s_cbranch_execz .LBB232_3689
; %bb.3684:                             ;   in Loop: Header=BB232_2076 Depth=1
	v_and_b32_sdwa v9, v75, v8 dst_sel:DWORD dst_unused:UNUSED_PAD src0_sel:DWORD src1_sel:BYTE_1
	v_mov_b32_e32 v14, v11
	v_mov_b32_e32 v21, v15
	s_mov_b32 s21, exec_lo
	v_and_b32_e32 v12, 0x7f, v9
	v_mov_b32_e32 v20, v14
	v_cmpx_ne_u32_e32 0x7f, v12
	s_cbranch_execz .LBB232_3688
; %bb.3685:                             ;   in Loop: Header=BB232_2076 Depth=1
	v_and_b32_e32 v10, 7, v9
	v_mov_b32_e32 v21, v11
	v_lshrrev_b32_e32 v9, 3, v12
	s_mov_b32 s22, exec_lo
	v_mov_b32_e32 v20, v10
	v_cmpx_gt_u32_e32 8, v12
; %bb.3686:                             ;   in Loop: Header=BB232_2076 Depth=1
	v_ffbh_u32_e32 v9, v10
	v_min_u32_e32 v9, 32, v9
	v_subrev_nc_u32_e32 v12, 28, v9
	v_sub_nc_u32_e32 v9, 29, v9
	v_lshlrev_b64 v[20:21], v12, v[10:11]
	v_and_b32_e32 v20, 7, v20
; %bb.3687:                             ;   in Loop: Header=BB232_2076 Depth=1
	s_or_b32 exec_lo, exec_lo, s22
	v_lshlrev_b32_e32 v10, 16, v8
	v_lshlrev_b32_e32 v12, 20, v20
	v_lshl_add_u32 v9, v9, 23, 0x3c000000
	v_mov_b32_e32 v20, v11
	v_and_b32_e32 v10, 0x80000000, v10
	v_or3_b32 v21, v12, v10, v9
.LBB232_3688:                           ;   in Loop: Header=BB232_2076 Depth=1
	s_or_b32 exec_lo, exec_lo, s21
.LBB232_3689:                           ;   in Loop: Header=BB232_2076 Depth=1
	s_or_b32 exec_lo, exec_lo, s20
.LBB232_3690:                           ;   in Loop: Header=BB232_2076 Depth=1
	s_or_b32 exec_lo, exec_lo, s19
	v_mov_b32_e32 v22, 0
	v_mov_b32_e32 v24, 0
	v_and_b32_sdwa v9, v8, v76 dst_sel:DWORD dst_unused:UNUSED_PAD src0_sel:WORD_1 src1_sel:DWORD
	v_mov_b32_e32 v23, 0
	v_mov_b32_e32 v25, 0
	s_mov_b32 s19, exec_lo
	v_cmpx_ne_u16_e32 0, v9
	s_cbranch_execz .LBB232_3698
; %bb.3691:                             ;   in Loop: Header=BB232_2076 Depth=1
	v_bfrev_b32_e32 v24, 1
	v_mov_b32_e32 v25, 0
	s_mov_b32 s20, exec_lo
	v_cmpx_ne_u16_e32 0x80, v9
	s_cbranch_execz .LBB232_3697
; %bb.3692:                             ;   in Loop: Header=BB232_2076 Depth=1
	v_mov_b32_e32 v24, 0x7f800001
	v_bfe_u32 v12, v8, 16, 7
	v_mov_b32_e32 v25, 0
	s_mov_b32 s21, exec_lo
	v_cmpx_ne_u32_e32 0x7f, v12
	s_cbranch_execz .LBB232_3696
; %bb.3693:                             ;   in Loop: Header=BB232_2076 Depth=1
	v_and_b32_sdwa v10, v8, v77 dst_sel:DWORD dst_unused:UNUSED_PAD src0_sel:WORD_1 src1_sel:DWORD
	v_mov_b32_e32 v25, v11
	v_lshrrev_b32_e32 v9, 3, v12
	s_mov_b32 s22, exec_lo
	v_mov_b32_e32 v24, v10
	v_cmpx_gt_u32_e32 8, v12
; %bb.3694:                             ;   in Loop: Header=BB232_2076 Depth=1
	v_ffbh_u32_e32 v9, v10
	v_min_u32_e32 v9, 32, v9
	v_subrev_nc_u32_e32 v12, 28, v9
	v_sub_nc_u32_e32 v9, 29, v9
	v_lshlrev_b64 v[24:25], v12, v[10:11]
	v_and_b32_e32 v24, 7, v24
; %bb.3695:                             ;   in Loop: Header=BB232_2076 Depth=1
	s_or_b32 exec_lo, exec_lo, s22
	v_lshlrev_b32_sdwa v10, v78, v8 dst_sel:DWORD dst_unused:UNUSED_PAD src0_sel:DWORD src1_sel:WORD_1
	v_lshlrev_b32_e32 v12, 20, v24
	v_lshl_add_u32 v9, v9, 23, 0x3c000000
	v_and_b32_e32 v10, 0x80000000, v10
	v_or3_b32 v10, v12, v10, v9
	v_mov_b32_e32 v25, v11
	v_mov_b32_e32 v24, v10
.LBB232_3696:                           ;   in Loop: Header=BB232_2076 Depth=1
	s_or_b32 exec_lo, exec_lo, s21
.LBB232_3697:                           ;   in Loop: Header=BB232_2076 Depth=1
	s_or_b32 exec_lo, exec_lo, s20
.LBB232_3698:                           ;   in Loop: Header=BB232_2076 Depth=1
	s_or_b32 exec_lo, exec_lo, s19
	s_mov_b32 s19, exec_lo
	v_cmpx_lt_u32_e32 0xffffff, v8
	s_cbranch_execz .LBB232_3706
; %bb.3699:                             ;   in Loop: Header=BB232_2076 Depth=1
	v_mov_b32_e32 v12, v11
	v_mov_b32_e32 v23, v13
	v_cmp_ne_u32_sdwa s8, v8, v74 src0_sel:BYTE_3 src1_sel:DWORD
	v_mov_b32_e32 v22, v12
	s_and_saveexec_b32 s20, s8
	s_cbranch_execz .LBB232_3705
; %bb.3700:                             ;   in Loop: Header=BB232_2076 Depth=1
	v_mov_b32_e32 v14, v11
	v_mov_b32_e32 v23, v15
	v_bfe_u32 v12, v8, 24, 7
	s_mov_b32 s21, exec_lo
	v_mov_b32_e32 v22, v14
	v_cmpx_ne_u32_e32 0x7f, v12
	s_cbranch_execz .LBB232_3704
; %bb.3701:                             ;   in Loop: Header=BB232_2076 Depth=1
	v_and_b32_sdwa v10, v8, v77 dst_sel:DWORD dst_unused:UNUSED_PAD src0_sel:BYTE_3 src1_sel:DWORD
	v_mov_b32_e32 v23, v11
	v_lshrrev_b32_e32 v9, 3, v12
	s_mov_b32 s22, exec_lo
	v_mov_b32_e32 v22, v10
	v_cmpx_gt_u32_e32 8, v12
; %bb.3702:                             ;   in Loop: Header=BB232_2076 Depth=1
	v_ffbh_u32_e32 v9, v10
	v_min_u32_e32 v9, 32, v9
	v_subrev_nc_u32_e32 v12, 28, v9
	v_sub_nc_u32_e32 v9, 29, v9
	v_lshlrev_b64 v[22:23], v12, v[10:11]
	v_and_b32_e32 v22, 7, v22
; %bb.3703:                             ;   in Loop: Header=BB232_2076 Depth=1
	s_or_b32 exec_lo, exec_lo, s22
	v_lshlrev_b32_sdwa v8, v78, v8 dst_sel:DWORD dst_unused:UNUSED_PAD src0_sel:DWORD src1_sel:BYTE_3
	v_lshlrev_b32_e32 v10, 20, v22
	v_lshl_add_u32 v9, v9, 23, 0x3c000000
	v_mov_b32_e32 v22, v11
	v_and_b32_e32 v8, 0x80000000, v8
	v_or3_b32 v23, v10, v8, v9
.LBB232_3704:                           ;   in Loop: Header=BB232_2076 Depth=1
	s_or_b32 exec_lo, exec_lo, s21
.LBB232_3705:                           ;   in Loop: Header=BB232_2076 Depth=1
	s_or_b32 exec_lo, exec_lo, s20
.LBB232_3706:                           ;   in Loop: Header=BB232_2076 Depth=1
	s_or_b32 exec_lo, exec_lo, s19
	v_or_b32_e32 v8, v21, v19
	v_or_b32_e32 v9, v20, v18
	;; [unrolled: 1-line block ×4, first 2 shown]
	v_mul_f32_e32 v101, v92, v8
	v_mul_f32_e32 v100, v73, v9
	v_mul_f32_e32 v99, v73, v10
	v_mul_f32_e32 v98, v92, v12
	s_and_saveexec_b32 s8, s6
; %bb.3707:                             ;   in Loop: Header=BB232_2076 Depth=1
	v_cndmask_b32_e32 v100, 0, v100, vcc_lo
	v_cndmask_b32_e64 v101, 0, v101, s4
	v_cndmask_b32_e64 v99, 0, v99, s5
	;; [unrolled: 1-line block ×3, first 2 shown]
; %bb.3708:                             ;   in Loop: Header=BB232_2076 Depth=1
	s_or_b32 exec_lo, exec_lo, s8
	v_add_co_u32 v16, s8, 0x1800, v16
	v_add_co_ci_u32_e64 v17, null, 0, v17, s8
	v_mov_b32_e32 v20, 0
	v_mov_b32_e32 v18, 0
	v_mov_b32_e32 v21, 0
	flat_load_dword v8, v[16:17]
	v_mov_b32_e32 v19, 0
	s_waitcnt vmcnt(0) lgkmcnt(0)
	v_cmp_ne_u16_sdwa s8, v8, v11 src0_sel:BYTE_0 src1_sel:DWORD
	s_and_saveexec_b32 s19, s8
	s_cbranch_execz .LBB232_3716
; %bb.3709:                             ;   in Loop: Header=BB232_2076 Depth=1
	v_bfrev_b32_e32 v18, 1
	v_mov_b32_e32 v19, 0
	v_cmp_ne_u16_sdwa s8, v8, v74 src0_sel:BYTE_0 src1_sel:DWORD
	s_and_saveexec_b32 s20, s8
	s_cbranch_execz .LBB232_3715
; %bb.3710:                             ;   in Loop: Header=BB232_2076 Depth=1
	v_mov_b32_e32 v18, 0x7f800001
	v_and_b32_e32 v12, 0x7f, v8
	v_mov_b32_e32 v19, 0
	s_mov_b32 s21, exec_lo
	v_cmpx_ne_u32_e32 0x7f, v12
	s_cbranch_execz .LBB232_3714
; %bb.3711:                             ;   in Loop: Header=BB232_2076 Depth=1
	v_and_b32_e32 v10, 7, v8
	v_mov_b32_e32 v19, v11
	v_lshrrev_b32_e32 v9, 3, v12
	s_mov_b32 s22, exec_lo
	v_mov_b32_e32 v18, v10
	v_cmpx_gt_u32_e32 8, v12
; %bb.3712:                             ;   in Loop: Header=BB232_2076 Depth=1
	v_ffbh_u32_e32 v9, v10
	v_min_u32_e32 v9, 32, v9
	v_subrev_nc_u32_e32 v12, 28, v9
	v_sub_nc_u32_e32 v9, 29, v9
	v_lshlrev_b64 v[18:19], v12, v[10:11]
	v_and_b32_e32 v18, 7, v18
; %bb.3713:                             ;   in Loop: Header=BB232_2076 Depth=1
	s_or_b32 exec_lo, exec_lo, s22
	v_lshlrev_b32_e32 v10, 24, v8
	v_lshlrev_b32_e32 v12, 20, v18
	v_lshl_add_u32 v9, v9, 23, 0x3c000000
	v_and_b32_e32 v10, 0x80000000, v10
	v_or3_b32 v10, v12, v10, v9
	v_mov_b32_e32 v19, v11
	v_mov_b32_e32 v18, v10
.LBB232_3714:                           ;   in Loop: Header=BB232_2076 Depth=1
	s_or_b32 exec_lo, exec_lo, s21
.LBB232_3715:                           ;   in Loop: Header=BB232_2076 Depth=1
	s_or_b32 exec_lo, exec_lo, s20
.LBB232_3716:                           ;   in Loop: Header=BB232_2076 Depth=1
	s_or_b32 exec_lo, exec_lo, s19
	v_cmp_ne_u16_sdwa s8, v8, v11 src0_sel:BYTE_1 src1_sel:DWORD
	s_and_saveexec_b32 s19, s8
	s_cbranch_execz .LBB232_3724
; %bb.3717:                             ;   in Loop: Header=BB232_2076 Depth=1
	v_mov_b32_e32 v12, v11
	v_mov_b32_e32 v21, v13
	v_cmp_ne_u16_sdwa s8, v8, v74 src0_sel:BYTE_1 src1_sel:DWORD
	v_mov_b32_e32 v20, v12
	s_and_saveexec_b32 s20, s8
	s_cbranch_execz .LBB232_3723
; %bb.3718:                             ;   in Loop: Header=BB232_2076 Depth=1
	v_and_b32_sdwa v9, v75, v8 dst_sel:DWORD dst_unused:UNUSED_PAD src0_sel:DWORD src1_sel:BYTE_1
	v_mov_b32_e32 v14, v11
	v_mov_b32_e32 v21, v15
	s_mov_b32 s21, exec_lo
	v_and_b32_e32 v12, 0x7f, v9
	v_mov_b32_e32 v20, v14
	v_cmpx_ne_u32_e32 0x7f, v12
	s_cbranch_execz .LBB232_3722
; %bb.3719:                             ;   in Loop: Header=BB232_2076 Depth=1
	v_and_b32_e32 v10, 7, v9
	v_mov_b32_e32 v21, v11
	v_lshrrev_b32_e32 v9, 3, v12
	s_mov_b32 s22, exec_lo
	v_mov_b32_e32 v20, v10
	v_cmpx_gt_u32_e32 8, v12
; %bb.3720:                             ;   in Loop: Header=BB232_2076 Depth=1
	v_ffbh_u32_e32 v9, v10
	v_min_u32_e32 v9, 32, v9
	v_subrev_nc_u32_e32 v12, 28, v9
	v_sub_nc_u32_e32 v9, 29, v9
	v_lshlrev_b64 v[20:21], v12, v[10:11]
	v_and_b32_e32 v20, 7, v20
; %bb.3721:                             ;   in Loop: Header=BB232_2076 Depth=1
	s_or_b32 exec_lo, exec_lo, s22
	v_lshlrev_b32_e32 v10, 16, v8
	v_lshlrev_b32_e32 v12, 20, v20
	v_lshl_add_u32 v9, v9, 23, 0x3c000000
	v_mov_b32_e32 v20, v11
	v_and_b32_e32 v10, 0x80000000, v10
	v_or3_b32 v21, v12, v10, v9
.LBB232_3722:                           ;   in Loop: Header=BB232_2076 Depth=1
	s_or_b32 exec_lo, exec_lo, s21
.LBB232_3723:                           ;   in Loop: Header=BB232_2076 Depth=1
	s_or_b32 exec_lo, exec_lo, s20
.LBB232_3724:                           ;   in Loop: Header=BB232_2076 Depth=1
	s_or_b32 exec_lo, exec_lo, s19
	v_mov_b32_e32 v22, 0
	v_mov_b32_e32 v24, 0
	v_and_b32_sdwa v9, v8, v76 dst_sel:DWORD dst_unused:UNUSED_PAD src0_sel:WORD_1 src1_sel:DWORD
	v_mov_b32_e32 v23, 0
	v_mov_b32_e32 v25, 0
	s_mov_b32 s19, exec_lo
	v_cmpx_ne_u16_e32 0, v9
	s_cbranch_execz .LBB232_3732
; %bb.3725:                             ;   in Loop: Header=BB232_2076 Depth=1
	v_bfrev_b32_e32 v24, 1
	v_mov_b32_e32 v25, 0
	s_mov_b32 s20, exec_lo
	v_cmpx_ne_u16_e32 0x80, v9
	s_cbranch_execz .LBB232_3731
; %bb.3726:                             ;   in Loop: Header=BB232_2076 Depth=1
	v_mov_b32_e32 v24, 0x7f800001
	v_bfe_u32 v12, v8, 16, 7
	v_mov_b32_e32 v25, 0
	s_mov_b32 s21, exec_lo
	v_cmpx_ne_u32_e32 0x7f, v12
	s_cbranch_execz .LBB232_3730
; %bb.3727:                             ;   in Loop: Header=BB232_2076 Depth=1
	v_and_b32_sdwa v10, v8, v77 dst_sel:DWORD dst_unused:UNUSED_PAD src0_sel:WORD_1 src1_sel:DWORD
	v_mov_b32_e32 v25, v11
	v_lshrrev_b32_e32 v9, 3, v12
	s_mov_b32 s22, exec_lo
	v_mov_b32_e32 v24, v10
	v_cmpx_gt_u32_e32 8, v12
; %bb.3728:                             ;   in Loop: Header=BB232_2076 Depth=1
	v_ffbh_u32_e32 v9, v10
	v_min_u32_e32 v9, 32, v9
	v_subrev_nc_u32_e32 v12, 28, v9
	v_sub_nc_u32_e32 v9, 29, v9
	v_lshlrev_b64 v[24:25], v12, v[10:11]
	v_and_b32_e32 v24, 7, v24
; %bb.3729:                             ;   in Loop: Header=BB232_2076 Depth=1
	s_or_b32 exec_lo, exec_lo, s22
	v_lshlrev_b32_sdwa v10, v78, v8 dst_sel:DWORD dst_unused:UNUSED_PAD src0_sel:DWORD src1_sel:WORD_1
	v_lshlrev_b32_e32 v12, 20, v24
	v_lshl_add_u32 v9, v9, 23, 0x3c000000
	v_and_b32_e32 v10, 0x80000000, v10
	v_or3_b32 v10, v12, v10, v9
	v_mov_b32_e32 v25, v11
	v_mov_b32_e32 v24, v10
.LBB232_3730:                           ;   in Loop: Header=BB232_2076 Depth=1
	s_or_b32 exec_lo, exec_lo, s21
.LBB232_3731:                           ;   in Loop: Header=BB232_2076 Depth=1
	s_or_b32 exec_lo, exec_lo, s20
.LBB232_3732:                           ;   in Loop: Header=BB232_2076 Depth=1
	s_or_b32 exec_lo, exec_lo, s19
	s_mov_b32 s19, exec_lo
	v_cmpx_lt_u32_e32 0xffffff, v8
	s_cbranch_execz .LBB232_3740
; %bb.3733:                             ;   in Loop: Header=BB232_2076 Depth=1
	v_mov_b32_e32 v12, v11
	v_mov_b32_e32 v23, v13
	v_cmp_ne_u32_sdwa s8, v8, v74 src0_sel:BYTE_3 src1_sel:DWORD
	v_mov_b32_e32 v22, v12
	s_and_saveexec_b32 s20, s8
	s_cbranch_execz .LBB232_3739
; %bb.3734:                             ;   in Loop: Header=BB232_2076 Depth=1
	v_mov_b32_e32 v14, v11
	v_mov_b32_e32 v23, v15
	v_bfe_u32 v12, v8, 24, 7
	s_mov_b32 s21, exec_lo
	v_mov_b32_e32 v22, v14
	v_cmpx_ne_u32_e32 0x7f, v12
	s_cbranch_execz .LBB232_3738
; %bb.3735:                             ;   in Loop: Header=BB232_2076 Depth=1
	v_and_b32_sdwa v10, v8, v77 dst_sel:DWORD dst_unused:UNUSED_PAD src0_sel:BYTE_3 src1_sel:DWORD
	v_mov_b32_e32 v23, v11
	v_lshrrev_b32_e32 v9, 3, v12
	s_mov_b32 s22, exec_lo
	v_mov_b32_e32 v22, v10
	v_cmpx_gt_u32_e32 8, v12
; %bb.3736:                             ;   in Loop: Header=BB232_2076 Depth=1
	v_ffbh_u32_e32 v9, v10
	v_min_u32_e32 v9, 32, v9
	v_subrev_nc_u32_e32 v12, 28, v9
	v_sub_nc_u32_e32 v9, 29, v9
	v_lshlrev_b64 v[22:23], v12, v[10:11]
	v_and_b32_e32 v22, 7, v22
; %bb.3737:                             ;   in Loop: Header=BB232_2076 Depth=1
	s_or_b32 exec_lo, exec_lo, s22
	v_lshlrev_b32_sdwa v8, v78, v8 dst_sel:DWORD dst_unused:UNUSED_PAD src0_sel:DWORD src1_sel:BYTE_3
	v_lshlrev_b32_e32 v10, 20, v22
	v_lshl_add_u32 v9, v9, 23, 0x3c000000
	v_mov_b32_e32 v22, v11
	v_and_b32_e32 v8, 0x80000000, v8
	v_or3_b32 v23, v10, v8, v9
.LBB232_3738:                           ;   in Loop: Header=BB232_2076 Depth=1
	s_or_b32 exec_lo, exec_lo, s21
.LBB232_3739:                           ;   in Loop: Header=BB232_2076 Depth=1
	s_or_b32 exec_lo, exec_lo, s20
.LBB232_3740:                           ;   in Loop: Header=BB232_2076 Depth=1
	s_or_b32 exec_lo, exec_lo, s19
	v_or_b32_e32 v8, v21, v19
	v_or_b32_e32 v9, v20, v18
	;; [unrolled: 1-line block ×4, first 2 shown]
	v_mul_f32_e32 v8, v92, v8
	v_mul_f32_e32 v112, v73, v9
	v_mul_f32_e32 v103, v73, v10
	v_mul_f32_e32 v102, v92, v12
	s_and_saveexec_b32 s8, s6
; %bb.3741:                             ;   in Loop: Header=BB232_2076 Depth=1
	v_cndmask_b32_e32 v112, 0, v112, vcc_lo
	v_cndmask_b32_e64 v8, 0, v8, s4
	v_cndmask_b32_e64 v103, 0, v103, s5
	;; [unrolled: 1-line block ×3, first 2 shown]
; %bb.3742:                             ;   in Loop: Header=BB232_2076 Depth=1
	s_or_b32 exec_lo, exec_lo, s8
	flat_load_dword v9, v[16:17] offset:128
	v_mov_b32_e32 v20, 0
	v_mov_b32_e32 v18, 0
	;; [unrolled: 1-line block ×4, first 2 shown]
	s_waitcnt vmcnt(0) lgkmcnt(0)
	v_cmp_ne_u16_sdwa s8, v9, v11 src0_sel:BYTE_0 src1_sel:DWORD
	s_and_saveexec_b32 s19, s8
	s_cbranch_execz .LBB232_3750
; %bb.3743:                             ;   in Loop: Header=BB232_2076 Depth=1
	v_bfrev_b32_e32 v18, 1
	v_mov_b32_e32 v19, 0
	v_cmp_ne_u16_sdwa s8, v9, v74 src0_sel:BYTE_0 src1_sel:DWORD
	s_and_saveexec_b32 s20, s8
	s_cbranch_execz .LBB232_3749
; %bb.3744:                             ;   in Loop: Header=BB232_2076 Depth=1
	v_mov_b32_e32 v18, 0x7f800001
	v_and_b32_e32 v14, 0x7f, v9
	v_mov_b32_e32 v19, 0
	s_mov_b32 s21, exec_lo
	v_cmpx_ne_u32_e32 0x7f, v14
	s_cbranch_execz .LBB232_3748
; %bb.3745:                             ;   in Loop: Header=BB232_2076 Depth=1
	v_and_b32_e32 v10, 7, v9
	v_mov_b32_e32 v19, v11
	v_lshrrev_b32_e32 v12, 3, v14
	s_mov_b32 s22, exec_lo
	v_mov_b32_e32 v18, v10
	v_cmpx_gt_u32_e32 8, v14
; %bb.3746:                             ;   in Loop: Header=BB232_2076 Depth=1
	v_ffbh_u32_e32 v12, v10
	v_min_u32_e32 v12, 32, v12
	v_subrev_nc_u32_e32 v14, 28, v12
	v_sub_nc_u32_e32 v12, 29, v12
	v_lshlrev_b64 v[18:19], v14, v[10:11]
	v_and_b32_e32 v18, 7, v18
; %bb.3747:                             ;   in Loop: Header=BB232_2076 Depth=1
	s_or_b32 exec_lo, exec_lo, s22
	v_lshlrev_b32_e32 v10, 24, v9
	v_lshlrev_b32_e32 v14, 20, v18
	v_lshl_add_u32 v12, v12, 23, 0x3c000000
	v_and_b32_e32 v10, 0x80000000, v10
	v_or3_b32 v10, v14, v10, v12
	v_mov_b32_e32 v19, v11
	v_mov_b32_e32 v18, v10
.LBB232_3748:                           ;   in Loop: Header=BB232_2076 Depth=1
	s_or_b32 exec_lo, exec_lo, s21
.LBB232_3749:                           ;   in Loop: Header=BB232_2076 Depth=1
	s_or_b32 exec_lo, exec_lo, s20
.LBB232_3750:                           ;   in Loop: Header=BB232_2076 Depth=1
	s_or_b32 exec_lo, exec_lo, s19
	v_cmp_ne_u16_sdwa s8, v9, v11 src0_sel:BYTE_1 src1_sel:DWORD
	s_and_saveexec_b32 s19, s8
	s_cbranch_execz .LBB232_3758
; %bb.3751:                             ;   in Loop: Header=BB232_2076 Depth=1
	v_mov_b32_e32 v12, v11
	v_mov_b32_e32 v21, v13
	v_cmp_ne_u16_sdwa s8, v9, v74 src0_sel:BYTE_1 src1_sel:DWORD
	v_mov_b32_e32 v20, v12
	s_and_saveexec_b32 s20, s8
	s_cbranch_execz .LBB232_3757
; %bb.3752:                             ;   in Loop: Header=BB232_2076 Depth=1
	v_and_b32_sdwa v10, v75, v9 dst_sel:DWORD dst_unused:UNUSED_PAD src0_sel:DWORD src1_sel:BYTE_1
	v_mov_b32_e32 v14, v11
	v_mov_b32_e32 v21, v15
	s_mov_b32 s21, exec_lo
	v_and_b32_e32 v22, 0x7f, v10
	v_mov_b32_e32 v20, v14
	v_cmpx_ne_u32_e32 0x7f, v22
	s_cbranch_execz .LBB232_3756
; %bb.3753:                             ;   in Loop: Header=BB232_2076 Depth=1
	v_and_b32_e32 v10, 7, v10
	v_mov_b32_e32 v21, v11
	v_lshrrev_b32_e32 v12, 3, v22
	s_mov_b32 s22, exec_lo
	v_mov_b32_e32 v20, v10
	v_cmpx_gt_u32_e32 8, v22
; %bb.3754:                             ;   in Loop: Header=BB232_2076 Depth=1
	v_ffbh_u32_e32 v12, v10
	v_min_u32_e32 v12, 32, v12
	v_subrev_nc_u32_e32 v14, 28, v12
	v_sub_nc_u32_e32 v12, 29, v12
	v_lshlrev_b64 v[20:21], v14, v[10:11]
	v_and_b32_e32 v20, 7, v20
; %bb.3755:                             ;   in Loop: Header=BB232_2076 Depth=1
	s_or_b32 exec_lo, exec_lo, s22
	v_lshlrev_b32_e32 v10, 16, v9
	v_lshlrev_b32_e32 v14, 20, v20
	v_lshl_add_u32 v12, v12, 23, 0x3c000000
	v_mov_b32_e32 v20, v11
	v_and_b32_e32 v10, 0x80000000, v10
	v_or3_b32 v21, v14, v10, v12
.LBB232_3756:                           ;   in Loop: Header=BB232_2076 Depth=1
	s_or_b32 exec_lo, exec_lo, s21
.LBB232_3757:                           ;   in Loop: Header=BB232_2076 Depth=1
	s_or_b32 exec_lo, exec_lo, s20
.LBB232_3758:                           ;   in Loop: Header=BB232_2076 Depth=1
	s_or_b32 exec_lo, exec_lo, s19
	v_mov_b32_e32 v22, 0
	v_mov_b32_e32 v24, 0
	v_and_b32_sdwa v10, v9, v76 dst_sel:DWORD dst_unused:UNUSED_PAD src0_sel:WORD_1 src1_sel:DWORD
	v_mov_b32_e32 v23, 0
	v_mov_b32_e32 v25, 0
	s_mov_b32 s19, exec_lo
	v_cmpx_ne_u16_e32 0, v10
	s_cbranch_execz .LBB232_3766
; %bb.3759:                             ;   in Loop: Header=BB232_2076 Depth=1
	v_bfrev_b32_e32 v24, 1
	v_mov_b32_e32 v25, 0
	s_mov_b32 s20, exec_lo
	v_cmpx_ne_u16_e32 0x80, v10
	s_cbranch_execz .LBB232_3765
; %bb.3760:                             ;   in Loop: Header=BB232_2076 Depth=1
	v_mov_b32_e32 v24, 0x7f800001
	v_bfe_u32 v14, v9, 16, 7
	v_mov_b32_e32 v25, 0
	s_mov_b32 s21, exec_lo
	v_cmpx_ne_u32_e32 0x7f, v14
	s_cbranch_execz .LBB232_3764
; %bb.3761:                             ;   in Loop: Header=BB232_2076 Depth=1
	v_and_b32_sdwa v10, v9, v77 dst_sel:DWORD dst_unused:UNUSED_PAD src0_sel:WORD_1 src1_sel:DWORD
	v_mov_b32_e32 v25, v11
	v_lshrrev_b32_e32 v12, 3, v14
	s_mov_b32 s22, exec_lo
	v_mov_b32_e32 v24, v10
	v_cmpx_gt_u32_e32 8, v14
; %bb.3762:                             ;   in Loop: Header=BB232_2076 Depth=1
	v_ffbh_u32_e32 v12, v10
	v_min_u32_e32 v12, 32, v12
	v_subrev_nc_u32_e32 v14, 28, v12
	v_sub_nc_u32_e32 v12, 29, v12
	v_lshlrev_b64 v[24:25], v14, v[10:11]
	v_and_b32_e32 v24, 7, v24
; %bb.3763:                             ;   in Loop: Header=BB232_2076 Depth=1
	s_or_b32 exec_lo, exec_lo, s22
	v_lshlrev_b32_sdwa v10, v78, v9 dst_sel:DWORD dst_unused:UNUSED_PAD src0_sel:DWORD src1_sel:WORD_1
	v_lshlrev_b32_e32 v14, 20, v24
	v_lshl_add_u32 v12, v12, 23, 0x3c000000
	v_and_b32_e32 v10, 0x80000000, v10
	v_or3_b32 v10, v14, v10, v12
	v_mov_b32_e32 v25, v11
	v_mov_b32_e32 v24, v10
.LBB232_3764:                           ;   in Loop: Header=BB232_2076 Depth=1
	s_or_b32 exec_lo, exec_lo, s21
.LBB232_3765:                           ;   in Loop: Header=BB232_2076 Depth=1
	s_or_b32 exec_lo, exec_lo, s20
.LBB232_3766:                           ;   in Loop: Header=BB232_2076 Depth=1
	s_or_b32 exec_lo, exec_lo, s19
	s_mov_b32 s19, exec_lo
	v_cmpx_lt_u32_e32 0xffffff, v9
	s_cbranch_execz .LBB232_3774
; %bb.3767:                             ;   in Loop: Header=BB232_2076 Depth=1
	v_mov_b32_e32 v12, v11
	v_mov_b32_e32 v23, v13
	v_cmp_ne_u32_sdwa s8, v9, v74 src0_sel:BYTE_3 src1_sel:DWORD
	v_mov_b32_e32 v22, v12
	s_and_saveexec_b32 s20, s8
	s_cbranch_execz .LBB232_3773
; %bb.3768:                             ;   in Loop: Header=BB232_2076 Depth=1
	v_mov_b32_e32 v14, v11
	v_mov_b32_e32 v23, v15
	v_bfe_u32 v28, v9, 24, 7
	s_mov_b32 s21, exec_lo
	v_mov_b32_e32 v22, v14
	v_cmpx_ne_u32_e32 0x7f, v28
	s_cbranch_execz .LBB232_3772
; %bb.3769:                             ;   in Loop: Header=BB232_2076 Depth=1
	v_and_b32_sdwa v10, v9, v77 dst_sel:DWORD dst_unused:UNUSED_PAD src0_sel:BYTE_3 src1_sel:DWORD
	v_mov_b32_e32 v23, v11
	v_lshrrev_b32_e32 v12, 3, v28
	s_mov_b32 s22, exec_lo
	v_mov_b32_e32 v22, v10
	v_cmpx_gt_u32_e32 8, v28
; %bb.3770:                             ;   in Loop: Header=BB232_2076 Depth=1
	v_ffbh_u32_e32 v12, v10
	v_min_u32_e32 v12, 32, v12
	v_subrev_nc_u32_e32 v14, 28, v12
	v_sub_nc_u32_e32 v12, 29, v12
	v_lshlrev_b64 v[22:23], v14, v[10:11]
	v_and_b32_e32 v22, 7, v22
; %bb.3771:                             ;   in Loop: Header=BB232_2076 Depth=1
	s_or_b32 exec_lo, exec_lo, s22
	v_lshlrev_b32_sdwa v9, v78, v9 dst_sel:DWORD dst_unused:UNUSED_PAD src0_sel:DWORD src1_sel:BYTE_3
	v_lshlrev_b32_e32 v10, 20, v22
	v_lshl_add_u32 v12, v12, 23, 0x3c000000
	v_mov_b32_e32 v22, v11
	v_and_b32_e32 v9, 0x80000000, v9
	v_or3_b32 v23, v10, v9, v12
.LBB232_3772:                           ;   in Loop: Header=BB232_2076 Depth=1
	s_or_b32 exec_lo, exec_lo, s21
.LBB232_3773:                           ;   in Loop: Header=BB232_2076 Depth=1
	s_or_b32 exec_lo, exec_lo, s20
.LBB232_3774:                           ;   in Loop: Header=BB232_2076 Depth=1
	s_or_b32 exec_lo, exec_lo, s19
	v_or_b32_e32 v9, v21, v19
	v_or_b32_e32 v10, v20, v18
	;; [unrolled: 1-line block ×4, first 2 shown]
	v_mul_f32_e32 v79, v92, v9
	v_mul_f32_e32 v113, v73, v10
	;; [unrolled: 1-line block ×4, first 2 shown]
	s_and_saveexec_b32 s8, s6
; %bb.3775:                             ;   in Loop: Header=BB232_2076 Depth=1
	v_cndmask_b32_e32 v113, 0, v113, vcc_lo
	v_cndmask_b32_e64 v79, 0, v79, s4
	v_cndmask_b32_e64 v127, 0, v127, s5
	;; [unrolled: 1-line block ×3, first 2 shown]
; %bb.3776:                             ;   in Loop: Header=BB232_2076 Depth=1
	s_or_b32 exec_lo, exec_lo, s8
	flat_load_dword v9, v[16:17] offset:256
	v_mov_b32_e32 v20, 0
	v_mov_b32_e32 v18, 0
	;; [unrolled: 1-line block ×4, first 2 shown]
	s_waitcnt vmcnt(0) lgkmcnt(0)
	v_cmp_ne_u16_sdwa s8, v9, v11 src0_sel:BYTE_0 src1_sel:DWORD
	s_and_saveexec_b32 s19, s8
	s_cbranch_execz .LBB232_3784
; %bb.3777:                             ;   in Loop: Header=BB232_2076 Depth=1
	v_bfrev_b32_e32 v18, 1
	v_mov_b32_e32 v19, 0
	v_cmp_ne_u16_sdwa s8, v9, v74 src0_sel:BYTE_0 src1_sel:DWORD
	s_and_saveexec_b32 s20, s8
	s_cbranch_execz .LBB232_3783
; %bb.3778:                             ;   in Loop: Header=BB232_2076 Depth=1
	v_mov_b32_e32 v18, 0x7f800001
	v_and_b32_e32 v14, 0x7f, v9
	v_mov_b32_e32 v19, 0
	s_mov_b32 s21, exec_lo
	v_cmpx_ne_u32_e32 0x7f, v14
	s_cbranch_execz .LBB232_3782
; %bb.3779:                             ;   in Loop: Header=BB232_2076 Depth=1
	v_and_b32_e32 v10, 7, v9
	v_mov_b32_e32 v19, v11
	v_lshrrev_b32_e32 v12, 3, v14
	s_mov_b32 s22, exec_lo
	v_mov_b32_e32 v18, v10
	v_cmpx_gt_u32_e32 8, v14
; %bb.3780:                             ;   in Loop: Header=BB232_2076 Depth=1
	v_ffbh_u32_e32 v12, v10
	v_min_u32_e32 v12, 32, v12
	v_subrev_nc_u32_e32 v14, 28, v12
	v_sub_nc_u32_e32 v12, 29, v12
	v_lshlrev_b64 v[18:19], v14, v[10:11]
	v_and_b32_e32 v18, 7, v18
; %bb.3781:                             ;   in Loop: Header=BB232_2076 Depth=1
	s_or_b32 exec_lo, exec_lo, s22
	v_lshlrev_b32_e32 v10, 24, v9
	v_lshlrev_b32_e32 v14, 20, v18
	v_lshl_add_u32 v12, v12, 23, 0x3c000000
	v_and_b32_e32 v10, 0x80000000, v10
	v_or3_b32 v10, v14, v10, v12
	v_mov_b32_e32 v19, v11
	v_mov_b32_e32 v18, v10
.LBB232_3782:                           ;   in Loop: Header=BB232_2076 Depth=1
	s_or_b32 exec_lo, exec_lo, s21
.LBB232_3783:                           ;   in Loop: Header=BB232_2076 Depth=1
	s_or_b32 exec_lo, exec_lo, s20
.LBB232_3784:                           ;   in Loop: Header=BB232_2076 Depth=1
	s_or_b32 exec_lo, exec_lo, s19
	v_cmp_ne_u16_sdwa s8, v9, v11 src0_sel:BYTE_1 src1_sel:DWORD
	s_and_saveexec_b32 s19, s8
	s_cbranch_execz .LBB232_3792
; %bb.3785:                             ;   in Loop: Header=BB232_2076 Depth=1
	v_mov_b32_e32 v12, v11
	v_mov_b32_e32 v21, v13
	v_cmp_ne_u16_sdwa s8, v9, v74 src0_sel:BYTE_1 src1_sel:DWORD
	v_mov_b32_e32 v20, v12
	s_and_saveexec_b32 s20, s8
	s_cbranch_execz .LBB232_3791
; %bb.3786:                             ;   in Loop: Header=BB232_2076 Depth=1
	v_and_b32_sdwa v10, v75, v9 dst_sel:DWORD dst_unused:UNUSED_PAD src0_sel:DWORD src1_sel:BYTE_1
	v_mov_b32_e32 v14, v11
	v_mov_b32_e32 v21, v15
	s_mov_b32 s21, exec_lo
	v_and_b32_e32 v22, 0x7f, v10
	v_mov_b32_e32 v20, v14
	v_cmpx_ne_u32_e32 0x7f, v22
	s_cbranch_execz .LBB232_3790
; %bb.3787:                             ;   in Loop: Header=BB232_2076 Depth=1
	v_and_b32_e32 v10, 7, v10
	v_mov_b32_e32 v21, v11
	v_lshrrev_b32_e32 v12, 3, v22
	s_mov_b32 s22, exec_lo
	v_mov_b32_e32 v20, v10
	v_cmpx_gt_u32_e32 8, v22
; %bb.3788:                             ;   in Loop: Header=BB232_2076 Depth=1
	v_ffbh_u32_e32 v12, v10
	v_min_u32_e32 v12, 32, v12
	v_subrev_nc_u32_e32 v14, 28, v12
	v_sub_nc_u32_e32 v12, 29, v12
	v_lshlrev_b64 v[20:21], v14, v[10:11]
	v_and_b32_e32 v20, 7, v20
; %bb.3789:                             ;   in Loop: Header=BB232_2076 Depth=1
	s_or_b32 exec_lo, exec_lo, s22
	v_lshlrev_b32_e32 v10, 16, v9
	v_lshlrev_b32_e32 v14, 20, v20
	v_lshl_add_u32 v12, v12, 23, 0x3c000000
	v_mov_b32_e32 v20, v11
	v_and_b32_e32 v10, 0x80000000, v10
	v_or3_b32 v21, v14, v10, v12
.LBB232_3790:                           ;   in Loop: Header=BB232_2076 Depth=1
	s_or_b32 exec_lo, exec_lo, s21
.LBB232_3791:                           ;   in Loop: Header=BB232_2076 Depth=1
	s_or_b32 exec_lo, exec_lo, s20
.LBB232_3792:                           ;   in Loop: Header=BB232_2076 Depth=1
	s_or_b32 exec_lo, exec_lo, s19
	v_mov_b32_e32 v22, 0
	v_mov_b32_e32 v24, 0
	v_and_b32_sdwa v10, v9, v76 dst_sel:DWORD dst_unused:UNUSED_PAD src0_sel:WORD_1 src1_sel:DWORD
	v_mov_b32_e32 v23, 0
	v_mov_b32_e32 v25, 0
	s_mov_b32 s19, exec_lo
	v_cmpx_ne_u16_e32 0, v10
	s_cbranch_execz .LBB232_3800
; %bb.3793:                             ;   in Loop: Header=BB232_2076 Depth=1
	v_bfrev_b32_e32 v24, 1
	v_mov_b32_e32 v25, 0
	s_mov_b32 s20, exec_lo
	v_cmpx_ne_u16_e32 0x80, v10
	s_cbranch_execz .LBB232_3799
; %bb.3794:                             ;   in Loop: Header=BB232_2076 Depth=1
	v_mov_b32_e32 v24, 0x7f800001
	v_bfe_u32 v14, v9, 16, 7
	v_mov_b32_e32 v25, 0
	s_mov_b32 s21, exec_lo
	v_cmpx_ne_u32_e32 0x7f, v14
	s_cbranch_execz .LBB232_3798
; %bb.3795:                             ;   in Loop: Header=BB232_2076 Depth=1
	v_and_b32_sdwa v10, v9, v77 dst_sel:DWORD dst_unused:UNUSED_PAD src0_sel:WORD_1 src1_sel:DWORD
	v_mov_b32_e32 v25, v11
	v_lshrrev_b32_e32 v12, 3, v14
	s_mov_b32 s22, exec_lo
	v_mov_b32_e32 v24, v10
	v_cmpx_gt_u32_e32 8, v14
; %bb.3796:                             ;   in Loop: Header=BB232_2076 Depth=1
	v_ffbh_u32_e32 v12, v10
	v_min_u32_e32 v12, 32, v12
	v_subrev_nc_u32_e32 v14, 28, v12
	v_sub_nc_u32_e32 v12, 29, v12
	v_lshlrev_b64 v[24:25], v14, v[10:11]
	v_and_b32_e32 v24, 7, v24
; %bb.3797:                             ;   in Loop: Header=BB232_2076 Depth=1
	s_or_b32 exec_lo, exec_lo, s22
	v_lshlrev_b32_sdwa v10, v78, v9 dst_sel:DWORD dst_unused:UNUSED_PAD src0_sel:DWORD src1_sel:WORD_1
	v_lshlrev_b32_e32 v14, 20, v24
	v_lshl_add_u32 v12, v12, 23, 0x3c000000
	v_and_b32_e32 v10, 0x80000000, v10
	v_or3_b32 v10, v14, v10, v12
	v_mov_b32_e32 v25, v11
	v_mov_b32_e32 v24, v10
.LBB232_3798:                           ;   in Loop: Header=BB232_2076 Depth=1
	s_or_b32 exec_lo, exec_lo, s21
.LBB232_3799:                           ;   in Loop: Header=BB232_2076 Depth=1
	s_or_b32 exec_lo, exec_lo, s20
.LBB232_3800:                           ;   in Loop: Header=BB232_2076 Depth=1
	s_or_b32 exec_lo, exec_lo, s19
	s_mov_b32 s19, exec_lo
	v_cmpx_lt_u32_e32 0xffffff, v9
	s_cbranch_execz .LBB232_3808
; %bb.3801:                             ;   in Loop: Header=BB232_2076 Depth=1
	v_mov_b32_e32 v12, v11
	v_mov_b32_e32 v23, v13
	v_cmp_ne_u32_sdwa s8, v9, v74 src0_sel:BYTE_3 src1_sel:DWORD
	v_mov_b32_e32 v22, v12
	s_and_saveexec_b32 s20, s8
	s_cbranch_execz .LBB232_3807
; %bb.3802:                             ;   in Loop: Header=BB232_2076 Depth=1
	v_mov_b32_e32 v14, v11
	v_mov_b32_e32 v23, v15
	v_bfe_u32 v28, v9, 24, 7
	s_mov_b32 s21, exec_lo
	v_mov_b32_e32 v22, v14
	v_cmpx_ne_u32_e32 0x7f, v28
	s_cbranch_execz .LBB232_3806
; %bb.3803:                             ;   in Loop: Header=BB232_2076 Depth=1
	v_and_b32_sdwa v10, v9, v77 dst_sel:DWORD dst_unused:UNUSED_PAD src0_sel:BYTE_3 src1_sel:DWORD
	v_mov_b32_e32 v23, v11
	v_lshrrev_b32_e32 v12, 3, v28
	s_mov_b32 s22, exec_lo
	v_mov_b32_e32 v22, v10
	v_cmpx_gt_u32_e32 8, v28
; %bb.3804:                             ;   in Loop: Header=BB232_2076 Depth=1
	v_ffbh_u32_e32 v12, v10
	v_min_u32_e32 v12, 32, v12
	v_subrev_nc_u32_e32 v14, 28, v12
	v_sub_nc_u32_e32 v12, 29, v12
	v_lshlrev_b64 v[22:23], v14, v[10:11]
	v_and_b32_e32 v22, 7, v22
; %bb.3805:                             ;   in Loop: Header=BB232_2076 Depth=1
	s_or_b32 exec_lo, exec_lo, s22
	v_lshlrev_b32_sdwa v9, v78, v9 dst_sel:DWORD dst_unused:UNUSED_PAD src0_sel:DWORD src1_sel:BYTE_3
	v_lshlrev_b32_e32 v10, 20, v22
	v_lshl_add_u32 v12, v12, 23, 0x3c000000
	v_mov_b32_e32 v22, v11
	v_and_b32_e32 v9, 0x80000000, v9
	v_or3_b32 v23, v10, v9, v12
.LBB232_3806:                           ;   in Loop: Header=BB232_2076 Depth=1
	s_or_b32 exec_lo, exec_lo, s21
.LBB232_3807:                           ;   in Loop: Header=BB232_2076 Depth=1
	s_or_b32 exec_lo, exec_lo, s20
.LBB232_3808:                           ;   in Loop: Header=BB232_2076 Depth=1
	s_or_b32 exec_lo, exec_lo, s19
	v_or_b32_e32 v9, v21, v19
	v_or_b32_e32 v10, v20, v18
	;; [unrolled: 1-line block ×4, first 2 shown]
	v_mul_f32_e32 v117, v92, v9
	v_mul_f32_e32 v116, v73, v10
	v_mul_f32_e32 v115, v73, v12
	v_mul_f32_e32 v114, v92, v14
	s_and_saveexec_b32 s8, s6
; %bb.3809:                             ;   in Loop: Header=BB232_2076 Depth=1
	v_cndmask_b32_e32 v116, 0, v116, vcc_lo
	v_cndmask_b32_e64 v117, 0, v117, s4
	v_cndmask_b32_e64 v115, 0, v115, s5
	;; [unrolled: 1-line block ×3, first 2 shown]
; %bb.3810:                             ;   in Loop: Header=BB232_2076 Depth=1
	s_or_b32 exec_lo, exec_lo, s8
	flat_load_dword v9, v[16:17] offset:384
	v_mov_b32_e32 v20, 0
	v_mov_b32_e32 v18, 0
	;; [unrolled: 1-line block ×4, first 2 shown]
	s_waitcnt vmcnt(0) lgkmcnt(0)
	v_cmp_ne_u16_sdwa s8, v9, v11 src0_sel:BYTE_0 src1_sel:DWORD
	s_and_saveexec_b32 s19, s8
	s_cbranch_execz .LBB232_3818
; %bb.3811:                             ;   in Loop: Header=BB232_2076 Depth=1
	v_bfrev_b32_e32 v18, 1
	v_mov_b32_e32 v19, 0
	v_cmp_ne_u16_sdwa s8, v9, v74 src0_sel:BYTE_0 src1_sel:DWORD
	s_and_saveexec_b32 s20, s8
	s_cbranch_execz .LBB232_3817
; %bb.3812:                             ;   in Loop: Header=BB232_2076 Depth=1
	v_mov_b32_e32 v18, 0x7f800001
	v_and_b32_e32 v14, 0x7f, v9
	v_mov_b32_e32 v19, 0
	s_mov_b32 s21, exec_lo
	v_cmpx_ne_u32_e32 0x7f, v14
	s_cbranch_execz .LBB232_3816
; %bb.3813:                             ;   in Loop: Header=BB232_2076 Depth=1
	v_and_b32_e32 v10, 7, v9
	v_mov_b32_e32 v19, v11
	v_lshrrev_b32_e32 v12, 3, v14
	s_mov_b32 s22, exec_lo
	v_mov_b32_e32 v18, v10
	v_cmpx_gt_u32_e32 8, v14
; %bb.3814:                             ;   in Loop: Header=BB232_2076 Depth=1
	v_ffbh_u32_e32 v12, v10
	v_min_u32_e32 v12, 32, v12
	v_subrev_nc_u32_e32 v14, 28, v12
	v_sub_nc_u32_e32 v12, 29, v12
	v_lshlrev_b64 v[18:19], v14, v[10:11]
	v_and_b32_e32 v18, 7, v18
; %bb.3815:                             ;   in Loop: Header=BB232_2076 Depth=1
	s_or_b32 exec_lo, exec_lo, s22
	v_lshlrev_b32_e32 v10, 24, v9
	v_lshlrev_b32_e32 v14, 20, v18
	v_lshl_add_u32 v12, v12, 23, 0x3c000000
	v_and_b32_e32 v10, 0x80000000, v10
	v_or3_b32 v10, v14, v10, v12
	v_mov_b32_e32 v19, v11
	v_mov_b32_e32 v18, v10
.LBB232_3816:                           ;   in Loop: Header=BB232_2076 Depth=1
	s_or_b32 exec_lo, exec_lo, s21
.LBB232_3817:                           ;   in Loop: Header=BB232_2076 Depth=1
	s_or_b32 exec_lo, exec_lo, s20
.LBB232_3818:                           ;   in Loop: Header=BB232_2076 Depth=1
	s_or_b32 exec_lo, exec_lo, s19
	v_cmp_ne_u16_sdwa s8, v9, v11 src0_sel:BYTE_1 src1_sel:DWORD
	s_and_saveexec_b32 s19, s8
	s_cbranch_execz .LBB232_3826
; %bb.3819:                             ;   in Loop: Header=BB232_2076 Depth=1
	v_mov_b32_e32 v12, v11
	v_mov_b32_e32 v21, v13
	v_cmp_ne_u16_sdwa s8, v9, v74 src0_sel:BYTE_1 src1_sel:DWORD
	v_mov_b32_e32 v20, v12
	s_and_saveexec_b32 s20, s8
	s_cbranch_execz .LBB232_3825
; %bb.3820:                             ;   in Loop: Header=BB232_2076 Depth=1
	v_and_b32_sdwa v10, v75, v9 dst_sel:DWORD dst_unused:UNUSED_PAD src0_sel:DWORD src1_sel:BYTE_1
	v_mov_b32_e32 v14, v11
	v_mov_b32_e32 v21, v15
	s_mov_b32 s21, exec_lo
	v_and_b32_e32 v22, 0x7f, v10
	v_mov_b32_e32 v20, v14
	v_cmpx_ne_u32_e32 0x7f, v22
	s_cbranch_execz .LBB232_3824
; %bb.3821:                             ;   in Loop: Header=BB232_2076 Depth=1
	v_and_b32_e32 v10, 7, v10
	v_mov_b32_e32 v21, v11
	v_lshrrev_b32_e32 v12, 3, v22
	s_mov_b32 s22, exec_lo
	v_mov_b32_e32 v20, v10
	v_cmpx_gt_u32_e32 8, v22
; %bb.3822:                             ;   in Loop: Header=BB232_2076 Depth=1
	v_ffbh_u32_e32 v12, v10
	v_min_u32_e32 v12, 32, v12
	v_subrev_nc_u32_e32 v14, 28, v12
	v_sub_nc_u32_e32 v12, 29, v12
	v_lshlrev_b64 v[20:21], v14, v[10:11]
	v_and_b32_e32 v20, 7, v20
; %bb.3823:                             ;   in Loop: Header=BB232_2076 Depth=1
	s_or_b32 exec_lo, exec_lo, s22
	v_lshlrev_b32_e32 v10, 16, v9
	v_lshlrev_b32_e32 v14, 20, v20
	v_lshl_add_u32 v12, v12, 23, 0x3c000000
	v_mov_b32_e32 v20, v11
	v_and_b32_e32 v10, 0x80000000, v10
	v_or3_b32 v21, v14, v10, v12
.LBB232_3824:                           ;   in Loop: Header=BB232_2076 Depth=1
	s_or_b32 exec_lo, exec_lo, s21
.LBB232_3825:                           ;   in Loop: Header=BB232_2076 Depth=1
	s_or_b32 exec_lo, exec_lo, s20
.LBB232_3826:                           ;   in Loop: Header=BB232_2076 Depth=1
	s_or_b32 exec_lo, exec_lo, s19
	v_mov_b32_e32 v22, 0
	v_mov_b32_e32 v24, 0
	v_and_b32_sdwa v10, v9, v76 dst_sel:DWORD dst_unused:UNUSED_PAD src0_sel:WORD_1 src1_sel:DWORD
	v_mov_b32_e32 v23, 0
	v_mov_b32_e32 v25, 0
	s_mov_b32 s19, exec_lo
	v_cmpx_ne_u16_e32 0, v10
	s_cbranch_execz .LBB232_3834
; %bb.3827:                             ;   in Loop: Header=BB232_2076 Depth=1
	v_bfrev_b32_e32 v24, 1
	v_mov_b32_e32 v25, 0
	s_mov_b32 s20, exec_lo
	v_cmpx_ne_u16_e32 0x80, v10
	s_cbranch_execz .LBB232_3833
; %bb.3828:                             ;   in Loop: Header=BB232_2076 Depth=1
	v_mov_b32_e32 v24, 0x7f800001
	v_bfe_u32 v14, v9, 16, 7
	v_mov_b32_e32 v25, 0
	s_mov_b32 s21, exec_lo
	v_cmpx_ne_u32_e32 0x7f, v14
	s_cbranch_execz .LBB232_3832
; %bb.3829:                             ;   in Loop: Header=BB232_2076 Depth=1
	v_and_b32_sdwa v10, v9, v77 dst_sel:DWORD dst_unused:UNUSED_PAD src0_sel:WORD_1 src1_sel:DWORD
	v_mov_b32_e32 v25, v11
	v_lshrrev_b32_e32 v12, 3, v14
	s_mov_b32 s22, exec_lo
	v_mov_b32_e32 v24, v10
	v_cmpx_gt_u32_e32 8, v14
; %bb.3830:                             ;   in Loop: Header=BB232_2076 Depth=1
	v_ffbh_u32_e32 v12, v10
	v_min_u32_e32 v12, 32, v12
	v_subrev_nc_u32_e32 v14, 28, v12
	v_sub_nc_u32_e32 v12, 29, v12
	v_lshlrev_b64 v[24:25], v14, v[10:11]
	v_and_b32_e32 v24, 7, v24
; %bb.3831:                             ;   in Loop: Header=BB232_2076 Depth=1
	s_or_b32 exec_lo, exec_lo, s22
	v_lshlrev_b32_sdwa v10, v78, v9 dst_sel:DWORD dst_unused:UNUSED_PAD src0_sel:DWORD src1_sel:WORD_1
	v_lshlrev_b32_e32 v14, 20, v24
	v_lshl_add_u32 v12, v12, 23, 0x3c000000
	v_and_b32_e32 v10, 0x80000000, v10
	v_or3_b32 v10, v14, v10, v12
	v_mov_b32_e32 v25, v11
	v_mov_b32_e32 v24, v10
.LBB232_3832:                           ;   in Loop: Header=BB232_2076 Depth=1
	s_or_b32 exec_lo, exec_lo, s21
.LBB232_3833:                           ;   in Loop: Header=BB232_2076 Depth=1
	s_or_b32 exec_lo, exec_lo, s20
.LBB232_3834:                           ;   in Loop: Header=BB232_2076 Depth=1
	s_or_b32 exec_lo, exec_lo, s19
	s_mov_b32 s19, exec_lo
	v_cmpx_lt_u32_e32 0xffffff, v9
	s_cbranch_execz .LBB232_3842
; %bb.3835:                             ;   in Loop: Header=BB232_2076 Depth=1
	v_mov_b32_e32 v12, v11
	v_mov_b32_e32 v23, v13
	v_cmp_ne_u32_sdwa s8, v9, v74 src0_sel:BYTE_3 src1_sel:DWORD
	v_mov_b32_e32 v22, v12
	s_and_saveexec_b32 s20, s8
	s_cbranch_execz .LBB232_3841
; %bb.3836:                             ;   in Loop: Header=BB232_2076 Depth=1
	v_mov_b32_e32 v14, v11
	v_mov_b32_e32 v23, v15
	v_bfe_u32 v28, v9, 24, 7
	s_mov_b32 s21, exec_lo
	v_mov_b32_e32 v22, v14
	v_cmpx_ne_u32_e32 0x7f, v28
	s_cbranch_execz .LBB232_3840
; %bb.3837:                             ;   in Loop: Header=BB232_2076 Depth=1
	v_and_b32_sdwa v10, v9, v77 dst_sel:DWORD dst_unused:UNUSED_PAD src0_sel:BYTE_3 src1_sel:DWORD
	v_mov_b32_e32 v23, v11
	v_lshrrev_b32_e32 v12, 3, v28
	s_mov_b32 s22, exec_lo
	v_mov_b32_e32 v22, v10
	v_cmpx_gt_u32_e32 8, v28
; %bb.3838:                             ;   in Loop: Header=BB232_2076 Depth=1
	v_ffbh_u32_e32 v12, v10
	v_min_u32_e32 v12, 32, v12
	v_subrev_nc_u32_e32 v14, 28, v12
	v_sub_nc_u32_e32 v12, 29, v12
	v_lshlrev_b64 v[22:23], v14, v[10:11]
	v_and_b32_e32 v22, 7, v22
; %bb.3839:                             ;   in Loop: Header=BB232_2076 Depth=1
	s_or_b32 exec_lo, exec_lo, s22
	v_lshlrev_b32_sdwa v9, v78, v9 dst_sel:DWORD dst_unused:UNUSED_PAD src0_sel:DWORD src1_sel:BYTE_3
	v_lshlrev_b32_e32 v10, 20, v22
	v_lshl_add_u32 v12, v12, 23, 0x3c000000
	v_mov_b32_e32 v22, v11
	v_and_b32_e32 v9, 0x80000000, v9
	v_or3_b32 v23, v10, v9, v12
.LBB232_3840:                           ;   in Loop: Header=BB232_2076 Depth=1
	s_or_b32 exec_lo, exec_lo, s21
.LBB232_3841:                           ;   in Loop: Header=BB232_2076 Depth=1
	s_or_b32 exec_lo, exec_lo, s20
.LBB232_3842:                           ;   in Loop: Header=BB232_2076 Depth=1
	s_or_b32 exec_lo, exec_lo, s19
	v_or_b32_e32 v9, v21, v19
	v_or_b32_e32 v10, v20, v18
	;; [unrolled: 1-line block ×4, first 2 shown]
	v_mul_f32_e32 v41, v92, v9
	v_mul_f32_e32 v40, v73, v10
	;; [unrolled: 1-line block ×4, first 2 shown]
	s_and_saveexec_b32 s8, s6
; %bb.3843:                             ;   in Loop: Header=BB232_2076 Depth=1
	v_cndmask_b32_e32 v40, 0, v40, vcc_lo
	v_cndmask_b32_e64 v41, 0, v41, s4
	v_cndmask_b32_e64 v119, 0, v119, s5
	;; [unrolled: 1-line block ×3, first 2 shown]
; %bb.3844:                             ;   in Loop: Header=BB232_2076 Depth=1
	s_or_b32 exec_lo, exec_lo, s8
	flat_load_dword v9, v[16:17] offset:512
	v_mov_b32_e32 v20, 0
	v_mov_b32_e32 v18, 0
	v_mov_b32_e32 v21, 0
	v_mov_b32_e32 v19, 0
	s_waitcnt vmcnt(0) lgkmcnt(0)
	v_cmp_ne_u16_sdwa s8, v9, v11 src0_sel:BYTE_0 src1_sel:DWORD
	s_and_saveexec_b32 s19, s8
	s_cbranch_execz .LBB232_3852
; %bb.3845:                             ;   in Loop: Header=BB232_2076 Depth=1
	v_bfrev_b32_e32 v18, 1
	v_mov_b32_e32 v19, 0
	v_cmp_ne_u16_sdwa s8, v9, v74 src0_sel:BYTE_0 src1_sel:DWORD
	s_and_saveexec_b32 s20, s8
	s_cbranch_execz .LBB232_3851
; %bb.3846:                             ;   in Loop: Header=BB232_2076 Depth=1
	v_mov_b32_e32 v18, 0x7f800001
	v_and_b32_e32 v14, 0x7f, v9
	v_mov_b32_e32 v19, 0
	s_mov_b32 s21, exec_lo
	v_cmpx_ne_u32_e32 0x7f, v14
	s_cbranch_execz .LBB232_3850
; %bb.3847:                             ;   in Loop: Header=BB232_2076 Depth=1
	v_and_b32_e32 v10, 7, v9
	v_mov_b32_e32 v19, v11
	v_lshrrev_b32_e32 v12, 3, v14
	s_mov_b32 s22, exec_lo
	v_mov_b32_e32 v18, v10
	v_cmpx_gt_u32_e32 8, v14
; %bb.3848:                             ;   in Loop: Header=BB232_2076 Depth=1
	v_ffbh_u32_e32 v12, v10
	v_min_u32_e32 v12, 32, v12
	v_subrev_nc_u32_e32 v14, 28, v12
	v_sub_nc_u32_e32 v12, 29, v12
	v_lshlrev_b64 v[18:19], v14, v[10:11]
	v_and_b32_e32 v18, 7, v18
; %bb.3849:                             ;   in Loop: Header=BB232_2076 Depth=1
	s_or_b32 exec_lo, exec_lo, s22
	v_lshlrev_b32_e32 v10, 24, v9
	v_lshlrev_b32_e32 v14, 20, v18
	v_lshl_add_u32 v12, v12, 23, 0x3c000000
	v_and_b32_e32 v10, 0x80000000, v10
	v_or3_b32 v10, v14, v10, v12
	v_mov_b32_e32 v19, v11
	v_mov_b32_e32 v18, v10
.LBB232_3850:                           ;   in Loop: Header=BB232_2076 Depth=1
	s_or_b32 exec_lo, exec_lo, s21
.LBB232_3851:                           ;   in Loop: Header=BB232_2076 Depth=1
	s_or_b32 exec_lo, exec_lo, s20
.LBB232_3852:                           ;   in Loop: Header=BB232_2076 Depth=1
	s_or_b32 exec_lo, exec_lo, s19
	v_cmp_ne_u16_sdwa s8, v9, v11 src0_sel:BYTE_1 src1_sel:DWORD
	s_and_saveexec_b32 s19, s8
	s_cbranch_execz .LBB232_3860
; %bb.3853:                             ;   in Loop: Header=BB232_2076 Depth=1
	v_mov_b32_e32 v12, v11
	v_mov_b32_e32 v21, v13
	v_cmp_ne_u16_sdwa s8, v9, v74 src0_sel:BYTE_1 src1_sel:DWORD
	v_mov_b32_e32 v20, v12
	s_and_saveexec_b32 s20, s8
	s_cbranch_execz .LBB232_3859
; %bb.3854:                             ;   in Loop: Header=BB232_2076 Depth=1
	v_and_b32_sdwa v10, v75, v9 dst_sel:DWORD dst_unused:UNUSED_PAD src0_sel:DWORD src1_sel:BYTE_1
	v_mov_b32_e32 v14, v11
	v_mov_b32_e32 v21, v15
	s_mov_b32 s21, exec_lo
	v_and_b32_e32 v22, 0x7f, v10
	v_mov_b32_e32 v20, v14
	v_cmpx_ne_u32_e32 0x7f, v22
	s_cbranch_execz .LBB232_3858
; %bb.3855:                             ;   in Loop: Header=BB232_2076 Depth=1
	v_and_b32_e32 v10, 7, v10
	v_mov_b32_e32 v21, v11
	v_lshrrev_b32_e32 v12, 3, v22
	s_mov_b32 s22, exec_lo
	v_mov_b32_e32 v20, v10
	v_cmpx_gt_u32_e32 8, v22
; %bb.3856:                             ;   in Loop: Header=BB232_2076 Depth=1
	v_ffbh_u32_e32 v12, v10
	v_min_u32_e32 v12, 32, v12
	v_subrev_nc_u32_e32 v14, 28, v12
	v_sub_nc_u32_e32 v12, 29, v12
	v_lshlrev_b64 v[20:21], v14, v[10:11]
	v_and_b32_e32 v20, 7, v20
; %bb.3857:                             ;   in Loop: Header=BB232_2076 Depth=1
	s_or_b32 exec_lo, exec_lo, s22
	v_lshlrev_b32_e32 v10, 16, v9
	v_lshlrev_b32_e32 v14, 20, v20
	v_lshl_add_u32 v12, v12, 23, 0x3c000000
	v_mov_b32_e32 v20, v11
	v_and_b32_e32 v10, 0x80000000, v10
	v_or3_b32 v21, v14, v10, v12
.LBB232_3858:                           ;   in Loop: Header=BB232_2076 Depth=1
	s_or_b32 exec_lo, exec_lo, s21
.LBB232_3859:                           ;   in Loop: Header=BB232_2076 Depth=1
	s_or_b32 exec_lo, exec_lo, s20
.LBB232_3860:                           ;   in Loop: Header=BB232_2076 Depth=1
	s_or_b32 exec_lo, exec_lo, s19
	v_mov_b32_e32 v22, 0
	v_mov_b32_e32 v24, 0
	v_and_b32_sdwa v10, v9, v76 dst_sel:DWORD dst_unused:UNUSED_PAD src0_sel:WORD_1 src1_sel:DWORD
	v_mov_b32_e32 v23, 0
	v_mov_b32_e32 v25, 0
	s_mov_b32 s19, exec_lo
	v_cmpx_ne_u16_e32 0, v10
	s_cbranch_execz .LBB232_3868
; %bb.3861:                             ;   in Loop: Header=BB232_2076 Depth=1
	v_bfrev_b32_e32 v24, 1
	v_mov_b32_e32 v25, 0
	s_mov_b32 s20, exec_lo
	v_cmpx_ne_u16_e32 0x80, v10
	s_cbranch_execz .LBB232_3867
; %bb.3862:                             ;   in Loop: Header=BB232_2076 Depth=1
	v_mov_b32_e32 v24, 0x7f800001
	v_bfe_u32 v14, v9, 16, 7
	v_mov_b32_e32 v25, 0
	s_mov_b32 s21, exec_lo
	v_cmpx_ne_u32_e32 0x7f, v14
	s_cbranch_execz .LBB232_3866
; %bb.3863:                             ;   in Loop: Header=BB232_2076 Depth=1
	v_and_b32_sdwa v10, v9, v77 dst_sel:DWORD dst_unused:UNUSED_PAD src0_sel:WORD_1 src1_sel:DWORD
	v_mov_b32_e32 v25, v11
	v_lshrrev_b32_e32 v12, 3, v14
	s_mov_b32 s22, exec_lo
	v_mov_b32_e32 v24, v10
	v_cmpx_gt_u32_e32 8, v14
; %bb.3864:                             ;   in Loop: Header=BB232_2076 Depth=1
	v_ffbh_u32_e32 v12, v10
	v_min_u32_e32 v12, 32, v12
	v_subrev_nc_u32_e32 v14, 28, v12
	v_sub_nc_u32_e32 v12, 29, v12
	v_lshlrev_b64 v[24:25], v14, v[10:11]
	v_and_b32_e32 v24, 7, v24
; %bb.3865:                             ;   in Loop: Header=BB232_2076 Depth=1
	s_or_b32 exec_lo, exec_lo, s22
	v_lshlrev_b32_sdwa v10, v78, v9 dst_sel:DWORD dst_unused:UNUSED_PAD src0_sel:DWORD src1_sel:WORD_1
	v_lshlrev_b32_e32 v14, 20, v24
	v_lshl_add_u32 v12, v12, 23, 0x3c000000
	v_and_b32_e32 v10, 0x80000000, v10
	v_or3_b32 v10, v14, v10, v12
	v_mov_b32_e32 v25, v11
	v_mov_b32_e32 v24, v10
.LBB232_3866:                           ;   in Loop: Header=BB232_2076 Depth=1
	s_or_b32 exec_lo, exec_lo, s21
.LBB232_3867:                           ;   in Loop: Header=BB232_2076 Depth=1
	s_or_b32 exec_lo, exec_lo, s20
.LBB232_3868:                           ;   in Loop: Header=BB232_2076 Depth=1
	s_or_b32 exec_lo, exec_lo, s19
	s_mov_b32 s19, exec_lo
	v_cmpx_lt_u32_e32 0xffffff, v9
	s_cbranch_execz .LBB232_3876
; %bb.3869:                             ;   in Loop: Header=BB232_2076 Depth=1
	v_mov_b32_e32 v12, v11
	v_mov_b32_e32 v23, v13
	v_cmp_ne_u32_sdwa s8, v9, v74 src0_sel:BYTE_3 src1_sel:DWORD
	v_mov_b32_e32 v22, v12
	s_and_saveexec_b32 s20, s8
	s_cbranch_execz .LBB232_3875
; %bb.3870:                             ;   in Loop: Header=BB232_2076 Depth=1
	v_mov_b32_e32 v14, v11
	v_mov_b32_e32 v23, v15
	v_bfe_u32 v28, v9, 24, 7
	s_mov_b32 s21, exec_lo
	v_mov_b32_e32 v22, v14
	v_cmpx_ne_u32_e32 0x7f, v28
	s_cbranch_execz .LBB232_3874
; %bb.3871:                             ;   in Loop: Header=BB232_2076 Depth=1
	v_and_b32_sdwa v10, v9, v77 dst_sel:DWORD dst_unused:UNUSED_PAD src0_sel:BYTE_3 src1_sel:DWORD
	v_mov_b32_e32 v23, v11
	v_lshrrev_b32_e32 v12, 3, v28
	s_mov_b32 s22, exec_lo
	v_mov_b32_e32 v22, v10
	v_cmpx_gt_u32_e32 8, v28
; %bb.3872:                             ;   in Loop: Header=BB232_2076 Depth=1
	v_ffbh_u32_e32 v12, v10
	v_min_u32_e32 v12, 32, v12
	v_subrev_nc_u32_e32 v14, 28, v12
	v_sub_nc_u32_e32 v12, 29, v12
	v_lshlrev_b64 v[22:23], v14, v[10:11]
	v_and_b32_e32 v22, 7, v22
; %bb.3873:                             ;   in Loop: Header=BB232_2076 Depth=1
	s_or_b32 exec_lo, exec_lo, s22
	v_lshlrev_b32_sdwa v9, v78, v9 dst_sel:DWORD dst_unused:UNUSED_PAD src0_sel:DWORD src1_sel:BYTE_3
	v_lshlrev_b32_e32 v10, 20, v22
	v_lshl_add_u32 v12, v12, 23, 0x3c000000
	v_mov_b32_e32 v22, v11
	v_and_b32_e32 v9, 0x80000000, v9
	v_or3_b32 v23, v10, v9, v12
.LBB232_3874:                           ;   in Loop: Header=BB232_2076 Depth=1
	s_or_b32 exec_lo, exec_lo, s21
.LBB232_3875:                           ;   in Loop: Header=BB232_2076 Depth=1
	s_or_b32 exec_lo, exec_lo, s20
.LBB232_3876:                           ;   in Loop: Header=BB232_2076 Depth=1
	s_or_b32 exec_lo, exec_lo, s19
	v_or_b32_e32 v9, v21, v19
	v_or_b32_e32 v10, v20, v18
	;; [unrolled: 1-line block ×4, first 2 shown]
	v_mul_f32_e32 v45, v92, v9
	v_mul_f32_e32 v44, v73, v10
	;; [unrolled: 1-line block ×4, first 2 shown]
	s_and_saveexec_b32 s8, s6
; %bb.3877:                             ;   in Loop: Header=BB232_2076 Depth=1
	v_cndmask_b32_e32 v44, 0, v44, vcc_lo
	v_cndmask_b32_e64 v45, 0, v45, s4
	v_cndmask_b32_e64 v43, 0, v43, s5
	v_cndmask_b32_e64 v42, 0, v42, s7
; %bb.3878:                             ;   in Loop: Header=BB232_2076 Depth=1
	s_or_b32 exec_lo, exec_lo, s8
	flat_load_dword v9, v[16:17] offset:640
	v_mov_b32_e32 v20, 0
	v_mov_b32_e32 v18, 0
	;; [unrolled: 1-line block ×4, first 2 shown]
	s_waitcnt vmcnt(0) lgkmcnt(0)
	v_cmp_ne_u16_sdwa s8, v9, v11 src0_sel:BYTE_0 src1_sel:DWORD
	s_and_saveexec_b32 s19, s8
	s_cbranch_execz .LBB232_3886
; %bb.3879:                             ;   in Loop: Header=BB232_2076 Depth=1
	v_bfrev_b32_e32 v18, 1
	v_mov_b32_e32 v19, 0
	v_cmp_ne_u16_sdwa s8, v9, v74 src0_sel:BYTE_0 src1_sel:DWORD
	s_and_saveexec_b32 s20, s8
	s_cbranch_execz .LBB232_3885
; %bb.3880:                             ;   in Loop: Header=BB232_2076 Depth=1
	v_mov_b32_e32 v18, 0x7f800001
	v_and_b32_e32 v14, 0x7f, v9
	v_mov_b32_e32 v19, 0
	s_mov_b32 s21, exec_lo
	v_cmpx_ne_u32_e32 0x7f, v14
	s_cbranch_execz .LBB232_3884
; %bb.3881:                             ;   in Loop: Header=BB232_2076 Depth=1
	v_and_b32_e32 v10, 7, v9
	v_mov_b32_e32 v19, v11
	v_lshrrev_b32_e32 v12, 3, v14
	s_mov_b32 s22, exec_lo
	v_mov_b32_e32 v18, v10
	v_cmpx_gt_u32_e32 8, v14
; %bb.3882:                             ;   in Loop: Header=BB232_2076 Depth=1
	v_ffbh_u32_e32 v12, v10
	v_min_u32_e32 v12, 32, v12
	v_subrev_nc_u32_e32 v14, 28, v12
	v_sub_nc_u32_e32 v12, 29, v12
	v_lshlrev_b64 v[18:19], v14, v[10:11]
	v_and_b32_e32 v18, 7, v18
; %bb.3883:                             ;   in Loop: Header=BB232_2076 Depth=1
	s_or_b32 exec_lo, exec_lo, s22
	v_lshlrev_b32_e32 v10, 24, v9
	v_lshlrev_b32_e32 v14, 20, v18
	v_lshl_add_u32 v12, v12, 23, 0x3c000000
	v_and_b32_e32 v10, 0x80000000, v10
	v_or3_b32 v10, v14, v10, v12
	v_mov_b32_e32 v19, v11
	v_mov_b32_e32 v18, v10
.LBB232_3884:                           ;   in Loop: Header=BB232_2076 Depth=1
	s_or_b32 exec_lo, exec_lo, s21
.LBB232_3885:                           ;   in Loop: Header=BB232_2076 Depth=1
	s_or_b32 exec_lo, exec_lo, s20
.LBB232_3886:                           ;   in Loop: Header=BB232_2076 Depth=1
	s_or_b32 exec_lo, exec_lo, s19
	v_cmp_ne_u16_sdwa s8, v9, v11 src0_sel:BYTE_1 src1_sel:DWORD
	s_and_saveexec_b32 s19, s8
	s_cbranch_execz .LBB232_3894
; %bb.3887:                             ;   in Loop: Header=BB232_2076 Depth=1
	v_mov_b32_e32 v12, v11
	v_mov_b32_e32 v21, v13
	v_cmp_ne_u16_sdwa s8, v9, v74 src0_sel:BYTE_1 src1_sel:DWORD
	v_mov_b32_e32 v20, v12
	s_and_saveexec_b32 s20, s8
	s_cbranch_execz .LBB232_3893
; %bb.3888:                             ;   in Loop: Header=BB232_2076 Depth=1
	v_and_b32_sdwa v10, v75, v9 dst_sel:DWORD dst_unused:UNUSED_PAD src0_sel:DWORD src1_sel:BYTE_1
	v_mov_b32_e32 v14, v11
	v_mov_b32_e32 v21, v15
	s_mov_b32 s21, exec_lo
	v_and_b32_e32 v22, 0x7f, v10
	v_mov_b32_e32 v20, v14
	v_cmpx_ne_u32_e32 0x7f, v22
	s_cbranch_execz .LBB232_3892
; %bb.3889:                             ;   in Loop: Header=BB232_2076 Depth=1
	v_and_b32_e32 v10, 7, v10
	v_mov_b32_e32 v21, v11
	v_lshrrev_b32_e32 v12, 3, v22
	s_mov_b32 s22, exec_lo
	v_mov_b32_e32 v20, v10
	v_cmpx_gt_u32_e32 8, v22
; %bb.3890:                             ;   in Loop: Header=BB232_2076 Depth=1
	v_ffbh_u32_e32 v12, v10
	v_min_u32_e32 v12, 32, v12
	v_subrev_nc_u32_e32 v14, 28, v12
	v_sub_nc_u32_e32 v12, 29, v12
	v_lshlrev_b64 v[20:21], v14, v[10:11]
	v_and_b32_e32 v20, 7, v20
; %bb.3891:                             ;   in Loop: Header=BB232_2076 Depth=1
	s_or_b32 exec_lo, exec_lo, s22
	v_lshlrev_b32_e32 v10, 16, v9
	v_lshlrev_b32_e32 v14, 20, v20
	v_lshl_add_u32 v12, v12, 23, 0x3c000000
	v_mov_b32_e32 v20, v11
	v_and_b32_e32 v10, 0x80000000, v10
	v_or3_b32 v21, v14, v10, v12
.LBB232_3892:                           ;   in Loop: Header=BB232_2076 Depth=1
	s_or_b32 exec_lo, exec_lo, s21
.LBB232_3893:                           ;   in Loop: Header=BB232_2076 Depth=1
	s_or_b32 exec_lo, exec_lo, s20
.LBB232_3894:                           ;   in Loop: Header=BB232_2076 Depth=1
	s_or_b32 exec_lo, exec_lo, s19
	v_mov_b32_e32 v22, 0
	v_mov_b32_e32 v24, 0
	v_and_b32_sdwa v10, v9, v76 dst_sel:DWORD dst_unused:UNUSED_PAD src0_sel:WORD_1 src1_sel:DWORD
	v_mov_b32_e32 v23, 0
	v_mov_b32_e32 v25, 0
	s_mov_b32 s19, exec_lo
	v_cmpx_ne_u16_e32 0, v10
	s_cbranch_execz .LBB232_3902
; %bb.3895:                             ;   in Loop: Header=BB232_2076 Depth=1
	v_bfrev_b32_e32 v24, 1
	v_mov_b32_e32 v25, 0
	s_mov_b32 s20, exec_lo
	v_cmpx_ne_u16_e32 0x80, v10
	s_cbranch_execz .LBB232_3901
; %bb.3896:                             ;   in Loop: Header=BB232_2076 Depth=1
	v_mov_b32_e32 v24, 0x7f800001
	v_bfe_u32 v14, v9, 16, 7
	v_mov_b32_e32 v25, 0
	s_mov_b32 s21, exec_lo
	v_cmpx_ne_u32_e32 0x7f, v14
	s_cbranch_execz .LBB232_3900
; %bb.3897:                             ;   in Loop: Header=BB232_2076 Depth=1
	v_and_b32_sdwa v10, v9, v77 dst_sel:DWORD dst_unused:UNUSED_PAD src0_sel:WORD_1 src1_sel:DWORD
	v_mov_b32_e32 v25, v11
	v_lshrrev_b32_e32 v12, 3, v14
	s_mov_b32 s22, exec_lo
	v_mov_b32_e32 v24, v10
	v_cmpx_gt_u32_e32 8, v14
; %bb.3898:                             ;   in Loop: Header=BB232_2076 Depth=1
	v_ffbh_u32_e32 v12, v10
	v_min_u32_e32 v12, 32, v12
	v_subrev_nc_u32_e32 v14, 28, v12
	v_sub_nc_u32_e32 v12, 29, v12
	v_lshlrev_b64 v[24:25], v14, v[10:11]
	v_and_b32_e32 v24, 7, v24
; %bb.3899:                             ;   in Loop: Header=BB232_2076 Depth=1
	s_or_b32 exec_lo, exec_lo, s22
	v_lshlrev_b32_sdwa v10, v78, v9 dst_sel:DWORD dst_unused:UNUSED_PAD src0_sel:DWORD src1_sel:WORD_1
	v_lshlrev_b32_e32 v14, 20, v24
	v_lshl_add_u32 v12, v12, 23, 0x3c000000
	v_and_b32_e32 v10, 0x80000000, v10
	v_or3_b32 v10, v14, v10, v12
	v_mov_b32_e32 v25, v11
	v_mov_b32_e32 v24, v10
.LBB232_3900:                           ;   in Loop: Header=BB232_2076 Depth=1
	s_or_b32 exec_lo, exec_lo, s21
.LBB232_3901:                           ;   in Loop: Header=BB232_2076 Depth=1
	s_or_b32 exec_lo, exec_lo, s20
.LBB232_3902:                           ;   in Loop: Header=BB232_2076 Depth=1
	s_or_b32 exec_lo, exec_lo, s19
	s_mov_b32 s19, exec_lo
	v_cmpx_lt_u32_e32 0xffffff, v9
	s_cbranch_execz .LBB232_3910
; %bb.3903:                             ;   in Loop: Header=BB232_2076 Depth=1
	v_mov_b32_e32 v12, v11
	v_mov_b32_e32 v23, v13
	v_cmp_ne_u32_sdwa s8, v9, v74 src0_sel:BYTE_3 src1_sel:DWORD
	v_mov_b32_e32 v22, v12
	s_and_saveexec_b32 s20, s8
	s_cbranch_execz .LBB232_3909
; %bb.3904:                             ;   in Loop: Header=BB232_2076 Depth=1
	v_mov_b32_e32 v14, v11
	v_mov_b32_e32 v23, v15
	v_bfe_u32 v28, v9, 24, 7
	s_mov_b32 s21, exec_lo
	v_mov_b32_e32 v22, v14
	v_cmpx_ne_u32_e32 0x7f, v28
	s_cbranch_execz .LBB232_3908
; %bb.3905:                             ;   in Loop: Header=BB232_2076 Depth=1
	v_and_b32_sdwa v10, v9, v77 dst_sel:DWORD dst_unused:UNUSED_PAD src0_sel:BYTE_3 src1_sel:DWORD
	v_mov_b32_e32 v23, v11
	v_lshrrev_b32_e32 v12, 3, v28
	s_mov_b32 s22, exec_lo
	v_mov_b32_e32 v22, v10
	v_cmpx_gt_u32_e32 8, v28
; %bb.3906:                             ;   in Loop: Header=BB232_2076 Depth=1
	v_ffbh_u32_e32 v12, v10
	v_min_u32_e32 v12, 32, v12
	v_subrev_nc_u32_e32 v14, 28, v12
	v_sub_nc_u32_e32 v12, 29, v12
	v_lshlrev_b64 v[22:23], v14, v[10:11]
	v_and_b32_e32 v22, 7, v22
; %bb.3907:                             ;   in Loop: Header=BB232_2076 Depth=1
	s_or_b32 exec_lo, exec_lo, s22
	v_lshlrev_b32_sdwa v9, v78, v9 dst_sel:DWORD dst_unused:UNUSED_PAD src0_sel:DWORD src1_sel:BYTE_3
	v_lshlrev_b32_e32 v10, 20, v22
	v_lshl_add_u32 v12, v12, 23, 0x3c000000
	v_mov_b32_e32 v22, v11
	v_and_b32_e32 v9, 0x80000000, v9
	v_or3_b32 v23, v10, v9, v12
.LBB232_3908:                           ;   in Loop: Header=BB232_2076 Depth=1
	s_or_b32 exec_lo, exec_lo, s21
.LBB232_3909:                           ;   in Loop: Header=BB232_2076 Depth=1
	s_or_b32 exec_lo, exec_lo, s20
.LBB232_3910:                           ;   in Loop: Header=BB232_2076 Depth=1
	s_or_b32 exec_lo, exec_lo, s19
	v_or_b32_e32 v9, v21, v19
	v_or_b32_e32 v10, v20, v18
	;; [unrolled: 1-line block ×4, first 2 shown]
	v_mul_f32_e32 v58, v92, v9
	v_mul_f32_e32 v57, v73, v10
	v_mul_f32_e32 v56, v73, v12
	v_mul_f32_e32 v46, v92, v14
	s_and_saveexec_b32 s8, s6
; %bb.3911:                             ;   in Loop: Header=BB232_2076 Depth=1
	v_cndmask_b32_e32 v57, 0, v57, vcc_lo
	v_cndmask_b32_e64 v58, 0, v58, s4
	v_cndmask_b32_e64 v56, 0, v56, s5
	;; [unrolled: 1-line block ×3, first 2 shown]
; %bb.3912:                             ;   in Loop: Header=BB232_2076 Depth=1
	s_or_b32 exec_lo, exec_lo, s8
	flat_load_dword v9, v[16:17] offset:768
	v_mov_b32_e32 v20, 0
	v_mov_b32_e32 v18, 0
	;; [unrolled: 1-line block ×4, first 2 shown]
	s_waitcnt vmcnt(0) lgkmcnt(0)
	v_cmp_ne_u16_sdwa s8, v9, v11 src0_sel:BYTE_0 src1_sel:DWORD
	s_and_saveexec_b32 s19, s8
	s_cbranch_execz .LBB232_3920
; %bb.3913:                             ;   in Loop: Header=BB232_2076 Depth=1
	v_bfrev_b32_e32 v18, 1
	v_mov_b32_e32 v19, 0
	v_cmp_ne_u16_sdwa s8, v9, v74 src0_sel:BYTE_0 src1_sel:DWORD
	s_and_saveexec_b32 s20, s8
	s_cbranch_execz .LBB232_3919
; %bb.3914:                             ;   in Loop: Header=BB232_2076 Depth=1
	v_mov_b32_e32 v18, 0x7f800001
	v_and_b32_e32 v14, 0x7f, v9
	v_mov_b32_e32 v19, 0
	s_mov_b32 s21, exec_lo
	v_cmpx_ne_u32_e32 0x7f, v14
	s_cbranch_execz .LBB232_3918
; %bb.3915:                             ;   in Loop: Header=BB232_2076 Depth=1
	v_and_b32_e32 v10, 7, v9
	v_mov_b32_e32 v19, v11
	v_lshrrev_b32_e32 v12, 3, v14
	s_mov_b32 s22, exec_lo
	v_mov_b32_e32 v18, v10
	v_cmpx_gt_u32_e32 8, v14
; %bb.3916:                             ;   in Loop: Header=BB232_2076 Depth=1
	v_ffbh_u32_e32 v12, v10
	v_min_u32_e32 v12, 32, v12
	v_subrev_nc_u32_e32 v14, 28, v12
	v_sub_nc_u32_e32 v12, 29, v12
	v_lshlrev_b64 v[18:19], v14, v[10:11]
	v_and_b32_e32 v18, 7, v18
; %bb.3917:                             ;   in Loop: Header=BB232_2076 Depth=1
	s_or_b32 exec_lo, exec_lo, s22
	v_lshlrev_b32_e32 v10, 24, v9
	v_lshlrev_b32_e32 v14, 20, v18
	v_lshl_add_u32 v12, v12, 23, 0x3c000000
	v_and_b32_e32 v10, 0x80000000, v10
	v_or3_b32 v10, v14, v10, v12
	v_mov_b32_e32 v19, v11
	v_mov_b32_e32 v18, v10
.LBB232_3918:                           ;   in Loop: Header=BB232_2076 Depth=1
	s_or_b32 exec_lo, exec_lo, s21
.LBB232_3919:                           ;   in Loop: Header=BB232_2076 Depth=1
	s_or_b32 exec_lo, exec_lo, s20
.LBB232_3920:                           ;   in Loop: Header=BB232_2076 Depth=1
	s_or_b32 exec_lo, exec_lo, s19
	v_cmp_ne_u16_sdwa s8, v9, v11 src0_sel:BYTE_1 src1_sel:DWORD
	s_and_saveexec_b32 s19, s8
	s_cbranch_execz .LBB232_3928
; %bb.3921:                             ;   in Loop: Header=BB232_2076 Depth=1
	v_mov_b32_e32 v12, v11
	v_mov_b32_e32 v21, v13
	v_cmp_ne_u16_sdwa s8, v9, v74 src0_sel:BYTE_1 src1_sel:DWORD
	v_mov_b32_e32 v20, v12
	s_and_saveexec_b32 s20, s8
	s_cbranch_execz .LBB232_3927
; %bb.3922:                             ;   in Loop: Header=BB232_2076 Depth=1
	v_and_b32_sdwa v10, v75, v9 dst_sel:DWORD dst_unused:UNUSED_PAD src0_sel:DWORD src1_sel:BYTE_1
	v_mov_b32_e32 v14, v11
	v_mov_b32_e32 v21, v15
	s_mov_b32 s21, exec_lo
	v_and_b32_e32 v22, 0x7f, v10
	v_mov_b32_e32 v20, v14
	v_cmpx_ne_u32_e32 0x7f, v22
	s_cbranch_execz .LBB232_3926
; %bb.3923:                             ;   in Loop: Header=BB232_2076 Depth=1
	v_and_b32_e32 v10, 7, v10
	v_mov_b32_e32 v21, v11
	v_lshrrev_b32_e32 v12, 3, v22
	s_mov_b32 s22, exec_lo
	v_mov_b32_e32 v20, v10
	v_cmpx_gt_u32_e32 8, v22
; %bb.3924:                             ;   in Loop: Header=BB232_2076 Depth=1
	v_ffbh_u32_e32 v12, v10
	v_min_u32_e32 v12, 32, v12
	v_subrev_nc_u32_e32 v14, 28, v12
	v_sub_nc_u32_e32 v12, 29, v12
	v_lshlrev_b64 v[20:21], v14, v[10:11]
	v_and_b32_e32 v20, 7, v20
; %bb.3925:                             ;   in Loop: Header=BB232_2076 Depth=1
	s_or_b32 exec_lo, exec_lo, s22
	v_lshlrev_b32_e32 v10, 16, v9
	v_lshlrev_b32_e32 v14, 20, v20
	v_lshl_add_u32 v12, v12, 23, 0x3c000000
	v_mov_b32_e32 v20, v11
	v_and_b32_e32 v10, 0x80000000, v10
	v_or3_b32 v21, v14, v10, v12
.LBB232_3926:                           ;   in Loop: Header=BB232_2076 Depth=1
	s_or_b32 exec_lo, exec_lo, s21
.LBB232_3927:                           ;   in Loop: Header=BB232_2076 Depth=1
	s_or_b32 exec_lo, exec_lo, s20
.LBB232_3928:                           ;   in Loop: Header=BB232_2076 Depth=1
	s_or_b32 exec_lo, exec_lo, s19
	v_mov_b32_e32 v22, 0
	v_mov_b32_e32 v24, 0
	v_and_b32_sdwa v10, v9, v76 dst_sel:DWORD dst_unused:UNUSED_PAD src0_sel:WORD_1 src1_sel:DWORD
	v_mov_b32_e32 v23, 0
	v_mov_b32_e32 v25, 0
	s_mov_b32 s19, exec_lo
	v_cmpx_ne_u16_e32 0, v10
	s_cbranch_execz .LBB232_3936
; %bb.3929:                             ;   in Loop: Header=BB232_2076 Depth=1
	v_bfrev_b32_e32 v24, 1
	v_mov_b32_e32 v25, 0
	s_mov_b32 s20, exec_lo
	v_cmpx_ne_u16_e32 0x80, v10
	s_cbranch_execz .LBB232_3935
; %bb.3930:                             ;   in Loop: Header=BB232_2076 Depth=1
	v_mov_b32_e32 v24, 0x7f800001
	v_bfe_u32 v14, v9, 16, 7
	v_mov_b32_e32 v25, 0
	s_mov_b32 s21, exec_lo
	v_cmpx_ne_u32_e32 0x7f, v14
	s_cbranch_execz .LBB232_3934
; %bb.3931:                             ;   in Loop: Header=BB232_2076 Depth=1
	v_and_b32_sdwa v10, v9, v77 dst_sel:DWORD dst_unused:UNUSED_PAD src0_sel:WORD_1 src1_sel:DWORD
	v_mov_b32_e32 v25, v11
	v_lshrrev_b32_e32 v12, 3, v14
	s_mov_b32 s22, exec_lo
	v_mov_b32_e32 v24, v10
	v_cmpx_gt_u32_e32 8, v14
; %bb.3932:                             ;   in Loop: Header=BB232_2076 Depth=1
	v_ffbh_u32_e32 v12, v10
	v_min_u32_e32 v12, 32, v12
	v_subrev_nc_u32_e32 v14, 28, v12
	v_sub_nc_u32_e32 v12, 29, v12
	v_lshlrev_b64 v[24:25], v14, v[10:11]
	v_and_b32_e32 v24, 7, v24
; %bb.3933:                             ;   in Loop: Header=BB232_2076 Depth=1
	s_or_b32 exec_lo, exec_lo, s22
	v_lshlrev_b32_sdwa v10, v78, v9 dst_sel:DWORD dst_unused:UNUSED_PAD src0_sel:DWORD src1_sel:WORD_1
	v_lshlrev_b32_e32 v14, 20, v24
	v_lshl_add_u32 v12, v12, 23, 0x3c000000
	v_and_b32_e32 v10, 0x80000000, v10
	v_or3_b32 v10, v14, v10, v12
	v_mov_b32_e32 v25, v11
	v_mov_b32_e32 v24, v10
.LBB232_3934:                           ;   in Loop: Header=BB232_2076 Depth=1
	s_or_b32 exec_lo, exec_lo, s21
.LBB232_3935:                           ;   in Loop: Header=BB232_2076 Depth=1
	s_or_b32 exec_lo, exec_lo, s20
.LBB232_3936:                           ;   in Loop: Header=BB232_2076 Depth=1
	s_or_b32 exec_lo, exec_lo, s19
	s_mov_b32 s19, exec_lo
	v_cmpx_lt_u32_e32 0xffffff, v9
	s_cbranch_execz .LBB232_3944
; %bb.3937:                             ;   in Loop: Header=BB232_2076 Depth=1
	v_mov_b32_e32 v12, v11
	v_mov_b32_e32 v23, v13
	v_cmp_ne_u32_sdwa s8, v9, v74 src0_sel:BYTE_3 src1_sel:DWORD
	v_mov_b32_e32 v22, v12
	s_and_saveexec_b32 s20, s8
	s_cbranch_execz .LBB232_3943
; %bb.3938:                             ;   in Loop: Header=BB232_2076 Depth=1
	v_mov_b32_e32 v14, v11
	v_mov_b32_e32 v23, v15
	v_bfe_u32 v28, v9, 24, 7
	s_mov_b32 s21, exec_lo
	v_mov_b32_e32 v22, v14
	v_cmpx_ne_u32_e32 0x7f, v28
	s_cbranch_execz .LBB232_3942
; %bb.3939:                             ;   in Loop: Header=BB232_2076 Depth=1
	v_and_b32_sdwa v10, v9, v77 dst_sel:DWORD dst_unused:UNUSED_PAD src0_sel:BYTE_3 src1_sel:DWORD
	v_mov_b32_e32 v23, v11
	v_lshrrev_b32_e32 v12, 3, v28
	s_mov_b32 s22, exec_lo
	v_mov_b32_e32 v22, v10
	v_cmpx_gt_u32_e32 8, v28
; %bb.3940:                             ;   in Loop: Header=BB232_2076 Depth=1
	v_ffbh_u32_e32 v12, v10
	v_min_u32_e32 v12, 32, v12
	v_subrev_nc_u32_e32 v14, 28, v12
	v_sub_nc_u32_e32 v12, 29, v12
	v_lshlrev_b64 v[22:23], v14, v[10:11]
	v_and_b32_e32 v22, 7, v22
; %bb.3941:                             ;   in Loop: Header=BB232_2076 Depth=1
	s_or_b32 exec_lo, exec_lo, s22
	v_lshlrev_b32_sdwa v9, v78, v9 dst_sel:DWORD dst_unused:UNUSED_PAD src0_sel:DWORD src1_sel:BYTE_3
	v_lshlrev_b32_e32 v10, 20, v22
	v_lshl_add_u32 v12, v12, 23, 0x3c000000
	v_mov_b32_e32 v22, v11
	v_and_b32_e32 v9, 0x80000000, v9
	v_or3_b32 v23, v10, v9, v12
.LBB232_3942:                           ;   in Loop: Header=BB232_2076 Depth=1
	s_or_b32 exec_lo, exec_lo, s21
.LBB232_3943:                           ;   in Loop: Header=BB232_2076 Depth=1
	s_or_b32 exec_lo, exec_lo, s20
.LBB232_3944:                           ;   in Loop: Header=BB232_2076 Depth=1
	s_or_b32 exec_lo, exec_lo, s19
	v_or_b32_e32 v9, v21, v19
	v_or_b32_e32 v10, v20, v18
	;; [unrolled: 1-line block ×4, first 2 shown]
	v_mul_f32_e32 v62, v92, v9
	v_mul_f32_e32 v61, v73, v10
	;; [unrolled: 1-line block ×4, first 2 shown]
	s_and_saveexec_b32 s8, s6
; %bb.3945:                             ;   in Loop: Header=BB232_2076 Depth=1
	v_cndmask_b32_e32 v61, 0, v61, vcc_lo
	v_cndmask_b32_e64 v62, 0, v62, s4
	v_cndmask_b32_e64 v60, 0, v60, s5
	;; [unrolled: 1-line block ×3, first 2 shown]
; %bb.3946:                             ;   in Loop: Header=BB232_2076 Depth=1
	s_or_b32 exec_lo, exec_lo, s8
	flat_load_dword v9, v[16:17] offset:896
	v_mov_b32_e32 v20, 0
	v_mov_b32_e32 v18, 0
	;; [unrolled: 1-line block ×4, first 2 shown]
	s_waitcnt vmcnt(0) lgkmcnt(0)
	v_cmp_ne_u16_sdwa s8, v9, v11 src0_sel:BYTE_0 src1_sel:DWORD
	s_and_saveexec_b32 s19, s8
	s_cbranch_execz .LBB232_3954
; %bb.3947:                             ;   in Loop: Header=BB232_2076 Depth=1
	v_bfrev_b32_e32 v18, 1
	v_mov_b32_e32 v19, 0
	v_cmp_ne_u16_sdwa s8, v9, v74 src0_sel:BYTE_0 src1_sel:DWORD
	s_and_saveexec_b32 s20, s8
	s_cbranch_execz .LBB232_3953
; %bb.3948:                             ;   in Loop: Header=BB232_2076 Depth=1
	v_mov_b32_e32 v18, 0x7f800001
	v_and_b32_e32 v14, 0x7f, v9
	v_mov_b32_e32 v19, 0
	s_mov_b32 s21, exec_lo
	v_cmpx_ne_u32_e32 0x7f, v14
	s_cbranch_execz .LBB232_3952
; %bb.3949:                             ;   in Loop: Header=BB232_2076 Depth=1
	v_and_b32_e32 v10, 7, v9
	v_mov_b32_e32 v19, v11
	v_lshrrev_b32_e32 v12, 3, v14
	s_mov_b32 s22, exec_lo
	v_mov_b32_e32 v18, v10
	v_cmpx_gt_u32_e32 8, v14
; %bb.3950:                             ;   in Loop: Header=BB232_2076 Depth=1
	v_ffbh_u32_e32 v12, v10
	v_min_u32_e32 v12, 32, v12
	v_subrev_nc_u32_e32 v14, 28, v12
	v_sub_nc_u32_e32 v12, 29, v12
	v_lshlrev_b64 v[18:19], v14, v[10:11]
	v_and_b32_e32 v18, 7, v18
; %bb.3951:                             ;   in Loop: Header=BB232_2076 Depth=1
	s_or_b32 exec_lo, exec_lo, s22
	v_lshlrev_b32_e32 v10, 24, v9
	v_lshlrev_b32_e32 v14, 20, v18
	v_lshl_add_u32 v12, v12, 23, 0x3c000000
	v_and_b32_e32 v10, 0x80000000, v10
	v_or3_b32 v10, v14, v10, v12
	v_mov_b32_e32 v19, v11
	v_mov_b32_e32 v18, v10
.LBB232_3952:                           ;   in Loop: Header=BB232_2076 Depth=1
	s_or_b32 exec_lo, exec_lo, s21
.LBB232_3953:                           ;   in Loop: Header=BB232_2076 Depth=1
	s_or_b32 exec_lo, exec_lo, s20
.LBB232_3954:                           ;   in Loop: Header=BB232_2076 Depth=1
	s_or_b32 exec_lo, exec_lo, s19
	v_cmp_ne_u16_sdwa s8, v9, v11 src0_sel:BYTE_1 src1_sel:DWORD
	s_and_saveexec_b32 s19, s8
	s_cbranch_execz .LBB232_3962
; %bb.3955:                             ;   in Loop: Header=BB232_2076 Depth=1
	v_mov_b32_e32 v12, v11
	v_mov_b32_e32 v21, v13
	v_cmp_ne_u16_sdwa s8, v9, v74 src0_sel:BYTE_1 src1_sel:DWORD
	v_mov_b32_e32 v20, v12
	s_and_saveexec_b32 s20, s8
	s_cbranch_execz .LBB232_3961
; %bb.3956:                             ;   in Loop: Header=BB232_2076 Depth=1
	v_and_b32_sdwa v10, v75, v9 dst_sel:DWORD dst_unused:UNUSED_PAD src0_sel:DWORD src1_sel:BYTE_1
	v_mov_b32_e32 v14, v11
	v_mov_b32_e32 v21, v15
	s_mov_b32 s21, exec_lo
	v_and_b32_e32 v22, 0x7f, v10
	v_mov_b32_e32 v20, v14
	v_cmpx_ne_u32_e32 0x7f, v22
	s_cbranch_execz .LBB232_3960
; %bb.3957:                             ;   in Loop: Header=BB232_2076 Depth=1
	v_and_b32_e32 v10, 7, v10
	v_mov_b32_e32 v21, v11
	v_lshrrev_b32_e32 v12, 3, v22
	s_mov_b32 s22, exec_lo
	v_mov_b32_e32 v20, v10
	v_cmpx_gt_u32_e32 8, v22
; %bb.3958:                             ;   in Loop: Header=BB232_2076 Depth=1
	v_ffbh_u32_e32 v12, v10
	v_min_u32_e32 v12, 32, v12
	v_subrev_nc_u32_e32 v14, 28, v12
	v_sub_nc_u32_e32 v12, 29, v12
	v_lshlrev_b64 v[20:21], v14, v[10:11]
	v_and_b32_e32 v20, 7, v20
; %bb.3959:                             ;   in Loop: Header=BB232_2076 Depth=1
	s_or_b32 exec_lo, exec_lo, s22
	v_lshlrev_b32_e32 v10, 16, v9
	v_lshlrev_b32_e32 v14, 20, v20
	v_lshl_add_u32 v12, v12, 23, 0x3c000000
	v_mov_b32_e32 v20, v11
	v_and_b32_e32 v10, 0x80000000, v10
	v_or3_b32 v21, v14, v10, v12
.LBB232_3960:                           ;   in Loop: Header=BB232_2076 Depth=1
	s_or_b32 exec_lo, exec_lo, s21
.LBB232_3961:                           ;   in Loop: Header=BB232_2076 Depth=1
	s_or_b32 exec_lo, exec_lo, s20
.LBB232_3962:                           ;   in Loop: Header=BB232_2076 Depth=1
	s_or_b32 exec_lo, exec_lo, s19
	v_mov_b32_e32 v22, 0
	v_mov_b32_e32 v24, 0
	v_and_b32_sdwa v10, v9, v76 dst_sel:DWORD dst_unused:UNUSED_PAD src0_sel:WORD_1 src1_sel:DWORD
	v_mov_b32_e32 v23, 0
	v_mov_b32_e32 v25, 0
	s_mov_b32 s19, exec_lo
	v_cmpx_ne_u16_e32 0, v10
	s_cbranch_execz .LBB232_3970
; %bb.3963:                             ;   in Loop: Header=BB232_2076 Depth=1
	v_bfrev_b32_e32 v24, 1
	v_mov_b32_e32 v25, 0
	s_mov_b32 s20, exec_lo
	v_cmpx_ne_u16_e32 0x80, v10
	s_cbranch_execz .LBB232_3969
; %bb.3964:                             ;   in Loop: Header=BB232_2076 Depth=1
	v_mov_b32_e32 v24, 0x7f800001
	v_bfe_u32 v14, v9, 16, 7
	v_mov_b32_e32 v25, 0
	s_mov_b32 s21, exec_lo
	v_cmpx_ne_u32_e32 0x7f, v14
	s_cbranch_execz .LBB232_3968
; %bb.3965:                             ;   in Loop: Header=BB232_2076 Depth=1
	v_and_b32_sdwa v10, v9, v77 dst_sel:DWORD dst_unused:UNUSED_PAD src0_sel:WORD_1 src1_sel:DWORD
	v_mov_b32_e32 v25, v11
	v_lshrrev_b32_e32 v12, 3, v14
	s_mov_b32 s22, exec_lo
	v_mov_b32_e32 v24, v10
	v_cmpx_gt_u32_e32 8, v14
; %bb.3966:                             ;   in Loop: Header=BB232_2076 Depth=1
	v_ffbh_u32_e32 v12, v10
	v_min_u32_e32 v12, 32, v12
	v_subrev_nc_u32_e32 v14, 28, v12
	v_sub_nc_u32_e32 v12, 29, v12
	v_lshlrev_b64 v[24:25], v14, v[10:11]
	v_and_b32_e32 v24, 7, v24
; %bb.3967:                             ;   in Loop: Header=BB232_2076 Depth=1
	s_or_b32 exec_lo, exec_lo, s22
	v_lshlrev_b32_sdwa v10, v78, v9 dst_sel:DWORD dst_unused:UNUSED_PAD src0_sel:DWORD src1_sel:WORD_1
	v_lshlrev_b32_e32 v14, 20, v24
	v_lshl_add_u32 v12, v12, 23, 0x3c000000
	v_and_b32_e32 v10, 0x80000000, v10
	v_or3_b32 v10, v14, v10, v12
	v_mov_b32_e32 v25, v11
	v_mov_b32_e32 v24, v10
.LBB232_3968:                           ;   in Loop: Header=BB232_2076 Depth=1
	s_or_b32 exec_lo, exec_lo, s21
.LBB232_3969:                           ;   in Loop: Header=BB232_2076 Depth=1
	s_or_b32 exec_lo, exec_lo, s20
.LBB232_3970:                           ;   in Loop: Header=BB232_2076 Depth=1
	s_or_b32 exec_lo, exec_lo, s19
	s_mov_b32 s19, exec_lo
	v_cmpx_lt_u32_e32 0xffffff, v9
	s_cbranch_execz .LBB232_3978
; %bb.3971:                             ;   in Loop: Header=BB232_2076 Depth=1
	v_mov_b32_e32 v12, v11
	v_mov_b32_e32 v23, v13
	v_cmp_ne_u32_sdwa s8, v9, v74 src0_sel:BYTE_3 src1_sel:DWORD
	v_mov_b32_e32 v22, v12
	s_and_saveexec_b32 s20, s8
	s_cbranch_execz .LBB232_3977
; %bb.3972:                             ;   in Loop: Header=BB232_2076 Depth=1
	v_mov_b32_e32 v14, v11
	v_mov_b32_e32 v23, v15
	v_bfe_u32 v28, v9, 24, 7
	s_mov_b32 s21, exec_lo
	v_mov_b32_e32 v22, v14
	v_cmpx_ne_u32_e32 0x7f, v28
	s_cbranch_execz .LBB232_3976
; %bb.3973:                             ;   in Loop: Header=BB232_2076 Depth=1
	v_and_b32_sdwa v10, v9, v77 dst_sel:DWORD dst_unused:UNUSED_PAD src0_sel:BYTE_3 src1_sel:DWORD
	v_mov_b32_e32 v23, v11
	v_lshrrev_b32_e32 v12, 3, v28
	s_mov_b32 s22, exec_lo
	v_mov_b32_e32 v22, v10
	v_cmpx_gt_u32_e32 8, v28
; %bb.3974:                             ;   in Loop: Header=BB232_2076 Depth=1
	v_ffbh_u32_e32 v12, v10
	v_min_u32_e32 v12, 32, v12
	v_subrev_nc_u32_e32 v14, 28, v12
	v_sub_nc_u32_e32 v12, 29, v12
	v_lshlrev_b64 v[22:23], v14, v[10:11]
	v_and_b32_e32 v22, 7, v22
; %bb.3975:                             ;   in Loop: Header=BB232_2076 Depth=1
	s_or_b32 exec_lo, exec_lo, s22
	v_lshlrev_b32_sdwa v9, v78, v9 dst_sel:DWORD dst_unused:UNUSED_PAD src0_sel:DWORD src1_sel:BYTE_3
	v_lshlrev_b32_e32 v10, 20, v22
	v_lshl_add_u32 v12, v12, 23, 0x3c000000
	v_mov_b32_e32 v22, v11
	v_and_b32_e32 v9, 0x80000000, v9
	v_or3_b32 v23, v10, v9, v12
.LBB232_3976:                           ;   in Loop: Header=BB232_2076 Depth=1
	s_or_b32 exec_lo, exec_lo, s21
.LBB232_3977:                           ;   in Loop: Header=BB232_2076 Depth=1
	s_or_b32 exec_lo, exec_lo, s20
.LBB232_3978:                           ;   in Loop: Header=BB232_2076 Depth=1
	s_or_b32 exec_lo, exec_lo, s19
	v_or_b32_e32 v9, v21, v19
	v_or_b32_e32 v10, v20, v18
	;; [unrolled: 1-line block ×4, first 2 shown]
	v_mul_f32_e32 v88, v92, v9
	v_mul_f32_e32 v9, v73, v10
	;; [unrolled: 1-line block ×4, first 2 shown]
	s_and_saveexec_b32 s8, s6
; %bb.3979:                             ;   in Loop: Header=BB232_2076 Depth=1
	v_cndmask_b32_e32 v9, 0, v9, vcc_lo
	v_cndmask_b32_e64 v88, 0, v88, s4
	v_cndmask_b32_e64 v72, 0, v72, s5
	;; [unrolled: 1-line block ×3, first 2 shown]
; %bb.3980:                             ;   in Loop: Header=BB232_2076 Depth=1
	s_or_b32 exec_lo, exec_lo, s8
	flat_load_dword v28, v[16:17] offset:1024
	v_mov_b32_e32 v20, 0
	v_mov_b32_e32 v18, 0
	;; [unrolled: 1-line block ×4, first 2 shown]
	s_waitcnt vmcnt(0) lgkmcnt(0)
	v_cmp_ne_u16_sdwa s8, v28, v11 src0_sel:BYTE_0 src1_sel:DWORD
	s_and_saveexec_b32 s19, s8
	s_cbranch_execz .LBB232_3988
; %bb.3981:                             ;   in Loop: Header=BB232_2076 Depth=1
	v_bfrev_b32_e32 v18, 1
	v_mov_b32_e32 v19, 0
	v_cmp_ne_u16_sdwa s8, v28, v74 src0_sel:BYTE_0 src1_sel:DWORD
	s_and_saveexec_b32 s20, s8
	s_cbranch_execz .LBB232_3987
; %bb.3982:                             ;   in Loop: Header=BB232_2076 Depth=1
	v_mov_b32_e32 v18, 0x7f800001
	v_and_b32_e32 v14, 0x7f, v28
	v_mov_b32_e32 v19, 0
	s_mov_b32 s21, exec_lo
	v_cmpx_ne_u32_e32 0x7f, v14
	s_cbranch_execz .LBB232_3986
; %bb.3983:                             ;   in Loop: Header=BB232_2076 Depth=1
	v_and_b32_e32 v10, 7, v28
	v_mov_b32_e32 v19, v11
	v_lshrrev_b32_e32 v12, 3, v14
	s_mov_b32 s22, exec_lo
	v_mov_b32_e32 v18, v10
	v_cmpx_gt_u32_e32 8, v14
; %bb.3984:                             ;   in Loop: Header=BB232_2076 Depth=1
	v_ffbh_u32_e32 v12, v10
	v_min_u32_e32 v12, 32, v12
	v_subrev_nc_u32_e32 v14, 28, v12
	v_sub_nc_u32_e32 v12, 29, v12
	v_lshlrev_b64 v[18:19], v14, v[10:11]
	v_and_b32_e32 v18, 7, v18
; %bb.3985:                             ;   in Loop: Header=BB232_2076 Depth=1
	s_or_b32 exec_lo, exec_lo, s22
	v_lshlrev_b32_e32 v10, 24, v28
	v_lshlrev_b32_e32 v14, 20, v18
	v_lshl_add_u32 v12, v12, 23, 0x3c000000
	v_and_b32_e32 v10, 0x80000000, v10
	v_or3_b32 v10, v14, v10, v12
	v_mov_b32_e32 v19, v11
	v_mov_b32_e32 v18, v10
.LBB232_3986:                           ;   in Loop: Header=BB232_2076 Depth=1
	s_or_b32 exec_lo, exec_lo, s21
.LBB232_3987:                           ;   in Loop: Header=BB232_2076 Depth=1
	s_or_b32 exec_lo, exec_lo, s20
.LBB232_3988:                           ;   in Loop: Header=BB232_2076 Depth=1
	s_or_b32 exec_lo, exec_lo, s19
	v_cmp_ne_u16_sdwa s8, v28, v11 src0_sel:BYTE_1 src1_sel:DWORD
	s_and_saveexec_b32 s19, s8
	s_cbranch_execz .LBB232_3996
; %bb.3989:                             ;   in Loop: Header=BB232_2076 Depth=1
	v_mov_b32_e32 v12, v11
	v_mov_b32_e32 v21, v13
	v_cmp_ne_u16_sdwa s8, v28, v74 src0_sel:BYTE_1 src1_sel:DWORD
	v_mov_b32_e32 v20, v12
	s_and_saveexec_b32 s20, s8
	s_cbranch_execz .LBB232_3995
; %bb.3990:                             ;   in Loop: Header=BB232_2076 Depth=1
	v_and_b32_sdwa v10, v75, v28 dst_sel:DWORD dst_unused:UNUSED_PAD src0_sel:DWORD src1_sel:BYTE_1
	v_mov_b32_e32 v14, v11
	v_mov_b32_e32 v21, v15
	s_mov_b32 s21, exec_lo
	v_and_b32_e32 v22, 0x7f, v10
	v_mov_b32_e32 v20, v14
	v_cmpx_ne_u32_e32 0x7f, v22
	s_cbranch_execz .LBB232_3994
; %bb.3991:                             ;   in Loop: Header=BB232_2076 Depth=1
	v_and_b32_e32 v10, 7, v10
	v_mov_b32_e32 v21, v11
	v_lshrrev_b32_e32 v12, 3, v22
	s_mov_b32 s22, exec_lo
	v_mov_b32_e32 v20, v10
	v_cmpx_gt_u32_e32 8, v22
; %bb.3992:                             ;   in Loop: Header=BB232_2076 Depth=1
	v_ffbh_u32_e32 v12, v10
	v_min_u32_e32 v12, 32, v12
	v_subrev_nc_u32_e32 v14, 28, v12
	v_sub_nc_u32_e32 v12, 29, v12
	v_lshlrev_b64 v[20:21], v14, v[10:11]
	v_and_b32_e32 v20, 7, v20
; %bb.3993:                             ;   in Loop: Header=BB232_2076 Depth=1
	s_or_b32 exec_lo, exec_lo, s22
	v_lshlrev_b32_e32 v10, 16, v28
	v_lshlrev_b32_e32 v14, 20, v20
	v_lshl_add_u32 v12, v12, 23, 0x3c000000
	v_mov_b32_e32 v20, v11
	v_and_b32_e32 v10, 0x80000000, v10
	v_or3_b32 v21, v14, v10, v12
.LBB232_3994:                           ;   in Loop: Header=BB232_2076 Depth=1
	s_or_b32 exec_lo, exec_lo, s21
.LBB232_3995:                           ;   in Loop: Header=BB232_2076 Depth=1
	s_or_b32 exec_lo, exec_lo, s20
.LBB232_3996:                           ;   in Loop: Header=BB232_2076 Depth=1
	s_or_b32 exec_lo, exec_lo, s19
	v_mov_b32_e32 v22, 0
	v_mov_b32_e32 v24, 0
	v_and_b32_sdwa v10, v28, v76 dst_sel:DWORD dst_unused:UNUSED_PAD src0_sel:WORD_1 src1_sel:DWORD
	v_mov_b32_e32 v23, 0
	v_mov_b32_e32 v25, 0
	s_mov_b32 s19, exec_lo
	v_cmpx_ne_u16_e32 0, v10
	s_cbranch_execz .LBB232_4004
; %bb.3997:                             ;   in Loop: Header=BB232_2076 Depth=1
	v_bfrev_b32_e32 v24, 1
	v_mov_b32_e32 v25, 0
	s_mov_b32 s20, exec_lo
	v_cmpx_ne_u16_e32 0x80, v10
	s_cbranch_execz .LBB232_4003
; %bb.3998:                             ;   in Loop: Header=BB232_2076 Depth=1
	v_mov_b32_e32 v24, 0x7f800001
	v_bfe_u32 v14, v28, 16, 7
	v_mov_b32_e32 v25, 0
	s_mov_b32 s21, exec_lo
	v_cmpx_ne_u32_e32 0x7f, v14
	s_cbranch_execz .LBB232_4002
; %bb.3999:                             ;   in Loop: Header=BB232_2076 Depth=1
	v_and_b32_sdwa v10, v28, v77 dst_sel:DWORD dst_unused:UNUSED_PAD src0_sel:WORD_1 src1_sel:DWORD
	v_mov_b32_e32 v25, v11
	v_lshrrev_b32_e32 v12, 3, v14
	s_mov_b32 s22, exec_lo
	v_mov_b32_e32 v24, v10
	v_cmpx_gt_u32_e32 8, v14
; %bb.4000:                             ;   in Loop: Header=BB232_2076 Depth=1
	v_ffbh_u32_e32 v12, v10
	v_min_u32_e32 v12, 32, v12
	v_subrev_nc_u32_e32 v14, 28, v12
	v_sub_nc_u32_e32 v12, 29, v12
	v_lshlrev_b64 v[24:25], v14, v[10:11]
	v_and_b32_e32 v24, 7, v24
; %bb.4001:                             ;   in Loop: Header=BB232_2076 Depth=1
	s_or_b32 exec_lo, exec_lo, s22
	v_lshlrev_b32_sdwa v10, v78, v28 dst_sel:DWORD dst_unused:UNUSED_PAD src0_sel:DWORD src1_sel:WORD_1
	v_lshlrev_b32_e32 v14, 20, v24
	v_lshl_add_u32 v12, v12, 23, 0x3c000000
	v_and_b32_e32 v10, 0x80000000, v10
	v_or3_b32 v10, v14, v10, v12
	v_mov_b32_e32 v25, v11
	v_mov_b32_e32 v24, v10
.LBB232_4002:                           ;   in Loop: Header=BB232_2076 Depth=1
	s_or_b32 exec_lo, exec_lo, s21
.LBB232_4003:                           ;   in Loop: Header=BB232_2076 Depth=1
	s_or_b32 exec_lo, exec_lo, s20
.LBB232_4004:                           ;   in Loop: Header=BB232_2076 Depth=1
	s_or_b32 exec_lo, exec_lo, s19
	s_mov_b32 s19, exec_lo
	v_cmpx_lt_u32_e32 0xffffff, v28
	s_cbranch_execz .LBB232_4012
; %bb.4005:                             ;   in Loop: Header=BB232_2076 Depth=1
	v_mov_b32_e32 v12, v11
	v_mov_b32_e32 v23, v13
	v_cmp_ne_u32_sdwa s8, v28, v74 src0_sel:BYTE_3 src1_sel:DWORD
	v_mov_b32_e32 v22, v12
	s_and_saveexec_b32 s20, s8
	s_cbranch_execz .LBB232_4011
; %bb.4006:                             ;   in Loop: Header=BB232_2076 Depth=1
	v_mov_b32_e32 v14, v11
	v_mov_b32_e32 v23, v15
	v_bfe_u32 v29, v28, 24, 7
	s_mov_b32 s21, exec_lo
	v_mov_b32_e32 v22, v14
	v_cmpx_ne_u32_e32 0x7f, v29
	s_cbranch_execz .LBB232_4010
; %bb.4007:                             ;   in Loop: Header=BB232_2076 Depth=1
	v_and_b32_sdwa v10, v28, v77 dst_sel:DWORD dst_unused:UNUSED_PAD src0_sel:BYTE_3 src1_sel:DWORD
	v_mov_b32_e32 v23, v11
	v_lshrrev_b32_e32 v12, 3, v29
	s_mov_b32 s22, exec_lo
	v_mov_b32_e32 v22, v10
	v_cmpx_gt_u32_e32 8, v29
; %bb.4008:                             ;   in Loop: Header=BB232_2076 Depth=1
	v_ffbh_u32_e32 v12, v10
	v_min_u32_e32 v12, 32, v12
	v_subrev_nc_u32_e32 v14, 28, v12
	v_sub_nc_u32_e32 v12, 29, v12
	v_lshlrev_b64 v[22:23], v14, v[10:11]
	v_and_b32_e32 v22, 7, v22
; %bb.4009:                             ;   in Loop: Header=BB232_2076 Depth=1
	s_or_b32 exec_lo, exec_lo, s22
	v_lshlrev_b32_sdwa v10, v78, v28 dst_sel:DWORD dst_unused:UNUSED_PAD src0_sel:DWORD src1_sel:BYTE_3
	v_lshlrev_b32_e32 v14, 20, v22
	v_lshl_add_u32 v12, v12, 23, 0x3c000000
	v_mov_b32_e32 v22, v11
	v_and_b32_e32 v10, 0x80000000, v10
	v_or3_b32 v23, v14, v10, v12
.LBB232_4010:                           ;   in Loop: Header=BB232_2076 Depth=1
	s_or_b32 exec_lo, exec_lo, s21
.LBB232_4011:                           ;   in Loop: Header=BB232_2076 Depth=1
	s_or_b32 exec_lo, exec_lo, s20
.LBB232_4012:                           ;   in Loop: Header=BB232_2076 Depth=1
	s_or_b32 exec_lo, exec_lo, s19
	v_or_b32_e32 v10, v21, v19
	v_or_b32_e32 v12, v20, v18
	;; [unrolled: 1-line block ×4, first 2 shown]
	v_mul_f32_e32 v95, v92, v10
	v_mul_f32_e32 v47, v73, v12
	;; [unrolled: 1-line block ×4, first 2 shown]
	s_and_saveexec_b32 s8, s6
; %bb.4013:                             ;   in Loop: Header=BB232_2076 Depth=1
	v_cndmask_b32_e32 v47, 0, v47, vcc_lo
	v_cndmask_b32_e64 v95, 0, v95, s4
	v_cndmask_b32_e64 v94, 0, v94, s5
	v_cndmask_b32_e64 v89, 0, v89, s7
; %bb.4014:                             ;   in Loop: Header=BB232_2076 Depth=1
	s_or_b32 exec_lo, exec_lo, s8
	flat_load_dword v28, v[16:17] offset:1152
	v_mov_b32_e32 v20, 0
	v_mov_b32_e32 v18, 0
	v_mov_b32_e32 v21, 0
	v_mov_b32_e32 v19, 0
	s_waitcnt vmcnt(0) lgkmcnt(0)
	v_cmp_ne_u16_sdwa s8, v28, v11 src0_sel:BYTE_0 src1_sel:DWORD
	s_and_saveexec_b32 s19, s8
	s_cbranch_execz .LBB232_4022
; %bb.4015:                             ;   in Loop: Header=BB232_2076 Depth=1
	v_bfrev_b32_e32 v18, 1
	v_mov_b32_e32 v19, 0
	v_cmp_ne_u16_sdwa s8, v28, v74 src0_sel:BYTE_0 src1_sel:DWORD
	s_and_saveexec_b32 s20, s8
	s_cbranch_execz .LBB232_4021
; %bb.4016:                             ;   in Loop: Header=BB232_2076 Depth=1
	v_mov_b32_e32 v18, 0x7f800001
	v_and_b32_e32 v14, 0x7f, v28
	v_mov_b32_e32 v19, 0
	s_mov_b32 s21, exec_lo
	v_cmpx_ne_u32_e32 0x7f, v14
	s_cbranch_execz .LBB232_4020
; %bb.4017:                             ;   in Loop: Header=BB232_2076 Depth=1
	v_and_b32_e32 v10, 7, v28
	v_mov_b32_e32 v19, v11
	v_lshrrev_b32_e32 v12, 3, v14
	s_mov_b32 s22, exec_lo
	v_mov_b32_e32 v18, v10
	v_cmpx_gt_u32_e32 8, v14
; %bb.4018:                             ;   in Loop: Header=BB232_2076 Depth=1
	v_ffbh_u32_e32 v12, v10
	v_min_u32_e32 v12, 32, v12
	v_subrev_nc_u32_e32 v14, 28, v12
	v_sub_nc_u32_e32 v12, 29, v12
	v_lshlrev_b64 v[18:19], v14, v[10:11]
	v_and_b32_e32 v18, 7, v18
; %bb.4019:                             ;   in Loop: Header=BB232_2076 Depth=1
	s_or_b32 exec_lo, exec_lo, s22
	v_lshlrev_b32_e32 v10, 24, v28
	v_lshlrev_b32_e32 v14, 20, v18
	v_lshl_add_u32 v12, v12, 23, 0x3c000000
	v_and_b32_e32 v10, 0x80000000, v10
	v_or3_b32 v10, v14, v10, v12
	v_mov_b32_e32 v19, v11
	v_mov_b32_e32 v18, v10
.LBB232_4020:                           ;   in Loop: Header=BB232_2076 Depth=1
	s_or_b32 exec_lo, exec_lo, s21
.LBB232_4021:                           ;   in Loop: Header=BB232_2076 Depth=1
	s_or_b32 exec_lo, exec_lo, s20
.LBB232_4022:                           ;   in Loop: Header=BB232_2076 Depth=1
	s_or_b32 exec_lo, exec_lo, s19
	v_cmp_ne_u16_sdwa s8, v28, v11 src0_sel:BYTE_1 src1_sel:DWORD
	s_and_saveexec_b32 s19, s8
	s_cbranch_execz .LBB232_4030
; %bb.4023:                             ;   in Loop: Header=BB232_2076 Depth=1
	v_mov_b32_e32 v12, v11
	v_mov_b32_e32 v21, v13
	v_cmp_ne_u16_sdwa s8, v28, v74 src0_sel:BYTE_1 src1_sel:DWORD
	v_mov_b32_e32 v20, v12
	s_and_saveexec_b32 s20, s8
	s_cbranch_execz .LBB232_4029
; %bb.4024:                             ;   in Loop: Header=BB232_2076 Depth=1
	v_and_b32_sdwa v10, v75, v28 dst_sel:DWORD dst_unused:UNUSED_PAD src0_sel:DWORD src1_sel:BYTE_1
	v_mov_b32_e32 v14, v11
	v_mov_b32_e32 v21, v15
	s_mov_b32 s21, exec_lo
	v_and_b32_e32 v22, 0x7f, v10
	v_mov_b32_e32 v20, v14
	v_cmpx_ne_u32_e32 0x7f, v22
	s_cbranch_execz .LBB232_4028
; %bb.4025:                             ;   in Loop: Header=BB232_2076 Depth=1
	v_and_b32_e32 v10, 7, v10
	v_mov_b32_e32 v21, v11
	v_lshrrev_b32_e32 v12, 3, v22
	s_mov_b32 s22, exec_lo
	v_mov_b32_e32 v20, v10
	v_cmpx_gt_u32_e32 8, v22
; %bb.4026:                             ;   in Loop: Header=BB232_2076 Depth=1
	v_ffbh_u32_e32 v12, v10
	v_min_u32_e32 v12, 32, v12
	v_subrev_nc_u32_e32 v14, 28, v12
	v_sub_nc_u32_e32 v12, 29, v12
	v_lshlrev_b64 v[20:21], v14, v[10:11]
	v_and_b32_e32 v20, 7, v20
; %bb.4027:                             ;   in Loop: Header=BB232_2076 Depth=1
	s_or_b32 exec_lo, exec_lo, s22
	v_lshlrev_b32_e32 v10, 16, v28
	v_lshlrev_b32_e32 v14, 20, v20
	v_lshl_add_u32 v12, v12, 23, 0x3c000000
	v_mov_b32_e32 v20, v11
	v_and_b32_e32 v10, 0x80000000, v10
	v_or3_b32 v21, v14, v10, v12
.LBB232_4028:                           ;   in Loop: Header=BB232_2076 Depth=1
	s_or_b32 exec_lo, exec_lo, s21
.LBB232_4029:                           ;   in Loop: Header=BB232_2076 Depth=1
	s_or_b32 exec_lo, exec_lo, s20
.LBB232_4030:                           ;   in Loop: Header=BB232_2076 Depth=1
	s_or_b32 exec_lo, exec_lo, s19
	v_mov_b32_e32 v22, 0
	v_mov_b32_e32 v24, 0
	v_and_b32_sdwa v10, v28, v76 dst_sel:DWORD dst_unused:UNUSED_PAD src0_sel:WORD_1 src1_sel:DWORD
	v_mov_b32_e32 v23, 0
	v_mov_b32_e32 v25, 0
	s_mov_b32 s19, exec_lo
	v_cmpx_ne_u16_e32 0, v10
	s_cbranch_execz .LBB232_4038
; %bb.4031:                             ;   in Loop: Header=BB232_2076 Depth=1
	v_bfrev_b32_e32 v24, 1
	v_mov_b32_e32 v25, 0
	s_mov_b32 s20, exec_lo
	v_cmpx_ne_u16_e32 0x80, v10
	s_cbranch_execz .LBB232_4037
; %bb.4032:                             ;   in Loop: Header=BB232_2076 Depth=1
	v_mov_b32_e32 v24, 0x7f800001
	v_bfe_u32 v14, v28, 16, 7
	v_mov_b32_e32 v25, 0
	s_mov_b32 s21, exec_lo
	v_cmpx_ne_u32_e32 0x7f, v14
	s_cbranch_execz .LBB232_4036
; %bb.4033:                             ;   in Loop: Header=BB232_2076 Depth=1
	v_and_b32_sdwa v10, v28, v77 dst_sel:DWORD dst_unused:UNUSED_PAD src0_sel:WORD_1 src1_sel:DWORD
	v_mov_b32_e32 v25, v11
	v_lshrrev_b32_e32 v12, 3, v14
	s_mov_b32 s22, exec_lo
	v_mov_b32_e32 v24, v10
	v_cmpx_gt_u32_e32 8, v14
; %bb.4034:                             ;   in Loop: Header=BB232_2076 Depth=1
	v_ffbh_u32_e32 v12, v10
	v_min_u32_e32 v12, 32, v12
	v_subrev_nc_u32_e32 v14, 28, v12
	v_sub_nc_u32_e32 v12, 29, v12
	v_lshlrev_b64 v[24:25], v14, v[10:11]
	v_and_b32_e32 v24, 7, v24
; %bb.4035:                             ;   in Loop: Header=BB232_2076 Depth=1
	s_or_b32 exec_lo, exec_lo, s22
	v_lshlrev_b32_sdwa v10, v78, v28 dst_sel:DWORD dst_unused:UNUSED_PAD src0_sel:DWORD src1_sel:WORD_1
	v_lshlrev_b32_e32 v14, 20, v24
	v_lshl_add_u32 v12, v12, 23, 0x3c000000
	v_and_b32_e32 v10, 0x80000000, v10
	v_or3_b32 v10, v14, v10, v12
	v_mov_b32_e32 v25, v11
	v_mov_b32_e32 v24, v10
.LBB232_4036:                           ;   in Loop: Header=BB232_2076 Depth=1
	s_or_b32 exec_lo, exec_lo, s21
.LBB232_4037:                           ;   in Loop: Header=BB232_2076 Depth=1
	s_or_b32 exec_lo, exec_lo, s20
.LBB232_4038:                           ;   in Loop: Header=BB232_2076 Depth=1
	s_or_b32 exec_lo, exec_lo, s19
	s_mov_b32 s19, exec_lo
	v_cmpx_lt_u32_e32 0xffffff, v28
	s_cbranch_execz .LBB232_4046
; %bb.4039:                             ;   in Loop: Header=BB232_2076 Depth=1
	v_mov_b32_e32 v12, v11
	v_mov_b32_e32 v23, v13
	v_cmp_ne_u32_sdwa s8, v28, v74 src0_sel:BYTE_3 src1_sel:DWORD
	v_mov_b32_e32 v22, v12
	s_and_saveexec_b32 s20, s8
	s_cbranch_execz .LBB232_4045
; %bb.4040:                             ;   in Loop: Header=BB232_2076 Depth=1
	v_mov_b32_e32 v14, v11
	v_mov_b32_e32 v23, v15
	v_bfe_u32 v29, v28, 24, 7
	s_mov_b32 s21, exec_lo
	v_mov_b32_e32 v22, v14
	v_cmpx_ne_u32_e32 0x7f, v29
	s_cbranch_execz .LBB232_4044
; %bb.4041:                             ;   in Loop: Header=BB232_2076 Depth=1
	v_and_b32_sdwa v10, v28, v77 dst_sel:DWORD dst_unused:UNUSED_PAD src0_sel:BYTE_3 src1_sel:DWORD
	v_mov_b32_e32 v23, v11
	v_lshrrev_b32_e32 v12, 3, v29
	s_mov_b32 s22, exec_lo
	v_mov_b32_e32 v22, v10
	v_cmpx_gt_u32_e32 8, v29
; %bb.4042:                             ;   in Loop: Header=BB232_2076 Depth=1
	v_ffbh_u32_e32 v12, v10
	v_min_u32_e32 v12, 32, v12
	v_subrev_nc_u32_e32 v14, 28, v12
	v_sub_nc_u32_e32 v12, 29, v12
	v_lshlrev_b64 v[22:23], v14, v[10:11]
	v_and_b32_e32 v22, 7, v22
; %bb.4043:                             ;   in Loop: Header=BB232_2076 Depth=1
	s_or_b32 exec_lo, exec_lo, s22
	v_lshlrev_b32_sdwa v10, v78, v28 dst_sel:DWORD dst_unused:UNUSED_PAD src0_sel:DWORD src1_sel:BYTE_3
	v_lshlrev_b32_e32 v14, 20, v22
	v_lshl_add_u32 v12, v12, 23, 0x3c000000
	v_mov_b32_e32 v22, v11
	v_and_b32_e32 v10, 0x80000000, v10
	v_or3_b32 v23, v14, v10, v12
.LBB232_4044:                           ;   in Loop: Header=BB232_2076 Depth=1
	s_or_b32 exec_lo, exec_lo, s21
.LBB232_4045:                           ;   in Loop: Header=BB232_2076 Depth=1
	s_or_b32 exec_lo, exec_lo, s20
.LBB232_4046:                           ;   in Loop: Header=BB232_2076 Depth=1
	s_or_b32 exec_lo, exec_lo, s19
	v_or_b32_e32 v10, v21, v19
	v_or_b32_e32 v12, v20, v18
	;; [unrolled: 1-line block ×4, first 2 shown]
	v_mul_f32_e32 v107, v92, v10
	v_mul_f32_e32 v106, v73, v12
	;; [unrolled: 1-line block ×4, first 2 shown]
	s_and_saveexec_b32 s8, s6
; %bb.4047:                             ;   in Loop: Header=BB232_2076 Depth=1
	v_cndmask_b32_e32 v106, 0, v106, vcc_lo
	v_cndmask_b32_e64 v107, 0, v107, s4
	v_cndmask_b32_e64 v105, 0, v105, s5
	;; [unrolled: 1-line block ×3, first 2 shown]
; %bb.4048:                             ;   in Loop: Header=BB232_2076 Depth=1
	s_or_b32 exec_lo, exec_lo, s8
	flat_load_dword v28, v[16:17] offset:1280
	v_mov_b32_e32 v20, 0
	v_mov_b32_e32 v18, 0
	;; [unrolled: 1-line block ×4, first 2 shown]
	s_waitcnt vmcnt(0) lgkmcnt(0)
	v_cmp_ne_u16_sdwa s8, v28, v11 src0_sel:BYTE_0 src1_sel:DWORD
	s_and_saveexec_b32 s19, s8
	s_cbranch_execz .LBB232_4056
; %bb.4049:                             ;   in Loop: Header=BB232_2076 Depth=1
	v_bfrev_b32_e32 v18, 1
	v_mov_b32_e32 v19, 0
	v_cmp_ne_u16_sdwa s8, v28, v74 src0_sel:BYTE_0 src1_sel:DWORD
	s_and_saveexec_b32 s20, s8
	s_cbranch_execz .LBB232_4055
; %bb.4050:                             ;   in Loop: Header=BB232_2076 Depth=1
	v_mov_b32_e32 v18, 0x7f800001
	v_and_b32_e32 v14, 0x7f, v28
	v_mov_b32_e32 v19, 0
	s_mov_b32 s21, exec_lo
	v_cmpx_ne_u32_e32 0x7f, v14
	s_cbranch_execz .LBB232_4054
; %bb.4051:                             ;   in Loop: Header=BB232_2076 Depth=1
	v_and_b32_e32 v10, 7, v28
	v_mov_b32_e32 v19, v11
	v_lshrrev_b32_e32 v12, 3, v14
	s_mov_b32 s22, exec_lo
	v_mov_b32_e32 v18, v10
	v_cmpx_gt_u32_e32 8, v14
; %bb.4052:                             ;   in Loop: Header=BB232_2076 Depth=1
	v_ffbh_u32_e32 v12, v10
	v_min_u32_e32 v12, 32, v12
	v_subrev_nc_u32_e32 v14, 28, v12
	v_sub_nc_u32_e32 v12, 29, v12
	v_lshlrev_b64 v[18:19], v14, v[10:11]
	v_and_b32_e32 v18, 7, v18
; %bb.4053:                             ;   in Loop: Header=BB232_2076 Depth=1
	s_or_b32 exec_lo, exec_lo, s22
	v_lshlrev_b32_e32 v10, 24, v28
	v_lshlrev_b32_e32 v14, 20, v18
	v_lshl_add_u32 v12, v12, 23, 0x3c000000
	v_and_b32_e32 v10, 0x80000000, v10
	v_or3_b32 v10, v14, v10, v12
	v_mov_b32_e32 v19, v11
	v_mov_b32_e32 v18, v10
.LBB232_4054:                           ;   in Loop: Header=BB232_2076 Depth=1
	s_or_b32 exec_lo, exec_lo, s21
.LBB232_4055:                           ;   in Loop: Header=BB232_2076 Depth=1
	s_or_b32 exec_lo, exec_lo, s20
.LBB232_4056:                           ;   in Loop: Header=BB232_2076 Depth=1
	s_or_b32 exec_lo, exec_lo, s19
	v_cmp_ne_u16_sdwa s8, v28, v11 src0_sel:BYTE_1 src1_sel:DWORD
	s_and_saveexec_b32 s19, s8
	s_cbranch_execz .LBB232_4064
; %bb.4057:                             ;   in Loop: Header=BB232_2076 Depth=1
	v_mov_b32_e32 v12, v11
	v_mov_b32_e32 v21, v13
	v_cmp_ne_u16_sdwa s8, v28, v74 src0_sel:BYTE_1 src1_sel:DWORD
	v_mov_b32_e32 v20, v12
	s_and_saveexec_b32 s20, s8
	s_cbranch_execz .LBB232_4063
; %bb.4058:                             ;   in Loop: Header=BB232_2076 Depth=1
	v_and_b32_sdwa v10, v75, v28 dst_sel:DWORD dst_unused:UNUSED_PAD src0_sel:DWORD src1_sel:BYTE_1
	v_mov_b32_e32 v14, v11
	v_mov_b32_e32 v21, v15
	s_mov_b32 s21, exec_lo
	v_and_b32_e32 v22, 0x7f, v10
	v_mov_b32_e32 v20, v14
	v_cmpx_ne_u32_e32 0x7f, v22
	s_cbranch_execz .LBB232_4062
; %bb.4059:                             ;   in Loop: Header=BB232_2076 Depth=1
	v_and_b32_e32 v10, 7, v10
	v_mov_b32_e32 v21, v11
	v_lshrrev_b32_e32 v12, 3, v22
	s_mov_b32 s22, exec_lo
	v_mov_b32_e32 v20, v10
	v_cmpx_gt_u32_e32 8, v22
; %bb.4060:                             ;   in Loop: Header=BB232_2076 Depth=1
	v_ffbh_u32_e32 v12, v10
	v_min_u32_e32 v12, 32, v12
	v_subrev_nc_u32_e32 v14, 28, v12
	v_sub_nc_u32_e32 v12, 29, v12
	v_lshlrev_b64 v[20:21], v14, v[10:11]
	v_and_b32_e32 v20, 7, v20
; %bb.4061:                             ;   in Loop: Header=BB232_2076 Depth=1
	s_or_b32 exec_lo, exec_lo, s22
	v_lshlrev_b32_e32 v10, 16, v28
	v_lshlrev_b32_e32 v14, 20, v20
	v_lshl_add_u32 v12, v12, 23, 0x3c000000
	v_mov_b32_e32 v20, v11
	v_and_b32_e32 v10, 0x80000000, v10
	v_or3_b32 v21, v14, v10, v12
.LBB232_4062:                           ;   in Loop: Header=BB232_2076 Depth=1
	s_or_b32 exec_lo, exec_lo, s21
.LBB232_4063:                           ;   in Loop: Header=BB232_2076 Depth=1
	s_or_b32 exec_lo, exec_lo, s20
.LBB232_4064:                           ;   in Loop: Header=BB232_2076 Depth=1
	s_or_b32 exec_lo, exec_lo, s19
	v_mov_b32_e32 v22, 0
	v_mov_b32_e32 v24, 0
	v_and_b32_sdwa v10, v28, v76 dst_sel:DWORD dst_unused:UNUSED_PAD src0_sel:WORD_1 src1_sel:DWORD
	v_mov_b32_e32 v23, 0
	v_mov_b32_e32 v25, 0
	s_mov_b32 s19, exec_lo
	v_cmpx_ne_u16_e32 0, v10
	s_cbranch_execz .LBB232_4072
; %bb.4065:                             ;   in Loop: Header=BB232_2076 Depth=1
	v_bfrev_b32_e32 v24, 1
	v_mov_b32_e32 v25, 0
	s_mov_b32 s20, exec_lo
	v_cmpx_ne_u16_e32 0x80, v10
	s_cbranch_execz .LBB232_4071
; %bb.4066:                             ;   in Loop: Header=BB232_2076 Depth=1
	v_mov_b32_e32 v24, 0x7f800001
	v_bfe_u32 v14, v28, 16, 7
	v_mov_b32_e32 v25, 0
	s_mov_b32 s21, exec_lo
	v_cmpx_ne_u32_e32 0x7f, v14
	s_cbranch_execz .LBB232_4070
; %bb.4067:                             ;   in Loop: Header=BB232_2076 Depth=1
	v_and_b32_sdwa v10, v28, v77 dst_sel:DWORD dst_unused:UNUSED_PAD src0_sel:WORD_1 src1_sel:DWORD
	v_mov_b32_e32 v25, v11
	v_lshrrev_b32_e32 v12, 3, v14
	s_mov_b32 s22, exec_lo
	v_mov_b32_e32 v24, v10
	v_cmpx_gt_u32_e32 8, v14
; %bb.4068:                             ;   in Loop: Header=BB232_2076 Depth=1
	v_ffbh_u32_e32 v12, v10
	v_min_u32_e32 v12, 32, v12
	v_subrev_nc_u32_e32 v14, 28, v12
	v_sub_nc_u32_e32 v12, 29, v12
	v_lshlrev_b64 v[24:25], v14, v[10:11]
	v_and_b32_e32 v24, 7, v24
; %bb.4069:                             ;   in Loop: Header=BB232_2076 Depth=1
	s_or_b32 exec_lo, exec_lo, s22
	v_lshlrev_b32_sdwa v10, v78, v28 dst_sel:DWORD dst_unused:UNUSED_PAD src0_sel:DWORD src1_sel:WORD_1
	v_lshlrev_b32_e32 v14, 20, v24
	v_lshl_add_u32 v12, v12, 23, 0x3c000000
	v_and_b32_e32 v10, 0x80000000, v10
	v_or3_b32 v10, v14, v10, v12
	v_mov_b32_e32 v25, v11
	v_mov_b32_e32 v24, v10
.LBB232_4070:                           ;   in Loop: Header=BB232_2076 Depth=1
	s_or_b32 exec_lo, exec_lo, s21
.LBB232_4071:                           ;   in Loop: Header=BB232_2076 Depth=1
	s_or_b32 exec_lo, exec_lo, s20
.LBB232_4072:                           ;   in Loop: Header=BB232_2076 Depth=1
	s_or_b32 exec_lo, exec_lo, s19
	s_mov_b32 s19, exec_lo
	v_cmpx_lt_u32_e32 0xffffff, v28
	s_cbranch_execz .LBB232_4080
; %bb.4073:                             ;   in Loop: Header=BB232_2076 Depth=1
	v_mov_b32_e32 v12, v11
	v_mov_b32_e32 v23, v13
	v_cmp_ne_u32_sdwa s8, v28, v74 src0_sel:BYTE_3 src1_sel:DWORD
	v_mov_b32_e32 v22, v12
	s_and_saveexec_b32 s20, s8
	s_cbranch_execz .LBB232_4079
; %bb.4074:                             ;   in Loop: Header=BB232_2076 Depth=1
	v_mov_b32_e32 v14, v11
	v_mov_b32_e32 v23, v15
	v_bfe_u32 v29, v28, 24, 7
	s_mov_b32 s21, exec_lo
	v_mov_b32_e32 v22, v14
	v_cmpx_ne_u32_e32 0x7f, v29
	s_cbranch_execz .LBB232_4078
; %bb.4075:                             ;   in Loop: Header=BB232_2076 Depth=1
	v_and_b32_sdwa v10, v28, v77 dst_sel:DWORD dst_unused:UNUSED_PAD src0_sel:BYTE_3 src1_sel:DWORD
	v_mov_b32_e32 v23, v11
	v_lshrrev_b32_e32 v12, 3, v29
	s_mov_b32 s22, exec_lo
	v_mov_b32_e32 v22, v10
	v_cmpx_gt_u32_e32 8, v29
; %bb.4076:                             ;   in Loop: Header=BB232_2076 Depth=1
	v_ffbh_u32_e32 v12, v10
	v_min_u32_e32 v12, 32, v12
	v_subrev_nc_u32_e32 v14, 28, v12
	v_sub_nc_u32_e32 v12, 29, v12
	v_lshlrev_b64 v[22:23], v14, v[10:11]
	v_and_b32_e32 v22, 7, v22
; %bb.4077:                             ;   in Loop: Header=BB232_2076 Depth=1
	s_or_b32 exec_lo, exec_lo, s22
	v_lshlrev_b32_sdwa v10, v78, v28 dst_sel:DWORD dst_unused:UNUSED_PAD src0_sel:DWORD src1_sel:BYTE_3
	v_lshlrev_b32_e32 v14, 20, v22
	v_lshl_add_u32 v12, v12, 23, 0x3c000000
	v_mov_b32_e32 v22, v11
	v_and_b32_e32 v10, 0x80000000, v10
	v_or3_b32 v23, v14, v10, v12
.LBB232_4078:                           ;   in Loop: Header=BB232_2076 Depth=1
	s_or_b32 exec_lo, exec_lo, s21
.LBB232_4079:                           ;   in Loop: Header=BB232_2076 Depth=1
	s_or_b32 exec_lo, exec_lo, s20
.LBB232_4080:                           ;   in Loop: Header=BB232_2076 Depth=1
	s_or_b32 exec_lo, exec_lo, s19
	v_or_b32_e32 v10, v21, v19
	v_or_b32_e32 v12, v20, v18
	;; [unrolled: 1-line block ×4, first 2 shown]
	v_mul_f32_e32 v110, v92, v10
	v_mul_f32_e32 v30, v73, v12
	v_mul_f32_e32 v109, v73, v14
	v_mul_f32_e32 v108, v92, v18
	s_and_saveexec_b32 s8, s6
; %bb.4081:                             ;   in Loop: Header=BB232_2076 Depth=1
	v_cndmask_b32_e32 v30, 0, v30, vcc_lo
	v_cndmask_b32_e64 v110, 0, v110, s4
	v_cndmask_b32_e64 v109, 0, v109, s5
	;; [unrolled: 1-line block ×3, first 2 shown]
; %bb.4082:                             ;   in Loop: Header=BB232_2076 Depth=1
	s_or_b32 exec_lo, exec_lo, s8
	flat_load_dword v28, v[16:17] offset:1408
	v_mov_b32_e32 v20, 0
	v_mov_b32_e32 v18, 0
	;; [unrolled: 1-line block ×4, first 2 shown]
	s_waitcnt vmcnt(0) lgkmcnt(0)
	v_cmp_ne_u16_sdwa s8, v28, v11 src0_sel:BYTE_0 src1_sel:DWORD
	s_and_saveexec_b32 s19, s8
	s_cbranch_execz .LBB232_4090
; %bb.4083:                             ;   in Loop: Header=BB232_2076 Depth=1
	v_bfrev_b32_e32 v18, 1
	v_mov_b32_e32 v19, 0
	v_cmp_ne_u16_sdwa s8, v28, v74 src0_sel:BYTE_0 src1_sel:DWORD
	s_and_saveexec_b32 s20, s8
	s_cbranch_execz .LBB232_4089
; %bb.4084:                             ;   in Loop: Header=BB232_2076 Depth=1
	v_mov_b32_e32 v18, 0x7f800001
	v_and_b32_e32 v14, 0x7f, v28
	v_mov_b32_e32 v19, 0
	s_mov_b32 s21, exec_lo
	v_cmpx_ne_u32_e32 0x7f, v14
	s_cbranch_execz .LBB232_4088
; %bb.4085:                             ;   in Loop: Header=BB232_2076 Depth=1
	v_and_b32_e32 v10, 7, v28
	v_mov_b32_e32 v19, v11
	v_lshrrev_b32_e32 v12, 3, v14
	s_mov_b32 s22, exec_lo
	v_mov_b32_e32 v18, v10
	v_cmpx_gt_u32_e32 8, v14
; %bb.4086:                             ;   in Loop: Header=BB232_2076 Depth=1
	v_ffbh_u32_e32 v12, v10
	v_min_u32_e32 v12, 32, v12
	v_subrev_nc_u32_e32 v14, 28, v12
	v_sub_nc_u32_e32 v12, 29, v12
	v_lshlrev_b64 v[18:19], v14, v[10:11]
	v_and_b32_e32 v18, 7, v18
; %bb.4087:                             ;   in Loop: Header=BB232_2076 Depth=1
	s_or_b32 exec_lo, exec_lo, s22
	v_lshlrev_b32_e32 v10, 24, v28
	v_lshlrev_b32_e32 v14, 20, v18
	v_lshl_add_u32 v12, v12, 23, 0x3c000000
	v_and_b32_e32 v10, 0x80000000, v10
	v_or3_b32 v10, v14, v10, v12
	v_mov_b32_e32 v19, v11
	v_mov_b32_e32 v18, v10
.LBB232_4088:                           ;   in Loop: Header=BB232_2076 Depth=1
	s_or_b32 exec_lo, exec_lo, s21
.LBB232_4089:                           ;   in Loop: Header=BB232_2076 Depth=1
	s_or_b32 exec_lo, exec_lo, s20
.LBB232_4090:                           ;   in Loop: Header=BB232_2076 Depth=1
	s_or_b32 exec_lo, exec_lo, s19
	v_cmp_ne_u16_sdwa s8, v28, v11 src0_sel:BYTE_1 src1_sel:DWORD
	s_and_saveexec_b32 s19, s8
	s_cbranch_execz .LBB232_4098
; %bb.4091:                             ;   in Loop: Header=BB232_2076 Depth=1
	v_mov_b32_e32 v12, v11
	v_mov_b32_e32 v21, v13
	v_cmp_ne_u16_sdwa s8, v28, v74 src0_sel:BYTE_1 src1_sel:DWORD
	v_mov_b32_e32 v20, v12
	s_and_saveexec_b32 s20, s8
	s_cbranch_execz .LBB232_4097
; %bb.4092:                             ;   in Loop: Header=BB232_2076 Depth=1
	v_and_b32_sdwa v10, v75, v28 dst_sel:DWORD dst_unused:UNUSED_PAD src0_sel:DWORD src1_sel:BYTE_1
	v_mov_b32_e32 v14, v11
	v_mov_b32_e32 v21, v15
	s_mov_b32 s21, exec_lo
	v_and_b32_e32 v22, 0x7f, v10
	v_mov_b32_e32 v20, v14
	v_cmpx_ne_u32_e32 0x7f, v22
	s_cbranch_execz .LBB232_4096
; %bb.4093:                             ;   in Loop: Header=BB232_2076 Depth=1
	v_and_b32_e32 v10, 7, v10
	v_mov_b32_e32 v21, v11
	v_lshrrev_b32_e32 v12, 3, v22
	s_mov_b32 s22, exec_lo
	v_mov_b32_e32 v20, v10
	v_cmpx_gt_u32_e32 8, v22
; %bb.4094:                             ;   in Loop: Header=BB232_2076 Depth=1
	v_ffbh_u32_e32 v12, v10
	v_min_u32_e32 v12, 32, v12
	v_subrev_nc_u32_e32 v14, 28, v12
	v_sub_nc_u32_e32 v12, 29, v12
	v_lshlrev_b64 v[20:21], v14, v[10:11]
	v_and_b32_e32 v20, 7, v20
; %bb.4095:                             ;   in Loop: Header=BB232_2076 Depth=1
	s_or_b32 exec_lo, exec_lo, s22
	v_lshlrev_b32_e32 v10, 16, v28
	v_lshlrev_b32_e32 v14, 20, v20
	v_lshl_add_u32 v12, v12, 23, 0x3c000000
	v_mov_b32_e32 v20, v11
	v_and_b32_e32 v10, 0x80000000, v10
	v_or3_b32 v21, v14, v10, v12
.LBB232_4096:                           ;   in Loop: Header=BB232_2076 Depth=1
	s_or_b32 exec_lo, exec_lo, s21
.LBB232_4097:                           ;   in Loop: Header=BB232_2076 Depth=1
	s_or_b32 exec_lo, exec_lo, s20
.LBB232_4098:                           ;   in Loop: Header=BB232_2076 Depth=1
	s_or_b32 exec_lo, exec_lo, s19
	v_mov_b32_e32 v22, 0
	v_mov_b32_e32 v24, 0
	v_and_b32_sdwa v10, v28, v76 dst_sel:DWORD dst_unused:UNUSED_PAD src0_sel:WORD_1 src1_sel:DWORD
	v_mov_b32_e32 v23, 0
	v_mov_b32_e32 v25, 0
	s_mov_b32 s19, exec_lo
	v_cmpx_ne_u16_e32 0, v10
	s_cbranch_execz .LBB232_4106
; %bb.4099:                             ;   in Loop: Header=BB232_2076 Depth=1
	v_bfrev_b32_e32 v24, 1
	v_mov_b32_e32 v25, 0
	s_mov_b32 s20, exec_lo
	v_cmpx_ne_u16_e32 0x80, v10
	s_cbranch_execz .LBB232_4105
; %bb.4100:                             ;   in Loop: Header=BB232_2076 Depth=1
	v_mov_b32_e32 v24, 0x7f800001
	v_bfe_u32 v14, v28, 16, 7
	v_mov_b32_e32 v25, 0
	s_mov_b32 s21, exec_lo
	v_cmpx_ne_u32_e32 0x7f, v14
	s_cbranch_execz .LBB232_4104
; %bb.4101:                             ;   in Loop: Header=BB232_2076 Depth=1
	v_and_b32_sdwa v10, v28, v77 dst_sel:DWORD dst_unused:UNUSED_PAD src0_sel:WORD_1 src1_sel:DWORD
	v_mov_b32_e32 v25, v11
	v_lshrrev_b32_e32 v12, 3, v14
	s_mov_b32 s22, exec_lo
	v_mov_b32_e32 v24, v10
	v_cmpx_gt_u32_e32 8, v14
; %bb.4102:                             ;   in Loop: Header=BB232_2076 Depth=1
	v_ffbh_u32_e32 v12, v10
	v_min_u32_e32 v12, 32, v12
	v_subrev_nc_u32_e32 v14, 28, v12
	v_sub_nc_u32_e32 v12, 29, v12
	v_lshlrev_b64 v[24:25], v14, v[10:11]
	v_and_b32_e32 v24, 7, v24
; %bb.4103:                             ;   in Loop: Header=BB232_2076 Depth=1
	s_or_b32 exec_lo, exec_lo, s22
	v_lshlrev_b32_sdwa v10, v78, v28 dst_sel:DWORD dst_unused:UNUSED_PAD src0_sel:DWORD src1_sel:WORD_1
	v_lshlrev_b32_e32 v14, 20, v24
	v_lshl_add_u32 v12, v12, 23, 0x3c000000
	v_and_b32_e32 v10, 0x80000000, v10
	v_or3_b32 v10, v14, v10, v12
	v_mov_b32_e32 v25, v11
	v_mov_b32_e32 v24, v10
.LBB232_4104:                           ;   in Loop: Header=BB232_2076 Depth=1
	s_or_b32 exec_lo, exec_lo, s21
.LBB232_4105:                           ;   in Loop: Header=BB232_2076 Depth=1
	s_or_b32 exec_lo, exec_lo, s20
.LBB232_4106:                           ;   in Loop: Header=BB232_2076 Depth=1
	s_or_b32 exec_lo, exec_lo, s19
	s_mov_b32 s19, exec_lo
	v_cmpx_lt_u32_e32 0xffffff, v28
	s_cbranch_execz .LBB232_4114
; %bb.4107:                             ;   in Loop: Header=BB232_2076 Depth=1
	v_mov_b32_e32 v12, v11
	v_mov_b32_e32 v23, v13
	v_cmp_ne_u32_sdwa s8, v28, v74 src0_sel:BYTE_3 src1_sel:DWORD
	v_mov_b32_e32 v22, v12
	s_and_saveexec_b32 s20, s8
	s_cbranch_execz .LBB232_4113
; %bb.4108:                             ;   in Loop: Header=BB232_2076 Depth=1
	v_mov_b32_e32 v14, v11
	v_mov_b32_e32 v23, v15
	v_bfe_u32 v29, v28, 24, 7
	s_mov_b32 s21, exec_lo
	v_mov_b32_e32 v22, v14
	v_cmpx_ne_u32_e32 0x7f, v29
	s_cbranch_execz .LBB232_4112
; %bb.4109:                             ;   in Loop: Header=BB232_2076 Depth=1
	v_and_b32_sdwa v10, v28, v77 dst_sel:DWORD dst_unused:UNUSED_PAD src0_sel:BYTE_3 src1_sel:DWORD
	v_mov_b32_e32 v23, v11
	v_lshrrev_b32_e32 v12, 3, v29
	s_mov_b32 s22, exec_lo
	v_mov_b32_e32 v22, v10
	v_cmpx_gt_u32_e32 8, v29
; %bb.4110:                             ;   in Loop: Header=BB232_2076 Depth=1
	v_ffbh_u32_e32 v12, v10
	v_min_u32_e32 v12, 32, v12
	v_subrev_nc_u32_e32 v14, 28, v12
	v_sub_nc_u32_e32 v12, 29, v12
	v_lshlrev_b64 v[22:23], v14, v[10:11]
	v_and_b32_e32 v22, 7, v22
; %bb.4111:                             ;   in Loop: Header=BB232_2076 Depth=1
	s_or_b32 exec_lo, exec_lo, s22
	v_lshlrev_b32_sdwa v10, v78, v28 dst_sel:DWORD dst_unused:UNUSED_PAD src0_sel:DWORD src1_sel:BYTE_3
	v_lshlrev_b32_e32 v14, 20, v22
	v_lshl_add_u32 v12, v12, 23, 0x3c000000
	v_mov_b32_e32 v22, v11
	v_and_b32_e32 v10, 0x80000000, v10
	v_or3_b32 v23, v14, v10, v12
.LBB232_4112:                           ;   in Loop: Header=BB232_2076 Depth=1
	s_or_b32 exec_lo, exec_lo, s21
.LBB232_4113:                           ;   in Loop: Header=BB232_2076 Depth=1
	s_or_b32 exec_lo, exec_lo, s20
.LBB232_4114:                           ;   in Loop: Header=BB232_2076 Depth=1
	s_or_b32 exec_lo, exec_lo, s19
	v_or_b32_e32 v10, v21, v19
	v_or_b32_e32 v12, v20, v18
	;; [unrolled: 1-line block ×4, first 2 shown]
	v_mul_f32_e32 v28, v92, v10
	v_mul_f32_e32 v91, v73, v12
	;; [unrolled: 1-line block ×4, first 2 shown]
	s_and_saveexec_b32 s8, s6
; %bb.4115:                             ;   in Loop: Header=BB232_2076 Depth=1
	v_cndmask_b32_e32 v91, 0, v91, vcc_lo
	v_cndmask_b32_e64 v28, 0, v28, s4
	v_cndmask_b32_e64 v120, 0, v120, s5
	;; [unrolled: 1-line block ×3, first 2 shown]
; %bb.4116:                             ;   in Loop: Header=BB232_2076 Depth=1
	s_or_b32 exec_lo, exec_lo, s8
	flat_load_dword v29, v[16:17] offset:1536
	v_mov_b32_e32 v20, 0
	v_mov_b32_e32 v18, 0
	;; [unrolled: 1-line block ×4, first 2 shown]
	s_waitcnt vmcnt(0) lgkmcnt(0)
	v_cmp_ne_u16_sdwa s8, v29, v11 src0_sel:BYTE_0 src1_sel:DWORD
	s_and_saveexec_b32 s19, s8
	s_cbranch_execz .LBB232_4124
; %bb.4117:                             ;   in Loop: Header=BB232_2076 Depth=1
	v_bfrev_b32_e32 v18, 1
	v_mov_b32_e32 v19, 0
	v_cmp_ne_u16_sdwa s8, v29, v74 src0_sel:BYTE_0 src1_sel:DWORD
	s_and_saveexec_b32 s20, s8
	s_cbranch_execz .LBB232_4123
; %bb.4118:                             ;   in Loop: Header=BB232_2076 Depth=1
	v_mov_b32_e32 v18, 0x7f800001
	v_and_b32_e32 v14, 0x7f, v29
	v_mov_b32_e32 v19, 0
	s_mov_b32 s21, exec_lo
	v_cmpx_ne_u32_e32 0x7f, v14
	s_cbranch_execz .LBB232_4122
; %bb.4119:                             ;   in Loop: Header=BB232_2076 Depth=1
	v_and_b32_e32 v10, 7, v29
	v_mov_b32_e32 v19, v11
	v_lshrrev_b32_e32 v12, 3, v14
	s_mov_b32 s22, exec_lo
	v_mov_b32_e32 v18, v10
	v_cmpx_gt_u32_e32 8, v14
; %bb.4120:                             ;   in Loop: Header=BB232_2076 Depth=1
	v_ffbh_u32_e32 v12, v10
	v_min_u32_e32 v12, 32, v12
	v_subrev_nc_u32_e32 v14, 28, v12
	v_sub_nc_u32_e32 v12, 29, v12
	v_lshlrev_b64 v[18:19], v14, v[10:11]
	v_and_b32_e32 v18, 7, v18
; %bb.4121:                             ;   in Loop: Header=BB232_2076 Depth=1
	s_or_b32 exec_lo, exec_lo, s22
	v_lshlrev_b32_e32 v10, 24, v29
	v_lshlrev_b32_e32 v14, 20, v18
	v_lshl_add_u32 v12, v12, 23, 0x3c000000
	v_and_b32_e32 v10, 0x80000000, v10
	v_or3_b32 v10, v14, v10, v12
	v_mov_b32_e32 v19, v11
	v_mov_b32_e32 v18, v10
.LBB232_4122:                           ;   in Loop: Header=BB232_2076 Depth=1
	s_or_b32 exec_lo, exec_lo, s21
.LBB232_4123:                           ;   in Loop: Header=BB232_2076 Depth=1
	s_or_b32 exec_lo, exec_lo, s20
.LBB232_4124:                           ;   in Loop: Header=BB232_2076 Depth=1
	s_or_b32 exec_lo, exec_lo, s19
	v_cmp_ne_u16_sdwa s8, v29, v11 src0_sel:BYTE_1 src1_sel:DWORD
	s_and_saveexec_b32 s19, s8
	s_cbranch_execz .LBB232_4132
; %bb.4125:                             ;   in Loop: Header=BB232_2076 Depth=1
	v_mov_b32_e32 v12, v11
	v_mov_b32_e32 v21, v13
	v_cmp_ne_u16_sdwa s8, v29, v74 src0_sel:BYTE_1 src1_sel:DWORD
	v_mov_b32_e32 v20, v12
	s_and_saveexec_b32 s20, s8
	s_cbranch_execz .LBB232_4131
; %bb.4126:                             ;   in Loop: Header=BB232_2076 Depth=1
	v_and_b32_sdwa v10, v75, v29 dst_sel:DWORD dst_unused:UNUSED_PAD src0_sel:DWORD src1_sel:BYTE_1
	v_mov_b32_e32 v14, v11
	v_mov_b32_e32 v21, v15
	s_mov_b32 s21, exec_lo
	v_and_b32_e32 v22, 0x7f, v10
	v_mov_b32_e32 v20, v14
	v_cmpx_ne_u32_e32 0x7f, v22
	s_cbranch_execz .LBB232_4130
; %bb.4127:                             ;   in Loop: Header=BB232_2076 Depth=1
	v_and_b32_e32 v10, 7, v10
	v_mov_b32_e32 v21, v11
	v_lshrrev_b32_e32 v12, 3, v22
	s_mov_b32 s22, exec_lo
	v_mov_b32_e32 v20, v10
	v_cmpx_gt_u32_e32 8, v22
; %bb.4128:                             ;   in Loop: Header=BB232_2076 Depth=1
	v_ffbh_u32_e32 v12, v10
	v_min_u32_e32 v12, 32, v12
	v_subrev_nc_u32_e32 v14, 28, v12
	v_sub_nc_u32_e32 v12, 29, v12
	v_lshlrev_b64 v[20:21], v14, v[10:11]
	v_and_b32_e32 v20, 7, v20
; %bb.4129:                             ;   in Loop: Header=BB232_2076 Depth=1
	s_or_b32 exec_lo, exec_lo, s22
	v_lshlrev_b32_e32 v10, 16, v29
	v_lshlrev_b32_e32 v14, 20, v20
	v_lshl_add_u32 v12, v12, 23, 0x3c000000
	v_mov_b32_e32 v20, v11
	v_and_b32_e32 v10, 0x80000000, v10
	v_or3_b32 v21, v14, v10, v12
.LBB232_4130:                           ;   in Loop: Header=BB232_2076 Depth=1
	s_or_b32 exec_lo, exec_lo, s21
.LBB232_4131:                           ;   in Loop: Header=BB232_2076 Depth=1
	s_or_b32 exec_lo, exec_lo, s20
.LBB232_4132:                           ;   in Loop: Header=BB232_2076 Depth=1
	s_or_b32 exec_lo, exec_lo, s19
	v_mov_b32_e32 v22, 0
	v_mov_b32_e32 v24, 0
	v_and_b32_sdwa v10, v29, v76 dst_sel:DWORD dst_unused:UNUSED_PAD src0_sel:WORD_1 src1_sel:DWORD
	v_mov_b32_e32 v23, 0
	v_mov_b32_e32 v25, 0
	s_mov_b32 s19, exec_lo
	v_cmpx_ne_u16_e32 0, v10
	s_cbranch_execz .LBB232_4140
; %bb.4133:                             ;   in Loop: Header=BB232_2076 Depth=1
	v_bfrev_b32_e32 v24, 1
	v_mov_b32_e32 v25, 0
	s_mov_b32 s20, exec_lo
	v_cmpx_ne_u16_e32 0x80, v10
	s_cbranch_execz .LBB232_4139
; %bb.4134:                             ;   in Loop: Header=BB232_2076 Depth=1
	v_mov_b32_e32 v24, 0x7f800001
	v_bfe_u32 v14, v29, 16, 7
	v_mov_b32_e32 v25, 0
	s_mov_b32 s21, exec_lo
	v_cmpx_ne_u32_e32 0x7f, v14
	s_cbranch_execz .LBB232_4138
; %bb.4135:                             ;   in Loop: Header=BB232_2076 Depth=1
	v_and_b32_sdwa v10, v29, v77 dst_sel:DWORD dst_unused:UNUSED_PAD src0_sel:WORD_1 src1_sel:DWORD
	v_mov_b32_e32 v25, v11
	v_lshrrev_b32_e32 v12, 3, v14
	s_mov_b32 s22, exec_lo
	v_mov_b32_e32 v24, v10
	v_cmpx_gt_u32_e32 8, v14
; %bb.4136:                             ;   in Loop: Header=BB232_2076 Depth=1
	v_ffbh_u32_e32 v12, v10
	v_min_u32_e32 v12, 32, v12
	v_subrev_nc_u32_e32 v14, 28, v12
	v_sub_nc_u32_e32 v12, 29, v12
	v_lshlrev_b64 v[24:25], v14, v[10:11]
	v_and_b32_e32 v24, 7, v24
; %bb.4137:                             ;   in Loop: Header=BB232_2076 Depth=1
	s_or_b32 exec_lo, exec_lo, s22
	v_lshlrev_b32_sdwa v10, v78, v29 dst_sel:DWORD dst_unused:UNUSED_PAD src0_sel:DWORD src1_sel:WORD_1
	v_lshlrev_b32_e32 v14, 20, v24
	v_lshl_add_u32 v12, v12, 23, 0x3c000000
	v_and_b32_e32 v10, 0x80000000, v10
	v_or3_b32 v10, v14, v10, v12
	v_mov_b32_e32 v25, v11
	v_mov_b32_e32 v24, v10
.LBB232_4138:                           ;   in Loop: Header=BB232_2076 Depth=1
	s_or_b32 exec_lo, exec_lo, s21
.LBB232_4139:                           ;   in Loop: Header=BB232_2076 Depth=1
	s_or_b32 exec_lo, exec_lo, s20
.LBB232_4140:                           ;   in Loop: Header=BB232_2076 Depth=1
	s_or_b32 exec_lo, exec_lo, s19
	s_mov_b32 s19, exec_lo
	v_cmpx_lt_u32_e32 0xffffff, v29
	s_cbranch_execz .LBB232_4148
; %bb.4141:                             ;   in Loop: Header=BB232_2076 Depth=1
	v_mov_b32_e32 v12, v11
	v_mov_b32_e32 v23, v13
	v_cmp_ne_u32_sdwa s8, v29, v74 src0_sel:BYTE_3 src1_sel:DWORD
	v_mov_b32_e32 v22, v12
	s_and_saveexec_b32 s20, s8
	s_cbranch_execz .LBB232_4147
; %bb.4142:                             ;   in Loop: Header=BB232_2076 Depth=1
	v_mov_b32_e32 v14, v11
	v_mov_b32_e32 v23, v15
	v_bfe_u32 v32, v29, 24, 7
	s_mov_b32 s21, exec_lo
	v_mov_b32_e32 v22, v14
	v_cmpx_ne_u32_e32 0x7f, v32
	s_cbranch_execz .LBB232_4146
; %bb.4143:                             ;   in Loop: Header=BB232_2076 Depth=1
	v_and_b32_sdwa v10, v29, v77 dst_sel:DWORD dst_unused:UNUSED_PAD src0_sel:BYTE_3 src1_sel:DWORD
	v_mov_b32_e32 v23, v11
	v_lshrrev_b32_e32 v12, 3, v32
	s_mov_b32 s22, exec_lo
	v_mov_b32_e32 v22, v10
	v_cmpx_gt_u32_e32 8, v32
; %bb.4144:                             ;   in Loop: Header=BB232_2076 Depth=1
	v_ffbh_u32_e32 v12, v10
	v_min_u32_e32 v12, 32, v12
	v_subrev_nc_u32_e32 v14, 28, v12
	v_sub_nc_u32_e32 v12, 29, v12
	v_lshlrev_b64 v[22:23], v14, v[10:11]
	v_and_b32_e32 v22, 7, v22
; %bb.4145:                             ;   in Loop: Header=BB232_2076 Depth=1
	s_or_b32 exec_lo, exec_lo, s22
	v_lshlrev_b32_sdwa v10, v78, v29 dst_sel:DWORD dst_unused:UNUSED_PAD src0_sel:DWORD src1_sel:BYTE_3
	v_lshlrev_b32_e32 v14, 20, v22
	v_lshl_add_u32 v12, v12, 23, 0x3c000000
	v_mov_b32_e32 v22, v11
	v_and_b32_e32 v10, 0x80000000, v10
	v_or3_b32 v23, v14, v10, v12
.LBB232_4146:                           ;   in Loop: Header=BB232_2076 Depth=1
	s_or_b32 exec_lo, exec_lo, s21
.LBB232_4147:                           ;   in Loop: Header=BB232_2076 Depth=1
	s_or_b32 exec_lo, exec_lo, s20
.LBB232_4148:                           ;   in Loop: Header=BB232_2076 Depth=1
	s_or_b32 exec_lo, exec_lo, s19
	v_or_b32_e32 v10, v21, v19
	v_or_b32_e32 v12, v20, v18
	v_or_b32_e32 v14, v22, v24
	v_or_b32_e32 v18, v23, v25
	v_mul_f32_e32 v123, v92, v10
	v_mul_f32_e32 v29, v73, v12
	v_mul_f32_e32 v122, v73, v14
	v_mul_f32_e32 v121, v92, v18
	s_and_saveexec_b32 s8, s6
; %bb.4149:                             ;   in Loop: Header=BB232_2076 Depth=1
	v_cndmask_b32_e32 v29, 0, v29, vcc_lo
	v_cndmask_b32_e64 v123, 0, v123, s4
	v_cndmask_b32_e64 v122, 0, v122, s5
	;; [unrolled: 1-line block ×3, first 2 shown]
; %bb.4150:                             ;   in Loop: Header=BB232_2076 Depth=1
	s_or_b32 exec_lo, exec_lo, s8
	flat_load_dword v32, v[16:17] offset:1664
	v_mov_b32_e32 v20, 0
	v_mov_b32_e32 v18, 0
	;; [unrolled: 1-line block ×4, first 2 shown]
	s_waitcnt vmcnt(0) lgkmcnt(0)
	v_cmp_ne_u16_sdwa s8, v32, v11 src0_sel:BYTE_0 src1_sel:DWORD
	s_and_saveexec_b32 s19, s8
	s_cbranch_execz .LBB232_4158
; %bb.4151:                             ;   in Loop: Header=BB232_2076 Depth=1
	v_bfrev_b32_e32 v18, 1
	v_mov_b32_e32 v19, 0
	v_cmp_ne_u16_sdwa s8, v32, v74 src0_sel:BYTE_0 src1_sel:DWORD
	s_and_saveexec_b32 s20, s8
	s_cbranch_execz .LBB232_4157
; %bb.4152:                             ;   in Loop: Header=BB232_2076 Depth=1
	v_mov_b32_e32 v18, 0x7f800001
	v_and_b32_e32 v14, 0x7f, v32
	v_mov_b32_e32 v19, 0
	s_mov_b32 s21, exec_lo
	v_cmpx_ne_u32_e32 0x7f, v14
	s_cbranch_execz .LBB232_4156
; %bb.4153:                             ;   in Loop: Header=BB232_2076 Depth=1
	v_and_b32_e32 v10, 7, v32
	v_mov_b32_e32 v19, v11
	v_lshrrev_b32_e32 v12, 3, v14
	s_mov_b32 s22, exec_lo
	v_mov_b32_e32 v18, v10
	v_cmpx_gt_u32_e32 8, v14
; %bb.4154:                             ;   in Loop: Header=BB232_2076 Depth=1
	v_ffbh_u32_e32 v12, v10
	v_min_u32_e32 v12, 32, v12
	v_subrev_nc_u32_e32 v14, 28, v12
	v_sub_nc_u32_e32 v12, 29, v12
	v_lshlrev_b64 v[18:19], v14, v[10:11]
	v_and_b32_e32 v18, 7, v18
; %bb.4155:                             ;   in Loop: Header=BB232_2076 Depth=1
	s_or_b32 exec_lo, exec_lo, s22
	v_lshlrev_b32_e32 v10, 24, v32
	v_lshlrev_b32_e32 v14, 20, v18
	v_lshl_add_u32 v12, v12, 23, 0x3c000000
	v_and_b32_e32 v10, 0x80000000, v10
	v_or3_b32 v10, v14, v10, v12
	v_mov_b32_e32 v19, v11
	v_mov_b32_e32 v18, v10
.LBB232_4156:                           ;   in Loop: Header=BB232_2076 Depth=1
	s_or_b32 exec_lo, exec_lo, s21
.LBB232_4157:                           ;   in Loop: Header=BB232_2076 Depth=1
	s_or_b32 exec_lo, exec_lo, s20
.LBB232_4158:                           ;   in Loop: Header=BB232_2076 Depth=1
	s_or_b32 exec_lo, exec_lo, s19
	v_cmp_ne_u16_sdwa s8, v32, v11 src0_sel:BYTE_1 src1_sel:DWORD
	s_and_saveexec_b32 s19, s8
	s_cbranch_execz .LBB232_4166
; %bb.4159:                             ;   in Loop: Header=BB232_2076 Depth=1
	v_mov_b32_e32 v12, v11
	v_mov_b32_e32 v21, v13
	v_cmp_ne_u16_sdwa s8, v32, v74 src0_sel:BYTE_1 src1_sel:DWORD
	v_mov_b32_e32 v20, v12
	s_and_saveexec_b32 s20, s8
	s_cbranch_execz .LBB232_4165
; %bb.4160:                             ;   in Loop: Header=BB232_2076 Depth=1
	v_and_b32_sdwa v10, v75, v32 dst_sel:DWORD dst_unused:UNUSED_PAD src0_sel:DWORD src1_sel:BYTE_1
	v_mov_b32_e32 v14, v11
	v_mov_b32_e32 v21, v15
	s_mov_b32 s21, exec_lo
	v_and_b32_e32 v22, 0x7f, v10
	v_mov_b32_e32 v20, v14
	v_cmpx_ne_u32_e32 0x7f, v22
	s_cbranch_execz .LBB232_4164
; %bb.4161:                             ;   in Loop: Header=BB232_2076 Depth=1
	v_and_b32_e32 v10, 7, v10
	v_mov_b32_e32 v21, v11
	v_lshrrev_b32_e32 v12, 3, v22
	s_mov_b32 s22, exec_lo
	v_mov_b32_e32 v20, v10
	v_cmpx_gt_u32_e32 8, v22
; %bb.4162:                             ;   in Loop: Header=BB232_2076 Depth=1
	v_ffbh_u32_e32 v12, v10
	v_min_u32_e32 v12, 32, v12
	v_subrev_nc_u32_e32 v14, 28, v12
	v_sub_nc_u32_e32 v12, 29, v12
	v_lshlrev_b64 v[20:21], v14, v[10:11]
	v_and_b32_e32 v20, 7, v20
; %bb.4163:                             ;   in Loop: Header=BB232_2076 Depth=1
	s_or_b32 exec_lo, exec_lo, s22
	v_lshlrev_b32_e32 v10, 16, v32
	v_lshlrev_b32_e32 v14, 20, v20
	v_lshl_add_u32 v12, v12, 23, 0x3c000000
	v_mov_b32_e32 v20, v11
	v_and_b32_e32 v10, 0x80000000, v10
	v_or3_b32 v21, v14, v10, v12
.LBB232_4164:                           ;   in Loop: Header=BB232_2076 Depth=1
	s_or_b32 exec_lo, exec_lo, s21
.LBB232_4165:                           ;   in Loop: Header=BB232_2076 Depth=1
	s_or_b32 exec_lo, exec_lo, s20
.LBB232_4166:                           ;   in Loop: Header=BB232_2076 Depth=1
	s_or_b32 exec_lo, exec_lo, s19
	v_mov_b32_e32 v22, 0
	v_mov_b32_e32 v24, 0
	v_and_b32_sdwa v10, v32, v76 dst_sel:DWORD dst_unused:UNUSED_PAD src0_sel:WORD_1 src1_sel:DWORD
	v_mov_b32_e32 v23, 0
	v_mov_b32_e32 v25, 0
	s_mov_b32 s19, exec_lo
	v_cmpx_ne_u16_e32 0, v10
	s_cbranch_execz .LBB232_4174
; %bb.4167:                             ;   in Loop: Header=BB232_2076 Depth=1
	v_bfrev_b32_e32 v24, 1
	v_mov_b32_e32 v25, 0
	s_mov_b32 s20, exec_lo
	v_cmpx_ne_u16_e32 0x80, v10
	s_cbranch_execz .LBB232_4173
; %bb.4168:                             ;   in Loop: Header=BB232_2076 Depth=1
	v_mov_b32_e32 v24, 0x7f800001
	v_bfe_u32 v14, v32, 16, 7
	v_mov_b32_e32 v25, 0
	s_mov_b32 s21, exec_lo
	v_cmpx_ne_u32_e32 0x7f, v14
	s_cbranch_execz .LBB232_4172
; %bb.4169:                             ;   in Loop: Header=BB232_2076 Depth=1
	v_and_b32_sdwa v10, v32, v77 dst_sel:DWORD dst_unused:UNUSED_PAD src0_sel:WORD_1 src1_sel:DWORD
	v_mov_b32_e32 v25, v11
	v_lshrrev_b32_e32 v12, 3, v14
	s_mov_b32 s22, exec_lo
	v_mov_b32_e32 v24, v10
	v_cmpx_gt_u32_e32 8, v14
; %bb.4170:                             ;   in Loop: Header=BB232_2076 Depth=1
	v_ffbh_u32_e32 v12, v10
	v_min_u32_e32 v12, 32, v12
	v_subrev_nc_u32_e32 v14, 28, v12
	v_sub_nc_u32_e32 v12, 29, v12
	v_lshlrev_b64 v[24:25], v14, v[10:11]
	v_and_b32_e32 v24, 7, v24
; %bb.4171:                             ;   in Loop: Header=BB232_2076 Depth=1
	s_or_b32 exec_lo, exec_lo, s22
	v_lshlrev_b32_sdwa v10, v78, v32 dst_sel:DWORD dst_unused:UNUSED_PAD src0_sel:DWORD src1_sel:WORD_1
	v_lshlrev_b32_e32 v14, 20, v24
	v_lshl_add_u32 v12, v12, 23, 0x3c000000
	v_and_b32_e32 v10, 0x80000000, v10
	v_or3_b32 v10, v14, v10, v12
	v_mov_b32_e32 v25, v11
	v_mov_b32_e32 v24, v10
.LBB232_4172:                           ;   in Loop: Header=BB232_2076 Depth=1
	s_or_b32 exec_lo, exec_lo, s21
.LBB232_4173:                           ;   in Loop: Header=BB232_2076 Depth=1
	s_or_b32 exec_lo, exec_lo, s20
.LBB232_4174:                           ;   in Loop: Header=BB232_2076 Depth=1
	s_or_b32 exec_lo, exec_lo, s19
	s_mov_b32 s19, exec_lo
	v_cmpx_lt_u32_e32 0xffffff, v32
	s_cbranch_execz .LBB232_4182
; %bb.4175:                             ;   in Loop: Header=BB232_2076 Depth=1
	v_mov_b32_e32 v12, v11
	v_mov_b32_e32 v23, v13
	v_cmp_ne_u32_sdwa s8, v32, v74 src0_sel:BYTE_3 src1_sel:DWORD
	v_mov_b32_e32 v22, v12
	s_and_saveexec_b32 s20, s8
	s_cbranch_execz .LBB232_4181
; %bb.4176:                             ;   in Loop: Header=BB232_2076 Depth=1
	v_mov_b32_e32 v14, v11
	v_mov_b32_e32 v23, v15
	v_bfe_u32 v33, v32, 24, 7
	s_mov_b32 s21, exec_lo
	v_mov_b32_e32 v22, v14
	v_cmpx_ne_u32_e32 0x7f, v33
	s_cbranch_execz .LBB232_4180
; %bb.4177:                             ;   in Loop: Header=BB232_2076 Depth=1
	v_and_b32_sdwa v10, v32, v77 dst_sel:DWORD dst_unused:UNUSED_PAD src0_sel:BYTE_3 src1_sel:DWORD
	v_mov_b32_e32 v23, v11
	v_lshrrev_b32_e32 v12, 3, v33
	s_mov_b32 s22, exec_lo
	v_mov_b32_e32 v22, v10
	v_cmpx_gt_u32_e32 8, v33
; %bb.4178:                             ;   in Loop: Header=BB232_2076 Depth=1
	v_ffbh_u32_e32 v12, v10
	v_min_u32_e32 v12, 32, v12
	v_subrev_nc_u32_e32 v14, 28, v12
	v_sub_nc_u32_e32 v12, 29, v12
	v_lshlrev_b64 v[22:23], v14, v[10:11]
	v_and_b32_e32 v22, 7, v22
; %bb.4179:                             ;   in Loop: Header=BB232_2076 Depth=1
	s_or_b32 exec_lo, exec_lo, s22
	v_lshlrev_b32_sdwa v10, v78, v32 dst_sel:DWORD dst_unused:UNUSED_PAD src0_sel:DWORD src1_sel:BYTE_3
	v_lshlrev_b32_e32 v14, 20, v22
	v_lshl_add_u32 v12, v12, 23, 0x3c000000
	v_mov_b32_e32 v22, v11
	v_and_b32_e32 v10, 0x80000000, v10
	v_or3_b32 v23, v14, v10, v12
.LBB232_4180:                           ;   in Loop: Header=BB232_2076 Depth=1
	s_or_b32 exec_lo, exec_lo, s21
.LBB232_4181:                           ;   in Loop: Header=BB232_2076 Depth=1
	s_or_b32 exec_lo, exec_lo, s20
.LBB232_4182:                           ;   in Loop: Header=BB232_2076 Depth=1
	s_or_b32 exec_lo, exec_lo, s19
	v_or_b32_e32 v10, v21, v19
	v_or_b32_e32 v12, v20, v18
	;; [unrolled: 1-line block ×4, first 2 shown]
	v_mul_f32_e32 v125, v92, v10
	v_mul_f32_e32 v124, v73, v12
	;; [unrolled: 1-line block ×4, first 2 shown]
	s_and_saveexec_b32 s8, s6
; %bb.4183:                             ;   in Loop: Header=BB232_2076 Depth=1
	v_cndmask_b32_e32 v124, 0, v124, vcc_lo
	v_cndmask_b32_e64 v125, 0, v125, s4
	v_cndmask_b32_e64 v25, 0, v25, s5
	;; [unrolled: 1-line block ×3, first 2 shown]
; %bb.4184:                             ;   in Loop: Header=BB232_2076 Depth=1
	s_or_b32 exec_lo, exec_lo, s8
	flat_load_dword v32, v[16:17] offset:1792
	v_mov_b32_e32 v18, 0
	v_mov_b32_e32 v16, 0
	;; [unrolled: 1-line block ×4, first 2 shown]
	s_waitcnt vmcnt(0) lgkmcnt(0)
	v_cmp_ne_u16_sdwa s8, v32, v11 src0_sel:BYTE_0 src1_sel:DWORD
	s_and_saveexec_b32 s19, s8
	s_cbranch_execz .LBB232_4192
; %bb.4185:                             ;   in Loop: Header=BB232_2076 Depth=1
	v_bfrev_b32_e32 v16, 1
	v_mov_b32_e32 v17, 0
	v_cmp_ne_u16_sdwa s8, v32, v74 src0_sel:BYTE_0 src1_sel:DWORD
	s_and_saveexec_b32 s20, s8
	s_cbranch_execz .LBB232_4191
; %bb.4186:                             ;   in Loop: Header=BB232_2076 Depth=1
	v_mov_b32_e32 v16, 0x7f800001
	v_and_b32_e32 v14, 0x7f, v32
	v_mov_b32_e32 v17, 0
	s_mov_b32 s21, exec_lo
	v_cmpx_ne_u32_e32 0x7f, v14
	s_cbranch_execz .LBB232_4190
; %bb.4187:                             ;   in Loop: Header=BB232_2076 Depth=1
	v_and_b32_e32 v10, 7, v32
	v_mov_b32_e32 v17, v11
	v_lshrrev_b32_e32 v12, 3, v14
	s_mov_b32 s22, exec_lo
	v_mov_b32_e32 v16, v10
	v_cmpx_gt_u32_e32 8, v14
; %bb.4188:                             ;   in Loop: Header=BB232_2076 Depth=1
	v_ffbh_u32_e32 v12, v10
	v_min_u32_e32 v12, 32, v12
	v_subrev_nc_u32_e32 v14, 28, v12
	v_sub_nc_u32_e32 v12, 29, v12
	v_lshlrev_b64 v[16:17], v14, v[10:11]
	v_and_b32_e32 v16, 7, v16
; %bb.4189:                             ;   in Loop: Header=BB232_2076 Depth=1
	s_or_b32 exec_lo, exec_lo, s22
	v_lshlrev_b32_e32 v10, 24, v32
	v_lshlrev_b32_e32 v14, 20, v16
	v_lshl_add_u32 v12, v12, 23, 0x3c000000
	v_and_b32_e32 v10, 0x80000000, v10
	v_or3_b32 v10, v14, v10, v12
	v_mov_b32_e32 v17, v11
	v_mov_b32_e32 v16, v10
.LBB232_4190:                           ;   in Loop: Header=BB232_2076 Depth=1
	s_or_b32 exec_lo, exec_lo, s21
.LBB232_4191:                           ;   in Loop: Header=BB232_2076 Depth=1
	s_or_b32 exec_lo, exec_lo, s20
.LBB232_4192:                           ;   in Loop: Header=BB232_2076 Depth=1
	s_or_b32 exec_lo, exec_lo, s19
	v_cmp_ne_u16_sdwa s8, v32, v11 src0_sel:BYTE_1 src1_sel:DWORD
	s_and_saveexec_b32 s19, s8
	s_cbranch_execz .LBB232_4200
; %bb.4193:                             ;   in Loop: Header=BB232_2076 Depth=1
	v_mov_b32_e32 v12, v11
	v_mov_b32_e32 v19, v13
	v_cmp_ne_u16_sdwa s8, v32, v74 src0_sel:BYTE_1 src1_sel:DWORD
	v_mov_b32_e32 v18, v12
	s_and_saveexec_b32 s20, s8
	s_cbranch_execz .LBB232_4199
; %bb.4194:                             ;   in Loop: Header=BB232_2076 Depth=1
	v_and_b32_sdwa v10, v75, v32 dst_sel:DWORD dst_unused:UNUSED_PAD src0_sel:DWORD src1_sel:BYTE_1
	v_mov_b32_e32 v14, v11
	v_mov_b32_e32 v19, v15
	s_mov_b32 s21, exec_lo
	v_and_b32_e32 v20, 0x7f, v10
	v_mov_b32_e32 v18, v14
	v_cmpx_ne_u32_e32 0x7f, v20
	s_cbranch_execz .LBB232_4198
; %bb.4195:                             ;   in Loop: Header=BB232_2076 Depth=1
	v_and_b32_e32 v10, 7, v10
	v_mov_b32_e32 v19, v11
	v_lshrrev_b32_e32 v12, 3, v20
	s_mov_b32 s22, exec_lo
	v_mov_b32_e32 v18, v10
	v_cmpx_gt_u32_e32 8, v20
; %bb.4196:                             ;   in Loop: Header=BB232_2076 Depth=1
	v_ffbh_u32_e32 v12, v10
	v_min_u32_e32 v12, 32, v12
	v_subrev_nc_u32_e32 v14, 28, v12
	v_sub_nc_u32_e32 v12, 29, v12
	v_lshlrev_b64 v[18:19], v14, v[10:11]
	v_and_b32_e32 v18, 7, v18
; %bb.4197:                             ;   in Loop: Header=BB232_2076 Depth=1
	s_or_b32 exec_lo, exec_lo, s22
	v_lshlrev_b32_e32 v10, 16, v32
	v_lshlrev_b32_e32 v14, 20, v18
	v_lshl_add_u32 v12, v12, 23, 0x3c000000
	v_mov_b32_e32 v18, v11
	v_and_b32_e32 v10, 0x80000000, v10
	v_or3_b32 v19, v14, v10, v12
.LBB232_4198:                           ;   in Loop: Header=BB232_2076 Depth=1
	s_or_b32 exec_lo, exec_lo, s21
.LBB232_4199:                           ;   in Loop: Header=BB232_2076 Depth=1
	s_or_b32 exec_lo, exec_lo, s20
.LBB232_4200:                           ;   in Loop: Header=BB232_2076 Depth=1
	s_or_b32 exec_lo, exec_lo, s19
	v_mov_b32_e32 v20, 0
	v_mov_b32_e32 v22, 0
	v_and_b32_sdwa v10, v32, v76 dst_sel:DWORD dst_unused:UNUSED_PAD src0_sel:WORD_1 src1_sel:DWORD
	v_mov_b32_e32 v21, 0
	v_mov_b32_e32 v23, 0
	s_mov_b32 s19, exec_lo
	v_cmpx_ne_u16_e32 0, v10
	s_cbranch_execz .LBB232_4208
; %bb.4201:                             ;   in Loop: Header=BB232_2076 Depth=1
	v_bfrev_b32_e32 v22, 1
	v_mov_b32_e32 v23, 0
	s_mov_b32 s20, exec_lo
	v_cmpx_ne_u16_e32 0x80, v10
	s_cbranch_execz .LBB232_4207
; %bb.4202:                             ;   in Loop: Header=BB232_2076 Depth=1
	v_mov_b32_e32 v22, 0x7f800001
	v_bfe_u32 v14, v32, 16, 7
	v_mov_b32_e32 v23, 0
	s_mov_b32 s21, exec_lo
	v_cmpx_ne_u32_e32 0x7f, v14
	s_cbranch_execz .LBB232_4206
; %bb.4203:                             ;   in Loop: Header=BB232_2076 Depth=1
	v_and_b32_sdwa v10, v32, v77 dst_sel:DWORD dst_unused:UNUSED_PAD src0_sel:WORD_1 src1_sel:DWORD
	v_mov_b32_e32 v23, v11
	v_lshrrev_b32_e32 v12, 3, v14
	s_mov_b32 s22, exec_lo
	v_mov_b32_e32 v22, v10
	v_cmpx_gt_u32_e32 8, v14
; %bb.4204:                             ;   in Loop: Header=BB232_2076 Depth=1
	v_ffbh_u32_e32 v12, v10
	v_min_u32_e32 v12, 32, v12
	v_subrev_nc_u32_e32 v14, 28, v12
	v_sub_nc_u32_e32 v12, 29, v12
	v_lshlrev_b64 v[22:23], v14, v[10:11]
	v_and_b32_e32 v22, 7, v22
; %bb.4205:                             ;   in Loop: Header=BB232_2076 Depth=1
	s_or_b32 exec_lo, exec_lo, s22
	v_lshlrev_b32_sdwa v10, v78, v32 dst_sel:DWORD dst_unused:UNUSED_PAD src0_sel:DWORD src1_sel:WORD_1
	v_lshlrev_b32_e32 v14, 20, v22
	v_lshl_add_u32 v12, v12, 23, 0x3c000000
	v_and_b32_e32 v10, 0x80000000, v10
	v_or3_b32 v10, v14, v10, v12
	v_mov_b32_e32 v23, v11
	v_mov_b32_e32 v22, v10
.LBB232_4206:                           ;   in Loop: Header=BB232_2076 Depth=1
	s_or_b32 exec_lo, exec_lo, s21
.LBB232_4207:                           ;   in Loop: Header=BB232_2076 Depth=1
	s_or_b32 exec_lo, exec_lo, s20
.LBB232_4208:                           ;   in Loop: Header=BB232_2076 Depth=1
	s_or_b32 exec_lo, exec_lo, s19
	s_mov_b32 s19, exec_lo
	v_cmpx_lt_u32_e32 0xffffff, v32
	s_cbranch_execz .LBB232_4216
; %bb.4209:                             ;   in Loop: Header=BB232_2076 Depth=1
	v_mov_b32_e32 v12, v11
	v_mov_b32_e32 v21, v13
	v_cmp_ne_u32_sdwa s8, v32, v74 src0_sel:BYTE_3 src1_sel:DWORD
	v_mov_b32_e32 v20, v12
	s_and_saveexec_b32 s20, s8
	s_cbranch_execz .LBB232_4215
; %bb.4210:                             ;   in Loop: Header=BB232_2076 Depth=1
	v_mov_b32_e32 v14, v11
	v_mov_b32_e32 v21, v15
	v_bfe_u32 v33, v32, 24, 7
	s_mov_b32 s21, exec_lo
	v_mov_b32_e32 v20, v14
	v_cmpx_ne_u32_e32 0x7f, v33
	s_cbranch_execz .LBB232_4214
; %bb.4211:                             ;   in Loop: Header=BB232_2076 Depth=1
	v_and_b32_sdwa v10, v32, v77 dst_sel:DWORD dst_unused:UNUSED_PAD src0_sel:BYTE_3 src1_sel:DWORD
	v_mov_b32_e32 v21, v11
	v_lshrrev_b32_e32 v12, 3, v33
	s_mov_b32 s22, exec_lo
	v_mov_b32_e32 v20, v10
	v_cmpx_gt_u32_e32 8, v33
; %bb.4212:                             ;   in Loop: Header=BB232_2076 Depth=1
	v_ffbh_u32_e32 v12, v10
	v_min_u32_e32 v12, 32, v12
	v_subrev_nc_u32_e32 v14, 28, v12
	v_sub_nc_u32_e32 v12, 29, v12
	v_lshlrev_b64 v[20:21], v14, v[10:11]
	v_and_b32_e32 v20, 7, v20
; %bb.4213:                             ;   in Loop: Header=BB232_2076 Depth=1
	s_or_b32 exec_lo, exec_lo, s22
	v_lshlrev_b32_sdwa v10, v78, v32 dst_sel:DWORD dst_unused:UNUSED_PAD src0_sel:DWORD src1_sel:BYTE_3
	v_lshlrev_b32_e32 v14, 20, v20
	v_lshl_add_u32 v12, v12, 23, 0x3c000000
	v_mov_b32_e32 v20, v11
	v_and_b32_e32 v10, 0x80000000, v10
	v_or3_b32 v21, v14, v10, v12
.LBB232_4214:                           ;   in Loop: Header=BB232_2076 Depth=1
	s_or_b32 exec_lo, exec_lo, s21
.LBB232_4215:                           ;   in Loop: Header=BB232_2076 Depth=1
	s_or_b32 exec_lo, exec_lo, s20
.LBB232_4216:                           ;   in Loop: Header=BB232_2076 Depth=1
	s_or_b32 exec_lo, exec_lo, s19
	v_or_b32_e32 v10, v19, v17
	v_or_b32_e32 v12, v18, v16
	;; [unrolled: 1-line block ×4, first 2 shown]
	v_mul_f32_e32 v32, v92, v10
	v_mul_f32_e32 v126, v73, v12
	;; [unrolled: 1-line block ×4, first 2 shown]
	s_and_saveexec_b32 s8, s6
; %bb.4217:                             ;   in Loop: Header=BB232_2076 Depth=1
	v_cndmask_b32_e32 v126, 0, v126, vcc_lo
	v_cndmask_b32_e64 v32, 0, v32, s4
	v_cndmask_b32_e64 v23, 0, v23, s5
	;; [unrolled: 1-line block ×3, first 2 shown]
; %bb.4218:                             ;   in Loop: Header=BB232_2076 Depth=1
	s_or_b32 exec_lo, exec_lo, s8
	buffer_load_dword v10, off, s[0:3], s32 offset:1908 ; 4-byte Folded Reload
	v_mov_b32_e32 v16, 0
	v_mov_b32_e32 v17, 0
	s_waitcnt vmcnt(0)
	v_add_co_u32 v0, s8, v0, v10
	v_add_co_ci_u32_e64 v1, null, 0, v1, s8
	flat_load_dword v33, v[0:1]
	v_mov_b32_e32 v0, 0
	v_mov_b32_e32 v1, 0
	s_waitcnt vmcnt(0) lgkmcnt(0)
	v_cmp_ne_u16_sdwa s8, v33, v11 src0_sel:BYTE_0 src1_sel:DWORD
	s_and_saveexec_b32 s19, s8
	s_cbranch_execz .LBB232_4226
; %bb.4219:                             ;   in Loop: Header=BB232_2076 Depth=1
	v_bfrev_b32_e32 v0, 1
	v_mov_b32_e32 v1, 0
	v_cmp_ne_u16_sdwa s8, v33, v74 src0_sel:BYTE_0 src1_sel:DWORD
	s_and_saveexec_b32 s20, s8
	s_cbranch_execz .LBB232_4225
; %bb.4220:                             ;   in Loop: Header=BB232_2076 Depth=1
	v_mov_b32_e32 v0, 0x7f800001
	v_and_b32_e32 v14, 0x7f, v33
	v_mov_b32_e32 v1, 0
	s_mov_b32 s21, exec_lo
	v_cmpx_ne_u32_e32 0x7f, v14
	s_cbranch_execz .LBB232_4224
; %bb.4221:                             ;   in Loop: Header=BB232_2076 Depth=1
	v_and_b32_e32 v10, 7, v33
	v_lshrrev_b32_e32 v12, 3, v14
	s_mov_b32 s22, exec_lo
	v_mov_b32_e32 v0, v10
	v_mov_b32_e32 v1, v11
	v_cmpx_gt_u32_e32 8, v14
; %bb.4222:                             ;   in Loop: Header=BB232_2076 Depth=1
	v_ffbh_u32_e32 v0, v10
	v_min_u32_e32 v12, 32, v0
	v_subrev_nc_u32_e32 v0, 28, v12
	v_sub_nc_u32_e32 v12, 29, v12
	v_lshlrev_b64 v[0:1], v0, v[10:11]
	v_and_b32_e32 v0, 7, v0
; %bb.4223:                             ;   in Loop: Header=BB232_2076 Depth=1
	s_or_b32 exec_lo, exec_lo, s22
	v_lshlrev_b32_e32 v1, 24, v33
	v_lshlrev_b32_e32 v0, 20, v0
	v_lshl_add_u32 v10, v12, 23, 0x3c000000
	v_and_b32_e32 v1, 0x80000000, v1
	v_or3_b32 v10, v0, v1, v10
	v_mov_b32_e32 v0, v10
	v_mov_b32_e32 v1, v11
.LBB232_4224:                           ;   in Loop: Header=BB232_2076 Depth=1
	s_or_b32 exec_lo, exec_lo, s21
.LBB232_4225:                           ;   in Loop: Header=BB232_2076 Depth=1
	s_or_b32 exec_lo, exec_lo, s20
.LBB232_4226:                           ;   in Loop: Header=BB232_2076 Depth=1
	s_or_b32 exec_lo, exec_lo, s19
	v_cmp_ne_u16_sdwa s8, v33, v11 src0_sel:BYTE_1 src1_sel:DWORD
	s_and_saveexec_b32 s19, s8
	s_cbranch_execz .LBB232_4234
; %bb.4227:                             ;   in Loop: Header=BB232_2076 Depth=1
	v_mov_b32_e32 v12, v11
	v_mov_b32_e32 v17, v13
	v_cmp_ne_u16_sdwa s8, v33, v74 src0_sel:BYTE_1 src1_sel:DWORD
	v_mov_b32_e32 v16, v12
	s_and_saveexec_b32 s20, s8
	s_cbranch_execz .LBB232_4233
; %bb.4228:                             ;   in Loop: Header=BB232_2076 Depth=1
	v_and_b32_sdwa v10, v75, v33 dst_sel:DWORD dst_unused:UNUSED_PAD src0_sel:DWORD src1_sel:BYTE_1
	v_mov_b32_e32 v14, v11
	v_mov_b32_e32 v17, v15
	s_mov_b32 s21, exec_lo
	v_and_b32_e32 v18, 0x7f, v10
	v_mov_b32_e32 v16, v14
	v_cmpx_ne_u32_e32 0x7f, v18
	s_cbranch_execz .LBB232_4232
; %bb.4229:                             ;   in Loop: Header=BB232_2076 Depth=1
	v_and_b32_e32 v10, 7, v10
	v_mov_b32_e32 v17, v11
	v_lshrrev_b32_e32 v12, 3, v18
	s_mov_b32 s22, exec_lo
	v_mov_b32_e32 v16, v10
	v_cmpx_gt_u32_e32 8, v18
; %bb.4230:                             ;   in Loop: Header=BB232_2076 Depth=1
	v_ffbh_u32_e32 v12, v10
	v_min_u32_e32 v12, 32, v12
	v_subrev_nc_u32_e32 v14, 28, v12
	v_sub_nc_u32_e32 v12, 29, v12
	v_lshlrev_b64 v[16:17], v14, v[10:11]
	v_and_b32_e32 v16, 7, v16
; %bb.4231:                             ;   in Loop: Header=BB232_2076 Depth=1
	s_or_b32 exec_lo, exec_lo, s22
	v_lshlrev_b32_e32 v10, 16, v33
	v_lshlrev_b32_e32 v14, 20, v16
	v_lshl_add_u32 v12, v12, 23, 0x3c000000
	v_mov_b32_e32 v16, v11
	v_and_b32_e32 v10, 0x80000000, v10
	v_or3_b32 v17, v14, v10, v12
.LBB232_4232:                           ;   in Loop: Header=BB232_2076 Depth=1
	s_or_b32 exec_lo, exec_lo, s21
.LBB232_4233:                           ;   in Loop: Header=BB232_2076 Depth=1
	s_or_b32 exec_lo, exec_lo, s20
.LBB232_4234:                           ;   in Loop: Header=BB232_2076 Depth=1
	s_or_b32 exec_lo, exec_lo, s19
	v_mov_b32_e32 v18, 0
	v_mov_b32_e32 v20, 0
	v_and_b32_sdwa v10, v33, v76 dst_sel:DWORD dst_unused:UNUSED_PAD src0_sel:WORD_1 src1_sel:DWORD
	v_mov_b32_e32 v19, 0
	v_mov_b32_e32 v21, 0
	s_mov_b32 s19, exec_lo
	v_cmpx_ne_u16_e32 0, v10
	s_cbranch_execz .LBB232_4242
; %bb.4235:                             ;   in Loop: Header=BB232_2076 Depth=1
	v_bfrev_b32_e32 v20, 1
	v_mov_b32_e32 v21, 0
	s_mov_b32 s20, exec_lo
	v_cmpx_ne_u16_e32 0x80, v10
	s_cbranch_execz .LBB232_4241
; %bb.4236:                             ;   in Loop: Header=BB232_2076 Depth=1
	v_mov_b32_e32 v20, 0x7f800001
	v_bfe_u32 v14, v33, 16, 7
	v_mov_b32_e32 v21, 0
	s_mov_b32 s21, exec_lo
	v_cmpx_ne_u32_e32 0x7f, v14
	s_cbranch_execz .LBB232_4240
; %bb.4237:                             ;   in Loop: Header=BB232_2076 Depth=1
	v_and_b32_sdwa v10, v33, v77 dst_sel:DWORD dst_unused:UNUSED_PAD src0_sel:WORD_1 src1_sel:DWORD
	v_mov_b32_e32 v21, v11
	v_lshrrev_b32_e32 v12, 3, v14
	s_mov_b32 s22, exec_lo
	v_mov_b32_e32 v20, v10
	v_cmpx_gt_u32_e32 8, v14
; %bb.4238:                             ;   in Loop: Header=BB232_2076 Depth=1
	v_ffbh_u32_e32 v12, v10
	v_min_u32_e32 v12, 32, v12
	v_subrev_nc_u32_e32 v14, 28, v12
	v_sub_nc_u32_e32 v12, 29, v12
	v_lshlrev_b64 v[20:21], v14, v[10:11]
	v_and_b32_e32 v20, 7, v20
; %bb.4239:                             ;   in Loop: Header=BB232_2076 Depth=1
	s_or_b32 exec_lo, exec_lo, s22
	v_lshlrev_b32_sdwa v10, v78, v33 dst_sel:DWORD dst_unused:UNUSED_PAD src0_sel:DWORD src1_sel:WORD_1
	v_lshlrev_b32_e32 v14, 20, v20
	v_lshl_add_u32 v12, v12, 23, 0x3c000000
	v_and_b32_e32 v10, 0x80000000, v10
	v_or3_b32 v10, v14, v10, v12
	v_mov_b32_e32 v21, v11
	v_mov_b32_e32 v20, v10
.LBB232_4240:                           ;   in Loop: Header=BB232_2076 Depth=1
	s_or_b32 exec_lo, exec_lo, s21
.LBB232_4241:                           ;   in Loop: Header=BB232_2076 Depth=1
	s_or_b32 exec_lo, exec_lo, s20
.LBB232_4242:                           ;   in Loop: Header=BB232_2076 Depth=1
	s_or_b32 exec_lo, exec_lo, s19
	s_mov_b32 s19, exec_lo
	v_cmpx_lt_u32_e32 0xffffff, v33
	s_cbranch_execz .LBB232_4250
; %bb.4243:                             ;   in Loop: Header=BB232_2076 Depth=1
	v_mov_b32_e32 v12, v11
	v_mov_b32_e32 v19, v13
	v_cmp_ne_u32_sdwa s8, v33, v74 src0_sel:BYTE_3 src1_sel:DWORD
	v_mov_b32_e32 v18, v12
	s_and_saveexec_b32 s20, s8
	s_cbranch_execz .LBB232_4249
; %bb.4244:                             ;   in Loop: Header=BB232_2076 Depth=1
	v_mov_b32_e32 v14, v11
	v_mov_b32_e32 v19, v15
	v_bfe_u32 v34, v33, 24, 7
	s_mov_b32 s21, exec_lo
	v_mov_b32_e32 v18, v14
	v_cmpx_ne_u32_e32 0x7f, v34
	s_cbranch_execz .LBB232_4248
; %bb.4245:                             ;   in Loop: Header=BB232_2076 Depth=1
	v_and_b32_sdwa v10, v33, v77 dst_sel:DWORD dst_unused:UNUSED_PAD src0_sel:BYTE_3 src1_sel:DWORD
	v_mov_b32_e32 v19, v11
	v_lshrrev_b32_e32 v12, 3, v34
	s_mov_b32 s22, exec_lo
	v_mov_b32_e32 v18, v10
	v_cmpx_gt_u32_e32 8, v34
; %bb.4246:                             ;   in Loop: Header=BB232_2076 Depth=1
	v_ffbh_u32_e32 v12, v10
	v_min_u32_e32 v12, 32, v12
	v_subrev_nc_u32_e32 v14, 28, v12
	v_sub_nc_u32_e32 v12, 29, v12
	v_lshlrev_b64 v[18:19], v14, v[10:11]
	v_and_b32_e32 v18, 7, v18
; %bb.4247:                             ;   in Loop: Header=BB232_2076 Depth=1
	s_or_b32 exec_lo, exec_lo, s22
	v_lshlrev_b32_sdwa v10, v78, v33 dst_sel:DWORD dst_unused:UNUSED_PAD src0_sel:DWORD src1_sel:BYTE_3
	v_lshlrev_b32_e32 v14, 20, v18
	v_lshl_add_u32 v12, v12, 23, 0x3c000000
	v_mov_b32_e32 v18, v11
	v_and_b32_e32 v10, 0x80000000, v10
	v_or3_b32 v19, v14, v10, v12
.LBB232_4248:                           ;   in Loop: Header=BB232_2076 Depth=1
	s_or_b32 exec_lo, exec_lo, s21
.LBB232_4249:                           ;   in Loop: Header=BB232_2076 Depth=1
	s_or_b32 exec_lo, exec_lo, s20
.LBB232_4250:                           ;   in Loop: Header=BB232_2076 Depth=1
	s_or_b32 exec_lo, exec_lo, s19
	v_or_b32_e32 v1, v17, v1
	v_or_b32_e32 v0, v16, v0
	;; [unrolled: 1-line block ×4, first 2 shown]
	v_mul_f32_e32 v12, v92, v1
	v_mul_f32_e32 v10, v73, v0
	;; [unrolled: 1-line block ×4, first 2 shown]
	s_and_saveexec_b32 s8, s6
	s_cbranch_execz .LBB232_2075
; %bb.4251:                             ;   in Loop: Header=BB232_2076 Depth=1
	v_cndmask_b32_e32 v10, 0, v10, vcc_lo
	v_cndmask_b32_e64 v12, 0, v12, s4
	v_cndmask_b32_e64 v1, 0, v1, s5
	;; [unrolled: 1-line block ×3, first 2 shown]
	s_branch .LBB232_2075
.LBB232_4252:
	s_or_b32 exec_lo, exec_lo, s18
	s_clause 0x3e
	buffer_load_dword v58, off, s[0:3], s32 offset:1912
	buffer_load_dword v42, off, s[0:3], s32 offset:1916
	buffer_load_dword v112, off, s[0:3], s32 offset:1920
	buffer_load_dword v59, off, s[0:3], s32 offset:1924
	buffer_load_dword v40, off, s[0:3], s32 offset:1444
	buffer_load_dword v119, off, s[0:3], s32 offset:1452
	buffer_load_dword v118, off, s[0:3], s32 offset:1460
	buffer_load_dword v117, off, s[0:3], s32 offset:1468
	buffer_load_dword v116, off, s[0:3], s32 offset:1476
	buffer_load_dword v43, off, s[0:3], s32 offset:1484
	buffer_load_dword v44, off, s[0:3], s32 offset:1492
	buffer_load_dword v115, off, s[0:3], s32 offset:1500
	buffer_load_dword v114, off, s[0:3], s32 offset:1508
	buffer_load_dword v102, off, s[0:3], s32 offset:1516
	buffer_load_dword v101, off, s[0:3], s32 offset:1524
	buffer_load_dword v103, off, s[0:3], s32 offset:1532
	buffer_load_dword v41, off, s[0:3], s32 offset:1540
	buffer_load_dword v98, off, s[0:3], s32 offset:1548
	buffer_load_dword v99, off, s[0:3], s32 offset:1556
	buffer_load_dword v100, off, s[0:3], s32 offset:1564
	buffer_load_dword v84, off, s[0:3], s32 offset:1572
	buffer_load_dword v85, off, s[0:3], s32 offset:1580
	buffer_load_dword v86, off, s[0:3], s32 offset:1588
	buffer_load_dword v81, off, s[0:3], s32 offset:1596
	buffer_load_dword v80, off, s[0:3], s32 offset:1604
	buffer_load_dword v71, off, s[0:3], s32 offset:1612
	buffer_load_dword v70, off, s[0:3], s32 offset:1620
	buffer_load_dword v82, off, s[0:3], s32 offset:1628
	buffer_load_dword v83, off, s[0:3], s32 offset:1636
	buffer_load_dword v65, off, s[0:3], s32 offset:1644
	buffer_load_dword v66, off, s[0:3], s32 offset:1652
	buffer_load_dword v67, off, s[0:3], s32 offset:1660
	buffer_load_dword v64, off, s[0:3], s32 offset:1668
	buffer_load_dword v55, off, s[0:3], s32 offset:1676
	buffer_load_dword v68, off, s[0:3], s32 offset:1684
	buffer_load_dword v54, off, s[0:3], s32 offset:1692
	buffer_load_dword v52, off, s[0:3], s32 offset:1700
	buffer_load_dword v51, off, s[0:3], s32 offset:1708
	buffer_load_dword v39, off, s[0:3], s32 offset:1716
	buffer_load_dword v48, off, s[0:3], s32 offset:1724
	buffer_load_dword v49, off, s[0:3], s32 offset:1732
	buffer_load_dword v50, off, s[0:3], s32 offset:1740
	buffer_load_dword v53, off, s[0:3], s32 offset:1748
	buffer_load_dword v69, off, s[0:3], s32 offset:1756
	buffer_load_dword v87, off, s[0:3], s32 offset:1764
	buffer_load_dword v36, off, s[0:3], s32 offset:1772
	buffer_load_dword v37, off, s[0:3], s32 offset:1780
	buffer_load_dword v38, off, s[0:3], s32 offset:1788
	buffer_load_dword v97, off, s[0:3], s32 offset:1796
	buffer_load_dword v45, off, s[0:3], s32 offset:1812
	buffer_load_dword v46, off, s[0:3], s32 offset:1816
	buffer_load_dword v47, off, s[0:3], s32 offset:1824
	buffer_load_dword v56, off, s[0:3], s32 offset:1828
	buffer_load_dword v32, off, s[0:3], s32 offset:1832
	buffer_load_dword v19, off, s[0:3], s32 offset:1836
	buffer_load_dword v20, off, s[0:3], s32 offset:1840
	buffer_load_dword v21, off, s[0:3], s32 offset:1844
	buffer_load_dword v22, off, s[0:3], s32 offset:1848
	buffer_load_dword v23, off, s[0:3], s32 offset:1852
	buffer_load_dword v24, off, s[0:3], s32 offset:1856
	buffer_load_dword v33, off, s[0:3], s32 offset:1860
	buffer_load_dword v25, off, s[0:3], s32 offset:1864
	buffer_load_dword v18, off, s[0:3], s32 offset:1868
	s_clause 0x1
	buffer_load_dword v17, off, s[0:3], s32 offset:1872
	buffer_load_dword v26, off, s[0:3], s32 offset:1876
	v_mov_b32_e32 v0, s16
	v_mov_b32_e32 v1, s17
.LBB232_4253:
	s_or_b32 exec_lo, exec_lo, s15
	s_waitcnt vmcnt(62)
	ds_bpermute_b32 v2, v112, v8
	s_waitcnt vmcnt(0)
	ds_bpermute_b32 v3, v112, v26
	ds_bpermute_b32 v4, v112, v17
	;; [unrolled: 1-line block ×5, first 2 shown]
	v_mov_b32_e32 v15, v8
	ds_bpermute_b32 v8, v112, v33
	ds_bpermute_b32 v13, v112, v20
	;; [unrolled: 1-line block ×7, first 2 shown]
	v_mov_b32_e32 v57, v16
	ds_bpermute_b32 v30, v112, v32
	s_getpc_b64 s[4:5]
	s_add_u32 s4, s4, llvm.amdgcn.dynlds.offset.table@rel32@lo+4
	s_addc_u32 s5, s5, llvm.amdgcn.dynlds.offset.table@rel32@hi+12
	s_waitcnt lgkmcnt(0)
	s_waitcnt_vscnt null, 0x0
	s_barrier
	buffer_gl0_inv
	v_add_f32_e32 v15, v15, v2
	v_add_f32_e32 v16, v26, v3
	v_add_f32_e32 v17, v17, v4
	v_add_f32_e32 v18, v18, v6
	v_add_f32_e32 v25, v25, v7
	ds_bpermute_b32 v26, v42, v15
	ds_bpermute_b32 v27, v42, v16
	;; [unrolled: 1-line block ×5, first 2 shown]
	v_add_f32_e32 v3, v24, v9
	v_add_f32_e32 v2, v33, v8
	;; [unrolled: 1-line block ×5, first 2 shown]
	ds_bpermute_b32 v20, v42, v3
	v_add_f32_e32 v8, v19, v14
	ds_bpermute_b32 v19, v42, v2
	ds_bpermute_b32 v22, v42, v11
	v_add_f32_e32 v4, v23, v10
	ds_bpermute_b32 v23, v42, v12
	ds_bpermute_b32 v24, v42, v13
	;; [unrolled: 1-line block ×3, first 2 shown]
	v_add_f32_e32 v9, v32, v30
	ds_bpermute_b32 v21, v42, v4
	s_waitcnt lgkmcnt(11)
	v_add_f32_e32 v14, v15, v26
	s_waitcnt lgkmcnt(10)
	v_add_f32_e32 v15, v16, v27
	;; [unrolled: 2-line block ×5, first 2 shown]
	ds_bpermute_b32 v25, v58, v14
	ds_bpermute_b32 v26, v58, v15
	;; [unrolled: 1-line block ×5, first 2 shown]
	s_waitcnt lgkmcnt(11)
	v_add_f32_e32 v20, v3, v20
	v_lshlrev_b64 v[30:31], 2, v[0:1]
	ds_bpermute_b32 v7, v112, v47
	ds_bpermute_b32 v27, v58, v16
	;; [unrolled: 1-line block ×4, first 2 shown]
	s_waitcnt lgkmcnt(14)
	v_add_f32_e32 v19, v2, v19
	ds_bpermute_b32 v34, v58, v20
	s_waitcnt lgkmcnt(14)
	v_add_f32_e32 v22, v11, v22
	v_add_co_u32 v11, vcc_lo, s4, v30
	s_waitcnt lgkmcnt(13)
	v_add_f32_e32 v23, v12, v23
	s_waitcnt lgkmcnt(12)
	v_add_f32_e32 v13, v13, v24
	ds_bpermute_b32 v24, v58, v19
	v_add_co_ci_u32_e64 v12, null, s5, v31, vcc_lo
	s_waitcnt lgkmcnt(11)
	v_add_f32_e32 v21, v4, v21
	s_waitcnt lgkmcnt(10)
	v_add_f32_e32 v4, v14, v25
	ds_bpermute_b32 v14, v112, v45
	global_load_dword v96, v[11:12], off
	ds_bpermute_b32 v11, v112, v97
	v_mov_b32_e32 v113, v35
	ds_bpermute_b32 v35, v58, v21
	s_waitcnt lgkmcnt(12)
	v_add_f32_e32 v3, v15, v26
	s_waitcnt lgkmcnt(10)
	v_add_f32_e32 v1, v17, v28
	;; [unrolled: 2-line block ×3, first 2 shown]
	ds_bpermute_b32 v8, v58, v22
	ds_bpermute_b32 v15, v58, v23
	v_add_f32_e32 v17, v57, v5
	v_add_f32_e32 v25, v56, v6
	;; [unrolled: 1-line block ×3, first 2 shown]
	s_waitcnt lgkmcnt(9)
	v_add_f32_e32 v2, v16, v27
	s_waitcnt lgkmcnt(8)
	v_add_f32_e32 v0, v18, v29
	ds_bpermute_b32 v16, v58, v13
	ds_bpermute_b32 v26, v112, v38
	v_add_f32_e32 v27, v47, v7
	ds_bpermute_b32 v28, v42, v17
	s_waitcnt lgkmcnt(10)
	v_add_f32_e32 v29, v9, v33
	ds_bpermute_b32 v30, v42, v25
	s_waitcnt lgkmcnt(10)
	v_add_f32_e32 v6, v20, v34
	ds_bpermute_b32 v20, v42, v31
	ds_bpermute_b32 v18, v58, v12
	;; [unrolled: 1-line block ×3, first 2 shown]
	s_waitcnt lgkmcnt(12)
	v_add_f32_e32 v5, v19, v24
	ds_bpermute_b32 v19, v58, v29
	s_waitcnt lgkmcnt(12)
	v_add_f32_e32 v14, v45, v14
	s_waitcnt lgkmcnt(11)
	v_add_f32_e32 v24, v97, v11
	;; [unrolled: 2-line block ×5, first 2 shown]
	ds_bpermute_b32 v15, v42, v14
	ds_bpermute_b32 v21, v42, v24
	;; [unrolled: 1-line block ×4, first 2 shown]
	s_waitcnt lgkmcnt(10)
	v_add_f32_e32 v26, v38, v26
	v_add_f32_e32 v10, v13, v16
	s_waitcnt lgkmcnt(9)
	v_add_f32_e32 v13, v17, v28
	ds_bpermute_b32 v28, v112, v87
	s_waitcnt lgkmcnt(9)
	v_add_f32_e32 v16, v25, v30
	ds_bpermute_b32 v30, v112, v53
	s_waitcnt lgkmcnt(9)
	v_add_f32_e32 v20, v31, v20
	s_waitcnt lgkmcnt(8)
	v_add_f32_e32 v11, v12, v18
	ds_bpermute_b32 v17, v42, v26
	s_waitcnt lgkmcnt(8)
	v_add_f32_e32 v18, v27, v32
	ds_bpermute_b32 v25, v58, v13
	;; [unrolled: 3-line block ×3, first 2 shown]
	ds_bpermute_b32 v29, v112, v69
	ds_bpermute_b32 v31, v58, v20
	;; [unrolled: 1-line block ×3, first 2 shown]
	s_waitcnt lgkmcnt(11)
	v_add_f32_e32 v32, v14, v15
	s_waitcnt lgkmcnt(10)
	v_add_f32_e32 v21, v24, v21
	;; [unrolled: 2-line block ×4, first 2 shown]
	ds_bpermute_b32 v24, v112, v50
	ds_bpermute_b32 v33, v58, v32
	;; [unrolled: 1-line block ×6, first 2 shown]
	s_waitcnt lgkmcnt(13)
	v_add_f32_e32 v28, v87, v28
	s_waitcnt lgkmcnt(12)
	v_add_f32_e32 v30, v53, v30
	;; [unrolled: 2-line block ×3, first 2 shown]
	s_mov_b32 s5, exec_lo
	s_waitcnt lgkmcnt(10)
	v_add_f32_e32 v13, v13, v25
	ds_bpermute_b32 v25, v112, v48
	s_waitcnt lgkmcnt(10)
	v_add_f32_e32 v14, v16, v19
	ds_bpermute_b32 v19, v112, v39
	s_waitcnt lgkmcnt(10)
	v_add_f32_e32 v29, v69, v29
	s_waitcnt lgkmcnt(9)
	v_add_f32_e32 v15, v20, v31
	ds_bpermute_b32 v20, v42, v28
	ds_bpermute_b32 v31, v42, v30
	;; [unrolled: 1-line block ×3, first 2 shown]
	s_waitcnt lgkmcnt(11)
	v_add_f32_e32 v16, v18, v27
	ds_bpermute_b32 v27, v42, v29
	s_waitcnt lgkmcnt(11)
	v_add_f32_e32 v24, v50, v24
	s_waitcnt lgkmcnt(10)
	v_add_f32_e32 v18, v32, v33
	;; [unrolled: 2-line block ×5, first 2 shown]
	ds_bpermute_b32 v23, v42, v24
	s_waitcnt lgkmcnt(7)
	v_add_f32_e32 v32, v49, v37
	ds_bpermute_b32 v33, v112, v51
	ds_bpermute_b32 v34, v112, v52
	;; [unrolled: 1-line block ×3, first 2 shown]
	s_waitcnt lgkmcnt(9)
	v_add_f32_e32 v25, v48, v25
	ds_bpermute_b32 v36, v42, v32
	s_waitcnt lgkmcnt(9)
	v_add_f32_e32 v35, v39, v19
	ds_bpermute_b32 v48, v112, v55
	ds_bpermute_b32 v39, v58, v22
	s_waitcnt lgkmcnt(10)
	v_add_f32_e32 v28, v28, v20
	s_waitcnt lgkmcnt(9)
	v_add_f32_e32 v30, v30, v31
	ds_bpermute_b32 v31, v112, v68
	s_waitcnt lgkmcnt(9)
	v_add_f32_e32 v19, v26, v38
	ds_bpermute_b32 v26, v42, v25
	ds_bpermute_b32 v38, v42, v35
	s_waitcnt lgkmcnt(10)
	v_add_f32_e32 v27, v29, v27
	ds_bpermute_b32 v29, v112, v54
	ds_bpermute_b32 v49, v58, v28
	v_cmp_eq_u32_e32 vcc_lo, 0, v59
	s_waitcnt lgkmcnt(11)
	v_add_f32_e32 v23, v24, v23
	ds_bpermute_b32 v24, v58, v30
	s_waitcnt lgkmcnt(11)
	v_add_f32_e32 v33, v51, v33
	ds_bpermute_b32 v51, v112, v64
	;; [unrolled: 3-line block ×5, first 2 shown]
	ds_bpermute_b32 v53, v42, v34
	v_add_f32_e32 v20, v21, v37
	s_waitcnt lgkmcnt(10)
	v_add_f32_e32 v31, v68, v31
	ds_bpermute_b32 v37, v58, v32
	s_waitcnt lgkmcnt(10)
	v_add_f32_e32 v26, v25, v26
	s_waitcnt lgkmcnt(9)
	v_add_f32_e32 v35, v35, v38
	v_add_f32_e32 v21, v22, v39
	s_waitcnt lgkmcnt(8)
	v_add_f32_e32 v29, v54, v29
	s_waitcnt lgkmcnt(7)
	v_add_f32_e32 v22, v28, v49
	ds_bpermute_b32 v49, v42, v31
	ds_bpermute_b32 v55, v42, v48
	;; [unrolled: 1-line block ×5, first 2 shown]
	s_waitcnt lgkmcnt(10)
	v_add_f32_e32 v51, v64, v51
	v_add_f32_e32 v24, v30, v24
	s_waitcnt lgkmcnt(9)
	v_add_f32_e32 v23, v23, v52
	s_waitcnt lgkmcnt(8)
	v_add_f32_e32 v30, v33, v36
	ds_bpermute_b32 v36, v112, v67
	ds_bpermute_b32 v52, v112, v65
	s_waitcnt lgkmcnt(9)
	v_add_f32_e32 v25, v27, v50
	ds_bpermute_b32 v33, v42, v51
	s_waitcnt lgkmcnt(9)
	v_add_f32_e32 v34, v34, v53
	ds_bpermute_b32 v50, v112, v66
	s_waitcnt lgkmcnt(9)
	v_add_f32_e32 v28, v32, v37
	ds_bpermute_b32 v37, v112, v83
	ds_bpermute_b32 v32, v58, v30
	;; [unrolled: 1-line block ×3, first 2 shown]
	s_waitcnt lgkmcnt(11)
	v_add_f32_e32 v49, v31, v49
	s_waitcnt lgkmcnt(10)
	v_add_f32_e32 v48, v48, v55
	ds_bpermute_b32 v55, v112, v80
	s_waitcnt lgkmcnt(10)
	v_add_f32_e32 v27, v26, v38
	s_waitcnt lgkmcnt(9)
	v_add_f32_e32 v26, v35, v54
	ds_bpermute_b32 v35, v58, v34
	s_waitcnt lgkmcnt(9)
	v_add_f32_e32 v38, v29, v39
	ds_bpermute_b32 v39, v112, v82
	ds_bpermute_b32 v31, v112, v70
	;; [unrolled: 1-line block ×3, first 2 shown]
	s_waitcnt lgkmcnt(11)
	v_add_f32_e32 v36, v67, v36
	ds_bpermute_b32 v54, v58, v38
	s_waitcnt lgkmcnt(11)
	v_add_f32_e32 v52, v65, v52
	s_waitcnt lgkmcnt(10)
	v_add_f32_e32 v33, v51, v33
	ds_bpermute_b32 v51, v58, v48
	s_waitcnt lgkmcnt(10)
	v_add_f32_e32 v50, v66, v50
	ds_bpermute_b32 v67, v42, v36
	ds_bpermute_b32 v69, v42, v52
	s_waitcnt lgkmcnt(11)
	v_add_f32_e32 v37, v83, v37
	ds_bpermute_b32 v66, v112, v81
	ds_bpermute_b32 v68, v42, v50
	s_waitcnt lgkmcnt(12)
	v_add_f32_e32 v29, v30, v32
	s_waitcnt lgkmcnt(10)
	v_add_f32_e32 v55, v80, v55
	v_add_f32_e32 v53, v71, v53
	ds_bpermute_b32 v65, v58, v33
	s_waitcnt lgkmcnt(10)
	v_add_f32_e32 v30, v34, v35
	s_waitcnt lgkmcnt(9)
	v_add_f32_e32 v39, v82, v39
	s_waitcnt lgkmcnt(8)
	v_add_f32_e32 v35, v70, v31
	ds_bpermute_b32 v70, v42, v37
	s_waitcnt lgkmcnt(8)
	v_add_f32_e32 v32, v49, v64
	ds_bpermute_b32 v49, v42, v55
	ds_bpermute_b32 v71, v42, v39
	s_waitcnt lgkmcnt(9)
	v_add_f32_e32 v31, v38, v54
	ds_bpermute_b32 v38, v42, v53
	s_waitcnt lgkmcnt(9)
	v_add_f32_e32 v34, v48, v51
	s_waitcnt lgkmcnt(8)
	v_add_f32_e32 v36, v36, v67
	;; [unrolled: 2-line block ×3, first 2 shown]
	ds_bpermute_b32 v80, v42, v35
	s_waitcnt lgkmcnt(7)
	v_add_f32_e32 v48, v81, v66
	s_waitcnt lgkmcnt(6)
	v_add_f32_e32 v50, v50, v68
	ds_bpermute_b32 v66, v58, v36
	ds_bpermute_b32 v68, v58, v51
	ds_bpermute_b32 v52, v112, v86
	ds_bpermute_b32 v54, v42, v48
	ds_bpermute_b32 v64, v112, v85
	ds_bpermute_b32 v67, v58, v50
	s_waitcnt lgkmcnt(11)
	v_add_f32_e32 v33, v33, v65
	ds_bpermute_b32 v65, v112, v84
	s_waitcnt lgkmcnt(11)
	v_add_f32_e32 v69, v37, v70
	ds_bpermute_b32 v37, v112, v100
	;; [unrolled: 3-line block ×3, first 2 shown]
	s_waitcnt lgkmcnt(11)
	v_add_f32_e32 v39, v39, v71
	s_waitcnt lgkmcnt(10)
	v_add_f32_e32 v53, v53, v38
	ds_bpermute_b32 v38, v112, v99
	ds_bpermute_b32 v71, v58, v69
	;; [unrolled: 1-line block ×3, first 2 shown]
	s_waitcnt lgkmcnt(12)
	v_add_f32_e32 v70, v35, v80
	ds_bpermute_b32 v82, v58, v53
	ds_bpermute_b32 v80, v58, v39
	s_waitcnt lgkmcnt(13)
	v_add_f32_e32 v35, v36, v66
	s_waitcnt lgkmcnt(11)
	v_add_f32_e32 v52, v86, v52
	;; [unrolled: 2-line block ×5, first 2 shown]
	ds_bpermute_b32 v81, v58, v70
	s_waitcnt lgkmcnt(8)
	v_add_f32_e32 v65, v84, v65
	ds_bpermute_b32 v84, v112, v41
	s_waitcnt lgkmcnt(8)
	v_add_f32_e32 v66, v100, v37
	v_add_f32_e32 v37, v51, v68
	s_waitcnt lgkmcnt(7)
	v_add_f32_e32 v68, v98, v49
	ds_bpermute_b32 v85, v42, v52
	ds_bpermute_b32 v86, v58, v54
	s_waitcnt lgkmcnt(8)
	v_add_f32_e32 v67, v99, v38
	ds_bpermute_b32 v99, v112, v103
	s_waitcnt lgkmcnt(8)
	v_add_f32_e32 v38, v69, v71
	ds_bpermute_b32 v69, v42, v68
	ds_bpermute_b32 v87, v42, v64
	s_waitcnt lgkmcnt(8)
	v_add_f32_e32 v48, v53, v82
	ds_bpermute_b32 v98, v42, v66
	s_waitcnt lgkmcnt(8)
	v_add_f32_e32 v50, v39, v80
	v_add_f32_e32 v39, v55, v83
	ds_bpermute_b32 v83, v112, v114
	ds_bpermute_b32 v100, v42, v67
	ds_bpermute_b32 v80, v112, v102
	s_waitcnt lgkmcnt(10)
	v_add_f32_e32 v49, v70, v81
	ds_bpermute_b32 v70, v112, v101
	s_waitcnt lgkmcnt(10)
	v_add_f32_e32 v53, v41, v84
	v_mov_b32_e32 v41, v113
	ds_bpermute_b32 v97, v42, v65
	s_waitcnt lgkmcnt(10)
	v_add_f32_e32 v52, v52, v85
	s_waitcnt lgkmcnt(9)
	v_add_f32_e32 v51, v54, v86
	ds_bpermute_b32 v85, v112, v44
	s_waitcnt lgkmcnt(9)
	v_add_f32_e32 v82, v103, v99
	s_waitcnt lgkmcnt(8)
	v_add_f32_e32 v68, v68, v69
	ds_bpermute_b32 v69, v112, v115
	s_waitcnt lgkmcnt(8)
	v_add_f32_e32 v54, v64, v87
	ds_bpermute_b32 v84, v42, v82
	ds_bpermute_b32 v87, v112, v43
	s_waitcnt lgkmcnt(9)
	v_add_f32_e32 v66, v66, v98
	ds_bpermute_b32 v98, v112, v116
	s_waitcnt lgkmcnt(9)
	v_add_f32_e32 v83, v114, v83
	ds_bpermute_b32 v99, v58, v68
	ds_bpermute_b32 v64, v42, v53
	;; [unrolled: 1-line block ×3, first 2 shown]
	s_waitcnt lgkmcnt(11)
	v_add_f32_e32 v67, v67, v100
	ds_bpermute_b32 v100, v112, v117
	s_waitcnt lgkmcnt(10)
	v_add_f32_e32 v70, v101, v70
	ds_bpermute_b32 v101, v112, v119
	v_add_f32_e32 v80, v102, v80
	ds_bpermute_b32 v102, v112, v40
	s_waitcnt lgkmcnt(11)
	v_add_f32_e32 v55, v65, v97
	ds_bpermute_b32 v65, v58, v52
	ds_bpermute_b32 v71, v58, v54
	ds_bpermute_b32 v114, v42, v80
	s_waitcnt lgkmcnt(12)
	v_add_f32_e32 v69, v115, v69
	ds_bpermute_b32 v81, v58, v55
	s_waitcnt lgkmcnt(12)
	v_add_f32_e32 v115, v82, v84
	v_add_f32_e32 v82, v44, v85
	s_waitcnt lgkmcnt(11)
	v_add_f32_e32 v85, v43, v87
	ds_bpermute_b32 v87, v42, v69
	ds_bpermute_b32 v84, v42, v83
	s_waitcnt lgkmcnt(12)
	v_add_f32_e32 v98, v116, v98
	ds_bpermute_b32 v116, v42, v82
	s_waitcnt lgkmcnt(11)
	v_add_f32_e32 v64, v53, v64
	ds_bpermute_b32 v53, v112, v118
	ds_bpermute_b32 v112, v112, v113
	;; [unrolled: 1-line block ×3, first 2 shown]
	s_waitcnt lgkmcnt(12)
	v_add_f32_e32 v100, v117, v100
	s_waitcnt lgkmcnt(11)
	v_add_f32_e32 v101, v119, v101
	s_waitcnt lgkmcnt(10)
	v_add_f32_e32 v102, v40, v102
	ds_bpermute_b32 v117, v42, v85
	ds_bpermute_b32 v97, v58, v67
	;; [unrolled: 1-line block ×3, first 2 shown]
	s_waitcnt lgkmcnt(10)
	v_add_f32_e32 v114, v80, v114
	ds_bpermute_b32 v103, v58, v64
	v_add_f32_e32 v52, v52, v65
	s_waitcnt lgkmcnt(9)
	v_add_f32_e32 v87, v69, v87
	s_waitcnt lgkmcnt(8)
	v_add_f32_e32 v43, v83, v84
	v_add_f32_e32 v84, v66, v86
	buffer_load_dword v86, off, s[0:3], s32 offset:3092 ; 4-byte Folded Reload
	s_waitcnt lgkmcnt(7)
	v_add_f32_e32 v116, v82, v116
	ds_bpermute_b32 v46, v58, v87
	v_add_f32_e32 v82, v68, v99
	buffer_load_dword v99, off, s[0:3], s32 offset:3096 ; 4-byte Folded Reload
	s_waitcnt lgkmcnt(7)
	v_add_f32_e32 v53, v118, v53
	ds_bpermute_b32 v118, v42, v98
	s_waitcnt lgkmcnt(7)
	v_add_f32_e32 v112, v41, v112
	ds_bpermute_b32 v41, v42, v101
	s_waitcnt lgkmcnt(7)
	v_add_f32_e32 v70, v70, v113
	ds_bpermute_b32 v40, v42, v53
	ds_bpermute_b32 v113, v42, v102
	ds_bpermute_b32 v80, v42, v112
	s_waitcnt lgkmcnt(9)
	v_add_f32_e32 v117, v85, v117
	s_waitcnt lgkmcnt(7)
	v_add_f32_e32 v100, v100, v119
	ds_bpermute_b32 v42, v58, v115
	ds_bpermute_b32 v44, v58, v70
	;; [unrolled: 1-line block ×5, first 2 shown]
	v_add_f32_e32 v85, v55, v81
	v_add_f32_e32 v83, v67, v97
	s_waitcnt lgkmcnt(10)
	v_add_f32_e32 v68, v87, v46
	buffer_load_dword v87, off, s[0:3], s32 offset:3088 ; 4-byte Folded Reload
	v_add_f32_e32 v81, v64, v103
	s_waitcnt lgkmcnt(9)
	v_add_f32_e32 v98, v98, v118
	ds_bpermute_b32 v118, v58, v116
	s_waitcnt lgkmcnt(9)
	v_add_f32_e32 v101, v101, v41
	ds_bpermute_b32 v41, v58, v100
	;; [unrolled: 3-line block ×3, first 2 shown]
	s_waitcnt lgkmcnt(9)
	v_add_f32_e32 v102, v102, v113
	s_waitcnt lgkmcnt(8)
	v_add_f32_e32 v112, v112, v80
	ds_bpermute_b32 v56, v58, v101
	ds_bpermute_b32 v113, v58, v40
	v_add_f32_e32 v53, v54, v71
	ds_bpermute_b32 v57, v58, v102
	ds_bpermute_b32 v58, v58, v112
	s_waitcnt lgkmcnt(11)
	v_add_f32_e32 v80, v115, v42
	s_waitcnt lgkmcnt(10)
	v_add_f32_e32 v71, v70, v44
	;; [unrolled: 2-line block ×10, first 2 shown]
	s_waitcnt vmcnt(2)
	v_lshrrev_b32_e32 v98, 3, v86
	s_waitcnt lgkmcnt(1)
	v_add_f32_e32 v86, v102, v57
	s_waitcnt vmcnt(1)
	v_lshlrev_b32_e32 v99, 10, v99
	v_lshl_add_u32 v97, v98, 2, v96
	s_waitcnt vmcnt(0)
	v_and_b32_e32 v100, 0x3c0, v87
	s_waitcnt lgkmcnt(0)
	v_add_f32_e32 v87, v112, v58
	v_cmpx_eq_u32_e32 64, v100
	s_cbranch_execz .LBB232_4256
; %bb.4254:
	s_and_b32 exec_lo, exec_lo, vcc_lo
	s_cbranch_execz .LBB232_4256
; %bb.4255:
	v_add_nc_u32_e32 v100, v97, v99
	v_add_nc_u32_e32 v101, 0xfffff800, v100
	;; [unrolled: 1-line block ×7, first 2 shown]
	ds_write_b32 v101, v4
	ds_write_b32 v102, v3
	;; [unrolled: 1-line block ×4, first 2 shown]
	v_add_nc_u32_e32 v101, 0xfffff860, v100
	v_add_nc_u32_e32 v102, 0xfffff870, v100
	v_add_nc_u32_e32 v103, 0xfffff880, v100
	ds_write_b32 v113, v0
	ds_write_b32 v114, v5
	ds_write_b32 v101, v6
	ds_write_b32 v102, v9
	ds_write_b32 v103, v8
	v_add_nc_u32_e32 v101, 0xfffff890, v100
	v_add_nc_u32_e32 v102, 0xfffff8a0, v100
	v_add_nc_u32_e32 v103, 0xfffff8b0, v100
	v_add_nc_u32_e32 v112, 0xfffff8c0, v100
	v_add_nc_u32_e32 v113, 0xfffff8d0, v100
	ds_write_b32 v101, v7
	ds_write_b32 v102, v10
	ds_write_b32 v103, v11
	ds_write_b32 v112, v12
	ds_write_b32 v113, v13
	v_add_nc_u32_e32 v101, 0xfffff8e0, v100
	v_add_nc_u32_e32 v102, 0xfffff8f0, v100
	;; [unrolled: 10-line block ×11, first 2 shown]
	v_add_nc_u32_e32 v103, 0xfffffbd0, v100
	v_add_nc_u32_e32 v112, 0xfffffbe0, v100
	v_add_nc_u32_e32 v100, 0xfffffbf0, v100
	ds_write_b32 v101, v64
	ds_write_b32 v102, v55
	;; [unrolled: 1-line block ×5, first 2 shown]
.LBB232_4256:
	s_or_b32 exec_lo, exec_lo, s5
	buffer_load_dword v100, off, s[0:3], s32 offset:3088 ; 4-byte Folded Reload
	v_lshlrev_b32_e32 v98, 2, v98
	s_mov_b32 s5, exec_lo
	s_waitcnt vmcnt(0) lgkmcnt(0)
	s_barrier
	buffer_gl0_inv
	v_add3_u32 v96, v96, v99, v98
	v_and_b32_e32 v100, 0x3c7, v100
	v_cmpx_eq_u32_e32 0, v100
	s_cbranch_execz .LBB232_4258
; %bb.4257:
	ds_read2_b32 v[98:99], v96 offset1:4
	ds_read2_b32 v[100:101], v96 offset0:8 offset1:12
	ds_read2_b32 v[102:103], v96 offset0:16 offset1:20
	;; [unrolled: 1-line block ×11, first 2 shown]
	s_waitcnt lgkmcnt(11)
	v_add_f32_e32 v4, v98, v4
	v_add_f32_e32 v3, v99, v3
	s_waitcnt lgkmcnt(10)
	v_add_f32_e32 v2, v100, v2
	v_add_f32_e32 v1, v101, v1
	ds_read2_b32 v[98:99], v96 offset0:96 offset1:100
	ds_read2_b32 v[100:101], v96 offset0:104 offset1:108
	s_waitcnt lgkmcnt(11)
	v_add_f32_e32 v0, v102, v0
	v_add_f32_e32 v5, v103, v5
	s_waitcnt lgkmcnt(10)
	v_add_f32_e32 v6, v112, v6
	v_add_f32_e32 v9, v113, v9
	;; [unrolled: 3-line block ×5, first 2 shown]
	ds_read2_b32 v[102:103], v96 offset0:112 offset1:116
	ds_read2_b32 v[112:113], v96 offset0:120 offset1:124
	;; [unrolled: 1-line block ×5, first 2 shown]
	s_waitcnt lgkmcnt(11)
	v_add_f32_e32 v14, v40, v14
	v_add_f32_e32 v16, v41, v16
	s_waitcnt lgkmcnt(10)
	v_add_f32_e32 v15, v42, v15
	s_waitcnt lgkmcnt(6)
	v_add_f32_e32 v24, v98, v24
	v_add_f32_e32 v23, v99, v23
	ds_read2_b32 v[98:99], v96 offset0:152 offset1:156
	s_waitcnt lgkmcnt(6)
	v_add_f32_e32 v28, v100, v28
	v_add_f32_e32 v27, v101, v27
	ds_read2_b32 v[100:101], v96 offset0:160 offset1:164
	v_add_f32_e32 v18, v43, v18
	v_add_f32_e32 v17, v44, v17
	;; [unrolled: 1-line block ×5, first 2 shown]
	ds_read2_b32 v[40:41], v96 offset0:200 offset1:204
	s_waitcnt lgkmcnt(7)
	v_add_f32_e32 v26, v102, v26
	v_add_f32_e32 v29, v103, v29
	s_waitcnt lgkmcnt(6)
	v_add_f32_e32 v30, v112, v30
	v_add_f32_e32 v31, v113, v31
	ds_read2_b32 v[102:103], v96 offset0:168 offset1:172
	s_waitcnt lgkmcnt(6)
	v_add_f32_e32 v32, v114, v32
	v_add_f32_e32 v34, v115, v34
	ds_read2_b32 v[112:113], v96 offset0:176 offset1:180
	s_waitcnt lgkmcnt(6)
	v_add_f32_e32 v33, v116, v33
	ds_read2_b32 v[114:115], v96 offset0:184 offset1:188
	v_add_f32_e32 v35, v117, v35
	ds_read2_b32 v[116:117], v96 offset0:192 offset1:196
	s_waitcnt lgkmcnt(7)
	v_add_f32_e32 v36, v118, v36
	v_add_f32_e32 v37, v119, v37
	ds_read2_b32 v[118:119], v96 offset0:208 offset1:212
	s_waitcnt lgkmcnt(7)
	v_add_f32_e32 v38, v98, v38
	ds_read2_b32 v[42:43], v96 offset0:216 offset1:220
	v_add_f32_e32 v50, v99, v50
	ds_read2_b32 v[98:99], v96 offset0:224 offset1:228
	s_waitcnt lgkmcnt(8)
	v_add_f32_e32 v49, v100, v49
	ds_read2_b32 v[44:45], v96 offset0:232 offset1:236
	v_add_f32_e32 v48, v101, v48
	ds_read2_b32 v[100:101], v96 offset0:240 offset1:244
	ds_read2_b32 v[46:47], v96 offset0:248 offset1:252
	v_add_f32_e32 v22, v56, v22
	v_add_f32_e32 v25, v57, v25
	s_waitcnt lgkmcnt(9)
	v_add_f32_e32 v39, v102, v39
	v_add_f32_e32 v51, v103, v51
	s_waitcnt lgkmcnt(8)
	;; [unrolled: 3-line block ×4, first 2 shown]
	v_add_f32_e32 v83, v116, v83
	v_add_f32_e32 v82, v117, v82
	;; [unrolled: 1-line block ×4, first 2 shown]
	s_waitcnt lgkmcnt(5)
	v_add_f32_e32 v71, v118, v71
	v_add_f32_e32 v70, v119, v70
	s_waitcnt lgkmcnt(4)
	v_add_f32_e32 v69, v42, v69
	v_add_f32_e32 v68, v43, v68
	;; [unrolled: 3-line block ×6, first 2 shown]
.LBB232_4258:
	s_or_b32 exec_lo, exec_lo, s5
	buffer_load_dword v98, off, s[0:3], s32 offset:3088 ; 4-byte Folded Reload
	s_mov_b32 s5, exec_lo
	s_waitcnt vmcnt(0)
	s_barrier
	buffer_gl0_inv
	v_and_b32_e32 v98, 0x3e7, v98
	v_cmpx_eq_u32_e32 32, v98
	s_cbranch_execz .LBB232_4260
; %bb.4259:
	ds_write2_b32 v97, v4, v3 offset1:4
	ds_write2_b32 v97, v2, v1 offset0:8 offset1:12
	ds_write2_b32 v97, v0, v5 offset0:16 offset1:20
	;; [unrolled: 1-line block ×31, first 2 shown]
.LBB232_4260:
	s_or_b32 exec_lo, exec_lo, s5
	s_mov_b32 s5, exec_lo
	s_waitcnt lgkmcnt(0)
	s_barrier
	buffer_gl0_inv
	v_cmpx_eq_u32_e32 0, v98
	s_cbranch_execz .LBB232_4262
; %bb.4261:
	ds_read2_b32 v[97:98], v96 offset1:4
	ds_read2_b32 v[99:100], v96 offset0:8 offset1:12
	ds_read2_b32 v[101:102], v96 offset0:16 offset1:20
	;; [unrolled: 1-line block ×11, first 2 shown]
	s_waitcnt lgkmcnt(11)
	v_add_f32_e32 v4, v97, v4
	v_add_f32_e32 v3, v98, v3
	s_waitcnt lgkmcnt(10)
	v_add_f32_e32 v2, v99, v2
	v_add_f32_e32 v1, v100, v1
	ds_read2_b32 v[97:98], v96 offset0:96 offset1:100
	ds_read2_b32 v[99:100], v96 offset0:104 offset1:108
	s_waitcnt lgkmcnt(11)
	v_add_f32_e32 v0, v101, v0
	v_add_f32_e32 v5, v102, v5
	s_waitcnt lgkmcnt(10)
	v_add_f32_e32 v6, v112, v6
	v_add_f32_e32 v9, v113, v9
	;; [unrolled: 3-line block ×5, first 2 shown]
	ds_read2_b32 v[101:102], v96 offset0:112 offset1:116
	ds_read2_b32 v[112:113], v96 offset0:120 offset1:124
	;; [unrolled: 1-line block ×5, first 2 shown]
	s_waitcnt lgkmcnt(11)
	v_add_f32_e32 v14, v40, v14
	v_add_f32_e32 v16, v41, v16
	s_waitcnt lgkmcnt(10)
	v_add_f32_e32 v15, v42, v15
	s_waitcnt lgkmcnt(6)
	v_add_f32_e32 v24, v97, v24
	v_add_f32_e32 v23, v98, v23
	ds_read2_b32 v[97:98], v96 offset0:152 offset1:156
	s_waitcnt lgkmcnt(6)
	v_add_f32_e32 v28, v99, v28
	v_add_f32_e32 v27, v100, v27
	ds_read2_b32 v[99:100], v96 offset0:160 offset1:164
	v_add_f32_e32 v18, v43, v18
	v_add_f32_e32 v17, v44, v17
	;; [unrolled: 1-line block ×5, first 2 shown]
	ds_read2_b32 v[40:41], v96 offset0:200 offset1:204
	s_waitcnt lgkmcnt(7)
	v_add_f32_e32 v26, v101, v26
	v_add_f32_e32 v29, v102, v29
	s_waitcnt lgkmcnt(6)
	v_add_f32_e32 v30, v112, v30
	v_add_f32_e32 v31, v113, v31
	ds_read2_b32 v[101:102], v96 offset0:168 offset1:172
	s_waitcnt lgkmcnt(6)
	v_add_f32_e32 v32, v114, v32
	v_add_f32_e32 v34, v115, v34
	ds_read2_b32 v[112:113], v96 offset0:176 offset1:180
	s_waitcnt lgkmcnt(6)
	v_add_f32_e32 v33, v116, v33
	ds_read2_b32 v[114:115], v96 offset0:184 offset1:188
	v_add_f32_e32 v35, v117, v35
	ds_read2_b32 v[116:117], v96 offset0:192 offset1:196
	s_waitcnt lgkmcnt(7)
	v_add_f32_e32 v36, v118, v36
	v_add_f32_e32 v37, v119, v37
	ds_read2_b32 v[118:119], v96 offset0:208 offset1:212
	s_waitcnt lgkmcnt(7)
	v_add_f32_e32 v38, v97, v38
	ds_read2_b32 v[42:43], v96 offset0:216 offset1:220
	v_add_f32_e32 v50, v98, v50
	ds_read2_b32 v[97:98], v96 offset0:224 offset1:228
	s_waitcnt lgkmcnt(8)
	v_add_f32_e32 v49, v99, v49
	ds_read2_b32 v[44:45], v96 offset0:232 offset1:236
	v_add_f32_e32 v48, v100, v48
	ds_read2_b32 v[99:100], v96 offset0:240 offset1:244
	ds_read2_b32 v[46:47], v96 offset0:248 offset1:252
	v_add_f32_e32 v22, v56, v22
	v_add_f32_e32 v25, v57, v25
	s_waitcnt lgkmcnt(9)
	v_add_f32_e32 v39, v101, v39
	v_add_f32_e32 v51, v102, v51
	s_waitcnt lgkmcnt(8)
	v_add_f32_e32 v52, v112, v52
	v_add_f32_e32 v53, v113, v53
	s_waitcnt lgkmcnt(7)
	v_add_f32_e32 v85, v114, v85
	v_add_f32_e32 v84, v115, v84
	s_waitcnt lgkmcnt(6)
	v_add_f32_e32 v83, v116, v83
	v_add_f32_e32 v82, v117, v82
	;; [unrolled: 1-line block ×4, first 2 shown]
	s_waitcnt lgkmcnt(5)
	v_add_f32_e32 v71, v118, v71
	v_add_f32_e32 v70, v119, v70
	s_waitcnt lgkmcnt(4)
	v_add_f32_e32 v69, v42, v69
	v_add_f32_e32 v68, v43, v68
	;; [unrolled: 3-line block ×6, first 2 shown]
.LBB232_4262:
	s_or_b32 exec_lo, exec_lo, s5
	buffer_load_dword v96, off, s[0:3], s32 offset:3088 ; 4-byte Folded Reload
	s_mov_b32 s5, exec_lo
	s_waitcnt vmcnt(0)
	s_barrier
	buffer_gl0_inv
	v_cmpx_gt_u32_e32 32, v96
	s_cbranch_execz .LBB232_4265
; %bb.4263:
	s_and_b32 exec_lo, exec_lo, vcc_lo
	s_cbranch_execz .LBB232_4265
; %bb.4264:
	s_clause 0x2
	buffer_load_dword v97, off, s[0:3], s32 offset:3148
	buffer_load_dword v96, off, s[0:3], s32 offset:3088
	;; [unrolled: 1-line block ×3, first 2 shown]
	s_and_b32 s4, 0xffff, s13
	s_cmp_lg_u32 s4, 0
	s_cselect_b32 s4, -1, 0
	s_cmp_lg_u32 s4, 0
	s_addc_u32 s4, s9, 0
	s_lshl_b32 s6, s14, 8
	s_mul_i32 s7, s10, s4
	s_mul_i32 s8, s12, s4
	;; [unrolled: 1-line block ×3, first 2 shown]
	s_ashr_i32 s9, s8, 31
	s_lshl_b32 s10, s7, 8
	s_lshl_b64 s[8:9], s[8:9], 2
	s_ashr_i32 s11, s10, 31
	s_ashr_i32 s7, s6, 31
	s_lshl_b64 s[10:11], s[10:11], 2
	s_lshl_b64 s[6:7], s[6:7], 2
	s_waitcnt vmcnt(2)
	v_add_co_u32 v97, vcc_lo, v97, s10
	s_waitcnt vmcnt(0)
	v_add_co_ci_u32_e64 v98, null, s11, v98, vcc_lo
	v_lshrrev_b32_e32 v96, 1, v96
	v_add_co_u32 v97, vcc_lo, v97, s8
	v_add_co_ci_u32_e64 v98, null, s9, v98, vcc_lo
	v_and_b32_e32 v96, 0x1fc, v96
	v_add_co_u32 v97, vcc_lo, v97, s6
	v_add_co_ci_u32_e64 v98, null, s7, v98, vcc_lo
	v_add_co_u32 v96, vcc_lo, v97, v96
	v_add_co_ci_u32_e64 v97, null, 0, v98, vcc_lo
	flat_store_dword v[96:97], v4
	flat_store_dword v[96:97], v3 offset:16
	flat_store_dword v[96:97], v2 offset:32
	;; [unrolled: 1-line block ×63, first 2 shown]
.LBB232_4265:
	s_or_b32 exec_lo, exec_lo, s5
	s_clause 0x2f
	buffer_load_dword v127, off, s[0:3], s32
	buffer_load_dword v126, off, s[0:3], s32 offset:4
	buffer_load_dword v125, off, s[0:3], s32 offset:8
	buffer_load_dword v124, off, s[0:3], s32 offset:12
	buffer_load_dword v123, off, s[0:3], s32 offset:16
	buffer_load_dword v122, off, s[0:3], s32 offset:20
	buffer_load_dword v121, off, s[0:3], s32 offset:24
	buffer_load_dword v120, off, s[0:3], s32 offset:28
	buffer_load_dword v111, off, s[0:3], s32 offset:32
	buffer_load_dword v110, off, s[0:3], s32 offset:36
	buffer_load_dword v109, off, s[0:3], s32 offset:40
	buffer_load_dword v108, off, s[0:3], s32 offset:44
	buffer_load_dword v107, off, s[0:3], s32 offset:48
	buffer_load_dword v106, off, s[0:3], s32 offset:52
	buffer_load_dword v105, off, s[0:3], s32 offset:56
	buffer_load_dword v104, off, s[0:3], s32 offset:60
	buffer_load_dword v95, off, s[0:3], s32 offset:64
	buffer_load_dword v94, off, s[0:3], s32 offset:68
	buffer_load_dword v93, off, s[0:3], s32 offset:72
	buffer_load_dword v92, off, s[0:3], s32 offset:76
	buffer_load_dword v91, off, s[0:3], s32 offset:80
	buffer_load_dword v90, off, s[0:3], s32 offset:84
	buffer_load_dword v89, off, s[0:3], s32 offset:88
	buffer_load_dword v88, off, s[0:3], s32 offset:92
	buffer_load_dword v79, off, s[0:3], s32 offset:96
	buffer_load_dword v78, off, s[0:3], s32 offset:100
	buffer_load_dword v77, off, s[0:3], s32 offset:104
	buffer_load_dword v76, off, s[0:3], s32 offset:108
	buffer_load_dword v75, off, s[0:3], s32 offset:112
	buffer_load_dword v74, off, s[0:3], s32 offset:116
	buffer_load_dword v73, off, s[0:3], s32 offset:120
	buffer_load_dword v72, off, s[0:3], s32 offset:124
	buffer_load_dword v63, off, s[0:3], s32 offset:128
	buffer_load_dword v62, off, s[0:3], s32 offset:132
	buffer_load_dword v61, off, s[0:3], s32 offset:136
	buffer_load_dword v60, off, s[0:3], s32 offset:140
	buffer_load_dword v59, off, s[0:3], s32 offset:144
	buffer_load_dword v58, off, s[0:3], s32 offset:148
	buffer_load_dword v57, off, s[0:3], s32 offset:152
	buffer_load_dword v56, off, s[0:3], s32 offset:156
	buffer_load_dword v47, off, s[0:3], s32 offset:160
	buffer_load_dword v46, off, s[0:3], s32 offset:164
	buffer_load_dword v45, off, s[0:3], s32 offset:168
	buffer_load_dword v44, off, s[0:3], s32 offset:172
	buffer_load_dword v43, off, s[0:3], s32 offset:176
	buffer_load_dword v42, off, s[0:3], s32 offset:180
	buffer_load_dword v41, off, s[0:3], s32 offset:184
	buffer_load_dword v40, off, s[0:3], s32 offset:188
	s_waitcnt vmcnt(0) lgkmcnt(0)
	s_setpc_b64 s[30:31]
.Lfunc_end232:
	.size	_ZN4vllm22paged_attention_kernelIfhLi256ELi32ELi128ELNS_18Fp8KVCacheDataTypeE1ELb0ELi0EEEvPfS2_PT_PKS3_PKT0_S9_ifPKiSB_iPKfiiiSD_SD_iiiii, .Lfunc_end232-_ZN4vllm22paged_attention_kernelIfhLi256ELi32ELi128ELNS_18Fp8KVCacheDataTypeE1ELb0ELi0EEEvPfS2_PT_PKS3_PKT0_S9_ifPKiSB_iPKfiiiSD_SD_iiiii
                                        ; -- End function
	.set .L_ZN4vllm22paged_attention_kernelIfhLi256ELi32ELi128ELNS_18Fp8KVCacheDataTypeE1ELb0ELi0EEEvPfS2_PT_PKS3_PKT0_S9_ifPKiSB_iPKfiiiSD_SD_iiiii.num_vgpr, 128
	.set .L_ZN4vllm22paged_attention_kernelIfhLi256ELi32ELi128ELNS_18Fp8KVCacheDataTypeE1ELb0ELi0EEEvPfS2_PT_PKS3_PKT0_S9_ifPKiSB_iPKfiiiSD_SD_iiiii.num_agpr, 0
	.set .L_ZN4vllm22paged_attention_kernelIfhLi256ELi32ELi128ELNS_18Fp8KVCacheDataTypeE1ELb0ELi0EEEvPfS2_PT_PKS3_PKT0_S9_ifPKiSB_iPKfiiiSD_SD_iiiii.numbered_sgpr, 33
	.set .L_ZN4vllm22paged_attention_kernelIfhLi256ELi32ELi128ELNS_18Fp8KVCacheDataTypeE1ELb0ELi0EEEvPfS2_PT_PKS3_PKT0_S9_ifPKiSB_iPKfiiiSD_SD_iiiii.num_named_barrier, 0
	.set .L_ZN4vllm22paged_attention_kernelIfhLi256ELi32ELi128ELNS_18Fp8KVCacheDataTypeE1ELb0ELi0EEEvPfS2_PT_PKS3_PKT0_S9_ifPKiSB_iPKfiiiSD_SD_iiiii.private_seg_size, 3160
	.set .L_ZN4vllm22paged_attention_kernelIfhLi256ELi32ELi128ELNS_18Fp8KVCacheDataTypeE1ELb0ELi0EEEvPfS2_PT_PKS3_PKT0_S9_ifPKiSB_iPKfiiiSD_SD_iiiii.uses_vcc, 1
	.set .L_ZN4vllm22paged_attention_kernelIfhLi256ELi32ELi128ELNS_18Fp8KVCacheDataTypeE1ELb0ELi0EEEvPfS2_PT_PKS3_PKT0_S9_ifPKiSB_iPKfiiiSD_SD_iiiii.uses_flat_scratch, 0
	.set .L_ZN4vllm22paged_attention_kernelIfhLi256ELi32ELi128ELNS_18Fp8KVCacheDataTypeE1ELb0ELi0EEEvPfS2_PT_PKS3_PKT0_S9_ifPKiSB_iPKfiiiSD_SD_iiiii.has_dyn_sized_stack, 0
	.set .L_ZN4vllm22paged_attention_kernelIfhLi256ELi32ELi128ELNS_18Fp8KVCacheDataTypeE1ELb0ELi0EEEvPfS2_PT_PKS3_PKT0_S9_ifPKiSB_iPKfiiiSD_SD_iiiii.has_recursion, 0
	.set .L_ZN4vllm22paged_attention_kernelIfhLi256ELi32ELi128ELNS_18Fp8KVCacheDataTypeE1ELb0ELi0EEEvPfS2_PT_PKS3_PKT0_S9_ifPKiSB_iPKfiiiSD_SD_iiiii.has_indirect_call, 0
	.section	.AMDGPU.csdata,"",@progbits
; Function info:
; codeLenInByte = 159332
; TotalNumSgprs: 35
; NumVgprs: 128
; ScratchSize: 3160
; MemoryBound: 0
	.section	.text._ZN4vllm25paged_attention_v1_kernelIfhLi256ELi32ELi128ELNS_18Fp8KVCacheDataTypeE1ELb0EEEvPT_PKS2_PKT0_S8_ifPKiSA_iPKfiiiSC_SC_iiiii,"axG",@progbits,_ZN4vllm25paged_attention_v1_kernelIfhLi256ELi32ELi128ELNS_18Fp8KVCacheDataTypeE1ELb0EEEvPT_PKS2_PKT0_S8_ifPKiSA_iPKfiiiSC_SC_iiiii,comdat
	.protected	_ZN4vllm25paged_attention_v1_kernelIfhLi256ELi32ELi128ELNS_18Fp8KVCacheDataTypeE1ELb0EEEvPT_PKS2_PKT0_S8_ifPKiSA_iPKfiiiSC_SC_iiiii ; -- Begin function _ZN4vllm25paged_attention_v1_kernelIfhLi256ELi32ELi128ELNS_18Fp8KVCacheDataTypeE1ELb0EEEvPT_PKS2_PKT0_S8_ifPKiSA_iPKfiiiSC_SC_iiiii
	.globl	_ZN4vllm25paged_attention_v1_kernelIfhLi256ELi32ELi128ELNS_18Fp8KVCacheDataTypeE1ELb0EEEvPT_PKS2_PKT0_S8_ifPKiSA_iPKfiiiSC_SC_iiiii
	.p2align	8
	.type	_ZN4vllm25paged_attention_v1_kernelIfhLi256ELi32ELi128ELNS_18Fp8KVCacheDataTypeE1ELb0EEEvPT_PKS2_PKT0_S8_ifPKiSA_iPKfiiiSC_SC_iiiii,@function
_ZN4vllm25paged_attention_v1_kernelIfhLi256ELi32ELi128ELNS_18Fp8KVCacheDataTypeE1ELb0EEEvPT_PKS2_PKT0_S8_ifPKiSA_iPKfiiiSC_SC_iiiii: ; @_ZN4vllm25paged_attention_v1_kernelIfhLi256ELi32ELi128ELNS_18Fp8KVCacheDataTypeE1ELb0EEEvPT_PKS2_PKT0_S8_ifPKiSA_iPKfiiiSC_SC_iiiii
; %bb.0:
	s_clause 0x5
	s_load_dwordx8 s[16:23], s[4:5], 0x0
	s_load_dwordx4 s[36:39], s[4:5], 0x20
	s_load_dwordx2 s[10:11], s[4:5], 0x30
	s_load_dword s13, s[4:5], 0x38
	s_load_dwordx2 s[34:35], s[4:5], 0x40
	s_load_dwordx8 s[24:31], s[4:5], 0x48
	s_add_u32 s0, s0, s9
	s_addc_u32 s1, s1, 0
	v_mov_b32_e32 v31, v0
	s_mov_b32 s14, s8
	s_add_u32 s8, s4, 0x80
	s_addc_u32 s9, s5, 0
	s_getpc_b64 s[4:5]
	s_add_u32 s4, s4, _ZN4vllm22paged_attention_kernelIfhLi256ELi32ELi128ELNS_18Fp8KVCacheDataTypeE1ELb0ELi0EEEvPfS2_PT_PKS3_PKT0_S9_ifPKiSB_iPKfiiiSD_SD_iiiii@rel32@lo+4
	s_addc_u32 s5, s5, _ZN4vllm22paged_attention_kernelIfhLi256ELi32ELi128ELNS_18Fp8KVCacheDataTypeE1ELb0ELi0EEEvPfS2_PT_PKS3_PKT0_S9_ifPKiSB_iPKfiiiSD_SD_iiiii@rel32@hi+12
	s_mov_b32 s12, s6
	s_mov_b32 s15, 28
	;; [unrolled: 1-line block ×3, first 2 shown]
	s_waitcnt lgkmcnt(0)
	v_mov_b32_e32 v0, s16
	v_mov_b32_e32 v1, s17
	;; [unrolled: 1-line block ×24, first 2 shown]
	s_mov_b32 s13, s7
	s_swappc_b64 s[30:31], s[4:5]
	s_endpgm
	.section	.rodata,"a",@progbits
	.p2align	6, 0x0
	.amdhsa_kernel _ZN4vllm25paged_attention_v1_kernelIfhLi256ELi32ELi128ELNS_18Fp8KVCacheDataTypeE1ELb0EEEvPT_PKS2_PKT0_S8_ifPKiSA_iPKfiiiSC_SC_iiiii
		.amdhsa_group_segment_fixed_size 1056
		.amdhsa_private_segment_fixed_size 3160
		.amdhsa_kernarg_size 384
		.amdhsa_user_sgpr_count 6
		.amdhsa_user_sgpr_private_segment_buffer 1
		.amdhsa_user_sgpr_dispatch_ptr 0
		.amdhsa_user_sgpr_queue_ptr 0
		.amdhsa_user_sgpr_kernarg_segment_ptr 1
		.amdhsa_user_sgpr_dispatch_id 0
		.amdhsa_user_sgpr_flat_scratch_init 0
		.amdhsa_user_sgpr_private_segment_size 0
		.amdhsa_wavefront_size32 1
		.amdhsa_uses_dynamic_stack 0
		.amdhsa_system_sgpr_private_segment_wavefront_offset 1
		.amdhsa_system_sgpr_workgroup_id_x 1
		.amdhsa_system_sgpr_workgroup_id_y 1
		.amdhsa_system_sgpr_workgroup_id_z 1
		.amdhsa_system_sgpr_workgroup_info 0
		.amdhsa_system_vgpr_workitem_id 0
		.amdhsa_next_free_vgpr 128
		.amdhsa_next_free_sgpr 40
		.amdhsa_reserve_vcc 1
		.amdhsa_reserve_flat_scratch 0
		.amdhsa_float_round_mode_32 0
		.amdhsa_float_round_mode_16_64 0
		.amdhsa_float_denorm_mode_32 3
		.amdhsa_float_denorm_mode_16_64 3
		.amdhsa_dx10_clamp 1
		.amdhsa_ieee_mode 1
		.amdhsa_fp16_overflow 0
		.amdhsa_workgroup_processor_mode 1
		.amdhsa_memory_ordered 1
		.amdhsa_forward_progress 1
		.amdhsa_shared_vgpr_count 0
		.amdhsa_exception_fp_ieee_invalid_op 0
		.amdhsa_exception_fp_denorm_src 0
		.amdhsa_exception_fp_ieee_div_zero 0
		.amdhsa_exception_fp_ieee_overflow 0
		.amdhsa_exception_fp_ieee_underflow 0
		.amdhsa_exception_fp_ieee_inexact 0
		.amdhsa_exception_int_div_zero 0
	.end_amdhsa_kernel
	.section	.text._ZN4vllm25paged_attention_v1_kernelIfhLi256ELi32ELi128ELNS_18Fp8KVCacheDataTypeE1ELb0EEEvPT_PKS2_PKT0_S8_ifPKiSA_iPKfiiiSC_SC_iiiii,"axG",@progbits,_ZN4vllm25paged_attention_v1_kernelIfhLi256ELi32ELi128ELNS_18Fp8KVCacheDataTypeE1ELb0EEEvPT_PKS2_PKT0_S8_ifPKiSA_iPKfiiiSC_SC_iiiii,comdat
.Lfunc_end233:
	.size	_ZN4vllm25paged_attention_v1_kernelIfhLi256ELi32ELi128ELNS_18Fp8KVCacheDataTypeE1ELb0EEEvPT_PKS2_PKT0_S8_ifPKiSA_iPKfiiiSC_SC_iiiii, .Lfunc_end233-_ZN4vllm25paged_attention_v1_kernelIfhLi256ELi32ELi128ELNS_18Fp8KVCacheDataTypeE1ELb0EEEvPT_PKS2_PKT0_S8_ifPKiSA_iPKfiiiSC_SC_iiiii
                                        ; -- End function
	.set _ZN4vllm25paged_attention_v1_kernelIfhLi256ELi32ELi128ELNS_18Fp8KVCacheDataTypeE1ELb0EEEvPT_PKS2_PKT0_S8_ifPKiSA_iPKfiiiSC_SC_iiiii.num_vgpr, max(32, .L_ZN4vllm22paged_attention_kernelIfhLi256ELi32ELi128ELNS_18Fp8KVCacheDataTypeE1ELb0ELi0EEEvPfS2_PT_PKS3_PKT0_S9_ifPKiSB_iPKfiiiSD_SD_iiiii.num_vgpr)
	.set _ZN4vllm25paged_attention_v1_kernelIfhLi256ELi32ELi128ELNS_18Fp8KVCacheDataTypeE1ELb0EEEvPT_PKS2_PKT0_S8_ifPKiSA_iPKfiiiSC_SC_iiiii.num_agpr, max(0, .L_ZN4vllm22paged_attention_kernelIfhLi256ELi32ELi128ELNS_18Fp8KVCacheDataTypeE1ELb0ELi0EEEvPfS2_PT_PKS3_PKT0_S9_ifPKiSB_iPKfiiiSD_SD_iiiii.num_agpr)
	.set _ZN4vllm25paged_attention_v1_kernelIfhLi256ELi32ELi128ELNS_18Fp8KVCacheDataTypeE1ELb0EEEvPT_PKS2_PKT0_S8_ifPKiSA_iPKfiiiSC_SC_iiiii.numbered_sgpr, max(40, .L_ZN4vllm22paged_attention_kernelIfhLi256ELi32ELi128ELNS_18Fp8KVCacheDataTypeE1ELb0ELi0EEEvPfS2_PT_PKS3_PKT0_S9_ifPKiSB_iPKfiiiSD_SD_iiiii.numbered_sgpr)
	.set _ZN4vllm25paged_attention_v1_kernelIfhLi256ELi32ELi128ELNS_18Fp8KVCacheDataTypeE1ELb0EEEvPT_PKS2_PKT0_S8_ifPKiSA_iPKfiiiSC_SC_iiiii.num_named_barrier, max(0, .L_ZN4vllm22paged_attention_kernelIfhLi256ELi32ELi128ELNS_18Fp8KVCacheDataTypeE1ELb0ELi0EEEvPfS2_PT_PKS3_PKT0_S9_ifPKiSB_iPKfiiiSD_SD_iiiii.num_named_barrier)
	.set _ZN4vllm25paged_attention_v1_kernelIfhLi256ELi32ELi128ELNS_18Fp8KVCacheDataTypeE1ELb0EEEvPT_PKS2_PKT0_S8_ifPKiSA_iPKfiiiSC_SC_iiiii.private_seg_size, 0+max(.L_ZN4vllm22paged_attention_kernelIfhLi256ELi32ELi128ELNS_18Fp8KVCacheDataTypeE1ELb0ELi0EEEvPfS2_PT_PKS3_PKT0_S9_ifPKiSB_iPKfiiiSD_SD_iiiii.private_seg_size)
	.set _ZN4vllm25paged_attention_v1_kernelIfhLi256ELi32ELi128ELNS_18Fp8KVCacheDataTypeE1ELb0EEEvPT_PKS2_PKT0_S8_ifPKiSA_iPKfiiiSC_SC_iiiii.uses_vcc, or(1, .L_ZN4vllm22paged_attention_kernelIfhLi256ELi32ELi128ELNS_18Fp8KVCacheDataTypeE1ELb0ELi0EEEvPfS2_PT_PKS3_PKT0_S9_ifPKiSB_iPKfiiiSD_SD_iiiii.uses_vcc)
	.set _ZN4vllm25paged_attention_v1_kernelIfhLi256ELi32ELi128ELNS_18Fp8KVCacheDataTypeE1ELb0EEEvPT_PKS2_PKT0_S8_ifPKiSA_iPKfiiiSC_SC_iiiii.uses_flat_scratch, or(0, .L_ZN4vllm22paged_attention_kernelIfhLi256ELi32ELi128ELNS_18Fp8KVCacheDataTypeE1ELb0ELi0EEEvPfS2_PT_PKS3_PKT0_S9_ifPKiSB_iPKfiiiSD_SD_iiiii.uses_flat_scratch)
	.set _ZN4vllm25paged_attention_v1_kernelIfhLi256ELi32ELi128ELNS_18Fp8KVCacheDataTypeE1ELb0EEEvPT_PKS2_PKT0_S8_ifPKiSA_iPKfiiiSC_SC_iiiii.has_dyn_sized_stack, or(0, .L_ZN4vllm22paged_attention_kernelIfhLi256ELi32ELi128ELNS_18Fp8KVCacheDataTypeE1ELb0ELi0EEEvPfS2_PT_PKS3_PKT0_S9_ifPKiSB_iPKfiiiSD_SD_iiiii.has_dyn_sized_stack)
	.set _ZN4vllm25paged_attention_v1_kernelIfhLi256ELi32ELi128ELNS_18Fp8KVCacheDataTypeE1ELb0EEEvPT_PKS2_PKT0_S8_ifPKiSA_iPKfiiiSC_SC_iiiii.has_recursion, or(0, .L_ZN4vllm22paged_attention_kernelIfhLi256ELi32ELi128ELNS_18Fp8KVCacheDataTypeE1ELb0ELi0EEEvPfS2_PT_PKS3_PKT0_S9_ifPKiSB_iPKfiiiSD_SD_iiiii.has_recursion)
	.set _ZN4vllm25paged_attention_v1_kernelIfhLi256ELi32ELi128ELNS_18Fp8KVCacheDataTypeE1ELb0EEEvPT_PKS2_PKT0_S8_ifPKiSA_iPKfiiiSC_SC_iiiii.has_indirect_call, or(0, .L_ZN4vllm22paged_attention_kernelIfhLi256ELi32ELi128ELNS_18Fp8KVCacheDataTypeE1ELb0ELi0EEEvPfS2_PT_PKS3_PKT0_S9_ifPKiSB_iPKfiiiSD_SD_iiiii.has_indirect_call)
	.section	.AMDGPU.csdata,"",@progbits
; Kernel info:
; codeLenInByte = 224
; TotalNumSgprs: 42
; NumVgprs: 128
; ScratchSize: 3160
; MemoryBound: 0
; FloatMode: 240
; IeeeMode: 1
; LDSByteSize: 1056 bytes/workgroup (compile time only)
; SGPRBlocks: 0
; VGPRBlocks: 15
; NumSGPRsForWavesPerEU: 42
; NumVGPRsForWavesPerEU: 128
; Occupancy: 8
; WaveLimiterHint : 1
; COMPUTE_PGM_RSRC2:SCRATCH_EN: 1
; COMPUTE_PGM_RSRC2:USER_SGPR: 6
; COMPUTE_PGM_RSRC2:TRAP_HANDLER: 0
; COMPUTE_PGM_RSRC2:TGID_X_EN: 1
; COMPUTE_PGM_RSRC2:TGID_Y_EN: 1
; COMPUTE_PGM_RSRC2:TGID_Z_EN: 1
; COMPUTE_PGM_RSRC2:TIDIG_COMP_CNT: 0
	.section	.text._ZN4vllm25paged_attention_v1_kernelIthLi32ELi8ELi128ELNS_18Fp8KVCacheDataTypeE1ELb1EEEvPT_PKS2_PKT0_S8_ifPKiSA_iPKfiiiSC_SC_iiiii,"axG",@progbits,_ZN4vllm25paged_attention_v1_kernelIthLi32ELi8ELi128ELNS_18Fp8KVCacheDataTypeE1ELb1EEEvPT_PKS2_PKT0_S8_ifPKiSA_iPKfiiiSC_SC_iiiii,comdat
	.protected	_ZN4vllm25paged_attention_v1_kernelIthLi32ELi8ELi128ELNS_18Fp8KVCacheDataTypeE1ELb1EEEvPT_PKS2_PKT0_S8_ifPKiSA_iPKfiiiSC_SC_iiiii ; -- Begin function _ZN4vllm25paged_attention_v1_kernelIthLi32ELi8ELi128ELNS_18Fp8KVCacheDataTypeE1ELb1EEEvPT_PKS2_PKT0_S8_ifPKiSA_iPKfiiiSC_SC_iiiii
	.globl	_ZN4vllm25paged_attention_v1_kernelIthLi32ELi8ELi128ELNS_18Fp8KVCacheDataTypeE1ELb1EEEvPT_PKS2_PKT0_S8_ifPKiSA_iPKfiiiSC_SC_iiiii
	.p2align	8
	.type	_ZN4vllm25paged_attention_v1_kernelIthLi32ELi8ELi128ELNS_18Fp8KVCacheDataTypeE1ELb1EEEvPT_PKS2_PKT0_S8_ifPKiSA_iPKfiiiSC_SC_iiiii,@function
_ZN4vllm25paged_attention_v1_kernelIthLi32ELi8ELi128ELNS_18Fp8KVCacheDataTypeE1ELb1EEEvPT_PKS2_PKT0_S8_ifPKiSA_iPKfiiiSC_SC_iiiii: ; @_ZN4vllm25paged_attention_v1_kernelIthLi32ELi8ELi128ELNS_18Fp8KVCacheDataTypeE1ELb1EEEvPT_PKS2_PKT0_S8_ifPKiSA_iPKfiiiSC_SC_iiiii
; %bb.0:
	s_clause 0x2
	s_load_dword s9, s[4:5], 0x80
	s_load_dwordx2 s[0:1], s[4:5], 0x30
	s_load_dwordx2 s[34:35], s[4:5], 0x20
	s_mov_b32 s10, s7
	s_ashr_i32 s11, s7, 31
	s_mov_b32 s36, 0
	s_lshl_b64 s[2:3], s[10:11], 2
	s_waitcnt lgkmcnt(0)
	s_add_u32 s0, s0, s2
	s_addc_u32 s1, s1, s3
	s_abs_i32 s2, s34
	s_abs_i32 s11, s9
	v_cvt_f32_u32_e32 v1, s2
	s_sub_i32 s7, 0, s2
	v_rcp_iflag_f32_e32 v1, v1
	v_mul_f32_e32 v1, 0x4f7ffffe, v1
	v_cvt_u32_f32_e32 v1, v1
	v_readfirstlane_b32 s3, v1
	s_mul_i32 s7, s7, s3
	s_mul_hi_u32 s7, s3, s7
	s_add_i32 s3, s3, s7
	s_xor_b32 s7, s9, s34
	s_mul_hi_u32 s3, s11, s3
	s_ashr_i32 s7, s7, 31
	s_mul_i32 s12, s3, s2
	s_sub_i32 s11, s11, s12
	s_add_i32 s12, s3, 1
	s_sub_i32 s13, s11, s2
	s_cmp_ge_u32 s11, s2
	s_cselect_b32 s3, s12, s3
	s_cselect_b32 s11, s13, s11
	s_add_i32 s12, s3, 1
	s_cmp_ge_u32 s11, s2
	s_cselect_b32 s2, s12, s3
	s_abs_i32 s13, s6
	s_xor_b32 s2, s2, s7
	s_sub_i32 s15, s2, s7
	s_load_dwordx2 s[2:3], s[4:5], 0x40
	s_abs_i32 s12, s15
	v_cvt_f32_u32_e32 v1, s12
	s_sub_i32 s11, 0, s12
	v_rcp_iflag_f32_e32 v1, v1
	v_mul_f32_e32 v1, 0x4f7ffffe, v1
	v_cvt_u32_f32_e32 v1, v1
	v_readfirstlane_b32 s7, v1
	s_mul_i32 s11, s11, s7
	s_mul_hi_u32 s11, s7, s11
	s_add_i32 s7, s7, s11
	s_waitcnt lgkmcnt(0)
	s_cmp_eq_u64 s[2:3], 0
	s_mul_hi_u32 s14, s13, s7
	s_cbranch_scc1 .LBB234_2
; %bb.1:
	s_ashr_i32 s7, s6, 31
	s_lshl_b64 s[16:17], s[6:7], 2
	s_add_u32 s2, s2, s16
	s_addc_u32 s3, s3, s17
	s_load_dword s36, s[2:3], 0x0
.LBB234_2:
	s_load_dword s11, s[0:1], 0x0
	s_load_dwordx4 s[16:19], s[4:5], 0x48
	v_and_b32_e32 v1, 3, v0
	s_ashr_i32 s0, s6, 31
	s_ashr_i32 s1, s15, 31
	s_lshl_b32 s24, s6, 5
	s_mov_b32 s2, exec_lo
	v_cmpx_gt_u32_e32 16, v0
	s_cbranch_execz .LBB234_4
; %bb.3:
	s_load_dwordx2 s[20:21], s[4:5], 0x8
	s_waitcnt lgkmcnt(0)
	s_mul_i32 s22, s16, s10
	v_lshlrev_b32_e32 v2, 2, v0
	s_ashr_i32 s23, s22, 31
	v_and_b32_e32 v3, 0x3fc, v0
	s_lshl_b64 s[22:23], s[22:23], 1
	v_lshl_add_u32 v3, v1, 4, v3
	s_add_u32 s3, s20, s22
	s_addc_u32 s7, s21, s23
	s_ashr_i32 s25, s24, 31
	s_lshl_b64 s[20:21], s[24:25], 1
	s_add_u32 s20, s3, s20
	s_addc_u32 s21, s7, s21
	global_load_dword v2, v2, s[20:21]
	s_waitcnt vmcnt(0)
	ds_write_b32 v3, v2
.LBB234_4:
	s_or_b32 exec_lo, exec_lo, s2
	s_load_dwordx4 s[20:23], s[4:5], 0x68
	s_mul_i32 s2, s14, s12
	s_xor_b32 s1, s0, s1
	s_sub_i32 s0, s13, s2
	s_add_i32 s2, s14, 1
	s_sub_i32 s3, s0, s12
	s_cmp_ge_u32 s0, s12
	s_mov_b32 s13, -1
	s_cselect_b32 s2, s2, s14
	s_cselect_b32 s0, s3, s0
	s_add_i32 s3, s2, 1
	s_cmp_ge_u32 s0, s12
	s_load_dword s0, s[4:5], 0x78
	s_cselect_b32 s2, s3, s2
	s_waitcnt lgkmcnt(0)
	s_add_i32 s7, s11, -1
	s_xor_b32 s2, s2, s1
	s_abs_i32 s3, s7
	s_sub_i32 s1, s2, s1
	s_barrier
	s_abs_i32 s19, s23
	buffer_gl0_inv
	v_cvt_f32_u32_e32 v2, s19
	s_sub_i32 s2, 0, s19
                                        ; implicit-def: $sgpr33
	v_rcp_iflag_f32_e32 v2, v2
	v_mul_f32_e32 v2, 0x4f7ffffe, v2
	v_cvt_u32_f32_e32 v2, v2
	v_readfirstlane_b32 s25, v2
	s_mul_i32 s2, s2, s25
	s_mul_hi_u32 s2, s25, s2
	s_add_i32 s25, s25, s2
	s_cmp_lt_i32 s0, 0
	s_mul_hi_u32 s2, s3, s25
	s_cbranch_scc0 .LBB234_6
; %bb.5:
	s_mul_i32 s12, s20, s34
	s_mov_b32 s13, 0
	s_add_i32 s12, s1, s12
	s_mul_i32 s12, s12, s0
	s_sub_i32 s33, 1, s12
.LBB234_6:
	s_load_dwordx2 s[26:27], s[4:5], 0x28
	s_ashr_i32 s12, s7, 31
	s_andn2_b32 vcc_lo, exec_lo, s13
	s_ashr_i32 s23, s23, 31
	s_cbranch_vccnz .LBB234_8
; %bb.7:
	s_mul_i32 s7, s9, s20
	s_add_i32 s6, s7, s6
	s_mul_i32 s0, s6, s0
	s_add_i32 s33, s0, 1
.LBB234_8:
	s_clause 0x2
	s_load_dword s0, s[4:5], 0x38
	s_load_dwordx2 s[6:7], s[4:5], 0x0
	s_load_dwordx2 s[30:31], s[4:5], 0x18
	s_xor_b32 s34, s12, s23
	s_mul_i32 s12, s2, s19
	s_add_i32 s20, s2, 1
	s_sub_i32 s3, s3, s12
	s_clause 0x1
	s_load_dword s16, s[4:5], 0x88
	s_load_dwordx4 s[12:15], s[4:5], 0x58
	v_lshrrev_b32_e32 v9, 5, v0
	v_mov_b32_e32 v15, 0xff7fffff
	v_lshrrev_b32_e32 v12, 3, v0
	v_mbcnt_lo_u32_b32 v13, -1, 0
	s_mul_i32 s18, s1, s18
	v_lshlrev_b32_e32 v10, 3, v9
	s_waitcnt lgkmcnt(0)
	s_mul_i32 s28, s0, s10
	s_sub_i32 s0, s3, s19
	s_ashr_i32 s29, s28, 31
	s_cmp_ge_u32 s3, s19
	s_cselect_b32 s2, s20, s2
	s_cselect_b32 s0, s0, s3
	s_add_i32 s3, s2, 1
	s_cmp_ge_u32 s0, s19
	s_cselect_b32 s0, s3, s2
	s_add_i32 s2, s11, 7
	s_ashr_i32 s3, s2, 31
	s_lshr_b32 s3, s3, 29
	s_add_i32 s2, s2, s3
	s_ashr_i32 s20, s2, 3
	s_xor_b32 s2, s0, s34
	v_cmp_gt_i32_e64 s0, s20, v9
	s_sub_i32 s34, s2, s34
	s_and_saveexec_b32 s37, s0
	s_cbranch_execz .LBB234_84
; %bb.9:
	s_load_dwordx2 s[2:3], s[4:5], 0x10
	s_sub_i32 s4, s34, s21
	s_ashr_i32 s1, s18, 31
	v_bfe_u32 v11, v0, 2, 3
	v_cmp_eq_u32_e32 vcc_lo, 0, v1
	v_lshlrev_b32_e32 v5, 1, v1
	v_lshlrev_b32_e32 v14, 4, v1
	v_and_b32_e32 v1, 0x7c, v12
	v_lshlrev_b32_e32 v4, 2, v11
	v_subrev_nc_u32_e32 v6, s11, v11
	v_mov_b32_e32 v2, 0
	v_lshlrev_b32_e32 v16, 3, v9
	v_mov_b32_e32 v17, 0xff7fffff
	v_lshl_or_b32 v4, v9, 5, v4
	v_add_nc_u32_e32 v22, 1, v6
	v_mov_b32_e32 v18, 0x80
	v_mov_b32_e32 v19, 0x7f
	;; [unrolled: 1-line block ×3, first 2 shown]
	v_add_nc_u32_e32 v23, 0x60, v4
	v_mov_b32_e32 v21, 8
	s_waitcnt lgkmcnt(0)
	s_add_u32 s38, s2, s18
	s_addc_u32 s39, s3, s1
	s_abs_i32 s5, s22
	v_cmp_neq_f32_e64 s1, s36, 0
	v_cvt_f32_u32_e32 v3, s5
	s_sub_i32 s2, 0, s5
	v_mov_b32_e32 v15, 0xff7fffff
	v_mov_b32_e32 v25, v9
	v_rcp_iflag_f32_e32 v3, v3
	v_mul_f32_e32 v3, 0x4f7ffffe, v3
	v_cvt_u32_f32_e32 v7, v3
	v_lshlrev_b32_e32 v3, 4, v11
	v_mul_lo_u32 v4, s2, v7
	s_lshl_b64 s[2:3], s[28:29], 2
	v_add_co_u32 v6, s38, s38, v3
	s_add_u32 s2, s26, s2
	v_add_co_ci_u32_e64 v8, null, s39, 0, s38
	s_addc_u32 s3, s27, s3
	v_mul_hi_u32 v24, v7, v4
	v_add_co_u32 v3, s2, s2, v1
	v_add_co_ci_u32_e64 v4, null, s3, 0, s2
	v_add_co_u32 v5, s2, v6, v5
	v_add_co_ci_u32_e64 v6, null, 0, v8, s2
	v_add_nc_u32_e32 v24, v7, v24
	s_mov_b32 s38, 0
	s_mov_b32 s39, s17
	s_branch .LBB234_12
.LBB234_10:                             ;   in Loop: Header=BB234_12 Depth=1
	s_or_b32 exec_lo, exec_lo, s40
.LBB234_11:                             ;   in Loop: Header=BB234_12 Depth=1
	s_or_b32 exec_lo, exec_lo, s3
	v_add_nc_u32_e32 v25, 4, v25
	v_add_co_u32 v3, s3, v3, 16
	v_add_co_ci_u32_e64 v4, null, 0, v4, s3
	v_cmp_le_i32_e64 s2, s20, v25
	v_add_nc_u32_e32 v16, 32, v16
	v_add_nc_u32_e32 v23, 0x80, v23
	s_or_b32 s38, s2, s38
	s_andn2_b32 exec_lo, exec_lo, s38
	s_cbranch_execz .LBB234_83
.LBB234_12:                             ; =>This Inner Loop Header: Depth=1
	v_mul_hi_u32 v1, v16, s25
	s_waitcnt lgkmcnt(0)
	v_mul_lo_u32 v7, v1, s19
	v_add_nc_u32_e32 v8, 1, v1
	v_sub_nc_u32_e32 v7, v16, v7
	v_subrev_nc_u32_e32 v26, s19, v7
	v_cmp_le_u32_e64 s2, s19, v7
	v_cndmask_b32_e64 v1, v1, v8, s2
	v_cndmask_b32_e64 v7, v7, v26, s2
	v_add_nc_u32_e32 v8, 1, v1
	v_cmp_le_u32_e64 s2, s19, v7
	v_cndmask_b32_e64 v1, v1, v8, s2
	v_xor_b32_e32 v1, s23, v1
	v_subrev_nc_u32_e32 v1, s23, v1
	v_add_nc_u32_e32 v7, s33, v1
	v_cmp_ge_i32_e64 s3, s4, v1
	v_sub_nc_u32_e32 v8, 0, v7
	v_max_i32_e32 v8, v7, v8
	v_ashrrev_i32_e32 v7, 31, v7
	v_mul_hi_u32 v26, v8, v24
	v_mul_lo_u32 v26, v26, s5
	v_sub_nc_u32_e32 v8, v8, v26
	v_subrev_nc_u32_e32 v26, s5, v8
	v_cmp_le_u32_e64 s2, s5, v8
	v_cndmask_b32_e64 v8, v8, v26, s2
	v_subrev_nc_u32_e32 v26, s5, v8
	v_cmp_le_u32_e64 s2, s5, v8
	v_cndmask_b32_e64 v8, v8, v26, s2
	v_xor_b32_e32 v8, v8, v7
	v_sub_nc_u32_e32 v7, v8, v7
	v_cmp_ne_u32_e64 s2, 0, v7
	s_and_b32 s2, s2, s3
	s_and_saveexec_b32 s3, s2
	s_xor_b32 s2, exec_lo, s3
	s_cbranch_execz .LBB234_16
; %bb.13:                               ;   in Loop: Header=BB234_12 Depth=1
	s_and_saveexec_b32 s3, vcc_lo
; %bb.14:                               ;   in Loop: Header=BB234_12 Depth=1
	ds_write_b32 v23, v17
; %bb.15:                               ;   in Loop: Header=BB234_12 Depth=1
	s_or_b32 exec_lo, exec_lo, s3
.LBB234_16:                             ;   in Loop: Header=BB234_12 Depth=1
	s_andn2_saveexec_b32 s3, s2
	s_cbranch_execz .LBB234_11
; %bb.17:                               ;   in Loop: Header=BB234_12 Depth=1
	global_load_dword v1, v[3:4], off
	v_mov_b32_e32 v27, 0
	global_load_dword v26, v27, s[12:13]
	s_waitcnt vmcnt(1)
	v_mad_i64_i32 v[7:8], null, v1, s39, v[5:6]
	global_load_ushort v28, v[7:8], off
	s_waitcnt vmcnt(0)
	v_and_b32_e32 v1, 0xffff, v28
	v_cmp_ne_u16_sdwa s2, v28, v2 src0_sel:BYTE_0 src1_sel:DWORD
	v_mov_b32_e32 v28, 0
	s_and_saveexec_b32 s40, s2
	s_cbranch_execz .LBB234_25
; %bb.18:                               ;   in Loop: Header=BB234_12 Depth=1
	v_cmp_ne_u16_sdwa s2, v1, v18 src0_sel:BYTE_0 src1_sel:DWORD
	v_mov_b32_e32 v28, 0x8000
	s_and_saveexec_b32 s41, s2
	s_cbranch_execz .LBB234_24
; %bb.19:                               ;   in Loop: Header=BB234_12 Depth=1
	v_and_b32_e32 v30, 0x7f, v1
	v_mov_b32_e32 v28, 0x7c01
	s_mov_b32 s42, exec_lo
	v_cmpx_ne_u32_e32 0x7f, v30
	s_cbranch_execz .LBB234_23
; %bb.20:                               ;   in Loop: Header=BB234_12 Depth=1
	v_and_b32_e32 v28, 7, v1
	v_lshrrev_b32_e32 v29, 3, v30
	s_mov_b32 s43, exec_lo
	v_cmpx_gt_u32_e32 8, v30
; %bb.21:                               ;   in Loop: Header=BB234_12 Depth=1
	v_ffbh_u32_e32 v28, v28
	v_min_u32_e32 v30, 32, v28
	v_subrev_nc_u32_e32 v28, 28, v30
	v_lshlrev_b64 v[28:29], v28, v[1:2]
	v_sub_nc_u32_e32 v29, 29, v30
	v_and_b32_e32 v28, 7, v28
; %bb.22:                               ;   in Loop: Header=BB234_12 Depth=1
	s_or_b32 exec_lo, exec_lo, s43
	v_lshlrev_b32_e32 v30, 8, v1
	v_lshl_add_u32 v29, v29, 10, 0x2000
	v_lshlrev_b32_e32 v28, 7, v28
	v_and_b32_e32 v30, 0x8000, v30
	v_and_b32_e32 v29, 0xfc00, v29
	v_or3_b32 v28, v30, v29, v28
.LBB234_23:                             ;   in Loop: Header=BB234_12 Depth=1
	s_or_b32 exec_lo, exec_lo, s42
.LBB234_24:                             ;   in Loop: Header=BB234_12 Depth=1
	s_or_b32 exec_lo, exec_lo, s41
.LBB234_25:                             ;   in Loop: Header=BB234_12 Depth=1
	s_or_b32 exec_lo, exec_lo, s40
	v_lshrrev_b16 v1, 8, v1
	s_mov_b32 s40, exec_lo
	v_cmpx_ne_u16_e32 0, v1
	s_cbranch_execz .LBB234_33
; %bb.26:                               ;   in Loop: Header=BB234_12 Depth=1
	v_bfrev_b32_e32 v27, 1
	s_mov_b32 s41, exec_lo
	v_cmpx_ne_u16_e32 0x80, v1
	s_cbranch_execz .LBB234_32
; %bb.27:                               ;   in Loop: Header=BB234_12 Depth=1
	v_and_b32_sdwa v30, v1, v19 dst_sel:DWORD dst_unused:UNUSED_PAD src0_sel:WORD_0 src1_sel:DWORD
	v_mov_b32_e32 v27, 0x7c010000
	s_mov_b32 s42, exec_lo
	v_cmpx_ne_u32_e32 0x7f, v30
	s_cbranch_execz .LBB234_31
; %bb.28:                               ;   in Loop: Header=BB234_12 Depth=1
	v_and_b32_sdwa v27, v1, v20 dst_sel:DWORD dst_unused:UNUSED_PAD src0_sel:WORD_0 src1_sel:DWORD
	v_lshrrev_b32_e32 v29, 3, v30
	s_mov_b32 s43, exec_lo
	v_cmpx_gt_u32_e32 8, v30
; %bb.29:                               ;   in Loop: Header=BB234_12 Depth=1
	v_ffbh_u32_e32 v27, v27
	v_min_u32_e32 v27, 32, v27
	v_subrev_nc_u32_e32 v29, 28, v27
	v_lshlrev_b64 v[30:31], v29, v[1:2]
	v_sub_nc_u32_e32 v29, 29, v27
	v_and_b32_e32 v27, 7, v30
; %bb.30:                               ;   in Loop: Header=BB234_12 Depth=1
	s_or_b32 exec_lo, exec_lo, s43
	v_lshlrev_b32_sdwa v1, v21, v1 dst_sel:DWORD dst_unused:UNUSED_PAD src0_sel:DWORD src1_sel:WORD_0
	v_lshl_add_u32 v29, v29, 10, 0x2000
	v_lshlrev_b32_e32 v27, 23, v27
	v_and_or_b32 v1, 0x8000, v1, v29
	v_lshl_or_b32 v27, v1, 16, v27
.LBB234_31:                             ;   in Loop: Header=BB234_12 Depth=1
	s_or_b32 exec_lo, exec_lo, s42
.LBB234_32:                             ;   in Loop: Header=BB234_12 Depth=1
	s_or_b32 exec_lo, exec_lo, s41
.LBB234_33:                             ;   in Loop: Header=BB234_12 Depth=1
	s_or_b32 exec_lo, exec_lo, s40
	global_load_ushort v30, v[7:8], off offset:8
	v_mov_b32_e32 v29, 0
	s_waitcnt vmcnt(0)
	v_and_b32_e32 v1, 0xffff, v30
	v_cmp_ne_u16_sdwa s2, v30, v2 src0_sel:BYTE_0 src1_sel:DWORD
	v_mov_b32_e32 v30, 0
	s_and_saveexec_b32 s40, s2
	s_cbranch_execz .LBB234_41
; %bb.34:                               ;   in Loop: Header=BB234_12 Depth=1
	v_cmp_ne_u16_sdwa s2, v1, v18 src0_sel:BYTE_0 src1_sel:DWORD
	v_mov_b32_e32 v30, 0x8000
	s_and_saveexec_b32 s41, s2
	s_cbranch_execz .LBB234_40
; %bb.35:                               ;   in Loop: Header=BB234_12 Depth=1
	v_and_b32_e32 v32, 0x7f, v1
	v_mov_b32_e32 v30, 0x7c01
	s_mov_b32 s42, exec_lo
	v_cmpx_ne_u32_e32 0x7f, v32
	s_cbranch_execz .LBB234_39
; %bb.36:                               ;   in Loop: Header=BB234_12 Depth=1
	v_and_b32_e32 v30, 7, v1
	v_lshrrev_b32_e32 v31, 3, v32
	s_mov_b32 s43, exec_lo
	v_cmpx_gt_u32_e32 8, v32
; %bb.37:                               ;   in Loop: Header=BB234_12 Depth=1
	v_ffbh_u32_e32 v30, v30
	v_min_u32_e32 v32, 32, v30
	v_subrev_nc_u32_e32 v30, 28, v32
	v_lshlrev_b64 v[30:31], v30, v[1:2]
	v_sub_nc_u32_e32 v31, 29, v32
	v_and_b32_e32 v30, 7, v30
; %bb.38:                               ;   in Loop: Header=BB234_12 Depth=1
	s_or_b32 exec_lo, exec_lo, s43
	v_lshlrev_b32_e32 v32, 8, v1
	v_lshl_add_u32 v31, v31, 10, 0x2000
	v_lshlrev_b32_e32 v30, 7, v30
	v_and_b32_e32 v32, 0x8000, v32
	v_and_b32_e32 v31, 0xfc00, v31
	v_or3_b32 v30, v32, v31, v30
.LBB234_39:                             ;   in Loop: Header=BB234_12 Depth=1
	s_or_b32 exec_lo, exec_lo, s42
.LBB234_40:                             ;   in Loop: Header=BB234_12 Depth=1
	s_or_b32 exec_lo, exec_lo, s41
.LBB234_41:                             ;   in Loop: Header=BB234_12 Depth=1
	s_or_b32 exec_lo, exec_lo, s40
	v_lshrrev_b16 v1, 8, v1
	s_mov_b32 s40, exec_lo
	v_cmpx_ne_u16_e32 0, v1
	s_cbranch_execz .LBB234_49
; %bb.42:                               ;   in Loop: Header=BB234_12 Depth=1
	v_bfrev_b32_e32 v29, 1
	s_mov_b32 s41, exec_lo
	v_cmpx_ne_u16_e32 0x80, v1
	s_cbranch_execz .LBB234_48
; %bb.43:                               ;   in Loop: Header=BB234_12 Depth=1
	v_and_b32_sdwa v32, v1, v19 dst_sel:DWORD dst_unused:UNUSED_PAD src0_sel:WORD_0 src1_sel:DWORD
	v_mov_b32_e32 v29, 0x7c010000
	s_mov_b32 s42, exec_lo
	v_cmpx_ne_u32_e32 0x7f, v32
	s_cbranch_execz .LBB234_47
; %bb.44:                               ;   in Loop: Header=BB234_12 Depth=1
	v_and_b32_sdwa v29, v1, v20 dst_sel:DWORD dst_unused:UNUSED_PAD src0_sel:WORD_0 src1_sel:DWORD
	v_lshrrev_b32_e32 v31, 3, v32
	s_mov_b32 s43, exec_lo
	v_cmpx_gt_u32_e32 8, v32
; %bb.45:                               ;   in Loop: Header=BB234_12 Depth=1
	v_ffbh_u32_e32 v29, v29
	v_min_u32_e32 v29, 32, v29
	v_subrev_nc_u32_e32 v31, 28, v29
	v_lshlrev_b64 v[32:33], v31, v[1:2]
	v_sub_nc_u32_e32 v31, 29, v29
	v_and_b32_e32 v29, 7, v32
; %bb.46:                               ;   in Loop: Header=BB234_12 Depth=1
	s_or_b32 exec_lo, exec_lo, s43
	v_lshlrev_b32_sdwa v1, v21, v1 dst_sel:DWORD dst_unused:UNUSED_PAD src0_sel:DWORD src1_sel:WORD_0
	v_lshl_add_u32 v31, v31, 10, 0x2000
	v_lshlrev_b32_e32 v29, 23, v29
	v_and_or_b32 v1, 0x8000, v1, v31
	v_lshl_or_b32 v29, v1, 16, v29
.LBB234_47:                             ;   in Loop: Header=BB234_12 Depth=1
	s_or_b32 exec_lo, exec_lo, s42
.LBB234_48:                             ;   in Loop: Header=BB234_12 Depth=1
	s_or_b32 exec_lo, exec_lo, s41
.LBB234_49:                             ;   in Loop: Header=BB234_12 Depth=1
	s_or_b32 exec_lo, exec_lo, s40
	global_load_ushort v32, v[7:8], off offset:128
	v_mov_b32_e32 v31, 0
	s_waitcnt vmcnt(0)
	v_and_b32_e32 v1, 0xffff, v32
	v_cmp_ne_u16_sdwa s2, v32, v2 src0_sel:BYTE_0 src1_sel:DWORD
	v_mov_b32_e32 v32, 0
	s_and_saveexec_b32 s40, s2
	s_cbranch_execz .LBB234_57
; %bb.50:                               ;   in Loop: Header=BB234_12 Depth=1
	v_cmp_ne_u16_sdwa s2, v1, v18 src0_sel:BYTE_0 src1_sel:DWORD
	v_mov_b32_e32 v32, 0x8000
	s_and_saveexec_b32 s41, s2
	s_cbranch_execz .LBB234_56
; %bb.51:                               ;   in Loop: Header=BB234_12 Depth=1
	v_and_b32_e32 v34, 0x7f, v1
	v_mov_b32_e32 v32, 0x7c01
	s_mov_b32 s42, exec_lo
	v_cmpx_ne_u32_e32 0x7f, v34
	s_cbranch_execz .LBB234_55
; %bb.52:                               ;   in Loop: Header=BB234_12 Depth=1
	v_and_b32_e32 v32, 7, v1
	v_lshrrev_b32_e32 v33, 3, v34
	s_mov_b32 s43, exec_lo
	v_cmpx_gt_u32_e32 8, v34
; %bb.53:                               ;   in Loop: Header=BB234_12 Depth=1
	v_ffbh_u32_e32 v32, v32
	v_min_u32_e32 v34, 32, v32
	v_subrev_nc_u32_e32 v32, 28, v34
	v_lshlrev_b64 v[32:33], v32, v[1:2]
	v_sub_nc_u32_e32 v33, 29, v34
	v_and_b32_e32 v32, 7, v32
; %bb.54:                               ;   in Loop: Header=BB234_12 Depth=1
	s_or_b32 exec_lo, exec_lo, s43
	v_lshlrev_b32_e32 v34, 8, v1
	v_lshl_add_u32 v33, v33, 10, 0x2000
	v_lshlrev_b32_e32 v32, 7, v32
	v_and_b32_e32 v34, 0x8000, v34
	v_and_b32_e32 v33, 0xfc00, v33
	v_or3_b32 v32, v34, v33, v32
.LBB234_55:                             ;   in Loop: Header=BB234_12 Depth=1
	s_or_b32 exec_lo, exec_lo, s42
.LBB234_56:                             ;   in Loop: Header=BB234_12 Depth=1
	s_or_b32 exec_lo, exec_lo, s41
.LBB234_57:                             ;   in Loop: Header=BB234_12 Depth=1
	s_or_b32 exec_lo, exec_lo, s40
	v_lshrrev_b16 v1, 8, v1
	s_mov_b32 s40, exec_lo
	v_cmpx_ne_u16_e32 0, v1
	s_cbranch_execz .LBB234_65
; %bb.58:                               ;   in Loop: Header=BB234_12 Depth=1
	v_bfrev_b32_e32 v31, 1
	s_mov_b32 s41, exec_lo
	v_cmpx_ne_u16_e32 0x80, v1
	s_cbranch_execz .LBB234_64
; %bb.59:                               ;   in Loop: Header=BB234_12 Depth=1
	v_and_b32_sdwa v34, v1, v19 dst_sel:DWORD dst_unused:UNUSED_PAD src0_sel:WORD_0 src1_sel:DWORD
	v_mov_b32_e32 v31, 0x7c010000
	s_mov_b32 s42, exec_lo
	v_cmpx_ne_u32_e32 0x7f, v34
	s_cbranch_execz .LBB234_63
; %bb.60:                               ;   in Loop: Header=BB234_12 Depth=1
	v_and_b32_sdwa v31, v1, v20 dst_sel:DWORD dst_unused:UNUSED_PAD src0_sel:WORD_0 src1_sel:DWORD
	v_lshrrev_b32_e32 v33, 3, v34
	s_mov_b32 s43, exec_lo
	v_cmpx_gt_u32_e32 8, v34
; %bb.61:                               ;   in Loop: Header=BB234_12 Depth=1
	v_ffbh_u32_e32 v31, v31
	v_min_u32_e32 v31, 32, v31
	v_subrev_nc_u32_e32 v33, 28, v31
	v_lshlrev_b64 v[34:35], v33, v[1:2]
	v_sub_nc_u32_e32 v33, 29, v31
	v_and_b32_e32 v31, 7, v34
; %bb.62:                               ;   in Loop: Header=BB234_12 Depth=1
	s_or_b32 exec_lo, exec_lo, s43
	v_lshlrev_b32_sdwa v1, v21, v1 dst_sel:DWORD dst_unused:UNUSED_PAD src0_sel:DWORD src1_sel:WORD_0
	v_lshl_add_u32 v33, v33, 10, 0x2000
	v_lshlrev_b32_e32 v31, 23, v31
	v_and_or_b32 v1, 0x8000, v1, v33
	v_lshl_or_b32 v31, v1, 16, v31
.LBB234_63:                             ;   in Loop: Header=BB234_12 Depth=1
	s_or_b32 exec_lo, exec_lo, s42
.LBB234_64:                             ;   in Loop: Header=BB234_12 Depth=1
	s_or_b32 exec_lo, exec_lo, s41
.LBB234_65:                             ;   in Loop: Header=BB234_12 Depth=1
	s_or_b32 exec_lo, exec_lo, s40
	global_load_ushort v8, v[7:8], off offset:136
	v_mov_b32_e32 v7, 0
	s_waitcnt vmcnt(0)
	v_and_b32_e32 v1, 0xffff, v8
	v_cmp_ne_u16_sdwa s2, v8, v2 src0_sel:BYTE_0 src1_sel:DWORD
	v_mov_b32_e32 v8, 0
	s_and_saveexec_b32 s40, s2
	s_cbranch_execz .LBB234_73
; %bb.66:                               ;   in Loop: Header=BB234_12 Depth=1
	v_cmp_ne_u16_sdwa s2, v1, v18 src0_sel:BYTE_0 src1_sel:DWORD
	v_mov_b32_e32 v8, 0x8000
	s_and_saveexec_b32 s41, s2
	s_cbranch_execz .LBB234_72
; %bb.67:                               ;   in Loop: Header=BB234_12 Depth=1
	v_and_b32_e32 v34, 0x7f, v1
	v_mov_b32_e32 v8, 0x7c01
	s_mov_b32 s42, exec_lo
	v_cmpx_ne_u32_e32 0x7f, v34
	s_cbranch_execz .LBB234_71
; %bb.68:                               ;   in Loop: Header=BB234_12 Depth=1
	v_and_b32_e32 v8, 7, v1
	v_lshrrev_b32_e32 v33, 3, v34
	s_mov_b32 s43, exec_lo
	v_cmpx_gt_u32_e32 8, v34
; %bb.69:                               ;   in Loop: Header=BB234_12 Depth=1
	v_ffbh_u32_e32 v8, v8
	v_min_u32_e32 v8, 32, v8
	v_subrev_nc_u32_e32 v33, 28, v8
	v_lshlrev_b64 v[34:35], v33, v[1:2]
	v_sub_nc_u32_e32 v33, 29, v8
	v_and_b32_e32 v8, 7, v34
; %bb.70:                               ;   in Loop: Header=BB234_12 Depth=1
	s_or_b32 exec_lo, exec_lo, s43
	v_lshlrev_b32_e32 v34, 8, v1
	v_lshl_add_u32 v33, v33, 10, 0x2000
	v_lshlrev_b32_e32 v8, 7, v8
	v_and_b32_e32 v34, 0x8000, v34
	v_and_b32_e32 v33, 0xfc00, v33
	v_or3_b32 v8, v34, v33, v8
.LBB234_71:                             ;   in Loop: Header=BB234_12 Depth=1
	s_or_b32 exec_lo, exec_lo, s42
.LBB234_72:                             ;   in Loop: Header=BB234_12 Depth=1
	s_or_b32 exec_lo, exec_lo, s41
.LBB234_73:                             ;   in Loop: Header=BB234_12 Depth=1
	s_or_b32 exec_lo, exec_lo, s40
	v_lshrrev_b16 v1, 8, v1
	s_mov_b32 s40, exec_lo
	v_cmpx_ne_u16_e32 0, v1
	s_cbranch_execz .LBB234_81
; %bb.74:                               ;   in Loop: Header=BB234_12 Depth=1
	v_bfrev_b32_e32 v7, 1
	s_mov_b32 s41, exec_lo
	v_cmpx_ne_u16_e32 0x80, v1
	s_cbranch_execz .LBB234_80
; %bb.75:                               ;   in Loop: Header=BB234_12 Depth=1
	v_and_b32_sdwa v34, v1, v19 dst_sel:DWORD dst_unused:UNUSED_PAD src0_sel:WORD_0 src1_sel:DWORD
	v_mov_b32_e32 v7, 0x7c010000
	s_mov_b32 s42, exec_lo
	v_cmpx_ne_u32_e32 0x7f, v34
	s_cbranch_execz .LBB234_79
; %bb.76:                               ;   in Loop: Header=BB234_12 Depth=1
	v_and_b32_sdwa v7, v1, v20 dst_sel:DWORD dst_unused:UNUSED_PAD src0_sel:WORD_0 src1_sel:DWORD
	v_lshrrev_b32_e32 v33, 3, v34
	s_mov_b32 s43, exec_lo
	v_cmpx_gt_u32_e32 8, v34
; %bb.77:                               ;   in Loop: Header=BB234_12 Depth=1
	v_ffbh_u32_e32 v7, v7
	v_min_u32_e32 v7, 32, v7
	v_subrev_nc_u32_e32 v33, 28, v7
	v_lshlrev_b64 v[34:35], v33, v[1:2]
	v_sub_nc_u32_e32 v33, 29, v7
	v_and_b32_e32 v7, 7, v34
; %bb.78:                               ;   in Loop: Header=BB234_12 Depth=1
	s_or_b32 exec_lo, exec_lo, s43
	v_lshlrev_b32_sdwa v1, v21, v1 dst_sel:DWORD dst_unused:UNUSED_PAD src0_sel:DWORD src1_sel:WORD_0
	v_lshl_add_u32 v33, v33, 10, 0x2000
	v_lshlrev_b32_e32 v7, 23, v7
	v_and_or_b32 v1, 0x8000, v1, v33
	v_lshl_or_b32 v7, v1, 16, v7
.LBB234_79:                             ;   in Loop: Header=BB234_12 Depth=1
	s_or_b32 exec_lo, exec_lo, s42
.LBB234_80:                             ;   in Loop: Header=BB234_12 Depth=1
	s_or_b32 exec_lo, exec_lo, s41
.LBB234_81:                             ;   in Loop: Header=BB234_12 Depth=1
	s_or_b32 exec_lo, exec_lo, s40
	ds_read_b32 v1, v14
	v_or_b32_e32 v28, v27, v28
	v_fma_mixlo_f16 v27, v26, v27, 0 op_sel:[0,1,0] op_sel_hi:[0,1,0]
	v_or_b32_e32 v30, v29, v30
	v_fma_mixlo_f16 v29, v26, v29, 0 op_sel:[0,1,0] op_sel_hi:[0,1,0]
	v_or_b32_e32 v32, v31, v32
	v_fma_mixlo_f16 v28, v26, v28, 0 op_sel_hi:[0,1,0]
	v_and_b32_e32 v35, 0xffff, v27
	v_fma_mixlo_f16 v30, v26, v30, 0 op_sel_hi:[0,1,0]
	v_and_b32_e32 v37, 0xffff, v29
	;; [unrolled: 2-line block ×3, first 2 shown]
	v_fma_mixlo_f16 v31, v26, v31, 0 op_sel:[0,1,0] op_sel_hi:[0,1,0]
	v_and_b32_e32 v36, 0xffff, v30
	v_or_b32_e32 v8, v7, v8
	v_and_b32_e32 v38, 0xffff, v32
	v_fma_mixlo_f16 v7, v26, v7, 0 op_sel:[0,1,0] op_sel_hi:[0,1,0]
	v_and_b32_e32 v39, 0xffff, v31
	v_fma_mixlo_f16 v8, v26, v8, 0 op_sel_hi:[0,1,0]
	s_waitcnt lgkmcnt(0)
	v_and_b32_e32 v33, 0xffff, v1
	v_lshrrev_b32_e32 v34, 16, v1
	;;#ASMSTART
	v_cvt_f32_f16 v1, v33;
	;;#ASMEND
	;;#ASMSTART
	v_cvt_f32_f16 v27, v34;
	;;#ASMEND
	;;#ASMSTART
	v_cvt_f32_f16 v28, v28;
	;;#ASMEND
	;;#ASMSTART
	v_cvt_f32_f16 v33, v35;
	;;#ASMEND
	ds_read_b32 v34, v14 offset:4
	s_waitcnt lgkmcnt(0)
	v_and_b32_e32 v35, 0xffff, v34
	v_lshrrev_b32_e32 v34, 16, v34
	;;#ASMSTART
	v_cvt_f32_f16 v29, v35;
	;;#ASMEND
	;;#ASMSTART
	v_cvt_f32_f16 v30, v34;
	;;#ASMEND
	;; [unrolled: 3-line block ×4, first 2 shown]
	ds_read_b32 v36, v14 offset:8
	v_mul_f32_e32 v26, v29, v34
	v_mul_f32_e32 v29, v30, v35
	v_and_b32_e32 v30, 0xffff, v7
	v_fmac_f32_e32 v26, v1, v28
	v_fmac_f32_e32 v29, v27, v33
	v_and_b32_e32 v28, 0xffff, v8
	s_waitcnt lgkmcnt(0)
	v_and_b32_e32 v37, 0xffff, v36
	v_lshrrev_b32_e32 v36, 16, v36
	;;#ASMSTART
	v_cvt_f32_f16 v31, v37;
	;;#ASMEND
	;;#ASMSTART
	v_cvt_f32_f16 v32, v36;
	;;#ASMEND
	;; [unrolled: 3-line block ×4, first 2 shown]
	ds_read_b32 v38, v14 offset:12
	v_xor_b32_e32 v39, 2, v13
	v_fmac_f32_e32 v26, v31, v36
	v_fmac_f32_e32 v29, v32, v37
	v_cmp_gt_i32_e64 s2, 32, v39
	v_cndmask_b32_e64 v7, v13, v39, s2
	s_waitcnt lgkmcnt(0)
	v_and_b32_e32 v1, 0xffff, v38
	v_lshrrev_b32_e32 v27, 16, v38
	;;#ASMSTART
	v_cvt_f32_f16 v1, v1;
	;;#ASMEND
	;;#ASMSTART
	v_cvt_f32_f16 v8, v27;
	;;#ASMEND
	;; [unrolled: 3-line block ×4, first 2 shown]
	v_fmac_f32_e32 v26, v1, v27
	v_fmac_f32_e32 v29, v8, v28
	v_lshlrev_b32_e32 v1, 2, v7
	v_xor_b32_e32 v8, 1, v13
	v_add_f32_e32 v7, v26, v29
	v_cmp_gt_i32_e64 s2, 32, v8
	ds_bpermute_b32 v1, v1, v7
	v_cndmask_b32_e64 v8, v13, v8, s2
	s_waitcnt lgkmcnt(0)
	v_add_f32_e32 v1, v7, v1
	v_lshlrev_b32_e32 v7, 2, v8
	ds_bpermute_b32 v7, v7, v1
	s_and_saveexec_b32 s40, vcc_lo
	s_cbranch_execz .LBB234_10
; %bb.82:                               ;   in Loop: Header=BB234_12 Depth=1
	v_add_nc_u32_e32 v8, v22, v16
	s_waitcnt lgkmcnt(0)
	v_add_f32_e32 v1, v1, v7
	v_cvt_f32_i32_e32 v8, v8
	v_mul_f32_e32 v8, s36, v8
	v_cndmask_b32_e64 v7, 0, v8, s1
	v_max_f32_e32 v8, v15, v15
	v_fmac_f32_e32 v7, s35, v1
	v_add_nc_u32_e32 v1, v11, v16
	v_max_f32_e32 v8, v8, v7
	v_cmp_gt_i32_e64 s2, s11, v1
	v_cndmask_b32_e64 v1, 0, v7, s2
	v_cndmask_b32_e64 v15, v15, v8, s2
	ds_write_b32 v23, v1
	s_branch .LBB234_10
.LBB234_83:
	s_or_b32 exec_lo, exec_lo, s38
.LBB234_84:
	s_or_b32 exec_lo, exec_lo, s37
	v_xor_b32_e32 v1, 16, v13
	v_xor_b32_e32 v3, 8, v13
	v_max_f32_e32 v4, v15, v15
	v_xor_b32_e32 v5, 4, v13
	v_and_b32_e32 v11, 31, v0
	v_cmp_gt_i32_e32 vcc_lo, 32, v1
	v_cndmask_b32_e32 v1, v13, v1, vcc_lo
	v_cmp_gt_i32_e32 vcc_lo, 32, v3
	v_lshlrev_b32_e32 v2, 2, v1
	v_cndmask_b32_e32 v3, v13, v3, vcc_lo
	v_cmp_gt_i32_e32 vcc_lo, 32, v5
	ds_bpermute_b32 v1, v2, v15
	v_lshlrev_b32_e32 v3, 2, v3
	v_cndmask_b32_e32 v5, v13, v5, vcc_lo
	v_cmp_eq_u32_e32 vcc_lo, 0, v11
	v_lshlrev_b32_e32 v6, 2, v5
	s_waitcnt lgkmcnt(0)
	v_max_f32_e32 v1, v1, v1
	v_max_f32_e32 v1, v4, v1
	ds_bpermute_b32 v4, v3, v1
	s_waitcnt lgkmcnt(0)
	v_max_f32_e32 v4, v4, v4
	v_max_f32_e32 v1, v1, v4
	v_lshlrev_b32_e32 v4, 2, v9
	ds_bpermute_b32 v5, v6, v1
	s_and_saveexec_b32 s1, vcc_lo
	s_cbranch_execz .LBB234_86
; %bb.85:
	s_waitcnt lgkmcnt(0)
	v_max_f32_e32 v5, v5, v5
	v_max_f32_e32 v1, v1, v1
	;; [unrolled: 1-line block ×3, first 2 shown]
	ds_write_b32 v4, v1 offset:64
.LBB234_86:
	s_or_b32 exec_lo, exec_lo, s1
	v_cmp_gt_u32_e64 s1, 4, v11
	v_mov_b32_e32 v1, 0xff7fffff
	s_waitcnt lgkmcnt(0)
	v_lshlrev_b32_e32 v5, 2, v11
	s_barrier
	buffer_gl0_inv
	s_and_saveexec_b32 s2, s1
; %bb.87:
	ds_read_b32 v1, v5 offset:64
; %bb.88:
	s_or_b32 exec_lo, exec_lo, s2
	v_xor_b32_e32 v7, 2, v13
	v_xor_b32_e32 v14, 1, v13
	v_cmp_gt_i32_e64 s2, 32, v7
	v_cndmask_b32_e64 v7, v13, v7, s2
	v_cmp_gt_i32_e64 s2, 32, v14
	v_lshlrev_b32_e32 v7, 2, v7
	v_cndmask_b32_e64 v13, v13, v14, s2
	s_lshl_b32 s2, s20, 3
	s_min_i32 s4, s2, s11
	s_waitcnt lgkmcnt(0)
	ds_bpermute_b32 v8, v7, v1
	v_max_f32_e32 v1, v1, v1
	v_cmp_gt_i32_e64 s2, s4, v0
	s_waitcnt lgkmcnt(0)
	v_max_f32_e32 v14, v8, v8
	v_lshlrev_b32_e32 v8, 2, v13
	v_max_f32_e32 v1, v1, v14
	ds_bpermute_b32 v13, v8, v1
	s_waitcnt lgkmcnt(0)
	v_max_f32_e32 v13, v13, v13
	v_max_f32_e32 v1, v1, v13
	v_mov_b32_e32 v13, 0
	ds_bpermute_b32 v14, v13, v1
	v_lshl_add_u32 v1, v0, 2, 0x60
	s_and_saveexec_b32 s5, s2
	s_cbranch_execz .LBB234_92
; %bb.89:
	v_lshl_add_u32 v15, v0, 2, 0x60
	v_mov_b32_e32 v13, 0
	v_mov_b32_e32 v16, v0
	s_mov_b32 s12, 0
	.p2align	6
.LBB234_90:                             ; =>This Inner Loop Header: Depth=1
	ds_read_b32 v17, v15
	v_add_nc_u32_e32 v16, 0x80, v16
	v_cmp_le_i32_e64 s3, s4, v16
	s_or_b32 s12, s3, s12
	s_waitcnt lgkmcnt(0)
	v_sub_f32_e32 v17, v17, v14
	v_mul_f32_e32 v17, 0x3fb8aa3b, v17
	v_exp_f32_e32 v17, v17
	ds_write_b32 v15, v17
	v_add_f32_e32 v13, v13, v17
	v_add_nc_u32_e32 v15, 0x200, v15
	s_andn2_b32 exec_lo, exec_lo, s12
	s_cbranch_execnz .LBB234_90
; %bb.91:
	s_or_b32 exec_lo, exec_lo, s12
.LBB234_92:
	s_or_b32 exec_lo, exec_lo, s5
	ds_bpermute_b32 v2, v2, v13
	s_waitcnt lgkmcnt(0)
	v_add_f32_e32 v2, v13, v2
	ds_bpermute_b32 v3, v3, v2
	s_waitcnt lgkmcnt(0)
	v_add_f32_e32 v2, v2, v3
	;; [unrolled: 3-line block ×5, first 2 shown]
	s_and_saveexec_b32 s3, vcc_lo
; %bb.93:
	ds_write_b32 v4, v2 offset:80
; %bb.94:
	s_or_b32 exec_lo, exec_lo, s3
	s_waitcnt lgkmcnt(0)
	s_barrier
	buffer_gl0_inv
	s_and_saveexec_b32 s3, s1
; %bb.95:
	ds_read_b32 v2, v5 offset:80
; %bb.96:
	s_or_b32 exec_lo, exec_lo, s3
	s_waitcnt lgkmcnt(0)
	ds_bpermute_b32 v3, v7, v2
	s_waitcnt lgkmcnt(0)
	v_add_f32_e32 v2, v2, v3
	ds_bpermute_b32 v3, v8, v2
	s_waitcnt lgkmcnt(0)
	v_add_f32_e32 v2, v2, v3
	v_mov_b32_e32 v3, 0
	ds_bpermute_b32 v2, v3, v2
	s_and_saveexec_b32 s1, s2
	s_cbranch_execz .LBB234_99
; %bb.97:
	s_waitcnt lgkmcnt(0)
	v_add_f32_e32 v2, 0x358637bd, v2
	s_mov_b32 s2, 0
	v_div_scale_f32 v3, null, v2, v2, 1.0
	v_div_scale_f32 v6, vcc_lo, 1.0, v2, 1.0
	v_rcp_f32_e32 v4, v3
	v_fma_f32 v5, -v3, v4, 1.0
	v_fmac_f32_e32 v4, v5, v4
	v_mul_f32_e32 v5, v6, v4
	v_fma_f32 v7, -v3, v5, v6
	v_fmac_f32_e32 v5, v7, v4
	v_fma_f32 v3, -v3, v5, v6
	v_div_fmas_f32 v3, v3, v4, v5
	v_div_fixup_f32 v2, v3, v2, 1.0
	v_mov_b32_e32 v3, v0
.LBB234_98:                             ; =>This Inner Loop Header: Depth=1
	ds_read_b32 v4, v1
	v_add_nc_u32_e32 v3, 0x80, v3
	v_cmp_le_i32_e32 vcc_lo, s4, v3
	s_or_b32 s2, vcc_lo, s2
	s_waitcnt lgkmcnt(0)
	v_mul_f32_e32 v4, v2, v4
	ds_write_b32 v1, v4
	v_add_nc_u32_e32 v1, 0x200, v1
	s_andn2_b32 exec_lo, exec_lo, s2
	s_cbranch_execnz .LBB234_98
.LBB234_99:
	s_or_b32 exec_lo, exec_lo, s1
	v_mov_b32_e32 v13, 0
	s_waitcnt lgkmcnt(0)
	s_barrier
	buffer_gl0_inv
	s_and_saveexec_b32 s4, s0
	s_cbranch_execz .LBB234_171
; %bb.100:
	s_sub_i32 s5, s34, s21
	s_ashr_i32 s0, s18, 31
	s_add_u32 s2, s30, s18
	s_addc_u32 s3, s31, s0
	s_abs_i32 s12, s22
	v_lshlrev_b32_e32 v3, 3, v11
	v_cvt_f32_u32_e32 v1, s12
	s_sub_i32 s0, 0, s12
	v_and_b32_e32 v5, 0x7c, v12
	s_mov_b32 s13, s17
	s_add_i32 s17, s20, -1
	v_rcp_iflag_f32_e32 v1, v1
	v_add_co_u32 v3, s2, s2, v3
	v_mov_b32_e32 v2, 0
	v_lshl_add_u32 v12, v9, 5, 0x60
	v_mov_b32_e32 v14, 0x7f
	v_mov_b32_e32 v15, 0x80
	;; [unrolled: 1-line block ×5, first 2 shown]
	v_mul_f32_e32 v1, 0x4f7ffffe, v1
	v_bfrev_b32_e32 v19, 1
	v_mov_b32_e32 v20, v9
	v_mov_b32_e32 v13, 0
	v_cvt_u32_f32_e32 v1, v1
	v_mul_lo_u32 v4, s0, v1
	s_lshl_b64 s[0:1], s[28:29], 2
	s_add_u32 s0, s26, s0
	s_addc_u32 s1, s27, s1
	v_add_co_u32 v5, s0, s0, v5
	v_add_co_ci_u32_e64 v6, null, s1, 0, s0
	v_mul_hi_u32 v7, v1, v4
	v_add_co_ci_u32_e64 v4, null, s3, 0, s2
	s_mov_b32 s2, 0
	s_mov_b32 s3, 0x1000000
	;; [unrolled: 1-line block ×3, first 2 shown]
	v_add_nc_u32_e32 v21, v1, v7
	s_branch .LBB234_103
.LBB234_101:                            ;   in Loop: Header=BB234_103 Depth=1
	s_or_b32 exec_lo, exec_lo, s0
	v_and_b32_e32 v1, 0xffff, v26
	v_and_b32_e32 v7, 0xffff, v27
	;; [unrolled: 1-line block ×4, first 2 shown]
	v_lshl_or_b32 v1, v22, 16, v1
	v_lshl_or_b32 v7, v23, 16, v7
	;; [unrolled: 1-line block ×4, first 2 shown]
	;;#ASMSTART
	v_pk_mul_f16 v1, v1, v37;

	;;#ASMEND
	;;#ASMSTART
	v_pk_mul_f16 v7, v7, v34;

	;;#ASMEND
	;; [unrolled: 4-line block ×4, first 2 shown]
	;;#ASMSTART
	v_pk_add_f16 v1, v1, v7;

	;;#ASMEND
	;;#ASMSTART
	v_pk_add_f16 v1, v1, v8;

	;;#ASMEND
	;; [unrolled: 4-line block ×3, first 2 shown]
	v_and_b32_e32 v7, 0xffff, v1
	v_lshrrev_b32_e32 v8, 16, v1
	;;#ASMSTART
	v_cvt_f32_f16 v1, v7;
	;;#ASMEND
	;;#ASMSTART
	v_cvt_f32_f16 v7, v8;
	;;#ASMEND
	v_add_f32_e32 v1, v1, v7
	v_add_f32_e32 v13, v13, v1
.LBB234_102:                            ;   in Loop: Header=BB234_103 Depth=1
	s_or_b32 exec_lo, exec_lo, s21
	v_add_nc_u32_e32 v20, 4, v20
	v_add_co_u32 v5, s0, v5, 16
	v_add_co_ci_u32_e64 v6, null, 0, v6, s0
	v_cmp_le_i32_e32 vcc_lo, s20, v20
	v_add_nc_u32_e32 v10, 32, v10
	v_add_nc_u32_e32 v12, 0x80, v12
	s_or_b32 s18, vcc_lo, s18
	s_andn2_b32 exec_lo, exec_lo, s18
	s_cbranch_execz .LBB234_170
.LBB234_103:                            ; =>This Inner Loop Header: Depth=1
	v_mul_hi_u32 v1, v10, s25
	v_mul_lo_u32 v7, v1, s19
	v_add_nc_u32_e32 v8, 1, v1
	v_sub_nc_u32_e32 v7, v10, v7
	v_subrev_nc_u32_e32 v22, s19, v7
	v_cmp_le_u32_e32 vcc_lo, s19, v7
	v_cndmask_b32_e32 v1, v1, v8, vcc_lo
	v_cndmask_b32_e32 v7, v7, v22, vcc_lo
	v_add_nc_u32_e32 v8, 1, v1
	v_cmp_le_u32_e32 vcc_lo, s19, v7
	v_cndmask_b32_e32 v1, v1, v8, vcc_lo
	v_xor_b32_e32 v1, s23, v1
	v_subrev_nc_u32_e32 v1, s23, v1
	v_add_nc_u32_e32 v7, s33, v1
	v_cmp_lt_i32_e64 s0, s5, v1
	v_sub_nc_u32_e32 v8, 0, v7
	v_max_i32_e32 v8, v7, v8
	v_ashrrev_i32_e32 v7, 31, v7
	v_mul_hi_u32 v22, v8, v21
	v_mul_lo_u32 v22, v22, s12
	v_sub_nc_u32_e32 v8, v8, v22
	v_subrev_nc_u32_e32 v22, s12, v8
	v_cmp_le_u32_e32 vcc_lo, s12, v8
	v_cndmask_b32_e32 v8, v8, v22, vcc_lo
	v_subrev_nc_u32_e32 v22, s12, v8
	v_cmp_le_u32_e32 vcc_lo, s12, v8
	v_cndmask_b32_e32 v8, v8, v22, vcc_lo
	v_xor_b32_e32 v8, v8, v7
	v_sub_nc_u32_e32 v7, v8, v7
	v_cmp_eq_u32_e32 vcc_lo, 0, v7
	s_or_b32 s0, vcc_lo, s0
	s_and_saveexec_b32 s21, s0
	s_cbranch_execz .LBB234_102
; %bb.104:                              ;   in Loop: Header=BB234_103 Depth=1
	ds_read2_b64 v[22:25], v12 offset1:1
	ds_read2_b64 v[28:31], v12 offset0:2 offset1:3
	s_mov_b32 s1, 0
	s_waitcnt lgkmcnt(1)
	;;#ASMSTART
	v_cvt_f16_f32 v26, v22;

	;;#ASMEND
	;;#ASMSTART
	v_cvt_f16_f32 v22, v23;

	;;#ASMEND
	;; [unrolled: 4-line block ×4, first 2 shown]
	s_waitcnt lgkmcnt(0)
	;;#ASMSTART
	v_cvt_f16_f32 v28, v28;

	;;#ASMEND
	;;#ASMSTART
	v_cvt_f16_f32 v24, v29;

	;;#ASMEND
	;; [unrolled: 4-line block ×4, first 2 shown]
	global_load_dword v1, v[5:6], off
	s_waitcnt vmcnt(0)
	v_mad_i64_i32 v[7:8], null, v1, s13, v[3:4]
	global_load_dwordx2 v[7:8], v[7:8], off
	global_load_dword v30, v2, s[14:15]
	s_waitcnt vmcnt(1)
	v_cmp_gt_i16_sdwa s0, v7, v14 src0_sel:BYTE_0 src1_sel:DWORD
	s_and_saveexec_b32 s22, s0
	s_xor_b32 s0, exec_lo, s22
	s_cbranch_execnz .LBB234_107
; %bb.105:                              ;   in Loop: Header=BB234_103 Depth=1
	s_or_saveexec_b32 s0, s0
	v_mov_b32_e32 v31, 0x8000
	s_xor_b32 exec_lo, exec_lo, s0
	s_cbranch_execnz .LBB234_110
.LBB234_106:                            ;   in Loop: Header=BB234_103 Depth=1
	s_or_b32 exec_lo, exec_lo, s0
	s_and_saveexec_b32 s0, s1
	s_cbranch_execnz .LBB234_111
	s_branch .LBB234_114
.LBB234_107:                            ;   in Loop: Header=BB234_103 Depth=1
	v_cmp_eq_u16_sdwa s26, v7, v15 src0_sel:BYTE_0 src1_sel:DWORD
	s_mov_b32 s1, -1
	s_and_saveexec_b32 s22, s26
; %bb.108:                              ;   in Loop: Header=BB234_103 Depth=1
	s_xor_b32 s1, exec_lo, -1
; %bb.109:                              ;   in Loop: Header=BB234_103 Depth=1
	s_or_b32 exec_lo, exec_lo, s22
	s_and_b32 s1, s1, exec_lo
	s_or_saveexec_b32 s0, s0
	v_mov_b32_e32 v31, 0x8000
	s_xor_b32 exec_lo, exec_lo, s0
	s_cbranch_execz .LBB234_106
.LBB234_110:                            ;   in Loop: Header=BB234_103 Depth=1
	v_cmp_ne_u16_sdwa s22, v7, v2 src0_sel:BYTE_0 src1_sel:DWORD
	v_and_b32_sdwa v31, v16, v7 dst_sel:DWORD dst_unused:UNUSED_PAD src0_sel:DWORD src1_sel:BYTE_0
	s_andn2_b32 s1, s1, exec_lo
	s_and_b32 s22, s22, exec_lo
	s_or_b32 s1, s1, s22
	s_or_b32 exec_lo, exec_lo, s0
	s_and_saveexec_b32 s0, s1
	s_cbranch_execz .LBB234_114
.LBB234_111:                            ;   in Loop: Header=BB234_103 Depth=1
	v_and_b32_e32 v1, 0x7f, v7
	v_mov_b32_e32 v31, 0x7c01
	s_mov_b32 s1, exec_lo
	v_cmpx_ne_u32_e32 0x7f, v1
	s_cbranch_execz .LBB234_113
; %bb.112:                              ;   in Loop: Header=BB234_103 Depth=1
	v_and_b32_e32 v33, 7, v7
	v_cmp_gt_u32_e32 vcc_lo, 8, v1
	v_ffbh_u32_e32 v31, v33
	v_min_u32_e32 v34, 32, v31
	v_subrev_nc_u32_e32 v31, 28, v34
	v_sub_nc_u32_e32 v34, 29, v34
	v_lshlrev_b64 v[31:32], v31, v[7:8]
	v_lshrrev_b32_e32 v32, 3, v1
	v_and_b32_e32 v31, 7, v31
	v_cndmask_b32_e32 v1, v33, v31, vcc_lo
	v_cndmask_b32_e32 v31, v32, v34, vcc_lo
	v_lshlrev_b32_e32 v32, 8, v7
	v_lshl_add_u32 v31, v31, 10, 0x2000
	v_and_b32_e32 v31, 0xfc00, v31
	v_and_or_b32 v31, 0x8000, v32, v31
	v_lshl_or_b32 v31, v1, 7, v31
.LBB234_113:                            ;   in Loop: Header=BB234_103 Depth=1
	s_or_b32 exec_lo, exec_lo, s1
.LBB234_114:                            ;   in Loop: Header=BB234_103 Depth=1
	s_or_b32 exec_lo, exec_lo, s0
	v_lshrrev_b16 v1, 8, v7
	s_mov_b32 s1, 0
	s_mov_b32 s0, exec_lo
	v_cmpx_lt_i16_e32 0x7f, v1
	s_xor_b32 s0, exec_lo, s0
	s_cbranch_execz .LBB234_118
; %bb.115:                              ;   in Loop: Header=BB234_103 Depth=1
	s_mov_b32 s1, -1
	s_mov_b32 s22, exec_lo
	v_cmpx_eq_u16_e32 0x80, v1
; %bb.116:                              ;   in Loop: Header=BB234_103 Depth=1
	s_xor_b32 s1, exec_lo, -1
; %bb.117:                              ;   in Loop: Header=BB234_103 Depth=1
	s_or_b32 exec_lo, exec_lo, s22
	s_and_b32 s1, s1, exec_lo
.LBB234_118:                            ;   in Loop: Header=BB234_103 Depth=1
	s_or_saveexec_b32 s0, s0
	v_bfrev_b32_e32 v32, 1
	v_and_b32_e32 v33, 0xffff, v1
	s_xor_b32 exec_lo, exec_lo, s0
; %bb.119:                              ;   in Loop: Header=BB234_103 Depth=1
	v_cmp_ne_u16_e32 vcc_lo, 0, v1
	v_mov_b32_e32 v32, v33
	s_andn2_b32 s1, s1, exec_lo
	s_and_b32 s22, vcc_lo, exec_lo
	s_or_b32 s1, s1, s22
; %bb.120:                              ;   in Loop: Header=BB234_103 Depth=1
	s_or_b32 exec_lo, exec_lo, s0
	s_and_saveexec_b32 s0, s1
	s_cbranch_execz .LBB234_124
; %bb.121:                              ;   in Loop: Header=BB234_103 Depth=1
	v_and_b32_sdwa v33, v1, v14 dst_sel:DWORD dst_unused:UNUSED_PAD src0_sel:WORD_0 src1_sel:DWORD
	v_mov_b32_e32 v32, 0x7c010000
	s_mov_b32 s1, exec_lo
	v_cmpx_ne_u32_e32 0x7f, v33
	s_cbranch_execz .LBB234_123
; %bb.122:                              ;   in Loop: Header=BB234_103 Depth=1
	v_and_b32_sdwa v32, v1, v17 dst_sel:DWORD dst_unused:UNUSED_PAD src0_sel:WORD_0 src1_sel:DWORD
	v_cmp_gt_u32_e32 vcc_lo, 8, v33
	v_ffbh_u32_e32 v34, v32
	v_min_u32_e32 v36, 32, v34
	v_subrev_nc_u32_e32 v34, 28, v36
	v_sub_nc_u32_e32 v36, 29, v36
	v_lshlrev_b64 v[34:35], v34, v[1:2]
	v_lshrrev_b32_e32 v35, 3, v33
	v_lshlrev_b32_sdwa v1, v18, v1 dst_sel:DWORD dst_unused:UNUSED_PAD src0_sel:DWORD src1_sel:WORD_0
	v_cndmask_b32_e32 v33, v35, v36, vcc_lo
	v_and_b32_e32 v34, 7, v34
	v_lshl_add_u32 v33, v33, 10, 0x2000
	v_cndmask_b32_e32 v32, v32, v34, vcc_lo
	v_and_or_b32 v1, 0x8000, v1, v33
	v_lshlrev_b32_e32 v1, 16, v1
	v_lshl_or_b32 v32, v32, 23, v1
.LBB234_123:                            ;   in Loop: Header=BB234_103 Depth=1
	s_or_b32 exec_lo, exec_lo, s1
.LBB234_124:                            ;   in Loop: Header=BB234_103 Depth=1
	s_or_b32 exec_lo, exec_lo, s0
	v_lshrrev_b32_e32 v1, 16, v7
	s_mov_b32 s1, 0
	v_cmp_gt_i16_sdwa s0, v1, v14 src0_sel:BYTE_0 src1_sel:DWORD
	s_and_saveexec_b32 s22, s0
	s_xor_b32 s0, exec_lo, s22
	s_cbranch_execnz .LBB234_127
; %bb.125:                              ;   in Loop: Header=BB234_103 Depth=1
	s_or_saveexec_b32 s0, s0
	v_mov_b32_e32 v33, 0x8000
	s_xor_b32 exec_lo, exec_lo, s0
	s_cbranch_execnz .LBB234_130
.LBB234_126:                            ;   in Loop: Header=BB234_103 Depth=1
	s_or_b32 exec_lo, exec_lo, s0
	s_and_saveexec_b32 s0, s1
	s_cbranch_execnz .LBB234_131
	s_branch .LBB234_134
.LBB234_127:                            ;   in Loop: Header=BB234_103 Depth=1
	v_cmp_eq_u16_sdwa s26, v1, v15 src0_sel:BYTE_0 src1_sel:DWORD
	s_mov_b32 s1, -1
	s_and_saveexec_b32 s22, s26
; %bb.128:                              ;   in Loop: Header=BB234_103 Depth=1
	s_xor_b32 s1, exec_lo, -1
; %bb.129:                              ;   in Loop: Header=BB234_103 Depth=1
	s_or_b32 exec_lo, exec_lo, s22
	s_and_b32 s1, s1, exec_lo
	s_or_saveexec_b32 s0, s0
	v_mov_b32_e32 v33, 0x8000
	s_xor_b32 exec_lo, exec_lo, s0
	s_cbranch_execz .LBB234_126
.LBB234_130:                            ;   in Loop: Header=BB234_103 Depth=1
	v_cmp_ne_u16_sdwa s22, v1, v2 src0_sel:BYTE_0 src1_sel:DWORD
	v_and_b32_sdwa v33, v16, v1 dst_sel:DWORD dst_unused:UNUSED_PAD src0_sel:DWORD src1_sel:BYTE_0
	s_andn2_b32 s1, s1, exec_lo
	s_and_b32 s22, s22, exec_lo
	s_or_b32 s1, s1, s22
	s_or_b32 exec_lo, exec_lo, s0
	s_and_saveexec_b32 s0, s1
	s_cbranch_execz .LBB234_134
.LBB234_131:                            ;   in Loop: Header=BB234_103 Depth=1
	v_and_b32_e32 v34, 0x7f, v1
	v_mov_b32_e32 v33, 0x7c01
	s_mov_b32 s1, exec_lo
	v_cmpx_ne_u32_e32 0x7f, v34
	s_cbranch_execz .LBB234_133
; %bb.132:                              ;   in Loop: Header=BB234_103 Depth=1
	v_and_b32_e32 v33, 7, v1
	v_cmp_gt_u32_e32 vcc_lo, 8, v34
	v_ffbh_u32_e32 v35, v33
	v_min_u32_e32 v37, 32, v35
	v_subrev_nc_u32_e32 v35, 28, v37
	v_sub_nc_u32_e32 v37, 29, v37
	v_lshlrev_b64 v[35:36], v35, v[1:2]
	v_lshrrev_b32_e32 v36, 3, v34
	v_lshlrev_b32_e32 v1, 8, v1
	v_cndmask_b32_e32 v34, v36, v37, vcc_lo
	v_and_b32_e32 v35, 7, v35
	v_lshl_add_u32 v34, v34, 10, 0x2000
	v_cndmask_b32_e32 v33, v33, v35, vcc_lo
	v_and_b32_e32 v34, 0xfc00, v34
	v_and_or_b32 v1, 0x8000, v1, v34
	v_lshl_or_b32 v33, v33, 7, v1
.LBB234_133:                            ;   in Loop: Header=BB234_103 Depth=1
	s_or_b32 exec_lo, exec_lo, s1
.LBB234_134:                            ;   in Loop: Header=BB234_103 Depth=1
	s_or_b32 exec_lo, exec_lo, s0
	v_lshrrev_b32_e32 v1, 24, v7
	v_bfe_u32 v35, v7, 24, 7
	v_cmp_gt_u32_e64 s1, 0x1000000, v7
	v_cmp_eq_u32_e32 vcc_lo, 0x80, v1
	v_cmp_eq_u32_e64 s0, 0x7f, v35
	v_cndmask_b32_e32 v34, 0x7c010000, v19, vcc_lo
	s_or_b32 s0, vcc_lo, s0
	v_cndmask_b32_e64 v34, v34, 0, s1
	s_nor_b32 s1, s1, s0
	s_and_saveexec_b32 s0, s1
	s_cbranch_execz .LBB234_136
; %bb.135:                              ;   in Loop: Header=BB234_103 Depth=1
	v_and_b32_e32 v34, 7, v1
	v_cmp_gt_u32_e32 vcc_lo, 8, v35
	v_ffbh_u32_e32 v36, v34
	v_min_u32_e32 v38, 32, v36
	v_subrev_nc_u32_e32 v36, 28, v38
	v_sub_nc_u32_e32 v38, 29, v38
	v_lshlrev_b64 v[36:37], v36, v[1:2]
	v_lshrrev_b32_e32 v37, 3, v35
	v_lshlrev_b32_e32 v1, 8, v1
	v_cndmask_b32_e32 v35, v37, v38, vcc_lo
	v_and_b32_e32 v36, 7, v36
	v_lshl_add_u32 v35, v35, 10, 0x2000
	v_cndmask_b32_e32 v34, v34, v36, vcc_lo
	v_and_or_b32 v1, 0x8000, v1, v35
	v_lshlrev_b32_e32 v1, 16, v1
	v_lshl_or_b32 v34, v34, 23, v1
.LBB234_136:                            ;   in Loop: Header=BB234_103 Depth=1
	s_or_b32 exec_lo, exec_lo, s0
	v_cmp_gt_i16_sdwa s0, v8, v14 src0_sel:BYTE_0 src1_sel:DWORD
	s_mov_b32 s1, 0
	s_and_saveexec_b32 s22, s0
	s_xor_b32 s0, exec_lo, s22
	s_cbranch_execnz .LBB234_139
; %bb.137:                              ;   in Loop: Header=BB234_103 Depth=1
	s_or_saveexec_b32 s0, s0
	v_mov_b32_e32 v35, 0x8000
	s_xor_b32 exec_lo, exec_lo, s0
	s_cbranch_execnz .LBB234_142
.LBB234_138:                            ;   in Loop: Header=BB234_103 Depth=1
	s_or_b32 exec_lo, exec_lo, s0
	v_mov_b32_e32 v1, v8
	s_and_saveexec_b32 s0, s1
	s_cbranch_execnz .LBB234_143
	s_branch .LBB234_146
.LBB234_139:                            ;   in Loop: Header=BB234_103 Depth=1
	v_cmp_eq_u16_sdwa s26, v8, v15 src0_sel:BYTE_0 src1_sel:DWORD
	s_mov_b32 s1, -1
	s_and_saveexec_b32 s22, s26
; %bb.140:                              ;   in Loop: Header=BB234_103 Depth=1
	s_xor_b32 s1, exec_lo, -1
; %bb.141:                              ;   in Loop: Header=BB234_103 Depth=1
	s_or_b32 exec_lo, exec_lo, s22
	s_and_b32 s1, s1, exec_lo
	s_or_saveexec_b32 s0, s0
	v_mov_b32_e32 v35, 0x8000
	s_xor_b32 exec_lo, exec_lo, s0
	s_cbranch_execz .LBB234_138
.LBB234_142:                            ;   in Loop: Header=BB234_103 Depth=1
	v_cmp_ne_u16_sdwa s22, v8, v2 src0_sel:BYTE_0 src1_sel:DWORD
	v_and_b32_sdwa v35, v16, v8 dst_sel:DWORD dst_unused:UNUSED_PAD src0_sel:DWORD src1_sel:BYTE_0
	s_andn2_b32 s1, s1, exec_lo
	s_and_b32 s22, s22, exec_lo
	s_or_b32 s1, s1, s22
	s_or_b32 exec_lo, exec_lo, s0
	v_mov_b32_e32 v1, v8
	s_and_saveexec_b32 s0, s1
	s_cbranch_execz .LBB234_146
.LBB234_143:                            ;   in Loop: Header=BB234_103 Depth=1
	v_and_b32_e32 v36, 0x7f, v8
	v_mov_b32_e32 v35, 0x7c01
	s_mov_b32 s1, exec_lo
	v_cmpx_ne_u32_e32 0x7f, v36
	s_cbranch_execz .LBB234_145
; %bb.144:                              ;   in Loop: Header=BB234_103 Depth=1
	v_and_b32_e32 v35, 7, v8
	v_cmp_gt_u32_e32 vcc_lo, 8, v36
	v_ffbh_u32_e32 v37, v35
	v_min_u32_e32 v39, 32, v37
	v_subrev_nc_u32_e32 v37, 28, v39
	v_sub_nc_u32_e32 v39, 29, v39
	v_lshlrev_b64 v[37:38], v37, v[1:2]
	v_lshrrev_b32_e32 v38, 3, v36
	v_cndmask_b32_e32 v36, v38, v39, vcc_lo
	v_and_b32_e32 v37, 7, v37
	v_lshl_add_u32 v36, v36, 10, 0x2000
	v_cndmask_b32_e32 v35, v35, v37, vcc_lo
	v_lshlrev_b32_e32 v37, 8, v8
	v_and_b32_e32 v36, 0xfc00, v36
	v_and_or_b32 v36, 0x8000, v37, v36
	v_lshl_or_b32 v35, v35, 7, v36
.LBB234_145:                            ;   in Loop: Header=BB234_103 Depth=1
	s_or_b32 exec_lo, exec_lo, s1
.LBB234_146:                            ;   in Loop: Header=BB234_103 Depth=1
	s_or_b32 exec_lo, exec_lo, s0
	v_lshrrev_b16 v1, 8, v1
	s_mov_b32 s1, 0
	s_mov_b32 s0, exec_lo
	v_cmpx_lt_i16_e32 0x7f, v1
	s_xor_b32 s0, exec_lo, s0
	s_cbranch_execz .LBB234_150
; %bb.147:                              ;   in Loop: Header=BB234_103 Depth=1
	s_mov_b32 s1, -1
	s_mov_b32 s22, exec_lo
	v_cmpx_eq_u16_e32 0x80, v1
; %bb.148:                              ;   in Loop: Header=BB234_103 Depth=1
	s_xor_b32 s1, exec_lo, -1
; %bb.149:                              ;   in Loop: Header=BB234_103 Depth=1
	s_or_b32 exec_lo, exec_lo, s22
	s_and_b32 s1, s1, exec_lo
.LBB234_150:                            ;   in Loop: Header=BB234_103 Depth=1
	s_or_saveexec_b32 s0, s0
	v_bfrev_b32_e32 v36, 1
	v_and_b32_e32 v37, 0xffff, v1
	s_xor_b32 exec_lo, exec_lo, s0
; %bb.151:                              ;   in Loop: Header=BB234_103 Depth=1
	v_cmp_ne_u16_e32 vcc_lo, 0, v1
	v_mov_b32_e32 v36, v37
	s_andn2_b32 s1, s1, exec_lo
	s_and_b32 s22, vcc_lo, exec_lo
	s_or_b32 s1, s1, s22
; %bb.152:                              ;   in Loop: Header=BB234_103 Depth=1
	s_or_b32 exec_lo, exec_lo, s0
	s_and_saveexec_b32 s0, s1
	s_cbranch_execz .LBB234_156
; %bb.153:                              ;   in Loop: Header=BB234_103 Depth=1
	v_and_b32_sdwa v37, v1, v14 dst_sel:DWORD dst_unused:UNUSED_PAD src0_sel:WORD_0 src1_sel:DWORD
	v_mov_b32_e32 v36, 0x7c010000
	s_mov_b32 s1, exec_lo
	v_cmpx_ne_u32_e32 0x7f, v37
	s_cbranch_execz .LBB234_155
; %bb.154:                              ;   in Loop: Header=BB234_103 Depth=1
	v_and_b32_sdwa v36, v1, v17 dst_sel:DWORD dst_unused:UNUSED_PAD src0_sel:WORD_0 src1_sel:DWORD
	v_cmp_gt_u32_e32 vcc_lo, 8, v37
	v_ffbh_u32_e32 v38, v36
	v_min_u32_e32 v40, 32, v38
	v_subrev_nc_u32_e32 v38, 28, v40
	v_sub_nc_u32_e32 v40, 29, v40
	v_lshlrev_b64 v[38:39], v38, v[1:2]
	v_lshrrev_b32_e32 v39, 3, v37
	v_lshlrev_b32_sdwa v1, v18, v1 dst_sel:DWORD dst_unused:UNUSED_PAD src0_sel:DWORD src1_sel:WORD_0
	v_cndmask_b32_e32 v37, v39, v40, vcc_lo
	v_and_b32_e32 v38, 7, v38
	v_lshl_add_u32 v37, v37, 10, 0x2000
	v_cndmask_b32_e32 v36, v36, v38, vcc_lo
	v_and_or_b32 v1, 0x8000, v1, v37
	v_lshlrev_b32_e32 v1, 16, v1
	v_lshl_or_b32 v36, v36, 23, v1
.LBB234_155:                            ;   in Loop: Header=BB234_103 Depth=1
	s_or_b32 exec_lo, exec_lo, s1
.LBB234_156:                            ;   in Loop: Header=BB234_103 Depth=1
	s_or_b32 exec_lo, exec_lo, s0
	v_lshrrev_b32_e32 v1, 16, v8
	s_mov_b32 s1, 0
	v_cmp_gt_i16_sdwa s0, v1, v14 src0_sel:BYTE_0 src1_sel:DWORD
	s_and_saveexec_b32 s22, s0
	s_xor_b32 s0, exec_lo, s22
	s_cbranch_execnz .LBB234_159
; %bb.157:                              ;   in Loop: Header=BB234_103 Depth=1
	s_or_saveexec_b32 s0, s0
	v_mov_b32_e32 v37, 0x8000
	s_xor_b32 exec_lo, exec_lo, s0
	s_cbranch_execnz .LBB234_162
.LBB234_158:                            ;   in Loop: Header=BB234_103 Depth=1
	s_or_b32 exec_lo, exec_lo, s0
	s_and_saveexec_b32 s0, s1
	s_cbranch_execnz .LBB234_163
	s_branch .LBB234_166
.LBB234_159:                            ;   in Loop: Header=BB234_103 Depth=1
	v_cmp_eq_u16_sdwa s26, v1, v15 src0_sel:BYTE_0 src1_sel:DWORD
	s_mov_b32 s1, -1
	s_and_saveexec_b32 s22, s26
; %bb.160:                              ;   in Loop: Header=BB234_103 Depth=1
	s_xor_b32 s1, exec_lo, -1
; %bb.161:                              ;   in Loop: Header=BB234_103 Depth=1
	s_or_b32 exec_lo, exec_lo, s22
	s_and_b32 s1, s1, exec_lo
	s_or_saveexec_b32 s0, s0
	v_mov_b32_e32 v37, 0x8000
	s_xor_b32 exec_lo, exec_lo, s0
	s_cbranch_execz .LBB234_158
.LBB234_162:                            ;   in Loop: Header=BB234_103 Depth=1
	v_cmp_ne_u16_sdwa s22, v1, v2 src0_sel:BYTE_0 src1_sel:DWORD
	v_and_b32_sdwa v37, v16, v1 dst_sel:DWORD dst_unused:UNUSED_PAD src0_sel:DWORD src1_sel:BYTE_0
	s_andn2_b32 s1, s1, exec_lo
	s_and_b32 s22, s22, exec_lo
	s_or_b32 s1, s1, s22
	s_or_b32 exec_lo, exec_lo, s0
	s_and_saveexec_b32 s0, s1
	s_cbranch_execz .LBB234_166
.LBB234_163:                            ;   in Loop: Header=BB234_103 Depth=1
	v_and_b32_e32 v38, 0x7f, v1
	v_mov_b32_e32 v37, 0x7c01
	s_mov_b32 s1, exec_lo
	v_cmpx_ne_u32_e32 0x7f, v38
	s_cbranch_execz .LBB234_165
; %bb.164:                              ;   in Loop: Header=BB234_103 Depth=1
	v_and_b32_e32 v37, 7, v1
	v_cmp_gt_u32_e32 vcc_lo, 8, v38
	v_ffbh_u32_e32 v39, v37
	v_min_u32_e32 v41, 32, v39
	v_subrev_nc_u32_e32 v39, 28, v41
	v_sub_nc_u32_e32 v41, 29, v41
	v_lshlrev_b64 v[39:40], v39, v[1:2]
	v_lshrrev_b32_e32 v40, 3, v38
	v_lshlrev_b32_e32 v1, 8, v1
	v_cndmask_b32_e32 v38, v40, v41, vcc_lo
	v_and_b32_e32 v39, 7, v39
	v_lshl_add_u32 v38, v38, 10, 0x2000
	v_cndmask_b32_e32 v37, v37, v39, vcc_lo
	v_and_b32_e32 v38, 0xfc00, v38
	v_and_or_b32 v1, 0x8000, v1, v38
	v_lshl_or_b32 v37, v37, 7, v1
.LBB234_165:                            ;   in Loop: Header=BB234_103 Depth=1
	s_or_b32 exec_lo, exec_lo, s1
.LBB234_166:                            ;   in Loop: Header=BB234_103 Depth=1
	s_or_b32 exec_lo, exec_lo, s0
	v_lshrrev_b32_e32 v1, 24, v8
	v_bfe_u32 v38, v8, 24, 7
	v_cmp_gt_u64_e64 s1, s[2:3], v[7:8]
	v_cmp_eq_u32_e32 vcc_lo, 0x80, v1
	v_cmp_eq_u32_e64 s0, 0x7f, v38
	v_cndmask_b32_e32 v39, 0x7c010000, v19, vcc_lo
	s_or_b32 s0, vcc_lo, s0
	v_cndmask_b32_e64 v7, v39, 0, s1
	s_nor_b32 s1, s1, s0
	s_and_saveexec_b32 s0, s1
	s_cbranch_execz .LBB234_168
; %bb.167:                              ;   in Loop: Header=BB234_103 Depth=1
	v_and_b32_e32 v39, 7, v1
	v_cmp_gt_u32_e32 vcc_lo, 8, v38
	v_ffbh_u32_e32 v7, v39
	v_min_u32_e32 v40, 32, v7
	v_subrev_nc_u32_e32 v7, 28, v40
	v_sub_nc_u32_e32 v40, 29, v40
	v_lshlrev_b64 v[7:8], v7, v[1:2]
	v_lshrrev_b32_e32 v8, 3, v38
	v_lshlrev_b32_e32 v1, 8, v1
	v_cndmask_b32_e32 v8, v8, v40, vcc_lo
	v_and_b32_e32 v7, 7, v7
	v_lshl_add_u32 v8, v8, 10, 0x2000
	v_cndmask_b32_e32 v7, v39, v7, vcc_lo
	v_and_or_b32 v1, 0x8000, v1, v8
	v_lshlrev_b32_e32 v1, 16, v1
	v_lshl_or_b32 v7, v7, 23, v1
.LBB234_168:                            ;   in Loop: Header=BB234_103 Depth=1
	s_or_b32 exec_lo, exec_lo, s0
	v_or_b32_e32 v1, v34, v33
	s_waitcnt vmcnt(0)
	v_fma_mixlo_f16 v8, v30, v34, 0 op_sel:[0,1,0] op_sel_hi:[0,1,0]
	v_or_b32_e32 v34, v32, v31
	v_fma_mixlo_f16 v32, v30, v32, 0 op_sel:[0,1,0] op_sel_hi:[0,1,0]
	v_or_b32_e32 v35, v36, v35
	v_fma_mixlo_f16 v1, v30, v1, 0 op_sel_hi:[0,1,0]
	v_or_b32_e32 v37, v7, v37
	v_lshlrev_b32_e32 v31, 16, v8
	v_lshlrev_b32_e32 v33, 16, v32
	v_fma_mixlo_f16 v8, v30, v34, 0 op_sel_hi:[0,1,0]
	v_and_b32_e32 v32, 0xffff, v1
	v_fma_mixlo_f16 v1, v30, v36, 0 op_sel:[0,1,0] op_sel_hi:[0,1,0]
	v_fma_mixlo_f16 v34, v30, v35, 0 op_sel_hi:[0,1,0]
	v_fma_mixlo_f16 v35, v30, v7, 0 op_sel:[0,1,0] op_sel_hi:[0,1,0]
	v_fma_mixlo_f16 v36, v30, v37, 0 op_sel_hi:[0,1,0]
	v_and_b32_e32 v38, 0xffff, v8
	v_lshlrev_b32_e32 v7, 16, v1
	v_and_b32_e32 v30, 0xffff, v34
	v_lshlrev_b32_e32 v1, 16, v35
	v_and_b32_e32 v8, 0xffff, v36
	v_or_b32_e32 v34, v31, v32
	v_or_b32_e32 v37, v33, v38
	v_or_b32_e32 v36, v7, v30
	s_mov_b32 s0, exec_lo
	v_or_b32_e32 v35, v1, v8
	v_cmpx_eq_u32_e64 s17, v20
	s_cbranch_execz .LBB234_101
; %bb.169:                              ;   in Loop: Header=BB234_103 Depth=1
	v_add_nc_u32_e32 v34, 1, v10
	v_cmp_gt_i32_e32 vcc_lo, s11, v10
	v_add_nc_u32_e32 v35, 2, v10
	v_add_nc_u32_e32 v37, 3, v10
	v_cndmask_b32_e32 v36, 0, v38, vcc_lo
	v_cmp_gt_i32_e32 vcc_lo, s11, v34
	v_add_nc_u32_e32 v34, 4, v10
	v_cndmask_b32_e32 v33, 0, v33, vcc_lo
	v_cmp_gt_i32_e32 vcc_lo, s11, v35
	v_add_nc_u32_e32 v35, 5, v10
	v_cndmask_b32_e32 v32, 0, v32, vcc_lo
	v_cmp_gt_i32_e32 vcc_lo, s11, v37
	v_add_nc_u32_e32 v37, 6, v10
	v_cndmask_b32_e32 v31, 0, v31, vcc_lo
	v_cmp_gt_i32_e32 vcc_lo, s11, v34
	v_add_nc_u32_e32 v34, 7, v10
	v_cndmask_b32_e32 v30, 0, v30, vcc_lo
	v_cmp_gt_i32_e32 vcc_lo, s11, v35
	v_cndmask_b32_e32 v7, 0, v7, vcc_lo
	v_cmp_gt_i32_e32 vcc_lo, s11, v37
	v_or_b32_e32 v37, v33, v36
	v_or_b32_e32 v36, v7, v30
	v_cndmask_b32_e32 v8, 0, v8, vcc_lo
	v_cmp_gt_i32_e32 vcc_lo, s11, v34
	v_or_b32_e32 v34, v31, v32
	v_cndmask_b32_e32 v1, 0, v1, vcc_lo
	v_or_b32_e32 v35, v1, v8
	s_branch .LBB234_101
.LBB234_170:
	s_or_b32 exec_lo, exec_lo, s18
.LBB234_171:
	s_or_b32 exec_lo, exec_lo, s4
	v_and_b32_e32 v2, 0x3c0, v0
	v_lshl_add_u32 v1, v11, 2, 0x60
	s_mov_b32 s0, exec_lo
	s_barrier
	buffer_gl0_inv
	v_cmpx_eq_u32_e32 64, v2
; %bb.172:
	v_lshlrev_b32_e32 v2, 7, v9
	v_add3_u32 v2, v1, v2, 0xffffff00
	ds_write_b32 v2, v13
; %bb.173:
	s_or_b32 exec_lo, exec_lo, s0
	v_and_b32_e32 v3, 0x3e0, v0
	s_mov_b32 s0, exec_lo
	s_waitcnt lgkmcnt(0)
	s_barrier
	buffer_gl0_inv
	v_lshl_add_u32 v2, v3, 2, v1
	v_cmpx_gt_u32_e32 64, v0
	s_cbranch_execz .LBB234_175
; %bb.174:
	ds_read_b32 v4, v2
	s_waitcnt lgkmcnt(0)
	v_add_f32_e32 v13, v13, v4
.LBB234_175:
	s_or_b32 exec_lo, exec_lo, s0
	s_mov_b32 s0, exec_lo
	s_barrier
	buffer_gl0_inv
	v_cmpx_eq_u32_e32 32, v3
; %bb.176:
	ds_write_b32 v1, v13
; %bb.177:
	s_or_b32 exec_lo, exec_lo, s0
	v_cmp_gt_u32_e32 vcc_lo, 32, v0
	s_waitcnt lgkmcnt(0)
	s_barrier
	buffer_gl0_inv
	s_and_saveexec_b32 s0, vcc_lo
	s_cbranch_execz .LBB234_179
; %bb.178:
	ds_read_b32 v0, v2
	s_waitcnt lgkmcnt(0)
	v_add_f32_e32 v13, v13, v0
.LBB234_179:
	s_or_b32 exec_lo, exec_lo, s0
	s_barrier
	buffer_gl0_inv
	s_and_saveexec_b32 s0, vcc_lo
	s_cbranch_execz .LBB234_181
; %bb.180:
	s_mul_i32 s0, s10, s16
	s_mul_i32 s2, s16, s24
	;; [unrolled: 1-line block ×3, first 2 shown]
	v_lshlrev_b32_e32 v0, 1, v11
	s_lshl_b32 s0, s0, 5
	;;#ASMSTART
	v_cvt_f16_f32 v1, v13;

	;;#ASMEND
	s_ashr_i32 s1, s0, 31
	s_lshl_b64 s[0:1], s[0:1], 1
	s_add_u32 s4, s6, s0
	s_addc_u32 s5, s7, s1
	s_ashr_i32 s3, s2, 31
	s_lshl_b64 s[0:1], s[2:3], 1
	s_add_u32 s2, s4, s0
	s_addc_u32 s3, s5, s1
	s_lshl_b32 s0, s8, 5
	s_ashr_i32 s1, s0, 31
	s_lshl_b64 s[0:1], s[0:1], 1
	s_add_u32 s0, s2, s0
	s_addc_u32 s1, s3, s1
	global_store_short v0, v1, s[0:1]
.LBB234_181:
	s_endpgm
	.section	.rodata,"a",@progbits
	.p2align	6, 0x0
	.amdhsa_kernel _ZN4vllm25paged_attention_v1_kernelIthLi32ELi8ELi128ELNS_18Fp8KVCacheDataTypeE1ELb1EEEvPT_PKS2_PKT0_S8_ifPKiSA_iPKfiiiSC_SC_iiiii
		.amdhsa_group_segment_fixed_size 96
		.amdhsa_private_segment_fixed_size 0
		.amdhsa_kernarg_size 384
		.amdhsa_user_sgpr_count 6
		.amdhsa_user_sgpr_private_segment_buffer 1
		.amdhsa_user_sgpr_dispatch_ptr 0
		.amdhsa_user_sgpr_queue_ptr 0
		.amdhsa_user_sgpr_kernarg_segment_ptr 1
		.amdhsa_user_sgpr_dispatch_id 0
		.amdhsa_user_sgpr_flat_scratch_init 0
		.amdhsa_user_sgpr_private_segment_size 0
		.amdhsa_wavefront_size32 1
		.amdhsa_uses_dynamic_stack 0
		.amdhsa_system_sgpr_private_segment_wavefront_offset 0
		.amdhsa_system_sgpr_workgroup_id_x 1
		.amdhsa_system_sgpr_workgroup_id_y 1
		.amdhsa_system_sgpr_workgroup_id_z 1
		.amdhsa_system_sgpr_workgroup_info 0
		.amdhsa_system_vgpr_workitem_id 0
		.amdhsa_next_free_vgpr 42
		.amdhsa_next_free_sgpr 44
		.amdhsa_reserve_vcc 1
		.amdhsa_reserve_flat_scratch 0
		.amdhsa_float_round_mode_32 0
		.amdhsa_float_round_mode_16_64 0
		.amdhsa_float_denorm_mode_32 3
		.amdhsa_float_denorm_mode_16_64 3
		.amdhsa_dx10_clamp 1
		.amdhsa_ieee_mode 1
		.amdhsa_fp16_overflow 0
		.amdhsa_workgroup_processor_mode 1
		.amdhsa_memory_ordered 1
		.amdhsa_forward_progress 1
		.amdhsa_shared_vgpr_count 0
		.amdhsa_exception_fp_ieee_invalid_op 0
		.amdhsa_exception_fp_denorm_src 0
		.amdhsa_exception_fp_ieee_div_zero 0
		.amdhsa_exception_fp_ieee_overflow 0
		.amdhsa_exception_fp_ieee_underflow 0
		.amdhsa_exception_fp_ieee_inexact 0
		.amdhsa_exception_int_div_zero 0
	.end_amdhsa_kernel
	.section	.text._ZN4vllm25paged_attention_v1_kernelIthLi32ELi8ELi128ELNS_18Fp8KVCacheDataTypeE1ELb1EEEvPT_PKS2_PKT0_S8_ifPKiSA_iPKfiiiSC_SC_iiiii,"axG",@progbits,_ZN4vllm25paged_attention_v1_kernelIthLi32ELi8ELi128ELNS_18Fp8KVCacheDataTypeE1ELb1EEEvPT_PKS2_PKT0_S8_ifPKiSA_iPKfiiiSC_SC_iiiii,comdat
.Lfunc_end234:
	.size	_ZN4vllm25paged_attention_v1_kernelIthLi32ELi8ELi128ELNS_18Fp8KVCacheDataTypeE1ELb1EEEvPT_PKS2_PKT0_S8_ifPKiSA_iPKfiiiSC_SC_iiiii, .Lfunc_end234-_ZN4vllm25paged_attention_v1_kernelIthLi32ELi8ELi128ELNS_18Fp8KVCacheDataTypeE1ELb1EEEvPT_PKS2_PKT0_S8_ifPKiSA_iPKfiiiSC_SC_iiiii
                                        ; -- End function
	.set _ZN4vllm25paged_attention_v1_kernelIthLi32ELi8ELi128ELNS_18Fp8KVCacheDataTypeE1ELb1EEEvPT_PKS2_PKT0_S8_ifPKiSA_iPKfiiiSC_SC_iiiii.num_vgpr, 42
	.set _ZN4vllm25paged_attention_v1_kernelIthLi32ELi8ELi128ELNS_18Fp8KVCacheDataTypeE1ELb1EEEvPT_PKS2_PKT0_S8_ifPKiSA_iPKfiiiSC_SC_iiiii.num_agpr, 0
	.set _ZN4vllm25paged_attention_v1_kernelIthLi32ELi8ELi128ELNS_18Fp8KVCacheDataTypeE1ELb1EEEvPT_PKS2_PKT0_S8_ifPKiSA_iPKfiiiSC_SC_iiiii.numbered_sgpr, 44
	.set _ZN4vllm25paged_attention_v1_kernelIthLi32ELi8ELi128ELNS_18Fp8KVCacheDataTypeE1ELb1EEEvPT_PKS2_PKT0_S8_ifPKiSA_iPKfiiiSC_SC_iiiii.num_named_barrier, 0
	.set _ZN4vllm25paged_attention_v1_kernelIthLi32ELi8ELi128ELNS_18Fp8KVCacheDataTypeE1ELb1EEEvPT_PKS2_PKT0_S8_ifPKiSA_iPKfiiiSC_SC_iiiii.private_seg_size, 0
	.set _ZN4vllm25paged_attention_v1_kernelIthLi32ELi8ELi128ELNS_18Fp8KVCacheDataTypeE1ELb1EEEvPT_PKS2_PKT0_S8_ifPKiSA_iPKfiiiSC_SC_iiiii.uses_vcc, 1
	.set _ZN4vllm25paged_attention_v1_kernelIthLi32ELi8ELi128ELNS_18Fp8KVCacheDataTypeE1ELb1EEEvPT_PKS2_PKT0_S8_ifPKiSA_iPKfiiiSC_SC_iiiii.uses_flat_scratch, 0
	.set _ZN4vllm25paged_attention_v1_kernelIthLi32ELi8ELi128ELNS_18Fp8KVCacheDataTypeE1ELb1EEEvPT_PKS2_PKT0_S8_ifPKiSA_iPKfiiiSC_SC_iiiii.has_dyn_sized_stack, 0
	.set _ZN4vllm25paged_attention_v1_kernelIthLi32ELi8ELi128ELNS_18Fp8KVCacheDataTypeE1ELb1EEEvPT_PKS2_PKT0_S8_ifPKiSA_iPKfiiiSC_SC_iiiii.has_recursion, 0
	.set _ZN4vllm25paged_attention_v1_kernelIthLi32ELi8ELi128ELNS_18Fp8KVCacheDataTypeE1ELb1EEEvPT_PKS2_PKT0_S8_ifPKiSA_iPKfiiiSC_SC_iiiii.has_indirect_call, 0
	.section	.AMDGPU.csdata,"",@progbits
; Kernel info:
; codeLenInByte = 8032
; TotalNumSgprs: 46
; NumVgprs: 42
; ScratchSize: 0
; MemoryBound: 0
; FloatMode: 240
; IeeeMode: 1
; LDSByteSize: 96 bytes/workgroup (compile time only)
; SGPRBlocks: 0
; VGPRBlocks: 5
; NumSGPRsForWavesPerEU: 46
; NumVGPRsForWavesPerEU: 42
; Occupancy: 16
; WaveLimiterHint : 1
; COMPUTE_PGM_RSRC2:SCRATCH_EN: 0
; COMPUTE_PGM_RSRC2:USER_SGPR: 6
; COMPUTE_PGM_RSRC2:TRAP_HANDLER: 0
; COMPUTE_PGM_RSRC2:TGID_X_EN: 1
; COMPUTE_PGM_RSRC2:TGID_Y_EN: 1
; COMPUTE_PGM_RSRC2:TGID_Z_EN: 1
; COMPUTE_PGM_RSRC2:TIDIG_COMP_CNT: 0
	.section	.text._ZN4vllm25paged_attention_v1_kernelIthLi64ELi8ELi128ELNS_18Fp8KVCacheDataTypeE1ELb1EEEvPT_PKS2_PKT0_S8_ifPKiSA_iPKfiiiSC_SC_iiiii,"axG",@progbits,_ZN4vllm25paged_attention_v1_kernelIthLi64ELi8ELi128ELNS_18Fp8KVCacheDataTypeE1ELb1EEEvPT_PKS2_PKT0_S8_ifPKiSA_iPKfiiiSC_SC_iiiii,comdat
	.protected	_ZN4vllm25paged_attention_v1_kernelIthLi64ELi8ELi128ELNS_18Fp8KVCacheDataTypeE1ELb1EEEvPT_PKS2_PKT0_S8_ifPKiSA_iPKfiiiSC_SC_iiiii ; -- Begin function _ZN4vllm25paged_attention_v1_kernelIthLi64ELi8ELi128ELNS_18Fp8KVCacheDataTypeE1ELb1EEEvPT_PKS2_PKT0_S8_ifPKiSA_iPKfiiiSC_SC_iiiii
	.globl	_ZN4vllm25paged_attention_v1_kernelIthLi64ELi8ELi128ELNS_18Fp8KVCacheDataTypeE1ELb1EEEvPT_PKS2_PKT0_S8_ifPKiSA_iPKfiiiSC_SC_iiiii
	.p2align	8
	.type	_ZN4vllm25paged_attention_v1_kernelIthLi64ELi8ELi128ELNS_18Fp8KVCacheDataTypeE1ELb1EEEvPT_PKS2_PKT0_S8_ifPKiSA_iPKfiiiSC_SC_iiiii,@function
_ZN4vllm25paged_attention_v1_kernelIthLi64ELi8ELi128ELNS_18Fp8KVCacheDataTypeE1ELb1EEEvPT_PKS2_PKT0_S8_ifPKiSA_iPKfiiiSC_SC_iiiii: ; @_ZN4vllm25paged_attention_v1_kernelIthLi64ELi8ELi128ELNS_18Fp8KVCacheDataTypeE1ELb1EEEvPT_PKS2_PKT0_S8_ifPKiSA_iPKfiiiSC_SC_iiiii
; %bb.0:
	s_clause 0x2
	s_load_dword s9, s[4:5], 0x80
	s_load_dwordx2 s[0:1], s[4:5], 0x30
	s_load_dwordx2 s[34:35], s[4:5], 0x20
	s_mov_b32 s10, s7
	s_ashr_i32 s11, s7, 31
	s_mov_b32 s36, 0
	s_lshl_b64 s[2:3], s[10:11], 2
	s_waitcnt lgkmcnt(0)
	s_add_u32 s0, s0, s2
	s_addc_u32 s1, s1, s3
	s_abs_i32 s2, s34
	s_abs_i32 s11, s9
	v_cvt_f32_u32_e32 v1, s2
	s_sub_i32 s7, 0, s2
	v_rcp_iflag_f32_e32 v1, v1
	v_mul_f32_e32 v1, 0x4f7ffffe, v1
	v_cvt_u32_f32_e32 v1, v1
	v_readfirstlane_b32 s3, v1
	s_mul_i32 s7, s7, s3
	s_mul_hi_u32 s7, s3, s7
	s_add_i32 s3, s3, s7
	s_xor_b32 s7, s9, s34
	s_mul_hi_u32 s3, s11, s3
	s_ashr_i32 s7, s7, 31
	s_mul_i32 s12, s3, s2
	s_sub_i32 s11, s11, s12
	s_add_i32 s12, s3, 1
	s_sub_i32 s13, s11, s2
	s_cmp_ge_u32 s11, s2
	s_cselect_b32 s3, s12, s3
	s_cselect_b32 s11, s13, s11
	s_add_i32 s12, s3, 1
	s_cmp_ge_u32 s11, s2
	s_cselect_b32 s2, s12, s3
	s_abs_i32 s13, s6
	s_xor_b32 s2, s2, s7
	s_sub_i32 s15, s2, s7
	s_load_dwordx2 s[2:3], s[4:5], 0x40
	s_abs_i32 s12, s15
	v_cvt_f32_u32_e32 v1, s12
	s_sub_i32 s11, 0, s12
	v_rcp_iflag_f32_e32 v1, v1
	v_mul_f32_e32 v1, 0x4f7ffffe, v1
	v_cvt_u32_f32_e32 v1, v1
	v_readfirstlane_b32 s7, v1
	s_mul_i32 s11, s11, s7
	s_mul_hi_u32 s11, s7, s11
	s_add_i32 s7, s7, s11
	s_waitcnt lgkmcnt(0)
	s_cmp_eq_u64 s[2:3], 0
	s_mul_hi_u32 s14, s13, s7
	s_cbranch_scc1 .LBB235_2
; %bb.1:
	s_ashr_i32 s7, s6, 31
	s_lshl_b64 s[16:17], s[6:7], 2
	s_add_u32 s2, s2, s16
	s_addc_u32 s3, s3, s17
	s_load_dword s36, s[2:3], 0x0
.LBB235_2:
	s_load_dword s11, s[0:1], 0x0
	s_load_dwordx4 s[16:19], s[4:5], 0x48
	v_and_b32_e32 v1, 3, v0
	v_cmp_gt_u32_e64 s0, 32, v0
	s_ashr_i32 s1, s6, 31
	s_ashr_i32 s2, s15, 31
	s_lshl_b32 s24, s6, 6
	s_and_saveexec_b32 s3, s0
	s_cbranch_execz .LBB235_4
; %bb.3:
	s_load_dwordx2 s[20:21], s[4:5], 0x8
	s_waitcnt lgkmcnt(0)
	s_mul_i32 s22, s16, s10
	v_lshlrev_b32_e32 v2, 2, v0
	s_ashr_i32 s23, s22, 31
	v_and_b32_e32 v3, 0x3fc, v0
	s_lshl_b64 s[22:23], s[22:23], 1
	v_lshl_add_u32 v3, v1, 5, v3
	s_add_u32 s7, s20, s22
	s_addc_u32 s15, s21, s23
	s_ashr_i32 s25, s24, 31
	s_lshl_b64 s[20:21], s[24:25], 1
	s_add_u32 s20, s7, s20
	s_addc_u32 s21, s15, s21
	global_load_dword v2, v2, s[20:21]
	s_waitcnt vmcnt(0)
	ds_write_b32 v3, v2
.LBB235_4:
	s_or_b32 exec_lo, exec_lo, s3
	s_load_dwordx4 s[20:23], s[4:5], 0x68
	s_mul_i32 s3, s14, s12
	s_xor_b32 s2, s1, s2
	s_sub_i32 s1, s13, s3
	s_add_i32 s3, s14, 1
	s_sub_i32 s7, s1, s12
	s_cmp_ge_u32 s1, s12
	s_waitcnt lgkmcnt(0)
	s_cselect_b32 s3, s3, s14
	s_cselect_b32 s1, s7, s1
	s_add_i32 s7, s3, 1
	s_cmp_ge_u32 s1, s12
	s_load_dword s1, s[4:5], 0x78
	s_cselect_b32 s3, s7, s3
	s_add_i32 s7, s11, -1
	s_xor_b32 s3, s3, s2
	s_abs_i32 s12, s7
	s_sub_i32 s2, s3, s2
	s_mov_b32 s14, -1
	s_barrier
	s_abs_i32 s19, s23
	s_waitcnt lgkmcnt(0)
	buffer_gl0_inv
	v_cvt_f32_u32_e32 v2, s19
	s_sub_i32 s3, 0, s19
                                        ; implicit-def: $sgpr33
	v_rcp_iflag_f32_e32 v2, v2
	v_mul_f32_e32 v2, 0x4f7ffffe, v2
	v_cvt_u32_f32_e32 v2, v2
	v_readfirstlane_b32 s25, v2
	s_mul_i32 s3, s3, s25
	s_mul_hi_u32 s3, s25, s3
	s_add_i32 s25, s25, s3
	s_cmp_lt_i32 s1, 0
	s_mul_hi_u32 s3, s12, s25
	s_cbranch_scc0 .LBB235_6
; %bb.5:
	s_mul_i32 s13, s20, s34
	s_mov_b32 s14, 0
	s_add_i32 s13, s2, s13
	s_mul_i32 s13, s13, s1
	s_sub_i32 s33, 1, s13
.LBB235_6:
	s_load_dwordx2 s[26:27], s[4:5], 0x28
	s_ashr_i32 s13, s7, 31
	s_andn2_b32 vcc_lo, exec_lo, s14
	s_ashr_i32 s23, s23, 31
	s_cbranch_vccnz .LBB235_8
; %bb.7:
	s_mul_i32 s7, s9, s20
	s_add_i32 s6, s7, s6
	s_mul_i32 s1, s6, s1
	s_add_i32 s33, s1, 1
.LBB235_8:
	s_clause 0x2
	s_load_dword s1, s[4:5], 0x38
	s_load_dwordx2 s[6:7], s[4:5], 0x0
	s_load_dwordx2 s[30:31], s[4:5], 0x18
	s_xor_b32 s34, s13, s23
	s_mul_i32 s13, s3, s19
	s_add_i32 s20, s3, 1
	s_sub_i32 s37, s12, s13
	s_clause 0x1
	s_load_dword s16, s[4:5], 0x88
	s_load_dwordx4 s[12:15], s[4:5], 0x58
	v_lshrrev_b32_e32 v11, 5, v0
	v_mov_b32_e32 v15, 0xff7fffff
	v_lshrrev_b32_e32 v9, 3, v0
	v_mbcnt_lo_u32_b32 v10, -1, 0
	s_mul_i32 s18, s2, s18
	v_lshlrev_b32_e32 v12, 3, v11
	s_waitcnt lgkmcnt(0)
	s_mul_i32 s28, s1, s10
	s_sub_i32 s1, s37, s19
	s_ashr_i32 s29, s28, 31
	s_cmp_ge_u32 s37, s19
	s_cselect_b32 s3, s20, s3
	s_cselect_b32 s1, s1, s37
	s_add_i32 s20, s3, 1
	s_cmp_ge_u32 s1, s19
	s_cselect_b32 s1, s20, s3
	s_add_i32 s3, s11, 7
	s_ashr_i32 s20, s3, 31
	s_lshr_b32 s20, s20, 29
	s_add_i32 s3, s3, s20
	s_ashr_i32 s20, s3, 3
	s_xor_b32 s3, s1, s34
	v_cmp_gt_i32_e64 s1, s20, v11
	s_sub_i32 s34, s3, s34
	s_and_saveexec_b32 s37, s1
	s_cbranch_execz .LBB235_148
; %bb.9:
	s_load_dwordx2 s[2:3], s[4:5], 0x10
	s_sub_i32 s5, s34, s21
	s_ashr_i32 s4, s18, 31
	v_bfe_u32 v13, v0, 2, 3
	v_cmp_eq_u32_e32 vcc_lo, 0, v1
	v_lshlrev_b32_e32 v5, 1, v1
	v_lshlrev_b32_e32 v14, 5, v1
	v_and_b32_e32 v1, 0x7c, v9
	v_lshlrev_b32_e32 v4, 2, v13
	v_subrev_nc_u32_e32 v6, s11, v13
	v_mov_b32_e32 v2, 0
	v_lshlrev_b32_e32 v16, 3, v11
	v_mov_b32_e32 v17, 0xff7fffff
	v_lshl_or_b32 v4, v11, 5, v4
	v_add_nc_u32_e32 v22, 1, v6
	v_mov_b32_e32 v18, 0x80
	v_mov_b32_e32 v19, 0x7f
	;; [unrolled: 1-line block ×3, first 2 shown]
	v_add_nc_u32_e32 v23, 0xa0, v4
	v_mov_b32_e32 v21, 8
	s_waitcnt lgkmcnt(0)
	s_add_u32 s39, s2, s18
	s_addc_u32 s3, s3, s4
	s_abs_i32 s38, s22
	s_lshl_b64 s[40:41], s[28:29], 2
	v_cvt_f32_u32_e32 v3, s38
	s_sub_i32 s4, 0, s38
	v_cmp_neq_f32_e64 s2, s36, 0
	v_mov_b32_e32 v15, 0xff7fffff
	v_mov_b32_e32 v25, v11
	v_rcp_iflag_f32_e32 v3, v3
	v_mul_f32_e32 v3, 0x4f7ffffe, v3
	v_cvt_u32_f32_e32 v7, v3
	v_lshlrev_b32_e32 v3, 4, v13
	v_mul_lo_u32 v4, s4, v7
	v_add_co_u32 v6, s4, s39, v3
	v_add_co_ci_u32_e64 v8, null, s3, 0, s4
	s_add_u32 s3, s26, s40
	s_addc_u32 s4, s27, s41
	v_add_co_u32 v3, s3, s3, v1
	v_mul_hi_u32 v24, v7, v4
	v_add_co_ci_u32_e64 v4, null, s4, 0, s3
	v_add_co_u32 v5, s3, v6, v5
	v_add_co_ci_u32_e64 v6, null, 0, v8, s3
	s_mov_b32 s39, 0
	v_add_nc_u32_e32 v24, v7, v24
	s_mov_b32 s40, s17
	s_branch .LBB235_12
.LBB235_10:                             ;   in Loop: Header=BB235_12 Depth=1
	s_or_b32 exec_lo, exec_lo, s41
.LBB235_11:                             ;   in Loop: Header=BB235_12 Depth=1
	s_or_b32 exec_lo, exec_lo, s4
	v_add_nc_u32_e32 v25, 4, v25
	v_add_co_u32 v3, s4, v3, 16
	v_add_co_ci_u32_e64 v4, null, 0, v4, s4
	v_cmp_le_i32_e64 s3, s20, v25
	v_add_nc_u32_e32 v16, 32, v16
	v_add_nc_u32_e32 v23, 0x80, v23
	s_or_b32 s39, s3, s39
	s_andn2_b32 exec_lo, exec_lo, s39
	s_cbranch_execz .LBB235_147
.LBB235_12:                             ; =>This Inner Loop Header: Depth=1
	v_mul_hi_u32 v1, v16, s25
	s_waitcnt lgkmcnt(0)
	v_mul_lo_u32 v7, v1, s19
	v_add_nc_u32_e32 v8, 1, v1
	v_sub_nc_u32_e32 v7, v16, v7
	v_subrev_nc_u32_e32 v26, s19, v7
	v_cmp_le_u32_e64 s3, s19, v7
	v_cndmask_b32_e64 v1, v1, v8, s3
	v_cndmask_b32_e64 v7, v7, v26, s3
	v_add_nc_u32_e32 v8, 1, v1
	v_cmp_le_u32_e64 s3, s19, v7
	v_cndmask_b32_e64 v1, v1, v8, s3
	v_xor_b32_e32 v1, s23, v1
	v_subrev_nc_u32_e32 v1, s23, v1
	v_add_nc_u32_e32 v7, s33, v1
	v_cmp_ge_i32_e64 s4, s5, v1
	v_sub_nc_u32_e32 v8, 0, v7
	v_max_i32_e32 v8, v7, v8
	v_ashrrev_i32_e32 v7, 31, v7
	v_mul_hi_u32 v26, v8, v24
	v_mul_lo_u32 v26, v26, s38
	v_sub_nc_u32_e32 v8, v8, v26
	v_subrev_nc_u32_e32 v26, s38, v8
	v_cmp_le_u32_e64 s3, s38, v8
	v_cndmask_b32_e64 v8, v8, v26, s3
	v_subrev_nc_u32_e32 v26, s38, v8
	v_cmp_le_u32_e64 s3, s38, v8
	v_cndmask_b32_e64 v8, v8, v26, s3
	v_xor_b32_e32 v8, v8, v7
	v_sub_nc_u32_e32 v7, v8, v7
	v_cmp_ne_u32_e64 s3, 0, v7
	s_and_b32 s3, s3, s4
	s_and_saveexec_b32 s4, s3
	s_xor_b32 s3, exec_lo, s4
	s_cbranch_execz .LBB235_16
; %bb.13:                               ;   in Loop: Header=BB235_12 Depth=1
	s_and_saveexec_b32 s4, vcc_lo
; %bb.14:                               ;   in Loop: Header=BB235_12 Depth=1
	ds_write_b32 v23, v17
; %bb.15:                               ;   in Loop: Header=BB235_12 Depth=1
	s_or_b32 exec_lo, exec_lo, s4
.LBB235_16:                             ;   in Loop: Header=BB235_12 Depth=1
	s_andn2_saveexec_b32 s4, s3
	s_cbranch_execz .LBB235_11
; %bb.17:                               ;   in Loop: Header=BB235_12 Depth=1
	global_load_dword v1, v[3:4], off
	v_mov_b32_e32 v27, 0
	global_load_dword v26, v27, s[12:13]
	s_waitcnt vmcnt(1)
	v_mad_i64_i32 v[7:8], null, v1, s40, v[5:6]
	global_load_ushort v28, v[7:8], off
	s_waitcnt vmcnt(0)
	v_and_b32_e32 v1, 0xffff, v28
	v_cmp_ne_u16_sdwa s3, v28, v2 src0_sel:BYTE_0 src1_sel:DWORD
	v_mov_b32_e32 v28, 0
	s_and_saveexec_b32 s41, s3
	s_cbranch_execz .LBB235_25
; %bb.18:                               ;   in Loop: Header=BB235_12 Depth=1
	v_cmp_ne_u16_sdwa s3, v1, v18 src0_sel:BYTE_0 src1_sel:DWORD
	v_mov_b32_e32 v28, 0x8000
	s_and_saveexec_b32 s42, s3
	s_cbranch_execz .LBB235_24
; %bb.19:                               ;   in Loop: Header=BB235_12 Depth=1
	v_and_b32_e32 v30, 0x7f, v1
	v_mov_b32_e32 v28, 0x7c01
	s_mov_b32 s43, exec_lo
	v_cmpx_ne_u32_e32 0x7f, v30
	s_cbranch_execz .LBB235_23
; %bb.20:                               ;   in Loop: Header=BB235_12 Depth=1
	v_and_b32_e32 v28, 7, v1
	v_lshrrev_b32_e32 v29, 3, v30
	s_mov_b32 s44, exec_lo
	v_cmpx_gt_u32_e32 8, v30
; %bb.21:                               ;   in Loop: Header=BB235_12 Depth=1
	v_ffbh_u32_e32 v28, v28
	v_min_u32_e32 v30, 32, v28
	v_subrev_nc_u32_e32 v28, 28, v30
	v_lshlrev_b64 v[28:29], v28, v[1:2]
	v_sub_nc_u32_e32 v29, 29, v30
	v_and_b32_e32 v28, 7, v28
; %bb.22:                               ;   in Loop: Header=BB235_12 Depth=1
	s_or_b32 exec_lo, exec_lo, s44
	v_lshlrev_b32_e32 v30, 8, v1
	v_lshl_add_u32 v29, v29, 10, 0x2000
	v_lshlrev_b32_e32 v28, 7, v28
	v_and_b32_e32 v30, 0x8000, v30
	v_and_b32_e32 v29, 0xfc00, v29
	v_or3_b32 v28, v30, v29, v28
.LBB235_23:                             ;   in Loop: Header=BB235_12 Depth=1
	s_or_b32 exec_lo, exec_lo, s43
.LBB235_24:                             ;   in Loop: Header=BB235_12 Depth=1
	s_or_b32 exec_lo, exec_lo, s42
.LBB235_25:                             ;   in Loop: Header=BB235_12 Depth=1
	s_or_b32 exec_lo, exec_lo, s41
	v_lshrrev_b16 v1, 8, v1
	s_mov_b32 s41, exec_lo
	v_cmpx_ne_u16_e32 0, v1
	s_cbranch_execz .LBB235_33
; %bb.26:                               ;   in Loop: Header=BB235_12 Depth=1
	v_bfrev_b32_e32 v27, 1
	s_mov_b32 s42, exec_lo
	v_cmpx_ne_u16_e32 0x80, v1
	s_cbranch_execz .LBB235_32
; %bb.27:                               ;   in Loop: Header=BB235_12 Depth=1
	v_and_b32_sdwa v30, v1, v19 dst_sel:DWORD dst_unused:UNUSED_PAD src0_sel:WORD_0 src1_sel:DWORD
	v_mov_b32_e32 v27, 0x7c010000
	s_mov_b32 s43, exec_lo
	v_cmpx_ne_u32_e32 0x7f, v30
	s_cbranch_execz .LBB235_31
; %bb.28:                               ;   in Loop: Header=BB235_12 Depth=1
	v_and_b32_sdwa v27, v1, v20 dst_sel:DWORD dst_unused:UNUSED_PAD src0_sel:WORD_0 src1_sel:DWORD
	v_lshrrev_b32_e32 v29, 3, v30
	s_mov_b32 s44, exec_lo
	v_cmpx_gt_u32_e32 8, v30
; %bb.29:                               ;   in Loop: Header=BB235_12 Depth=1
	v_ffbh_u32_e32 v27, v27
	v_min_u32_e32 v27, 32, v27
	v_subrev_nc_u32_e32 v29, 28, v27
	v_lshlrev_b64 v[30:31], v29, v[1:2]
	v_sub_nc_u32_e32 v29, 29, v27
	v_and_b32_e32 v27, 7, v30
; %bb.30:                               ;   in Loop: Header=BB235_12 Depth=1
	s_or_b32 exec_lo, exec_lo, s44
	v_lshlrev_b32_sdwa v1, v21, v1 dst_sel:DWORD dst_unused:UNUSED_PAD src0_sel:DWORD src1_sel:WORD_0
	v_lshl_add_u32 v29, v29, 10, 0x2000
	v_lshlrev_b32_e32 v27, 23, v27
	v_and_or_b32 v1, 0x8000, v1, v29
	v_lshl_or_b32 v27, v1, 16, v27
.LBB235_31:                             ;   in Loop: Header=BB235_12 Depth=1
	s_or_b32 exec_lo, exec_lo, s43
.LBB235_32:                             ;   in Loop: Header=BB235_12 Depth=1
	s_or_b32 exec_lo, exec_lo, s42
.LBB235_33:                             ;   in Loop: Header=BB235_12 Depth=1
	s_or_b32 exec_lo, exec_lo, s41
	global_load_ushort v30, v[7:8], off offset:8
	v_mov_b32_e32 v29, 0
	s_waitcnt vmcnt(0)
	v_and_b32_e32 v1, 0xffff, v30
	v_cmp_ne_u16_sdwa s3, v30, v2 src0_sel:BYTE_0 src1_sel:DWORD
	v_mov_b32_e32 v30, 0
	s_and_saveexec_b32 s41, s3
	s_cbranch_execz .LBB235_41
; %bb.34:                               ;   in Loop: Header=BB235_12 Depth=1
	v_cmp_ne_u16_sdwa s3, v1, v18 src0_sel:BYTE_0 src1_sel:DWORD
	v_mov_b32_e32 v30, 0x8000
	s_and_saveexec_b32 s42, s3
	s_cbranch_execz .LBB235_40
; %bb.35:                               ;   in Loop: Header=BB235_12 Depth=1
	v_and_b32_e32 v32, 0x7f, v1
	v_mov_b32_e32 v30, 0x7c01
	s_mov_b32 s43, exec_lo
	v_cmpx_ne_u32_e32 0x7f, v32
	s_cbranch_execz .LBB235_39
; %bb.36:                               ;   in Loop: Header=BB235_12 Depth=1
	v_and_b32_e32 v30, 7, v1
	v_lshrrev_b32_e32 v31, 3, v32
	s_mov_b32 s44, exec_lo
	v_cmpx_gt_u32_e32 8, v32
; %bb.37:                               ;   in Loop: Header=BB235_12 Depth=1
	v_ffbh_u32_e32 v30, v30
	v_min_u32_e32 v32, 32, v30
	v_subrev_nc_u32_e32 v30, 28, v32
	v_lshlrev_b64 v[30:31], v30, v[1:2]
	v_sub_nc_u32_e32 v31, 29, v32
	v_and_b32_e32 v30, 7, v30
; %bb.38:                               ;   in Loop: Header=BB235_12 Depth=1
	s_or_b32 exec_lo, exec_lo, s44
	v_lshlrev_b32_e32 v32, 8, v1
	v_lshl_add_u32 v31, v31, 10, 0x2000
	v_lshlrev_b32_e32 v30, 7, v30
	v_and_b32_e32 v32, 0x8000, v32
	v_and_b32_e32 v31, 0xfc00, v31
	v_or3_b32 v30, v32, v31, v30
.LBB235_39:                             ;   in Loop: Header=BB235_12 Depth=1
	s_or_b32 exec_lo, exec_lo, s43
.LBB235_40:                             ;   in Loop: Header=BB235_12 Depth=1
	s_or_b32 exec_lo, exec_lo, s42
.LBB235_41:                             ;   in Loop: Header=BB235_12 Depth=1
	s_or_b32 exec_lo, exec_lo, s41
	v_lshrrev_b16 v1, 8, v1
	s_mov_b32 s41, exec_lo
	v_cmpx_ne_u16_e32 0, v1
	s_cbranch_execz .LBB235_49
; %bb.42:                               ;   in Loop: Header=BB235_12 Depth=1
	v_bfrev_b32_e32 v29, 1
	s_mov_b32 s42, exec_lo
	v_cmpx_ne_u16_e32 0x80, v1
	s_cbranch_execz .LBB235_48
; %bb.43:                               ;   in Loop: Header=BB235_12 Depth=1
	v_and_b32_sdwa v32, v1, v19 dst_sel:DWORD dst_unused:UNUSED_PAD src0_sel:WORD_0 src1_sel:DWORD
	v_mov_b32_e32 v29, 0x7c010000
	s_mov_b32 s43, exec_lo
	v_cmpx_ne_u32_e32 0x7f, v32
	s_cbranch_execz .LBB235_47
; %bb.44:                               ;   in Loop: Header=BB235_12 Depth=1
	v_and_b32_sdwa v29, v1, v20 dst_sel:DWORD dst_unused:UNUSED_PAD src0_sel:WORD_0 src1_sel:DWORD
	v_lshrrev_b32_e32 v31, 3, v32
	s_mov_b32 s44, exec_lo
	v_cmpx_gt_u32_e32 8, v32
; %bb.45:                               ;   in Loop: Header=BB235_12 Depth=1
	v_ffbh_u32_e32 v29, v29
	v_min_u32_e32 v29, 32, v29
	v_subrev_nc_u32_e32 v31, 28, v29
	v_lshlrev_b64 v[32:33], v31, v[1:2]
	v_sub_nc_u32_e32 v31, 29, v29
	v_and_b32_e32 v29, 7, v32
; %bb.46:                               ;   in Loop: Header=BB235_12 Depth=1
	s_or_b32 exec_lo, exec_lo, s44
	v_lshlrev_b32_sdwa v1, v21, v1 dst_sel:DWORD dst_unused:UNUSED_PAD src0_sel:DWORD src1_sel:WORD_0
	v_lshl_add_u32 v31, v31, 10, 0x2000
	v_lshlrev_b32_e32 v29, 23, v29
	v_and_or_b32 v1, 0x8000, v1, v31
	v_lshl_or_b32 v29, v1, 16, v29
.LBB235_47:                             ;   in Loop: Header=BB235_12 Depth=1
	s_or_b32 exec_lo, exec_lo, s43
.LBB235_48:                             ;   in Loop: Header=BB235_12 Depth=1
	s_or_b32 exec_lo, exec_lo, s42
.LBB235_49:                             ;   in Loop: Header=BB235_12 Depth=1
	s_or_b32 exec_lo, exec_lo, s41
	global_load_ushort v32, v[7:8], off offset:128
	v_mov_b32_e32 v31, 0
	s_waitcnt vmcnt(0)
	v_and_b32_e32 v1, 0xffff, v32
	v_cmp_ne_u16_sdwa s3, v32, v2 src0_sel:BYTE_0 src1_sel:DWORD
	v_mov_b32_e32 v32, 0
	s_and_saveexec_b32 s41, s3
	s_cbranch_execz .LBB235_57
; %bb.50:                               ;   in Loop: Header=BB235_12 Depth=1
	v_cmp_ne_u16_sdwa s3, v1, v18 src0_sel:BYTE_0 src1_sel:DWORD
	v_mov_b32_e32 v32, 0x8000
	s_and_saveexec_b32 s42, s3
	s_cbranch_execz .LBB235_56
; %bb.51:                               ;   in Loop: Header=BB235_12 Depth=1
	v_and_b32_e32 v34, 0x7f, v1
	v_mov_b32_e32 v32, 0x7c01
	s_mov_b32 s43, exec_lo
	v_cmpx_ne_u32_e32 0x7f, v34
	s_cbranch_execz .LBB235_55
; %bb.52:                               ;   in Loop: Header=BB235_12 Depth=1
	v_and_b32_e32 v32, 7, v1
	v_lshrrev_b32_e32 v33, 3, v34
	s_mov_b32 s44, exec_lo
	v_cmpx_gt_u32_e32 8, v34
; %bb.53:                               ;   in Loop: Header=BB235_12 Depth=1
	v_ffbh_u32_e32 v32, v32
	v_min_u32_e32 v34, 32, v32
	v_subrev_nc_u32_e32 v32, 28, v34
	v_lshlrev_b64 v[32:33], v32, v[1:2]
	v_sub_nc_u32_e32 v33, 29, v34
	v_and_b32_e32 v32, 7, v32
; %bb.54:                               ;   in Loop: Header=BB235_12 Depth=1
	s_or_b32 exec_lo, exec_lo, s44
	v_lshlrev_b32_e32 v34, 8, v1
	v_lshl_add_u32 v33, v33, 10, 0x2000
	v_lshlrev_b32_e32 v32, 7, v32
	v_and_b32_e32 v34, 0x8000, v34
	v_and_b32_e32 v33, 0xfc00, v33
	v_or3_b32 v32, v34, v33, v32
.LBB235_55:                             ;   in Loop: Header=BB235_12 Depth=1
	s_or_b32 exec_lo, exec_lo, s43
.LBB235_56:                             ;   in Loop: Header=BB235_12 Depth=1
	s_or_b32 exec_lo, exec_lo, s42
.LBB235_57:                             ;   in Loop: Header=BB235_12 Depth=1
	s_or_b32 exec_lo, exec_lo, s41
	v_lshrrev_b16 v1, 8, v1
	s_mov_b32 s41, exec_lo
	v_cmpx_ne_u16_e32 0, v1
	s_cbranch_execz .LBB235_65
; %bb.58:                               ;   in Loop: Header=BB235_12 Depth=1
	v_bfrev_b32_e32 v31, 1
	s_mov_b32 s42, exec_lo
	v_cmpx_ne_u16_e32 0x80, v1
	s_cbranch_execz .LBB235_64
; %bb.59:                               ;   in Loop: Header=BB235_12 Depth=1
	v_and_b32_sdwa v34, v1, v19 dst_sel:DWORD dst_unused:UNUSED_PAD src0_sel:WORD_0 src1_sel:DWORD
	v_mov_b32_e32 v31, 0x7c010000
	s_mov_b32 s43, exec_lo
	v_cmpx_ne_u32_e32 0x7f, v34
	s_cbranch_execz .LBB235_63
; %bb.60:                               ;   in Loop: Header=BB235_12 Depth=1
	v_and_b32_sdwa v31, v1, v20 dst_sel:DWORD dst_unused:UNUSED_PAD src0_sel:WORD_0 src1_sel:DWORD
	v_lshrrev_b32_e32 v33, 3, v34
	s_mov_b32 s44, exec_lo
	v_cmpx_gt_u32_e32 8, v34
; %bb.61:                               ;   in Loop: Header=BB235_12 Depth=1
	v_ffbh_u32_e32 v31, v31
	v_min_u32_e32 v31, 32, v31
	v_subrev_nc_u32_e32 v33, 28, v31
	v_lshlrev_b64 v[34:35], v33, v[1:2]
	v_sub_nc_u32_e32 v33, 29, v31
	v_and_b32_e32 v31, 7, v34
; %bb.62:                               ;   in Loop: Header=BB235_12 Depth=1
	s_or_b32 exec_lo, exec_lo, s44
	v_lshlrev_b32_sdwa v1, v21, v1 dst_sel:DWORD dst_unused:UNUSED_PAD src0_sel:DWORD src1_sel:WORD_0
	v_lshl_add_u32 v33, v33, 10, 0x2000
	v_lshlrev_b32_e32 v31, 23, v31
	v_and_or_b32 v1, 0x8000, v1, v33
	v_lshl_or_b32 v31, v1, 16, v31
.LBB235_63:                             ;   in Loop: Header=BB235_12 Depth=1
	s_or_b32 exec_lo, exec_lo, s43
.LBB235_64:                             ;   in Loop: Header=BB235_12 Depth=1
	s_or_b32 exec_lo, exec_lo, s42
.LBB235_65:                             ;   in Loop: Header=BB235_12 Depth=1
	s_or_b32 exec_lo, exec_lo, s41
	global_load_ushort v34, v[7:8], off offset:136
	v_mov_b32_e32 v33, 0
	s_waitcnt vmcnt(0)
	v_and_b32_e32 v1, 0xffff, v34
	v_cmp_ne_u16_sdwa s3, v34, v2 src0_sel:BYTE_0 src1_sel:DWORD
	v_mov_b32_e32 v34, 0
	s_and_saveexec_b32 s41, s3
	s_cbranch_execz .LBB235_73
; %bb.66:                               ;   in Loop: Header=BB235_12 Depth=1
	v_cmp_ne_u16_sdwa s3, v1, v18 src0_sel:BYTE_0 src1_sel:DWORD
	v_mov_b32_e32 v34, 0x8000
	s_and_saveexec_b32 s42, s3
	s_cbranch_execz .LBB235_72
; %bb.67:                               ;   in Loop: Header=BB235_12 Depth=1
	v_and_b32_e32 v36, 0x7f, v1
	v_mov_b32_e32 v34, 0x7c01
	s_mov_b32 s43, exec_lo
	v_cmpx_ne_u32_e32 0x7f, v36
	s_cbranch_execz .LBB235_71
; %bb.68:                               ;   in Loop: Header=BB235_12 Depth=1
	v_and_b32_e32 v34, 7, v1
	v_lshrrev_b32_e32 v35, 3, v36
	s_mov_b32 s44, exec_lo
	v_cmpx_gt_u32_e32 8, v36
; %bb.69:                               ;   in Loop: Header=BB235_12 Depth=1
	v_ffbh_u32_e32 v34, v34
	v_min_u32_e32 v36, 32, v34
	v_subrev_nc_u32_e32 v34, 28, v36
	v_lshlrev_b64 v[34:35], v34, v[1:2]
	v_sub_nc_u32_e32 v35, 29, v36
	v_and_b32_e32 v34, 7, v34
; %bb.70:                               ;   in Loop: Header=BB235_12 Depth=1
	s_or_b32 exec_lo, exec_lo, s44
	v_lshlrev_b32_e32 v36, 8, v1
	v_lshl_add_u32 v35, v35, 10, 0x2000
	v_lshlrev_b32_e32 v34, 7, v34
	v_and_b32_e32 v36, 0x8000, v36
	v_and_b32_e32 v35, 0xfc00, v35
	v_or3_b32 v34, v36, v35, v34
.LBB235_71:                             ;   in Loop: Header=BB235_12 Depth=1
	s_or_b32 exec_lo, exec_lo, s43
.LBB235_72:                             ;   in Loop: Header=BB235_12 Depth=1
	s_or_b32 exec_lo, exec_lo, s42
.LBB235_73:                             ;   in Loop: Header=BB235_12 Depth=1
	s_or_b32 exec_lo, exec_lo, s41
	v_lshrrev_b16 v1, 8, v1
	s_mov_b32 s41, exec_lo
	v_cmpx_ne_u16_e32 0, v1
	s_cbranch_execz .LBB235_81
; %bb.74:                               ;   in Loop: Header=BB235_12 Depth=1
	v_bfrev_b32_e32 v33, 1
	s_mov_b32 s42, exec_lo
	v_cmpx_ne_u16_e32 0x80, v1
	s_cbranch_execz .LBB235_80
; %bb.75:                               ;   in Loop: Header=BB235_12 Depth=1
	v_and_b32_sdwa v36, v1, v19 dst_sel:DWORD dst_unused:UNUSED_PAD src0_sel:WORD_0 src1_sel:DWORD
	v_mov_b32_e32 v33, 0x7c010000
	s_mov_b32 s43, exec_lo
	v_cmpx_ne_u32_e32 0x7f, v36
	s_cbranch_execz .LBB235_79
; %bb.76:                               ;   in Loop: Header=BB235_12 Depth=1
	v_and_b32_sdwa v33, v1, v20 dst_sel:DWORD dst_unused:UNUSED_PAD src0_sel:WORD_0 src1_sel:DWORD
	v_lshrrev_b32_e32 v35, 3, v36
	s_mov_b32 s44, exec_lo
	v_cmpx_gt_u32_e32 8, v36
; %bb.77:                               ;   in Loop: Header=BB235_12 Depth=1
	v_ffbh_u32_e32 v33, v33
	v_min_u32_e32 v33, 32, v33
	v_subrev_nc_u32_e32 v35, 28, v33
	v_lshlrev_b64 v[36:37], v35, v[1:2]
	v_sub_nc_u32_e32 v35, 29, v33
	v_and_b32_e32 v33, 7, v36
; %bb.78:                               ;   in Loop: Header=BB235_12 Depth=1
	s_or_b32 exec_lo, exec_lo, s44
	v_lshlrev_b32_sdwa v1, v21, v1 dst_sel:DWORD dst_unused:UNUSED_PAD src0_sel:DWORD src1_sel:WORD_0
	v_lshl_add_u32 v35, v35, 10, 0x2000
	v_lshlrev_b32_e32 v33, 23, v33
	v_and_or_b32 v1, 0x8000, v1, v35
	v_lshl_or_b32 v33, v1, 16, v33
.LBB235_79:                             ;   in Loop: Header=BB235_12 Depth=1
	s_or_b32 exec_lo, exec_lo, s43
.LBB235_80:                             ;   in Loop: Header=BB235_12 Depth=1
	s_or_b32 exec_lo, exec_lo, s42
.LBB235_81:                             ;   in Loop: Header=BB235_12 Depth=1
	s_or_b32 exec_lo, exec_lo, s41
	global_load_ushort v36, v[7:8], off offset:256
	v_mov_b32_e32 v35, 0
	s_waitcnt vmcnt(0)
	v_and_b32_e32 v1, 0xffff, v36
	v_cmp_ne_u16_sdwa s3, v36, v2 src0_sel:BYTE_0 src1_sel:DWORD
	v_mov_b32_e32 v36, 0
	s_and_saveexec_b32 s41, s3
	s_cbranch_execz .LBB235_89
; %bb.82:                               ;   in Loop: Header=BB235_12 Depth=1
	v_cmp_ne_u16_sdwa s3, v1, v18 src0_sel:BYTE_0 src1_sel:DWORD
	v_mov_b32_e32 v36, 0x8000
	s_and_saveexec_b32 s42, s3
	s_cbranch_execz .LBB235_88
; %bb.83:                               ;   in Loop: Header=BB235_12 Depth=1
	v_and_b32_e32 v38, 0x7f, v1
	v_mov_b32_e32 v36, 0x7c01
	s_mov_b32 s43, exec_lo
	v_cmpx_ne_u32_e32 0x7f, v38
	s_cbranch_execz .LBB235_87
; %bb.84:                               ;   in Loop: Header=BB235_12 Depth=1
	v_and_b32_e32 v36, 7, v1
	v_lshrrev_b32_e32 v37, 3, v38
	s_mov_b32 s44, exec_lo
	v_cmpx_gt_u32_e32 8, v38
; %bb.85:                               ;   in Loop: Header=BB235_12 Depth=1
	v_ffbh_u32_e32 v36, v36
	v_min_u32_e32 v38, 32, v36
	v_subrev_nc_u32_e32 v36, 28, v38
	v_lshlrev_b64 v[36:37], v36, v[1:2]
	v_sub_nc_u32_e32 v37, 29, v38
	v_and_b32_e32 v36, 7, v36
; %bb.86:                               ;   in Loop: Header=BB235_12 Depth=1
	s_or_b32 exec_lo, exec_lo, s44
	v_lshlrev_b32_e32 v38, 8, v1
	v_lshl_add_u32 v37, v37, 10, 0x2000
	v_lshlrev_b32_e32 v36, 7, v36
	v_and_b32_e32 v38, 0x8000, v38
	v_and_b32_e32 v37, 0xfc00, v37
	v_or3_b32 v36, v38, v37, v36
.LBB235_87:                             ;   in Loop: Header=BB235_12 Depth=1
	s_or_b32 exec_lo, exec_lo, s43
.LBB235_88:                             ;   in Loop: Header=BB235_12 Depth=1
	s_or_b32 exec_lo, exec_lo, s42
.LBB235_89:                             ;   in Loop: Header=BB235_12 Depth=1
	s_or_b32 exec_lo, exec_lo, s41
	v_lshrrev_b16 v1, 8, v1
	s_mov_b32 s41, exec_lo
	v_cmpx_ne_u16_e32 0, v1
	s_cbranch_execz .LBB235_97
; %bb.90:                               ;   in Loop: Header=BB235_12 Depth=1
	v_bfrev_b32_e32 v35, 1
	s_mov_b32 s42, exec_lo
	v_cmpx_ne_u16_e32 0x80, v1
	s_cbranch_execz .LBB235_96
; %bb.91:                               ;   in Loop: Header=BB235_12 Depth=1
	v_and_b32_sdwa v38, v1, v19 dst_sel:DWORD dst_unused:UNUSED_PAD src0_sel:WORD_0 src1_sel:DWORD
	v_mov_b32_e32 v35, 0x7c010000
	s_mov_b32 s43, exec_lo
	v_cmpx_ne_u32_e32 0x7f, v38
	s_cbranch_execz .LBB235_95
; %bb.92:                               ;   in Loop: Header=BB235_12 Depth=1
	v_and_b32_sdwa v35, v1, v20 dst_sel:DWORD dst_unused:UNUSED_PAD src0_sel:WORD_0 src1_sel:DWORD
	v_lshrrev_b32_e32 v37, 3, v38
	s_mov_b32 s44, exec_lo
	v_cmpx_gt_u32_e32 8, v38
; %bb.93:                               ;   in Loop: Header=BB235_12 Depth=1
	v_ffbh_u32_e32 v35, v35
	v_min_u32_e32 v35, 32, v35
	v_subrev_nc_u32_e32 v37, 28, v35
	v_lshlrev_b64 v[38:39], v37, v[1:2]
	v_sub_nc_u32_e32 v37, 29, v35
	v_and_b32_e32 v35, 7, v38
; %bb.94:                               ;   in Loop: Header=BB235_12 Depth=1
	s_or_b32 exec_lo, exec_lo, s44
	v_lshlrev_b32_sdwa v1, v21, v1 dst_sel:DWORD dst_unused:UNUSED_PAD src0_sel:DWORD src1_sel:WORD_0
	v_lshl_add_u32 v37, v37, 10, 0x2000
	v_lshlrev_b32_e32 v35, 23, v35
	v_and_or_b32 v1, 0x8000, v1, v37
	v_lshl_or_b32 v35, v1, 16, v35
.LBB235_95:                             ;   in Loop: Header=BB235_12 Depth=1
	s_or_b32 exec_lo, exec_lo, s43
.LBB235_96:                             ;   in Loop: Header=BB235_12 Depth=1
	s_or_b32 exec_lo, exec_lo, s42
.LBB235_97:                             ;   in Loop: Header=BB235_12 Depth=1
	s_or_b32 exec_lo, exec_lo, s41
	global_load_ushort v38, v[7:8], off offset:264
	v_mov_b32_e32 v37, 0
	s_waitcnt vmcnt(0)
	v_and_b32_e32 v1, 0xffff, v38
	v_cmp_ne_u16_sdwa s3, v38, v2 src0_sel:BYTE_0 src1_sel:DWORD
	v_mov_b32_e32 v38, 0
	s_and_saveexec_b32 s41, s3
	s_cbranch_execz .LBB235_105
; %bb.98:                               ;   in Loop: Header=BB235_12 Depth=1
	v_cmp_ne_u16_sdwa s3, v1, v18 src0_sel:BYTE_0 src1_sel:DWORD
	v_mov_b32_e32 v38, 0x8000
	s_and_saveexec_b32 s42, s3
	s_cbranch_execz .LBB235_104
; %bb.99:                               ;   in Loop: Header=BB235_12 Depth=1
	v_and_b32_e32 v40, 0x7f, v1
	v_mov_b32_e32 v38, 0x7c01
	s_mov_b32 s43, exec_lo
	v_cmpx_ne_u32_e32 0x7f, v40
	s_cbranch_execz .LBB235_103
; %bb.100:                              ;   in Loop: Header=BB235_12 Depth=1
	v_and_b32_e32 v38, 7, v1
	v_lshrrev_b32_e32 v39, 3, v40
	s_mov_b32 s44, exec_lo
	v_cmpx_gt_u32_e32 8, v40
; %bb.101:                              ;   in Loop: Header=BB235_12 Depth=1
	v_ffbh_u32_e32 v38, v38
	v_min_u32_e32 v40, 32, v38
	v_subrev_nc_u32_e32 v38, 28, v40
	v_lshlrev_b64 v[38:39], v38, v[1:2]
	v_sub_nc_u32_e32 v39, 29, v40
	v_and_b32_e32 v38, 7, v38
; %bb.102:                              ;   in Loop: Header=BB235_12 Depth=1
	s_or_b32 exec_lo, exec_lo, s44
	v_lshlrev_b32_e32 v40, 8, v1
	v_lshl_add_u32 v39, v39, 10, 0x2000
	v_lshlrev_b32_e32 v38, 7, v38
	v_and_b32_e32 v40, 0x8000, v40
	v_and_b32_e32 v39, 0xfc00, v39
	v_or3_b32 v38, v40, v39, v38
.LBB235_103:                            ;   in Loop: Header=BB235_12 Depth=1
	s_or_b32 exec_lo, exec_lo, s43
.LBB235_104:                            ;   in Loop: Header=BB235_12 Depth=1
	s_or_b32 exec_lo, exec_lo, s42
.LBB235_105:                            ;   in Loop: Header=BB235_12 Depth=1
	s_or_b32 exec_lo, exec_lo, s41
	v_lshrrev_b16 v1, 8, v1
	s_mov_b32 s41, exec_lo
	v_cmpx_ne_u16_e32 0, v1
	s_cbranch_execz .LBB235_113
; %bb.106:                              ;   in Loop: Header=BB235_12 Depth=1
	v_bfrev_b32_e32 v37, 1
	s_mov_b32 s42, exec_lo
	v_cmpx_ne_u16_e32 0x80, v1
	s_cbranch_execz .LBB235_112
; %bb.107:                              ;   in Loop: Header=BB235_12 Depth=1
	v_and_b32_sdwa v40, v1, v19 dst_sel:DWORD dst_unused:UNUSED_PAD src0_sel:WORD_0 src1_sel:DWORD
	v_mov_b32_e32 v37, 0x7c010000
	s_mov_b32 s43, exec_lo
	v_cmpx_ne_u32_e32 0x7f, v40
	s_cbranch_execz .LBB235_111
; %bb.108:                              ;   in Loop: Header=BB235_12 Depth=1
	v_and_b32_sdwa v37, v1, v20 dst_sel:DWORD dst_unused:UNUSED_PAD src0_sel:WORD_0 src1_sel:DWORD
	v_lshrrev_b32_e32 v39, 3, v40
	s_mov_b32 s44, exec_lo
	v_cmpx_gt_u32_e32 8, v40
; %bb.109:                              ;   in Loop: Header=BB235_12 Depth=1
	v_ffbh_u32_e32 v37, v37
	v_min_u32_e32 v37, 32, v37
	v_subrev_nc_u32_e32 v39, 28, v37
	v_lshlrev_b64 v[40:41], v39, v[1:2]
	v_sub_nc_u32_e32 v39, 29, v37
	v_and_b32_e32 v37, 7, v40
; %bb.110:                              ;   in Loop: Header=BB235_12 Depth=1
	s_or_b32 exec_lo, exec_lo, s44
	v_lshlrev_b32_sdwa v1, v21, v1 dst_sel:DWORD dst_unused:UNUSED_PAD src0_sel:DWORD src1_sel:WORD_0
	v_lshl_add_u32 v39, v39, 10, 0x2000
	v_lshlrev_b32_e32 v37, 23, v37
	v_and_or_b32 v1, 0x8000, v1, v39
	v_lshl_or_b32 v37, v1, 16, v37
.LBB235_111:                            ;   in Loop: Header=BB235_12 Depth=1
	s_or_b32 exec_lo, exec_lo, s43
.LBB235_112:                            ;   in Loop: Header=BB235_12 Depth=1
	s_or_b32 exec_lo, exec_lo, s42
.LBB235_113:                            ;   in Loop: Header=BB235_12 Depth=1
	s_or_b32 exec_lo, exec_lo, s41
	global_load_ushort v40, v[7:8], off offset:384
	v_mov_b32_e32 v39, 0
	s_waitcnt vmcnt(0)
	v_and_b32_e32 v1, 0xffff, v40
	v_cmp_ne_u16_sdwa s3, v40, v2 src0_sel:BYTE_0 src1_sel:DWORD
	v_mov_b32_e32 v40, 0
	s_and_saveexec_b32 s41, s3
	s_cbranch_execz .LBB235_121
; %bb.114:                              ;   in Loop: Header=BB235_12 Depth=1
	v_cmp_ne_u16_sdwa s3, v1, v18 src0_sel:BYTE_0 src1_sel:DWORD
	v_mov_b32_e32 v40, 0x8000
	s_and_saveexec_b32 s42, s3
	s_cbranch_execz .LBB235_120
; %bb.115:                              ;   in Loop: Header=BB235_12 Depth=1
	v_and_b32_e32 v42, 0x7f, v1
	v_mov_b32_e32 v40, 0x7c01
	s_mov_b32 s43, exec_lo
	v_cmpx_ne_u32_e32 0x7f, v42
	s_cbranch_execz .LBB235_119
; %bb.116:                              ;   in Loop: Header=BB235_12 Depth=1
	v_and_b32_e32 v40, 7, v1
	v_lshrrev_b32_e32 v41, 3, v42
	s_mov_b32 s44, exec_lo
	v_cmpx_gt_u32_e32 8, v42
; %bb.117:                              ;   in Loop: Header=BB235_12 Depth=1
	v_ffbh_u32_e32 v40, v40
	v_min_u32_e32 v42, 32, v40
	v_subrev_nc_u32_e32 v40, 28, v42
	v_lshlrev_b64 v[40:41], v40, v[1:2]
	v_sub_nc_u32_e32 v41, 29, v42
	v_and_b32_e32 v40, 7, v40
; %bb.118:                              ;   in Loop: Header=BB235_12 Depth=1
	s_or_b32 exec_lo, exec_lo, s44
	v_lshlrev_b32_e32 v42, 8, v1
	v_lshl_add_u32 v41, v41, 10, 0x2000
	v_lshlrev_b32_e32 v40, 7, v40
	v_and_b32_e32 v42, 0x8000, v42
	v_and_b32_e32 v41, 0xfc00, v41
	v_or3_b32 v40, v42, v41, v40
.LBB235_119:                            ;   in Loop: Header=BB235_12 Depth=1
	s_or_b32 exec_lo, exec_lo, s43
.LBB235_120:                            ;   in Loop: Header=BB235_12 Depth=1
	s_or_b32 exec_lo, exec_lo, s42
.LBB235_121:                            ;   in Loop: Header=BB235_12 Depth=1
	s_or_b32 exec_lo, exec_lo, s41
	v_lshrrev_b16 v1, 8, v1
	s_mov_b32 s41, exec_lo
	v_cmpx_ne_u16_e32 0, v1
	s_cbranch_execz .LBB235_129
; %bb.122:                              ;   in Loop: Header=BB235_12 Depth=1
	v_bfrev_b32_e32 v39, 1
	s_mov_b32 s42, exec_lo
	v_cmpx_ne_u16_e32 0x80, v1
	s_cbranch_execz .LBB235_128
; %bb.123:                              ;   in Loop: Header=BB235_12 Depth=1
	v_and_b32_sdwa v42, v1, v19 dst_sel:DWORD dst_unused:UNUSED_PAD src0_sel:WORD_0 src1_sel:DWORD
	v_mov_b32_e32 v39, 0x7c010000
	s_mov_b32 s43, exec_lo
	v_cmpx_ne_u32_e32 0x7f, v42
	s_cbranch_execz .LBB235_127
; %bb.124:                              ;   in Loop: Header=BB235_12 Depth=1
	v_and_b32_sdwa v39, v1, v20 dst_sel:DWORD dst_unused:UNUSED_PAD src0_sel:WORD_0 src1_sel:DWORD
	v_lshrrev_b32_e32 v41, 3, v42
	s_mov_b32 s44, exec_lo
	v_cmpx_gt_u32_e32 8, v42
; %bb.125:                              ;   in Loop: Header=BB235_12 Depth=1
	v_ffbh_u32_e32 v39, v39
	v_min_u32_e32 v39, 32, v39
	v_subrev_nc_u32_e32 v41, 28, v39
	v_lshlrev_b64 v[42:43], v41, v[1:2]
	v_sub_nc_u32_e32 v41, 29, v39
	v_and_b32_e32 v39, 7, v42
; %bb.126:                              ;   in Loop: Header=BB235_12 Depth=1
	s_or_b32 exec_lo, exec_lo, s44
	v_lshlrev_b32_sdwa v1, v21, v1 dst_sel:DWORD dst_unused:UNUSED_PAD src0_sel:DWORD src1_sel:WORD_0
	v_lshl_add_u32 v41, v41, 10, 0x2000
	v_lshlrev_b32_e32 v39, 23, v39
	v_and_or_b32 v1, 0x8000, v1, v41
	v_lshl_or_b32 v39, v1, 16, v39
.LBB235_127:                            ;   in Loop: Header=BB235_12 Depth=1
	s_or_b32 exec_lo, exec_lo, s43
.LBB235_128:                            ;   in Loop: Header=BB235_12 Depth=1
	s_or_b32 exec_lo, exec_lo, s42
.LBB235_129:                            ;   in Loop: Header=BB235_12 Depth=1
	s_or_b32 exec_lo, exec_lo, s41
	global_load_ushort v8, v[7:8], off offset:392
	v_mov_b32_e32 v7, 0
	s_waitcnt vmcnt(0)
	v_and_b32_e32 v1, 0xffff, v8
	v_cmp_ne_u16_sdwa s3, v8, v2 src0_sel:BYTE_0 src1_sel:DWORD
	v_mov_b32_e32 v8, 0
	s_and_saveexec_b32 s41, s3
	s_cbranch_execz .LBB235_137
; %bb.130:                              ;   in Loop: Header=BB235_12 Depth=1
	v_cmp_ne_u16_sdwa s3, v1, v18 src0_sel:BYTE_0 src1_sel:DWORD
	v_mov_b32_e32 v8, 0x8000
	s_and_saveexec_b32 s42, s3
	s_cbranch_execz .LBB235_136
; %bb.131:                              ;   in Loop: Header=BB235_12 Depth=1
	v_and_b32_e32 v42, 0x7f, v1
	v_mov_b32_e32 v8, 0x7c01
	s_mov_b32 s43, exec_lo
	v_cmpx_ne_u32_e32 0x7f, v42
	s_cbranch_execz .LBB235_135
; %bb.132:                              ;   in Loop: Header=BB235_12 Depth=1
	v_and_b32_e32 v8, 7, v1
	v_lshrrev_b32_e32 v41, 3, v42
	s_mov_b32 s44, exec_lo
	v_cmpx_gt_u32_e32 8, v42
; %bb.133:                              ;   in Loop: Header=BB235_12 Depth=1
	v_ffbh_u32_e32 v8, v8
	v_min_u32_e32 v8, 32, v8
	v_subrev_nc_u32_e32 v41, 28, v8
	v_lshlrev_b64 v[42:43], v41, v[1:2]
	v_sub_nc_u32_e32 v41, 29, v8
	v_and_b32_e32 v8, 7, v42
; %bb.134:                              ;   in Loop: Header=BB235_12 Depth=1
	s_or_b32 exec_lo, exec_lo, s44
	v_lshlrev_b32_e32 v42, 8, v1
	v_lshl_add_u32 v41, v41, 10, 0x2000
	v_lshlrev_b32_e32 v8, 7, v8
	v_and_b32_e32 v42, 0x8000, v42
	v_and_b32_e32 v41, 0xfc00, v41
	v_or3_b32 v8, v42, v41, v8
.LBB235_135:                            ;   in Loop: Header=BB235_12 Depth=1
	s_or_b32 exec_lo, exec_lo, s43
.LBB235_136:                            ;   in Loop: Header=BB235_12 Depth=1
	s_or_b32 exec_lo, exec_lo, s42
.LBB235_137:                            ;   in Loop: Header=BB235_12 Depth=1
	s_or_b32 exec_lo, exec_lo, s41
	v_lshrrev_b16 v1, 8, v1
	s_mov_b32 s41, exec_lo
	v_cmpx_ne_u16_e32 0, v1
	s_cbranch_execz .LBB235_145
; %bb.138:                              ;   in Loop: Header=BB235_12 Depth=1
	v_bfrev_b32_e32 v7, 1
	s_mov_b32 s42, exec_lo
	v_cmpx_ne_u16_e32 0x80, v1
	s_cbranch_execz .LBB235_144
; %bb.139:                              ;   in Loop: Header=BB235_12 Depth=1
	v_and_b32_sdwa v42, v1, v19 dst_sel:DWORD dst_unused:UNUSED_PAD src0_sel:WORD_0 src1_sel:DWORD
	v_mov_b32_e32 v7, 0x7c010000
	s_mov_b32 s43, exec_lo
	v_cmpx_ne_u32_e32 0x7f, v42
	s_cbranch_execz .LBB235_143
; %bb.140:                              ;   in Loop: Header=BB235_12 Depth=1
	v_and_b32_sdwa v7, v1, v20 dst_sel:DWORD dst_unused:UNUSED_PAD src0_sel:WORD_0 src1_sel:DWORD
	v_lshrrev_b32_e32 v41, 3, v42
	s_mov_b32 s44, exec_lo
	v_cmpx_gt_u32_e32 8, v42
; %bb.141:                              ;   in Loop: Header=BB235_12 Depth=1
	v_ffbh_u32_e32 v7, v7
	v_min_u32_e32 v7, 32, v7
	v_subrev_nc_u32_e32 v41, 28, v7
	v_lshlrev_b64 v[42:43], v41, v[1:2]
	v_sub_nc_u32_e32 v41, 29, v7
	v_and_b32_e32 v7, 7, v42
; %bb.142:                              ;   in Loop: Header=BB235_12 Depth=1
	s_or_b32 exec_lo, exec_lo, s44
	v_lshlrev_b32_sdwa v1, v21, v1 dst_sel:DWORD dst_unused:UNUSED_PAD src0_sel:DWORD src1_sel:WORD_0
	v_lshl_add_u32 v41, v41, 10, 0x2000
	v_lshlrev_b32_e32 v7, 23, v7
	v_and_or_b32 v1, 0x8000, v1, v41
	v_lshl_or_b32 v7, v1, 16, v7
.LBB235_143:                            ;   in Loop: Header=BB235_12 Depth=1
	s_or_b32 exec_lo, exec_lo, s43
.LBB235_144:                            ;   in Loop: Header=BB235_12 Depth=1
	s_or_b32 exec_lo, exec_lo, s42
.LBB235_145:                            ;   in Loop: Header=BB235_12 Depth=1
	s_or_b32 exec_lo, exec_lo, s41
	ds_read_b32 v1, v14
	v_or_b32_e32 v28, v27, v28
	v_fma_mixlo_f16 v27, v26, v27, 0 op_sel:[0,1,0] op_sel_hi:[0,1,0]
	v_or_b32_e32 v30, v29, v30
	v_fma_mixlo_f16 v29, v26, v29, 0 op_sel:[0,1,0] op_sel_hi:[0,1,0]
	v_or_b32_e32 v32, v31, v32
	v_fma_mixlo_f16 v28, v26, v28, 0 op_sel_hi:[0,1,0]
	v_and_b32_e32 v43, 0xffff, v27
	v_fma_mixlo_f16 v30, v26, v30, 0 op_sel_hi:[0,1,0]
	v_and_b32_e32 v45, 0xffff, v29
	;; [unrolled: 2-line block ×3, first 2 shown]
	v_fma_mixlo_f16 v31, v26, v31, 0 op_sel:[0,1,0] op_sel_hi:[0,1,0]
	v_and_b32_e32 v44, 0xffff, v30
	v_or_b32_e32 v34, v33, v34
	v_and_b32_e32 v46, 0xffff, v32
	v_fma_mixlo_f16 v33, v26, v33, 0 op_sel:[0,1,0] op_sel_hi:[0,1,0]
	v_and_b32_e32 v47, 0xffff, v31
	v_or_b32_e32 v36, v35, v36
	v_fma_mixlo_f16 v34, v26, v34, 0 op_sel_hi:[0,1,0]
	s_waitcnt lgkmcnt(0)
	v_and_b32_e32 v41, 0xffff, v1
	v_lshrrev_b32_e32 v42, 16, v1
	;;#ASMSTART
	v_cvt_f32_f16 v1, v41;
	;;#ASMEND
	;;#ASMSTART
	v_cvt_f32_f16 v27, v42;
	;;#ASMEND
	;; [unrolled: 3-line block ×4, first 2 shown]
	ds_read_b32 v42, v14 offset:4
	v_and_b32_e32 v48, 0xffff, v34
	v_and_b32_e32 v49, 0xffff, v33
	v_fma_mixlo_f16 v36, v26, v36, 0 op_sel_hi:[0,1,0]
	v_fma_mixlo_f16 v35, v26, v35, 0 op_sel:[0,1,0] op_sel_hi:[0,1,0]
	v_or_b32_e32 v38, v37, v38
	v_fma_mixlo_f16 v37, v26, v37, 0 op_sel:[0,1,0] op_sel_hi:[0,1,0]
	v_or_b32_e32 v40, v39, v40
	v_and_b32_e32 v50, 0xffff, v36
	v_and_b32_e32 v51, 0xffff, v35
	v_fma_mixlo_f16 v38, v26, v38, 0 op_sel_hi:[0,1,0]
	v_and_b32_e32 v53, 0xffff, v37
	v_fma_mixlo_f16 v39, v26, v39, 0 op_sel:[0,1,0] op_sel_hi:[0,1,0]
	v_fma_mixlo_f16 v40, v26, v40, 0 op_sel_hi:[0,1,0]
	v_or_b32_e32 v8, v7, v8
	v_and_b32_e32 v52, 0xffff, v38
	v_fma_mixlo_f16 v7, v26, v7, 0 op_sel:[0,1,0] op_sel_hi:[0,1,0]
	v_and_b32_e32 v39, 0xffff, v39
	v_and_b32_e32 v40, 0xffff, v40
	v_fma_mixlo_f16 v8, v26, v8, 0 op_sel_hi:[0,1,0]
	s_waitcnt lgkmcnt(0)
	v_and_b32_e32 v43, 0xffff, v42
	v_lshrrev_b32_e32 v42, 16, v42
	;;#ASMSTART
	v_cvt_f32_f16 v29, v43;
	;;#ASMEND
	;;#ASMSTART
	v_cvt_f32_f16 v30, v42;
	;;#ASMEND
	;; [unrolled: 3-line block ×4, first 2 shown]
	ds_read_b32 v44, v14 offset:8
	v_mul_f32_e32 v29, v29, v42
	v_mul_f32_e32 v30, v30, v43
	v_fmac_f32_e32 v29, v1, v28
	v_fmac_f32_e32 v30, v27, v41
	s_waitcnt lgkmcnt(0)
	v_and_b32_e32 v45, 0xffff, v44
	v_lshrrev_b32_e32 v44, 16, v44
	;;#ASMSTART
	v_cvt_f32_f16 v31, v45;
	;;#ASMEND
	;;#ASMSTART
	v_cvt_f32_f16 v32, v44;
	;;#ASMEND
	;; [unrolled: 3-line block ×4, first 2 shown]
	ds_read_b32 v46, v14 offset:12
	v_fmac_f32_e32 v29, v31, v44
	v_fmac_f32_e32 v30, v32, v45
	v_xor_b32_e32 v31, 2, v10
	v_and_b32_e32 v32, 0xffff, v7
	v_cmp_gt_i32_e64 s3, 32, v31
	v_cndmask_b32_e64 v7, v10, v31, s3
	s_waitcnt lgkmcnt(0)
	v_and_b32_e32 v47, 0xffff, v46
	v_lshrrev_b32_e32 v46, 16, v46
	;;#ASMSTART
	v_cvt_f32_f16 v33, v47;
	;;#ASMEND
	;;#ASMSTART
	v_cvt_f32_f16 v34, v46;
	;;#ASMEND
	;; [unrolled: 3-line block ×4, first 2 shown]
	ds_read_b32 v48, v14 offset:16
	v_fmac_f32_e32 v29, v33, v46
	v_fmac_f32_e32 v30, v34, v47
	v_and_b32_e32 v33, 0xffff, v8
	s_waitcnt lgkmcnt(0)
	v_and_b32_e32 v49, 0xffff, v48
	v_lshrrev_b32_e32 v48, 16, v48
	;;#ASMSTART
	v_cvt_f32_f16 v35, v49;
	;;#ASMEND
	;;#ASMSTART
	v_cvt_f32_f16 v36, v48;
	;;#ASMEND
	;;#ASMSTART
	v_cvt_f32_f16 v48, v50;
	;;#ASMEND
	;;#ASMSTART
	v_cvt_f32_f16 v49, v51;
	;;#ASMEND
	ds_read_b32 v50, v14 offset:20
	v_fmac_f32_e32 v29, v35, v48
	v_fmac_f32_e32 v30, v36, v49
	s_waitcnt lgkmcnt(0)
	v_and_b32_e32 v51, 0xffff, v50
	v_lshrrev_b32_e32 v50, 16, v50
	;;#ASMSTART
	v_cvt_f32_f16 v37, v51;
	;;#ASMEND
	;;#ASMSTART
	v_cvt_f32_f16 v38, v50;
	;;#ASMEND
	;;#ASMSTART
	v_cvt_f32_f16 v50, v52;
	;;#ASMEND
	;;#ASMSTART
	v_cvt_f32_f16 v51, v53;
	;;#ASMEND
	ds_read_b32 v52, v14 offset:24
	v_fmac_f32_e32 v29, v37, v50
	v_fmac_f32_e32 v30, v38, v51
	s_waitcnt lgkmcnt(0)
	v_and_b32_e32 v42, 0xffff, v52
	v_lshrrev_b32_e32 v43, 16, v52
	;;#ASMSTART
	v_cvt_f32_f16 v1, v42;
	;;#ASMEND
	;;#ASMSTART
	v_cvt_f32_f16 v27, v43;
	;;#ASMEND
	;;#ASMSTART
	v_cvt_f32_f16 v28, v40;
	;;#ASMEND
	;;#ASMSTART
	v_cvt_f32_f16 v39, v39;
	;;#ASMEND
	ds_read_b32 v40, v14 offset:28
	v_fmac_f32_e32 v29, v1, v28
	v_fmac_f32_e32 v30, v27, v39
	s_waitcnt lgkmcnt(0)
	v_and_b32_e32 v26, 0xffff, v40
	v_lshrrev_b32_e32 v31, 16, v40
	;;#ASMSTART
	v_cvt_f32_f16 v1, v26;
	;;#ASMEND
	;;#ASMSTART
	v_cvt_f32_f16 v8, v31;
	;;#ASMEND
	;;#ASMSTART
	v_cvt_f32_f16 v26, v33;
	;;#ASMEND
	;;#ASMSTART
	v_cvt_f32_f16 v27, v32;
	;;#ASMEND
	v_fmac_f32_e32 v29, v1, v26
	v_fmac_f32_e32 v30, v8, v27
	v_lshlrev_b32_e32 v1, 2, v7
	v_xor_b32_e32 v8, 1, v10
	v_add_f32_e32 v7, v29, v30
	v_cmp_gt_i32_e64 s3, 32, v8
	ds_bpermute_b32 v1, v1, v7
	v_cndmask_b32_e64 v8, v10, v8, s3
	s_waitcnt lgkmcnt(0)
	v_add_f32_e32 v1, v7, v1
	v_lshlrev_b32_e32 v7, 2, v8
	ds_bpermute_b32 v7, v7, v1
	s_and_saveexec_b32 s41, vcc_lo
	s_cbranch_execz .LBB235_10
; %bb.146:                              ;   in Loop: Header=BB235_12 Depth=1
	v_add_nc_u32_e32 v8, v22, v16
	s_waitcnt lgkmcnt(0)
	v_add_f32_e32 v1, v1, v7
	v_cvt_f32_i32_e32 v8, v8
	v_mul_f32_e32 v8, s36, v8
	v_cndmask_b32_e64 v7, 0, v8, s2
	v_max_f32_e32 v8, v15, v15
	v_fmac_f32_e32 v7, s35, v1
	v_add_nc_u32_e32 v1, v13, v16
	v_max_f32_e32 v8, v8, v7
	v_cmp_gt_i32_e64 s3, s11, v1
	v_cndmask_b32_e64 v1, 0, v7, s3
	v_cndmask_b32_e64 v15, v15, v8, s3
	ds_write_b32 v23, v1
	s_branch .LBB235_10
.LBB235_147:
	s_or_b32 exec_lo, exec_lo, s39
.LBB235_148:
	s_or_b32 exec_lo, exec_lo, s37
	v_xor_b32_e32 v1, 16, v10
	v_xor_b32_e32 v3, 8, v10
	v_max_f32_e32 v4, v15, v15
	v_xor_b32_e32 v5, 4, v10
	v_and_b32_e32 v13, 31, v0
	v_cmp_gt_i32_e32 vcc_lo, 32, v1
	v_cndmask_b32_e32 v1, v10, v1, vcc_lo
	v_cmp_gt_i32_e32 vcc_lo, 32, v3
	v_lshlrev_b32_e32 v2, 2, v1
	v_cndmask_b32_e32 v3, v10, v3, vcc_lo
	v_cmp_gt_i32_e32 vcc_lo, 32, v5
	ds_bpermute_b32 v1, v2, v15
	v_lshlrev_b32_e32 v3, 2, v3
	v_cndmask_b32_e32 v5, v10, v5, vcc_lo
	v_cmp_eq_u32_e32 vcc_lo, 0, v13
	v_lshlrev_b32_e32 v6, 2, v5
	s_waitcnt lgkmcnt(0)
	v_max_f32_e32 v1, v1, v1
	v_max_f32_e32 v1, v4, v1
	ds_bpermute_b32 v4, v3, v1
	s_waitcnt lgkmcnt(0)
	v_max_f32_e32 v4, v4, v4
	v_max_f32_e32 v1, v1, v4
	v_lshlrev_b32_e32 v4, 2, v11
	ds_bpermute_b32 v5, v6, v1
	s_and_saveexec_b32 s2, vcc_lo
	s_cbranch_execz .LBB235_150
; %bb.149:
	s_waitcnt lgkmcnt(0)
	v_max_f32_e32 v5, v5, v5
	v_max_f32_e32 v1, v1, v1
	;; [unrolled: 1-line block ×3, first 2 shown]
	ds_write_b32 v4, v1 offset:128
.LBB235_150:
	s_or_b32 exec_lo, exec_lo, s2
	v_cmp_gt_u32_e64 s2, 4, v13
	v_mov_b32_e32 v1, 0xff7fffff
	s_waitcnt lgkmcnt(0)
	v_lshlrev_b32_e32 v5, 2, v13
	s_barrier
	buffer_gl0_inv
	s_and_saveexec_b32 s3, s2
; %bb.151:
	ds_read_b32 v1, v5 offset:128
; %bb.152:
	s_or_b32 exec_lo, exec_lo, s3
	v_xor_b32_e32 v7, 2, v10
	v_xor_b32_e32 v14, 1, v10
	v_cmp_gt_i32_e64 s3, 32, v7
	v_cndmask_b32_e64 v7, v10, v7, s3
	v_cmp_gt_i32_e64 s3, 32, v14
	v_lshlrev_b32_e32 v7, 2, v7
	v_cndmask_b32_e64 v10, v10, v14, s3
	s_lshl_b32 s3, s20, 3
	s_min_i32 s5, s3, s11
	s_waitcnt lgkmcnt(0)
	ds_bpermute_b32 v8, v7, v1
	v_max_f32_e32 v1, v1, v1
	v_cmp_gt_i32_e64 s3, s5, v0
	s_waitcnt lgkmcnt(0)
	v_max_f32_e32 v14, v8, v8
	v_lshlrev_b32_e32 v8, 2, v10
	v_max_f32_e32 v1, v1, v14
	ds_bpermute_b32 v10, v8, v1
	s_waitcnt lgkmcnt(0)
	v_max_f32_e32 v10, v10, v10
	v_max_f32_e32 v1, v1, v10
	v_mov_b32_e32 v10, 0
	ds_bpermute_b32 v14, v10, v1
	v_lshl_add_u32 v1, v0, 2, 0xa0
	s_and_saveexec_b32 s12, s3
	s_cbranch_execz .LBB235_156
; %bb.153:
	v_lshl_add_u32 v15, v0, 2, 0xa0
	v_mov_b32_e32 v10, 0
	v_mov_b32_e32 v16, v0
	s_mov_b32 s13, 0
	.p2align	6
.LBB235_154:                            ; =>This Inner Loop Header: Depth=1
	ds_read_b32 v17, v15
	v_add_nc_u32_e32 v16, 0x80, v16
	v_cmp_le_i32_e64 s4, s5, v16
	s_or_b32 s13, s4, s13
	s_waitcnt lgkmcnt(0)
	v_sub_f32_e32 v17, v17, v14
	v_mul_f32_e32 v17, 0x3fb8aa3b, v17
	v_exp_f32_e32 v17, v17
	ds_write_b32 v15, v17
	v_add_f32_e32 v10, v10, v17
	v_add_nc_u32_e32 v15, 0x200, v15
	s_andn2_b32 exec_lo, exec_lo, s13
	s_cbranch_execnz .LBB235_154
; %bb.155:
	s_or_b32 exec_lo, exec_lo, s13
.LBB235_156:
	s_or_b32 exec_lo, exec_lo, s12
	ds_bpermute_b32 v2, v2, v10
	s_waitcnt lgkmcnt(0)
	v_add_f32_e32 v2, v10, v2
	ds_bpermute_b32 v3, v3, v2
	s_waitcnt lgkmcnt(0)
	v_add_f32_e32 v2, v2, v3
	;; [unrolled: 3-line block ×5, first 2 shown]
	s_and_saveexec_b32 s4, vcc_lo
; %bb.157:
	ds_write_b32 v4, v2 offset:144
; %bb.158:
	s_or_b32 exec_lo, exec_lo, s4
	s_waitcnt lgkmcnt(0)
	s_barrier
	buffer_gl0_inv
	s_and_saveexec_b32 s4, s2
; %bb.159:
	ds_read_b32 v2, v5 offset:144
; %bb.160:
	s_or_b32 exec_lo, exec_lo, s4
	s_waitcnt lgkmcnt(0)
	ds_bpermute_b32 v3, v7, v2
	s_waitcnt lgkmcnt(0)
	v_add_f32_e32 v2, v2, v3
	ds_bpermute_b32 v3, v8, v2
	s_waitcnt lgkmcnt(0)
	v_add_f32_e32 v2, v2, v3
	v_mov_b32_e32 v3, 0
	ds_bpermute_b32 v2, v3, v2
	s_and_saveexec_b32 s2, s3
	s_cbranch_execz .LBB235_163
; %bb.161:
	s_waitcnt lgkmcnt(0)
	v_add_f32_e32 v2, 0x358637bd, v2
	s_mov_b32 s3, 0
	v_div_scale_f32 v3, null, v2, v2, 1.0
	v_div_scale_f32 v6, vcc_lo, 1.0, v2, 1.0
	v_rcp_f32_e32 v4, v3
	v_fma_f32 v5, -v3, v4, 1.0
	v_fmac_f32_e32 v4, v5, v4
	v_mul_f32_e32 v5, v6, v4
	v_fma_f32 v7, -v3, v5, v6
	v_fmac_f32_e32 v5, v7, v4
	v_fma_f32 v3, -v3, v5, v6
	v_div_fmas_f32 v3, v3, v4, v5
	v_div_fixup_f32 v2, v3, v2, 1.0
	v_mov_b32_e32 v3, v0
.LBB235_162:                            ; =>This Inner Loop Header: Depth=1
	ds_read_b32 v4, v1
	v_add_nc_u32_e32 v3, 0x80, v3
	v_cmp_le_i32_e32 vcc_lo, s5, v3
	s_or_b32 s3, vcc_lo, s3
	s_waitcnt lgkmcnt(0)
	v_mul_f32_e32 v4, v2, v4
	ds_write_b32 v1, v4
	v_add_nc_u32_e32 v1, 0x200, v1
	s_andn2_b32 exec_lo, exec_lo, s3
	s_cbranch_execnz .LBB235_162
.LBB235_163:
	s_or_b32 exec_lo, exec_lo, s2
	v_mov_b32_e32 v15, 0
	v_mov_b32_e32 v14, 0
	s_waitcnt lgkmcnt(0)
	s_barrier
	buffer_gl0_inv
	s_and_saveexec_b32 s4, s1
	s_cbranch_execz .LBB235_301
; %bb.164:
	s_sub_i32 s5, s34, s21
	s_ashr_i32 s1, s18, 31
	s_add_u32 s18, s30, s18
	s_addc_u32 s1, s31, s1
	s_abs_i32 s12, s22
	v_lshlrev_b32_e32 v3, 3, v13
	v_cvt_f32_u32_e32 v1, s12
	s_sub_i32 s2, 0, s12
	v_and_b32_e32 v5, 0x7c, v9
	s_mov_b32 s13, s17
	v_add_co_u32 v3, s18, s18, v3
	v_rcp_iflag_f32_e32 v1, v1
	s_add_i32 s17, s20, -1
	v_mov_b32_e32 v2, 0
	v_lshl_add_u32 v16, v11, 5, 0xa0
	v_mov_b32_e32 v17, 0x80
	v_mov_b32_e32 v18, 0x7f
	;; [unrolled: 1-line block ×6, first 2 shown]
	v_mul_f32_e32 v1, 0x4f7ffffe, v1
	v_mov_b32_e32 v22, v11
	v_cvt_u32_f32_e32 v1, v1
	v_mul_lo_u32 v4, s2, v1
	s_lshl_b64 s[2:3], s[28:29], 2
	v_mul_hi_u32 v7, v1, v4
	v_add_co_ci_u32_e64 v4, null, s1, 0, s18
	s_add_u32 s1, s26, s2
	s_addc_u32 s2, s27, s3
	v_add_co_u32 v5, s1, s1, v5
	v_add_co_ci_u32_e64 v6, null, s2, 0, s1
	v_add_nc_u32_e32 v21, v1, v7
	s_mov_b32 s2, -1
	s_mov_b32 s3, 0xffffff
	s_mov_b32 s18, 0
	s_branch .LBB235_167
.LBB235_165:                            ;   in Loop: Header=BB235_167 Depth=1
	s_or_b32 exec_lo, exec_lo, s1
	;;#ASMSTART
	v_pk_mul_f16 v1, v33, v40;

	;;#ASMEND
	;;#ASMSTART
	v_pk_mul_f16 v7, v32, v35;

	;;#ASMEND
	;; [unrolled: 4-line block ×4, first 2 shown]
	;;#ASMSTART
	v_pk_add_f16 v1, v1, v7;

	;;#ASMEND
	;;#ASMSTART
	v_pk_add_f16 v1, v1, v9;

	;;#ASMEND
	;; [unrolled: 4-line block ×3, first 2 shown]
	v_and_b32_e32 v7, 0xffff, v1
	v_lshrrev_b32_e32 v8, 16, v1
	;;#ASMSTART
	v_cvt_f32_f16 v7, v7;
	;;#ASMEND
	v_add_f32_e32 v1, v28, v30
	;;#ASMSTART
	v_cvt_f32_f16 v8, v8;
	;;#ASMEND
	v_add_f32_e32 v7, v7, v8
	v_add_f32_e32 v15, v15, v1
	;; [unrolled: 1-line block ×3, first 2 shown]
.LBB235_166:                            ;   in Loop: Header=BB235_167 Depth=1
	s_or_b32 exec_lo, exec_lo, s21
	v_add_nc_u32_e32 v22, 4, v22
	v_add_co_u32 v5, s1, v5, 16
	v_add_co_ci_u32_e64 v6, null, 0, v6, s1
	v_cmp_le_i32_e32 vcc_lo, s20, v22
	v_add_nc_u32_e32 v12, 32, v12
	v_add_nc_u32_e32 v16, 0x80, v16
	s_or_b32 s18, vcc_lo, s18
	s_andn2_b32 exec_lo, exec_lo, s18
	s_cbranch_execz .LBB235_300
.LBB235_167:                            ; =>This Inner Loop Header: Depth=1
	v_mul_hi_u32 v1, v12, s25
	v_mul_lo_u32 v7, v1, s19
	v_add_nc_u32_e32 v8, 1, v1
	v_sub_nc_u32_e32 v7, v12, v7
	v_subrev_nc_u32_e32 v9, s19, v7
	v_cmp_le_u32_e32 vcc_lo, s19, v7
	v_cndmask_b32_e32 v1, v1, v8, vcc_lo
	v_cndmask_b32_e32 v7, v7, v9, vcc_lo
	v_add_nc_u32_e32 v8, 1, v1
	v_cmp_le_u32_e32 vcc_lo, s19, v7
	v_cndmask_b32_e32 v1, v1, v8, vcc_lo
	v_xor_b32_e32 v1, s23, v1
	v_subrev_nc_u32_e32 v1, s23, v1
	v_add_nc_u32_e32 v7, s33, v1
	v_cmp_lt_i32_e64 s1, s5, v1
	v_sub_nc_u32_e32 v8, 0, v7
	v_max_i32_e32 v8, v7, v8
	v_ashrrev_i32_e32 v7, 31, v7
	v_mul_hi_u32 v9, v8, v21
	v_mul_lo_u32 v9, v9, s12
	v_sub_nc_u32_e32 v8, v8, v9
	v_subrev_nc_u32_e32 v9, s12, v8
	v_cmp_le_u32_e32 vcc_lo, s12, v8
	v_cndmask_b32_e32 v8, v8, v9, vcc_lo
	v_subrev_nc_u32_e32 v9, s12, v8
	v_cmp_le_u32_e32 vcc_lo, s12, v8
	v_cndmask_b32_e32 v8, v8, v9, vcc_lo
	v_xor_b32_e32 v8, v8, v7
	v_sub_nc_u32_e32 v7, v8, v7
	v_cmp_eq_u32_e32 vcc_lo, 0, v7
	s_or_b32 s1, vcc_lo, s1
	s_and_saveexec_b32 s21, s1
	s_cbranch_execz .LBB235_166
; %bb.168:                              ;   in Loop: Header=BB235_167 Depth=1
	global_load_dword v1, v[5:6], off
	ds_read2_b64 v[23:26], v16 offset1:1
	ds_read2_b64 v[33:36], v16 offset0:2 offset1:3
	s_waitcnt lgkmcnt(1)
	;;#ASMSTART
	v_cvt_f16_f32 v28, v23;

	;;#ASMEND
	;;#ASMSTART
	v_cvt_f16_f32 v29, v24;

	;;#ASMEND
	;; [unrolled: 4-line block ×4, first 2 shown]
	s_waitcnt lgkmcnt(0)
	;;#ASMSTART
	v_cvt_f16_f32 v33, v33;

	;;#ASMEND
	;;#ASMSTART
	v_cvt_f16_f32 v31, v34;

	;;#ASMEND
	;; [unrolled: 4-line block ×4, first 2 shown]
	v_mov_b32_e32 v24, 0
	v_mov_b32_e32 v25, 0
	global_load_dword v23, v24, s[14:15]
	s_waitcnt vmcnt(1)
	v_mad_i64_i32 v[7:8], null, v1, s13, v[3:4]
	global_load_dwordx2 v[9:10], v[7:8], off
	s_waitcnt vmcnt(0)
	v_cmp_ne_u16_sdwa s22, v9, v2 src0_sel:BYTE_0 src1_sel:DWORD
	s_and_saveexec_b32 s1, s22
	s_cbranch_execz .LBB235_176
; %bb.169:                              ;   in Loop: Header=BB235_167 Depth=1
	v_cmp_ne_u16_sdwa s26, v9, v17 src0_sel:BYTE_0 src1_sel:DWORD
	v_mov_b32_e32 v25, 0x8000
	s_and_saveexec_b32 s22, s26
	s_cbranch_execz .LBB235_175
; %bb.170:                              ;   in Loop: Header=BB235_167 Depth=1
	v_and_b32_e32 v26, 0x7f, v9
	v_mov_b32_e32 v25, 0x7c01
	s_mov_b32 s26, exec_lo
	v_cmpx_ne_u32_e32 0x7f, v26
	s_cbranch_execz .LBB235_174
; %bb.171:                              ;   in Loop: Header=BB235_167 Depth=1
	v_and_b32_e32 v1, 7, v9
	v_lshrrev_b32_e32 v25, 3, v26
	s_mov_b32 s27, exec_lo
	v_cmpx_gt_u32_e32 8, v26
; %bb.172:                              ;   in Loop: Header=BB235_167 Depth=1
	v_ffbh_u32_e32 v1, v1
	v_min_u32_e32 v1, 32, v1
	v_subrev_nc_u32_e32 v25, 28, v1
	v_lshlrev_b64 v[26:27], v25, v[9:10]
	v_sub_nc_u32_e32 v25, 29, v1
	v_and_b32_e32 v1, 7, v26
; %bb.173:                              ;   in Loop: Header=BB235_167 Depth=1
	s_or_b32 exec_lo, exec_lo, s27
	v_lshlrev_b32_e32 v26, 8, v9
	v_lshl_add_u32 v25, v25, 10, 0x2000
	v_lshlrev_b32_e32 v1, 7, v1
	v_and_b32_e32 v26, 0x8000, v26
	v_and_b32_e32 v25, 0xfc00, v25
	v_or3_b32 v25, v26, v25, v1
.LBB235_174:                            ;   in Loop: Header=BB235_167 Depth=1
	s_or_b32 exec_lo, exec_lo, s26
.LBB235_175:                            ;   in Loop: Header=BB235_167 Depth=1
	s_or_b32 exec_lo, exec_lo, s22
.LBB235_176:                            ;   in Loop: Header=BB235_167 Depth=1
	s_or_b32 exec_lo, exec_lo, s1
	v_lshrrev_b16 v1, 8, v9
	s_mov_b32 s1, exec_lo
	v_cmpx_ne_u16_e32 0, v1
	s_cbranch_execz .LBB235_184
; %bb.177:                              ;   in Loop: Header=BB235_167 Depth=1
	v_bfrev_b32_e32 v24, 1
	s_mov_b32 s22, exec_lo
	v_cmpx_ne_u16_e32 0x80, v1
	s_cbranch_execz .LBB235_183
; %bb.178:                              ;   in Loop: Header=BB235_167 Depth=1
	v_and_b32_sdwa v27, v1, v18 dst_sel:DWORD dst_unused:UNUSED_PAD src0_sel:WORD_0 src1_sel:DWORD
	v_mov_b32_e32 v24, 0x7c010000
	s_mov_b32 s26, exec_lo
	v_cmpx_ne_u32_e32 0x7f, v27
	s_cbranch_execz .LBB235_182
; %bb.179:                              ;   in Loop: Header=BB235_167 Depth=1
	v_and_b32_sdwa v24, v1, v19 dst_sel:DWORD dst_unused:UNUSED_PAD src0_sel:WORD_0 src1_sel:DWORD
	v_lshrrev_b32_e32 v26, 3, v27
	s_mov_b32 s27, exec_lo
	v_cmpx_gt_u32_e32 8, v27
; %bb.180:                              ;   in Loop: Header=BB235_167 Depth=1
	v_ffbh_u32_e32 v24, v24
	v_min_u32_e32 v24, 32, v24
	v_subrev_nc_u32_e32 v26, 28, v24
	v_lshlrev_b64 v[36:37], v26, v[1:2]
	v_sub_nc_u32_e32 v26, 29, v24
	v_and_b32_e32 v24, 7, v36
; %bb.181:                              ;   in Loop: Header=BB235_167 Depth=1
	s_or_b32 exec_lo, exec_lo, s27
	v_lshlrev_b32_sdwa v1, v20, v1 dst_sel:DWORD dst_unused:UNUSED_PAD src0_sel:DWORD src1_sel:WORD_0
	v_lshl_add_u32 v26, v26, 10, 0x2000
	v_lshlrev_b32_e32 v24, 23, v24
	v_and_or_b32 v1, 0x8000, v1, v26
	v_lshl_or_b32 v24, v1, 16, v24
.LBB235_182:                            ;   in Loop: Header=BB235_167 Depth=1
	s_or_b32 exec_lo, exec_lo, s26
.LBB235_183:                            ;   in Loop: Header=BB235_167 Depth=1
	s_or_b32 exec_lo, exec_lo, s22
.LBB235_184:                            ;   in Loop: Header=BB235_167 Depth=1
	s_or_b32 exec_lo, exec_lo, s1
	v_lshrrev_b32_e32 v1, 16, v9
	v_mov_b32_e32 v26, 0
	v_mov_b32_e32 v27, 0
	v_cmp_ne_u16_sdwa s22, v1, v2 src0_sel:BYTE_0 src1_sel:DWORD
	s_and_saveexec_b32 s1, s22
	s_cbranch_execz .LBB235_192
; %bb.185:                              ;   in Loop: Header=BB235_167 Depth=1
	v_cmp_ne_u16_sdwa s26, v1, v17 src0_sel:BYTE_0 src1_sel:DWORD
	v_mov_b32_e32 v27, 0x8000
	s_and_saveexec_b32 s22, s26
	s_cbranch_execz .LBB235_191
; %bb.186:                              ;   in Loop: Header=BB235_167 Depth=1
	v_bfe_u32 v37, v9, 16, 7
	v_mov_b32_e32 v27, 0x7c01
	s_mov_b32 s26, exec_lo
	v_cmpx_ne_u32_e32 0x7f, v37
	s_cbranch_execz .LBB235_190
; %bb.187:                              ;   in Loop: Header=BB235_167 Depth=1
	v_and_b32_e32 v27, 7, v1
	v_lshrrev_b32_e32 v36, 3, v37
	s_mov_b32 s27, exec_lo
	v_cmpx_gt_u32_e32 8, v37
; %bb.188:                              ;   in Loop: Header=BB235_167 Depth=1
	v_ffbh_u32_e32 v27, v27
	v_min_u32_e32 v27, 32, v27
	v_subrev_nc_u32_e32 v36, 28, v27
	v_lshlrev_b64 v[37:38], v36, v[1:2]
	v_sub_nc_u32_e32 v36, 29, v27
	v_and_b32_e32 v27, 7, v37
; %bb.189:                              ;   in Loop: Header=BB235_167 Depth=1
	s_or_b32 exec_lo, exec_lo, s27
	v_lshlrev_b32_e32 v1, 8, v1
	v_lshl_add_u32 v36, v36, 10, 0x2000
	v_lshlrev_b32_e32 v27, 7, v27
	v_and_b32_e32 v1, 0x8000, v1
	v_and_b32_e32 v36, 0xfc00, v36
	v_or3_b32 v27, v1, v36, v27
.LBB235_190:                            ;   in Loop: Header=BB235_167 Depth=1
	s_or_b32 exec_lo, exec_lo, s26
.LBB235_191:                            ;   in Loop: Header=BB235_167 Depth=1
	s_or_b32 exec_lo, exec_lo, s22
.LBB235_192:                            ;   in Loop: Header=BB235_167 Depth=1
	s_or_b32 exec_lo, exec_lo, s1
	s_mov_b32 s1, exec_lo
	v_cmpx_lt_u32_e32 0xffffff, v9
	s_cbranch_execz .LBB235_200
; %bb.193:                              ;   in Loop: Header=BB235_167 Depth=1
	v_lshrrev_b32_e32 v1, 24, v9
	v_bfrev_b32_e32 v26, 1
	s_mov_b32 s22, exec_lo
	v_cmpx_ne_u32_e32 0x80, v1
	s_cbranch_execz .LBB235_199
; %bb.194:                              ;   in Loop: Header=BB235_167 Depth=1
	v_and_b32_e32 v37, 0x7f, v1
	v_mov_b32_e32 v26, 0x7c010000
	s_mov_b32 s26, exec_lo
	v_cmpx_ne_u32_e32 0x7f, v37
	s_cbranch_execz .LBB235_198
; %bb.195:                              ;   in Loop: Header=BB235_167 Depth=1
	v_and_b32_e32 v26, 7, v1
	v_lshrrev_b32_e32 v36, 3, v37
	s_mov_b32 s27, exec_lo
	v_cmpx_gt_u32_e32 8, v37
; %bb.196:                              ;   in Loop: Header=BB235_167 Depth=1
	v_ffbh_u32_e32 v26, v26
	v_min_u32_e32 v26, 32, v26
	v_subrev_nc_u32_e32 v36, 28, v26
	v_lshlrev_b64 v[37:38], v36, v[1:2]
	v_sub_nc_u32_e32 v36, 29, v26
	v_and_b32_e32 v26, 7, v37
; %bb.197:                              ;   in Loop: Header=BB235_167 Depth=1
	s_or_b32 exec_lo, exec_lo, s27
	v_lshlrev_b32_e32 v1, 8, v1
	v_lshl_add_u32 v36, v36, 10, 0x2000
	v_lshlrev_b32_e32 v26, 23, v26
	v_and_or_b32 v1, 0x8000, v1, v36
	v_lshl_or_b32 v26, v1, 16, v26
.LBB235_198:                            ;   in Loop: Header=BB235_167 Depth=1
	s_or_b32 exec_lo, exec_lo, s26
.LBB235_199:                            ;   in Loop: Header=BB235_167 Depth=1
	s_or_b32 exec_lo, exec_lo, s22
.LBB235_200:                            ;   in Loop: Header=BB235_167 Depth=1
	s_or_b32 exec_lo, exec_lo, s1
	v_mov_b32_e32 v1, v10
	v_cmp_ne_u16_sdwa s22, v10, v2 src0_sel:BYTE_0 src1_sel:DWORD
	v_mov_b32_e32 v36, 0
	v_mov_b32_e32 v37, 0
	s_and_saveexec_b32 s1, s22
	s_cbranch_execz .LBB235_208
; %bb.201:                              ;   in Loop: Header=BB235_167 Depth=1
	v_cmp_ne_u16_sdwa s26, v10, v17 src0_sel:BYTE_0 src1_sel:DWORD
	v_mov_b32_e32 v37, 0x8000
	s_and_saveexec_b32 s22, s26
	s_cbranch_execz .LBB235_207
; %bb.202:                              ;   in Loop: Header=BB235_167 Depth=1
	v_and_b32_e32 v39, 0x7f, v10
	v_mov_b32_e32 v37, 0x7c01
	s_mov_b32 s26, exec_lo
	v_cmpx_ne_u32_e32 0x7f, v39
	s_cbranch_execz .LBB235_206
; %bb.203:                              ;   in Loop: Header=BB235_167 Depth=1
	v_and_b32_e32 v37, 7, v10
	v_lshrrev_b32_e32 v38, 3, v39
	s_mov_b32 s27, exec_lo
	v_cmpx_gt_u32_e32 8, v39
; %bb.204:                              ;   in Loop: Header=BB235_167 Depth=1
	v_ffbh_u32_e32 v37, v37
	v_min_u32_e32 v39, 32, v37
	v_subrev_nc_u32_e32 v37, 28, v39
	v_lshlrev_b64 v[37:38], v37, v[1:2]
	v_sub_nc_u32_e32 v38, 29, v39
	v_and_b32_e32 v37, 7, v37
; %bb.205:                              ;   in Loop: Header=BB235_167 Depth=1
	s_or_b32 exec_lo, exec_lo, s27
	v_lshlrev_b32_e32 v39, 8, v10
	v_lshl_add_u32 v38, v38, 10, 0x2000
	v_lshlrev_b32_e32 v37, 7, v37
	v_and_b32_e32 v39, 0x8000, v39
	v_and_b32_e32 v38, 0xfc00, v38
	v_or3_b32 v37, v39, v38, v37
.LBB235_206:                            ;   in Loop: Header=BB235_167 Depth=1
	s_or_b32 exec_lo, exec_lo, s26
.LBB235_207:                            ;   in Loop: Header=BB235_167 Depth=1
	s_or_b32 exec_lo, exec_lo, s22
.LBB235_208:                            ;   in Loop: Header=BB235_167 Depth=1
	s_or_b32 exec_lo, exec_lo, s1
	v_lshrrev_b16 v1, 8, v1
	v_mov_b32_e32 v38, 0
	s_mov_b32 s1, exec_lo
	v_cmpx_ne_u16_e32 0, v1
	s_cbranch_execz .LBB235_216
; %bb.209:                              ;   in Loop: Header=BB235_167 Depth=1
	v_bfrev_b32_e32 v38, 1
	s_mov_b32 s22, exec_lo
	v_cmpx_ne_u16_e32 0x80, v1
	s_cbranch_execz .LBB235_215
; %bb.210:                              ;   in Loop: Header=BB235_167 Depth=1
	v_and_b32_sdwa v40, v1, v18 dst_sel:DWORD dst_unused:UNUSED_PAD src0_sel:WORD_0 src1_sel:DWORD
	v_mov_b32_e32 v38, 0x7c010000
	s_mov_b32 s26, exec_lo
	v_cmpx_ne_u32_e32 0x7f, v40
	s_cbranch_execz .LBB235_214
; %bb.211:                              ;   in Loop: Header=BB235_167 Depth=1
	v_and_b32_sdwa v38, v1, v19 dst_sel:DWORD dst_unused:UNUSED_PAD src0_sel:WORD_0 src1_sel:DWORD
	v_lshrrev_b32_e32 v39, 3, v40
	s_mov_b32 s27, exec_lo
	v_cmpx_gt_u32_e32 8, v40
; %bb.212:                              ;   in Loop: Header=BB235_167 Depth=1
	v_ffbh_u32_e32 v38, v38
	v_min_u32_e32 v40, 32, v38
	v_subrev_nc_u32_e32 v38, 28, v40
	v_lshlrev_b64 v[38:39], v38, v[1:2]
	v_sub_nc_u32_e32 v39, 29, v40
	v_and_b32_e32 v38, 7, v38
; %bb.213:                              ;   in Loop: Header=BB235_167 Depth=1
	s_or_b32 exec_lo, exec_lo, s27
	v_lshlrev_b32_sdwa v1, v20, v1 dst_sel:DWORD dst_unused:UNUSED_PAD src0_sel:DWORD src1_sel:WORD_0
	v_lshl_add_u32 v39, v39, 10, 0x2000
	v_lshlrev_b32_e32 v38, 23, v38
	v_and_or_b32 v1, 0x8000, v1, v39
	v_lshl_or_b32 v38, v1, 16, v38
.LBB235_214:                            ;   in Loop: Header=BB235_167 Depth=1
	s_or_b32 exec_lo, exec_lo, s26
.LBB235_215:                            ;   in Loop: Header=BB235_167 Depth=1
	s_or_b32 exec_lo, exec_lo, s22
.LBB235_216:                            ;   in Loop: Header=BB235_167 Depth=1
	s_or_b32 exec_lo, exec_lo, s1
	v_lshrrev_b32_e32 v1, 16, v10
	v_cmp_ne_u16_sdwa s22, v1, v2 src0_sel:BYTE_0 src1_sel:DWORD
	s_and_saveexec_b32 s1, s22
	s_cbranch_execz .LBB235_224
; %bb.217:                              ;   in Loop: Header=BB235_167 Depth=1
	v_cmp_ne_u16_sdwa s26, v1, v17 src0_sel:BYTE_0 src1_sel:DWORD
	v_mov_b32_e32 v36, 0x8000
	s_and_saveexec_b32 s22, s26
	s_cbranch_execz .LBB235_223
; %bb.218:                              ;   in Loop: Header=BB235_167 Depth=1
	v_bfe_u32 v40, v10, 16, 7
	v_mov_b32_e32 v36, 0x7c01
	s_mov_b32 s26, exec_lo
	v_cmpx_ne_u32_e32 0x7f, v40
	s_cbranch_execz .LBB235_222
; %bb.219:                              ;   in Loop: Header=BB235_167 Depth=1
	v_and_b32_e32 v36, 7, v1
	v_lshrrev_b32_e32 v39, 3, v40
	s_mov_b32 s27, exec_lo
	v_cmpx_gt_u32_e32 8, v40
; %bb.220:                              ;   in Loop: Header=BB235_167 Depth=1
	v_ffbh_u32_e32 v36, v36
	v_min_u32_e32 v36, 32, v36
	v_subrev_nc_u32_e32 v39, 28, v36
	v_lshlrev_b64 v[40:41], v39, v[1:2]
	v_sub_nc_u32_e32 v39, 29, v36
	v_and_b32_e32 v36, 7, v40
; %bb.221:                              ;   in Loop: Header=BB235_167 Depth=1
	s_or_b32 exec_lo, exec_lo, s27
	v_lshlrev_b32_e32 v1, 8, v1
	v_lshl_add_u32 v39, v39, 10, 0x2000
	v_lshlrev_b32_e32 v36, 7, v36
	v_and_b32_e32 v1, 0x8000, v1
	v_and_b32_e32 v39, 0xfc00, v39
	v_or3_b32 v36, v1, v39, v36
.LBB235_222:                            ;   in Loop: Header=BB235_167 Depth=1
	s_or_b32 exec_lo, exec_lo, s26
.LBB235_223:                            ;   in Loop: Header=BB235_167 Depth=1
	s_or_b32 exec_lo, exec_lo, s22
.LBB235_224:                            ;   in Loop: Header=BB235_167 Depth=1
	s_or_b32 exec_lo, exec_lo, s1
	v_cmp_lt_u64_e32 vcc_lo, s[2:3], v[9:10]
	v_mov_b32_e32 v9, 0
	s_and_saveexec_b32 s1, vcc_lo
	s_cbranch_execz .LBB235_232
; %bb.225:                              ;   in Loop: Header=BB235_167 Depth=1
	v_lshrrev_b32_e32 v1, 24, v10
	v_bfrev_b32_e32 v9, 1
	s_mov_b32 s22, exec_lo
	v_cmpx_ne_u32_e32 0x80, v1
	s_cbranch_execz .LBB235_231
; %bb.226:                              ;   in Loop: Header=BB235_167 Depth=1
	v_and_b32_e32 v39, 0x7f, v1
	v_mov_b32_e32 v9, 0x7c010000
	s_mov_b32 s26, exec_lo
	v_cmpx_ne_u32_e32 0x7f, v39
	s_cbranch_execz .LBB235_230
; %bb.227:                              ;   in Loop: Header=BB235_167 Depth=1
	v_and_b32_e32 v9, 7, v1
	v_lshrrev_b32_e32 v10, 3, v39
	s_mov_b32 s27, exec_lo
	v_cmpx_gt_u32_e32 8, v39
; %bb.228:                              ;   in Loop: Header=BB235_167 Depth=1
	v_ffbh_u32_e32 v9, v9
	v_min_u32_e32 v39, 32, v9
	v_subrev_nc_u32_e32 v9, 28, v39
	v_lshlrev_b64 v[9:10], v9, v[1:2]
	v_sub_nc_u32_e32 v10, 29, v39
	v_and_b32_e32 v9, 7, v9
; %bb.229:                              ;   in Loop: Header=BB235_167 Depth=1
	s_or_b32 exec_lo, exec_lo, s27
	v_lshlrev_b32_e32 v1, 8, v1
	v_lshl_add_u32 v10, v10, 10, 0x2000
	v_lshlrev_b32_e32 v9, 23, v9
	v_and_or_b32 v1, 0x8000, v1, v10
	v_lshl_or_b32 v9, v1, 16, v9
.LBB235_230:                            ;   in Loop: Header=BB235_167 Depth=1
	s_or_b32 exec_lo, exec_lo, s26
.LBB235_231:                            ;   in Loop: Header=BB235_167 Depth=1
	s_or_b32 exec_lo, exec_lo, s22
.LBB235_232:                            ;   in Loop: Header=BB235_167 Depth=1
	s_or_b32 exec_lo, exec_lo, s1
	v_or_b32_e32 v1, v26, v27
	v_fma_mixlo_f16 v10, v23, v26, 0 op_sel:[0,1,0] op_sel_hi:[0,1,0]
	v_or_b32_e32 v25, v24, v25
	v_fma_mixlo_f16 v24, v23, v24, 0 op_sel:[0,1,0] op_sel_hi:[0,1,0]
	v_or_b32_e32 v26, v38, v37
	v_fma_mixlo_f16 v1, v23, v1, 0 op_sel_hi:[0,1,0]
	v_or_b32_e32 v27, v9, v36
	v_lshlrev_b32_e32 v36, 16, v10
	v_lshlrev_b32_e32 v44, 16, v24
	v_fma_mixlo_f16 v10, v23, v25, 0 op_sel_hi:[0,1,0]
	v_and_b32_e32 v41, 0xffff, v1
	v_fma_mixlo_f16 v1, v23, v38, 0 op_sel:[0,1,0] op_sel_hi:[0,1,0]
	v_fma_mixlo_f16 v24, v23, v26, 0 op_sel_hi:[0,1,0]
	v_fma_mixlo_f16 v9, v23, v9, 0 op_sel:[0,1,0] op_sel_hi:[0,1,0]
	v_fma_mixlo_f16 v23, v23, v27, 0 op_sel_hi:[0,1,0]
	v_and_b32_e32 v46, 0xffff, v10
	v_lshlrev_b32_e32 v42, 16, v1
	v_and_b32_e32 v45, 0xffff, v24
	v_lshlrev_b32_e32 v39, 16, v9
	v_and_b32_e32 v43, 0xffff, v23
	v_cmp_eq_u32_e32 vcc_lo, s17, v22
	v_or_b32_e32 v1, v36, v41
	v_or_b32_e32 v37, v44, v46
	;; [unrolled: 1-line block ×4, first 2 shown]
	v_add_nc_u32_e32 v27, 1, v12
	v_add_nc_u32_e32 v26, 2, v12
	;; [unrolled: 1-line block ×7, first 2 shown]
	s_and_saveexec_b32 s22, vcc_lo
	s_cbranch_execz .LBB235_234
; %bb.233:                              ;   in Loop: Header=BB235_167 Depth=1
	v_cmp_gt_i32_e64 s1, s11, v12
	v_cndmask_b32_e64 v1, 0, v46, s1
	v_cmp_gt_i32_e64 s1, s11, v27
	v_cndmask_b32_e64 v37, 0, v44, s1
	v_cmp_gt_i32_e64 s1, s11, v26
	v_or_b32_e32 v37, v37, v1
	v_cndmask_b32_e64 v38, 0, v41, s1
	v_cmp_gt_i32_e64 s1, s11, v25
	v_cndmask_b32_e64 v36, 0, v36, s1
	v_cmp_gt_i32_e64 s1, s11, v24
	v_or_b32_e32 v1, v36, v38
	;; [unrolled: 5-line block ×3, first 2 shown]
	v_cndmask_b32_e64 v42, 0, v43, s1
	v_cmp_gt_i32_e64 s1, s11, v9
	v_cndmask_b32_e64 v39, 0, v39, s1
	v_or_b32_e32 v40, v39, v42
.LBB235_234:                            ;   in Loop: Header=BB235_167 Depth=1
	s_or_b32 exec_lo, exec_lo, s22
	v_and_b32_e32 v28, 0xffff, v28
	v_and_b32_e32 v32, 0xffff, v32
	;; [unrolled: 1-line block ×4, first 2 shown]
	v_lshl_or_b32 v33, v29, 16, v28
	v_lshl_or_b32 v32, v30, 16, v32
	;;#ASMSTART
	v_pk_mul_f16 v28, v33, v37;

	;;#ASMEND
	;;#ASMSTART
	v_pk_mul_f16 v1, v32, v1;

	;;#ASMEND
	v_lshl_or_b32 v31, v31, 16, v36
	v_lshl_or_b32 v29, v34, 16, v35
	;;#ASMSTART
	v_pk_mul_f16 v30, v31, v38;

	;;#ASMEND
	;;#ASMSTART
	v_pk_mul_f16 v34, v29, v40;

	;;#ASMEND
	;;#ASMSTART
	v_pk_add_f16 v1, v28, v1;

	;;#ASMEND
	;;#ASMSTART
	v_pk_add_f16 v1, v1, v30;
	;; [unrolled: 4-line block ×3, first 2 shown]

	;;#ASMEND
	v_and_b32_e32 v28, 0xffff, v1
	v_lshrrev_b32_e32 v1, 16, v1
	;;#ASMSTART
	v_cvt_f32_f16 v28, v28;
	;;#ASMEND
	;;#ASMSTART
	v_cvt_f32_f16 v30, v1;
	;;#ASMEND
	global_load_dwordx2 v[7:8], v[7:8], off offset:256
	v_mov_b32_e32 v35, 0
	v_mov_b32_e32 v36, 0
	global_load_dword v34, v35, s[14:15]
	s_waitcnt vmcnt(1)
	v_cmp_ne_u16_sdwa s1, v7, v2 src0_sel:BYTE_0 src1_sel:DWORD
	s_and_saveexec_b32 s22, s1
	s_cbranch_execz .LBB235_242
; %bb.235:                              ;   in Loop: Header=BB235_167 Depth=1
	v_cmp_ne_u16_sdwa s1, v7, v17 src0_sel:BYTE_0 src1_sel:DWORD
	v_mov_b32_e32 v36, 0x8000
	s_and_saveexec_b32 s26, s1
	s_cbranch_execz .LBB235_241
; %bb.236:                              ;   in Loop: Header=BB235_167 Depth=1
	v_and_b32_e32 v37, 0x7f, v7
	v_mov_b32_e32 v36, 0x7c01
	s_mov_b32 s27, exec_lo
	v_cmpx_ne_u32_e32 0x7f, v37
	s_cbranch_execz .LBB235_240
; %bb.237:                              ;   in Loop: Header=BB235_167 Depth=1
	v_and_b32_e32 v1, 7, v7
	v_lshrrev_b32_e32 v36, 3, v37
	s_mov_b32 s28, exec_lo
	v_cmpx_gt_u32_e32 8, v37
; %bb.238:                              ;   in Loop: Header=BB235_167 Depth=1
	v_ffbh_u32_e32 v1, v1
	v_min_u32_e32 v1, 32, v1
	v_subrev_nc_u32_e32 v36, 28, v1
	v_lshlrev_b64 v[37:38], v36, v[7:8]
	v_sub_nc_u32_e32 v36, 29, v1
	v_and_b32_e32 v1, 7, v37
; %bb.239:                              ;   in Loop: Header=BB235_167 Depth=1
	s_or_b32 exec_lo, exec_lo, s28
	v_lshlrev_b32_e32 v37, 8, v7
	v_lshl_add_u32 v36, v36, 10, 0x2000
	v_lshlrev_b32_e32 v1, 7, v1
	v_and_b32_e32 v37, 0x8000, v37
	v_and_b32_e32 v36, 0xfc00, v36
	v_or3_b32 v36, v37, v36, v1
.LBB235_240:                            ;   in Loop: Header=BB235_167 Depth=1
	s_or_b32 exec_lo, exec_lo, s27
.LBB235_241:                            ;   in Loop: Header=BB235_167 Depth=1
	s_or_b32 exec_lo, exec_lo, s26
.LBB235_242:                            ;   in Loop: Header=BB235_167 Depth=1
	s_or_b32 exec_lo, exec_lo, s22
	v_lshrrev_b16 v1, 8, v7
	s_mov_b32 s22, exec_lo
	v_cmpx_ne_u16_e32 0, v1
	s_cbranch_execz .LBB235_250
; %bb.243:                              ;   in Loop: Header=BB235_167 Depth=1
	v_bfrev_b32_e32 v35, 1
	s_mov_b32 s26, exec_lo
	v_cmpx_ne_u16_e32 0x80, v1
	s_cbranch_execz .LBB235_249
; %bb.244:                              ;   in Loop: Header=BB235_167 Depth=1
	v_and_b32_sdwa v38, v1, v18 dst_sel:DWORD dst_unused:UNUSED_PAD src0_sel:WORD_0 src1_sel:DWORD
	v_mov_b32_e32 v35, 0x7c010000
	s_mov_b32 s27, exec_lo
	v_cmpx_ne_u32_e32 0x7f, v38
	s_cbranch_execz .LBB235_248
; %bb.245:                              ;   in Loop: Header=BB235_167 Depth=1
	v_and_b32_sdwa v35, v1, v19 dst_sel:DWORD dst_unused:UNUSED_PAD src0_sel:WORD_0 src1_sel:DWORD
	v_lshrrev_b32_e32 v37, 3, v38
	s_mov_b32 s28, exec_lo
	v_cmpx_gt_u32_e32 8, v38
; %bb.246:                              ;   in Loop: Header=BB235_167 Depth=1
	v_ffbh_u32_e32 v35, v35
	v_min_u32_e32 v35, 32, v35
	v_subrev_nc_u32_e32 v37, 28, v35
	v_lshlrev_b64 v[38:39], v37, v[1:2]
	v_sub_nc_u32_e32 v37, 29, v35
	v_and_b32_e32 v35, 7, v38
; %bb.247:                              ;   in Loop: Header=BB235_167 Depth=1
	s_or_b32 exec_lo, exec_lo, s28
	v_lshlrev_b32_sdwa v1, v20, v1 dst_sel:DWORD dst_unused:UNUSED_PAD src0_sel:DWORD src1_sel:WORD_0
	v_lshl_add_u32 v37, v37, 10, 0x2000
	v_lshlrev_b32_e32 v35, 23, v35
	v_and_or_b32 v1, 0x8000, v1, v37
	v_lshl_or_b32 v35, v1, 16, v35
.LBB235_248:                            ;   in Loop: Header=BB235_167 Depth=1
	s_or_b32 exec_lo, exec_lo, s27
.LBB235_249:                            ;   in Loop: Header=BB235_167 Depth=1
	s_or_b32 exec_lo, exec_lo, s26
.LBB235_250:                            ;   in Loop: Header=BB235_167 Depth=1
	s_or_b32 exec_lo, exec_lo, s22
	v_lshrrev_b32_e32 v1, 16, v7
	v_mov_b32_e32 v37, 0
	v_mov_b32_e32 v38, 0
	v_cmp_ne_u16_sdwa s1, v1, v2 src0_sel:BYTE_0 src1_sel:DWORD
	s_and_saveexec_b32 s22, s1
	s_cbranch_execz .LBB235_258
; %bb.251:                              ;   in Loop: Header=BB235_167 Depth=1
	v_cmp_ne_u16_sdwa s1, v1, v17 src0_sel:BYTE_0 src1_sel:DWORD
	v_mov_b32_e32 v38, 0x8000
	s_and_saveexec_b32 s26, s1
	s_cbranch_execz .LBB235_257
; %bb.252:                              ;   in Loop: Header=BB235_167 Depth=1
	v_bfe_u32 v40, v7, 16, 7
	v_mov_b32_e32 v38, 0x7c01
	s_mov_b32 s27, exec_lo
	v_cmpx_ne_u32_e32 0x7f, v40
	s_cbranch_execz .LBB235_256
; %bb.253:                              ;   in Loop: Header=BB235_167 Depth=1
	v_and_b32_e32 v38, 7, v1
	v_lshrrev_b32_e32 v39, 3, v40
	s_mov_b32 s28, exec_lo
	v_cmpx_gt_u32_e32 8, v40
; %bb.254:                              ;   in Loop: Header=BB235_167 Depth=1
	v_ffbh_u32_e32 v38, v38
	v_min_u32_e32 v40, 32, v38
	v_subrev_nc_u32_e32 v38, 28, v40
	v_lshlrev_b64 v[38:39], v38, v[1:2]
	v_sub_nc_u32_e32 v39, 29, v40
	v_and_b32_e32 v38, 7, v38
; %bb.255:                              ;   in Loop: Header=BB235_167 Depth=1
	s_or_b32 exec_lo, exec_lo, s28
	v_lshlrev_b32_e32 v1, 8, v1
	v_lshl_add_u32 v39, v39, 10, 0x2000
	v_lshlrev_b32_e32 v38, 7, v38
	v_and_b32_e32 v1, 0x8000, v1
	v_and_b32_e32 v39, 0xfc00, v39
	v_or3_b32 v38, v1, v39, v38
.LBB235_256:                            ;   in Loop: Header=BB235_167 Depth=1
	s_or_b32 exec_lo, exec_lo, s27
.LBB235_257:                            ;   in Loop: Header=BB235_167 Depth=1
	s_or_b32 exec_lo, exec_lo, s26
.LBB235_258:                            ;   in Loop: Header=BB235_167 Depth=1
	s_or_b32 exec_lo, exec_lo, s22
	s_mov_b32 s22, exec_lo
	v_cmpx_lt_u32_e32 0xffffff, v7
	s_cbranch_execz .LBB235_266
; %bb.259:                              ;   in Loop: Header=BB235_167 Depth=1
	v_lshrrev_b32_e32 v1, 24, v7
	v_bfrev_b32_e32 v37, 1
	s_mov_b32 s26, exec_lo
	v_cmpx_ne_u32_e32 0x80, v1
	s_cbranch_execz .LBB235_265
; %bb.260:                              ;   in Loop: Header=BB235_167 Depth=1
	v_and_b32_e32 v40, 0x7f, v1
	v_mov_b32_e32 v37, 0x7c010000
	s_mov_b32 s27, exec_lo
	v_cmpx_ne_u32_e32 0x7f, v40
	s_cbranch_execz .LBB235_264
; %bb.261:                              ;   in Loop: Header=BB235_167 Depth=1
	v_and_b32_e32 v37, 7, v1
	v_lshrrev_b32_e32 v39, 3, v40
	s_mov_b32 s28, exec_lo
	v_cmpx_gt_u32_e32 8, v40
; %bb.262:                              ;   in Loop: Header=BB235_167 Depth=1
	v_ffbh_u32_e32 v37, v37
	v_min_u32_e32 v37, 32, v37
	v_subrev_nc_u32_e32 v39, 28, v37
	v_lshlrev_b64 v[40:41], v39, v[1:2]
	v_sub_nc_u32_e32 v39, 29, v37
	v_and_b32_e32 v37, 7, v40
; %bb.263:                              ;   in Loop: Header=BB235_167 Depth=1
	s_or_b32 exec_lo, exec_lo, s28
	v_lshlrev_b32_e32 v1, 8, v1
	v_lshl_add_u32 v39, v39, 10, 0x2000
	v_lshlrev_b32_e32 v37, 23, v37
	v_and_or_b32 v1, 0x8000, v1, v39
	v_lshl_or_b32 v37, v1, 16, v37
.LBB235_264:                            ;   in Loop: Header=BB235_167 Depth=1
	s_or_b32 exec_lo, exec_lo, s27
.LBB235_265:                            ;   in Loop: Header=BB235_167 Depth=1
	s_or_b32 exec_lo, exec_lo, s26
.LBB235_266:                            ;   in Loop: Header=BB235_167 Depth=1
	s_or_b32 exec_lo, exec_lo, s22
	v_mov_b32_e32 v1, v8
	v_cmp_ne_u16_sdwa s1, v8, v2 src0_sel:BYTE_0 src1_sel:DWORD
	v_mov_b32_e32 v39, 0
	v_mov_b32_e32 v40, 0
	s_and_saveexec_b32 s22, s1
	s_cbranch_execz .LBB235_274
; %bb.267:                              ;   in Loop: Header=BB235_167 Depth=1
	v_cmp_ne_u16_sdwa s1, v8, v17 src0_sel:BYTE_0 src1_sel:DWORD
	v_mov_b32_e32 v40, 0x8000
	s_and_saveexec_b32 s26, s1
	s_cbranch_execz .LBB235_273
; %bb.268:                              ;   in Loop: Header=BB235_167 Depth=1
	v_and_b32_e32 v42, 0x7f, v8
	v_mov_b32_e32 v40, 0x7c01
	s_mov_b32 s27, exec_lo
	v_cmpx_ne_u32_e32 0x7f, v42
	s_cbranch_execz .LBB235_272
; %bb.269:                              ;   in Loop: Header=BB235_167 Depth=1
	v_and_b32_e32 v40, 7, v8
	v_lshrrev_b32_e32 v41, 3, v42
	s_mov_b32 s28, exec_lo
	v_cmpx_gt_u32_e32 8, v42
; %bb.270:                              ;   in Loop: Header=BB235_167 Depth=1
	v_ffbh_u32_e32 v40, v40
	v_min_u32_e32 v42, 32, v40
	v_subrev_nc_u32_e32 v40, 28, v42
	v_lshlrev_b64 v[40:41], v40, v[1:2]
	v_sub_nc_u32_e32 v41, 29, v42
	v_and_b32_e32 v40, 7, v40
; %bb.271:                              ;   in Loop: Header=BB235_167 Depth=1
	s_or_b32 exec_lo, exec_lo, s28
	v_lshlrev_b32_e32 v42, 8, v8
	v_lshl_add_u32 v41, v41, 10, 0x2000
	v_lshlrev_b32_e32 v40, 7, v40
	v_and_b32_e32 v42, 0x8000, v42
	v_and_b32_e32 v41, 0xfc00, v41
	v_or3_b32 v40, v42, v41, v40
.LBB235_272:                            ;   in Loop: Header=BB235_167 Depth=1
	s_or_b32 exec_lo, exec_lo, s27
.LBB235_273:                            ;   in Loop: Header=BB235_167 Depth=1
	s_or_b32 exec_lo, exec_lo, s26
.LBB235_274:                            ;   in Loop: Header=BB235_167 Depth=1
	s_or_b32 exec_lo, exec_lo, s22
	v_lshrrev_b16 v1, 8, v1
	v_mov_b32_e32 v41, 0
	s_mov_b32 s22, exec_lo
	v_cmpx_ne_u16_e32 0, v1
	s_cbranch_execz .LBB235_282
; %bb.275:                              ;   in Loop: Header=BB235_167 Depth=1
	v_bfrev_b32_e32 v41, 1
	s_mov_b32 s26, exec_lo
	v_cmpx_ne_u16_e32 0x80, v1
	s_cbranch_execz .LBB235_281
; %bb.276:                              ;   in Loop: Header=BB235_167 Depth=1
	v_and_b32_sdwa v43, v1, v18 dst_sel:DWORD dst_unused:UNUSED_PAD src0_sel:WORD_0 src1_sel:DWORD
	v_mov_b32_e32 v41, 0x7c010000
	s_mov_b32 s27, exec_lo
	v_cmpx_ne_u32_e32 0x7f, v43
	s_cbranch_execz .LBB235_280
; %bb.277:                              ;   in Loop: Header=BB235_167 Depth=1
	v_and_b32_sdwa v41, v1, v19 dst_sel:DWORD dst_unused:UNUSED_PAD src0_sel:WORD_0 src1_sel:DWORD
	v_lshrrev_b32_e32 v42, 3, v43
	s_mov_b32 s28, exec_lo
	v_cmpx_gt_u32_e32 8, v43
; %bb.278:                              ;   in Loop: Header=BB235_167 Depth=1
	v_ffbh_u32_e32 v41, v41
	v_min_u32_e32 v43, 32, v41
	v_subrev_nc_u32_e32 v41, 28, v43
	v_lshlrev_b64 v[41:42], v41, v[1:2]
	v_sub_nc_u32_e32 v42, 29, v43
	v_and_b32_e32 v41, 7, v41
; %bb.279:                              ;   in Loop: Header=BB235_167 Depth=1
	s_or_b32 exec_lo, exec_lo, s28
	v_lshlrev_b32_sdwa v1, v20, v1 dst_sel:DWORD dst_unused:UNUSED_PAD src0_sel:DWORD src1_sel:WORD_0
	v_lshl_add_u32 v42, v42, 10, 0x2000
	v_lshlrev_b32_e32 v41, 23, v41
	v_and_or_b32 v1, 0x8000, v1, v42
	v_lshl_or_b32 v41, v1, 16, v41
.LBB235_280:                            ;   in Loop: Header=BB235_167 Depth=1
	s_or_b32 exec_lo, exec_lo, s27
.LBB235_281:                            ;   in Loop: Header=BB235_167 Depth=1
	s_or_b32 exec_lo, exec_lo, s26
.LBB235_282:                            ;   in Loop: Header=BB235_167 Depth=1
	s_or_b32 exec_lo, exec_lo, s22
	v_lshrrev_b32_e32 v1, 16, v8
	v_cmp_ne_u16_sdwa s1, v1, v2 src0_sel:BYTE_0 src1_sel:DWORD
	s_and_saveexec_b32 s22, s1
	s_cbranch_execz .LBB235_290
; %bb.283:                              ;   in Loop: Header=BB235_167 Depth=1
	v_cmp_ne_u16_sdwa s1, v1, v17 src0_sel:BYTE_0 src1_sel:DWORD
	v_mov_b32_e32 v39, 0x8000
	s_and_saveexec_b32 s26, s1
	s_cbranch_execz .LBB235_289
; %bb.284:                              ;   in Loop: Header=BB235_167 Depth=1
	v_bfe_u32 v43, v8, 16, 7
	v_mov_b32_e32 v39, 0x7c01
	s_mov_b32 s27, exec_lo
	v_cmpx_ne_u32_e32 0x7f, v43
	s_cbranch_execz .LBB235_288
; %bb.285:                              ;   in Loop: Header=BB235_167 Depth=1
	v_and_b32_e32 v39, 7, v1
	v_lshrrev_b32_e32 v42, 3, v43
	s_mov_b32 s28, exec_lo
	v_cmpx_gt_u32_e32 8, v43
; %bb.286:                              ;   in Loop: Header=BB235_167 Depth=1
	v_ffbh_u32_e32 v39, v39
	v_min_u32_e32 v39, 32, v39
	v_subrev_nc_u32_e32 v42, 28, v39
	v_lshlrev_b64 v[43:44], v42, v[1:2]
	v_sub_nc_u32_e32 v42, 29, v39
	v_and_b32_e32 v39, 7, v43
; %bb.287:                              ;   in Loop: Header=BB235_167 Depth=1
	s_or_b32 exec_lo, exec_lo, s28
	v_lshlrev_b32_e32 v1, 8, v1
	v_lshl_add_u32 v42, v42, 10, 0x2000
	v_lshlrev_b32_e32 v39, 7, v39
	v_and_b32_e32 v1, 0x8000, v1
	v_and_b32_e32 v42, 0xfc00, v42
	v_or3_b32 v39, v1, v42, v39
.LBB235_288:                            ;   in Loop: Header=BB235_167 Depth=1
	s_or_b32 exec_lo, exec_lo, s27
.LBB235_289:                            ;   in Loop: Header=BB235_167 Depth=1
	s_or_b32 exec_lo, exec_lo, s26
.LBB235_290:                            ;   in Loop: Header=BB235_167 Depth=1
	s_or_b32 exec_lo, exec_lo, s22
	v_cmp_lt_u64_e64 s1, s[2:3], v[7:8]
	v_mov_b32_e32 v7, 0
	s_and_saveexec_b32 s22, s1
	s_cbranch_execz .LBB235_298
; %bb.291:                              ;   in Loop: Header=BB235_167 Depth=1
	v_lshrrev_b32_e32 v1, 24, v8
	v_bfrev_b32_e32 v7, 1
	s_mov_b32 s26, exec_lo
	v_cmpx_ne_u32_e32 0x80, v1
	s_cbranch_execz .LBB235_297
; %bb.292:                              ;   in Loop: Header=BB235_167 Depth=1
	v_and_b32_e32 v42, 0x7f, v1
	v_mov_b32_e32 v7, 0x7c010000
	s_mov_b32 s27, exec_lo
	v_cmpx_ne_u32_e32 0x7f, v42
	s_cbranch_execz .LBB235_296
; %bb.293:                              ;   in Loop: Header=BB235_167 Depth=1
	v_and_b32_e32 v7, 7, v1
	v_lshrrev_b32_e32 v8, 3, v42
	s_mov_b32 s28, exec_lo
	v_cmpx_gt_u32_e32 8, v42
; %bb.294:                              ;   in Loop: Header=BB235_167 Depth=1
	v_ffbh_u32_e32 v7, v7
	v_min_u32_e32 v42, 32, v7
	v_subrev_nc_u32_e32 v7, 28, v42
	v_lshlrev_b64 v[7:8], v7, v[1:2]
	v_sub_nc_u32_e32 v8, 29, v42
	v_and_b32_e32 v7, 7, v7
; %bb.295:                              ;   in Loop: Header=BB235_167 Depth=1
	s_or_b32 exec_lo, exec_lo, s28
	v_lshlrev_b32_e32 v1, 8, v1
	v_lshl_add_u32 v8, v8, 10, 0x2000
	v_lshlrev_b32_e32 v7, 23, v7
	v_and_or_b32 v1, 0x8000, v1, v8
	v_lshl_or_b32 v7, v1, 16, v7
.LBB235_296:                            ;   in Loop: Header=BB235_167 Depth=1
	s_or_b32 exec_lo, exec_lo, s27
.LBB235_297:                            ;   in Loop: Header=BB235_167 Depth=1
	s_or_b32 exec_lo, exec_lo, s26
.LBB235_298:                            ;   in Loop: Header=BB235_167 Depth=1
	s_or_b32 exec_lo, exec_lo, s22
	v_or_b32_e32 v1, v37, v38
	s_waitcnt vmcnt(0)
	v_fma_mixlo_f16 v8, v34, v37, 0 op_sel:[0,1,0] op_sel_hi:[0,1,0]
	v_or_b32_e32 v36, v35, v36
	v_fma_mixlo_f16 v35, v34, v35, 0 op_sel:[0,1,0] op_sel_hi:[0,1,0]
	v_or_b32_e32 v37, v41, v40
	v_fma_mixlo_f16 v38, v34, v1, 0 op_sel_hi:[0,1,0]
	v_or_b32_e32 v40, v7, v39
	v_lshlrev_b32_e32 v1, 16, v8
	v_lshlrev_b32_e32 v39, 16, v35
	v_fma_mixlo_f16 v8, v34, v36, 0 op_sel_hi:[0,1,0]
	v_and_b32_e32 v36, 0xffff, v38
	v_fma_mixlo_f16 v35, v34, v41, 0 op_sel:[0,1,0] op_sel_hi:[0,1,0]
	v_fma_mixlo_f16 v38, v34, v37, 0 op_sel_hi:[0,1,0]
	v_fma_mixlo_f16 v7, v34, v7, 0 op_sel:[0,1,0] op_sel_hi:[0,1,0]
	v_fma_mixlo_f16 v34, v34, v40, 0 op_sel_hi:[0,1,0]
	v_and_b32_e32 v42, 0xffff, v8
	v_lshlrev_b32_e32 v37, 16, v35
	v_and_b32_e32 v41, 0xffff, v38
	v_lshlrev_b32_e32 v7, 16, v7
	v_and_b32_e32 v38, 0xffff, v34
	v_or_b32_e32 v35, v1, v36
	v_or_b32_e32 v40, v39, v42
	;; [unrolled: 1-line block ×4, first 2 shown]
	s_and_saveexec_b32 s1, vcc_lo
	s_cbranch_execz .LBB235_165
; %bb.299:                              ;   in Loop: Header=BB235_167 Depth=1
	v_cmp_gt_i32_e32 vcc_lo, s11, v12
	v_cndmask_b32_e32 v8, 0, v42, vcc_lo
	v_cmp_gt_i32_e32 vcc_lo, s11, v27
	v_cndmask_b32_e32 v27, 0, v39, vcc_lo
	v_cmp_gt_i32_e32 vcc_lo, s11, v26
	v_or_b32_e32 v40, v27, v8
	v_cndmask_b32_e32 v26, 0, v36, vcc_lo
	v_cmp_gt_i32_e32 vcc_lo, s11, v25
	v_cndmask_b32_e32 v1, 0, v1, vcc_lo
	v_cmp_gt_i32_e32 vcc_lo, s11, v24
	v_or_b32_e32 v35, v1, v26
	;; [unrolled: 5-line block ×3, first 2 shown]
	v_cndmask_b32_e32 v10, 0, v38, vcc_lo
	v_cmp_gt_i32_e32 vcc_lo, s11, v9
	v_cndmask_b32_e32 v7, 0, v7, vcc_lo
	v_or_b32_e32 v8, v7, v10
	s_branch .LBB235_165
.LBB235_300:
	s_or_b32 exec_lo, exec_lo, s18
.LBB235_301:
	s_or_b32 exec_lo, exec_lo, s4
	v_lshl_add_u32 v2, v13, 2, 0xa0
	v_and_b32_e32 v3, 0x3c0, v0
	s_mov_b32 s1, exec_lo
	s_barrier
	v_lshl_add_u32 v1, v11, 8, v2
	buffer_gl0_inv
	v_cmpx_eq_u32_e32 64, v3
	s_cbranch_execz .LBB235_303
; %bb.302:
	v_add_nc_u32_e32 v3, 0xfffffe00, v1
	v_add_nc_u32_e32 v4, 0xfffffe80, v1
	ds_write_b32 v3, v15
	ds_write_b32 v4, v14
.LBB235_303:
	s_or_b32 exec_lo, exec_lo, s1
	s_mov_b32 s1, exec_lo
	s_waitcnt lgkmcnt(0)
	s_barrier
	buffer_gl0_inv
	v_cmpx_gt_u32_e32 64, v0
	s_cbranch_execz .LBB235_305
; %bb.304:
	ds_read2_b32 v[3:4], v1 offset1:32
	s_waitcnt lgkmcnt(0)
	v_add_f32_e32 v15, v15, v3
	v_add_f32_e32 v14, v14, v4
.LBB235_305:
	s_or_b32 exec_lo, exec_lo, s1
	v_and_b32_e32 v3, 0x3e0, v0
	s_mov_b32 s1, exec_lo
	s_barrier
	buffer_gl0_inv
	v_cmpx_eq_u32_e32 32, v3
; %bb.306:
	ds_write2_b32 v2, v15, v14 offset1:32
; %bb.307:
	s_or_b32 exec_lo, exec_lo, s1
	s_waitcnt lgkmcnt(0)
	s_barrier
	buffer_gl0_inv
	s_and_saveexec_b32 s1, s0
	s_cbranch_execz .LBB235_309
; %bb.308:
	ds_read2_b32 v[1:2], v1 offset1:32
	s_waitcnt lgkmcnt(0)
	v_add_f32_e32 v15, v15, v1
	v_add_f32_e32 v14, v14, v2
.LBB235_309:
	s_or_b32 exec_lo, exec_lo, s1
	s_barrier
	buffer_gl0_inv
	s_and_saveexec_b32 s1, s0
	s_cbranch_execz .LBB235_311
; %bb.310:
	s_mul_i32 s0, s10, s16
	s_mul_i32 s2, s16, s24
	s_mul_i32 s0, s0, s9
	v_lshlrev_b32_e32 v0, 1, v0
	s_lshl_b32 s0, s0, 6
	;;#ASMSTART
	v_cvt_f16_f32 v1, v15;

	;;#ASMEND
	s_ashr_i32 s1, s0, 31
	s_lshl_b64 s[0:1], s[0:1], 1
	s_add_u32 s4, s6, s0
	s_addc_u32 s5, s7, s1
	s_ashr_i32 s3, s2, 31
	s_lshl_b64 s[0:1], s[2:3], 1
	s_add_u32 s2, s4, s0
	s_addc_u32 s3, s5, s1
	s_lshl_b32 s0, s8, 6
	s_ashr_i32 s1, s0, 31
	s_lshl_b64 s[0:1], s[0:1], 1
	s_add_u32 s0, s2, s0
	s_addc_u32 s1, s3, s1
	global_store_short v0, v1, s[0:1]
	;;#ASMSTART
	v_cvt_f16_f32 v1, v14;

	;;#ASMEND
	global_store_short v0, v1, s[0:1] offset:64
.LBB235_311:
	s_endpgm
	.section	.rodata,"a",@progbits
	.p2align	6, 0x0
	.amdhsa_kernel _ZN4vllm25paged_attention_v1_kernelIthLi64ELi8ELi128ELNS_18Fp8KVCacheDataTypeE1ELb1EEEvPT_PKS2_PKT0_S8_ifPKiSA_iPKfiiiSC_SC_iiiii
		.amdhsa_group_segment_fixed_size 160
		.amdhsa_private_segment_fixed_size 0
		.amdhsa_kernarg_size 384
		.amdhsa_user_sgpr_count 6
		.amdhsa_user_sgpr_private_segment_buffer 1
		.amdhsa_user_sgpr_dispatch_ptr 0
		.amdhsa_user_sgpr_queue_ptr 0
		.amdhsa_user_sgpr_kernarg_segment_ptr 1
		.amdhsa_user_sgpr_dispatch_id 0
		.amdhsa_user_sgpr_flat_scratch_init 0
		.amdhsa_user_sgpr_private_segment_size 0
		.amdhsa_wavefront_size32 1
		.amdhsa_uses_dynamic_stack 0
		.amdhsa_system_sgpr_private_segment_wavefront_offset 0
		.amdhsa_system_sgpr_workgroup_id_x 1
		.amdhsa_system_sgpr_workgroup_id_y 1
		.amdhsa_system_sgpr_workgroup_id_z 1
		.amdhsa_system_sgpr_workgroup_info 0
		.amdhsa_system_vgpr_workitem_id 0
		.amdhsa_next_free_vgpr 54
		.amdhsa_next_free_sgpr 45
		.amdhsa_reserve_vcc 1
		.amdhsa_reserve_flat_scratch 0
		.amdhsa_float_round_mode_32 0
		.amdhsa_float_round_mode_16_64 0
		.amdhsa_float_denorm_mode_32 3
		.amdhsa_float_denorm_mode_16_64 3
		.amdhsa_dx10_clamp 1
		.amdhsa_ieee_mode 1
		.amdhsa_fp16_overflow 0
		.amdhsa_workgroup_processor_mode 1
		.amdhsa_memory_ordered 1
		.amdhsa_forward_progress 1
		.amdhsa_shared_vgpr_count 0
		.amdhsa_exception_fp_ieee_invalid_op 0
		.amdhsa_exception_fp_denorm_src 0
		.amdhsa_exception_fp_ieee_div_zero 0
		.amdhsa_exception_fp_ieee_overflow 0
		.amdhsa_exception_fp_ieee_underflow 0
		.amdhsa_exception_fp_ieee_inexact 0
		.amdhsa_exception_int_div_zero 0
	.end_amdhsa_kernel
	.section	.text._ZN4vllm25paged_attention_v1_kernelIthLi64ELi8ELi128ELNS_18Fp8KVCacheDataTypeE1ELb1EEEvPT_PKS2_PKT0_S8_ifPKiSA_iPKfiiiSC_SC_iiiii,"axG",@progbits,_ZN4vllm25paged_attention_v1_kernelIthLi64ELi8ELi128ELNS_18Fp8KVCacheDataTypeE1ELb1EEEvPT_PKS2_PKT0_S8_ifPKiSA_iPKfiiiSC_SC_iiiii,comdat
.Lfunc_end235:
	.size	_ZN4vllm25paged_attention_v1_kernelIthLi64ELi8ELi128ELNS_18Fp8KVCacheDataTypeE1ELb1EEEvPT_PKS2_PKT0_S8_ifPKiSA_iPKfiiiSC_SC_iiiii, .Lfunc_end235-_ZN4vllm25paged_attention_v1_kernelIthLi64ELi8ELi128ELNS_18Fp8KVCacheDataTypeE1ELb1EEEvPT_PKS2_PKT0_S8_ifPKiSA_iPKfiiiSC_SC_iiiii
                                        ; -- End function
	.set _ZN4vllm25paged_attention_v1_kernelIthLi64ELi8ELi128ELNS_18Fp8KVCacheDataTypeE1ELb1EEEvPT_PKS2_PKT0_S8_ifPKiSA_iPKfiiiSC_SC_iiiii.num_vgpr, 54
	.set _ZN4vllm25paged_attention_v1_kernelIthLi64ELi8ELi128ELNS_18Fp8KVCacheDataTypeE1ELb1EEEvPT_PKS2_PKT0_S8_ifPKiSA_iPKfiiiSC_SC_iiiii.num_agpr, 0
	.set _ZN4vllm25paged_attention_v1_kernelIthLi64ELi8ELi128ELNS_18Fp8KVCacheDataTypeE1ELb1EEEvPT_PKS2_PKT0_S8_ifPKiSA_iPKfiiiSC_SC_iiiii.numbered_sgpr, 45
	.set _ZN4vllm25paged_attention_v1_kernelIthLi64ELi8ELi128ELNS_18Fp8KVCacheDataTypeE1ELb1EEEvPT_PKS2_PKT0_S8_ifPKiSA_iPKfiiiSC_SC_iiiii.num_named_barrier, 0
	.set _ZN4vllm25paged_attention_v1_kernelIthLi64ELi8ELi128ELNS_18Fp8KVCacheDataTypeE1ELb1EEEvPT_PKS2_PKT0_S8_ifPKiSA_iPKfiiiSC_SC_iiiii.private_seg_size, 0
	.set _ZN4vllm25paged_attention_v1_kernelIthLi64ELi8ELi128ELNS_18Fp8KVCacheDataTypeE1ELb1EEEvPT_PKS2_PKT0_S8_ifPKiSA_iPKfiiiSC_SC_iiiii.uses_vcc, 1
	.set _ZN4vllm25paged_attention_v1_kernelIthLi64ELi8ELi128ELNS_18Fp8KVCacheDataTypeE1ELb1EEEvPT_PKS2_PKT0_S8_ifPKiSA_iPKfiiiSC_SC_iiiii.uses_flat_scratch, 0
	.set _ZN4vllm25paged_attention_v1_kernelIthLi64ELi8ELi128ELNS_18Fp8KVCacheDataTypeE1ELb1EEEvPT_PKS2_PKT0_S8_ifPKiSA_iPKfiiiSC_SC_iiiii.has_dyn_sized_stack, 0
	.set _ZN4vllm25paged_attention_v1_kernelIthLi64ELi8ELi128ELNS_18Fp8KVCacheDataTypeE1ELb1EEEvPT_PKS2_PKT0_S8_ifPKiSA_iPKfiiiSC_SC_iiiii.has_recursion, 0
	.set _ZN4vllm25paged_attention_v1_kernelIthLi64ELi8ELi128ELNS_18Fp8KVCacheDataTypeE1ELb1EEEvPT_PKS2_PKT0_S8_ifPKiSA_iPKfiiiSC_SC_iiiii.has_indirect_call, 0
	.section	.AMDGPU.csdata,"",@progbits
; Kernel info:
; codeLenInByte = 11636
; TotalNumSgprs: 47
; NumVgprs: 54
; ScratchSize: 0
; MemoryBound: 0
; FloatMode: 240
; IeeeMode: 1
; LDSByteSize: 160 bytes/workgroup (compile time only)
; SGPRBlocks: 0
; VGPRBlocks: 6
; NumSGPRsForWavesPerEU: 47
; NumVGPRsForWavesPerEU: 54
; Occupancy: 16
; WaveLimiterHint : 1
; COMPUTE_PGM_RSRC2:SCRATCH_EN: 0
; COMPUTE_PGM_RSRC2:USER_SGPR: 6
; COMPUTE_PGM_RSRC2:TRAP_HANDLER: 0
; COMPUTE_PGM_RSRC2:TGID_X_EN: 1
; COMPUTE_PGM_RSRC2:TGID_Y_EN: 1
; COMPUTE_PGM_RSRC2:TGID_Z_EN: 1
; COMPUTE_PGM_RSRC2:TIDIG_COMP_CNT: 0
	.section	.text._ZN4vllm25paged_attention_v1_kernelIthLi80ELi8ELi128ELNS_18Fp8KVCacheDataTypeE1ELb1EEEvPT_PKS2_PKT0_S8_ifPKiSA_iPKfiiiSC_SC_iiiii,"axG",@progbits,_ZN4vllm25paged_attention_v1_kernelIthLi80ELi8ELi128ELNS_18Fp8KVCacheDataTypeE1ELb1EEEvPT_PKS2_PKT0_S8_ifPKiSA_iPKfiiiSC_SC_iiiii,comdat
	.protected	_ZN4vllm25paged_attention_v1_kernelIthLi80ELi8ELi128ELNS_18Fp8KVCacheDataTypeE1ELb1EEEvPT_PKS2_PKT0_S8_ifPKiSA_iPKfiiiSC_SC_iiiii ; -- Begin function _ZN4vllm25paged_attention_v1_kernelIthLi80ELi8ELi128ELNS_18Fp8KVCacheDataTypeE1ELb1EEEvPT_PKS2_PKT0_S8_ifPKiSA_iPKfiiiSC_SC_iiiii
	.globl	_ZN4vllm25paged_attention_v1_kernelIthLi80ELi8ELi128ELNS_18Fp8KVCacheDataTypeE1ELb1EEEvPT_PKS2_PKT0_S8_ifPKiSA_iPKfiiiSC_SC_iiiii
	.p2align	8
	.type	_ZN4vllm25paged_attention_v1_kernelIthLi80ELi8ELi128ELNS_18Fp8KVCacheDataTypeE1ELb1EEEvPT_PKS2_PKT0_S8_ifPKiSA_iPKfiiiSC_SC_iiiii,@function
_ZN4vllm25paged_attention_v1_kernelIthLi80ELi8ELi128ELNS_18Fp8KVCacheDataTypeE1ELb1EEEvPT_PKS2_PKT0_S8_ifPKiSA_iPKfiiiSC_SC_iiiii: ; @_ZN4vllm25paged_attention_v1_kernelIthLi80ELi8ELi128ELNS_18Fp8KVCacheDataTypeE1ELb1EEEvPT_PKS2_PKT0_S8_ifPKiSA_iPKfiiiSC_SC_iiiii
; %bb.0:
	s_clause 0x2
	s_load_dword s9, s[4:5], 0x80
	s_load_dwordx2 s[0:1], s[4:5], 0x30
	s_load_dwordx2 s[34:35], s[4:5], 0x20
	s_mov_b32 s10, s7
	s_ashr_i32 s11, s7, 31
	s_mov_b32 s36, 0
	s_lshl_b64 s[2:3], s[10:11], 2
	s_waitcnt lgkmcnt(0)
	s_add_u32 s0, s0, s2
	s_addc_u32 s1, s1, s3
	s_abs_i32 s2, s34
	s_abs_i32 s11, s9
	v_cvt_f32_u32_e32 v1, s2
	s_sub_i32 s7, 0, s2
	v_rcp_iflag_f32_e32 v1, v1
	v_mul_f32_e32 v1, 0x4f7ffffe, v1
	v_cvt_u32_f32_e32 v1, v1
	v_readfirstlane_b32 s3, v1
	s_mul_i32 s7, s7, s3
	s_mul_hi_u32 s7, s3, s7
	s_add_i32 s3, s3, s7
	s_xor_b32 s7, s9, s34
	s_mul_hi_u32 s3, s11, s3
	s_ashr_i32 s7, s7, 31
	s_mul_i32 s12, s3, s2
	s_sub_i32 s11, s11, s12
	s_add_i32 s12, s3, 1
	s_sub_i32 s13, s11, s2
	s_cmp_ge_u32 s11, s2
	s_cselect_b32 s3, s12, s3
	s_cselect_b32 s11, s13, s11
	s_add_i32 s12, s3, 1
	s_cmp_ge_u32 s11, s2
	s_cselect_b32 s2, s12, s3
	s_xor_b32 s2, s2, s7
	s_sub_i32 s14, s2, s7
	s_load_dwordx2 s[2:3], s[4:5], 0x40
	s_abs_i32 s11, s14
	v_cvt_f32_u32_e32 v1, s11
	s_sub_i32 s12, 0, s11
	v_rcp_iflag_f32_e32 v1, v1
	v_mul_f32_e32 v1, 0x4f7ffffe, v1
	v_cvt_u32_f32_e32 v1, v1
	v_readfirstlane_b32 s7, v1
	s_mul_i32 s12, s12, s7
	s_mul_hi_u32 s13, s7, s12
	s_abs_i32 s12, s6
	s_add_i32 s7, s7, s13
	s_waitcnt lgkmcnt(0)
	s_cmp_eq_u64 s[2:3], 0
	s_mul_hi_u32 s13, s12, s7
	s_cbranch_scc1 .LBB236_2
; %bb.1:
	s_ashr_i32 s7, s6, 31
	s_lshl_b64 s[16:17], s[6:7], 2
	s_add_u32 s2, s2, s16
	s_addc_u32 s3, s3, s17
	s_load_dword s36, s[2:3], 0x0
.LBB236_2:
	s_load_dword s33, s[0:1], 0x0
	s_load_dwordx4 s[16:19], s[4:5], 0x48
	v_and_b32_e32 v1, 3, v0
	s_ashr_i32 s0, s6, 31
	s_ashr_i32 s1, s14, 31
	s_mul_i32 s24, s6, 0x50
	s_mov_b32 s2, exec_lo
	v_cmpx_gt_u32_e32 40, v0
	s_cbranch_execz .LBB236_4
; %bb.3:
	s_load_dwordx2 s[14:15], s[4:5], 0x8
	s_waitcnt lgkmcnt(0)
	s_mul_i32 s20, s16, s10
	v_lshlrev_b32_e32 v2, 2, v0
	s_ashr_i32 s21, s20, 31
	v_and_b32_e32 v3, 0x3fc, v0
	s_lshl_b64 s[20:21], s[20:21], 1
	v_mad_u32_u24 v3, v1, 40, v3
	s_add_u32 s3, s14, s20
	s_addc_u32 s7, s15, s21
	s_ashr_i32 s25, s24, 31
	s_lshl_b64 s[14:15], s[24:25], 1
	s_add_u32 s14, s3, s14
	s_addc_u32 s15, s7, s15
	global_load_dword v2, v2, s[14:15]
	s_waitcnt vmcnt(0)
	ds_write_b32 v3, v2
.LBB236_4:
	s_or_b32 exec_lo, exec_lo, s2
	s_load_dwordx4 s[20:23], s[4:5], 0x68
	s_mul_i32 s2, s13, s11
	s_xor_b32 s1, s0, s1
	s_sub_i32 s0, s12, s2
	s_add_i32 s2, s13, 1
	s_sub_i32 s3, s0, s11
	s_cmp_ge_u32 s0, s11
	s_mov_b32 s12, -1
	s_cselect_b32 s2, s2, s13
	s_cselect_b32 s0, s3, s0
	s_add_i32 s3, s2, 1
	s_cmp_ge_u32 s0, s11
	s_load_dword s0, s[4:5], 0x78
	s_cselect_b32 s2, s3, s2
	s_waitcnt lgkmcnt(0)
	s_add_i32 s7, s33, -1
	s_xor_b32 s2, s2, s1
	s_abs_i32 s3, s7
	s_sub_i32 s1, s2, s1
	s_barrier
	s_abs_i32 s16, s23
	buffer_gl0_inv
	v_cvt_f32_u32_e32 v2, s16
	s_sub_i32 s2, 0, s16
                                        ; implicit-def: $sgpr25
	v_rcp_iflag_f32_e32 v2, v2
	v_mul_f32_e32 v2, 0x4f7ffffe, v2
	v_cvt_u32_f32_e32 v2, v2
	v_readfirstlane_b32 s19, v2
	s_mul_i32 s2, s2, s19
	s_mul_hi_u32 s2, s19, s2
	s_add_i32 s19, s19, s2
	s_cmp_lt_i32 s0, 0
	s_mul_hi_u32 s2, s3, s19
	s_cbranch_scc0 .LBB236_6
; %bb.5:
	s_mul_i32 s11, s20, s34
	s_mov_b32 s12, 0
	s_add_i32 s11, s1, s11
	s_mul_i32 s11, s11, s0
	s_sub_i32 s25, 1, s11
.LBB236_6:
	s_load_dwordx2 s[26:27], s[4:5], 0x28
	s_ashr_i32 s11, s7, 31
	s_andn2_b32 vcc_lo, exec_lo, s12
	s_ashr_i32 s23, s23, 31
	s_cbranch_vccnz .LBB236_8
; %bb.7:
	s_mul_i32 s7, s9, s20
	s_add_i32 s6, s7, s6
	s_mul_i32 s0, s6, s0
	s_add_i32 s25, s0, 1
.LBB236_8:
	s_clause 0x2
	s_load_dword s0, s[4:5], 0x38
	s_load_dwordx2 s[6:7], s[4:5], 0x0
	s_load_dwordx2 s[30:31], s[4:5], 0x18
	s_xor_b32 s34, s11, s23
	s_mul_i32 s11, s2, s16
	s_add_i32 s20, s2, 1
	s_sub_i32 s3, s3, s11
	s_clause 0x1
	s_load_dword s11, s[4:5], 0x88
	s_load_dwordx4 s[12:15], s[4:5], 0x58
	v_lshrrev_b32_e32 v11, 5, v0
	v_mov_b32_e32 v15, 0xff7fffff
	v_lshrrev_b32_e32 v9, 3, v0
	v_mbcnt_lo_u32_b32 v10, -1, 0
	s_mul_i32 s18, s1, s18
	v_lshlrev_b32_e32 v12, 3, v11
	s_waitcnt lgkmcnt(0)
	s_mul_i32 s28, s0, s10
	s_sub_i32 s0, s3, s16
	s_ashr_i32 s29, s28, 31
	s_cmp_ge_u32 s3, s16
	s_cselect_b32 s2, s20, s2
	s_cselect_b32 s0, s0, s3
	s_add_i32 s3, s2, 1
	s_cmp_ge_u32 s0, s16
	s_cselect_b32 s0, s3, s2
	s_add_i32 s2, s33, 7
	s_ashr_i32 s3, s2, 31
	s_lshr_b32 s3, s3, 29
	s_add_i32 s2, s2, s3
	s_ashr_i32 s20, s2, 3
	s_xor_b32 s2, s0, s34
	v_cmp_gt_i32_e64 s0, s20, v11
	s_sub_i32 s34, s2, s34
	s_and_saveexec_b32 s37, s0
	s_cbranch_execz .LBB236_180
; %bb.9:
	s_load_dwordx2 s[2:3], s[4:5], 0x10
	s_sub_i32 s4, s34, s21
	s_ashr_i32 s1, s18, 31
	v_bfe_u32 v13, v0, 2, 3
	v_cmp_eq_u32_e32 vcc_lo, 0, v1
	v_lshlrev_b32_e32 v5, 1, v1
	v_mul_u32_u24_e32 v14, 40, v1
	v_and_b32_e32 v1, 0x7c, v9
	v_lshlrev_b32_e32 v4, 2, v13
	v_subrev_nc_u32_e32 v6, s33, v13
	v_mov_b32_e32 v2, 0
	v_lshlrev_b32_e32 v16, 3, v11
	v_mov_b32_e32 v17, 0xff7fffff
	v_lshl_or_b32 v4, v11, 5, v4
	v_add_nc_u32_e32 v22, 1, v6
	v_mov_b32_e32 v18, 0x80
	v_mov_b32_e32 v19, 0x7f
	;; [unrolled: 1-line block ×3, first 2 shown]
	v_add_nc_u32_e32 v23, 0xc0, v4
	v_mov_b32_e32 v21, 8
	s_waitcnt lgkmcnt(0)
	s_add_u32 s38, s2, s18
	s_addc_u32 s39, s3, s1
	s_abs_i32 s5, s22
	v_cmp_neq_f32_e64 s1, s36, 0
	v_cvt_f32_u32_e32 v3, s5
	s_sub_i32 s2, 0, s5
	v_mov_b32_e32 v15, 0xff7fffff
	v_mov_b32_e32 v25, v11
	v_rcp_iflag_f32_e32 v3, v3
	v_mul_f32_e32 v3, 0x4f7ffffe, v3
	v_cvt_u32_f32_e32 v7, v3
	v_lshlrev_b32_e32 v3, 4, v13
	v_mul_lo_u32 v4, s2, v7
	s_lshl_b64 s[2:3], s[28:29], 2
	v_add_co_u32 v6, s38, s38, v3
	s_add_u32 s2, s26, s2
	v_add_co_ci_u32_e64 v8, null, s39, 0, s38
	s_addc_u32 s3, s27, s3
	v_mul_hi_u32 v24, v7, v4
	v_add_co_u32 v3, s2, s2, v1
	v_add_co_ci_u32_e64 v4, null, s3, 0, s2
	v_add_co_u32 v5, s2, v6, v5
	v_add_co_ci_u32_e64 v6, null, 0, v8, s2
	v_add_nc_u32_e32 v24, v7, v24
	s_mov_b32 s38, 0
	s_mov_b32 s39, s17
	s_branch .LBB236_12
.LBB236_10:                             ;   in Loop: Header=BB236_12 Depth=1
	s_or_b32 exec_lo, exec_lo, s40
.LBB236_11:                             ;   in Loop: Header=BB236_12 Depth=1
	s_or_b32 exec_lo, exec_lo, s3
	v_add_nc_u32_e32 v25, 4, v25
	v_add_co_u32 v3, s3, v3, 16
	v_add_co_ci_u32_e64 v4, null, 0, v4, s3
	v_cmp_le_i32_e64 s2, s20, v25
	v_add_nc_u32_e32 v16, 32, v16
	v_add_nc_u32_e32 v23, 0x80, v23
	s_or_b32 s38, s2, s38
	s_andn2_b32 exec_lo, exec_lo, s38
	s_cbranch_execz .LBB236_179
.LBB236_12:                             ; =>This Inner Loop Header: Depth=1
	v_mul_hi_u32 v1, v16, s19
	s_waitcnt lgkmcnt(0)
	v_mul_lo_u32 v7, v1, s16
	v_add_nc_u32_e32 v8, 1, v1
	v_sub_nc_u32_e32 v7, v16, v7
	v_subrev_nc_u32_e32 v26, s16, v7
	v_cmp_le_u32_e64 s2, s16, v7
	v_cndmask_b32_e64 v1, v1, v8, s2
	v_cndmask_b32_e64 v7, v7, v26, s2
	v_add_nc_u32_e32 v8, 1, v1
	v_cmp_le_u32_e64 s2, s16, v7
	v_cndmask_b32_e64 v1, v1, v8, s2
	v_xor_b32_e32 v1, s23, v1
	v_subrev_nc_u32_e32 v1, s23, v1
	v_add_nc_u32_e32 v7, s25, v1
	v_cmp_ge_i32_e64 s3, s4, v1
	v_sub_nc_u32_e32 v8, 0, v7
	v_max_i32_e32 v8, v7, v8
	v_ashrrev_i32_e32 v7, 31, v7
	v_mul_hi_u32 v26, v8, v24
	v_mul_lo_u32 v26, v26, s5
	v_sub_nc_u32_e32 v8, v8, v26
	v_subrev_nc_u32_e32 v26, s5, v8
	v_cmp_le_u32_e64 s2, s5, v8
	v_cndmask_b32_e64 v8, v8, v26, s2
	v_subrev_nc_u32_e32 v26, s5, v8
	v_cmp_le_u32_e64 s2, s5, v8
	v_cndmask_b32_e64 v8, v8, v26, s2
	v_xor_b32_e32 v8, v8, v7
	v_sub_nc_u32_e32 v7, v8, v7
	v_cmp_ne_u32_e64 s2, 0, v7
	s_and_b32 s2, s2, s3
	s_and_saveexec_b32 s3, s2
	s_xor_b32 s2, exec_lo, s3
	s_cbranch_execz .LBB236_16
; %bb.13:                               ;   in Loop: Header=BB236_12 Depth=1
	s_and_saveexec_b32 s3, vcc_lo
; %bb.14:                               ;   in Loop: Header=BB236_12 Depth=1
	ds_write_b32 v23, v17
; %bb.15:                               ;   in Loop: Header=BB236_12 Depth=1
	s_or_b32 exec_lo, exec_lo, s3
.LBB236_16:                             ;   in Loop: Header=BB236_12 Depth=1
	s_andn2_saveexec_b32 s3, s2
	s_cbranch_execz .LBB236_11
; %bb.17:                               ;   in Loop: Header=BB236_12 Depth=1
	global_load_dword v1, v[3:4], off
	v_mov_b32_e32 v27, 0
	global_load_dword v26, v27, s[12:13]
	s_waitcnt vmcnt(1)
	v_mad_i64_i32 v[7:8], null, v1, s39, v[5:6]
	global_load_ushort v28, v[7:8], off
	s_waitcnt vmcnt(0)
	v_and_b32_e32 v1, 0xffff, v28
	v_cmp_ne_u16_sdwa s2, v28, v2 src0_sel:BYTE_0 src1_sel:DWORD
	v_mov_b32_e32 v28, 0
	s_and_saveexec_b32 s40, s2
	s_cbranch_execz .LBB236_25
; %bb.18:                               ;   in Loop: Header=BB236_12 Depth=1
	v_cmp_ne_u16_sdwa s2, v1, v18 src0_sel:BYTE_0 src1_sel:DWORD
	v_mov_b32_e32 v28, 0x8000
	s_and_saveexec_b32 s41, s2
	s_cbranch_execz .LBB236_24
; %bb.19:                               ;   in Loop: Header=BB236_12 Depth=1
	v_and_b32_e32 v30, 0x7f, v1
	v_mov_b32_e32 v28, 0x7c01
	s_mov_b32 s42, exec_lo
	v_cmpx_ne_u32_e32 0x7f, v30
	s_cbranch_execz .LBB236_23
; %bb.20:                               ;   in Loop: Header=BB236_12 Depth=1
	v_and_b32_e32 v28, 7, v1
	v_lshrrev_b32_e32 v29, 3, v30
	s_mov_b32 s43, exec_lo
	v_cmpx_gt_u32_e32 8, v30
; %bb.21:                               ;   in Loop: Header=BB236_12 Depth=1
	v_ffbh_u32_e32 v28, v28
	v_min_u32_e32 v30, 32, v28
	v_subrev_nc_u32_e32 v28, 28, v30
	v_lshlrev_b64 v[28:29], v28, v[1:2]
	v_sub_nc_u32_e32 v29, 29, v30
	v_and_b32_e32 v28, 7, v28
; %bb.22:                               ;   in Loop: Header=BB236_12 Depth=1
	s_or_b32 exec_lo, exec_lo, s43
	v_lshlrev_b32_e32 v30, 8, v1
	v_lshl_add_u32 v29, v29, 10, 0x2000
	v_lshlrev_b32_e32 v28, 7, v28
	v_and_b32_e32 v30, 0x8000, v30
	v_and_b32_e32 v29, 0xfc00, v29
	v_or3_b32 v28, v30, v29, v28
.LBB236_23:                             ;   in Loop: Header=BB236_12 Depth=1
	s_or_b32 exec_lo, exec_lo, s42
.LBB236_24:                             ;   in Loop: Header=BB236_12 Depth=1
	s_or_b32 exec_lo, exec_lo, s41
.LBB236_25:                             ;   in Loop: Header=BB236_12 Depth=1
	s_or_b32 exec_lo, exec_lo, s40
	v_lshrrev_b16 v1, 8, v1
	s_mov_b32 s40, exec_lo
	v_cmpx_ne_u16_e32 0, v1
	s_cbranch_execz .LBB236_33
; %bb.26:                               ;   in Loop: Header=BB236_12 Depth=1
	v_bfrev_b32_e32 v27, 1
	s_mov_b32 s41, exec_lo
	v_cmpx_ne_u16_e32 0x80, v1
	s_cbranch_execz .LBB236_32
; %bb.27:                               ;   in Loop: Header=BB236_12 Depth=1
	v_and_b32_sdwa v30, v1, v19 dst_sel:DWORD dst_unused:UNUSED_PAD src0_sel:WORD_0 src1_sel:DWORD
	v_mov_b32_e32 v27, 0x7c010000
	s_mov_b32 s42, exec_lo
	v_cmpx_ne_u32_e32 0x7f, v30
	s_cbranch_execz .LBB236_31
; %bb.28:                               ;   in Loop: Header=BB236_12 Depth=1
	v_and_b32_sdwa v27, v1, v20 dst_sel:DWORD dst_unused:UNUSED_PAD src0_sel:WORD_0 src1_sel:DWORD
	v_lshrrev_b32_e32 v29, 3, v30
	s_mov_b32 s43, exec_lo
	v_cmpx_gt_u32_e32 8, v30
; %bb.29:                               ;   in Loop: Header=BB236_12 Depth=1
	v_ffbh_u32_e32 v27, v27
	v_min_u32_e32 v27, 32, v27
	v_subrev_nc_u32_e32 v29, 28, v27
	v_lshlrev_b64 v[30:31], v29, v[1:2]
	v_sub_nc_u32_e32 v29, 29, v27
	v_and_b32_e32 v27, 7, v30
; %bb.30:                               ;   in Loop: Header=BB236_12 Depth=1
	s_or_b32 exec_lo, exec_lo, s43
	v_lshlrev_b32_sdwa v1, v21, v1 dst_sel:DWORD dst_unused:UNUSED_PAD src0_sel:DWORD src1_sel:WORD_0
	v_lshl_add_u32 v29, v29, 10, 0x2000
	v_lshlrev_b32_e32 v27, 23, v27
	v_and_or_b32 v1, 0x8000, v1, v29
	v_lshl_or_b32 v27, v1, 16, v27
.LBB236_31:                             ;   in Loop: Header=BB236_12 Depth=1
	s_or_b32 exec_lo, exec_lo, s42
.LBB236_32:                             ;   in Loop: Header=BB236_12 Depth=1
	s_or_b32 exec_lo, exec_lo, s41
.LBB236_33:                             ;   in Loop: Header=BB236_12 Depth=1
	s_or_b32 exec_lo, exec_lo, s40
	global_load_ushort v30, v[7:8], off offset:8
	v_mov_b32_e32 v29, 0
	s_waitcnt vmcnt(0)
	v_and_b32_e32 v1, 0xffff, v30
	v_cmp_ne_u16_sdwa s2, v30, v2 src0_sel:BYTE_0 src1_sel:DWORD
	v_mov_b32_e32 v30, 0
	s_and_saveexec_b32 s40, s2
	s_cbranch_execz .LBB236_41
; %bb.34:                               ;   in Loop: Header=BB236_12 Depth=1
	v_cmp_ne_u16_sdwa s2, v1, v18 src0_sel:BYTE_0 src1_sel:DWORD
	v_mov_b32_e32 v30, 0x8000
	s_and_saveexec_b32 s41, s2
	s_cbranch_execz .LBB236_40
; %bb.35:                               ;   in Loop: Header=BB236_12 Depth=1
	v_and_b32_e32 v32, 0x7f, v1
	v_mov_b32_e32 v30, 0x7c01
	s_mov_b32 s42, exec_lo
	v_cmpx_ne_u32_e32 0x7f, v32
	s_cbranch_execz .LBB236_39
; %bb.36:                               ;   in Loop: Header=BB236_12 Depth=1
	v_and_b32_e32 v30, 7, v1
	v_lshrrev_b32_e32 v31, 3, v32
	s_mov_b32 s43, exec_lo
	v_cmpx_gt_u32_e32 8, v32
; %bb.37:                               ;   in Loop: Header=BB236_12 Depth=1
	v_ffbh_u32_e32 v30, v30
	v_min_u32_e32 v32, 32, v30
	v_subrev_nc_u32_e32 v30, 28, v32
	v_lshlrev_b64 v[30:31], v30, v[1:2]
	v_sub_nc_u32_e32 v31, 29, v32
	v_and_b32_e32 v30, 7, v30
; %bb.38:                               ;   in Loop: Header=BB236_12 Depth=1
	s_or_b32 exec_lo, exec_lo, s43
	v_lshlrev_b32_e32 v32, 8, v1
	v_lshl_add_u32 v31, v31, 10, 0x2000
	v_lshlrev_b32_e32 v30, 7, v30
	v_and_b32_e32 v32, 0x8000, v32
	v_and_b32_e32 v31, 0xfc00, v31
	v_or3_b32 v30, v32, v31, v30
.LBB236_39:                             ;   in Loop: Header=BB236_12 Depth=1
	s_or_b32 exec_lo, exec_lo, s42
.LBB236_40:                             ;   in Loop: Header=BB236_12 Depth=1
	s_or_b32 exec_lo, exec_lo, s41
.LBB236_41:                             ;   in Loop: Header=BB236_12 Depth=1
	s_or_b32 exec_lo, exec_lo, s40
	v_lshrrev_b16 v1, 8, v1
	s_mov_b32 s40, exec_lo
	v_cmpx_ne_u16_e32 0, v1
	s_cbranch_execz .LBB236_49
; %bb.42:                               ;   in Loop: Header=BB236_12 Depth=1
	v_bfrev_b32_e32 v29, 1
	s_mov_b32 s41, exec_lo
	v_cmpx_ne_u16_e32 0x80, v1
	s_cbranch_execz .LBB236_48
; %bb.43:                               ;   in Loop: Header=BB236_12 Depth=1
	v_and_b32_sdwa v32, v1, v19 dst_sel:DWORD dst_unused:UNUSED_PAD src0_sel:WORD_0 src1_sel:DWORD
	v_mov_b32_e32 v29, 0x7c010000
	s_mov_b32 s42, exec_lo
	v_cmpx_ne_u32_e32 0x7f, v32
	s_cbranch_execz .LBB236_47
; %bb.44:                               ;   in Loop: Header=BB236_12 Depth=1
	v_and_b32_sdwa v29, v1, v20 dst_sel:DWORD dst_unused:UNUSED_PAD src0_sel:WORD_0 src1_sel:DWORD
	v_lshrrev_b32_e32 v31, 3, v32
	s_mov_b32 s43, exec_lo
	v_cmpx_gt_u32_e32 8, v32
; %bb.45:                               ;   in Loop: Header=BB236_12 Depth=1
	v_ffbh_u32_e32 v29, v29
	v_min_u32_e32 v29, 32, v29
	v_subrev_nc_u32_e32 v31, 28, v29
	v_lshlrev_b64 v[32:33], v31, v[1:2]
	v_sub_nc_u32_e32 v31, 29, v29
	v_and_b32_e32 v29, 7, v32
; %bb.46:                               ;   in Loop: Header=BB236_12 Depth=1
	s_or_b32 exec_lo, exec_lo, s43
	v_lshlrev_b32_sdwa v1, v21, v1 dst_sel:DWORD dst_unused:UNUSED_PAD src0_sel:DWORD src1_sel:WORD_0
	v_lshl_add_u32 v31, v31, 10, 0x2000
	v_lshlrev_b32_e32 v29, 23, v29
	v_and_or_b32 v1, 0x8000, v1, v31
	v_lshl_or_b32 v29, v1, 16, v29
.LBB236_47:                             ;   in Loop: Header=BB236_12 Depth=1
	s_or_b32 exec_lo, exec_lo, s42
.LBB236_48:                             ;   in Loop: Header=BB236_12 Depth=1
	s_or_b32 exec_lo, exec_lo, s41
.LBB236_49:                             ;   in Loop: Header=BB236_12 Depth=1
	s_or_b32 exec_lo, exec_lo, s40
	global_load_ushort v32, v[7:8], off offset:128
	v_mov_b32_e32 v31, 0
	s_waitcnt vmcnt(0)
	v_and_b32_e32 v1, 0xffff, v32
	v_cmp_ne_u16_sdwa s2, v32, v2 src0_sel:BYTE_0 src1_sel:DWORD
	v_mov_b32_e32 v32, 0
	s_and_saveexec_b32 s40, s2
	s_cbranch_execz .LBB236_57
; %bb.50:                               ;   in Loop: Header=BB236_12 Depth=1
	v_cmp_ne_u16_sdwa s2, v1, v18 src0_sel:BYTE_0 src1_sel:DWORD
	v_mov_b32_e32 v32, 0x8000
	s_and_saveexec_b32 s41, s2
	s_cbranch_execz .LBB236_56
; %bb.51:                               ;   in Loop: Header=BB236_12 Depth=1
	v_and_b32_e32 v34, 0x7f, v1
	v_mov_b32_e32 v32, 0x7c01
	s_mov_b32 s42, exec_lo
	v_cmpx_ne_u32_e32 0x7f, v34
	s_cbranch_execz .LBB236_55
; %bb.52:                               ;   in Loop: Header=BB236_12 Depth=1
	v_and_b32_e32 v32, 7, v1
	v_lshrrev_b32_e32 v33, 3, v34
	s_mov_b32 s43, exec_lo
	v_cmpx_gt_u32_e32 8, v34
; %bb.53:                               ;   in Loop: Header=BB236_12 Depth=1
	v_ffbh_u32_e32 v32, v32
	v_min_u32_e32 v34, 32, v32
	v_subrev_nc_u32_e32 v32, 28, v34
	v_lshlrev_b64 v[32:33], v32, v[1:2]
	v_sub_nc_u32_e32 v33, 29, v34
	v_and_b32_e32 v32, 7, v32
; %bb.54:                               ;   in Loop: Header=BB236_12 Depth=1
	s_or_b32 exec_lo, exec_lo, s43
	v_lshlrev_b32_e32 v34, 8, v1
	v_lshl_add_u32 v33, v33, 10, 0x2000
	v_lshlrev_b32_e32 v32, 7, v32
	v_and_b32_e32 v34, 0x8000, v34
	v_and_b32_e32 v33, 0xfc00, v33
	v_or3_b32 v32, v34, v33, v32
.LBB236_55:                             ;   in Loop: Header=BB236_12 Depth=1
	s_or_b32 exec_lo, exec_lo, s42
.LBB236_56:                             ;   in Loop: Header=BB236_12 Depth=1
	s_or_b32 exec_lo, exec_lo, s41
.LBB236_57:                             ;   in Loop: Header=BB236_12 Depth=1
	s_or_b32 exec_lo, exec_lo, s40
	v_lshrrev_b16 v1, 8, v1
	s_mov_b32 s40, exec_lo
	v_cmpx_ne_u16_e32 0, v1
	s_cbranch_execz .LBB236_65
; %bb.58:                               ;   in Loop: Header=BB236_12 Depth=1
	v_bfrev_b32_e32 v31, 1
	s_mov_b32 s41, exec_lo
	v_cmpx_ne_u16_e32 0x80, v1
	s_cbranch_execz .LBB236_64
; %bb.59:                               ;   in Loop: Header=BB236_12 Depth=1
	v_and_b32_sdwa v34, v1, v19 dst_sel:DWORD dst_unused:UNUSED_PAD src0_sel:WORD_0 src1_sel:DWORD
	v_mov_b32_e32 v31, 0x7c010000
	s_mov_b32 s42, exec_lo
	v_cmpx_ne_u32_e32 0x7f, v34
	s_cbranch_execz .LBB236_63
; %bb.60:                               ;   in Loop: Header=BB236_12 Depth=1
	v_and_b32_sdwa v31, v1, v20 dst_sel:DWORD dst_unused:UNUSED_PAD src0_sel:WORD_0 src1_sel:DWORD
	v_lshrrev_b32_e32 v33, 3, v34
	s_mov_b32 s43, exec_lo
	v_cmpx_gt_u32_e32 8, v34
; %bb.61:                               ;   in Loop: Header=BB236_12 Depth=1
	v_ffbh_u32_e32 v31, v31
	v_min_u32_e32 v31, 32, v31
	v_subrev_nc_u32_e32 v33, 28, v31
	v_lshlrev_b64 v[34:35], v33, v[1:2]
	v_sub_nc_u32_e32 v33, 29, v31
	v_and_b32_e32 v31, 7, v34
; %bb.62:                               ;   in Loop: Header=BB236_12 Depth=1
	s_or_b32 exec_lo, exec_lo, s43
	v_lshlrev_b32_sdwa v1, v21, v1 dst_sel:DWORD dst_unused:UNUSED_PAD src0_sel:DWORD src1_sel:WORD_0
	v_lshl_add_u32 v33, v33, 10, 0x2000
	v_lshlrev_b32_e32 v31, 23, v31
	v_and_or_b32 v1, 0x8000, v1, v33
	v_lshl_or_b32 v31, v1, 16, v31
.LBB236_63:                             ;   in Loop: Header=BB236_12 Depth=1
	s_or_b32 exec_lo, exec_lo, s42
.LBB236_64:                             ;   in Loop: Header=BB236_12 Depth=1
	s_or_b32 exec_lo, exec_lo, s41
.LBB236_65:                             ;   in Loop: Header=BB236_12 Depth=1
	s_or_b32 exec_lo, exec_lo, s40
	global_load_ushort v34, v[7:8], off offset:136
	v_mov_b32_e32 v33, 0
	s_waitcnt vmcnt(0)
	v_and_b32_e32 v1, 0xffff, v34
	v_cmp_ne_u16_sdwa s2, v34, v2 src0_sel:BYTE_0 src1_sel:DWORD
	v_mov_b32_e32 v34, 0
	s_and_saveexec_b32 s40, s2
	s_cbranch_execz .LBB236_73
; %bb.66:                               ;   in Loop: Header=BB236_12 Depth=1
	v_cmp_ne_u16_sdwa s2, v1, v18 src0_sel:BYTE_0 src1_sel:DWORD
	v_mov_b32_e32 v34, 0x8000
	s_and_saveexec_b32 s41, s2
	s_cbranch_execz .LBB236_72
; %bb.67:                               ;   in Loop: Header=BB236_12 Depth=1
	v_and_b32_e32 v36, 0x7f, v1
	v_mov_b32_e32 v34, 0x7c01
	s_mov_b32 s42, exec_lo
	v_cmpx_ne_u32_e32 0x7f, v36
	s_cbranch_execz .LBB236_71
; %bb.68:                               ;   in Loop: Header=BB236_12 Depth=1
	v_and_b32_e32 v34, 7, v1
	v_lshrrev_b32_e32 v35, 3, v36
	s_mov_b32 s43, exec_lo
	v_cmpx_gt_u32_e32 8, v36
; %bb.69:                               ;   in Loop: Header=BB236_12 Depth=1
	v_ffbh_u32_e32 v34, v34
	v_min_u32_e32 v36, 32, v34
	v_subrev_nc_u32_e32 v34, 28, v36
	v_lshlrev_b64 v[34:35], v34, v[1:2]
	v_sub_nc_u32_e32 v35, 29, v36
	v_and_b32_e32 v34, 7, v34
; %bb.70:                               ;   in Loop: Header=BB236_12 Depth=1
	s_or_b32 exec_lo, exec_lo, s43
	v_lshlrev_b32_e32 v36, 8, v1
	v_lshl_add_u32 v35, v35, 10, 0x2000
	v_lshlrev_b32_e32 v34, 7, v34
	v_and_b32_e32 v36, 0x8000, v36
	v_and_b32_e32 v35, 0xfc00, v35
	v_or3_b32 v34, v36, v35, v34
.LBB236_71:                             ;   in Loop: Header=BB236_12 Depth=1
	s_or_b32 exec_lo, exec_lo, s42
.LBB236_72:                             ;   in Loop: Header=BB236_12 Depth=1
	s_or_b32 exec_lo, exec_lo, s41
.LBB236_73:                             ;   in Loop: Header=BB236_12 Depth=1
	s_or_b32 exec_lo, exec_lo, s40
	v_lshrrev_b16 v1, 8, v1
	s_mov_b32 s40, exec_lo
	v_cmpx_ne_u16_e32 0, v1
	s_cbranch_execz .LBB236_81
; %bb.74:                               ;   in Loop: Header=BB236_12 Depth=1
	v_bfrev_b32_e32 v33, 1
	s_mov_b32 s41, exec_lo
	v_cmpx_ne_u16_e32 0x80, v1
	s_cbranch_execz .LBB236_80
; %bb.75:                               ;   in Loop: Header=BB236_12 Depth=1
	v_and_b32_sdwa v36, v1, v19 dst_sel:DWORD dst_unused:UNUSED_PAD src0_sel:WORD_0 src1_sel:DWORD
	v_mov_b32_e32 v33, 0x7c010000
	s_mov_b32 s42, exec_lo
	v_cmpx_ne_u32_e32 0x7f, v36
	s_cbranch_execz .LBB236_79
; %bb.76:                               ;   in Loop: Header=BB236_12 Depth=1
	v_and_b32_sdwa v33, v1, v20 dst_sel:DWORD dst_unused:UNUSED_PAD src0_sel:WORD_0 src1_sel:DWORD
	v_lshrrev_b32_e32 v35, 3, v36
	s_mov_b32 s43, exec_lo
	v_cmpx_gt_u32_e32 8, v36
; %bb.77:                               ;   in Loop: Header=BB236_12 Depth=1
	v_ffbh_u32_e32 v33, v33
	v_min_u32_e32 v33, 32, v33
	v_subrev_nc_u32_e32 v35, 28, v33
	v_lshlrev_b64 v[36:37], v35, v[1:2]
	v_sub_nc_u32_e32 v35, 29, v33
	v_and_b32_e32 v33, 7, v36
; %bb.78:                               ;   in Loop: Header=BB236_12 Depth=1
	s_or_b32 exec_lo, exec_lo, s43
	v_lshlrev_b32_sdwa v1, v21, v1 dst_sel:DWORD dst_unused:UNUSED_PAD src0_sel:DWORD src1_sel:WORD_0
	v_lshl_add_u32 v35, v35, 10, 0x2000
	v_lshlrev_b32_e32 v33, 23, v33
	v_and_or_b32 v1, 0x8000, v1, v35
	v_lshl_or_b32 v33, v1, 16, v33
.LBB236_79:                             ;   in Loop: Header=BB236_12 Depth=1
	s_or_b32 exec_lo, exec_lo, s42
.LBB236_80:                             ;   in Loop: Header=BB236_12 Depth=1
	s_or_b32 exec_lo, exec_lo, s41
.LBB236_81:                             ;   in Loop: Header=BB236_12 Depth=1
	s_or_b32 exec_lo, exec_lo, s40
	global_load_ushort v36, v[7:8], off offset:256
	v_mov_b32_e32 v35, 0
	s_waitcnt vmcnt(0)
	v_and_b32_e32 v1, 0xffff, v36
	v_cmp_ne_u16_sdwa s2, v36, v2 src0_sel:BYTE_0 src1_sel:DWORD
	v_mov_b32_e32 v36, 0
	s_and_saveexec_b32 s40, s2
	s_cbranch_execz .LBB236_89
; %bb.82:                               ;   in Loop: Header=BB236_12 Depth=1
	v_cmp_ne_u16_sdwa s2, v1, v18 src0_sel:BYTE_0 src1_sel:DWORD
	v_mov_b32_e32 v36, 0x8000
	s_and_saveexec_b32 s41, s2
	s_cbranch_execz .LBB236_88
; %bb.83:                               ;   in Loop: Header=BB236_12 Depth=1
	v_and_b32_e32 v38, 0x7f, v1
	v_mov_b32_e32 v36, 0x7c01
	s_mov_b32 s42, exec_lo
	v_cmpx_ne_u32_e32 0x7f, v38
	s_cbranch_execz .LBB236_87
; %bb.84:                               ;   in Loop: Header=BB236_12 Depth=1
	v_and_b32_e32 v36, 7, v1
	v_lshrrev_b32_e32 v37, 3, v38
	s_mov_b32 s43, exec_lo
	v_cmpx_gt_u32_e32 8, v38
; %bb.85:                               ;   in Loop: Header=BB236_12 Depth=1
	v_ffbh_u32_e32 v36, v36
	v_min_u32_e32 v38, 32, v36
	v_subrev_nc_u32_e32 v36, 28, v38
	v_lshlrev_b64 v[36:37], v36, v[1:2]
	v_sub_nc_u32_e32 v37, 29, v38
	v_and_b32_e32 v36, 7, v36
; %bb.86:                               ;   in Loop: Header=BB236_12 Depth=1
	s_or_b32 exec_lo, exec_lo, s43
	v_lshlrev_b32_e32 v38, 8, v1
	v_lshl_add_u32 v37, v37, 10, 0x2000
	v_lshlrev_b32_e32 v36, 7, v36
	v_and_b32_e32 v38, 0x8000, v38
	v_and_b32_e32 v37, 0xfc00, v37
	v_or3_b32 v36, v38, v37, v36
.LBB236_87:                             ;   in Loop: Header=BB236_12 Depth=1
	s_or_b32 exec_lo, exec_lo, s42
.LBB236_88:                             ;   in Loop: Header=BB236_12 Depth=1
	s_or_b32 exec_lo, exec_lo, s41
.LBB236_89:                             ;   in Loop: Header=BB236_12 Depth=1
	s_or_b32 exec_lo, exec_lo, s40
	v_lshrrev_b16 v1, 8, v1
	s_mov_b32 s40, exec_lo
	v_cmpx_ne_u16_e32 0, v1
	s_cbranch_execz .LBB236_97
; %bb.90:                               ;   in Loop: Header=BB236_12 Depth=1
	v_bfrev_b32_e32 v35, 1
	s_mov_b32 s41, exec_lo
	v_cmpx_ne_u16_e32 0x80, v1
	s_cbranch_execz .LBB236_96
; %bb.91:                               ;   in Loop: Header=BB236_12 Depth=1
	v_and_b32_sdwa v38, v1, v19 dst_sel:DWORD dst_unused:UNUSED_PAD src0_sel:WORD_0 src1_sel:DWORD
	v_mov_b32_e32 v35, 0x7c010000
	s_mov_b32 s42, exec_lo
	v_cmpx_ne_u32_e32 0x7f, v38
	s_cbranch_execz .LBB236_95
; %bb.92:                               ;   in Loop: Header=BB236_12 Depth=1
	v_and_b32_sdwa v35, v1, v20 dst_sel:DWORD dst_unused:UNUSED_PAD src0_sel:WORD_0 src1_sel:DWORD
	v_lshrrev_b32_e32 v37, 3, v38
	s_mov_b32 s43, exec_lo
	v_cmpx_gt_u32_e32 8, v38
; %bb.93:                               ;   in Loop: Header=BB236_12 Depth=1
	v_ffbh_u32_e32 v35, v35
	v_min_u32_e32 v35, 32, v35
	v_subrev_nc_u32_e32 v37, 28, v35
	v_lshlrev_b64 v[38:39], v37, v[1:2]
	v_sub_nc_u32_e32 v37, 29, v35
	v_and_b32_e32 v35, 7, v38
; %bb.94:                               ;   in Loop: Header=BB236_12 Depth=1
	s_or_b32 exec_lo, exec_lo, s43
	v_lshlrev_b32_sdwa v1, v21, v1 dst_sel:DWORD dst_unused:UNUSED_PAD src0_sel:DWORD src1_sel:WORD_0
	v_lshl_add_u32 v37, v37, 10, 0x2000
	v_lshlrev_b32_e32 v35, 23, v35
	v_and_or_b32 v1, 0x8000, v1, v37
	v_lshl_or_b32 v35, v1, 16, v35
.LBB236_95:                             ;   in Loop: Header=BB236_12 Depth=1
	s_or_b32 exec_lo, exec_lo, s42
.LBB236_96:                             ;   in Loop: Header=BB236_12 Depth=1
	s_or_b32 exec_lo, exec_lo, s41
.LBB236_97:                             ;   in Loop: Header=BB236_12 Depth=1
	s_or_b32 exec_lo, exec_lo, s40
	global_load_ushort v38, v[7:8], off offset:264
	v_mov_b32_e32 v37, 0
	s_waitcnt vmcnt(0)
	v_and_b32_e32 v1, 0xffff, v38
	v_cmp_ne_u16_sdwa s2, v38, v2 src0_sel:BYTE_0 src1_sel:DWORD
	v_mov_b32_e32 v38, 0
	s_and_saveexec_b32 s40, s2
	s_cbranch_execz .LBB236_105
; %bb.98:                               ;   in Loop: Header=BB236_12 Depth=1
	v_cmp_ne_u16_sdwa s2, v1, v18 src0_sel:BYTE_0 src1_sel:DWORD
	v_mov_b32_e32 v38, 0x8000
	s_and_saveexec_b32 s41, s2
	s_cbranch_execz .LBB236_104
; %bb.99:                               ;   in Loop: Header=BB236_12 Depth=1
	v_and_b32_e32 v40, 0x7f, v1
	v_mov_b32_e32 v38, 0x7c01
	s_mov_b32 s42, exec_lo
	v_cmpx_ne_u32_e32 0x7f, v40
	s_cbranch_execz .LBB236_103
; %bb.100:                              ;   in Loop: Header=BB236_12 Depth=1
	v_and_b32_e32 v38, 7, v1
	v_lshrrev_b32_e32 v39, 3, v40
	s_mov_b32 s43, exec_lo
	v_cmpx_gt_u32_e32 8, v40
; %bb.101:                              ;   in Loop: Header=BB236_12 Depth=1
	v_ffbh_u32_e32 v38, v38
	v_min_u32_e32 v40, 32, v38
	v_subrev_nc_u32_e32 v38, 28, v40
	v_lshlrev_b64 v[38:39], v38, v[1:2]
	v_sub_nc_u32_e32 v39, 29, v40
	v_and_b32_e32 v38, 7, v38
; %bb.102:                              ;   in Loop: Header=BB236_12 Depth=1
	s_or_b32 exec_lo, exec_lo, s43
	v_lshlrev_b32_e32 v40, 8, v1
	v_lshl_add_u32 v39, v39, 10, 0x2000
	v_lshlrev_b32_e32 v38, 7, v38
	v_and_b32_e32 v40, 0x8000, v40
	v_and_b32_e32 v39, 0xfc00, v39
	v_or3_b32 v38, v40, v39, v38
.LBB236_103:                            ;   in Loop: Header=BB236_12 Depth=1
	s_or_b32 exec_lo, exec_lo, s42
.LBB236_104:                            ;   in Loop: Header=BB236_12 Depth=1
	s_or_b32 exec_lo, exec_lo, s41
.LBB236_105:                            ;   in Loop: Header=BB236_12 Depth=1
	s_or_b32 exec_lo, exec_lo, s40
	v_lshrrev_b16 v1, 8, v1
	s_mov_b32 s40, exec_lo
	v_cmpx_ne_u16_e32 0, v1
	s_cbranch_execz .LBB236_113
; %bb.106:                              ;   in Loop: Header=BB236_12 Depth=1
	v_bfrev_b32_e32 v37, 1
	s_mov_b32 s41, exec_lo
	v_cmpx_ne_u16_e32 0x80, v1
	s_cbranch_execz .LBB236_112
; %bb.107:                              ;   in Loop: Header=BB236_12 Depth=1
	v_and_b32_sdwa v40, v1, v19 dst_sel:DWORD dst_unused:UNUSED_PAD src0_sel:WORD_0 src1_sel:DWORD
	v_mov_b32_e32 v37, 0x7c010000
	s_mov_b32 s42, exec_lo
	v_cmpx_ne_u32_e32 0x7f, v40
	s_cbranch_execz .LBB236_111
; %bb.108:                              ;   in Loop: Header=BB236_12 Depth=1
	v_and_b32_sdwa v37, v1, v20 dst_sel:DWORD dst_unused:UNUSED_PAD src0_sel:WORD_0 src1_sel:DWORD
	v_lshrrev_b32_e32 v39, 3, v40
	s_mov_b32 s43, exec_lo
	v_cmpx_gt_u32_e32 8, v40
; %bb.109:                              ;   in Loop: Header=BB236_12 Depth=1
	v_ffbh_u32_e32 v37, v37
	v_min_u32_e32 v37, 32, v37
	v_subrev_nc_u32_e32 v39, 28, v37
	v_lshlrev_b64 v[40:41], v39, v[1:2]
	v_sub_nc_u32_e32 v39, 29, v37
	v_and_b32_e32 v37, 7, v40
; %bb.110:                              ;   in Loop: Header=BB236_12 Depth=1
	s_or_b32 exec_lo, exec_lo, s43
	v_lshlrev_b32_sdwa v1, v21, v1 dst_sel:DWORD dst_unused:UNUSED_PAD src0_sel:DWORD src1_sel:WORD_0
	v_lshl_add_u32 v39, v39, 10, 0x2000
	v_lshlrev_b32_e32 v37, 23, v37
	v_and_or_b32 v1, 0x8000, v1, v39
	v_lshl_or_b32 v37, v1, 16, v37
.LBB236_111:                            ;   in Loop: Header=BB236_12 Depth=1
	s_or_b32 exec_lo, exec_lo, s42
.LBB236_112:                            ;   in Loop: Header=BB236_12 Depth=1
	s_or_b32 exec_lo, exec_lo, s41
.LBB236_113:                            ;   in Loop: Header=BB236_12 Depth=1
	s_or_b32 exec_lo, exec_lo, s40
	global_load_ushort v40, v[7:8], off offset:384
	v_mov_b32_e32 v39, 0
	s_waitcnt vmcnt(0)
	v_and_b32_e32 v1, 0xffff, v40
	v_cmp_ne_u16_sdwa s2, v40, v2 src0_sel:BYTE_0 src1_sel:DWORD
	v_mov_b32_e32 v40, 0
	s_and_saveexec_b32 s40, s2
	s_cbranch_execz .LBB236_121
; %bb.114:                              ;   in Loop: Header=BB236_12 Depth=1
	v_cmp_ne_u16_sdwa s2, v1, v18 src0_sel:BYTE_0 src1_sel:DWORD
	v_mov_b32_e32 v40, 0x8000
	s_and_saveexec_b32 s41, s2
	s_cbranch_execz .LBB236_120
; %bb.115:                              ;   in Loop: Header=BB236_12 Depth=1
	v_and_b32_e32 v42, 0x7f, v1
	v_mov_b32_e32 v40, 0x7c01
	s_mov_b32 s42, exec_lo
	v_cmpx_ne_u32_e32 0x7f, v42
	s_cbranch_execz .LBB236_119
; %bb.116:                              ;   in Loop: Header=BB236_12 Depth=1
	v_and_b32_e32 v40, 7, v1
	v_lshrrev_b32_e32 v41, 3, v42
	s_mov_b32 s43, exec_lo
	v_cmpx_gt_u32_e32 8, v42
; %bb.117:                              ;   in Loop: Header=BB236_12 Depth=1
	v_ffbh_u32_e32 v40, v40
	v_min_u32_e32 v42, 32, v40
	v_subrev_nc_u32_e32 v40, 28, v42
	v_lshlrev_b64 v[40:41], v40, v[1:2]
	v_sub_nc_u32_e32 v41, 29, v42
	v_and_b32_e32 v40, 7, v40
; %bb.118:                              ;   in Loop: Header=BB236_12 Depth=1
	s_or_b32 exec_lo, exec_lo, s43
	v_lshlrev_b32_e32 v42, 8, v1
	v_lshl_add_u32 v41, v41, 10, 0x2000
	v_lshlrev_b32_e32 v40, 7, v40
	v_and_b32_e32 v42, 0x8000, v42
	v_and_b32_e32 v41, 0xfc00, v41
	v_or3_b32 v40, v42, v41, v40
.LBB236_119:                            ;   in Loop: Header=BB236_12 Depth=1
	s_or_b32 exec_lo, exec_lo, s42
.LBB236_120:                            ;   in Loop: Header=BB236_12 Depth=1
	s_or_b32 exec_lo, exec_lo, s41
.LBB236_121:                            ;   in Loop: Header=BB236_12 Depth=1
	s_or_b32 exec_lo, exec_lo, s40
	v_lshrrev_b16 v1, 8, v1
	s_mov_b32 s40, exec_lo
	v_cmpx_ne_u16_e32 0, v1
	s_cbranch_execz .LBB236_129
; %bb.122:                              ;   in Loop: Header=BB236_12 Depth=1
	v_bfrev_b32_e32 v39, 1
	s_mov_b32 s41, exec_lo
	v_cmpx_ne_u16_e32 0x80, v1
	s_cbranch_execz .LBB236_128
; %bb.123:                              ;   in Loop: Header=BB236_12 Depth=1
	v_and_b32_sdwa v42, v1, v19 dst_sel:DWORD dst_unused:UNUSED_PAD src0_sel:WORD_0 src1_sel:DWORD
	v_mov_b32_e32 v39, 0x7c010000
	s_mov_b32 s42, exec_lo
	v_cmpx_ne_u32_e32 0x7f, v42
	s_cbranch_execz .LBB236_127
; %bb.124:                              ;   in Loop: Header=BB236_12 Depth=1
	v_and_b32_sdwa v39, v1, v20 dst_sel:DWORD dst_unused:UNUSED_PAD src0_sel:WORD_0 src1_sel:DWORD
	v_lshrrev_b32_e32 v41, 3, v42
	s_mov_b32 s43, exec_lo
	v_cmpx_gt_u32_e32 8, v42
; %bb.125:                              ;   in Loop: Header=BB236_12 Depth=1
	v_ffbh_u32_e32 v39, v39
	v_min_u32_e32 v39, 32, v39
	v_subrev_nc_u32_e32 v41, 28, v39
	v_lshlrev_b64 v[42:43], v41, v[1:2]
	v_sub_nc_u32_e32 v41, 29, v39
	v_and_b32_e32 v39, 7, v42
; %bb.126:                              ;   in Loop: Header=BB236_12 Depth=1
	s_or_b32 exec_lo, exec_lo, s43
	v_lshlrev_b32_sdwa v1, v21, v1 dst_sel:DWORD dst_unused:UNUSED_PAD src0_sel:DWORD src1_sel:WORD_0
	v_lshl_add_u32 v41, v41, 10, 0x2000
	v_lshlrev_b32_e32 v39, 23, v39
	v_and_or_b32 v1, 0x8000, v1, v41
	v_lshl_or_b32 v39, v1, 16, v39
.LBB236_127:                            ;   in Loop: Header=BB236_12 Depth=1
	s_or_b32 exec_lo, exec_lo, s42
.LBB236_128:                            ;   in Loop: Header=BB236_12 Depth=1
	s_or_b32 exec_lo, exec_lo, s41
.LBB236_129:                            ;   in Loop: Header=BB236_12 Depth=1
	s_or_b32 exec_lo, exec_lo, s40
	global_load_ushort v42, v[7:8], off offset:392
	v_mov_b32_e32 v41, 0
	s_waitcnt vmcnt(0)
	v_and_b32_e32 v1, 0xffff, v42
	v_cmp_ne_u16_sdwa s2, v42, v2 src0_sel:BYTE_0 src1_sel:DWORD
	v_mov_b32_e32 v42, 0
	s_and_saveexec_b32 s40, s2
	s_cbranch_execz .LBB236_137
; %bb.130:                              ;   in Loop: Header=BB236_12 Depth=1
	v_cmp_ne_u16_sdwa s2, v1, v18 src0_sel:BYTE_0 src1_sel:DWORD
	v_mov_b32_e32 v42, 0x8000
	s_and_saveexec_b32 s41, s2
	s_cbranch_execz .LBB236_136
; %bb.131:                              ;   in Loop: Header=BB236_12 Depth=1
	v_and_b32_e32 v44, 0x7f, v1
	v_mov_b32_e32 v42, 0x7c01
	s_mov_b32 s42, exec_lo
	v_cmpx_ne_u32_e32 0x7f, v44
	s_cbranch_execz .LBB236_135
; %bb.132:                              ;   in Loop: Header=BB236_12 Depth=1
	v_and_b32_e32 v42, 7, v1
	v_lshrrev_b32_e32 v43, 3, v44
	s_mov_b32 s43, exec_lo
	v_cmpx_gt_u32_e32 8, v44
; %bb.133:                              ;   in Loop: Header=BB236_12 Depth=1
	v_ffbh_u32_e32 v42, v42
	v_min_u32_e32 v44, 32, v42
	v_subrev_nc_u32_e32 v42, 28, v44
	v_lshlrev_b64 v[42:43], v42, v[1:2]
	v_sub_nc_u32_e32 v43, 29, v44
	v_and_b32_e32 v42, 7, v42
; %bb.134:                              ;   in Loop: Header=BB236_12 Depth=1
	s_or_b32 exec_lo, exec_lo, s43
	v_lshlrev_b32_e32 v44, 8, v1
	v_lshl_add_u32 v43, v43, 10, 0x2000
	v_lshlrev_b32_e32 v42, 7, v42
	v_and_b32_e32 v44, 0x8000, v44
	v_and_b32_e32 v43, 0xfc00, v43
	v_or3_b32 v42, v44, v43, v42
.LBB236_135:                            ;   in Loop: Header=BB236_12 Depth=1
	s_or_b32 exec_lo, exec_lo, s42
.LBB236_136:                            ;   in Loop: Header=BB236_12 Depth=1
	s_or_b32 exec_lo, exec_lo, s41
.LBB236_137:                            ;   in Loop: Header=BB236_12 Depth=1
	s_or_b32 exec_lo, exec_lo, s40
	v_lshrrev_b16 v1, 8, v1
	s_mov_b32 s40, exec_lo
	v_cmpx_ne_u16_e32 0, v1
	s_cbranch_execz .LBB236_145
; %bb.138:                              ;   in Loop: Header=BB236_12 Depth=1
	v_bfrev_b32_e32 v41, 1
	s_mov_b32 s41, exec_lo
	v_cmpx_ne_u16_e32 0x80, v1
	s_cbranch_execz .LBB236_144
; %bb.139:                              ;   in Loop: Header=BB236_12 Depth=1
	v_and_b32_sdwa v44, v1, v19 dst_sel:DWORD dst_unused:UNUSED_PAD src0_sel:WORD_0 src1_sel:DWORD
	v_mov_b32_e32 v41, 0x7c010000
	s_mov_b32 s42, exec_lo
	v_cmpx_ne_u32_e32 0x7f, v44
	s_cbranch_execz .LBB236_143
; %bb.140:                              ;   in Loop: Header=BB236_12 Depth=1
	v_and_b32_sdwa v41, v1, v20 dst_sel:DWORD dst_unused:UNUSED_PAD src0_sel:WORD_0 src1_sel:DWORD
	v_lshrrev_b32_e32 v43, 3, v44
	s_mov_b32 s43, exec_lo
	v_cmpx_gt_u32_e32 8, v44
; %bb.141:                              ;   in Loop: Header=BB236_12 Depth=1
	v_ffbh_u32_e32 v41, v41
	v_min_u32_e32 v41, 32, v41
	v_subrev_nc_u32_e32 v43, 28, v41
	v_lshlrev_b64 v[44:45], v43, v[1:2]
	v_sub_nc_u32_e32 v43, 29, v41
	v_and_b32_e32 v41, 7, v44
; %bb.142:                              ;   in Loop: Header=BB236_12 Depth=1
	s_or_b32 exec_lo, exec_lo, s43
	v_lshlrev_b32_sdwa v1, v21, v1 dst_sel:DWORD dst_unused:UNUSED_PAD src0_sel:DWORD src1_sel:WORD_0
	v_lshl_add_u32 v43, v43, 10, 0x2000
	v_lshlrev_b32_e32 v41, 23, v41
	v_and_or_b32 v1, 0x8000, v1, v43
	v_lshl_or_b32 v41, v1, 16, v41
.LBB236_143:                            ;   in Loop: Header=BB236_12 Depth=1
	s_or_b32 exec_lo, exec_lo, s42
.LBB236_144:                            ;   in Loop: Header=BB236_12 Depth=1
	s_or_b32 exec_lo, exec_lo, s41
.LBB236_145:                            ;   in Loop: Header=BB236_12 Depth=1
	s_or_b32 exec_lo, exec_lo, s40
	global_load_ushort v44, v[7:8], off offset:512
	v_mov_b32_e32 v43, 0
	s_waitcnt vmcnt(0)
	v_and_b32_e32 v1, 0xffff, v44
	v_cmp_ne_u16_sdwa s2, v44, v2 src0_sel:BYTE_0 src1_sel:DWORD
	v_mov_b32_e32 v44, 0
	s_and_saveexec_b32 s40, s2
	s_cbranch_execz .LBB236_153
; %bb.146:                              ;   in Loop: Header=BB236_12 Depth=1
	v_cmp_ne_u16_sdwa s2, v1, v18 src0_sel:BYTE_0 src1_sel:DWORD
	v_mov_b32_e32 v44, 0x8000
	s_and_saveexec_b32 s41, s2
	s_cbranch_execz .LBB236_152
; %bb.147:                              ;   in Loop: Header=BB236_12 Depth=1
	v_and_b32_e32 v46, 0x7f, v1
	v_mov_b32_e32 v44, 0x7c01
	s_mov_b32 s42, exec_lo
	v_cmpx_ne_u32_e32 0x7f, v46
	s_cbranch_execz .LBB236_151
; %bb.148:                              ;   in Loop: Header=BB236_12 Depth=1
	v_and_b32_e32 v44, 7, v1
	v_lshrrev_b32_e32 v45, 3, v46
	s_mov_b32 s43, exec_lo
	v_cmpx_gt_u32_e32 8, v46
; %bb.149:                              ;   in Loop: Header=BB236_12 Depth=1
	v_ffbh_u32_e32 v44, v44
	v_min_u32_e32 v46, 32, v44
	v_subrev_nc_u32_e32 v44, 28, v46
	v_lshlrev_b64 v[44:45], v44, v[1:2]
	v_sub_nc_u32_e32 v45, 29, v46
	v_and_b32_e32 v44, 7, v44
; %bb.150:                              ;   in Loop: Header=BB236_12 Depth=1
	s_or_b32 exec_lo, exec_lo, s43
	v_lshlrev_b32_e32 v46, 8, v1
	v_lshl_add_u32 v45, v45, 10, 0x2000
	v_lshlrev_b32_e32 v44, 7, v44
	v_and_b32_e32 v46, 0x8000, v46
	v_and_b32_e32 v45, 0xfc00, v45
	v_or3_b32 v44, v46, v45, v44
.LBB236_151:                            ;   in Loop: Header=BB236_12 Depth=1
	s_or_b32 exec_lo, exec_lo, s42
.LBB236_152:                            ;   in Loop: Header=BB236_12 Depth=1
	s_or_b32 exec_lo, exec_lo, s41
.LBB236_153:                            ;   in Loop: Header=BB236_12 Depth=1
	s_or_b32 exec_lo, exec_lo, s40
	v_lshrrev_b16 v1, 8, v1
	s_mov_b32 s40, exec_lo
	v_cmpx_ne_u16_e32 0, v1
	s_cbranch_execz .LBB236_161
; %bb.154:                              ;   in Loop: Header=BB236_12 Depth=1
	v_bfrev_b32_e32 v43, 1
	s_mov_b32 s41, exec_lo
	v_cmpx_ne_u16_e32 0x80, v1
	s_cbranch_execz .LBB236_160
; %bb.155:                              ;   in Loop: Header=BB236_12 Depth=1
	v_and_b32_sdwa v46, v1, v19 dst_sel:DWORD dst_unused:UNUSED_PAD src0_sel:WORD_0 src1_sel:DWORD
	v_mov_b32_e32 v43, 0x7c010000
	s_mov_b32 s42, exec_lo
	v_cmpx_ne_u32_e32 0x7f, v46
	s_cbranch_execz .LBB236_159
; %bb.156:                              ;   in Loop: Header=BB236_12 Depth=1
	v_and_b32_sdwa v43, v1, v20 dst_sel:DWORD dst_unused:UNUSED_PAD src0_sel:WORD_0 src1_sel:DWORD
	v_lshrrev_b32_e32 v45, 3, v46
	s_mov_b32 s43, exec_lo
	v_cmpx_gt_u32_e32 8, v46
; %bb.157:                              ;   in Loop: Header=BB236_12 Depth=1
	v_ffbh_u32_e32 v43, v43
	v_min_u32_e32 v43, 32, v43
	v_subrev_nc_u32_e32 v45, 28, v43
	v_lshlrev_b64 v[46:47], v45, v[1:2]
	v_sub_nc_u32_e32 v45, 29, v43
	v_and_b32_e32 v43, 7, v46
; %bb.158:                              ;   in Loop: Header=BB236_12 Depth=1
	s_or_b32 exec_lo, exec_lo, s43
	v_lshlrev_b32_sdwa v1, v21, v1 dst_sel:DWORD dst_unused:UNUSED_PAD src0_sel:DWORD src1_sel:WORD_0
	v_lshl_add_u32 v45, v45, 10, 0x2000
	v_lshlrev_b32_e32 v43, 23, v43
	v_and_or_b32 v1, 0x8000, v1, v45
	v_lshl_or_b32 v43, v1, 16, v43
.LBB236_159:                            ;   in Loop: Header=BB236_12 Depth=1
	s_or_b32 exec_lo, exec_lo, s42
.LBB236_160:                            ;   in Loop: Header=BB236_12 Depth=1
	s_or_b32 exec_lo, exec_lo, s41
.LBB236_161:                            ;   in Loop: Header=BB236_12 Depth=1
	s_or_b32 exec_lo, exec_lo, s40
	global_load_ushort v8, v[7:8], off offset:520
	v_mov_b32_e32 v7, 0
	s_waitcnt vmcnt(0)
	v_and_b32_e32 v1, 0xffff, v8
	v_cmp_ne_u16_sdwa s2, v8, v2 src0_sel:BYTE_0 src1_sel:DWORD
	v_mov_b32_e32 v8, 0
	s_and_saveexec_b32 s40, s2
	s_cbranch_execz .LBB236_169
; %bb.162:                              ;   in Loop: Header=BB236_12 Depth=1
	v_cmp_ne_u16_sdwa s2, v1, v18 src0_sel:BYTE_0 src1_sel:DWORD
	v_mov_b32_e32 v8, 0x8000
	s_and_saveexec_b32 s41, s2
	s_cbranch_execz .LBB236_168
; %bb.163:                              ;   in Loop: Header=BB236_12 Depth=1
	v_and_b32_e32 v46, 0x7f, v1
	v_mov_b32_e32 v8, 0x7c01
	s_mov_b32 s42, exec_lo
	v_cmpx_ne_u32_e32 0x7f, v46
	s_cbranch_execz .LBB236_167
; %bb.164:                              ;   in Loop: Header=BB236_12 Depth=1
	v_and_b32_e32 v8, 7, v1
	v_lshrrev_b32_e32 v45, 3, v46
	s_mov_b32 s43, exec_lo
	v_cmpx_gt_u32_e32 8, v46
; %bb.165:                              ;   in Loop: Header=BB236_12 Depth=1
	v_ffbh_u32_e32 v8, v8
	v_min_u32_e32 v8, 32, v8
	v_subrev_nc_u32_e32 v45, 28, v8
	v_lshlrev_b64 v[46:47], v45, v[1:2]
	v_sub_nc_u32_e32 v45, 29, v8
	v_and_b32_e32 v8, 7, v46
; %bb.166:                              ;   in Loop: Header=BB236_12 Depth=1
	s_or_b32 exec_lo, exec_lo, s43
	v_lshlrev_b32_e32 v46, 8, v1
	v_lshl_add_u32 v45, v45, 10, 0x2000
	v_lshlrev_b32_e32 v8, 7, v8
	v_and_b32_e32 v46, 0x8000, v46
	v_and_b32_e32 v45, 0xfc00, v45
	v_or3_b32 v8, v46, v45, v8
.LBB236_167:                            ;   in Loop: Header=BB236_12 Depth=1
	s_or_b32 exec_lo, exec_lo, s42
.LBB236_168:                            ;   in Loop: Header=BB236_12 Depth=1
	s_or_b32 exec_lo, exec_lo, s41
.LBB236_169:                            ;   in Loop: Header=BB236_12 Depth=1
	s_or_b32 exec_lo, exec_lo, s40
	v_lshrrev_b16 v1, 8, v1
	s_mov_b32 s40, exec_lo
	v_cmpx_ne_u16_e32 0, v1
	s_cbranch_execz .LBB236_177
; %bb.170:                              ;   in Loop: Header=BB236_12 Depth=1
	v_bfrev_b32_e32 v7, 1
	s_mov_b32 s41, exec_lo
	v_cmpx_ne_u16_e32 0x80, v1
	s_cbranch_execz .LBB236_176
; %bb.171:                              ;   in Loop: Header=BB236_12 Depth=1
	v_and_b32_sdwa v46, v1, v19 dst_sel:DWORD dst_unused:UNUSED_PAD src0_sel:WORD_0 src1_sel:DWORD
	v_mov_b32_e32 v7, 0x7c010000
	s_mov_b32 s42, exec_lo
	v_cmpx_ne_u32_e32 0x7f, v46
	s_cbranch_execz .LBB236_175
; %bb.172:                              ;   in Loop: Header=BB236_12 Depth=1
	v_and_b32_sdwa v7, v1, v20 dst_sel:DWORD dst_unused:UNUSED_PAD src0_sel:WORD_0 src1_sel:DWORD
	v_lshrrev_b32_e32 v45, 3, v46
	s_mov_b32 s43, exec_lo
	v_cmpx_gt_u32_e32 8, v46
; %bb.173:                              ;   in Loop: Header=BB236_12 Depth=1
	v_ffbh_u32_e32 v7, v7
	v_min_u32_e32 v7, 32, v7
	v_subrev_nc_u32_e32 v45, 28, v7
	v_lshlrev_b64 v[46:47], v45, v[1:2]
	v_sub_nc_u32_e32 v45, 29, v7
	v_and_b32_e32 v7, 7, v46
; %bb.174:                              ;   in Loop: Header=BB236_12 Depth=1
	s_or_b32 exec_lo, exec_lo, s43
	v_lshlrev_b32_sdwa v1, v21, v1 dst_sel:DWORD dst_unused:UNUSED_PAD src0_sel:DWORD src1_sel:WORD_0
	v_lshl_add_u32 v45, v45, 10, 0x2000
	v_lshlrev_b32_e32 v7, 23, v7
	v_and_or_b32 v1, 0x8000, v1, v45
	v_lshl_or_b32 v7, v1, 16, v7
.LBB236_175:                            ;   in Loop: Header=BB236_12 Depth=1
	s_or_b32 exec_lo, exec_lo, s42
.LBB236_176:                            ;   in Loop: Header=BB236_12 Depth=1
	s_or_b32 exec_lo, exec_lo, s41
.LBB236_177:                            ;   in Loop: Header=BB236_12 Depth=1
	s_or_b32 exec_lo, exec_lo, s40
	ds_read_b32 v1, v14
	v_or_b32_e32 v28, v27, v28
	v_fma_mixlo_f16 v27, v26, v27, 0 op_sel:[0,1,0] op_sel_hi:[0,1,0]
	v_or_b32_e32 v30, v29, v30
	v_fma_mixlo_f16 v29, v26, v29, 0 op_sel:[0,1,0] op_sel_hi:[0,1,0]
	v_or_b32_e32 v32, v31, v32
	v_fma_mixlo_f16 v28, v26, v28, 0 op_sel_hi:[0,1,0]
	v_and_b32_e32 v47, 0xffff, v27
	v_fma_mixlo_f16 v30, v26, v30, 0 op_sel_hi:[0,1,0]
	v_and_b32_e32 v49, 0xffff, v29
	;; [unrolled: 2-line block ×3, first 2 shown]
	v_fma_mixlo_f16 v31, v26, v31, 0 op_sel:[0,1,0] op_sel_hi:[0,1,0]
	v_and_b32_e32 v48, 0xffff, v30
	v_or_b32_e32 v34, v33, v34
	v_and_b32_e32 v50, 0xffff, v32
	v_fma_mixlo_f16 v33, v26, v33, 0 op_sel:[0,1,0] op_sel_hi:[0,1,0]
	v_and_b32_e32 v51, 0xffff, v31
	v_or_b32_e32 v36, v35, v36
	v_fma_mixlo_f16 v34, v26, v34, 0 op_sel_hi:[0,1,0]
	s_waitcnt lgkmcnt(0)
	v_and_b32_e32 v45, 0xffff, v1
	v_lshrrev_b32_e32 v46, 16, v1
	;;#ASMSTART
	v_cvt_f32_f16 v1, v45;
	;;#ASMEND
	;;#ASMSTART
	v_cvt_f32_f16 v27, v46;
	;;#ASMEND
	;; [unrolled: 3-line block ×4, first 2 shown]
	ds_read_b32 v46, v14 offset:4
	v_and_b32_e32 v52, 0xffff, v34
	v_and_b32_e32 v53, 0xffff, v33
	v_fma_mixlo_f16 v36, v26, v36, 0 op_sel_hi:[0,1,0]
	v_fma_mixlo_f16 v35, v26, v35, 0 op_sel:[0,1,0] op_sel_hi:[0,1,0]
	v_or_b32_e32 v38, v37, v38
	v_fma_mixlo_f16 v37, v26, v37, 0 op_sel:[0,1,0] op_sel_hi:[0,1,0]
	v_or_b32_e32 v40, v39, v40
	v_and_b32_e32 v54, 0xffff, v36
	v_and_b32_e32 v55, 0xffff, v35
	v_fma_mixlo_f16 v38, v26, v38, 0 op_sel_hi:[0,1,0]
	v_and_b32_e32 v57, 0xffff, v37
	v_fma_mixlo_f16 v40, v26, v40, 0 op_sel_hi:[0,1,0]
	v_fma_mixlo_f16 v39, v26, v39, 0 op_sel:[0,1,0] op_sel_hi:[0,1,0]
	v_or_b32_e32 v42, v41, v42
	v_and_b32_e32 v56, 0xffff, v38
	v_fma_mixlo_f16 v41, v26, v41, 0 op_sel:[0,1,0] op_sel_hi:[0,1,0]
	v_and_b32_e32 v58, 0xffff, v40
	v_and_b32_e32 v59, 0xffff, v39
	v_fma_mixlo_f16 v42, v26, v42, 0 op_sel_hi:[0,1,0]
	s_waitcnt lgkmcnt(0)
	v_and_b32_e32 v47, 0xffff, v46
	v_lshrrev_b32_e32 v46, 16, v46
	;;#ASMSTART
	v_cvt_f32_f16 v29, v47;
	;;#ASMEND
	;;#ASMSTART
	v_cvt_f32_f16 v30, v46;
	;;#ASMEND
	;;#ASMSTART
	v_cvt_f32_f16 v46, v48;
	;;#ASMEND
	;;#ASMSTART
	v_cvt_f32_f16 v47, v49;
	;;#ASMEND
	ds_read_b32 v48, v14 offset:8
	v_mul_f32_e32 v29, v29, v46
	v_mul_f32_e32 v30, v30, v47
	v_and_b32_e32 v60, 0xffff, v42
	v_and_b32_e32 v61, 0xffff, v41
	v_or_b32_e32 v44, v43, v44
	v_fmac_f32_e32 v29, v1, v28
	v_fmac_f32_e32 v30, v27, v45
	v_fma_mixlo_f16 v43, v26, v43, 0 op_sel:[0,1,0] op_sel_hi:[0,1,0]
	v_or_b32_e32 v8, v7, v8
	v_fma_mixlo_f16 v1, v26, v44, 0 op_sel_hi:[0,1,0]
	v_fma_mixlo_f16 v7, v26, v7, 0 op_sel:[0,1,0] op_sel_hi:[0,1,0]
	v_and_b32_e32 v43, 0xffff, v43
	v_fma_mixlo_f16 v8, v26, v8, 0 op_sel_hi:[0,1,0]
	s_waitcnt lgkmcnt(0)
	v_and_b32_e32 v49, 0xffff, v48
	v_lshrrev_b32_e32 v48, 16, v48
	;;#ASMSTART
	v_cvt_f32_f16 v31, v49;
	;;#ASMEND
	;;#ASMSTART
	v_cvt_f32_f16 v32, v48;
	;;#ASMEND
	;;#ASMSTART
	v_cvt_f32_f16 v48, v50;
	;;#ASMEND
	;;#ASMSTART
	v_cvt_f32_f16 v49, v51;
	;;#ASMEND
	ds_read_b32 v50, v14 offset:12
	v_fmac_f32_e32 v29, v31, v48
	v_fmac_f32_e32 v30, v32, v49
	v_and_b32_e32 v31, 0xffff, v1
	s_waitcnt lgkmcnt(0)
	v_and_b32_e32 v51, 0xffff, v50
	v_lshrrev_b32_e32 v50, 16, v50
	;;#ASMSTART
	v_cvt_f32_f16 v33, v51;
	;;#ASMEND
	;;#ASMSTART
	v_cvt_f32_f16 v34, v50;
	;;#ASMEND
	;; [unrolled: 3-line block ×4, first 2 shown]
	ds_read_b32 v52, v14 offset:16
	v_fmac_f32_e32 v29, v33, v50
	v_fmac_f32_e32 v30, v34, v51
	v_xor_b32_e32 v33, 2, v10
	v_and_b32_e32 v34, 0xffff, v7
	v_cmp_gt_i32_e64 s2, 32, v33
	v_cndmask_b32_e64 v7, v10, v33, s2
	v_and_b32_e32 v33, 0xffff, v8
	s_waitcnt lgkmcnt(0)
	v_and_b32_e32 v53, 0xffff, v52
	v_lshrrev_b32_e32 v52, 16, v52
	;;#ASMSTART
	v_cvt_f32_f16 v35, v53;
	;;#ASMEND
	;;#ASMSTART
	v_cvt_f32_f16 v36, v52;
	;;#ASMEND
	;;#ASMSTART
	v_cvt_f32_f16 v52, v54;
	;;#ASMEND
	;;#ASMSTART
	v_cvt_f32_f16 v53, v55;
	;;#ASMEND
	ds_read_b32 v54, v14 offset:20
	v_fmac_f32_e32 v29, v35, v52
	v_fmac_f32_e32 v30, v36, v53
	s_waitcnt lgkmcnt(0)
	v_and_b32_e32 v55, 0xffff, v54
	v_lshrrev_b32_e32 v54, 16, v54
	;;#ASMSTART
	v_cvt_f32_f16 v37, v55;
	;;#ASMEND
	;;#ASMSTART
	v_cvt_f32_f16 v38, v54;
	;;#ASMEND
	;;#ASMSTART
	v_cvt_f32_f16 v54, v56;
	;;#ASMEND
	;;#ASMSTART
	v_cvt_f32_f16 v55, v57;
	;;#ASMEND
	ds_read_b32 v56, v14 offset:24
	v_fmac_f32_e32 v29, v37, v54
	v_fmac_f32_e32 v30, v38, v55
	;; [unrolled: 18-line block ×5, first 2 shown]
	s_waitcnt lgkmcnt(0)
	v_and_b32_e32 v26, 0xffff, v32
	v_lshrrev_b32_e32 v32, 16, v32
	;;#ASMSTART
	v_cvt_f32_f16 v1, v26;
	;;#ASMEND
	;;#ASMSTART
	v_cvt_f32_f16 v8, v32;
	;;#ASMEND
	;; [unrolled: 3-line block ×4, first 2 shown]
	v_fmac_f32_e32 v29, v1, v26
	v_fmac_f32_e32 v30, v8, v27
	v_lshlrev_b32_e32 v1, 2, v7
	v_xor_b32_e32 v8, 1, v10
	v_add_f32_e32 v7, v29, v30
	v_cmp_gt_i32_e64 s2, 32, v8
	ds_bpermute_b32 v1, v1, v7
	v_cndmask_b32_e64 v8, v10, v8, s2
	s_waitcnt lgkmcnt(0)
	v_add_f32_e32 v1, v7, v1
	v_lshlrev_b32_e32 v7, 2, v8
	ds_bpermute_b32 v7, v7, v1
	s_and_saveexec_b32 s40, vcc_lo
	s_cbranch_execz .LBB236_10
; %bb.178:                              ;   in Loop: Header=BB236_12 Depth=1
	v_add_nc_u32_e32 v8, v22, v16
	s_waitcnt lgkmcnt(0)
	v_add_f32_e32 v1, v1, v7
	v_cvt_f32_i32_e32 v8, v8
	v_mul_f32_e32 v8, s36, v8
	v_cndmask_b32_e64 v7, 0, v8, s1
	v_max_f32_e32 v8, v15, v15
	v_fmac_f32_e32 v7, s35, v1
	v_add_nc_u32_e32 v1, v13, v16
	v_max_f32_e32 v8, v8, v7
	v_cmp_gt_i32_e64 s2, s33, v1
	v_cndmask_b32_e64 v1, 0, v7, s2
	v_cndmask_b32_e64 v15, v15, v8, s2
	ds_write_b32 v23, v1
	s_branch .LBB236_10
.LBB236_179:
	s_or_b32 exec_lo, exec_lo, s38
.LBB236_180:
	s_or_b32 exec_lo, exec_lo, s37
	v_xor_b32_e32 v1, 16, v10
	v_xor_b32_e32 v3, 8, v10
	v_max_f32_e32 v4, v15, v15
	v_and_b32_e32 v13, 31, v0
	v_cmp_gt_i32_e32 vcc_lo, 32, v1
	v_cndmask_b32_e32 v1, v10, v1, vcc_lo
	v_cmp_gt_i32_e32 vcc_lo, 32, v3
	v_lshlrev_b32_e32 v1, 2, v1
	v_cndmask_b32_e32 v3, v10, v3, vcc_lo
	ds_bpermute_b32 v2, v1, v15
	s_waitcnt lgkmcnt(0)
	v_max_f32_e32 v5, v2, v2
	v_lshlrev_b32_e32 v2, 2, v3
	v_max_f32_e32 v3, v4, v5
	v_xor_b32_e32 v5, 4, v10
	ds_bpermute_b32 v4, v2, v3
	v_cmp_gt_i32_e32 vcc_lo, 32, v5
	v_cndmask_b32_e32 v5, v10, v5, vcc_lo
	v_cmp_eq_u32_e32 vcc_lo, 0, v13
	v_lshlrev_b32_e32 v5, 2, v5
	s_waitcnt lgkmcnt(0)
	v_max_f32_e32 v4, v4, v4
	v_max_f32_e32 v4, v3, v4
	v_lshlrev_b32_e32 v3, 2, v11
	ds_bpermute_b32 v6, v5, v4
	s_and_saveexec_b32 s1, vcc_lo
	s_cbranch_execz .LBB236_182
; %bb.181:
	s_waitcnt lgkmcnt(0)
	v_max_f32_e32 v6, v6, v6
	v_max_f32_e32 v4, v4, v4
	v_max_f32_e32 v4, v4, v6
	ds_write_b32 v3, v4 offset:160
.LBB236_182:
	s_or_b32 exec_lo, exec_lo, s1
	v_cmp_gt_u32_e64 s1, 4, v13
	v_mov_b32_e32 v7, 0xff7fffff
	v_lshlrev_b32_e32 v4, 2, v13
	s_waitcnt lgkmcnt(0)
	s_barrier
	buffer_gl0_inv
	s_and_saveexec_b32 s2, s1
; %bb.183:
	ds_read_b32 v7, v4 offset:160
; %bb.184:
	s_or_b32 exec_lo, exec_lo, s2
	v_xor_b32_e32 v6, 2, v10
	v_xor_b32_e32 v14, 1, v10
	s_waitcnt lgkmcnt(0)
	v_max_f32_e32 v15, v7, v7
	v_cmp_gt_i32_e64 s2, 32, v6
	v_cndmask_b32_e64 v6, v10, v6, s2
	v_cmp_gt_i32_e64 s2, 32, v14
	v_lshlrev_b32_e32 v6, 2, v6
	ds_bpermute_b32 v8, v6, v7
	v_cndmask_b32_e64 v7, v10, v14, s2
	s_lshl_b32 s2, s20, 3
	v_lshl_add_u32 v14, v0, 2, 0xc0
	s_min_i32 s4, s2, s33
	v_lshlrev_b32_e32 v7, 2, v7
	v_cmp_gt_i32_e64 s2, s4, v0
	s_waitcnt lgkmcnt(0)
	v_max_f32_e32 v8, v8, v8
	v_max_f32_e32 v8, v15, v8
	ds_bpermute_b32 v10, v7, v8
	s_waitcnt lgkmcnt(0)
	v_max_f32_e32 v10, v10, v10
	v_max_f32_e32 v10, v8, v10
	v_mov_b32_e32 v8, 0
	ds_bpermute_b32 v10, v8, v10
	s_and_saveexec_b32 s5, s2
	s_cbranch_execz .LBB236_188
; %bb.185:
	v_lshl_add_u32 v15, v0, 2, 0xc0
	v_mov_b32_e32 v8, 0
	v_mov_b32_e32 v16, v0
	s_mov_b32 s12, 0
	.p2align	6
.LBB236_186:                            ; =>This Inner Loop Header: Depth=1
	ds_read_b32 v17, v15
	v_add_nc_u32_e32 v16, 0x80, v16
	v_cmp_le_i32_e64 s3, s4, v16
	s_or_b32 s12, s3, s12
	s_waitcnt lgkmcnt(0)
	v_sub_f32_e32 v17, v17, v10
	v_mul_f32_e32 v17, 0x3fb8aa3b, v17
	v_exp_f32_e32 v17, v17
	ds_write_b32 v15, v17
	v_add_f32_e32 v8, v8, v17
	v_add_nc_u32_e32 v15, 0x200, v15
	s_andn2_b32 exec_lo, exec_lo, s12
	s_cbranch_execnz .LBB236_186
; %bb.187:
	s_or_b32 exec_lo, exec_lo, s12
.LBB236_188:
	s_or_b32 exec_lo, exec_lo, s5
	ds_bpermute_b32 v1, v1, v8
	s_waitcnt lgkmcnt(0)
	v_add_f32_e32 v1, v8, v1
	ds_bpermute_b32 v2, v2, v1
	s_waitcnt lgkmcnt(0)
	v_add_f32_e32 v1, v1, v2
	;; [unrolled: 3-line block ×5, first 2 shown]
	s_and_saveexec_b32 s3, vcc_lo
; %bb.189:
	ds_write_b32 v3, v1 offset:176
; %bb.190:
	s_or_b32 exec_lo, exec_lo, s3
	s_waitcnt lgkmcnt(0)
	s_barrier
	buffer_gl0_inv
	s_and_saveexec_b32 s3, s1
; %bb.191:
	ds_read_b32 v1, v4 offset:176
; %bb.192:
	s_or_b32 exec_lo, exec_lo, s3
	s_waitcnt lgkmcnt(0)
	ds_bpermute_b32 v2, v6, v1
	s_waitcnt lgkmcnt(0)
	v_add_f32_e32 v1, v1, v2
	ds_bpermute_b32 v2, v7, v1
	s_waitcnt lgkmcnt(0)
	v_add_f32_e32 v1, v1, v2
	v_mov_b32_e32 v2, 0
	ds_bpermute_b32 v1, v2, v1
	s_and_saveexec_b32 s1, s2
	s_cbranch_execz .LBB236_195
; %bb.193:
	s_waitcnt lgkmcnt(0)
	v_add_f32_e32 v2, 0x358637bd, v1
	s_mov_b32 s2, 0
	v_div_scale_f32 v1, null, v2, v2, 1.0
	v_div_scale_f32 v5, vcc_lo, 1.0, v2, 1.0
	v_rcp_f32_e32 v3, v1
	v_fma_f32 v4, -v1, v3, 1.0
	v_fmac_f32_e32 v3, v4, v3
	v_mul_f32_e32 v4, v5, v3
	v_fma_f32 v6, -v1, v4, v5
	v_fmac_f32_e32 v4, v6, v3
	v_fma_f32 v1, -v1, v4, v5
	v_div_fmas_f32 v3, v1, v3, v4
	v_mov_b32_e32 v1, v14
	v_div_fixup_f32 v2, v3, v2, 1.0
	v_mov_b32_e32 v3, v0
.LBB236_194:                            ; =>This Inner Loop Header: Depth=1
	ds_read_b32 v4, v1
	v_add_nc_u32_e32 v3, 0x80, v3
	v_cmp_le_i32_e32 vcc_lo, s4, v3
	s_or_b32 s2, vcc_lo, s2
	s_waitcnt lgkmcnt(0)
	v_mul_f32_e32 v4, v2, v4
	ds_write_b32 v1, v4
	v_add_nc_u32_e32 v1, 0x200, v1
	s_andn2_b32 exec_lo, exec_lo, s2
	s_cbranch_execnz .LBB236_194
.LBB236_195:
	s_or_b32 exec_lo, exec_lo, s1
	v_mov_b32_e32 v17, 0
	v_or_b32_e32 v18, 64, v13
	v_mov_b32_e32 v16, 0
	v_mov_b32_e32 v15, 0
	s_waitcnt lgkmcnt(0)
	s_barrier
	buffer_gl0_inv
	s_and_saveexec_b32 s12, s0
	s_cbranch_execz .LBB236_401
; %bb.196:
	s_sub_i32 s13, s34, s21
	s_ashr_i32 s0, s18, 31
	s_add_u32 s2, s30, s18
	s_addc_u32 s3, s31, s0
	s_abs_i32 s18, s22
	v_and_b32_e32 v3, 0x7c, v9
	v_cvt_f32_u32_e32 v1, s18
	s_sub_i32 s0, 0, s18
	s_add_i32 s21, s20, -1
	v_lshlrev_b32_e32 v19, 3, v13
	v_mov_b32_e32 v2, 0
	v_rcp_iflag_f32_e32 v1, v1
	v_lshlrev_b32_e32 v20, 3, v18
	v_lshl_add_u32 v21, v11, 5, 0xc0
	v_mov_b32_e32 v22, 0x80
	v_mov_b32_e32 v23, 0x7f
	;; [unrolled: 1-line block ×7, first 2 shown]
	v_mul_f32_e32 v1, 0x4f7ffffe, v1
	v_mov_b32_e32 v27, v11
	s_mov_b32 s4, -1
	s_mov_b32 s5, 0xffffff
	s_mov_b32 s22, 0
	v_cvt_u32_f32_e32 v1, v1
	v_cmp_gt_u32_e32 vcc_lo, 0x50, v18
	v_mul_lo_u32 v4, s0, v1
	s_lshl_b64 s[0:1], s[28:29], 2
	s_add_u32 s0, s26, s0
	s_addc_u32 s1, s27, s1
	v_add_co_u32 v3, s0, s0, v3
	v_mul_hi_u32 v5, v1, v4
	v_add_co_ci_u32_e64 v4, null, s1, 0, s0
	v_add_nc_u32_e32 v26, v1, v5
	s_branch .LBB236_200
.LBB236_197:                            ;   in Loop: Header=BB236_200 Depth=1
	s_or_b32 exec_lo, exec_lo, s1
	;;#ASMSTART
	v_pk_mul_f16 v1, v31, v39;

	;;#ASMEND
	;;#ASMSTART
	v_pk_mul_f16 v5, v30, v38;

	;;#ASMEND
	;; [unrolled: 4-line block ×4, first 2 shown]
	;;#ASMSTART
	v_pk_add_f16 v1, v1, v5;

	;;#ASMEND
	;;#ASMSTART
	v_pk_add_f16 v1, v1, v6;

	;;#ASMEND
	;; [unrolled: 4-line block ×3, first 2 shown]
	v_and_b32_e32 v5, 0xffff, v1
	v_lshrrev_b32_e32 v6, 16, v1
	;;#ASMSTART
	v_cvt_f32_f16 v1, v5;
	;;#ASMEND
	;;#ASMSTART
	v_cvt_f32_f16 v5, v6;
	;;#ASMEND
	v_add_f32_e32 v1, v1, v5
	v_add_f32_e32 v15, v15, v1
.LBB236_198:                            ;   in Loop: Header=BB236_200 Depth=1
	s_or_b32 exec_lo, exec_lo, s27
	v_add_f32_e32 v1, v9, v10
	v_add_f32_e32 v5, v7, v8
	;; [unrolled: 1-line block ×4, first 2 shown]
.LBB236_199:                            ;   in Loop: Header=BB236_200 Depth=1
	s_or_b32 exec_lo, exec_lo, s26
	v_add_nc_u32_e32 v27, 4, v27
	v_add_co_u32 v3, s1, v3, 16
	v_add_co_ci_u32_e64 v4, null, 0, v4, s1
	v_cmp_le_i32_e64 s0, s20, v27
	v_add_nc_u32_e32 v12, 32, v12
	v_add_nc_u32_e32 v21, 0x80, v21
	s_or_b32 s22, s0, s22
	s_andn2_b32 exec_lo, exec_lo, s22
	s_cbranch_execz .LBB236_400
.LBB236_200:                            ; =>This Inner Loop Header: Depth=1
	v_mul_hi_u32 v1, v12, s19
	v_mul_lo_u32 v5, v1, s16
	v_add_nc_u32_e32 v6, 1, v1
	v_sub_nc_u32_e32 v5, v12, v5
	v_subrev_nc_u32_e32 v7, s16, v5
	v_cmp_le_u32_e64 s0, s16, v5
	v_cndmask_b32_e64 v1, v1, v6, s0
	v_cndmask_b32_e64 v5, v5, v7, s0
	v_add_nc_u32_e32 v6, 1, v1
	v_cmp_le_u32_e64 s0, s16, v5
	v_cndmask_b32_e64 v1, v1, v6, s0
	v_xor_b32_e32 v1, s23, v1
	v_subrev_nc_u32_e32 v1, s23, v1
	v_add_nc_u32_e32 v5, s25, v1
	v_cmp_lt_i32_e64 s1, s13, v1
	v_sub_nc_u32_e32 v6, 0, v5
	v_max_i32_e32 v6, v5, v6
	v_ashrrev_i32_e32 v5, 31, v5
	v_mul_hi_u32 v7, v6, v26
	v_mul_lo_u32 v7, v7, s18
	v_sub_nc_u32_e32 v6, v6, v7
	v_subrev_nc_u32_e32 v7, s18, v6
	v_cmp_le_u32_e64 s0, s18, v6
	v_cndmask_b32_e64 v6, v6, v7, s0
	v_subrev_nc_u32_e32 v7, s18, v6
	v_cmp_le_u32_e64 s0, s18, v6
	v_cndmask_b32_e64 v6, v6, v7, s0
	v_xor_b32_e32 v6, v6, v5
	v_sub_nc_u32_e32 v5, v6, v5
	v_cmp_eq_u32_e64 s0, 0, v5
	s_or_b32 s0, s0, s1
	s_and_saveexec_b32 s26, s0
	s_cbranch_execz .LBB236_199
; %bb.201:                              ;   in Loop: Header=BB236_200 Depth=1
	global_load_dword v1, v[3:4], off
	ds_read2_b64 v[7:10], v21 offset1:1
	ds_read2_b64 v[34:37], v21 offset0:2 offset1:3
	v_mov_b32_e32 v38, 0
	s_waitcnt lgkmcnt(1)
	;;#ASMSTART
	v_cvt_f16_f32 v30, v7;

	;;#ASMEND
	;;#ASMSTART
	v_cvt_f16_f32 v28, v8;

	;;#ASMEND
	;; [unrolled: 4-line block ×4, first 2 shown]
	s_waitcnt lgkmcnt(0)
	;;#ASMSTART
	v_cvt_f16_f32 v34, v34;

	;;#ASMEND
	;;#ASMSTART
	v_cvt_f16_f32 v32, v35;

	;;#ASMEND
	;; [unrolled: 4-line block ×4, first 2 shown]
	v_mov_b32_e32 v37, 0
	global_load_dword v36, v37, s[14:15]
	s_waitcnt vmcnt(1)
	v_mad_i64_i32 v[5:6], null, v1, s17, s[2:3]
	v_add_co_u32 v7, s0, v5, v19
	v_add_co_ci_u32_e64 v8, null, 0, v6, s0
	global_load_dwordx2 v[9:10], v[7:8], off
	s_waitcnt vmcnt(0)
	v_cmp_ne_u16_sdwa s0, v9, v2 src0_sel:BYTE_0 src1_sel:DWORD
	s_and_saveexec_b32 s1, s0
	s_cbranch_execz .LBB236_209
; %bb.202:                              ;   in Loop: Header=BB236_200 Depth=1
	v_cmp_ne_u16_sdwa s0, v9, v22 src0_sel:BYTE_0 src1_sel:DWORD
	v_mov_b32_e32 v38, 0x8000
	s_and_saveexec_b32 s27, s0
	s_cbranch_execz .LBB236_208
; %bb.203:                              ;   in Loop: Header=BB236_200 Depth=1
	v_and_b32_e32 v39, 0x7f, v9
	v_mov_b32_e32 v38, 0x7c01
	s_mov_b32 s28, exec_lo
	v_cmpx_ne_u32_e32 0x7f, v39
	s_cbranch_execz .LBB236_207
; %bb.204:                              ;   in Loop: Header=BB236_200 Depth=1
	v_and_b32_e32 v1, 7, v9
	v_lshrrev_b32_e32 v38, 3, v39
	s_mov_b32 s29, exec_lo
	v_cmpx_gt_u32_e32 8, v39
; %bb.205:                              ;   in Loop: Header=BB236_200 Depth=1
	v_ffbh_u32_e32 v1, v1
	v_min_u32_e32 v1, 32, v1
	v_subrev_nc_u32_e32 v38, 28, v1
	v_lshlrev_b64 v[39:40], v38, v[9:10]
	v_sub_nc_u32_e32 v38, 29, v1
	v_and_b32_e32 v1, 7, v39
; %bb.206:                              ;   in Loop: Header=BB236_200 Depth=1
	s_or_b32 exec_lo, exec_lo, s29
	v_lshlrev_b32_e32 v39, 8, v9
	v_lshl_add_u32 v38, v38, 10, 0x2000
	v_lshlrev_b32_e32 v1, 7, v1
	v_and_b32_e32 v39, 0x8000, v39
	v_and_b32_e32 v38, 0xfc00, v38
	v_or3_b32 v38, v39, v38, v1
.LBB236_207:                            ;   in Loop: Header=BB236_200 Depth=1
	s_or_b32 exec_lo, exec_lo, s28
.LBB236_208:                            ;   in Loop: Header=BB236_200 Depth=1
	s_or_b32 exec_lo, exec_lo, s27
.LBB236_209:                            ;   in Loop: Header=BB236_200 Depth=1
	s_or_b32 exec_lo, exec_lo, s1
	v_lshrrev_b16 v1, 8, v9
	s_mov_b32 s1, exec_lo
	v_cmpx_ne_u16_e32 0, v1
	s_cbranch_execz .LBB236_217
; %bb.210:                              ;   in Loop: Header=BB236_200 Depth=1
	v_bfrev_b32_e32 v37, 1
	s_mov_b32 s27, exec_lo
	v_cmpx_ne_u16_e32 0x80, v1
	s_cbranch_execz .LBB236_216
; %bb.211:                              ;   in Loop: Header=BB236_200 Depth=1
	v_and_b32_sdwa v40, v1, v23 dst_sel:DWORD dst_unused:UNUSED_PAD src0_sel:WORD_0 src1_sel:DWORD
	v_mov_b32_e32 v37, 0x7c010000
	s_mov_b32 s28, exec_lo
	v_cmpx_ne_u32_e32 0x7f, v40
	s_cbranch_execz .LBB236_215
; %bb.212:                              ;   in Loop: Header=BB236_200 Depth=1
	v_and_b32_sdwa v37, v1, v24 dst_sel:DWORD dst_unused:UNUSED_PAD src0_sel:WORD_0 src1_sel:DWORD
	v_lshrrev_b32_e32 v39, 3, v40
	s_mov_b32 s29, exec_lo
	v_cmpx_gt_u32_e32 8, v40
; %bb.213:                              ;   in Loop: Header=BB236_200 Depth=1
	v_ffbh_u32_e32 v37, v37
	v_min_u32_e32 v37, 32, v37
	v_subrev_nc_u32_e32 v39, 28, v37
	v_lshlrev_b64 v[40:41], v39, v[1:2]
	v_sub_nc_u32_e32 v39, 29, v37
	v_and_b32_e32 v37, 7, v40
; %bb.214:                              ;   in Loop: Header=BB236_200 Depth=1
	s_or_b32 exec_lo, exec_lo, s29
	v_lshlrev_b32_sdwa v1, v25, v1 dst_sel:DWORD dst_unused:UNUSED_PAD src0_sel:DWORD src1_sel:WORD_0
	v_lshl_add_u32 v39, v39, 10, 0x2000
	v_lshlrev_b32_e32 v37, 23, v37
	v_and_or_b32 v1, 0x8000, v1, v39
	v_lshl_or_b32 v37, v1, 16, v37
.LBB236_215:                            ;   in Loop: Header=BB236_200 Depth=1
	s_or_b32 exec_lo, exec_lo, s28
.LBB236_216:                            ;   in Loop: Header=BB236_200 Depth=1
	s_or_b32 exec_lo, exec_lo, s27
.LBB236_217:                            ;   in Loop: Header=BB236_200 Depth=1
	s_or_b32 exec_lo, exec_lo, s1
	v_lshrrev_b32_e32 v1, 16, v9
	v_mov_b32_e32 v39, 0
	v_mov_b32_e32 v40, 0
	v_cmp_ne_u16_sdwa s0, v1, v2 src0_sel:BYTE_0 src1_sel:DWORD
	s_and_saveexec_b32 s1, s0
	s_cbranch_execz .LBB236_225
; %bb.218:                              ;   in Loop: Header=BB236_200 Depth=1
	v_cmp_ne_u16_sdwa s0, v1, v22 src0_sel:BYTE_0 src1_sel:DWORD
	v_mov_b32_e32 v40, 0x8000
	s_and_saveexec_b32 s27, s0
	s_cbranch_execz .LBB236_224
; %bb.219:                              ;   in Loop: Header=BB236_200 Depth=1
	v_bfe_u32 v42, v9, 16, 7
	v_mov_b32_e32 v40, 0x7c01
	s_mov_b32 s28, exec_lo
	v_cmpx_ne_u32_e32 0x7f, v42
	s_cbranch_execz .LBB236_223
; %bb.220:                              ;   in Loop: Header=BB236_200 Depth=1
	v_and_b32_e32 v40, 7, v1
	v_lshrrev_b32_e32 v41, 3, v42
	s_mov_b32 s29, exec_lo
	v_cmpx_gt_u32_e32 8, v42
; %bb.221:                              ;   in Loop: Header=BB236_200 Depth=1
	v_ffbh_u32_e32 v40, v40
	v_min_u32_e32 v42, 32, v40
	v_subrev_nc_u32_e32 v40, 28, v42
	v_lshlrev_b64 v[40:41], v40, v[1:2]
	v_sub_nc_u32_e32 v41, 29, v42
	v_and_b32_e32 v40, 7, v40
; %bb.222:                              ;   in Loop: Header=BB236_200 Depth=1
	s_or_b32 exec_lo, exec_lo, s29
	v_lshlrev_b32_e32 v1, 8, v1
	v_lshl_add_u32 v41, v41, 10, 0x2000
	v_lshlrev_b32_e32 v40, 7, v40
	v_and_b32_e32 v1, 0x8000, v1
	v_and_b32_e32 v41, 0xfc00, v41
	v_or3_b32 v40, v1, v41, v40
.LBB236_223:                            ;   in Loop: Header=BB236_200 Depth=1
	s_or_b32 exec_lo, exec_lo, s28
.LBB236_224:                            ;   in Loop: Header=BB236_200 Depth=1
	s_or_b32 exec_lo, exec_lo, s27
.LBB236_225:                            ;   in Loop: Header=BB236_200 Depth=1
	s_or_b32 exec_lo, exec_lo, s1
	s_mov_b32 s1, exec_lo
	v_cmpx_lt_u32_e32 0xffffff, v9
	s_cbranch_execz .LBB236_233
; %bb.226:                              ;   in Loop: Header=BB236_200 Depth=1
	v_lshrrev_b32_e32 v1, 24, v9
	v_bfrev_b32_e32 v39, 1
	s_mov_b32 s27, exec_lo
	v_cmpx_ne_u32_e32 0x80, v1
	s_cbranch_execz .LBB236_232
; %bb.227:                              ;   in Loop: Header=BB236_200 Depth=1
	v_and_b32_e32 v42, 0x7f, v1
	v_mov_b32_e32 v39, 0x7c010000
	s_mov_b32 s28, exec_lo
	v_cmpx_ne_u32_e32 0x7f, v42
	s_cbranch_execz .LBB236_231
; %bb.228:                              ;   in Loop: Header=BB236_200 Depth=1
	v_and_b32_e32 v39, 7, v1
	v_lshrrev_b32_e32 v41, 3, v42
	s_mov_b32 s29, exec_lo
	v_cmpx_gt_u32_e32 8, v42
; %bb.229:                              ;   in Loop: Header=BB236_200 Depth=1
	v_ffbh_u32_e32 v39, v39
	v_min_u32_e32 v39, 32, v39
	v_subrev_nc_u32_e32 v41, 28, v39
	v_lshlrev_b64 v[42:43], v41, v[1:2]
	v_sub_nc_u32_e32 v41, 29, v39
	v_and_b32_e32 v39, 7, v42
; %bb.230:                              ;   in Loop: Header=BB236_200 Depth=1
	s_or_b32 exec_lo, exec_lo, s29
	v_lshlrev_b32_e32 v1, 8, v1
	v_lshl_add_u32 v41, v41, 10, 0x2000
	v_lshlrev_b32_e32 v39, 23, v39
	v_and_or_b32 v1, 0x8000, v1, v41
	v_lshl_or_b32 v39, v1, 16, v39
.LBB236_231:                            ;   in Loop: Header=BB236_200 Depth=1
	s_or_b32 exec_lo, exec_lo, s28
.LBB236_232:                            ;   in Loop: Header=BB236_200 Depth=1
	s_or_b32 exec_lo, exec_lo, s27
.LBB236_233:                            ;   in Loop: Header=BB236_200 Depth=1
	s_or_b32 exec_lo, exec_lo, s1
	v_mov_b32_e32 v1, v10
	v_cmp_ne_u16_sdwa s0, v10, v2 src0_sel:BYTE_0 src1_sel:DWORD
	v_mov_b32_e32 v41, 0
	v_mov_b32_e32 v42, 0
	s_and_saveexec_b32 s1, s0
	s_cbranch_execz .LBB236_241
; %bb.234:                              ;   in Loop: Header=BB236_200 Depth=1
	v_cmp_ne_u16_sdwa s0, v10, v22 src0_sel:BYTE_0 src1_sel:DWORD
	v_mov_b32_e32 v42, 0x8000
	s_and_saveexec_b32 s27, s0
	s_cbranch_execz .LBB236_240
; %bb.235:                              ;   in Loop: Header=BB236_200 Depth=1
	v_and_b32_e32 v44, 0x7f, v10
	v_mov_b32_e32 v42, 0x7c01
	s_mov_b32 s28, exec_lo
	v_cmpx_ne_u32_e32 0x7f, v44
	s_cbranch_execz .LBB236_239
; %bb.236:                              ;   in Loop: Header=BB236_200 Depth=1
	v_and_b32_e32 v42, 7, v10
	v_lshrrev_b32_e32 v43, 3, v44
	s_mov_b32 s29, exec_lo
	v_cmpx_gt_u32_e32 8, v44
; %bb.237:                              ;   in Loop: Header=BB236_200 Depth=1
	v_ffbh_u32_e32 v42, v42
	v_min_u32_e32 v44, 32, v42
	v_subrev_nc_u32_e32 v42, 28, v44
	v_lshlrev_b64 v[42:43], v42, v[1:2]
	v_sub_nc_u32_e32 v43, 29, v44
	v_and_b32_e32 v42, 7, v42
; %bb.238:                              ;   in Loop: Header=BB236_200 Depth=1
	s_or_b32 exec_lo, exec_lo, s29
	v_lshlrev_b32_e32 v44, 8, v10
	v_lshl_add_u32 v43, v43, 10, 0x2000
	v_lshlrev_b32_e32 v42, 7, v42
	v_and_b32_e32 v44, 0x8000, v44
	v_and_b32_e32 v43, 0xfc00, v43
	v_or3_b32 v42, v44, v43, v42
.LBB236_239:                            ;   in Loop: Header=BB236_200 Depth=1
	s_or_b32 exec_lo, exec_lo, s28
.LBB236_240:                            ;   in Loop: Header=BB236_200 Depth=1
	s_or_b32 exec_lo, exec_lo, s27
.LBB236_241:                            ;   in Loop: Header=BB236_200 Depth=1
	s_or_b32 exec_lo, exec_lo, s1
	v_lshrrev_b16 v1, 8, v1
	v_mov_b32_e32 v43, 0
	s_mov_b32 s1, exec_lo
	v_cmpx_ne_u16_e32 0, v1
	s_cbranch_execz .LBB236_249
; %bb.242:                              ;   in Loop: Header=BB236_200 Depth=1
	v_bfrev_b32_e32 v43, 1
	s_mov_b32 s27, exec_lo
	v_cmpx_ne_u16_e32 0x80, v1
	s_cbranch_execz .LBB236_248
; %bb.243:                              ;   in Loop: Header=BB236_200 Depth=1
	v_and_b32_sdwa v45, v1, v23 dst_sel:DWORD dst_unused:UNUSED_PAD src0_sel:WORD_0 src1_sel:DWORD
	v_mov_b32_e32 v43, 0x7c010000
	s_mov_b32 s28, exec_lo
	v_cmpx_ne_u32_e32 0x7f, v45
	s_cbranch_execz .LBB236_247
; %bb.244:                              ;   in Loop: Header=BB236_200 Depth=1
	v_and_b32_sdwa v43, v1, v24 dst_sel:DWORD dst_unused:UNUSED_PAD src0_sel:WORD_0 src1_sel:DWORD
	v_lshrrev_b32_e32 v44, 3, v45
	s_mov_b32 s29, exec_lo
	v_cmpx_gt_u32_e32 8, v45
; %bb.245:                              ;   in Loop: Header=BB236_200 Depth=1
	v_ffbh_u32_e32 v43, v43
	v_min_u32_e32 v45, 32, v43
	v_subrev_nc_u32_e32 v43, 28, v45
	v_lshlrev_b64 v[43:44], v43, v[1:2]
	v_sub_nc_u32_e32 v44, 29, v45
	v_and_b32_e32 v43, 7, v43
; %bb.246:                              ;   in Loop: Header=BB236_200 Depth=1
	s_or_b32 exec_lo, exec_lo, s29
	v_lshlrev_b32_sdwa v1, v25, v1 dst_sel:DWORD dst_unused:UNUSED_PAD src0_sel:DWORD src1_sel:WORD_0
	v_lshl_add_u32 v44, v44, 10, 0x2000
	v_lshlrev_b32_e32 v43, 23, v43
	v_and_or_b32 v1, 0x8000, v1, v44
	v_lshl_or_b32 v43, v1, 16, v43
.LBB236_247:                            ;   in Loop: Header=BB236_200 Depth=1
	s_or_b32 exec_lo, exec_lo, s28
.LBB236_248:                            ;   in Loop: Header=BB236_200 Depth=1
	s_or_b32 exec_lo, exec_lo, s27
.LBB236_249:                            ;   in Loop: Header=BB236_200 Depth=1
	s_or_b32 exec_lo, exec_lo, s1
	v_lshrrev_b32_e32 v1, 16, v10
	v_cmp_ne_u16_sdwa s0, v1, v2 src0_sel:BYTE_0 src1_sel:DWORD
	s_and_saveexec_b32 s1, s0
	s_cbranch_execz .LBB236_257
; %bb.250:                              ;   in Loop: Header=BB236_200 Depth=1
	v_cmp_ne_u16_sdwa s0, v1, v22 src0_sel:BYTE_0 src1_sel:DWORD
	v_mov_b32_e32 v41, 0x8000
	s_and_saveexec_b32 s27, s0
	s_cbranch_execz .LBB236_256
; %bb.251:                              ;   in Loop: Header=BB236_200 Depth=1
	v_bfe_u32 v45, v10, 16, 7
	v_mov_b32_e32 v41, 0x7c01
	s_mov_b32 s28, exec_lo
	v_cmpx_ne_u32_e32 0x7f, v45
	s_cbranch_execz .LBB236_255
; %bb.252:                              ;   in Loop: Header=BB236_200 Depth=1
	v_and_b32_e32 v41, 7, v1
	v_lshrrev_b32_e32 v44, 3, v45
	s_mov_b32 s29, exec_lo
	v_cmpx_gt_u32_e32 8, v45
; %bb.253:                              ;   in Loop: Header=BB236_200 Depth=1
	v_ffbh_u32_e32 v41, v41
	v_min_u32_e32 v41, 32, v41
	v_subrev_nc_u32_e32 v44, 28, v41
	v_lshlrev_b64 v[45:46], v44, v[1:2]
	v_sub_nc_u32_e32 v44, 29, v41
	v_and_b32_e32 v41, 7, v45
; %bb.254:                              ;   in Loop: Header=BB236_200 Depth=1
	s_or_b32 exec_lo, exec_lo, s29
	v_lshlrev_b32_e32 v1, 8, v1
	v_lshl_add_u32 v44, v44, 10, 0x2000
	v_lshlrev_b32_e32 v41, 7, v41
	v_and_b32_e32 v1, 0x8000, v1
	v_and_b32_e32 v44, 0xfc00, v44
	v_or3_b32 v41, v1, v44, v41
.LBB236_255:                            ;   in Loop: Header=BB236_200 Depth=1
	s_or_b32 exec_lo, exec_lo, s28
.LBB236_256:                            ;   in Loop: Header=BB236_200 Depth=1
	s_or_b32 exec_lo, exec_lo, s27
.LBB236_257:                            ;   in Loop: Header=BB236_200 Depth=1
	s_or_b32 exec_lo, exec_lo, s1
	v_cmp_lt_u64_e64 s0, s[4:5], v[9:10]
	v_mov_b32_e32 v9, 0
	s_and_saveexec_b32 s1, s0
	s_cbranch_execz .LBB236_265
; %bb.258:                              ;   in Loop: Header=BB236_200 Depth=1
	v_lshrrev_b32_e32 v1, 24, v10
	v_bfrev_b32_e32 v9, 1
	s_mov_b32 s27, exec_lo
	v_cmpx_ne_u32_e32 0x80, v1
	s_cbranch_execz .LBB236_264
; %bb.259:                              ;   in Loop: Header=BB236_200 Depth=1
	v_and_b32_e32 v44, 0x7f, v1
	v_mov_b32_e32 v9, 0x7c010000
	s_mov_b32 s28, exec_lo
	v_cmpx_ne_u32_e32 0x7f, v44
	s_cbranch_execz .LBB236_263
; %bb.260:                              ;   in Loop: Header=BB236_200 Depth=1
	v_and_b32_e32 v9, 7, v1
	v_lshrrev_b32_e32 v10, 3, v44
	s_mov_b32 s29, exec_lo
	v_cmpx_gt_u32_e32 8, v44
; %bb.261:                              ;   in Loop: Header=BB236_200 Depth=1
	v_ffbh_u32_e32 v9, v9
	v_min_u32_e32 v44, 32, v9
	v_subrev_nc_u32_e32 v9, 28, v44
	v_lshlrev_b64 v[9:10], v9, v[1:2]
	v_sub_nc_u32_e32 v10, 29, v44
	v_and_b32_e32 v9, 7, v9
; %bb.262:                              ;   in Loop: Header=BB236_200 Depth=1
	s_or_b32 exec_lo, exec_lo, s29
	v_lshlrev_b32_e32 v1, 8, v1
	v_lshl_add_u32 v10, v10, 10, 0x2000
	v_lshlrev_b32_e32 v9, 23, v9
	v_and_or_b32 v1, 0x8000, v1, v10
	v_lshl_or_b32 v9, v1, 16, v9
.LBB236_263:                            ;   in Loop: Header=BB236_200 Depth=1
	s_or_b32 exec_lo, exec_lo, s28
.LBB236_264:                            ;   in Loop: Header=BB236_200 Depth=1
	s_or_b32 exec_lo, exec_lo, s27
.LBB236_265:                            ;   in Loop: Header=BB236_200 Depth=1
	s_or_b32 exec_lo, exec_lo, s1
	v_or_b32_e32 v1, v39, v40
	v_fma_mixlo_f16 v10, v36, v39, 0 op_sel:[0,1,0] op_sel_hi:[0,1,0]
	v_or_b32_e32 v38, v37, v38
	v_or_b32_e32 v40, v43, v42
	;; [unrolled: 1-line block ×3, first 2 shown]
	v_fma_mixlo_f16 v1, v36, v1, 0 op_sel_hi:[0,1,0]
	v_fma_mixlo_f16 v39, v36, v37, 0 op_sel:[0,1,0] op_sel_hi:[0,1,0]
	v_lshlrev_b32_e32 v37, 16, v10
	v_fma_mixlo_f16 v10, v36, v38, 0 op_sel_hi:[0,1,0]
	v_fma_mixlo_f16 v40, v36, v40, 0 op_sel_hi:[0,1,0]
	v_and_b32_e32 v38, 0xffff, v1
	v_fma_mixlo_f16 v1, v36, v43, 0 op_sel:[0,1,0] op_sel_hi:[0,1,0]
	v_fma_mixlo_f16 v42, v36, v9, 0 op_sel:[0,1,0] op_sel_hi:[0,1,0]
	v_fma_mixlo_f16 v41, v36, v41, 0 op_sel_hi:[0,1,0]
	v_lshlrev_b32_e32 v39, 16, v39
	v_and_b32_e32 v44, 0xffff, v10
	v_lshlrev_b32_e32 v9, 16, v1
	v_and_b32_e32 v36, 0xffff, v40
	;; [unrolled: 2-line block ×3, first 2 shown]
	v_cmp_eq_u32_e64 s0, s21, v27
	v_or_b32_e32 v40, v37, v38
	v_or_b32_e32 v41, v39, v44
	;; [unrolled: 1-line block ×4, first 2 shown]
	s_and_saveexec_b32 s27, s0
	s_cbranch_execz .LBB236_267
; %bb.266:                              ;   in Loop: Header=BB236_200 Depth=1
	v_add_nc_u32_e32 v40, 1, v12
	v_cmp_gt_i32_e64 s1, s33, v12
	v_add_nc_u32_e32 v41, 2, v12
	v_add_nc_u32_e32 v43, 3, v12
	v_cndmask_b32_e64 v42, 0, v44, s1
	v_cmp_gt_i32_e64 s1, s33, v40
	v_add_nc_u32_e32 v40, 4, v12
	v_cndmask_b32_e64 v39, 0, v39, s1
	v_cmp_gt_i32_e64 s1, s33, v41
	;; [unrolled: 3-line block ×5, first 2 shown]
	v_or_b32_e32 v41, v39, v42
	v_cndmask_b32_e64 v9, 0, v9, s1
	v_cmp_gt_i32_e64 s1, s33, v43
	v_or_b32_e32 v42, v9, v36
	v_cndmask_b32_e64 v10, 0, v10, s1
	v_cmp_gt_i32_e64 s1, s33, v40
	v_or_b32_e32 v40, v37, v38
	v_cndmask_b32_e64 v1, 0, v1, s1
	v_or_b32_e32 v43, v1, v10
.LBB236_267:                            ;   in Loop: Header=BB236_200 Depth=1
	s_or_b32 exec_lo, exec_lo, s27
	v_and_b32_e32 v1, 0xffff, v30
	v_and_b32_e32 v9, 0xffff, v31
	;; [unrolled: 1-line block ×4, first 2 shown]
	v_lshl_or_b32 v31, v28, 16, v1
	;;#ASMSTART
	v_pk_mul_f16 v1, v31, v41;

	;;#ASMEND
	v_lshl_or_b32 v30, v29, 16, v9
	v_lshl_or_b32 v29, v32, 16, v10
	;; [unrolled: 1-line block ×3, first 2 shown]
	;;#ASMSTART
	v_pk_mul_f16 v9, v30, v40;

	;;#ASMEND
	;;#ASMSTART
	v_pk_mul_f16 v10, v29, v42;

	;;#ASMEND
	;; [unrolled: 4-line block ×3, first 2 shown]
	;;#ASMSTART
	v_pk_add_f16 v1, v1, v9;

	;;#ASMEND
	;;#ASMSTART
	v_pk_add_f16 v1, v1, v10;

	;;#ASMEND
	;; [unrolled: 4-line block ×3, first 2 shown]
	v_and_b32_e32 v9, 0xffff, v1
	v_lshrrev_b32_e32 v1, 16, v1
	;;#ASMSTART
	v_cvt_f32_f16 v9, v9;
	;;#ASMEND
	;;#ASMSTART
	v_cvt_f32_f16 v10, v1;
	;;#ASMEND
	global_load_dwordx2 v[7:8], v[7:8], off offset:256
	v_mov_b32_e32 v33, 0
	v_mov_b32_e32 v34, 0
	global_load_dword v32, v33, s[14:15]
	s_waitcnt vmcnt(1)
	v_cmp_ne_u16_sdwa s1, v7, v2 src0_sel:BYTE_0 src1_sel:DWORD
	s_and_saveexec_b32 s27, s1
	s_cbranch_execz .LBB236_275
; %bb.268:                              ;   in Loop: Header=BB236_200 Depth=1
	v_cmp_ne_u16_sdwa s1, v7, v22 src0_sel:BYTE_0 src1_sel:DWORD
	v_mov_b32_e32 v34, 0x8000
	s_and_saveexec_b32 s28, s1
	s_cbranch_execz .LBB236_274
; %bb.269:                              ;   in Loop: Header=BB236_200 Depth=1
	v_and_b32_e32 v35, 0x7f, v7
	v_mov_b32_e32 v34, 0x7c01
	s_mov_b32 s29, exec_lo
	v_cmpx_ne_u32_e32 0x7f, v35
	s_cbranch_execz .LBB236_273
; %bb.270:                              ;   in Loop: Header=BB236_200 Depth=1
	v_and_b32_e32 v1, 7, v7
	v_lshrrev_b32_e32 v34, 3, v35
	s_mov_b32 s30, exec_lo
	v_cmpx_gt_u32_e32 8, v35
; %bb.271:                              ;   in Loop: Header=BB236_200 Depth=1
	v_ffbh_u32_e32 v1, v1
	v_min_u32_e32 v1, 32, v1
	v_subrev_nc_u32_e32 v34, 28, v1
	v_lshlrev_b64 v[35:36], v34, v[7:8]
	v_sub_nc_u32_e32 v34, 29, v1
	v_and_b32_e32 v1, 7, v35
; %bb.272:                              ;   in Loop: Header=BB236_200 Depth=1
	s_or_b32 exec_lo, exec_lo, s30
	v_lshlrev_b32_e32 v35, 8, v7
	v_lshl_add_u32 v34, v34, 10, 0x2000
	v_lshlrev_b32_e32 v1, 7, v1
	v_and_b32_e32 v35, 0x8000, v35
	v_and_b32_e32 v34, 0xfc00, v34
	v_or3_b32 v34, v35, v34, v1
.LBB236_273:                            ;   in Loop: Header=BB236_200 Depth=1
	s_or_b32 exec_lo, exec_lo, s29
.LBB236_274:                            ;   in Loop: Header=BB236_200 Depth=1
	s_or_b32 exec_lo, exec_lo, s28
.LBB236_275:                            ;   in Loop: Header=BB236_200 Depth=1
	s_or_b32 exec_lo, exec_lo, s27
	v_lshrrev_b16 v1, 8, v7
	s_mov_b32 s27, exec_lo
	v_cmpx_ne_u16_e32 0, v1
	s_cbranch_execz .LBB236_283
; %bb.276:                              ;   in Loop: Header=BB236_200 Depth=1
	v_bfrev_b32_e32 v33, 1
	s_mov_b32 s28, exec_lo
	v_cmpx_ne_u16_e32 0x80, v1
	s_cbranch_execz .LBB236_282
; %bb.277:                              ;   in Loop: Header=BB236_200 Depth=1
	v_and_b32_sdwa v36, v1, v23 dst_sel:DWORD dst_unused:UNUSED_PAD src0_sel:WORD_0 src1_sel:DWORD
	v_mov_b32_e32 v33, 0x7c010000
	s_mov_b32 s29, exec_lo
	v_cmpx_ne_u32_e32 0x7f, v36
	s_cbranch_execz .LBB236_281
; %bb.278:                              ;   in Loop: Header=BB236_200 Depth=1
	v_and_b32_sdwa v33, v1, v24 dst_sel:DWORD dst_unused:UNUSED_PAD src0_sel:WORD_0 src1_sel:DWORD
	v_lshrrev_b32_e32 v35, 3, v36
	s_mov_b32 s30, exec_lo
	v_cmpx_gt_u32_e32 8, v36
; %bb.279:                              ;   in Loop: Header=BB236_200 Depth=1
	v_ffbh_u32_e32 v33, v33
	v_min_u32_e32 v33, 32, v33
	v_subrev_nc_u32_e32 v35, 28, v33
	v_lshlrev_b64 v[36:37], v35, v[1:2]
	v_sub_nc_u32_e32 v35, 29, v33
	v_and_b32_e32 v33, 7, v36
; %bb.280:                              ;   in Loop: Header=BB236_200 Depth=1
	s_or_b32 exec_lo, exec_lo, s30
	v_lshlrev_b32_sdwa v1, v25, v1 dst_sel:DWORD dst_unused:UNUSED_PAD src0_sel:DWORD src1_sel:WORD_0
	v_lshl_add_u32 v35, v35, 10, 0x2000
	v_lshlrev_b32_e32 v33, 23, v33
	v_and_or_b32 v1, 0x8000, v1, v35
	v_lshl_or_b32 v33, v1, 16, v33
.LBB236_281:                            ;   in Loop: Header=BB236_200 Depth=1
	s_or_b32 exec_lo, exec_lo, s29
.LBB236_282:                            ;   in Loop: Header=BB236_200 Depth=1
	s_or_b32 exec_lo, exec_lo, s28
.LBB236_283:                            ;   in Loop: Header=BB236_200 Depth=1
	s_or_b32 exec_lo, exec_lo, s27
	v_lshrrev_b32_e32 v1, 16, v7
	v_mov_b32_e32 v35, 0
	v_mov_b32_e32 v36, 0
	v_cmp_ne_u16_sdwa s1, v1, v2 src0_sel:BYTE_0 src1_sel:DWORD
	s_and_saveexec_b32 s27, s1
	s_cbranch_execz .LBB236_291
; %bb.284:                              ;   in Loop: Header=BB236_200 Depth=1
	v_cmp_ne_u16_sdwa s1, v1, v22 src0_sel:BYTE_0 src1_sel:DWORD
	v_mov_b32_e32 v36, 0x8000
	s_and_saveexec_b32 s28, s1
	s_cbranch_execz .LBB236_290
; %bb.285:                              ;   in Loop: Header=BB236_200 Depth=1
	v_bfe_u32 v38, v7, 16, 7
	v_mov_b32_e32 v36, 0x7c01
	s_mov_b32 s29, exec_lo
	v_cmpx_ne_u32_e32 0x7f, v38
	s_cbranch_execz .LBB236_289
; %bb.286:                              ;   in Loop: Header=BB236_200 Depth=1
	v_and_b32_e32 v36, 7, v1
	v_lshrrev_b32_e32 v37, 3, v38
	s_mov_b32 s30, exec_lo
	v_cmpx_gt_u32_e32 8, v38
; %bb.287:                              ;   in Loop: Header=BB236_200 Depth=1
	v_ffbh_u32_e32 v36, v36
	v_min_u32_e32 v38, 32, v36
	v_subrev_nc_u32_e32 v36, 28, v38
	v_lshlrev_b64 v[36:37], v36, v[1:2]
	v_sub_nc_u32_e32 v37, 29, v38
	v_and_b32_e32 v36, 7, v36
; %bb.288:                              ;   in Loop: Header=BB236_200 Depth=1
	s_or_b32 exec_lo, exec_lo, s30
	v_lshlrev_b32_e32 v1, 8, v1
	v_lshl_add_u32 v37, v37, 10, 0x2000
	v_lshlrev_b32_e32 v36, 7, v36
	v_and_b32_e32 v1, 0x8000, v1
	v_and_b32_e32 v37, 0xfc00, v37
	v_or3_b32 v36, v1, v37, v36
.LBB236_289:                            ;   in Loop: Header=BB236_200 Depth=1
	s_or_b32 exec_lo, exec_lo, s29
.LBB236_290:                            ;   in Loop: Header=BB236_200 Depth=1
	s_or_b32 exec_lo, exec_lo, s28
.LBB236_291:                            ;   in Loop: Header=BB236_200 Depth=1
	s_or_b32 exec_lo, exec_lo, s27
	s_mov_b32 s27, exec_lo
	v_cmpx_lt_u32_e32 0xffffff, v7
	s_cbranch_execz .LBB236_299
; %bb.292:                              ;   in Loop: Header=BB236_200 Depth=1
	v_lshrrev_b32_e32 v1, 24, v7
	v_bfrev_b32_e32 v35, 1
	s_mov_b32 s28, exec_lo
	v_cmpx_ne_u32_e32 0x80, v1
	s_cbranch_execz .LBB236_298
; %bb.293:                              ;   in Loop: Header=BB236_200 Depth=1
	v_and_b32_e32 v38, 0x7f, v1
	v_mov_b32_e32 v35, 0x7c010000
	s_mov_b32 s29, exec_lo
	v_cmpx_ne_u32_e32 0x7f, v38
	s_cbranch_execz .LBB236_297
; %bb.294:                              ;   in Loop: Header=BB236_200 Depth=1
	v_and_b32_e32 v35, 7, v1
	v_lshrrev_b32_e32 v37, 3, v38
	s_mov_b32 s30, exec_lo
	v_cmpx_gt_u32_e32 8, v38
; %bb.295:                              ;   in Loop: Header=BB236_200 Depth=1
	v_ffbh_u32_e32 v35, v35
	v_min_u32_e32 v35, 32, v35
	v_subrev_nc_u32_e32 v37, 28, v35
	v_lshlrev_b64 v[38:39], v37, v[1:2]
	v_sub_nc_u32_e32 v37, 29, v35
	v_and_b32_e32 v35, 7, v38
; %bb.296:                              ;   in Loop: Header=BB236_200 Depth=1
	s_or_b32 exec_lo, exec_lo, s30
	v_lshlrev_b32_e32 v1, 8, v1
	v_lshl_add_u32 v37, v37, 10, 0x2000
	v_lshlrev_b32_e32 v35, 23, v35
	v_and_or_b32 v1, 0x8000, v1, v37
	v_lshl_or_b32 v35, v1, 16, v35
.LBB236_297:                            ;   in Loop: Header=BB236_200 Depth=1
	s_or_b32 exec_lo, exec_lo, s29
.LBB236_298:                            ;   in Loop: Header=BB236_200 Depth=1
	s_or_b32 exec_lo, exec_lo, s28
.LBB236_299:                            ;   in Loop: Header=BB236_200 Depth=1
	s_or_b32 exec_lo, exec_lo, s27
	v_mov_b32_e32 v1, v8
	v_cmp_ne_u16_sdwa s1, v8, v2 src0_sel:BYTE_0 src1_sel:DWORD
	v_mov_b32_e32 v37, 0
	v_mov_b32_e32 v38, 0
	s_and_saveexec_b32 s27, s1
	s_cbranch_execz .LBB236_307
; %bb.300:                              ;   in Loop: Header=BB236_200 Depth=1
	v_cmp_ne_u16_sdwa s1, v8, v22 src0_sel:BYTE_0 src1_sel:DWORD
	v_mov_b32_e32 v38, 0x8000
	s_and_saveexec_b32 s28, s1
	s_cbranch_execz .LBB236_306
; %bb.301:                              ;   in Loop: Header=BB236_200 Depth=1
	v_and_b32_e32 v40, 0x7f, v8
	v_mov_b32_e32 v38, 0x7c01
	s_mov_b32 s29, exec_lo
	v_cmpx_ne_u32_e32 0x7f, v40
	s_cbranch_execz .LBB236_305
; %bb.302:                              ;   in Loop: Header=BB236_200 Depth=1
	v_and_b32_e32 v38, 7, v8
	v_lshrrev_b32_e32 v39, 3, v40
	s_mov_b32 s30, exec_lo
	v_cmpx_gt_u32_e32 8, v40
; %bb.303:                              ;   in Loop: Header=BB236_200 Depth=1
	v_ffbh_u32_e32 v38, v38
	v_min_u32_e32 v40, 32, v38
	v_subrev_nc_u32_e32 v38, 28, v40
	v_lshlrev_b64 v[38:39], v38, v[1:2]
	v_sub_nc_u32_e32 v39, 29, v40
	v_and_b32_e32 v38, 7, v38
; %bb.304:                              ;   in Loop: Header=BB236_200 Depth=1
	s_or_b32 exec_lo, exec_lo, s30
	v_lshlrev_b32_e32 v40, 8, v8
	v_lshl_add_u32 v39, v39, 10, 0x2000
	v_lshlrev_b32_e32 v38, 7, v38
	v_and_b32_e32 v40, 0x8000, v40
	v_and_b32_e32 v39, 0xfc00, v39
	v_or3_b32 v38, v40, v39, v38
.LBB236_305:                            ;   in Loop: Header=BB236_200 Depth=1
	s_or_b32 exec_lo, exec_lo, s29
.LBB236_306:                            ;   in Loop: Header=BB236_200 Depth=1
	s_or_b32 exec_lo, exec_lo, s28
.LBB236_307:                            ;   in Loop: Header=BB236_200 Depth=1
	s_or_b32 exec_lo, exec_lo, s27
	v_lshrrev_b16 v1, 8, v1
	v_mov_b32_e32 v39, 0
	s_mov_b32 s27, exec_lo
	v_cmpx_ne_u16_e32 0, v1
	s_cbranch_execz .LBB236_315
; %bb.308:                              ;   in Loop: Header=BB236_200 Depth=1
	v_bfrev_b32_e32 v39, 1
	s_mov_b32 s28, exec_lo
	v_cmpx_ne_u16_e32 0x80, v1
	s_cbranch_execz .LBB236_314
; %bb.309:                              ;   in Loop: Header=BB236_200 Depth=1
	v_and_b32_sdwa v41, v1, v23 dst_sel:DWORD dst_unused:UNUSED_PAD src0_sel:WORD_0 src1_sel:DWORD
	v_mov_b32_e32 v39, 0x7c010000
	s_mov_b32 s29, exec_lo
	v_cmpx_ne_u32_e32 0x7f, v41
	s_cbranch_execz .LBB236_313
; %bb.310:                              ;   in Loop: Header=BB236_200 Depth=1
	v_and_b32_sdwa v39, v1, v24 dst_sel:DWORD dst_unused:UNUSED_PAD src0_sel:WORD_0 src1_sel:DWORD
	v_lshrrev_b32_e32 v40, 3, v41
	s_mov_b32 s30, exec_lo
	v_cmpx_gt_u32_e32 8, v41
; %bb.311:                              ;   in Loop: Header=BB236_200 Depth=1
	v_ffbh_u32_e32 v39, v39
	v_min_u32_e32 v41, 32, v39
	v_subrev_nc_u32_e32 v39, 28, v41
	v_lshlrev_b64 v[39:40], v39, v[1:2]
	v_sub_nc_u32_e32 v40, 29, v41
	v_and_b32_e32 v39, 7, v39
; %bb.312:                              ;   in Loop: Header=BB236_200 Depth=1
	s_or_b32 exec_lo, exec_lo, s30
	v_lshlrev_b32_sdwa v1, v25, v1 dst_sel:DWORD dst_unused:UNUSED_PAD src0_sel:DWORD src1_sel:WORD_0
	v_lshl_add_u32 v40, v40, 10, 0x2000
	v_lshlrev_b32_e32 v39, 23, v39
	v_and_or_b32 v1, 0x8000, v1, v40
	v_lshl_or_b32 v39, v1, 16, v39
.LBB236_313:                            ;   in Loop: Header=BB236_200 Depth=1
	s_or_b32 exec_lo, exec_lo, s29
.LBB236_314:                            ;   in Loop: Header=BB236_200 Depth=1
	s_or_b32 exec_lo, exec_lo, s28
.LBB236_315:                            ;   in Loop: Header=BB236_200 Depth=1
	s_or_b32 exec_lo, exec_lo, s27
	v_lshrrev_b32_e32 v1, 16, v8
	v_cmp_ne_u16_sdwa s1, v1, v2 src0_sel:BYTE_0 src1_sel:DWORD
	s_and_saveexec_b32 s27, s1
	s_cbranch_execz .LBB236_323
; %bb.316:                              ;   in Loop: Header=BB236_200 Depth=1
	v_cmp_ne_u16_sdwa s1, v1, v22 src0_sel:BYTE_0 src1_sel:DWORD
	v_mov_b32_e32 v37, 0x8000
	s_and_saveexec_b32 s28, s1
	s_cbranch_execz .LBB236_322
; %bb.317:                              ;   in Loop: Header=BB236_200 Depth=1
	v_bfe_u32 v41, v8, 16, 7
	v_mov_b32_e32 v37, 0x7c01
	s_mov_b32 s29, exec_lo
	v_cmpx_ne_u32_e32 0x7f, v41
	s_cbranch_execz .LBB236_321
; %bb.318:                              ;   in Loop: Header=BB236_200 Depth=1
	v_and_b32_e32 v37, 7, v1
	v_lshrrev_b32_e32 v40, 3, v41
	s_mov_b32 s30, exec_lo
	v_cmpx_gt_u32_e32 8, v41
; %bb.319:                              ;   in Loop: Header=BB236_200 Depth=1
	v_ffbh_u32_e32 v37, v37
	v_min_u32_e32 v37, 32, v37
	v_subrev_nc_u32_e32 v40, 28, v37
	v_lshlrev_b64 v[41:42], v40, v[1:2]
	v_sub_nc_u32_e32 v40, 29, v37
	v_and_b32_e32 v37, 7, v41
; %bb.320:                              ;   in Loop: Header=BB236_200 Depth=1
	s_or_b32 exec_lo, exec_lo, s30
	v_lshlrev_b32_e32 v1, 8, v1
	v_lshl_add_u32 v40, v40, 10, 0x2000
	v_lshlrev_b32_e32 v37, 7, v37
	v_and_b32_e32 v1, 0x8000, v1
	v_and_b32_e32 v40, 0xfc00, v40
	v_or3_b32 v37, v1, v40, v37
.LBB236_321:                            ;   in Loop: Header=BB236_200 Depth=1
	s_or_b32 exec_lo, exec_lo, s29
.LBB236_322:                            ;   in Loop: Header=BB236_200 Depth=1
	s_or_b32 exec_lo, exec_lo, s28
.LBB236_323:                            ;   in Loop: Header=BB236_200 Depth=1
	s_or_b32 exec_lo, exec_lo, s27
	v_cmp_lt_u64_e64 s1, s[4:5], v[7:8]
	v_mov_b32_e32 v7, 0
	s_and_saveexec_b32 s27, s1
	s_cbranch_execz .LBB236_331
; %bb.324:                              ;   in Loop: Header=BB236_200 Depth=1
	v_lshrrev_b32_e32 v1, 24, v8
	v_bfrev_b32_e32 v7, 1
	s_mov_b32 s28, exec_lo
	v_cmpx_ne_u32_e32 0x80, v1
	s_cbranch_execz .LBB236_330
; %bb.325:                              ;   in Loop: Header=BB236_200 Depth=1
	v_and_b32_e32 v40, 0x7f, v1
	v_mov_b32_e32 v7, 0x7c010000
	s_mov_b32 s29, exec_lo
	v_cmpx_ne_u32_e32 0x7f, v40
	s_cbranch_execz .LBB236_329
; %bb.326:                              ;   in Loop: Header=BB236_200 Depth=1
	v_and_b32_e32 v7, 7, v1
	v_lshrrev_b32_e32 v8, 3, v40
	s_mov_b32 s30, exec_lo
	v_cmpx_gt_u32_e32 8, v40
; %bb.327:                              ;   in Loop: Header=BB236_200 Depth=1
	v_ffbh_u32_e32 v7, v7
	v_min_u32_e32 v40, 32, v7
	v_subrev_nc_u32_e32 v7, 28, v40
	v_lshlrev_b64 v[7:8], v7, v[1:2]
	v_sub_nc_u32_e32 v8, 29, v40
	v_and_b32_e32 v7, 7, v7
; %bb.328:                              ;   in Loop: Header=BB236_200 Depth=1
	s_or_b32 exec_lo, exec_lo, s30
	v_lshlrev_b32_e32 v1, 8, v1
	v_lshl_add_u32 v8, v8, 10, 0x2000
	v_lshlrev_b32_e32 v7, 23, v7
	v_and_or_b32 v1, 0x8000, v1, v8
	v_lshl_or_b32 v7, v1, 16, v7
.LBB236_329:                            ;   in Loop: Header=BB236_200 Depth=1
	s_or_b32 exec_lo, exec_lo, s29
.LBB236_330:                            ;   in Loop: Header=BB236_200 Depth=1
	s_or_b32 exec_lo, exec_lo, s28
.LBB236_331:                            ;   in Loop: Header=BB236_200 Depth=1
	s_or_b32 exec_lo, exec_lo, s27
	v_or_b32_e32 v1, v35, v36
	s_waitcnt vmcnt(0)
	v_fma_mixlo_f16 v8, v32, v35, 0 op_sel:[0,1,0] op_sel_hi:[0,1,0]
	v_or_b32_e32 v34, v33, v34
	v_or_b32_e32 v36, v39, v38
	;; [unrolled: 1-line block ×3, first 2 shown]
	v_fma_mixlo_f16 v1, v32, v1, 0 op_sel_hi:[0,1,0]
	v_fma_mixlo_f16 v35, v32, v33, 0 op_sel:[0,1,0] op_sel_hi:[0,1,0]
	v_lshlrev_b32_e32 v33, 16, v8
	v_fma_mixlo_f16 v8, v32, v34, 0 op_sel_hi:[0,1,0]
	v_fma_mixlo_f16 v36, v32, v36, 0 op_sel_hi:[0,1,0]
	v_and_b32_e32 v34, 0xffff, v1
	v_fma_mixlo_f16 v1, v32, v39, 0 op_sel:[0,1,0] op_sel_hi:[0,1,0]
	v_fma_mixlo_f16 v38, v32, v7, 0 op_sel:[0,1,0] op_sel_hi:[0,1,0]
	v_fma_mixlo_f16 v37, v32, v37, 0 op_sel_hi:[0,1,0]
	v_lshlrev_b32_e32 v35, 16, v35
	v_and_b32_e32 v39, 0xffff, v8
	v_lshlrev_b32_e32 v7, 16, v1
	v_and_b32_e32 v32, 0xffff, v36
	v_lshlrev_b32_e32 v1, 16, v38
	v_and_b32_e32 v8, 0xffff, v37
	v_or_b32_e32 v36, v33, v34
	v_or_b32_e32 v40, v35, v39
	;; [unrolled: 1-line block ×4, first 2 shown]
	s_and_saveexec_b32 s27, s0
	s_cbranch_execz .LBB236_333
; %bb.332:                              ;   in Loop: Header=BB236_200 Depth=1
	v_add_nc_u32_e32 v36, 1, v12
	v_cmp_gt_i32_e64 s1, s33, v12
	v_add_nc_u32_e32 v37, 2, v12
	v_cndmask_b32_e64 v38, 0, v39, s1
	v_cmp_gt_i32_e64 s1, s33, v36
	v_add_nc_u32_e32 v39, 3, v12
	v_add_nc_u32_e32 v36, 4, v12
	v_cndmask_b32_e64 v35, 0, v35, s1
	v_cmp_gt_i32_e64 s1, s33, v37
	v_add_nc_u32_e32 v37, 5, v12
	v_or_b32_e32 v40, v35, v38
	v_cndmask_b32_e64 v34, 0, v34, s1
	v_cmp_gt_i32_e64 s1, s33, v39
	v_add_nc_u32_e32 v39, 6, v12
	v_cndmask_b32_e64 v33, 0, v33, s1
	v_cmp_gt_i32_e64 s1, s33, v36
	v_add_nc_u32_e32 v36, 7, v12
	v_cndmask_b32_e64 v32, 0, v32, s1
	v_cmp_gt_i32_e64 s1, s33, v37
	v_cndmask_b32_e64 v7, 0, v7, s1
	v_cmp_gt_i32_e64 s1, s33, v39
	v_or_b32_e32 v38, v7, v32
	v_cndmask_b32_e64 v8, 0, v8, s1
	v_cmp_gt_i32_e64 s1, s33, v36
	v_or_b32_e32 v36, v33, v34
	v_cndmask_b32_e64 v1, 0, v1, s1
	v_or_b32_e32 v37, v1, v8
.LBB236_333:                            ;   in Loop: Header=BB236_200 Depth=1
	s_or_b32 exec_lo, exec_lo, s27
	;;#ASMSTART
	v_pk_mul_f16 v1, v31, v40;

	;;#ASMEND
	;;#ASMSTART
	v_pk_mul_f16 v7, v30, v36;

	;;#ASMEND
	;; [unrolled: 4-line block ×4, first 2 shown]
	;;#ASMSTART
	v_pk_add_f16 v1, v1, v7;

	;;#ASMEND
	;;#ASMSTART
	v_pk_add_f16 v1, v1, v8;

	;;#ASMEND
	;; [unrolled: 4-line block ×3, first 2 shown]
	v_and_b32_e32 v7, 0xffff, v1
	v_lshrrev_b32_e32 v1, 16, v1
	;;#ASMSTART
	v_cvt_f32_f16 v7, v7;
	;;#ASMEND
	;;#ASMSTART
	v_cvt_f32_f16 v8, v1;
	;;#ASMEND
	s_and_saveexec_b32 s27, vcc_lo
	s_cbranch_execz .LBB236_198
; %bb.334:                              ;   in Loop: Header=BB236_200 Depth=1
	v_add_co_u32 v5, s1, v5, v20
	v_add_co_ci_u32_e64 v6, null, 0, v6, s1
	v_mov_b32_e32 v33, 0
	v_mov_b32_e32 v34, 0
	global_load_dwordx2 v[5:6], v[5:6], off
	global_load_dword v32, v33, s[14:15]
	s_waitcnt vmcnt(1)
	v_cmp_ne_u16_sdwa s1, v5, v2 src0_sel:BYTE_0 src1_sel:DWORD
	s_and_saveexec_b32 s28, s1
	s_cbranch_execz .LBB236_342
; %bb.335:                              ;   in Loop: Header=BB236_200 Depth=1
	v_cmp_ne_u16_sdwa s1, v5, v22 src0_sel:BYTE_0 src1_sel:DWORD
	v_mov_b32_e32 v34, 0x8000
	s_and_saveexec_b32 s29, s1
	s_cbranch_execz .LBB236_341
; %bb.336:                              ;   in Loop: Header=BB236_200 Depth=1
	v_and_b32_e32 v35, 0x7f, v5
	v_mov_b32_e32 v34, 0x7c01
	s_mov_b32 s30, exec_lo
	v_cmpx_ne_u32_e32 0x7f, v35
	s_cbranch_execz .LBB236_340
; %bb.337:                              ;   in Loop: Header=BB236_200 Depth=1
	v_and_b32_e32 v1, 7, v5
	v_lshrrev_b32_e32 v34, 3, v35
	s_mov_b32 s31, exec_lo
	v_cmpx_gt_u32_e32 8, v35
; %bb.338:                              ;   in Loop: Header=BB236_200 Depth=1
	v_ffbh_u32_e32 v1, v1
	v_min_u32_e32 v1, 32, v1
	v_subrev_nc_u32_e32 v34, 28, v1
	v_lshlrev_b64 v[35:36], v34, v[5:6]
	v_sub_nc_u32_e32 v34, 29, v1
	v_and_b32_e32 v1, 7, v35
; %bb.339:                              ;   in Loop: Header=BB236_200 Depth=1
	s_or_b32 exec_lo, exec_lo, s31
	v_lshlrev_b32_e32 v35, 8, v5
	v_lshl_add_u32 v34, v34, 10, 0x2000
	v_lshlrev_b32_e32 v1, 7, v1
	v_and_b32_e32 v35, 0x8000, v35
	v_and_b32_e32 v34, 0xfc00, v34
	v_or3_b32 v34, v35, v34, v1
.LBB236_340:                            ;   in Loop: Header=BB236_200 Depth=1
	s_or_b32 exec_lo, exec_lo, s30
.LBB236_341:                            ;   in Loop: Header=BB236_200 Depth=1
	s_or_b32 exec_lo, exec_lo, s29
.LBB236_342:                            ;   in Loop: Header=BB236_200 Depth=1
	s_or_b32 exec_lo, exec_lo, s28
	v_lshrrev_b16 v1, 8, v5
	s_mov_b32 s28, exec_lo
	v_cmpx_ne_u16_e32 0, v1
	s_cbranch_execz .LBB236_350
; %bb.343:                              ;   in Loop: Header=BB236_200 Depth=1
	v_bfrev_b32_e32 v33, 1
	s_mov_b32 s29, exec_lo
	v_cmpx_ne_u16_e32 0x80, v1
	s_cbranch_execz .LBB236_349
; %bb.344:                              ;   in Loop: Header=BB236_200 Depth=1
	v_and_b32_sdwa v36, v1, v23 dst_sel:DWORD dst_unused:UNUSED_PAD src0_sel:WORD_0 src1_sel:DWORD
	v_mov_b32_e32 v33, 0x7c010000
	s_mov_b32 s30, exec_lo
	v_cmpx_ne_u32_e32 0x7f, v36
	s_cbranch_execz .LBB236_348
; %bb.345:                              ;   in Loop: Header=BB236_200 Depth=1
	v_and_b32_sdwa v33, v1, v24 dst_sel:DWORD dst_unused:UNUSED_PAD src0_sel:WORD_0 src1_sel:DWORD
	v_lshrrev_b32_e32 v35, 3, v36
	s_mov_b32 s31, exec_lo
	v_cmpx_gt_u32_e32 8, v36
; %bb.346:                              ;   in Loop: Header=BB236_200 Depth=1
	v_ffbh_u32_e32 v33, v33
	v_min_u32_e32 v33, 32, v33
	v_subrev_nc_u32_e32 v35, 28, v33
	v_lshlrev_b64 v[36:37], v35, v[1:2]
	v_sub_nc_u32_e32 v35, 29, v33
	v_and_b32_e32 v33, 7, v36
; %bb.347:                              ;   in Loop: Header=BB236_200 Depth=1
	s_or_b32 exec_lo, exec_lo, s31
	v_lshlrev_b32_sdwa v1, v25, v1 dst_sel:DWORD dst_unused:UNUSED_PAD src0_sel:DWORD src1_sel:WORD_0
	v_lshl_add_u32 v35, v35, 10, 0x2000
	v_lshlrev_b32_e32 v33, 23, v33
	v_and_or_b32 v1, 0x8000, v1, v35
	v_lshl_or_b32 v33, v1, 16, v33
.LBB236_348:                            ;   in Loop: Header=BB236_200 Depth=1
	s_or_b32 exec_lo, exec_lo, s30
.LBB236_349:                            ;   in Loop: Header=BB236_200 Depth=1
	s_or_b32 exec_lo, exec_lo, s29
.LBB236_350:                            ;   in Loop: Header=BB236_200 Depth=1
	s_or_b32 exec_lo, exec_lo, s28
	v_lshrrev_b32_e32 v1, 16, v5
	v_mov_b32_e32 v35, 0
	v_mov_b32_e32 v36, 0
	v_cmp_ne_u16_sdwa s1, v1, v2 src0_sel:BYTE_0 src1_sel:DWORD
	s_and_saveexec_b32 s28, s1
	s_cbranch_execz .LBB236_358
; %bb.351:                              ;   in Loop: Header=BB236_200 Depth=1
	v_cmp_ne_u16_sdwa s1, v1, v22 src0_sel:BYTE_0 src1_sel:DWORD
	v_mov_b32_e32 v36, 0x8000
	s_and_saveexec_b32 s29, s1
	s_cbranch_execz .LBB236_357
; %bb.352:                              ;   in Loop: Header=BB236_200 Depth=1
	v_bfe_u32 v38, v5, 16, 7
	v_mov_b32_e32 v36, 0x7c01
	s_mov_b32 s30, exec_lo
	v_cmpx_ne_u32_e32 0x7f, v38
	s_cbranch_execz .LBB236_356
; %bb.353:                              ;   in Loop: Header=BB236_200 Depth=1
	v_and_b32_e32 v36, 7, v1
	v_lshrrev_b32_e32 v37, 3, v38
	s_mov_b32 s31, exec_lo
	v_cmpx_gt_u32_e32 8, v38
; %bb.354:                              ;   in Loop: Header=BB236_200 Depth=1
	v_ffbh_u32_e32 v36, v36
	v_min_u32_e32 v38, 32, v36
	v_subrev_nc_u32_e32 v36, 28, v38
	v_lshlrev_b64 v[36:37], v36, v[1:2]
	v_sub_nc_u32_e32 v37, 29, v38
	v_and_b32_e32 v36, 7, v36
; %bb.355:                              ;   in Loop: Header=BB236_200 Depth=1
	s_or_b32 exec_lo, exec_lo, s31
	v_lshlrev_b32_e32 v1, 8, v1
	v_lshl_add_u32 v37, v37, 10, 0x2000
	v_lshlrev_b32_e32 v36, 7, v36
	v_and_b32_e32 v1, 0x8000, v1
	v_and_b32_e32 v37, 0xfc00, v37
	v_or3_b32 v36, v1, v37, v36
.LBB236_356:                            ;   in Loop: Header=BB236_200 Depth=1
	s_or_b32 exec_lo, exec_lo, s30
.LBB236_357:                            ;   in Loop: Header=BB236_200 Depth=1
	s_or_b32 exec_lo, exec_lo, s29
.LBB236_358:                            ;   in Loop: Header=BB236_200 Depth=1
	s_or_b32 exec_lo, exec_lo, s28
	s_mov_b32 s28, exec_lo
	v_cmpx_lt_u32_e32 0xffffff, v5
	s_cbranch_execz .LBB236_366
; %bb.359:                              ;   in Loop: Header=BB236_200 Depth=1
	v_lshrrev_b32_e32 v1, 24, v5
	v_bfrev_b32_e32 v35, 1
	s_mov_b32 s29, exec_lo
	v_cmpx_ne_u32_e32 0x80, v1
	s_cbranch_execz .LBB236_365
; %bb.360:                              ;   in Loop: Header=BB236_200 Depth=1
	v_and_b32_e32 v38, 0x7f, v1
	v_mov_b32_e32 v35, 0x7c010000
	s_mov_b32 s30, exec_lo
	v_cmpx_ne_u32_e32 0x7f, v38
	s_cbranch_execz .LBB236_364
; %bb.361:                              ;   in Loop: Header=BB236_200 Depth=1
	v_and_b32_e32 v35, 7, v1
	v_lshrrev_b32_e32 v37, 3, v38
	s_mov_b32 s31, exec_lo
	v_cmpx_gt_u32_e32 8, v38
; %bb.362:                              ;   in Loop: Header=BB236_200 Depth=1
	v_ffbh_u32_e32 v35, v35
	v_min_u32_e32 v35, 32, v35
	v_subrev_nc_u32_e32 v37, 28, v35
	v_lshlrev_b64 v[38:39], v37, v[1:2]
	v_sub_nc_u32_e32 v37, 29, v35
	v_and_b32_e32 v35, 7, v38
; %bb.363:                              ;   in Loop: Header=BB236_200 Depth=1
	s_or_b32 exec_lo, exec_lo, s31
	v_lshlrev_b32_e32 v1, 8, v1
	v_lshl_add_u32 v37, v37, 10, 0x2000
	v_lshlrev_b32_e32 v35, 23, v35
	v_and_or_b32 v1, 0x8000, v1, v37
	v_lshl_or_b32 v35, v1, 16, v35
.LBB236_364:                            ;   in Loop: Header=BB236_200 Depth=1
	s_or_b32 exec_lo, exec_lo, s30
.LBB236_365:                            ;   in Loop: Header=BB236_200 Depth=1
	s_or_b32 exec_lo, exec_lo, s29
.LBB236_366:                            ;   in Loop: Header=BB236_200 Depth=1
	s_or_b32 exec_lo, exec_lo, s28
	v_mov_b32_e32 v1, v6
	v_cmp_ne_u16_sdwa s1, v6, v2 src0_sel:BYTE_0 src1_sel:DWORD
	v_mov_b32_e32 v37, 0
	v_mov_b32_e32 v38, 0
	s_and_saveexec_b32 s28, s1
	s_cbranch_execz .LBB236_374
; %bb.367:                              ;   in Loop: Header=BB236_200 Depth=1
	v_cmp_ne_u16_sdwa s1, v6, v22 src0_sel:BYTE_0 src1_sel:DWORD
	v_mov_b32_e32 v38, 0x8000
	s_and_saveexec_b32 s29, s1
	s_cbranch_execz .LBB236_373
; %bb.368:                              ;   in Loop: Header=BB236_200 Depth=1
	v_and_b32_e32 v40, 0x7f, v6
	v_mov_b32_e32 v38, 0x7c01
	s_mov_b32 s30, exec_lo
	v_cmpx_ne_u32_e32 0x7f, v40
	s_cbranch_execz .LBB236_372
; %bb.369:                              ;   in Loop: Header=BB236_200 Depth=1
	v_and_b32_e32 v38, 7, v6
	v_lshrrev_b32_e32 v39, 3, v40
	s_mov_b32 s31, exec_lo
	v_cmpx_gt_u32_e32 8, v40
; %bb.370:                              ;   in Loop: Header=BB236_200 Depth=1
	v_ffbh_u32_e32 v38, v38
	v_min_u32_e32 v40, 32, v38
	v_subrev_nc_u32_e32 v38, 28, v40
	v_lshlrev_b64 v[38:39], v38, v[1:2]
	v_sub_nc_u32_e32 v39, 29, v40
	v_and_b32_e32 v38, 7, v38
; %bb.371:                              ;   in Loop: Header=BB236_200 Depth=1
	s_or_b32 exec_lo, exec_lo, s31
	v_lshlrev_b32_e32 v40, 8, v6
	v_lshl_add_u32 v39, v39, 10, 0x2000
	v_lshlrev_b32_e32 v38, 7, v38
	v_and_b32_e32 v40, 0x8000, v40
	v_and_b32_e32 v39, 0xfc00, v39
	v_or3_b32 v38, v40, v39, v38
.LBB236_372:                            ;   in Loop: Header=BB236_200 Depth=1
	s_or_b32 exec_lo, exec_lo, s30
.LBB236_373:                            ;   in Loop: Header=BB236_200 Depth=1
	s_or_b32 exec_lo, exec_lo, s29
.LBB236_374:                            ;   in Loop: Header=BB236_200 Depth=1
	s_or_b32 exec_lo, exec_lo, s28
	v_lshrrev_b16 v1, 8, v1
	v_mov_b32_e32 v39, 0
	s_mov_b32 s28, exec_lo
	v_cmpx_ne_u16_e32 0, v1
	s_cbranch_execz .LBB236_382
; %bb.375:                              ;   in Loop: Header=BB236_200 Depth=1
	v_bfrev_b32_e32 v39, 1
	s_mov_b32 s29, exec_lo
	v_cmpx_ne_u16_e32 0x80, v1
	s_cbranch_execz .LBB236_381
; %bb.376:                              ;   in Loop: Header=BB236_200 Depth=1
	v_and_b32_sdwa v41, v1, v23 dst_sel:DWORD dst_unused:UNUSED_PAD src0_sel:WORD_0 src1_sel:DWORD
	v_mov_b32_e32 v39, 0x7c010000
	s_mov_b32 s30, exec_lo
	v_cmpx_ne_u32_e32 0x7f, v41
	s_cbranch_execz .LBB236_380
; %bb.377:                              ;   in Loop: Header=BB236_200 Depth=1
	v_and_b32_sdwa v39, v1, v24 dst_sel:DWORD dst_unused:UNUSED_PAD src0_sel:WORD_0 src1_sel:DWORD
	v_lshrrev_b32_e32 v40, 3, v41
	s_mov_b32 s31, exec_lo
	v_cmpx_gt_u32_e32 8, v41
; %bb.378:                              ;   in Loop: Header=BB236_200 Depth=1
	v_ffbh_u32_e32 v39, v39
	v_min_u32_e32 v41, 32, v39
	v_subrev_nc_u32_e32 v39, 28, v41
	v_lshlrev_b64 v[39:40], v39, v[1:2]
	v_sub_nc_u32_e32 v40, 29, v41
	v_and_b32_e32 v39, 7, v39
; %bb.379:                              ;   in Loop: Header=BB236_200 Depth=1
	s_or_b32 exec_lo, exec_lo, s31
	v_lshlrev_b32_sdwa v1, v25, v1 dst_sel:DWORD dst_unused:UNUSED_PAD src0_sel:DWORD src1_sel:WORD_0
	v_lshl_add_u32 v40, v40, 10, 0x2000
	v_lshlrev_b32_e32 v39, 23, v39
	v_and_or_b32 v1, 0x8000, v1, v40
	v_lshl_or_b32 v39, v1, 16, v39
.LBB236_380:                            ;   in Loop: Header=BB236_200 Depth=1
	s_or_b32 exec_lo, exec_lo, s30
.LBB236_381:                            ;   in Loop: Header=BB236_200 Depth=1
	s_or_b32 exec_lo, exec_lo, s29
.LBB236_382:                            ;   in Loop: Header=BB236_200 Depth=1
	s_or_b32 exec_lo, exec_lo, s28
	v_lshrrev_b32_e32 v1, 16, v6
	v_cmp_ne_u16_sdwa s1, v1, v2 src0_sel:BYTE_0 src1_sel:DWORD
	s_and_saveexec_b32 s28, s1
	s_cbranch_execz .LBB236_390
; %bb.383:                              ;   in Loop: Header=BB236_200 Depth=1
	v_cmp_ne_u16_sdwa s1, v1, v22 src0_sel:BYTE_0 src1_sel:DWORD
	v_mov_b32_e32 v37, 0x8000
	s_and_saveexec_b32 s29, s1
	s_cbranch_execz .LBB236_389
; %bb.384:                              ;   in Loop: Header=BB236_200 Depth=1
	v_bfe_u32 v41, v6, 16, 7
	v_mov_b32_e32 v37, 0x7c01
	s_mov_b32 s30, exec_lo
	v_cmpx_ne_u32_e32 0x7f, v41
	s_cbranch_execz .LBB236_388
; %bb.385:                              ;   in Loop: Header=BB236_200 Depth=1
	v_and_b32_e32 v37, 7, v1
	v_lshrrev_b32_e32 v40, 3, v41
	s_mov_b32 s31, exec_lo
	v_cmpx_gt_u32_e32 8, v41
; %bb.386:                              ;   in Loop: Header=BB236_200 Depth=1
	v_ffbh_u32_e32 v37, v37
	v_min_u32_e32 v37, 32, v37
	v_subrev_nc_u32_e32 v40, 28, v37
	v_lshlrev_b64 v[41:42], v40, v[1:2]
	v_sub_nc_u32_e32 v40, 29, v37
	v_and_b32_e32 v37, 7, v41
; %bb.387:                              ;   in Loop: Header=BB236_200 Depth=1
	s_or_b32 exec_lo, exec_lo, s31
	v_lshlrev_b32_e32 v1, 8, v1
	v_lshl_add_u32 v40, v40, 10, 0x2000
	v_lshlrev_b32_e32 v37, 7, v37
	v_and_b32_e32 v1, 0x8000, v1
	v_and_b32_e32 v40, 0xfc00, v40
	v_or3_b32 v37, v1, v40, v37
.LBB236_388:                            ;   in Loop: Header=BB236_200 Depth=1
	s_or_b32 exec_lo, exec_lo, s30
.LBB236_389:                            ;   in Loop: Header=BB236_200 Depth=1
	s_or_b32 exec_lo, exec_lo, s29
.LBB236_390:                            ;   in Loop: Header=BB236_200 Depth=1
	s_or_b32 exec_lo, exec_lo, s28
	v_cmp_lt_u64_e64 s1, s[4:5], v[5:6]
	v_mov_b32_e32 v5, 0
	s_and_saveexec_b32 s28, s1
	s_cbranch_execz .LBB236_398
; %bb.391:                              ;   in Loop: Header=BB236_200 Depth=1
	v_lshrrev_b32_e32 v1, 24, v6
	v_bfrev_b32_e32 v5, 1
	s_mov_b32 s29, exec_lo
	v_cmpx_ne_u32_e32 0x80, v1
	s_cbranch_execz .LBB236_397
; %bb.392:                              ;   in Loop: Header=BB236_200 Depth=1
	v_and_b32_e32 v40, 0x7f, v1
	v_mov_b32_e32 v5, 0x7c010000
	s_mov_b32 s30, exec_lo
	v_cmpx_ne_u32_e32 0x7f, v40
	s_cbranch_execz .LBB236_396
; %bb.393:                              ;   in Loop: Header=BB236_200 Depth=1
	v_and_b32_e32 v5, 7, v1
	v_lshrrev_b32_e32 v6, 3, v40
	s_mov_b32 s31, exec_lo
	v_cmpx_gt_u32_e32 8, v40
; %bb.394:                              ;   in Loop: Header=BB236_200 Depth=1
	v_ffbh_u32_e32 v5, v5
	v_min_u32_e32 v40, 32, v5
	v_subrev_nc_u32_e32 v5, 28, v40
	v_lshlrev_b64 v[5:6], v5, v[1:2]
	v_sub_nc_u32_e32 v6, 29, v40
	v_and_b32_e32 v5, 7, v5
; %bb.395:                              ;   in Loop: Header=BB236_200 Depth=1
	s_or_b32 exec_lo, exec_lo, s31
	v_lshlrev_b32_e32 v1, 8, v1
	v_lshl_add_u32 v6, v6, 10, 0x2000
	v_lshlrev_b32_e32 v5, 23, v5
	v_and_or_b32 v1, 0x8000, v1, v6
	v_lshl_or_b32 v5, v1, 16, v5
.LBB236_396:                            ;   in Loop: Header=BB236_200 Depth=1
	s_or_b32 exec_lo, exec_lo, s30
.LBB236_397:                            ;   in Loop: Header=BB236_200 Depth=1
	s_or_b32 exec_lo, exec_lo, s29
.LBB236_398:                            ;   in Loop: Header=BB236_200 Depth=1
	s_or_b32 exec_lo, exec_lo, s28
	v_or_b32_e32 v1, v35, v36
	s_waitcnt vmcnt(0)
	v_fma_mixlo_f16 v6, v32, v35, 0 op_sel:[0,1,0] op_sel_hi:[0,1,0]
	v_or_b32_e32 v34, v33, v34
	v_or_b32_e32 v36, v39, v38
	;; [unrolled: 1-line block ×3, first 2 shown]
	v_fma_mixlo_f16 v1, v32, v1, 0 op_sel_hi:[0,1,0]
	v_fma_mixlo_f16 v35, v32, v33, 0 op_sel:[0,1,0] op_sel_hi:[0,1,0]
	v_lshlrev_b32_e32 v33, 16, v6
	v_fma_mixlo_f16 v6, v32, v34, 0 op_sel_hi:[0,1,0]
	v_fma_mixlo_f16 v36, v32, v36, 0 op_sel_hi:[0,1,0]
	v_and_b32_e32 v34, 0xffff, v1
	v_fma_mixlo_f16 v1, v32, v39, 0 op_sel:[0,1,0] op_sel_hi:[0,1,0]
	v_fma_mixlo_f16 v38, v32, v5, 0 op_sel:[0,1,0] op_sel_hi:[0,1,0]
	v_fma_mixlo_f16 v37, v32, v37, 0 op_sel_hi:[0,1,0]
	v_lshlrev_b32_e32 v35, 16, v35
	v_and_b32_e32 v40, 0xffff, v6
	v_lshlrev_b32_e32 v5, 16, v1
	v_and_b32_e32 v32, 0xffff, v36
	;; [unrolled: 2-line block ×3, first 2 shown]
	v_or_b32_e32 v38, v33, v34
	v_or_b32_e32 v39, v35, v40
	;; [unrolled: 1-line block ×4, first 2 shown]
	s_and_saveexec_b32 s1, s0
	s_cbranch_execz .LBB236_197
; %bb.399:                              ;   in Loop: Header=BB236_200 Depth=1
	v_add_nc_u32_e32 v36, 1, v12
	v_cmp_gt_i32_e64 s0, s33, v12
	v_add_nc_u32_e32 v37, 2, v12
	v_add_nc_u32_e32 v39, 3, v12
	v_cndmask_b32_e64 v38, 0, v40, s0
	v_cmp_gt_i32_e64 s0, s33, v36
	v_add_nc_u32_e32 v36, 4, v12
	v_cndmask_b32_e64 v35, 0, v35, s0
	v_cmp_gt_i32_e64 s0, s33, v37
	;; [unrolled: 3-line block ×5, first 2 shown]
	v_cndmask_b32_e64 v5, 0, v5, s0
	v_cmp_gt_i32_e64 s0, s33, v39
	v_or_b32_e32 v39, v35, v38
	v_or_b32_e32 v38, v33, v34
	;; [unrolled: 1-line block ×3, first 2 shown]
	v_cndmask_b32_e64 v6, 0, v6, s0
	v_cmp_gt_i32_e64 s0, s33, v36
	v_cndmask_b32_e64 v1, 0, v1, s0
	v_or_b32_e32 v36, v1, v6
	s_branch .LBB236_197
.LBB236_400:
	s_or_b32 exec_lo, exec_lo, s22
.LBB236_401:
	s_or_b32 exec_lo, exec_lo, s12
	s_movk_i32 s0, 0x140
	v_and_b32_e32 v2, 0x3c0, v0
	v_mad_u32_u24 v1, v11, s0, 0xc0
	s_mov_b32 s0, exec_lo
	s_barrier
	buffer_gl0_inv
	v_cmpx_eq_u32_e32 64, v2
	s_cbranch_execz .LBB236_404
; %bb.402:
	v_add_nc_u32_e32 v2, 0xfffffd80, v1
	v_cmp_gt_u32_e32 vcc_lo, 0x50, v18
	v_lshl_add_u32 v3, v13, 2, v2
	ds_write2_b32 v3, v17, v16 offset1:32
	s_and_b32 exec_lo, exec_lo, vcc_lo
; %bb.403:
	v_lshl_add_u32 v2, v18, 2, v2
	ds_write_b32 v2, v15
.LBB236_404:
	s_or_b32 exec_lo, exec_lo, s0
	v_lshl_add_u32 v2, v13, 2, v1
	s_mov_b32 s0, exec_lo
	s_waitcnt lgkmcnt(0)
	s_barrier
	buffer_gl0_inv
	v_cmpx_gt_u32_e32 64, v0
	s_cbranch_execz .LBB236_408
; %bb.405:
	v_lshl_or_b32 v3, v0, 2, 0x80
	s_mov_b32 s1, exec_lo
	v_add_nc_u32_e32 v4, v1, v3
	ds_read_b32 v3, v2
	ds_read_b32 v4, v4
	v_cmpx_gt_u32_e32 0x50, v18
	s_cbranch_execz .LBB236_407
; %bb.406:
	ds_read_b32 v5, v2 offset:256
	s_waitcnt lgkmcnt(0)
	v_add_f32_e32 v15, v15, v5
.LBB236_407:
	s_or_b32 exec_lo, exec_lo, s1
	s_waitcnt lgkmcnt(1)
	v_add_f32_e32 v17, v17, v3
	s_waitcnt lgkmcnt(0)
	v_add_f32_e32 v16, v16, v4
.LBB236_408:
	s_or_b32 exec_lo, exec_lo, s0
	v_and_b32_e32 v3, 0x3e0, v0
	s_mov_b32 s0, exec_lo
	s_barrier
	buffer_gl0_inv
	v_cmpx_eq_u32_e32 32, v3
	s_cbranch_execz .LBB236_411
; %bb.409:
	v_lshl_add_u32 v3, v13, 2, 0xc0
	v_cmp_gt_u32_e32 vcc_lo, 0x50, v18
	ds_write_b32 v3, v17
	ds_write_b32 v14, v16
	s_and_b32 exec_lo, exec_lo, vcc_lo
; %bb.410:
	ds_write_b32 v3, v15 offset:256
.LBB236_411:
	s_or_b32 exec_lo, exec_lo, s0
	v_cmp_gt_u32_e32 vcc_lo, 32, v0
	v_or_b32_e32 v3, 64, v0
	s_waitcnt lgkmcnt(0)
	s_barrier
	buffer_gl0_inv
	s_and_saveexec_b32 s1, vcc_lo
	s_cbranch_execz .LBB236_415
; %bb.412:
	v_lshl_add_u32 v4, v0, 2, v1
	s_mov_b32 s2, exec_lo
	ds_read_b32 v1, v2
	ds_read_b32 v2, v4 offset:128
	v_cmpx_gt_u32_e32 0x50, v3
	s_cbranch_execz .LBB236_414
; %bb.413:
	ds_read_b32 v4, v4 offset:256
	s_waitcnt lgkmcnt(0)
	v_add_f32_e32 v15, v15, v4
.LBB236_414:
	s_or_b32 exec_lo, exec_lo, s2
	s_waitcnt lgkmcnt(1)
	v_add_f32_e32 v17, v17, v1
	s_waitcnt lgkmcnt(0)
	v_add_f32_e32 v16, v16, v2
.LBB236_415:
	s_or_b32 exec_lo, exec_lo, s1
	s_barrier
	buffer_gl0_inv
	s_and_saveexec_b32 s0, vcc_lo
	s_cbranch_execz .LBB236_418
; %bb.416:
	s_mul_i32 s0, s10, s11
	s_mul_i32 s2, s11, s24
	;; [unrolled: 1-line block ×3, first 2 shown]
	v_lshlrev_b32_e32 v0, 1, v0
	s_mulk_i32 s0, 0x50
	v_cmp_gt_u32_e32 vcc_lo, 0x50, v3
	s_ashr_i32 s1, s0, 31
	;;#ASMSTART
	v_cvt_f16_f32 v1, v17;

	;;#ASMEND
	s_lshl_b64 s[0:1], s[0:1], 1
	s_add_u32 s4, s6, s0
	s_addc_u32 s5, s7, s1
	s_ashr_i32 s3, s2, 31
	s_lshl_b64 s[0:1], s[2:3], 1
	s_mul_i32 s2, s8, 0x50
	s_add_u32 s4, s4, s0
	s_addc_u32 s5, s5, s1
	s_ashr_i32 s3, s2, 31
	s_lshl_b64 s[0:1], s[2:3], 1
	s_add_u32 s0, s4, s0
	s_addc_u32 s1, s5, s1
	global_store_short v0, v1, s[0:1]
	;;#ASMSTART
	v_cvt_f16_f32 v1, v16;

	;;#ASMEND
	global_store_short v0, v1, s[0:1] offset:64
	s_and_b32 exec_lo, exec_lo, vcc_lo
	s_cbranch_execz .LBB236_418
; %bb.417:
	v_add_co_u32 v0, s0, s0, v0
	v_add_co_ci_u32_e64 v1, null, s1, 0, s0
	;;#ASMSTART
	v_cvt_f16_f32 v2, v15;

	;;#ASMEND
	global_store_short v[0:1], v2, off offset:128
.LBB236_418:
	s_endpgm
	.section	.rodata,"a",@progbits
	.p2align	6, 0x0
	.amdhsa_kernel _ZN4vllm25paged_attention_v1_kernelIthLi80ELi8ELi128ELNS_18Fp8KVCacheDataTypeE1ELb1EEEvPT_PKS2_PKT0_S8_ifPKiSA_iPKfiiiSC_SC_iiiii
		.amdhsa_group_segment_fixed_size 192
		.amdhsa_private_segment_fixed_size 0
		.amdhsa_kernarg_size 384
		.amdhsa_user_sgpr_count 6
		.amdhsa_user_sgpr_private_segment_buffer 1
		.amdhsa_user_sgpr_dispatch_ptr 0
		.amdhsa_user_sgpr_queue_ptr 0
		.amdhsa_user_sgpr_kernarg_segment_ptr 1
		.amdhsa_user_sgpr_dispatch_id 0
		.amdhsa_user_sgpr_flat_scratch_init 0
		.amdhsa_user_sgpr_private_segment_size 0
		.amdhsa_wavefront_size32 1
		.amdhsa_uses_dynamic_stack 0
		.amdhsa_system_sgpr_private_segment_wavefront_offset 0
		.amdhsa_system_sgpr_workgroup_id_x 1
		.amdhsa_system_sgpr_workgroup_id_y 1
		.amdhsa_system_sgpr_workgroup_id_z 1
		.amdhsa_system_sgpr_workgroup_info 0
		.amdhsa_system_vgpr_workitem_id 0
		.amdhsa_next_free_vgpr 62
		.amdhsa_next_free_sgpr 44
		.amdhsa_reserve_vcc 1
		.amdhsa_reserve_flat_scratch 0
		.amdhsa_float_round_mode_32 0
		.amdhsa_float_round_mode_16_64 0
		.amdhsa_float_denorm_mode_32 3
		.amdhsa_float_denorm_mode_16_64 3
		.amdhsa_dx10_clamp 1
		.amdhsa_ieee_mode 1
		.amdhsa_fp16_overflow 0
		.amdhsa_workgroup_processor_mode 1
		.amdhsa_memory_ordered 1
		.amdhsa_forward_progress 1
		.amdhsa_shared_vgpr_count 0
		.amdhsa_exception_fp_ieee_invalid_op 0
		.amdhsa_exception_fp_denorm_src 0
		.amdhsa_exception_fp_ieee_div_zero 0
		.amdhsa_exception_fp_ieee_overflow 0
		.amdhsa_exception_fp_ieee_underflow 0
		.amdhsa_exception_fp_ieee_inexact 0
		.amdhsa_exception_int_div_zero 0
	.end_amdhsa_kernel
	.section	.text._ZN4vllm25paged_attention_v1_kernelIthLi80ELi8ELi128ELNS_18Fp8KVCacheDataTypeE1ELb1EEEvPT_PKS2_PKT0_S8_ifPKiSA_iPKfiiiSC_SC_iiiii,"axG",@progbits,_ZN4vllm25paged_attention_v1_kernelIthLi80ELi8ELi128ELNS_18Fp8KVCacheDataTypeE1ELb1EEEvPT_PKS2_PKT0_S8_ifPKiSA_iPKfiiiSC_SC_iiiii,comdat
.Lfunc_end236:
	.size	_ZN4vllm25paged_attention_v1_kernelIthLi80ELi8ELi128ELNS_18Fp8KVCacheDataTypeE1ELb1EEEvPT_PKS2_PKT0_S8_ifPKiSA_iPKfiiiSC_SC_iiiii, .Lfunc_end236-_ZN4vllm25paged_attention_v1_kernelIthLi80ELi8ELi128ELNS_18Fp8KVCacheDataTypeE1ELb1EEEvPT_PKS2_PKT0_S8_ifPKiSA_iPKfiiiSC_SC_iiiii
                                        ; -- End function
	.set _ZN4vllm25paged_attention_v1_kernelIthLi80ELi8ELi128ELNS_18Fp8KVCacheDataTypeE1ELb1EEEvPT_PKS2_PKT0_S8_ifPKiSA_iPKfiiiSC_SC_iiiii.num_vgpr, 62
	.set _ZN4vllm25paged_attention_v1_kernelIthLi80ELi8ELi128ELNS_18Fp8KVCacheDataTypeE1ELb1EEEvPT_PKS2_PKT0_S8_ifPKiSA_iPKfiiiSC_SC_iiiii.num_agpr, 0
	.set _ZN4vllm25paged_attention_v1_kernelIthLi80ELi8ELi128ELNS_18Fp8KVCacheDataTypeE1ELb1EEEvPT_PKS2_PKT0_S8_ifPKiSA_iPKfiiiSC_SC_iiiii.numbered_sgpr, 44
	.set _ZN4vllm25paged_attention_v1_kernelIthLi80ELi8ELi128ELNS_18Fp8KVCacheDataTypeE1ELb1EEEvPT_PKS2_PKT0_S8_ifPKiSA_iPKfiiiSC_SC_iiiii.num_named_barrier, 0
	.set _ZN4vllm25paged_attention_v1_kernelIthLi80ELi8ELi128ELNS_18Fp8KVCacheDataTypeE1ELb1EEEvPT_PKS2_PKT0_S8_ifPKiSA_iPKfiiiSC_SC_iiiii.private_seg_size, 0
	.set _ZN4vllm25paged_attention_v1_kernelIthLi80ELi8ELi128ELNS_18Fp8KVCacheDataTypeE1ELb1EEEvPT_PKS2_PKT0_S8_ifPKiSA_iPKfiiiSC_SC_iiiii.uses_vcc, 1
	.set _ZN4vllm25paged_attention_v1_kernelIthLi80ELi8ELi128ELNS_18Fp8KVCacheDataTypeE1ELb1EEEvPT_PKS2_PKT0_S8_ifPKiSA_iPKfiiiSC_SC_iiiii.uses_flat_scratch, 0
	.set _ZN4vllm25paged_attention_v1_kernelIthLi80ELi8ELi128ELNS_18Fp8KVCacheDataTypeE1ELb1EEEvPT_PKS2_PKT0_S8_ifPKiSA_iPKfiiiSC_SC_iiiii.has_dyn_sized_stack, 0
	.set _ZN4vllm25paged_attention_v1_kernelIthLi80ELi8ELi128ELNS_18Fp8KVCacheDataTypeE1ELb1EEEvPT_PKS2_PKT0_S8_ifPKiSA_iPKfiiiSC_SC_iiiii.has_recursion, 0
	.set _ZN4vllm25paged_attention_v1_kernelIthLi80ELi8ELi128ELNS_18Fp8KVCacheDataTypeE1ELb1EEEvPT_PKS2_PKT0_S8_ifPKiSA_iPKfiiiSC_SC_iiiii.has_indirect_call, 0
	.section	.AMDGPU.csdata,"",@progbits
; Kernel info:
; codeLenInByte = 15120
; TotalNumSgprs: 46
; NumVgprs: 62
; ScratchSize: 0
; MemoryBound: 0
; FloatMode: 240
; IeeeMode: 1
; LDSByteSize: 192 bytes/workgroup (compile time only)
; SGPRBlocks: 0
; VGPRBlocks: 7
; NumSGPRsForWavesPerEU: 46
; NumVGPRsForWavesPerEU: 62
; Occupancy: 16
; WaveLimiterHint : 1
; COMPUTE_PGM_RSRC2:SCRATCH_EN: 0
; COMPUTE_PGM_RSRC2:USER_SGPR: 6
; COMPUTE_PGM_RSRC2:TRAP_HANDLER: 0
; COMPUTE_PGM_RSRC2:TGID_X_EN: 1
; COMPUTE_PGM_RSRC2:TGID_Y_EN: 1
; COMPUTE_PGM_RSRC2:TGID_Z_EN: 1
; COMPUTE_PGM_RSRC2:TIDIG_COMP_CNT: 0
	.section	.text._ZN4vllm25paged_attention_v1_kernelIthLi96ELi8ELi128ELNS_18Fp8KVCacheDataTypeE1ELb1EEEvPT_PKS2_PKT0_S8_ifPKiSA_iPKfiiiSC_SC_iiiii,"axG",@progbits,_ZN4vllm25paged_attention_v1_kernelIthLi96ELi8ELi128ELNS_18Fp8KVCacheDataTypeE1ELb1EEEvPT_PKS2_PKT0_S8_ifPKiSA_iPKfiiiSC_SC_iiiii,comdat
	.protected	_ZN4vllm25paged_attention_v1_kernelIthLi96ELi8ELi128ELNS_18Fp8KVCacheDataTypeE1ELb1EEEvPT_PKS2_PKT0_S8_ifPKiSA_iPKfiiiSC_SC_iiiii ; -- Begin function _ZN4vllm25paged_attention_v1_kernelIthLi96ELi8ELi128ELNS_18Fp8KVCacheDataTypeE1ELb1EEEvPT_PKS2_PKT0_S8_ifPKiSA_iPKfiiiSC_SC_iiiii
	.globl	_ZN4vllm25paged_attention_v1_kernelIthLi96ELi8ELi128ELNS_18Fp8KVCacheDataTypeE1ELb1EEEvPT_PKS2_PKT0_S8_ifPKiSA_iPKfiiiSC_SC_iiiii
	.p2align	8
	.type	_ZN4vllm25paged_attention_v1_kernelIthLi96ELi8ELi128ELNS_18Fp8KVCacheDataTypeE1ELb1EEEvPT_PKS2_PKT0_S8_ifPKiSA_iPKfiiiSC_SC_iiiii,@function
_ZN4vllm25paged_attention_v1_kernelIthLi96ELi8ELi128ELNS_18Fp8KVCacheDataTypeE1ELb1EEEvPT_PKS2_PKT0_S8_ifPKiSA_iPKfiiiSC_SC_iiiii: ; @_ZN4vllm25paged_attention_v1_kernelIthLi96ELi8ELi128ELNS_18Fp8KVCacheDataTypeE1ELb1EEEvPT_PKS2_PKT0_S8_ifPKiSA_iPKfiiiSC_SC_iiiii
; %bb.0:
	s_clause 0x2
	s_load_dword s9, s[4:5], 0x80
	s_load_dwordx2 s[0:1], s[4:5], 0x30
	s_load_dwordx2 s[34:35], s[4:5], 0x20
	s_mov_b32 s10, s7
	s_ashr_i32 s11, s7, 31
	s_mov_b32 s36, 0
	s_lshl_b64 s[2:3], s[10:11], 2
	s_waitcnt lgkmcnt(0)
	s_add_u32 s0, s0, s2
	s_addc_u32 s1, s1, s3
	s_abs_i32 s2, s34
	s_abs_i32 s11, s9
	v_cvt_f32_u32_e32 v1, s2
	s_sub_i32 s7, 0, s2
	v_rcp_iflag_f32_e32 v1, v1
	v_mul_f32_e32 v1, 0x4f7ffffe, v1
	v_cvt_u32_f32_e32 v1, v1
	v_readfirstlane_b32 s3, v1
	s_mul_i32 s7, s7, s3
	s_mul_hi_u32 s7, s3, s7
	s_add_i32 s3, s3, s7
	s_xor_b32 s7, s9, s34
	s_mul_hi_u32 s3, s11, s3
	s_ashr_i32 s7, s7, 31
	s_mul_i32 s12, s3, s2
	s_sub_i32 s11, s11, s12
	s_add_i32 s12, s3, 1
	s_sub_i32 s13, s11, s2
	s_cmp_ge_u32 s11, s2
	s_cselect_b32 s3, s12, s3
	s_cselect_b32 s11, s13, s11
	s_add_i32 s12, s3, 1
	s_cmp_ge_u32 s11, s2
	s_cselect_b32 s2, s12, s3
	s_abs_i32 s13, s6
	s_xor_b32 s2, s2, s7
	s_sub_i32 s15, s2, s7
	s_load_dwordx2 s[2:3], s[4:5], 0x40
	s_abs_i32 s12, s15
	v_cvt_f32_u32_e32 v1, s12
	s_sub_i32 s11, 0, s12
	v_rcp_iflag_f32_e32 v1, v1
	v_mul_f32_e32 v1, 0x4f7ffffe, v1
	v_cvt_u32_f32_e32 v1, v1
	v_readfirstlane_b32 s7, v1
	s_mul_i32 s11, s11, s7
	s_mul_hi_u32 s11, s7, s11
	s_add_i32 s7, s7, s11
	s_waitcnt lgkmcnt(0)
	s_cmp_eq_u64 s[2:3], 0
	s_mul_hi_u32 s14, s13, s7
	s_cbranch_scc1 .LBB237_2
; %bb.1:
	s_ashr_i32 s7, s6, 31
	s_lshl_b64 s[16:17], s[6:7], 2
	s_add_u32 s2, s2, s16
	s_addc_u32 s3, s3, s17
	s_load_dword s36, s[2:3], 0x0
.LBB237_2:
	s_load_dword s11, s[0:1], 0x0
	s_load_dwordx4 s[16:19], s[4:5], 0x48
	v_and_b32_e32 v1, 3, v0
	s_ashr_i32 s0, s6, 31
	s_ashr_i32 s1, s15, 31
	s_mul_i32 s24, s6, 0x60
	s_mov_b32 s2, exec_lo
	v_cmpx_gt_u32_e32 48, v0
	s_cbranch_execz .LBB237_4
; %bb.3:
	s_load_dwordx2 s[20:21], s[4:5], 0x8
	s_waitcnt lgkmcnt(0)
	s_mul_i32 s22, s16, s10
	v_lshlrev_b32_e32 v2, 2, v0
	s_ashr_i32 s23, s22, 31
	v_and_b32_e32 v3, 0x3fc, v0
	s_lshl_b64 s[22:23], s[22:23], 1
	v_mad_u32_u24 v3, v1, 48, v3
	s_add_u32 s3, s20, s22
	s_addc_u32 s7, s21, s23
	s_ashr_i32 s25, s24, 31
	s_lshl_b64 s[20:21], s[24:25], 1
	s_add_u32 s20, s3, s20
	s_addc_u32 s21, s7, s21
	global_load_dword v2, v2, s[20:21]
	s_waitcnt vmcnt(0)
	ds_write_b32 v3, v2
.LBB237_4:
	s_or_b32 exec_lo, exec_lo, s2
	s_load_dwordx4 s[20:23], s[4:5], 0x68
	s_mul_i32 s2, s14, s12
	s_xor_b32 s1, s0, s1
	s_sub_i32 s0, s13, s2
	s_add_i32 s2, s14, 1
	s_sub_i32 s3, s0, s12
	s_cmp_ge_u32 s0, s12
	s_mov_b32 s13, -1
	s_cselect_b32 s2, s2, s14
	s_cselect_b32 s0, s3, s0
	s_add_i32 s3, s2, 1
	s_cmp_ge_u32 s0, s12
	s_load_dword s0, s[4:5], 0x78
	s_cselect_b32 s2, s3, s2
	s_waitcnt lgkmcnt(0)
	s_add_i32 s7, s11, -1
	s_xor_b32 s2, s2, s1
	s_abs_i32 s3, s7
	s_sub_i32 s1, s2, s1
	s_barrier
	s_abs_i32 s19, s23
	buffer_gl0_inv
	v_cvt_f32_u32_e32 v2, s19
	s_sub_i32 s2, 0, s19
                                        ; implicit-def: $sgpr33
	v_rcp_iflag_f32_e32 v2, v2
	v_mul_f32_e32 v2, 0x4f7ffffe, v2
	v_cvt_u32_f32_e32 v2, v2
	v_readfirstlane_b32 s25, v2
	s_mul_i32 s2, s2, s25
	s_mul_hi_u32 s2, s25, s2
	s_add_i32 s25, s25, s2
	s_cmp_lt_i32 s0, 0
	s_mul_hi_u32 s2, s3, s25
	s_cbranch_scc0 .LBB237_6
; %bb.5:
	s_mul_i32 s12, s20, s34
	s_mov_b32 s13, 0
	s_add_i32 s12, s1, s12
	s_mul_i32 s12, s12, s0
	s_sub_i32 s33, 1, s12
.LBB237_6:
	s_load_dwordx2 s[26:27], s[4:5], 0x28
	s_ashr_i32 s12, s7, 31
	s_andn2_b32 vcc_lo, exec_lo, s13
	s_ashr_i32 s23, s23, 31
	s_cbranch_vccnz .LBB237_8
; %bb.7:
	s_mul_i32 s7, s9, s20
	s_add_i32 s6, s7, s6
	s_mul_i32 s0, s6, s0
	s_add_i32 s33, s0, 1
.LBB237_8:
	s_clause 0x2
	s_load_dword s0, s[4:5], 0x38
	s_load_dwordx2 s[6:7], s[4:5], 0x0
	s_load_dwordx2 s[30:31], s[4:5], 0x18
	s_xor_b32 s34, s12, s23
	s_mul_i32 s12, s2, s19
	s_add_i32 s20, s2, 1
	s_sub_i32 s3, s3, s12
	s_clause 0x1
	s_load_dword s16, s[4:5], 0x88
	s_load_dwordx4 s[12:15], s[4:5], 0x58
	v_lshrrev_b32_e32 v11, 5, v0
	v_mov_b32_e32 v15, 0xff7fffff
	v_lshrrev_b32_e32 v9, 3, v0
	v_mbcnt_lo_u32_b32 v10, -1, 0
	s_mul_i32 s18, s1, s18
	v_lshlrev_b32_e32 v12, 3, v11
	s_waitcnt lgkmcnt(0)
	s_mul_i32 s28, s0, s10
	s_sub_i32 s0, s3, s19
	s_ashr_i32 s29, s28, 31
	s_cmp_ge_u32 s3, s19
	s_cselect_b32 s2, s20, s2
	s_cselect_b32 s0, s0, s3
	s_add_i32 s3, s2, 1
	s_cmp_ge_u32 s0, s19
	s_cselect_b32 s0, s3, s2
	s_add_i32 s2, s11, 7
	s_ashr_i32 s3, s2, 31
	s_lshr_b32 s3, s3, 29
	s_add_i32 s2, s2, s3
	s_ashr_i32 s20, s2, 3
	s_xor_b32 s2, s0, s34
	v_cmp_gt_i32_e64 s0, s20, v11
	s_sub_i32 s34, s2, s34
	s_and_saveexec_b32 s37, s0
	s_cbranch_execz .LBB237_212
; %bb.9:
	s_load_dwordx2 s[2:3], s[4:5], 0x10
	s_sub_i32 s4, s34, s21
	s_ashr_i32 s1, s18, 31
	v_bfe_u32 v13, v0, 2, 3
	v_cmp_eq_u32_e32 vcc_lo, 0, v1
	v_lshlrev_b32_e32 v5, 1, v1
	v_mul_u32_u24_e32 v14, 48, v1
	v_and_b32_e32 v1, 0x7c, v9
	v_lshlrev_b32_e32 v4, 2, v13
	v_subrev_nc_u32_e32 v6, s11, v13
	v_mov_b32_e32 v2, 0
	v_lshlrev_b32_e32 v16, 3, v11
	v_mov_b32_e32 v17, 0xff7fffff
	v_lshl_or_b32 v4, v11, 5, v4
	v_add_nc_u32_e32 v22, 1, v6
	v_mov_b32_e32 v18, 0x80
	v_mov_b32_e32 v19, 0x7f
	;; [unrolled: 1-line block ×3, first 2 shown]
	v_add_nc_u32_e32 v23, 0xe0, v4
	v_mov_b32_e32 v21, 8
	s_waitcnt lgkmcnt(0)
	s_add_u32 s38, s2, s18
	s_addc_u32 s39, s3, s1
	s_abs_i32 s5, s22
	v_cmp_neq_f32_e64 s1, s36, 0
	v_cvt_f32_u32_e32 v3, s5
	s_sub_i32 s2, 0, s5
	v_mov_b32_e32 v15, 0xff7fffff
	v_mov_b32_e32 v25, v11
	v_rcp_iflag_f32_e32 v3, v3
	v_mul_f32_e32 v3, 0x4f7ffffe, v3
	v_cvt_u32_f32_e32 v7, v3
	v_lshlrev_b32_e32 v3, 4, v13
	v_mul_lo_u32 v4, s2, v7
	s_lshl_b64 s[2:3], s[28:29], 2
	v_add_co_u32 v6, s38, s38, v3
	s_add_u32 s2, s26, s2
	v_add_co_ci_u32_e64 v8, null, s39, 0, s38
	s_addc_u32 s3, s27, s3
	v_mul_hi_u32 v24, v7, v4
	v_add_co_u32 v3, s2, s2, v1
	v_add_co_ci_u32_e64 v4, null, s3, 0, s2
	v_add_co_u32 v5, s2, v6, v5
	v_add_co_ci_u32_e64 v6, null, 0, v8, s2
	v_add_nc_u32_e32 v24, v7, v24
	s_mov_b32 s38, 0
	s_mov_b32 s39, s17
	s_branch .LBB237_12
.LBB237_10:                             ;   in Loop: Header=BB237_12 Depth=1
	s_or_b32 exec_lo, exec_lo, s40
.LBB237_11:                             ;   in Loop: Header=BB237_12 Depth=1
	s_or_b32 exec_lo, exec_lo, s3
	v_add_nc_u32_e32 v25, 4, v25
	v_add_co_u32 v3, s3, v3, 16
	v_add_co_ci_u32_e64 v4, null, 0, v4, s3
	v_cmp_le_i32_e64 s2, s20, v25
	v_add_nc_u32_e32 v16, 32, v16
	v_add_nc_u32_e32 v23, 0x80, v23
	s_or_b32 s38, s2, s38
	s_andn2_b32 exec_lo, exec_lo, s38
	s_cbranch_execz .LBB237_211
.LBB237_12:                             ; =>This Inner Loop Header: Depth=1
	v_mul_hi_u32 v1, v16, s25
	s_waitcnt lgkmcnt(0)
	v_mul_lo_u32 v7, v1, s19
	v_add_nc_u32_e32 v8, 1, v1
	v_sub_nc_u32_e32 v7, v16, v7
	v_subrev_nc_u32_e32 v26, s19, v7
	v_cmp_le_u32_e64 s2, s19, v7
	v_cndmask_b32_e64 v1, v1, v8, s2
	v_cndmask_b32_e64 v7, v7, v26, s2
	v_add_nc_u32_e32 v8, 1, v1
	v_cmp_le_u32_e64 s2, s19, v7
	v_cndmask_b32_e64 v1, v1, v8, s2
	v_xor_b32_e32 v1, s23, v1
	v_subrev_nc_u32_e32 v1, s23, v1
	v_add_nc_u32_e32 v7, s33, v1
	v_cmp_ge_i32_e64 s3, s4, v1
	v_sub_nc_u32_e32 v8, 0, v7
	v_max_i32_e32 v8, v7, v8
	v_ashrrev_i32_e32 v7, 31, v7
	v_mul_hi_u32 v26, v8, v24
	v_mul_lo_u32 v26, v26, s5
	v_sub_nc_u32_e32 v8, v8, v26
	v_subrev_nc_u32_e32 v26, s5, v8
	v_cmp_le_u32_e64 s2, s5, v8
	v_cndmask_b32_e64 v8, v8, v26, s2
	v_subrev_nc_u32_e32 v26, s5, v8
	v_cmp_le_u32_e64 s2, s5, v8
	v_cndmask_b32_e64 v8, v8, v26, s2
	v_xor_b32_e32 v8, v8, v7
	v_sub_nc_u32_e32 v7, v8, v7
	v_cmp_ne_u32_e64 s2, 0, v7
	s_and_b32 s2, s2, s3
	s_and_saveexec_b32 s3, s2
	s_xor_b32 s2, exec_lo, s3
	s_cbranch_execz .LBB237_16
; %bb.13:                               ;   in Loop: Header=BB237_12 Depth=1
	s_and_saveexec_b32 s3, vcc_lo
; %bb.14:                               ;   in Loop: Header=BB237_12 Depth=1
	ds_write_b32 v23, v17
; %bb.15:                               ;   in Loop: Header=BB237_12 Depth=1
	s_or_b32 exec_lo, exec_lo, s3
.LBB237_16:                             ;   in Loop: Header=BB237_12 Depth=1
	s_andn2_saveexec_b32 s3, s2
	s_cbranch_execz .LBB237_11
; %bb.17:                               ;   in Loop: Header=BB237_12 Depth=1
	global_load_dword v1, v[3:4], off
	v_mov_b32_e32 v27, 0
	global_load_dword v26, v27, s[12:13]
	s_waitcnt vmcnt(1)
	v_mad_i64_i32 v[7:8], null, v1, s39, v[5:6]
	global_load_ushort v28, v[7:8], off
	s_waitcnt vmcnt(0)
	v_and_b32_e32 v1, 0xffff, v28
	v_cmp_ne_u16_sdwa s2, v28, v2 src0_sel:BYTE_0 src1_sel:DWORD
	v_mov_b32_e32 v28, 0
	s_and_saveexec_b32 s40, s2
	s_cbranch_execz .LBB237_25
; %bb.18:                               ;   in Loop: Header=BB237_12 Depth=1
	v_cmp_ne_u16_sdwa s2, v1, v18 src0_sel:BYTE_0 src1_sel:DWORD
	v_mov_b32_e32 v28, 0x8000
	s_and_saveexec_b32 s41, s2
	s_cbranch_execz .LBB237_24
; %bb.19:                               ;   in Loop: Header=BB237_12 Depth=1
	v_and_b32_e32 v30, 0x7f, v1
	v_mov_b32_e32 v28, 0x7c01
	s_mov_b32 s42, exec_lo
	v_cmpx_ne_u32_e32 0x7f, v30
	s_cbranch_execz .LBB237_23
; %bb.20:                               ;   in Loop: Header=BB237_12 Depth=1
	v_and_b32_e32 v28, 7, v1
	v_lshrrev_b32_e32 v29, 3, v30
	s_mov_b32 s43, exec_lo
	v_cmpx_gt_u32_e32 8, v30
; %bb.21:                               ;   in Loop: Header=BB237_12 Depth=1
	v_ffbh_u32_e32 v28, v28
	v_min_u32_e32 v30, 32, v28
	v_subrev_nc_u32_e32 v28, 28, v30
	v_lshlrev_b64 v[28:29], v28, v[1:2]
	v_sub_nc_u32_e32 v29, 29, v30
	v_and_b32_e32 v28, 7, v28
; %bb.22:                               ;   in Loop: Header=BB237_12 Depth=1
	s_or_b32 exec_lo, exec_lo, s43
	v_lshlrev_b32_e32 v30, 8, v1
	v_lshl_add_u32 v29, v29, 10, 0x2000
	v_lshlrev_b32_e32 v28, 7, v28
	v_and_b32_e32 v30, 0x8000, v30
	v_and_b32_e32 v29, 0xfc00, v29
	v_or3_b32 v28, v30, v29, v28
.LBB237_23:                             ;   in Loop: Header=BB237_12 Depth=1
	s_or_b32 exec_lo, exec_lo, s42
.LBB237_24:                             ;   in Loop: Header=BB237_12 Depth=1
	s_or_b32 exec_lo, exec_lo, s41
.LBB237_25:                             ;   in Loop: Header=BB237_12 Depth=1
	s_or_b32 exec_lo, exec_lo, s40
	v_lshrrev_b16 v1, 8, v1
	s_mov_b32 s40, exec_lo
	v_cmpx_ne_u16_e32 0, v1
	s_cbranch_execz .LBB237_33
; %bb.26:                               ;   in Loop: Header=BB237_12 Depth=1
	v_bfrev_b32_e32 v27, 1
	s_mov_b32 s41, exec_lo
	v_cmpx_ne_u16_e32 0x80, v1
	s_cbranch_execz .LBB237_32
; %bb.27:                               ;   in Loop: Header=BB237_12 Depth=1
	v_and_b32_sdwa v30, v1, v19 dst_sel:DWORD dst_unused:UNUSED_PAD src0_sel:WORD_0 src1_sel:DWORD
	v_mov_b32_e32 v27, 0x7c010000
	s_mov_b32 s42, exec_lo
	v_cmpx_ne_u32_e32 0x7f, v30
	s_cbranch_execz .LBB237_31
; %bb.28:                               ;   in Loop: Header=BB237_12 Depth=1
	v_and_b32_sdwa v27, v1, v20 dst_sel:DWORD dst_unused:UNUSED_PAD src0_sel:WORD_0 src1_sel:DWORD
	v_lshrrev_b32_e32 v29, 3, v30
	s_mov_b32 s43, exec_lo
	v_cmpx_gt_u32_e32 8, v30
; %bb.29:                               ;   in Loop: Header=BB237_12 Depth=1
	v_ffbh_u32_e32 v27, v27
	v_min_u32_e32 v27, 32, v27
	v_subrev_nc_u32_e32 v29, 28, v27
	v_lshlrev_b64 v[30:31], v29, v[1:2]
	v_sub_nc_u32_e32 v29, 29, v27
	v_and_b32_e32 v27, 7, v30
; %bb.30:                               ;   in Loop: Header=BB237_12 Depth=1
	s_or_b32 exec_lo, exec_lo, s43
	v_lshlrev_b32_sdwa v1, v21, v1 dst_sel:DWORD dst_unused:UNUSED_PAD src0_sel:DWORD src1_sel:WORD_0
	v_lshl_add_u32 v29, v29, 10, 0x2000
	v_lshlrev_b32_e32 v27, 23, v27
	v_and_or_b32 v1, 0x8000, v1, v29
	v_lshl_or_b32 v27, v1, 16, v27
.LBB237_31:                             ;   in Loop: Header=BB237_12 Depth=1
	s_or_b32 exec_lo, exec_lo, s42
.LBB237_32:                             ;   in Loop: Header=BB237_12 Depth=1
	s_or_b32 exec_lo, exec_lo, s41
.LBB237_33:                             ;   in Loop: Header=BB237_12 Depth=1
	s_or_b32 exec_lo, exec_lo, s40
	global_load_ushort v30, v[7:8], off offset:8
	v_mov_b32_e32 v29, 0
	s_waitcnt vmcnt(0)
	v_and_b32_e32 v1, 0xffff, v30
	v_cmp_ne_u16_sdwa s2, v30, v2 src0_sel:BYTE_0 src1_sel:DWORD
	v_mov_b32_e32 v30, 0
	s_and_saveexec_b32 s40, s2
	s_cbranch_execz .LBB237_41
; %bb.34:                               ;   in Loop: Header=BB237_12 Depth=1
	v_cmp_ne_u16_sdwa s2, v1, v18 src0_sel:BYTE_0 src1_sel:DWORD
	v_mov_b32_e32 v30, 0x8000
	s_and_saveexec_b32 s41, s2
	s_cbranch_execz .LBB237_40
; %bb.35:                               ;   in Loop: Header=BB237_12 Depth=1
	v_and_b32_e32 v32, 0x7f, v1
	v_mov_b32_e32 v30, 0x7c01
	s_mov_b32 s42, exec_lo
	v_cmpx_ne_u32_e32 0x7f, v32
	s_cbranch_execz .LBB237_39
; %bb.36:                               ;   in Loop: Header=BB237_12 Depth=1
	v_and_b32_e32 v30, 7, v1
	v_lshrrev_b32_e32 v31, 3, v32
	s_mov_b32 s43, exec_lo
	v_cmpx_gt_u32_e32 8, v32
; %bb.37:                               ;   in Loop: Header=BB237_12 Depth=1
	v_ffbh_u32_e32 v30, v30
	v_min_u32_e32 v32, 32, v30
	v_subrev_nc_u32_e32 v30, 28, v32
	v_lshlrev_b64 v[30:31], v30, v[1:2]
	v_sub_nc_u32_e32 v31, 29, v32
	v_and_b32_e32 v30, 7, v30
; %bb.38:                               ;   in Loop: Header=BB237_12 Depth=1
	s_or_b32 exec_lo, exec_lo, s43
	v_lshlrev_b32_e32 v32, 8, v1
	v_lshl_add_u32 v31, v31, 10, 0x2000
	v_lshlrev_b32_e32 v30, 7, v30
	v_and_b32_e32 v32, 0x8000, v32
	v_and_b32_e32 v31, 0xfc00, v31
	v_or3_b32 v30, v32, v31, v30
.LBB237_39:                             ;   in Loop: Header=BB237_12 Depth=1
	s_or_b32 exec_lo, exec_lo, s42
.LBB237_40:                             ;   in Loop: Header=BB237_12 Depth=1
	s_or_b32 exec_lo, exec_lo, s41
.LBB237_41:                             ;   in Loop: Header=BB237_12 Depth=1
	s_or_b32 exec_lo, exec_lo, s40
	v_lshrrev_b16 v1, 8, v1
	s_mov_b32 s40, exec_lo
	v_cmpx_ne_u16_e32 0, v1
	s_cbranch_execz .LBB237_49
; %bb.42:                               ;   in Loop: Header=BB237_12 Depth=1
	v_bfrev_b32_e32 v29, 1
	s_mov_b32 s41, exec_lo
	v_cmpx_ne_u16_e32 0x80, v1
	s_cbranch_execz .LBB237_48
; %bb.43:                               ;   in Loop: Header=BB237_12 Depth=1
	v_and_b32_sdwa v32, v1, v19 dst_sel:DWORD dst_unused:UNUSED_PAD src0_sel:WORD_0 src1_sel:DWORD
	v_mov_b32_e32 v29, 0x7c010000
	s_mov_b32 s42, exec_lo
	v_cmpx_ne_u32_e32 0x7f, v32
	s_cbranch_execz .LBB237_47
; %bb.44:                               ;   in Loop: Header=BB237_12 Depth=1
	v_and_b32_sdwa v29, v1, v20 dst_sel:DWORD dst_unused:UNUSED_PAD src0_sel:WORD_0 src1_sel:DWORD
	v_lshrrev_b32_e32 v31, 3, v32
	s_mov_b32 s43, exec_lo
	v_cmpx_gt_u32_e32 8, v32
; %bb.45:                               ;   in Loop: Header=BB237_12 Depth=1
	v_ffbh_u32_e32 v29, v29
	v_min_u32_e32 v29, 32, v29
	v_subrev_nc_u32_e32 v31, 28, v29
	v_lshlrev_b64 v[32:33], v31, v[1:2]
	v_sub_nc_u32_e32 v31, 29, v29
	v_and_b32_e32 v29, 7, v32
; %bb.46:                               ;   in Loop: Header=BB237_12 Depth=1
	s_or_b32 exec_lo, exec_lo, s43
	v_lshlrev_b32_sdwa v1, v21, v1 dst_sel:DWORD dst_unused:UNUSED_PAD src0_sel:DWORD src1_sel:WORD_0
	v_lshl_add_u32 v31, v31, 10, 0x2000
	v_lshlrev_b32_e32 v29, 23, v29
	v_and_or_b32 v1, 0x8000, v1, v31
	v_lshl_or_b32 v29, v1, 16, v29
.LBB237_47:                             ;   in Loop: Header=BB237_12 Depth=1
	s_or_b32 exec_lo, exec_lo, s42
.LBB237_48:                             ;   in Loop: Header=BB237_12 Depth=1
	s_or_b32 exec_lo, exec_lo, s41
.LBB237_49:                             ;   in Loop: Header=BB237_12 Depth=1
	s_or_b32 exec_lo, exec_lo, s40
	global_load_ushort v32, v[7:8], off offset:128
	v_mov_b32_e32 v31, 0
	s_waitcnt vmcnt(0)
	v_and_b32_e32 v1, 0xffff, v32
	v_cmp_ne_u16_sdwa s2, v32, v2 src0_sel:BYTE_0 src1_sel:DWORD
	v_mov_b32_e32 v32, 0
	s_and_saveexec_b32 s40, s2
	s_cbranch_execz .LBB237_57
; %bb.50:                               ;   in Loop: Header=BB237_12 Depth=1
	v_cmp_ne_u16_sdwa s2, v1, v18 src0_sel:BYTE_0 src1_sel:DWORD
	v_mov_b32_e32 v32, 0x8000
	s_and_saveexec_b32 s41, s2
	s_cbranch_execz .LBB237_56
; %bb.51:                               ;   in Loop: Header=BB237_12 Depth=1
	v_and_b32_e32 v34, 0x7f, v1
	v_mov_b32_e32 v32, 0x7c01
	s_mov_b32 s42, exec_lo
	v_cmpx_ne_u32_e32 0x7f, v34
	s_cbranch_execz .LBB237_55
; %bb.52:                               ;   in Loop: Header=BB237_12 Depth=1
	v_and_b32_e32 v32, 7, v1
	v_lshrrev_b32_e32 v33, 3, v34
	s_mov_b32 s43, exec_lo
	v_cmpx_gt_u32_e32 8, v34
; %bb.53:                               ;   in Loop: Header=BB237_12 Depth=1
	v_ffbh_u32_e32 v32, v32
	v_min_u32_e32 v34, 32, v32
	v_subrev_nc_u32_e32 v32, 28, v34
	v_lshlrev_b64 v[32:33], v32, v[1:2]
	v_sub_nc_u32_e32 v33, 29, v34
	v_and_b32_e32 v32, 7, v32
; %bb.54:                               ;   in Loop: Header=BB237_12 Depth=1
	s_or_b32 exec_lo, exec_lo, s43
	v_lshlrev_b32_e32 v34, 8, v1
	v_lshl_add_u32 v33, v33, 10, 0x2000
	v_lshlrev_b32_e32 v32, 7, v32
	v_and_b32_e32 v34, 0x8000, v34
	v_and_b32_e32 v33, 0xfc00, v33
	v_or3_b32 v32, v34, v33, v32
.LBB237_55:                             ;   in Loop: Header=BB237_12 Depth=1
	s_or_b32 exec_lo, exec_lo, s42
.LBB237_56:                             ;   in Loop: Header=BB237_12 Depth=1
	s_or_b32 exec_lo, exec_lo, s41
.LBB237_57:                             ;   in Loop: Header=BB237_12 Depth=1
	s_or_b32 exec_lo, exec_lo, s40
	v_lshrrev_b16 v1, 8, v1
	s_mov_b32 s40, exec_lo
	v_cmpx_ne_u16_e32 0, v1
	s_cbranch_execz .LBB237_65
; %bb.58:                               ;   in Loop: Header=BB237_12 Depth=1
	v_bfrev_b32_e32 v31, 1
	s_mov_b32 s41, exec_lo
	v_cmpx_ne_u16_e32 0x80, v1
	s_cbranch_execz .LBB237_64
; %bb.59:                               ;   in Loop: Header=BB237_12 Depth=1
	v_and_b32_sdwa v34, v1, v19 dst_sel:DWORD dst_unused:UNUSED_PAD src0_sel:WORD_0 src1_sel:DWORD
	v_mov_b32_e32 v31, 0x7c010000
	s_mov_b32 s42, exec_lo
	v_cmpx_ne_u32_e32 0x7f, v34
	s_cbranch_execz .LBB237_63
; %bb.60:                               ;   in Loop: Header=BB237_12 Depth=1
	v_and_b32_sdwa v31, v1, v20 dst_sel:DWORD dst_unused:UNUSED_PAD src0_sel:WORD_0 src1_sel:DWORD
	v_lshrrev_b32_e32 v33, 3, v34
	s_mov_b32 s43, exec_lo
	v_cmpx_gt_u32_e32 8, v34
; %bb.61:                               ;   in Loop: Header=BB237_12 Depth=1
	v_ffbh_u32_e32 v31, v31
	v_min_u32_e32 v31, 32, v31
	v_subrev_nc_u32_e32 v33, 28, v31
	v_lshlrev_b64 v[34:35], v33, v[1:2]
	v_sub_nc_u32_e32 v33, 29, v31
	v_and_b32_e32 v31, 7, v34
; %bb.62:                               ;   in Loop: Header=BB237_12 Depth=1
	s_or_b32 exec_lo, exec_lo, s43
	v_lshlrev_b32_sdwa v1, v21, v1 dst_sel:DWORD dst_unused:UNUSED_PAD src0_sel:DWORD src1_sel:WORD_0
	v_lshl_add_u32 v33, v33, 10, 0x2000
	v_lshlrev_b32_e32 v31, 23, v31
	v_and_or_b32 v1, 0x8000, v1, v33
	v_lshl_or_b32 v31, v1, 16, v31
.LBB237_63:                             ;   in Loop: Header=BB237_12 Depth=1
	s_or_b32 exec_lo, exec_lo, s42
.LBB237_64:                             ;   in Loop: Header=BB237_12 Depth=1
	s_or_b32 exec_lo, exec_lo, s41
.LBB237_65:                             ;   in Loop: Header=BB237_12 Depth=1
	s_or_b32 exec_lo, exec_lo, s40
	global_load_ushort v34, v[7:8], off offset:136
	v_mov_b32_e32 v33, 0
	s_waitcnt vmcnt(0)
	v_and_b32_e32 v1, 0xffff, v34
	v_cmp_ne_u16_sdwa s2, v34, v2 src0_sel:BYTE_0 src1_sel:DWORD
	v_mov_b32_e32 v34, 0
	s_and_saveexec_b32 s40, s2
	s_cbranch_execz .LBB237_73
; %bb.66:                               ;   in Loop: Header=BB237_12 Depth=1
	v_cmp_ne_u16_sdwa s2, v1, v18 src0_sel:BYTE_0 src1_sel:DWORD
	v_mov_b32_e32 v34, 0x8000
	s_and_saveexec_b32 s41, s2
	s_cbranch_execz .LBB237_72
; %bb.67:                               ;   in Loop: Header=BB237_12 Depth=1
	v_and_b32_e32 v36, 0x7f, v1
	v_mov_b32_e32 v34, 0x7c01
	s_mov_b32 s42, exec_lo
	v_cmpx_ne_u32_e32 0x7f, v36
	s_cbranch_execz .LBB237_71
; %bb.68:                               ;   in Loop: Header=BB237_12 Depth=1
	v_and_b32_e32 v34, 7, v1
	v_lshrrev_b32_e32 v35, 3, v36
	s_mov_b32 s43, exec_lo
	v_cmpx_gt_u32_e32 8, v36
; %bb.69:                               ;   in Loop: Header=BB237_12 Depth=1
	v_ffbh_u32_e32 v34, v34
	v_min_u32_e32 v36, 32, v34
	v_subrev_nc_u32_e32 v34, 28, v36
	v_lshlrev_b64 v[34:35], v34, v[1:2]
	v_sub_nc_u32_e32 v35, 29, v36
	v_and_b32_e32 v34, 7, v34
; %bb.70:                               ;   in Loop: Header=BB237_12 Depth=1
	s_or_b32 exec_lo, exec_lo, s43
	v_lshlrev_b32_e32 v36, 8, v1
	v_lshl_add_u32 v35, v35, 10, 0x2000
	v_lshlrev_b32_e32 v34, 7, v34
	v_and_b32_e32 v36, 0x8000, v36
	v_and_b32_e32 v35, 0xfc00, v35
	v_or3_b32 v34, v36, v35, v34
.LBB237_71:                             ;   in Loop: Header=BB237_12 Depth=1
	s_or_b32 exec_lo, exec_lo, s42
.LBB237_72:                             ;   in Loop: Header=BB237_12 Depth=1
	s_or_b32 exec_lo, exec_lo, s41
.LBB237_73:                             ;   in Loop: Header=BB237_12 Depth=1
	s_or_b32 exec_lo, exec_lo, s40
	v_lshrrev_b16 v1, 8, v1
	s_mov_b32 s40, exec_lo
	v_cmpx_ne_u16_e32 0, v1
	s_cbranch_execz .LBB237_81
; %bb.74:                               ;   in Loop: Header=BB237_12 Depth=1
	v_bfrev_b32_e32 v33, 1
	s_mov_b32 s41, exec_lo
	v_cmpx_ne_u16_e32 0x80, v1
	s_cbranch_execz .LBB237_80
; %bb.75:                               ;   in Loop: Header=BB237_12 Depth=1
	v_and_b32_sdwa v36, v1, v19 dst_sel:DWORD dst_unused:UNUSED_PAD src0_sel:WORD_0 src1_sel:DWORD
	v_mov_b32_e32 v33, 0x7c010000
	s_mov_b32 s42, exec_lo
	v_cmpx_ne_u32_e32 0x7f, v36
	s_cbranch_execz .LBB237_79
; %bb.76:                               ;   in Loop: Header=BB237_12 Depth=1
	v_and_b32_sdwa v33, v1, v20 dst_sel:DWORD dst_unused:UNUSED_PAD src0_sel:WORD_0 src1_sel:DWORD
	v_lshrrev_b32_e32 v35, 3, v36
	s_mov_b32 s43, exec_lo
	v_cmpx_gt_u32_e32 8, v36
; %bb.77:                               ;   in Loop: Header=BB237_12 Depth=1
	v_ffbh_u32_e32 v33, v33
	v_min_u32_e32 v33, 32, v33
	v_subrev_nc_u32_e32 v35, 28, v33
	v_lshlrev_b64 v[36:37], v35, v[1:2]
	v_sub_nc_u32_e32 v35, 29, v33
	v_and_b32_e32 v33, 7, v36
; %bb.78:                               ;   in Loop: Header=BB237_12 Depth=1
	s_or_b32 exec_lo, exec_lo, s43
	v_lshlrev_b32_sdwa v1, v21, v1 dst_sel:DWORD dst_unused:UNUSED_PAD src0_sel:DWORD src1_sel:WORD_0
	v_lshl_add_u32 v35, v35, 10, 0x2000
	v_lshlrev_b32_e32 v33, 23, v33
	v_and_or_b32 v1, 0x8000, v1, v35
	v_lshl_or_b32 v33, v1, 16, v33
.LBB237_79:                             ;   in Loop: Header=BB237_12 Depth=1
	s_or_b32 exec_lo, exec_lo, s42
.LBB237_80:                             ;   in Loop: Header=BB237_12 Depth=1
	s_or_b32 exec_lo, exec_lo, s41
.LBB237_81:                             ;   in Loop: Header=BB237_12 Depth=1
	s_or_b32 exec_lo, exec_lo, s40
	global_load_ushort v36, v[7:8], off offset:256
	v_mov_b32_e32 v35, 0
	s_waitcnt vmcnt(0)
	v_and_b32_e32 v1, 0xffff, v36
	v_cmp_ne_u16_sdwa s2, v36, v2 src0_sel:BYTE_0 src1_sel:DWORD
	v_mov_b32_e32 v36, 0
	s_and_saveexec_b32 s40, s2
	s_cbranch_execz .LBB237_89
; %bb.82:                               ;   in Loop: Header=BB237_12 Depth=1
	v_cmp_ne_u16_sdwa s2, v1, v18 src0_sel:BYTE_0 src1_sel:DWORD
	v_mov_b32_e32 v36, 0x8000
	s_and_saveexec_b32 s41, s2
	s_cbranch_execz .LBB237_88
; %bb.83:                               ;   in Loop: Header=BB237_12 Depth=1
	v_and_b32_e32 v38, 0x7f, v1
	v_mov_b32_e32 v36, 0x7c01
	s_mov_b32 s42, exec_lo
	v_cmpx_ne_u32_e32 0x7f, v38
	s_cbranch_execz .LBB237_87
; %bb.84:                               ;   in Loop: Header=BB237_12 Depth=1
	v_and_b32_e32 v36, 7, v1
	v_lshrrev_b32_e32 v37, 3, v38
	s_mov_b32 s43, exec_lo
	v_cmpx_gt_u32_e32 8, v38
; %bb.85:                               ;   in Loop: Header=BB237_12 Depth=1
	v_ffbh_u32_e32 v36, v36
	v_min_u32_e32 v38, 32, v36
	v_subrev_nc_u32_e32 v36, 28, v38
	v_lshlrev_b64 v[36:37], v36, v[1:2]
	v_sub_nc_u32_e32 v37, 29, v38
	v_and_b32_e32 v36, 7, v36
; %bb.86:                               ;   in Loop: Header=BB237_12 Depth=1
	s_or_b32 exec_lo, exec_lo, s43
	v_lshlrev_b32_e32 v38, 8, v1
	v_lshl_add_u32 v37, v37, 10, 0x2000
	v_lshlrev_b32_e32 v36, 7, v36
	v_and_b32_e32 v38, 0x8000, v38
	v_and_b32_e32 v37, 0xfc00, v37
	v_or3_b32 v36, v38, v37, v36
.LBB237_87:                             ;   in Loop: Header=BB237_12 Depth=1
	s_or_b32 exec_lo, exec_lo, s42
.LBB237_88:                             ;   in Loop: Header=BB237_12 Depth=1
	s_or_b32 exec_lo, exec_lo, s41
.LBB237_89:                             ;   in Loop: Header=BB237_12 Depth=1
	s_or_b32 exec_lo, exec_lo, s40
	v_lshrrev_b16 v1, 8, v1
	s_mov_b32 s40, exec_lo
	v_cmpx_ne_u16_e32 0, v1
	s_cbranch_execz .LBB237_97
; %bb.90:                               ;   in Loop: Header=BB237_12 Depth=1
	v_bfrev_b32_e32 v35, 1
	s_mov_b32 s41, exec_lo
	v_cmpx_ne_u16_e32 0x80, v1
	s_cbranch_execz .LBB237_96
; %bb.91:                               ;   in Loop: Header=BB237_12 Depth=1
	v_and_b32_sdwa v38, v1, v19 dst_sel:DWORD dst_unused:UNUSED_PAD src0_sel:WORD_0 src1_sel:DWORD
	v_mov_b32_e32 v35, 0x7c010000
	s_mov_b32 s42, exec_lo
	v_cmpx_ne_u32_e32 0x7f, v38
	s_cbranch_execz .LBB237_95
; %bb.92:                               ;   in Loop: Header=BB237_12 Depth=1
	v_and_b32_sdwa v35, v1, v20 dst_sel:DWORD dst_unused:UNUSED_PAD src0_sel:WORD_0 src1_sel:DWORD
	v_lshrrev_b32_e32 v37, 3, v38
	s_mov_b32 s43, exec_lo
	v_cmpx_gt_u32_e32 8, v38
; %bb.93:                               ;   in Loop: Header=BB237_12 Depth=1
	v_ffbh_u32_e32 v35, v35
	v_min_u32_e32 v35, 32, v35
	v_subrev_nc_u32_e32 v37, 28, v35
	v_lshlrev_b64 v[38:39], v37, v[1:2]
	v_sub_nc_u32_e32 v37, 29, v35
	v_and_b32_e32 v35, 7, v38
; %bb.94:                               ;   in Loop: Header=BB237_12 Depth=1
	s_or_b32 exec_lo, exec_lo, s43
	v_lshlrev_b32_sdwa v1, v21, v1 dst_sel:DWORD dst_unused:UNUSED_PAD src0_sel:DWORD src1_sel:WORD_0
	v_lshl_add_u32 v37, v37, 10, 0x2000
	v_lshlrev_b32_e32 v35, 23, v35
	v_and_or_b32 v1, 0x8000, v1, v37
	v_lshl_or_b32 v35, v1, 16, v35
.LBB237_95:                             ;   in Loop: Header=BB237_12 Depth=1
	s_or_b32 exec_lo, exec_lo, s42
.LBB237_96:                             ;   in Loop: Header=BB237_12 Depth=1
	s_or_b32 exec_lo, exec_lo, s41
.LBB237_97:                             ;   in Loop: Header=BB237_12 Depth=1
	s_or_b32 exec_lo, exec_lo, s40
	global_load_ushort v38, v[7:8], off offset:264
	v_mov_b32_e32 v37, 0
	s_waitcnt vmcnt(0)
	v_and_b32_e32 v1, 0xffff, v38
	v_cmp_ne_u16_sdwa s2, v38, v2 src0_sel:BYTE_0 src1_sel:DWORD
	v_mov_b32_e32 v38, 0
	s_and_saveexec_b32 s40, s2
	s_cbranch_execz .LBB237_105
; %bb.98:                               ;   in Loop: Header=BB237_12 Depth=1
	v_cmp_ne_u16_sdwa s2, v1, v18 src0_sel:BYTE_0 src1_sel:DWORD
	v_mov_b32_e32 v38, 0x8000
	s_and_saveexec_b32 s41, s2
	s_cbranch_execz .LBB237_104
; %bb.99:                               ;   in Loop: Header=BB237_12 Depth=1
	v_and_b32_e32 v40, 0x7f, v1
	v_mov_b32_e32 v38, 0x7c01
	s_mov_b32 s42, exec_lo
	v_cmpx_ne_u32_e32 0x7f, v40
	s_cbranch_execz .LBB237_103
; %bb.100:                              ;   in Loop: Header=BB237_12 Depth=1
	v_and_b32_e32 v38, 7, v1
	v_lshrrev_b32_e32 v39, 3, v40
	s_mov_b32 s43, exec_lo
	v_cmpx_gt_u32_e32 8, v40
; %bb.101:                              ;   in Loop: Header=BB237_12 Depth=1
	v_ffbh_u32_e32 v38, v38
	v_min_u32_e32 v40, 32, v38
	v_subrev_nc_u32_e32 v38, 28, v40
	v_lshlrev_b64 v[38:39], v38, v[1:2]
	v_sub_nc_u32_e32 v39, 29, v40
	v_and_b32_e32 v38, 7, v38
; %bb.102:                              ;   in Loop: Header=BB237_12 Depth=1
	s_or_b32 exec_lo, exec_lo, s43
	v_lshlrev_b32_e32 v40, 8, v1
	v_lshl_add_u32 v39, v39, 10, 0x2000
	v_lshlrev_b32_e32 v38, 7, v38
	v_and_b32_e32 v40, 0x8000, v40
	v_and_b32_e32 v39, 0xfc00, v39
	v_or3_b32 v38, v40, v39, v38
.LBB237_103:                            ;   in Loop: Header=BB237_12 Depth=1
	s_or_b32 exec_lo, exec_lo, s42
.LBB237_104:                            ;   in Loop: Header=BB237_12 Depth=1
	s_or_b32 exec_lo, exec_lo, s41
.LBB237_105:                            ;   in Loop: Header=BB237_12 Depth=1
	s_or_b32 exec_lo, exec_lo, s40
	v_lshrrev_b16 v1, 8, v1
	s_mov_b32 s40, exec_lo
	v_cmpx_ne_u16_e32 0, v1
	s_cbranch_execz .LBB237_113
; %bb.106:                              ;   in Loop: Header=BB237_12 Depth=1
	v_bfrev_b32_e32 v37, 1
	s_mov_b32 s41, exec_lo
	v_cmpx_ne_u16_e32 0x80, v1
	s_cbranch_execz .LBB237_112
; %bb.107:                              ;   in Loop: Header=BB237_12 Depth=1
	v_and_b32_sdwa v40, v1, v19 dst_sel:DWORD dst_unused:UNUSED_PAD src0_sel:WORD_0 src1_sel:DWORD
	v_mov_b32_e32 v37, 0x7c010000
	s_mov_b32 s42, exec_lo
	v_cmpx_ne_u32_e32 0x7f, v40
	s_cbranch_execz .LBB237_111
; %bb.108:                              ;   in Loop: Header=BB237_12 Depth=1
	v_and_b32_sdwa v37, v1, v20 dst_sel:DWORD dst_unused:UNUSED_PAD src0_sel:WORD_0 src1_sel:DWORD
	v_lshrrev_b32_e32 v39, 3, v40
	s_mov_b32 s43, exec_lo
	v_cmpx_gt_u32_e32 8, v40
; %bb.109:                              ;   in Loop: Header=BB237_12 Depth=1
	v_ffbh_u32_e32 v37, v37
	v_min_u32_e32 v37, 32, v37
	v_subrev_nc_u32_e32 v39, 28, v37
	v_lshlrev_b64 v[40:41], v39, v[1:2]
	v_sub_nc_u32_e32 v39, 29, v37
	v_and_b32_e32 v37, 7, v40
; %bb.110:                              ;   in Loop: Header=BB237_12 Depth=1
	s_or_b32 exec_lo, exec_lo, s43
	v_lshlrev_b32_sdwa v1, v21, v1 dst_sel:DWORD dst_unused:UNUSED_PAD src0_sel:DWORD src1_sel:WORD_0
	v_lshl_add_u32 v39, v39, 10, 0x2000
	v_lshlrev_b32_e32 v37, 23, v37
	v_and_or_b32 v1, 0x8000, v1, v39
	v_lshl_or_b32 v37, v1, 16, v37
.LBB237_111:                            ;   in Loop: Header=BB237_12 Depth=1
	s_or_b32 exec_lo, exec_lo, s42
.LBB237_112:                            ;   in Loop: Header=BB237_12 Depth=1
	s_or_b32 exec_lo, exec_lo, s41
.LBB237_113:                            ;   in Loop: Header=BB237_12 Depth=1
	s_or_b32 exec_lo, exec_lo, s40
	global_load_ushort v40, v[7:8], off offset:384
	v_mov_b32_e32 v39, 0
	s_waitcnt vmcnt(0)
	v_and_b32_e32 v1, 0xffff, v40
	v_cmp_ne_u16_sdwa s2, v40, v2 src0_sel:BYTE_0 src1_sel:DWORD
	v_mov_b32_e32 v40, 0
	s_and_saveexec_b32 s40, s2
	s_cbranch_execz .LBB237_121
; %bb.114:                              ;   in Loop: Header=BB237_12 Depth=1
	v_cmp_ne_u16_sdwa s2, v1, v18 src0_sel:BYTE_0 src1_sel:DWORD
	v_mov_b32_e32 v40, 0x8000
	s_and_saveexec_b32 s41, s2
	s_cbranch_execz .LBB237_120
; %bb.115:                              ;   in Loop: Header=BB237_12 Depth=1
	v_and_b32_e32 v42, 0x7f, v1
	v_mov_b32_e32 v40, 0x7c01
	s_mov_b32 s42, exec_lo
	v_cmpx_ne_u32_e32 0x7f, v42
	s_cbranch_execz .LBB237_119
; %bb.116:                              ;   in Loop: Header=BB237_12 Depth=1
	v_and_b32_e32 v40, 7, v1
	v_lshrrev_b32_e32 v41, 3, v42
	s_mov_b32 s43, exec_lo
	v_cmpx_gt_u32_e32 8, v42
; %bb.117:                              ;   in Loop: Header=BB237_12 Depth=1
	v_ffbh_u32_e32 v40, v40
	v_min_u32_e32 v42, 32, v40
	v_subrev_nc_u32_e32 v40, 28, v42
	v_lshlrev_b64 v[40:41], v40, v[1:2]
	v_sub_nc_u32_e32 v41, 29, v42
	v_and_b32_e32 v40, 7, v40
; %bb.118:                              ;   in Loop: Header=BB237_12 Depth=1
	s_or_b32 exec_lo, exec_lo, s43
	v_lshlrev_b32_e32 v42, 8, v1
	v_lshl_add_u32 v41, v41, 10, 0x2000
	v_lshlrev_b32_e32 v40, 7, v40
	v_and_b32_e32 v42, 0x8000, v42
	v_and_b32_e32 v41, 0xfc00, v41
	v_or3_b32 v40, v42, v41, v40
.LBB237_119:                            ;   in Loop: Header=BB237_12 Depth=1
	s_or_b32 exec_lo, exec_lo, s42
.LBB237_120:                            ;   in Loop: Header=BB237_12 Depth=1
	s_or_b32 exec_lo, exec_lo, s41
.LBB237_121:                            ;   in Loop: Header=BB237_12 Depth=1
	s_or_b32 exec_lo, exec_lo, s40
	v_lshrrev_b16 v1, 8, v1
	s_mov_b32 s40, exec_lo
	v_cmpx_ne_u16_e32 0, v1
	s_cbranch_execz .LBB237_129
; %bb.122:                              ;   in Loop: Header=BB237_12 Depth=1
	v_bfrev_b32_e32 v39, 1
	s_mov_b32 s41, exec_lo
	v_cmpx_ne_u16_e32 0x80, v1
	s_cbranch_execz .LBB237_128
; %bb.123:                              ;   in Loop: Header=BB237_12 Depth=1
	v_and_b32_sdwa v42, v1, v19 dst_sel:DWORD dst_unused:UNUSED_PAD src0_sel:WORD_0 src1_sel:DWORD
	v_mov_b32_e32 v39, 0x7c010000
	s_mov_b32 s42, exec_lo
	v_cmpx_ne_u32_e32 0x7f, v42
	s_cbranch_execz .LBB237_127
; %bb.124:                              ;   in Loop: Header=BB237_12 Depth=1
	v_and_b32_sdwa v39, v1, v20 dst_sel:DWORD dst_unused:UNUSED_PAD src0_sel:WORD_0 src1_sel:DWORD
	v_lshrrev_b32_e32 v41, 3, v42
	s_mov_b32 s43, exec_lo
	v_cmpx_gt_u32_e32 8, v42
; %bb.125:                              ;   in Loop: Header=BB237_12 Depth=1
	v_ffbh_u32_e32 v39, v39
	v_min_u32_e32 v39, 32, v39
	v_subrev_nc_u32_e32 v41, 28, v39
	v_lshlrev_b64 v[42:43], v41, v[1:2]
	v_sub_nc_u32_e32 v41, 29, v39
	v_and_b32_e32 v39, 7, v42
; %bb.126:                              ;   in Loop: Header=BB237_12 Depth=1
	s_or_b32 exec_lo, exec_lo, s43
	v_lshlrev_b32_sdwa v1, v21, v1 dst_sel:DWORD dst_unused:UNUSED_PAD src0_sel:DWORD src1_sel:WORD_0
	v_lshl_add_u32 v41, v41, 10, 0x2000
	v_lshlrev_b32_e32 v39, 23, v39
	v_and_or_b32 v1, 0x8000, v1, v41
	v_lshl_or_b32 v39, v1, 16, v39
.LBB237_127:                            ;   in Loop: Header=BB237_12 Depth=1
	s_or_b32 exec_lo, exec_lo, s42
.LBB237_128:                            ;   in Loop: Header=BB237_12 Depth=1
	s_or_b32 exec_lo, exec_lo, s41
.LBB237_129:                            ;   in Loop: Header=BB237_12 Depth=1
	s_or_b32 exec_lo, exec_lo, s40
	global_load_ushort v42, v[7:8], off offset:392
	v_mov_b32_e32 v41, 0
	s_waitcnt vmcnt(0)
	v_and_b32_e32 v1, 0xffff, v42
	v_cmp_ne_u16_sdwa s2, v42, v2 src0_sel:BYTE_0 src1_sel:DWORD
	v_mov_b32_e32 v42, 0
	s_and_saveexec_b32 s40, s2
	s_cbranch_execz .LBB237_137
; %bb.130:                              ;   in Loop: Header=BB237_12 Depth=1
	v_cmp_ne_u16_sdwa s2, v1, v18 src0_sel:BYTE_0 src1_sel:DWORD
	v_mov_b32_e32 v42, 0x8000
	s_and_saveexec_b32 s41, s2
	s_cbranch_execz .LBB237_136
; %bb.131:                              ;   in Loop: Header=BB237_12 Depth=1
	v_and_b32_e32 v44, 0x7f, v1
	v_mov_b32_e32 v42, 0x7c01
	s_mov_b32 s42, exec_lo
	v_cmpx_ne_u32_e32 0x7f, v44
	s_cbranch_execz .LBB237_135
; %bb.132:                              ;   in Loop: Header=BB237_12 Depth=1
	v_and_b32_e32 v42, 7, v1
	v_lshrrev_b32_e32 v43, 3, v44
	s_mov_b32 s43, exec_lo
	v_cmpx_gt_u32_e32 8, v44
; %bb.133:                              ;   in Loop: Header=BB237_12 Depth=1
	v_ffbh_u32_e32 v42, v42
	v_min_u32_e32 v44, 32, v42
	v_subrev_nc_u32_e32 v42, 28, v44
	v_lshlrev_b64 v[42:43], v42, v[1:2]
	v_sub_nc_u32_e32 v43, 29, v44
	v_and_b32_e32 v42, 7, v42
; %bb.134:                              ;   in Loop: Header=BB237_12 Depth=1
	s_or_b32 exec_lo, exec_lo, s43
	v_lshlrev_b32_e32 v44, 8, v1
	v_lshl_add_u32 v43, v43, 10, 0x2000
	v_lshlrev_b32_e32 v42, 7, v42
	v_and_b32_e32 v44, 0x8000, v44
	v_and_b32_e32 v43, 0xfc00, v43
	v_or3_b32 v42, v44, v43, v42
.LBB237_135:                            ;   in Loop: Header=BB237_12 Depth=1
	s_or_b32 exec_lo, exec_lo, s42
.LBB237_136:                            ;   in Loop: Header=BB237_12 Depth=1
	s_or_b32 exec_lo, exec_lo, s41
.LBB237_137:                            ;   in Loop: Header=BB237_12 Depth=1
	s_or_b32 exec_lo, exec_lo, s40
	v_lshrrev_b16 v1, 8, v1
	s_mov_b32 s40, exec_lo
	v_cmpx_ne_u16_e32 0, v1
	s_cbranch_execz .LBB237_145
; %bb.138:                              ;   in Loop: Header=BB237_12 Depth=1
	v_bfrev_b32_e32 v41, 1
	s_mov_b32 s41, exec_lo
	v_cmpx_ne_u16_e32 0x80, v1
	s_cbranch_execz .LBB237_144
; %bb.139:                              ;   in Loop: Header=BB237_12 Depth=1
	v_and_b32_sdwa v44, v1, v19 dst_sel:DWORD dst_unused:UNUSED_PAD src0_sel:WORD_0 src1_sel:DWORD
	v_mov_b32_e32 v41, 0x7c010000
	s_mov_b32 s42, exec_lo
	v_cmpx_ne_u32_e32 0x7f, v44
	s_cbranch_execz .LBB237_143
; %bb.140:                              ;   in Loop: Header=BB237_12 Depth=1
	v_and_b32_sdwa v41, v1, v20 dst_sel:DWORD dst_unused:UNUSED_PAD src0_sel:WORD_0 src1_sel:DWORD
	v_lshrrev_b32_e32 v43, 3, v44
	s_mov_b32 s43, exec_lo
	v_cmpx_gt_u32_e32 8, v44
; %bb.141:                              ;   in Loop: Header=BB237_12 Depth=1
	v_ffbh_u32_e32 v41, v41
	v_min_u32_e32 v41, 32, v41
	v_subrev_nc_u32_e32 v43, 28, v41
	v_lshlrev_b64 v[44:45], v43, v[1:2]
	v_sub_nc_u32_e32 v43, 29, v41
	v_and_b32_e32 v41, 7, v44
; %bb.142:                              ;   in Loop: Header=BB237_12 Depth=1
	s_or_b32 exec_lo, exec_lo, s43
	v_lshlrev_b32_sdwa v1, v21, v1 dst_sel:DWORD dst_unused:UNUSED_PAD src0_sel:DWORD src1_sel:WORD_0
	v_lshl_add_u32 v43, v43, 10, 0x2000
	v_lshlrev_b32_e32 v41, 23, v41
	v_and_or_b32 v1, 0x8000, v1, v43
	v_lshl_or_b32 v41, v1, 16, v41
.LBB237_143:                            ;   in Loop: Header=BB237_12 Depth=1
	s_or_b32 exec_lo, exec_lo, s42
.LBB237_144:                            ;   in Loop: Header=BB237_12 Depth=1
	s_or_b32 exec_lo, exec_lo, s41
.LBB237_145:                            ;   in Loop: Header=BB237_12 Depth=1
	s_or_b32 exec_lo, exec_lo, s40
	global_load_ushort v44, v[7:8], off offset:512
	v_mov_b32_e32 v43, 0
	s_waitcnt vmcnt(0)
	v_and_b32_e32 v1, 0xffff, v44
	v_cmp_ne_u16_sdwa s2, v44, v2 src0_sel:BYTE_0 src1_sel:DWORD
	v_mov_b32_e32 v44, 0
	s_and_saveexec_b32 s40, s2
	s_cbranch_execz .LBB237_153
; %bb.146:                              ;   in Loop: Header=BB237_12 Depth=1
	v_cmp_ne_u16_sdwa s2, v1, v18 src0_sel:BYTE_0 src1_sel:DWORD
	v_mov_b32_e32 v44, 0x8000
	s_and_saveexec_b32 s41, s2
	s_cbranch_execz .LBB237_152
; %bb.147:                              ;   in Loop: Header=BB237_12 Depth=1
	v_and_b32_e32 v46, 0x7f, v1
	v_mov_b32_e32 v44, 0x7c01
	s_mov_b32 s42, exec_lo
	v_cmpx_ne_u32_e32 0x7f, v46
	s_cbranch_execz .LBB237_151
; %bb.148:                              ;   in Loop: Header=BB237_12 Depth=1
	v_and_b32_e32 v44, 7, v1
	v_lshrrev_b32_e32 v45, 3, v46
	s_mov_b32 s43, exec_lo
	v_cmpx_gt_u32_e32 8, v46
; %bb.149:                              ;   in Loop: Header=BB237_12 Depth=1
	v_ffbh_u32_e32 v44, v44
	v_min_u32_e32 v46, 32, v44
	v_subrev_nc_u32_e32 v44, 28, v46
	v_lshlrev_b64 v[44:45], v44, v[1:2]
	v_sub_nc_u32_e32 v45, 29, v46
	v_and_b32_e32 v44, 7, v44
; %bb.150:                              ;   in Loop: Header=BB237_12 Depth=1
	s_or_b32 exec_lo, exec_lo, s43
	v_lshlrev_b32_e32 v46, 8, v1
	v_lshl_add_u32 v45, v45, 10, 0x2000
	v_lshlrev_b32_e32 v44, 7, v44
	v_and_b32_e32 v46, 0x8000, v46
	v_and_b32_e32 v45, 0xfc00, v45
	v_or3_b32 v44, v46, v45, v44
.LBB237_151:                            ;   in Loop: Header=BB237_12 Depth=1
	s_or_b32 exec_lo, exec_lo, s42
.LBB237_152:                            ;   in Loop: Header=BB237_12 Depth=1
	s_or_b32 exec_lo, exec_lo, s41
.LBB237_153:                            ;   in Loop: Header=BB237_12 Depth=1
	s_or_b32 exec_lo, exec_lo, s40
	v_lshrrev_b16 v1, 8, v1
	s_mov_b32 s40, exec_lo
	v_cmpx_ne_u16_e32 0, v1
	s_cbranch_execz .LBB237_161
; %bb.154:                              ;   in Loop: Header=BB237_12 Depth=1
	v_bfrev_b32_e32 v43, 1
	s_mov_b32 s41, exec_lo
	v_cmpx_ne_u16_e32 0x80, v1
	s_cbranch_execz .LBB237_160
; %bb.155:                              ;   in Loop: Header=BB237_12 Depth=1
	v_and_b32_sdwa v46, v1, v19 dst_sel:DWORD dst_unused:UNUSED_PAD src0_sel:WORD_0 src1_sel:DWORD
	v_mov_b32_e32 v43, 0x7c010000
	s_mov_b32 s42, exec_lo
	v_cmpx_ne_u32_e32 0x7f, v46
	s_cbranch_execz .LBB237_159
; %bb.156:                              ;   in Loop: Header=BB237_12 Depth=1
	v_and_b32_sdwa v43, v1, v20 dst_sel:DWORD dst_unused:UNUSED_PAD src0_sel:WORD_0 src1_sel:DWORD
	v_lshrrev_b32_e32 v45, 3, v46
	s_mov_b32 s43, exec_lo
	v_cmpx_gt_u32_e32 8, v46
; %bb.157:                              ;   in Loop: Header=BB237_12 Depth=1
	v_ffbh_u32_e32 v43, v43
	v_min_u32_e32 v43, 32, v43
	v_subrev_nc_u32_e32 v45, 28, v43
	v_lshlrev_b64 v[46:47], v45, v[1:2]
	v_sub_nc_u32_e32 v45, 29, v43
	v_and_b32_e32 v43, 7, v46
; %bb.158:                              ;   in Loop: Header=BB237_12 Depth=1
	s_or_b32 exec_lo, exec_lo, s43
	v_lshlrev_b32_sdwa v1, v21, v1 dst_sel:DWORD dst_unused:UNUSED_PAD src0_sel:DWORD src1_sel:WORD_0
	v_lshl_add_u32 v45, v45, 10, 0x2000
	v_lshlrev_b32_e32 v43, 23, v43
	v_and_or_b32 v1, 0x8000, v1, v45
	v_lshl_or_b32 v43, v1, 16, v43
.LBB237_159:                            ;   in Loop: Header=BB237_12 Depth=1
	s_or_b32 exec_lo, exec_lo, s42
.LBB237_160:                            ;   in Loop: Header=BB237_12 Depth=1
	s_or_b32 exec_lo, exec_lo, s41
.LBB237_161:                            ;   in Loop: Header=BB237_12 Depth=1
	s_or_b32 exec_lo, exec_lo, s40
	global_load_ushort v46, v[7:8], off offset:520
	v_mov_b32_e32 v45, 0
	s_waitcnt vmcnt(0)
	v_and_b32_e32 v1, 0xffff, v46
	v_cmp_ne_u16_sdwa s2, v46, v2 src0_sel:BYTE_0 src1_sel:DWORD
	v_mov_b32_e32 v46, 0
	s_and_saveexec_b32 s40, s2
	s_cbranch_execz .LBB237_169
; %bb.162:                              ;   in Loop: Header=BB237_12 Depth=1
	v_cmp_ne_u16_sdwa s2, v1, v18 src0_sel:BYTE_0 src1_sel:DWORD
	v_mov_b32_e32 v46, 0x8000
	s_and_saveexec_b32 s41, s2
	s_cbranch_execz .LBB237_168
; %bb.163:                              ;   in Loop: Header=BB237_12 Depth=1
	v_and_b32_e32 v48, 0x7f, v1
	v_mov_b32_e32 v46, 0x7c01
	s_mov_b32 s42, exec_lo
	v_cmpx_ne_u32_e32 0x7f, v48
	s_cbranch_execz .LBB237_167
; %bb.164:                              ;   in Loop: Header=BB237_12 Depth=1
	v_and_b32_e32 v46, 7, v1
	v_lshrrev_b32_e32 v47, 3, v48
	s_mov_b32 s43, exec_lo
	v_cmpx_gt_u32_e32 8, v48
; %bb.165:                              ;   in Loop: Header=BB237_12 Depth=1
	v_ffbh_u32_e32 v46, v46
	v_min_u32_e32 v48, 32, v46
	v_subrev_nc_u32_e32 v46, 28, v48
	v_lshlrev_b64 v[46:47], v46, v[1:2]
	v_sub_nc_u32_e32 v47, 29, v48
	v_and_b32_e32 v46, 7, v46
; %bb.166:                              ;   in Loop: Header=BB237_12 Depth=1
	s_or_b32 exec_lo, exec_lo, s43
	v_lshlrev_b32_e32 v48, 8, v1
	v_lshl_add_u32 v47, v47, 10, 0x2000
	v_lshlrev_b32_e32 v46, 7, v46
	v_and_b32_e32 v48, 0x8000, v48
	v_and_b32_e32 v47, 0xfc00, v47
	v_or3_b32 v46, v48, v47, v46
.LBB237_167:                            ;   in Loop: Header=BB237_12 Depth=1
	s_or_b32 exec_lo, exec_lo, s42
.LBB237_168:                            ;   in Loop: Header=BB237_12 Depth=1
	s_or_b32 exec_lo, exec_lo, s41
.LBB237_169:                            ;   in Loop: Header=BB237_12 Depth=1
	s_or_b32 exec_lo, exec_lo, s40
	v_lshrrev_b16 v1, 8, v1
	s_mov_b32 s40, exec_lo
	v_cmpx_ne_u16_e32 0, v1
	s_cbranch_execz .LBB237_177
; %bb.170:                              ;   in Loop: Header=BB237_12 Depth=1
	v_bfrev_b32_e32 v45, 1
	s_mov_b32 s41, exec_lo
	v_cmpx_ne_u16_e32 0x80, v1
	s_cbranch_execz .LBB237_176
; %bb.171:                              ;   in Loop: Header=BB237_12 Depth=1
	v_and_b32_sdwa v48, v1, v19 dst_sel:DWORD dst_unused:UNUSED_PAD src0_sel:WORD_0 src1_sel:DWORD
	v_mov_b32_e32 v45, 0x7c010000
	s_mov_b32 s42, exec_lo
	v_cmpx_ne_u32_e32 0x7f, v48
	s_cbranch_execz .LBB237_175
; %bb.172:                              ;   in Loop: Header=BB237_12 Depth=1
	v_and_b32_sdwa v45, v1, v20 dst_sel:DWORD dst_unused:UNUSED_PAD src0_sel:WORD_0 src1_sel:DWORD
	v_lshrrev_b32_e32 v47, 3, v48
	s_mov_b32 s43, exec_lo
	v_cmpx_gt_u32_e32 8, v48
; %bb.173:                              ;   in Loop: Header=BB237_12 Depth=1
	v_ffbh_u32_e32 v45, v45
	v_min_u32_e32 v45, 32, v45
	v_subrev_nc_u32_e32 v47, 28, v45
	v_lshlrev_b64 v[48:49], v47, v[1:2]
	v_sub_nc_u32_e32 v47, 29, v45
	v_and_b32_e32 v45, 7, v48
; %bb.174:                              ;   in Loop: Header=BB237_12 Depth=1
	s_or_b32 exec_lo, exec_lo, s43
	v_lshlrev_b32_sdwa v1, v21, v1 dst_sel:DWORD dst_unused:UNUSED_PAD src0_sel:DWORD src1_sel:WORD_0
	v_lshl_add_u32 v47, v47, 10, 0x2000
	v_lshlrev_b32_e32 v45, 23, v45
	v_and_or_b32 v1, 0x8000, v1, v47
	v_lshl_or_b32 v45, v1, 16, v45
.LBB237_175:                            ;   in Loop: Header=BB237_12 Depth=1
	s_or_b32 exec_lo, exec_lo, s42
.LBB237_176:                            ;   in Loop: Header=BB237_12 Depth=1
	s_or_b32 exec_lo, exec_lo, s41
.LBB237_177:                            ;   in Loop: Header=BB237_12 Depth=1
	s_or_b32 exec_lo, exec_lo, s40
	global_load_ushort v48, v[7:8], off offset:640
	v_mov_b32_e32 v47, 0
	s_waitcnt vmcnt(0)
	v_and_b32_e32 v1, 0xffff, v48
	v_cmp_ne_u16_sdwa s2, v48, v2 src0_sel:BYTE_0 src1_sel:DWORD
	v_mov_b32_e32 v48, 0
	s_and_saveexec_b32 s40, s2
	s_cbranch_execz .LBB237_185
; %bb.178:                              ;   in Loop: Header=BB237_12 Depth=1
	v_cmp_ne_u16_sdwa s2, v1, v18 src0_sel:BYTE_0 src1_sel:DWORD
	v_mov_b32_e32 v48, 0x8000
	s_and_saveexec_b32 s41, s2
	s_cbranch_execz .LBB237_184
; %bb.179:                              ;   in Loop: Header=BB237_12 Depth=1
	v_and_b32_e32 v50, 0x7f, v1
	v_mov_b32_e32 v48, 0x7c01
	s_mov_b32 s42, exec_lo
	v_cmpx_ne_u32_e32 0x7f, v50
	s_cbranch_execz .LBB237_183
; %bb.180:                              ;   in Loop: Header=BB237_12 Depth=1
	v_and_b32_e32 v48, 7, v1
	v_lshrrev_b32_e32 v49, 3, v50
	s_mov_b32 s43, exec_lo
	v_cmpx_gt_u32_e32 8, v50
; %bb.181:                              ;   in Loop: Header=BB237_12 Depth=1
	v_ffbh_u32_e32 v48, v48
	v_min_u32_e32 v50, 32, v48
	v_subrev_nc_u32_e32 v48, 28, v50
	v_lshlrev_b64 v[48:49], v48, v[1:2]
	v_sub_nc_u32_e32 v49, 29, v50
	v_and_b32_e32 v48, 7, v48
; %bb.182:                              ;   in Loop: Header=BB237_12 Depth=1
	s_or_b32 exec_lo, exec_lo, s43
	v_lshlrev_b32_e32 v50, 8, v1
	v_lshl_add_u32 v49, v49, 10, 0x2000
	v_lshlrev_b32_e32 v48, 7, v48
	v_and_b32_e32 v50, 0x8000, v50
	v_and_b32_e32 v49, 0xfc00, v49
	v_or3_b32 v48, v50, v49, v48
.LBB237_183:                            ;   in Loop: Header=BB237_12 Depth=1
	s_or_b32 exec_lo, exec_lo, s42
.LBB237_184:                            ;   in Loop: Header=BB237_12 Depth=1
	s_or_b32 exec_lo, exec_lo, s41
.LBB237_185:                            ;   in Loop: Header=BB237_12 Depth=1
	s_or_b32 exec_lo, exec_lo, s40
	v_lshrrev_b16 v1, 8, v1
	s_mov_b32 s40, exec_lo
	v_cmpx_ne_u16_e32 0, v1
	s_cbranch_execz .LBB237_193
; %bb.186:                              ;   in Loop: Header=BB237_12 Depth=1
	v_bfrev_b32_e32 v47, 1
	s_mov_b32 s41, exec_lo
	v_cmpx_ne_u16_e32 0x80, v1
	s_cbranch_execz .LBB237_192
; %bb.187:                              ;   in Loop: Header=BB237_12 Depth=1
	v_and_b32_sdwa v50, v1, v19 dst_sel:DWORD dst_unused:UNUSED_PAD src0_sel:WORD_0 src1_sel:DWORD
	v_mov_b32_e32 v47, 0x7c010000
	s_mov_b32 s42, exec_lo
	v_cmpx_ne_u32_e32 0x7f, v50
	s_cbranch_execz .LBB237_191
; %bb.188:                              ;   in Loop: Header=BB237_12 Depth=1
	v_and_b32_sdwa v47, v1, v20 dst_sel:DWORD dst_unused:UNUSED_PAD src0_sel:WORD_0 src1_sel:DWORD
	v_lshrrev_b32_e32 v49, 3, v50
	s_mov_b32 s43, exec_lo
	v_cmpx_gt_u32_e32 8, v50
; %bb.189:                              ;   in Loop: Header=BB237_12 Depth=1
	v_ffbh_u32_e32 v47, v47
	v_min_u32_e32 v47, 32, v47
	v_subrev_nc_u32_e32 v49, 28, v47
	v_lshlrev_b64 v[50:51], v49, v[1:2]
	v_sub_nc_u32_e32 v49, 29, v47
	v_and_b32_e32 v47, 7, v50
; %bb.190:                              ;   in Loop: Header=BB237_12 Depth=1
	s_or_b32 exec_lo, exec_lo, s43
	v_lshlrev_b32_sdwa v1, v21, v1 dst_sel:DWORD dst_unused:UNUSED_PAD src0_sel:DWORD src1_sel:WORD_0
	v_lshl_add_u32 v49, v49, 10, 0x2000
	v_lshlrev_b32_e32 v47, 23, v47
	v_and_or_b32 v1, 0x8000, v1, v49
	v_lshl_or_b32 v47, v1, 16, v47
.LBB237_191:                            ;   in Loop: Header=BB237_12 Depth=1
	s_or_b32 exec_lo, exec_lo, s42
.LBB237_192:                            ;   in Loop: Header=BB237_12 Depth=1
	s_or_b32 exec_lo, exec_lo, s41
.LBB237_193:                            ;   in Loop: Header=BB237_12 Depth=1
	s_or_b32 exec_lo, exec_lo, s40
	global_load_ushort v8, v[7:8], off offset:648
	v_mov_b32_e32 v7, 0
	s_waitcnt vmcnt(0)
	v_and_b32_e32 v1, 0xffff, v8
	v_cmp_ne_u16_sdwa s2, v8, v2 src0_sel:BYTE_0 src1_sel:DWORD
	v_mov_b32_e32 v8, 0
	s_and_saveexec_b32 s40, s2
	s_cbranch_execz .LBB237_201
; %bb.194:                              ;   in Loop: Header=BB237_12 Depth=1
	v_cmp_ne_u16_sdwa s2, v1, v18 src0_sel:BYTE_0 src1_sel:DWORD
	v_mov_b32_e32 v8, 0x8000
	s_and_saveexec_b32 s41, s2
	s_cbranch_execz .LBB237_200
; %bb.195:                              ;   in Loop: Header=BB237_12 Depth=1
	v_and_b32_e32 v50, 0x7f, v1
	v_mov_b32_e32 v8, 0x7c01
	s_mov_b32 s42, exec_lo
	v_cmpx_ne_u32_e32 0x7f, v50
	s_cbranch_execz .LBB237_199
; %bb.196:                              ;   in Loop: Header=BB237_12 Depth=1
	v_and_b32_e32 v8, 7, v1
	v_lshrrev_b32_e32 v49, 3, v50
	s_mov_b32 s43, exec_lo
	v_cmpx_gt_u32_e32 8, v50
; %bb.197:                              ;   in Loop: Header=BB237_12 Depth=1
	v_ffbh_u32_e32 v8, v8
	v_min_u32_e32 v8, 32, v8
	v_subrev_nc_u32_e32 v49, 28, v8
	v_lshlrev_b64 v[50:51], v49, v[1:2]
	v_sub_nc_u32_e32 v49, 29, v8
	v_and_b32_e32 v8, 7, v50
; %bb.198:                              ;   in Loop: Header=BB237_12 Depth=1
	s_or_b32 exec_lo, exec_lo, s43
	v_lshlrev_b32_e32 v50, 8, v1
	v_lshl_add_u32 v49, v49, 10, 0x2000
	v_lshlrev_b32_e32 v8, 7, v8
	v_and_b32_e32 v50, 0x8000, v50
	v_and_b32_e32 v49, 0xfc00, v49
	v_or3_b32 v8, v50, v49, v8
.LBB237_199:                            ;   in Loop: Header=BB237_12 Depth=1
	s_or_b32 exec_lo, exec_lo, s42
.LBB237_200:                            ;   in Loop: Header=BB237_12 Depth=1
	s_or_b32 exec_lo, exec_lo, s41
.LBB237_201:                            ;   in Loop: Header=BB237_12 Depth=1
	s_or_b32 exec_lo, exec_lo, s40
	v_lshrrev_b16 v1, 8, v1
	s_mov_b32 s40, exec_lo
	v_cmpx_ne_u16_e32 0, v1
	s_cbranch_execz .LBB237_209
; %bb.202:                              ;   in Loop: Header=BB237_12 Depth=1
	v_bfrev_b32_e32 v7, 1
	s_mov_b32 s41, exec_lo
	v_cmpx_ne_u16_e32 0x80, v1
	s_cbranch_execz .LBB237_208
; %bb.203:                              ;   in Loop: Header=BB237_12 Depth=1
	v_and_b32_sdwa v50, v1, v19 dst_sel:DWORD dst_unused:UNUSED_PAD src0_sel:WORD_0 src1_sel:DWORD
	v_mov_b32_e32 v7, 0x7c010000
	s_mov_b32 s42, exec_lo
	v_cmpx_ne_u32_e32 0x7f, v50
	s_cbranch_execz .LBB237_207
; %bb.204:                              ;   in Loop: Header=BB237_12 Depth=1
	v_and_b32_sdwa v7, v1, v20 dst_sel:DWORD dst_unused:UNUSED_PAD src0_sel:WORD_0 src1_sel:DWORD
	v_lshrrev_b32_e32 v49, 3, v50
	s_mov_b32 s43, exec_lo
	v_cmpx_gt_u32_e32 8, v50
; %bb.205:                              ;   in Loop: Header=BB237_12 Depth=1
	v_ffbh_u32_e32 v7, v7
	v_min_u32_e32 v7, 32, v7
	v_subrev_nc_u32_e32 v49, 28, v7
	v_lshlrev_b64 v[50:51], v49, v[1:2]
	v_sub_nc_u32_e32 v49, 29, v7
	v_and_b32_e32 v7, 7, v50
; %bb.206:                              ;   in Loop: Header=BB237_12 Depth=1
	s_or_b32 exec_lo, exec_lo, s43
	v_lshlrev_b32_sdwa v1, v21, v1 dst_sel:DWORD dst_unused:UNUSED_PAD src0_sel:DWORD src1_sel:WORD_0
	v_lshl_add_u32 v49, v49, 10, 0x2000
	v_lshlrev_b32_e32 v7, 23, v7
	v_and_or_b32 v1, 0x8000, v1, v49
	v_lshl_or_b32 v7, v1, 16, v7
.LBB237_207:                            ;   in Loop: Header=BB237_12 Depth=1
	s_or_b32 exec_lo, exec_lo, s42
.LBB237_208:                            ;   in Loop: Header=BB237_12 Depth=1
	s_or_b32 exec_lo, exec_lo, s41
.LBB237_209:                            ;   in Loop: Header=BB237_12 Depth=1
	s_or_b32 exec_lo, exec_lo, s40
	ds_read_b32 v1, v14
	v_or_b32_e32 v28, v27, v28
	v_fma_mixlo_f16 v27, v26, v27, 0 op_sel:[0,1,0] op_sel_hi:[0,1,0]
	v_or_b32_e32 v30, v29, v30
	v_fma_mixlo_f16 v29, v26, v29, 0 op_sel:[0,1,0] op_sel_hi:[0,1,0]
	v_or_b32_e32 v32, v31, v32
	v_fma_mixlo_f16 v28, v26, v28, 0 op_sel_hi:[0,1,0]
	v_and_b32_e32 v51, 0xffff, v27
	v_fma_mixlo_f16 v30, v26, v30, 0 op_sel_hi:[0,1,0]
	v_and_b32_e32 v53, 0xffff, v29
	;; [unrolled: 2-line block ×3, first 2 shown]
	v_fma_mixlo_f16 v31, v26, v31, 0 op_sel:[0,1,0] op_sel_hi:[0,1,0]
	v_and_b32_e32 v52, 0xffff, v30
	v_or_b32_e32 v34, v33, v34
	v_and_b32_e32 v54, 0xffff, v32
	v_fma_mixlo_f16 v33, v26, v33, 0 op_sel:[0,1,0] op_sel_hi:[0,1,0]
	v_and_b32_e32 v55, 0xffff, v31
	v_or_b32_e32 v36, v35, v36
	v_fma_mixlo_f16 v34, v26, v34, 0 op_sel_hi:[0,1,0]
	s_waitcnt lgkmcnt(0)
	v_and_b32_e32 v49, 0xffff, v1
	v_lshrrev_b32_e32 v50, 16, v1
	;;#ASMSTART
	v_cvt_f32_f16 v1, v49;
	;;#ASMEND
	;;#ASMSTART
	v_cvt_f32_f16 v27, v50;
	;;#ASMEND
	;; [unrolled: 3-line block ×4, first 2 shown]
	ds_read_b32 v50, v14 offset:4
	v_and_b32_e32 v56, 0xffff, v34
	v_and_b32_e32 v57, 0xffff, v33
	v_fma_mixlo_f16 v36, v26, v36, 0 op_sel_hi:[0,1,0]
	v_fma_mixlo_f16 v35, v26, v35, 0 op_sel:[0,1,0] op_sel_hi:[0,1,0]
	v_or_b32_e32 v38, v37, v38
	v_fma_mixlo_f16 v37, v26, v37, 0 op_sel:[0,1,0] op_sel_hi:[0,1,0]
	v_or_b32_e32 v40, v39, v40
	v_and_b32_e32 v58, 0xffff, v36
	v_and_b32_e32 v59, 0xffff, v35
	v_fma_mixlo_f16 v38, v26, v38, 0 op_sel_hi:[0,1,0]
	v_and_b32_e32 v61, 0xffff, v37
	v_fma_mixlo_f16 v40, v26, v40, 0 op_sel_hi:[0,1,0]
	v_fma_mixlo_f16 v39, v26, v39, 0 op_sel:[0,1,0] op_sel_hi:[0,1,0]
	v_or_b32_e32 v42, v41, v42
	v_and_b32_e32 v60, 0xffff, v38
	v_fma_mixlo_f16 v41, v26, v41, 0 op_sel:[0,1,0] op_sel_hi:[0,1,0]
	v_and_b32_e32 v62, 0xffff, v40
	v_and_b32_e32 v63, 0xffff, v39
	v_fma_mixlo_f16 v42, v26, v42, 0 op_sel_hi:[0,1,0]
	s_waitcnt lgkmcnt(0)
	v_and_b32_e32 v51, 0xffff, v50
	v_lshrrev_b32_e32 v50, 16, v50
	;;#ASMSTART
	v_cvt_f32_f16 v29, v51;
	;;#ASMEND
	;;#ASMSTART
	v_cvt_f32_f16 v30, v50;
	;;#ASMEND
	;; [unrolled: 3-line block ×4, first 2 shown]
	ds_read_b32 v52, v14 offset:8
	v_and_b32_e32 v64, 0xffff, v42
	v_and_b32_e32 v65, 0xffff, v41
	v_or_b32_e32 v44, v43, v44
	v_fma_mixlo_f16 v43, v26, v43, 0 op_sel:[0,1,0] op_sel_hi:[0,1,0]
	v_mul_f32_e32 v29, v29, v50
	v_mul_f32_e32 v30, v30, v51
	v_or_b32_e32 v46, v45, v46
	v_fma_mixlo_f16 v44, v26, v44, 0 op_sel_hi:[0,1,0]
	v_and_b32_e32 v67, 0xffff, v43
	v_fmac_f32_e32 v29, v1, v28
	v_fmac_f32_e32 v30, v27, v49
	v_fma_mixlo_f16 v45, v26, v45, 0 op_sel:[0,1,0] op_sel_hi:[0,1,0]
	v_and_b32_e32 v66, 0xffff, v44
	v_fma_mixlo_f16 v46, v26, v46, 0 op_sel_hi:[0,1,0]
	v_or_b32_e32 v1, v47, v48
	v_fma_mixlo_f16 v27, v26, v47, 0 op_sel:[0,1,0] op_sel_hi:[0,1,0]
	v_or_b32_e32 v8, v7, v8
	v_fma_mixlo_f16 v7, v26, v7, 0 op_sel:[0,1,0] op_sel_hi:[0,1,0]
	v_and_b32_e32 v68, 0xffff, v46
	s_waitcnt lgkmcnt(0)
	v_and_b32_e32 v53, 0xffff, v52
	v_lshrrev_b32_e32 v52, 16, v52
	;;#ASMSTART
	v_cvt_f32_f16 v31, v53;
	;;#ASMEND
	;;#ASMSTART
	v_cvt_f32_f16 v32, v52;
	;;#ASMEND
	;; [unrolled: 3-line block ×4, first 2 shown]
	ds_read_b32 v54, v14 offset:12
	v_fmac_f32_e32 v29, v31, v52
	v_fmac_f32_e32 v30, v32, v53
	v_fma_mixlo_f16 v1, v26, v1, 0 op_sel_hi:[0,1,0]
	v_and_b32_e32 v31, 0xffff, v27
	v_fma_mixlo_f16 v8, v26, v8, 0 op_sel_hi:[0,1,0]
	v_and_b32_e32 v32, 0xffff, v1
	s_waitcnt lgkmcnt(0)
	v_and_b32_e32 v55, 0xffff, v54
	v_lshrrev_b32_e32 v54, 16, v54
	;;#ASMSTART
	v_cvt_f32_f16 v33, v55;
	;;#ASMEND
	;;#ASMSTART
	v_cvt_f32_f16 v34, v54;
	;;#ASMEND
	;; [unrolled: 3-line block ×4, first 2 shown]
	ds_read_b32 v56, v14 offset:16
	v_fmac_f32_e32 v29, v33, v54
	v_fmac_f32_e32 v30, v34, v55
	v_xor_b32_e32 v33, 2, v10
	v_and_b32_e32 v34, 0xffff, v7
	v_cmp_gt_i32_e64 s2, 32, v33
	v_cndmask_b32_e64 v7, v10, v33, s2
	v_and_b32_e32 v33, 0xffff, v8
	s_waitcnt lgkmcnt(0)
	v_and_b32_e32 v57, 0xffff, v56
	v_lshrrev_b32_e32 v56, 16, v56
	;;#ASMSTART
	v_cvt_f32_f16 v35, v57;
	;;#ASMEND
	;;#ASMSTART
	v_cvt_f32_f16 v36, v56;
	;;#ASMEND
	;;#ASMSTART
	v_cvt_f32_f16 v56, v58;
	;;#ASMEND
	;;#ASMSTART
	v_cvt_f32_f16 v57, v59;
	;;#ASMEND
	ds_read_b32 v58, v14 offset:20
	v_fmac_f32_e32 v29, v35, v56
	v_fmac_f32_e32 v30, v36, v57
	s_waitcnt lgkmcnt(0)
	v_and_b32_e32 v59, 0xffff, v58
	v_lshrrev_b32_e32 v58, 16, v58
	;;#ASMSTART
	v_cvt_f32_f16 v37, v59;
	;;#ASMEND
	;;#ASMSTART
	v_cvt_f32_f16 v38, v58;
	;;#ASMEND
	;;#ASMSTART
	v_cvt_f32_f16 v58, v60;
	;;#ASMEND
	;;#ASMSTART
	v_cvt_f32_f16 v59, v61;
	;;#ASMEND
	ds_read_b32 v60, v14 offset:24
	v_fmac_f32_e32 v29, v37, v58
	v_fmac_f32_e32 v30, v38, v59
	;; [unrolled: 18-line block ×4, first 2 shown]
	s_waitcnt lgkmcnt(0)
	v_and_b32_e32 v65, 0xffff, v64
	v_lshrrev_b32_e32 v64, 16, v64
	;;#ASMSTART
	v_cvt_f32_f16 v43, v65;
	;;#ASMEND
	;;#ASMSTART
	v_cvt_f32_f16 v44, v64;
	;;#ASMEND
	;; [unrolled: 3-line block ×4, first 2 shown]
	ds_read_b32 v66, v14 offset:36
	v_and_b32_e32 v67, 0xffff, v45
	v_fmac_f32_e32 v29, v43, v64
	v_fmac_f32_e32 v30, v44, v65
	s_waitcnt lgkmcnt(0)
	v_and_b32_e32 v45, 0xffff, v66
	v_lshrrev_b32_e32 v66, 16, v66
	;;#ASMSTART
	v_cvt_f32_f16 v45, v45;
	;;#ASMEND
	;;#ASMSTART
	v_cvt_f32_f16 v46, v66;
	;;#ASMEND
	;; [unrolled: 3-line block ×4, first 2 shown]
	ds_read_b32 v66, v14 offset:40
	v_fmac_f32_e32 v29, v45, v50
	v_fmac_f32_e32 v30, v46, v51
	s_waitcnt lgkmcnt(0)
	v_and_b32_e32 v27, 0xffff, v66
	v_lshrrev_b32_e32 v28, 16, v66
	;;#ASMSTART
	v_cvt_f32_f16 v1, v27;
	;;#ASMEND
	;;#ASMSTART
	v_cvt_f32_f16 v27, v28;
	;;#ASMEND
	;; [unrolled: 3-line block ×4, first 2 shown]
	ds_read_b32 v32, v14 offset:44
	v_fmac_f32_e32 v29, v1, v28
	v_fmac_f32_e32 v30, v27, v31
	s_waitcnt lgkmcnt(0)
	v_and_b32_e32 v26, 0xffff, v32
	v_lshrrev_b32_e32 v32, 16, v32
	;;#ASMSTART
	v_cvt_f32_f16 v1, v26;
	;;#ASMEND
	;;#ASMSTART
	v_cvt_f32_f16 v8, v32;
	;;#ASMEND
	;;#ASMSTART
	v_cvt_f32_f16 v26, v33;
	;;#ASMEND
	;;#ASMSTART
	v_cvt_f32_f16 v27, v34;
	;;#ASMEND
	v_fmac_f32_e32 v29, v1, v26
	v_fmac_f32_e32 v30, v8, v27
	v_lshlrev_b32_e32 v1, 2, v7
	v_xor_b32_e32 v8, 1, v10
	v_add_f32_e32 v7, v29, v30
	v_cmp_gt_i32_e64 s2, 32, v8
	ds_bpermute_b32 v1, v1, v7
	v_cndmask_b32_e64 v8, v10, v8, s2
	s_waitcnt lgkmcnt(0)
	v_add_f32_e32 v1, v7, v1
	v_lshlrev_b32_e32 v7, 2, v8
	ds_bpermute_b32 v7, v7, v1
	s_and_saveexec_b32 s40, vcc_lo
	s_cbranch_execz .LBB237_10
; %bb.210:                              ;   in Loop: Header=BB237_12 Depth=1
	v_add_nc_u32_e32 v8, v22, v16
	s_waitcnt lgkmcnt(0)
	v_add_f32_e32 v1, v1, v7
	v_cvt_f32_i32_e32 v8, v8
	v_mul_f32_e32 v8, s36, v8
	v_cndmask_b32_e64 v7, 0, v8, s1
	v_max_f32_e32 v8, v15, v15
	v_fmac_f32_e32 v7, s35, v1
	v_add_nc_u32_e32 v1, v13, v16
	v_max_f32_e32 v8, v8, v7
	v_cmp_gt_i32_e64 s2, s11, v1
	v_cndmask_b32_e64 v1, 0, v7, s2
	v_cndmask_b32_e64 v15, v15, v8, s2
	ds_write_b32 v23, v1
	s_branch .LBB237_10
.LBB237_211:
	s_or_b32 exec_lo, exec_lo, s38
.LBB237_212:
	s_or_b32 exec_lo, exec_lo, s37
	v_xor_b32_e32 v1, 16, v10
	v_xor_b32_e32 v3, 8, v10
	v_max_f32_e32 v4, v15, v15
	v_xor_b32_e32 v5, 4, v10
	v_and_b32_e32 v13, 31, v0
	v_cmp_gt_i32_e32 vcc_lo, 32, v1
	v_cndmask_b32_e32 v1, v10, v1, vcc_lo
	v_cmp_gt_i32_e32 vcc_lo, 32, v3
	v_lshlrev_b32_e32 v2, 2, v1
	v_cndmask_b32_e32 v3, v10, v3, vcc_lo
	v_cmp_gt_i32_e32 vcc_lo, 32, v5
	ds_bpermute_b32 v1, v2, v15
	v_lshlrev_b32_e32 v3, 2, v3
	v_cndmask_b32_e32 v5, v10, v5, vcc_lo
	v_cmp_eq_u32_e32 vcc_lo, 0, v13
	v_lshlrev_b32_e32 v6, 2, v5
	s_waitcnt lgkmcnt(0)
	v_max_f32_e32 v1, v1, v1
	v_max_f32_e32 v1, v4, v1
	ds_bpermute_b32 v4, v3, v1
	s_waitcnt lgkmcnt(0)
	v_max_f32_e32 v4, v4, v4
	v_max_f32_e32 v1, v1, v4
	v_lshlrev_b32_e32 v4, 2, v11
	ds_bpermute_b32 v5, v6, v1
	s_and_saveexec_b32 s1, vcc_lo
	s_cbranch_execz .LBB237_214
; %bb.213:
	s_waitcnt lgkmcnt(0)
	v_max_f32_e32 v5, v5, v5
	v_max_f32_e32 v1, v1, v1
	;; [unrolled: 1-line block ×3, first 2 shown]
	ds_write_b32 v4, v1 offset:192
.LBB237_214:
	s_or_b32 exec_lo, exec_lo, s1
	v_cmp_gt_u32_e64 s1, 4, v13
	v_mov_b32_e32 v1, 0xff7fffff
	s_waitcnt lgkmcnt(0)
	v_lshlrev_b32_e32 v5, 2, v13
	s_barrier
	buffer_gl0_inv
	s_and_saveexec_b32 s2, s1
; %bb.215:
	ds_read_b32 v1, v5 offset:192
; %bb.216:
	s_or_b32 exec_lo, exec_lo, s2
	v_xor_b32_e32 v7, 2, v10
	v_xor_b32_e32 v14, 1, v10
	v_cmp_gt_i32_e64 s2, 32, v7
	v_cndmask_b32_e64 v7, v10, v7, s2
	v_cmp_gt_i32_e64 s2, 32, v14
	v_lshlrev_b32_e32 v7, 2, v7
	v_cndmask_b32_e64 v10, v10, v14, s2
	s_lshl_b32 s2, s20, 3
	s_min_i32 s4, s2, s11
	s_waitcnt lgkmcnt(0)
	ds_bpermute_b32 v8, v7, v1
	v_max_f32_e32 v1, v1, v1
	v_cmp_gt_i32_e64 s2, s4, v0
	s_waitcnt lgkmcnt(0)
	v_max_f32_e32 v14, v8, v8
	v_lshlrev_b32_e32 v8, 2, v10
	v_max_f32_e32 v1, v1, v14
	ds_bpermute_b32 v10, v8, v1
	s_waitcnt lgkmcnt(0)
	v_max_f32_e32 v10, v10, v10
	v_max_f32_e32 v1, v1, v10
	v_mov_b32_e32 v10, 0
	ds_bpermute_b32 v14, v10, v1
	v_lshl_add_u32 v1, v0, 2, 0xe0
	s_and_saveexec_b32 s5, s2
	s_cbranch_execz .LBB237_220
; %bb.217:
	v_lshl_add_u32 v15, v0, 2, 0xe0
	v_mov_b32_e32 v10, 0
	v_mov_b32_e32 v16, v0
	s_mov_b32 s12, 0
	.p2align	6
.LBB237_218:                            ; =>This Inner Loop Header: Depth=1
	ds_read_b32 v17, v15
	v_add_nc_u32_e32 v16, 0x80, v16
	v_cmp_le_i32_e64 s3, s4, v16
	s_or_b32 s12, s3, s12
	s_waitcnt lgkmcnt(0)
	v_sub_f32_e32 v17, v17, v14
	v_mul_f32_e32 v17, 0x3fb8aa3b, v17
	v_exp_f32_e32 v17, v17
	ds_write_b32 v15, v17
	v_add_f32_e32 v10, v10, v17
	v_add_nc_u32_e32 v15, 0x200, v15
	s_andn2_b32 exec_lo, exec_lo, s12
	s_cbranch_execnz .LBB237_218
; %bb.219:
	s_or_b32 exec_lo, exec_lo, s12
.LBB237_220:
	s_or_b32 exec_lo, exec_lo, s5
	ds_bpermute_b32 v2, v2, v10
	s_waitcnt lgkmcnt(0)
	v_add_f32_e32 v2, v10, v2
	ds_bpermute_b32 v3, v3, v2
	s_waitcnt lgkmcnt(0)
	v_add_f32_e32 v2, v2, v3
	;; [unrolled: 3-line block ×5, first 2 shown]
	s_and_saveexec_b32 s3, vcc_lo
; %bb.221:
	ds_write_b32 v4, v2 offset:208
; %bb.222:
	s_or_b32 exec_lo, exec_lo, s3
	s_waitcnt lgkmcnt(0)
	s_barrier
	buffer_gl0_inv
	s_and_saveexec_b32 s3, s1
; %bb.223:
	ds_read_b32 v2, v5 offset:208
; %bb.224:
	s_or_b32 exec_lo, exec_lo, s3
	s_waitcnt lgkmcnt(0)
	ds_bpermute_b32 v3, v7, v2
	s_waitcnt lgkmcnt(0)
	v_add_f32_e32 v2, v2, v3
	ds_bpermute_b32 v3, v8, v2
	s_waitcnt lgkmcnt(0)
	v_add_f32_e32 v2, v2, v3
	v_mov_b32_e32 v3, 0
	ds_bpermute_b32 v2, v3, v2
	s_and_saveexec_b32 s1, s2
	s_cbranch_execz .LBB237_227
; %bb.225:
	s_waitcnt lgkmcnt(0)
	v_add_f32_e32 v2, 0x358637bd, v2
	s_mov_b32 s2, 0
	v_div_scale_f32 v3, null, v2, v2, 1.0
	v_div_scale_f32 v6, vcc_lo, 1.0, v2, 1.0
	v_rcp_f32_e32 v4, v3
	v_fma_f32 v5, -v3, v4, 1.0
	v_fmac_f32_e32 v4, v5, v4
	v_mul_f32_e32 v5, v6, v4
	v_fma_f32 v7, -v3, v5, v6
	v_fmac_f32_e32 v5, v7, v4
	v_fma_f32 v3, -v3, v5, v6
	v_div_fmas_f32 v3, v3, v4, v5
	v_div_fixup_f32 v2, v3, v2, 1.0
	v_mov_b32_e32 v3, v0
.LBB237_226:                            ; =>This Inner Loop Header: Depth=1
	ds_read_b32 v4, v1
	v_add_nc_u32_e32 v3, 0x80, v3
	v_cmp_le_i32_e32 vcc_lo, s4, v3
	s_or_b32 s2, vcc_lo, s2
	s_waitcnt lgkmcnt(0)
	v_mul_f32_e32 v4, v2, v4
	ds_write_b32 v1, v4
	v_add_nc_u32_e32 v1, 0x200, v1
	s_andn2_b32 exec_lo, exec_lo, s2
	s_cbranch_execnz .LBB237_226
.LBB237_227:
	s_or_b32 exec_lo, exec_lo, s1
	v_mov_b32_e32 v16, 0
	v_mov_b32_e32 v15, 0
	;; [unrolled: 1-line block ×3, first 2 shown]
	s_waitcnt lgkmcnt(0)
	s_barrier
	buffer_gl0_inv
	s_and_saveexec_b32 s1, s0
	s_cbranch_execz .LBB237_431
; %bb.228:
	s_sub_i32 s4, s34, s21
	s_ashr_i32 s0, s18, 31
	s_add_u32 s18, s30, s18
	s_addc_u32 s0, s31, s0
	s_abs_i32 s5, s22
	v_lshlrev_b32_e32 v3, 3, v13
	v_cvt_f32_u32_e32 v1, s5
	s_sub_i32 s2, 0, s5
	v_and_b32_e32 v5, 0x7c, v9
	s_mov_b32 s12, s17
	v_add_co_u32 v3, s17, s18, v3
	v_rcp_iflag_f32_e32 v1, v1
	s_add_i32 s13, s20, -1
	v_mov_b32_e32 v2, 0
	v_lshl_add_u32 v17, v11, 5, 0xe0
	v_mov_b32_e32 v18, 0x80
	v_mov_b32_e32 v19, 0x7f
	;; [unrolled: 1-line block ×6, first 2 shown]
	v_mul_f32_e32 v1, 0x4f7ffffe, v1
	v_mov_b32_e32 v16, 0
	v_mov_b32_e32 v23, v11
	v_cvt_u32_f32_e32 v1, v1
	v_mul_lo_u32 v4, s2, v1
	s_lshl_b64 s[2:3], s[28:29], 2
	v_mul_hi_u32 v7, v1, v4
	v_add_co_ci_u32_e64 v4, null, s0, 0, s17
	s_add_u32 s0, s26, s2
	s_addc_u32 s2, s27, s3
	v_add_co_u32 v5, s0, s0, v5
	v_add_co_ci_u32_e64 v6, null, s2, 0, s0
	v_add_nc_u32_e32 v22, v1, v7
	s_mov_b32 s2, -1
	s_mov_b32 s3, 0xffffff
	s_mov_b32 s17, 0
	s_branch .LBB237_231
.LBB237_229:                            ;   in Loop: Header=BB237_231 Depth=1
	s_or_b32 exec_lo, exec_lo, s0
	;;#ASMSTART
	v_pk_mul_f16 v1, v36, v39;

	;;#ASMEND
	;;#ASMSTART
	v_pk_mul_f16 v24, v35, v37;

	;;#ASMEND
	;;#ASMSTART
	v_pk_mul_f16 v8, v34, v8;

	;;#ASMEND
	;;#ASMSTART
	v_pk_mul_f16 v7, v33, v7;

	;;#ASMEND
	;;#ASMSTART
	v_pk_add_f16 v1, v1, v24;

	;;#ASMEND
	;;#ASMSTART
	v_pk_add_f16 v1, v1, v8;

	;;#ASMEND
	;; [unrolled: 4-line block ×3, first 2 shown]
	v_and_b32_e32 v8, 0xffff, v1
	;;#ASMSTART
	v_cvt_f32_f16 v8, v8;
	;;#ASMEND
	v_lshrrev_b32_e32 v24, 16, v1
	v_add_f32_e32 v1, v9, v10
	v_add_f32_e32 v7, v31, v32
	;;#ASMSTART
	v_cvt_f32_f16 v9, v24;
	;;#ASMEND
	v_add_f32_e32 v8, v8, v9
	v_add_f32_e32 v15, v15, v1
	;; [unrolled: 1-line block ×4, first 2 shown]
.LBB237_230:                            ;   in Loop: Header=BB237_231 Depth=1
	s_or_b32 exec_lo, exec_lo, s18
	v_add_nc_u32_e32 v23, 4, v23
	v_add_co_u32 v5, s0, v5, 16
	v_add_co_ci_u32_e64 v6, null, 0, v6, s0
	v_cmp_le_i32_e32 vcc_lo, s20, v23
	v_add_nc_u32_e32 v12, 32, v12
	v_add_nc_u32_e32 v17, 0x80, v17
	s_or_b32 s17, vcc_lo, s17
	s_andn2_b32 exec_lo, exec_lo, s17
	s_cbranch_execz .LBB237_430
.LBB237_231:                            ; =>This Inner Loop Header: Depth=1
	v_mul_hi_u32 v1, v12, s25
	v_mul_lo_u32 v7, v1, s19
	v_add_nc_u32_e32 v8, 1, v1
	v_sub_nc_u32_e32 v7, v12, v7
	v_subrev_nc_u32_e32 v9, s19, v7
	v_cmp_le_u32_e32 vcc_lo, s19, v7
	v_cndmask_b32_e32 v1, v1, v8, vcc_lo
	v_cndmask_b32_e32 v7, v7, v9, vcc_lo
	v_add_nc_u32_e32 v8, 1, v1
	v_cmp_le_u32_e32 vcc_lo, s19, v7
	v_cndmask_b32_e32 v1, v1, v8, vcc_lo
	v_xor_b32_e32 v1, s23, v1
	v_subrev_nc_u32_e32 v1, s23, v1
	v_add_nc_u32_e32 v7, s33, v1
	v_cmp_lt_i32_e64 s0, s4, v1
	v_sub_nc_u32_e32 v8, 0, v7
	v_max_i32_e32 v8, v7, v8
	v_ashrrev_i32_e32 v7, 31, v7
	v_mul_hi_u32 v9, v8, v22
	v_mul_lo_u32 v9, v9, s5
	v_sub_nc_u32_e32 v8, v8, v9
	v_subrev_nc_u32_e32 v9, s5, v8
	v_cmp_le_u32_e32 vcc_lo, s5, v8
	v_cndmask_b32_e32 v8, v8, v9, vcc_lo
	v_subrev_nc_u32_e32 v9, s5, v8
	v_cmp_le_u32_e32 vcc_lo, s5, v8
	v_cndmask_b32_e32 v8, v8, v9, vcc_lo
	v_xor_b32_e32 v8, v8, v7
	v_sub_nc_u32_e32 v7, v8, v7
	v_cmp_eq_u32_e32 vcc_lo, 0, v7
	s_or_b32 s0, vcc_lo, s0
	s_and_saveexec_b32 s18, s0
	s_cbranch_execz .LBB237_230
; %bb.232:                              ;   in Loop: Header=BB237_231 Depth=1
	global_load_dword v1, v[5:6], off
	ds_read2_b64 v[24:27], v17 offset1:1
	ds_read2_b64 v[36:39], v17 offset0:2 offset1:3
	s_waitcnt lgkmcnt(1)
	;;#ASMSTART
	v_cvt_f16_f32 v31, v24;

	;;#ASMEND
	;;#ASMSTART
	v_cvt_f16_f32 v32, v25;

	;;#ASMEND
	;;#ASMSTART
	v_cvt_f16_f32 v35, v26;

	;;#ASMEND
	;;#ASMSTART
	v_cvt_f16_f32 v33, v27;

	;;#ASMEND
	s_waitcnt lgkmcnt(0)
	;;#ASMSTART
	v_cvt_f16_f32 v36, v36;

	;;#ASMEND
	;;#ASMSTART
	v_cvt_f16_f32 v34, v37;

	;;#ASMEND
	;; [unrolled: 4-line block ×4, first 2 shown]
	v_mov_b32_e32 v25, 0
	v_mov_b32_e32 v26, 0
	global_load_dword v24, v25, s[14:15]
	s_waitcnt vmcnt(1)
	v_mad_i64_i32 v[7:8], null, v1, s12, v[3:4]
	global_load_dwordx2 v[9:10], v[7:8], off
	s_waitcnt vmcnt(0)
	v_cmp_ne_u16_sdwa s21, v9, v2 src0_sel:BYTE_0 src1_sel:DWORD
	s_and_saveexec_b32 s0, s21
	s_cbranch_execz .LBB237_240
; %bb.233:                              ;   in Loop: Header=BB237_231 Depth=1
	v_cmp_ne_u16_sdwa s22, v9, v18 src0_sel:BYTE_0 src1_sel:DWORD
	v_mov_b32_e32 v26, 0x8000
	s_and_saveexec_b32 s21, s22
	s_cbranch_execz .LBB237_239
; %bb.234:                              ;   in Loop: Header=BB237_231 Depth=1
	v_and_b32_e32 v27, 0x7f, v9
	v_mov_b32_e32 v26, 0x7c01
	s_mov_b32 s22, exec_lo
	v_cmpx_ne_u32_e32 0x7f, v27
	s_cbranch_execz .LBB237_238
; %bb.235:                              ;   in Loop: Header=BB237_231 Depth=1
	v_and_b32_e32 v1, 7, v9
	v_lshrrev_b32_e32 v26, 3, v27
	s_mov_b32 s26, exec_lo
	v_cmpx_gt_u32_e32 8, v27
; %bb.236:                              ;   in Loop: Header=BB237_231 Depth=1
	v_ffbh_u32_e32 v1, v1
	v_min_u32_e32 v1, 32, v1
	v_subrev_nc_u32_e32 v26, 28, v1
	v_lshlrev_b64 v[27:28], v26, v[9:10]
	v_sub_nc_u32_e32 v26, 29, v1
	v_and_b32_e32 v1, 7, v27
; %bb.237:                              ;   in Loop: Header=BB237_231 Depth=1
	s_or_b32 exec_lo, exec_lo, s26
	v_lshlrev_b32_e32 v27, 8, v9
	v_lshl_add_u32 v26, v26, 10, 0x2000
	v_lshlrev_b32_e32 v1, 7, v1
	v_and_b32_e32 v27, 0x8000, v27
	v_and_b32_e32 v26, 0xfc00, v26
	v_or3_b32 v26, v27, v26, v1
.LBB237_238:                            ;   in Loop: Header=BB237_231 Depth=1
	s_or_b32 exec_lo, exec_lo, s22
.LBB237_239:                            ;   in Loop: Header=BB237_231 Depth=1
	s_or_b32 exec_lo, exec_lo, s21
.LBB237_240:                            ;   in Loop: Header=BB237_231 Depth=1
	s_or_b32 exec_lo, exec_lo, s0
	v_lshrrev_b16 v1, 8, v9
	s_mov_b32 s0, exec_lo
	v_cmpx_ne_u16_e32 0, v1
	s_cbranch_execz .LBB237_248
; %bb.241:                              ;   in Loop: Header=BB237_231 Depth=1
	v_bfrev_b32_e32 v25, 1
	s_mov_b32 s21, exec_lo
	v_cmpx_ne_u16_e32 0x80, v1
	s_cbranch_execz .LBB237_247
; %bb.242:                              ;   in Loop: Header=BB237_231 Depth=1
	v_and_b32_sdwa v28, v1, v19 dst_sel:DWORD dst_unused:UNUSED_PAD src0_sel:WORD_0 src1_sel:DWORD
	v_mov_b32_e32 v25, 0x7c010000
	s_mov_b32 s22, exec_lo
	v_cmpx_ne_u32_e32 0x7f, v28
	s_cbranch_execz .LBB237_246
; %bb.243:                              ;   in Loop: Header=BB237_231 Depth=1
	v_and_b32_sdwa v25, v1, v20 dst_sel:DWORD dst_unused:UNUSED_PAD src0_sel:WORD_0 src1_sel:DWORD
	v_lshrrev_b32_e32 v27, 3, v28
	s_mov_b32 s26, exec_lo
	v_cmpx_gt_u32_e32 8, v28
; %bb.244:                              ;   in Loop: Header=BB237_231 Depth=1
	v_ffbh_u32_e32 v25, v25
	v_min_u32_e32 v25, 32, v25
	v_subrev_nc_u32_e32 v27, 28, v25
	v_lshlrev_b64 v[28:29], v27, v[1:2]
	v_sub_nc_u32_e32 v27, 29, v25
	v_and_b32_e32 v25, 7, v28
; %bb.245:                              ;   in Loop: Header=BB237_231 Depth=1
	s_or_b32 exec_lo, exec_lo, s26
	v_lshlrev_b32_sdwa v1, v21, v1 dst_sel:DWORD dst_unused:UNUSED_PAD src0_sel:DWORD src1_sel:WORD_0
	v_lshl_add_u32 v27, v27, 10, 0x2000
	v_lshlrev_b32_e32 v25, 23, v25
	v_and_or_b32 v1, 0x8000, v1, v27
	v_lshl_or_b32 v25, v1, 16, v25
.LBB237_246:                            ;   in Loop: Header=BB237_231 Depth=1
	s_or_b32 exec_lo, exec_lo, s22
.LBB237_247:                            ;   in Loop: Header=BB237_231 Depth=1
	s_or_b32 exec_lo, exec_lo, s21
.LBB237_248:                            ;   in Loop: Header=BB237_231 Depth=1
	s_or_b32 exec_lo, exec_lo, s0
	v_lshrrev_b32_e32 v1, 16, v9
	v_mov_b32_e32 v27, 0
	v_mov_b32_e32 v28, 0
	v_cmp_ne_u16_sdwa s21, v1, v2 src0_sel:BYTE_0 src1_sel:DWORD
	s_and_saveexec_b32 s0, s21
	s_cbranch_execz .LBB237_256
; %bb.249:                              ;   in Loop: Header=BB237_231 Depth=1
	v_cmp_ne_u16_sdwa s22, v1, v18 src0_sel:BYTE_0 src1_sel:DWORD
	v_mov_b32_e32 v28, 0x8000
	s_and_saveexec_b32 s21, s22
	s_cbranch_execz .LBB237_255
; %bb.250:                              ;   in Loop: Header=BB237_231 Depth=1
	v_bfe_u32 v30, v9, 16, 7
	v_mov_b32_e32 v28, 0x7c01
	s_mov_b32 s22, exec_lo
	v_cmpx_ne_u32_e32 0x7f, v30
	s_cbranch_execz .LBB237_254
; %bb.251:                              ;   in Loop: Header=BB237_231 Depth=1
	v_and_b32_e32 v28, 7, v1
	v_lshrrev_b32_e32 v29, 3, v30
	s_mov_b32 s26, exec_lo
	v_cmpx_gt_u32_e32 8, v30
; %bb.252:                              ;   in Loop: Header=BB237_231 Depth=1
	v_ffbh_u32_e32 v28, v28
	v_min_u32_e32 v30, 32, v28
	v_subrev_nc_u32_e32 v28, 28, v30
	v_lshlrev_b64 v[28:29], v28, v[1:2]
	v_sub_nc_u32_e32 v29, 29, v30
	v_and_b32_e32 v28, 7, v28
; %bb.253:                              ;   in Loop: Header=BB237_231 Depth=1
	s_or_b32 exec_lo, exec_lo, s26
	v_lshlrev_b32_e32 v1, 8, v1
	v_lshl_add_u32 v29, v29, 10, 0x2000
	v_lshlrev_b32_e32 v28, 7, v28
	v_and_b32_e32 v1, 0x8000, v1
	v_and_b32_e32 v29, 0xfc00, v29
	v_or3_b32 v28, v1, v29, v28
.LBB237_254:                            ;   in Loop: Header=BB237_231 Depth=1
	s_or_b32 exec_lo, exec_lo, s22
.LBB237_255:                            ;   in Loop: Header=BB237_231 Depth=1
	s_or_b32 exec_lo, exec_lo, s21
.LBB237_256:                            ;   in Loop: Header=BB237_231 Depth=1
	s_or_b32 exec_lo, exec_lo, s0
	s_mov_b32 s0, exec_lo
	v_cmpx_lt_u32_e32 0xffffff, v9
	s_cbranch_execz .LBB237_264
; %bb.257:                              ;   in Loop: Header=BB237_231 Depth=1
	v_lshrrev_b32_e32 v1, 24, v9
	v_bfrev_b32_e32 v27, 1
	s_mov_b32 s21, exec_lo
	v_cmpx_ne_u32_e32 0x80, v1
	s_cbranch_execz .LBB237_263
; %bb.258:                              ;   in Loop: Header=BB237_231 Depth=1
	v_and_b32_e32 v30, 0x7f, v1
	v_mov_b32_e32 v27, 0x7c010000
	s_mov_b32 s22, exec_lo
	v_cmpx_ne_u32_e32 0x7f, v30
	s_cbranch_execz .LBB237_262
; %bb.259:                              ;   in Loop: Header=BB237_231 Depth=1
	v_and_b32_e32 v27, 7, v1
	v_lshrrev_b32_e32 v29, 3, v30
	s_mov_b32 s26, exec_lo
	v_cmpx_gt_u32_e32 8, v30
; %bb.260:                              ;   in Loop: Header=BB237_231 Depth=1
	v_ffbh_u32_e32 v27, v27
	v_min_u32_e32 v27, 32, v27
	v_subrev_nc_u32_e32 v29, 28, v27
	v_lshlrev_b64 v[39:40], v29, v[1:2]
	v_sub_nc_u32_e32 v29, 29, v27
	v_and_b32_e32 v27, 7, v39
; %bb.261:                              ;   in Loop: Header=BB237_231 Depth=1
	s_or_b32 exec_lo, exec_lo, s26
	v_lshlrev_b32_e32 v1, 8, v1
	v_lshl_add_u32 v29, v29, 10, 0x2000
	v_lshlrev_b32_e32 v27, 23, v27
	v_and_or_b32 v1, 0x8000, v1, v29
	v_lshl_or_b32 v27, v1, 16, v27
.LBB237_262:                            ;   in Loop: Header=BB237_231 Depth=1
	s_or_b32 exec_lo, exec_lo, s22
.LBB237_263:                            ;   in Loop: Header=BB237_231 Depth=1
	s_or_b32 exec_lo, exec_lo, s21
.LBB237_264:                            ;   in Loop: Header=BB237_231 Depth=1
	s_or_b32 exec_lo, exec_lo, s0
	v_mov_b32_e32 v1, v10
	v_cmp_ne_u16_sdwa s21, v10, v2 src0_sel:BYTE_0 src1_sel:DWORD
	v_mov_b32_e32 v29, 0
	v_mov_b32_e32 v30, 0
	s_and_saveexec_b32 s0, s21
	s_cbranch_execz .LBB237_272
; %bb.265:                              ;   in Loop: Header=BB237_231 Depth=1
	v_cmp_ne_u16_sdwa s22, v10, v18 src0_sel:BYTE_0 src1_sel:DWORD
	v_mov_b32_e32 v30, 0x8000
	s_and_saveexec_b32 s21, s22
	s_cbranch_execz .LBB237_271
; %bb.266:                              ;   in Loop: Header=BB237_231 Depth=1
	v_and_b32_e32 v40, 0x7f, v10
	v_mov_b32_e32 v30, 0x7c01
	s_mov_b32 s22, exec_lo
	v_cmpx_ne_u32_e32 0x7f, v40
	s_cbranch_execz .LBB237_270
; %bb.267:                              ;   in Loop: Header=BB237_231 Depth=1
	v_and_b32_e32 v30, 7, v10
	v_lshrrev_b32_e32 v39, 3, v40
	s_mov_b32 s26, exec_lo
	v_cmpx_gt_u32_e32 8, v40
; %bb.268:                              ;   in Loop: Header=BB237_231 Depth=1
	v_ffbh_u32_e32 v30, v30
	v_min_u32_e32 v30, 32, v30
	v_subrev_nc_u32_e32 v39, 28, v30
	v_lshlrev_b64 v[40:41], v39, v[1:2]
	v_sub_nc_u32_e32 v39, 29, v30
	v_and_b32_e32 v30, 7, v40
; %bb.269:                              ;   in Loop: Header=BB237_231 Depth=1
	s_or_b32 exec_lo, exec_lo, s26
	v_lshlrev_b32_e32 v40, 8, v10
	v_lshl_add_u32 v39, v39, 10, 0x2000
	v_lshlrev_b32_e32 v30, 7, v30
	v_and_b32_e32 v40, 0x8000, v40
	v_and_b32_e32 v39, 0xfc00, v39
	v_or3_b32 v30, v40, v39, v30
.LBB237_270:                            ;   in Loop: Header=BB237_231 Depth=1
	s_or_b32 exec_lo, exec_lo, s22
.LBB237_271:                            ;   in Loop: Header=BB237_231 Depth=1
	s_or_b32 exec_lo, exec_lo, s21
.LBB237_272:                            ;   in Loop: Header=BB237_231 Depth=1
	s_or_b32 exec_lo, exec_lo, s0
	v_lshrrev_b16 v1, 8, v1
	v_mov_b32_e32 v39, 0
	s_mov_b32 s0, exec_lo
	v_cmpx_ne_u16_e32 0, v1
	s_cbranch_execz .LBB237_280
; %bb.273:                              ;   in Loop: Header=BB237_231 Depth=1
	v_bfrev_b32_e32 v39, 1
	s_mov_b32 s21, exec_lo
	v_cmpx_ne_u16_e32 0x80, v1
	s_cbranch_execz .LBB237_279
; %bb.274:                              ;   in Loop: Header=BB237_231 Depth=1
	v_and_b32_sdwa v41, v1, v19 dst_sel:DWORD dst_unused:UNUSED_PAD src0_sel:WORD_0 src1_sel:DWORD
	v_mov_b32_e32 v39, 0x7c010000
	s_mov_b32 s22, exec_lo
	v_cmpx_ne_u32_e32 0x7f, v41
	s_cbranch_execz .LBB237_278
; %bb.275:                              ;   in Loop: Header=BB237_231 Depth=1
	v_and_b32_sdwa v39, v1, v20 dst_sel:DWORD dst_unused:UNUSED_PAD src0_sel:WORD_0 src1_sel:DWORD
	v_lshrrev_b32_e32 v40, 3, v41
	s_mov_b32 s26, exec_lo
	v_cmpx_gt_u32_e32 8, v41
; %bb.276:                              ;   in Loop: Header=BB237_231 Depth=1
	v_ffbh_u32_e32 v39, v39
	v_min_u32_e32 v41, 32, v39
	v_subrev_nc_u32_e32 v39, 28, v41
	v_lshlrev_b64 v[39:40], v39, v[1:2]
	v_sub_nc_u32_e32 v40, 29, v41
	v_and_b32_e32 v39, 7, v39
; %bb.277:                              ;   in Loop: Header=BB237_231 Depth=1
	s_or_b32 exec_lo, exec_lo, s26
	v_lshlrev_b32_sdwa v1, v21, v1 dst_sel:DWORD dst_unused:UNUSED_PAD src0_sel:DWORD src1_sel:WORD_0
	v_lshl_add_u32 v40, v40, 10, 0x2000
	v_lshlrev_b32_e32 v39, 23, v39
	v_and_or_b32 v1, 0x8000, v1, v40
	v_lshl_or_b32 v39, v1, 16, v39
.LBB237_278:                            ;   in Loop: Header=BB237_231 Depth=1
	s_or_b32 exec_lo, exec_lo, s22
.LBB237_279:                            ;   in Loop: Header=BB237_231 Depth=1
	s_or_b32 exec_lo, exec_lo, s21
.LBB237_280:                            ;   in Loop: Header=BB237_231 Depth=1
	s_or_b32 exec_lo, exec_lo, s0
	v_lshrrev_b32_e32 v1, 16, v10
	v_cmp_ne_u16_sdwa s21, v1, v2 src0_sel:BYTE_0 src1_sel:DWORD
	s_and_saveexec_b32 s0, s21
	s_cbranch_execz .LBB237_288
; %bb.281:                              ;   in Loop: Header=BB237_231 Depth=1
	v_cmp_ne_u16_sdwa s22, v1, v18 src0_sel:BYTE_0 src1_sel:DWORD
	v_mov_b32_e32 v29, 0x8000
	s_and_saveexec_b32 s21, s22
	s_cbranch_execz .LBB237_287
; %bb.282:                              ;   in Loop: Header=BB237_231 Depth=1
	v_bfe_u32 v41, v10, 16, 7
	v_mov_b32_e32 v29, 0x7c01
	s_mov_b32 s22, exec_lo
	v_cmpx_ne_u32_e32 0x7f, v41
	s_cbranch_execz .LBB237_286
; %bb.283:                              ;   in Loop: Header=BB237_231 Depth=1
	v_and_b32_e32 v29, 7, v1
	v_lshrrev_b32_e32 v40, 3, v41
	s_mov_b32 s26, exec_lo
	v_cmpx_gt_u32_e32 8, v41
; %bb.284:                              ;   in Loop: Header=BB237_231 Depth=1
	v_ffbh_u32_e32 v29, v29
	v_min_u32_e32 v29, 32, v29
	v_subrev_nc_u32_e32 v40, 28, v29
	v_lshlrev_b64 v[41:42], v40, v[1:2]
	v_sub_nc_u32_e32 v40, 29, v29
	v_and_b32_e32 v29, 7, v41
; %bb.285:                              ;   in Loop: Header=BB237_231 Depth=1
	s_or_b32 exec_lo, exec_lo, s26
	v_lshlrev_b32_e32 v1, 8, v1
	v_lshl_add_u32 v40, v40, 10, 0x2000
	v_lshlrev_b32_e32 v29, 7, v29
	v_and_b32_e32 v1, 0x8000, v1
	v_and_b32_e32 v40, 0xfc00, v40
	v_or3_b32 v29, v1, v40, v29
.LBB237_286:                            ;   in Loop: Header=BB237_231 Depth=1
	s_or_b32 exec_lo, exec_lo, s22
.LBB237_287:                            ;   in Loop: Header=BB237_231 Depth=1
	s_or_b32 exec_lo, exec_lo, s21
.LBB237_288:                            ;   in Loop: Header=BB237_231 Depth=1
	s_or_b32 exec_lo, exec_lo, s0
	v_cmp_lt_u64_e32 vcc_lo, s[2:3], v[9:10]
	v_mov_b32_e32 v9, 0
	s_and_saveexec_b32 s0, vcc_lo
	s_cbranch_execz .LBB237_296
; %bb.289:                              ;   in Loop: Header=BB237_231 Depth=1
	v_lshrrev_b32_e32 v1, 24, v10
	v_bfrev_b32_e32 v9, 1
	s_mov_b32 s21, exec_lo
	v_cmpx_ne_u32_e32 0x80, v1
	s_cbranch_execz .LBB237_295
; %bb.290:                              ;   in Loop: Header=BB237_231 Depth=1
	v_and_b32_e32 v40, 0x7f, v1
	v_mov_b32_e32 v9, 0x7c010000
	s_mov_b32 s22, exec_lo
	v_cmpx_ne_u32_e32 0x7f, v40
	s_cbranch_execz .LBB237_294
; %bb.291:                              ;   in Loop: Header=BB237_231 Depth=1
	v_and_b32_e32 v9, 7, v1
	v_lshrrev_b32_e32 v10, 3, v40
	s_mov_b32 s26, exec_lo
	v_cmpx_gt_u32_e32 8, v40
; %bb.292:                              ;   in Loop: Header=BB237_231 Depth=1
	v_ffbh_u32_e32 v9, v9
	v_min_u32_e32 v40, 32, v9
	v_subrev_nc_u32_e32 v9, 28, v40
	v_lshlrev_b64 v[9:10], v9, v[1:2]
	v_sub_nc_u32_e32 v10, 29, v40
	v_and_b32_e32 v9, 7, v9
; %bb.293:                              ;   in Loop: Header=BB237_231 Depth=1
	s_or_b32 exec_lo, exec_lo, s26
	v_lshlrev_b32_e32 v1, 8, v1
	v_lshl_add_u32 v10, v10, 10, 0x2000
	v_lshlrev_b32_e32 v9, 23, v9
	v_and_or_b32 v1, 0x8000, v1, v10
	v_lshl_or_b32 v9, v1, 16, v9
.LBB237_294:                            ;   in Loop: Header=BB237_231 Depth=1
	s_or_b32 exec_lo, exec_lo, s22
.LBB237_295:                            ;   in Loop: Header=BB237_231 Depth=1
	s_or_b32 exec_lo, exec_lo, s21
.LBB237_296:                            ;   in Loop: Header=BB237_231 Depth=1
	s_or_b32 exec_lo, exec_lo, s0
	v_or_b32_e32 v1, v27, v28
	v_fma_mixlo_f16 v10, v24, v27, 0 op_sel:[0,1,0] op_sel_hi:[0,1,0]
	v_or_b32_e32 v26, v25, v26
	v_fma_mixlo_f16 v25, v24, v25, 0 op_sel:[0,1,0] op_sel_hi:[0,1,0]
	v_or_b32_e32 v27, v39, v30
	v_fma_mixlo_f16 v1, v24, v1, 0 op_sel_hi:[0,1,0]
	v_or_b32_e32 v28, v9, v29
	v_fma_mixlo_f16 v9, v24, v9, 0 op_sel:[0,1,0] op_sel_hi:[0,1,0]
	v_lshlrev_b32_e32 v45, 16, v25
	v_fma_mixlo_f16 v25, v24, v26, 0 op_sel_hi:[0,1,0]
	v_and_b32_e32 v42, 0xffff, v1
	v_fma_mixlo_f16 v1, v24, v39, 0 op_sel:[0,1,0] op_sel_hi:[0,1,0]
	v_fma_mixlo_f16 v26, v24, v27, 0 op_sel_hi:[0,1,0]
	v_fma_mixlo_f16 v24, v24, v28, 0 op_sel_hi:[0,1,0]
	v_lshlrev_b32_e32 v10, 16, v10
	v_and_b32_e32 v47, 0xffff, v25
	v_lshlrev_b32_e32 v43, 16, v1
	v_and_b32_e32 v46, 0xffff, v26
	;; [unrolled: 2-line block ×3, first 2 shown]
	v_cmp_eq_u32_e32 vcc_lo, s13, v23
	v_or_b32_e32 v1, v10, v42
	v_or_b32_e32 v9, v45, v47
	v_or_b32_e32 v39, v43, v46
	v_or_b32_e32 v41, v40, v44
	v_add_nc_u32_e32 v30, 1, v12
	v_add_nc_u32_e32 v29, 2, v12
	;; [unrolled: 1-line block ×7, first 2 shown]
	s_and_saveexec_b32 s21, vcc_lo
	s_cbranch_execz .LBB237_298
; %bb.297:                              ;   in Loop: Header=BB237_231 Depth=1
	v_cmp_gt_i32_e64 s0, s11, v12
	v_cndmask_b32_e64 v1, 0, v47, s0
	v_cmp_gt_i32_e64 s0, s11, v30
	v_cndmask_b32_e64 v9, 0, v45, s0
	v_cmp_gt_i32_e64 s0, s11, v29
	v_or_b32_e32 v9, v9, v1
	v_cndmask_b32_e64 v39, 0, v42, s0
	v_cmp_gt_i32_e64 s0, s11, v28
	v_cndmask_b32_e64 v10, 0, v10, s0
	v_cmp_gt_i32_e64 s0, s11, v27
	v_or_b32_e32 v1, v10, v39
	v_cndmask_b32_e64 v41, 0, v46, s0
	v_cmp_gt_i32_e64 s0, s11, v26
	v_cndmask_b32_e64 v42, 0, v43, s0
	v_cmp_gt_i32_e64 s0, s11, v25
	v_or_b32_e32 v39, v42, v41
	v_cndmask_b32_e64 v43, 0, v44, s0
	v_cmp_gt_i32_e64 s0, s11, v24
	v_cndmask_b32_e64 v40, 0, v40, s0
	v_or_b32_e32 v41, v40, v43
.LBB237_298:                            ;   in Loop: Header=BB237_231 Depth=1
	s_or_b32 exec_lo, exec_lo, s21
	v_and_b32_e32 v10, 0xffff, v31
	v_and_b32_e32 v31, 0xffff, v35
	v_and_b32_e32 v40, 0xffff, v36
	v_and_b32_e32 v38, 0xffff, v38
	v_lshl_or_b32 v36, v32, 16, v10
	v_lshl_or_b32 v35, v33, 16, v31
	;;#ASMSTART
	v_pk_mul_f16 v9, v36, v9;

	;;#ASMEND
	;;#ASMSTART
	v_pk_mul_f16 v1, v35, v1;

	;;#ASMEND
	v_lshl_or_b32 v34, v34, 16, v40
	v_lshl_or_b32 v33, v37, 16, v38
	;;#ASMSTART
	v_pk_mul_f16 v10, v34, v39;

	;;#ASMEND
	;;#ASMSTART
	v_pk_mul_f16 v31, v33, v41;

	;;#ASMEND
	;;#ASMSTART
	v_pk_add_f16 v1, v9, v1;

	;;#ASMEND
	;;#ASMSTART
	v_pk_add_f16 v1, v1, v10;
	;; [unrolled: 4-line block ×3, first 2 shown]

	;;#ASMEND
	v_and_b32_e32 v9, 0xffff, v1
	v_lshrrev_b32_e32 v1, 16, v1
	;;#ASMSTART
	v_cvt_f32_f16 v31, v9;
	;;#ASMEND
	;;#ASMSTART
	v_cvt_f32_f16 v32, v1;
	;;#ASMEND
	global_load_dwordx2 v[9:10], v[7:8], off offset:256
	v_mov_b32_e32 v38, 0
	v_mov_b32_e32 v39, 0
	global_load_dword v37, v38, s[14:15]
	s_waitcnt vmcnt(1)
	v_cmp_ne_u16_sdwa s0, v9, v2 src0_sel:BYTE_0 src1_sel:DWORD
	s_and_saveexec_b32 s21, s0
	s_cbranch_execz .LBB237_306
; %bb.299:                              ;   in Loop: Header=BB237_231 Depth=1
	v_cmp_ne_u16_sdwa s0, v9, v18 src0_sel:BYTE_0 src1_sel:DWORD
	v_mov_b32_e32 v39, 0x8000
	s_and_saveexec_b32 s22, s0
	s_cbranch_execz .LBB237_305
; %bb.300:                              ;   in Loop: Header=BB237_231 Depth=1
	v_and_b32_e32 v40, 0x7f, v9
	v_mov_b32_e32 v39, 0x7c01
	s_mov_b32 s26, exec_lo
	v_cmpx_ne_u32_e32 0x7f, v40
	s_cbranch_execz .LBB237_304
; %bb.301:                              ;   in Loop: Header=BB237_231 Depth=1
	v_and_b32_e32 v1, 7, v9
	v_lshrrev_b32_e32 v39, 3, v40
	s_mov_b32 s27, exec_lo
	v_cmpx_gt_u32_e32 8, v40
; %bb.302:                              ;   in Loop: Header=BB237_231 Depth=1
	v_ffbh_u32_e32 v1, v1
	v_min_u32_e32 v1, 32, v1
	v_subrev_nc_u32_e32 v39, 28, v1
	v_lshlrev_b64 v[40:41], v39, v[9:10]
	v_sub_nc_u32_e32 v39, 29, v1
	v_and_b32_e32 v1, 7, v40
; %bb.303:                              ;   in Loop: Header=BB237_231 Depth=1
	s_or_b32 exec_lo, exec_lo, s27
	v_lshlrev_b32_e32 v40, 8, v9
	v_lshl_add_u32 v39, v39, 10, 0x2000
	v_lshlrev_b32_e32 v1, 7, v1
	v_and_b32_e32 v40, 0x8000, v40
	v_and_b32_e32 v39, 0xfc00, v39
	v_or3_b32 v39, v40, v39, v1
.LBB237_304:                            ;   in Loop: Header=BB237_231 Depth=1
	s_or_b32 exec_lo, exec_lo, s26
.LBB237_305:                            ;   in Loop: Header=BB237_231 Depth=1
	s_or_b32 exec_lo, exec_lo, s22
.LBB237_306:                            ;   in Loop: Header=BB237_231 Depth=1
	s_or_b32 exec_lo, exec_lo, s21
	v_lshrrev_b16 v1, 8, v9
	s_mov_b32 s21, exec_lo
	v_cmpx_ne_u16_e32 0, v1
	s_cbranch_execz .LBB237_314
; %bb.307:                              ;   in Loop: Header=BB237_231 Depth=1
	v_bfrev_b32_e32 v38, 1
	s_mov_b32 s22, exec_lo
	v_cmpx_ne_u16_e32 0x80, v1
	s_cbranch_execz .LBB237_313
; %bb.308:                              ;   in Loop: Header=BB237_231 Depth=1
	v_and_b32_sdwa v41, v1, v19 dst_sel:DWORD dst_unused:UNUSED_PAD src0_sel:WORD_0 src1_sel:DWORD
	v_mov_b32_e32 v38, 0x7c010000
	s_mov_b32 s26, exec_lo
	v_cmpx_ne_u32_e32 0x7f, v41
	s_cbranch_execz .LBB237_312
; %bb.309:                              ;   in Loop: Header=BB237_231 Depth=1
	v_and_b32_sdwa v38, v1, v20 dst_sel:DWORD dst_unused:UNUSED_PAD src0_sel:WORD_0 src1_sel:DWORD
	v_lshrrev_b32_e32 v40, 3, v41
	s_mov_b32 s27, exec_lo
	v_cmpx_gt_u32_e32 8, v41
; %bb.310:                              ;   in Loop: Header=BB237_231 Depth=1
	v_ffbh_u32_e32 v38, v38
	v_min_u32_e32 v38, 32, v38
	v_subrev_nc_u32_e32 v40, 28, v38
	v_lshlrev_b64 v[41:42], v40, v[1:2]
	v_sub_nc_u32_e32 v40, 29, v38
	v_and_b32_e32 v38, 7, v41
; %bb.311:                              ;   in Loop: Header=BB237_231 Depth=1
	s_or_b32 exec_lo, exec_lo, s27
	v_lshlrev_b32_sdwa v1, v21, v1 dst_sel:DWORD dst_unused:UNUSED_PAD src0_sel:DWORD src1_sel:WORD_0
	v_lshl_add_u32 v40, v40, 10, 0x2000
	v_lshlrev_b32_e32 v38, 23, v38
	v_and_or_b32 v1, 0x8000, v1, v40
	v_lshl_or_b32 v38, v1, 16, v38
.LBB237_312:                            ;   in Loop: Header=BB237_231 Depth=1
	s_or_b32 exec_lo, exec_lo, s26
.LBB237_313:                            ;   in Loop: Header=BB237_231 Depth=1
	s_or_b32 exec_lo, exec_lo, s22
.LBB237_314:                            ;   in Loop: Header=BB237_231 Depth=1
	s_or_b32 exec_lo, exec_lo, s21
	v_lshrrev_b32_e32 v1, 16, v9
	v_mov_b32_e32 v40, 0
	v_mov_b32_e32 v41, 0
	v_cmp_ne_u16_sdwa s0, v1, v2 src0_sel:BYTE_0 src1_sel:DWORD
	s_and_saveexec_b32 s21, s0
	s_cbranch_execz .LBB237_322
; %bb.315:                              ;   in Loop: Header=BB237_231 Depth=1
	v_cmp_ne_u16_sdwa s0, v1, v18 src0_sel:BYTE_0 src1_sel:DWORD
	v_mov_b32_e32 v41, 0x8000
	s_and_saveexec_b32 s22, s0
	s_cbranch_execz .LBB237_321
; %bb.316:                              ;   in Loop: Header=BB237_231 Depth=1
	v_bfe_u32 v43, v9, 16, 7
	v_mov_b32_e32 v41, 0x7c01
	s_mov_b32 s26, exec_lo
	v_cmpx_ne_u32_e32 0x7f, v43
	s_cbranch_execz .LBB237_320
; %bb.317:                              ;   in Loop: Header=BB237_231 Depth=1
	v_and_b32_e32 v41, 7, v1
	v_lshrrev_b32_e32 v42, 3, v43
	s_mov_b32 s27, exec_lo
	v_cmpx_gt_u32_e32 8, v43
; %bb.318:                              ;   in Loop: Header=BB237_231 Depth=1
	v_ffbh_u32_e32 v41, v41
	v_min_u32_e32 v43, 32, v41
	v_subrev_nc_u32_e32 v41, 28, v43
	v_lshlrev_b64 v[41:42], v41, v[1:2]
	v_sub_nc_u32_e32 v42, 29, v43
	v_and_b32_e32 v41, 7, v41
; %bb.319:                              ;   in Loop: Header=BB237_231 Depth=1
	s_or_b32 exec_lo, exec_lo, s27
	v_lshlrev_b32_e32 v1, 8, v1
	v_lshl_add_u32 v42, v42, 10, 0x2000
	v_lshlrev_b32_e32 v41, 7, v41
	v_and_b32_e32 v1, 0x8000, v1
	v_and_b32_e32 v42, 0xfc00, v42
	v_or3_b32 v41, v1, v42, v41
.LBB237_320:                            ;   in Loop: Header=BB237_231 Depth=1
	s_or_b32 exec_lo, exec_lo, s26
.LBB237_321:                            ;   in Loop: Header=BB237_231 Depth=1
	s_or_b32 exec_lo, exec_lo, s22
.LBB237_322:                            ;   in Loop: Header=BB237_231 Depth=1
	s_or_b32 exec_lo, exec_lo, s21
	s_mov_b32 s21, exec_lo
	v_cmpx_lt_u32_e32 0xffffff, v9
	s_cbranch_execz .LBB237_330
; %bb.323:                              ;   in Loop: Header=BB237_231 Depth=1
	v_lshrrev_b32_e32 v1, 24, v9
	v_bfrev_b32_e32 v40, 1
	s_mov_b32 s22, exec_lo
	v_cmpx_ne_u32_e32 0x80, v1
	s_cbranch_execz .LBB237_329
; %bb.324:                              ;   in Loop: Header=BB237_231 Depth=1
	v_and_b32_e32 v43, 0x7f, v1
	v_mov_b32_e32 v40, 0x7c010000
	s_mov_b32 s26, exec_lo
	v_cmpx_ne_u32_e32 0x7f, v43
	s_cbranch_execz .LBB237_328
; %bb.325:                              ;   in Loop: Header=BB237_231 Depth=1
	v_and_b32_e32 v40, 7, v1
	v_lshrrev_b32_e32 v42, 3, v43
	s_mov_b32 s27, exec_lo
	v_cmpx_gt_u32_e32 8, v43
; %bb.326:                              ;   in Loop: Header=BB237_231 Depth=1
	v_ffbh_u32_e32 v40, v40
	v_min_u32_e32 v40, 32, v40
	v_subrev_nc_u32_e32 v42, 28, v40
	v_lshlrev_b64 v[43:44], v42, v[1:2]
	v_sub_nc_u32_e32 v42, 29, v40
	v_and_b32_e32 v40, 7, v43
; %bb.327:                              ;   in Loop: Header=BB237_231 Depth=1
	s_or_b32 exec_lo, exec_lo, s27
	v_lshlrev_b32_e32 v1, 8, v1
	v_lshl_add_u32 v42, v42, 10, 0x2000
	v_lshlrev_b32_e32 v40, 23, v40
	v_and_or_b32 v1, 0x8000, v1, v42
	v_lshl_or_b32 v40, v1, 16, v40
.LBB237_328:                            ;   in Loop: Header=BB237_231 Depth=1
	s_or_b32 exec_lo, exec_lo, s26
.LBB237_329:                            ;   in Loop: Header=BB237_231 Depth=1
	s_or_b32 exec_lo, exec_lo, s22
.LBB237_330:                            ;   in Loop: Header=BB237_231 Depth=1
	s_or_b32 exec_lo, exec_lo, s21
	v_mov_b32_e32 v1, v10
	v_cmp_ne_u16_sdwa s0, v10, v2 src0_sel:BYTE_0 src1_sel:DWORD
	v_mov_b32_e32 v42, 0
	v_mov_b32_e32 v43, 0
	s_and_saveexec_b32 s21, s0
	s_cbranch_execz .LBB237_338
; %bb.331:                              ;   in Loop: Header=BB237_231 Depth=1
	v_cmp_ne_u16_sdwa s0, v10, v18 src0_sel:BYTE_0 src1_sel:DWORD
	v_mov_b32_e32 v43, 0x8000
	s_and_saveexec_b32 s22, s0
	s_cbranch_execz .LBB237_337
; %bb.332:                              ;   in Loop: Header=BB237_231 Depth=1
	v_and_b32_e32 v45, 0x7f, v10
	v_mov_b32_e32 v43, 0x7c01
	s_mov_b32 s26, exec_lo
	v_cmpx_ne_u32_e32 0x7f, v45
	s_cbranch_execz .LBB237_336
; %bb.333:                              ;   in Loop: Header=BB237_231 Depth=1
	v_and_b32_e32 v43, 7, v10
	v_lshrrev_b32_e32 v44, 3, v45
	s_mov_b32 s27, exec_lo
	v_cmpx_gt_u32_e32 8, v45
; %bb.334:                              ;   in Loop: Header=BB237_231 Depth=1
	v_ffbh_u32_e32 v43, v43
	v_min_u32_e32 v45, 32, v43
	v_subrev_nc_u32_e32 v43, 28, v45
	v_lshlrev_b64 v[43:44], v43, v[1:2]
	v_sub_nc_u32_e32 v44, 29, v45
	v_and_b32_e32 v43, 7, v43
; %bb.335:                              ;   in Loop: Header=BB237_231 Depth=1
	s_or_b32 exec_lo, exec_lo, s27
	v_lshlrev_b32_e32 v45, 8, v10
	v_lshl_add_u32 v44, v44, 10, 0x2000
	v_lshlrev_b32_e32 v43, 7, v43
	v_and_b32_e32 v45, 0x8000, v45
	v_and_b32_e32 v44, 0xfc00, v44
	v_or3_b32 v43, v45, v44, v43
.LBB237_336:                            ;   in Loop: Header=BB237_231 Depth=1
	s_or_b32 exec_lo, exec_lo, s26
.LBB237_337:                            ;   in Loop: Header=BB237_231 Depth=1
	s_or_b32 exec_lo, exec_lo, s22
.LBB237_338:                            ;   in Loop: Header=BB237_231 Depth=1
	s_or_b32 exec_lo, exec_lo, s21
	v_lshrrev_b16 v1, 8, v1
	v_mov_b32_e32 v44, 0
	s_mov_b32 s21, exec_lo
	v_cmpx_ne_u16_e32 0, v1
	s_cbranch_execz .LBB237_346
; %bb.339:                              ;   in Loop: Header=BB237_231 Depth=1
	v_bfrev_b32_e32 v44, 1
	s_mov_b32 s22, exec_lo
	v_cmpx_ne_u16_e32 0x80, v1
	s_cbranch_execz .LBB237_345
; %bb.340:                              ;   in Loop: Header=BB237_231 Depth=1
	v_and_b32_sdwa v46, v1, v19 dst_sel:DWORD dst_unused:UNUSED_PAD src0_sel:WORD_0 src1_sel:DWORD
	v_mov_b32_e32 v44, 0x7c010000
	s_mov_b32 s26, exec_lo
	v_cmpx_ne_u32_e32 0x7f, v46
	s_cbranch_execz .LBB237_344
; %bb.341:                              ;   in Loop: Header=BB237_231 Depth=1
	v_and_b32_sdwa v44, v1, v20 dst_sel:DWORD dst_unused:UNUSED_PAD src0_sel:WORD_0 src1_sel:DWORD
	v_lshrrev_b32_e32 v45, 3, v46
	s_mov_b32 s27, exec_lo
	v_cmpx_gt_u32_e32 8, v46
; %bb.342:                              ;   in Loop: Header=BB237_231 Depth=1
	v_ffbh_u32_e32 v44, v44
	v_min_u32_e32 v46, 32, v44
	v_subrev_nc_u32_e32 v44, 28, v46
	v_lshlrev_b64 v[44:45], v44, v[1:2]
	v_sub_nc_u32_e32 v45, 29, v46
	v_and_b32_e32 v44, 7, v44
; %bb.343:                              ;   in Loop: Header=BB237_231 Depth=1
	s_or_b32 exec_lo, exec_lo, s27
	v_lshlrev_b32_sdwa v1, v21, v1 dst_sel:DWORD dst_unused:UNUSED_PAD src0_sel:DWORD src1_sel:WORD_0
	v_lshl_add_u32 v45, v45, 10, 0x2000
	v_lshlrev_b32_e32 v44, 23, v44
	v_and_or_b32 v1, 0x8000, v1, v45
	v_lshl_or_b32 v44, v1, 16, v44
.LBB237_344:                            ;   in Loop: Header=BB237_231 Depth=1
	s_or_b32 exec_lo, exec_lo, s26
.LBB237_345:                            ;   in Loop: Header=BB237_231 Depth=1
	s_or_b32 exec_lo, exec_lo, s22
.LBB237_346:                            ;   in Loop: Header=BB237_231 Depth=1
	s_or_b32 exec_lo, exec_lo, s21
	v_lshrrev_b32_e32 v1, 16, v10
	v_cmp_ne_u16_sdwa s0, v1, v2 src0_sel:BYTE_0 src1_sel:DWORD
	s_and_saveexec_b32 s21, s0
	s_cbranch_execz .LBB237_354
; %bb.347:                              ;   in Loop: Header=BB237_231 Depth=1
	v_cmp_ne_u16_sdwa s0, v1, v18 src0_sel:BYTE_0 src1_sel:DWORD
	v_mov_b32_e32 v42, 0x8000
	s_and_saveexec_b32 s22, s0
	s_cbranch_execz .LBB237_353
; %bb.348:                              ;   in Loop: Header=BB237_231 Depth=1
	v_bfe_u32 v46, v10, 16, 7
	v_mov_b32_e32 v42, 0x7c01
	s_mov_b32 s26, exec_lo
	v_cmpx_ne_u32_e32 0x7f, v46
	s_cbranch_execz .LBB237_352
; %bb.349:                              ;   in Loop: Header=BB237_231 Depth=1
	v_and_b32_e32 v42, 7, v1
	v_lshrrev_b32_e32 v45, 3, v46
	s_mov_b32 s27, exec_lo
	v_cmpx_gt_u32_e32 8, v46
; %bb.350:                              ;   in Loop: Header=BB237_231 Depth=1
	v_ffbh_u32_e32 v42, v42
	v_min_u32_e32 v42, 32, v42
	v_subrev_nc_u32_e32 v45, 28, v42
	v_lshlrev_b64 v[46:47], v45, v[1:2]
	v_sub_nc_u32_e32 v45, 29, v42
	v_and_b32_e32 v42, 7, v46
; %bb.351:                              ;   in Loop: Header=BB237_231 Depth=1
	s_or_b32 exec_lo, exec_lo, s27
	v_lshlrev_b32_e32 v1, 8, v1
	v_lshl_add_u32 v45, v45, 10, 0x2000
	v_lshlrev_b32_e32 v42, 7, v42
	v_and_b32_e32 v1, 0x8000, v1
	v_and_b32_e32 v45, 0xfc00, v45
	v_or3_b32 v42, v1, v45, v42
.LBB237_352:                            ;   in Loop: Header=BB237_231 Depth=1
	s_or_b32 exec_lo, exec_lo, s26
.LBB237_353:                            ;   in Loop: Header=BB237_231 Depth=1
	s_or_b32 exec_lo, exec_lo, s22
.LBB237_354:                            ;   in Loop: Header=BB237_231 Depth=1
	s_or_b32 exec_lo, exec_lo, s21
	v_cmp_lt_u64_e64 s0, s[2:3], v[9:10]
	v_mov_b32_e32 v9, 0
	s_and_saveexec_b32 s21, s0
	s_cbranch_execz .LBB237_362
; %bb.355:                              ;   in Loop: Header=BB237_231 Depth=1
	v_lshrrev_b32_e32 v1, 24, v10
	v_bfrev_b32_e32 v9, 1
	s_mov_b32 s22, exec_lo
	v_cmpx_ne_u32_e32 0x80, v1
	s_cbranch_execz .LBB237_361
; %bb.356:                              ;   in Loop: Header=BB237_231 Depth=1
	v_and_b32_e32 v45, 0x7f, v1
	v_mov_b32_e32 v9, 0x7c010000
	s_mov_b32 s26, exec_lo
	v_cmpx_ne_u32_e32 0x7f, v45
	s_cbranch_execz .LBB237_360
; %bb.357:                              ;   in Loop: Header=BB237_231 Depth=1
	v_and_b32_e32 v9, 7, v1
	v_lshrrev_b32_e32 v10, 3, v45
	s_mov_b32 s27, exec_lo
	v_cmpx_gt_u32_e32 8, v45
; %bb.358:                              ;   in Loop: Header=BB237_231 Depth=1
	v_ffbh_u32_e32 v9, v9
	v_min_u32_e32 v45, 32, v9
	v_subrev_nc_u32_e32 v9, 28, v45
	v_lshlrev_b64 v[9:10], v9, v[1:2]
	v_sub_nc_u32_e32 v10, 29, v45
	v_and_b32_e32 v9, 7, v9
; %bb.359:                              ;   in Loop: Header=BB237_231 Depth=1
	s_or_b32 exec_lo, exec_lo, s27
	v_lshlrev_b32_e32 v1, 8, v1
	v_lshl_add_u32 v10, v10, 10, 0x2000
	v_lshlrev_b32_e32 v9, 23, v9
	v_and_or_b32 v1, 0x8000, v1, v10
	v_lshl_or_b32 v9, v1, 16, v9
.LBB237_360:                            ;   in Loop: Header=BB237_231 Depth=1
	s_or_b32 exec_lo, exec_lo, s26
.LBB237_361:                            ;   in Loop: Header=BB237_231 Depth=1
	s_or_b32 exec_lo, exec_lo, s22
.LBB237_362:                            ;   in Loop: Header=BB237_231 Depth=1
	s_or_b32 exec_lo, exec_lo, s21
	v_or_b32_e32 v1, v40, v41
	s_waitcnt vmcnt(0)
	v_fma_mixlo_f16 v10, v37, v40, 0 op_sel:[0,1,0] op_sel_hi:[0,1,0]
	v_or_b32_e32 v40, v38, v39
	v_fma_mixlo_f16 v38, v37, v38, 0 op_sel:[0,1,0] op_sel_hi:[0,1,0]
	v_or_b32_e32 v41, v44, v43
	v_or_b32_e32 v42, v9, v42
	v_fma_mixlo_f16 v43, v37, v1, 0 op_sel_hi:[0,1,0]
	v_fma_mixlo_f16 v9, v37, v9, 0 op_sel:[0,1,0] op_sel_hi:[0,1,0]
	v_lshlrev_b32_e32 v39, 16, v38
	v_fma_mixlo_f16 v38, v37, v40, 0 op_sel_hi:[0,1,0]
	v_fma_mixlo_f16 v40, v37, v44, 0 op_sel:[0,1,0] op_sel_hi:[0,1,0]
	v_fma_mixlo_f16 v41, v37, v41, 0 op_sel_hi:[0,1,0]
	v_fma_mixlo_f16 v42, v37, v42, 0 op_sel_hi:[0,1,0]
	v_lshlrev_b32_e32 v1, 16, v10
	v_and_b32_e32 v10, 0xffff, v43
	v_and_b32_e32 v45, 0xffff, v38
	v_lshlrev_b32_e32 v37, 16, v40
	v_and_b32_e32 v41, 0xffff, v41
	v_lshlrev_b32_e32 v9, 16, v9
	v_and_b32_e32 v38, 0xffff, v42
	v_or_b32_e32 v40, v1, v10
	v_or_b32_e32 v44, v39, v45
	;; [unrolled: 1-line block ×4, first 2 shown]
	s_and_saveexec_b32 s21, vcc_lo
	s_cbranch_execz .LBB237_364
; %bb.363:                              ;   in Loop: Header=BB237_231 Depth=1
	v_cmp_gt_i32_e64 s0, s11, v12
	v_cndmask_b32_e64 v40, 0, v45, s0
	v_cmp_gt_i32_e64 s0, s11, v30
	v_cndmask_b32_e64 v39, 0, v39, s0
	v_cmp_gt_i32_e64 s0, s11, v29
	v_or_b32_e32 v44, v39, v40
	v_cndmask_b32_e64 v10, 0, v10, s0
	v_cmp_gt_i32_e64 s0, s11, v28
	v_cndmask_b32_e64 v1, 0, v1, s0
	v_cmp_gt_i32_e64 s0, s11, v27
	v_or_b32_e32 v40, v1, v10
	;; [unrolled: 5-line block ×3, first 2 shown]
	v_cndmask_b32_e64 v38, 0, v38, s0
	v_cmp_gt_i32_e64 s0, s11, v24
	v_cndmask_b32_e64 v9, 0, v9, s0
	v_or_b32_e32 v42, v9, v38
.LBB237_364:                            ;   in Loop: Header=BB237_231 Depth=1
	s_or_b32 exec_lo, exec_lo, s21
	;;#ASMSTART
	v_pk_mul_f16 v1, v36, v44;

	;;#ASMEND
	;;#ASMSTART
	v_pk_mul_f16 v9, v35, v40;

	;;#ASMEND
	;; [unrolled: 4-line block ×4, first 2 shown]
	;;#ASMSTART
	v_pk_add_f16 v1, v1, v9;

	;;#ASMEND
	;;#ASMSTART
	v_pk_add_f16 v1, v1, v10;

	;;#ASMEND
	;; [unrolled: 4-line block ×3, first 2 shown]
	v_and_b32_e32 v9, 0xffff, v1
	v_lshrrev_b32_e32 v1, 16, v1
	;;#ASMSTART
	v_cvt_f32_f16 v9, v9;
	;;#ASMEND
	;;#ASMSTART
	v_cvt_f32_f16 v10, v1;
	;;#ASMEND
	global_load_dwordx2 v[7:8], v[7:8], off offset:512
	v_mov_b32_e32 v38, 0
	v_mov_b32_e32 v39, 0
	global_load_dword v37, v38, s[14:15]
	s_waitcnt vmcnt(1)
	v_cmp_ne_u16_sdwa s0, v7, v2 src0_sel:BYTE_0 src1_sel:DWORD
	s_and_saveexec_b32 s21, s0
	s_cbranch_execz .LBB237_372
; %bb.365:                              ;   in Loop: Header=BB237_231 Depth=1
	v_cmp_ne_u16_sdwa s0, v7, v18 src0_sel:BYTE_0 src1_sel:DWORD
	v_mov_b32_e32 v39, 0x8000
	s_and_saveexec_b32 s22, s0
	s_cbranch_execz .LBB237_371
; %bb.366:                              ;   in Loop: Header=BB237_231 Depth=1
	v_and_b32_e32 v40, 0x7f, v7
	v_mov_b32_e32 v39, 0x7c01
	s_mov_b32 s26, exec_lo
	v_cmpx_ne_u32_e32 0x7f, v40
	s_cbranch_execz .LBB237_370
; %bb.367:                              ;   in Loop: Header=BB237_231 Depth=1
	v_and_b32_e32 v1, 7, v7
	v_lshrrev_b32_e32 v39, 3, v40
	s_mov_b32 s27, exec_lo
	v_cmpx_gt_u32_e32 8, v40
; %bb.368:                              ;   in Loop: Header=BB237_231 Depth=1
	v_ffbh_u32_e32 v1, v1
	v_min_u32_e32 v1, 32, v1
	v_subrev_nc_u32_e32 v39, 28, v1
	v_lshlrev_b64 v[40:41], v39, v[7:8]
	v_sub_nc_u32_e32 v39, 29, v1
	v_and_b32_e32 v1, 7, v40
; %bb.369:                              ;   in Loop: Header=BB237_231 Depth=1
	s_or_b32 exec_lo, exec_lo, s27
	v_lshlrev_b32_e32 v40, 8, v7
	v_lshl_add_u32 v39, v39, 10, 0x2000
	v_lshlrev_b32_e32 v1, 7, v1
	v_and_b32_e32 v40, 0x8000, v40
	v_and_b32_e32 v39, 0xfc00, v39
	v_or3_b32 v39, v40, v39, v1
.LBB237_370:                            ;   in Loop: Header=BB237_231 Depth=1
	s_or_b32 exec_lo, exec_lo, s26
.LBB237_371:                            ;   in Loop: Header=BB237_231 Depth=1
	s_or_b32 exec_lo, exec_lo, s22
.LBB237_372:                            ;   in Loop: Header=BB237_231 Depth=1
	s_or_b32 exec_lo, exec_lo, s21
	v_lshrrev_b16 v1, 8, v7
	s_mov_b32 s21, exec_lo
	v_cmpx_ne_u16_e32 0, v1
	s_cbranch_execz .LBB237_380
; %bb.373:                              ;   in Loop: Header=BB237_231 Depth=1
	v_bfrev_b32_e32 v38, 1
	s_mov_b32 s22, exec_lo
	v_cmpx_ne_u16_e32 0x80, v1
	s_cbranch_execz .LBB237_379
; %bb.374:                              ;   in Loop: Header=BB237_231 Depth=1
	v_and_b32_sdwa v41, v1, v19 dst_sel:DWORD dst_unused:UNUSED_PAD src0_sel:WORD_0 src1_sel:DWORD
	v_mov_b32_e32 v38, 0x7c010000
	s_mov_b32 s26, exec_lo
	v_cmpx_ne_u32_e32 0x7f, v41
	s_cbranch_execz .LBB237_378
; %bb.375:                              ;   in Loop: Header=BB237_231 Depth=1
	v_and_b32_sdwa v38, v1, v20 dst_sel:DWORD dst_unused:UNUSED_PAD src0_sel:WORD_0 src1_sel:DWORD
	v_lshrrev_b32_e32 v40, 3, v41
	s_mov_b32 s27, exec_lo
	v_cmpx_gt_u32_e32 8, v41
; %bb.376:                              ;   in Loop: Header=BB237_231 Depth=1
	v_ffbh_u32_e32 v38, v38
	v_min_u32_e32 v38, 32, v38
	v_subrev_nc_u32_e32 v40, 28, v38
	v_lshlrev_b64 v[41:42], v40, v[1:2]
	v_sub_nc_u32_e32 v40, 29, v38
	v_and_b32_e32 v38, 7, v41
; %bb.377:                              ;   in Loop: Header=BB237_231 Depth=1
	s_or_b32 exec_lo, exec_lo, s27
	v_lshlrev_b32_sdwa v1, v21, v1 dst_sel:DWORD dst_unused:UNUSED_PAD src0_sel:DWORD src1_sel:WORD_0
	v_lshl_add_u32 v40, v40, 10, 0x2000
	v_lshlrev_b32_e32 v38, 23, v38
	v_and_or_b32 v1, 0x8000, v1, v40
	v_lshl_or_b32 v38, v1, 16, v38
.LBB237_378:                            ;   in Loop: Header=BB237_231 Depth=1
	s_or_b32 exec_lo, exec_lo, s26
.LBB237_379:                            ;   in Loop: Header=BB237_231 Depth=1
	s_or_b32 exec_lo, exec_lo, s22
.LBB237_380:                            ;   in Loop: Header=BB237_231 Depth=1
	s_or_b32 exec_lo, exec_lo, s21
	v_lshrrev_b32_e32 v1, 16, v7
	v_mov_b32_e32 v40, 0
	v_mov_b32_e32 v41, 0
	v_cmp_ne_u16_sdwa s0, v1, v2 src0_sel:BYTE_0 src1_sel:DWORD
	s_and_saveexec_b32 s21, s0
	s_cbranch_execz .LBB237_388
; %bb.381:                              ;   in Loop: Header=BB237_231 Depth=1
	v_cmp_ne_u16_sdwa s0, v1, v18 src0_sel:BYTE_0 src1_sel:DWORD
	v_mov_b32_e32 v41, 0x8000
	s_and_saveexec_b32 s22, s0
	s_cbranch_execz .LBB237_387
; %bb.382:                              ;   in Loop: Header=BB237_231 Depth=1
	v_bfe_u32 v43, v7, 16, 7
	v_mov_b32_e32 v41, 0x7c01
	s_mov_b32 s26, exec_lo
	v_cmpx_ne_u32_e32 0x7f, v43
	s_cbranch_execz .LBB237_386
; %bb.383:                              ;   in Loop: Header=BB237_231 Depth=1
	v_and_b32_e32 v41, 7, v1
	v_lshrrev_b32_e32 v42, 3, v43
	s_mov_b32 s27, exec_lo
	v_cmpx_gt_u32_e32 8, v43
; %bb.384:                              ;   in Loop: Header=BB237_231 Depth=1
	v_ffbh_u32_e32 v41, v41
	v_min_u32_e32 v43, 32, v41
	v_subrev_nc_u32_e32 v41, 28, v43
	v_lshlrev_b64 v[41:42], v41, v[1:2]
	v_sub_nc_u32_e32 v42, 29, v43
	v_and_b32_e32 v41, 7, v41
; %bb.385:                              ;   in Loop: Header=BB237_231 Depth=1
	s_or_b32 exec_lo, exec_lo, s27
	v_lshlrev_b32_e32 v1, 8, v1
	v_lshl_add_u32 v42, v42, 10, 0x2000
	v_lshlrev_b32_e32 v41, 7, v41
	v_and_b32_e32 v1, 0x8000, v1
	v_and_b32_e32 v42, 0xfc00, v42
	v_or3_b32 v41, v1, v42, v41
.LBB237_386:                            ;   in Loop: Header=BB237_231 Depth=1
	s_or_b32 exec_lo, exec_lo, s26
.LBB237_387:                            ;   in Loop: Header=BB237_231 Depth=1
	s_or_b32 exec_lo, exec_lo, s22
.LBB237_388:                            ;   in Loop: Header=BB237_231 Depth=1
	s_or_b32 exec_lo, exec_lo, s21
	s_mov_b32 s21, exec_lo
	v_cmpx_lt_u32_e32 0xffffff, v7
	s_cbranch_execz .LBB237_396
; %bb.389:                              ;   in Loop: Header=BB237_231 Depth=1
	v_lshrrev_b32_e32 v1, 24, v7
	v_bfrev_b32_e32 v40, 1
	s_mov_b32 s22, exec_lo
	v_cmpx_ne_u32_e32 0x80, v1
	s_cbranch_execz .LBB237_395
; %bb.390:                              ;   in Loop: Header=BB237_231 Depth=1
	v_and_b32_e32 v43, 0x7f, v1
	v_mov_b32_e32 v40, 0x7c010000
	s_mov_b32 s26, exec_lo
	v_cmpx_ne_u32_e32 0x7f, v43
	s_cbranch_execz .LBB237_394
; %bb.391:                              ;   in Loop: Header=BB237_231 Depth=1
	v_and_b32_e32 v40, 7, v1
	v_lshrrev_b32_e32 v42, 3, v43
	s_mov_b32 s27, exec_lo
	v_cmpx_gt_u32_e32 8, v43
; %bb.392:                              ;   in Loop: Header=BB237_231 Depth=1
	v_ffbh_u32_e32 v40, v40
	v_min_u32_e32 v40, 32, v40
	v_subrev_nc_u32_e32 v42, 28, v40
	v_lshlrev_b64 v[43:44], v42, v[1:2]
	v_sub_nc_u32_e32 v42, 29, v40
	v_and_b32_e32 v40, 7, v43
; %bb.393:                              ;   in Loop: Header=BB237_231 Depth=1
	s_or_b32 exec_lo, exec_lo, s27
	v_lshlrev_b32_e32 v1, 8, v1
	v_lshl_add_u32 v42, v42, 10, 0x2000
	v_lshlrev_b32_e32 v40, 23, v40
	v_and_or_b32 v1, 0x8000, v1, v42
	v_lshl_or_b32 v40, v1, 16, v40
.LBB237_394:                            ;   in Loop: Header=BB237_231 Depth=1
	s_or_b32 exec_lo, exec_lo, s26
.LBB237_395:                            ;   in Loop: Header=BB237_231 Depth=1
	s_or_b32 exec_lo, exec_lo, s22
.LBB237_396:                            ;   in Loop: Header=BB237_231 Depth=1
	s_or_b32 exec_lo, exec_lo, s21
	v_mov_b32_e32 v1, v8
	v_cmp_ne_u16_sdwa s0, v8, v2 src0_sel:BYTE_0 src1_sel:DWORD
	v_mov_b32_e32 v42, 0
	v_mov_b32_e32 v43, 0
	s_and_saveexec_b32 s21, s0
	s_cbranch_execz .LBB237_404
; %bb.397:                              ;   in Loop: Header=BB237_231 Depth=1
	v_cmp_ne_u16_sdwa s0, v8, v18 src0_sel:BYTE_0 src1_sel:DWORD
	v_mov_b32_e32 v43, 0x8000
	s_and_saveexec_b32 s22, s0
	s_cbranch_execz .LBB237_403
; %bb.398:                              ;   in Loop: Header=BB237_231 Depth=1
	v_and_b32_e32 v45, 0x7f, v8
	v_mov_b32_e32 v43, 0x7c01
	s_mov_b32 s26, exec_lo
	v_cmpx_ne_u32_e32 0x7f, v45
	s_cbranch_execz .LBB237_402
; %bb.399:                              ;   in Loop: Header=BB237_231 Depth=1
	v_and_b32_e32 v43, 7, v8
	v_lshrrev_b32_e32 v44, 3, v45
	s_mov_b32 s27, exec_lo
	v_cmpx_gt_u32_e32 8, v45
; %bb.400:                              ;   in Loop: Header=BB237_231 Depth=1
	v_ffbh_u32_e32 v43, v43
	v_min_u32_e32 v45, 32, v43
	v_subrev_nc_u32_e32 v43, 28, v45
	v_lshlrev_b64 v[43:44], v43, v[1:2]
	v_sub_nc_u32_e32 v44, 29, v45
	v_and_b32_e32 v43, 7, v43
; %bb.401:                              ;   in Loop: Header=BB237_231 Depth=1
	s_or_b32 exec_lo, exec_lo, s27
	v_lshlrev_b32_e32 v45, 8, v8
	v_lshl_add_u32 v44, v44, 10, 0x2000
	v_lshlrev_b32_e32 v43, 7, v43
	v_and_b32_e32 v45, 0x8000, v45
	v_and_b32_e32 v44, 0xfc00, v44
	v_or3_b32 v43, v45, v44, v43
.LBB237_402:                            ;   in Loop: Header=BB237_231 Depth=1
	s_or_b32 exec_lo, exec_lo, s26
.LBB237_403:                            ;   in Loop: Header=BB237_231 Depth=1
	s_or_b32 exec_lo, exec_lo, s22
.LBB237_404:                            ;   in Loop: Header=BB237_231 Depth=1
	s_or_b32 exec_lo, exec_lo, s21
	v_lshrrev_b16 v1, 8, v1
	v_mov_b32_e32 v44, 0
	s_mov_b32 s21, exec_lo
	v_cmpx_ne_u16_e32 0, v1
	s_cbranch_execz .LBB237_412
; %bb.405:                              ;   in Loop: Header=BB237_231 Depth=1
	v_bfrev_b32_e32 v44, 1
	s_mov_b32 s22, exec_lo
	v_cmpx_ne_u16_e32 0x80, v1
	s_cbranch_execz .LBB237_411
; %bb.406:                              ;   in Loop: Header=BB237_231 Depth=1
	v_and_b32_sdwa v46, v1, v19 dst_sel:DWORD dst_unused:UNUSED_PAD src0_sel:WORD_0 src1_sel:DWORD
	v_mov_b32_e32 v44, 0x7c010000
	s_mov_b32 s26, exec_lo
	v_cmpx_ne_u32_e32 0x7f, v46
	s_cbranch_execz .LBB237_410
; %bb.407:                              ;   in Loop: Header=BB237_231 Depth=1
	v_and_b32_sdwa v44, v1, v20 dst_sel:DWORD dst_unused:UNUSED_PAD src0_sel:WORD_0 src1_sel:DWORD
	v_lshrrev_b32_e32 v45, 3, v46
	s_mov_b32 s27, exec_lo
	v_cmpx_gt_u32_e32 8, v46
; %bb.408:                              ;   in Loop: Header=BB237_231 Depth=1
	v_ffbh_u32_e32 v44, v44
	v_min_u32_e32 v46, 32, v44
	v_subrev_nc_u32_e32 v44, 28, v46
	v_lshlrev_b64 v[44:45], v44, v[1:2]
	v_sub_nc_u32_e32 v45, 29, v46
	v_and_b32_e32 v44, 7, v44
; %bb.409:                              ;   in Loop: Header=BB237_231 Depth=1
	s_or_b32 exec_lo, exec_lo, s27
	v_lshlrev_b32_sdwa v1, v21, v1 dst_sel:DWORD dst_unused:UNUSED_PAD src0_sel:DWORD src1_sel:WORD_0
	v_lshl_add_u32 v45, v45, 10, 0x2000
	v_lshlrev_b32_e32 v44, 23, v44
	v_and_or_b32 v1, 0x8000, v1, v45
	v_lshl_or_b32 v44, v1, 16, v44
.LBB237_410:                            ;   in Loop: Header=BB237_231 Depth=1
	s_or_b32 exec_lo, exec_lo, s26
.LBB237_411:                            ;   in Loop: Header=BB237_231 Depth=1
	s_or_b32 exec_lo, exec_lo, s22
.LBB237_412:                            ;   in Loop: Header=BB237_231 Depth=1
	s_or_b32 exec_lo, exec_lo, s21
	v_lshrrev_b32_e32 v1, 16, v8
	v_cmp_ne_u16_sdwa s0, v1, v2 src0_sel:BYTE_0 src1_sel:DWORD
	s_and_saveexec_b32 s21, s0
	s_cbranch_execz .LBB237_420
; %bb.413:                              ;   in Loop: Header=BB237_231 Depth=1
	v_cmp_ne_u16_sdwa s0, v1, v18 src0_sel:BYTE_0 src1_sel:DWORD
	v_mov_b32_e32 v42, 0x8000
	s_and_saveexec_b32 s22, s0
	s_cbranch_execz .LBB237_419
; %bb.414:                              ;   in Loop: Header=BB237_231 Depth=1
	v_bfe_u32 v46, v8, 16, 7
	v_mov_b32_e32 v42, 0x7c01
	s_mov_b32 s26, exec_lo
	v_cmpx_ne_u32_e32 0x7f, v46
	s_cbranch_execz .LBB237_418
; %bb.415:                              ;   in Loop: Header=BB237_231 Depth=1
	v_and_b32_e32 v42, 7, v1
	v_lshrrev_b32_e32 v45, 3, v46
	s_mov_b32 s27, exec_lo
	v_cmpx_gt_u32_e32 8, v46
; %bb.416:                              ;   in Loop: Header=BB237_231 Depth=1
	v_ffbh_u32_e32 v42, v42
	v_min_u32_e32 v42, 32, v42
	v_subrev_nc_u32_e32 v45, 28, v42
	v_lshlrev_b64 v[46:47], v45, v[1:2]
	v_sub_nc_u32_e32 v45, 29, v42
	v_and_b32_e32 v42, 7, v46
; %bb.417:                              ;   in Loop: Header=BB237_231 Depth=1
	s_or_b32 exec_lo, exec_lo, s27
	v_lshlrev_b32_e32 v1, 8, v1
	v_lshl_add_u32 v45, v45, 10, 0x2000
	v_lshlrev_b32_e32 v42, 7, v42
	v_and_b32_e32 v1, 0x8000, v1
	v_and_b32_e32 v45, 0xfc00, v45
	v_or3_b32 v42, v1, v45, v42
.LBB237_418:                            ;   in Loop: Header=BB237_231 Depth=1
	s_or_b32 exec_lo, exec_lo, s26
.LBB237_419:                            ;   in Loop: Header=BB237_231 Depth=1
	s_or_b32 exec_lo, exec_lo, s22
.LBB237_420:                            ;   in Loop: Header=BB237_231 Depth=1
	s_or_b32 exec_lo, exec_lo, s21
	v_cmp_lt_u64_e64 s0, s[2:3], v[7:8]
	v_mov_b32_e32 v7, 0
	s_and_saveexec_b32 s21, s0
	s_cbranch_execz .LBB237_428
; %bb.421:                              ;   in Loop: Header=BB237_231 Depth=1
	v_lshrrev_b32_e32 v1, 24, v8
	v_bfrev_b32_e32 v7, 1
	s_mov_b32 s22, exec_lo
	v_cmpx_ne_u32_e32 0x80, v1
	s_cbranch_execz .LBB237_427
; %bb.422:                              ;   in Loop: Header=BB237_231 Depth=1
	v_and_b32_e32 v45, 0x7f, v1
	v_mov_b32_e32 v7, 0x7c010000
	s_mov_b32 s26, exec_lo
	v_cmpx_ne_u32_e32 0x7f, v45
	s_cbranch_execz .LBB237_426
; %bb.423:                              ;   in Loop: Header=BB237_231 Depth=1
	v_and_b32_e32 v7, 7, v1
	v_lshrrev_b32_e32 v8, 3, v45
	s_mov_b32 s27, exec_lo
	v_cmpx_gt_u32_e32 8, v45
; %bb.424:                              ;   in Loop: Header=BB237_231 Depth=1
	v_ffbh_u32_e32 v7, v7
	v_min_u32_e32 v45, 32, v7
	v_subrev_nc_u32_e32 v7, 28, v45
	v_lshlrev_b64 v[7:8], v7, v[1:2]
	v_sub_nc_u32_e32 v8, 29, v45
	v_and_b32_e32 v7, 7, v7
; %bb.425:                              ;   in Loop: Header=BB237_231 Depth=1
	s_or_b32 exec_lo, exec_lo, s27
	v_lshlrev_b32_e32 v1, 8, v1
	v_lshl_add_u32 v8, v8, 10, 0x2000
	v_lshlrev_b32_e32 v7, 23, v7
	v_and_or_b32 v1, 0x8000, v1, v8
	v_lshl_or_b32 v7, v1, 16, v7
.LBB237_426:                            ;   in Loop: Header=BB237_231 Depth=1
	s_or_b32 exec_lo, exec_lo, s26
.LBB237_427:                            ;   in Loop: Header=BB237_231 Depth=1
	s_or_b32 exec_lo, exec_lo, s22
.LBB237_428:                            ;   in Loop: Header=BB237_231 Depth=1
	s_or_b32 exec_lo, exec_lo, s21
	v_or_b32_e32 v1, v40, v41
	s_waitcnt vmcnt(0)
	v_fma_mixlo_f16 v8, v37, v40, 0 op_sel:[0,1,0] op_sel_hi:[0,1,0]
	v_or_b32_e32 v39, v38, v39
	v_fma_mixlo_f16 v38, v37, v38, 0 op_sel:[0,1,0] op_sel_hi:[0,1,0]
	v_or_b32_e32 v41, v44, v43
	v_or_b32_e32 v42, v7, v42
	v_fma_mixlo_f16 v40, v37, v1, 0 op_sel_hi:[0,1,0]
	v_lshlrev_b32_e32 v1, 16, v8
	v_lshlrev_b32_e32 v43, 16, v38
	v_fma_mixlo_f16 v8, v37, v39, 0 op_sel_hi:[0,1,0]
	v_fma_mixlo_f16 v38, v37, v44, 0 op_sel:[0,1,0] op_sel_hi:[0,1,0]
	v_fma_mixlo_f16 v39, v37, v41, 0 op_sel_hi:[0,1,0]
	v_fma_mixlo_f16 v7, v37, v7, 0 op_sel:[0,1,0] op_sel_hi:[0,1,0]
	v_fma_mixlo_f16 v37, v37, v42, 0 op_sel_hi:[0,1,0]
	v_and_b32_e32 v40, 0xffff, v40
	v_and_b32_e32 v45, 0xffff, v8
	v_lshlrev_b32_e32 v41, 16, v38
	v_and_b32_e32 v44, 0xffff, v39
	v_lshlrev_b32_e32 v38, 16, v7
	v_and_b32_e32 v42, 0xffff, v37
	v_or_b32_e32 v37, v1, v40
	v_or_b32_e32 v39, v43, v45
	;; [unrolled: 1-line block ×4, first 2 shown]
	s_and_saveexec_b32 s0, vcc_lo
	s_cbranch_execz .LBB237_229
; %bb.429:                              ;   in Loop: Header=BB237_231 Depth=1
	v_cmp_gt_i32_e32 vcc_lo, s11, v12
	v_cndmask_b32_e32 v7, 0, v45, vcc_lo
	v_cmp_gt_i32_e32 vcc_lo, s11, v30
	v_cndmask_b32_e32 v8, 0, v43, vcc_lo
	v_cmp_gt_i32_e32 vcc_lo, s11, v29
	v_or_b32_e32 v39, v8, v7
	v_cndmask_b32_e32 v29, 0, v40, vcc_lo
	v_cmp_gt_i32_e32 vcc_lo, s11, v28
	v_cndmask_b32_e32 v1, 0, v1, vcc_lo
	v_cmp_gt_i32_e32 vcc_lo, s11, v27
	v_or_b32_e32 v37, v1, v29
	;; [unrolled: 5-line block ×3, first 2 shown]
	v_cndmask_b32_e32 v25, 0, v42, vcc_lo
	v_cmp_gt_i32_e32 vcc_lo, s11, v24
	v_cndmask_b32_e32 v24, 0, v38, vcc_lo
	v_or_b32_e32 v7, v24, v25
	s_branch .LBB237_229
.LBB237_430:
	s_or_b32 exec_lo, exec_lo, s17
.LBB237_431:
	s_or_b32 exec_lo, exec_lo, s1
	v_lshl_add_u32 v2, v13, 2, 0xe0
	v_and_b32_e32 v3, 0x3c0, v0
	s_mov_b32 s0, exec_lo
	s_barrier
	v_mad_u32_u24 v1, 0x180, v11, v2
	buffer_gl0_inv
	v_cmpx_eq_u32_e32 64, v3
	s_cbranch_execz .LBB237_433
; %bb.432:
	v_add_nc_u32_e32 v3, 0xfffffd00, v1
	v_add_nc_u32_e32 v4, 0xfffffd80, v1
	;; [unrolled: 1-line block ×3, first 2 shown]
	ds_write_b32 v3, v16
	ds_write_b32 v4, v15
	;; [unrolled: 1-line block ×3, first 2 shown]
.LBB237_433:
	s_or_b32 exec_lo, exec_lo, s0
	s_mov_b32 s0, exec_lo
	s_waitcnt lgkmcnt(0)
	s_barrier
	buffer_gl0_inv
	v_cmpx_gt_u32_e32 64, v0
	s_cbranch_execz .LBB237_435
; %bb.434:
	ds_read2_b32 v[3:4], v1 offset1:32
	ds_read_b32 v5, v1 offset:256
	s_waitcnt lgkmcnt(1)
	v_add_f32_e32 v16, v16, v3
	v_add_f32_e32 v15, v15, v4
	s_waitcnt lgkmcnt(0)
	v_add_f32_e32 v14, v14, v5
.LBB237_435:
	s_or_b32 exec_lo, exec_lo, s0
	v_and_b32_e32 v3, 0x3e0, v0
	s_mov_b32 s0, exec_lo
	s_barrier
	buffer_gl0_inv
	v_cmpx_eq_u32_e32 32, v3
	s_cbranch_execz .LBB237_437
; %bb.436:
	ds_write2_b32 v2, v16, v15 offset1:32
	ds_write_b32 v2, v14 offset:256
.LBB237_437:
	s_or_b32 exec_lo, exec_lo, s0
	v_cmp_gt_u32_e32 vcc_lo, 32, v0
	s_waitcnt lgkmcnt(0)
	s_barrier
	buffer_gl0_inv
	s_and_saveexec_b32 s0, vcc_lo
	s_cbranch_execz .LBB237_439
; %bb.438:
	ds_read2_b32 v[2:3], v1 offset1:32
	ds_read_b32 v1, v1 offset:256
	s_waitcnt lgkmcnt(1)
	v_add_f32_e32 v16, v16, v2
	v_add_f32_e32 v15, v15, v3
	s_waitcnt lgkmcnt(0)
	v_add_f32_e32 v14, v14, v1
.LBB237_439:
	s_or_b32 exec_lo, exec_lo, s0
	s_barrier
	buffer_gl0_inv
	s_and_saveexec_b32 s0, vcc_lo
	s_cbranch_execz .LBB237_441
; %bb.440:
	s_mul_i32 s0, s10, s16
	s_mul_i32 s2, s16, s24
	;; [unrolled: 1-line block ×3, first 2 shown]
	v_lshlrev_b32_e32 v0, 1, v0
	s_mulk_i32 s0, 0x60
	;;#ASMSTART
	v_cvt_f16_f32 v1, v16;

	;;#ASMEND
	s_ashr_i32 s1, s0, 31
	s_lshl_b64 s[0:1], s[0:1], 1
	s_add_u32 s4, s6, s0
	s_addc_u32 s5, s7, s1
	s_ashr_i32 s3, s2, 31
	s_lshl_b64 s[0:1], s[2:3], 1
	s_mul_i32 s2, s8, 0x60
	s_add_u32 s4, s4, s0
	s_addc_u32 s5, s5, s1
	s_ashr_i32 s3, s2, 31
	s_lshl_b64 s[0:1], s[2:3], 1
	s_add_u32 s0, s4, s0
	s_addc_u32 s1, s5, s1
	global_store_short v0, v1, s[0:1]
	;;#ASMSTART
	v_cvt_f16_f32 v1, v15;

	;;#ASMEND
	global_store_short v0, v1, s[0:1] offset:64
	;;#ASMSTART
	v_cvt_f16_f32 v1, v14;

	;;#ASMEND
	global_store_short v0, v1, s[0:1] offset:128
.LBB237_441:
	s_endpgm
	.section	.rodata,"a",@progbits
	.p2align	6, 0x0
	.amdhsa_kernel _ZN4vllm25paged_attention_v1_kernelIthLi96ELi8ELi128ELNS_18Fp8KVCacheDataTypeE1ELb1EEEvPT_PKS2_PKT0_S8_ifPKiSA_iPKfiiiSC_SC_iiiii
		.amdhsa_group_segment_fixed_size 224
		.amdhsa_private_segment_fixed_size 0
		.amdhsa_kernarg_size 384
		.amdhsa_user_sgpr_count 6
		.amdhsa_user_sgpr_private_segment_buffer 1
		.amdhsa_user_sgpr_dispatch_ptr 0
		.amdhsa_user_sgpr_queue_ptr 0
		.amdhsa_user_sgpr_kernarg_segment_ptr 1
		.amdhsa_user_sgpr_dispatch_id 0
		.amdhsa_user_sgpr_flat_scratch_init 0
		.amdhsa_user_sgpr_private_segment_size 0
		.amdhsa_wavefront_size32 1
		.amdhsa_uses_dynamic_stack 0
		.amdhsa_system_sgpr_private_segment_wavefront_offset 0
		.amdhsa_system_sgpr_workgroup_id_x 1
		.amdhsa_system_sgpr_workgroup_id_y 1
		.amdhsa_system_sgpr_workgroup_id_z 1
		.amdhsa_system_sgpr_workgroup_info 0
		.amdhsa_system_vgpr_workitem_id 0
		.amdhsa_next_free_vgpr 69
		.amdhsa_next_free_sgpr 44
		.amdhsa_reserve_vcc 1
		.amdhsa_reserve_flat_scratch 0
		.amdhsa_float_round_mode_32 0
		.amdhsa_float_round_mode_16_64 0
		.amdhsa_float_denorm_mode_32 3
		.amdhsa_float_denorm_mode_16_64 3
		.amdhsa_dx10_clamp 1
		.amdhsa_ieee_mode 1
		.amdhsa_fp16_overflow 0
		.amdhsa_workgroup_processor_mode 1
		.amdhsa_memory_ordered 1
		.amdhsa_forward_progress 1
		.amdhsa_shared_vgpr_count 0
		.amdhsa_exception_fp_ieee_invalid_op 0
		.amdhsa_exception_fp_denorm_src 0
		.amdhsa_exception_fp_ieee_div_zero 0
		.amdhsa_exception_fp_ieee_overflow 0
		.amdhsa_exception_fp_ieee_underflow 0
		.amdhsa_exception_fp_ieee_inexact 0
		.amdhsa_exception_int_div_zero 0
	.end_amdhsa_kernel
	.section	.text._ZN4vllm25paged_attention_v1_kernelIthLi96ELi8ELi128ELNS_18Fp8KVCacheDataTypeE1ELb1EEEvPT_PKS2_PKT0_S8_ifPKiSA_iPKfiiiSC_SC_iiiii,"axG",@progbits,_ZN4vllm25paged_attention_v1_kernelIthLi96ELi8ELi128ELNS_18Fp8KVCacheDataTypeE1ELb1EEEvPT_PKS2_PKT0_S8_ifPKiSA_iPKfiiiSC_SC_iiiii,comdat
.Lfunc_end237:
	.size	_ZN4vllm25paged_attention_v1_kernelIthLi96ELi8ELi128ELNS_18Fp8KVCacheDataTypeE1ELb1EEEvPT_PKS2_PKT0_S8_ifPKiSA_iPKfiiiSC_SC_iiiii, .Lfunc_end237-_ZN4vllm25paged_attention_v1_kernelIthLi96ELi8ELi128ELNS_18Fp8KVCacheDataTypeE1ELb1EEEvPT_PKS2_PKT0_S8_ifPKiSA_iPKfiiiSC_SC_iiiii
                                        ; -- End function
	.set _ZN4vllm25paged_attention_v1_kernelIthLi96ELi8ELi128ELNS_18Fp8KVCacheDataTypeE1ELb1EEEvPT_PKS2_PKT0_S8_ifPKiSA_iPKfiiiSC_SC_iiiii.num_vgpr, 69
	.set _ZN4vllm25paged_attention_v1_kernelIthLi96ELi8ELi128ELNS_18Fp8KVCacheDataTypeE1ELb1EEEvPT_PKS2_PKT0_S8_ifPKiSA_iPKfiiiSC_SC_iiiii.num_agpr, 0
	.set _ZN4vllm25paged_attention_v1_kernelIthLi96ELi8ELi128ELNS_18Fp8KVCacheDataTypeE1ELb1EEEvPT_PKS2_PKT0_S8_ifPKiSA_iPKfiiiSC_SC_iiiii.numbered_sgpr, 44
	.set _ZN4vllm25paged_attention_v1_kernelIthLi96ELi8ELi128ELNS_18Fp8KVCacheDataTypeE1ELb1EEEvPT_PKS2_PKT0_S8_ifPKiSA_iPKfiiiSC_SC_iiiii.num_named_barrier, 0
	.set _ZN4vllm25paged_attention_v1_kernelIthLi96ELi8ELi128ELNS_18Fp8KVCacheDataTypeE1ELb1EEEvPT_PKS2_PKT0_S8_ifPKiSA_iPKfiiiSC_SC_iiiii.private_seg_size, 0
	.set _ZN4vllm25paged_attention_v1_kernelIthLi96ELi8ELi128ELNS_18Fp8KVCacheDataTypeE1ELb1EEEvPT_PKS2_PKT0_S8_ifPKiSA_iPKfiiiSC_SC_iiiii.uses_vcc, 1
	.set _ZN4vllm25paged_attention_v1_kernelIthLi96ELi8ELi128ELNS_18Fp8KVCacheDataTypeE1ELb1EEEvPT_PKS2_PKT0_S8_ifPKiSA_iPKfiiiSC_SC_iiiii.uses_flat_scratch, 0
	.set _ZN4vllm25paged_attention_v1_kernelIthLi96ELi8ELi128ELNS_18Fp8KVCacheDataTypeE1ELb1EEEvPT_PKS2_PKT0_S8_ifPKiSA_iPKfiiiSC_SC_iiiii.has_dyn_sized_stack, 0
	.set _ZN4vllm25paged_attention_v1_kernelIthLi96ELi8ELi128ELNS_18Fp8KVCacheDataTypeE1ELb1EEEvPT_PKS2_PKT0_S8_ifPKiSA_iPKfiiiSC_SC_iiiii.has_recursion, 0
	.set _ZN4vllm25paged_attention_v1_kernelIthLi96ELi8ELi128ELNS_18Fp8KVCacheDataTypeE1ELb1EEEvPT_PKS2_PKT0_S8_ifPKiSA_iPKfiiiSC_SC_iiiii.has_indirect_call, 0
	.section	.AMDGPU.csdata,"",@progbits
; Kernel info:
; codeLenInByte = 15832
; TotalNumSgprs: 46
; NumVgprs: 69
; ScratchSize: 0
; MemoryBound: 0
; FloatMode: 240
; IeeeMode: 1
; LDSByteSize: 224 bytes/workgroup (compile time only)
; SGPRBlocks: 0
; VGPRBlocks: 8
; NumSGPRsForWavesPerEU: 46
; NumVGPRsForWavesPerEU: 69
; Occupancy: 12
; WaveLimiterHint : 1
; COMPUTE_PGM_RSRC2:SCRATCH_EN: 0
; COMPUTE_PGM_RSRC2:USER_SGPR: 6
; COMPUTE_PGM_RSRC2:TRAP_HANDLER: 0
; COMPUTE_PGM_RSRC2:TGID_X_EN: 1
; COMPUTE_PGM_RSRC2:TGID_Y_EN: 1
; COMPUTE_PGM_RSRC2:TGID_Z_EN: 1
; COMPUTE_PGM_RSRC2:TIDIG_COMP_CNT: 0
	.section	.text._ZN4vllm25paged_attention_v1_kernelIthLi112ELi8ELi128ELNS_18Fp8KVCacheDataTypeE1ELb1EEEvPT_PKS2_PKT0_S8_ifPKiSA_iPKfiiiSC_SC_iiiii,"axG",@progbits,_ZN4vllm25paged_attention_v1_kernelIthLi112ELi8ELi128ELNS_18Fp8KVCacheDataTypeE1ELb1EEEvPT_PKS2_PKT0_S8_ifPKiSA_iPKfiiiSC_SC_iiiii,comdat
	.protected	_ZN4vllm25paged_attention_v1_kernelIthLi112ELi8ELi128ELNS_18Fp8KVCacheDataTypeE1ELb1EEEvPT_PKS2_PKT0_S8_ifPKiSA_iPKfiiiSC_SC_iiiii ; -- Begin function _ZN4vllm25paged_attention_v1_kernelIthLi112ELi8ELi128ELNS_18Fp8KVCacheDataTypeE1ELb1EEEvPT_PKS2_PKT0_S8_ifPKiSA_iPKfiiiSC_SC_iiiii
	.globl	_ZN4vllm25paged_attention_v1_kernelIthLi112ELi8ELi128ELNS_18Fp8KVCacheDataTypeE1ELb1EEEvPT_PKS2_PKT0_S8_ifPKiSA_iPKfiiiSC_SC_iiiii
	.p2align	8
	.type	_ZN4vllm25paged_attention_v1_kernelIthLi112ELi8ELi128ELNS_18Fp8KVCacheDataTypeE1ELb1EEEvPT_PKS2_PKT0_S8_ifPKiSA_iPKfiiiSC_SC_iiiii,@function
_ZN4vllm25paged_attention_v1_kernelIthLi112ELi8ELi128ELNS_18Fp8KVCacheDataTypeE1ELb1EEEvPT_PKS2_PKT0_S8_ifPKiSA_iPKfiiiSC_SC_iiiii: ; @_ZN4vllm25paged_attention_v1_kernelIthLi112ELi8ELi128ELNS_18Fp8KVCacheDataTypeE1ELb1EEEvPT_PKS2_PKT0_S8_ifPKiSA_iPKfiiiSC_SC_iiiii
; %bb.0:
	s_clause 0x2
	s_load_dword s9, s[4:5], 0x80
	s_load_dwordx2 s[0:1], s[4:5], 0x30
	s_load_dwordx2 s[34:35], s[4:5], 0x20
	s_mov_b32 s10, s7
	s_ashr_i32 s11, s7, 31
	s_mov_b32 s36, 0
	s_lshl_b64 s[2:3], s[10:11], 2
	s_waitcnt lgkmcnt(0)
	s_add_u32 s0, s0, s2
	s_addc_u32 s1, s1, s3
	s_abs_i32 s2, s34
	s_abs_i32 s11, s9
	v_cvt_f32_u32_e32 v1, s2
	s_sub_i32 s7, 0, s2
	v_rcp_iflag_f32_e32 v1, v1
	v_mul_f32_e32 v1, 0x4f7ffffe, v1
	v_cvt_u32_f32_e32 v1, v1
	v_readfirstlane_b32 s3, v1
	s_mul_i32 s7, s7, s3
	s_mul_hi_u32 s7, s3, s7
	s_add_i32 s3, s3, s7
	s_xor_b32 s7, s9, s34
	s_mul_hi_u32 s3, s11, s3
	s_ashr_i32 s7, s7, 31
	s_mul_i32 s12, s3, s2
	s_sub_i32 s11, s11, s12
	s_add_i32 s12, s3, 1
	s_sub_i32 s13, s11, s2
	s_cmp_ge_u32 s11, s2
	s_cselect_b32 s3, s12, s3
	s_cselect_b32 s11, s13, s11
	s_add_i32 s12, s3, 1
	s_cmp_ge_u32 s11, s2
	s_cselect_b32 s2, s12, s3
	s_xor_b32 s2, s2, s7
	s_sub_i32 s14, s2, s7
	s_load_dwordx2 s[2:3], s[4:5], 0x40
	s_abs_i32 s11, s14
	v_cvt_f32_u32_e32 v1, s11
	s_sub_i32 s12, 0, s11
	v_rcp_iflag_f32_e32 v1, v1
	v_mul_f32_e32 v1, 0x4f7ffffe, v1
	v_cvt_u32_f32_e32 v1, v1
	v_readfirstlane_b32 s7, v1
	s_mul_i32 s12, s12, s7
	s_mul_hi_u32 s13, s7, s12
	s_abs_i32 s12, s6
	s_add_i32 s7, s7, s13
	s_waitcnt lgkmcnt(0)
	s_cmp_eq_u64 s[2:3], 0
	s_mul_hi_u32 s13, s12, s7
	s_cbranch_scc1 .LBB238_2
; %bb.1:
	s_ashr_i32 s7, s6, 31
	s_lshl_b64 s[16:17], s[6:7], 2
	s_add_u32 s2, s2, s16
	s_addc_u32 s3, s3, s17
	s_load_dword s36, s[2:3], 0x0
.LBB238_2:
	s_load_dword s33, s[0:1], 0x0
	s_load_dwordx4 s[16:19], s[4:5], 0x48
	v_and_b32_e32 v1, 3, v0
	s_ashr_i32 s0, s6, 31
	s_ashr_i32 s1, s14, 31
	s_mul_i32 s24, s6, 0x70
	s_mov_b32 s2, exec_lo
	v_cmpx_gt_u32_e32 56, v0
	s_cbranch_execz .LBB238_4
; %bb.3:
	s_load_dwordx2 s[14:15], s[4:5], 0x8
	s_waitcnt lgkmcnt(0)
	s_mul_i32 s20, s16, s10
	v_lshlrev_b32_e32 v2, 2, v0
	s_ashr_i32 s21, s20, 31
	v_and_b32_e32 v3, 0x3fc, v0
	s_lshl_b64 s[20:21], s[20:21], 1
	v_mad_u32_u24 v3, v1, 56, v3
	s_add_u32 s3, s14, s20
	s_addc_u32 s7, s15, s21
	s_ashr_i32 s25, s24, 31
	s_lshl_b64 s[14:15], s[24:25], 1
	s_add_u32 s14, s3, s14
	s_addc_u32 s15, s7, s15
	global_load_dword v2, v2, s[14:15]
	s_waitcnt vmcnt(0)
	ds_write_b32 v3, v2
.LBB238_4:
	s_or_b32 exec_lo, exec_lo, s2
	s_load_dwordx4 s[20:23], s[4:5], 0x68
	s_mul_i32 s2, s13, s11
	s_xor_b32 s1, s0, s1
	s_sub_i32 s0, s12, s2
	s_add_i32 s2, s13, 1
	s_sub_i32 s3, s0, s11
	s_cmp_ge_u32 s0, s11
	s_mov_b32 s12, -1
	s_cselect_b32 s2, s2, s13
	s_cselect_b32 s0, s3, s0
	s_add_i32 s3, s2, 1
	s_cmp_ge_u32 s0, s11
	s_load_dword s0, s[4:5], 0x78
	s_cselect_b32 s2, s3, s2
	s_waitcnt lgkmcnt(0)
	s_add_i32 s7, s33, -1
	s_xor_b32 s2, s2, s1
	s_abs_i32 s3, s7
	s_sub_i32 s1, s2, s1
	s_barrier
	s_abs_i32 s16, s23
	buffer_gl0_inv
	v_cvt_f32_u32_e32 v2, s16
	s_sub_i32 s2, 0, s16
                                        ; implicit-def: $sgpr25
	v_rcp_iflag_f32_e32 v2, v2
	v_mul_f32_e32 v2, 0x4f7ffffe, v2
	v_cvt_u32_f32_e32 v2, v2
	v_readfirstlane_b32 s19, v2
	s_mul_i32 s2, s2, s19
	s_mul_hi_u32 s2, s19, s2
	s_add_i32 s19, s19, s2
	s_cmp_lt_i32 s0, 0
	s_mul_hi_u32 s2, s3, s19
	s_cbranch_scc0 .LBB238_6
; %bb.5:
	s_mul_i32 s11, s20, s34
	s_mov_b32 s12, 0
	s_add_i32 s11, s1, s11
	s_mul_i32 s11, s11, s0
	s_sub_i32 s25, 1, s11
.LBB238_6:
	s_load_dwordx2 s[26:27], s[4:5], 0x28
	s_ashr_i32 s11, s7, 31
	s_andn2_b32 vcc_lo, exec_lo, s12
	s_ashr_i32 s23, s23, 31
	s_cbranch_vccnz .LBB238_8
; %bb.7:
	s_mul_i32 s7, s9, s20
	s_add_i32 s6, s7, s6
	s_mul_i32 s0, s6, s0
	s_add_i32 s25, s0, 1
.LBB238_8:
	s_clause 0x2
	s_load_dword s0, s[4:5], 0x38
	s_load_dwordx2 s[6:7], s[4:5], 0x0
	s_load_dwordx2 s[30:31], s[4:5], 0x18
	s_xor_b32 s34, s11, s23
	s_mul_i32 s11, s2, s16
	s_add_i32 s20, s2, 1
	s_sub_i32 s3, s3, s11
	s_clause 0x1
	s_load_dword s11, s[4:5], 0x88
	s_load_dwordx4 s[12:15], s[4:5], 0x58
	v_lshrrev_b32_e32 v11, 5, v0
	v_mov_b32_e32 v15, 0xff7fffff
	v_lshrrev_b32_e32 v9, 3, v0
	v_mbcnt_lo_u32_b32 v10, -1, 0
	s_mul_i32 s18, s1, s18
	v_lshlrev_b32_e32 v12, 3, v11
	s_waitcnt lgkmcnt(0)
	s_mul_i32 s28, s0, s10
	s_sub_i32 s0, s3, s16
	s_ashr_i32 s29, s28, 31
	s_cmp_ge_u32 s3, s16
	s_cselect_b32 s2, s20, s2
	s_cselect_b32 s0, s0, s3
	s_add_i32 s3, s2, 1
	s_cmp_ge_u32 s0, s16
	s_cselect_b32 s0, s3, s2
	s_add_i32 s2, s33, 7
	s_ashr_i32 s3, s2, 31
	s_lshr_b32 s3, s3, 29
	s_add_i32 s2, s2, s3
	s_ashr_i32 s20, s2, 3
	s_xor_b32 s2, s0, s34
	v_cmp_gt_i32_e64 s0, s20, v11
	s_sub_i32 s34, s2, s34
	s_and_saveexec_b32 s37, s0
	s_cbranch_execz .LBB238_244
; %bb.9:
	s_load_dwordx2 s[2:3], s[4:5], 0x10
	s_sub_i32 s4, s34, s21
	s_ashr_i32 s1, s18, 31
	v_bfe_u32 v13, v0, 2, 3
	v_cmp_eq_u32_e32 vcc_lo, 0, v1
	v_lshlrev_b32_e32 v5, 1, v1
	v_mul_u32_u24_e32 v14, 56, v1
	v_and_b32_e32 v1, 0x7c, v9
	v_lshlrev_b32_e32 v4, 2, v13
	v_subrev_nc_u32_e32 v6, s33, v13
	v_mov_b32_e32 v2, 0
	v_lshlrev_b32_e32 v16, 3, v11
	v_mov_b32_e32 v17, 0xff7fffff
	v_lshl_or_b32 v4, v11, 5, v4
	v_add_nc_u32_e32 v22, 1, v6
	v_mov_b32_e32 v18, 0x80
	v_mov_b32_e32 v19, 0x7f
	;; [unrolled: 1-line block ×3, first 2 shown]
	v_add_nc_u32_e32 v23, 0x100, v4
	v_mov_b32_e32 v21, 8
	s_waitcnt lgkmcnt(0)
	s_add_u32 s38, s2, s18
	s_addc_u32 s39, s3, s1
	s_abs_i32 s5, s22
	v_cmp_neq_f32_e64 s1, s36, 0
	v_cvt_f32_u32_e32 v3, s5
	s_sub_i32 s2, 0, s5
	v_mov_b32_e32 v15, 0xff7fffff
	v_mov_b32_e32 v25, v11
	v_rcp_iflag_f32_e32 v3, v3
	v_mul_f32_e32 v3, 0x4f7ffffe, v3
	v_cvt_u32_f32_e32 v7, v3
	v_lshlrev_b32_e32 v3, 4, v13
	v_mul_lo_u32 v4, s2, v7
	s_lshl_b64 s[2:3], s[28:29], 2
	v_add_co_u32 v6, s38, s38, v3
	s_add_u32 s2, s26, s2
	v_add_co_ci_u32_e64 v8, null, s39, 0, s38
	s_addc_u32 s3, s27, s3
	v_mul_hi_u32 v24, v7, v4
	v_add_co_u32 v3, s2, s2, v1
	v_add_co_ci_u32_e64 v4, null, s3, 0, s2
	v_add_co_u32 v5, s2, v6, v5
	v_add_co_ci_u32_e64 v6, null, 0, v8, s2
	v_add_nc_u32_e32 v24, v7, v24
	s_mov_b32 s38, 0
	s_mov_b32 s39, s17
	s_branch .LBB238_12
.LBB238_10:                             ;   in Loop: Header=BB238_12 Depth=1
	s_or_b32 exec_lo, exec_lo, s40
.LBB238_11:                             ;   in Loop: Header=BB238_12 Depth=1
	s_or_b32 exec_lo, exec_lo, s3
	v_add_nc_u32_e32 v25, 4, v25
	v_add_co_u32 v3, s3, v3, 16
	v_add_co_ci_u32_e64 v4, null, 0, v4, s3
	v_cmp_le_i32_e64 s2, s20, v25
	v_add_nc_u32_e32 v16, 32, v16
	v_add_nc_u32_e32 v23, 0x80, v23
	s_or_b32 s38, s2, s38
	s_andn2_b32 exec_lo, exec_lo, s38
	s_cbranch_execz .LBB238_243
.LBB238_12:                             ; =>This Inner Loop Header: Depth=1
	v_mul_hi_u32 v1, v16, s19
	s_waitcnt lgkmcnt(0)
	v_mul_lo_u32 v7, v1, s16
	v_add_nc_u32_e32 v8, 1, v1
	v_sub_nc_u32_e32 v7, v16, v7
	v_subrev_nc_u32_e32 v26, s16, v7
	v_cmp_le_u32_e64 s2, s16, v7
	v_cndmask_b32_e64 v1, v1, v8, s2
	v_cndmask_b32_e64 v7, v7, v26, s2
	v_add_nc_u32_e32 v8, 1, v1
	v_cmp_le_u32_e64 s2, s16, v7
	v_cndmask_b32_e64 v1, v1, v8, s2
	v_xor_b32_e32 v1, s23, v1
	v_subrev_nc_u32_e32 v1, s23, v1
	v_add_nc_u32_e32 v7, s25, v1
	v_cmp_ge_i32_e64 s3, s4, v1
	v_sub_nc_u32_e32 v8, 0, v7
	v_max_i32_e32 v8, v7, v8
	v_ashrrev_i32_e32 v7, 31, v7
	v_mul_hi_u32 v26, v8, v24
	v_mul_lo_u32 v26, v26, s5
	v_sub_nc_u32_e32 v8, v8, v26
	v_subrev_nc_u32_e32 v26, s5, v8
	v_cmp_le_u32_e64 s2, s5, v8
	v_cndmask_b32_e64 v8, v8, v26, s2
	v_subrev_nc_u32_e32 v26, s5, v8
	v_cmp_le_u32_e64 s2, s5, v8
	v_cndmask_b32_e64 v8, v8, v26, s2
	v_xor_b32_e32 v8, v8, v7
	v_sub_nc_u32_e32 v7, v8, v7
	v_cmp_ne_u32_e64 s2, 0, v7
	s_and_b32 s2, s2, s3
	s_and_saveexec_b32 s3, s2
	s_xor_b32 s2, exec_lo, s3
	s_cbranch_execz .LBB238_16
; %bb.13:                               ;   in Loop: Header=BB238_12 Depth=1
	s_and_saveexec_b32 s3, vcc_lo
; %bb.14:                               ;   in Loop: Header=BB238_12 Depth=1
	ds_write_b32 v23, v17
; %bb.15:                               ;   in Loop: Header=BB238_12 Depth=1
	s_or_b32 exec_lo, exec_lo, s3
.LBB238_16:                             ;   in Loop: Header=BB238_12 Depth=1
	s_andn2_saveexec_b32 s3, s2
	s_cbranch_execz .LBB238_11
; %bb.17:                               ;   in Loop: Header=BB238_12 Depth=1
	global_load_dword v1, v[3:4], off
	v_mov_b32_e32 v27, 0
	global_load_dword v26, v27, s[12:13]
	s_waitcnt vmcnt(1)
	v_mad_i64_i32 v[7:8], null, v1, s39, v[5:6]
	global_load_ushort v28, v[7:8], off
	s_waitcnt vmcnt(0)
	v_and_b32_e32 v1, 0xffff, v28
	v_cmp_ne_u16_sdwa s2, v28, v2 src0_sel:BYTE_0 src1_sel:DWORD
	v_mov_b32_e32 v28, 0
	s_and_saveexec_b32 s40, s2
	s_cbranch_execz .LBB238_25
; %bb.18:                               ;   in Loop: Header=BB238_12 Depth=1
	v_cmp_ne_u16_sdwa s2, v1, v18 src0_sel:BYTE_0 src1_sel:DWORD
	v_mov_b32_e32 v28, 0x8000
	s_and_saveexec_b32 s41, s2
	s_cbranch_execz .LBB238_24
; %bb.19:                               ;   in Loop: Header=BB238_12 Depth=1
	v_and_b32_e32 v30, 0x7f, v1
	v_mov_b32_e32 v28, 0x7c01
	s_mov_b32 s42, exec_lo
	v_cmpx_ne_u32_e32 0x7f, v30
	s_cbranch_execz .LBB238_23
; %bb.20:                               ;   in Loop: Header=BB238_12 Depth=1
	v_and_b32_e32 v28, 7, v1
	v_lshrrev_b32_e32 v29, 3, v30
	s_mov_b32 s43, exec_lo
	v_cmpx_gt_u32_e32 8, v30
; %bb.21:                               ;   in Loop: Header=BB238_12 Depth=1
	v_ffbh_u32_e32 v28, v28
	v_min_u32_e32 v30, 32, v28
	v_subrev_nc_u32_e32 v28, 28, v30
	v_lshlrev_b64 v[28:29], v28, v[1:2]
	v_sub_nc_u32_e32 v29, 29, v30
	v_and_b32_e32 v28, 7, v28
; %bb.22:                               ;   in Loop: Header=BB238_12 Depth=1
	s_or_b32 exec_lo, exec_lo, s43
	v_lshlrev_b32_e32 v30, 8, v1
	v_lshl_add_u32 v29, v29, 10, 0x2000
	v_lshlrev_b32_e32 v28, 7, v28
	v_and_b32_e32 v30, 0x8000, v30
	v_and_b32_e32 v29, 0xfc00, v29
	v_or3_b32 v28, v30, v29, v28
.LBB238_23:                             ;   in Loop: Header=BB238_12 Depth=1
	s_or_b32 exec_lo, exec_lo, s42
.LBB238_24:                             ;   in Loop: Header=BB238_12 Depth=1
	s_or_b32 exec_lo, exec_lo, s41
.LBB238_25:                             ;   in Loop: Header=BB238_12 Depth=1
	s_or_b32 exec_lo, exec_lo, s40
	v_lshrrev_b16 v1, 8, v1
	s_mov_b32 s40, exec_lo
	v_cmpx_ne_u16_e32 0, v1
	s_cbranch_execz .LBB238_33
; %bb.26:                               ;   in Loop: Header=BB238_12 Depth=1
	v_bfrev_b32_e32 v27, 1
	s_mov_b32 s41, exec_lo
	v_cmpx_ne_u16_e32 0x80, v1
	s_cbranch_execz .LBB238_32
; %bb.27:                               ;   in Loop: Header=BB238_12 Depth=1
	v_and_b32_sdwa v30, v1, v19 dst_sel:DWORD dst_unused:UNUSED_PAD src0_sel:WORD_0 src1_sel:DWORD
	v_mov_b32_e32 v27, 0x7c010000
	s_mov_b32 s42, exec_lo
	v_cmpx_ne_u32_e32 0x7f, v30
	s_cbranch_execz .LBB238_31
; %bb.28:                               ;   in Loop: Header=BB238_12 Depth=1
	v_and_b32_sdwa v27, v1, v20 dst_sel:DWORD dst_unused:UNUSED_PAD src0_sel:WORD_0 src1_sel:DWORD
	v_lshrrev_b32_e32 v29, 3, v30
	s_mov_b32 s43, exec_lo
	v_cmpx_gt_u32_e32 8, v30
; %bb.29:                               ;   in Loop: Header=BB238_12 Depth=1
	v_ffbh_u32_e32 v27, v27
	v_min_u32_e32 v27, 32, v27
	v_subrev_nc_u32_e32 v29, 28, v27
	v_lshlrev_b64 v[30:31], v29, v[1:2]
	v_sub_nc_u32_e32 v29, 29, v27
	v_and_b32_e32 v27, 7, v30
; %bb.30:                               ;   in Loop: Header=BB238_12 Depth=1
	s_or_b32 exec_lo, exec_lo, s43
	v_lshlrev_b32_sdwa v1, v21, v1 dst_sel:DWORD dst_unused:UNUSED_PAD src0_sel:DWORD src1_sel:WORD_0
	v_lshl_add_u32 v29, v29, 10, 0x2000
	v_lshlrev_b32_e32 v27, 23, v27
	v_and_or_b32 v1, 0x8000, v1, v29
	v_lshl_or_b32 v27, v1, 16, v27
.LBB238_31:                             ;   in Loop: Header=BB238_12 Depth=1
	s_or_b32 exec_lo, exec_lo, s42
.LBB238_32:                             ;   in Loop: Header=BB238_12 Depth=1
	s_or_b32 exec_lo, exec_lo, s41
.LBB238_33:                             ;   in Loop: Header=BB238_12 Depth=1
	s_or_b32 exec_lo, exec_lo, s40
	global_load_ushort v30, v[7:8], off offset:8
	v_mov_b32_e32 v29, 0
	s_waitcnt vmcnt(0)
	v_and_b32_e32 v1, 0xffff, v30
	v_cmp_ne_u16_sdwa s2, v30, v2 src0_sel:BYTE_0 src1_sel:DWORD
	v_mov_b32_e32 v30, 0
	s_and_saveexec_b32 s40, s2
	s_cbranch_execz .LBB238_41
; %bb.34:                               ;   in Loop: Header=BB238_12 Depth=1
	v_cmp_ne_u16_sdwa s2, v1, v18 src0_sel:BYTE_0 src1_sel:DWORD
	v_mov_b32_e32 v30, 0x8000
	s_and_saveexec_b32 s41, s2
	s_cbranch_execz .LBB238_40
; %bb.35:                               ;   in Loop: Header=BB238_12 Depth=1
	v_and_b32_e32 v32, 0x7f, v1
	v_mov_b32_e32 v30, 0x7c01
	s_mov_b32 s42, exec_lo
	v_cmpx_ne_u32_e32 0x7f, v32
	s_cbranch_execz .LBB238_39
; %bb.36:                               ;   in Loop: Header=BB238_12 Depth=1
	v_and_b32_e32 v30, 7, v1
	v_lshrrev_b32_e32 v31, 3, v32
	s_mov_b32 s43, exec_lo
	v_cmpx_gt_u32_e32 8, v32
; %bb.37:                               ;   in Loop: Header=BB238_12 Depth=1
	v_ffbh_u32_e32 v30, v30
	v_min_u32_e32 v32, 32, v30
	v_subrev_nc_u32_e32 v30, 28, v32
	v_lshlrev_b64 v[30:31], v30, v[1:2]
	v_sub_nc_u32_e32 v31, 29, v32
	v_and_b32_e32 v30, 7, v30
; %bb.38:                               ;   in Loop: Header=BB238_12 Depth=1
	s_or_b32 exec_lo, exec_lo, s43
	v_lshlrev_b32_e32 v32, 8, v1
	v_lshl_add_u32 v31, v31, 10, 0x2000
	v_lshlrev_b32_e32 v30, 7, v30
	v_and_b32_e32 v32, 0x8000, v32
	v_and_b32_e32 v31, 0xfc00, v31
	v_or3_b32 v30, v32, v31, v30
.LBB238_39:                             ;   in Loop: Header=BB238_12 Depth=1
	s_or_b32 exec_lo, exec_lo, s42
.LBB238_40:                             ;   in Loop: Header=BB238_12 Depth=1
	s_or_b32 exec_lo, exec_lo, s41
.LBB238_41:                             ;   in Loop: Header=BB238_12 Depth=1
	s_or_b32 exec_lo, exec_lo, s40
	v_lshrrev_b16 v1, 8, v1
	s_mov_b32 s40, exec_lo
	v_cmpx_ne_u16_e32 0, v1
	s_cbranch_execz .LBB238_49
; %bb.42:                               ;   in Loop: Header=BB238_12 Depth=1
	v_bfrev_b32_e32 v29, 1
	s_mov_b32 s41, exec_lo
	v_cmpx_ne_u16_e32 0x80, v1
	s_cbranch_execz .LBB238_48
; %bb.43:                               ;   in Loop: Header=BB238_12 Depth=1
	v_and_b32_sdwa v32, v1, v19 dst_sel:DWORD dst_unused:UNUSED_PAD src0_sel:WORD_0 src1_sel:DWORD
	v_mov_b32_e32 v29, 0x7c010000
	s_mov_b32 s42, exec_lo
	v_cmpx_ne_u32_e32 0x7f, v32
	s_cbranch_execz .LBB238_47
; %bb.44:                               ;   in Loop: Header=BB238_12 Depth=1
	v_and_b32_sdwa v29, v1, v20 dst_sel:DWORD dst_unused:UNUSED_PAD src0_sel:WORD_0 src1_sel:DWORD
	v_lshrrev_b32_e32 v31, 3, v32
	s_mov_b32 s43, exec_lo
	v_cmpx_gt_u32_e32 8, v32
; %bb.45:                               ;   in Loop: Header=BB238_12 Depth=1
	v_ffbh_u32_e32 v29, v29
	v_min_u32_e32 v29, 32, v29
	v_subrev_nc_u32_e32 v31, 28, v29
	v_lshlrev_b64 v[32:33], v31, v[1:2]
	v_sub_nc_u32_e32 v31, 29, v29
	v_and_b32_e32 v29, 7, v32
; %bb.46:                               ;   in Loop: Header=BB238_12 Depth=1
	s_or_b32 exec_lo, exec_lo, s43
	v_lshlrev_b32_sdwa v1, v21, v1 dst_sel:DWORD dst_unused:UNUSED_PAD src0_sel:DWORD src1_sel:WORD_0
	v_lshl_add_u32 v31, v31, 10, 0x2000
	v_lshlrev_b32_e32 v29, 23, v29
	v_and_or_b32 v1, 0x8000, v1, v31
	v_lshl_or_b32 v29, v1, 16, v29
.LBB238_47:                             ;   in Loop: Header=BB238_12 Depth=1
	s_or_b32 exec_lo, exec_lo, s42
.LBB238_48:                             ;   in Loop: Header=BB238_12 Depth=1
	s_or_b32 exec_lo, exec_lo, s41
.LBB238_49:                             ;   in Loop: Header=BB238_12 Depth=1
	s_or_b32 exec_lo, exec_lo, s40
	global_load_ushort v32, v[7:8], off offset:128
	v_mov_b32_e32 v31, 0
	s_waitcnt vmcnt(0)
	v_and_b32_e32 v1, 0xffff, v32
	v_cmp_ne_u16_sdwa s2, v32, v2 src0_sel:BYTE_0 src1_sel:DWORD
	v_mov_b32_e32 v32, 0
	s_and_saveexec_b32 s40, s2
	s_cbranch_execz .LBB238_57
; %bb.50:                               ;   in Loop: Header=BB238_12 Depth=1
	v_cmp_ne_u16_sdwa s2, v1, v18 src0_sel:BYTE_0 src1_sel:DWORD
	v_mov_b32_e32 v32, 0x8000
	s_and_saveexec_b32 s41, s2
	s_cbranch_execz .LBB238_56
; %bb.51:                               ;   in Loop: Header=BB238_12 Depth=1
	v_and_b32_e32 v34, 0x7f, v1
	v_mov_b32_e32 v32, 0x7c01
	s_mov_b32 s42, exec_lo
	v_cmpx_ne_u32_e32 0x7f, v34
	s_cbranch_execz .LBB238_55
; %bb.52:                               ;   in Loop: Header=BB238_12 Depth=1
	v_and_b32_e32 v32, 7, v1
	v_lshrrev_b32_e32 v33, 3, v34
	s_mov_b32 s43, exec_lo
	v_cmpx_gt_u32_e32 8, v34
; %bb.53:                               ;   in Loop: Header=BB238_12 Depth=1
	v_ffbh_u32_e32 v32, v32
	v_min_u32_e32 v34, 32, v32
	v_subrev_nc_u32_e32 v32, 28, v34
	v_lshlrev_b64 v[32:33], v32, v[1:2]
	v_sub_nc_u32_e32 v33, 29, v34
	v_and_b32_e32 v32, 7, v32
; %bb.54:                               ;   in Loop: Header=BB238_12 Depth=1
	s_or_b32 exec_lo, exec_lo, s43
	v_lshlrev_b32_e32 v34, 8, v1
	v_lshl_add_u32 v33, v33, 10, 0x2000
	v_lshlrev_b32_e32 v32, 7, v32
	v_and_b32_e32 v34, 0x8000, v34
	v_and_b32_e32 v33, 0xfc00, v33
	v_or3_b32 v32, v34, v33, v32
.LBB238_55:                             ;   in Loop: Header=BB238_12 Depth=1
	s_or_b32 exec_lo, exec_lo, s42
.LBB238_56:                             ;   in Loop: Header=BB238_12 Depth=1
	s_or_b32 exec_lo, exec_lo, s41
.LBB238_57:                             ;   in Loop: Header=BB238_12 Depth=1
	s_or_b32 exec_lo, exec_lo, s40
	v_lshrrev_b16 v1, 8, v1
	s_mov_b32 s40, exec_lo
	v_cmpx_ne_u16_e32 0, v1
	s_cbranch_execz .LBB238_65
; %bb.58:                               ;   in Loop: Header=BB238_12 Depth=1
	v_bfrev_b32_e32 v31, 1
	s_mov_b32 s41, exec_lo
	v_cmpx_ne_u16_e32 0x80, v1
	s_cbranch_execz .LBB238_64
; %bb.59:                               ;   in Loop: Header=BB238_12 Depth=1
	v_and_b32_sdwa v34, v1, v19 dst_sel:DWORD dst_unused:UNUSED_PAD src0_sel:WORD_0 src1_sel:DWORD
	v_mov_b32_e32 v31, 0x7c010000
	s_mov_b32 s42, exec_lo
	v_cmpx_ne_u32_e32 0x7f, v34
	s_cbranch_execz .LBB238_63
; %bb.60:                               ;   in Loop: Header=BB238_12 Depth=1
	v_and_b32_sdwa v31, v1, v20 dst_sel:DWORD dst_unused:UNUSED_PAD src0_sel:WORD_0 src1_sel:DWORD
	v_lshrrev_b32_e32 v33, 3, v34
	s_mov_b32 s43, exec_lo
	v_cmpx_gt_u32_e32 8, v34
; %bb.61:                               ;   in Loop: Header=BB238_12 Depth=1
	v_ffbh_u32_e32 v31, v31
	v_min_u32_e32 v31, 32, v31
	v_subrev_nc_u32_e32 v33, 28, v31
	v_lshlrev_b64 v[34:35], v33, v[1:2]
	v_sub_nc_u32_e32 v33, 29, v31
	v_and_b32_e32 v31, 7, v34
; %bb.62:                               ;   in Loop: Header=BB238_12 Depth=1
	s_or_b32 exec_lo, exec_lo, s43
	v_lshlrev_b32_sdwa v1, v21, v1 dst_sel:DWORD dst_unused:UNUSED_PAD src0_sel:DWORD src1_sel:WORD_0
	v_lshl_add_u32 v33, v33, 10, 0x2000
	v_lshlrev_b32_e32 v31, 23, v31
	v_and_or_b32 v1, 0x8000, v1, v33
	v_lshl_or_b32 v31, v1, 16, v31
.LBB238_63:                             ;   in Loop: Header=BB238_12 Depth=1
	s_or_b32 exec_lo, exec_lo, s42
.LBB238_64:                             ;   in Loop: Header=BB238_12 Depth=1
	s_or_b32 exec_lo, exec_lo, s41
.LBB238_65:                             ;   in Loop: Header=BB238_12 Depth=1
	s_or_b32 exec_lo, exec_lo, s40
	global_load_ushort v34, v[7:8], off offset:136
	v_mov_b32_e32 v33, 0
	s_waitcnt vmcnt(0)
	v_and_b32_e32 v1, 0xffff, v34
	v_cmp_ne_u16_sdwa s2, v34, v2 src0_sel:BYTE_0 src1_sel:DWORD
	v_mov_b32_e32 v34, 0
	s_and_saveexec_b32 s40, s2
	s_cbranch_execz .LBB238_73
; %bb.66:                               ;   in Loop: Header=BB238_12 Depth=1
	v_cmp_ne_u16_sdwa s2, v1, v18 src0_sel:BYTE_0 src1_sel:DWORD
	v_mov_b32_e32 v34, 0x8000
	s_and_saveexec_b32 s41, s2
	s_cbranch_execz .LBB238_72
; %bb.67:                               ;   in Loop: Header=BB238_12 Depth=1
	v_and_b32_e32 v36, 0x7f, v1
	v_mov_b32_e32 v34, 0x7c01
	s_mov_b32 s42, exec_lo
	v_cmpx_ne_u32_e32 0x7f, v36
	s_cbranch_execz .LBB238_71
; %bb.68:                               ;   in Loop: Header=BB238_12 Depth=1
	v_and_b32_e32 v34, 7, v1
	v_lshrrev_b32_e32 v35, 3, v36
	s_mov_b32 s43, exec_lo
	v_cmpx_gt_u32_e32 8, v36
; %bb.69:                               ;   in Loop: Header=BB238_12 Depth=1
	v_ffbh_u32_e32 v34, v34
	v_min_u32_e32 v36, 32, v34
	v_subrev_nc_u32_e32 v34, 28, v36
	v_lshlrev_b64 v[34:35], v34, v[1:2]
	v_sub_nc_u32_e32 v35, 29, v36
	v_and_b32_e32 v34, 7, v34
; %bb.70:                               ;   in Loop: Header=BB238_12 Depth=1
	s_or_b32 exec_lo, exec_lo, s43
	v_lshlrev_b32_e32 v36, 8, v1
	v_lshl_add_u32 v35, v35, 10, 0x2000
	v_lshlrev_b32_e32 v34, 7, v34
	v_and_b32_e32 v36, 0x8000, v36
	v_and_b32_e32 v35, 0xfc00, v35
	v_or3_b32 v34, v36, v35, v34
.LBB238_71:                             ;   in Loop: Header=BB238_12 Depth=1
	s_or_b32 exec_lo, exec_lo, s42
.LBB238_72:                             ;   in Loop: Header=BB238_12 Depth=1
	s_or_b32 exec_lo, exec_lo, s41
.LBB238_73:                             ;   in Loop: Header=BB238_12 Depth=1
	s_or_b32 exec_lo, exec_lo, s40
	v_lshrrev_b16 v1, 8, v1
	s_mov_b32 s40, exec_lo
	v_cmpx_ne_u16_e32 0, v1
	s_cbranch_execz .LBB238_81
; %bb.74:                               ;   in Loop: Header=BB238_12 Depth=1
	v_bfrev_b32_e32 v33, 1
	s_mov_b32 s41, exec_lo
	v_cmpx_ne_u16_e32 0x80, v1
	s_cbranch_execz .LBB238_80
; %bb.75:                               ;   in Loop: Header=BB238_12 Depth=1
	v_and_b32_sdwa v36, v1, v19 dst_sel:DWORD dst_unused:UNUSED_PAD src0_sel:WORD_0 src1_sel:DWORD
	v_mov_b32_e32 v33, 0x7c010000
	s_mov_b32 s42, exec_lo
	v_cmpx_ne_u32_e32 0x7f, v36
	s_cbranch_execz .LBB238_79
; %bb.76:                               ;   in Loop: Header=BB238_12 Depth=1
	v_and_b32_sdwa v33, v1, v20 dst_sel:DWORD dst_unused:UNUSED_PAD src0_sel:WORD_0 src1_sel:DWORD
	v_lshrrev_b32_e32 v35, 3, v36
	s_mov_b32 s43, exec_lo
	v_cmpx_gt_u32_e32 8, v36
; %bb.77:                               ;   in Loop: Header=BB238_12 Depth=1
	v_ffbh_u32_e32 v33, v33
	v_min_u32_e32 v33, 32, v33
	v_subrev_nc_u32_e32 v35, 28, v33
	v_lshlrev_b64 v[36:37], v35, v[1:2]
	v_sub_nc_u32_e32 v35, 29, v33
	v_and_b32_e32 v33, 7, v36
; %bb.78:                               ;   in Loop: Header=BB238_12 Depth=1
	s_or_b32 exec_lo, exec_lo, s43
	v_lshlrev_b32_sdwa v1, v21, v1 dst_sel:DWORD dst_unused:UNUSED_PAD src0_sel:DWORD src1_sel:WORD_0
	v_lshl_add_u32 v35, v35, 10, 0x2000
	v_lshlrev_b32_e32 v33, 23, v33
	v_and_or_b32 v1, 0x8000, v1, v35
	v_lshl_or_b32 v33, v1, 16, v33
.LBB238_79:                             ;   in Loop: Header=BB238_12 Depth=1
	s_or_b32 exec_lo, exec_lo, s42
.LBB238_80:                             ;   in Loop: Header=BB238_12 Depth=1
	s_or_b32 exec_lo, exec_lo, s41
.LBB238_81:                             ;   in Loop: Header=BB238_12 Depth=1
	s_or_b32 exec_lo, exec_lo, s40
	global_load_ushort v36, v[7:8], off offset:256
	v_mov_b32_e32 v35, 0
	s_waitcnt vmcnt(0)
	v_and_b32_e32 v1, 0xffff, v36
	v_cmp_ne_u16_sdwa s2, v36, v2 src0_sel:BYTE_0 src1_sel:DWORD
	v_mov_b32_e32 v36, 0
	s_and_saveexec_b32 s40, s2
	s_cbranch_execz .LBB238_89
; %bb.82:                               ;   in Loop: Header=BB238_12 Depth=1
	v_cmp_ne_u16_sdwa s2, v1, v18 src0_sel:BYTE_0 src1_sel:DWORD
	v_mov_b32_e32 v36, 0x8000
	s_and_saveexec_b32 s41, s2
	s_cbranch_execz .LBB238_88
; %bb.83:                               ;   in Loop: Header=BB238_12 Depth=1
	v_and_b32_e32 v38, 0x7f, v1
	v_mov_b32_e32 v36, 0x7c01
	s_mov_b32 s42, exec_lo
	v_cmpx_ne_u32_e32 0x7f, v38
	s_cbranch_execz .LBB238_87
; %bb.84:                               ;   in Loop: Header=BB238_12 Depth=1
	v_and_b32_e32 v36, 7, v1
	v_lshrrev_b32_e32 v37, 3, v38
	s_mov_b32 s43, exec_lo
	v_cmpx_gt_u32_e32 8, v38
; %bb.85:                               ;   in Loop: Header=BB238_12 Depth=1
	v_ffbh_u32_e32 v36, v36
	v_min_u32_e32 v38, 32, v36
	v_subrev_nc_u32_e32 v36, 28, v38
	v_lshlrev_b64 v[36:37], v36, v[1:2]
	v_sub_nc_u32_e32 v37, 29, v38
	v_and_b32_e32 v36, 7, v36
; %bb.86:                               ;   in Loop: Header=BB238_12 Depth=1
	s_or_b32 exec_lo, exec_lo, s43
	v_lshlrev_b32_e32 v38, 8, v1
	v_lshl_add_u32 v37, v37, 10, 0x2000
	v_lshlrev_b32_e32 v36, 7, v36
	v_and_b32_e32 v38, 0x8000, v38
	v_and_b32_e32 v37, 0xfc00, v37
	v_or3_b32 v36, v38, v37, v36
.LBB238_87:                             ;   in Loop: Header=BB238_12 Depth=1
	s_or_b32 exec_lo, exec_lo, s42
.LBB238_88:                             ;   in Loop: Header=BB238_12 Depth=1
	s_or_b32 exec_lo, exec_lo, s41
.LBB238_89:                             ;   in Loop: Header=BB238_12 Depth=1
	s_or_b32 exec_lo, exec_lo, s40
	v_lshrrev_b16 v1, 8, v1
	s_mov_b32 s40, exec_lo
	v_cmpx_ne_u16_e32 0, v1
	s_cbranch_execz .LBB238_97
; %bb.90:                               ;   in Loop: Header=BB238_12 Depth=1
	v_bfrev_b32_e32 v35, 1
	s_mov_b32 s41, exec_lo
	v_cmpx_ne_u16_e32 0x80, v1
	s_cbranch_execz .LBB238_96
; %bb.91:                               ;   in Loop: Header=BB238_12 Depth=1
	v_and_b32_sdwa v38, v1, v19 dst_sel:DWORD dst_unused:UNUSED_PAD src0_sel:WORD_0 src1_sel:DWORD
	v_mov_b32_e32 v35, 0x7c010000
	s_mov_b32 s42, exec_lo
	v_cmpx_ne_u32_e32 0x7f, v38
	s_cbranch_execz .LBB238_95
; %bb.92:                               ;   in Loop: Header=BB238_12 Depth=1
	v_and_b32_sdwa v35, v1, v20 dst_sel:DWORD dst_unused:UNUSED_PAD src0_sel:WORD_0 src1_sel:DWORD
	v_lshrrev_b32_e32 v37, 3, v38
	s_mov_b32 s43, exec_lo
	v_cmpx_gt_u32_e32 8, v38
; %bb.93:                               ;   in Loop: Header=BB238_12 Depth=1
	v_ffbh_u32_e32 v35, v35
	v_min_u32_e32 v35, 32, v35
	v_subrev_nc_u32_e32 v37, 28, v35
	v_lshlrev_b64 v[38:39], v37, v[1:2]
	v_sub_nc_u32_e32 v37, 29, v35
	v_and_b32_e32 v35, 7, v38
; %bb.94:                               ;   in Loop: Header=BB238_12 Depth=1
	s_or_b32 exec_lo, exec_lo, s43
	v_lshlrev_b32_sdwa v1, v21, v1 dst_sel:DWORD dst_unused:UNUSED_PAD src0_sel:DWORD src1_sel:WORD_0
	v_lshl_add_u32 v37, v37, 10, 0x2000
	v_lshlrev_b32_e32 v35, 23, v35
	v_and_or_b32 v1, 0x8000, v1, v37
	v_lshl_or_b32 v35, v1, 16, v35
.LBB238_95:                             ;   in Loop: Header=BB238_12 Depth=1
	s_or_b32 exec_lo, exec_lo, s42
.LBB238_96:                             ;   in Loop: Header=BB238_12 Depth=1
	s_or_b32 exec_lo, exec_lo, s41
.LBB238_97:                             ;   in Loop: Header=BB238_12 Depth=1
	s_or_b32 exec_lo, exec_lo, s40
	global_load_ushort v38, v[7:8], off offset:264
	v_mov_b32_e32 v37, 0
	s_waitcnt vmcnt(0)
	v_and_b32_e32 v1, 0xffff, v38
	v_cmp_ne_u16_sdwa s2, v38, v2 src0_sel:BYTE_0 src1_sel:DWORD
	v_mov_b32_e32 v38, 0
	s_and_saveexec_b32 s40, s2
	s_cbranch_execz .LBB238_105
; %bb.98:                               ;   in Loop: Header=BB238_12 Depth=1
	v_cmp_ne_u16_sdwa s2, v1, v18 src0_sel:BYTE_0 src1_sel:DWORD
	v_mov_b32_e32 v38, 0x8000
	s_and_saveexec_b32 s41, s2
	s_cbranch_execz .LBB238_104
; %bb.99:                               ;   in Loop: Header=BB238_12 Depth=1
	v_and_b32_e32 v40, 0x7f, v1
	v_mov_b32_e32 v38, 0x7c01
	s_mov_b32 s42, exec_lo
	v_cmpx_ne_u32_e32 0x7f, v40
	s_cbranch_execz .LBB238_103
; %bb.100:                              ;   in Loop: Header=BB238_12 Depth=1
	v_and_b32_e32 v38, 7, v1
	v_lshrrev_b32_e32 v39, 3, v40
	s_mov_b32 s43, exec_lo
	v_cmpx_gt_u32_e32 8, v40
; %bb.101:                              ;   in Loop: Header=BB238_12 Depth=1
	v_ffbh_u32_e32 v38, v38
	v_min_u32_e32 v40, 32, v38
	v_subrev_nc_u32_e32 v38, 28, v40
	v_lshlrev_b64 v[38:39], v38, v[1:2]
	v_sub_nc_u32_e32 v39, 29, v40
	v_and_b32_e32 v38, 7, v38
; %bb.102:                              ;   in Loop: Header=BB238_12 Depth=1
	s_or_b32 exec_lo, exec_lo, s43
	v_lshlrev_b32_e32 v40, 8, v1
	v_lshl_add_u32 v39, v39, 10, 0x2000
	v_lshlrev_b32_e32 v38, 7, v38
	v_and_b32_e32 v40, 0x8000, v40
	v_and_b32_e32 v39, 0xfc00, v39
	v_or3_b32 v38, v40, v39, v38
.LBB238_103:                            ;   in Loop: Header=BB238_12 Depth=1
	s_or_b32 exec_lo, exec_lo, s42
.LBB238_104:                            ;   in Loop: Header=BB238_12 Depth=1
	s_or_b32 exec_lo, exec_lo, s41
.LBB238_105:                            ;   in Loop: Header=BB238_12 Depth=1
	s_or_b32 exec_lo, exec_lo, s40
	v_lshrrev_b16 v1, 8, v1
	s_mov_b32 s40, exec_lo
	v_cmpx_ne_u16_e32 0, v1
	s_cbranch_execz .LBB238_113
; %bb.106:                              ;   in Loop: Header=BB238_12 Depth=1
	v_bfrev_b32_e32 v37, 1
	s_mov_b32 s41, exec_lo
	v_cmpx_ne_u16_e32 0x80, v1
	s_cbranch_execz .LBB238_112
; %bb.107:                              ;   in Loop: Header=BB238_12 Depth=1
	v_and_b32_sdwa v40, v1, v19 dst_sel:DWORD dst_unused:UNUSED_PAD src0_sel:WORD_0 src1_sel:DWORD
	v_mov_b32_e32 v37, 0x7c010000
	s_mov_b32 s42, exec_lo
	v_cmpx_ne_u32_e32 0x7f, v40
	s_cbranch_execz .LBB238_111
; %bb.108:                              ;   in Loop: Header=BB238_12 Depth=1
	v_and_b32_sdwa v37, v1, v20 dst_sel:DWORD dst_unused:UNUSED_PAD src0_sel:WORD_0 src1_sel:DWORD
	v_lshrrev_b32_e32 v39, 3, v40
	s_mov_b32 s43, exec_lo
	v_cmpx_gt_u32_e32 8, v40
; %bb.109:                              ;   in Loop: Header=BB238_12 Depth=1
	v_ffbh_u32_e32 v37, v37
	v_min_u32_e32 v37, 32, v37
	v_subrev_nc_u32_e32 v39, 28, v37
	v_lshlrev_b64 v[40:41], v39, v[1:2]
	v_sub_nc_u32_e32 v39, 29, v37
	v_and_b32_e32 v37, 7, v40
; %bb.110:                              ;   in Loop: Header=BB238_12 Depth=1
	s_or_b32 exec_lo, exec_lo, s43
	v_lshlrev_b32_sdwa v1, v21, v1 dst_sel:DWORD dst_unused:UNUSED_PAD src0_sel:DWORD src1_sel:WORD_0
	v_lshl_add_u32 v39, v39, 10, 0x2000
	v_lshlrev_b32_e32 v37, 23, v37
	v_and_or_b32 v1, 0x8000, v1, v39
	v_lshl_or_b32 v37, v1, 16, v37
.LBB238_111:                            ;   in Loop: Header=BB238_12 Depth=1
	s_or_b32 exec_lo, exec_lo, s42
.LBB238_112:                            ;   in Loop: Header=BB238_12 Depth=1
	s_or_b32 exec_lo, exec_lo, s41
.LBB238_113:                            ;   in Loop: Header=BB238_12 Depth=1
	s_or_b32 exec_lo, exec_lo, s40
	global_load_ushort v40, v[7:8], off offset:384
	v_mov_b32_e32 v39, 0
	s_waitcnt vmcnt(0)
	v_and_b32_e32 v1, 0xffff, v40
	v_cmp_ne_u16_sdwa s2, v40, v2 src0_sel:BYTE_0 src1_sel:DWORD
	v_mov_b32_e32 v40, 0
	s_and_saveexec_b32 s40, s2
	s_cbranch_execz .LBB238_121
; %bb.114:                              ;   in Loop: Header=BB238_12 Depth=1
	v_cmp_ne_u16_sdwa s2, v1, v18 src0_sel:BYTE_0 src1_sel:DWORD
	v_mov_b32_e32 v40, 0x8000
	s_and_saveexec_b32 s41, s2
	s_cbranch_execz .LBB238_120
; %bb.115:                              ;   in Loop: Header=BB238_12 Depth=1
	v_and_b32_e32 v42, 0x7f, v1
	v_mov_b32_e32 v40, 0x7c01
	s_mov_b32 s42, exec_lo
	v_cmpx_ne_u32_e32 0x7f, v42
	s_cbranch_execz .LBB238_119
; %bb.116:                              ;   in Loop: Header=BB238_12 Depth=1
	v_and_b32_e32 v40, 7, v1
	v_lshrrev_b32_e32 v41, 3, v42
	s_mov_b32 s43, exec_lo
	v_cmpx_gt_u32_e32 8, v42
; %bb.117:                              ;   in Loop: Header=BB238_12 Depth=1
	v_ffbh_u32_e32 v40, v40
	v_min_u32_e32 v42, 32, v40
	v_subrev_nc_u32_e32 v40, 28, v42
	v_lshlrev_b64 v[40:41], v40, v[1:2]
	v_sub_nc_u32_e32 v41, 29, v42
	v_and_b32_e32 v40, 7, v40
; %bb.118:                              ;   in Loop: Header=BB238_12 Depth=1
	s_or_b32 exec_lo, exec_lo, s43
	v_lshlrev_b32_e32 v42, 8, v1
	v_lshl_add_u32 v41, v41, 10, 0x2000
	v_lshlrev_b32_e32 v40, 7, v40
	v_and_b32_e32 v42, 0x8000, v42
	v_and_b32_e32 v41, 0xfc00, v41
	v_or3_b32 v40, v42, v41, v40
.LBB238_119:                            ;   in Loop: Header=BB238_12 Depth=1
	s_or_b32 exec_lo, exec_lo, s42
.LBB238_120:                            ;   in Loop: Header=BB238_12 Depth=1
	s_or_b32 exec_lo, exec_lo, s41
.LBB238_121:                            ;   in Loop: Header=BB238_12 Depth=1
	s_or_b32 exec_lo, exec_lo, s40
	v_lshrrev_b16 v1, 8, v1
	s_mov_b32 s40, exec_lo
	v_cmpx_ne_u16_e32 0, v1
	s_cbranch_execz .LBB238_129
; %bb.122:                              ;   in Loop: Header=BB238_12 Depth=1
	v_bfrev_b32_e32 v39, 1
	s_mov_b32 s41, exec_lo
	v_cmpx_ne_u16_e32 0x80, v1
	s_cbranch_execz .LBB238_128
; %bb.123:                              ;   in Loop: Header=BB238_12 Depth=1
	v_and_b32_sdwa v42, v1, v19 dst_sel:DWORD dst_unused:UNUSED_PAD src0_sel:WORD_0 src1_sel:DWORD
	v_mov_b32_e32 v39, 0x7c010000
	s_mov_b32 s42, exec_lo
	v_cmpx_ne_u32_e32 0x7f, v42
	s_cbranch_execz .LBB238_127
; %bb.124:                              ;   in Loop: Header=BB238_12 Depth=1
	v_and_b32_sdwa v39, v1, v20 dst_sel:DWORD dst_unused:UNUSED_PAD src0_sel:WORD_0 src1_sel:DWORD
	v_lshrrev_b32_e32 v41, 3, v42
	s_mov_b32 s43, exec_lo
	v_cmpx_gt_u32_e32 8, v42
; %bb.125:                              ;   in Loop: Header=BB238_12 Depth=1
	v_ffbh_u32_e32 v39, v39
	v_min_u32_e32 v39, 32, v39
	v_subrev_nc_u32_e32 v41, 28, v39
	v_lshlrev_b64 v[42:43], v41, v[1:2]
	v_sub_nc_u32_e32 v41, 29, v39
	v_and_b32_e32 v39, 7, v42
; %bb.126:                              ;   in Loop: Header=BB238_12 Depth=1
	s_or_b32 exec_lo, exec_lo, s43
	v_lshlrev_b32_sdwa v1, v21, v1 dst_sel:DWORD dst_unused:UNUSED_PAD src0_sel:DWORD src1_sel:WORD_0
	v_lshl_add_u32 v41, v41, 10, 0x2000
	v_lshlrev_b32_e32 v39, 23, v39
	v_and_or_b32 v1, 0x8000, v1, v41
	v_lshl_or_b32 v39, v1, 16, v39
.LBB238_127:                            ;   in Loop: Header=BB238_12 Depth=1
	s_or_b32 exec_lo, exec_lo, s42
.LBB238_128:                            ;   in Loop: Header=BB238_12 Depth=1
	s_or_b32 exec_lo, exec_lo, s41
.LBB238_129:                            ;   in Loop: Header=BB238_12 Depth=1
	s_or_b32 exec_lo, exec_lo, s40
	global_load_ushort v42, v[7:8], off offset:392
	v_mov_b32_e32 v41, 0
	s_waitcnt vmcnt(0)
	v_and_b32_e32 v1, 0xffff, v42
	v_cmp_ne_u16_sdwa s2, v42, v2 src0_sel:BYTE_0 src1_sel:DWORD
	v_mov_b32_e32 v42, 0
	s_and_saveexec_b32 s40, s2
	s_cbranch_execz .LBB238_137
; %bb.130:                              ;   in Loop: Header=BB238_12 Depth=1
	v_cmp_ne_u16_sdwa s2, v1, v18 src0_sel:BYTE_0 src1_sel:DWORD
	v_mov_b32_e32 v42, 0x8000
	s_and_saveexec_b32 s41, s2
	s_cbranch_execz .LBB238_136
; %bb.131:                              ;   in Loop: Header=BB238_12 Depth=1
	v_and_b32_e32 v44, 0x7f, v1
	v_mov_b32_e32 v42, 0x7c01
	s_mov_b32 s42, exec_lo
	v_cmpx_ne_u32_e32 0x7f, v44
	s_cbranch_execz .LBB238_135
; %bb.132:                              ;   in Loop: Header=BB238_12 Depth=1
	v_and_b32_e32 v42, 7, v1
	v_lshrrev_b32_e32 v43, 3, v44
	s_mov_b32 s43, exec_lo
	v_cmpx_gt_u32_e32 8, v44
; %bb.133:                              ;   in Loop: Header=BB238_12 Depth=1
	v_ffbh_u32_e32 v42, v42
	v_min_u32_e32 v44, 32, v42
	v_subrev_nc_u32_e32 v42, 28, v44
	v_lshlrev_b64 v[42:43], v42, v[1:2]
	v_sub_nc_u32_e32 v43, 29, v44
	v_and_b32_e32 v42, 7, v42
; %bb.134:                              ;   in Loop: Header=BB238_12 Depth=1
	s_or_b32 exec_lo, exec_lo, s43
	v_lshlrev_b32_e32 v44, 8, v1
	v_lshl_add_u32 v43, v43, 10, 0x2000
	v_lshlrev_b32_e32 v42, 7, v42
	v_and_b32_e32 v44, 0x8000, v44
	v_and_b32_e32 v43, 0xfc00, v43
	v_or3_b32 v42, v44, v43, v42
.LBB238_135:                            ;   in Loop: Header=BB238_12 Depth=1
	s_or_b32 exec_lo, exec_lo, s42
.LBB238_136:                            ;   in Loop: Header=BB238_12 Depth=1
	s_or_b32 exec_lo, exec_lo, s41
.LBB238_137:                            ;   in Loop: Header=BB238_12 Depth=1
	s_or_b32 exec_lo, exec_lo, s40
	v_lshrrev_b16 v1, 8, v1
	s_mov_b32 s40, exec_lo
	v_cmpx_ne_u16_e32 0, v1
	s_cbranch_execz .LBB238_145
; %bb.138:                              ;   in Loop: Header=BB238_12 Depth=1
	v_bfrev_b32_e32 v41, 1
	s_mov_b32 s41, exec_lo
	v_cmpx_ne_u16_e32 0x80, v1
	s_cbranch_execz .LBB238_144
; %bb.139:                              ;   in Loop: Header=BB238_12 Depth=1
	v_and_b32_sdwa v44, v1, v19 dst_sel:DWORD dst_unused:UNUSED_PAD src0_sel:WORD_0 src1_sel:DWORD
	v_mov_b32_e32 v41, 0x7c010000
	s_mov_b32 s42, exec_lo
	v_cmpx_ne_u32_e32 0x7f, v44
	s_cbranch_execz .LBB238_143
; %bb.140:                              ;   in Loop: Header=BB238_12 Depth=1
	v_and_b32_sdwa v41, v1, v20 dst_sel:DWORD dst_unused:UNUSED_PAD src0_sel:WORD_0 src1_sel:DWORD
	v_lshrrev_b32_e32 v43, 3, v44
	s_mov_b32 s43, exec_lo
	v_cmpx_gt_u32_e32 8, v44
; %bb.141:                              ;   in Loop: Header=BB238_12 Depth=1
	v_ffbh_u32_e32 v41, v41
	v_min_u32_e32 v41, 32, v41
	v_subrev_nc_u32_e32 v43, 28, v41
	v_lshlrev_b64 v[44:45], v43, v[1:2]
	v_sub_nc_u32_e32 v43, 29, v41
	v_and_b32_e32 v41, 7, v44
; %bb.142:                              ;   in Loop: Header=BB238_12 Depth=1
	s_or_b32 exec_lo, exec_lo, s43
	v_lshlrev_b32_sdwa v1, v21, v1 dst_sel:DWORD dst_unused:UNUSED_PAD src0_sel:DWORD src1_sel:WORD_0
	v_lshl_add_u32 v43, v43, 10, 0x2000
	v_lshlrev_b32_e32 v41, 23, v41
	v_and_or_b32 v1, 0x8000, v1, v43
	v_lshl_or_b32 v41, v1, 16, v41
.LBB238_143:                            ;   in Loop: Header=BB238_12 Depth=1
	s_or_b32 exec_lo, exec_lo, s42
.LBB238_144:                            ;   in Loop: Header=BB238_12 Depth=1
	s_or_b32 exec_lo, exec_lo, s41
.LBB238_145:                            ;   in Loop: Header=BB238_12 Depth=1
	s_or_b32 exec_lo, exec_lo, s40
	global_load_ushort v44, v[7:8], off offset:512
	v_mov_b32_e32 v43, 0
	s_waitcnt vmcnt(0)
	v_and_b32_e32 v1, 0xffff, v44
	v_cmp_ne_u16_sdwa s2, v44, v2 src0_sel:BYTE_0 src1_sel:DWORD
	v_mov_b32_e32 v44, 0
	s_and_saveexec_b32 s40, s2
	s_cbranch_execz .LBB238_153
; %bb.146:                              ;   in Loop: Header=BB238_12 Depth=1
	v_cmp_ne_u16_sdwa s2, v1, v18 src0_sel:BYTE_0 src1_sel:DWORD
	v_mov_b32_e32 v44, 0x8000
	s_and_saveexec_b32 s41, s2
	s_cbranch_execz .LBB238_152
; %bb.147:                              ;   in Loop: Header=BB238_12 Depth=1
	v_and_b32_e32 v46, 0x7f, v1
	v_mov_b32_e32 v44, 0x7c01
	s_mov_b32 s42, exec_lo
	v_cmpx_ne_u32_e32 0x7f, v46
	s_cbranch_execz .LBB238_151
; %bb.148:                              ;   in Loop: Header=BB238_12 Depth=1
	v_and_b32_e32 v44, 7, v1
	v_lshrrev_b32_e32 v45, 3, v46
	s_mov_b32 s43, exec_lo
	v_cmpx_gt_u32_e32 8, v46
; %bb.149:                              ;   in Loop: Header=BB238_12 Depth=1
	v_ffbh_u32_e32 v44, v44
	v_min_u32_e32 v46, 32, v44
	v_subrev_nc_u32_e32 v44, 28, v46
	v_lshlrev_b64 v[44:45], v44, v[1:2]
	v_sub_nc_u32_e32 v45, 29, v46
	v_and_b32_e32 v44, 7, v44
; %bb.150:                              ;   in Loop: Header=BB238_12 Depth=1
	s_or_b32 exec_lo, exec_lo, s43
	v_lshlrev_b32_e32 v46, 8, v1
	v_lshl_add_u32 v45, v45, 10, 0x2000
	v_lshlrev_b32_e32 v44, 7, v44
	v_and_b32_e32 v46, 0x8000, v46
	v_and_b32_e32 v45, 0xfc00, v45
	v_or3_b32 v44, v46, v45, v44
.LBB238_151:                            ;   in Loop: Header=BB238_12 Depth=1
	s_or_b32 exec_lo, exec_lo, s42
.LBB238_152:                            ;   in Loop: Header=BB238_12 Depth=1
	s_or_b32 exec_lo, exec_lo, s41
.LBB238_153:                            ;   in Loop: Header=BB238_12 Depth=1
	s_or_b32 exec_lo, exec_lo, s40
	v_lshrrev_b16 v1, 8, v1
	s_mov_b32 s40, exec_lo
	v_cmpx_ne_u16_e32 0, v1
	s_cbranch_execz .LBB238_161
; %bb.154:                              ;   in Loop: Header=BB238_12 Depth=1
	v_bfrev_b32_e32 v43, 1
	s_mov_b32 s41, exec_lo
	v_cmpx_ne_u16_e32 0x80, v1
	s_cbranch_execz .LBB238_160
; %bb.155:                              ;   in Loop: Header=BB238_12 Depth=1
	v_and_b32_sdwa v46, v1, v19 dst_sel:DWORD dst_unused:UNUSED_PAD src0_sel:WORD_0 src1_sel:DWORD
	v_mov_b32_e32 v43, 0x7c010000
	s_mov_b32 s42, exec_lo
	v_cmpx_ne_u32_e32 0x7f, v46
	s_cbranch_execz .LBB238_159
; %bb.156:                              ;   in Loop: Header=BB238_12 Depth=1
	v_and_b32_sdwa v43, v1, v20 dst_sel:DWORD dst_unused:UNUSED_PAD src0_sel:WORD_0 src1_sel:DWORD
	v_lshrrev_b32_e32 v45, 3, v46
	s_mov_b32 s43, exec_lo
	v_cmpx_gt_u32_e32 8, v46
; %bb.157:                              ;   in Loop: Header=BB238_12 Depth=1
	v_ffbh_u32_e32 v43, v43
	v_min_u32_e32 v43, 32, v43
	v_subrev_nc_u32_e32 v45, 28, v43
	v_lshlrev_b64 v[46:47], v45, v[1:2]
	v_sub_nc_u32_e32 v45, 29, v43
	v_and_b32_e32 v43, 7, v46
; %bb.158:                              ;   in Loop: Header=BB238_12 Depth=1
	s_or_b32 exec_lo, exec_lo, s43
	v_lshlrev_b32_sdwa v1, v21, v1 dst_sel:DWORD dst_unused:UNUSED_PAD src0_sel:DWORD src1_sel:WORD_0
	v_lshl_add_u32 v45, v45, 10, 0x2000
	v_lshlrev_b32_e32 v43, 23, v43
	v_and_or_b32 v1, 0x8000, v1, v45
	v_lshl_or_b32 v43, v1, 16, v43
.LBB238_159:                            ;   in Loop: Header=BB238_12 Depth=1
	s_or_b32 exec_lo, exec_lo, s42
.LBB238_160:                            ;   in Loop: Header=BB238_12 Depth=1
	s_or_b32 exec_lo, exec_lo, s41
.LBB238_161:                            ;   in Loop: Header=BB238_12 Depth=1
	s_or_b32 exec_lo, exec_lo, s40
	global_load_ushort v46, v[7:8], off offset:520
	v_mov_b32_e32 v45, 0
	s_waitcnt vmcnt(0)
	v_and_b32_e32 v1, 0xffff, v46
	v_cmp_ne_u16_sdwa s2, v46, v2 src0_sel:BYTE_0 src1_sel:DWORD
	v_mov_b32_e32 v46, 0
	s_and_saveexec_b32 s40, s2
	s_cbranch_execz .LBB238_169
; %bb.162:                              ;   in Loop: Header=BB238_12 Depth=1
	v_cmp_ne_u16_sdwa s2, v1, v18 src0_sel:BYTE_0 src1_sel:DWORD
	v_mov_b32_e32 v46, 0x8000
	s_and_saveexec_b32 s41, s2
	s_cbranch_execz .LBB238_168
; %bb.163:                              ;   in Loop: Header=BB238_12 Depth=1
	v_and_b32_e32 v48, 0x7f, v1
	v_mov_b32_e32 v46, 0x7c01
	s_mov_b32 s42, exec_lo
	v_cmpx_ne_u32_e32 0x7f, v48
	s_cbranch_execz .LBB238_167
; %bb.164:                              ;   in Loop: Header=BB238_12 Depth=1
	v_and_b32_e32 v46, 7, v1
	v_lshrrev_b32_e32 v47, 3, v48
	s_mov_b32 s43, exec_lo
	v_cmpx_gt_u32_e32 8, v48
; %bb.165:                              ;   in Loop: Header=BB238_12 Depth=1
	v_ffbh_u32_e32 v46, v46
	v_min_u32_e32 v48, 32, v46
	v_subrev_nc_u32_e32 v46, 28, v48
	v_lshlrev_b64 v[46:47], v46, v[1:2]
	v_sub_nc_u32_e32 v47, 29, v48
	v_and_b32_e32 v46, 7, v46
; %bb.166:                              ;   in Loop: Header=BB238_12 Depth=1
	s_or_b32 exec_lo, exec_lo, s43
	v_lshlrev_b32_e32 v48, 8, v1
	v_lshl_add_u32 v47, v47, 10, 0x2000
	v_lshlrev_b32_e32 v46, 7, v46
	v_and_b32_e32 v48, 0x8000, v48
	v_and_b32_e32 v47, 0xfc00, v47
	v_or3_b32 v46, v48, v47, v46
.LBB238_167:                            ;   in Loop: Header=BB238_12 Depth=1
	s_or_b32 exec_lo, exec_lo, s42
.LBB238_168:                            ;   in Loop: Header=BB238_12 Depth=1
	s_or_b32 exec_lo, exec_lo, s41
.LBB238_169:                            ;   in Loop: Header=BB238_12 Depth=1
	s_or_b32 exec_lo, exec_lo, s40
	v_lshrrev_b16 v1, 8, v1
	s_mov_b32 s40, exec_lo
	v_cmpx_ne_u16_e32 0, v1
	s_cbranch_execz .LBB238_177
; %bb.170:                              ;   in Loop: Header=BB238_12 Depth=1
	v_bfrev_b32_e32 v45, 1
	s_mov_b32 s41, exec_lo
	v_cmpx_ne_u16_e32 0x80, v1
	s_cbranch_execz .LBB238_176
; %bb.171:                              ;   in Loop: Header=BB238_12 Depth=1
	v_and_b32_sdwa v48, v1, v19 dst_sel:DWORD dst_unused:UNUSED_PAD src0_sel:WORD_0 src1_sel:DWORD
	v_mov_b32_e32 v45, 0x7c010000
	s_mov_b32 s42, exec_lo
	v_cmpx_ne_u32_e32 0x7f, v48
	s_cbranch_execz .LBB238_175
; %bb.172:                              ;   in Loop: Header=BB238_12 Depth=1
	v_and_b32_sdwa v45, v1, v20 dst_sel:DWORD dst_unused:UNUSED_PAD src0_sel:WORD_0 src1_sel:DWORD
	v_lshrrev_b32_e32 v47, 3, v48
	s_mov_b32 s43, exec_lo
	v_cmpx_gt_u32_e32 8, v48
; %bb.173:                              ;   in Loop: Header=BB238_12 Depth=1
	v_ffbh_u32_e32 v45, v45
	v_min_u32_e32 v45, 32, v45
	v_subrev_nc_u32_e32 v47, 28, v45
	v_lshlrev_b64 v[48:49], v47, v[1:2]
	v_sub_nc_u32_e32 v47, 29, v45
	v_and_b32_e32 v45, 7, v48
; %bb.174:                              ;   in Loop: Header=BB238_12 Depth=1
	s_or_b32 exec_lo, exec_lo, s43
	v_lshlrev_b32_sdwa v1, v21, v1 dst_sel:DWORD dst_unused:UNUSED_PAD src0_sel:DWORD src1_sel:WORD_0
	v_lshl_add_u32 v47, v47, 10, 0x2000
	v_lshlrev_b32_e32 v45, 23, v45
	v_and_or_b32 v1, 0x8000, v1, v47
	v_lshl_or_b32 v45, v1, 16, v45
.LBB238_175:                            ;   in Loop: Header=BB238_12 Depth=1
	s_or_b32 exec_lo, exec_lo, s42
.LBB238_176:                            ;   in Loop: Header=BB238_12 Depth=1
	s_or_b32 exec_lo, exec_lo, s41
.LBB238_177:                            ;   in Loop: Header=BB238_12 Depth=1
	s_or_b32 exec_lo, exec_lo, s40
	global_load_ushort v48, v[7:8], off offset:640
	v_mov_b32_e32 v47, 0
	s_waitcnt vmcnt(0)
	v_and_b32_e32 v1, 0xffff, v48
	v_cmp_ne_u16_sdwa s2, v48, v2 src0_sel:BYTE_0 src1_sel:DWORD
	v_mov_b32_e32 v48, 0
	s_and_saveexec_b32 s40, s2
	s_cbranch_execz .LBB238_185
; %bb.178:                              ;   in Loop: Header=BB238_12 Depth=1
	v_cmp_ne_u16_sdwa s2, v1, v18 src0_sel:BYTE_0 src1_sel:DWORD
	v_mov_b32_e32 v48, 0x8000
	s_and_saveexec_b32 s41, s2
	s_cbranch_execz .LBB238_184
; %bb.179:                              ;   in Loop: Header=BB238_12 Depth=1
	v_and_b32_e32 v50, 0x7f, v1
	v_mov_b32_e32 v48, 0x7c01
	s_mov_b32 s42, exec_lo
	v_cmpx_ne_u32_e32 0x7f, v50
	s_cbranch_execz .LBB238_183
; %bb.180:                              ;   in Loop: Header=BB238_12 Depth=1
	v_and_b32_e32 v48, 7, v1
	v_lshrrev_b32_e32 v49, 3, v50
	s_mov_b32 s43, exec_lo
	v_cmpx_gt_u32_e32 8, v50
; %bb.181:                              ;   in Loop: Header=BB238_12 Depth=1
	v_ffbh_u32_e32 v48, v48
	v_min_u32_e32 v50, 32, v48
	v_subrev_nc_u32_e32 v48, 28, v50
	v_lshlrev_b64 v[48:49], v48, v[1:2]
	v_sub_nc_u32_e32 v49, 29, v50
	v_and_b32_e32 v48, 7, v48
; %bb.182:                              ;   in Loop: Header=BB238_12 Depth=1
	s_or_b32 exec_lo, exec_lo, s43
	v_lshlrev_b32_e32 v50, 8, v1
	v_lshl_add_u32 v49, v49, 10, 0x2000
	v_lshlrev_b32_e32 v48, 7, v48
	v_and_b32_e32 v50, 0x8000, v50
	v_and_b32_e32 v49, 0xfc00, v49
	v_or3_b32 v48, v50, v49, v48
.LBB238_183:                            ;   in Loop: Header=BB238_12 Depth=1
	s_or_b32 exec_lo, exec_lo, s42
.LBB238_184:                            ;   in Loop: Header=BB238_12 Depth=1
	s_or_b32 exec_lo, exec_lo, s41
.LBB238_185:                            ;   in Loop: Header=BB238_12 Depth=1
	s_or_b32 exec_lo, exec_lo, s40
	v_lshrrev_b16 v1, 8, v1
	s_mov_b32 s40, exec_lo
	v_cmpx_ne_u16_e32 0, v1
	s_cbranch_execz .LBB238_193
; %bb.186:                              ;   in Loop: Header=BB238_12 Depth=1
	v_bfrev_b32_e32 v47, 1
	s_mov_b32 s41, exec_lo
	v_cmpx_ne_u16_e32 0x80, v1
	s_cbranch_execz .LBB238_192
; %bb.187:                              ;   in Loop: Header=BB238_12 Depth=1
	v_and_b32_sdwa v50, v1, v19 dst_sel:DWORD dst_unused:UNUSED_PAD src0_sel:WORD_0 src1_sel:DWORD
	v_mov_b32_e32 v47, 0x7c010000
	s_mov_b32 s42, exec_lo
	v_cmpx_ne_u32_e32 0x7f, v50
	s_cbranch_execz .LBB238_191
; %bb.188:                              ;   in Loop: Header=BB238_12 Depth=1
	v_and_b32_sdwa v47, v1, v20 dst_sel:DWORD dst_unused:UNUSED_PAD src0_sel:WORD_0 src1_sel:DWORD
	v_lshrrev_b32_e32 v49, 3, v50
	s_mov_b32 s43, exec_lo
	v_cmpx_gt_u32_e32 8, v50
; %bb.189:                              ;   in Loop: Header=BB238_12 Depth=1
	v_ffbh_u32_e32 v47, v47
	v_min_u32_e32 v47, 32, v47
	v_subrev_nc_u32_e32 v49, 28, v47
	v_lshlrev_b64 v[50:51], v49, v[1:2]
	v_sub_nc_u32_e32 v49, 29, v47
	v_and_b32_e32 v47, 7, v50
; %bb.190:                              ;   in Loop: Header=BB238_12 Depth=1
	s_or_b32 exec_lo, exec_lo, s43
	v_lshlrev_b32_sdwa v1, v21, v1 dst_sel:DWORD dst_unused:UNUSED_PAD src0_sel:DWORD src1_sel:WORD_0
	v_lshl_add_u32 v49, v49, 10, 0x2000
	v_lshlrev_b32_e32 v47, 23, v47
	v_and_or_b32 v1, 0x8000, v1, v49
	v_lshl_or_b32 v47, v1, 16, v47
.LBB238_191:                            ;   in Loop: Header=BB238_12 Depth=1
	s_or_b32 exec_lo, exec_lo, s42
.LBB238_192:                            ;   in Loop: Header=BB238_12 Depth=1
	s_or_b32 exec_lo, exec_lo, s41
.LBB238_193:                            ;   in Loop: Header=BB238_12 Depth=1
	s_or_b32 exec_lo, exec_lo, s40
	global_load_ushort v50, v[7:8], off offset:648
	v_mov_b32_e32 v49, 0
	s_waitcnt vmcnt(0)
	v_and_b32_e32 v1, 0xffff, v50
	v_cmp_ne_u16_sdwa s2, v50, v2 src0_sel:BYTE_0 src1_sel:DWORD
	v_mov_b32_e32 v50, 0
	s_and_saveexec_b32 s40, s2
	s_cbranch_execz .LBB238_201
; %bb.194:                              ;   in Loop: Header=BB238_12 Depth=1
	v_cmp_ne_u16_sdwa s2, v1, v18 src0_sel:BYTE_0 src1_sel:DWORD
	v_mov_b32_e32 v50, 0x8000
	s_and_saveexec_b32 s41, s2
	s_cbranch_execz .LBB238_200
; %bb.195:                              ;   in Loop: Header=BB238_12 Depth=1
	v_and_b32_e32 v52, 0x7f, v1
	v_mov_b32_e32 v50, 0x7c01
	s_mov_b32 s42, exec_lo
	v_cmpx_ne_u32_e32 0x7f, v52
	s_cbranch_execz .LBB238_199
; %bb.196:                              ;   in Loop: Header=BB238_12 Depth=1
	v_and_b32_e32 v50, 7, v1
	v_lshrrev_b32_e32 v51, 3, v52
	s_mov_b32 s43, exec_lo
	v_cmpx_gt_u32_e32 8, v52
; %bb.197:                              ;   in Loop: Header=BB238_12 Depth=1
	v_ffbh_u32_e32 v50, v50
	v_min_u32_e32 v52, 32, v50
	v_subrev_nc_u32_e32 v50, 28, v52
	v_lshlrev_b64 v[50:51], v50, v[1:2]
	v_sub_nc_u32_e32 v51, 29, v52
	v_and_b32_e32 v50, 7, v50
; %bb.198:                              ;   in Loop: Header=BB238_12 Depth=1
	s_or_b32 exec_lo, exec_lo, s43
	v_lshlrev_b32_e32 v52, 8, v1
	v_lshl_add_u32 v51, v51, 10, 0x2000
	v_lshlrev_b32_e32 v50, 7, v50
	v_and_b32_e32 v52, 0x8000, v52
	v_and_b32_e32 v51, 0xfc00, v51
	v_or3_b32 v50, v52, v51, v50
.LBB238_199:                            ;   in Loop: Header=BB238_12 Depth=1
	s_or_b32 exec_lo, exec_lo, s42
.LBB238_200:                            ;   in Loop: Header=BB238_12 Depth=1
	s_or_b32 exec_lo, exec_lo, s41
.LBB238_201:                            ;   in Loop: Header=BB238_12 Depth=1
	s_or_b32 exec_lo, exec_lo, s40
	v_lshrrev_b16 v1, 8, v1
	s_mov_b32 s40, exec_lo
	v_cmpx_ne_u16_e32 0, v1
	s_cbranch_execz .LBB238_209
; %bb.202:                              ;   in Loop: Header=BB238_12 Depth=1
	v_bfrev_b32_e32 v49, 1
	s_mov_b32 s41, exec_lo
	v_cmpx_ne_u16_e32 0x80, v1
	s_cbranch_execz .LBB238_208
; %bb.203:                              ;   in Loop: Header=BB238_12 Depth=1
	v_and_b32_sdwa v52, v1, v19 dst_sel:DWORD dst_unused:UNUSED_PAD src0_sel:WORD_0 src1_sel:DWORD
	v_mov_b32_e32 v49, 0x7c010000
	s_mov_b32 s42, exec_lo
	v_cmpx_ne_u32_e32 0x7f, v52
	s_cbranch_execz .LBB238_207
; %bb.204:                              ;   in Loop: Header=BB238_12 Depth=1
	v_and_b32_sdwa v49, v1, v20 dst_sel:DWORD dst_unused:UNUSED_PAD src0_sel:WORD_0 src1_sel:DWORD
	v_lshrrev_b32_e32 v51, 3, v52
	s_mov_b32 s43, exec_lo
	v_cmpx_gt_u32_e32 8, v52
; %bb.205:                              ;   in Loop: Header=BB238_12 Depth=1
	v_ffbh_u32_e32 v49, v49
	v_min_u32_e32 v49, 32, v49
	v_subrev_nc_u32_e32 v51, 28, v49
	v_lshlrev_b64 v[52:53], v51, v[1:2]
	v_sub_nc_u32_e32 v51, 29, v49
	v_and_b32_e32 v49, 7, v52
; %bb.206:                              ;   in Loop: Header=BB238_12 Depth=1
	s_or_b32 exec_lo, exec_lo, s43
	v_lshlrev_b32_sdwa v1, v21, v1 dst_sel:DWORD dst_unused:UNUSED_PAD src0_sel:DWORD src1_sel:WORD_0
	v_lshl_add_u32 v51, v51, 10, 0x2000
	v_lshlrev_b32_e32 v49, 23, v49
	v_and_or_b32 v1, 0x8000, v1, v51
	v_lshl_or_b32 v49, v1, 16, v49
.LBB238_207:                            ;   in Loop: Header=BB238_12 Depth=1
	s_or_b32 exec_lo, exec_lo, s42
.LBB238_208:                            ;   in Loop: Header=BB238_12 Depth=1
	s_or_b32 exec_lo, exec_lo, s41
.LBB238_209:                            ;   in Loop: Header=BB238_12 Depth=1
	s_or_b32 exec_lo, exec_lo, s40
	global_load_ushort v52, v[7:8], off offset:768
	v_mov_b32_e32 v51, 0
	s_waitcnt vmcnt(0)
	v_and_b32_e32 v1, 0xffff, v52
	v_cmp_ne_u16_sdwa s2, v52, v2 src0_sel:BYTE_0 src1_sel:DWORD
	v_mov_b32_e32 v52, 0
	s_and_saveexec_b32 s40, s2
	s_cbranch_execz .LBB238_217
; %bb.210:                              ;   in Loop: Header=BB238_12 Depth=1
	v_cmp_ne_u16_sdwa s2, v1, v18 src0_sel:BYTE_0 src1_sel:DWORD
	v_mov_b32_e32 v52, 0x8000
	s_and_saveexec_b32 s41, s2
	s_cbranch_execz .LBB238_216
; %bb.211:                              ;   in Loop: Header=BB238_12 Depth=1
	v_and_b32_e32 v54, 0x7f, v1
	v_mov_b32_e32 v52, 0x7c01
	s_mov_b32 s42, exec_lo
	v_cmpx_ne_u32_e32 0x7f, v54
	s_cbranch_execz .LBB238_215
; %bb.212:                              ;   in Loop: Header=BB238_12 Depth=1
	v_and_b32_e32 v52, 7, v1
	v_lshrrev_b32_e32 v53, 3, v54
	s_mov_b32 s43, exec_lo
	v_cmpx_gt_u32_e32 8, v54
; %bb.213:                              ;   in Loop: Header=BB238_12 Depth=1
	v_ffbh_u32_e32 v52, v52
	v_min_u32_e32 v54, 32, v52
	v_subrev_nc_u32_e32 v52, 28, v54
	v_lshlrev_b64 v[52:53], v52, v[1:2]
	v_sub_nc_u32_e32 v53, 29, v54
	v_and_b32_e32 v52, 7, v52
; %bb.214:                              ;   in Loop: Header=BB238_12 Depth=1
	s_or_b32 exec_lo, exec_lo, s43
	v_lshlrev_b32_e32 v54, 8, v1
	v_lshl_add_u32 v53, v53, 10, 0x2000
	v_lshlrev_b32_e32 v52, 7, v52
	v_and_b32_e32 v54, 0x8000, v54
	v_and_b32_e32 v53, 0xfc00, v53
	v_or3_b32 v52, v54, v53, v52
.LBB238_215:                            ;   in Loop: Header=BB238_12 Depth=1
	s_or_b32 exec_lo, exec_lo, s42
.LBB238_216:                            ;   in Loop: Header=BB238_12 Depth=1
	s_or_b32 exec_lo, exec_lo, s41
.LBB238_217:                            ;   in Loop: Header=BB238_12 Depth=1
	s_or_b32 exec_lo, exec_lo, s40
	v_lshrrev_b16 v1, 8, v1
	s_mov_b32 s40, exec_lo
	v_cmpx_ne_u16_e32 0, v1
	s_cbranch_execz .LBB238_225
; %bb.218:                              ;   in Loop: Header=BB238_12 Depth=1
	v_bfrev_b32_e32 v51, 1
	s_mov_b32 s41, exec_lo
	v_cmpx_ne_u16_e32 0x80, v1
	s_cbranch_execz .LBB238_224
; %bb.219:                              ;   in Loop: Header=BB238_12 Depth=1
	v_and_b32_sdwa v54, v1, v19 dst_sel:DWORD dst_unused:UNUSED_PAD src0_sel:WORD_0 src1_sel:DWORD
	v_mov_b32_e32 v51, 0x7c010000
	s_mov_b32 s42, exec_lo
	v_cmpx_ne_u32_e32 0x7f, v54
	s_cbranch_execz .LBB238_223
; %bb.220:                              ;   in Loop: Header=BB238_12 Depth=1
	v_and_b32_sdwa v51, v1, v20 dst_sel:DWORD dst_unused:UNUSED_PAD src0_sel:WORD_0 src1_sel:DWORD
	v_lshrrev_b32_e32 v53, 3, v54
	s_mov_b32 s43, exec_lo
	v_cmpx_gt_u32_e32 8, v54
; %bb.221:                              ;   in Loop: Header=BB238_12 Depth=1
	v_ffbh_u32_e32 v51, v51
	v_min_u32_e32 v51, 32, v51
	v_subrev_nc_u32_e32 v53, 28, v51
	v_lshlrev_b64 v[54:55], v53, v[1:2]
	v_sub_nc_u32_e32 v53, 29, v51
	v_and_b32_e32 v51, 7, v54
; %bb.222:                              ;   in Loop: Header=BB238_12 Depth=1
	s_or_b32 exec_lo, exec_lo, s43
	v_lshlrev_b32_sdwa v1, v21, v1 dst_sel:DWORD dst_unused:UNUSED_PAD src0_sel:DWORD src1_sel:WORD_0
	v_lshl_add_u32 v53, v53, 10, 0x2000
	v_lshlrev_b32_e32 v51, 23, v51
	v_and_or_b32 v1, 0x8000, v1, v53
	v_lshl_or_b32 v51, v1, 16, v51
.LBB238_223:                            ;   in Loop: Header=BB238_12 Depth=1
	s_or_b32 exec_lo, exec_lo, s42
.LBB238_224:                            ;   in Loop: Header=BB238_12 Depth=1
	s_or_b32 exec_lo, exec_lo, s41
.LBB238_225:                            ;   in Loop: Header=BB238_12 Depth=1
	s_or_b32 exec_lo, exec_lo, s40
	global_load_ushort v8, v[7:8], off offset:776
	v_mov_b32_e32 v7, 0
	s_waitcnt vmcnt(0)
	v_and_b32_e32 v1, 0xffff, v8
	v_cmp_ne_u16_sdwa s2, v8, v2 src0_sel:BYTE_0 src1_sel:DWORD
	v_mov_b32_e32 v8, 0
	s_and_saveexec_b32 s40, s2
	s_cbranch_execz .LBB238_233
; %bb.226:                              ;   in Loop: Header=BB238_12 Depth=1
	v_cmp_ne_u16_sdwa s2, v1, v18 src0_sel:BYTE_0 src1_sel:DWORD
	v_mov_b32_e32 v8, 0x8000
	s_and_saveexec_b32 s41, s2
	s_cbranch_execz .LBB238_232
; %bb.227:                              ;   in Loop: Header=BB238_12 Depth=1
	v_and_b32_e32 v54, 0x7f, v1
	v_mov_b32_e32 v8, 0x7c01
	s_mov_b32 s42, exec_lo
	v_cmpx_ne_u32_e32 0x7f, v54
	s_cbranch_execz .LBB238_231
; %bb.228:                              ;   in Loop: Header=BB238_12 Depth=1
	v_and_b32_e32 v8, 7, v1
	v_lshrrev_b32_e32 v53, 3, v54
	s_mov_b32 s43, exec_lo
	v_cmpx_gt_u32_e32 8, v54
; %bb.229:                              ;   in Loop: Header=BB238_12 Depth=1
	v_ffbh_u32_e32 v8, v8
	v_min_u32_e32 v8, 32, v8
	v_subrev_nc_u32_e32 v53, 28, v8
	v_lshlrev_b64 v[54:55], v53, v[1:2]
	v_sub_nc_u32_e32 v53, 29, v8
	v_and_b32_e32 v8, 7, v54
; %bb.230:                              ;   in Loop: Header=BB238_12 Depth=1
	s_or_b32 exec_lo, exec_lo, s43
	v_lshlrev_b32_e32 v54, 8, v1
	v_lshl_add_u32 v53, v53, 10, 0x2000
	v_lshlrev_b32_e32 v8, 7, v8
	v_and_b32_e32 v54, 0x8000, v54
	v_and_b32_e32 v53, 0xfc00, v53
	v_or3_b32 v8, v54, v53, v8
.LBB238_231:                            ;   in Loop: Header=BB238_12 Depth=1
	s_or_b32 exec_lo, exec_lo, s42
.LBB238_232:                            ;   in Loop: Header=BB238_12 Depth=1
	s_or_b32 exec_lo, exec_lo, s41
.LBB238_233:                            ;   in Loop: Header=BB238_12 Depth=1
	s_or_b32 exec_lo, exec_lo, s40
	v_lshrrev_b16 v1, 8, v1
	s_mov_b32 s40, exec_lo
	v_cmpx_ne_u16_e32 0, v1
	s_cbranch_execz .LBB238_241
; %bb.234:                              ;   in Loop: Header=BB238_12 Depth=1
	v_bfrev_b32_e32 v7, 1
	s_mov_b32 s41, exec_lo
	v_cmpx_ne_u16_e32 0x80, v1
	s_cbranch_execz .LBB238_240
; %bb.235:                              ;   in Loop: Header=BB238_12 Depth=1
	v_and_b32_sdwa v54, v1, v19 dst_sel:DWORD dst_unused:UNUSED_PAD src0_sel:WORD_0 src1_sel:DWORD
	v_mov_b32_e32 v7, 0x7c010000
	s_mov_b32 s42, exec_lo
	v_cmpx_ne_u32_e32 0x7f, v54
	s_cbranch_execz .LBB238_239
; %bb.236:                              ;   in Loop: Header=BB238_12 Depth=1
	v_and_b32_sdwa v7, v1, v20 dst_sel:DWORD dst_unused:UNUSED_PAD src0_sel:WORD_0 src1_sel:DWORD
	v_lshrrev_b32_e32 v53, 3, v54
	s_mov_b32 s43, exec_lo
	v_cmpx_gt_u32_e32 8, v54
; %bb.237:                              ;   in Loop: Header=BB238_12 Depth=1
	v_ffbh_u32_e32 v7, v7
	v_min_u32_e32 v7, 32, v7
	v_subrev_nc_u32_e32 v53, 28, v7
	v_lshlrev_b64 v[54:55], v53, v[1:2]
	v_sub_nc_u32_e32 v53, 29, v7
	v_and_b32_e32 v7, 7, v54
; %bb.238:                              ;   in Loop: Header=BB238_12 Depth=1
	s_or_b32 exec_lo, exec_lo, s43
	v_lshlrev_b32_sdwa v1, v21, v1 dst_sel:DWORD dst_unused:UNUSED_PAD src0_sel:DWORD src1_sel:WORD_0
	v_lshl_add_u32 v53, v53, 10, 0x2000
	v_lshlrev_b32_e32 v7, 23, v7
	v_and_or_b32 v1, 0x8000, v1, v53
	v_lshl_or_b32 v7, v1, 16, v7
.LBB238_239:                            ;   in Loop: Header=BB238_12 Depth=1
	s_or_b32 exec_lo, exec_lo, s42
.LBB238_240:                            ;   in Loop: Header=BB238_12 Depth=1
	s_or_b32 exec_lo, exec_lo, s41
.LBB238_241:                            ;   in Loop: Header=BB238_12 Depth=1
	s_or_b32 exec_lo, exec_lo, s40
	ds_read_b32 v1, v14
	v_or_b32_e32 v28, v27, v28
	v_fma_mixlo_f16 v27, v26, v27, 0 op_sel:[0,1,0] op_sel_hi:[0,1,0]
	v_or_b32_e32 v30, v29, v30
	v_fma_mixlo_f16 v29, v26, v29, 0 op_sel:[0,1,0] op_sel_hi:[0,1,0]
	v_or_b32_e32 v32, v31, v32
	v_fma_mixlo_f16 v28, v26, v28, 0 op_sel_hi:[0,1,0]
	v_and_b32_e32 v55, 0xffff, v27
	v_fma_mixlo_f16 v30, v26, v30, 0 op_sel_hi:[0,1,0]
	v_and_b32_e32 v57, 0xffff, v29
	;; [unrolled: 2-line block ×3, first 2 shown]
	v_fma_mixlo_f16 v31, v26, v31, 0 op_sel:[0,1,0] op_sel_hi:[0,1,0]
	v_and_b32_e32 v56, 0xffff, v30
	v_or_b32_e32 v34, v33, v34
	v_and_b32_e32 v58, 0xffff, v32
	v_fma_mixlo_f16 v33, v26, v33, 0 op_sel:[0,1,0] op_sel_hi:[0,1,0]
	v_and_b32_e32 v59, 0xffff, v31
	v_or_b32_e32 v36, v35, v36
	v_fma_mixlo_f16 v34, v26, v34, 0 op_sel_hi:[0,1,0]
	s_waitcnt lgkmcnt(0)
	v_and_b32_e32 v53, 0xffff, v1
	v_lshrrev_b32_e32 v54, 16, v1
	;;#ASMSTART
	v_cvt_f32_f16 v1, v53;
	;;#ASMEND
	;;#ASMSTART
	v_cvt_f32_f16 v27, v54;
	;;#ASMEND
	;; [unrolled: 3-line block ×4, first 2 shown]
	ds_read_b32 v54, v14 offset:4
	v_and_b32_e32 v60, 0xffff, v34
	v_and_b32_e32 v61, 0xffff, v33
	v_fma_mixlo_f16 v36, v26, v36, 0 op_sel_hi:[0,1,0]
	v_fma_mixlo_f16 v35, v26, v35, 0 op_sel:[0,1,0] op_sel_hi:[0,1,0]
	v_or_b32_e32 v38, v37, v38
	v_fma_mixlo_f16 v37, v26, v37, 0 op_sel:[0,1,0] op_sel_hi:[0,1,0]
	v_or_b32_e32 v40, v39, v40
	v_and_b32_e32 v62, 0xffff, v36
	v_and_b32_e32 v63, 0xffff, v35
	v_fma_mixlo_f16 v38, v26, v38, 0 op_sel_hi:[0,1,0]
	v_and_b32_e32 v65, 0xffff, v37
	v_fma_mixlo_f16 v40, v26, v40, 0 op_sel_hi:[0,1,0]
	v_fma_mixlo_f16 v39, v26, v39, 0 op_sel:[0,1,0] op_sel_hi:[0,1,0]
	v_or_b32_e32 v42, v41, v42
	v_and_b32_e32 v64, 0xffff, v38
	v_fma_mixlo_f16 v41, v26, v41, 0 op_sel:[0,1,0] op_sel_hi:[0,1,0]
	v_and_b32_e32 v66, 0xffff, v40
	v_and_b32_e32 v67, 0xffff, v39
	v_fma_mixlo_f16 v42, v26, v42, 0 op_sel_hi:[0,1,0]
	s_waitcnt lgkmcnt(0)
	v_and_b32_e32 v55, 0xffff, v54
	v_lshrrev_b32_e32 v54, 16, v54
	;;#ASMSTART
	v_cvt_f32_f16 v29, v55;
	;;#ASMEND
	;;#ASMSTART
	v_cvt_f32_f16 v30, v54;
	;;#ASMEND
	;; [unrolled: 3-line block ×4, first 2 shown]
	ds_read_b32 v56, v14 offset:8
	v_and_b32_e32 v68, 0xffff, v42
	v_and_b32_e32 v69, 0xffff, v41
	v_or_b32_e32 v44, v43, v44
	v_fma_mixlo_f16 v43, v26, v43, 0 op_sel:[0,1,0] op_sel_hi:[0,1,0]
	v_or_b32_e32 v46, v45, v46
	v_fma_mixlo_f16 v45, v26, v45, 0 op_sel:[0,1,0] op_sel_hi:[0,1,0]
	v_or_b32_e32 v48, v47, v48
	v_fma_mixlo_f16 v44, v26, v44, 0 op_sel_hi:[0,1,0]
	v_and_b32_e32 v71, 0xffff, v43
	v_fma_mixlo_f16 v46, v26, v46, 0 op_sel_hi:[0,1,0]
	v_and_b32_e32 v73, 0xffff, v45
	;; [unrolled: 2-line block ×3, first 2 shown]
	v_fma_mixlo_f16 v47, v26, v47, 0 op_sel:[0,1,0] op_sel_hi:[0,1,0]
	v_and_b32_e32 v72, 0xffff, v46
	v_mul_f32_e32 v29, v29, v54
	v_mul_f32_e32 v30, v30, v55
	v_and_b32_e32 v74, 0xffff, v48
	v_and_b32_e32 v75, 0xffff, v47
	s_waitcnt lgkmcnt(0)
	v_and_b32_e32 v57, 0xffff, v56
	v_lshrrev_b32_e32 v56, 16, v56
	;;#ASMSTART
	v_cvt_f32_f16 v31, v57;
	;;#ASMEND
	;;#ASMSTART
	v_cvt_f32_f16 v32, v56;
	;;#ASMEND
	;; [unrolled: 3-line block ×4, first 2 shown]
	ds_read_b32 v58, v14 offset:12
	v_fmac_f32_e32 v29, v1, v28
	v_fmac_f32_e32 v30, v27, v53
	v_or_b32_e32 v50, v49, v50
	v_fma_mixlo_f16 v49, v26, v49, 0 op_sel:[0,1,0] op_sel_hi:[0,1,0]
	v_or_b32_e32 v8, v7, v8
	v_fmac_f32_e32 v29, v31, v56
	v_fmac_f32_e32 v30, v32, v57
	v_fma_mixlo_f16 v50, v26, v50, 0 op_sel_hi:[0,1,0]
	v_and_b32_e32 v49, 0xffff, v49
	v_fma_mixlo_f16 v8, v26, v8, 0 op_sel_hi:[0,1,0]
	v_fma_mixlo_f16 v7, v26, v7, 0 op_sel:[0,1,0] op_sel_hi:[0,1,0]
	v_and_b32_e32 v28, 0xffff, v50
	s_waitcnt lgkmcnt(0)
	v_and_b32_e32 v59, 0xffff, v58
	v_lshrrev_b32_e32 v58, 16, v58
	;;#ASMSTART
	v_cvt_f32_f16 v33, v59;
	;;#ASMEND
	;;#ASMSTART
	v_cvt_f32_f16 v34, v58;
	;;#ASMEND
	;; [unrolled: 3-line block ×4, first 2 shown]
	ds_read_b32 v60, v14 offset:16
	v_fmac_f32_e32 v29, v33, v58
	v_fmac_f32_e32 v30, v34, v59
	v_or_b32_e32 v33, v51, v52
	v_fma_mixlo_f16 v34, v26, v51, 0 op_sel:[0,1,0] op_sel_hi:[0,1,0]
	v_fma_mixlo_f16 v33, v26, v33, 0 op_sel_hi:[0,1,0]
	s_waitcnt lgkmcnt(0)
	v_and_b32_e32 v61, 0xffff, v60
	v_lshrrev_b32_e32 v60, 16, v60
	;;#ASMSTART
	v_cvt_f32_f16 v35, v61;
	;;#ASMEND
	;;#ASMSTART
	v_cvt_f32_f16 v36, v60;
	;;#ASMEND
	;; [unrolled: 3-line block ×4, first 2 shown]
	ds_read_b32 v62, v14 offset:20
	v_fmac_f32_e32 v29, v35, v60
	v_fmac_f32_e32 v30, v36, v61
	v_and_b32_e32 v35, 0xffff, v34
	s_waitcnt lgkmcnt(0)
	v_and_b32_e32 v63, 0xffff, v62
	v_lshrrev_b32_e32 v62, 16, v62
	;;#ASMSTART
	v_cvt_f32_f16 v37, v63;
	;;#ASMEND
	;;#ASMSTART
	v_cvt_f32_f16 v38, v62;
	;;#ASMEND
	;; [unrolled: 3-line block ×4, first 2 shown]
	ds_read_b32 v64, v14 offset:24
	v_fmac_f32_e32 v29, v37, v62
	v_fmac_f32_e32 v30, v38, v63
	v_and_b32_e32 v37, 0xffff, v33
	v_and_b32_e32 v38, 0xffff, v7
	s_waitcnt lgkmcnt(0)
	v_and_b32_e32 v65, 0xffff, v64
	v_lshrrev_b32_e32 v64, 16, v64
	;;#ASMSTART
	v_cvt_f32_f16 v39, v65;
	;;#ASMEND
	;;#ASMSTART
	v_cvt_f32_f16 v40, v64;
	;;#ASMEND
	;;#ASMSTART
	v_cvt_f32_f16 v64, v66;
	;;#ASMEND
	;;#ASMSTART
	v_cvt_f32_f16 v65, v67;
	;;#ASMEND
	ds_read_b32 v66, v14 offset:28
	v_fmac_f32_e32 v29, v39, v64
	v_fmac_f32_e32 v30, v40, v65
	s_waitcnt lgkmcnt(0)
	v_and_b32_e32 v67, 0xffff, v66
	v_lshrrev_b32_e32 v66, 16, v66
	;;#ASMSTART
	v_cvt_f32_f16 v41, v67;
	;;#ASMEND
	;;#ASMSTART
	v_cvt_f32_f16 v42, v66;
	;;#ASMEND
	;;#ASMSTART
	v_cvt_f32_f16 v66, v68;
	;;#ASMEND
	;;#ASMSTART
	v_cvt_f32_f16 v67, v69;
	;;#ASMEND
	ds_read_b32 v68, v14 offset:32
	v_fmac_f32_e32 v29, v41, v66
	v_fmac_f32_e32 v30, v42, v67
	;; [unrolled: 18-line block ×6, first 2 shown]
	v_and_b32_e32 v27, 0xffff, v8
	s_waitcnt lgkmcnt(0)
	v_and_b32_e32 v34, 0xffff, v32
	v_lshrrev_b32_e32 v36, 16, v32
	;;#ASMSTART
	v_cvt_f32_f16 v32, v34;
	;;#ASMEND
	;;#ASMSTART
	v_cvt_f32_f16 v33, v36;
	;;#ASMEND
	;; [unrolled: 3-line block ×4, first 2 shown]
	ds_read_b32 v36, v14 offset:52
	v_xor_b32_e32 v37, 2, v10
	v_fmac_f32_e32 v29, v32, v34
	v_fmac_f32_e32 v30, v33, v35
	v_cmp_gt_i32_e64 s2, 32, v37
	v_cndmask_b32_e64 v7, v10, v37, s2
	s_waitcnt lgkmcnt(0)
	v_and_b32_e32 v1, 0xffff, v36
	v_lshrrev_b32_e32 v26, 16, v36
	;;#ASMSTART
	v_cvt_f32_f16 v1, v1;
	;;#ASMEND
	;;#ASMSTART
	v_cvt_f32_f16 v8, v26;
	;;#ASMEND
	;; [unrolled: 3-line block ×4, first 2 shown]
	v_fmac_f32_e32 v29, v1, v26
	v_fmac_f32_e32 v30, v8, v27
	v_lshlrev_b32_e32 v1, 2, v7
	v_xor_b32_e32 v8, 1, v10
	v_add_f32_e32 v7, v29, v30
	v_cmp_gt_i32_e64 s2, 32, v8
	ds_bpermute_b32 v1, v1, v7
	v_cndmask_b32_e64 v8, v10, v8, s2
	s_waitcnt lgkmcnt(0)
	v_add_f32_e32 v1, v7, v1
	v_lshlrev_b32_e32 v7, 2, v8
	ds_bpermute_b32 v7, v7, v1
	s_and_saveexec_b32 s40, vcc_lo
	s_cbranch_execz .LBB238_10
; %bb.242:                              ;   in Loop: Header=BB238_12 Depth=1
	v_add_nc_u32_e32 v8, v22, v16
	s_waitcnt lgkmcnt(0)
	v_add_f32_e32 v1, v1, v7
	v_cvt_f32_i32_e32 v8, v8
	v_mul_f32_e32 v8, s36, v8
	v_cndmask_b32_e64 v7, 0, v8, s1
	v_max_f32_e32 v8, v15, v15
	v_fmac_f32_e32 v7, s35, v1
	v_add_nc_u32_e32 v1, v13, v16
	v_max_f32_e32 v8, v8, v7
	v_cmp_gt_i32_e64 s2, s33, v1
	v_cndmask_b32_e64 v1, 0, v7, s2
	v_cndmask_b32_e64 v15, v15, v8, s2
	ds_write_b32 v23, v1
	s_branch .LBB238_10
.LBB238_243:
	s_or_b32 exec_lo, exec_lo, s38
.LBB238_244:
	s_or_b32 exec_lo, exec_lo, s37
	v_xor_b32_e32 v1, 16, v10
	v_xor_b32_e32 v3, 8, v10
	v_max_f32_e32 v4, v15, v15
	v_and_b32_e32 v13, 31, v0
	v_cmp_gt_i32_e32 vcc_lo, 32, v1
	v_cndmask_b32_e32 v1, v10, v1, vcc_lo
	v_cmp_gt_i32_e32 vcc_lo, 32, v3
	v_lshlrev_b32_e32 v1, 2, v1
	v_cndmask_b32_e32 v3, v10, v3, vcc_lo
	ds_bpermute_b32 v2, v1, v15
	s_waitcnt lgkmcnt(0)
	v_max_f32_e32 v5, v2, v2
	v_lshlrev_b32_e32 v2, 2, v3
	v_max_f32_e32 v3, v4, v5
	v_xor_b32_e32 v5, 4, v10
	ds_bpermute_b32 v4, v2, v3
	v_cmp_gt_i32_e32 vcc_lo, 32, v5
	v_cndmask_b32_e32 v5, v10, v5, vcc_lo
	v_cmp_eq_u32_e32 vcc_lo, 0, v13
	v_lshlrev_b32_e32 v5, 2, v5
	s_waitcnt lgkmcnt(0)
	v_max_f32_e32 v4, v4, v4
	v_max_f32_e32 v4, v3, v4
	v_lshlrev_b32_e32 v3, 2, v11
	ds_bpermute_b32 v6, v5, v4
	s_and_saveexec_b32 s1, vcc_lo
	s_cbranch_execz .LBB238_246
; %bb.245:
	s_waitcnt lgkmcnt(0)
	v_max_f32_e32 v6, v6, v6
	v_max_f32_e32 v4, v4, v4
	;; [unrolled: 1-line block ×3, first 2 shown]
	ds_write_b32 v3, v4 offset:224
.LBB238_246:
	s_or_b32 exec_lo, exec_lo, s1
	v_cmp_gt_u32_e64 s1, 4, v13
	v_mov_b32_e32 v7, 0xff7fffff
	v_lshlrev_b32_e32 v4, 2, v13
	s_waitcnt lgkmcnt(0)
	s_barrier
	buffer_gl0_inv
	s_and_saveexec_b32 s2, s1
; %bb.247:
	ds_read_b32 v7, v4 offset:224
; %bb.248:
	s_or_b32 exec_lo, exec_lo, s2
	v_xor_b32_e32 v6, 2, v10
	v_xor_b32_e32 v14, 1, v10
	s_waitcnt lgkmcnt(0)
	v_max_f32_e32 v15, v7, v7
	v_cmp_gt_i32_e64 s2, 32, v6
	v_cndmask_b32_e64 v6, v10, v6, s2
	v_cmp_gt_i32_e64 s2, 32, v14
	v_lshlrev_b32_e32 v6, 2, v6
	ds_bpermute_b32 v8, v6, v7
	v_cndmask_b32_e64 v7, v10, v14, s2
	s_lshl_b32 s2, s20, 3
	v_lshl_add_u32 v14, v0, 2, 0x100
	s_min_i32 s4, s2, s33
	v_lshlrev_b32_e32 v7, 2, v7
	v_cmp_gt_i32_e64 s2, s4, v0
	s_waitcnt lgkmcnt(0)
	v_max_f32_e32 v8, v8, v8
	v_max_f32_e32 v8, v15, v8
	ds_bpermute_b32 v10, v7, v8
	s_waitcnt lgkmcnt(0)
	v_max_f32_e32 v10, v10, v10
	v_max_f32_e32 v10, v8, v10
	v_mov_b32_e32 v8, 0
	ds_bpermute_b32 v10, v8, v10
	s_and_saveexec_b32 s5, s2
	s_cbranch_execz .LBB238_252
; %bb.249:
	v_lshl_add_u32 v15, v0, 2, 0x100
	v_mov_b32_e32 v8, 0
	v_mov_b32_e32 v16, v0
	s_mov_b32 s12, 0
	.p2align	6
.LBB238_250:                            ; =>This Inner Loop Header: Depth=1
	ds_read_b32 v17, v15
	v_add_nc_u32_e32 v16, 0x80, v16
	v_cmp_le_i32_e64 s3, s4, v16
	s_or_b32 s12, s3, s12
	s_waitcnt lgkmcnt(0)
	v_sub_f32_e32 v17, v17, v10
	v_mul_f32_e32 v17, 0x3fb8aa3b, v17
	v_exp_f32_e32 v17, v17
	ds_write_b32 v15, v17
	v_add_f32_e32 v8, v8, v17
	v_add_nc_u32_e32 v15, 0x200, v15
	s_andn2_b32 exec_lo, exec_lo, s12
	s_cbranch_execnz .LBB238_250
; %bb.251:
	s_or_b32 exec_lo, exec_lo, s12
.LBB238_252:
	s_or_b32 exec_lo, exec_lo, s5
	ds_bpermute_b32 v1, v1, v8
	s_waitcnt lgkmcnt(0)
	v_add_f32_e32 v1, v8, v1
	ds_bpermute_b32 v2, v2, v1
	s_waitcnt lgkmcnt(0)
	v_add_f32_e32 v1, v1, v2
	;; [unrolled: 3-line block ×5, first 2 shown]
	s_and_saveexec_b32 s3, vcc_lo
; %bb.253:
	ds_write_b32 v3, v1 offset:240
; %bb.254:
	s_or_b32 exec_lo, exec_lo, s3
	s_waitcnt lgkmcnt(0)
	s_barrier
	buffer_gl0_inv
	s_and_saveexec_b32 s3, s1
; %bb.255:
	ds_read_b32 v1, v4 offset:240
; %bb.256:
	s_or_b32 exec_lo, exec_lo, s3
	s_waitcnt lgkmcnt(0)
	ds_bpermute_b32 v2, v6, v1
	s_waitcnt lgkmcnt(0)
	v_add_f32_e32 v1, v1, v2
	ds_bpermute_b32 v2, v7, v1
	s_waitcnt lgkmcnt(0)
	v_add_f32_e32 v1, v1, v2
	v_mov_b32_e32 v2, 0
	ds_bpermute_b32 v1, v2, v1
	s_and_saveexec_b32 s1, s2
	s_cbranch_execz .LBB238_259
; %bb.257:
	s_waitcnt lgkmcnt(0)
	v_add_f32_e32 v2, 0x358637bd, v1
	s_mov_b32 s2, 0
	v_div_scale_f32 v1, null, v2, v2, 1.0
	v_div_scale_f32 v5, vcc_lo, 1.0, v2, 1.0
	v_rcp_f32_e32 v3, v1
	v_fma_f32 v4, -v1, v3, 1.0
	v_fmac_f32_e32 v3, v4, v3
	v_mul_f32_e32 v4, v5, v3
	v_fma_f32 v6, -v1, v4, v5
	v_fmac_f32_e32 v4, v6, v3
	v_fma_f32 v1, -v1, v4, v5
	v_div_fmas_f32 v3, v1, v3, v4
	v_mov_b32_e32 v1, v14
	v_div_fixup_f32 v2, v3, v2, 1.0
	v_mov_b32_e32 v3, v0
.LBB238_258:                            ; =>This Inner Loop Header: Depth=1
	ds_read_b32 v4, v1
	v_add_nc_u32_e32 v3, 0x80, v3
	v_cmp_le_i32_e32 vcc_lo, s4, v3
	s_or_b32 s2, vcc_lo, s2
	s_waitcnt lgkmcnt(0)
	v_mul_f32_e32 v4, v2, v4
	ds_write_b32 v1, v4
	v_add_nc_u32_e32 v1, 0x200, v1
	s_andn2_b32 exec_lo, exec_lo, s2
	s_cbranch_execnz .LBB238_258
.LBB238_259:
	s_or_b32 exec_lo, exec_lo, s1
	v_mov_b32_e32 v18, 0
	v_mov_b32_e32 v17, 0
	;; [unrolled: 1-line block ×4, first 2 shown]
	s_waitcnt lgkmcnt(0)
	s_barrier
	buffer_gl0_inv
	s_and_saveexec_b32 s12, s0
	s_cbranch_execz .LBB238_531
; %bb.260:
	s_sub_i32 s13, s34, s21
	s_ashr_i32 s0, s18, 31
	s_add_u32 s2, s30, s18
	s_addc_u32 s3, s31, s0
	s_abs_i32 s18, s22
	v_or_b32_e32 v3, 0x60, v13
	v_cvt_f32_u32_e32 v1, s18
	s_sub_i32 s0, 0, s18
	v_and_b32_e32 v4, 0x7c, v9
	s_add_i32 s21, s20, -1
	v_cmp_gt_u32_e32 vcc_lo, 0x70, v3
	v_rcp_iflag_f32_e32 v1, v1
	v_lshlrev_b32_e32 v25, 3, v3
	v_lshlrev_b32_e32 v19, 3, v13
	v_mov_b32_e32 v2, 0
	v_lshl_add_u32 v20, v11, 5, 0x100
	v_mov_b32_e32 v21, 0x80
	v_mov_b32_e32 v22, 0x7f
	;; [unrolled: 1-line block ×5, first 2 shown]
	v_mul_f32_e32 v1, 0x4f7ffffe, v1
	v_mov_b32_e32 v16, 0
	v_mov_b32_e32 v17, 0
	;; [unrolled: 1-line block ×4, first 2 shown]
	v_cvt_u32_f32_e32 v1, v1
	s_mov_b32 s4, -1
	s_mov_b32 s5, 0xffffff
	s_mov_b32 s22, 0
	v_mul_lo_u32 v5, s0, v1
	s_lshl_b64 s[0:1], s[28:29], 2
	s_add_u32 s0, s26, s0
	s_addc_u32 s1, s27, s1
	v_add_co_u32 v3, s0, s0, v4
	v_add_co_ci_u32_e64 v4, null, s1, 0, s0
	v_mul_hi_u32 v5, v1, v5
	v_add_nc_u32_e32 v26, v1, v5
	s_branch .LBB238_264
.LBB238_261:                            ;   in Loop: Header=BB238_264 Depth=1
	s_or_b32 exec_lo, exec_lo, s1
	;;#ASMSTART
	v_pk_mul_f16 v1, v33, v41;

	;;#ASMEND
	;;#ASMSTART
	v_pk_mul_f16 v5, v32, v40;

	;;#ASMEND
	;; [unrolled: 4-line block ×4, first 2 shown]
	;;#ASMSTART
	v_pk_add_f16 v1, v1, v5;

	;;#ASMEND
	;;#ASMSTART
	v_pk_add_f16 v1, v1, v6;

	;;#ASMEND
	;; [unrolled: 4-line block ×3, first 2 shown]
	v_and_b32_e32 v5, 0xffff, v1
	v_lshrrev_b32_e32 v6, 16, v1
	;;#ASMSTART
	v_cvt_f32_f16 v1, v5;
	;;#ASMEND
	;;#ASMSTART
	v_cvt_f32_f16 v5, v6;
	;;#ASMEND
	v_add_f32_e32 v1, v1, v5
	v_add_f32_e32 v15, v15, v1
.LBB238_262:                            ;   in Loop: Header=BB238_264 Depth=1
	s_or_b32 exec_lo, exec_lo, s27
	v_add_f32_e32 v1, v9, v10
	v_add_f32_e32 v5, v28, v29
	v_add_f32_e32 v6, v7, v8
	v_add_f32_e32 v17, v17, v1
	v_add_f32_e32 v18, v18, v5
	v_add_f32_e32 v16, v16, v6
.LBB238_263:                            ;   in Loop: Header=BB238_264 Depth=1
	s_or_b32 exec_lo, exec_lo, s26
	v_add_nc_u32_e32 v27, 4, v27
	v_add_co_u32 v3, s1, v3, 16
	v_add_co_ci_u32_e64 v4, null, 0, v4, s1
	v_cmp_le_i32_e64 s0, s20, v27
	v_add_nc_u32_e32 v12, 32, v12
	v_add_nc_u32_e32 v20, 0x80, v20
	s_or_b32 s22, s0, s22
	s_andn2_b32 exec_lo, exec_lo, s22
	s_cbranch_execz .LBB238_530
.LBB238_264:                            ; =>This Inner Loop Header: Depth=1
	v_mul_hi_u32 v1, v12, s19
	v_mul_lo_u32 v5, v1, s16
	v_add_nc_u32_e32 v6, 1, v1
	v_sub_nc_u32_e32 v5, v12, v5
	v_subrev_nc_u32_e32 v7, s16, v5
	v_cmp_le_u32_e64 s0, s16, v5
	v_cndmask_b32_e64 v1, v1, v6, s0
	v_cndmask_b32_e64 v5, v5, v7, s0
	v_add_nc_u32_e32 v6, 1, v1
	v_cmp_le_u32_e64 s0, s16, v5
	v_cndmask_b32_e64 v1, v1, v6, s0
	v_xor_b32_e32 v1, s23, v1
	v_subrev_nc_u32_e32 v1, s23, v1
	v_add_nc_u32_e32 v5, s25, v1
	v_cmp_lt_i32_e64 s1, s13, v1
	v_sub_nc_u32_e32 v6, 0, v5
	v_max_i32_e32 v6, v5, v6
	v_ashrrev_i32_e32 v5, 31, v5
	v_mul_hi_u32 v7, v6, v26
	v_mul_lo_u32 v7, v7, s18
	v_sub_nc_u32_e32 v6, v6, v7
	v_subrev_nc_u32_e32 v7, s18, v6
	v_cmp_le_u32_e64 s0, s18, v6
	v_cndmask_b32_e64 v6, v6, v7, s0
	v_subrev_nc_u32_e32 v7, s18, v6
	v_cmp_le_u32_e64 s0, s18, v6
	v_cndmask_b32_e64 v6, v6, v7, s0
	v_xor_b32_e32 v6, v6, v5
	v_sub_nc_u32_e32 v5, v6, v5
	v_cmp_eq_u32_e64 s0, 0, v5
	s_or_b32 s0, s0, s1
	s_and_saveexec_b32 s26, s0
	s_cbranch_execz .LBB238_263
; %bb.265:                              ;   in Loop: Header=BB238_264 Depth=1
	global_load_dword v1, v[3:4], off
	ds_read2_b64 v[7:10], v20 offset1:1
	ds_read2_b64 v[33:36], v20 offset0:2 offset1:3
	v_mov_b32_e32 v37, 0
	v_mov_b32_e32 v38, 0
	s_waitcnt lgkmcnt(1)
	;;#ASMSTART
	v_cvt_f16_f32 v31, v7;

	;;#ASMEND
	;;#ASMSTART
	v_cvt_f16_f32 v28, v8;

	;;#ASMEND
	;; [unrolled: 4-line block ×4, first 2 shown]
	s_waitcnt lgkmcnt(0)
	;;#ASMSTART
	v_cvt_f16_f32 v33, v33;

	;;#ASMEND
	;;#ASMSTART
	v_cvt_f16_f32 v30, v34;

	;;#ASMEND
	;; [unrolled: 4-line block ×4, first 2 shown]
	global_load_dword v36, v37, s[14:15]
	s_waitcnt vmcnt(1)
	v_mad_i64_i32 v[5:6], null, v1, s17, s[2:3]
	v_add_co_u32 v7, s0, v5, v19
	v_add_co_ci_u32_e64 v8, null, 0, v6, s0
	global_load_dwordx2 v[9:10], v[7:8], off
	s_waitcnt vmcnt(0)
	v_cmp_ne_u16_sdwa s0, v9, v2 src0_sel:BYTE_0 src1_sel:DWORD
	s_and_saveexec_b32 s1, s0
	s_cbranch_execz .LBB238_273
; %bb.266:                              ;   in Loop: Header=BB238_264 Depth=1
	v_cmp_ne_u16_sdwa s0, v9, v21 src0_sel:BYTE_0 src1_sel:DWORD
	v_mov_b32_e32 v38, 0x8000
	s_and_saveexec_b32 s27, s0
	s_cbranch_execz .LBB238_272
; %bb.267:                              ;   in Loop: Header=BB238_264 Depth=1
	v_and_b32_e32 v39, 0x7f, v9
	v_mov_b32_e32 v38, 0x7c01
	s_mov_b32 s28, exec_lo
	v_cmpx_ne_u32_e32 0x7f, v39
	s_cbranch_execz .LBB238_271
; %bb.268:                              ;   in Loop: Header=BB238_264 Depth=1
	v_and_b32_e32 v1, 7, v9
	v_lshrrev_b32_e32 v38, 3, v39
	s_mov_b32 s29, exec_lo
	v_cmpx_gt_u32_e32 8, v39
; %bb.269:                              ;   in Loop: Header=BB238_264 Depth=1
	v_ffbh_u32_e32 v1, v1
	v_min_u32_e32 v1, 32, v1
	v_subrev_nc_u32_e32 v38, 28, v1
	v_lshlrev_b64 v[39:40], v38, v[9:10]
	v_sub_nc_u32_e32 v38, 29, v1
	v_and_b32_e32 v1, 7, v39
; %bb.270:                              ;   in Loop: Header=BB238_264 Depth=1
	s_or_b32 exec_lo, exec_lo, s29
	v_lshlrev_b32_e32 v39, 8, v9
	v_lshl_add_u32 v38, v38, 10, 0x2000
	v_lshlrev_b32_e32 v1, 7, v1
	v_and_b32_e32 v39, 0x8000, v39
	v_and_b32_e32 v38, 0xfc00, v38
	v_or3_b32 v38, v39, v38, v1
.LBB238_271:                            ;   in Loop: Header=BB238_264 Depth=1
	s_or_b32 exec_lo, exec_lo, s28
.LBB238_272:                            ;   in Loop: Header=BB238_264 Depth=1
	s_or_b32 exec_lo, exec_lo, s27
.LBB238_273:                            ;   in Loop: Header=BB238_264 Depth=1
	s_or_b32 exec_lo, exec_lo, s1
	v_lshrrev_b16 v1, 8, v9
	s_mov_b32 s1, exec_lo
	v_cmpx_ne_u16_e32 0, v1
	s_cbranch_execz .LBB238_281
; %bb.274:                              ;   in Loop: Header=BB238_264 Depth=1
	v_bfrev_b32_e32 v37, 1
	s_mov_b32 s27, exec_lo
	v_cmpx_ne_u16_e32 0x80, v1
	s_cbranch_execz .LBB238_280
; %bb.275:                              ;   in Loop: Header=BB238_264 Depth=1
	v_and_b32_sdwa v40, v1, v22 dst_sel:DWORD dst_unused:UNUSED_PAD src0_sel:WORD_0 src1_sel:DWORD
	v_mov_b32_e32 v37, 0x7c010000
	s_mov_b32 s28, exec_lo
	v_cmpx_ne_u32_e32 0x7f, v40
	s_cbranch_execz .LBB238_279
; %bb.276:                              ;   in Loop: Header=BB238_264 Depth=1
	v_and_b32_sdwa v37, v1, v23 dst_sel:DWORD dst_unused:UNUSED_PAD src0_sel:WORD_0 src1_sel:DWORD
	v_lshrrev_b32_e32 v39, 3, v40
	s_mov_b32 s29, exec_lo
	v_cmpx_gt_u32_e32 8, v40
; %bb.277:                              ;   in Loop: Header=BB238_264 Depth=1
	v_ffbh_u32_e32 v37, v37
	v_min_u32_e32 v37, 32, v37
	v_subrev_nc_u32_e32 v39, 28, v37
	v_lshlrev_b64 v[40:41], v39, v[1:2]
	v_sub_nc_u32_e32 v39, 29, v37
	v_and_b32_e32 v37, 7, v40
; %bb.278:                              ;   in Loop: Header=BB238_264 Depth=1
	s_or_b32 exec_lo, exec_lo, s29
	v_lshlrev_b32_sdwa v1, v24, v1 dst_sel:DWORD dst_unused:UNUSED_PAD src0_sel:DWORD src1_sel:WORD_0
	v_lshl_add_u32 v39, v39, 10, 0x2000
	v_lshlrev_b32_e32 v37, 23, v37
	v_and_or_b32 v1, 0x8000, v1, v39
	v_lshl_or_b32 v37, v1, 16, v37
.LBB238_279:                            ;   in Loop: Header=BB238_264 Depth=1
	s_or_b32 exec_lo, exec_lo, s28
.LBB238_280:                            ;   in Loop: Header=BB238_264 Depth=1
	s_or_b32 exec_lo, exec_lo, s27
.LBB238_281:                            ;   in Loop: Header=BB238_264 Depth=1
	s_or_b32 exec_lo, exec_lo, s1
	v_lshrrev_b32_e32 v1, 16, v9
	v_mov_b32_e32 v39, 0
	v_mov_b32_e32 v40, 0
	v_cmp_ne_u16_sdwa s0, v1, v2 src0_sel:BYTE_0 src1_sel:DWORD
	s_and_saveexec_b32 s1, s0
	s_cbranch_execz .LBB238_289
; %bb.282:                              ;   in Loop: Header=BB238_264 Depth=1
	v_cmp_ne_u16_sdwa s0, v1, v21 src0_sel:BYTE_0 src1_sel:DWORD
	v_mov_b32_e32 v40, 0x8000
	s_and_saveexec_b32 s27, s0
	s_cbranch_execz .LBB238_288
; %bb.283:                              ;   in Loop: Header=BB238_264 Depth=1
	v_bfe_u32 v42, v9, 16, 7
	v_mov_b32_e32 v40, 0x7c01
	s_mov_b32 s28, exec_lo
	v_cmpx_ne_u32_e32 0x7f, v42
	s_cbranch_execz .LBB238_287
; %bb.284:                              ;   in Loop: Header=BB238_264 Depth=1
	v_and_b32_e32 v40, 7, v1
	v_lshrrev_b32_e32 v41, 3, v42
	s_mov_b32 s29, exec_lo
	v_cmpx_gt_u32_e32 8, v42
; %bb.285:                              ;   in Loop: Header=BB238_264 Depth=1
	v_ffbh_u32_e32 v40, v40
	v_min_u32_e32 v42, 32, v40
	v_subrev_nc_u32_e32 v40, 28, v42
	v_lshlrev_b64 v[40:41], v40, v[1:2]
	v_sub_nc_u32_e32 v41, 29, v42
	v_and_b32_e32 v40, 7, v40
; %bb.286:                              ;   in Loop: Header=BB238_264 Depth=1
	s_or_b32 exec_lo, exec_lo, s29
	v_lshlrev_b32_e32 v1, 8, v1
	v_lshl_add_u32 v41, v41, 10, 0x2000
	v_lshlrev_b32_e32 v40, 7, v40
	v_and_b32_e32 v1, 0x8000, v1
	v_and_b32_e32 v41, 0xfc00, v41
	v_or3_b32 v40, v1, v41, v40
.LBB238_287:                            ;   in Loop: Header=BB238_264 Depth=1
	s_or_b32 exec_lo, exec_lo, s28
.LBB238_288:                            ;   in Loop: Header=BB238_264 Depth=1
	s_or_b32 exec_lo, exec_lo, s27
.LBB238_289:                            ;   in Loop: Header=BB238_264 Depth=1
	s_or_b32 exec_lo, exec_lo, s1
	s_mov_b32 s1, exec_lo
	v_cmpx_lt_u32_e32 0xffffff, v9
	s_cbranch_execz .LBB238_297
; %bb.290:                              ;   in Loop: Header=BB238_264 Depth=1
	v_lshrrev_b32_e32 v1, 24, v9
	v_bfrev_b32_e32 v39, 1
	s_mov_b32 s27, exec_lo
	v_cmpx_ne_u32_e32 0x80, v1
	s_cbranch_execz .LBB238_296
; %bb.291:                              ;   in Loop: Header=BB238_264 Depth=1
	v_and_b32_e32 v42, 0x7f, v1
	v_mov_b32_e32 v39, 0x7c010000
	s_mov_b32 s28, exec_lo
	v_cmpx_ne_u32_e32 0x7f, v42
	s_cbranch_execz .LBB238_295
; %bb.292:                              ;   in Loop: Header=BB238_264 Depth=1
	v_and_b32_e32 v39, 7, v1
	v_lshrrev_b32_e32 v41, 3, v42
	s_mov_b32 s29, exec_lo
	v_cmpx_gt_u32_e32 8, v42
; %bb.293:                              ;   in Loop: Header=BB238_264 Depth=1
	v_ffbh_u32_e32 v39, v39
	v_min_u32_e32 v39, 32, v39
	v_subrev_nc_u32_e32 v41, 28, v39
	v_lshlrev_b64 v[42:43], v41, v[1:2]
	v_sub_nc_u32_e32 v41, 29, v39
	v_and_b32_e32 v39, 7, v42
; %bb.294:                              ;   in Loop: Header=BB238_264 Depth=1
	s_or_b32 exec_lo, exec_lo, s29
	v_lshlrev_b32_e32 v1, 8, v1
	v_lshl_add_u32 v41, v41, 10, 0x2000
	v_lshlrev_b32_e32 v39, 23, v39
	v_and_or_b32 v1, 0x8000, v1, v41
	v_lshl_or_b32 v39, v1, 16, v39
.LBB238_295:                            ;   in Loop: Header=BB238_264 Depth=1
	s_or_b32 exec_lo, exec_lo, s28
.LBB238_296:                            ;   in Loop: Header=BB238_264 Depth=1
	s_or_b32 exec_lo, exec_lo, s27
.LBB238_297:                            ;   in Loop: Header=BB238_264 Depth=1
	s_or_b32 exec_lo, exec_lo, s1
	v_mov_b32_e32 v1, v10
	v_cmp_ne_u16_sdwa s0, v10, v2 src0_sel:BYTE_0 src1_sel:DWORD
	v_mov_b32_e32 v41, 0
	v_mov_b32_e32 v42, 0
	s_and_saveexec_b32 s1, s0
	s_cbranch_execz .LBB238_305
; %bb.298:                              ;   in Loop: Header=BB238_264 Depth=1
	v_cmp_ne_u16_sdwa s0, v10, v21 src0_sel:BYTE_0 src1_sel:DWORD
	v_mov_b32_e32 v42, 0x8000
	s_and_saveexec_b32 s27, s0
	s_cbranch_execz .LBB238_304
; %bb.299:                              ;   in Loop: Header=BB238_264 Depth=1
	v_and_b32_e32 v44, 0x7f, v10
	v_mov_b32_e32 v42, 0x7c01
	s_mov_b32 s28, exec_lo
	v_cmpx_ne_u32_e32 0x7f, v44
	s_cbranch_execz .LBB238_303
; %bb.300:                              ;   in Loop: Header=BB238_264 Depth=1
	v_and_b32_e32 v42, 7, v10
	v_lshrrev_b32_e32 v43, 3, v44
	s_mov_b32 s29, exec_lo
	v_cmpx_gt_u32_e32 8, v44
; %bb.301:                              ;   in Loop: Header=BB238_264 Depth=1
	v_ffbh_u32_e32 v42, v42
	v_min_u32_e32 v44, 32, v42
	v_subrev_nc_u32_e32 v42, 28, v44
	v_lshlrev_b64 v[42:43], v42, v[1:2]
	v_sub_nc_u32_e32 v43, 29, v44
	v_and_b32_e32 v42, 7, v42
; %bb.302:                              ;   in Loop: Header=BB238_264 Depth=1
	s_or_b32 exec_lo, exec_lo, s29
	v_lshlrev_b32_e32 v44, 8, v10
	v_lshl_add_u32 v43, v43, 10, 0x2000
	v_lshlrev_b32_e32 v42, 7, v42
	v_and_b32_e32 v44, 0x8000, v44
	v_and_b32_e32 v43, 0xfc00, v43
	v_or3_b32 v42, v44, v43, v42
.LBB238_303:                            ;   in Loop: Header=BB238_264 Depth=1
	s_or_b32 exec_lo, exec_lo, s28
.LBB238_304:                            ;   in Loop: Header=BB238_264 Depth=1
	s_or_b32 exec_lo, exec_lo, s27
.LBB238_305:                            ;   in Loop: Header=BB238_264 Depth=1
	s_or_b32 exec_lo, exec_lo, s1
	v_lshrrev_b16 v1, 8, v1
	v_mov_b32_e32 v43, 0
	s_mov_b32 s1, exec_lo
	v_cmpx_ne_u16_e32 0, v1
	s_cbranch_execz .LBB238_313
; %bb.306:                              ;   in Loop: Header=BB238_264 Depth=1
	v_bfrev_b32_e32 v43, 1
	s_mov_b32 s27, exec_lo
	v_cmpx_ne_u16_e32 0x80, v1
	s_cbranch_execz .LBB238_312
; %bb.307:                              ;   in Loop: Header=BB238_264 Depth=1
	v_and_b32_sdwa v45, v1, v22 dst_sel:DWORD dst_unused:UNUSED_PAD src0_sel:WORD_0 src1_sel:DWORD
	v_mov_b32_e32 v43, 0x7c010000
	s_mov_b32 s28, exec_lo
	v_cmpx_ne_u32_e32 0x7f, v45
	s_cbranch_execz .LBB238_311
; %bb.308:                              ;   in Loop: Header=BB238_264 Depth=1
	v_and_b32_sdwa v43, v1, v23 dst_sel:DWORD dst_unused:UNUSED_PAD src0_sel:WORD_0 src1_sel:DWORD
	v_lshrrev_b32_e32 v44, 3, v45
	s_mov_b32 s29, exec_lo
	v_cmpx_gt_u32_e32 8, v45
; %bb.309:                              ;   in Loop: Header=BB238_264 Depth=1
	v_ffbh_u32_e32 v43, v43
	v_min_u32_e32 v45, 32, v43
	v_subrev_nc_u32_e32 v43, 28, v45
	v_lshlrev_b64 v[43:44], v43, v[1:2]
	v_sub_nc_u32_e32 v44, 29, v45
	v_and_b32_e32 v43, 7, v43
; %bb.310:                              ;   in Loop: Header=BB238_264 Depth=1
	s_or_b32 exec_lo, exec_lo, s29
	v_lshlrev_b32_sdwa v1, v24, v1 dst_sel:DWORD dst_unused:UNUSED_PAD src0_sel:DWORD src1_sel:WORD_0
	v_lshl_add_u32 v44, v44, 10, 0x2000
	v_lshlrev_b32_e32 v43, 23, v43
	v_and_or_b32 v1, 0x8000, v1, v44
	v_lshl_or_b32 v43, v1, 16, v43
.LBB238_311:                            ;   in Loop: Header=BB238_264 Depth=1
	s_or_b32 exec_lo, exec_lo, s28
.LBB238_312:                            ;   in Loop: Header=BB238_264 Depth=1
	s_or_b32 exec_lo, exec_lo, s27
.LBB238_313:                            ;   in Loop: Header=BB238_264 Depth=1
	s_or_b32 exec_lo, exec_lo, s1
	v_lshrrev_b32_e32 v1, 16, v10
	v_cmp_ne_u16_sdwa s0, v1, v2 src0_sel:BYTE_0 src1_sel:DWORD
	s_and_saveexec_b32 s1, s0
	s_cbranch_execz .LBB238_321
; %bb.314:                              ;   in Loop: Header=BB238_264 Depth=1
	v_cmp_ne_u16_sdwa s0, v1, v21 src0_sel:BYTE_0 src1_sel:DWORD
	v_mov_b32_e32 v41, 0x8000
	s_and_saveexec_b32 s27, s0
	s_cbranch_execz .LBB238_320
; %bb.315:                              ;   in Loop: Header=BB238_264 Depth=1
	v_bfe_u32 v45, v10, 16, 7
	v_mov_b32_e32 v41, 0x7c01
	s_mov_b32 s28, exec_lo
	v_cmpx_ne_u32_e32 0x7f, v45
	s_cbranch_execz .LBB238_319
; %bb.316:                              ;   in Loop: Header=BB238_264 Depth=1
	v_and_b32_e32 v41, 7, v1
	v_lshrrev_b32_e32 v44, 3, v45
	s_mov_b32 s29, exec_lo
	v_cmpx_gt_u32_e32 8, v45
; %bb.317:                              ;   in Loop: Header=BB238_264 Depth=1
	v_ffbh_u32_e32 v41, v41
	v_min_u32_e32 v41, 32, v41
	v_subrev_nc_u32_e32 v44, 28, v41
	v_lshlrev_b64 v[45:46], v44, v[1:2]
	v_sub_nc_u32_e32 v44, 29, v41
	v_and_b32_e32 v41, 7, v45
; %bb.318:                              ;   in Loop: Header=BB238_264 Depth=1
	s_or_b32 exec_lo, exec_lo, s29
	v_lshlrev_b32_e32 v1, 8, v1
	v_lshl_add_u32 v44, v44, 10, 0x2000
	v_lshlrev_b32_e32 v41, 7, v41
	v_and_b32_e32 v1, 0x8000, v1
	v_and_b32_e32 v44, 0xfc00, v44
	v_or3_b32 v41, v1, v44, v41
.LBB238_319:                            ;   in Loop: Header=BB238_264 Depth=1
	s_or_b32 exec_lo, exec_lo, s28
.LBB238_320:                            ;   in Loop: Header=BB238_264 Depth=1
	s_or_b32 exec_lo, exec_lo, s27
.LBB238_321:                            ;   in Loop: Header=BB238_264 Depth=1
	s_or_b32 exec_lo, exec_lo, s1
	v_cmp_lt_u64_e64 s0, s[4:5], v[9:10]
	v_mov_b32_e32 v9, 0
	s_and_saveexec_b32 s1, s0
	s_cbranch_execz .LBB238_329
; %bb.322:                              ;   in Loop: Header=BB238_264 Depth=1
	v_lshrrev_b32_e32 v1, 24, v10
	v_bfrev_b32_e32 v9, 1
	s_mov_b32 s27, exec_lo
	v_cmpx_ne_u32_e32 0x80, v1
	s_cbranch_execz .LBB238_328
; %bb.323:                              ;   in Loop: Header=BB238_264 Depth=1
	v_and_b32_e32 v44, 0x7f, v1
	v_mov_b32_e32 v9, 0x7c010000
	s_mov_b32 s28, exec_lo
	v_cmpx_ne_u32_e32 0x7f, v44
	s_cbranch_execz .LBB238_327
; %bb.324:                              ;   in Loop: Header=BB238_264 Depth=1
	v_and_b32_e32 v9, 7, v1
	v_lshrrev_b32_e32 v10, 3, v44
	s_mov_b32 s29, exec_lo
	v_cmpx_gt_u32_e32 8, v44
; %bb.325:                              ;   in Loop: Header=BB238_264 Depth=1
	v_ffbh_u32_e32 v9, v9
	v_min_u32_e32 v44, 32, v9
	v_subrev_nc_u32_e32 v9, 28, v44
	v_lshlrev_b64 v[9:10], v9, v[1:2]
	v_sub_nc_u32_e32 v10, 29, v44
	v_and_b32_e32 v9, 7, v9
; %bb.326:                              ;   in Loop: Header=BB238_264 Depth=1
	s_or_b32 exec_lo, exec_lo, s29
	v_lshlrev_b32_e32 v1, 8, v1
	v_lshl_add_u32 v10, v10, 10, 0x2000
	v_lshlrev_b32_e32 v9, 23, v9
	v_and_or_b32 v1, 0x8000, v1, v10
	v_lshl_or_b32 v9, v1, 16, v9
.LBB238_327:                            ;   in Loop: Header=BB238_264 Depth=1
	s_or_b32 exec_lo, exec_lo, s28
.LBB238_328:                            ;   in Loop: Header=BB238_264 Depth=1
	s_or_b32 exec_lo, exec_lo, s27
.LBB238_329:                            ;   in Loop: Header=BB238_264 Depth=1
	s_or_b32 exec_lo, exec_lo, s1
	v_or_b32_e32 v1, v39, v40
	v_fma_mixlo_f16 v10, v36, v39, 0 op_sel:[0,1,0] op_sel_hi:[0,1,0]
	v_or_b32_e32 v38, v37, v38
	v_or_b32_e32 v40, v43, v42
	;; [unrolled: 1-line block ×3, first 2 shown]
	v_fma_mixlo_f16 v1, v36, v1, 0 op_sel_hi:[0,1,0]
	v_fma_mixlo_f16 v39, v36, v37, 0 op_sel:[0,1,0] op_sel_hi:[0,1,0]
	v_lshlrev_b32_e32 v37, 16, v10
	v_fma_mixlo_f16 v10, v36, v38, 0 op_sel_hi:[0,1,0]
	v_fma_mixlo_f16 v40, v36, v40, 0 op_sel_hi:[0,1,0]
	v_and_b32_e32 v38, 0xffff, v1
	v_fma_mixlo_f16 v1, v36, v43, 0 op_sel:[0,1,0] op_sel_hi:[0,1,0]
	v_fma_mixlo_f16 v42, v36, v9, 0 op_sel:[0,1,0] op_sel_hi:[0,1,0]
	v_fma_mixlo_f16 v41, v36, v41, 0 op_sel_hi:[0,1,0]
	v_lshlrev_b32_e32 v39, 16, v39
	v_and_b32_e32 v44, 0xffff, v10
	v_lshlrev_b32_e32 v9, 16, v1
	v_and_b32_e32 v36, 0xffff, v40
	;; [unrolled: 2-line block ×3, first 2 shown]
	v_cmp_eq_u32_e64 s0, s21, v27
	v_or_b32_e32 v40, v37, v38
	v_or_b32_e32 v41, v39, v44
	v_or_b32_e32 v42, v9, v36
	v_or_b32_e32 v43, v1, v10
	s_and_saveexec_b32 s27, s0
	s_cbranch_execz .LBB238_331
; %bb.330:                              ;   in Loop: Header=BB238_264 Depth=1
	v_add_nc_u32_e32 v40, 1, v12
	v_cmp_gt_i32_e64 s1, s33, v12
	v_add_nc_u32_e32 v41, 2, v12
	v_add_nc_u32_e32 v43, 3, v12
	v_cndmask_b32_e64 v42, 0, v44, s1
	v_cmp_gt_i32_e64 s1, s33, v40
	v_add_nc_u32_e32 v40, 4, v12
	v_cndmask_b32_e64 v39, 0, v39, s1
	v_cmp_gt_i32_e64 s1, s33, v41
	v_add_nc_u32_e32 v41, 5, v12
	v_cndmask_b32_e64 v38, 0, v38, s1
	v_cmp_gt_i32_e64 s1, s33, v43
	v_add_nc_u32_e32 v43, 6, v12
	v_cndmask_b32_e64 v37, 0, v37, s1
	v_cmp_gt_i32_e64 s1, s33, v40
	v_add_nc_u32_e32 v40, 7, v12
	v_cndmask_b32_e64 v36, 0, v36, s1
	v_cmp_gt_i32_e64 s1, s33, v41
	v_or_b32_e32 v41, v39, v42
	v_cndmask_b32_e64 v9, 0, v9, s1
	v_cmp_gt_i32_e64 s1, s33, v43
	v_or_b32_e32 v42, v9, v36
	v_cndmask_b32_e64 v10, 0, v10, s1
	v_cmp_gt_i32_e64 s1, s33, v40
	v_or_b32_e32 v40, v37, v38
	v_cndmask_b32_e64 v1, 0, v1, s1
	v_or_b32_e32 v43, v1, v10
.LBB238_331:                            ;   in Loop: Header=BB238_264 Depth=1
	s_or_b32 exec_lo, exec_lo, s27
	v_and_b32_e32 v1, 0xffff, v31
	v_and_b32_e32 v9, 0xffff, v32
	;; [unrolled: 1-line block ×4, first 2 shown]
	v_mov_b32_e32 v36, 0
	v_lshl_or_b32 v33, v28, 16, v1
	;;#ASMSTART
	v_pk_mul_f16 v1, v33, v41;

	;;#ASMEND
	v_lshl_or_b32 v32, v29, 16, v9
	v_lshl_or_b32 v31, v30, 16, v10
	;; [unrolled: 1-line block ×3, first 2 shown]
	;;#ASMSTART
	v_pk_mul_f16 v9, v32, v40;

	;;#ASMEND
	;;#ASMSTART
	v_pk_mul_f16 v10, v31, v42;

	;;#ASMEND
	;; [unrolled: 4-line block ×3, first 2 shown]
	;;#ASMSTART
	v_pk_add_f16 v1, v1, v9;

	;;#ASMEND
	;;#ASMSTART
	v_pk_add_f16 v1, v1, v10;

	;;#ASMEND
	;; [unrolled: 4-line block ×3, first 2 shown]
	v_and_b32_e32 v9, 0xffff, v1
	v_lshrrev_b32_e32 v1, 16, v1
	;;#ASMSTART
	v_cvt_f32_f16 v28, v9;
	;;#ASMEND
	;;#ASMSTART
	v_cvt_f32_f16 v29, v1;
	;;#ASMEND
	global_load_dwordx2 v[9:10], v[7:8], off offset:256
	v_mov_b32_e32 v35, 0
	global_load_dword v34, v35, s[14:15]
	s_waitcnt vmcnt(1)
	v_cmp_ne_u16_sdwa s1, v9, v2 src0_sel:BYTE_0 src1_sel:DWORD
	s_and_saveexec_b32 s27, s1
	s_cbranch_execz .LBB238_339
; %bb.332:                              ;   in Loop: Header=BB238_264 Depth=1
	v_cmp_ne_u16_sdwa s1, v9, v21 src0_sel:BYTE_0 src1_sel:DWORD
	v_mov_b32_e32 v36, 0x8000
	s_and_saveexec_b32 s28, s1
	s_cbranch_execz .LBB238_338
; %bb.333:                              ;   in Loop: Header=BB238_264 Depth=1
	v_and_b32_e32 v37, 0x7f, v9
	v_mov_b32_e32 v36, 0x7c01
	s_mov_b32 s29, exec_lo
	v_cmpx_ne_u32_e32 0x7f, v37
	s_cbranch_execz .LBB238_337
; %bb.334:                              ;   in Loop: Header=BB238_264 Depth=1
	v_and_b32_e32 v1, 7, v9
	v_lshrrev_b32_e32 v36, 3, v37
	s_mov_b32 s30, exec_lo
	v_cmpx_gt_u32_e32 8, v37
; %bb.335:                              ;   in Loop: Header=BB238_264 Depth=1
	v_ffbh_u32_e32 v1, v1
	v_min_u32_e32 v1, 32, v1
	v_subrev_nc_u32_e32 v36, 28, v1
	v_lshlrev_b64 v[37:38], v36, v[9:10]
	v_sub_nc_u32_e32 v36, 29, v1
	v_and_b32_e32 v1, 7, v37
; %bb.336:                              ;   in Loop: Header=BB238_264 Depth=1
	s_or_b32 exec_lo, exec_lo, s30
	v_lshlrev_b32_e32 v37, 8, v9
	v_lshl_add_u32 v36, v36, 10, 0x2000
	v_lshlrev_b32_e32 v1, 7, v1
	v_and_b32_e32 v37, 0x8000, v37
	v_and_b32_e32 v36, 0xfc00, v36
	v_or3_b32 v36, v37, v36, v1
.LBB238_337:                            ;   in Loop: Header=BB238_264 Depth=1
	s_or_b32 exec_lo, exec_lo, s29
.LBB238_338:                            ;   in Loop: Header=BB238_264 Depth=1
	s_or_b32 exec_lo, exec_lo, s28
.LBB238_339:                            ;   in Loop: Header=BB238_264 Depth=1
	s_or_b32 exec_lo, exec_lo, s27
	v_lshrrev_b16 v1, 8, v9
	s_mov_b32 s27, exec_lo
	v_cmpx_ne_u16_e32 0, v1
	s_cbranch_execz .LBB238_347
; %bb.340:                              ;   in Loop: Header=BB238_264 Depth=1
	v_bfrev_b32_e32 v35, 1
	s_mov_b32 s28, exec_lo
	v_cmpx_ne_u16_e32 0x80, v1
	s_cbranch_execz .LBB238_346
; %bb.341:                              ;   in Loop: Header=BB238_264 Depth=1
	v_and_b32_sdwa v38, v1, v22 dst_sel:DWORD dst_unused:UNUSED_PAD src0_sel:WORD_0 src1_sel:DWORD
	v_mov_b32_e32 v35, 0x7c010000
	s_mov_b32 s29, exec_lo
	v_cmpx_ne_u32_e32 0x7f, v38
	s_cbranch_execz .LBB238_345
; %bb.342:                              ;   in Loop: Header=BB238_264 Depth=1
	v_and_b32_sdwa v35, v1, v23 dst_sel:DWORD dst_unused:UNUSED_PAD src0_sel:WORD_0 src1_sel:DWORD
	v_lshrrev_b32_e32 v37, 3, v38
	s_mov_b32 s30, exec_lo
	v_cmpx_gt_u32_e32 8, v38
; %bb.343:                              ;   in Loop: Header=BB238_264 Depth=1
	v_ffbh_u32_e32 v35, v35
	v_min_u32_e32 v35, 32, v35
	v_subrev_nc_u32_e32 v37, 28, v35
	v_lshlrev_b64 v[38:39], v37, v[1:2]
	v_sub_nc_u32_e32 v37, 29, v35
	v_and_b32_e32 v35, 7, v38
; %bb.344:                              ;   in Loop: Header=BB238_264 Depth=1
	s_or_b32 exec_lo, exec_lo, s30
	v_lshlrev_b32_sdwa v1, v24, v1 dst_sel:DWORD dst_unused:UNUSED_PAD src0_sel:DWORD src1_sel:WORD_0
	v_lshl_add_u32 v37, v37, 10, 0x2000
	v_lshlrev_b32_e32 v35, 23, v35
	v_and_or_b32 v1, 0x8000, v1, v37
	v_lshl_or_b32 v35, v1, 16, v35
.LBB238_345:                            ;   in Loop: Header=BB238_264 Depth=1
	s_or_b32 exec_lo, exec_lo, s29
.LBB238_346:                            ;   in Loop: Header=BB238_264 Depth=1
	s_or_b32 exec_lo, exec_lo, s28
.LBB238_347:                            ;   in Loop: Header=BB238_264 Depth=1
	s_or_b32 exec_lo, exec_lo, s27
	v_lshrrev_b32_e32 v1, 16, v9
	v_mov_b32_e32 v37, 0
	v_mov_b32_e32 v38, 0
	v_cmp_ne_u16_sdwa s1, v1, v2 src0_sel:BYTE_0 src1_sel:DWORD
	s_and_saveexec_b32 s27, s1
	s_cbranch_execz .LBB238_355
; %bb.348:                              ;   in Loop: Header=BB238_264 Depth=1
	v_cmp_ne_u16_sdwa s1, v1, v21 src0_sel:BYTE_0 src1_sel:DWORD
	v_mov_b32_e32 v38, 0x8000
	s_and_saveexec_b32 s28, s1
	s_cbranch_execz .LBB238_354
; %bb.349:                              ;   in Loop: Header=BB238_264 Depth=1
	v_bfe_u32 v40, v9, 16, 7
	v_mov_b32_e32 v38, 0x7c01
	s_mov_b32 s29, exec_lo
	v_cmpx_ne_u32_e32 0x7f, v40
	s_cbranch_execz .LBB238_353
; %bb.350:                              ;   in Loop: Header=BB238_264 Depth=1
	v_and_b32_e32 v38, 7, v1
	v_lshrrev_b32_e32 v39, 3, v40
	s_mov_b32 s30, exec_lo
	v_cmpx_gt_u32_e32 8, v40
; %bb.351:                              ;   in Loop: Header=BB238_264 Depth=1
	v_ffbh_u32_e32 v38, v38
	v_min_u32_e32 v40, 32, v38
	v_subrev_nc_u32_e32 v38, 28, v40
	v_lshlrev_b64 v[38:39], v38, v[1:2]
	v_sub_nc_u32_e32 v39, 29, v40
	v_and_b32_e32 v38, 7, v38
; %bb.352:                              ;   in Loop: Header=BB238_264 Depth=1
	s_or_b32 exec_lo, exec_lo, s30
	v_lshlrev_b32_e32 v1, 8, v1
	v_lshl_add_u32 v39, v39, 10, 0x2000
	v_lshlrev_b32_e32 v38, 7, v38
	v_and_b32_e32 v1, 0x8000, v1
	v_and_b32_e32 v39, 0xfc00, v39
	v_or3_b32 v38, v1, v39, v38
.LBB238_353:                            ;   in Loop: Header=BB238_264 Depth=1
	s_or_b32 exec_lo, exec_lo, s29
.LBB238_354:                            ;   in Loop: Header=BB238_264 Depth=1
	s_or_b32 exec_lo, exec_lo, s28
.LBB238_355:                            ;   in Loop: Header=BB238_264 Depth=1
	s_or_b32 exec_lo, exec_lo, s27
	s_mov_b32 s27, exec_lo
	v_cmpx_lt_u32_e32 0xffffff, v9
	s_cbranch_execz .LBB238_363
; %bb.356:                              ;   in Loop: Header=BB238_264 Depth=1
	v_lshrrev_b32_e32 v1, 24, v9
	v_bfrev_b32_e32 v37, 1
	s_mov_b32 s28, exec_lo
	v_cmpx_ne_u32_e32 0x80, v1
	s_cbranch_execz .LBB238_362
; %bb.357:                              ;   in Loop: Header=BB238_264 Depth=1
	v_and_b32_e32 v40, 0x7f, v1
	v_mov_b32_e32 v37, 0x7c010000
	s_mov_b32 s29, exec_lo
	v_cmpx_ne_u32_e32 0x7f, v40
	s_cbranch_execz .LBB238_361
; %bb.358:                              ;   in Loop: Header=BB238_264 Depth=1
	v_and_b32_e32 v37, 7, v1
	v_lshrrev_b32_e32 v39, 3, v40
	s_mov_b32 s30, exec_lo
	v_cmpx_gt_u32_e32 8, v40
; %bb.359:                              ;   in Loop: Header=BB238_264 Depth=1
	v_ffbh_u32_e32 v37, v37
	v_min_u32_e32 v37, 32, v37
	v_subrev_nc_u32_e32 v39, 28, v37
	v_lshlrev_b64 v[40:41], v39, v[1:2]
	v_sub_nc_u32_e32 v39, 29, v37
	v_and_b32_e32 v37, 7, v40
; %bb.360:                              ;   in Loop: Header=BB238_264 Depth=1
	s_or_b32 exec_lo, exec_lo, s30
	v_lshlrev_b32_e32 v1, 8, v1
	v_lshl_add_u32 v39, v39, 10, 0x2000
	v_lshlrev_b32_e32 v37, 23, v37
	v_and_or_b32 v1, 0x8000, v1, v39
	v_lshl_or_b32 v37, v1, 16, v37
.LBB238_361:                            ;   in Loop: Header=BB238_264 Depth=1
	s_or_b32 exec_lo, exec_lo, s29
.LBB238_362:                            ;   in Loop: Header=BB238_264 Depth=1
	s_or_b32 exec_lo, exec_lo, s28
.LBB238_363:                            ;   in Loop: Header=BB238_264 Depth=1
	s_or_b32 exec_lo, exec_lo, s27
	v_mov_b32_e32 v1, v10
	v_cmp_ne_u16_sdwa s1, v10, v2 src0_sel:BYTE_0 src1_sel:DWORD
	v_mov_b32_e32 v39, 0
	v_mov_b32_e32 v40, 0
	s_and_saveexec_b32 s27, s1
	s_cbranch_execz .LBB238_371
; %bb.364:                              ;   in Loop: Header=BB238_264 Depth=1
	v_cmp_ne_u16_sdwa s1, v10, v21 src0_sel:BYTE_0 src1_sel:DWORD
	v_mov_b32_e32 v40, 0x8000
	s_and_saveexec_b32 s28, s1
	s_cbranch_execz .LBB238_370
; %bb.365:                              ;   in Loop: Header=BB238_264 Depth=1
	v_and_b32_e32 v42, 0x7f, v10
	v_mov_b32_e32 v40, 0x7c01
	s_mov_b32 s29, exec_lo
	v_cmpx_ne_u32_e32 0x7f, v42
	s_cbranch_execz .LBB238_369
; %bb.366:                              ;   in Loop: Header=BB238_264 Depth=1
	v_and_b32_e32 v40, 7, v10
	v_lshrrev_b32_e32 v41, 3, v42
	s_mov_b32 s30, exec_lo
	v_cmpx_gt_u32_e32 8, v42
; %bb.367:                              ;   in Loop: Header=BB238_264 Depth=1
	v_ffbh_u32_e32 v40, v40
	v_min_u32_e32 v42, 32, v40
	v_subrev_nc_u32_e32 v40, 28, v42
	v_lshlrev_b64 v[40:41], v40, v[1:2]
	v_sub_nc_u32_e32 v41, 29, v42
	v_and_b32_e32 v40, 7, v40
; %bb.368:                              ;   in Loop: Header=BB238_264 Depth=1
	s_or_b32 exec_lo, exec_lo, s30
	v_lshlrev_b32_e32 v42, 8, v10
	v_lshl_add_u32 v41, v41, 10, 0x2000
	v_lshlrev_b32_e32 v40, 7, v40
	v_and_b32_e32 v42, 0x8000, v42
	v_and_b32_e32 v41, 0xfc00, v41
	v_or3_b32 v40, v42, v41, v40
.LBB238_369:                            ;   in Loop: Header=BB238_264 Depth=1
	s_or_b32 exec_lo, exec_lo, s29
.LBB238_370:                            ;   in Loop: Header=BB238_264 Depth=1
	s_or_b32 exec_lo, exec_lo, s28
.LBB238_371:                            ;   in Loop: Header=BB238_264 Depth=1
	s_or_b32 exec_lo, exec_lo, s27
	v_lshrrev_b16 v1, 8, v1
	v_mov_b32_e32 v41, 0
	s_mov_b32 s27, exec_lo
	v_cmpx_ne_u16_e32 0, v1
	s_cbranch_execz .LBB238_379
; %bb.372:                              ;   in Loop: Header=BB238_264 Depth=1
	v_bfrev_b32_e32 v41, 1
	s_mov_b32 s28, exec_lo
	v_cmpx_ne_u16_e32 0x80, v1
	s_cbranch_execz .LBB238_378
; %bb.373:                              ;   in Loop: Header=BB238_264 Depth=1
	v_and_b32_sdwa v43, v1, v22 dst_sel:DWORD dst_unused:UNUSED_PAD src0_sel:WORD_0 src1_sel:DWORD
	v_mov_b32_e32 v41, 0x7c010000
	s_mov_b32 s29, exec_lo
	v_cmpx_ne_u32_e32 0x7f, v43
	s_cbranch_execz .LBB238_377
; %bb.374:                              ;   in Loop: Header=BB238_264 Depth=1
	v_and_b32_sdwa v41, v1, v23 dst_sel:DWORD dst_unused:UNUSED_PAD src0_sel:WORD_0 src1_sel:DWORD
	v_lshrrev_b32_e32 v42, 3, v43
	s_mov_b32 s30, exec_lo
	v_cmpx_gt_u32_e32 8, v43
; %bb.375:                              ;   in Loop: Header=BB238_264 Depth=1
	v_ffbh_u32_e32 v41, v41
	v_min_u32_e32 v43, 32, v41
	v_subrev_nc_u32_e32 v41, 28, v43
	v_lshlrev_b64 v[41:42], v41, v[1:2]
	v_sub_nc_u32_e32 v42, 29, v43
	v_and_b32_e32 v41, 7, v41
; %bb.376:                              ;   in Loop: Header=BB238_264 Depth=1
	s_or_b32 exec_lo, exec_lo, s30
	v_lshlrev_b32_sdwa v1, v24, v1 dst_sel:DWORD dst_unused:UNUSED_PAD src0_sel:DWORD src1_sel:WORD_0
	v_lshl_add_u32 v42, v42, 10, 0x2000
	v_lshlrev_b32_e32 v41, 23, v41
	v_and_or_b32 v1, 0x8000, v1, v42
	v_lshl_or_b32 v41, v1, 16, v41
.LBB238_377:                            ;   in Loop: Header=BB238_264 Depth=1
	s_or_b32 exec_lo, exec_lo, s29
.LBB238_378:                            ;   in Loop: Header=BB238_264 Depth=1
	s_or_b32 exec_lo, exec_lo, s28
.LBB238_379:                            ;   in Loop: Header=BB238_264 Depth=1
	s_or_b32 exec_lo, exec_lo, s27
	v_lshrrev_b32_e32 v1, 16, v10
	v_cmp_ne_u16_sdwa s1, v1, v2 src0_sel:BYTE_0 src1_sel:DWORD
	s_and_saveexec_b32 s27, s1
	s_cbranch_execz .LBB238_387
; %bb.380:                              ;   in Loop: Header=BB238_264 Depth=1
	v_cmp_ne_u16_sdwa s1, v1, v21 src0_sel:BYTE_0 src1_sel:DWORD
	v_mov_b32_e32 v39, 0x8000
	s_and_saveexec_b32 s28, s1
	s_cbranch_execz .LBB238_386
; %bb.381:                              ;   in Loop: Header=BB238_264 Depth=1
	v_bfe_u32 v43, v10, 16, 7
	v_mov_b32_e32 v39, 0x7c01
	s_mov_b32 s29, exec_lo
	v_cmpx_ne_u32_e32 0x7f, v43
	s_cbranch_execz .LBB238_385
; %bb.382:                              ;   in Loop: Header=BB238_264 Depth=1
	v_and_b32_e32 v39, 7, v1
	v_lshrrev_b32_e32 v42, 3, v43
	s_mov_b32 s30, exec_lo
	v_cmpx_gt_u32_e32 8, v43
; %bb.383:                              ;   in Loop: Header=BB238_264 Depth=1
	v_ffbh_u32_e32 v39, v39
	v_min_u32_e32 v39, 32, v39
	v_subrev_nc_u32_e32 v42, 28, v39
	v_lshlrev_b64 v[43:44], v42, v[1:2]
	v_sub_nc_u32_e32 v42, 29, v39
	v_and_b32_e32 v39, 7, v43
; %bb.384:                              ;   in Loop: Header=BB238_264 Depth=1
	s_or_b32 exec_lo, exec_lo, s30
	v_lshlrev_b32_e32 v1, 8, v1
	v_lshl_add_u32 v42, v42, 10, 0x2000
	v_lshlrev_b32_e32 v39, 7, v39
	v_and_b32_e32 v1, 0x8000, v1
	v_and_b32_e32 v42, 0xfc00, v42
	v_or3_b32 v39, v1, v42, v39
.LBB238_385:                            ;   in Loop: Header=BB238_264 Depth=1
	s_or_b32 exec_lo, exec_lo, s29
.LBB238_386:                            ;   in Loop: Header=BB238_264 Depth=1
	s_or_b32 exec_lo, exec_lo, s28
.LBB238_387:                            ;   in Loop: Header=BB238_264 Depth=1
	s_or_b32 exec_lo, exec_lo, s27
	v_cmp_lt_u64_e64 s1, s[4:5], v[9:10]
	v_mov_b32_e32 v9, 0
	s_and_saveexec_b32 s27, s1
	s_cbranch_execz .LBB238_395
; %bb.388:                              ;   in Loop: Header=BB238_264 Depth=1
	v_lshrrev_b32_e32 v1, 24, v10
	v_bfrev_b32_e32 v9, 1
	s_mov_b32 s28, exec_lo
	v_cmpx_ne_u32_e32 0x80, v1
	s_cbranch_execz .LBB238_394
; %bb.389:                              ;   in Loop: Header=BB238_264 Depth=1
	v_and_b32_e32 v42, 0x7f, v1
	v_mov_b32_e32 v9, 0x7c010000
	s_mov_b32 s29, exec_lo
	v_cmpx_ne_u32_e32 0x7f, v42
	s_cbranch_execz .LBB238_393
; %bb.390:                              ;   in Loop: Header=BB238_264 Depth=1
	v_and_b32_e32 v9, 7, v1
	v_lshrrev_b32_e32 v10, 3, v42
	s_mov_b32 s30, exec_lo
	v_cmpx_gt_u32_e32 8, v42
; %bb.391:                              ;   in Loop: Header=BB238_264 Depth=1
	v_ffbh_u32_e32 v9, v9
	v_min_u32_e32 v42, 32, v9
	v_subrev_nc_u32_e32 v9, 28, v42
	v_lshlrev_b64 v[9:10], v9, v[1:2]
	v_sub_nc_u32_e32 v10, 29, v42
	v_and_b32_e32 v9, 7, v9
; %bb.392:                              ;   in Loop: Header=BB238_264 Depth=1
	s_or_b32 exec_lo, exec_lo, s30
	v_lshlrev_b32_e32 v1, 8, v1
	v_lshl_add_u32 v10, v10, 10, 0x2000
	v_lshlrev_b32_e32 v9, 23, v9
	v_and_or_b32 v1, 0x8000, v1, v10
	v_lshl_or_b32 v9, v1, 16, v9
.LBB238_393:                            ;   in Loop: Header=BB238_264 Depth=1
	s_or_b32 exec_lo, exec_lo, s29
.LBB238_394:                            ;   in Loop: Header=BB238_264 Depth=1
	s_or_b32 exec_lo, exec_lo, s28
.LBB238_395:                            ;   in Loop: Header=BB238_264 Depth=1
	s_or_b32 exec_lo, exec_lo, s27
	v_or_b32_e32 v1, v37, v38
	s_waitcnt vmcnt(0)
	v_fma_mixlo_f16 v10, v34, v37, 0 op_sel:[0,1,0] op_sel_hi:[0,1,0]
	v_or_b32_e32 v36, v35, v36
	v_or_b32_e32 v38, v41, v40
	;; [unrolled: 1-line block ×3, first 2 shown]
	v_fma_mixlo_f16 v1, v34, v1, 0 op_sel_hi:[0,1,0]
	v_fma_mixlo_f16 v37, v34, v35, 0 op_sel:[0,1,0] op_sel_hi:[0,1,0]
	v_lshlrev_b32_e32 v35, 16, v10
	v_fma_mixlo_f16 v10, v34, v36, 0 op_sel_hi:[0,1,0]
	v_fma_mixlo_f16 v38, v34, v38, 0 op_sel_hi:[0,1,0]
	v_and_b32_e32 v36, 0xffff, v1
	v_fma_mixlo_f16 v1, v34, v41, 0 op_sel:[0,1,0] op_sel_hi:[0,1,0]
	v_fma_mixlo_f16 v40, v34, v9, 0 op_sel:[0,1,0] op_sel_hi:[0,1,0]
	v_fma_mixlo_f16 v39, v34, v39, 0 op_sel_hi:[0,1,0]
	v_lshlrev_b32_e32 v37, 16, v37
	v_and_b32_e32 v41, 0xffff, v10
	v_lshlrev_b32_e32 v9, 16, v1
	v_and_b32_e32 v34, 0xffff, v38
	;; [unrolled: 2-line block ×3, first 2 shown]
	v_or_b32_e32 v38, v35, v36
	v_or_b32_e32 v42, v37, v41
	;; [unrolled: 1-line block ×4, first 2 shown]
	s_and_saveexec_b32 s27, s0
	s_cbranch_execz .LBB238_397
; %bb.396:                              ;   in Loop: Header=BB238_264 Depth=1
	v_add_nc_u32_e32 v38, 1, v12
	v_cmp_gt_i32_e64 s1, s33, v12
	v_add_nc_u32_e32 v39, 2, v12
	v_cndmask_b32_e64 v40, 0, v41, s1
	v_cmp_gt_i32_e64 s1, s33, v38
	v_add_nc_u32_e32 v41, 3, v12
	v_add_nc_u32_e32 v38, 4, v12
	v_cndmask_b32_e64 v37, 0, v37, s1
	v_cmp_gt_i32_e64 s1, s33, v39
	v_add_nc_u32_e32 v39, 5, v12
	v_or_b32_e32 v42, v37, v40
	v_cndmask_b32_e64 v36, 0, v36, s1
	v_cmp_gt_i32_e64 s1, s33, v41
	v_add_nc_u32_e32 v41, 6, v12
	v_cndmask_b32_e64 v35, 0, v35, s1
	v_cmp_gt_i32_e64 s1, s33, v38
	v_add_nc_u32_e32 v38, 7, v12
	v_cndmask_b32_e64 v34, 0, v34, s1
	v_cmp_gt_i32_e64 s1, s33, v39
	v_cndmask_b32_e64 v9, 0, v9, s1
	v_cmp_gt_i32_e64 s1, s33, v41
	v_or_b32_e32 v40, v9, v34
	v_cndmask_b32_e64 v10, 0, v10, s1
	v_cmp_gt_i32_e64 s1, s33, v38
	v_or_b32_e32 v38, v35, v36
	v_cndmask_b32_e64 v1, 0, v1, s1
	v_or_b32_e32 v39, v1, v10
.LBB238_397:                            ;   in Loop: Header=BB238_264 Depth=1
	s_or_b32 exec_lo, exec_lo, s27
	;;#ASMSTART
	v_pk_mul_f16 v1, v33, v42;

	;;#ASMEND
	;;#ASMSTART
	v_pk_mul_f16 v9, v32, v38;

	;;#ASMEND
	;; [unrolled: 4-line block ×4, first 2 shown]
	;;#ASMSTART
	v_pk_add_f16 v1, v1, v9;

	;;#ASMEND
	;;#ASMSTART
	v_pk_add_f16 v1, v1, v10;

	;;#ASMEND
	;; [unrolled: 4-line block ×3, first 2 shown]
	v_and_b32_e32 v9, 0xffff, v1
	v_lshrrev_b32_e32 v1, 16, v1
	;;#ASMSTART
	v_cvt_f32_f16 v9, v9;
	;;#ASMEND
	;;#ASMSTART
	v_cvt_f32_f16 v10, v1;
	;;#ASMEND
	global_load_dwordx2 v[7:8], v[7:8], off offset:512
	v_mov_b32_e32 v35, 0
	v_mov_b32_e32 v36, 0
	global_load_dword v34, v35, s[14:15]
	s_waitcnt vmcnt(1)
	v_cmp_ne_u16_sdwa s1, v7, v2 src0_sel:BYTE_0 src1_sel:DWORD
	s_and_saveexec_b32 s27, s1
	s_cbranch_execz .LBB238_405
; %bb.398:                              ;   in Loop: Header=BB238_264 Depth=1
	v_cmp_ne_u16_sdwa s1, v7, v21 src0_sel:BYTE_0 src1_sel:DWORD
	v_mov_b32_e32 v36, 0x8000
	s_and_saveexec_b32 s28, s1
	s_cbranch_execz .LBB238_404
; %bb.399:                              ;   in Loop: Header=BB238_264 Depth=1
	v_and_b32_e32 v37, 0x7f, v7
	v_mov_b32_e32 v36, 0x7c01
	s_mov_b32 s29, exec_lo
	v_cmpx_ne_u32_e32 0x7f, v37
	s_cbranch_execz .LBB238_403
; %bb.400:                              ;   in Loop: Header=BB238_264 Depth=1
	v_and_b32_e32 v1, 7, v7
	v_lshrrev_b32_e32 v36, 3, v37
	s_mov_b32 s30, exec_lo
	v_cmpx_gt_u32_e32 8, v37
; %bb.401:                              ;   in Loop: Header=BB238_264 Depth=1
	v_ffbh_u32_e32 v1, v1
	v_min_u32_e32 v1, 32, v1
	v_subrev_nc_u32_e32 v36, 28, v1
	v_lshlrev_b64 v[37:38], v36, v[7:8]
	v_sub_nc_u32_e32 v36, 29, v1
	v_and_b32_e32 v1, 7, v37
; %bb.402:                              ;   in Loop: Header=BB238_264 Depth=1
	s_or_b32 exec_lo, exec_lo, s30
	v_lshlrev_b32_e32 v37, 8, v7
	v_lshl_add_u32 v36, v36, 10, 0x2000
	v_lshlrev_b32_e32 v1, 7, v1
	v_and_b32_e32 v37, 0x8000, v37
	v_and_b32_e32 v36, 0xfc00, v36
	v_or3_b32 v36, v37, v36, v1
.LBB238_403:                            ;   in Loop: Header=BB238_264 Depth=1
	s_or_b32 exec_lo, exec_lo, s29
.LBB238_404:                            ;   in Loop: Header=BB238_264 Depth=1
	s_or_b32 exec_lo, exec_lo, s28
.LBB238_405:                            ;   in Loop: Header=BB238_264 Depth=1
	s_or_b32 exec_lo, exec_lo, s27
	v_lshrrev_b16 v1, 8, v7
	s_mov_b32 s27, exec_lo
	v_cmpx_ne_u16_e32 0, v1
	s_cbranch_execz .LBB238_413
; %bb.406:                              ;   in Loop: Header=BB238_264 Depth=1
	v_bfrev_b32_e32 v35, 1
	s_mov_b32 s28, exec_lo
	v_cmpx_ne_u16_e32 0x80, v1
	s_cbranch_execz .LBB238_412
; %bb.407:                              ;   in Loop: Header=BB238_264 Depth=1
	v_and_b32_sdwa v38, v1, v22 dst_sel:DWORD dst_unused:UNUSED_PAD src0_sel:WORD_0 src1_sel:DWORD
	v_mov_b32_e32 v35, 0x7c010000
	s_mov_b32 s29, exec_lo
	v_cmpx_ne_u32_e32 0x7f, v38
	s_cbranch_execz .LBB238_411
; %bb.408:                              ;   in Loop: Header=BB238_264 Depth=1
	v_and_b32_sdwa v35, v1, v23 dst_sel:DWORD dst_unused:UNUSED_PAD src0_sel:WORD_0 src1_sel:DWORD
	v_lshrrev_b32_e32 v37, 3, v38
	s_mov_b32 s30, exec_lo
	v_cmpx_gt_u32_e32 8, v38
; %bb.409:                              ;   in Loop: Header=BB238_264 Depth=1
	v_ffbh_u32_e32 v35, v35
	v_min_u32_e32 v35, 32, v35
	v_subrev_nc_u32_e32 v37, 28, v35
	v_lshlrev_b64 v[38:39], v37, v[1:2]
	v_sub_nc_u32_e32 v37, 29, v35
	v_and_b32_e32 v35, 7, v38
; %bb.410:                              ;   in Loop: Header=BB238_264 Depth=1
	s_or_b32 exec_lo, exec_lo, s30
	v_lshlrev_b32_sdwa v1, v24, v1 dst_sel:DWORD dst_unused:UNUSED_PAD src0_sel:DWORD src1_sel:WORD_0
	v_lshl_add_u32 v37, v37, 10, 0x2000
	v_lshlrev_b32_e32 v35, 23, v35
	v_and_or_b32 v1, 0x8000, v1, v37
	v_lshl_or_b32 v35, v1, 16, v35
.LBB238_411:                            ;   in Loop: Header=BB238_264 Depth=1
	s_or_b32 exec_lo, exec_lo, s29
.LBB238_412:                            ;   in Loop: Header=BB238_264 Depth=1
	s_or_b32 exec_lo, exec_lo, s28
.LBB238_413:                            ;   in Loop: Header=BB238_264 Depth=1
	s_or_b32 exec_lo, exec_lo, s27
	v_lshrrev_b32_e32 v1, 16, v7
	v_mov_b32_e32 v37, 0
	v_mov_b32_e32 v38, 0
	v_cmp_ne_u16_sdwa s1, v1, v2 src0_sel:BYTE_0 src1_sel:DWORD
	s_and_saveexec_b32 s27, s1
	s_cbranch_execz .LBB238_421
; %bb.414:                              ;   in Loop: Header=BB238_264 Depth=1
	v_cmp_ne_u16_sdwa s1, v1, v21 src0_sel:BYTE_0 src1_sel:DWORD
	v_mov_b32_e32 v38, 0x8000
	s_and_saveexec_b32 s28, s1
	s_cbranch_execz .LBB238_420
; %bb.415:                              ;   in Loop: Header=BB238_264 Depth=1
	v_bfe_u32 v40, v7, 16, 7
	v_mov_b32_e32 v38, 0x7c01
	s_mov_b32 s29, exec_lo
	v_cmpx_ne_u32_e32 0x7f, v40
	s_cbranch_execz .LBB238_419
; %bb.416:                              ;   in Loop: Header=BB238_264 Depth=1
	v_and_b32_e32 v38, 7, v1
	v_lshrrev_b32_e32 v39, 3, v40
	s_mov_b32 s30, exec_lo
	v_cmpx_gt_u32_e32 8, v40
; %bb.417:                              ;   in Loop: Header=BB238_264 Depth=1
	v_ffbh_u32_e32 v38, v38
	v_min_u32_e32 v40, 32, v38
	v_subrev_nc_u32_e32 v38, 28, v40
	v_lshlrev_b64 v[38:39], v38, v[1:2]
	v_sub_nc_u32_e32 v39, 29, v40
	v_and_b32_e32 v38, 7, v38
; %bb.418:                              ;   in Loop: Header=BB238_264 Depth=1
	s_or_b32 exec_lo, exec_lo, s30
	v_lshlrev_b32_e32 v1, 8, v1
	v_lshl_add_u32 v39, v39, 10, 0x2000
	v_lshlrev_b32_e32 v38, 7, v38
	v_and_b32_e32 v1, 0x8000, v1
	v_and_b32_e32 v39, 0xfc00, v39
	v_or3_b32 v38, v1, v39, v38
.LBB238_419:                            ;   in Loop: Header=BB238_264 Depth=1
	s_or_b32 exec_lo, exec_lo, s29
.LBB238_420:                            ;   in Loop: Header=BB238_264 Depth=1
	s_or_b32 exec_lo, exec_lo, s28
.LBB238_421:                            ;   in Loop: Header=BB238_264 Depth=1
	s_or_b32 exec_lo, exec_lo, s27
	s_mov_b32 s27, exec_lo
	v_cmpx_lt_u32_e32 0xffffff, v7
	s_cbranch_execz .LBB238_429
; %bb.422:                              ;   in Loop: Header=BB238_264 Depth=1
	v_lshrrev_b32_e32 v1, 24, v7
	v_bfrev_b32_e32 v37, 1
	s_mov_b32 s28, exec_lo
	v_cmpx_ne_u32_e32 0x80, v1
	s_cbranch_execz .LBB238_428
; %bb.423:                              ;   in Loop: Header=BB238_264 Depth=1
	v_and_b32_e32 v40, 0x7f, v1
	v_mov_b32_e32 v37, 0x7c010000
	s_mov_b32 s29, exec_lo
	v_cmpx_ne_u32_e32 0x7f, v40
	s_cbranch_execz .LBB238_427
; %bb.424:                              ;   in Loop: Header=BB238_264 Depth=1
	v_and_b32_e32 v37, 7, v1
	v_lshrrev_b32_e32 v39, 3, v40
	s_mov_b32 s30, exec_lo
	v_cmpx_gt_u32_e32 8, v40
; %bb.425:                              ;   in Loop: Header=BB238_264 Depth=1
	v_ffbh_u32_e32 v37, v37
	v_min_u32_e32 v37, 32, v37
	v_subrev_nc_u32_e32 v39, 28, v37
	v_lshlrev_b64 v[40:41], v39, v[1:2]
	v_sub_nc_u32_e32 v39, 29, v37
	v_and_b32_e32 v37, 7, v40
; %bb.426:                              ;   in Loop: Header=BB238_264 Depth=1
	s_or_b32 exec_lo, exec_lo, s30
	v_lshlrev_b32_e32 v1, 8, v1
	v_lshl_add_u32 v39, v39, 10, 0x2000
	v_lshlrev_b32_e32 v37, 23, v37
	v_and_or_b32 v1, 0x8000, v1, v39
	v_lshl_or_b32 v37, v1, 16, v37
.LBB238_427:                            ;   in Loop: Header=BB238_264 Depth=1
	s_or_b32 exec_lo, exec_lo, s29
.LBB238_428:                            ;   in Loop: Header=BB238_264 Depth=1
	s_or_b32 exec_lo, exec_lo, s28
.LBB238_429:                            ;   in Loop: Header=BB238_264 Depth=1
	s_or_b32 exec_lo, exec_lo, s27
	v_mov_b32_e32 v1, v8
	v_cmp_ne_u16_sdwa s1, v8, v2 src0_sel:BYTE_0 src1_sel:DWORD
	v_mov_b32_e32 v39, 0
	v_mov_b32_e32 v40, 0
	s_and_saveexec_b32 s27, s1
	s_cbranch_execz .LBB238_437
; %bb.430:                              ;   in Loop: Header=BB238_264 Depth=1
	v_cmp_ne_u16_sdwa s1, v8, v21 src0_sel:BYTE_0 src1_sel:DWORD
	v_mov_b32_e32 v40, 0x8000
	s_and_saveexec_b32 s28, s1
	s_cbranch_execz .LBB238_436
; %bb.431:                              ;   in Loop: Header=BB238_264 Depth=1
	v_and_b32_e32 v42, 0x7f, v8
	v_mov_b32_e32 v40, 0x7c01
	s_mov_b32 s29, exec_lo
	v_cmpx_ne_u32_e32 0x7f, v42
	s_cbranch_execz .LBB238_435
; %bb.432:                              ;   in Loop: Header=BB238_264 Depth=1
	v_and_b32_e32 v40, 7, v8
	v_lshrrev_b32_e32 v41, 3, v42
	s_mov_b32 s30, exec_lo
	v_cmpx_gt_u32_e32 8, v42
; %bb.433:                              ;   in Loop: Header=BB238_264 Depth=1
	v_ffbh_u32_e32 v40, v40
	v_min_u32_e32 v42, 32, v40
	v_subrev_nc_u32_e32 v40, 28, v42
	v_lshlrev_b64 v[40:41], v40, v[1:2]
	v_sub_nc_u32_e32 v41, 29, v42
	v_and_b32_e32 v40, 7, v40
; %bb.434:                              ;   in Loop: Header=BB238_264 Depth=1
	s_or_b32 exec_lo, exec_lo, s30
	v_lshlrev_b32_e32 v42, 8, v8
	v_lshl_add_u32 v41, v41, 10, 0x2000
	v_lshlrev_b32_e32 v40, 7, v40
	v_and_b32_e32 v42, 0x8000, v42
	v_and_b32_e32 v41, 0xfc00, v41
	v_or3_b32 v40, v42, v41, v40
.LBB238_435:                            ;   in Loop: Header=BB238_264 Depth=1
	s_or_b32 exec_lo, exec_lo, s29
.LBB238_436:                            ;   in Loop: Header=BB238_264 Depth=1
	s_or_b32 exec_lo, exec_lo, s28
.LBB238_437:                            ;   in Loop: Header=BB238_264 Depth=1
	s_or_b32 exec_lo, exec_lo, s27
	v_lshrrev_b16 v1, 8, v1
	v_mov_b32_e32 v41, 0
	s_mov_b32 s27, exec_lo
	v_cmpx_ne_u16_e32 0, v1
	s_cbranch_execz .LBB238_445
; %bb.438:                              ;   in Loop: Header=BB238_264 Depth=1
	v_bfrev_b32_e32 v41, 1
	s_mov_b32 s28, exec_lo
	v_cmpx_ne_u16_e32 0x80, v1
	s_cbranch_execz .LBB238_444
; %bb.439:                              ;   in Loop: Header=BB238_264 Depth=1
	v_and_b32_sdwa v43, v1, v22 dst_sel:DWORD dst_unused:UNUSED_PAD src0_sel:WORD_0 src1_sel:DWORD
	v_mov_b32_e32 v41, 0x7c010000
	s_mov_b32 s29, exec_lo
	v_cmpx_ne_u32_e32 0x7f, v43
	s_cbranch_execz .LBB238_443
; %bb.440:                              ;   in Loop: Header=BB238_264 Depth=1
	v_and_b32_sdwa v41, v1, v23 dst_sel:DWORD dst_unused:UNUSED_PAD src0_sel:WORD_0 src1_sel:DWORD
	v_lshrrev_b32_e32 v42, 3, v43
	s_mov_b32 s30, exec_lo
	v_cmpx_gt_u32_e32 8, v43
; %bb.441:                              ;   in Loop: Header=BB238_264 Depth=1
	v_ffbh_u32_e32 v41, v41
	v_min_u32_e32 v43, 32, v41
	v_subrev_nc_u32_e32 v41, 28, v43
	v_lshlrev_b64 v[41:42], v41, v[1:2]
	v_sub_nc_u32_e32 v42, 29, v43
	v_and_b32_e32 v41, 7, v41
; %bb.442:                              ;   in Loop: Header=BB238_264 Depth=1
	s_or_b32 exec_lo, exec_lo, s30
	v_lshlrev_b32_sdwa v1, v24, v1 dst_sel:DWORD dst_unused:UNUSED_PAD src0_sel:DWORD src1_sel:WORD_0
	v_lshl_add_u32 v42, v42, 10, 0x2000
	v_lshlrev_b32_e32 v41, 23, v41
	v_and_or_b32 v1, 0x8000, v1, v42
	v_lshl_or_b32 v41, v1, 16, v41
.LBB238_443:                            ;   in Loop: Header=BB238_264 Depth=1
	s_or_b32 exec_lo, exec_lo, s29
.LBB238_444:                            ;   in Loop: Header=BB238_264 Depth=1
	s_or_b32 exec_lo, exec_lo, s28
.LBB238_445:                            ;   in Loop: Header=BB238_264 Depth=1
	s_or_b32 exec_lo, exec_lo, s27
	v_lshrrev_b32_e32 v1, 16, v8
	v_cmp_ne_u16_sdwa s1, v1, v2 src0_sel:BYTE_0 src1_sel:DWORD
	s_and_saveexec_b32 s27, s1
	s_cbranch_execz .LBB238_453
; %bb.446:                              ;   in Loop: Header=BB238_264 Depth=1
	v_cmp_ne_u16_sdwa s1, v1, v21 src0_sel:BYTE_0 src1_sel:DWORD
	v_mov_b32_e32 v39, 0x8000
	s_and_saveexec_b32 s28, s1
	s_cbranch_execz .LBB238_452
; %bb.447:                              ;   in Loop: Header=BB238_264 Depth=1
	v_bfe_u32 v43, v8, 16, 7
	v_mov_b32_e32 v39, 0x7c01
	s_mov_b32 s29, exec_lo
	v_cmpx_ne_u32_e32 0x7f, v43
	s_cbranch_execz .LBB238_451
; %bb.448:                              ;   in Loop: Header=BB238_264 Depth=1
	v_and_b32_e32 v39, 7, v1
	v_lshrrev_b32_e32 v42, 3, v43
	s_mov_b32 s30, exec_lo
	v_cmpx_gt_u32_e32 8, v43
; %bb.449:                              ;   in Loop: Header=BB238_264 Depth=1
	v_ffbh_u32_e32 v39, v39
	v_min_u32_e32 v39, 32, v39
	v_subrev_nc_u32_e32 v42, 28, v39
	v_lshlrev_b64 v[43:44], v42, v[1:2]
	v_sub_nc_u32_e32 v42, 29, v39
	v_and_b32_e32 v39, 7, v43
; %bb.450:                              ;   in Loop: Header=BB238_264 Depth=1
	s_or_b32 exec_lo, exec_lo, s30
	v_lshlrev_b32_e32 v1, 8, v1
	v_lshl_add_u32 v42, v42, 10, 0x2000
	v_lshlrev_b32_e32 v39, 7, v39
	v_and_b32_e32 v1, 0x8000, v1
	v_and_b32_e32 v42, 0xfc00, v42
	v_or3_b32 v39, v1, v42, v39
.LBB238_451:                            ;   in Loop: Header=BB238_264 Depth=1
	s_or_b32 exec_lo, exec_lo, s29
.LBB238_452:                            ;   in Loop: Header=BB238_264 Depth=1
	s_or_b32 exec_lo, exec_lo, s28
.LBB238_453:                            ;   in Loop: Header=BB238_264 Depth=1
	s_or_b32 exec_lo, exec_lo, s27
	v_cmp_lt_u64_e64 s1, s[4:5], v[7:8]
	v_mov_b32_e32 v7, 0
	s_and_saveexec_b32 s27, s1
	s_cbranch_execz .LBB238_461
; %bb.454:                              ;   in Loop: Header=BB238_264 Depth=1
	v_lshrrev_b32_e32 v1, 24, v8
	v_bfrev_b32_e32 v7, 1
	s_mov_b32 s28, exec_lo
	v_cmpx_ne_u32_e32 0x80, v1
	s_cbranch_execz .LBB238_460
; %bb.455:                              ;   in Loop: Header=BB238_264 Depth=1
	v_and_b32_e32 v42, 0x7f, v1
	v_mov_b32_e32 v7, 0x7c010000
	s_mov_b32 s29, exec_lo
	v_cmpx_ne_u32_e32 0x7f, v42
	s_cbranch_execz .LBB238_459
; %bb.456:                              ;   in Loop: Header=BB238_264 Depth=1
	v_and_b32_e32 v7, 7, v1
	v_lshrrev_b32_e32 v8, 3, v42
	s_mov_b32 s30, exec_lo
	v_cmpx_gt_u32_e32 8, v42
; %bb.457:                              ;   in Loop: Header=BB238_264 Depth=1
	v_ffbh_u32_e32 v7, v7
	v_min_u32_e32 v42, 32, v7
	v_subrev_nc_u32_e32 v7, 28, v42
	v_lshlrev_b64 v[7:8], v7, v[1:2]
	v_sub_nc_u32_e32 v8, 29, v42
	v_and_b32_e32 v7, 7, v7
; %bb.458:                              ;   in Loop: Header=BB238_264 Depth=1
	s_or_b32 exec_lo, exec_lo, s30
	v_lshlrev_b32_e32 v1, 8, v1
	v_lshl_add_u32 v8, v8, 10, 0x2000
	v_lshlrev_b32_e32 v7, 23, v7
	v_and_or_b32 v1, 0x8000, v1, v8
	v_lshl_or_b32 v7, v1, 16, v7
.LBB238_459:                            ;   in Loop: Header=BB238_264 Depth=1
	s_or_b32 exec_lo, exec_lo, s29
.LBB238_460:                            ;   in Loop: Header=BB238_264 Depth=1
	s_or_b32 exec_lo, exec_lo, s28
.LBB238_461:                            ;   in Loop: Header=BB238_264 Depth=1
	s_or_b32 exec_lo, exec_lo, s27
	v_or_b32_e32 v1, v37, v38
	s_waitcnt vmcnt(0)
	v_fma_mixlo_f16 v8, v34, v37, 0 op_sel:[0,1,0] op_sel_hi:[0,1,0]
	v_or_b32_e32 v36, v35, v36
	v_or_b32_e32 v38, v41, v40
	;; [unrolled: 1-line block ×3, first 2 shown]
	v_fma_mixlo_f16 v1, v34, v1, 0 op_sel_hi:[0,1,0]
	v_fma_mixlo_f16 v37, v34, v35, 0 op_sel:[0,1,0] op_sel_hi:[0,1,0]
	v_lshlrev_b32_e32 v35, 16, v8
	v_fma_mixlo_f16 v8, v34, v36, 0 op_sel_hi:[0,1,0]
	v_fma_mixlo_f16 v38, v34, v38, 0 op_sel_hi:[0,1,0]
	v_and_b32_e32 v36, 0xffff, v1
	v_fma_mixlo_f16 v1, v34, v41, 0 op_sel:[0,1,0] op_sel_hi:[0,1,0]
	v_fma_mixlo_f16 v40, v34, v7, 0 op_sel:[0,1,0] op_sel_hi:[0,1,0]
	v_fma_mixlo_f16 v39, v34, v39, 0 op_sel_hi:[0,1,0]
	v_lshlrev_b32_e32 v37, 16, v37
	v_and_b32_e32 v41, 0xffff, v8
	v_lshlrev_b32_e32 v7, 16, v1
	v_and_b32_e32 v34, 0xffff, v38
	;; [unrolled: 2-line block ×3, first 2 shown]
	v_or_b32_e32 v38, v35, v36
	v_or_b32_e32 v42, v37, v41
	;; [unrolled: 1-line block ×4, first 2 shown]
	s_and_saveexec_b32 s27, s0
	s_cbranch_execz .LBB238_463
; %bb.462:                              ;   in Loop: Header=BB238_264 Depth=1
	v_add_nc_u32_e32 v38, 1, v12
	v_cmp_gt_i32_e64 s1, s33, v12
	v_add_nc_u32_e32 v39, 2, v12
	v_cndmask_b32_e64 v40, 0, v41, s1
	v_cmp_gt_i32_e64 s1, s33, v38
	v_add_nc_u32_e32 v41, 3, v12
	v_add_nc_u32_e32 v38, 4, v12
	v_cndmask_b32_e64 v37, 0, v37, s1
	v_cmp_gt_i32_e64 s1, s33, v39
	v_add_nc_u32_e32 v39, 5, v12
	v_or_b32_e32 v42, v37, v40
	v_cndmask_b32_e64 v36, 0, v36, s1
	v_cmp_gt_i32_e64 s1, s33, v41
	v_add_nc_u32_e32 v41, 6, v12
	v_cndmask_b32_e64 v35, 0, v35, s1
	v_cmp_gt_i32_e64 s1, s33, v38
	v_add_nc_u32_e32 v38, 7, v12
	v_cndmask_b32_e64 v34, 0, v34, s1
	v_cmp_gt_i32_e64 s1, s33, v39
	v_cndmask_b32_e64 v7, 0, v7, s1
	v_cmp_gt_i32_e64 s1, s33, v41
	v_or_b32_e32 v40, v7, v34
	v_cndmask_b32_e64 v8, 0, v8, s1
	v_cmp_gt_i32_e64 s1, s33, v38
	v_or_b32_e32 v38, v35, v36
	v_cndmask_b32_e64 v1, 0, v1, s1
	v_or_b32_e32 v39, v1, v8
.LBB238_463:                            ;   in Loop: Header=BB238_264 Depth=1
	s_or_b32 exec_lo, exec_lo, s27
	;;#ASMSTART
	v_pk_mul_f16 v1, v33, v42;

	;;#ASMEND
	;;#ASMSTART
	v_pk_mul_f16 v7, v32, v38;

	;;#ASMEND
	;; [unrolled: 4-line block ×4, first 2 shown]
	;;#ASMSTART
	v_pk_add_f16 v1, v1, v7;

	;;#ASMEND
	;;#ASMSTART
	v_pk_add_f16 v1, v1, v8;

	;;#ASMEND
	;; [unrolled: 4-line block ×3, first 2 shown]
	v_and_b32_e32 v7, 0xffff, v1
	v_lshrrev_b32_e32 v1, 16, v1
	;;#ASMSTART
	v_cvt_f32_f16 v7, v7;
	;;#ASMEND
	;;#ASMSTART
	v_cvt_f32_f16 v8, v1;
	;;#ASMEND
	s_and_saveexec_b32 s27, vcc_lo
	s_cbranch_execz .LBB238_262
; %bb.464:                              ;   in Loop: Header=BB238_264 Depth=1
	v_add_co_u32 v5, s1, v5, v25
	v_add_co_ci_u32_e64 v6, null, 0, v6, s1
	v_mov_b32_e32 v35, 0
	v_mov_b32_e32 v36, 0
	global_load_dwordx2 v[5:6], v[5:6], off
	global_load_dword v34, v35, s[14:15]
	s_waitcnt vmcnt(1)
	v_cmp_ne_u16_sdwa s1, v5, v2 src0_sel:BYTE_0 src1_sel:DWORD
	s_and_saveexec_b32 s28, s1
	s_cbranch_execz .LBB238_472
; %bb.465:                              ;   in Loop: Header=BB238_264 Depth=1
	v_cmp_ne_u16_sdwa s1, v5, v21 src0_sel:BYTE_0 src1_sel:DWORD
	v_mov_b32_e32 v36, 0x8000
	s_and_saveexec_b32 s29, s1
	s_cbranch_execz .LBB238_471
; %bb.466:                              ;   in Loop: Header=BB238_264 Depth=1
	v_and_b32_e32 v37, 0x7f, v5
	v_mov_b32_e32 v36, 0x7c01
	s_mov_b32 s30, exec_lo
	v_cmpx_ne_u32_e32 0x7f, v37
	s_cbranch_execz .LBB238_470
; %bb.467:                              ;   in Loop: Header=BB238_264 Depth=1
	v_and_b32_e32 v1, 7, v5
	v_lshrrev_b32_e32 v36, 3, v37
	s_mov_b32 s31, exec_lo
	v_cmpx_gt_u32_e32 8, v37
; %bb.468:                              ;   in Loop: Header=BB238_264 Depth=1
	v_ffbh_u32_e32 v1, v1
	v_min_u32_e32 v1, 32, v1
	v_subrev_nc_u32_e32 v36, 28, v1
	v_lshlrev_b64 v[37:38], v36, v[5:6]
	v_sub_nc_u32_e32 v36, 29, v1
	v_and_b32_e32 v1, 7, v37
; %bb.469:                              ;   in Loop: Header=BB238_264 Depth=1
	s_or_b32 exec_lo, exec_lo, s31
	v_lshlrev_b32_e32 v37, 8, v5
	v_lshl_add_u32 v36, v36, 10, 0x2000
	v_lshlrev_b32_e32 v1, 7, v1
	v_and_b32_e32 v37, 0x8000, v37
	v_and_b32_e32 v36, 0xfc00, v36
	v_or3_b32 v36, v37, v36, v1
.LBB238_470:                            ;   in Loop: Header=BB238_264 Depth=1
	s_or_b32 exec_lo, exec_lo, s30
.LBB238_471:                            ;   in Loop: Header=BB238_264 Depth=1
	s_or_b32 exec_lo, exec_lo, s29
.LBB238_472:                            ;   in Loop: Header=BB238_264 Depth=1
	s_or_b32 exec_lo, exec_lo, s28
	v_lshrrev_b16 v1, 8, v5
	s_mov_b32 s28, exec_lo
	v_cmpx_ne_u16_e32 0, v1
	s_cbranch_execz .LBB238_480
; %bb.473:                              ;   in Loop: Header=BB238_264 Depth=1
	v_bfrev_b32_e32 v35, 1
	s_mov_b32 s29, exec_lo
	v_cmpx_ne_u16_e32 0x80, v1
	s_cbranch_execz .LBB238_479
; %bb.474:                              ;   in Loop: Header=BB238_264 Depth=1
	v_and_b32_sdwa v38, v1, v22 dst_sel:DWORD dst_unused:UNUSED_PAD src0_sel:WORD_0 src1_sel:DWORD
	v_mov_b32_e32 v35, 0x7c010000
	s_mov_b32 s30, exec_lo
	v_cmpx_ne_u32_e32 0x7f, v38
	s_cbranch_execz .LBB238_478
; %bb.475:                              ;   in Loop: Header=BB238_264 Depth=1
	v_and_b32_sdwa v35, v1, v23 dst_sel:DWORD dst_unused:UNUSED_PAD src0_sel:WORD_0 src1_sel:DWORD
	v_lshrrev_b32_e32 v37, 3, v38
	s_mov_b32 s31, exec_lo
	v_cmpx_gt_u32_e32 8, v38
; %bb.476:                              ;   in Loop: Header=BB238_264 Depth=1
	v_ffbh_u32_e32 v35, v35
	v_min_u32_e32 v35, 32, v35
	v_subrev_nc_u32_e32 v37, 28, v35
	v_lshlrev_b64 v[38:39], v37, v[1:2]
	v_sub_nc_u32_e32 v37, 29, v35
	v_and_b32_e32 v35, 7, v38
; %bb.477:                              ;   in Loop: Header=BB238_264 Depth=1
	s_or_b32 exec_lo, exec_lo, s31
	v_lshlrev_b32_sdwa v1, v24, v1 dst_sel:DWORD dst_unused:UNUSED_PAD src0_sel:DWORD src1_sel:WORD_0
	v_lshl_add_u32 v37, v37, 10, 0x2000
	v_lshlrev_b32_e32 v35, 23, v35
	v_and_or_b32 v1, 0x8000, v1, v37
	v_lshl_or_b32 v35, v1, 16, v35
.LBB238_478:                            ;   in Loop: Header=BB238_264 Depth=1
	s_or_b32 exec_lo, exec_lo, s30
.LBB238_479:                            ;   in Loop: Header=BB238_264 Depth=1
	s_or_b32 exec_lo, exec_lo, s29
.LBB238_480:                            ;   in Loop: Header=BB238_264 Depth=1
	s_or_b32 exec_lo, exec_lo, s28
	v_lshrrev_b32_e32 v1, 16, v5
	v_mov_b32_e32 v37, 0
	v_mov_b32_e32 v38, 0
	v_cmp_ne_u16_sdwa s1, v1, v2 src0_sel:BYTE_0 src1_sel:DWORD
	s_and_saveexec_b32 s28, s1
	s_cbranch_execz .LBB238_488
; %bb.481:                              ;   in Loop: Header=BB238_264 Depth=1
	v_cmp_ne_u16_sdwa s1, v1, v21 src0_sel:BYTE_0 src1_sel:DWORD
	v_mov_b32_e32 v38, 0x8000
	s_and_saveexec_b32 s29, s1
	s_cbranch_execz .LBB238_487
; %bb.482:                              ;   in Loop: Header=BB238_264 Depth=1
	v_bfe_u32 v40, v5, 16, 7
	v_mov_b32_e32 v38, 0x7c01
	s_mov_b32 s30, exec_lo
	v_cmpx_ne_u32_e32 0x7f, v40
	s_cbranch_execz .LBB238_486
; %bb.483:                              ;   in Loop: Header=BB238_264 Depth=1
	v_and_b32_e32 v38, 7, v1
	v_lshrrev_b32_e32 v39, 3, v40
	s_mov_b32 s31, exec_lo
	v_cmpx_gt_u32_e32 8, v40
; %bb.484:                              ;   in Loop: Header=BB238_264 Depth=1
	v_ffbh_u32_e32 v38, v38
	v_min_u32_e32 v40, 32, v38
	v_subrev_nc_u32_e32 v38, 28, v40
	v_lshlrev_b64 v[38:39], v38, v[1:2]
	v_sub_nc_u32_e32 v39, 29, v40
	v_and_b32_e32 v38, 7, v38
; %bb.485:                              ;   in Loop: Header=BB238_264 Depth=1
	s_or_b32 exec_lo, exec_lo, s31
	v_lshlrev_b32_e32 v1, 8, v1
	v_lshl_add_u32 v39, v39, 10, 0x2000
	v_lshlrev_b32_e32 v38, 7, v38
	v_and_b32_e32 v1, 0x8000, v1
	v_and_b32_e32 v39, 0xfc00, v39
	v_or3_b32 v38, v1, v39, v38
.LBB238_486:                            ;   in Loop: Header=BB238_264 Depth=1
	s_or_b32 exec_lo, exec_lo, s30
.LBB238_487:                            ;   in Loop: Header=BB238_264 Depth=1
	s_or_b32 exec_lo, exec_lo, s29
.LBB238_488:                            ;   in Loop: Header=BB238_264 Depth=1
	s_or_b32 exec_lo, exec_lo, s28
	s_mov_b32 s28, exec_lo
	v_cmpx_lt_u32_e32 0xffffff, v5
	s_cbranch_execz .LBB238_496
; %bb.489:                              ;   in Loop: Header=BB238_264 Depth=1
	v_lshrrev_b32_e32 v1, 24, v5
	v_bfrev_b32_e32 v37, 1
	s_mov_b32 s29, exec_lo
	v_cmpx_ne_u32_e32 0x80, v1
	s_cbranch_execz .LBB238_495
; %bb.490:                              ;   in Loop: Header=BB238_264 Depth=1
	v_and_b32_e32 v40, 0x7f, v1
	v_mov_b32_e32 v37, 0x7c010000
	s_mov_b32 s30, exec_lo
	v_cmpx_ne_u32_e32 0x7f, v40
	s_cbranch_execz .LBB238_494
; %bb.491:                              ;   in Loop: Header=BB238_264 Depth=1
	v_and_b32_e32 v37, 7, v1
	v_lshrrev_b32_e32 v39, 3, v40
	s_mov_b32 s31, exec_lo
	v_cmpx_gt_u32_e32 8, v40
; %bb.492:                              ;   in Loop: Header=BB238_264 Depth=1
	v_ffbh_u32_e32 v37, v37
	v_min_u32_e32 v37, 32, v37
	v_subrev_nc_u32_e32 v39, 28, v37
	v_lshlrev_b64 v[40:41], v39, v[1:2]
	v_sub_nc_u32_e32 v39, 29, v37
	v_and_b32_e32 v37, 7, v40
; %bb.493:                              ;   in Loop: Header=BB238_264 Depth=1
	s_or_b32 exec_lo, exec_lo, s31
	v_lshlrev_b32_e32 v1, 8, v1
	v_lshl_add_u32 v39, v39, 10, 0x2000
	v_lshlrev_b32_e32 v37, 23, v37
	v_and_or_b32 v1, 0x8000, v1, v39
	v_lshl_or_b32 v37, v1, 16, v37
.LBB238_494:                            ;   in Loop: Header=BB238_264 Depth=1
	s_or_b32 exec_lo, exec_lo, s30
.LBB238_495:                            ;   in Loop: Header=BB238_264 Depth=1
	s_or_b32 exec_lo, exec_lo, s29
.LBB238_496:                            ;   in Loop: Header=BB238_264 Depth=1
	s_or_b32 exec_lo, exec_lo, s28
	v_mov_b32_e32 v1, v6
	v_cmp_ne_u16_sdwa s1, v6, v2 src0_sel:BYTE_0 src1_sel:DWORD
	v_mov_b32_e32 v39, 0
	v_mov_b32_e32 v40, 0
	s_and_saveexec_b32 s28, s1
	s_cbranch_execz .LBB238_504
; %bb.497:                              ;   in Loop: Header=BB238_264 Depth=1
	v_cmp_ne_u16_sdwa s1, v6, v21 src0_sel:BYTE_0 src1_sel:DWORD
	v_mov_b32_e32 v40, 0x8000
	s_and_saveexec_b32 s29, s1
	s_cbranch_execz .LBB238_503
; %bb.498:                              ;   in Loop: Header=BB238_264 Depth=1
	v_and_b32_e32 v42, 0x7f, v6
	v_mov_b32_e32 v40, 0x7c01
	s_mov_b32 s30, exec_lo
	v_cmpx_ne_u32_e32 0x7f, v42
	s_cbranch_execz .LBB238_502
; %bb.499:                              ;   in Loop: Header=BB238_264 Depth=1
	v_and_b32_e32 v40, 7, v6
	v_lshrrev_b32_e32 v41, 3, v42
	s_mov_b32 s31, exec_lo
	v_cmpx_gt_u32_e32 8, v42
; %bb.500:                              ;   in Loop: Header=BB238_264 Depth=1
	v_ffbh_u32_e32 v40, v40
	v_min_u32_e32 v42, 32, v40
	v_subrev_nc_u32_e32 v40, 28, v42
	v_lshlrev_b64 v[40:41], v40, v[1:2]
	v_sub_nc_u32_e32 v41, 29, v42
	v_and_b32_e32 v40, 7, v40
; %bb.501:                              ;   in Loop: Header=BB238_264 Depth=1
	s_or_b32 exec_lo, exec_lo, s31
	v_lshlrev_b32_e32 v42, 8, v6
	v_lshl_add_u32 v41, v41, 10, 0x2000
	v_lshlrev_b32_e32 v40, 7, v40
	v_and_b32_e32 v42, 0x8000, v42
	v_and_b32_e32 v41, 0xfc00, v41
	v_or3_b32 v40, v42, v41, v40
.LBB238_502:                            ;   in Loop: Header=BB238_264 Depth=1
	s_or_b32 exec_lo, exec_lo, s30
.LBB238_503:                            ;   in Loop: Header=BB238_264 Depth=1
	s_or_b32 exec_lo, exec_lo, s29
.LBB238_504:                            ;   in Loop: Header=BB238_264 Depth=1
	s_or_b32 exec_lo, exec_lo, s28
	v_lshrrev_b16 v1, 8, v1
	v_mov_b32_e32 v41, 0
	s_mov_b32 s28, exec_lo
	v_cmpx_ne_u16_e32 0, v1
	s_cbranch_execz .LBB238_512
; %bb.505:                              ;   in Loop: Header=BB238_264 Depth=1
	v_bfrev_b32_e32 v41, 1
	s_mov_b32 s29, exec_lo
	v_cmpx_ne_u16_e32 0x80, v1
	s_cbranch_execz .LBB238_511
; %bb.506:                              ;   in Loop: Header=BB238_264 Depth=1
	v_and_b32_sdwa v43, v1, v22 dst_sel:DWORD dst_unused:UNUSED_PAD src0_sel:WORD_0 src1_sel:DWORD
	v_mov_b32_e32 v41, 0x7c010000
	s_mov_b32 s30, exec_lo
	v_cmpx_ne_u32_e32 0x7f, v43
	s_cbranch_execz .LBB238_510
; %bb.507:                              ;   in Loop: Header=BB238_264 Depth=1
	v_and_b32_sdwa v41, v1, v23 dst_sel:DWORD dst_unused:UNUSED_PAD src0_sel:WORD_0 src1_sel:DWORD
	v_lshrrev_b32_e32 v42, 3, v43
	s_mov_b32 s31, exec_lo
	v_cmpx_gt_u32_e32 8, v43
; %bb.508:                              ;   in Loop: Header=BB238_264 Depth=1
	v_ffbh_u32_e32 v41, v41
	v_min_u32_e32 v43, 32, v41
	v_subrev_nc_u32_e32 v41, 28, v43
	v_lshlrev_b64 v[41:42], v41, v[1:2]
	v_sub_nc_u32_e32 v42, 29, v43
	v_and_b32_e32 v41, 7, v41
; %bb.509:                              ;   in Loop: Header=BB238_264 Depth=1
	s_or_b32 exec_lo, exec_lo, s31
	v_lshlrev_b32_sdwa v1, v24, v1 dst_sel:DWORD dst_unused:UNUSED_PAD src0_sel:DWORD src1_sel:WORD_0
	v_lshl_add_u32 v42, v42, 10, 0x2000
	v_lshlrev_b32_e32 v41, 23, v41
	v_and_or_b32 v1, 0x8000, v1, v42
	v_lshl_or_b32 v41, v1, 16, v41
.LBB238_510:                            ;   in Loop: Header=BB238_264 Depth=1
	s_or_b32 exec_lo, exec_lo, s30
.LBB238_511:                            ;   in Loop: Header=BB238_264 Depth=1
	s_or_b32 exec_lo, exec_lo, s29
.LBB238_512:                            ;   in Loop: Header=BB238_264 Depth=1
	s_or_b32 exec_lo, exec_lo, s28
	v_lshrrev_b32_e32 v1, 16, v6
	v_cmp_ne_u16_sdwa s1, v1, v2 src0_sel:BYTE_0 src1_sel:DWORD
	s_and_saveexec_b32 s28, s1
	s_cbranch_execz .LBB238_520
; %bb.513:                              ;   in Loop: Header=BB238_264 Depth=1
	v_cmp_ne_u16_sdwa s1, v1, v21 src0_sel:BYTE_0 src1_sel:DWORD
	v_mov_b32_e32 v39, 0x8000
	s_and_saveexec_b32 s29, s1
	s_cbranch_execz .LBB238_519
; %bb.514:                              ;   in Loop: Header=BB238_264 Depth=1
	v_bfe_u32 v43, v6, 16, 7
	v_mov_b32_e32 v39, 0x7c01
	s_mov_b32 s30, exec_lo
	v_cmpx_ne_u32_e32 0x7f, v43
	s_cbranch_execz .LBB238_518
; %bb.515:                              ;   in Loop: Header=BB238_264 Depth=1
	v_and_b32_e32 v39, 7, v1
	v_lshrrev_b32_e32 v42, 3, v43
	s_mov_b32 s31, exec_lo
	v_cmpx_gt_u32_e32 8, v43
; %bb.516:                              ;   in Loop: Header=BB238_264 Depth=1
	v_ffbh_u32_e32 v39, v39
	v_min_u32_e32 v39, 32, v39
	v_subrev_nc_u32_e32 v42, 28, v39
	v_lshlrev_b64 v[43:44], v42, v[1:2]
	v_sub_nc_u32_e32 v42, 29, v39
	v_and_b32_e32 v39, 7, v43
; %bb.517:                              ;   in Loop: Header=BB238_264 Depth=1
	s_or_b32 exec_lo, exec_lo, s31
	v_lshlrev_b32_e32 v1, 8, v1
	v_lshl_add_u32 v42, v42, 10, 0x2000
	v_lshlrev_b32_e32 v39, 7, v39
	v_and_b32_e32 v1, 0x8000, v1
	v_and_b32_e32 v42, 0xfc00, v42
	v_or3_b32 v39, v1, v42, v39
.LBB238_518:                            ;   in Loop: Header=BB238_264 Depth=1
	s_or_b32 exec_lo, exec_lo, s30
.LBB238_519:                            ;   in Loop: Header=BB238_264 Depth=1
	s_or_b32 exec_lo, exec_lo, s29
.LBB238_520:                            ;   in Loop: Header=BB238_264 Depth=1
	s_or_b32 exec_lo, exec_lo, s28
	v_cmp_lt_u64_e64 s1, s[4:5], v[5:6]
	v_mov_b32_e32 v5, 0
	s_and_saveexec_b32 s28, s1
	s_cbranch_execz .LBB238_528
; %bb.521:                              ;   in Loop: Header=BB238_264 Depth=1
	v_lshrrev_b32_e32 v1, 24, v6
	v_bfrev_b32_e32 v5, 1
	s_mov_b32 s29, exec_lo
	v_cmpx_ne_u32_e32 0x80, v1
	s_cbranch_execz .LBB238_527
; %bb.522:                              ;   in Loop: Header=BB238_264 Depth=1
	v_and_b32_e32 v42, 0x7f, v1
	v_mov_b32_e32 v5, 0x7c010000
	s_mov_b32 s30, exec_lo
	v_cmpx_ne_u32_e32 0x7f, v42
	s_cbranch_execz .LBB238_526
; %bb.523:                              ;   in Loop: Header=BB238_264 Depth=1
	v_and_b32_e32 v5, 7, v1
	v_lshrrev_b32_e32 v6, 3, v42
	s_mov_b32 s31, exec_lo
	v_cmpx_gt_u32_e32 8, v42
; %bb.524:                              ;   in Loop: Header=BB238_264 Depth=1
	v_ffbh_u32_e32 v5, v5
	v_min_u32_e32 v42, 32, v5
	v_subrev_nc_u32_e32 v5, 28, v42
	v_lshlrev_b64 v[5:6], v5, v[1:2]
	v_sub_nc_u32_e32 v6, 29, v42
	v_and_b32_e32 v5, 7, v5
; %bb.525:                              ;   in Loop: Header=BB238_264 Depth=1
	s_or_b32 exec_lo, exec_lo, s31
	v_lshlrev_b32_e32 v1, 8, v1
	v_lshl_add_u32 v6, v6, 10, 0x2000
	v_lshlrev_b32_e32 v5, 23, v5
	v_and_or_b32 v1, 0x8000, v1, v6
	v_lshl_or_b32 v5, v1, 16, v5
.LBB238_526:                            ;   in Loop: Header=BB238_264 Depth=1
	s_or_b32 exec_lo, exec_lo, s30
.LBB238_527:                            ;   in Loop: Header=BB238_264 Depth=1
	s_or_b32 exec_lo, exec_lo, s29
.LBB238_528:                            ;   in Loop: Header=BB238_264 Depth=1
	s_or_b32 exec_lo, exec_lo, s28
	v_or_b32_e32 v1, v37, v38
	s_waitcnt vmcnt(0)
	v_fma_mixlo_f16 v6, v34, v37, 0 op_sel:[0,1,0] op_sel_hi:[0,1,0]
	v_or_b32_e32 v36, v35, v36
	v_or_b32_e32 v38, v41, v40
	;; [unrolled: 1-line block ×3, first 2 shown]
	v_fma_mixlo_f16 v1, v34, v1, 0 op_sel_hi:[0,1,0]
	v_fma_mixlo_f16 v37, v34, v35, 0 op_sel:[0,1,0] op_sel_hi:[0,1,0]
	v_lshlrev_b32_e32 v35, 16, v6
	v_fma_mixlo_f16 v6, v34, v36, 0 op_sel_hi:[0,1,0]
	v_fma_mixlo_f16 v38, v34, v38, 0 op_sel_hi:[0,1,0]
	v_and_b32_e32 v36, 0xffff, v1
	v_fma_mixlo_f16 v1, v34, v41, 0 op_sel:[0,1,0] op_sel_hi:[0,1,0]
	v_fma_mixlo_f16 v40, v34, v5, 0 op_sel:[0,1,0] op_sel_hi:[0,1,0]
	v_fma_mixlo_f16 v39, v34, v39, 0 op_sel_hi:[0,1,0]
	v_lshlrev_b32_e32 v37, 16, v37
	v_and_b32_e32 v42, 0xffff, v6
	v_lshlrev_b32_e32 v5, 16, v1
	v_and_b32_e32 v34, 0xffff, v38
	v_lshlrev_b32_e32 v1, 16, v40
	v_and_b32_e32 v6, 0xffff, v39
	v_or_b32_e32 v40, v35, v36
	v_or_b32_e32 v41, v37, v42
	;; [unrolled: 1-line block ×4, first 2 shown]
	s_and_saveexec_b32 s1, s0
	s_cbranch_execz .LBB238_261
; %bb.529:                              ;   in Loop: Header=BB238_264 Depth=1
	v_add_nc_u32_e32 v38, 1, v12
	v_cmp_gt_i32_e64 s0, s33, v12
	v_add_nc_u32_e32 v39, 2, v12
	v_add_nc_u32_e32 v41, 3, v12
	v_cndmask_b32_e64 v40, 0, v42, s0
	v_cmp_gt_i32_e64 s0, s33, v38
	v_add_nc_u32_e32 v38, 4, v12
	v_cndmask_b32_e64 v37, 0, v37, s0
	v_cmp_gt_i32_e64 s0, s33, v39
	;; [unrolled: 3-line block ×5, first 2 shown]
	v_cndmask_b32_e64 v5, 0, v5, s0
	v_cmp_gt_i32_e64 s0, s33, v41
	v_or_b32_e32 v41, v37, v40
	v_or_b32_e32 v40, v35, v36
	;; [unrolled: 1-line block ×3, first 2 shown]
	v_cndmask_b32_e64 v6, 0, v6, s0
	v_cmp_gt_i32_e64 s0, s33, v38
	v_cndmask_b32_e64 v1, 0, v1, s0
	v_or_b32_e32 v38, v1, v6
	s_branch .LBB238_261
.LBB238_530:
	s_or_b32 exec_lo, exec_lo, s22
.LBB238_531:
	s_or_b32 exec_lo, exec_lo, s12
	s_movk_i32 s0, 0x1c0
	v_and_b32_e32 v1, 0x3c0, v0
	v_mad_u32_u24 v4, v11, s0, 0x100
	v_or_b32_e32 v3, 0x60, v0
	s_mov_b32 s0, exec_lo
	s_barrier
	buffer_gl0_inv
	v_cmpx_eq_u32_e32 64, v1
	s_cbranch_execz .LBB238_534
; %bb.532:
	v_add_nc_u32_e32 v1, 0xfffffc80, v4
	v_cmp_gt_u32_e32 vcc_lo, 0x70, v3
	v_lshl_add_u32 v2, v13, 2, v1
	ds_write2_b32 v2, v18, v17 offset1:32
	ds_write_b32 v2, v16 offset:256
	s_and_b32 exec_lo, exec_lo, vcc_lo
; %bb.533:
	v_lshl_add_u32 v1, v3, 2, v1
	ds_write_b32 v1, v15
.LBB238_534:
	s_or_b32 exec_lo, exec_lo, s0
	v_lshl_add_u32 v5, v13, 2, v4
	s_mov_b32 s0, exec_lo
	s_waitcnt lgkmcnt(0)
	s_barrier
	buffer_gl0_inv
	v_cmpx_gt_u32_e32 64, v0
	s_cbranch_execz .LBB238_538
; %bb.535:
	v_lshl_or_b32 v1, v0, 2, 0x80
	s_mov_b32 s1, exec_lo
	v_add_nc_u32_e32 v6, v4, v1
	ds_read2st64_b32 v[1:2], v5 offset1:1
	ds_read_b32 v6, v6
	v_cmpx_gt_u32_e32 0x70, v3
	s_cbranch_execz .LBB238_537
; %bb.536:
	v_lshl_add_u32 v7, v3, 2, v4
	ds_read_b32 v7, v7
	s_waitcnt lgkmcnt(0)
	v_add_f32_e32 v15, v15, v7
.LBB238_537:
	s_or_b32 exec_lo, exec_lo, s1
	s_waitcnt lgkmcnt(1)
	v_add_f32_e32 v18, v18, v1
	s_waitcnt lgkmcnt(0)
	v_add_f32_e32 v17, v17, v6
	v_add_f32_e32 v16, v16, v2
.LBB238_538:
	s_or_b32 exec_lo, exec_lo, s0
	v_and_b32_e32 v1, 0x3e0, v0
	s_mov_b32 s0, exec_lo
	s_barrier
	buffer_gl0_inv
	v_cmpx_eq_u32_e32 32, v1
	s_cbranch_execz .LBB238_541
; %bb.539:
	v_lshl_add_u32 v1, v13, 2, 0x100
	v_cmp_gt_u32_e32 vcc_lo, 0x70, v3
	ds_write_b32 v1, v18
	ds_write_b32 v14, v17
	ds_write_b32 v1, v16 offset:256
	s_and_b32 exec_lo, exec_lo, vcc_lo
; %bb.540:
	v_lshl_add_u32 v1, v3, 2, 0x100
	ds_write_b32 v1, v15
.LBB238_541:
	s_or_b32 exec_lo, exec_lo, s0
	v_cmp_gt_u32_e32 vcc_lo, 32, v0
	s_waitcnt lgkmcnt(0)
	s_barrier
	buffer_gl0_inv
	s_and_saveexec_b32 s1, vcc_lo
	s_cbranch_execz .LBB238_545
; %bb.542:
	v_lshl_add_u32 v6, v0, 2, v4
	s_mov_b32 s2, exec_lo
	ds_read_b32 v4, v5
	ds_read2_b32 v[1:2], v6 offset0:32 offset1:64
	v_cmpx_gt_u32_e32 0x70, v3
	s_cbranch_execz .LBB238_544
; %bb.543:
	ds_read_b32 v5, v6 offset:384
	s_waitcnt lgkmcnt(0)
	v_add_f32_e32 v15, v15, v5
.LBB238_544:
	s_or_b32 exec_lo, exec_lo, s2
	s_waitcnt lgkmcnt(1)
	v_add_f32_e32 v18, v18, v4
	s_waitcnt lgkmcnt(0)
	v_add_f32_e32 v17, v17, v1
	v_add_f32_e32 v16, v16, v2
.LBB238_545:
	s_or_b32 exec_lo, exec_lo, s1
	s_barrier
	buffer_gl0_inv
	s_and_saveexec_b32 s0, vcc_lo
	s_cbranch_execz .LBB238_548
; %bb.546:
	s_mul_i32 s0, s10, s11
	s_mul_i32 s2, s11, s24
	;; [unrolled: 1-line block ×3, first 2 shown]
	v_lshlrev_b32_e32 v0, 1, v0
	s_mulk_i32 s0, 0x70
	v_cmp_gt_u32_e32 vcc_lo, 0x70, v3
	s_ashr_i32 s1, s0, 31
	;;#ASMSTART
	v_cvt_f16_f32 v1, v18;

	;;#ASMEND
	s_lshl_b64 s[0:1], s[0:1], 1
	s_add_u32 s4, s6, s0
	s_addc_u32 s5, s7, s1
	s_ashr_i32 s3, s2, 31
	s_lshl_b64 s[0:1], s[2:3], 1
	s_mul_i32 s2, s8, 0x70
	s_add_u32 s4, s4, s0
	s_addc_u32 s5, s5, s1
	s_ashr_i32 s3, s2, 31
	s_lshl_b64 s[0:1], s[2:3], 1
	s_add_u32 s0, s4, s0
	s_addc_u32 s1, s5, s1
	global_store_short v0, v1, s[0:1]
	;;#ASMSTART
	v_cvt_f16_f32 v1, v17;

	;;#ASMEND
	global_store_short v0, v1, s[0:1] offset:64
	;;#ASMSTART
	v_cvt_f16_f32 v1, v16;

	;;#ASMEND
	global_store_short v0, v1, s[0:1] offset:128
	s_and_b32 exec_lo, exec_lo, vcc_lo
	s_cbranch_execz .LBB238_548
; %bb.547:
	v_add_co_u32 v0, s0, s0, v0
	v_add_co_ci_u32_e64 v1, null, s1, 0, s0
	;;#ASMSTART
	v_cvt_f16_f32 v2, v15;

	;;#ASMEND
	global_store_short v[0:1], v2, off offset:192
.LBB238_548:
	s_endpgm
	.section	.rodata,"a",@progbits
	.p2align	6, 0x0
	.amdhsa_kernel _ZN4vllm25paged_attention_v1_kernelIthLi112ELi8ELi128ELNS_18Fp8KVCacheDataTypeE1ELb1EEEvPT_PKS2_PKT0_S8_ifPKiSA_iPKfiiiSC_SC_iiiii
		.amdhsa_group_segment_fixed_size 256
		.amdhsa_private_segment_fixed_size 0
		.amdhsa_kernarg_size 384
		.amdhsa_user_sgpr_count 6
		.amdhsa_user_sgpr_private_segment_buffer 1
		.amdhsa_user_sgpr_dispatch_ptr 0
		.amdhsa_user_sgpr_queue_ptr 0
		.amdhsa_user_sgpr_kernarg_segment_ptr 1
		.amdhsa_user_sgpr_dispatch_id 0
		.amdhsa_user_sgpr_flat_scratch_init 0
		.amdhsa_user_sgpr_private_segment_size 0
		.amdhsa_wavefront_size32 1
		.amdhsa_uses_dynamic_stack 0
		.amdhsa_system_sgpr_private_segment_wavefront_offset 0
		.amdhsa_system_sgpr_workgroup_id_x 1
		.amdhsa_system_sgpr_workgroup_id_y 1
		.amdhsa_system_sgpr_workgroup_id_z 1
		.amdhsa_system_sgpr_workgroup_info 0
		.amdhsa_system_vgpr_workitem_id 0
		.amdhsa_next_free_vgpr 76
		.amdhsa_next_free_sgpr 44
		.amdhsa_reserve_vcc 1
		.amdhsa_reserve_flat_scratch 0
		.amdhsa_float_round_mode_32 0
		.amdhsa_float_round_mode_16_64 0
		.amdhsa_float_denorm_mode_32 3
		.amdhsa_float_denorm_mode_16_64 3
		.amdhsa_dx10_clamp 1
		.amdhsa_ieee_mode 1
		.amdhsa_fp16_overflow 0
		.amdhsa_workgroup_processor_mode 1
		.amdhsa_memory_ordered 1
		.amdhsa_forward_progress 1
		.amdhsa_shared_vgpr_count 0
		.amdhsa_exception_fp_ieee_invalid_op 0
		.amdhsa_exception_fp_denorm_src 0
		.amdhsa_exception_fp_ieee_div_zero 0
		.amdhsa_exception_fp_ieee_overflow 0
		.amdhsa_exception_fp_ieee_underflow 0
		.amdhsa_exception_fp_ieee_inexact 0
		.amdhsa_exception_int_div_zero 0
	.end_amdhsa_kernel
	.section	.text._ZN4vllm25paged_attention_v1_kernelIthLi112ELi8ELi128ELNS_18Fp8KVCacheDataTypeE1ELb1EEEvPT_PKS2_PKT0_S8_ifPKiSA_iPKfiiiSC_SC_iiiii,"axG",@progbits,_ZN4vllm25paged_attention_v1_kernelIthLi112ELi8ELi128ELNS_18Fp8KVCacheDataTypeE1ELb1EEEvPT_PKS2_PKT0_S8_ifPKiSA_iPKfiiiSC_SC_iiiii,comdat
.Lfunc_end238:
	.size	_ZN4vllm25paged_attention_v1_kernelIthLi112ELi8ELi128ELNS_18Fp8KVCacheDataTypeE1ELb1EEEvPT_PKS2_PKT0_S8_ifPKiSA_iPKfiiiSC_SC_iiiii, .Lfunc_end238-_ZN4vllm25paged_attention_v1_kernelIthLi112ELi8ELi128ELNS_18Fp8KVCacheDataTypeE1ELb1EEEvPT_PKS2_PKT0_S8_ifPKiSA_iPKfiiiSC_SC_iiiii
                                        ; -- End function
	.set _ZN4vllm25paged_attention_v1_kernelIthLi112ELi8ELi128ELNS_18Fp8KVCacheDataTypeE1ELb1EEEvPT_PKS2_PKT0_S8_ifPKiSA_iPKfiiiSC_SC_iiiii.num_vgpr, 76
	.set _ZN4vllm25paged_attention_v1_kernelIthLi112ELi8ELi128ELNS_18Fp8KVCacheDataTypeE1ELb1EEEvPT_PKS2_PKT0_S8_ifPKiSA_iPKfiiiSC_SC_iiiii.num_agpr, 0
	.set _ZN4vllm25paged_attention_v1_kernelIthLi112ELi8ELi128ELNS_18Fp8KVCacheDataTypeE1ELb1EEEvPT_PKS2_PKT0_S8_ifPKiSA_iPKfiiiSC_SC_iiiii.numbered_sgpr, 44
	.set _ZN4vllm25paged_attention_v1_kernelIthLi112ELi8ELi128ELNS_18Fp8KVCacheDataTypeE1ELb1EEEvPT_PKS2_PKT0_S8_ifPKiSA_iPKfiiiSC_SC_iiiii.num_named_barrier, 0
	.set _ZN4vllm25paged_attention_v1_kernelIthLi112ELi8ELi128ELNS_18Fp8KVCacheDataTypeE1ELb1EEEvPT_PKS2_PKT0_S8_ifPKiSA_iPKfiiiSC_SC_iiiii.private_seg_size, 0
	.set _ZN4vllm25paged_attention_v1_kernelIthLi112ELi8ELi128ELNS_18Fp8KVCacheDataTypeE1ELb1EEEvPT_PKS2_PKT0_S8_ifPKiSA_iPKfiiiSC_SC_iiiii.uses_vcc, 1
	.set _ZN4vllm25paged_attention_v1_kernelIthLi112ELi8ELi128ELNS_18Fp8KVCacheDataTypeE1ELb1EEEvPT_PKS2_PKT0_S8_ifPKiSA_iPKfiiiSC_SC_iiiii.uses_flat_scratch, 0
	.set _ZN4vllm25paged_attention_v1_kernelIthLi112ELi8ELi128ELNS_18Fp8KVCacheDataTypeE1ELb1EEEvPT_PKS2_PKT0_S8_ifPKiSA_iPKfiiiSC_SC_iiiii.has_dyn_sized_stack, 0
	.set _ZN4vllm25paged_attention_v1_kernelIthLi112ELi8ELi128ELNS_18Fp8KVCacheDataTypeE1ELb1EEEvPT_PKS2_PKT0_S8_ifPKiSA_iPKfiiiSC_SC_iiiii.has_recursion, 0
	.set _ZN4vllm25paged_attention_v1_kernelIthLi112ELi8ELi128ELNS_18Fp8KVCacheDataTypeE1ELb1EEEvPT_PKS2_PKT0_S8_ifPKiSA_iPKfiiiSC_SC_iiiii.has_indirect_call, 0
	.section	.AMDGPU.csdata,"",@progbits
; Kernel info:
; codeLenInByte = 19388
; TotalNumSgprs: 46
; NumVgprs: 76
; ScratchSize: 0
; MemoryBound: 0
; FloatMode: 240
; IeeeMode: 1
; LDSByteSize: 256 bytes/workgroup (compile time only)
; SGPRBlocks: 0
; VGPRBlocks: 9
; NumSGPRsForWavesPerEU: 46
; NumVGPRsForWavesPerEU: 76
; Occupancy: 12
; WaveLimiterHint : 1
; COMPUTE_PGM_RSRC2:SCRATCH_EN: 0
; COMPUTE_PGM_RSRC2:USER_SGPR: 6
; COMPUTE_PGM_RSRC2:TRAP_HANDLER: 0
; COMPUTE_PGM_RSRC2:TGID_X_EN: 1
; COMPUTE_PGM_RSRC2:TGID_Y_EN: 1
; COMPUTE_PGM_RSRC2:TGID_Z_EN: 1
; COMPUTE_PGM_RSRC2:TIDIG_COMP_CNT: 0
	.section	.text._ZN4vllm25paged_attention_v1_kernelIthLi120ELi8ELi128ELNS_18Fp8KVCacheDataTypeE1ELb1EEEvPT_PKS2_PKT0_S8_ifPKiSA_iPKfiiiSC_SC_iiiii,"axG",@progbits,_ZN4vllm25paged_attention_v1_kernelIthLi120ELi8ELi128ELNS_18Fp8KVCacheDataTypeE1ELb1EEEvPT_PKS2_PKT0_S8_ifPKiSA_iPKfiiiSC_SC_iiiii,comdat
	.protected	_ZN4vllm25paged_attention_v1_kernelIthLi120ELi8ELi128ELNS_18Fp8KVCacheDataTypeE1ELb1EEEvPT_PKS2_PKT0_S8_ifPKiSA_iPKfiiiSC_SC_iiiii ; -- Begin function _ZN4vllm25paged_attention_v1_kernelIthLi120ELi8ELi128ELNS_18Fp8KVCacheDataTypeE1ELb1EEEvPT_PKS2_PKT0_S8_ifPKiSA_iPKfiiiSC_SC_iiiii
	.globl	_ZN4vllm25paged_attention_v1_kernelIthLi120ELi8ELi128ELNS_18Fp8KVCacheDataTypeE1ELb1EEEvPT_PKS2_PKT0_S8_ifPKiSA_iPKfiiiSC_SC_iiiii
	.p2align	8
	.type	_ZN4vllm25paged_attention_v1_kernelIthLi120ELi8ELi128ELNS_18Fp8KVCacheDataTypeE1ELb1EEEvPT_PKS2_PKT0_S8_ifPKiSA_iPKfiiiSC_SC_iiiii,@function
_ZN4vllm25paged_attention_v1_kernelIthLi120ELi8ELi128ELNS_18Fp8KVCacheDataTypeE1ELb1EEEvPT_PKS2_PKT0_S8_ifPKiSA_iPKfiiiSC_SC_iiiii: ; @_ZN4vllm25paged_attention_v1_kernelIthLi120ELi8ELi128ELNS_18Fp8KVCacheDataTypeE1ELb1EEEvPT_PKS2_PKT0_S8_ifPKiSA_iPKfiiiSC_SC_iiiii
; %bb.0:
	s_clause 0x2
	s_load_dword s9, s[4:5], 0x80
	s_load_dwordx2 s[0:1], s[4:5], 0x30
	s_load_dwordx2 s[34:35], s[4:5], 0x20
	s_mov_b32 s10, s7
	s_ashr_i32 s11, s7, 31
	s_mov_b32 s36, 0
	s_lshl_b64 s[2:3], s[10:11], 2
	s_waitcnt lgkmcnt(0)
	s_add_u32 s0, s0, s2
	s_addc_u32 s1, s1, s3
	s_abs_i32 s2, s34
	s_abs_i32 s11, s9
	v_cvt_f32_u32_e32 v1, s2
	s_sub_i32 s7, 0, s2
	v_rcp_iflag_f32_e32 v1, v1
	v_mul_f32_e32 v1, 0x4f7ffffe, v1
	v_cvt_u32_f32_e32 v1, v1
	v_readfirstlane_b32 s3, v1
	s_mul_i32 s7, s7, s3
	s_mul_hi_u32 s7, s3, s7
	s_add_i32 s3, s3, s7
	s_xor_b32 s7, s9, s34
	s_mul_hi_u32 s3, s11, s3
	s_ashr_i32 s7, s7, 31
	s_mul_i32 s12, s3, s2
	s_sub_i32 s11, s11, s12
	s_add_i32 s12, s3, 1
	s_sub_i32 s13, s11, s2
	s_cmp_ge_u32 s11, s2
	s_cselect_b32 s3, s12, s3
	s_cselect_b32 s11, s13, s11
	s_add_i32 s12, s3, 1
	s_cmp_ge_u32 s11, s2
	s_cselect_b32 s2, s12, s3
	s_xor_b32 s2, s2, s7
	s_sub_i32 s14, s2, s7
	s_load_dwordx2 s[2:3], s[4:5], 0x40
	s_abs_i32 s11, s14
	v_cvt_f32_u32_e32 v1, s11
	s_sub_i32 s12, 0, s11
	v_rcp_iflag_f32_e32 v1, v1
	v_mul_f32_e32 v1, 0x4f7ffffe, v1
	v_cvt_u32_f32_e32 v1, v1
	v_readfirstlane_b32 s7, v1
	s_mul_i32 s12, s12, s7
	s_mul_hi_u32 s13, s7, s12
	s_abs_i32 s12, s6
	s_add_i32 s7, s7, s13
	s_waitcnt lgkmcnt(0)
	s_cmp_eq_u64 s[2:3], 0
	s_mul_hi_u32 s13, s12, s7
	s_cbranch_scc1 .LBB239_2
; %bb.1:
	s_ashr_i32 s7, s6, 31
	s_lshl_b64 s[16:17], s[6:7], 2
	s_add_u32 s2, s2, s16
	s_addc_u32 s3, s3, s17
	s_load_dword s36, s[2:3], 0x0
.LBB239_2:
	s_load_dword s33, s[0:1], 0x0
	s_load_dwordx4 s[16:19], s[4:5], 0x48
	v_and_b32_e32 v1, 3, v0
	s_ashr_i32 s0, s6, 31
	s_ashr_i32 s1, s14, 31
	s_mul_i32 s24, s6, 0x78
	s_mov_b32 s2, exec_lo
	v_cmpx_gt_u32_e32 60, v0
	s_cbranch_execz .LBB239_4
; %bb.3:
	s_load_dwordx2 s[14:15], s[4:5], 0x8
	s_waitcnt lgkmcnt(0)
	s_mul_i32 s20, s16, s10
	v_lshlrev_b32_e32 v2, 2, v0
	s_ashr_i32 s21, s20, 31
	v_and_b32_e32 v3, 0x3fc, v0
	s_lshl_b64 s[20:21], s[20:21], 1
	v_mad_u32_u24 v3, v1, 60, v3
	s_add_u32 s3, s14, s20
	s_addc_u32 s7, s15, s21
	s_ashr_i32 s25, s24, 31
	s_lshl_b64 s[14:15], s[24:25], 1
	s_add_u32 s14, s3, s14
	s_addc_u32 s15, s7, s15
	global_load_dword v2, v2, s[14:15]
	s_waitcnt vmcnt(0)
	ds_write_b32 v3, v2
.LBB239_4:
	s_or_b32 exec_lo, exec_lo, s2
	s_load_dwordx4 s[20:23], s[4:5], 0x68
	s_mul_i32 s2, s13, s11
	s_xor_b32 s1, s0, s1
	s_sub_i32 s0, s12, s2
	s_add_i32 s2, s13, 1
	s_sub_i32 s3, s0, s11
	s_cmp_ge_u32 s0, s11
	s_mov_b32 s12, -1
	s_cselect_b32 s2, s2, s13
	s_cselect_b32 s0, s3, s0
	s_add_i32 s3, s2, 1
	s_cmp_ge_u32 s0, s11
	s_load_dword s0, s[4:5], 0x78
	s_cselect_b32 s2, s3, s2
	s_waitcnt lgkmcnt(0)
	s_add_i32 s7, s33, -1
	s_xor_b32 s2, s2, s1
	s_abs_i32 s3, s7
	s_sub_i32 s1, s2, s1
	s_barrier
	s_abs_i32 s16, s23
	buffer_gl0_inv
	v_cvt_f32_u32_e32 v2, s16
	s_sub_i32 s2, 0, s16
                                        ; implicit-def: $sgpr25
	v_rcp_iflag_f32_e32 v2, v2
	v_mul_f32_e32 v2, 0x4f7ffffe, v2
	v_cvt_u32_f32_e32 v2, v2
	v_readfirstlane_b32 s19, v2
	s_mul_i32 s2, s2, s19
	s_mul_hi_u32 s2, s19, s2
	s_add_i32 s19, s19, s2
	s_cmp_lt_i32 s0, 0
	s_mul_hi_u32 s2, s3, s19
	s_cbranch_scc0 .LBB239_6
; %bb.5:
	s_mul_i32 s11, s20, s34
	s_mov_b32 s12, 0
	s_add_i32 s11, s1, s11
	s_mul_i32 s11, s11, s0
	s_sub_i32 s25, 1, s11
.LBB239_6:
	s_load_dwordx2 s[26:27], s[4:5], 0x28
	s_ashr_i32 s11, s7, 31
	s_andn2_b32 vcc_lo, exec_lo, s12
	s_ashr_i32 s23, s23, 31
	s_cbranch_vccnz .LBB239_8
; %bb.7:
	s_mul_i32 s7, s9, s20
	s_add_i32 s6, s7, s6
	s_mul_i32 s0, s6, s0
	s_add_i32 s25, s0, 1
.LBB239_8:
	s_clause 0x2
	s_load_dword s0, s[4:5], 0x38
	s_load_dwordx2 s[6:7], s[4:5], 0x0
	s_load_dwordx2 s[30:31], s[4:5], 0x18
	s_xor_b32 s34, s11, s23
	s_mul_i32 s11, s2, s16
	s_add_i32 s20, s2, 1
	s_sub_i32 s3, s3, s11
	s_clause 0x1
	s_load_dword s11, s[4:5], 0x88
	s_load_dwordx4 s[12:15], s[4:5], 0x58
	v_lshrrev_b32_e32 v11, 5, v0
	v_mov_b32_e32 v15, 0xff7fffff
	v_lshrrev_b32_e32 v9, 3, v0
	v_mbcnt_lo_u32_b32 v10, -1, 0
	s_mul_i32 s18, s1, s18
	v_lshlrev_b32_e32 v12, 3, v11
	s_waitcnt lgkmcnt(0)
	s_mul_i32 s28, s0, s10
	s_sub_i32 s0, s3, s16
	s_ashr_i32 s29, s28, 31
	s_cmp_ge_u32 s3, s16
	s_cselect_b32 s2, s20, s2
	s_cselect_b32 s0, s0, s3
	s_add_i32 s3, s2, 1
	s_cmp_ge_u32 s0, s16
	s_cselect_b32 s0, s3, s2
	s_add_i32 s2, s33, 7
	s_ashr_i32 s3, s2, 31
	s_lshr_b32 s3, s3, 29
	s_add_i32 s2, s2, s3
	s_ashr_i32 s20, s2, 3
	s_xor_b32 s2, s0, s34
	v_cmp_gt_i32_e64 s0, s20, v11
	s_sub_i32 s34, s2, s34
	s_and_saveexec_b32 s37, s0
	s_cbranch_execz .LBB239_260
; %bb.9:
	s_load_dwordx2 s[2:3], s[4:5], 0x10
	s_sub_i32 s4, s34, s21
	s_ashr_i32 s1, s18, 31
	v_bfe_u32 v13, v0, 2, 3
	v_cmp_eq_u32_e32 vcc_lo, 0, v1
	v_lshlrev_b32_e32 v5, 1, v1
	v_mul_u32_u24_e32 v14, 60, v1
	v_and_b32_e32 v1, 0x7c, v9
	v_lshlrev_b32_e32 v4, 2, v13
	v_subrev_nc_u32_e32 v6, s33, v13
	v_mov_b32_e32 v2, 0
	v_lshlrev_b32_e32 v16, 3, v11
	v_mov_b32_e32 v17, 0xff7fffff
	v_lshl_or_b32 v4, v11, 5, v4
	v_add_nc_u32_e32 v22, 1, v6
	v_mov_b32_e32 v18, 0x80
	v_mov_b32_e32 v19, 0x7f
	;; [unrolled: 1-line block ×3, first 2 shown]
	v_add_nc_u32_e32 v23, 0x110, v4
	v_mov_b32_e32 v21, 8
	s_waitcnt lgkmcnt(0)
	s_add_u32 s38, s2, s18
	s_addc_u32 s39, s3, s1
	s_abs_i32 s5, s22
	v_cmp_neq_f32_e64 s1, s36, 0
	v_cvt_f32_u32_e32 v3, s5
	s_sub_i32 s2, 0, s5
	v_mov_b32_e32 v15, 0xff7fffff
	v_mov_b32_e32 v25, v11
	v_rcp_iflag_f32_e32 v3, v3
	v_mul_f32_e32 v3, 0x4f7ffffe, v3
	v_cvt_u32_f32_e32 v7, v3
	v_lshlrev_b32_e32 v3, 4, v13
	v_mul_lo_u32 v4, s2, v7
	s_lshl_b64 s[2:3], s[28:29], 2
	v_add_co_u32 v6, s38, s38, v3
	s_add_u32 s2, s26, s2
	v_add_co_ci_u32_e64 v8, null, s39, 0, s38
	s_addc_u32 s3, s27, s3
	v_mul_hi_u32 v24, v7, v4
	v_add_co_u32 v3, s2, s2, v1
	v_add_co_ci_u32_e64 v4, null, s3, 0, s2
	v_add_co_u32 v5, s2, v6, v5
	v_add_co_ci_u32_e64 v6, null, 0, v8, s2
	v_add_nc_u32_e32 v24, v7, v24
	s_mov_b32 s38, 0
	s_mov_b32 s39, s17
	s_branch .LBB239_12
.LBB239_10:                             ;   in Loop: Header=BB239_12 Depth=1
	s_or_b32 exec_lo, exec_lo, s40
.LBB239_11:                             ;   in Loop: Header=BB239_12 Depth=1
	s_or_b32 exec_lo, exec_lo, s3
	v_add_nc_u32_e32 v25, 4, v25
	v_add_co_u32 v3, s3, v3, 16
	v_add_co_ci_u32_e64 v4, null, 0, v4, s3
	v_cmp_le_i32_e64 s2, s20, v25
	v_add_nc_u32_e32 v16, 32, v16
	v_add_nc_u32_e32 v23, 0x80, v23
	s_or_b32 s38, s2, s38
	s_andn2_b32 exec_lo, exec_lo, s38
	s_cbranch_execz .LBB239_259
.LBB239_12:                             ; =>This Inner Loop Header: Depth=1
	v_mul_hi_u32 v1, v16, s19
	s_waitcnt lgkmcnt(0)
	v_mul_lo_u32 v7, v1, s16
	v_add_nc_u32_e32 v8, 1, v1
	v_sub_nc_u32_e32 v7, v16, v7
	v_subrev_nc_u32_e32 v26, s16, v7
	v_cmp_le_u32_e64 s2, s16, v7
	v_cndmask_b32_e64 v1, v1, v8, s2
	v_cndmask_b32_e64 v7, v7, v26, s2
	v_add_nc_u32_e32 v8, 1, v1
	v_cmp_le_u32_e64 s2, s16, v7
	v_cndmask_b32_e64 v1, v1, v8, s2
	v_xor_b32_e32 v1, s23, v1
	v_subrev_nc_u32_e32 v1, s23, v1
	v_add_nc_u32_e32 v7, s25, v1
	v_cmp_ge_i32_e64 s3, s4, v1
	v_sub_nc_u32_e32 v8, 0, v7
	v_max_i32_e32 v8, v7, v8
	v_ashrrev_i32_e32 v7, 31, v7
	v_mul_hi_u32 v26, v8, v24
	v_mul_lo_u32 v26, v26, s5
	v_sub_nc_u32_e32 v8, v8, v26
	v_subrev_nc_u32_e32 v26, s5, v8
	v_cmp_le_u32_e64 s2, s5, v8
	v_cndmask_b32_e64 v8, v8, v26, s2
	v_subrev_nc_u32_e32 v26, s5, v8
	v_cmp_le_u32_e64 s2, s5, v8
	v_cndmask_b32_e64 v8, v8, v26, s2
	v_xor_b32_e32 v8, v8, v7
	v_sub_nc_u32_e32 v7, v8, v7
	v_cmp_ne_u32_e64 s2, 0, v7
	s_and_b32 s2, s2, s3
	s_and_saveexec_b32 s3, s2
	s_xor_b32 s2, exec_lo, s3
	s_cbranch_execz .LBB239_16
; %bb.13:                               ;   in Loop: Header=BB239_12 Depth=1
	s_and_saveexec_b32 s3, vcc_lo
; %bb.14:                               ;   in Loop: Header=BB239_12 Depth=1
	ds_write_b32 v23, v17
; %bb.15:                               ;   in Loop: Header=BB239_12 Depth=1
	s_or_b32 exec_lo, exec_lo, s3
.LBB239_16:                             ;   in Loop: Header=BB239_12 Depth=1
	s_andn2_saveexec_b32 s3, s2
	s_cbranch_execz .LBB239_11
; %bb.17:                               ;   in Loop: Header=BB239_12 Depth=1
	global_load_dword v1, v[3:4], off
	v_mov_b32_e32 v27, 0
	global_load_dword v26, v27, s[12:13]
	s_waitcnt vmcnt(1)
	v_mad_i64_i32 v[7:8], null, v1, s39, v[5:6]
	global_load_ushort v28, v[7:8], off
	s_waitcnt vmcnt(0)
	v_and_b32_e32 v1, 0xffff, v28
	v_cmp_ne_u16_sdwa s2, v28, v2 src0_sel:BYTE_0 src1_sel:DWORD
	v_mov_b32_e32 v28, 0
	s_and_saveexec_b32 s40, s2
	s_cbranch_execz .LBB239_25
; %bb.18:                               ;   in Loop: Header=BB239_12 Depth=1
	v_cmp_ne_u16_sdwa s2, v1, v18 src0_sel:BYTE_0 src1_sel:DWORD
	v_mov_b32_e32 v28, 0x8000
	s_and_saveexec_b32 s41, s2
	s_cbranch_execz .LBB239_24
; %bb.19:                               ;   in Loop: Header=BB239_12 Depth=1
	v_and_b32_e32 v30, 0x7f, v1
	v_mov_b32_e32 v28, 0x7c01
	s_mov_b32 s42, exec_lo
	v_cmpx_ne_u32_e32 0x7f, v30
	s_cbranch_execz .LBB239_23
; %bb.20:                               ;   in Loop: Header=BB239_12 Depth=1
	v_and_b32_e32 v28, 7, v1
	v_lshrrev_b32_e32 v29, 3, v30
	s_mov_b32 s43, exec_lo
	v_cmpx_gt_u32_e32 8, v30
; %bb.21:                               ;   in Loop: Header=BB239_12 Depth=1
	v_ffbh_u32_e32 v28, v28
	v_min_u32_e32 v30, 32, v28
	v_subrev_nc_u32_e32 v28, 28, v30
	v_lshlrev_b64 v[28:29], v28, v[1:2]
	v_sub_nc_u32_e32 v29, 29, v30
	v_and_b32_e32 v28, 7, v28
; %bb.22:                               ;   in Loop: Header=BB239_12 Depth=1
	s_or_b32 exec_lo, exec_lo, s43
	v_lshlrev_b32_e32 v30, 8, v1
	v_lshl_add_u32 v29, v29, 10, 0x2000
	v_lshlrev_b32_e32 v28, 7, v28
	v_and_b32_e32 v30, 0x8000, v30
	v_and_b32_e32 v29, 0xfc00, v29
	v_or3_b32 v28, v30, v29, v28
.LBB239_23:                             ;   in Loop: Header=BB239_12 Depth=1
	s_or_b32 exec_lo, exec_lo, s42
.LBB239_24:                             ;   in Loop: Header=BB239_12 Depth=1
	s_or_b32 exec_lo, exec_lo, s41
.LBB239_25:                             ;   in Loop: Header=BB239_12 Depth=1
	s_or_b32 exec_lo, exec_lo, s40
	v_lshrrev_b16 v1, 8, v1
	s_mov_b32 s40, exec_lo
	v_cmpx_ne_u16_e32 0, v1
	s_cbranch_execz .LBB239_33
; %bb.26:                               ;   in Loop: Header=BB239_12 Depth=1
	v_bfrev_b32_e32 v27, 1
	s_mov_b32 s41, exec_lo
	v_cmpx_ne_u16_e32 0x80, v1
	s_cbranch_execz .LBB239_32
; %bb.27:                               ;   in Loop: Header=BB239_12 Depth=1
	v_and_b32_sdwa v30, v1, v19 dst_sel:DWORD dst_unused:UNUSED_PAD src0_sel:WORD_0 src1_sel:DWORD
	v_mov_b32_e32 v27, 0x7c010000
	s_mov_b32 s42, exec_lo
	v_cmpx_ne_u32_e32 0x7f, v30
	s_cbranch_execz .LBB239_31
; %bb.28:                               ;   in Loop: Header=BB239_12 Depth=1
	v_and_b32_sdwa v27, v1, v20 dst_sel:DWORD dst_unused:UNUSED_PAD src0_sel:WORD_0 src1_sel:DWORD
	v_lshrrev_b32_e32 v29, 3, v30
	s_mov_b32 s43, exec_lo
	v_cmpx_gt_u32_e32 8, v30
; %bb.29:                               ;   in Loop: Header=BB239_12 Depth=1
	v_ffbh_u32_e32 v27, v27
	v_min_u32_e32 v27, 32, v27
	v_subrev_nc_u32_e32 v29, 28, v27
	v_lshlrev_b64 v[30:31], v29, v[1:2]
	v_sub_nc_u32_e32 v29, 29, v27
	v_and_b32_e32 v27, 7, v30
; %bb.30:                               ;   in Loop: Header=BB239_12 Depth=1
	s_or_b32 exec_lo, exec_lo, s43
	v_lshlrev_b32_sdwa v1, v21, v1 dst_sel:DWORD dst_unused:UNUSED_PAD src0_sel:DWORD src1_sel:WORD_0
	v_lshl_add_u32 v29, v29, 10, 0x2000
	v_lshlrev_b32_e32 v27, 23, v27
	v_and_or_b32 v1, 0x8000, v1, v29
	v_lshl_or_b32 v27, v1, 16, v27
.LBB239_31:                             ;   in Loop: Header=BB239_12 Depth=1
	s_or_b32 exec_lo, exec_lo, s42
.LBB239_32:                             ;   in Loop: Header=BB239_12 Depth=1
	s_or_b32 exec_lo, exec_lo, s41
.LBB239_33:                             ;   in Loop: Header=BB239_12 Depth=1
	s_or_b32 exec_lo, exec_lo, s40
	global_load_ushort v30, v[7:8], off offset:8
	v_mov_b32_e32 v29, 0
	s_waitcnt vmcnt(0)
	v_and_b32_e32 v1, 0xffff, v30
	v_cmp_ne_u16_sdwa s2, v30, v2 src0_sel:BYTE_0 src1_sel:DWORD
	v_mov_b32_e32 v30, 0
	s_and_saveexec_b32 s40, s2
	s_cbranch_execz .LBB239_41
; %bb.34:                               ;   in Loop: Header=BB239_12 Depth=1
	v_cmp_ne_u16_sdwa s2, v1, v18 src0_sel:BYTE_0 src1_sel:DWORD
	v_mov_b32_e32 v30, 0x8000
	s_and_saveexec_b32 s41, s2
	s_cbranch_execz .LBB239_40
; %bb.35:                               ;   in Loop: Header=BB239_12 Depth=1
	v_and_b32_e32 v32, 0x7f, v1
	v_mov_b32_e32 v30, 0x7c01
	s_mov_b32 s42, exec_lo
	v_cmpx_ne_u32_e32 0x7f, v32
	s_cbranch_execz .LBB239_39
; %bb.36:                               ;   in Loop: Header=BB239_12 Depth=1
	v_and_b32_e32 v30, 7, v1
	v_lshrrev_b32_e32 v31, 3, v32
	s_mov_b32 s43, exec_lo
	v_cmpx_gt_u32_e32 8, v32
; %bb.37:                               ;   in Loop: Header=BB239_12 Depth=1
	v_ffbh_u32_e32 v30, v30
	v_min_u32_e32 v32, 32, v30
	v_subrev_nc_u32_e32 v30, 28, v32
	v_lshlrev_b64 v[30:31], v30, v[1:2]
	v_sub_nc_u32_e32 v31, 29, v32
	v_and_b32_e32 v30, 7, v30
; %bb.38:                               ;   in Loop: Header=BB239_12 Depth=1
	s_or_b32 exec_lo, exec_lo, s43
	v_lshlrev_b32_e32 v32, 8, v1
	v_lshl_add_u32 v31, v31, 10, 0x2000
	v_lshlrev_b32_e32 v30, 7, v30
	v_and_b32_e32 v32, 0x8000, v32
	v_and_b32_e32 v31, 0xfc00, v31
	v_or3_b32 v30, v32, v31, v30
.LBB239_39:                             ;   in Loop: Header=BB239_12 Depth=1
	s_or_b32 exec_lo, exec_lo, s42
.LBB239_40:                             ;   in Loop: Header=BB239_12 Depth=1
	s_or_b32 exec_lo, exec_lo, s41
.LBB239_41:                             ;   in Loop: Header=BB239_12 Depth=1
	s_or_b32 exec_lo, exec_lo, s40
	v_lshrrev_b16 v1, 8, v1
	s_mov_b32 s40, exec_lo
	v_cmpx_ne_u16_e32 0, v1
	s_cbranch_execz .LBB239_49
; %bb.42:                               ;   in Loop: Header=BB239_12 Depth=1
	v_bfrev_b32_e32 v29, 1
	s_mov_b32 s41, exec_lo
	v_cmpx_ne_u16_e32 0x80, v1
	s_cbranch_execz .LBB239_48
; %bb.43:                               ;   in Loop: Header=BB239_12 Depth=1
	v_and_b32_sdwa v32, v1, v19 dst_sel:DWORD dst_unused:UNUSED_PAD src0_sel:WORD_0 src1_sel:DWORD
	v_mov_b32_e32 v29, 0x7c010000
	s_mov_b32 s42, exec_lo
	v_cmpx_ne_u32_e32 0x7f, v32
	s_cbranch_execz .LBB239_47
; %bb.44:                               ;   in Loop: Header=BB239_12 Depth=1
	v_and_b32_sdwa v29, v1, v20 dst_sel:DWORD dst_unused:UNUSED_PAD src0_sel:WORD_0 src1_sel:DWORD
	v_lshrrev_b32_e32 v31, 3, v32
	s_mov_b32 s43, exec_lo
	v_cmpx_gt_u32_e32 8, v32
; %bb.45:                               ;   in Loop: Header=BB239_12 Depth=1
	v_ffbh_u32_e32 v29, v29
	v_min_u32_e32 v29, 32, v29
	v_subrev_nc_u32_e32 v31, 28, v29
	v_lshlrev_b64 v[32:33], v31, v[1:2]
	v_sub_nc_u32_e32 v31, 29, v29
	v_and_b32_e32 v29, 7, v32
; %bb.46:                               ;   in Loop: Header=BB239_12 Depth=1
	s_or_b32 exec_lo, exec_lo, s43
	v_lshlrev_b32_sdwa v1, v21, v1 dst_sel:DWORD dst_unused:UNUSED_PAD src0_sel:DWORD src1_sel:WORD_0
	v_lshl_add_u32 v31, v31, 10, 0x2000
	v_lshlrev_b32_e32 v29, 23, v29
	v_and_or_b32 v1, 0x8000, v1, v31
	v_lshl_or_b32 v29, v1, 16, v29
.LBB239_47:                             ;   in Loop: Header=BB239_12 Depth=1
	s_or_b32 exec_lo, exec_lo, s42
.LBB239_48:                             ;   in Loop: Header=BB239_12 Depth=1
	s_or_b32 exec_lo, exec_lo, s41
.LBB239_49:                             ;   in Loop: Header=BB239_12 Depth=1
	s_or_b32 exec_lo, exec_lo, s40
	global_load_ushort v32, v[7:8], off offset:128
	v_mov_b32_e32 v31, 0
	s_waitcnt vmcnt(0)
	v_and_b32_e32 v1, 0xffff, v32
	v_cmp_ne_u16_sdwa s2, v32, v2 src0_sel:BYTE_0 src1_sel:DWORD
	v_mov_b32_e32 v32, 0
	s_and_saveexec_b32 s40, s2
	s_cbranch_execz .LBB239_57
; %bb.50:                               ;   in Loop: Header=BB239_12 Depth=1
	v_cmp_ne_u16_sdwa s2, v1, v18 src0_sel:BYTE_0 src1_sel:DWORD
	v_mov_b32_e32 v32, 0x8000
	s_and_saveexec_b32 s41, s2
	s_cbranch_execz .LBB239_56
; %bb.51:                               ;   in Loop: Header=BB239_12 Depth=1
	v_and_b32_e32 v34, 0x7f, v1
	v_mov_b32_e32 v32, 0x7c01
	s_mov_b32 s42, exec_lo
	v_cmpx_ne_u32_e32 0x7f, v34
	s_cbranch_execz .LBB239_55
; %bb.52:                               ;   in Loop: Header=BB239_12 Depth=1
	v_and_b32_e32 v32, 7, v1
	v_lshrrev_b32_e32 v33, 3, v34
	s_mov_b32 s43, exec_lo
	v_cmpx_gt_u32_e32 8, v34
; %bb.53:                               ;   in Loop: Header=BB239_12 Depth=1
	v_ffbh_u32_e32 v32, v32
	v_min_u32_e32 v34, 32, v32
	v_subrev_nc_u32_e32 v32, 28, v34
	v_lshlrev_b64 v[32:33], v32, v[1:2]
	v_sub_nc_u32_e32 v33, 29, v34
	v_and_b32_e32 v32, 7, v32
; %bb.54:                               ;   in Loop: Header=BB239_12 Depth=1
	s_or_b32 exec_lo, exec_lo, s43
	v_lshlrev_b32_e32 v34, 8, v1
	v_lshl_add_u32 v33, v33, 10, 0x2000
	v_lshlrev_b32_e32 v32, 7, v32
	v_and_b32_e32 v34, 0x8000, v34
	v_and_b32_e32 v33, 0xfc00, v33
	v_or3_b32 v32, v34, v33, v32
.LBB239_55:                             ;   in Loop: Header=BB239_12 Depth=1
	s_or_b32 exec_lo, exec_lo, s42
.LBB239_56:                             ;   in Loop: Header=BB239_12 Depth=1
	s_or_b32 exec_lo, exec_lo, s41
.LBB239_57:                             ;   in Loop: Header=BB239_12 Depth=1
	s_or_b32 exec_lo, exec_lo, s40
	v_lshrrev_b16 v1, 8, v1
	s_mov_b32 s40, exec_lo
	v_cmpx_ne_u16_e32 0, v1
	s_cbranch_execz .LBB239_65
; %bb.58:                               ;   in Loop: Header=BB239_12 Depth=1
	v_bfrev_b32_e32 v31, 1
	s_mov_b32 s41, exec_lo
	v_cmpx_ne_u16_e32 0x80, v1
	s_cbranch_execz .LBB239_64
; %bb.59:                               ;   in Loop: Header=BB239_12 Depth=1
	v_and_b32_sdwa v34, v1, v19 dst_sel:DWORD dst_unused:UNUSED_PAD src0_sel:WORD_0 src1_sel:DWORD
	v_mov_b32_e32 v31, 0x7c010000
	s_mov_b32 s42, exec_lo
	v_cmpx_ne_u32_e32 0x7f, v34
	s_cbranch_execz .LBB239_63
; %bb.60:                               ;   in Loop: Header=BB239_12 Depth=1
	v_and_b32_sdwa v31, v1, v20 dst_sel:DWORD dst_unused:UNUSED_PAD src0_sel:WORD_0 src1_sel:DWORD
	v_lshrrev_b32_e32 v33, 3, v34
	s_mov_b32 s43, exec_lo
	v_cmpx_gt_u32_e32 8, v34
; %bb.61:                               ;   in Loop: Header=BB239_12 Depth=1
	v_ffbh_u32_e32 v31, v31
	v_min_u32_e32 v31, 32, v31
	v_subrev_nc_u32_e32 v33, 28, v31
	v_lshlrev_b64 v[34:35], v33, v[1:2]
	v_sub_nc_u32_e32 v33, 29, v31
	v_and_b32_e32 v31, 7, v34
; %bb.62:                               ;   in Loop: Header=BB239_12 Depth=1
	s_or_b32 exec_lo, exec_lo, s43
	v_lshlrev_b32_sdwa v1, v21, v1 dst_sel:DWORD dst_unused:UNUSED_PAD src0_sel:DWORD src1_sel:WORD_0
	v_lshl_add_u32 v33, v33, 10, 0x2000
	v_lshlrev_b32_e32 v31, 23, v31
	v_and_or_b32 v1, 0x8000, v1, v33
	v_lshl_or_b32 v31, v1, 16, v31
.LBB239_63:                             ;   in Loop: Header=BB239_12 Depth=1
	s_or_b32 exec_lo, exec_lo, s42
.LBB239_64:                             ;   in Loop: Header=BB239_12 Depth=1
	s_or_b32 exec_lo, exec_lo, s41
.LBB239_65:                             ;   in Loop: Header=BB239_12 Depth=1
	s_or_b32 exec_lo, exec_lo, s40
	global_load_ushort v34, v[7:8], off offset:136
	v_mov_b32_e32 v33, 0
	s_waitcnt vmcnt(0)
	v_and_b32_e32 v1, 0xffff, v34
	v_cmp_ne_u16_sdwa s2, v34, v2 src0_sel:BYTE_0 src1_sel:DWORD
	v_mov_b32_e32 v34, 0
	s_and_saveexec_b32 s40, s2
	s_cbranch_execz .LBB239_73
; %bb.66:                               ;   in Loop: Header=BB239_12 Depth=1
	v_cmp_ne_u16_sdwa s2, v1, v18 src0_sel:BYTE_0 src1_sel:DWORD
	v_mov_b32_e32 v34, 0x8000
	s_and_saveexec_b32 s41, s2
	s_cbranch_execz .LBB239_72
; %bb.67:                               ;   in Loop: Header=BB239_12 Depth=1
	v_and_b32_e32 v36, 0x7f, v1
	v_mov_b32_e32 v34, 0x7c01
	s_mov_b32 s42, exec_lo
	v_cmpx_ne_u32_e32 0x7f, v36
	s_cbranch_execz .LBB239_71
; %bb.68:                               ;   in Loop: Header=BB239_12 Depth=1
	v_and_b32_e32 v34, 7, v1
	v_lshrrev_b32_e32 v35, 3, v36
	s_mov_b32 s43, exec_lo
	v_cmpx_gt_u32_e32 8, v36
; %bb.69:                               ;   in Loop: Header=BB239_12 Depth=1
	v_ffbh_u32_e32 v34, v34
	v_min_u32_e32 v36, 32, v34
	v_subrev_nc_u32_e32 v34, 28, v36
	v_lshlrev_b64 v[34:35], v34, v[1:2]
	v_sub_nc_u32_e32 v35, 29, v36
	v_and_b32_e32 v34, 7, v34
; %bb.70:                               ;   in Loop: Header=BB239_12 Depth=1
	s_or_b32 exec_lo, exec_lo, s43
	v_lshlrev_b32_e32 v36, 8, v1
	v_lshl_add_u32 v35, v35, 10, 0x2000
	v_lshlrev_b32_e32 v34, 7, v34
	v_and_b32_e32 v36, 0x8000, v36
	v_and_b32_e32 v35, 0xfc00, v35
	v_or3_b32 v34, v36, v35, v34
.LBB239_71:                             ;   in Loop: Header=BB239_12 Depth=1
	s_or_b32 exec_lo, exec_lo, s42
.LBB239_72:                             ;   in Loop: Header=BB239_12 Depth=1
	s_or_b32 exec_lo, exec_lo, s41
.LBB239_73:                             ;   in Loop: Header=BB239_12 Depth=1
	s_or_b32 exec_lo, exec_lo, s40
	v_lshrrev_b16 v1, 8, v1
	s_mov_b32 s40, exec_lo
	v_cmpx_ne_u16_e32 0, v1
	s_cbranch_execz .LBB239_81
; %bb.74:                               ;   in Loop: Header=BB239_12 Depth=1
	v_bfrev_b32_e32 v33, 1
	s_mov_b32 s41, exec_lo
	v_cmpx_ne_u16_e32 0x80, v1
	s_cbranch_execz .LBB239_80
; %bb.75:                               ;   in Loop: Header=BB239_12 Depth=1
	v_and_b32_sdwa v36, v1, v19 dst_sel:DWORD dst_unused:UNUSED_PAD src0_sel:WORD_0 src1_sel:DWORD
	v_mov_b32_e32 v33, 0x7c010000
	s_mov_b32 s42, exec_lo
	v_cmpx_ne_u32_e32 0x7f, v36
	s_cbranch_execz .LBB239_79
; %bb.76:                               ;   in Loop: Header=BB239_12 Depth=1
	v_and_b32_sdwa v33, v1, v20 dst_sel:DWORD dst_unused:UNUSED_PAD src0_sel:WORD_0 src1_sel:DWORD
	v_lshrrev_b32_e32 v35, 3, v36
	s_mov_b32 s43, exec_lo
	v_cmpx_gt_u32_e32 8, v36
; %bb.77:                               ;   in Loop: Header=BB239_12 Depth=1
	v_ffbh_u32_e32 v33, v33
	v_min_u32_e32 v33, 32, v33
	v_subrev_nc_u32_e32 v35, 28, v33
	v_lshlrev_b64 v[36:37], v35, v[1:2]
	v_sub_nc_u32_e32 v35, 29, v33
	v_and_b32_e32 v33, 7, v36
; %bb.78:                               ;   in Loop: Header=BB239_12 Depth=1
	s_or_b32 exec_lo, exec_lo, s43
	v_lshlrev_b32_sdwa v1, v21, v1 dst_sel:DWORD dst_unused:UNUSED_PAD src0_sel:DWORD src1_sel:WORD_0
	v_lshl_add_u32 v35, v35, 10, 0x2000
	v_lshlrev_b32_e32 v33, 23, v33
	v_and_or_b32 v1, 0x8000, v1, v35
	v_lshl_or_b32 v33, v1, 16, v33
.LBB239_79:                             ;   in Loop: Header=BB239_12 Depth=1
	s_or_b32 exec_lo, exec_lo, s42
.LBB239_80:                             ;   in Loop: Header=BB239_12 Depth=1
	s_or_b32 exec_lo, exec_lo, s41
.LBB239_81:                             ;   in Loop: Header=BB239_12 Depth=1
	s_or_b32 exec_lo, exec_lo, s40
	global_load_ushort v36, v[7:8], off offset:256
	v_mov_b32_e32 v35, 0
	s_waitcnt vmcnt(0)
	v_and_b32_e32 v1, 0xffff, v36
	v_cmp_ne_u16_sdwa s2, v36, v2 src0_sel:BYTE_0 src1_sel:DWORD
	v_mov_b32_e32 v36, 0
	s_and_saveexec_b32 s40, s2
	s_cbranch_execz .LBB239_89
; %bb.82:                               ;   in Loop: Header=BB239_12 Depth=1
	v_cmp_ne_u16_sdwa s2, v1, v18 src0_sel:BYTE_0 src1_sel:DWORD
	v_mov_b32_e32 v36, 0x8000
	s_and_saveexec_b32 s41, s2
	s_cbranch_execz .LBB239_88
; %bb.83:                               ;   in Loop: Header=BB239_12 Depth=1
	v_and_b32_e32 v38, 0x7f, v1
	v_mov_b32_e32 v36, 0x7c01
	s_mov_b32 s42, exec_lo
	v_cmpx_ne_u32_e32 0x7f, v38
	s_cbranch_execz .LBB239_87
; %bb.84:                               ;   in Loop: Header=BB239_12 Depth=1
	v_and_b32_e32 v36, 7, v1
	v_lshrrev_b32_e32 v37, 3, v38
	s_mov_b32 s43, exec_lo
	v_cmpx_gt_u32_e32 8, v38
; %bb.85:                               ;   in Loop: Header=BB239_12 Depth=1
	v_ffbh_u32_e32 v36, v36
	v_min_u32_e32 v38, 32, v36
	v_subrev_nc_u32_e32 v36, 28, v38
	v_lshlrev_b64 v[36:37], v36, v[1:2]
	v_sub_nc_u32_e32 v37, 29, v38
	v_and_b32_e32 v36, 7, v36
; %bb.86:                               ;   in Loop: Header=BB239_12 Depth=1
	s_or_b32 exec_lo, exec_lo, s43
	v_lshlrev_b32_e32 v38, 8, v1
	v_lshl_add_u32 v37, v37, 10, 0x2000
	v_lshlrev_b32_e32 v36, 7, v36
	v_and_b32_e32 v38, 0x8000, v38
	v_and_b32_e32 v37, 0xfc00, v37
	v_or3_b32 v36, v38, v37, v36
.LBB239_87:                             ;   in Loop: Header=BB239_12 Depth=1
	s_or_b32 exec_lo, exec_lo, s42
.LBB239_88:                             ;   in Loop: Header=BB239_12 Depth=1
	s_or_b32 exec_lo, exec_lo, s41
.LBB239_89:                             ;   in Loop: Header=BB239_12 Depth=1
	s_or_b32 exec_lo, exec_lo, s40
	v_lshrrev_b16 v1, 8, v1
	s_mov_b32 s40, exec_lo
	v_cmpx_ne_u16_e32 0, v1
	s_cbranch_execz .LBB239_97
; %bb.90:                               ;   in Loop: Header=BB239_12 Depth=1
	v_bfrev_b32_e32 v35, 1
	s_mov_b32 s41, exec_lo
	v_cmpx_ne_u16_e32 0x80, v1
	s_cbranch_execz .LBB239_96
; %bb.91:                               ;   in Loop: Header=BB239_12 Depth=1
	v_and_b32_sdwa v38, v1, v19 dst_sel:DWORD dst_unused:UNUSED_PAD src0_sel:WORD_0 src1_sel:DWORD
	v_mov_b32_e32 v35, 0x7c010000
	s_mov_b32 s42, exec_lo
	v_cmpx_ne_u32_e32 0x7f, v38
	s_cbranch_execz .LBB239_95
; %bb.92:                               ;   in Loop: Header=BB239_12 Depth=1
	v_and_b32_sdwa v35, v1, v20 dst_sel:DWORD dst_unused:UNUSED_PAD src0_sel:WORD_0 src1_sel:DWORD
	v_lshrrev_b32_e32 v37, 3, v38
	s_mov_b32 s43, exec_lo
	v_cmpx_gt_u32_e32 8, v38
; %bb.93:                               ;   in Loop: Header=BB239_12 Depth=1
	v_ffbh_u32_e32 v35, v35
	v_min_u32_e32 v35, 32, v35
	v_subrev_nc_u32_e32 v37, 28, v35
	v_lshlrev_b64 v[38:39], v37, v[1:2]
	v_sub_nc_u32_e32 v37, 29, v35
	v_and_b32_e32 v35, 7, v38
; %bb.94:                               ;   in Loop: Header=BB239_12 Depth=1
	s_or_b32 exec_lo, exec_lo, s43
	v_lshlrev_b32_sdwa v1, v21, v1 dst_sel:DWORD dst_unused:UNUSED_PAD src0_sel:DWORD src1_sel:WORD_0
	v_lshl_add_u32 v37, v37, 10, 0x2000
	v_lshlrev_b32_e32 v35, 23, v35
	v_and_or_b32 v1, 0x8000, v1, v37
	v_lshl_or_b32 v35, v1, 16, v35
.LBB239_95:                             ;   in Loop: Header=BB239_12 Depth=1
	s_or_b32 exec_lo, exec_lo, s42
.LBB239_96:                             ;   in Loop: Header=BB239_12 Depth=1
	s_or_b32 exec_lo, exec_lo, s41
.LBB239_97:                             ;   in Loop: Header=BB239_12 Depth=1
	s_or_b32 exec_lo, exec_lo, s40
	global_load_ushort v38, v[7:8], off offset:264
	v_mov_b32_e32 v37, 0
	s_waitcnt vmcnt(0)
	v_and_b32_e32 v1, 0xffff, v38
	v_cmp_ne_u16_sdwa s2, v38, v2 src0_sel:BYTE_0 src1_sel:DWORD
	v_mov_b32_e32 v38, 0
	s_and_saveexec_b32 s40, s2
	s_cbranch_execz .LBB239_105
; %bb.98:                               ;   in Loop: Header=BB239_12 Depth=1
	v_cmp_ne_u16_sdwa s2, v1, v18 src0_sel:BYTE_0 src1_sel:DWORD
	v_mov_b32_e32 v38, 0x8000
	s_and_saveexec_b32 s41, s2
	s_cbranch_execz .LBB239_104
; %bb.99:                               ;   in Loop: Header=BB239_12 Depth=1
	v_and_b32_e32 v40, 0x7f, v1
	v_mov_b32_e32 v38, 0x7c01
	s_mov_b32 s42, exec_lo
	v_cmpx_ne_u32_e32 0x7f, v40
	s_cbranch_execz .LBB239_103
; %bb.100:                              ;   in Loop: Header=BB239_12 Depth=1
	v_and_b32_e32 v38, 7, v1
	v_lshrrev_b32_e32 v39, 3, v40
	s_mov_b32 s43, exec_lo
	v_cmpx_gt_u32_e32 8, v40
; %bb.101:                              ;   in Loop: Header=BB239_12 Depth=1
	v_ffbh_u32_e32 v38, v38
	v_min_u32_e32 v40, 32, v38
	v_subrev_nc_u32_e32 v38, 28, v40
	v_lshlrev_b64 v[38:39], v38, v[1:2]
	v_sub_nc_u32_e32 v39, 29, v40
	v_and_b32_e32 v38, 7, v38
; %bb.102:                              ;   in Loop: Header=BB239_12 Depth=1
	s_or_b32 exec_lo, exec_lo, s43
	v_lshlrev_b32_e32 v40, 8, v1
	v_lshl_add_u32 v39, v39, 10, 0x2000
	v_lshlrev_b32_e32 v38, 7, v38
	v_and_b32_e32 v40, 0x8000, v40
	v_and_b32_e32 v39, 0xfc00, v39
	v_or3_b32 v38, v40, v39, v38
.LBB239_103:                            ;   in Loop: Header=BB239_12 Depth=1
	s_or_b32 exec_lo, exec_lo, s42
.LBB239_104:                            ;   in Loop: Header=BB239_12 Depth=1
	s_or_b32 exec_lo, exec_lo, s41
.LBB239_105:                            ;   in Loop: Header=BB239_12 Depth=1
	s_or_b32 exec_lo, exec_lo, s40
	v_lshrrev_b16 v1, 8, v1
	s_mov_b32 s40, exec_lo
	v_cmpx_ne_u16_e32 0, v1
	s_cbranch_execz .LBB239_113
; %bb.106:                              ;   in Loop: Header=BB239_12 Depth=1
	v_bfrev_b32_e32 v37, 1
	s_mov_b32 s41, exec_lo
	v_cmpx_ne_u16_e32 0x80, v1
	s_cbranch_execz .LBB239_112
; %bb.107:                              ;   in Loop: Header=BB239_12 Depth=1
	v_and_b32_sdwa v40, v1, v19 dst_sel:DWORD dst_unused:UNUSED_PAD src0_sel:WORD_0 src1_sel:DWORD
	v_mov_b32_e32 v37, 0x7c010000
	s_mov_b32 s42, exec_lo
	v_cmpx_ne_u32_e32 0x7f, v40
	s_cbranch_execz .LBB239_111
; %bb.108:                              ;   in Loop: Header=BB239_12 Depth=1
	v_and_b32_sdwa v37, v1, v20 dst_sel:DWORD dst_unused:UNUSED_PAD src0_sel:WORD_0 src1_sel:DWORD
	v_lshrrev_b32_e32 v39, 3, v40
	s_mov_b32 s43, exec_lo
	v_cmpx_gt_u32_e32 8, v40
; %bb.109:                              ;   in Loop: Header=BB239_12 Depth=1
	v_ffbh_u32_e32 v37, v37
	v_min_u32_e32 v37, 32, v37
	v_subrev_nc_u32_e32 v39, 28, v37
	v_lshlrev_b64 v[40:41], v39, v[1:2]
	v_sub_nc_u32_e32 v39, 29, v37
	v_and_b32_e32 v37, 7, v40
; %bb.110:                              ;   in Loop: Header=BB239_12 Depth=1
	s_or_b32 exec_lo, exec_lo, s43
	v_lshlrev_b32_sdwa v1, v21, v1 dst_sel:DWORD dst_unused:UNUSED_PAD src0_sel:DWORD src1_sel:WORD_0
	v_lshl_add_u32 v39, v39, 10, 0x2000
	v_lshlrev_b32_e32 v37, 23, v37
	v_and_or_b32 v1, 0x8000, v1, v39
	v_lshl_or_b32 v37, v1, 16, v37
.LBB239_111:                            ;   in Loop: Header=BB239_12 Depth=1
	s_or_b32 exec_lo, exec_lo, s42
.LBB239_112:                            ;   in Loop: Header=BB239_12 Depth=1
	s_or_b32 exec_lo, exec_lo, s41
.LBB239_113:                            ;   in Loop: Header=BB239_12 Depth=1
	s_or_b32 exec_lo, exec_lo, s40
	global_load_ushort v40, v[7:8], off offset:384
	v_mov_b32_e32 v39, 0
	s_waitcnt vmcnt(0)
	v_and_b32_e32 v1, 0xffff, v40
	v_cmp_ne_u16_sdwa s2, v40, v2 src0_sel:BYTE_0 src1_sel:DWORD
	v_mov_b32_e32 v40, 0
	s_and_saveexec_b32 s40, s2
	s_cbranch_execz .LBB239_121
; %bb.114:                              ;   in Loop: Header=BB239_12 Depth=1
	v_cmp_ne_u16_sdwa s2, v1, v18 src0_sel:BYTE_0 src1_sel:DWORD
	v_mov_b32_e32 v40, 0x8000
	s_and_saveexec_b32 s41, s2
	s_cbranch_execz .LBB239_120
; %bb.115:                              ;   in Loop: Header=BB239_12 Depth=1
	v_and_b32_e32 v42, 0x7f, v1
	v_mov_b32_e32 v40, 0x7c01
	s_mov_b32 s42, exec_lo
	v_cmpx_ne_u32_e32 0x7f, v42
	s_cbranch_execz .LBB239_119
; %bb.116:                              ;   in Loop: Header=BB239_12 Depth=1
	v_and_b32_e32 v40, 7, v1
	v_lshrrev_b32_e32 v41, 3, v42
	s_mov_b32 s43, exec_lo
	v_cmpx_gt_u32_e32 8, v42
; %bb.117:                              ;   in Loop: Header=BB239_12 Depth=1
	v_ffbh_u32_e32 v40, v40
	v_min_u32_e32 v42, 32, v40
	v_subrev_nc_u32_e32 v40, 28, v42
	v_lshlrev_b64 v[40:41], v40, v[1:2]
	v_sub_nc_u32_e32 v41, 29, v42
	v_and_b32_e32 v40, 7, v40
; %bb.118:                              ;   in Loop: Header=BB239_12 Depth=1
	s_or_b32 exec_lo, exec_lo, s43
	v_lshlrev_b32_e32 v42, 8, v1
	v_lshl_add_u32 v41, v41, 10, 0x2000
	v_lshlrev_b32_e32 v40, 7, v40
	v_and_b32_e32 v42, 0x8000, v42
	v_and_b32_e32 v41, 0xfc00, v41
	v_or3_b32 v40, v42, v41, v40
.LBB239_119:                            ;   in Loop: Header=BB239_12 Depth=1
	s_or_b32 exec_lo, exec_lo, s42
.LBB239_120:                            ;   in Loop: Header=BB239_12 Depth=1
	s_or_b32 exec_lo, exec_lo, s41
.LBB239_121:                            ;   in Loop: Header=BB239_12 Depth=1
	s_or_b32 exec_lo, exec_lo, s40
	v_lshrrev_b16 v1, 8, v1
	s_mov_b32 s40, exec_lo
	v_cmpx_ne_u16_e32 0, v1
	s_cbranch_execz .LBB239_129
; %bb.122:                              ;   in Loop: Header=BB239_12 Depth=1
	v_bfrev_b32_e32 v39, 1
	s_mov_b32 s41, exec_lo
	v_cmpx_ne_u16_e32 0x80, v1
	s_cbranch_execz .LBB239_128
; %bb.123:                              ;   in Loop: Header=BB239_12 Depth=1
	v_and_b32_sdwa v42, v1, v19 dst_sel:DWORD dst_unused:UNUSED_PAD src0_sel:WORD_0 src1_sel:DWORD
	v_mov_b32_e32 v39, 0x7c010000
	s_mov_b32 s42, exec_lo
	v_cmpx_ne_u32_e32 0x7f, v42
	s_cbranch_execz .LBB239_127
; %bb.124:                              ;   in Loop: Header=BB239_12 Depth=1
	v_and_b32_sdwa v39, v1, v20 dst_sel:DWORD dst_unused:UNUSED_PAD src0_sel:WORD_0 src1_sel:DWORD
	v_lshrrev_b32_e32 v41, 3, v42
	s_mov_b32 s43, exec_lo
	v_cmpx_gt_u32_e32 8, v42
; %bb.125:                              ;   in Loop: Header=BB239_12 Depth=1
	v_ffbh_u32_e32 v39, v39
	v_min_u32_e32 v39, 32, v39
	v_subrev_nc_u32_e32 v41, 28, v39
	v_lshlrev_b64 v[42:43], v41, v[1:2]
	v_sub_nc_u32_e32 v41, 29, v39
	v_and_b32_e32 v39, 7, v42
; %bb.126:                              ;   in Loop: Header=BB239_12 Depth=1
	s_or_b32 exec_lo, exec_lo, s43
	v_lshlrev_b32_sdwa v1, v21, v1 dst_sel:DWORD dst_unused:UNUSED_PAD src0_sel:DWORD src1_sel:WORD_0
	v_lshl_add_u32 v41, v41, 10, 0x2000
	v_lshlrev_b32_e32 v39, 23, v39
	v_and_or_b32 v1, 0x8000, v1, v41
	v_lshl_or_b32 v39, v1, 16, v39
.LBB239_127:                            ;   in Loop: Header=BB239_12 Depth=1
	s_or_b32 exec_lo, exec_lo, s42
.LBB239_128:                            ;   in Loop: Header=BB239_12 Depth=1
	s_or_b32 exec_lo, exec_lo, s41
.LBB239_129:                            ;   in Loop: Header=BB239_12 Depth=1
	s_or_b32 exec_lo, exec_lo, s40
	global_load_ushort v42, v[7:8], off offset:392
	v_mov_b32_e32 v41, 0
	s_waitcnt vmcnt(0)
	v_and_b32_e32 v1, 0xffff, v42
	v_cmp_ne_u16_sdwa s2, v42, v2 src0_sel:BYTE_0 src1_sel:DWORD
	v_mov_b32_e32 v42, 0
	s_and_saveexec_b32 s40, s2
	s_cbranch_execz .LBB239_137
; %bb.130:                              ;   in Loop: Header=BB239_12 Depth=1
	v_cmp_ne_u16_sdwa s2, v1, v18 src0_sel:BYTE_0 src1_sel:DWORD
	v_mov_b32_e32 v42, 0x8000
	s_and_saveexec_b32 s41, s2
	s_cbranch_execz .LBB239_136
; %bb.131:                              ;   in Loop: Header=BB239_12 Depth=1
	v_and_b32_e32 v44, 0x7f, v1
	v_mov_b32_e32 v42, 0x7c01
	s_mov_b32 s42, exec_lo
	v_cmpx_ne_u32_e32 0x7f, v44
	s_cbranch_execz .LBB239_135
; %bb.132:                              ;   in Loop: Header=BB239_12 Depth=1
	v_and_b32_e32 v42, 7, v1
	v_lshrrev_b32_e32 v43, 3, v44
	s_mov_b32 s43, exec_lo
	v_cmpx_gt_u32_e32 8, v44
; %bb.133:                              ;   in Loop: Header=BB239_12 Depth=1
	v_ffbh_u32_e32 v42, v42
	v_min_u32_e32 v44, 32, v42
	v_subrev_nc_u32_e32 v42, 28, v44
	v_lshlrev_b64 v[42:43], v42, v[1:2]
	v_sub_nc_u32_e32 v43, 29, v44
	v_and_b32_e32 v42, 7, v42
; %bb.134:                              ;   in Loop: Header=BB239_12 Depth=1
	s_or_b32 exec_lo, exec_lo, s43
	v_lshlrev_b32_e32 v44, 8, v1
	v_lshl_add_u32 v43, v43, 10, 0x2000
	v_lshlrev_b32_e32 v42, 7, v42
	v_and_b32_e32 v44, 0x8000, v44
	v_and_b32_e32 v43, 0xfc00, v43
	v_or3_b32 v42, v44, v43, v42
.LBB239_135:                            ;   in Loop: Header=BB239_12 Depth=1
	s_or_b32 exec_lo, exec_lo, s42
.LBB239_136:                            ;   in Loop: Header=BB239_12 Depth=1
	s_or_b32 exec_lo, exec_lo, s41
.LBB239_137:                            ;   in Loop: Header=BB239_12 Depth=1
	s_or_b32 exec_lo, exec_lo, s40
	v_lshrrev_b16 v1, 8, v1
	s_mov_b32 s40, exec_lo
	v_cmpx_ne_u16_e32 0, v1
	s_cbranch_execz .LBB239_145
; %bb.138:                              ;   in Loop: Header=BB239_12 Depth=1
	v_bfrev_b32_e32 v41, 1
	s_mov_b32 s41, exec_lo
	v_cmpx_ne_u16_e32 0x80, v1
	s_cbranch_execz .LBB239_144
; %bb.139:                              ;   in Loop: Header=BB239_12 Depth=1
	v_and_b32_sdwa v44, v1, v19 dst_sel:DWORD dst_unused:UNUSED_PAD src0_sel:WORD_0 src1_sel:DWORD
	v_mov_b32_e32 v41, 0x7c010000
	s_mov_b32 s42, exec_lo
	v_cmpx_ne_u32_e32 0x7f, v44
	s_cbranch_execz .LBB239_143
; %bb.140:                              ;   in Loop: Header=BB239_12 Depth=1
	v_and_b32_sdwa v41, v1, v20 dst_sel:DWORD dst_unused:UNUSED_PAD src0_sel:WORD_0 src1_sel:DWORD
	v_lshrrev_b32_e32 v43, 3, v44
	s_mov_b32 s43, exec_lo
	v_cmpx_gt_u32_e32 8, v44
; %bb.141:                              ;   in Loop: Header=BB239_12 Depth=1
	v_ffbh_u32_e32 v41, v41
	v_min_u32_e32 v41, 32, v41
	v_subrev_nc_u32_e32 v43, 28, v41
	v_lshlrev_b64 v[44:45], v43, v[1:2]
	v_sub_nc_u32_e32 v43, 29, v41
	v_and_b32_e32 v41, 7, v44
; %bb.142:                              ;   in Loop: Header=BB239_12 Depth=1
	s_or_b32 exec_lo, exec_lo, s43
	v_lshlrev_b32_sdwa v1, v21, v1 dst_sel:DWORD dst_unused:UNUSED_PAD src0_sel:DWORD src1_sel:WORD_0
	v_lshl_add_u32 v43, v43, 10, 0x2000
	v_lshlrev_b32_e32 v41, 23, v41
	v_and_or_b32 v1, 0x8000, v1, v43
	v_lshl_or_b32 v41, v1, 16, v41
.LBB239_143:                            ;   in Loop: Header=BB239_12 Depth=1
	s_or_b32 exec_lo, exec_lo, s42
.LBB239_144:                            ;   in Loop: Header=BB239_12 Depth=1
	s_or_b32 exec_lo, exec_lo, s41
.LBB239_145:                            ;   in Loop: Header=BB239_12 Depth=1
	s_or_b32 exec_lo, exec_lo, s40
	global_load_ushort v44, v[7:8], off offset:512
	v_mov_b32_e32 v43, 0
	s_waitcnt vmcnt(0)
	v_and_b32_e32 v1, 0xffff, v44
	v_cmp_ne_u16_sdwa s2, v44, v2 src0_sel:BYTE_0 src1_sel:DWORD
	v_mov_b32_e32 v44, 0
	s_and_saveexec_b32 s40, s2
	s_cbranch_execz .LBB239_153
; %bb.146:                              ;   in Loop: Header=BB239_12 Depth=1
	v_cmp_ne_u16_sdwa s2, v1, v18 src0_sel:BYTE_0 src1_sel:DWORD
	v_mov_b32_e32 v44, 0x8000
	s_and_saveexec_b32 s41, s2
	s_cbranch_execz .LBB239_152
; %bb.147:                              ;   in Loop: Header=BB239_12 Depth=1
	v_and_b32_e32 v46, 0x7f, v1
	v_mov_b32_e32 v44, 0x7c01
	s_mov_b32 s42, exec_lo
	v_cmpx_ne_u32_e32 0x7f, v46
	s_cbranch_execz .LBB239_151
; %bb.148:                              ;   in Loop: Header=BB239_12 Depth=1
	v_and_b32_e32 v44, 7, v1
	v_lshrrev_b32_e32 v45, 3, v46
	s_mov_b32 s43, exec_lo
	v_cmpx_gt_u32_e32 8, v46
; %bb.149:                              ;   in Loop: Header=BB239_12 Depth=1
	v_ffbh_u32_e32 v44, v44
	v_min_u32_e32 v46, 32, v44
	v_subrev_nc_u32_e32 v44, 28, v46
	v_lshlrev_b64 v[44:45], v44, v[1:2]
	v_sub_nc_u32_e32 v45, 29, v46
	v_and_b32_e32 v44, 7, v44
; %bb.150:                              ;   in Loop: Header=BB239_12 Depth=1
	s_or_b32 exec_lo, exec_lo, s43
	v_lshlrev_b32_e32 v46, 8, v1
	v_lshl_add_u32 v45, v45, 10, 0x2000
	v_lshlrev_b32_e32 v44, 7, v44
	v_and_b32_e32 v46, 0x8000, v46
	v_and_b32_e32 v45, 0xfc00, v45
	v_or3_b32 v44, v46, v45, v44
.LBB239_151:                            ;   in Loop: Header=BB239_12 Depth=1
	s_or_b32 exec_lo, exec_lo, s42
.LBB239_152:                            ;   in Loop: Header=BB239_12 Depth=1
	s_or_b32 exec_lo, exec_lo, s41
.LBB239_153:                            ;   in Loop: Header=BB239_12 Depth=1
	s_or_b32 exec_lo, exec_lo, s40
	v_lshrrev_b16 v1, 8, v1
	s_mov_b32 s40, exec_lo
	v_cmpx_ne_u16_e32 0, v1
	s_cbranch_execz .LBB239_161
; %bb.154:                              ;   in Loop: Header=BB239_12 Depth=1
	v_bfrev_b32_e32 v43, 1
	s_mov_b32 s41, exec_lo
	v_cmpx_ne_u16_e32 0x80, v1
	s_cbranch_execz .LBB239_160
; %bb.155:                              ;   in Loop: Header=BB239_12 Depth=1
	v_and_b32_sdwa v46, v1, v19 dst_sel:DWORD dst_unused:UNUSED_PAD src0_sel:WORD_0 src1_sel:DWORD
	v_mov_b32_e32 v43, 0x7c010000
	s_mov_b32 s42, exec_lo
	v_cmpx_ne_u32_e32 0x7f, v46
	s_cbranch_execz .LBB239_159
; %bb.156:                              ;   in Loop: Header=BB239_12 Depth=1
	v_and_b32_sdwa v43, v1, v20 dst_sel:DWORD dst_unused:UNUSED_PAD src0_sel:WORD_0 src1_sel:DWORD
	v_lshrrev_b32_e32 v45, 3, v46
	s_mov_b32 s43, exec_lo
	v_cmpx_gt_u32_e32 8, v46
; %bb.157:                              ;   in Loop: Header=BB239_12 Depth=1
	v_ffbh_u32_e32 v43, v43
	v_min_u32_e32 v43, 32, v43
	v_subrev_nc_u32_e32 v45, 28, v43
	v_lshlrev_b64 v[46:47], v45, v[1:2]
	v_sub_nc_u32_e32 v45, 29, v43
	v_and_b32_e32 v43, 7, v46
; %bb.158:                              ;   in Loop: Header=BB239_12 Depth=1
	s_or_b32 exec_lo, exec_lo, s43
	v_lshlrev_b32_sdwa v1, v21, v1 dst_sel:DWORD dst_unused:UNUSED_PAD src0_sel:DWORD src1_sel:WORD_0
	v_lshl_add_u32 v45, v45, 10, 0x2000
	v_lshlrev_b32_e32 v43, 23, v43
	v_and_or_b32 v1, 0x8000, v1, v45
	v_lshl_or_b32 v43, v1, 16, v43
.LBB239_159:                            ;   in Loop: Header=BB239_12 Depth=1
	s_or_b32 exec_lo, exec_lo, s42
.LBB239_160:                            ;   in Loop: Header=BB239_12 Depth=1
	s_or_b32 exec_lo, exec_lo, s41
.LBB239_161:                            ;   in Loop: Header=BB239_12 Depth=1
	s_or_b32 exec_lo, exec_lo, s40
	global_load_ushort v46, v[7:8], off offset:520
	v_mov_b32_e32 v45, 0
	s_waitcnt vmcnt(0)
	v_and_b32_e32 v1, 0xffff, v46
	v_cmp_ne_u16_sdwa s2, v46, v2 src0_sel:BYTE_0 src1_sel:DWORD
	v_mov_b32_e32 v46, 0
	s_and_saveexec_b32 s40, s2
	s_cbranch_execz .LBB239_169
; %bb.162:                              ;   in Loop: Header=BB239_12 Depth=1
	v_cmp_ne_u16_sdwa s2, v1, v18 src0_sel:BYTE_0 src1_sel:DWORD
	v_mov_b32_e32 v46, 0x8000
	s_and_saveexec_b32 s41, s2
	s_cbranch_execz .LBB239_168
; %bb.163:                              ;   in Loop: Header=BB239_12 Depth=1
	v_and_b32_e32 v48, 0x7f, v1
	v_mov_b32_e32 v46, 0x7c01
	s_mov_b32 s42, exec_lo
	v_cmpx_ne_u32_e32 0x7f, v48
	s_cbranch_execz .LBB239_167
; %bb.164:                              ;   in Loop: Header=BB239_12 Depth=1
	v_and_b32_e32 v46, 7, v1
	v_lshrrev_b32_e32 v47, 3, v48
	s_mov_b32 s43, exec_lo
	v_cmpx_gt_u32_e32 8, v48
; %bb.165:                              ;   in Loop: Header=BB239_12 Depth=1
	v_ffbh_u32_e32 v46, v46
	v_min_u32_e32 v48, 32, v46
	v_subrev_nc_u32_e32 v46, 28, v48
	v_lshlrev_b64 v[46:47], v46, v[1:2]
	v_sub_nc_u32_e32 v47, 29, v48
	v_and_b32_e32 v46, 7, v46
; %bb.166:                              ;   in Loop: Header=BB239_12 Depth=1
	s_or_b32 exec_lo, exec_lo, s43
	v_lshlrev_b32_e32 v48, 8, v1
	v_lshl_add_u32 v47, v47, 10, 0x2000
	v_lshlrev_b32_e32 v46, 7, v46
	v_and_b32_e32 v48, 0x8000, v48
	v_and_b32_e32 v47, 0xfc00, v47
	v_or3_b32 v46, v48, v47, v46
.LBB239_167:                            ;   in Loop: Header=BB239_12 Depth=1
	s_or_b32 exec_lo, exec_lo, s42
.LBB239_168:                            ;   in Loop: Header=BB239_12 Depth=1
	s_or_b32 exec_lo, exec_lo, s41
.LBB239_169:                            ;   in Loop: Header=BB239_12 Depth=1
	s_or_b32 exec_lo, exec_lo, s40
	v_lshrrev_b16 v1, 8, v1
	s_mov_b32 s40, exec_lo
	v_cmpx_ne_u16_e32 0, v1
	s_cbranch_execz .LBB239_177
; %bb.170:                              ;   in Loop: Header=BB239_12 Depth=1
	v_bfrev_b32_e32 v45, 1
	s_mov_b32 s41, exec_lo
	v_cmpx_ne_u16_e32 0x80, v1
	s_cbranch_execz .LBB239_176
; %bb.171:                              ;   in Loop: Header=BB239_12 Depth=1
	v_and_b32_sdwa v48, v1, v19 dst_sel:DWORD dst_unused:UNUSED_PAD src0_sel:WORD_0 src1_sel:DWORD
	v_mov_b32_e32 v45, 0x7c010000
	s_mov_b32 s42, exec_lo
	v_cmpx_ne_u32_e32 0x7f, v48
	s_cbranch_execz .LBB239_175
; %bb.172:                              ;   in Loop: Header=BB239_12 Depth=1
	v_and_b32_sdwa v45, v1, v20 dst_sel:DWORD dst_unused:UNUSED_PAD src0_sel:WORD_0 src1_sel:DWORD
	v_lshrrev_b32_e32 v47, 3, v48
	s_mov_b32 s43, exec_lo
	v_cmpx_gt_u32_e32 8, v48
; %bb.173:                              ;   in Loop: Header=BB239_12 Depth=1
	v_ffbh_u32_e32 v45, v45
	v_min_u32_e32 v45, 32, v45
	v_subrev_nc_u32_e32 v47, 28, v45
	v_lshlrev_b64 v[48:49], v47, v[1:2]
	v_sub_nc_u32_e32 v47, 29, v45
	v_and_b32_e32 v45, 7, v48
; %bb.174:                              ;   in Loop: Header=BB239_12 Depth=1
	s_or_b32 exec_lo, exec_lo, s43
	v_lshlrev_b32_sdwa v1, v21, v1 dst_sel:DWORD dst_unused:UNUSED_PAD src0_sel:DWORD src1_sel:WORD_0
	v_lshl_add_u32 v47, v47, 10, 0x2000
	v_lshlrev_b32_e32 v45, 23, v45
	v_and_or_b32 v1, 0x8000, v1, v47
	v_lshl_or_b32 v45, v1, 16, v45
.LBB239_175:                            ;   in Loop: Header=BB239_12 Depth=1
	s_or_b32 exec_lo, exec_lo, s42
.LBB239_176:                            ;   in Loop: Header=BB239_12 Depth=1
	s_or_b32 exec_lo, exec_lo, s41
.LBB239_177:                            ;   in Loop: Header=BB239_12 Depth=1
	s_or_b32 exec_lo, exec_lo, s40
	global_load_ushort v48, v[7:8], off offset:640
	v_mov_b32_e32 v47, 0
	s_waitcnt vmcnt(0)
	v_and_b32_e32 v1, 0xffff, v48
	v_cmp_ne_u16_sdwa s2, v48, v2 src0_sel:BYTE_0 src1_sel:DWORD
	v_mov_b32_e32 v48, 0
	s_and_saveexec_b32 s40, s2
	s_cbranch_execz .LBB239_185
; %bb.178:                              ;   in Loop: Header=BB239_12 Depth=1
	v_cmp_ne_u16_sdwa s2, v1, v18 src0_sel:BYTE_0 src1_sel:DWORD
	v_mov_b32_e32 v48, 0x8000
	s_and_saveexec_b32 s41, s2
	s_cbranch_execz .LBB239_184
; %bb.179:                              ;   in Loop: Header=BB239_12 Depth=1
	v_and_b32_e32 v50, 0x7f, v1
	v_mov_b32_e32 v48, 0x7c01
	s_mov_b32 s42, exec_lo
	v_cmpx_ne_u32_e32 0x7f, v50
	s_cbranch_execz .LBB239_183
; %bb.180:                              ;   in Loop: Header=BB239_12 Depth=1
	v_and_b32_e32 v48, 7, v1
	v_lshrrev_b32_e32 v49, 3, v50
	s_mov_b32 s43, exec_lo
	v_cmpx_gt_u32_e32 8, v50
; %bb.181:                              ;   in Loop: Header=BB239_12 Depth=1
	v_ffbh_u32_e32 v48, v48
	v_min_u32_e32 v50, 32, v48
	v_subrev_nc_u32_e32 v48, 28, v50
	v_lshlrev_b64 v[48:49], v48, v[1:2]
	v_sub_nc_u32_e32 v49, 29, v50
	v_and_b32_e32 v48, 7, v48
; %bb.182:                              ;   in Loop: Header=BB239_12 Depth=1
	s_or_b32 exec_lo, exec_lo, s43
	v_lshlrev_b32_e32 v50, 8, v1
	v_lshl_add_u32 v49, v49, 10, 0x2000
	v_lshlrev_b32_e32 v48, 7, v48
	v_and_b32_e32 v50, 0x8000, v50
	v_and_b32_e32 v49, 0xfc00, v49
	v_or3_b32 v48, v50, v49, v48
.LBB239_183:                            ;   in Loop: Header=BB239_12 Depth=1
	s_or_b32 exec_lo, exec_lo, s42
.LBB239_184:                            ;   in Loop: Header=BB239_12 Depth=1
	s_or_b32 exec_lo, exec_lo, s41
.LBB239_185:                            ;   in Loop: Header=BB239_12 Depth=1
	s_or_b32 exec_lo, exec_lo, s40
	v_lshrrev_b16 v1, 8, v1
	s_mov_b32 s40, exec_lo
	v_cmpx_ne_u16_e32 0, v1
	s_cbranch_execz .LBB239_193
; %bb.186:                              ;   in Loop: Header=BB239_12 Depth=1
	v_bfrev_b32_e32 v47, 1
	s_mov_b32 s41, exec_lo
	v_cmpx_ne_u16_e32 0x80, v1
	s_cbranch_execz .LBB239_192
; %bb.187:                              ;   in Loop: Header=BB239_12 Depth=1
	v_and_b32_sdwa v50, v1, v19 dst_sel:DWORD dst_unused:UNUSED_PAD src0_sel:WORD_0 src1_sel:DWORD
	v_mov_b32_e32 v47, 0x7c010000
	s_mov_b32 s42, exec_lo
	v_cmpx_ne_u32_e32 0x7f, v50
	s_cbranch_execz .LBB239_191
; %bb.188:                              ;   in Loop: Header=BB239_12 Depth=1
	v_and_b32_sdwa v47, v1, v20 dst_sel:DWORD dst_unused:UNUSED_PAD src0_sel:WORD_0 src1_sel:DWORD
	v_lshrrev_b32_e32 v49, 3, v50
	s_mov_b32 s43, exec_lo
	v_cmpx_gt_u32_e32 8, v50
; %bb.189:                              ;   in Loop: Header=BB239_12 Depth=1
	v_ffbh_u32_e32 v47, v47
	v_min_u32_e32 v47, 32, v47
	v_subrev_nc_u32_e32 v49, 28, v47
	v_lshlrev_b64 v[50:51], v49, v[1:2]
	v_sub_nc_u32_e32 v49, 29, v47
	v_and_b32_e32 v47, 7, v50
; %bb.190:                              ;   in Loop: Header=BB239_12 Depth=1
	s_or_b32 exec_lo, exec_lo, s43
	v_lshlrev_b32_sdwa v1, v21, v1 dst_sel:DWORD dst_unused:UNUSED_PAD src0_sel:DWORD src1_sel:WORD_0
	v_lshl_add_u32 v49, v49, 10, 0x2000
	v_lshlrev_b32_e32 v47, 23, v47
	v_and_or_b32 v1, 0x8000, v1, v49
	v_lshl_or_b32 v47, v1, 16, v47
.LBB239_191:                            ;   in Loop: Header=BB239_12 Depth=1
	s_or_b32 exec_lo, exec_lo, s42
.LBB239_192:                            ;   in Loop: Header=BB239_12 Depth=1
	s_or_b32 exec_lo, exec_lo, s41
.LBB239_193:                            ;   in Loop: Header=BB239_12 Depth=1
	s_or_b32 exec_lo, exec_lo, s40
	global_load_ushort v50, v[7:8], off offset:648
	v_mov_b32_e32 v49, 0
	s_waitcnt vmcnt(0)
	v_and_b32_e32 v1, 0xffff, v50
	v_cmp_ne_u16_sdwa s2, v50, v2 src0_sel:BYTE_0 src1_sel:DWORD
	v_mov_b32_e32 v50, 0
	s_and_saveexec_b32 s40, s2
	s_cbranch_execz .LBB239_201
; %bb.194:                              ;   in Loop: Header=BB239_12 Depth=1
	v_cmp_ne_u16_sdwa s2, v1, v18 src0_sel:BYTE_0 src1_sel:DWORD
	v_mov_b32_e32 v50, 0x8000
	s_and_saveexec_b32 s41, s2
	s_cbranch_execz .LBB239_200
; %bb.195:                              ;   in Loop: Header=BB239_12 Depth=1
	v_and_b32_e32 v52, 0x7f, v1
	v_mov_b32_e32 v50, 0x7c01
	s_mov_b32 s42, exec_lo
	v_cmpx_ne_u32_e32 0x7f, v52
	s_cbranch_execz .LBB239_199
; %bb.196:                              ;   in Loop: Header=BB239_12 Depth=1
	v_and_b32_e32 v50, 7, v1
	v_lshrrev_b32_e32 v51, 3, v52
	s_mov_b32 s43, exec_lo
	v_cmpx_gt_u32_e32 8, v52
; %bb.197:                              ;   in Loop: Header=BB239_12 Depth=1
	v_ffbh_u32_e32 v50, v50
	v_min_u32_e32 v52, 32, v50
	v_subrev_nc_u32_e32 v50, 28, v52
	v_lshlrev_b64 v[50:51], v50, v[1:2]
	v_sub_nc_u32_e32 v51, 29, v52
	v_and_b32_e32 v50, 7, v50
; %bb.198:                              ;   in Loop: Header=BB239_12 Depth=1
	s_or_b32 exec_lo, exec_lo, s43
	v_lshlrev_b32_e32 v52, 8, v1
	v_lshl_add_u32 v51, v51, 10, 0x2000
	v_lshlrev_b32_e32 v50, 7, v50
	v_and_b32_e32 v52, 0x8000, v52
	v_and_b32_e32 v51, 0xfc00, v51
	v_or3_b32 v50, v52, v51, v50
.LBB239_199:                            ;   in Loop: Header=BB239_12 Depth=1
	s_or_b32 exec_lo, exec_lo, s42
.LBB239_200:                            ;   in Loop: Header=BB239_12 Depth=1
	s_or_b32 exec_lo, exec_lo, s41
.LBB239_201:                            ;   in Loop: Header=BB239_12 Depth=1
	s_or_b32 exec_lo, exec_lo, s40
	v_lshrrev_b16 v1, 8, v1
	s_mov_b32 s40, exec_lo
	v_cmpx_ne_u16_e32 0, v1
	s_cbranch_execz .LBB239_209
; %bb.202:                              ;   in Loop: Header=BB239_12 Depth=1
	v_bfrev_b32_e32 v49, 1
	s_mov_b32 s41, exec_lo
	v_cmpx_ne_u16_e32 0x80, v1
	s_cbranch_execz .LBB239_208
; %bb.203:                              ;   in Loop: Header=BB239_12 Depth=1
	v_and_b32_sdwa v52, v1, v19 dst_sel:DWORD dst_unused:UNUSED_PAD src0_sel:WORD_0 src1_sel:DWORD
	v_mov_b32_e32 v49, 0x7c010000
	s_mov_b32 s42, exec_lo
	v_cmpx_ne_u32_e32 0x7f, v52
	s_cbranch_execz .LBB239_207
; %bb.204:                              ;   in Loop: Header=BB239_12 Depth=1
	v_and_b32_sdwa v49, v1, v20 dst_sel:DWORD dst_unused:UNUSED_PAD src0_sel:WORD_0 src1_sel:DWORD
	v_lshrrev_b32_e32 v51, 3, v52
	s_mov_b32 s43, exec_lo
	v_cmpx_gt_u32_e32 8, v52
; %bb.205:                              ;   in Loop: Header=BB239_12 Depth=1
	v_ffbh_u32_e32 v49, v49
	v_min_u32_e32 v49, 32, v49
	v_subrev_nc_u32_e32 v51, 28, v49
	v_lshlrev_b64 v[52:53], v51, v[1:2]
	v_sub_nc_u32_e32 v51, 29, v49
	v_and_b32_e32 v49, 7, v52
; %bb.206:                              ;   in Loop: Header=BB239_12 Depth=1
	s_or_b32 exec_lo, exec_lo, s43
	v_lshlrev_b32_sdwa v1, v21, v1 dst_sel:DWORD dst_unused:UNUSED_PAD src0_sel:DWORD src1_sel:WORD_0
	v_lshl_add_u32 v51, v51, 10, 0x2000
	v_lshlrev_b32_e32 v49, 23, v49
	v_and_or_b32 v1, 0x8000, v1, v51
	v_lshl_or_b32 v49, v1, 16, v49
.LBB239_207:                            ;   in Loop: Header=BB239_12 Depth=1
	s_or_b32 exec_lo, exec_lo, s42
.LBB239_208:                            ;   in Loop: Header=BB239_12 Depth=1
	s_or_b32 exec_lo, exec_lo, s41
.LBB239_209:                            ;   in Loop: Header=BB239_12 Depth=1
	s_or_b32 exec_lo, exec_lo, s40
	global_load_ushort v52, v[7:8], off offset:768
	v_mov_b32_e32 v51, 0
	s_waitcnt vmcnt(0)
	v_and_b32_e32 v1, 0xffff, v52
	v_cmp_ne_u16_sdwa s2, v52, v2 src0_sel:BYTE_0 src1_sel:DWORD
	v_mov_b32_e32 v52, 0
	s_and_saveexec_b32 s40, s2
	s_cbranch_execz .LBB239_217
; %bb.210:                              ;   in Loop: Header=BB239_12 Depth=1
	v_cmp_ne_u16_sdwa s2, v1, v18 src0_sel:BYTE_0 src1_sel:DWORD
	v_mov_b32_e32 v52, 0x8000
	s_and_saveexec_b32 s41, s2
	s_cbranch_execz .LBB239_216
; %bb.211:                              ;   in Loop: Header=BB239_12 Depth=1
	v_and_b32_e32 v54, 0x7f, v1
	v_mov_b32_e32 v52, 0x7c01
	s_mov_b32 s42, exec_lo
	v_cmpx_ne_u32_e32 0x7f, v54
	s_cbranch_execz .LBB239_215
; %bb.212:                              ;   in Loop: Header=BB239_12 Depth=1
	v_and_b32_e32 v52, 7, v1
	v_lshrrev_b32_e32 v53, 3, v54
	s_mov_b32 s43, exec_lo
	v_cmpx_gt_u32_e32 8, v54
; %bb.213:                              ;   in Loop: Header=BB239_12 Depth=1
	v_ffbh_u32_e32 v52, v52
	v_min_u32_e32 v54, 32, v52
	v_subrev_nc_u32_e32 v52, 28, v54
	v_lshlrev_b64 v[52:53], v52, v[1:2]
	v_sub_nc_u32_e32 v53, 29, v54
	v_and_b32_e32 v52, 7, v52
; %bb.214:                              ;   in Loop: Header=BB239_12 Depth=1
	s_or_b32 exec_lo, exec_lo, s43
	v_lshlrev_b32_e32 v54, 8, v1
	v_lshl_add_u32 v53, v53, 10, 0x2000
	v_lshlrev_b32_e32 v52, 7, v52
	v_and_b32_e32 v54, 0x8000, v54
	v_and_b32_e32 v53, 0xfc00, v53
	v_or3_b32 v52, v54, v53, v52
.LBB239_215:                            ;   in Loop: Header=BB239_12 Depth=1
	s_or_b32 exec_lo, exec_lo, s42
.LBB239_216:                            ;   in Loop: Header=BB239_12 Depth=1
	s_or_b32 exec_lo, exec_lo, s41
.LBB239_217:                            ;   in Loop: Header=BB239_12 Depth=1
	s_or_b32 exec_lo, exec_lo, s40
	v_lshrrev_b16 v1, 8, v1
	s_mov_b32 s40, exec_lo
	v_cmpx_ne_u16_e32 0, v1
	s_cbranch_execz .LBB239_225
; %bb.218:                              ;   in Loop: Header=BB239_12 Depth=1
	v_bfrev_b32_e32 v51, 1
	s_mov_b32 s41, exec_lo
	v_cmpx_ne_u16_e32 0x80, v1
	s_cbranch_execz .LBB239_224
; %bb.219:                              ;   in Loop: Header=BB239_12 Depth=1
	v_and_b32_sdwa v54, v1, v19 dst_sel:DWORD dst_unused:UNUSED_PAD src0_sel:WORD_0 src1_sel:DWORD
	v_mov_b32_e32 v51, 0x7c010000
	s_mov_b32 s42, exec_lo
	v_cmpx_ne_u32_e32 0x7f, v54
	s_cbranch_execz .LBB239_223
; %bb.220:                              ;   in Loop: Header=BB239_12 Depth=1
	v_and_b32_sdwa v51, v1, v20 dst_sel:DWORD dst_unused:UNUSED_PAD src0_sel:WORD_0 src1_sel:DWORD
	v_lshrrev_b32_e32 v53, 3, v54
	s_mov_b32 s43, exec_lo
	v_cmpx_gt_u32_e32 8, v54
; %bb.221:                              ;   in Loop: Header=BB239_12 Depth=1
	v_ffbh_u32_e32 v51, v51
	v_min_u32_e32 v51, 32, v51
	v_subrev_nc_u32_e32 v53, 28, v51
	v_lshlrev_b64 v[54:55], v53, v[1:2]
	v_sub_nc_u32_e32 v53, 29, v51
	v_and_b32_e32 v51, 7, v54
; %bb.222:                              ;   in Loop: Header=BB239_12 Depth=1
	s_or_b32 exec_lo, exec_lo, s43
	v_lshlrev_b32_sdwa v1, v21, v1 dst_sel:DWORD dst_unused:UNUSED_PAD src0_sel:DWORD src1_sel:WORD_0
	v_lshl_add_u32 v53, v53, 10, 0x2000
	v_lshlrev_b32_e32 v51, 23, v51
	v_and_or_b32 v1, 0x8000, v1, v53
	v_lshl_or_b32 v51, v1, 16, v51
.LBB239_223:                            ;   in Loop: Header=BB239_12 Depth=1
	s_or_b32 exec_lo, exec_lo, s42
.LBB239_224:                            ;   in Loop: Header=BB239_12 Depth=1
	s_or_b32 exec_lo, exec_lo, s41
.LBB239_225:                            ;   in Loop: Header=BB239_12 Depth=1
	s_or_b32 exec_lo, exec_lo, s40
	global_load_ushort v54, v[7:8], off offset:776
	v_mov_b32_e32 v53, 0
	s_waitcnt vmcnt(0)
	v_and_b32_e32 v1, 0xffff, v54
	v_cmp_ne_u16_sdwa s2, v54, v2 src0_sel:BYTE_0 src1_sel:DWORD
	v_mov_b32_e32 v54, 0
	s_and_saveexec_b32 s40, s2
	s_cbranch_execz .LBB239_233
; %bb.226:                              ;   in Loop: Header=BB239_12 Depth=1
	v_cmp_ne_u16_sdwa s2, v1, v18 src0_sel:BYTE_0 src1_sel:DWORD
	v_mov_b32_e32 v54, 0x8000
	s_and_saveexec_b32 s41, s2
	s_cbranch_execz .LBB239_232
; %bb.227:                              ;   in Loop: Header=BB239_12 Depth=1
	v_and_b32_e32 v56, 0x7f, v1
	v_mov_b32_e32 v54, 0x7c01
	s_mov_b32 s42, exec_lo
	v_cmpx_ne_u32_e32 0x7f, v56
	s_cbranch_execz .LBB239_231
; %bb.228:                              ;   in Loop: Header=BB239_12 Depth=1
	v_and_b32_e32 v54, 7, v1
	v_lshrrev_b32_e32 v55, 3, v56
	s_mov_b32 s43, exec_lo
	v_cmpx_gt_u32_e32 8, v56
; %bb.229:                              ;   in Loop: Header=BB239_12 Depth=1
	v_ffbh_u32_e32 v54, v54
	v_min_u32_e32 v56, 32, v54
	v_subrev_nc_u32_e32 v54, 28, v56
	v_lshlrev_b64 v[54:55], v54, v[1:2]
	v_sub_nc_u32_e32 v55, 29, v56
	v_and_b32_e32 v54, 7, v54
; %bb.230:                              ;   in Loop: Header=BB239_12 Depth=1
	s_or_b32 exec_lo, exec_lo, s43
	v_lshlrev_b32_e32 v56, 8, v1
	v_lshl_add_u32 v55, v55, 10, 0x2000
	v_lshlrev_b32_e32 v54, 7, v54
	v_and_b32_e32 v56, 0x8000, v56
	v_and_b32_e32 v55, 0xfc00, v55
	v_or3_b32 v54, v56, v55, v54
.LBB239_231:                            ;   in Loop: Header=BB239_12 Depth=1
	s_or_b32 exec_lo, exec_lo, s42
.LBB239_232:                            ;   in Loop: Header=BB239_12 Depth=1
	s_or_b32 exec_lo, exec_lo, s41
.LBB239_233:                            ;   in Loop: Header=BB239_12 Depth=1
	s_or_b32 exec_lo, exec_lo, s40
	v_lshrrev_b16 v1, 8, v1
	s_mov_b32 s40, exec_lo
	v_cmpx_ne_u16_e32 0, v1
	s_cbranch_execz .LBB239_241
; %bb.234:                              ;   in Loop: Header=BB239_12 Depth=1
	v_bfrev_b32_e32 v53, 1
	s_mov_b32 s41, exec_lo
	v_cmpx_ne_u16_e32 0x80, v1
	s_cbranch_execz .LBB239_240
; %bb.235:                              ;   in Loop: Header=BB239_12 Depth=1
	v_and_b32_sdwa v56, v1, v19 dst_sel:DWORD dst_unused:UNUSED_PAD src0_sel:WORD_0 src1_sel:DWORD
	v_mov_b32_e32 v53, 0x7c010000
	s_mov_b32 s42, exec_lo
	v_cmpx_ne_u32_e32 0x7f, v56
	s_cbranch_execz .LBB239_239
; %bb.236:                              ;   in Loop: Header=BB239_12 Depth=1
	v_and_b32_sdwa v53, v1, v20 dst_sel:DWORD dst_unused:UNUSED_PAD src0_sel:WORD_0 src1_sel:DWORD
	v_lshrrev_b32_e32 v55, 3, v56
	s_mov_b32 s43, exec_lo
	v_cmpx_gt_u32_e32 8, v56
; %bb.237:                              ;   in Loop: Header=BB239_12 Depth=1
	v_ffbh_u32_e32 v53, v53
	v_min_u32_e32 v53, 32, v53
	v_subrev_nc_u32_e32 v55, 28, v53
	v_lshlrev_b64 v[56:57], v55, v[1:2]
	v_sub_nc_u32_e32 v55, 29, v53
	v_and_b32_e32 v53, 7, v56
; %bb.238:                              ;   in Loop: Header=BB239_12 Depth=1
	s_or_b32 exec_lo, exec_lo, s43
	v_lshlrev_b32_sdwa v1, v21, v1 dst_sel:DWORD dst_unused:UNUSED_PAD src0_sel:DWORD src1_sel:WORD_0
	v_lshl_add_u32 v55, v55, 10, 0x2000
	v_lshlrev_b32_e32 v53, 23, v53
	v_and_or_b32 v1, 0x8000, v1, v55
	v_lshl_or_b32 v53, v1, 16, v53
.LBB239_239:                            ;   in Loop: Header=BB239_12 Depth=1
	s_or_b32 exec_lo, exec_lo, s42
.LBB239_240:                            ;   in Loop: Header=BB239_12 Depth=1
	s_or_b32 exec_lo, exec_lo, s41
.LBB239_241:                            ;   in Loop: Header=BB239_12 Depth=1
	s_or_b32 exec_lo, exec_lo, s40
	global_load_ushort v8, v[7:8], off offset:896
	v_mov_b32_e32 v7, 0
	s_waitcnt vmcnt(0)
	v_and_b32_e32 v1, 0xffff, v8
	v_cmp_ne_u16_sdwa s2, v8, v2 src0_sel:BYTE_0 src1_sel:DWORD
	v_mov_b32_e32 v8, 0
	s_and_saveexec_b32 s40, s2
	s_cbranch_execz .LBB239_249
; %bb.242:                              ;   in Loop: Header=BB239_12 Depth=1
	v_cmp_ne_u16_sdwa s2, v1, v18 src0_sel:BYTE_0 src1_sel:DWORD
	v_mov_b32_e32 v8, 0x8000
	s_and_saveexec_b32 s41, s2
	s_cbranch_execz .LBB239_248
; %bb.243:                              ;   in Loop: Header=BB239_12 Depth=1
	v_and_b32_e32 v56, 0x7f, v1
	v_mov_b32_e32 v8, 0x7c01
	s_mov_b32 s42, exec_lo
	v_cmpx_ne_u32_e32 0x7f, v56
	s_cbranch_execz .LBB239_247
; %bb.244:                              ;   in Loop: Header=BB239_12 Depth=1
	v_and_b32_e32 v8, 7, v1
	v_lshrrev_b32_e32 v55, 3, v56
	s_mov_b32 s43, exec_lo
	v_cmpx_gt_u32_e32 8, v56
; %bb.245:                              ;   in Loop: Header=BB239_12 Depth=1
	v_ffbh_u32_e32 v8, v8
	v_min_u32_e32 v8, 32, v8
	v_subrev_nc_u32_e32 v55, 28, v8
	v_lshlrev_b64 v[56:57], v55, v[1:2]
	v_sub_nc_u32_e32 v55, 29, v8
	v_and_b32_e32 v8, 7, v56
; %bb.246:                              ;   in Loop: Header=BB239_12 Depth=1
	s_or_b32 exec_lo, exec_lo, s43
	v_lshlrev_b32_e32 v56, 8, v1
	v_lshl_add_u32 v55, v55, 10, 0x2000
	v_lshlrev_b32_e32 v8, 7, v8
	v_and_b32_e32 v56, 0x8000, v56
	v_and_b32_e32 v55, 0xfc00, v55
	v_or3_b32 v8, v56, v55, v8
.LBB239_247:                            ;   in Loop: Header=BB239_12 Depth=1
	s_or_b32 exec_lo, exec_lo, s42
.LBB239_248:                            ;   in Loop: Header=BB239_12 Depth=1
	s_or_b32 exec_lo, exec_lo, s41
.LBB239_249:                            ;   in Loop: Header=BB239_12 Depth=1
	s_or_b32 exec_lo, exec_lo, s40
	v_lshrrev_b16 v1, 8, v1
	s_mov_b32 s40, exec_lo
	v_cmpx_ne_u16_e32 0, v1
	s_cbranch_execz .LBB239_257
; %bb.250:                              ;   in Loop: Header=BB239_12 Depth=1
	v_bfrev_b32_e32 v7, 1
	s_mov_b32 s41, exec_lo
	v_cmpx_ne_u16_e32 0x80, v1
	s_cbranch_execz .LBB239_256
; %bb.251:                              ;   in Loop: Header=BB239_12 Depth=1
	v_and_b32_sdwa v56, v1, v19 dst_sel:DWORD dst_unused:UNUSED_PAD src0_sel:WORD_0 src1_sel:DWORD
	v_mov_b32_e32 v7, 0x7c010000
	s_mov_b32 s42, exec_lo
	v_cmpx_ne_u32_e32 0x7f, v56
	s_cbranch_execz .LBB239_255
; %bb.252:                              ;   in Loop: Header=BB239_12 Depth=1
	v_and_b32_sdwa v7, v1, v20 dst_sel:DWORD dst_unused:UNUSED_PAD src0_sel:WORD_0 src1_sel:DWORD
	v_lshrrev_b32_e32 v55, 3, v56
	s_mov_b32 s43, exec_lo
	v_cmpx_gt_u32_e32 8, v56
; %bb.253:                              ;   in Loop: Header=BB239_12 Depth=1
	v_ffbh_u32_e32 v7, v7
	v_min_u32_e32 v7, 32, v7
	v_subrev_nc_u32_e32 v55, 28, v7
	v_lshlrev_b64 v[56:57], v55, v[1:2]
	v_sub_nc_u32_e32 v55, 29, v7
	v_and_b32_e32 v7, 7, v56
; %bb.254:                              ;   in Loop: Header=BB239_12 Depth=1
	s_or_b32 exec_lo, exec_lo, s43
	v_lshlrev_b32_sdwa v1, v21, v1 dst_sel:DWORD dst_unused:UNUSED_PAD src0_sel:DWORD src1_sel:WORD_0
	v_lshl_add_u32 v55, v55, 10, 0x2000
	v_lshlrev_b32_e32 v7, 23, v7
	v_and_or_b32 v1, 0x8000, v1, v55
	v_lshl_or_b32 v7, v1, 16, v7
.LBB239_255:                            ;   in Loop: Header=BB239_12 Depth=1
	s_or_b32 exec_lo, exec_lo, s42
.LBB239_256:                            ;   in Loop: Header=BB239_12 Depth=1
	s_or_b32 exec_lo, exec_lo, s41
.LBB239_257:                            ;   in Loop: Header=BB239_12 Depth=1
	s_or_b32 exec_lo, exec_lo, s40
	ds_read_b32 v1, v14
	v_or_b32_e32 v28, v27, v28
	v_fma_mixlo_f16 v27, v26, v27, 0 op_sel:[0,1,0] op_sel_hi:[0,1,0]
	v_or_b32_e32 v30, v29, v30
	v_fma_mixlo_f16 v29, v26, v29, 0 op_sel:[0,1,0] op_sel_hi:[0,1,0]
	v_or_b32_e32 v32, v31, v32
	v_fma_mixlo_f16 v28, v26, v28, 0 op_sel_hi:[0,1,0]
	v_and_b32_e32 v57, 0xffff, v27
	v_fma_mixlo_f16 v30, v26, v30, 0 op_sel_hi:[0,1,0]
	v_and_b32_e32 v59, 0xffff, v29
	;; [unrolled: 2-line block ×3, first 2 shown]
	v_fma_mixlo_f16 v31, v26, v31, 0 op_sel:[0,1,0] op_sel_hi:[0,1,0]
	v_and_b32_e32 v58, 0xffff, v30
	v_or_b32_e32 v34, v33, v34
	v_and_b32_e32 v60, 0xffff, v32
	v_fma_mixlo_f16 v33, v26, v33, 0 op_sel:[0,1,0] op_sel_hi:[0,1,0]
	v_and_b32_e32 v61, 0xffff, v31
	v_or_b32_e32 v36, v35, v36
	v_fma_mixlo_f16 v34, v26, v34, 0 op_sel_hi:[0,1,0]
	s_waitcnt lgkmcnt(0)
	v_and_b32_e32 v55, 0xffff, v1
	v_lshrrev_b32_e32 v56, 16, v1
	;;#ASMSTART
	v_cvt_f32_f16 v1, v55;
	;;#ASMEND
	;;#ASMSTART
	v_cvt_f32_f16 v27, v56;
	;;#ASMEND
	;; [unrolled: 3-line block ×4, first 2 shown]
	ds_read_b32 v56, v14 offset:4
	v_and_b32_e32 v62, 0xffff, v34
	v_and_b32_e32 v63, 0xffff, v33
	v_fma_mixlo_f16 v36, v26, v36, 0 op_sel_hi:[0,1,0]
	v_fma_mixlo_f16 v35, v26, v35, 0 op_sel:[0,1,0] op_sel_hi:[0,1,0]
	v_or_b32_e32 v38, v37, v38
	v_fma_mixlo_f16 v37, v26, v37, 0 op_sel:[0,1,0] op_sel_hi:[0,1,0]
	v_or_b32_e32 v40, v39, v40
	v_and_b32_e32 v64, 0xffff, v36
	v_and_b32_e32 v65, 0xffff, v35
	v_fma_mixlo_f16 v38, v26, v38, 0 op_sel_hi:[0,1,0]
	v_and_b32_e32 v67, 0xffff, v37
	v_fma_mixlo_f16 v40, v26, v40, 0 op_sel_hi:[0,1,0]
	v_fma_mixlo_f16 v39, v26, v39, 0 op_sel:[0,1,0] op_sel_hi:[0,1,0]
	v_or_b32_e32 v42, v41, v42
	v_and_b32_e32 v66, 0xffff, v38
	v_fma_mixlo_f16 v41, v26, v41, 0 op_sel:[0,1,0] op_sel_hi:[0,1,0]
	v_and_b32_e32 v68, 0xffff, v40
	v_and_b32_e32 v69, 0xffff, v39
	v_fma_mixlo_f16 v42, v26, v42, 0 op_sel_hi:[0,1,0]
	s_waitcnt lgkmcnt(0)
	v_and_b32_e32 v57, 0xffff, v56
	v_lshrrev_b32_e32 v56, 16, v56
	;;#ASMSTART
	v_cvt_f32_f16 v29, v57;
	;;#ASMEND
	;;#ASMSTART
	v_cvt_f32_f16 v30, v56;
	;;#ASMEND
	;; [unrolled: 3-line block ×4, first 2 shown]
	ds_read_b32 v58, v14 offset:8
	v_and_b32_e32 v70, 0xffff, v42
	v_and_b32_e32 v71, 0xffff, v41
	v_or_b32_e32 v44, v43, v44
	v_fma_mixlo_f16 v43, v26, v43, 0 op_sel:[0,1,0] op_sel_hi:[0,1,0]
	v_or_b32_e32 v46, v45, v46
	v_fma_mixlo_f16 v45, v26, v45, 0 op_sel:[0,1,0] op_sel_hi:[0,1,0]
	v_or_b32_e32 v48, v47, v48
	v_fma_mixlo_f16 v44, v26, v44, 0 op_sel_hi:[0,1,0]
	v_and_b32_e32 v73, 0xffff, v43
	v_fma_mixlo_f16 v46, v26, v46, 0 op_sel_hi:[0,1,0]
	v_and_b32_e32 v75, 0xffff, v45
	;; [unrolled: 2-line block ×3, first 2 shown]
	v_fma_mixlo_f16 v47, v26, v47, 0 op_sel:[0,1,0] op_sel_hi:[0,1,0]
	v_and_b32_e32 v74, 0xffff, v46
	v_or_b32_e32 v50, v49, v50
	v_and_b32_e32 v76, 0xffff, v48
	v_mul_f32_e32 v29, v29, v56
	v_and_b32_e32 v77, 0xffff, v47
	s_waitcnt lgkmcnt(0)
	v_and_b32_e32 v59, 0xffff, v58
	v_lshrrev_b32_e32 v58, 16, v58
	;;#ASMSTART
	v_cvt_f32_f16 v31, v59;
	;;#ASMEND
	;;#ASMSTART
	v_cvt_f32_f16 v32, v58;
	;;#ASMEND
	;; [unrolled: 3-line block ×4, first 2 shown]
	ds_read_b32 v60, v14 offset:12
	v_mul_f32_e32 v30, v30, v57
	v_fma_mixlo_f16 v50, v26, v50, 0 op_sel_hi:[0,1,0]
	v_fma_mixlo_f16 v49, v26, v49, 0 op_sel:[0,1,0] op_sel_hi:[0,1,0]
	v_fmac_f32_e32 v29, v1, v28
	v_or_b32_e32 v52, v51, v52
	v_fmac_f32_e32 v30, v27, v55
	v_and_b32_e32 v78, 0xffff, v50
	v_and_b32_e32 v79, 0xffff, v49
	v_fmac_f32_e32 v29, v31, v58
	v_fma_mixlo_f16 v1, v26, v52, 0 op_sel_hi:[0,1,0]
	v_fmac_f32_e32 v30, v32, v59
	v_fma_mixlo_f16 v51, v26, v51, 0 op_sel:[0,1,0] op_sel_hi:[0,1,0]
	v_or_b32_e32 v8, v7, v8
	v_fma_mixlo_f16 v7, v26, v7, 0 op_sel:[0,1,0] op_sel_hi:[0,1,0]
	v_and_b32_e32 v31, 0xffff, v1
	v_and_b32_e32 v51, 0xffff, v51
	v_fma_mixlo_f16 v8, v26, v8, 0 op_sel_hi:[0,1,0]
	s_waitcnt lgkmcnt(0)
	v_and_b32_e32 v61, 0xffff, v60
	v_lshrrev_b32_e32 v60, 16, v60
	;;#ASMSTART
	v_cvt_f32_f16 v33, v61;
	;;#ASMEND
	;;#ASMSTART
	v_cvt_f32_f16 v34, v60;
	;;#ASMEND
	;; [unrolled: 3-line block ×4, first 2 shown]
	ds_read_b32 v62, v14 offset:16
	v_fmac_f32_e32 v29, v33, v60
	v_fmac_f32_e32 v30, v34, v61
	v_or_b32_e32 v33, v53, v54
	v_fma_mixlo_f16 v34, v26, v53, 0 op_sel:[0,1,0] op_sel_hi:[0,1,0]
	v_fma_mixlo_f16 v33, v26, v33, 0 op_sel_hi:[0,1,0]
	s_waitcnt lgkmcnt(0)
	v_and_b32_e32 v63, 0xffff, v62
	v_lshrrev_b32_e32 v62, 16, v62
	;;#ASMSTART
	v_cvt_f32_f16 v35, v63;
	;;#ASMEND
	;;#ASMSTART
	v_cvt_f32_f16 v36, v62;
	;;#ASMEND
	;;#ASMSTART
	v_cvt_f32_f16 v62, v64;
	;;#ASMEND
	;;#ASMSTART
	v_cvt_f32_f16 v63, v65;
	;;#ASMEND
	ds_read_b32 v64, v14 offset:20
	v_fmac_f32_e32 v29, v35, v62
	v_fmac_f32_e32 v30, v36, v63
	v_and_b32_e32 v35, 0xffff, v34
	s_waitcnt lgkmcnt(0)
	v_and_b32_e32 v65, 0xffff, v64
	v_lshrrev_b32_e32 v64, 16, v64
	;;#ASMSTART
	v_cvt_f32_f16 v37, v65;
	;;#ASMEND
	;;#ASMSTART
	v_cvt_f32_f16 v38, v64;
	;;#ASMEND
	;; [unrolled: 3-line block ×4, first 2 shown]
	ds_read_b32 v66, v14 offset:24
	v_fmac_f32_e32 v29, v37, v64
	v_fmac_f32_e32 v30, v38, v65
	v_and_b32_e32 v37, 0xffff, v33
	v_and_b32_e32 v38, 0xffff, v7
	s_waitcnt lgkmcnt(0)
	v_and_b32_e32 v67, 0xffff, v66
	v_lshrrev_b32_e32 v66, 16, v66
	;;#ASMSTART
	v_cvt_f32_f16 v39, v67;
	;;#ASMEND
	;;#ASMSTART
	v_cvt_f32_f16 v40, v66;
	;;#ASMEND
	;;#ASMSTART
	v_cvt_f32_f16 v66, v68;
	;;#ASMEND
	;;#ASMSTART
	v_cvt_f32_f16 v67, v69;
	;;#ASMEND
	ds_read_b32 v68, v14 offset:28
	v_fmac_f32_e32 v29, v39, v66
	v_fmac_f32_e32 v30, v40, v67
	s_waitcnt lgkmcnt(0)
	v_and_b32_e32 v69, 0xffff, v68
	v_lshrrev_b32_e32 v68, 16, v68
	;;#ASMSTART
	v_cvt_f32_f16 v41, v69;
	;;#ASMEND
	;;#ASMSTART
	v_cvt_f32_f16 v42, v68;
	;;#ASMEND
	;;#ASMSTART
	v_cvt_f32_f16 v68, v70;
	;;#ASMEND
	;;#ASMSTART
	v_cvt_f32_f16 v69, v71;
	;;#ASMEND
	ds_read_b32 v70, v14 offset:32
	v_fmac_f32_e32 v29, v41, v68
	v_fmac_f32_e32 v30, v42, v69
	;; [unrolled: 18-line block ×7, first 2 shown]
	v_and_b32_e32 v27, 0xffff, v8
	s_waitcnt lgkmcnt(0)
	v_and_b32_e32 v34, 0xffff, v32
	v_lshrrev_b32_e32 v36, 16, v32
	;;#ASMSTART
	v_cvt_f32_f16 v32, v34;
	;;#ASMEND
	;;#ASMSTART
	v_cvt_f32_f16 v33, v36;
	;;#ASMEND
	;; [unrolled: 3-line block ×4, first 2 shown]
	ds_read_b32 v36, v14 offset:56
	v_xor_b32_e32 v37, 2, v10
	v_fmac_f32_e32 v29, v32, v34
	v_fmac_f32_e32 v30, v33, v35
	v_cmp_gt_i32_e64 s2, 32, v37
	v_cndmask_b32_e64 v7, v10, v37, s2
	s_waitcnt lgkmcnt(0)
	v_and_b32_e32 v1, 0xffff, v36
	v_lshrrev_b32_e32 v26, 16, v36
	;;#ASMSTART
	v_cvt_f32_f16 v1, v1;
	;;#ASMEND
	;;#ASMSTART
	v_cvt_f32_f16 v8, v26;
	;;#ASMEND
	;; [unrolled: 3-line block ×4, first 2 shown]
	v_fmac_f32_e32 v29, v1, v26
	v_fmac_f32_e32 v30, v8, v27
	v_lshlrev_b32_e32 v1, 2, v7
	v_xor_b32_e32 v8, 1, v10
	v_add_f32_e32 v7, v29, v30
	v_cmp_gt_i32_e64 s2, 32, v8
	ds_bpermute_b32 v1, v1, v7
	v_cndmask_b32_e64 v8, v10, v8, s2
	s_waitcnt lgkmcnt(0)
	v_add_f32_e32 v1, v7, v1
	v_lshlrev_b32_e32 v7, 2, v8
	ds_bpermute_b32 v7, v7, v1
	s_and_saveexec_b32 s40, vcc_lo
	s_cbranch_execz .LBB239_10
; %bb.258:                              ;   in Loop: Header=BB239_12 Depth=1
	v_add_nc_u32_e32 v8, v22, v16
	s_waitcnt lgkmcnt(0)
	v_add_f32_e32 v1, v1, v7
	v_cvt_f32_i32_e32 v8, v8
	v_mul_f32_e32 v8, s36, v8
	v_cndmask_b32_e64 v7, 0, v8, s1
	v_max_f32_e32 v8, v15, v15
	v_fmac_f32_e32 v7, s35, v1
	v_add_nc_u32_e32 v1, v13, v16
	v_max_f32_e32 v8, v8, v7
	v_cmp_gt_i32_e64 s2, s33, v1
	v_cndmask_b32_e64 v1, 0, v7, s2
	v_cndmask_b32_e64 v15, v15, v8, s2
	ds_write_b32 v23, v1
	s_branch .LBB239_10
.LBB239_259:
	s_or_b32 exec_lo, exec_lo, s38
.LBB239_260:
	s_or_b32 exec_lo, exec_lo, s37
	v_xor_b32_e32 v1, 16, v10
	v_xor_b32_e32 v3, 8, v10
	v_max_f32_e32 v4, v15, v15
	v_and_b32_e32 v13, 31, v0
	v_cmp_gt_i32_e32 vcc_lo, 32, v1
	v_cndmask_b32_e32 v1, v10, v1, vcc_lo
	v_cmp_gt_i32_e32 vcc_lo, 32, v3
	v_lshlrev_b32_e32 v1, 2, v1
	v_cndmask_b32_e32 v3, v10, v3, vcc_lo
	ds_bpermute_b32 v2, v1, v15
	s_waitcnt lgkmcnt(0)
	v_max_f32_e32 v5, v2, v2
	v_lshlrev_b32_e32 v2, 2, v3
	v_max_f32_e32 v3, v4, v5
	v_xor_b32_e32 v5, 4, v10
	ds_bpermute_b32 v4, v2, v3
	v_cmp_gt_i32_e32 vcc_lo, 32, v5
	v_cndmask_b32_e32 v5, v10, v5, vcc_lo
	v_cmp_eq_u32_e32 vcc_lo, 0, v13
	v_lshlrev_b32_e32 v5, 2, v5
	s_waitcnt lgkmcnt(0)
	v_max_f32_e32 v4, v4, v4
	v_max_f32_e32 v4, v3, v4
	v_lshlrev_b32_e32 v3, 2, v11
	ds_bpermute_b32 v6, v5, v4
	s_and_saveexec_b32 s1, vcc_lo
	s_cbranch_execz .LBB239_262
; %bb.261:
	s_waitcnt lgkmcnt(0)
	v_max_f32_e32 v6, v6, v6
	v_max_f32_e32 v4, v4, v4
	;; [unrolled: 1-line block ×3, first 2 shown]
	ds_write_b32 v3, v4 offset:240
.LBB239_262:
	s_or_b32 exec_lo, exec_lo, s1
	v_cmp_gt_u32_e64 s1, 4, v13
	v_mov_b32_e32 v7, 0xff7fffff
	v_lshlrev_b32_e32 v4, 2, v13
	s_waitcnt lgkmcnt(0)
	s_barrier
	buffer_gl0_inv
	s_and_saveexec_b32 s2, s1
; %bb.263:
	ds_read_b32 v7, v4 offset:240
; %bb.264:
	s_or_b32 exec_lo, exec_lo, s2
	v_xor_b32_e32 v6, 2, v10
	v_xor_b32_e32 v14, 1, v10
	s_waitcnt lgkmcnt(0)
	v_max_f32_e32 v15, v7, v7
	v_cmp_gt_i32_e64 s2, 32, v6
	v_cndmask_b32_e64 v6, v10, v6, s2
	v_cmp_gt_i32_e64 s2, 32, v14
	v_lshlrev_b32_e32 v6, 2, v6
	ds_bpermute_b32 v8, v6, v7
	v_cndmask_b32_e64 v7, v10, v14, s2
	s_lshl_b32 s2, s20, 3
	v_lshl_add_u32 v14, v0, 2, 0x110
	s_min_i32 s4, s2, s33
	v_lshlrev_b32_e32 v7, 2, v7
	v_cmp_gt_i32_e64 s2, s4, v0
	s_waitcnt lgkmcnt(0)
	v_max_f32_e32 v8, v8, v8
	v_max_f32_e32 v8, v15, v8
	ds_bpermute_b32 v10, v7, v8
	s_waitcnt lgkmcnt(0)
	v_max_f32_e32 v10, v10, v10
	v_max_f32_e32 v10, v8, v10
	v_mov_b32_e32 v8, 0
	ds_bpermute_b32 v10, v8, v10
	s_and_saveexec_b32 s5, s2
	s_cbranch_execz .LBB239_268
; %bb.265:
	v_lshl_add_u32 v15, v0, 2, 0x110
	v_mov_b32_e32 v8, 0
	v_mov_b32_e32 v16, v0
	s_mov_b32 s12, 0
	.p2align	6
.LBB239_266:                            ; =>This Inner Loop Header: Depth=1
	ds_read_b32 v17, v15
	v_add_nc_u32_e32 v16, 0x80, v16
	v_cmp_le_i32_e64 s3, s4, v16
	s_or_b32 s12, s3, s12
	s_waitcnt lgkmcnt(0)
	v_sub_f32_e32 v17, v17, v10
	v_mul_f32_e32 v17, 0x3fb8aa3b, v17
	v_exp_f32_e32 v17, v17
	ds_write_b32 v15, v17
	v_add_f32_e32 v8, v8, v17
	v_add_nc_u32_e32 v15, 0x200, v15
	s_andn2_b32 exec_lo, exec_lo, s12
	s_cbranch_execnz .LBB239_266
; %bb.267:
	s_or_b32 exec_lo, exec_lo, s12
.LBB239_268:
	s_or_b32 exec_lo, exec_lo, s5
	ds_bpermute_b32 v1, v1, v8
	s_waitcnt lgkmcnt(0)
	v_add_f32_e32 v1, v8, v1
	ds_bpermute_b32 v2, v2, v1
	s_waitcnt lgkmcnt(0)
	v_add_f32_e32 v1, v1, v2
	;; [unrolled: 3-line block ×5, first 2 shown]
	s_and_saveexec_b32 s3, vcc_lo
; %bb.269:
	ds_write_b32 v3, v1 offset:256
; %bb.270:
	s_or_b32 exec_lo, exec_lo, s3
	s_waitcnt lgkmcnt(0)
	s_barrier
	buffer_gl0_inv
	s_and_saveexec_b32 s3, s1
; %bb.271:
	ds_read_b32 v1, v4 offset:256
; %bb.272:
	s_or_b32 exec_lo, exec_lo, s3
	s_waitcnt lgkmcnt(0)
	ds_bpermute_b32 v2, v6, v1
	s_waitcnt lgkmcnt(0)
	v_add_f32_e32 v1, v1, v2
	ds_bpermute_b32 v2, v7, v1
	s_waitcnt lgkmcnt(0)
	v_add_f32_e32 v1, v1, v2
	v_mov_b32_e32 v2, 0
	ds_bpermute_b32 v1, v2, v1
	s_and_saveexec_b32 s1, s2
	s_cbranch_execz .LBB239_275
; %bb.273:
	s_waitcnt lgkmcnt(0)
	v_add_f32_e32 v2, 0x358637bd, v1
	s_mov_b32 s2, 0
	v_div_scale_f32 v1, null, v2, v2, 1.0
	v_div_scale_f32 v5, vcc_lo, 1.0, v2, 1.0
	v_rcp_f32_e32 v3, v1
	v_fma_f32 v4, -v1, v3, 1.0
	v_fmac_f32_e32 v3, v4, v3
	v_mul_f32_e32 v4, v5, v3
	v_fma_f32 v6, -v1, v4, v5
	v_fmac_f32_e32 v4, v6, v3
	v_fma_f32 v1, -v1, v4, v5
	v_div_fmas_f32 v3, v1, v3, v4
	v_mov_b32_e32 v1, v14
	v_div_fixup_f32 v2, v3, v2, 1.0
	v_mov_b32_e32 v3, v0
.LBB239_274:                            ; =>This Inner Loop Header: Depth=1
	ds_read_b32 v4, v1
	v_add_nc_u32_e32 v3, 0x80, v3
	v_cmp_le_i32_e32 vcc_lo, s4, v3
	s_or_b32 s2, vcc_lo, s2
	s_waitcnt lgkmcnt(0)
	v_mul_f32_e32 v4, v2, v4
	ds_write_b32 v1, v4
	v_add_nc_u32_e32 v1, 0x200, v1
	s_andn2_b32 exec_lo, exec_lo, s2
	s_cbranch_execnz .LBB239_274
.LBB239_275:
	s_or_b32 exec_lo, exec_lo, s1
	v_mov_b32_e32 v18, 0
	v_mov_b32_e32 v17, 0
	;; [unrolled: 1-line block ×4, first 2 shown]
	s_waitcnt lgkmcnt(0)
	s_barrier
	buffer_gl0_inv
	s_and_saveexec_b32 s12, s0
	s_cbranch_execz .LBB239_547
; %bb.276:
	s_sub_i32 s13, s34, s21
	s_ashr_i32 s0, s18, 31
	s_add_u32 s2, s30, s18
	s_addc_u32 s3, s31, s0
	s_abs_i32 s18, s22
	v_or_b32_e32 v3, 0x60, v13
	v_cvt_f32_u32_e32 v1, s18
	s_sub_i32 s0, 0, s18
	v_and_b32_e32 v4, 0x7c, v9
	s_add_i32 s21, s20, -1
	v_cmp_gt_u32_e32 vcc_lo, 0x78, v3
	v_rcp_iflag_f32_e32 v1, v1
	v_lshlrev_b32_e32 v25, 3, v3
	v_lshlrev_b32_e32 v19, 3, v13
	v_mov_b32_e32 v2, 0
	v_lshl_add_u32 v20, v11, 5, 0x110
	v_mov_b32_e32 v21, 0x80
	v_mov_b32_e32 v22, 0x7f
	;; [unrolled: 1-line block ×5, first 2 shown]
	v_mul_f32_e32 v1, 0x4f7ffffe, v1
	v_mov_b32_e32 v16, 0
	v_mov_b32_e32 v17, 0
	;; [unrolled: 1-line block ×4, first 2 shown]
	v_cvt_u32_f32_e32 v1, v1
	s_mov_b32 s4, -1
	s_mov_b32 s5, 0xffffff
	s_mov_b32 s22, 0
	v_mul_lo_u32 v5, s0, v1
	s_lshl_b64 s[0:1], s[28:29], 2
	s_add_u32 s0, s26, s0
	s_addc_u32 s1, s27, s1
	v_add_co_u32 v3, s0, s0, v4
	v_add_co_ci_u32_e64 v4, null, s1, 0, s0
	v_mul_hi_u32 v5, v1, v5
	v_add_nc_u32_e32 v26, v1, v5
	s_branch .LBB239_280
.LBB239_277:                            ;   in Loop: Header=BB239_280 Depth=1
	s_or_b32 exec_lo, exec_lo, s1
	;;#ASMSTART
	v_pk_mul_f16 v1, v33, v41;

	;;#ASMEND
	;;#ASMSTART
	v_pk_mul_f16 v5, v32, v40;

	;;#ASMEND
	;; [unrolled: 4-line block ×4, first 2 shown]
	;;#ASMSTART
	v_pk_add_f16 v1, v1, v5;

	;;#ASMEND
	;;#ASMSTART
	v_pk_add_f16 v1, v1, v6;

	;;#ASMEND
	;; [unrolled: 4-line block ×3, first 2 shown]
	v_and_b32_e32 v5, 0xffff, v1
	v_lshrrev_b32_e32 v6, 16, v1
	;;#ASMSTART
	v_cvt_f32_f16 v1, v5;
	;;#ASMEND
	;;#ASMSTART
	v_cvt_f32_f16 v5, v6;
	;;#ASMEND
	v_add_f32_e32 v1, v1, v5
	v_add_f32_e32 v15, v15, v1
.LBB239_278:                            ;   in Loop: Header=BB239_280 Depth=1
	s_or_b32 exec_lo, exec_lo, s27
	v_add_f32_e32 v1, v9, v10
	v_add_f32_e32 v5, v28, v29
	;; [unrolled: 1-line block ×6, first 2 shown]
.LBB239_279:                            ;   in Loop: Header=BB239_280 Depth=1
	s_or_b32 exec_lo, exec_lo, s26
	v_add_nc_u32_e32 v27, 4, v27
	v_add_co_u32 v3, s1, v3, 16
	v_add_co_ci_u32_e64 v4, null, 0, v4, s1
	v_cmp_le_i32_e64 s0, s20, v27
	v_add_nc_u32_e32 v12, 32, v12
	v_add_nc_u32_e32 v20, 0x80, v20
	s_or_b32 s22, s0, s22
	s_andn2_b32 exec_lo, exec_lo, s22
	s_cbranch_execz .LBB239_546
.LBB239_280:                            ; =>This Inner Loop Header: Depth=1
	v_mul_hi_u32 v1, v12, s19
	v_mul_lo_u32 v5, v1, s16
	v_add_nc_u32_e32 v6, 1, v1
	v_sub_nc_u32_e32 v5, v12, v5
	v_subrev_nc_u32_e32 v7, s16, v5
	v_cmp_le_u32_e64 s0, s16, v5
	v_cndmask_b32_e64 v1, v1, v6, s0
	v_cndmask_b32_e64 v5, v5, v7, s0
	v_add_nc_u32_e32 v6, 1, v1
	v_cmp_le_u32_e64 s0, s16, v5
	v_cndmask_b32_e64 v1, v1, v6, s0
	v_xor_b32_e32 v1, s23, v1
	v_subrev_nc_u32_e32 v1, s23, v1
	v_add_nc_u32_e32 v5, s25, v1
	v_cmp_lt_i32_e64 s1, s13, v1
	v_sub_nc_u32_e32 v6, 0, v5
	v_max_i32_e32 v6, v5, v6
	v_ashrrev_i32_e32 v5, 31, v5
	v_mul_hi_u32 v7, v6, v26
	v_mul_lo_u32 v7, v7, s18
	v_sub_nc_u32_e32 v6, v6, v7
	v_subrev_nc_u32_e32 v7, s18, v6
	v_cmp_le_u32_e64 s0, s18, v6
	v_cndmask_b32_e64 v6, v6, v7, s0
	v_subrev_nc_u32_e32 v7, s18, v6
	v_cmp_le_u32_e64 s0, s18, v6
	v_cndmask_b32_e64 v6, v6, v7, s0
	v_xor_b32_e32 v6, v6, v5
	v_sub_nc_u32_e32 v5, v6, v5
	v_cmp_eq_u32_e64 s0, 0, v5
	s_or_b32 s0, s0, s1
	s_and_saveexec_b32 s26, s0
	s_cbranch_execz .LBB239_279
; %bb.281:                              ;   in Loop: Header=BB239_280 Depth=1
	global_load_dword v1, v[3:4], off
	ds_read2_b64 v[7:10], v20 offset1:1
	ds_read2_b64 v[33:36], v20 offset0:2 offset1:3
	v_mov_b32_e32 v37, 0
	v_mov_b32_e32 v38, 0
	s_waitcnt lgkmcnt(1)
	;;#ASMSTART
	v_cvt_f16_f32 v31, v7;

	;;#ASMEND
	;;#ASMSTART
	v_cvt_f16_f32 v28, v8;

	;;#ASMEND
	;; [unrolled: 4-line block ×4, first 2 shown]
	s_waitcnt lgkmcnt(0)
	;;#ASMSTART
	v_cvt_f16_f32 v33, v33;

	;;#ASMEND
	;;#ASMSTART
	v_cvt_f16_f32 v30, v34;

	;;#ASMEND
	;; [unrolled: 4-line block ×4, first 2 shown]
	global_load_dword v36, v37, s[14:15]
	s_waitcnt vmcnt(1)
	v_mad_i64_i32 v[5:6], null, v1, s17, s[2:3]
	v_add_co_u32 v7, s0, v5, v19
	v_add_co_ci_u32_e64 v8, null, 0, v6, s0
	global_load_dwordx2 v[9:10], v[7:8], off
	s_waitcnt vmcnt(0)
	v_cmp_ne_u16_sdwa s0, v9, v2 src0_sel:BYTE_0 src1_sel:DWORD
	s_and_saveexec_b32 s1, s0
	s_cbranch_execz .LBB239_289
; %bb.282:                              ;   in Loop: Header=BB239_280 Depth=1
	v_cmp_ne_u16_sdwa s0, v9, v21 src0_sel:BYTE_0 src1_sel:DWORD
	v_mov_b32_e32 v38, 0x8000
	s_and_saveexec_b32 s27, s0
	s_cbranch_execz .LBB239_288
; %bb.283:                              ;   in Loop: Header=BB239_280 Depth=1
	v_and_b32_e32 v39, 0x7f, v9
	v_mov_b32_e32 v38, 0x7c01
	s_mov_b32 s28, exec_lo
	v_cmpx_ne_u32_e32 0x7f, v39
	s_cbranch_execz .LBB239_287
; %bb.284:                              ;   in Loop: Header=BB239_280 Depth=1
	v_and_b32_e32 v1, 7, v9
	v_lshrrev_b32_e32 v38, 3, v39
	s_mov_b32 s29, exec_lo
	v_cmpx_gt_u32_e32 8, v39
; %bb.285:                              ;   in Loop: Header=BB239_280 Depth=1
	v_ffbh_u32_e32 v1, v1
	v_min_u32_e32 v1, 32, v1
	v_subrev_nc_u32_e32 v38, 28, v1
	v_lshlrev_b64 v[39:40], v38, v[9:10]
	v_sub_nc_u32_e32 v38, 29, v1
	v_and_b32_e32 v1, 7, v39
; %bb.286:                              ;   in Loop: Header=BB239_280 Depth=1
	s_or_b32 exec_lo, exec_lo, s29
	v_lshlrev_b32_e32 v39, 8, v9
	v_lshl_add_u32 v38, v38, 10, 0x2000
	v_lshlrev_b32_e32 v1, 7, v1
	v_and_b32_e32 v39, 0x8000, v39
	v_and_b32_e32 v38, 0xfc00, v38
	v_or3_b32 v38, v39, v38, v1
.LBB239_287:                            ;   in Loop: Header=BB239_280 Depth=1
	s_or_b32 exec_lo, exec_lo, s28
.LBB239_288:                            ;   in Loop: Header=BB239_280 Depth=1
	s_or_b32 exec_lo, exec_lo, s27
.LBB239_289:                            ;   in Loop: Header=BB239_280 Depth=1
	s_or_b32 exec_lo, exec_lo, s1
	v_lshrrev_b16 v1, 8, v9
	s_mov_b32 s1, exec_lo
	v_cmpx_ne_u16_e32 0, v1
	s_cbranch_execz .LBB239_297
; %bb.290:                              ;   in Loop: Header=BB239_280 Depth=1
	v_bfrev_b32_e32 v37, 1
	s_mov_b32 s27, exec_lo
	v_cmpx_ne_u16_e32 0x80, v1
	s_cbranch_execz .LBB239_296
; %bb.291:                              ;   in Loop: Header=BB239_280 Depth=1
	v_and_b32_sdwa v40, v1, v22 dst_sel:DWORD dst_unused:UNUSED_PAD src0_sel:WORD_0 src1_sel:DWORD
	v_mov_b32_e32 v37, 0x7c010000
	s_mov_b32 s28, exec_lo
	v_cmpx_ne_u32_e32 0x7f, v40
	s_cbranch_execz .LBB239_295
; %bb.292:                              ;   in Loop: Header=BB239_280 Depth=1
	v_and_b32_sdwa v37, v1, v23 dst_sel:DWORD dst_unused:UNUSED_PAD src0_sel:WORD_0 src1_sel:DWORD
	v_lshrrev_b32_e32 v39, 3, v40
	s_mov_b32 s29, exec_lo
	v_cmpx_gt_u32_e32 8, v40
; %bb.293:                              ;   in Loop: Header=BB239_280 Depth=1
	v_ffbh_u32_e32 v37, v37
	v_min_u32_e32 v37, 32, v37
	v_subrev_nc_u32_e32 v39, 28, v37
	v_lshlrev_b64 v[40:41], v39, v[1:2]
	v_sub_nc_u32_e32 v39, 29, v37
	v_and_b32_e32 v37, 7, v40
; %bb.294:                              ;   in Loop: Header=BB239_280 Depth=1
	s_or_b32 exec_lo, exec_lo, s29
	v_lshlrev_b32_sdwa v1, v24, v1 dst_sel:DWORD dst_unused:UNUSED_PAD src0_sel:DWORD src1_sel:WORD_0
	v_lshl_add_u32 v39, v39, 10, 0x2000
	v_lshlrev_b32_e32 v37, 23, v37
	v_and_or_b32 v1, 0x8000, v1, v39
	v_lshl_or_b32 v37, v1, 16, v37
.LBB239_295:                            ;   in Loop: Header=BB239_280 Depth=1
	s_or_b32 exec_lo, exec_lo, s28
.LBB239_296:                            ;   in Loop: Header=BB239_280 Depth=1
	s_or_b32 exec_lo, exec_lo, s27
.LBB239_297:                            ;   in Loop: Header=BB239_280 Depth=1
	s_or_b32 exec_lo, exec_lo, s1
	v_lshrrev_b32_e32 v1, 16, v9
	v_mov_b32_e32 v39, 0
	v_mov_b32_e32 v40, 0
	v_cmp_ne_u16_sdwa s0, v1, v2 src0_sel:BYTE_0 src1_sel:DWORD
	s_and_saveexec_b32 s1, s0
	s_cbranch_execz .LBB239_305
; %bb.298:                              ;   in Loop: Header=BB239_280 Depth=1
	v_cmp_ne_u16_sdwa s0, v1, v21 src0_sel:BYTE_0 src1_sel:DWORD
	v_mov_b32_e32 v40, 0x8000
	s_and_saveexec_b32 s27, s0
	s_cbranch_execz .LBB239_304
; %bb.299:                              ;   in Loop: Header=BB239_280 Depth=1
	v_bfe_u32 v42, v9, 16, 7
	v_mov_b32_e32 v40, 0x7c01
	s_mov_b32 s28, exec_lo
	v_cmpx_ne_u32_e32 0x7f, v42
	s_cbranch_execz .LBB239_303
; %bb.300:                              ;   in Loop: Header=BB239_280 Depth=1
	v_and_b32_e32 v40, 7, v1
	v_lshrrev_b32_e32 v41, 3, v42
	s_mov_b32 s29, exec_lo
	v_cmpx_gt_u32_e32 8, v42
; %bb.301:                              ;   in Loop: Header=BB239_280 Depth=1
	v_ffbh_u32_e32 v40, v40
	v_min_u32_e32 v42, 32, v40
	v_subrev_nc_u32_e32 v40, 28, v42
	v_lshlrev_b64 v[40:41], v40, v[1:2]
	v_sub_nc_u32_e32 v41, 29, v42
	v_and_b32_e32 v40, 7, v40
; %bb.302:                              ;   in Loop: Header=BB239_280 Depth=1
	s_or_b32 exec_lo, exec_lo, s29
	v_lshlrev_b32_e32 v1, 8, v1
	v_lshl_add_u32 v41, v41, 10, 0x2000
	v_lshlrev_b32_e32 v40, 7, v40
	v_and_b32_e32 v1, 0x8000, v1
	v_and_b32_e32 v41, 0xfc00, v41
	v_or3_b32 v40, v1, v41, v40
.LBB239_303:                            ;   in Loop: Header=BB239_280 Depth=1
	s_or_b32 exec_lo, exec_lo, s28
.LBB239_304:                            ;   in Loop: Header=BB239_280 Depth=1
	s_or_b32 exec_lo, exec_lo, s27
.LBB239_305:                            ;   in Loop: Header=BB239_280 Depth=1
	s_or_b32 exec_lo, exec_lo, s1
	s_mov_b32 s1, exec_lo
	v_cmpx_lt_u32_e32 0xffffff, v9
	s_cbranch_execz .LBB239_313
; %bb.306:                              ;   in Loop: Header=BB239_280 Depth=1
	v_lshrrev_b32_e32 v1, 24, v9
	v_bfrev_b32_e32 v39, 1
	s_mov_b32 s27, exec_lo
	v_cmpx_ne_u32_e32 0x80, v1
	s_cbranch_execz .LBB239_312
; %bb.307:                              ;   in Loop: Header=BB239_280 Depth=1
	v_and_b32_e32 v42, 0x7f, v1
	v_mov_b32_e32 v39, 0x7c010000
	s_mov_b32 s28, exec_lo
	v_cmpx_ne_u32_e32 0x7f, v42
	s_cbranch_execz .LBB239_311
; %bb.308:                              ;   in Loop: Header=BB239_280 Depth=1
	v_and_b32_e32 v39, 7, v1
	v_lshrrev_b32_e32 v41, 3, v42
	s_mov_b32 s29, exec_lo
	v_cmpx_gt_u32_e32 8, v42
; %bb.309:                              ;   in Loop: Header=BB239_280 Depth=1
	v_ffbh_u32_e32 v39, v39
	v_min_u32_e32 v39, 32, v39
	v_subrev_nc_u32_e32 v41, 28, v39
	v_lshlrev_b64 v[42:43], v41, v[1:2]
	v_sub_nc_u32_e32 v41, 29, v39
	v_and_b32_e32 v39, 7, v42
; %bb.310:                              ;   in Loop: Header=BB239_280 Depth=1
	s_or_b32 exec_lo, exec_lo, s29
	v_lshlrev_b32_e32 v1, 8, v1
	v_lshl_add_u32 v41, v41, 10, 0x2000
	v_lshlrev_b32_e32 v39, 23, v39
	v_and_or_b32 v1, 0x8000, v1, v41
	v_lshl_or_b32 v39, v1, 16, v39
.LBB239_311:                            ;   in Loop: Header=BB239_280 Depth=1
	s_or_b32 exec_lo, exec_lo, s28
.LBB239_312:                            ;   in Loop: Header=BB239_280 Depth=1
	s_or_b32 exec_lo, exec_lo, s27
.LBB239_313:                            ;   in Loop: Header=BB239_280 Depth=1
	s_or_b32 exec_lo, exec_lo, s1
	v_mov_b32_e32 v1, v10
	v_cmp_ne_u16_sdwa s0, v10, v2 src0_sel:BYTE_0 src1_sel:DWORD
	v_mov_b32_e32 v41, 0
	v_mov_b32_e32 v42, 0
	s_and_saveexec_b32 s1, s0
	s_cbranch_execz .LBB239_321
; %bb.314:                              ;   in Loop: Header=BB239_280 Depth=1
	v_cmp_ne_u16_sdwa s0, v10, v21 src0_sel:BYTE_0 src1_sel:DWORD
	v_mov_b32_e32 v42, 0x8000
	s_and_saveexec_b32 s27, s0
	s_cbranch_execz .LBB239_320
; %bb.315:                              ;   in Loop: Header=BB239_280 Depth=1
	v_and_b32_e32 v44, 0x7f, v10
	v_mov_b32_e32 v42, 0x7c01
	s_mov_b32 s28, exec_lo
	v_cmpx_ne_u32_e32 0x7f, v44
	s_cbranch_execz .LBB239_319
; %bb.316:                              ;   in Loop: Header=BB239_280 Depth=1
	v_and_b32_e32 v42, 7, v10
	v_lshrrev_b32_e32 v43, 3, v44
	s_mov_b32 s29, exec_lo
	v_cmpx_gt_u32_e32 8, v44
; %bb.317:                              ;   in Loop: Header=BB239_280 Depth=1
	v_ffbh_u32_e32 v42, v42
	v_min_u32_e32 v44, 32, v42
	v_subrev_nc_u32_e32 v42, 28, v44
	v_lshlrev_b64 v[42:43], v42, v[1:2]
	v_sub_nc_u32_e32 v43, 29, v44
	v_and_b32_e32 v42, 7, v42
; %bb.318:                              ;   in Loop: Header=BB239_280 Depth=1
	s_or_b32 exec_lo, exec_lo, s29
	v_lshlrev_b32_e32 v44, 8, v10
	v_lshl_add_u32 v43, v43, 10, 0x2000
	v_lshlrev_b32_e32 v42, 7, v42
	v_and_b32_e32 v44, 0x8000, v44
	v_and_b32_e32 v43, 0xfc00, v43
	v_or3_b32 v42, v44, v43, v42
.LBB239_319:                            ;   in Loop: Header=BB239_280 Depth=1
	s_or_b32 exec_lo, exec_lo, s28
.LBB239_320:                            ;   in Loop: Header=BB239_280 Depth=1
	s_or_b32 exec_lo, exec_lo, s27
.LBB239_321:                            ;   in Loop: Header=BB239_280 Depth=1
	s_or_b32 exec_lo, exec_lo, s1
	v_lshrrev_b16 v1, 8, v1
	v_mov_b32_e32 v43, 0
	s_mov_b32 s1, exec_lo
	v_cmpx_ne_u16_e32 0, v1
	s_cbranch_execz .LBB239_329
; %bb.322:                              ;   in Loop: Header=BB239_280 Depth=1
	v_bfrev_b32_e32 v43, 1
	s_mov_b32 s27, exec_lo
	v_cmpx_ne_u16_e32 0x80, v1
	s_cbranch_execz .LBB239_328
; %bb.323:                              ;   in Loop: Header=BB239_280 Depth=1
	v_and_b32_sdwa v45, v1, v22 dst_sel:DWORD dst_unused:UNUSED_PAD src0_sel:WORD_0 src1_sel:DWORD
	v_mov_b32_e32 v43, 0x7c010000
	s_mov_b32 s28, exec_lo
	v_cmpx_ne_u32_e32 0x7f, v45
	s_cbranch_execz .LBB239_327
; %bb.324:                              ;   in Loop: Header=BB239_280 Depth=1
	v_and_b32_sdwa v43, v1, v23 dst_sel:DWORD dst_unused:UNUSED_PAD src0_sel:WORD_0 src1_sel:DWORD
	v_lshrrev_b32_e32 v44, 3, v45
	s_mov_b32 s29, exec_lo
	v_cmpx_gt_u32_e32 8, v45
; %bb.325:                              ;   in Loop: Header=BB239_280 Depth=1
	v_ffbh_u32_e32 v43, v43
	v_min_u32_e32 v45, 32, v43
	v_subrev_nc_u32_e32 v43, 28, v45
	v_lshlrev_b64 v[43:44], v43, v[1:2]
	v_sub_nc_u32_e32 v44, 29, v45
	v_and_b32_e32 v43, 7, v43
; %bb.326:                              ;   in Loop: Header=BB239_280 Depth=1
	s_or_b32 exec_lo, exec_lo, s29
	v_lshlrev_b32_sdwa v1, v24, v1 dst_sel:DWORD dst_unused:UNUSED_PAD src0_sel:DWORD src1_sel:WORD_0
	v_lshl_add_u32 v44, v44, 10, 0x2000
	v_lshlrev_b32_e32 v43, 23, v43
	v_and_or_b32 v1, 0x8000, v1, v44
	v_lshl_or_b32 v43, v1, 16, v43
.LBB239_327:                            ;   in Loop: Header=BB239_280 Depth=1
	s_or_b32 exec_lo, exec_lo, s28
.LBB239_328:                            ;   in Loop: Header=BB239_280 Depth=1
	s_or_b32 exec_lo, exec_lo, s27
.LBB239_329:                            ;   in Loop: Header=BB239_280 Depth=1
	s_or_b32 exec_lo, exec_lo, s1
	v_lshrrev_b32_e32 v1, 16, v10
	v_cmp_ne_u16_sdwa s0, v1, v2 src0_sel:BYTE_0 src1_sel:DWORD
	s_and_saveexec_b32 s1, s0
	s_cbranch_execz .LBB239_337
; %bb.330:                              ;   in Loop: Header=BB239_280 Depth=1
	v_cmp_ne_u16_sdwa s0, v1, v21 src0_sel:BYTE_0 src1_sel:DWORD
	v_mov_b32_e32 v41, 0x8000
	s_and_saveexec_b32 s27, s0
	s_cbranch_execz .LBB239_336
; %bb.331:                              ;   in Loop: Header=BB239_280 Depth=1
	v_bfe_u32 v45, v10, 16, 7
	v_mov_b32_e32 v41, 0x7c01
	s_mov_b32 s28, exec_lo
	v_cmpx_ne_u32_e32 0x7f, v45
	s_cbranch_execz .LBB239_335
; %bb.332:                              ;   in Loop: Header=BB239_280 Depth=1
	v_and_b32_e32 v41, 7, v1
	v_lshrrev_b32_e32 v44, 3, v45
	s_mov_b32 s29, exec_lo
	v_cmpx_gt_u32_e32 8, v45
; %bb.333:                              ;   in Loop: Header=BB239_280 Depth=1
	v_ffbh_u32_e32 v41, v41
	v_min_u32_e32 v41, 32, v41
	v_subrev_nc_u32_e32 v44, 28, v41
	v_lshlrev_b64 v[45:46], v44, v[1:2]
	v_sub_nc_u32_e32 v44, 29, v41
	v_and_b32_e32 v41, 7, v45
; %bb.334:                              ;   in Loop: Header=BB239_280 Depth=1
	s_or_b32 exec_lo, exec_lo, s29
	v_lshlrev_b32_e32 v1, 8, v1
	v_lshl_add_u32 v44, v44, 10, 0x2000
	v_lshlrev_b32_e32 v41, 7, v41
	v_and_b32_e32 v1, 0x8000, v1
	v_and_b32_e32 v44, 0xfc00, v44
	v_or3_b32 v41, v1, v44, v41
.LBB239_335:                            ;   in Loop: Header=BB239_280 Depth=1
	s_or_b32 exec_lo, exec_lo, s28
.LBB239_336:                            ;   in Loop: Header=BB239_280 Depth=1
	s_or_b32 exec_lo, exec_lo, s27
.LBB239_337:                            ;   in Loop: Header=BB239_280 Depth=1
	s_or_b32 exec_lo, exec_lo, s1
	v_cmp_lt_u64_e64 s0, s[4:5], v[9:10]
	v_mov_b32_e32 v9, 0
	s_and_saveexec_b32 s1, s0
	s_cbranch_execz .LBB239_345
; %bb.338:                              ;   in Loop: Header=BB239_280 Depth=1
	v_lshrrev_b32_e32 v1, 24, v10
	v_bfrev_b32_e32 v9, 1
	s_mov_b32 s27, exec_lo
	v_cmpx_ne_u32_e32 0x80, v1
	s_cbranch_execz .LBB239_344
; %bb.339:                              ;   in Loop: Header=BB239_280 Depth=1
	v_and_b32_e32 v44, 0x7f, v1
	v_mov_b32_e32 v9, 0x7c010000
	s_mov_b32 s28, exec_lo
	v_cmpx_ne_u32_e32 0x7f, v44
	s_cbranch_execz .LBB239_343
; %bb.340:                              ;   in Loop: Header=BB239_280 Depth=1
	v_and_b32_e32 v9, 7, v1
	v_lshrrev_b32_e32 v10, 3, v44
	s_mov_b32 s29, exec_lo
	v_cmpx_gt_u32_e32 8, v44
; %bb.341:                              ;   in Loop: Header=BB239_280 Depth=1
	v_ffbh_u32_e32 v9, v9
	v_min_u32_e32 v44, 32, v9
	v_subrev_nc_u32_e32 v9, 28, v44
	v_lshlrev_b64 v[9:10], v9, v[1:2]
	v_sub_nc_u32_e32 v10, 29, v44
	v_and_b32_e32 v9, 7, v9
; %bb.342:                              ;   in Loop: Header=BB239_280 Depth=1
	s_or_b32 exec_lo, exec_lo, s29
	v_lshlrev_b32_e32 v1, 8, v1
	v_lshl_add_u32 v10, v10, 10, 0x2000
	v_lshlrev_b32_e32 v9, 23, v9
	v_and_or_b32 v1, 0x8000, v1, v10
	v_lshl_or_b32 v9, v1, 16, v9
.LBB239_343:                            ;   in Loop: Header=BB239_280 Depth=1
	s_or_b32 exec_lo, exec_lo, s28
.LBB239_344:                            ;   in Loop: Header=BB239_280 Depth=1
	s_or_b32 exec_lo, exec_lo, s27
.LBB239_345:                            ;   in Loop: Header=BB239_280 Depth=1
	s_or_b32 exec_lo, exec_lo, s1
	v_or_b32_e32 v1, v39, v40
	v_fma_mixlo_f16 v10, v36, v39, 0 op_sel:[0,1,0] op_sel_hi:[0,1,0]
	v_or_b32_e32 v38, v37, v38
	v_or_b32_e32 v40, v43, v42
	;; [unrolled: 1-line block ×3, first 2 shown]
	v_fma_mixlo_f16 v1, v36, v1, 0 op_sel_hi:[0,1,0]
	v_fma_mixlo_f16 v39, v36, v37, 0 op_sel:[0,1,0] op_sel_hi:[0,1,0]
	v_lshlrev_b32_e32 v37, 16, v10
	v_fma_mixlo_f16 v10, v36, v38, 0 op_sel_hi:[0,1,0]
	v_fma_mixlo_f16 v40, v36, v40, 0 op_sel_hi:[0,1,0]
	v_and_b32_e32 v38, 0xffff, v1
	v_fma_mixlo_f16 v1, v36, v43, 0 op_sel:[0,1,0] op_sel_hi:[0,1,0]
	v_fma_mixlo_f16 v42, v36, v9, 0 op_sel:[0,1,0] op_sel_hi:[0,1,0]
	v_fma_mixlo_f16 v41, v36, v41, 0 op_sel_hi:[0,1,0]
	v_lshlrev_b32_e32 v39, 16, v39
	v_and_b32_e32 v44, 0xffff, v10
	v_lshlrev_b32_e32 v9, 16, v1
	v_and_b32_e32 v36, 0xffff, v40
	;; [unrolled: 2-line block ×3, first 2 shown]
	v_cmp_eq_u32_e64 s0, s21, v27
	v_or_b32_e32 v40, v37, v38
	v_or_b32_e32 v41, v39, v44
	;; [unrolled: 1-line block ×4, first 2 shown]
	s_and_saveexec_b32 s27, s0
	s_cbranch_execz .LBB239_347
; %bb.346:                              ;   in Loop: Header=BB239_280 Depth=1
	v_add_nc_u32_e32 v40, 1, v12
	v_cmp_gt_i32_e64 s1, s33, v12
	v_add_nc_u32_e32 v41, 2, v12
	v_add_nc_u32_e32 v43, 3, v12
	v_cndmask_b32_e64 v42, 0, v44, s1
	v_cmp_gt_i32_e64 s1, s33, v40
	v_add_nc_u32_e32 v40, 4, v12
	v_cndmask_b32_e64 v39, 0, v39, s1
	v_cmp_gt_i32_e64 s1, s33, v41
	;; [unrolled: 3-line block ×5, first 2 shown]
	v_or_b32_e32 v41, v39, v42
	v_cndmask_b32_e64 v9, 0, v9, s1
	v_cmp_gt_i32_e64 s1, s33, v43
	v_or_b32_e32 v42, v9, v36
	v_cndmask_b32_e64 v10, 0, v10, s1
	v_cmp_gt_i32_e64 s1, s33, v40
	v_or_b32_e32 v40, v37, v38
	v_cndmask_b32_e64 v1, 0, v1, s1
	v_or_b32_e32 v43, v1, v10
.LBB239_347:                            ;   in Loop: Header=BB239_280 Depth=1
	s_or_b32 exec_lo, exec_lo, s27
	v_and_b32_e32 v1, 0xffff, v31
	v_and_b32_e32 v9, 0xffff, v32
	;; [unrolled: 1-line block ×4, first 2 shown]
	v_mov_b32_e32 v36, 0
	v_lshl_or_b32 v33, v28, 16, v1
	;;#ASMSTART
	v_pk_mul_f16 v1, v33, v41;

	;;#ASMEND
	v_lshl_or_b32 v32, v29, 16, v9
	v_lshl_or_b32 v31, v30, 16, v10
	;; [unrolled: 1-line block ×3, first 2 shown]
	;;#ASMSTART
	v_pk_mul_f16 v9, v32, v40;

	;;#ASMEND
	;;#ASMSTART
	v_pk_mul_f16 v10, v31, v42;

	;;#ASMEND
	;; [unrolled: 4-line block ×3, first 2 shown]
	;;#ASMSTART
	v_pk_add_f16 v1, v1, v9;

	;;#ASMEND
	;;#ASMSTART
	v_pk_add_f16 v1, v1, v10;

	;;#ASMEND
	;; [unrolled: 4-line block ×3, first 2 shown]
	v_and_b32_e32 v9, 0xffff, v1
	v_lshrrev_b32_e32 v1, 16, v1
	;;#ASMSTART
	v_cvt_f32_f16 v28, v9;
	;;#ASMEND
	;;#ASMSTART
	v_cvt_f32_f16 v29, v1;
	;;#ASMEND
	global_load_dwordx2 v[9:10], v[7:8], off offset:256
	v_mov_b32_e32 v35, 0
	global_load_dword v34, v35, s[14:15]
	s_waitcnt vmcnt(1)
	v_cmp_ne_u16_sdwa s1, v9, v2 src0_sel:BYTE_0 src1_sel:DWORD
	s_and_saveexec_b32 s27, s1
	s_cbranch_execz .LBB239_355
; %bb.348:                              ;   in Loop: Header=BB239_280 Depth=1
	v_cmp_ne_u16_sdwa s1, v9, v21 src0_sel:BYTE_0 src1_sel:DWORD
	v_mov_b32_e32 v36, 0x8000
	s_and_saveexec_b32 s28, s1
	s_cbranch_execz .LBB239_354
; %bb.349:                              ;   in Loop: Header=BB239_280 Depth=1
	v_and_b32_e32 v37, 0x7f, v9
	v_mov_b32_e32 v36, 0x7c01
	s_mov_b32 s29, exec_lo
	v_cmpx_ne_u32_e32 0x7f, v37
	s_cbranch_execz .LBB239_353
; %bb.350:                              ;   in Loop: Header=BB239_280 Depth=1
	v_and_b32_e32 v1, 7, v9
	v_lshrrev_b32_e32 v36, 3, v37
	s_mov_b32 s30, exec_lo
	v_cmpx_gt_u32_e32 8, v37
; %bb.351:                              ;   in Loop: Header=BB239_280 Depth=1
	v_ffbh_u32_e32 v1, v1
	v_min_u32_e32 v1, 32, v1
	v_subrev_nc_u32_e32 v36, 28, v1
	v_lshlrev_b64 v[37:38], v36, v[9:10]
	v_sub_nc_u32_e32 v36, 29, v1
	v_and_b32_e32 v1, 7, v37
; %bb.352:                              ;   in Loop: Header=BB239_280 Depth=1
	s_or_b32 exec_lo, exec_lo, s30
	v_lshlrev_b32_e32 v37, 8, v9
	v_lshl_add_u32 v36, v36, 10, 0x2000
	v_lshlrev_b32_e32 v1, 7, v1
	v_and_b32_e32 v37, 0x8000, v37
	v_and_b32_e32 v36, 0xfc00, v36
	v_or3_b32 v36, v37, v36, v1
.LBB239_353:                            ;   in Loop: Header=BB239_280 Depth=1
	s_or_b32 exec_lo, exec_lo, s29
.LBB239_354:                            ;   in Loop: Header=BB239_280 Depth=1
	s_or_b32 exec_lo, exec_lo, s28
.LBB239_355:                            ;   in Loop: Header=BB239_280 Depth=1
	s_or_b32 exec_lo, exec_lo, s27
	v_lshrrev_b16 v1, 8, v9
	s_mov_b32 s27, exec_lo
	v_cmpx_ne_u16_e32 0, v1
	s_cbranch_execz .LBB239_363
; %bb.356:                              ;   in Loop: Header=BB239_280 Depth=1
	v_bfrev_b32_e32 v35, 1
	s_mov_b32 s28, exec_lo
	v_cmpx_ne_u16_e32 0x80, v1
	s_cbranch_execz .LBB239_362
; %bb.357:                              ;   in Loop: Header=BB239_280 Depth=1
	v_and_b32_sdwa v38, v1, v22 dst_sel:DWORD dst_unused:UNUSED_PAD src0_sel:WORD_0 src1_sel:DWORD
	v_mov_b32_e32 v35, 0x7c010000
	s_mov_b32 s29, exec_lo
	v_cmpx_ne_u32_e32 0x7f, v38
	s_cbranch_execz .LBB239_361
; %bb.358:                              ;   in Loop: Header=BB239_280 Depth=1
	v_and_b32_sdwa v35, v1, v23 dst_sel:DWORD dst_unused:UNUSED_PAD src0_sel:WORD_0 src1_sel:DWORD
	v_lshrrev_b32_e32 v37, 3, v38
	s_mov_b32 s30, exec_lo
	v_cmpx_gt_u32_e32 8, v38
; %bb.359:                              ;   in Loop: Header=BB239_280 Depth=1
	v_ffbh_u32_e32 v35, v35
	v_min_u32_e32 v35, 32, v35
	v_subrev_nc_u32_e32 v37, 28, v35
	v_lshlrev_b64 v[38:39], v37, v[1:2]
	v_sub_nc_u32_e32 v37, 29, v35
	v_and_b32_e32 v35, 7, v38
; %bb.360:                              ;   in Loop: Header=BB239_280 Depth=1
	s_or_b32 exec_lo, exec_lo, s30
	v_lshlrev_b32_sdwa v1, v24, v1 dst_sel:DWORD dst_unused:UNUSED_PAD src0_sel:DWORD src1_sel:WORD_0
	v_lshl_add_u32 v37, v37, 10, 0x2000
	v_lshlrev_b32_e32 v35, 23, v35
	v_and_or_b32 v1, 0x8000, v1, v37
	v_lshl_or_b32 v35, v1, 16, v35
.LBB239_361:                            ;   in Loop: Header=BB239_280 Depth=1
	s_or_b32 exec_lo, exec_lo, s29
.LBB239_362:                            ;   in Loop: Header=BB239_280 Depth=1
	s_or_b32 exec_lo, exec_lo, s28
.LBB239_363:                            ;   in Loop: Header=BB239_280 Depth=1
	s_or_b32 exec_lo, exec_lo, s27
	v_lshrrev_b32_e32 v1, 16, v9
	v_mov_b32_e32 v37, 0
	v_mov_b32_e32 v38, 0
	v_cmp_ne_u16_sdwa s1, v1, v2 src0_sel:BYTE_0 src1_sel:DWORD
	s_and_saveexec_b32 s27, s1
	s_cbranch_execz .LBB239_371
; %bb.364:                              ;   in Loop: Header=BB239_280 Depth=1
	v_cmp_ne_u16_sdwa s1, v1, v21 src0_sel:BYTE_0 src1_sel:DWORD
	v_mov_b32_e32 v38, 0x8000
	s_and_saveexec_b32 s28, s1
	s_cbranch_execz .LBB239_370
; %bb.365:                              ;   in Loop: Header=BB239_280 Depth=1
	v_bfe_u32 v40, v9, 16, 7
	v_mov_b32_e32 v38, 0x7c01
	s_mov_b32 s29, exec_lo
	v_cmpx_ne_u32_e32 0x7f, v40
	s_cbranch_execz .LBB239_369
; %bb.366:                              ;   in Loop: Header=BB239_280 Depth=1
	v_and_b32_e32 v38, 7, v1
	v_lshrrev_b32_e32 v39, 3, v40
	s_mov_b32 s30, exec_lo
	v_cmpx_gt_u32_e32 8, v40
; %bb.367:                              ;   in Loop: Header=BB239_280 Depth=1
	v_ffbh_u32_e32 v38, v38
	v_min_u32_e32 v40, 32, v38
	v_subrev_nc_u32_e32 v38, 28, v40
	v_lshlrev_b64 v[38:39], v38, v[1:2]
	v_sub_nc_u32_e32 v39, 29, v40
	v_and_b32_e32 v38, 7, v38
; %bb.368:                              ;   in Loop: Header=BB239_280 Depth=1
	s_or_b32 exec_lo, exec_lo, s30
	v_lshlrev_b32_e32 v1, 8, v1
	v_lshl_add_u32 v39, v39, 10, 0x2000
	v_lshlrev_b32_e32 v38, 7, v38
	v_and_b32_e32 v1, 0x8000, v1
	v_and_b32_e32 v39, 0xfc00, v39
	v_or3_b32 v38, v1, v39, v38
.LBB239_369:                            ;   in Loop: Header=BB239_280 Depth=1
	s_or_b32 exec_lo, exec_lo, s29
.LBB239_370:                            ;   in Loop: Header=BB239_280 Depth=1
	s_or_b32 exec_lo, exec_lo, s28
.LBB239_371:                            ;   in Loop: Header=BB239_280 Depth=1
	s_or_b32 exec_lo, exec_lo, s27
	s_mov_b32 s27, exec_lo
	v_cmpx_lt_u32_e32 0xffffff, v9
	s_cbranch_execz .LBB239_379
; %bb.372:                              ;   in Loop: Header=BB239_280 Depth=1
	v_lshrrev_b32_e32 v1, 24, v9
	v_bfrev_b32_e32 v37, 1
	s_mov_b32 s28, exec_lo
	v_cmpx_ne_u32_e32 0x80, v1
	s_cbranch_execz .LBB239_378
; %bb.373:                              ;   in Loop: Header=BB239_280 Depth=1
	v_and_b32_e32 v40, 0x7f, v1
	v_mov_b32_e32 v37, 0x7c010000
	s_mov_b32 s29, exec_lo
	v_cmpx_ne_u32_e32 0x7f, v40
	s_cbranch_execz .LBB239_377
; %bb.374:                              ;   in Loop: Header=BB239_280 Depth=1
	v_and_b32_e32 v37, 7, v1
	v_lshrrev_b32_e32 v39, 3, v40
	s_mov_b32 s30, exec_lo
	v_cmpx_gt_u32_e32 8, v40
; %bb.375:                              ;   in Loop: Header=BB239_280 Depth=1
	v_ffbh_u32_e32 v37, v37
	v_min_u32_e32 v37, 32, v37
	v_subrev_nc_u32_e32 v39, 28, v37
	v_lshlrev_b64 v[40:41], v39, v[1:2]
	v_sub_nc_u32_e32 v39, 29, v37
	v_and_b32_e32 v37, 7, v40
; %bb.376:                              ;   in Loop: Header=BB239_280 Depth=1
	s_or_b32 exec_lo, exec_lo, s30
	v_lshlrev_b32_e32 v1, 8, v1
	v_lshl_add_u32 v39, v39, 10, 0x2000
	v_lshlrev_b32_e32 v37, 23, v37
	v_and_or_b32 v1, 0x8000, v1, v39
	v_lshl_or_b32 v37, v1, 16, v37
.LBB239_377:                            ;   in Loop: Header=BB239_280 Depth=1
	s_or_b32 exec_lo, exec_lo, s29
.LBB239_378:                            ;   in Loop: Header=BB239_280 Depth=1
	s_or_b32 exec_lo, exec_lo, s28
.LBB239_379:                            ;   in Loop: Header=BB239_280 Depth=1
	s_or_b32 exec_lo, exec_lo, s27
	v_mov_b32_e32 v1, v10
	v_cmp_ne_u16_sdwa s1, v10, v2 src0_sel:BYTE_0 src1_sel:DWORD
	v_mov_b32_e32 v39, 0
	v_mov_b32_e32 v40, 0
	s_and_saveexec_b32 s27, s1
	s_cbranch_execz .LBB239_387
; %bb.380:                              ;   in Loop: Header=BB239_280 Depth=1
	v_cmp_ne_u16_sdwa s1, v10, v21 src0_sel:BYTE_0 src1_sel:DWORD
	v_mov_b32_e32 v40, 0x8000
	s_and_saveexec_b32 s28, s1
	s_cbranch_execz .LBB239_386
; %bb.381:                              ;   in Loop: Header=BB239_280 Depth=1
	v_and_b32_e32 v42, 0x7f, v10
	v_mov_b32_e32 v40, 0x7c01
	s_mov_b32 s29, exec_lo
	v_cmpx_ne_u32_e32 0x7f, v42
	s_cbranch_execz .LBB239_385
; %bb.382:                              ;   in Loop: Header=BB239_280 Depth=1
	v_and_b32_e32 v40, 7, v10
	v_lshrrev_b32_e32 v41, 3, v42
	s_mov_b32 s30, exec_lo
	v_cmpx_gt_u32_e32 8, v42
; %bb.383:                              ;   in Loop: Header=BB239_280 Depth=1
	v_ffbh_u32_e32 v40, v40
	v_min_u32_e32 v42, 32, v40
	v_subrev_nc_u32_e32 v40, 28, v42
	v_lshlrev_b64 v[40:41], v40, v[1:2]
	v_sub_nc_u32_e32 v41, 29, v42
	v_and_b32_e32 v40, 7, v40
; %bb.384:                              ;   in Loop: Header=BB239_280 Depth=1
	s_or_b32 exec_lo, exec_lo, s30
	v_lshlrev_b32_e32 v42, 8, v10
	v_lshl_add_u32 v41, v41, 10, 0x2000
	v_lshlrev_b32_e32 v40, 7, v40
	v_and_b32_e32 v42, 0x8000, v42
	v_and_b32_e32 v41, 0xfc00, v41
	v_or3_b32 v40, v42, v41, v40
.LBB239_385:                            ;   in Loop: Header=BB239_280 Depth=1
	s_or_b32 exec_lo, exec_lo, s29
.LBB239_386:                            ;   in Loop: Header=BB239_280 Depth=1
	s_or_b32 exec_lo, exec_lo, s28
.LBB239_387:                            ;   in Loop: Header=BB239_280 Depth=1
	s_or_b32 exec_lo, exec_lo, s27
	v_lshrrev_b16 v1, 8, v1
	v_mov_b32_e32 v41, 0
	s_mov_b32 s27, exec_lo
	v_cmpx_ne_u16_e32 0, v1
	s_cbranch_execz .LBB239_395
; %bb.388:                              ;   in Loop: Header=BB239_280 Depth=1
	v_bfrev_b32_e32 v41, 1
	s_mov_b32 s28, exec_lo
	v_cmpx_ne_u16_e32 0x80, v1
	s_cbranch_execz .LBB239_394
; %bb.389:                              ;   in Loop: Header=BB239_280 Depth=1
	v_and_b32_sdwa v43, v1, v22 dst_sel:DWORD dst_unused:UNUSED_PAD src0_sel:WORD_0 src1_sel:DWORD
	v_mov_b32_e32 v41, 0x7c010000
	s_mov_b32 s29, exec_lo
	v_cmpx_ne_u32_e32 0x7f, v43
	s_cbranch_execz .LBB239_393
; %bb.390:                              ;   in Loop: Header=BB239_280 Depth=1
	v_and_b32_sdwa v41, v1, v23 dst_sel:DWORD dst_unused:UNUSED_PAD src0_sel:WORD_0 src1_sel:DWORD
	v_lshrrev_b32_e32 v42, 3, v43
	s_mov_b32 s30, exec_lo
	v_cmpx_gt_u32_e32 8, v43
; %bb.391:                              ;   in Loop: Header=BB239_280 Depth=1
	v_ffbh_u32_e32 v41, v41
	v_min_u32_e32 v43, 32, v41
	v_subrev_nc_u32_e32 v41, 28, v43
	v_lshlrev_b64 v[41:42], v41, v[1:2]
	v_sub_nc_u32_e32 v42, 29, v43
	v_and_b32_e32 v41, 7, v41
; %bb.392:                              ;   in Loop: Header=BB239_280 Depth=1
	s_or_b32 exec_lo, exec_lo, s30
	v_lshlrev_b32_sdwa v1, v24, v1 dst_sel:DWORD dst_unused:UNUSED_PAD src0_sel:DWORD src1_sel:WORD_0
	v_lshl_add_u32 v42, v42, 10, 0x2000
	v_lshlrev_b32_e32 v41, 23, v41
	v_and_or_b32 v1, 0x8000, v1, v42
	v_lshl_or_b32 v41, v1, 16, v41
.LBB239_393:                            ;   in Loop: Header=BB239_280 Depth=1
	s_or_b32 exec_lo, exec_lo, s29
.LBB239_394:                            ;   in Loop: Header=BB239_280 Depth=1
	s_or_b32 exec_lo, exec_lo, s28
.LBB239_395:                            ;   in Loop: Header=BB239_280 Depth=1
	s_or_b32 exec_lo, exec_lo, s27
	v_lshrrev_b32_e32 v1, 16, v10
	v_cmp_ne_u16_sdwa s1, v1, v2 src0_sel:BYTE_0 src1_sel:DWORD
	s_and_saveexec_b32 s27, s1
	s_cbranch_execz .LBB239_403
; %bb.396:                              ;   in Loop: Header=BB239_280 Depth=1
	v_cmp_ne_u16_sdwa s1, v1, v21 src0_sel:BYTE_0 src1_sel:DWORD
	v_mov_b32_e32 v39, 0x8000
	s_and_saveexec_b32 s28, s1
	s_cbranch_execz .LBB239_402
; %bb.397:                              ;   in Loop: Header=BB239_280 Depth=1
	v_bfe_u32 v43, v10, 16, 7
	v_mov_b32_e32 v39, 0x7c01
	s_mov_b32 s29, exec_lo
	v_cmpx_ne_u32_e32 0x7f, v43
	s_cbranch_execz .LBB239_401
; %bb.398:                              ;   in Loop: Header=BB239_280 Depth=1
	v_and_b32_e32 v39, 7, v1
	v_lshrrev_b32_e32 v42, 3, v43
	s_mov_b32 s30, exec_lo
	v_cmpx_gt_u32_e32 8, v43
; %bb.399:                              ;   in Loop: Header=BB239_280 Depth=1
	v_ffbh_u32_e32 v39, v39
	v_min_u32_e32 v39, 32, v39
	v_subrev_nc_u32_e32 v42, 28, v39
	v_lshlrev_b64 v[43:44], v42, v[1:2]
	v_sub_nc_u32_e32 v42, 29, v39
	v_and_b32_e32 v39, 7, v43
; %bb.400:                              ;   in Loop: Header=BB239_280 Depth=1
	s_or_b32 exec_lo, exec_lo, s30
	v_lshlrev_b32_e32 v1, 8, v1
	v_lshl_add_u32 v42, v42, 10, 0x2000
	v_lshlrev_b32_e32 v39, 7, v39
	v_and_b32_e32 v1, 0x8000, v1
	v_and_b32_e32 v42, 0xfc00, v42
	v_or3_b32 v39, v1, v42, v39
.LBB239_401:                            ;   in Loop: Header=BB239_280 Depth=1
	s_or_b32 exec_lo, exec_lo, s29
.LBB239_402:                            ;   in Loop: Header=BB239_280 Depth=1
	s_or_b32 exec_lo, exec_lo, s28
.LBB239_403:                            ;   in Loop: Header=BB239_280 Depth=1
	s_or_b32 exec_lo, exec_lo, s27
	v_cmp_lt_u64_e64 s1, s[4:5], v[9:10]
	v_mov_b32_e32 v9, 0
	s_and_saveexec_b32 s27, s1
	s_cbranch_execz .LBB239_411
; %bb.404:                              ;   in Loop: Header=BB239_280 Depth=1
	v_lshrrev_b32_e32 v1, 24, v10
	v_bfrev_b32_e32 v9, 1
	s_mov_b32 s28, exec_lo
	v_cmpx_ne_u32_e32 0x80, v1
	s_cbranch_execz .LBB239_410
; %bb.405:                              ;   in Loop: Header=BB239_280 Depth=1
	v_and_b32_e32 v42, 0x7f, v1
	v_mov_b32_e32 v9, 0x7c010000
	s_mov_b32 s29, exec_lo
	v_cmpx_ne_u32_e32 0x7f, v42
	s_cbranch_execz .LBB239_409
; %bb.406:                              ;   in Loop: Header=BB239_280 Depth=1
	v_and_b32_e32 v9, 7, v1
	v_lshrrev_b32_e32 v10, 3, v42
	s_mov_b32 s30, exec_lo
	v_cmpx_gt_u32_e32 8, v42
; %bb.407:                              ;   in Loop: Header=BB239_280 Depth=1
	v_ffbh_u32_e32 v9, v9
	v_min_u32_e32 v42, 32, v9
	v_subrev_nc_u32_e32 v9, 28, v42
	v_lshlrev_b64 v[9:10], v9, v[1:2]
	v_sub_nc_u32_e32 v10, 29, v42
	v_and_b32_e32 v9, 7, v9
; %bb.408:                              ;   in Loop: Header=BB239_280 Depth=1
	s_or_b32 exec_lo, exec_lo, s30
	v_lshlrev_b32_e32 v1, 8, v1
	v_lshl_add_u32 v10, v10, 10, 0x2000
	v_lshlrev_b32_e32 v9, 23, v9
	v_and_or_b32 v1, 0x8000, v1, v10
	v_lshl_or_b32 v9, v1, 16, v9
.LBB239_409:                            ;   in Loop: Header=BB239_280 Depth=1
	s_or_b32 exec_lo, exec_lo, s29
.LBB239_410:                            ;   in Loop: Header=BB239_280 Depth=1
	s_or_b32 exec_lo, exec_lo, s28
.LBB239_411:                            ;   in Loop: Header=BB239_280 Depth=1
	s_or_b32 exec_lo, exec_lo, s27
	v_or_b32_e32 v1, v37, v38
	s_waitcnt vmcnt(0)
	v_fma_mixlo_f16 v10, v34, v37, 0 op_sel:[0,1,0] op_sel_hi:[0,1,0]
	v_or_b32_e32 v36, v35, v36
	v_or_b32_e32 v38, v41, v40
	v_or_b32_e32 v39, v9, v39
	v_fma_mixlo_f16 v1, v34, v1, 0 op_sel_hi:[0,1,0]
	v_fma_mixlo_f16 v37, v34, v35, 0 op_sel:[0,1,0] op_sel_hi:[0,1,0]
	v_lshlrev_b32_e32 v35, 16, v10
	v_fma_mixlo_f16 v10, v34, v36, 0 op_sel_hi:[0,1,0]
	v_fma_mixlo_f16 v38, v34, v38, 0 op_sel_hi:[0,1,0]
	v_and_b32_e32 v36, 0xffff, v1
	v_fma_mixlo_f16 v1, v34, v41, 0 op_sel:[0,1,0] op_sel_hi:[0,1,0]
	v_fma_mixlo_f16 v40, v34, v9, 0 op_sel:[0,1,0] op_sel_hi:[0,1,0]
	v_fma_mixlo_f16 v39, v34, v39, 0 op_sel_hi:[0,1,0]
	v_lshlrev_b32_e32 v37, 16, v37
	v_and_b32_e32 v41, 0xffff, v10
	v_lshlrev_b32_e32 v9, 16, v1
	v_and_b32_e32 v34, 0xffff, v38
	;; [unrolled: 2-line block ×3, first 2 shown]
	v_or_b32_e32 v38, v35, v36
	v_or_b32_e32 v42, v37, v41
	;; [unrolled: 1-line block ×4, first 2 shown]
	s_and_saveexec_b32 s27, s0
	s_cbranch_execz .LBB239_413
; %bb.412:                              ;   in Loop: Header=BB239_280 Depth=1
	v_add_nc_u32_e32 v38, 1, v12
	v_cmp_gt_i32_e64 s1, s33, v12
	v_add_nc_u32_e32 v39, 2, v12
	v_cndmask_b32_e64 v40, 0, v41, s1
	v_cmp_gt_i32_e64 s1, s33, v38
	v_add_nc_u32_e32 v41, 3, v12
	v_add_nc_u32_e32 v38, 4, v12
	v_cndmask_b32_e64 v37, 0, v37, s1
	v_cmp_gt_i32_e64 s1, s33, v39
	v_add_nc_u32_e32 v39, 5, v12
	v_or_b32_e32 v42, v37, v40
	v_cndmask_b32_e64 v36, 0, v36, s1
	v_cmp_gt_i32_e64 s1, s33, v41
	v_add_nc_u32_e32 v41, 6, v12
	v_cndmask_b32_e64 v35, 0, v35, s1
	v_cmp_gt_i32_e64 s1, s33, v38
	v_add_nc_u32_e32 v38, 7, v12
	v_cndmask_b32_e64 v34, 0, v34, s1
	v_cmp_gt_i32_e64 s1, s33, v39
	v_cndmask_b32_e64 v9, 0, v9, s1
	v_cmp_gt_i32_e64 s1, s33, v41
	v_or_b32_e32 v40, v9, v34
	v_cndmask_b32_e64 v10, 0, v10, s1
	v_cmp_gt_i32_e64 s1, s33, v38
	v_or_b32_e32 v38, v35, v36
	v_cndmask_b32_e64 v1, 0, v1, s1
	v_or_b32_e32 v39, v1, v10
.LBB239_413:                            ;   in Loop: Header=BB239_280 Depth=1
	s_or_b32 exec_lo, exec_lo, s27
	;;#ASMSTART
	v_pk_mul_f16 v1, v33, v42;

	;;#ASMEND
	;;#ASMSTART
	v_pk_mul_f16 v9, v32, v38;

	;;#ASMEND
	;;#ASMSTART
	v_pk_mul_f16 v10, v31, v40;

	;;#ASMEND
	;;#ASMSTART
	v_pk_mul_f16 v34, v30, v39;

	;;#ASMEND
	;;#ASMSTART
	v_pk_add_f16 v1, v1, v9;

	;;#ASMEND
	;;#ASMSTART
	v_pk_add_f16 v1, v1, v10;

	;;#ASMEND
	;; [unrolled: 4-line block ×3, first 2 shown]
	v_and_b32_e32 v9, 0xffff, v1
	v_lshrrev_b32_e32 v1, 16, v1
	;;#ASMSTART
	v_cvt_f32_f16 v9, v9;
	;;#ASMEND
	;;#ASMSTART
	v_cvt_f32_f16 v10, v1;
	;;#ASMEND
	global_load_dwordx2 v[7:8], v[7:8], off offset:512
	v_mov_b32_e32 v35, 0
	v_mov_b32_e32 v36, 0
	global_load_dword v34, v35, s[14:15]
	s_waitcnt vmcnt(1)
	v_cmp_ne_u16_sdwa s1, v7, v2 src0_sel:BYTE_0 src1_sel:DWORD
	s_and_saveexec_b32 s27, s1
	s_cbranch_execz .LBB239_421
; %bb.414:                              ;   in Loop: Header=BB239_280 Depth=1
	v_cmp_ne_u16_sdwa s1, v7, v21 src0_sel:BYTE_0 src1_sel:DWORD
	v_mov_b32_e32 v36, 0x8000
	s_and_saveexec_b32 s28, s1
	s_cbranch_execz .LBB239_420
; %bb.415:                              ;   in Loop: Header=BB239_280 Depth=1
	v_and_b32_e32 v37, 0x7f, v7
	v_mov_b32_e32 v36, 0x7c01
	s_mov_b32 s29, exec_lo
	v_cmpx_ne_u32_e32 0x7f, v37
	s_cbranch_execz .LBB239_419
; %bb.416:                              ;   in Loop: Header=BB239_280 Depth=1
	v_and_b32_e32 v1, 7, v7
	v_lshrrev_b32_e32 v36, 3, v37
	s_mov_b32 s30, exec_lo
	v_cmpx_gt_u32_e32 8, v37
; %bb.417:                              ;   in Loop: Header=BB239_280 Depth=1
	v_ffbh_u32_e32 v1, v1
	v_min_u32_e32 v1, 32, v1
	v_subrev_nc_u32_e32 v36, 28, v1
	v_lshlrev_b64 v[37:38], v36, v[7:8]
	v_sub_nc_u32_e32 v36, 29, v1
	v_and_b32_e32 v1, 7, v37
; %bb.418:                              ;   in Loop: Header=BB239_280 Depth=1
	s_or_b32 exec_lo, exec_lo, s30
	v_lshlrev_b32_e32 v37, 8, v7
	v_lshl_add_u32 v36, v36, 10, 0x2000
	v_lshlrev_b32_e32 v1, 7, v1
	v_and_b32_e32 v37, 0x8000, v37
	v_and_b32_e32 v36, 0xfc00, v36
	v_or3_b32 v36, v37, v36, v1
.LBB239_419:                            ;   in Loop: Header=BB239_280 Depth=1
	s_or_b32 exec_lo, exec_lo, s29
.LBB239_420:                            ;   in Loop: Header=BB239_280 Depth=1
	s_or_b32 exec_lo, exec_lo, s28
.LBB239_421:                            ;   in Loop: Header=BB239_280 Depth=1
	s_or_b32 exec_lo, exec_lo, s27
	v_lshrrev_b16 v1, 8, v7
	s_mov_b32 s27, exec_lo
	v_cmpx_ne_u16_e32 0, v1
	s_cbranch_execz .LBB239_429
; %bb.422:                              ;   in Loop: Header=BB239_280 Depth=1
	v_bfrev_b32_e32 v35, 1
	s_mov_b32 s28, exec_lo
	v_cmpx_ne_u16_e32 0x80, v1
	s_cbranch_execz .LBB239_428
; %bb.423:                              ;   in Loop: Header=BB239_280 Depth=1
	v_and_b32_sdwa v38, v1, v22 dst_sel:DWORD dst_unused:UNUSED_PAD src0_sel:WORD_0 src1_sel:DWORD
	v_mov_b32_e32 v35, 0x7c010000
	s_mov_b32 s29, exec_lo
	v_cmpx_ne_u32_e32 0x7f, v38
	s_cbranch_execz .LBB239_427
; %bb.424:                              ;   in Loop: Header=BB239_280 Depth=1
	v_and_b32_sdwa v35, v1, v23 dst_sel:DWORD dst_unused:UNUSED_PAD src0_sel:WORD_0 src1_sel:DWORD
	v_lshrrev_b32_e32 v37, 3, v38
	s_mov_b32 s30, exec_lo
	v_cmpx_gt_u32_e32 8, v38
; %bb.425:                              ;   in Loop: Header=BB239_280 Depth=1
	v_ffbh_u32_e32 v35, v35
	v_min_u32_e32 v35, 32, v35
	v_subrev_nc_u32_e32 v37, 28, v35
	v_lshlrev_b64 v[38:39], v37, v[1:2]
	v_sub_nc_u32_e32 v37, 29, v35
	v_and_b32_e32 v35, 7, v38
; %bb.426:                              ;   in Loop: Header=BB239_280 Depth=1
	s_or_b32 exec_lo, exec_lo, s30
	v_lshlrev_b32_sdwa v1, v24, v1 dst_sel:DWORD dst_unused:UNUSED_PAD src0_sel:DWORD src1_sel:WORD_0
	v_lshl_add_u32 v37, v37, 10, 0x2000
	v_lshlrev_b32_e32 v35, 23, v35
	v_and_or_b32 v1, 0x8000, v1, v37
	v_lshl_or_b32 v35, v1, 16, v35
.LBB239_427:                            ;   in Loop: Header=BB239_280 Depth=1
	s_or_b32 exec_lo, exec_lo, s29
.LBB239_428:                            ;   in Loop: Header=BB239_280 Depth=1
	s_or_b32 exec_lo, exec_lo, s28
.LBB239_429:                            ;   in Loop: Header=BB239_280 Depth=1
	s_or_b32 exec_lo, exec_lo, s27
	v_lshrrev_b32_e32 v1, 16, v7
	v_mov_b32_e32 v37, 0
	v_mov_b32_e32 v38, 0
	v_cmp_ne_u16_sdwa s1, v1, v2 src0_sel:BYTE_0 src1_sel:DWORD
	s_and_saveexec_b32 s27, s1
	s_cbranch_execz .LBB239_437
; %bb.430:                              ;   in Loop: Header=BB239_280 Depth=1
	v_cmp_ne_u16_sdwa s1, v1, v21 src0_sel:BYTE_0 src1_sel:DWORD
	v_mov_b32_e32 v38, 0x8000
	s_and_saveexec_b32 s28, s1
	s_cbranch_execz .LBB239_436
; %bb.431:                              ;   in Loop: Header=BB239_280 Depth=1
	v_bfe_u32 v40, v7, 16, 7
	v_mov_b32_e32 v38, 0x7c01
	s_mov_b32 s29, exec_lo
	v_cmpx_ne_u32_e32 0x7f, v40
	s_cbranch_execz .LBB239_435
; %bb.432:                              ;   in Loop: Header=BB239_280 Depth=1
	v_and_b32_e32 v38, 7, v1
	v_lshrrev_b32_e32 v39, 3, v40
	s_mov_b32 s30, exec_lo
	v_cmpx_gt_u32_e32 8, v40
; %bb.433:                              ;   in Loop: Header=BB239_280 Depth=1
	v_ffbh_u32_e32 v38, v38
	v_min_u32_e32 v40, 32, v38
	v_subrev_nc_u32_e32 v38, 28, v40
	v_lshlrev_b64 v[38:39], v38, v[1:2]
	v_sub_nc_u32_e32 v39, 29, v40
	v_and_b32_e32 v38, 7, v38
; %bb.434:                              ;   in Loop: Header=BB239_280 Depth=1
	s_or_b32 exec_lo, exec_lo, s30
	v_lshlrev_b32_e32 v1, 8, v1
	v_lshl_add_u32 v39, v39, 10, 0x2000
	v_lshlrev_b32_e32 v38, 7, v38
	v_and_b32_e32 v1, 0x8000, v1
	v_and_b32_e32 v39, 0xfc00, v39
	v_or3_b32 v38, v1, v39, v38
.LBB239_435:                            ;   in Loop: Header=BB239_280 Depth=1
	s_or_b32 exec_lo, exec_lo, s29
.LBB239_436:                            ;   in Loop: Header=BB239_280 Depth=1
	s_or_b32 exec_lo, exec_lo, s28
.LBB239_437:                            ;   in Loop: Header=BB239_280 Depth=1
	s_or_b32 exec_lo, exec_lo, s27
	s_mov_b32 s27, exec_lo
	v_cmpx_lt_u32_e32 0xffffff, v7
	s_cbranch_execz .LBB239_445
; %bb.438:                              ;   in Loop: Header=BB239_280 Depth=1
	v_lshrrev_b32_e32 v1, 24, v7
	v_bfrev_b32_e32 v37, 1
	s_mov_b32 s28, exec_lo
	v_cmpx_ne_u32_e32 0x80, v1
	s_cbranch_execz .LBB239_444
; %bb.439:                              ;   in Loop: Header=BB239_280 Depth=1
	v_and_b32_e32 v40, 0x7f, v1
	v_mov_b32_e32 v37, 0x7c010000
	s_mov_b32 s29, exec_lo
	v_cmpx_ne_u32_e32 0x7f, v40
	s_cbranch_execz .LBB239_443
; %bb.440:                              ;   in Loop: Header=BB239_280 Depth=1
	v_and_b32_e32 v37, 7, v1
	v_lshrrev_b32_e32 v39, 3, v40
	s_mov_b32 s30, exec_lo
	v_cmpx_gt_u32_e32 8, v40
; %bb.441:                              ;   in Loop: Header=BB239_280 Depth=1
	v_ffbh_u32_e32 v37, v37
	v_min_u32_e32 v37, 32, v37
	v_subrev_nc_u32_e32 v39, 28, v37
	v_lshlrev_b64 v[40:41], v39, v[1:2]
	v_sub_nc_u32_e32 v39, 29, v37
	v_and_b32_e32 v37, 7, v40
; %bb.442:                              ;   in Loop: Header=BB239_280 Depth=1
	s_or_b32 exec_lo, exec_lo, s30
	v_lshlrev_b32_e32 v1, 8, v1
	v_lshl_add_u32 v39, v39, 10, 0x2000
	v_lshlrev_b32_e32 v37, 23, v37
	v_and_or_b32 v1, 0x8000, v1, v39
	v_lshl_or_b32 v37, v1, 16, v37
.LBB239_443:                            ;   in Loop: Header=BB239_280 Depth=1
	s_or_b32 exec_lo, exec_lo, s29
.LBB239_444:                            ;   in Loop: Header=BB239_280 Depth=1
	s_or_b32 exec_lo, exec_lo, s28
.LBB239_445:                            ;   in Loop: Header=BB239_280 Depth=1
	s_or_b32 exec_lo, exec_lo, s27
	v_mov_b32_e32 v1, v8
	v_cmp_ne_u16_sdwa s1, v8, v2 src0_sel:BYTE_0 src1_sel:DWORD
	v_mov_b32_e32 v39, 0
	v_mov_b32_e32 v40, 0
	s_and_saveexec_b32 s27, s1
	s_cbranch_execz .LBB239_453
; %bb.446:                              ;   in Loop: Header=BB239_280 Depth=1
	v_cmp_ne_u16_sdwa s1, v8, v21 src0_sel:BYTE_0 src1_sel:DWORD
	v_mov_b32_e32 v40, 0x8000
	s_and_saveexec_b32 s28, s1
	s_cbranch_execz .LBB239_452
; %bb.447:                              ;   in Loop: Header=BB239_280 Depth=1
	v_and_b32_e32 v42, 0x7f, v8
	v_mov_b32_e32 v40, 0x7c01
	s_mov_b32 s29, exec_lo
	v_cmpx_ne_u32_e32 0x7f, v42
	s_cbranch_execz .LBB239_451
; %bb.448:                              ;   in Loop: Header=BB239_280 Depth=1
	v_and_b32_e32 v40, 7, v8
	v_lshrrev_b32_e32 v41, 3, v42
	s_mov_b32 s30, exec_lo
	v_cmpx_gt_u32_e32 8, v42
; %bb.449:                              ;   in Loop: Header=BB239_280 Depth=1
	v_ffbh_u32_e32 v40, v40
	v_min_u32_e32 v42, 32, v40
	v_subrev_nc_u32_e32 v40, 28, v42
	v_lshlrev_b64 v[40:41], v40, v[1:2]
	v_sub_nc_u32_e32 v41, 29, v42
	v_and_b32_e32 v40, 7, v40
; %bb.450:                              ;   in Loop: Header=BB239_280 Depth=1
	s_or_b32 exec_lo, exec_lo, s30
	v_lshlrev_b32_e32 v42, 8, v8
	v_lshl_add_u32 v41, v41, 10, 0x2000
	v_lshlrev_b32_e32 v40, 7, v40
	v_and_b32_e32 v42, 0x8000, v42
	v_and_b32_e32 v41, 0xfc00, v41
	v_or3_b32 v40, v42, v41, v40
.LBB239_451:                            ;   in Loop: Header=BB239_280 Depth=1
	s_or_b32 exec_lo, exec_lo, s29
.LBB239_452:                            ;   in Loop: Header=BB239_280 Depth=1
	s_or_b32 exec_lo, exec_lo, s28
.LBB239_453:                            ;   in Loop: Header=BB239_280 Depth=1
	s_or_b32 exec_lo, exec_lo, s27
	v_lshrrev_b16 v1, 8, v1
	v_mov_b32_e32 v41, 0
	s_mov_b32 s27, exec_lo
	v_cmpx_ne_u16_e32 0, v1
	s_cbranch_execz .LBB239_461
; %bb.454:                              ;   in Loop: Header=BB239_280 Depth=1
	v_bfrev_b32_e32 v41, 1
	s_mov_b32 s28, exec_lo
	v_cmpx_ne_u16_e32 0x80, v1
	s_cbranch_execz .LBB239_460
; %bb.455:                              ;   in Loop: Header=BB239_280 Depth=1
	v_and_b32_sdwa v43, v1, v22 dst_sel:DWORD dst_unused:UNUSED_PAD src0_sel:WORD_0 src1_sel:DWORD
	v_mov_b32_e32 v41, 0x7c010000
	s_mov_b32 s29, exec_lo
	v_cmpx_ne_u32_e32 0x7f, v43
	s_cbranch_execz .LBB239_459
; %bb.456:                              ;   in Loop: Header=BB239_280 Depth=1
	v_and_b32_sdwa v41, v1, v23 dst_sel:DWORD dst_unused:UNUSED_PAD src0_sel:WORD_0 src1_sel:DWORD
	v_lshrrev_b32_e32 v42, 3, v43
	s_mov_b32 s30, exec_lo
	v_cmpx_gt_u32_e32 8, v43
; %bb.457:                              ;   in Loop: Header=BB239_280 Depth=1
	v_ffbh_u32_e32 v41, v41
	v_min_u32_e32 v43, 32, v41
	v_subrev_nc_u32_e32 v41, 28, v43
	v_lshlrev_b64 v[41:42], v41, v[1:2]
	v_sub_nc_u32_e32 v42, 29, v43
	v_and_b32_e32 v41, 7, v41
; %bb.458:                              ;   in Loop: Header=BB239_280 Depth=1
	s_or_b32 exec_lo, exec_lo, s30
	v_lshlrev_b32_sdwa v1, v24, v1 dst_sel:DWORD dst_unused:UNUSED_PAD src0_sel:DWORD src1_sel:WORD_0
	v_lshl_add_u32 v42, v42, 10, 0x2000
	v_lshlrev_b32_e32 v41, 23, v41
	v_and_or_b32 v1, 0x8000, v1, v42
	v_lshl_or_b32 v41, v1, 16, v41
.LBB239_459:                            ;   in Loop: Header=BB239_280 Depth=1
	s_or_b32 exec_lo, exec_lo, s29
.LBB239_460:                            ;   in Loop: Header=BB239_280 Depth=1
	s_or_b32 exec_lo, exec_lo, s28
.LBB239_461:                            ;   in Loop: Header=BB239_280 Depth=1
	s_or_b32 exec_lo, exec_lo, s27
	v_lshrrev_b32_e32 v1, 16, v8
	v_cmp_ne_u16_sdwa s1, v1, v2 src0_sel:BYTE_0 src1_sel:DWORD
	s_and_saveexec_b32 s27, s1
	s_cbranch_execz .LBB239_469
; %bb.462:                              ;   in Loop: Header=BB239_280 Depth=1
	v_cmp_ne_u16_sdwa s1, v1, v21 src0_sel:BYTE_0 src1_sel:DWORD
	v_mov_b32_e32 v39, 0x8000
	s_and_saveexec_b32 s28, s1
	s_cbranch_execz .LBB239_468
; %bb.463:                              ;   in Loop: Header=BB239_280 Depth=1
	v_bfe_u32 v43, v8, 16, 7
	v_mov_b32_e32 v39, 0x7c01
	s_mov_b32 s29, exec_lo
	v_cmpx_ne_u32_e32 0x7f, v43
	s_cbranch_execz .LBB239_467
; %bb.464:                              ;   in Loop: Header=BB239_280 Depth=1
	v_and_b32_e32 v39, 7, v1
	v_lshrrev_b32_e32 v42, 3, v43
	s_mov_b32 s30, exec_lo
	v_cmpx_gt_u32_e32 8, v43
; %bb.465:                              ;   in Loop: Header=BB239_280 Depth=1
	v_ffbh_u32_e32 v39, v39
	v_min_u32_e32 v39, 32, v39
	v_subrev_nc_u32_e32 v42, 28, v39
	v_lshlrev_b64 v[43:44], v42, v[1:2]
	v_sub_nc_u32_e32 v42, 29, v39
	v_and_b32_e32 v39, 7, v43
; %bb.466:                              ;   in Loop: Header=BB239_280 Depth=1
	s_or_b32 exec_lo, exec_lo, s30
	v_lshlrev_b32_e32 v1, 8, v1
	v_lshl_add_u32 v42, v42, 10, 0x2000
	v_lshlrev_b32_e32 v39, 7, v39
	v_and_b32_e32 v1, 0x8000, v1
	v_and_b32_e32 v42, 0xfc00, v42
	v_or3_b32 v39, v1, v42, v39
.LBB239_467:                            ;   in Loop: Header=BB239_280 Depth=1
	s_or_b32 exec_lo, exec_lo, s29
.LBB239_468:                            ;   in Loop: Header=BB239_280 Depth=1
	s_or_b32 exec_lo, exec_lo, s28
.LBB239_469:                            ;   in Loop: Header=BB239_280 Depth=1
	s_or_b32 exec_lo, exec_lo, s27
	v_cmp_lt_u64_e64 s1, s[4:5], v[7:8]
	v_mov_b32_e32 v7, 0
	s_and_saveexec_b32 s27, s1
	s_cbranch_execz .LBB239_477
; %bb.470:                              ;   in Loop: Header=BB239_280 Depth=1
	v_lshrrev_b32_e32 v1, 24, v8
	v_bfrev_b32_e32 v7, 1
	s_mov_b32 s28, exec_lo
	v_cmpx_ne_u32_e32 0x80, v1
	s_cbranch_execz .LBB239_476
; %bb.471:                              ;   in Loop: Header=BB239_280 Depth=1
	v_and_b32_e32 v42, 0x7f, v1
	v_mov_b32_e32 v7, 0x7c010000
	s_mov_b32 s29, exec_lo
	v_cmpx_ne_u32_e32 0x7f, v42
	s_cbranch_execz .LBB239_475
; %bb.472:                              ;   in Loop: Header=BB239_280 Depth=1
	v_and_b32_e32 v7, 7, v1
	v_lshrrev_b32_e32 v8, 3, v42
	s_mov_b32 s30, exec_lo
	v_cmpx_gt_u32_e32 8, v42
; %bb.473:                              ;   in Loop: Header=BB239_280 Depth=1
	v_ffbh_u32_e32 v7, v7
	v_min_u32_e32 v42, 32, v7
	v_subrev_nc_u32_e32 v7, 28, v42
	v_lshlrev_b64 v[7:8], v7, v[1:2]
	v_sub_nc_u32_e32 v8, 29, v42
	v_and_b32_e32 v7, 7, v7
; %bb.474:                              ;   in Loop: Header=BB239_280 Depth=1
	s_or_b32 exec_lo, exec_lo, s30
	v_lshlrev_b32_e32 v1, 8, v1
	v_lshl_add_u32 v8, v8, 10, 0x2000
	v_lshlrev_b32_e32 v7, 23, v7
	v_and_or_b32 v1, 0x8000, v1, v8
	v_lshl_or_b32 v7, v1, 16, v7
.LBB239_475:                            ;   in Loop: Header=BB239_280 Depth=1
	s_or_b32 exec_lo, exec_lo, s29
.LBB239_476:                            ;   in Loop: Header=BB239_280 Depth=1
	s_or_b32 exec_lo, exec_lo, s28
.LBB239_477:                            ;   in Loop: Header=BB239_280 Depth=1
	s_or_b32 exec_lo, exec_lo, s27
	v_or_b32_e32 v1, v37, v38
	s_waitcnt vmcnt(0)
	v_fma_mixlo_f16 v8, v34, v37, 0 op_sel:[0,1,0] op_sel_hi:[0,1,0]
	v_or_b32_e32 v36, v35, v36
	v_or_b32_e32 v38, v41, v40
	;; [unrolled: 1-line block ×3, first 2 shown]
	v_fma_mixlo_f16 v1, v34, v1, 0 op_sel_hi:[0,1,0]
	v_fma_mixlo_f16 v37, v34, v35, 0 op_sel:[0,1,0] op_sel_hi:[0,1,0]
	v_lshlrev_b32_e32 v35, 16, v8
	v_fma_mixlo_f16 v8, v34, v36, 0 op_sel_hi:[0,1,0]
	v_fma_mixlo_f16 v38, v34, v38, 0 op_sel_hi:[0,1,0]
	v_and_b32_e32 v36, 0xffff, v1
	v_fma_mixlo_f16 v1, v34, v41, 0 op_sel:[0,1,0] op_sel_hi:[0,1,0]
	v_fma_mixlo_f16 v40, v34, v7, 0 op_sel:[0,1,0] op_sel_hi:[0,1,0]
	v_fma_mixlo_f16 v39, v34, v39, 0 op_sel_hi:[0,1,0]
	v_lshlrev_b32_e32 v37, 16, v37
	v_and_b32_e32 v41, 0xffff, v8
	v_lshlrev_b32_e32 v7, 16, v1
	v_and_b32_e32 v34, 0xffff, v38
	;; [unrolled: 2-line block ×3, first 2 shown]
	v_or_b32_e32 v38, v35, v36
	v_or_b32_e32 v42, v37, v41
	;; [unrolled: 1-line block ×4, first 2 shown]
	s_and_saveexec_b32 s27, s0
	s_cbranch_execz .LBB239_479
; %bb.478:                              ;   in Loop: Header=BB239_280 Depth=1
	v_add_nc_u32_e32 v38, 1, v12
	v_cmp_gt_i32_e64 s1, s33, v12
	v_add_nc_u32_e32 v39, 2, v12
	v_cndmask_b32_e64 v40, 0, v41, s1
	v_cmp_gt_i32_e64 s1, s33, v38
	v_add_nc_u32_e32 v41, 3, v12
	v_add_nc_u32_e32 v38, 4, v12
	v_cndmask_b32_e64 v37, 0, v37, s1
	v_cmp_gt_i32_e64 s1, s33, v39
	v_add_nc_u32_e32 v39, 5, v12
	v_or_b32_e32 v42, v37, v40
	v_cndmask_b32_e64 v36, 0, v36, s1
	v_cmp_gt_i32_e64 s1, s33, v41
	v_add_nc_u32_e32 v41, 6, v12
	v_cndmask_b32_e64 v35, 0, v35, s1
	v_cmp_gt_i32_e64 s1, s33, v38
	v_add_nc_u32_e32 v38, 7, v12
	v_cndmask_b32_e64 v34, 0, v34, s1
	v_cmp_gt_i32_e64 s1, s33, v39
	v_cndmask_b32_e64 v7, 0, v7, s1
	v_cmp_gt_i32_e64 s1, s33, v41
	v_or_b32_e32 v40, v7, v34
	v_cndmask_b32_e64 v8, 0, v8, s1
	v_cmp_gt_i32_e64 s1, s33, v38
	v_or_b32_e32 v38, v35, v36
	v_cndmask_b32_e64 v1, 0, v1, s1
	v_or_b32_e32 v39, v1, v8
.LBB239_479:                            ;   in Loop: Header=BB239_280 Depth=1
	s_or_b32 exec_lo, exec_lo, s27
	;;#ASMSTART
	v_pk_mul_f16 v1, v33, v42;

	;;#ASMEND
	;;#ASMSTART
	v_pk_mul_f16 v7, v32, v38;

	;;#ASMEND
	;; [unrolled: 4-line block ×4, first 2 shown]
	;;#ASMSTART
	v_pk_add_f16 v1, v1, v7;

	;;#ASMEND
	;;#ASMSTART
	v_pk_add_f16 v1, v1, v8;

	;;#ASMEND
	;; [unrolled: 4-line block ×3, first 2 shown]
	v_and_b32_e32 v7, 0xffff, v1
	v_lshrrev_b32_e32 v1, 16, v1
	;;#ASMSTART
	v_cvt_f32_f16 v7, v7;
	;;#ASMEND
	;;#ASMSTART
	v_cvt_f32_f16 v8, v1;
	;;#ASMEND
	s_and_saveexec_b32 s27, vcc_lo
	s_cbranch_execz .LBB239_278
; %bb.480:                              ;   in Loop: Header=BB239_280 Depth=1
	v_add_co_u32 v5, s1, v5, v25
	v_add_co_ci_u32_e64 v6, null, 0, v6, s1
	v_mov_b32_e32 v35, 0
	v_mov_b32_e32 v36, 0
	global_load_dwordx2 v[5:6], v[5:6], off
	global_load_dword v34, v35, s[14:15]
	s_waitcnt vmcnt(1)
	v_cmp_ne_u16_sdwa s1, v5, v2 src0_sel:BYTE_0 src1_sel:DWORD
	s_and_saveexec_b32 s28, s1
	s_cbranch_execz .LBB239_488
; %bb.481:                              ;   in Loop: Header=BB239_280 Depth=1
	v_cmp_ne_u16_sdwa s1, v5, v21 src0_sel:BYTE_0 src1_sel:DWORD
	v_mov_b32_e32 v36, 0x8000
	s_and_saveexec_b32 s29, s1
	s_cbranch_execz .LBB239_487
; %bb.482:                              ;   in Loop: Header=BB239_280 Depth=1
	v_and_b32_e32 v37, 0x7f, v5
	v_mov_b32_e32 v36, 0x7c01
	s_mov_b32 s30, exec_lo
	v_cmpx_ne_u32_e32 0x7f, v37
	s_cbranch_execz .LBB239_486
; %bb.483:                              ;   in Loop: Header=BB239_280 Depth=1
	v_and_b32_e32 v1, 7, v5
	v_lshrrev_b32_e32 v36, 3, v37
	s_mov_b32 s31, exec_lo
	v_cmpx_gt_u32_e32 8, v37
; %bb.484:                              ;   in Loop: Header=BB239_280 Depth=1
	v_ffbh_u32_e32 v1, v1
	v_min_u32_e32 v1, 32, v1
	v_subrev_nc_u32_e32 v36, 28, v1
	v_lshlrev_b64 v[37:38], v36, v[5:6]
	v_sub_nc_u32_e32 v36, 29, v1
	v_and_b32_e32 v1, 7, v37
; %bb.485:                              ;   in Loop: Header=BB239_280 Depth=1
	s_or_b32 exec_lo, exec_lo, s31
	v_lshlrev_b32_e32 v37, 8, v5
	v_lshl_add_u32 v36, v36, 10, 0x2000
	v_lshlrev_b32_e32 v1, 7, v1
	v_and_b32_e32 v37, 0x8000, v37
	v_and_b32_e32 v36, 0xfc00, v36
	v_or3_b32 v36, v37, v36, v1
.LBB239_486:                            ;   in Loop: Header=BB239_280 Depth=1
	s_or_b32 exec_lo, exec_lo, s30
.LBB239_487:                            ;   in Loop: Header=BB239_280 Depth=1
	s_or_b32 exec_lo, exec_lo, s29
.LBB239_488:                            ;   in Loop: Header=BB239_280 Depth=1
	s_or_b32 exec_lo, exec_lo, s28
	v_lshrrev_b16 v1, 8, v5
	s_mov_b32 s28, exec_lo
	v_cmpx_ne_u16_e32 0, v1
	s_cbranch_execz .LBB239_496
; %bb.489:                              ;   in Loop: Header=BB239_280 Depth=1
	v_bfrev_b32_e32 v35, 1
	s_mov_b32 s29, exec_lo
	v_cmpx_ne_u16_e32 0x80, v1
	s_cbranch_execz .LBB239_495
; %bb.490:                              ;   in Loop: Header=BB239_280 Depth=1
	v_and_b32_sdwa v38, v1, v22 dst_sel:DWORD dst_unused:UNUSED_PAD src0_sel:WORD_0 src1_sel:DWORD
	v_mov_b32_e32 v35, 0x7c010000
	s_mov_b32 s30, exec_lo
	v_cmpx_ne_u32_e32 0x7f, v38
	s_cbranch_execz .LBB239_494
; %bb.491:                              ;   in Loop: Header=BB239_280 Depth=1
	v_and_b32_sdwa v35, v1, v23 dst_sel:DWORD dst_unused:UNUSED_PAD src0_sel:WORD_0 src1_sel:DWORD
	v_lshrrev_b32_e32 v37, 3, v38
	s_mov_b32 s31, exec_lo
	v_cmpx_gt_u32_e32 8, v38
; %bb.492:                              ;   in Loop: Header=BB239_280 Depth=1
	v_ffbh_u32_e32 v35, v35
	v_min_u32_e32 v35, 32, v35
	v_subrev_nc_u32_e32 v37, 28, v35
	v_lshlrev_b64 v[38:39], v37, v[1:2]
	v_sub_nc_u32_e32 v37, 29, v35
	v_and_b32_e32 v35, 7, v38
; %bb.493:                              ;   in Loop: Header=BB239_280 Depth=1
	s_or_b32 exec_lo, exec_lo, s31
	v_lshlrev_b32_sdwa v1, v24, v1 dst_sel:DWORD dst_unused:UNUSED_PAD src0_sel:DWORD src1_sel:WORD_0
	v_lshl_add_u32 v37, v37, 10, 0x2000
	v_lshlrev_b32_e32 v35, 23, v35
	v_and_or_b32 v1, 0x8000, v1, v37
	v_lshl_or_b32 v35, v1, 16, v35
.LBB239_494:                            ;   in Loop: Header=BB239_280 Depth=1
	s_or_b32 exec_lo, exec_lo, s30
.LBB239_495:                            ;   in Loop: Header=BB239_280 Depth=1
	s_or_b32 exec_lo, exec_lo, s29
.LBB239_496:                            ;   in Loop: Header=BB239_280 Depth=1
	s_or_b32 exec_lo, exec_lo, s28
	v_lshrrev_b32_e32 v1, 16, v5
	v_mov_b32_e32 v37, 0
	v_mov_b32_e32 v38, 0
	v_cmp_ne_u16_sdwa s1, v1, v2 src0_sel:BYTE_0 src1_sel:DWORD
	s_and_saveexec_b32 s28, s1
	s_cbranch_execz .LBB239_504
; %bb.497:                              ;   in Loop: Header=BB239_280 Depth=1
	v_cmp_ne_u16_sdwa s1, v1, v21 src0_sel:BYTE_0 src1_sel:DWORD
	v_mov_b32_e32 v38, 0x8000
	s_and_saveexec_b32 s29, s1
	s_cbranch_execz .LBB239_503
; %bb.498:                              ;   in Loop: Header=BB239_280 Depth=1
	v_bfe_u32 v40, v5, 16, 7
	v_mov_b32_e32 v38, 0x7c01
	s_mov_b32 s30, exec_lo
	v_cmpx_ne_u32_e32 0x7f, v40
	s_cbranch_execz .LBB239_502
; %bb.499:                              ;   in Loop: Header=BB239_280 Depth=1
	v_and_b32_e32 v38, 7, v1
	v_lshrrev_b32_e32 v39, 3, v40
	s_mov_b32 s31, exec_lo
	v_cmpx_gt_u32_e32 8, v40
; %bb.500:                              ;   in Loop: Header=BB239_280 Depth=1
	v_ffbh_u32_e32 v38, v38
	v_min_u32_e32 v40, 32, v38
	v_subrev_nc_u32_e32 v38, 28, v40
	v_lshlrev_b64 v[38:39], v38, v[1:2]
	v_sub_nc_u32_e32 v39, 29, v40
	v_and_b32_e32 v38, 7, v38
; %bb.501:                              ;   in Loop: Header=BB239_280 Depth=1
	s_or_b32 exec_lo, exec_lo, s31
	v_lshlrev_b32_e32 v1, 8, v1
	v_lshl_add_u32 v39, v39, 10, 0x2000
	v_lshlrev_b32_e32 v38, 7, v38
	v_and_b32_e32 v1, 0x8000, v1
	v_and_b32_e32 v39, 0xfc00, v39
	v_or3_b32 v38, v1, v39, v38
.LBB239_502:                            ;   in Loop: Header=BB239_280 Depth=1
	s_or_b32 exec_lo, exec_lo, s30
.LBB239_503:                            ;   in Loop: Header=BB239_280 Depth=1
	s_or_b32 exec_lo, exec_lo, s29
.LBB239_504:                            ;   in Loop: Header=BB239_280 Depth=1
	s_or_b32 exec_lo, exec_lo, s28
	s_mov_b32 s28, exec_lo
	v_cmpx_lt_u32_e32 0xffffff, v5
	s_cbranch_execz .LBB239_512
; %bb.505:                              ;   in Loop: Header=BB239_280 Depth=1
	v_lshrrev_b32_e32 v1, 24, v5
	v_bfrev_b32_e32 v37, 1
	s_mov_b32 s29, exec_lo
	v_cmpx_ne_u32_e32 0x80, v1
	s_cbranch_execz .LBB239_511
; %bb.506:                              ;   in Loop: Header=BB239_280 Depth=1
	v_and_b32_e32 v40, 0x7f, v1
	v_mov_b32_e32 v37, 0x7c010000
	s_mov_b32 s30, exec_lo
	v_cmpx_ne_u32_e32 0x7f, v40
	s_cbranch_execz .LBB239_510
; %bb.507:                              ;   in Loop: Header=BB239_280 Depth=1
	v_and_b32_e32 v37, 7, v1
	v_lshrrev_b32_e32 v39, 3, v40
	s_mov_b32 s31, exec_lo
	v_cmpx_gt_u32_e32 8, v40
; %bb.508:                              ;   in Loop: Header=BB239_280 Depth=1
	v_ffbh_u32_e32 v37, v37
	v_min_u32_e32 v37, 32, v37
	v_subrev_nc_u32_e32 v39, 28, v37
	v_lshlrev_b64 v[40:41], v39, v[1:2]
	v_sub_nc_u32_e32 v39, 29, v37
	v_and_b32_e32 v37, 7, v40
; %bb.509:                              ;   in Loop: Header=BB239_280 Depth=1
	s_or_b32 exec_lo, exec_lo, s31
	v_lshlrev_b32_e32 v1, 8, v1
	v_lshl_add_u32 v39, v39, 10, 0x2000
	v_lshlrev_b32_e32 v37, 23, v37
	v_and_or_b32 v1, 0x8000, v1, v39
	v_lshl_or_b32 v37, v1, 16, v37
.LBB239_510:                            ;   in Loop: Header=BB239_280 Depth=1
	s_or_b32 exec_lo, exec_lo, s30
.LBB239_511:                            ;   in Loop: Header=BB239_280 Depth=1
	s_or_b32 exec_lo, exec_lo, s29
.LBB239_512:                            ;   in Loop: Header=BB239_280 Depth=1
	s_or_b32 exec_lo, exec_lo, s28
	v_mov_b32_e32 v1, v6
	v_cmp_ne_u16_sdwa s1, v6, v2 src0_sel:BYTE_0 src1_sel:DWORD
	v_mov_b32_e32 v39, 0
	v_mov_b32_e32 v40, 0
	s_and_saveexec_b32 s28, s1
	s_cbranch_execz .LBB239_520
; %bb.513:                              ;   in Loop: Header=BB239_280 Depth=1
	v_cmp_ne_u16_sdwa s1, v6, v21 src0_sel:BYTE_0 src1_sel:DWORD
	v_mov_b32_e32 v40, 0x8000
	s_and_saveexec_b32 s29, s1
	s_cbranch_execz .LBB239_519
; %bb.514:                              ;   in Loop: Header=BB239_280 Depth=1
	v_and_b32_e32 v42, 0x7f, v6
	v_mov_b32_e32 v40, 0x7c01
	s_mov_b32 s30, exec_lo
	v_cmpx_ne_u32_e32 0x7f, v42
	s_cbranch_execz .LBB239_518
; %bb.515:                              ;   in Loop: Header=BB239_280 Depth=1
	v_and_b32_e32 v40, 7, v6
	v_lshrrev_b32_e32 v41, 3, v42
	s_mov_b32 s31, exec_lo
	v_cmpx_gt_u32_e32 8, v42
; %bb.516:                              ;   in Loop: Header=BB239_280 Depth=1
	v_ffbh_u32_e32 v40, v40
	v_min_u32_e32 v42, 32, v40
	v_subrev_nc_u32_e32 v40, 28, v42
	v_lshlrev_b64 v[40:41], v40, v[1:2]
	v_sub_nc_u32_e32 v41, 29, v42
	v_and_b32_e32 v40, 7, v40
; %bb.517:                              ;   in Loop: Header=BB239_280 Depth=1
	s_or_b32 exec_lo, exec_lo, s31
	v_lshlrev_b32_e32 v42, 8, v6
	v_lshl_add_u32 v41, v41, 10, 0x2000
	v_lshlrev_b32_e32 v40, 7, v40
	v_and_b32_e32 v42, 0x8000, v42
	v_and_b32_e32 v41, 0xfc00, v41
	v_or3_b32 v40, v42, v41, v40
.LBB239_518:                            ;   in Loop: Header=BB239_280 Depth=1
	s_or_b32 exec_lo, exec_lo, s30
.LBB239_519:                            ;   in Loop: Header=BB239_280 Depth=1
	s_or_b32 exec_lo, exec_lo, s29
.LBB239_520:                            ;   in Loop: Header=BB239_280 Depth=1
	s_or_b32 exec_lo, exec_lo, s28
	v_lshrrev_b16 v1, 8, v1
	v_mov_b32_e32 v41, 0
	s_mov_b32 s28, exec_lo
	v_cmpx_ne_u16_e32 0, v1
	s_cbranch_execz .LBB239_528
; %bb.521:                              ;   in Loop: Header=BB239_280 Depth=1
	v_bfrev_b32_e32 v41, 1
	s_mov_b32 s29, exec_lo
	v_cmpx_ne_u16_e32 0x80, v1
	s_cbranch_execz .LBB239_527
; %bb.522:                              ;   in Loop: Header=BB239_280 Depth=1
	v_and_b32_sdwa v43, v1, v22 dst_sel:DWORD dst_unused:UNUSED_PAD src0_sel:WORD_0 src1_sel:DWORD
	v_mov_b32_e32 v41, 0x7c010000
	s_mov_b32 s30, exec_lo
	v_cmpx_ne_u32_e32 0x7f, v43
	s_cbranch_execz .LBB239_526
; %bb.523:                              ;   in Loop: Header=BB239_280 Depth=1
	v_and_b32_sdwa v41, v1, v23 dst_sel:DWORD dst_unused:UNUSED_PAD src0_sel:WORD_0 src1_sel:DWORD
	v_lshrrev_b32_e32 v42, 3, v43
	s_mov_b32 s31, exec_lo
	v_cmpx_gt_u32_e32 8, v43
; %bb.524:                              ;   in Loop: Header=BB239_280 Depth=1
	v_ffbh_u32_e32 v41, v41
	v_min_u32_e32 v43, 32, v41
	v_subrev_nc_u32_e32 v41, 28, v43
	v_lshlrev_b64 v[41:42], v41, v[1:2]
	v_sub_nc_u32_e32 v42, 29, v43
	v_and_b32_e32 v41, 7, v41
; %bb.525:                              ;   in Loop: Header=BB239_280 Depth=1
	s_or_b32 exec_lo, exec_lo, s31
	v_lshlrev_b32_sdwa v1, v24, v1 dst_sel:DWORD dst_unused:UNUSED_PAD src0_sel:DWORD src1_sel:WORD_0
	v_lshl_add_u32 v42, v42, 10, 0x2000
	v_lshlrev_b32_e32 v41, 23, v41
	v_and_or_b32 v1, 0x8000, v1, v42
	v_lshl_or_b32 v41, v1, 16, v41
.LBB239_526:                            ;   in Loop: Header=BB239_280 Depth=1
	s_or_b32 exec_lo, exec_lo, s30
.LBB239_527:                            ;   in Loop: Header=BB239_280 Depth=1
	s_or_b32 exec_lo, exec_lo, s29
.LBB239_528:                            ;   in Loop: Header=BB239_280 Depth=1
	s_or_b32 exec_lo, exec_lo, s28
	v_lshrrev_b32_e32 v1, 16, v6
	v_cmp_ne_u16_sdwa s1, v1, v2 src0_sel:BYTE_0 src1_sel:DWORD
	s_and_saveexec_b32 s28, s1
	s_cbranch_execz .LBB239_536
; %bb.529:                              ;   in Loop: Header=BB239_280 Depth=1
	v_cmp_ne_u16_sdwa s1, v1, v21 src0_sel:BYTE_0 src1_sel:DWORD
	v_mov_b32_e32 v39, 0x8000
	s_and_saveexec_b32 s29, s1
	s_cbranch_execz .LBB239_535
; %bb.530:                              ;   in Loop: Header=BB239_280 Depth=1
	v_bfe_u32 v43, v6, 16, 7
	v_mov_b32_e32 v39, 0x7c01
	s_mov_b32 s30, exec_lo
	v_cmpx_ne_u32_e32 0x7f, v43
	s_cbranch_execz .LBB239_534
; %bb.531:                              ;   in Loop: Header=BB239_280 Depth=1
	v_and_b32_e32 v39, 7, v1
	v_lshrrev_b32_e32 v42, 3, v43
	s_mov_b32 s31, exec_lo
	v_cmpx_gt_u32_e32 8, v43
; %bb.532:                              ;   in Loop: Header=BB239_280 Depth=1
	v_ffbh_u32_e32 v39, v39
	v_min_u32_e32 v39, 32, v39
	v_subrev_nc_u32_e32 v42, 28, v39
	v_lshlrev_b64 v[43:44], v42, v[1:2]
	v_sub_nc_u32_e32 v42, 29, v39
	v_and_b32_e32 v39, 7, v43
; %bb.533:                              ;   in Loop: Header=BB239_280 Depth=1
	s_or_b32 exec_lo, exec_lo, s31
	v_lshlrev_b32_e32 v1, 8, v1
	v_lshl_add_u32 v42, v42, 10, 0x2000
	v_lshlrev_b32_e32 v39, 7, v39
	v_and_b32_e32 v1, 0x8000, v1
	v_and_b32_e32 v42, 0xfc00, v42
	v_or3_b32 v39, v1, v42, v39
.LBB239_534:                            ;   in Loop: Header=BB239_280 Depth=1
	s_or_b32 exec_lo, exec_lo, s30
.LBB239_535:                            ;   in Loop: Header=BB239_280 Depth=1
	s_or_b32 exec_lo, exec_lo, s29
.LBB239_536:                            ;   in Loop: Header=BB239_280 Depth=1
	s_or_b32 exec_lo, exec_lo, s28
	v_cmp_lt_u64_e64 s1, s[4:5], v[5:6]
	v_mov_b32_e32 v5, 0
	s_and_saveexec_b32 s28, s1
	s_cbranch_execz .LBB239_544
; %bb.537:                              ;   in Loop: Header=BB239_280 Depth=1
	v_lshrrev_b32_e32 v1, 24, v6
	v_bfrev_b32_e32 v5, 1
	s_mov_b32 s29, exec_lo
	v_cmpx_ne_u32_e32 0x80, v1
	s_cbranch_execz .LBB239_543
; %bb.538:                              ;   in Loop: Header=BB239_280 Depth=1
	v_and_b32_e32 v42, 0x7f, v1
	v_mov_b32_e32 v5, 0x7c010000
	s_mov_b32 s30, exec_lo
	v_cmpx_ne_u32_e32 0x7f, v42
	s_cbranch_execz .LBB239_542
; %bb.539:                              ;   in Loop: Header=BB239_280 Depth=1
	v_and_b32_e32 v5, 7, v1
	v_lshrrev_b32_e32 v6, 3, v42
	s_mov_b32 s31, exec_lo
	v_cmpx_gt_u32_e32 8, v42
; %bb.540:                              ;   in Loop: Header=BB239_280 Depth=1
	v_ffbh_u32_e32 v5, v5
	v_min_u32_e32 v42, 32, v5
	v_subrev_nc_u32_e32 v5, 28, v42
	v_lshlrev_b64 v[5:6], v5, v[1:2]
	v_sub_nc_u32_e32 v6, 29, v42
	v_and_b32_e32 v5, 7, v5
; %bb.541:                              ;   in Loop: Header=BB239_280 Depth=1
	s_or_b32 exec_lo, exec_lo, s31
	v_lshlrev_b32_e32 v1, 8, v1
	v_lshl_add_u32 v6, v6, 10, 0x2000
	v_lshlrev_b32_e32 v5, 23, v5
	v_and_or_b32 v1, 0x8000, v1, v6
	v_lshl_or_b32 v5, v1, 16, v5
.LBB239_542:                            ;   in Loop: Header=BB239_280 Depth=1
	s_or_b32 exec_lo, exec_lo, s30
.LBB239_543:                            ;   in Loop: Header=BB239_280 Depth=1
	s_or_b32 exec_lo, exec_lo, s29
.LBB239_544:                            ;   in Loop: Header=BB239_280 Depth=1
	s_or_b32 exec_lo, exec_lo, s28
	v_or_b32_e32 v1, v37, v38
	s_waitcnt vmcnt(0)
	v_fma_mixlo_f16 v6, v34, v37, 0 op_sel:[0,1,0] op_sel_hi:[0,1,0]
	v_or_b32_e32 v36, v35, v36
	v_or_b32_e32 v38, v41, v40
	;; [unrolled: 1-line block ×3, first 2 shown]
	v_fma_mixlo_f16 v1, v34, v1, 0 op_sel_hi:[0,1,0]
	v_fma_mixlo_f16 v37, v34, v35, 0 op_sel:[0,1,0] op_sel_hi:[0,1,0]
	v_lshlrev_b32_e32 v35, 16, v6
	v_fma_mixlo_f16 v6, v34, v36, 0 op_sel_hi:[0,1,0]
	v_fma_mixlo_f16 v38, v34, v38, 0 op_sel_hi:[0,1,0]
	v_and_b32_e32 v36, 0xffff, v1
	v_fma_mixlo_f16 v1, v34, v41, 0 op_sel:[0,1,0] op_sel_hi:[0,1,0]
	v_fma_mixlo_f16 v40, v34, v5, 0 op_sel:[0,1,0] op_sel_hi:[0,1,0]
	v_fma_mixlo_f16 v39, v34, v39, 0 op_sel_hi:[0,1,0]
	v_lshlrev_b32_e32 v37, 16, v37
	v_and_b32_e32 v42, 0xffff, v6
	v_lshlrev_b32_e32 v5, 16, v1
	v_and_b32_e32 v34, 0xffff, v38
	;; [unrolled: 2-line block ×3, first 2 shown]
	v_or_b32_e32 v40, v35, v36
	v_or_b32_e32 v41, v37, v42
	;; [unrolled: 1-line block ×4, first 2 shown]
	s_and_saveexec_b32 s1, s0
	s_cbranch_execz .LBB239_277
; %bb.545:                              ;   in Loop: Header=BB239_280 Depth=1
	v_add_nc_u32_e32 v38, 1, v12
	v_cmp_gt_i32_e64 s0, s33, v12
	v_add_nc_u32_e32 v39, 2, v12
	v_add_nc_u32_e32 v41, 3, v12
	v_cndmask_b32_e64 v40, 0, v42, s0
	v_cmp_gt_i32_e64 s0, s33, v38
	v_add_nc_u32_e32 v38, 4, v12
	v_cndmask_b32_e64 v37, 0, v37, s0
	v_cmp_gt_i32_e64 s0, s33, v39
	;; [unrolled: 3-line block ×5, first 2 shown]
	v_cndmask_b32_e64 v5, 0, v5, s0
	v_cmp_gt_i32_e64 s0, s33, v41
	v_or_b32_e32 v41, v37, v40
	v_or_b32_e32 v40, v35, v36
	;; [unrolled: 1-line block ×3, first 2 shown]
	v_cndmask_b32_e64 v6, 0, v6, s0
	v_cmp_gt_i32_e64 s0, s33, v38
	v_cndmask_b32_e64 v1, 0, v1, s0
	v_or_b32_e32 v38, v1, v6
	s_branch .LBB239_277
.LBB239_546:
	s_or_b32 exec_lo, exec_lo, s22
.LBB239_547:
	s_or_b32 exec_lo, exec_lo, s12
	s_movk_i32 s0, 0x1e0
	v_and_b32_e32 v1, 0x3c0, v0
	v_mad_u32_u24 v4, v11, s0, 0x110
	v_or_b32_e32 v3, 0x60, v0
	s_mov_b32 s0, exec_lo
	s_barrier
	buffer_gl0_inv
	v_cmpx_eq_u32_e32 64, v1
	s_cbranch_execz .LBB239_550
; %bb.548:
	v_add_nc_u32_e32 v1, 0xfffffc40, v4
	v_cmp_gt_u32_e32 vcc_lo, 0x78, v3
	v_lshl_add_u32 v2, v13, 2, v1
	ds_write2_b32 v2, v18, v17 offset1:32
	ds_write_b32 v2, v16 offset:256
	s_and_b32 exec_lo, exec_lo, vcc_lo
; %bb.549:
	v_lshl_add_u32 v1, v3, 2, v1
	ds_write_b32 v1, v15
.LBB239_550:
	s_or_b32 exec_lo, exec_lo, s0
	v_lshl_add_u32 v5, v13, 2, v4
	s_mov_b32 s0, exec_lo
	s_waitcnt lgkmcnt(0)
	s_barrier
	buffer_gl0_inv
	v_cmpx_gt_u32_e32 64, v0
	s_cbranch_execz .LBB239_554
; %bb.551:
	v_lshl_or_b32 v1, v0, 2, 0x80
	s_mov_b32 s1, exec_lo
	v_add_nc_u32_e32 v6, v4, v1
	ds_read2st64_b32 v[1:2], v5 offset1:1
	ds_read_b32 v6, v6
	v_cmpx_gt_u32_e32 0x78, v3
	s_cbranch_execz .LBB239_553
; %bb.552:
	v_lshl_add_u32 v7, v3, 2, v4
	ds_read_b32 v7, v7
	s_waitcnt lgkmcnt(0)
	v_add_f32_e32 v15, v15, v7
.LBB239_553:
	s_or_b32 exec_lo, exec_lo, s1
	s_waitcnt lgkmcnt(1)
	v_add_f32_e32 v18, v18, v1
	s_waitcnt lgkmcnt(0)
	v_add_f32_e32 v17, v17, v6
	v_add_f32_e32 v16, v16, v2
.LBB239_554:
	s_or_b32 exec_lo, exec_lo, s0
	v_and_b32_e32 v1, 0x3e0, v0
	s_mov_b32 s0, exec_lo
	s_barrier
	buffer_gl0_inv
	v_cmpx_eq_u32_e32 32, v1
	s_cbranch_execz .LBB239_557
; %bb.555:
	v_lshl_add_u32 v1, v13, 2, 0x110
	v_cmp_gt_u32_e32 vcc_lo, 0x78, v3
	ds_write_b32 v1, v18
	ds_write_b32 v14, v17
	ds_write_b32 v1, v16 offset:256
	s_and_b32 exec_lo, exec_lo, vcc_lo
; %bb.556:
	v_lshl_add_u32 v1, v3, 2, 0x110
	ds_write_b32 v1, v15
.LBB239_557:
	s_or_b32 exec_lo, exec_lo, s0
	v_cmp_gt_u32_e32 vcc_lo, 32, v0
	s_waitcnt lgkmcnt(0)
	s_barrier
	buffer_gl0_inv
	s_and_saveexec_b32 s1, vcc_lo
	s_cbranch_execz .LBB239_561
; %bb.558:
	v_lshl_add_u32 v6, v0, 2, v4
	s_mov_b32 s2, exec_lo
	ds_read_b32 v4, v5
	ds_read2_b32 v[1:2], v6 offset0:32 offset1:64
	v_cmpx_gt_u32_e32 0x78, v3
	s_cbranch_execz .LBB239_560
; %bb.559:
	ds_read_b32 v5, v6 offset:384
	s_waitcnt lgkmcnt(0)
	v_add_f32_e32 v15, v15, v5
.LBB239_560:
	s_or_b32 exec_lo, exec_lo, s2
	s_waitcnt lgkmcnt(1)
	v_add_f32_e32 v18, v18, v4
	s_waitcnt lgkmcnt(0)
	v_add_f32_e32 v17, v17, v1
	v_add_f32_e32 v16, v16, v2
.LBB239_561:
	s_or_b32 exec_lo, exec_lo, s1
	s_barrier
	buffer_gl0_inv
	s_and_saveexec_b32 s0, vcc_lo
	s_cbranch_execz .LBB239_564
; %bb.562:
	s_mul_i32 s0, s10, s11
	s_mul_i32 s2, s11, s24
	;; [unrolled: 1-line block ×3, first 2 shown]
	v_lshlrev_b32_e32 v0, 1, v0
	s_mulk_i32 s0, 0x78
	v_cmp_gt_u32_e32 vcc_lo, 0x78, v3
	s_ashr_i32 s1, s0, 31
	;;#ASMSTART
	v_cvt_f16_f32 v1, v18;

	;;#ASMEND
	s_lshl_b64 s[0:1], s[0:1], 1
	s_add_u32 s4, s6, s0
	s_addc_u32 s5, s7, s1
	s_ashr_i32 s3, s2, 31
	s_lshl_b64 s[0:1], s[2:3], 1
	s_mul_i32 s2, s8, 0x78
	s_add_u32 s4, s4, s0
	s_addc_u32 s5, s5, s1
	s_ashr_i32 s3, s2, 31
	s_lshl_b64 s[0:1], s[2:3], 1
	s_add_u32 s0, s4, s0
	s_addc_u32 s1, s5, s1
	global_store_short v0, v1, s[0:1]
	;;#ASMSTART
	v_cvt_f16_f32 v1, v17;

	;;#ASMEND
	global_store_short v0, v1, s[0:1] offset:64
	;;#ASMSTART
	v_cvt_f16_f32 v1, v16;

	;;#ASMEND
	global_store_short v0, v1, s[0:1] offset:128
	s_and_b32 exec_lo, exec_lo, vcc_lo
	s_cbranch_execz .LBB239_564
; %bb.563:
	v_add_co_u32 v0, s0, s0, v0
	v_add_co_ci_u32_e64 v1, null, s1, 0, s0
	;;#ASMSTART
	v_cvt_f16_f32 v2, v15;

	;;#ASMEND
	global_store_short v[0:1], v2, off offset:192
.LBB239_564:
	s_endpgm
	.section	.rodata,"a",@progbits
	.p2align	6, 0x0
	.amdhsa_kernel _ZN4vllm25paged_attention_v1_kernelIthLi120ELi8ELi128ELNS_18Fp8KVCacheDataTypeE1ELb1EEEvPT_PKS2_PKT0_S8_ifPKiSA_iPKfiiiSC_SC_iiiii
		.amdhsa_group_segment_fixed_size 272
		.amdhsa_private_segment_fixed_size 0
		.amdhsa_kernarg_size 384
		.amdhsa_user_sgpr_count 6
		.amdhsa_user_sgpr_private_segment_buffer 1
		.amdhsa_user_sgpr_dispatch_ptr 0
		.amdhsa_user_sgpr_queue_ptr 0
		.amdhsa_user_sgpr_kernarg_segment_ptr 1
		.amdhsa_user_sgpr_dispatch_id 0
		.amdhsa_user_sgpr_flat_scratch_init 0
		.amdhsa_user_sgpr_private_segment_size 0
		.amdhsa_wavefront_size32 1
		.amdhsa_uses_dynamic_stack 0
		.amdhsa_system_sgpr_private_segment_wavefront_offset 0
		.amdhsa_system_sgpr_workgroup_id_x 1
		.amdhsa_system_sgpr_workgroup_id_y 1
		.amdhsa_system_sgpr_workgroup_id_z 1
		.amdhsa_system_sgpr_workgroup_info 0
		.amdhsa_system_vgpr_workitem_id 0
		.amdhsa_next_free_vgpr 80
		.amdhsa_next_free_sgpr 44
		.amdhsa_reserve_vcc 1
		.amdhsa_reserve_flat_scratch 0
		.amdhsa_float_round_mode_32 0
		.amdhsa_float_round_mode_16_64 0
		.amdhsa_float_denorm_mode_32 3
		.amdhsa_float_denorm_mode_16_64 3
		.amdhsa_dx10_clamp 1
		.amdhsa_ieee_mode 1
		.amdhsa_fp16_overflow 0
		.amdhsa_workgroup_processor_mode 1
		.amdhsa_memory_ordered 1
		.amdhsa_forward_progress 1
		.amdhsa_shared_vgpr_count 0
		.amdhsa_exception_fp_ieee_invalid_op 0
		.amdhsa_exception_fp_denorm_src 0
		.amdhsa_exception_fp_ieee_div_zero 0
		.amdhsa_exception_fp_ieee_overflow 0
		.amdhsa_exception_fp_ieee_underflow 0
		.amdhsa_exception_fp_ieee_inexact 0
		.amdhsa_exception_int_div_zero 0
	.end_amdhsa_kernel
	.section	.text._ZN4vllm25paged_attention_v1_kernelIthLi120ELi8ELi128ELNS_18Fp8KVCacheDataTypeE1ELb1EEEvPT_PKS2_PKT0_S8_ifPKiSA_iPKfiiiSC_SC_iiiii,"axG",@progbits,_ZN4vllm25paged_attention_v1_kernelIthLi120ELi8ELi128ELNS_18Fp8KVCacheDataTypeE1ELb1EEEvPT_PKS2_PKT0_S8_ifPKiSA_iPKfiiiSC_SC_iiiii,comdat
.Lfunc_end239:
	.size	_ZN4vllm25paged_attention_v1_kernelIthLi120ELi8ELi128ELNS_18Fp8KVCacheDataTypeE1ELb1EEEvPT_PKS2_PKT0_S8_ifPKiSA_iPKfiiiSC_SC_iiiii, .Lfunc_end239-_ZN4vllm25paged_attention_v1_kernelIthLi120ELi8ELi128ELNS_18Fp8KVCacheDataTypeE1ELb1EEEvPT_PKS2_PKT0_S8_ifPKiSA_iPKfiiiSC_SC_iiiii
                                        ; -- End function
	.set _ZN4vllm25paged_attention_v1_kernelIthLi120ELi8ELi128ELNS_18Fp8KVCacheDataTypeE1ELb1EEEvPT_PKS2_PKT0_S8_ifPKiSA_iPKfiiiSC_SC_iiiii.num_vgpr, 80
	.set _ZN4vllm25paged_attention_v1_kernelIthLi120ELi8ELi128ELNS_18Fp8KVCacheDataTypeE1ELb1EEEvPT_PKS2_PKT0_S8_ifPKiSA_iPKfiiiSC_SC_iiiii.num_agpr, 0
	.set _ZN4vllm25paged_attention_v1_kernelIthLi120ELi8ELi128ELNS_18Fp8KVCacheDataTypeE1ELb1EEEvPT_PKS2_PKT0_S8_ifPKiSA_iPKfiiiSC_SC_iiiii.numbered_sgpr, 44
	.set _ZN4vllm25paged_attention_v1_kernelIthLi120ELi8ELi128ELNS_18Fp8KVCacheDataTypeE1ELb1EEEvPT_PKS2_PKT0_S8_ifPKiSA_iPKfiiiSC_SC_iiiii.num_named_barrier, 0
	.set _ZN4vllm25paged_attention_v1_kernelIthLi120ELi8ELi128ELNS_18Fp8KVCacheDataTypeE1ELb1EEEvPT_PKS2_PKT0_S8_ifPKiSA_iPKfiiiSC_SC_iiiii.private_seg_size, 0
	.set _ZN4vllm25paged_attention_v1_kernelIthLi120ELi8ELi128ELNS_18Fp8KVCacheDataTypeE1ELb1EEEvPT_PKS2_PKT0_S8_ifPKiSA_iPKfiiiSC_SC_iiiii.uses_vcc, 1
	.set _ZN4vllm25paged_attention_v1_kernelIthLi120ELi8ELi128ELNS_18Fp8KVCacheDataTypeE1ELb1EEEvPT_PKS2_PKT0_S8_ifPKiSA_iPKfiiiSC_SC_iiiii.uses_flat_scratch, 0
	.set _ZN4vllm25paged_attention_v1_kernelIthLi120ELi8ELi128ELNS_18Fp8KVCacheDataTypeE1ELb1EEEvPT_PKS2_PKT0_S8_ifPKiSA_iPKfiiiSC_SC_iiiii.has_dyn_sized_stack, 0
	.set _ZN4vllm25paged_attention_v1_kernelIthLi120ELi8ELi128ELNS_18Fp8KVCacheDataTypeE1ELb1EEEvPT_PKS2_PKT0_S8_ifPKiSA_iPKfiiiSC_SC_iiiii.has_recursion, 0
	.set _ZN4vllm25paged_attention_v1_kernelIthLi120ELi8ELi128ELNS_18Fp8KVCacheDataTypeE1ELb1EEEvPT_PKS2_PKT0_S8_ifPKiSA_iPKfiiiSC_SC_iiiii.has_indirect_call, 0
	.section	.AMDGPU.csdata,"",@progbits
; Kernel info:
; codeLenInByte = 19900
; TotalNumSgprs: 46
; NumVgprs: 80
; ScratchSize: 0
; MemoryBound: 0
; FloatMode: 240
; IeeeMode: 1
; LDSByteSize: 272 bytes/workgroup (compile time only)
; SGPRBlocks: 0
; VGPRBlocks: 9
; NumSGPRsForWavesPerEU: 46
; NumVGPRsForWavesPerEU: 80
; Occupancy: 12
; WaveLimiterHint : 1
; COMPUTE_PGM_RSRC2:SCRATCH_EN: 0
; COMPUTE_PGM_RSRC2:USER_SGPR: 6
; COMPUTE_PGM_RSRC2:TRAP_HANDLER: 0
; COMPUTE_PGM_RSRC2:TGID_X_EN: 1
; COMPUTE_PGM_RSRC2:TGID_Y_EN: 1
; COMPUTE_PGM_RSRC2:TGID_Z_EN: 1
; COMPUTE_PGM_RSRC2:TIDIG_COMP_CNT: 0
	.section	.text._ZN4vllm25paged_attention_v1_kernelIthLi128ELi8ELi128ELNS_18Fp8KVCacheDataTypeE1ELb1EEEvPT_PKS2_PKT0_S8_ifPKiSA_iPKfiiiSC_SC_iiiii,"axG",@progbits,_ZN4vllm25paged_attention_v1_kernelIthLi128ELi8ELi128ELNS_18Fp8KVCacheDataTypeE1ELb1EEEvPT_PKS2_PKT0_S8_ifPKiSA_iPKfiiiSC_SC_iiiii,comdat
	.protected	_ZN4vllm25paged_attention_v1_kernelIthLi128ELi8ELi128ELNS_18Fp8KVCacheDataTypeE1ELb1EEEvPT_PKS2_PKT0_S8_ifPKiSA_iPKfiiiSC_SC_iiiii ; -- Begin function _ZN4vllm25paged_attention_v1_kernelIthLi128ELi8ELi128ELNS_18Fp8KVCacheDataTypeE1ELb1EEEvPT_PKS2_PKT0_S8_ifPKiSA_iPKfiiiSC_SC_iiiii
	.globl	_ZN4vllm25paged_attention_v1_kernelIthLi128ELi8ELi128ELNS_18Fp8KVCacheDataTypeE1ELb1EEEvPT_PKS2_PKT0_S8_ifPKiSA_iPKfiiiSC_SC_iiiii
	.p2align	8
	.type	_ZN4vllm25paged_attention_v1_kernelIthLi128ELi8ELi128ELNS_18Fp8KVCacheDataTypeE1ELb1EEEvPT_PKS2_PKT0_S8_ifPKiSA_iPKfiiiSC_SC_iiiii,@function
_ZN4vllm25paged_attention_v1_kernelIthLi128ELi8ELi128ELNS_18Fp8KVCacheDataTypeE1ELb1EEEvPT_PKS2_PKT0_S8_ifPKiSA_iPKfiiiSC_SC_iiiii: ; @_ZN4vllm25paged_attention_v1_kernelIthLi128ELi8ELi128ELNS_18Fp8KVCacheDataTypeE1ELb1EEEvPT_PKS2_PKT0_S8_ifPKiSA_iPKfiiiSC_SC_iiiii
; %bb.0:
	s_clause 0x2
	s_load_dword s9, s[4:5], 0x80
	s_load_dwordx2 s[0:1], s[4:5], 0x30
	s_load_dwordx2 s[34:35], s[4:5], 0x20
	s_mov_b32 s10, s7
	s_ashr_i32 s11, s7, 31
	s_mov_b32 s36, 0
	s_lshl_b64 s[2:3], s[10:11], 2
	s_waitcnt lgkmcnt(0)
	s_add_u32 s0, s0, s2
	s_addc_u32 s1, s1, s3
	s_abs_i32 s2, s34
	s_abs_i32 s11, s9
	v_cvt_f32_u32_e32 v1, s2
	s_sub_i32 s7, 0, s2
	v_rcp_iflag_f32_e32 v1, v1
	v_mul_f32_e32 v1, 0x4f7ffffe, v1
	v_cvt_u32_f32_e32 v1, v1
	v_readfirstlane_b32 s3, v1
	s_mul_i32 s7, s7, s3
	s_mul_hi_u32 s7, s3, s7
	s_add_i32 s3, s3, s7
	s_xor_b32 s7, s9, s34
	s_mul_hi_u32 s3, s11, s3
	s_ashr_i32 s7, s7, 31
	s_mul_i32 s12, s3, s2
	s_sub_i32 s11, s11, s12
	s_add_i32 s12, s3, 1
	s_sub_i32 s13, s11, s2
	s_cmp_ge_u32 s11, s2
	s_cselect_b32 s3, s12, s3
	s_cselect_b32 s11, s13, s11
	s_add_i32 s12, s3, 1
	s_cmp_ge_u32 s11, s2
	s_cselect_b32 s2, s12, s3
	s_xor_b32 s2, s2, s7
	s_sub_i32 s14, s2, s7
	s_load_dwordx2 s[2:3], s[4:5], 0x40
	s_abs_i32 s11, s14
	v_cvt_f32_u32_e32 v1, s11
	s_sub_i32 s12, 0, s11
	v_rcp_iflag_f32_e32 v1, v1
	v_mul_f32_e32 v1, 0x4f7ffffe, v1
	v_cvt_u32_f32_e32 v1, v1
	v_readfirstlane_b32 s7, v1
	s_mul_i32 s12, s12, s7
	s_mul_hi_u32 s13, s7, s12
	s_abs_i32 s12, s6
	s_add_i32 s7, s7, s13
	s_waitcnt lgkmcnt(0)
	s_cmp_eq_u64 s[2:3], 0
	s_mul_hi_u32 s13, s12, s7
	s_cbranch_scc1 .LBB240_2
; %bb.1:
	s_ashr_i32 s7, s6, 31
	s_lshl_b64 s[16:17], s[6:7], 2
	s_add_u32 s2, s2, s16
	s_addc_u32 s3, s3, s17
	s_load_dword s36, s[2:3], 0x0
.LBB240_2:
	s_load_dword s33, s[0:1], 0x0
	s_load_dwordx4 s[16:19], s[4:5], 0x48
	v_and_b32_e32 v1, 3, v0
	v_cmp_gt_u32_e64 s0, 64, v0
	s_ashr_i32 s1, s6, 31
	s_ashr_i32 s2, s14, 31
	s_lshl_b32 s24, s6, 7
	s_and_saveexec_b32 s3, s0
	s_cbranch_execz .LBB240_4
; %bb.3:
	s_load_dwordx2 s[14:15], s[4:5], 0x8
	s_waitcnt lgkmcnt(0)
	s_mul_i32 s20, s16, s10
	v_lshlrev_b32_e32 v2, 2, v0
	s_ashr_i32 s21, s20, 31
	v_and_b32_e32 v3, 0x3fc, v0
	s_lshl_b64 s[20:21], s[20:21], 1
	v_lshl_add_u32 v3, v1, 6, v3
	s_add_u32 s7, s14, s20
	s_addc_u32 s16, s15, s21
	s_ashr_i32 s25, s24, 31
	s_lshl_b64 s[14:15], s[24:25], 1
	s_add_u32 s14, s7, s14
	s_addc_u32 s15, s16, s15
	global_load_dword v2, v2, s[14:15]
	s_waitcnt vmcnt(0)
	ds_write_b32 v3, v2
.LBB240_4:
	s_or_b32 exec_lo, exec_lo, s3
	s_load_dwordx4 s[20:23], s[4:5], 0x68
	s_mul_i32 s3, s13, s11
	s_xor_b32 s2, s1, s2
	s_sub_i32 s1, s12, s3
	s_add_i32 s3, s13, 1
	s_sub_i32 s7, s1, s11
	s_cmp_ge_u32 s1, s11
	s_waitcnt lgkmcnt(0)
	s_cselect_b32 s3, s3, s13
	s_cselect_b32 s1, s7, s1
	s_add_i32 s7, s3, 1
	s_cmp_ge_u32 s1, s11
	s_load_dword s1, s[4:5], 0x78
	s_cselect_b32 s3, s7, s3
	s_add_i32 s7, s33, -1
	s_xor_b32 s3, s3, s2
	s_abs_i32 s11, s7
	s_sub_i32 s2, s3, s2
	s_mov_b32 s13, -1
	s_barrier
	s_abs_i32 s16, s23
	s_waitcnt lgkmcnt(0)
	buffer_gl0_inv
	v_cvt_f32_u32_e32 v2, s16
	s_sub_i32 s3, 0, s16
                                        ; implicit-def: $sgpr25
	v_rcp_iflag_f32_e32 v2, v2
	v_mul_f32_e32 v2, 0x4f7ffffe, v2
	v_cvt_u32_f32_e32 v2, v2
	v_readfirstlane_b32 s19, v2
	s_mul_i32 s3, s3, s19
	s_mul_hi_u32 s3, s19, s3
	s_add_i32 s19, s19, s3
	s_cmp_lt_i32 s1, 0
	s_mul_hi_u32 s3, s11, s19
	s_cbranch_scc0 .LBB240_6
; %bb.5:
	s_mul_i32 s12, s20, s34
	s_mov_b32 s13, 0
	s_add_i32 s12, s2, s12
	s_mul_i32 s12, s12, s1
	s_sub_i32 s25, 1, s12
.LBB240_6:
	s_load_dwordx2 s[26:27], s[4:5], 0x28
	s_ashr_i32 s12, s7, 31
	s_andn2_b32 vcc_lo, exec_lo, s13
	s_ashr_i32 s23, s23, 31
	s_cbranch_vccnz .LBB240_8
; %bb.7:
	s_mul_i32 s7, s9, s20
	s_add_i32 s6, s7, s6
	s_mul_i32 s1, s6, s1
	s_add_i32 s25, s1, 1
.LBB240_8:
	s_clause 0x2
	s_load_dword s1, s[4:5], 0x38
	s_load_dwordx2 s[6:7], s[4:5], 0x0
	s_load_dwordx2 s[30:31], s[4:5], 0x18
	s_xor_b32 s34, s12, s23
	s_mul_i32 s12, s3, s16
	s_add_i32 s20, s3, 1
	s_sub_i32 s37, s11, s12
	s_clause 0x1
	s_load_dword s11, s[4:5], 0x88
	s_load_dwordx4 s[12:15], s[4:5], 0x58
	v_lshrrev_b32_e32 v11, 5, v0
	v_mov_b32_e32 v15, 0xff7fffff
	v_lshrrev_b32_e32 v9, 3, v0
	v_mbcnt_lo_u32_b32 v10, -1, 0
	s_mul_i32 s18, s2, s18
	v_lshlrev_b32_e32 v12, 3, v11
	s_waitcnt lgkmcnt(0)
	s_mul_i32 s28, s1, s10
	s_sub_i32 s1, s37, s16
	s_ashr_i32 s29, s28, 31
	s_cmp_ge_u32 s37, s16
	s_cselect_b32 s3, s20, s3
	s_cselect_b32 s1, s1, s37
	s_add_i32 s20, s3, 1
	s_cmp_ge_u32 s1, s16
	s_cselect_b32 s1, s20, s3
	s_add_i32 s3, s33, 7
	s_ashr_i32 s20, s3, 31
	s_lshr_b32 s20, s20, 29
	s_add_i32 s3, s3, s20
	s_ashr_i32 s20, s3, 3
	s_xor_b32 s3, s1, s34
	v_cmp_gt_i32_e64 s1, s20, v11
	s_sub_i32 s34, s3, s34
	s_and_saveexec_b32 s37, s1
	s_cbranch_execz .LBB240_276
; %bb.9:
	s_load_dwordx2 s[2:3], s[4:5], 0x10
	s_sub_i32 s5, s34, s21
	s_ashr_i32 s4, s18, 31
	v_bfe_u32 v13, v0, 2, 3
	v_cmp_eq_u32_e32 vcc_lo, 0, v1
	v_lshlrev_b32_e32 v5, 1, v1
	v_lshlrev_b32_e32 v14, 6, v1
	v_and_b32_e32 v1, 0x7c, v9
	v_lshlrev_b32_e32 v4, 2, v13
	v_subrev_nc_u32_e32 v6, s33, v13
	v_mov_b32_e32 v2, 0
	v_lshlrev_b32_e32 v16, 3, v11
	v_mov_b32_e32 v17, 0xff7fffff
	v_lshl_or_b32 v4, v11, 5, v4
	v_add_nc_u32_e32 v22, 1, v6
	v_mov_b32_e32 v18, 0x80
	v_mov_b32_e32 v19, 0x7f
	;; [unrolled: 1-line block ×3, first 2 shown]
	v_add_nc_u32_e32 v23, 0x120, v4
	v_mov_b32_e32 v21, 8
	s_waitcnt lgkmcnt(0)
	s_add_u32 s39, s2, s18
	s_addc_u32 s3, s3, s4
	s_abs_i32 s38, s22
	s_lshl_b64 s[40:41], s[28:29], 2
	v_cvt_f32_u32_e32 v3, s38
	s_sub_i32 s4, 0, s38
	v_cmp_neq_f32_e64 s2, s36, 0
	v_mov_b32_e32 v15, 0xff7fffff
	v_mov_b32_e32 v25, v11
	v_rcp_iflag_f32_e32 v3, v3
	v_mul_f32_e32 v3, 0x4f7ffffe, v3
	v_cvt_u32_f32_e32 v7, v3
	v_lshlrev_b32_e32 v3, 4, v13
	v_mul_lo_u32 v4, s4, v7
	v_add_co_u32 v6, s4, s39, v3
	v_add_co_ci_u32_e64 v8, null, s3, 0, s4
	s_add_u32 s3, s26, s40
	s_addc_u32 s4, s27, s41
	v_add_co_u32 v3, s3, s3, v1
	v_mul_hi_u32 v24, v7, v4
	v_add_co_ci_u32_e64 v4, null, s4, 0, s3
	v_add_co_u32 v5, s3, v6, v5
	v_add_co_ci_u32_e64 v6, null, 0, v8, s3
	s_mov_b32 s39, 0
	v_add_nc_u32_e32 v24, v7, v24
	s_mov_b32 s40, s17
	s_branch .LBB240_12
.LBB240_10:                             ;   in Loop: Header=BB240_12 Depth=1
	s_or_b32 exec_lo, exec_lo, s41
.LBB240_11:                             ;   in Loop: Header=BB240_12 Depth=1
	s_or_b32 exec_lo, exec_lo, s4
	v_add_nc_u32_e32 v25, 4, v25
	v_add_co_u32 v3, s4, v3, 16
	v_add_co_ci_u32_e64 v4, null, 0, v4, s4
	v_cmp_le_i32_e64 s3, s20, v25
	v_add_nc_u32_e32 v16, 32, v16
	v_add_nc_u32_e32 v23, 0x80, v23
	s_or_b32 s39, s3, s39
	s_andn2_b32 exec_lo, exec_lo, s39
	s_cbranch_execz .LBB240_275
.LBB240_12:                             ; =>This Inner Loop Header: Depth=1
	v_mul_hi_u32 v1, v16, s19
	s_waitcnt lgkmcnt(0)
	v_mul_lo_u32 v7, v1, s16
	v_add_nc_u32_e32 v8, 1, v1
	v_sub_nc_u32_e32 v7, v16, v7
	v_subrev_nc_u32_e32 v26, s16, v7
	v_cmp_le_u32_e64 s3, s16, v7
	v_cndmask_b32_e64 v1, v1, v8, s3
	v_cndmask_b32_e64 v7, v7, v26, s3
	v_add_nc_u32_e32 v8, 1, v1
	v_cmp_le_u32_e64 s3, s16, v7
	v_cndmask_b32_e64 v1, v1, v8, s3
	v_xor_b32_e32 v1, s23, v1
	v_subrev_nc_u32_e32 v1, s23, v1
	v_add_nc_u32_e32 v7, s25, v1
	v_cmp_ge_i32_e64 s4, s5, v1
	v_sub_nc_u32_e32 v8, 0, v7
	v_max_i32_e32 v8, v7, v8
	v_ashrrev_i32_e32 v7, 31, v7
	v_mul_hi_u32 v26, v8, v24
	v_mul_lo_u32 v26, v26, s38
	v_sub_nc_u32_e32 v8, v8, v26
	v_subrev_nc_u32_e32 v26, s38, v8
	v_cmp_le_u32_e64 s3, s38, v8
	v_cndmask_b32_e64 v8, v8, v26, s3
	v_subrev_nc_u32_e32 v26, s38, v8
	v_cmp_le_u32_e64 s3, s38, v8
	v_cndmask_b32_e64 v8, v8, v26, s3
	v_xor_b32_e32 v8, v8, v7
	v_sub_nc_u32_e32 v7, v8, v7
	v_cmp_ne_u32_e64 s3, 0, v7
	s_and_b32 s3, s3, s4
	s_and_saveexec_b32 s4, s3
	s_xor_b32 s3, exec_lo, s4
	s_cbranch_execz .LBB240_16
; %bb.13:                               ;   in Loop: Header=BB240_12 Depth=1
	s_and_saveexec_b32 s4, vcc_lo
; %bb.14:                               ;   in Loop: Header=BB240_12 Depth=1
	ds_write_b32 v23, v17
; %bb.15:                               ;   in Loop: Header=BB240_12 Depth=1
	s_or_b32 exec_lo, exec_lo, s4
.LBB240_16:                             ;   in Loop: Header=BB240_12 Depth=1
	s_andn2_saveexec_b32 s4, s3
	s_cbranch_execz .LBB240_11
; %bb.17:                               ;   in Loop: Header=BB240_12 Depth=1
	global_load_dword v1, v[3:4], off
	v_mov_b32_e32 v27, 0
	global_load_dword v26, v27, s[12:13]
	s_waitcnt vmcnt(1)
	v_mad_i64_i32 v[7:8], null, v1, s40, v[5:6]
	global_load_ushort v28, v[7:8], off
	s_waitcnt vmcnt(0)
	v_and_b32_e32 v1, 0xffff, v28
	v_cmp_ne_u16_sdwa s3, v28, v2 src0_sel:BYTE_0 src1_sel:DWORD
	v_mov_b32_e32 v28, 0
	s_and_saveexec_b32 s41, s3
	s_cbranch_execz .LBB240_25
; %bb.18:                               ;   in Loop: Header=BB240_12 Depth=1
	v_cmp_ne_u16_sdwa s3, v1, v18 src0_sel:BYTE_0 src1_sel:DWORD
	v_mov_b32_e32 v28, 0x8000
	s_and_saveexec_b32 s42, s3
	s_cbranch_execz .LBB240_24
; %bb.19:                               ;   in Loop: Header=BB240_12 Depth=1
	v_and_b32_e32 v30, 0x7f, v1
	v_mov_b32_e32 v28, 0x7c01
	s_mov_b32 s43, exec_lo
	v_cmpx_ne_u32_e32 0x7f, v30
	s_cbranch_execz .LBB240_23
; %bb.20:                               ;   in Loop: Header=BB240_12 Depth=1
	v_and_b32_e32 v28, 7, v1
	v_lshrrev_b32_e32 v29, 3, v30
	s_mov_b32 s44, exec_lo
	v_cmpx_gt_u32_e32 8, v30
; %bb.21:                               ;   in Loop: Header=BB240_12 Depth=1
	v_ffbh_u32_e32 v28, v28
	v_min_u32_e32 v30, 32, v28
	v_subrev_nc_u32_e32 v28, 28, v30
	v_lshlrev_b64 v[28:29], v28, v[1:2]
	v_sub_nc_u32_e32 v29, 29, v30
	v_and_b32_e32 v28, 7, v28
; %bb.22:                               ;   in Loop: Header=BB240_12 Depth=1
	s_or_b32 exec_lo, exec_lo, s44
	v_lshlrev_b32_e32 v30, 8, v1
	v_lshl_add_u32 v29, v29, 10, 0x2000
	v_lshlrev_b32_e32 v28, 7, v28
	v_and_b32_e32 v30, 0x8000, v30
	v_and_b32_e32 v29, 0xfc00, v29
	v_or3_b32 v28, v30, v29, v28
.LBB240_23:                             ;   in Loop: Header=BB240_12 Depth=1
	s_or_b32 exec_lo, exec_lo, s43
.LBB240_24:                             ;   in Loop: Header=BB240_12 Depth=1
	s_or_b32 exec_lo, exec_lo, s42
.LBB240_25:                             ;   in Loop: Header=BB240_12 Depth=1
	s_or_b32 exec_lo, exec_lo, s41
	v_lshrrev_b16 v1, 8, v1
	s_mov_b32 s41, exec_lo
	v_cmpx_ne_u16_e32 0, v1
	s_cbranch_execz .LBB240_33
; %bb.26:                               ;   in Loop: Header=BB240_12 Depth=1
	v_bfrev_b32_e32 v27, 1
	s_mov_b32 s42, exec_lo
	v_cmpx_ne_u16_e32 0x80, v1
	s_cbranch_execz .LBB240_32
; %bb.27:                               ;   in Loop: Header=BB240_12 Depth=1
	v_and_b32_sdwa v30, v1, v19 dst_sel:DWORD dst_unused:UNUSED_PAD src0_sel:WORD_0 src1_sel:DWORD
	v_mov_b32_e32 v27, 0x7c010000
	s_mov_b32 s43, exec_lo
	v_cmpx_ne_u32_e32 0x7f, v30
	s_cbranch_execz .LBB240_31
; %bb.28:                               ;   in Loop: Header=BB240_12 Depth=1
	v_and_b32_sdwa v27, v1, v20 dst_sel:DWORD dst_unused:UNUSED_PAD src0_sel:WORD_0 src1_sel:DWORD
	v_lshrrev_b32_e32 v29, 3, v30
	s_mov_b32 s44, exec_lo
	v_cmpx_gt_u32_e32 8, v30
; %bb.29:                               ;   in Loop: Header=BB240_12 Depth=1
	v_ffbh_u32_e32 v27, v27
	v_min_u32_e32 v27, 32, v27
	v_subrev_nc_u32_e32 v29, 28, v27
	v_lshlrev_b64 v[30:31], v29, v[1:2]
	v_sub_nc_u32_e32 v29, 29, v27
	v_and_b32_e32 v27, 7, v30
; %bb.30:                               ;   in Loop: Header=BB240_12 Depth=1
	s_or_b32 exec_lo, exec_lo, s44
	v_lshlrev_b32_sdwa v1, v21, v1 dst_sel:DWORD dst_unused:UNUSED_PAD src0_sel:DWORD src1_sel:WORD_0
	v_lshl_add_u32 v29, v29, 10, 0x2000
	v_lshlrev_b32_e32 v27, 23, v27
	v_and_or_b32 v1, 0x8000, v1, v29
	v_lshl_or_b32 v27, v1, 16, v27
.LBB240_31:                             ;   in Loop: Header=BB240_12 Depth=1
	s_or_b32 exec_lo, exec_lo, s43
.LBB240_32:                             ;   in Loop: Header=BB240_12 Depth=1
	s_or_b32 exec_lo, exec_lo, s42
.LBB240_33:                             ;   in Loop: Header=BB240_12 Depth=1
	s_or_b32 exec_lo, exec_lo, s41
	global_load_ushort v30, v[7:8], off offset:8
	v_mov_b32_e32 v29, 0
	s_waitcnt vmcnt(0)
	v_and_b32_e32 v1, 0xffff, v30
	v_cmp_ne_u16_sdwa s3, v30, v2 src0_sel:BYTE_0 src1_sel:DWORD
	v_mov_b32_e32 v30, 0
	s_and_saveexec_b32 s41, s3
	s_cbranch_execz .LBB240_41
; %bb.34:                               ;   in Loop: Header=BB240_12 Depth=1
	v_cmp_ne_u16_sdwa s3, v1, v18 src0_sel:BYTE_0 src1_sel:DWORD
	v_mov_b32_e32 v30, 0x8000
	s_and_saveexec_b32 s42, s3
	s_cbranch_execz .LBB240_40
; %bb.35:                               ;   in Loop: Header=BB240_12 Depth=1
	v_and_b32_e32 v32, 0x7f, v1
	v_mov_b32_e32 v30, 0x7c01
	s_mov_b32 s43, exec_lo
	v_cmpx_ne_u32_e32 0x7f, v32
	s_cbranch_execz .LBB240_39
; %bb.36:                               ;   in Loop: Header=BB240_12 Depth=1
	v_and_b32_e32 v30, 7, v1
	v_lshrrev_b32_e32 v31, 3, v32
	s_mov_b32 s44, exec_lo
	v_cmpx_gt_u32_e32 8, v32
; %bb.37:                               ;   in Loop: Header=BB240_12 Depth=1
	v_ffbh_u32_e32 v30, v30
	v_min_u32_e32 v32, 32, v30
	v_subrev_nc_u32_e32 v30, 28, v32
	v_lshlrev_b64 v[30:31], v30, v[1:2]
	v_sub_nc_u32_e32 v31, 29, v32
	v_and_b32_e32 v30, 7, v30
; %bb.38:                               ;   in Loop: Header=BB240_12 Depth=1
	s_or_b32 exec_lo, exec_lo, s44
	v_lshlrev_b32_e32 v32, 8, v1
	v_lshl_add_u32 v31, v31, 10, 0x2000
	v_lshlrev_b32_e32 v30, 7, v30
	v_and_b32_e32 v32, 0x8000, v32
	v_and_b32_e32 v31, 0xfc00, v31
	v_or3_b32 v30, v32, v31, v30
.LBB240_39:                             ;   in Loop: Header=BB240_12 Depth=1
	s_or_b32 exec_lo, exec_lo, s43
.LBB240_40:                             ;   in Loop: Header=BB240_12 Depth=1
	s_or_b32 exec_lo, exec_lo, s42
.LBB240_41:                             ;   in Loop: Header=BB240_12 Depth=1
	s_or_b32 exec_lo, exec_lo, s41
	v_lshrrev_b16 v1, 8, v1
	s_mov_b32 s41, exec_lo
	v_cmpx_ne_u16_e32 0, v1
	s_cbranch_execz .LBB240_49
; %bb.42:                               ;   in Loop: Header=BB240_12 Depth=1
	v_bfrev_b32_e32 v29, 1
	s_mov_b32 s42, exec_lo
	v_cmpx_ne_u16_e32 0x80, v1
	s_cbranch_execz .LBB240_48
; %bb.43:                               ;   in Loop: Header=BB240_12 Depth=1
	v_and_b32_sdwa v32, v1, v19 dst_sel:DWORD dst_unused:UNUSED_PAD src0_sel:WORD_0 src1_sel:DWORD
	v_mov_b32_e32 v29, 0x7c010000
	s_mov_b32 s43, exec_lo
	v_cmpx_ne_u32_e32 0x7f, v32
	s_cbranch_execz .LBB240_47
; %bb.44:                               ;   in Loop: Header=BB240_12 Depth=1
	v_and_b32_sdwa v29, v1, v20 dst_sel:DWORD dst_unused:UNUSED_PAD src0_sel:WORD_0 src1_sel:DWORD
	v_lshrrev_b32_e32 v31, 3, v32
	s_mov_b32 s44, exec_lo
	v_cmpx_gt_u32_e32 8, v32
; %bb.45:                               ;   in Loop: Header=BB240_12 Depth=1
	v_ffbh_u32_e32 v29, v29
	v_min_u32_e32 v29, 32, v29
	v_subrev_nc_u32_e32 v31, 28, v29
	v_lshlrev_b64 v[32:33], v31, v[1:2]
	v_sub_nc_u32_e32 v31, 29, v29
	v_and_b32_e32 v29, 7, v32
; %bb.46:                               ;   in Loop: Header=BB240_12 Depth=1
	s_or_b32 exec_lo, exec_lo, s44
	v_lshlrev_b32_sdwa v1, v21, v1 dst_sel:DWORD dst_unused:UNUSED_PAD src0_sel:DWORD src1_sel:WORD_0
	v_lshl_add_u32 v31, v31, 10, 0x2000
	v_lshlrev_b32_e32 v29, 23, v29
	v_and_or_b32 v1, 0x8000, v1, v31
	v_lshl_or_b32 v29, v1, 16, v29
.LBB240_47:                             ;   in Loop: Header=BB240_12 Depth=1
	s_or_b32 exec_lo, exec_lo, s43
.LBB240_48:                             ;   in Loop: Header=BB240_12 Depth=1
	s_or_b32 exec_lo, exec_lo, s42
.LBB240_49:                             ;   in Loop: Header=BB240_12 Depth=1
	s_or_b32 exec_lo, exec_lo, s41
	global_load_ushort v32, v[7:8], off offset:128
	v_mov_b32_e32 v31, 0
	s_waitcnt vmcnt(0)
	v_and_b32_e32 v1, 0xffff, v32
	v_cmp_ne_u16_sdwa s3, v32, v2 src0_sel:BYTE_0 src1_sel:DWORD
	v_mov_b32_e32 v32, 0
	s_and_saveexec_b32 s41, s3
	s_cbranch_execz .LBB240_57
; %bb.50:                               ;   in Loop: Header=BB240_12 Depth=1
	v_cmp_ne_u16_sdwa s3, v1, v18 src0_sel:BYTE_0 src1_sel:DWORD
	v_mov_b32_e32 v32, 0x8000
	s_and_saveexec_b32 s42, s3
	s_cbranch_execz .LBB240_56
; %bb.51:                               ;   in Loop: Header=BB240_12 Depth=1
	v_and_b32_e32 v34, 0x7f, v1
	v_mov_b32_e32 v32, 0x7c01
	s_mov_b32 s43, exec_lo
	v_cmpx_ne_u32_e32 0x7f, v34
	s_cbranch_execz .LBB240_55
; %bb.52:                               ;   in Loop: Header=BB240_12 Depth=1
	v_and_b32_e32 v32, 7, v1
	v_lshrrev_b32_e32 v33, 3, v34
	s_mov_b32 s44, exec_lo
	v_cmpx_gt_u32_e32 8, v34
; %bb.53:                               ;   in Loop: Header=BB240_12 Depth=1
	v_ffbh_u32_e32 v32, v32
	v_min_u32_e32 v34, 32, v32
	v_subrev_nc_u32_e32 v32, 28, v34
	v_lshlrev_b64 v[32:33], v32, v[1:2]
	v_sub_nc_u32_e32 v33, 29, v34
	v_and_b32_e32 v32, 7, v32
; %bb.54:                               ;   in Loop: Header=BB240_12 Depth=1
	s_or_b32 exec_lo, exec_lo, s44
	v_lshlrev_b32_e32 v34, 8, v1
	v_lshl_add_u32 v33, v33, 10, 0x2000
	v_lshlrev_b32_e32 v32, 7, v32
	v_and_b32_e32 v34, 0x8000, v34
	v_and_b32_e32 v33, 0xfc00, v33
	v_or3_b32 v32, v34, v33, v32
.LBB240_55:                             ;   in Loop: Header=BB240_12 Depth=1
	s_or_b32 exec_lo, exec_lo, s43
.LBB240_56:                             ;   in Loop: Header=BB240_12 Depth=1
	s_or_b32 exec_lo, exec_lo, s42
.LBB240_57:                             ;   in Loop: Header=BB240_12 Depth=1
	s_or_b32 exec_lo, exec_lo, s41
	v_lshrrev_b16 v1, 8, v1
	s_mov_b32 s41, exec_lo
	v_cmpx_ne_u16_e32 0, v1
	s_cbranch_execz .LBB240_65
; %bb.58:                               ;   in Loop: Header=BB240_12 Depth=1
	v_bfrev_b32_e32 v31, 1
	s_mov_b32 s42, exec_lo
	v_cmpx_ne_u16_e32 0x80, v1
	s_cbranch_execz .LBB240_64
; %bb.59:                               ;   in Loop: Header=BB240_12 Depth=1
	v_and_b32_sdwa v34, v1, v19 dst_sel:DWORD dst_unused:UNUSED_PAD src0_sel:WORD_0 src1_sel:DWORD
	v_mov_b32_e32 v31, 0x7c010000
	s_mov_b32 s43, exec_lo
	v_cmpx_ne_u32_e32 0x7f, v34
	s_cbranch_execz .LBB240_63
; %bb.60:                               ;   in Loop: Header=BB240_12 Depth=1
	v_and_b32_sdwa v31, v1, v20 dst_sel:DWORD dst_unused:UNUSED_PAD src0_sel:WORD_0 src1_sel:DWORD
	v_lshrrev_b32_e32 v33, 3, v34
	s_mov_b32 s44, exec_lo
	v_cmpx_gt_u32_e32 8, v34
; %bb.61:                               ;   in Loop: Header=BB240_12 Depth=1
	v_ffbh_u32_e32 v31, v31
	v_min_u32_e32 v31, 32, v31
	v_subrev_nc_u32_e32 v33, 28, v31
	v_lshlrev_b64 v[34:35], v33, v[1:2]
	v_sub_nc_u32_e32 v33, 29, v31
	v_and_b32_e32 v31, 7, v34
; %bb.62:                               ;   in Loop: Header=BB240_12 Depth=1
	s_or_b32 exec_lo, exec_lo, s44
	v_lshlrev_b32_sdwa v1, v21, v1 dst_sel:DWORD dst_unused:UNUSED_PAD src0_sel:DWORD src1_sel:WORD_0
	v_lshl_add_u32 v33, v33, 10, 0x2000
	v_lshlrev_b32_e32 v31, 23, v31
	v_and_or_b32 v1, 0x8000, v1, v33
	v_lshl_or_b32 v31, v1, 16, v31
.LBB240_63:                             ;   in Loop: Header=BB240_12 Depth=1
	s_or_b32 exec_lo, exec_lo, s43
.LBB240_64:                             ;   in Loop: Header=BB240_12 Depth=1
	s_or_b32 exec_lo, exec_lo, s42
.LBB240_65:                             ;   in Loop: Header=BB240_12 Depth=1
	s_or_b32 exec_lo, exec_lo, s41
	global_load_ushort v34, v[7:8], off offset:136
	v_mov_b32_e32 v33, 0
	s_waitcnt vmcnt(0)
	v_and_b32_e32 v1, 0xffff, v34
	v_cmp_ne_u16_sdwa s3, v34, v2 src0_sel:BYTE_0 src1_sel:DWORD
	v_mov_b32_e32 v34, 0
	s_and_saveexec_b32 s41, s3
	s_cbranch_execz .LBB240_73
; %bb.66:                               ;   in Loop: Header=BB240_12 Depth=1
	v_cmp_ne_u16_sdwa s3, v1, v18 src0_sel:BYTE_0 src1_sel:DWORD
	v_mov_b32_e32 v34, 0x8000
	s_and_saveexec_b32 s42, s3
	s_cbranch_execz .LBB240_72
; %bb.67:                               ;   in Loop: Header=BB240_12 Depth=1
	v_and_b32_e32 v36, 0x7f, v1
	v_mov_b32_e32 v34, 0x7c01
	s_mov_b32 s43, exec_lo
	v_cmpx_ne_u32_e32 0x7f, v36
	s_cbranch_execz .LBB240_71
; %bb.68:                               ;   in Loop: Header=BB240_12 Depth=1
	v_and_b32_e32 v34, 7, v1
	v_lshrrev_b32_e32 v35, 3, v36
	s_mov_b32 s44, exec_lo
	v_cmpx_gt_u32_e32 8, v36
; %bb.69:                               ;   in Loop: Header=BB240_12 Depth=1
	v_ffbh_u32_e32 v34, v34
	v_min_u32_e32 v36, 32, v34
	v_subrev_nc_u32_e32 v34, 28, v36
	v_lshlrev_b64 v[34:35], v34, v[1:2]
	v_sub_nc_u32_e32 v35, 29, v36
	v_and_b32_e32 v34, 7, v34
; %bb.70:                               ;   in Loop: Header=BB240_12 Depth=1
	s_or_b32 exec_lo, exec_lo, s44
	v_lshlrev_b32_e32 v36, 8, v1
	v_lshl_add_u32 v35, v35, 10, 0x2000
	v_lshlrev_b32_e32 v34, 7, v34
	v_and_b32_e32 v36, 0x8000, v36
	v_and_b32_e32 v35, 0xfc00, v35
	v_or3_b32 v34, v36, v35, v34
.LBB240_71:                             ;   in Loop: Header=BB240_12 Depth=1
	s_or_b32 exec_lo, exec_lo, s43
.LBB240_72:                             ;   in Loop: Header=BB240_12 Depth=1
	s_or_b32 exec_lo, exec_lo, s42
.LBB240_73:                             ;   in Loop: Header=BB240_12 Depth=1
	s_or_b32 exec_lo, exec_lo, s41
	v_lshrrev_b16 v1, 8, v1
	s_mov_b32 s41, exec_lo
	v_cmpx_ne_u16_e32 0, v1
	s_cbranch_execz .LBB240_81
; %bb.74:                               ;   in Loop: Header=BB240_12 Depth=1
	v_bfrev_b32_e32 v33, 1
	s_mov_b32 s42, exec_lo
	v_cmpx_ne_u16_e32 0x80, v1
	s_cbranch_execz .LBB240_80
; %bb.75:                               ;   in Loop: Header=BB240_12 Depth=1
	v_and_b32_sdwa v36, v1, v19 dst_sel:DWORD dst_unused:UNUSED_PAD src0_sel:WORD_0 src1_sel:DWORD
	v_mov_b32_e32 v33, 0x7c010000
	s_mov_b32 s43, exec_lo
	v_cmpx_ne_u32_e32 0x7f, v36
	s_cbranch_execz .LBB240_79
; %bb.76:                               ;   in Loop: Header=BB240_12 Depth=1
	v_and_b32_sdwa v33, v1, v20 dst_sel:DWORD dst_unused:UNUSED_PAD src0_sel:WORD_0 src1_sel:DWORD
	v_lshrrev_b32_e32 v35, 3, v36
	s_mov_b32 s44, exec_lo
	v_cmpx_gt_u32_e32 8, v36
; %bb.77:                               ;   in Loop: Header=BB240_12 Depth=1
	v_ffbh_u32_e32 v33, v33
	v_min_u32_e32 v33, 32, v33
	v_subrev_nc_u32_e32 v35, 28, v33
	v_lshlrev_b64 v[36:37], v35, v[1:2]
	v_sub_nc_u32_e32 v35, 29, v33
	v_and_b32_e32 v33, 7, v36
; %bb.78:                               ;   in Loop: Header=BB240_12 Depth=1
	s_or_b32 exec_lo, exec_lo, s44
	v_lshlrev_b32_sdwa v1, v21, v1 dst_sel:DWORD dst_unused:UNUSED_PAD src0_sel:DWORD src1_sel:WORD_0
	v_lshl_add_u32 v35, v35, 10, 0x2000
	v_lshlrev_b32_e32 v33, 23, v33
	v_and_or_b32 v1, 0x8000, v1, v35
	v_lshl_or_b32 v33, v1, 16, v33
.LBB240_79:                             ;   in Loop: Header=BB240_12 Depth=1
	s_or_b32 exec_lo, exec_lo, s43
.LBB240_80:                             ;   in Loop: Header=BB240_12 Depth=1
	s_or_b32 exec_lo, exec_lo, s42
.LBB240_81:                             ;   in Loop: Header=BB240_12 Depth=1
	s_or_b32 exec_lo, exec_lo, s41
	global_load_ushort v36, v[7:8], off offset:256
	v_mov_b32_e32 v35, 0
	s_waitcnt vmcnt(0)
	v_and_b32_e32 v1, 0xffff, v36
	v_cmp_ne_u16_sdwa s3, v36, v2 src0_sel:BYTE_0 src1_sel:DWORD
	v_mov_b32_e32 v36, 0
	s_and_saveexec_b32 s41, s3
	s_cbranch_execz .LBB240_89
; %bb.82:                               ;   in Loop: Header=BB240_12 Depth=1
	v_cmp_ne_u16_sdwa s3, v1, v18 src0_sel:BYTE_0 src1_sel:DWORD
	v_mov_b32_e32 v36, 0x8000
	s_and_saveexec_b32 s42, s3
	s_cbranch_execz .LBB240_88
; %bb.83:                               ;   in Loop: Header=BB240_12 Depth=1
	v_and_b32_e32 v38, 0x7f, v1
	v_mov_b32_e32 v36, 0x7c01
	s_mov_b32 s43, exec_lo
	v_cmpx_ne_u32_e32 0x7f, v38
	s_cbranch_execz .LBB240_87
; %bb.84:                               ;   in Loop: Header=BB240_12 Depth=1
	v_and_b32_e32 v36, 7, v1
	v_lshrrev_b32_e32 v37, 3, v38
	s_mov_b32 s44, exec_lo
	v_cmpx_gt_u32_e32 8, v38
; %bb.85:                               ;   in Loop: Header=BB240_12 Depth=1
	v_ffbh_u32_e32 v36, v36
	v_min_u32_e32 v38, 32, v36
	v_subrev_nc_u32_e32 v36, 28, v38
	v_lshlrev_b64 v[36:37], v36, v[1:2]
	v_sub_nc_u32_e32 v37, 29, v38
	v_and_b32_e32 v36, 7, v36
; %bb.86:                               ;   in Loop: Header=BB240_12 Depth=1
	s_or_b32 exec_lo, exec_lo, s44
	v_lshlrev_b32_e32 v38, 8, v1
	v_lshl_add_u32 v37, v37, 10, 0x2000
	v_lshlrev_b32_e32 v36, 7, v36
	v_and_b32_e32 v38, 0x8000, v38
	v_and_b32_e32 v37, 0xfc00, v37
	v_or3_b32 v36, v38, v37, v36
.LBB240_87:                             ;   in Loop: Header=BB240_12 Depth=1
	s_or_b32 exec_lo, exec_lo, s43
.LBB240_88:                             ;   in Loop: Header=BB240_12 Depth=1
	s_or_b32 exec_lo, exec_lo, s42
.LBB240_89:                             ;   in Loop: Header=BB240_12 Depth=1
	s_or_b32 exec_lo, exec_lo, s41
	v_lshrrev_b16 v1, 8, v1
	s_mov_b32 s41, exec_lo
	v_cmpx_ne_u16_e32 0, v1
	s_cbranch_execz .LBB240_97
; %bb.90:                               ;   in Loop: Header=BB240_12 Depth=1
	v_bfrev_b32_e32 v35, 1
	s_mov_b32 s42, exec_lo
	v_cmpx_ne_u16_e32 0x80, v1
	s_cbranch_execz .LBB240_96
; %bb.91:                               ;   in Loop: Header=BB240_12 Depth=1
	v_and_b32_sdwa v38, v1, v19 dst_sel:DWORD dst_unused:UNUSED_PAD src0_sel:WORD_0 src1_sel:DWORD
	v_mov_b32_e32 v35, 0x7c010000
	s_mov_b32 s43, exec_lo
	v_cmpx_ne_u32_e32 0x7f, v38
	s_cbranch_execz .LBB240_95
; %bb.92:                               ;   in Loop: Header=BB240_12 Depth=1
	v_and_b32_sdwa v35, v1, v20 dst_sel:DWORD dst_unused:UNUSED_PAD src0_sel:WORD_0 src1_sel:DWORD
	v_lshrrev_b32_e32 v37, 3, v38
	s_mov_b32 s44, exec_lo
	v_cmpx_gt_u32_e32 8, v38
; %bb.93:                               ;   in Loop: Header=BB240_12 Depth=1
	v_ffbh_u32_e32 v35, v35
	v_min_u32_e32 v35, 32, v35
	v_subrev_nc_u32_e32 v37, 28, v35
	v_lshlrev_b64 v[38:39], v37, v[1:2]
	v_sub_nc_u32_e32 v37, 29, v35
	v_and_b32_e32 v35, 7, v38
; %bb.94:                               ;   in Loop: Header=BB240_12 Depth=1
	s_or_b32 exec_lo, exec_lo, s44
	v_lshlrev_b32_sdwa v1, v21, v1 dst_sel:DWORD dst_unused:UNUSED_PAD src0_sel:DWORD src1_sel:WORD_0
	v_lshl_add_u32 v37, v37, 10, 0x2000
	v_lshlrev_b32_e32 v35, 23, v35
	v_and_or_b32 v1, 0x8000, v1, v37
	v_lshl_or_b32 v35, v1, 16, v35
.LBB240_95:                             ;   in Loop: Header=BB240_12 Depth=1
	s_or_b32 exec_lo, exec_lo, s43
.LBB240_96:                             ;   in Loop: Header=BB240_12 Depth=1
	s_or_b32 exec_lo, exec_lo, s42
.LBB240_97:                             ;   in Loop: Header=BB240_12 Depth=1
	s_or_b32 exec_lo, exec_lo, s41
	global_load_ushort v38, v[7:8], off offset:264
	v_mov_b32_e32 v37, 0
	s_waitcnt vmcnt(0)
	v_and_b32_e32 v1, 0xffff, v38
	v_cmp_ne_u16_sdwa s3, v38, v2 src0_sel:BYTE_0 src1_sel:DWORD
	v_mov_b32_e32 v38, 0
	s_and_saveexec_b32 s41, s3
	s_cbranch_execz .LBB240_105
; %bb.98:                               ;   in Loop: Header=BB240_12 Depth=1
	v_cmp_ne_u16_sdwa s3, v1, v18 src0_sel:BYTE_0 src1_sel:DWORD
	v_mov_b32_e32 v38, 0x8000
	s_and_saveexec_b32 s42, s3
	s_cbranch_execz .LBB240_104
; %bb.99:                               ;   in Loop: Header=BB240_12 Depth=1
	v_and_b32_e32 v40, 0x7f, v1
	v_mov_b32_e32 v38, 0x7c01
	s_mov_b32 s43, exec_lo
	v_cmpx_ne_u32_e32 0x7f, v40
	s_cbranch_execz .LBB240_103
; %bb.100:                              ;   in Loop: Header=BB240_12 Depth=1
	v_and_b32_e32 v38, 7, v1
	v_lshrrev_b32_e32 v39, 3, v40
	s_mov_b32 s44, exec_lo
	v_cmpx_gt_u32_e32 8, v40
; %bb.101:                              ;   in Loop: Header=BB240_12 Depth=1
	v_ffbh_u32_e32 v38, v38
	v_min_u32_e32 v40, 32, v38
	v_subrev_nc_u32_e32 v38, 28, v40
	v_lshlrev_b64 v[38:39], v38, v[1:2]
	v_sub_nc_u32_e32 v39, 29, v40
	v_and_b32_e32 v38, 7, v38
; %bb.102:                              ;   in Loop: Header=BB240_12 Depth=1
	s_or_b32 exec_lo, exec_lo, s44
	v_lshlrev_b32_e32 v40, 8, v1
	v_lshl_add_u32 v39, v39, 10, 0x2000
	v_lshlrev_b32_e32 v38, 7, v38
	v_and_b32_e32 v40, 0x8000, v40
	v_and_b32_e32 v39, 0xfc00, v39
	v_or3_b32 v38, v40, v39, v38
.LBB240_103:                            ;   in Loop: Header=BB240_12 Depth=1
	s_or_b32 exec_lo, exec_lo, s43
.LBB240_104:                            ;   in Loop: Header=BB240_12 Depth=1
	s_or_b32 exec_lo, exec_lo, s42
.LBB240_105:                            ;   in Loop: Header=BB240_12 Depth=1
	s_or_b32 exec_lo, exec_lo, s41
	v_lshrrev_b16 v1, 8, v1
	s_mov_b32 s41, exec_lo
	v_cmpx_ne_u16_e32 0, v1
	s_cbranch_execz .LBB240_113
; %bb.106:                              ;   in Loop: Header=BB240_12 Depth=1
	v_bfrev_b32_e32 v37, 1
	s_mov_b32 s42, exec_lo
	v_cmpx_ne_u16_e32 0x80, v1
	s_cbranch_execz .LBB240_112
; %bb.107:                              ;   in Loop: Header=BB240_12 Depth=1
	v_and_b32_sdwa v40, v1, v19 dst_sel:DWORD dst_unused:UNUSED_PAD src0_sel:WORD_0 src1_sel:DWORD
	v_mov_b32_e32 v37, 0x7c010000
	s_mov_b32 s43, exec_lo
	v_cmpx_ne_u32_e32 0x7f, v40
	s_cbranch_execz .LBB240_111
; %bb.108:                              ;   in Loop: Header=BB240_12 Depth=1
	v_and_b32_sdwa v37, v1, v20 dst_sel:DWORD dst_unused:UNUSED_PAD src0_sel:WORD_0 src1_sel:DWORD
	v_lshrrev_b32_e32 v39, 3, v40
	s_mov_b32 s44, exec_lo
	v_cmpx_gt_u32_e32 8, v40
; %bb.109:                              ;   in Loop: Header=BB240_12 Depth=1
	v_ffbh_u32_e32 v37, v37
	v_min_u32_e32 v37, 32, v37
	v_subrev_nc_u32_e32 v39, 28, v37
	v_lshlrev_b64 v[40:41], v39, v[1:2]
	v_sub_nc_u32_e32 v39, 29, v37
	v_and_b32_e32 v37, 7, v40
; %bb.110:                              ;   in Loop: Header=BB240_12 Depth=1
	s_or_b32 exec_lo, exec_lo, s44
	v_lshlrev_b32_sdwa v1, v21, v1 dst_sel:DWORD dst_unused:UNUSED_PAD src0_sel:DWORD src1_sel:WORD_0
	v_lshl_add_u32 v39, v39, 10, 0x2000
	v_lshlrev_b32_e32 v37, 23, v37
	v_and_or_b32 v1, 0x8000, v1, v39
	v_lshl_or_b32 v37, v1, 16, v37
.LBB240_111:                            ;   in Loop: Header=BB240_12 Depth=1
	s_or_b32 exec_lo, exec_lo, s43
.LBB240_112:                            ;   in Loop: Header=BB240_12 Depth=1
	s_or_b32 exec_lo, exec_lo, s42
.LBB240_113:                            ;   in Loop: Header=BB240_12 Depth=1
	s_or_b32 exec_lo, exec_lo, s41
	global_load_ushort v40, v[7:8], off offset:384
	v_mov_b32_e32 v39, 0
	s_waitcnt vmcnt(0)
	v_and_b32_e32 v1, 0xffff, v40
	v_cmp_ne_u16_sdwa s3, v40, v2 src0_sel:BYTE_0 src1_sel:DWORD
	v_mov_b32_e32 v40, 0
	s_and_saveexec_b32 s41, s3
	s_cbranch_execz .LBB240_121
; %bb.114:                              ;   in Loop: Header=BB240_12 Depth=1
	v_cmp_ne_u16_sdwa s3, v1, v18 src0_sel:BYTE_0 src1_sel:DWORD
	v_mov_b32_e32 v40, 0x8000
	s_and_saveexec_b32 s42, s3
	s_cbranch_execz .LBB240_120
; %bb.115:                              ;   in Loop: Header=BB240_12 Depth=1
	v_and_b32_e32 v42, 0x7f, v1
	v_mov_b32_e32 v40, 0x7c01
	s_mov_b32 s43, exec_lo
	v_cmpx_ne_u32_e32 0x7f, v42
	s_cbranch_execz .LBB240_119
; %bb.116:                              ;   in Loop: Header=BB240_12 Depth=1
	v_and_b32_e32 v40, 7, v1
	v_lshrrev_b32_e32 v41, 3, v42
	s_mov_b32 s44, exec_lo
	v_cmpx_gt_u32_e32 8, v42
; %bb.117:                              ;   in Loop: Header=BB240_12 Depth=1
	v_ffbh_u32_e32 v40, v40
	v_min_u32_e32 v42, 32, v40
	v_subrev_nc_u32_e32 v40, 28, v42
	v_lshlrev_b64 v[40:41], v40, v[1:2]
	v_sub_nc_u32_e32 v41, 29, v42
	v_and_b32_e32 v40, 7, v40
; %bb.118:                              ;   in Loop: Header=BB240_12 Depth=1
	s_or_b32 exec_lo, exec_lo, s44
	v_lshlrev_b32_e32 v42, 8, v1
	v_lshl_add_u32 v41, v41, 10, 0x2000
	v_lshlrev_b32_e32 v40, 7, v40
	v_and_b32_e32 v42, 0x8000, v42
	v_and_b32_e32 v41, 0xfc00, v41
	v_or3_b32 v40, v42, v41, v40
.LBB240_119:                            ;   in Loop: Header=BB240_12 Depth=1
	s_or_b32 exec_lo, exec_lo, s43
.LBB240_120:                            ;   in Loop: Header=BB240_12 Depth=1
	s_or_b32 exec_lo, exec_lo, s42
.LBB240_121:                            ;   in Loop: Header=BB240_12 Depth=1
	s_or_b32 exec_lo, exec_lo, s41
	v_lshrrev_b16 v1, 8, v1
	s_mov_b32 s41, exec_lo
	v_cmpx_ne_u16_e32 0, v1
	s_cbranch_execz .LBB240_129
; %bb.122:                              ;   in Loop: Header=BB240_12 Depth=1
	v_bfrev_b32_e32 v39, 1
	s_mov_b32 s42, exec_lo
	v_cmpx_ne_u16_e32 0x80, v1
	s_cbranch_execz .LBB240_128
; %bb.123:                              ;   in Loop: Header=BB240_12 Depth=1
	v_and_b32_sdwa v42, v1, v19 dst_sel:DWORD dst_unused:UNUSED_PAD src0_sel:WORD_0 src1_sel:DWORD
	v_mov_b32_e32 v39, 0x7c010000
	s_mov_b32 s43, exec_lo
	v_cmpx_ne_u32_e32 0x7f, v42
	s_cbranch_execz .LBB240_127
; %bb.124:                              ;   in Loop: Header=BB240_12 Depth=1
	v_and_b32_sdwa v39, v1, v20 dst_sel:DWORD dst_unused:UNUSED_PAD src0_sel:WORD_0 src1_sel:DWORD
	v_lshrrev_b32_e32 v41, 3, v42
	s_mov_b32 s44, exec_lo
	v_cmpx_gt_u32_e32 8, v42
; %bb.125:                              ;   in Loop: Header=BB240_12 Depth=1
	v_ffbh_u32_e32 v39, v39
	v_min_u32_e32 v39, 32, v39
	v_subrev_nc_u32_e32 v41, 28, v39
	v_lshlrev_b64 v[42:43], v41, v[1:2]
	v_sub_nc_u32_e32 v41, 29, v39
	v_and_b32_e32 v39, 7, v42
; %bb.126:                              ;   in Loop: Header=BB240_12 Depth=1
	s_or_b32 exec_lo, exec_lo, s44
	v_lshlrev_b32_sdwa v1, v21, v1 dst_sel:DWORD dst_unused:UNUSED_PAD src0_sel:DWORD src1_sel:WORD_0
	v_lshl_add_u32 v41, v41, 10, 0x2000
	v_lshlrev_b32_e32 v39, 23, v39
	v_and_or_b32 v1, 0x8000, v1, v41
	v_lshl_or_b32 v39, v1, 16, v39
.LBB240_127:                            ;   in Loop: Header=BB240_12 Depth=1
	s_or_b32 exec_lo, exec_lo, s43
.LBB240_128:                            ;   in Loop: Header=BB240_12 Depth=1
	s_or_b32 exec_lo, exec_lo, s42
.LBB240_129:                            ;   in Loop: Header=BB240_12 Depth=1
	s_or_b32 exec_lo, exec_lo, s41
	global_load_ushort v42, v[7:8], off offset:392
	v_mov_b32_e32 v41, 0
	s_waitcnt vmcnt(0)
	v_and_b32_e32 v1, 0xffff, v42
	v_cmp_ne_u16_sdwa s3, v42, v2 src0_sel:BYTE_0 src1_sel:DWORD
	v_mov_b32_e32 v42, 0
	s_and_saveexec_b32 s41, s3
	s_cbranch_execz .LBB240_137
; %bb.130:                              ;   in Loop: Header=BB240_12 Depth=1
	v_cmp_ne_u16_sdwa s3, v1, v18 src0_sel:BYTE_0 src1_sel:DWORD
	v_mov_b32_e32 v42, 0x8000
	s_and_saveexec_b32 s42, s3
	s_cbranch_execz .LBB240_136
; %bb.131:                              ;   in Loop: Header=BB240_12 Depth=1
	v_and_b32_e32 v44, 0x7f, v1
	v_mov_b32_e32 v42, 0x7c01
	s_mov_b32 s43, exec_lo
	v_cmpx_ne_u32_e32 0x7f, v44
	s_cbranch_execz .LBB240_135
; %bb.132:                              ;   in Loop: Header=BB240_12 Depth=1
	v_and_b32_e32 v42, 7, v1
	v_lshrrev_b32_e32 v43, 3, v44
	s_mov_b32 s44, exec_lo
	v_cmpx_gt_u32_e32 8, v44
; %bb.133:                              ;   in Loop: Header=BB240_12 Depth=1
	v_ffbh_u32_e32 v42, v42
	v_min_u32_e32 v44, 32, v42
	v_subrev_nc_u32_e32 v42, 28, v44
	v_lshlrev_b64 v[42:43], v42, v[1:2]
	v_sub_nc_u32_e32 v43, 29, v44
	v_and_b32_e32 v42, 7, v42
; %bb.134:                              ;   in Loop: Header=BB240_12 Depth=1
	s_or_b32 exec_lo, exec_lo, s44
	v_lshlrev_b32_e32 v44, 8, v1
	v_lshl_add_u32 v43, v43, 10, 0x2000
	v_lshlrev_b32_e32 v42, 7, v42
	v_and_b32_e32 v44, 0x8000, v44
	v_and_b32_e32 v43, 0xfc00, v43
	v_or3_b32 v42, v44, v43, v42
.LBB240_135:                            ;   in Loop: Header=BB240_12 Depth=1
	s_or_b32 exec_lo, exec_lo, s43
.LBB240_136:                            ;   in Loop: Header=BB240_12 Depth=1
	s_or_b32 exec_lo, exec_lo, s42
.LBB240_137:                            ;   in Loop: Header=BB240_12 Depth=1
	s_or_b32 exec_lo, exec_lo, s41
	v_lshrrev_b16 v1, 8, v1
	s_mov_b32 s41, exec_lo
	v_cmpx_ne_u16_e32 0, v1
	s_cbranch_execz .LBB240_145
; %bb.138:                              ;   in Loop: Header=BB240_12 Depth=1
	v_bfrev_b32_e32 v41, 1
	s_mov_b32 s42, exec_lo
	v_cmpx_ne_u16_e32 0x80, v1
	s_cbranch_execz .LBB240_144
; %bb.139:                              ;   in Loop: Header=BB240_12 Depth=1
	v_and_b32_sdwa v44, v1, v19 dst_sel:DWORD dst_unused:UNUSED_PAD src0_sel:WORD_0 src1_sel:DWORD
	v_mov_b32_e32 v41, 0x7c010000
	s_mov_b32 s43, exec_lo
	v_cmpx_ne_u32_e32 0x7f, v44
	s_cbranch_execz .LBB240_143
; %bb.140:                              ;   in Loop: Header=BB240_12 Depth=1
	v_and_b32_sdwa v41, v1, v20 dst_sel:DWORD dst_unused:UNUSED_PAD src0_sel:WORD_0 src1_sel:DWORD
	v_lshrrev_b32_e32 v43, 3, v44
	s_mov_b32 s44, exec_lo
	v_cmpx_gt_u32_e32 8, v44
; %bb.141:                              ;   in Loop: Header=BB240_12 Depth=1
	v_ffbh_u32_e32 v41, v41
	v_min_u32_e32 v41, 32, v41
	v_subrev_nc_u32_e32 v43, 28, v41
	v_lshlrev_b64 v[44:45], v43, v[1:2]
	v_sub_nc_u32_e32 v43, 29, v41
	v_and_b32_e32 v41, 7, v44
; %bb.142:                              ;   in Loop: Header=BB240_12 Depth=1
	s_or_b32 exec_lo, exec_lo, s44
	v_lshlrev_b32_sdwa v1, v21, v1 dst_sel:DWORD dst_unused:UNUSED_PAD src0_sel:DWORD src1_sel:WORD_0
	v_lshl_add_u32 v43, v43, 10, 0x2000
	v_lshlrev_b32_e32 v41, 23, v41
	v_and_or_b32 v1, 0x8000, v1, v43
	v_lshl_or_b32 v41, v1, 16, v41
.LBB240_143:                            ;   in Loop: Header=BB240_12 Depth=1
	s_or_b32 exec_lo, exec_lo, s43
.LBB240_144:                            ;   in Loop: Header=BB240_12 Depth=1
	s_or_b32 exec_lo, exec_lo, s42
.LBB240_145:                            ;   in Loop: Header=BB240_12 Depth=1
	s_or_b32 exec_lo, exec_lo, s41
	global_load_ushort v44, v[7:8], off offset:512
	v_mov_b32_e32 v43, 0
	s_waitcnt vmcnt(0)
	v_and_b32_e32 v1, 0xffff, v44
	v_cmp_ne_u16_sdwa s3, v44, v2 src0_sel:BYTE_0 src1_sel:DWORD
	v_mov_b32_e32 v44, 0
	s_and_saveexec_b32 s41, s3
	s_cbranch_execz .LBB240_153
; %bb.146:                              ;   in Loop: Header=BB240_12 Depth=1
	v_cmp_ne_u16_sdwa s3, v1, v18 src0_sel:BYTE_0 src1_sel:DWORD
	v_mov_b32_e32 v44, 0x8000
	s_and_saveexec_b32 s42, s3
	s_cbranch_execz .LBB240_152
; %bb.147:                              ;   in Loop: Header=BB240_12 Depth=1
	v_and_b32_e32 v46, 0x7f, v1
	v_mov_b32_e32 v44, 0x7c01
	s_mov_b32 s43, exec_lo
	v_cmpx_ne_u32_e32 0x7f, v46
	s_cbranch_execz .LBB240_151
; %bb.148:                              ;   in Loop: Header=BB240_12 Depth=1
	v_and_b32_e32 v44, 7, v1
	v_lshrrev_b32_e32 v45, 3, v46
	s_mov_b32 s44, exec_lo
	v_cmpx_gt_u32_e32 8, v46
; %bb.149:                              ;   in Loop: Header=BB240_12 Depth=1
	v_ffbh_u32_e32 v44, v44
	v_min_u32_e32 v46, 32, v44
	v_subrev_nc_u32_e32 v44, 28, v46
	v_lshlrev_b64 v[44:45], v44, v[1:2]
	v_sub_nc_u32_e32 v45, 29, v46
	v_and_b32_e32 v44, 7, v44
; %bb.150:                              ;   in Loop: Header=BB240_12 Depth=1
	s_or_b32 exec_lo, exec_lo, s44
	v_lshlrev_b32_e32 v46, 8, v1
	v_lshl_add_u32 v45, v45, 10, 0x2000
	v_lshlrev_b32_e32 v44, 7, v44
	v_and_b32_e32 v46, 0x8000, v46
	v_and_b32_e32 v45, 0xfc00, v45
	v_or3_b32 v44, v46, v45, v44
.LBB240_151:                            ;   in Loop: Header=BB240_12 Depth=1
	s_or_b32 exec_lo, exec_lo, s43
.LBB240_152:                            ;   in Loop: Header=BB240_12 Depth=1
	s_or_b32 exec_lo, exec_lo, s42
.LBB240_153:                            ;   in Loop: Header=BB240_12 Depth=1
	s_or_b32 exec_lo, exec_lo, s41
	v_lshrrev_b16 v1, 8, v1
	s_mov_b32 s41, exec_lo
	v_cmpx_ne_u16_e32 0, v1
	s_cbranch_execz .LBB240_161
; %bb.154:                              ;   in Loop: Header=BB240_12 Depth=1
	v_bfrev_b32_e32 v43, 1
	s_mov_b32 s42, exec_lo
	v_cmpx_ne_u16_e32 0x80, v1
	s_cbranch_execz .LBB240_160
; %bb.155:                              ;   in Loop: Header=BB240_12 Depth=1
	v_and_b32_sdwa v46, v1, v19 dst_sel:DWORD dst_unused:UNUSED_PAD src0_sel:WORD_0 src1_sel:DWORD
	v_mov_b32_e32 v43, 0x7c010000
	s_mov_b32 s43, exec_lo
	v_cmpx_ne_u32_e32 0x7f, v46
	s_cbranch_execz .LBB240_159
; %bb.156:                              ;   in Loop: Header=BB240_12 Depth=1
	v_and_b32_sdwa v43, v1, v20 dst_sel:DWORD dst_unused:UNUSED_PAD src0_sel:WORD_0 src1_sel:DWORD
	v_lshrrev_b32_e32 v45, 3, v46
	s_mov_b32 s44, exec_lo
	v_cmpx_gt_u32_e32 8, v46
; %bb.157:                              ;   in Loop: Header=BB240_12 Depth=1
	v_ffbh_u32_e32 v43, v43
	v_min_u32_e32 v43, 32, v43
	v_subrev_nc_u32_e32 v45, 28, v43
	v_lshlrev_b64 v[46:47], v45, v[1:2]
	v_sub_nc_u32_e32 v45, 29, v43
	v_and_b32_e32 v43, 7, v46
; %bb.158:                              ;   in Loop: Header=BB240_12 Depth=1
	s_or_b32 exec_lo, exec_lo, s44
	v_lshlrev_b32_sdwa v1, v21, v1 dst_sel:DWORD dst_unused:UNUSED_PAD src0_sel:DWORD src1_sel:WORD_0
	v_lshl_add_u32 v45, v45, 10, 0x2000
	v_lshlrev_b32_e32 v43, 23, v43
	v_and_or_b32 v1, 0x8000, v1, v45
	v_lshl_or_b32 v43, v1, 16, v43
.LBB240_159:                            ;   in Loop: Header=BB240_12 Depth=1
	s_or_b32 exec_lo, exec_lo, s43
.LBB240_160:                            ;   in Loop: Header=BB240_12 Depth=1
	s_or_b32 exec_lo, exec_lo, s42
.LBB240_161:                            ;   in Loop: Header=BB240_12 Depth=1
	s_or_b32 exec_lo, exec_lo, s41
	global_load_ushort v46, v[7:8], off offset:520
	v_mov_b32_e32 v45, 0
	s_waitcnt vmcnt(0)
	v_and_b32_e32 v1, 0xffff, v46
	v_cmp_ne_u16_sdwa s3, v46, v2 src0_sel:BYTE_0 src1_sel:DWORD
	v_mov_b32_e32 v46, 0
	s_and_saveexec_b32 s41, s3
	s_cbranch_execz .LBB240_169
; %bb.162:                              ;   in Loop: Header=BB240_12 Depth=1
	v_cmp_ne_u16_sdwa s3, v1, v18 src0_sel:BYTE_0 src1_sel:DWORD
	v_mov_b32_e32 v46, 0x8000
	s_and_saveexec_b32 s42, s3
	s_cbranch_execz .LBB240_168
; %bb.163:                              ;   in Loop: Header=BB240_12 Depth=1
	v_and_b32_e32 v48, 0x7f, v1
	v_mov_b32_e32 v46, 0x7c01
	s_mov_b32 s43, exec_lo
	v_cmpx_ne_u32_e32 0x7f, v48
	s_cbranch_execz .LBB240_167
; %bb.164:                              ;   in Loop: Header=BB240_12 Depth=1
	v_and_b32_e32 v46, 7, v1
	v_lshrrev_b32_e32 v47, 3, v48
	s_mov_b32 s44, exec_lo
	v_cmpx_gt_u32_e32 8, v48
; %bb.165:                              ;   in Loop: Header=BB240_12 Depth=1
	v_ffbh_u32_e32 v46, v46
	v_min_u32_e32 v48, 32, v46
	v_subrev_nc_u32_e32 v46, 28, v48
	v_lshlrev_b64 v[46:47], v46, v[1:2]
	v_sub_nc_u32_e32 v47, 29, v48
	v_and_b32_e32 v46, 7, v46
; %bb.166:                              ;   in Loop: Header=BB240_12 Depth=1
	s_or_b32 exec_lo, exec_lo, s44
	v_lshlrev_b32_e32 v48, 8, v1
	v_lshl_add_u32 v47, v47, 10, 0x2000
	v_lshlrev_b32_e32 v46, 7, v46
	v_and_b32_e32 v48, 0x8000, v48
	v_and_b32_e32 v47, 0xfc00, v47
	v_or3_b32 v46, v48, v47, v46
.LBB240_167:                            ;   in Loop: Header=BB240_12 Depth=1
	s_or_b32 exec_lo, exec_lo, s43
.LBB240_168:                            ;   in Loop: Header=BB240_12 Depth=1
	s_or_b32 exec_lo, exec_lo, s42
.LBB240_169:                            ;   in Loop: Header=BB240_12 Depth=1
	s_or_b32 exec_lo, exec_lo, s41
	v_lshrrev_b16 v1, 8, v1
	s_mov_b32 s41, exec_lo
	v_cmpx_ne_u16_e32 0, v1
	s_cbranch_execz .LBB240_177
; %bb.170:                              ;   in Loop: Header=BB240_12 Depth=1
	v_bfrev_b32_e32 v45, 1
	s_mov_b32 s42, exec_lo
	v_cmpx_ne_u16_e32 0x80, v1
	s_cbranch_execz .LBB240_176
; %bb.171:                              ;   in Loop: Header=BB240_12 Depth=1
	v_and_b32_sdwa v48, v1, v19 dst_sel:DWORD dst_unused:UNUSED_PAD src0_sel:WORD_0 src1_sel:DWORD
	v_mov_b32_e32 v45, 0x7c010000
	s_mov_b32 s43, exec_lo
	v_cmpx_ne_u32_e32 0x7f, v48
	s_cbranch_execz .LBB240_175
; %bb.172:                              ;   in Loop: Header=BB240_12 Depth=1
	v_and_b32_sdwa v45, v1, v20 dst_sel:DWORD dst_unused:UNUSED_PAD src0_sel:WORD_0 src1_sel:DWORD
	v_lshrrev_b32_e32 v47, 3, v48
	s_mov_b32 s44, exec_lo
	v_cmpx_gt_u32_e32 8, v48
; %bb.173:                              ;   in Loop: Header=BB240_12 Depth=1
	v_ffbh_u32_e32 v45, v45
	v_min_u32_e32 v45, 32, v45
	v_subrev_nc_u32_e32 v47, 28, v45
	v_lshlrev_b64 v[48:49], v47, v[1:2]
	v_sub_nc_u32_e32 v47, 29, v45
	v_and_b32_e32 v45, 7, v48
; %bb.174:                              ;   in Loop: Header=BB240_12 Depth=1
	s_or_b32 exec_lo, exec_lo, s44
	v_lshlrev_b32_sdwa v1, v21, v1 dst_sel:DWORD dst_unused:UNUSED_PAD src0_sel:DWORD src1_sel:WORD_0
	v_lshl_add_u32 v47, v47, 10, 0x2000
	v_lshlrev_b32_e32 v45, 23, v45
	v_and_or_b32 v1, 0x8000, v1, v47
	v_lshl_or_b32 v45, v1, 16, v45
.LBB240_175:                            ;   in Loop: Header=BB240_12 Depth=1
	s_or_b32 exec_lo, exec_lo, s43
.LBB240_176:                            ;   in Loop: Header=BB240_12 Depth=1
	s_or_b32 exec_lo, exec_lo, s42
.LBB240_177:                            ;   in Loop: Header=BB240_12 Depth=1
	s_or_b32 exec_lo, exec_lo, s41
	global_load_ushort v48, v[7:8], off offset:640
	v_mov_b32_e32 v47, 0
	s_waitcnt vmcnt(0)
	v_and_b32_e32 v1, 0xffff, v48
	v_cmp_ne_u16_sdwa s3, v48, v2 src0_sel:BYTE_0 src1_sel:DWORD
	v_mov_b32_e32 v48, 0
	s_and_saveexec_b32 s41, s3
	s_cbranch_execz .LBB240_185
; %bb.178:                              ;   in Loop: Header=BB240_12 Depth=1
	v_cmp_ne_u16_sdwa s3, v1, v18 src0_sel:BYTE_0 src1_sel:DWORD
	v_mov_b32_e32 v48, 0x8000
	s_and_saveexec_b32 s42, s3
	s_cbranch_execz .LBB240_184
; %bb.179:                              ;   in Loop: Header=BB240_12 Depth=1
	v_and_b32_e32 v50, 0x7f, v1
	v_mov_b32_e32 v48, 0x7c01
	s_mov_b32 s43, exec_lo
	v_cmpx_ne_u32_e32 0x7f, v50
	s_cbranch_execz .LBB240_183
; %bb.180:                              ;   in Loop: Header=BB240_12 Depth=1
	v_and_b32_e32 v48, 7, v1
	v_lshrrev_b32_e32 v49, 3, v50
	s_mov_b32 s44, exec_lo
	v_cmpx_gt_u32_e32 8, v50
; %bb.181:                              ;   in Loop: Header=BB240_12 Depth=1
	v_ffbh_u32_e32 v48, v48
	v_min_u32_e32 v50, 32, v48
	v_subrev_nc_u32_e32 v48, 28, v50
	v_lshlrev_b64 v[48:49], v48, v[1:2]
	v_sub_nc_u32_e32 v49, 29, v50
	v_and_b32_e32 v48, 7, v48
; %bb.182:                              ;   in Loop: Header=BB240_12 Depth=1
	s_or_b32 exec_lo, exec_lo, s44
	v_lshlrev_b32_e32 v50, 8, v1
	v_lshl_add_u32 v49, v49, 10, 0x2000
	v_lshlrev_b32_e32 v48, 7, v48
	v_and_b32_e32 v50, 0x8000, v50
	v_and_b32_e32 v49, 0xfc00, v49
	v_or3_b32 v48, v50, v49, v48
.LBB240_183:                            ;   in Loop: Header=BB240_12 Depth=1
	s_or_b32 exec_lo, exec_lo, s43
.LBB240_184:                            ;   in Loop: Header=BB240_12 Depth=1
	s_or_b32 exec_lo, exec_lo, s42
.LBB240_185:                            ;   in Loop: Header=BB240_12 Depth=1
	s_or_b32 exec_lo, exec_lo, s41
	v_lshrrev_b16 v1, 8, v1
	s_mov_b32 s41, exec_lo
	v_cmpx_ne_u16_e32 0, v1
	s_cbranch_execz .LBB240_193
; %bb.186:                              ;   in Loop: Header=BB240_12 Depth=1
	v_bfrev_b32_e32 v47, 1
	s_mov_b32 s42, exec_lo
	v_cmpx_ne_u16_e32 0x80, v1
	s_cbranch_execz .LBB240_192
; %bb.187:                              ;   in Loop: Header=BB240_12 Depth=1
	v_and_b32_sdwa v50, v1, v19 dst_sel:DWORD dst_unused:UNUSED_PAD src0_sel:WORD_0 src1_sel:DWORD
	v_mov_b32_e32 v47, 0x7c010000
	s_mov_b32 s43, exec_lo
	v_cmpx_ne_u32_e32 0x7f, v50
	s_cbranch_execz .LBB240_191
; %bb.188:                              ;   in Loop: Header=BB240_12 Depth=1
	v_and_b32_sdwa v47, v1, v20 dst_sel:DWORD dst_unused:UNUSED_PAD src0_sel:WORD_0 src1_sel:DWORD
	v_lshrrev_b32_e32 v49, 3, v50
	s_mov_b32 s44, exec_lo
	v_cmpx_gt_u32_e32 8, v50
; %bb.189:                              ;   in Loop: Header=BB240_12 Depth=1
	v_ffbh_u32_e32 v47, v47
	v_min_u32_e32 v47, 32, v47
	v_subrev_nc_u32_e32 v49, 28, v47
	v_lshlrev_b64 v[50:51], v49, v[1:2]
	v_sub_nc_u32_e32 v49, 29, v47
	v_and_b32_e32 v47, 7, v50
; %bb.190:                              ;   in Loop: Header=BB240_12 Depth=1
	s_or_b32 exec_lo, exec_lo, s44
	v_lshlrev_b32_sdwa v1, v21, v1 dst_sel:DWORD dst_unused:UNUSED_PAD src0_sel:DWORD src1_sel:WORD_0
	v_lshl_add_u32 v49, v49, 10, 0x2000
	v_lshlrev_b32_e32 v47, 23, v47
	v_and_or_b32 v1, 0x8000, v1, v49
	v_lshl_or_b32 v47, v1, 16, v47
.LBB240_191:                            ;   in Loop: Header=BB240_12 Depth=1
	s_or_b32 exec_lo, exec_lo, s43
.LBB240_192:                            ;   in Loop: Header=BB240_12 Depth=1
	s_or_b32 exec_lo, exec_lo, s42
.LBB240_193:                            ;   in Loop: Header=BB240_12 Depth=1
	s_or_b32 exec_lo, exec_lo, s41
	global_load_ushort v50, v[7:8], off offset:648
	v_mov_b32_e32 v49, 0
	s_waitcnt vmcnt(0)
	v_and_b32_e32 v1, 0xffff, v50
	v_cmp_ne_u16_sdwa s3, v50, v2 src0_sel:BYTE_0 src1_sel:DWORD
	v_mov_b32_e32 v50, 0
	s_and_saveexec_b32 s41, s3
	s_cbranch_execz .LBB240_201
; %bb.194:                              ;   in Loop: Header=BB240_12 Depth=1
	v_cmp_ne_u16_sdwa s3, v1, v18 src0_sel:BYTE_0 src1_sel:DWORD
	v_mov_b32_e32 v50, 0x8000
	s_and_saveexec_b32 s42, s3
	s_cbranch_execz .LBB240_200
; %bb.195:                              ;   in Loop: Header=BB240_12 Depth=1
	v_and_b32_e32 v52, 0x7f, v1
	v_mov_b32_e32 v50, 0x7c01
	s_mov_b32 s43, exec_lo
	v_cmpx_ne_u32_e32 0x7f, v52
	s_cbranch_execz .LBB240_199
; %bb.196:                              ;   in Loop: Header=BB240_12 Depth=1
	v_and_b32_e32 v50, 7, v1
	v_lshrrev_b32_e32 v51, 3, v52
	s_mov_b32 s44, exec_lo
	v_cmpx_gt_u32_e32 8, v52
; %bb.197:                              ;   in Loop: Header=BB240_12 Depth=1
	v_ffbh_u32_e32 v50, v50
	v_min_u32_e32 v52, 32, v50
	v_subrev_nc_u32_e32 v50, 28, v52
	v_lshlrev_b64 v[50:51], v50, v[1:2]
	v_sub_nc_u32_e32 v51, 29, v52
	v_and_b32_e32 v50, 7, v50
; %bb.198:                              ;   in Loop: Header=BB240_12 Depth=1
	s_or_b32 exec_lo, exec_lo, s44
	v_lshlrev_b32_e32 v52, 8, v1
	v_lshl_add_u32 v51, v51, 10, 0x2000
	v_lshlrev_b32_e32 v50, 7, v50
	v_and_b32_e32 v52, 0x8000, v52
	v_and_b32_e32 v51, 0xfc00, v51
	v_or3_b32 v50, v52, v51, v50
.LBB240_199:                            ;   in Loop: Header=BB240_12 Depth=1
	s_or_b32 exec_lo, exec_lo, s43
.LBB240_200:                            ;   in Loop: Header=BB240_12 Depth=1
	s_or_b32 exec_lo, exec_lo, s42
.LBB240_201:                            ;   in Loop: Header=BB240_12 Depth=1
	s_or_b32 exec_lo, exec_lo, s41
	v_lshrrev_b16 v1, 8, v1
	s_mov_b32 s41, exec_lo
	v_cmpx_ne_u16_e32 0, v1
	s_cbranch_execz .LBB240_209
; %bb.202:                              ;   in Loop: Header=BB240_12 Depth=1
	v_bfrev_b32_e32 v49, 1
	s_mov_b32 s42, exec_lo
	v_cmpx_ne_u16_e32 0x80, v1
	s_cbranch_execz .LBB240_208
; %bb.203:                              ;   in Loop: Header=BB240_12 Depth=1
	v_and_b32_sdwa v52, v1, v19 dst_sel:DWORD dst_unused:UNUSED_PAD src0_sel:WORD_0 src1_sel:DWORD
	v_mov_b32_e32 v49, 0x7c010000
	s_mov_b32 s43, exec_lo
	v_cmpx_ne_u32_e32 0x7f, v52
	s_cbranch_execz .LBB240_207
; %bb.204:                              ;   in Loop: Header=BB240_12 Depth=1
	v_and_b32_sdwa v49, v1, v20 dst_sel:DWORD dst_unused:UNUSED_PAD src0_sel:WORD_0 src1_sel:DWORD
	v_lshrrev_b32_e32 v51, 3, v52
	s_mov_b32 s44, exec_lo
	v_cmpx_gt_u32_e32 8, v52
; %bb.205:                              ;   in Loop: Header=BB240_12 Depth=1
	v_ffbh_u32_e32 v49, v49
	v_min_u32_e32 v49, 32, v49
	v_subrev_nc_u32_e32 v51, 28, v49
	v_lshlrev_b64 v[52:53], v51, v[1:2]
	v_sub_nc_u32_e32 v51, 29, v49
	v_and_b32_e32 v49, 7, v52
; %bb.206:                              ;   in Loop: Header=BB240_12 Depth=1
	s_or_b32 exec_lo, exec_lo, s44
	v_lshlrev_b32_sdwa v1, v21, v1 dst_sel:DWORD dst_unused:UNUSED_PAD src0_sel:DWORD src1_sel:WORD_0
	v_lshl_add_u32 v51, v51, 10, 0x2000
	v_lshlrev_b32_e32 v49, 23, v49
	v_and_or_b32 v1, 0x8000, v1, v51
	v_lshl_or_b32 v49, v1, 16, v49
.LBB240_207:                            ;   in Loop: Header=BB240_12 Depth=1
	s_or_b32 exec_lo, exec_lo, s43
.LBB240_208:                            ;   in Loop: Header=BB240_12 Depth=1
	s_or_b32 exec_lo, exec_lo, s42
.LBB240_209:                            ;   in Loop: Header=BB240_12 Depth=1
	s_or_b32 exec_lo, exec_lo, s41
	global_load_ushort v52, v[7:8], off offset:768
	v_mov_b32_e32 v51, 0
	s_waitcnt vmcnt(0)
	v_and_b32_e32 v1, 0xffff, v52
	v_cmp_ne_u16_sdwa s3, v52, v2 src0_sel:BYTE_0 src1_sel:DWORD
	v_mov_b32_e32 v52, 0
	s_and_saveexec_b32 s41, s3
	s_cbranch_execz .LBB240_217
; %bb.210:                              ;   in Loop: Header=BB240_12 Depth=1
	v_cmp_ne_u16_sdwa s3, v1, v18 src0_sel:BYTE_0 src1_sel:DWORD
	v_mov_b32_e32 v52, 0x8000
	s_and_saveexec_b32 s42, s3
	s_cbranch_execz .LBB240_216
; %bb.211:                              ;   in Loop: Header=BB240_12 Depth=1
	v_and_b32_e32 v54, 0x7f, v1
	v_mov_b32_e32 v52, 0x7c01
	s_mov_b32 s43, exec_lo
	v_cmpx_ne_u32_e32 0x7f, v54
	s_cbranch_execz .LBB240_215
; %bb.212:                              ;   in Loop: Header=BB240_12 Depth=1
	v_and_b32_e32 v52, 7, v1
	v_lshrrev_b32_e32 v53, 3, v54
	s_mov_b32 s44, exec_lo
	v_cmpx_gt_u32_e32 8, v54
; %bb.213:                              ;   in Loop: Header=BB240_12 Depth=1
	v_ffbh_u32_e32 v52, v52
	v_min_u32_e32 v54, 32, v52
	v_subrev_nc_u32_e32 v52, 28, v54
	v_lshlrev_b64 v[52:53], v52, v[1:2]
	v_sub_nc_u32_e32 v53, 29, v54
	v_and_b32_e32 v52, 7, v52
; %bb.214:                              ;   in Loop: Header=BB240_12 Depth=1
	s_or_b32 exec_lo, exec_lo, s44
	v_lshlrev_b32_e32 v54, 8, v1
	v_lshl_add_u32 v53, v53, 10, 0x2000
	v_lshlrev_b32_e32 v52, 7, v52
	v_and_b32_e32 v54, 0x8000, v54
	v_and_b32_e32 v53, 0xfc00, v53
	v_or3_b32 v52, v54, v53, v52
.LBB240_215:                            ;   in Loop: Header=BB240_12 Depth=1
	s_or_b32 exec_lo, exec_lo, s43
.LBB240_216:                            ;   in Loop: Header=BB240_12 Depth=1
	s_or_b32 exec_lo, exec_lo, s42
.LBB240_217:                            ;   in Loop: Header=BB240_12 Depth=1
	s_or_b32 exec_lo, exec_lo, s41
	v_lshrrev_b16 v1, 8, v1
	s_mov_b32 s41, exec_lo
	v_cmpx_ne_u16_e32 0, v1
	s_cbranch_execz .LBB240_225
; %bb.218:                              ;   in Loop: Header=BB240_12 Depth=1
	v_bfrev_b32_e32 v51, 1
	s_mov_b32 s42, exec_lo
	v_cmpx_ne_u16_e32 0x80, v1
	s_cbranch_execz .LBB240_224
; %bb.219:                              ;   in Loop: Header=BB240_12 Depth=1
	v_and_b32_sdwa v54, v1, v19 dst_sel:DWORD dst_unused:UNUSED_PAD src0_sel:WORD_0 src1_sel:DWORD
	v_mov_b32_e32 v51, 0x7c010000
	s_mov_b32 s43, exec_lo
	v_cmpx_ne_u32_e32 0x7f, v54
	s_cbranch_execz .LBB240_223
; %bb.220:                              ;   in Loop: Header=BB240_12 Depth=1
	v_and_b32_sdwa v51, v1, v20 dst_sel:DWORD dst_unused:UNUSED_PAD src0_sel:WORD_0 src1_sel:DWORD
	v_lshrrev_b32_e32 v53, 3, v54
	s_mov_b32 s44, exec_lo
	v_cmpx_gt_u32_e32 8, v54
; %bb.221:                              ;   in Loop: Header=BB240_12 Depth=1
	v_ffbh_u32_e32 v51, v51
	v_min_u32_e32 v51, 32, v51
	v_subrev_nc_u32_e32 v53, 28, v51
	v_lshlrev_b64 v[54:55], v53, v[1:2]
	v_sub_nc_u32_e32 v53, 29, v51
	v_and_b32_e32 v51, 7, v54
; %bb.222:                              ;   in Loop: Header=BB240_12 Depth=1
	s_or_b32 exec_lo, exec_lo, s44
	v_lshlrev_b32_sdwa v1, v21, v1 dst_sel:DWORD dst_unused:UNUSED_PAD src0_sel:DWORD src1_sel:WORD_0
	v_lshl_add_u32 v53, v53, 10, 0x2000
	v_lshlrev_b32_e32 v51, 23, v51
	v_and_or_b32 v1, 0x8000, v1, v53
	v_lshl_or_b32 v51, v1, 16, v51
.LBB240_223:                            ;   in Loop: Header=BB240_12 Depth=1
	s_or_b32 exec_lo, exec_lo, s43
.LBB240_224:                            ;   in Loop: Header=BB240_12 Depth=1
	s_or_b32 exec_lo, exec_lo, s42
.LBB240_225:                            ;   in Loop: Header=BB240_12 Depth=1
	s_or_b32 exec_lo, exec_lo, s41
	global_load_ushort v54, v[7:8], off offset:776
	v_mov_b32_e32 v53, 0
	s_waitcnt vmcnt(0)
	v_and_b32_e32 v1, 0xffff, v54
	v_cmp_ne_u16_sdwa s3, v54, v2 src0_sel:BYTE_0 src1_sel:DWORD
	v_mov_b32_e32 v54, 0
	s_and_saveexec_b32 s41, s3
	s_cbranch_execz .LBB240_233
; %bb.226:                              ;   in Loop: Header=BB240_12 Depth=1
	v_cmp_ne_u16_sdwa s3, v1, v18 src0_sel:BYTE_0 src1_sel:DWORD
	v_mov_b32_e32 v54, 0x8000
	s_and_saveexec_b32 s42, s3
	s_cbranch_execz .LBB240_232
; %bb.227:                              ;   in Loop: Header=BB240_12 Depth=1
	v_and_b32_e32 v56, 0x7f, v1
	v_mov_b32_e32 v54, 0x7c01
	s_mov_b32 s43, exec_lo
	v_cmpx_ne_u32_e32 0x7f, v56
	s_cbranch_execz .LBB240_231
; %bb.228:                              ;   in Loop: Header=BB240_12 Depth=1
	v_and_b32_e32 v54, 7, v1
	v_lshrrev_b32_e32 v55, 3, v56
	s_mov_b32 s44, exec_lo
	v_cmpx_gt_u32_e32 8, v56
; %bb.229:                              ;   in Loop: Header=BB240_12 Depth=1
	v_ffbh_u32_e32 v54, v54
	v_min_u32_e32 v56, 32, v54
	v_subrev_nc_u32_e32 v54, 28, v56
	v_lshlrev_b64 v[54:55], v54, v[1:2]
	v_sub_nc_u32_e32 v55, 29, v56
	v_and_b32_e32 v54, 7, v54
; %bb.230:                              ;   in Loop: Header=BB240_12 Depth=1
	s_or_b32 exec_lo, exec_lo, s44
	v_lshlrev_b32_e32 v56, 8, v1
	v_lshl_add_u32 v55, v55, 10, 0x2000
	v_lshlrev_b32_e32 v54, 7, v54
	v_and_b32_e32 v56, 0x8000, v56
	v_and_b32_e32 v55, 0xfc00, v55
	v_or3_b32 v54, v56, v55, v54
.LBB240_231:                            ;   in Loop: Header=BB240_12 Depth=1
	s_or_b32 exec_lo, exec_lo, s43
.LBB240_232:                            ;   in Loop: Header=BB240_12 Depth=1
	s_or_b32 exec_lo, exec_lo, s42
.LBB240_233:                            ;   in Loop: Header=BB240_12 Depth=1
	s_or_b32 exec_lo, exec_lo, s41
	v_lshrrev_b16 v1, 8, v1
	s_mov_b32 s41, exec_lo
	v_cmpx_ne_u16_e32 0, v1
	s_cbranch_execz .LBB240_241
; %bb.234:                              ;   in Loop: Header=BB240_12 Depth=1
	v_bfrev_b32_e32 v53, 1
	s_mov_b32 s42, exec_lo
	v_cmpx_ne_u16_e32 0x80, v1
	s_cbranch_execz .LBB240_240
; %bb.235:                              ;   in Loop: Header=BB240_12 Depth=1
	v_and_b32_sdwa v56, v1, v19 dst_sel:DWORD dst_unused:UNUSED_PAD src0_sel:WORD_0 src1_sel:DWORD
	v_mov_b32_e32 v53, 0x7c010000
	s_mov_b32 s43, exec_lo
	v_cmpx_ne_u32_e32 0x7f, v56
	s_cbranch_execz .LBB240_239
; %bb.236:                              ;   in Loop: Header=BB240_12 Depth=1
	v_and_b32_sdwa v53, v1, v20 dst_sel:DWORD dst_unused:UNUSED_PAD src0_sel:WORD_0 src1_sel:DWORD
	v_lshrrev_b32_e32 v55, 3, v56
	s_mov_b32 s44, exec_lo
	v_cmpx_gt_u32_e32 8, v56
; %bb.237:                              ;   in Loop: Header=BB240_12 Depth=1
	v_ffbh_u32_e32 v53, v53
	v_min_u32_e32 v53, 32, v53
	v_subrev_nc_u32_e32 v55, 28, v53
	v_lshlrev_b64 v[56:57], v55, v[1:2]
	v_sub_nc_u32_e32 v55, 29, v53
	v_and_b32_e32 v53, 7, v56
; %bb.238:                              ;   in Loop: Header=BB240_12 Depth=1
	s_or_b32 exec_lo, exec_lo, s44
	v_lshlrev_b32_sdwa v1, v21, v1 dst_sel:DWORD dst_unused:UNUSED_PAD src0_sel:DWORD src1_sel:WORD_0
	v_lshl_add_u32 v55, v55, 10, 0x2000
	v_lshlrev_b32_e32 v53, 23, v53
	v_and_or_b32 v1, 0x8000, v1, v55
	v_lshl_or_b32 v53, v1, 16, v53
.LBB240_239:                            ;   in Loop: Header=BB240_12 Depth=1
	s_or_b32 exec_lo, exec_lo, s43
.LBB240_240:                            ;   in Loop: Header=BB240_12 Depth=1
	s_or_b32 exec_lo, exec_lo, s42
.LBB240_241:                            ;   in Loop: Header=BB240_12 Depth=1
	s_or_b32 exec_lo, exec_lo, s41
	global_load_ushort v56, v[7:8], off offset:896
	v_mov_b32_e32 v55, 0
	s_waitcnt vmcnt(0)
	v_and_b32_e32 v1, 0xffff, v56
	v_cmp_ne_u16_sdwa s3, v56, v2 src0_sel:BYTE_0 src1_sel:DWORD
	v_mov_b32_e32 v56, 0
	s_and_saveexec_b32 s41, s3
	s_cbranch_execz .LBB240_249
; %bb.242:                              ;   in Loop: Header=BB240_12 Depth=1
	v_cmp_ne_u16_sdwa s3, v1, v18 src0_sel:BYTE_0 src1_sel:DWORD
	v_mov_b32_e32 v56, 0x8000
	s_and_saveexec_b32 s42, s3
	s_cbranch_execz .LBB240_248
; %bb.243:                              ;   in Loop: Header=BB240_12 Depth=1
	v_and_b32_e32 v58, 0x7f, v1
	v_mov_b32_e32 v56, 0x7c01
	s_mov_b32 s43, exec_lo
	v_cmpx_ne_u32_e32 0x7f, v58
	s_cbranch_execz .LBB240_247
; %bb.244:                              ;   in Loop: Header=BB240_12 Depth=1
	v_and_b32_e32 v56, 7, v1
	v_lshrrev_b32_e32 v57, 3, v58
	s_mov_b32 s44, exec_lo
	v_cmpx_gt_u32_e32 8, v58
; %bb.245:                              ;   in Loop: Header=BB240_12 Depth=1
	v_ffbh_u32_e32 v56, v56
	v_min_u32_e32 v58, 32, v56
	v_subrev_nc_u32_e32 v56, 28, v58
	v_lshlrev_b64 v[56:57], v56, v[1:2]
	v_sub_nc_u32_e32 v57, 29, v58
	v_and_b32_e32 v56, 7, v56
; %bb.246:                              ;   in Loop: Header=BB240_12 Depth=1
	s_or_b32 exec_lo, exec_lo, s44
	v_lshlrev_b32_e32 v58, 8, v1
	v_lshl_add_u32 v57, v57, 10, 0x2000
	v_lshlrev_b32_e32 v56, 7, v56
	v_and_b32_e32 v58, 0x8000, v58
	v_and_b32_e32 v57, 0xfc00, v57
	v_or3_b32 v56, v58, v57, v56
.LBB240_247:                            ;   in Loop: Header=BB240_12 Depth=1
	s_or_b32 exec_lo, exec_lo, s43
.LBB240_248:                            ;   in Loop: Header=BB240_12 Depth=1
	s_or_b32 exec_lo, exec_lo, s42
.LBB240_249:                            ;   in Loop: Header=BB240_12 Depth=1
	s_or_b32 exec_lo, exec_lo, s41
	v_lshrrev_b16 v1, 8, v1
	s_mov_b32 s41, exec_lo
	v_cmpx_ne_u16_e32 0, v1
	s_cbranch_execz .LBB240_257
; %bb.250:                              ;   in Loop: Header=BB240_12 Depth=1
	v_bfrev_b32_e32 v55, 1
	s_mov_b32 s42, exec_lo
	v_cmpx_ne_u16_e32 0x80, v1
	s_cbranch_execz .LBB240_256
; %bb.251:                              ;   in Loop: Header=BB240_12 Depth=1
	v_and_b32_sdwa v58, v1, v19 dst_sel:DWORD dst_unused:UNUSED_PAD src0_sel:WORD_0 src1_sel:DWORD
	v_mov_b32_e32 v55, 0x7c010000
	s_mov_b32 s43, exec_lo
	v_cmpx_ne_u32_e32 0x7f, v58
	s_cbranch_execz .LBB240_255
; %bb.252:                              ;   in Loop: Header=BB240_12 Depth=1
	v_and_b32_sdwa v55, v1, v20 dst_sel:DWORD dst_unused:UNUSED_PAD src0_sel:WORD_0 src1_sel:DWORD
	v_lshrrev_b32_e32 v57, 3, v58
	s_mov_b32 s44, exec_lo
	v_cmpx_gt_u32_e32 8, v58
; %bb.253:                              ;   in Loop: Header=BB240_12 Depth=1
	v_ffbh_u32_e32 v55, v55
	v_min_u32_e32 v55, 32, v55
	v_subrev_nc_u32_e32 v57, 28, v55
	v_lshlrev_b64 v[58:59], v57, v[1:2]
	v_sub_nc_u32_e32 v57, 29, v55
	v_and_b32_e32 v55, 7, v58
; %bb.254:                              ;   in Loop: Header=BB240_12 Depth=1
	s_or_b32 exec_lo, exec_lo, s44
	v_lshlrev_b32_sdwa v1, v21, v1 dst_sel:DWORD dst_unused:UNUSED_PAD src0_sel:DWORD src1_sel:WORD_0
	v_lshl_add_u32 v57, v57, 10, 0x2000
	v_lshlrev_b32_e32 v55, 23, v55
	v_and_or_b32 v1, 0x8000, v1, v57
	v_lshl_or_b32 v55, v1, 16, v55
.LBB240_255:                            ;   in Loop: Header=BB240_12 Depth=1
	s_or_b32 exec_lo, exec_lo, s43
.LBB240_256:                            ;   in Loop: Header=BB240_12 Depth=1
	s_or_b32 exec_lo, exec_lo, s42
.LBB240_257:                            ;   in Loop: Header=BB240_12 Depth=1
	s_or_b32 exec_lo, exec_lo, s41
	global_load_ushort v8, v[7:8], off offset:904
	v_mov_b32_e32 v7, 0
	s_waitcnt vmcnt(0)
	v_and_b32_e32 v1, 0xffff, v8
	v_cmp_ne_u16_sdwa s3, v8, v2 src0_sel:BYTE_0 src1_sel:DWORD
	v_mov_b32_e32 v8, 0
	s_and_saveexec_b32 s41, s3
	s_cbranch_execz .LBB240_265
; %bb.258:                              ;   in Loop: Header=BB240_12 Depth=1
	v_cmp_ne_u16_sdwa s3, v1, v18 src0_sel:BYTE_0 src1_sel:DWORD
	v_mov_b32_e32 v8, 0x8000
	s_and_saveexec_b32 s42, s3
	s_cbranch_execz .LBB240_264
; %bb.259:                              ;   in Loop: Header=BB240_12 Depth=1
	v_and_b32_e32 v58, 0x7f, v1
	v_mov_b32_e32 v8, 0x7c01
	s_mov_b32 s43, exec_lo
	v_cmpx_ne_u32_e32 0x7f, v58
	s_cbranch_execz .LBB240_263
; %bb.260:                              ;   in Loop: Header=BB240_12 Depth=1
	v_and_b32_e32 v8, 7, v1
	v_lshrrev_b32_e32 v57, 3, v58
	s_mov_b32 s44, exec_lo
	v_cmpx_gt_u32_e32 8, v58
; %bb.261:                              ;   in Loop: Header=BB240_12 Depth=1
	v_ffbh_u32_e32 v8, v8
	v_min_u32_e32 v8, 32, v8
	v_subrev_nc_u32_e32 v57, 28, v8
	v_lshlrev_b64 v[58:59], v57, v[1:2]
	v_sub_nc_u32_e32 v57, 29, v8
	v_and_b32_e32 v8, 7, v58
; %bb.262:                              ;   in Loop: Header=BB240_12 Depth=1
	s_or_b32 exec_lo, exec_lo, s44
	v_lshlrev_b32_e32 v58, 8, v1
	v_lshl_add_u32 v57, v57, 10, 0x2000
	v_lshlrev_b32_e32 v8, 7, v8
	v_and_b32_e32 v58, 0x8000, v58
	v_and_b32_e32 v57, 0xfc00, v57
	v_or3_b32 v8, v58, v57, v8
.LBB240_263:                            ;   in Loop: Header=BB240_12 Depth=1
	s_or_b32 exec_lo, exec_lo, s43
.LBB240_264:                            ;   in Loop: Header=BB240_12 Depth=1
	s_or_b32 exec_lo, exec_lo, s42
.LBB240_265:                            ;   in Loop: Header=BB240_12 Depth=1
	s_or_b32 exec_lo, exec_lo, s41
	v_lshrrev_b16 v1, 8, v1
	s_mov_b32 s41, exec_lo
	v_cmpx_ne_u16_e32 0, v1
	s_cbranch_execz .LBB240_273
; %bb.266:                              ;   in Loop: Header=BB240_12 Depth=1
	v_bfrev_b32_e32 v7, 1
	s_mov_b32 s42, exec_lo
	v_cmpx_ne_u16_e32 0x80, v1
	s_cbranch_execz .LBB240_272
; %bb.267:                              ;   in Loop: Header=BB240_12 Depth=1
	v_and_b32_sdwa v58, v1, v19 dst_sel:DWORD dst_unused:UNUSED_PAD src0_sel:WORD_0 src1_sel:DWORD
	v_mov_b32_e32 v7, 0x7c010000
	s_mov_b32 s43, exec_lo
	v_cmpx_ne_u32_e32 0x7f, v58
	s_cbranch_execz .LBB240_271
; %bb.268:                              ;   in Loop: Header=BB240_12 Depth=1
	v_and_b32_sdwa v7, v1, v20 dst_sel:DWORD dst_unused:UNUSED_PAD src0_sel:WORD_0 src1_sel:DWORD
	v_lshrrev_b32_e32 v57, 3, v58
	s_mov_b32 s44, exec_lo
	v_cmpx_gt_u32_e32 8, v58
; %bb.269:                              ;   in Loop: Header=BB240_12 Depth=1
	v_ffbh_u32_e32 v7, v7
	v_min_u32_e32 v7, 32, v7
	v_subrev_nc_u32_e32 v57, 28, v7
	v_lshlrev_b64 v[58:59], v57, v[1:2]
	v_sub_nc_u32_e32 v57, 29, v7
	v_and_b32_e32 v7, 7, v58
; %bb.270:                              ;   in Loop: Header=BB240_12 Depth=1
	s_or_b32 exec_lo, exec_lo, s44
	v_lshlrev_b32_sdwa v1, v21, v1 dst_sel:DWORD dst_unused:UNUSED_PAD src0_sel:DWORD src1_sel:WORD_0
	v_lshl_add_u32 v57, v57, 10, 0x2000
	v_lshlrev_b32_e32 v7, 23, v7
	v_and_or_b32 v1, 0x8000, v1, v57
	v_lshl_or_b32 v7, v1, 16, v7
.LBB240_271:                            ;   in Loop: Header=BB240_12 Depth=1
	s_or_b32 exec_lo, exec_lo, s43
.LBB240_272:                            ;   in Loop: Header=BB240_12 Depth=1
	s_or_b32 exec_lo, exec_lo, s42
.LBB240_273:                            ;   in Loop: Header=BB240_12 Depth=1
	s_or_b32 exec_lo, exec_lo, s41
	ds_read_b32 v1, v14
	v_or_b32_e32 v28, v27, v28
	v_fma_mixlo_f16 v27, v26, v27, 0 op_sel:[0,1,0] op_sel_hi:[0,1,0]
	v_or_b32_e32 v30, v29, v30
	v_fma_mixlo_f16 v29, v26, v29, 0 op_sel:[0,1,0] op_sel_hi:[0,1,0]
	v_or_b32_e32 v32, v31, v32
	v_fma_mixlo_f16 v28, v26, v28, 0 op_sel_hi:[0,1,0]
	v_and_b32_e32 v59, 0xffff, v27
	v_fma_mixlo_f16 v30, v26, v30, 0 op_sel_hi:[0,1,0]
	v_and_b32_e32 v61, 0xffff, v29
	;; [unrolled: 2-line block ×3, first 2 shown]
	v_fma_mixlo_f16 v31, v26, v31, 0 op_sel:[0,1,0] op_sel_hi:[0,1,0]
	v_and_b32_e32 v60, 0xffff, v30
	v_or_b32_e32 v34, v33, v34
	v_and_b32_e32 v62, 0xffff, v32
	v_fma_mixlo_f16 v33, v26, v33, 0 op_sel:[0,1,0] op_sel_hi:[0,1,0]
	v_and_b32_e32 v63, 0xffff, v31
	v_or_b32_e32 v36, v35, v36
	v_fma_mixlo_f16 v34, v26, v34, 0 op_sel_hi:[0,1,0]
	s_waitcnt lgkmcnt(0)
	v_and_b32_e32 v57, 0xffff, v1
	v_lshrrev_b32_e32 v58, 16, v1
	;;#ASMSTART
	v_cvt_f32_f16 v1, v57;
	;;#ASMEND
	;;#ASMSTART
	v_cvt_f32_f16 v27, v58;
	;;#ASMEND
	;;#ASMSTART
	v_cvt_f32_f16 v28, v28;
	;;#ASMEND
	;;#ASMSTART
	v_cvt_f32_f16 v57, v59;
	;;#ASMEND
	ds_read_b32 v58, v14 offset:4
	v_and_b32_e32 v64, 0xffff, v34
	v_and_b32_e32 v65, 0xffff, v33
	v_fma_mixlo_f16 v36, v26, v36, 0 op_sel_hi:[0,1,0]
	v_fma_mixlo_f16 v35, v26, v35, 0 op_sel:[0,1,0] op_sel_hi:[0,1,0]
	v_or_b32_e32 v38, v37, v38
	v_fma_mixlo_f16 v37, v26, v37, 0 op_sel:[0,1,0] op_sel_hi:[0,1,0]
	v_or_b32_e32 v40, v39, v40
	v_and_b32_e32 v66, 0xffff, v36
	v_and_b32_e32 v67, 0xffff, v35
	v_fma_mixlo_f16 v38, v26, v38, 0 op_sel_hi:[0,1,0]
	v_and_b32_e32 v69, 0xffff, v37
	v_fma_mixlo_f16 v40, v26, v40, 0 op_sel_hi:[0,1,0]
	v_fma_mixlo_f16 v39, v26, v39, 0 op_sel:[0,1,0] op_sel_hi:[0,1,0]
	v_or_b32_e32 v42, v41, v42
	v_and_b32_e32 v68, 0xffff, v38
	v_fma_mixlo_f16 v41, v26, v41, 0 op_sel:[0,1,0] op_sel_hi:[0,1,0]
	v_and_b32_e32 v70, 0xffff, v40
	v_and_b32_e32 v71, 0xffff, v39
	v_fma_mixlo_f16 v42, v26, v42, 0 op_sel_hi:[0,1,0]
	s_waitcnt lgkmcnt(0)
	v_and_b32_e32 v59, 0xffff, v58
	v_lshrrev_b32_e32 v58, 16, v58
	;;#ASMSTART
	v_cvt_f32_f16 v29, v59;
	;;#ASMEND
	;;#ASMSTART
	v_cvt_f32_f16 v30, v58;
	;;#ASMEND
	;; [unrolled: 3-line block ×4, first 2 shown]
	ds_read_b32 v60, v14 offset:8
	v_and_b32_e32 v72, 0xffff, v42
	v_and_b32_e32 v73, 0xffff, v41
	v_or_b32_e32 v44, v43, v44
	v_fma_mixlo_f16 v43, v26, v43, 0 op_sel:[0,1,0] op_sel_hi:[0,1,0]
	v_or_b32_e32 v46, v45, v46
	v_fma_mixlo_f16 v45, v26, v45, 0 op_sel:[0,1,0] op_sel_hi:[0,1,0]
	v_or_b32_e32 v48, v47, v48
	v_fma_mixlo_f16 v44, v26, v44, 0 op_sel_hi:[0,1,0]
	v_and_b32_e32 v75, 0xffff, v43
	v_fma_mixlo_f16 v46, v26, v46, 0 op_sel_hi:[0,1,0]
	v_and_b32_e32 v77, 0xffff, v45
	;; [unrolled: 2-line block ×3, first 2 shown]
	v_fma_mixlo_f16 v47, v26, v47, 0 op_sel:[0,1,0] op_sel_hi:[0,1,0]
	v_and_b32_e32 v76, 0xffff, v46
	v_or_b32_e32 v50, v49, v50
	v_and_b32_e32 v78, 0xffff, v48
	v_fma_mixlo_f16 v49, v26, v49, 0 op_sel:[0,1,0] op_sel_hi:[0,1,0]
	v_and_b32_e32 v79, 0xffff, v47
	s_waitcnt lgkmcnt(0)
	v_and_b32_e32 v61, 0xffff, v60
	v_lshrrev_b32_e32 v60, 16, v60
	;;#ASMSTART
	v_cvt_f32_f16 v31, v61;
	;;#ASMEND
	;;#ASMSTART
	v_cvt_f32_f16 v32, v60;
	;;#ASMEND
	;; [unrolled: 3-line block ×4, first 2 shown]
	ds_read_b32 v62, v14 offset:12
	v_fma_mixlo_f16 v50, v26, v50, 0 op_sel_hi:[0,1,0]
	v_and_b32_e32 v81, 0xffff, v49
	v_mul_f32_e32 v29, v29, v58
	v_mul_f32_e32 v30, v30, v59
	v_or_b32_e32 v52, v51, v52
	v_and_b32_e32 v80, 0xffff, v50
	v_fma_mixlo_f16 v51, v26, v51, 0 op_sel:[0,1,0] op_sel_hi:[0,1,0]
	v_fmac_f32_e32 v29, v1, v28
	v_fmac_f32_e32 v30, v27, v57
	v_fma_mixlo_f16 v52, v26, v52, 0 op_sel_hi:[0,1,0]
	v_or_b32_e32 v1, v53, v54
	v_and_b32_e32 v83, 0xffff, v51
	v_fmac_f32_e32 v29, v31, v60
	v_fmac_f32_e32 v30, v32, v61
	v_and_b32_e32 v82, 0xffff, v52
	v_fma_mixlo_f16 v27, v26, v53, 0 op_sel:[0,1,0] op_sel_hi:[0,1,0]
	v_fma_mixlo_f16 v1, v26, v1, 0 op_sel_hi:[0,1,0]
	v_or_b32_e32 v8, v7, v8
	v_fma_mixlo_f16 v7, v26, v7, 0 op_sel:[0,1,0] op_sel_hi:[0,1,0]
	s_waitcnt lgkmcnt(0)
	v_and_b32_e32 v63, 0xffff, v62
	v_lshrrev_b32_e32 v62, 16, v62
	;;#ASMSTART
	v_cvt_f32_f16 v33, v63;
	;;#ASMEND
	;;#ASMSTART
	v_cvt_f32_f16 v34, v62;
	;;#ASMEND
	;; [unrolled: 3-line block ×4, first 2 shown]
	ds_read_b32 v64, v14 offset:16
	v_fmac_f32_e32 v29, v33, v62
	v_fmac_f32_e32 v30, v34, v63
	v_and_b32_e32 v31, 0xffff, v27
	v_and_b32_e32 v32, 0xffff, v1
	v_or_b32_e32 v33, v55, v56
	v_fma_mixlo_f16 v34, v26, v55, 0 op_sel:[0,1,0] op_sel_hi:[0,1,0]
	v_fma_mixlo_f16 v8, v26, v8, 0 op_sel_hi:[0,1,0]
	v_fma_mixlo_f16 v33, v26, v33, 0 op_sel_hi:[0,1,0]
	s_waitcnt lgkmcnt(0)
	v_and_b32_e32 v65, 0xffff, v64
	v_lshrrev_b32_e32 v64, 16, v64
	;;#ASMSTART
	v_cvt_f32_f16 v35, v65;
	;;#ASMEND
	;;#ASMSTART
	v_cvt_f32_f16 v36, v64;
	;;#ASMEND
	;; [unrolled: 3-line block ×4, first 2 shown]
	ds_read_b32 v66, v14 offset:20
	v_fmac_f32_e32 v29, v35, v64
	v_fmac_f32_e32 v30, v36, v65
	v_and_b32_e32 v35, 0xffff, v34
	s_waitcnt lgkmcnt(0)
	v_and_b32_e32 v67, 0xffff, v66
	v_lshrrev_b32_e32 v66, 16, v66
	;;#ASMSTART
	v_cvt_f32_f16 v37, v67;
	;;#ASMEND
	;;#ASMSTART
	v_cvt_f32_f16 v38, v66;
	;;#ASMEND
	;; [unrolled: 3-line block ×4, first 2 shown]
	ds_read_b32 v68, v14 offset:24
	v_fmac_f32_e32 v29, v37, v66
	v_fmac_f32_e32 v30, v38, v67
	v_and_b32_e32 v37, 0xffff, v33
	v_and_b32_e32 v38, 0xffff, v7
	s_waitcnt lgkmcnt(0)
	v_and_b32_e32 v69, 0xffff, v68
	v_lshrrev_b32_e32 v68, 16, v68
	;;#ASMSTART
	v_cvt_f32_f16 v39, v69;
	;;#ASMEND
	;;#ASMSTART
	v_cvt_f32_f16 v40, v68;
	;;#ASMEND
	;;#ASMSTART
	v_cvt_f32_f16 v68, v70;
	;;#ASMEND
	;;#ASMSTART
	v_cvt_f32_f16 v69, v71;
	;;#ASMEND
	ds_read_b32 v70, v14 offset:28
	v_fmac_f32_e32 v29, v39, v68
	v_fmac_f32_e32 v30, v40, v69
	s_waitcnt lgkmcnt(0)
	v_and_b32_e32 v71, 0xffff, v70
	v_lshrrev_b32_e32 v70, 16, v70
	;;#ASMSTART
	v_cvt_f32_f16 v41, v71;
	;;#ASMEND
	;;#ASMSTART
	v_cvt_f32_f16 v42, v70;
	;;#ASMEND
	;;#ASMSTART
	v_cvt_f32_f16 v70, v72;
	;;#ASMEND
	;;#ASMSTART
	v_cvt_f32_f16 v71, v73;
	;;#ASMEND
	ds_read_b32 v72, v14 offset:32
	v_fmac_f32_e32 v29, v41, v70
	v_fmac_f32_e32 v30, v42, v71
	;; [unrolled: 18-line block ×8, first 2 shown]
	v_and_b32_e32 v27, 0xffff, v8
	s_waitcnt lgkmcnt(0)
	v_and_b32_e32 v34, 0xffff, v32
	v_lshrrev_b32_e32 v36, 16, v32
	;;#ASMSTART
	v_cvt_f32_f16 v32, v34;
	;;#ASMEND
	;;#ASMSTART
	v_cvt_f32_f16 v33, v36;
	;;#ASMEND
	;; [unrolled: 3-line block ×4, first 2 shown]
	ds_read_b32 v36, v14 offset:60
	v_xor_b32_e32 v37, 2, v10
	v_fmac_f32_e32 v29, v32, v34
	v_fmac_f32_e32 v30, v33, v35
	v_cmp_gt_i32_e64 s3, 32, v37
	v_cndmask_b32_e64 v7, v10, v37, s3
	s_waitcnt lgkmcnt(0)
	v_and_b32_e32 v1, 0xffff, v36
	v_lshrrev_b32_e32 v26, 16, v36
	;;#ASMSTART
	v_cvt_f32_f16 v1, v1;
	;;#ASMEND
	;;#ASMSTART
	v_cvt_f32_f16 v8, v26;
	;;#ASMEND
	;;#ASMSTART
	v_cvt_f32_f16 v26, v27;
	;;#ASMEND
	;;#ASMSTART
	v_cvt_f32_f16 v27, v38;
	;;#ASMEND
	v_fmac_f32_e32 v29, v1, v26
	v_fmac_f32_e32 v30, v8, v27
	v_lshlrev_b32_e32 v1, 2, v7
	v_xor_b32_e32 v8, 1, v10
	v_add_f32_e32 v7, v29, v30
	v_cmp_gt_i32_e64 s3, 32, v8
	ds_bpermute_b32 v1, v1, v7
	v_cndmask_b32_e64 v8, v10, v8, s3
	s_waitcnt lgkmcnt(0)
	v_add_f32_e32 v1, v7, v1
	v_lshlrev_b32_e32 v7, 2, v8
	ds_bpermute_b32 v7, v7, v1
	s_and_saveexec_b32 s41, vcc_lo
	s_cbranch_execz .LBB240_10
; %bb.274:                              ;   in Loop: Header=BB240_12 Depth=1
	v_add_nc_u32_e32 v8, v22, v16
	s_waitcnt lgkmcnt(0)
	v_add_f32_e32 v1, v1, v7
	v_cvt_f32_i32_e32 v8, v8
	v_mul_f32_e32 v8, s36, v8
	v_cndmask_b32_e64 v7, 0, v8, s2
	v_max_f32_e32 v8, v15, v15
	v_fmac_f32_e32 v7, s35, v1
	v_add_nc_u32_e32 v1, v13, v16
	v_max_f32_e32 v8, v8, v7
	v_cmp_gt_i32_e64 s3, s33, v1
	v_cndmask_b32_e64 v1, 0, v7, s3
	v_cndmask_b32_e64 v15, v15, v8, s3
	ds_write_b32 v23, v1
	s_branch .LBB240_10
.LBB240_275:
	s_or_b32 exec_lo, exec_lo, s39
.LBB240_276:
	s_or_b32 exec_lo, exec_lo, s37
	v_xor_b32_e32 v1, 16, v10
	v_xor_b32_e32 v3, 8, v10
	v_max_f32_e32 v4, v15, v15
	v_xor_b32_e32 v5, 4, v10
	v_and_b32_e32 v13, 31, v0
	v_cmp_gt_i32_e32 vcc_lo, 32, v1
	v_cndmask_b32_e32 v1, v10, v1, vcc_lo
	v_cmp_gt_i32_e32 vcc_lo, 32, v3
	v_lshlrev_b32_e32 v2, 2, v1
	v_cndmask_b32_e32 v3, v10, v3, vcc_lo
	v_cmp_gt_i32_e32 vcc_lo, 32, v5
	ds_bpermute_b32 v1, v2, v15
	v_lshlrev_b32_e32 v3, 2, v3
	v_cndmask_b32_e32 v5, v10, v5, vcc_lo
	v_cmp_eq_u32_e32 vcc_lo, 0, v13
	v_lshlrev_b32_e32 v6, 2, v5
	s_waitcnt lgkmcnt(0)
	v_max_f32_e32 v1, v1, v1
	v_max_f32_e32 v1, v4, v1
	ds_bpermute_b32 v4, v3, v1
	s_waitcnt lgkmcnt(0)
	v_max_f32_e32 v4, v4, v4
	v_max_f32_e32 v1, v1, v4
	v_lshlrev_b32_e32 v4, 2, v11
	ds_bpermute_b32 v5, v6, v1
	s_and_saveexec_b32 s2, vcc_lo
	s_cbranch_execz .LBB240_278
; %bb.277:
	s_waitcnt lgkmcnt(0)
	v_max_f32_e32 v5, v5, v5
	v_max_f32_e32 v1, v1, v1
	;; [unrolled: 1-line block ×3, first 2 shown]
	ds_write_b32 v4, v1 offset:256
.LBB240_278:
	s_or_b32 exec_lo, exec_lo, s2
	v_cmp_gt_u32_e64 s2, 4, v13
	v_mov_b32_e32 v1, 0xff7fffff
	s_waitcnt lgkmcnt(0)
	v_lshlrev_b32_e32 v5, 2, v13
	s_barrier
	buffer_gl0_inv
	s_and_saveexec_b32 s3, s2
; %bb.279:
	ds_read_b32 v1, v5 offset:256
; %bb.280:
	s_or_b32 exec_lo, exec_lo, s3
	v_xor_b32_e32 v7, 2, v10
	v_xor_b32_e32 v14, 1, v10
	v_cmp_gt_i32_e64 s3, 32, v7
	v_cndmask_b32_e64 v7, v10, v7, s3
	v_cmp_gt_i32_e64 s3, 32, v14
	v_lshlrev_b32_e32 v7, 2, v7
	v_cndmask_b32_e64 v10, v10, v14, s3
	s_lshl_b32 s3, s20, 3
	s_min_i32 s5, s3, s33
	s_waitcnt lgkmcnt(0)
	ds_bpermute_b32 v8, v7, v1
	v_max_f32_e32 v1, v1, v1
	v_cmp_gt_i32_e64 s3, s5, v0
	s_waitcnt lgkmcnt(0)
	v_max_f32_e32 v14, v8, v8
	v_lshlrev_b32_e32 v8, 2, v10
	v_max_f32_e32 v1, v1, v14
	ds_bpermute_b32 v10, v8, v1
	s_waitcnt lgkmcnt(0)
	v_max_f32_e32 v10, v10, v10
	v_max_f32_e32 v1, v1, v10
	v_mov_b32_e32 v10, 0
	ds_bpermute_b32 v14, v10, v1
	v_lshl_add_u32 v1, v0, 2, 0x120
	s_and_saveexec_b32 s12, s3
	s_cbranch_execz .LBB240_284
; %bb.281:
	v_lshl_add_u32 v15, v0, 2, 0x120
	v_mov_b32_e32 v10, 0
	v_mov_b32_e32 v16, v0
	s_mov_b32 s13, 0
	.p2align	6
.LBB240_282:                            ; =>This Inner Loop Header: Depth=1
	ds_read_b32 v17, v15
	v_add_nc_u32_e32 v16, 0x80, v16
	v_cmp_le_i32_e64 s4, s5, v16
	s_or_b32 s13, s4, s13
	s_waitcnt lgkmcnt(0)
	v_sub_f32_e32 v17, v17, v14
	v_mul_f32_e32 v17, 0x3fb8aa3b, v17
	v_exp_f32_e32 v17, v17
	ds_write_b32 v15, v17
	v_add_f32_e32 v10, v10, v17
	v_add_nc_u32_e32 v15, 0x200, v15
	s_andn2_b32 exec_lo, exec_lo, s13
	s_cbranch_execnz .LBB240_282
; %bb.283:
	s_or_b32 exec_lo, exec_lo, s13
.LBB240_284:
	s_or_b32 exec_lo, exec_lo, s12
	ds_bpermute_b32 v2, v2, v10
	s_waitcnt lgkmcnt(0)
	v_add_f32_e32 v2, v10, v2
	ds_bpermute_b32 v3, v3, v2
	s_waitcnt lgkmcnt(0)
	v_add_f32_e32 v2, v2, v3
	ds_bpermute_b32 v3, v6, v2
	s_waitcnt lgkmcnt(0)
	v_add_f32_e32 v2, v2, v3
	ds_bpermute_b32 v3, v7, v2
	s_waitcnt lgkmcnt(0)
	v_add_f32_e32 v2, v2, v3
	ds_bpermute_b32 v3, v8, v2
	s_waitcnt lgkmcnt(0)
	v_add_f32_e32 v2, v2, v3
	s_and_saveexec_b32 s4, vcc_lo
; %bb.285:
	ds_write_b32 v4, v2 offset:272
; %bb.286:
	s_or_b32 exec_lo, exec_lo, s4
	s_waitcnt lgkmcnt(0)
	s_barrier
	buffer_gl0_inv
	s_and_saveexec_b32 s4, s2
; %bb.287:
	ds_read_b32 v2, v5 offset:272
; %bb.288:
	s_or_b32 exec_lo, exec_lo, s4
	s_waitcnt lgkmcnt(0)
	ds_bpermute_b32 v3, v7, v2
	s_waitcnt lgkmcnt(0)
	v_add_f32_e32 v2, v2, v3
	ds_bpermute_b32 v3, v8, v2
	s_waitcnt lgkmcnt(0)
	v_add_f32_e32 v2, v2, v3
	v_mov_b32_e32 v3, 0
	ds_bpermute_b32 v2, v3, v2
	s_and_saveexec_b32 s2, s3
	s_cbranch_execz .LBB240_291
; %bb.289:
	s_waitcnt lgkmcnt(0)
	v_add_f32_e32 v2, 0x358637bd, v2
	s_mov_b32 s3, 0
	v_div_scale_f32 v3, null, v2, v2, 1.0
	v_div_scale_f32 v6, vcc_lo, 1.0, v2, 1.0
	v_rcp_f32_e32 v4, v3
	v_fma_f32 v5, -v3, v4, 1.0
	v_fmac_f32_e32 v4, v5, v4
	v_mul_f32_e32 v5, v6, v4
	v_fma_f32 v7, -v3, v5, v6
	v_fmac_f32_e32 v5, v7, v4
	v_fma_f32 v3, -v3, v5, v6
	v_div_fmas_f32 v3, v3, v4, v5
	v_div_fixup_f32 v2, v3, v2, 1.0
	v_mov_b32_e32 v3, v0
.LBB240_290:                            ; =>This Inner Loop Header: Depth=1
	ds_read_b32 v4, v1
	v_add_nc_u32_e32 v3, 0x80, v3
	v_cmp_le_i32_e32 vcc_lo, s5, v3
	s_or_b32 s3, vcc_lo, s3
	s_waitcnt lgkmcnt(0)
	v_mul_f32_e32 v4, v2, v4
	ds_write_b32 v1, v4
	v_add_nc_u32_e32 v1, 0x200, v1
	s_andn2_b32 exec_lo, exec_lo, s3
	s_cbranch_execnz .LBB240_290
.LBB240_291:
	s_or_b32 exec_lo, exec_lo, s2
	v_mov_b32_e32 v17, 0
	v_mov_b32_e32 v16, 0
	;; [unrolled: 1-line block ×4, first 2 shown]
	s_waitcnt lgkmcnt(0)
	s_barrier
	buffer_gl0_inv
	s_and_saveexec_b32 s4, s1
	s_cbranch_execz .LBB240_561
; %bb.292:
	s_sub_i32 s5, s34, s21
	s_ashr_i32 s1, s18, 31
	s_add_u32 s18, s30, s18
	s_addc_u32 s1, s31, s1
	s_abs_i32 s12, s22
	v_lshlrev_b32_e32 v3, 3, v13
	v_cvt_f32_u32_e32 v1, s12
	s_sub_i32 s2, 0, s12
	v_and_b32_e32 v5, 0x7c, v9
	s_mov_b32 s13, s17
	v_add_co_u32 v3, s18, s18, v3
	v_rcp_iflag_f32_e32 v1, v1
	s_add_i32 s17, s20, -1
	v_mov_b32_e32 v2, 0
	v_lshl_add_u32 v18, v11, 5, 0x120
	v_mov_b32_e32 v19, 0x80
	v_mov_b32_e32 v20, 0x7f
	;; [unrolled: 1-line block ×6, first 2 shown]
	v_mul_f32_e32 v1, 0x4f7ffffe, v1
	v_mov_b32_e32 v16, 0
	v_mov_b32_e32 v17, 0
	;; [unrolled: 1-line block ×3, first 2 shown]
	v_cvt_u32_f32_e32 v1, v1
	v_mul_lo_u32 v4, s2, v1
	s_lshl_b64 s[2:3], s[28:29], 2
	v_mul_hi_u32 v7, v1, v4
	v_add_co_ci_u32_e64 v4, null, s1, 0, s18
	s_add_u32 s1, s26, s2
	s_addc_u32 s2, s27, s3
	v_add_co_u32 v5, s1, s1, v5
	v_add_co_ci_u32_e64 v6, null, s2, 0, s1
	v_add_nc_u32_e32 v23, v1, v7
	s_mov_b32 s2, -1
	s_mov_b32 s3, 0xffffff
	s_mov_b32 s18, 0
	s_branch .LBB240_295
.LBB240_293:                            ;   in Loop: Header=BB240_295 Depth=1
	s_or_b32 exec_lo, exec_lo, s1
	;;#ASMSTART
	v_pk_mul_f16 v25, v37, v42;

	;;#ASMEND
	;;#ASMSTART
	v_pk_mul_f16 v8, v36, v8;

	;;#ASMEND
	;; [unrolled: 4-line block ×4, first 2 shown]
	;;#ASMSTART
	v_pk_add_f16 v8, v25, v8;

	;;#ASMEND
	;;#ASMSTART
	v_pk_add_f16 v7, v8, v7;

	;;#ASMEND
	;; [unrolled: 4-line block ×3, first 2 shown]
	v_and_b32_e32 v25, 0xffff, v1
	v_lshrrev_b32_e32 v26, 16, v1
	v_add_f32_e32 v1, v9, v10
	;;#ASMSTART
	v_cvt_f32_f16 v9, v25;
	;;#ASMEND
	v_add_f32_e32 v7, v38, v39
	v_add_f32_e32 v8, v32, v33
	;;#ASMSTART
	v_cvt_f32_f16 v10, v26;
	;;#ASMEND
	v_add_f32_e32 v9, v9, v10
	v_add_f32_e32 v15, v15, v1
	;; [unrolled: 1-line block ×5, first 2 shown]
.LBB240_294:                            ;   in Loop: Header=BB240_295 Depth=1
	s_or_b32 exec_lo, exec_lo, s21
	v_add_nc_u32_e32 v24, 4, v24
	v_add_co_u32 v5, s1, v5, 16
	v_add_co_ci_u32_e64 v6, null, 0, v6, s1
	v_cmp_le_i32_e32 vcc_lo, s20, v24
	v_add_nc_u32_e32 v12, 32, v12
	v_add_nc_u32_e32 v18, 0x80, v18
	s_or_b32 s18, vcc_lo, s18
	s_andn2_b32 exec_lo, exec_lo, s18
	s_cbranch_execz .LBB240_560
.LBB240_295:                            ; =>This Inner Loop Header: Depth=1
	v_mul_hi_u32 v1, v12, s19
	v_mul_lo_u32 v7, v1, s16
	v_add_nc_u32_e32 v8, 1, v1
	v_sub_nc_u32_e32 v7, v12, v7
	v_subrev_nc_u32_e32 v9, s16, v7
	v_cmp_le_u32_e32 vcc_lo, s16, v7
	v_cndmask_b32_e32 v1, v1, v8, vcc_lo
	v_cndmask_b32_e32 v7, v7, v9, vcc_lo
	v_add_nc_u32_e32 v8, 1, v1
	v_cmp_le_u32_e32 vcc_lo, s16, v7
	v_cndmask_b32_e32 v1, v1, v8, vcc_lo
	v_xor_b32_e32 v1, s23, v1
	v_subrev_nc_u32_e32 v1, s23, v1
	v_add_nc_u32_e32 v7, s25, v1
	v_cmp_lt_i32_e64 s1, s5, v1
	v_sub_nc_u32_e32 v8, 0, v7
	v_max_i32_e32 v8, v7, v8
	v_ashrrev_i32_e32 v7, 31, v7
	v_mul_hi_u32 v9, v8, v23
	v_mul_lo_u32 v9, v9, s12
	v_sub_nc_u32_e32 v8, v8, v9
	v_subrev_nc_u32_e32 v9, s12, v8
	v_cmp_le_u32_e32 vcc_lo, s12, v8
	v_cndmask_b32_e32 v8, v8, v9, vcc_lo
	v_subrev_nc_u32_e32 v9, s12, v8
	v_cmp_le_u32_e32 vcc_lo, s12, v8
	v_cndmask_b32_e32 v8, v8, v9, vcc_lo
	v_xor_b32_e32 v8, v8, v7
	v_sub_nc_u32_e32 v7, v8, v7
	v_cmp_eq_u32_e32 vcc_lo, 0, v7
	s_or_b32 s1, vcc_lo, s1
	s_and_saveexec_b32 s21, s1
	s_cbranch_execz .LBB240_294
; %bb.296:                              ;   in Loop: Header=BB240_295 Depth=1
	global_load_dword v1, v[5:6], off
	ds_read2_b64 v[25:28], v18 offset1:1
	ds_read2_b64 v[37:40], v18 offset0:2 offset1:3
	s_waitcnt lgkmcnt(1)
	;;#ASMSTART
	v_cvt_f16_f32 v32, v25;

	;;#ASMEND
	;;#ASMSTART
	v_cvt_f16_f32 v33, v26;

	;;#ASMEND
	;; [unrolled: 4-line block ×4, first 2 shown]
	s_waitcnt lgkmcnt(0)
	;;#ASMSTART
	v_cvt_f16_f32 v37, v37;

	;;#ASMEND
	;;#ASMSTART
	v_cvt_f16_f32 v35, v38;

	;;#ASMEND
	;;#ASMSTART
	v_cvt_f16_f32 v39, v39;

	;;#ASMEND
	;;#ASMSTART
	v_cvt_f16_f32 v38, v40;

	;;#ASMEND
	v_mov_b32_e32 v26, 0
	v_mov_b32_e32 v27, 0
	global_load_dword v25, v26, s[14:15]
	s_waitcnt vmcnt(1)
	v_mad_i64_i32 v[7:8], null, v1, s13, v[3:4]
	global_load_dwordx2 v[9:10], v[7:8], off
	s_waitcnt vmcnt(0)
	v_cmp_ne_u16_sdwa s22, v9, v2 src0_sel:BYTE_0 src1_sel:DWORD
	s_and_saveexec_b32 s1, s22
	s_cbranch_execz .LBB240_304
; %bb.297:                              ;   in Loop: Header=BB240_295 Depth=1
	v_cmp_ne_u16_sdwa s26, v9, v19 src0_sel:BYTE_0 src1_sel:DWORD
	v_mov_b32_e32 v27, 0x8000
	s_and_saveexec_b32 s22, s26
	s_cbranch_execz .LBB240_303
; %bb.298:                              ;   in Loop: Header=BB240_295 Depth=1
	v_and_b32_e32 v28, 0x7f, v9
	v_mov_b32_e32 v27, 0x7c01
	s_mov_b32 s26, exec_lo
	v_cmpx_ne_u32_e32 0x7f, v28
	s_cbranch_execz .LBB240_302
; %bb.299:                              ;   in Loop: Header=BB240_295 Depth=1
	v_and_b32_e32 v1, 7, v9
	v_lshrrev_b32_e32 v27, 3, v28
	s_mov_b32 s27, exec_lo
	v_cmpx_gt_u32_e32 8, v28
; %bb.300:                              ;   in Loop: Header=BB240_295 Depth=1
	v_ffbh_u32_e32 v1, v1
	v_min_u32_e32 v1, 32, v1
	v_subrev_nc_u32_e32 v27, 28, v1
	v_lshlrev_b64 v[28:29], v27, v[9:10]
	v_sub_nc_u32_e32 v27, 29, v1
	v_and_b32_e32 v1, 7, v28
; %bb.301:                              ;   in Loop: Header=BB240_295 Depth=1
	s_or_b32 exec_lo, exec_lo, s27
	v_lshlrev_b32_e32 v28, 8, v9
	v_lshl_add_u32 v27, v27, 10, 0x2000
	v_lshlrev_b32_e32 v1, 7, v1
	v_and_b32_e32 v28, 0x8000, v28
	v_and_b32_e32 v27, 0xfc00, v27
	v_or3_b32 v27, v28, v27, v1
.LBB240_302:                            ;   in Loop: Header=BB240_295 Depth=1
	s_or_b32 exec_lo, exec_lo, s26
.LBB240_303:                            ;   in Loop: Header=BB240_295 Depth=1
	s_or_b32 exec_lo, exec_lo, s22
.LBB240_304:                            ;   in Loop: Header=BB240_295 Depth=1
	s_or_b32 exec_lo, exec_lo, s1
	v_lshrrev_b16 v1, 8, v9
	s_mov_b32 s1, exec_lo
	v_cmpx_ne_u16_e32 0, v1
	s_cbranch_execz .LBB240_312
; %bb.305:                              ;   in Loop: Header=BB240_295 Depth=1
	v_bfrev_b32_e32 v26, 1
	s_mov_b32 s22, exec_lo
	v_cmpx_ne_u16_e32 0x80, v1
	s_cbranch_execz .LBB240_311
; %bb.306:                              ;   in Loop: Header=BB240_295 Depth=1
	v_and_b32_sdwa v29, v1, v20 dst_sel:DWORD dst_unused:UNUSED_PAD src0_sel:WORD_0 src1_sel:DWORD
	v_mov_b32_e32 v26, 0x7c010000
	s_mov_b32 s26, exec_lo
	v_cmpx_ne_u32_e32 0x7f, v29
	s_cbranch_execz .LBB240_310
; %bb.307:                              ;   in Loop: Header=BB240_295 Depth=1
	v_and_b32_sdwa v26, v1, v21 dst_sel:DWORD dst_unused:UNUSED_PAD src0_sel:WORD_0 src1_sel:DWORD
	v_lshrrev_b32_e32 v28, 3, v29
	s_mov_b32 s27, exec_lo
	v_cmpx_gt_u32_e32 8, v29
; %bb.308:                              ;   in Loop: Header=BB240_295 Depth=1
	v_ffbh_u32_e32 v26, v26
	v_min_u32_e32 v26, 32, v26
	v_subrev_nc_u32_e32 v28, 28, v26
	v_lshlrev_b64 v[29:30], v28, v[1:2]
	v_sub_nc_u32_e32 v28, 29, v26
	v_and_b32_e32 v26, 7, v29
; %bb.309:                              ;   in Loop: Header=BB240_295 Depth=1
	s_or_b32 exec_lo, exec_lo, s27
	v_lshlrev_b32_sdwa v1, v22, v1 dst_sel:DWORD dst_unused:UNUSED_PAD src0_sel:DWORD src1_sel:WORD_0
	v_lshl_add_u32 v28, v28, 10, 0x2000
	v_lshlrev_b32_e32 v26, 23, v26
	v_and_or_b32 v1, 0x8000, v1, v28
	v_lshl_or_b32 v26, v1, 16, v26
.LBB240_310:                            ;   in Loop: Header=BB240_295 Depth=1
	s_or_b32 exec_lo, exec_lo, s26
.LBB240_311:                            ;   in Loop: Header=BB240_295 Depth=1
	s_or_b32 exec_lo, exec_lo, s22
.LBB240_312:                            ;   in Loop: Header=BB240_295 Depth=1
	s_or_b32 exec_lo, exec_lo, s1
	v_lshrrev_b32_e32 v1, 16, v9
	v_mov_b32_e32 v28, 0
	v_mov_b32_e32 v29, 0
	v_cmp_ne_u16_sdwa s22, v1, v2 src0_sel:BYTE_0 src1_sel:DWORD
	s_and_saveexec_b32 s1, s22
	s_cbranch_execz .LBB240_320
; %bb.313:                              ;   in Loop: Header=BB240_295 Depth=1
	v_cmp_ne_u16_sdwa s26, v1, v19 src0_sel:BYTE_0 src1_sel:DWORD
	v_mov_b32_e32 v29, 0x8000
	s_and_saveexec_b32 s22, s26
	s_cbranch_execz .LBB240_319
; %bb.314:                              ;   in Loop: Header=BB240_295 Depth=1
	v_bfe_u32 v31, v9, 16, 7
	v_mov_b32_e32 v29, 0x7c01
	s_mov_b32 s26, exec_lo
	v_cmpx_ne_u32_e32 0x7f, v31
	s_cbranch_execz .LBB240_318
; %bb.315:                              ;   in Loop: Header=BB240_295 Depth=1
	v_and_b32_e32 v29, 7, v1
	v_lshrrev_b32_e32 v30, 3, v31
	s_mov_b32 s27, exec_lo
	v_cmpx_gt_u32_e32 8, v31
; %bb.316:                              ;   in Loop: Header=BB240_295 Depth=1
	v_ffbh_u32_e32 v29, v29
	v_min_u32_e32 v31, 32, v29
	v_subrev_nc_u32_e32 v29, 28, v31
	v_lshlrev_b64 v[29:30], v29, v[1:2]
	v_sub_nc_u32_e32 v30, 29, v31
	v_and_b32_e32 v29, 7, v29
; %bb.317:                              ;   in Loop: Header=BB240_295 Depth=1
	s_or_b32 exec_lo, exec_lo, s27
	v_lshlrev_b32_e32 v1, 8, v1
	v_lshl_add_u32 v30, v30, 10, 0x2000
	v_lshlrev_b32_e32 v29, 7, v29
	v_and_b32_e32 v1, 0x8000, v1
	v_and_b32_e32 v30, 0xfc00, v30
	v_or3_b32 v29, v1, v30, v29
.LBB240_318:                            ;   in Loop: Header=BB240_295 Depth=1
	s_or_b32 exec_lo, exec_lo, s26
.LBB240_319:                            ;   in Loop: Header=BB240_295 Depth=1
	s_or_b32 exec_lo, exec_lo, s22
.LBB240_320:                            ;   in Loop: Header=BB240_295 Depth=1
	s_or_b32 exec_lo, exec_lo, s1
	s_mov_b32 s1, exec_lo
	v_cmpx_lt_u32_e32 0xffffff, v9
	s_cbranch_execz .LBB240_328
; %bb.321:                              ;   in Loop: Header=BB240_295 Depth=1
	v_lshrrev_b32_e32 v1, 24, v9
	v_bfrev_b32_e32 v28, 1
	s_mov_b32 s22, exec_lo
	v_cmpx_ne_u32_e32 0x80, v1
	s_cbranch_execz .LBB240_327
; %bb.322:                              ;   in Loop: Header=BB240_295 Depth=1
	v_and_b32_e32 v31, 0x7f, v1
	v_mov_b32_e32 v28, 0x7c010000
	s_mov_b32 s26, exec_lo
	v_cmpx_ne_u32_e32 0x7f, v31
	s_cbranch_execz .LBB240_326
; %bb.323:                              ;   in Loop: Header=BB240_295 Depth=1
	v_and_b32_e32 v28, 7, v1
	v_lshrrev_b32_e32 v30, 3, v31
	s_mov_b32 s27, exec_lo
	v_cmpx_gt_u32_e32 8, v31
; %bb.324:                              ;   in Loop: Header=BB240_295 Depth=1
	v_ffbh_u32_e32 v28, v28
	v_min_u32_e32 v28, 32, v28
	v_subrev_nc_u32_e32 v30, 28, v28
	v_lshlrev_b64 v[40:41], v30, v[1:2]
	v_sub_nc_u32_e32 v30, 29, v28
	v_and_b32_e32 v28, 7, v40
; %bb.325:                              ;   in Loop: Header=BB240_295 Depth=1
	s_or_b32 exec_lo, exec_lo, s27
	v_lshlrev_b32_e32 v1, 8, v1
	v_lshl_add_u32 v30, v30, 10, 0x2000
	v_lshlrev_b32_e32 v28, 23, v28
	v_and_or_b32 v1, 0x8000, v1, v30
	v_lshl_or_b32 v28, v1, 16, v28
.LBB240_326:                            ;   in Loop: Header=BB240_295 Depth=1
	s_or_b32 exec_lo, exec_lo, s26
.LBB240_327:                            ;   in Loop: Header=BB240_295 Depth=1
	s_or_b32 exec_lo, exec_lo, s22
.LBB240_328:                            ;   in Loop: Header=BB240_295 Depth=1
	s_or_b32 exec_lo, exec_lo, s1
	v_mov_b32_e32 v1, v10
	v_cmp_ne_u16_sdwa s22, v10, v2 src0_sel:BYTE_0 src1_sel:DWORD
	v_mov_b32_e32 v30, 0
	v_mov_b32_e32 v31, 0
	s_and_saveexec_b32 s1, s22
	s_cbranch_execz .LBB240_336
; %bb.329:                              ;   in Loop: Header=BB240_295 Depth=1
	v_cmp_ne_u16_sdwa s26, v10, v19 src0_sel:BYTE_0 src1_sel:DWORD
	v_mov_b32_e32 v31, 0x8000
	s_and_saveexec_b32 s22, s26
	s_cbranch_execz .LBB240_335
; %bb.330:                              ;   in Loop: Header=BB240_295 Depth=1
	v_and_b32_e32 v41, 0x7f, v10
	v_mov_b32_e32 v31, 0x7c01
	s_mov_b32 s26, exec_lo
	v_cmpx_ne_u32_e32 0x7f, v41
	s_cbranch_execz .LBB240_334
; %bb.331:                              ;   in Loop: Header=BB240_295 Depth=1
	v_and_b32_e32 v31, 7, v10
	v_lshrrev_b32_e32 v40, 3, v41
	s_mov_b32 s27, exec_lo
	v_cmpx_gt_u32_e32 8, v41
; %bb.332:                              ;   in Loop: Header=BB240_295 Depth=1
	v_ffbh_u32_e32 v31, v31
	v_min_u32_e32 v31, 32, v31
	v_subrev_nc_u32_e32 v40, 28, v31
	v_lshlrev_b64 v[41:42], v40, v[1:2]
	v_sub_nc_u32_e32 v40, 29, v31
	v_and_b32_e32 v31, 7, v41
; %bb.333:                              ;   in Loop: Header=BB240_295 Depth=1
	s_or_b32 exec_lo, exec_lo, s27
	v_lshlrev_b32_e32 v41, 8, v10
	v_lshl_add_u32 v40, v40, 10, 0x2000
	v_lshlrev_b32_e32 v31, 7, v31
	v_and_b32_e32 v41, 0x8000, v41
	v_and_b32_e32 v40, 0xfc00, v40
	v_or3_b32 v31, v41, v40, v31
.LBB240_334:                            ;   in Loop: Header=BB240_295 Depth=1
	s_or_b32 exec_lo, exec_lo, s26
.LBB240_335:                            ;   in Loop: Header=BB240_295 Depth=1
	s_or_b32 exec_lo, exec_lo, s22
.LBB240_336:                            ;   in Loop: Header=BB240_295 Depth=1
	s_or_b32 exec_lo, exec_lo, s1
	v_lshrrev_b16 v1, 8, v1
	v_mov_b32_e32 v40, 0
	s_mov_b32 s1, exec_lo
	v_cmpx_ne_u16_e32 0, v1
	s_cbranch_execz .LBB240_344
; %bb.337:                              ;   in Loop: Header=BB240_295 Depth=1
	v_bfrev_b32_e32 v40, 1
	s_mov_b32 s22, exec_lo
	v_cmpx_ne_u16_e32 0x80, v1
	s_cbranch_execz .LBB240_343
; %bb.338:                              ;   in Loop: Header=BB240_295 Depth=1
	v_and_b32_sdwa v42, v1, v20 dst_sel:DWORD dst_unused:UNUSED_PAD src0_sel:WORD_0 src1_sel:DWORD
	v_mov_b32_e32 v40, 0x7c010000
	s_mov_b32 s26, exec_lo
	v_cmpx_ne_u32_e32 0x7f, v42
	s_cbranch_execz .LBB240_342
; %bb.339:                              ;   in Loop: Header=BB240_295 Depth=1
	v_and_b32_sdwa v40, v1, v21 dst_sel:DWORD dst_unused:UNUSED_PAD src0_sel:WORD_0 src1_sel:DWORD
	v_lshrrev_b32_e32 v41, 3, v42
	s_mov_b32 s27, exec_lo
	v_cmpx_gt_u32_e32 8, v42
; %bb.340:                              ;   in Loop: Header=BB240_295 Depth=1
	v_ffbh_u32_e32 v40, v40
	v_min_u32_e32 v42, 32, v40
	v_subrev_nc_u32_e32 v40, 28, v42
	v_lshlrev_b64 v[40:41], v40, v[1:2]
	v_sub_nc_u32_e32 v41, 29, v42
	v_and_b32_e32 v40, 7, v40
; %bb.341:                              ;   in Loop: Header=BB240_295 Depth=1
	s_or_b32 exec_lo, exec_lo, s27
	v_lshlrev_b32_sdwa v1, v22, v1 dst_sel:DWORD dst_unused:UNUSED_PAD src0_sel:DWORD src1_sel:WORD_0
	v_lshl_add_u32 v41, v41, 10, 0x2000
	v_lshlrev_b32_e32 v40, 23, v40
	v_and_or_b32 v1, 0x8000, v1, v41
	v_lshl_or_b32 v40, v1, 16, v40
.LBB240_342:                            ;   in Loop: Header=BB240_295 Depth=1
	s_or_b32 exec_lo, exec_lo, s26
.LBB240_343:                            ;   in Loop: Header=BB240_295 Depth=1
	s_or_b32 exec_lo, exec_lo, s22
.LBB240_344:                            ;   in Loop: Header=BB240_295 Depth=1
	s_or_b32 exec_lo, exec_lo, s1
	v_lshrrev_b32_e32 v1, 16, v10
	v_cmp_ne_u16_sdwa s22, v1, v2 src0_sel:BYTE_0 src1_sel:DWORD
	s_and_saveexec_b32 s1, s22
	s_cbranch_execz .LBB240_352
; %bb.345:                              ;   in Loop: Header=BB240_295 Depth=1
	v_cmp_ne_u16_sdwa s26, v1, v19 src0_sel:BYTE_0 src1_sel:DWORD
	v_mov_b32_e32 v30, 0x8000
	s_and_saveexec_b32 s22, s26
	s_cbranch_execz .LBB240_351
; %bb.346:                              ;   in Loop: Header=BB240_295 Depth=1
	v_bfe_u32 v42, v10, 16, 7
	v_mov_b32_e32 v30, 0x7c01
	s_mov_b32 s26, exec_lo
	v_cmpx_ne_u32_e32 0x7f, v42
	s_cbranch_execz .LBB240_350
; %bb.347:                              ;   in Loop: Header=BB240_295 Depth=1
	v_and_b32_e32 v30, 7, v1
	v_lshrrev_b32_e32 v41, 3, v42
	s_mov_b32 s27, exec_lo
	v_cmpx_gt_u32_e32 8, v42
; %bb.348:                              ;   in Loop: Header=BB240_295 Depth=1
	v_ffbh_u32_e32 v30, v30
	v_min_u32_e32 v30, 32, v30
	v_subrev_nc_u32_e32 v41, 28, v30
	v_lshlrev_b64 v[42:43], v41, v[1:2]
	v_sub_nc_u32_e32 v41, 29, v30
	v_and_b32_e32 v30, 7, v42
; %bb.349:                              ;   in Loop: Header=BB240_295 Depth=1
	s_or_b32 exec_lo, exec_lo, s27
	v_lshlrev_b32_e32 v1, 8, v1
	v_lshl_add_u32 v41, v41, 10, 0x2000
	v_lshlrev_b32_e32 v30, 7, v30
	v_and_b32_e32 v1, 0x8000, v1
	v_and_b32_e32 v41, 0xfc00, v41
	v_or3_b32 v30, v1, v41, v30
.LBB240_350:                            ;   in Loop: Header=BB240_295 Depth=1
	s_or_b32 exec_lo, exec_lo, s26
.LBB240_351:                            ;   in Loop: Header=BB240_295 Depth=1
	s_or_b32 exec_lo, exec_lo, s22
.LBB240_352:                            ;   in Loop: Header=BB240_295 Depth=1
	s_or_b32 exec_lo, exec_lo, s1
	v_cmp_lt_u64_e32 vcc_lo, s[2:3], v[9:10]
	v_mov_b32_e32 v9, 0
	s_and_saveexec_b32 s1, vcc_lo
	s_cbranch_execz .LBB240_360
; %bb.353:                              ;   in Loop: Header=BB240_295 Depth=1
	v_lshrrev_b32_e32 v1, 24, v10
	v_bfrev_b32_e32 v9, 1
	s_mov_b32 s22, exec_lo
	v_cmpx_ne_u32_e32 0x80, v1
	s_cbranch_execz .LBB240_359
; %bb.354:                              ;   in Loop: Header=BB240_295 Depth=1
	v_and_b32_e32 v41, 0x7f, v1
	v_mov_b32_e32 v9, 0x7c010000
	s_mov_b32 s26, exec_lo
	v_cmpx_ne_u32_e32 0x7f, v41
	s_cbranch_execz .LBB240_358
; %bb.355:                              ;   in Loop: Header=BB240_295 Depth=1
	v_and_b32_e32 v9, 7, v1
	v_lshrrev_b32_e32 v10, 3, v41
	s_mov_b32 s27, exec_lo
	v_cmpx_gt_u32_e32 8, v41
; %bb.356:                              ;   in Loop: Header=BB240_295 Depth=1
	v_ffbh_u32_e32 v9, v9
	v_min_u32_e32 v41, 32, v9
	v_subrev_nc_u32_e32 v9, 28, v41
	v_lshlrev_b64 v[9:10], v9, v[1:2]
	v_sub_nc_u32_e32 v10, 29, v41
	v_and_b32_e32 v9, 7, v9
; %bb.357:                              ;   in Loop: Header=BB240_295 Depth=1
	s_or_b32 exec_lo, exec_lo, s27
	v_lshlrev_b32_e32 v1, 8, v1
	v_lshl_add_u32 v10, v10, 10, 0x2000
	v_lshlrev_b32_e32 v9, 23, v9
	v_and_or_b32 v1, 0x8000, v1, v10
	v_lshl_or_b32 v9, v1, 16, v9
.LBB240_358:                            ;   in Loop: Header=BB240_295 Depth=1
	s_or_b32 exec_lo, exec_lo, s26
.LBB240_359:                            ;   in Loop: Header=BB240_295 Depth=1
	s_or_b32 exec_lo, exec_lo, s22
.LBB240_360:                            ;   in Loop: Header=BB240_295 Depth=1
	s_or_b32 exec_lo, exec_lo, s1
	v_or_b32_e32 v1, v28, v29
	v_fma_mixlo_f16 v10, v25, v28, 0 op_sel:[0,1,0] op_sel_hi:[0,1,0]
	v_or_b32_e32 v27, v26, v27
	v_fma_mixlo_f16 v26, v25, v26, 0 op_sel:[0,1,0] op_sel_hi:[0,1,0]
	v_or_b32_e32 v28, v40, v31
	v_fma_mixlo_f16 v1, v25, v1, 0 op_sel_hi:[0,1,0]
	v_or_b32_e32 v29, v9, v30
	v_fma_mixlo_f16 v9, v25, v9, 0 op_sel:[0,1,0] op_sel_hi:[0,1,0]
	v_lshlrev_b32_e32 v46, 16, v26
	v_fma_mixlo_f16 v26, v25, v27, 0 op_sel_hi:[0,1,0]
	v_and_b32_e32 v43, 0xffff, v1
	v_fma_mixlo_f16 v1, v25, v40, 0 op_sel:[0,1,0] op_sel_hi:[0,1,0]
	v_fma_mixlo_f16 v27, v25, v28, 0 op_sel_hi:[0,1,0]
	v_fma_mixlo_f16 v25, v25, v29, 0 op_sel_hi:[0,1,0]
	v_lshlrev_b32_e32 v10, 16, v10
	v_and_b32_e32 v48, 0xffff, v26
	v_lshlrev_b32_e32 v44, 16, v1
	v_and_b32_e32 v47, 0xffff, v27
	;; [unrolled: 2-line block ×3, first 2 shown]
	v_cmp_eq_u32_e32 vcc_lo, s17, v24
	v_or_b32_e32 v1, v10, v43
	v_or_b32_e32 v9, v46, v48
	;; [unrolled: 1-line block ×4, first 2 shown]
	v_add_nc_u32_e32 v31, 1, v12
	v_add_nc_u32_e32 v30, 2, v12
	;; [unrolled: 1-line block ×7, first 2 shown]
	s_and_saveexec_b32 s22, vcc_lo
	s_cbranch_execz .LBB240_362
; %bb.361:                              ;   in Loop: Header=BB240_295 Depth=1
	v_cmp_gt_i32_e64 s1, s33, v12
	v_cndmask_b32_e64 v1, 0, v48, s1
	v_cmp_gt_i32_e64 s1, s33, v31
	v_cndmask_b32_e64 v9, 0, v46, s1
	v_cmp_gt_i32_e64 s1, s33, v30
	v_or_b32_e32 v9, v9, v1
	v_cndmask_b32_e64 v40, 0, v43, s1
	v_cmp_gt_i32_e64 s1, s33, v29
	v_cndmask_b32_e64 v10, 0, v10, s1
	v_cmp_gt_i32_e64 s1, s33, v28
	v_or_b32_e32 v1, v10, v40
	;; [unrolled: 5-line block ×3, first 2 shown]
	v_cndmask_b32_e64 v44, 0, v45, s1
	v_cmp_gt_i32_e64 s1, s33, v25
	v_cndmask_b32_e64 v41, 0, v41, s1
	v_or_b32_e32 v42, v41, v44
.LBB240_362:                            ;   in Loop: Header=BB240_295 Depth=1
	s_or_b32 exec_lo, exec_lo, s22
	v_and_b32_e32 v10, 0xffff, v32
	v_and_b32_e32 v32, 0xffff, v36
	;; [unrolled: 1-line block ×4, first 2 shown]
	v_lshl_or_b32 v37, v33, 16, v10
	v_lshl_or_b32 v36, v34, 16, v32
	;;#ASMSTART
	v_pk_mul_f16 v9, v37, v9;

	;;#ASMEND
	;;#ASMSTART
	v_pk_mul_f16 v1, v36, v1;

	;;#ASMEND
	v_lshl_or_b32 v35, v35, 16, v41
	v_lshl_or_b32 v34, v38, 16, v39
	;;#ASMSTART
	v_pk_mul_f16 v10, v35, v40;

	;;#ASMEND
	;;#ASMSTART
	v_pk_mul_f16 v32, v34, v42;

	;;#ASMEND
	;;#ASMSTART
	v_pk_add_f16 v1, v9, v1;

	;;#ASMEND
	;;#ASMSTART
	v_pk_add_f16 v1, v1, v10;
	;; [unrolled: 4-line block ×3, first 2 shown]

	;;#ASMEND
	v_and_b32_e32 v9, 0xffff, v1
	v_lshrrev_b32_e32 v1, 16, v1
	;;#ASMSTART
	v_cvt_f32_f16 v32, v9;
	;;#ASMEND
	;;#ASMSTART
	v_cvt_f32_f16 v33, v1;
	;;#ASMEND
	global_load_dwordx2 v[9:10], v[7:8], off offset:256
	v_mov_b32_e32 v39, 0
	v_mov_b32_e32 v40, 0
	global_load_dword v38, v39, s[14:15]
	s_waitcnt vmcnt(1)
	v_cmp_ne_u16_sdwa s1, v9, v2 src0_sel:BYTE_0 src1_sel:DWORD
	s_and_saveexec_b32 s22, s1
	s_cbranch_execz .LBB240_370
; %bb.363:                              ;   in Loop: Header=BB240_295 Depth=1
	v_cmp_ne_u16_sdwa s1, v9, v19 src0_sel:BYTE_0 src1_sel:DWORD
	v_mov_b32_e32 v40, 0x8000
	s_and_saveexec_b32 s26, s1
	s_cbranch_execz .LBB240_369
; %bb.364:                              ;   in Loop: Header=BB240_295 Depth=1
	v_and_b32_e32 v41, 0x7f, v9
	v_mov_b32_e32 v40, 0x7c01
	s_mov_b32 s27, exec_lo
	v_cmpx_ne_u32_e32 0x7f, v41
	s_cbranch_execz .LBB240_368
; %bb.365:                              ;   in Loop: Header=BB240_295 Depth=1
	v_and_b32_e32 v1, 7, v9
	v_lshrrev_b32_e32 v40, 3, v41
	s_mov_b32 s28, exec_lo
	v_cmpx_gt_u32_e32 8, v41
; %bb.366:                              ;   in Loop: Header=BB240_295 Depth=1
	v_ffbh_u32_e32 v1, v1
	v_min_u32_e32 v1, 32, v1
	v_subrev_nc_u32_e32 v40, 28, v1
	v_lshlrev_b64 v[41:42], v40, v[9:10]
	v_sub_nc_u32_e32 v40, 29, v1
	v_and_b32_e32 v1, 7, v41
; %bb.367:                              ;   in Loop: Header=BB240_295 Depth=1
	s_or_b32 exec_lo, exec_lo, s28
	v_lshlrev_b32_e32 v41, 8, v9
	v_lshl_add_u32 v40, v40, 10, 0x2000
	v_lshlrev_b32_e32 v1, 7, v1
	v_and_b32_e32 v41, 0x8000, v41
	v_and_b32_e32 v40, 0xfc00, v40
	v_or3_b32 v40, v41, v40, v1
.LBB240_368:                            ;   in Loop: Header=BB240_295 Depth=1
	s_or_b32 exec_lo, exec_lo, s27
.LBB240_369:                            ;   in Loop: Header=BB240_295 Depth=1
	s_or_b32 exec_lo, exec_lo, s26
.LBB240_370:                            ;   in Loop: Header=BB240_295 Depth=1
	s_or_b32 exec_lo, exec_lo, s22
	v_lshrrev_b16 v1, 8, v9
	s_mov_b32 s22, exec_lo
	v_cmpx_ne_u16_e32 0, v1
	s_cbranch_execz .LBB240_378
; %bb.371:                              ;   in Loop: Header=BB240_295 Depth=1
	v_bfrev_b32_e32 v39, 1
	s_mov_b32 s26, exec_lo
	v_cmpx_ne_u16_e32 0x80, v1
	s_cbranch_execz .LBB240_377
; %bb.372:                              ;   in Loop: Header=BB240_295 Depth=1
	v_and_b32_sdwa v42, v1, v20 dst_sel:DWORD dst_unused:UNUSED_PAD src0_sel:WORD_0 src1_sel:DWORD
	v_mov_b32_e32 v39, 0x7c010000
	s_mov_b32 s27, exec_lo
	v_cmpx_ne_u32_e32 0x7f, v42
	s_cbranch_execz .LBB240_376
; %bb.373:                              ;   in Loop: Header=BB240_295 Depth=1
	v_and_b32_sdwa v39, v1, v21 dst_sel:DWORD dst_unused:UNUSED_PAD src0_sel:WORD_0 src1_sel:DWORD
	v_lshrrev_b32_e32 v41, 3, v42
	s_mov_b32 s28, exec_lo
	v_cmpx_gt_u32_e32 8, v42
; %bb.374:                              ;   in Loop: Header=BB240_295 Depth=1
	v_ffbh_u32_e32 v39, v39
	v_min_u32_e32 v39, 32, v39
	v_subrev_nc_u32_e32 v41, 28, v39
	v_lshlrev_b64 v[42:43], v41, v[1:2]
	v_sub_nc_u32_e32 v41, 29, v39
	v_and_b32_e32 v39, 7, v42
; %bb.375:                              ;   in Loop: Header=BB240_295 Depth=1
	s_or_b32 exec_lo, exec_lo, s28
	v_lshlrev_b32_sdwa v1, v22, v1 dst_sel:DWORD dst_unused:UNUSED_PAD src0_sel:DWORD src1_sel:WORD_0
	v_lshl_add_u32 v41, v41, 10, 0x2000
	v_lshlrev_b32_e32 v39, 23, v39
	v_and_or_b32 v1, 0x8000, v1, v41
	v_lshl_or_b32 v39, v1, 16, v39
.LBB240_376:                            ;   in Loop: Header=BB240_295 Depth=1
	s_or_b32 exec_lo, exec_lo, s27
.LBB240_377:                            ;   in Loop: Header=BB240_295 Depth=1
	s_or_b32 exec_lo, exec_lo, s26
.LBB240_378:                            ;   in Loop: Header=BB240_295 Depth=1
	s_or_b32 exec_lo, exec_lo, s22
	v_lshrrev_b32_e32 v1, 16, v9
	v_mov_b32_e32 v41, 0
	v_mov_b32_e32 v42, 0
	v_cmp_ne_u16_sdwa s1, v1, v2 src0_sel:BYTE_0 src1_sel:DWORD
	s_and_saveexec_b32 s22, s1
	s_cbranch_execz .LBB240_386
; %bb.379:                              ;   in Loop: Header=BB240_295 Depth=1
	v_cmp_ne_u16_sdwa s1, v1, v19 src0_sel:BYTE_0 src1_sel:DWORD
	v_mov_b32_e32 v42, 0x8000
	s_and_saveexec_b32 s26, s1
	s_cbranch_execz .LBB240_385
; %bb.380:                              ;   in Loop: Header=BB240_295 Depth=1
	v_bfe_u32 v44, v9, 16, 7
	v_mov_b32_e32 v42, 0x7c01
	s_mov_b32 s27, exec_lo
	v_cmpx_ne_u32_e32 0x7f, v44
	s_cbranch_execz .LBB240_384
; %bb.381:                              ;   in Loop: Header=BB240_295 Depth=1
	v_and_b32_e32 v42, 7, v1
	v_lshrrev_b32_e32 v43, 3, v44
	s_mov_b32 s28, exec_lo
	v_cmpx_gt_u32_e32 8, v44
; %bb.382:                              ;   in Loop: Header=BB240_295 Depth=1
	v_ffbh_u32_e32 v42, v42
	v_min_u32_e32 v44, 32, v42
	v_subrev_nc_u32_e32 v42, 28, v44
	v_lshlrev_b64 v[42:43], v42, v[1:2]
	v_sub_nc_u32_e32 v43, 29, v44
	v_and_b32_e32 v42, 7, v42
; %bb.383:                              ;   in Loop: Header=BB240_295 Depth=1
	s_or_b32 exec_lo, exec_lo, s28
	v_lshlrev_b32_e32 v1, 8, v1
	v_lshl_add_u32 v43, v43, 10, 0x2000
	v_lshlrev_b32_e32 v42, 7, v42
	v_and_b32_e32 v1, 0x8000, v1
	v_and_b32_e32 v43, 0xfc00, v43
	v_or3_b32 v42, v1, v43, v42
.LBB240_384:                            ;   in Loop: Header=BB240_295 Depth=1
	s_or_b32 exec_lo, exec_lo, s27
.LBB240_385:                            ;   in Loop: Header=BB240_295 Depth=1
	s_or_b32 exec_lo, exec_lo, s26
.LBB240_386:                            ;   in Loop: Header=BB240_295 Depth=1
	s_or_b32 exec_lo, exec_lo, s22
	s_mov_b32 s22, exec_lo
	v_cmpx_lt_u32_e32 0xffffff, v9
	s_cbranch_execz .LBB240_394
; %bb.387:                              ;   in Loop: Header=BB240_295 Depth=1
	v_lshrrev_b32_e32 v1, 24, v9
	v_bfrev_b32_e32 v41, 1
	s_mov_b32 s26, exec_lo
	v_cmpx_ne_u32_e32 0x80, v1
	s_cbranch_execz .LBB240_393
; %bb.388:                              ;   in Loop: Header=BB240_295 Depth=1
	v_and_b32_e32 v44, 0x7f, v1
	v_mov_b32_e32 v41, 0x7c010000
	s_mov_b32 s27, exec_lo
	v_cmpx_ne_u32_e32 0x7f, v44
	s_cbranch_execz .LBB240_392
; %bb.389:                              ;   in Loop: Header=BB240_295 Depth=1
	v_and_b32_e32 v41, 7, v1
	v_lshrrev_b32_e32 v43, 3, v44
	s_mov_b32 s28, exec_lo
	v_cmpx_gt_u32_e32 8, v44
; %bb.390:                              ;   in Loop: Header=BB240_295 Depth=1
	v_ffbh_u32_e32 v41, v41
	v_min_u32_e32 v41, 32, v41
	v_subrev_nc_u32_e32 v43, 28, v41
	v_lshlrev_b64 v[44:45], v43, v[1:2]
	v_sub_nc_u32_e32 v43, 29, v41
	v_and_b32_e32 v41, 7, v44
; %bb.391:                              ;   in Loop: Header=BB240_295 Depth=1
	s_or_b32 exec_lo, exec_lo, s28
	v_lshlrev_b32_e32 v1, 8, v1
	v_lshl_add_u32 v43, v43, 10, 0x2000
	v_lshlrev_b32_e32 v41, 23, v41
	v_and_or_b32 v1, 0x8000, v1, v43
	v_lshl_or_b32 v41, v1, 16, v41
.LBB240_392:                            ;   in Loop: Header=BB240_295 Depth=1
	s_or_b32 exec_lo, exec_lo, s27
.LBB240_393:                            ;   in Loop: Header=BB240_295 Depth=1
	s_or_b32 exec_lo, exec_lo, s26
.LBB240_394:                            ;   in Loop: Header=BB240_295 Depth=1
	s_or_b32 exec_lo, exec_lo, s22
	v_mov_b32_e32 v1, v10
	v_cmp_ne_u16_sdwa s1, v10, v2 src0_sel:BYTE_0 src1_sel:DWORD
	v_mov_b32_e32 v43, 0
	v_mov_b32_e32 v44, 0
	s_and_saveexec_b32 s22, s1
	s_cbranch_execz .LBB240_402
; %bb.395:                              ;   in Loop: Header=BB240_295 Depth=1
	v_cmp_ne_u16_sdwa s1, v10, v19 src0_sel:BYTE_0 src1_sel:DWORD
	v_mov_b32_e32 v44, 0x8000
	s_and_saveexec_b32 s26, s1
	s_cbranch_execz .LBB240_401
; %bb.396:                              ;   in Loop: Header=BB240_295 Depth=1
	v_and_b32_e32 v46, 0x7f, v10
	v_mov_b32_e32 v44, 0x7c01
	s_mov_b32 s27, exec_lo
	v_cmpx_ne_u32_e32 0x7f, v46
	s_cbranch_execz .LBB240_400
; %bb.397:                              ;   in Loop: Header=BB240_295 Depth=1
	v_and_b32_e32 v44, 7, v10
	v_lshrrev_b32_e32 v45, 3, v46
	s_mov_b32 s28, exec_lo
	v_cmpx_gt_u32_e32 8, v46
; %bb.398:                              ;   in Loop: Header=BB240_295 Depth=1
	v_ffbh_u32_e32 v44, v44
	v_min_u32_e32 v46, 32, v44
	v_subrev_nc_u32_e32 v44, 28, v46
	v_lshlrev_b64 v[44:45], v44, v[1:2]
	v_sub_nc_u32_e32 v45, 29, v46
	v_and_b32_e32 v44, 7, v44
; %bb.399:                              ;   in Loop: Header=BB240_295 Depth=1
	s_or_b32 exec_lo, exec_lo, s28
	v_lshlrev_b32_e32 v46, 8, v10
	v_lshl_add_u32 v45, v45, 10, 0x2000
	v_lshlrev_b32_e32 v44, 7, v44
	v_and_b32_e32 v46, 0x8000, v46
	v_and_b32_e32 v45, 0xfc00, v45
	v_or3_b32 v44, v46, v45, v44
.LBB240_400:                            ;   in Loop: Header=BB240_295 Depth=1
	s_or_b32 exec_lo, exec_lo, s27
.LBB240_401:                            ;   in Loop: Header=BB240_295 Depth=1
	s_or_b32 exec_lo, exec_lo, s26
.LBB240_402:                            ;   in Loop: Header=BB240_295 Depth=1
	s_or_b32 exec_lo, exec_lo, s22
	v_lshrrev_b16 v1, 8, v1
	v_mov_b32_e32 v45, 0
	s_mov_b32 s22, exec_lo
	v_cmpx_ne_u16_e32 0, v1
	s_cbranch_execz .LBB240_410
; %bb.403:                              ;   in Loop: Header=BB240_295 Depth=1
	v_bfrev_b32_e32 v45, 1
	s_mov_b32 s26, exec_lo
	v_cmpx_ne_u16_e32 0x80, v1
	s_cbranch_execz .LBB240_409
; %bb.404:                              ;   in Loop: Header=BB240_295 Depth=1
	v_and_b32_sdwa v47, v1, v20 dst_sel:DWORD dst_unused:UNUSED_PAD src0_sel:WORD_0 src1_sel:DWORD
	v_mov_b32_e32 v45, 0x7c010000
	s_mov_b32 s27, exec_lo
	v_cmpx_ne_u32_e32 0x7f, v47
	s_cbranch_execz .LBB240_408
; %bb.405:                              ;   in Loop: Header=BB240_295 Depth=1
	v_and_b32_sdwa v45, v1, v21 dst_sel:DWORD dst_unused:UNUSED_PAD src0_sel:WORD_0 src1_sel:DWORD
	v_lshrrev_b32_e32 v46, 3, v47
	s_mov_b32 s28, exec_lo
	v_cmpx_gt_u32_e32 8, v47
; %bb.406:                              ;   in Loop: Header=BB240_295 Depth=1
	v_ffbh_u32_e32 v45, v45
	v_min_u32_e32 v47, 32, v45
	v_subrev_nc_u32_e32 v45, 28, v47
	v_lshlrev_b64 v[45:46], v45, v[1:2]
	v_sub_nc_u32_e32 v46, 29, v47
	v_and_b32_e32 v45, 7, v45
; %bb.407:                              ;   in Loop: Header=BB240_295 Depth=1
	s_or_b32 exec_lo, exec_lo, s28
	v_lshlrev_b32_sdwa v1, v22, v1 dst_sel:DWORD dst_unused:UNUSED_PAD src0_sel:DWORD src1_sel:WORD_0
	v_lshl_add_u32 v46, v46, 10, 0x2000
	v_lshlrev_b32_e32 v45, 23, v45
	v_and_or_b32 v1, 0x8000, v1, v46
	v_lshl_or_b32 v45, v1, 16, v45
.LBB240_408:                            ;   in Loop: Header=BB240_295 Depth=1
	s_or_b32 exec_lo, exec_lo, s27
.LBB240_409:                            ;   in Loop: Header=BB240_295 Depth=1
	s_or_b32 exec_lo, exec_lo, s26
.LBB240_410:                            ;   in Loop: Header=BB240_295 Depth=1
	s_or_b32 exec_lo, exec_lo, s22
	v_lshrrev_b32_e32 v1, 16, v10
	v_cmp_ne_u16_sdwa s1, v1, v2 src0_sel:BYTE_0 src1_sel:DWORD
	s_and_saveexec_b32 s22, s1
	s_cbranch_execz .LBB240_418
; %bb.411:                              ;   in Loop: Header=BB240_295 Depth=1
	v_cmp_ne_u16_sdwa s1, v1, v19 src0_sel:BYTE_0 src1_sel:DWORD
	v_mov_b32_e32 v43, 0x8000
	s_and_saveexec_b32 s26, s1
	s_cbranch_execz .LBB240_417
; %bb.412:                              ;   in Loop: Header=BB240_295 Depth=1
	v_bfe_u32 v47, v10, 16, 7
	v_mov_b32_e32 v43, 0x7c01
	s_mov_b32 s27, exec_lo
	v_cmpx_ne_u32_e32 0x7f, v47
	s_cbranch_execz .LBB240_416
; %bb.413:                              ;   in Loop: Header=BB240_295 Depth=1
	v_and_b32_e32 v43, 7, v1
	v_lshrrev_b32_e32 v46, 3, v47
	s_mov_b32 s28, exec_lo
	v_cmpx_gt_u32_e32 8, v47
; %bb.414:                              ;   in Loop: Header=BB240_295 Depth=1
	v_ffbh_u32_e32 v43, v43
	v_min_u32_e32 v43, 32, v43
	v_subrev_nc_u32_e32 v46, 28, v43
	v_lshlrev_b64 v[47:48], v46, v[1:2]
	v_sub_nc_u32_e32 v46, 29, v43
	v_and_b32_e32 v43, 7, v47
; %bb.415:                              ;   in Loop: Header=BB240_295 Depth=1
	s_or_b32 exec_lo, exec_lo, s28
	v_lshlrev_b32_e32 v1, 8, v1
	v_lshl_add_u32 v46, v46, 10, 0x2000
	v_lshlrev_b32_e32 v43, 7, v43
	v_and_b32_e32 v1, 0x8000, v1
	v_and_b32_e32 v46, 0xfc00, v46
	v_or3_b32 v43, v1, v46, v43
.LBB240_416:                            ;   in Loop: Header=BB240_295 Depth=1
	s_or_b32 exec_lo, exec_lo, s27
.LBB240_417:                            ;   in Loop: Header=BB240_295 Depth=1
	s_or_b32 exec_lo, exec_lo, s26
.LBB240_418:                            ;   in Loop: Header=BB240_295 Depth=1
	s_or_b32 exec_lo, exec_lo, s22
	v_cmp_lt_u64_e64 s1, s[2:3], v[9:10]
	v_mov_b32_e32 v9, 0
	s_and_saveexec_b32 s22, s1
	s_cbranch_execz .LBB240_426
; %bb.419:                              ;   in Loop: Header=BB240_295 Depth=1
	v_lshrrev_b32_e32 v1, 24, v10
	v_bfrev_b32_e32 v9, 1
	s_mov_b32 s26, exec_lo
	v_cmpx_ne_u32_e32 0x80, v1
	s_cbranch_execz .LBB240_425
; %bb.420:                              ;   in Loop: Header=BB240_295 Depth=1
	v_and_b32_e32 v46, 0x7f, v1
	v_mov_b32_e32 v9, 0x7c010000
	s_mov_b32 s27, exec_lo
	v_cmpx_ne_u32_e32 0x7f, v46
	s_cbranch_execz .LBB240_424
; %bb.421:                              ;   in Loop: Header=BB240_295 Depth=1
	v_and_b32_e32 v9, 7, v1
	v_lshrrev_b32_e32 v10, 3, v46
	s_mov_b32 s28, exec_lo
	v_cmpx_gt_u32_e32 8, v46
; %bb.422:                              ;   in Loop: Header=BB240_295 Depth=1
	v_ffbh_u32_e32 v9, v9
	v_min_u32_e32 v46, 32, v9
	v_subrev_nc_u32_e32 v9, 28, v46
	v_lshlrev_b64 v[9:10], v9, v[1:2]
	v_sub_nc_u32_e32 v10, 29, v46
	v_and_b32_e32 v9, 7, v9
; %bb.423:                              ;   in Loop: Header=BB240_295 Depth=1
	s_or_b32 exec_lo, exec_lo, s28
	v_lshlrev_b32_e32 v1, 8, v1
	v_lshl_add_u32 v10, v10, 10, 0x2000
	v_lshlrev_b32_e32 v9, 23, v9
	v_and_or_b32 v1, 0x8000, v1, v10
	v_lshl_or_b32 v9, v1, 16, v9
.LBB240_424:                            ;   in Loop: Header=BB240_295 Depth=1
	s_or_b32 exec_lo, exec_lo, s27
.LBB240_425:                            ;   in Loop: Header=BB240_295 Depth=1
	s_or_b32 exec_lo, exec_lo, s26
.LBB240_426:                            ;   in Loop: Header=BB240_295 Depth=1
	s_or_b32 exec_lo, exec_lo, s22
	v_or_b32_e32 v1, v41, v42
	s_waitcnt vmcnt(0)
	v_fma_mixlo_f16 v10, v38, v41, 0 op_sel:[0,1,0] op_sel_hi:[0,1,0]
	v_or_b32_e32 v41, v39, v40
	v_fma_mixlo_f16 v39, v38, v39, 0 op_sel:[0,1,0] op_sel_hi:[0,1,0]
	v_or_b32_e32 v42, v45, v44
	v_or_b32_e32 v43, v9, v43
	v_fma_mixlo_f16 v44, v38, v1, 0 op_sel_hi:[0,1,0]
	v_fma_mixlo_f16 v9, v38, v9, 0 op_sel:[0,1,0] op_sel_hi:[0,1,0]
	v_lshlrev_b32_e32 v40, 16, v39
	v_fma_mixlo_f16 v39, v38, v41, 0 op_sel_hi:[0,1,0]
	v_fma_mixlo_f16 v41, v38, v45, 0 op_sel:[0,1,0] op_sel_hi:[0,1,0]
	v_fma_mixlo_f16 v42, v38, v42, 0 op_sel_hi:[0,1,0]
	v_fma_mixlo_f16 v43, v38, v43, 0 op_sel_hi:[0,1,0]
	v_lshlrev_b32_e32 v1, 16, v10
	v_and_b32_e32 v10, 0xffff, v44
	v_and_b32_e32 v46, 0xffff, v39
	v_lshlrev_b32_e32 v38, 16, v41
	v_and_b32_e32 v42, 0xffff, v42
	v_lshlrev_b32_e32 v9, 16, v9
	v_and_b32_e32 v39, 0xffff, v43
	v_or_b32_e32 v41, v1, v10
	v_or_b32_e32 v45, v40, v46
	;; [unrolled: 1-line block ×4, first 2 shown]
	s_and_saveexec_b32 s22, vcc_lo
	s_cbranch_execz .LBB240_428
; %bb.427:                              ;   in Loop: Header=BB240_295 Depth=1
	v_cmp_gt_i32_e64 s1, s33, v12
	v_cndmask_b32_e64 v41, 0, v46, s1
	v_cmp_gt_i32_e64 s1, s33, v31
	v_cndmask_b32_e64 v40, 0, v40, s1
	v_cmp_gt_i32_e64 s1, s33, v30
	v_or_b32_e32 v45, v40, v41
	v_cndmask_b32_e64 v10, 0, v10, s1
	v_cmp_gt_i32_e64 s1, s33, v29
	v_cndmask_b32_e64 v1, 0, v1, s1
	v_cmp_gt_i32_e64 s1, s33, v28
	v_or_b32_e32 v41, v1, v10
	;; [unrolled: 5-line block ×3, first 2 shown]
	v_cndmask_b32_e64 v39, 0, v39, s1
	v_cmp_gt_i32_e64 s1, s33, v25
	v_cndmask_b32_e64 v9, 0, v9, s1
	v_or_b32_e32 v43, v9, v39
.LBB240_428:                            ;   in Loop: Header=BB240_295 Depth=1
	s_or_b32 exec_lo, exec_lo, s22
	;;#ASMSTART
	v_pk_mul_f16 v1, v37, v45;

	;;#ASMEND
	;;#ASMSTART
	v_pk_mul_f16 v9, v36, v41;

	;;#ASMEND
	;; [unrolled: 4-line block ×4, first 2 shown]
	;;#ASMSTART
	v_pk_add_f16 v1, v1, v9;

	;;#ASMEND
	;;#ASMSTART
	v_pk_add_f16 v1, v1, v10;

	;;#ASMEND
	;; [unrolled: 4-line block ×3, first 2 shown]
	v_and_b32_e32 v9, 0xffff, v1
	v_lshrrev_b32_e32 v1, 16, v1
	;;#ASMSTART
	v_cvt_f32_f16 v38, v9;
	;;#ASMEND
	;;#ASMSTART
	v_cvt_f32_f16 v39, v1;
	;;#ASMEND
	global_load_dwordx2 v[9:10], v[7:8], off offset:512
	v_mov_b32_e32 v41, 0
	v_mov_b32_e32 v42, 0
	global_load_dword v40, v41, s[14:15]
	s_waitcnt vmcnt(1)
	v_cmp_ne_u16_sdwa s1, v9, v2 src0_sel:BYTE_0 src1_sel:DWORD
	s_and_saveexec_b32 s22, s1
	s_cbranch_execz .LBB240_436
; %bb.429:                              ;   in Loop: Header=BB240_295 Depth=1
	v_cmp_ne_u16_sdwa s1, v9, v19 src0_sel:BYTE_0 src1_sel:DWORD
	v_mov_b32_e32 v42, 0x8000
	s_and_saveexec_b32 s26, s1
	s_cbranch_execz .LBB240_435
; %bb.430:                              ;   in Loop: Header=BB240_295 Depth=1
	v_and_b32_e32 v43, 0x7f, v9
	v_mov_b32_e32 v42, 0x7c01
	s_mov_b32 s27, exec_lo
	v_cmpx_ne_u32_e32 0x7f, v43
	s_cbranch_execz .LBB240_434
; %bb.431:                              ;   in Loop: Header=BB240_295 Depth=1
	v_and_b32_e32 v1, 7, v9
	v_lshrrev_b32_e32 v42, 3, v43
	s_mov_b32 s28, exec_lo
	v_cmpx_gt_u32_e32 8, v43
; %bb.432:                              ;   in Loop: Header=BB240_295 Depth=1
	v_ffbh_u32_e32 v1, v1
	v_min_u32_e32 v1, 32, v1
	v_subrev_nc_u32_e32 v42, 28, v1
	v_lshlrev_b64 v[43:44], v42, v[9:10]
	v_sub_nc_u32_e32 v42, 29, v1
	v_and_b32_e32 v1, 7, v43
; %bb.433:                              ;   in Loop: Header=BB240_295 Depth=1
	s_or_b32 exec_lo, exec_lo, s28
	v_lshlrev_b32_e32 v43, 8, v9
	v_lshl_add_u32 v42, v42, 10, 0x2000
	v_lshlrev_b32_e32 v1, 7, v1
	v_and_b32_e32 v43, 0x8000, v43
	v_and_b32_e32 v42, 0xfc00, v42
	v_or3_b32 v42, v43, v42, v1
.LBB240_434:                            ;   in Loop: Header=BB240_295 Depth=1
	s_or_b32 exec_lo, exec_lo, s27
.LBB240_435:                            ;   in Loop: Header=BB240_295 Depth=1
	s_or_b32 exec_lo, exec_lo, s26
.LBB240_436:                            ;   in Loop: Header=BB240_295 Depth=1
	s_or_b32 exec_lo, exec_lo, s22
	v_lshrrev_b16 v1, 8, v9
	s_mov_b32 s22, exec_lo
	v_cmpx_ne_u16_e32 0, v1
	s_cbranch_execz .LBB240_444
; %bb.437:                              ;   in Loop: Header=BB240_295 Depth=1
	v_bfrev_b32_e32 v41, 1
	s_mov_b32 s26, exec_lo
	v_cmpx_ne_u16_e32 0x80, v1
	s_cbranch_execz .LBB240_443
; %bb.438:                              ;   in Loop: Header=BB240_295 Depth=1
	v_and_b32_sdwa v44, v1, v20 dst_sel:DWORD dst_unused:UNUSED_PAD src0_sel:WORD_0 src1_sel:DWORD
	v_mov_b32_e32 v41, 0x7c010000
	s_mov_b32 s27, exec_lo
	v_cmpx_ne_u32_e32 0x7f, v44
	s_cbranch_execz .LBB240_442
; %bb.439:                              ;   in Loop: Header=BB240_295 Depth=1
	v_and_b32_sdwa v41, v1, v21 dst_sel:DWORD dst_unused:UNUSED_PAD src0_sel:WORD_0 src1_sel:DWORD
	v_lshrrev_b32_e32 v43, 3, v44
	s_mov_b32 s28, exec_lo
	v_cmpx_gt_u32_e32 8, v44
; %bb.440:                              ;   in Loop: Header=BB240_295 Depth=1
	v_ffbh_u32_e32 v41, v41
	v_min_u32_e32 v41, 32, v41
	v_subrev_nc_u32_e32 v43, 28, v41
	v_lshlrev_b64 v[44:45], v43, v[1:2]
	v_sub_nc_u32_e32 v43, 29, v41
	v_and_b32_e32 v41, 7, v44
; %bb.441:                              ;   in Loop: Header=BB240_295 Depth=1
	s_or_b32 exec_lo, exec_lo, s28
	v_lshlrev_b32_sdwa v1, v22, v1 dst_sel:DWORD dst_unused:UNUSED_PAD src0_sel:DWORD src1_sel:WORD_0
	v_lshl_add_u32 v43, v43, 10, 0x2000
	v_lshlrev_b32_e32 v41, 23, v41
	v_and_or_b32 v1, 0x8000, v1, v43
	v_lshl_or_b32 v41, v1, 16, v41
.LBB240_442:                            ;   in Loop: Header=BB240_295 Depth=1
	s_or_b32 exec_lo, exec_lo, s27
.LBB240_443:                            ;   in Loop: Header=BB240_295 Depth=1
	s_or_b32 exec_lo, exec_lo, s26
.LBB240_444:                            ;   in Loop: Header=BB240_295 Depth=1
	s_or_b32 exec_lo, exec_lo, s22
	v_lshrrev_b32_e32 v1, 16, v9
	v_mov_b32_e32 v43, 0
	v_mov_b32_e32 v44, 0
	v_cmp_ne_u16_sdwa s1, v1, v2 src0_sel:BYTE_0 src1_sel:DWORD
	s_and_saveexec_b32 s22, s1
	s_cbranch_execz .LBB240_452
; %bb.445:                              ;   in Loop: Header=BB240_295 Depth=1
	v_cmp_ne_u16_sdwa s1, v1, v19 src0_sel:BYTE_0 src1_sel:DWORD
	v_mov_b32_e32 v44, 0x8000
	s_and_saveexec_b32 s26, s1
	s_cbranch_execz .LBB240_451
; %bb.446:                              ;   in Loop: Header=BB240_295 Depth=1
	v_bfe_u32 v46, v9, 16, 7
	v_mov_b32_e32 v44, 0x7c01
	s_mov_b32 s27, exec_lo
	v_cmpx_ne_u32_e32 0x7f, v46
	s_cbranch_execz .LBB240_450
; %bb.447:                              ;   in Loop: Header=BB240_295 Depth=1
	v_and_b32_e32 v44, 7, v1
	v_lshrrev_b32_e32 v45, 3, v46
	s_mov_b32 s28, exec_lo
	v_cmpx_gt_u32_e32 8, v46
; %bb.448:                              ;   in Loop: Header=BB240_295 Depth=1
	v_ffbh_u32_e32 v44, v44
	v_min_u32_e32 v46, 32, v44
	v_subrev_nc_u32_e32 v44, 28, v46
	v_lshlrev_b64 v[44:45], v44, v[1:2]
	v_sub_nc_u32_e32 v45, 29, v46
	v_and_b32_e32 v44, 7, v44
; %bb.449:                              ;   in Loop: Header=BB240_295 Depth=1
	s_or_b32 exec_lo, exec_lo, s28
	v_lshlrev_b32_e32 v1, 8, v1
	v_lshl_add_u32 v45, v45, 10, 0x2000
	v_lshlrev_b32_e32 v44, 7, v44
	v_and_b32_e32 v1, 0x8000, v1
	v_and_b32_e32 v45, 0xfc00, v45
	v_or3_b32 v44, v1, v45, v44
.LBB240_450:                            ;   in Loop: Header=BB240_295 Depth=1
	s_or_b32 exec_lo, exec_lo, s27
.LBB240_451:                            ;   in Loop: Header=BB240_295 Depth=1
	s_or_b32 exec_lo, exec_lo, s26
.LBB240_452:                            ;   in Loop: Header=BB240_295 Depth=1
	s_or_b32 exec_lo, exec_lo, s22
	s_mov_b32 s22, exec_lo
	v_cmpx_lt_u32_e32 0xffffff, v9
	s_cbranch_execz .LBB240_460
; %bb.453:                              ;   in Loop: Header=BB240_295 Depth=1
	v_lshrrev_b32_e32 v1, 24, v9
	v_bfrev_b32_e32 v43, 1
	s_mov_b32 s26, exec_lo
	v_cmpx_ne_u32_e32 0x80, v1
	s_cbranch_execz .LBB240_459
; %bb.454:                              ;   in Loop: Header=BB240_295 Depth=1
	v_and_b32_e32 v46, 0x7f, v1
	v_mov_b32_e32 v43, 0x7c010000
	s_mov_b32 s27, exec_lo
	v_cmpx_ne_u32_e32 0x7f, v46
	s_cbranch_execz .LBB240_458
; %bb.455:                              ;   in Loop: Header=BB240_295 Depth=1
	v_and_b32_e32 v43, 7, v1
	v_lshrrev_b32_e32 v45, 3, v46
	s_mov_b32 s28, exec_lo
	v_cmpx_gt_u32_e32 8, v46
; %bb.456:                              ;   in Loop: Header=BB240_295 Depth=1
	v_ffbh_u32_e32 v43, v43
	v_min_u32_e32 v43, 32, v43
	v_subrev_nc_u32_e32 v45, 28, v43
	v_lshlrev_b64 v[46:47], v45, v[1:2]
	v_sub_nc_u32_e32 v45, 29, v43
	v_and_b32_e32 v43, 7, v46
; %bb.457:                              ;   in Loop: Header=BB240_295 Depth=1
	s_or_b32 exec_lo, exec_lo, s28
	v_lshlrev_b32_e32 v1, 8, v1
	v_lshl_add_u32 v45, v45, 10, 0x2000
	v_lshlrev_b32_e32 v43, 23, v43
	v_and_or_b32 v1, 0x8000, v1, v45
	v_lshl_or_b32 v43, v1, 16, v43
.LBB240_458:                            ;   in Loop: Header=BB240_295 Depth=1
	s_or_b32 exec_lo, exec_lo, s27
.LBB240_459:                            ;   in Loop: Header=BB240_295 Depth=1
	s_or_b32 exec_lo, exec_lo, s26
.LBB240_460:                            ;   in Loop: Header=BB240_295 Depth=1
	s_or_b32 exec_lo, exec_lo, s22
	v_mov_b32_e32 v1, v10
	v_cmp_ne_u16_sdwa s1, v10, v2 src0_sel:BYTE_0 src1_sel:DWORD
	v_mov_b32_e32 v45, 0
	v_mov_b32_e32 v46, 0
	s_and_saveexec_b32 s22, s1
	s_cbranch_execz .LBB240_468
; %bb.461:                              ;   in Loop: Header=BB240_295 Depth=1
	v_cmp_ne_u16_sdwa s1, v10, v19 src0_sel:BYTE_0 src1_sel:DWORD
	v_mov_b32_e32 v46, 0x8000
	s_and_saveexec_b32 s26, s1
	s_cbranch_execz .LBB240_467
; %bb.462:                              ;   in Loop: Header=BB240_295 Depth=1
	v_and_b32_e32 v48, 0x7f, v10
	v_mov_b32_e32 v46, 0x7c01
	s_mov_b32 s27, exec_lo
	v_cmpx_ne_u32_e32 0x7f, v48
	s_cbranch_execz .LBB240_466
; %bb.463:                              ;   in Loop: Header=BB240_295 Depth=1
	v_and_b32_e32 v46, 7, v10
	v_lshrrev_b32_e32 v47, 3, v48
	s_mov_b32 s28, exec_lo
	v_cmpx_gt_u32_e32 8, v48
; %bb.464:                              ;   in Loop: Header=BB240_295 Depth=1
	v_ffbh_u32_e32 v46, v46
	v_min_u32_e32 v48, 32, v46
	v_subrev_nc_u32_e32 v46, 28, v48
	v_lshlrev_b64 v[46:47], v46, v[1:2]
	v_sub_nc_u32_e32 v47, 29, v48
	v_and_b32_e32 v46, 7, v46
; %bb.465:                              ;   in Loop: Header=BB240_295 Depth=1
	s_or_b32 exec_lo, exec_lo, s28
	v_lshlrev_b32_e32 v48, 8, v10
	v_lshl_add_u32 v47, v47, 10, 0x2000
	v_lshlrev_b32_e32 v46, 7, v46
	v_and_b32_e32 v48, 0x8000, v48
	v_and_b32_e32 v47, 0xfc00, v47
	v_or3_b32 v46, v48, v47, v46
.LBB240_466:                            ;   in Loop: Header=BB240_295 Depth=1
	s_or_b32 exec_lo, exec_lo, s27
.LBB240_467:                            ;   in Loop: Header=BB240_295 Depth=1
	s_or_b32 exec_lo, exec_lo, s26
.LBB240_468:                            ;   in Loop: Header=BB240_295 Depth=1
	s_or_b32 exec_lo, exec_lo, s22
	v_lshrrev_b16 v1, 8, v1
	v_mov_b32_e32 v47, 0
	s_mov_b32 s22, exec_lo
	v_cmpx_ne_u16_e32 0, v1
	s_cbranch_execz .LBB240_476
; %bb.469:                              ;   in Loop: Header=BB240_295 Depth=1
	v_bfrev_b32_e32 v47, 1
	s_mov_b32 s26, exec_lo
	v_cmpx_ne_u16_e32 0x80, v1
	s_cbranch_execz .LBB240_475
; %bb.470:                              ;   in Loop: Header=BB240_295 Depth=1
	v_and_b32_sdwa v49, v1, v20 dst_sel:DWORD dst_unused:UNUSED_PAD src0_sel:WORD_0 src1_sel:DWORD
	v_mov_b32_e32 v47, 0x7c010000
	s_mov_b32 s27, exec_lo
	v_cmpx_ne_u32_e32 0x7f, v49
	s_cbranch_execz .LBB240_474
; %bb.471:                              ;   in Loop: Header=BB240_295 Depth=1
	v_and_b32_sdwa v47, v1, v21 dst_sel:DWORD dst_unused:UNUSED_PAD src0_sel:WORD_0 src1_sel:DWORD
	v_lshrrev_b32_e32 v48, 3, v49
	s_mov_b32 s28, exec_lo
	v_cmpx_gt_u32_e32 8, v49
; %bb.472:                              ;   in Loop: Header=BB240_295 Depth=1
	v_ffbh_u32_e32 v47, v47
	v_min_u32_e32 v49, 32, v47
	v_subrev_nc_u32_e32 v47, 28, v49
	v_lshlrev_b64 v[47:48], v47, v[1:2]
	v_sub_nc_u32_e32 v48, 29, v49
	v_and_b32_e32 v47, 7, v47
; %bb.473:                              ;   in Loop: Header=BB240_295 Depth=1
	s_or_b32 exec_lo, exec_lo, s28
	v_lshlrev_b32_sdwa v1, v22, v1 dst_sel:DWORD dst_unused:UNUSED_PAD src0_sel:DWORD src1_sel:WORD_0
	v_lshl_add_u32 v48, v48, 10, 0x2000
	v_lshlrev_b32_e32 v47, 23, v47
	v_and_or_b32 v1, 0x8000, v1, v48
	v_lshl_or_b32 v47, v1, 16, v47
.LBB240_474:                            ;   in Loop: Header=BB240_295 Depth=1
	s_or_b32 exec_lo, exec_lo, s27
.LBB240_475:                            ;   in Loop: Header=BB240_295 Depth=1
	s_or_b32 exec_lo, exec_lo, s26
.LBB240_476:                            ;   in Loop: Header=BB240_295 Depth=1
	s_or_b32 exec_lo, exec_lo, s22
	v_lshrrev_b32_e32 v1, 16, v10
	v_cmp_ne_u16_sdwa s1, v1, v2 src0_sel:BYTE_0 src1_sel:DWORD
	s_and_saveexec_b32 s22, s1
	s_cbranch_execz .LBB240_484
; %bb.477:                              ;   in Loop: Header=BB240_295 Depth=1
	v_cmp_ne_u16_sdwa s1, v1, v19 src0_sel:BYTE_0 src1_sel:DWORD
	v_mov_b32_e32 v45, 0x8000
	s_and_saveexec_b32 s26, s1
	s_cbranch_execz .LBB240_483
; %bb.478:                              ;   in Loop: Header=BB240_295 Depth=1
	v_bfe_u32 v49, v10, 16, 7
	v_mov_b32_e32 v45, 0x7c01
	s_mov_b32 s27, exec_lo
	v_cmpx_ne_u32_e32 0x7f, v49
	s_cbranch_execz .LBB240_482
; %bb.479:                              ;   in Loop: Header=BB240_295 Depth=1
	v_and_b32_e32 v45, 7, v1
	v_lshrrev_b32_e32 v48, 3, v49
	s_mov_b32 s28, exec_lo
	v_cmpx_gt_u32_e32 8, v49
; %bb.480:                              ;   in Loop: Header=BB240_295 Depth=1
	v_ffbh_u32_e32 v45, v45
	v_min_u32_e32 v45, 32, v45
	v_subrev_nc_u32_e32 v48, 28, v45
	v_lshlrev_b64 v[49:50], v48, v[1:2]
	v_sub_nc_u32_e32 v48, 29, v45
	v_and_b32_e32 v45, 7, v49
; %bb.481:                              ;   in Loop: Header=BB240_295 Depth=1
	s_or_b32 exec_lo, exec_lo, s28
	v_lshlrev_b32_e32 v1, 8, v1
	v_lshl_add_u32 v48, v48, 10, 0x2000
	v_lshlrev_b32_e32 v45, 7, v45
	v_and_b32_e32 v1, 0x8000, v1
	v_and_b32_e32 v48, 0xfc00, v48
	v_or3_b32 v45, v1, v48, v45
.LBB240_482:                            ;   in Loop: Header=BB240_295 Depth=1
	s_or_b32 exec_lo, exec_lo, s27
.LBB240_483:                            ;   in Loop: Header=BB240_295 Depth=1
	s_or_b32 exec_lo, exec_lo, s26
.LBB240_484:                            ;   in Loop: Header=BB240_295 Depth=1
	s_or_b32 exec_lo, exec_lo, s22
	v_cmp_lt_u64_e64 s1, s[2:3], v[9:10]
	v_mov_b32_e32 v9, 0
	s_and_saveexec_b32 s22, s1
	s_cbranch_execz .LBB240_492
; %bb.485:                              ;   in Loop: Header=BB240_295 Depth=1
	v_lshrrev_b32_e32 v1, 24, v10
	v_bfrev_b32_e32 v9, 1
	s_mov_b32 s26, exec_lo
	v_cmpx_ne_u32_e32 0x80, v1
	s_cbranch_execz .LBB240_491
; %bb.486:                              ;   in Loop: Header=BB240_295 Depth=1
	v_and_b32_e32 v48, 0x7f, v1
	v_mov_b32_e32 v9, 0x7c010000
	s_mov_b32 s27, exec_lo
	v_cmpx_ne_u32_e32 0x7f, v48
	s_cbranch_execz .LBB240_490
; %bb.487:                              ;   in Loop: Header=BB240_295 Depth=1
	v_and_b32_e32 v9, 7, v1
	v_lshrrev_b32_e32 v10, 3, v48
	s_mov_b32 s28, exec_lo
	v_cmpx_gt_u32_e32 8, v48
; %bb.488:                              ;   in Loop: Header=BB240_295 Depth=1
	v_ffbh_u32_e32 v9, v9
	v_min_u32_e32 v48, 32, v9
	v_subrev_nc_u32_e32 v9, 28, v48
	v_lshlrev_b64 v[9:10], v9, v[1:2]
	v_sub_nc_u32_e32 v10, 29, v48
	v_and_b32_e32 v9, 7, v9
; %bb.489:                              ;   in Loop: Header=BB240_295 Depth=1
	s_or_b32 exec_lo, exec_lo, s28
	v_lshlrev_b32_e32 v1, 8, v1
	v_lshl_add_u32 v10, v10, 10, 0x2000
	v_lshlrev_b32_e32 v9, 23, v9
	v_and_or_b32 v1, 0x8000, v1, v10
	v_lshl_or_b32 v9, v1, 16, v9
.LBB240_490:                            ;   in Loop: Header=BB240_295 Depth=1
	s_or_b32 exec_lo, exec_lo, s27
.LBB240_491:                            ;   in Loop: Header=BB240_295 Depth=1
	s_or_b32 exec_lo, exec_lo, s26
.LBB240_492:                            ;   in Loop: Header=BB240_295 Depth=1
	s_or_b32 exec_lo, exec_lo, s22
	v_or_b32_e32 v1, v43, v44
	s_waitcnt vmcnt(0)
	v_fma_mixlo_f16 v10, v40, v43, 0 op_sel:[0,1,0] op_sel_hi:[0,1,0]
	v_or_b32_e32 v43, v41, v42
	v_fma_mixlo_f16 v41, v40, v41, 0 op_sel:[0,1,0] op_sel_hi:[0,1,0]
	v_or_b32_e32 v44, v47, v46
	v_or_b32_e32 v45, v9, v45
	v_fma_mixlo_f16 v46, v40, v1, 0 op_sel_hi:[0,1,0]
	v_fma_mixlo_f16 v9, v40, v9, 0 op_sel:[0,1,0] op_sel_hi:[0,1,0]
	v_lshlrev_b32_e32 v42, 16, v41
	v_fma_mixlo_f16 v41, v40, v43, 0 op_sel_hi:[0,1,0]
	v_fma_mixlo_f16 v43, v40, v47, 0 op_sel:[0,1,0] op_sel_hi:[0,1,0]
	v_fma_mixlo_f16 v44, v40, v44, 0 op_sel_hi:[0,1,0]
	v_fma_mixlo_f16 v45, v40, v45, 0 op_sel_hi:[0,1,0]
	v_lshlrev_b32_e32 v1, 16, v10
	v_and_b32_e32 v10, 0xffff, v46
	v_and_b32_e32 v48, 0xffff, v41
	v_lshlrev_b32_e32 v40, 16, v43
	v_and_b32_e32 v44, 0xffff, v44
	v_lshlrev_b32_e32 v9, 16, v9
	v_and_b32_e32 v41, 0xffff, v45
	v_or_b32_e32 v43, v1, v10
	v_or_b32_e32 v47, v42, v48
	;; [unrolled: 1-line block ×4, first 2 shown]
	s_and_saveexec_b32 s22, vcc_lo
	s_cbranch_execz .LBB240_494
; %bb.493:                              ;   in Loop: Header=BB240_295 Depth=1
	v_cmp_gt_i32_e64 s1, s33, v12
	v_cndmask_b32_e64 v43, 0, v48, s1
	v_cmp_gt_i32_e64 s1, s33, v31
	v_cndmask_b32_e64 v42, 0, v42, s1
	v_cmp_gt_i32_e64 s1, s33, v30
	v_or_b32_e32 v47, v42, v43
	v_cndmask_b32_e64 v10, 0, v10, s1
	v_cmp_gt_i32_e64 s1, s33, v29
	v_cndmask_b32_e64 v1, 0, v1, s1
	v_cmp_gt_i32_e64 s1, s33, v28
	v_or_b32_e32 v43, v1, v10
	v_cndmask_b32_e64 v44, 0, v44, s1
	v_cmp_gt_i32_e64 s1, s33, v27
	v_cndmask_b32_e64 v40, 0, v40, s1
	v_cmp_gt_i32_e64 s1, s33, v26
	v_or_b32_e32 v46, v40, v44
	v_cndmask_b32_e64 v41, 0, v41, s1
	v_cmp_gt_i32_e64 s1, s33, v25
	v_cndmask_b32_e64 v9, 0, v9, s1
	v_or_b32_e32 v45, v9, v41
.LBB240_494:                            ;   in Loop: Header=BB240_295 Depth=1
	s_or_b32 exec_lo, exec_lo, s22
	;;#ASMSTART
	v_pk_mul_f16 v1, v37, v47;

	;;#ASMEND
	;;#ASMSTART
	v_pk_mul_f16 v9, v36, v43;

	;;#ASMEND
	;; [unrolled: 4-line block ×4, first 2 shown]
	;;#ASMSTART
	v_pk_add_f16 v1, v1, v9;

	;;#ASMEND
	;;#ASMSTART
	v_pk_add_f16 v1, v1, v10;

	;;#ASMEND
	;; [unrolled: 4-line block ×3, first 2 shown]
	v_and_b32_e32 v9, 0xffff, v1
	v_lshrrev_b32_e32 v1, 16, v1
	;;#ASMSTART
	v_cvt_f32_f16 v9, v9;
	;;#ASMEND
	;;#ASMSTART
	v_cvt_f32_f16 v10, v1;
	;;#ASMEND
	global_load_dwordx2 v[7:8], v[7:8], off offset:768
	v_mov_b32_e32 v41, 0
	v_mov_b32_e32 v42, 0
	global_load_dword v40, v41, s[14:15]
	s_waitcnt vmcnt(1)
	v_cmp_ne_u16_sdwa s1, v7, v2 src0_sel:BYTE_0 src1_sel:DWORD
	s_and_saveexec_b32 s22, s1
	s_cbranch_execz .LBB240_502
; %bb.495:                              ;   in Loop: Header=BB240_295 Depth=1
	v_cmp_ne_u16_sdwa s1, v7, v19 src0_sel:BYTE_0 src1_sel:DWORD
	v_mov_b32_e32 v42, 0x8000
	s_and_saveexec_b32 s26, s1
	s_cbranch_execz .LBB240_501
; %bb.496:                              ;   in Loop: Header=BB240_295 Depth=1
	v_and_b32_e32 v43, 0x7f, v7
	v_mov_b32_e32 v42, 0x7c01
	s_mov_b32 s27, exec_lo
	v_cmpx_ne_u32_e32 0x7f, v43
	s_cbranch_execz .LBB240_500
; %bb.497:                              ;   in Loop: Header=BB240_295 Depth=1
	v_and_b32_e32 v1, 7, v7
	v_lshrrev_b32_e32 v42, 3, v43
	s_mov_b32 s28, exec_lo
	v_cmpx_gt_u32_e32 8, v43
; %bb.498:                              ;   in Loop: Header=BB240_295 Depth=1
	v_ffbh_u32_e32 v1, v1
	v_min_u32_e32 v1, 32, v1
	v_subrev_nc_u32_e32 v42, 28, v1
	v_lshlrev_b64 v[43:44], v42, v[7:8]
	v_sub_nc_u32_e32 v42, 29, v1
	v_and_b32_e32 v1, 7, v43
; %bb.499:                              ;   in Loop: Header=BB240_295 Depth=1
	s_or_b32 exec_lo, exec_lo, s28
	v_lshlrev_b32_e32 v43, 8, v7
	v_lshl_add_u32 v42, v42, 10, 0x2000
	v_lshlrev_b32_e32 v1, 7, v1
	v_and_b32_e32 v43, 0x8000, v43
	v_and_b32_e32 v42, 0xfc00, v42
	v_or3_b32 v42, v43, v42, v1
.LBB240_500:                            ;   in Loop: Header=BB240_295 Depth=1
	s_or_b32 exec_lo, exec_lo, s27
.LBB240_501:                            ;   in Loop: Header=BB240_295 Depth=1
	s_or_b32 exec_lo, exec_lo, s26
.LBB240_502:                            ;   in Loop: Header=BB240_295 Depth=1
	s_or_b32 exec_lo, exec_lo, s22
	v_lshrrev_b16 v1, 8, v7
	s_mov_b32 s22, exec_lo
	v_cmpx_ne_u16_e32 0, v1
	s_cbranch_execz .LBB240_510
; %bb.503:                              ;   in Loop: Header=BB240_295 Depth=1
	v_bfrev_b32_e32 v41, 1
	s_mov_b32 s26, exec_lo
	v_cmpx_ne_u16_e32 0x80, v1
	s_cbranch_execz .LBB240_509
; %bb.504:                              ;   in Loop: Header=BB240_295 Depth=1
	v_and_b32_sdwa v44, v1, v20 dst_sel:DWORD dst_unused:UNUSED_PAD src0_sel:WORD_0 src1_sel:DWORD
	v_mov_b32_e32 v41, 0x7c010000
	s_mov_b32 s27, exec_lo
	v_cmpx_ne_u32_e32 0x7f, v44
	s_cbranch_execz .LBB240_508
; %bb.505:                              ;   in Loop: Header=BB240_295 Depth=1
	v_and_b32_sdwa v41, v1, v21 dst_sel:DWORD dst_unused:UNUSED_PAD src0_sel:WORD_0 src1_sel:DWORD
	v_lshrrev_b32_e32 v43, 3, v44
	s_mov_b32 s28, exec_lo
	v_cmpx_gt_u32_e32 8, v44
; %bb.506:                              ;   in Loop: Header=BB240_295 Depth=1
	v_ffbh_u32_e32 v41, v41
	v_min_u32_e32 v41, 32, v41
	v_subrev_nc_u32_e32 v43, 28, v41
	v_lshlrev_b64 v[44:45], v43, v[1:2]
	v_sub_nc_u32_e32 v43, 29, v41
	v_and_b32_e32 v41, 7, v44
; %bb.507:                              ;   in Loop: Header=BB240_295 Depth=1
	s_or_b32 exec_lo, exec_lo, s28
	v_lshlrev_b32_sdwa v1, v22, v1 dst_sel:DWORD dst_unused:UNUSED_PAD src0_sel:DWORD src1_sel:WORD_0
	v_lshl_add_u32 v43, v43, 10, 0x2000
	v_lshlrev_b32_e32 v41, 23, v41
	v_and_or_b32 v1, 0x8000, v1, v43
	v_lshl_or_b32 v41, v1, 16, v41
.LBB240_508:                            ;   in Loop: Header=BB240_295 Depth=1
	s_or_b32 exec_lo, exec_lo, s27
.LBB240_509:                            ;   in Loop: Header=BB240_295 Depth=1
	s_or_b32 exec_lo, exec_lo, s26
.LBB240_510:                            ;   in Loop: Header=BB240_295 Depth=1
	s_or_b32 exec_lo, exec_lo, s22
	v_lshrrev_b32_e32 v1, 16, v7
	v_mov_b32_e32 v43, 0
	v_mov_b32_e32 v44, 0
	v_cmp_ne_u16_sdwa s1, v1, v2 src0_sel:BYTE_0 src1_sel:DWORD
	s_and_saveexec_b32 s22, s1
	s_cbranch_execz .LBB240_518
; %bb.511:                              ;   in Loop: Header=BB240_295 Depth=1
	v_cmp_ne_u16_sdwa s1, v1, v19 src0_sel:BYTE_0 src1_sel:DWORD
	v_mov_b32_e32 v44, 0x8000
	s_and_saveexec_b32 s26, s1
	s_cbranch_execz .LBB240_517
; %bb.512:                              ;   in Loop: Header=BB240_295 Depth=1
	v_bfe_u32 v46, v7, 16, 7
	v_mov_b32_e32 v44, 0x7c01
	s_mov_b32 s27, exec_lo
	v_cmpx_ne_u32_e32 0x7f, v46
	s_cbranch_execz .LBB240_516
; %bb.513:                              ;   in Loop: Header=BB240_295 Depth=1
	v_and_b32_e32 v44, 7, v1
	v_lshrrev_b32_e32 v45, 3, v46
	s_mov_b32 s28, exec_lo
	v_cmpx_gt_u32_e32 8, v46
; %bb.514:                              ;   in Loop: Header=BB240_295 Depth=1
	v_ffbh_u32_e32 v44, v44
	v_min_u32_e32 v46, 32, v44
	v_subrev_nc_u32_e32 v44, 28, v46
	v_lshlrev_b64 v[44:45], v44, v[1:2]
	v_sub_nc_u32_e32 v45, 29, v46
	v_and_b32_e32 v44, 7, v44
; %bb.515:                              ;   in Loop: Header=BB240_295 Depth=1
	s_or_b32 exec_lo, exec_lo, s28
	v_lshlrev_b32_e32 v1, 8, v1
	v_lshl_add_u32 v45, v45, 10, 0x2000
	v_lshlrev_b32_e32 v44, 7, v44
	v_and_b32_e32 v1, 0x8000, v1
	v_and_b32_e32 v45, 0xfc00, v45
	v_or3_b32 v44, v1, v45, v44
.LBB240_516:                            ;   in Loop: Header=BB240_295 Depth=1
	s_or_b32 exec_lo, exec_lo, s27
.LBB240_517:                            ;   in Loop: Header=BB240_295 Depth=1
	s_or_b32 exec_lo, exec_lo, s26
.LBB240_518:                            ;   in Loop: Header=BB240_295 Depth=1
	s_or_b32 exec_lo, exec_lo, s22
	s_mov_b32 s22, exec_lo
	v_cmpx_lt_u32_e32 0xffffff, v7
	s_cbranch_execz .LBB240_526
; %bb.519:                              ;   in Loop: Header=BB240_295 Depth=1
	v_lshrrev_b32_e32 v1, 24, v7
	v_bfrev_b32_e32 v43, 1
	s_mov_b32 s26, exec_lo
	v_cmpx_ne_u32_e32 0x80, v1
	s_cbranch_execz .LBB240_525
; %bb.520:                              ;   in Loop: Header=BB240_295 Depth=1
	v_and_b32_e32 v46, 0x7f, v1
	v_mov_b32_e32 v43, 0x7c010000
	s_mov_b32 s27, exec_lo
	v_cmpx_ne_u32_e32 0x7f, v46
	s_cbranch_execz .LBB240_524
; %bb.521:                              ;   in Loop: Header=BB240_295 Depth=1
	v_and_b32_e32 v43, 7, v1
	v_lshrrev_b32_e32 v45, 3, v46
	s_mov_b32 s28, exec_lo
	v_cmpx_gt_u32_e32 8, v46
; %bb.522:                              ;   in Loop: Header=BB240_295 Depth=1
	v_ffbh_u32_e32 v43, v43
	v_min_u32_e32 v43, 32, v43
	v_subrev_nc_u32_e32 v45, 28, v43
	v_lshlrev_b64 v[46:47], v45, v[1:2]
	v_sub_nc_u32_e32 v45, 29, v43
	v_and_b32_e32 v43, 7, v46
; %bb.523:                              ;   in Loop: Header=BB240_295 Depth=1
	s_or_b32 exec_lo, exec_lo, s28
	v_lshlrev_b32_e32 v1, 8, v1
	v_lshl_add_u32 v45, v45, 10, 0x2000
	v_lshlrev_b32_e32 v43, 23, v43
	v_and_or_b32 v1, 0x8000, v1, v45
	v_lshl_or_b32 v43, v1, 16, v43
.LBB240_524:                            ;   in Loop: Header=BB240_295 Depth=1
	s_or_b32 exec_lo, exec_lo, s27
.LBB240_525:                            ;   in Loop: Header=BB240_295 Depth=1
	s_or_b32 exec_lo, exec_lo, s26
.LBB240_526:                            ;   in Loop: Header=BB240_295 Depth=1
	s_or_b32 exec_lo, exec_lo, s22
	v_mov_b32_e32 v1, v8
	v_cmp_ne_u16_sdwa s1, v8, v2 src0_sel:BYTE_0 src1_sel:DWORD
	v_mov_b32_e32 v45, 0
	v_mov_b32_e32 v46, 0
	s_and_saveexec_b32 s22, s1
	s_cbranch_execz .LBB240_534
; %bb.527:                              ;   in Loop: Header=BB240_295 Depth=1
	v_cmp_ne_u16_sdwa s1, v8, v19 src0_sel:BYTE_0 src1_sel:DWORD
	v_mov_b32_e32 v46, 0x8000
	s_and_saveexec_b32 s26, s1
	s_cbranch_execz .LBB240_533
; %bb.528:                              ;   in Loop: Header=BB240_295 Depth=1
	v_and_b32_e32 v48, 0x7f, v8
	v_mov_b32_e32 v46, 0x7c01
	s_mov_b32 s27, exec_lo
	v_cmpx_ne_u32_e32 0x7f, v48
	s_cbranch_execz .LBB240_532
; %bb.529:                              ;   in Loop: Header=BB240_295 Depth=1
	v_and_b32_e32 v46, 7, v8
	v_lshrrev_b32_e32 v47, 3, v48
	s_mov_b32 s28, exec_lo
	v_cmpx_gt_u32_e32 8, v48
; %bb.530:                              ;   in Loop: Header=BB240_295 Depth=1
	v_ffbh_u32_e32 v46, v46
	v_min_u32_e32 v48, 32, v46
	v_subrev_nc_u32_e32 v46, 28, v48
	v_lshlrev_b64 v[46:47], v46, v[1:2]
	v_sub_nc_u32_e32 v47, 29, v48
	v_and_b32_e32 v46, 7, v46
; %bb.531:                              ;   in Loop: Header=BB240_295 Depth=1
	s_or_b32 exec_lo, exec_lo, s28
	v_lshlrev_b32_e32 v48, 8, v8
	v_lshl_add_u32 v47, v47, 10, 0x2000
	v_lshlrev_b32_e32 v46, 7, v46
	v_and_b32_e32 v48, 0x8000, v48
	v_and_b32_e32 v47, 0xfc00, v47
	v_or3_b32 v46, v48, v47, v46
.LBB240_532:                            ;   in Loop: Header=BB240_295 Depth=1
	s_or_b32 exec_lo, exec_lo, s27
.LBB240_533:                            ;   in Loop: Header=BB240_295 Depth=1
	s_or_b32 exec_lo, exec_lo, s26
.LBB240_534:                            ;   in Loop: Header=BB240_295 Depth=1
	s_or_b32 exec_lo, exec_lo, s22
	v_lshrrev_b16 v1, 8, v1
	v_mov_b32_e32 v47, 0
	s_mov_b32 s22, exec_lo
	v_cmpx_ne_u16_e32 0, v1
	s_cbranch_execz .LBB240_542
; %bb.535:                              ;   in Loop: Header=BB240_295 Depth=1
	v_bfrev_b32_e32 v47, 1
	s_mov_b32 s26, exec_lo
	v_cmpx_ne_u16_e32 0x80, v1
	s_cbranch_execz .LBB240_541
; %bb.536:                              ;   in Loop: Header=BB240_295 Depth=1
	v_and_b32_sdwa v49, v1, v20 dst_sel:DWORD dst_unused:UNUSED_PAD src0_sel:WORD_0 src1_sel:DWORD
	v_mov_b32_e32 v47, 0x7c010000
	s_mov_b32 s27, exec_lo
	v_cmpx_ne_u32_e32 0x7f, v49
	s_cbranch_execz .LBB240_540
; %bb.537:                              ;   in Loop: Header=BB240_295 Depth=1
	v_and_b32_sdwa v47, v1, v21 dst_sel:DWORD dst_unused:UNUSED_PAD src0_sel:WORD_0 src1_sel:DWORD
	v_lshrrev_b32_e32 v48, 3, v49
	s_mov_b32 s28, exec_lo
	v_cmpx_gt_u32_e32 8, v49
; %bb.538:                              ;   in Loop: Header=BB240_295 Depth=1
	v_ffbh_u32_e32 v47, v47
	v_min_u32_e32 v49, 32, v47
	v_subrev_nc_u32_e32 v47, 28, v49
	v_lshlrev_b64 v[47:48], v47, v[1:2]
	v_sub_nc_u32_e32 v48, 29, v49
	v_and_b32_e32 v47, 7, v47
; %bb.539:                              ;   in Loop: Header=BB240_295 Depth=1
	s_or_b32 exec_lo, exec_lo, s28
	v_lshlrev_b32_sdwa v1, v22, v1 dst_sel:DWORD dst_unused:UNUSED_PAD src0_sel:DWORD src1_sel:WORD_0
	v_lshl_add_u32 v48, v48, 10, 0x2000
	v_lshlrev_b32_e32 v47, 23, v47
	v_and_or_b32 v1, 0x8000, v1, v48
	v_lshl_or_b32 v47, v1, 16, v47
.LBB240_540:                            ;   in Loop: Header=BB240_295 Depth=1
	s_or_b32 exec_lo, exec_lo, s27
.LBB240_541:                            ;   in Loop: Header=BB240_295 Depth=1
	s_or_b32 exec_lo, exec_lo, s26
.LBB240_542:                            ;   in Loop: Header=BB240_295 Depth=1
	s_or_b32 exec_lo, exec_lo, s22
	v_lshrrev_b32_e32 v1, 16, v8
	v_cmp_ne_u16_sdwa s1, v1, v2 src0_sel:BYTE_0 src1_sel:DWORD
	s_and_saveexec_b32 s22, s1
	s_cbranch_execz .LBB240_550
; %bb.543:                              ;   in Loop: Header=BB240_295 Depth=1
	v_cmp_ne_u16_sdwa s1, v1, v19 src0_sel:BYTE_0 src1_sel:DWORD
	v_mov_b32_e32 v45, 0x8000
	s_and_saveexec_b32 s26, s1
	s_cbranch_execz .LBB240_549
; %bb.544:                              ;   in Loop: Header=BB240_295 Depth=1
	v_bfe_u32 v49, v8, 16, 7
	v_mov_b32_e32 v45, 0x7c01
	s_mov_b32 s27, exec_lo
	v_cmpx_ne_u32_e32 0x7f, v49
	s_cbranch_execz .LBB240_548
; %bb.545:                              ;   in Loop: Header=BB240_295 Depth=1
	v_and_b32_e32 v45, 7, v1
	v_lshrrev_b32_e32 v48, 3, v49
	s_mov_b32 s28, exec_lo
	v_cmpx_gt_u32_e32 8, v49
; %bb.546:                              ;   in Loop: Header=BB240_295 Depth=1
	v_ffbh_u32_e32 v45, v45
	v_min_u32_e32 v45, 32, v45
	v_subrev_nc_u32_e32 v48, 28, v45
	v_lshlrev_b64 v[49:50], v48, v[1:2]
	v_sub_nc_u32_e32 v48, 29, v45
	v_and_b32_e32 v45, 7, v49
; %bb.547:                              ;   in Loop: Header=BB240_295 Depth=1
	s_or_b32 exec_lo, exec_lo, s28
	v_lshlrev_b32_e32 v1, 8, v1
	v_lshl_add_u32 v48, v48, 10, 0x2000
	v_lshlrev_b32_e32 v45, 7, v45
	v_and_b32_e32 v1, 0x8000, v1
	v_and_b32_e32 v48, 0xfc00, v48
	v_or3_b32 v45, v1, v48, v45
.LBB240_548:                            ;   in Loop: Header=BB240_295 Depth=1
	s_or_b32 exec_lo, exec_lo, s27
.LBB240_549:                            ;   in Loop: Header=BB240_295 Depth=1
	s_or_b32 exec_lo, exec_lo, s26
.LBB240_550:                            ;   in Loop: Header=BB240_295 Depth=1
	s_or_b32 exec_lo, exec_lo, s22
	v_cmp_lt_u64_e64 s1, s[2:3], v[7:8]
	v_mov_b32_e32 v7, 0
	s_and_saveexec_b32 s22, s1
	s_cbranch_execz .LBB240_558
; %bb.551:                              ;   in Loop: Header=BB240_295 Depth=1
	v_lshrrev_b32_e32 v1, 24, v8
	v_bfrev_b32_e32 v7, 1
	s_mov_b32 s26, exec_lo
	v_cmpx_ne_u32_e32 0x80, v1
	s_cbranch_execz .LBB240_557
; %bb.552:                              ;   in Loop: Header=BB240_295 Depth=1
	v_and_b32_e32 v48, 0x7f, v1
	v_mov_b32_e32 v7, 0x7c010000
	s_mov_b32 s27, exec_lo
	v_cmpx_ne_u32_e32 0x7f, v48
	s_cbranch_execz .LBB240_556
; %bb.553:                              ;   in Loop: Header=BB240_295 Depth=1
	v_and_b32_e32 v7, 7, v1
	v_lshrrev_b32_e32 v8, 3, v48
	s_mov_b32 s28, exec_lo
	v_cmpx_gt_u32_e32 8, v48
; %bb.554:                              ;   in Loop: Header=BB240_295 Depth=1
	v_ffbh_u32_e32 v7, v7
	v_min_u32_e32 v48, 32, v7
	v_subrev_nc_u32_e32 v7, 28, v48
	v_lshlrev_b64 v[7:8], v7, v[1:2]
	v_sub_nc_u32_e32 v8, 29, v48
	v_and_b32_e32 v7, 7, v7
; %bb.555:                              ;   in Loop: Header=BB240_295 Depth=1
	s_or_b32 exec_lo, exec_lo, s28
	v_lshlrev_b32_e32 v1, 8, v1
	v_lshl_add_u32 v8, v8, 10, 0x2000
	v_lshlrev_b32_e32 v7, 23, v7
	v_and_or_b32 v1, 0x8000, v1, v8
	v_lshl_or_b32 v7, v1, 16, v7
.LBB240_556:                            ;   in Loop: Header=BB240_295 Depth=1
	s_or_b32 exec_lo, exec_lo, s27
.LBB240_557:                            ;   in Loop: Header=BB240_295 Depth=1
	s_or_b32 exec_lo, exec_lo, s26
.LBB240_558:                            ;   in Loop: Header=BB240_295 Depth=1
	s_or_b32 exec_lo, exec_lo, s22
	v_or_b32_e32 v1, v43, v44
	s_waitcnt vmcnt(0)
	v_fma_mixlo_f16 v8, v40, v43, 0 op_sel:[0,1,0] op_sel_hi:[0,1,0]
	v_or_b32_e32 v42, v41, v42
	v_fma_mixlo_f16 v43, v40, v41, 0 op_sel:[0,1,0] op_sel_hi:[0,1,0]
	v_or_b32_e32 v44, v47, v46
	v_fma_mixlo_f16 v1, v40, v1, 0 op_sel_hi:[0,1,0]
	v_or_b32_e32 v45, v7, v45
	v_lshlrev_b32_e32 v41, 16, v8
	v_lshlrev_b32_e32 v46, 16, v43
	v_fma_mixlo_f16 v8, v40, v42, 0 op_sel_hi:[0,1,0]
	v_and_b32_e32 v43, 0xffff, v1
	v_fma_mixlo_f16 v1, v40, v47, 0 op_sel:[0,1,0] op_sel_hi:[0,1,0]
	v_fma_mixlo_f16 v42, v40, v44, 0 op_sel_hi:[0,1,0]
	v_fma_mixlo_f16 v7, v40, v7, 0 op_sel:[0,1,0] op_sel_hi:[0,1,0]
	v_fma_mixlo_f16 v45, v40, v45, 0 op_sel_hi:[0,1,0]
	v_and_b32_e32 v48, 0xffff, v8
	v_lshlrev_b32_e32 v44, 16, v1
	v_and_b32_e32 v47, 0xffff, v42
	v_lshlrev_b32_e32 v40, 16, v7
	v_and_b32_e32 v45, 0xffff, v45
	v_or_b32_e32 v8, v41, v43
	v_or_b32_e32 v42, v46, v48
	;; [unrolled: 1-line block ×4, first 2 shown]
	s_and_saveexec_b32 s1, vcc_lo
	s_cbranch_execz .LBB240_293
; %bb.559:                              ;   in Loop: Header=BB240_295 Depth=1
	v_cmp_gt_i32_e32 vcc_lo, s33, v12
	v_cndmask_b32_e32 v1, 0, v48, vcc_lo
	v_cmp_gt_i32_e32 vcc_lo, s33, v31
	v_cndmask_b32_e32 v7, 0, v46, vcc_lo
	v_cmp_gt_i32_e32 vcc_lo, s33, v30
	v_or_b32_e32 v42, v7, v1
	v_cndmask_b32_e32 v8, 0, v43, vcc_lo
	v_cmp_gt_i32_e32 vcc_lo, s33, v29
	v_cndmask_b32_e32 v29, 0, v41, vcc_lo
	v_cmp_gt_i32_e32 vcc_lo, s33, v28
	v_or_b32_e32 v8, v29, v8
	;; [unrolled: 5-line block ×3, first 2 shown]
	v_cndmask_b32_e32 v26, 0, v45, vcc_lo
	v_cmp_gt_i32_e32 vcc_lo, s33, v25
	v_cndmask_b32_e32 v25, 0, v40, vcc_lo
	v_or_b32_e32 v1, v25, v26
	s_branch .LBB240_293
.LBB240_560:
	s_or_b32 exec_lo, exec_lo, s18
.LBB240_561:
	s_or_b32 exec_lo, exec_lo, s4
	v_lshl_add_u32 v2, v13, 2, 0x120
	v_and_b32_e32 v3, 0x3c0, v0
	s_mov_b32 s1, exec_lo
	s_barrier
	v_lshl_add_u32 v1, v11, 9, v2
	buffer_gl0_inv
	v_cmpx_eq_u32_e32 64, v3
	s_cbranch_execz .LBB240_563
; %bb.562:
	v_add_nc_u32_e32 v3, 0xfffffc00, v1
	v_add_nc_u32_e32 v4, 0xfffffc80, v1
	;; [unrolled: 1-line block ×4, first 2 shown]
	ds_write_b32 v3, v17
	ds_write_b32 v4, v16
	ds_write_b32 v5, v15
	ds_write_b32 v6, v14
.LBB240_563:
	s_or_b32 exec_lo, exec_lo, s1
	s_waitcnt lgkmcnt(0)
	s_barrier
	buffer_gl0_inv
	s_and_saveexec_b32 s1, s0
	s_cbranch_execz .LBB240_565
; %bb.564:
	ds_read2_b32 v[3:4], v1 offset1:32
	ds_read2_b32 v[5:6], v1 offset0:64 offset1:96
	s_waitcnt lgkmcnt(1)
	v_add_f32_e32 v17, v17, v3
	v_add_f32_e32 v16, v16, v4
	s_waitcnt lgkmcnt(0)
	v_add_f32_e32 v15, v15, v5
	v_add_f32_e32 v14, v14, v6
.LBB240_565:
	s_or_b32 exec_lo, exec_lo, s1
	v_and_b32_e32 v3, 0x3e0, v0
	s_mov_b32 s0, exec_lo
	s_barrier
	buffer_gl0_inv
	v_cmpx_eq_u32_e32 32, v3
	s_cbranch_execz .LBB240_567
; %bb.566:
	ds_write2_b32 v2, v17, v16 offset1:32
	ds_write2_b32 v2, v15, v14 offset0:64 offset1:96
.LBB240_567:
	s_or_b32 exec_lo, exec_lo, s0
	v_cmp_gt_u32_e32 vcc_lo, 32, v0
	s_waitcnt lgkmcnt(0)
	s_barrier
	buffer_gl0_inv
	s_and_saveexec_b32 s0, vcc_lo
	s_cbranch_execz .LBB240_569
; %bb.568:
	ds_read2_b32 v[2:3], v1 offset1:32
	ds_read2_b32 v[4:5], v1 offset0:64 offset1:96
	s_waitcnt lgkmcnt(1)
	v_add_f32_e32 v17, v17, v2
	v_add_f32_e32 v16, v16, v3
	s_waitcnt lgkmcnt(0)
	v_add_f32_e32 v15, v15, v4
	v_add_f32_e32 v14, v14, v5
.LBB240_569:
	s_or_b32 exec_lo, exec_lo, s0
	s_barrier
	buffer_gl0_inv
	s_and_saveexec_b32 s0, vcc_lo
	s_cbranch_execz .LBB240_571
; %bb.570:
	s_mul_i32 s0, s10, s11
	s_mul_i32 s2, s11, s24
	;; [unrolled: 1-line block ×3, first 2 shown]
	v_lshlrev_b32_e32 v0, 1, v0
	s_lshl_b32 s0, s0, 7
	;;#ASMSTART
	v_cvt_f16_f32 v1, v17;

	;;#ASMEND
	s_ashr_i32 s1, s0, 31
	s_lshl_b64 s[0:1], s[0:1], 1
	s_add_u32 s4, s6, s0
	s_addc_u32 s5, s7, s1
	s_ashr_i32 s3, s2, 31
	s_lshl_b64 s[0:1], s[2:3], 1
	s_add_u32 s2, s4, s0
	s_addc_u32 s3, s5, s1
	s_lshl_b32 s0, s8, 7
	s_ashr_i32 s1, s0, 31
	s_lshl_b64 s[0:1], s[0:1], 1
	s_add_u32 s0, s2, s0
	s_addc_u32 s1, s3, s1
	global_store_short v0, v1, s[0:1]
	;;#ASMSTART
	v_cvt_f16_f32 v1, v16;

	;;#ASMEND
	global_store_short v0, v1, s[0:1] offset:64
	;;#ASMSTART
	v_cvt_f16_f32 v1, v15;

	;;#ASMEND
	global_store_short v0, v1, s[0:1] offset:128
	;; [unrolled: 5-line block ×3, first 2 shown]
.LBB240_571:
	s_endpgm
	.section	.rodata,"a",@progbits
	.p2align	6, 0x0
	.amdhsa_kernel _ZN4vllm25paged_attention_v1_kernelIthLi128ELi8ELi128ELNS_18Fp8KVCacheDataTypeE1ELb1EEEvPT_PKS2_PKT0_S8_ifPKiSA_iPKfiiiSC_SC_iiiii
		.amdhsa_group_segment_fixed_size 288
		.amdhsa_private_segment_fixed_size 0
		.amdhsa_kernarg_size 384
		.amdhsa_user_sgpr_count 6
		.amdhsa_user_sgpr_private_segment_buffer 1
		.amdhsa_user_sgpr_dispatch_ptr 0
		.amdhsa_user_sgpr_queue_ptr 0
		.amdhsa_user_sgpr_kernarg_segment_ptr 1
		.amdhsa_user_sgpr_dispatch_id 0
		.amdhsa_user_sgpr_flat_scratch_init 0
		.amdhsa_user_sgpr_private_segment_size 0
		.amdhsa_wavefront_size32 1
		.amdhsa_uses_dynamic_stack 0
		.amdhsa_system_sgpr_private_segment_wavefront_offset 0
		.amdhsa_system_sgpr_workgroup_id_x 1
		.amdhsa_system_sgpr_workgroup_id_y 1
		.amdhsa_system_sgpr_workgroup_id_z 1
		.amdhsa_system_sgpr_workgroup_info 0
		.amdhsa_system_vgpr_workitem_id 0
		.amdhsa_next_free_vgpr 84
		.amdhsa_next_free_sgpr 45
		.amdhsa_reserve_vcc 1
		.amdhsa_reserve_flat_scratch 0
		.amdhsa_float_round_mode_32 0
		.amdhsa_float_round_mode_16_64 0
		.amdhsa_float_denorm_mode_32 3
		.amdhsa_float_denorm_mode_16_64 3
		.amdhsa_dx10_clamp 1
		.amdhsa_ieee_mode 1
		.amdhsa_fp16_overflow 0
		.amdhsa_workgroup_processor_mode 1
		.amdhsa_memory_ordered 1
		.amdhsa_forward_progress 1
		.amdhsa_shared_vgpr_count 0
		.amdhsa_exception_fp_ieee_invalid_op 0
		.amdhsa_exception_fp_denorm_src 0
		.amdhsa_exception_fp_ieee_div_zero 0
		.amdhsa_exception_fp_ieee_overflow 0
		.amdhsa_exception_fp_ieee_underflow 0
		.amdhsa_exception_fp_ieee_inexact 0
		.amdhsa_exception_int_div_zero 0
	.end_amdhsa_kernel
	.section	.text._ZN4vllm25paged_attention_v1_kernelIthLi128ELi8ELi128ELNS_18Fp8KVCacheDataTypeE1ELb1EEEvPT_PKS2_PKT0_S8_ifPKiSA_iPKfiiiSC_SC_iiiii,"axG",@progbits,_ZN4vllm25paged_attention_v1_kernelIthLi128ELi8ELi128ELNS_18Fp8KVCacheDataTypeE1ELb1EEEvPT_PKS2_PKT0_S8_ifPKiSA_iPKfiiiSC_SC_iiiii,comdat
.Lfunc_end240:
	.size	_ZN4vllm25paged_attention_v1_kernelIthLi128ELi8ELi128ELNS_18Fp8KVCacheDataTypeE1ELb1EEEvPT_PKS2_PKT0_S8_ifPKiSA_iPKfiiiSC_SC_iiiii, .Lfunc_end240-_ZN4vllm25paged_attention_v1_kernelIthLi128ELi8ELi128ELNS_18Fp8KVCacheDataTypeE1ELb1EEEvPT_PKS2_PKT0_S8_ifPKiSA_iPKfiiiSC_SC_iiiii
                                        ; -- End function
	.set _ZN4vllm25paged_attention_v1_kernelIthLi128ELi8ELi128ELNS_18Fp8KVCacheDataTypeE1ELb1EEEvPT_PKS2_PKT0_S8_ifPKiSA_iPKfiiiSC_SC_iiiii.num_vgpr, 84
	.set _ZN4vllm25paged_attention_v1_kernelIthLi128ELi8ELi128ELNS_18Fp8KVCacheDataTypeE1ELb1EEEvPT_PKS2_PKT0_S8_ifPKiSA_iPKfiiiSC_SC_iiiii.num_agpr, 0
	.set _ZN4vllm25paged_attention_v1_kernelIthLi128ELi8ELi128ELNS_18Fp8KVCacheDataTypeE1ELb1EEEvPT_PKS2_PKT0_S8_ifPKiSA_iPKfiiiSC_SC_iiiii.numbered_sgpr, 45
	.set _ZN4vllm25paged_attention_v1_kernelIthLi128ELi8ELi128ELNS_18Fp8KVCacheDataTypeE1ELb1EEEvPT_PKS2_PKT0_S8_ifPKiSA_iPKfiiiSC_SC_iiiii.num_named_barrier, 0
	.set _ZN4vllm25paged_attention_v1_kernelIthLi128ELi8ELi128ELNS_18Fp8KVCacheDataTypeE1ELb1EEEvPT_PKS2_PKT0_S8_ifPKiSA_iPKfiiiSC_SC_iiiii.private_seg_size, 0
	.set _ZN4vllm25paged_attention_v1_kernelIthLi128ELi8ELi128ELNS_18Fp8KVCacheDataTypeE1ELb1EEEvPT_PKS2_PKT0_S8_ifPKiSA_iPKfiiiSC_SC_iiiii.uses_vcc, 1
	.set _ZN4vllm25paged_attention_v1_kernelIthLi128ELi8ELi128ELNS_18Fp8KVCacheDataTypeE1ELb1EEEvPT_PKS2_PKT0_S8_ifPKiSA_iPKfiiiSC_SC_iiiii.uses_flat_scratch, 0
	.set _ZN4vllm25paged_attention_v1_kernelIthLi128ELi8ELi128ELNS_18Fp8KVCacheDataTypeE1ELb1EEEvPT_PKS2_PKT0_S8_ifPKiSA_iPKfiiiSC_SC_iiiii.has_dyn_sized_stack, 0
	.set _ZN4vllm25paged_attention_v1_kernelIthLi128ELi8ELi128ELNS_18Fp8KVCacheDataTypeE1ELb1EEEvPT_PKS2_PKT0_S8_ifPKiSA_iPKfiiiSC_SC_iiiii.has_recursion, 0
	.set _ZN4vllm25paged_attention_v1_kernelIthLi128ELi8ELi128ELNS_18Fp8KVCacheDataTypeE1ELb1EEEvPT_PKS2_PKT0_S8_ifPKiSA_iPKfiiiSC_SC_iiiii.has_indirect_call, 0
	.section	.AMDGPU.csdata,"",@progbits
; Kernel info:
; codeLenInByte = 19968
; TotalNumSgprs: 47
; NumVgprs: 84
; ScratchSize: 0
; MemoryBound: 0
; FloatMode: 240
; IeeeMode: 1
; LDSByteSize: 288 bytes/workgroup (compile time only)
; SGPRBlocks: 0
; VGPRBlocks: 10
; NumSGPRsForWavesPerEU: 47
; NumVGPRsForWavesPerEU: 84
; Occupancy: 10
; WaveLimiterHint : 1
; COMPUTE_PGM_RSRC2:SCRATCH_EN: 0
; COMPUTE_PGM_RSRC2:USER_SGPR: 6
; COMPUTE_PGM_RSRC2:TRAP_HANDLER: 0
; COMPUTE_PGM_RSRC2:TGID_X_EN: 1
; COMPUTE_PGM_RSRC2:TGID_Y_EN: 1
; COMPUTE_PGM_RSRC2:TGID_Z_EN: 1
; COMPUTE_PGM_RSRC2:TIDIG_COMP_CNT: 0
	.section	.text._ZN4vllm25paged_attention_v1_kernelIthLi192ELi8ELi128ELNS_18Fp8KVCacheDataTypeE1ELb1EEEvPT_PKS2_PKT0_S8_ifPKiSA_iPKfiiiSC_SC_iiiii,"axG",@progbits,_ZN4vllm25paged_attention_v1_kernelIthLi192ELi8ELi128ELNS_18Fp8KVCacheDataTypeE1ELb1EEEvPT_PKS2_PKT0_S8_ifPKiSA_iPKfiiiSC_SC_iiiii,comdat
	.protected	_ZN4vllm25paged_attention_v1_kernelIthLi192ELi8ELi128ELNS_18Fp8KVCacheDataTypeE1ELb1EEEvPT_PKS2_PKT0_S8_ifPKiSA_iPKfiiiSC_SC_iiiii ; -- Begin function _ZN4vllm25paged_attention_v1_kernelIthLi192ELi8ELi128ELNS_18Fp8KVCacheDataTypeE1ELb1EEEvPT_PKS2_PKT0_S8_ifPKiSA_iPKfiiiSC_SC_iiiii
	.globl	_ZN4vllm25paged_attention_v1_kernelIthLi192ELi8ELi128ELNS_18Fp8KVCacheDataTypeE1ELb1EEEvPT_PKS2_PKT0_S8_ifPKiSA_iPKfiiiSC_SC_iiiii
	.p2align	8
	.type	_ZN4vllm25paged_attention_v1_kernelIthLi192ELi8ELi128ELNS_18Fp8KVCacheDataTypeE1ELb1EEEvPT_PKS2_PKT0_S8_ifPKiSA_iPKfiiiSC_SC_iiiii,@function
_ZN4vllm25paged_attention_v1_kernelIthLi192ELi8ELi128ELNS_18Fp8KVCacheDataTypeE1ELb1EEEvPT_PKS2_PKT0_S8_ifPKiSA_iPKfiiiSC_SC_iiiii: ; @_ZN4vllm25paged_attention_v1_kernelIthLi192ELi8ELi128ELNS_18Fp8KVCacheDataTypeE1ELb1EEEvPT_PKS2_PKT0_S8_ifPKiSA_iPKfiiiSC_SC_iiiii
; %bb.0:
	s_clause 0x2
	s_load_dword s9, s[4:5], 0x80
	s_load_dwordx2 s[0:1], s[4:5], 0x30
	s_load_dwordx2 s[34:35], s[4:5], 0x20
	s_mov_b32 s10, s7
	s_ashr_i32 s11, s7, 31
	s_mov_b32 s36, 0
	s_lshl_b64 s[2:3], s[10:11], 2
	s_waitcnt lgkmcnt(0)
	s_add_u32 s0, s0, s2
	s_addc_u32 s1, s1, s3
	s_abs_i32 s2, s34
	s_abs_i32 s11, s9
	v_cvt_f32_u32_e32 v1, s2
	s_sub_i32 s7, 0, s2
	v_rcp_iflag_f32_e32 v1, v1
	v_mul_f32_e32 v1, 0x4f7ffffe, v1
	v_cvt_u32_f32_e32 v1, v1
	v_readfirstlane_b32 s3, v1
	s_mul_i32 s7, s7, s3
	s_mul_hi_u32 s7, s3, s7
	s_add_i32 s3, s3, s7
	s_xor_b32 s7, s9, s34
	s_mul_hi_u32 s3, s11, s3
	s_ashr_i32 s7, s7, 31
	s_mul_i32 s12, s3, s2
	s_sub_i32 s11, s11, s12
	s_add_i32 s12, s3, 1
	s_sub_i32 s13, s11, s2
	s_cmp_ge_u32 s11, s2
	s_cselect_b32 s3, s12, s3
	s_cselect_b32 s11, s13, s11
	s_add_i32 s12, s3, 1
	s_cmp_ge_u32 s11, s2
	s_cselect_b32 s2, s12, s3
	s_xor_b32 s2, s2, s7
	s_sub_i32 s14, s2, s7
	s_load_dwordx2 s[2:3], s[4:5], 0x40
	s_abs_i32 s11, s14
	v_cvt_f32_u32_e32 v1, s11
	s_sub_i32 s12, 0, s11
	v_rcp_iflag_f32_e32 v1, v1
	v_mul_f32_e32 v1, 0x4f7ffffe, v1
	v_cvt_u32_f32_e32 v1, v1
	v_readfirstlane_b32 s7, v1
	s_mul_i32 s12, s12, s7
	s_mul_hi_u32 s13, s7, s12
	s_abs_i32 s12, s6
	s_add_i32 s7, s7, s13
	s_waitcnt lgkmcnt(0)
	s_cmp_eq_u64 s[2:3], 0
	s_mul_hi_u32 s13, s12, s7
	s_cbranch_scc1 .LBB241_2
; %bb.1:
	s_ashr_i32 s7, s6, 31
	s_lshl_b64 s[16:17], s[6:7], 2
	s_add_u32 s2, s2, s16
	s_addc_u32 s3, s3, s17
	s_load_dword s36, s[2:3], 0x0
.LBB241_2:
	s_load_dword s33, s[0:1], 0x0
	s_load_dwordx4 s[16:19], s[4:5], 0x48
	v_and_b32_e32 v1, 3, v0
	s_ashr_i32 s0, s6, 31
	s_ashr_i32 s1, s14, 31
	s_mul_i32 s24, s6, 0xc0
	s_mov_b32 s2, exec_lo
	v_cmpx_gt_u32_e32 0x60, v0
	s_cbranch_execz .LBB241_4
; %bb.3:
	s_load_dwordx2 s[14:15], s[4:5], 0x8
	s_waitcnt lgkmcnt(0)
	s_mul_i32 s20, s16, s10
	v_lshlrev_b32_e32 v2, 2, v0
	s_ashr_i32 s21, s20, 31
	v_and_b32_e32 v3, 0x3fc, v0
	s_lshl_b64 s[20:21], s[20:21], 1
	v_mad_u32_u24 v3, 0x60, v1, v3
	s_add_u32 s3, s14, s20
	s_addc_u32 s7, s15, s21
	s_ashr_i32 s25, s24, 31
	s_lshl_b64 s[14:15], s[24:25], 1
	s_add_u32 s14, s3, s14
	s_addc_u32 s15, s7, s15
	global_load_dword v2, v2, s[14:15]
	s_waitcnt vmcnt(0)
	ds_write_b32 v3, v2
.LBB241_4:
	s_or_b32 exec_lo, exec_lo, s2
	s_load_dwordx4 s[20:23], s[4:5], 0x68
	s_mul_i32 s2, s13, s11
	s_xor_b32 s1, s0, s1
	s_sub_i32 s0, s12, s2
	s_add_i32 s2, s13, 1
	s_sub_i32 s3, s0, s11
	s_cmp_ge_u32 s0, s11
	s_mov_b32 s12, -1
	s_cselect_b32 s2, s2, s13
	s_cselect_b32 s0, s3, s0
	s_add_i32 s3, s2, 1
	s_cmp_ge_u32 s0, s11
	s_load_dword s0, s[4:5], 0x78
	s_cselect_b32 s2, s3, s2
	s_waitcnt lgkmcnt(0)
	s_add_i32 s7, s33, -1
	s_xor_b32 s2, s2, s1
	s_abs_i32 s3, s7
	s_sub_i32 s1, s2, s1
	s_barrier
	s_abs_i32 s16, s23
	buffer_gl0_inv
	v_cvt_f32_u32_e32 v2, s16
	s_sub_i32 s2, 0, s16
                                        ; implicit-def: $sgpr25
	v_rcp_iflag_f32_e32 v2, v2
	v_mul_f32_e32 v2, 0x4f7ffffe, v2
	v_cvt_u32_f32_e32 v2, v2
	v_readfirstlane_b32 s19, v2
	s_mul_i32 s2, s2, s19
	s_mul_hi_u32 s2, s19, s2
	s_add_i32 s19, s19, s2
	s_cmp_lt_i32 s0, 0
	s_mul_hi_u32 s2, s3, s19
	s_cbranch_scc0 .LBB241_6
; %bb.5:
	s_mul_i32 s11, s20, s34
	s_mov_b32 s12, 0
	s_add_i32 s11, s1, s11
	s_mul_i32 s11, s11, s0
	s_sub_i32 s25, 1, s11
.LBB241_6:
	s_load_dwordx2 s[26:27], s[4:5], 0x28
	s_ashr_i32 s11, s7, 31
	s_andn2_b32 vcc_lo, exec_lo, s12
	s_ashr_i32 s23, s23, 31
	s_cbranch_vccnz .LBB241_8
; %bb.7:
	s_mul_i32 s7, s9, s20
	s_add_i32 s6, s7, s6
	s_mul_i32 s0, s6, s0
	s_add_i32 s25, s0, 1
.LBB241_8:
	s_clause 0x2
	s_load_dword s0, s[4:5], 0x38
	s_load_dwordx2 s[6:7], s[4:5], 0x0
	s_load_dwordx2 s[30:31], s[4:5], 0x18
	s_xor_b32 s34, s11, s23
	s_mul_i32 s11, s2, s16
	s_add_i32 s20, s2, 1
	s_sub_i32 s3, s3, s11
	s_clause 0x1
	s_load_dword s11, s[4:5], 0x88
	s_load_dwordx4 s[12:15], s[4:5], 0x58
	v_lshrrev_b32_e32 v11, 5, v0
	v_mov_b32_e32 v15, 0xff7fffff
	v_lshrrev_b32_e32 v9, 3, v0
	v_mbcnt_lo_u32_b32 v10, -1, 0
	s_mul_i32 s18, s1, s18
	v_lshlrev_b32_e32 v12, 3, v11
	s_waitcnt lgkmcnt(0)
	s_mul_i32 s28, s0, s10
	s_sub_i32 s0, s3, s16
	s_ashr_i32 s29, s28, 31
	s_cmp_ge_u32 s3, s16
	s_cselect_b32 s2, s20, s2
	s_cselect_b32 s0, s0, s3
	s_add_i32 s3, s2, 1
	s_cmp_ge_u32 s0, s16
	s_cselect_b32 s0, s3, s2
	s_add_i32 s2, s33, 7
	s_ashr_i32 s3, s2, 31
	s_lshr_b32 s3, s3, 29
	s_add_i32 s2, s2, s3
	s_ashr_i32 s20, s2, 3
	s_xor_b32 s2, s0, s34
	v_cmp_gt_i32_e64 s0, s20, v11
	s_sub_i32 s34, s2, s34
	s_and_saveexec_b32 s37, s0
	s_cbranch_execz .LBB241_404
; %bb.9:
	s_load_dwordx2 s[2:3], s[4:5], 0x10
	s_sub_i32 s4, s34, s21
	s_ashr_i32 s1, s18, 31
	v_bfe_u32 v13, v0, 2, 3
	v_cmp_eq_u32_e32 vcc_lo, 0, v1
	v_lshlrev_b32_e32 v5, 1, v1
	v_mul_u32_u24_e32 v14, 0x60, v1
	v_and_b32_e32 v1, 0x7c, v9
	v_lshlrev_b32_e32 v4, 2, v13
	v_subrev_nc_u32_e32 v6, s33, v13
	v_mov_b32_e32 v2, 0
	v_lshlrev_b32_e32 v16, 3, v11
	v_mov_b32_e32 v17, 0xff7fffff
	v_lshl_or_b32 v4, v11, 5, v4
	v_add_nc_u32_e32 v22, 1, v6
	v_mov_b32_e32 v18, 0x80
	v_mov_b32_e32 v19, 0x7f
	;; [unrolled: 1-line block ×3, first 2 shown]
	v_add_nc_u32_e32 v23, 0x1a0, v4
	v_mov_b32_e32 v21, 8
	s_waitcnt lgkmcnt(0)
	s_add_u32 s38, s2, s18
	s_addc_u32 s39, s3, s1
	s_abs_i32 s5, s22
	v_cmp_neq_f32_e64 s1, s36, 0
	v_cvt_f32_u32_e32 v3, s5
	s_sub_i32 s2, 0, s5
	v_mov_b32_e32 v15, 0xff7fffff
	v_mov_b32_e32 v25, v11
	v_rcp_iflag_f32_e32 v3, v3
	v_mul_f32_e32 v3, 0x4f7ffffe, v3
	v_cvt_u32_f32_e32 v7, v3
	v_lshlrev_b32_e32 v3, 4, v13
	v_mul_lo_u32 v4, s2, v7
	s_lshl_b64 s[2:3], s[28:29], 2
	v_add_co_u32 v6, s38, s38, v3
	s_add_u32 s2, s26, s2
	v_add_co_ci_u32_e64 v8, null, s39, 0, s38
	s_addc_u32 s3, s27, s3
	v_mul_hi_u32 v24, v7, v4
	v_add_co_u32 v3, s2, s2, v1
	v_add_co_ci_u32_e64 v4, null, s3, 0, s2
	v_add_co_u32 v5, s2, v6, v5
	v_add_co_ci_u32_e64 v6, null, 0, v8, s2
	v_add_nc_u32_e32 v24, v7, v24
	s_mov_b32 s38, 0
	s_mov_b32 s39, s17
	s_branch .LBB241_12
.LBB241_10:                             ;   in Loop: Header=BB241_12 Depth=1
	s_or_b32 exec_lo, exec_lo, s40
.LBB241_11:                             ;   in Loop: Header=BB241_12 Depth=1
	s_or_b32 exec_lo, exec_lo, s3
	v_add_nc_u32_e32 v25, 4, v25
	v_add_co_u32 v3, s3, v3, 16
	v_add_co_ci_u32_e64 v4, null, 0, v4, s3
	v_cmp_le_i32_e64 s2, s20, v25
	v_add_nc_u32_e32 v16, 32, v16
	v_add_nc_u32_e32 v23, 0x80, v23
	s_or_b32 s38, s2, s38
	s_andn2_b32 exec_lo, exec_lo, s38
	s_cbranch_execz .LBB241_403
.LBB241_12:                             ; =>This Inner Loop Header: Depth=1
	v_mul_hi_u32 v1, v16, s19
	s_waitcnt lgkmcnt(0)
	v_mul_lo_u32 v7, v1, s16
	v_add_nc_u32_e32 v8, 1, v1
	v_sub_nc_u32_e32 v7, v16, v7
	v_subrev_nc_u32_e32 v26, s16, v7
	v_cmp_le_u32_e64 s2, s16, v7
	v_cndmask_b32_e64 v1, v1, v8, s2
	v_cndmask_b32_e64 v7, v7, v26, s2
	v_add_nc_u32_e32 v8, 1, v1
	v_cmp_le_u32_e64 s2, s16, v7
	v_cndmask_b32_e64 v1, v1, v8, s2
	v_xor_b32_e32 v1, s23, v1
	v_subrev_nc_u32_e32 v1, s23, v1
	v_add_nc_u32_e32 v7, s25, v1
	v_cmp_ge_i32_e64 s3, s4, v1
	v_sub_nc_u32_e32 v8, 0, v7
	v_max_i32_e32 v8, v7, v8
	v_ashrrev_i32_e32 v7, 31, v7
	v_mul_hi_u32 v26, v8, v24
	v_mul_lo_u32 v26, v26, s5
	v_sub_nc_u32_e32 v8, v8, v26
	v_subrev_nc_u32_e32 v26, s5, v8
	v_cmp_le_u32_e64 s2, s5, v8
	v_cndmask_b32_e64 v8, v8, v26, s2
	v_subrev_nc_u32_e32 v26, s5, v8
	v_cmp_le_u32_e64 s2, s5, v8
	v_cndmask_b32_e64 v8, v8, v26, s2
	v_xor_b32_e32 v8, v8, v7
	v_sub_nc_u32_e32 v7, v8, v7
	v_cmp_ne_u32_e64 s2, 0, v7
	s_and_b32 s2, s2, s3
	s_and_saveexec_b32 s3, s2
	s_xor_b32 s2, exec_lo, s3
	s_cbranch_execz .LBB241_16
; %bb.13:                               ;   in Loop: Header=BB241_12 Depth=1
	s_and_saveexec_b32 s3, vcc_lo
; %bb.14:                               ;   in Loop: Header=BB241_12 Depth=1
	ds_write_b32 v23, v17
; %bb.15:                               ;   in Loop: Header=BB241_12 Depth=1
	s_or_b32 exec_lo, exec_lo, s3
.LBB241_16:                             ;   in Loop: Header=BB241_12 Depth=1
	s_andn2_saveexec_b32 s3, s2
	s_cbranch_execz .LBB241_11
; %bb.17:                               ;   in Loop: Header=BB241_12 Depth=1
	global_load_dword v1, v[3:4], off
	v_mov_b32_e32 v27, 0
	global_load_dword v26, v27, s[12:13]
	s_waitcnt vmcnt(1)
	v_mad_i64_i32 v[7:8], null, v1, s39, v[5:6]
	global_load_ushort v28, v[7:8], off
	s_waitcnt vmcnt(0)
	v_and_b32_e32 v1, 0xffff, v28
	v_cmp_ne_u16_sdwa s2, v28, v2 src0_sel:BYTE_0 src1_sel:DWORD
	v_mov_b32_e32 v28, 0
	s_and_saveexec_b32 s40, s2
	s_cbranch_execz .LBB241_25
; %bb.18:                               ;   in Loop: Header=BB241_12 Depth=1
	v_cmp_ne_u16_sdwa s2, v1, v18 src0_sel:BYTE_0 src1_sel:DWORD
	v_mov_b32_e32 v28, 0x8000
	s_and_saveexec_b32 s41, s2
	s_cbranch_execz .LBB241_24
; %bb.19:                               ;   in Loop: Header=BB241_12 Depth=1
	v_and_b32_e32 v30, 0x7f, v1
	v_mov_b32_e32 v28, 0x7c01
	s_mov_b32 s42, exec_lo
	v_cmpx_ne_u32_e32 0x7f, v30
	s_cbranch_execz .LBB241_23
; %bb.20:                               ;   in Loop: Header=BB241_12 Depth=1
	v_and_b32_e32 v28, 7, v1
	v_lshrrev_b32_e32 v29, 3, v30
	s_mov_b32 s43, exec_lo
	v_cmpx_gt_u32_e32 8, v30
; %bb.21:                               ;   in Loop: Header=BB241_12 Depth=1
	v_ffbh_u32_e32 v28, v28
	v_min_u32_e32 v30, 32, v28
	v_subrev_nc_u32_e32 v28, 28, v30
	v_lshlrev_b64 v[28:29], v28, v[1:2]
	v_sub_nc_u32_e32 v29, 29, v30
	v_and_b32_e32 v28, 7, v28
; %bb.22:                               ;   in Loop: Header=BB241_12 Depth=1
	s_or_b32 exec_lo, exec_lo, s43
	v_lshlrev_b32_e32 v30, 8, v1
	v_lshl_add_u32 v29, v29, 10, 0x2000
	v_lshlrev_b32_e32 v28, 7, v28
	v_and_b32_e32 v30, 0x8000, v30
	v_and_b32_e32 v29, 0xfc00, v29
	v_or3_b32 v28, v30, v29, v28
.LBB241_23:                             ;   in Loop: Header=BB241_12 Depth=1
	s_or_b32 exec_lo, exec_lo, s42
.LBB241_24:                             ;   in Loop: Header=BB241_12 Depth=1
	s_or_b32 exec_lo, exec_lo, s41
.LBB241_25:                             ;   in Loop: Header=BB241_12 Depth=1
	s_or_b32 exec_lo, exec_lo, s40
	v_lshrrev_b16 v1, 8, v1
	s_mov_b32 s40, exec_lo
	v_cmpx_ne_u16_e32 0, v1
	s_cbranch_execz .LBB241_33
; %bb.26:                               ;   in Loop: Header=BB241_12 Depth=1
	v_bfrev_b32_e32 v27, 1
	s_mov_b32 s41, exec_lo
	v_cmpx_ne_u16_e32 0x80, v1
	s_cbranch_execz .LBB241_32
; %bb.27:                               ;   in Loop: Header=BB241_12 Depth=1
	v_and_b32_sdwa v30, v1, v19 dst_sel:DWORD dst_unused:UNUSED_PAD src0_sel:WORD_0 src1_sel:DWORD
	v_mov_b32_e32 v27, 0x7c010000
	s_mov_b32 s42, exec_lo
	v_cmpx_ne_u32_e32 0x7f, v30
	s_cbranch_execz .LBB241_31
; %bb.28:                               ;   in Loop: Header=BB241_12 Depth=1
	v_and_b32_sdwa v27, v1, v20 dst_sel:DWORD dst_unused:UNUSED_PAD src0_sel:WORD_0 src1_sel:DWORD
	v_lshrrev_b32_e32 v29, 3, v30
	s_mov_b32 s43, exec_lo
	v_cmpx_gt_u32_e32 8, v30
; %bb.29:                               ;   in Loop: Header=BB241_12 Depth=1
	v_ffbh_u32_e32 v27, v27
	v_min_u32_e32 v27, 32, v27
	v_subrev_nc_u32_e32 v29, 28, v27
	v_lshlrev_b64 v[30:31], v29, v[1:2]
	v_sub_nc_u32_e32 v29, 29, v27
	v_and_b32_e32 v27, 7, v30
; %bb.30:                               ;   in Loop: Header=BB241_12 Depth=1
	s_or_b32 exec_lo, exec_lo, s43
	v_lshlrev_b32_sdwa v1, v21, v1 dst_sel:DWORD dst_unused:UNUSED_PAD src0_sel:DWORD src1_sel:WORD_0
	v_lshl_add_u32 v29, v29, 10, 0x2000
	v_lshlrev_b32_e32 v27, 23, v27
	v_and_or_b32 v1, 0x8000, v1, v29
	v_lshl_or_b32 v27, v1, 16, v27
.LBB241_31:                             ;   in Loop: Header=BB241_12 Depth=1
	s_or_b32 exec_lo, exec_lo, s42
.LBB241_32:                             ;   in Loop: Header=BB241_12 Depth=1
	s_or_b32 exec_lo, exec_lo, s41
.LBB241_33:                             ;   in Loop: Header=BB241_12 Depth=1
	s_or_b32 exec_lo, exec_lo, s40
	global_load_ushort v30, v[7:8], off offset:8
	v_mov_b32_e32 v29, 0
	s_waitcnt vmcnt(0)
	v_and_b32_e32 v1, 0xffff, v30
	v_cmp_ne_u16_sdwa s2, v30, v2 src0_sel:BYTE_0 src1_sel:DWORD
	v_mov_b32_e32 v30, 0
	s_and_saveexec_b32 s40, s2
	s_cbranch_execz .LBB241_41
; %bb.34:                               ;   in Loop: Header=BB241_12 Depth=1
	v_cmp_ne_u16_sdwa s2, v1, v18 src0_sel:BYTE_0 src1_sel:DWORD
	v_mov_b32_e32 v30, 0x8000
	s_and_saveexec_b32 s41, s2
	s_cbranch_execz .LBB241_40
; %bb.35:                               ;   in Loop: Header=BB241_12 Depth=1
	v_and_b32_e32 v32, 0x7f, v1
	v_mov_b32_e32 v30, 0x7c01
	s_mov_b32 s42, exec_lo
	v_cmpx_ne_u32_e32 0x7f, v32
	s_cbranch_execz .LBB241_39
; %bb.36:                               ;   in Loop: Header=BB241_12 Depth=1
	v_and_b32_e32 v30, 7, v1
	v_lshrrev_b32_e32 v31, 3, v32
	s_mov_b32 s43, exec_lo
	v_cmpx_gt_u32_e32 8, v32
; %bb.37:                               ;   in Loop: Header=BB241_12 Depth=1
	v_ffbh_u32_e32 v30, v30
	v_min_u32_e32 v32, 32, v30
	v_subrev_nc_u32_e32 v30, 28, v32
	v_lshlrev_b64 v[30:31], v30, v[1:2]
	v_sub_nc_u32_e32 v31, 29, v32
	v_and_b32_e32 v30, 7, v30
; %bb.38:                               ;   in Loop: Header=BB241_12 Depth=1
	s_or_b32 exec_lo, exec_lo, s43
	v_lshlrev_b32_e32 v32, 8, v1
	v_lshl_add_u32 v31, v31, 10, 0x2000
	v_lshlrev_b32_e32 v30, 7, v30
	v_and_b32_e32 v32, 0x8000, v32
	v_and_b32_e32 v31, 0xfc00, v31
	v_or3_b32 v30, v32, v31, v30
.LBB241_39:                             ;   in Loop: Header=BB241_12 Depth=1
	s_or_b32 exec_lo, exec_lo, s42
.LBB241_40:                             ;   in Loop: Header=BB241_12 Depth=1
	s_or_b32 exec_lo, exec_lo, s41
.LBB241_41:                             ;   in Loop: Header=BB241_12 Depth=1
	s_or_b32 exec_lo, exec_lo, s40
	v_lshrrev_b16 v1, 8, v1
	s_mov_b32 s40, exec_lo
	v_cmpx_ne_u16_e32 0, v1
	s_cbranch_execz .LBB241_49
; %bb.42:                               ;   in Loop: Header=BB241_12 Depth=1
	v_bfrev_b32_e32 v29, 1
	s_mov_b32 s41, exec_lo
	v_cmpx_ne_u16_e32 0x80, v1
	s_cbranch_execz .LBB241_48
; %bb.43:                               ;   in Loop: Header=BB241_12 Depth=1
	v_and_b32_sdwa v32, v1, v19 dst_sel:DWORD dst_unused:UNUSED_PAD src0_sel:WORD_0 src1_sel:DWORD
	v_mov_b32_e32 v29, 0x7c010000
	s_mov_b32 s42, exec_lo
	v_cmpx_ne_u32_e32 0x7f, v32
	s_cbranch_execz .LBB241_47
; %bb.44:                               ;   in Loop: Header=BB241_12 Depth=1
	v_and_b32_sdwa v29, v1, v20 dst_sel:DWORD dst_unused:UNUSED_PAD src0_sel:WORD_0 src1_sel:DWORD
	v_lshrrev_b32_e32 v31, 3, v32
	s_mov_b32 s43, exec_lo
	v_cmpx_gt_u32_e32 8, v32
; %bb.45:                               ;   in Loop: Header=BB241_12 Depth=1
	v_ffbh_u32_e32 v29, v29
	v_min_u32_e32 v29, 32, v29
	v_subrev_nc_u32_e32 v31, 28, v29
	v_lshlrev_b64 v[32:33], v31, v[1:2]
	v_sub_nc_u32_e32 v31, 29, v29
	v_and_b32_e32 v29, 7, v32
; %bb.46:                               ;   in Loop: Header=BB241_12 Depth=1
	s_or_b32 exec_lo, exec_lo, s43
	v_lshlrev_b32_sdwa v1, v21, v1 dst_sel:DWORD dst_unused:UNUSED_PAD src0_sel:DWORD src1_sel:WORD_0
	v_lshl_add_u32 v31, v31, 10, 0x2000
	v_lshlrev_b32_e32 v29, 23, v29
	v_and_or_b32 v1, 0x8000, v1, v31
	v_lshl_or_b32 v29, v1, 16, v29
.LBB241_47:                             ;   in Loop: Header=BB241_12 Depth=1
	s_or_b32 exec_lo, exec_lo, s42
.LBB241_48:                             ;   in Loop: Header=BB241_12 Depth=1
	s_or_b32 exec_lo, exec_lo, s41
.LBB241_49:                             ;   in Loop: Header=BB241_12 Depth=1
	s_or_b32 exec_lo, exec_lo, s40
	global_load_ushort v32, v[7:8], off offset:128
	v_mov_b32_e32 v31, 0
	s_waitcnt vmcnt(0)
	v_and_b32_e32 v1, 0xffff, v32
	v_cmp_ne_u16_sdwa s2, v32, v2 src0_sel:BYTE_0 src1_sel:DWORD
	v_mov_b32_e32 v32, 0
	s_and_saveexec_b32 s40, s2
	s_cbranch_execz .LBB241_57
; %bb.50:                               ;   in Loop: Header=BB241_12 Depth=1
	v_cmp_ne_u16_sdwa s2, v1, v18 src0_sel:BYTE_0 src1_sel:DWORD
	v_mov_b32_e32 v32, 0x8000
	s_and_saveexec_b32 s41, s2
	s_cbranch_execz .LBB241_56
; %bb.51:                               ;   in Loop: Header=BB241_12 Depth=1
	v_and_b32_e32 v34, 0x7f, v1
	v_mov_b32_e32 v32, 0x7c01
	s_mov_b32 s42, exec_lo
	v_cmpx_ne_u32_e32 0x7f, v34
	s_cbranch_execz .LBB241_55
; %bb.52:                               ;   in Loop: Header=BB241_12 Depth=1
	v_and_b32_e32 v32, 7, v1
	v_lshrrev_b32_e32 v33, 3, v34
	s_mov_b32 s43, exec_lo
	v_cmpx_gt_u32_e32 8, v34
; %bb.53:                               ;   in Loop: Header=BB241_12 Depth=1
	v_ffbh_u32_e32 v32, v32
	v_min_u32_e32 v34, 32, v32
	v_subrev_nc_u32_e32 v32, 28, v34
	v_lshlrev_b64 v[32:33], v32, v[1:2]
	v_sub_nc_u32_e32 v33, 29, v34
	v_and_b32_e32 v32, 7, v32
; %bb.54:                               ;   in Loop: Header=BB241_12 Depth=1
	s_or_b32 exec_lo, exec_lo, s43
	v_lshlrev_b32_e32 v34, 8, v1
	v_lshl_add_u32 v33, v33, 10, 0x2000
	v_lshlrev_b32_e32 v32, 7, v32
	v_and_b32_e32 v34, 0x8000, v34
	v_and_b32_e32 v33, 0xfc00, v33
	v_or3_b32 v32, v34, v33, v32
.LBB241_55:                             ;   in Loop: Header=BB241_12 Depth=1
	s_or_b32 exec_lo, exec_lo, s42
.LBB241_56:                             ;   in Loop: Header=BB241_12 Depth=1
	s_or_b32 exec_lo, exec_lo, s41
.LBB241_57:                             ;   in Loop: Header=BB241_12 Depth=1
	s_or_b32 exec_lo, exec_lo, s40
	v_lshrrev_b16 v1, 8, v1
	s_mov_b32 s40, exec_lo
	v_cmpx_ne_u16_e32 0, v1
	s_cbranch_execz .LBB241_65
; %bb.58:                               ;   in Loop: Header=BB241_12 Depth=1
	v_bfrev_b32_e32 v31, 1
	s_mov_b32 s41, exec_lo
	v_cmpx_ne_u16_e32 0x80, v1
	s_cbranch_execz .LBB241_64
; %bb.59:                               ;   in Loop: Header=BB241_12 Depth=1
	v_and_b32_sdwa v34, v1, v19 dst_sel:DWORD dst_unused:UNUSED_PAD src0_sel:WORD_0 src1_sel:DWORD
	v_mov_b32_e32 v31, 0x7c010000
	s_mov_b32 s42, exec_lo
	v_cmpx_ne_u32_e32 0x7f, v34
	s_cbranch_execz .LBB241_63
; %bb.60:                               ;   in Loop: Header=BB241_12 Depth=1
	v_and_b32_sdwa v31, v1, v20 dst_sel:DWORD dst_unused:UNUSED_PAD src0_sel:WORD_0 src1_sel:DWORD
	v_lshrrev_b32_e32 v33, 3, v34
	s_mov_b32 s43, exec_lo
	v_cmpx_gt_u32_e32 8, v34
; %bb.61:                               ;   in Loop: Header=BB241_12 Depth=1
	v_ffbh_u32_e32 v31, v31
	v_min_u32_e32 v31, 32, v31
	v_subrev_nc_u32_e32 v33, 28, v31
	v_lshlrev_b64 v[34:35], v33, v[1:2]
	v_sub_nc_u32_e32 v33, 29, v31
	v_and_b32_e32 v31, 7, v34
; %bb.62:                               ;   in Loop: Header=BB241_12 Depth=1
	s_or_b32 exec_lo, exec_lo, s43
	v_lshlrev_b32_sdwa v1, v21, v1 dst_sel:DWORD dst_unused:UNUSED_PAD src0_sel:DWORD src1_sel:WORD_0
	v_lshl_add_u32 v33, v33, 10, 0x2000
	v_lshlrev_b32_e32 v31, 23, v31
	v_and_or_b32 v1, 0x8000, v1, v33
	v_lshl_or_b32 v31, v1, 16, v31
.LBB241_63:                             ;   in Loop: Header=BB241_12 Depth=1
	s_or_b32 exec_lo, exec_lo, s42
.LBB241_64:                             ;   in Loop: Header=BB241_12 Depth=1
	s_or_b32 exec_lo, exec_lo, s41
.LBB241_65:                             ;   in Loop: Header=BB241_12 Depth=1
	s_or_b32 exec_lo, exec_lo, s40
	global_load_ushort v34, v[7:8], off offset:136
	v_mov_b32_e32 v33, 0
	s_waitcnt vmcnt(0)
	v_and_b32_e32 v1, 0xffff, v34
	v_cmp_ne_u16_sdwa s2, v34, v2 src0_sel:BYTE_0 src1_sel:DWORD
	v_mov_b32_e32 v34, 0
	s_and_saveexec_b32 s40, s2
	s_cbranch_execz .LBB241_73
; %bb.66:                               ;   in Loop: Header=BB241_12 Depth=1
	v_cmp_ne_u16_sdwa s2, v1, v18 src0_sel:BYTE_0 src1_sel:DWORD
	v_mov_b32_e32 v34, 0x8000
	s_and_saveexec_b32 s41, s2
	s_cbranch_execz .LBB241_72
; %bb.67:                               ;   in Loop: Header=BB241_12 Depth=1
	v_and_b32_e32 v36, 0x7f, v1
	v_mov_b32_e32 v34, 0x7c01
	s_mov_b32 s42, exec_lo
	v_cmpx_ne_u32_e32 0x7f, v36
	s_cbranch_execz .LBB241_71
; %bb.68:                               ;   in Loop: Header=BB241_12 Depth=1
	v_and_b32_e32 v34, 7, v1
	v_lshrrev_b32_e32 v35, 3, v36
	s_mov_b32 s43, exec_lo
	v_cmpx_gt_u32_e32 8, v36
; %bb.69:                               ;   in Loop: Header=BB241_12 Depth=1
	v_ffbh_u32_e32 v34, v34
	v_min_u32_e32 v36, 32, v34
	v_subrev_nc_u32_e32 v34, 28, v36
	v_lshlrev_b64 v[34:35], v34, v[1:2]
	v_sub_nc_u32_e32 v35, 29, v36
	v_and_b32_e32 v34, 7, v34
; %bb.70:                               ;   in Loop: Header=BB241_12 Depth=1
	s_or_b32 exec_lo, exec_lo, s43
	v_lshlrev_b32_e32 v36, 8, v1
	v_lshl_add_u32 v35, v35, 10, 0x2000
	v_lshlrev_b32_e32 v34, 7, v34
	v_and_b32_e32 v36, 0x8000, v36
	v_and_b32_e32 v35, 0xfc00, v35
	v_or3_b32 v34, v36, v35, v34
.LBB241_71:                             ;   in Loop: Header=BB241_12 Depth=1
	s_or_b32 exec_lo, exec_lo, s42
.LBB241_72:                             ;   in Loop: Header=BB241_12 Depth=1
	s_or_b32 exec_lo, exec_lo, s41
.LBB241_73:                             ;   in Loop: Header=BB241_12 Depth=1
	s_or_b32 exec_lo, exec_lo, s40
	v_lshrrev_b16 v1, 8, v1
	s_mov_b32 s40, exec_lo
	v_cmpx_ne_u16_e32 0, v1
	s_cbranch_execz .LBB241_81
; %bb.74:                               ;   in Loop: Header=BB241_12 Depth=1
	v_bfrev_b32_e32 v33, 1
	s_mov_b32 s41, exec_lo
	v_cmpx_ne_u16_e32 0x80, v1
	s_cbranch_execz .LBB241_80
; %bb.75:                               ;   in Loop: Header=BB241_12 Depth=1
	v_and_b32_sdwa v36, v1, v19 dst_sel:DWORD dst_unused:UNUSED_PAD src0_sel:WORD_0 src1_sel:DWORD
	v_mov_b32_e32 v33, 0x7c010000
	s_mov_b32 s42, exec_lo
	v_cmpx_ne_u32_e32 0x7f, v36
	s_cbranch_execz .LBB241_79
; %bb.76:                               ;   in Loop: Header=BB241_12 Depth=1
	v_and_b32_sdwa v33, v1, v20 dst_sel:DWORD dst_unused:UNUSED_PAD src0_sel:WORD_0 src1_sel:DWORD
	v_lshrrev_b32_e32 v35, 3, v36
	s_mov_b32 s43, exec_lo
	v_cmpx_gt_u32_e32 8, v36
; %bb.77:                               ;   in Loop: Header=BB241_12 Depth=1
	v_ffbh_u32_e32 v33, v33
	v_min_u32_e32 v33, 32, v33
	v_subrev_nc_u32_e32 v35, 28, v33
	v_lshlrev_b64 v[36:37], v35, v[1:2]
	v_sub_nc_u32_e32 v35, 29, v33
	v_and_b32_e32 v33, 7, v36
; %bb.78:                               ;   in Loop: Header=BB241_12 Depth=1
	s_or_b32 exec_lo, exec_lo, s43
	v_lshlrev_b32_sdwa v1, v21, v1 dst_sel:DWORD dst_unused:UNUSED_PAD src0_sel:DWORD src1_sel:WORD_0
	v_lshl_add_u32 v35, v35, 10, 0x2000
	v_lshlrev_b32_e32 v33, 23, v33
	v_and_or_b32 v1, 0x8000, v1, v35
	v_lshl_or_b32 v33, v1, 16, v33
.LBB241_79:                             ;   in Loop: Header=BB241_12 Depth=1
	s_or_b32 exec_lo, exec_lo, s42
.LBB241_80:                             ;   in Loop: Header=BB241_12 Depth=1
	s_or_b32 exec_lo, exec_lo, s41
.LBB241_81:                             ;   in Loop: Header=BB241_12 Depth=1
	s_or_b32 exec_lo, exec_lo, s40
	global_load_ushort v36, v[7:8], off offset:256
	v_mov_b32_e32 v35, 0
	s_waitcnt vmcnt(0)
	v_and_b32_e32 v1, 0xffff, v36
	v_cmp_ne_u16_sdwa s2, v36, v2 src0_sel:BYTE_0 src1_sel:DWORD
	v_mov_b32_e32 v36, 0
	s_and_saveexec_b32 s40, s2
	s_cbranch_execz .LBB241_89
; %bb.82:                               ;   in Loop: Header=BB241_12 Depth=1
	v_cmp_ne_u16_sdwa s2, v1, v18 src0_sel:BYTE_0 src1_sel:DWORD
	v_mov_b32_e32 v36, 0x8000
	s_and_saveexec_b32 s41, s2
	s_cbranch_execz .LBB241_88
; %bb.83:                               ;   in Loop: Header=BB241_12 Depth=1
	v_and_b32_e32 v38, 0x7f, v1
	v_mov_b32_e32 v36, 0x7c01
	s_mov_b32 s42, exec_lo
	v_cmpx_ne_u32_e32 0x7f, v38
	s_cbranch_execz .LBB241_87
; %bb.84:                               ;   in Loop: Header=BB241_12 Depth=1
	v_and_b32_e32 v36, 7, v1
	v_lshrrev_b32_e32 v37, 3, v38
	s_mov_b32 s43, exec_lo
	v_cmpx_gt_u32_e32 8, v38
; %bb.85:                               ;   in Loop: Header=BB241_12 Depth=1
	v_ffbh_u32_e32 v36, v36
	v_min_u32_e32 v38, 32, v36
	v_subrev_nc_u32_e32 v36, 28, v38
	v_lshlrev_b64 v[36:37], v36, v[1:2]
	v_sub_nc_u32_e32 v37, 29, v38
	v_and_b32_e32 v36, 7, v36
; %bb.86:                               ;   in Loop: Header=BB241_12 Depth=1
	s_or_b32 exec_lo, exec_lo, s43
	v_lshlrev_b32_e32 v38, 8, v1
	v_lshl_add_u32 v37, v37, 10, 0x2000
	v_lshlrev_b32_e32 v36, 7, v36
	v_and_b32_e32 v38, 0x8000, v38
	v_and_b32_e32 v37, 0xfc00, v37
	v_or3_b32 v36, v38, v37, v36
.LBB241_87:                             ;   in Loop: Header=BB241_12 Depth=1
	s_or_b32 exec_lo, exec_lo, s42
.LBB241_88:                             ;   in Loop: Header=BB241_12 Depth=1
	s_or_b32 exec_lo, exec_lo, s41
.LBB241_89:                             ;   in Loop: Header=BB241_12 Depth=1
	s_or_b32 exec_lo, exec_lo, s40
	v_lshrrev_b16 v1, 8, v1
	s_mov_b32 s40, exec_lo
	v_cmpx_ne_u16_e32 0, v1
	s_cbranch_execz .LBB241_97
; %bb.90:                               ;   in Loop: Header=BB241_12 Depth=1
	v_bfrev_b32_e32 v35, 1
	s_mov_b32 s41, exec_lo
	v_cmpx_ne_u16_e32 0x80, v1
	s_cbranch_execz .LBB241_96
; %bb.91:                               ;   in Loop: Header=BB241_12 Depth=1
	v_and_b32_sdwa v38, v1, v19 dst_sel:DWORD dst_unused:UNUSED_PAD src0_sel:WORD_0 src1_sel:DWORD
	v_mov_b32_e32 v35, 0x7c010000
	s_mov_b32 s42, exec_lo
	v_cmpx_ne_u32_e32 0x7f, v38
	s_cbranch_execz .LBB241_95
; %bb.92:                               ;   in Loop: Header=BB241_12 Depth=1
	v_and_b32_sdwa v35, v1, v20 dst_sel:DWORD dst_unused:UNUSED_PAD src0_sel:WORD_0 src1_sel:DWORD
	v_lshrrev_b32_e32 v37, 3, v38
	s_mov_b32 s43, exec_lo
	v_cmpx_gt_u32_e32 8, v38
; %bb.93:                               ;   in Loop: Header=BB241_12 Depth=1
	v_ffbh_u32_e32 v35, v35
	v_min_u32_e32 v35, 32, v35
	v_subrev_nc_u32_e32 v37, 28, v35
	v_lshlrev_b64 v[38:39], v37, v[1:2]
	v_sub_nc_u32_e32 v37, 29, v35
	v_and_b32_e32 v35, 7, v38
; %bb.94:                               ;   in Loop: Header=BB241_12 Depth=1
	s_or_b32 exec_lo, exec_lo, s43
	v_lshlrev_b32_sdwa v1, v21, v1 dst_sel:DWORD dst_unused:UNUSED_PAD src0_sel:DWORD src1_sel:WORD_0
	v_lshl_add_u32 v37, v37, 10, 0x2000
	v_lshlrev_b32_e32 v35, 23, v35
	v_and_or_b32 v1, 0x8000, v1, v37
	v_lshl_or_b32 v35, v1, 16, v35
.LBB241_95:                             ;   in Loop: Header=BB241_12 Depth=1
	s_or_b32 exec_lo, exec_lo, s42
.LBB241_96:                             ;   in Loop: Header=BB241_12 Depth=1
	s_or_b32 exec_lo, exec_lo, s41
.LBB241_97:                             ;   in Loop: Header=BB241_12 Depth=1
	s_or_b32 exec_lo, exec_lo, s40
	global_load_ushort v38, v[7:8], off offset:264
	v_mov_b32_e32 v37, 0
	s_waitcnt vmcnt(0)
	v_and_b32_e32 v1, 0xffff, v38
	v_cmp_ne_u16_sdwa s2, v38, v2 src0_sel:BYTE_0 src1_sel:DWORD
	v_mov_b32_e32 v38, 0
	s_and_saveexec_b32 s40, s2
	s_cbranch_execz .LBB241_105
; %bb.98:                               ;   in Loop: Header=BB241_12 Depth=1
	v_cmp_ne_u16_sdwa s2, v1, v18 src0_sel:BYTE_0 src1_sel:DWORD
	v_mov_b32_e32 v38, 0x8000
	s_and_saveexec_b32 s41, s2
	s_cbranch_execz .LBB241_104
; %bb.99:                               ;   in Loop: Header=BB241_12 Depth=1
	v_and_b32_e32 v40, 0x7f, v1
	v_mov_b32_e32 v38, 0x7c01
	s_mov_b32 s42, exec_lo
	v_cmpx_ne_u32_e32 0x7f, v40
	s_cbranch_execz .LBB241_103
; %bb.100:                              ;   in Loop: Header=BB241_12 Depth=1
	v_and_b32_e32 v38, 7, v1
	v_lshrrev_b32_e32 v39, 3, v40
	s_mov_b32 s43, exec_lo
	v_cmpx_gt_u32_e32 8, v40
; %bb.101:                              ;   in Loop: Header=BB241_12 Depth=1
	v_ffbh_u32_e32 v38, v38
	v_min_u32_e32 v40, 32, v38
	v_subrev_nc_u32_e32 v38, 28, v40
	v_lshlrev_b64 v[38:39], v38, v[1:2]
	v_sub_nc_u32_e32 v39, 29, v40
	v_and_b32_e32 v38, 7, v38
; %bb.102:                              ;   in Loop: Header=BB241_12 Depth=1
	s_or_b32 exec_lo, exec_lo, s43
	v_lshlrev_b32_e32 v40, 8, v1
	v_lshl_add_u32 v39, v39, 10, 0x2000
	v_lshlrev_b32_e32 v38, 7, v38
	v_and_b32_e32 v40, 0x8000, v40
	v_and_b32_e32 v39, 0xfc00, v39
	v_or3_b32 v38, v40, v39, v38
.LBB241_103:                            ;   in Loop: Header=BB241_12 Depth=1
	s_or_b32 exec_lo, exec_lo, s42
.LBB241_104:                            ;   in Loop: Header=BB241_12 Depth=1
	s_or_b32 exec_lo, exec_lo, s41
.LBB241_105:                            ;   in Loop: Header=BB241_12 Depth=1
	s_or_b32 exec_lo, exec_lo, s40
	v_lshrrev_b16 v1, 8, v1
	s_mov_b32 s40, exec_lo
	v_cmpx_ne_u16_e32 0, v1
	s_cbranch_execz .LBB241_113
; %bb.106:                              ;   in Loop: Header=BB241_12 Depth=1
	v_bfrev_b32_e32 v37, 1
	s_mov_b32 s41, exec_lo
	v_cmpx_ne_u16_e32 0x80, v1
	s_cbranch_execz .LBB241_112
; %bb.107:                              ;   in Loop: Header=BB241_12 Depth=1
	v_and_b32_sdwa v40, v1, v19 dst_sel:DWORD dst_unused:UNUSED_PAD src0_sel:WORD_0 src1_sel:DWORD
	v_mov_b32_e32 v37, 0x7c010000
	s_mov_b32 s42, exec_lo
	v_cmpx_ne_u32_e32 0x7f, v40
	s_cbranch_execz .LBB241_111
; %bb.108:                              ;   in Loop: Header=BB241_12 Depth=1
	v_and_b32_sdwa v37, v1, v20 dst_sel:DWORD dst_unused:UNUSED_PAD src0_sel:WORD_0 src1_sel:DWORD
	v_lshrrev_b32_e32 v39, 3, v40
	s_mov_b32 s43, exec_lo
	v_cmpx_gt_u32_e32 8, v40
; %bb.109:                              ;   in Loop: Header=BB241_12 Depth=1
	v_ffbh_u32_e32 v37, v37
	v_min_u32_e32 v37, 32, v37
	v_subrev_nc_u32_e32 v39, 28, v37
	v_lshlrev_b64 v[40:41], v39, v[1:2]
	v_sub_nc_u32_e32 v39, 29, v37
	v_and_b32_e32 v37, 7, v40
; %bb.110:                              ;   in Loop: Header=BB241_12 Depth=1
	s_or_b32 exec_lo, exec_lo, s43
	v_lshlrev_b32_sdwa v1, v21, v1 dst_sel:DWORD dst_unused:UNUSED_PAD src0_sel:DWORD src1_sel:WORD_0
	v_lshl_add_u32 v39, v39, 10, 0x2000
	v_lshlrev_b32_e32 v37, 23, v37
	v_and_or_b32 v1, 0x8000, v1, v39
	v_lshl_or_b32 v37, v1, 16, v37
.LBB241_111:                            ;   in Loop: Header=BB241_12 Depth=1
	s_or_b32 exec_lo, exec_lo, s42
.LBB241_112:                            ;   in Loop: Header=BB241_12 Depth=1
	s_or_b32 exec_lo, exec_lo, s41
.LBB241_113:                            ;   in Loop: Header=BB241_12 Depth=1
	s_or_b32 exec_lo, exec_lo, s40
	global_load_ushort v40, v[7:8], off offset:384
	v_mov_b32_e32 v39, 0
	s_waitcnt vmcnt(0)
	v_and_b32_e32 v1, 0xffff, v40
	v_cmp_ne_u16_sdwa s2, v40, v2 src0_sel:BYTE_0 src1_sel:DWORD
	v_mov_b32_e32 v40, 0
	s_and_saveexec_b32 s40, s2
	s_cbranch_execz .LBB241_121
; %bb.114:                              ;   in Loop: Header=BB241_12 Depth=1
	v_cmp_ne_u16_sdwa s2, v1, v18 src0_sel:BYTE_0 src1_sel:DWORD
	v_mov_b32_e32 v40, 0x8000
	s_and_saveexec_b32 s41, s2
	s_cbranch_execz .LBB241_120
; %bb.115:                              ;   in Loop: Header=BB241_12 Depth=1
	v_and_b32_e32 v42, 0x7f, v1
	v_mov_b32_e32 v40, 0x7c01
	s_mov_b32 s42, exec_lo
	v_cmpx_ne_u32_e32 0x7f, v42
	s_cbranch_execz .LBB241_119
; %bb.116:                              ;   in Loop: Header=BB241_12 Depth=1
	v_and_b32_e32 v40, 7, v1
	v_lshrrev_b32_e32 v41, 3, v42
	s_mov_b32 s43, exec_lo
	v_cmpx_gt_u32_e32 8, v42
; %bb.117:                              ;   in Loop: Header=BB241_12 Depth=1
	v_ffbh_u32_e32 v40, v40
	v_min_u32_e32 v42, 32, v40
	v_subrev_nc_u32_e32 v40, 28, v42
	v_lshlrev_b64 v[40:41], v40, v[1:2]
	v_sub_nc_u32_e32 v41, 29, v42
	v_and_b32_e32 v40, 7, v40
; %bb.118:                              ;   in Loop: Header=BB241_12 Depth=1
	s_or_b32 exec_lo, exec_lo, s43
	v_lshlrev_b32_e32 v42, 8, v1
	v_lshl_add_u32 v41, v41, 10, 0x2000
	v_lshlrev_b32_e32 v40, 7, v40
	v_and_b32_e32 v42, 0x8000, v42
	v_and_b32_e32 v41, 0xfc00, v41
	v_or3_b32 v40, v42, v41, v40
.LBB241_119:                            ;   in Loop: Header=BB241_12 Depth=1
	s_or_b32 exec_lo, exec_lo, s42
.LBB241_120:                            ;   in Loop: Header=BB241_12 Depth=1
	s_or_b32 exec_lo, exec_lo, s41
.LBB241_121:                            ;   in Loop: Header=BB241_12 Depth=1
	s_or_b32 exec_lo, exec_lo, s40
	v_lshrrev_b16 v1, 8, v1
	s_mov_b32 s40, exec_lo
	v_cmpx_ne_u16_e32 0, v1
	s_cbranch_execz .LBB241_129
; %bb.122:                              ;   in Loop: Header=BB241_12 Depth=1
	v_bfrev_b32_e32 v39, 1
	s_mov_b32 s41, exec_lo
	v_cmpx_ne_u16_e32 0x80, v1
	s_cbranch_execz .LBB241_128
; %bb.123:                              ;   in Loop: Header=BB241_12 Depth=1
	v_and_b32_sdwa v42, v1, v19 dst_sel:DWORD dst_unused:UNUSED_PAD src0_sel:WORD_0 src1_sel:DWORD
	v_mov_b32_e32 v39, 0x7c010000
	s_mov_b32 s42, exec_lo
	v_cmpx_ne_u32_e32 0x7f, v42
	s_cbranch_execz .LBB241_127
; %bb.124:                              ;   in Loop: Header=BB241_12 Depth=1
	v_and_b32_sdwa v39, v1, v20 dst_sel:DWORD dst_unused:UNUSED_PAD src0_sel:WORD_0 src1_sel:DWORD
	v_lshrrev_b32_e32 v41, 3, v42
	s_mov_b32 s43, exec_lo
	v_cmpx_gt_u32_e32 8, v42
; %bb.125:                              ;   in Loop: Header=BB241_12 Depth=1
	v_ffbh_u32_e32 v39, v39
	v_min_u32_e32 v39, 32, v39
	v_subrev_nc_u32_e32 v41, 28, v39
	v_lshlrev_b64 v[42:43], v41, v[1:2]
	v_sub_nc_u32_e32 v41, 29, v39
	v_and_b32_e32 v39, 7, v42
; %bb.126:                              ;   in Loop: Header=BB241_12 Depth=1
	s_or_b32 exec_lo, exec_lo, s43
	v_lshlrev_b32_sdwa v1, v21, v1 dst_sel:DWORD dst_unused:UNUSED_PAD src0_sel:DWORD src1_sel:WORD_0
	v_lshl_add_u32 v41, v41, 10, 0x2000
	v_lshlrev_b32_e32 v39, 23, v39
	v_and_or_b32 v1, 0x8000, v1, v41
	v_lshl_or_b32 v39, v1, 16, v39
.LBB241_127:                            ;   in Loop: Header=BB241_12 Depth=1
	s_or_b32 exec_lo, exec_lo, s42
.LBB241_128:                            ;   in Loop: Header=BB241_12 Depth=1
	s_or_b32 exec_lo, exec_lo, s41
.LBB241_129:                            ;   in Loop: Header=BB241_12 Depth=1
	s_or_b32 exec_lo, exec_lo, s40
	global_load_ushort v42, v[7:8], off offset:392
	v_mov_b32_e32 v41, 0
	s_waitcnt vmcnt(0)
	v_and_b32_e32 v1, 0xffff, v42
	v_cmp_ne_u16_sdwa s2, v42, v2 src0_sel:BYTE_0 src1_sel:DWORD
	v_mov_b32_e32 v42, 0
	s_and_saveexec_b32 s40, s2
	s_cbranch_execz .LBB241_137
; %bb.130:                              ;   in Loop: Header=BB241_12 Depth=1
	v_cmp_ne_u16_sdwa s2, v1, v18 src0_sel:BYTE_0 src1_sel:DWORD
	v_mov_b32_e32 v42, 0x8000
	s_and_saveexec_b32 s41, s2
	s_cbranch_execz .LBB241_136
; %bb.131:                              ;   in Loop: Header=BB241_12 Depth=1
	v_and_b32_e32 v44, 0x7f, v1
	v_mov_b32_e32 v42, 0x7c01
	s_mov_b32 s42, exec_lo
	v_cmpx_ne_u32_e32 0x7f, v44
	s_cbranch_execz .LBB241_135
; %bb.132:                              ;   in Loop: Header=BB241_12 Depth=1
	v_and_b32_e32 v42, 7, v1
	v_lshrrev_b32_e32 v43, 3, v44
	s_mov_b32 s43, exec_lo
	v_cmpx_gt_u32_e32 8, v44
; %bb.133:                              ;   in Loop: Header=BB241_12 Depth=1
	v_ffbh_u32_e32 v42, v42
	v_min_u32_e32 v44, 32, v42
	v_subrev_nc_u32_e32 v42, 28, v44
	v_lshlrev_b64 v[42:43], v42, v[1:2]
	v_sub_nc_u32_e32 v43, 29, v44
	v_and_b32_e32 v42, 7, v42
; %bb.134:                              ;   in Loop: Header=BB241_12 Depth=1
	s_or_b32 exec_lo, exec_lo, s43
	v_lshlrev_b32_e32 v44, 8, v1
	v_lshl_add_u32 v43, v43, 10, 0x2000
	v_lshlrev_b32_e32 v42, 7, v42
	v_and_b32_e32 v44, 0x8000, v44
	v_and_b32_e32 v43, 0xfc00, v43
	v_or3_b32 v42, v44, v43, v42
.LBB241_135:                            ;   in Loop: Header=BB241_12 Depth=1
	s_or_b32 exec_lo, exec_lo, s42
.LBB241_136:                            ;   in Loop: Header=BB241_12 Depth=1
	s_or_b32 exec_lo, exec_lo, s41
.LBB241_137:                            ;   in Loop: Header=BB241_12 Depth=1
	s_or_b32 exec_lo, exec_lo, s40
	v_lshrrev_b16 v1, 8, v1
	s_mov_b32 s40, exec_lo
	v_cmpx_ne_u16_e32 0, v1
	s_cbranch_execz .LBB241_145
; %bb.138:                              ;   in Loop: Header=BB241_12 Depth=1
	v_bfrev_b32_e32 v41, 1
	s_mov_b32 s41, exec_lo
	v_cmpx_ne_u16_e32 0x80, v1
	s_cbranch_execz .LBB241_144
; %bb.139:                              ;   in Loop: Header=BB241_12 Depth=1
	v_and_b32_sdwa v44, v1, v19 dst_sel:DWORD dst_unused:UNUSED_PAD src0_sel:WORD_0 src1_sel:DWORD
	v_mov_b32_e32 v41, 0x7c010000
	s_mov_b32 s42, exec_lo
	v_cmpx_ne_u32_e32 0x7f, v44
	s_cbranch_execz .LBB241_143
; %bb.140:                              ;   in Loop: Header=BB241_12 Depth=1
	v_and_b32_sdwa v41, v1, v20 dst_sel:DWORD dst_unused:UNUSED_PAD src0_sel:WORD_0 src1_sel:DWORD
	v_lshrrev_b32_e32 v43, 3, v44
	s_mov_b32 s43, exec_lo
	v_cmpx_gt_u32_e32 8, v44
; %bb.141:                              ;   in Loop: Header=BB241_12 Depth=1
	v_ffbh_u32_e32 v41, v41
	v_min_u32_e32 v41, 32, v41
	v_subrev_nc_u32_e32 v43, 28, v41
	v_lshlrev_b64 v[44:45], v43, v[1:2]
	v_sub_nc_u32_e32 v43, 29, v41
	v_and_b32_e32 v41, 7, v44
; %bb.142:                              ;   in Loop: Header=BB241_12 Depth=1
	s_or_b32 exec_lo, exec_lo, s43
	v_lshlrev_b32_sdwa v1, v21, v1 dst_sel:DWORD dst_unused:UNUSED_PAD src0_sel:DWORD src1_sel:WORD_0
	v_lshl_add_u32 v43, v43, 10, 0x2000
	v_lshlrev_b32_e32 v41, 23, v41
	v_and_or_b32 v1, 0x8000, v1, v43
	v_lshl_or_b32 v41, v1, 16, v41
.LBB241_143:                            ;   in Loop: Header=BB241_12 Depth=1
	s_or_b32 exec_lo, exec_lo, s42
.LBB241_144:                            ;   in Loop: Header=BB241_12 Depth=1
	s_or_b32 exec_lo, exec_lo, s41
.LBB241_145:                            ;   in Loop: Header=BB241_12 Depth=1
	s_or_b32 exec_lo, exec_lo, s40
	global_load_ushort v44, v[7:8], off offset:512
	v_mov_b32_e32 v43, 0
	s_waitcnt vmcnt(0)
	v_and_b32_e32 v1, 0xffff, v44
	v_cmp_ne_u16_sdwa s2, v44, v2 src0_sel:BYTE_0 src1_sel:DWORD
	v_mov_b32_e32 v44, 0
	s_and_saveexec_b32 s40, s2
	s_cbranch_execz .LBB241_153
; %bb.146:                              ;   in Loop: Header=BB241_12 Depth=1
	v_cmp_ne_u16_sdwa s2, v1, v18 src0_sel:BYTE_0 src1_sel:DWORD
	v_mov_b32_e32 v44, 0x8000
	s_and_saveexec_b32 s41, s2
	s_cbranch_execz .LBB241_152
; %bb.147:                              ;   in Loop: Header=BB241_12 Depth=1
	v_and_b32_e32 v46, 0x7f, v1
	v_mov_b32_e32 v44, 0x7c01
	s_mov_b32 s42, exec_lo
	v_cmpx_ne_u32_e32 0x7f, v46
	s_cbranch_execz .LBB241_151
; %bb.148:                              ;   in Loop: Header=BB241_12 Depth=1
	v_and_b32_e32 v44, 7, v1
	v_lshrrev_b32_e32 v45, 3, v46
	s_mov_b32 s43, exec_lo
	v_cmpx_gt_u32_e32 8, v46
; %bb.149:                              ;   in Loop: Header=BB241_12 Depth=1
	v_ffbh_u32_e32 v44, v44
	v_min_u32_e32 v46, 32, v44
	v_subrev_nc_u32_e32 v44, 28, v46
	v_lshlrev_b64 v[44:45], v44, v[1:2]
	v_sub_nc_u32_e32 v45, 29, v46
	v_and_b32_e32 v44, 7, v44
; %bb.150:                              ;   in Loop: Header=BB241_12 Depth=1
	s_or_b32 exec_lo, exec_lo, s43
	v_lshlrev_b32_e32 v46, 8, v1
	v_lshl_add_u32 v45, v45, 10, 0x2000
	v_lshlrev_b32_e32 v44, 7, v44
	v_and_b32_e32 v46, 0x8000, v46
	v_and_b32_e32 v45, 0xfc00, v45
	v_or3_b32 v44, v46, v45, v44
.LBB241_151:                            ;   in Loop: Header=BB241_12 Depth=1
	s_or_b32 exec_lo, exec_lo, s42
.LBB241_152:                            ;   in Loop: Header=BB241_12 Depth=1
	s_or_b32 exec_lo, exec_lo, s41
.LBB241_153:                            ;   in Loop: Header=BB241_12 Depth=1
	s_or_b32 exec_lo, exec_lo, s40
	v_lshrrev_b16 v1, 8, v1
	s_mov_b32 s40, exec_lo
	v_cmpx_ne_u16_e32 0, v1
	s_cbranch_execz .LBB241_161
; %bb.154:                              ;   in Loop: Header=BB241_12 Depth=1
	v_bfrev_b32_e32 v43, 1
	s_mov_b32 s41, exec_lo
	v_cmpx_ne_u16_e32 0x80, v1
	s_cbranch_execz .LBB241_160
; %bb.155:                              ;   in Loop: Header=BB241_12 Depth=1
	v_and_b32_sdwa v46, v1, v19 dst_sel:DWORD dst_unused:UNUSED_PAD src0_sel:WORD_0 src1_sel:DWORD
	v_mov_b32_e32 v43, 0x7c010000
	s_mov_b32 s42, exec_lo
	v_cmpx_ne_u32_e32 0x7f, v46
	s_cbranch_execz .LBB241_159
; %bb.156:                              ;   in Loop: Header=BB241_12 Depth=1
	v_and_b32_sdwa v43, v1, v20 dst_sel:DWORD dst_unused:UNUSED_PAD src0_sel:WORD_0 src1_sel:DWORD
	v_lshrrev_b32_e32 v45, 3, v46
	s_mov_b32 s43, exec_lo
	v_cmpx_gt_u32_e32 8, v46
; %bb.157:                              ;   in Loop: Header=BB241_12 Depth=1
	v_ffbh_u32_e32 v43, v43
	v_min_u32_e32 v43, 32, v43
	v_subrev_nc_u32_e32 v45, 28, v43
	v_lshlrev_b64 v[46:47], v45, v[1:2]
	v_sub_nc_u32_e32 v45, 29, v43
	v_and_b32_e32 v43, 7, v46
; %bb.158:                              ;   in Loop: Header=BB241_12 Depth=1
	s_or_b32 exec_lo, exec_lo, s43
	v_lshlrev_b32_sdwa v1, v21, v1 dst_sel:DWORD dst_unused:UNUSED_PAD src0_sel:DWORD src1_sel:WORD_0
	v_lshl_add_u32 v45, v45, 10, 0x2000
	v_lshlrev_b32_e32 v43, 23, v43
	v_and_or_b32 v1, 0x8000, v1, v45
	v_lshl_or_b32 v43, v1, 16, v43
.LBB241_159:                            ;   in Loop: Header=BB241_12 Depth=1
	s_or_b32 exec_lo, exec_lo, s42
.LBB241_160:                            ;   in Loop: Header=BB241_12 Depth=1
	s_or_b32 exec_lo, exec_lo, s41
.LBB241_161:                            ;   in Loop: Header=BB241_12 Depth=1
	s_or_b32 exec_lo, exec_lo, s40
	global_load_ushort v46, v[7:8], off offset:520
	v_mov_b32_e32 v45, 0
	s_waitcnt vmcnt(0)
	v_and_b32_e32 v1, 0xffff, v46
	v_cmp_ne_u16_sdwa s2, v46, v2 src0_sel:BYTE_0 src1_sel:DWORD
	v_mov_b32_e32 v46, 0
	s_and_saveexec_b32 s40, s2
	s_cbranch_execz .LBB241_169
; %bb.162:                              ;   in Loop: Header=BB241_12 Depth=1
	v_cmp_ne_u16_sdwa s2, v1, v18 src0_sel:BYTE_0 src1_sel:DWORD
	v_mov_b32_e32 v46, 0x8000
	s_and_saveexec_b32 s41, s2
	s_cbranch_execz .LBB241_168
; %bb.163:                              ;   in Loop: Header=BB241_12 Depth=1
	v_and_b32_e32 v48, 0x7f, v1
	v_mov_b32_e32 v46, 0x7c01
	s_mov_b32 s42, exec_lo
	v_cmpx_ne_u32_e32 0x7f, v48
	s_cbranch_execz .LBB241_167
; %bb.164:                              ;   in Loop: Header=BB241_12 Depth=1
	v_and_b32_e32 v46, 7, v1
	v_lshrrev_b32_e32 v47, 3, v48
	s_mov_b32 s43, exec_lo
	v_cmpx_gt_u32_e32 8, v48
; %bb.165:                              ;   in Loop: Header=BB241_12 Depth=1
	v_ffbh_u32_e32 v46, v46
	v_min_u32_e32 v48, 32, v46
	v_subrev_nc_u32_e32 v46, 28, v48
	v_lshlrev_b64 v[46:47], v46, v[1:2]
	v_sub_nc_u32_e32 v47, 29, v48
	v_and_b32_e32 v46, 7, v46
; %bb.166:                              ;   in Loop: Header=BB241_12 Depth=1
	s_or_b32 exec_lo, exec_lo, s43
	v_lshlrev_b32_e32 v48, 8, v1
	v_lshl_add_u32 v47, v47, 10, 0x2000
	v_lshlrev_b32_e32 v46, 7, v46
	v_and_b32_e32 v48, 0x8000, v48
	v_and_b32_e32 v47, 0xfc00, v47
	v_or3_b32 v46, v48, v47, v46
.LBB241_167:                            ;   in Loop: Header=BB241_12 Depth=1
	s_or_b32 exec_lo, exec_lo, s42
.LBB241_168:                            ;   in Loop: Header=BB241_12 Depth=1
	s_or_b32 exec_lo, exec_lo, s41
.LBB241_169:                            ;   in Loop: Header=BB241_12 Depth=1
	s_or_b32 exec_lo, exec_lo, s40
	v_lshrrev_b16 v1, 8, v1
	s_mov_b32 s40, exec_lo
	v_cmpx_ne_u16_e32 0, v1
	s_cbranch_execz .LBB241_177
; %bb.170:                              ;   in Loop: Header=BB241_12 Depth=1
	v_bfrev_b32_e32 v45, 1
	s_mov_b32 s41, exec_lo
	v_cmpx_ne_u16_e32 0x80, v1
	s_cbranch_execz .LBB241_176
; %bb.171:                              ;   in Loop: Header=BB241_12 Depth=1
	v_and_b32_sdwa v48, v1, v19 dst_sel:DWORD dst_unused:UNUSED_PAD src0_sel:WORD_0 src1_sel:DWORD
	v_mov_b32_e32 v45, 0x7c010000
	s_mov_b32 s42, exec_lo
	v_cmpx_ne_u32_e32 0x7f, v48
	s_cbranch_execz .LBB241_175
; %bb.172:                              ;   in Loop: Header=BB241_12 Depth=1
	v_and_b32_sdwa v45, v1, v20 dst_sel:DWORD dst_unused:UNUSED_PAD src0_sel:WORD_0 src1_sel:DWORD
	v_lshrrev_b32_e32 v47, 3, v48
	s_mov_b32 s43, exec_lo
	v_cmpx_gt_u32_e32 8, v48
; %bb.173:                              ;   in Loop: Header=BB241_12 Depth=1
	v_ffbh_u32_e32 v45, v45
	v_min_u32_e32 v45, 32, v45
	v_subrev_nc_u32_e32 v47, 28, v45
	v_lshlrev_b64 v[48:49], v47, v[1:2]
	v_sub_nc_u32_e32 v47, 29, v45
	v_and_b32_e32 v45, 7, v48
; %bb.174:                              ;   in Loop: Header=BB241_12 Depth=1
	s_or_b32 exec_lo, exec_lo, s43
	v_lshlrev_b32_sdwa v1, v21, v1 dst_sel:DWORD dst_unused:UNUSED_PAD src0_sel:DWORD src1_sel:WORD_0
	v_lshl_add_u32 v47, v47, 10, 0x2000
	v_lshlrev_b32_e32 v45, 23, v45
	v_and_or_b32 v1, 0x8000, v1, v47
	v_lshl_or_b32 v45, v1, 16, v45
.LBB241_175:                            ;   in Loop: Header=BB241_12 Depth=1
	s_or_b32 exec_lo, exec_lo, s42
.LBB241_176:                            ;   in Loop: Header=BB241_12 Depth=1
	s_or_b32 exec_lo, exec_lo, s41
.LBB241_177:                            ;   in Loop: Header=BB241_12 Depth=1
	s_or_b32 exec_lo, exec_lo, s40
	global_load_ushort v48, v[7:8], off offset:640
	v_mov_b32_e32 v47, 0
	s_waitcnt vmcnt(0)
	v_and_b32_e32 v1, 0xffff, v48
	v_cmp_ne_u16_sdwa s2, v48, v2 src0_sel:BYTE_0 src1_sel:DWORD
	v_mov_b32_e32 v48, 0
	s_and_saveexec_b32 s40, s2
	s_cbranch_execz .LBB241_185
; %bb.178:                              ;   in Loop: Header=BB241_12 Depth=1
	v_cmp_ne_u16_sdwa s2, v1, v18 src0_sel:BYTE_0 src1_sel:DWORD
	v_mov_b32_e32 v48, 0x8000
	s_and_saveexec_b32 s41, s2
	s_cbranch_execz .LBB241_184
; %bb.179:                              ;   in Loop: Header=BB241_12 Depth=1
	v_and_b32_e32 v50, 0x7f, v1
	v_mov_b32_e32 v48, 0x7c01
	s_mov_b32 s42, exec_lo
	v_cmpx_ne_u32_e32 0x7f, v50
	s_cbranch_execz .LBB241_183
; %bb.180:                              ;   in Loop: Header=BB241_12 Depth=1
	v_and_b32_e32 v48, 7, v1
	v_lshrrev_b32_e32 v49, 3, v50
	s_mov_b32 s43, exec_lo
	v_cmpx_gt_u32_e32 8, v50
; %bb.181:                              ;   in Loop: Header=BB241_12 Depth=1
	v_ffbh_u32_e32 v48, v48
	v_min_u32_e32 v50, 32, v48
	v_subrev_nc_u32_e32 v48, 28, v50
	v_lshlrev_b64 v[48:49], v48, v[1:2]
	v_sub_nc_u32_e32 v49, 29, v50
	v_and_b32_e32 v48, 7, v48
; %bb.182:                              ;   in Loop: Header=BB241_12 Depth=1
	s_or_b32 exec_lo, exec_lo, s43
	v_lshlrev_b32_e32 v50, 8, v1
	v_lshl_add_u32 v49, v49, 10, 0x2000
	v_lshlrev_b32_e32 v48, 7, v48
	v_and_b32_e32 v50, 0x8000, v50
	v_and_b32_e32 v49, 0xfc00, v49
	v_or3_b32 v48, v50, v49, v48
.LBB241_183:                            ;   in Loop: Header=BB241_12 Depth=1
	s_or_b32 exec_lo, exec_lo, s42
.LBB241_184:                            ;   in Loop: Header=BB241_12 Depth=1
	s_or_b32 exec_lo, exec_lo, s41
.LBB241_185:                            ;   in Loop: Header=BB241_12 Depth=1
	s_or_b32 exec_lo, exec_lo, s40
	v_lshrrev_b16 v1, 8, v1
	s_mov_b32 s40, exec_lo
	v_cmpx_ne_u16_e32 0, v1
	s_cbranch_execz .LBB241_193
; %bb.186:                              ;   in Loop: Header=BB241_12 Depth=1
	v_bfrev_b32_e32 v47, 1
	s_mov_b32 s41, exec_lo
	v_cmpx_ne_u16_e32 0x80, v1
	s_cbranch_execz .LBB241_192
; %bb.187:                              ;   in Loop: Header=BB241_12 Depth=1
	v_and_b32_sdwa v50, v1, v19 dst_sel:DWORD dst_unused:UNUSED_PAD src0_sel:WORD_0 src1_sel:DWORD
	v_mov_b32_e32 v47, 0x7c010000
	s_mov_b32 s42, exec_lo
	v_cmpx_ne_u32_e32 0x7f, v50
	s_cbranch_execz .LBB241_191
; %bb.188:                              ;   in Loop: Header=BB241_12 Depth=1
	v_and_b32_sdwa v47, v1, v20 dst_sel:DWORD dst_unused:UNUSED_PAD src0_sel:WORD_0 src1_sel:DWORD
	v_lshrrev_b32_e32 v49, 3, v50
	s_mov_b32 s43, exec_lo
	v_cmpx_gt_u32_e32 8, v50
; %bb.189:                              ;   in Loop: Header=BB241_12 Depth=1
	v_ffbh_u32_e32 v47, v47
	v_min_u32_e32 v47, 32, v47
	v_subrev_nc_u32_e32 v49, 28, v47
	v_lshlrev_b64 v[50:51], v49, v[1:2]
	v_sub_nc_u32_e32 v49, 29, v47
	v_and_b32_e32 v47, 7, v50
; %bb.190:                              ;   in Loop: Header=BB241_12 Depth=1
	s_or_b32 exec_lo, exec_lo, s43
	v_lshlrev_b32_sdwa v1, v21, v1 dst_sel:DWORD dst_unused:UNUSED_PAD src0_sel:DWORD src1_sel:WORD_0
	v_lshl_add_u32 v49, v49, 10, 0x2000
	v_lshlrev_b32_e32 v47, 23, v47
	v_and_or_b32 v1, 0x8000, v1, v49
	v_lshl_or_b32 v47, v1, 16, v47
.LBB241_191:                            ;   in Loop: Header=BB241_12 Depth=1
	s_or_b32 exec_lo, exec_lo, s42
.LBB241_192:                            ;   in Loop: Header=BB241_12 Depth=1
	s_or_b32 exec_lo, exec_lo, s41
.LBB241_193:                            ;   in Loop: Header=BB241_12 Depth=1
	s_or_b32 exec_lo, exec_lo, s40
	global_load_ushort v50, v[7:8], off offset:648
	v_mov_b32_e32 v49, 0
	s_waitcnt vmcnt(0)
	v_and_b32_e32 v1, 0xffff, v50
	v_cmp_ne_u16_sdwa s2, v50, v2 src0_sel:BYTE_0 src1_sel:DWORD
	v_mov_b32_e32 v50, 0
	s_and_saveexec_b32 s40, s2
	s_cbranch_execz .LBB241_201
; %bb.194:                              ;   in Loop: Header=BB241_12 Depth=1
	v_cmp_ne_u16_sdwa s2, v1, v18 src0_sel:BYTE_0 src1_sel:DWORD
	v_mov_b32_e32 v50, 0x8000
	s_and_saveexec_b32 s41, s2
	s_cbranch_execz .LBB241_200
; %bb.195:                              ;   in Loop: Header=BB241_12 Depth=1
	v_and_b32_e32 v52, 0x7f, v1
	v_mov_b32_e32 v50, 0x7c01
	s_mov_b32 s42, exec_lo
	v_cmpx_ne_u32_e32 0x7f, v52
	s_cbranch_execz .LBB241_199
; %bb.196:                              ;   in Loop: Header=BB241_12 Depth=1
	v_and_b32_e32 v50, 7, v1
	v_lshrrev_b32_e32 v51, 3, v52
	s_mov_b32 s43, exec_lo
	v_cmpx_gt_u32_e32 8, v52
; %bb.197:                              ;   in Loop: Header=BB241_12 Depth=1
	v_ffbh_u32_e32 v50, v50
	v_min_u32_e32 v52, 32, v50
	v_subrev_nc_u32_e32 v50, 28, v52
	v_lshlrev_b64 v[50:51], v50, v[1:2]
	v_sub_nc_u32_e32 v51, 29, v52
	v_and_b32_e32 v50, 7, v50
; %bb.198:                              ;   in Loop: Header=BB241_12 Depth=1
	s_or_b32 exec_lo, exec_lo, s43
	v_lshlrev_b32_e32 v52, 8, v1
	v_lshl_add_u32 v51, v51, 10, 0x2000
	v_lshlrev_b32_e32 v50, 7, v50
	v_and_b32_e32 v52, 0x8000, v52
	v_and_b32_e32 v51, 0xfc00, v51
	v_or3_b32 v50, v52, v51, v50
.LBB241_199:                            ;   in Loop: Header=BB241_12 Depth=1
	s_or_b32 exec_lo, exec_lo, s42
.LBB241_200:                            ;   in Loop: Header=BB241_12 Depth=1
	s_or_b32 exec_lo, exec_lo, s41
.LBB241_201:                            ;   in Loop: Header=BB241_12 Depth=1
	s_or_b32 exec_lo, exec_lo, s40
	v_lshrrev_b16 v1, 8, v1
	s_mov_b32 s40, exec_lo
	v_cmpx_ne_u16_e32 0, v1
	s_cbranch_execz .LBB241_209
; %bb.202:                              ;   in Loop: Header=BB241_12 Depth=1
	v_bfrev_b32_e32 v49, 1
	s_mov_b32 s41, exec_lo
	v_cmpx_ne_u16_e32 0x80, v1
	s_cbranch_execz .LBB241_208
; %bb.203:                              ;   in Loop: Header=BB241_12 Depth=1
	v_and_b32_sdwa v52, v1, v19 dst_sel:DWORD dst_unused:UNUSED_PAD src0_sel:WORD_0 src1_sel:DWORD
	v_mov_b32_e32 v49, 0x7c010000
	s_mov_b32 s42, exec_lo
	v_cmpx_ne_u32_e32 0x7f, v52
	s_cbranch_execz .LBB241_207
; %bb.204:                              ;   in Loop: Header=BB241_12 Depth=1
	v_and_b32_sdwa v49, v1, v20 dst_sel:DWORD dst_unused:UNUSED_PAD src0_sel:WORD_0 src1_sel:DWORD
	v_lshrrev_b32_e32 v51, 3, v52
	s_mov_b32 s43, exec_lo
	v_cmpx_gt_u32_e32 8, v52
; %bb.205:                              ;   in Loop: Header=BB241_12 Depth=1
	v_ffbh_u32_e32 v49, v49
	v_min_u32_e32 v49, 32, v49
	v_subrev_nc_u32_e32 v51, 28, v49
	v_lshlrev_b64 v[52:53], v51, v[1:2]
	v_sub_nc_u32_e32 v51, 29, v49
	v_and_b32_e32 v49, 7, v52
; %bb.206:                              ;   in Loop: Header=BB241_12 Depth=1
	s_or_b32 exec_lo, exec_lo, s43
	v_lshlrev_b32_sdwa v1, v21, v1 dst_sel:DWORD dst_unused:UNUSED_PAD src0_sel:DWORD src1_sel:WORD_0
	v_lshl_add_u32 v51, v51, 10, 0x2000
	v_lshlrev_b32_e32 v49, 23, v49
	v_and_or_b32 v1, 0x8000, v1, v51
	v_lshl_or_b32 v49, v1, 16, v49
.LBB241_207:                            ;   in Loop: Header=BB241_12 Depth=1
	s_or_b32 exec_lo, exec_lo, s42
.LBB241_208:                            ;   in Loop: Header=BB241_12 Depth=1
	s_or_b32 exec_lo, exec_lo, s41
.LBB241_209:                            ;   in Loop: Header=BB241_12 Depth=1
	s_or_b32 exec_lo, exec_lo, s40
	global_load_ushort v52, v[7:8], off offset:768
	v_mov_b32_e32 v51, 0
	s_waitcnt vmcnt(0)
	v_and_b32_e32 v1, 0xffff, v52
	v_cmp_ne_u16_sdwa s2, v52, v2 src0_sel:BYTE_0 src1_sel:DWORD
	v_mov_b32_e32 v52, 0
	s_and_saveexec_b32 s40, s2
	s_cbranch_execz .LBB241_217
; %bb.210:                              ;   in Loop: Header=BB241_12 Depth=1
	v_cmp_ne_u16_sdwa s2, v1, v18 src0_sel:BYTE_0 src1_sel:DWORD
	v_mov_b32_e32 v52, 0x8000
	s_and_saveexec_b32 s41, s2
	s_cbranch_execz .LBB241_216
; %bb.211:                              ;   in Loop: Header=BB241_12 Depth=1
	v_and_b32_e32 v54, 0x7f, v1
	v_mov_b32_e32 v52, 0x7c01
	s_mov_b32 s42, exec_lo
	v_cmpx_ne_u32_e32 0x7f, v54
	s_cbranch_execz .LBB241_215
; %bb.212:                              ;   in Loop: Header=BB241_12 Depth=1
	v_and_b32_e32 v52, 7, v1
	v_lshrrev_b32_e32 v53, 3, v54
	s_mov_b32 s43, exec_lo
	v_cmpx_gt_u32_e32 8, v54
; %bb.213:                              ;   in Loop: Header=BB241_12 Depth=1
	v_ffbh_u32_e32 v52, v52
	v_min_u32_e32 v54, 32, v52
	v_subrev_nc_u32_e32 v52, 28, v54
	v_lshlrev_b64 v[52:53], v52, v[1:2]
	v_sub_nc_u32_e32 v53, 29, v54
	v_and_b32_e32 v52, 7, v52
; %bb.214:                              ;   in Loop: Header=BB241_12 Depth=1
	s_or_b32 exec_lo, exec_lo, s43
	v_lshlrev_b32_e32 v54, 8, v1
	v_lshl_add_u32 v53, v53, 10, 0x2000
	v_lshlrev_b32_e32 v52, 7, v52
	v_and_b32_e32 v54, 0x8000, v54
	v_and_b32_e32 v53, 0xfc00, v53
	v_or3_b32 v52, v54, v53, v52
.LBB241_215:                            ;   in Loop: Header=BB241_12 Depth=1
	s_or_b32 exec_lo, exec_lo, s42
.LBB241_216:                            ;   in Loop: Header=BB241_12 Depth=1
	s_or_b32 exec_lo, exec_lo, s41
.LBB241_217:                            ;   in Loop: Header=BB241_12 Depth=1
	s_or_b32 exec_lo, exec_lo, s40
	v_lshrrev_b16 v1, 8, v1
	s_mov_b32 s40, exec_lo
	v_cmpx_ne_u16_e32 0, v1
	s_cbranch_execz .LBB241_225
; %bb.218:                              ;   in Loop: Header=BB241_12 Depth=1
	v_bfrev_b32_e32 v51, 1
	s_mov_b32 s41, exec_lo
	v_cmpx_ne_u16_e32 0x80, v1
	s_cbranch_execz .LBB241_224
; %bb.219:                              ;   in Loop: Header=BB241_12 Depth=1
	v_and_b32_sdwa v54, v1, v19 dst_sel:DWORD dst_unused:UNUSED_PAD src0_sel:WORD_0 src1_sel:DWORD
	v_mov_b32_e32 v51, 0x7c010000
	s_mov_b32 s42, exec_lo
	v_cmpx_ne_u32_e32 0x7f, v54
	s_cbranch_execz .LBB241_223
; %bb.220:                              ;   in Loop: Header=BB241_12 Depth=1
	v_and_b32_sdwa v51, v1, v20 dst_sel:DWORD dst_unused:UNUSED_PAD src0_sel:WORD_0 src1_sel:DWORD
	v_lshrrev_b32_e32 v53, 3, v54
	s_mov_b32 s43, exec_lo
	v_cmpx_gt_u32_e32 8, v54
; %bb.221:                              ;   in Loop: Header=BB241_12 Depth=1
	v_ffbh_u32_e32 v51, v51
	v_min_u32_e32 v51, 32, v51
	v_subrev_nc_u32_e32 v53, 28, v51
	v_lshlrev_b64 v[54:55], v53, v[1:2]
	v_sub_nc_u32_e32 v53, 29, v51
	v_and_b32_e32 v51, 7, v54
; %bb.222:                              ;   in Loop: Header=BB241_12 Depth=1
	s_or_b32 exec_lo, exec_lo, s43
	v_lshlrev_b32_sdwa v1, v21, v1 dst_sel:DWORD dst_unused:UNUSED_PAD src0_sel:DWORD src1_sel:WORD_0
	v_lshl_add_u32 v53, v53, 10, 0x2000
	v_lshlrev_b32_e32 v51, 23, v51
	v_and_or_b32 v1, 0x8000, v1, v53
	v_lshl_or_b32 v51, v1, 16, v51
.LBB241_223:                            ;   in Loop: Header=BB241_12 Depth=1
	s_or_b32 exec_lo, exec_lo, s42
.LBB241_224:                            ;   in Loop: Header=BB241_12 Depth=1
	s_or_b32 exec_lo, exec_lo, s41
.LBB241_225:                            ;   in Loop: Header=BB241_12 Depth=1
	s_or_b32 exec_lo, exec_lo, s40
	global_load_ushort v54, v[7:8], off offset:776
	v_mov_b32_e32 v53, 0
	s_waitcnt vmcnt(0)
	v_and_b32_e32 v1, 0xffff, v54
	v_cmp_ne_u16_sdwa s2, v54, v2 src0_sel:BYTE_0 src1_sel:DWORD
	v_mov_b32_e32 v54, 0
	s_and_saveexec_b32 s40, s2
	s_cbranch_execz .LBB241_233
; %bb.226:                              ;   in Loop: Header=BB241_12 Depth=1
	v_cmp_ne_u16_sdwa s2, v1, v18 src0_sel:BYTE_0 src1_sel:DWORD
	v_mov_b32_e32 v54, 0x8000
	s_and_saveexec_b32 s41, s2
	s_cbranch_execz .LBB241_232
; %bb.227:                              ;   in Loop: Header=BB241_12 Depth=1
	v_and_b32_e32 v56, 0x7f, v1
	v_mov_b32_e32 v54, 0x7c01
	s_mov_b32 s42, exec_lo
	v_cmpx_ne_u32_e32 0x7f, v56
	s_cbranch_execz .LBB241_231
; %bb.228:                              ;   in Loop: Header=BB241_12 Depth=1
	v_and_b32_e32 v54, 7, v1
	v_lshrrev_b32_e32 v55, 3, v56
	s_mov_b32 s43, exec_lo
	v_cmpx_gt_u32_e32 8, v56
; %bb.229:                              ;   in Loop: Header=BB241_12 Depth=1
	v_ffbh_u32_e32 v54, v54
	v_min_u32_e32 v56, 32, v54
	v_subrev_nc_u32_e32 v54, 28, v56
	v_lshlrev_b64 v[54:55], v54, v[1:2]
	v_sub_nc_u32_e32 v55, 29, v56
	v_and_b32_e32 v54, 7, v54
; %bb.230:                              ;   in Loop: Header=BB241_12 Depth=1
	s_or_b32 exec_lo, exec_lo, s43
	v_lshlrev_b32_e32 v56, 8, v1
	v_lshl_add_u32 v55, v55, 10, 0x2000
	v_lshlrev_b32_e32 v54, 7, v54
	v_and_b32_e32 v56, 0x8000, v56
	v_and_b32_e32 v55, 0xfc00, v55
	v_or3_b32 v54, v56, v55, v54
.LBB241_231:                            ;   in Loop: Header=BB241_12 Depth=1
	s_or_b32 exec_lo, exec_lo, s42
.LBB241_232:                            ;   in Loop: Header=BB241_12 Depth=1
	s_or_b32 exec_lo, exec_lo, s41
.LBB241_233:                            ;   in Loop: Header=BB241_12 Depth=1
	s_or_b32 exec_lo, exec_lo, s40
	v_lshrrev_b16 v1, 8, v1
	s_mov_b32 s40, exec_lo
	v_cmpx_ne_u16_e32 0, v1
	s_cbranch_execz .LBB241_241
; %bb.234:                              ;   in Loop: Header=BB241_12 Depth=1
	v_bfrev_b32_e32 v53, 1
	s_mov_b32 s41, exec_lo
	v_cmpx_ne_u16_e32 0x80, v1
	s_cbranch_execz .LBB241_240
; %bb.235:                              ;   in Loop: Header=BB241_12 Depth=1
	v_and_b32_sdwa v56, v1, v19 dst_sel:DWORD dst_unused:UNUSED_PAD src0_sel:WORD_0 src1_sel:DWORD
	v_mov_b32_e32 v53, 0x7c010000
	s_mov_b32 s42, exec_lo
	v_cmpx_ne_u32_e32 0x7f, v56
	s_cbranch_execz .LBB241_239
; %bb.236:                              ;   in Loop: Header=BB241_12 Depth=1
	v_and_b32_sdwa v53, v1, v20 dst_sel:DWORD dst_unused:UNUSED_PAD src0_sel:WORD_0 src1_sel:DWORD
	v_lshrrev_b32_e32 v55, 3, v56
	s_mov_b32 s43, exec_lo
	v_cmpx_gt_u32_e32 8, v56
; %bb.237:                              ;   in Loop: Header=BB241_12 Depth=1
	v_ffbh_u32_e32 v53, v53
	v_min_u32_e32 v53, 32, v53
	v_subrev_nc_u32_e32 v55, 28, v53
	v_lshlrev_b64 v[56:57], v55, v[1:2]
	v_sub_nc_u32_e32 v55, 29, v53
	v_and_b32_e32 v53, 7, v56
; %bb.238:                              ;   in Loop: Header=BB241_12 Depth=1
	s_or_b32 exec_lo, exec_lo, s43
	v_lshlrev_b32_sdwa v1, v21, v1 dst_sel:DWORD dst_unused:UNUSED_PAD src0_sel:DWORD src1_sel:WORD_0
	v_lshl_add_u32 v55, v55, 10, 0x2000
	v_lshlrev_b32_e32 v53, 23, v53
	v_and_or_b32 v1, 0x8000, v1, v55
	v_lshl_or_b32 v53, v1, 16, v53
.LBB241_239:                            ;   in Loop: Header=BB241_12 Depth=1
	s_or_b32 exec_lo, exec_lo, s42
.LBB241_240:                            ;   in Loop: Header=BB241_12 Depth=1
	s_or_b32 exec_lo, exec_lo, s41
.LBB241_241:                            ;   in Loop: Header=BB241_12 Depth=1
	s_or_b32 exec_lo, exec_lo, s40
	global_load_ushort v56, v[7:8], off offset:896
	v_mov_b32_e32 v55, 0
	s_waitcnt vmcnt(0)
	v_and_b32_e32 v1, 0xffff, v56
	v_cmp_ne_u16_sdwa s2, v56, v2 src0_sel:BYTE_0 src1_sel:DWORD
	v_mov_b32_e32 v56, 0
	s_and_saveexec_b32 s40, s2
	s_cbranch_execz .LBB241_249
; %bb.242:                              ;   in Loop: Header=BB241_12 Depth=1
	v_cmp_ne_u16_sdwa s2, v1, v18 src0_sel:BYTE_0 src1_sel:DWORD
	v_mov_b32_e32 v56, 0x8000
	s_and_saveexec_b32 s41, s2
	s_cbranch_execz .LBB241_248
; %bb.243:                              ;   in Loop: Header=BB241_12 Depth=1
	v_and_b32_e32 v58, 0x7f, v1
	v_mov_b32_e32 v56, 0x7c01
	s_mov_b32 s42, exec_lo
	v_cmpx_ne_u32_e32 0x7f, v58
	s_cbranch_execz .LBB241_247
; %bb.244:                              ;   in Loop: Header=BB241_12 Depth=1
	v_and_b32_e32 v56, 7, v1
	v_lshrrev_b32_e32 v57, 3, v58
	s_mov_b32 s43, exec_lo
	v_cmpx_gt_u32_e32 8, v58
; %bb.245:                              ;   in Loop: Header=BB241_12 Depth=1
	v_ffbh_u32_e32 v56, v56
	v_min_u32_e32 v58, 32, v56
	v_subrev_nc_u32_e32 v56, 28, v58
	v_lshlrev_b64 v[56:57], v56, v[1:2]
	v_sub_nc_u32_e32 v57, 29, v58
	v_and_b32_e32 v56, 7, v56
; %bb.246:                              ;   in Loop: Header=BB241_12 Depth=1
	s_or_b32 exec_lo, exec_lo, s43
	v_lshlrev_b32_e32 v58, 8, v1
	v_lshl_add_u32 v57, v57, 10, 0x2000
	v_lshlrev_b32_e32 v56, 7, v56
	v_and_b32_e32 v58, 0x8000, v58
	v_and_b32_e32 v57, 0xfc00, v57
	v_or3_b32 v56, v58, v57, v56
.LBB241_247:                            ;   in Loop: Header=BB241_12 Depth=1
	s_or_b32 exec_lo, exec_lo, s42
.LBB241_248:                            ;   in Loop: Header=BB241_12 Depth=1
	s_or_b32 exec_lo, exec_lo, s41
.LBB241_249:                            ;   in Loop: Header=BB241_12 Depth=1
	s_or_b32 exec_lo, exec_lo, s40
	v_lshrrev_b16 v1, 8, v1
	s_mov_b32 s40, exec_lo
	v_cmpx_ne_u16_e32 0, v1
	s_cbranch_execz .LBB241_257
; %bb.250:                              ;   in Loop: Header=BB241_12 Depth=1
	v_bfrev_b32_e32 v55, 1
	s_mov_b32 s41, exec_lo
	v_cmpx_ne_u16_e32 0x80, v1
	s_cbranch_execz .LBB241_256
; %bb.251:                              ;   in Loop: Header=BB241_12 Depth=1
	v_and_b32_sdwa v58, v1, v19 dst_sel:DWORD dst_unused:UNUSED_PAD src0_sel:WORD_0 src1_sel:DWORD
	v_mov_b32_e32 v55, 0x7c010000
	s_mov_b32 s42, exec_lo
	v_cmpx_ne_u32_e32 0x7f, v58
	s_cbranch_execz .LBB241_255
; %bb.252:                              ;   in Loop: Header=BB241_12 Depth=1
	v_and_b32_sdwa v55, v1, v20 dst_sel:DWORD dst_unused:UNUSED_PAD src0_sel:WORD_0 src1_sel:DWORD
	v_lshrrev_b32_e32 v57, 3, v58
	s_mov_b32 s43, exec_lo
	v_cmpx_gt_u32_e32 8, v58
; %bb.253:                              ;   in Loop: Header=BB241_12 Depth=1
	v_ffbh_u32_e32 v55, v55
	v_min_u32_e32 v55, 32, v55
	v_subrev_nc_u32_e32 v57, 28, v55
	v_lshlrev_b64 v[58:59], v57, v[1:2]
	v_sub_nc_u32_e32 v57, 29, v55
	v_and_b32_e32 v55, 7, v58
; %bb.254:                              ;   in Loop: Header=BB241_12 Depth=1
	s_or_b32 exec_lo, exec_lo, s43
	v_lshlrev_b32_sdwa v1, v21, v1 dst_sel:DWORD dst_unused:UNUSED_PAD src0_sel:DWORD src1_sel:WORD_0
	v_lshl_add_u32 v57, v57, 10, 0x2000
	v_lshlrev_b32_e32 v55, 23, v55
	v_and_or_b32 v1, 0x8000, v1, v57
	v_lshl_or_b32 v55, v1, 16, v55
.LBB241_255:                            ;   in Loop: Header=BB241_12 Depth=1
	s_or_b32 exec_lo, exec_lo, s42
.LBB241_256:                            ;   in Loop: Header=BB241_12 Depth=1
	s_or_b32 exec_lo, exec_lo, s41
.LBB241_257:                            ;   in Loop: Header=BB241_12 Depth=1
	s_or_b32 exec_lo, exec_lo, s40
	global_load_ushort v58, v[7:8], off offset:904
	v_mov_b32_e32 v57, 0
	s_waitcnt vmcnt(0)
	v_and_b32_e32 v1, 0xffff, v58
	v_cmp_ne_u16_sdwa s2, v58, v2 src0_sel:BYTE_0 src1_sel:DWORD
	v_mov_b32_e32 v58, 0
	s_and_saveexec_b32 s40, s2
	s_cbranch_execz .LBB241_265
; %bb.258:                              ;   in Loop: Header=BB241_12 Depth=1
	v_cmp_ne_u16_sdwa s2, v1, v18 src0_sel:BYTE_0 src1_sel:DWORD
	v_mov_b32_e32 v58, 0x8000
	s_and_saveexec_b32 s41, s2
	s_cbranch_execz .LBB241_264
; %bb.259:                              ;   in Loop: Header=BB241_12 Depth=1
	v_and_b32_e32 v60, 0x7f, v1
	v_mov_b32_e32 v58, 0x7c01
	s_mov_b32 s42, exec_lo
	v_cmpx_ne_u32_e32 0x7f, v60
	s_cbranch_execz .LBB241_263
; %bb.260:                              ;   in Loop: Header=BB241_12 Depth=1
	v_and_b32_e32 v58, 7, v1
	v_lshrrev_b32_e32 v59, 3, v60
	s_mov_b32 s43, exec_lo
	v_cmpx_gt_u32_e32 8, v60
; %bb.261:                              ;   in Loop: Header=BB241_12 Depth=1
	v_ffbh_u32_e32 v58, v58
	v_min_u32_e32 v60, 32, v58
	v_subrev_nc_u32_e32 v58, 28, v60
	v_lshlrev_b64 v[58:59], v58, v[1:2]
	v_sub_nc_u32_e32 v59, 29, v60
	v_and_b32_e32 v58, 7, v58
; %bb.262:                              ;   in Loop: Header=BB241_12 Depth=1
	s_or_b32 exec_lo, exec_lo, s43
	v_lshlrev_b32_e32 v60, 8, v1
	v_lshl_add_u32 v59, v59, 10, 0x2000
	v_lshlrev_b32_e32 v58, 7, v58
	v_and_b32_e32 v60, 0x8000, v60
	v_and_b32_e32 v59, 0xfc00, v59
	v_or3_b32 v58, v60, v59, v58
.LBB241_263:                            ;   in Loop: Header=BB241_12 Depth=1
	s_or_b32 exec_lo, exec_lo, s42
.LBB241_264:                            ;   in Loop: Header=BB241_12 Depth=1
	s_or_b32 exec_lo, exec_lo, s41
.LBB241_265:                            ;   in Loop: Header=BB241_12 Depth=1
	s_or_b32 exec_lo, exec_lo, s40
	v_lshrrev_b16 v1, 8, v1
	s_mov_b32 s40, exec_lo
	v_cmpx_ne_u16_e32 0, v1
	s_cbranch_execz .LBB241_273
; %bb.266:                              ;   in Loop: Header=BB241_12 Depth=1
	v_bfrev_b32_e32 v57, 1
	s_mov_b32 s41, exec_lo
	v_cmpx_ne_u16_e32 0x80, v1
	s_cbranch_execz .LBB241_272
; %bb.267:                              ;   in Loop: Header=BB241_12 Depth=1
	v_and_b32_sdwa v60, v1, v19 dst_sel:DWORD dst_unused:UNUSED_PAD src0_sel:WORD_0 src1_sel:DWORD
	v_mov_b32_e32 v57, 0x7c010000
	s_mov_b32 s42, exec_lo
	v_cmpx_ne_u32_e32 0x7f, v60
	s_cbranch_execz .LBB241_271
; %bb.268:                              ;   in Loop: Header=BB241_12 Depth=1
	v_and_b32_sdwa v57, v1, v20 dst_sel:DWORD dst_unused:UNUSED_PAD src0_sel:WORD_0 src1_sel:DWORD
	v_lshrrev_b32_e32 v59, 3, v60
	s_mov_b32 s43, exec_lo
	v_cmpx_gt_u32_e32 8, v60
; %bb.269:                              ;   in Loop: Header=BB241_12 Depth=1
	v_ffbh_u32_e32 v57, v57
	v_min_u32_e32 v57, 32, v57
	v_subrev_nc_u32_e32 v59, 28, v57
	v_lshlrev_b64 v[60:61], v59, v[1:2]
	v_sub_nc_u32_e32 v59, 29, v57
	v_and_b32_e32 v57, 7, v60
; %bb.270:                              ;   in Loop: Header=BB241_12 Depth=1
	s_or_b32 exec_lo, exec_lo, s43
	v_lshlrev_b32_sdwa v1, v21, v1 dst_sel:DWORD dst_unused:UNUSED_PAD src0_sel:DWORD src1_sel:WORD_0
	v_lshl_add_u32 v59, v59, 10, 0x2000
	v_lshlrev_b32_e32 v57, 23, v57
	v_and_or_b32 v1, 0x8000, v1, v59
	v_lshl_or_b32 v57, v1, 16, v57
.LBB241_271:                            ;   in Loop: Header=BB241_12 Depth=1
	s_or_b32 exec_lo, exec_lo, s42
.LBB241_272:                            ;   in Loop: Header=BB241_12 Depth=1
	s_or_b32 exec_lo, exec_lo, s41
.LBB241_273:                            ;   in Loop: Header=BB241_12 Depth=1
	s_or_b32 exec_lo, exec_lo, s40
	global_load_ushort v60, v[7:8], off offset:1024
	v_mov_b32_e32 v59, 0
	s_waitcnt vmcnt(0)
	v_and_b32_e32 v1, 0xffff, v60
	v_cmp_ne_u16_sdwa s2, v60, v2 src0_sel:BYTE_0 src1_sel:DWORD
	v_mov_b32_e32 v60, 0
	s_and_saveexec_b32 s40, s2
	s_cbranch_execz .LBB241_281
; %bb.274:                              ;   in Loop: Header=BB241_12 Depth=1
	v_cmp_ne_u16_sdwa s2, v1, v18 src0_sel:BYTE_0 src1_sel:DWORD
	v_mov_b32_e32 v60, 0x8000
	s_and_saveexec_b32 s41, s2
	s_cbranch_execz .LBB241_280
; %bb.275:                              ;   in Loop: Header=BB241_12 Depth=1
	v_and_b32_e32 v62, 0x7f, v1
	v_mov_b32_e32 v60, 0x7c01
	s_mov_b32 s42, exec_lo
	v_cmpx_ne_u32_e32 0x7f, v62
	s_cbranch_execz .LBB241_279
; %bb.276:                              ;   in Loop: Header=BB241_12 Depth=1
	v_and_b32_e32 v60, 7, v1
	v_lshrrev_b32_e32 v61, 3, v62
	s_mov_b32 s43, exec_lo
	v_cmpx_gt_u32_e32 8, v62
; %bb.277:                              ;   in Loop: Header=BB241_12 Depth=1
	v_ffbh_u32_e32 v60, v60
	v_min_u32_e32 v62, 32, v60
	v_subrev_nc_u32_e32 v60, 28, v62
	v_lshlrev_b64 v[60:61], v60, v[1:2]
	v_sub_nc_u32_e32 v61, 29, v62
	v_and_b32_e32 v60, 7, v60
; %bb.278:                              ;   in Loop: Header=BB241_12 Depth=1
	s_or_b32 exec_lo, exec_lo, s43
	v_lshlrev_b32_e32 v62, 8, v1
	v_lshl_add_u32 v61, v61, 10, 0x2000
	v_lshlrev_b32_e32 v60, 7, v60
	v_and_b32_e32 v62, 0x8000, v62
	v_and_b32_e32 v61, 0xfc00, v61
	v_or3_b32 v60, v62, v61, v60
.LBB241_279:                            ;   in Loop: Header=BB241_12 Depth=1
	s_or_b32 exec_lo, exec_lo, s42
.LBB241_280:                            ;   in Loop: Header=BB241_12 Depth=1
	s_or_b32 exec_lo, exec_lo, s41
.LBB241_281:                            ;   in Loop: Header=BB241_12 Depth=1
	s_or_b32 exec_lo, exec_lo, s40
	v_lshrrev_b16 v1, 8, v1
	s_mov_b32 s40, exec_lo
	v_cmpx_ne_u16_e32 0, v1
	s_cbranch_execz .LBB241_289
; %bb.282:                              ;   in Loop: Header=BB241_12 Depth=1
	v_bfrev_b32_e32 v59, 1
	s_mov_b32 s41, exec_lo
	v_cmpx_ne_u16_e32 0x80, v1
	s_cbranch_execz .LBB241_288
; %bb.283:                              ;   in Loop: Header=BB241_12 Depth=1
	v_and_b32_sdwa v62, v1, v19 dst_sel:DWORD dst_unused:UNUSED_PAD src0_sel:WORD_0 src1_sel:DWORD
	v_mov_b32_e32 v59, 0x7c010000
	s_mov_b32 s42, exec_lo
	v_cmpx_ne_u32_e32 0x7f, v62
	s_cbranch_execz .LBB241_287
; %bb.284:                              ;   in Loop: Header=BB241_12 Depth=1
	v_and_b32_sdwa v59, v1, v20 dst_sel:DWORD dst_unused:UNUSED_PAD src0_sel:WORD_0 src1_sel:DWORD
	v_lshrrev_b32_e32 v61, 3, v62
	s_mov_b32 s43, exec_lo
	v_cmpx_gt_u32_e32 8, v62
; %bb.285:                              ;   in Loop: Header=BB241_12 Depth=1
	v_ffbh_u32_e32 v59, v59
	v_min_u32_e32 v59, 32, v59
	v_subrev_nc_u32_e32 v61, 28, v59
	v_lshlrev_b64 v[62:63], v61, v[1:2]
	v_sub_nc_u32_e32 v61, 29, v59
	v_and_b32_e32 v59, 7, v62
; %bb.286:                              ;   in Loop: Header=BB241_12 Depth=1
	s_or_b32 exec_lo, exec_lo, s43
	v_lshlrev_b32_sdwa v1, v21, v1 dst_sel:DWORD dst_unused:UNUSED_PAD src0_sel:DWORD src1_sel:WORD_0
	v_lshl_add_u32 v61, v61, 10, 0x2000
	v_lshlrev_b32_e32 v59, 23, v59
	v_and_or_b32 v1, 0x8000, v1, v61
	v_lshl_or_b32 v59, v1, 16, v59
.LBB241_287:                            ;   in Loop: Header=BB241_12 Depth=1
	s_or_b32 exec_lo, exec_lo, s42
.LBB241_288:                            ;   in Loop: Header=BB241_12 Depth=1
	s_or_b32 exec_lo, exec_lo, s41
.LBB241_289:                            ;   in Loop: Header=BB241_12 Depth=1
	s_or_b32 exec_lo, exec_lo, s40
	global_load_ushort v62, v[7:8], off offset:1032
	v_mov_b32_e32 v61, 0
	s_waitcnt vmcnt(0)
	v_and_b32_e32 v1, 0xffff, v62
	v_cmp_ne_u16_sdwa s2, v62, v2 src0_sel:BYTE_0 src1_sel:DWORD
	v_mov_b32_e32 v62, 0
	s_and_saveexec_b32 s40, s2
	s_cbranch_execz .LBB241_297
; %bb.290:                              ;   in Loop: Header=BB241_12 Depth=1
	v_cmp_ne_u16_sdwa s2, v1, v18 src0_sel:BYTE_0 src1_sel:DWORD
	v_mov_b32_e32 v62, 0x8000
	s_and_saveexec_b32 s41, s2
	s_cbranch_execz .LBB241_296
; %bb.291:                              ;   in Loop: Header=BB241_12 Depth=1
	v_and_b32_e32 v64, 0x7f, v1
	v_mov_b32_e32 v62, 0x7c01
	s_mov_b32 s42, exec_lo
	v_cmpx_ne_u32_e32 0x7f, v64
	s_cbranch_execz .LBB241_295
; %bb.292:                              ;   in Loop: Header=BB241_12 Depth=1
	v_and_b32_e32 v62, 7, v1
	v_lshrrev_b32_e32 v63, 3, v64
	s_mov_b32 s43, exec_lo
	v_cmpx_gt_u32_e32 8, v64
; %bb.293:                              ;   in Loop: Header=BB241_12 Depth=1
	v_ffbh_u32_e32 v62, v62
	v_min_u32_e32 v64, 32, v62
	v_subrev_nc_u32_e32 v62, 28, v64
	v_lshlrev_b64 v[62:63], v62, v[1:2]
	v_sub_nc_u32_e32 v63, 29, v64
	v_and_b32_e32 v62, 7, v62
; %bb.294:                              ;   in Loop: Header=BB241_12 Depth=1
	s_or_b32 exec_lo, exec_lo, s43
	v_lshlrev_b32_e32 v64, 8, v1
	v_lshl_add_u32 v63, v63, 10, 0x2000
	v_lshlrev_b32_e32 v62, 7, v62
	v_and_b32_e32 v64, 0x8000, v64
	v_and_b32_e32 v63, 0xfc00, v63
	v_or3_b32 v62, v64, v63, v62
.LBB241_295:                            ;   in Loop: Header=BB241_12 Depth=1
	s_or_b32 exec_lo, exec_lo, s42
.LBB241_296:                            ;   in Loop: Header=BB241_12 Depth=1
	s_or_b32 exec_lo, exec_lo, s41
.LBB241_297:                            ;   in Loop: Header=BB241_12 Depth=1
	s_or_b32 exec_lo, exec_lo, s40
	v_lshrrev_b16 v1, 8, v1
	s_mov_b32 s40, exec_lo
	v_cmpx_ne_u16_e32 0, v1
	s_cbranch_execz .LBB241_305
; %bb.298:                              ;   in Loop: Header=BB241_12 Depth=1
	v_bfrev_b32_e32 v61, 1
	s_mov_b32 s41, exec_lo
	v_cmpx_ne_u16_e32 0x80, v1
	s_cbranch_execz .LBB241_304
; %bb.299:                              ;   in Loop: Header=BB241_12 Depth=1
	v_and_b32_sdwa v64, v1, v19 dst_sel:DWORD dst_unused:UNUSED_PAD src0_sel:WORD_0 src1_sel:DWORD
	v_mov_b32_e32 v61, 0x7c010000
	s_mov_b32 s42, exec_lo
	v_cmpx_ne_u32_e32 0x7f, v64
	s_cbranch_execz .LBB241_303
; %bb.300:                              ;   in Loop: Header=BB241_12 Depth=1
	v_and_b32_sdwa v61, v1, v20 dst_sel:DWORD dst_unused:UNUSED_PAD src0_sel:WORD_0 src1_sel:DWORD
	v_lshrrev_b32_e32 v63, 3, v64
	s_mov_b32 s43, exec_lo
	v_cmpx_gt_u32_e32 8, v64
; %bb.301:                              ;   in Loop: Header=BB241_12 Depth=1
	v_ffbh_u32_e32 v61, v61
	v_min_u32_e32 v61, 32, v61
	v_subrev_nc_u32_e32 v63, 28, v61
	v_lshlrev_b64 v[64:65], v63, v[1:2]
	v_sub_nc_u32_e32 v63, 29, v61
	v_and_b32_e32 v61, 7, v64
; %bb.302:                              ;   in Loop: Header=BB241_12 Depth=1
	s_or_b32 exec_lo, exec_lo, s43
	v_lshlrev_b32_sdwa v1, v21, v1 dst_sel:DWORD dst_unused:UNUSED_PAD src0_sel:DWORD src1_sel:WORD_0
	v_lshl_add_u32 v63, v63, 10, 0x2000
	v_lshlrev_b32_e32 v61, 23, v61
	v_and_or_b32 v1, 0x8000, v1, v63
	v_lshl_or_b32 v61, v1, 16, v61
.LBB241_303:                            ;   in Loop: Header=BB241_12 Depth=1
	s_or_b32 exec_lo, exec_lo, s42
.LBB241_304:                            ;   in Loop: Header=BB241_12 Depth=1
	s_or_b32 exec_lo, exec_lo, s41
.LBB241_305:                            ;   in Loop: Header=BB241_12 Depth=1
	s_or_b32 exec_lo, exec_lo, s40
	global_load_ushort v64, v[7:8], off offset:1152
	v_mov_b32_e32 v63, 0
	s_waitcnt vmcnt(0)
	v_and_b32_e32 v1, 0xffff, v64
	v_cmp_ne_u16_sdwa s2, v64, v2 src0_sel:BYTE_0 src1_sel:DWORD
	v_mov_b32_e32 v64, 0
	s_and_saveexec_b32 s40, s2
	s_cbranch_execz .LBB241_313
; %bb.306:                              ;   in Loop: Header=BB241_12 Depth=1
	v_cmp_ne_u16_sdwa s2, v1, v18 src0_sel:BYTE_0 src1_sel:DWORD
	v_mov_b32_e32 v64, 0x8000
	s_and_saveexec_b32 s41, s2
	s_cbranch_execz .LBB241_312
; %bb.307:                              ;   in Loop: Header=BB241_12 Depth=1
	v_and_b32_e32 v66, 0x7f, v1
	v_mov_b32_e32 v64, 0x7c01
	s_mov_b32 s42, exec_lo
	v_cmpx_ne_u32_e32 0x7f, v66
	s_cbranch_execz .LBB241_311
; %bb.308:                              ;   in Loop: Header=BB241_12 Depth=1
	v_and_b32_e32 v64, 7, v1
	v_lshrrev_b32_e32 v65, 3, v66
	s_mov_b32 s43, exec_lo
	v_cmpx_gt_u32_e32 8, v66
; %bb.309:                              ;   in Loop: Header=BB241_12 Depth=1
	v_ffbh_u32_e32 v64, v64
	v_min_u32_e32 v66, 32, v64
	v_subrev_nc_u32_e32 v64, 28, v66
	v_lshlrev_b64 v[64:65], v64, v[1:2]
	v_sub_nc_u32_e32 v65, 29, v66
	v_and_b32_e32 v64, 7, v64
; %bb.310:                              ;   in Loop: Header=BB241_12 Depth=1
	s_or_b32 exec_lo, exec_lo, s43
	v_lshlrev_b32_e32 v66, 8, v1
	v_lshl_add_u32 v65, v65, 10, 0x2000
	v_lshlrev_b32_e32 v64, 7, v64
	v_and_b32_e32 v66, 0x8000, v66
	v_and_b32_e32 v65, 0xfc00, v65
	v_or3_b32 v64, v66, v65, v64
.LBB241_311:                            ;   in Loop: Header=BB241_12 Depth=1
	s_or_b32 exec_lo, exec_lo, s42
.LBB241_312:                            ;   in Loop: Header=BB241_12 Depth=1
	s_or_b32 exec_lo, exec_lo, s41
.LBB241_313:                            ;   in Loop: Header=BB241_12 Depth=1
	s_or_b32 exec_lo, exec_lo, s40
	v_lshrrev_b16 v1, 8, v1
	s_mov_b32 s40, exec_lo
	v_cmpx_ne_u16_e32 0, v1
	s_cbranch_execz .LBB241_321
; %bb.314:                              ;   in Loop: Header=BB241_12 Depth=1
	v_bfrev_b32_e32 v63, 1
	s_mov_b32 s41, exec_lo
	v_cmpx_ne_u16_e32 0x80, v1
	s_cbranch_execz .LBB241_320
; %bb.315:                              ;   in Loop: Header=BB241_12 Depth=1
	v_and_b32_sdwa v66, v1, v19 dst_sel:DWORD dst_unused:UNUSED_PAD src0_sel:WORD_0 src1_sel:DWORD
	v_mov_b32_e32 v63, 0x7c010000
	s_mov_b32 s42, exec_lo
	v_cmpx_ne_u32_e32 0x7f, v66
	s_cbranch_execz .LBB241_319
; %bb.316:                              ;   in Loop: Header=BB241_12 Depth=1
	v_and_b32_sdwa v63, v1, v20 dst_sel:DWORD dst_unused:UNUSED_PAD src0_sel:WORD_0 src1_sel:DWORD
	v_lshrrev_b32_e32 v65, 3, v66
	s_mov_b32 s43, exec_lo
	v_cmpx_gt_u32_e32 8, v66
; %bb.317:                              ;   in Loop: Header=BB241_12 Depth=1
	v_ffbh_u32_e32 v63, v63
	v_min_u32_e32 v63, 32, v63
	v_subrev_nc_u32_e32 v65, 28, v63
	v_lshlrev_b64 v[66:67], v65, v[1:2]
	v_sub_nc_u32_e32 v65, 29, v63
	v_and_b32_e32 v63, 7, v66
; %bb.318:                              ;   in Loop: Header=BB241_12 Depth=1
	s_or_b32 exec_lo, exec_lo, s43
	v_lshlrev_b32_sdwa v1, v21, v1 dst_sel:DWORD dst_unused:UNUSED_PAD src0_sel:DWORD src1_sel:WORD_0
	v_lshl_add_u32 v65, v65, 10, 0x2000
	v_lshlrev_b32_e32 v63, 23, v63
	v_and_or_b32 v1, 0x8000, v1, v65
	v_lshl_or_b32 v63, v1, 16, v63
.LBB241_319:                            ;   in Loop: Header=BB241_12 Depth=1
	s_or_b32 exec_lo, exec_lo, s42
.LBB241_320:                            ;   in Loop: Header=BB241_12 Depth=1
	s_or_b32 exec_lo, exec_lo, s41
.LBB241_321:                            ;   in Loop: Header=BB241_12 Depth=1
	s_or_b32 exec_lo, exec_lo, s40
	global_load_ushort v66, v[7:8], off offset:1160
	v_mov_b32_e32 v65, 0
	s_waitcnt vmcnt(0)
	v_and_b32_e32 v1, 0xffff, v66
	v_cmp_ne_u16_sdwa s2, v66, v2 src0_sel:BYTE_0 src1_sel:DWORD
	v_mov_b32_e32 v66, 0
	s_and_saveexec_b32 s40, s2
	s_cbranch_execz .LBB241_329
; %bb.322:                              ;   in Loop: Header=BB241_12 Depth=1
	v_cmp_ne_u16_sdwa s2, v1, v18 src0_sel:BYTE_0 src1_sel:DWORD
	v_mov_b32_e32 v66, 0x8000
	s_and_saveexec_b32 s41, s2
	s_cbranch_execz .LBB241_328
; %bb.323:                              ;   in Loop: Header=BB241_12 Depth=1
	v_and_b32_e32 v68, 0x7f, v1
	v_mov_b32_e32 v66, 0x7c01
	s_mov_b32 s42, exec_lo
	v_cmpx_ne_u32_e32 0x7f, v68
	s_cbranch_execz .LBB241_327
; %bb.324:                              ;   in Loop: Header=BB241_12 Depth=1
	v_and_b32_e32 v66, 7, v1
	v_lshrrev_b32_e32 v67, 3, v68
	s_mov_b32 s43, exec_lo
	v_cmpx_gt_u32_e32 8, v68
; %bb.325:                              ;   in Loop: Header=BB241_12 Depth=1
	v_ffbh_u32_e32 v66, v66
	v_min_u32_e32 v68, 32, v66
	v_subrev_nc_u32_e32 v66, 28, v68
	v_lshlrev_b64 v[66:67], v66, v[1:2]
	v_sub_nc_u32_e32 v67, 29, v68
	v_and_b32_e32 v66, 7, v66
; %bb.326:                              ;   in Loop: Header=BB241_12 Depth=1
	s_or_b32 exec_lo, exec_lo, s43
	v_lshlrev_b32_e32 v68, 8, v1
	v_lshl_add_u32 v67, v67, 10, 0x2000
	v_lshlrev_b32_e32 v66, 7, v66
	v_and_b32_e32 v68, 0x8000, v68
	v_and_b32_e32 v67, 0xfc00, v67
	v_or3_b32 v66, v68, v67, v66
.LBB241_327:                            ;   in Loop: Header=BB241_12 Depth=1
	s_or_b32 exec_lo, exec_lo, s42
.LBB241_328:                            ;   in Loop: Header=BB241_12 Depth=1
	s_or_b32 exec_lo, exec_lo, s41
.LBB241_329:                            ;   in Loop: Header=BB241_12 Depth=1
	s_or_b32 exec_lo, exec_lo, s40
	v_lshrrev_b16 v1, 8, v1
	s_mov_b32 s40, exec_lo
	v_cmpx_ne_u16_e32 0, v1
	s_cbranch_execz .LBB241_337
; %bb.330:                              ;   in Loop: Header=BB241_12 Depth=1
	v_bfrev_b32_e32 v65, 1
	s_mov_b32 s41, exec_lo
	v_cmpx_ne_u16_e32 0x80, v1
	s_cbranch_execz .LBB241_336
; %bb.331:                              ;   in Loop: Header=BB241_12 Depth=1
	v_and_b32_sdwa v68, v1, v19 dst_sel:DWORD dst_unused:UNUSED_PAD src0_sel:WORD_0 src1_sel:DWORD
	v_mov_b32_e32 v65, 0x7c010000
	s_mov_b32 s42, exec_lo
	v_cmpx_ne_u32_e32 0x7f, v68
	s_cbranch_execz .LBB241_335
; %bb.332:                              ;   in Loop: Header=BB241_12 Depth=1
	v_and_b32_sdwa v65, v1, v20 dst_sel:DWORD dst_unused:UNUSED_PAD src0_sel:WORD_0 src1_sel:DWORD
	v_lshrrev_b32_e32 v67, 3, v68
	s_mov_b32 s43, exec_lo
	v_cmpx_gt_u32_e32 8, v68
; %bb.333:                              ;   in Loop: Header=BB241_12 Depth=1
	v_ffbh_u32_e32 v65, v65
	v_min_u32_e32 v65, 32, v65
	v_subrev_nc_u32_e32 v67, 28, v65
	v_lshlrev_b64 v[68:69], v67, v[1:2]
	v_sub_nc_u32_e32 v67, 29, v65
	v_and_b32_e32 v65, 7, v68
; %bb.334:                              ;   in Loop: Header=BB241_12 Depth=1
	s_or_b32 exec_lo, exec_lo, s43
	v_lshlrev_b32_sdwa v1, v21, v1 dst_sel:DWORD dst_unused:UNUSED_PAD src0_sel:DWORD src1_sel:WORD_0
	v_lshl_add_u32 v67, v67, 10, 0x2000
	v_lshlrev_b32_e32 v65, 23, v65
	v_and_or_b32 v1, 0x8000, v1, v67
	v_lshl_or_b32 v65, v1, 16, v65
.LBB241_335:                            ;   in Loop: Header=BB241_12 Depth=1
	s_or_b32 exec_lo, exec_lo, s42
.LBB241_336:                            ;   in Loop: Header=BB241_12 Depth=1
	s_or_b32 exec_lo, exec_lo, s41
.LBB241_337:                            ;   in Loop: Header=BB241_12 Depth=1
	s_or_b32 exec_lo, exec_lo, s40
	global_load_ushort v68, v[7:8], off offset:1280
	v_mov_b32_e32 v67, 0
	s_waitcnt vmcnt(0)
	v_and_b32_e32 v1, 0xffff, v68
	v_cmp_ne_u16_sdwa s2, v68, v2 src0_sel:BYTE_0 src1_sel:DWORD
	v_mov_b32_e32 v68, 0
	s_and_saveexec_b32 s40, s2
	s_cbranch_execz .LBB241_345
; %bb.338:                              ;   in Loop: Header=BB241_12 Depth=1
	v_cmp_ne_u16_sdwa s2, v1, v18 src0_sel:BYTE_0 src1_sel:DWORD
	v_mov_b32_e32 v68, 0x8000
	s_and_saveexec_b32 s41, s2
	s_cbranch_execz .LBB241_344
; %bb.339:                              ;   in Loop: Header=BB241_12 Depth=1
	v_and_b32_e32 v70, 0x7f, v1
	v_mov_b32_e32 v68, 0x7c01
	s_mov_b32 s42, exec_lo
	v_cmpx_ne_u32_e32 0x7f, v70
	s_cbranch_execz .LBB241_343
; %bb.340:                              ;   in Loop: Header=BB241_12 Depth=1
	v_and_b32_e32 v68, 7, v1
	v_lshrrev_b32_e32 v69, 3, v70
	s_mov_b32 s43, exec_lo
	v_cmpx_gt_u32_e32 8, v70
; %bb.341:                              ;   in Loop: Header=BB241_12 Depth=1
	v_ffbh_u32_e32 v68, v68
	v_min_u32_e32 v70, 32, v68
	v_subrev_nc_u32_e32 v68, 28, v70
	v_lshlrev_b64 v[68:69], v68, v[1:2]
	v_sub_nc_u32_e32 v69, 29, v70
	v_and_b32_e32 v68, 7, v68
; %bb.342:                              ;   in Loop: Header=BB241_12 Depth=1
	s_or_b32 exec_lo, exec_lo, s43
	v_lshlrev_b32_e32 v70, 8, v1
	v_lshl_add_u32 v69, v69, 10, 0x2000
	v_lshlrev_b32_e32 v68, 7, v68
	v_and_b32_e32 v70, 0x8000, v70
	v_and_b32_e32 v69, 0xfc00, v69
	v_or3_b32 v68, v70, v69, v68
.LBB241_343:                            ;   in Loop: Header=BB241_12 Depth=1
	s_or_b32 exec_lo, exec_lo, s42
.LBB241_344:                            ;   in Loop: Header=BB241_12 Depth=1
	s_or_b32 exec_lo, exec_lo, s41
.LBB241_345:                            ;   in Loop: Header=BB241_12 Depth=1
	s_or_b32 exec_lo, exec_lo, s40
	v_lshrrev_b16 v1, 8, v1
	s_mov_b32 s40, exec_lo
	v_cmpx_ne_u16_e32 0, v1
	s_cbranch_execz .LBB241_353
; %bb.346:                              ;   in Loop: Header=BB241_12 Depth=1
	v_bfrev_b32_e32 v67, 1
	s_mov_b32 s41, exec_lo
	v_cmpx_ne_u16_e32 0x80, v1
	s_cbranch_execz .LBB241_352
; %bb.347:                              ;   in Loop: Header=BB241_12 Depth=1
	v_and_b32_sdwa v70, v1, v19 dst_sel:DWORD dst_unused:UNUSED_PAD src0_sel:WORD_0 src1_sel:DWORD
	v_mov_b32_e32 v67, 0x7c010000
	s_mov_b32 s42, exec_lo
	v_cmpx_ne_u32_e32 0x7f, v70
	s_cbranch_execz .LBB241_351
; %bb.348:                              ;   in Loop: Header=BB241_12 Depth=1
	v_and_b32_sdwa v67, v1, v20 dst_sel:DWORD dst_unused:UNUSED_PAD src0_sel:WORD_0 src1_sel:DWORD
	v_lshrrev_b32_e32 v69, 3, v70
	s_mov_b32 s43, exec_lo
	v_cmpx_gt_u32_e32 8, v70
; %bb.349:                              ;   in Loop: Header=BB241_12 Depth=1
	v_ffbh_u32_e32 v67, v67
	v_min_u32_e32 v67, 32, v67
	v_subrev_nc_u32_e32 v69, 28, v67
	v_lshlrev_b64 v[70:71], v69, v[1:2]
	v_sub_nc_u32_e32 v69, 29, v67
	v_and_b32_e32 v67, 7, v70
; %bb.350:                              ;   in Loop: Header=BB241_12 Depth=1
	s_or_b32 exec_lo, exec_lo, s43
	v_lshlrev_b32_sdwa v1, v21, v1 dst_sel:DWORD dst_unused:UNUSED_PAD src0_sel:DWORD src1_sel:WORD_0
	v_lshl_add_u32 v69, v69, 10, 0x2000
	v_lshlrev_b32_e32 v67, 23, v67
	v_and_or_b32 v1, 0x8000, v1, v69
	v_lshl_or_b32 v67, v1, 16, v67
.LBB241_351:                            ;   in Loop: Header=BB241_12 Depth=1
	s_or_b32 exec_lo, exec_lo, s42
.LBB241_352:                            ;   in Loop: Header=BB241_12 Depth=1
	s_or_b32 exec_lo, exec_lo, s41
.LBB241_353:                            ;   in Loop: Header=BB241_12 Depth=1
	s_or_b32 exec_lo, exec_lo, s40
	global_load_ushort v70, v[7:8], off offset:1288
	v_mov_b32_e32 v69, 0
	s_waitcnt vmcnt(0)
	v_and_b32_e32 v1, 0xffff, v70
	v_cmp_ne_u16_sdwa s2, v70, v2 src0_sel:BYTE_0 src1_sel:DWORD
	v_mov_b32_e32 v70, 0
	s_and_saveexec_b32 s40, s2
	s_cbranch_execz .LBB241_361
; %bb.354:                              ;   in Loop: Header=BB241_12 Depth=1
	v_cmp_ne_u16_sdwa s2, v1, v18 src0_sel:BYTE_0 src1_sel:DWORD
	v_mov_b32_e32 v70, 0x8000
	s_and_saveexec_b32 s41, s2
	s_cbranch_execz .LBB241_360
; %bb.355:                              ;   in Loop: Header=BB241_12 Depth=1
	v_and_b32_e32 v72, 0x7f, v1
	v_mov_b32_e32 v70, 0x7c01
	s_mov_b32 s42, exec_lo
	v_cmpx_ne_u32_e32 0x7f, v72
	s_cbranch_execz .LBB241_359
; %bb.356:                              ;   in Loop: Header=BB241_12 Depth=1
	v_and_b32_e32 v70, 7, v1
	v_lshrrev_b32_e32 v71, 3, v72
	s_mov_b32 s43, exec_lo
	v_cmpx_gt_u32_e32 8, v72
; %bb.357:                              ;   in Loop: Header=BB241_12 Depth=1
	v_ffbh_u32_e32 v70, v70
	v_min_u32_e32 v72, 32, v70
	v_subrev_nc_u32_e32 v70, 28, v72
	v_lshlrev_b64 v[70:71], v70, v[1:2]
	v_sub_nc_u32_e32 v71, 29, v72
	v_and_b32_e32 v70, 7, v70
; %bb.358:                              ;   in Loop: Header=BB241_12 Depth=1
	s_or_b32 exec_lo, exec_lo, s43
	v_lshlrev_b32_e32 v72, 8, v1
	v_lshl_add_u32 v71, v71, 10, 0x2000
	v_lshlrev_b32_e32 v70, 7, v70
	v_and_b32_e32 v72, 0x8000, v72
	v_and_b32_e32 v71, 0xfc00, v71
	v_or3_b32 v70, v72, v71, v70
.LBB241_359:                            ;   in Loop: Header=BB241_12 Depth=1
	s_or_b32 exec_lo, exec_lo, s42
.LBB241_360:                            ;   in Loop: Header=BB241_12 Depth=1
	s_or_b32 exec_lo, exec_lo, s41
.LBB241_361:                            ;   in Loop: Header=BB241_12 Depth=1
	s_or_b32 exec_lo, exec_lo, s40
	v_lshrrev_b16 v1, 8, v1
	s_mov_b32 s40, exec_lo
	v_cmpx_ne_u16_e32 0, v1
	s_cbranch_execz .LBB241_369
; %bb.362:                              ;   in Loop: Header=BB241_12 Depth=1
	v_bfrev_b32_e32 v69, 1
	s_mov_b32 s41, exec_lo
	v_cmpx_ne_u16_e32 0x80, v1
	s_cbranch_execz .LBB241_368
; %bb.363:                              ;   in Loop: Header=BB241_12 Depth=1
	v_and_b32_sdwa v72, v1, v19 dst_sel:DWORD dst_unused:UNUSED_PAD src0_sel:WORD_0 src1_sel:DWORD
	v_mov_b32_e32 v69, 0x7c010000
	s_mov_b32 s42, exec_lo
	v_cmpx_ne_u32_e32 0x7f, v72
	s_cbranch_execz .LBB241_367
; %bb.364:                              ;   in Loop: Header=BB241_12 Depth=1
	v_and_b32_sdwa v69, v1, v20 dst_sel:DWORD dst_unused:UNUSED_PAD src0_sel:WORD_0 src1_sel:DWORD
	v_lshrrev_b32_e32 v71, 3, v72
	s_mov_b32 s43, exec_lo
	v_cmpx_gt_u32_e32 8, v72
; %bb.365:                              ;   in Loop: Header=BB241_12 Depth=1
	v_ffbh_u32_e32 v69, v69
	v_min_u32_e32 v69, 32, v69
	v_subrev_nc_u32_e32 v71, 28, v69
	v_lshlrev_b64 v[72:73], v71, v[1:2]
	v_sub_nc_u32_e32 v71, 29, v69
	v_and_b32_e32 v69, 7, v72
; %bb.366:                              ;   in Loop: Header=BB241_12 Depth=1
	s_or_b32 exec_lo, exec_lo, s43
	v_lshlrev_b32_sdwa v1, v21, v1 dst_sel:DWORD dst_unused:UNUSED_PAD src0_sel:DWORD src1_sel:WORD_0
	v_lshl_add_u32 v71, v71, 10, 0x2000
	v_lshlrev_b32_e32 v69, 23, v69
	v_and_or_b32 v1, 0x8000, v1, v71
	v_lshl_or_b32 v69, v1, 16, v69
.LBB241_367:                            ;   in Loop: Header=BB241_12 Depth=1
	s_or_b32 exec_lo, exec_lo, s42
.LBB241_368:                            ;   in Loop: Header=BB241_12 Depth=1
	s_or_b32 exec_lo, exec_lo, s41
.LBB241_369:                            ;   in Loop: Header=BB241_12 Depth=1
	s_or_b32 exec_lo, exec_lo, s40
	global_load_ushort v72, v[7:8], off offset:1408
	v_mov_b32_e32 v71, 0
	s_waitcnt vmcnt(0)
	v_and_b32_e32 v1, 0xffff, v72
	v_cmp_ne_u16_sdwa s2, v72, v2 src0_sel:BYTE_0 src1_sel:DWORD
	v_mov_b32_e32 v72, 0
	s_and_saveexec_b32 s40, s2
	s_cbranch_execz .LBB241_377
; %bb.370:                              ;   in Loop: Header=BB241_12 Depth=1
	v_cmp_ne_u16_sdwa s2, v1, v18 src0_sel:BYTE_0 src1_sel:DWORD
	v_mov_b32_e32 v72, 0x8000
	s_and_saveexec_b32 s41, s2
	s_cbranch_execz .LBB241_376
; %bb.371:                              ;   in Loop: Header=BB241_12 Depth=1
	v_and_b32_e32 v74, 0x7f, v1
	v_mov_b32_e32 v72, 0x7c01
	s_mov_b32 s42, exec_lo
	v_cmpx_ne_u32_e32 0x7f, v74
	s_cbranch_execz .LBB241_375
; %bb.372:                              ;   in Loop: Header=BB241_12 Depth=1
	v_and_b32_e32 v72, 7, v1
	v_lshrrev_b32_e32 v73, 3, v74
	s_mov_b32 s43, exec_lo
	v_cmpx_gt_u32_e32 8, v74
; %bb.373:                              ;   in Loop: Header=BB241_12 Depth=1
	v_ffbh_u32_e32 v72, v72
	v_min_u32_e32 v74, 32, v72
	v_subrev_nc_u32_e32 v72, 28, v74
	v_lshlrev_b64 v[72:73], v72, v[1:2]
	v_sub_nc_u32_e32 v73, 29, v74
	v_and_b32_e32 v72, 7, v72
; %bb.374:                              ;   in Loop: Header=BB241_12 Depth=1
	s_or_b32 exec_lo, exec_lo, s43
	v_lshlrev_b32_e32 v74, 8, v1
	v_lshl_add_u32 v73, v73, 10, 0x2000
	v_lshlrev_b32_e32 v72, 7, v72
	v_and_b32_e32 v74, 0x8000, v74
	v_and_b32_e32 v73, 0xfc00, v73
	v_or3_b32 v72, v74, v73, v72
.LBB241_375:                            ;   in Loop: Header=BB241_12 Depth=1
	s_or_b32 exec_lo, exec_lo, s42
.LBB241_376:                            ;   in Loop: Header=BB241_12 Depth=1
	s_or_b32 exec_lo, exec_lo, s41
.LBB241_377:                            ;   in Loop: Header=BB241_12 Depth=1
	s_or_b32 exec_lo, exec_lo, s40
	v_lshrrev_b16 v1, 8, v1
	s_mov_b32 s40, exec_lo
	v_cmpx_ne_u16_e32 0, v1
	s_cbranch_execz .LBB241_385
; %bb.378:                              ;   in Loop: Header=BB241_12 Depth=1
	v_bfrev_b32_e32 v71, 1
	s_mov_b32 s41, exec_lo
	v_cmpx_ne_u16_e32 0x80, v1
	s_cbranch_execz .LBB241_384
; %bb.379:                              ;   in Loop: Header=BB241_12 Depth=1
	v_and_b32_sdwa v74, v1, v19 dst_sel:DWORD dst_unused:UNUSED_PAD src0_sel:WORD_0 src1_sel:DWORD
	v_mov_b32_e32 v71, 0x7c010000
	s_mov_b32 s42, exec_lo
	v_cmpx_ne_u32_e32 0x7f, v74
	s_cbranch_execz .LBB241_383
; %bb.380:                              ;   in Loop: Header=BB241_12 Depth=1
	v_and_b32_sdwa v71, v1, v20 dst_sel:DWORD dst_unused:UNUSED_PAD src0_sel:WORD_0 src1_sel:DWORD
	v_lshrrev_b32_e32 v73, 3, v74
	s_mov_b32 s43, exec_lo
	v_cmpx_gt_u32_e32 8, v74
; %bb.381:                              ;   in Loop: Header=BB241_12 Depth=1
	v_ffbh_u32_e32 v71, v71
	v_min_u32_e32 v71, 32, v71
	v_subrev_nc_u32_e32 v73, 28, v71
	v_lshlrev_b64 v[74:75], v73, v[1:2]
	v_sub_nc_u32_e32 v73, 29, v71
	v_and_b32_e32 v71, 7, v74
; %bb.382:                              ;   in Loop: Header=BB241_12 Depth=1
	s_or_b32 exec_lo, exec_lo, s43
	v_lshlrev_b32_sdwa v1, v21, v1 dst_sel:DWORD dst_unused:UNUSED_PAD src0_sel:DWORD src1_sel:WORD_0
	v_lshl_add_u32 v73, v73, 10, 0x2000
	v_lshlrev_b32_e32 v71, 23, v71
	v_and_or_b32 v1, 0x8000, v1, v73
	v_lshl_or_b32 v71, v1, 16, v71
.LBB241_383:                            ;   in Loop: Header=BB241_12 Depth=1
	s_or_b32 exec_lo, exec_lo, s42
.LBB241_384:                            ;   in Loop: Header=BB241_12 Depth=1
	s_or_b32 exec_lo, exec_lo, s41
.LBB241_385:                            ;   in Loop: Header=BB241_12 Depth=1
	s_or_b32 exec_lo, exec_lo, s40
	global_load_ushort v8, v[7:8], off offset:1416
	v_mov_b32_e32 v7, 0
	s_waitcnt vmcnt(0)
	v_and_b32_e32 v1, 0xffff, v8
	v_cmp_ne_u16_sdwa s2, v8, v2 src0_sel:BYTE_0 src1_sel:DWORD
	v_mov_b32_e32 v8, 0
	s_and_saveexec_b32 s40, s2
	s_cbranch_execz .LBB241_393
; %bb.386:                              ;   in Loop: Header=BB241_12 Depth=1
	v_cmp_ne_u16_sdwa s2, v1, v18 src0_sel:BYTE_0 src1_sel:DWORD
	v_mov_b32_e32 v8, 0x8000
	s_and_saveexec_b32 s41, s2
	s_cbranch_execz .LBB241_392
; %bb.387:                              ;   in Loop: Header=BB241_12 Depth=1
	v_and_b32_e32 v74, 0x7f, v1
	v_mov_b32_e32 v8, 0x7c01
	s_mov_b32 s42, exec_lo
	v_cmpx_ne_u32_e32 0x7f, v74
	s_cbranch_execz .LBB241_391
; %bb.388:                              ;   in Loop: Header=BB241_12 Depth=1
	v_and_b32_e32 v8, 7, v1
	v_lshrrev_b32_e32 v73, 3, v74
	s_mov_b32 s43, exec_lo
	v_cmpx_gt_u32_e32 8, v74
; %bb.389:                              ;   in Loop: Header=BB241_12 Depth=1
	v_ffbh_u32_e32 v8, v8
	v_min_u32_e32 v8, 32, v8
	v_subrev_nc_u32_e32 v73, 28, v8
	v_lshlrev_b64 v[74:75], v73, v[1:2]
	v_sub_nc_u32_e32 v73, 29, v8
	v_and_b32_e32 v8, 7, v74
; %bb.390:                              ;   in Loop: Header=BB241_12 Depth=1
	s_or_b32 exec_lo, exec_lo, s43
	v_lshlrev_b32_e32 v74, 8, v1
	v_lshl_add_u32 v73, v73, 10, 0x2000
	v_lshlrev_b32_e32 v8, 7, v8
	v_and_b32_e32 v74, 0x8000, v74
	v_and_b32_e32 v73, 0xfc00, v73
	v_or3_b32 v8, v74, v73, v8
.LBB241_391:                            ;   in Loop: Header=BB241_12 Depth=1
	s_or_b32 exec_lo, exec_lo, s42
.LBB241_392:                            ;   in Loop: Header=BB241_12 Depth=1
	s_or_b32 exec_lo, exec_lo, s41
.LBB241_393:                            ;   in Loop: Header=BB241_12 Depth=1
	s_or_b32 exec_lo, exec_lo, s40
	v_lshrrev_b16 v1, 8, v1
	s_mov_b32 s40, exec_lo
	v_cmpx_ne_u16_e32 0, v1
	s_cbranch_execz .LBB241_401
; %bb.394:                              ;   in Loop: Header=BB241_12 Depth=1
	v_bfrev_b32_e32 v7, 1
	s_mov_b32 s41, exec_lo
	v_cmpx_ne_u16_e32 0x80, v1
	s_cbranch_execz .LBB241_400
; %bb.395:                              ;   in Loop: Header=BB241_12 Depth=1
	v_and_b32_sdwa v74, v1, v19 dst_sel:DWORD dst_unused:UNUSED_PAD src0_sel:WORD_0 src1_sel:DWORD
	v_mov_b32_e32 v7, 0x7c010000
	s_mov_b32 s42, exec_lo
	v_cmpx_ne_u32_e32 0x7f, v74
	s_cbranch_execz .LBB241_399
; %bb.396:                              ;   in Loop: Header=BB241_12 Depth=1
	v_and_b32_sdwa v7, v1, v20 dst_sel:DWORD dst_unused:UNUSED_PAD src0_sel:WORD_0 src1_sel:DWORD
	v_lshrrev_b32_e32 v73, 3, v74
	s_mov_b32 s43, exec_lo
	v_cmpx_gt_u32_e32 8, v74
; %bb.397:                              ;   in Loop: Header=BB241_12 Depth=1
	v_ffbh_u32_e32 v7, v7
	v_min_u32_e32 v7, 32, v7
	v_subrev_nc_u32_e32 v73, 28, v7
	v_lshlrev_b64 v[74:75], v73, v[1:2]
	v_sub_nc_u32_e32 v73, 29, v7
	v_and_b32_e32 v7, 7, v74
; %bb.398:                              ;   in Loop: Header=BB241_12 Depth=1
	s_or_b32 exec_lo, exec_lo, s43
	v_lshlrev_b32_sdwa v1, v21, v1 dst_sel:DWORD dst_unused:UNUSED_PAD src0_sel:DWORD src1_sel:WORD_0
	v_lshl_add_u32 v73, v73, 10, 0x2000
	v_lshlrev_b32_e32 v7, 23, v7
	v_and_or_b32 v1, 0x8000, v1, v73
	v_lshl_or_b32 v7, v1, 16, v7
.LBB241_399:                            ;   in Loop: Header=BB241_12 Depth=1
	s_or_b32 exec_lo, exec_lo, s42
.LBB241_400:                            ;   in Loop: Header=BB241_12 Depth=1
	s_or_b32 exec_lo, exec_lo, s41
.LBB241_401:                            ;   in Loop: Header=BB241_12 Depth=1
	s_or_b32 exec_lo, exec_lo, s40
	ds_read_b32 v1, v14
	v_or_b32_e32 v28, v27, v28
	v_fma_mixlo_f16 v27, v26, v27, 0 op_sel:[0,1,0] op_sel_hi:[0,1,0]
	v_or_b32_e32 v30, v29, v30
	v_fma_mixlo_f16 v29, v26, v29, 0 op_sel:[0,1,0] op_sel_hi:[0,1,0]
	v_or_b32_e32 v32, v31, v32
	v_fma_mixlo_f16 v28, v26, v28, 0 op_sel_hi:[0,1,0]
	v_and_b32_e32 v75, 0xffff, v27
	v_fma_mixlo_f16 v30, v26, v30, 0 op_sel_hi:[0,1,0]
	v_and_b32_e32 v77, 0xffff, v29
	;; [unrolled: 2-line block ×3, first 2 shown]
	v_fma_mixlo_f16 v31, v26, v31, 0 op_sel:[0,1,0] op_sel_hi:[0,1,0]
	v_and_b32_e32 v76, 0xffff, v30
	v_or_b32_e32 v34, v33, v34
	v_and_b32_e32 v78, 0xffff, v32
	v_fma_mixlo_f16 v33, v26, v33, 0 op_sel:[0,1,0] op_sel_hi:[0,1,0]
	v_and_b32_e32 v79, 0xffff, v31
	v_or_b32_e32 v36, v35, v36
	v_fma_mixlo_f16 v34, v26, v34, 0 op_sel_hi:[0,1,0]
	s_waitcnt lgkmcnt(0)
	v_and_b32_e32 v73, 0xffff, v1
	v_lshrrev_b32_e32 v74, 16, v1
	;;#ASMSTART
	v_cvt_f32_f16 v1, v73;
	;;#ASMEND
	;;#ASMSTART
	v_cvt_f32_f16 v27, v74;
	;;#ASMEND
	;; [unrolled: 3-line block ×4, first 2 shown]
	ds_read_b32 v74, v14 offset:4
	v_and_b32_e32 v80, 0xffff, v34
	v_and_b32_e32 v81, 0xffff, v33
	v_fma_mixlo_f16 v36, v26, v36, 0 op_sel_hi:[0,1,0]
	v_fma_mixlo_f16 v35, v26, v35, 0 op_sel:[0,1,0] op_sel_hi:[0,1,0]
	v_or_b32_e32 v38, v37, v38
	v_fma_mixlo_f16 v37, v26, v37, 0 op_sel:[0,1,0] op_sel_hi:[0,1,0]
	v_or_b32_e32 v40, v39, v40
	v_and_b32_e32 v82, 0xffff, v36
	v_and_b32_e32 v83, 0xffff, v35
	v_fma_mixlo_f16 v38, v26, v38, 0 op_sel_hi:[0,1,0]
	v_and_b32_e32 v85, 0xffff, v37
	v_fma_mixlo_f16 v40, v26, v40, 0 op_sel_hi:[0,1,0]
	v_fma_mixlo_f16 v39, v26, v39, 0 op_sel:[0,1,0] op_sel_hi:[0,1,0]
	v_or_b32_e32 v42, v41, v42
	v_and_b32_e32 v84, 0xffff, v38
	v_fma_mixlo_f16 v41, v26, v41, 0 op_sel:[0,1,0] op_sel_hi:[0,1,0]
	v_and_b32_e32 v86, 0xffff, v40
	v_and_b32_e32 v87, 0xffff, v39
	v_fma_mixlo_f16 v42, v26, v42, 0 op_sel_hi:[0,1,0]
	s_waitcnt lgkmcnt(0)
	v_and_b32_e32 v75, 0xffff, v74
	v_lshrrev_b32_e32 v74, 16, v74
	;;#ASMSTART
	v_cvt_f32_f16 v29, v75;
	;;#ASMEND
	;;#ASMSTART
	v_cvt_f32_f16 v30, v74;
	;;#ASMEND
	;; [unrolled: 3-line block ×4, first 2 shown]
	ds_read_b32 v76, v14 offset:8
	v_and_b32_e32 v88, 0xffff, v42
	v_and_b32_e32 v89, 0xffff, v41
	v_or_b32_e32 v44, v43, v44
	v_fma_mixlo_f16 v43, v26, v43, 0 op_sel:[0,1,0] op_sel_hi:[0,1,0]
	v_or_b32_e32 v46, v45, v46
	v_fma_mixlo_f16 v45, v26, v45, 0 op_sel:[0,1,0] op_sel_hi:[0,1,0]
	v_or_b32_e32 v48, v47, v48
	v_fma_mixlo_f16 v44, v26, v44, 0 op_sel_hi:[0,1,0]
	v_and_b32_e32 v91, 0xffff, v43
	v_fma_mixlo_f16 v46, v26, v46, 0 op_sel_hi:[0,1,0]
	v_and_b32_e32 v93, 0xffff, v45
	;; [unrolled: 2-line block ×3, first 2 shown]
	v_fma_mixlo_f16 v47, v26, v47, 0 op_sel:[0,1,0] op_sel_hi:[0,1,0]
	v_and_b32_e32 v92, 0xffff, v46
	v_or_b32_e32 v50, v49, v50
	v_and_b32_e32 v94, 0xffff, v48
	v_fma_mixlo_f16 v49, v26, v49, 0 op_sel:[0,1,0] op_sel_hi:[0,1,0]
	v_and_b32_e32 v95, 0xffff, v47
	s_waitcnt lgkmcnt(0)
	v_and_b32_e32 v77, 0xffff, v76
	v_lshrrev_b32_e32 v76, 16, v76
	;;#ASMSTART
	v_cvt_f32_f16 v31, v77;
	;;#ASMEND
	;;#ASMSTART
	v_cvt_f32_f16 v32, v76;
	;;#ASMEND
	;; [unrolled: 3-line block ×4, first 2 shown]
	ds_read_b32 v78, v14 offset:12
	v_fma_mixlo_f16 v50, v26, v50, 0 op_sel_hi:[0,1,0]
	v_and_b32_e32 v97, 0xffff, v49
	v_or_b32_e32 v52, v51, v52
	v_fma_mixlo_f16 v51, v26, v51, 0 op_sel:[0,1,0] op_sel_hi:[0,1,0]
	v_or_b32_e32 v54, v53, v54
	v_and_b32_e32 v96, 0xffff, v50
	v_fma_mixlo_f16 v53, v26, v53, 0 op_sel:[0,1,0] op_sel_hi:[0,1,0]
	v_fma_mixlo_f16 v52, v26, v52, 0 op_sel_hi:[0,1,0]
	v_and_b32_e32 v99, 0xffff, v51
	v_fma_mixlo_f16 v54, v26, v54, 0 op_sel_hi:[0,1,0]
	v_or_b32_e32 v56, v55, v56
	v_and_b32_e32 v101, 0xffff, v53
	v_and_b32_e32 v98, 0xffff, v52
	v_fma_mixlo_f16 v55, v26, v55, 0 op_sel:[0,1,0] op_sel_hi:[0,1,0]
	v_and_b32_e32 v100, 0xffff, v54
	v_fma_mixlo_f16 v56, v26, v56, 0 op_sel_hi:[0,1,0]
	v_or_b32_e32 v58, v57, v58
	v_fma_mixlo_f16 v57, v26, v57, 0 op_sel:[0,1,0] op_sel_hi:[0,1,0]
	v_and_b32_e32 v103, 0xffff, v55
	s_waitcnt lgkmcnt(0)
	v_and_b32_e32 v79, 0xffff, v78
	v_lshrrev_b32_e32 v78, 16, v78
	;;#ASMSTART
	v_cvt_f32_f16 v33, v79;
	;;#ASMEND
	;;#ASMSTART
	v_cvt_f32_f16 v34, v78;
	;;#ASMEND
	;; [unrolled: 3-line block ×4, first 2 shown]
	ds_read_b32 v80, v14 offset:16
	v_and_b32_e32 v102, 0xffff, v56
	v_fma_mixlo_f16 v58, v26, v58, 0 op_sel_hi:[0,1,0]
	v_and_b32_e32 v105, 0xffff, v57
	v_or_b32_e32 v60, v59, v60
	v_fma_mixlo_f16 v59, v26, v59, 0 op_sel:[0,1,0] op_sel_hi:[0,1,0]
	v_or_b32_e32 v62, v61, v62
	v_and_b32_e32 v104, 0xffff, v58
	v_fma_mixlo_f16 v61, v26, v61, 0 op_sel:[0,1,0] op_sel_hi:[0,1,0]
	v_fma_mixlo_f16 v60, v26, v60, 0 op_sel_hi:[0,1,0]
	v_and_b32_e32 v107, 0xffff, v59
	v_fma_mixlo_f16 v62, v26, v62, 0 op_sel_hi:[0,1,0]
	v_or_b32_e32 v64, v63, v64
	v_and_b32_e32 v109, 0xffff, v61
	v_and_b32_e32 v106, 0xffff, v60
	v_mul_f32_e32 v29, v29, v74
	v_and_b32_e32 v108, 0xffff, v62
	v_mul_f32_e32 v30, v30, v75
	v_fma_mixlo_f16 v64, v26, v64, 0 op_sel_hi:[0,1,0]
	v_fma_mixlo_f16 v63, v26, v63, 0 op_sel:[0,1,0] op_sel_hi:[0,1,0]
	s_waitcnt lgkmcnt(0)
	v_and_b32_e32 v81, 0xffff, v80
	v_lshrrev_b32_e32 v80, 16, v80
	;;#ASMSTART
	v_cvt_f32_f16 v35, v81;
	;;#ASMEND
	;;#ASMSTART
	v_cvt_f32_f16 v36, v80;
	;;#ASMEND
	;; [unrolled: 3-line block ×4, first 2 shown]
	ds_read_b32 v82, v14 offset:20
	v_fmac_f32_e32 v29, v1, v28
	v_fmac_f32_e32 v30, v27, v73
	v_and_b32_e32 v110, 0xffff, v64
	v_and_b32_e32 v111, 0xffff, v63
	v_or_b32_e32 v66, v65, v66
	v_fmac_f32_e32 v29, v31, v76
	v_fmac_f32_e32 v30, v32, v77
	v_fma_mixlo_f16 v65, v26, v65, 0 op_sel:[0,1,0] op_sel_hi:[0,1,0]
	v_or_b32_e32 v8, v7, v8
	v_fma_mixlo_f16 v66, v26, v66, 0 op_sel_hi:[0,1,0]
	v_fmac_f32_e32 v29, v33, v78
	v_fmac_f32_e32 v30, v34, v79
	v_and_b32_e32 v65, 0xffff, v65
	v_or_b32_e32 v33, v67, v68
	v_and_b32_e32 v28, 0xffff, v66
	v_fmac_f32_e32 v29, v35, v80
	v_fmac_f32_e32 v30, v36, v81
	v_fma_mixlo_f16 v34, v26, v67, 0 op_sel:[0,1,0] op_sel_hi:[0,1,0]
	v_fma_mixlo_f16 v33, v26, v33, 0 op_sel_hi:[0,1,0]
	s_waitcnt lgkmcnt(0)
	v_and_b32_e32 v83, 0xffff, v82
	v_lshrrev_b32_e32 v82, 16, v82
	;;#ASMSTART
	v_cvt_f32_f16 v37, v83;
	;;#ASMEND
	;;#ASMSTART
	v_cvt_f32_f16 v38, v82;
	;;#ASMEND
	;; [unrolled: 3-line block ×4, first 2 shown]
	ds_read_b32 v84, v14 offset:24
	v_fmac_f32_e32 v29, v37, v82
	v_fmac_f32_e32 v30, v38, v83
	v_and_b32_e32 v35, 0xffff, v34
	v_and_b32_e32 v37, 0xffff, v33
	v_fma_mixlo_f16 v38, v26, v69, 0 op_sel:[0,1,0] op_sel_hi:[0,1,0]
	v_fma_mixlo_f16 v8, v26, v8, 0 op_sel_hi:[0,1,0]
	s_waitcnt lgkmcnt(0)
	v_and_b32_e32 v85, 0xffff, v84
	v_lshrrev_b32_e32 v84, 16, v84
	;;#ASMSTART
	v_cvt_f32_f16 v39, v85;
	;;#ASMEND
	;;#ASMSTART
	v_cvt_f32_f16 v40, v84;
	;;#ASMEND
	;; [unrolled: 3-line block ×4, first 2 shown]
	ds_read_b32 v86, v14 offset:28
	v_fmac_f32_e32 v29, v39, v84
	v_fmac_f32_e32 v30, v40, v85
	v_and_b32_e32 v39, 0xffff, v38
	s_waitcnt lgkmcnt(0)
	v_and_b32_e32 v87, 0xffff, v86
	v_lshrrev_b32_e32 v86, 16, v86
	;;#ASMSTART
	v_cvt_f32_f16 v41, v87;
	;;#ASMEND
	;;#ASMSTART
	v_cvt_f32_f16 v42, v86;
	;;#ASMEND
	;; [unrolled: 3-line block ×4, first 2 shown]
	ds_read_b32 v88, v14 offset:32
	v_fmac_f32_e32 v29, v41, v86
	v_fmac_f32_e32 v30, v42, v87
	v_fma_mixlo_f16 v42, v26, v71, 0 op_sel:[0,1,0] op_sel_hi:[0,1,0]
	s_waitcnt lgkmcnt(0)
	v_and_b32_e32 v89, 0xffff, v88
	v_lshrrev_b32_e32 v88, 16, v88
	;;#ASMSTART
	v_cvt_f32_f16 v43, v89;
	;;#ASMEND
	;;#ASMSTART
	v_cvt_f32_f16 v44, v88;
	;;#ASMEND
	;; [unrolled: 3-line block ×4, first 2 shown]
	ds_read_b32 v90, v14 offset:36
	v_fmac_f32_e32 v29, v43, v88
	v_fmac_f32_e32 v30, v44, v89
	v_and_b32_e32 v43, 0xffff, v42
	s_waitcnt lgkmcnt(0)
	v_and_b32_e32 v91, 0xffff, v90
	v_lshrrev_b32_e32 v90, 16, v90
	;;#ASMSTART
	v_cvt_f32_f16 v45, v91;
	;;#ASMEND
	;;#ASMSTART
	v_cvt_f32_f16 v46, v90;
	;;#ASMEND
	;;#ASMSTART
	v_cvt_f32_f16 v90, v92;
	;;#ASMEND
	;;#ASMSTART
	v_cvt_f32_f16 v91, v93;
	;;#ASMEND
	ds_read_b32 v92, v14 offset:40
	v_fmac_f32_e32 v29, v45, v90
	v_fmac_f32_e32 v30, v46, v91
	s_waitcnt lgkmcnt(0)
	v_and_b32_e32 v93, 0xffff, v92
	v_lshrrev_b32_e32 v92, 16, v92
	;;#ASMSTART
	v_cvt_f32_f16 v47, v93;
	;;#ASMEND
	;;#ASMSTART
	v_cvt_f32_f16 v48, v92;
	;;#ASMEND
	;;#ASMSTART
	v_cvt_f32_f16 v92, v94;
	;;#ASMEND
	;;#ASMSTART
	v_cvt_f32_f16 v93, v95;
	;;#ASMEND
	ds_read_b32 v94, v14 offset:44
	v_fmac_f32_e32 v29, v47, v92
	v_fmac_f32_e32 v30, v48, v93
	;; [unrolled: 18-line block ×11, first 2 shown]
	v_fma_mixlo_f16 v1, v26, v7, 0 op_sel:[0,1,0] op_sel_hi:[0,1,0]
	v_xor_b32_e32 v7, 2, v10
	v_and_b32_e32 v28, 0xffff, v8
	v_and_b32_e32 v27, 0xffff, v1
	v_cmp_gt_i32_e64 s2, 32, v7
	v_cndmask_b32_e64 v1, v10, v7, s2
	v_lshlrev_b32_e32 v1, 2, v1
	s_waitcnt lgkmcnt(0)
	v_and_b32_e32 v34, 0xffff, v32
	v_lshrrev_b32_e32 v36, 16, v32
	;;#ASMSTART
	v_cvt_f32_f16 v32, v34;
	;;#ASMEND
	;;#ASMSTART
	v_cvt_f32_f16 v33, v36;
	;;#ASMEND
	;; [unrolled: 3-line block ×4, first 2 shown]
	ds_read_b32 v36, v14 offset:84
	v_or_b32_e32 v37, v69, v70
	v_fmac_f32_e32 v29, v32, v34
	v_fmac_f32_e32 v30, v33, v35
	v_fma_mixlo_f16 v37, v26, v37, 0 op_sel_hi:[0,1,0]
	v_and_b32_e32 v41, 0xffff, v37
	s_waitcnt lgkmcnt(0)
	v_and_b32_e32 v38, 0xffff, v36
	v_lshrrev_b32_e32 v40, 16, v36
	;;#ASMSTART
	v_cvt_f32_f16 v36, v38;
	;;#ASMEND
	;;#ASMSTART
	v_cvt_f32_f16 v37, v40;
	;;#ASMEND
	;; [unrolled: 3-line block ×4, first 2 shown]
	ds_read_b32 v40, v14 offset:88
	v_or_b32_e32 v41, v71, v72
	v_fmac_f32_e32 v29, v36, v38
	v_fmac_f32_e32 v30, v37, v39
	v_fma_mixlo_f16 v41, v26, v41, 0 op_sel_hi:[0,1,0]
	v_and_b32_e32 v45, 0xffff, v41
	s_waitcnt lgkmcnt(0)
	v_and_b32_e32 v42, 0xffff, v40
	v_lshrrev_b32_e32 v44, 16, v40
	;;#ASMSTART
	v_cvt_f32_f16 v40, v42;
	;;#ASMEND
	;;#ASMSTART
	v_cvt_f32_f16 v41, v44;
	;;#ASMEND
	;; [unrolled: 3-line block ×4, first 2 shown]
	ds_read_b32 v44, v14 offset:92
	v_fmac_f32_e32 v29, v40, v42
	v_fmac_f32_e32 v30, v41, v43
	s_waitcnt lgkmcnt(0)
	v_and_b32_e32 v7, 0xffff, v44
	v_lshrrev_b32_e32 v26, 16, v44
	;;#ASMSTART
	v_cvt_f32_f16 v7, v7;
	;;#ASMEND
	;;#ASMSTART
	v_cvt_f32_f16 v8, v26;
	;;#ASMEND
	;; [unrolled: 3-line block ×4, first 2 shown]
	v_fmac_f32_e32 v29, v7, v26
	v_fmac_f32_e32 v30, v8, v27
	v_xor_b32_e32 v8, 1, v10
	v_add_f32_e32 v7, v29, v30
	v_cmp_gt_i32_e64 s2, 32, v8
	ds_bpermute_b32 v1, v1, v7
	v_cndmask_b32_e64 v8, v10, v8, s2
	s_waitcnt lgkmcnt(0)
	v_add_f32_e32 v1, v7, v1
	v_lshlrev_b32_e32 v7, 2, v8
	ds_bpermute_b32 v7, v7, v1
	s_and_saveexec_b32 s40, vcc_lo
	s_cbranch_execz .LBB241_10
; %bb.402:                              ;   in Loop: Header=BB241_12 Depth=1
	v_add_nc_u32_e32 v8, v22, v16
	s_waitcnt lgkmcnt(0)
	v_add_f32_e32 v1, v1, v7
	v_cvt_f32_i32_e32 v8, v8
	v_mul_f32_e32 v8, s36, v8
	v_cndmask_b32_e64 v7, 0, v8, s1
	v_max_f32_e32 v8, v15, v15
	v_fmac_f32_e32 v7, s35, v1
	v_add_nc_u32_e32 v1, v13, v16
	v_max_f32_e32 v8, v8, v7
	v_cmp_gt_i32_e64 s2, s33, v1
	v_cndmask_b32_e64 v1, 0, v7, s2
	v_cndmask_b32_e64 v15, v15, v8, s2
	ds_write_b32 v23, v1
	s_branch .LBB241_10
.LBB241_403:
	s_or_b32 exec_lo, exec_lo, s38
.LBB241_404:
	s_or_b32 exec_lo, exec_lo, s37
	v_xor_b32_e32 v1, 16, v10
	v_xor_b32_e32 v3, 8, v10
	v_max_f32_e32 v4, v15, v15
	v_xor_b32_e32 v5, 4, v10
	v_and_b32_e32 v13, 31, v0
	v_cmp_gt_i32_e32 vcc_lo, 32, v1
	v_cndmask_b32_e32 v1, v10, v1, vcc_lo
	v_cmp_gt_i32_e32 vcc_lo, 32, v3
	v_lshlrev_b32_e32 v2, 2, v1
	v_cndmask_b32_e32 v3, v10, v3, vcc_lo
	v_cmp_gt_i32_e32 vcc_lo, 32, v5
	ds_bpermute_b32 v1, v2, v15
	v_lshlrev_b32_e32 v3, 2, v3
	v_cndmask_b32_e32 v5, v10, v5, vcc_lo
	v_cmp_eq_u32_e32 vcc_lo, 0, v13
	v_lshlrev_b32_e32 v6, 2, v5
	s_waitcnt lgkmcnt(0)
	v_max_f32_e32 v1, v1, v1
	v_max_f32_e32 v1, v4, v1
	ds_bpermute_b32 v4, v3, v1
	s_waitcnt lgkmcnt(0)
	v_max_f32_e32 v4, v4, v4
	v_max_f32_e32 v1, v1, v4
	v_lshlrev_b32_e32 v4, 2, v11
	ds_bpermute_b32 v5, v6, v1
	s_and_saveexec_b32 s1, vcc_lo
	s_cbranch_execz .LBB241_406
; %bb.405:
	s_waitcnt lgkmcnt(0)
	v_max_f32_e32 v5, v5, v5
	v_max_f32_e32 v1, v1, v1
	;; [unrolled: 1-line block ×3, first 2 shown]
	ds_write_b32 v4, v1 offset:384
.LBB241_406:
	s_or_b32 exec_lo, exec_lo, s1
	v_cmp_gt_u32_e64 s1, 4, v13
	v_mov_b32_e32 v1, 0xff7fffff
	s_waitcnt lgkmcnt(0)
	v_lshlrev_b32_e32 v5, 2, v13
	s_barrier
	buffer_gl0_inv
	s_and_saveexec_b32 s2, s1
; %bb.407:
	ds_read_b32 v1, v5 offset:384
; %bb.408:
	s_or_b32 exec_lo, exec_lo, s2
	v_xor_b32_e32 v7, 2, v10
	v_xor_b32_e32 v14, 1, v10
	v_cmp_gt_i32_e64 s2, 32, v7
	v_cndmask_b32_e64 v7, v10, v7, s2
	v_cmp_gt_i32_e64 s2, 32, v14
	v_lshlrev_b32_e32 v7, 2, v7
	v_cndmask_b32_e64 v10, v10, v14, s2
	s_lshl_b32 s2, s20, 3
	s_min_i32 s4, s2, s33
	s_waitcnt lgkmcnt(0)
	ds_bpermute_b32 v8, v7, v1
	v_max_f32_e32 v1, v1, v1
	v_cmp_gt_i32_e64 s2, s4, v0
	s_waitcnt lgkmcnt(0)
	v_max_f32_e32 v14, v8, v8
	v_lshlrev_b32_e32 v8, 2, v10
	v_max_f32_e32 v1, v1, v14
	ds_bpermute_b32 v10, v8, v1
	s_waitcnt lgkmcnt(0)
	v_max_f32_e32 v10, v10, v10
	v_max_f32_e32 v1, v1, v10
	v_mov_b32_e32 v10, 0
	ds_bpermute_b32 v14, v10, v1
	v_lshl_add_u32 v1, v0, 2, 0x1a0
	s_and_saveexec_b32 s5, s2
	s_cbranch_execz .LBB241_412
; %bb.409:
	v_lshl_add_u32 v15, v0, 2, 0x1a0
	v_mov_b32_e32 v10, 0
	v_mov_b32_e32 v16, v0
	s_mov_b32 s12, 0
	.p2align	6
.LBB241_410:                            ; =>This Inner Loop Header: Depth=1
	ds_read_b32 v17, v15
	v_add_nc_u32_e32 v16, 0x80, v16
	v_cmp_le_i32_e64 s3, s4, v16
	s_or_b32 s12, s3, s12
	s_waitcnt lgkmcnt(0)
	v_sub_f32_e32 v17, v17, v14
	v_mul_f32_e32 v17, 0x3fb8aa3b, v17
	v_exp_f32_e32 v17, v17
	ds_write_b32 v15, v17
	v_add_f32_e32 v10, v10, v17
	v_add_nc_u32_e32 v15, 0x200, v15
	s_andn2_b32 exec_lo, exec_lo, s12
	s_cbranch_execnz .LBB241_410
; %bb.411:
	s_or_b32 exec_lo, exec_lo, s12
.LBB241_412:
	s_or_b32 exec_lo, exec_lo, s5
	ds_bpermute_b32 v2, v2, v10
	s_waitcnt lgkmcnt(0)
	v_add_f32_e32 v2, v10, v2
	ds_bpermute_b32 v3, v3, v2
	s_waitcnt lgkmcnt(0)
	v_add_f32_e32 v2, v2, v3
	;; [unrolled: 3-line block ×5, first 2 shown]
	s_and_saveexec_b32 s3, vcc_lo
; %bb.413:
	ds_write_b32 v4, v2 offset:400
; %bb.414:
	s_or_b32 exec_lo, exec_lo, s3
	s_waitcnt lgkmcnt(0)
	s_barrier
	buffer_gl0_inv
	s_and_saveexec_b32 s3, s1
; %bb.415:
	ds_read_b32 v2, v5 offset:400
; %bb.416:
	s_or_b32 exec_lo, exec_lo, s3
	s_waitcnt lgkmcnt(0)
	ds_bpermute_b32 v3, v7, v2
	s_waitcnt lgkmcnt(0)
	v_add_f32_e32 v2, v2, v3
	ds_bpermute_b32 v3, v8, v2
	s_waitcnt lgkmcnt(0)
	v_add_f32_e32 v2, v2, v3
	v_mov_b32_e32 v3, 0
	ds_bpermute_b32 v2, v3, v2
	s_and_saveexec_b32 s1, s2
	s_cbranch_execz .LBB241_419
; %bb.417:
	s_waitcnt lgkmcnt(0)
	v_add_f32_e32 v2, 0x358637bd, v2
	s_mov_b32 s2, 0
	v_div_scale_f32 v3, null, v2, v2, 1.0
	v_div_scale_f32 v6, vcc_lo, 1.0, v2, 1.0
	v_rcp_f32_e32 v4, v3
	v_fma_f32 v5, -v3, v4, 1.0
	v_fmac_f32_e32 v4, v5, v4
	v_mul_f32_e32 v5, v6, v4
	v_fma_f32 v7, -v3, v5, v6
	v_fmac_f32_e32 v5, v7, v4
	v_fma_f32 v3, -v3, v5, v6
	v_div_fmas_f32 v3, v3, v4, v5
	v_div_fixup_f32 v2, v3, v2, 1.0
	v_mov_b32_e32 v3, v0
.LBB241_418:                            ; =>This Inner Loop Header: Depth=1
	ds_read_b32 v4, v1
	v_add_nc_u32_e32 v3, 0x80, v3
	v_cmp_le_i32_e32 vcc_lo, s4, v3
	s_or_b32 s2, vcc_lo, s2
	s_waitcnt lgkmcnt(0)
	v_mul_f32_e32 v4, v2, v4
	ds_write_b32 v1, v4
	v_add_nc_u32_e32 v1, 0x200, v1
	s_andn2_b32 exec_lo, exec_lo, s2
	s_cbranch_execnz .LBB241_418
.LBB241_419:
	s_or_b32 exec_lo, exec_lo, s1
	v_mov_b32_e32 v19, 0
	v_mov_b32_e32 v18, 0
	v_mov_b32_e32 v17, 0
	v_mov_b32_e32 v16, 0
	v_mov_b32_e32 v15, 0
	v_mov_b32_e32 v14, 0
	s_waitcnt lgkmcnt(0)
	s_barrier
	buffer_gl0_inv
	s_and_saveexec_b32 s1, s0
	s_cbranch_execz .LBB241_821
; %bb.420:
	s_sub_i32 s4, s34, s21
	s_ashr_i32 s0, s18, 31
	s_add_u32 s18, s30, s18
	s_addc_u32 s0, s31, s0
	s_abs_i32 s5, s22
	v_lshlrev_b32_e32 v3, 3, v13
	v_cvt_f32_u32_e32 v1, s5
	s_sub_i32 s2, 0, s5
	v_and_b32_e32 v5, 0x7c, v9
	s_mov_b32 s12, s17
	v_add_co_u32 v3, s17, s18, v3
	v_rcp_iflag_f32_e32 v1, v1
	s_add_i32 s13, s20, -1
	v_mov_b32_e32 v2, 0
	v_lshl_add_u32 v20, v11, 5, 0x1a0
	v_mov_b32_e32 v21, 0x80
	v_mov_b32_e32 v22, 0x7f
	;; [unrolled: 1-line block ×6, first 2 shown]
	v_mul_f32_e32 v1, 0x4f7ffffe, v1
	v_mov_b32_e32 v16, 0
	v_mov_b32_e32 v17, 0
	;; [unrolled: 1-line block ×4, first 2 shown]
	v_cvt_u32_f32_e32 v1, v1
	v_mov_b32_e32 v26, v11
	v_mul_lo_u32 v4, s2, v1
	s_lshl_b64 s[2:3], s[28:29], 2
	v_mul_hi_u32 v7, v1, v4
	v_add_co_ci_u32_e64 v4, null, s0, 0, s17
	s_add_u32 s0, s26, s2
	s_addc_u32 s2, s27, s3
	v_add_co_u32 v5, s0, s0, v5
	v_add_co_ci_u32_e64 v6, null, s2, 0, s0
	v_add_nc_u32_e32 v25, v1, v7
	s_mov_b32 s2, -1
	s_mov_b32 s3, 0xffffff
	s_mov_b32 s17, 0
	s_branch .LBB241_423
.LBB241_421:                            ;   in Loop: Header=BB241_423 Depth=1
	s_or_b32 exec_lo, exec_lo, s0
	v_add_f32_e32 v9, v9, v10
	;;#ASMSTART
	v_pk_mul_f16 v27, v39, v46;

	;;#ASMEND
	;;#ASMSTART
	v_pk_mul_f16 v8, v38, v8;

	;;#ASMEND
	;; [unrolled: 4-line block ×4, first 2 shown]
	v_add_f32_e32 v15, v15, v9
	;;#ASMSTART
	v_pk_add_f16 v8, v27, v8;

	;;#ASMEND
	;;#ASMSTART
	v_pk_add_f16 v7, v8, v7;

	;;#ASMEND
	;; [unrolled: 4-line block ×3, first 2 shown]
	v_and_b32_e32 v9, 0xffff, v1
	v_lshrrev_b32_e32 v27, 16, v1
	;;#ASMSTART
	v_cvt_f32_f16 v9, v9;
	;;#ASMEND
	v_add_f32_e32 v10, v44, v45
	v_add_f32_e32 v1, v42, v43
	;; [unrolled: 1-line block ×4, first 2 shown]
	;;#ASMSTART
	v_cvt_f32_f16 v27, v27;
	;;#ASMEND
	v_add_f32_e32 v9, v9, v27
	v_add_f32_e32 v16, v16, v10
	;; [unrolled: 1-line block ×6, first 2 shown]
.LBB241_422:                            ;   in Loop: Header=BB241_423 Depth=1
	s_or_b32 exec_lo, exec_lo, s18
	v_add_nc_u32_e32 v26, 4, v26
	v_add_co_u32 v5, s0, v5, 16
	v_add_co_ci_u32_e64 v6, null, 0, v6, s0
	v_cmp_le_i32_e32 vcc_lo, s20, v26
	v_add_nc_u32_e32 v12, 32, v12
	v_add_nc_u32_e32 v20, 0x80, v20
	s_or_b32 s17, vcc_lo, s17
	s_andn2_b32 exec_lo, exec_lo, s17
	s_cbranch_execz .LBB241_820
.LBB241_423:                            ; =>This Inner Loop Header: Depth=1
	v_mul_hi_u32 v1, v12, s19
	v_mul_lo_u32 v7, v1, s16
	v_add_nc_u32_e32 v8, 1, v1
	v_sub_nc_u32_e32 v7, v12, v7
	v_subrev_nc_u32_e32 v9, s16, v7
	v_cmp_le_u32_e32 vcc_lo, s16, v7
	v_cndmask_b32_e32 v1, v1, v8, vcc_lo
	v_cndmask_b32_e32 v7, v7, v9, vcc_lo
	v_add_nc_u32_e32 v8, 1, v1
	v_cmp_le_u32_e32 vcc_lo, s16, v7
	v_cndmask_b32_e32 v1, v1, v8, vcc_lo
	v_xor_b32_e32 v1, s23, v1
	v_subrev_nc_u32_e32 v1, s23, v1
	v_add_nc_u32_e32 v7, s25, v1
	v_cmp_lt_i32_e64 s0, s4, v1
	v_sub_nc_u32_e32 v8, 0, v7
	v_max_i32_e32 v8, v7, v8
	v_ashrrev_i32_e32 v7, 31, v7
	v_mul_hi_u32 v9, v8, v25
	v_mul_lo_u32 v9, v9, s5
	v_sub_nc_u32_e32 v8, v8, v9
	v_subrev_nc_u32_e32 v9, s5, v8
	v_cmp_le_u32_e32 vcc_lo, s5, v8
	v_cndmask_b32_e32 v8, v8, v9, vcc_lo
	v_subrev_nc_u32_e32 v9, s5, v8
	v_cmp_le_u32_e32 vcc_lo, s5, v8
	v_cndmask_b32_e32 v8, v8, v9, vcc_lo
	v_xor_b32_e32 v8, v8, v7
	v_sub_nc_u32_e32 v7, v8, v7
	v_cmp_eq_u32_e32 vcc_lo, 0, v7
	s_or_b32 s0, vcc_lo, s0
	s_and_saveexec_b32 s18, s0
	s_cbranch_execz .LBB241_422
; %bb.424:                              ;   in Loop: Header=BB241_423 Depth=1
	global_load_dword v1, v[5:6], off
	ds_read2_b64 v[27:30], v20 offset1:1
	ds_read2_b64 v[39:42], v20 offset0:2 offset1:3
	s_waitcnt lgkmcnt(1)
	;;#ASMSTART
	v_cvt_f16_f32 v34, v27;

	;;#ASMEND
	;;#ASMSTART
	v_cvt_f16_f32 v35, v28;

	;;#ASMEND
	;; [unrolled: 4-line block ×4, first 2 shown]
	s_waitcnt lgkmcnt(0)
	;;#ASMSTART
	v_cvt_f16_f32 v39, v39;

	;;#ASMEND
	;;#ASMSTART
	v_cvt_f16_f32 v37, v40;

	;;#ASMEND
	;; [unrolled: 4-line block ×4, first 2 shown]
	v_mov_b32_e32 v28, 0
	v_mov_b32_e32 v29, 0
	global_load_dword v27, v28, s[14:15]
	s_waitcnt vmcnt(1)
	v_mad_i64_i32 v[7:8], null, v1, s12, v[3:4]
	global_load_dwordx2 v[9:10], v[7:8], off
	s_waitcnt vmcnt(0)
	v_cmp_ne_u16_sdwa s21, v9, v2 src0_sel:BYTE_0 src1_sel:DWORD
	s_and_saveexec_b32 s0, s21
	s_cbranch_execz .LBB241_432
; %bb.425:                              ;   in Loop: Header=BB241_423 Depth=1
	v_cmp_ne_u16_sdwa s22, v9, v21 src0_sel:BYTE_0 src1_sel:DWORD
	v_mov_b32_e32 v29, 0x8000
	s_and_saveexec_b32 s21, s22
	s_cbranch_execz .LBB241_431
; %bb.426:                              ;   in Loop: Header=BB241_423 Depth=1
	v_and_b32_e32 v30, 0x7f, v9
	v_mov_b32_e32 v29, 0x7c01
	s_mov_b32 s22, exec_lo
	v_cmpx_ne_u32_e32 0x7f, v30
	s_cbranch_execz .LBB241_430
; %bb.427:                              ;   in Loop: Header=BB241_423 Depth=1
	v_and_b32_e32 v1, 7, v9
	v_lshrrev_b32_e32 v29, 3, v30
	s_mov_b32 s26, exec_lo
	v_cmpx_gt_u32_e32 8, v30
; %bb.428:                              ;   in Loop: Header=BB241_423 Depth=1
	v_ffbh_u32_e32 v1, v1
	v_min_u32_e32 v1, 32, v1
	v_subrev_nc_u32_e32 v29, 28, v1
	v_lshlrev_b64 v[30:31], v29, v[9:10]
	v_sub_nc_u32_e32 v29, 29, v1
	v_and_b32_e32 v1, 7, v30
; %bb.429:                              ;   in Loop: Header=BB241_423 Depth=1
	s_or_b32 exec_lo, exec_lo, s26
	v_lshlrev_b32_e32 v30, 8, v9
	v_lshl_add_u32 v29, v29, 10, 0x2000
	v_lshlrev_b32_e32 v1, 7, v1
	v_and_b32_e32 v30, 0x8000, v30
	v_and_b32_e32 v29, 0xfc00, v29
	v_or3_b32 v29, v30, v29, v1
.LBB241_430:                            ;   in Loop: Header=BB241_423 Depth=1
	s_or_b32 exec_lo, exec_lo, s22
.LBB241_431:                            ;   in Loop: Header=BB241_423 Depth=1
	s_or_b32 exec_lo, exec_lo, s21
.LBB241_432:                            ;   in Loop: Header=BB241_423 Depth=1
	s_or_b32 exec_lo, exec_lo, s0
	v_lshrrev_b16 v1, 8, v9
	s_mov_b32 s0, exec_lo
	v_cmpx_ne_u16_e32 0, v1
	s_cbranch_execz .LBB241_440
; %bb.433:                              ;   in Loop: Header=BB241_423 Depth=1
	v_bfrev_b32_e32 v28, 1
	s_mov_b32 s21, exec_lo
	v_cmpx_ne_u16_e32 0x80, v1
	s_cbranch_execz .LBB241_439
; %bb.434:                              ;   in Loop: Header=BB241_423 Depth=1
	v_and_b32_sdwa v31, v1, v22 dst_sel:DWORD dst_unused:UNUSED_PAD src0_sel:WORD_0 src1_sel:DWORD
	v_mov_b32_e32 v28, 0x7c010000
	s_mov_b32 s22, exec_lo
	v_cmpx_ne_u32_e32 0x7f, v31
	s_cbranch_execz .LBB241_438
; %bb.435:                              ;   in Loop: Header=BB241_423 Depth=1
	v_and_b32_sdwa v28, v1, v23 dst_sel:DWORD dst_unused:UNUSED_PAD src0_sel:WORD_0 src1_sel:DWORD
	v_lshrrev_b32_e32 v30, 3, v31
	s_mov_b32 s26, exec_lo
	v_cmpx_gt_u32_e32 8, v31
; %bb.436:                              ;   in Loop: Header=BB241_423 Depth=1
	v_ffbh_u32_e32 v28, v28
	v_min_u32_e32 v28, 32, v28
	v_subrev_nc_u32_e32 v30, 28, v28
	v_lshlrev_b64 v[31:32], v30, v[1:2]
	v_sub_nc_u32_e32 v30, 29, v28
	v_and_b32_e32 v28, 7, v31
; %bb.437:                              ;   in Loop: Header=BB241_423 Depth=1
	s_or_b32 exec_lo, exec_lo, s26
	v_lshlrev_b32_sdwa v1, v24, v1 dst_sel:DWORD dst_unused:UNUSED_PAD src0_sel:DWORD src1_sel:WORD_0
	v_lshl_add_u32 v30, v30, 10, 0x2000
	v_lshlrev_b32_e32 v28, 23, v28
	v_and_or_b32 v1, 0x8000, v1, v30
	v_lshl_or_b32 v28, v1, 16, v28
.LBB241_438:                            ;   in Loop: Header=BB241_423 Depth=1
	s_or_b32 exec_lo, exec_lo, s22
.LBB241_439:                            ;   in Loop: Header=BB241_423 Depth=1
	s_or_b32 exec_lo, exec_lo, s21
.LBB241_440:                            ;   in Loop: Header=BB241_423 Depth=1
	s_or_b32 exec_lo, exec_lo, s0
	v_lshrrev_b32_e32 v1, 16, v9
	v_mov_b32_e32 v30, 0
	v_mov_b32_e32 v31, 0
	v_cmp_ne_u16_sdwa s21, v1, v2 src0_sel:BYTE_0 src1_sel:DWORD
	s_and_saveexec_b32 s0, s21
	s_cbranch_execz .LBB241_448
; %bb.441:                              ;   in Loop: Header=BB241_423 Depth=1
	v_cmp_ne_u16_sdwa s22, v1, v21 src0_sel:BYTE_0 src1_sel:DWORD
	v_mov_b32_e32 v31, 0x8000
	s_and_saveexec_b32 s21, s22
	s_cbranch_execz .LBB241_447
; %bb.442:                              ;   in Loop: Header=BB241_423 Depth=1
	v_bfe_u32 v33, v9, 16, 7
	v_mov_b32_e32 v31, 0x7c01
	s_mov_b32 s22, exec_lo
	v_cmpx_ne_u32_e32 0x7f, v33
	s_cbranch_execz .LBB241_446
; %bb.443:                              ;   in Loop: Header=BB241_423 Depth=1
	v_and_b32_e32 v31, 7, v1
	v_lshrrev_b32_e32 v32, 3, v33
	s_mov_b32 s26, exec_lo
	v_cmpx_gt_u32_e32 8, v33
; %bb.444:                              ;   in Loop: Header=BB241_423 Depth=1
	v_ffbh_u32_e32 v31, v31
	v_min_u32_e32 v33, 32, v31
	v_subrev_nc_u32_e32 v31, 28, v33
	v_lshlrev_b64 v[31:32], v31, v[1:2]
	v_sub_nc_u32_e32 v32, 29, v33
	v_and_b32_e32 v31, 7, v31
; %bb.445:                              ;   in Loop: Header=BB241_423 Depth=1
	s_or_b32 exec_lo, exec_lo, s26
	v_lshlrev_b32_e32 v1, 8, v1
	v_lshl_add_u32 v32, v32, 10, 0x2000
	v_lshlrev_b32_e32 v31, 7, v31
	v_and_b32_e32 v1, 0x8000, v1
	v_and_b32_e32 v32, 0xfc00, v32
	v_or3_b32 v31, v1, v32, v31
.LBB241_446:                            ;   in Loop: Header=BB241_423 Depth=1
	s_or_b32 exec_lo, exec_lo, s22
.LBB241_447:                            ;   in Loop: Header=BB241_423 Depth=1
	s_or_b32 exec_lo, exec_lo, s21
.LBB241_448:                            ;   in Loop: Header=BB241_423 Depth=1
	s_or_b32 exec_lo, exec_lo, s0
	s_mov_b32 s0, exec_lo
	v_cmpx_lt_u32_e32 0xffffff, v9
	s_cbranch_execz .LBB241_456
; %bb.449:                              ;   in Loop: Header=BB241_423 Depth=1
	v_lshrrev_b32_e32 v1, 24, v9
	v_bfrev_b32_e32 v30, 1
	s_mov_b32 s21, exec_lo
	v_cmpx_ne_u32_e32 0x80, v1
	s_cbranch_execz .LBB241_455
; %bb.450:                              ;   in Loop: Header=BB241_423 Depth=1
	v_and_b32_e32 v33, 0x7f, v1
	v_mov_b32_e32 v30, 0x7c010000
	s_mov_b32 s22, exec_lo
	v_cmpx_ne_u32_e32 0x7f, v33
	s_cbranch_execz .LBB241_454
; %bb.451:                              ;   in Loop: Header=BB241_423 Depth=1
	v_and_b32_e32 v30, 7, v1
	v_lshrrev_b32_e32 v32, 3, v33
	s_mov_b32 s26, exec_lo
	v_cmpx_gt_u32_e32 8, v33
; %bb.452:                              ;   in Loop: Header=BB241_423 Depth=1
	v_ffbh_u32_e32 v30, v30
	v_min_u32_e32 v30, 32, v30
	v_subrev_nc_u32_e32 v32, 28, v30
	v_lshlrev_b64 v[42:43], v32, v[1:2]
	v_sub_nc_u32_e32 v32, 29, v30
	v_and_b32_e32 v30, 7, v42
; %bb.453:                              ;   in Loop: Header=BB241_423 Depth=1
	s_or_b32 exec_lo, exec_lo, s26
	v_lshlrev_b32_e32 v1, 8, v1
	v_lshl_add_u32 v32, v32, 10, 0x2000
	v_lshlrev_b32_e32 v30, 23, v30
	v_and_or_b32 v1, 0x8000, v1, v32
	v_lshl_or_b32 v30, v1, 16, v30
.LBB241_454:                            ;   in Loop: Header=BB241_423 Depth=1
	s_or_b32 exec_lo, exec_lo, s22
.LBB241_455:                            ;   in Loop: Header=BB241_423 Depth=1
	s_or_b32 exec_lo, exec_lo, s21
.LBB241_456:                            ;   in Loop: Header=BB241_423 Depth=1
	s_or_b32 exec_lo, exec_lo, s0
	v_mov_b32_e32 v1, v10
	v_cmp_ne_u16_sdwa s21, v10, v2 src0_sel:BYTE_0 src1_sel:DWORD
	v_mov_b32_e32 v32, 0
	v_mov_b32_e32 v33, 0
	s_and_saveexec_b32 s0, s21
	s_cbranch_execz .LBB241_464
; %bb.457:                              ;   in Loop: Header=BB241_423 Depth=1
	v_cmp_ne_u16_sdwa s22, v10, v21 src0_sel:BYTE_0 src1_sel:DWORD
	v_mov_b32_e32 v33, 0x8000
	s_and_saveexec_b32 s21, s22
	s_cbranch_execz .LBB241_463
; %bb.458:                              ;   in Loop: Header=BB241_423 Depth=1
	v_and_b32_e32 v43, 0x7f, v10
	v_mov_b32_e32 v33, 0x7c01
	s_mov_b32 s22, exec_lo
	v_cmpx_ne_u32_e32 0x7f, v43
	s_cbranch_execz .LBB241_462
; %bb.459:                              ;   in Loop: Header=BB241_423 Depth=1
	v_and_b32_e32 v33, 7, v10
	v_lshrrev_b32_e32 v42, 3, v43
	s_mov_b32 s26, exec_lo
	v_cmpx_gt_u32_e32 8, v43
; %bb.460:                              ;   in Loop: Header=BB241_423 Depth=1
	v_ffbh_u32_e32 v33, v33
	v_min_u32_e32 v33, 32, v33
	v_subrev_nc_u32_e32 v42, 28, v33
	v_lshlrev_b64 v[43:44], v42, v[1:2]
	v_sub_nc_u32_e32 v42, 29, v33
	v_and_b32_e32 v33, 7, v43
; %bb.461:                              ;   in Loop: Header=BB241_423 Depth=1
	s_or_b32 exec_lo, exec_lo, s26
	v_lshlrev_b32_e32 v43, 8, v10
	v_lshl_add_u32 v42, v42, 10, 0x2000
	v_lshlrev_b32_e32 v33, 7, v33
	v_and_b32_e32 v43, 0x8000, v43
	v_and_b32_e32 v42, 0xfc00, v42
	v_or3_b32 v33, v43, v42, v33
.LBB241_462:                            ;   in Loop: Header=BB241_423 Depth=1
	s_or_b32 exec_lo, exec_lo, s22
.LBB241_463:                            ;   in Loop: Header=BB241_423 Depth=1
	s_or_b32 exec_lo, exec_lo, s21
.LBB241_464:                            ;   in Loop: Header=BB241_423 Depth=1
	s_or_b32 exec_lo, exec_lo, s0
	v_lshrrev_b16 v1, 8, v1
	v_mov_b32_e32 v42, 0
	s_mov_b32 s0, exec_lo
	v_cmpx_ne_u16_e32 0, v1
	s_cbranch_execz .LBB241_472
; %bb.465:                              ;   in Loop: Header=BB241_423 Depth=1
	v_bfrev_b32_e32 v42, 1
	s_mov_b32 s21, exec_lo
	v_cmpx_ne_u16_e32 0x80, v1
	s_cbranch_execz .LBB241_471
; %bb.466:                              ;   in Loop: Header=BB241_423 Depth=1
	v_and_b32_sdwa v44, v1, v22 dst_sel:DWORD dst_unused:UNUSED_PAD src0_sel:WORD_0 src1_sel:DWORD
	v_mov_b32_e32 v42, 0x7c010000
	s_mov_b32 s22, exec_lo
	v_cmpx_ne_u32_e32 0x7f, v44
	s_cbranch_execz .LBB241_470
; %bb.467:                              ;   in Loop: Header=BB241_423 Depth=1
	v_and_b32_sdwa v42, v1, v23 dst_sel:DWORD dst_unused:UNUSED_PAD src0_sel:WORD_0 src1_sel:DWORD
	v_lshrrev_b32_e32 v43, 3, v44
	s_mov_b32 s26, exec_lo
	v_cmpx_gt_u32_e32 8, v44
; %bb.468:                              ;   in Loop: Header=BB241_423 Depth=1
	v_ffbh_u32_e32 v42, v42
	v_min_u32_e32 v44, 32, v42
	v_subrev_nc_u32_e32 v42, 28, v44
	v_lshlrev_b64 v[42:43], v42, v[1:2]
	v_sub_nc_u32_e32 v43, 29, v44
	v_and_b32_e32 v42, 7, v42
; %bb.469:                              ;   in Loop: Header=BB241_423 Depth=1
	s_or_b32 exec_lo, exec_lo, s26
	v_lshlrev_b32_sdwa v1, v24, v1 dst_sel:DWORD dst_unused:UNUSED_PAD src0_sel:DWORD src1_sel:WORD_0
	v_lshl_add_u32 v43, v43, 10, 0x2000
	v_lshlrev_b32_e32 v42, 23, v42
	v_and_or_b32 v1, 0x8000, v1, v43
	v_lshl_or_b32 v42, v1, 16, v42
.LBB241_470:                            ;   in Loop: Header=BB241_423 Depth=1
	s_or_b32 exec_lo, exec_lo, s22
.LBB241_471:                            ;   in Loop: Header=BB241_423 Depth=1
	s_or_b32 exec_lo, exec_lo, s21
.LBB241_472:                            ;   in Loop: Header=BB241_423 Depth=1
	s_or_b32 exec_lo, exec_lo, s0
	v_lshrrev_b32_e32 v1, 16, v10
	v_cmp_ne_u16_sdwa s21, v1, v2 src0_sel:BYTE_0 src1_sel:DWORD
	s_and_saveexec_b32 s0, s21
	s_cbranch_execz .LBB241_480
; %bb.473:                              ;   in Loop: Header=BB241_423 Depth=1
	v_cmp_ne_u16_sdwa s22, v1, v21 src0_sel:BYTE_0 src1_sel:DWORD
	v_mov_b32_e32 v32, 0x8000
	s_and_saveexec_b32 s21, s22
	s_cbranch_execz .LBB241_479
; %bb.474:                              ;   in Loop: Header=BB241_423 Depth=1
	v_bfe_u32 v44, v10, 16, 7
	v_mov_b32_e32 v32, 0x7c01
	s_mov_b32 s22, exec_lo
	v_cmpx_ne_u32_e32 0x7f, v44
	s_cbranch_execz .LBB241_478
; %bb.475:                              ;   in Loop: Header=BB241_423 Depth=1
	v_and_b32_e32 v32, 7, v1
	v_lshrrev_b32_e32 v43, 3, v44
	s_mov_b32 s26, exec_lo
	v_cmpx_gt_u32_e32 8, v44
; %bb.476:                              ;   in Loop: Header=BB241_423 Depth=1
	v_ffbh_u32_e32 v32, v32
	v_min_u32_e32 v32, 32, v32
	v_subrev_nc_u32_e32 v43, 28, v32
	v_lshlrev_b64 v[44:45], v43, v[1:2]
	v_sub_nc_u32_e32 v43, 29, v32
	v_and_b32_e32 v32, 7, v44
; %bb.477:                              ;   in Loop: Header=BB241_423 Depth=1
	s_or_b32 exec_lo, exec_lo, s26
	v_lshlrev_b32_e32 v1, 8, v1
	v_lshl_add_u32 v43, v43, 10, 0x2000
	v_lshlrev_b32_e32 v32, 7, v32
	v_and_b32_e32 v1, 0x8000, v1
	v_and_b32_e32 v43, 0xfc00, v43
	v_or3_b32 v32, v1, v43, v32
.LBB241_478:                            ;   in Loop: Header=BB241_423 Depth=1
	s_or_b32 exec_lo, exec_lo, s22
.LBB241_479:                            ;   in Loop: Header=BB241_423 Depth=1
	s_or_b32 exec_lo, exec_lo, s21
.LBB241_480:                            ;   in Loop: Header=BB241_423 Depth=1
	s_or_b32 exec_lo, exec_lo, s0
	v_cmp_lt_u64_e32 vcc_lo, s[2:3], v[9:10]
	v_mov_b32_e32 v9, 0
	s_and_saveexec_b32 s0, vcc_lo
	s_cbranch_execz .LBB241_488
; %bb.481:                              ;   in Loop: Header=BB241_423 Depth=1
	v_lshrrev_b32_e32 v1, 24, v10
	v_bfrev_b32_e32 v9, 1
	s_mov_b32 s21, exec_lo
	v_cmpx_ne_u32_e32 0x80, v1
	s_cbranch_execz .LBB241_487
; %bb.482:                              ;   in Loop: Header=BB241_423 Depth=1
	v_and_b32_e32 v43, 0x7f, v1
	v_mov_b32_e32 v9, 0x7c010000
	s_mov_b32 s22, exec_lo
	v_cmpx_ne_u32_e32 0x7f, v43
	s_cbranch_execz .LBB241_486
; %bb.483:                              ;   in Loop: Header=BB241_423 Depth=1
	v_and_b32_e32 v9, 7, v1
	v_lshrrev_b32_e32 v10, 3, v43
	s_mov_b32 s26, exec_lo
	v_cmpx_gt_u32_e32 8, v43
; %bb.484:                              ;   in Loop: Header=BB241_423 Depth=1
	v_ffbh_u32_e32 v9, v9
	v_min_u32_e32 v43, 32, v9
	v_subrev_nc_u32_e32 v9, 28, v43
	v_lshlrev_b64 v[9:10], v9, v[1:2]
	v_sub_nc_u32_e32 v10, 29, v43
	v_and_b32_e32 v9, 7, v9
; %bb.485:                              ;   in Loop: Header=BB241_423 Depth=1
	s_or_b32 exec_lo, exec_lo, s26
	v_lshlrev_b32_e32 v1, 8, v1
	v_lshl_add_u32 v10, v10, 10, 0x2000
	v_lshlrev_b32_e32 v9, 23, v9
	v_and_or_b32 v1, 0x8000, v1, v10
	v_lshl_or_b32 v9, v1, 16, v9
.LBB241_486:                            ;   in Loop: Header=BB241_423 Depth=1
	s_or_b32 exec_lo, exec_lo, s22
.LBB241_487:                            ;   in Loop: Header=BB241_423 Depth=1
	s_or_b32 exec_lo, exec_lo, s21
.LBB241_488:                            ;   in Loop: Header=BB241_423 Depth=1
	s_or_b32 exec_lo, exec_lo, s0
	v_or_b32_e32 v1, v30, v31
	v_fma_mixlo_f16 v10, v27, v30, 0 op_sel:[0,1,0] op_sel_hi:[0,1,0]
	v_or_b32_e32 v29, v28, v29
	v_fma_mixlo_f16 v28, v27, v28, 0 op_sel:[0,1,0] op_sel_hi:[0,1,0]
	v_or_b32_e32 v30, v42, v33
	v_fma_mixlo_f16 v1, v27, v1, 0 op_sel_hi:[0,1,0]
	v_or_b32_e32 v31, v9, v32
	v_fma_mixlo_f16 v9, v27, v9, 0 op_sel:[0,1,0] op_sel_hi:[0,1,0]
	v_lshlrev_b32_e32 v48, 16, v28
	v_fma_mixlo_f16 v28, v27, v29, 0 op_sel_hi:[0,1,0]
	v_and_b32_e32 v45, 0xffff, v1
	v_fma_mixlo_f16 v1, v27, v42, 0 op_sel:[0,1,0] op_sel_hi:[0,1,0]
	v_fma_mixlo_f16 v29, v27, v30, 0 op_sel_hi:[0,1,0]
	v_fma_mixlo_f16 v27, v27, v31, 0 op_sel_hi:[0,1,0]
	v_lshlrev_b32_e32 v10, 16, v10
	v_and_b32_e32 v50, 0xffff, v28
	v_lshlrev_b32_e32 v46, 16, v1
	v_and_b32_e32 v49, 0xffff, v29
	;; [unrolled: 2-line block ×3, first 2 shown]
	v_cmp_eq_u32_e32 vcc_lo, s13, v26
	v_or_b32_e32 v1, v10, v45
	v_or_b32_e32 v9, v48, v50
	;; [unrolled: 1-line block ×4, first 2 shown]
	v_add_nc_u32_e32 v33, 1, v12
	v_add_nc_u32_e32 v32, 2, v12
	;; [unrolled: 1-line block ×7, first 2 shown]
	s_and_saveexec_b32 s21, vcc_lo
	s_cbranch_execz .LBB241_490
; %bb.489:                              ;   in Loop: Header=BB241_423 Depth=1
	v_cmp_gt_i32_e64 s0, s33, v12
	v_cndmask_b32_e64 v1, 0, v50, s0
	v_cmp_gt_i32_e64 s0, s33, v33
	v_cndmask_b32_e64 v9, 0, v48, s0
	v_cmp_gt_i32_e64 s0, s33, v32
	v_or_b32_e32 v9, v9, v1
	v_cndmask_b32_e64 v42, 0, v45, s0
	v_cmp_gt_i32_e64 s0, s33, v31
	v_cndmask_b32_e64 v10, 0, v10, s0
	v_cmp_gt_i32_e64 s0, s33, v30
	v_or_b32_e32 v1, v10, v42
	;; [unrolled: 5-line block ×3, first 2 shown]
	v_cndmask_b32_e64 v46, 0, v47, s0
	v_cmp_gt_i32_e64 s0, s33, v27
	v_cndmask_b32_e64 v43, 0, v43, s0
	v_or_b32_e32 v44, v43, v46
.LBB241_490:                            ;   in Loop: Header=BB241_423 Depth=1
	s_or_b32 exec_lo, exec_lo, s21
	v_and_b32_e32 v10, 0xffff, v34
	v_and_b32_e32 v34, 0xffff, v38
	;; [unrolled: 1-line block ×4, first 2 shown]
	v_lshl_or_b32 v39, v35, 16, v10
	v_lshl_or_b32 v38, v36, 16, v34
	;;#ASMSTART
	v_pk_mul_f16 v9, v39, v9;

	;;#ASMEND
	;;#ASMSTART
	v_pk_mul_f16 v1, v38, v1;

	;;#ASMEND
	v_lshl_or_b32 v37, v37, 16, v43
	v_lshl_or_b32 v36, v40, 16, v41
	;;#ASMSTART
	v_pk_mul_f16 v10, v37, v42;

	;;#ASMEND
	;;#ASMSTART
	v_pk_mul_f16 v34, v36, v44;

	;;#ASMEND
	;;#ASMSTART
	v_pk_add_f16 v1, v9, v1;

	;;#ASMEND
	;;#ASMSTART
	v_pk_add_f16 v1, v1, v10;
	;; [unrolled: 4-line block ×3, first 2 shown]

	;;#ASMEND
	v_and_b32_e32 v9, 0xffff, v1
	v_lshrrev_b32_e32 v1, 16, v1
	;;#ASMSTART
	v_cvt_f32_f16 v34, v9;
	;;#ASMEND
	;;#ASMSTART
	v_cvt_f32_f16 v35, v1;
	;;#ASMEND
	global_load_dwordx2 v[9:10], v[7:8], off offset:256
	v_mov_b32_e32 v41, 0
	v_mov_b32_e32 v42, 0
	global_load_dword v40, v41, s[14:15]
	s_waitcnt vmcnt(1)
	v_cmp_ne_u16_sdwa s0, v9, v2 src0_sel:BYTE_0 src1_sel:DWORD
	s_and_saveexec_b32 s21, s0
	s_cbranch_execz .LBB241_498
; %bb.491:                              ;   in Loop: Header=BB241_423 Depth=1
	v_cmp_ne_u16_sdwa s0, v9, v21 src0_sel:BYTE_0 src1_sel:DWORD
	v_mov_b32_e32 v42, 0x8000
	s_and_saveexec_b32 s22, s0
	s_cbranch_execz .LBB241_497
; %bb.492:                              ;   in Loop: Header=BB241_423 Depth=1
	v_and_b32_e32 v43, 0x7f, v9
	v_mov_b32_e32 v42, 0x7c01
	s_mov_b32 s26, exec_lo
	v_cmpx_ne_u32_e32 0x7f, v43
	s_cbranch_execz .LBB241_496
; %bb.493:                              ;   in Loop: Header=BB241_423 Depth=1
	v_and_b32_e32 v1, 7, v9
	v_lshrrev_b32_e32 v42, 3, v43
	s_mov_b32 s27, exec_lo
	v_cmpx_gt_u32_e32 8, v43
; %bb.494:                              ;   in Loop: Header=BB241_423 Depth=1
	v_ffbh_u32_e32 v1, v1
	v_min_u32_e32 v1, 32, v1
	v_subrev_nc_u32_e32 v42, 28, v1
	v_lshlrev_b64 v[43:44], v42, v[9:10]
	v_sub_nc_u32_e32 v42, 29, v1
	v_and_b32_e32 v1, 7, v43
; %bb.495:                              ;   in Loop: Header=BB241_423 Depth=1
	s_or_b32 exec_lo, exec_lo, s27
	v_lshlrev_b32_e32 v43, 8, v9
	v_lshl_add_u32 v42, v42, 10, 0x2000
	v_lshlrev_b32_e32 v1, 7, v1
	v_and_b32_e32 v43, 0x8000, v43
	v_and_b32_e32 v42, 0xfc00, v42
	v_or3_b32 v42, v43, v42, v1
.LBB241_496:                            ;   in Loop: Header=BB241_423 Depth=1
	s_or_b32 exec_lo, exec_lo, s26
.LBB241_497:                            ;   in Loop: Header=BB241_423 Depth=1
	s_or_b32 exec_lo, exec_lo, s22
.LBB241_498:                            ;   in Loop: Header=BB241_423 Depth=1
	s_or_b32 exec_lo, exec_lo, s21
	v_lshrrev_b16 v1, 8, v9
	s_mov_b32 s21, exec_lo
	v_cmpx_ne_u16_e32 0, v1
	s_cbranch_execz .LBB241_506
; %bb.499:                              ;   in Loop: Header=BB241_423 Depth=1
	v_bfrev_b32_e32 v41, 1
	s_mov_b32 s22, exec_lo
	v_cmpx_ne_u16_e32 0x80, v1
	s_cbranch_execz .LBB241_505
; %bb.500:                              ;   in Loop: Header=BB241_423 Depth=1
	v_and_b32_sdwa v44, v1, v22 dst_sel:DWORD dst_unused:UNUSED_PAD src0_sel:WORD_0 src1_sel:DWORD
	v_mov_b32_e32 v41, 0x7c010000
	s_mov_b32 s26, exec_lo
	v_cmpx_ne_u32_e32 0x7f, v44
	s_cbranch_execz .LBB241_504
; %bb.501:                              ;   in Loop: Header=BB241_423 Depth=1
	v_and_b32_sdwa v41, v1, v23 dst_sel:DWORD dst_unused:UNUSED_PAD src0_sel:WORD_0 src1_sel:DWORD
	v_lshrrev_b32_e32 v43, 3, v44
	s_mov_b32 s27, exec_lo
	v_cmpx_gt_u32_e32 8, v44
; %bb.502:                              ;   in Loop: Header=BB241_423 Depth=1
	v_ffbh_u32_e32 v41, v41
	v_min_u32_e32 v41, 32, v41
	v_subrev_nc_u32_e32 v43, 28, v41
	v_lshlrev_b64 v[44:45], v43, v[1:2]
	v_sub_nc_u32_e32 v43, 29, v41
	v_and_b32_e32 v41, 7, v44
; %bb.503:                              ;   in Loop: Header=BB241_423 Depth=1
	s_or_b32 exec_lo, exec_lo, s27
	v_lshlrev_b32_sdwa v1, v24, v1 dst_sel:DWORD dst_unused:UNUSED_PAD src0_sel:DWORD src1_sel:WORD_0
	v_lshl_add_u32 v43, v43, 10, 0x2000
	v_lshlrev_b32_e32 v41, 23, v41
	v_and_or_b32 v1, 0x8000, v1, v43
	v_lshl_or_b32 v41, v1, 16, v41
.LBB241_504:                            ;   in Loop: Header=BB241_423 Depth=1
	s_or_b32 exec_lo, exec_lo, s26
.LBB241_505:                            ;   in Loop: Header=BB241_423 Depth=1
	s_or_b32 exec_lo, exec_lo, s22
.LBB241_506:                            ;   in Loop: Header=BB241_423 Depth=1
	s_or_b32 exec_lo, exec_lo, s21
	v_lshrrev_b32_e32 v1, 16, v9
	v_mov_b32_e32 v43, 0
	v_mov_b32_e32 v44, 0
	v_cmp_ne_u16_sdwa s0, v1, v2 src0_sel:BYTE_0 src1_sel:DWORD
	s_and_saveexec_b32 s21, s0
	s_cbranch_execz .LBB241_514
; %bb.507:                              ;   in Loop: Header=BB241_423 Depth=1
	v_cmp_ne_u16_sdwa s0, v1, v21 src0_sel:BYTE_0 src1_sel:DWORD
	v_mov_b32_e32 v44, 0x8000
	s_and_saveexec_b32 s22, s0
	s_cbranch_execz .LBB241_513
; %bb.508:                              ;   in Loop: Header=BB241_423 Depth=1
	v_bfe_u32 v46, v9, 16, 7
	v_mov_b32_e32 v44, 0x7c01
	s_mov_b32 s26, exec_lo
	v_cmpx_ne_u32_e32 0x7f, v46
	s_cbranch_execz .LBB241_512
; %bb.509:                              ;   in Loop: Header=BB241_423 Depth=1
	v_and_b32_e32 v44, 7, v1
	v_lshrrev_b32_e32 v45, 3, v46
	s_mov_b32 s27, exec_lo
	v_cmpx_gt_u32_e32 8, v46
; %bb.510:                              ;   in Loop: Header=BB241_423 Depth=1
	v_ffbh_u32_e32 v44, v44
	v_min_u32_e32 v46, 32, v44
	v_subrev_nc_u32_e32 v44, 28, v46
	v_lshlrev_b64 v[44:45], v44, v[1:2]
	v_sub_nc_u32_e32 v45, 29, v46
	v_and_b32_e32 v44, 7, v44
; %bb.511:                              ;   in Loop: Header=BB241_423 Depth=1
	s_or_b32 exec_lo, exec_lo, s27
	v_lshlrev_b32_e32 v1, 8, v1
	v_lshl_add_u32 v45, v45, 10, 0x2000
	v_lshlrev_b32_e32 v44, 7, v44
	v_and_b32_e32 v1, 0x8000, v1
	v_and_b32_e32 v45, 0xfc00, v45
	v_or3_b32 v44, v1, v45, v44
.LBB241_512:                            ;   in Loop: Header=BB241_423 Depth=1
	s_or_b32 exec_lo, exec_lo, s26
.LBB241_513:                            ;   in Loop: Header=BB241_423 Depth=1
	s_or_b32 exec_lo, exec_lo, s22
.LBB241_514:                            ;   in Loop: Header=BB241_423 Depth=1
	s_or_b32 exec_lo, exec_lo, s21
	s_mov_b32 s21, exec_lo
	v_cmpx_lt_u32_e32 0xffffff, v9
	s_cbranch_execz .LBB241_522
; %bb.515:                              ;   in Loop: Header=BB241_423 Depth=1
	v_lshrrev_b32_e32 v1, 24, v9
	v_bfrev_b32_e32 v43, 1
	s_mov_b32 s22, exec_lo
	v_cmpx_ne_u32_e32 0x80, v1
	s_cbranch_execz .LBB241_521
; %bb.516:                              ;   in Loop: Header=BB241_423 Depth=1
	v_and_b32_e32 v46, 0x7f, v1
	v_mov_b32_e32 v43, 0x7c010000
	s_mov_b32 s26, exec_lo
	v_cmpx_ne_u32_e32 0x7f, v46
	s_cbranch_execz .LBB241_520
; %bb.517:                              ;   in Loop: Header=BB241_423 Depth=1
	v_and_b32_e32 v43, 7, v1
	v_lshrrev_b32_e32 v45, 3, v46
	s_mov_b32 s27, exec_lo
	v_cmpx_gt_u32_e32 8, v46
; %bb.518:                              ;   in Loop: Header=BB241_423 Depth=1
	v_ffbh_u32_e32 v43, v43
	v_min_u32_e32 v43, 32, v43
	v_subrev_nc_u32_e32 v45, 28, v43
	v_lshlrev_b64 v[46:47], v45, v[1:2]
	v_sub_nc_u32_e32 v45, 29, v43
	v_and_b32_e32 v43, 7, v46
; %bb.519:                              ;   in Loop: Header=BB241_423 Depth=1
	s_or_b32 exec_lo, exec_lo, s27
	v_lshlrev_b32_e32 v1, 8, v1
	v_lshl_add_u32 v45, v45, 10, 0x2000
	v_lshlrev_b32_e32 v43, 23, v43
	v_and_or_b32 v1, 0x8000, v1, v45
	v_lshl_or_b32 v43, v1, 16, v43
.LBB241_520:                            ;   in Loop: Header=BB241_423 Depth=1
	s_or_b32 exec_lo, exec_lo, s26
.LBB241_521:                            ;   in Loop: Header=BB241_423 Depth=1
	s_or_b32 exec_lo, exec_lo, s22
.LBB241_522:                            ;   in Loop: Header=BB241_423 Depth=1
	s_or_b32 exec_lo, exec_lo, s21
	v_mov_b32_e32 v1, v10
	v_cmp_ne_u16_sdwa s0, v10, v2 src0_sel:BYTE_0 src1_sel:DWORD
	v_mov_b32_e32 v45, 0
	v_mov_b32_e32 v46, 0
	s_and_saveexec_b32 s21, s0
	s_cbranch_execz .LBB241_530
; %bb.523:                              ;   in Loop: Header=BB241_423 Depth=1
	v_cmp_ne_u16_sdwa s0, v10, v21 src0_sel:BYTE_0 src1_sel:DWORD
	v_mov_b32_e32 v46, 0x8000
	s_and_saveexec_b32 s22, s0
	s_cbranch_execz .LBB241_529
; %bb.524:                              ;   in Loop: Header=BB241_423 Depth=1
	v_and_b32_e32 v48, 0x7f, v10
	v_mov_b32_e32 v46, 0x7c01
	s_mov_b32 s26, exec_lo
	v_cmpx_ne_u32_e32 0x7f, v48
	s_cbranch_execz .LBB241_528
; %bb.525:                              ;   in Loop: Header=BB241_423 Depth=1
	v_and_b32_e32 v46, 7, v10
	v_lshrrev_b32_e32 v47, 3, v48
	s_mov_b32 s27, exec_lo
	v_cmpx_gt_u32_e32 8, v48
; %bb.526:                              ;   in Loop: Header=BB241_423 Depth=1
	v_ffbh_u32_e32 v46, v46
	v_min_u32_e32 v48, 32, v46
	v_subrev_nc_u32_e32 v46, 28, v48
	v_lshlrev_b64 v[46:47], v46, v[1:2]
	v_sub_nc_u32_e32 v47, 29, v48
	v_and_b32_e32 v46, 7, v46
; %bb.527:                              ;   in Loop: Header=BB241_423 Depth=1
	s_or_b32 exec_lo, exec_lo, s27
	v_lshlrev_b32_e32 v48, 8, v10
	v_lshl_add_u32 v47, v47, 10, 0x2000
	v_lshlrev_b32_e32 v46, 7, v46
	v_and_b32_e32 v48, 0x8000, v48
	v_and_b32_e32 v47, 0xfc00, v47
	v_or3_b32 v46, v48, v47, v46
.LBB241_528:                            ;   in Loop: Header=BB241_423 Depth=1
	s_or_b32 exec_lo, exec_lo, s26
.LBB241_529:                            ;   in Loop: Header=BB241_423 Depth=1
	s_or_b32 exec_lo, exec_lo, s22
.LBB241_530:                            ;   in Loop: Header=BB241_423 Depth=1
	s_or_b32 exec_lo, exec_lo, s21
	v_lshrrev_b16 v1, 8, v1
	v_mov_b32_e32 v47, 0
	s_mov_b32 s21, exec_lo
	v_cmpx_ne_u16_e32 0, v1
	s_cbranch_execz .LBB241_538
; %bb.531:                              ;   in Loop: Header=BB241_423 Depth=1
	v_bfrev_b32_e32 v47, 1
	s_mov_b32 s22, exec_lo
	v_cmpx_ne_u16_e32 0x80, v1
	s_cbranch_execz .LBB241_537
; %bb.532:                              ;   in Loop: Header=BB241_423 Depth=1
	v_and_b32_sdwa v49, v1, v22 dst_sel:DWORD dst_unused:UNUSED_PAD src0_sel:WORD_0 src1_sel:DWORD
	v_mov_b32_e32 v47, 0x7c010000
	s_mov_b32 s26, exec_lo
	v_cmpx_ne_u32_e32 0x7f, v49
	s_cbranch_execz .LBB241_536
; %bb.533:                              ;   in Loop: Header=BB241_423 Depth=1
	v_and_b32_sdwa v47, v1, v23 dst_sel:DWORD dst_unused:UNUSED_PAD src0_sel:WORD_0 src1_sel:DWORD
	v_lshrrev_b32_e32 v48, 3, v49
	s_mov_b32 s27, exec_lo
	v_cmpx_gt_u32_e32 8, v49
; %bb.534:                              ;   in Loop: Header=BB241_423 Depth=1
	v_ffbh_u32_e32 v47, v47
	v_min_u32_e32 v49, 32, v47
	v_subrev_nc_u32_e32 v47, 28, v49
	v_lshlrev_b64 v[47:48], v47, v[1:2]
	v_sub_nc_u32_e32 v48, 29, v49
	v_and_b32_e32 v47, 7, v47
; %bb.535:                              ;   in Loop: Header=BB241_423 Depth=1
	s_or_b32 exec_lo, exec_lo, s27
	v_lshlrev_b32_sdwa v1, v24, v1 dst_sel:DWORD dst_unused:UNUSED_PAD src0_sel:DWORD src1_sel:WORD_0
	v_lshl_add_u32 v48, v48, 10, 0x2000
	v_lshlrev_b32_e32 v47, 23, v47
	v_and_or_b32 v1, 0x8000, v1, v48
	v_lshl_or_b32 v47, v1, 16, v47
.LBB241_536:                            ;   in Loop: Header=BB241_423 Depth=1
	s_or_b32 exec_lo, exec_lo, s26
.LBB241_537:                            ;   in Loop: Header=BB241_423 Depth=1
	s_or_b32 exec_lo, exec_lo, s22
.LBB241_538:                            ;   in Loop: Header=BB241_423 Depth=1
	s_or_b32 exec_lo, exec_lo, s21
	v_lshrrev_b32_e32 v1, 16, v10
	v_cmp_ne_u16_sdwa s0, v1, v2 src0_sel:BYTE_0 src1_sel:DWORD
	s_and_saveexec_b32 s21, s0
	s_cbranch_execz .LBB241_546
; %bb.539:                              ;   in Loop: Header=BB241_423 Depth=1
	v_cmp_ne_u16_sdwa s0, v1, v21 src0_sel:BYTE_0 src1_sel:DWORD
	v_mov_b32_e32 v45, 0x8000
	s_and_saveexec_b32 s22, s0
	s_cbranch_execz .LBB241_545
; %bb.540:                              ;   in Loop: Header=BB241_423 Depth=1
	v_bfe_u32 v49, v10, 16, 7
	v_mov_b32_e32 v45, 0x7c01
	s_mov_b32 s26, exec_lo
	v_cmpx_ne_u32_e32 0x7f, v49
	s_cbranch_execz .LBB241_544
; %bb.541:                              ;   in Loop: Header=BB241_423 Depth=1
	v_and_b32_e32 v45, 7, v1
	v_lshrrev_b32_e32 v48, 3, v49
	s_mov_b32 s27, exec_lo
	v_cmpx_gt_u32_e32 8, v49
; %bb.542:                              ;   in Loop: Header=BB241_423 Depth=1
	v_ffbh_u32_e32 v45, v45
	v_min_u32_e32 v45, 32, v45
	v_subrev_nc_u32_e32 v48, 28, v45
	v_lshlrev_b64 v[49:50], v48, v[1:2]
	v_sub_nc_u32_e32 v48, 29, v45
	v_and_b32_e32 v45, 7, v49
; %bb.543:                              ;   in Loop: Header=BB241_423 Depth=1
	s_or_b32 exec_lo, exec_lo, s27
	v_lshlrev_b32_e32 v1, 8, v1
	v_lshl_add_u32 v48, v48, 10, 0x2000
	v_lshlrev_b32_e32 v45, 7, v45
	v_and_b32_e32 v1, 0x8000, v1
	v_and_b32_e32 v48, 0xfc00, v48
	v_or3_b32 v45, v1, v48, v45
.LBB241_544:                            ;   in Loop: Header=BB241_423 Depth=1
	s_or_b32 exec_lo, exec_lo, s26
.LBB241_545:                            ;   in Loop: Header=BB241_423 Depth=1
	s_or_b32 exec_lo, exec_lo, s22
.LBB241_546:                            ;   in Loop: Header=BB241_423 Depth=1
	s_or_b32 exec_lo, exec_lo, s21
	v_cmp_lt_u64_e64 s0, s[2:3], v[9:10]
	v_mov_b32_e32 v9, 0
	s_and_saveexec_b32 s21, s0
	s_cbranch_execz .LBB241_554
; %bb.547:                              ;   in Loop: Header=BB241_423 Depth=1
	v_lshrrev_b32_e32 v1, 24, v10
	v_bfrev_b32_e32 v9, 1
	s_mov_b32 s22, exec_lo
	v_cmpx_ne_u32_e32 0x80, v1
	s_cbranch_execz .LBB241_553
; %bb.548:                              ;   in Loop: Header=BB241_423 Depth=1
	v_and_b32_e32 v48, 0x7f, v1
	v_mov_b32_e32 v9, 0x7c010000
	s_mov_b32 s26, exec_lo
	v_cmpx_ne_u32_e32 0x7f, v48
	s_cbranch_execz .LBB241_552
; %bb.549:                              ;   in Loop: Header=BB241_423 Depth=1
	v_and_b32_e32 v9, 7, v1
	v_lshrrev_b32_e32 v10, 3, v48
	s_mov_b32 s27, exec_lo
	v_cmpx_gt_u32_e32 8, v48
; %bb.550:                              ;   in Loop: Header=BB241_423 Depth=1
	v_ffbh_u32_e32 v9, v9
	v_min_u32_e32 v48, 32, v9
	v_subrev_nc_u32_e32 v9, 28, v48
	v_lshlrev_b64 v[9:10], v9, v[1:2]
	v_sub_nc_u32_e32 v10, 29, v48
	v_and_b32_e32 v9, 7, v9
; %bb.551:                              ;   in Loop: Header=BB241_423 Depth=1
	s_or_b32 exec_lo, exec_lo, s27
	v_lshlrev_b32_e32 v1, 8, v1
	v_lshl_add_u32 v10, v10, 10, 0x2000
	v_lshlrev_b32_e32 v9, 23, v9
	v_and_or_b32 v1, 0x8000, v1, v10
	v_lshl_or_b32 v9, v1, 16, v9
.LBB241_552:                            ;   in Loop: Header=BB241_423 Depth=1
	s_or_b32 exec_lo, exec_lo, s26
.LBB241_553:                            ;   in Loop: Header=BB241_423 Depth=1
	s_or_b32 exec_lo, exec_lo, s22
.LBB241_554:                            ;   in Loop: Header=BB241_423 Depth=1
	s_or_b32 exec_lo, exec_lo, s21
	v_or_b32_e32 v1, v43, v44
	s_waitcnt vmcnt(0)
	v_fma_mixlo_f16 v10, v40, v43, 0 op_sel:[0,1,0] op_sel_hi:[0,1,0]
	v_or_b32_e32 v43, v41, v42
	v_fma_mixlo_f16 v41, v40, v41, 0 op_sel:[0,1,0] op_sel_hi:[0,1,0]
	v_or_b32_e32 v44, v47, v46
	v_or_b32_e32 v45, v9, v45
	v_fma_mixlo_f16 v46, v40, v1, 0 op_sel_hi:[0,1,0]
	v_fma_mixlo_f16 v9, v40, v9, 0 op_sel:[0,1,0] op_sel_hi:[0,1,0]
	v_lshlrev_b32_e32 v42, 16, v41
	v_fma_mixlo_f16 v41, v40, v43, 0 op_sel_hi:[0,1,0]
	v_fma_mixlo_f16 v43, v40, v47, 0 op_sel:[0,1,0] op_sel_hi:[0,1,0]
	v_fma_mixlo_f16 v44, v40, v44, 0 op_sel_hi:[0,1,0]
	v_fma_mixlo_f16 v45, v40, v45, 0 op_sel_hi:[0,1,0]
	v_lshlrev_b32_e32 v1, 16, v10
	v_and_b32_e32 v10, 0xffff, v46
	v_and_b32_e32 v48, 0xffff, v41
	v_lshlrev_b32_e32 v40, 16, v43
	v_and_b32_e32 v44, 0xffff, v44
	v_lshlrev_b32_e32 v9, 16, v9
	v_and_b32_e32 v41, 0xffff, v45
	v_or_b32_e32 v43, v1, v10
	v_or_b32_e32 v47, v42, v48
	;; [unrolled: 1-line block ×4, first 2 shown]
	s_and_saveexec_b32 s21, vcc_lo
	s_cbranch_execz .LBB241_556
; %bb.555:                              ;   in Loop: Header=BB241_423 Depth=1
	v_cmp_gt_i32_e64 s0, s33, v12
	v_cndmask_b32_e64 v43, 0, v48, s0
	v_cmp_gt_i32_e64 s0, s33, v33
	v_cndmask_b32_e64 v42, 0, v42, s0
	v_cmp_gt_i32_e64 s0, s33, v32
	v_or_b32_e32 v47, v42, v43
	v_cndmask_b32_e64 v10, 0, v10, s0
	v_cmp_gt_i32_e64 s0, s33, v31
	v_cndmask_b32_e64 v1, 0, v1, s0
	v_cmp_gt_i32_e64 s0, s33, v30
	v_or_b32_e32 v43, v1, v10
	;; [unrolled: 5-line block ×3, first 2 shown]
	v_cndmask_b32_e64 v41, 0, v41, s0
	v_cmp_gt_i32_e64 s0, s33, v27
	v_cndmask_b32_e64 v9, 0, v9, s0
	v_or_b32_e32 v45, v9, v41
.LBB241_556:                            ;   in Loop: Header=BB241_423 Depth=1
	s_or_b32 exec_lo, exec_lo, s21
	;;#ASMSTART
	v_pk_mul_f16 v1, v39, v47;

	;;#ASMEND
	;;#ASMSTART
	v_pk_mul_f16 v9, v38, v43;

	;;#ASMEND
	;; [unrolled: 4-line block ×4, first 2 shown]
	;;#ASMSTART
	v_pk_add_f16 v1, v1, v9;

	;;#ASMEND
	;;#ASMSTART
	v_pk_add_f16 v1, v1, v10;

	;;#ASMEND
	;; [unrolled: 4-line block ×3, first 2 shown]
	v_and_b32_e32 v9, 0xffff, v1
	v_lshrrev_b32_e32 v1, 16, v1
	;;#ASMSTART
	v_cvt_f32_f16 v40, v9;
	;;#ASMEND
	;;#ASMSTART
	v_cvt_f32_f16 v41, v1;
	;;#ASMEND
	global_load_dwordx2 v[9:10], v[7:8], off offset:512
	v_mov_b32_e32 v43, 0
	v_mov_b32_e32 v44, 0
	global_load_dword v42, v43, s[14:15]
	s_waitcnt vmcnt(1)
	v_cmp_ne_u16_sdwa s0, v9, v2 src0_sel:BYTE_0 src1_sel:DWORD
	s_and_saveexec_b32 s21, s0
	s_cbranch_execz .LBB241_564
; %bb.557:                              ;   in Loop: Header=BB241_423 Depth=1
	v_cmp_ne_u16_sdwa s0, v9, v21 src0_sel:BYTE_0 src1_sel:DWORD
	v_mov_b32_e32 v44, 0x8000
	s_and_saveexec_b32 s22, s0
	s_cbranch_execz .LBB241_563
; %bb.558:                              ;   in Loop: Header=BB241_423 Depth=1
	v_and_b32_e32 v45, 0x7f, v9
	v_mov_b32_e32 v44, 0x7c01
	s_mov_b32 s26, exec_lo
	v_cmpx_ne_u32_e32 0x7f, v45
	s_cbranch_execz .LBB241_562
; %bb.559:                              ;   in Loop: Header=BB241_423 Depth=1
	v_and_b32_e32 v1, 7, v9
	v_lshrrev_b32_e32 v44, 3, v45
	s_mov_b32 s27, exec_lo
	v_cmpx_gt_u32_e32 8, v45
; %bb.560:                              ;   in Loop: Header=BB241_423 Depth=1
	v_ffbh_u32_e32 v1, v1
	v_min_u32_e32 v1, 32, v1
	v_subrev_nc_u32_e32 v44, 28, v1
	v_lshlrev_b64 v[45:46], v44, v[9:10]
	v_sub_nc_u32_e32 v44, 29, v1
	v_and_b32_e32 v1, 7, v45
; %bb.561:                              ;   in Loop: Header=BB241_423 Depth=1
	s_or_b32 exec_lo, exec_lo, s27
	v_lshlrev_b32_e32 v45, 8, v9
	v_lshl_add_u32 v44, v44, 10, 0x2000
	v_lshlrev_b32_e32 v1, 7, v1
	v_and_b32_e32 v45, 0x8000, v45
	v_and_b32_e32 v44, 0xfc00, v44
	v_or3_b32 v44, v45, v44, v1
.LBB241_562:                            ;   in Loop: Header=BB241_423 Depth=1
	s_or_b32 exec_lo, exec_lo, s26
.LBB241_563:                            ;   in Loop: Header=BB241_423 Depth=1
	s_or_b32 exec_lo, exec_lo, s22
.LBB241_564:                            ;   in Loop: Header=BB241_423 Depth=1
	s_or_b32 exec_lo, exec_lo, s21
	v_lshrrev_b16 v1, 8, v9
	s_mov_b32 s21, exec_lo
	v_cmpx_ne_u16_e32 0, v1
	s_cbranch_execz .LBB241_572
; %bb.565:                              ;   in Loop: Header=BB241_423 Depth=1
	v_bfrev_b32_e32 v43, 1
	s_mov_b32 s22, exec_lo
	v_cmpx_ne_u16_e32 0x80, v1
	s_cbranch_execz .LBB241_571
; %bb.566:                              ;   in Loop: Header=BB241_423 Depth=1
	v_and_b32_sdwa v46, v1, v22 dst_sel:DWORD dst_unused:UNUSED_PAD src0_sel:WORD_0 src1_sel:DWORD
	v_mov_b32_e32 v43, 0x7c010000
	s_mov_b32 s26, exec_lo
	v_cmpx_ne_u32_e32 0x7f, v46
	s_cbranch_execz .LBB241_570
; %bb.567:                              ;   in Loop: Header=BB241_423 Depth=1
	v_and_b32_sdwa v43, v1, v23 dst_sel:DWORD dst_unused:UNUSED_PAD src0_sel:WORD_0 src1_sel:DWORD
	v_lshrrev_b32_e32 v45, 3, v46
	s_mov_b32 s27, exec_lo
	v_cmpx_gt_u32_e32 8, v46
; %bb.568:                              ;   in Loop: Header=BB241_423 Depth=1
	v_ffbh_u32_e32 v43, v43
	v_min_u32_e32 v43, 32, v43
	v_subrev_nc_u32_e32 v45, 28, v43
	v_lshlrev_b64 v[46:47], v45, v[1:2]
	v_sub_nc_u32_e32 v45, 29, v43
	v_and_b32_e32 v43, 7, v46
; %bb.569:                              ;   in Loop: Header=BB241_423 Depth=1
	s_or_b32 exec_lo, exec_lo, s27
	v_lshlrev_b32_sdwa v1, v24, v1 dst_sel:DWORD dst_unused:UNUSED_PAD src0_sel:DWORD src1_sel:WORD_0
	v_lshl_add_u32 v45, v45, 10, 0x2000
	v_lshlrev_b32_e32 v43, 23, v43
	v_and_or_b32 v1, 0x8000, v1, v45
	v_lshl_or_b32 v43, v1, 16, v43
.LBB241_570:                            ;   in Loop: Header=BB241_423 Depth=1
	s_or_b32 exec_lo, exec_lo, s26
.LBB241_571:                            ;   in Loop: Header=BB241_423 Depth=1
	s_or_b32 exec_lo, exec_lo, s22
.LBB241_572:                            ;   in Loop: Header=BB241_423 Depth=1
	s_or_b32 exec_lo, exec_lo, s21
	v_lshrrev_b32_e32 v1, 16, v9
	v_mov_b32_e32 v45, 0
	v_mov_b32_e32 v46, 0
	v_cmp_ne_u16_sdwa s0, v1, v2 src0_sel:BYTE_0 src1_sel:DWORD
	s_and_saveexec_b32 s21, s0
	s_cbranch_execz .LBB241_580
; %bb.573:                              ;   in Loop: Header=BB241_423 Depth=1
	v_cmp_ne_u16_sdwa s0, v1, v21 src0_sel:BYTE_0 src1_sel:DWORD
	v_mov_b32_e32 v46, 0x8000
	s_and_saveexec_b32 s22, s0
	s_cbranch_execz .LBB241_579
; %bb.574:                              ;   in Loop: Header=BB241_423 Depth=1
	v_bfe_u32 v48, v9, 16, 7
	v_mov_b32_e32 v46, 0x7c01
	s_mov_b32 s26, exec_lo
	v_cmpx_ne_u32_e32 0x7f, v48
	s_cbranch_execz .LBB241_578
; %bb.575:                              ;   in Loop: Header=BB241_423 Depth=1
	v_and_b32_e32 v46, 7, v1
	v_lshrrev_b32_e32 v47, 3, v48
	s_mov_b32 s27, exec_lo
	v_cmpx_gt_u32_e32 8, v48
; %bb.576:                              ;   in Loop: Header=BB241_423 Depth=1
	v_ffbh_u32_e32 v46, v46
	v_min_u32_e32 v48, 32, v46
	v_subrev_nc_u32_e32 v46, 28, v48
	v_lshlrev_b64 v[46:47], v46, v[1:2]
	v_sub_nc_u32_e32 v47, 29, v48
	v_and_b32_e32 v46, 7, v46
; %bb.577:                              ;   in Loop: Header=BB241_423 Depth=1
	s_or_b32 exec_lo, exec_lo, s27
	v_lshlrev_b32_e32 v1, 8, v1
	v_lshl_add_u32 v47, v47, 10, 0x2000
	v_lshlrev_b32_e32 v46, 7, v46
	v_and_b32_e32 v1, 0x8000, v1
	v_and_b32_e32 v47, 0xfc00, v47
	v_or3_b32 v46, v1, v47, v46
.LBB241_578:                            ;   in Loop: Header=BB241_423 Depth=1
	s_or_b32 exec_lo, exec_lo, s26
.LBB241_579:                            ;   in Loop: Header=BB241_423 Depth=1
	s_or_b32 exec_lo, exec_lo, s22
.LBB241_580:                            ;   in Loop: Header=BB241_423 Depth=1
	s_or_b32 exec_lo, exec_lo, s21
	s_mov_b32 s21, exec_lo
	v_cmpx_lt_u32_e32 0xffffff, v9
	s_cbranch_execz .LBB241_588
; %bb.581:                              ;   in Loop: Header=BB241_423 Depth=1
	v_lshrrev_b32_e32 v1, 24, v9
	v_bfrev_b32_e32 v45, 1
	s_mov_b32 s22, exec_lo
	v_cmpx_ne_u32_e32 0x80, v1
	s_cbranch_execz .LBB241_587
; %bb.582:                              ;   in Loop: Header=BB241_423 Depth=1
	v_and_b32_e32 v48, 0x7f, v1
	v_mov_b32_e32 v45, 0x7c010000
	s_mov_b32 s26, exec_lo
	v_cmpx_ne_u32_e32 0x7f, v48
	s_cbranch_execz .LBB241_586
; %bb.583:                              ;   in Loop: Header=BB241_423 Depth=1
	v_and_b32_e32 v45, 7, v1
	v_lshrrev_b32_e32 v47, 3, v48
	s_mov_b32 s27, exec_lo
	v_cmpx_gt_u32_e32 8, v48
; %bb.584:                              ;   in Loop: Header=BB241_423 Depth=1
	v_ffbh_u32_e32 v45, v45
	v_min_u32_e32 v45, 32, v45
	v_subrev_nc_u32_e32 v47, 28, v45
	v_lshlrev_b64 v[48:49], v47, v[1:2]
	v_sub_nc_u32_e32 v47, 29, v45
	v_and_b32_e32 v45, 7, v48
; %bb.585:                              ;   in Loop: Header=BB241_423 Depth=1
	s_or_b32 exec_lo, exec_lo, s27
	v_lshlrev_b32_e32 v1, 8, v1
	v_lshl_add_u32 v47, v47, 10, 0x2000
	v_lshlrev_b32_e32 v45, 23, v45
	v_and_or_b32 v1, 0x8000, v1, v47
	v_lshl_or_b32 v45, v1, 16, v45
.LBB241_586:                            ;   in Loop: Header=BB241_423 Depth=1
	s_or_b32 exec_lo, exec_lo, s26
.LBB241_587:                            ;   in Loop: Header=BB241_423 Depth=1
	s_or_b32 exec_lo, exec_lo, s22
.LBB241_588:                            ;   in Loop: Header=BB241_423 Depth=1
	s_or_b32 exec_lo, exec_lo, s21
	v_mov_b32_e32 v1, v10
	v_cmp_ne_u16_sdwa s0, v10, v2 src0_sel:BYTE_0 src1_sel:DWORD
	v_mov_b32_e32 v47, 0
	v_mov_b32_e32 v48, 0
	s_and_saveexec_b32 s21, s0
	s_cbranch_execz .LBB241_596
; %bb.589:                              ;   in Loop: Header=BB241_423 Depth=1
	v_cmp_ne_u16_sdwa s0, v10, v21 src0_sel:BYTE_0 src1_sel:DWORD
	v_mov_b32_e32 v48, 0x8000
	s_and_saveexec_b32 s22, s0
	s_cbranch_execz .LBB241_595
; %bb.590:                              ;   in Loop: Header=BB241_423 Depth=1
	v_and_b32_e32 v50, 0x7f, v10
	v_mov_b32_e32 v48, 0x7c01
	s_mov_b32 s26, exec_lo
	v_cmpx_ne_u32_e32 0x7f, v50
	s_cbranch_execz .LBB241_594
; %bb.591:                              ;   in Loop: Header=BB241_423 Depth=1
	v_and_b32_e32 v48, 7, v10
	v_lshrrev_b32_e32 v49, 3, v50
	s_mov_b32 s27, exec_lo
	v_cmpx_gt_u32_e32 8, v50
; %bb.592:                              ;   in Loop: Header=BB241_423 Depth=1
	v_ffbh_u32_e32 v48, v48
	v_min_u32_e32 v50, 32, v48
	v_subrev_nc_u32_e32 v48, 28, v50
	v_lshlrev_b64 v[48:49], v48, v[1:2]
	v_sub_nc_u32_e32 v49, 29, v50
	v_and_b32_e32 v48, 7, v48
; %bb.593:                              ;   in Loop: Header=BB241_423 Depth=1
	s_or_b32 exec_lo, exec_lo, s27
	v_lshlrev_b32_e32 v50, 8, v10
	v_lshl_add_u32 v49, v49, 10, 0x2000
	v_lshlrev_b32_e32 v48, 7, v48
	v_and_b32_e32 v50, 0x8000, v50
	v_and_b32_e32 v49, 0xfc00, v49
	v_or3_b32 v48, v50, v49, v48
.LBB241_594:                            ;   in Loop: Header=BB241_423 Depth=1
	s_or_b32 exec_lo, exec_lo, s26
.LBB241_595:                            ;   in Loop: Header=BB241_423 Depth=1
	s_or_b32 exec_lo, exec_lo, s22
.LBB241_596:                            ;   in Loop: Header=BB241_423 Depth=1
	s_or_b32 exec_lo, exec_lo, s21
	v_lshrrev_b16 v1, 8, v1
	v_mov_b32_e32 v49, 0
	s_mov_b32 s21, exec_lo
	v_cmpx_ne_u16_e32 0, v1
	s_cbranch_execz .LBB241_604
; %bb.597:                              ;   in Loop: Header=BB241_423 Depth=1
	v_bfrev_b32_e32 v49, 1
	s_mov_b32 s22, exec_lo
	v_cmpx_ne_u16_e32 0x80, v1
	s_cbranch_execz .LBB241_603
; %bb.598:                              ;   in Loop: Header=BB241_423 Depth=1
	v_and_b32_sdwa v51, v1, v22 dst_sel:DWORD dst_unused:UNUSED_PAD src0_sel:WORD_0 src1_sel:DWORD
	v_mov_b32_e32 v49, 0x7c010000
	s_mov_b32 s26, exec_lo
	v_cmpx_ne_u32_e32 0x7f, v51
	s_cbranch_execz .LBB241_602
; %bb.599:                              ;   in Loop: Header=BB241_423 Depth=1
	v_and_b32_sdwa v49, v1, v23 dst_sel:DWORD dst_unused:UNUSED_PAD src0_sel:WORD_0 src1_sel:DWORD
	v_lshrrev_b32_e32 v50, 3, v51
	s_mov_b32 s27, exec_lo
	v_cmpx_gt_u32_e32 8, v51
; %bb.600:                              ;   in Loop: Header=BB241_423 Depth=1
	v_ffbh_u32_e32 v49, v49
	v_min_u32_e32 v51, 32, v49
	v_subrev_nc_u32_e32 v49, 28, v51
	v_lshlrev_b64 v[49:50], v49, v[1:2]
	v_sub_nc_u32_e32 v50, 29, v51
	v_and_b32_e32 v49, 7, v49
; %bb.601:                              ;   in Loop: Header=BB241_423 Depth=1
	s_or_b32 exec_lo, exec_lo, s27
	v_lshlrev_b32_sdwa v1, v24, v1 dst_sel:DWORD dst_unused:UNUSED_PAD src0_sel:DWORD src1_sel:WORD_0
	v_lshl_add_u32 v50, v50, 10, 0x2000
	v_lshlrev_b32_e32 v49, 23, v49
	v_and_or_b32 v1, 0x8000, v1, v50
	v_lshl_or_b32 v49, v1, 16, v49
.LBB241_602:                            ;   in Loop: Header=BB241_423 Depth=1
	s_or_b32 exec_lo, exec_lo, s26
.LBB241_603:                            ;   in Loop: Header=BB241_423 Depth=1
	s_or_b32 exec_lo, exec_lo, s22
.LBB241_604:                            ;   in Loop: Header=BB241_423 Depth=1
	s_or_b32 exec_lo, exec_lo, s21
	v_lshrrev_b32_e32 v1, 16, v10
	v_cmp_ne_u16_sdwa s0, v1, v2 src0_sel:BYTE_0 src1_sel:DWORD
	s_and_saveexec_b32 s21, s0
	s_cbranch_execz .LBB241_612
; %bb.605:                              ;   in Loop: Header=BB241_423 Depth=1
	v_cmp_ne_u16_sdwa s0, v1, v21 src0_sel:BYTE_0 src1_sel:DWORD
	v_mov_b32_e32 v47, 0x8000
	s_and_saveexec_b32 s22, s0
	s_cbranch_execz .LBB241_611
; %bb.606:                              ;   in Loop: Header=BB241_423 Depth=1
	v_bfe_u32 v51, v10, 16, 7
	v_mov_b32_e32 v47, 0x7c01
	s_mov_b32 s26, exec_lo
	v_cmpx_ne_u32_e32 0x7f, v51
	s_cbranch_execz .LBB241_610
; %bb.607:                              ;   in Loop: Header=BB241_423 Depth=1
	v_and_b32_e32 v47, 7, v1
	v_lshrrev_b32_e32 v50, 3, v51
	s_mov_b32 s27, exec_lo
	v_cmpx_gt_u32_e32 8, v51
; %bb.608:                              ;   in Loop: Header=BB241_423 Depth=1
	v_ffbh_u32_e32 v47, v47
	v_min_u32_e32 v47, 32, v47
	v_subrev_nc_u32_e32 v50, 28, v47
	v_lshlrev_b64 v[51:52], v50, v[1:2]
	v_sub_nc_u32_e32 v50, 29, v47
	v_and_b32_e32 v47, 7, v51
; %bb.609:                              ;   in Loop: Header=BB241_423 Depth=1
	s_or_b32 exec_lo, exec_lo, s27
	v_lshlrev_b32_e32 v1, 8, v1
	v_lshl_add_u32 v50, v50, 10, 0x2000
	v_lshlrev_b32_e32 v47, 7, v47
	v_and_b32_e32 v1, 0x8000, v1
	v_and_b32_e32 v50, 0xfc00, v50
	v_or3_b32 v47, v1, v50, v47
.LBB241_610:                            ;   in Loop: Header=BB241_423 Depth=1
	s_or_b32 exec_lo, exec_lo, s26
.LBB241_611:                            ;   in Loop: Header=BB241_423 Depth=1
	s_or_b32 exec_lo, exec_lo, s22
.LBB241_612:                            ;   in Loop: Header=BB241_423 Depth=1
	s_or_b32 exec_lo, exec_lo, s21
	v_cmp_lt_u64_e64 s0, s[2:3], v[9:10]
	v_mov_b32_e32 v9, 0
	s_and_saveexec_b32 s21, s0
	s_cbranch_execz .LBB241_620
; %bb.613:                              ;   in Loop: Header=BB241_423 Depth=1
	v_lshrrev_b32_e32 v1, 24, v10
	v_bfrev_b32_e32 v9, 1
	s_mov_b32 s22, exec_lo
	v_cmpx_ne_u32_e32 0x80, v1
	s_cbranch_execz .LBB241_619
; %bb.614:                              ;   in Loop: Header=BB241_423 Depth=1
	v_and_b32_e32 v50, 0x7f, v1
	v_mov_b32_e32 v9, 0x7c010000
	s_mov_b32 s26, exec_lo
	v_cmpx_ne_u32_e32 0x7f, v50
	s_cbranch_execz .LBB241_618
; %bb.615:                              ;   in Loop: Header=BB241_423 Depth=1
	v_and_b32_e32 v9, 7, v1
	v_lshrrev_b32_e32 v10, 3, v50
	s_mov_b32 s27, exec_lo
	v_cmpx_gt_u32_e32 8, v50
; %bb.616:                              ;   in Loop: Header=BB241_423 Depth=1
	v_ffbh_u32_e32 v9, v9
	v_min_u32_e32 v50, 32, v9
	v_subrev_nc_u32_e32 v9, 28, v50
	v_lshlrev_b64 v[9:10], v9, v[1:2]
	v_sub_nc_u32_e32 v10, 29, v50
	v_and_b32_e32 v9, 7, v9
; %bb.617:                              ;   in Loop: Header=BB241_423 Depth=1
	s_or_b32 exec_lo, exec_lo, s27
	v_lshlrev_b32_e32 v1, 8, v1
	v_lshl_add_u32 v10, v10, 10, 0x2000
	v_lshlrev_b32_e32 v9, 23, v9
	v_and_or_b32 v1, 0x8000, v1, v10
	v_lshl_or_b32 v9, v1, 16, v9
.LBB241_618:                            ;   in Loop: Header=BB241_423 Depth=1
	s_or_b32 exec_lo, exec_lo, s26
.LBB241_619:                            ;   in Loop: Header=BB241_423 Depth=1
	s_or_b32 exec_lo, exec_lo, s22
.LBB241_620:                            ;   in Loop: Header=BB241_423 Depth=1
	s_or_b32 exec_lo, exec_lo, s21
	v_or_b32_e32 v1, v45, v46
	s_waitcnt vmcnt(0)
	v_fma_mixlo_f16 v10, v42, v45, 0 op_sel:[0,1,0] op_sel_hi:[0,1,0]
	v_or_b32_e32 v45, v43, v44
	v_fma_mixlo_f16 v43, v42, v43, 0 op_sel:[0,1,0] op_sel_hi:[0,1,0]
	v_or_b32_e32 v46, v49, v48
	v_or_b32_e32 v47, v9, v47
	v_fma_mixlo_f16 v48, v42, v1, 0 op_sel_hi:[0,1,0]
	v_fma_mixlo_f16 v9, v42, v9, 0 op_sel:[0,1,0] op_sel_hi:[0,1,0]
	v_lshlrev_b32_e32 v44, 16, v43
	v_fma_mixlo_f16 v43, v42, v45, 0 op_sel_hi:[0,1,0]
	v_fma_mixlo_f16 v45, v42, v49, 0 op_sel:[0,1,0] op_sel_hi:[0,1,0]
	v_fma_mixlo_f16 v46, v42, v46, 0 op_sel_hi:[0,1,0]
	v_fma_mixlo_f16 v47, v42, v47, 0 op_sel_hi:[0,1,0]
	v_lshlrev_b32_e32 v1, 16, v10
	v_and_b32_e32 v10, 0xffff, v48
	v_and_b32_e32 v50, 0xffff, v43
	v_lshlrev_b32_e32 v42, 16, v45
	v_and_b32_e32 v46, 0xffff, v46
	v_lshlrev_b32_e32 v9, 16, v9
	v_and_b32_e32 v43, 0xffff, v47
	v_or_b32_e32 v45, v1, v10
	v_or_b32_e32 v49, v44, v50
	;; [unrolled: 1-line block ×4, first 2 shown]
	s_and_saveexec_b32 s21, vcc_lo
	s_cbranch_execz .LBB241_622
; %bb.621:                              ;   in Loop: Header=BB241_423 Depth=1
	v_cmp_gt_i32_e64 s0, s33, v12
	v_cndmask_b32_e64 v45, 0, v50, s0
	v_cmp_gt_i32_e64 s0, s33, v33
	v_cndmask_b32_e64 v44, 0, v44, s0
	v_cmp_gt_i32_e64 s0, s33, v32
	v_or_b32_e32 v49, v44, v45
	v_cndmask_b32_e64 v10, 0, v10, s0
	v_cmp_gt_i32_e64 s0, s33, v31
	v_cndmask_b32_e64 v1, 0, v1, s0
	v_cmp_gt_i32_e64 s0, s33, v30
	v_or_b32_e32 v45, v1, v10
	;; [unrolled: 5-line block ×3, first 2 shown]
	v_cndmask_b32_e64 v43, 0, v43, s0
	v_cmp_gt_i32_e64 s0, s33, v27
	v_cndmask_b32_e64 v9, 0, v9, s0
	v_or_b32_e32 v47, v9, v43
.LBB241_622:                            ;   in Loop: Header=BB241_423 Depth=1
	s_or_b32 exec_lo, exec_lo, s21
	;;#ASMSTART
	v_pk_mul_f16 v1, v39, v49;

	;;#ASMEND
	;;#ASMSTART
	v_pk_mul_f16 v9, v38, v45;

	;;#ASMEND
	;; [unrolled: 4-line block ×4, first 2 shown]
	;;#ASMSTART
	v_pk_add_f16 v1, v1, v9;

	;;#ASMEND
	;;#ASMSTART
	v_pk_add_f16 v1, v1, v10;

	;;#ASMEND
	;; [unrolled: 4-line block ×3, first 2 shown]
	v_and_b32_e32 v9, 0xffff, v1
	v_lshrrev_b32_e32 v1, 16, v1
	;;#ASMSTART
	v_cvt_f32_f16 v42, v9;
	;;#ASMEND
	;;#ASMSTART
	v_cvt_f32_f16 v43, v1;
	;;#ASMEND
	global_load_dwordx2 v[9:10], v[7:8], off offset:768
	v_mov_b32_e32 v45, 0
	v_mov_b32_e32 v46, 0
	global_load_dword v44, v45, s[14:15]
	s_waitcnt vmcnt(1)
	v_cmp_ne_u16_sdwa s0, v9, v2 src0_sel:BYTE_0 src1_sel:DWORD
	s_and_saveexec_b32 s21, s0
	s_cbranch_execz .LBB241_630
; %bb.623:                              ;   in Loop: Header=BB241_423 Depth=1
	v_cmp_ne_u16_sdwa s0, v9, v21 src0_sel:BYTE_0 src1_sel:DWORD
	v_mov_b32_e32 v46, 0x8000
	s_and_saveexec_b32 s22, s0
	s_cbranch_execz .LBB241_629
; %bb.624:                              ;   in Loop: Header=BB241_423 Depth=1
	v_and_b32_e32 v47, 0x7f, v9
	v_mov_b32_e32 v46, 0x7c01
	s_mov_b32 s26, exec_lo
	v_cmpx_ne_u32_e32 0x7f, v47
	s_cbranch_execz .LBB241_628
; %bb.625:                              ;   in Loop: Header=BB241_423 Depth=1
	v_and_b32_e32 v1, 7, v9
	v_lshrrev_b32_e32 v46, 3, v47
	s_mov_b32 s27, exec_lo
	v_cmpx_gt_u32_e32 8, v47
; %bb.626:                              ;   in Loop: Header=BB241_423 Depth=1
	v_ffbh_u32_e32 v1, v1
	v_min_u32_e32 v1, 32, v1
	v_subrev_nc_u32_e32 v46, 28, v1
	v_lshlrev_b64 v[47:48], v46, v[9:10]
	v_sub_nc_u32_e32 v46, 29, v1
	v_and_b32_e32 v1, 7, v47
; %bb.627:                              ;   in Loop: Header=BB241_423 Depth=1
	s_or_b32 exec_lo, exec_lo, s27
	v_lshlrev_b32_e32 v47, 8, v9
	v_lshl_add_u32 v46, v46, 10, 0x2000
	v_lshlrev_b32_e32 v1, 7, v1
	v_and_b32_e32 v47, 0x8000, v47
	v_and_b32_e32 v46, 0xfc00, v46
	v_or3_b32 v46, v47, v46, v1
.LBB241_628:                            ;   in Loop: Header=BB241_423 Depth=1
	s_or_b32 exec_lo, exec_lo, s26
.LBB241_629:                            ;   in Loop: Header=BB241_423 Depth=1
	s_or_b32 exec_lo, exec_lo, s22
.LBB241_630:                            ;   in Loop: Header=BB241_423 Depth=1
	s_or_b32 exec_lo, exec_lo, s21
	v_lshrrev_b16 v1, 8, v9
	s_mov_b32 s21, exec_lo
	v_cmpx_ne_u16_e32 0, v1
	s_cbranch_execz .LBB241_638
; %bb.631:                              ;   in Loop: Header=BB241_423 Depth=1
	v_bfrev_b32_e32 v45, 1
	s_mov_b32 s22, exec_lo
	v_cmpx_ne_u16_e32 0x80, v1
	s_cbranch_execz .LBB241_637
; %bb.632:                              ;   in Loop: Header=BB241_423 Depth=1
	v_and_b32_sdwa v48, v1, v22 dst_sel:DWORD dst_unused:UNUSED_PAD src0_sel:WORD_0 src1_sel:DWORD
	v_mov_b32_e32 v45, 0x7c010000
	s_mov_b32 s26, exec_lo
	v_cmpx_ne_u32_e32 0x7f, v48
	s_cbranch_execz .LBB241_636
; %bb.633:                              ;   in Loop: Header=BB241_423 Depth=1
	v_and_b32_sdwa v45, v1, v23 dst_sel:DWORD dst_unused:UNUSED_PAD src0_sel:WORD_0 src1_sel:DWORD
	v_lshrrev_b32_e32 v47, 3, v48
	s_mov_b32 s27, exec_lo
	v_cmpx_gt_u32_e32 8, v48
; %bb.634:                              ;   in Loop: Header=BB241_423 Depth=1
	v_ffbh_u32_e32 v45, v45
	v_min_u32_e32 v45, 32, v45
	v_subrev_nc_u32_e32 v47, 28, v45
	v_lshlrev_b64 v[48:49], v47, v[1:2]
	v_sub_nc_u32_e32 v47, 29, v45
	v_and_b32_e32 v45, 7, v48
; %bb.635:                              ;   in Loop: Header=BB241_423 Depth=1
	s_or_b32 exec_lo, exec_lo, s27
	v_lshlrev_b32_sdwa v1, v24, v1 dst_sel:DWORD dst_unused:UNUSED_PAD src0_sel:DWORD src1_sel:WORD_0
	v_lshl_add_u32 v47, v47, 10, 0x2000
	v_lshlrev_b32_e32 v45, 23, v45
	v_and_or_b32 v1, 0x8000, v1, v47
	v_lshl_or_b32 v45, v1, 16, v45
.LBB241_636:                            ;   in Loop: Header=BB241_423 Depth=1
	s_or_b32 exec_lo, exec_lo, s26
.LBB241_637:                            ;   in Loop: Header=BB241_423 Depth=1
	s_or_b32 exec_lo, exec_lo, s22
.LBB241_638:                            ;   in Loop: Header=BB241_423 Depth=1
	s_or_b32 exec_lo, exec_lo, s21
	v_lshrrev_b32_e32 v1, 16, v9
	v_mov_b32_e32 v47, 0
	v_mov_b32_e32 v48, 0
	v_cmp_ne_u16_sdwa s0, v1, v2 src0_sel:BYTE_0 src1_sel:DWORD
	s_and_saveexec_b32 s21, s0
	s_cbranch_execz .LBB241_646
; %bb.639:                              ;   in Loop: Header=BB241_423 Depth=1
	v_cmp_ne_u16_sdwa s0, v1, v21 src0_sel:BYTE_0 src1_sel:DWORD
	v_mov_b32_e32 v48, 0x8000
	s_and_saveexec_b32 s22, s0
	s_cbranch_execz .LBB241_645
; %bb.640:                              ;   in Loop: Header=BB241_423 Depth=1
	v_bfe_u32 v50, v9, 16, 7
	v_mov_b32_e32 v48, 0x7c01
	s_mov_b32 s26, exec_lo
	v_cmpx_ne_u32_e32 0x7f, v50
	s_cbranch_execz .LBB241_644
; %bb.641:                              ;   in Loop: Header=BB241_423 Depth=1
	v_and_b32_e32 v48, 7, v1
	v_lshrrev_b32_e32 v49, 3, v50
	s_mov_b32 s27, exec_lo
	v_cmpx_gt_u32_e32 8, v50
; %bb.642:                              ;   in Loop: Header=BB241_423 Depth=1
	v_ffbh_u32_e32 v48, v48
	v_min_u32_e32 v50, 32, v48
	v_subrev_nc_u32_e32 v48, 28, v50
	v_lshlrev_b64 v[48:49], v48, v[1:2]
	v_sub_nc_u32_e32 v49, 29, v50
	v_and_b32_e32 v48, 7, v48
; %bb.643:                              ;   in Loop: Header=BB241_423 Depth=1
	s_or_b32 exec_lo, exec_lo, s27
	v_lshlrev_b32_e32 v1, 8, v1
	v_lshl_add_u32 v49, v49, 10, 0x2000
	v_lshlrev_b32_e32 v48, 7, v48
	v_and_b32_e32 v1, 0x8000, v1
	v_and_b32_e32 v49, 0xfc00, v49
	v_or3_b32 v48, v1, v49, v48
.LBB241_644:                            ;   in Loop: Header=BB241_423 Depth=1
	s_or_b32 exec_lo, exec_lo, s26
.LBB241_645:                            ;   in Loop: Header=BB241_423 Depth=1
	s_or_b32 exec_lo, exec_lo, s22
.LBB241_646:                            ;   in Loop: Header=BB241_423 Depth=1
	s_or_b32 exec_lo, exec_lo, s21
	s_mov_b32 s21, exec_lo
	v_cmpx_lt_u32_e32 0xffffff, v9
	s_cbranch_execz .LBB241_654
; %bb.647:                              ;   in Loop: Header=BB241_423 Depth=1
	v_lshrrev_b32_e32 v1, 24, v9
	v_bfrev_b32_e32 v47, 1
	s_mov_b32 s22, exec_lo
	v_cmpx_ne_u32_e32 0x80, v1
	s_cbranch_execz .LBB241_653
; %bb.648:                              ;   in Loop: Header=BB241_423 Depth=1
	v_and_b32_e32 v50, 0x7f, v1
	v_mov_b32_e32 v47, 0x7c010000
	s_mov_b32 s26, exec_lo
	v_cmpx_ne_u32_e32 0x7f, v50
	s_cbranch_execz .LBB241_652
; %bb.649:                              ;   in Loop: Header=BB241_423 Depth=1
	v_and_b32_e32 v47, 7, v1
	v_lshrrev_b32_e32 v49, 3, v50
	s_mov_b32 s27, exec_lo
	v_cmpx_gt_u32_e32 8, v50
; %bb.650:                              ;   in Loop: Header=BB241_423 Depth=1
	v_ffbh_u32_e32 v47, v47
	v_min_u32_e32 v47, 32, v47
	v_subrev_nc_u32_e32 v49, 28, v47
	v_lshlrev_b64 v[50:51], v49, v[1:2]
	v_sub_nc_u32_e32 v49, 29, v47
	v_and_b32_e32 v47, 7, v50
; %bb.651:                              ;   in Loop: Header=BB241_423 Depth=1
	s_or_b32 exec_lo, exec_lo, s27
	v_lshlrev_b32_e32 v1, 8, v1
	v_lshl_add_u32 v49, v49, 10, 0x2000
	v_lshlrev_b32_e32 v47, 23, v47
	v_and_or_b32 v1, 0x8000, v1, v49
	v_lshl_or_b32 v47, v1, 16, v47
.LBB241_652:                            ;   in Loop: Header=BB241_423 Depth=1
	s_or_b32 exec_lo, exec_lo, s26
.LBB241_653:                            ;   in Loop: Header=BB241_423 Depth=1
	s_or_b32 exec_lo, exec_lo, s22
.LBB241_654:                            ;   in Loop: Header=BB241_423 Depth=1
	s_or_b32 exec_lo, exec_lo, s21
	v_mov_b32_e32 v1, v10
	v_cmp_ne_u16_sdwa s0, v10, v2 src0_sel:BYTE_0 src1_sel:DWORD
	v_mov_b32_e32 v49, 0
	v_mov_b32_e32 v50, 0
	s_and_saveexec_b32 s21, s0
	s_cbranch_execz .LBB241_662
; %bb.655:                              ;   in Loop: Header=BB241_423 Depth=1
	v_cmp_ne_u16_sdwa s0, v10, v21 src0_sel:BYTE_0 src1_sel:DWORD
	v_mov_b32_e32 v50, 0x8000
	s_and_saveexec_b32 s22, s0
	s_cbranch_execz .LBB241_661
; %bb.656:                              ;   in Loop: Header=BB241_423 Depth=1
	v_and_b32_e32 v52, 0x7f, v10
	v_mov_b32_e32 v50, 0x7c01
	s_mov_b32 s26, exec_lo
	v_cmpx_ne_u32_e32 0x7f, v52
	s_cbranch_execz .LBB241_660
; %bb.657:                              ;   in Loop: Header=BB241_423 Depth=1
	v_and_b32_e32 v50, 7, v10
	v_lshrrev_b32_e32 v51, 3, v52
	s_mov_b32 s27, exec_lo
	v_cmpx_gt_u32_e32 8, v52
; %bb.658:                              ;   in Loop: Header=BB241_423 Depth=1
	v_ffbh_u32_e32 v50, v50
	v_min_u32_e32 v52, 32, v50
	v_subrev_nc_u32_e32 v50, 28, v52
	v_lshlrev_b64 v[50:51], v50, v[1:2]
	v_sub_nc_u32_e32 v51, 29, v52
	v_and_b32_e32 v50, 7, v50
; %bb.659:                              ;   in Loop: Header=BB241_423 Depth=1
	s_or_b32 exec_lo, exec_lo, s27
	v_lshlrev_b32_e32 v52, 8, v10
	v_lshl_add_u32 v51, v51, 10, 0x2000
	v_lshlrev_b32_e32 v50, 7, v50
	v_and_b32_e32 v52, 0x8000, v52
	v_and_b32_e32 v51, 0xfc00, v51
	v_or3_b32 v50, v52, v51, v50
.LBB241_660:                            ;   in Loop: Header=BB241_423 Depth=1
	s_or_b32 exec_lo, exec_lo, s26
.LBB241_661:                            ;   in Loop: Header=BB241_423 Depth=1
	s_or_b32 exec_lo, exec_lo, s22
.LBB241_662:                            ;   in Loop: Header=BB241_423 Depth=1
	s_or_b32 exec_lo, exec_lo, s21
	v_lshrrev_b16 v1, 8, v1
	v_mov_b32_e32 v51, 0
	s_mov_b32 s21, exec_lo
	v_cmpx_ne_u16_e32 0, v1
	s_cbranch_execz .LBB241_670
; %bb.663:                              ;   in Loop: Header=BB241_423 Depth=1
	v_bfrev_b32_e32 v51, 1
	s_mov_b32 s22, exec_lo
	v_cmpx_ne_u16_e32 0x80, v1
	s_cbranch_execz .LBB241_669
; %bb.664:                              ;   in Loop: Header=BB241_423 Depth=1
	v_and_b32_sdwa v53, v1, v22 dst_sel:DWORD dst_unused:UNUSED_PAD src0_sel:WORD_0 src1_sel:DWORD
	v_mov_b32_e32 v51, 0x7c010000
	s_mov_b32 s26, exec_lo
	v_cmpx_ne_u32_e32 0x7f, v53
	s_cbranch_execz .LBB241_668
; %bb.665:                              ;   in Loop: Header=BB241_423 Depth=1
	v_and_b32_sdwa v51, v1, v23 dst_sel:DWORD dst_unused:UNUSED_PAD src0_sel:WORD_0 src1_sel:DWORD
	v_lshrrev_b32_e32 v52, 3, v53
	s_mov_b32 s27, exec_lo
	v_cmpx_gt_u32_e32 8, v53
; %bb.666:                              ;   in Loop: Header=BB241_423 Depth=1
	v_ffbh_u32_e32 v51, v51
	v_min_u32_e32 v53, 32, v51
	v_subrev_nc_u32_e32 v51, 28, v53
	v_lshlrev_b64 v[51:52], v51, v[1:2]
	v_sub_nc_u32_e32 v52, 29, v53
	v_and_b32_e32 v51, 7, v51
; %bb.667:                              ;   in Loop: Header=BB241_423 Depth=1
	s_or_b32 exec_lo, exec_lo, s27
	v_lshlrev_b32_sdwa v1, v24, v1 dst_sel:DWORD dst_unused:UNUSED_PAD src0_sel:DWORD src1_sel:WORD_0
	v_lshl_add_u32 v52, v52, 10, 0x2000
	v_lshlrev_b32_e32 v51, 23, v51
	v_and_or_b32 v1, 0x8000, v1, v52
	v_lshl_or_b32 v51, v1, 16, v51
.LBB241_668:                            ;   in Loop: Header=BB241_423 Depth=1
	s_or_b32 exec_lo, exec_lo, s26
.LBB241_669:                            ;   in Loop: Header=BB241_423 Depth=1
	s_or_b32 exec_lo, exec_lo, s22
.LBB241_670:                            ;   in Loop: Header=BB241_423 Depth=1
	s_or_b32 exec_lo, exec_lo, s21
	v_lshrrev_b32_e32 v1, 16, v10
	v_cmp_ne_u16_sdwa s0, v1, v2 src0_sel:BYTE_0 src1_sel:DWORD
	s_and_saveexec_b32 s21, s0
	s_cbranch_execz .LBB241_678
; %bb.671:                              ;   in Loop: Header=BB241_423 Depth=1
	v_cmp_ne_u16_sdwa s0, v1, v21 src0_sel:BYTE_0 src1_sel:DWORD
	v_mov_b32_e32 v49, 0x8000
	s_and_saveexec_b32 s22, s0
	s_cbranch_execz .LBB241_677
; %bb.672:                              ;   in Loop: Header=BB241_423 Depth=1
	v_bfe_u32 v53, v10, 16, 7
	v_mov_b32_e32 v49, 0x7c01
	s_mov_b32 s26, exec_lo
	v_cmpx_ne_u32_e32 0x7f, v53
	s_cbranch_execz .LBB241_676
; %bb.673:                              ;   in Loop: Header=BB241_423 Depth=1
	v_and_b32_e32 v49, 7, v1
	v_lshrrev_b32_e32 v52, 3, v53
	s_mov_b32 s27, exec_lo
	v_cmpx_gt_u32_e32 8, v53
; %bb.674:                              ;   in Loop: Header=BB241_423 Depth=1
	v_ffbh_u32_e32 v49, v49
	v_min_u32_e32 v49, 32, v49
	v_subrev_nc_u32_e32 v52, 28, v49
	v_lshlrev_b64 v[53:54], v52, v[1:2]
	v_sub_nc_u32_e32 v52, 29, v49
	v_and_b32_e32 v49, 7, v53
; %bb.675:                              ;   in Loop: Header=BB241_423 Depth=1
	s_or_b32 exec_lo, exec_lo, s27
	v_lshlrev_b32_e32 v1, 8, v1
	v_lshl_add_u32 v52, v52, 10, 0x2000
	v_lshlrev_b32_e32 v49, 7, v49
	v_and_b32_e32 v1, 0x8000, v1
	v_and_b32_e32 v52, 0xfc00, v52
	v_or3_b32 v49, v1, v52, v49
.LBB241_676:                            ;   in Loop: Header=BB241_423 Depth=1
	s_or_b32 exec_lo, exec_lo, s26
.LBB241_677:                            ;   in Loop: Header=BB241_423 Depth=1
	s_or_b32 exec_lo, exec_lo, s22
.LBB241_678:                            ;   in Loop: Header=BB241_423 Depth=1
	s_or_b32 exec_lo, exec_lo, s21
	v_cmp_lt_u64_e64 s0, s[2:3], v[9:10]
	v_mov_b32_e32 v9, 0
	s_and_saveexec_b32 s21, s0
	s_cbranch_execz .LBB241_686
; %bb.679:                              ;   in Loop: Header=BB241_423 Depth=1
	v_lshrrev_b32_e32 v1, 24, v10
	v_bfrev_b32_e32 v9, 1
	s_mov_b32 s22, exec_lo
	v_cmpx_ne_u32_e32 0x80, v1
	s_cbranch_execz .LBB241_685
; %bb.680:                              ;   in Loop: Header=BB241_423 Depth=1
	v_and_b32_e32 v52, 0x7f, v1
	v_mov_b32_e32 v9, 0x7c010000
	s_mov_b32 s26, exec_lo
	v_cmpx_ne_u32_e32 0x7f, v52
	s_cbranch_execz .LBB241_684
; %bb.681:                              ;   in Loop: Header=BB241_423 Depth=1
	v_and_b32_e32 v9, 7, v1
	v_lshrrev_b32_e32 v10, 3, v52
	s_mov_b32 s27, exec_lo
	v_cmpx_gt_u32_e32 8, v52
; %bb.682:                              ;   in Loop: Header=BB241_423 Depth=1
	v_ffbh_u32_e32 v9, v9
	v_min_u32_e32 v52, 32, v9
	v_subrev_nc_u32_e32 v9, 28, v52
	v_lshlrev_b64 v[9:10], v9, v[1:2]
	v_sub_nc_u32_e32 v10, 29, v52
	v_and_b32_e32 v9, 7, v9
; %bb.683:                              ;   in Loop: Header=BB241_423 Depth=1
	s_or_b32 exec_lo, exec_lo, s27
	v_lshlrev_b32_e32 v1, 8, v1
	v_lshl_add_u32 v10, v10, 10, 0x2000
	v_lshlrev_b32_e32 v9, 23, v9
	v_and_or_b32 v1, 0x8000, v1, v10
	v_lshl_or_b32 v9, v1, 16, v9
.LBB241_684:                            ;   in Loop: Header=BB241_423 Depth=1
	s_or_b32 exec_lo, exec_lo, s26
.LBB241_685:                            ;   in Loop: Header=BB241_423 Depth=1
	s_or_b32 exec_lo, exec_lo, s22
.LBB241_686:                            ;   in Loop: Header=BB241_423 Depth=1
	s_or_b32 exec_lo, exec_lo, s21
	v_or_b32_e32 v1, v47, v48
	s_waitcnt vmcnt(0)
	v_fma_mixlo_f16 v10, v44, v47, 0 op_sel:[0,1,0] op_sel_hi:[0,1,0]
	v_or_b32_e32 v47, v45, v46
	v_fma_mixlo_f16 v45, v44, v45, 0 op_sel:[0,1,0] op_sel_hi:[0,1,0]
	v_or_b32_e32 v48, v51, v50
	v_or_b32_e32 v49, v9, v49
	v_fma_mixlo_f16 v50, v44, v1, 0 op_sel_hi:[0,1,0]
	v_fma_mixlo_f16 v9, v44, v9, 0 op_sel:[0,1,0] op_sel_hi:[0,1,0]
	v_lshlrev_b32_e32 v46, 16, v45
	v_fma_mixlo_f16 v45, v44, v47, 0 op_sel_hi:[0,1,0]
	v_fma_mixlo_f16 v47, v44, v51, 0 op_sel:[0,1,0] op_sel_hi:[0,1,0]
	v_fma_mixlo_f16 v48, v44, v48, 0 op_sel_hi:[0,1,0]
	v_fma_mixlo_f16 v49, v44, v49, 0 op_sel_hi:[0,1,0]
	v_lshlrev_b32_e32 v1, 16, v10
	v_and_b32_e32 v10, 0xffff, v50
	v_and_b32_e32 v52, 0xffff, v45
	v_lshlrev_b32_e32 v44, 16, v47
	v_and_b32_e32 v48, 0xffff, v48
	v_lshlrev_b32_e32 v9, 16, v9
	v_and_b32_e32 v45, 0xffff, v49
	v_or_b32_e32 v47, v1, v10
	v_or_b32_e32 v51, v46, v52
	;; [unrolled: 1-line block ×4, first 2 shown]
	s_and_saveexec_b32 s21, vcc_lo
	s_cbranch_execz .LBB241_688
; %bb.687:                              ;   in Loop: Header=BB241_423 Depth=1
	v_cmp_gt_i32_e64 s0, s33, v12
	v_cndmask_b32_e64 v47, 0, v52, s0
	v_cmp_gt_i32_e64 s0, s33, v33
	v_cndmask_b32_e64 v46, 0, v46, s0
	v_cmp_gt_i32_e64 s0, s33, v32
	v_or_b32_e32 v51, v46, v47
	v_cndmask_b32_e64 v10, 0, v10, s0
	v_cmp_gt_i32_e64 s0, s33, v31
	v_cndmask_b32_e64 v1, 0, v1, s0
	v_cmp_gt_i32_e64 s0, s33, v30
	v_or_b32_e32 v47, v1, v10
	;; [unrolled: 5-line block ×3, first 2 shown]
	v_cndmask_b32_e64 v45, 0, v45, s0
	v_cmp_gt_i32_e64 s0, s33, v27
	v_cndmask_b32_e64 v9, 0, v9, s0
	v_or_b32_e32 v49, v9, v45
.LBB241_688:                            ;   in Loop: Header=BB241_423 Depth=1
	s_or_b32 exec_lo, exec_lo, s21
	;;#ASMSTART
	v_pk_mul_f16 v1, v39, v51;

	;;#ASMEND
	;;#ASMSTART
	v_pk_mul_f16 v9, v38, v47;

	;;#ASMEND
	;; [unrolled: 4-line block ×4, first 2 shown]
	;;#ASMSTART
	v_pk_add_f16 v1, v1, v9;

	;;#ASMEND
	;;#ASMSTART
	v_pk_add_f16 v1, v1, v10;

	;;#ASMEND
	;; [unrolled: 4-line block ×3, first 2 shown]
	v_and_b32_e32 v9, 0xffff, v1
	v_lshrrev_b32_e32 v1, 16, v1
	;;#ASMSTART
	v_cvt_f32_f16 v44, v9;
	;;#ASMEND
	;;#ASMSTART
	v_cvt_f32_f16 v45, v1;
	;;#ASMEND
	global_load_dwordx2 v[9:10], v[7:8], off offset:1024
	v_mov_b32_e32 v47, 0
	v_mov_b32_e32 v48, 0
	global_load_dword v46, v47, s[14:15]
	s_waitcnt vmcnt(1)
	v_cmp_ne_u16_sdwa s0, v9, v2 src0_sel:BYTE_0 src1_sel:DWORD
	s_and_saveexec_b32 s21, s0
	s_cbranch_execz .LBB241_696
; %bb.689:                              ;   in Loop: Header=BB241_423 Depth=1
	v_cmp_ne_u16_sdwa s0, v9, v21 src0_sel:BYTE_0 src1_sel:DWORD
	v_mov_b32_e32 v48, 0x8000
	s_and_saveexec_b32 s22, s0
	s_cbranch_execz .LBB241_695
; %bb.690:                              ;   in Loop: Header=BB241_423 Depth=1
	v_and_b32_e32 v49, 0x7f, v9
	v_mov_b32_e32 v48, 0x7c01
	s_mov_b32 s26, exec_lo
	v_cmpx_ne_u32_e32 0x7f, v49
	s_cbranch_execz .LBB241_694
; %bb.691:                              ;   in Loop: Header=BB241_423 Depth=1
	v_and_b32_e32 v1, 7, v9
	v_lshrrev_b32_e32 v48, 3, v49
	s_mov_b32 s27, exec_lo
	v_cmpx_gt_u32_e32 8, v49
; %bb.692:                              ;   in Loop: Header=BB241_423 Depth=1
	v_ffbh_u32_e32 v1, v1
	v_min_u32_e32 v1, 32, v1
	v_subrev_nc_u32_e32 v48, 28, v1
	v_lshlrev_b64 v[49:50], v48, v[9:10]
	v_sub_nc_u32_e32 v48, 29, v1
	v_and_b32_e32 v1, 7, v49
; %bb.693:                              ;   in Loop: Header=BB241_423 Depth=1
	s_or_b32 exec_lo, exec_lo, s27
	v_lshlrev_b32_e32 v49, 8, v9
	v_lshl_add_u32 v48, v48, 10, 0x2000
	v_lshlrev_b32_e32 v1, 7, v1
	v_and_b32_e32 v49, 0x8000, v49
	v_and_b32_e32 v48, 0xfc00, v48
	v_or3_b32 v48, v49, v48, v1
.LBB241_694:                            ;   in Loop: Header=BB241_423 Depth=1
	s_or_b32 exec_lo, exec_lo, s26
.LBB241_695:                            ;   in Loop: Header=BB241_423 Depth=1
	s_or_b32 exec_lo, exec_lo, s22
.LBB241_696:                            ;   in Loop: Header=BB241_423 Depth=1
	s_or_b32 exec_lo, exec_lo, s21
	v_lshrrev_b16 v1, 8, v9
	s_mov_b32 s21, exec_lo
	v_cmpx_ne_u16_e32 0, v1
	s_cbranch_execz .LBB241_704
; %bb.697:                              ;   in Loop: Header=BB241_423 Depth=1
	v_bfrev_b32_e32 v47, 1
	s_mov_b32 s22, exec_lo
	v_cmpx_ne_u16_e32 0x80, v1
	s_cbranch_execz .LBB241_703
; %bb.698:                              ;   in Loop: Header=BB241_423 Depth=1
	v_and_b32_sdwa v50, v1, v22 dst_sel:DWORD dst_unused:UNUSED_PAD src0_sel:WORD_0 src1_sel:DWORD
	v_mov_b32_e32 v47, 0x7c010000
	s_mov_b32 s26, exec_lo
	v_cmpx_ne_u32_e32 0x7f, v50
	s_cbranch_execz .LBB241_702
; %bb.699:                              ;   in Loop: Header=BB241_423 Depth=1
	v_and_b32_sdwa v47, v1, v23 dst_sel:DWORD dst_unused:UNUSED_PAD src0_sel:WORD_0 src1_sel:DWORD
	v_lshrrev_b32_e32 v49, 3, v50
	s_mov_b32 s27, exec_lo
	v_cmpx_gt_u32_e32 8, v50
; %bb.700:                              ;   in Loop: Header=BB241_423 Depth=1
	v_ffbh_u32_e32 v47, v47
	v_min_u32_e32 v47, 32, v47
	v_subrev_nc_u32_e32 v49, 28, v47
	v_lshlrev_b64 v[50:51], v49, v[1:2]
	v_sub_nc_u32_e32 v49, 29, v47
	v_and_b32_e32 v47, 7, v50
; %bb.701:                              ;   in Loop: Header=BB241_423 Depth=1
	s_or_b32 exec_lo, exec_lo, s27
	v_lshlrev_b32_sdwa v1, v24, v1 dst_sel:DWORD dst_unused:UNUSED_PAD src0_sel:DWORD src1_sel:WORD_0
	v_lshl_add_u32 v49, v49, 10, 0x2000
	v_lshlrev_b32_e32 v47, 23, v47
	v_and_or_b32 v1, 0x8000, v1, v49
	v_lshl_or_b32 v47, v1, 16, v47
.LBB241_702:                            ;   in Loop: Header=BB241_423 Depth=1
	s_or_b32 exec_lo, exec_lo, s26
.LBB241_703:                            ;   in Loop: Header=BB241_423 Depth=1
	s_or_b32 exec_lo, exec_lo, s22
.LBB241_704:                            ;   in Loop: Header=BB241_423 Depth=1
	s_or_b32 exec_lo, exec_lo, s21
	v_lshrrev_b32_e32 v1, 16, v9
	v_mov_b32_e32 v49, 0
	v_mov_b32_e32 v50, 0
	v_cmp_ne_u16_sdwa s0, v1, v2 src0_sel:BYTE_0 src1_sel:DWORD
	s_and_saveexec_b32 s21, s0
	s_cbranch_execz .LBB241_712
; %bb.705:                              ;   in Loop: Header=BB241_423 Depth=1
	v_cmp_ne_u16_sdwa s0, v1, v21 src0_sel:BYTE_0 src1_sel:DWORD
	v_mov_b32_e32 v50, 0x8000
	s_and_saveexec_b32 s22, s0
	s_cbranch_execz .LBB241_711
; %bb.706:                              ;   in Loop: Header=BB241_423 Depth=1
	v_bfe_u32 v52, v9, 16, 7
	v_mov_b32_e32 v50, 0x7c01
	s_mov_b32 s26, exec_lo
	v_cmpx_ne_u32_e32 0x7f, v52
	s_cbranch_execz .LBB241_710
; %bb.707:                              ;   in Loop: Header=BB241_423 Depth=1
	v_and_b32_e32 v50, 7, v1
	v_lshrrev_b32_e32 v51, 3, v52
	s_mov_b32 s27, exec_lo
	v_cmpx_gt_u32_e32 8, v52
; %bb.708:                              ;   in Loop: Header=BB241_423 Depth=1
	v_ffbh_u32_e32 v50, v50
	v_min_u32_e32 v52, 32, v50
	v_subrev_nc_u32_e32 v50, 28, v52
	v_lshlrev_b64 v[50:51], v50, v[1:2]
	v_sub_nc_u32_e32 v51, 29, v52
	v_and_b32_e32 v50, 7, v50
; %bb.709:                              ;   in Loop: Header=BB241_423 Depth=1
	s_or_b32 exec_lo, exec_lo, s27
	v_lshlrev_b32_e32 v1, 8, v1
	v_lshl_add_u32 v51, v51, 10, 0x2000
	v_lshlrev_b32_e32 v50, 7, v50
	v_and_b32_e32 v1, 0x8000, v1
	v_and_b32_e32 v51, 0xfc00, v51
	v_or3_b32 v50, v1, v51, v50
.LBB241_710:                            ;   in Loop: Header=BB241_423 Depth=1
	s_or_b32 exec_lo, exec_lo, s26
.LBB241_711:                            ;   in Loop: Header=BB241_423 Depth=1
	s_or_b32 exec_lo, exec_lo, s22
.LBB241_712:                            ;   in Loop: Header=BB241_423 Depth=1
	s_or_b32 exec_lo, exec_lo, s21
	s_mov_b32 s21, exec_lo
	v_cmpx_lt_u32_e32 0xffffff, v9
	s_cbranch_execz .LBB241_720
; %bb.713:                              ;   in Loop: Header=BB241_423 Depth=1
	v_lshrrev_b32_e32 v1, 24, v9
	v_bfrev_b32_e32 v49, 1
	s_mov_b32 s22, exec_lo
	v_cmpx_ne_u32_e32 0x80, v1
	s_cbranch_execz .LBB241_719
; %bb.714:                              ;   in Loop: Header=BB241_423 Depth=1
	v_and_b32_e32 v52, 0x7f, v1
	v_mov_b32_e32 v49, 0x7c010000
	s_mov_b32 s26, exec_lo
	v_cmpx_ne_u32_e32 0x7f, v52
	s_cbranch_execz .LBB241_718
; %bb.715:                              ;   in Loop: Header=BB241_423 Depth=1
	v_and_b32_e32 v49, 7, v1
	v_lshrrev_b32_e32 v51, 3, v52
	s_mov_b32 s27, exec_lo
	v_cmpx_gt_u32_e32 8, v52
; %bb.716:                              ;   in Loop: Header=BB241_423 Depth=1
	v_ffbh_u32_e32 v49, v49
	v_min_u32_e32 v49, 32, v49
	v_subrev_nc_u32_e32 v51, 28, v49
	v_lshlrev_b64 v[52:53], v51, v[1:2]
	v_sub_nc_u32_e32 v51, 29, v49
	v_and_b32_e32 v49, 7, v52
; %bb.717:                              ;   in Loop: Header=BB241_423 Depth=1
	s_or_b32 exec_lo, exec_lo, s27
	v_lshlrev_b32_e32 v1, 8, v1
	v_lshl_add_u32 v51, v51, 10, 0x2000
	v_lshlrev_b32_e32 v49, 23, v49
	v_and_or_b32 v1, 0x8000, v1, v51
	v_lshl_or_b32 v49, v1, 16, v49
.LBB241_718:                            ;   in Loop: Header=BB241_423 Depth=1
	s_or_b32 exec_lo, exec_lo, s26
.LBB241_719:                            ;   in Loop: Header=BB241_423 Depth=1
	s_or_b32 exec_lo, exec_lo, s22
.LBB241_720:                            ;   in Loop: Header=BB241_423 Depth=1
	s_or_b32 exec_lo, exec_lo, s21
	v_mov_b32_e32 v1, v10
	v_cmp_ne_u16_sdwa s0, v10, v2 src0_sel:BYTE_0 src1_sel:DWORD
	v_mov_b32_e32 v51, 0
	v_mov_b32_e32 v52, 0
	s_and_saveexec_b32 s21, s0
	s_cbranch_execz .LBB241_728
; %bb.721:                              ;   in Loop: Header=BB241_423 Depth=1
	v_cmp_ne_u16_sdwa s0, v10, v21 src0_sel:BYTE_0 src1_sel:DWORD
	v_mov_b32_e32 v52, 0x8000
	s_and_saveexec_b32 s22, s0
	s_cbranch_execz .LBB241_727
; %bb.722:                              ;   in Loop: Header=BB241_423 Depth=1
	v_and_b32_e32 v54, 0x7f, v10
	v_mov_b32_e32 v52, 0x7c01
	s_mov_b32 s26, exec_lo
	v_cmpx_ne_u32_e32 0x7f, v54
	s_cbranch_execz .LBB241_726
; %bb.723:                              ;   in Loop: Header=BB241_423 Depth=1
	v_and_b32_e32 v52, 7, v10
	v_lshrrev_b32_e32 v53, 3, v54
	s_mov_b32 s27, exec_lo
	v_cmpx_gt_u32_e32 8, v54
; %bb.724:                              ;   in Loop: Header=BB241_423 Depth=1
	v_ffbh_u32_e32 v52, v52
	v_min_u32_e32 v54, 32, v52
	v_subrev_nc_u32_e32 v52, 28, v54
	v_lshlrev_b64 v[52:53], v52, v[1:2]
	v_sub_nc_u32_e32 v53, 29, v54
	v_and_b32_e32 v52, 7, v52
; %bb.725:                              ;   in Loop: Header=BB241_423 Depth=1
	s_or_b32 exec_lo, exec_lo, s27
	v_lshlrev_b32_e32 v54, 8, v10
	v_lshl_add_u32 v53, v53, 10, 0x2000
	v_lshlrev_b32_e32 v52, 7, v52
	v_and_b32_e32 v54, 0x8000, v54
	v_and_b32_e32 v53, 0xfc00, v53
	v_or3_b32 v52, v54, v53, v52
.LBB241_726:                            ;   in Loop: Header=BB241_423 Depth=1
	s_or_b32 exec_lo, exec_lo, s26
.LBB241_727:                            ;   in Loop: Header=BB241_423 Depth=1
	s_or_b32 exec_lo, exec_lo, s22
.LBB241_728:                            ;   in Loop: Header=BB241_423 Depth=1
	s_or_b32 exec_lo, exec_lo, s21
	v_lshrrev_b16 v1, 8, v1
	v_mov_b32_e32 v53, 0
	s_mov_b32 s21, exec_lo
	v_cmpx_ne_u16_e32 0, v1
	s_cbranch_execz .LBB241_736
; %bb.729:                              ;   in Loop: Header=BB241_423 Depth=1
	v_bfrev_b32_e32 v53, 1
	s_mov_b32 s22, exec_lo
	v_cmpx_ne_u16_e32 0x80, v1
	s_cbranch_execz .LBB241_735
; %bb.730:                              ;   in Loop: Header=BB241_423 Depth=1
	v_and_b32_sdwa v55, v1, v22 dst_sel:DWORD dst_unused:UNUSED_PAD src0_sel:WORD_0 src1_sel:DWORD
	v_mov_b32_e32 v53, 0x7c010000
	s_mov_b32 s26, exec_lo
	v_cmpx_ne_u32_e32 0x7f, v55
	s_cbranch_execz .LBB241_734
; %bb.731:                              ;   in Loop: Header=BB241_423 Depth=1
	v_and_b32_sdwa v53, v1, v23 dst_sel:DWORD dst_unused:UNUSED_PAD src0_sel:WORD_0 src1_sel:DWORD
	v_lshrrev_b32_e32 v54, 3, v55
	s_mov_b32 s27, exec_lo
	v_cmpx_gt_u32_e32 8, v55
; %bb.732:                              ;   in Loop: Header=BB241_423 Depth=1
	v_ffbh_u32_e32 v53, v53
	v_min_u32_e32 v55, 32, v53
	v_subrev_nc_u32_e32 v53, 28, v55
	v_lshlrev_b64 v[53:54], v53, v[1:2]
	v_sub_nc_u32_e32 v54, 29, v55
	v_and_b32_e32 v53, 7, v53
; %bb.733:                              ;   in Loop: Header=BB241_423 Depth=1
	s_or_b32 exec_lo, exec_lo, s27
	v_lshlrev_b32_sdwa v1, v24, v1 dst_sel:DWORD dst_unused:UNUSED_PAD src0_sel:DWORD src1_sel:WORD_0
	v_lshl_add_u32 v54, v54, 10, 0x2000
	v_lshlrev_b32_e32 v53, 23, v53
	v_and_or_b32 v1, 0x8000, v1, v54
	v_lshl_or_b32 v53, v1, 16, v53
.LBB241_734:                            ;   in Loop: Header=BB241_423 Depth=1
	s_or_b32 exec_lo, exec_lo, s26
.LBB241_735:                            ;   in Loop: Header=BB241_423 Depth=1
	s_or_b32 exec_lo, exec_lo, s22
.LBB241_736:                            ;   in Loop: Header=BB241_423 Depth=1
	s_or_b32 exec_lo, exec_lo, s21
	v_lshrrev_b32_e32 v1, 16, v10
	v_cmp_ne_u16_sdwa s0, v1, v2 src0_sel:BYTE_0 src1_sel:DWORD
	s_and_saveexec_b32 s21, s0
	s_cbranch_execz .LBB241_744
; %bb.737:                              ;   in Loop: Header=BB241_423 Depth=1
	v_cmp_ne_u16_sdwa s0, v1, v21 src0_sel:BYTE_0 src1_sel:DWORD
	v_mov_b32_e32 v51, 0x8000
	s_and_saveexec_b32 s22, s0
	s_cbranch_execz .LBB241_743
; %bb.738:                              ;   in Loop: Header=BB241_423 Depth=1
	v_bfe_u32 v55, v10, 16, 7
	v_mov_b32_e32 v51, 0x7c01
	s_mov_b32 s26, exec_lo
	v_cmpx_ne_u32_e32 0x7f, v55
	s_cbranch_execz .LBB241_742
; %bb.739:                              ;   in Loop: Header=BB241_423 Depth=1
	v_and_b32_e32 v51, 7, v1
	v_lshrrev_b32_e32 v54, 3, v55
	s_mov_b32 s27, exec_lo
	v_cmpx_gt_u32_e32 8, v55
; %bb.740:                              ;   in Loop: Header=BB241_423 Depth=1
	v_ffbh_u32_e32 v51, v51
	v_min_u32_e32 v51, 32, v51
	v_subrev_nc_u32_e32 v54, 28, v51
	v_lshlrev_b64 v[55:56], v54, v[1:2]
	v_sub_nc_u32_e32 v54, 29, v51
	v_and_b32_e32 v51, 7, v55
; %bb.741:                              ;   in Loop: Header=BB241_423 Depth=1
	s_or_b32 exec_lo, exec_lo, s27
	v_lshlrev_b32_e32 v1, 8, v1
	v_lshl_add_u32 v54, v54, 10, 0x2000
	v_lshlrev_b32_e32 v51, 7, v51
	v_and_b32_e32 v1, 0x8000, v1
	v_and_b32_e32 v54, 0xfc00, v54
	v_or3_b32 v51, v1, v54, v51
.LBB241_742:                            ;   in Loop: Header=BB241_423 Depth=1
	s_or_b32 exec_lo, exec_lo, s26
.LBB241_743:                            ;   in Loop: Header=BB241_423 Depth=1
	s_or_b32 exec_lo, exec_lo, s22
.LBB241_744:                            ;   in Loop: Header=BB241_423 Depth=1
	s_or_b32 exec_lo, exec_lo, s21
	v_cmp_lt_u64_e64 s0, s[2:3], v[9:10]
	v_mov_b32_e32 v9, 0
	s_and_saveexec_b32 s21, s0
	s_cbranch_execz .LBB241_752
; %bb.745:                              ;   in Loop: Header=BB241_423 Depth=1
	v_lshrrev_b32_e32 v1, 24, v10
	v_bfrev_b32_e32 v9, 1
	s_mov_b32 s22, exec_lo
	v_cmpx_ne_u32_e32 0x80, v1
	s_cbranch_execz .LBB241_751
; %bb.746:                              ;   in Loop: Header=BB241_423 Depth=1
	v_and_b32_e32 v54, 0x7f, v1
	v_mov_b32_e32 v9, 0x7c010000
	s_mov_b32 s26, exec_lo
	v_cmpx_ne_u32_e32 0x7f, v54
	s_cbranch_execz .LBB241_750
; %bb.747:                              ;   in Loop: Header=BB241_423 Depth=1
	v_and_b32_e32 v9, 7, v1
	v_lshrrev_b32_e32 v10, 3, v54
	s_mov_b32 s27, exec_lo
	v_cmpx_gt_u32_e32 8, v54
; %bb.748:                              ;   in Loop: Header=BB241_423 Depth=1
	v_ffbh_u32_e32 v9, v9
	v_min_u32_e32 v54, 32, v9
	v_subrev_nc_u32_e32 v9, 28, v54
	v_lshlrev_b64 v[9:10], v9, v[1:2]
	v_sub_nc_u32_e32 v10, 29, v54
	v_and_b32_e32 v9, 7, v9
; %bb.749:                              ;   in Loop: Header=BB241_423 Depth=1
	s_or_b32 exec_lo, exec_lo, s27
	v_lshlrev_b32_e32 v1, 8, v1
	v_lshl_add_u32 v10, v10, 10, 0x2000
	v_lshlrev_b32_e32 v9, 23, v9
	v_and_or_b32 v1, 0x8000, v1, v10
	v_lshl_or_b32 v9, v1, 16, v9
.LBB241_750:                            ;   in Loop: Header=BB241_423 Depth=1
	s_or_b32 exec_lo, exec_lo, s26
.LBB241_751:                            ;   in Loop: Header=BB241_423 Depth=1
	s_or_b32 exec_lo, exec_lo, s22
.LBB241_752:                            ;   in Loop: Header=BB241_423 Depth=1
	s_or_b32 exec_lo, exec_lo, s21
	v_or_b32_e32 v1, v49, v50
	s_waitcnt vmcnt(0)
	v_fma_mixlo_f16 v10, v46, v49, 0 op_sel:[0,1,0] op_sel_hi:[0,1,0]
	v_or_b32_e32 v49, v47, v48
	v_fma_mixlo_f16 v47, v46, v47, 0 op_sel:[0,1,0] op_sel_hi:[0,1,0]
	v_or_b32_e32 v50, v53, v52
	v_or_b32_e32 v51, v9, v51
	v_fma_mixlo_f16 v52, v46, v1, 0 op_sel_hi:[0,1,0]
	v_fma_mixlo_f16 v9, v46, v9, 0 op_sel:[0,1,0] op_sel_hi:[0,1,0]
	v_lshlrev_b32_e32 v48, 16, v47
	v_fma_mixlo_f16 v47, v46, v49, 0 op_sel_hi:[0,1,0]
	v_fma_mixlo_f16 v49, v46, v53, 0 op_sel:[0,1,0] op_sel_hi:[0,1,0]
	v_fma_mixlo_f16 v50, v46, v50, 0 op_sel_hi:[0,1,0]
	v_fma_mixlo_f16 v51, v46, v51, 0 op_sel_hi:[0,1,0]
	v_lshlrev_b32_e32 v1, 16, v10
	v_and_b32_e32 v10, 0xffff, v52
	v_and_b32_e32 v54, 0xffff, v47
	v_lshlrev_b32_e32 v46, 16, v49
	v_and_b32_e32 v50, 0xffff, v50
	v_lshlrev_b32_e32 v9, 16, v9
	v_and_b32_e32 v47, 0xffff, v51
	v_or_b32_e32 v49, v1, v10
	v_or_b32_e32 v53, v48, v54
	;; [unrolled: 1-line block ×4, first 2 shown]
	s_and_saveexec_b32 s21, vcc_lo
	s_cbranch_execz .LBB241_754
; %bb.753:                              ;   in Loop: Header=BB241_423 Depth=1
	v_cmp_gt_i32_e64 s0, s33, v12
	v_cndmask_b32_e64 v49, 0, v54, s0
	v_cmp_gt_i32_e64 s0, s33, v33
	v_cndmask_b32_e64 v48, 0, v48, s0
	v_cmp_gt_i32_e64 s0, s33, v32
	v_or_b32_e32 v53, v48, v49
	v_cndmask_b32_e64 v10, 0, v10, s0
	v_cmp_gt_i32_e64 s0, s33, v31
	v_cndmask_b32_e64 v1, 0, v1, s0
	v_cmp_gt_i32_e64 s0, s33, v30
	v_or_b32_e32 v49, v1, v10
	;; [unrolled: 5-line block ×3, first 2 shown]
	v_cndmask_b32_e64 v47, 0, v47, s0
	v_cmp_gt_i32_e64 s0, s33, v27
	v_cndmask_b32_e64 v9, 0, v9, s0
	v_or_b32_e32 v51, v9, v47
.LBB241_754:                            ;   in Loop: Header=BB241_423 Depth=1
	s_or_b32 exec_lo, exec_lo, s21
	;;#ASMSTART
	v_pk_mul_f16 v1, v39, v53;

	;;#ASMEND
	;;#ASMSTART
	v_pk_mul_f16 v9, v38, v49;

	;;#ASMEND
	;; [unrolled: 4-line block ×4, first 2 shown]
	;;#ASMSTART
	v_pk_add_f16 v1, v1, v9;

	;;#ASMEND
	;;#ASMSTART
	v_pk_add_f16 v1, v1, v10;

	;;#ASMEND
	;; [unrolled: 4-line block ×3, first 2 shown]
	v_and_b32_e32 v9, 0xffff, v1
	v_lshrrev_b32_e32 v1, 16, v1
	;;#ASMSTART
	v_cvt_f32_f16 v9, v9;
	;;#ASMEND
	;;#ASMSTART
	v_cvt_f32_f16 v10, v1;
	;;#ASMEND
	global_load_dwordx2 v[7:8], v[7:8], off offset:1280
	v_mov_b32_e32 v47, 0
	v_mov_b32_e32 v48, 0
	global_load_dword v46, v47, s[14:15]
	s_waitcnt vmcnt(1)
	v_cmp_ne_u16_sdwa s0, v7, v2 src0_sel:BYTE_0 src1_sel:DWORD
	s_and_saveexec_b32 s21, s0
	s_cbranch_execz .LBB241_762
; %bb.755:                              ;   in Loop: Header=BB241_423 Depth=1
	v_cmp_ne_u16_sdwa s0, v7, v21 src0_sel:BYTE_0 src1_sel:DWORD
	v_mov_b32_e32 v48, 0x8000
	s_and_saveexec_b32 s22, s0
	s_cbranch_execz .LBB241_761
; %bb.756:                              ;   in Loop: Header=BB241_423 Depth=1
	v_and_b32_e32 v49, 0x7f, v7
	v_mov_b32_e32 v48, 0x7c01
	s_mov_b32 s26, exec_lo
	v_cmpx_ne_u32_e32 0x7f, v49
	s_cbranch_execz .LBB241_760
; %bb.757:                              ;   in Loop: Header=BB241_423 Depth=1
	v_and_b32_e32 v1, 7, v7
	v_lshrrev_b32_e32 v48, 3, v49
	s_mov_b32 s27, exec_lo
	v_cmpx_gt_u32_e32 8, v49
; %bb.758:                              ;   in Loop: Header=BB241_423 Depth=1
	v_ffbh_u32_e32 v1, v1
	v_min_u32_e32 v1, 32, v1
	v_subrev_nc_u32_e32 v48, 28, v1
	v_lshlrev_b64 v[49:50], v48, v[7:8]
	v_sub_nc_u32_e32 v48, 29, v1
	v_and_b32_e32 v1, 7, v49
; %bb.759:                              ;   in Loop: Header=BB241_423 Depth=1
	s_or_b32 exec_lo, exec_lo, s27
	v_lshlrev_b32_e32 v49, 8, v7
	v_lshl_add_u32 v48, v48, 10, 0x2000
	v_lshlrev_b32_e32 v1, 7, v1
	v_and_b32_e32 v49, 0x8000, v49
	v_and_b32_e32 v48, 0xfc00, v48
	v_or3_b32 v48, v49, v48, v1
.LBB241_760:                            ;   in Loop: Header=BB241_423 Depth=1
	s_or_b32 exec_lo, exec_lo, s26
.LBB241_761:                            ;   in Loop: Header=BB241_423 Depth=1
	s_or_b32 exec_lo, exec_lo, s22
.LBB241_762:                            ;   in Loop: Header=BB241_423 Depth=1
	s_or_b32 exec_lo, exec_lo, s21
	v_lshrrev_b16 v1, 8, v7
	s_mov_b32 s21, exec_lo
	v_cmpx_ne_u16_e32 0, v1
	s_cbranch_execz .LBB241_770
; %bb.763:                              ;   in Loop: Header=BB241_423 Depth=1
	v_bfrev_b32_e32 v47, 1
	s_mov_b32 s22, exec_lo
	v_cmpx_ne_u16_e32 0x80, v1
	s_cbranch_execz .LBB241_769
; %bb.764:                              ;   in Loop: Header=BB241_423 Depth=1
	v_and_b32_sdwa v50, v1, v22 dst_sel:DWORD dst_unused:UNUSED_PAD src0_sel:WORD_0 src1_sel:DWORD
	v_mov_b32_e32 v47, 0x7c010000
	s_mov_b32 s26, exec_lo
	v_cmpx_ne_u32_e32 0x7f, v50
	s_cbranch_execz .LBB241_768
; %bb.765:                              ;   in Loop: Header=BB241_423 Depth=1
	v_and_b32_sdwa v47, v1, v23 dst_sel:DWORD dst_unused:UNUSED_PAD src0_sel:WORD_0 src1_sel:DWORD
	v_lshrrev_b32_e32 v49, 3, v50
	s_mov_b32 s27, exec_lo
	v_cmpx_gt_u32_e32 8, v50
; %bb.766:                              ;   in Loop: Header=BB241_423 Depth=1
	v_ffbh_u32_e32 v47, v47
	v_min_u32_e32 v47, 32, v47
	v_subrev_nc_u32_e32 v49, 28, v47
	v_lshlrev_b64 v[50:51], v49, v[1:2]
	v_sub_nc_u32_e32 v49, 29, v47
	v_and_b32_e32 v47, 7, v50
; %bb.767:                              ;   in Loop: Header=BB241_423 Depth=1
	s_or_b32 exec_lo, exec_lo, s27
	v_lshlrev_b32_sdwa v1, v24, v1 dst_sel:DWORD dst_unused:UNUSED_PAD src0_sel:DWORD src1_sel:WORD_0
	v_lshl_add_u32 v49, v49, 10, 0x2000
	v_lshlrev_b32_e32 v47, 23, v47
	v_and_or_b32 v1, 0x8000, v1, v49
	v_lshl_or_b32 v47, v1, 16, v47
.LBB241_768:                            ;   in Loop: Header=BB241_423 Depth=1
	s_or_b32 exec_lo, exec_lo, s26
.LBB241_769:                            ;   in Loop: Header=BB241_423 Depth=1
	s_or_b32 exec_lo, exec_lo, s22
.LBB241_770:                            ;   in Loop: Header=BB241_423 Depth=1
	s_or_b32 exec_lo, exec_lo, s21
	v_lshrrev_b32_e32 v1, 16, v7
	v_mov_b32_e32 v49, 0
	v_mov_b32_e32 v50, 0
	v_cmp_ne_u16_sdwa s0, v1, v2 src0_sel:BYTE_0 src1_sel:DWORD
	s_and_saveexec_b32 s21, s0
	s_cbranch_execz .LBB241_778
; %bb.771:                              ;   in Loop: Header=BB241_423 Depth=1
	v_cmp_ne_u16_sdwa s0, v1, v21 src0_sel:BYTE_0 src1_sel:DWORD
	v_mov_b32_e32 v50, 0x8000
	s_and_saveexec_b32 s22, s0
	s_cbranch_execz .LBB241_777
; %bb.772:                              ;   in Loop: Header=BB241_423 Depth=1
	v_bfe_u32 v52, v7, 16, 7
	v_mov_b32_e32 v50, 0x7c01
	s_mov_b32 s26, exec_lo
	v_cmpx_ne_u32_e32 0x7f, v52
	s_cbranch_execz .LBB241_776
; %bb.773:                              ;   in Loop: Header=BB241_423 Depth=1
	v_and_b32_e32 v50, 7, v1
	v_lshrrev_b32_e32 v51, 3, v52
	s_mov_b32 s27, exec_lo
	v_cmpx_gt_u32_e32 8, v52
; %bb.774:                              ;   in Loop: Header=BB241_423 Depth=1
	v_ffbh_u32_e32 v50, v50
	v_min_u32_e32 v52, 32, v50
	v_subrev_nc_u32_e32 v50, 28, v52
	v_lshlrev_b64 v[50:51], v50, v[1:2]
	v_sub_nc_u32_e32 v51, 29, v52
	v_and_b32_e32 v50, 7, v50
; %bb.775:                              ;   in Loop: Header=BB241_423 Depth=1
	s_or_b32 exec_lo, exec_lo, s27
	v_lshlrev_b32_e32 v1, 8, v1
	v_lshl_add_u32 v51, v51, 10, 0x2000
	v_lshlrev_b32_e32 v50, 7, v50
	v_and_b32_e32 v1, 0x8000, v1
	v_and_b32_e32 v51, 0xfc00, v51
	v_or3_b32 v50, v1, v51, v50
.LBB241_776:                            ;   in Loop: Header=BB241_423 Depth=1
	s_or_b32 exec_lo, exec_lo, s26
.LBB241_777:                            ;   in Loop: Header=BB241_423 Depth=1
	s_or_b32 exec_lo, exec_lo, s22
.LBB241_778:                            ;   in Loop: Header=BB241_423 Depth=1
	s_or_b32 exec_lo, exec_lo, s21
	s_mov_b32 s21, exec_lo
	v_cmpx_lt_u32_e32 0xffffff, v7
	s_cbranch_execz .LBB241_786
; %bb.779:                              ;   in Loop: Header=BB241_423 Depth=1
	v_lshrrev_b32_e32 v1, 24, v7
	v_bfrev_b32_e32 v49, 1
	s_mov_b32 s22, exec_lo
	v_cmpx_ne_u32_e32 0x80, v1
	s_cbranch_execz .LBB241_785
; %bb.780:                              ;   in Loop: Header=BB241_423 Depth=1
	v_and_b32_e32 v52, 0x7f, v1
	v_mov_b32_e32 v49, 0x7c010000
	s_mov_b32 s26, exec_lo
	v_cmpx_ne_u32_e32 0x7f, v52
	s_cbranch_execz .LBB241_784
; %bb.781:                              ;   in Loop: Header=BB241_423 Depth=1
	v_and_b32_e32 v49, 7, v1
	v_lshrrev_b32_e32 v51, 3, v52
	s_mov_b32 s27, exec_lo
	v_cmpx_gt_u32_e32 8, v52
; %bb.782:                              ;   in Loop: Header=BB241_423 Depth=1
	v_ffbh_u32_e32 v49, v49
	v_min_u32_e32 v49, 32, v49
	v_subrev_nc_u32_e32 v51, 28, v49
	v_lshlrev_b64 v[52:53], v51, v[1:2]
	v_sub_nc_u32_e32 v51, 29, v49
	v_and_b32_e32 v49, 7, v52
; %bb.783:                              ;   in Loop: Header=BB241_423 Depth=1
	s_or_b32 exec_lo, exec_lo, s27
	v_lshlrev_b32_e32 v1, 8, v1
	v_lshl_add_u32 v51, v51, 10, 0x2000
	v_lshlrev_b32_e32 v49, 23, v49
	v_and_or_b32 v1, 0x8000, v1, v51
	v_lshl_or_b32 v49, v1, 16, v49
.LBB241_784:                            ;   in Loop: Header=BB241_423 Depth=1
	s_or_b32 exec_lo, exec_lo, s26
.LBB241_785:                            ;   in Loop: Header=BB241_423 Depth=1
	s_or_b32 exec_lo, exec_lo, s22
.LBB241_786:                            ;   in Loop: Header=BB241_423 Depth=1
	s_or_b32 exec_lo, exec_lo, s21
	v_mov_b32_e32 v1, v8
	v_cmp_ne_u16_sdwa s0, v8, v2 src0_sel:BYTE_0 src1_sel:DWORD
	v_mov_b32_e32 v51, 0
	v_mov_b32_e32 v52, 0
	s_and_saveexec_b32 s21, s0
	s_cbranch_execz .LBB241_794
; %bb.787:                              ;   in Loop: Header=BB241_423 Depth=1
	v_cmp_ne_u16_sdwa s0, v8, v21 src0_sel:BYTE_0 src1_sel:DWORD
	v_mov_b32_e32 v52, 0x8000
	s_and_saveexec_b32 s22, s0
	s_cbranch_execz .LBB241_793
; %bb.788:                              ;   in Loop: Header=BB241_423 Depth=1
	v_and_b32_e32 v54, 0x7f, v8
	v_mov_b32_e32 v52, 0x7c01
	s_mov_b32 s26, exec_lo
	v_cmpx_ne_u32_e32 0x7f, v54
	s_cbranch_execz .LBB241_792
; %bb.789:                              ;   in Loop: Header=BB241_423 Depth=1
	v_and_b32_e32 v52, 7, v8
	v_lshrrev_b32_e32 v53, 3, v54
	s_mov_b32 s27, exec_lo
	v_cmpx_gt_u32_e32 8, v54
; %bb.790:                              ;   in Loop: Header=BB241_423 Depth=1
	v_ffbh_u32_e32 v52, v52
	v_min_u32_e32 v54, 32, v52
	v_subrev_nc_u32_e32 v52, 28, v54
	v_lshlrev_b64 v[52:53], v52, v[1:2]
	v_sub_nc_u32_e32 v53, 29, v54
	v_and_b32_e32 v52, 7, v52
; %bb.791:                              ;   in Loop: Header=BB241_423 Depth=1
	s_or_b32 exec_lo, exec_lo, s27
	v_lshlrev_b32_e32 v54, 8, v8
	v_lshl_add_u32 v53, v53, 10, 0x2000
	v_lshlrev_b32_e32 v52, 7, v52
	v_and_b32_e32 v54, 0x8000, v54
	v_and_b32_e32 v53, 0xfc00, v53
	v_or3_b32 v52, v54, v53, v52
.LBB241_792:                            ;   in Loop: Header=BB241_423 Depth=1
	s_or_b32 exec_lo, exec_lo, s26
.LBB241_793:                            ;   in Loop: Header=BB241_423 Depth=1
	s_or_b32 exec_lo, exec_lo, s22
.LBB241_794:                            ;   in Loop: Header=BB241_423 Depth=1
	s_or_b32 exec_lo, exec_lo, s21
	v_lshrrev_b16 v1, 8, v1
	v_mov_b32_e32 v53, 0
	s_mov_b32 s21, exec_lo
	v_cmpx_ne_u16_e32 0, v1
	s_cbranch_execz .LBB241_802
; %bb.795:                              ;   in Loop: Header=BB241_423 Depth=1
	v_bfrev_b32_e32 v53, 1
	s_mov_b32 s22, exec_lo
	v_cmpx_ne_u16_e32 0x80, v1
	s_cbranch_execz .LBB241_801
; %bb.796:                              ;   in Loop: Header=BB241_423 Depth=1
	v_and_b32_sdwa v55, v1, v22 dst_sel:DWORD dst_unused:UNUSED_PAD src0_sel:WORD_0 src1_sel:DWORD
	v_mov_b32_e32 v53, 0x7c010000
	s_mov_b32 s26, exec_lo
	v_cmpx_ne_u32_e32 0x7f, v55
	s_cbranch_execz .LBB241_800
; %bb.797:                              ;   in Loop: Header=BB241_423 Depth=1
	v_and_b32_sdwa v53, v1, v23 dst_sel:DWORD dst_unused:UNUSED_PAD src0_sel:WORD_0 src1_sel:DWORD
	v_lshrrev_b32_e32 v54, 3, v55
	s_mov_b32 s27, exec_lo
	v_cmpx_gt_u32_e32 8, v55
; %bb.798:                              ;   in Loop: Header=BB241_423 Depth=1
	v_ffbh_u32_e32 v53, v53
	v_min_u32_e32 v55, 32, v53
	v_subrev_nc_u32_e32 v53, 28, v55
	v_lshlrev_b64 v[53:54], v53, v[1:2]
	v_sub_nc_u32_e32 v54, 29, v55
	v_and_b32_e32 v53, 7, v53
; %bb.799:                              ;   in Loop: Header=BB241_423 Depth=1
	s_or_b32 exec_lo, exec_lo, s27
	v_lshlrev_b32_sdwa v1, v24, v1 dst_sel:DWORD dst_unused:UNUSED_PAD src0_sel:DWORD src1_sel:WORD_0
	v_lshl_add_u32 v54, v54, 10, 0x2000
	v_lshlrev_b32_e32 v53, 23, v53
	v_and_or_b32 v1, 0x8000, v1, v54
	v_lshl_or_b32 v53, v1, 16, v53
.LBB241_800:                            ;   in Loop: Header=BB241_423 Depth=1
	s_or_b32 exec_lo, exec_lo, s26
.LBB241_801:                            ;   in Loop: Header=BB241_423 Depth=1
	s_or_b32 exec_lo, exec_lo, s22
.LBB241_802:                            ;   in Loop: Header=BB241_423 Depth=1
	s_or_b32 exec_lo, exec_lo, s21
	v_lshrrev_b32_e32 v1, 16, v8
	v_cmp_ne_u16_sdwa s0, v1, v2 src0_sel:BYTE_0 src1_sel:DWORD
	s_and_saveexec_b32 s21, s0
	s_cbranch_execz .LBB241_810
; %bb.803:                              ;   in Loop: Header=BB241_423 Depth=1
	v_cmp_ne_u16_sdwa s0, v1, v21 src0_sel:BYTE_0 src1_sel:DWORD
	v_mov_b32_e32 v51, 0x8000
	s_and_saveexec_b32 s22, s0
	s_cbranch_execz .LBB241_809
; %bb.804:                              ;   in Loop: Header=BB241_423 Depth=1
	v_bfe_u32 v55, v8, 16, 7
	v_mov_b32_e32 v51, 0x7c01
	s_mov_b32 s26, exec_lo
	v_cmpx_ne_u32_e32 0x7f, v55
	s_cbranch_execz .LBB241_808
; %bb.805:                              ;   in Loop: Header=BB241_423 Depth=1
	v_and_b32_e32 v51, 7, v1
	v_lshrrev_b32_e32 v54, 3, v55
	s_mov_b32 s27, exec_lo
	v_cmpx_gt_u32_e32 8, v55
; %bb.806:                              ;   in Loop: Header=BB241_423 Depth=1
	v_ffbh_u32_e32 v51, v51
	v_min_u32_e32 v51, 32, v51
	v_subrev_nc_u32_e32 v54, 28, v51
	v_lshlrev_b64 v[55:56], v54, v[1:2]
	v_sub_nc_u32_e32 v54, 29, v51
	v_and_b32_e32 v51, 7, v55
; %bb.807:                              ;   in Loop: Header=BB241_423 Depth=1
	s_or_b32 exec_lo, exec_lo, s27
	v_lshlrev_b32_e32 v1, 8, v1
	v_lshl_add_u32 v54, v54, 10, 0x2000
	v_lshlrev_b32_e32 v51, 7, v51
	v_and_b32_e32 v1, 0x8000, v1
	v_and_b32_e32 v54, 0xfc00, v54
	v_or3_b32 v51, v1, v54, v51
.LBB241_808:                            ;   in Loop: Header=BB241_423 Depth=1
	s_or_b32 exec_lo, exec_lo, s26
.LBB241_809:                            ;   in Loop: Header=BB241_423 Depth=1
	s_or_b32 exec_lo, exec_lo, s22
.LBB241_810:                            ;   in Loop: Header=BB241_423 Depth=1
	s_or_b32 exec_lo, exec_lo, s21
	v_cmp_lt_u64_e64 s0, s[2:3], v[7:8]
	v_mov_b32_e32 v7, 0
	s_and_saveexec_b32 s21, s0
	s_cbranch_execz .LBB241_818
; %bb.811:                              ;   in Loop: Header=BB241_423 Depth=1
	v_lshrrev_b32_e32 v1, 24, v8
	v_bfrev_b32_e32 v7, 1
	s_mov_b32 s22, exec_lo
	v_cmpx_ne_u32_e32 0x80, v1
	s_cbranch_execz .LBB241_817
; %bb.812:                              ;   in Loop: Header=BB241_423 Depth=1
	v_and_b32_e32 v54, 0x7f, v1
	v_mov_b32_e32 v7, 0x7c010000
	s_mov_b32 s26, exec_lo
	v_cmpx_ne_u32_e32 0x7f, v54
	s_cbranch_execz .LBB241_816
; %bb.813:                              ;   in Loop: Header=BB241_423 Depth=1
	v_and_b32_e32 v7, 7, v1
	v_lshrrev_b32_e32 v8, 3, v54
	s_mov_b32 s27, exec_lo
	v_cmpx_gt_u32_e32 8, v54
; %bb.814:                              ;   in Loop: Header=BB241_423 Depth=1
	v_ffbh_u32_e32 v7, v7
	v_min_u32_e32 v54, 32, v7
	v_subrev_nc_u32_e32 v7, 28, v54
	v_lshlrev_b64 v[7:8], v7, v[1:2]
	v_sub_nc_u32_e32 v8, 29, v54
	v_and_b32_e32 v7, 7, v7
; %bb.815:                              ;   in Loop: Header=BB241_423 Depth=1
	s_or_b32 exec_lo, exec_lo, s27
	v_lshlrev_b32_e32 v1, 8, v1
	v_lshl_add_u32 v8, v8, 10, 0x2000
	v_lshlrev_b32_e32 v7, 23, v7
	v_and_or_b32 v1, 0x8000, v1, v8
	v_lshl_or_b32 v7, v1, 16, v7
.LBB241_816:                            ;   in Loop: Header=BB241_423 Depth=1
	s_or_b32 exec_lo, exec_lo, s26
.LBB241_817:                            ;   in Loop: Header=BB241_423 Depth=1
	s_or_b32 exec_lo, exec_lo, s22
.LBB241_818:                            ;   in Loop: Header=BB241_423 Depth=1
	s_or_b32 exec_lo, exec_lo, s21
	v_or_b32_e32 v1, v49, v50
	s_waitcnt vmcnt(0)
	v_fma_mixlo_f16 v8, v46, v49, 0 op_sel:[0,1,0] op_sel_hi:[0,1,0]
	v_or_b32_e32 v48, v47, v48
	v_fma_mixlo_f16 v49, v46, v47, 0 op_sel:[0,1,0] op_sel_hi:[0,1,0]
	v_or_b32_e32 v50, v53, v52
	v_fma_mixlo_f16 v1, v46, v1, 0 op_sel_hi:[0,1,0]
	v_or_b32_e32 v51, v7, v51
	v_lshlrev_b32_e32 v47, 16, v8
	v_lshlrev_b32_e32 v52, 16, v49
	v_fma_mixlo_f16 v8, v46, v48, 0 op_sel_hi:[0,1,0]
	v_and_b32_e32 v49, 0xffff, v1
	v_fma_mixlo_f16 v1, v46, v53, 0 op_sel:[0,1,0] op_sel_hi:[0,1,0]
	v_fma_mixlo_f16 v48, v46, v50, 0 op_sel_hi:[0,1,0]
	v_fma_mixlo_f16 v7, v46, v7, 0 op_sel:[0,1,0] op_sel_hi:[0,1,0]
	v_fma_mixlo_f16 v46, v46, v51, 0 op_sel_hi:[0,1,0]
	v_and_b32_e32 v54, 0xffff, v8
	v_lshlrev_b32_e32 v50, 16, v1
	v_and_b32_e32 v53, 0xffff, v48
	v_lshlrev_b32_e32 v48, 16, v7
	v_and_b32_e32 v51, 0xffff, v46
	v_or_b32_e32 v8, v47, v49
	v_or_b32_e32 v46, v52, v54
	;; [unrolled: 1-line block ×4, first 2 shown]
	s_and_saveexec_b32 s0, vcc_lo
	s_cbranch_execz .LBB241_421
; %bb.819:                              ;   in Loop: Header=BB241_423 Depth=1
	v_cmp_gt_i32_e32 vcc_lo, s33, v12
	v_cndmask_b32_e32 v1, 0, v54, vcc_lo
	v_cmp_gt_i32_e32 vcc_lo, s33, v33
	v_cndmask_b32_e32 v7, 0, v52, vcc_lo
	v_cmp_gt_i32_e32 vcc_lo, s33, v32
	v_or_b32_e32 v46, v7, v1
	v_cndmask_b32_e32 v8, 0, v49, vcc_lo
	v_cmp_gt_i32_e32 vcc_lo, s33, v31
	v_cndmask_b32_e32 v31, 0, v47, vcc_lo
	v_cmp_gt_i32_e32 vcc_lo, s33, v30
	v_or_b32_e32 v8, v31, v8
	;; [unrolled: 5-line block ×3, first 2 shown]
	v_cndmask_b32_e32 v28, 0, v51, vcc_lo
	v_cmp_gt_i32_e32 vcc_lo, s33, v27
	v_cndmask_b32_e32 v27, 0, v48, vcc_lo
	v_or_b32_e32 v1, v27, v28
	s_branch .LBB241_421
.LBB241_820:
	s_or_b32 exec_lo, exec_lo, s17
.LBB241_821:
	s_or_b32 exec_lo, exec_lo, s1
	v_lshl_add_u32 v2, v13, 2, 0x1a0
	v_and_b32_e32 v3, 0x3c0, v0
	s_mov_b32 s0, exec_lo
	s_barrier
	v_mad_u32_u24 v1, 0x300, v11, v2
	buffer_gl0_inv
	v_cmpx_eq_u32_e32 64, v3
	s_cbranch_execz .LBB241_823
; %bb.822:
	v_add_nc_u32_e32 v3, 0xfffffa00, v1
	v_add_nc_u32_e32 v4, 0xfffffa80, v1
	;; [unrolled: 1-line block ×5, first 2 shown]
	ds_write_b32 v3, v19
	v_add_nc_u32_e32 v3, 0xfffffc80, v1
	ds_write_b32 v4, v18
	ds_write_b32 v5, v17
	ds_write_b32 v6, v16
	ds_write_b32 v7, v15
	ds_write_b32 v3, v14
.LBB241_823:
	s_or_b32 exec_lo, exec_lo, s0
	s_mov_b32 s0, exec_lo
	s_waitcnt lgkmcnt(0)
	s_barrier
	buffer_gl0_inv
	v_cmpx_gt_u32_e32 64, v0
	s_cbranch_execz .LBB241_825
; %bb.824:
	ds_read2_b32 v[3:4], v1 offset1:32
	ds_read2_b32 v[5:6], v1 offset0:64 offset1:96
	ds_read2_b32 v[7:8], v1 offset0:128 offset1:160
	s_waitcnt lgkmcnt(2)
	v_add_f32_e32 v19, v19, v3
	v_add_f32_e32 v18, v18, v4
	s_waitcnt lgkmcnt(1)
	v_add_f32_e32 v17, v17, v5
	v_add_f32_e32 v16, v16, v6
	;; [unrolled: 3-line block ×3, first 2 shown]
.LBB241_825:
	s_or_b32 exec_lo, exec_lo, s0
	v_and_b32_e32 v3, 0x3e0, v0
	s_mov_b32 s0, exec_lo
	s_barrier
	buffer_gl0_inv
	v_cmpx_eq_u32_e32 32, v3
	s_cbranch_execz .LBB241_827
; %bb.826:
	ds_write2_b32 v2, v19, v18 offset1:32
	ds_write2_b32 v2, v17, v16 offset0:64 offset1:96
	ds_write2_b32 v2, v15, v14 offset0:128 offset1:160
.LBB241_827:
	s_or_b32 exec_lo, exec_lo, s0
	v_cmp_gt_u32_e32 vcc_lo, 32, v0
	s_waitcnt lgkmcnt(0)
	s_barrier
	buffer_gl0_inv
	s_and_saveexec_b32 s0, vcc_lo
	s_cbranch_execz .LBB241_829
; %bb.828:
	ds_read2_b32 v[2:3], v1 offset1:32
	ds_read2_b32 v[4:5], v1 offset0:64 offset1:96
	ds_read2_b32 v[6:7], v1 offset0:128 offset1:160
	s_waitcnt lgkmcnt(2)
	v_add_f32_e32 v19, v19, v2
	v_add_f32_e32 v18, v18, v3
	s_waitcnt lgkmcnt(1)
	v_add_f32_e32 v17, v17, v4
	v_add_f32_e32 v16, v16, v5
	;; [unrolled: 3-line block ×3, first 2 shown]
.LBB241_829:
	s_or_b32 exec_lo, exec_lo, s0
	s_barrier
	buffer_gl0_inv
	s_and_saveexec_b32 s0, vcc_lo
	s_cbranch_execz .LBB241_831
; %bb.830:
	s_mul_i32 s0, s10, s11
	s_mul_i32 s2, s11, s24
	;; [unrolled: 1-line block ×3, first 2 shown]
	v_lshlrev_b32_e32 v0, 1, v0
	s_mulk_i32 s0, 0xc0
	;;#ASMSTART
	v_cvt_f16_f32 v1, v19;

	;;#ASMEND
	s_ashr_i32 s1, s0, 31
	s_lshl_b64 s[0:1], s[0:1], 1
	s_add_u32 s4, s6, s0
	s_addc_u32 s5, s7, s1
	s_ashr_i32 s3, s2, 31
	s_lshl_b64 s[0:1], s[2:3], 1
	s_mul_i32 s2, s8, 0xc0
	s_add_u32 s4, s4, s0
	s_addc_u32 s5, s5, s1
	s_ashr_i32 s3, s2, 31
	s_lshl_b64 s[0:1], s[2:3], 1
	s_add_u32 s0, s4, s0
	s_addc_u32 s1, s5, s1
	global_store_short v0, v1, s[0:1]
	;;#ASMSTART
	v_cvt_f16_f32 v1, v18;

	;;#ASMEND
	global_store_short v0, v1, s[0:1] offset:64
	;;#ASMSTART
	v_cvt_f16_f32 v1, v17;

	;;#ASMEND
	global_store_short v0, v1, s[0:1] offset:128
	;;#ASMSTART
	v_cvt_f16_f32 v1, v16;

	;;#ASMEND
	global_store_short v0, v1, s[0:1] offset:192
	;;#ASMSTART
	v_cvt_f16_f32 v1, v15;

	;;#ASMEND
	global_store_short v0, v1, s[0:1] offset:256
	;;#ASMSTART
	v_cvt_f16_f32 v1, v14;

	;;#ASMEND
	global_store_short v0, v1, s[0:1] offset:320
.LBB241_831:
	s_endpgm
	.section	.rodata,"a",@progbits
	.p2align	6, 0x0
	.amdhsa_kernel _ZN4vllm25paged_attention_v1_kernelIthLi192ELi8ELi128ELNS_18Fp8KVCacheDataTypeE1ELb1EEEvPT_PKS2_PKT0_S8_ifPKiSA_iPKfiiiSC_SC_iiiii
		.amdhsa_group_segment_fixed_size 416
		.amdhsa_private_segment_fixed_size 0
		.amdhsa_kernarg_size 384
		.amdhsa_user_sgpr_count 6
		.amdhsa_user_sgpr_private_segment_buffer 1
		.amdhsa_user_sgpr_dispatch_ptr 0
		.amdhsa_user_sgpr_queue_ptr 0
		.amdhsa_user_sgpr_kernarg_segment_ptr 1
		.amdhsa_user_sgpr_dispatch_id 0
		.amdhsa_user_sgpr_flat_scratch_init 0
		.amdhsa_user_sgpr_private_segment_size 0
		.amdhsa_wavefront_size32 1
		.amdhsa_uses_dynamic_stack 0
		.amdhsa_system_sgpr_private_segment_wavefront_offset 0
		.amdhsa_system_sgpr_workgroup_id_x 1
		.amdhsa_system_sgpr_workgroup_id_y 1
		.amdhsa_system_sgpr_workgroup_id_z 1
		.amdhsa_system_sgpr_workgroup_info 0
		.amdhsa_system_vgpr_workitem_id 0
		.amdhsa_next_free_vgpr 112
		.amdhsa_next_free_sgpr 44
		.amdhsa_reserve_vcc 1
		.amdhsa_reserve_flat_scratch 0
		.amdhsa_float_round_mode_32 0
		.amdhsa_float_round_mode_16_64 0
		.amdhsa_float_denorm_mode_32 3
		.amdhsa_float_denorm_mode_16_64 3
		.amdhsa_dx10_clamp 1
		.amdhsa_ieee_mode 1
		.amdhsa_fp16_overflow 0
		.amdhsa_workgroup_processor_mode 1
		.amdhsa_memory_ordered 1
		.amdhsa_forward_progress 1
		.amdhsa_shared_vgpr_count 0
		.amdhsa_exception_fp_ieee_invalid_op 0
		.amdhsa_exception_fp_denorm_src 0
		.amdhsa_exception_fp_ieee_div_zero 0
		.amdhsa_exception_fp_ieee_overflow 0
		.amdhsa_exception_fp_ieee_underflow 0
		.amdhsa_exception_fp_ieee_inexact 0
		.amdhsa_exception_int_div_zero 0
	.end_amdhsa_kernel
	.section	.text._ZN4vllm25paged_attention_v1_kernelIthLi192ELi8ELi128ELNS_18Fp8KVCacheDataTypeE1ELb1EEEvPT_PKS2_PKT0_S8_ifPKiSA_iPKfiiiSC_SC_iiiii,"axG",@progbits,_ZN4vllm25paged_attention_v1_kernelIthLi192ELi8ELi128ELNS_18Fp8KVCacheDataTypeE1ELb1EEEvPT_PKS2_PKT0_S8_ifPKiSA_iPKfiiiSC_SC_iiiii,comdat
.Lfunc_end241:
	.size	_ZN4vllm25paged_attention_v1_kernelIthLi192ELi8ELi128ELNS_18Fp8KVCacheDataTypeE1ELb1EEEvPT_PKS2_PKT0_S8_ifPKiSA_iPKfiiiSC_SC_iiiii, .Lfunc_end241-_ZN4vllm25paged_attention_v1_kernelIthLi192ELi8ELi128ELNS_18Fp8KVCacheDataTypeE1ELb1EEEvPT_PKS2_PKT0_S8_ifPKiSA_iPKfiiiSC_SC_iiiii
                                        ; -- End function
	.set _ZN4vllm25paged_attention_v1_kernelIthLi192ELi8ELi128ELNS_18Fp8KVCacheDataTypeE1ELb1EEEvPT_PKS2_PKT0_S8_ifPKiSA_iPKfiiiSC_SC_iiiii.num_vgpr, 112
	.set _ZN4vllm25paged_attention_v1_kernelIthLi192ELi8ELi128ELNS_18Fp8KVCacheDataTypeE1ELb1EEEvPT_PKS2_PKT0_S8_ifPKiSA_iPKfiiiSC_SC_iiiii.num_agpr, 0
	.set _ZN4vllm25paged_attention_v1_kernelIthLi192ELi8ELi128ELNS_18Fp8KVCacheDataTypeE1ELb1EEEvPT_PKS2_PKT0_S8_ifPKiSA_iPKfiiiSC_SC_iiiii.numbered_sgpr, 44
	.set _ZN4vllm25paged_attention_v1_kernelIthLi192ELi8ELi128ELNS_18Fp8KVCacheDataTypeE1ELb1EEEvPT_PKS2_PKT0_S8_ifPKiSA_iPKfiiiSC_SC_iiiii.num_named_barrier, 0
	.set _ZN4vllm25paged_attention_v1_kernelIthLi192ELi8ELi128ELNS_18Fp8KVCacheDataTypeE1ELb1EEEvPT_PKS2_PKT0_S8_ifPKiSA_iPKfiiiSC_SC_iiiii.private_seg_size, 0
	.set _ZN4vllm25paged_attention_v1_kernelIthLi192ELi8ELi128ELNS_18Fp8KVCacheDataTypeE1ELb1EEEvPT_PKS2_PKT0_S8_ifPKiSA_iPKfiiiSC_SC_iiiii.uses_vcc, 1
	.set _ZN4vllm25paged_attention_v1_kernelIthLi192ELi8ELi128ELNS_18Fp8KVCacheDataTypeE1ELb1EEEvPT_PKS2_PKT0_S8_ifPKiSA_iPKfiiiSC_SC_iiiii.uses_flat_scratch, 0
	.set _ZN4vllm25paged_attention_v1_kernelIthLi192ELi8ELi128ELNS_18Fp8KVCacheDataTypeE1ELb1EEEvPT_PKS2_PKT0_S8_ifPKiSA_iPKfiiiSC_SC_iiiii.has_dyn_sized_stack, 0
	.set _ZN4vllm25paged_attention_v1_kernelIthLi192ELi8ELi128ELNS_18Fp8KVCacheDataTypeE1ELb1EEEvPT_PKS2_PKT0_S8_ifPKiSA_iPKfiiiSC_SC_iiiii.has_recursion, 0
	.set _ZN4vllm25paged_attention_v1_kernelIthLi192ELi8ELi128ELNS_18Fp8KVCacheDataTypeE1ELb1EEEvPT_PKS2_PKT0_S8_ifPKiSA_iPKfiiiSC_SC_iiiii.has_indirect_call, 0
	.section	.AMDGPU.csdata,"",@progbits
; Kernel info:
; codeLenInByte = 28372
; TotalNumSgprs: 46
; NumVgprs: 112
; ScratchSize: 0
; MemoryBound: 0
; FloatMode: 240
; IeeeMode: 1
; LDSByteSize: 416 bytes/workgroup (compile time only)
; SGPRBlocks: 0
; VGPRBlocks: 13
; NumSGPRsForWavesPerEU: 46
; NumVGPRsForWavesPerEU: 112
; Occupancy: 9
; WaveLimiterHint : 1
; COMPUTE_PGM_RSRC2:SCRATCH_EN: 0
; COMPUTE_PGM_RSRC2:USER_SGPR: 6
; COMPUTE_PGM_RSRC2:TRAP_HANDLER: 0
; COMPUTE_PGM_RSRC2:TGID_X_EN: 1
; COMPUTE_PGM_RSRC2:TGID_Y_EN: 1
; COMPUTE_PGM_RSRC2:TGID_Z_EN: 1
; COMPUTE_PGM_RSRC2:TIDIG_COMP_CNT: 0
	.section	.text._ZN4vllm25paged_attention_v1_kernelIthLi256ELi8ELi128ELNS_18Fp8KVCacheDataTypeE1ELb1EEEvPT_PKS2_PKT0_S8_ifPKiSA_iPKfiiiSC_SC_iiiii,"axG",@progbits,_ZN4vllm25paged_attention_v1_kernelIthLi256ELi8ELi128ELNS_18Fp8KVCacheDataTypeE1ELb1EEEvPT_PKS2_PKT0_S8_ifPKiSA_iPKfiiiSC_SC_iiiii,comdat
	.protected	_ZN4vllm25paged_attention_v1_kernelIthLi256ELi8ELi128ELNS_18Fp8KVCacheDataTypeE1ELb1EEEvPT_PKS2_PKT0_S8_ifPKiSA_iPKfiiiSC_SC_iiiii ; -- Begin function _ZN4vllm25paged_attention_v1_kernelIthLi256ELi8ELi128ELNS_18Fp8KVCacheDataTypeE1ELb1EEEvPT_PKS2_PKT0_S8_ifPKiSA_iPKfiiiSC_SC_iiiii
	.globl	_ZN4vllm25paged_attention_v1_kernelIthLi256ELi8ELi128ELNS_18Fp8KVCacheDataTypeE1ELb1EEEvPT_PKS2_PKT0_S8_ifPKiSA_iPKfiiiSC_SC_iiiii
	.p2align	8
	.type	_ZN4vllm25paged_attention_v1_kernelIthLi256ELi8ELi128ELNS_18Fp8KVCacheDataTypeE1ELb1EEEvPT_PKS2_PKT0_S8_ifPKiSA_iPKfiiiSC_SC_iiiii,@function
_ZN4vllm25paged_attention_v1_kernelIthLi256ELi8ELi128ELNS_18Fp8KVCacheDataTypeE1ELb1EEEvPT_PKS2_PKT0_S8_ifPKiSA_iPKfiiiSC_SC_iiiii: ; @_ZN4vllm25paged_attention_v1_kernelIthLi256ELi8ELi128ELNS_18Fp8KVCacheDataTypeE1ELb1EEEvPT_PKS2_PKT0_S8_ifPKiSA_iPKfiiiSC_SC_iiiii
; %bb.0:
	s_clause 0x2
	s_load_dword s9, s[4:5], 0x80
	s_load_dwordx2 s[0:1], s[4:5], 0x30
	s_load_dwordx2 s[34:35], s[4:5], 0x20
	s_mov_b32 s10, s7
	s_ashr_i32 s11, s7, 31
	s_mov_b32 s36, 0
	s_lshl_b64 s[2:3], s[10:11], 2
	s_waitcnt lgkmcnt(0)
	s_add_u32 s0, s0, s2
	s_addc_u32 s1, s1, s3
	s_abs_i32 s2, s34
	s_abs_i32 s11, s9
	v_cvt_f32_u32_e32 v1, s2
	s_sub_i32 s7, 0, s2
	v_rcp_iflag_f32_e32 v1, v1
	v_mul_f32_e32 v1, 0x4f7ffffe, v1
	v_cvt_u32_f32_e32 v1, v1
	v_readfirstlane_b32 s3, v1
	s_mul_i32 s7, s7, s3
	s_mul_hi_u32 s7, s3, s7
	s_add_i32 s3, s3, s7
	s_xor_b32 s7, s9, s34
	s_mul_hi_u32 s3, s11, s3
	s_ashr_i32 s7, s7, 31
	s_mul_i32 s12, s3, s2
	s_sub_i32 s11, s11, s12
	s_add_i32 s12, s3, 1
	s_sub_i32 s13, s11, s2
	s_cmp_ge_u32 s11, s2
	s_cselect_b32 s3, s12, s3
	s_cselect_b32 s11, s13, s11
	s_add_i32 s12, s3, 1
	s_cmp_ge_u32 s11, s2
	s_cselect_b32 s2, s12, s3
	s_xor_b32 s2, s2, s7
	s_sub_i32 s14, s2, s7
	s_load_dwordx2 s[2:3], s[4:5], 0x40
	s_abs_i32 s11, s14
	v_cvt_f32_u32_e32 v1, s11
	s_sub_i32 s12, 0, s11
	v_rcp_iflag_f32_e32 v1, v1
	v_mul_f32_e32 v1, 0x4f7ffffe, v1
	v_cvt_u32_f32_e32 v1, v1
	v_readfirstlane_b32 s7, v1
	s_mul_i32 s12, s12, s7
	s_mul_hi_u32 s13, s7, s12
	s_abs_i32 s12, s6
	s_add_i32 s7, s7, s13
	s_waitcnt lgkmcnt(0)
	s_cmp_eq_u64 s[2:3], 0
	s_mul_hi_u32 s13, s12, s7
	s_cbranch_scc1 .LBB242_2
; %bb.1:
	s_ashr_i32 s7, s6, 31
	s_lshl_b64 s[16:17], s[6:7], 2
	s_add_u32 s2, s2, s16
	s_addc_u32 s3, s3, s17
	s_load_dword s36, s[2:3], 0x0
.LBB242_2:
	s_load_dword s33, s[0:1], 0x0
	s_load_dwordx4 s[16:19], s[4:5], 0x48
	v_and_b32_e32 v1, 3, v0
	s_ashr_i32 s0, s6, 31
	s_ashr_i32 s1, s14, 31
	s_lshl_b32 s24, s6, 8
	s_mov_b32 s2, exec_lo
	v_cmpx_gt_u32_e32 0x80, v0
	s_cbranch_execz .LBB242_4
; %bb.3:
	s_load_dwordx2 s[14:15], s[4:5], 0x8
	s_waitcnt lgkmcnt(0)
	s_mul_i32 s20, s16, s10
	v_lshlrev_b32_e32 v2, 2, v0
	s_ashr_i32 s21, s20, 31
	v_and_b32_e32 v3, 0x3fc, v0
	s_lshl_b64 s[20:21], s[20:21], 1
	v_lshl_add_u32 v3, v1, 7, v3
	s_add_u32 s3, s14, s20
	s_addc_u32 s7, s15, s21
	s_ashr_i32 s25, s24, 31
	s_lshl_b64 s[14:15], s[24:25], 1
	s_add_u32 s14, s3, s14
	s_addc_u32 s15, s7, s15
	global_load_dword v2, v2, s[14:15]
	s_waitcnt vmcnt(0)
	ds_write_b32 v3, v2
.LBB242_4:
	s_or_b32 exec_lo, exec_lo, s2
	s_load_dwordx4 s[20:23], s[4:5], 0x68
	s_mul_i32 s2, s13, s11
	s_xor_b32 s1, s0, s1
	s_sub_i32 s0, s12, s2
	s_add_i32 s2, s13, 1
	s_sub_i32 s3, s0, s11
	s_cmp_ge_u32 s0, s11
	s_mov_b32 s12, -1
	s_cselect_b32 s2, s2, s13
	s_cselect_b32 s0, s3, s0
	s_add_i32 s3, s2, 1
	s_cmp_ge_u32 s0, s11
	s_load_dword s0, s[4:5], 0x78
	s_cselect_b32 s2, s3, s2
	s_waitcnt lgkmcnt(0)
	s_add_i32 s7, s33, -1
	s_xor_b32 s2, s2, s1
	s_abs_i32 s3, s7
	s_sub_i32 s1, s2, s1
	s_barrier
	s_abs_i32 s16, s23
	buffer_gl0_inv
	v_cvt_f32_u32_e32 v2, s16
	s_sub_i32 s2, 0, s16
                                        ; implicit-def: $sgpr25
	v_rcp_iflag_f32_e32 v2, v2
	v_mul_f32_e32 v2, 0x4f7ffffe, v2
	v_cvt_u32_f32_e32 v2, v2
	v_readfirstlane_b32 s19, v2
	s_mul_i32 s2, s2, s19
	s_mul_hi_u32 s2, s19, s2
	s_add_i32 s19, s19, s2
	s_cmp_lt_i32 s0, 0
	s_mul_hi_u32 s2, s3, s19
	s_cbranch_scc0 .LBB242_6
; %bb.5:
	s_mul_i32 s11, s20, s34
	s_mov_b32 s12, 0
	s_add_i32 s11, s1, s11
	s_mul_i32 s11, s11, s0
	s_sub_i32 s25, 1, s11
.LBB242_6:
	s_load_dwordx2 s[26:27], s[4:5], 0x28
	s_ashr_i32 s11, s7, 31
	s_andn2_b32 vcc_lo, exec_lo, s12
	s_ashr_i32 s23, s23, 31
	s_cbranch_vccnz .LBB242_8
; %bb.7:
	s_mul_i32 s7, s9, s20
	s_add_i32 s6, s7, s6
	s_mul_i32 s0, s6, s0
	s_add_i32 s25, s0, 1
.LBB242_8:
	s_clause 0x2
	s_load_dword s0, s[4:5], 0x38
	s_load_dwordx2 s[6:7], s[4:5], 0x0
	s_load_dwordx2 s[30:31], s[4:5], 0x18
	s_xor_b32 s34, s11, s23
	s_mul_i32 s11, s2, s16
	s_add_i32 s20, s2, 1
	s_sub_i32 s3, s3, s11
	s_clause 0x1
	s_load_dword s11, s[4:5], 0x88
	s_load_dwordx4 s[12:15], s[4:5], 0x58
	v_lshrrev_b32_e32 v11, 5, v0
	v_mov_b32_e32 v15, 0xff7fffff
	v_lshrrev_b32_e32 v9, 3, v0
	v_mbcnt_lo_u32_b32 v10, -1, 0
	s_mul_i32 s18, s1, s18
	v_lshlrev_b32_e32 v12, 3, v11
	s_waitcnt lgkmcnt(0)
	s_mul_i32 s28, s0, s10
	s_sub_i32 s0, s3, s16
	s_ashr_i32 s29, s28, 31
	s_cmp_ge_u32 s3, s16
	s_cselect_b32 s2, s20, s2
	s_cselect_b32 s0, s0, s3
	s_add_i32 s3, s2, 1
	s_cmp_ge_u32 s0, s16
	s_cselect_b32 s0, s3, s2
	s_add_i32 s2, s33, 7
	s_ashr_i32 s3, s2, 31
	s_lshr_b32 s3, s3, 29
	s_add_i32 s2, s2, s3
	s_ashr_i32 s20, s2, 3
	s_xor_b32 s2, s0, s34
	v_cmp_gt_i32_e64 s0, s20, v11
	s_sub_i32 s34, s2, s34
	s_and_saveexec_b32 s37, s0
	s_cbranch_execz .LBB242_532
; %bb.9:
	s_load_dwordx2 s[2:3], s[4:5], 0x10
	s_sub_i32 s4, s34, s21
	s_ashr_i32 s1, s18, 31
	v_bfe_u32 v13, v0, 2, 3
	v_cmp_eq_u32_e32 vcc_lo, 0, v1
	v_lshlrev_b32_e32 v5, 1, v1
	v_lshlrev_b32_e32 v14, 7, v1
	v_and_b32_e32 v1, 0x7c, v9
	v_lshlrev_b32_e32 v4, 2, v13
	v_subrev_nc_u32_e32 v6, s33, v13
	v_mov_b32_e32 v2, 0
	v_lshlrev_b32_e32 v16, 3, v11
	v_mov_b32_e32 v17, 0xff7fffff
	v_lshl_or_b32 v4, v11, 5, v4
	v_add_nc_u32_e32 v22, 1, v6
	v_mov_b32_e32 v18, 0x80
	v_mov_b32_e32 v19, 0x7f
	;; [unrolled: 1-line block ×3, first 2 shown]
	v_add_nc_u32_e32 v23, 0x220, v4
	v_mov_b32_e32 v21, 8
	s_waitcnt lgkmcnt(0)
	s_add_u32 s38, s2, s18
	s_addc_u32 s39, s3, s1
	s_abs_i32 s5, s22
	v_cmp_neq_f32_e64 s1, s36, 0
	v_cvt_f32_u32_e32 v3, s5
	s_sub_i32 s2, 0, s5
	v_mov_b32_e32 v15, 0xff7fffff
	v_mov_b32_e32 v25, v11
	v_rcp_iflag_f32_e32 v3, v3
	v_mul_f32_e32 v3, 0x4f7ffffe, v3
	v_cvt_u32_f32_e32 v7, v3
	v_lshlrev_b32_e32 v3, 4, v13
	v_mul_lo_u32 v4, s2, v7
	s_lshl_b64 s[2:3], s[28:29], 2
	v_add_co_u32 v6, s38, s38, v3
	s_add_u32 s2, s26, s2
	v_add_co_ci_u32_e64 v8, null, s39, 0, s38
	s_addc_u32 s3, s27, s3
	v_mul_hi_u32 v24, v7, v4
	v_add_co_u32 v3, s2, s2, v1
	v_add_co_ci_u32_e64 v4, null, s3, 0, s2
	v_add_co_u32 v5, s2, v6, v5
	v_add_co_ci_u32_e64 v6, null, 0, v8, s2
	v_add_nc_u32_e32 v24, v7, v24
	s_mov_b32 s38, 0
	s_mov_b32 s39, s17
	s_branch .LBB242_12
.LBB242_10:                             ;   in Loop: Header=BB242_12 Depth=1
	s_or_b32 exec_lo, exec_lo, s40
.LBB242_11:                             ;   in Loop: Header=BB242_12 Depth=1
	s_or_b32 exec_lo, exec_lo, s3
	v_add_nc_u32_e32 v25, 4, v25
	v_add_co_u32 v3, s3, v3, 16
	v_add_co_ci_u32_e64 v4, null, 0, v4, s3
	v_cmp_le_i32_e64 s2, s20, v25
	v_add_nc_u32_e32 v16, 32, v16
	v_add_nc_u32_e32 v23, 0x80, v23
	s_or_b32 s38, s2, s38
	s_andn2_b32 exec_lo, exec_lo, s38
	s_cbranch_execz .LBB242_531
.LBB242_12:                             ; =>This Inner Loop Header: Depth=1
	v_mul_hi_u32 v1, v16, s19
	s_waitcnt lgkmcnt(0)
	v_mul_lo_u32 v7, v1, s16
	v_add_nc_u32_e32 v8, 1, v1
	v_sub_nc_u32_e32 v7, v16, v7
	v_subrev_nc_u32_e32 v26, s16, v7
	v_cmp_le_u32_e64 s2, s16, v7
	v_cndmask_b32_e64 v1, v1, v8, s2
	v_cndmask_b32_e64 v7, v7, v26, s2
	v_add_nc_u32_e32 v8, 1, v1
	v_cmp_le_u32_e64 s2, s16, v7
	v_cndmask_b32_e64 v1, v1, v8, s2
	v_xor_b32_e32 v1, s23, v1
	v_subrev_nc_u32_e32 v1, s23, v1
	v_add_nc_u32_e32 v7, s25, v1
	v_cmp_ge_i32_e64 s3, s4, v1
	v_sub_nc_u32_e32 v8, 0, v7
	v_max_i32_e32 v8, v7, v8
	v_ashrrev_i32_e32 v7, 31, v7
	v_mul_hi_u32 v26, v8, v24
	v_mul_lo_u32 v26, v26, s5
	v_sub_nc_u32_e32 v8, v8, v26
	v_subrev_nc_u32_e32 v26, s5, v8
	v_cmp_le_u32_e64 s2, s5, v8
	v_cndmask_b32_e64 v8, v8, v26, s2
	v_subrev_nc_u32_e32 v26, s5, v8
	v_cmp_le_u32_e64 s2, s5, v8
	v_cndmask_b32_e64 v8, v8, v26, s2
	v_xor_b32_e32 v8, v8, v7
	v_sub_nc_u32_e32 v7, v8, v7
	v_cmp_ne_u32_e64 s2, 0, v7
	s_and_b32 s2, s2, s3
	s_and_saveexec_b32 s3, s2
	s_xor_b32 s2, exec_lo, s3
	s_cbranch_execz .LBB242_16
; %bb.13:                               ;   in Loop: Header=BB242_12 Depth=1
	s_and_saveexec_b32 s3, vcc_lo
; %bb.14:                               ;   in Loop: Header=BB242_12 Depth=1
	ds_write_b32 v23, v17
; %bb.15:                               ;   in Loop: Header=BB242_12 Depth=1
	s_or_b32 exec_lo, exec_lo, s3
.LBB242_16:                             ;   in Loop: Header=BB242_12 Depth=1
	s_andn2_saveexec_b32 s3, s2
	s_cbranch_execz .LBB242_11
; %bb.17:                               ;   in Loop: Header=BB242_12 Depth=1
	global_load_dword v1, v[3:4], off
	v_mov_b32_e32 v27, 0
	global_load_dword v26, v27, s[12:13]
	s_waitcnt vmcnt(1)
	v_mad_i64_i32 v[7:8], null, v1, s39, v[5:6]
	global_load_ushort v28, v[7:8], off
	s_waitcnt vmcnt(0)
	v_and_b32_e32 v1, 0xffff, v28
	v_cmp_ne_u16_sdwa s2, v28, v2 src0_sel:BYTE_0 src1_sel:DWORD
	v_mov_b32_e32 v28, 0
	s_and_saveexec_b32 s40, s2
	s_cbranch_execz .LBB242_25
; %bb.18:                               ;   in Loop: Header=BB242_12 Depth=1
	v_cmp_ne_u16_sdwa s2, v1, v18 src0_sel:BYTE_0 src1_sel:DWORD
	v_mov_b32_e32 v28, 0x8000
	s_and_saveexec_b32 s41, s2
	s_cbranch_execz .LBB242_24
; %bb.19:                               ;   in Loop: Header=BB242_12 Depth=1
	v_and_b32_e32 v30, 0x7f, v1
	v_mov_b32_e32 v28, 0x7c01
	s_mov_b32 s42, exec_lo
	v_cmpx_ne_u32_e32 0x7f, v30
	s_cbranch_execz .LBB242_23
; %bb.20:                               ;   in Loop: Header=BB242_12 Depth=1
	v_and_b32_e32 v28, 7, v1
	v_lshrrev_b32_e32 v29, 3, v30
	s_mov_b32 s43, exec_lo
	v_cmpx_gt_u32_e32 8, v30
; %bb.21:                               ;   in Loop: Header=BB242_12 Depth=1
	v_ffbh_u32_e32 v28, v28
	v_min_u32_e32 v30, 32, v28
	v_subrev_nc_u32_e32 v28, 28, v30
	v_lshlrev_b64 v[28:29], v28, v[1:2]
	v_sub_nc_u32_e32 v29, 29, v30
	v_and_b32_e32 v28, 7, v28
; %bb.22:                               ;   in Loop: Header=BB242_12 Depth=1
	s_or_b32 exec_lo, exec_lo, s43
	v_lshlrev_b32_e32 v30, 8, v1
	v_lshl_add_u32 v29, v29, 10, 0x2000
	v_lshlrev_b32_e32 v28, 7, v28
	v_and_b32_e32 v30, 0x8000, v30
	v_and_b32_e32 v29, 0xfc00, v29
	v_or3_b32 v28, v30, v29, v28
.LBB242_23:                             ;   in Loop: Header=BB242_12 Depth=1
	s_or_b32 exec_lo, exec_lo, s42
.LBB242_24:                             ;   in Loop: Header=BB242_12 Depth=1
	s_or_b32 exec_lo, exec_lo, s41
.LBB242_25:                             ;   in Loop: Header=BB242_12 Depth=1
	s_or_b32 exec_lo, exec_lo, s40
	v_lshrrev_b16 v1, 8, v1
	s_mov_b32 s40, exec_lo
	v_cmpx_ne_u16_e32 0, v1
	s_cbranch_execz .LBB242_33
; %bb.26:                               ;   in Loop: Header=BB242_12 Depth=1
	v_bfrev_b32_e32 v27, 1
	s_mov_b32 s41, exec_lo
	v_cmpx_ne_u16_e32 0x80, v1
	s_cbranch_execz .LBB242_32
; %bb.27:                               ;   in Loop: Header=BB242_12 Depth=1
	v_and_b32_sdwa v30, v1, v19 dst_sel:DWORD dst_unused:UNUSED_PAD src0_sel:WORD_0 src1_sel:DWORD
	v_mov_b32_e32 v27, 0x7c010000
	s_mov_b32 s42, exec_lo
	v_cmpx_ne_u32_e32 0x7f, v30
	s_cbranch_execz .LBB242_31
; %bb.28:                               ;   in Loop: Header=BB242_12 Depth=1
	v_and_b32_sdwa v27, v1, v20 dst_sel:DWORD dst_unused:UNUSED_PAD src0_sel:WORD_0 src1_sel:DWORD
	v_lshrrev_b32_e32 v29, 3, v30
	s_mov_b32 s43, exec_lo
	v_cmpx_gt_u32_e32 8, v30
; %bb.29:                               ;   in Loop: Header=BB242_12 Depth=1
	v_ffbh_u32_e32 v27, v27
	v_min_u32_e32 v27, 32, v27
	v_subrev_nc_u32_e32 v29, 28, v27
	v_lshlrev_b64 v[30:31], v29, v[1:2]
	v_sub_nc_u32_e32 v29, 29, v27
	v_and_b32_e32 v27, 7, v30
; %bb.30:                               ;   in Loop: Header=BB242_12 Depth=1
	s_or_b32 exec_lo, exec_lo, s43
	v_lshlrev_b32_sdwa v1, v21, v1 dst_sel:DWORD dst_unused:UNUSED_PAD src0_sel:DWORD src1_sel:WORD_0
	v_lshl_add_u32 v29, v29, 10, 0x2000
	v_lshlrev_b32_e32 v27, 23, v27
	v_and_or_b32 v1, 0x8000, v1, v29
	v_lshl_or_b32 v27, v1, 16, v27
.LBB242_31:                             ;   in Loop: Header=BB242_12 Depth=1
	s_or_b32 exec_lo, exec_lo, s42
.LBB242_32:                             ;   in Loop: Header=BB242_12 Depth=1
	s_or_b32 exec_lo, exec_lo, s41
.LBB242_33:                             ;   in Loop: Header=BB242_12 Depth=1
	s_or_b32 exec_lo, exec_lo, s40
	global_load_ushort v30, v[7:8], off offset:8
	v_mov_b32_e32 v29, 0
	s_waitcnt vmcnt(0)
	v_and_b32_e32 v1, 0xffff, v30
	v_cmp_ne_u16_sdwa s2, v30, v2 src0_sel:BYTE_0 src1_sel:DWORD
	v_mov_b32_e32 v30, 0
	s_and_saveexec_b32 s40, s2
	s_cbranch_execz .LBB242_41
; %bb.34:                               ;   in Loop: Header=BB242_12 Depth=1
	v_cmp_ne_u16_sdwa s2, v1, v18 src0_sel:BYTE_0 src1_sel:DWORD
	v_mov_b32_e32 v30, 0x8000
	s_and_saveexec_b32 s41, s2
	s_cbranch_execz .LBB242_40
; %bb.35:                               ;   in Loop: Header=BB242_12 Depth=1
	v_and_b32_e32 v32, 0x7f, v1
	v_mov_b32_e32 v30, 0x7c01
	s_mov_b32 s42, exec_lo
	v_cmpx_ne_u32_e32 0x7f, v32
	s_cbranch_execz .LBB242_39
; %bb.36:                               ;   in Loop: Header=BB242_12 Depth=1
	v_and_b32_e32 v30, 7, v1
	v_lshrrev_b32_e32 v31, 3, v32
	s_mov_b32 s43, exec_lo
	v_cmpx_gt_u32_e32 8, v32
; %bb.37:                               ;   in Loop: Header=BB242_12 Depth=1
	v_ffbh_u32_e32 v30, v30
	v_min_u32_e32 v32, 32, v30
	v_subrev_nc_u32_e32 v30, 28, v32
	v_lshlrev_b64 v[30:31], v30, v[1:2]
	v_sub_nc_u32_e32 v31, 29, v32
	v_and_b32_e32 v30, 7, v30
; %bb.38:                               ;   in Loop: Header=BB242_12 Depth=1
	s_or_b32 exec_lo, exec_lo, s43
	v_lshlrev_b32_e32 v32, 8, v1
	v_lshl_add_u32 v31, v31, 10, 0x2000
	v_lshlrev_b32_e32 v30, 7, v30
	v_and_b32_e32 v32, 0x8000, v32
	v_and_b32_e32 v31, 0xfc00, v31
	v_or3_b32 v30, v32, v31, v30
.LBB242_39:                             ;   in Loop: Header=BB242_12 Depth=1
	s_or_b32 exec_lo, exec_lo, s42
.LBB242_40:                             ;   in Loop: Header=BB242_12 Depth=1
	s_or_b32 exec_lo, exec_lo, s41
.LBB242_41:                             ;   in Loop: Header=BB242_12 Depth=1
	s_or_b32 exec_lo, exec_lo, s40
	v_lshrrev_b16 v1, 8, v1
	s_mov_b32 s40, exec_lo
	v_cmpx_ne_u16_e32 0, v1
	s_cbranch_execz .LBB242_49
; %bb.42:                               ;   in Loop: Header=BB242_12 Depth=1
	v_bfrev_b32_e32 v29, 1
	s_mov_b32 s41, exec_lo
	v_cmpx_ne_u16_e32 0x80, v1
	s_cbranch_execz .LBB242_48
; %bb.43:                               ;   in Loop: Header=BB242_12 Depth=1
	v_and_b32_sdwa v32, v1, v19 dst_sel:DWORD dst_unused:UNUSED_PAD src0_sel:WORD_0 src1_sel:DWORD
	v_mov_b32_e32 v29, 0x7c010000
	s_mov_b32 s42, exec_lo
	v_cmpx_ne_u32_e32 0x7f, v32
	s_cbranch_execz .LBB242_47
; %bb.44:                               ;   in Loop: Header=BB242_12 Depth=1
	v_and_b32_sdwa v29, v1, v20 dst_sel:DWORD dst_unused:UNUSED_PAD src0_sel:WORD_0 src1_sel:DWORD
	v_lshrrev_b32_e32 v31, 3, v32
	s_mov_b32 s43, exec_lo
	v_cmpx_gt_u32_e32 8, v32
; %bb.45:                               ;   in Loop: Header=BB242_12 Depth=1
	v_ffbh_u32_e32 v29, v29
	v_min_u32_e32 v29, 32, v29
	v_subrev_nc_u32_e32 v31, 28, v29
	v_lshlrev_b64 v[32:33], v31, v[1:2]
	v_sub_nc_u32_e32 v31, 29, v29
	v_and_b32_e32 v29, 7, v32
; %bb.46:                               ;   in Loop: Header=BB242_12 Depth=1
	s_or_b32 exec_lo, exec_lo, s43
	v_lshlrev_b32_sdwa v1, v21, v1 dst_sel:DWORD dst_unused:UNUSED_PAD src0_sel:DWORD src1_sel:WORD_0
	v_lshl_add_u32 v31, v31, 10, 0x2000
	v_lshlrev_b32_e32 v29, 23, v29
	v_and_or_b32 v1, 0x8000, v1, v31
	v_lshl_or_b32 v29, v1, 16, v29
.LBB242_47:                             ;   in Loop: Header=BB242_12 Depth=1
	s_or_b32 exec_lo, exec_lo, s42
.LBB242_48:                             ;   in Loop: Header=BB242_12 Depth=1
	s_or_b32 exec_lo, exec_lo, s41
.LBB242_49:                             ;   in Loop: Header=BB242_12 Depth=1
	s_or_b32 exec_lo, exec_lo, s40
	global_load_ushort v32, v[7:8], off offset:128
	v_mov_b32_e32 v31, 0
	s_waitcnt vmcnt(0)
	v_and_b32_e32 v1, 0xffff, v32
	v_cmp_ne_u16_sdwa s2, v32, v2 src0_sel:BYTE_0 src1_sel:DWORD
	v_mov_b32_e32 v32, 0
	s_and_saveexec_b32 s40, s2
	s_cbranch_execz .LBB242_57
; %bb.50:                               ;   in Loop: Header=BB242_12 Depth=1
	v_cmp_ne_u16_sdwa s2, v1, v18 src0_sel:BYTE_0 src1_sel:DWORD
	v_mov_b32_e32 v32, 0x8000
	s_and_saveexec_b32 s41, s2
	s_cbranch_execz .LBB242_56
; %bb.51:                               ;   in Loop: Header=BB242_12 Depth=1
	v_and_b32_e32 v34, 0x7f, v1
	v_mov_b32_e32 v32, 0x7c01
	s_mov_b32 s42, exec_lo
	v_cmpx_ne_u32_e32 0x7f, v34
	s_cbranch_execz .LBB242_55
; %bb.52:                               ;   in Loop: Header=BB242_12 Depth=1
	v_and_b32_e32 v32, 7, v1
	v_lshrrev_b32_e32 v33, 3, v34
	s_mov_b32 s43, exec_lo
	v_cmpx_gt_u32_e32 8, v34
; %bb.53:                               ;   in Loop: Header=BB242_12 Depth=1
	v_ffbh_u32_e32 v32, v32
	v_min_u32_e32 v34, 32, v32
	v_subrev_nc_u32_e32 v32, 28, v34
	v_lshlrev_b64 v[32:33], v32, v[1:2]
	v_sub_nc_u32_e32 v33, 29, v34
	v_and_b32_e32 v32, 7, v32
; %bb.54:                               ;   in Loop: Header=BB242_12 Depth=1
	s_or_b32 exec_lo, exec_lo, s43
	v_lshlrev_b32_e32 v34, 8, v1
	v_lshl_add_u32 v33, v33, 10, 0x2000
	v_lshlrev_b32_e32 v32, 7, v32
	v_and_b32_e32 v34, 0x8000, v34
	v_and_b32_e32 v33, 0xfc00, v33
	v_or3_b32 v32, v34, v33, v32
.LBB242_55:                             ;   in Loop: Header=BB242_12 Depth=1
	s_or_b32 exec_lo, exec_lo, s42
.LBB242_56:                             ;   in Loop: Header=BB242_12 Depth=1
	s_or_b32 exec_lo, exec_lo, s41
.LBB242_57:                             ;   in Loop: Header=BB242_12 Depth=1
	s_or_b32 exec_lo, exec_lo, s40
	v_lshrrev_b16 v1, 8, v1
	s_mov_b32 s40, exec_lo
	v_cmpx_ne_u16_e32 0, v1
	s_cbranch_execz .LBB242_65
; %bb.58:                               ;   in Loop: Header=BB242_12 Depth=1
	v_bfrev_b32_e32 v31, 1
	s_mov_b32 s41, exec_lo
	v_cmpx_ne_u16_e32 0x80, v1
	s_cbranch_execz .LBB242_64
; %bb.59:                               ;   in Loop: Header=BB242_12 Depth=1
	v_and_b32_sdwa v34, v1, v19 dst_sel:DWORD dst_unused:UNUSED_PAD src0_sel:WORD_0 src1_sel:DWORD
	v_mov_b32_e32 v31, 0x7c010000
	s_mov_b32 s42, exec_lo
	v_cmpx_ne_u32_e32 0x7f, v34
	s_cbranch_execz .LBB242_63
; %bb.60:                               ;   in Loop: Header=BB242_12 Depth=1
	v_and_b32_sdwa v31, v1, v20 dst_sel:DWORD dst_unused:UNUSED_PAD src0_sel:WORD_0 src1_sel:DWORD
	v_lshrrev_b32_e32 v33, 3, v34
	s_mov_b32 s43, exec_lo
	v_cmpx_gt_u32_e32 8, v34
; %bb.61:                               ;   in Loop: Header=BB242_12 Depth=1
	v_ffbh_u32_e32 v31, v31
	v_min_u32_e32 v31, 32, v31
	v_subrev_nc_u32_e32 v33, 28, v31
	v_lshlrev_b64 v[34:35], v33, v[1:2]
	v_sub_nc_u32_e32 v33, 29, v31
	v_and_b32_e32 v31, 7, v34
; %bb.62:                               ;   in Loop: Header=BB242_12 Depth=1
	s_or_b32 exec_lo, exec_lo, s43
	v_lshlrev_b32_sdwa v1, v21, v1 dst_sel:DWORD dst_unused:UNUSED_PAD src0_sel:DWORD src1_sel:WORD_0
	v_lshl_add_u32 v33, v33, 10, 0x2000
	v_lshlrev_b32_e32 v31, 23, v31
	v_and_or_b32 v1, 0x8000, v1, v33
	v_lshl_or_b32 v31, v1, 16, v31
.LBB242_63:                             ;   in Loop: Header=BB242_12 Depth=1
	s_or_b32 exec_lo, exec_lo, s42
.LBB242_64:                             ;   in Loop: Header=BB242_12 Depth=1
	s_or_b32 exec_lo, exec_lo, s41
.LBB242_65:                             ;   in Loop: Header=BB242_12 Depth=1
	s_or_b32 exec_lo, exec_lo, s40
	global_load_ushort v34, v[7:8], off offset:136
	v_mov_b32_e32 v33, 0
	s_waitcnt vmcnt(0)
	v_and_b32_e32 v1, 0xffff, v34
	v_cmp_ne_u16_sdwa s2, v34, v2 src0_sel:BYTE_0 src1_sel:DWORD
	v_mov_b32_e32 v34, 0
	s_and_saveexec_b32 s40, s2
	s_cbranch_execz .LBB242_73
; %bb.66:                               ;   in Loop: Header=BB242_12 Depth=1
	v_cmp_ne_u16_sdwa s2, v1, v18 src0_sel:BYTE_0 src1_sel:DWORD
	v_mov_b32_e32 v34, 0x8000
	s_and_saveexec_b32 s41, s2
	s_cbranch_execz .LBB242_72
; %bb.67:                               ;   in Loop: Header=BB242_12 Depth=1
	v_and_b32_e32 v36, 0x7f, v1
	v_mov_b32_e32 v34, 0x7c01
	s_mov_b32 s42, exec_lo
	v_cmpx_ne_u32_e32 0x7f, v36
	s_cbranch_execz .LBB242_71
; %bb.68:                               ;   in Loop: Header=BB242_12 Depth=1
	v_and_b32_e32 v34, 7, v1
	v_lshrrev_b32_e32 v35, 3, v36
	s_mov_b32 s43, exec_lo
	v_cmpx_gt_u32_e32 8, v36
; %bb.69:                               ;   in Loop: Header=BB242_12 Depth=1
	v_ffbh_u32_e32 v34, v34
	v_min_u32_e32 v36, 32, v34
	v_subrev_nc_u32_e32 v34, 28, v36
	v_lshlrev_b64 v[34:35], v34, v[1:2]
	v_sub_nc_u32_e32 v35, 29, v36
	v_and_b32_e32 v34, 7, v34
; %bb.70:                               ;   in Loop: Header=BB242_12 Depth=1
	s_or_b32 exec_lo, exec_lo, s43
	v_lshlrev_b32_e32 v36, 8, v1
	v_lshl_add_u32 v35, v35, 10, 0x2000
	v_lshlrev_b32_e32 v34, 7, v34
	v_and_b32_e32 v36, 0x8000, v36
	v_and_b32_e32 v35, 0xfc00, v35
	v_or3_b32 v34, v36, v35, v34
.LBB242_71:                             ;   in Loop: Header=BB242_12 Depth=1
	s_or_b32 exec_lo, exec_lo, s42
.LBB242_72:                             ;   in Loop: Header=BB242_12 Depth=1
	s_or_b32 exec_lo, exec_lo, s41
.LBB242_73:                             ;   in Loop: Header=BB242_12 Depth=1
	s_or_b32 exec_lo, exec_lo, s40
	v_lshrrev_b16 v1, 8, v1
	s_mov_b32 s40, exec_lo
	v_cmpx_ne_u16_e32 0, v1
	s_cbranch_execz .LBB242_81
; %bb.74:                               ;   in Loop: Header=BB242_12 Depth=1
	v_bfrev_b32_e32 v33, 1
	s_mov_b32 s41, exec_lo
	v_cmpx_ne_u16_e32 0x80, v1
	s_cbranch_execz .LBB242_80
; %bb.75:                               ;   in Loop: Header=BB242_12 Depth=1
	v_and_b32_sdwa v36, v1, v19 dst_sel:DWORD dst_unused:UNUSED_PAD src0_sel:WORD_0 src1_sel:DWORD
	v_mov_b32_e32 v33, 0x7c010000
	s_mov_b32 s42, exec_lo
	v_cmpx_ne_u32_e32 0x7f, v36
	s_cbranch_execz .LBB242_79
; %bb.76:                               ;   in Loop: Header=BB242_12 Depth=1
	v_and_b32_sdwa v33, v1, v20 dst_sel:DWORD dst_unused:UNUSED_PAD src0_sel:WORD_0 src1_sel:DWORD
	v_lshrrev_b32_e32 v35, 3, v36
	s_mov_b32 s43, exec_lo
	v_cmpx_gt_u32_e32 8, v36
; %bb.77:                               ;   in Loop: Header=BB242_12 Depth=1
	v_ffbh_u32_e32 v33, v33
	v_min_u32_e32 v33, 32, v33
	v_subrev_nc_u32_e32 v35, 28, v33
	v_lshlrev_b64 v[36:37], v35, v[1:2]
	v_sub_nc_u32_e32 v35, 29, v33
	v_and_b32_e32 v33, 7, v36
; %bb.78:                               ;   in Loop: Header=BB242_12 Depth=1
	s_or_b32 exec_lo, exec_lo, s43
	v_lshlrev_b32_sdwa v1, v21, v1 dst_sel:DWORD dst_unused:UNUSED_PAD src0_sel:DWORD src1_sel:WORD_0
	v_lshl_add_u32 v35, v35, 10, 0x2000
	v_lshlrev_b32_e32 v33, 23, v33
	v_and_or_b32 v1, 0x8000, v1, v35
	v_lshl_or_b32 v33, v1, 16, v33
.LBB242_79:                             ;   in Loop: Header=BB242_12 Depth=1
	s_or_b32 exec_lo, exec_lo, s42
.LBB242_80:                             ;   in Loop: Header=BB242_12 Depth=1
	s_or_b32 exec_lo, exec_lo, s41
.LBB242_81:                             ;   in Loop: Header=BB242_12 Depth=1
	s_or_b32 exec_lo, exec_lo, s40
	global_load_ushort v36, v[7:8], off offset:256
	v_mov_b32_e32 v35, 0
	s_waitcnt vmcnt(0)
	v_and_b32_e32 v1, 0xffff, v36
	v_cmp_ne_u16_sdwa s2, v36, v2 src0_sel:BYTE_0 src1_sel:DWORD
	v_mov_b32_e32 v36, 0
	s_and_saveexec_b32 s40, s2
	s_cbranch_execz .LBB242_89
; %bb.82:                               ;   in Loop: Header=BB242_12 Depth=1
	v_cmp_ne_u16_sdwa s2, v1, v18 src0_sel:BYTE_0 src1_sel:DWORD
	v_mov_b32_e32 v36, 0x8000
	s_and_saveexec_b32 s41, s2
	s_cbranch_execz .LBB242_88
; %bb.83:                               ;   in Loop: Header=BB242_12 Depth=1
	v_and_b32_e32 v38, 0x7f, v1
	v_mov_b32_e32 v36, 0x7c01
	s_mov_b32 s42, exec_lo
	v_cmpx_ne_u32_e32 0x7f, v38
	s_cbranch_execz .LBB242_87
; %bb.84:                               ;   in Loop: Header=BB242_12 Depth=1
	v_and_b32_e32 v36, 7, v1
	v_lshrrev_b32_e32 v37, 3, v38
	s_mov_b32 s43, exec_lo
	v_cmpx_gt_u32_e32 8, v38
; %bb.85:                               ;   in Loop: Header=BB242_12 Depth=1
	v_ffbh_u32_e32 v36, v36
	v_min_u32_e32 v38, 32, v36
	v_subrev_nc_u32_e32 v36, 28, v38
	v_lshlrev_b64 v[36:37], v36, v[1:2]
	v_sub_nc_u32_e32 v37, 29, v38
	v_and_b32_e32 v36, 7, v36
; %bb.86:                               ;   in Loop: Header=BB242_12 Depth=1
	s_or_b32 exec_lo, exec_lo, s43
	v_lshlrev_b32_e32 v38, 8, v1
	v_lshl_add_u32 v37, v37, 10, 0x2000
	v_lshlrev_b32_e32 v36, 7, v36
	v_and_b32_e32 v38, 0x8000, v38
	v_and_b32_e32 v37, 0xfc00, v37
	v_or3_b32 v36, v38, v37, v36
.LBB242_87:                             ;   in Loop: Header=BB242_12 Depth=1
	s_or_b32 exec_lo, exec_lo, s42
.LBB242_88:                             ;   in Loop: Header=BB242_12 Depth=1
	s_or_b32 exec_lo, exec_lo, s41
.LBB242_89:                             ;   in Loop: Header=BB242_12 Depth=1
	s_or_b32 exec_lo, exec_lo, s40
	v_lshrrev_b16 v1, 8, v1
	s_mov_b32 s40, exec_lo
	v_cmpx_ne_u16_e32 0, v1
	s_cbranch_execz .LBB242_97
; %bb.90:                               ;   in Loop: Header=BB242_12 Depth=1
	v_bfrev_b32_e32 v35, 1
	s_mov_b32 s41, exec_lo
	v_cmpx_ne_u16_e32 0x80, v1
	s_cbranch_execz .LBB242_96
; %bb.91:                               ;   in Loop: Header=BB242_12 Depth=1
	v_and_b32_sdwa v38, v1, v19 dst_sel:DWORD dst_unused:UNUSED_PAD src0_sel:WORD_0 src1_sel:DWORD
	v_mov_b32_e32 v35, 0x7c010000
	s_mov_b32 s42, exec_lo
	v_cmpx_ne_u32_e32 0x7f, v38
	s_cbranch_execz .LBB242_95
; %bb.92:                               ;   in Loop: Header=BB242_12 Depth=1
	v_and_b32_sdwa v35, v1, v20 dst_sel:DWORD dst_unused:UNUSED_PAD src0_sel:WORD_0 src1_sel:DWORD
	v_lshrrev_b32_e32 v37, 3, v38
	s_mov_b32 s43, exec_lo
	v_cmpx_gt_u32_e32 8, v38
; %bb.93:                               ;   in Loop: Header=BB242_12 Depth=1
	v_ffbh_u32_e32 v35, v35
	v_min_u32_e32 v35, 32, v35
	v_subrev_nc_u32_e32 v37, 28, v35
	v_lshlrev_b64 v[38:39], v37, v[1:2]
	v_sub_nc_u32_e32 v37, 29, v35
	v_and_b32_e32 v35, 7, v38
; %bb.94:                               ;   in Loop: Header=BB242_12 Depth=1
	s_or_b32 exec_lo, exec_lo, s43
	v_lshlrev_b32_sdwa v1, v21, v1 dst_sel:DWORD dst_unused:UNUSED_PAD src0_sel:DWORD src1_sel:WORD_0
	v_lshl_add_u32 v37, v37, 10, 0x2000
	v_lshlrev_b32_e32 v35, 23, v35
	v_and_or_b32 v1, 0x8000, v1, v37
	v_lshl_or_b32 v35, v1, 16, v35
.LBB242_95:                             ;   in Loop: Header=BB242_12 Depth=1
	s_or_b32 exec_lo, exec_lo, s42
.LBB242_96:                             ;   in Loop: Header=BB242_12 Depth=1
	s_or_b32 exec_lo, exec_lo, s41
.LBB242_97:                             ;   in Loop: Header=BB242_12 Depth=1
	s_or_b32 exec_lo, exec_lo, s40
	global_load_ushort v38, v[7:8], off offset:264
	v_mov_b32_e32 v37, 0
	s_waitcnt vmcnt(0)
	v_and_b32_e32 v1, 0xffff, v38
	v_cmp_ne_u16_sdwa s2, v38, v2 src0_sel:BYTE_0 src1_sel:DWORD
	v_mov_b32_e32 v38, 0
	s_and_saveexec_b32 s40, s2
	s_cbranch_execz .LBB242_105
; %bb.98:                               ;   in Loop: Header=BB242_12 Depth=1
	v_cmp_ne_u16_sdwa s2, v1, v18 src0_sel:BYTE_0 src1_sel:DWORD
	v_mov_b32_e32 v38, 0x8000
	s_and_saveexec_b32 s41, s2
	s_cbranch_execz .LBB242_104
; %bb.99:                               ;   in Loop: Header=BB242_12 Depth=1
	v_and_b32_e32 v40, 0x7f, v1
	v_mov_b32_e32 v38, 0x7c01
	s_mov_b32 s42, exec_lo
	v_cmpx_ne_u32_e32 0x7f, v40
	s_cbranch_execz .LBB242_103
; %bb.100:                              ;   in Loop: Header=BB242_12 Depth=1
	v_and_b32_e32 v38, 7, v1
	v_lshrrev_b32_e32 v39, 3, v40
	s_mov_b32 s43, exec_lo
	v_cmpx_gt_u32_e32 8, v40
; %bb.101:                              ;   in Loop: Header=BB242_12 Depth=1
	v_ffbh_u32_e32 v38, v38
	v_min_u32_e32 v40, 32, v38
	v_subrev_nc_u32_e32 v38, 28, v40
	v_lshlrev_b64 v[38:39], v38, v[1:2]
	v_sub_nc_u32_e32 v39, 29, v40
	v_and_b32_e32 v38, 7, v38
; %bb.102:                              ;   in Loop: Header=BB242_12 Depth=1
	s_or_b32 exec_lo, exec_lo, s43
	v_lshlrev_b32_e32 v40, 8, v1
	v_lshl_add_u32 v39, v39, 10, 0x2000
	v_lshlrev_b32_e32 v38, 7, v38
	v_and_b32_e32 v40, 0x8000, v40
	v_and_b32_e32 v39, 0xfc00, v39
	v_or3_b32 v38, v40, v39, v38
.LBB242_103:                            ;   in Loop: Header=BB242_12 Depth=1
	s_or_b32 exec_lo, exec_lo, s42
.LBB242_104:                            ;   in Loop: Header=BB242_12 Depth=1
	s_or_b32 exec_lo, exec_lo, s41
.LBB242_105:                            ;   in Loop: Header=BB242_12 Depth=1
	s_or_b32 exec_lo, exec_lo, s40
	v_lshrrev_b16 v1, 8, v1
	s_mov_b32 s40, exec_lo
	v_cmpx_ne_u16_e32 0, v1
	s_cbranch_execz .LBB242_113
; %bb.106:                              ;   in Loop: Header=BB242_12 Depth=1
	v_bfrev_b32_e32 v37, 1
	s_mov_b32 s41, exec_lo
	v_cmpx_ne_u16_e32 0x80, v1
	s_cbranch_execz .LBB242_112
; %bb.107:                              ;   in Loop: Header=BB242_12 Depth=1
	v_and_b32_sdwa v40, v1, v19 dst_sel:DWORD dst_unused:UNUSED_PAD src0_sel:WORD_0 src1_sel:DWORD
	v_mov_b32_e32 v37, 0x7c010000
	s_mov_b32 s42, exec_lo
	v_cmpx_ne_u32_e32 0x7f, v40
	s_cbranch_execz .LBB242_111
; %bb.108:                              ;   in Loop: Header=BB242_12 Depth=1
	v_and_b32_sdwa v37, v1, v20 dst_sel:DWORD dst_unused:UNUSED_PAD src0_sel:WORD_0 src1_sel:DWORD
	v_lshrrev_b32_e32 v39, 3, v40
	s_mov_b32 s43, exec_lo
	v_cmpx_gt_u32_e32 8, v40
; %bb.109:                              ;   in Loop: Header=BB242_12 Depth=1
	v_ffbh_u32_e32 v37, v37
	v_min_u32_e32 v37, 32, v37
	v_subrev_nc_u32_e32 v39, 28, v37
	v_lshlrev_b64 v[40:41], v39, v[1:2]
	v_sub_nc_u32_e32 v39, 29, v37
	v_and_b32_e32 v37, 7, v40
; %bb.110:                              ;   in Loop: Header=BB242_12 Depth=1
	s_or_b32 exec_lo, exec_lo, s43
	v_lshlrev_b32_sdwa v1, v21, v1 dst_sel:DWORD dst_unused:UNUSED_PAD src0_sel:DWORD src1_sel:WORD_0
	v_lshl_add_u32 v39, v39, 10, 0x2000
	v_lshlrev_b32_e32 v37, 23, v37
	v_and_or_b32 v1, 0x8000, v1, v39
	v_lshl_or_b32 v37, v1, 16, v37
.LBB242_111:                            ;   in Loop: Header=BB242_12 Depth=1
	s_or_b32 exec_lo, exec_lo, s42
.LBB242_112:                            ;   in Loop: Header=BB242_12 Depth=1
	s_or_b32 exec_lo, exec_lo, s41
.LBB242_113:                            ;   in Loop: Header=BB242_12 Depth=1
	s_or_b32 exec_lo, exec_lo, s40
	global_load_ushort v40, v[7:8], off offset:384
	v_mov_b32_e32 v39, 0
	s_waitcnt vmcnt(0)
	v_and_b32_e32 v1, 0xffff, v40
	v_cmp_ne_u16_sdwa s2, v40, v2 src0_sel:BYTE_0 src1_sel:DWORD
	v_mov_b32_e32 v40, 0
	s_and_saveexec_b32 s40, s2
	s_cbranch_execz .LBB242_121
; %bb.114:                              ;   in Loop: Header=BB242_12 Depth=1
	v_cmp_ne_u16_sdwa s2, v1, v18 src0_sel:BYTE_0 src1_sel:DWORD
	v_mov_b32_e32 v40, 0x8000
	s_and_saveexec_b32 s41, s2
	s_cbranch_execz .LBB242_120
; %bb.115:                              ;   in Loop: Header=BB242_12 Depth=1
	v_and_b32_e32 v42, 0x7f, v1
	v_mov_b32_e32 v40, 0x7c01
	s_mov_b32 s42, exec_lo
	v_cmpx_ne_u32_e32 0x7f, v42
	s_cbranch_execz .LBB242_119
; %bb.116:                              ;   in Loop: Header=BB242_12 Depth=1
	v_and_b32_e32 v40, 7, v1
	v_lshrrev_b32_e32 v41, 3, v42
	s_mov_b32 s43, exec_lo
	v_cmpx_gt_u32_e32 8, v42
; %bb.117:                              ;   in Loop: Header=BB242_12 Depth=1
	v_ffbh_u32_e32 v40, v40
	v_min_u32_e32 v42, 32, v40
	v_subrev_nc_u32_e32 v40, 28, v42
	v_lshlrev_b64 v[40:41], v40, v[1:2]
	v_sub_nc_u32_e32 v41, 29, v42
	v_and_b32_e32 v40, 7, v40
; %bb.118:                              ;   in Loop: Header=BB242_12 Depth=1
	s_or_b32 exec_lo, exec_lo, s43
	v_lshlrev_b32_e32 v42, 8, v1
	v_lshl_add_u32 v41, v41, 10, 0x2000
	v_lshlrev_b32_e32 v40, 7, v40
	v_and_b32_e32 v42, 0x8000, v42
	v_and_b32_e32 v41, 0xfc00, v41
	v_or3_b32 v40, v42, v41, v40
.LBB242_119:                            ;   in Loop: Header=BB242_12 Depth=1
	s_or_b32 exec_lo, exec_lo, s42
.LBB242_120:                            ;   in Loop: Header=BB242_12 Depth=1
	s_or_b32 exec_lo, exec_lo, s41
.LBB242_121:                            ;   in Loop: Header=BB242_12 Depth=1
	s_or_b32 exec_lo, exec_lo, s40
	v_lshrrev_b16 v1, 8, v1
	s_mov_b32 s40, exec_lo
	v_cmpx_ne_u16_e32 0, v1
	s_cbranch_execz .LBB242_129
; %bb.122:                              ;   in Loop: Header=BB242_12 Depth=1
	v_bfrev_b32_e32 v39, 1
	s_mov_b32 s41, exec_lo
	v_cmpx_ne_u16_e32 0x80, v1
	s_cbranch_execz .LBB242_128
; %bb.123:                              ;   in Loop: Header=BB242_12 Depth=1
	v_and_b32_sdwa v42, v1, v19 dst_sel:DWORD dst_unused:UNUSED_PAD src0_sel:WORD_0 src1_sel:DWORD
	v_mov_b32_e32 v39, 0x7c010000
	s_mov_b32 s42, exec_lo
	v_cmpx_ne_u32_e32 0x7f, v42
	s_cbranch_execz .LBB242_127
; %bb.124:                              ;   in Loop: Header=BB242_12 Depth=1
	v_and_b32_sdwa v39, v1, v20 dst_sel:DWORD dst_unused:UNUSED_PAD src0_sel:WORD_0 src1_sel:DWORD
	v_lshrrev_b32_e32 v41, 3, v42
	s_mov_b32 s43, exec_lo
	v_cmpx_gt_u32_e32 8, v42
; %bb.125:                              ;   in Loop: Header=BB242_12 Depth=1
	v_ffbh_u32_e32 v39, v39
	v_min_u32_e32 v39, 32, v39
	v_subrev_nc_u32_e32 v41, 28, v39
	v_lshlrev_b64 v[42:43], v41, v[1:2]
	v_sub_nc_u32_e32 v41, 29, v39
	v_and_b32_e32 v39, 7, v42
; %bb.126:                              ;   in Loop: Header=BB242_12 Depth=1
	s_or_b32 exec_lo, exec_lo, s43
	v_lshlrev_b32_sdwa v1, v21, v1 dst_sel:DWORD dst_unused:UNUSED_PAD src0_sel:DWORD src1_sel:WORD_0
	v_lshl_add_u32 v41, v41, 10, 0x2000
	v_lshlrev_b32_e32 v39, 23, v39
	v_and_or_b32 v1, 0x8000, v1, v41
	v_lshl_or_b32 v39, v1, 16, v39
.LBB242_127:                            ;   in Loop: Header=BB242_12 Depth=1
	s_or_b32 exec_lo, exec_lo, s42
.LBB242_128:                            ;   in Loop: Header=BB242_12 Depth=1
	s_or_b32 exec_lo, exec_lo, s41
.LBB242_129:                            ;   in Loop: Header=BB242_12 Depth=1
	s_or_b32 exec_lo, exec_lo, s40
	global_load_ushort v42, v[7:8], off offset:392
	v_mov_b32_e32 v41, 0
	s_waitcnt vmcnt(0)
	v_and_b32_e32 v1, 0xffff, v42
	v_cmp_ne_u16_sdwa s2, v42, v2 src0_sel:BYTE_0 src1_sel:DWORD
	v_mov_b32_e32 v42, 0
	s_and_saveexec_b32 s40, s2
	s_cbranch_execz .LBB242_137
; %bb.130:                              ;   in Loop: Header=BB242_12 Depth=1
	v_cmp_ne_u16_sdwa s2, v1, v18 src0_sel:BYTE_0 src1_sel:DWORD
	v_mov_b32_e32 v42, 0x8000
	s_and_saveexec_b32 s41, s2
	s_cbranch_execz .LBB242_136
; %bb.131:                              ;   in Loop: Header=BB242_12 Depth=1
	v_and_b32_e32 v44, 0x7f, v1
	v_mov_b32_e32 v42, 0x7c01
	s_mov_b32 s42, exec_lo
	v_cmpx_ne_u32_e32 0x7f, v44
	s_cbranch_execz .LBB242_135
; %bb.132:                              ;   in Loop: Header=BB242_12 Depth=1
	v_and_b32_e32 v42, 7, v1
	v_lshrrev_b32_e32 v43, 3, v44
	s_mov_b32 s43, exec_lo
	v_cmpx_gt_u32_e32 8, v44
; %bb.133:                              ;   in Loop: Header=BB242_12 Depth=1
	v_ffbh_u32_e32 v42, v42
	v_min_u32_e32 v44, 32, v42
	v_subrev_nc_u32_e32 v42, 28, v44
	v_lshlrev_b64 v[42:43], v42, v[1:2]
	v_sub_nc_u32_e32 v43, 29, v44
	v_and_b32_e32 v42, 7, v42
; %bb.134:                              ;   in Loop: Header=BB242_12 Depth=1
	s_or_b32 exec_lo, exec_lo, s43
	v_lshlrev_b32_e32 v44, 8, v1
	v_lshl_add_u32 v43, v43, 10, 0x2000
	v_lshlrev_b32_e32 v42, 7, v42
	v_and_b32_e32 v44, 0x8000, v44
	v_and_b32_e32 v43, 0xfc00, v43
	v_or3_b32 v42, v44, v43, v42
.LBB242_135:                            ;   in Loop: Header=BB242_12 Depth=1
	s_or_b32 exec_lo, exec_lo, s42
.LBB242_136:                            ;   in Loop: Header=BB242_12 Depth=1
	s_or_b32 exec_lo, exec_lo, s41
.LBB242_137:                            ;   in Loop: Header=BB242_12 Depth=1
	s_or_b32 exec_lo, exec_lo, s40
	v_lshrrev_b16 v1, 8, v1
	s_mov_b32 s40, exec_lo
	v_cmpx_ne_u16_e32 0, v1
	s_cbranch_execz .LBB242_145
; %bb.138:                              ;   in Loop: Header=BB242_12 Depth=1
	v_bfrev_b32_e32 v41, 1
	s_mov_b32 s41, exec_lo
	v_cmpx_ne_u16_e32 0x80, v1
	s_cbranch_execz .LBB242_144
; %bb.139:                              ;   in Loop: Header=BB242_12 Depth=1
	v_and_b32_sdwa v44, v1, v19 dst_sel:DWORD dst_unused:UNUSED_PAD src0_sel:WORD_0 src1_sel:DWORD
	v_mov_b32_e32 v41, 0x7c010000
	s_mov_b32 s42, exec_lo
	v_cmpx_ne_u32_e32 0x7f, v44
	s_cbranch_execz .LBB242_143
; %bb.140:                              ;   in Loop: Header=BB242_12 Depth=1
	v_and_b32_sdwa v41, v1, v20 dst_sel:DWORD dst_unused:UNUSED_PAD src0_sel:WORD_0 src1_sel:DWORD
	v_lshrrev_b32_e32 v43, 3, v44
	s_mov_b32 s43, exec_lo
	v_cmpx_gt_u32_e32 8, v44
; %bb.141:                              ;   in Loop: Header=BB242_12 Depth=1
	v_ffbh_u32_e32 v41, v41
	v_min_u32_e32 v41, 32, v41
	v_subrev_nc_u32_e32 v43, 28, v41
	v_lshlrev_b64 v[44:45], v43, v[1:2]
	v_sub_nc_u32_e32 v43, 29, v41
	v_and_b32_e32 v41, 7, v44
; %bb.142:                              ;   in Loop: Header=BB242_12 Depth=1
	s_or_b32 exec_lo, exec_lo, s43
	v_lshlrev_b32_sdwa v1, v21, v1 dst_sel:DWORD dst_unused:UNUSED_PAD src0_sel:DWORD src1_sel:WORD_0
	v_lshl_add_u32 v43, v43, 10, 0x2000
	v_lshlrev_b32_e32 v41, 23, v41
	v_and_or_b32 v1, 0x8000, v1, v43
	v_lshl_or_b32 v41, v1, 16, v41
.LBB242_143:                            ;   in Loop: Header=BB242_12 Depth=1
	s_or_b32 exec_lo, exec_lo, s42
.LBB242_144:                            ;   in Loop: Header=BB242_12 Depth=1
	s_or_b32 exec_lo, exec_lo, s41
.LBB242_145:                            ;   in Loop: Header=BB242_12 Depth=1
	s_or_b32 exec_lo, exec_lo, s40
	global_load_ushort v44, v[7:8], off offset:512
	v_mov_b32_e32 v43, 0
	s_waitcnt vmcnt(0)
	v_and_b32_e32 v1, 0xffff, v44
	v_cmp_ne_u16_sdwa s2, v44, v2 src0_sel:BYTE_0 src1_sel:DWORD
	v_mov_b32_e32 v44, 0
	s_and_saveexec_b32 s40, s2
	s_cbranch_execz .LBB242_153
; %bb.146:                              ;   in Loop: Header=BB242_12 Depth=1
	v_cmp_ne_u16_sdwa s2, v1, v18 src0_sel:BYTE_0 src1_sel:DWORD
	v_mov_b32_e32 v44, 0x8000
	s_and_saveexec_b32 s41, s2
	s_cbranch_execz .LBB242_152
; %bb.147:                              ;   in Loop: Header=BB242_12 Depth=1
	v_and_b32_e32 v46, 0x7f, v1
	v_mov_b32_e32 v44, 0x7c01
	s_mov_b32 s42, exec_lo
	v_cmpx_ne_u32_e32 0x7f, v46
	s_cbranch_execz .LBB242_151
; %bb.148:                              ;   in Loop: Header=BB242_12 Depth=1
	v_and_b32_e32 v44, 7, v1
	v_lshrrev_b32_e32 v45, 3, v46
	s_mov_b32 s43, exec_lo
	v_cmpx_gt_u32_e32 8, v46
; %bb.149:                              ;   in Loop: Header=BB242_12 Depth=1
	v_ffbh_u32_e32 v44, v44
	v_min_u32_e32 v46, 32, v44
	v_subrev_nc_u32_e32 v44, 28, v46
	v_lshlrev_b64 v[44:45], v44, v[1:2]
	v_sub_nc_u32_e32 v45, 29, v46
	v_and_b32_e32 v44, 7, v44
; %bb.150:                              ;   in Loop: Header=BB242_12 Depth=1
	s_or_b32 exec_lo, exec_lo, s43
	v_lshlrev_b32_e32 v46, 8, v1
	v_lshl_add_u32 v45, v45, 10, 0x2000
	v_lshlrev_b32_e32 v44, 7, v44
	v_and_b32_e32 v46, 0x8000, v46
	v_and_b32_e32 v45, 0xfc00, v45
	v_or3_b32 v44, v46, v45, v44
.LBB242_151:                            ;   in Loop: Header=BB242_12 Depth=1
	s_or_b32 exec_lo, exec_lo, s42
.LBB242_152:                            ;   in Loop: Header=BB242_12 Depth=1
	s_or_b32 exec_lo, exec_lo, s41
.LBB242_153:                            ;   in Loop: Header=BB242_12 Depth=1
	s_or_b32 exec_lo, exec_lo, s40
	v_lshrrev_b16 v1, 8, v1
	s_mov_b32 s40, exec_lo
	v_cmpx_ne_u16_e32 0, v1
	s_cbranch_execz .LBB242_161
; %bb.154:                              ;   in Loop: Header=BB242_12 Depth=1
	v_bfrev_b32_e32 v43, 1
	s_mov_b32 s41, exec_lo
	v_cmpx_ne_u16_e32 0x80, v1
	s_cbranch_execz .LBB242_160
; %bb.155:                              ;   in Loop: Header=BB242_12 Depth=1
	v_and_b32_sdwa v46, v1, v19 dst_sel:DWORD dst_unused:UNUSED_PAD src0_sel:WORD_0 src1_sel:DWORD
	v_mov_b32_e32 v43, 0x7c010000
	s_mov_b32 s42, exec_lo
	v_cmpx_ne_u32_e32 0x7f, v46
	s_cbranch_execz .LBB242_159
; %bb.156:                              ;   in Loop: Header=BB242_12 Depth=1
	v_and_b32_sdwa v43, v1, v20 dst_sel:DWORD dst_unused:UNUSED_PAD src0_sel:WORD_0 src1_sel:DWORD
	v_lshrrev_b32_e32 v45, 3, v46
	s_mov_b32 s43, exec_lo
	v_cmpx_gt_u32_e32 8, v46
; %bb.157:                              ;   in Loop: Header=BB242_12 Depth=1
	v_ffbh_u32_e32 v43, v43
	v_min_u32_e32 v43, 32, v43
	v_subrev_nc_u32_e32 v45, 28, v43
	v_lshlrev_b64 v[46:47], v45, v[1:2]
	v_sub_nc_u32_e32 v45, 29, v43
	v_and_b32_e32 v43, 7, v46
; %bb.158:                              ;   in Loop: Header=BB242_12 Depth=1
	s_or_b32 exec_lo, exec_lo, s43
	v_lshlrev_b32_sdwa v1, v21, v1 dst_sel:DWORD dst_unused:UNUSED_PAD src0_sel:DWORD src1_sel:WORD_0
	v_lshl_add_u32 v45, v45, 10, 0x2000
	v_lshlrev_b32_e32 v43, 23, v43
	v_and_or_b32 v1, 0x8000, v1, v45
	v_lshl_or_b32 v43, v1, 16, v43
.LBB242_159:                            ;   in Loop: Header=BB242_12 Depth=1
	s_or_b32 exec_lo, exec_lo, s42
.LBB242_160:                            ;   in Loop: Header=BB242_12 Depth=1
	s_or_b32 exec_lo, exec_lo, s41
.LBB242_161:                            ;   in Loop: Header=BB242_12 Depth=1
	s_or_b32 exec_lo, exec_lo, s40
	global_load_ushort v46, v[7:8], off offset:520
	v_mov_b32_e32 v45, 0
	s_waitcnt vmcnt(0)
	v_and_b32_e32 v1, 0xffff, v46
	v_cmp_ne_u16_sdwa s2, v46, v2 src0_sel:BYTE_0 src1_sel:DWORD
	v_mov_b32_e32 v46, 0
	s_and_saveexec_b32 s40, s2
	s_cbranch_execz .LBB242_169
; %bb.162:                              ;   in Loop: Header=BB242_12 Depth=1
	v_cmp_ne_u16_sdwa s2, v1, v18 src0_sel:BYTE_0 src1_sel:DWORD
	v_mov_b32_e32 v46, 0x8000
	s_and_saveexec_b32 s41, s2
	s_cbranch_execz .LBB242_168
; %bb.163:                              ;   in Loop: Header=BB242_12 Depth=1
	v_and_b32_e32 v48, 0x7f, v1
	v_mov_b32_e32 v46, 0x7c01
	s_mov_b32 s42, exec_lo
	v_cmpx_ne_u32_e32 0x7f, v48
	s_cbranch_execz .LBB242_167
; %bb.164:                              ;   in Loop: Header=BB242_12 Depth=1
	v_and_b32_e32 v46, 7, v1
	v_lshrrev_b32_e32 v47, 3, v48
	s_mov_b32 s43, exec_lo
	v_cmpx_gt_u32_e32 8, v48
; %bb.165:                              ;   in Loop: Header=BB242_12 Depth=1
	v_ffbh_u32_e32 v46, v46
	v_min_u32_e32 v48, 32, v46
	v_subrev_nc_u32_e32 v46, 28, v48
	v_lshlrev_b64 v[46:47], v46, v[1:2]
	v_sub_nc_u32_e32 v47, 29, v48
	v_and_b32_e32 v46, 7, v46
; %bb.166:                              ;   in Loop: Header=BB242_12 Depth=1
	s_or_b32 exec_lo, exec_lo, s43
	v_lshlrev_b32_e32 v48, 8, v1
	v_lshl_add_u32 v47, v47, 10, 0x2000
	v_lshlrev_b32_e32 v46, 7, v46
	v_and_b32_e32 v48, 0x8000, v48
	v_and_b32_e32 v47, 0xfc00, v47
	v_or3_b32 v46, v48, v47, v46
.LBB242_167:                            ;   in Loop: Header=BB242_12 Depth=1
	s_or_b32 exec_lo, exec_lo, s42
.LBB242_168:                            ;   in Loop: Header=BB242_12 Depth=1
	s_or_b32 exec_lo, exec_lo, s41
.LBB242_169:                            ;   in Loop: Header=BB242_12 Depth=1
	s_or_b32 exec_lo, exec_lo, s40
	v_lshrrev_b16 v1, 8, v1
	s_mov_b32 s40, exec_lo
	v_cmpx_ne_u16_e32 0, v1
	s_cbranch_execz .LBB242_177
; %bb.170:                              ;   in Loop: Header=BB242_12 Depth=1
	v_bfrev_b32_e32 v45, 1
	s_mov_b32 s41, exec_lo
	v_cmpx_ne_u16_e32 0x80, v1
	s_cbranch_execz .LBB242_176
; %bb.171:                              ;   in Loop: Header=BB242_12 Depth=1
	v_and_b32_sdwa v48, v1, v19 dst_sel:DWORD dst_unused:UNUSED_PAD src0_sel:WORD_0 src1_sel:DWORD
	v_mov_b32_e32 v45, 0x7c010000
	s_mov_b32 s42, exec_lo
	v_cmpx_ne_u32_e32 0x7f, v48
	s_cbranch_execz .LBB242_175
; %bb.172:                              ;   in Loop: Header=BB242_12 Depth=1
	v_and_b32_sdwa v45, v1, v20 dst_sel:DWORD dst_unused:UNUSED_PAD src0_sel:WORD_0 src1_sel:DWORD
	v_lshrrev_b32_e32 v47, 3, v48
	s_mov_b32 s43, exec_lo
	v_cmpx_gt_u32_e32 8, v48
; %bb.173:                              ;   in Loop: Header=BB242_12 Depth=1
	v_ffbh_u32_e32 v45, v45
	v_min_u32_e32 v45, 32, v45
	v_subrev_nc_u32_e32 v47, 28, v45
	v_lshlrev_b64 v[48:49], v47, v[1:2]
	v_sub_nc_u32_e32 v47, 29, v45
	v_and_b32_e32 v45, 7, v48
; %bb.174:                              ;   in Loop: Header=BB242_12 Depth=1
	s_or_b32 exec_lo, exec_lo, s43
	v_lshlrev_b32_sdwa v1, v21, v1 dst_sel:DWORD dst_unused:UNUSED_PAD src0_sel:DWORD src1_sel:WORD_0
	v_lshl_add_u32 v47, v47, 10, 0x2000
	v_lshlrev_b32_e32 v45, 23, v45
	v_and_or_b32 v1, 0x8000, v1, v47
	v_lshl_or_b32 v45, v1, 16, v45
.LBB242_175:                            ;   in Loop: Header=BB242_12 Depth=1
	s_or_b32 exec_lo, exec_lo, s42
.LBB242_176:                            ;   in Loop: Header=BB242_12 Depth=1
	s_or_b32 exec_lo, exec_lo, s41
.LBB242_177:                            ;   in Loop: Header=BB242_12 Depth=1
	s_or_b32 exec_lo, exec_lo, s40
	global_load_ushort v48, v[7:8], off offset:640
	v_mov_b32_e32 v47, 0
	s_waitcnt vmcnt(0)
	v_and_b32_e32 v1, 0xffff, v48
	v_cmp_ne_u16_sdwa s2, v48, v2 src0_sel:BYTE_0 src1_sel:DWORD
	v_mov_b32_e32 v48, 0
	s_and_saveexec_b32 s40, s2
	s_cbranch_execz .LBB242_185
; %bb.178:                              ;   in Loop: Header=BB242_12 Depth=1
	v_cmp_ne_u16_sdwa s2, v1, v18 src0_sel:BYTE_0 src1_sel:DWORD
	v_mov_b32_e32 v48, 0x8000
	s_and_saveexec_b32 s41, s2
	s_cbranch_execz .LBB242_184
; %bb.179:                              ;   in Loop: Header=BB242_12 Depth=1
	v_and_b32_e32 v50, 0x7f, v1
	v_mov_b32_e32 v48, 0x7c01
	s_mov_b32 s42, exec_lo
	v_cmpx_ne_u32_e32 0x7f, v50
	s_cbranch_execz .LBB242_183
; %bb.180:                              ;   in Loop: Header=BB242_12 Depth=1
	v_and_b32_e32 v48, 7, v1
	v_lshrrev_b32_e32 v49, 3, v50
	s_mov_b32 s43, exec_lo
	v_cmpx_gt_u32_e32 8, v50
; %bb.181:                              ;   in Loop: Header=BB242_12 Depth=1
	v_ffbh_u32_e32 v48, v48
	v_min_u32_e32 v50, 32, v48
	v_subrev_nc_u32_e32 v48, 28, v50
	v_lshlrev_b64 v[48:49], v48, v[1:2]
	v_sub_nc_u32_e32 v49, 29, v50
	v_and_b32_e32 v48, 7, v48
; %bb.182:                              ;   in Loop: Header=BB242_12 Depth=1
	s_or_b32 exec_lo, exec_lo, s43
	v_lshlrev_b32_e32 v50, 8, v1
	v_lshl_add_u32 v49, v49, 10, 0x2000
	v_lshlrev_b32_e32 v48, 7, v48
	v_and_b32_e32 v50, 0x8000, v50
	v_and_b32_e32 v49, 0xfc00, v49
	v_or3_b32 v48, v50, v49, v48
.LBB242_183:                            ;   in Loop: Header=BB242_12 Depth=1
	s_or_b32 exec_lo, exec_lo, s42
.LBB242_184:                            ;   in Loop: Header=BB242_12 Depth=1
	s_or_b32 exec_lo, exec_lo, s41
.LBB242_185:                            ;   in Loop: Header=BB242_12 Depth=1
	s_or_b32 exec_lo, exec_lo, s40
	v_lshrrev_b16 v1, 8, v1
	s_mov_b32 s40, exec_lo
	v_cmpx_ne_u16_e32 0, v1
	s_cbranch_execz .LBB242_193
; %bb.186:                              ;   in Loop: Header=BB242_12 Depth=1
	v_bfrev_b32_e32 v47, 1
	s_mov_b32 s41, exec_lo
	v_cmpx_ne_u16_e32 0x80, v1
	s_cbranch_execz .LBB242_192
; %bb.187:                              ;   in Loop: Header=BB242_12 Depth=1
	v_and_b32_sdwa v50, v1, v19 dst_sel:DWORD dst_unused:UNUSED_PAD src0_sel:WORD_0 src1_sel:DWORD
	v_mov_b32_e32 v47, 0x7c010000
	s_mov_b32 s42, exec_lo
	v_cmpx_ne_u32_e32 0x7f, v50
	s_cbranch_execz .LBB242_191
; %bb.188:                              ;   in Loop: Header=BB242_12 Depth=1
	v_and_b32_sdwa v47, v1, v20 dst_sel:DWORD dst_unused:UNUSED_PAD src0_sel:WORD_0 src1_sel:DWORD
	v_lshrrev_b32_e32 v49, 3, v50
	s_mov_b32 s43, exec_lo
	v_cmpx_gt_u32_e32 8, v50
; %bb.189:                              ;   in Loop: Header=BB242_12 Depth=1
	v_ffbh_u32_e32 v47, v47
	v_min_u32_e32 v47, 32, v47
	v_subrev_nc_u32_e32 v49, 28, v47
	v_lshlrev_b64 v[50:51], v49, v[1:2]
	v_sub_nc_u32_e32 v49, 29, v47
	v_and_b32_e32 v47, 7, v50
; %bb.190:                              ;   in Loop: Header=BB242_12 Depth=1
	s_or_b32 exec_lo, exec_lo, s43
	v_lshlrev_b32_sdwa v1, v21, v1 dst_sel:DWORD dst_unused:UNUSED_PAD src0_sel:DWORD src1_sel:WORD_0
	v_lshl_add_u32 v49, v49, 10, 0x2000
	v_lshlrev_b32_e32 v47, 23, v47
	v_and_or_b32 v1, 0x8000, v1, v49
	v_lshl_or_b32 v47, v1, 16, v47
.LBB242_191:                            ;   in Loop: Header=BB242_12 Depth=1
	s_or_b32 exec_lo, exec_lo, s42
.LBB242_192:                            ;   in Loop: Header=BB242_12 Depth=1
	s_or_b32 exec_lo, exec_lo, s41
.LBB242_193:                            ;   in Loop: Header=BB242_12 Depth=1
	s_or_b32 exec_lo, exec_lo, s40
	global_load_ushort v50, v[7:8], off offset:648
	v_mov_b32_e32 v49, 0
	s_waitcnt vmcnt(0)
	v_and_b32_e32 v1, 0xffff, v50
	v_cmp_ne_u16_sdwa s2, v50, v2 src0_sel:BYTE_0 src1_sel:DWORD
	v_mov_b32_e32 v50, 0
	s_and_saveexec_b32 s40, s2
	s_cbranch_execz .LBB242_201
; %bb.194:                              ;   in Loop: Header=BB242_12 Depth=1
	v_cmp_ne_u16_sdwa s2, v1, v18 src0_sel:BYTE_0 src1_sel:DWORD
	v_mov_b32_e32 v50, 0x8000
	s_and_saveexec_b32 s41, s2
	s_cbranch_execz .LBB242_200
; %bb.195:                              ;   in Loop: Header=BB242_12 Depth=1
	v_and_b32_e32 v52, 0x7f, v1
	v_mov_b32_e32 v50, 0x7c01
	s_mov_b32 s42, exec_lo
	v_cmpx_ne_u32_e32 0x7f, v52
	s_cbranch_execz .LBB242_199
; %bb.196:                              ;   in Loop: Header=BB242_12 Depth=1
	v_and_b32_e32 v50, 7, v1
	v_lshrrev_b32_e32 v51, 3, v52
	s_mov_b32 s43, exec_lo
	v_cmpx_gt_u32_e32 8, v52
; %bb.197:                              ;   in Loop: Header=BB242_12 Depth=1
	v_ffbh_u32_e32 v50, v50
	v_min_u32_e32 v52, 32, v50
	v_subrev_nc_u32_e32 v50, 28, v52
	v_lshlrev_b64 v[50:51], v50, v[1:2]
	v_sub_nc_u32_e32 v51, 29, v52
	v_and_b32_e32 v50, 7, v50
; %bb.198:                              ;   in Loop: Header=BB242_12 Depth=1
	s_or_b32 exec_lo, exec_lo, s43
	v_lshlrev_b32_e32 v52, 8, v1
	v_lshl_add_u32 v51, v51, 10, 0x2000
	v_lshlrev_b32_e32 v50, 7, v50
	v_and_b32_e32 v52, 0x8000, v52
	v_and_b32_e32 v51, 0xfc00, v51
	v_or3_b32 v50, v52, v51, v50
.LBB242_199:                            ;   in Loop: Header=BB242_12 Depth=1
	s_or_b32 exec_lo, exec_lo, s42
.LBB242_200:                            ;   in Loop: Header=BB242_12 Depth=1
	s_or_b32 exec_lo, exec_lo, s41
.LBB242_201:                            ;   in Loop: Header=BB242_12 Depth=1
	s_or_b32 exec_lo, exec_lo, s40
	v_lshrrev_b16 v1, 8, v1
	s_mov_b32 s40, exec_lo
	v_cmpx_ne_u16_e32 0, v1
	s_cbranch_execz .LBB242_209
; %bb.202:                              ;   in Loop: Header=BB242_12 Depth=1
	v_bfrev_b32_e32 v49, 1
	s_mov_b32 s41, exec_lo
	v_cmpx_ne_u16_e32 0x80, v1
	s_cbranch_execz .LBB242_208
; %bb.203:                              ;   in Loop: Header=BB242_12 Depth=1
	v_and_b32_sdwa v52, v1, v19 dst_sel:DWORD dst_unused:UNUSED_PAD src0_sel:WORD_0 src1_sel:DWORD
	v_mov_b32_e32 v49, 0x7c010000
	s_mov_b32 s42, exec_lo
	v_cmpx_ne_u32_e32 0x7f, v52
	s_cbranch_execz .LBB242_207
; %bb.204:                              ;   in Loop: Header=BB242_12 Depth=1
	v_and_b32_sdwa v49, v1, v20 dst_sel:DWORD dst_unused:UNUSED_PAD src0_sel:WORD_0 src1_sel:DWORD
	v_lshrrev_b32_e32 v51, 3, v52
	s_mov_b32 s43, exec_lo
	v_cmpx_gt_u32_e32 8, v52
; %bb.205:                              ;   in Loop: Header=BB242_12 Depth=1
	v_ffbh_u32_e32 v49, v49
	v_min_u32_e32 v49, 32, v49
	v_subrev_nc_u32_e32 v51, 28, v49
	v_lshlrev_b64 v[52:53], v51, v[1:2]
	v_sub_nc_u32_e32 v51, 29, v49
	v_and_b32_e32 v49, 7, v52
; %bb.206:                              ;   in Loop: Header=BB242_12 Depth=1
	s_or_b32 exec_lo, exec_lo, s43
	v_lshlrev_b32_sdwa v1, v21, v1 dst_sel:DWORD dst_unused:UNUSED_PAD src0_sel:DWORD src1_sel:WORD_0
	v_lshl_add_u32 v51, v51, 10, 0x2000
	v_lshlrev_b32_e32 v49, 23, v49
	v_and_or_b32 v1, 0x8000, v1, v51
	v_lshl_or_b32 v49, v1, 16, v49
.LBB242_207:                            ;   in Loop: Header=BB242_12 Depth=1
	s_or_b32 exec_lo, exec_lo, s42
.LBB242_208:                            ;   in Loop: Header=BB242_12 Depth=1
	s_or_b32 exec_lo, exec_lo, s41
.LBB242_209:                            ;   in Loop: Header=BB242_12 Depth=1
	s_or_b32 exec_lo, exec_lo, s40
	global_load_ushort v52, v[7:8], off offset:768
	v_mov_b32_e32 v51, 0
	s_waitcnt vmcnt(0)
	v_and_b32_e32 v1, 0xffff, v52
	v_cmp_ne_u16_sdwa s2, v52, v2 src0_sel:BYTE_0 src1_sel:DWORD
	v_mov_b32_e32 v52, 0
	s_and_saveexec_b32 s40, s2
	s_cbranch_execz .LBB242_217
; %bb.210:                              ;   in Loop: Header=BB242_12 Depth=1
	v_cmp_ne_u16_sdwa s2, v1, v18 src0_sel:BYTE_0 src1_sel:DWORD
	v_mov_b32_e32 v52, 0x8000
	s_and_saveexec_b32 s41, s2
	s_cbranch_execz .LBB242_216
; %bb.211:                              ;   in Loop: Header=BB242_12 Depth=1
	v_and_b32_e32 v54, 0x7f, v1
	v_mov_b32_e32 v52, 0x7c01
	s_mov_b32 s42, exec_lo
	v_cmpx_ne_u32_e32 0x7f, v54
	s_cbranch_execz .LBB242_215
; %bb.212:                              ;   in Loop: Header=BB242_12 Depth=1
	v_and_b32_e32 v52, 7, v1
	v_lshrrev_b32_e32 v53, 3, v54
	s_mov_b32 s43, exec_lo
	v_cmpx_gt_u32_e32 8, v54
; %bb.213:                              ;   in Loop: Header=BB242_12 Depth=1
	v_ffbh_u32_e32 v52, v52
	v_min_u32_e32 v54, 32, v52
	v_subrev_nc_u32_e32 v52, 28, v54
	v_lshlrev_b64 v[52:53], v52, v[1:2]
	v_sub_nc_u32_e32 v53, 29, v54
	v_and_b32_e32 v52, 7, v52
; %bb.214:                              ;   in Loop: Header=BB242_12 Depth=1
	s_or_b32 exec_lo, exec_lo, s43
	v_lshlrev_b32_e32 v54, 8, v1
	v_lshl_add_u32 v53, v53, 10, 0x2000
	v_lshlrev_b32_e32 v52, 7, v52
	v_and_b32_e32 v54, 0x8000, v54
	v_and_b32_e32 v53, 0xfc00, v53
	v_or3_b32 v52, v54, v53, v52
.LBB242_215:                            ;   in Loop: Header=BB242_12 Depth=1
	s_or_b32 exec_lo, exec_lo, s42
.LBB242_216:                            ;   in Loop: Header=BB242_12 Depth=1
	s_or_b32 exec_lo, exec_lo, s41
.LBB242_217:                            ;   in Loop: Header=BB242_12 Depth=1
	s_or_b32 exec_lo, exec_lo, s40
	v_lshrrev_b16 v1, 8, v1
	s_mov_b32 s40, exec_lo
	v_cmpx_ne_u16_e32 0, v1
	s_cbranch_execz .LBB242_225
; %bb.218:                              ;   in Loop: Header=BB242_12 Depth=1
	v_bfrev_b32_e32 v51, 1
	s_mov_b32 s41, exec_lo
	v_cmpx_ne_u16_e32 0x80, v1
	s_cbranch_execz .LBB242_224
; %bb.219:                              ;   in Loop: Header=BB242_12 Depth=1
	v_and_b32_sdwa v54, v1, v19 dst_sel:DWORD dst_unused:UNUSED_PAD src0_sel:WORD_0 src1_sel:DWORD
	v_mov_b32_e32 v51, 0x7c010000
	s_mov_b32 s42, exec_lo
	v_cmpx_ne_u32_e32 0x7f, v54
	s_cbranch_execz .LBB242_223
; %bb.220:                              ;   in Loop: Header=BB242_12 Depth=1
	v_and_b32_sdwa v51, v1, v20 dst_sel:DWORD dst_unused:UNUSED_PAD src0_sel:WORD_0 src1_sel:DWORD
	v_lshrrev_b32_e32 v53, 3, v54
	s_mov_b32 s43, exec_lo
	v_cmpx_gt_u32_e32 8, v54
; %bb.221:                              ;   in Loop: Header=BB242_12 Depth=1
	v_ffbh_u32_e32 v51, v51
	v_min_u32_e32 v51, 32, v51
	v_subrev_nc_u32_e32 v53, 28, v51
	v_lshlrev_b64 v[54:55], v53, v[1:2]
	v_sub_nc_u32_e32 v53, 29, v51
	v_and_b32_e32 v51, 7, v54
; %bb.222:                              ;   in Loop: Header=BB242_12 Depth=1
	s_or_b32 exec_lo, exec_lo, s43
	v_lshlrev_b32_sdwa v1, v21, v1 dst_sel:DWORD dst_unused:UNUSED_PAD src0_sel:DWORD src1_sel:WORD_0
	v_lshl_add_u32 v53, v53, 10, 0x2000
	v_lshlrev_b32_e32 v51, 23, v51
	v_and_or_b32 v1, 0x8000, v1, v53
	v_lshl_or_b32 v51, v1, 16, v51
.LBB242_223:                            ;   in Loop: Header=BB242_12 Depth=1
	s_or_b32 exec_lo, exec_lo, s42
.LBB242_224:                            ;   in Loop: Header=BB242_12 Depth=1
	s_or_b32 exec_lo, exec_lo, s41
.LBB242_225:                            ;   in Loop: Header=BB242_12 Depth=1
	s_or_b32 exec_lo, exec_lo, s40
	global_load_ushort v54, v[7:8], off offset:776
	v_mov_b32_e32 v53, 0
	s_waitcnt vmcnt(0)
	v_and_b32_e32 v1, 0xffff, v54
	v_cmp_ne_u16_sdwa s2, v54, v2 src0_sel:BYTE_0 src1_sel:DWORD
	v_mov_b32_e32 v54, 0
	s_and_saveexec_b32 s40, s2
	s_cbranch_execz .LBB242_233
; %bb.226:                              ;   in Loop: Header=BB242_12 Depth=1
	v_cmp_ne_u16_sdwa s2, v1, v18 src0_sel:BYTE_0 src1_sel:DWORD
	v_mov_b32_e32 v54, 0x8000
	s_and_saveexec_b32 s41, s2
	s_cbranch_execz .LBB242_232
; %bb.227:                              ;   in Loop: Header=BB242_12 Depth=1
	v_and_b32_e32 v56, 0x7f, v1
	v_mov_b32_e32 v54, 0x7c01
	s_mov_b32 s42, exec_lo
	v_cmpx_ne_u32_e32 0x7f, v56
	s_cbranch_execz .LBB242_231
; %bb.228:                              ;   in Loop: Header=BB242_12 Depth=1
	v_and_b32_e32 v54, 7, v1
	v_lshrrev_b32_e32 v55, 3, v56
	s_mov_b32 s43, exec_lo
	v_cmpx_gt_u32_e32 8, v56
; %bb.229:                              ;   in Loop: Header=BB242_12 Depth=1
	v_ffbh_u32_e32 v54, v54
	v_min_u32_e32 v56, 32, v54
	v_subrev_nc_u32_e32 v54, 28, v56
	v_lshlrev_b64 v[54:55], v54, v[1:2]
	v_sub_nc_u32_e32 v55, 29, v56
	v_and_b32_e32 v54, 7, v54
; %bb.230:                              ;   in Loop: Header=BB242_12 Depth=1
	s_or_b32 exec_lo, exec_lo, s43
	v_lshlrev_b32_e32 v56, 8, v1
	v_lshl_add_u32 v55, v55, 10, 0x2000
	v_lshlrev_b32_e32 v54, 7, v54
	v_and_b32_e32 v56, 0x8000, v56
	v_and_b32_e32 v55, 0xfc00, v55
	v_or3_b32 v54, v56, v55, v54
.LBB242_231:                            ;   in Loop: Header=BB242_12 Depth=1
	s_or_b32 exec_lo, exec_lo, s42
.LBB242_232:                            ;   in Loop: Header=BB242_12 Depth=1
	s_or_b32 exec_lo, exec_lo, s41
.LBB242_233:                            ;   in Loop: Header=BB242_12 Depth=1
	s_or_b32 exec_lo, exec_lo, s40
	v_lshrrev_b16 v1, 8, v1
	s_mov_b32 s40, exec_lo
	v_cmpx_ne_u16_e32 0, v1
	s_cbranch_execz .LBB242_241
; %bb.234:                              ;   in Loop: Header=BB242_12 Depth=1
	v_bfrev_b32_e32 v53, 1
	s_mov_b32 s41, exec_lo
	v_cmpx_ne_u16_e32 0x80, v1
	s_cbranch_execz .LBB242_240
; %bb.235:                              ;   in Loop: Header=BB242_12 Depth=1
	v_and_b32_sdwa v56, v1, v19 dst_sel:DWORD dst_unused:UNUSED_PAD src0_sel:WORD_0 src1_sel:DWORD
	v_mov_b32_e32 v53, 0x7c010000
	s_mov_b32 s42, exec_lo
	v_cmpx_ne_u32_e32 0x7f, v56
	s_cbranch_execz .LBB242_239
; %bb.236:                              ;   in Loop: Header=BB242_12 Depth=1
	v_and_b32_sdwa v53, v1, v20 dst_sel:DWORD dst_unused:UNUSED_PAD src0_sel:WORD_0 src1_sel:DWORD
	v_lshrrev_b32_e32 v55, 3, v56
	s_mov_b32 s43, exec_lo
	v_cmpx_gt_u32_e32 8, v56
; %bb.237:                              ;   in Loop: Header=BB242_12 Depth=1
	v_ffbh_u32_e32 v53, v53
	v_min_u32_e32 v53, 32, v53
	v_subrev_nc_u32_e32 v55, 28, v53
	v_lshlrev_b64 v[56:57], v55, v[1:2]
	v_sub_nc_u32_e32 v55, 29, v53
	v_and_b32_e32 v53, 7, v56
; %bb.238:                              ;   in Loop: Header=BB242_12 Depth=1
	s_or_b32 exec_lo, exec_lo, s43
	v_lshlrev_b32_sdwa v1, v21, v1 dst_sel:DWORD dst_unused:UNUSED_PAD src0_sel:DWORD src1_sel:WORD_0
	v_lshl_add_u32 v55, v55, 10, 0x2000
	v_lshlrev_b32_e32 v53, 23, v53
	v_and_or_b32 v1, 0x8000, v1, v55
	v_lshl_or_b32 v53, v1, 16, v53
.LBB242_239:                            ;   in Loop: Header=BB242_12 Depth=1
	s_or_b32 exec_lo, exec_lo, s42
.LBB242_240:                            ;   in Loop: Header=BB242_12 Depth=1
	s_or_b32 exec_lo, exec_lo, s41
.LBB242_241:                            ;   in Loop: Header=BB242_12 Depth=1
	s_or_b32 exec_lo, exec_lo, s40
	global_load_ushort v56, v[7:8], off offset:896
	v_mov_b32_e32 v55, 0
	s_waitcnt vmcnt(0)
	v_and_b32_e32 v1, 0xffff, v56
	v_cmp_ne_u16_sdwa s2, v56, v2 src0_sel:BYTE_0 src1_sel:DWORD
	v_mov_b32_e32 v56, 0
	s_and_saveexec_b32 s40, s2
	s_cbranch_execz .LBB242_249
; %bb.242:                              ;   in Loop: Header=BB242_12 Depth=1
	v_cmp_ne_u16_sdwa s2, v1, v18 src0_sel:BYTE_0 src1_sel:DWORD
	v_mov_b32_e32 v56, 0x8000
	s_and_saveexec_b32 s41, s2
	s_cbranch_execz .LBB242_248
; %bb.243:                              ;   in Loop: Header=BB242_12 Depth=1
	v_and_b32_e32 v58, 0x7f, v1
	v_mov_b32_e32 v56, 0x7c01
	s_mov_b32 s42, exec_lo
	v_cmpx_ne_u32_e32 0x7f, v58
	s_cbranch_execz .LBB242_247
; %bb.244:                              ;   in Loop: Header=BB242_12 Depth=1
	v_and_b32_e32 v56, 7, v1
	v_lshrrev_b32_e32 v57, 3, v58
	s_mov_b32 s43, exec_lo
	v_cmpx_gt_u32_e32 8, v58
; %bb.245:                              ;   in Loop: Header=BB242_12 Depth=1
	v_ffbh_u32_e32 v56, v56
	v_min_u32_e32 v58, 32, v56
	v_subrev_nc_u32_e32 v56, 28, v58
	v_lshlrev_b64 v[56:57], v56, v[1:2]
	v_sub_nc_u32_e32 v57, 29, v58
	v_and_b32_e32 v56, 7, v56
; %bb.246:                              ;   in Loop: Header=BB242_12 Depth=1
	s_or_b32 exec_lo, exec_lo, s43
	v_lshlrev_b32_e32 v58, 8, v1
	v_lshl_add_u32 v57, v57, 10, 0x2000
	v_lshlrev_b32_e32 v56, 7, v56
	v_and_b32_e32 v58, 0x8000, v58
	v_and_b32_e32 v57, 0xfc00, v57
	v_or3_b32 v56, v58, v57, v56
.LBB242_247:                            ;   in Loop: Header=BB242_12 Depth=1
	s_or_b32 exec_lo, exec_lo, s42
.LBB242_248:                            ;   in Loop: Header=BB242_12 Depth=1
	s_or_b32 exec_lo, exec_lo, s41
.LBB242_249:                            ;   in Loop: Header=BB242_12 Depth=1
	s_or_b32 exec_lo, exec_lo, s40
	v_lshrrev_b16 v1, 8, v1
	s_mov_b32 s40, exec_lo
	v_cmpx_ne_u16_e32 0, v1
	s_cbranch_execz .LBB242_257
; %bb.250:                              ;   in Loop: Header=BB242_12 Depth=1
	v_bfrev_b32_e32 v55, 1
	s_mov_b32 s41, exec_lo
	v_cmpx_ne_u16_e32 0x80, v1
	s_cbranch_execz .LBB242_256
; %bb.251:                              ;   in Loop: Header=BB242_12 Depth=1
	v_and_b32_sdwa v58, v1, v19 dst_sel:DWORD dst_unused:UNUSED_PAD src0_sel:WORD_0 src1_sel:DWORD
	v_mov_b32_e32 v55, 0x7c010000
	s_mov_b32 s42, exec_lo
	v_cmpx_ne_u32_e32 0x7f, v58
	s_cbranch_execz .LBB242_255
; %bb.252:                              ;   in Loop: Header=BB242_12 Depth=1
	v_and_b32_sdwa v55, v1, v20 dst_sel:DWORD dst_unused:UNUSED_PAD src0_sel:WORD_0 src1_sel:DWORD
	v_lshrrev_b32_e32 v57, 3, v58
	s_mov_b32 s43, exec_lo
	v_cmpx_gt_u32_e32 8, v58
; %bb.253:                              ;   in Loop: Header=BB242_12 Depth=1
	v_ffbh_u32_e32 v55, v55
	v_min_u32_e32 v55, 32, v55
	v_subrev_nc_u32_e32 v57, 28, v55
	v_lshlrev_b64 v[58:59], v57, v[1:2]
	v_sub_nc_u32_e32 v57, 29, v55
	v_and_b32_e32 v55, 7, v58
; %bb.254:                              ;   in Loop: Header=BB242_12 Depth=1
	s_or_b32 exec_lo, exec_lo, s43
	v_lshlrev_b32_sdwa v1, v21, v1 dst_sel:DWORD dst_unused:UNUSED_PAD src0_sel:DWORD src1_sel:WORD_0
	v_lshl_add_u32 v57, v57, 10, 0x2000
	v_lshlrev_b32_e32 v55, 23, v55
	v_and_or_b32 v1, 0x8000, v1, v57
	v_lshl_or_b32 v55, v1, 16, v55
.LBB242_255:                            ;   in Loop: Header=BB242_12 Depth=1
	s_or_b32 exec_lo, exec_lo, s42
.LBB242_256:                            ;   in Loop: Header=BB242_12 Depth=1
	s_or_b32 exec_lo, exec_lo, s41
.LBB242_257:                            ;   in Loop: Header=BB242_12 Depth=1
	s_or_b32 exec_lo, exec_lo, s40
	global_load_ushort v58, v[7:8], off offset:904
	v_mov_b32_e32 v57, 0
	s_waitcnt vmcnt(0)
	v_and_b32_e32 v1, 0xffff, v58
	v_cmp_ne_u16_sdwa s2, v58, v2 src0_sel:BYTE_0 src1_sel:DWORD
	v_mov_b32_e32 v58, 0
	s_and_saveexec_b32 s40, s2
	s_cbranch_execz .LBB242_265
; %bb.258:                              ;   in Loop: Header=BB242_12 Depth=1
	v_cmp_ne_u16_sdwa s2, v1, v18 src0_sel:BYTE_0 src1_sel:DWORD
	v_mov_b32_e32 v58, 0x8000
	s_and_saveexec_b32 s41, s2
	s_cbranch_execz .LBB242_264
; %bb.259:                              ;   in Loop: Header=BB242_12 Depth=1
	v_and_b32_e32 v60, 0x7f, v1
	v_mov_b32_e32 v58, 0x7c01
	s_mov_b32 s42, exec_lo
	v_cmpx_ne_u32_e32 0x7f, v60
	s_cbranch_execz .LBB242_263
; %bb.260:                              ;   in Loop: Header=BB242_12 Depth=1
	v_and_b32_e32 v58, 7, v1
	v_lshrrev_b32_e32 v59, 3, v60
	s_mov_b32 s43, exec_lo
	v_cmpx_gt_u32_e32 8, v60
; %bb.261:                              ;   in Loop: Header=BB242_12 Depth=1
	v_ffbh_u32_e32 v58, v58
	v_min_u32_e32 v60, 32, v58
	v_subrev_nc_u32_e32 v58, 28, v60
	v_lshlrev_b64 v[58:59], v58, v[1:2]
	v_sub_nc_u32_e32 v59, 29, v60
	v_and_b32_e32 v58, 7, v58
; %bb.262:                              ;   in Loop: Header=BB242_12 Depth=1
	s_or_b32 exec_lo, exec_lo, s43
	v_lshlrev_b32_e32 v60, 8, v1
	v_lshl_add_u32 v59, v59, 10, 0x2000
	v_lshlrev_b32_e32 v58, 7, v58
	v_and_b32_e32 v60, 0x8000, v60
	v_and_b32_e32 v59, 0xfc00, v59
	v_or3_b32 v58, v60, v59, v58
.LBB242_263:                            ;   in Loop: Header=BB242_12 Depth=1
	s_or_b32 exec_lo, exec_lo, s42
.LBB242_264:                            ;   in Loop: Header=BB242_12 Depth=1
	s_or_b32 exec_lo, exec_lo, s41
.LBB242_265:                            ;   in Loop: Header=BB242_12 Depth=1
	s_or_b32 exec_lo, exec_lo, s40
	v_lshrrev_b16 v1, 8, v1
	s_mov_b32 s40, exec_lo
	v_cmpx_ne_u16_e32 0, v1
	s_cbranch_execz .LBB242_273
; %bb.266:                              ;   in Loop: Header=BB242_12 Depth=1
	v_bfrev_b32_e32 v57, 1
	s_mov_b32 s41, exec_lo
	v_cmpx_ne_u16_e32 0x80, v1
	s_cbranch_execz .LBB242_272
; %bb.267:                              ;   in Loop: Header=BB242_12 Depth=1
	v_and_b32_sdwa v60, v1, v19 dst_sel:DWORD dst_unused:UNUSED_PAD src0_sel:WORD_0 src1_sel:DWORD
	v_mov_b32_e32 v57, 0x7c010000
	s_mov_b32 s42, exec_lo
	v_cmpx_ne_u32_e32 0x7f, v60
	s_cbranch_execz .LBB242_271
; %bb.268:                              ;   in Loop: Header=BB242_12 Depth=1
	v_and_b32_sdwa v57, v1, v20 dst_sel:DWORD dst_unused:UNUSED_PAD src0_sel:WORD_0 src1_sel:DWORD
	v_lshrrev_b32_e32 v59, 3, v60
	s_mov_b32 s43, exec_lo
	v_cmpx_gt_u32_e32 8, v60
; %bb.269:                              ;   in Loop: Header=BB242_12 Depth=1
	v_ffbh_u32_e32 v57, v57
	v_min_u32_e32 v57, 32, v57
	v_subrev_nc_u32_e32 v59, 28, v57
	v_lshlrev_b64 v[60:61], v59, v[1:2]
	v_sub_nc_u32_e32 v59, 29, v57
	v_and_b32_e32 v57, 7, v60
; %bb.270:                              ;   in Loop: Header=BB242_12 Depth=1
	s_or_b32 exec_lo, exec_lo, s43
	v_lshlrev_b32_sdwa v1, v21, v1 dst_sel:DWORD dst_unused:UNUSED_PAD src0_sel:DWORD src1_sel:WORD_0
	v_lshl_add_u32 v59, v59, 10, 0x2000
	v_lshlrev_b32_e32 v57, 23, v57
	v_and_or_b32 v1, 0x8000, v1, v59
	v_lshl_or_b32 v57, v1, 16, v57
.LBB242_271:                            ;   in Loop: Header=BB242_12 Depth=1
	s_or_b32 exec_lo, exec_lo, s42
.LBB242_272:                            ;   in Loop: Header=BB242_12 Depth=1
	s_or_b32 exec_lo, exec_lo, s41
.LBB242_273:                            ;   in Loop: Header=BB242_12 Depth=1
	s_or_b32 exec_lo, exec_lo, s40
	global_load_ushort v60, v[7:8], off offset:1024
	v_mov_b32_e32 v59, 0
	s_waitcnt vmcnt(0)
	v_and_b32_e32 v1, 0xffff, v60
	v_cmp_ne_u16_sdwa s2, v60, v2 src0_sel:BYTE_0 src1_sel:DWORD
	v_mov_b32_e32 v60, 0
	s_and_saveexec_b32 s40, s2
	s_cbranch_execz .LBB242_281
; %bb.274:                              ;   in Loop: Header=BB242_12 Depth=1
	v_cmp_ne_u16_sdwa s2, v1, v18 src0_sel:BYTE_0 src1_sel:DWORD
	v_mov_b32_e32 v60, 0x8000
	s_and_saveexec_b32 s41, s2
	s_cbranch_execz .LBB242_280
; %bb.275:                              ;   in Loop: Header=BB242_12 Depth=1
	v_and_b32_e32 v62, 0x7f, v1
	v_mov_b32_e32 v60, 0x7c01
	s_mov_b32 s42, exec_lo
	v_cmpx_ne_u32_e32 0x7f, v62
	s_cbranch_execz .LBB242_279
; %bb.276:                              ;   in Loop: Header=BB242_12 Depth=1
	v_and_b32_e32 v60, 7, v1
	v_lshrrev_b32_e32 v61, 3, v62
	s_mov_b32 s43, exec_lo
	v_cmpx_gt_u32_e32 8, v62
; %bb.277:                              ;   in Loop: Header=BB242_12 Depth=1
	v_ffbh_u32_e32 v60, v60
	v_min_u32_e32 v62, 32, v60
	v_subrev_nc_u32_e32 v60, 28, v62
	v_lshlrev_b64 v[60:61], v60, v[1:2]
	v_sub_nc_u32_e32 v61, 29, v62
	v_and_b32_e32 v60, 7, v60
; %bb.278:                              ;   in Loop: Header=BB242_12 Depth=1
	s_or_b32 exec_lo, exec_lo, s43
	v_lshlrev_b32_e32 v62, 8, v1
	v_lshl_add_u32 v61, v61, 10, 0x2000
	v_lshlrev_b32_e32 v60, 7, v60
	v_and_b32_e32 v62, 0x8000, v62
	v_and_b32_e32 v61, 0xfc00, v61
	v_or3_b32 v60, v62, v61, v60
.LBB242_279:                            ;   in Loop: Header=BB242_12 Depth=1
	s_or_b32 exec_lo, exec_lo, s42
.LBB242_280:                            ;   in Loop: Header=BB242_12 Depth=1
	s_or_b32 exec_lo, exec_lo, s41
.LBB242_281:                            ;   in Loop: Header=BB242_12 Depth=1
	s_or_b32 exec_lo, exec_lo, s40
	v_lshrrev_b16 v1, 8, v1
	s_mov_b32 s40, exec_lo
	v_cmpx_ne_u16_e32 0, v1
	s_cbranch_execz .LBB242_289
; %bb.282:                              ;   in Loop: Header=BB242_12 Depth=1
	v_bfrev_b32_e32 v59, 1
	s_mov_b32 s41, exec_lo
	v_cmpx_ne_u16_e32 0x80, v1
	s_cbranch_execz .LBB242_288
; %bb.283:                              ;   in Loop: Header=BB242_12 Depth=1
	v_and_b32_sdwa v62, v1, v19 dst_sel:DWORD dst_unused:UNUSED_PAD src0_sel:WORD_0 src1_sel:DWORD
	v_mov_b32_e32 v59, 0x7c010000
	s_mov_b32 s42, exec_lo
	v_cmpx_ne_u32_e32 0x7f, v62
	s_cbranch_execz .LBB242_287
; %bb.284:                              ;   in Loop: Header=BB242_12 Depth=1
	v_and_b32_sdwa v59, v1, v20 dst_sel:DWORD dst_unused:UNUSED_PAD src0_sel:WORD_0 src1_sel:DWORD
	v_lshrrev_b32_e32 v61, 3, v62
	s_mov_b32 s43, exec_lo
	v_cmpx_gt_u32_e32 8, v62
; %bb.285:                              ;   in Loop: Header=BB242_12 Depth=1
	v_ffbh_u32_e32 v59, v59
	v_min_u32_e32 v59, 32, v59
	v_subrev_nc_u32_e32 v61, 28, v59
	v_lshlrev_b64 v[62:63], v61, v[1:2]
	v_sub_nc_u32_e32 v61, 29, v59
	v_and_b32_e32 v59, 7, v62
; %bb.286:                              ;   in Loop: Header=BB242_12 Depth=1
	s_or_b32 exec_lo, exec_lo, s43
	v_lshlrev_b32_sdwa v1, v21, v1 dst_sel:DWORD dst_unused:UNUSED_PAD src0_sel:DWORD src1_sel:WORD_0
	v_lshl_add_u32 v61, v61, 10, 0x2000
	v_lshlrev_b32_e32 v59, 23, v59
	v_and_or_b32 v1, 0x8000, v1, v61
	v_lshl_or_b32 v59, v1, 16, v59
.LBB242_287:                            ;   in Loop: Header=BB242_12 Depth=1
	s_or_b32 exec_lo, exec_lo, s42
.LBB242_288:                            ;   in Loop: Header=BB242_12 Depth=1
	s_or_b32 exec_lo, exec_lo, s41
.LBB242_289:                            ;   in Loop: Header=BB242_12 Depth=1
	s_or_b32 exec_lo, exec_lo, s40
	global_load_ushort v62, v[7:8], off offset:1032
	v_mov_b32_e32 v61, 0
	s_waitcnt vmcnt(0)
	v_and_b32_e32 v1, 0xffff, v62
	v_cmp_ne_u16_sdwa s2, v62, v2 src0_sel:BYTE_0 src1_sel:DWORD
	v_mov_b32_e32 v62, 0
	s_and_saveexec_b32 s40, s2
	s_cbranch_execz .LBB242_297
; %bb.290:                              ;   in Loop: Header=BB242_12 Depth=1
	v_cmp_ne_u16_sdwa s2, v1, v18 src0_sel:BYTE_0 src1_sel:DWORD
	v_mov_b32_e32 v62, 0x8000
	s_and_saveexec_b32 s41, s2
	s_cbranch_execz .LBB242_296
; %bb.291:                              ;   in Loop: Header=BB242_12 Depth=1
	v_and_b32_e32 v64, 0x7f, v1
	v_mov_b32_e32 v62, 0x7c01
	s_mov_b32 s42, exec_lo
	v_cmpx_ne_u32_e32 0x7f, v64
	s_cbranch_execz .LBB242_295
; %bb.292:                              ;   in Loop: Header=BB242_12 Depth=1
	v_and_b32_e32 v62, 7, v1
	v_lshrrev_b32_e32 v63, 3, v64
	s_mov_b32 s43, exec_lo
	v_cmpx_gt_u32_e32 8, v64
; %bb.293:                              ;   in Loop: Header=BB242_12 Depth=1
	v_ffbh_u32_e32 v62, v62
	v_min_u32_e32 v64, 32, v62
	v_subrev_nc_u32_e32 v62, 28, v64
	v_lshlrev_b64 v[62:63], v62, v[1:2]
	v_sub_nc_u32_e32 v63, 29, v64
	v_and_b32_e32 v62, 7, v62
; %bb.294:                              ;   in Loop: Header=BB242_12 Depth=1
	s_or_b32 exec_lo, exec_lo, s43
	v_lshlrev_b32_e32 v64, 8, v1
	v_lshl_add_u32 v63, v63, 10, 0x2000
	v_lshlrev_b32_e32 v62, 7, v62
	v_and_b32_e32 v64, 0x8000, v64
	v_and_b32_e32 v63, 0xfc00, v63
	v_or3_b32 v62, v64, v63, v62
.LBB242_295:                            ;   in Loop: Header=BB242_12 Depth=1
	s_or_b32 exec_lo, exec_lo, s42
.LBB242_296:                            ;   in Loop: Header=BB242_12 Depth=1
	s_or_b32 exec_lo, exec_lo, s41
.LBB242_297:                            ;   in Loop: Header=BB242_12 Depth=1
	s_or_b32 exec_lo, exec_lo, s40
	v_lshrrev_b16 v1, 8, v1
	s_mov_b32 s40, exec_lo
	v_cmpx_ne_u16_e32 0, v1
	s_cbranch_execz .LBB242_305
; %bb.298:                              ;   in Loop: Header=BB242_12 Depth=1
	v_bfrev_b32_e32 v61, 1
	s_mov_b32 s41, exec_lo
	v_cmpx_ne_u16_e32 0x80, v1
	s_cbranch_execz .LBB242_304
; %bb.299:                              ;   in Loop: Header=BB242_12 Depth=1
	v_and_b32_sdwa v64, v1, v19 dst_sel:DWORD dst_unused:UNUSED_PAD src0_sel:WORD_0 src1_sel:DWORD
	v_mov_b32_e32 v61, 0x7c010000
	s_mov_b32 s42, exec_lo
	v_cmpx_ne_u32_e32 0x7f, v64
	s_cbranch_execz .LBB242_303
; %bb.300:                              ;   in Loop: Header=BB242_12 Depth=1
	v_and_b32_sdwa v61, v1, v20 dst_sel:DWORD dst_unused:UNUSED_PAD src0_sel:WORD_0 src1_sel:DWORD
	v_lshrrev_b32_e32 v63, 3, v64
	s_mov_b32 s43, exec_lo
	v_cmpx_gt_u32_e32 8, v64
; %bb.301:                              ;   in Loop: Header=BB242_12 Depth=1
	v_ffbh_u32_e32 v61, v61
	v_min_u32_e32 v61, 32, v61
	v_subrev_nc_u32_e32 v63, 28, v61
	v_lshlrev_b64 v[64:65], v63, v[1:2]
	v_sub_nc_u32_e32 v63, 29, v61
	v_and_b32_e32 v61, 7, v64
; %bb.302:                              ;   in Loop: Header=BB242_12 Depth=1
	s_or_b32 exec_lo, exec_lo, s43
	v_lshlrev_b32_sdwa v1, v21, v1 dst_sel:DWORD dst_unused:UNUSED_PAD src0_sel:DWORD src1_sel:WORD_0
	v_lshl_add_u32 v63, v63, 10, 0x2000
	v_lshlrev_b32_e32 v61, 23, v61
	v_and_or_b32 v1, 0x8000, v1, v63
	v_lshl_or_b32 v61, v1, 16, v61
.LBB242_303:                            ;   in Loop: Header=BB242_12 Depth=1
	s_or_b32 exec_lo, exec_lo, s42
.LBB242_304:                            ;   in Loop: Header=BB242_12 Depth=1
	s_or_b32 exec_lo, exec_lo, s41
.LBB242_305:                            ;   in Loop: Header=BB242_12 Depth=1
	s_or_b32 exec_lo, exec_lo, s40
	global_load_ushort v64, v[7:8], off offset:1152
	v_mov_b32_e32 v63, 0
	s_waitcnt vmcnt(0)
	v_and_b32_e32 v1, 0xffff, v64
	v_cmp_ne_u16_sdwa s2, v64, v2 src0_sel:BYTE_0 src1_sel:DWORD
	v_mov_b32_e32 v64, 0
	s_and_saveexec_b32 s40, s2
	s_cbranch_execz .LBB242_313
; %bb.306:                              ;   in Loop: Header=BB242_12 Depth=1
	v_cmp_ne_u16_sdwa s2, v1, v18 src0_sel:BYTE_0 src1_sel:DWORD
	v_mov_b32_e32 v64, 0x8000
	s_and_saveexec_b32 s41, s2
	s_cbranch_execz .LBB242_312
; %bb.307:                              ;   in Loop: Header=BB242_12 Depth=1
	v_and_b32_e32 v66, 0x7f, v1
	v_mov_b32_e32 v64, 0x7c01
	s_mov_b32 s42, exec_lo
	v_cmpx_ne_u32_e32 0x7f, v66
	s_cbranch_execz .LBB242_311
; %bb.308:                              ;   in Loop: Header=BB242_12 Depth=1
	v_and_b32_e32 v64, 7, v1
	v_lshrrev_b32_e32 v65, 3, v66
	s_mov_b32 s43, exec_lo
	v_cmpx_gt_u32_e32 8, v66
; %bb.309:                              ;   in Loop: Header=BB242_12 Depth=1
	v_ffbh_u32_e32 v64, v64
	v_min_u32_e32 v66, 32, v64
	v_subrev_nc_u32_e32 v64, 28, v66
	v_lshlrev_b64 v[64:65], v64, v[1:2]
	v_sub_nc_u32_e32 v65, 29, v66
	v_and_b32_e32 v64, 7, v64
; %bb.310:                              ;   in Loop: Header=BB242_12 Depth=1
	s_or_b32 exec_lo, exec_lo, s43
	v_lshlrev_b32_e32 v66, 8, v1
	v_lshl_add_u32 v65, v65, 10, 0x2000
	v_lshlrev_b32_e32 v64, 7, v64
	v_and_b32_e32 v66, 0x8000, v66
	v_and_b32_e32 v65, 0xfc00, v65
	v_or3_b32 v64, v66, v65, v64
.LBB242_311:                            ;   in Loop: Header=BB242_12 Depth=1
	s_or_b32 exec_lo, exec_lo, s42
.LBB242_312:                            ;   in Loop: Header=BB242_12 Depth=1
	s_or_b32 exec_lo, exec_lo, s41
.LBB242_313:                            ;   in Loop: Header=BB242_12 Depth=1
	s_or_b32 exec_lo, exec_lo, s40
	v_lshrrev_b16 v1, 8, v1
	s_mov_b32 s40, exec_lo
	v_cmpx_ne_u16_e32 0, v1
	s_cbranch_execz .LBB242_321
; %bb.314:                              ;   in Loop: Header=BB242_12 Depth=1
	v_bfrev_b32_e32 v63, 1
	s_mov_b32 s41, exec_lo
	v_cmpx_ne_u16_e32 0x80, v1
	s_cbranch_execz .LBB242_320
; %bb.315:                              ;   in Loop: Header=BB242_12 Depth=1
	v_and_b32_sdwa v66, v1, v19 dst_sel:DWORD dst_unused:UNUSED_PAD src0_sel:WORD_0 src1_sel:DWORD
	v_mov_b32_e32 v63, 0x7c010000
	s_mov_b32 s42, exec_lo
	v_cmpx_ne_u32_e32 0x7f, v66
	s_cbranch_execz .LBB242_319
; %bb.316:                              ;   in Loop: Header=BB242_12 Depth=1
	v_and_b32_sdwa v63, v1, v20 dst_sel:DWORD dst_unused:UNUSED_PAD src0_sel:WORD_0 src1_sel:DWORD
	v_lshrrev_b32_e32 v65, 3, v66
	s_mov_b32 s43, exec_lo
	v_cmpx_gt_u32_e32 8, v66
; %bb.317:                              ;   in Loop: Header=BB242_12 Depth=1
	v_ffbh_u32_e32 v63, v63
	v_min_u32_e32 v63, 32, v63
	v_subrev_nc_u32_e32 v65, 28, v63
	v_lshlrev_b64 v[66:67], v65, v[1:2]
	v_sub_nc_u32_e32 v65, 29, v63
	v_and_b32_e32 v63, 7, v66
; %bb.318:                              ;   in Loop: Header=BB242_12 Depth=1
	s_or_b32 exec_lo, exec_lo, s43
	v_lshlrev_b32_sdwa v1, v21, v1 dst_sel:DWORD dst_unused:UNUSED_PAD src0_sel:DWORD src1_sel:WORD_0
	v_lshl_add_u32 v65, v65, 10, 0x2000
	v_lshlrev_b32_e32 v63, 23, v63
	v_and_or_b32 v1, 0x8000, v1, v65
	v_lshl_or_b32 v63, v1, 16, v63
.LBB242_319:                            ;   in Loop: Header=BB242_12 Depth=1
	s_or_b32 exec_lo, exec_lo, s42
.LBB242_320:                            ;   in Loop: Header=BB242_12 Depth=1
	s_or_b32 exec_lo, exec_lo, s41
.LBB242_321:                            ;   in Loop: Header=BB242_12 Depth=1
	s_or_b32 exec_lo, exec_lo, s40
	global_load_ushort v66, v[7:8], off offset:1160
	v_mov_b32_e32 v65, 0
	s_waitcnt vmcnt(0)
	v_and_b32_e32 v1, 0xffff, v66
	v_cmp_ne_u16_sdwa s2, v66, v2 src0_sel:BYTE_0 src1_sel:DWORD
	v_mov_b32_e32 v66, 0
	s_and_saveexec_b32 s40, s2
	s_cbranch_execz .LBB242_329
; %bb.322:                              ;   in Loop: Header=BB242_12 Depth=1
	v_cmp_ne_u16_sdwa s2, v1, v18 src0_sel:BYTE_0 src1_sel:DWORD
	v_mov_b32_e32 v66, 0x8000
	s_and_saveexec_b32 s41, s2
	s_cbranch_execz .LBB242_328
; %bb.323:                              ;   in Loop: Header=BB242_12 Depth=1
	v_and_b32_e32 v68, 0x7f, v1
	v_mov_b32_e32 v66, 0x7c01
	s_mov_b32 s42, exec_lo
	v_cmpx_ne_u32_e32 0x7f, v68
	s_cbranch_execz .LBB242_327
; %bb.324:                              ;   in Loop: Header=BB242_12 Depth=1
	v_and_b32_e32 v66, 7, v1
	v_lshrrev_b32_e32 v67, 3, v68
	s_mov_b32 s43, exec_lo
	v_cmpx_gt_u32_e32 8, v68
; %bb.325:                              ;   in Loop: Header=BB242_12 Depth=1
	v_ffbh_u32_e32 v66, v66
	v_min_u32_e32 v68, 32, v66
	v_subrev_nc_u32_e32 v66, 28, v68
	v_lshlrev_b64 v[66:67], v66, v[1:2]
	v_sub_nc_u32_e32 v67, 29, v68
	v_and_b32_e32 v66, 7, v66
; %bb.326:                              ;   in Loop: Header=BB242_12 Depth=1
	s_or_b32 exec_lo, exec_lo, s43
	v_lshlrev_b32_e32 v68, 8, v1
	v_lshl_add_u32 v67, v67, 10, 0x2000
	v_lshlrev_b32_e32 v66, 7, v66
	v_and_b32_e32 v68, 0x8000, v68
	v_and_b32_e32 v67, 0xfc00, v67
	v_or3_b32 v66, v68, v67, v66
.LBB242_327:                            ;   in Loop: Header=BB242_12 Depth=1
	s_or_b32 exec_lo, exec_lo, s42
.LBB242_328:                            ;   in Loop: Header=BB242_12 Depth=1
	s_or_b32 exec_lo, exec_lo, s41
.LBB242_329:                            ;   in Loop: Header=BB242_12 Depth=1
	s_or_b32 exec_lo, exec_lo, s40
	v_lshrrev_b16 v1, 8, v1
	s_mov_b32 s40, exec_lo
	v_cmpx_ne_u16_e32 0, v1
	s_cbranch_execz .LBB242_337
; %bb.330:                              ;   in Loop: Header=BB242_12 Depth=1
	v_bfrev_b32_e32 v65, 1
	s_mov_b32 s41, exec_lo
	v_cmpx_ne_u16_e32 0x80, v1
	s_cbranch_execz .LBB242_336
; %bb.331:                              ;   in Loop: Header=BB242_12 Depth=1
	v_and_b32_sdwa v68, v1, v19 dst_sel:DWORD dst_unused:UNUSED_PAD src0_sel:WORD_0 src1_sel:DWORD
	v_mov_b32_e32 v65, 0x7c010000
	s_mov_b32 s42, exec_lo
	v_cmpx_ne_u32_e32 0x7f, v68
	s_cbranch_execz .LBB242_335
; %bb.332:                              ;   in Loop: Header=BB242_12 Depth=1
	v_and_b32_sdwa v65, v1, v20 dst_sel:DWORD dst_unused:UNUSED_PAD src0_sel:WORD_0 src1_sel:DWORD
	v_lshrrev_b32_e32 v67, 3, v68
	s_mov_b32 s43, exec_lo
	v_cmpx_gt_u32_e32 8, v68
; %bb.333:                              ;   in Loop: Header=BB242_12 Depth=1
	v_ffbh_u32_e32 v65, v65
	v_min_u32_e32 v65, 32, v65
	v_subrev_nc_u32_e32 v67, 28, v65
	v_lshlrev_b64 v[68:69], v67, v[1:2]
	v_sub_nc_u32_e32 v67, 29, v65
	v_and_b32_e32 v65, 7, v68
; %bb.334:                              ;   in Loop: Header=BB242_12 Depth=1
	s_or_b32 exec_lo, exec_lo, s43
	v_lshlrev_b32_sdwa v1, v21, v1 dst_sel:DWORD dst_unused:UNUSED_PAD src0_sel:DWORD src1_sel:WORD_0
	v_lshl_add_u32 v67, v67, 10, 0x2000
	v_lshlrev_b32_e32 v65, 23, v65
	v_and_or_b32 v1, 0x8000, v1, v67
	v_lshl_or_b32 v65, v1, 16, v65
.LBB242_335:                            ;   in Loop: Header=BB242_12 Depth=1
	s_or_b32 exec_lo, exec_lo, s42
.LBB242_336:                            ;   in Loop: Header=BB242_12 Depth=1
	s_or_b32 exec_lo, exec_lo, s41
.LBB242_337:                            ;   in Loop: Header=BB242_12 Depth=1
	s_or_b32 exec_lo, exec_lo, s40
	global_load_ushort v68, v[7:8], off offset:1280
	v_mov_b32_e32 v67, 0
	s_waitcnt vmcnt(0)
	v_and_b32_e32 v1, 0xffff, v68
	v_cmp_ne_u16_sdwa s2, v68, v2 src0_sel:BYTE_0 src1_sel:DWORD
	v_mov_b32_e32 v68, 0
	s_and_saveexec_b32 s40, s2
	s_cbranch_execz .LBB242_345
; %bb.338:                              ;   in Loop: Header=BB242_12 Depth=1
	v_cmp_ne_u16_sdwa s2, v1, v18 src0_sel:BYTE_0 src1_sel:DWORD
	v_mov_b32_e32 v68, 0x8000
	s_and_saveexec_b32 s41, s2
	s_cbranch_execz .LBB242_344
; %bb.339:                              ;   in Loop: Header=BB242_12 Depth=1
	v_and_b32_e32 v70, 0x7f, v1
	v_mov_b32_e32 v68, 0x7c01
	s_mov_b32 s42, exec_lo
	v_cmpx_ne_u32_e32 0x7f, v70
	s_cbranch_execz .LBB242_343
; %bb.340:                              ;   in Loop: Header=BB242_12 Depth=1
	v_and_b32_e32 v68, 7, v1
	v_lshrrev_b32_e32 v69, 3, v70
	s_mov_b32 s43, exec_lo
	v_cmpx_gt_u32_e32 8, v70
; %bb.341:                              ;   in Loop: Header=BB242_12 Depth=1
	v_ffbh_u32_e32 v68, v68
	v_min_u32_e32 v70, 32, v68
	v_subrev_nc_u32_e32 v68, 28, v70
	v_lshlrev_b64 v[68:69], v68, v[1:2]
	v_sub_nc_u32_e32 v69, 29, v70
	v_and_b32_e32 v68, 7, v68
; %bb.342:                              ;   in Loop: Header=BB242_12 Depth=1
	s_or_b32 exec_lo, exec_lo, s43
	v_lshlrev_b32_e32 v70, 8, v1
	v_lshl_add_u32 v69, v69, 10, 0x2000
	v_lshlrev_b32_e32 v68, 7, v68
	v_and_b32_e32 v70, 0x8000, v70
	v_and_b32_e32 v69, 0xfc00, v69
	v_or3_b32 v68, v70, v69, v68
.LBB242_343:                            ;   in Loop: Header=BB242_12 Depth=1
	s_or_b32 exec_lo, exec_lo, s42
.LBB242_344:                            ;   in Loop: Header=BB242_12 Depth=1
	s_or_b32 exec_lo, exec_lo, s41
.LBB242_345:                            ;   in Loop: Header=BB242_12 Depth=1
	s_or_b32 exec_lo, exec_lo, s40
	v_lshrrev_b16 v1, 8, v1
	s_mov_b32 s40, exec_lo
	v_cmpx_ne_u16_e32 0, v1
	s_cbranch_execz .LBB242_353
; %bb.346:                              ;   in Loop: Header=BB242_12 Depth=1
	v_bfrev_b32_e32 v67, 1
	s_mov_b32 s41, exec_lo
	v_cmpx_ne_u16_e32 0x80, v1
	s_cbranch_execz .LBB242_352
; %bb.347:                              ;   in Loop: Header=BB242_12 Depth=1
	v_and_b32_sdwa v70, v1, v19 dst_sel:DWORD dst_unused:UNUSED_PAD src0_sel:WORD_0 src1_sel:DWORD
	v_mov_b32_e32 v67, 0x7c010000
	s_mov_b32 s42, exec_lo
	v_cmpx_ne_u32_e32 0x7f, v70
	s_cbranch_execz .LBB242_351
; %bb.348:                              ;   in Loop: Header=BB242_12 Depth=1
	v_and_b32_sdwa v67, v1, v20 dst_sel:DWORD dst_unused:UNUSED_PAD src0_sel:WORD_0 src1_sel:DWORD
	v_lshrrev_b32_e32 v69, 3, v70
	s_mov_b32 s43, exec_lo
	v_cmpx_gt_u32_e32 8, v70
; %bb.349:                              ;   in Loop: Header=BB242_12 Depth=1
	v_ffbh_u32_e32 v67, v67
	v_min_u32_e32 v67, 32, v67
	v_subrev_nc_u32_e32 v69, 28, v67
	v_lshlrev_b64 v[70:71], v69, v[1:2]
	v_sub_nc_u32_e32 v69, 29, v67
	v_and_b32_e32 v67, 7, v70
; %bb.350:                              ;   in Loop: Header=BB242_12 Depth=1
	s_or_b32 exec_lo, exec_lo, s43
	v_lshlrev_b32_sdwa v1, v21, v1 dst_sel:DWORD dst_unused:UNUSED_PAD src0_sel:DWORD src1_sel:WORD_0
	v_lshl_add_u32 v69, v69, 10, 0x2000
	v_lshlrev_b32_e32 v67, 23, v67
	v_and_or_b32 v1, 0x8000, v1, v69
	v_lshl_or_b32 v67, v1, 16, v67
.LBB242_351:                            ;   in Loop: Header=BB242_12 Depth=1
	s_or_b32 exec_lo, exec_lo, s42
.LBB242_352:                            ;   in Loop: Header=BB242_12 Depth=1
	s_or_b32 exec_lo, exec_lo, s41
.LBB242_353:                            ;   in Loop: Header=BB242_12 Depth=1
	s_or_b32 exec_lo, exec_lo, s40
	global_load_ushort v70, v[7:8], off offset:1288
	v_mov_b32_e32 v69, 0
	s_waitcnt vmcnt(0)
	v_and_b32_e32 v1, 0xffff, v70
	v_cmp_ne_u16_sdwa s2, v70, v2 src0_sel:BYTE_0 src1_sel:DWORD
	v_mov_b32_e32 v70, 0
	s_and_saveexec_b32 s40, s2
	s_cbranch_execz .LBB242_361
; %bb.354:                              ;   in Loop: Header=BB242_12 Depth=1
	v_cmp_ne_u16_sdwa s2, v1, v18 src0_sel:BYTE_0 src1_sel:DWORD
	v_mov_b32_e32 v70, 0x8000
	s_and_saveexec_b32 s41, s2
	s_cbranch_execz .LBB242_360
; %bb.355:                              ;   in Loop: Header=BB242_12 Depth=1
	v_and_b32_e32 v72, 0x7f, v1
	v_mov_b32_e32 v70, 0x7c01
	s_mov_b32 s42, exec_lo
	v_cmpx_ne_u32_e32 0x7f, v72
	s_cbranch_execz .LBB242_359
; %bb.356:                              ;   in Loop: Header=BB242_12 Depth=1
	v_and_b32_e32 v70, 7, v1
	v_lshrrev_b32_e32 v71, 3, v72
	s_mov_b32 s43, exec_lo
	v_cmpx_gt_u32_e32 8, v72
; %bb.357:                              ;   in Loop: Header=BB242_12 Depth=1
	v_ffbh_u32_e32 v70, v70
	v_min_u32_e32 v72, 32, v70
	v_subrev_nc_u32_e32 v70, 28, v72
	v_lshlrev_b64 v[70:71], v70, v[1:2]
	v_sub_nc_u32_e32 v71, 29, v72
	v_and_b32_e32 v70, 7, v70
; %bb.358:                              ;   in Loop: Header=BB242_12 Depth=1
	s_or_b32 exec_lo, exec_lo, s43
	v_lshlrev_b32_e32 v72, 8, v1
	v_lshl_add_u32 v71, v71, 10, 0x2000
	v_lshlrev_b32_e32 v70, 7, v70
	v_and_b32_e32 v72, 0x8000, v72
	v_and_b32_e32 v71, 0xfc00, v71
	v_or3_b32 v70, v72, v71, v70
.LBB242_359:                            ;   in Loop: Header=BB242_12 Depth=1
	s_or_b32 exec_lo, exec_lo, s42
.LBB242_360:                            ;   in Loop: Header=BB242_12 Depth=1
	s_or_b32 exec_lo, exec_lo, s41
.LBB242_361:                            ;   in Loop: Header=BB242_12 Depth=1
	s_or_b32 exec_lo, exec_lo, s40
	v_lshrrev_b16 v1, 8, v1
	s_mov_b32 s40, exec_lo
	v_cmpx_ne_u16_e32 0, v1
	s_cbranch_execz .LBB242_369
; %bb.362:                              ;   in Loop: Header=BB242_12 Depth=1
	v_bfrev_b32_e32 v69, 1
	s_mov_b32 s41, exec_lo
	v_cmpx_ne_u16_e32 0x80, v1
	s_cbranch_execz .LBB242_368
; %bb.363:                              ;   in Loop: Header=BB242_12 Depth=1
	v_and_b32_sdwa v72, v1, v19 dst_sel:DWORD dst_unused:UNUSED_PAD src0_sel:WORD_0 src1_sel:DWORD
	v_mov_b32_e32 v69, 0x7c010000
	s_mov_b32 s42, exec_lo
	v_cmpx_ne_u32_e32 0x7f, v72
	s_cbranch_execz .LBB242_367
; %bb.364:                              ;   in Loop: Header=BB242_12 Depth=1
	v_and_b32_sdwa v69, v1, v20 dst_sel:DWORD dst_unused:UNUSED_PAD src0_sel:WORD_0 src1_sel:DWORD
	v_lshrrev_b32_e32 v71, 3, v72
	s_mov_b32 s43, exec_lo
	v_cmpx_gt_u32_e32 8, v72
; %bb.365:                              ;   in Loop: Header=BB242_12 Depth=1
	v_ffbh_u32_e32 v69, v69
	v_min_u32_e32 v69, 32, v69
	v_subrev_nc_u32_e32 v71, 28, v69
	v_lshlrev_b64 v[72:73], v71, v[1:2]
	v_sub_nc_u32_e32 v71, 29, v69
	v_and_b32_e32 v69, 7, v72
; %bb.366:                              ;   in Loop: Header=BB242_12 Depth=1
	s_or_b32 exec_lo, exec_lo, s43
	v_lshlrev_b32_sdwa v1, v21, v1 dst_sel:DWORD dst_unused:UNUSED_PAD src0_sel:DWORD src1_sel:WORD_0
	v_lshl_add_u32 v71, v71, 10, 0x2000
	v_lshlrev_b32_e32 v69, 23, v69
	v_and_or_b32 v1, 0x8000, v1, v71
	v_lshl_or_b32 v69, v1, 16, v69
.LBB242_367:                            ;   in Loop: Header=BB242_12 Depth=1
	s_or_b32 exec_lo, exec_lo, s42
.LBB242_368:                            ;   in Loop: Header=BB242_12 Depth=1
	s_or_b32 exec_lo, exec_lo, s41
.LBB242_369:                            ;   in Loop: Header=BB242_12 Depth=1
	s_or_b32 exec_lo, exec_lo, s40
	global_load_ushort v72, v[7:8], off offset:1408
	v_mov_b32_e32 v71, 0
	s_waitcnt vmcnt(0)
	v_and_b32_e32 v1, 0xffff, v72
	v_cmp_ne_u16_sdwa s2, v72, v2 src0_sel:BYTE_0 src1_sel:DWORD
	v_mov_b32_e32 v72, 0
	s_and_saveexec_b32 s40, s2
	s_cbranch_execz .LBB242_377
; %bb.370:                              ;   in Loop: Header=BB242_12 Depth=1
	v_cmp_ne_u16_sdwa s2, v1, v18 src0_sel:BYTE_0 src1_sel:DWORD
	v_mov_b32_e32 v72, 0x8000
	s_and_saveexec_b32 s41, s2
	s_cbranch_execz .LBB242_376
; %bb.371:                              ;   in Loop: Header=BB242_12 Depth=1
	v_and_b32_e32 v74, 0x7f, v1
	v_mov_b32_e32 v72, 0x7c01
	s_mov_b32 s42, exec_lo
	v_cmpx_ne_u32_e32 0x7f, v74
	s_cbranch_execz .LBB242_375
; %bb.372:                              ;   in Loop: Header=BB242_12 Depth=1
	v_and_b32_e32 v72, 7, v1
	v_lshrrev_b32_e32 v73, 3, v74
	s_mov_b32 s43, exec_lo
	v_cmpx_gt_u32_e32 8, v74
; %bb.373:                              ;   in Loop: Header=BB242_12 Depth=1
	v_ffbh_u32_e32 v72, v72
	v_min_u32_e32 v74, 32, v72
	v_subrev_nc_u32_e32 v72, 28, v74
	v_lshlrev_b64 v[72:73], v72, v[1:2]
	v_sub_nc_u32_e32 v73, 29, v74
	v_and_b32_e32 v72, 7, v72
; %bb.374:                              ;   in Loop: Header=BB242_12 Depth=1
	s_or_b32 exec_lo, exec_lo, s43
	v_lshlrev_b32_e32 v74, 8, v1
	v_lshl_add_u32 v73, v73, 10, 0x2000
	v_lshlrev_b32_e32 v72, 7, v72
	v_and_b32_e32 v74, 0x8000, v74
	v_and_b32_e32 v73, 0xfc00, v73
	v_or3_b32 v72, v74, v73, v72
.LBB242_375:                            ;   in Loop: Header=BB242_12 Depth=1
	s_or_b32 exec_lo, exec_lo, s42
.LBB242_376:                            ;   in Loop: Header=BB242_12 Depth=1
	s_or_b32 exec_lo, exec_lo, s41
.LBB242_377:                            ;   in Loop: Header=BB242_12 Depth=1
	s_or_b32 exec_lo, exec_lo, s40
	v_lshrrev_b16 v1, 8, v1
	s_mov_b32 s40, exec_lo
	v_cmpx_ne_u16_e32 0, v1
	s_cbranch_execz .LBB242_385
; %bb.378:                              ;   in Loop: Header=BB242_12 Depth=1
	v_bfrev_b32_e32 v71, 1
	s_mov_b32 s41, exec_lo
	v_cmpx_ne_u16_e32 0x80, v1
	s_cbranch_execz .LBB242_384
; %bb.379:                              ;   in Loop: Header=BB242_12 Depth=1
	v_and_b32_sdwa v74, v1, v19 dst_sel:DWORD dst_unused:UNUSED_PAD src0_sel:WORD_0 src1_sel:DWORD
	v_mov_b32_e32 v71, 0x7c010000
	s_mov_b32 s42, exec_lo
	v_cmpx_ne_u32_e32 0x7f, v74
	s_cbranch_execz .LBB242_383
; %bb.380:                              ;   in Loop: Header=BB242_12 Depth=1
	v_and_b32_sdwa v71, v1, v20 dst_sel:DWORD dst_unused:UNUSED_PAD src0_sel:WORD_0 src1_sel:DWORD
	v_lshrrev_b32_e32 v73, 3, v74
	s_mov_b32 s43, exec_lo
	v_cmpx_gt_u32_e32 8, v74
; %bb.381:                              ;   in Loop: Header=BB242_12 Depth=1
	v_ffbh_u32_e32 v71, v71
	v_min_u32_e32 v71, 32, v71
	v_subrev_nc_u32_e32 v73, 28, v71
	v_lshlrev_b64 v[74:75], v73, v[1:2]
	v_sub_nc_u32_e32 v73, 29, v71
	v_and_b32_e32 v71, 7, v74
; %bb.382:                              ;   in Loop: Header=BB242_12 Depth=1
	s_or_b32 exec_lo, exec_lo, s43
	v_lshlrev_b32_sdwa v1, v21, v1 dst_sel:DWORD dst_unused:UNUSED_PAD src0_sel:DWORD src1_sel:WORD_0
	v_lshl_add_u32 v73, v73, 10, 0x2000
	v_lshlrev_b32_e32 v71, 23, v71
	v_and_or_b32 v1, 0x8000, v1, v73
	v_lshl_or_b32 v71, v1, 16, v71
.LBB242_383:                            ;   in Loop: Header=BB242_12 Depth=1
	s_or_b32 exec_lo, exec_lo, s42
.LBB242_384:                            ;   in Loop: Header=BB242_12 Depth=1
	s_or_b32 exec_lo, exec_lo, s41
.LBB242_385:                            ;   in Loop: Header=BB242_12 Depth=1
	s_or_b32 exec_lo, exec_lo, s40
	global_load_ushort v74, v[7:8], off offset:1416
	v_mov_b32_e32 v73, 0
	s_waitcnt vmcnt(0)
	v_and_b32_e32 v1, 0xffff, v74
	v_cmp_ne_u16_sdwa s2, v74, v2 src0_sel:BYTE_0 src1_sel:DWORD
	v_mov_b32_e32 v74, 0
	s_and_saveexec_b32 s40, s2
	s_cbranch_execz .LBB242_393
; %bb.386:                              ;   in Loop: Header=BB242_12 Depth=1
	v_cmp_ne_u16_sdwa s2, v1, v18 src0_sel:BYTE_0 src1_sel:DWORD
	v_mov_b32_e32 v74, 0x8000
	s_and_saveexec_b32 s41, s2
	s_cbranch_execz .LBB242_392
; %bb.387:                              ;   in Loop: Header=BB242_12 Depth=1
	v_and_b32_e32 v76, 0x7f, v1
	v_mov_b32_e32 v74, 0x7c01
	s_mov_b32 s42, exec_lo
	v_cmpx_ne_u32_e32 0x7f, v76
	s_cbranch_execz .LBB242_391
; %bb.388:                              ;   in Loop: Header=BB242_12 Depth=1
	v_and_b32_e32 v74, 7, v1
	v_lshrrev_b32_e32 v75, 3, v76
	s_mov_b32 s43, exec_lo
	v_cmpx_gt_u32_e32 8, v76
; %bb.389:                              ;   in Loop: Header=BB242_12 Depth=1
	v_ffbh_u32_e32 v74, v74
	v_min_u32_e32 v76, 32, v74
	v_subrev_nc_u32_e32 v74, 28, v76
	v_lshlrev_b64 v[74:75], v74, v[1:2]
	v_sub_nc_u32_e32 v75, 29, v76
	v_and_b32_e32 v74, 7, v74
; %bb.390:                              ;   in Loop: Header=BB242_12 Depth=1
	s_or_b32 exec_lo, exec_lo, s43
	v_lshlrev_b32_e32 v76, 8, v1
	v_lshl_add_u32 v75, v75, 10, 0x2000
	v_lshlrev_b32_e32 v74, 7, v74
	v_and_b32_e32 v76, 0x8000, v76
	v_and_b32_e32 v75, 0xfc00, v75
	v_or3_b32 v74, v76, v75, v74
.LBB242_391:                            ;   in Loop: Header=BB242_12 Depth=1
	s_or_b32 exec_lo, exec_lo, s42
.LBB242_392:                            ;   in Loop: Header=BB242_12 Depth=1
	s_or_b32 exec_lo, exec_lo, s41
.LBB242_393:                            ;   in Loop: Header=BB242_12 Depth=1
	s_or_b32 exec_lo, exec_lo, s40
	v_lshrrev_b16 v1, 8, v1
	s_mov_b32 s40, exec_lo
	v_cmpx_ne_u16_e32 0, v1
	s_cbranch_execz .LBB242_401
; %bb.394:                              ;   in Loop: Header=BB242_12 Depth=1
	v_bfrev_b32_e32 v73, 1
	s_mov_b32 s41, exec_lo
	v_cmpx_ne_u16_e32 0x80, v1
	s_cbranch_execz .LBB242_400
; %bb.395:                              ;   in Loop: Header=BB242_12 Depth=1
	v_and_b32_sdwa v76, v1, v19 dst_sel:DWORD dst_unused:UNUSED_PAD src0_sel:WORD_0 src1_sel:DWORD
	v_mov_b32_e32 v73, 0x7c010000
	s_mov_b32 s42, exec_lo
	v_cmpx_ne_u32_e32 0x7f, v76
	s_cbranch_execz .LBB242_399
; %bb.396:                              ;   in Loop: Header=BB242_12 Depth=1
	v_and_b32_sdwa v73, v1, v20 dst_sel:DWORD dst_unused:UNUSED_PAD src0_sel:WORD_0 src1_sel:DWORD
	v_lshrrev_b32_e32 v75, 3, v76
	s_mov_b32 s43, exec_lo
	v_cmpx_gt_u32_e32 8, v76
; %bb.397:                              ;   in Loop: Header=BB242_12 Depth=1
	v_ffbh_u32_e32 v73, v73
	v_min_u32_e32 v73, 32, v73
	v_subrev_nc_u32_e32 v75, 28, v73
	v_lshlrev_b64 v[76:77], v75, v[1:2]
	v_sub_nc_u32_e32 v75, 29, v73
	v_and_b32_e32 v73, 7, v76
; %bb.398:                              ;   in Loop: Header=BB242_12 Depth=1
	s_or_b32 exec_lo, exec_lo, s43
	v_lshlrev_b32_sdwa v1, v21, v1 dst_sel:DWORD dst_unused:UNUSED_PAD src0_sel:DWORD src1_sel:WORD_0
	v_lshl_add_u32 v75, v75, 10, 0x2000
	v_lshlrev_b32_e32 v73, 23, v73
	v_and_or_b32 v1, 0x8000, v1, v75
	v_lshl_or_b32 v73, v1, 16, v73
.LBB242_399:                            ;   in Loop: Header=BB242_12 Depth=1
	s_or_b32 exec_lo, exec_lo, s42
.LBB242_400:                            ;   in Loop: Header=BB242_12 Depth=1
	s_or_b32 exec_lo, exec_lo, s41
.LBB242_401:                            ;   in Loop: Header=BB242_12 Depth=1
	s_or_b32 exec_lo, exec_lo, s40
	global_load_ushort v76, v[7:8], off offset:1536
	v_mov_b32_e32 v75, 0
	s_waitcnt vmcnt(0)
	v_and_b32_e32 v1, 0xffff, v76
	v_cmp_ne_u16_sdwa s2, v76, v2 src0_sel:BYTE_0 src1_sel:DWORD
	v_mov_b32_e32 v76, 0
	s_and_saveexec_b32 s40, s2
	s_cbranch_execz .LBB242_409
; %bb.402:                              ;   in Loop: Header=BB242_12 Depth=1
	v_cmp_ne_u16_sdwa s2, v1, v18 src0_sel:BYTE_0 src1_sel:DWORD
	v_mov_b32_e32 v76, 0x8000
	s_and_saveexec_b32 s41, s2
	s_cbranch_execz .LBB242_408
; %bb.403:                              ;   in Loop: Header=BB242_12 Depth=1
	v_and_b32_e32 v78, 0x7f, v1
	v_mov_b32_e32 v76, 0x7c01
	s_mov_b32 s42, exec_lo
	v_cmpx_ne_u32_e32 0x7f, v78
	s_cbranch_execz .LBB242_407
; %bb.404:                              ;   in Loop: Header=BB242_12 Depth=1
	v_and_b32_e32 v76, 7, v1
	v_lshrrev_b32_e32 v77, 3, v78
	s_mov_b32 s43, exec_lo
	v_cmpx_gt_u32_e32 8, v78
; %bb.405:                              ;   in Loop: Header=BB242_12 Depth=1
	v_ffbh_u32_e32 v76, v76
	v_min_u32_e32 v78, 32, v76
	v_subrev_nc_u32_e32 v76, 28, v78
	v_lshlrev_b64 v[76:77], v76, v[1:2]
	v_sub_nc_u32_e32 v77, 29, v78
	v_and_b32_e32 v76, 7, v76
; %bb.406:                              ;   in Loop: Header=BB242_12 Depth=1
	s_or_b32 exec_lo, exec_lo, s43
	v_lshlrev_b32_e32 v78, 8, v1
	v_lshl_add_u32 v77, v77, 10, 0x2000
	v_lshlrev_b32_e32 v76, 7, v76
	v_and_b32_e32 v78, 0x8000, v78
	v_and_b32_e32 v77, 0xfc00, v77
	v_or3_b32 v76, v78, v77, v76
.LBB242_407:                            ;   in Loop: Header=BB242_12 Depth=1
	s_or_b32 exec_lo, exec_lo, s42
.LBB242_408:                            ;   in Loop: Header=BB242_12 Depth=1
	s_or_b32 exec_lo, exec_lo, s41
.LBB242_409:                            ;   in Loop: Header=BB242_12 Depth=1
	s_or_b32 exec_lo, exec_lo, s40
	v_lshrrev_b16 v1, 8, v1
	s_mov_b32 s40, exec_lo
	v_cmpx_ne_u16_e32 0, v1
	s_cbranch_execz .LBB242_417
; %bb.410:                              ;   in Loop: Header=BB242_12 Depth=1
	v_bfrev_b32_e32 v75, 1
	s_mov_b32 s41, exec_lo
	v_cmpx_ne_u16_e32 0x80, v1
	s_cbranch_execz .LBB242_416
; %bb.411:                              ;   in Loop: Header=BB242_12 Depth=1
	v_and_b32_sdwa v78, v1, v19 dst_sel:DWORD dst_unused:UNUSED_PAD src0_sel:WORD_0 src1_sel:DWORD
	v_mov_b32_e32 v75, 0x7c010000
	s_mov_b32 s42, exec_lo
	v_cmpx_ne_u32_e32 0x7f, v78
	s_cbranch_execz .LBB242_415
; %bb.412:                              ;   in Loop: Header=BB242_12 Depth=1
	v_and_b32_sdwa v75, v1, v20 dst_sel:DWORD dst_unused:UNUSED_PAD src0_sel:WORD_0 src1_sel:DWORD
	v_lshrrev_b32_e32 v77, 3, v78
	s_mov_b32 s43, exec_lo
	v_cmpx_gt_u32_e32 8, v78
; %bb.413:                              ;   in Loop: Header=BB242_12 Depth=1
	v_ffbh_u32_e32 v75, v75
	v_min_u32_e32 v75, 32, v75
	v_subrev_nc_u32_e32 v77, 28, v75
	v_lshlrev_b64 v[78:79], v77, v[1:2]
	v_sub_nc_u32_e32 v77, 29, v75
	v_and_b32_e32 v75, 7, v78
; %bb.414:                              ;   in Loop: Header=BB242_12 Depth=1
	s_or_b32 exec_lo, exec_lo, s43
	v_lshlrev_b32_sdwa v1, v21, v1 dst_sel:DWORD dst_unused:UNUSED_PAD src0_sel:DWORD src1_sel:WORD_0
	v_lshl_add_u32 v77, v77, 10, 0x2000
	v_lshlrev_b32_e32 v75, 23, v75
	v_and_or_b32 v1, 0x8000, v1, v77
	v_lshl_or_b32 v75, v1, 16, v75
.LBB242_415:                            ;   in Loop: Header=BB242_12 Depth=1
	s_or_b32 exec_lo, exec_lo, s42
.LBB242_416:                            ;   in Loop: Header=BB242_12 Depth=1
	s_or_b32 exec_lo, exec_lo, s41
.LBB242_417:                            ;   in Loop: Header=BB242_12 Depth=1
	s_or_b32 exec_lo, exec_lo, s40
	global_load_ushort v78, v[7:8], off offset:1544
	v_mov_b32_e32 v77, 0
	s_waitcnt vmcnt(0)
	v_and_b32_e32 v1, 0xffff, v78
	v_cmp_ne_u16_sdwa s2, v78, v2 src0_sel:BYTE_0 src1_sel:DWORD
	v_mov_b32_e32 v78, 0
	s_and_saveexec_b32 s40, s2
	s_cbranch_execz .LBB242_425
; %bb.418:                              ;   in Loop: Header=BB242_12 Depth=1
	v_cmp_ne_u16_sdwa s2, v1, v18 src0_sel:BYTE_0 src1_sel:DWORD
	v_mov_b32_e32 v78, 0x8000
	s_and_saveexec_b32 s41, s2
	s_cbranch_execz .LBB242_424
; %bb.419:                              ;   in Loop: Header=BB242_12 Depth=1
	v_and_b32_e32 v80, 0x7f, v1
	v_mov_b32_e32 v78, 0x7c01
	s_mov_b32 s42, exec_lo
	v_cmpx_ne_u32_e32 0x7f, v80
	s_cbranch_execz .LBB242_423
; %bb.420:                              ;   in Loop: Header=BB242_12 Depth=1
	v_and_b32_e32 v78, 7, v1
	v_lshrrev_b32_e32 v79, 3, v80
	s_mov_b32 s43, exec_lo
	v_cmpx_gt_u32_e32 8, v80
; %bb.421:                              ;   in Loop: Header=BB242_12 Depth=1
	v_ffbh_u32_e32 v78, v78
	v_min_u32_e32 v80, 32, v78
	v_subrev_nc_u32_e32 v78, 28, v80
	v_lshlrev_b64 v[78:79], v78, v[1:2]
	v_sub_nc_u32_e32 v79, 29, v80
	v_and_b32_e32 v78, 7, v78
; %bb.422:                              ;   in Loop: Header=BB242_12 Depth=1
	s_or_b32 exec_lo, exec_lo, s43
	v_lshlrev_b32_e32 v80, 8, v1
	v_lshl_add_u32 v79, v79, 10, 0x2000
	v_lshlrev_b32_e32 v78, 7, v78
	v_and_b32_e32 v80, 0x8000, v80
	v_and_b32_e32 v79, 0xfc00, v79
	v_or3_b32 v78, v80, v79, v78
.LBB242_423:                            ;   in Loop: Header=BB242_12 Depth=1
	s_or_b32 exec_lo, exec_lo, s42
.LBB242_424:                            ;   in Loop: Header=BB242_12 Depth=1
	s_or_b32 exec_lo, exec_lo, s41
.LBB242_425:                            ;   in Loop: Header=BB242_12 Depth=1
	s_or_b32 exec_lo, exec_lo, s40
	v_lshrrev_b16 v1, 8, v1
	s_mov_b32 s40, exec_lo
	v_cmpx_ne_u16_e32 0, v1
	s_cbranch_execz .LBB242_433
; %bb.426:                              ;   in Loop: Header=BB242_12 Depth=1
	v_bfrev_b32_e32 v77, 1
	s_mov_b32 s41, exec_lo
	v_cmpx_ne_u16_e32 0x80, v1
	s_cbranch_execz .LBB242_432
; %bb.427:                              ;   in Loop: Header=BB242_12 Depth=1
	v_and_b32_sdwa v80, v1, v19 dst_sel:DWORD dst_unused:UNUSED_PAD src0_sel:WORD_0 src1_sel:DWORD
	v_mov_b32_e32 v77, 0x7c010000
	s_mov_b32 s42, exec_lo
	v_cmpx_ne_u32_e32 0x7f, v80
	s_cbranch_execz .LBB242_431
; %bb.428:                              ;   in Loop: Header=BB242_12 Depth=1
	v_and_b32_sdwa v77, v1, v20 dst_sel:DWORD dst_unused:UNUSED_PAD src0_sel:WORD_0 src1_sel:DWORD
	v_lshrrev_b32_e32 v79, 3, v80
	s_mov_b32 s43, exec_lo
	v_cmpx_gt_u32_e32 8, v80
; %bb.429:                              ;   in Loop: Header=BB242_12 Depth=1
	v_ffbh_u32_e32 v77, v77
	v_min_u32_e32 v77, 32, v77
	v_subrev_nc_u32_e32 v79, 28, v77
	v_lshlrev_b64 v[80:81], v79, v[1:2]
	v_sub_nc_u32_e32 v79, 29, v77
	v_and_b32_e32 v77, 7, v80
; %bb.430:                              ;   in Loop: Header=BB242_12 Depth=1
	s_or_b32 exec_lo, exec_lo, s43
	v_lshlrev_b32_sdwa v1, v21, v1 dst_sel:DWORD dst_unused:UNUSED_PAD src0_sel:DWORD src1_sel:WORD_0
	v_lshl_add_u32 v79, v79, 10, 0x2000
	v_lshlrev_b32_e32 v77, 23, v77
	v_and_or_b32 v1, 0x8000, v1, v79
	v_lshl_or_b32 v77, v1, 16, v77
.LBB242_431:                            ;   in Loop: Header=BB242_12 Depth=1
	s_or_b32 exec_lo, exec_lo, s42
.LBB242_432:                            ;   in Loop: Header=BB242_12 Depth=1
	s_or_b32 exec_lo, exec_lo, s41
.LBB242_433:                            ;   in Loop: Header=BB242_12 Depth=1
	s_or_b32 exec_lo, exec_lo, s40
	global_load_ushort v80, v[7:8], off offset:1664
	v_mov_b32_e32 v79, 0
	s_waitcnt vmcnt(0)
	v_and_b32_e32 v1, 0xffff, v80
	v_cmp_ne_u16_sdwa s2, v80, v2 src0_sel:BYTE_0 src1_sel:DWORD
	v_mov_b32_e32 v80, 0
	s_and_saveexec_b32 s40, s2
	s_cbranch_execz .LBB242_441
; %bb.434:                              ;   in Loop: Header=BB242_12 Depth=1
	v_cmp_ne_u16_sdwa s2, v1, v18 src0_sel:BYTE_0 src1_sel:DWORD
	v_mov_b32_e32 v80, 0x8000
	s_and_saveexec_b32 s41, s2
	s_cbranch_execz .LBB242_440
; %bb.435:                              ;   in Loop: Header=BB242_12 Depth=1
	v_and_b32_e32 v82, 0x7f, v1
	v_mov_b32_e32 v80, 0x7c01
	s_mov_b32 s42, exec_lo
	v_cmpx_ne_u32_e32 0x7f, v82
	s_cbranch_execz .LBB242_439
; %bb.436:                              ;   in Loop: Header=BB242_12 Depth=1
	v_and_b32_e32 v80, 7, v1
	v_lshrrev_b32_e32 v81, 3, v82
	s_mov_b32 s43, exec_lo
	v_cmpx_gt_u32_e32 8, v82
; %bb.437:                              ;   in Loop: Header=BB242_12 Depth=1
	v_ffbh_u32_e32 v80, v80
	v_min_u32_e32 v82, 32, v80
	v_subrev_nc_u32_e32 v80, 28, v82
	v_lshlrev_b64 v[80:81], v80, v[1:2]
	v_sub_nc_u32_e32 v81, 29, v82
	v_and_b32_e32 v80, 7, v80
; %bb.438:                              ;   in Loop: Header=BB242_12 Depth=1
	s_or_b32 exec_lo, exec_lo, s43
	v_lshlrev_b32_e32 v82, 8, v1
	v_lshl_add_u32 v81, v81, 10, 0x2000
	v_lshlrev_b32_e32 v80, 7, v80
	v_and_b32_e32 v82, 0x8000, v82
	v_and_b32_e32 v81, 0xfc00, v81
	v_or3_b32 v80, v82, v81, v80
.LBB242_439:                            ;   in Loop: Header=BB242_12 Depth=1
	s_or_b32 exec_lo, exec_lo, s42
.LBB242_440:                            ;   in Loop: Header=BB242_12 Depth=1
	s_or_b32 exec_lo, exec_lo, s41
.LBB242_441:                            ;   in Loop: Header=BB242_12 Depth=1
	s_or_b32 exec_lo, exec_lo, s40
	v_lshrrev_b16 v1, 8, v1
	s_mov_b32 s40, exec_lo
	v_cmpx_ne_u16_e32 0, v1
	s_cbranch_execz .LBB242_449
; %bb.442:                              ;   in Loop: Header=BB242_12 Depth=1
	v_bfrev_b32_e32 v79, 1
	s_mov_b32 s41, exec_lo
	v_cmpx_ne_u16_e32 0x80, v1
	s_cbranch_execz .LBB242_448
; %bb.443:                              ;   in Loop: Header=BB242_12 Depth=1
	v_and_b32_sdwa v82, v1, v19 dst_sel:DWORD dst_unused:UNUSED_PAD src0_sel:WORD_0 src1_sel:DWORD
	v_mov_b32_e32 v79, 0x7c010000
	s_mov_b32 s42, exec_lo
	v_cmpx_ne_u32_e32 0x7f, v82
	s_cbranch_execz .LBB242_447
; %bb.444:                              ;   in Loop: Header=BB242_12 Depth=1
	v_and_b32_sdwa v79, v1, v20 dst_sel:DWORD dst_unused:UNUSED_PAD src0_sel:WORD_0 src1_sel:DWORD
	v_lshrrev_b32_e32 v81, 3, v82
	s_mov_b32 s43, exec_lo
	v_cmpx_gt_u32_e32 8, v82
; %bb.445:                              ;   in Loop: Header=BB242_12 Depth=1
	v_ffbh_u32_e32 v79, v79
	v_min_u32_e32 v79, 32, v79
	v_subrev_nc_u32_e32 v81, 28, v79
	v_lshlrev_b64 v[82:83], v81, v[1:2]
	v_sub_nc_u32_e32 v81, 29, v79
	v_and_b32_e32 v79, 7, v82
; %bb.446:                              ;   in Loop: Header=BB242_12 Depth=1
	s_or_b32 exec_lo, exec_lo, s43
	v_lshlrev_b32_sdwa v1, v21, v1 dst_sel:DWORD dst_unused:UNUSED_PAD src0_sel:DWORD src1_sel:WORD_0
	v_lshl_add_u32 v81, v81, 10, 0x2000
	v_lshlrev_b32_e32 v79, 23, v79
	v_and_or_b32 v1, 0x8000, v1, v81
	v_lshl_or_b32 v79, v1, 16, v79
.LBB242_447:                            ;   in Loop: Header=BB242_12 Depth=1
	s_or_b32 exec_lo, exec_lo, s42
.LBB242_448:                            ;   in Loop: Header=BB242_12 Depth=1
	s_or_b32 exec_lo, exec_lo, s41
.LBB242_449:                            ;   in Loop: Header=BB242_12 Depth=1
	s_or_b32 exec_lo, exec_lo, s40
	global_load_ushort v82, v[7:8], off offset:1672
	v_mov_b32_e32 v81, 0
	s_waitcnt vmcnt(0)
	v_and_b32_e32 v1, 0xffff, v82
	v_cmp_ne_u16_sdwa s2, v82, v2 src0_sel:BYTE_0 src1_sel:DWORD
	v_mov_b32_e32 v82, 0
	s_and_saveexec_b32 s40, s2
	s_cbranch_execz .LBB242_457
; %bb.450:                              ;   in Loop: Header=BB242_12 Depth=1
	v_cmp_ne_u16_sdwa s2, v1, v18 src0_sel:BYTE_0 src1_sel:DWORD
	v_mov_b32_e32 v82, 0x8000
	s_and_saveexec_b32 s41, s2
	s_cbranch_execz .LBB242_456
; %bb.451:                              ;   in Loop: Header=BB242_12 Depth=1
	v_and_b32_e32 v84, 0x7f, v1
	v_mov_b32_e32 v82, 0x7c01
	s_mov_b32 s42, exec_lo
	v_cmpx_ne_u32_e32 0x7f, v84
	s_cbranch_execz .LBB242_455
; %bb.452:                              ;   in Loop: Header=BB242_12 Depth=1
	v_and_b32_e32 v82, 7, v1
	v_lshrrev_b32_e32 v83, 3, v84
	s_mov_b32 s43, exec_lo
	v_cmpx_gt_u32_e32 8, v84
; %bb.453:                              ;   in Loop: Header=BB242_12 Depth=1
	v_ffbh_u32_e32 v82, v82
	v_min_u32_e32 v84, 32, v82
	v_subrev_nc_u32_e32 v82, 28, v84
	v_lshlrev_b64 v[82:83], v82, v[1:2]
	v_sub_nc_u32_e32 v83, 29, v84
	v_and_b32_e32 v82, 7, v82
; %bb.454:                              ;   in Loop: Header=BB242_12 Depth=1
	s_or_b32 exec_lo, exec_lo, s43
	v_lshlrev_b32_e32 v84, 8, v1
	v_lshl_add_u32 v83, v83, 10, 0x2000
	v_lshlrev_b32_e32 v82, 7, v82
	v_and_b32_e32 v84, 0x8000, v84
	v_and_b32_e32 v83, 0xfc00, v83
	v_or3_b32 v82, v84, v83, v82
.LBB242_455:                            ;   in Loop: Header=BB242_12 Depth=1
	s_or_b32 exec_lo, exec_lo, s42
.LBB242_456:                            ;   in Loop: Header=BB242_12 Depth=1
	s_or_b32 exec_lo, exec_lo, s41
.LBB242_457:                            ;   in Loop: Header=BB242_12 Depth=1
	s_or_b32 exec_lo, exec_lo, s40
	v_lshrrev_b16 v1, 8, v1
	s_mov_b32 s40, exec_lo
	v_cmpx_ne_u16_e32 0, v1
	s_cbranch_execz .LBB242_465
; %bb.458:                              ;   in Loop: Header=BB242_12 Depth=1
	v_bfrev_b32_e32 v81, 1
	s_mov_b32 s41, exec_lo
	v_cmpx_ne_u16_e32 0x80, v1
	s_cbranch_execz .LBB242_464
; %bb.459:                              ;   in Loop: Header=BB242_12 Depth=1
	v_and_b32_sdwa v84, v1, v19 dst_sel:DWORD dst_unused:UNUSED_PAD src0_sel:WORD_0 src1_sel:DWORD
	v_mov_b32_e32 v81, 0x7c010000
	s_mov_b32 s42, exec_lo
	v_cmpx_ne_u32_e32 0x7f, v84
	s_cbranch_execz .LBB242_463
; %bb.460:                              ;   in Loop: Header=BB242_12 Depth=1
	v_and_b32_sdwa v81, v1, v20 dst_sel:DWORD dst_unused:UNUSED_PAD src0_sel:WORD_0 src1_sel:DWORD
	v_lshrrev_b32_e32 v83, 3, v84
	s_mov_b32 s43, exec_lo
	v_cmpx_gt_u32_e32 8, v84
; %bb.461:                              ;   in Loop: Header=BB242_12 Depth=1
	v_ffbh_u32_e32 v81, v81
	v_min_u32_e32 v81, 32, v81
	v_subrev_nc_u32_e32 v83, 28, v81
	v_lshlrev_b64 v[84:85], v83, v[1:2]
	v_sub_nc_u32_e32 v83, 29, v81
	v_and_b32_e32 v81, 7, v84
; %bb.462:                              ;   in Loop: Header=BB242_12 Depth=1
	s_or_b32 exec_lo, exec_lo, s43
	v_lshlrev_b32_sdwa v1, v21, v1 dst_sel:DWORD dst_unused:UNUSED_PAD src0_sel:DWORD src1_sel:WORD_0
	v_lshl_add_u32 v83, v83, 10, 0x2000
	v_lshlrev_b32_e32 v81, 23, v81
	v_and_or_b32 v1, 0x8000, v1, v83
	v_lshl_or_b32 v81, v1, 16, v81
.LBB242_463:                            ;   in Loop: Header=BB242_12 Depth=1
	s_or_b32 exec_lo, exec_lo, s42
.LBB242_464:                            ;   in Loop: Header=BB242_12 Depth=1
	s_or_b32 exec_lo, exec_lo, s41
.LBB242_465:                            ;   in Loop: Header=BB242_12 Depth=1
	s_or_b32 exec_lo, exec_lo, s40
	global_load_ushort v84, v[7:8], off offset:1792
	v_mov_b32_e32 v83, 0
	s_waitcnt vmcnt(0)
	v_and_b32_e32 v1, 0xffff, v84
	v_cmp_ne_u16_sdwa s2, v84, v2 src0_sel:BYTE_0 src1_sel:DWORD
	v_mov_b32_e32 v84, 0
	s_and_saveexec_b32 s40, s2
	s_cbranch_execz .LBB242_473
; %bb.466:                              ;   in Loop: Header=BB242_12 Depth=1
	v_cmp_ne_u16_sdwa s2, v1, v18 src0_sel:BYTE_0 src1_sel:DWORD
	v_mov_b32_e32 v84, 0x8000
	s_and_saveexec_b32 s41, s2
	s_cbranch_execz .LBB242_472
; %bb.467:                              ;   in Loop: Header=BB242_12 Depth=1
	v_and_b32_e32 v86, 0x7f, v1
	v_mov_b32_e32 v84, 0x7c01
	s_mov_b32 s42, exec_lo
	v_cmpx_ne_u32_e32 0x7f, v86
	s_cbranch_execz .LBB242_471
; %bb.468:                              ;   in Loop: Header=BB242_12 Depth=1
	v_and_b32_e32 v84, 7, v1
	v_lshrrev_b32_e32 v85, 3, v86
	s_mov_b32 s43, exec_lo
	v_cmpx_gt_u32_e32 8, v86
; %bb.469:                              ;   in Loop: Header=BB242_12 Depth=1
	v_ffbh_u32_e32 v84, v84
	v_min_u32_e32 v86, 32, v84
	v_subrev_nc_u32_e32 v84, 28, v86
	v_lshlrev_b64 v[84:85], v84, v[1:2]
	v_sub_nc_u32_e32 v85, 29, v86
	v_and_b32_e32 v84, 7, v84
; %bb.470:                              ;   in Loop: Header=BB242_12 Depth=1
	s_or_b32 exec_lo, exec_lo, s43
	v_lshlrev_b32_e32 v86, 8, v1
	v_lshl_add_u32 v85, v85, 10, 0x2000
	v_lshlrev_b32_e32 v84, 7, v84
	v_and_b32_e32 v86, 0x8000, v86
	v_and_b32_e32 v85, 0xfc00, v85
	v_or3_b32 v84, v86, v85, v84
.LBB242_471:                            ;   in Loop: Header=BB242_12 Depth=1
	s_or_b32 exec_lo, exec_lo, s42
.LBB242_472:                            ;   in Loop: Header=BB242_12 Depth=1
	s_or_b32 exec_lo, exec_lo, s41
.LBB242_473:                            ;   in Loop: Header=BB242_12 Depth=1
	s_or_b32 exec_lo, exec_lo, s40
	v_lshrrev_b16 v1, 8, v1
	s_mov_b32 s40, exec_lo
	v_cmpx_ne_u16_e32 0, v1
	s_cbranch_execz .LBB242_481
; %bb.474:                              ;   in Loop: Header=BB242_12 Depth=1
	v_bfrev_b32_e32 v83, 1
	s_mov_b32 s41, exec_lo
	v_cmpx_ne_u16_e32 0x80, v1
	s_cbranch_execz .LBB242_480
; %bb.475:                              ;   in Loop: Header=BB242_12 Depth=1
	v_and_b32_sdwa v86, v1, v19 dst_sel:DWORD dst_unused:UNUSED_PAD src0_sel:WORD_0 src1_sel:DWORD
	v_mov_b32_e32 v83, 0x7c010000
	s_mov_b32 s42, exec_lo
	v_cmpx_ne_u32_e32 0x7f, v86
	s_cbranch_execz .LBB242_479
; %bb.476:                              ;   in Loop: Header=BB242_12 Depth=1
	v_and_b32_sdwa v83, v1, v20 dst_sel:DWORD dst_unused:UNUSED_PAD src0_sel:WORD_0 src1_sel:DWORD
	v_lshrrev_b32_e32 v85, 3, v86
	s_mov_b32 s43, exec_lo
	v_cmpx_gt_u32_e32 8, v86
; %bb.477:                              ;   in Loop: Header=BB242_12 Depth=1
	v_ffbh_u32_e32 v83, v83
	v_min_u32_e32 v83, 32, v83
	v_subrev_nc_u32_e32 v85, 28, v83
	v_lshlrev_b64 v[86:87], v85, v[1:2]
	v_sub_nc_u32_e32 v85, 29, v83
	v_and_b32_e32 v83, 7, v86
; %bb.478:                              ;   in Loop: Header=BB242_12 Depth=1
	s_or_b32 exec_lo, exec_lo, s43
	v_lshlrev_b32_sdwa v1, v21, v1 dst_sel:DWORD dst_unused:UNUSED_PAD src0_sel:DWORD src1_sel:WORD_0
	v_lshl_add_u32 v85, v85, 10, 0x2000
	v_lshlrev_b32_e32 v83, 23, v83
	v_and_or_b32 v1, 0x8000, v1, v85
	v_lshl_or_b32 v83, v1, 16, v83
.LBB242_479:                            ;   in Loop: Header=BB242_12 Depth=1
	s_or_b32 exec_lo, exec_lo, s42
.LBB242_480:                            ;   in Loop: Header=BB242_12 Depth=1
	s_or_b32 exec_lo, exec_lo, s41
.LBB242_481:                            ;   in Loop: Header=BB242_12 Depth=1
	s_or_b32 exec_lo, exec_lo, s40
	global_load_ushort v86, v[7:8], off offset:1800
	v_mov_b32_e32 v85, 0
	s_waitcnt vmcnt(0)
	v_and_b32_e32 v1, 0xffff, v86
	v_cmp_ne_u16_sdwa s2, v86, v2 src0_sel:BYTE_0 src1_sel:DWORD
	v_mov_b32_e32 v86, 0
	s_and_saveexec_b32 s40, s2
	s_cbranch_execz .LBB242_489
; %bb.482:                              ;   in Loop: Header=BB242_12 Depth=1
	v_cmp_ne_u16_sdwa s2, v1, v18 src0_sel:BYTE_0 src1_sel:DWORD
	v_mov_b32_e32 v86, 0x8000
	s_and_saveexec_b32 s41, s2
	s_cbranch_execz .LBB242_488
; %bb.483:                              ;   in Loop: Header=BB242_12 Depth=1
	v_and_b32_e32 v88, 0x7f, v1
	v_mov_b32_e32 v86, 0x7c01
	s_mov_b32 s42, exec_lo
	v_cmpx_ne_u32_e32 0x7f, v88
	s_cbranch_execz .LBB242_487
; %bb.484:                              ;   in Loop: Header=BB242_12 Depth=1
	v_and_b32_e32 v86, 7, v1
	v_lshrrev_b32_e32 v87, 3, v88
	s_mov_b32 s43, exec_lo
	v_cmpx_gt_u32_e32 8, v88
; %bb.485:                              ;   in Loop: Header=BB242_12 Depth=1
	v_ffbh_u32_e32 v86, v86
	v_min_u32_e32 v88, 32, v86
	v_subrev_nc_u32_e32 v86, 28, v88
	v_lshlrev_b64 v[86:87], v86, v[1:2]
	v_sub_nc_u32_e32 v87, 29, v88
	v_and_b32_e32 v86, 7, v86
; %bb.486:                              ;   in Loop: Header=BB242_12 Depth=1
	s_or_b32 exec_lo, exec_lo, s43
	v_lshlrev_b32_e32 v88, 8, v1
	v_lshl_add_u32 v87, v87, 10, 0x2000
	v_lshlrev_b32_e32 v86, 7, v86
	v_and_b32_e32 v88, 0x8000, v88
	v_and_b32_e32 v87, 0xfc00, v87
	v_or3_b32 v86, v88, v87, v86
.LBB242_487:                            ;   in Loop: Header=BB242_12 Depth=1
	s_or_b32 exec_lo, exec_lo, s42
.LBB242_488:                            ;   in Loop: Header=BB242_12 Depth=1
	s_or_b32 exec_lo, exec_lo, s41
.LBB242_489:                            ;   in Loop: Header=BB242_12 Depth=1
	s_or_b32 exec_lo, exec_lo, s40
	v_lshrrev_b16 v1, 8, v1
	s_mov_b32 s40, exec_lo
	v_cmpx_ne_u16_e32 0, v1
	s_cbranch_execz .LBB242_497
; %bb.490:                              ;   in Loop: Header=BB242_12 Depth=1
	v_bfrev_b32_e32 v85, 1
	s_mov_b32 s41, exec_lo
	v_cmpx_ne_u16_e32 0x80, v1
	s_cbranch_execz .LBB242_496
; %bb.491:                              ;   in Loop: Header=BB242_12 Depth=1
	v_and_b32_sdwa v88, v1, v19 dst_sel:DWORD dst_unused:UNUSED_PAD src0_sel:WORD_0 src1_sel:DWORD
	v_mov_b32_e32 v85, 0x7c010000
	s_mov_b32 s42, exec_lo
	v_cmpx_ne_u32_e32 0x7f, v88
	s_cbranch_execz .LBB242_495
; %bb.492:                              ;   in Loop: Header=BB242_12 Depth=1
	v_and_b32_sdwa v85, v1, v20 dst_sel:DWORD dst_unused:UNUSED_PAD src0_sel:WORD_0 src1_sel:DWORD
	v_lshrrev_b32_e32 v87, 3, v88
	s_mov_b32 s43, exec_lo
	v_cmpx_gt_u32_e32 8, v88
; %bb.493:                              ;   in Loop: Header=BB242_12 Depth=1
	v_ffbh_u32_e32 v85, v85
	v_min_u32_e32 v85, 32, v85
	v_subrev_nc_u32_e32 v87, 28, v85
	v_lshlrev_b64 v[88:89], v87, v[1:2]
	v_sub_nc_u32_e32 v87, 29, v85
	v_and_b32_e32 v85, 7, v88
; %bb.494:                              ;   in Loop: Header=BB242_12 Depth=1
	s_or_b32 exec_lo, exec_lo, s43
	v_lshlrev_b32_sdwa v1, v21, v1 dst_sel:DWORD dst_unused:UNUSED_PAD src0_sel:DWORD src1_sel:WORD_0
	v_lshl_add_u32 v87, v87, 10, 0x2000
	v_lshlrev_b32_e32 v85, 23, v85
	v_and_or_b32 v1, 0x8000, v1, v87
	v_lshl_or_b32 v85, v1, 16, v85
.LBB242_495:                            ;   in Loop: Header=BB242_12 Depth=1
	s_or_b32 exec_lo, exec_lo, s42
.LBB242_496:                            ;   in Loop: Header=BB242_12 Depth=1
	s_or_b32 exec_lo, exec_lo, s41
.LBB242_497:                            ;   in Loop: Header=BB242_12 Depth=1
	s_or_b32 exec_lo, exec_lo, s40
	global_load_ushort v88, v[7:8], off offset:1920
	v_mov_b32_e32 v87, 0
	s_waitcnt vmcnt(0)
	v_and_b32_e32 v1, 0xffff, v88
	v_cmp_ne_u16_sdwa s2, v88, v2 src0_sel:BYTE_0 src1_sel:DWORD
	v_mov_b32_e32 v88, 0
	s_and_saveexec_b32 s40, s2
	s_cbranch_execz .LBB242_505
; %bb.498:                              ;   in Loop: Header=BB242_12 Depth=1
	v_cmp_ne_u16_sdwa s2, v1, v18 src0_sel:BYTE_0 src1_sel:DWORD
	v_mov_b32_e32 v88, 0x8000
	s_and_saveexec_b32 s41, s2
	s_cbranch_execz .LBB242_504
; %bb.499:                              ;   in Loop: Header=BB242_12 Depth=1
	v_and_b32_e32 v90, 0x7f, v1
	v_mov_b32_e32 v88, 0x7c01
	s_mov_b32 s42, exec_lo
	v_cmpx_ne_u32_e32 0x7f, v90
	s_cbranch_execz .LBB242_503
; %bb.500:                              ;   in Loop: Header=BB242_12 Depth=1
	v_and_b32_e32 v88, 7, v1
	v_lshrrev_b32_e32 v89, 3, v90
	s_mov_b32 s43, exec_lo
	v_cmpx_gt_u32_e32 8, v90
; %bb.501:                              ;   in Loop: Header=BB242_12 Depth=1
	v_ffbh_u32_e32 v88, v88
	v_min_u32_e32 v90, 32, v88
	v_subrev_nc_u32_e32 v88, 28, v90
	v_lshlrev_b64 v[88:89], v88, v[1:2]
	v_sub_nc_u32_e32 v89, 29, v90
	v_and_b32_e32 v88, 7, v88
; %bb.502:                              ;   in Loop: Header=BB242_12 Depth=1
	s_or_b32 exec_lo, exec_lo, s43
	v_lshlrev_b32_e32 v90, 8, v1
	v_lshl_add_u32 v89, v89, 10, 0x2000
	v_lshlrev_b32_e32 v88, 7, v88
	v_and_b32_e32 v90, 0x8000, v90
	v_and_b32_e32 v89, 0xfc00, v89
	v_or3_b32 v88, v90, v89, v88
.LBB242_503:                            ;   in Loop: Header=BB242_12 Depth=1
	s_or_b32 exec_lo, exec_lo, s42
.LBB242_504:                            ;   in Loop: Header=BB242_12 Depth=1
	s_or_b32 exec_lo, exec_lo, s41
.LBB242_505:                            ;   in Loop: Header=BB242_12 Depth=1
	s_or_b32 exec_lo, exec_lo, s40
	v_lshrrev_b16 v1, 8, v1
	s_mov_b32 s40, exec_lo
	v_cmpx_ne_u16_e32 0, v1
	s_cbranch_execz .LBB242_513
; %bb.506:                              ;   in Loop: Header=BB242_12 Depth=1
	v_bfrev_b32_e32 v87, 1
	s_mov_b32 s41, exec_lo
	v_cmpx_ne_u16_e32 0x80, v1
	s_cbranch_execz .LBB242_512
; %bb.507:                              ;   in Loop: Header=BB242_12 Depth=1
	v_and_b32_sdwa v90, v1, v19 dst_sel:DWORD dst_unused:UNUSED_PAD src0_sel:WORD_0 src1_sel:DWORD
	v_mov_b32_e32 v87, 0x7c010000
	s_mov_b32 s42, exec_lo
	v_cmpx_ne_u32_e32 0x7f, v90
	s_cbranch_execz .LBB242_511
; %bb.508:                              ;   in Loop: Header=BB242_12 Depth=1
	v_and_b32_sdwa v87, v1, v20 dst_sel:DWORD dst_unused:UNUSED_PAD src0_sel:WORD_0 src1_sel:DWORD
	v_lshrrev_b32_e32 v89, 3, v90
	s_mov_b32 s43, exec_lo
	v_cmpx_gt_u32_e32 8, v90
; %bb.509:                              ;   in Loop: Header=BB242_12 Depth=1
	v_ffbh_u32_e32 v87, v87
	v_min_u32_e32 v87, 32, v87
	v_subrev_nc_u32_e32 v89, 28, v87
	v_lshlrev_b64 v[90:91], v89, v[1:2]
	v_sub_nc_u32_e32 v89, 29, v87
	v_and_b32_e32 v87, 7, v90
; %bb.510:                              ;   in Loop: Header=BB242_12 Depth=1
	s_or_b32 exec_lo, exec_lo, s43
	v_lshlrev_b32_sdwa v1, v21, v1 dst_sel:DWORD dst_unused:UNUSED_PAD src0_sel:DWORD src1_sel:WORD_0
	v_lshl_add_u32 v89, v89, 10, 0x2000
	v_lshlrev_b32_e32 v87, 23, v87
	v_and_or_b32 v1, 0x8000, v1, v89
	v_lshl_or_b32 v87, v1, 16, v87
.LBB242_511:                            ;   in Loop: Header=BB242_12 Depth=1
	s_or_b32 exec_lo, exec_lo, s42
.LBB242_512:                            ;   in Loop: Header=BB242_12 Depth=1
	s_or_b32 exec_lo, exec_lo, s41
.LBB242_513:                            ;   in Loop: Header=BB242_12 Depth=1
	s_or_b32 exec_lo, exec_lo, s40
	global_load_ushort v8, v[7:8], off offset:1928
	v_mov_b32_e32 v7, 0
	s_waitcnt vmcnt(0)
	v_and_b32_e32 v1, 0xffff, v8
	v_cmp_ne_u16_sdwa s2, v8, v2 src0_sel:BYTE_0 src1_sel:DWORD
	v_mov_b32_e32 v8, 0
	s_and_saveexec_b32 s40, s2
	s_cbranch_execz .LBB242_521
; %bb.514:                              ;   in Loop: Header=BB242_12 Depth=1
	v_cmp_ne_u16_sdwa s2, v1, v18 src0_sel:BYTE_0 src1_sel:DWORD
	v_mov_b32_e32 v8, 0x8000
	s_and_saveexec_b32 s41, s2
	s_cbranch_execz .LBB242_520
; %bb.515:                              ;   in Loop: Header=BB242_12 Depth=1
	v_and_b32_e32 v90, 0x7f, v1
	v_mov_b32_e32 v8, 0x7c01
	s_mov_b32 s42, exec_lo
	v_cmpx_ne_u32_e32 0x7f, v90
	s_cbranch_execz .LBB242_519
; %bb.516:                              ;   in Loop: Header=BB242_12 Depth=1
	v_and_b32_e32 v8, 7, v1
	v_lshrrev_b32_e32 v89, 3, v90
	s_mov_b32 s43, exec_lo
	v_cmpx_gt_u32_e32 8, v90
; %bb.517:                              ;   in Loop: Header=BB242_12 Depth=1
	v_ffbh_u32_e32 v8, v8
	v_min_u32_e32 v8, 32, v8
	v_subrev_nc_u32_e32 v89, 28, v8
	v_lshlrev_b64 v[90:91], v89, v[1:2]
	v_sub_nc_u32_e32 v89, 29, v8
	v_and_b32_e32 v8, 7, v90
; %bb.518:                              ;   in Loop: Header=BB242_12 Depth=1
	s_or_b32 exec_lo, exec_lo, s43
	v_lshlrev_b32_e32 v90, 8, v1
	v_lshl_add_u32 v89, v89, 10, 0x2000
	v_lshlrev_b32_e32 v8, 7, v8
	v_and_b32_e32 v90, 0x8000, v90
	v_and_b32_e32 v89, 0xfc00, v89
	v_or3_b32 v8, v90, v89, v8
.LBB242_519:                            ;   in Loop: Header=BB242_12 Depth=1
	s_or_b32 exec_lo, exec_lo, s42
.LBB242_520:                            ;   in Loop: Header=BB242_12 Depth=1
	s_or_b32 exec_lo, exec_lo, s41
.LBB242_521:                            ;   in Loop: Header=BB242_12 Depth=1
	s_or_b32 exec_lo, exec_lo, s40
	v_lshrrev_b16 v1, 8, v1
	s_mov_b32 s40, exec_lo
	v_cmpx_ne_u16_e32 0, v1
	s_cbranch_execz .LBB242_529
; %bb.522:                              ;   in Loop: Header=BB242_12 Depth=1
	v_bfrev_b32_e32 v7, 1
	s_mov_b32 s41, exec_lo
	v_cmpx_ne_u16_e32 0x80, v1
	s_cbranch_execz .LBB242_528
; %bb.523:                              ;   in Loop: Header=BB242_12 Depth=1
	v_and_b32_sdwa v90, v1, v19 dst_sel:DWORD dst_unused:UNUSED_PAD src0_sel:WORD_0 src1_sel:DWORD
	v_mov_b32_e32 v7, 0x7c010000
	s_mov_b32 s42, exec_lo
	v_cmpx_ne_u32_e32 0x7f, v90
	s_cbranch_execz .LBB242_527
; %bb.524:                              ;   in Loop: Header=BB242_12 Depth=1
	v_and_b32_sdwa v7, v1, v20 dst_sel:DWORD dst_unused:UNUSED_PAD src0_sel:WORD_0 src1_sel:DWORD
	v_lshrrev_b32_e32 v89, 3, v90
	s_mov_b32 s43, exec_lo
	v_cmpx_gt_u32_e32 8, v90
; %bb.525:                              ;   in Loop: Header=BB242_12 Depth=1
	v_ffbh_u32_e32 v7, v7
	v_min_u32_e32 v7, 32, v7
	v_subrev_nc_u32_e32 v89, 28, v7
	v_lshlrev_b64 v[90:91], v89, v[1:2]
	v_sub_nc_u32_e32 v89, 29, v7
	v_and_b32_e32 v7, 7, v90
; %bb.526:                              ;   in Loop: Header=BB242_12 Depth=1
	s_or_b32 exec_lo, exec_lo, s43
	v_lshlrev_b32_sdwa v1, v21, v1 dst_sel:DWORD dst_unused:UNUSED_PAD src0_sel:DWORD src1_sel:WORD_0
	v_lshl_add_u32 v89, v89, 10, 0x2000
	v_lshlrev_b32_e32 v7, 23, v7
	v_and_or_b32 v1, 0x8000, v1, v89
	v_lshl_or_b32 v7, v1, 16, v7
.LBB242_527:                            ;   in Loop: Header=BB242_12 Depth=1
	s_or_b32 exec_lo, exec_lo, s42
.LBB242_528:                            ;   in Loop: Header=BB242_12 Depth=1
	s_or_b32 exec_lo, exec_lo, s41
.LBB242_529:                            ;   in Loop: Header=BB242_12 Depth=1
	s_or_b32 exec_lo, exec_lo, s40
	ds_read_b32 v1, v14
	v_or_b32_e32 v28, v27, v28
	v_fma_mixlo_f16 v27, v26, v27, 0 op_sel:[0,1,0] op_sel_hi:[0,1,0]
	v_or_b32_e32 v48, v47, v48
	v_fma_mixlo_f16 v47, v26, v47, 0 op_sel:[0,1,0] op_sel_hi:[0,1,0]
	v_or_b32_e32 v50, v49, v50
	v_fma_mixlo_f16 v28, v26, v28, 0 op_sel_hi:[0,1,0]
	v_and_b32_e32 v27, 0xffff, v27
	v_fma_mixlo_f16 v48, v26, v48, 0 op_sel_hi:[0,1,0]
	v_and_b32_e32 v97, 0xffff, v47
	;; [unrolled: 2-line block ×3, first 2 shown]
	v_fma_mixlo_f16 v49, v26, v49, 0 op_sel:[0,1,0] op_sel_hi:[0,1,0]
	v_and_b32_e32 v95, 0xffff, v48
	v_or_b32_e32 v62, v61, v62
	v_and_b32_e32 v98, 0xffff, v50
	v_fma_mixlo_f16 v61, v26, v61, 0 op_sel:[0,1,0] op_sel_hi:[0,1,0]
	v_and_b32_e32 v49, 0xffff, v49
	v_or_b32_e32 v66, v65, v66
	v_fma_mixlo_f16 v62, v26, v62, 0 op_sel_hi:[0,1,0]
	s_waitcnt lgkmcnt(0)
	v_and_b32_e32 v89, 0xffff, v1
	v_lshrrev_b32_e32 v1, 16, v1
	;;#ASMSTART
	v_cvt_f32_f16 v116, v89;
	;;#ASMEND
	;;#ASMSTART
	v_cvt_f32_f16 v106, v1;
	;;#ASMEND
	;;#ASMSTART
	v_cvt_f32_f16 v117, v28;
	;;#ASMEND
	;;#ASMSTART
	v_cvt_f32_f16 v107, v27;
	;;#ASMEND
	ds_read_b32 v1, v14 offset:4
	v_or_b32_e32 v27, v29, v30
	v_fma_mixlo_f16 v28, v26, v29, 0 op_sel:[0,1,0] op_sel_hi:[0,1,0]
	v_fma_mixlo_f16 v30, v26, v39, 0 op_sel:[0,1,0] op_sel_hi:[0,1,0]
	v_fma_mixlo_f16 v66, v26, v66, 0 op_sel_hi:[0,1,0]
	v_fma_mixlo_f16 v65, v26, v65, 0 op_sel:[0,1,0] op_sel_hi:[0,1,0]
	v_fma_mixlo_f16 v27, v26, v27, 0 op_sel_hi:[0,1,0]
	v_and_b32_e32 v28, 0xffff, v28
	v_or_b32_e32 v68, v67, v68
	v_fma_mixlo_f16 v67, v26, v67, 0 op_sel:[0,1,0] op_sel_hi:[0,1,0]
	v_or_b32_e32 v70, v69, v70
	v_and_b32_e32 v27, 0xffff, v27
	v_fma_mixlo_f16 v69, v26, v69, 0 op_sel:[0,1,0] op_sel_hi:[0,1,0]
	v_fma_mixlo_f16 v68, v26, v68, 0 op_sel_hi:[0,1,0]
	v_or_b32_e32 v72, v71, v72
	v_fma_mixlo_f16 v70, v26, v70, 0 op_sel_hi:[0,1,0]
	v_fma_mixlo_f16 v71, v26, v71, 0 op_sel:[0,1,0] op_sel_hi:[0,1,0]
	v_or_b32_e32 v74, v73, v74
	v_fma_mixlo_f16 v73, v26, v73, 0 op_sel:[0,1,0] op_sel_hi:[0,1,0]
	v_fma_mixlo_f16 v72, v26, v72, 0 op_sel_hi:[0,1,0]
	s_waitcnt lgkmcnt(0)
	v_and_b32_e32 v29, 0xffff, v1
	v_lshrrev_b32_e32 v1, 16, v1
	;;#ASMSTART
	v_cvt_f32_f16 v120, v29;
	;;#ASMEND
	;;#ASMSTART
	v_cvt_f32_f16 v114, v1;
	;;#ASMEND
	;;#ASMSTART
	v_cvt_f32_f16 v121, v27;
	;;#ASMEND
	;;#ASMSTART
	v_cvt_f32_f16 v115, v28;
	;;#ASMEND
	ds_read_b32 v1, v14 offset:8
	v_or_b32_e32 v27, v31, v32
	v_fma_mixlo_f16 v28, v26, v31, 0 op_sel:[0,1,0] op_sel_hi:[0,1,0]
	v_fma_mixlo_f16 v74, v26, v74, 0 op_sel_hi:[0,1,0]
	v_or_b32_e32 v76, v75, v76
	v_fma_mixlo_f16 v75, v26, v75, 0 op_sel:[0,1,0] op_sel_hi:[0,1,0]
	v_fma_mixlo_f16 v27, v26, v27, 0 op_sel_hi:[0,1,0]
	v_and_b32_e32 v28, 0xffff, v28
	v_or_b32_e32 v78, v77, v78
	v_fma_mixlo_f16 v76, v26, v76, 0 op_sel_hi:[0,1,0]
	v_fma_mixlo_f16 v77, v26, v77, 0 op_sel:[0,1,0] op_sel_hi:[0,1,0]
	v_and_b32_e32 v27, 0xffff, v27
	v_or_b32_e32 v80, v79, v80
	v_fma_mixlo_f16 v78, v26, v78, 0 op_sel_hi:[0,1,0]
	v_fma_mixlo_f16 v79, v26, v79, 0 op_sel:[0,1,0] op_sel_hi:[0,1,0]
	v_or_b32_e32 v8, v7, v8
	v_fma_mixlo_f16 v7, v26, v7, 0 op_sel:[0,1,0] op_sel_hi:[0,1,0]
	v_fma_mixlo_f16 v80, v26, v80, 0 op_sel_hi:[0,1,0]
	v_and_b32_e32 v78, 0xffff, v78
	s_waitcnt lgkmcnt(0)
	v_and_b32_e32 v29, 0xffff, v1
	v_lshrrev_b32_e32 v1, 16, v1
	;;#ASMSTART
	v_cvt_f32_f16 v108, v29;
	;;#ASMEND
	;;#ASMSTART
	v_cvt_f32_f16 v102, v1;
	;;#ASMEND
	;; [unrolled: 3-line block ×4, first 2 shown]
	ds_read_b32 v1, v14 offset:12
	v_or_b32_e32 v27, v33, v34
	v_fma_mixlo_f16 v28, v26, v33, 0 op_sel:[0,1,0] op_sel_hi:[0,1,0]
	v_and_b32_e32 v34, 0xffff, v30
	v_and_b32_e32 v80, 0xffff, v80
	v_fma_mixlo_f16 v8, v26, v8, 0 op_sel_hi:[0,1,0]
	v_fma_mixlo_f16 v27, v26, v27, 0 op_sel_hi:[0,1,0]
	v_and_b32_e32 v28, 0xffff, v28
	v_and_b32_e32 v27, 0xffff, v27
	s_waitcnt lgkmcnt(0)
	v_and_b32_e32 v29, 0xffff, v1
	v_lshrrev_b32_e32 v1, 16, v1
	;;#ASMSTART
	v_cvt_f32_f16 v100, v29;
	;;#ASMEND
	;;#ASMSTART
	v_cvt_f32_f16 v94, v1;
	;;#ASMEND
	;; [unrolled: 3-line block ×4, first 2 shown]
	ds_read_b32 v1, v14 offset:16
	v_or_b32_e32 v27, v35, v36
	v_fma_mixlo_f16 v28, v26, v35, 0 op_sel:[0,1,0] op_sel_hi:[0,1,0]
	v_fma_mixlo_f16 v27, v26, v27, 0 op_sel_hi:[0,1,0]
	v_and_b32_e32 v28, 0xffff, v28
	v_and_b32_e32 v27, 0xffff, v27
	s_waitcnt lgkmcnt(0)
	v_and_b32_e32 v29, 0xffff, v1
	v_lshrrev_b32_e32 v1, 16, v1
	;;#ASMSTART
	v_cvt_f32_f16 v91, v29;
	;;#ASMEND
	;;#ASMSTART
	v_cvt_f32_f16 v89, v1;
	;;#ASMEND
	;;#ASMSTART
	v_cvt_f32_f16 v92, v27;
	;;#ASMEND
	;;#ASMSTART
	v_cvt_f32_f16 v90, v28;
	;;#ASMEND
	ds_read_b32 v1, v14 offset:20
	v_or_b32_e32 v27, v37, v38
	v_fma_mixlo_f16 v28, v26, v37, 0 op_sel:[0,1,0] op_sel_hi:[0,1,0]
	v_fma_mixlo_f16 v27, v26, v27, 0 op_sel_hi:[0,1,0]
	v_and_b32_e32 v28, 0xffff, v28
	v_and_b32_e32 v27, 0xffff, v27
	s_waitcnt lgkmcnt(0)
	v_and_b32_e32 v29, 0xffff, v1
	v_lshrrev_b32_e32 v1, 16, v1
	;;#ASMSTART
	v_cvt_f32_f16 v36, v29;
	;;#ASMEND
	;;#ASMSTART
	v_cvt_f32_f16 v1, v1;
	;;#ASMEND
	;; [unrolled: 3-line block ×4, first 2 shown]
	ds_read_b32 v28, v14 offset:24
	v_or_b32_e32 v29, v39, v40
	v_fma_mixlo_f16 v29, v26, v29, 0 op_sel_hi:[0,1,0]
	v_and_b32_e32 v33, 0xffff, v29
	s_waitcnt lgkmcnt(0)
	v_and_b32_e32 v31, 0xffff, v28
	v_lshrrev_b32_e32 v32, 16, v28
	;;#ASMSTART
	v_cvt_f32_f16 v28, v31;
	;;#ASMEND
	;;#ASMSTART
	v_cvt_f32_f16 v29, v32;
	;;#ASMEND
	;; [unrolled: 3-line block ×4, first 2 shown]
	ds_read_b32 v32, v14 offset:28
	v_or_b32_e32 v33, v41, v42
	v_fma_mixlo_f16 v34, v26, v41, 0 op_sel:[0,1,0] op_sel_hi:[0,1,0]
	v_fma_mixlo_f16 v33, v26, v33, 0 op_sel_hi:[0,1,0]
	v_and_b32_e32 v40, 0xffff, v34
	v_and_b32_e32 v39, 0xffff, v33
	s_waitcnt lgkmcnt(0)
	v_and_b32_e32 v35, 0xffff, v32
	v_lshrrev_b32_e32 v38, 16, v32
	;;#ASMSTART
	v_cvt_f32_f16 v32, v35;
	;;#ASMEND
	;;#ASMSTART
	v_cvt_f32_f16 v33, v38;
	;;#ASMEND
	;; [unrolled: 3-line block ×4, first 2 shown]
	ds_read_b32 v38, v14 offset:32
	v_or_b32_e32 v39, v43, v44
	v_fma_mixlo_f16 v40, v26, v43, 0 op_sel:[0,1,0] op_sel_hi:[0,1,0]
	v_fma_mixlo_f16 v44, v26, v45, 0 op_sel:[0,1,0] op_sel_hi:[0,1,0]
	v_fma_mixlo_f16 v39, v26, v39, 0 op_sel_hi:[0,1,0]
	v_and_b32_e32 v43, 0xffff, v40
	v_and_b32_e32 v93, 0xffff, v44
	;; [unrolled: 1-line block ×3, first 2 shown]
	s_waitcnt lgkmcnt(0)
	v_and_b32_e32 v41, 0xffff, v38
	v_lshrrev_b32_e32 v38, 16, v38
	;;#ASMSTART
	v_cvt_f32_f16 v39, v41;
	;;#ASMEND
	;;#ASMSTART
	v_cvt_f32_f16 v40, v38;
	;;#ASMEND
	;; [unrolled: 3-line block ×4, first 2 shown]
	ds_read_b32 v38, v14 offset:36
	v_or_b32_e32 v43, v45, v46
	v_fma_mixlo_f16 v43, v26, v43, 0 op_sel_hi:[0,1,0]
	v_and_b32_e32 v46, 0xffff, v43
	s_waitcnt lgkmcnt(0)
	v_and_b32_e32 v45, 0xffff, v38
	v_lshrrev_b32_e32 v38, 16, v38
	;;#ASMSTART
	v_cvt_f32_f16 v43, v45;
	;;#ASMEND
	;;#ASMSTART
	v_cvt_f32_f16 v44, v38;
	;;#ASMEND
	;;#ASMSTART
	v_cvt_f32_f16 v45, v46;
	;;#ASMEND
	;;#ASMSTART
	v_cvt_f32_f16 v46, v93;
	;;#ASMEND
	ds_read_b32 v38, v14 offset:40
	s_waitcnt lgkmcnt(0)
	v_and_b32_e32 v93, 0xffff, v38
	v_lshrrev_b32_e32 v38, 16, v38
	;;#ASMSTART
	v_cvt_f32_f16 v47, v93;
	;;#ASMEND
	;;#ASMSTART
	v_cvt_f32_f16 v48, v38;
	;;#ASMEND
	;;#ASMSTART
	v_cvt_f32_f16 v93, v95;
	;;#ASMEND
	;;#ASMSTART
	v_cvt_f32_f16 v95, v97;
	;;#ASMEND
	ds_read_b32 v38, v14 offset:44
	s_waitcnt lgkmcnt(0)
	v_and_b32_e32 v97, 0xffff, v38
	v_lshrrev_b32_e32 v38, 16, v38
	;;#ASMSTART
	v_cvt_f32_f16 v50, v97;
	;;#ASMEND
	;;#ASMSTART
	v_cvt_f32_f16 v97, v38;
	;;#ASMEND
	;;#ASMSTART
	v_cvt_f32_f16 v98, v98;
	;;#ASMEND
	;;#ASMSTART
	v_cvt_f32_f16 v99, v49;
	;;#ASMEND
	ds_read_b32 v38, v14 offset:48
	v_or_b32_e32 v49, v51, v52
	v_fma_mixlo_f16 v51, v26, v51, 0 op_sel:[0,1,0] op_sel_hi:[0,1,0]
	v_fma_mixlo_f16 v49, v26, v49, 0 op_sel_hi:[0,1,0]
	v_and_b32_e32 v105, 0xffff, v51
	v_and_b32_e32 v49, 0xffff, v49
	s_waitcnt lgkmcnt(0)
	v_and_b32_e32 v52, 0xffff, v38
	v_lshrrev_b32_e32 v38, 16, v38
	;;#ASMSTART
	v_cvt_f32_f16 v51, v52;
	;;#ASMEND
	;;#ASMSTART
	v_cvt_f32_f16 v52, v38;
	;;#ASMEND
	;;#ASMSTART
	v_cvt_f32_f16 v104, v49;
	;;#ASMEND
	;;#ASMSTART
	v_cvt_f32_f16 v105, v105;
	;;#ASMEND
	ds_read_b32 v38, v14 offset:52
	v_or_b32_e32 v49, v53, v54
	v_fma_mixlo_f16 v53, v26, v53, 0 op_sel:[0,1,0] op_sel_hi:[0,1,0]
	v_fma_mixlo_f16 v49, v26, v49, 0 op_sel_hi:[0,1,0]
	v_and_b32_e32 v110, 0xffff, v53
	v_and_b32_e32 v49, 0xffff, v49
	s_waitcnt lgkmcnt(0)
	v_and_b32_e32 v54, 0xffff, v38
	v_lshrrev_b32_e32 v38, 16, v38
	;;#ASMSTART
	v_cvt_f32_f16 v53, v54;
	;;#ASMEND
	;;#ASMSTART
	v_cvt_f32_f16 v54, v38;
	;;#ASMEND
	;;#ASMSTART
	v_cvt_f32_f16 v109, v49;
	;;#ASMEND
	;;#ASMSTART
	v_cvt_f32_f16 v110, v110;
	;;#ASMEND
	ds_read_b32 v38, v14 offset:56
	;; [unrolled: 21-line block ×4, first 2 shown]
	v_or_b32_e32 v49, v59, v60
	v_fma_mixlo_f16 v59, v26, v59, 0 op_sel:[0,1,0] op_sel_hi:[0,1,0]
	v_fma_mixlo_f16 v49, v26, v49, 0 op_sel_hi:[0,1,0]
	v_and_b32_e32 v123, 0xffff, v59
	v_and_b32_e32 v49, 0xffff, v49
	s_waitcnt lgkmcnt(0)
	v_and_b32_e32 v60, 0xffff, v38
	v_lshrrev_b32_e32 v122, 16, v38
	v_mul_f32_e32 v38, v120, v121
	;;#ASMSTART
	v_cvt_f32_f16 v59, v60;
	;;#ASMEND
	;;#ASMSTART
	v_cvt_f32_f16 v60, v122;
	;;#ASMEND
	;; [unrolled: 3-line block ×4, first 2 shown]
	ds_read_b32 v49, v14 offset:68
	v_fmac_f32_e32 v38, v116, v117
	v_and_b32_e32 v117, 0xffff, v62
	v_and_b32_e32 v122, 0xffff, v61
	v_fmac_f32_e32 v38, v108, v111
	v_fmac_f32_e32 v38, v100, v101
	;; [unrolled: 1-line block ×3, first 2 shown]
	s_waitcnt lgkmcnt(0)
	v_and_b32_e32 v116, 0xffff, v49
	v_lshrrev_b32_e32 v49, 16, v49
	;;#ASMSTART
	v_cvt_f32_f16 v61, v116;
	;;#ASMEND
	;;#ASMSTART
	v_cvt_f32_f16 v62, v49;
	;;#ASMEND
	;; [unrolled: 3-line block ×4, first 2 shown]
	ds_read_b32 v122, v14 offset:72
	v_or_b32_e32 v49, v63, v64
	v_fma_mixlo_f16 v63, v26, v63, 0 op_sel:[0,1,0] op_sel_hi:[0,1,0]
	v_fmac_f32_e32 v38, v36, v37
	v_fma_mixlo_f16 v64, v26, v49, 0 op_sel_hi:[0,1,0]
	v_mul_f32_e32 v49, v114, v115
	v_and_b32_e32 v123, 0xffff, v63
	v_fmac_f32_e32 v38, v28, v30
	v_or_b32_e32 v28, v81, v82
	v_fmac_f32_e32 v49, v106, v107
	v_fmac_f32_e32 v38, v32, v34
	v_fma_mixlo_f16 v28, v26, v28, 0 op_sel_hi:[0,1,0]
	v_fma_mixlo_f16 v34, v26, v83, 0 op_sel:[0,1,0] op_sel_hi:[0,1,0]
	v_fmac_f32_e32 v49, v102, v103
	v_fmac_f32_e32 v38, v39, v41
	s_waitcnt lgkmcnt(0)
	v_and_b32_e32 v114, 0xffff, v122
	v_lshrrev_b32_e32 v115, 16, v122
	v_and_b32_e32 v122, 0xffff, v64
	;;#ASMSTART
	v_cvt_f32_f16 v63, v114;
	;;#ASMEND
	;;#ASMSTART
	v_cvt_f32_f16 v64, v115;
	;;#ASMEND
	;; [unrolled: 3-line block ×4, first 2 shown]
	ds_read_b32 v114, v14 offset:76
	v_and_b32_e32 v122, 0xffff, v66
	v_and_b32_e32 v123, 0xffff, v65
	v_fmac_f32_e32 v49, v94, v96
	v_fmac_f32_e32 v38, v43, v45
	v_and_b32_e32 v32, 0xffff, v28
	v_fma_mixlo_f16 v41, v26, v85, 0 op_sel:[0,1,0] op_sel_hi:[0,1,0]
	v_fma_mixlo_f16 v45, v26, v87, 0 op_sel:[0,1,0] op_sel_hi:[0,1,0]
	v_fmac_f32_e32 v49, v89, v90
	v_fmac_f32_e32 v38, v47, v93
	v_and_b32_e32 v45, 0xffff, v45
	v_fmac_f32_e32 v49, v1, v27
	v_fmac_f32_e32 v38, v50, v98
	;; [unrolled: 1-line block ×4, first 2 shown]
	s_waitcnt lgkmcnt(0)
	v_and_b32_e32 v115, 0xffff, v114
	v_lshrrev_b32_e32 v114, 16, v114
	;;#ASMSTART
	v_cvt_f32_f16 v65, v115;
	;;#ASMEND
	;;#ASMSTART
	v_cvt_f32_f16 v66, v114;
	;;#ASMEND
	;; [unrolled: 3-line block ×4, first 2 shown]
	ds_read_b32 v114, v14 offset:80
	v_and_b32_e32 v122, 0xffff, v68
	v_and_b32_e32 v123, 0xffff, v67
	v_fmac_f32_e32 v49, v33, v35
	v_fma_mixlo_f16 v29, v26, v81, 0 op_sel:[0,1,0] op_sel_hi:[0,1,0]
	v_fmac_f32_e32 v38, v53, v109
	v_or_b32_e32 v33, v83, v84
	v_and_b32_e32 v35, 0xffff, v34
	v_fmac_f32_e32 v49, v40, v42
	v_and_b32_e32 v31, 0xffff, v29
	v_fmac_f32_e32 v38, v55, v112
	v_fma_mixlo_f16 v33, v26, v33, 0 op_sel_hi:[0,1,0]
	v_and_b32_e32 v42, 0xffff, v41
	v_fmac_f32_e32 v49, v44, v46
	v_fmac_f32_e32 v38, v57, v118
	v_and_b32_e32 v40, 0xffff, v33
	v_fmac_f32_e32 v49, v48, v95
	s_waitcnt lgkmcnt(0)
	v_and_b32_e32 v115, 0xffff, v114
	v_lshrrev_b32_e32 v114, 16, v114
	;;#ASMSTART
	v_cvt_f32_f16 v67, v115;
	;;#ASMEND
	;;#ASMSTART
	v_cvt_f32_f16 v68, v114;
	;;#ASMEND
	;; [unrolled: 3-line block ×4, first 2 shown]
	ds_read_b32 v114, v14 offset:84
	v_and_b32_e32 v122, 0xffff, v70
	v_and_b32_e32 v123, 0xffff, v69
	v_fmac_f32_e32 v49, v97, v99
	v_fmac_f32_e32 v38, v59, v120
	v_fmac_f32_e32 v49, v52, v105
	v_fmac_f32_e32 v38, v61, v116
	v_fmac_f32_e32 v49, v54, v110
	v_fmac_f32_e32 v38, v63, v106
	v_fmac_f32_e32 v49, v56, v113
	v_fmac_f32_e32 v38, v65, v108
	s_waitcnt lgkmcnt(0)
	v_and_b32_e32 v115, 0xffff, v114
	v_lshrrev_b32_e32 v114, 16, v114
	;;#ASMSTART
	v_cvt_f32_f16 v69, v115;
	;;#ASMEND
	;;#ASMSTART
	v_cvt_f32_f16 v70, v114;
	;;#ASMEND
	;; [unrolled: 3-line block ×4, first 2 shown]
	ds_read_b32 v114, v14 offset:88
	v_and_b32_e32 v122, 0xffff, v72
	v_and_b32_e32 v123, 0xffff, v71
	v_fmac_f32_e32 v49, v58, v119
	v_fmac_f32_e32 v38, v67, v102
	;; [unrolled: 1-line block ×6, first 2 shown]
	s_waitcnt lgkmcnt(0)
	v_and_b32_e32 v115, 0xffff, v114
	v_lshrrev_b32_e32 v114, 16, v114
	;;#ASMSTART
	v_cvt_f32_f16 v71, v115;
	;;#ASMEND
	;;#ASMSTART
	v_cvt_f32_f16 v72, v114;
	;;#ASMEND
	;; [unrolled: 3-line block ×4, first 2 shown]
	ds_read_b32 v114, v14 offset:92
	v_and_b32_e32 v122, 0xffff, v74
	v_and_b32_e32 v123, 0xffff, v73
	v_fmac_f32_e32 v49, v66, v111
	v_fmac_f32_e32 v38, v71, v94
	;; [unrolled: 1-line block ×5, first 2 shown]
	s_waitcnt lgkmcnt(0)
	v_and_b32_e32 v115, 0xffff, v114
	v_lshrrev_b32_e32 v114, 16, v114
	;;#ASMSTART
	v_cvt_f32_f16 v73, v115;
	;;#ASMEND
	;;#ASMSTART
	v_cvt_f32_f16 v74, v114;
	;;#ASMEND
	;; [unrolled: 3-line block ×4, first 2 shown]
	ds_read_b32 v114, v14 offset:96
	v_and_b32_e32 v122, 0xffff, v76
	v_and_b32_e32 v123, 0xffff, v75
	v_fmac_f32_e32 v38, v73, v91
	v_fmac_f32_e32 v49, v74, v92
	s_waitcnt lgkmcnt(0)
	v_and_b32_e32 v115, 0xffff, v114
	v_lshrrev_b32_e32 v114, 16, v114
	;;#ASMSTART
	v_cvt_f32_f16 v75, v115;
	;;#ASMEND
	;;#ASMSTART
	v_cvt_f32_f16 v76, v114;
	;;#ASMEND
	;;#ASMSTART
	v_cvt_f32_f16 v89, v122;
	;;#ASMEND
	;;#ASMSTART
	v_cvt_f32_f16 v90, v123;
	;;#ASMEND
	ds_read_b32 v114, v14 offset:100
	v_and_b32_e32 v122, 0xffff, v77
	v_fmac_f32_e32 v38, v75, v89
	v_fmac_f32_e32 v49, v76, v90
	s_waitcnt lgkmcnt(0)
	v_and_b32_e32 v115, 0xffff, v114
	v_lshrrev_b32_e32 v114, 16, v114
	;;#ASMSTART
	v_cvt_f32_f16 v36, v115;
	;;#ASMEND
	;;#ASMSTART
	v_cvt_f32_f16 v37, v114;
	;;#ASMEND
	;;#ASMSTART
	v_cvt_f32_f16 v77, v78;
	;;#ASMEND
	;;#ASMSTART
	v_cvt_f32_f16 v78, v122;
	;;#ASMEND
	ds_read_b32 v114, v14 offset:104
	;; [unrolled: 19-line block ×3, first 2 shown]
	v_fmac_f32_e32 v38, v1, v79
	v_fmac_f32_e32 v49, v27, v80
	v_xor_b32_e32 v1, 2, v10
	v_and_b32_e32 v27, 0xffff, v7
	v_cmp_gt_i32_e64 s2, 32, v1
	v_cndmask_b32_e64 v1, v10, v1, s2
	v_lshlrev_b32_e32 v1, 2, v1
	s_waitcnt lgkmcnt(0)
	v_and_b32_e32 v29, 0xffff, v114
	v_lshrrev_b32_e32 v30, 16, v114
	;;#ASMSTART
	v_cvt_f32_f16 v28, v29;
	;;#ASMEND
	;;#ASMSTART
	v_cvt_f32_f16 v29, v30;
	;;#ASMEND
	;; [unrolled: 3-line block ×4, first 2 shown]
	ds_read_b32 v32, v14 offset:112
	v_fmac_f32_e32 v38, v28, v30
	v_fmac_f32_e32 v49, v29, v31
	v_and_b32_e32 v28, 0xffff, v8
	s_waitcnt lgkmcnt(0)
	v_and_b32_e32 v34, 0xffff, v32
	v_lshrrev_b32_e32 v39, 16, v32
	;;#ASMSTART
	v_cvt_f32_f16 v32, v34;
	;;#ASMEND
	;;#ASMSTART
	v_cvt_f32_f16 v33, v39;
	;;#ASMEND
	;; [unrolled: 3-line block ×4, first 2 shown]
	ds_read_b32 v39, v14 offset:116
	v_or_b32_e32 v40, v85, v86
	v_fmac_f32_e32 v38, v32, v34
	v_fmac_f32_e32 v49, v33, v35
	v_fma_mixlo_f16 v40, v26, v40, 0 op_sel_hi:[0,1,0]
	v_and_b32_e32 v44, 0xffff, v40
	s_waitcnt lgkmcnt(0)
	v_and_b32_e32 v41, 0xffff, v39
	v_lshrrev_b32_e32 v43, 16, v39
	;;#ASMSTART
	v_cvt_f32_f16 v39, v41;
	;;#ASMEND
	;;#ASMSTART
	v_cvt_f32_f16 v40, v43;
	;;#ASMEND
	;; [unrolled: 3-line block ×4, first 2 shown]
	ds_read_b32 v43, v14 offset:120
	v_or_b32_e32 v44, v87, v88
	v_fmac_f32_e32 v38, v39, v41
	v_fmac_f32_e32 v49, v40, v42
	v_fma_mixlo_f16 v44, v26, v44, 0 op_sel_hi:[0,1,0]
	v_and_b32_e32 v44, 0xffff, v44
	s_waitcnt lgkmcnt(0)
	v_and_b32_e32 v46, 0xffff, v43
	v_lshrrev_b32_e32 v43, 16, v43
	;;#ASMSTART
	v_cvt_f32_f16 v36, v46;
	;;#ASMEND
	;;#ASMSTART
	v_cvt_f32_f16 v37, v43;
	;;#ASMEND
	;;#ASMSTART
	v_cvt_f32_f16 v43, v44;
	;;#ASMEND
	;;#ASMSTART
	v_cvt_f32_f16 v44, v45;
	;;#ASMEND
	ds_read_b32 v45, v14 offset:124
	v_fmac_f32_e32 v38, v36, v43
	v_fmac_f32_e32 v49, v37, v44
	s_waitcnt lgkmcnt(0)
	v_and_b32_e32 v7, 0xffff, v45
	v_lshrrev_b32_e32 v26, 16, v45
	;;#ASMSTART
	v_cvt_f32_f16 v7, v7;
	;;#ASMEND
	;;#ASMSTART
	v_cvt_f32_f16 v8, v26;
	;;#ASMEND
	;; [unrolled: 3-line block ×4, first 2 shown]
	v_fmac_f32_e32 v38, v7, v26
	v_fmac_f32_e32 v49, v8, v27
	v_xor_b32_e32 v8, 1, v10
	v_add_f32_e32 v7, v38, v49
	v_cmp_gt_i32_e64 s2, 32, v8
	ds_bpermute_b32 v1, v1, v7
	v_cndmask_b32_e64 v8, v10, v8, s2
	s_waitcnt lgkmcnt(0)
	v_add_f32_e32 v1, v7, v1
	v_lshlrev_b32_e32 v7, 2, v8
	ds_bpermute_b32 v7, v7, v1
	s_and_saveexec_b32 s40, vcc_lo
	s_cbranch_execz .LBB242_10
; %bb.530:                              ;   in Loop: Header=BB242_12 Depth=1
	v_add_nc_u32_e32 v8, v22, v16
	s_waitcnt lgkmcnt(0)
	v_add_f32_e32 v1, v1, v7
	v_cvt_f32_i32_e32 v8, v8
	v_mul_f32_e32 v8, s36, v8
	v_cndmask_b32_e64 v7, 0, v8, s1
	v_max_f32_e32 v8, v15, v15
	v_fmac_f32_e32 v7, s35, v1
	v_add_nc_u32_e32 v1, v13, v16
	v_max_f32_e32 v8, v8, v7
	v_cmp_gt_i32_e64 s2, s33, v1
	v_cndmask_b32_e64 v1, 0, v7, s2
	v_cndmask_b32_e64 v15, v15, v8, s2
	ds_write_b32 v23, v1
	s_branch .LBB242_10
.LBB242_531:
	s_or_b32 exec_lo, exec_lo, s38
.LBB242_532:
	s_or_b32 exec_lo, exec_lo, s37
	v_xor_b32_e32 v1, 16, v10
	v_xor_b32_e32 v3, 8, v10
	v_max_f32_e32 v4, v15, v15
	v_xor_b32_e32 v5, 4, v10
	v_and_b32_e32 v13, 31, v0
	v_cmp_gt_i32_e32 vcc_lo, 32, v1
	v_cndmask_b32_e32 v1, v10, v1, vcc_lo
	v_cmp_gt_i32_e32 vcc_lo, 32, v3
	v_lshlrev_b32_e32 v2, 2, v1
	v_cndmask_b32_e32 v3, v10, v3, vcc_lo
	v_cmp_gt_i32_e32 vcc_lo, 32, v5
	ds_bpermute_b32 v1, v2, v15
	v_lshlrev_b32_e32 v3, 2, v3
	v_cndmask_b32_e32 v5, v10, v5, vcc_lo
	v_cmp_eq_u32_e32 vcc_lo, 0, v13
	v_lshlrev_b32_e32 v6, 2, v5
	s_waitcnt lgkmcnt(0)
	v_max_f32_e32 v1, v1, v1
	v_max_f32_e32 v1, v4, v1
	ds_bpermute_b32 v4, v3, v1
	s_waitcnt lgkmcnt(0)
	v_max_f32_e32 v4, v4, v4
	v_max_f32_e32 v1, v1, v4
	v_lshlrev_b32_e32 v4, 2, v11
	ds_bpermute_b32 v5, v6, v1
	s_and_saveexec_b32 s1, vcc_lo
	s_cbranch_execz .LBB242_534
; %bb.533:
	s_waitcnt lgkmcnt(0)
	v_max_f32_e32 v5, v5, v5
	v_max_f32_e32 v1, v1, v1
	;; [unrolled: 1-line block ×3, first 2 shown]
	ds_write_b32 v4, v1 offset:512
.LBB242_534:
	s_or_b32 exec_lo, exec_lo, s1
	v_cmp_gt_u32_e64 s1, 4, v13
	v_mov_b32_e32 v1, 0xff7fffff
	s_waitcnt lgkmcnt(0)
	v_lshlrev_b32_e32 v5, 2, v13
	s_barrier
	buffer_gl0_inv
	s_and_saveexec_b32 s2, s1
; %bb.535:
	ds_read_b32 v1, v5 offset:512
; %bb.536:
	s_or_b32 exec_lo, exec_lo, s2
	v_xor_b32_e32 v7, 2, v10
	v_xor_b32_e32 v14, 1, v10
	v_cmp_gt_i32_e64 s2, 32, v7
	v_cndmask_b32_e64 v7, v10, v7, s2
	v_cmp_gt_i32_e64 s2, 32, v14
	v_lshlrev_b32_e32 v7, 2, v7
	v_cndmask_b32_e64 v10, v10, v14, s2
	s_lshl_b32 s2, s20, 3
	s_min_i32 s4, s2, s33
	s_waitcnt lgkmcnt(0)
	ds_bpermute_b32 v8, v7, v1
	v_max_f32_e32 v1, v1, v1
	v_cmp_gt_i32_e64 s2, s4, v0
	s_waitcnt lgkmcnt(0)
	v_max_f32_e32 v14, v8, v8
	v_lshlrev_b32_e32 v8, 2, v10
	v_max_f32_e32 v1, v1, v14
	ds_bpermute_b32 v10, v8, v1
	s_waitcnt lgkmcnt(0)
	v_max_f32_e32 v10, v10, v10
	v_max_f32_e32 v1, v1, v10
	v_mov_b32_e32 v10, 0
	ds_bpermute_b32 v14, v10, v1
	v_lshl_add_u32 v1, v0, 2, 0x220
	s_and_saveexec_b32 s5, s2
	s_cbranch_execz .LBB242_540
; %bb.537:
	v_lshl_add_u32 v15, v0, 2, 0x220
	v_mov_b32_e32 v10, 0
	v_mov_b32_e32 v16, v0
	s_mov_b32 s12, 0
	.p2align	6
.LBB242_538:                            ; =>This Inner Loop Header: Depth=1
	ds_read_b32 v17, v15
	v_add_nc_u32_e32 v16, 0x80, v16
	v_cmp_le_i32_e64 s3, s4, v16
	s_or_b32 s12, s3, s12
	s_waitcnt lgkmcnt(0)
	v_sub_f32_e32 v17, v17, v14
	v_mul_f32_e32 v17, 0x3fb8aa3b, v17
	v_exp_f32_e32 v17, v17
	ds_write_b32 v15, v17
	v_add_f32_e32 v10, v10, v17
	v_add_nc_u32_e32 v15, 0x200, v15
	s_andn2_b32 exec_lo, exec_lo, s12
	s_cbranch_execnz .LBB242_538
; %bb.539:
	s_or_b32 exec_lo, exec_lo, s12
.LBB242_540:
	s_or_b32 exec_lo, exec_lo, s5
	ds_bpermute_b32 v2, v2, v10
	s_waitcnt lgkmcnt(0)
	v_add_f32_e32 v2, v10, v2
	ds_bpermute_b32 v3, v3, v2
	s_waitcnt lgkmcnt(0)
	v_add_f32_e32 v2, v2, v3
	ds_bpermute_b32 v3, v6, v2
	s_waitcnt lgkmcnt(0)
	v_add_f32_e32 v2, v2, v3
	ds_bpermute_b32 v3, v7, v2
	s_waitcnt lgkmcnt(0)
	v_add_f32_e32 v2, v2, v3
	ds_bpermute_b32 v3, v8, v2
	s_waitcnt lgkmcnt(0)
	v_add_f32_e32 v2, v2, v3
	s_and_saveexec_b32 s3, vcc_lo
; %bb.541:
	ds_write_b32 v4, v2 offset:528
; %bb.542:
	s_or_b32 exec_lo, exec_lo, s3
	s_waitcnt lgkmcnt(0)
	s_barrier
	buffer_gl0_inv
	s_and_saveexec_b32 s3, s1
; %bb.543:
	ds_read_b32 v2, v5 offset:528
; %bb.544:
	s_or_b32 exec_lo, exec_lo, s3
	s_waitcnt lgkmcnt(0)
	ds_bpermute_b32 v3, v7, v2
	s_waitcnt lgkmcnt(0)
	v_add_f32_e32 v2, v2, v3
	ds_bpermute_b32 v3, v8, v2
	s_waitcnt lgkmcnt(0)
	v_add_f32_e32 v2, v2, v3
	v_mov_b32_e32 v3, 0
	ds_bpermute_b32 v2, v3, v2
	s_and_saveexec_b32 s1, s2
	s_cbranch_execz .LBB242_547
; %bb.545:
	s_waitcnt lgkmcnt(0)
	v_add_f32_e32 v2, 0x358637bd, v2
	s_mov_b32 s2, 0
	v_div_scale_f32 v3, null, v2, v2, 1.0
	v_div_scale_f32 v6, vcc_lo, 1.0, v2, 1.0
	v_rcp_f32_e32 v4, v3
	v_fma_f32 v5, -v3, v4, 1.0
	v_fmac_f32_e32 v4, v5, v4
	v_mul_f32_e32 v5, v6, v4
	v_fma_f32 v7, -v3, v5, v6
	v_fmac_f32_e32 v5, v7, v4
	v_fma_f32 v3, -v3, v5, v6
	v_div_fmas_f32 v3, v3, v4, v5
	v_div_fixup_f32 v2, v3, v2, 1.0
	v_mov_b32_e32 v3, v0
.LBB242_546:                            ; =>This Inner Loop Header: Depth=1
	ds_read_b32 v4, v1
	v_add_nc_u32_e32 v3, 0x80, v3
	v_cmp_le_i32_e32 vcc_lo, s4, v3
	s_or_b32 s2, vcc_lo, s2
	s_waitcnt lgkmcnt(0)
	v_mul_f32_e32 v4, v2, v4
	ds_write_b32 v1, v4
	v_add_nc_u32_e32 v1, 0x200, v1
	s_andn2_b32 exec_lo, exec_lo, s2
	s_cbranch_execnz .LBB242_546
.LBB242_547:
	s_or_b32 exec_lo, exec_lo, s1
	v_mov_b32_e32 v21, 0
	v_mov_b32_e32 v20, 0
	;; [unrolled: 1-line block ×8, first 2 shown]
	s_waitcnt lgkmcnt(0)
	s_barrier
	buffer_gl0_inv
	s_and_saveexec_b32 s1, s0
	s_cbranch_execz .LBB242_1081
; %bb.548:
	s_sub_i32 s4, s34, s21
	s_ashr_i32 s0, s18, 31
	s_add_u32 s18, s30, s18
	s_addc_u32 s0, s31, s0
	s_abs_i32 s5, s22
	v_lshlrev_b32_e32 v3, 3, v13
	v_cvt_f32_u32_e32 v1, s5
	s_sub_i32 s2, 0, s5
	v_and_b32_e32 v5, 0x7c, v9
	s_mov_b32 s12, s17
	v_add_co_u32 v3, s17, s18, v3
	v_rcp_iflag_f32_e32 v1, v1
	s_add_i32 s13, s20, -1
	v_mov_b32_e32 v2, 0
	v_lshl_add_u32 v22, v11, 5, 0x220
	v_mov_b32_e32 v23, 0x80
	v_mov_b32_e32 v24, 0x7f
	;; [unrolled: 1-line block ×6, first 2 shown]
	v_mul_f32_e32 v1, 0x4f7ffffe, v1
	v_mov_b32_e32 v16, 0
	v_mov_b32_e32 v17, 0
	;; [unrolled: 1-line block ×4, first 2 shown]
	v_cvt_u32_f32_e32 v1, v1
	v_mov_b32_e32 v20, 0
	v_mov_b32_e32 v21, 0
	v_mov_b32_e32 v28, v11
	v_mul_lo_u32 v4, s2, v1
	s_lshl_b64 s[2:3], s[28:29], 2
	v_mul_hi_u32 v7, v1, v4
	v_add_co_ci_u32_e64 v4, null, s0, 0, s17
	s_add_u32 s0, s26, s2
	s_addc_u32 s2, s27, s3
	v_add_co_u32 v5, s0, s0, v5
	v_add_co_ci_u32_e64 v6, null, s2, 0, s0
	v_add_nc_u32_e32 v27, v1, v7
	s_mov_b32 s2, -1
	s_mov_b32 s3, 0xffffff
	s_mov_b32 s17, 0
	s_branch .LBB242_551
.LBB242_549:                            ;   in Loop: Header=BB242_551 Depth=1
	s_or_b32 exec_lo, exec_lo, s0
	v_add_f32_e32 v9, v9, v10
	v_add_f32_e32 v10, v50, v51
	;; [unrolled: 1-line block ×5, first 2 shown]
	;;#ASMSTART
	v_pk_mul_f16 v10, v41, v52;

	;;#ASMEND
	;;#ASMSTART
	v_pk_mul_f16 v8, v40, v8;

	;;#ASMEND
	;; [unrolled: 4-line block ×4, first 2 shown]
	;;#ASMSTART
	v_pk_add_f16 v8, v10, v8;

	;;#ASMEND
	;;#ASMSTART
	v_pk_add_f16 v7, v8, v7;

	;;#ASMEND
	;; [unrolled: 4-line block ×3, first 2 shown]
	v_and_b32_e32 v10, 0xffff, v1
	v_add_f32_e32 v17, v17, v29
	v_lshrrev_b32_e32 v29, 16, v1
	;;#ASMSTART
	v_cvt_f32_f16 v10, v10;
	;;#ASMEND
	v_add_f32_e32 v9, v46, v47
	v_add_f32_e32 v1, v44, v45
	;; [unrolled: 1-line block ×4, first 2 shown]
	;;#ASMSTART
	v_cvt_f32_f16 v29, v29;
	;;#ASMEND
	v_add_f32_e32 v10, v10, v29
	v_add_f32_e32 v18, v18, v9
	v_add_f32_e32 v19, v19, v1
	v_add_f32_e32 v20, v20, v7
	v_add_f32_e32 v21, v21, v8
	v_add_f32_e32 v14, v14, v10
.LBB242_550:                            ;   in Loop: Header=BB242_551 Depth=1
	s_or_b32 exec_lo, exec_lo, s18
	v_add_nc_u32_e32 v28, 4, v28
	v_add_co_u32 v5, s0, v5, 16
	v_add_co_ci_u32_e64 v6, null, 0, v6, s0
	v_cmp_le_i32_e32 vcc_lo, s20, v28
	v_add_nc_u32_e32 v12, 32, v12
	v_add_nc_u32_e32 v22, 0x80, v22
	s_or_b32 s17, vcc_lo, s17
	s_andn2_b32 exec_lo, exec_lo, s17
	s_cbranch_execz .LBB242_1080
.LBB242_551:                            ; =>This Inner Loop Header: Depth=1
	v_mul_hi_u32 v1, v12, s19
	v_mul_lo_u32 v7, v1, s16
	v_add_nc_u32_e32 v8, 1, v1
	v_sub_nc_u32_e32 v7, v12, v7
	v_subrev_nc_u32_e32 v9, s16, v7
	v_cmp_le_u32_e32 vcc_lo, s16, v7
	v_cndmask_b32_e32 v1, v1, v8, vcc_lo
	v_cndmask_b32_e32 v7, v7, v9, vcc_lo
	v_add_nc_u32_e32 v8, 1, v1
	v_cmp_le_u32_e32 vcc_lo, s16, v7
	v_cndmask_b32_e32 v1, v1, v8, vcc_lo
	v_xor_b32_e32 v1, s23, v1
	v_subrev_nc_u32_e32 v1, s23, v1
	v_add_nc_u32_e32 v7, s25, v1
	v_cmp_lt_i32_e64 s0, s4, v1
	v_sub_nc_u32_e32 v8, 0, v7
	v_max_i32_e32 v8, v7, v8
	v_ashrrev_i32_e32 v7, 31, v7
	v_mul_hi_u32 v9, v8, v27
	v_mul_lo_u32 v9, v9, s5
	v_sub_nc_u32_e32 v8, v8, v9
	v_subrev_nc_u32_e32 v9, s5, v8
	v_cmp_le_u32_e32 vcc_lo, s5, v8
	v_cndmask_b32_e32 v8, v8, v9, vcc_lo
	v_subrev_nc_u32_e32 v9, s5, v8
	v_cmp_le_u32_e32 vcc_lo, s5, v8
	v_cndmask_b32_e32 v8, v8, v9, vcc_lo
	v_xor_b32_e32 v8, v8, v7
	v_sub_nc_u32_e32 v7, v8, v7
	v_cmp_eq_u32_e32 vcc_lo, 0, v7
	s_or_b32 s0, vcc_lo, s0
	s_and_saveexec_b32 s18, s0
	s_cbranch_execz .LBB242_550
; %bb.552:                              ;   in Loop: Header=BB242_551 Depth=1
	global_load_dword v1, v[5:6], off
	ds_read2_b64 v[29:32], v22 offset1:1
	ds_read2_b64 v[41:44], v22 offset0:2 offset1:3
	s_waitcnt lgkmcnt(1)
	;;#ASMSTART
	v_cvt_f16_f32 v35, v29;

	;;#ASMEND
	;;#ASMSTART
	v_cvt_f16_f32 v37, v30;

	;;#ASMEND
	;; [unrolled: 4-line block ×4, first 2 shown]
	s_waitcnt lgkmcnt(0)
	;;#ASMSTART
	v_cvt_f16_f32 v41, v41;

	;;#ASMEND
	;;#ASMSTART
	v_cvt_f16_f32 v39, v42;

	;;#ASMEND
	;; [unrolled: 4-line block ×4, first 2 shown]
	v_mov_b32_e32 v30, 0
	v_mov_b32_e32 v31, 0
	global_load_dword v29, v30, s[14:15]
	s_waitcnt vmcnt(1)
	v_mad_i64_i32 v[7:8], null, v1, s12, v[3:4]
	global_load_dwordx2 v[9:10], v[7:8], off
	s_waitcnt vmcnt(0)
	v_cmp_ne_u16_sdwa s21, v9, v2 src0_sel:BYTE_0 src1_sel:DWORD
	s_and_saveexec_b32 s0, s21
	s_cbranch_execz .LBB242_560
; %bb.553:                              ;   in Loop: Header=BB242_551 Depth=1
	v_cmp_ne_u16_sdwa s22, v9, v23 src0_sel:BYTE_0 src1_sel:DWORD
	v_mov_b32_e32 v31, 0x8000
	s_and_saveexec_b32 s21, s22
	s_cbranch_execz .LBB242_559
; %bb.554:                              ;   in Loop: Header=BB242_551 Depth=1
	v_and_b32_e32 v32, 0x7f, v9
	v_mov_b32_e32 v31, 0x7c01
	s_mov_b32 s22, exec_lo
	v_cmpx_ne_u32_e32 0x7f, v32
	s_cbranch_execz .LBB242_558
; %bb.555:                              ;   in Loop: Header=BB242_551 Depth=1
	v_and_b32_e32 v1, 7, v9
	v_lshrrev_b32_e32 v31, 3, v32
	s_mov_b32 s26, exec_lo
	v_cmpx_gt_u32_e32 8, v32
; %bb.556:                              ;   in Loop: Header=BB242_551 Depth=1
	v_ffbh_u32_e32 v1, v1
	v_min_u32_e32 v1, 32, v1
	v_subrev_nc_u32_e32 v31, 28, v1
	v_lshlrev_b64 v[32:33], v31, v[9:10]
	v_sub_nc_u32_e32 v31, 29, v1
	v_and_b32_e32 v1, 7, v32
; %bb.557:                              ;   in Loop: Header=BB242_551 Depth=1
	s_or_b32 exec_lo, exec_lo, s26
	v_lshlrev_b32_e32 v32, 8, v9
	v_lshl_add_u32 v31, v31, 10, 0x2000
	v_lshlrev_b32_e32 v1, 7, v1
	v_and_b32_e32 v32, 0x8000, v32
	v_and_b32_e32 v31, 0xfc00, v31
	v_or3_b32 v31, v32, v31, v1
.LBB242_558:                            ;   in Loop: Header=BB242_551 Depth=1
	s_or_b32 exec_lo, exec_lo, s22
.LBB242_559:                            ;   in Loop: Header=BB242_551 Depth=1
	s_or_b32 exec_lo, exec_lo, s21
.LBB242_560:                            ;   in Loop: Header=BB242_551 Depth=1
	s_or_b32 exec_lo, exec_lo, s0
	v_lshrrev_b16 v1, 8, v9
	s_mov_b32 s0, exec_lo
	v_cmpx_ne_u16_e32 0, v1
	s_cbranch_execz .LBB242_568
; %bb.561:                              ;   in Loop: Header=BB242_551 Depth=1
	v_bfrev_b32_e32 v30, 1
	s_mov_b32 s21, exec_lo
	v_cmpx_ne_u16_e32 0x80, v1
	s_cbranch_execz .LBB242_567
; %bb.562:                              ;   in Loop: Header=BB242_551 Depth=1
	v_and_b32_sdwa v33, v1, v24 dst_sel:DWORD dst_unused:UNUSED_PAD src0_sel:WORD_0 src1_sel:DWORD
	v_mov_b32_e32 v30, 0x7c010000
	s_mov_b32 s22, exec_lo
	v_cmpx_ne_u32_e32 0x7f, v33
	s_cbranch_execz .LBB242_566
; %bb.563:                              ;   in Loop: Header=BB242_551 Depth=1
	v_and_b32_sdwa v30, v1, v25 dst_sel:DWORD dst_unused:UNUSED_PAD src0_sel:WORD_0 src1_sel:DWORD
	v_lshrrev_b32_e32 v32, 3, v33
	s_mov_b32 s26, exec_lo
	v_cmpx_gt_u32_e32 8, v33
; %bb.564:                              ;   in Loop: Header=BB242_551 Depth=1
	v_ffbh_u32_e32 v30, v30
	v_min_u32_e32 v30, 32, v30
	v_subrev_nc_u32_e32 v32, 28, v30
	v_lshlrev_b64 v[33:34], v32, v[1:2]
	v_sub_nc_u32_e32 v32, 29, v30
	v_and_b32_e32 v30, 7, v33
; %bb.565:                              ;   in Loop: Header=BB242_551 Depth=1
	s_or_b32 exec_lo, exec_lo, s26
	v_lshlrev_b32_sdwa v1, v26, v1 dst_sel:DWORD dst_unused:UNUSED_PAD src0_sel:DWORD src1_sel:WORD_0
	v_lshl_add_u32 v32, v32, 10, 0x2000
	v_lshlrev_b32_e32 v30, 23, v30
	v_and_or_b32 v1, 0x8000, v1, v32
	v_lshl_or_b32 v30, v1, 16, v30
.LBB242_566:                            ;   in Loop: Header=BB242_551 Depth=1
	s_or_b32 exec_lo, exec_lo, s22
.LBB242_567:                            ;   in Loop: Header=BB242_551 Depth=1
	s_or_b32 exec_lo, exec_lo, s21
.LBB242_568:                            ;   in Loop: Header=BB242_551 Depth=1
	s_or_b32 exec_lo, exec_lo, s0
	v_lshrrev_b32_e32 v1, 16, v9
	v_mov_b32_e32 v32, 0
	v_mov_b32_e32 v33, 0
	v_cmp_ne_u16_sdwa s21, v1, v2 src0_sel:BYTE_0 src1_sel:DWORD
	s_and_saveexec_b32 s0, s21
	s_cbranch_execz .LBB242_576
; %bb.569:                              ;   in Loop: Header=BB242_551 Depth=1
	v_cmp_ne_u16_sdwa s22, v1, v23 src0_sel:BYTE_0 src1_sel:DWORD
	v_mov_b32_e32 v33, 0x8000
	s_and_saveexec_b32 s21, s22
	s_cbranch_execz .LBB242_575
; %bb.570:                              ;   in Loop: Header=BB242_551 Depth=1
	v_bfe_u32 v36, v9, 16, 7
	v_mov_b32_e32 v33, 0x7c01
	s_mov_b32 s22, exec_lo
	v_cmpx_ne_u32_e32 0x7f, v36
	s_cbranch_execz .LBB242_574
; %bb.571:                              ;   in Loop: Header=BB242_551 Depth=1
	v_and_b32_e32 v33, 7, v1
	v_lshrrev_b32_e32 v34, 3, v36
	s_mov_b32 s26, exec_lo
	v_cmpx_gt_u32_e32 8, v36
; %bb.572:                              ;   in Loop: Header=BB242_551 Depth=1
	v_ffbh_u32_e32 v33, v33
	v_min_u32_e32 v36, 32, v33
	v_subrev_nc_u32_e32 v33, 28, v36
	v_lshlrev_b64 v[33:34], v33, v[1:2]
	v_sub_nc_u32_e32 v34, 29, v36
	v_and_b32_e32 v33, 7, v33
; %bb.573:                              ;   in Loop: Header=BB242_551 Depth=1
	s_or_b32 exec_lo, exec_lo, s26
	v_lshlrev_b32_e32 v1, 8, v1
	v_lshl_add_u32 v34, v34, 10, 0x2000
	v_lshlrev_b32_e32 v33, 7, v33
	v_and_b32_e32 v1, 0x8000, v1
	v_and_b32_e32 v34, 0xfc00, v34
	v_or3_b32 v33, v1, v34, v33
.LBB242_574:                            ;   in Loop: Header=BB242_551 Depth=1
	s_or_b32 exec_lo, exec_lo, s22
.LBB242_575:                            ;   in Loop: Header=BB242_551 Depth=1
	s_or_b32 exec_lo, exec_lo, s21
.LBB242_576:                            ;   in Loop: Header=BB242_551 Depth=1
	s_or_b32 exec_lo, exec_lo, s0
	s_mov_b32 s0, exec_lo
	v_cmpx_lt_u32_e32 0xffffff, v9
	s_cbranch_execz .LBB242_584
; %bb.577:                              ;   in Loop: Header=BB242_551 Depth=1
	v_lshrrev_b32_e32 v1, 24, v9
	v_bfrev_b32_e32 v32, 1
	s_mov_b32 s21, exec_lo
	v_cmpx_ne_u32_e32 0x80, v1
	s_cbranch_execz .LBB242_583
; %bb.578:                              ;   in Loop: Header=BB242_551 Depth=1
	v_and_b32_e32 v36, 0x7f, v1
	v_mov_b32_e32 v32, 0x7c010000
	s_mov_b32 s22, exec_lo
	v_cmpx_ne_u32_e32 0x7f, v36
	s_cbranch_execz .LBB242_582
; %bb.579:                              ;   in Loop: Header=BB242_551 Depth=1
	v_and_b32_e32 v32, 7, v1
	v_lshrrev_b32_e32 v34, 3, v36
	s_mov_b32 s26, exec_lo
	v_cmpx_gt_u32_e32 8, v36
; %bb.580:                              ;   in Loop: Header=BB242_551 Depth=1
	v_ffbh_u32_e32 v32, v32
	v_min_u32_e32 v32, 32, v32
	v_subrev_nc_u32_e32 v34, 28, v32
	v_lshlrev_b64 v[44:45], v34, v[1:2]
	v_sub_nc_u32_e32 v34, 29, v32
	v_and_b32_e32 v32, 7, v44
; %bb.581:                              ;   in Loop: Header=BB242_551 Depth=1
	s_or_b32 exec_lo, exec_lo, s26
	v_lshlrev_b32_e32 v1, 8, v1
	v_lshl_add_u32 v34, v34, 10, 0x2000
	v_lshlrev_b32_e32 v32, 23, v32
	v_and_or_b32 v1, 0x8000, v1, v34
	v_lshl_or_b32 v32, v1, 16, v32
.LBB242_582:                            ;   in Loop: Header=BB242_551 Depth=1
	s_or_b32 exec_lo, exec_lo, s22
.LBB242_583:                            ;   in Loop: Header=BB242_551 Depth=1
	s_or_b32 exec_lo, exec_lo, s21
.LBB242_584:                            ;   in Loop: Header=BB242_551 Depth=1
	s_or_b32 exec_lo, exec_lo, s0
	v_mov_b32_e32 v1, v10
	v_cmp_ne_u16_sdwa s21, v10, v2 src0_sel:BYTE_0 src1_sel:DWORD
	v_mov_b32_e32 v34, 0
	v_mov_b32_e32 v36, 0
	s_and_saveexec_b32 s0, s21
	s_cbranch_execz .LBB242_592
; %bb.585:                              ;   in Loop: Header=BB242_551 Depth=1
	v_cmp_ne_u16_sdwa s22, v10, v23 src0_sel:BYTE_0 src1_sel:DWORD
	v_mov_b32_e32 v36, 0x8000
	s_and_saveexec_b32 s21, s22
	s_cbranch_execz .LBB242_591
; %bb.586:                              ;   in Loop: Header=BB242_551 Depth=1
	v_and_b32_e32 v45, 0x7f, v10
	v_mov_b32_e32 v36, 0x7c01
	s_mov_b32 s22, exec_lo
	v_cmpx_ne_u32_e32 0x7f, v45
	s_cbranch_execz .LBB242_590
; %bb.587:                              ;   in Loop: Header=BB242_551 Depth=1
	v_and_b32_e32 v36, 7, v10
	v_lshrrev_b32_e32 v44, 3, v45
	s_mov_b32 s26, exec_lo
	v_cmpx_gt_u32_e32 8, v45
; %bb.588:                              ;   in Loop: Header=BB242_551 Depth=1
	v_ffbh_u32_e32 v36, v36
	v_min_u32_e32 v36, 32, v36
	v_subrev_nc_u32_e32 v44, 28, v36
	v_lshlrev_b64 v[45:46], v44, v[1:2]
	v_sub_nc_u32_e32 v44, 29, v36
	v_and_b32_e32 v36, 7, v45
; %bb.589:                              ;   in Loop: Header=BB242_551 Depth=1
	s_or_b32 exec_lo, exec_lo, s26
	v_lshlrev_b32_e32 v45, 8, v10
	v_lshl_add_u32 v44, v44, 10, 0x2000
	v_lshlrev_b32_e32 v36, 7, v36
	v_and_b32_e32 v45, 0x8000, v45
	v_and_b32_e32 v44, 0xfc00, v44
	v_or3_b32 v36, v45, v44, v36
.LBB242_590:                            ;   in Loop: Header=BB242_551 Depth=1
	s_or_b32 exec_lo, exec_lo, s22
.LBB242_591:                            ;   in Loop: Header=BB242_551 Depth=1
	s_or_b32 exec_lo, exec_lo, s21
.LBB242_592:                            ;   in Loop: Header=BB242_551 Depth=1
	s_or_b32 exec_lo, exec_lo, s0
	v_lshrrev_b16 v1, 8, v1
	v_mov_b32_e32 v44, 0
	s_mov_b32 s0, exec_lo
	v_cmpx_ne_u16_e32 0, v1
	s_cbranch_execz .LBB242_600
; %bb.593:                              ;   in Loop: Header=BB242_551 Depth=1
	v_bfrev_b32_e32 v44, 1
	s_mov_b32 s21, exec_lo
	v_cmpx_ne_u16_e32 0x80, v1
	s_cbranch_execz .LBB242_599
; %bb.594:                              ;   in Loop: Header=BB242_551 Depth=1
	v_and_b32_sdwa v46, v1, v24 dst_sel:DWORD dst_unused:UNUSED_PAD src0_sel:WORD_0 src1_sel:DWORD
	v_mov_b32_e32 v44, 0x7c010000
	s_mov_b32 s22, exec_lo
	v_cmpx_ne_u32_e32 0x7f, v46
	s_cbranch_execz .LBB242_598
; %bb.595:                              ;   in Loop: Header=BB242_551 Depth=1
	v_and_b32_sdwa v44, v1, v25 dst_sel:DWORD dst_unused:UNUSED_PAD src0_sel:WORD_0 src1_sel:DWORD
	v_lshrrev_b32_e32 v45, 3, v46
	s_mov_b32 s26, exec_lo
	v_cmpx_gt_u32_e32 8, v46
; %bb.596:                              ;   in Loop: Header=BB242_551 Depth=1
	v_ffbh_u32_e32 v44, v44
	v_min_u32_e32 v46, 32, v44
	v_subrev_nc_u32_e32 v44, 28, v46
	v_lshlrev_b64 v[44:45], v44, v[1:2]
	v_sub_nc_u32_e32 v45, 29, v46
	v_and_b32_e32 v44, 7, v44
; %bb.597:                              ;   in Loop: Header=BB242_551 Depth=1
	s_or_b32 exec_lo, exec_lo, s26
	v_lshlrev_b32_sdwa v1, v26, v1 dst_sel:DWORD dst_unused:UNUSED_PAD src0_sel:DWORD src1_sel:WORD_0
	v_lshl_add_u32 v45, v45, 10, 0x2000
	v_lshlrev_b32_e32 v44, 23, v44
	v_and_or_b32 v1, 0x8000, v1, v45
	v_lshl_or_b32 v44, v1, 16, v44
.LBB242_598:                            ;   in Loop: Header=BB242_551 Depth=1
	s_or_b32 exec_lo, exec_lo, s22
.LBB242_599:                            ;   in Loop: Header=BB242_551 Depth=1
	s_or_b32 exec_lo, exec_lo, s21
.LBB242_600:                            ;   in Loop: Header=BB242_551 Depth=1
	s_or_b32 exec_lo, exec_lo, s0
	v_lshrrev_b32_e32 v1, 16, v10
	v_cmp_ne_u16_sdwa s21, v1, v2 src0_sel:BYTE_0 src1_sel:DWORD
	s_and_saveexec_b32 s0, s21
	s_cbranch_execz .LBB242_608
; %bb.601:                              ;   in Loop: Header=BB242_551 Depth=1
	v_cmp_ne_u16_sdwa s22, v1, v23 src0_sel:BYTE_0 src1_sel:DWORD
	v_mov_b32_e32 v34, 0x8000
	s_and_saveexec_b32 s21, s22
	s_cbranch_execz .LBB242_607
; %bb.602:                              ;   in Loop: Header=BB242_551 Depth=1
	v_bfe_u32 v46, v10, 16, 7
	v_mov_b32_e32 v34, 0x7c01
	s_mov_b32 s22, exec_lo
	v_cmpx_ne_u32_e32 0x7f, v46
	s_cbranch_execz .LBB242_606
; %bb.603:                              ;   in Loop: Header=BB242_551 Depth=1
	v_and_b32_e32 v34, 7, v1
	v_lshrrev_b32_e32 v45, 3, v46
	s_mov_b32 s26, exec_lo
	v_cmpx_gt_u32_e32 8, v46
; %bb.604:                              ;   in Loop: Header=BB242_551 Depth=1
	v_ffbh_u32_e32 v34, v34
	v_min_u32_e32 v34, 32, v34
	v_subrev_nc_u32_e32 v45, 28, v34
	v_lshlrev_b64 v[46:47], v45, v[1:2]
	v_sub_nc_u32_e32 v45, 29, v34
	v_and_b32_e32 v34, 7, v46
; %bb.605:                              ;   in Loop: Header=BB242_551 Depth=1
	s_or_b32 exec_lo, exec_lo, s26
	v_lshlrev_b32_e32 v1, 8, v1
	v_lshl_add_u32 v45, v45, 10, 0x2000
	v_lshlrev_b32_e32 v34, 7, v34
	v_and_b32_e32 v1, 0x8000, v1
	v_and_b32_e32 v45, 0xfc00, v45
	v_or3_b32 v34, v1, v45, v34
.LBB242_606:                            ;   in Loop: Header=BB242_551 Depth=1
	s_or_b32 exec_lo, exec_lo, s22
.LBB242_607:                            ;   in Loop: Header=BB242_551 Depth=1
	s_or_b32 exec_lo, exec_lo, s21
.LBB242_608:                            ;   in Loop: Header=BB242_551 Depth=1
	s_or_b32 exec_lo, exec_lo, s0
	v_cmp_lt_u64_e32 vcc_lo, s[2:3], v[9:10]
	v_mov_b32_e32 v9, 0
	s_and_saveexec_b32 s0, vcc_lo
	s_cbranch_execz .LBB242_616
; %bb.609:                              ;   in Loop: Header=BB242_551 Depth=1
	v_lshrrev_b32_e32 v1, 24, v10
	v_bfrev_b32_e32 v9, 1
	s_mov_b32 s21, exec_lo
	v_cmpx_ne_u32_e32 0x80, v1
	s_cbranch_execz .LBB242_615
; %bb.610:                              ;   in Loop: Header=BB242_551 Depth=1
	v_and_b32_e32 v45, 0x7f, v1
	v_mov_b32_e32 v9, 0x7c010000
	s_mov_b32 s22, exec_lo
	v_cmpx_ne_u32_e32 0x7f, v45
	s_cbranch_execz .LBB242_614
; %bb.611:                              ;   in Loop: Header=BB242_551 Depth=1
	v_and_b32_e32 v9, 7, v1
	v_lshrrev_b32_e32 v10, 3, v45
	s_mov_b32 s26, exec_lo
	v_cmpx_gt_u32_e32 8, v45
; %bb.612:                              ;   in Loop: Header=BB242_551 Depth=1
	v_ffbh_u32_e32 v9, v9
	v_min_u32_e32 v45, 32, v9
	v_subrev_nc_u32_e32 v9, 28, v45
	v_lshlrev_b64 v[9:10], v9, v[1:2]
	v_sub_nc_u32_e32 v10, 29, v45
	v_and_b32_e32 v9, 7, v9
; %bb.613:                              ;   in Loop: Header=BB242_551 Depth=1
	s_or_b32 exec_lo, exec_lo, s26
	v_lshlrev_b32_e32 v1, 8, v1
	v_lshl_add_u32 v10, v10, 10, 0x2000
	v_lshlrev_b32_e32 v9, 23, v9
	v_and_or_b32 v1, 0x8000, v1, v10
	v_lshl_or_b32 v9, v1, 16, v9
.LBB242_614:                            ;   in Loop: Header=BB242_551 Depth=1
	s_or_b32 exec_lo, exec_lo, s22
.LBB242_615:                            ;   in Loop: Header=BB242_551 Depth=1
	s_or_b32 exec_lo, exec_lo, s21
.LBB242_616:                            ;   in Loop: Header=BB242_551 Depth=1
	s_or_b32 exec_lo, exec_lo, s0
	v_or_b32_e32 v1, v32, v33
	v_fma_mixlo_f16 v10, v29, v32, 0 op_sel:[0,1,0] op_sel_hi:[0,1,0]
	v_or_b32_e32 v31, v30, v31
	v_fma_mixlo_f16 v30, v29, v30, 0 op_sel:[0,1,0] op_sel_hi:[0,1,0]
	v_or_b32_e32 v32, v44, v36
	v_fma_mixlo_f16 v1, v29, v1, 0 op_sel_hi:[0,1,0]
	v_or_b32_e32 v33, v9, v34
	v_fma_mixlo_f16 v9, v29, v9, 0 op_sel:[0,1,0] op_sel_hi:[0,1,0]
	v_lshlrev_b32_e32 v50, 16, v30
	v_fma_mixlo_f16 v30, v29, v31, 0 op_sel_hi:[0,1,0]
	v_and_b32_e32 v47, 0xffff, v1
	v_fma_mixlo_f16 v1, v29, v44, 0 op_sel:[0,1,0] op_sel_hi:[0,1,0]
	v_fma_mixlo_f16 v31, v29, v32, 0 op_sel_hi:[0,1,0]
	v_fma_mixlo_f16 v29, v29, v33, 0 op_sel_hi:[0,1,0]
	v_lshlrev_b32_e32 v10, 16, v10
	v_and_b32_e32 v52, 0xffff, v30
	v_lshlrev_b32_e32 v48, 16, v1
	v_and_b32_e32 v51, 0xffff, v31
	;; [unrolled: 2-line block ×3, first 2 shown]
	v_cmp_eq_u32_e32 vcc_lo, s13, v28
	v_or_b32_e32 v1, v10, v47
	v_or_b32_e32 v9, v50, v52
	v_or_b32_e32 v44, v48, v51
	v_or_b32_e32 v46, v45, v49
	v_add_nc_u32_e32 v36, 1, v12
	v_add_nc_u32_e32 v34, 2, v12
	;; [unrolled: 1-line block ×7, first 2 shown]
	s_and_saveexec_b32 s21, vcc_lo
	s_cbranch_execz .LBB242_618
; %bb.617:                              ;   in Loop: Header=BB242_551 Depth=1
	v_cmp_gt_i32_e64 s0, s33, v12
	v_cndmask_b32_e64 v1, 0, v52, s0
	v_cmp_gt_i32_e64 s0, s33, v36
	v_cndmask_b32_e64 v9, 0, v50, s0
	v_cmp_gt_i32_e64 s0, s33, v34
	v_or_b32_e32 v9, v9, v1
	v_cndmask_b32_e64 v44, 0, v47, s0
	v_cmp_gt_i32_e64 s0, s33, v33
	v_cndmask_b32_e64 v10, 0, v10, s0
	v_cmp_gt_i32_e64 s0, s33, v32
	v_or_b32_e32 v1, v10, v44
	v_cndmask_b32_e64 v46, 0, v51, s0
	v_cmp_gt_i32_e64 s0, s33, v31
	v_cndmask_b32_e64 v47, 0, v48, s0
	v_cmp_gt_i32_e64 s0, s33, v30
	v_or_b32_e32 v44, v47, v46
	v_cndmask_b32_e64 v48, 0, v49, s0
	v_cmp_gt_i32_e64 s0, s33, v29
	v_cndmask_b32_e64 v45, 0, v45, s0
	v_or_b32_e32 v46, v45, v48
.LBB242_618:                            ;   in Loop: Header=BB242_551 Depth=1
	s_or_b32 exec_lo, exec_lo, s21
	v_and_b32_e32 v10, 0xffff, v35
	v_and_b32_e32 v35, 0xffff, v40
	;; [unrolled: 1-line block ×4, first 2 shown]
	v_lshl_or_b32 v41, v37, 16, v10
	v_lshl_or_b32 v40, v38, 16, v35
	;;#ASMSTART
	v_pk_mul_f16 v9, v41, v9;

	;;#ASMEND
	;;#ASMSTART
	v_pk_mul_f16 v1, v40, v1;

	;;#ASMEND
	v_lshl_or_b32 v39, v39, 16, v45
	v_lshl_or_b32 v38, v42, 16, v43
	;;#ASMSTART
	v_pk_mul_f16 v10, v39, v44;

	;;#ASMEND
	;;#ASMSTART
	v_pk_mul_f16 v35, v38, v46;

	;;#ASMEND
	;;#ASMSTART
	v_pk_add_f16 v1, v9, v1;

	;;#ASMEND
	;;#ASMSTART
	v_pk_add_f16 v1, v1, v10;
	;; [unrolled: 4-line block ×3, first 2 shown]

	;;#ASMEND
	v_and_b32_e32 v9, 0xffff, v1
	v_lshrrev_b32_e32 v1, 16, v1
	;;#ASMSTART
	v_cvt_f32_f16 v35, v9;
	;;#ASMEND
	;;#ASMSTART
	v_cvt_f32_f16 v37, v1;
	;;#ASMEND
	global_load_dwordx2 v[9:10], v[7:8], off offset:256
	v_mov_b32_e32 v43, 0
	v_mov_b32_e32 v44, 0
	global_load_dword v42, v43, s[14:15]
	s_waitcnt vmcnt(1)
	v_cmp_ne_u16_sdwa s0, v9, v2 src0_sel:BYTE_0 src1_sel:DWORD
	s_and_saveexec_b32 s21, s0
	s_cbranch_execz .LBB242_626
; %bb.619:                              ;   in Loop: Header=BB242_551 Depth=1
	v_cmp_ne_u16_sdwa s0, v9, v23 src0_sel:BYTE_0 src1_sel:DWORD
	v_mov_b32_e32 v44, 0x8000
	s_and_saveexec_b32 s22, s0
	s_cbranch_execz .LBB242_625
; %bb.620:                              ;   in Loop: Header=BB242_551 Depth=1
	v_and_b32_e32 v45, 0x7f, v9
	v_mov_b32_e32 v44, 0x7c01
	s_mov_b32 s26, exec_lo
	v_cmpx_ne_u32_e32 0x7f, v45
	s_cbranch_execz .LBB242_624
; %bb.621:                              ;   in Loop: Header=BB242_551 Depth=1
	v_and_b32_e32 v1, 7, v9
	v_lshrrev_b32_e32 v44, 3, v45
	s_mov_b32 s27, exec_lo
	v_cmpx_gt_u32_e32 8, v45
; %bb.622:                              ;   in Loop: Header=BB242_551 Depth=1
	v_ffbh_u32_e32 v1, v1
	v_min_u32_e32 v1, 32, v1
	v_subrev_nc_u32_e32 v44, 28, v1
	v_lshlrev_b64 v[45:46], v44, v[9:10]
	v_sub_nc_u32_e32 v44, 29, v1
	v_and_b32_e32 v1, 7, v45
; %bb.623:                              ;   in Loop: Header=BB242_551 Depth=1
	s_or_b32 exec_lo, exec_lo, s27
	v_lshlrev_b32_e32 v45, 8, v9
	v_lshl_add_u32 v44, v44, 10, 0x2000
	v_lshlrev_b32_e32 v1, 7, v1
	v_and_b32_e32 v45, 0x8000, v45
	v_and_b32_e32 v44, 0xfc00, v44
	v_or3_b32 v44, v45, v44, v1
.LBB242_624:                            ;   in Loop: Header=BB242_551 Depth=1
	s_or_b32 exec_lo, exec_lo, s26
.LBB242_625:                            ;   in Loop: Header=BB242_551 Depth=1
	s_or_b32 exec_lo, exec_lo, s22
.LBB242_626:                            ;   in Loop: Header=BB242_551 Depth=1
	s_or_b32 exec_lo, exec_lo, s21
	v_lshrrev_b16 v1, 8, v9
	s_mov_b32 s21, exec_lo
	v_cmpx_ne_u16_e32 0, v1
	s_cbranch_execz .LBB242_634
; %bb.627:                              ;   in Loop: Header=BB242_551 Depth=1
	v_bfrev_b32_e32 v43, 1
	s_mov_b32 s22, exec_lo
	v_cmpx_ne_u16_e32 0x80, v1
	s_cbranch_execz .LBB242_633
; %bb.628:                              ;   in Loop: Header=BB242_551 Depth=1
	v_and_b32_sdwa v46, v1, v24 dst_sel:DWORD dst_unused:UNUSED_PAD src0_sel:WORD_0 src1_sel:DWORD
	v_mov_b32_e32 v43, 0x7c010000
	s_mov_b32 s26, exec_lo
	v_cmpx_ne_u32_e32 0x7f, v46
	s_cbranch_execz .LBB242_632
; %bb.629:                              ;   in Loop: Header=BB242_551 Depth=1
	v_and_b32_sdwa v43, v1, v25 dst_sel:DWORD dst_unused:UNUSED_PAD src0_sel:WORD_0 src1_sel:DWORD
	v_lshrrev_b32_e32 v45, 3, v46
	s_mov_b32 s27, exec_lo
	v_cmpx_gt_u32_e32 8, v46
; %bb.630:                              ;   in Loop: Header=BB242_551 Depth=1
	v_ffbh_u32_e32 v43, v43
	v_min_u32_e32 v43, 32, v43
	v_subrev_nc_u32_e32 v45, 28, v43
	v_lshlrev_b64 v[46:47], v45, v[1:2]
	v_sub_nc_u32_e32 v45, 29, v43
	v_and_b32_e32 v43, 7, v46
; %bb.631:                              ;   in Loop: Header=BB242_551 Depth=1
	s_or_b32 exec_lo, exec_lo, s27
	v_lshlrev_b32_sdwa v1, v26, v1 dst_sel:DWORD dst_unused:UNUSED_PAD src0_sel:DWORD src1_sel:WORD_0
	v_lshl_add_u32 v45, v45, 10, 0x2000
	v_lshlrev_b32_e32 v43, 23, v43
	v_and_or_b32 v1, 0x8000, v1, v45
	v_lshl_or_b32 v43, v1, 16, v43
.LBB242_632:                            ;   in Loop: Header=BB242_551 Depth=1
	s_or_b32 exec_lo, exec_lo, s26
.LBB242_633:                            ;   in Loop: Header=BB242_551 Depth=1
	s_or_b32 exec_lo, exec_lo, s22
.LBB242_634:                            ;   in Loop: Header=BB242_551 Depth=1
	s_or_b32 exec_lo, exec_lo, s21
	v_lshrrev_b32_e32 v1, 16, v9
	v_mov_b32_e32 v45, 0
	v_mov_b32_e32 v46, 0
	v_cmp_ne_u16_sdwa s0, v1, v2 src0_sel:BYTE_0 src1_sel:DWORD
	s_and_saveexec_b32 s21, s0
	s_cbranch_execz .LBB242_642
; %bb.635:                              ;   in Loop: Header=BB242_551 Depth=1
	v_cmp_ne_u16_sdwa s0, v1, v23 src0_sel:BYTE_0 src1_sel:DWORD
	v_mov_b32_e32 v46, 0x8000
	s_and_saveexec_b32 s22, s0
	s_cbranch_execz .LBB242_641
; %bb.636:                              ;   in Loop: Header=BB242_551 Depth=1
	v_bfe_u32 v48, v9, 16, 7
	v_mov_b32_e32 v46, 0x7c01
	s_mov_b32 s26, exec_lo
	v_cmpx_ne_u32_e32 0x7f, v48
	s_cbranch_execz .LBB242_640
; %bb.637:                              ;   in Loop: Header=BB242_551 Depth=1
	v_and_b32_e32 v46, 7, v1
	v_lshrrev_b32_e32 v47, 3, v48
	s_mov_b32 s27, exec_lo
	v_cmpx_gt_u32_e32 8, v48
; %bb.638:                              ;   in Loop: Header=BB242_551 Depth=1
	v_ffbh_u32_e32 v46, v46
	v_min_u32_e32 v48, 32, v46
	v_subrev_nc_u32_e32 v46, 28, v48
	v_lshlrev_b64 v[46:47], v46, v[1:2]
	v_sub_nc_u32_e32 v47, 29, v48
	v_and_b32_e32 v46, 7, v46
; %bb.639:                              ;   in Loop: Header=BB242_551 Depth=1
	s_or_b32 exec_lo, exec_lo, s27
	v_lshlrev_b32_e32 v1, 8, v1
	v_lshl_add_u32 v47, v47, 10, 0x2000
	v_lshlrev_b32_e32 v46, 7, v46
	v_and_b32_e32 v1, 0x8000, v1
	v_and_b32_e32 v47, 0xfc00, v47
	v_or3_b32 v46, v1, v47, v46
.LBB242_640:                            ;   in Loop: Header=BB242_551 Depth=1
	s_or_b32 exec_lo, exec_lo, s26
.LBB242_641:                            ;   in Loop: Header=BB242_551 Depth=1
	s_or_b32 exec_lo, exec_lo, s22
.LBB242_642:                            ;   in Loop: Header=BB242_551 Depth=1
	s_or_b32 exec_lo, exec_lo, s21
	s_mov_b32 s21, exec_lo
	v_cmpx_lt_u32_e32 0xffffff, v9
	s_cbranch_execz .LBB242_650
; %bb.643:                              ;   in Loop: Header=BB242_551 Depth=1
	v_lshrrev_b32_e32 v1, 24, v9
	v_bfrev_b32_e32 v45, 1
	s_mov_b32 s22, exec_lo
	v_cmpx_ne_u32_e32 0x80, v1
	s_cbranch_execz .LBB242_649
; %bb.644:                              ;   in Loop: Header=BB242_551 Depth=1
	v_and_b32_e32 v48, 0x7f, v1
	v_mov_b32_e32 v45, 0x7c010000
	s_mov_b32 s26, exec_lo
	v_cmpx_ne_u32_e32 0x7f, v48
	s_cbranch_execz .LBB242_648
; %bb.645:                              ;   in Loop: Header=BB242_551 Depth=1
	v_and_b32_e32 v45, 7, v1
	v_lshrrev_b32_e32 v47, 3, v48
	s_mov_b32 s27, exec_lo
	v_cmpx_gt_u32_e32 8, v48
; %bb.646:                              ;   in Loop: Header=BB242_551 Depth=1
	v_ffbh_u32_e32 v45, v45
	v_min_u32_e32 v45, 32, v45
	v_subrev_nc_u32_e32 v47, 28, v45
	v_lshlrev_b64 v[48:49], v47, v[1:2]
	v_sub_nc_u32_e32 v47, 29, v45
	v_and_b32_e32 v45, 7, v48
; %bb.647:                              ;   in Loop: Header=BB242_551 Depth=1
	s_or_b32 exec_lo, exec_lo, s27
	v_lshlrev_b32_e32 v1, 8, v1
	v_lshl_add_u32 v47, v47, 10, 0x2000
	v_lshlrev_b32_e32 v45, 23, v45
	v_and_or_b32 v1, 0x8000, v1, v47
	v_lshl_or_b32 v45, v1, 16, v45
.LBB242_648:                            ;   in Loop: Header=BB242_551 Depth=1
	s_or_b32 exec_lo, exec_lo, s26
.LBB242_649:                            ;   in Loop: Header=BB242_551 Depth=1
	s_or_b32 exec_lo, exec_lo, s22
.LBB242_650:                            ;   in Loop: Header=BB242_551 Depth=1
	s_or_b32 exec_lo, exec_lo, s21
	v_mov_b32_e32 v1, v10
	v_cmp_ne_u16_sdwa s0, v10, v2 src0_sel:BYTE_0 src1_sel:DWORD
	v_mov_b32_e32 v47, 0
	v_mov_b32_e32 v48, 0
	s_and_saveexec_b32 s21, s0
	s_cbranch_execz .LBB242_658
; %bb.651:                              ;   in Loop: Header=BB242_551 Depth=1
	v_cmp_ne_u16_sdwa s0, v10, v23 src0_sel:BYTE_0 src1_sel:DWORD
	v_mov_b32_e32 v48, 0x8000
	s_and_saveexec_b32 s22, s0
	s_cbranch_execz .LBB242_657
; %bb.652:                              ;   in Loop: Header=BB242_551 Depth=1
	v_and_b32_e32 v50, 0x7f, v10
	v_mov_b32_e32 v48, 0x7c01
	s_mov_b32 s26, exec_lo
	v_cmpx_ne_u32_e32 0x7f, v50
	s_cbranch_execz .LBB242_656
; %bb.653:                              ;   in Loop: Header=BB242_551 Depth=1
	v_and_b32_e32 v48, 7, v10
	v_lshrrev_b32_e32 v49, 3, v50
	s_mov_b32 s27, exec_lo
	v_cmpx_gt_u32_e32 8, v50
; %bb.654:                              ;   in Loop: Header=BB242_551 Depth=1
	v_ffbh_u32_e32 v48, v48
	v_min_u32_e32 v50, 32, v48
	v_subrev_nc_u32_e32 v48, 28, v50
	v_lshlrev_b64 v[48:49], v48, v[1:2]
	v_sub_nc_u32_e32 v49, 29, v50
	v_and_b32_e32 v48, 7, v48
; %bb.655:                              ;   in Loop: Header=BB242_551 Depth=1
	s_or_b32 exec_lo, exec_lo, s27
	v_lshlrev_b32_e32 v50, 8, v10
	v_lshl_add_u32 v49, v49, 10, 0x2000
	v_lshlrev_b32_e32 v48, 7, v48
	v_and_b32_e32 v50, 0x8000, v50
	v_and_b32_e32 v49, 0xfc00, v49
	v_or3_b32 v48, v50, v49, v48
.LBB242_656:                            ;   in Loop: Header=BB242_551 Depth=1
	s_or_b32 exec_lo, exec_lo, s26
.LBB242_657:                            ;   in Loop: Header=BB242_551 Depth=1
	s_or_b32 exec_lo, exec_lo, s22
.LBB242_658:                            ;   in Loop: Header=BB242_551 Depth=1
	s_or_b32 exec_lo, exec_lo, s21
	v_lshrrev_b16 v1, 8, v1
	v_mov_b32_e32 v49, 0
	s_mov_b32 s21, exec_lo
	v_cmpx_ne_u16_e32 0, v1
	s_cbranch_execz .LBB242_666
; %bb.659:                              ;   in Loop: Header=BB242_551 Depth=1
	v_bfrev_b32_e32 v49, 1
	s_mov_b32 s22, exec_lo
	v_cmpx_ne_u16_e32 0x80, v1
	s_cbranch_execz .LBB242_665
; %bb.660:                              ;   in Loop: Header=BB242_551 Depth=1
	v_and_b32_sdwa v51, v1, v24 dst_sel:DWORD dst_unused:UNUSED_PAD src0_sel:WORD_0 src1_sel:DWORD
	v_mov_b32_e32 v49, 0x7c010000
	s_mov_b32 s26, exec_lo
	v_cmpx_ne_u32_e32 0x7f, v51
	s_cbranch_execz .LBB242_664
; %bb.661:                              ;   in Loop: Header=BB242_551 Depth=1
	v_and_b32_sdwa v49, v1, v25 dst_sel:DWORD dst_unused:UNUSED_PAD src0_sel:WORD_0 src1_sel:DWORD
	v_lshrrev_b32_e32 v50, 3, v51
	s_mov_b32 s27, exec_lo
	v_cmpx_gt_u32_e32 8, v51
; %bb.662:                              ;   in Loop: Header=BB242_551 Depth=1
	v_ffbh_u32_e32 v49, v49
	v_min_u32_e32 v51, 32, v49
	v_subrev_nc_u32_e32 v49, 28, v51
	v_lshlrev_b64 v[49:50], v49, v[1:2]
	v_sub_nc_u32_e32 v50, 29, v51
	v_and_b32_e32 v49, 7, v49
; %bb.663:                              ;   in Loop: Header=BB242_551 Depth=1
	s_or_b32 exec_lo, exec_lo, s27
	v_lshlrev_b32_sdwa v1, v26, v1 dst_sel:DWORD dst_unused:UNUSED_PAD src0_sel:DWORD src1_sel:WORD_0
	v_lshl_add_u32 v50, v50, 10, 0x2000
	v_lshlrev_b32_e32 v49, 23, v49
	v_and_or_b32 v1, 0x8000, v1, v50
	v_lshl_or_b32 v49, v1, 16, v49
.LBB242_664:                            ;   in Loop: Header=BB242_551 Depth=1
	s_or_b32 exec_lo, exec_lo, s26
.LBB242_665:                            ;   in Loop: Header=BB242_551 Depth=1
	s_or_b32 exec_lo, exec_lo, s22
.LBB242_666:                            ;   in Loop: Header=BB242_551 Depth=1
	s_or_b32 exec_lo, exec_lo, s21
	v_lshrrev_b32_e32 v1, 16, v10
	v_cmp_ne_u16_sdwa s0, v1, v2 src0_sel:BYTE_0 src1_sel:DWORD
	s_and_saveexec_b32 s21, s0
	s_cbranch_execz .LBB242_674
; %bb.667:                              ;   in Loop: Header=BB242_551 Depth=1
	v_cmp_ne_u16_sdwa s0, v1, v23 src0_sel:BYTE_0 src1_sel:DWORD
	v_mov_b32_e32 v47, 0x8000
	s_and_saveexec_b32 s22, s0
	s_cbranch_execz .LBB242_673
; %bb.668:                              ;   in Loop: Header=BB242_551 Depth=1
	v_bfe_u32 v51, v10, 16, 7
	v_mov_b32_e32 v47, 0x7c01
	s_mov_b32 s26, exec_lo
	v_cmpx_ne_u32_e32 0x7f, v51
	s_cbranch_execz .LBB242_672
; %bb.669:                              ;   in Loop: Header=BB242_551 Depth=1
	v_and_b32_e32 v47, 7, v1
	v_lshrrev_b32_e32 v50, 3, v51
	s_mov_b32 s27, exec_lo
	v_cmpx_gt_u32_e32 8, v51
; %bb.670:                              ;   in Loop: Header=BB242_551 Depth=1
	v_ffbh_u32_e32 v47, v47
	v_min_u32_e32 v47, 32, v47
	v_subrev_nc_u32_e32 v50, 28, v47
	v_lshlrev_b64 v[51:52], v50, v[1:2]
	v_sub_nc_u32_e32 v50, 29, v47
	v_and_b32_e32 v47, 7, v51
; %bb.671:                              ;   in Loop: Header=BB242_551 Depth=1
	s_or_b32 exec_lo, exec_lo, s27
	v_lshlrev_b32_e32 v1, 8, v1
	v_lshl_add_u32 v50, v50, 10, 0x2000
	v_lshlrev_b32_e32 v47, 7, v47
	v_and_b32_e32 v1, 0x8000, v1
	v_and_b32_e32 v50, 0xfc00, v50
	v_or3_b32 v47, v1, v50, v47
.LBB242_672:                            ;   in Loop: Header=BB242_551 Depth=1
	s_or_b32 exec_lo, exec_lo, s26
.LBB242_673:                            ;   in Loop: Header=BB242_551 Depth=1
	s_or_b32 exec_lo, exec_lo, s22
.LBB242_674:                            ;   in Loop: Header=BB242_551 Depth=1
	s_or_b32 exec_lo, exec_lo, s21
	v_cmp_lt_u64_e64 s0, s[2:3], v[9:10]
	v_mov_b32_e32 v9, 0
	s_and_saveexec_b32 s21, s0
	s_cbranch_execz .LBB242_682
; %bb.675:                              ;   in Loop: Header=BB242_551 Depth=1
	v_lshrrev_b32_e32 v1, 24, v10
	v_bfrev_b32_e32 v9, 1
	s_mov_b32 s22, exec_lo
	v_cmpx_ne_u32_e32 0x80, v1
	s_cbranch_execz .LBB242_681
; %bb.676:                              ;   in Loop: Header=BB242_551 Depth=1
	v_and_b32_e32 v50, 0x7f, v1
	v_mov_b32_e32 v9, 0x7c010000
	s_mov_b32 s26, exec_lo
	v_cmpx_ne_u32_e32 0x7f, v50
	s_cbranch_execz .LBB242_680
; %bb.677:                              ;   in Loop: Header=BB242_551 Depth=1
	v_and_b32_e32 v9, 7, v1
	v_lshrrev_b32_e32 v10, 3, v50
	s_mov_b32 s27, exec_lo
	v_cmpx_gt_u32_e32 8, v50
; %bb.678:                              ;   in Loop: Header=BB242_551 Depth=1
	v_ffbh_u32_e32 v9, v9
	v_min_u32_e32 v50, 32, v9
	v_subrev_nc_u32_e32 v9, 28, v50
	v_lshlrev_b64 v[9:10], v9, v[1:2]
	v_sub_nc_u32_e32 v10, 29, v50
	v_and_b32_e32 v9, 7, v9
; %bb.679:                              ;   in Loop: Header=BB242_551 Depth=1
	s_or_b32 exec_lo, exec_lo, s27
	v_lshlrev_b32_e32 v1, 8, v1
	v_lshl_add_u32 v10, v10, 10, 0x2000
	v_lshlrev_b32_e32 v9, 23, v9
	v_and_or_b32 v1, 0x8000, v1, v10
	v_lshl_or_b32 v9, v1, 16, v9
.LBB242_680:                            ;   in Loop: Header=BB242_551 Depth=1
	s_or_b32 exec_lo, exec_lo, s26
.LBB242_681:                            ;   in Loop: Header=BB242_551 Depth=1
	s_or_b32 exec_lo, exec_lo, s22
.LBB242_682:                            ;   in Loop: Header=BB242_551 Depth=1
	s_or_b32 exec_lo, exec_lo, s21
	v_or_b32_e32 v1, v45, v46
	s_waitcnt vmcnt(0)
	v_fma_mixlo_f16 v10, v42, v45, 0 op_sel:[0,1,0] op_sel_hi:[0,1,0]
	v_or_b32_e32 v45, v43, v44
	v_fma_mixlo_f16 v43, v42, v43, 0 op_sel:[0,1,0] op_sel_hi:[0,1,0]
	v_or_b32_e32 v46, v49, v48
	v_or_b32_e32 v47, v9, v47
	v_fma_mixlo_f16 v48, v42, v1, 0 op_sel_hi:[0,1,0]
	v_fma_mixlo_f16 v9, v42, v9, 0 op_sel:[0,1,0] op_sel_hi:[0,1,0]
	v_lshlrev_b32_e32 v44, 16, v43
	v_fma_mixlo_f16 v43, v42, v45, 0 op_sel_hi:[0,1,0]
	v_fma_mixlo_f16 v45, v42, v49, 0 op_sel:[0,1,0] op_sel_hi:[0,1,0]
	v_fma_mixlo_f16 v46, v42, v46, 0 op_sel_hi:[0,1,0]
	v_fma_mixlo_f16 v47, v42, v47, 0 op_sel_hi:[0,1,0]
	v_lshlrev_b32_e32 v1, 16, v10
	v_and_b32_e32 v10, 0xffff, v48
	v_and_b32_e32 v50, 0xffff, v43
	v_lshlrev_b32_e32 v42, 16, v45
	v_and_b32_e32 v46, 0xffff, v46
	v_lshlrev_b32_e32 v9, 16, v9
	v_and_b32_e32 v43, 0xffff, v47
	v_or_b32_e32 v45, v1, v10
	v_or_b32_e32 v49, v44, v50
	;; [unrolled: 1-line block ×4, first 2 shown]
	s_and_saveexec_b32 s21, vcc_lo
	s_cbranch_execz .LBB242_684
; %bb.683:                              ;   in Loop: Header=BB242_551 Depth=1
	v_cmp_gt_i32_e64 s0, s33, v12
	v_cndmask_b32_e64 v45, 0, v50, s0
	v_cmp_gt_i32_e64 s0, s33, v36
	v_cndmask_b32_e64 v44, 0, v44, s0
	v_cmp_gt_i32_e64 s0, s33, v34
	v_or_b32_e32 v49, v44, v45
	v_cndmask_b32_e64 v10, 0, v10, s0
	v_cmp_gt_i32_e64 s0, s33, v33
	v_cndmask_b32_e64 v1, 0, v1, s0
	v_cmp_gt_i32_e64 s0, s33, v32
	v_or_b32_e32 v45, v1, v10
	;; [unrolled: 5-line block ×3, first 2 shown]
	v_cndmask_b32_e64 v43, 0, v43, s0
	v_cmp_gt_i32_e64 s0, s33, v29
	v_cndmask_b32_e64 v9, 0, v9, s0
	v_or_b32_e32 v47, v9, v43
.LBB242_684:                            ;   in Loop: Header=BB242_551 Depth=1
	s_or_b32 exec_lo, exec_lo, s21
	;;#ASMSTART
	v_pk_mul_f16 v1, v41, v49;

	;;#ASMEND
	;;#ASMSTART
	v_pk_mul_f16 v9, v40, v45;

	;;#ASMEND
	;; [unrolled: 4-line block ×4, first 2 shown]
	;;#ASMSTART
	v_pk_add_f16 v1, v1, v9;

	;;#ASMEND
	;;#ASMSTART
	v_pk_add_f16 v1, v1, v10;

	;;#ASMEND
	;; [unrolled: 4-line block ×3, first 2 shown]
	v_and_b32_e32 v9, 0xffff, v1
	v_lshrrev_b32_e32 v1, 16, v1
	;;#ASMSTART
	v_cvt_f32_f16 v42, v9;
	;;#ASMEND
	;;#ASMSTART
	v_cvt_f32_f16 v43, v1;
	;;#ASMEND
	global_load_dwordx2 v[9:10], v[7:8], off offset:512
	v_mov_b32_e32 v45, 0
	v_mov_b32_e32 v46, 0
	global_load_dword v44, v45, s[14:15]
	s_waitcnt vmcnt(1)
	v_cmp_ne_u16_sdwa s0, v9, v2 src0_sel:BYTE_0 src1_sel:DWORD
	s_and_saveexec_b32 s21, s0
	s_cbranch_execz .LBB242_692
; %bb.685:                              ;   in Loop: Header=BB242_551 Depth=1
	v_cmp_ne_u16_sdwa s0, v9, v23 src0_sel:BYTE_0 src1_sel:DWORD
	v_mov_b32_e32 v46, 0x8000
	s_and_saveexec_b32 s22, s0
	s_cbranch_execz .LBB242_691
; %bb.686:                              ;   in Loop: Header=BB242_551 Depth=1
	v_and_b32_e32 v47, 0x7f, v9
	v_mov_b32_e32 v46, 0x7c01
	s_mov_b32 s26, exec_lo
	v_cmpx_ne_u32_e32 0x7f, v47
	s_cbranch_execz .LBB242_690
; %bb.687:                              ;   in Loop: Header=BB242_551 Depth=1
	v_and_b32_e32 v1, 7, v9
	v_lshrrev_b32_e32 v46, 3, v47
	s_mov_b32 s27, exec_lo
	v_cmpx_gt_u32_e32 8, v47
; %bb.688:                              ;   in Loop: Header=BB242_551 Depth=1
	v_ffbh_u32_e32 v1, v1
	v_min_u32_e32 v1, 32, v1
	v_subrev_nc_u32_e32 v46, 28, v1
	v_lshlrev_b64 v[47:48], v46, v[9:10]
	v_sub_nc_u32_e32 v46, 29, v1
	v_and_b32_e32 v1, 7, v47
; %bb.689:                              ;   in Loop: Header=BB242_551 Depth=1
	s_or_b32 exec_lo, exec_lo, s27
	v_lshlrev_b32_e32 v47, 8, v9
	v_lshl_add_u32 v46, v46, 10, 0x2000
	v_lshlrev_b32_e32 v1, 7, v1
	v_and_b32_e32 v47, 0x8000, v47
	v_and_b32_e32 v46, 0xfc00, v46
	v_or3_b32 v46, v47, v46, v1
.LBB242_690:                            ;   in Loop: Header=BB242_551 Depth=1
	s_or_b32 exec_lo, exec_lo, s26
.LBB242_691:                            ;   in Loop: Header=BB242_551 Depth=1
	s_or_b32 exec_lo, exec_lo, s22
.LBB242_692:                            ;   in Loop: Header=BB242_551 Depth=1
	s_or_b32 exec_lo, exec_lo, s21
	v_lshrrev_b16 v1, 8, v9
	s_mov_b32 s21, exec_lo
	v_cmpx_ne_u16_e32 0, v1
	s_cbranch_execz .LBB242_700
; %bb.693:                              ;   in Loop: Header=BB242_551 Depth=1
	v_bfrev_b32_e32 v45, 1
	s_mov_b32 s22, exec_lo
	v_cmpx_ne_u16_e32 0x80, v1
	s_cbranch_execz .LBB242_699
; %bb.694:                              ;   in Loop: Header=BB242_551 Depth=1
	v_and_b32_sdwa v48, v1, v24 dst_sel:DWORD dst_unused:UNUSED_PAD src0_sel:WORD_0 src1_sel:DWORD
	v_mov_b32_e32 v45, 0x7c010000
	s_mov_b32 s26, exec_lo
	v_cmpx_ne_u32_e32 0x7f, v48
	s_cbranch_execz .LBB242_698
; %bb.695:                              ;   in Loop: Header=BB242_551 Depth=1
	v_and_b32_sdwa v45, v1, v25 dst_sel:DWORD dst_unused:UNUSED_PAD src0_sel:WORD_0 src1_sel:DWORD
	v_lshrrev_b32_e32 v47, 3, v48
	s_mov_b32 s27, exec_lo
	v_cmpx_gt_u32_e32 8, v48
; %bb.696:                              ;   in Loop: Header=BB242_551 Depth=1
	v_ffbh_u32_e32 v45, v45
	v_min_u32_e32 v45, 32, v45
	v_subrev_nc_u32_e32 v47, 28, v45
	v_lshlrev_b64 v[48:49], v47, v[1:2]
	v_sub_nc_u32_e32 v47, 29, v45
	v_and_b32_e32 v45, 7, v48
; %bb.697:                              ;   in Loop: Header=BB242_551 Depth=1
	s_or_b32 exec_lo, exec_lo, s27
	v_lshlrev_b32_sdwa v1, v26, v1 dst_sel:DWORD dst_unused:UNUSED_PAD src0_sel:DWORD src1_sel:WORD_0
	v_lshl_add_u32 v47, v47, 10, 0x2000
	v_lshlrev_b32_e32 v45, 23, v45
	v_and_or_b32 v1, 0x8000, v1, v47
	v_lshl_or_b32 v45, v1, 16, v45
.LBB242_698:                            ;   in Loop: Header=BB242_551 Depth=1
	s_or_b32 exec_lo, exec_lo, s26
.LBB242_699:                            ;   in Loop: Header=BB242_551 Depth=1
	s_or_b32 exec_lo, exec_lo, s22
.LBB242_700:                            ;   in Loop: Header=BB242_551 Depth=1
	s_or_b32 exec_lo, exec_lo, s21
	v_lshrrev_b32_e32 v1, 16, v9
	v_mov_b32_e32 v47, 0
	v_mov_b32_e32 v48, 0
	v_cmp_ne_u16_sdwa s0, v1, v2 src0_sel:BYTE_0 src1_sel:DWORD
	s_and_saveexec_b32 s21, s0
	s_cbranch_execz .LBB242_708
; %bb.701:                              ;   in Loop: Header=BB242_551 Depth=1
	v_cmp_ne_u16_sdwa s0, v1, v23 src0_sel:BYTE_0 src1_sel:DWORD
	v_mov_b32_e32 v48, 0x8000
	s_and_saveexec_b32 s22, s0
	s_cbranch_execz .LBB242_707
; %bb.702:                              ;   in Loop: Header=BB242_551 Depth=1
	v_bfe_u32 v50, v9, 16, 7
	v_mov_b32_e32 v48, 0x7c01
	s_mov_b32 s26, exec_lo
	v_cmpx_ne_u32_e32 0x7f, v50
	s_cbranch_execz .LBB242_706
; %bb.703:                              ;   in Loop: Header=BB242_551 Depth=1
	v_and_b32_e32 v48, 7, v1
	v_lshrrev_b32_e32 v49, 3, v50
	s_mov_b32 s27, exec_lo
	v_cmpx_gt_u32_e32 8, v50
; %bb.704:                              ;   in Loop: Header=BB242_551 Depth=1
	v_ffbh_u32_e32 v48, v48
	v_min_u32_e32 v50, 32, v48
	v_subrev_nc_u32_e32 v48, 28, v50
	v_lshlrev_b64 v[48:49], v48, v[1:2]
	v_sub_nc_u32_e32 v49, 29, v50
	v_and_b32_e32 v48, 7, v48
; %bb.705:                              ;   in Loop: Header=BB242_551 Depth=1
	s_or_b32 exec_lo, exec_lo, s27
	v_lshlrev_b32_e32 v1, 8, v1
	v_lshl_add_u32 v49, v49, 10, 0x2000
	v_lshlrev_b32_e32 v48, 7, v48
	v_and_b32_e32 v1, 0x8000, v1
	v_and_b32_e32 v49, 0xfc00, v49
	v_or3_b32 v48, v1, v49, v48
.LBB242_706:                            ;   in Loop: Header=BB242_551 Depth=1
	s_or_b32 exec_lo, exec_lo, s26
.LBB242_707:                            ;   in Loop: Header=BB242_551 Depth=1
	s_or_b32 exec_lo, exec_lo, s22
.LBB242_708:                            ;   in Loop: Header=BB242_551 Depth=1
	s_or_b32 exec_lo, exec_lo, s21
	s_mov_b32 s21, exec_lo
	v_cmpx_lt_u32_e32 0xffffff, v9
	s_cbranch_execz .LBB242_716
; %bb.709:                              ;   in Loop: Header=BB242_551 Depth=1
	v_lshrrev_b32_e32 v1, 24, v9
	v_bfrev_b32_e32 v47, 1
	s_mov_b32 s22, exec_lo
	v_cmpx_ne_u32_e32 0x80, v1
	s_cbranch_execz .LBB242_715
; %bb.710:                              ;   in Loop: Header=BB242_551 Depth=1
	v_and_b32_e32 v50, 0x7f, v1
	v_mov_b32_e32 v47, 0x7c010000
	s_mov_b32 s26, exec_lo
	v_cmpx_ne_u32_e32 0x7f, v50
	s_cbranch_execz .LBB242_714
; %bb.711:                              ;   in Loop: Header=BB242_551 Depth=1
	v_and_b32_e32 v47, 7, v1
	v_lshrrev_b32_e32 v49, 3, v50
	s_mov_b32 s27, exec_lo
	v_cmpx_gt_u32_e32 8, v50
; %bb.712:                              ;   in Loop: Header=BB242_551 Depth=1
	v_ffbh_u32_e32 v47, v47
	v_min_u32_e32 v47, 32, v47
	v_subrev_nc_u32_e32 v49, 28, v47
	v_lshlrev_b64 v[50:51], v49, v[1:2]
	v_sub_nc_u32_e32 v49, 29, v47
	v_and_b32_e32 v47, 7, v50
; %bb.713:                              ;   in Loop: Header=BB242_551 Depth=1
	s_or_b32 exec_lo, exec_lo, s27
	v_lshlrev_b32_e32 v1, 8, v1
	v_lshl_add_u32 v49, v49, 10, 0x2000
	v_lshlrev_b32_e32 v47, 23, v47
	v_and_or_b32 v1, 0x8000, v1, v49
	v_lshl_or_b32 v47, v1, 16, v47
.LBB242_714:                            ;   in Loop: Header=BB242_551 Depth=1
	s_or_b32 exec_lo, exec_lo, s26
.LBB242_715:                            ;   in Loop: Header=BB242_551 Depth=1
	s_or_b32 exec_lo, exec_lo, s22
.LBB242_716:                            ;   in Loop: Header=BB242_551 Depth=1
	s_or_b32 exec_lo, exec_lo, s21
	v_mov_b32_e32 v1, v10
	v_cmp_ne_u16_sdwa s0, v10, v2 src0_sel:BYTE_0 src1_sel:DWORD
	v_mov_b32_e32 v49, 0
	v_mov_b32_e32 v50, 0
	s_and_saveexec_b32 s21, s0
	s_cbranch_execz .LBB242_724
; %bb.717:                              ;   in Loop: Header=BB242_551 Depth=1
	v_cmp_ne_u16_sdwa s0, v10, v23 src0_sel:BYTE_0 src1_sel:DWORD
	v_mov_b32_e32 v50, 0x8000
	s_and_saveexec_b32 s22, s0
	s_cbranch_execz .LBB242_723
; %bb.718:                              ;   in Loop: Header=BB242_551 Depth=1
	v_and_b32_e32 v52, 0x7f, v10
	v_mov_b32_e32 v50, 0x7c01
	s_mov_b32 s26, exec_lo
	v_cmpx_ne_u32_e32 0x7f, v52
	s_cbranch_execz .LBB242_722
; %bb.719:                              ;   in Loop: Header=BB242_551 Depth=1
	v_and_b32_e32 v50, 7, v10
	v_lshrrev_b32_e32 v51, 3, v52
	s_mov_b32 s27, exec_lo
	v_cmpx_gt_u32_e32 8, v52
; %bb.720:                              ;   in Loop: Header=BB242_551 Depth=1
	v_ffbh_u32_e32 v50, v50
	v_min_u32_e32 v52, 32, v50
	v_subrev_nc_u32_e32 v50, 28, v52
	v_lshlrev_b64 v[50:51], v50, v[1:2]
	v_sub_nc_u32_e32 v51, 29, v52
	v_and_b32_e32 v50, 7, v50
; %bb.721:                              ;   in Loop: Header=BB242_551 Depth=1
	s_or_b32 exec_lo, exec_lo, s27
	v_lshlrev_b32_e32 v52, 8, v10
	v_lshl_add_u32 v51, v51, 10, 0x2000
	v_lshlrev_b32_e32 v50, 7, v50
	v_and_b32_e32 v52, 0x8000, v52
	v_and_b32_e32 v51, 0xfc00, v51
	v_or3_b32 v50, v52, v51, v50
.LBB242_722:                            ;   in Loop: Header=BB242_551 Depth=1
	s_or_b32 exec_lo, exec_lo, s26
.LBB242_723:                            ;   in Loop: Header=BB242_551 Depth=1
	s_or_b32 exec_lo, exec_lo, s22
.LBB242_724:                            ;   in Loop: Header=BB242_551 Depth=1
	s_or_b32 exec_lo, exec_lo, s21
	v_lshrrev_b16 v1, 8, v1
	v_mov_b32_e32 v51, 0
	s_mov_b32 s21, exec_lo
	v_cmpx_ne_u16_e32 0, v1
	s_cbranch_execz .LBB242_732
; %bb.725:                              ;   in Loop: Header=BB242_551 Depth=1
	v_bfrev_b32_e32 v51, 1
	s_mov_b32 s22, exec_lo
	v_cmpx_ne_u16_e32 0x80, v1
	s_cbranch_execz .LBB242_731
; %bb.726:                              ;   in Loop: Header=BB242_551 Depth=1
	v_and_b32_sdwa v53, v1, v24 dst_sel:DWORD dst_unused:UNUSED_PAD src0_sel:WORD_0 src1_sel:DWORD
	v_mov_b32_e32 v51, 0x7c010000
	s_mov_b32 s26, exec_lo
	v_cmpx_ne_u32_e32 0x7f, v53
	s_cbranch_execz .LBB242_730
; %bb.727:                              ;   in Loop: Header=BB242_551 Depth=1
	v_and_b32_sdwa v51, v1, v25 dst_sel:DWORD dst_unused:UNUSED_PAD src0_sel:WORD_0 src1_sel:DWORD
	v_lshrrev_b32_e32 v52, 3, v53
	s_mov_b32 s27, exec_lo
	v_cmpx_gt_u32_e32 8, v53
; %bb.728:                              ;   in Loop: Header=BB242_551 Depth=1
	v_ffbh_u32_e32 v51, v51
	v_min_u32_e32 v53, 32, v51
	v_subrev_nc_u32_e32 v51, 28, v53
	v_lshlrev_b64 v[51:52], v51, v[1:2]
	v_sub_nc_u32_e32 v52, 29, v53
	v_and_b32_e32 v51, 7, v51
; %bb.729:                              ;   in Loop: Header=BB242_551 Depth=1
	s_or_b32 exec_lo, exec_lo, s27
	v_lshlrev_b32_sdwa v1, v26, v1 dst_sel:DWORD dst_unused:UNUSED_PAD src0_sel:DWORD src1_sel:WORD_0
	v_lshl_add_u32 v52, v52, 10, 0x2000
	v_lshlrev_b32_e32 v51, 23, v51
	v_and_or_b32 v1, 0x8000, v1, v52
	v_lshl_or_b32 v51, v1, 16, v51
.LBB242_730:                            ;   in Loop: Header=BB242_551 Depth=1
	s_or_b32 exec_lo, exec_lo, s26
.LBB242_731:                            ;   in Loop: Header=BB242_551 Depth=1
	s_or_b32 exec_lo, exec_lo, s22
.LBB242_732:                            ;   in Loop: Header=BB242_551 Depth=1
	s_or_b32 exec_lo, exec_lo, s21
	v_lshrrev_b32_e32 v1, 16, v10
	v_cmp_ne_u16_sdwa s0, v1, v2 src0_sel:BYTE_0 src1_sel:DWORD
	s_and_saveexec_b32 s21, s0
	s_cbranch_execz .LBB242_740
; %bb.733:                              ;   in Loop: Header=BB242_551 Depth=1
	v_cmp_ne_u16_sdwa s0, v1, v23 src0_sel:BYTE_0 src1_sel:DWORD
	v_mov_b32_e32 v49, 0x8000
	s_and_saveexec_b32 s22, s0
	s_cbranch_execz .LBB242_739
; %bb.734:                              ;   in Loop: Header=BB242_551 Depth=1
	v_bfe_u32 v53, v10, 16, 7
	v_mov_b32_e32 v49, 0x7c01
	s_mov_b32 s26, exec_lo
	v_cmpx_ne_u32_e32 0x7f, v53
	s_cbranch_execz .LBB242_738
; %bb.735:                              ;   in Loop: Header=BB242_551 Depth=1
	v_and_b32_e32 v49, 7, v1
	v_lshrrev_b32_e32 v52, 3, v53
	s_mov_b32 s27, exec_lo
	v_cmpx_gt_u32_e32 8, v53
; %bb.736:                              ;   in Loop: Header=BB242_551 Depth=1
	v_ffbh_u32_e32 v49, v49
	v_min_u32_e32 v49, 32, v49
	v_subrev_nc_u32_e32 v52, 28, v49
	v_lshlrev_b64 v[53:54], v52, v[1:2]
	v_sub_nc_u32_e32 v52, 29, v49
	v_and_b32_e32 v49, 7, v53
; %bb.737:                              ;   in Loop: Header=BB242_551 Depth=1
	s_or_b32 exec_lo, exec_lo, s27
	v_lshlrev_b32_e32 v1, 8, v1
	v_lshl_add_u32 v52, v52, 10, 0x2000
	v_lshlrev_b32_e32 v49, 7, v49
	v_and_b32_e32 v1, 0x8000, v1
	v_and_b32_e32 v52, 0xfc00, v52
	v_or3_b32 v49, v1, v52, v49
.LBB242_738:                            ;   in Loop: Header=BB242_551 Depth=1
	s_or_b32 exec_lo, exec_lo, s26
.LBB242_739:                            ;   in Loop: Header=BB242_551 Depth=1
	s_or_b32 exec_lo, exec_lo, s22
.LBB242_740:                            ;   in Loop: Header=BB242_551 Depth=1
	s_or_b32 exec_lo, exec_lo, s21
	v_cmp_lt_u64_e64 s0, s[2:3], v[9:10]
	v_mov_b32_e32 v9, 0
	s_and_saveexec_b32 s21, s0
	s_cbranch_execz .LBB242_748
; %bb.741:                              ;   in Loop: Header=BB242_551 Depth=1
	v_lshrrev_b32_e32 v1, 24, v10
	v_bfrev_b32_e32 v9, 1
	s_mov_b32 s22, exec_lo
	v_cmpx_ne_u32_e32 0x80, v1
	s_cbranch_execz .LBB242_747
; %bb.742:                              ;   in Loop: Header=BB242_551 Depth=1
	v_and_b32_e32 v52, 0x7f, v1
	v_mov_b32_e32 v9, 0x7c010000
	s_mov_b32 s26, exec_lo
	v_cmpx_ne_u32_e32 0x7f, v52
	s_cbranch_execz .LBB242_746
; %bb.743:                              ;   in Loop: Header=BB242_551 Depth=1
	v_and_b32_e32 v9, 7, v1
	v_lshrrev_b32_e32 v10, 3, v52
	s_mov_b32 s27, exec_lo
	v_cmpx_gt_u32_e32 8, v52
; %bb.744:                              ;   in Loop: Header=BB242_551 Depth=1
	v_ffbh_u32_e32 v9, v9
	v_min_u32_e32 v52, 32, v9
	v_subrev_nc_u32_e32 v9, 28, v52
	v_lshlrev_b64 v[9:10], v9, v[1:2]
	v_sub_nc_u32_e32 v10, 29, v52
	v_and_b32_e32 v9, 7, v9
; %bb.745:                              ;   in Loop: Header=BB242_551 Depth=1
	s_or_b32 exec_lo, exec_lo, s27
	v_lshlrev_b32_e32 v1, 8, v1
	v_lshl_add_u32 v10, v10, 10, 0x2000
	v_lshlrev_b32_e32 v9, 23, v9
	v_and_or_b32 v1, 0x8000, v1, v10
	v_lshl_or_b32 v9, v1, 16, v9
.LBB242_746:                            ;   in Loop: Header=BB242_551 Depth=1
	s_or_b32 exec_lo, exec_lo, s26
.LBB242_747:                            ;   in Loop: Header=BB242_551 Depth=1
	s_or_b32 exec_lo, exec_lo, s22
.LBB242_748:                            ;   in Loop: Header=BB242_551 Depth=1
	s_or_b32 exec_lo, exec_lo, s21
	v_or_b32_e32 v1, v47, v48
	s_waitcnt vmcnt(0)
	v_fma_mixlo_f16 v10, v44, v47, 0 op_sel:[0,1,0] op_sel_hi:[0,1,0]
	v_or_b32_e32 v47, v45, v46
	v_fma_mixlo_f16 v45, v44, v45, 0 op_sel:[0,1,0] op_sel_hi:[0,1,0]
	v_or_b32_e32 v48, v51, v50
	v_or_b32_e32 v49, v9, v49
	v_fma_mixlo_f16 v50, v44, v1, 0 op_sel_hi:[0,1,0]
	v_fma_mixlo_f16 v9, v44, v9, 0 op_sel:[0,1,0] op_sel_hi:[0,1,0]
	v_lshlrev_b32_e32 v46, 16, v45
	v_fma_mixlo_f16 v45, v44, v47, 0 op_sel_hi:[0,1,0]
	v_fma_mixlo_f16 v47, v44, v51, 0 op_sel:[0,1,0] op_sel_hi:[0,1,0]
	v_fma_mixlo_f16 v48, v44, v48, 0 op_sel_hi:[0,1,0]
	v_fma_mixlo_f16 v49, v44, v49, 0 op_sel_hi:[0,1,0]
	v_lshlrev_b32_e32 v1, 16, v10
	v_and_b32_e32 v10, 0xffff, v50
	v_and_b32_e32 v52, 0xffff, v45
	v_lshlrev_b32_e32 v44, 16, v47
	v_and_b32_e32 v48, 0xffff, v48
	v_lshlrev_b32_e32 v9, 16, v9
	v_and_b32_e32 v45, 0xffff, v49
	v_or_b32_e32 v47, v1, v10
	v_or_b32_e32 v51, v46, v52
	;; [unrolled: 1-line block ×4, first 2 shown]
	s_and_saveexec_b32 s21, vcc_lo
	s_cbranch_execz .LBB242_750
; %bb.749:                              ;   in Loop: Header=BB242_551 Depth=1
	v_cmp_gt_i32_e64 s0, s33, v12
	v_cndmask_b32_e64 v47, 0, v52, s0
	v_cmp_gt_i32_e64 s0, s33, v36
	v_cndmask_b32_e64 v46, 0, v46, s0
	v_cmp_gt_i32_e64 s0, s33, v34
	v_or_b32_e32 v51, v46, v47
	v_cndmask_b32_e64 v10, 0, v10, s0
	v_cmp_gt_i32_e64 s0, s33, v33
	v_cndmask_b32_e64 v1, 0, v1, s0
	v_cmp_gt_i32_e64 s0, s33, v32
	v_or_b32_e32 v47, v1, v10
	;; [unrolled: 5-line block ×3, first 2 shown]
	v_cndmask_b32_e64 v45, 0, v45, s0
	v_cmp_gt_i32_e64 s0, s33, v29
	v_cndmask_b32_e64 v9, 0, v9, s0
	v_or_b32_e32 v49, v9, v45
.LBB242_750:                            ;   in Loop: Header=BB242_551 Depth=1
	s_or_b32 exec_lo, exec_lo, s21
	;;#ASMSTART
	v_pk_mul_f16 v1, v41, v51;

	;;#ASMEND
	;;#ASMSTART
	v_pk_mul_f16 v9, v40, v47;

	;;#ASMEND
	;;#ASMSTART
	v_pk_mul_f16 v10, v39, v50;

	;;#ASMEND
	;;#ASMSTART
	v_pk_mul_f16 v44, v38, v49;

	;;#ASMEND
	;;#ASMSTART
	v_pk_add_f16 v1, v1, v9;

	;;#ASMEND
	;;#ASMSTART
	v_pk_add_f16 v1, v1, v10;

	;;#ASMEND
	;; [unrolled: 4-line block ×3, first 2 shown]
	v_and_b32_e32 v9, 0xffff, v1
	v_lshrrev_b32_e32 v1, 16, v1
	;;#ASMSTART
	v_cvt_f32_f16 v44, v9;
	;;#ASMEND
	;;#ASMSTART
	v_cvt_f32_f16 v45, v1;
	;;#ASMEND
	global_load_dwordx2 v[9:10], v[7:8], off offset:768
	v_mov_b32_e32 v47, 0
	v_mov_b32_e32 v48, 0
	global_load_dword v46, v47, s[14:15]
	s_waitcnt vmcnt(1)
	v_cmp_ne_u16_sdwa s0, v9, v2 src0_sel:BYTE_0 src1_sel:DWORD
	s_and_saveexec_b32 s21, s0
	s_cbranch_execz .LBB242_758
; %bb.751:                              ;   in Loop: Header=BB242_551 Depth=1
	v_cmp_ne_u16_sdwa s0, v9, v23 src0_sel:BYTE_0 src1_sel:DWORD
	v_mov_b32_e32 v48, 0x8000
	s_and_saveexec_b32 s22, s0
	s_cbranch_execz .LBB242_757
; %bb.752:                              ;   in Loop: Header=BB242_551 Depth=1
	v_and_b32_e32 v49, 0x7f, v9
	v_mov_b32_e32 v48, 0x7c01
	s_mov_b32 s26, exec_lo
	v_cmpx_ne_u32_e32 0x7f, v49
	s_cbranch_execz .LBB242_756
; %bb.753:                              ;   in Loop: Header=BB242_551 Depth=1
	v_and_b32_e32 v1, 7, v9
	v_lshrrev_b32_e32 v48, 3, v49
	s_mov_b32 s27, exec_lo
	v_cmpx_gt_u32_e32 8, v49
; %bb.754:                              ;   in Loop: Header=BB242_551 Depth=1
	v_ffbh_u32_e32 v1, v1
	v_min_u32_e32 v1, 32, v1
	v_subrev_nc_u32_e32 v48, 28, v1
	v_lshlrev_b64 v[49:50], v48, v[9:10]
	v_sub_nc_u32_e32 v48, 29, v1
	v_and_b32_e32 v1, 7, v49
; %bb.755:                              ;   in Loop: Header=BB242_551 Depth=1
	s_or_b32 exec_lo, exec_lo, s27
	v_lshlrev_b32_e32 v49, 8, v9
	v_lshl_add_u32 v48, v48, 10, 0x2000
	v_lshlrev_b32_e32 v1, 7, v1
	v_and_b32_e32 v49, 0x8000, v49
	v_and_b32_e32 v48, 0xfc00, v48
	v_or3_b32 v48, v49, v48, v1
.LBB242_756:                            ;   in Loop: Header=BB242_551 Depth=1
	s_or_b32 exec_lo, exec_lo, s26
.LBB242_757:                            ;   in Loop: Header=BB242_551 Depth=1
	s_or_b32 exec_lo, exec_lo, s22
.LBB242_758:                            ;   in Loop: Header=BB242_551 Depth=1
	s_or_b32 exec_lo, exec_lo, s21
	v_lshrrev_b16 v1, 8, v9
	s_mov_b32 s21, exec_lo
	v_cmpx_ne_u16_e32 0, v1
	s_cbranch_execz .LBB242_766
; %bb.759:                              ;   in Loop: Header=BB242_551 Depth=1
	v_bfrev_b32_e32 v47, 1
	s_mov_b32 s22, exec_lo
	v_cmpx_ne_u16_e32 0x80, v1
	s_cbranch_execz .LBB242_765
; %bb.760:                              ;   in Loop: Header=BB242_551 Depth=1
	v_and_b32_sdwa v50, v1, v24 dst_sel:DWORD dst_unused:UNUSED_PAD src0_sel:WORD_0 src1_sel:DWORD
	v_mov_b32_e32 v47, 0x7c010000
	s_mov_b32 s26, exec_lo
	v_cmpx_ne_u32_e32 0x7f, v50
	s_cbranch_execz .LBB242_764
; %bb.761:                              ;   in Loop: Header=BB242_551 Depth=1
	v_and_b32_sdwa v47, v1, v25 dst_sel:DWORD dst_unused:UNUSED_PAD src0_sel:WORD_0 src1_sel:DWORD
	v_lshrrev_b32_e32 v49, 3, v50
	s_mov_b32 s27, exec_lo
	v_cmpx_gt_u32_e32 8, v50
; %bb.762:                              ;   in Loop: Header=BB242_551 Depth=1
	v_ffbh_u32_e32 v47, v47
	v_min_u32_e32 v47, 32, v47
	v_subrev_nc_u32_e32 v49, 28, v47
	v_lshlrev_b64 v[50:51], v49, v[1:2]
	v_sub_nc_u32_e32 v49, 29, v47
	v_and_b32_e32 v47, 7, v50
; %bb.763:                              ;   in Loop: Header=BB242_551 Depth=1
	s_or_b32 exec_lo, exec_lo, s27
	v_lshlrev_b32_sdwa v1, v26, v1 dst_sel:DWORD dst_unused:UNUSED_PAD src0_sel:DWORD src1_sel:WORD_0
	v_lshl_add_u32 v49, v49, 10, 0x2000
	v_lshlrev_b32_e32 v47, 23, v47
	v_and_or_b32 v1, 0x8000, v1, v49
	v_lshl_or_b32 v47, v1, 16, v47
.LBB242_764:                            ;   in Loop: Header=BB242_551 Depth=1
	s_or_b32 exec_lo, exec_lo, s26
.LBB242_765:                            ;   in Loop: Header=BB242_551 Depth=1
	s_or_b32 exec_lo, exec_lo, s22
.LBB242_766:                            ;   in Loop: Header=BB242_551 Depth=1
	s_or_b32 exec_lo, exec_lo, s21
	v_lshrrev_b32_e32 v1, 16, v9
	v_mov_b32_e32 v49, 0
	v_mov_b32_e32 v50, 0
	v_cmp_ne_u16_sdwa s0, v1, v2 src0_sel:BYTE_0 src1_sel:DWORD
	s_and_saveexec_b32 s21, s0
	s_cbranch_execz .LBB242_774
; %bb.767:                              ;   in Loop: Header=BB242_551 Depth=1
	v_cmp_ne_u16_sdwa s0, v1, v23 src0_sel:BYTE_0 src1_sel:DWORD
	v_mov_b32_e32 v50, 0x8000
	s_and_saveexec_b32 s22, s0
	s_cbranch_execz .LBB242_773
; %bb.768:                              ;   in Loop: Header=BB242_551 Depth=1
	v_bfe_u32 v52, v9, 16, 7
	v_mov_b32_e32 v50, 0x7c01
	s_mov_b32 s26, exec_lo
	v_cmpx_ne_u32_e32 0x7f, v52
	s_cbranch_execz .LBB242_772
; %bb.769:                              ;   in Loop: Header=BB242_551 Depth=1
	v_and_b32_e32 v50, 7, v1
	v_lshrrev_b32_e32 v51, 3, v52
	s_mov_b32 s27, exec_lo
	v_cmpx_gt_u32_e32 8, v52
; %bb.770:                              ;   in Loop: Header=BB242_551 Depth=1
	v_ffbh_u32_e32 v50, v50
	v_min_u32_e32 v52, 32, v50
	v_subrev_nc_u32_e32 v50, 28, v52
	v_lshlrev_b64 v[50:51], v50, v[1:2]
	v_sub_nc_u32_e32 v51, 29, v52
	v_and_b32_e32 v50, 7, v50
; %bb.771:                              ;   in Loop: Header=BB242_551 Depth=1
	s_or_b32 exec_lo, exec_lo, s27
	v_lshlrev_b32_e32 v1, 8, v1
	v_lshl_add_u32 v51, v51, 10, 0x2000
	v_lshlrev_b32_e32 v50, 7, v50
	v_and_b32_e32 v1, 0x8000, v1
	v_and_b32_e32 v51, 0xfc00, v51
	v_or3_b32 v50, v1, v51, v50
.LBB242_772:                            ;   in Loop: Header=BB242_551 Depth=1
	s_or_b32 exec_lo, exec_lo, s26
.LBB242_773:                            ;   in Loop: Header=BB242_551 Depth=1
	s_or_b32 exec_lo, exec_lo, s22
.LBB242_774:                            ;   in Loop: Header=BB242_551 Depth=1
	s_or_b32 exec_lo, exec_lo, s21
	s_mov_b32 s21, exec_lo
	v_cmpx_lt_u32_e32 0xffffff, v9
	s_cbranch_execz .LBB242_782
; %bb.775:                              ;   in Loop: Header=BB242_551 Depth=1
	v_lshrrev_b32_e32 v1, 24, v9
	v_bfrev_b32_e32 v49, 1
	s_mov_b32 s22, exec_lo
	v_cmpx_ne_u32_e32 0x80, v1
	s_cbranch_execz .LBB242_781
; %bb.776:                              ;   in Loop: Header=BB242_551 Depth=1
	v_and_b32_e32 v52, 0x7f, v1
	v_mov_b32_e32 v49, 0x7c010000
	s_mov_b32 s26, exec_lo
	v_cmpx_ne_u32_e32 0x7f, v52
	s_cbranch_execz .LBB242_780
; %bb.777:                              ;   in Loop: Header=BB242_551 Depth=1
	v_and_b32_e32 v49, 7, v1
	v_lshrrev_b32_e32 v51, 3, v52
	s_mov_b32 s27, exec_lo
	v_cmpx_gt_u32_e32 8, v52
; %bb.778:                              ;   in Loop: Header=BB242_551 Depth=1
	v_ffbh_u32_e32 v49, v49
	v_min_u32_e32 v49, 32, v49
	v_subrev_nc_u32_e32 v51, 28, v49
	v_lshlrev_b64 v[52:53], v51, v[1:2]
	v_sub_nc_u32_e32 v51, 29, v49
	v_and_b32_e32 v49, 7, v52
; %bb.779:                              ;   in Loop: Header=BB242_551 Depth=1
	s_or_b32 exec_lo, exec_lo, s27
	v_lshlrev_b32_e32 v1, 8, v1
	v_lshl_add_u32 v51, v51, 10, 0x2000
	v_lshlrev_b32_e32 v49, 23, v49
	v_and_or_b32 v1, 0x8000, v1, v51
	v_lshl_or_b32 v49, v1, 16, v49
.LBB242_780:                            ;   in Loop: Header=BB242_551 Depth=1
	s_or_b32 exec_lo, exec_lo, s26
.LBB242_781:                            ;   in Loop: Header=BB242_551 Depth=1
	s_or_b32 exec_lo, exec_lo, s22
.LBB242_782:                            ;   in Loop: Header=BB242_551 Depth=1
	s_or_b32 exec_lo, exec_lo, s21
	v_mov_b32_e32 v1, v10
	v_cmp_ne_u16_sdwa s0, v10, v2 src0_sel:BYTE_0 src1_sel:DWORD
	v_mov_b32_e32 v51, 0
	v_mov_b32_e32 v52, 0
	s_and_saveexec_b32 s21, s0
	s_cbranch_execz .LBB242_790
; %bb.783:                              ;   in Loop: Header=BB242_551 Depth=1
	v_cmp_ne_u16_sdwa s0, v10, v23 src0_sel:BYTE_0 src1_sel:DWORD
	v_mov_b32_e32 v52, 0x8000
	s_and_saveexec_b32 s22, s0
	s_cbranch_execz .LBB242_789
; %bb.784:                              ;   in Loop: Header=BB242_551 Depth=1
	v_and_b32_e32 v54, 0x7f, v10
	v_mov_b32_e32 v52, 0x7c01
	s_mov_b32 s26, exec_lo
	v_cmpx_ne_u32_e32 0x7f, v54
	s_cbranch_execz .LBB242_788
; %bb.785:                              ;   in Loop: Header=BB242_551 Depth=1
	v_and_b32_e32 v52, 7, v10
	v_lshrrev_b32_e32 v53, 3, v54
	s_mov_b32 s27, exec_lo
	v_cmpx_gt_u32_e32 8, v54
; %bb.786:                              ;   in Loop: Header=BB242_551 Depth=1
	v_ffbh_u32_e32 v52, v52
	v_min_u32_e32 v54, 32, v52
	v_subrev_nc_u32_e32 v52, 28, v54
	v_lshlrev_b64 v[52:53], v52, v[1:2]
	v_sub_nc_u32_e32 v53, 29, v54
	v_and_b32_e32 v52, 7, v52
; %bb.787:                              ;   in Loop: Header=BB242_551 Depth=1
	s_or_b32 exec_lo, exec_lo, s27
	v_lshlrev_b32_e32 v54, 8, v10
	v_lshl_add_u32 v53, v53, 10, 0x2000
	v_lshlrev_b32_e32 v52, 7, v52
	v_and_b32_e32 v54, 0x8000, v54
	v_and_b32_e32 v53, 0xfc00, v53
	v_or3_b32 v52, v54, v53, v52
.LBB242_788:                            ;   in Loop: Header=BB242_551 Depth=1
	s_or_b32 exec_lo, exec_lo, s26
.LBB242_789:                            ;   in Loop: Header=BB242_551 Depth=1
	s_or_b32 exec_lo, exec_lo, s22
.LBB242_790:                            ;   in Loop: Header=BB242_551 Depth=1
	s_or_b32 exec_lo, exec_lo, s21
	v_lshrrev_b16 v1, 8, v1
	v_mov_b32_e32 v53, 0
	s_mov_b32 s21, exec_lo
	v_cmpx_ne_u16_e32 0, v1
	s_cbranch_execz .LBB242_798
; %bb.791:                              ;   in Loop: Header=BB242_551 Depth=1
	v_bfrev_b32_e32 v53, 1
	s_mov_b32 s22, exec_lo
	v_cmpx_ne_u16_e32 0x80, v1
	s_cbranch_execz .LBB242_797
; %bb.792:                              ;   in Loop: Header=BB242_551 Depth=1
	v_and_b32_sdwa v55, v1, v24 dst_sel:DWORD dst_unused:UNUSED_PAD src0_sel:WORD_0 src1_sel:DWORD
	v_mov_b32_e32 v53, 0x7c010000
	s_mov_b32 s26, exec_lo
	v_cmpx_ne_u32_e32 0x7f, v55
	s_cbranch_execz .LBB242_796
; %bb.793:                              ;   in Loop: Header=BB242_551 Depth=1
	v_and_b32_sdwa v53, v1, v25 dst_sel:DWORD dst_unused:UNUSED_PAD src0_sel:WORD_0 src1_sel:DWORD
	v_lshrrev_b32_e32 v54, 3, v55
	s_mov_b32 s27, exec_lo
	v_cmpx_gt_u32_e32 8, v55
; %bb.794:                              ;   in Loop: Header=BB242_551 Depth=1
	v_ffbh_u32_e32 v53, v53
	v_min_u32_e32 v55, 32, v53
	v_subrev_nc_u32_e32 v53, 28, v55
	v_lshlrev_b64 v[53:54], v53, v[1:2]
	v_sub_nc_u32_e32 v54, 29, v55
	v_and_b32_e32 v53, 7, v53
; %bb.795:                              ;   in Loop: Header=BB242_551 Depth=1
	s_or_b32 exec_lo, exec_lo, s27
	v_lshlrev_b32_sdwa v1, v26, v1 dst_sel:DWORD dst_unused:UNUSED_PAD src0_sel:DWORD src1_sel:WORD_0
	v_lshl_add_u32 v54, v54, 10, 0x2000
	v_lshlrev_b32_e32 v53, 23, v53
	v_and_or_b32 v1, 0x8000, v1, v54
	v_lshl_or_b32 v53, v1, 16, v53
.LBB242_796:                            ;   in Loop: Header=BB242_551 Depth=1
	s_or_b32 exec_lo, exec_lo, s26
.LBB242_797:                            ;   in Loop: Header=BB242_551 Depth=1
	s_or_b32 exec_lo, exec_lo, s22
.LBB242_798:                            ;   in Loop: Header=BB242_551 Depth=1
	s_or_b32 exec_lo, exec_lo, s21
	v_lshrrev_b32_e32 v1, 16, v10
	v_cmp_ne_u16_sdwa s0, v1, v2 src0_sel:BYTE_0 src1_sel:DWORD
	s_and_saveexec_b32 s21, s0
	s_cbranch_execz .LBB242_806
; %bb.799:                              ;   in Loop: Header=BB242_551 Depth=1
	v_cmp_ne_u16_sdwa s0, v1, v23 src0_sel:BYTE_0 src1_sel:DWORD
	v_mov_b32_e32 v51, 0x8000
	s_and_saveexec_b32 s22, s0
	s_cbranch_execz .LBB242_805
; %bb.800:                              ;   in Loop: Header=BB242_551 Depth=1
	v_bfe_u32 v55, v10, 16, 7
	v_mov_b32_e32 v51, 0x7c01
	s_mov_b32 s26, exec_lo
	v_cmpx_ne_u32_e32 0x7f, v55
	s_cbranch_execz .LBB242_804
; %bb.801:                              ;   in Loop: Header=BB242_551 Depth=1
	v_and_b32_e32 v51, 7, v1
	v_lshrrev_b32_e32 v54, 3, v55
	s_mov_b32 s27, exec_lo
	v_cmpx_gt_u32_e32 8, v55
; %bb.802:                              ;   in Loop: Header=BB242_551 Depth=1
	v_ffbh_u32_e32 v51, v51
	v_min_u32_e32 v51, 32, v51
	v_subrev_nc_u32_e32 v54, 28, v51
	v_lshlrev_b64 v[55:56], v54, v[1:2]
	v_sub_nc_u32_e32 v54, 29, v51
	v_and_b32_e32 v51, 7, v55
; %bb.803:                              ;   in Loop: Header=BB242_551 Depth=1
	s_or_b32 exec_lo, exec_lo, s27
	v_lshlrev_b32_e32 v1, 8, v1
	v_lshl_add_u32 v54, v54, 10, 0x2000
	v_lshlrev_b32_e32 v51, 7, v51
	v_and_b32_e32 v1, 0x8000, v1
	v_and_b32_e32 v54, 0xfc00, v54
	v_or3_b32 v51, v1, v54, v51
.LBB242_804:                            ;   in Loop: Header=BB242_551 Depth=1
	s_or_b32 exec_lo, exec_lo, s26
.LBB242_805:                            ;   in Loop: Header=BB242_551 Depth=1
	s_or_b32 exec_lo, exec_lo, s22
.LBB242_806:                            ;   in Loop: Header=BB242_551 Depth=1
	s_or_b32 exec_lo, exec_lo, s21
	v_cmp_lt_u64_e64 s0, s[2:3], v[9:10]
	v_mov_b32_e32 v9, 0
	s_and_saveexec_b32 s21, s0
	s_cbranch_execz .LBB242_814
; %bb.807:                              ;   in Loop: Header=BB242_551 Depth=1
	v_lshrrev_b32_e32 v1, 24, v10
	v_bfrev_b32_e32 v9, 1
	s_mov_b32 s22, exec_lo
	v_cmpx_ne_u32_e32 0x80, v1
	s_cbranch_execz .LBB242_813
; %bb.808:                              ;   in Loop: Header=BB242_551 Depth=1
	v_and_b32_e32 v54, 0x7f, v1
	v_mov_b32_e32 v9, 0x7c010000
	s_mov_b32 s26, exec_lo
	v_cmpx_ne_u32_e32 0x7f, v54
	s_cbranch_execz .LBB242_812
; %bb.809:                              ;   in Loop: Header=BB242_551 Depth=1
	v_and_b32_e32 v9, 7, v1
	v_lshrrev_b32_e32 v10, 3, v54
	s_mov_b32 s27, exec_lo
	v_cmpx_gt_u32_e32 8, v54
; %bb.810:                              ;   in Loop: Header=BB242_551 Depth=1
	v_ffbh_u32_e32 v9, v9
	v_min_u32_e32 v54, 32, v9
	v_subrev_nc_u32_e32 v9, 28, v54
	v_lshlrev_b64 v[9:10], v9, v[1:2]
	v_sub_nc_u32_e32 v10, 29, v54
	v_and_b32_e32 v9, 7, v9
; %bb.811:                              ;   in Loop: Header=BB242_551 Depth=1
	s_or_b32 exec_lo, exec_lo, s27
	v_lshlrev_b32_e32 v1, 8, v1
	v_lshl_add_u32 v10, v10, 10, 0x2000
	v_lshlrev_b32_e32 v9, 23, v9
	v_and_or_b32 v1, 0x8000, v1, v10
	v_lshl_or_b32 v9, v1, 16, v9
.LBB242_812:                            ;   in Loop: Header=BB242_551 Depth=1
	s_or_b32 exec_lo, exec_lo, s26
.LBB242_813:                            ;   in Loop: Header=BB242_551 Depth=1
	s_or_b32 exec_lo, exec_lo, s22
.LBB242_814:                            ;   in Loop: Header=BB242_551 Depth=1
	s_or_b32 exec_lo, exec_lo, s21
	v_or_b32_e32 v1, v49, v50
	s_waitcnt vmcnt(0)
	v_fma_mixlo_f16 v10, v46, v49, 0 op_sel:[0,1,0] op_sel_hi:[0,1,0]
	v_or_b32_e32 v49, v47, v48
	v_fma_mixlo_f16 v47, v46, v47, 0 op_sel:[0,1,0] op_sel_hi:[0,1,0]
	v_or_b32_e32 v50, v53, v52
	v_or_b32_e32 v51, v9, v51
	v_fma_mixlo_f16 v52, v46, v1, 0 op_sel_hi:[0,1,0]
	v_fma_mixlo_f16 v9, v46, v9, 0 op_sel:[0,1,0] op_sel_hi:[0,1,0]
	v_lshlrev_b32_e32 v48, 16, v47
	v_fma_mixlo_f16 v47, v46, v49, 0 op_sel_hi:[0,1,0]
	v_fma_mixlo_f16 v49, v46, v53, 0 op_sel:[0,1,0] op_sel_hi:[0,1,0]
	v_fma_mixlo_f16 v50, v46, v50, 0 op_sel_hi:[0,1,0]
	v_fma_mixlo_f16 v51, v46, v51, 0 op_sel_hi:[0,1,0]
	v_lshlrev_b32_e32 v1, 16, v10
	v_and_b32_e32 v10, 0xffff, v52
	v_and_b32_e32 v54, 0xffff, v47
	v_lshlrev_b32_e32 v46, 16, v49
	v_and_b32_e32 v50, 0xffff, v50
	v_lshlrev_b32_e32 v9, 16, v9
	v_and_b32_e32 v47, 0xffff, v51
	v_or_b32_e32 v49, v1, v10
	v_or_b32_e32 v53, v48, v54
	;; [unrolled: 1-line block ×4, first 2 shown]
	s_and_saveexec_b32 s21, vcc_lo
	s_cbranch_execz .LBB242_816
; %bb.815:                              ;   in Loop: Header=BB242_551 Depth=1
	v_cmp_gt_i32_e64 s0, s33, v12
	v_cndmask_b32_e64 v49, 0, v54, s0
	v_cmp_gt_i32_e64 s0, s33, v36
	v_cndmask_b32_e64 v48, 0, v48, s0
	v_cmp_gt_i32_e64 s0, s33, v34
	v_or_b32_e32 v53, v48, v49
	v_cndmask_b32_e64 v10, 0, v10, s0
	v_cmp_gt_i32_e64 s0, s33, v33
	v_cndmask_b32_e64 v1, 0, v1, s0
	v_cmp_gt_i32_e64 s0, s33, v32
	v_or_b32_e32 v49, v1, v10
	;; [unrolled: 5-line block ×3, first 2 shown]
	v_cndmask_b32_e64 v47, 0, v47, s0
	v_cmp_gt_i32_e64 s0, s33, v29
	v_cndmask_b32_e64 v9, 0, v9, s0
	v_or_b32_e32 v51, v9, v47
.LBB242_816:                            ;   in Loop: Header=BB242_551 Depth=1
	s_or_b32 exec_lo, exec_lo, s21
	;;#ASMSTART
	v_pk_mul_f16 v1, v41, v53;

	;;#ASMEND
	;;#ASMSTART
	v_pk_mul_f16 v9, v40, v49;

	;;#ASMEND
	;; [unrolled: 4-line block ×4, first 2 shown]
	;;#ASMSTART
	v_pk_add_f16 v1, v1, v9;

	;;#ASMEND
	;;#ASMSTART
	v_pk_add_f16 v1, v1, v10;

	;;#ASMEND
	;; [unrolled: 4-line block ×3, first 2 shown]
	v_and_b32_e32 v9, 0xffff, v1
	v_lshrrev_b32_e32 v1, 16, v1
	;;#ASMSTART
	v_cvt_f32_f16 v46, v9;
	;;#ASMEND
	;;#ASMSTART
	v_cvt_f32_f16 v47, v1;
	;;#ASMEND
	global_load_dwordx2 v[9:10], v[7:8], off offset:1024
	v_mov_b32_e32 v49, 0
	v_mov_b32_e32 v50, 0
	global_load_dword v48, v49, s[14:15]
	s_waitcnt vmcnt(1)
	v_cmp_ne_u16_sdwa s0, v9, v2 src0_sel:BYTE_0 src1_sel:DWORD
	s_and_saveexec_b32 s21, s0
	s_cbranch_execz .LBB242_824
; %bb.817:                              ;   in Loop: Header=BB242_551 Depth=1
	v_cmp_ne_u16_sdwa s0, v9, v23 src0_sel:BYTE_0 src1_sel:DWORD
	v_mov_b32_e32 v50, 0x8000
	s_and_saveexec_b32 s22, s0
	s_cbranch_execz .LBB242_823
; %bb.818:                              ;   in Loop: Header=BB242_551 Depth=1
	v_and_b32_e32 v51, 0x7f, v9
	v_mov_b32_e32 v50, 0x7c01
	s_mov_b32 s26, exec_lo
	v_cmpx_ne_u32_e32 0x7f, v51
	s_cbranch_execz .LBB242_822
; %bb.819:                              ;   in Loop: Header=BB242_551 Depth=1
	v_and_b32_e32 v1, 7, v9
	v_lshrrev_b32_e32 v50, 3, v51
	s_mov_b32 s27, exec_lo
	v_cmpx_gt_u32_e32 8, v51
; %bb.820:                              ;   in Loop: Header=BB242_551 Depth=1
	v_ffbh_u32_e32 v1, v1
	v_min_u32_e32 v1, 32, v1
	v_subrev_nc_u32_e32 v50, 28, v1
	v_lshlrev_b64 v[51:52], v50, v[9:10]
	v_sub_nc_u32_e32 v50, 29, v1
	v_and_b32_e32 v1, 7, v51
; %bb.821:                              ;   in Loop: Header=BB242_551 Depth=1
	s_or_b32 exec_lo, exec_lo, s27
	v_lshlrev_b32_e32 v51, 8, v9
	v_lshl_add_u32 v50, v50, 10, 0x2000
	v_lshlrev_b32_e32 v1, 7, v1
	v_and_b32_e32 v51, 0x8000, v51
	v_and_b32_e32 v50, 0xfc00, v50
	v_or3_b32 v50, v51, v50, v1
.LBB242_822:                            ;   in Loop: Header=BB242_551 Depth=1
	s_or_b32 exec_lo, exec_lo, s26
.LBB242_823:                            ;   in Loop: Header=BB242_551 Depth=1
	s_or_b32 exec_lo, exec_lo, s22
.LBB242_824:                            ;   in Loop: Header=BB242_551 Depth=1
	s_or_b32 exec_lo, exec_lo, s21
	v_lshrrev_b16 v1, 8, v9
	s_mov_b32 s21, exec_lo
	v_cmpx_ne_u16_e32 0, v1
	s_cbranch_execz .LBB242_832
; %bb.825:                              ;   in Loop: Header=BB242_551 Depth=1
	v_bfrev_b32_e32 v49, 1
	s_mov_b32 s22, exec_lo
	v_cmpx_ne_u16_e32 0x80, v1
	s_cbranch_execz .LBB242_831
; %bb.826:                              ;   in Loop: Header=BB242_551 Depth=1
	v_and_b32_sdwa v52, v1, v24 dst_sel:DWORD dst_unused:UNUSED_PAD src0_sel:WORD_0 src1_sel:DWORD
	v_mov_b32_e32 v49, 0x7c010000
	s_mov_b32 s26, exec_lo
	v_cmpx_ne_u32_e32 0x7f, v52
	s_cbranch_execz .LBB242_830
; %bb.827:                              ;   in Loop: Header=BB242_551 Depth=1
	v_and_b32_sdwa v49, v1, v25 dst_sel:DWORD dst_unused:UNUSED_PAD src0_sel:WORD_0 src1_sel:DWORD
	v_lshrrev_b32_e32 v51, 3, v52
	s_mov_b32 s27, exec_lo
	v_cmpx_gt_u32_e32 8, v52
; %bb.828:                              ;   in Loop: Header=BB242_551 Depth=1
	v_ffbh_u32_e32 v49, v49
	v_min_u32_e32 v49, 32, v49
	v_subrev_nc_u32_e32 v51, 28, v49
	v_lshlrev_b64 v[52:53], v51, v[1:2]
	v_sub_nc_u32_e32 v51, 29, v49
	v_and_b32_e32 v49, 7, v52
; %bb.829:                              ;   in Loop: Header=BB242_551 Depth=1
	s_or_b32 exec_lo, exec_lo, s27
	v_lshlrev_b32_sdwa v1, v26, v1 dst_sel:DWORD dst_unused:UNUSED_PAD src0_sel:DWORD src1_sel:WORD_0
	v_lshl_add_u32 v51, v51, 10, 0x2000
	v_lshlrev_b32_e32 v49, 23, v49
	v_and_or_b32 v1, 0x8000, v1, v51
	v_lshl_or_b32 v49, v1, 16, v49
.LBB242_830:                            ;   in Loop: Header=BB242_551 Depth=1
	s_or_b32 exec_lo, exec_lo, s26
.LBB242_831:                            ;   in Loop: Header=BB242_551 Depth=1
	s_or_b32 exec_lo, exec_lo, s22
.LBB242_832:                            ;   in Loop: Header=BB242_551 Depth=1
	s_or_b32 exec_lo, exec_lo, s21
	v_lshrrev_b32_e32 v1, 16, v9
	v_mov_b32_e32 v51, 0
	v_mov_b32_e32 v52, 0
	v_cmp_ne_u16_sdwa s0, v1, v2 src0_sel:BYTE_0 src1_sel:DWORD
	s_and_saveexec_b32 s21, s0
	s_cbranch_execz .LBB242_840
; %bb.833:                              ;   in Loop: Header=BB242_551 Depth=1
	v_cmp_ne_u16_sdwa s0, v1, v23 src0_sel:BYTE_0 src1_sel:DWORD
	v_mov_b32_e32 v52, 0x8000
	s_and_saveexec_b32 s22, s0
	s_cbranch_execz .LBB242_839
; %bb.834:                              ;   in Loop: Header=BB242_551 Depth=1
	v_bfe_u32 v54, v9, 16, 7
	v_mov_b32_e32 v52, 0x7c01
	s_mov_b32 s26, exec_lo
	v_cmpx_ne_u32_e32 0x7f, v54
	s_cbranch_execz .LBB242_838
; %bb.835:                              ;   in Loop: Header=BB242_551 Depth=1
	v_and_b32_e32 v52, 7, v1
	v_lshrrev_b32_e32 v53, 3, v54
	s_mov_b32 s27, exec_lo
	v_cmpx_gt_u32_e32 8, v54
; %bb.836:                              ;   in Loop: Header=BB242_551 Depth=1
	v_ffbh_u32_e32 v52, v52
	v_min_u32_e32 v54, 32, v52
	v_subrev_nc_u32_e32 v52, 28, v54
	v_lshlrev_b64 v[52:53], v52, v[1:2]
	v_sub_nc_u32_e32 v53, 29, v54
	v_and_b32_e32 v52, 7, v52
; %bb.837:                              ;   in Loop: Header=BB242_551 Depth=1
	s_or_b32 exec_lo, exec_lo, s27
	v_lshlrev_b32_e32 v1, 8, v1
	v_lshl_add_u32 v53, v53, 10, 0x2000
	v_lshlrev_b32_e32 v52, 7, v52
	v_and_b32_e32 v1, 0x8000, v1
	v_and_b32_e32 v53, 0xfc00, v53
	v_or3_b32 v52, v1, v53, v52
.LBB242_838:                            ;   in Loop: Header=BB242_551 Depth=1
	s_or_b32 exec_lo, exec_lo, s26
.LBB242_839:                            ;   in Loop: Header=BB242_551 Depth=1
	s_or_b32 exec_lo, exec_lo, s22
.LBB242_840:                            ;   in Loop: Header=BB242_551 Depth=1
	s_or_b32 exec_lo, exec_lo, s21
	s_mov_b32 s21, exec_lo
	v_cmpx_lt_u32_e32 0xffffff, v9
	s_cbranch_execz .LBB242_848
; %bb.841:                              ;   in Loop: Header=BB242_551 Depth=1
	v_lshrrev_b32_e32 v1, 24, v9
	v_bfrev_b32_e32 v51, 1
	s_mov_b32 s22, exec_lo
	v_cmpx_ne_u32_e32 0x80, v1
	s_cbranch_execz .LBB242_847
; %bb.842:                              ;   in Loop: Header=BB242_551 Depth=1
	v_and_b32_e32 v54, 0x7f, v1
	v_mov_b32_e32 v51, 0x7c010000
	s_mov_b32 s26, exec_lo
	v_cmpx_ne_u32_e32 0x7f, v54
	s_cbranch_execz .LBB242_846
; %bb.843:                              ;   in Loop: Header=BB242_551 Depth=1
	v_and_b32_e32 v51, 7, v1
	v_lshrrev_b32_e32 v53, 3, v54
	s_mov_b32 s27, exec_lo
	v_cmpx_gt_u32_e32 8, v54
; %bb.844:                              ;   in Loop: Header=BB242_551 Depth=1
	v_ffbh_u32_e32 v51, v51
	v_min_u32_e32 v51, 32, v51
	v_subrev_nc_u32_e32 v53, 28, v51
	v_lshlrev_b64 v[54:55], v53, v[1:2]
	v_sub_nc_u32_e32 v53, 29, v51
	v_and_b32_e32 v51, 7, v54
; %bb.845:                              ;   in Loop: Header=BB242_551 Depth=1
	s_or_b32 exec_lo, exec_lo, s27
	v_lshlrev_b32_e32 v1, 8, v1
	v_lshl_add_u32 v53, v53, 10, 0x2000
	v_lshlrev_b32_e32 v51, 23, v51
	v_and_or_b32 v1, 0x8000, v1, v53
	v_lshl_or_b32 v51, v1, 16, v51
.LBB242_846:                            ;   in Loop: Header=BB242_551 Depth=1
	s_or_b32 exec_lo, exec_lo, s26
.LBB242_847:                            ;   in Loop: Header=BB242_551 Depth=1
	s_or_b32 exec_lo, exec_lo, s22
.LBB242_848:                            ;   in Loop: Header=BB242_551 Depth=1
	s_or_b32 exec_lo, exec_lo, s21
	v_mov_b32_e32 v1, v10
	v_cmp_ne_u16_sdwa s0, v10, v2 src0_sel:BYTE_0 src1_sel:DWORD
	v_mov_b32_e32 v53, 0
	v_mov_b32_e32 v54, 0
	s_and_saveexec_b32 s21, s0
	s_cbranch_execz .LBB242_856
; %bb.849:                              ;   in Loop: Header=BB242_551 Depth=1
	v_cmp_ne_u16_sdwa s0, v10, v23 src0_sel:BYTE_0 src1_sel:DWORD
	v_mov_b32_e32 v54, 0x8000
	s_and_saveexec_b32 s22, s0
	s_cbranch_execz .LBB242_855
; %bb.850:                              ;   in Loop: Header=BB242_551 Depth=1
	v_and_b32_e32 v56, 0x7f, v10
	v_mov_b32_e32 v54, 0x7c01
	s_mov_b32 s26, exec_lo
	v_cmpx_ne_u32_e32 0x7f, v56
	s_cbranch_execz .LBB242_854
; %bb.851:                              ;   in Loop: Header=BB242_551 Depth=1
	v_and_b32_e32 v54, 7, v10
	v_lshrrev_b32_e32 v55, 3, v56
	s_mov_b32 s27, exec_lo
	v_cmpx_gt_u32_e32 8, v56
; %bb.852:                              ;   in Loop: Header=BB242_551 Depth=1
	v_ffbh_u32_e32 v54, v54
	v_min_u32_e32 v56, 32, v54
	v_subrev_nc_u32_e32 v54, 28, v56
	v_lshlrev_b64 v[54:55], v54, v[1:2]
	v_sub_nc_u32_e32 v55, 29, v56
	v_and_b32_e32 v54, 7, v54
; %bb.853:                              ;   in Loop: Header=BB242_551 Depth=1
	s_or_b32 exec_lo, exec_lo, s27
	v_lshlrev_b32_e32 v56, 8, v10
	v_lshl_add_u32 v55, v55, 10, 0x2000
	v_lshlrev_b32_e32 v54, 7, v54
	v_and_b32_e32 v56, 0x8000, v56
	v_and_b32_e32 v55, 0xfc00, v55
	v_or3_b32 v54, v56, v55, v54
.LBB242_854:                            ;   in Loop: Header=BB242_551 Depth=1
	s_or_b32 exec_lo, exec_lo, s26
.LBB242_855:                            ;   in Loop: Header=BB242_551 Depth=1
	s_or_b32 exec_lo, exec_lo, s22
.LBB242_856:                            ;   in Loop: Header=BB242_551 Depth=1
	s_or_b32 exec_lo, exec_lo, s21
	v_lshrrev_b16 v1, 8, v1
	v_mov_b32_e32 v55, 0
	s_mov_b32 s21, exec_lo
	v_cmpx_ne_u16_e32 0, v1
	s_cbranch_execz .LBB242_864
; %bb.857:                              ;   in Loop: Header=BB242_551 Depth=1
	v_bfrev_b32_e32 v55, 1
	s_mov_b32 s22, exec_lo
	v_cmpx_ne_u16_e32 0x80, v1
	s_cbranch_execz .LBB242_863
; %bb.858:                              ;   in Loop: Header=BB242_551 Depth=1
	v_and_b32_sdwa v57, v1, v24 dst_sel:DWORD dst_unused:UNUSED_PAD src0_sel:WORD_0 src1_sel:DWORD
	v_mov_b32_e32 v55, 0x7c010000
	s_mov_b32 s26, exec_lo
	v_cmpx_ne_u32_e32 0x7f, v57
	s_cbranch_execz .LBB242_862
; %bb.859:                              ;   in Loop: Header=BB242_551 Depth=1
	v_and_b32_sdwa v55, v1, v25 dst_sel:DWORD dst_unused:UNUSED_PAD src0_sel:WORD_0 src1_sel:DWORD
	v_lshrrev_b32_e32 v56, 3, v57
	s_mov_b32 s27, exec_lo
	v_cmpx_gt_u32_e32 8, v57
; %bb.860:                              ;   in Loop: Header=BB242_551 Depth=1
	v_ffbh_u32_e32 v55, v55
	v_min_u32_e32 v57, 32, v55
	v_subrev_nc_u32_e32 v55, 28, v57
	v_lshlrev_b64 v[55:56], v55, v[1:2]
	v_sub_nc_u32_e32 v56, 29, v57
	v_and_b32_e32 v55, 7, v55
; %bb.861:                              ;   in Loop: Header=BB242_551 Depth=1
	s_or_b32 exec_lo, exec_lo, s27
	v_lshlrev_b32_sdwa v1, v26, v1 dst_sel:DWORD dst_unused:UNUSED_PAD src0_sel:DWORD src1_sel:WORD_0
	v_lshl_add_u32 v56, v56, 10, 0x2000
	v_lshlrev_b32_e32 v55, 23, v55
	v_and_or_b32 v1, 0x8000, v1, v56
	v_lshl_or_b32 v55, v1, 16, v55
.LBB242_862:                            ;   in Loop: Header=BB242_551 Depth=1
	s_or_b32 exec_lo, exec_lo, s26
.LBB242_863:                            ;   in Loop: Header=BB242_551 Depth=1
	s_or_b32 exec_lo, exec_lo, s22
.LBB242_864:                            ;   in Loop: Header=BB242_551 Depth=1
	s_or_b32 exec_lo, exec_lo, s21
	v_lshrrev_b32_e32 v1, 16, v10
	v_cmp_ne_u16_sdwa s0, v1, v2 src0_sel:BYTE_0 src1_sel:DWORD
	s_and_saveexec_b32 s21, s0
	s_cbranch_execz .LBB242_872
; %bb.865:                              ;   in Loop: Header=BB242_551 Depth=1
	v_cmp_ne_u16_sdwa s0, v1, v23 src0_sel:BYTE_0 src1_sel:DWORD
	v_mov_b32_e32 v53, 0x8000
	s_and_saveexec_b32 s22, s0
	s_cbranch_execz .LBB242_871
; %bb.866:                              ;   in Loop: Header=BB242_551 Depth=1
	v_bfe_u32 v57, v10, 16, 7
	v_mov_b32_e32 v53, 0x7c01
	s_mov_b32 s26, exec_lo
	v_cmpx_ne_u32_e32 0x7f, v57
	s_cbranch_execz .LBB242_870
; %bb.867:                              ;   in Loop: Header=BB242_551 Depth=1
	v_and_b32_e32 v53, 7, v1
	v_lshrrev_b32_e32 v56, 3, v57
	s_mov_b32 s27, exec_lo
	v_cmpx_gt_u32_e32 8, v57
; %bb.868:                              ;   in Loop: Header=BB242_551 Depth=1
	v_ffbh_u32_e32 v53, v53
	v_min_u32_e32 v53, 32, v53
	v_subrev_nc_u32_e32 v56, 28, v53
	v_lshlrev_b64 v[57:58], v56, v[1:2]
	v_sub_nc_u32_e32 v56, 29, v53
	v_and_b32_e32 v53, 7, v57
; %bb.869:                              ;   in Loop: Header=BB242_551 Depth=1
	s_or_b32 exec_lo, exec_lo, s27
	v_lshlrev_b32_e32 v1, 8, v1
	v_lshl_add_u32 v56, v56, 10, 0x2000
	v_lshlrev_b32_e32 v53, 7, v53
	v_and_b32_e32 v1, 0x8000, v1
	v_and_b32_e32 v56, 0xfc00, v56
	v_or3_b32 v53, v1, v56, v53
.LBB242_870:                            ;   in Loop: Header=BB242_551 Depth=1
	s_or_b32 exec_lo, exec_lo, s26
.LBB242_871:                            ;   in Loop: Header=BB242_551 Depth=1
	s_or_b32 exec_lo, exec_lo, s22
.LBB242_872:                            ;   in Loop: Header=BB242_551 Depth=1
	s_or_b32 exec_lo, exec_lo, s21
	v_cmp_lt_u64_e64 s0, s[2:3], v[9:10]
	v_mov_b32_e32 v9, 0
	s_and_saveexec_b32 s21, s0
	s_cbranch_execz .LBB242_880
; %bb.873:                              ;   in Loop: Header=BB242_551 Depth=1
	v_lshrrev_b32_e32 v1, 24, v10
	v_bfrev_b32_e32 v9, 1
	s_mov_b32 s22, exec_lo
	v_cmpx_ne_u32_e32 0x80, v1
	s_cbranch_execz .LBB242_879
; %bb.874:                              ;   in Loop: Header=BB242_551 Depth=1
	v_and_b32_e32 v56, 0x7f, v1
	v_mov_b32_e32 v9, 0x7c010000
	s_mov_b32 s26, exec_lo
	v_cmpx_ne_u32_e32 0x7f, v56
	s_cbranch_execz .LBB242_878
; %bb.875:                              ;   in Loop: Header=BB242_551 Depth=1
	v_and_b32_e32 v9, 7, v1
	v_lshrrev_b32_e32 v10, 3, v56
	s_mov_b32 s27, exec_lo
	v_cmpx_gt_u32_e32 8, v56
; %bb.876:                              ;   in Loop: Header=BB242_551 Depth=1
	v_ffbh_u32_e32 v9, v9
	v_min_u32_e32 v56, 32, v9
	v_subrev_nc_u32_e32 v9, 28, v56
	v_lshlrev_b64 v[9:10], v9, v[1:2]
	v_sub_nc_u32_e32 v10, 29, v56
	v_and_b32_e32 v9, 7, v9
; %bb.877:                              ;   in Loop: Header=BB242_551 Depth=1
	s_or_b32 exec_lo, exec_lo, s27
	v_lshlrev_b32_e32 v1, 8, v1
	v_lshl_add_u32 v10, v10, 10, 0x2000
	v_lshlrev_b32_e32 v9, 23, v9
	v_and_or_b32 v1, 0x8000, v1, v10
	v_lshl_or_b32 v9, v1, 16, v9
.LBB242_878:                            ;   in Loop: Header=BB242_551 Depth=1
	s_or_b32 exec_lo, exec_lo, s26
.LBB242_879:                            ;   in Loop: Header=BB242_551 Depth=1
	s_or_b32 exec_lo, exec_lo, s22
.LBB242_880:                            ;   in Loop: Header=BB242_551 Depth=1
	s_or_b32 exec_lo, exec_lo, s21
	v_or_b32_e32 v1, v51, v52
	s_waitcnt vmcnt(0)
	v_fma_mixlo_f16 v10, v48, v51, 0 op_sel:[0,1,0] op_sel_hi:[0,1,0]
	v_or_b32_e32 v51, v49, v50
	v_fma_mixlo_f16 v49, v48, v49, 0 op_sel:[0,1,0] op_sel_hi:[0,1,0]
	v_or_b32_e32 v52, v55, v54
	v_or_b32_e32 v53, v9, v53
	v_fma_mixlo_f16 v54, v48, v1, 0 op_sel_hi:[0,1,0]
	v_fma_mixlo_f16 v9, v48, v9, 0 op_sel:[0,1,0] op_sel_hi:[0,1,0]
	v_lshlrev_b32_e32 v50, 16, v49
	v_fma_mixlo_f16 v49, v48, v51, 0 op_sel_hi:[0,1,0]
	v_fma_mixlo_f16 v51, v48, v55, 0 op_sel:[0,1,0] op_sel_hi:[0,1,0]
	v_fma_mixlo_f16 v52, v48, v52, 0 op_sel_hi:[0,1,0]
	v_fma_mixlo_f16 v53, v48, v53, 0 op_sel_hi:[0,1,0]
	v_lshlrev_b32_e32 v1, 16, v10
	v_and_b32_e32 v10, 0xffff, v54
	v_and_b32_e32 v56, 0xffff, v49
	v_lshlrev_b32_e32 v48, 16, v51
	v_and_b32_e32 v52, 0xffff, v52
	v_lshlrev_b32_e32 v9, 16, v9
	v_and_b32_e32 v49, 0xffff, v53
	v_or_b32_e32 v51, v1, v10
	v_or_b32_e32 v55, v50, v56
	;; [unrolled: 1-line block ×4, first 2 shown]
	s_and_saveexec_b32 s21, vcc_lo
	s_cbranch_execz .LBB242_882
; %bb.881:                              ;   in Loop: Header=BB242_551 Depth=1
	v_cmp_gt_i32_e64 s0, s33, v12
	v_cndmask_b32_e64 v51, 0, v56, s0
	v_cmp_gt_i32_e64 s0, s33, v36
	v_cndmask_b32_e64 v50, 0, v50, s0
	v_cmp_gt_i32_e64 s0, s33, v34
	v_or_b32_e32 v55, v50, v51
	v_cndmask_b32_e64 v10, 0, v10, s0
	v_cmp_gt_i32_e64 s0, s33, v33
	v_cndmask_b32_e64 v1, 0, v1, s0
	v_cmp_gt_i32_e64 s0, s33, v32
	v_or_b32_e32 v51, v1, v10
	;; [unrolled: 5-line block ×3, first 2 shown]
	v_cndmask_b32_e64 v49, 0, v49, s0
	v_cmp_gt_i32_e64 s0, s33, v29
	v_cndmask_b32_e64 v9, 0, v9, s0
	v_or_b32_e32 v53, v9, v49
.LBB242_882:                            ;   in Loop: Header=BB242_551 Depth=1
	s_or_b32 exec_lo, exec_lo, s21
	;;#ASMSTART
	v_pk_mul_f16 v1, v41, v55;

	;;#ASMEND
	;;#ASMSTART
	v_pk_mul_f16 v9, v40, v51;

	;;#ASMEND
	;; [unrolled: 4-line block ×4, first 2 shown]
	;;#ASMSTART
	v_pk_add_f16 v1, v1, v9;

	;;#ASMEND
	;;#ASMSTART
	v_pk_add_f16 v1, v1, v10;

	;;#ASMEND
	;; [unrolled: 4-line block ×3, first 2 shown]
	v_and_b32_e32 v9, 0xffff, v1
	v_lshrrev_b32_e32 v1, 16, v1
	;;#ASMSTART
	v_cvt_f32_f16 v48, v9;
	;;#ASMEND
	;;#ASMSTART
	v_cvt_f32_f16 v49, v1;
	;;#ASMEND
	global_load_dwordx2 v[9:10], v[7:8], off offset:1280
	v_mov_b32_e32 v51, 0
	v_mov_b32_e32 v52, 0
	global_load_dword v50, v51, s[14:15]
	s_waitcnt vmcnt(1)
	v_cmp_ne_u16_sdwa s0, v9, v2 src0_sel:BYTE_0 src1_sel:DWORD
	s_and_saveexec_b32 s21, s0
	s_cbranch_execz .LBB242_890
; %bb.883:                              ;   in Loop: Header=BB242_551 Depth=1
	v_cmp_ne_u16_sdwa s0, v9, v23 src0_sel:BYTE_0 src1_sel:DWORD
	v_mov_b32_e32 v52, 0x8000
	s_and_saveexec_b32 s22, s0
	s_cbranch_execz .LBB242_889
; %bb.884:                              ;   in Loop: Header=BB242_551 Depth=1
	v_and_b32_e32 v53, 0x7f, v9
	v_mov_b32_e32 v52, 0x7c01
	s_mov_b32 s26, exec_lo
	v_cmpx_ne_u32_e32 0x7f, v53
	s_cbranch_execz .LBB242_888
; %bb.885:                              ;   in Loop: Header=BB242_551 Depth=1
	v_and_b32_e32 v1, 7, v9
	v_lshrrev_b32_e32 v52, 3, v53
	s_mov_b32 s27, exec_lo
	v_cmpx_gt_u32_e32 8, v53
; %bb.886:                              ;   in Loop: Header=BB242_551 Depth=1
	v_ffbh_u32_e32 v1, v1
	v_min_u32_e32 v1, 32, v1
	v_subrev_nc_u32_e32 v52, 28, v1
	v_lshlrev_b64 v[53:54], v52, v[9:10]
	v_sub_nc_u32_e32 v52, 29, v1
	v_and_b32_e32 v1, 7, v53
; %bb.887:                              ;   in Loop: Header=BB242_551 Depth=1
	s_or_b32 exec_lo, exec_lo, s27
	v_lshlrev_b32_e32 v53, 8, v9
	v_lshl_add_u32 v52, v52, 10, 0x2000
	v_lshlrev_b32_e32 v1, 7, v1
	v_and_b32_e32 v53, 0x8000, v53
	v_and_b32_e32 v52, 0xfc00, v52
	v_or3_b32 v52, v53, v52, v1
.LBB242_888:                            ;   in Loop: Header=BB242_551 Depth=1
	s_or_b32 exec_lo, exec_lo, s26
.LBB242_889:                            ;   in Loop: Header=BB242_551 Depth=1
	s_or_b32 exec_lo, exec_lo, s22
.LBB242_890:                            ;   in Loop: Header=BB242_551 Depth=1
	s_or_b32 exec_lo, exec_lo, s21
	v_lshrrev_b16 v1, 8, v9
	s_mov_b32 s21, exec_lo
	v_cmpx_ne_u16_e32 0, v1
	s_cbranch_execz .LBB242_898
; %bb.891:                              ;   in Loop: Header=BB242_551 Depth=1
	v_bfrev_b32_e32 v51, 1
	s_mov_b32 s22, exec_lo
	v_cmpx_ne_u16_e32 0x80, v1
	s_cbranch_execz .LBB242_897
; %bb.892:                              ;   in Loop: Header=BB242_551 Depth=1
	v_and_b32_sdwa v54, v1, v24 dst_sel:DWORD dst_unused:UNUSED_PAD src0_sel:WORD_0 src1_sel:DWORD
	v_mov_b32_e32 v51, 0x7c010000
	s_mov_b32 s26, exec_lo
	v_cmpx_ne_u32_e32 0x7f, v54
	s_cbranch_execz .LBB242_896
; %bb.893:                              ;   in Loop: Header=BB242_551 Depth=1
	v_and_b32_sdwa v51, v1, v25 dst_sel:DWORD dst_unused:UNUSED_PAD src0_sel:WORD_0 src1_sel:DWORD
	v_lshrrev_b32_e32 v53, 3, v54
	s_mov_b32 s27, exec_lo
	v_cmpx_gt_u32_e32 8, v54
; %bb.894:                              ;   in Loop: Header=BB242_551 Depth=1
	v_ffbh_u32_e32 v51, v51
	v_min_u32_e32 v51, 32, v51
	v_subrev_nc_u32_e32 v53, 28, v51
	v_lshlrev_b64 v[54:55], v53, v[1:2]
	v_sub_nc_u32_e32 v53, 29, v51
	v_and_b32_e32 v51, 7, v54
; %bb.895:                              ;   in Loop: Header=BB242_551 Depth=1
	s_or_b32 exec_lo, exec_lo, s27
	v_lshlrev_b32_sdwa v1, v26, v1 dst_sel:DWORD dst_unused:UNUSED_PAD src0_sel:DWORD src1_sel:WORD_0
	v_lshl_add_u32 v53, v53, 10, 0x2000
	v_lshlrev_b32_e32 v51, 23, v51
	v_and_or_b32 v1, 0x8000, v1, v53
	v_lshl_or_b32 v51, v1, 16, v51
.LBB242_896:                            ;   in Loop: Header=BB242_551 Depth=1
	s_or_b32 exec_lo, exec_lo, s26
.LBB242_897:                            ;   in Loop: Header=BB242_551 Depth=1
	s_or_b32 exec_lo, exec_lo, s22
.LBB242_898:                            ;   in Loop: Header=BB242_551 Depth=1
	s_or_b32 exec_lo, exec_lo, s21
	v_lshrrev_b32_e32 v1, 16, v9
	v_mov_b32_e32 v53, 0
	v_mov_b32_e32 v54, 0
	v_cmp_ne_u16_sdwa s0, v1, v2 src0_sel:BYTE_0 src1_sel:DWORD
	s_and_saveexec_b32 s21, s0
	s_cbranch_execz .LBB242_906
; %bb.899:                              ;   in Loop: Header=BB242_551 Depth=1
	v_cmp_ne_u16_sdwa s0, v1, v23 src0_sel:BYTE_0 src1_sel:DWORD
	v_mov_b32_e32 v54, 0x8000
	s_and_saveexec_b32 s22, s0
	s_cbranch_execz .LBB242_905
; %bb.900:                              ;   in Loop: Header=BB242_551 Depth=1
	v_bfe_u32 v56, v9, 16, 7
	v_mov_b32_e32 v54, 0x7c01
	s_mov_b32 s26, exec_lo
	v_cmpx_ne_u32_e32 0x7f, v56
	s_cbranch_execz .LBB242_904
; %bb.901:                              ;   in Loop: Header=BB242_551 Depth=1
	v_and_b32_e32 v54, 7, v1
	v_lshrrev_b32_e32 v55, 3, v56
	s_mov_b32 s27, exec_lo
	v_cmpx_gt_u32_e32 8, v56
; %bb.902:                              ;   in Loop: Header=BB242_551 Depth=1
	v_ffbh_u32_e32 v54, v54
	v_min_u32_e32 v56, 32, v54
	v_subrev_nc_u32_e32 v54, 28, v56
	v_lshlrev_b64 v[54:55], v54, v[1:2]
	v_sub_nc_u32_e32 v55, 29, v56
	v_and_b32_e32 v54, 7, v54
; %bb.903:                              ;   in Loop: Header=BB242_551 Depth=1
	s_or_b32 exec_lo, exec_lo, s27
	v_lshlrev_b32_e32 v1, 8, v1
	v_lshl_add_u32 v55, v55, 10, 0x2000
	v_lshlrev_b32_e32 v54, 7, v54
	v_and_b32_e32 v1, 0x8000, v1
	v_and_b32_e32 v55, 0xfc00, v55
	v_or3_b32 v54, v1, v55, v54
.LBB242_904:                            ;   in Loop: Header=BB242_551 Depth=1
	s_or_b32 exec_lo, exec_lo, s26
.LBB242_905:                            ;   in Loop: Header=BB242_551 Depth=1
	s_or_b32 exec_lo, exec_lo, s22
.LBB242_906:                            ;   in Loop: Header=BB242_551 Depth=1
	s_or_b32 exec_lo, exec_lo, s21
	s_mov_b32 s21, exec_lo
	v_cmpx_lt_u32_e32 0xffffff, v9
	s_cbranch_execz .LBB242_914
; %bb.907:                              ;   in Loop: Header=BB242_551 Depth=1
	v_lshrrev_b32_e32 v1, 24, v9
	v_bfrev_b32_e32 v53, 1
	s_mov_b32 s22, exec_lo
	v_cmpx_ne_u32_e32 0x80, v1
	s_cbranch_execz .LBB242_913
; %bb.908:                              ;   in Loop: Header=BB242_551 Depth=1
	v_and_b32_e32 v56, 0x7f, v1
	v_mov_b32_e32 v53, 0x7c010000
	s_mov_b32 s26, exec_lo
	v_cmpx_ne_u32_e32 0x7f, v56
	s_cbranch_execz .LBB242_912
; %bb.909:                              ;   in Loop: Header=BB242_551 Depth=1
	v_and_b32_e32 v53, 7, v1
	v_lshrrev_b32_e32 v55, 3, v56
	s_mov_b32 s27, exec_lo
	v_cmpx_gt_u32_e32 8, v56
; %bb.910:                              ;   in Loop: Header=BB242_551 Depth=1
	v_ffbh_u32_e32 v53, v53
	v_min_u32_e32 v53, 32, v53
	v_subrev_nc_u32_e32 v55, 28, v53
	v_lshlrev_b64 v[56:57], v55, v[1:2]
	v_sub_nc_u32_e32 v55, 29, v53
	v_and_b32_e32 v53, 7, v56
; %bb.911:                              ;   in Loop: Header=BB242_551 Depth=1
	s_or_b32 exec_lo, exec_lo, s27
	v_lshlrev_b32_e32 v1, 8, v1
	v_lshl_add_u32 v55, v55, 10, 0x2000
	v_lshlrev_b32_e32 v53, 23, v53
	v_and_or_b32 v1, 0x8000, v1, v55
	v_lshl_or_b32 v53, v1, 16, v53
.LBB242_912:                            ;   in Loop: Header=BB242_551 Depth=1
	s_or_b32 exec_lo, exec_lo, s26
.LBB242_913:                            ;   in Loop: Header=BB242_551 Depth=1
	s_or_b32 exec_lo, exec_lo, s22
.LBB242_914:                            ;   in Loop: Header=BB242_551 Depth=1
	s_or_b32 exec_lo, exec_lo, s21
	v_mov_b32_e32 v1, v10
	v_cmp_ne_u16_sdwa s0, v10, v2 src0_sel:BYTE_0 src1_sel:DWORD
	v_mov_b32_e32 v55, 0
	v_mov_b32_e32 v56, 0
	s_and_saveexec_b32 s21, s0
	s_cbranch_execz .LBB242_922
; %bb.915:                              ;   in Loop: Header=BB242_551 Depth=1
	v_cmp_ne_u16_sdwa s0, v10, v23 src0_sel:BYTE_0 src1_sel:DWORD
	v_mov_b32_e32 v56, 0x8000
	s_and_saveexec_b32 s22, s0
	s_cbranch_execz .LBB242_921
; %bb.916:                              ;   in Loop: Header=BB242_551 Depth=1
	v_and_b32_e32 v58, 0x7f, v10
	v_mov_b32_e32 v56, 0x7c01
	s_mov_b32 s26, exec_lo
	v_cmpx_ne_u32_e32 0x7f, v58
	s_cbranch_execz .LBB242_920
; %bb.917:                              ;   in Loop: Header=BB242_551 Depth=1
	v_and_b32_e32 v56, 7, v10
	v_lshrrev_b32_e32 v57, 3, v58
	s_mov_b32 s27, exec_lo
	v_cmpx_gt_u32_e32 8, v58
; %bb.918:                              ;   in Loop: Header=BB242_551 Depth=1
	v_ffbh_u32_e32 v56, v56
	v_min_u32_e32 v58, 32, v56
	v_subrev_nc_u32_e32 v56, 28, v58
	v_lshlrev_b64 v[56:57], v56, v[1:2]
	v_sub_nc_u32_e32 v57, 29, v58
	v_and_b32_e32 v56, 7, v56
; %bb.919:                              ;   in Loop: Header=BB242_551 Depth=1
	s_or_b32 exec_lo, exec_lo, s27
	v_lshlrev_b32_e32 v58, 8, v10
	v_lshl_add_u32 v57, v57, 10, 0x2000
	v_lshlrev_b32_e32 v56, 7, v56
	v_and_b32_e32 v58, 0x8000, v58
	v_and_b32_e32 v57, 0xfc00, v57
	v_or3_b32 v56, v58, v57, v56
.LBB242_920:                            ;   in Loop: Header=BB242_551 Depth=1
	s_or_b32 exec_lo, exec_lo, s26
.LBB242_921:                            ;   in Loop: Header=BB242_551 Depth=1
	s_or_b32 exec_lo, exec_lo, s22
.LBB242_922:                            ;   in Loop: Header=BB242_551 Depth=1
	s_or_b32 exec_lo, exec_lo, s21
	v_lshrrev_b16 v1, 8, v1
	v_mov_b32_e32 v57, 0
	s_mov_b32 s21, exec_lo
	v_cmpx_ne_u16_e32 0, v1
	s_cbranch_execz .LBB242_930
; %bb.923:                              ;   in Loop: Header=BB242_551 Depth=1
	v_bfrev_b32_e32 v57, 1
	s_mov_b32 s22, exec_lo
	v_cmpx_ne_u16_e32 0x80, v1
	s_cbranch_execz .LBB242_929
; %bb.924:                              ;   in Loop: Header=BB242_551 Depth=1
	v_and_b32_sdwa v59, v1, v24 dst_sel:DWORD dst_unused:UNUSED_PAD src0_sel:WORD_0 src1_sel:DWORD
	v_mov_b32_e32 v57, 0x7c010000
	s_mov_b32 s26, exec_lo
	v_cmpx_ne_u32_e32 0x7f, v59
	s_cbranch_execz .LBB242_928
; %bb.925:                              ;   in Loop: Header=BB242_551 Depth=1
	v_and_b32_sdwa v57, v1, v25 dst_sel:DWORD dst_unused:UNUSED_PAD src0_sel:WORD_0 src1_sel:DWORD
	v_lshrrev_b32_e32 v58, 3, v59
	s_mov_b32 s27, exec_lo
	v_cmpx_gt_u32_e32 8, v59
; %bb.926:                              ;   in Loop: Header=BB242_551 Depth=1
	v_ffbh_u32_e32 v57, v57
	v_min_u32_e32 v59, 32, v57
	v_subrev_nc_u32_e32 v57, 28, v59
	v_lshlrev_b64 v[57:58], v57, v[1:2]
	v_sub_nc_u32_e32 v58, 29, v59
	v_and_b32_e32 v57, 7, v57
; %bb.927:                              ;   in Loop: Header=BB242_551 Depth=1
	s_or_b32 exec_lo, exec_lo, s27
	v_lshlrev_b32_sdwa v1, v26, v1 dst_sel:DWORD dst_unused:UNUSED_PAD src0_sel:DWORD src1_sel:WORD_0
	v_lshl_add_u32 v58, v58, 10, 0x2000
	v_lshlrev_b32_e32 v57, 23, v57
	v_and_or_b32 v1, 0x8000, v1, v58
	v_lshl_or_b32 v57, v1, 16, v57
.LBB242_928:                            ;   in Loop: Header=BB242_551 Depth=1
	s_or_b32 exec_lo, exec_lo, s26
.LBB242_929:                            ;   in Loop: Header=BB242_551 Depth=1
	s_or_b32 exec_lo, exec_lo, s22
.LBB242_930:                            ;   in Loop: Header=BB242_551 Depth=1
	s_or_b32 exec_lo, exec_lo, s21
	v_lshrrev_b32_e32 v1, 16, v10
	v_cmp_ne_u16_sdwa s0, v1, v2 src0_sel:BYTE_0 src1_sel:DWORD
	s_and_saveexec_b32 s21, s0
	s_cbranch_execz .LBB242_938
; %bb.931:                              ;   in Loop: Header=BB242_551 Depth=1
	v_cmp_ne_u16_sdwa s0, v1, v23 src0_sel:BYTE_0 src1_sel:DWORD
	v_mov_b32_e32 v55, 0x8000
	s_and_saveexec_b32 s22, s0
	s_cbranch_execz .LBB242_937
; %bb.932:                              ;   in Loop: Header=BB242_551 Depth=1
	v_bfe_u32 v59, v10, 16, 7
	v_mov_b32_e32 v55, 0x7c01
	s_mov_b32 s26, exec_lo
	v_cmpx_ne_u32_e32 0x7f, v59
	s_cbranch_execz .LBB242_936
; %bb.933:                              ;   in Loop: Header=BB242_551 Depth=1
	v_and_b32_e32 v55, 7, v1
	v_lshrrev_b32_e32 v58, 3, v59
	s_mov_b32 s27, exec_lo
	v_cmpx_gt_u32_e32 8, v59
; %bb.934:                              ;   in Loop: Header=BB242_551 Depth=1
	v_ffbh_u32_e32 v55, v55
	v_min_u32_e32 v55, 32, v55
	v_subrev_nc_u32_e32 v58, 28, v55
	v_lshlrev_b64 v[59:60], v58, v[1:2]
	v_sub_nc_u32_e32 v58, 29, v55
	v_and_b32_e32 v55, 7, v59
; %bb.935:                              ;   in Loop: Header=BB242_551 Depth=1
	s_or_b32 exec_lo, exec_lo, s27
	v_lshlrev_b32_e32 v1, 8, v1
	v_lshl_add_u32 v58, v58, 10, 0x2000
	v_lshlrev_b32_e32 v55, 7, v55
	v_and_b32_e32 v1, 0x8000, v1
	v_and_b32_e32 v58, 0xfc00, v58
	v_or3_b32 v55, v1, v58, v55
.LBB242_936:                            ;   in Loop: Header=BB242_551 Depth=1
	s_or_b32 exec_lo, exec_lo, s26
.LBB242_937:                            ;   in Loop: Header=BB242_551 Depth=1
	s_or_b32 exec_lo, exec_lo, s22
.LBB242_938:                            ;   in Loop: Header=BB242_551 Depth=1
	s_or_b32 exec_lo, exec_lo, s21
	v_cmp_lt_u64_e64 s0, s[2:3], v[9:10]
	v_mov_b32_e32 v9, 0
	s_and_saveexec_b32 s21, s0
	s_cbranch_execz .LBB242_946
; %bb.939:                              ;   in Loop: Header=BB242_551 Depth=1
	v_lshrrev_b32_e32 v1, 24, v10
	v_bfrev_b32_e32 v9, 1
	s_mov_b32 s22, exec_lo
	v_cmpx_ne_u32_e32 0x80, v1
	s_cbranch_execz .LBB242_945
; %bb.940:                              ;   in Loop: Header=BB242_551 Depth=1
	v_and_b32_e32 v58, 0x7f, v1
	v_mov_b32_e32 v9, 0x7c010000
	s_mov_b32 s26, exec_lo
	v_cmpx_ne_u32_e32 0x7f, v58
	s_cbranch_execz .LBB242_944
; %bb.941:                              ;   in Loop: Header=BB242_551 Depth=1
	v_and_b32_e32 v9, 7, v1
	v_lshrrev_b32_e32 v10, 3, v58
	s_mov_b32 s27, exec_lo
	v_cmpx_gt_u32_e32 8, v58
; %bb.942:                              ;   in Loop: Header=BB242_551 Depth=1
	v_ffbh_u32_e32 v9, v9
	v_min_u32_e32 v58, 32, v9
	v_subrev_nc_u32_e32 v9, 28, v58
	v_lshlrev_b64 v[9:10], v9, v[1:2]
	v_sub_nc_u32_e32 v10, 29, v58
	v_and_b32_e32 v9, 7, v9
; %bb.943:                              ;   in Loop: Header=BB242_551 Depth=1
	s_or_b32 exec_lo, exec_lo, s27
	v_lshlrev_b32_e32 v1, 8, v1
	v_lshl_add_u32 v10, v10, 10, 0x2000
	v_lshlrev_b32_e32 v9, 23, v9
	v_and_or_b32 v1, 0x8000, v1, v10
	v_lshl_or_b32 v9, v1, 16, v9
.LBB242_944:                            ;   in Loop: Header=BB242_551 Depth=1
	s_or_b32 exec_lo, exec_lo, s26
.LBB242_945:                            ;   in Loop: Header=BB242_551 Depth=1
	s_or_b32 exec_lo, exec_lo, s22
.LBB242_946:                            ;   in Loop: Header=BB242_551 Depth=1
	s_or_b32 exec_lo, exec_lo, s21
	v_or_b32_e32 v1, v53, v54
	s_waitcnt vmcnt(0)
	v_fma_mixlo_f16 v10, v50, v53, 0 op_sel:[0,1,0] op_sel_hi:[0,1,0]
	v_or_b32_e32 v53, v51, v52
	v_fma_mixlo_f16 v51, v50, v51, 0 op_sel:[0,1,0] op_sel_hi:[0,1,0]
	v_or_b32_e32 v54, v57, v56
	v_or_b32_e32 v55, v9, v55
	v_fma_mixlo_f16 v56, v50, v1, 0 op_sel_hi:[0,1,0]
	v_fma_mixlo_f16 v9, v50, v9, 0 op_sel:[0,1,0] op_sel_hi:[0,1,0]
	v_lshlrev_b32_e32 v52, 16, v51
	v_fma_mixlo_f16 v51, v50, v53, 0 op_sel_hi:[0,1,0]
	v_fma_mixlo_f16 v53, v50, v57, 0 op_sel:[0,1,0] op_sel_hi:[0,1,0]
	v_fma_mixlo_f16 v54, v50, v54, 0 op_sel_hi:[0,1,0]
	v_fma_mixlo_f16 v55, v50, v55, 0 op_sel_hi:[0,1,0]
	v_lshlrev_b32_e32 v1, 16, v10
	v_and_b32_e32 v10, 0xffff, v56
	v_and_b32_e32 v58, 0xffff, v51
	v_lshlrev_b32_e32 v50, 16, v53
	v_and_b32_e32 v54, 0xffff, v54
	v_lshlrev_b32_e32 v9, 16, v9
	v_and_b32_e32 v51, 0xffff, v55
	v_or_b32_e32 v53, v1, v10
	v_or_b32_e32 v57, v52, v58
	;; [unrolled: 1-line block ×4, first 2 shown]
	s_and_saveexec_b32 s21, vcc_lo
	s_cbranch_execz .LBB242_948
; %bb.947:                              ;   in Loop: Header=BB242_551 Depth=1
	v_cmp_gt_i32_e64 s0, s33, v12
	v_cndmask_b32_e64 v53, 0, v58, s0
	v_cmp_gt_i32_e64 s0, s33, v36
	v_cndmask_b32_e64 v52, 0, v52, s0
	v_cmp_gt_i32_e64 s0, s33, v34
	v_or_b32_e32 v57, v52, v53
	v_cndmask_b32_e64 v10, 0, v10, s0
	v_cmp_gt_i32_e64 s0, s33, v33
	v_cndmask_b32_e64 v1, 0, v1, s0
	v_cmp_gt_i32_e64 s0, s33, v32
	v_or_b32_e32 v53, v1, v10
	;; [unrolled: 5-line block ×3, first 2 shown]
	v_cndmask_b32_e64 v51, 0, v51, s0
	v_cmp_gt_i32_e64 s0, s33, v29
	v_cndmask_b32_e64 v9, 0, v9, s0
	v_or_b32_e32 v55, v9, v51
.LBB242_948:                            ;   in Loop: Header=BB242_551 Depth=1
	s_or_b32 exec_lo, exec_lo, s21
	;;#ASMSTART
	v_pk_mul_f16 v1, v41, v57;

	;;#ASMEND
	;;#ASMSTART
	v_pk_mul_f16 v9, v40, v53;

	;;#ASMEND
	;; [unrolled: 4-line block ×4, first 2 shown]
	;;#ASMSTART
	v_pk_add_f16 v1, v1, v9;

	;;#ASMEND
	;;#ASMSTART
	v_pk_add_f16 v1, v1, v10;

	;;#ASMEND
	;; [unrolled: 4-line block ×3, first 2 shown]
	v_and_b32_e32 v9, 0xffff, v1
	v_lshrrev_b32_e32 v1, 16, v1
	;;#ASMSTART
	v_cvt_f32_f16 v50, v9;
	;;#ASMEND
	;;#ASMSTART
	v_cvt_f32_f16 v51, v1;
	;;#ASMEND
	global_load_dwordx2 v[9:10], v[7:8], off offset:1536
	v_mov_b32_e32 v53, 0
	v_mov_b32_e32 v54, 0
	global_load_dword v52, v53, s[14:15]
	s_waitcnt vmcnt(1)
	v_cmp_ne_u16_sdwa s0, v9, v2 src0_sel:BYTE_0 src1_sel:DWORD
	s_and_saveexec_b32 s21, s0
	s_cbranch_execz .LBB242_956
; %bb.949:                              ;   in Loop: Header=BB242_551 Depth=1
	v_cmp_ne_u16_sdwa s0, v9, v23 src0_sel:BYTE_0 src1_sel:DWORD
	v_mov_b32_e32 v54, 0x8000
	s_and_saveexec_b32 s22, s0
	s_cbranch_execz .LBB242_955
; %bb.950:                              ;   in Loop: Header=BB242_551 Depth=1
	v_and_b32_e32 v55, 0x7f, v9
	v_mov_b32_e32 v54, 0x7c01
	s_mov_b32 s26, exec_lo
	v_cmpx_ne_u32_e32 0x7f, v55
	s_cbranch_execz .LBB242_954
; %bb.951:                              ;   in Loop: Header=BB242_551 Depth=1
	v_and_b32_e32 v1, 7, v9
	v_lshrrev_b32_e32 v54, 3, v55
	s_mov_b32 s27, exec_lo
	v_cmpx_gt_u32_e32 8, v55
; %bb.952:                              ;   in Loop: Header=BB242_551 Depth=1
	v_ffbh_u32_e32 v1, v1
	v_min_u32_e32 v1, 32, v1
	v_subrev_nc_u32_e32 v54, 28, v1
	v_lshlrev_b64 v[55:56], v54, v[9:10]
	v_sub_nc_u32_e32 v54, 29, v1
	v_and_b32_e32 v1, 7, v55
; %bb.953:                              ;   in Loop: Header=BB242_551 Depth=1
	s_or_b32 exec_lo, exec_lo, s27
	v_lshlrev_b32_e32 v55, 8, v9
	v_lshl_add_u32 v54, v54, 10, 0x2000
	v_lshlrev_b32_e32 v1, 7, v1
	v_and_b32_e32 v55, 0x8000, v55
	v_and_b32_e32 v54, 0xfc00, v54
	v_or3_b32 v54, v55, v54, v1
.LBB242_954:                            ;   in Loop: Header=BB242_551 Depth=1
	s_or_b32 exec_lo, exec_lo, s26
.LBB242_955:                            ;   in Loop: Header=BB242_551 Depth=1
	s_or_b32 exec_lo, exec_lo, s22
.LBB242_956:                            ;   in Loop: Header=BB242_551 Depth=1
	s_or_b32 exec_lo, exec_lo, s21
	v_lshrrev_b16 v1, 8, v9
	s_mov_b32 s21, exec_lo
	v_cmpx_ne_u16_e32 0, v1
	s_cbranch_execz .LBB242_964
; %bb.957:                              ;   in Loop: Header=BB242_551 Depth=1
	v_bfrev_b32_e32 v53, 1
	s_mov_b32 s22, exec_lo
	v_cmpx_ne_u16_e32 0x80, v1
	s_cbranch_execz .LBB242_963
; %bb.958:                              ;   in Loop: Header=BB242_551 Depth=1
	v_and_b32_sdwa v56, v1, v24 dst_sel:DWORD dst_unused:UNUSED_PAD src0_sel:WORD_0 src1_sel:DWORD
	v_mov_b32_e32 v53, 0x7c010000
	s_mov_b32 s26, exec_lo
	v_cmpx_ne_u32_e32 0x7f, v56
	s_cbranch_execz .LBB242_962
; %bb.959:                              ;   in Loop: Header=BB242_551 Depth=1
	v_and_b32_sdwa v53, v1, v25 dst_sel:DWORD dst_unused:UNUSED_PAD src0_sel:WORD_0 src1_sel:DWORD
	v_lshrrev_b32_e32 v55, 3, v56
	s_mov_b32 s27, exec_lo
	v_cmpx_gt_u32_e32 8, v56
; %bb.960:                              ;   in Loop: Header=BB242_551 Depth=1
	v_ffbh_u32_e32 v53, v53
	v_min_u32_e32 v53, 32, v53
	v_subrev_nc_u32_e32 v55, 28, v53
	v_lshlrev_b64 v[56:57], v55, v[1:2]
	v_sub_nc_u32_e32 v55, 29, v53
	v_and_b32_e32 v53, 7, v56
; %bb.961:                              ;   in Loop: Header=BB242_551 Depth=1
	s_or_b32 exec_lo, exec_lo, s27
	v_lshlrev_b32_sdwa v1, v26, v1 dst_sel:DWORD dst_unused:UNUSED_PAD src0_sel:DWORD src1_sel:WORD_0
	v_lshl_add_u32 v55, v55, 10, 0x2000
	v_lshlrev_b32_e32 v53, 23, v53
	v_and_or_b32 v1, 0x8000, v1, v55
	v_lshl_or_b32 v53, v1, 16, v53
.LBB242_962:                            ;   in Loop: Header=BB242_551 Depth=1
	s_or_b32 exec_lo, exec_lo, s26
.LBB242_963:                            ;   in Loop: Header=BB242_551 Depth=1
	s_or_b32 exec_lo, exec_lo, s22
.LBB242_964:                            ;   in Loop: Header=BB242_551 Depth=1
	s_or_b32 exec_lo, exec_lo, s21
	v_lshrrev_b32_e32 v1, 16, v9
	v_mov_b32_e32 v55, 0
	v_mov_b32_e32 v56, 0
	v_cmp_ne_u16_sdwa s0, v1, v2 src0_sel:BYTE_0 src1_sel:DWORD
	s_and_saveexec_b32 s21, s0
	s_cbranch_execz .LBB242_972
; %bb.965:                              ;   in Loop: Header=BB242_551 Depth=1
	v_cmp_ne_u16_sdwa s0, v1, v23 src0_sel:BYTE_0 src1_sel:DWORD
	v_mov_b32_e32 v56, 0x8000
	s_and_saveexec_b32 s22, s0
	s_cbranch_execz .LBB242_971
; %bb.966:                              ;   in Loop: Header=BB242_551 Depth=1
	v_bfe_u32 v58, v9, 16, 7
	v_mov_b32_e32 v56, 0x7c01
	s_mov_b32 s26, exec_lo
	v_cmpx_ne_u32_e32 0x7f, v58
	s_cbranch_execz .LBB242_970
; %bb.967:                              ;   in Loop: Header=BB242_551 Depth=1
	v_and_b32_e32 v56, 7, v1
	v_lshrrev_b32_e32 v57, 3, v58
	s_mov_b32 s27, exec_lo
	v_cmpx_gt_u32_e32 8, v58
; %bb.968:                              ;   in Loop: Header=BB242_551 Depth=1
	v_ffbh_u32_e32 v56, v56
	v_min_u32_e32 v58, 32, v56
	v_subrev_nc_u32_e32 v56, 28, v58
	v_lshlrev_b64 v[56:57], v56, v[1:2]
	v_sub_nc_u32_e32 v57, 29, v58
	v_and_b32_e32 v56, 7, v56
; %bb.969:                              ;   in Loop: Header=BB242_551 Depth=1
	s_or_b32 exec_lo, exec_lo, s27
	v_lshlrev_b32_e32 v1, 8, v1
	v_lshl_add_u32 v57, v57, 10, 0x2000
	v_lshlrev_b32_e32 v56, 7, v56
	v_and_b32_e32 v1, 0x8000, v1
	v_and_b32_e32 v57, 0xfc00, v57
	v_or3_b32 v56, v1, v57, v56
.LBB242_970:                            ;   in Loop: Header=BB242_551 Depth=1
	s_or_b32 exec_lo, exec_lo, s26
.LBB242_971:                            ;   in Loop: Header=BB242_551 Depth=1
	s_or_b32 exec_lo, exec_lo, s22
.LBB242_972:                            ;   in Loop: Header=BB242_551 Depth=1
	s_or_b32 exec_lo, exec_lo, s21
	s_mov_b32 s21, exec_lo
	v_cmpx_lt_u32_e32 0xffffff, v9
	s_cbranch_execz .LBB242_980
; %bb.973:                              ;   in Loop: Header=BB242_551 Depth=1
	v_lshrrev_b32_e32 v1, 24, v9
	v_bfrev_b32_e32 v55, 1
	s_mov_b32 s22, exec_lo
	v_cmpx_ne_u32_e32 0x80, v1
	s_cbranch_execz .LBB242_979
; %bb.974:                              ;   in Loop: Header=BB242_551 Depth=1
	v_and_b32_e32 v58, 0x7f, v1
	v_mov_b32_e32 v55, 0x7c010000
	s_mov_b32 s26, exec_lo
	v_cmpx_ne_u32_e32 0x7f, v58
	s_cbranch_execz .LBB242_978
; %bb.975:                              ;   in Loop: Header=BB242_551 Depth=1
	v_and_b32_e32 v55, 7, v1
	v_lshrrev_b32_e32 v57, 3, v58
	s_mov_b32 s27, exec_lo
	v_cmpx_gt_u32_e32 8, v58
; %bb.976:                              ;   in Loop: Header=BB242_551 Depth=1
	v_ffbh_u32_e32 v55, v55
	v_min_u32_e32 v55, 32, v55
	v_subrev_nc_u32_e32 v57, 28, v55
	v_lshlrev_b64 v[58:59], v57, v[1:2]
	v_sub_nc_u32_e32 v57, 29, v55
	v_and_b32_e32 v55, 7, v58
; %bb.977:                              ;   in Loop: Header=BB242_551 Depth=1
	s_or_b32 exec_lo, exec_lo, s27
	v_lshlrev_b32_e32 v1, 8, v1
	v_lshl_add_u32 v57, v57, 10, 0x2000
	v_lshlrev_b32_e32 v55, 23, v55
	v_and_or_b32 v1, 0x8000, v1, v57
	v_lshl_or_b32 v55, v1, 16, v55
.LBB242_978:                            ;   in Loop: Header=BB242_551 Depth=1
	s_or_b32 exec_lo, exec_lo, s26
.LBB242_979:                            ;   in Loop: Header=BB242_551 Depth=1
	s_or_b32 exec_lo, exec_lo, s22
.LBB242_980:                            ;   in Loop: Header=BB242_551 Depth=1
	s_or_b32 exec_lo, exec_lo, s21
	v_mov_b32_e32 v1, v10
	v_cmp_ne_u16_sdwa s0, v10, v2 src0_sel:BYTE_0 src1_sel:DWORD
	v_mov_b32_e32 v57, 0
	v_mov_b32_e32 v58, 0
	s_and_saveexec_b32 s21, s0
	s_cbranch_execz .LBB242_988
; %bb.981:                              ;   in Loop: Header=BB242_551 Depth=1
	v_cmp_ne_u16_sdwa s0, v10, v23 src0_sel:BYTE_0 src1_sel:DWORD
	v_mov_b32_e32 v58, 0x8000
	s_and_saveexec_b32 s22, s0
	s_cbranch_execz .LBB242_987
; %bb.982:                              ;   in Loop: Header=BB242_551 Depth=1
	v_and_b32_e32 v60, 0x7f, v10
	v_mov_b32_e32 v58, 0x7c01
	s_mov_b32 s26, exec_lo
	v_cmpx_ne_u32_e32 0x7f, v60
	s_cbranch_execz .LBB242_986
; %bb.983:                              ;   in Loop: Header=BB242_551 Depth=1
	v_and_b32_e32 v58, 7, v10
	v_lshrrev_b32_e32 v59, 3, v60
	s_mov_b32 s27, exec_lo
	v_cmpx_gt_u32_e32 8, v60
; %bb.984:                              ;   in Loop: Header=BB242_551 Depth=1
	v_ffbh_u32_e32 v58, v58
	v_min_u32_e32 v60, 32, v58
	v_subrev_nc_u32_e32 v58, 28, v60
	v_lshlrev_b64 v[58:59], v58, v[1:2]
	v_sub_nc_u32_e32 v59, 29, v60
	v_and_b32_e32 v58, 7, v58
; %bb.985:                              ;   in Loop: Header=BB242_551 Depth=1
	s_or_b32 exec_lo, exec_lo, s27
	v_lshlrev_b32_e32 v60, 8, v10
	v_lshl_add_u32 v59, v59, 10, 0x2000
	v_lshlrev_b32_e32 v58, 7, v58
	v_and_b32_e32 v60, 0x8000, v60
	v_and_b32_e32 v59, 0xfc00, v59
	v_or3_b32 v58, v60, v59, v58
.LBB242_986:                            ;   in Loop: Header=BB242_551 Depth=1
	s_or_b32 exec_lo, exec_lo, s26
.LBB242_987:                            ;   in Loop: Header=BB242_551 Depth=1
	s_or_b32 exec_lo, exec_lo, s22
.LBB242_988:                            ;   in Loop: Header=BB242_551 Depth=1
	s_or_b32 exec_lo, exec_lo, s21
	v_lshrrev_b16 v1, 8, v1
	v_mov_b32_e32 v59, 0
	s_mov_b32 s21, exec_lo
	v_cmpx_ne_u16_e32 0, v1
	s_cbranch_execz .LBB242_996
; %bb.989:                              ;   in Loop: Header=BB242_551 Depth=1
	v_bfrev_b32_e32 v59, 1
	s_mov_b32 s22, exec_lo
	v_cmpx_ne_u16_e32 0x80, v1
	s_cbranch_execz .LBB242_995
; %bb.990:                              ;   in Loop: Header=BB242_551 Depth=1
	v_and_b32_sdwa v61, v1, v24 dst_sel:DWORD dst_unused:UNUSED_PAD src0_sel:WORD_0 src1_sel:DWORD
	v_mov_b32_e32 v59, 0x7c010000
	s_mov_b32 s26, exec_lo
	v_cmpx_ne_u32_e32 0x7f, v61
	s_cbranch_execz .LBB242_994
; %bb.991:                              ;   in Loop: Header=BB242_551 Depth=1
	v_and_b32_sdwa v59, v1, v25 dst_sel:DWORD dst_unused:UNUSED_PAD src0_sel:WORD_0 src1_sel:DWORD
	v_lshrrev_b32_e32 v60, 3, v61
	s_mov_b32 s27, exec_lo
	v_cmpx_gt_u32_e32 8, v61
; %bb.992:                              ;   in Loop: Header=BB242_551 Depth=1
	v_ffbh_u32_e32 v59, v59
	v_min_u32_e32 v61, 32, v59
	v_subrev_nc_u32_e32 v59, 28, v61
	v_lshlrev_b64 v[59:60], v59, v[1:2]
	v_sub_nc_u32_e32 v60, 29, v61
	v_and_b32_e32 v59, 7, v59
; %bb.993:                              ;   in Loop: Header=BB242_551 Depth=1
	s_or_b32 exec_lo, exec_lo, s27
	v_lshlrev_b32_sdwa v1, v26, v1 dst_sel:DWORD dst_unused:UNUSED_PAD src0_sel:DWORD src1_sel:WORD_0
	v_lshl_add_u32 v60, v60, 10, 0x2000
	v_lshlrev_b32_e32 v59, 23, v59
	v_and_or_b32 v1, 0x8000, v1, v60
	v_lshl_or_b32 v59, v1, 16, v59
.LBB242_994:                            ;   in Loop: Header=BB242_551 Depth=1
	s_or_b32 exec_lo, exec_lo, s26
.LBB242_995:                            ;   in Loop: Header=BB242_551 Depth=1
	s_or_b32 exec_lo, exec_lo, s22
.LBB242_996:                            ;   in Loop: Header=BB242_551 Depth=1
	s_or_b32 exec_lo, exec_lo, s21
	v_lshrrev_b32_e32 v1, 16, v10
	v_cmp_ne_u16_sdwa s0, v1, v2 src0_sel:BYTE_0 src1_sel:DWORD
	s_and_saveexec_b32 s21, s0
	s_cbranch_execz .LBB242_1004
; %bb.997:                              ;   in Loop: Header=BB242_551 Depth=1
	v_cmp_ne_u16_sdwa s0, v1, v23 src0_sel:BYTE_0 src1_sel:DWORD
	v_mov_b32_e32 v57, 0x8000
	s_and_saveexec_b32 s22, s0
	s_cbranch_execz .LBB242_1003
; %bb.998:                              ;   in Loop: Header=BB242_551 Depth=1
	v_bfe_u32 v61, v10, 16, 7
	v_mov_b32_e32 v57, 0x7c01
	s_mov_b32 s26, exec_lo
	v_cmpx_ne_u32_e32 0x7f, v61
	s_cbranch_execz .LBB242_1002
; %bb.999:                              ;   in Loop: Header=BB242_551 Depth=1
	v_and_b32_e32 v57, 7, v1
	v_lshrrev_b32_e32 v60, 3, v61
	s_mov_b32 s27, exec_lo
	v_cmpx_gt_u32_e32 8, v61
; %bb.1000:                             ;   in Loop: Header=BB242_551 Depth=1
	v_ffbh_u32_e32 v57, v57
	v_min_u32_e32 v57, 32, v57
	v_subrev_nc_u32_e32 v60, 28, v57
	v_lshlrev_b64 v[61:62], v60, v[1:2]
	v_sub_nc_u32_e32 v60, 29, v57
	v_and_b32_e32 v57, 7, v61
; %bb.1001:                             ;   in Loop: Header=BB242_551 Depth=1
	s_or_b32 exec_lo, exec_lo, s27
	v_lshlrev_b32_e32 v1, 8, v1
	v_lshl_add_u32 v60, v60, 10, 0x2000
	v_lshlrev_b32_e32 v57, 7, v57
	v_and_b32_e32 v1, 0x8000, v1
	v_and_b32_e32 v60, 0xfc00, v60
	v_or3_b32 v57, v1, v60, v57
.LBB242_1002:                           ;   in Loop: Header=BB242_551 Depth=1
	s_or_b32 exec_lo, exec_lo, s26
.LBB242_1003:                           ;   in Loop: Header=BB242_551 Depth=1
	s_or_b32 exec_lo, exec_lo, s22
.LBB242_1004:                           ;   in Loop: Header=BB242_551 Depth=1
	s_or_b32 exec_lo, exec_lo, s21
	v_cmp_lt_u64_e64 s0, s[2:3], v[9:10]
	v_mov_b32_e32 v9, 0
	s_and_saveexec_b32 s21, s0
	s_cbranch_execz .LBB242_1012
; %bb.1005:                             ;   in Loop: Header=BB242_551 Depth=1
	v_lshrrev_b32_e32 v1, 24, v10
	v_bfrev_b32_e32 v9, 1
	s_mov_b32 s22, exec_lo
	v_cmpx_ne_u32_e32 0x80, v1
	s_cbranch_execz .LBB242_1011
; %bb.1006:                             ;   in Loop: Header=BB242_551 Depth=1
	v_and_b32_e32 v60, 0x7f, v1
	v_mov_b32_e32 v9, 0x7c010000
	s_mov_b32 s26, exec_lo
	v_cmpx_ne_u32_e32 0x7f, v60
	s_cbranch_execz .LBB242_1010
; %bb.1007:                             ;   in Loop: Header=BB242_551 Depth=1
	v_and_b32_e32 v9, 7, v1
	v_lshrrev_b32_e32 v10, 3, v60
	s_mov_b32 s27, exec_lo
	v_cmpx_gt_u32_e32 8, v60
; %bb.1008:                             ;   in Loop: Header=BB242_551 Depth=1
	v_ffbh_u32_e32 v9, v9
	v_min_u32_e32 v60, 32, v9
	v_subrev_nc_u32_e32 v9, 28, v60
	v_lshlrev_b64 v[9:10], v9, v[1:2]
	v_sub_nc_u32_e32 v10, 29, v60
	v_and_b32_e32 v9, 7, v9
; %bb.1009:                             ;   in Loop: Header=BB242_551 Depth=1
	s_or_b32 exec_lo, exec_lo, s27
	v_lshlrev_b32_e32 v1, 8, v1
	v_lshl_add_u32 v10, v10, 10, 0x2000
	v_lshlrev_b32_e32 v9, 23, v9
	v_and_or_b32 v1, 0x8000, v1, v10
	v_lshl_or_b32 v9, v1, 16, v9
.LBB242_1010:                           ;   in Loop: Header=BB242_551 Depth=1
	s_or_b32 exec_lo, exec_lo, s26
.LBB242_1011:                           ;   in Loop: Header=BB242_551 Depth=1
	s_or_b32 exec_lo, exec_lo, s22
.LBB242_1012:                           ;   in Loop: Header=BB242_551 Depth=1
	s_or_b32 exec_lo, exec_lo, s21
	v_or_b32_e32 v1, v55, v56
	s_waitcnt vmcnt(0)
	v_fma_mixlo_f16 v10, v52, v55, 0 op_sel:[0,1,0] op_sel_hi:[0,1,0]
	v_or_b32_e32 v55, v53, v54
	v_fma_mixlo_f16 v53, v52, v53, 0 op_sel:[0,1,0] op_sel_hi:[0,1,0]
	v_or_b32_e32 v56, v59, v58
	v_or_b32_e32 v57, v9, v57
	v_fma_mixlo_f16 v58, v52, v1, 0 op_sel_hi:[0,1,0]
	v_fma_mixlo_f16 v9, v52, v9, 0 op_sel:[0,1,0] op_sel_hi:[0,1,0]
	v_lshlrev_b32_e32 v54, 16, v53
	v_fma_mixlo_f16 v53, v52, v55, 0 op_sel_hi:[0,1,0]
	v_fma_mixlo_f16 v55, v52, v59, 0 op_sel:[0,1,0] op_sel_hi:[0,1,0]
	v_fma_mixlo_f16 v56, v52, v56, 0 op_sel_hi:[0,1,0]
	v_fma_mixlo_f16 v57, v52, v57, 0 op_sel_hi:[0,1,0]
	v_lshlrev_b32_e32 v1, 16, v10
	v_and_b32_e32 v10, 0xffff, v58
	v_and_b32_e32 v60, 0xffff, v53
	v_lshlrev_b32_e32 v52, 16, v55
	v_and_b32_e32 v56, 0xffff, v56
	v_lshlrev_b32_e32 v9, 16, v9
	v_and_b32_e32 v53, 0xffff, v57
	v_or_b32_e32 v55, v1, v10
	v_or_b32_e32 v59, v54, v60
	;; [unrolled: 1-line block ×4, first 2 shown]
	s_and_saveexec_b32 s21, vcc_lo
	s_cbranch_execz .LBB242_1014
; %bb.1013:                             ;   in Loop: Header=BB242_551 Depth=1
	v_cmp_gt_i32_e64 s0, s33, v12
	v_cndmask_b32_e64 v55, 0, v60, s0
	v_cmp_gt_i32_e64 s0, s33, v36
	v_cndmask_b32_e64 v54, 0, v54, s0
	v_cmp_gt_i32_e64 s0, s33, v34
	v_or_b32_e32 v59, v54, v55
	v_cndmask_b32_e64 v10, 0, v10, s0
	v_cmp_gt_i32_e64 s0, s33, v33
	v_cndmask_b32_e64 v1, 0, v1, s0
	v_cmp_gt_i32_e64 s0, s33, v32
	v_or_b32_e32 v55, v1, v10
	v_cndmask_b32_e64 v56, 0, v56, s0
	v_cmp_gt_i32_e64 s0, s33, v31
	v_cndmask_b32_e64 v52, 0, v52, s0
	v_cmp_gt_i32_e64 s0, s33, v30
	v_or_b32_e32 v58, v52, v56
	v_cndmask_b32_e64 v53, 0, v53, s0
	v_cmp_gt_i32_e64 s0, s33, v29
	v_cndmask_b32_e64 v9, 0, v9, s0
	v_or_b32_e32 v57, v9, v53
.LBB242_1014:                           ;   in Loop: Header=BB242_551 Depth=1
	s_or_b32 exec_lo, exec_lo, s21
	;;#ASMSTART
	v_pk_mul_f16 v1, v41, v59;

	;;#ASMEND
	;;#ASMSTART
	v_pk_mul_f16 v9, v40, v55;

	;;#ASMEND
	;; [unrolled: 4-line block ×4, first 2 shown]
	;;#ASMSTART
	v_pk_add_f16 v1, v1, v9;

	;;#ASMEND
	;;#ASMSTART
	v_pk_add_f16 v1, v1, v10;

	;;#ASMEND
	;; [unrolled: 4-line block ×3, first 2 shown]
	v_and_b32_e32 v9, 0xffff, v1
	v_lshrrev_b32_e32 v1, 16, v1
	;;#ASMSTART
	v_cvt_f32_f16 v9, v9;
	;;#ASMEND
	;;#ASMSTART
	v_cvt_f32_f16 v10, v1;
	;;#ASMEND
	global_load_dwordx2 v[7:8], v[7:8], off offset:1792
	v_mov_b32_e32 v53, 0
	v_mov_b32_e32 v54, 0
	global_load_dword v52, v53, s[14:15]
	s_waitcnt vmcnt(1)
	v_cmp_ne_u16_sdwa s0, v7, v2 src0_sel:BYTE_0 src1_sel:DWORD
	s_and_saveexec_b32 s21, s0
	s_cbranch_execz .LBB242_1022
; %bb.1015:                             ;   in Loop: Header=BB242_551 Depth=1
	v_cmp_ne_u16_sdwa s0, v7, v23 src0_sel:BYTE_0 src1_sel:DWORD
	v_mov_b32_e32 v54, 0x8000
	s_and_saveexec_b32 s22, s0
	s_cbranch_execz .LBB242_1021
; %bb.1016:                             ;   in Loop: Header=BB242_551 Depth=1
	v_and_b32_e32 v55, 0x7f, v7
	v_mov_b32_e32 v54, 0x7c01
	s_mov_b32 s26, exec_lo
	v_cmpx_ne_u32_e32 0x7f, v55
	s_cbranch_execz .LBB242_1020
; %bb.1017:                             ;   in Loop: Header=BB242_551 Depth=1
	v_and_b32_e32 v1, 7, v7
	v_lshrrev_b32_e32 v54, 3, v55
	s_mov_b32 s27, exec_lo
	v_cmpx_gt_u32_e32 8, v55
; %bb.1018:                             ;   in Loop: Header=BB242_551 Depth=1
	v_ffbh_u32_e32 v1, v1
	v_min_u32_e32 v1, 32, v1
	v_subrev_nc_u32_e32 v54, 28, v1
	v_lshlrev_b64 v[55:56], v54, v[7:8]
	v_sub_nc_u32_e32 v54, 29, v1
	v_and_b32_e32 v1, 7, v55
; %bb.1019:                             ;   in Loop: Header=BB242_551 Depth=1
	s_or_b32 exec_lo, exec_lo, s27
	v_lshlrev_b32_e32 v55, 8, v7
	v_lshl_add_u32 v54, v54, 10, 0x2000
	v_lshlrev_b32_e32 v1, 7, v1
	v_and_b32_e32 v55, 0x8000, v55
	v_and_b32_e32 v54, 0xfc00, v54
	v_or3_b32 v54, v55, v54, v1
.LBB242_1020:                           ;   in Loop: Header=BB242_551 Depth=1
	s_or_b32 exec_lo, exec_lo, s26
.LBB242_1021:                           ;   in Loop: Header=BB242_551 Depth=1
	s_or_b32 exec_lo, exec_lo, s22
.LBB242_1022:                           ;   in Loop: Header=BB242_551 Depth=1
	s_or_b32 exec_lo, exec_lo, s21
	v_lshrrev_b16 v1, 8, v7
	s_mov_b32 s21, exec_lo
	v_cmpx_ne_u16_e32 0, v1
	s_cbranch_execz .LBB242_1030
; %bb.1023:                             ;   in Loop: Header=BB242_551 Depth=1
	v_bfrev_b32_e32 v53, 1
	s_mov_b32 s22, exec_lo
	v_cmpx_ne_u16_e32 0x80, v1
	s_cbranch_execz .LBB242_1029
; %bb.1024:                             ;   in Loop: Header=BB242_551 Depth=1
	v_and_b32_sdwa v56, v1, v24 dst_sel:DWORD dst_unused:UNUSED_PAD src0_sel:WORD_0 src1_sel:DWORD
	v_mov_b32_e32 v53, 0x7c010000
	s_mov_b32 s26, exec_lo
	v_cmpx_ne_u32_e32 0x7f, v56
	s_cbranch_execz .LBB242_1028
; %bb.1025:                             ;   in Loop: Header=BB242_551 Depth=1
	v_and_b32_sdwa v53, v1, v25 dst_sel:DWORD dst_unused:UNUSED_PAD src0_sel:WORD_0 src1_sel:DWORD
	v_lshrrev_b32_e32 v55, 3, v56
	s_mov_b32 s27, exec_lo
	v_cmpx_gt_u32_e32 8, v56
; %bb.1026:                             ;   in Loop: Header=BB242_551 Depth=1
	v_ffbh_u32_e32 v53, v53
	v_min_u32_e32 v53, 32, v53
	v_subrev_nc_u32_e32 v55, 28, v53
	v_lshlrev_b64 v[56:57], v55, v[1:2]
	v_sub_nc_u32_e32 v55, 29, v53
	v_and_b32_e32 v53, 7, v56
; %bb.1027:                             ;   in Loop: Header=BB242_551 Depth=1
	s_or_b32 exec_lo, exec_lo, s27
	v_lshlrev_b32_sdwa v1, v26, v1 dst_sel:DWORD dst_unused:UNUSED_PAD src0_sel:DWORD src1_sel:WORD_0
	v_lshl_add_u32 v55, v55, 10, 0x2000
	v_lshlrev_b32_e32 v53, 23, v53
	v_and_or_b32 v1, 0x8000, v1, v55
	v_lshl_or_b32 v53, v1, 16, v53
.LBB242_1028:                           ;   in Loop: Header=BB242_551 Depth=1
	s_or_b32 exec_lo, exec_lo, s26
.LBB242_1029:                           ;   in Loop: Header=BB242_551 Depth=1
	s_or_b32 exec_lo, exec_lo, s22
.LBB242_1030:                           ;   in Loop: Header=BB242_551 Depth=1
	s_or_b32 exec_lo, exec_lo, s21
	v_lshrrev_b32_e32 v1, 16, v7
	v_mov_b32_e32 v55, 0
	v_mov_b32_e32 v56, 0
	v_cmp_ne_u16_sdwa s0, v1, v2 src0_sel:BYTE_0 src1_sel:DWORD
	s_and_saveexec_b32 s21, s0
	s_cbranch_execz .LBB242_1038
; %bb.1031:                             ;   in Loop: Header=BB242_551 Depth=1
	v_cmp_ne_u16_sdwa s0, v1, v23 src0_sel:BYTE_0 src1_sel:DWORD
	v_mov_b32_e32 v56, 0x8000
	s_and_saveexec_b32 s22, s0
	s_cbranch_execz .LBB242_1037
; %bb.1032:                             ;   in Loop: Header=BB242_551 Depth=1
	v_bfe_u32 v58, v7, 16, 7
	v_mov_b32_e32 v56, 0x7c01
	s_mov_b32 s26, exec_lo
	v_cmpx_ne_u32_e32 0x7f, v58
	s_cbranch_execz .LBB242_1036
; %bb.1033:                             ;   in Loop: Header=BB242_551 Depth=1
	v_and_b32_e32 v56, 7, v1
	v_lshrrev_b32_e32 v57, 3, v58
	s_mov_b32 s27, exec_lo
	v_cmpx_gt_u32_e32 8, v58
; %bb.1034:                             ;   in Loop: Header=BB242_551 Depth=1
	v_ffbh_u32_e32 v56, v56
	v_min_u32_e32 v58, 32, v56
	v_subrev_nc_u32_e32 v56, 28, v58
	v_lshlrev_b64 v[56:57], v56, v[1:2]
	v_sub_nc_u32_e32 v57, 29, v58
	v_and_b32_e32 v56, 7, v56
; %bb.1035:                             ;   in Loop: Header=BB242_551 Depth=1
	s_or_b32 exec_lo, exec_lo, s27
	v_lshlrev_b32_e32 v1, 8, v1
	v_lshl_add_u32 v57, v57, 10, 0x2000
	v_lshlrev_b32_e32 v56, 7, v56
	v_and_b32_e32 v1, 0x8000, v1
	v_and_b32_e32 v57, 0xfc00, v57
	v_or3_b32 v56, v1, v57, v56
.LBB242_1036:                           ;   in Loop: Header=BB242_551 Depth=1
	s_or_b32 exec_lo, exec_lo, s26
.LBB242_1037:                           ;   in Loop: Header=BB242_551 Depth=1
	s_or_b32 exec_lo, exec_lo, s22
.LBB242_1038:                           ;   in Loop: Header=BB242_551 Depth=1
	s_or_b32 exec_lo, exec_lo, s21
	s_mov_b32 s21, exec_lo
	v_cmpx_lt_u32_e32 0xffffff, v7
	s_cbranch_execz .LBB242_1046
; %bb.1039:                             ;   in Loop: Header=BB242_551 Depth=1
	v_lshrrev_b32_e32 v1, 24, v7
	v_bfrev_b32_e32 v55, 1
	s_mov_b32 s22, exec_lo
	v_cmpx_ne_u32_e32 0x80, v1
	s_cbranch_execz .LBB242_1045
; %bb.1040:                             ;   in Loop: Header=BB242_551 Depth=1
	v_and_b32_e32 v58, 0x7f, v1
	v_mov_b32_e32 v55, 0x7c010000
	s_mov_b32 s26, exec_lo
	v_cmpx_ne_u32_e32 0x7f, v58
	s_cbranch_execz .LBB242_1044
; %bb.1041:                             ;   in Loop: Header=BB242_551 Depth=1
	v_and_b32_e32 v55, 7, v1
	v_lshrrev_b32_e32 v57, 3, v58
	s_mov_b32 s27, exec_lo
	v_cmpx_gt_u32_e32 8, v58
; %bb.1042:                             ;   in Loop: Header=BB242_551 Depth=1
	v_ffbh_u32_e32 v55, v55
	v_min_u32_e32 v55, 32, v55
	v_subrev_nc_u32_e32 v57, 28, v55
	v_lshlrev_b64 v[58:59], v57, v[1:2]
	v_sub_nc_u32_e32 v57, 29, v55
	v_and_b32_e32 v55, 7, v58
; %bb.1043:                             ;   in Loop: Header=BB242_551 Depth=1
	s_or_b32 exec_lo, exec_lo, s27
	v_lshlrev_b32_e32 v1, 8, v1
	v_lshl_add_u32 v57, v57, 10, 0x2000
	v_lshlrev_b32_e32 v55, 23, v55
	v_and_or_b32 v1, 0x8000, v1, v57
	v_lshl_or_b32 v55, v1, 16, v55
.LBB242_1044:                           ;   in Loop: Header=BB242_551 Depth=1
	s_or_b32 exec_lo, exec_lo, s26
.LBB242_1045:                           ;   in Loop: Header=BB242_551 Depth=1
	s_or_b32 exec_lo, exec_lo, s22
.LBB242_1046:                           ;   in Loop: Header=BB242_551 Depth=1
	s_or_b32 exec_lo, exec_lo, s21
	v_mov_b32_e32 v1, v8
	v_cmp_ne_u16_sdwa s0, v8, v2 src0_sel:BYTE_0 src1_sel:DWORD
	v_mov_b32_e32 v57, 0
	v_mov_b32_e32 v58, 0
	s_and_saveexec_b32 s21, s0
	s_cbranch_execz .LBB242_1054
; %bb.1047:                             ;   in Loop: Header=BB242_551 Depth=1
	v_cmp_ne_u16_sdwa s0, v8, v23 src0_sel:BYTE_0 src1_sel:DWORD
	v_mov_b32_e32 v58, 0x8000
	s_and_saveexec_b32 s22, s0
	s_cbranch_execz .LBB242_1053
; %bb.1048:                             ;   in Loop: Header=BB242_551 Depth=1
	v_and_b32_e32 v60, 0x7f, v8
	v_mov_b32_e32 v58, 0x7c01
	s_mov_b32 s26, exec_lo
	v_cmpx_ne_u32_e32 0x7f, v60
	s_cbranch_execz .LBB242_1052
; %bb.1049:                             ;   in Loop: Header=BB242_551 Depth=1
	v_and_b32_e32 v58, 7, v8
	v_lshrrev_b32_e32 v59, 3, v60
	s_mov_b32 s27, exec_lo
	v_cmpx_gt_u32_e32 8, v60
; %bb.1050:                             ;   in Loop: Header=BB242_551 Depth=1
	v_ffbh_u32_e32 v58, v58
	v_min_u32_e32 v60, 32, v58
	v_subrev_nc_u32_e32 v58, 28, v60
	v_lshlrev_b64 v[58:59], v58, v[1:2]
	v_sub_nc_u32_e32 v59, 29, v60
	v_and_b32_e32 v58, 7, v58
; %bb.1051:                             ;   in Loop: Header=BB242_551 Depth=1
	s_or_b32 exec_lo, exec_lo, s27
	v_lshlrev_b32_e32 v60, 8, v8
	v_lshl_add_u32 v59, v59, 10, 0x2000
	v_lshlrev_b32_e32 v58, 7, v58
	v_and_b32_e32 v60, 0x8000, v60
	v_and_b32_e32 v59, 0xfc00, v59
	v_or3_b32 v58, v60, v59, v58
.LBB242_1052:                           ;   in Loop: Header=BB242_551 Depth=1
	s_or_b32 exec_lo, exec_lo, s26
.LBB242_1053:                           ;   in Loop: Header=BB242_551 Depth=1
	s_or_b32 exec_lo, exec_lo, s22
.LBB242_1054:                           ;   in Loop: Header=BB242_551 Depth=1
	s_or_b32 exec_lo, exec_lo, s21
	v_lshrrev_b16 v1, 8, v1
	v_mov_b32_e32 v59, 0
	s_mov_b32 s21, exec_lo
	v_cmpx_ne_u16_e32 0, v1
	s_cbranch_execz .LBB242_1062
; %bb.1055:                             ;   in Loop: Header=BB242_551 Depth=1
	v_bfrev_b32_e32 v59, 1
	s_mov_b32 s22, exec_lo
	v_cmpx_ne_u16_e32 0x80, v1
	s_cbranch_execz .LBB242_1061
; %bb.1056:                             ;   in Loop: Header=BB242_551 Depth=1
	v_and_b32_sdwa v61, v1, v24 dst_sel:DWORD dst_unused:UNUSED_PAD src0_sel:WORD_0 src1_sel:DWORD
	v_mov_b32_e32 v59, 0x7c010000
	s_mov_b32 s26, exec_lo
	v_cmpx_ne_u32_e32 0x7f, v61
	s_cbranch_execz .LBB242_1060
; %bb.1057:                             ;   in Loop: Header=BB242_551 Depth=1
	v_and_b32_sdwa v59, v1, v25 dst_sel:DWORD dst_unused:UNUSED_PAD src0_sel:WORD_0 src1_sel:DWORD
	v_lshrrev_b32_e32 v60, 3, v61
	s_mov_b32 s27, exec_lo
	v_cmpx_gt_u32_e32 8, v61
; %bb.1058:                             ;   in Loop: Header=BB242_551 Depth=1
	v_ffbh_u32_e32 v59, v59
	v_min_u32_e32 v61, 32, v59
	v_subrev_nc_u32_e32 v59, 28, v61
	v_lshlrev_b64 v[59:60], v59, v[1:2]
	v_sub_nc_u32_e32 v60, 29, v61
	v_and_b32_e32 v59, 7, v59
; %bb.1059:                             ;   in Loop: Header=BB242_551 Depth=1
	s_or_b32 exec_lo, exec_lo, s27
	v_lshlrev_b32_sdwa v1, v26, v1 dst_sel:DWORD dst_unused:UNUSED_PAD src0_sel:DWORD src1_sel:WORD_0
	v_lshl_add_u32 v60, v60, 10, 0x2000
	v_lshlrev_b32_e32 v59, 23, v59
	v_and_or_b32 v1, 0x8000, v1, v60
	v_lshl_or_b32 v59, v1, 16, v59
.LBB242_1060:                           ;   in Loop: Header=BB242_551 Depth=1
	s_or_b32 exec_lo, exec_lo, s26
.LBB242_1061:                           ;   in Loop: Header=BB242_551 Depth=1
	s_or_b32 exec_lo, exec_lo, s22
.LBB242_1062:                           ;   in Loop: Header=BB242_551 Depth=1
	s_or_b32 exec_lo, exec_lo, s21
	v_lshrrev_b32_e32 v1, 16, v8
	v_cmp_ne_u16_sdwa s0, v1, v2 src0_sel:BYTE_0 src1_sel:DWORD
	s_and_saveexec_b32 s21, s0
	s_cbranch_execz .LBB242_1070
; %bb.1063:                             ;   in Loop: Header=BB242_551 Depth=1
	v_cmp_ne_u16_sdwa s0, v1, v23 src0_sel:BYTE_0 src1_sel:DWORD
	v_mov_b32_e32 v57, 0x8000
	s_and_saveexec_b32 s22, s0
	s_cbranch_execz .LBB242_1069
; %bb.1064:                             ;   in Loop: Header=BB242_551 Depth=1
	v_bfe_u32 v61, v8, 16, 7
	v_mov_b32_e32 v57, 0x7c01
	s_mov_b32 s26, exec_lo
	v_cmpx_ne_u32_e32 0x7f, v61
	s_cbranch_execz .LBB242_1068
; %bb.1065:                             ;   in Loop: Header=BB242_551 Depth=1
	v_and_b32_e32 v57, 7, v1
	v_lshrrev_b32_e32 v60, 3, v61
	s_mov_b32 s27, exec_lo
	v_cmpx_gt_u32_e32 8, v61
; %bb.1066:                             ;   in Loop: Header=BB242_551 Depth=1
	v_ffbh_u32_e32 v57, v57
	v_min_u32_e32 v57, 32, v57
	v_subrev_nc_u32_e32 v60, 28, v57
	v_lshlrev_b64 v[61:62], v60, v[1:2]
	v_sub_nc_u32_e32 v60, 29, v57
	v_and_b32_e32 v57, 7, v61
; %bb.1067:                             ;   in Loop: Header=BB242_551 Depth=1
	s_or_b32 exec_lo, exec_lo, s27
	v_lshlrev_b32_e32 v1, 8, v1
	v_lshl_add_u32 v60, v60, 10, 0x2000
	v_lshlrev_b32_e32 v57, 7, v57
	v_and_b32_e32 v1, 0x8000, v1
	v_and_b32_e32 v60, 0xfc00, v60
	v_or3_b32 v57, v1, v60, v57
.LBB242_1068:                           ;   in Loop: Header=BB242_551 Depth=1
	s_or_b32 exec_lo, exec_lo, s26
.LBB242_1069:                           ;   in Loop: Header=BB242_551 Depth=1
	s_or_b32 exec_lo, exec_lo, s22
.LBB242_1070:                           ;   in Loop: Header=BB242_551 Depth=1
	s_or_b32 exec_lo, exec_lo, s21
	v_cmp_lt_u64_e64 s0, s[2:3], v[7:8]
	v_mov_b32_e32 v7, 0
	s_and_saveexec_b32 s21, s0
	s_cbranch_execz .LBB242_1078
; %bb.1071:                             ;   in Loop: Header=BB242_551 Depth=1
	v_lshrrev_b32_e32 v1, 24, v8
	v_bfrev_b32_e32 v7, 1
	s_mov_b32 s22, exec_lo
	v_cmpx_ne_u32_e32 0x80, v1
	s_cbranch_execz .LBB242_1077
; %bb.1072:                             ;   in Loop: Header=BB242_551 Depth=1
	v_and_b32_e32 v60, 0x7f, v1
	v_mov_b32_e32 v7, 0x7c010000
	s_mov_b32 s26, exec_lo
	v_cmpx_ne_u32_e32 0x7f, v60
	s_cbranch_execz .LBB242_1076
; %bb.1073:                             ;   in Loop: Header=BB242_551 Depth=1
	v_and_b32_e32 v7, 7, v1
	v_lshrrev_b32_e32 v8, 3, v60
	s_mov_b32 s27, exec_lo
	v_cmpx_gt_u32_e32 8, v60
; %bb.1074:                             ;   in Loop: Header=BB242_551 Depth=1
	v_ffbh_u32_e32 v7, v7
	v_min_u32_e32 v60, 32, v7
	v_subrev_nc_u32_e32 v7, 28, v60
	v_lshlrev_b64 v[7:8], v7, v[1:2]
	v_sub_nc_u32_e32 v8, 29, v60
	v_and_b32_e32 v7, 7, v7
; %bb.1075:                             ;   in Loop: Header=BB242_551 Depth=1
	s_or_b32 exec_lo, exec_lo, s27
	v_lshlrev_b32_e32 v1, 8, v1
	v_lshl_add_u32 v8, v8, 10, 0x2000
	v_lshlrev_b32_e32 v7, 23, v7
	v_and_or_b32 v1, 0x8000, v1, v8
	v_lshl_or_b32 v7, v1, 16, v7
.LBB242_1076:                           ;   in Loop: Header=BB242_551 Depth=1
	s_or_b32 exec_lo, exec_lo, s26
.LBB242_1077:                           ;   in Loop: Header=BB242_551 Depth=1
	s_or_b32 exec_lo, exec_lo, s22
.LBB242_1078:                           ;   in Loop: Header=BB242_551 Depth=1
	s_or_b32 exec_lo, exec_lo, s21
	v_or_b32_e32 v1, v55, v56
	s_waitcnt vmcnt(0)
	v_fma_mixlo_f16 v8, v52, v55, 0 op_sel:[0,1,0] op_sel_hi:[0,1,0]
	v_or_b32_e32 v54, v53, v54
	v_fma_mixlo_f16 v55, v52, v53, 0 op_sel:[0,1,0] op_sel_hi:[0,1,0]
	v_or_b32_e32 v56, v59, v58
	v_fma_mixlo_f16 v1, v52, v1, 0 op_sel_hi:[0,1,0]
	v_or_b32_e32 v57, v7, v57
	v_lshlrev_b32_e32 v53, 16, v8
	v_lshlrev_b32_e32 v58, 16, v55
	v_fma_mixlo_f16 v8, v52, v54, 0 op_sel_hi:[0,1,0]
	v_and_b32_e32 v55, 0xffff, v1
	v_fma_mixlo_f16 v1, v52, v59, 0 op_sel:[0,1,0] op_sel_hi:[0,1,0]
	v_fma_mixlo_f16 v54, v52, v56, 0 op_sel_hi:[0,1,0]
	v_fma_mixlo_f16 v7, v52, v7, 0 op_sel:[0,1,0] op_sel_hi:[0,1,0]
	v_fma_mixlo_f16 v52, v52, v57, 0 op_sel_hi:[0,1,0]
	v_and_b32_e32 v60, 0xffff, v8
	v_lshlrev_b32_e32 v56, 16, v1
	v_and_b32_e32 v59, 0xffff, v54
	v_lshlrev_b32_e32 v54, 16, v7
	v_and_b32_e32 v57, 0xffff, v52
	v_or_b32_e32 v8, v53, v55
	v_or_b32_e32 v52, v58, v60
	;; [unrolled: 1-line block ×4, first 2 shown]
	s_and_saveexec_b32 s0, vcc_lo
	s_cbranch_execz .LBB242_549
; %bb.1079:                             ;   in Loop: Header=BB242_551 Depth=1
	v_cmp_gt_i32_e32 vcc_lo, s33, v12
	v_cndmask_b32_e32 v1, 0, v60, vcc_lo
	v_cmp_gt_i32_e32 vcc_lo, s33, v36
	v_cndmask_b32_e32 v7, 0, v58, vcc_lo
	v_cmp_gt_i32_e32 vcc_lo, s33, v34
	v_or_b32_e32 v52, v7, v1
	v_cndmask_b32_e32 v8, 0, v55, vcc_lo
	v_cmp_gt_i32_e32 vcc_lo, s33, v33
	v_cndmask_b32_e32 v33, 0, v53, vcc_lo
	v_cmp_gt_i32_e32 vcc_lo, s33, v32
	v_or_b32_e32 v8, v33, v8
	;; [unrolled: 5-line block ×3, first 2 shown]
	v_cndmask_b32_e32 v30, 0, v57, vcc_lo
	v_cmp_gt_i32_e32 vcc_lo, s33, v29
	v_cndmask_b32_e32 v29, 0, v54, vcc_lo
	v_or_b32_e32 v1, v29, v30
	s_branch .LBB242_549
.LBB242_1080:
	s_or_b32 exec_lo, exec_lo, s17
.LBB242_1081:
	s_or_b32 exec_lo, exec_lo, s1
	v_lshl_add_u32 v2, v13, 2, 0x220
	v_and_b32_e32 v3, 0x3c0, v0
	s_mov_b32 s0, exec_lo
	s_barrier
	v_lshl_add_u32 v1, v11, 10, v2
	buffer_gl0_inv
	v_cmpx_eq_u32_e32 64, v3
	s_cbranch_execz .LBB242_1083
; %bb.1082:
	v_add_nc_u32_e32 v3, 0xfffff800, v1
	v_add_nc_u32_e32 v4, 0xfffff880, v1
	;; [unrolled: 1-line block ×5, first 2 shown]
	ds_write_b32 v3, v21
	ds_write_b32 v4, v20
	;; [unrolled: 1-line block ×3, first 2 shown]
	v_add_nc_u32_e32 v3, 0xfffff980, v1
	v_add_nc_u32_e32 v4, 0xfffffa00, v1
	;; [unrolled: 1-line block ×3, first 2 shown]
	ds_write_b32 v3, v18
	ds_write_b32 v4, v17
	ds_write_b32 v5, v16
	ds_write_b32 v6, v15
	ds_write_b32 v7, v14
.LBB242_1083:
	s_or_b32 exec_lo, exec_lo, s0
	s_mov_b32 s0, exec_lo
	s_waitcnt lgkmcnt(0)
	s_barrier
	buffer_gl0_inv
	v_cmpx_gt_u32_e32 64, v0
	s_cbranch_execz .LBB242_1085
; %bb.1084:
	ds_read2_b32 v[3:4], v1 offset1:32
	ds_read2_b32 v[5:6], v1 offset0:64 offset1:96
	ds_read2_b32 v[7:8], v1 offset0:128 offset1:160
	;; [unrolled: 1-line block ×3, first 2 shown]
	s_waitcnt lgkmcnt(3)
	v_add_f32_e32 v21, v21, v3
	v_add_f32_e32 v20, v20, v4
	s_waitcnt lgkmcnt(2)
	v_add_f32_e32 v19, v19, v5
	v_add_f32_e32 v18, v18, v6
	s_waitcnt lgkmcnt(1)
	v_add_f32_e32 v17, v17, v7
	v_add_f32_e32 v16, v16, v8
	s_waitcnt lgkmcnt(0)
	v_add_f32_e32 v15, v15, v9
	v_add_f32_e32 v14, v14, v10
.LBB242_1085:
	s_or_b32 exec_lo, exec_lo, s0
	v_and_b32_e32 v3, 0x3e0, v0
	s_mov_b32 s0, exec_lo
	s_barrier
	buffer_gl0_inv
	v_cmpx_eq_u32_e32 32, v3
	s_cbranch_execz .LBB242_1087
; %bb.1086:
	ds_write2_b32 v2, v21, v20 offset1:32
	ds_write2_b32 v2, v19, v18 offset0:64 offset1:96
	ds_write2_b32 v2, v17, v16 offset0:128 offset1:160
	;; [unrolled: 1-line block ×3, first 2 shown]
.LBB242_1087:
	s_or_b32 exec_lo, exec_lo, s0
	v_cmp_gt_u32_e32 vcc_lo, 32, v0
	s_waitcnt lgkmcnt(0)
	s_barrier
	buffer_gl0_inv
	s_and_saveexec_b32 s0, vcc_lo
	s_cbranch_execz .LBB242_1089
; %bb.1088:
	ds_read2_b32 v[2:3], v1 offset1:32
	ds_read2_b32 v[4:5], v1 offset0:64 offset1:96
	ds_read2_b32 v[6:7], v1 offset0:128 offset1:160
	;; [unrolled: 1-line block ×3, first 2 shown]
	s_waitcnt lgkmcnt(3)
	v_add_f32_e32 v21, v21, v2
	v_add_f32_e32 v20, v20, v3
	s_waitcnt lgkmcnt(2)
	v_add_f32_e32 v19, v19, v4
	v_add_f32_e32 v18, v18, v5
	;; [unrolled: 3-line block ×4, first 2 shown]
.LBB242_1089:
	s_or_b32 exec_lo, exec_lo, s0
	s_barrier
	buffer_gl0_inv
	s_and_saveexec_b32 s0, vcc_lo
	s_cbranch_execz .LBB242_1091
; %bb.1090:
	s_mul_i32 s0, s10, s11
	s_mul_i32 s2, s11, s24
	;; [unrolled: 1-line block ×3, first 2 shown]
	v_lshlrev_b32_e32 v0, 1, v0
	s_lshl_b32 s0, s0, 8
	;;#ASMSTART
	v_cvt_f16_f32 v1, v21;

	;;#ASMEND
	s_ashr_i32 s1, s0, 31
	s_lshl_b64 s[0:1], s[0:1], 1
	s_add_u32 s4, s6, s0
	s_addc_u32 s5, s7, s1
	s_ashr_i32 s3, s2, 31
	s_lshl_b64 s[0:1], s[2:3], 1
	s_add_u32 s2, s4, s0
	s_addc_u32 s3, s5, s1
	s_lshl_b32 s0, s8, 8
	s_ashr_i32 s1, s0, 31
	s_lshl_b64 s[0:1], s[0:1], 1
	s_add_u32 s0, s2, s0
	s_addc_u32 s1, s3, s1
	global_store_short v0, v1, s[0:1]
	;;#ASMSTART
	v_cvt_f16_f32 v1, v20;

	;;#ASMEND
	global_store_short v0, v1, s[0:1] offset:64
	;;#ASMSTART
	v_cvt_f16_f32 v1, v19;

	;;#ASMEND
	global_store_short v0, v1, s[0:1] offset:128
	;; [unrolled: 5-line block ×7, first 2 shown]
.LBB242_1091:
	s_endpgm
	.section	.rodata,"a",@progbits
	.p2align	6, 0x0
	.amdhsa_kernel _ZN4vllm25paged_attention_v1_kernelIthLi256ELi8ELi128ELNS_18Fp8KVCacheDataTypeE1ELb1EEEvPT_PKS2_PKT0_S8_ifPKiSA_iPKfiiiSC_SC_iiiii
		.amdhsa_group_segment_fixed_size 544
		.amdhsa_private_segment_fixed_size 0
		.amdhsa_kernarg_size 384
		.amdhsa_user_sgpr_count 6
		.amdhsa_user_sgpr_private_segment_buffer 1
		.amdhsa_user_sgpr_dispatch_ptr 0
		.amdhsa_user_sgpr_queue_ptr 0
		.amdhsa_user_sgpr_kernarg_segment_ptr 1
		.amdhsa_user_sgpr_dispatch_id 0
		.amdhsa_user_sgpr_flat_scratch_init 0
		.amdhsa_user_sgpr_private_segment_size 0
		.amdhsa_wavefront_size32 1
		.amdhsa_uses_dynamic_stack 0
		.amdhsa_system_sgpr_private_segment_wavefront_offset 0
		.amdhsa_system_sgpr_workgroup_id_x 1
		.amdhsa_system_sgpr_workgroup_id_y 1
		.amdhsa_system_sgpr_workgroup_id_z 1
		.amdhsa_system_sgpr_workgroup_info 0
		.amdhsa_system_vgpr_workitem_id 0
		.amdhsa_next_free_vgpr 124
		.amdhsa_next_free_sgpr 44
		.amdhsa_reserve_vcc 1
		.amdhsa_reserve_flat_scratch 0
		.amdhsa_float_round_mode_32 0
		.amdhsa_float_round_mode_16_64 0
		.amdhsa_float_denorm_mode_32 3
		.amdhsa_float_denorm_mode_16_64 3
		.amdhsa_dx10_clamp 1
		.amdhsa_ieee_mode 1
		.amdhsa_fp16_overflow 0
		.amdhsa_workgroup_processor_mode 1
		.amdhsa_memory_ordered 1
		.amdhsa_forward_progress 1
		.amdhsa_shared_vgpr_count 0
		.amdhsa_exception_fp_ieee_invalid_op 0
		.amdhsa_exception_fp_denorm_src 0
		.amdhsa_exception_fp_ieee_div_zero 0
		.amdhsa_exception_fp_ieee_overflow 0
		.amdhsa_exception_fp_ieee_underflow 0
		.amdhsa_exception_fp_ieee_inexact 0
		.amdhsa_exception_int_div_zero 0
	.end_amdhsa_kernel
	.section	.text._ZN4vllm25paged_attention_v1_kernelIthLi256ELi8ELi128ELNS_18Fp8KVCacheDataTypeE1ELb1EEEvPT_PKS2_PKT0_S8_ifPKiSA_iPKfiiiSC_SC_iiiii,"axG",@progbits,_ZN4vllm25paged_attention_v1_kernelIthLi256ELi8ELi128ELNS_18Fp8KVCacheDataTypeE1ELb1EEEvPT_PKS2_PKT0_S8_ifPKiSA_iPKfiiiSC_SC_iiiii,comdat
.Lfunc_end242:
	.size	_ZN4vllm25paged_attention_v1_kernelIthLi256ELi8ELi128ELNS_18Fp8KVCacheDataTypeE1ELb1EEEvPT_PKS2_PKT0_S8_ifPKiSA_iPKfiiiSC_SC_iiiii, .Lfunc_end242-_ZN4vllm25paged_attention_v1_kernelIthLi256ELi8ELi128ELNS_18Fp8KVCacheDataTypeE1ELb1EEEvPT_PKS2_PKT0_S8_ifPKiSA_iPKfiiiSC_SC_iiiii
                                        ; -- End function
	.set _ZN4vllm25paged_attention_v1_kernelIthLi256ELi8ELi128ELNS_18Fp8KVCacheDataTypeE1ELb1EEEvPT_PKS2_PKT0_S8_ifPKiSA_iPKfiiiSC_SC_iiiii.num_vgpr, 124
	.set _ZN4vllm25paged_attention_v1_kernelIthLi256ELi8ELi128ELNS_18Fp8KVCacheDataTypeE1ELb1EEEvPT_PKS2_PKT0_S8_ifPKiSA_iPKfiiiSC_SC_iiiii.num_agpr, 0
	.set _ZN4vllm25paged_attention_v1_kernelIthLi256ELi8ELi128ELNS_18Fp8KVCacheDataTypeE1ELb1EEEvPT_PKS2_PKT0_S8_ifPKiSA_iPKfiiiSC_SC_iiiii.numbered_sgpr, 44
	.set _ZN4vllm25paged_attention_v1_kernelIthLi256ELi8ELi128ELNS_18Fp8KVCacheDataTypeE1ELb1EEEvPT_PKS2_PKT0_S8_ifPKiSA_iPKfiiiSC_SC_iiiii.num_named_barrier, 0
	.set _ZN4vllm25paged_attention_v1_kernelIthLi256ELi8ELi128ELNS_18Fp8KVCacheDataTypeE1ELb1EEEvPT_PKS2_PKT0_S8_ifPKiSA_iPKfiiiSC_SC_iiiii.private_seg_size, 0
	.set _ZN4vllm25paged_attention_v1_kernelIthLi256ELi8ELi128ELNS_18Fp8KVCacheDataTypeE1ELb1EEEvPT_PKS2_PKT0_S8_ifPKiSA_iPKfiiiSC_SC_iiiii.uses_vcc, 1
	.set _ZN4vllm25paged_attention_v1_kernelIthLi256ELi8ELi128ELNS_18Fp8KVCacheDataTypeE1ELb1EEEvPT_PKS2_PKT0_S8_ifPKiSA_iPKfiiiSC_SC_iiiii.uses_flat_scratch, 0
	.set _ZN4vllm25paged_attention_v1_kernelIthLi256ELi8ELi128ELNS_18Fp8KVCacheDataTypeE1ELb1EEEvPT_PKS2_PKT0_S8_ifPKiSA_iPKfiiiSC_SC_iiiii.has_dyn_sized_stack, 0
	.set _ZN4vllm25paged_attention_v1_kernelIthLi256ELi8ELi128ELNS_18Fp8KVCacheDataTypeE1ELb1EEEvPT_PKS2_PKT0_S8_ifPKiSA_iPKfiiiSC_SC_iiiii.has_recursion, 0
	.set _ZN4vllm25paged_attention_v1_kernelIthLi256ELi8ELi128ELNS_18Fp8KVCacheDataTypeE1ELb1EEEvPT_PKS2_PKT0_S8_ifPKiSA_iPKfiiiSC_SC_iiiii.has_indirect_call, 0
	.section	.AMDGPU.csdata,"",@progbits
; Kernel info:
; codeLenInByte = 36692
; TotalNumSgprs: 46
; NumVgprs: 124
; ScratchSize: 0
; MemoryBound: 0
; FloatMode: 240
; IeeeMode: 1
; LDSByteSize: 544 bytes/workgroup (compile time only)
; SGPRBlocks: 0
; VGPRBlocks: 15
; NumSGPRsForWavesPerEU: 46
; NumVGPRsForWavesPerEU: 124
; Occupancy: 8
; WaveLimiterHint : 1
; COMPUTE_PGM_RSRC2:SCRATCH_EN: 0
; COMPUTE_PGM_RSRC2:USER_SGPR: 6
; COMPUTE_PGM_RSRC2:TRAP_HANDLER: 0
; COMPUTE_PGM_RSRC2:TGID_X_EN: 1
; COMPUTE_PGM_RSRC2:TGID_Y_EN: 1
; COMPUTE_PGM_RSRC2:TGID_Z_EN: 1
; COMPUTE_PGM_RSRC2:TIDIG_COMP_CNT: 0
	.section	.text._ZN4vllm25paged_attention_v1_kernelIthLi32ELi8ELi128ELNS_18Fp8KVCacheDataTypeE1ELb0EEEvPT_PKS2_PKT0_S8_ifPKiSA_iPKfiiiSC_SC_iiiii,"axG",@progbits,_ZN4vllm25paged_attention_v1_kernelIthLi32ELi8ELi128ELNS_18Fp8KVCacheDataTypeE1ELb0EEEvPT_PKS2_PKT0_S8_ifPKiSA_iPKfiiiSC_SC_iiiii,comdat
	.protected	_ZN4vllm25paged_attention_v1_kernelIthLi32ELi8ELi128ELNS_18Fp8KVCacheDataTypeE1ELb0EEEvPT_PKS2_PKT0_S8_ifPKiSA_iPKfiiiSC_SC_iiiii ; -- Begin function _ZN4vllm25paged_attention_v1_kernelIthLi32ELi8ELi128ELNS_18Fp8KVCacheDataTypeE1ELb0EEEvPT_PKS2_PKT0_S8_ifPKiSA_iPKfiiiSC_SC_iiiii
	.globl	_ZN4vllm25paged_attention_v1_kernelIthLi32ELi8ELi128ELNS_18Fp8KVCacheDataTypeE1ELb0EEEvPT_PKS2_PKT0_S8_ifPKiSA_iPKfiiiSC_SC_iiiii
	.p2align	8
	.type	_ZN4vllm25paged_attention_v1_kernelIthLi32ELi8ELi128ELNS_18Fp8KVCacheDataTypeE1ELb0EEEvPT_PKS2_PKT0_S8_ifPKiSA_iPKfiiiSC_SC_iiiii,@function
_ZN4vllm25paged_attention_v1_kernelIthLi32ELi8ELi128ELNS_18Fp8KVCacheDataTypeE1ELb0EEEvPT_PKS2_PKT0_S8_ifPKiSA_iPKfiiiSC_SC_iiiii: ; @_ZN4vllm25paged_attention_v1_kernelIthLi32ELi8ELi128ELNS_18Fp8KVCacheDataTypeE1ELb0EEEvPT_PKS2_PKT0_S8_ifPKiSA_iPKfiiiSC_SC_iiiii
; %bb.0:
	s_clause 0x2
	s_load_dword s9, s[4:5], 0x80
	s_load_dwordx2 s[0:1], s[4:5], 0x30
	s_load_dwordx2 s[28:29], s[4:5], 0x20
	s_mov_b32 s10, s7
	s_ashr_i32 s11, s7, 31
	s_lshl_b64 s[2:3], s[10:11], 2
	s_waitcnt lgkmcnt(0)
	s_add_u32 s0, s0, s2
	s_addc_u32 s1, s1, s3
	s_abs_i32 s2, s28
	s_abs_i32 s11, s9
	v_cvt_f32_u32_e32 v1, s2
	s_sub_i32 s7, 0, s2
	v_rcp_iflag_f32_e32 v1, v1
	v_mul_f32_e32 v1, 0x4f7ffffe, v1
	v_cvt_u32_f32_e32 v1, v1
	v_readfirstlane_b32 s3, v1
	s_mul_i32 s7, s7, s3
	s_mul_hi_u32 s7, s3, s7
	s_add_i32 s3, s3, s7
	s_xor_b32 s7, s9, s28
	s_mul_hi_u32 s3, s11, s3
	s_ashr_i32 s7, s7, 31
	s_mul_i32 s12, s3, s2
	s_mov_b32 s28, 0
	s_sub_i32 s11, s11, s12
	s_add_i32 s12, s3, 1
	s_sub_i32 s13, s11, s2
	s_cmp_ge_u32 s11, s2
	s_cselect_b32 s3, s12, s3
	s_cselect_b32 s11, s13, s11
	s_add_i32 s12, s3, 1
	s_cmp_ge_u32 s11, s2
	s_cselect_b32 s2, s12, s3
	s_abs_i32 s13, s6
	s_xor_b32 s2, s2, s7
	s_sub_i32 s15, s2, s7
	s_load_dwordx2 s[2:3], s[4:5], 0x40
	s_abs_i32 s12, s15
	v_cvt_f32_u32_e32 v1, s12
	s_sub_i32 s11, 0, s12
	v_rcp_iflag_f32_e32 v1, v1
	v_mul_f32_e32 v1, 0x4f7ffffe, v1
	v_cvt_u32_f32_e32 v1, v1
	v_readfirstlane_b32 s7, v1
	s_mul_i32 s11, s11, s7
	s_mul_hi_u32 s11, s7, s11
	s_add_i32 s7, s7, s11
	s_waitcnt lgkmcnt(0)
	s_cmp_eq_u64 s[2:3], 0
	s_mul_hi_u32 s14, s13, s7
	s_cbranch_scc1 .LBB243_2
; %bb.1:
	s_ashr_i32 s7, s6, 31
	s_lshl_b64 s[16:17], s[6:7], 2
	s_add_u32 s2, s2, s16
	s_addc_u32 s3, s3, s17
	s_load_dword s28, s[2:3], 0x0
.LBB243_2:
	s_load_dword s11, s[0:1], 0x0
	s_load_dwordx4 s[16:19], s[4:5], 0x48
	v_and_b32_e32 v1, 3, v0
	s_ashr_i32 s0, s6, 31
	s_ashr_i32 s1, s15, 31
	s_lshl_b32 s6, s6, 5
	s_mov_b32 s2, exec_lo
	v_cmpx_gt_u32_e32 16, v0
	s_cbranch_execz .LBB243_4
; %bb.3:
	s_load_dwordx2 s[20:21], s[4:5], 0x8
	s_waitcnt lgkmcnt(0)
	s_mul_i32 s22, s16, s10
	v_lshlrev_b32_e32 v2, 2, v0
	s_ashr_i32 s23, s22, 31
	v_and_b32_e32 v3, 0x3fc, v0
	s_lshl_b64 s[22:23], s[22:23], 1
	v_lshl_add_u32 v3, v1, 4, v3
	s_add_u32 s3, s20, s22
	s_addc_u32 s15, s21, s23
	s_ashr_i32 s7, s6, 31
	s_lshl_b64 s[20:21], s[6:7], 1
	s_add_u32 s20, s3, s20
	s_addc_u32 s21, s15, s21
	global_load_dword v2, v2, s[20:21]
	s_waitcnt vmcnt(0)
	ds_write_b32 v3, v2
.LBB243_4:
	s_or_b32 exec_lo, exec_lo, s2
	s_waitcnt lgkmcnt(0)
	s_add_i32 s2, s11, 7
	s_clause 0x1
	s_load_dwordx2 s[22:23], s[4:5], 0x28
	s_load_dword s7, s[4:5], 0x38
	s_ashr_i32 s3, s2, 31
	s_xor_b32 s0, s0, s1
	s_lshr_b32 s3, s3, 29
	s_mul_i32 s1, s14, s12
	s_add_i32 s2, s2, s3
	s_sub_i32 s1, s13, s1
	s_ashr_i32 s16, s2, 3
	s_add_i32 s2, s14, 1
	s_sub_i32 s3, s1, s12
	s_cmp_ge_u32 s1, s12
	v_lshrrev_b32_e32 v9, 5, v0
	s_cselect_b32 s2, s2, s14
	s_cselect_b32 s1, s3, s1
	s_add_i32 s3, s2, 1
	s_cmp_ge_u32 s1, s12
	v_mbcnt_lo_u32_b32 v12, -1, 0
	s_cselect_b32 s1, s3, s2
	s_mov_b32 s2, exec_lo
	s_xor_b32 s1, s1, s0
	s_waitcnt lgkmcnt(0)
	s_mul_i32 s24, s7, s10
	s_sub_i32 s1, s1, s0
	v_cmp_gt_i32_e64 s0, s16, v9
	s_ashr_i32 s25, s24, 31
	s_barrier
	buffer_gl0_inv
                                        ; implicit-def: $vgpr2
                                        ; implicit-def: $vgpr13
	v_cmpx_le_i32_e64 s16, v9
	s_xor_b32 s2, exec_lo, s2
; %bb.5:
	v_mov_b32_e32 v2, 0
	v_mbcnt_lo_u32_b32 v12, -1, 0
	v_mov_b32_e32 v13, 32
                                        ; implicit-def: $vgpr1
; %bb.6:
	s_or_saveexec_b32 s19, s2
	s_clause 0x3
	s_load_dwordx2 s[20:21], s[4:5], 0x0
	s_load_dwordx2 s[26:27], s[4:5], 0x18
	s_load_dword s7, s[4:5], 0x88
	s_load_dwordx4 s[12:15], s[4:5], 0x58
	v_mov_b32_e32 v10, 0xff7fffff
	v_lshrrev_b32_e32 v11, 3, v0
	s_mul_i32 s18, s1, s18
	s_xor_b32 exec_lo, exec_lo, s19
	s_cbranch_execz .LBB243_76
; %bb.7:
	s_load_dwordx2 s[2:3], s[4:5], 0x10
	v_bfe_u32 v3, v0, 2, 3
	v_lshlrev_b32_e32 v5, 1, v1
	v_lshlrev_b32_e32 v14, 4, v1
	v_cmp_eq_u32_e32 vcc_lo, 0, v1
	s_ashr_i32 s4, s18, 31
	v_lshlrev_b32_e32 v4, 2, v3
	v_and_b32_e32 v6, 0x7c, v11
	v_lshl_or_b32 v15, v9, 3, v3
	v_mov_b32_e32 v2, 0
	v_cmp_neq_f32_e64 s1, s28, 0
	v_lshl_or_b32 v1, v9, 5, v4
	v_lshlrev_b32_e32 v4, 4, v3
	v_mov_b32_e32 v10, 0xff7fffff
	v_mov_b32_e32 v13, 32
	;; [unrolled: 1-line block ×3, first 2 shown]
	v_add_nc_u32_e32 v16, 0x60, v1
	v_mov_b32_e32 v18, 0x7f
	v_mov_b32_e32 v19, 7
	v_mov_b32_e32 v20, 8
	s_waitcnt lgkmcnt(0)
	s_add_u32 s5, s2, s18
	s_addc_u32 s30, s3, s4
	v_add_co_u32 v1, s5, s5, v4
	v_add_co_ci_u32_e64 v4, null, s30, 0, s5
	s_lshl_b64 s[2:3], s[24:25], 2
	s_sub_i32 s4, 1, s11
	s_add_u32 s5, s22, s2
	v_add_co_u32 v3, s2, v1, v5
	s_addc_u32 s3, s23, s3
	v_add_co_ci_u32_e64 v4, null, 0, v4, s2
	v_add_co_u32 v5, s2, s5, v6
	v_add_co_ci_u32_e64 v6, null, s3, 0, s2
	v_mov_b32_e32 v21, v9
	s_mov_b32 s30, s17
	s_mov_b32 s5, 0
	s_branch .LBB243_9
.LBB243_8:                              ;   in Loop: Header=BB243_9 Depth=1
	s_or_b32 exec_lo, exec_lo, s3
	v_add_nc_u32_e32 v21, 4, v21
	v_add_co_u32 v5, s3, v5, 16
	v_add_nc_u32_e32 v15, 32, v15
	v_add_nc_u32_e32 v16, 0x80, v16
	v_cmp_le_i32_e64 s2, s16, v21
	v_add_co_ci_u32_e64 v6, null, 0, v6, s3
	s_or_b32 s5, s2, s5
	s_andn2_b32 exec_lo, exec_lo, s5
	s_cbranch_execz .LBB243_75
.LBB243_9:                              ; =>This Inner Loop Header: Depth=1
	global_load_dword v1, v[5:6], off
	s_waitcnt vmcnt(0) lgkmcnt(0)
	v_mad_i64_i32 v[7:8], null, v1, s30, v[3:4]
	global_load_ushort v23, v[7:8], off
	global_load_dword v22, v2, s[12:13]
	s_waitcnt vmcnt(1)
	v_and_b32_e32 v1, 0xffff, v23
	v_cmp_ne_u16_sdwa s2, v23, v2 src0_sel:BYTE_0 src1_sel:DWORD
	v_mov_b32_e32 v23, 0
	s_and_saveexec_b32 s3, s2
	s_cbranch_execz .LBB243_17
; %bb.10:                               ;   in Loop: Header=BB243_9 Depth=1
	v_cmp_ne_u16_sdwa s2, v1, v17 src0_sel:BYTE_0 src1_sel:DWORD
	v_mov_b32_e32 v23, 0x8000
	s_and_saveexec_b32 s31, s2
	s_cbranch_execz .LBB243_16
; %bb.11:                               ;   in Loop: Header=BB243_9 Depth=1
	v_and_b32_e32 v25, 0x7f, v1
	v_mov_b32_e32 v23, 0x7c01
	s_mov_b32 s33, exec_lo
	v_cmpx_ne_u32_e32 0x7f, v25
	s_cbranch_execz .LBB243_15
; %bb.12:                               ;   in Loop: Header=BB243_9 Depth=1
	v_and_b32_e32 v23, 7, v1
	v_lshrrev_b32_e32 v24, 3, v25
	s_mov_b32 s34, exec_lo
	v_cmpx_gt_u32_e32 8, v25
; %bb.13:                               ;   in Loop: Header=BB243_9 Depth=1
	v_ffbh_u32_e32 v23, v23
	v_min_u32_e32 v25, 32, v23
	v_subrev_nc_u32_e32 v23, 28, v25
	v_lshlrev_b64 v[23:24], v23, v[1:2]
	v_sub_nc_u32_e32 v24, 29, v25
	v_and_b32_e32 v23, 7, v23
; %bb.14:                               ;   in Loop: Header=BB243_9 Depth=1
	s_or_b32 exec_lo, exec_lo, s34
	v_lshlrev_b32_e32 v25, 8, v1
	v_lshl_add_u32 v24, v24, 10, 0x2000
	v_lshlrev_b32_e32 v23, 7, v23
	v_and_b32_e32 v25, 0x8000, v25
	v_and_b32_e32 v24, 0xfc00, v24
	v_or3_b32 v23, v25, v24, v23
.LBB243_15:                             ;   in Loop: Header=BB243_9 Depth=1
	s_or_b32 exec_lo, exec_lo, s33
.LBB243_16:                             ;   in Loop: Header=BB243_9 Depth=1
	s_or_b32 exec_lo, exec_lo, s31
.LBB243_17:                             ;   in Loop: Header=BB243_9 Depth=1
	s_or_b32 exec_lo, exec_lo, s3
	v_lshrrev_b16 v1, 8, v1
	v_mov_b32_e32 v24, 0
	s_mov_b32 s3, exec_lo
	v_cmpx_ne_u16_e32 0, v1
	s_cbranch_execz .LBB243_25
; %bb.18:                               ;   in Loop: Header=BB243_9 Depth=1
	v_bfrev_b32_e32 v24, 1
	s_mov_b32 s31, exec_lo
	v_cmpx_ne_u16_e32 0x80, v1
	s_cbranch_execz .LBB243_24
; %bb.19:                               ;   in Loop: Header=BB243_9 Depth=1
	v_and_b32_sdwa v26, v1, v18 dst_sel:DWORD dst_unused:UNUSED_PAD src0_sel:WORD_0 src1_sel:DWORD
	v_mov_b32_e32 v24, 0x7c010000
	s_mov_b32 s33, exec_lo
	v_cmpx_ne_u32_e32 0x7f, v26
	s_cbranch_execz .LBB243_23
; %bb.20:                               ;   in Loop: Header=BB243_9 Depth=1
	v_and_b32_sdwa v24, v1, v19 dst_sel:DWORD dst_unused:UNUSED_PAD src0_sel:WORD_0 src1_sel:DWORD
	v_lshrrev_b32_e32 v25, 3, v26
	s_mov_b32 s34, exec_lo
	v_cmpx_gt_u32_e32 8, v26
; %bb.21:                               ;   in Loop: Header=BB243_9 Depth=1
	v_ffbh_u32_e32 v24, v24
	v_min_u32_e32 v26, 32, v24
	v_subrev_nc_u32_e32 v24, 28, v26
	v_lshlrev_b64 v[24:25], v24, v[1:2]
	v_sub_nc_u32_e32 v25, 29, v26
	v_and_b32_e32 v24, 7, v24
; %bb.22:                               ;   in Loop: Header=BB243_9 Depth=1
	s_or_b32 exec_lo, exec_lo, s34
	v_lshlrev_b32_sdwa v1, v20, v1 dst_sel:DWORD dst_unused:UNUSED_PAD src0_sel:DWORD src1_sel:WORD_0
	v_lshl_add_u32 v25, v25, 10, 0x2000
	v_lshlrev_b32_e32 v24, 23, v24
	v_and_or_b32 v1, 0x8000, v1, v25
	v_lshl_or_b32 v24, v1, 16, v24
.LBB243_23:                             ;   in Loop: Header=BB243_9 Depth=1
	s_or_b32 exec_lo, exec_lo, s33
.LBB243_24:                             ;   in Loop: Header=BB243_9 Depth=1
	s_or_b32 exec_lo, exec_lo, s31
.LBB243_25:                             ;   in Loop: Header=BB243_9 Depth=1
	s_or_b32 exec_lo, exec_lo, s3
	global_load_ushort v26, v[7:8], off offset:8
	v_mov_b32_e32 v25, 0
	s_waitcnt vmcnt(0)
	v_and_b32_e32 v1, 0xffff, v26
	v_cmp_ne_u16_sdwa s2, v26, v2 src0_sel:BYTE_0 src1_sel:DWORD
	v_mov_b32_e32 v26, 0
	s_and_saveexec_b32 s3, s2
	s_cbranch_execz .LBB243_33
; %bb.26:                               ;   in Loop: Header=BB243_9 Depth=1
	v_cmp_ne_u16_sdwa s2, v1, v17 src0_sel:BYTE_0 src1_sel:DWORD
	v_mov_b32_e32 v26, 0x8000
	s_and_saveexec_b32 s31, s2
	s_cbranch_execz .LBB243_32
; %bb.27:                               ;   in Loop: Header=BB243_9 Depth=1
	v_and_b32_e32 v28, 0x7f, v1
	v_mov_b32_e32 v26, 0x7c01
	s_mov_b32 s33, exec_lo
	v_cmpx_ne_u32_e32 0x7f, v28
	s_cbranch_execz .LBB243_31
; %bb.28:                               ;   in Loop: Header=BB243_9 Depth=1
	v_and_b32_e32 v26, 7, v1
	v_lshrrev_b32_e32 v27, 3, v28
	s_mov_b32 s34, exec_lo
	v_cmpx_gt_u32_e32 8, v28
; %bb.29:                               ;   in Loop: Header=BB243_9 Depth=1
	v_ffbh_u32_e32 v26, v26
	v_min_u32_e32 v28, 32, v26
	v_subrev_nc_u32_e32 v26, 28, v28
	v_lshlrev_b64 v[26:27], v26, v[1:2]
	v_sub_nc_u32_e32 v27, 29, v28
	v_and_b32_e32 v26, 7, v26
; %bb.30:                               ;   in Loop: Header=BB243_9 Depth=1
	s_or_b32 exec_lo, exec_lo, s34
	v_lshlrev_b32_e32 v28, 8, v1
	v_lshl_add_u32 v27, v27, 10, 0x2000
	v_lshlrev_b32_e32 v26, 7, v26
	v_and_b32_e32 v28, 0x8000, v28
	v_and_b32_e32 v27, 0xfc00, v27
	v_or3_b32 v26, v28, v27, v26
.LBB243_31:                             ;   in Loop: Header=BB243_9 Depth=1
	s_or_b32 exec_lo, exec_lo, s33
.LBB243_32:                             ;   in Loop: Header=BB243_9 Depth=1
	s_or_b32 exec_lo, exec_lo, s31
.LBB243_33:                             ;   in Loop: Header=BB243_9 Depth=1
	s_or_b32 exec_lo, exec_lo, s3
	v_lshrrev_b16 v1, 8, v1
	s_mov_b32 s3, exec_lo
	v_cmpx_ne_u16_e32 0, v1
	s_cbranch_execz .LBB243_41
; %bb.34:                               ;   in Loop: Header=BB243_9 Depth=1
	v_bfrev_b32_e32 v25, 1
	s_mov_b32 s31, exec_lo
	v_cmpx_ne_u16_e32 0x80, v1
	s_cbranch_execz .LBB243_40
; %bb.35:                               ;   in Loop: Header=BB243_9 Depth=1
	v_and_b32_sdwa v28, v1, v18 dst_sel:DWORD dst_unused:UNUSED_PAD src0_sel:WORD_0 src1_sel:DWORD
	v_mov_b32_e32 v25, 0x7c010000
	s_mov_b32 s33, exec_lo
	v_cmpx_ne_u32_e32 0x7f, v28
	s_cbranch_execz .LBB243_39
; %bb.36:                               ;   in Loop: Header=BB243_9 Depth=1
	v_and_b32_sdwa v25, v1, v19 dst_sel:DWORD dst_unused:UNUSED_PAD src0_sel:WORD_0 src1_sel:DWORD
	v_lshrrev_b32_e32 v27, 3, v28
	s_mov_b32 s34, exec_lo
	v_cmpx_gt_u32_e32 8, v28
; %bb.37:                               ;   in Loop: Header=BB243_9 Depth=1
	v_ffbh_u32_e32 v25, v25
	v_min_u32_e32 v25, 32, v25
	v_subrev_nc_u32_e32 v27, 28, v25
	v_lshlrev_b64 v[28:29], v27, v[1:2]
	v_sub_nc_u32_e32 v27, 29, v25
	v_and_b32_e32 v25, 7, v28
; %bb.38:                               ;   in Loop: Header=BB243_9 Depth=1
	s_or_b32 exec_lo, exec_lo, s34
	v_lshlrev_b32_sdwa v1, v20, v1 dst_sel:DWORD dst_unused:UNUSED_PAD src0_sel:DWORD src1_sel:WORD_0
	v_lshl_add_u32 v27, v27, 10, 0x2000
	v_lshlrev_b32_e32 v25, 23, v25
	v_and_or_b32 v1, 0x8000, v1, v27
	v_lshl_or_b32 v25, v1, 16, v25
.LBB243_39:                             ;   in Loop: Header=BB243_9 Depth=1
	s_or_b32 exec_lo, exec_lo, s33
.LBB243_40:                             ;   in Loop: Header=BB243_9 Depth=1
	s_or_b32 exec_lo, exec_lo, s31
.LBB243_41:                             ;   in Loop: Header=BB243_9 Depth=1
	s_or_b32 exec_lo, exec_lo, s3
	global_load_ushort v28, v[7:8], off offset:128
	v_mov_b32_e32 v27, 0
	s_waitcnt vmcnt(0)
	v_and_b32_e32 v1, 0xffff, v28
	v_cmp_ne_u16_sdwa s2, v28, v2 src0_sel:BYTE_0 src1_sel:DWORD
	v_mov_b32_e32 v28, 0
	s_and_saveexec_b32 s3, s2
	s_cbranch_execz .LBB243_49
; %bb.42:                               ;   in Loop: Header=BB243_9 Depth=1
	v_cmp_ne_u16_sdwa s2, v1, v17 src0_sel:BYTE_0 src1_sel:DWORD
	v_mov_b32_e32 v28, 0x8000
	s_and_saveexec_b32 s31, s2
	s_cbranch_execz .LBB243_48
; %bb.43:                               ;   in Loop: Header=BB243_9 Depth=1
	v_and_b32_e32 v30, 0x7f, v1
	v_mov_b32_e32 v28, 0x7c01
	s_mov_b32 s33, exec_lo
	v_cmpx_ne_u32_e32 0x7f, v30
	s_cbranch_execz .LBB243_47
; %bb.44:                               ;   in Loop: Header=BB243_9 Depth=1
	v_and_b32_e32 v28, 7, v1
	v_lshrrev_b32_e32 v29, 3, v30
	s_mov_b32 s34, exec_lo
	v_cmpx_gt_u32_e32 8, v30
; %bb.45:                               ;   in Loop: Header=BB243_9 Depth=1
	v_ffbh_u32_e32 v28, v28
	v_min_u32_e32 v30, 32, v28
	v_subrev_nc_u32_e32 v28, 28, v30
	v_lshlrev_b64 v[28:29], v28, v[1:2]
	v_sub_nc_u32_e32 v29, 29, v30
	v_and_b32_e32 v28, 7, v28
; %bb.46:                               ;   in Loop: Header=BB243_9 Depth=1
	s_or_b32 exec_lo, exec_lo, s34
	v_lshlrev_b32_e32 v30, 8, v1
	v_lshl_add_u32 v29, v29, 10, 0x2000
	v_lshlrev_b32_e32 v28, 7, v28
	v_and_b32_e32 v30, 0x8000, v30
	v_and_b32_e32 v29, 0xfc00, v29
	v_or3_b32 v28, v30, v29, v28
.LBB243_47:                             ;   in Loop: Header=BB243_9 Depth=1
	s_or_b32 exec_lo, exec_lo, s33
.LBB243_48:                             ;   in Loop: Header=BB243_9 Depth=1
	s_or_b32 exec_lo, exec_lo, s31
.LBB243_49:                             ;   in Loop: Header=BB243_9 Depth=1
	s_or_b32 exec_lo, exec_lo, s3
	v_lshrrev_b16 v1, 8, v1
	s_mov_b32 s3, exec_lo
	v_cmpx_ne_u16_e32 0, v1
	s_cbranch_execz .LBB243_57
; %bb.50:                               ;   in Loop: Header=BB243_9 Depth=1
	v_bfrev_b32_e32 v27, 1
	s_mov_b32 s31, exec_lo
	v_cmpx_ne_u16_e32 0x80, v1
	s_cbranch_execz .LBB243_56
; %bb.51:                               ;   in Loop: Header=BB243_9 Depth=1
	v_and_b32_sdwa v30, v1, v18 dst_sel:DWORD dst_unused:UNUSED_PAD src0_sel:WORD_0 src1_sel:DWORD
	v_mov_b32_e32 v27, 0x7c010000
	s_mov_b32 s33, exec_lo
	v_cmpx_ne_u32_e32 0x7f, v30
	s_cbranch_execz .LBB243_55
; %bb.52:                               ;   in Loop: Header=BB243_9 Depth=1
	v_and_b32_sdwa v27, v1, v19 dst_sel:DWORD dst_unused:UNUSED_PAD src0_sel:WORD_0 src1_sel:DWORD
	v_lshrrev_b32_e32 v29, 3, v30
	s_mov_b32 s34, exec_lo
	v_cmpx_gt_u32_e32 8, v30
; %bb.53:                               ;   in Loop: Header=BB243_9 Depth=1
	v_ffbh_u32_e32 v27, v27
	v_min_u32_e32 v27, 32, v27
	v_subrev_nc_u32_e32 v29, 28, v27
	v_lshlrev_b64 v[30:31], v29, v[1:2]
	v_sub_nc_u32_e32 v29, 29, v27
	v_and_b32_e32 v27, 7, v30
; %bb.54:                               ;   in Loop: Header=BB243_9 Depth=1
	s_or_b32 exec_lo, exec_lo, s34
	v_lshlrev_b32_sdwa v1, v20, v1 dst_sel:DWORD dst_unused:UNUSED_PAD src0_sel:DWORD src1_sel:WORD_0
	v_lshl_add_u32 v29, v29, 10, 0x2000
	v_lshlrev_b32_e32 v27, 23, v27
	v_and_or_b32 v1, 0x8000, v1, v29
	v_lshl_or_b32 v27, v1, 16, v27
.LBB243_55:                             ;   in Loop: Header=BB243_9 Depth=1
	s_or_b32 exec_lo, exec_lo, s33
.LBB243_56:                             ;   in Loop: Header=BB243_9 Depth=1
	s_or_b32 exec_lo, exec_lo, s31
.LBB243_57:                             ;   in Loop: Header=BB243_9 Depth=1
	s_or_b32 exec_lo, exec_lo, s3
	global_load_ushort v8, v[7:8], off offset:136
	v_mov_b32_e32 v7, 0
	s_waitcnt vmcnt(0)
	v_and_b32_e32 v1, 0xffff, v8
	v_cmp_ne_u16_sdwa s2, v8, v2 src0_sel:BYTE_0 src1_sel:DWORD
	v_mov_b32_e32 v8, 0
	s_and_saveexec_b32 s3, s2
	s_cbranch_execz .LBB243_65
; %bb.58:                               ;   in Loop: Header=BB243_9 Depth=1
	v_cmp_ne_u16_sdwa s2, v1, v17 src0_sel:BYTE_0 src1_sel:DWORD
	v_mov_b32_e32 v8, 0x8000
	s_and_saveexec_b32 s31, s2
	s_cbranch_execz .LBB243_64
; %bb.59:                               ;   in Loop: Header=BB243_9 Depth=1
	v_and_b32_e32 v30, 0x7f, v1
	v_mov_b32_e32 v8, 0x7c01
	s_mov_b32 s33, exec_lo
	v_cmpx_ne_u32_e32 0x7f, v30
	s_cbranch_execz .LBB243_63
; %bb.60:                               ;   in Loop: Header=BB243_9 Depth=1
	v_and_b32_e32 v8, 7, v1
	v_lshrrev_b32_e32 v29, 3, v30
	s_mov_b32 s34, exec_lo
	v_cmpx_gt_u32_e32 8, v30
; %bb.61:                               ;   in Loop: Header=BB243_9 Depth=1
	v_ffbh_u32_e32 v8, v8
	v_min_u32_e32 v8, 32, v8
	v_subrev_nc_u32_e32 v29, 28, v8
	v_lshlrev_b64 v[30:31], v29, v[1:2]
	v_sub_nc_u32_e32 v29, 29, v8
	v_and_b32_e32 v8, 7, v30
; %bb.62:                               ;   in Loop: Header=BB243_9 Depth=1
	s_or_b32 exec_lo, exec_lo, s34
	v_lshlrev_b32_e32 v30, 8, v1
	v_lshl_add_u32 v29, v29, 10, 0x2000
	v_lshlrev_b32_e32 v8, 7, v8
	v_and_b32_e32 v30, 0x8000, v30
	v_and_b32_e32 v29, 0xfc00, v29
	v_or3_b32 v8, v30, v29, v8
.LBB243_63:                             ;   in Loop: Header=BB243_9 Depth=1
	s_or_b32 exec_lo, exec_lo, s33
.LBB243_64:                             ;   in Loop: Header=BB243_9 Depth=1
	s_or_b32 exec_lo, exec_lo, s31
.LBB243_65:                             ;   in Loop: Header=BB243_9 Depth=1
	s_or_b32 exec_lo, exec_lo, s3
	v_lshrrev_b16 v1, 8, v1
	s_mov_b32 s3, exec_lo
	v_cmpx_ne_u16_e32 0, v1
	s_cbranch_execz .LBB243_73
; %bb.66:                               ;   in Loop: Header=BB243_9 Depth=1
	v_bfrev_b32_e32 v7, 1
	s_mov_b32 s31, exec_lo
	v_cmpx_ne_u16_e32 0x80, v1
	s_cbranch_execz .LBB243_72
; %bb.67:                               ;   in Loop: Header=BB243_9 Depth=1
	v_and_b32_sdwa v30, v1, v18 dst_sel:DWORD dst_unused:UNUSED_PAD src0_sel:WORD_0 src1_sel:DWORD
	v_mov_b32_e32 v7, 0x7c010000
	s_mov_b32 s33, exec_lo
	v_cmpx_ne_u32_e32 0x7f, v30
	s_cbranch_execz .LBB243_71
; %bb.68:                               ;   in Loop: Header=BB243_9 Depth=1
	v_and_b32_sdwa v7, v1, v19 dst_sel:DWORD dst_unused:UNUSED_PAD src0_sel:WORD_0 src1_sel:DWORD
	v_lshrrev_b32_e32 v29, 3, v30
	s_mov_b32 s34, exec_lo
	v_cmpx_gt_u32_e32 8, v30
; %bb.69:                               ;   in Loop: Header=BB243_9 Depth=1
	v_ffbh_u32_e32 v7, v7
	v_min_u32_e32 v7, 32, v7
	v_subrev_nc_u32_e32 v29, 28, v7
	v_lshlrev_b64 v[30:31], v29, v[1:2]
	v_sub_nc_u32_e32 v29, 29, v7
	v_and_b32_e32 v7, 7, v30
; %bb.70:                               ;   in Loop: Header=BB243_9 Depth=1
	s_or_b32 exec_lo, exec_lo, s34
	v_lshlrev_b32_sdwa v1, v20, v1 dst_sel:DWORD dst_unused:UNUSED_PAD src0_sel:DWORD src1_sel:WORD_0
	v_lshl_add_u32 v29, v29, 10, 0x2000
	v_lshlrev_b32_e32 v7, 23, v7
	v_and_or_b32 v1, 0x8000, v1, v29
	v_lshl_or_b32 v7, v1, 16, v7
.LBB243_71:                             ;   in Loop: Header=BB243_9 Depth=1
	s_or_b32 exec_lo, exec_lo, s33
.LBB243_72:                             ;   in Loop: Header=BB243_9 Depth=1
	s_or_b32 exec_lo, exec_lo, s31
.LBB243_73:                             ;   in Loop: Header=BB243_9 Depth=1
	s_or_b32 exec_lo, exec_lo, s3
	ds_read_b32 v1, v14
	v_or_b32_e32 v23, v24, v23
	v_fma_mixlo_f16 v24, v22, v24, 0 op_sel:[0,1,0] op_sel_hi:[0,1,0]
	v_or_b32_e32 v26, v25, v26
	v_fma_mixlo_f16 v25, v22, v25, 0 op_sel:[0,1,0] op_sel_hi:[0,1,0]
	v_or_b32_e32 v28, v27, v28
	v_fma_mixlo_f16 v23, v22, v23, 0 op_sel_hi:[0,1,0]
	v_and_b32_e32 v32, 0xffff, v24
	v_fma_mixlo_f16 v26, v22, v26, 0 op_sel_hi:[0,1,0]
	v_and_b32_e32 v33, 0xffff, v25
	;; [unrolled: 2-line block ×3, first 2 shown]
	v_fma_mixlo_f16 v27, v22, v27, 0 op_sel:[0,1,0] op_sel_hi:[0,1,0]
	v_or_b32_e32 v8, v7, v8
	v_fma_mixlo_f16 v7, v22, v7, 0 op_sel:[0,1,0] op_sel_hi:[0,1,0]
	v_and_b32_e32 v34, 0xffff, v28
	v_and_b32_e32 v35, 0xffff, v27
	v_fma_mixlo_f16 v8, v22, v8, 0 op_sel_hi:[0,1,0]
	s_waitcnt lgkmcnt(0)
	v_and_b32_e32 v29, 0xffff, v1
	v_lshrrev_b32_e32 v30, 16, v1
	;;#ASMSTART
	v_cvt_f32_f16 v1, v29;
	;;#ASMEND
	;;#ASMSTART
	v_cvt_f32_f16 v23, v30;
	;;#ASMEND
	;; [unrolled: 3-line block ×4, first 2 shown]
	ds_read_b32 v30, v14 offset:4
	v_and_b32_e32 v32, 0xffff, v26
	s_waitcnt lgkmcnt(0)
	v_and_b32_e32 v31, 0xffff, v30
	v_lshrrev_b32_e32 v30, 16, v30
	;;#ASMSTART
	v_cvt_f32_f16 v25, v31;
	;;#ASMEND
	;;#ASMSTART
	v_cvt_f32_f16 v26, v30;
	;;#ASMEND
	;; [unrolled: 3-line block ×4, first 2 shown]
	ds_read_b32 v32, v14 offset:8
	v_mul_f32_e32 v22, v25, v30
	v_mul_f32_e32 v25, v26, v31
	v_and_b32_e32 v26, 0xffff, v7
	v_fmac_f32_e32 v22, v1, v24
	v_fmac_f32_e32 v25, v23, v29
	v_and_b32_e32 v24, 0xffff, v8
	s_waitcnt lgkmcnt(0)
	v_and_b32_e32 v33, 0xffff, v32
	v_lshrrev_b32_e32 v32, 16, v32
	;;#ASMSTART
	v_cvt_f32_f16 v27, v33;
	;;#ASMEND
	;;#ASMSTART
	v_cvt_f32_f16 v28, v32;
	;;#ASMEND
	;;#ASMSTART
	v_cvt_f32_f16 v32, v34;
	;;#ASMEND
	;;#ASMSTART
	v_cvt_f32_f16 v33, v35;
	;;#ASMEND
	ds_read_b32 v34, v14 offset:12
	v_xor_b32_e32 v35, 2, v12
	v_fmac_f32_e32 v22, v27, v32
	v_fmac_f32_e32 v25, v28, v33
	v_cmp_gt_i32_e64 s2, 32, v35
	v_cndmask_b32_e64 v7, v12, v35, s2
	s_waitcnt lgkmcnt(0)
	v_and_b32_e32 v1, 0xffff, v34
	v_lshrrev_b32_e32 v23, 16, v34
	;;#ASMSTART
	v_cvt_f32_f16 v1, v1;
	;;#ASMEND
	;;#ASMSTART
	v_cvt_f32_f16 v8, v23;
	;;#ASMEND
	;; [unrolled: 3-line block ×4, first 2 shown]
	v_fmac_f32_e32 v22, v1, v23
	v_fmac_f32_e32 v25, v8, v24
	v_lshlrev_b32_e32 v1, 2, v7
	v_xor_b32_e32 v8, 1, v12
	v_add_f32_e32 v7, v22, v25
	v_cmp_gt_i32_e64 s2, 32, v8
	ds_bpermute_b32 v1, v1, v7
	v_cndmask_b32_e64 v8, v12, v8, s2
	s_waitcnt lgkmcnt(0)
	v_add_f32_e32 v1, v7, v1
	v_lshlrev_b32_e32 v7, 2, v8
	ds_bpermute_b32 v7, v7, v1
	s_and_saveexec_b32 s3, vcc_lo
	s_cbranch_execz .LBB243_8
; %bb.74:                               ;   in Loop: Header=BB243_9 Depth=1
	v_add_nc_u32_e32 v8, s4, v15
	s_waitcnt lgkmcnt(0)
	v_add_f32_e32 v1, v1, v7
	v_cmp_gt_i32_e64 s2, s11, v15
	v_cvt_f32_i32_e32 v8, v8
	v_mul_f32_e32 v8, s28, v8
	v_cndmask_b32_e64 v7, 0, v8, s1
	v_max_f32_e32 v8, v10, v10
	v_fmac_f32_e32 v7, s29, v1
	v_max_f32_e32 v1, v8, v7
	v_cndmask_b32_e64 v7, 0, v7, s2
	v_cndmask_b32_e64 v10, v10, v1, s2
	ds_write_b32 v16, v7
	s_branch .LBB243_8
.LBB243_75:
	s_or_b32 exec_lo, exec_lo, s5
.LBB243_76:
	s_or_b32 exec_lo, exec_lo, s19
	v_xor_b32_e32 v1, 16, v12
	v_xor_b32_e32 v4, 8, v12
	v_max_f32_e32 v5, v10, v10
	v_xor_b32_e32 v6, 4, v12
	v_cmp_lt_i32_e32 vcc_lo, v1, v13
	v_cndmask_b32_e32 v1, v12, v1, vcc_lo
	v_cmp_lt_i32_e32 vcc_lo, v4, v13
	v_lshlrev_b32_e32 v3, 2, v1
	v_cndmask_b32_e32 v4, v12, v4, vcc_lo
	v_cmp_lt_i32_e32 vcc_lo, v6, v13
	ds_bpermute_b32 v1, v3, v10
	v_lshlrev_b32_e32 v4, 2, v4
	v_cndmask_b32_e32 v6, v12, v6, vcc_lo
	v_and_b32_e32 v10, 31, v0
	s_waitcnt lgkmcnt(0)
	v_lshlrev_b32_e32 v7, 2, v6
	v_cmp_eq_u32_e32 vcc_lo, 0, v10
	v_max_f32_e32 v1, v1, v1
	v_max_f32_e32 v1, v5, v1
	ds_bpermute_b32 v5, v4, v1
	s_waitcnt lgkmcnt(0)
	v_max_f32_e32 v5, v5, v5
	v_max_f32_e32 v1, v1, v5
	v_lshlrev_b32_e32 v5, 2, v9
	ds_bpermute_b32 v6, v7, v1
	s_and_saveexec_b32 s1, vcc_lo
	s_cbranch_execz .LBB243_78
; %bb.77:
	s_waitcnt lgkmcnt(0)
	v_max_f32_e32 v6, v6, v6
	v_max_f32_e32 v1, v1, v1
	;; [unrolled: 1-line block ×3, first 2 shown]
	ds_write_b32 v5, v1 offset:64
.LBB243_78:
	s_or_b32 exec_lo, exec_lo, s1
	v_cmp_gt_u32_e64 s1, 4, v10
	v_mov_b32_e32 v1, 0xff7fffff
	s_waitcnt lgkmcnt(0)
	v_lshlrev_b32_e32 v6, 2, v10
	s_barrier
	buffer_gl0_inv
	s_and_saveexec_b32 s2, s1
; %bb.79:
	ds_read_b32 v1, v6 offset:64
; %bb.80:
	s_or_b32 exec_lo, exec_lo, s2
	v_xor_b32_e32 v8, 2, v12
	v_xor_b32_e32 v15, 1, v12
	v_lshlrev_b32_e32 v2, 2, v2
	v_cmp_lt_i32_e64 s2, v8, v13
	v_cndmask_b32_e64 v8, v12, v8, s2
	v_cmp_lt_i32_e64 s2, v15, v13
	v_lshlrev_b32_e32 v8, 2, v8
	v_cndmask_b32_e64 v13, v12, v15, s2
	s_lshl_b32 s2, s16, 3
	s_min_i32 s4, s2, s11
	s_waitcnt lgkmcnt(0)
	ds_bpermute_b32 v14, v8, v1
	v_max_f32_e32 v1, v1, v1
	v_lshlrev_b32_e32 v13, 2, v13
	v_cmp_gt_i32_e64 s2, s4, v0
	s_waitcnt lgkmcnt(0)
	v_max_f32_e32 v14, v14, v14
	v_max_f32_e32 v1, v1, v14
	ds_bpermute_b32 v14, v13, v1
	s_waitcnt lgkmcnt(0)
	v_max_f32_e32 v14, v14, v14
	v_max_f32_e32 v1, v1, v14
	ds_bpermute_b32 v14, v2, v1
	v_mov_b32_e32 v2, 0
	v_lshl_add_u32 v1, v0, 2, 0x60
	s_and_saveexec_b32 s5, s2
	s_cbranch_execz .LBB243_84
; %bb.81:
	v_lshl_add_u32 v15, v0, 2, 0x60
	v_mov_b32_e32 v2, 0
	v_mov_b32_e32 v16, v0
	s_mov_b32 s12, 0
	.p2align	6
.LBB243_82:                             ; =>This Inner Loop Header: Depth=1
	ds_read_b32 v17, v15
	v_add_nc_u32_e32 v16, 0x80, v16
	v_cmp_le_i32_e64 s3, s4, v16
	s_or_b32 s12, s3, s12
	s_waitcnt lgkmcnt(0)
	v_sub_f32_e32 v17, v17, v14
	v_mul_f32_e32 v17, 0x3fb8aa3b, v17
	v_exp_f32_e32 v17, v17
	ds_write_b32 v15, v17
	v_add_f32_e32 v2, v2, v17
	v_add_nc_u32_e32 v15, 0x200, v15
	s_andn2_b32 exec_lo, exec_lo, s12
	s_cbranch_execnz .LBB243_82
; %bb.83:
	s_or_b32 exec_lo, exec_lo, s12
.LBB243_84:
	s_or_b32 exec_lo, exec_lo, s5
	ds_bpermute_b32 v3, v3, v2
	s_waitcnt lgkmcnt(0)
	v_add_f32_e32 v2, v2, v3
	ds_bpermute_b32 v3, v4, v2
	s_waitcnt lgkmcnt(0)
	v_add_f32_e32 v2, v2, v3
	;; [unrolled: 3-line block ×5, first 2 shown]
	s_and_saveexec_b32 s3, vcc_lo
; %bb.85:
	ds_write_b32 v5, v2 offset:80
; %bb.86:
	s_or_b32 exec_lo, exec_lo, s3
	s_waitcnt lgkmcnt(0)
	s_barrier
	buffer_gl0_inv
	s_and_saveexec_b32 s3, s1
; %bb.87:
	ds_read_b32 v2, v6 offset:80
; %bb.88:
	s_or_b32 exec_lo, exec_lo, s3
	s_waitcnt lgkmcnt(0)
	ds_bpermute_b32 v3, v8, v2
	v_lshlrev_b32_e32 v4, 2, v12
	s_waitcnt lgkmcnt(0)
	v_add_f32_e32 v2, v2, v3
	ds_bpermute_b32 v3, v13, v2
	s_waitcnt lgkmcnt(0)
	v_add_f32_e32 v2, v2, v3
	v_and_b32_e32 v3, 0xffffff80, v4
	ds_bpermute_b32 v2, v3, v2
	s_and_saveexec_b32 s1, s2
	s_cbranch_execz .LBB243_91
; %bb.89:
	s_waitcnt lgkmcnt(0)
	v_add_f32_e32 v2, 0x358637bd, v2
	s_mov_b32 s2, 0
	v_div_scale_f32 v3, null, v2, v2, 1.0
	v_div_scale_f32 v6, vcc_lo, 1.0, v2, 1.0
	v_rcp_f32_e32 v4, v3
	v_fma_f32 v5, -v3, v4, 1.0
	v_fmac_f32_e32 v4, v5, v4
	v_mul_f32_e32 v5, v6, v4
	v_fma_f32 v7, -v3, v5, v6
	v_fmac_f32_e32 v5, v7, v4
	v_fma_f32 v3, -v3, v5, v6
	v_div_fmas_f32 v3, v3, v4, v5
	v_div_fixup_f32 v2, v3, v2, 1.0
	v_mov_b32_e32 v3, v0
.LBB243_90:                             ; =>This Inner Loop Header: Depth=1
	ds_read_b32 v4, v1
	v_add_nc_u32_e32 v3, 0x80, v3
	v_cmp_le_i32_e32 vcc_lo, s4, v3
	s_or_b32 s2, vcc_lo, s2
	s_waitcnt lgkmcnt(0)
	v_mul_f32_e32 v4, v2, v4
	ds_write_b32 v1, v4
	v_add_nc_u32_e32 v1, 0x200, v1
	s_andn2_b32 exec_lo, exec_lo, s2
	s_cbranch_execnz .LBB243_90
.LBB243_91:
	s_or_b32 exec_lo, exec_lo, s1
	v_mov_b32_e32 v12, 0
	s_waitcnt lgkmcnt(0)
	s_barrier
	buffer_gl0_inv
	s_and_saveexec_b32 s4, s0
	s_cbranch_execz .LBB243_161
; %bb.92:
	v_lshlrev_b32_e32 v1, 3, v10
	s_ashr_i32 s0, s18, 31
	s_add_u32 s1, s26, s18
	s_addc_u32 s0, s27, s0
	s_add_i32 s12, s16, -1
	v_add_co_u32 v3, s1, s1, v1
	v_and_b32_e32 v1, 0x7c, v11
	v_add_co_ci_u32_e64 v4, null, s0, 0, s1
	s_lshl_b64 s[0:1], s[24:25], 2
	v_mov_b32_e32 v2, 0
	s_add_u32 s0, s22, s0
	s_addc_u32 s1, s23, s1
	v_add_co_u32 v5, s0, s0, v1
	v_lshl_or_b32 v13, v9, 3, 7
	v_lshl_add_u32 v11, v9, 5, 0x60
	v_add_co_ci_u32_e64 v6, null, s1, 0, s0
	v_mov_b32_e32 v14, 0x7f
	v_mov_b32_e32 v15, 0x80
	;; [unrolled: 1-line block ×5, first 2 shown]
	v_bfrev_b32_e32 v19, 1
	v_mov_b32_e32 v20, v9
	v_mov_b32_e32 v12, 0
	s_mov_b32 s2, 0
	s_mov_b32 s5, s17
	;; [unrolled: 1-line block ×4, first 2 shown]
	s_branch .LBB243_94
.LBB243_93:                             ;   in Loop: Header=BB243_94 Depth=1
	s_or_b32 exec_lo, exec_lo, s0
	v_and_b32_e32 v1, 0xffff, v25
	v_and_b32_e32 v7, 0xffff, v26
	;; [unrolled: 1-line block ×4, first 2 shown]
	v_add_nc_u32_e32 v20, 4, v20
	v_lshl_or_b32 v1, v21, 16, v1
	v_lshl_or_b32 v7, v22, 16, v7
	;; [unrolled: 1-line block ×4, first 2 shown]
	;;#ASMSTART
	v_pk_mul_f16 v1, v1, v34;

	;;#ASMEND
	;;#ASMSTART
	v_pk_mul_f16 v7, v7, v33;

	;;#ASMEND
	;;#ASMSTART
	v_pk_mul_f16 v8, v8, v35;

	;;#ASMEND
	;;#ASMSTART
	v_pk_mul_f16 v21, v21, v36;

	;;#ASMEND
	;;#ASMSTART
	v_pk_add_f16 v1, v1, v7;

	;;#ASMEND
	;;#ASMSTART
	v_pk_add_f16 v1, v1, v8;

	;;#ASMEND
	;; [unrolled: 4-line block ×3, first 2 shown]
	v_and_b32_e32 v7, 0xffff, v1
	v_lshrrev_b32_e32 v8, 16, v1
	;;#ASMSTART
	v_cvt_f32_f16 v1, v7;
	;;#ASMEND
	;;#ASMSTART
	v_cvt_f32_f16 v7, v8;
	;;#ASMEND
	v_add_f32_e32 v1, v1, v7
	v_cmp_le_i32_e32 vcc_lo, s16, v20
	v_add_co_u32 v5, s0, v5, 16
	v_add_nc_u32_e32 v13, 32, v13
	v_add_nc_u32_e32 v11, 0x80, v11
	v_add_f32_e32 v12, v12, v1
	v_add_co_ci_u32_e64 v6, null, 0, v6, s0
	s_or_b32 s13, vcc_lo, s13
	s_andn2_b32 exec_lo, exec_lo, s13
	s_cbranch_execz .LBB243_160
.LBB243_94:                             ; =>This Inner Loop Header: Depth=1
	ds_read2_b64 v[21:24], v11 offset1:1
	ds_read2_b64 v[27:30], v11 offset0:2 offset1:3
	s_mov_b32 s1, 0
	s_waitcnt lgkmcnt(1)
	;;#ASMSTART
	v_cvt_f16_f32 v25, v21;

	;;#ASMEND
	;;#ASMSTART
	v_cvt_f16_f32 v21, v22;

	;;#ASMEND
	;; [unrolled: 4-line block ×4, first 2 shown]
	s_waitcnt lgkmcnt(0)
	;;#ASMSTART
	v_cvt_f16_f32 v27, v27;

	;;#ASMEND
	;;#ASMSTART
	v_cvt_f16_f32 v23, v28;

	;;#ASMEND
	;; [unrolled: 4-line block ×4, first 2 shown]
	global_load_dword v1, v[5:6], off
	s_waitcnt vmcnt(0)
	v_mad_i64_i32 v[7:8], null, v1, s5, v[3:4]
	global_load_dwordx2 v[7:8], v[7:8], off
	global_load_dword v29, v2, s[14:15]
	s_waitcnt vmcnt(1)
	v_cmp_gt_i16_sdwa s0, v7, v14 src0_sel:BYTE_0 src1_sel:DWORD
	s_and_saveexec_b32 s17, s0
	s_xor_b32 s0, exec_lo, s17
	s_cbranch_execnz .LBB243_97
; %bb.95:                               ;   in Loop: Header=BB243_94 Depth=1
	s_or_saveexec_b32 s0, s0
	v_mov_b32_e32 v30, 0x8000
	s_xor_b32 exec_lo, exec_lo, s0
	s_cbranch_execnz .LBB243_100
.LBB243_96:                             ;   in Loop: Header=BB243_94 Depth=1
	s_or_b32 exec_lo, exec_lo, s0
	s_and_saveexec_b32 s0, s1
	s_cbranch_execnz .LBB243_101
	s_branch .LBB243_104
.LBB243_97:                             ;   in Loop: Header=BB243_94 Depth=1
	v_cmp_eq_u16_sdwa s18, v7, v15 src0_sel:BYTE_0 src1_sel:DWORD
	s_mov_b32 s1, -1
	s_and_saveexec_b32 s17, s18
; %bb.98:                               ;   in Loop: Header=BB243_94 Depth=1
	s_xor_b32 s1, exec_lo, -1
; %bb.99:                               ;   in Loop: Header=BB243_94 Depth=1
	s_or_b32 exec_lo, exec_lo, s17
	s_and_b32 s1, s1, exec_lo
	s_or_saveexec_b32 s0, s0
	v_mov_b32_e32 v30, 0x8000
	s_xor_b32 exec_lo, exec_lo, s0
	s_cbranch_execz .LBB243_96
.LBB243_100:                            ;   in Loop: Header=BB243_94 Depth=1
	v_cmp_ne_u16_sdwa s17, v7, v2 src0_sel:BYTE_0 src1_sel:DWORD
	v_and_b32_sdwa v30, v16, v7 dst_sel:DWORD dst_unused:UNUSED_PAD src0_sel:DWORD src1_sel:BYTE_0
	s_andn2_b32 s1, s1, exec_lo
	s_and_b32 s17, s17, exec_lo
	s_or_b32 s1, s1, s17
	s_or_b32 exec_lo, exec_lo, s0
	s_and_saveexec_b32 s0, s1
	s_cbranch_execz .LBB243_104
.LBB243_101:                            ;   in Loop: Header=BB243_94 Depth=1
	v_and_b32_e32 v1, 0x7f, v7
	v_mov_b32_e32 v30, 0x7c01
	s_mov_b32 s1, exec_lo
	v_cmpx_ne_u32_e32 0x7f, v1
	s_cbranch_execz .LBB243_103
; %bb.102:                              ;   in Loop: Header=BB243_94 Depth=1
	v_and_b32_e32 v32, 7, v7
	v_cmp_gt_u32_e32 vcc_lo, 8, v1
	v_ffbh_u32_e32 v30, v32
	v_min_u32_e32 v33, 32, v30
	v_subrev_nc_u32_e32 v30, 28, v33
	v_sub_nc_u32_e32 v33, 29, v33
	v_lshlrev_b64 v[30:31], v30, v[7:8]
	v_lshrrev_b32_e32 v31, 3, v1
	v_and_b32_e32 v30, 7, v30
	v_cndmask_b32_e32 v1, v32, v30, vcc_lo
	v_cndmask_b32_e32 v30, v31, v33, vcc_lo
	v_lshlrev_b32_e32 v31, 8, v7
	v_lshl_add_u32 v30, v30, 10, 0x2000
	v_and_b32_e32 v30, 0xfc00, v30
	v_and_or_b32 v30, 0x8000, v31, v30
	v_lshl_or_b32 v30, v1, 7, v30
.LBB243_103:                            ;   in Loop: Header=BB243_94 Depth=1
	s_or_b32 exec_lo, exec_lo, s1
.LBB243_104:                            ;   in Loop: Header=BB243_94 Depth=1
	s_or_b32 exec_lo, exec_lo, s0
	v_lshrrev_b16 v1, 8, v7
	s_mov_b32 s1, 0
	s_mov_b32 s0, exec_lo
	v_cmpx_lt_i16_e32 0x7f, v1
	s_xor_b32 s0, exec_lo, s0
	s_cbranch_execz .LBB243_108
; %bb.105:                              ;   in Loop: Header=BB243_94 Depth=1
	s_mov_b32 s1, -1
	s_mov_b32 s17, exec_lo
	v_cmpx_eq_u16_e32 0x80, v1
; %bb.106:                              ;   in Loop: Header=BB243_94 Depth=1
	s_xor_b32 s1, exec_lo, -1
; %bb.107:                              ;   in Loop: Header=BB243_94 Depth=1
	s_or_b32 exec_lo, exec_lo, s17
	s_and_b32 s1, s1, exec_lo
.LBB243_108:                            ;   in Loop: Header=BB243_94 Depth=1
	s_or_saveexec_b32 s0, s0
	v_bfrev_b32_e32 v31, 1
	v_and_b32_e32 v32, 0xffff, v1
	s_xor_b32 exec_lo, exec_lo, s0
; %bb.109:                              ;   in Loop: Header=BB243_94 Depth=1
	v_cmp_ne_u16_e32 vcc_lo, 0, v1
	v_mov_b32_e32 v31, v32
	s_andn2_b32 s1, s1, exec_lo
	s_and_b32 s17, vcc_lo, exec_lo
	s_or_b32 s1, s1, s17
; %bb.110:                              ;   in Loop: Header=BB243_94 Depth=1
	s_or_b32 exec_lo, exec_lo, s0
	s_and_saveexec_b32 s0, s1
	s_cbranch_execz .LBB243_114
; %bb.111:                              ;   in Loop: Header=BB243_94 Depth=1
	v_and_b32_sdwa v32, v1, v14 dst_sel:DWORD dst_unused:UNUSED_PAD src0_sel:WORD_0 src1_sel:DWORD
	v_mov_b32_e32 v31, 0x7c010000
	s_mov_b32 s1, exec_lo
	v_cmpx_ne_u32_e32 0x7f, v32
	s_cbranch_execz .LBB243_113
; %bb.112:                              ;   in Loop: Header=BB243_94 Depth=1
	v_and_b32_sdwa v31, v1, v17 dst_sel:DWORD dst_unused:UNUSED_PAD src0_sel:WORD_0 src1_sel:DWORD
	v_cmp_gt_u32_e32 vcc_lo, 8, v32
	v_ffbh_u32_e32 v33, v31
	v_min_u32_e32 v35, 32, v33
	v_subrev_nc_u32_e32 v33, 28, v35
	v_sub_nc_u32_e32 v35, 29, v35
	v_lshlrev_b64 v[33:34], v33, v[1:2]
	v_lshrrev_b32_e32 v34, 3, v32
	v_lshlrev_b32_sdwa v1, v18, v1 dst_sel:DWORD dst_unused:UNUSED_PAD src0_sel:DWORD src1_sel:WORD_0
	v_cndmask_b32_e32 v32, v34, v35, vcc_lo
	v_and_b32_e32 v33, 7, v33
	v_lshl_add_u32 v32, v32, 10, 0x2000
	v_cndmask_b32_e32 v31, v31, v33, vcc_lo
	v_and_or_b32 v1, 0x8000, v1, v32
	v_lshlrev_b32_e32 v1, 16, v1
	v_lshl_or_b32 v31, v31, 23, v1
.LBB243_113:                            ;   in Loop: Header=BB243_94 Depth=1
	s_or_b32 exec_lo, exec_lo, s1
.LBB243_114:                            ;   in Loop: Header=BB243_94 Depth=1
	s_or_b32 exec_lo, exec_lo, s0
	v_lshrrev_b32_e32 v1, 16, v7
	s_mov_b32 s1, 0
	v_cmp_gt_i16_sdwa s0, v1, v14 src0_sel:BYTE_0 src1_sel:DWORD
	s_and_saveexec_b32 s17, s0
	s_xor_b32 s0, exec_lo, s17
	s_cbranch_execnz .LBB243_117
; %bb.115:                              ;   in Loop: Header=BB243_94 Depth=1
	s_or_saveexec_b32 s0, s0
	v_mov_b32_e32 v32, 0x8000
	s_xor_b32 exec_lo, exec_lo, s0
	s_cbranch_execnz .LBB243_120
.LBB243_116:                            ;   in Loop: Header=BB243_94 Depth=1
	s_or_b32 exec_lo, exec_lo, s0
	s_and_saveexec_b32 s0, s1
	s_cbranch_execnz .LBB243_121
	s_branch .LBB243_124
.LBB243_117:                            ;   in Loop: Header=BB243_94 Depth=1
	v_cmp_eq_u16_sdwa s18, v1, v15 src0_sel:BYTE_0 src1_sel:DWORD
	s_mov_b32 s1, -1
	s_and_saveexec_b32 s17, s18
; %bb.118:                              ;   in Loop: Header=BB243_94 Depth=1
	s_xor_b32 s1, exec_lo, -1
; %bb.119:                              ;   in Loop: Header=BB243_94 Depth=1
	s_or_b32 exec_lo, exec_lo, s17
	s_and_b32 s1, s1, exec_lo
	s_or_saveexec_b32 s0, s0
	v_mov_b32_e32 v32, 0x8000
	s_xor_b32 exec_lo, exec_lo, s0
	s_cbranch_execz .LBB243_116
.LBB243_120:                            ;   in Loop: Header=BB243_94 Depth=1
	v_cmp_ne_u16_sdwa s17, v1, v2 src0_sel:BYTE_0 src1_sel:DWORD
	v_and_b32_sdwa v32, v16, v1 dst_sel:DWORD dst_unused:UNUSED_PAD src0_sel:DWORD src1_sel:BYTE_0
	s_andn2_b32 s1, s1, exec_lo
	s_and_b32 s17, s17, exec_lo
	s_or_b32 s1, s1, s17
	s_or_b32 exec_lo, exec_lo, s0
	s_and_saveexec_b32 s0, s1
	s_cbranch_execz .LBB243_124
.LBB243_121:                            ;   in Loop: Header=BB243_94 Depth=1
	v_and_b32_e32 v33, 0x7f, v1
	v_mov_b32_e32 v32, 0x7c01
	s_mov_b32 s1, exec_lo
	v_cmpx_ne_u32_e32 0x7f, v33
	s_cbranch_execz .LBB243_123
; %bb.122:                              ;   in Loop: Header=BB243_94 Depth=1
	v_and_b32_e32 v32, 7, v1
	v_cmp_gt_u32_e32 vcc_lo, 8, v33
	v_ffbh_u32_e32 v34, v32
	v_min_u32_e32 v36, 32, v34
	v_subrev_nc_u32_e32 v34, 28, v36
	v_sub_nc_u32_e32 v36, 29, v36
	v_lshlrev_b64 v[34:35], v34, v[1:2]
	v_lshrrev_b32_e32 v35, 3, v33
	v_lshlrev_b32_e32 v1, 8, v1
	v_cndmask_b32_e32 v33, v35, v36, vcc_lo
	v_and_b32_e32 v34, 7, v34
	v_lshl_add_u32 v33, v33, 10, 0x2000
	v_cndmask_b32_e32 v32, v32, v34, vcc_lo
	v_and_b32_e32 v33, 0xfc00, v33
	v_and_or_b32 v1, 0x8000, v1, v33
	v_lshl_or_b32 v32, v32, 7, v1
.LBB243_123:                            ;   in Loop: Header=BB243_94 Depth=1
	s_or_b32 exec_lo, exec_lo, s1
.LBB243_124:                            ;   in Loop: Header=BB243_94 Depth=1
	s_or_b32 exec_lo, exec_lo, s0
	v_lshrrev_b32_e32 v1, 24, v7
	v_bfe_u32 v34, v7, 24, 7
	v_cmp_gt_u32_e64 s1, 0x1000000, v7
	v_cmp_eq_u32_e32 vcc_lo, 0x80, v1
	v_cmp_eq_u32_e64 s0, 0x7f, v34
	v_cndmask_b32_e32 v33, 0x7c010000, v19, vcc_lo
	s_or_b32 s0, vcc_lo, s0
	v_cndmask_b32_e64 v33, v33, 0, s1
	s_nor_b32 s1, s1, s0
	s_and_saveexec_b32 s0, s1
	s_cbranch_execz .LBB243_126
; %bb.125:                              ;   in Loop: Header=BB243_94 Depth=1
	v_and_b32_e32 v33, 7, v1
	v_cmp_gt_u32_e32 vcc_lo, 8, v34
	v_ffbh_u32_e32 v35, v33
	v_min_u32_e32 v37, 32, v35
	v_subrev_nc_u32_e32 v35, 28, v37
	v_sub_nc_u32_e32 v37, 29, v37
	v_lshlrev_b64 v[35:36], v35, v[1:2]
	v_lshrrev_b32_e32 v36, 3, v34
	v_lshlrev_b32_e32 v1, 8, v1
	v_cndmask_b32_e32 v34, v36, v37, vcc_lo
	v_and_b32_e32 v35, 7, v35
	v_lshl_add_u32 v34, v34, 10, 0x2000
	v_cndmask_b32_e32 v33, v33, v35, vcc_lo
	v_and_or_b32 v1, 0x8000, v1, v34
	v_lshlrev_b32_e32 v1, 16, v1
	v_lshl_or_b32 v33, v33, 23, v1
.LBB243_126:                            ;   in Loop: Header=BB243_94 Depth=1
	s_or_b32 exec_lo, exec_lo, s0
	v_cmp_gt_i16_sdwa s0, v8, v14 src0_sel:BYTE_0 src1_sel:DWORD
	s_mov_b32 s1, 0
	s_and_saveexec_b32 s17, s0
	s_xor_b32 s0, exec_lo, s17
	s_cbranch_execnz .LBB243_129
; %bb.127:                              ;   in Loop: Header=BB243_94 Depth=1
	s_or_saveexec_b32 s0, s0
	v_mov_b32_e32 v34, 0x8000
	s_xor_b32 exec_lo, exec_lo, s0
	s_cbranch_execnz .LBB243_132
.LBB243_128:                            ;   in Loop: Header=BB243_94 Depth=1
	s_or_b32 exec_lo, exec_lo, s0
	v_mov_b32_e32 v1, v8
	s_and_saveexec_b32 s0, s1
	s_cbranch_execnz .LBB243_133
	s_branch .LBB243_136
.LBB243_129:                            ;   in Loop: Header=BB243_94 Depth=1
	v_cmp_eq_u16_sdwa s18, v8, v15 src0_sel:BYTE_0 src1_sel:DWORD
	s_mov_b32 s1, -1
	s_and_saveexec_b32 s17, s18
; %bb.130:                              ;   in Loop: Header=BB243_94 Depth=1
	s_xor_b32 s1, exec_lo, -1
; %bb.131:                              ;   in Loop: Header=BB243_94 Depth=1
	s_or_b32 exec_lo, exec_lo, s17
	s_and_b32 s1, s1, exec_lo
	s_or_saveexec_b32 s0, s0
	v_mov_b32_e32 v34, 0x8000
	s_xor_b32 exec_lo, exec_lo, s0
	s_cbranch_execz .LBB243_128
.LBB243_132:                            ;   in Loop: Header=BB243_94 Depth=1
	v_cmp_ne_u16_sdwa s17, v8, v2 src0_sel:BYTE_0 src1_sel:DWORD
	v_and_b32_sdwa v34, v16, v8 dst_sel:DWORD dst_unused:UNUSED_PAD src0_sel:DWORD src1_sel:BYTE_0
	s_andn2_b32 s1, s1, exec_lo
	s_and_b32 s17, s17, exec_lo
	s_or_b32 s1, s1, s17
	s_or_b32 exec_lo, exec_lo, s0
	v_mov_b32_e32 v1, v8
	s_and_saveexec_b32 s0, s1
	s_cbranch_execz .LBB243_136
.LBB243_133:                            ;   in Loop: Header=BB243_94 Depth=1
	v_and_b32_e32 v35, 0x7f, v8
	v_mov_b32_e32 v34, 0x7c01
	s_mov_b32 s1, exec_lo
	v_cmpx_ne_u32_e32 0x7f, v35
	s_cbranch_execz .LBB243_135
; %bb.134:                              ;   in Loop: Header=BB243_94 Depth=1
	v_and_b32_e32 v34, 7, v8
	v_cmp_gt_u32_e32 vcc_lo, 8, v35
	v_ffbh_u32_e32 v36, v34
	v_min_u32_e32 v38, 32, v36
	v_subrev_nc_u32_e32 v36, 28, v38
	v_sub_nc_u32_e32 v38, 29, v38
	v_lshlrev_b64 v[36:37], v36, v[1:2]
	v_lshrrev_b32_e32 v37, 3, v35
	v_cndmask_b32_e32 v35, v37, v38, vcc_lo
	v_and_b32_e32 v36, 7, v36
	v_lshl_add_u32 v35, v35, 10, 0x2000
	v_cndmask_b32_e32 v34, v34, v36, vcc_lo
	v_lshlrev_b32_e32 v36, 8, v8
	v_and_b32_e32 v35, 0xfc00, v35
	v_and_or_b32 v35, 0x8000, v36, v35
	v_lshl_or_b32 v34, v34, 7, v35
.LBB243_135:                            ;   in Loop: Header=BB243_94 Depth=1
	s_or_b32 exec_lo, exec_lo, s1
.LBB243_136:                            ;   in Loop: Header=BB243_94 Depth=1
	s_or_b32 exec_lo, exec_lo, s0
	v_lshrrev_b16 v1, 8, v1
	s_mov_b32 s1, 0
	s_mov_b32 s0, exec_lo
	v_cmpx_lt_i16_e32 0x7f, v1
	s_xor_b32 s0, exec_lo, s0
	s_cbranch_execz .LBB243_140
; %bb.137:                              ;   in Loop: Header=BB243_94 Depth=1
	s_mov_b32 s1, -1
	s_mov_b32 s17, exec_lo
	v_cmpx_eq_u16_e32 0x80, v1
; %bb.138:                              ;   in Loop: Header=BB243_94 Depth=1
	s_xor_b32 s1, exec_lo, -1
; %bb.139:                              ;   in Loop: Header=BB243_94 Depth=1
	s_or_b32 exec_lo, exec_lo, s17
	s_and_b32 s1, s1, exec_lo
.LBB243_140:                            ;   in Loop: Header=BB243_94 Depth=1
	s_or_saveexec_b32 s0, s0
	v_bfrev_b32_e32 v35, 1
	v_and_b32_e32 v36, 0xffff, v1
	s_xor_b32 exec_lo, exec_lo, s0
; %bb.141:                              ;   in Loop: Header=BB243_94 Depth=1
	v_cmp_ne_u16_e32 vcc_lo, 0, v1
	v_mov_b32_e32 v35, v36
	s_andn2_b32 s1, s1, exec_lo
	s_and_b32 s17, vcc_lo, exec_lo
	s_or_b32 s1, s1, s17
; %bb.142:                              ;   in Loop: Header=BB243_94 Depth=1
	s_or_b32 exec_lo, exec_lo, s0
	s_and_saveexec_b32 s0, s1
	s_cbranch_execz .LBB243_146
; %bb.143:                              ;   in Loop: Header=BB243_94 Depth=1
	v_and_b32_sdwa v36, v1, v14 dst_sel:DWORD dst_unused:UNUSED_PAD src0_sel:WORD_0 src1_sel:DWORD
	v_mov_b32_e32 v35, 0x7c010000
	s_mov_b32 s1, exec_lo
	v_cmpx_ne_u32_e32 0x7f, v36
	s_cbranch_execz .LBB243_145
; %bb.144:                              ;   in Loop: Header=BB243_94 Depth=1
	v_and_b32_sdwa v35, v1, v17 dst_sel:DWORD dst_unused:UNUSED_PAD src0_sel:WORD_0 src1_sel:DWORD
	v_cmp_gt_u32_e32 vcc_lo, 8, v36
	v_ffbh_u32_e32 v37, v35
	v_min_u32_e32 v39, 32, v37
	v_subrev_nc_u32_e32 v37, 28, v39
	v_sub_nc_u32_e32 v39, 29, v39
	v_lshlrev_b64 v[37:38], v37, v[1:2]
	v_lshrrev_b32_e32 v38, 3, v36
	v_lshlrev_b32_sdwa v1, v18, v1 dst_sel:DWORD dst_unused:UNUSED_PAD src0_sel:DWORD src1_sel:WORD_0
	v_cndmask_b32_e32 v36, v38, v39, vcc_lo
	v_and_b32_e32 v37, 7, v37
	v_lshl_add_u32 v36, v36, 10, 0x2000
	v_cndmask_b32_e32 v35, v35, v37, vcc_lo
	v_and_or_b32 v1, 0x8000, v1, v36
	v_lshlrev_b32_e32 v1, 16, v1
	v_lshl_or_b32 v35, v35, 23, v1
.LBB243_145:                            ;   in Loop: Header=BB243_94 Depth=1
	s_or_b32 exec_lo, exec_lo, s1
.LBB243_146:                            ;   in Loop: Header=BB243_94 Depth=1
	s_or_b32 exec_lo, exec_lo, s0
	v_lshrrev_b32_e32 v1, 16, v8
	s_mov_b32 s1, 0
	v_cmp_gt_i16_sdwa s0, v1, v14 src0_sel:BYTE_0 src1_sel:DWORD
	s_and_saveexec_b32 s17, s0
	s_xor_b32 s0, exec_lo, s17
	s_cbranch_execnz .LBB243_149
; %bb.147:                              ;   in Loop: Header=BB243_94 Depth=1
	s_or_saveexec_b32 s0, s0
	v_mov_b32_e32 v36, 0x8000
	s_xor_b32 exec_lo, exec_lo, s0
	s_cbranch_execnz .LBB243_152
.LBB243_148:                            ;   in Loop: Header=BB243_94 Depth=1
	s_or_b32 exec_lo, exec_lo, s0
	s_and_saveexec_b32 s0, s1
	s_cbranch_execnz .LBB243_153
	s_branch .LBB243_156
.LBB243_149:                            ;   in Loop: Header=BB243_94 Depth=1
	v_cmp_eq_u16_sdwa s18, v1, v15 src0_sel:BYTE_0 src1_sel:DWORD
	s_mov_b32 s1, -1
	s_and_saveexec_b32 s17, s18
; %bb.150:                              ;   in Loop: Header=BB243_94 Depth=1
	s_xor_b32 s1, exec_lo, -1
; %bb.151:                              ;   in Loop: Header=BB243_94 Depth=1
	s_or_b32 exec_lo, exec_lo, s17
	s_and_b32 s1, s1, exec_lo
	s_or_saveexec_b32 s0, s0
	v_mov_b32_e32 v36, 0x8000
	s_xor_b32 exec_lo, exec_lo, s0
	s_cbranch_execz .LBB243_148
.LBB243_152:                            ;   in Loop: Header=BB243_94 Depth=1
	v_cmp_ne_u16_sdwa s17, v1, v2 src0_sel:BYTE_0 src1_sel:DWORD
	v_and_b32_sdwa v36, v16, v1 dst_sel:DWORD dst_unused:UNUSED_PAD src0_sel:DWORD src1_sel:BYTE_0
	s_andn2_b32 s1, s1, exec_lo
	s_and_b32 s17, s17, exec_lo
	s_or_b32 s1, s1, s17
	s_or_b32 exec_lo, exec_lo, s0
	s_and_saveexec_b32 s0, s1
	s_cbranch_execz .LBB243_156
.LBB243_153:                            ;   in Loop: Header=BB243_94 Depth=1
	v_and_b32_e32 v37, 0x7f, v1
	v_mov_b32_e32 v36, 0x7c01
	s_mov_b32 s1, exec_lo
	v_cmpx_ne_u32_e32 0x7f, v37
	s_cbranch_execz .LBB243_155
; %bb.154:                              ;   in Loop: Header=BB243_94 Depth=1
	v_and_b32_e32 v36, 7, v1
	v_cmp_gt_u32_e32 vcc_lo, 8, v37
	v_ffbh_u32_e32 v38, v36
	v_min_u32_e32 v40, 32, v38
	v_subrev_nc_u32_e32 v38, 28, v40
	v_sub_nc_u32_e32 v40, 29, v40
	v_lshlrev_b64 v[38:39], v38, v[1:2]
	v_lshrrev_b32_e32 v39, 3, v37
	v_lshlrev_b32_e32 v1, 8, v1
	v_cndmask_b32_e32 v37, v39, v40, vcc_lo
	v_and_b32_e32 v38, 7, v38
	v_lshl_add_u32 v37, v37, 10, 0x2000
	v_cndmask_b32_e32 v36, v36, v38, vcc_lo
	v_and_b32_e32 v37, 0xfc00, v37
	v_and_or_b32 v1, 0x8000, v1, v37
	v_lshl_or_b32 v36, v36, 7, v1
.LBB243_155:                            ;   in Loop: Header=BB243_94 Depth=1
	s_or_b32 exec_lo, exec_lo, s1
.LBB243_156:                            ;   in Loop: Header=BB243_94 Depth=1
	s_or_b32 exec_lo, exec_lo, s0
	v_lshrrev_b32_e32 v1, 24, v8
	v_bfe_u32 v37, v8, 24, 7
	v_cmp_gt_u64_e64 s1, s[2:3], v[7:8]
	v_cmp_eq_u32_e32 vcc_lo, 0x80, v1
	v_cmp_eq_u32_e64 s0, 0x7f, v37
	v_cndmask_b32_e32 v38, 0x7c010000, v19, vcc_lo
	s_or_b32 s0, vcc_lo, s0
	v_cndmask_b32_e64 v7, v38, 0, s1
	s_nor_b32 s1, s1, s0
	s_and_saveexec_b32 s0, s1
	s_cbranch_execz .LBB243_158
; %bb.157:                              ;   in Loop: Header=BB243_94 Depth=1
	v_and_b32_e32 v38, 7, v1
	v_cmp_gt_u32_e32 vcc_lo, 8, v37
	v_ffbh_u32_e32 v7, v38
	v_min_u32_e32 v39, 32, v7
	v_subrev_nc_u32_e32 v7, 28, v39
	v_sub_nc_u32_e32 v39, 29, v39
	v_lshlrev_b64 v[7:8], v7, v[1:2]
	v_lshrrev_b32_e32 v8, 3, v37
	v_lshlrev_b32_e32 v1, 8, v1
	v_cndmask_b32_e32 v8, v8, v39, vcc_lo
	v_and_b32_e32 v7, 7, v7
	v_lshl_add_u32 v8, v8, 10, 0x2000
	v_cndmask_b32_e32 v7, v38, v7, vcc_lo
	v_and_or_b32 v1, 0x8000, v1, v8
	v_lshlrev_b32_e32 v1, 16, v1
	v_lshl_or_b32 v7, v7, 23, v1
.LBB243_158:                            ;   in Loop: Header=BB243_94 Depth=1
	s_or_b32 exec_lo, exec_lo, s0
	v_or_b32_e32 v1, v33, v32
	s_waitcnt vmcnt(0)
	v_fma_mixlo_f16 v8, v29, v33, 0 op_sel:[0,1,0] op_sel_hi:[0,1,0]
	v_or_b32_e32 v30, v31, v30
	v_or_b32_e32 v33, v35, v34
	;; [unrolled: 1-line block ×3, first 2 shown]
	v_fma_mixlo_f16 v31, v29, v31, 0 op_sel:[0,1,0] op_sel_hi:[0,1,0]
	v_fma_mixlo_f16 v34, v29, v1, 0 op_sel_hi:[0,1,0]
	v_lshlrev_b32_e32 v1, 16, v8
	v_fma_mixlo_f16 v8, v29, v30, 0 op_sel_hi:[0,1,0]
	v_fma_mixlo_f16 v30, v29, v35, 0 op_sel:[0,1,0] op_sel_hi:[0,1,0]
	v_fma_mixlo_f16 v33, v29, v33, 0 op_sel_hi:[0,1,0]
	v_fma_mixlo_f16 v7, v29, v7, 0 op_sel:[0,1,0] op_sel_hi:[0,1,0]
	v_fma_mixlo_f16 v29, v29, v36, 0 op_sel_hi:[0,1,0]
	v_lshlrev_b32_e32 v32, 16, v31
	v_and_b32_e32 v31, 0xffff, v34
	v_and_b32_e32 v37, 0xffff, v8
	v_lshlrev_b32_e32 v8, 16, v30
	v_and_b32_e32 v30, 0xffff, v33
	v_lshlrev_b32_e32 v7, 16, v7
	v_and_b32_e32 v29, 0xffff, v29
	v_or_b32_e32 v33, v1, v31
	v_or_b32_e32 v34, v32, v37
	v_or_b32_e32 v35, v8, v30
	s_mov_b32 s0, exec_lo
	v_or_b32_e32 v36, v7, v29
	v_cmpx_eq_u32_e64 s12, v20
	s_cbranch_execz .LBB243_93
; %bb.159:                              ;   in Loop: Header=BB243_94 Depth=1
	v_add_nc_u32_e32 v33, -7, v13
	v_add_nc_u32_e32 v34, -6, v13
	;; [unrolled: 1-line block ×4, first 2 shown]
	v_cmp_gt_i32_e32 vcc_lo, s11, v33
	v_cndmask_b32_e32 v33, 0, v37, vcc_lo
	v_cmp_gt_i32_e32 vcc_lo, s11, v34
	v_add_nc_u32_e32 v34, -4, v13
	v_cndmask_b32_e32 v32, 0, v32, vcc_lo
	v_cmp_gt_i32_e32 vcc_lo, s11, v35
	v_add_nc_u32_e32 v35, -3, v13
	;; [unrolled: 3-line block ×3, first 2 shown]
	v_cndmask_b32_e32 v1, 0, v1, vcc_lo
	v_cmp_gt_i32_e32 vcc_lo, s11, v35
	v_cndmask_b32_e32 v30, 0, v30, vcc_lo
	v_cmp_gt_i32_e32 vcc_lo, s11, v36
	;; [unrolled: 2-line block ×3, first 2 shown]
	v_or_b32_e32 v34, v32, v33
	v_or_b32_e32 v33, v1, v31
	;; [unrolled: 1-line block ×3, first 2 shown]
	v_cndmask_b32_e32 v29, 0, v29, vcc_lo
	v_cmp_gt_i32_e32 vcc_lo, s11, v13
	v_cndmask_b32_e32 v7, 0, v7, vcc_lo
	v_or_b32_e32 v36, v7, v29
	s_branch .LBB243_93
.LBB243_160:
	s_or_b32 exec_lo, exec_lo, s13
.LBB243_161:
	s_or_b32 exec_lo, exec_lo, s4
	v_and_b32_e32 v2, 0x3c0, v0
	v_lshl_add_u32 v1, v10, 2, 0x60
	s_mov_b32 s0, exec_lo
	s_barrier
	buffer_gl0_inv
	v_cmpx_eq_u32_e32 64, v2
; %bb.162:
	v_lshlrev_b32_e32 v2, 7, v9
	v_add3_u32 v2, v1, v2, 0xffffff00
	ds_write_b32 v2, v12
; %bb.163:
	s_or_b32 exec_lo, exec_lo, s0
	v_and_b32_e32 v3, 0x3e0, v0
	s_mov_b32 s0, exec_lo
	s_waitcnt lgkmcnt(0)
	s_barrier
	buffer_gl0_inv
	v_lshl_add_u32 v2, v3, 2, v1
	v_cmpx_gt_u32_e32 64, v0
	s_cbranch_execz .LBB243_165
; %bb.164:
	ds_read_b32 v4, v2
	s_waitcnt lgkmcnt(0)
	v_add_f32_e32 v12, v12, v4
.LBB243_165:
	s_or_b32 exec_lo, exec_lo, s0
	s_mov_b32 s0, exec_lo
	s_barrier
	buffer_gl0_inv
	v_cmpx_eq_u32_e32 32, v3
; %bb.166:
	ds_write_b32 v1, v12
; %bb.167:
	s_or_b32 exec_lo, exec_lo, s0
	v_cmp_gt_u32_e32 vcc_lo, 32, v0
	s_waitcnt lgkmcnt(0)
	s_barrier
	buffer_gl0_inv
	s_and_saveexec_b32 s0, vcc_lo
	s_cbranch_execz .LBB243_169
; %bb.168:
	ds_read_b32 v0, v2
	s_waitcnt lgkmcnt(0)
	v_add_f32_e32 v12, v12, v0
.LBB243_169:
	s_or_b32 exec_lo, exec_lo, s0
	s_barrier
	buffer_gl0_inv
	s_and_saveexec_b32 s0, vcc_lo
	s_cbranch_execz .LBB243_171
; %bb.170:
	s_mul_i32 s0, s10, s7
	s_mul_i32 s2, s7, s6
	;; [unrolled: 1-line block ×3, first 2 shown]
	v_lshlrev_b32_e32 v0, 1, v10
	s_lshl_b32 s0, s0, 5
	;;#ASMSTART
	v_cvt_f16_f32 v1, v12;

	;;#ASMEND
	s_ashr_i32 s1, s0, 31
	s_lshl_b64 s[0:1], s[0:1], 1
	s_add_u32 s4, s20, s0
	s_addc_u32 s5, s21, s1
	s_ashr_i32 s3, s2, 31
	s_lshl_b64 s[0:1], s[2:3], 1
	s_add_u32 s2, s4, s0
	s_addc_u32 s3, s5, s1
	s_lshl_b32 s0, s8, 5
	s_ashr_i32 s1, s0, 31
	s_lshl_b64 s[0:1], s[0:1], 1
	s_add_u32 s0, s2, s0
	s_addc_u32 s1, s3, s1
	global_store_short v0, v1, s[0:1]
.LBB243_171:
	s_endpgm
	.section	.rodata,"a",@progbits
	.p2align	6, 0x0
	.amdhsa_kernel _ZN4vllm25paged_attention_v1_kernelIthLi32ELi8ELi128ELNS_18Fp8KVCacheDataTypeE1ELb0EEEvPT_PKS2_PKT0_S8_ifPKiSA_iPKfiiiSC_SC_iiiii
		.amdhsa_group_segment_fixed_size 96
		.amdhsa_private_segment_fixed_size 0
		.amdhsa_kernarg_size 384
		.amdhsa_user_sgpr_count 6
		.amdhsa_user_sgpr_private_segment_buffer 1
		.amdhsa_user_sgpr_dispatch_ptr 0
		.amdhsa_user_sgpr_queue_ptr 0
		.amdhsa_user_sgpr_kernarg_segment_ptr 1
		.amdhsa_user_sgpr_dispatch_id 0
		.amdhsa_user_sgpr_flat_scratch_init 0
		.amdhsa_user_sgpr_private_segment_size 0
		.amdhsa_wavefront_size32 1
		.amdhsa_uses_dynamic_stack 0
		.amdhsa_system_sgpr_private_segment_wavefront_offset 0
		.amdhsa_system_sgpr_workgroup_id_x 1
		.amdhsa_system_sgpr_workgroup_id_y 1
		.amdhsa_system_sgpr_workgroup_id_z 1
		.amdhsa_system_sgpr_workgroup_info 0
		.amdhsa_system_vgpr_workitem_id 0
		.amdhsa_next_free_vgpr 41
		.amdhsa_next_free_sgpr 35
		.amdhsa_reserve_vcc 1
		.amdhsa_reserve_flat_scratch 0
		.amdhsa_float_round_mode_32 0
		.amdhsa_float_round_mode_16_64 0
		.amdhsa_float_denorm_mode_32 3
		.amdhsa_float_denorm_mode_16_64 3
		.amdhsa_dx10_clamp 1
		.amdhsa_ieee_mode 1
		.amdhsa_fp16_overflow 0
		.amdhsa_workgroup_processor_mode 1
		.amdhsa_memory_ordered 1
		.amdhsa_forward_progress 1
		.amdhsa_shared_vgpr_count 0
		.amdhsa_exception_fp_ieee_invalid_op 0
		.amdhsa_exception_fp_denorm_src 0
		.amdhsa_exception_fp_ieee_div_zero 0
		.amdhsa_exception_fp_ieee_overflow 0
		.amdhsa_exception_fp_ieee_underflow 0
		.amdhsa_exception_fp_ieee_inexact 0
		.amdhsa_exception_int_div_zero 0
	.end_amdhsa_kernel
	.section	.text._ZN4vllm25paged_attention_v1_kernelIthLi32ELi8ELi128ELNS_18Fp8KVCacheDataTypeE1ELb0EEEvPT_PKS2_PKT0_S8_ifPKiSA_iPKfiiiSC_SC_iiiii,"axG",@progbits,_ZN4vllm25paged_attention_v1_kernelIthLi32ELi8ELi128ELNS_18Fp8KVCacheDataTypeE1ELb0EEEvPT_PKS2_PKT0_S8_ifPKiSA_iPKfiiiSC_SC_iiiii,comdat
.Lfunc_end243:
	.size	_ZN4vllm25paged_attention_v1_kernelIthLi32ELi8ELi128ELNS_18Fp8KVCacheDataTypeE1ELb0EEEvPT_PKS2_PKT0_S8_ifPKiSA_iPKfiiiSC_SC_iiiii, .Lfunc_end243-_ZN4vllm25paged_attention_v1_kernelIthLi32ELi8ELi128ELNS_18Fp8KVCacheDataTypeE1ELb0EEEvPT_PKS2_PKT0_S8_ifPKiSA_iPKfiiiSC_SC_iiiii
                                        ; -- End function
	.set _ZN4vllm25paged_attention_v1_kernelIthLi32ELi8ELi128ELNS_18Fp8KVCacheDataTypeE1ELb0EEEvPT_PKS2_PKT0_S8_ifPKiSA_iPKfiiiSC_SC_iiiii.num_vgpr, 41
	.set _ZN4vllm25paged_attention_v1_kernelIthLi32ELi8ELi128ELNS_18Fp8KVCacheDataTypeE1ELb0EEEvPT_PKS2_PKT0_S8_ifPKiSA_iPKfiiiSC_SC_iiiii.num_agpr, 0
	.set _ZN4vllm25paged_attention_v1_kernelIthLi32ELi8ELi128ELNS_18Fp8KVCacheDataTypeE1ELb0EEEvPT_PKS2_PKT0_S8_ifPKiSA_iPKfiiiSC_SC_iiiii.numbered_sgpr, 35
	.set _ZN4vllm25paged_attention_v1_kernelIthLi32ELi8ELi128ELNS_18Fp8KVCacheDataTypeE1ELb0EEEvPT_PKS2_PKT0_S8_ifPKiSA_iPKfiiiSC_SC_iiiii.num_named_barrier, 0
	.set _ZN4vllm25paged_attention_v1_kernelIthLi32ELi8ELi128ELNS_18Fp8KVCacheDataTypeE1ELb0EEEvPT_PKS2_PKT0_S8_ifPKiSA_iPKfiiiSC_SC_iiiii.private_seg_size, 0
	.set _ZN4vllm25paged_attention_v1_kernelIthLi32ELi8ELi128ELNS_18Fp8KVCacheDataTypeE1ELb0EEEvPT_PKS2_PKT0_S8_ifPKiSA_iPKfiiiSC_SC_iiiii.uses_vcc, 1
	.set _ZN4vllm25paged_attention_v1_kernelIthLi32ELi8ELi128ELNS_18Fp8KVCacheDataTypeE1ELb0EEEvPT_PKS2_PKT0_S8_ifPKiSA_iPKfiiiSC_SC_iiiii.uses_flat_scratch, 0
	.set _ZN4vllm25paged_attention_v1_kernelIthLi32ELi8ELi128ELNS_18Fp8KVCacheDataTypeE1ELb0EEEvPT_PKS2_PKT0_S8_ifPKiSA_iPKfiiiSC_SC_iiiii.has_dyn_sized_stack, 0
	.set _ZN4vllm25paged_attention_v1_kernelIthLi32ELi8ELi128ELNS_18Fp8KVCacheDataTypeE1ELb0EEEvPT_PKS2_PKT0_S8_ifPKiSA_iPKfiiiSC_SC_iiiii.has_recursion, 0
	.set _ZN4vllm25paged_attention_v1_kernelIthLi32ELi8ELi128ELNS_18Fp8KVCacheDataTypeE1ELb0EEEvPT_PKS2_PKT0_S8_ifPKiSA_iPKfiiiSC_SC_iiiii.has_indirect_call, 0
	.section	.AMDGPU.csdata,"",@progbits
; Kernel info:
; codeLenInByte = 7392
; TotalNumSgprs: 37
; NumVgprs: 41
; ScratchSize: 0
; MemoryBound: 0
; FloatMode: 240
; IeeeMode: 1
; LDSByteSize: 96 bytes/workgroup (compile time only)
; SGPRBlocks: 0
; VGPRBlocks: 5
; NumSGPRsForWavesPerEU: 37
; NumVGPRsForWavesPerEU: 41
; Occupancy: 16
; WaveLimiterHint : 1
; COMPUTE_PGM_RSRC2:SCRATCH_EN: 0
; COMPUTE_PGM_RSRC2:USER_SGPR: 6
; COMPUTE_PGM_RSRC2:TRAP_HANDLER: 0
; COMPUTE_PGM_RSRC2:TGID_X_EN: 1
; COMPUTE_PGM_RSRC2:TGID_Y_EN: 1
; COMPUTE_PGM_RSRC2:TGID_Z_EN: 1
; COMPUTE_PGM_RSRC2:TIDIG_COMP_CNT: 0
	.section	.text._ZN4vllm25paged_attention_v1_kernelIthLi64ELi8ELi128ELNS_18Fp8KVCacheDataTypeE1ELb0EEEvPT_PKS2_PKT0_S8_ifPKiSA_iPKfiiiSC_SC_iiiii,"axG",@progbits,_ZN4vllm25paged_attention_v1_kernelIthLi64ELi8ELi128ELNS_18Fp8KVCacheDataTypeE1ELb0EEEvPT_PKS2_PKT0_S8_ifPKiSA_iPKfiiiSC_SC_iiiii,comdat
	.protected	_ZN4vllm25paged_attention_v1_kernelIthLi64ELi8ELi128ELNS_18Fp8KVCacheDataTypeE1ELb0EEEvPT_PKS2_PKT0_S8_ifPKiSA_iPKfiiiSC_SC_iiiii ; -- Begin function _ZN4vllm25paged_attention_v1_kernelIthLi64ELi8ELi128ELNS_18Fp8KVCacheDataTypeE1ELb0EEEvPT_PKS2_PKT0_S8_ifPKiSA_iPKfiiiSC_SC_iiiii
	.globl	_ZN4vllm25paged_attention_v1_kernelIthLi64ELi8ELi128ELNS_18Fp8KVCacheDataTypeE1ELb0EEEvPT_PKS2_PKT0_S8_ifPKiSA_iPKfiiiSC_SC_iiiii
	.p2align	8
	.type	_ZN4vllm25paged_attention_v1_kernelIthLi64ELi8ELi128ELNS_18Fp8KVCacheDataTypeE1ELb0EEEvPT_PKS2_PKT0_S8_ifPKiSA_iPKfiiiSC_SC_iiiii,@function
_ZN4vllm25paged_attention_v1_kernelIthLi64ELi8ELi128ELNS_18Fp8KVCacheDataTypeE1ELb0EEEvPT_PKS2_PKT0_S8_ifPKiSA_iPKfiiiSC_SC_iiiii: ; @_ZN4vllm25paged_attention_v1_kernelIthLi64ELi8ELi128ELNS_18Fp8KVCacheDataTypeE1ELb0EEEvPT_PKS2_PKT0_S8_ifPKiSA_iPKfiiiSC_SC_iiiii
; %bb.0:
	s_clause 0x2
	s_load_dword s9, s[4:5], 0x80
	s_load_dwordx2 s[0:1], s[4:5], 0x30
	s_load_dwordx2 s[28:29], s[4:5], 0x20
	s_mov_b32 s10, s7
	s_ashr_i32 s11, s7, 31
	s_lshl_b64 s[2:3], s[10:11], 2
	s_waitcnt lgkmcnt(0)
	s_add_u32 s0, s0, s2
	s_addc_u32 s1, s1, s3
	s_abs_i32 s2, s28
	s_abs_i32 s11, s9
	v_cvt_f32_u32_e32 v1, s2
	s_sub_i32 s7, 0, s2
	v_rcp_iflag_f32_e32 v1, v1
	v_mul_f32_e32 v1, 0x4f7ffffe, v1
	v_cvt_u32_f32_e32 v1, v1
	v_readfirstlane_b32 s3, v1
	s_mul_i32 s7, s7, s3
	s_mul_hi_u32 s7, s3, s7
	s_add_i32 s3, s3, s7
	s_xor_b32 s7, s9, s28
	s_mul_hi_u32 s3, s11, s3
	s_ashr_i32 s7, s7, 31
	s_mul_i32 s12, s3, s2
	s_mov_b32 s28, 0
	s_sub_i32 s11, s11, s12
	s_add_i32 s12, s3, 1
	s_sub_i32 s13, s11, s2
	s_cmp_ge_u32 s11, s2
	s_cselect_b32 s3, s12, s3
	s_cselect_b32 s11, s13, s11
	s_add_i32 s12, s3, 1
	s_cmp_ge_u32 s11, s2
	s_cselect_b32 s2, s12, s3
	s_abs_i32 s13, s6
	s_xor_b32 s2, s2, s7
	s_sub_i32 s15, s2, s7
	s_load_dwordx2 s[2:3], s[4:5], 0x40
	s_abs_i32 s12, s15
	v_cvt_f32_u32_e32 v1, s12
	s_sub_i32 s11, 0, s12
	v_rcp_iflag_f32_e32 v1, v1
	v_mul_f32_e32 v1, 0x4f7ffffe, v1
	v_cvt_u32_f32_e32 v1, v1
	v_readfirstlane_b32 s7, v1
	s_mul_i32 s11, s11, s7
	s_mul_hi_u32 s11, s7, s11
	s_add_i32 s7, s7, s11
	s_waitcnt lgkmcnt(0)
	s_cmp_eq_u64 s[2:3], 0
	s_mul_hi_u32 s14, s13, s7
	s_cbranch_scc1 .LBB244_2
; %bb.1:
	s_ashr_i32 s7, s6, 31
	s_lshl_b64 s[16:17], s[6:7], 2
	s_add_u32 s2, s2, s16
	s_addc_u32 s3, s3, s17
	s_load_dword s28, s[2:3], 0x0
.LBB244_2:
	s_load_dword s11, s[0:1], 0x0
	s_load_dwordx4 s[16:19], s[4:5], 0x48
	v_and_b32_e32 v1, 3, v0
	v_cmp_gt_u32_e64 s0, 32, v0
	s_ashr_i32 s1, s6, 31
	s_ashr_i32 s2, s15, 31
	s_lshl_b32 s6, s6, 6
	s_and_saveexec_b32 s3, s0
	s_cbranch_execz .LBB244_4
; %bb.3:
	s_load_dwordx2 s[20:21], s[4:5], 0x8
	s_waitcnt lgkmcnt(0)
	s_mul_i32 s22, s16, s10
	v_lshlrev_b32_e32 v2, 2, v0
	s_ashr_i32 s23, s22, 31
	v_and_b32_e32 v3, 0x3fc, v0
	s_lshl_b64 s[22:23], s[22:23], 1
	v_lshl_add_u32 v3, v1, 5, v3
	s_add_u32 s15, s20, s22
	s_addc_u32 s16, s21, s23
	s_ashr_i32 s7, s6, 31
	s_lshl_b64 s[20:21], s[6:7], 1
	s_add_u32 s20, s15, s20
	s_addc_u32 s21, s16, s21
	global_load_dword v2, v2, s[20:21]
	s_waitcnt vmcnt(0)
	ds_write_b32 v3, v2
.LBB244_4:
	s_or_b32 exec_lo, exec_lo, s3
	s_waitcnt lgkmcnt(0)
	s_add_i32 s3, s11, 7
	s_clause 0x1
	s_load_dwordx2 s[22:23], s[4:5], 0x28
	s_load_dword s15, s[4:5], 0x38
	s_ashr_i32 s7, s3, 31
	s_xor_b32 s1, s1, s2
	s_lshr_b32 s7, s7, 29
	s_mul_i32 s2, s14, s12
	s_add_i32 s3, s3, s7
	s_sub_i32 s2, s13, s2
	s_ashr_i32 s16, s3, 3
	s_add_i32 s3, s14, 1
	s_sub_i32 s7, s2, s12
	s_cmp_ge_u32 s2, s12
	v_lshrrev_b32_e32 v11, 5, v0
	s_cselect_b32 s3, s3, s14
	s_cselect_b32 s2, s7, s2
	s_add_i32 s7, s3, 1
	s_cmp_ge_u32 s2, s12
	v_mbcnt_lo_u32_b32 v10, -1, 0
	s_cselect_b32 s2, s7, s3
	s_mov_b32 s3, exec_lo
	s_xor_b32 s2, s2, s1
	s_waitcnt lgkmcnt(0)
	s_mul_i32 s24, s15, s10
	s_sub_i32 s2, s2, s1
	v_cmp_gt_i32_e64 s1, s16, v11
	s_ashr_i32 s25, s24, 31
	s_barrier
	buffer_gl0_inv
                                        ; implicit-def: $vgpr2
                                        ; implicit-def: $vgpr13
	v_cmpx_le_i32_e64 s16, v11
	s_xor_b32 s3, exec_lo, s3
; %bb.5:
	v_mov_b32_e32 v2, 0
	v_mbcnt_lo_u32_b32 v10, -1, 0
	v_mov_b32_e32 v13, 32
                                        ; implicit-def: $vgpr1
; %bb.6:
	s_or_saveexec_b32 s19, s3
	s_clause 0x3
	s_load_dwordx2 s[20:21], s[4:5], 0x0
	s_load_dwordx2 s[26:27], s[4:5], 0x18
	s_load_dword s7, s[4:5], 0x88
	s_load_dwordx4 s[12:15], s[4:5], 0x58
	v_mov_b32_e32 v12, 0xff7fffff
	v_lshrrev_b32_e32 v9, 3, v0
	s_mul_i32 s18, s2, s18
	s_xor_b32 exec_lo, exec_lo, s19
	s_cbranch_execz .LBB244_140
; %bb.7:
	s_load_dwordx2 s[4:5], s[4:5], 0x10
	v_bfe_u32 v3, v0, 2, 3
	v_lshlrev_b32_e32 v5, 1, v1
	v_lshlrev_b32_e32 v14, 5, v1
	v_cmp_eq_u32_e32 vcc_lo, 0, v1
	s_ashr_i32 s3, s18, 31
	v_lshlrev_b32_e32 v4, 2, v3
	v_and_b32_e32 v6, 0x7c, v9
	v_lshl_or_b32 v15, v11, 3, v3
	v_mov_b32_e32 v2, 0
	v_cmp_neq_f32_e64 s2, s28, 0
	v_lshl_or_b32 v1, v11, 5, v4
	v_lshlrev_b32_e32 v4, 4, v3
	v_mov_b32_e32 v12, 0xff7fffff
	v_mov_b32_e32 v13, 32
	;; [unrolled: 1-line block ×3, first 2 shown]
	v_add_nc_u32_e32 v16, 0xa0, v1
	v_mov_b32_e32 v18, 0x7f
	v_mov_b32_e32 v19, 7
	;; [unrolled: 1-line block ×3, first 2 shown]
	s_waitcnt lgkmcnt(0)
	s_add_u32 s4, s4, s18
	s_addc_u32 s3, s5, s3
	v_add_co_u32 v1, s4, s4, v4
	v_add_co_ci_u32_e64 v4, null, s3, 0, s4
	s_lshl_b64 s[30:31], s[24:25], 2
	s_sub_i32 s5, 1, s11
	s_add_u32 s4, s22, s30
	v_add_co_u32 v3, s3, v1, v5
	s_addc_u32 s30, s23, s31
	v_add_co_ci_u32_e64 v4, null, 0, v4, s3
	v_add_co_u32 v5, s3, s4, v6
	v_add_co_ci_u32_e64 v6, null, s30, 0, s3
	v_mov_b32_e32 v21, v11
	s_mov_b32 s31, s17
	s_mov_b32 s30, 0
	s_branch .LBB244_9
.LBB244_8:                              ;   in Loop: Header=BB244_9 Depth=1
	s_or_b32 exec_lo, exec_lo, s4
	v_add_nc_u32_e32 v21, 4, v21
	v_add_co_u32 v5, s4, v5, 16
	v_add_nc_u32_e32 v15, 32, v15
	v_add_nc_u32_e32 v16, 0x80, v16
	v_cmp_le_i32_e64 s3, s16, v21
	v_add_co_ci_u32_e64 v6, null, 0, v6, s4
	s_or_b32 s30, s3, s30
	s_andn2_b32 exec_lo, exec_lo, s30
	s_cbranch_execz .LBB244_139
.LBB244_9:                              ; =>This Inner Loop Header: Depth=1
	global_load_dword v1, v[5:6], off
	s_waitcnt vmcnt(0) lgkmcnt(0)
	v_mad_i64_i32 v[7:8], null, v1, s31, v[3:4]
	global_load_ushort v23, v[7:8], off
	global_load_dword v22, v2, s[12:13]
	s_waitcnt vmcnt(1)
	v_and_b32_e32 v1, 0xffff, v23
	v_cmp_ne_u16_sdwa s3, v23, v2 src0_sel:BYTE_0 src1_sel:DWORD
	v_mov_b32_e32 v23, 0
	s_and_saveexec_b32 s4, s3
	s_cbranch_execz .LBB244_17
; %bb.10:                               ;   in Loop: Header=BB244_9 Depth=1
	v_cmp_ne_u16_sdwa s3, v1, v17 src0_sel:BYTE_0 src1_sel:DWORD
	v_mov_b32_e32 v23, 0x8000
	s_and_saveexec_b32 s33, s3
	s_cbranch_execz .LBB244_16
; %bb.11:                               ;   in Loop: Header=BB244_9 Depth=1
	v_and_b32_e32 v25, 0x7f, v1
	v_mov_b32_e32 v23, 0x7c01
	s_mov_b32 s34, exec_lo
	v_cmpx_ne_u32_e32 0x7f, v25
	s_cbranch_execz .LBB244_15
; %bb.12:                               ;   in Loop: Header=BB244_9 Depth=1
	v_and_b32_e32 v23, 7, v1
	v_lshrrev_b32_e32 v24, 3, v25
	s_mov_b32 s35, exec_lo
	v_cmpx_gt_u32_e32 8, v25
; %bb.13:                               ;   in Loop: Header=BB244_9 Depth=1
	v_ffbh_u32_e32 v23, v23
	v_min_u32_e32 v25, 32, v23
	v_subrev_nc_u32_e32 v23, 28, v25
	v_lshlrev_b64 v[23:24], v23, v[1:2]
	v_sub_nc_u32_e32 v24, 29, v25
	v_and_b32_e32 v23, 7, v23
; %bb.14:                               ;   in Loop: Header=BB244_9 Depth=1
	s_or_b32 exec_lo, exec_lo, s35
	v_lshlrev_b32_e32 v25, 8, v1
	v_lshl_add_u32 v24, v24, 10, 0x2000
	v_lshlrev_b32_e32 v23, 7, v23
	v_and_b32_e32 v25, 0x8000, v25
	v_and_b32_e32 v24, 0xfc00, v24
	v_or3_b32 v23, v25, v24, v23
.LBB244_15:                             ;   in Loop: Header=BB244_9 Depth=1
	s_or_b32 exec_lo, exec_lo, s34
.LBB244_16:                             ;   in Loop: Header=BB244_9 Depth=1
	s_or_b32 exec_lo, exec_lo, s33
.LBB244_17:                             ;   in Loop: Header=BB244_9 Depth=1
	s_or_b32 exec_lo, exec_lo, s4
	v_lshrrev_b16 v1, 8, v1
	v_mov_b32_e32 v24, 0
	s_mov_b32 s4, exec_lo
	v_cmpx_ne_u16_e32 0, v1
	s_cbranch_execz .LBB244_25
; %bb.18:                               ;   in Loop: Header=BB244_9 Depth=1
	v_bfrev_b32_e32 v24, 1
	s_mov_b32 s33, exec_lo
	v_cmpx_ne_u16_e32 0x80, v1
	s_cbranch_execz .LBB244_24
; %bb.19:                               ;   in Loop: Header=BB244_9 Depth=1
	v_and_b32_sdwa v26, v1, v18 dst_sel:DWORD dst_unused:UNUSED_PAD src0_sel:WORD_0 src1_sel:DWORD
	v_mov_b32_e32 v24, 0x7c010000
	s_mov_b32 s34, exec_lo
	v_cmpx_ne_u32_e32 0x7f, v26
	s_cbranch_execz .LBB244_23
; %bb.20:                               ;   in Loop: Header=BB244_9 Depth=1
	v_and_b32_sdwa v24, v1, v19 dst_sel:DWORD dst_unused:UNUSED_PAD src0_sel:WORD_0 src1_sel:DWORD
	v_lshrrev_b32_e32 v25, 3, v26
	s_mov_b32 s35, exec_lo
	v_cmpx_gt_u32_e32 8, v26
; %bb.21:                               ;   in Loop: Header=BB244_9 Depth=1
	v_ffbh_u32_e32 v24, v24
	v_min_u32_e32 v26, 32, v24
	v_subrev_nc_u32_e32 v24, 28, v26
	v_lshlrev_b64 v[24:25], v24, v[1:2]
	v_sub_nc_u32_e32 v25, 29, v26
	v_and_b32_e32 v24, 7, v24
; %bb.22:                               ;   in Loop: Header=BB244_9 Depth=1
	s_or_b32 exec_lo, exec_lo, s35
	v_lshlrev_b32_sdwa v1, v20, v1 dst_sel:DWORD dst_unused:UNUSED_PAD src0_sel:DWORD src1_sel:WORD_0
	v_lshl_add_u32 v25, v25, 10, 0x2000
	v_lshlrev_b32_e32 v24, 23, v24
	v_and_or_b32 v1, 0x8000, v1, v25
	v_lshl_or_b32 v24, v1, 16, v24
.LBB244_23:                             ;   in Loop: Header=BB244_9 Depth=1
	s_or_b32 exec_lo, exec_lo, s34
.LBB244_24:                             ;   in Loop: Header=BB244_9 Depth=1
	s_or_b32 exec_lo, exec_lo, s33
.LBB244_25:                             ;   in Loop: Header=BB244_9 Depth=1
	s_or_b32 exec_lo, exec_lo, s4
	global_load_ushort v26, v[7:8], off offset:8
	v_mov_b32_e32 v25, 0
	s_waitcnt vmcnt(0)
	v_and_b32_e32 v1, 0xffff, v26
	v_cmp_ne_u16_sdwa s3, v26, v2 src0_sel:BYTE_0 src1_sel:DWORD
	v_mov_b32_e32 v26, 0
	s_and_saveexec_b32 s4, s3
	s_cbranch_execz .LBB244_33
; %bb.26:                               ;   in Loop: Header=BB244_9 Depth=1
	v_cmp_ne_u16_sdwa s3, v1, v17 src0_sel:BYTE_0 src1_sel:DWORD
	v_mov_b32_e32 v26, 0x8000
	s_and_saveexec_b32 s33, s3
	s_cbranch_execz .LBB244_32
; %bb.27:                               ;   in Loop: Header=BB244_9 Depth=1
	v_and_b32_e32 v28, 0x7f, v1
	v_mov_b32_e32 v26, 0x7c01
	s_mov_b32 s34, exec_lo
	v_cmpx_ne_u32_e32 0x7f, v28
	s_cbranch_execz .LBB244_31
; %bb.28:                               ;   in Loop: Header=BB244_9 Depth=1
	v_and_b32_e32 v26, 7, v1
	v_lshrrev_b32_e32 v27, 3, v28
	s_mov_b32 s35, exec_lo
	v_cmpx_gt_u32_e32 8, v28
; %bb.29:                               ;   in Loop: Header=BB244_9 Depth=1
	v_ffbh_u32_e32 v26, v26
	v_min_u32_e32 v28, 32, v26
	v_subrev_nc_u32_e32 v26, 28, v28
	v_lshlrev_b64 v[26:27], v26, v[1:2]
	v_sub_nc_u32_e32 v27, 29, v28
	v_and_b32_e32 v26, 7, v26
; %bb.30:                               ;   in Loop: Header=BB244_9 Depth=1
	s_or_b32 exec_lo, exec_lo, s35
	v_lshlrev_b32_e32 v28, 8, v1
	v_lshl_add_u32 v27, v27, 10, 0x2000
	v_lshlrev_b32_e32 v26, 7, v26
	v_and_b32_e32 v28, 0x8000, v28
	v_and_b32_e32 v27, 0xfc00, v27
	v_or3_b32 v26, v28, v27, v26
.LBB244_31:                             ;   in Loop: Header=BB244_9 Depth=1
	s_or_b32 exec_lo, exec_lo, s34
.LBB244_32:                             ;   in Loop: Header=BB244_9 Depth=1
	s_or_b32 exec_lo, exec_lo, s33
.LBB244_33:                             ;   in Loop: Header=BB244_9 Depth=1
	s_or_b32 exec_lo, exec_lo, s4
	v_lshrrev_b16 v1, 8, v1
	s_mov_b32 s4, exec_lo
	v_cmpx_ne_u16_e32 0, v1
	s_cbranch_execz .LBB244_41
; %bb.34:                               ;   in Loop: Header=BB244_9 Depth=1
	v_bfrev_b32_e32 v25, 1
	s_mov_b32 s33, exec_lo
	v_cmpx_ne_u16_e32 0x80, v1
	s_cbranch_execz .LBB244_40
; %bb.35:                               ;   in Loop: Header=BB244_9 Depth=1
	v_and_b32_sdwa v28, v1, v18 dst_sel:DWORD dst_unused:UNUSED_PAD src0_sel:WORD_0 src1_sel:DWORD
	v_mov_b32_e32 v25, 0x7c010000
	s_mov_b32 s34, exec_lo
	v_cmpx_ne_u32_e32 0x7f, v28
	s_cbranch_execz .LBB244_39
; %bb.36:                               ;   in Loop: Header=BB244_9 Depth=1
	v_and_b32_sdwa v25, v1, v19 dst_sel:DWORD dst_unused:UNUSED_PAD src0_sel:WORD_0 src1_sel:DWORD
	v_lshrrev_b32_e32 v27, 3, v28
	s_mov_b32 s35, exec_lo
	v_cmpx_gt_u32_e32 8, v28
; %bb.37:                               ;   in Loop: Header=BB244_9 Depth=1
	v_ffbh_u32_e32 v25, v25
	v_min_u32_e32 v25, 32, v25
	v_subrev_nc_u32_e32 v27, 28, v25
	v_lshlrev_b64 v[28:29], v27, v[1:2]
	v_sub_nc_u32_e32 v27, 29, v25
	v_and_b32_e32 v25, 7, v28
; %bb.38:                               ;   in Loop: Header=BB244_9 Depth=1
	s_or_b32 exec_lo, exec_lo, s35
	v_lshlrev_b32_sdwa v1, v20, v1 dst_sel:DWORD dst_unused:UNUSED_PAD src0_sel:DWORD src1_sel:WORD_0
	v_lshl_add_u32 v27, v27, 10, 0x2000
	v_lshlrev_b32_e32 v25, 23, v25
	v_and_or_b32 v1, 0x8000, v1, v27
	v_lshl_or_b32 v25, v1, 16, v25
.LBB244_39:                             ;   in Loop: Header=BB244_9 Depth=1
	s_or_b32 exec_lo, exec_lo, s34
.LBB244_40:                             ;   in Loop: Header=BB244_9 Depth=1
	s_or_b32 exec_lo, exec_lo, s33
.LBB244_41:                             ;   in Loop: Header=BB244_9 Depth=1
	s_or_b32 exec_lo, exec_lo, s4
	global_load_ushort v28, v[7:8], off offset:128
	v_mov_b32_e32 v27, 0
	s_waitcnt vmcnt(0)
	v_and_b32_e32 v1, 0xffff, v28
	v_cmp_ne_u16_sdwa s3, v28, v2 src0_sel:BYTE_0 src1_sel:DWORD
	v_mov_b32_e32 v28, 0
	s_and_saveexec_b32 s4, s3
	s_cbranch_execz .LBB244_49
; %bb.42:                               ;   in Loop: Header=BB244_9 Depth=1
	v_cmp_ne_u16_sdwa s3, v1, v17 src0_sel:BYTE_0 src1_sel:DWORD
	v_mov_b32_e32 v28, 0x8000
	s_and_saveexec_b32 s33, s3
	s_cbranch_execz .LBB244_48
; %bb.43:                               ;   in Loop: Header=BB244_9 Depth=1
	v_and_b32_e32 v30, 0x7f, v1
	v_mov_b32_e32 v28, 0x7c01
	s_mov_b32 s34, exec_lo
	v_cmpx_ne_u32_e32 0x7f, v30
	s_cbranch_execz .LBB244_47
; %bb.44:                               ;   in Loop: Header=BB244_9 Depth=1
	v_and_b32_e32 v28, 7, v1
	v_lshrrev_b32_e32 v29, 3, v30
	s_mov_b32 s35, exec_lo
	v_cmpx_gt_u32_e32 8, v30
; %bb.45:                               ;   in Loop: Header=BB244_9 Depth=1
	v_ffbh_u32_e32 v28, v28
	v_min_u32_e32 v30, 32, v28
	v_subrev_nc_u32_e32 v28, 28, v30
	v_lshlrev_b64 v[28:29], v28, v[1:2]
	v_sub_nc_u32_e32 v29, 29, v30
	v_and_b32_e32 v28, 7, v28
; %bb.46:                               ;   in Loop: Header=BB244_9 Depth=1
	s_or_b32 exec_lo, exec_lo, s35
	v_lshlrev_b32_e32 v30, 8, v1
	v_lshl_add_u32 v29, v29, 10, 0x2000
	v_lshlrev_b32_e32 v28, 7, v28
	v_and_b32_e32 v30, 0x8000, v30
	v_and_b32_e32 v29, 0xfc00, v29
	v_or3_b32 v28, v30, v29, v28
.LBB244_47:                             ;   in Loop: Header=BB244_9 Depth=1
	s_or_b32 exec_lo, exec_lo, s34
.LBB244_48:                             ;   in Loop: Header=BB244_9 Depth=1
	s_or_b32 exec_lo, exec_lo, s33
.LBB244_49:                             ;   in Loop: Header=BB244_9 Depth=1
	s_or_b32 exec_lo, exec_lo, s4
	v_lshrrev_b16 v1, 8, v1
	s_mov_b32 s4, exec_lo
	v_cmpx_ne_u16_e32 0, v1
	s_cbranch_execz .LBB244_57
; %bb.50:                               ;   in Loop: Header=BB244_9 Depth=1
	v_bfrev_b32_e32 v27, 1
	s_mov_b32 s33, exec_lo
	v_cmpx_ne_u16_e32 0x80, v1
	s_cbranch_execz .LBB244_56
; %bb.51:                               ;   in Loop: Header=BB244_9 Depth=1
	v_and_b32_sdwa v30, v1, v18 dst_sel:DWORD dst_unused:UNUSED_PAD src0_sel:WORD_0 src1_sel:DWORD
	v_mov_b32_e32 v27, 0x7c010000
	s_mov_b32 s34, exec_lo
	v_cmpx_ne_u32_e32 0x7f, v30
	s_cbranch_execz .LBB244_55
; %bb.52:                               ;   in Loop: Header=BB244_9 Depth=1
	v_and_b32_sdwa v27, v1, v19 dst_sel:DWORD dst_unused:UNUSED_PAD src0_sel:WORD_0 src1_sel:DWORD
	v_lshrrev_b32_e32 v29, 3, v30
	s_mov_b32 s35, exec_lo
	v_cmpx_gt_u32_e32 8, v30
; %bb.53:                               ;   in Loop: Header=BB244_9 Depth=1
	v_ffbh_u32_e32 v27, v27
	v_min_u32_e32 v27, 32, v27
	v_subrev_nc_u32_e32 v29, 28, v27
	v_lshlrev_b64 v[30:31], v29, v[1:2]
	v_sub_nc_u32_e32 v29, 29, v27
	v_and_b32_e32 v27, 7, v30
; %bb.54:                               ;   in Loop: Header=BB244_9 Depth=1
	s_or_b32 exec_lo, exec_lo, s35
	v_lshlrev_b32_sdwa v1, v20, v1 dst_sel:DWORD dst_unused:UNUSED_PAD src0_sel:DWORD src1_sel:WORD_0
	v_lshl_add_u32 v29, v29, 10, 0x2000
	v_lshlrev_b32_e32 v27, 23, v27
	v_and_or_b32 v1, 0x8000, v1, v29
	v_lshl_or_b32 v27, v1, 16, v27
.LBB244_55:                             ;   in Loop: Header=BB244_9 Depth=1
	s_or_b32 exec_lo, exec_lo, s34
.LBB244_56:                             ;   in Loop: Header=BB244_9 Depth=1
	s_or_b32 exec_lo, exec_lo, s33
.LBB244_57:                             ;   in Loop: Header=BB244_9 Depth=1
	s_or_b32 exec_lo, exec_lo, s4
	global_load_ushort v30, v[7:8], off offset:136
	v_mov_b32_e32 v29, 0
	s_waitcnt vmcnt(0)
	v_and_b32_e32 v1, 0xffff, v30
	v_cmp_ne_u16_sdwa s3, v30, v2 src0_sel:BYTE_0 src1_sel:DWORD
	v_mov_b32_e32 v30, 0
	s_and_saveexec_b32 s4, s3
	s_cbranch_execz .LBB244_65
; %bb.58:                               ;   in Loop: Header=BB244_9 Depth=1
	v_cmp_ne_u16_sdwa s3, v1, v17 src0_sel:BYTE_0 src1_sel:DWORD
	v_mov_b32_e32 v30, 0x8000
	s_and_saveexec_b32 s33, s3
	s_cbranch_execz .LBB244_64
; %bb.59:                               ;   in Loop: Header=BB244_9 Depth=1
	v_and_b32_e32 v32, 0x7f, v1
	v_mov_b32_e32 v30, 0x7c01
	s_mov_b32 s34, exec_lo
	v_cmpx_ne_u32_e32 0x7f, v32
	s_cbranch_execz .LBB244_63
; %bb.60:                               ;   in Loop: Header=BB244_9 Depth=1
	v_and_b32_e32 v30, 7, v1
	v_lshrrev_b32_e32 v31, 3, v32
	s_mov_b32 s35, exec_lo
	v_cmpx_gt_u32_e32 8, v32
; %bb.61:                               ;   in Loop: Header=BB244_9 Depth=1
	v_ffbh_u32_e32 v30, v30
	v_min_u32_e32 v32, 32, v30
	v_subrev_nc_u32_e32 v30, 28, v32
	v_lshlrev_b64 v[30:31], v30, v[1:2]
	v_sub_nc_u32_e32 v31, 29, v32
	v_and_b32_e32 v30, 7, v30
; %bb.62:                               ;   in Loop: Header=BB244_9 Depth=1
	s_or_b32 exec_lo, exec_lo, s35
	v_lshlrev_b32_e32 v32, 8, v1
	v_lshl_add_u32 v31, v31, 10, 0x2000
	v_lshlrev_b32_e32 v30, 7, v30
	v_and_b32_e32 v32, 0x8000, v32
	v_and_b32_e32 v31, 0xfc00, v31
	v_or3_b32 v30, v32, v31, v30
.LBB244_63:                             ;   in Loop: Header=BB244_9 Depth=1
	s_or_b32 exec_lo, exec_lo, s34
.LBB244_64:                             ;   in Loop: Header=BB244_9 Depth=1
	s_or_b32 exec_lo, exec_lo, s33
.LBB244_65:                             ;   in Loop: Header=BB244_9 Depth=1
	s_or_b32 exec_lo, exec_lo, s4
	v_lshrrev_b16 v1, 8, v1
	s_mov_b32 s4, exec_lo
	v_cmpx_ne_u16_e32 0, v1
	s_cbranch_execz .LBB244_73
; %bb.66:                               ;   in Loop: Header=BB244_9 Depth=1
	v_bfrev_b32_e32 v29, 1
	s_mov_b32 s33, exec_lo
	v_cmpx_ne_u16_e32 0x80, v1
	s_cbranch_execz .LBB244_72
; %bb.67:                               ;   in Loop: Header=BB244_9 Depth=1
	v_and_b32_sdwa v32, v1, v18 dst_sel:DWORD dst_unused:UNUSED_PAD src0_sel:WORD_0 src1_sel:DWORD
	v_mov_b32_e32 v29, 0x7c010000
	s_mov_b32 s34, exec_lo
	v_cmpx_ne_u32_e32 0x7f, v32
	s_cbranch_execz .LBB244_71
; %bb.68:                               ;   in Loop: Header=BB244_9 Depth=1
	v_and_b32_sdwa v29, v1, v19 dst_sel:DWORD dst_unused:UNUSED_PAD src0_sel:WORD_0 src1_sel:DWORD
	v_lshrrev_b32_e32 v31, 3, v32
	s_mov_b32 s35, exec_lo
	v_cmpx_gt_u32_e32 8, v32
; %bb.69:                               ;   in Loop: Header=BB244_9 Depth=1
	v_ffbh_u32_e32 v29, v29
	v_min_u32_e32 v29, 32, v29
	v_subrev_nc_u32_e32 v31, 28, v29
	v_lshlrev_b64 v[32:33], v31, v[1:2]
	v_sub_nc_u32_e32 v31, 29, v29
	v_and_b32_e32 v29, 7, v32
; %bb.70:                               ;   in Loop: Header=BB244_9 Depth=1
	s_or_b32 exec_lo, exec_lo, s35
	v_lshlrev_b32_sdwa v1, v20, v1 dst_sel:DWORD dst_unused:UNUSED_PAD src0_sel:DWORD src1_sel:WORD_0
	v_lshl_add_u32 v31, v31, 10, 0x2000
	v_lshlrev_b32_e32 v29, 23, v29
	v_and_or_b32 v1, 0x8000, v1, v31
	v_lshl_or_b32 v29, v1, 16, v29
.LBB244_71:                             ;   in Loop: Header=BB244_9 Depth=1
	s_or_b32 exec_lo, exec_lo, s34
.LBB244_72:                             ;   in Loop: Header=BB244_9 Depth=1
	s_or_b32 exec_lo, exec_lo, s33
.LBB244_73:                             ;   in Loop: Header=BB244_9 Depth=1
	s_or_b32 exec_lo, exec_lo, s4
	global_load_ushort v32, v[7:8], off offset:256
	v_mov_b32_e32 v31, 0
	s_waitcnt vmcnt(0)
	v_and_b32_e32 v1, 0xffff, v32
	v_cmp_ne_u16_sdwa s3, v32, v2 src0_sel:BYTE_0 src1_sel:DWORD
	v_mov_b32_e32 v32, 0
	s_and_saveexec_b32 s4, s3
	s_cbranch_execz .LBB244_81
; %bb.74:                               ;   in Loop: Header=BB244_9 Depth=1
	v_cmp_ne_u16_sdwa s3, v1, v17 src0_sel:BYTE_0 src1_sel:DWORD
	v_mov_b32_e32 v32, 0x8000
	s_and_saveexec_b32 s33, s3
	s_cbranch_execz .LBB244_80
; %bb.75:                               ;   in Loop: Header=BB244_9 Depth=1
	v_and_b32_e32 v34, 0x7f, v1
	v_mov_b32_e32 v32, 0x7c01
	s_mov_b32 s34, exec_lo
	v_cmpx_ne_u32_e32 0x7f, v34
	s_cbranch_execz .LBB244_79
; %bb.76:                               ;   in Loop: Header=BB244_9 Depth=1
	v_and_b32_e32 v32, 7, v1
	v_lshrrev_b32_e32 v33, 3, v34
	s_mov_b32 s35, exec_lo
	v_cmpx_gt_u32_e32 8, v34
; %bb.77:                               ;   in Loop: Header=BB244_9 Depth=1
	v_ffbh_u32_e32 v32, v32
	v_min_u32_e32 v34, 32, v32
	v_subrev_nc_u32_e32 v32, 28, v34
	v_lshlrev_b64 v[32:33], v32, v[1:2]
	v_sub_nc_u32_e32 v33, 29, v34
	v_and_b32_e32 v32, 7, v32
; %bb.78:                               ;   in Loop: Header=BB244_9 Depth=1
	s_or_b32 exec_lo, exec_lo, s35
	v_lshlrev_b32_e32 v34, 8, v1
	v_lshl_add_u32 v33, v33, 10, 0x2000
	v_lshlrev_b32_e32 v32, 7, v32
	v_and_b32_e32 v34, 0x8000, v34
	v_and_b32_e32 v33, 0xfc00, v33
	v_or3_b32 v32, v34, v33, v32
.LBB244_79:                             ;   in Loop: Header=BB244_9 Depth=1
	s_or_b32 exec_lo, exec_lo, s34
.LBB244_80:                             ;   in Loop: Header=BB244_9 Depth=1
	s_or_b32 exec_lo, exec_lo, s33
.LBB244_81:                             ;   in Loop: Header=BB244_9 Depth=1
	s_or_b32 exec_lo, exec_lo, s4
	v_lshrrev_b16 v1, 8, v1
	s_mov_b32 s4, exec_lo
	v_cmpx_ne_u16_e32 0, v1
	s_cbranch_execz .LBB244_89
; %bb.82:                               ;   in Loop: Header=BB244_9 Depth=1
	v_bfrev_b32_e32 v31, 1
	s_mov_b32 s33, exec_lo
	v_cmpx_ne_u16_e32 0x80, v1
	s_cbranch_execz .LBB244_88
; %bb.83:                               ;   in Loop: Header=BB244_9 Depth=1
	v_and_b32_sdwa v34, v1, v18 dst_sel:DWORD dst_unused:UNUSED_PAD src0_sel:WORD_0 src1_sel:DWORD
	v_mov_b32_e32 v31, 0x7c010000
	s_mov_b32 s34, exec_lo
	v_cmpx_ne_u32_e32 0x7f, v34
	s_cbranch_execz .LBB244_87
; %bb.84:                               ;   in Loop: Header=BB244_9 Depth=1
	v_and_b32_sdwa v31, v1, v19 dst_sel:DWORD dst_unused:UNUSED_PAD src0_sel:WORD_0 src1_sel:DWORD
	v_lshrrev_b32_e32 v33, 3, v34
	s_mov_b32 s35, exec_lo
	v_cmpx_gt_u32_e32 8, v34
; %bb.85:                               ;   in Loop: Header=BB244_9 Depth=1
	v_ffbh_u32_e32 v31, v31
	v_min_u32_e32 v31, 32, v31
	v_subrev_nc_u32_e32 v33, 28, v31
	v_lshlrev_b64 v[34:35], v33, v[1:2]
	v_sub_nc_u32_e32 v33, 29, v31
	v_and_b32_e32 v31, 7, v34
; %bb.86:                               ;   in Loop: Header=BB244_9 Depth=1
	s_or_b32 exec_lo, exec_lo, s35
	v_lshlrev_b32_sdwa v1, v20, v1 dst_sel:DWORD dst_unused:UNUSED_PAD src0_sel:DWORD src1_sel:WORD_0
	v_lshl_add_u32 v33, v33, 10, 0x2000
	v_lshlrev_b32_e32 v31, 23, v31
	v_and_or_b32 v1, 0x8000, v1, v33
	v_lshl_or_b32 v31, v1, 16, v31
.LBB244_87:                             ;   in Loop: Header=BB244_9 Depth=1
	s_or_b32 exec_lo, exec_lo, s34
.LBB244_88:                             ;   in Loop: Header=BB244_9 Depth=1
	s_or_b32 exec_lo, exec_lo, s33
.LBB244_89:                             ;   in Loop: Header=BB244_9 Depth=1
	s_or_b32 exec_lo, exec_lo, s4
	global_load_ushort v34, v[7:8], off offset:264
	v_mov_b32_e32 v33, 0
	s_waitcnt vmcnt(0)
	v_and_b32_e32 v1, 0xffff, v34
	v_cmp_ne_u16_sdwa s3, v34, v2 src0_sel:BYTE_0 src1_sel:DWORD
	v_mov_b32_e32 v34, 0
	s_and_saveexec_b32 s4, s3
	s_cbranch_execz .LBB244_97
; %bb.90:                               ;   in Loop: Header=BB244_9 Depth=1
	v_cmp_ne_u16_sdwa s3, v1, v17 src0_sel:BYTE_0 src1_sel:DWORD
	v_mov_b32_e32 v34, 0x8000
	s_and_saveexec_b32 s33, s3
	s_cbranch_execz .LBB244_96
; %bb.91:                               ;   in Loop: Header=BB244_9 Depth=1
	v_and_b32_e32 v36, 0x7f, v1
	v_mov_b32_e32 v34, 0x7c01
	s_mov_b32 s34, exec_lo
	v_cmpx_ne_u32_e32 0x7f, v36
	s_cbranch_execz .LBB244_95
; %bb.92:                               ;   in Loop: Header=BB244_9 Depth=1
	v_and_b32_e32 v34, 7, v1
	v_lshrrev_b32_e32 v35, 3, v36
	s_mov_b32 s35, exec_lo
	v_cmpx_gt_u32_e32 8, v36
; %bb.93:                               ;   in Loop: Header=BB244_9 Depth=1
	v_ffbh_u32_e32 v34, v34
	v_min_u32_e32 v36, 32, v34
	v_subrev_nc_u32_e32 v34, 28, v36
	v_lshlrev_b64 v[34:35], v34, v[1:2]
	v_sub_nc_u32_e32 v35, 29, v36
	v_and_b32_e32 v34, 7, v34
; %bb.94:                               ;   in Loop: Header=BB244_9 Depth=1
	s_or_b32 exec_lo, exec_lo, s35
	v_lshlrev_b32_e32 v36, 8, v1
	v_lshl_add_u32 v35, v35, 10, 0x2000
	v_lshlrev_b32_e32 v34, 7, v34
	v_and_b32_e32 v36, 0x8000, v36
	v_and_b32_e32 v35, 0xfc00, v35
	v_or3_b32 v34, v36, v35, v34
.LBB244_95:                             ;   in Loop: Header=BB244_9 Depth=1
	s_or_b32 exec_lo, exec_lo, s34
.LBB244_96:                             ;   in Loop: Header=BB244_9 Depth=1
	s_or_b32 exec_lo, exec_lo, s33
.LBB244_97:                             ;   in Loop: Header=BB244_9 Depth=1
	s_or_b32 exec_lo, exec_lo, s4
	v_lshrrev_b16 v1, 8, v1
	s_mov_b32 s4, exec_lo
	v_cmpx_ne_u16_e32 0, v1
	s_cbranch_execz .LBB244_105
; %bb.98:                               ;   in Loop: Header=BB244_9 Depth=1
	v_bfrev_b32_e32 v33, 1
	s_mov_b32 s33, exec_lo
	v_cmpx_ne_u16_e32 0x80, v1
	s_cbranch_execz .LBB244_104
; %bb.99:                               ;   in Loop: Header=BB244_9 Depth=1
	v_and_b32_sdwa v36, v1, v18 dst_sel:DWORD dst_unused:UNUSED_PAD src0_sel:WORD_0 src1_sel:DWORD
	v_mov_b32_e32 v33, 0x7c010000
	s_mov_b32 s34, exec_lo
	v_cmpx_ne_u32_e32 0x7f, v36
	s_cbranch_execz .LBB244_103
; %bb.100:                              ;   in Loop: Header=BB244_9 Depth=1
	v_and_b32_sdwa v33, v1, v19 dst_sel:DWORD dst_unused:UNUSED_PAD src0_sel:WORD_0 src1_sel:DWORD
	v_lshrrev_b32_e32 v35, 3, v36
	s_mov_b32 s35, exec_lo
	v_cmpx_gt_u32_e32 8, v36
; %bb.101:                              ;   in Loop: Header=BB244_9 Depth=1
	v_ffbh_u32_e32 v33, v33
	v_min_u32_e32 v33, 32, v33
	v_subrev_nc_u32_e32 v35, 28, v33
	v_lshlrev_b64 v[36:37], v35, v[1:2]
	v_sub_nc_u32_e32 v35, 29, v33
	v_and_b32_e32 v33, 7, v36
; %bb.102:                              ;   in Loop: Header=BB244_9 Depth=1
	s_or_b32 exec_lo, exec_lo, s35
	v_lshlrev_b32_sdwa v1, v20, v1 dst_sel:DWORD dst_unused:UNUSED_PAD src0_sel:DWORD src1_sel:WORD_0
	v_lshl_add_u32 v35, v35, 10, 0x2000
	v_lshlrev_b32_e32 v33, 23, v33
	v_and_or_b32 v1, 0x8000, v1, v35
	v_lshl_or_b32 v33, v1, 16, v33
.LBB244_103:                            ;   in Loop: Header=BB244_9 Depth=1
	s_or_b32 exec_lo, exec_lo, s34
.LBB244_104:                            ;   in Loop: Header=BB244_9 Depth=1
	s_or_b32 exec_lo, exec_lo, s33
.LBB244_105:                            ;   in Loop: Header=BB244_9 Depth=1
	s_or_b32 exec_lo, exec_lo, s4
	global_load_ushort v36, v[7:8], off offset:384
	v_mov_b32_e32 v35, 0
	s_waitcnt vmcnt(0)
	v_and_b32_e32 v1, 0xffff, v36
	v_cmp_ne_u16_sdwa s3, v36, v2 src0_sel:BYTE_0 src1_sel:DWORD
	v_mov_b32_e32 v36, 0
	s_and_saveexec_b32 s4, s3
	s_cbranch_execz .LBB244_113
; %bb.106:                              ;   in Loop: Header=BB244_9 Depth=1
	v_cmp_ne_u16_sdwa s3, v1, v17 src0_sel:BYTE_0 src1_sel:DWORD
	v_mov_b32_e32 v36, 0x8000
	s_and_saveexec_b32 s33, s3
	s_cbranch_execz .LBB244_112
; %bb.107:                              ;   in Loop: Header=BB244_9 Depth=1
	v_and_b32_e32 v38, 0x7f, v1
	v_mov_b32_e32 v36, 0x7c01
	s_mov_b32 s34, exec_lo
	v_cmpx_ne_u32_e32 0x7f, v38
	s_cbranch_execz .LBB244_111
; %bb.108:                              ;   in Loop: Header=BB244_9 Depth=1
	v_and_b32_e32 v36, 7, v1
	v_lshrrev_b32_e32 v37, 3, v38
	s_mov_b32 s35, exec_lo
	v_cmpx_gt_u32_e32 8, v38
; %bb.109:                              ;   in Loop: Header=BB244_9 Depth=1
	v_ffbh_u32_e32 v36, v36
	v_min_u32_e32 v38, 32, v36
	v_subrev_nc_u32_e32 v36, 28, v38
	v_lshlrev_b64 v[36:37], v36, v[1:2]
	v_sub_nc_u32_e32 v37, 29, v38
	v_and_b32_e32 v36, 7, v36
; %bb.110:                              ;   in Loop: Header=BB244_9 Depth=1
	s_or_b32 exec_lo, exec_lo, s35
	v_lshlrev_b32_e32 v38, 8, v1
	v_lshl_add_u32 v37, v37, 10, 0x2000
	v_lshlrev_b32_e32 v36, 7, v36
	v_and_b32_e32 v38, 0x8000, v38
	v_and_b32_e32 v37, 0xfc00, v37
	v_or3_b32 v36, v38, v37, v36
.LBB244_111:                            ;   in Loop: Header=BB244_9 Depth=1
	s_or_b32 exec_lo, exec_lo, s34
.LBB244_112:                            ;   in Loop: Header=BB244_9 Depth=1
	s_or_b32 exec_lo, exec_lo, s33
.LBB244_113:                            ;   in Loop: Header=BB244_9 Depth=1
	s_or_b32 exec_lo, exec_lo, s4
	v_lshrrev_b16 v1, 8, v1
	s_mov_b32 s4, exec_lo
	v_cmpx_ne_u16_e32 0, v1
	s_cbranch_execz .LBB244_121
; %bb.114:                              ;   in Loop: Header=BB244_9 Depth=1
	v_bfrev_b32_e32 v35, 1
	s_mov_b32 s33, exec_lo
	v_cmpx_ne_u16_e32 0x80, v1
	s_cbranch_execz .LBB244_120
; %bb.115:                              ;   in Loop: Header=BB244_9 Depth=1
	v_and_b32_sdwa v38, v1, v18 dst_sel:DWORD dst_unused:UNUSED_PAD src0_sel:WORD_0 src1_sel:DWORD
	v_mov_b32_e32 v35, 0x7c010000
	s_mov_b32 s34, exec_lo
	v_cmpx_ne_u32_e32 0x7f, v38
	s_cbranch_execz .LBB244_119
; %bb.116:                              ;   in Loop: Header=BB244_9 Depth=1
	v_and_b32_sdwa v35, v1, v19 dst_sel:DWORD dst_unused:UNUSED_PAD src0_sel:WORD_0 src1_sel:DWORD
	v_lshrrev_b32_e32 v37, 3, v38
	s_mov_b32 s35, exec_lo
	v_cmpx_gt_u32_e32 8, v38
; %bb.117:                              ;   in Loop: Header=BB244_9 Depth=1
	v_ffbh_u32_e32 v35, v35
	v_min_u32_e32 v35, 32, v35
	v_subrev_nc_u32_e32 v37, 28, v35
	v_lshlrev_b64 v[38:39], v37, v[1:2]
	v_sub_nc_u32_e32 v37, 29, v35
	v_and_b32_e32 v35, 7, v38
; %bb.118:                              ;   in Loop: Header=BB244_9 Depth=1
	s_or_b32 exec_lo, exec_lo, s35
	v_lshlrev_b32_sdwa v1, v20, v1 dst_sel:DWORD dst_unused:UNUSED_PAD src0_sel:DWORD src1_sel:WORD_0
	v_lshl_add_u32 v37, v37, 10, 0x2000
	v_lshlrev_b32_e32 v35, 23, v35
	v_and_or_b32 v1, 0x8000, v1, v37
	v_lshl_or_b32 v35, v1, 16, v35
.LBB244_119:                            ;   in Loop: Header=BB244_9 Depth=1
	s_or_b32 exec_lo, exec_lo, s34
.LBB244_120:                            ;   in Loop: Header=BB244_9 Depth=1
	s_or_b32 exec_lo, exec_lo, s33
.LBB244_121:                            ;   in Loop: Header=BB244_9 Depth=1
	s_or_b32 exec_lo, exec_lo, s4
	global_load_ushort v8, v[7:8], off offset:392
	v_mov_b32_e32 v7, 0
	s_waitcnt vmcnt(0)
	v_and_b32_e32 v1, 0xffff, v8
	v_cmp_ne_u16_sdwa s3, v8, v2 src0_sel:BYTE_0 src1_sel:DWORD
	v_mov_b32_e32 v8, 0
	s_and_saveexec_b32 s4, s3
	s_cbranch_execz .LBB244_129
; %bb.122:                              ;   in Loop: Header=BB244_9 Depth=1
	v_cmp_ne_u16_sdwa s3, v1, v17 src0_sel:BYTE_0 src1_sel:DWORD
	v_mov_b32_e32 v8, 0x8000
	s_and_saveexec_b32 s33, s3
	s_cbranch_execz .LBB244_128
; %bb.123:                              ;   in Loop: Header=BB244_9 Depth=1
	v_and_b32_e32 v38, 0x7f, v1
	v_mov_b32_e32 v8, 0x7c01
	s_mov_b32 s34, exec_lo
	v_cmpx_ne_u32_e32 0x7f, v38
	s_cbranch_execz .LBB244_127
; %bb.124:                              ;   in Loop: Header=BB244_9 Depth=1
	v_and_b32_e32 v8, 7, v1
	v_lshrrev_b32_e32 v37, 3, v38
	s_mov_b32 s35, exec_lo
	v_cmpx_gt_u32_e32 8, v38
; %bb.125:                              ;   in Loop: Header=BB244_9 Depth=1
	v_ffbh_u32_e32 v8, v8
	v_min_u32_e32 v8, 32, v8
	v_subrev_nc_u32_e32 v37, 28, v8
	v_lshlrev_b64 v[38:39], v37, v[1:2]
	v_sub_nc_u32_e32 v37, 29, v8
	v_and_b32_e32 v8, 7, v38
; %bb.126:                              ;   in Loop: Header=BB244_9 Depth=1
	s_or_b32 exec_lo, exec_lo, s35
	v_lshlrev_b32_e32 v38, 8, v1
	v_lshl_add_u32 v37, v37, 10, 0x2000
	v_lshlrev_b32_e32 v8, 7, v8
	v_and_b32_e32 v38, 0x8000, v38
	v_and_b32_e32 v37, 0xfc00, v37
	v_or3_b32 v8, v38, v37, v8
.LBB244_127:                            ;   in Loop: Header=BB244_9 Depth=1
	s_or_b32 exec_lo, exec_lo, s34
.LBB244_128:                            ;   in Loop: Header=BB244_9 Depth=1
	s_or_b32 exec_lo, exec_lo, s33
.LBB244_129:                            ;   in Loop: Header=BB244_9 Depth=1
	s_or_b32 exec_lo, exec_lo, s4
	v_lshrrev_b16 v1, 8, v1
	s_mov_b32 s4, exec_lo
	v_cmpx_ne_u16_e32 0, v1
	s_cbranch_execz .LBB244_137
; %bb.130:                              ;   in Loop: Header=BB244_9 Depth=1
	v_bfrev_b32_e32 v7, 1
	s_mov_b32 s33, exec_lo
	v_cmpx_ne_u16_e32 0x80, v1
	s_cbranch_execz .LBB244_136
; %bb.131:                              ;   in Loop: Header=BB244_9 Depth=1
	v_and_b32_sdwa v38, v1, v18 dst_sel:DWORD dst_unused:UNUSED_PAD src0_sel:WORD_0 src1_sel:DWORD
	v_mov_b32_e32 v7, 0x7c010000
	s_mov_b32 s34, exec_lo
	v_cmpx_ne_u32_e32 0x7f, v38
	s_cbranch_execz .LBB244_135
; %bb.132:                              ;   in Loop: Header=BB244_9 Depth=1
	v_and_b32_sdwa v7, v1, v19 dst_sel:DWORD dst_unused:UNUSED_PAD src0_sel:WORD_0 src1_sel:DWORD
	v_lshrrev_b32_e32 v37, 3, v38
	s_mov_b32 s35, exec_lo
	v_cmpx_gt_u32_e32 8, v38
; %bb.133:                              ;   in Loop: Header=BB244_9 Depth=1
	v_ffbh_u32_e32 v7, v7
	v_min_u32_e32 v7, 32, v7
	v_subrev_nc_u32_e32 v37, 28, v7
	v_lshlrev_b64 v[38:39], v37, v[1:2]
	v_sub_nc_u32_e32 v37, 29, v7
	v_and_b32_e32 v7, 7, v38
; %bb.134:                              ;   in Loop: Header=BB244_9 Depth=1
	s_or_b32 exec_lo, exec_lo, s35
	v_lshlrev_b32_sdwa v1, v20, v1 dst_sel:DWORD dst_unused:UNUSED_PAD src0_sel:DWORD src1_sel:WORD_0
	v_lshl_add_u32 v37, v37, 10, 0x2000
	v_lshlrev_b32_e32 v7, 23, v7
	v_and_or_b32 v1, 0x8000, v1, v37
	v_lshl_or_b32 v7, v1, 16, v7
.LBB244_135:                            ;   in Loop: Header=BB244_9 Depth=1
	s_or_b32 exec_lo, exec_lo, s34
.LBB244_136:                            ;   in Loop: Header=BB244_9 Depth=1
	s_or_b32 exec_lo, exec_lo, s33
.LBB244_137:                            ;   in Loop: Header=BB244_9 Depth=1
	s_or_b32 exec_lo, exec_lo, s4
	ds_read_b32 v1, v14
	v_or_b32_e32 v23, v24, v23
	v_fma_mixlo_f16 v24, v22, v24, 0 op_sel:[0,1,0] op_sel_hi:[0,1,0]
	v_or_b32_e32 v26, v25, v26
	v_fma_mixlo_f16 v25, v22, v25, 0 op_sel:[0,1,0] op_sel_hi:[0,1,0]
	v_or_b32_e32 v28, v27, v28
	v_fma_mixlo_f16 v23, v22, v23, 0 op_sel_hi:[0,1,0]
	v_and_b32_e32 v40, 0xffff, v24
	v_fma_mixlo_f16 v26, v22, v26, 0 op_sel_hi:[0,1,0]
	v_and_b32_e32 v41, 0xffff, v25
	;; [unrolled: 2-line block ×3, first 2 shown]
	v_fma_mixlo_f16 v27, v22, v27, 0 op_sel:[0,1,0] op_sel_hi:[0,1,0]
	v_or_b32_e32 v30, v29, v30
	v_fma_mixlo_f16 v29, v22, v29, 0 op_sel:[0,1,0] op_sel_hi:[0,1,0]
	v_and_b32_e32 v42, 0xffff, v28
	v_or_b32_e32 v32, v31, v32
	v_and_b32_e32 v43, 0xffff, v27
	v_fma_mixlo_f16 v30, v22, v30, 0 op_sel_hi:[0,1,0]
	v_and_b32_e32 v45, 0xffff, v29
	s_waitcnt lgkmcnt(0)
	v_and_b32_e32 v37, 0xffff, v1
	v_lshrrev_b32_e32 v38, 16, v1
	;;#ASMSTART
	v_cvt_f32_f16 v1, v37;
	;;#ASMEND
	;;#ASMSTART
	v_cvt_f32_f16 v23, v38;
	;;#ASMEND
	;;#ASMSTART
	v_cvt_f32_f16 v24, v39;
	;;#ASMEND
	;;#ASMSTART
	v_cvt_f32_f16 v37, v40;
	;;#ASMEND
	ds_read_b32 v38, v14 offset:4
	v_and_b32_e32 v40, 0xffff, v26
	v_and_b32_e32 v44, 0xffff, v30
	v_fma_mixlo_f16 v32, v22, v32, 0 op_sel_hi:[0,1,0]
	v_fma_mixlo_f16 v31, v22, v31, 0 op_sel:[0,1,0] op_sel_hi:[0,1,0]
	v_or_b32_e32 v34, v33, v34
	v_fma_mixlo_f16 v33, v22, v33, 0 op_sel:[0,1,0] op_sel_hi:[0,1,0]
	v_or_b32_e32 v36, v35, v36
	v_and_b32_e32 v46, 0xffff, v32
	v_and_b32_e32 v47, 0xffff, v31
	v_fma_mixlo_f16 v34, v22, v34, 0 op_sel_hi:[0,1,0]
	v_and_b32_e32 v49, 0xffff, v33
	v_fma_mixlo_f16 v35, v22, v35, 0 op_sel:[0,1,0] op_sel_hi:[0,1,0]
	v_fma_mixlo_f16 v36, v22, v36, 0 op_sel_hi:[0,1,0]
	v_or_b32_e32 v8, v7, v8
	v_and_b32_e32 v48, 0xffff, v34
	v_fma_mixlo_f16 v7, v22, v7, 0 op_sel:[0,1,0] op_sel_hi:[0,1,0]
	v_and_b32_e32 v35, 0xffff, v35
	v_and_b32_e32 v36, 0xffff, v36
	v_fma_mixlo_f16 v8, v22, v8, 0 op_sel_hi:[0,1,0]
	s_waitcnt lgkmcnt(0)
	v_and_b32_e32 v39, 0xffff, v38
	v_lshrrev_b32_e32 v38, 16, v38
	;;#ASMSTART
	v_cvt_f32_f16 v25, v39;
	;;#ASMEND
	;;#ASMSTART
	v_cvt_f32_f16 v26, v38;
	;;#ASMEND
	;;#ASMSTART
	v_cvt_f32_f16 v38, v40;
	;;#ASMEND
	;;#ASMSTART
	v_cvt_f32_f16 v39, v41;
	;;#ASMEND
	ds_read_b32 v40, v14 offset:8
	v_mul_f32_e32 v25, v25, v38
	v_mul_f32_e32 v26, v26, v39
	v_fmac_f32_e32 v25, v1, v24
	v_fmac_f32_e32 v26, v23, v37
	s_waitcnt lgkmcnt(0)
	v_and_b32_e32 v41, 0xffff, v40
	v_lshrrev_b32_e32 v40, 16, v40
	;;#ASMSTART
	v_cvt_f32_f16 v27, v41;
	;;#ASMEND
	;;#ASMSTART
	v_cvt_f32_f16 v28, v40;
	;;#ASMEND
	;;#ASMSTART
	v_cvt_f32_f16 v40, v42;
	;;#ASMEND
	;;#ASMSTART
	v_cvt_f32_f16 v41, v43;
	;;#ASMEND
	ds_read_b32 v42, v14 offset:12
	v_fmac_f32_e32 v25, v27, v40
	v_fmac_f32_e32 v26, v28, v41
	v_xor_b32_e32 v27, 2, v10
	v_and_b32_e32 v28, 0xffff, v7
	v_cmp_gt_i32_e64 s3, 32, v27
	v_cndmask_b32_e64 v7, v10, v27, s3
	s_waitcnt lgkmcnt(0)
	v_and_b32_e32 v43, 0xffff, v42
	v_lshrrev_b32_e32 v42, 16, v42
	;;#ASMSTART
	v_cvt_f32_f16 v29, v43;
	;;#ASMEND
	;;#ASMSTART
	v_cvt_f32_f16 v30, v42;
	;;#ASMEND
	;;#ASMSTART
	v_cvt_f32_f16 v42, v44;
	;;#ASMEND
	;;#ASMSTART
	v_cvt_f32_f16 v43, v45;
	;;#ASMEND
	ds_read_b32 v44, v14 offset:16
	v_fmac_f32_e32 v25, v29, v42
	v_fmac_f32_e32 v26, v30, v43
	v_and_b32_e32 v29, 0xffff, v8
	s_waitcnt lgkmcnt(0)
	v_and_b32_e32 v45, 0xffff, v44
	v_lshrrev_b32_e32 v44, 16, v44
	;;#ASMSTART
	v_cvt_f32_f16 v31, v45;
	;;#ASMEND
	;;#ASMSTART
	v_cvt_f32_f16 v32, v44;
	;;#ASMEND
	;;#ASMSTART
	v_cvt_f32_f16 v44, v46;
	;;#ASMEND
	;;#ASMSTART
	v_cvt_f32_f16 v45, v47;
	;;#ASMEND
	ds_read_b32 v46, v14 offset:20
	v_fmac_f32_e32 v25, v31, v44
	v_fmac_f32_e32 v26, v32, v45
	s_waitcnt lgkmcnt(0)
	v_and_b32_e32 v47, 0xffff, v46
	v_lshrrev_b32_e32 v46, 16, v46
	;;#ASMSTART
	v_cvt_f32_f16 v33, v47;
	;;#ASMEND
	;;#ASMSTART
	v_cvt_f32_f16 v34, v46;
	;;#ASMEND
	;;#ASMSTART
	v_cvt_f32_f16 v46, v48;
	;;#ASMEND
	;;#ASMSTART
	v_cvt_f32_f16 v47, v49;
	;;#ASMEND
	ds_read_b32 v48, v14 offset:24
	v_fmac_f32_e32 v25, v33, v46
	v_fmac_f32_e32 v26, v34, v47
	;; [unrolled: 18-line block ×3, first 2 shown]
	s_waitcnt lgkmcnt(0)
	v_and_b32_e32 v22, 0xffff, v36
	v_lshrrev_b32_e32 v27, 16, v36
	;;#ASMSTART
	v_cvt_f32_f16 v1, v22;
	;;#ASMEND
	;;#ASMSTART
	v_cvt_f32_f16 v8, v27;
	;;#ASMEND
	;; [unrolled: 3-line block ×4, first 2 shown]
	v_fmac_f32_e32 v25, v1, v22
	v_fmac_f32_e32 v26, v8, v23
	v_lshlrev_b32_e32 v1, 2, v7
	v_xor_b32_e32 v8, 1, v10
	v_add_f32_e32 v7, v25, v26
	v_cmp_gt_i32_e64 s3, 32, v8
	ds_bpermute_b32 v1, v1, v7
	v_cndmask_b32_e64 v8, v10, v8, s3
	s_waitcnt lgkmcnt(0)
	v_add_f32_e32 v1, v7, v1
	v_lshlrev_b32_e32 v7, 2, v8
	ds_bpermute_b32 v7, v7, v1
	s_and_saveexec_b32 s4, vcc_lo
	s_cbranch_execz .LBB244_8
; %bb.138:                              ;   in Loop: Header=BB244_9 Depth=1
	v_add_nc_u32_e32 v8, s5, v15
	s_waitcnt lgkmcnt(0)
	v_add_f32_e32 v1, v1, v7
	v_cmp_gt_i32_e64 s3, s11, v15
	v_cvt_f32_i32_e32 v8, v8
	v_mul_f32_e32 v8, s28, v8
	v_cndmask_b32_e64 v7, 0, v8, s2
	v_max_f32_e32 v8, v12, v12
	v_fmac_f32_e32 v7, s29, v1
	v_max_f32_e32 v1, v8, v7
	v_cndmask_b32_e64 v7, 0, v7, s3
	v_cndmask_b32_e64 v12, v12, v1, s3
	ds_write_b32 v16, v7
	s_branch .LBB244_8
.LBB244_139:
	s_or_b32 exec_lo, exec_lo, s30
.LBB244_140:
	s_or_b32 exec_lo, exec_lo, s19
	v_xor_b32_e32 v1, 16, v10
	v_xor_b32_e32 v4, 8, v10
	v_max_f32_e32 v5, v12, v12
	v_xor_b32_e32 v6, 4, v10
	v_cmp_lt_i32_e32 vcc_lo, v1, v13
	v_cndmask_b32_e32 v1, v10, v1, vcc_lo
	v_cmp_lt_i32_e32 vcc_lo, v4, v13
	v_lshlrev_b32_e32 v3, 2, v1
	v_cndmask_b32_e32 v4, v10, v4, vcc_lo
	v_cmp_lt_i32_e32 vcc_lo, v6, v13
	ds_bpermute_b32 v1, v3, v12
	v_lshlrev_b32_e32 v4, 2, v4
	v_cndmask_b32_e32 v6, v10, v6, vcc_lo
	v_and_b32_e32 v12, 31, v0
	s_waitcnt lgkmcnt(0)
	v_lshlrev_b32_e32 v7, 2, v6
	v_cmp_eq_u32_e32 vcc_lo, 0, v12
	v_max_f32_e32 v1, v1, v1
	v_max_f32_e32 v1, v5, v1
	ds_bpermute_b32 v5, v4, v1
	s_waitcnt lgkmcnt(0)
	v_max_f32_e32 v5, v5, v5
	v_max_f32_e32 v1, v1, v5
	v_lshlrev_b32_e32 v5, 2, v11
	ds_bpermute_b32 v6, v7, v1
	s_and_saveexec_b32 s2, vcc_lo
	s_cbranch_execz .LBB244_142
; %bb.141:
	s_waitcnt lgkmcnt(0)
	v_max_f32_e32 v6, v6, v6
	v_max_f32_e32 v1, v1, v1
	;; [unrolled: 1-line block ×3, first 2 shown]
	ds_write_b32 v5, v1 offset:128
.LBB244_142:
	s_or_b32 exec_lo, exec_lo, s2
	v_cmp_gt_u32_e64 s2, 4, v12
	v_mov_b32_e32 v1, 0xff7fffff
	s_waitcnt lgkmcnt(0)
	v_lshlrev_b32_e32 v6, 2, v12
	s_barrier
	buffer_gl0_inv
	s_and_saveexec_b32 s3, s2
; %bb.143:
	ds_read_b32 v1, v6 offset:128
; %bb.144:
	s_or_b32 exec_lo, exec_lo, s3
	v_xor_b32_e32 v8, 2, v10
	v_xor_b32_e32 v15, 1, v10
	v_lshlrev_b32_e32 v2, 2, v2
	v_cmp_lt_i32_e64 s3, v8, v13
	v_cndmask_b32_e64 v8, v10, v8, s3
	v_cmp_lt_i32_e64 s3, v15, v13
	v_lshlrev_b32_e32 v8, 2, v8
	v_cndmask_b32_e64 v13, v10, v15, s3
	s_lshl_b32 s3, s16, 3
	s_min_i32 s5, s3, s11
	s_waitcnt lgkmcnt(0)
	ds_bpermute_b32 v14, v8, v1
	v_max_f32_e32 v1, v1, v1
	v_lshlrev_b32_e32 v13, 2, v13
	v_cmp_gt_i32_e64 s3, s5, v0
	s_waitcnt lgkmcnt(0)
	v_max_f32_e32 v14, v14, v14
	v_max_f32_e32 v1, v1, v14
	ds_bpermute_b32 v14, v13, v1
	s_waitcnt lgkmcnt(0)
	v_max_f32_e32 v14, v14, v14
	v_max_f32_e32 v1, v1, v14
	ds_bpermute_b32 v14, v2, v1
	v_mov_b32_e32 v2, 0
	v_lshl_add_u32 v1, v0, 2, 0xa0
	s_and_saveexec_b32 s12, s3
	s_cbranch_execz .LBB244_148
; %bb.145:
	v_lshl_add_u32 v15, v0, 2, 0xa0
	v_mov_b32_e32 v2, 0
	v_mov_b32_e32 v16, v0
	s_mov_b32 s13, 0
	.p2align	6
.LBB244_146:                            ; =>This Inner Loop Header: Depth=1
	ds_read_b32 v17, v15
	v_add_nc_u32_e32 v16, 0x80, v16
	v_cmp_le_i32_e64 s4, s5, v16
	s_or_b32 s13, s4, s13
	s_waitcnt lgkmcnt(0)
	v_sub_f32_e32 v17, v17, v14
	v_mul_f32_e32 v17, 0x3fb8aa3b, v17
	v_exp_f32_e32 v17, v17
	ds_write_b32 v15, v17
	v_add_f32_e32 v2, v2, v17
	v_add_nc_u32_e32 v15, 0x200, v15
	s_andn2_b32 exec_lo, exec_lo, s13
	s_cbranch_execnz .LBB244_146
; %bb.147:
	s_or_b32 exec_lo, exec_lo, s13
.LBB244_148:
	s_or_b32 exec_lo, exec_lo, s12
	ds_bpermute_b32 v3, v3, v2
	s_waitcnt lgkmcnt(0)
	v_add_f32_e32 v2, v2, v3
	ds_bpermute_b32 v3, v4, v2
	s_waitcnt lgkmcnt(0)
	v_add_f32_e32 v2, v2, v3
	;; [unrolled: 3-line block ×5, first 2 shown]
	s_and_saveexec_b32 s4, vcc_lo
; %bb.149:
	ds_write_b32 v5, v2 offset:144
; %bb.150:
	s_or_b32 exec_lo, exec_lo, s4
	s_waitcnt lgkmcnt(0)
	s_barrier
	buffer_gl0_inv
	s_and_saveexec_b32 s4, s2
; %bb.151:
	ds_read_b32 v2, v6 offset:144
; %bb.152:
	s_or_b32 exec_lo, exec_lo, s4
	s_waitcnt lgkmcnt(0)
	ds_bpermute_b32 v3, v8, v2
	v_lshlrev_b32_e32 v4, 2, v10
	s_waitcnt lgkmcnt(0)
	v_add_f32_e32 v2, v2, v3
	ds_bpermute_b32 v3, v13, v2
	s_waitcnt lgkmcnt(0)
	v_add_f32_e32 v2, v2, v3
	v_and_b32_e32 v3, 0xffffff80, v4
	ds_bpermute_b32 v2, v3, v2
	s_and_saveexec_b32 s2, s3
	s_cbranch_execz .LBB244_155
; %bb.153:
	s_waitcnt lgkmcnt(0)
	v_add_f32_e32 v2, 0x358637bd, v2
	s_mov_b32 s3, 0
	v_div_scale_f32 v3, null, v2, v2, 1.0
	v_div_scale_f32 v6, vcc_lo, 1.0, v2, 1.0
	v_rcp_f32_e32 v4, v3
	v_fma_f32 v5, -v3, v4, 1.0
	v_fmac_f32_e32 v4, v5, v4
	v_mul_f32_e32 v5, v6, v4
	v_fma_f32 v7, -v3, v5, v6
	v_fmac_f32_e32 v5, v7, v4
	v_fma_f32 v3, -v3, v5, v6
	v_div_fmas_f32 v3, v3, v4, v5
	v_div_fixup_f32 v2, v3, v2, 1.0
	v_mov_b32_e32 v3, v0
.LBB244_154:                            ; =>This Inner Loop Header: Depth=1
	ds_read_b32 v4, v1
	v_add_nc_u32_e32 v3, 0x80, v3
	v_cmp_le_i32_e32 vcc_lo, s5, v3
	s_or_b32 s3, vcc_lo, s3
	s_waitcnt lgkmcnt(0)
	v_mul_f32_e32 v4, v2, v4
	ds_write_b32 v1, v4
	v_add_nc_u32_e32 v1, 0x200, v1
	s_andn2_b32 exec_lo, exec_lo, s3
	s_cbranch_execnz .LBB244_154
.LBB244_155:
	s_or_b32 exec_lo, exec_lo, s2
	v_mov_b32_e32 v14, 0
	v_mov_b32_e32 v13, 0
	s_waitcnt lgkmcnt(0)
	s_barrier
	buffer_gl0_inv
	s_and_saveexec_b32 s4, s1
	s_cbranch_execz .LBB244_291
; %bb.156:
	v_lshlrev_b32_e32 v1, 3, v12
	s_ashr_i32 s1, s18, 31
	s_add_u32 s2, s26, s18
	s_addc_u32 s1, s27, s1
	s_add_i32 s12, s16, -1
	v_add_co_u32 v3, s2, s2, v1
	v_and_b32_e32 v1, 0x7c, v9
	v_add_co_ci_u32_e64 v4, null, s1, 0, s2
	s_lshl_b64 s[2:3], s[24:25], 2
	v_mov_b32_e32 v2, 0
	s_add_u32 s1, s22, s2
	s_addc_u32 s2, s23, s3
	v_add_co_u32 v5, s1, s1, v1
	v_lshl_or_b32 v15, v11, 3, 7
	v_lshl_add_u32 v16, v11, 5, 0xa0
	v_add_co_ci_u32_e64 v6, null, s2, 0, s1
	v_mov_b32_e32 v17, 0x80
	v_mov_b32_e32 v18, 0x7f
	v_mov_b32_e32 v19, 7
	v_mov_b32_e32 v20, 8
	v_mov_b32_e32 v13, 0
	v_mov_b32_e32 v14, 0
	v_mov_b32_e32 v21, v11
	s_mov_b32 s2, -1
	s_mov_b32 s5, s17
	s_mov_b32 s3, 0xffffff
	;; [unrolled: 1-line block ×3, first 2 shown]
	s_branch .LBB244_158
.LBB244_157:                            ;   in Loop: Header=BB244_158 Depth=1
	s_or_b32 exec_lo, exec_lo, s1
	;;#ASMSTART
	v_pk_mul_f16 v1, v32, v39;

	;;#ASMEND
	;;#ASMSTART
	v_pk_mul_f16 v7, v29, v35;

	;;#ASMEND
	;; [unrolled: 4-line block ×4, first 2 shown]
	;;#ASMSTART
	v_pk_add_f16 v1, v1, v7;

	;;#ASMEND
	;;#ASMSTART
	v_pk_add_f16 v1, v1, v8;

	;;#ASMEND
	;; [unrolled: 4-line block ×3, first 2 shown]
	v_and_b32_e32 v7, 0xffff, v1
	v_add_nc_u32_e32 v21, 4, v21
	v_lshrrev_b32_e32 v8, 16, v1
	;;#ASMSTART
	v_cvt_f32_f16 v7, v7;
	;;#ASMEND
	v_add_f32_e32 v1, v30, v31
	;;#ASMSTART
	v_cvt_f32_f16 v8, v8;
	;;#ASMEND
	v_add_f32_e32 v7, v7, v8
	v_cmp_le_i32_e32 vcc_lo, s16, v21
	v_add_co_u32 v5, s1, v5, 16
	v_add_f32_e32 v14, v14, v1
	v_add_f32_e32 v13, v13, v7
	v_add_nc_u32_e32 v15, 32, v15
	v_add_nc_u32_e32 v16, 0x80, v16
	v_add_co_ci_u32_e64 v6, null, 0, v6, s1
	s_or_b32 s13, vcc_lo, s13
	s_andn2_b32 exec_lo, exec_lo, s13
	s_cbranch_execz .LBB244_290
.LBB244_158:                            ; =>This Inner Loop Header: Depth=1
	global_load_dword v1, v[5:6], off
	ds_read2_b64 v[22:25], v16 offset1:1
	ds_read2_b64 v[33:36], v16 offset0:2 offset1:3
	s_waitcnt lgkmcnt(1)
	;;#ASMSTART
	v_cvt_f16_f32 v27, v22;

	;;#ASMEND
	;;#ASMSTART
	v_cvt_f16_f32 v28, v23;

	;;#ASMEND
	;; [unrolled: 4-line block ×4, first 2 shown]
	s_waitcnt lgkmcnt(0)
	;;#ASMSTART
	v_cvt_f16_f32 v33, v33;

	;;#ASMEND
	;;#ASMSTART
	v_cvt_f16_f32 v30, v34;

	;;#ASMEND
	;; [unrolled: 4-line block ×4, first 2 shown]
	v_mov_b32_e32 v23, 0
	s_waitcnt vmcnt(0)
	v_mad_i64_i32 v[7:8], null, v1, s5, v[3:4]
	global_load_dwordx2 v[9:10], v[7:8], off
	global_load_dword v22, v2, s[14:15]
	s_waitcnt vmcnt(1)
	v_cmp_ne_u16_sdwa s17, v9, v2 src0_sel:BYTE_0 src1_sel:DWORD
	s_and_saveexec_b32 s1, s17
	s_cbranch_execz .LBB244_166
; %bb.159:                              ;   in Loop: Header=BB244_158 Depth=1
	v_cmp_ne_u16_sdwa s18, v9, v17 src0_sel:BYTE_0 src1_sel:DWORD
	v_mov_b32_e32 v23, 0x8000
	s_and_saveexec_b32 s17, s18
	s_cbranch_execz .LBB244_165
; %bb.160:                              ;   in Loop: Header=BB244_158 Depth=1
	v_and_b32_e32 v24, 0x7f, v9
	v_mov_b32_e32 v23, 0x7c01
	s_mov_b32 s18, exec_lo
	v_cmpx_ne_u32_e32 0x7f, v24
	s_cbranch_execz .LBB244_164
; %bb.161:                              ;   in Loop: Header=BB244_158 Depth=1
	v_and_b32_e32 v1, 7, v9
	v_lshrrev_b32_e32 v23, 3, v24
	s_mov_b32 s19, exec_lo
	v_cmpx_gt_u32_e32 8, v24
; %bb.162:                              ;   in Loop: Header=BB244_158 Depth=1
	v_ffbh_u32_e32 v1, v1
	v_min_u32_e32 v1, 32, v1
	v_subrev_nc_u32_e32 v23, 28, v1
	v_lshlrev_b64 v[24:25], v23, v[9:10]
	v_sub_nc_u32_e32 v23, 29, v1
	v_and_b32_e32 v1, 7, v24
; %bb.163:                              ;   in Loop: Header=BB244_158 Depth=1
	s_or_b32 exec_lo, exec_lo, s19
	v_lshlrev_b32_e32 v24, 8, v9
	v_lshl_add_u32 v23, v23, 10, 0x2000
	v_lshlrev_b32_e32 v1, 7, v1
	v_and_b32_e32 v24, 0x8000, v24
	v_and_b32_e32 v23, 0xfc00, v23
	v_or3_b32 v23, v24, v23, v1
.LBB244_164:                            ;   in Loop: Header=BB244_158 Depth=1
	s_or_b32 exec_lo, exec_lo, s18
.LBB244_165:                            ;   in Loop: Header=BB244_158 Depth=1
	s_or_b32 exec_lo, exec_lo, s17
.LBB244_166:                            ;   in Loop: Header=BB244_158 Depth=1
	s_or_b32 exec_lo, exec_lo, s1
	v_lshrrev_b16 v1, 8, v9
	v_mov_b32_e32 v25, 0
	v_mov_b32_e32 v24, 0
	s_mov_b32 s1, exec_lo
	v_cmpx_ne_u16_e32 0, v1
	s_cbranch_execz .LBB244_174
; %bb.167:                              ;   in Loop: Header=BB244_158 Depth=1
	v_bfrev_b32_e32 v24, 1
	s_mov_b32 s17, exec_lo
	v_cmpx_ne_u16_e32 0x80, v1
	s_cbranch_execz .LBB244_173
; %bb.168:                              ;   in Loop: Header=BB244_158 Depth=1
	v_and_b32_sdwa v35, v1, v18 dst_sel:DWORD dst_unused:UNUSED_PAD src0_sel:WORD_0 src1_sel:DWORD
	v_mov_b32_e32 v24, 0x7c010000
	s_mov_b32 s18, exec_lo
	v_cmpx_ne_u32_e32 0x7f, v35
	s_cbranch_execz .LBB244_172
; %bb.169:                              ;   in Loop: Header=BB244_158 Depth=1
	v_and_b32_sdwa v24, v1, v19 dst_sel:DWORD dst_unused:UNUSED_PAD src0_sel:WORD_0 src1_sel:DWORD
	v_lshrrev_b32_e32 v26, 3, v35
	s_mov_b32 s19, exec_lo
	v_cmpx_gt_u32_e32 8, v35
; %bb.170:                              ;   in Loop: Header=BB244_158 Depth=1
	v_ffbh_u32_e32 v24, v24
	v_min_u32_e32 v24, 32, v24
	v_subrev_nc_u32_e32 v26, 28, v24
	v_lshlrev_b64 v[35:36], v26, v[1:2]
	v_sub_nc_u32_e32 v26, 29, v24
	v_and_b32_e32 v24, 7, v35
; %bb.171:                              ;   in Loop: Header=BB244_158 Depth=1
	s_or_b32 exec_lo, exec_lo, s19
	v_lshlrev_b32_sdwa v1, v20, v1 dst_sel:DWORD dst_unused:UNUSED_PAD src0_sel:DWORD src1_sel:WORD_0
	v_lshl_add_u32 v26, v26, 10, 0x2000
	v_lshlrev_b32_e32 v24, 23, v24
	v_and_or_b32 v1, 0x8000, v1, v26
	v_lshl_or_b32 v24, v1, 16, v24
.LBB244_172:                            ;   in Loop: Header=BB244_158 Depth=1
	s_or_b32 exec_lo, exec_lo, s18
.LBB244_173:                            ;   in Loop: Header=BB244_158 Depth=1
	s_or_b32 exec_lo, exec_lo, s17
.LBB244_174:                            ;   in Loop: Header=BB244_158 Depth=1
	s_or_b32 exec_lo, exec_lo, s1
	v_lshrrev_b32_e32 v1, 16, v9
	v_cmp_ne_u16_sdwa s17, v1, v2 src0_sel:BYTE_0 src1_sel:DWORD
	s_and_saveexec_b32 s1, s17
	s_cbranch_execz .LBB244_182
; %bb.175:                              ;   in Loop: Header=BB244_158 Depth=1
	v_cmp_ne_u16_sdwa s18, v1, v17 src0_sel:BYTE_0 src1_sel:DWORD
	v_mov_b32_e32 v25, 0x8000
	s_and_saveexec_b32 s17, s18
	s_cbranch_execz .LBB244_181
; %bb.176:                              ;   in Loop: Header=BB244_158 Depth=1
	v_bfe_u32 v35, v9, 16, 7
	v_mov_b32_e32 v25, 0x7c01
	s_mov_b32 s18, exec_lo
	v_cmpx_ne_u32_e32 0x7f, v35
	s_cbranch_execz .LBB244_180
; %bb.177:                              ;   in Loop: Header=BB244_158 Depth=1
	v_and_b32_e32 v25, 7, v1
	v_lshrrev_b32_e32 v26, 3, v35
	s_mov_b32 s19, exec_lo
	v_cmpx_gt_u32_e32 8, v35
; %bb.178:                              ;   in Loop: Header=BB244_158 Depth=1
	v_ffbh_u32_e32 v25, v25
	v_min_u32_e32 v35, 32, v25
	v_subrev_nc_u32_e32 v25, 28, v35
	v_lshlrev_b64 v[25:26], v25, v[1:2]
	v_sub_nc_u32_e32 v26, 29, v35
	v_and_b32_e32 v25, 7, v25
; %bb.179:                              ;   in Loop: Header=BB244_158 Depth=1
	s_or_b32 exec_lo, exec_lo, s19
	v_lshlrev_b32_e32 v1, 8, v1
	v_lshl_add_u32 v26, v26, 10, 0x2000
	v_lshlrev_b32_e32 v25, 7, v25
	v_and_b32_e32 v1, 0x8000, v1
	v_and_b32_e32 v26, 0xfc00, v26
	v_or3_b32 v25, v1, v26, v25
.LBB244_180:                            ;   in Loop: Header=BB244_158 Depth=1
	s_or_b32 exec_lo, exec_lo, s18
.LBB244_181:                            ;   in Loop: Header=BB244_158 Depth=1
	s_or_b32 exec_lo, exec_lo, s17
.LBB244_182:                            ;   in Loop: Header=BB244_158 Depth=1
	s_or_b32 exec_lo, exec_lo, s1
	v_mov_b32_e32 v26, 0
	v_mov_b32_e32 v35, 0
	s_mov_b32 s1, exec_lo
	v_cmpx_lt_u32_e32 0xffffff, v9
	s_cbranch_execz .LBB244_190
; %bb.183:                              ;   in Loop: Header=BB244_158 Depth=1
	v_lshrrev_b32_e32 v1, 24, v9
	v_bfrev_b32_e32 v35, 1
	s_mov_b32 s17, exec_lo
	v_cmpx_ne_u32_e32 0x80, v1
	s_cbranch_execz .LBB244_189
; %bb.184:                              ;   in Loop: Header=BB244_158 Depth=1
	v_and_b32_e32 v37, 0x7f, v1
	v_mov_b32_e32 v35, 0x7c010000
	s_mov_b32 s18, exec_lo
	v_cmpx_ne_u32_e32 0x7f, v37
	s_cbranch_execz .LBB244_188
; %bb.185:                              ;   in Loop: Header=BB244_158 Depth=1
	v_and_b32_e32 v35, 7, v1
	v_lshrrev_b32_e32 v36, 3, v37
	s_mov_b32 s19, exec_lo
	v_cmpx_gt_u32_e32 8, v37
; %bb.186:                              ;   in Loop: Header=BB244_158 Depth=1
	v_ffbh_u32_e32 v35, v35
	v_min_u32_e32 v37, 32, v35
	v_subrev_nc_u32_e32 v35, 28, v37
	v_lshlrev_b64 v[35:36], v35, v[1:2]
	v_sub_nc_u32_e32 v36, 29, v37
	v_and_b32_e32 v35, 7, v35
; %bb.187:                              ;   in Loop: Header=BB244_158 Depth=1
	s_or_b32 exec_lo, exec_lo, s19
	v_lshlrev_b32_e32 v1, 8, v1
	v_lshl_add_u32 v36, v36, 10, 0x2000
	v_lshlrev_b32_e32 v35, 23, v35
	v_and_or_b32 v1, 0x8000, v1, v36
	v_lshl_or_b32 v35, v1, 16, v35
.LBB244_188:                            ;   in Loop: Header=BB244_158 Depth=1
	s_or_b32 exec_lo, exec_lo, s18
.LBB244_189:                            ;   in Loop: Header=BB244_158 Depth=1
	s_or_b32 exec_lo, exec_lo, s17
.LBB244_190:                            ;   in Loop: Header=BB244_158 Depth=1
	s_or_b32 exec_lo, exec_lo, s1
	v_mov_b32_e32 v1, v10
	v_cmp_ne_u16_sdwa s17, v10, v2 src0_sel:BYTE_0 src1_sel:DWORD
	s_and_saveexec_b32 s1, s17
	s_cbranch_execz .LBB244_198
; %bb.191:                              ;   in Loop: Header=BB244_158 Depth=1
	v_cmp_ne_u16_sdwa s18, v10, v17 src0_sel:BYTE_0 src1_sel:DWORD
	v_mov_b32_e32 v26, 0x8000
	s_and_saveexec_b32 s17, s18
	s_cbranch_execz .LBB244_197
; %bb.192:                              ;   in Loop: Header=BB244_158 Depth=1
	v_and_b32_e32 v37, 0x7f, v10
	v_mov_b32_e32 v26, 0x7c01
	s_mov_b32 s18, exec_lo
	v_cmpx_ne_u32_e32 0x7f, v37
	s_cbranch_execz .LBB244_196
; %bb.193:                              ;   in Loop: Header=BB244_158 Depth=1
	v_and_b32_e32 v26, 7, v10
	v_lshrrev_b32_e32 v36, 3, v37
	s_mov_b32 s19, exec_lo
	v_cmpx_gt_u32_e32 8, v37
; %bb.194:                              ;   in Loop: Header=BB244_158 Depth=1
	v_ffbh_u32_e32 v26, v26
	v_min_u32_e32 v26, 32, v26
	v_subrev_nc_u32_e32 v36, 28, v26
	v_lshlrev_b64 v[37:38], v36, v[1:2]
	v_sub_nc_u32_e32 v36, 29, v26
	v_and_b32_e32 v26, 7, v37
; %bb.195:                              ;   in Loop: Header=BB244_158 Depth=1
	s_or_b32 exec_lo, exec_lo, s19
	v_lshlrev_b32_e32 v37, 8, v10
	v_lshl_add_u32 v36, v36, 10, 0x2000
	v_lshlrev_b32_e32 v26, 7, v26
	v_and_b32_e32 v37, 0x8000, v37
	v_and_b32_e32 v36, 0xfc00, v36
	v_or3_b32 v26, v37, v36, v26
.LBB244_196:                            ;   in Loop: Header=BB244_158 Depth=1
	s_or_b32 exec_lo, exec_lo, s18
.LBB244_197:                            ;   in Loop: Header=BB244_158 Depth=1
	s_or_b32 exec_lo, exec_lo, s17
.LBB244_198:                            ;   in Loop: Header=BB244_158 Depth=1
	s_or_b32 exec_lo, exec_lo, s1
	v_lshrrev_b16 v1, 8, v1
	v_mov_b32_e32 v37, 0
	v_mov_b32_e32 v36, 0
	s_mov_b32 s1, exec_lo
	v_cmpx_ne_u16_e32 0, v1
	s_cbranch_execz .LBB244_206
; %bb.199:                              ;   in Loop: Header=BB244_158 Depth=1
	v_bfrev_b32_e32 v36, 1
	s_mov_b32 s17, exec_lo
	v_cmpx_ne_u16_e32 0x80, v1
	s_cbranch_execz .LBB244_205
; %bb.200:                              ;   in Loop: Header=BB244_158 Depth=1
	v_and_b32_sdwa v39, v1, v18 dst_sel:DWORD dst_unused:UNUSED_PAD src0_sel:WORD_0 src1_sel:DWORD
	v_mov_b32_e32 v36, 0x7c010000
	s_mov_b32 s18, exec_lo
	v_cmpx_ne_u32_e32 0x7f, v39
	s_cbranch_execz .LBB244_204
; %bb.201:                              ;   in Loop: Header=BB244_158 Depth=1
	v_and_b32_sdwa v36, v1, v19 dst_sel:DWORD dst_unused:UNUSED_PAD src0_sel:WORD_0 src1_sel:DWORD
	v_lshrrev_b32_e32 v38, 3, v39
	s_mov_b32 s19, exec_lo
	v_cmpx_gt_u32_e32 8, v39
; %bb.202:                              ;   in Loop: Header=BB244_158 Depth=1
	v_ffbh_u32_e32 v36, v36
	v_min_u32_e32 v36, 32, v36
	v_subrev_nc_u32_e32 v38, 28, v36
	v_lshlrev_b64 v[39:40], v38, v[1:2]
	v_sub_nc_u32_e32 v38, 29, v36
	v_and_b32_e32 v36, 7, v39
; %bb.203:                              ;   in Loop: Header=BB244_158 Depth=1
	s_or_b32 exec_lo, exec_lo, s19
	v_lshlrev_b32_sdwa v1, v20, v1 dst_sel:DWORD dst_unused:UNUSED_PAD src0_sel:DWORD src1_sel:WORD_0
	v_lshl_add_u32 v38, v38, 10, 0x2000
	v_lshlrev_b32_e32 v36, 23, v36
	v_and_or_b32 v1, 0x8000, v1, v38
	v_lshl_or_b32 v36, v1, 16, v36
.LBB244_204:                            ;   in Loop: Header=BB244_158 Depth=1
	s_or_b32 exec_lo, exec_lo, s18
.LBB244_205:                            ;   in Loop: Header=BB244_158 Depth=1
	s_or_b32 exec_lo, exec_lo, s17
.LBB244_206:                            ;   in Loop: Header=BB244_158 Depth=1
	s_or_b32 exec_lo, exec_lo, s1
	v_lshrrev_b32_e32 v1, 16, v10
	v_cmp_ne_u16_sdwa s17, v1, v2 src0_sel:BYTE_0 src1_sel:DWORD
	s_and_saveexec_b32 s1, s17
	s_cbranch_execz .LBB244_214
; %bb.207:                              ;   in Loop: Header=BB244_158 Depth=1
	v_cmp_ne_u16_sdwa s18, v1, v17 src0_sel:BYTE_0 src1_sel:DWORD
	v_mov_b32_e32 v37, 0x8000
	s_and_saveexec_b32 s17, s18
	s_cbranch_execz .LBB244_213
; %bb.208:                              ;   in Loop: Header=BB244_158 Depth=1
	v_bfe_u32 v39, v10, 16, 7
	v_mov_b32_e32 v37, 0x7c01
	s_mov_b32 s18, exec_lo
	v_cmpx_ne_u32_e32 0x7f, v39
	s_cbranch_execz .LBB244_212
; %bb.209:                              ;   in Loop: Header=BB244_158 Depth=1
	v_and_b32_e32 v37, 7, v1
	v_lshrrev_b32_e32 v38, 3, v39
	s_mov_b32 s19, exec_lo
	v_cmpx_gt_u32_e32 8, v39
; %bb.210:                              ;   in Loop: Header=BB244_158 Depth=1
	v_ffbh_u32_e32 v37, v37
	v_min_u32_e32 v39, 32, v37
	v_subrev_nc_u32_e32 v37, 28, v39
	v_lshlrev_b64 v[37:38], v37, v[1:2]
	v_sub_nc_u32_e32 v38, 29, v39
	v_and_b32_e32 v37, 7, v37
; %bb.211:                              ;   in Loop: Header=BB244_158 Depth=1
	s_or_b32 exec_lo, exec_lo, s19
	v_lshlrev_b32_e32 v1, 8, v1
	v_lshl_add_u32 v38, v38, 10, 0x2000
	v_lshlrev_b32_e32 v37, 7, v37
	v_and_b32_e32 v1, 0x8000, v1
	v_and_b32_e32 v38, 0xfc00, v38
	v_or3_b32 v37, v1, v38, v37
.LBB244_212:                            ;   in Loop: Header=BB244_158 Depth=1
	s_or_b32 exec_lo, exec_lo, s18
.LBB244_213:                            ;   in Loop: Header=BB244_158 Depth=1
	s_or_b32 exec_lo, exec_lo, s17
.LBB244_214:                            ;   in Loop: Header=BB244_158 Depth=1
	s_or_b32 exec_lo, exec_lo, s1
	v_mov_b32_e32 v38, 0
	s_mov_b32 s1, exec_lo
	v_cmpx_lt_u64_e64 s[2:3], v[9:10]
	s_cbranch_execz .LBB244_222
; %bb.215:                              ;   in Loop: Header=BB244_158 Depth=1
	v_lshrrev_b32_e32 v1, 24, v10
	v_bfrev_b32_e32 v38, 1
	s_mov_b32 s17, exec_lo
	v_cmpx_ne_u32_e32 0x80, v1
	s_cbranch_execz .LBB244_221
; %bb.216:                              ;   in Loop: Header=BB244_158 Depth=1
	v_and_b32_e32 v39, 0x7f, v1
	v_mov_b32_e32 v38, 0x7c010000
	s_mov_b32 s18, exec_lo
	v_cmpx_ne_u32_e32 0x7f, v39
	s_cbranch_execz .LBB244_220
; %bb.217:                              ;   in Loop: Header=BB244_158 Depth=1
	v_and_b32_e32 v9, 7, v1
	v_lshrrev_b32_e32 v10, 3, v39
	s_mov_b32 s19, exec_lo
	v_cmpx_gt_u32_e32 8, v39
; %bb.218:                              ;   in Loop: Header=BB244_158 Depth=1
	v_ffbh_u32_e32 v9, v9
	v_min_u32_e32 v38, 32, v9
	v_subrev_nc_u32_e32 v9, 28, v38
	v_lshlrev_b64 v[9:10], v9, v[1:2]
	v_sub_nc_u32_e32 v10, 29, v38
	v_and_b32_e32 v9, 7, v9
; %bb.219:                              ;   in Loop: Header=BB244_158 Depth=1
	s_or_b32 exec_lo, exec_lo, s19
	v_lshlrev_b32_e32 v1, 8, v1
	v_lshl_add_u32 v10, v10, 10, 0x2000
	v_lshlrev_b32_e32 v9, 23, v9
	v_and_or_b32 v1, 0x8000, v1, v10
	v_lshl_or_b32 v38, v1, 16, v9
.LBB244_220:                            ;   in Loop: Header=BB244_158 Depth=1
	s_or_b32 exec_lo, exec_lo, s18
.LBB244_221:                            ;   in Loop: Header=BB244_158 Depth=1
	s_or_b32 exec_lo, exec_lo, s17
.LBB244_222:                            ;   in Loop: Header=BB244_158 Depth=1
	s_or_b32 exec_lo, exec_lo, s1
	v_or_b32_e32 v1, v35, v25
	s_waitcnt vmcnt(0)
	v_fma_mixlo_f16 v10, v22, v35, 0 op_sel:[0,1,0] op_sel_hi:[0,1,0]
	v_or_b32_e32 v23, v24, v23
	v_fma_mixlo_f16 v24, v22, v24, 0 op_sel:[0,1,0] op_sel_hi:[0,1,0]
	v_or_b32_e32 v25, v36, v26
	v_fma_mixlo_f16 v1, v22, v1, 0 op_sel_hi:[0,1,0]
	v_or_b32_e32 v26, v38, v37
	v_lshlrev_b32_e32 v35, 16, v10
	v_lshlrev_b32_e32 v43, 16, v24
	v_fma_mixlo_f16 v10, v22, v36, 0 op_sel:[0,1,0] op_sel_hi:[0,1,0]
	v_and_b32_e32 v40, 0xffff, v1
	v_fma_mixlo_f16 v1, v22, v23, 0 op_sel_hi:[0,1,0]
	v_fma_mixlo_f16 v23, v22, v25, 0 op_sel_hi:[0,1,0]
	v_fma_mixlo_f16 v24, v22, v38, 0 op_sel:[0,1,0] op_sel_hi:[0,1,0]
	v_fma_mixlo_f16 v22, v22, v26, 0 op_sel_hi:[0,1,0]
	v_lshlrev_b32_e32 v41, 16, v10
	v_and_b32_e32 v45, 0xffff, v1
	v_and_b32_e32 v44, 0xffff, v23
	v_lshlrev_b32_e32 v38, 16, v24
	v_and_b32_e32 v42, 0xffff, v22
	v_add_nc_u32_e32 v9, -7, v15
	v_cmp_eq_u32_e32 vcc_lo, s12, v21
	v_or_b32_e32 v1, v35, v40
	v_or_b32_e32 v36, v43, v45
	;; [unrolled: 1-line block ×4, first 2 shown]
	v_add_nc_u32_e32 v26, -6, v15
	v_add_nc_u32_e32 v25, -5, v15
	;; [unrolled: 1-line block ×6, first 2 shown]
	s_and_saveexec_b32 s17, vcc_lo
	s_cbranch_execz .LBB244_224
; %bb.223:                              ;   in Loop: Header=BB244_158 Depth=1
	v_cmp_gt_i32_e64 s1, s11, v9
	v_cndmask_b32_e64 v1, 0, v45, s1
	v_cmp_gt_i32_e64 s1, s11, v26
	v_cndmask_b32_e64 v36, 0, v43, s1
	v_cmp_gt_i32_e64 s1, s11, v25
	v_or_b32_e32 v36, v36, v1
	v_cndmask_b32_e64 v37, 0, v40, s1
	v_cmp_gt_i32_e64 s1, s11, v24
	v_cndmask_b32_e64 v35, 0, v35, s1
	v_cmp_gt_i32_e64 s1, s11, v23
	v_or_b32_e32 v1, v35, v37
	;; [unrolled: 5-line block ×3, first 2 shown]
	v_cndmask_b32_e64 v41, 0, v42, s1
	v_cmp_gt_i32_e64 s1, s11, v15
	v_cndmask_b32_e64 v38, 0, v38, s1
	v_or_b32_e32 v39, v38, v41
.LBB244_224:                            ;   in Loop: Header=BB244_158 Depth=1
	s_or_b32 exec_lo, exec_lo, s17
	v_and_b32_e32 v27, 0xffff, v27
	v_and_b32_e32 v35, 0xffff, v32
	;; [unrolled: 1-line block ×4, first 2 shown]
	v_lshl_or_b32 v32, v28, 16, v27
	v_lshl_or_b32 v29, v29, 16, v35
	;; [unrolled: 1-line block ×3, first 2 shown]
	;;#ASMSTART
	v_pk_mul_f16 v30, v32, v36;

	;;#ASMEND
	;;#ASMSTART
	v_pk_mul_f16 v1, v29, v1;

	;;#ASMEND
	v_lshl_or_b32 v27, v31, 16, v34
	;;#ASMSTART
	v_pk_mul_f16 v31, v28, v37;

	;;#ASMEND
	;;#ASMSTART
	v_pk_mul_f16 v33, v27, v39;

	;;#ASMEND
	;;#ASMSTART
	v_pk_add_f16 v1, v30, v1;

	;;#ASMEND
	;;#ASMSTART
	v_pk_add_f16 v1, v1, v31;

	;;#ASMEND
	;;#ASMSTART
	v_pk_add_f16 v1, v1, v33;

	;;#ASMEND
	v_and_b32_e32 v30, 0xffff, v1
	v_lshrrev_b32_e32 v1, 16, v1
	;;#ASMSTART
	v_cvt_f32_f16 v30, v30;
	;;#ASMEND
	;;#ASMSTART
	v_cvt_f32_f16 v31, v1;
	;;#ASMEND
	global_load_dwordx2 v[7:8], v[7:8], off offset:256
	v_mov_b32_e32 v34, 0
	v_mov_b32_e32 v35, 0
	global_load_dword v33, v34, s[14:15]
	s_waitcnt vmcnt(1)
	v_cmp_ne_u16_sdwa s1, v7, v2 src0_sel:BYTE_0 src1_sel:DWORD
	s_and_saveexec_b32 s17, s1
	s_cbranch_execz .LBB244_232
; %bb.225:                              ;   in Loop: Header=BB244_158 Depth=1
	v_cmp_ne_u16_sdwa s1, v7, v17 src0_sel:BYTE_0 src1_sel:DWORD
	v_mov_b32_e32 v35, 0x8000
	s_and_saveexec_b32 s18, s1
	s_cbranch_execz .LBB244_231
; %bb.226:                              ;   in Loop: Header=BB244_158 Depth=1
	v_and_b32_e32 v36, 0x7f, v7
	v_mov_b32_e32 v35, 0x7c01
	s_mov_b32 s19, exec_lo
	v_cmpx_ne_u32_e32 0x7f, v36
	s_cbranch_execz .LBB244_230
; %bb.227:                              ;   in Loop: Header=BB244_158 Depth=1
	v_and_b32_e32 v1, 7, v7
	v_lshrrev_b32_e32 v35, 3, v36
	s_mov_b32 s22, exec_lo
	v_cmpx_gt_u32_e32 8, v36
; %bb.228:                              ;   in Loop: Header=BB244_158 Depth=1
	v_ffbh_u32_e32 v1, v1
	v_min_u32_e32 v1, 32, v1
	v_subrev_nc_u32_e32 v35, 28, v1
	v_lshlrev_b64 v[36:37], v35, v[7:8]
	v_sub_nc_u32_e32 v35, 29, v1
	v_and_b32_e32 v1, 7, v36
; %bb.229:                              ;   in Loop: Header=BB244_158 Depth=1
	s_or_b32 exec_lo, exec_lo, s22
	v_lshlrev_b32_e32 v36, 8, v7
	v_lshl_add_u32 v35, v35, 10, 0x2000
	v_lshlrev_b32_e32 v1, 7, v1
	v_and_b32_e32 v36, 0x8000, v36
	v_and_b32_e32 v35, 0xfc00, v35
	v_or3_b32 v35, v36, v35, v1
.LBB244_230:                            ;   in Loop: Header=BB244_158 Depth=1
	s_or_b32 exec_lo, exec_lo, s19
.LBB244_231:                            ;   in Loop: Header=BB244_158 Depth=1
	s_or_b32 exec_lo, exec_lo, s18
.LBB244_232:                            ;   in Loop: Header=BB244_158 Depth=1
	s_or_b32 exec_lo, exec_lo, s17
	v_lshrrev_b16 v1, 8, v7
	s_mov_b32 s17, exec_lo
	v_cmpx_ne_u16_e32 0, v1
	s_cbranch_execz .LBB244_240
; %bb.233:                              ;   in Loop: Header=BB244_158 Depth=1
	v_bfrev_b32_e32 v34, 1
	s_mov_b32 s18, exec_lo
	v_cmpx_ne_u16_e32 0x80, v1
	s_cbranch_execz .LBB244_239
; %bb.234:                              ;   in Loop: Header=BB244_158 Depth=1
	v_and_b32_sdwa v37, v1, v18 dst_sel:DWORD dst_unused:UNUSED_PAD src0_sel:WORD_0 src1_sel:DWORD
	v_mov_b32_e32 v34, 0x7c010000
	s_mov_b32 s19, exec_lo
	v_cmpx_ne_u32_e32 0x7f, v37
	s_cbranch_execz .LBB244_238
; %bb.235:                              ;   in Loop: Header=BB244_158 Depth=1
	v_and_b32_sdwa v34, v1, v19 dst_sel:DWORD dst_unused:UNUSED_PAD src0_sel:WORD_0 src1_sel:DWORD
	v_lshrrev_b32_e32 v36, 3, v37
	s_mov_b32 s22, exec_lo
	v_cmpx_gt_u32_e32 8, v37
; %bb.236:                              ;   in Loop: Header=BB244_158 Depth=1
	v_ffbh_u32_e32 v34, v34
	v_min_u32_e32 v34, 32, v34
	v_subrev_nc_u32_e32 v36, 28, v34
	v_lshlrev_b64 v[37:38], v36, v[1:2]
	v_sub_nc_u32_e32 v36, 29, v34
	v_and_b32_e32 v34, 7, v37
; %bb.237:                              ;   in Loop: Header=BB244_158 Depth=1
	s_or_b32 exec_lo, exec_lo, s22
	v_lshlrev_b32_sdwa v1, v20, v1 dst_sel:DWORD dst_unused:UNUSED_PAD src0_sel:DWORD src1_sel:WORD_0
	v_lshl_add_u32 v36, v36, 10, 0x2000
	v_lshlrev_b32_e32 v34, 23, v34
	v_and_or_b32 v1, 0x8000, v1, v36
	v_lshl_or_b32 v34, v1, 16, v34
.LBB244_238:                            ;   in Loop: Header=BB244_158 Depth=1
	s_or_b32 exec_lo, exec_lo, s19
.LBB244_239:                            ;   in Loop: Header=BB244_158 Depth=1
	s_or_b32 exec_lo, exec_lo, s18
.LBB244_240:                            ;   in Loop: Header=BB244_158 Depth=1
	s_or_b32 exec_lo, exec_lo, s17
	v_lshrrev_b32_e32 v1, 16, v7
	v_mov_b32_e32 v36, 0
	v_mov_b32_e32 v37, 0
	v_cmp_ne_u16_sdwa s1, v1, v2 src0_sel:BYTE_0 src1_sel:DWORD
	s_and_saveexec_b32 s17, s1
	s_cbranch_execz .LBB244_248
; %bb.241:                              ;   in Loop: Header=BB244_158 Depth=1
	v_cmp_ne_u16_sdwa s1, v1, v17 src0_sel:BYTE_0 src1_sel:DWORD
	v_mov_b32_e32 v37, 0x8000
	s_and_saveexec_b32 s18, s1
	s_cbranch_execz .LBB244_247
; %bb.242:                              ;   in Loop: Header=BB244_158 Depth=1
	v_bfe_u32 v39, v7, 16, 7
	v_mov_b32_e32 v37, 0x7c01
	s_mov_b32 s19, exec_lo
	v_cmpx_ne_u32_e32 0x7f, v39
	s_cbranch_execz .LBB244_246
; %bb.243:                              ;   in Loop: Header=BB244_158 Depth=1
	v_and_b32_e32 v37, 7, v1
	v_lshrrev_b32_e32 v38, 3, v39
	s_mov_b32 s22, exec_lo
	v_cmpx_gt_u32_e32 8, v39
; %bb.244:                              ;   in Loop: Header=BB244_158 Depth=1
	v_ffbh_u32_e32 v37, v37
	v_min_u32_e32 v39, 32, v37
	v_subrev_nc_u32_e32 v37, 28, v39
	v_lshlrev_b64 v[37:38], v37, v[1:2]
	v_sub_nc_u32_e32 v38, 29, v39
	v_and_b32_e32 v37, 7, v37
; %bb.245:                              ;   in Loop: Header=BB244_158 Depth=1
	s_or_b32 exec_lo, exec_lo, s22
	v_lshlrev_b32_e32 v1, 8, v1
	v_lshl_add_u32 v38, v38, 10, 0x2000
	v_lshlrev_b32_e32 v37, 7, v37
	v_and_b32_e32 v1, 0x8000, v1
	v_and_b32_e32 v38, 0xfc00, v38
	v_or3_b32 v37, v1, v38, v37
.LBB244_246:                            ;   in Loop: Header=BB244_158 Depth=1
	s_or_b32 exec_lo, exec_lo, s19
.LBB244_247:                            ;   in Loop: Header=BB244_158 Depth=1
	s_or_b32 exec_lo, exec_lo, s18
.LBB244_248:                            ;   in Loop: Header=BB244_158 Depth=1
	s_or_b32 exec_lo, exec_lo, s17
	s_mov_b32 s17, exec_lo
	v_cmpx_lt_u32_e32 0xffffff, v7
	s_cbranch_execz .LBB244_256
; %bb.249:                              ;   in Loop: Header=BB244_158 Depth=1
	v_lshrrev_b32_e32 v1, 24, v7
	v_bfrev_b32_e32 v36, 1
	s_mov_b32 s18, exec_lo
	v_cmpx_ne_u32_e32 0x80, v1
	s_cbranch_execz .LBB244_255
; %bb.250:                              ;   in Loop: Header=BB244_158 Depth=1
	v_and_b32_e32 v39, 0x7f, v1
	v_mov_b32_e32 v36, 0x7c010000
	s_mov_b32 s19, exec_lo
	v_cmpx_ne_u32_e32 0x7f, v39
	s_cbranch_execz .LBB244_254
; %bb.251:                              ;   in Loop: Header=BB244_158 Depth=1
	v_and_b32_e32 v36, 7, v1
	v_lshrrev_b32_e32 v38, 3, v39
	s_mov_b32 s22, exec_lo
	v_cmpx_gt_u32_e32 8, v39
; %bb.252:                              ;   in Loop: Header=BB244_158 Depth=1
	v_ffbh_u32_e32 v36, v36
	v_min_u32_e32 v36, 32, v36
	v_subrev_nc_u32_e32 v38, 28, v36
	v_lshlrev_b64 v[39:40], v38, v[1:2]
	v_sub_nc_u32_e32 v38, 29, v36
	v_and_b32_e32 v36, 7, v39
; %bb.253:                              ;   in Loop: Header=BB244_158 Depth=1
	s_or_b32 exec_lo, exec_lo, s22
	v_lshlrev_b32_e32 v1, 8, v1
	v_lshl_add_u32 v38, v38, 10, 0x2000
	v_lshlrev_b32_e32 v36, 23, v36
	v_and_or_b32 v1, 0x8000, v1, v38
	v_lshl_or_b32 v36, v1, 16, v36
.LBB244_254:                            ;   in Loop: Header=BB244_158 Depth=1
	s_or_b32 exec_lo, exec_lo, s19
.LBB244_255:                            ;   in Loop: Header=BB244_158 Depth=1
	s_or_b32 exec_lo, exec_lo, s18
.LBB244_256:                            ;   in Loop: Header=BB244_158 Depth=1
	s_or_b32 exec_lo, exec_lo, s17
	v_mov_b32_e32 v1, v8
	v_cmp_ne_u16_sdwa s1, v8, v2 src0_sel:BYTE_0 src1_sel:DWORD
	v_mov_b32_e32 v38, 0
	v_mov_b32_e32 v39, 0
	s_and_saveexec_b32 s17, s1
	s_cbranch_execz .LBB244_264
; %bb.257:                              ;   in Loop: Header=BB244_158 Depth=1
	v_cmp_ne_u16_sdwa s1, v8, v17 src0_sel:BYTE_0 src1_sel:DWORD
	v_mov_b32_e32 v39, 0x8000
	s_and_saveexec_b32 s18, s1
	s_cbranch_execz .LBB244_263
; %bb.258:                              ;   in Loop: Header=BB244_158 Depth=1
	v_and_b32_e32 v41, 0x7f, v8
	v_mov_b32_e32 v39, 0x7c01
	s_mov_b32 s19, exec_lo
	v_cmpx_ne_u32_e32 0x7f, v41
	s_cbranch_execz .LBB244_262
; %bb.259:                              ;   in Loop: Header=BB244_158 Depth=1
	v_and_b32_e32 v39, 7, v8
	v_lshrrev_b32_e32 v40, 3, v41
	s_mov_b32 s22, exec_lo
	v_cmpx_gt_u32_e32 8, v41
; %bb.260:                              ;   in Loop: Header=BB244_158 Depth=1
	v_ffbh_u32_e32 v39, v39
	v_min_u32_e32 v41, 32, v39
	v_subrev_nc_u32_e32 v39, 28, v41
	v_lshlrev_b64 v[39:40], v39, v[1:2]
	v_sub_nc_u32_e32 v40, 29, v41
	v_and_b32_e32 v39, 7, v39
; %bb.261:                              ;   in Loop: Header=BB244_158 Depth=1
	s_or_b32 exec_lo, exec_lo, s22
	v_lshlrev_b32_e32 v41, 8, v8
	v_lshl_add_u32 v40, v40, 10, 0x2000
	v_lshlrev_b32_e32 v39, 7, v39
	v_and_b32_e32 v41, 0x8000, v41
	v_and_b32_e32 v40, 0xfc00, v40
	v_or3_b32 v39, v41, v40, v39
.LBB244_262:                            ;   in Loop: Header=BB244_158 Depth=1
	s_or_b32 exec_lo, exec_lo, s19
.LBB244_263:                            ;   in Loop: Header=BB244_158 Depth=1
	s_or_b32 exec_lo, exec_lo, s18
.LBB244_264:                            ;   in Loop: Header=BB244_158 Depth=1
	s_or_b32 exec_lo, exec_lo, s17
	v_lshrrev_b16 v1, 8, v1
	v_mov_b32_e32 v40, 0
	s_mov_b32 s17, exec_lo
	v_cmpx_ne_u16_e32 0, v1
	s_cbranch_execz .LBB244_272
; %bb.265:                              ;   in Loop: Header=BB244_158 Depth=1
	v_bfrev_b32_e32 v40, 1
	s_mov_b32 s18, exec_lo
	v_cmpx_ne_u16_e32 0x80, v1
	s_cbranch_execz .LBB244_271
; %bb.266:                              ;   in Loop: Header=BB244_158 Depth=1
	v_and_b32_sdwa v42, v1, v18 dst_sel:DWORD dst_unused:UNUSED_PAD src0_sel:WORD_0 src1_sel:DWORD
	v_mov_b32_e32 v40, 0x7c010000
	s_mov_b32 s19, exec_lo
	v_cmpx_ne_u32_e32 0x7f, v42
	s_cbranch_execz .LBB244_270
; %bb.267:                              ;   in Loop: Header=BB244_158 Depth=1
	v_and_b32_sdwa v40, v1, v19 dst_sel:DWORD dst_unused:UNUSED_PAD src0_sel:WORD_0 src1_sel:DWORD
	v_lshrrev_b32_e32 v41, 3, v42
	s_mov_b32 s22, exec_lo
	v_cmpx_gt_u32_e32 8, v42
; %bb.268:                              ;   in Loop: Header=BB244_158 Depth=1
	v_ffbh_u32_e32 v40, v40
	v_min_u32_e32 v42, 32, v40
	v_subrev_nc_u32_e32 v40, 28, v42
	v_lshlrev_b64 v[40:41], v40, v[1:2]
	v_sub_nc_u32_e32 v41, 29, v42
	v_and_b32_e32 v40, 7, v40
; %bb.269:                              ;   in Loop: Header=BB244_158 Depth=1
	s_or_b32 exec_lo, exec_lo, s22
	v_lshlrev_b32_sdwa v1, v20, v1 dst_sel:DWORD dst_unused:UNUSED_PAD src0_sel:DWORD src1_sel:WORD_0
	v_lshl_add_u32 v41, v41, 10, 0x2000
	v_lshlrev_b32_e32 v40, 23, v40
	v_and_or_b32 v1, 0x8000, v1, v41
	v_lshl_or_b32 v40, v1, 16, v40
.LBB244_270:                            ;   in Loop: Header=BB244_158 Depth=1
	s_or_b32 exec_lo, exec_lo, s19
.LBB244_271:                            ;   in Loop: Header=BB244_158 Depth=1
	s_or_b32 exec_lo, exec_lo, s18
.LBB244_272:                            ;   in Loop: Header=BB244_158 Depth=1
	s_or_b32 exec_lo, exec_lo, s17
	v_lshrrev_b32_e32 v1, 16, v8
	v_cmp_ne_u16_sdwa s1, v1, v2 src0_sel:BYTE_0 src1_sel:DWORD
	s_and_saveexec_b32 s17, s1
	s_cbranch_execz .LBB244_280
; %bb.273:                              ;   in Loop: Header=BB244_158 Depth=1
	v_cmp_ne_u16_sdwa s1, v1, v17 src0_sel:BYTE_0 src1_sel:DWORD
	v_mov_b32_e32 v38, 0x8000
	s_and_saveexec_b32 s18, s1
	s_cbranch_execz .LBB244_279
; %bb.274:                              ;   in Loop: Header=BB244_158 Depth=1
	v_bfe_u32 v42, v8, 16, 7
	v_mov_b32_e32 v38, 0x7c01
	s_mov_b32 s19, exec_lo
	v_cmpx_ne_u32_e32 0x7f, v42
	s_cbranch_execz .LBB244_278
; %bb.275:                              ;   in Loop: Header=BB244_158 Depth=1
	v_and_b32_e32 v38, 7, v1
	v_lshrrev_b32_e32 v41, 3, v42
	s_mov_b32 s22, exec_lo
	v_cmpx_gt_u32_e32 8, v42
; %bb.276:                              ;   in Loop: Header=BB244_158 Depth=1
	v_ffbh_u32_e32 v38, v38
	v_min_u32_e32 v38, 32, v38
	v_subrev_nc_u32_e32 v41, 28, v38
	v_lshlrev_b64 v[42:43], v41, v[1:2]
	v_sub_nc_u32_e32 v41, 29, v38
	v_and_b32_e32 v38, 7, v42
; %bb.277:                              ;   in Loop: Header=BB244_158 Depth=1
	s_or_b32 exec_lo, exec_lo, s22
	v_lshlrev_b32_e32 v1, 8, v1
	v_lshl_add_u32 v41, v41, 10, 0x2000
	v_lshlrev_b32_e32 v38, 7, v38
	v_and_b32_e32 v1, 0x8000, v1
	v_and_b32_e32 v41, 0xfc00, v41
	v_or3_b32 v38, v1, v41, v38
.LBB244_278:                            ;   in Loop: Header=BB244_158 Depth=1
	s_or_b32 exec_lo, exec_lo, s19
.LBB244_279:                            ;   in Loop: Header=BB244_158 Depth=1
	s_or_b32 exec_lo, exec_lo, s18
.LBB244_280:                            ;   in Loop: Header=BB244_158 Depth=1
	s_or_b32 exec_lo, exec_lo, s17
	v_cmp_lt_u64_e64 s1, s[2:3], v[7:8]
	v_mov_b32_e32 v7, 0
	s_and_saveexec_b32 s17, s1
	s_cbranch_execz .LBB244_288
; %bb.281:                              ;   in Loop: Header=BB244_158 Depth=1
	v_lshrrev_b32_e32 v1, 24, v8
	v_bfrev_b32_e32 v7, 1
	s_mov_b32 s18, exec_lo
	v_cmpx_ne_u32_e32 0x80, v1
	s_cbranch_execz .LBB244_287
; %bb.282:                              ;   in Loop: Header=BB244_158 Depth=1
	v_and_b32_e32 v41, 0x7f, v1
	v_mov_b32_e32 v7, 0x7c010000
	s_mov_b32 s19, exec_lo
	v_cmpx_ne_u32_e32 0x7f, v41
	s_cbranch_execz .LBB244_286
; %bb.283:                              ;   in Loop: Header=BB244_158 Depth=1
	v_and_b32_e32 v7, 7, v1
	v_lshrrev_b32_e32 v8, 3, v41
	s_mov_b32 s22, exec_lo
	v_cmpx_gt_u32_e32 8, v41
; %bb.284:                              ;   in Loop: Header=BB244_158 Depth=1
	v_ffbh_u32_e32 v7, v7
	v_min_u32_e32 v41, 32, v7
	v_subrev_nc_u32_e32 v7, 28, v41
	v_lshlrev_b64 v[7:8], v7, v[1:2]
	v_sub_nc_u32_e32 v8, 29, v41
	v_and_b32_e32 v7, 7, v7
; %bb.285:                              ;   in Loop: Header=BB244_158 Depth=1
	s_or_b32 exec_lo, exec_lo, s22
	v_lshlrev_b32_e32 v1, 8, v1
	v_lshl_add_u32 v8, v8, 10, 0x2000
	v_lshlrev_b32_e32 v7, 23, v7
	v_and_or_b32 v1, 0x8000, v1, v8
	v_lshl_or_b32 v7, v1, 16, v7
.LBB244_286:                            ;   in Loop: Header=BB244_158 Depth=1
	s_or_b32 exec_lo, exec_lo, s19
.LBB244_287:                            ;   in Loop: Header=BB244_158 Depth=1
	s_or_b32 exec_lo, exec_lo, s18
.LBB244_288:                            ;   in Loop: Header=BB244_158 Depth=1
	s_or_b32 exec_lo, exec_lo, s17
	v_or_b32_e32 v1, v36, v37
	v_or_b32_e32 v35, v34, v35
	s_waitcnt vmcnt(0)
	v_fma_mixlo_f16 v34, v33, v34, 0 op_sel:[0,1,0] op_sel_hi:[0,1,0]
	v_or_b32_e32 v37, v40, v39
	v_or_b32_e32 v38, v7, v38
	v_fma_mixlo_f16 v8, v33, v36, 0 op_sel:[0,1,0] op_sel_hi:[0,1,0]
	v_fma_mixlo_f16 v39, v33, v1, 0 op_sel_hi:[0,1,0]
	v_lshlrev_b32_e32 v36, 16, v34
	v_fma_mixlo_f16 v34, v33, v35, 0 op_sel_hi:[0,1,0]
	v_fma_mixlo_f16 v35, v33, v40, 0 op_sel:[0,1,0] op_sel_hi:[0,1,0]
	v_fma_mixlo_f16 v37, v33, v37, 0 op_sel_hi:[0,1,0]
	v_fma_mixlo_f16 v7, v33, v7, 0 op_sel:[0,1,0] op_sel_hi:[0,1,0]
	v_fma_mixlo_f16 v38, v33, v38, 0 op_sel_hi:[0,1,0]
	v_lshlrev_b32_e32 v1, 16, v8
	v_and_b32_e32 v8, 0xffff, v39
	v_and_b32_e32 v41, 0xffff, v34
	v_lshlrev_b32_e32 v33, 16, v35
	v_and_b32_e32 v40, 0xffff, v37
	v_lshlrev_b32_e32 v7, 16, v7
	v_and_b32_e32 v34, 0xffff, v38
	v_or_b32_e32 v35, v1, v8
	v_or_b32_e32 v39, v36, v41
	;; [unrolled: 1-line block ×4, first 2 shown]
	s_and_saveexec_b32 s1, vcc_lo
	s_cbranch_execz .LBB244_157
; %bb.289:                              ;   in Loop: Header=BB244_158 Depth=1
	v_cmp_gt_i32_e32 vcc_lo, s11, v9
	v_cndmask_b32_e32 v9, 0, v41, vcc_lo
	v_cmp_gt_i32_e32 vcc_lo, s11, v26
	v_cndmask_b32_e32 v26, 0, v36, vcc_lo
	v_cmp_gt_i32_e32 vcc_lo, s11, v25
	v_or_b32_e32 v39, v26, v9
	v_cndmask_b32_e32 v8, 0, v8, vcc_lo
	v_cmp_gt_i32_e32 vcc_lo, s11, v24
	v_cndmask_b32_e32 v1, 0, v1, vcc_lo
	v_cmp_gt_i32_e32 vcc_lo, s11, v23
	v_or_b32_e32 v35, v1, v8
	;; [unrolled: 5-line block ×3, first 2 shown]
	v_cndmask_b32_e32 v10, 0, v34, vcc_lo
	v_cmp_gt_i32_e32 vcc_lo, s11, v15
	v_cndmask_b32_e32 v7, 0, v7, vcc_lo
	v_or_b32_e32 v37, v7, v10
	s_branch .LBB244_157
.LBB244_290:
	s_or_b32 exec_lo, exec_lo, s13
.LBB244_291:
	s_or_b32 exec_lo, exec_lo, s4
	v_lshl_add_u32 v2, v12, 2, 0xa0
	v_and_b32_e32 v3, 0x3c0, v0
	s_mov_b32 s1, exec_lo
	s_barrier
	v_lshl_add_u32 v1, v11, 8, v2
	buffer_gl0_inv
	v_cmpx_eq_u32_e32 64, v3
	s_cbranch_execz .LBB244_293
; %bb.292:
	v_add_nc_u32_e32 v3, 0xfffffe00, v1
	v_add_nc_u32_e32 v4, 0xfffffe80, v1
	ds_write_b32 v3, v14
	ds_write_b32 v4, v13
.LBB244_293:
	s_or_b32 exec_lo, exec_lo, s1
	s_mov_b32 s1, exec_lo
	s_waitcnt lgkmcnt(0)
	s_barrier
	buffer_gl0_inv
	v_cmpx_gt_u32_e32 64, v0
	s_cbranch_execz .LBB244_295
; %bb.294:
	ds_read2_b32 v[3:4], v1 offset1:32
	s_waitcnt lgkmcnt(0)
	v_add_f32_e32 v14, v14, v3
	v_add_f32_e32 v13, v13, v4
.LBB244_295:
	s_or_b32 exec_lo, exec_lo, s1
	v_and_b32_e32 v3, 0x3e0, v0
	s_mov_b32 s1, exec_lo
	s_barrier
	buffer_gl0_inv
	v_cmpx_eq_u32_e32 32, v3
; %bb.296:
	ds_write2_b32 v2, v14, v13 offset1:32
; %bb.297:
	s_or_b32 exec_lo, exec_lo, s1
	s_waitcnt lgkmcnt(0)
	s_barrier
	buffer_gl0_inv
	s_and_saveexec_b32 s1, s0
	s_cbranch_execz .LBB244_299
; %bb.298:
	ds_read2_b32 v[1:2], v1 offset1:32
	s_waitcnt lgkmcnt(0)
	v_add_f32_e32 v14, v14, v1
	v_add_f32_e32 v13, v13, v2
.LBB244_299:
	s_or_b32 exec_lo, exec_lo, s1
	s_barrier
	buffer_gl0_inv
	s_and_saveexec_b32 s1, s0
	s_cbranch_execz .LBB244_301
; %bb.300:
	s_mul_i32 s0, s10, s7
	s_mul_i32 s2, s7, s6
	;; [unrolled: 1-line block ×3, first 2 shown]
	v_lshlrev_b32_e32 v0, 1, v0
	s_lshl_b32 s0, s0, 6
	;;#ASMSTART
	v_cvt_f16_f32 v1, v14;

	;;#ASMEND
	s_ashr_i32 s1, s0, 31
	s_lshl_b64 s[0:1], s[0:1], 1
	s_add_u32 s4, s20, s0
	s_addc_u32 s5, s21, s1
	s_ashr_i32 s3, s2, 31
	s_lshl_b64 s[0:1], s[2:3], 1
	s_add_u32 s2, s4, s0
	s_addc_u32 s3, s5, s1
	s_lshl_b32 s0, s8, 6
	s_ashr_i32 s1, s0, 31
	s_lshl_b64 s[0:1], s[0:1], 1
	s_add_u32 s0, s2, s0
	s_addc_u32 s1, s3, s1
	global_store_short v0, v1, s[0:1]
	;;#ASMSTART
	v_cvt_f16_f32 v1, v13;

	;;#ASMEND
	global_store_short v0, v1, s[0:1] offset:64
.LBB244_301:
	s_endpgm
	.section	.rodata,"a",@progbits
	.p2align	6, 0x0
	.amdhsa_kernel _ZN4vllm25paged_attention_v1_kernelIthLi64ELi8ELi128ELNS_18Fp8KVCacheDataTypeE1ELb0EEEvPT_PKS2_PKT0_S8_ifPKiSA_iPKfiiiSC_SC_iiiii
		.amdhsa_group_segment_fixed_size 160
		.amdhsa_private_segment_fixed_size 0
		.amdhsa_kernarg_size 384
		.amdhsa_user_sgpr_count 6
		.amdhsa_user_sgpr_private_segment_buffer 1
		.amdhsa_user_sgpr_dispatch_ptr 0
		.amdhsa_user_sgpr_queue_ptr 0
		.amdhsa_user_sgpr_kernarg_segment_ptr 1
		.amdhsa_user_sgpr_dispatch_id 0
		.amdhsa_user_sgpr_flat_scratch_init 0
		.amdhsa_user_sgpr_private_segment_size 0
		.amdhsa_wavefront_size32 1
		.amdhsa_uses_dynamic_stack 0
		.amdhsa_system_sgpr_private_segment_wavefront_offset 0
		.amdhsa_system_sgpr_workgroup_id_x 1
		.amdhsa_system_sgpr_workgroup_id_y 1
		.amdhsa_system_sgpr_workgroup_id_z 1
		.amdhsa_system_sgpr_workgroup_info 0
		.amdhsa_system_vgpr_workitem_id 0
		.amdhsa_next_free_vgpr 50
		.amdhsa_next_free_sgpr 36
		.amdhsa_reserve_vcc 1
		.amdhsa_reserve_flat_scratch 0
		.amdhsa_float_round_mode_32 0
		.amdhsa_float_round_mode_16_64 0
		.amdhsa_float_denorm_mode_32 3
		.amdhsa_float_denorm_mode_16_64 3
		.amdhsa_dx10_clamp 1
		.amdhsa_ieee_mode 1
		.amdhsa_fp16_overflow 0
		.amdhsa_workgroup_processor_mode 1
		.amdhsa_memory_ordered 1
		.amdhsa_forward_progress 1
		.amdhsa_shared_vgpr_count 0
		.amdhsa_exception_fp_ieee_invalid_op 0
		.amdhsa_exception_fp_denorm_src 0
		.amdhsa_exception_fp_ieee_div_zero 0
		.amdhsa_exception_fp_ieee_overflow 0
		.amdhsa_exception_fp_ieee_underflow 0
		.amdhsa_exception_fp_ieee_inexact 0
		.amdhsa_exception_int_div_zero 0
	.end_amdhsa_kernel
	.section	.text._ZN4vllm25paged_attention_v1_kernelIthLi64ELi8ELi128ELNS_18Fp8KVCacheDataTypeE1ELb0EEEvPT_PKS2_PKT0_S8_ifPKiSA_iPKfiiiSC_SC_iiiii,"axG",@progbits,_ZN4vllm25paged_attention_v1_kernelIthLi64ELi8ELi128ELNS_18Fp8KVCacheDataTypeE1ELb0EEEvPT_PKS2_PKT0_S8_ifPKiSA_iPKfiiiSC_SC_iiiii,comdat
.Lfunc_end244:
	.size	_ZN4vllm25paged_attention_v1_kernelIthLi64ELi8ELi128ELNS_18Fp8KVCacheDataTypeE1ELb0EEEvPT_PKS2_PKT0_S8_ifPKiSA_iPKfiiiSC_SC_iiiii, .Lfunc_end244-_ZN4vllm25paged_attention_v1_kernelIthLi64ELi8ELi128ELNS_18Fp8KVCacheDataTypeE1ELb0EEEvPT_PKS2_PKT0_S8_ifPKiSA_iPKfiiiSC_SC_iiiii
                                        ; -- End function
	.set _ZN4vllm25paged_attention_v1_kernelIthLi64ELi8ELi128ELNS_18Fp8KVCacheDataTypeE1ELb0EEEvPT_PKS2_PKT0_S8_ifPKiSA_iPKfiiiSC_SC_iiiii.num_vgpr, 50
	.set _ZN4vllm25paged_attention_v1_kernelIthLi64ELi8ELi128ELNS_18Fp8KVCacheDataTypeE1ELb0EEEvPT_PKS2_PKT0_S8_ifPKiSA_iPKfiiiSC_SC_iiiii.num_agpr, 0
	.set _ZN4vllm25paged_attention_v1_kernelIthLi64ELi8ELi128ELNS_18Fp8KVCacheDataTypeE1ELb0EEEvPT_PKS2_PKT0_S8_ifPKiSA_iPKfiiiSC_SC_iiiii.numbered_sgpr, 36
	.set _ZN4vllm25paged_attention_v1_kernelIthLi64ELi8ELi128ELNS_18Fp8KVCacheDataTypeE1ELb0EEEvPT_PKS2_PKT0_S8_ifPKiSA_iPKfiiiSC_SC_iiiii.num_named_barrier, 0
	.set _ZN4vllm25paged_attention_v1_kernelIthLi64ELi8ELi128ELNS_18Fp8KVCacheDataTypeE1ELb0EEEvPT_PKS2_PKT0_S8_ifPKiSA_iPKfiiiSC_SC_iiiii.private_seg_size, 0
	.set _ZN4vllm25paged_attention_v1_kernelIthLi64ELi8ELi128ELNS_18Fp8KVCacheDataTypeE1ELb0EEEvPT_PKS2_PKT0_S8_ifPKiSA_iPKfiiiSC_SC_iiiii.uses_vcc, 1
	.set _ZN4vllm25paged_attention_v1_kernelIthLi64ELi8ELi128ELNS_18Fp8KVCacheDataTypeE1ELb0EEEvPT_PKS2_PKT0_S8_ifPKiSA_iPKfiiiSC_SC_iiiii.uses_flat_scratch, 0
	.set _ZN4vllm25paged_attention_v1_kernelIthLi64ELi8ELi128ELNS_18Fp8KVCacheDataTypeE1ELb0EEEvPT_PKS2_PKT0_S8_ifPKiSA_iPKfiiiSC_SC_iiiii.has_dyn_sized_stack, 0
	.set _ZN4vllm25paged_attention_v1_kernelIthLi64ELi8ELi128ELNS_18Fp8KVCacheDataTypeE1ELb0EEEvPT_PKS2_PKT0_S8_ifPKiSA_iPKfiiiSC_SC_iiiii.has_recursion, 0
	.set _ZN4vllm25paged_attention_v1_kernelIthLi64ELi8ELi128ELNS_18Fp8KVCacheDataTypeE1ELb0EEEvPT_PKS2_PKT0_S8_ifPKiSA_iPKfiiiSC_SC_iiiii.has_indirect_call, 0
	.section	.AMDGPU.csdata,"",@progbits
; Kernel info:
; codeLenInByte = 11004
; TotalNumSgprs: 38
; NumVgprs: 50
; ScratchSize: 0
; MemoryBound: 0
; FloatMode: 240
; IeeeMode: 1
; LDSByteSize: 160 bytes/workgroup (compile time only)
; SGPRBlocks: 0
; VGPRBlocks: 6
; NumSGPRsForWavesPerEU: 38
; NumVGPRsForWavesPerEU: 50
; Occupancy: 16
; WaveLimiterHint : 1
; COMPUTE_PGM_RSRC2:SCRATCH_EN: 0
; COMPUTE_PGM_RSRC2:USER_SGPR: 6
; COMPUTE_PGM_RSRC2:TRAP_HANDLER: 0
; COMPUTE_PGM_RSRC2:TGID_X_EN: 1
; COMPUTE_PGM_RSRC2:TGID_Y_EN: 1
; COMPUTE_PGM_RSRC2:TGID_Z_EN: 1
; COMPUTE_PGM_RSRC2:TIDIG_COMP_CNT: 0
	.section	.text._ZN4vllm25paged_attention_v1_kernelIthLi80ELi8ELi128ELNS_18Fp8KVCacheDataTypeE1ELb0EEEvPT_PKS2_PKT0_S8_ifPKiSA_iPKfiiiSC_SC_iiiii,"axG",@progbits,_ZN4vllm25paged_attention_v1_kernelIthLi80ELi8ELi128ELNS_18Fp8KVCacheDataTypeE1ELb0EEEvPT_PKS2_PKT0_S8_ifPKiSA_iPKfiiiSC_SC_iiiii,comdat
	.protected	_ZN4vllm25paged_attention_v1_kernelIthLi80ELi8ELi128ELNS_18Fp8KVCacheDataTypeE1ELb0EEEvPT_PKS2_PKT0_S8_ifPKiSA_iPKfiiiSC_SC_iiiii ; -- Begin function _ZN4vllm25paged_attention_v1_kernelIthLi80ELi8ELi128ELNS_18Fp8KVCacheDataTypeE1ELb0EEEvPT_PKS2_PKT0_S8_ifPKiSA_iPKfiiiSC_SC_iiiii
	.globl	_ZN4vllm25paged_attention_v1_kernelIthLi80ELi8ELi128ELNS_18Fp8KVCacheDataTypeE1ELb0EEEvPT_PKS2_PKT0_S8_ifPKiSA_iPKfiiiSC_SC_iiiii
	.p2align	8
	.type	_ZN4vllm25paged_attention_v1_kernelIthLi80ELi8ELi128ELNS_18Fp8KVCacheDataTypeE1ELb0EEEvPT_PKS2_PKT0_S8_ifPKiSA_iPKfiiiSC_SC_iiiii,@function
_ZN4vllm25paged_attention_v1_kernelIthLi80ELi8ELi128ELNS_18Fp8KVCacheDataTypeE1ELb0EEEvPT_PKS2_PKT0_S8_ifPKiSA_iPKfiiiSC_SC_iiiii: ; @_ZN4vllm25paged_attention_v1_kernelIthLi80ELi8ELi128ELNS_18Fp8KVCacheDataTypeE1ELb0EEEvPT_PKS2_PKT0_S8_ifPKiSA_iPKfiiiSC_SC_iiiii
; %bb.0:
	s_clause 0x2
	s_load_dword s9, s[4:5], 0x80
	s_load_dwordx2 s[0:1], s[4:5], 0x30
	s_load_dwordx2 s[28:29], s[4:5], 0x20
	s_mov_b32 s10, s7
	s_ashr_i32 s11, s7, 31
	s_lshl_b64 s[2:3], s[10:11], 2
	s_waitcnt lgkmcnt(0)
	s_add_u32 s0, s0, s2
	s_addc_u32 s1, s1, s3
	s_abs_i32 s2, s28
	s_abs_i32 s11, s9
	v_cvt_f32_u32_e32 v1, s2
	s_sub_i32 s7, 0, s2
	v_rcp_iflag_f32_e32 v1, v1
	v_mul_f32_e32 v1, 0x4f7ffffe, v1
	v_cvt_u32_f32_e32 v1, v1
	v_readfirstlane_b32 s3, v1
	s_mul_i32 s7, s7, s3
	s_mul_hi_u32 s7, s3, s7
	s_add_i32 s3, s3, s7
	s_xor_b32 s7, s9, s28
	s_mul_hi_u32 s3, s11, s3
	s_ashr_i32 s7, s7, 31
	s_mul_i32 s12, s3, s2
	s_mov_b32 s28, 0
	s_sub_i32 s11, s11, s12
	s_add_i32 s12, s3, 1
	s_sub_i32 s13, s11, s2
	s_cmp_ge_u32 s11, s2
	s_cselect_b32 s3, s12, s3
	s_cselect_b32 s11, s13, s11
	s_add_i32 s12, s3, 1
	s_cmp_ge_u32 s11, s2
	s_cselect_b32 s2, s12, s3
	s_abs_i32 s13, s6
	s_xor_b32 s2, s2, s7
	s_sub_i32 s15, s2, s7
	s_load_dwordx2 s[2:3], s[4:5], 0x40
	s_abs_i32 s12, s15
	v_cvt_f32_u32_e32 v1, s12
	s_sub_i32 s11, 0, s12
	v_rcp_iflag_f32_e32 v1, v1
	v_mul_f32_e32 v1, 0x4f7ffffe, v1
	v_cvt_u32_f32_e32 v1, v1
	v_readfirstlane_b32 s7, v1
	s_mul_i32 s11, s11, s7
	s_mul_hi_u32 s11, s7, s11
	s_add_i32 s7, s7, s11
	s_waitcnt lgkmcnt(0)
	s_cmp_eq_u64 s[2:3], 0
	s_mul_hi_u32 s14, s13, s7
	s_cbranch_scc1 .LBB245_2
; %bb.1:
	s_ashr_i32 s7, s6, 31
	s_lshl_b64 s[16:17], s[6:7], 2
	s_add_u32 s2, s2, s16
	s_addc_u32 s3, s3, s17
	s_load_dword s28, s[2:3], 0x0
.LBB245_2:
	s_load_dword s11, s[0:1], 0x0
	s_load_dwordx4 s[16:19], s[4:5], 0x48
	v_and_b32_e32 v1, 3, v0
	s_ashr_i32 s0, s6, 31
	s_ashr_i32 s1, s15, 31
	s_mulk_i32 s6, 0x50
	s_mov_b32 s2, exec_lo
	v_cmpx_gt_u32_e32 40, v0
	s_cbranch_execz .LBB245_4
; %bb.3:
	s_load_dwordx2 s[20:21], s[4:5], 0x8
	s_waitcnt lgkmcnt(0)
	s_mul_i32 s22, s16, s10
	v_lshlrev_b32_e32 v2, 2, v0
	s_ashr_i32 s23, s22, 31
	v_and_b32_e32 v3, 0x3fc, v0
	s_lshl_b64 s[22:23], s[22:23], 1
	v_mad_u32_u24 v3, v1, 40, v3
	s_add_u32 s3, s20, s22
	s_addc_u32 s15, s21, s23
	s_ashr_i32 s7, s6, 31
	s_lshl_b64 s[20:21], s[6:7], 1
	s_add_u32 s20, s3, s20
	s_addc_u32 s21, s15, s21
	global_load_dword v2, v2, s[20:21]
	s_waitcnt vmcnt(0)
	ds_write_b32 v3, v2
.LBB245_4:
	s_or_b32 exec_lo, exec_lo, s2
	s_waitcnt lgkmcnt(0)
	s_add_i32 s2, s11, 7
	s_clause 0x1
	s_load_dwordx2 s[22:23], s[4:5], 0x28
	s_load_dword s7, s[4:5], 0x38
	s_ashr_i32 s3, s2, 31
	s_xor_b32 s0, s0, s1
	s_lshr_b32 s3, s3, 29
	s_mul_i32 s1, s14, s12
	s_add_i32 s2, s2, s3
	s_sub_i32 s1, s13, s1
	s_ashr_i32 s16, s2, 3
	s_add_i32 s2, s14, 1
	s_sub_i32 s3, s1, s12
	s_cmp_ge_u32 s1, s12
	v_lshrrev_b32_e32 v11, 5, v0
	s_cselect_b32 s2, s2, s14
	s_cselect_b32 s1, s3, s1
	s_add_i32 s3, s2, 1
	s_cmp_ge_u32 s1, s12
	v_mbcnt_lo_u32_b32 v10, -1, 0
	s_cselect_b32 s1, s3, s2
	s_mov_b32 s2, exec_lo
	s_xor_b32 s1, s1, s0
	s_waitcnt lgkmcnt(0)
	s_mul_i32 s24, s7, s10
	s_sub_i32 s1, s1, s0
	v_cmp_gt_i32_e64 s0, s16, v11
	s_ashr_i32 s25, s24, 31
	s_barrier
	buffer_gl0_inv
                                        ; implicit-def: $vgpr2
                                        ; implicit-def: $vgpr13
	v_cmpx_le_i32_e64 s16, v11
	s_xor_b32 s2, exec_lo, s2
; %bb.5:
	v_mov_b32_e32 v2, 0
	v_mbcnt_lo_u32_b32 v10, -1, 0
	v_mov_b32_e32 v13, 32
                                        ; implicit-def: $vgpr1
; %bb.6:
	s_or_saveexec_b32 s19, s2
	s_clause 0x3
	s_load_dwordx2 s[20:21], s[4:5], 0x0
	s_load_dwordx2 s[26:27], s[4:5], 0x18
	s_load_dword s7, s[4:5], 0x88
	s_load_dwordx4 s[12:15], s[4:5], 0x58
	v_mov_b32_e32 v12, 0xff7fffff
	v_lshrrev_b32_e32 v9, 3, v0
	s_mul_i32 s18, s1, s18
	s_xor_b32 exec_lo, exec_lo, s19
	s_cbranch_execz .LBB245_172
; %bb.7:
	s_load_dwordx2 s[2:3], s[4:5], 0x10
	v_bfe_u32 v3, v0, 2, 3
	v_lshlrev_b32_e32 v5, 1, v1
	v_mul_u32_u24_e32 v14, 40, v1
	v_cmp_eq_u32_e32 vcc_lo, 0, v1
	s_ashr_i32 s4, s18, 31
	v_lshlrev_b32_e32 v4, 2, v3
	v_and_b32_e32 v6, 0x7c, v9
	v_lshl_or_b32 v15, v11, 3, v3
	v_mov_b32_e32 v2, 0
	v_cmp_neq_f32_e64 s1, s28, 0
	v_lshl_or_b32 v1, v11, 5, v4
	v_lshlrev_b32_e32 v4, 4, v3
	v_mov_b32_e32 v12, 0xff7fffff
	v_mov_b32_e32 v13, 32
	;; [unrolled: 1-line block ×3, first 2 shown]
	v_add_nc_u32_e32 v16, 0xc0, v1
	v_mov_b32_e32 v18, 0x7f
	v_mov_b32_e32 v19, 7
	;; [unrolled: 1-line block ×3, first 2 shown]
	s_waitcnt lgkmcnt(0)
	s_add_u32 s5, s2, s18
	s_addc_u32 s30, s3, s4
	v_add_co_u32 v1, s5, s5, v4
	v_add_co_ci_u32_e64 v4, null, s30, 0, s5
	s_lshl_b64 s[2:3], s[24:25], 2
	s_sub_i32 s4, 1, s11
	s_add_u32 s5, s22, s2
	v_add_co_u32 v3, s2, v1, v5
	s_addc_u32 s3, s23, s3
	v_add_co_ci_u32_e64 v4, null, 0, v4, s2
	v_add_co_u32 v5, s2, s5, v6
	v_add_co_ci_u32_e64 v6, null, s3, 0, s2
	v_mov_b32_e32 v21, v11
	s_mov_b32 s30, s17
	s_mov_b32 s5, 0
	s_branch .LBB245_9
.LBB245_8:                              ;   in Loop: Header=BB245_9 Depth=1
	s_or_b32 exec_lo, exec_lo, s3
	v_add_nc_u32_e32 v21, 4, v21
	v_add_co_u32 v5, s3, v5, 16
	v_add_nc_u32_e32 v15, 32, v15
	v_add_nc_u32_e32 v16, 0x80, v16
	v_cmp_le_i32_e64 s2, s16, v21
	v_add_co_ci_u32_e64 v6, null, 0, v6, s3
	s_or_b32 s5, s2, s5
	s_andn2_b32 exec_lo, exec_lo, s5
	s_cbranch_execz .LBB245_171
.LBB245_9:                              ; =>This Inner Loop Header: Depth=1
	global_load_dword v1, v[5:6], off
	s_waitcnt vmcnt(0) lgkmcnt(0)
	v_mad_i64_i32 v[7:8], null, v1, s30, v[3:4]
	global_load_ushort v23, v[7:8], off
	global_load_dword v22, v2, s[12:13]
	s_waitcnt vmcnt(1)
	v_and_b32_e32 v1, 0xffff, v23
	v_cmp_ne_u16_sdwa s2, v23, v2 src0_sel:BYTE_0 src1_sel:DWORD
	v_mov_b32_e32 v23, 0
	s_and_saveexec_b32 s3, s2
	s_cbranch_execz .LBB245_17
; %bb.10:                               ;   in Loop: Header=BB245_9 Depth=1
	v_cmp_ne_u16_sdwa s2, v1, v17 src0_sel:BYTE_0 src1_sel:DWORD
	v_mov_b32_e32 v23, 0x8000
	s_and_saveexec_b32 s31, s2
	s_cbranch_execz .LBB245_16
; %bb.11:                               ;   in Loop: Header=BB245_9 Depth=1
	v_and_b32_e32 v25, 0x7f, v1
	v_mov_b32_e32 v23, 0x7c01
	s_mov_b32 s33, exec_lo
	v_cmpx_ne_u32_e32 0x7f, v25
	s_cbranch_execz .LBB245_15
; %bb.12:                               ;   in Loop: Header=BB245_9 Depth=1
	v_and_b32_e32 v23, 7, v1
	v_lshrrev_b32_e32 v24, 3, v25
	s_mov_b32 s34, exec_lo
	v_cmpx_gt_u32_e32 8, v25
; %bb.13:                               ;   in Loop: Header=BB245_9 Depth=1
	v_ffbh_u32_e32 v23, v23
	v_min_u32_e32 v25, 32, v23
	v_subrev_nc_u32_e32 v23, 28, v25
	v_lshlrev_b64 v[23:24], v23, v[1:2]
	v_sub_nc_u32_e32 v24, 29, v25
	v_and_b32_e32 v23, 7, v23
; %bb.14:                               ;   in Loop: Header=BB245_9 Depth=1
	s_or_b32 exec_lo, exec_lo, s34
	v_lshlrev_b32_e32 v25, 8, v1
	v_lshl_add_u32 v24, v24, 10, 0x2000
	v_lshlrev_b32_e32 v23, 7, v23
	v_and_b32_e32 v25, 0x8000, v25
	v_and_b32_e32 v24, 0xfc00, v24
	v_or3_b32 v23, v25, v24, v23
.LBB245_15:                             ;   in Loop: Header=BB245_9 Depth=1
	s_or_b32 exec_lo, exec_lo, s33
.LBB245_16:                             ;   in Loop: Header=BB245_9 Depth=1
	s_or_b32 exec_lo, exec_lo, s31
.LBB245_17:                             ;   in Loop: Header=BB245_9 Depth=1
	s_or_b32 exec_lo, exec_lo, s3
	v_lshrrev_b16 v1, 8, v1
	v_mov_b32_e32 v24, 0
	s_mov_b32 s3, exec_lo
	v_cmpx_ne_u16_e32 0, v1
	s_cbranch_execz .LBB245_25
; %bb.18:                               ;   in Loop: Header=BB245_9 Depth=1
	v_bfrev_b32_e32 v24, 1
	s_mov_b32 s31, exec_lo
	v_cmpx_ne_u16_e32 0x80, v1
	s_cbranch_execz .LBB245_24
; %bb.19:                               ;   in Loop: Header=BB245_9 Depth=1
	v_and_b32_sdwa v26, v1, v18 dst_sel:DWORD dst_unused:UNUSED_PAD src0_sel:WORD_0 src1_sel:DWORD
	v_mov_b32_e32 v24, 0x7c010000
	s_mov_b32 s33, exec_lo
	v_cmpx_ne_u32_e32 0x7f, v26
	s_cbranch_execz .LBB245_23
; %bb.20:                               ;   in Loop: Header=BB245_9 Depth=1
	v_and_b32_sdwa v24, v1, v19 dst_sel:DWORD dst_unused:UNUSED_PAD src0_sel:WORD_0 src1_sel:DWORD
	v_lshrrev_b32_e32 v25, 3, v26
	s_mov_b32 s34, exec_lo
	v_cmpx_gt_u32_e32 8, v26
; %bb.21:                               ;   in Loop: Header=BB245_9 Depth=1
	v_ffbh_u32_e32 v24, v24
	v_min_u32_e32 v26, 32, v24
	v_subrev_nc_u32_e32 v24, 28, v26
	v_lshlrev_b64 v[24:25], v24, v[1:2]
	v_sub_nc_u32_e32 v25, 29, v26
	v_and_b32_e32 v24, 7, v24
; %bb.22:                               ;   in Loop: Header=BB245_9 Depth=1
	s_or_b32 exec_lo, exec_lo, s34
	v_lshlrev_b32_sdwa v1, v20, v1 dst_sel:DWORD dst_unused:UNUSED_PAD src0_sel:DWORD src1_sel:WORD_0
	v_lshl_add_u32 v25, v25, 10, 0x2000
	v_lshlrev_b32_e32 v24, 23, v24
	v_and_or_b32 v1, 0x8000, v1, v25
	v_lshl_or_b32 v24, v1, 16, v24
.LBB245_23:                             ;   in Loop: Header=BB245_9 Depth=1
	s_or_b32 exec_lo, exec_lo, s33
.LBB245_24:                             ;   in Loop: Header=BB245_9 Depth=1
	s_or_b32 exec_lo, exec_lo, s31
.LBB245_25:                             ;   in Loop: Header=BB245_9 Depth=1
	s_or_b32 exec_lo, exec_lo, s3
	global_load_ushort v26, v[7:8], off offset:8
	v_mov_b32_e32 v25, 0
	s_waitcnt vmcnt(0)
	v_and_b32_e32 v1, 0xffff, v26
	v_cmp_ne_u16_sdwa s2, v26, v2 src0_sel:BYTE_0 src1_sel:DWORD
	v_mov_b32_e32 v26, 0
	s_and_saveexec_b32 s3, s2
	s_cbranch_execz .LBB245_33
; %bb.26:                               ;   in Loop: Header=BB245_9 Depth=1
	v_cmp_ne_u16_sdwa s2, v1, v17 src0_sel:BYTE_0 src1_sel:DWORD
	v_mov_b32_e32 v26, 0x8000
	s_and_saveexec_b32 s31, s2
	s_cbranch_execz .LBB245_32
; %bb.27:                               ;   in Loop: Header=BB245_9 Depth=1
	v_and_b32_e32 v28, 0x7f, v1
	v_mov_b32_e32 v26, 0x7c01
	s_mov_b32 s33, exec_lo
	v_cmpx_ne_u32_e32 0x7f, v28
	s_cbranch_execz .LBB245_31
; %bb.28:                               ;   in Loop: Header=BB245_9 Depth=1
	v_and_b32_e32 v26, 7, v1
	v_lshrrev_b32_e32 v27, 3, v28
	s_mov_b32 s34, exec_lo
	v_cmpx_gt_u32_e32 8, v28
; %bb.29:                               ;   in Loop: Header=BB245_9 Depth=1
	v_ffbh_u32_e32 v26, v26
	v_min_u32_e32 v28, 32, v26
	v_subrev_nc_u32_e32 v26, 28, v28
	v_lshlrev_b64 v[26:27], v26, v[1:2]
	v_sub_nc_u32_e32 v27, 29, v28
	v_and_b32_e32 v26, 7, v26
; %bb.30:                               ;   in Loop: Header=BB245_9 Depth=1
	s_or_b32 exec_lo, exec_lo, s34
	v_lshlrev_b32_e32 v28, 8, v1
	v_lshl_add_u32 v27, v27, 10, 0x2000
	v_lshlrev_b32_e32 v26, 7, v26
	v_and_b32_e32 v28, 0x8000, v28
	v_and_b32_e32 v27, 0xfc00, v27
	v_or3_b32 v26, v28, v27, v26
.LBB245_31:                             ;   in Loop: Header=BB245_9 Depth=1
	s_or_b32 exec_lo, exec_lo, s33
.LBB245_32:                             ;   in Loop: Header=BB245_9 Depth=1
	s_or_b32 exec_lo, exec_lo, s31
.LBB245_33:                             ;   in Loop: Header=BB245_9 Depth=1
	s_or_b32 exec_lo, exec_lo, s3
	v_lshrrev_b16 v1, 8, v1
	s_mov_b32 s3, exec_lo
	v_cmpx_ne_u16_e32 0, v1
	s_cbranch_execz .LBB245_41
; %bb.34:                               ;   in Loop: Header=BB245_9 Depth=1
	v_bfrev_b32_e32 v25, 1
	s_mov_b32 s31, exec_lo
	v_cmpx_ne_u16_e32 0x80, v1
	s_cbranch_execz .LBB245_40
; %bb.35:                               ;   in Loop: Header=BB245_9 Depth=1
	v_and_b32_sdwa v28, v1, v18 dst_sel:DWORD dst_unused:UNUSED_PAD src0_sel:WORD_0 src1_sel:DWORD
	v_mov_b32_e32 v25, 0x7c010000
	s_mov_b32 s33, exec_lo
	v_cmpx_ne_u32_e32 0x7f, v28
	s_cbranch_execz .LBB245_39
; %bb.36:                               ;   in Loop: Header=BB245_9 Depth=1
	v_and_b32_sdwa v25, v1, v19 dst_sel:DWORD dst_unused:UNUSED_PAD src0_sel:WORD_0 src1_sel:DWORD
	v_lshrrev_b32_e32 v27, 3, v28
	s_mov_b32 s34, exec_lo
	v_cmpx_gt_u32_e32 8, v28
; %bb.37:                               ;   in Loop: Header=BB245_9 Depth=1
	v_ffbh_u32_e32 v25, v25
	v_min_u32_e32 v25, 32, v25
	v_subrev_nc_u32_e32 v27, 28, v25
	v_lshlrev_b64 v[28:29], v27, v[1:2]
	v_sub_nc_u32_e32 v27, 29, v25
	v_and_b32_e32 v25, 7, v28
; %bb.38:                               ;   in Loop: Header=BB245_9 Depth=1
	s_or_b32 exec_lo, exec_lo, s34
	v_lshlrev_b32_sdwa v1, v20, v1 dst_sel:DWORD dst_unused:UNUSED_PAD src0_sel:DWORD src1_sel:WORD_0
	v_lshl_add_u32 v27, v27, 10, 0x2000
	v_lshlrev_b32_e32 v25, 23, v25
	v_and_or_b32 v1, 0x8000, v1, v27
	v_lshl_or_b32 v25, v1, 16, v25
.LBB245_39:                             ;   in Loop: Header=BB245_9 Depth=1
	s_or_b32 exec_lo, exec_lo, s33
.LBB245_40:                             ;   in Loop: Header=BB245_9 Depth=1
	s_or_b32 exec_lo, exec_lo, s31
.LBB245_41:                             ;   in Loop: Header=BB245_9 Depth=1
	s_or_b32 exec_lo, exec_lo, s3
	global_load_ushort v28, v[7:8], off offset:128
	v_mov_b32_e32 v27, 0
	s_waitcnt vmcnt(0)
	v_and_b32_e32 v1, 0xffff, v28
	v_cmp_ne_u16_sdwa s2, v28, v2 src0_sel:BYTE_0 src1_sel:DWORD
	v_mov_b32_e32 v28, 0
	s_and_saveexec_b32 s3, s2
	s_cbranch_execz .LBB245_49
; %bb.42:                               ;   in Loop: Header=BB245_9 Depth=1
	v_cmp_ne_u16_sdwa s2, v1, v17 src0_sel:BYTE_0 src1_sel:DWORD
	v_mov_b32_e32 v28, 0x8000
	s_and_saveexec_b32 s31, s2
	s_cbranch_execz .LBB245_48
; %bb.43:                               ;   in Loop: Header=BB245_9 Depth=1
	v_and_b32_e32 v30, 0x7f, v1
	v_mov_b32_e32 v28, 0x7c01
	s_mov_b32 s33, exec_lo
	v_cmpx_ne_u32_e32 0x7f, v30
	s_cbranch_execz .LBB245_47
; %bb.44:                               ;   in Loop: Header=BB245_9 Depth=1
	v_and_b32_e32 v28, 7, v1
	v_lshrrev_b32_e32 v29, 3, v30
	s_mov_b32 s34, exec_lo
	v_cmpx_gt_u32_e32 8, v30
; %bb.45:                               ;   in Loop: Header=BB245_9 Depth=1
	v_ffbh_u32_e32 v28, v28
	v_min_u32_e32 v30, 32, v28
	v_subrev_nc_u32_e32 v28, 28, v30
	v_lshlrev_b64 v[28:29], v28, v[1:2]
	v_sub_nc_u32_e32 v29, 29, v30
	v_and_b32_e32 v28, 7, v28
; %bb.46:                               ;   in Loop: Header=BB245_9 Depth=1
	s_or_b32 exec_lo, exec_lo, s34
	v_lshlrev_b32_e32 v30, 8, v1
	v_lshl_add_u32 v29, v29, 10, 0x2000
	v_lshlrev_b32_e32 v28, 7, v28
	v_and_b32_e32 v30, 0x8000, v30
	v_and_b32_e32 v29, 0xfc00, v29
	v_or3_b32 v28, v30, v29, v28
.LBB245_47:                             ;   in Loop: Header=BB245_9 Depth=1
	s_or_b32 exec_lo, exec_lo, s33
.LBB245_48:                             ;   in Loop: Header=BB245_9 Depth=1
	s_or_b32 exec_lo, exec_lo, s31
.LBB245_49:                             ;   in Loop: Header=BB245_9 Depth=1
	s_or_b32 exec_lo, exec_lo, s3
	v_lshrrev_b16 v1, 8, v1
	s_mov_b32 s3, exec_lo
	v_cmpx_ne_u16_e32 0, v1
	s_cbranch_execz .LBB245_57
; %bb.50:                               ;   in Loop: Header=BB245_9 Depth=1
	v_bfrev_b32_e32 v27, 1
	s_mov_b32 s31, exec_lo
	v_cmpx_ne_u16_e32 0x80, v1
	s_cbranch_execz .LBB245_56
; %bb.51:                               ;   in Loop: Header=BB245_9 Depth=1
	v_and_b32_sdwa v30, v1, v18 dst_sel:DWORD dst_unused:UNUSED_PAD src0_sel:WORD_0 src1_sel:DWORD
	v_mov_b32_e32 v27, 0x7c010000
	s_mov_b32 s33, exec_lo
	v_cmpx_ne_u32_e32 0x7f, v30
	s_cbranch_execz .LBB245_55
; %bb.52:                               ;   in Loop: Header=BB245_9 Depth=1
	v_and_b32_sdwa v27, v1, v19 dst_sel:DWORD dst_unused:UNUSED_PAD src0_sel:WORD_0 src1_sel:DWORD
	v_lshrrev_b32_e32 v29, 3, v30
	s_mov_b32 s34, exec_lo
	v_cmpx_gt_u32_e32 8, v30
; %bb.53:                               ;   in Loop: Header=BB245_9 Depth=1
	v_ffbh_u32_e32 v27, v27
	v_min_u32_e32 v27, 32, v27
	v_subrev_nc_u32_e32 v29, 28, v27
	v_lshlrev_b64 v[30:31], v29, v[1:2]
	v_sub_nc_u32_e32 v29, 29, v27
	v_and_b32_e32 v27, 7, v30
; %bb.54:                               ;   in Loop: Header=BB245_9 Depth=1
	s_or_b32 exec_lo, exec_lo, s34
	v_lshlrev_b32_sdwa v1, v20, v1 dst_sel:DWORD dst_unused:UNUSED_PAD src0_sel:DWORD src1_sel:WORD_0
	v_lshl_add_u32 v29, v29, 10, 0x2000
	v_lshlrev_b32_e32 v27, 23, v27
	v_and_or_b32 v1, 0x8000, v1, v29
	v_lshl_or_b32 v27, v1, 16, v27
.LBB245_55:                             ;   in Loop: Header=BB245_9 Depth=1
	s_or_b32 exec_lo, exec_lo, s33
.LBB245_56:                             ;   in Loop: Header=BB245_9 Depth=1
	s_or_b32 exec_lo, exec_lo, s31
.LBB245_57:                             ;   in Loop: Header=BB245_9 Depth=1
	s_or_b32 exec_lo, exec_lo, s3
	global_load_ushort v30, v[7:8], off offset:136
	v_mov_b32_e32 v29, 0
	s_waitcnt vmcnt(0)
	v_and_b32_e32 v1, 0xffff, v30
	v_cmp_ne_u16_sdwa s2, v30, v2 src0_sel:BYTE_0 src1_sel:DWORD
	v_mov_b32_e32 v30, 0
	s_and_saveexec_b32 s3, s2
	s_cbranch_execz .LBB245_65
; %bb.58:                               ;   in Loop: Header=BB245_9 Depth=1
	v_cmp_ne_u16_sdwa s2, v1, v17 src0_sel:BYTE_0 src1_sel:DWORD
	v_mov_b32_e32 v30, 0x8000
	s_and_saveexec_b32 s31, s2
	s_cbranch_execz .LBB245_64
; %bb.59:                               ;   in Loop: Header=BB245_9 Depth=1
	v_and_b32_e32 v32, 0x7f, v1
	v_mov_b32_e32 v30, 0x7c01
	s_mov_b32 s33, exec_lo
	v_cmpx_ne_u32_e32 0x7f, v32
	s_cbranch_execz .LBB245_63
; %bb.60:                               ;   in Loop: Header=BB245_9 Depth=1
	v_and_b32_e32 v30, 7, v1
	v_lshrrev_b32_e32 v31, 3, v32
	s_mov_b32 s34, exec_lo
	v_cmpx_gt_u32_e32 8, v32
; %bb.61:                               ;   in Loop: Header=BB245_9 Depth=1
	v_ffbh_u32_e32 v30, v30
	v_min_u32_e32 v32, 32, v30
	v_subrev_nc_u32_e32 v30, 28, v32
	v_lshlrev_b64 v[30:31], v30, v[1:2]
	v_sub_nc_u32_e32 v31, 29, v32
	v_and_b32_e32 v30, 7, v30
; %bb.62:                               ;   in Loop: Header=BB245_9 Depth=1
	s_or_b32 exec_lo, exec_lo, s34
	v_lshlrev_b32_e32 v32, 8, v1
	v_lshl_add_u32 v31, v31, 10, 0x2000
	v_lshlrev_b32_e32 v30, 7, v30
	v_and_b32_e32 v32, 0x8000, v32
	v_and_b32_e32 v31, 0xfc00, v31
	v_or3_b32 v30, v32, v31, v30
.LBB245_63:                             ;   in Loop: Header=BB245_9 Depth=1
	s_or_b32 exec_lo, exec_lo, s33
.LBB245_64:                             ;   in Loop: Header=BB245_9 Depth=1
	s_or_b32 exec_lo, exec_lo, s31
.LBB245_65:                             ;   in Loop: Header=BB245_9 Depth=1
	s_or_b32 exec_lo, exec_lo, s3
	v_lshrrev_b16 v1, 8, v1
	s_mov_b32 s3, exec_lo
	v_cmpx_ne_u16_e32 0, v1
	s_cbranch_execz .LBB245_73
; %bb.66:                               ;   in Loop: Header=BB245_9 Depth=1
	v_bfrev_b32_e32 v29, 1
	s_mov_b32 s31, exec_lo
	v_cmpx_ne_u16_e32 0x80, v1
	s_cbranch_execz .LBB245_72
; %bb.67:                               ;   in Loop: Header=BB245_9 Depth=1
	v_and_b32_sdwa v32, v1, v18 dst_sel:DWORD dst_unused:UNUSED_PAD src0_sel:WORD_0 src1_sel:DWORD
	v_mov_b32_e32 v29, 0x7c010000
	s_mov_b32 s33, exec_lo
	v_cmpx_ne_u32_e32 0x7f, v32
	s_cbranch_execz .LBB245_71
; %bb.68:                               ;   in Loop: Header=BB245_9 Depth=1
	v_and_b32_sdwa v29, v1, v19 dst_sel:DWORD dst_unused:UNUSED_PAD src0_sel:WORD_0 src1_sel:DWORD
	v_lshrrev_b32_e32 v31, 3, v32
	s_mov_b32 s34, exec_lo
	v_cmpx_gt_u32_e32 8, v32
; %bb.69:                               ;   in Loop: Header=BB245_9 Depth=1
	v_ffbh_u32_e32 v29, v29
	v_min_u32_e32 v29, 32, v29
	v_subrev_nc_u32_e32 v31, 28, v29
	v_lshlrev_b64 v[32:33], v31, v[1:2]
	v_sub_nc_u32_e32 v31, 29, v29
	v_and_b32_e32 v29, 7, v32
; %bb.70:                               ;   in Loop: Header=BB245_9 Depth=1
	s_or_b32 exec_lo, exec_lo, s34
	v_lshlrev_b32_sdwa v1, v20, v1 dst_sel:DWORD dst_unused:UNUSED_PAD src0_sel:DWORD src1_sel:WORD_0
	v_lshl_add_u32 v31, v31, 10, 0x2000
	v_lshlrev_b32_e32 v29, 23, v29
	v_and_or_b32 v1, 0x8000, v1, v31
	v_lshl_or_b32 v29, v1, 16, v29
.LBB245_71:                             ;   in Loop: Header=BB245_9 Depth=1
	s_or_b32 exec_lo, exec_lo, s33
.LBB245_72:                             ;   in Loop: Header=BB245_9 Depth=1
	s_or_b32 exec_lo, exec_lo, s31
.LBB245_73:                             ;   in Loop: Header=BB245_9 Depth=1
	s_or_b32 exec_lo, exec_lo, s3
	global_load_ushort v32, v[7:8], off offset:256
	v_mov_b32_e32 v31, 0
	s_waitcnt vmcnt(0)
	v_and_b32_e32 v1, 0xffff, v32
	v_cmp_ne_u16_sdwa s2, v32, v2 src0_sel:BYTE_0 src1_sel:DWORD
	v_mov_b32_e32 v32, 0
	s_and_saveexec_b32 s3, s2
	s_cbranch_execz .LBB245_81
; %bb.74:                               ;   in Loop: Header=BB245_9 Depth=1
	v_cmp_ne_u16_sdwa s2, v1, v17 src0_sel:BYTE_0 src1_sel:DWORD
	v_mov_b32_e32 v32, 0x8000
	s_and_saveexec_b32 s31, s2
	s_cbranch_execz .LBB245_80
; %bb.75:                               ;   in Loop: Header=BB245_9 Depth=1
	v_and_b32_e32 v34, 0x7f, v1
	v_mov_b32_e32 v32, 0x7c01
	s_mov_b32 s33, exec_lo
	v_cmpx_ne_u32_e32 0x7f, v34
	s_cbranch_execz .LBB245_79
; %bb.76:                               ;   in Loop: Header=BB245_9 Depth=1
	v_and_b32_e32 v32, 7, v1
	v_lshrrev_b32_e32 v33, 3, v34
	s_mov_b32 s34, exec_lo
	v_cmpx_gt_u32_e32 8, v34
; %bb.77:                               ;   in Loop: Header=BB245_9 Depth=1
	v_ffbh_u32_e32 v32, v32
	v_min_u32_e32 v34, 32, v32
	v_subrev_nc_u32_e32 v32, 28, v34
	v_lshlrev_b64 v[32:33], v32, v[1:2]
	v_sub_nc_u32_e32 v33, 29, v34
	v_and_b32_e32 v32, 7, v32
; %bb.78:                               ;   in Loop: Header=BB245_9 Depth=1
	s_or_b32 exec_lo, exec_lo, s34
	v_lshlrev_b32_e32 v34, 8, v1
	v_lshl_add_u32 v33, v33, 10, 0x2000
	v_lshlrev_b32_e32 v32, 7, v32
	v_and_b32_e32 v34, 0x8000, v34
	v_and_b32_e32 v33, 0xfc00, v33
	v_or3_b32 v32, v34, v33, v32
.LBB245_79:                             ;   in Loop: Header=BB245_9 Depth=1
	s_or_b32 exec_lo, exec_lo, s33
.LBB245_80:                             ;   in Loop: Header=BB245_9 Depth=1
	s_or_b32 exec_lo, exec_lo, s31
.LBB245_81:                             ;   in Loop: Header=BB245_9 Depth=1
	s_or_b32 exec_lo, exec_lo, s3
	v_lshrrev_b16 v1, 8, v1
	s_mov_b32 s3, exec_lo
	v_cmpx_ne_u16_e32 0, v1
	s_cbranch_execz .LBB245_89
; %bb.82:                               ;   in Loop: Header=BB245_9 Depth=1
	v_bfrev_b32_e32 v31, 1
	s_mov_b32 s31, exec_lo
	v_cmpx_ne_u16_e32 0x80, v1
	s_cbranch_execz .LBB245_88
; %bb.83:                               ;   in Loop: Header=BB245_9 Depth=1
	v_and_b32_sdwa v34, v1, v18 dst_sel:DWORD dst_unused:UNUSED_PAD src0_sel:WORD_0 src1_sel:DWORD
	v_mov_b32_e32 v31, 0x7c010000
	s_mov_b32 s33, exec_lo
	v_cmpx_ne_u32_e32 0x7f, v34
	s_cbranch_execz .LBB245_87
; %bb.84:                               ;   in Loop: Header=BB245_9 Depth=1
	v_and_b32_sdwa v31, v1, v19 dst_sel:DWORD dst_unused:UNUSED_PAD src0_sel:WORD_0 src1_sel:DWORD
	v_lshrrev_b32_e32 v33, 3, v34
	s_mov_b32 s34, exec_lo
	v_cmpx_gt_u32_e32 8, v34
; %bb.85:                               ;   in Loop: Header=BB245_9 Depth=1
	v_ffbh_u32_e32 v31, v31
	v_min_u32_e32 v31, 32, v31
	v_subrev_nc_u32_e32 v33, 28, v31
	v_lshlrev_b64 v[34:35], v33, v[1:2]
	v_sub_nc_u32_e32 v33, 29, v31
	v_and_b32_e32 v31, 7, v34
; %bb.86:                               ;   in Loop: Header=BB245_9 Depth=1
	s_or_b32 exec_lo, exec_lo, s34
	v_lshlrev_b32_sdwa v1, v20, v1 dst_sel:DWORD dst_unused:UNUSED_PAD src0_sel:DWORD src1_sel:WORD_0
	v_lshl_add_u32 v33, v33, 10, 0x2000
	v_lshlrev_b32_e32 v31, 23, v31
	v_and_or_b32 v1, 0x8000, v1, v33
	v_lshl_or_b32 v31, v1, 16, v31
.LBB245_87:                             ;   in Loop: Header=BB245_9 Depth=1
	s_or_b32 exec_lo, exec_lo, s33
.LBB245_88:                             ;   in Loop: Header=BB245_9 Depth=1
	s_or_b32 exec_lo, exec_lo, s31
.LBB245_89:                             ;   in Loop: Header=BB245_9 Depth=1
	s_or_b32 exec_lo, exec_lo, s3
	global_load_ushort v34, v[7:8], off offset:264
	v_mov_b32_e32 v33, 0
	s_waitcnt vmcnt(0)
	v_and_b32_e32 v1, 0xffff, v34
	v_cmp_ne_u16_sdwa s2, v34, v2 src0_sel:BYTE_0 src1_sel:DWORD
	v_mov_b32_e32 v34, 0
	s_and_saveexec_b32 s3, s2
	s_cbranch_execz .LBB245_97
; %bb.90:                               ;   in Loop: Header=BB245_9 Depth=1
	v_cmp_ne_u16_sdwa s2, v1, v17 src0_sel:BYTE_0 src1_sel:DWORD
	v_mov_b32_e32 v34, 0x8000
	s_and_saveexec_b32 s31, s2
	s_cbranch_execz .LBB245_96
; %bb.91:                               ;   in Loop: Header=BB245_9 Depth=1
	v_and_b32_e32 v36, 0x7f, v1
	v_mov_b32_e32 v34, 0x7c01
	s_mov_b32 s33, exec_lo
	v_cmpx_ne_u32_e32 0x7f, v36
	s_cbranch_execz .LBB245_95
; %bb.92:                               ;   in Loop: Header=BB245_9 Depth=1
	v_and_b32_e32 v34, 7, v1
	v_lshrrev_b32_e32 v35, 3, v36
	s_mov_b32 s34, exec_lo
	v_cmpx_gt_u32_e32 8, v36
; %bb.93:                               ;   in Loop: Header=BB245_9 Depth=1
	v_ffbh_u32_e32 v34, v34
	v_min_u32_e32 v36, 32, v34
	v_subrev_nc_u32_e32 v34, 28, v36
	v_lshlrev_b64 v[34:35], v34, v[1:2]
	v_sub_nc_u32_e32 v35, 29, v36
	v_and_b32_e32 v34, 7, v34
; %bb.94:                               ;   in Loop: Header=BB245_9 Depth=1
	s_or_b32 exec_lo, exec_lo, s34
	v_lshlrev_b32_e32 v36, 8, v1
	v_lshl_add_u32 v35, v35, 10, 0x2000
	v_lshlrev_b32_e32 v34, 7, v34
	v_and_b32_e32 v36, 0x8000, v36
	v_and_b32_e32 v35, 0xfc00, v35
	v_or3_b32 v34, v36, v35, v34
.LBB245_95:                             ;   in Loop: Header=BB245_9 Depth=1
	s_or_b32 exec_lo, exec_lo, s33
.LBB245_96:                             ;   in Loop: Header=BB245_9 Depth=1
	s_or_b32 exec_lo, exec_lo, s31
.LBB245_97:                             ;   in Loop: Header=BB245_9 Depth=1
	s_or_b32 exec_lo, exec_lo, s3
	v_lshrrev_b16 v1, 8, v1
	s_mov_b32 s3, exec_lo
	v_cmpx_ne_u16_e32 0, v1
	s_cbranch_execz .LBB245_105
; %bb.98:                               ;   in Loop: Header=BB245_9 Depth=1
	v_bfrev_b32_e32 v33, 1
	s_mov_b32 s31, exec_lo
	v_cmpx_ne_u16_e32 0x80, v1
	s_cbranch_execz .LBB245_104
; %bb.99:                               ;   in Loop: Header=BB245_9 Depth=1
	v_and_b32_sdwa v36, v1, v18 dst_sel:DWORD dst_unused:UNUSED_PAD src0_sel:WORD_0 src1_sel:DWORD
	v_mov_b32_e32 v33, 0x7c010000
	s_mov_b32 s33, exec_lo
	v_cmpx_ne_u32_e32 0x7f, v36
	s_cbranch_execz .LBB245_103
; %bb.100:                              ;   in Loop: Header=BB245_9 Depth=1
	v_and_b32_sdwa v33, v1, v19 dst_sel:DWORD dst_unused:UNUSED_PAD src0_sel:WORD_0 src1_sel:DWORD
	v_lshrrev_b32_e32 v35, 3, v36
	s_mov_b32 s34, exec_lo
	v_cmpx_gt_u32_e32 8, v36
; %bb.101:                              ;   in Loop: Header=BB245_9 Depth=1
	v_ffbh_u32_e32 v33, v33
	v_min_u32_e32 v33, 32, v33
	v_subrev_nc_u32_e32 v35, 28, v33
	v_lshlrev_b64 v[36:37], v35, v[1:2]
	v_sub_nc_u32_e32 v35, 29, v33
	v_and_b32_e32 v33, 7, v36
; %bb.102:                              ;   in Loop: Header=BB245_9 Depth=1
	s_or_b32 exec_lo, exec_lo, s34
	v_lshlrev_b32_sdwa v1, v20, v1 dst_sel:DWORD dst_unused:UNUSED_PAD src0_sel:DWORD src1_sel:WORD_0
	v_lshl_add_u32 v35, v35, 10, 0x2000
	v_lshlrev_b32_e32 v33, 23, v33
	v_and_or_b32 v1, 0x8000, v1, v35
	v_lshl_or_b32 v33, v1, 16, v33
.LBB245_103:                            ;   in Loop: Header=BB245_9 Depth=1
	s_or_b32 exec_lo, exec_lo, s33
.LBB245_104:                            ;   in Loop: Header=BB245_9 Depth=1
	s_or_b32 exec_lo, exec_lo, s31
.LBB245_105:                            ;   in Loop: Header=BB245_9 Depth=1
	s_or_b32 exec_lo, exec_lo, s3
	global_load_ushort v36, v[7:8], off offset:384
	v_mov_b32_e32 v35, 0
	s_waitcnt vmcnt(0)
	v_and_b32_e32 v1, 0xffff, v36
	v_cmp_ne_u16_sdwa s2, v36, v2 src0_sel:BYTE_0 src1_sel:DWORD
	v_mov_b32_e32 v36, 0
	s_and_saveexec_b32 s3, s2
	s_cbranch_execz .LBB245_113
; %bb.106:                              ;   in Loop: Header=BB245_9 Depth=1
	v_cmp_ne_u16_sdwa s2, v1, v17 src0_sel:BYTE_0 src1_sel:DWORD
	v_mov_b32_e32 v36, 0x8000
	s_and_saveexec_b32 s31, s2
	s_cbranch_execz .LBB245_112
; %bb.107:                              ;   in Loop: Header=BB245_9 Depth=1
	v_and_b32_e32 v38, 0x7f, v1
	v_mov_b32_e32 v36, 0x7c01
	s_mov_b32 s33, exec_lo
	v_cmpx_ne_u32_e32 0x7f, v38
	s_cbranch_execz .LBB245_111
; %bb.108:                              ;   in Loop: Header=BB245_9 Depth=1
	v_and_b32_e32 v36, 7, v1
	v_lshrrev_b32_e32 v37, 3, v38
	s_mov_b32 s34, exec_lo
	v_cmpx_gt_u32_e32 8, v38
; %bb.109:                              ;   in Loop: Header=BB245_9 Depth=1
	v_ffbh_u32_e32 v36, v36
	v_min_u32_e32 v38, 32, v36
	v_subrev_nc_u32_e32 v36, 28, v38
	v_lshlrev_b64 v[36:37], v36, v[1:2]
	v_sub_nc_u32_e32 v37, 29, v38
	v_and_b32_e32 v36, 7, v36
; %bb.110:                              ;   in Loop: Header=BB245_9 Depth=1
	s_or_b32 exec_lo, exec_lo, s34
	v_lshlrev_b32_e32 v38, 8, v1
	v_lshl_add_u32 v37, v37, 10, 0x2000
	v_lshlrev_b32_e32 v36, 7, v36
	v_and_b32_e32 v38, 0x8000, v38
	v_and_b32_e32 v37, 0xfc00, v37
	v_or3_b32 v36, v38, v37, v36
.LBB245_111:                            ;   in Loop: Header=BB245_9 Depth=1
	s_or_b32 exec_lo, exec_lo, s33
.LBB245_112:                            ;   in Loop: Header=BB245_9 Depth=1
	s_or_b32 exec_lo, exec_lo, s31
.LBB245_113:                            ;   in Loop: Header=BB245_9 Depth=1
	s_or_b32 exec_lo, exec_lo, s3
	v_lshrrev_b16 v1, 8, v1
	s_mov_b32 s3, exec_lo
	v_cmpx_ne_u16_e32 0, v1
	s_cbranch_execz .LBB245_121
; %bb.114:                              ;   in Loop: Header=BB245_9 Depth=1
	v_bfrev_b32_e32 v35, 1
	s_mov_b32 s31, exec_lo
	v_cmpx_ne_u16_e32 0x80, v1
	s_cbranch_execz .LBB245_120
; %bb.115:                              ;   in Loop: Header=BB245_9 Depth=1
	v_and_b32_sdwa v38, v1, v18 dst_sel:DWORD dst_unused:UNUSED_PAD src0_sel:WORD_0 src1_sel:DWORD
	v_mov_b32_e32 v35, 0x7c010000
	s_mov_b32 s33, exec_lo
	v_cmpx_ne_u32_e32 0x7f, v38
	s_cbranch_execz .LBB245_119
; %bb.116:                              ;   in Loop: Header=BB245_9 Depth=1
	v_and_b32_sdwa v35, v1, v19 dst_sel:DWORD dst_unused:UNUSED_PAD src0_sel:WORD_0 src1_sel:DWORD
	v_lshrrev_b32_e32 v37, 3, v38
	s_mov_b32 s34, exec_lo
	v_cmpx_gt_u32_e32 8, v38
; %bb.117:                              ;   in Loop: Header=BB245_9 Depth=1
	v_ffbh_u32_e32 v35, v35
	v_min_u32_e32 v35, 32, v35
	v_subrev_nc_u32_e32 v37, 28, v35
	v_lshlrev_b64 v[38:39], v37, v[1:2]
	v_sub_nc_u32_e32 v37, 29, v35
	v_and_b32_e32 v35, 7, v38
; %bb.118:                              ;   in Loop: Header=BB245_9 Depth=1
	s_or_b32 exec_lo, exec_lo, s34
	v_lshlrev_b32_sdwa v1, v20, v1 dst_sel:DWORD dst_unused:UNUSED_PAD src0_sel:DWORD src1_sel:WORD_0
	v_lshl_add_u32 v37, v37, 10, 0x2000
	v_lshlrev_b32_e32 v35, 23, v35
	v_and_or_b32 v1, 0x8000, v1, v37
	v_lshl_or_b32 v35, v1, 16, v35
.LBB245_119:                            ;   in Loop: Header=BB245_9 Depth=1
	s_or_b32 exec_lo, exec_lo, s33
.LBB245_120:                            ;   in Loop: Header=BB245_9 Depth=1
	s_or_b32 exec_lo, exec_lo, s31
.LBB245_121:                            ;   in Loop: Header=BB245_9 Depth=1
	s_or_b32 exec_lo, exec_lo, s3
	global_load_ushort v38, v[7:8], off offset:392
	v_mov_b32_e32 v37, 0
	s_waitcnt vmcnt(0)
	v_and_b32_e32 v1, 0xffff, v38
	v_cmp_ne_u16_sdwa s2, v38, v2 src0_sel:BYTE_0 src1_sel:DWORD
	v_mov_b32_e32 v38, 0
	s_and_saveexec_b32 s3, s2
	s_cbranch_execz .LBB245_129
; %bb.122:                              ;   in Loop: Header=BB245_9 Depth=1
	v_cmp_ne_u16_sdwa s2, v1, v17 src0_sel:BYTE_0 src1_sel:DWORD
	v_mov_b32_e32 v38, 0x8000
	s_and_saveexec_b32 s31, s2
	s_cbranch_execz .LBB245_128
; %bb.123:                              ;   in Loop: Header=BB245_9 Depth=1
	v_and_b32_e32 v40, 0x7f, v1
	v_mov_b32_e32 v38, 0x7c01
	s_mov_b32 s33, exec_lo
	v_cmpx_ne_u32_e32 0x7f, v40
	s_cbranch_execz .LBB245_127
; %bb.124:                              ;   in Loop: Header=BB245_9 Depth=1
	v_and_b32_e32 v38, 7, v1
	v_lshrrev_b32_e32 v39, 3, v40
	s_mov_b32 s34, exec_lo
	v_cmpx_gt_u32_e32 8, v40
; %bb.125:                              ;   in Loop: Header=BB245_9 Depth=1
	v_ffbh_u32_e32 v38, v38
	v_min_u32_e32 v40, 32, v38
	v_subrev_nc_u32_e32 v38, 28, v40
	v_lshlrev_b64 v[38:39], v38, v[1:2]
	v_sub_nc_u32_e32 v39, 29, v40
	v_and_b32_e32 v38, 7, v38
; %bb.126:                              ;   in Loop: Header=BB245_9 Depth=1
	s_or_b32 exec_lo, exec_lo, s34
	v_lshlrev_b32_e32 v40, 8, v1
	v_lshl_add_u32 v39, v39, 10, 0x2000
	v_lshlrev_b32_e32 v38, 7, v38
	v_and_b32_e32 v40, 0x8000, v40
	v_and_b32_e32 v39, 0xfc00, v39
	v_or3_b32 v38, v40, v39, v38
.LBB245_127:                            ;   in Loop: Header=BB245_9 Depth=1
	s_or_b32 exec_lo, exec_lo, s33
.LBB245_128:                            ;   in Loop: Header=BB245_9 Depth=1
	s_or_b32 exec_lo, exec_lo, s31
.LBB245_129:                            ;   in Loop: Header=BB245_9 Depth=1
	s_or_b32 exec_lo, exec_lo, s3
	v_lshrrev_b16 v1, 8, v1
	s_mov_b32 s3, exec_lo
	v_cmpx_ne_u16_e32 0, v1
	s_cbranch_execz .LBB245_137
; %bb.130:                              ;   in Loop: Header=BB245_9 Depth=1
	v_bfrev_b32_e32 v37, 1
	s_mov_b32 s31, exec_lo
	v_cmpx_ne_u16_e32 0x80, v1
	s_cbranch_execz .LBB245_136
; %bb.131:                              ;   in Loop: Header=BB245_9 Depth=1
	v_and_b32_sdwa v40, v1, v18 dst_sel:DWORD dst_unused:UNUSED_PAD src0_sel:WORD_0 src1_sel:DWORD
	v_mov_b32_e32 v37, 0x7c010000
	s_mov_b32 s33, exec_lo
	v_cmpx_ne_u32_e32 0x7f, v40
	s_cbranch_execz .LBB245_135
; %bb.132:                              ;   in Loop: Header=BB245_9 Depth=1
	v_and_b32_sdwa v37, v1, v19 dst_sel:DWORD dst_unused:UNUSED_PAD src0_sel:WORD_0 src1_sel:DWORD
	v_lshrrev_b32_e32 v39, 3, v40
	s_mov_b32 s34, exec_lo
	v_cmpx_gt_u32_e32 8, v40
; %bb.133:                              ;   in Loop: Header=BB245_9 Depth=1
	v_ffbh_u32_e32 v37, v37
	v_min_u32_e32 v37, 32, v37
	v_subrev_nc_u32_e32 v39, 28, v37
	v_lshlrev_b64 v[40:41], v39, v[1:2]
	v_sub_nc_u32_e32 v39, 29, v37
	v_and_b32_e32 v37, 7, v40
; %bb.134:                              ;   in Loop: Header=BB245_9 Depth=1
	s_or_b32 exec_lo, exec_lo, s34
	v_lshlrev_b32_sdwa v1, v20, v1 dst_sel:DWORD dst_unused:UNUSED_PAD src0_sel:DWORD src1_sel:WORD_0
	v_lshl_add_u32 v39, v39, 10, 0x2000
	v_lshlrev_b32_e32 v37, 23, v37
	v_and_or_b32 v1, 0x8000, v1, v39
	v_lshl_or_b32 v37, v1, 16, v37
.LBB245_135:                            ;   in Loop: Header=BB245_9 Depth=1
	s_or_b32 exec_lo, exec_lo, s33
.LBB245_136:                            ;   in Loop: Header=BB245_9 Depth=1
	s_or_b32 exec_lo, exec_lo, s31
.LBB245_137:                            ;   in Loop: Header=BB245_9 Depth=1
	s_or_b32 exec_lo, exec_lo, s3
	global_load_ushort v40, v[7:8], off offset:512
	v_mov_b32_e32 v39, 0
	s_waitcnt vmcnt(0)
	v_and_b32_e32 v1, 0xffff, v40
	v_cmp_ne_u16_sdwa s2, v40, v2 src0_sel:BYTE_0 src1_sel:DWORD
	v_mov_b32_e32 v40, 0
	s_and_saveexec_b32 s3, s2
	s_cbranch_execz .LBB245_145
; %bb.138:                              ;   in Loop: Header=BB245_9 Depth=1
	v_cmp_ne_u16_sdwa s2, v1, v17 src0_sel:BYTE_0 src1_sel:DWORD
	v_mov_b32_e32 v40, 0x8000
	s_and_saveexec_b32 s31, s2
	s_cbranch_execz .LBB245_144
; %bb.139:                              ;   in Loop: Header=BB245_9 Depth=1
	v_and_b32_e32 v42, 0x7f, v1
	v_mov_b32_e32 v40, 0x7c01
	s_mov_b32 s33, exec_lo
	v_cmpx_ne_u32_e32 0x7f, v42
	s_cbranch_execz .LBB245_143
; %bb.140:                              ;   in Loop: Header=BB245_9 Depth=1
	v_and_b32_e32 v40, 7, v1
	v_lshrrev_b32_e32 v41, 3, v42
	s_mov_b32 s34, exec_lo
	v_cmpx_gt_u32_e32 8, v42
; %bb.141:                              ;   in Loop: Header=BB245_9 Depth=1
	v_ffbh_u32_e32 v40, v40
	v_min_u32_e32 v42, 32, v40
	v_subrev_nc_u32_e32 v40, 28, v42
	v_lshlrev_b64 v[40:41], v40, v[1:2]
	v_sub_nc_u32_e32 v41, 29, v42
	v_and_b32_e32 v40, 7, v40
; %bb.142:                              ;   in Loop: Header=BB245_9 Depth=1
	s_or_b32 exec_lo, exec_lo, s34
	v_lshlrev_b32_e32 v42, 8, v1
	v_lshl_add_u32 v41, v41, 10, 0x2000
	v_lshlrev_b32_e32 v40, 7, v40
	v_and_b32_e32 v42, 0x8000, v42
	v_and_b32_e32 v41, 0xfc00, v41
	v_or3_b32 v40, v42, v41, v40
.LBB245_143:                            ;   in Loop: Header=BB245_9 Depth=1
	s_or_b32 exec_lo, exec_lo, s33
.LBB245_144:                            ;   in Loop: Header=BB245_9 Depth=1
	s_or_b32 exec_lo, exec_lo, s31
.LBB245_145:                            ;   in Loop: Header=BB245_9 Depth=1
	s_or_b32 exec_lo, exec_lo, s3
	v_lshrrev_b16 v1, 8, v1
	s_mov_b32 s3, exec_lo
	v_cmpx_ne_u16_e32 0, v1
	s_cbranch_execz .LBB245_153
; %bb.146:                              ;   in Loop: Header=BB245_9 Depth=1
	v_bfrev_b32_e32 v39, 1
	s_mov_b32 s31, exec_lo
	v_cmpx_ne_u16_e32 0x80, v1
	s_cbranch_execz .LBB245_152
; %bb.147:                              ;   in Loop: Header=BB245_9 Depth=1
	v_and_b32_sdwa v42, v1, v18 dst_sel:DWORD dst_unused:UNUSED_PAD src0_sel:WORD_0 src1_sel:DWORD
	v_mov_b32_e32 v39, 0x7c010000
	s_mov_b32 s33, exec_lo
	v_cmpx_ne_u32_e32 0x7f, v42
	s_cbranch_execz .LBB245_151
; %bb.148:                              ;   in Loop: Header=BB245_9 Depth=1
	v_and_b32_sdwa v39, v1, v19 dst_sel:DWORD dst_unused:UNUSED_PAD src0_sel:WORD_0 src1_sel:DWORD
	v_lshrrev_b32_e32 v41, 3, v42
	s_mov_b32 s34, exec_lo
	v_cmpx_gt_u32_e32 8, v42
; %bb.149:                              ;   in Loop: Header=BB245_9 Depth=1
	v_ffbh_u32_e32 v39, v39
	v_min_u32_e32 v39, 32, v39
	v_subrev_nc_u32_e32 v41, 28, v39
	v_lshlrev_b64 v[42:43], v41, v[1:2]
	v_sub_nc_u32_e32 v41, 29, v39
	v_and_b32_e32 v39, 7, v42
; %bb.150:                              ;   in Loop: Header=BB245_9 Depth=1
	s_or_b32 exec_lo, exec_lo, s34
	v_lshlrev_b32_sdwa v1, v20, v1 dst_sel:DWORD dst_unused:UNUSED_PAD src0_sel:DWORD src1_sel:WORD_0
	v_lshl_add_u32 v41, v41, 10, 0x2000
	v_lshlrev_b32_e32 v39, 23, v39
	v_and_or_b32 v1, 0x8000, v1, v41
	v_lshl_or_b32 v39, v1, 16, v39
.LBB245_151:                            ;   in Loop: Header=BB245_9 Depth=1
	s_or_b32 exec_lo, exec_lo, s33
.LBB245_152:                            ;   in Loop: Header=BB245_9 Depth=1
	s_or_b32 exec_lo, exec_lo, s31
.LBB245_153:                            ;   in Loop: Header=BB245_9 Depth=1
	s_or_b32 exec_lo, exec_lo, s3
	global_load_ushort v8, v[7:8], off offset:520
	v_mov_b32_e32 v7, 0
	s_waitcnt vmcnt(0)
	v_and_b32_e32 v1, 0xffff, v8
	v_cmp_ne_u16_sdwa s2, v8, v2 src0_sel:BYTE_0 src1_sel:DWORD
	v_mov_b32_e32 v8, 0
	s_and_saveexec_b32 s3, s2
	s_cbranch_execz .LBB245_161
; %bb.154:                              ;   in Loop: Header=BB245_9 Depth=1
	v_cmp_ne_u16_sdwa s2, v1, v17 src0_sel:BYTE_0 src1_sel:DWORD
	v_mov_b32_e32 v8, 0x8000
	s_and_saveexec_b32 s31, s2
	s_cbranch_execz .LBB245_160
; %bb.155:                              ;   in Loop: Header=BB245_9 Depth=1
	v_and_b32_e32 v42, 0x7f, v1
	v_mov_b32_e32 v8, 0x7c01
	s_mov_b32 s33, exec_lo
	v_cmpx_ne_u32_e32 0x7f, v42
	s_cbranch_execz .LBB245_159
; %bb.156:                              ;   in Loop: Header=BB245_9 Depth=1
	v_and_b32_e32 v8, 7, v1
	v_lshrrev_b32_e32 v41, 3, v42
	s_mov_b32 s34, exec_lo
	v_cmpx_gt_u32_e32 8, v42
; %bb.157:                              ;   in Loop: Header=BB245_9 Depth=1
	v_ffbh_u32_e32 v8, v8
	v_min_u32_e32 v8, 32, v8
	v_subrev_nc_u32_e32 v41, 28, v8
	v_lshlrev_b64 v[42:43], v41, v[1:2]
	v_sub_nc_u32_e32 v41, 29, v8
	v_and_b32_e32 v8, 7, v42
; %bb.158:                              ;   in Loop: Header=BB245_9 Depth=1
	s_or_b32 exec_lo, exec_lo, s34
	v_lshlrev_b32_e32 v42, 8, v1
	v_lshl_add_u32 v41, v41, 10, 0x2000
	v_lshlrev_b32_e32 v8, 7, v8
	v_and_b32_e32 v42, 0x8000, v42
	v_and_b32_e32 v41, 0xfc00, v41
	v_or3_b32 v8, v42, v41, v8
.LBB245_159:                            ;   in Loop: Header=BB245_9 Depth=1
	s_or_b32 exec_lo, exec_lo, s33
.LBB245_160:                            ;   in Loop: Header=BB245_9 Depth=1
	s_or_b32 exec_lo, exec_lo, s31
.LBB245_161:                            ;   in Loop: Header=BB245_9 Depth=1
	s_or_b32 exec_lo, exec_lo, s3
	v_lshrrev_b16 v1, 8, v1
	s_mov_b32 s3, exec_lo
	v_cmpx_ne_u16_e32 0, v1
	s_cbranch_execz .LBB245_169
; %bb.162:                              ;   in Loop: Header=BB245_9 Depth=1
	v_bfrev_b32_e32 v7, 1
	s_mov_b32 s31, exec_lo
	v_cmpx_ne_u16_e32 0x80, v1
	s_cbranch_execz .LBB245_168
; %bb.163:                              ;   in Loop: Header=BB245_9 Depth=1
	v_and_b32_sdwa v42, v1, v18 dst_sel:DWORD dst_unused:UNUSED_PAD src0_sel:WORD_0 src1_sel:DWORD
	v_mov_b32_e32 v7, 0x7c010000
	s_mov_b32 s33, exec_lo
	v_cmpx_ne_u32_e32 0x7f, v42
	s_cbranch_execz .LBB245_167
; %bb.164:                              ;   in Loop: Header=BB245_9 Depth=1
	v_and_b32_sdwa v7, v1, v19 dst_sel:DWORD dst_unused:UNUSED_PAD src0_sel:WORD_0 src1_sel:DWORD
	v_lshrrev_b32_e32 v41, 3, v42
	s_mov_b32 s34, exec_lo
	v_cmpx_gt_u32_e32 8, v42
; %bb.165:                              ;   in Loop: Header=BB245_9 Depth=1
	v_ffbh_u32_e32 v7, v7
	v_min_u32_e32 v7, 32, v7
	v_subrev_nc_u32_e32 v41, 28, v7
	v_lshlrev_b64 v[42:43], v41, v[1:2]
	v_sub_nc_u32_e32 v41, 29, v7
	v_and_b32_e32 v7, 7, v42
; %bb.166:                              ;   in Loop: Header=BB245_9 Depth=1
	s_or_b32 exec_lo, exec_lo, s34
	v_lshlrev_b32_sdwa v1, v20, v1 dst_sel:DWORD dst_unused:UNUSED_PAD src0_sel:DWORD src1_sel:WORD_0
	v_lshl_add_u32 v41, v41, 10, 0x2000
	v_lshlrev_b32_e32 v7, 23, v7
	v_and_or_b32 v1, 0x8000, v1, v41
	v_lshl_or_b32 v7, v1, 16, v7
.LBB245_167:                            ;   in Loop: Header=BB245_9 Depth=1
	s_or_b32 exec_lo, exec_lo, s33
.LBB245_168:                            ;   in Loop: Header=BB245_9 Depth=1
	s_or_b32 exec_lo, exec_lo, s31
.LBB245_169:                            ;   in Loop: Header=BB245_9 Depth=1
	s_or_b32 exec_lo, exec_lo, s3
	ds_read_b32 v1, v14
	v_or_b32_e32 v23, v24, v23
	v_fma_mixlo_f16 v24, v22, v24, 0 op_sel:[0,1,0] op_sel_hi:[0,1,0]
	v_or_b32_e32 v26, v25, v26
	v_fma_mixlo_f16 v25, v22, v25, 0 op_sel:[0,1,0] op_sel_hi:[0,1,0]
	v_or_b32_e32 v28, v27, v28
	v_fma_mixlo_f16 v23, v22, v23, 0 op_sel_hi:[0,1,0]
	v_and_b32_e32 v44, 0xffff, v24
	v_fma_mixlo_f16 v26, v22, v26, 0 op_sel_hi:[0,1,0]
	v_and_b32_e32 v45, 0xffff, v25
	;; [unrolled: 2-line block ×3, first 2 shown]
	v_fma_mixlo_f16 v27, v22, v27, 0 op_sel:[0,1,0] op_sel_hi:[0,1,0]
	v_or_b32_e32 v30, v29, v30
	v_fma_mixlo_f16 v29, v22, v29, 0 op_sel:[0,1,0] op_sel_hi:[0,1,0]
	v_and_b32_e32 v46, 0xffff, v28
	v_or_b32_e32 v32, v31, v32
	v_and_b32_e32 v47, 0xffff, v27
	v_fma_mixlo_f16 v30, v22, v30, 0 op_sel_hi:[0,1,0]
	v_and_b32_e32 v49, 0xffff, v29
	s_waitcnt lgkmcnt(0)
	v_and_b32_e32 v41, 0xffff, v1
	v_lshrrev_b32_e32 v42, 16, v1
	;;#ASMSTART
	v_cvt_f32_f16 v1, v41;
	;;#ASMEND
	;;#ASMSTART
	v_cvt_f32_f16 v23, v42;
	;;#ASMEND
	;; [unrolled: 3-line block ×4, first 2 shown]
	ds_read_b32 v42, v14 offset:4
	v_and_b32_e32 v44, 0xffff, v26
	v_and_b32_e32 v48, 0xffff, v30
	v_fma_mixlo_f16 v32, v22, v32, 0 op_sel_hi:[0,1,0]
	v_fma_mixlo_f16 v31, v22, v31, 0 op_sel:[0,1,0] op_sel_hi:[0,1,0]
	v_or_b32_e32 v34, v33, v34
	v_fma_mixlo_f16 v33, v22, v33, 0 op_sel:[0,1,0] op_sel_hi:[0,1,0]
	v_or_b32_e32 v36, v35, v36
	v_and_b32_e32 v50, 0xffff, v32
	v_and_b32_e32 v51, 0xffff, v31
	v_fma_mixlo_f16 v34, v22, v34, 0 op_sel_hi:[0,1,0]
	v_and_b32_e32 v53, 0xffff, v33
	v_fma_mixlo_f16 v36, v22, v36, 0 op_sel_hi:[0,1,0]
	v_fma_mixlo_f16 v35, v22, v35, 0 op_sel:[0,1,0] op_sel_hi:[0,1,0]
	v_or_b32_e32 v38, v37, v38
	v_and_b32_e32 v52, 0xffff, v34
	v_fma_mixlo_f16 v37, v22, v37, 0 op_sel:[0,1,0] op_sel_hi:[0,1,0]
	v_and_b32_e32 v54, 0xffff, v36
	v_and_b32_e32 v55, 0xffff, v35
	v_fma_mixlo_f16 v38, v22, v38, 0 op_sel_hi:[0,1,0]
	s_waitcnt lgkmcnt(0)
	v_and_b32_e32 v43, 0xffff, v42
	v_lshrrev_b32_e32 v42, 16, v42
	;;#ASMSTART
	v_cvt_f32_f16 v25, v43;
	;;#ASMEND
	;;#ASMSTART
	v_cvt_f32_f16 v26, v42;
	;;#ASMEND
	;; [unrolled: 3-line block ×4, first 2 shown]
	ds_read_b32 v44, v14 offset:8
	v_mul_f32_e32 v25, v25, v42
	v_mul_f32_e32 v26, v26, v43
	v_and_b32_e32 v56, 0xffff, v38
	v_and_b32_e32 v57, 0xffff, v37
	v_or_b32_e32 v40, v39, v40
	v_fmac_f32_e32 v25, v1, v24
	v_fmac_f32_e32 v26, v23, v41
	v_fma_mixlo_f16 v39, v22, v39, 0 op_sel:[0,1,0] op_sel_hi:[0,1,0]
	v_or_b32_e32 v8, v7, v8
	v_fma_mixlo_f16 v1, v22, v40, 0 op_sel_hi:[0,1,0]
	v_fma_mixlo_f16 v7, v22, v7, 0 op_sel:[0,1,0] op_sel_hi:[0,1,0]
	v_and_b32_e32 v39, 0xffff, v39
	v_fma_mixlo_f16 v8, v22, v8, 0 op_sel_hi:[0,1,0]
	s_waitcnt lgkmcnt(0)
	v_and_b32_e32 v45, 0xffff, v44
	v_lshrrev_b32_e32 v44, 16, v44
	;;#ASMSTART
	v_cvt_f32_f16 v27, v45;
	;;#ASMEND
	;;#ASMSTART
	v_cvt_f32_f16 v28, v44;
	;;#ASMEND
	;;#ASMSTART
	v_cvt_f32_f16 v44, v46;
	;;#ASMEND
	;;#ASMSTART
	v_cvt_f32_f16 v45, v47;
	;;#ASMEND
	ds_read_b32 v46, v14 offset:12
	v_fmac_f32_e32 v25, v27, v44
	v_fmac_f32_e32 v26, v28, v45
	v_and_b32_e32 v27, 0xffff, v1
	s_waitcnt lgkmcnt(0)
	v_and_b32_e32 v47, 0xffff, v46
	v_lshrrev_b32_e32 v46, 16, v46
	;;#ASMSTART
	v_cvt_f32_f16 v29, v47;
	;;#ASMEND
	;;#ASMSTART
	v_cvt_f32_f16 v30, v46;
	;;#ASMEND
	;; [unrolled: 3-line block ×4, first 2 shown]
	ds_read_b32 v48, v14 offset:16
	v_fmac_f32_e32 v25, v29, v46
	v_fmac_f32_e32 v26, v30, v47
	v_xor_b32_e32 v29, 2, v10
	v_and_b32_e32 v30, 0xffff, v7
	v_cmp_gt_i32_e64 s2, 32, v29
	v_cndmask_b32_e64 v7, v10, v29, s2
	v_and_b32_e32 v29, 0xffff, v8
	s_waitcnt lgkmcnt(0)
	v_and_b32_e32 v49, 0xffff, v48
	v_lshrrev_b32_e32 v48, 16, v48
	;;#ASMSTART
	v_cvt_f32_f16 v31, v49;
	;;#ASMEND
	;;#ASMSTART
	v_cvt_f32_f16 v32, v48;
	;;#ASMEND
	;;#ASMSTART
	v_cvt_f32_f16 v48, v50;
	;;#ASMEND
	;;#ASMSTART
	v_cvt_f32_f16 v49, v51;
	;;#ASMEND
	ds_read_b32 v50, v14 offset:20
	v_fmac_f32_e32 v25, v31, v48
	v_fmac_f32_e32 v26, v32, v49
	s_waitcnt lgkmcnt(0)
	v_and_b32_e32 v51, 0xffff, v50
	v_lshrrev_b32_e32 v50, 16, v50
	;;#ASMSTART
	v_cvt_f32_f16 v33, v51;
	;;#ASMEND
	;;#ASMSTART
	v_cvt_f32_f16 v34, v50;
	;;#ASMEND
	;;#ASMSTART
	v_cvt_f32_f16 v50, v52;
	;;#ASMEND
	;;#ASMSTART
	v_cvt_f32_f16 v51, v53;
	;;#ASMEND
	ds_read_b32 v52, v14 offset:24
	v_fmac_f32_e32 v25, v33, v50
	v_fmac_f32_e32 v26, v34, v51
	;; [unrolled: 18-line block ×5, first 2 shown]
	s_waitcnt lgkmcnt(0)
	v_and_b32_e32 v22, 0xffff, v28
	v_lshrrev_b32_e32 v28, 16, v28
	;;#ASMSTART
	v_cvt_f32_f16 v1, v22;
	;;#ASMEND
	;;#ASMSTART
	v_cvt_f32_f16 v8, v28;
	;;#ASMEND
	;; [unrolled: 3-line block ×4, first 2 shown]
	v_fmac_f32_e32 v25, v1, v22
	v_fmac_f32_e32 v26, v8, v23
	v_lshlrev_b32_e32 v1, 2, v7
	v_xor_b32_e32 v8, 1, v10
	v_add_f32_e32 v7, v25, v26
	v_cmp_gt_i32_e64 s2, 32, v8
	ds_bpermute_b32 v1, v1, v7
	v_cndmask_b32_e64 v8, v10, v8, s2
	s_waitcnt lgkmcnt(0)
	v_add_f32_e32 v1, v7, v1
	v_lshlrev_b32_e32 v7, 2, v8
	ds_bpermute_b32 v7, v7, v1
	s_and_saveexec_b32 s3, vcc_lo
	s_cbranch_execz .LBB245_8
; %bb.170:                              ;   in Loop: Header=BB245_9 Depth=1
	v_add_nc_u32_e32 v8, s4, v15
	s_waitcnt lgkmcnt(0)
	v_add_f32_e32 v1, v1, v7
	v_cmp_gt_i32_e64 s2, s11, v15
	v_cvt_f32_i32_e32 v8, v8
	v_mul_f32_e32 v8, s28, v8
	v_cndmask_b32_e64 v7, 0, v8, s1
	v_max_f32_e32 v8, v12, v12
	v_fmac_f32_e32 v7, s29, v1
	v_max_f32_e32 v1, v8, v7
	v_cndmask_b32_e64 v7, 0, v7, s2
	v_cndmask_b32_e64 v12, v12, v1, s2
	ds_write_b32 v16, v7
	s_branch .LBB245_8
.LBB245_171:
	s_or_b32 exec_lo, exec_lo, s5
.LBB245_172:
	s_or_b32 exec_lo, exec_lo, s19
	v_xor_b32_e32 v1, 16, v10
	v_xor_b32_e32 v4, 8, v10
	v_max_f32_e32 v5, v12, v12
	v_cmp_lt_i32_e32 vcc_lo, v1, v13
	v_cndmask_b32_e32 v1, v10, v1, vcc_lo
	v_cmp_lt_i32_e32 vcc_lo, v4, v13
	v_lshlrev_b32_e32 v1, 2, v1
	v_cndmask_b32_e32 v4, v10, v4, vcc_lo
	ds_bpermute_b32 v3, v1, v12
	v_and_b32_e32 v12, 31, v0
	s_waitcnt lgkmcnt(0)
	v_max_f32_e32 v6, v3, v3
	v_lshlrev_b32_e32 v3, 2, v4
	v_max_f32_e32 v4, v5, v6
	v_xor_b32_e32 v6, 4, v10
	ds_bpermute_b32 v5, v3, v4
	v_cmp_lt_i32_e32 vcc_lo, v6, v13
	v_cndmask_b32_e32 v6, v10, v6, vcc_lo
	v_cmp_eq_u32_e32 vcc_lo, 0, v12
	v_lshlrev_b32_e32 v6, 2, v6
	s_waitcnt lgkmcnt(0)
	v_max_f32_e32 v5, v5, v5
	v_max_f32_e32 v5, v4, v5
	v_lshlrev_b32_e32 v4, 2, v11
	ds_bpermute_b32 v7, v6, v5
	s_and_saveexec_b32 s1, vcc_lo
	s_cbranch_execz .LBB245_174
; %bb.173:
	s_waitcnt lgkmcnt(0)
	v_max_f32_e32 v7, v7, v7
	v_max_f32_e32 v5, v5, v5
	;; [unrolled: 1-line block ×3, first 2 shown]
	ds_write_b32 v4, v5 offset:160
.LBB245_174:
	s_or_b32 exec_lo, exec_lo, s1
	v_cmp_gt_u32_e64 s1, 4, v12
	v_mov_b32_e32 v8, 0xff7fffff
	v_lshlrev_b32_e32 v5, 2, v12
	s_waitcnt lgkmcnt(0)
	s_barrier
	buffer_gl0_inv
	s_and_saveexec_b32 s2, s1
; %bb.175:
	ds_read_b32 v8, v5 offset:160
; %bb.176:
	s_or_b32 exec_lo, exec_lo, s2
	v_xor_b32_e32 v7, 2, v10
	v_xor_b32_e32 v15, 1, v10
	s_waitcnt lgkmcnt(0)
	v_max_f32_e32 v16, v8, v8
	v_lshlrev_b32_e32 v2, 2, v2
	v_cmp_lt_i32_e64 s2, v7, v13
	v_cndmask_b32_e64 v7, v10, v7, s2
	v_cmp_lt_i32_e64 s2, v15, v13
	v_lshlrev_b32_e32 v7, 2, v7
	ds_bpermute_b32 v14, v7, v8
	v_cndmask_b32_e64 v8, v10, v15, s2
	s_lshl_b32 s2, s16, 3
	s_min_i32 s4, s2, s11
	v_lshlrev_b32_e32 v8, 2, v8
	v_cmp_gt_i32_e64 s2, s4, v0
	s_waitcnt lgkmcnt(0)
	v_max_f32_e32 v13, v14, v14
	v_max_f32_e32 v13, v16, v13
	ds_bpermute_b32 v14, v8, v13
	s_waitcnt lgkmcnt(0)
	v_max_f32_e32 v14, v14, v14
	v_max_f32_e32 v13, v13, v14
	ds_bpermute_b32 v14, v2, v13
	v_mov_b32_e32 v2, 0
	v_lshl_add_u32 v13, v0, 2, 0xc0
	s_and_saveexec_b32 s5, s2
	s_cbranch_execz .LBB245_180
; %bb.177:
	v_lshl_add_u32 v15, v0, 2, 0xc0
	v_mov_b32_e32 v2, 0
	v_mov_b32_e32 v16, v0
	s_mov_b32 s12, 0
	.p2align	6
.LBB245_178:                            ; =>This Inner Loop Header: Depth=1
	ds_read_b32 v17, v15
	v_add_nc_u32_e32 v16, 0x80, v16
	v_cmp_le_i32_e64 s3, s4, v16
	s_or_b32 s12, s3, s12
	s_waitcnt lgkmcnt(0)
	v_sub_f32_e32 v17, v17, v14
	v_mul_f32_e32 v17, 0x3fb8aa3b, v17
	v_exp_f32_e32 v17, v17
	ds_write_b32 v15, v17
	v_add_f32_e32 v2, v2, v17
	v_add_nc_u32_e32 v15, 0x200, v15
	s_andn2_b32 exec_lo, exec_lo, s12
	s_cbranch_execnz .LBB245_178
; %bb.179:
	s_or_b32 exec_lo, exec_lo, s12
.LBB245_180:
	s_or_b32 exec_lo, exec_lo, s5
	ds_bpermute_b32 v1, v1, v2
	s_waitcnt lgkmcnt(0)
	v_add_f32_e32 v1, v2, v1
	ds_bpermute_b32 v2, v3, v1
	s_waitcnt lgkmcnt(0)
	v_add_f32_e32 v1, v1, v2
	;; [unrolled: 3-line block ×5, first 2 shown]
	s_and_saveexec_b32 s3, vcc_lo
; %bb.181:
	ds_write_b32 v4, v1 offset:176
; %bb.182:
	s_or_b32 exec_lo, exec_lo, s3
	s_waitcnt lgkmcnt(0)
	s_barrier
	buffer_gl0_inv
	s_and_saveexec_b32 s3, s1
; %bb.183:
	ds_read_b32 v1, v5 offset:176
; %bb.184:
	s_or_b32 exec_lo, exec_lo, s3
	s_waitcnt lgkmcnt(0)
	ds_bpermute_b32 v2, v7, v1
	v_lshlrev_b32_e32 v3, 2, v10
	s_waitcnt lgkmcnt(0)
	v_add_f32_e32 v1, v1, v2
	ds_bpermute_b32 v2, v8, v1
	s_waitcnt lgkmcnt(0)
	v_add_f32_e32 v1, v1, v2
	v_and_b32_e32 v2, 0xffffff80, v3
	ds_bpermute_b32 v1, v2, v1
	s_and_saveexec_b32 s1, s2
	s_cbranch_execz .LBB245_187
; %bb.185:
	s_waitcnt lgkmcnt(0)
	v_add_f32_e32 v2, 0x358637bd, v1
	s_mov_b32 s2, 0
	v_div_scale_f32 v1, null, v2, v2, 1.0
	v_div_scale_f32 v5, vcc_lo, 1.0, v2, 1.0
	v_rcp_f32_e32 v3, v1
	v_fma_f32 v4, -v1, v3, 1.0
	v_fmac_f32_e32 v3, v4, v3
	v_mul_f32_e32 v4, v5, v3
	v_fma_f32 v6, -v1, v4, v5
	v_fmac_f32_e32 v4, v6, v3
	v_fma_f32 v1, -v1, v4, v5
	v_div_fmas_f32 v3, v1, v3, v4
	v_mov_b32_e32 v1, v13
	v_div_fixup_f32 v2, v3, v2, 1.0
	v_mov_b32_e32 v3, v0
.LBB245_186:                            ; =>This Inner Loop Header: Depth=1
	ds_read_b32 v4, v1
	v_add_nc_u32_e32 v3, 0x80, v3
	v_cmp_le_i32_e32 vcc_lo, s4, v3
	s_or_b32 s2, vcc_lo, s2
	s_waitcnt lgkmcnt(0)
	v_mul_f32_e32 v4, v2, v4
	ds_write_b32 v1, v4
	v_add_nc_u32_e32 v1, 0x200, v1
	s_andn2_b32 exec_lo, exec_lo, s2
	s_cbranch_execnz .LBB245_186
.LBB245_187:
	s_or_b32 exec_lo, exec_lo, s1
	v_mov_b32_e32 v16, 0
	v_or_b32_e32 v17, 64, v12
	v_mov_b32_e32 v15, 0
	v_mov_b32_e32 v14, 0
	s_waitcnt lgkmcnt(0)
	s_barrier
	buffer_gl0_inv
	s_and_saveexec_b32 s12, s0
	s_cbranch_execz .LBB245_391
; %bb.188:
	s_ashr_i32 s0, s18, 31
	s_add_u32 s2, s26, s18
	v_and_b32_e32 v1, 0x7c, v9
	s_addc_u32 s3, s27, s0
	s_lshl_b64 s[0:1], s[24:25], 2
	s_mov_b32 s13, s17
	s_add_i32 s17, s16, -1
	s_add_u32 s0, s22, s0
	s_addc_u32 s1, s23, s1
	v_add_co_u32 v3, s0, s0, v1
	v_lshlrev_b32_e32 v18, 3, v12
	v_mov_b32_e32 v2, 0
	v_lshlrev_b32_e32 v19, 3, v17
	v_lshl_or_b32 v20, v11, 3, 7
	v_lshl_add_u32 v21, v11, 5, 0xc0
	v_add_co_ci_u32_e64 v4, null, s1, 0, s0
	v_mov_b32_e32 v22, 0x80
	v_mov_b32_e32 v23, 0x7f
	;; [unrolled: 1-line block ×8, first 2 shown]
	s_mov_b32 s4, -1
	s_mov_b32 s5, 0xffffff
	s_mov_b32 s18, 0
	v_cmp_gt_u32_e32 vcc_lo, 0x50, v17
	s_branch .LBB245_191
.LBB245_189:                            ;   in Loop: Header=BB245_191 Depth=1
	s_or_b32 exec_lo, exec_lo, s1
	;;#ASMSTART
	v_pk_mul_f16 v1, v31, v39;

	;;#ASMEND
	;;#ASMSTART
	v_pk_mul_f16 v5, v30, v38;

	;;#ASMEND
	;; [unrolled: 4-line block ×4, first 2 shown]
	;;#ASMSTART
	v_pk_add_f16 v1, v1, v5;

	;;#ASMEND
	;;#ASMSTART
	v_pk_add_f16 v1, v1, v6;

	;;#ASMEND
	;; [unrolled: 4-line block ×3, first 2 shown]
	v_and_b32_e32 v5, 0xffff, v1
	v_lshrrev_b32_e32 v6, 16, v1
	;;#ASMSTART
	v_cvt_f32_f16 v1, v5;
	;;#ASMEND
	;;#ASMSTART
	v_cvt_f32_f16 v5, v6;
	;;#ASMEND
	v_add_f32_e32 v1, v1, v5
	v_add_f32_e32 v14, v14, v1
.LBB245_190:                            ;   in Loop: Header=BB245_191 Depth=1
	s_or_b32 exec_lo, exec_lo, s19
	v_add_nc_u32_e32 v26, 4, v26
	v_add_f32_e32 v1, v7, v8
	v_add_f32_e32 v5, v10, v27
	v_add_co_u32 v3, s1, v3, 16
	v_cmp_le_i32_e64 s0, s16, v26
	v_add_nc_u32_e32 v20, 32, v20
	v_add_f32_e32 v15, v15, v1
	v_add_f32_e32 v16, v16, v5
	v_add_nc_u32_e32 v21, 0x80, v21
	v_add_co_ci_u32_e64 v4, null, 0, v4, s1
	s_or_b32 s18, s0, s18
	s_andn2_b32 exec_lo, exec_lo, s18
	s_cbranch_execz .LBB245_390
.LBB245_191:                            ; =>This Inner Loop Header: Depth=1
	global_load_dword v1, v[3:4], off
	ds_read2_b64 v[7:10], v21 offset1:1
	ds_read2_b64 v[33:36], v21 offset0:2 offset1:3
	s_waitcnt lgkmcnt(1)
	;;#ASMSTART
	v_cvt_f16_f32 v30, v7;

	;;#ASMEND
	;;#ASMSTART
	v_cvt_f16_f32 v27, v8;

	;;#ASMEND
	;; [unrolled: 4-line block ×4, first 2 shown]
	s_waitcnt lgkmcnt(0)
	;;#ASMSTART
	v_cvt_f16_f32 v33, v33;

	;;#ASMEND
	;;#ASMSTART
	v_cvt_f16_f32 v29, v34;

	;;#ASMEND
	;; [unrolled: 4-line block ×4, first 2 shown]
	v_mov_b32_e32 v36, 0
	s_waitcnt vmcnt(0)
	v_mad_i64_i32 v[5:6], null, v1, s13, s[2:3]
	v_add_co_u32 v7, s0, v5, v18
	v_add_co_ci_u32_e64 v8, null, 0, v6, s0
	global_load_dwordx2 v[9:10], v[7:8], off
	global_load_dword v35, v2, s[14:15]
	s_waitcnt vmcnt(1)
	v_cmp_ne_u16_sdwa s0, v9, v2 src0_sel:BYTE_0 src1_sel:DWORD
	s_and_saveexec_b32 s1, s0
	s_cbranch_execz .LBB245_199
; %bb.192:                              ;   in Loop: Header=BB245_191 Depth=1
	v_cmp_ne_u16_sdwa s0, v9, v22 src0_sel:BYTE_0 src1_sel:DWORD
	v_mov_b32_e32 v36, 0x8000
	s_and_saveexec_b32 s19, s0
	s_cbranch_execz .LBB245_198
; %bb.193:                              ;   in Loop: Header=BB245_191 Depth=1
	v_and_b32_e32 v37, 0x7f, v9
	v_mov_b32_e32 v36, 0x7c01
	s_mov_b32 s22, exec_lo
	v_cmpx_ne_u32_e32 0x7f, v37
	s_cbranch_execz .LBB245_197
; %bb.194:                              ;   in Loop: Header=BB245_191 Depth=1
	v_and_b32_e32 v1, 7, v9
	v_lshrrev_b32_e32 v36, 3, v37
	s_mov_b32 s23, exec_lo
	v_cmpx_gt_u32_e32 8, v37
; %bb.195:                              ;   in Loop: Header=BB245_191 Depth=1
	v_ffbh_u32_e32 v1, v1
	v_min_u32_e32 v1, 32, v1
	v_subrev_nc_u32_e32 v36, 28, v1
	v_lshlrev_b64 v[37:38], v36, v[9:10]
	v_sub_nc_u32_e32 v36, 29, v1
	v_and_b32_e32 v1, 7, v37
; %bb.196:                              ;   in Loop: Header=BB245_191 Depth=1
	s_or_b32 exec_lo, exec_lo, s23
	v_lshlrev_b32_e32 v37, 8, v9
	v_lshl_add_u32 v36, v36, 10, 0x2000
	v_lshlrev_b32_e32 v1, 7, v1
	v_and_b32_e32 v37, 0x8000, v37
	v_and_b32_e32 v36, 0xfc00, v36
	v_or3_b32 v36, v37, v36, v1
.LBB245_197:                            ;   in Loop: Header=BB245_191 Depth=1
	s_or_b32 exec_lo, exec_lo, s22
.LBB245_198:                            ;   in Loop: Header=BB245_191 Depth=1
	s_or_b32 exec_lo, exec_lo, s19
.LBB245_199:                            ;   in Loop: Header=BB245_191 Depth=1
	s_or_b32 exec_lo, exec_lo, s1
	v_lshrrev_b16 v1, 8, v9
	v_mov_b32_e32 v38, 0
	v_mov_b32_e32 v37, 0
	s_mov_b32 s1, exec_lo
	v_cmpx_ne_u16_e32 0, v1
	s_cbranch_execz .LBB245_207
; %bb.200:                              ;   in Loop: Header=BB245_191 Depth=1
	v_bfrev_b32_e32 v37, 1
	s_mov_b32 s19, exec_lo
	v_cmpx_ne_u16_e32 0x80, v1
	s_cbranch_execz .LBB245_206
; %bb.201:                              ;   in Loop: Header=BB245_191 Depth=1
	v_and_b32_sdwa v40, v1, v23 dst_sel:DWORD dst_unused:UNUSED_PAD src0_sel:WORD_0 src1_sel:DWORD
	v_mov_b32_e32 v37, 0x7c010000
	s_mov_b32 s22, exec_lo
	v_cmpx_ne_u32_e32 0x7f, v40
	s_cbranch_execz .LBB245_205
; %bb.202:                              ;   in Loop: Header=BB245_191 Depth=1
	v_and_b32_sdwa v37, v1, v24 dst_sel:DWORD dst_unused:UNUSED_PAD src0_sel:WORD_0 src1_sel:DWORD
	v_lshrrev_b32_e32 v39, 3, v40
	s_mov_b32 s23, exec_lo
	v_cmpx_gt_u32_e32 8, v40
; %bb.203:                              ;   in Loop: Header=BB245_191 Depth=1
	v_ffbh_u32_e32 v37, v37
	v_min_u32_e32 v37, 32, v37
	v_subrev_nc_u32_e32 v39, 28, v37
	v_lshlrev_b64 v[40:41], v39, v[1:2]
	v_sub_nc_u32_e32 v39, 29, v37
	v_and_b32_e32 v37, 7, v40
; %bb.204:                              ;   in Loop: Header=BB245_191 Depth=1
	s_or_b32 exec_lo, exec_lo, s23
	v_lshlrev_b32_sdwa v1, v25, v1 dst_sel:DWORD dst_unused:UNUSED_PAD src0_sel:DWORD src1_sel:WORD_0
	v_lshl_add_u32 v39, v39, 10, 0x2000
	v_lshlrev_b32_e32 v37, 23, v37
	v_and_or_b32 v1, 0x8000, v1, v39
	v_lshl_or_b32 v37, v1, 16, v37
.LBB245_205:                            ;   in Loop: Header=BB245_191 Depth=1
	s_or_b32 exec_lo, exec_lo, s22
.LBB245_206:                            ;   in Loop: Header=BB245_191 Depth=1
	s_or_b32 exec_lo, exec_lo, s19
.LBB245_207:                            ;   in Loop: Header=BB245_191 Depth=1
	s_or_b32 exec_lo, exec_lo, s1
	v_lshrrev_b32_e32 v1, 16, v9
	v_cmp_ne_u16_sdwa s0, v1, v2 src0_sel:BYTE_0 src1_sel:DWORD
	s_and_saveexec_b32 s1, s0
	s_cbranch_execz .LBB245_215
; %bb.208:                              ;   in Loop: Header=BB245_191 Depth=1
	v_cmp_ne_u16_sdwa s0, v1, v22 src0_sel:BYTE_0 src1_sel:DWORD
	v_mov_b32_e32 v38, 0x8000
	s_and_saveexec_b32 s19, s0
	s_cbranch_execz .LBB245_214
; %bb.209:                              ;   in Loop: Header=BB245_191 Depth=1
	v_bfe_u32 v40, v9, 16, 7
	v_mov_b32_e32 v38, 0x7c01
	s_mov_b32 s22, exec_lo
	v_cmpx_ne_u32_e32 0x7f, v40
	s_cbranch_execz .LBB245_213
; %bb.210:                              ;   in Loop: Header=BB245_191 Depth=1
	v_and_b32_e32 v38, 7, v1
	v_lshrrev_b32_e32 v39, 3, v40
	s_mov_b32 s23, exec_lo
	v_cmpx_gt_u32_e32 8, v40
; %bb.211:                              ;   in Loop: Header=BB245_191 Depth=1
	v_ffbh_u32_e32 v38, v38
	v_min_u32_e32 v40, 32, v38
	v_subrev_nc_u32_e32 v38, 28, v40
	v_lshlrev_b64 v[38:39], v38, v[1:2]
	v_sub_nc_u32_e32 v39, 29, v40
	v_and_b32_e32 v38, 7, v38
; %bb.212:                              ;   in Loop: Header=BB245_191 Depth=1
	s_or_b32 exec_lo, exec_lo, s23
	v_lshlrev_b32_e32 v1, 8, v1
	v_lshl_add_u32 v39, v39, 10, 0x2000
	v_lshlrev_b32_e32 v38, 7, v38
	v_and_b32_e32 v1, 0x8000, v1
	v_and_b32_e32 v39, 0xfc00, v39
	v_or3_b32 v38, v1, v39, v38
.LBB245_213:                            ;   in Loop: Header=BB245_191 Depth=1
	s_or_b32 exec_lo, exec_lo, s22
.LBB245_214:                            ;   in Loop: Header=BB245_191 Depth=1
	s_or_b32 exec_lo, exec_lo, s19
.LBB245_215:                            ;   in Loop: Header=BB245_191 Depth=1
	s_or_b32 exec_lo, exec_lo, s1
	v_mov_b32_e32 v39, 0
	v_mov_b32_e32 v40, 0
	s_mov_b32 s1, exec_lo
	v_cmpx_lt_u32_e32 0xffffff, v9
	s_cbranch_execz .LBB245_223
; %bb.216:                              ;   in Loop: Header=BB245_191 Depth=1
	v_lshrrev_b32_e32 v1, 24, v9
	v_bfrev_b32_e32 v40, 1
	s_mov_b32 s19, exec_lo
	v_cmpx_ne_u32_e32 0x80, v1
	s_cbranch_execz .LBB245_222
; %bb.217:                              ;   in Loop: Header=BB245_191 Depth=1
	v_and_b32_e32 v42, 0x7f, v1
	v_mov_b32_e32 v40, 0x7c010000
	s_mov_b32 s22, exec_lo
	v_cmpx_ne_u32_e32 0x7f, v42
	s_cbranch_execz .LBB245_221
; %bb.218:                              ;   in Loop: Header=BB245_191 Depth=1
	v_and_b32_e32 v40, 7, v1
	v_lshrrev_b32_e32 v41, 3, v42
	s_mov_b32 s23, exec_lo
	v_cmpx_gt_u32_e32 8, v42
; %bb.219:                              ;   in Loop: Header=BB245_191 Depth=1
	v_ffbh_u32_e32 v40, v40
	v_min_u32_e32 v42, 32, v40
	v_subrev_nc_u32_e32 v40, 28, v42
	v_lshlrev_b64 v[40:41], v40, v[1:2]
	v_sub_nc_u32_e32 v41, 29, v42
	v_and_b32_e32 v40, 7, v40
; %bb.220:                              ;   in Loop: Header=BB245_191 Depth=1
	s_or_b32 exec_lo, exec_lo, s23
	v_lshlrev_b32_e32 v1, 8, v1
	v_lshl_add_u32 v41, v41, 10, 0x2000
	v_lshlrev_b32_e32 v40, 23, v40
	v_and_or_b32 v1, 0x8000, v1, v41
	v_lshl_or_b32 v40, v1, 16, v40
.LBB245_221:                            ;   in Loop: Header=BB245_191 Depth=1
	s_or_b32 exec_lo, exec_lo, s22
.LBB245_222:                            ;   in Loop: Header=BB245_191 Depth=1
	s_or_b32 exec_lo, exec_lo, s19
.LBB245_223:                            ;   in Loop: Header=BB245_191 Depth=1
	s_or_b32 exec_lo, exec_lo, s1
	v_mov_b32_e32 v1, v10
	v_cmp_ne_u16_sdwa s0, v10, v2 src0_sel:BYTE_0 src1_sel:DWORD
	s_and_saveexec_b32 s1, s0
	s_cbranch_execz .LBB245_231
; %bb.224:                              ;   in Loop: Header=BB245_191 Depth=1
	v_cmp_ne_u16_sdwa s0, v10, v22 src0_sel:BYTE_0 src1_sel:DWORD
	v_mov_b32_e32 v39, 0x8000
	s_and_saveexec_b32 s19, s0
	s_cbranch_execz .LBB245_230
; %bb.225:                              ;   in Loop: Header=BB245_191 Depth=1
	v_and_b32_e32 v42, 0x7f, v10
	v_mov_b32_e32 v39, 0x7c01
	s_mov_b32 s22, exec_lo
	v_cmpx_ne_u32_e32 0x7f, v42
	s_cbranch_execz .LBB245_229
; %bb.226:                              ;   in Loop: Header=BB245_191 Depth=1
	v_and_b32_e32 v39, 7, v10
	v_lshrrev_b32_e32 v41, 3, v42
	s_mov_b32 s23, exec_lo
	v_cmpx_gt_u32_e32 8, v42
; %bb.227:                              ;   in Loop: Header=BB245_191 Depth=1
	v_ffbh_u32_e32 v39, v39
	v_min_u32_e32 v39, 32, v39
	v_subrev_nc_u32_e32 v41, 28, v39
	v_lshlrev_b64 v[42:43], v41, v[1:2]
	v_sub_nc_u32_e32 v41, 29, v39
	v_and_b32_e32 v39, 7, v42
; %bb.228:                              ;   in Loop: Header=BB245_191 Depth=1
	s_or_b32 exec_lo, exec_lo, s23
	v_lshlrev_b32_e32 v42, 8, v10
	v_lshl_add_u32 v41, v41, 10, 0x2000
	v_lshlrev_b32_e32 v39, 7, v39
	v_and_b32_e32 v42, 0x8000, v42
	v_and_b32_e32 v41, 0xfc00, v41
	v_or3_b32 v39, v42, v41, v39
.LBB245_229:                            ;   in Loop: Header=BB245_191 Depth=1
	s_or_b32 exec_lo, exec_lo, s22
.LBB245_230:                            ;   in Loop: Header=BB245_191 Depth=1
	s_or_b32 exec_lo, exec_lo, s19
.LBB245_231:                            ;   in Loop: Header=BB245_191 Depth=1
	s_or_b32 exec_lo, exec_lo, s1
	v_lshrrev_b16 v1, 8, v1
	v_mov_b32_e32 v42, 0
	v_mov_b32_e32 v41, 0
	s_mov_b32 s1, exec_lo
	v_cmpx_ne_u16_e32 0, v1
	s_cbranch_execz .LBB245_239
; %bb.232:                              ;   in Loop: Header=BB245_191 Depth=1
	v_bfrev_b32_e32 v41, 1
	s_mov_b32 s19, exec_lo
	v_cmpx_ne_u16_e32 0x80, v1
	s_cbranch_execz .LBB245_238
; %bb.233:                              ;   in Loop: Header=BB245_191 Depth=1
	v_and_b32_sdwa v44, v1, v23 dst_sel:DWORD dst_unused:UNUSED_PAD src0_sel:WORD_0 src1_sel:DWORD
	v_mov_b32_e32 v41, 0x7c010000
	s_mov_b32 s22, exec_lo
	v_cmpx_ne_u32_e32 0x7f, v44
	s_cbranch_execz .LBB245_237
; %bb.234:                              ;   in Loop: Header=BB245_191 Depth=1
	v_and_b32_sdwa v41, v1, v24 dst_sel:DWORD dst_unused:UNUSED_PAD src0_sel:WORD_0 src1_sel:DWORD
	v_lshrrev_b32_e32 v43, 3, v44
	s_mov_b32 s23, exec_lo
	v_cmpx_gt_u32_e32 8, v44
; %bb.235:                              ;   in Loop: Header=BB245_191 Depth=1
	v_ffbh_u32_e32 v41, v41
	v_min_u32_e32 v41, 32, v41
	v_subrev_nc_u32_e32 v43, 28, v41
	v_lshlrev_b64 v[44:45], v43, v[1:2]
	v_sub_nc_u32_e32 v43, 29, v41
	v_and_b32_e32 v41, 7, v44
; %bb.236:                              ;   in Loop: Header=BB245_191 Depth=1
	s_or_b32 exec_lo, exec_lo, s23
	v_lshlrev_b32_sdwa v1, v25, v1 dst_sel:DWORD dst_unused:UNUSED_PAD src0_sel:DWORD src1_sel:WORD_0
	v_lshl_add_u32 v43, v43, 10, 0x2000
	v_lshlrev_b32_e32 v41, 23, v41
	v_and_or_b32 v1, 0x8000, v1, v43
	v_lshl_or_b32 v41, v1, 16, v41
.LBB245_237:                            ;   in Loop: Header=BB245_191 Depth=1
	s_or_b32 exec_lo, exec_lo, s22
.LBB245_238:                            ;   in Loop: Header=BB245_191 Depth=1
	s_or_b32 exec_lo, exec_lo, s19
.LBB245_239:                            ;   in Loop: Header=BB245_191 Depth=1
	s_or_b32 exec_lo, exec_lo, s1
	v_lshrrev_b32_e32 v1, 16, v10
	v_cmp_ne_u16_sdwa s0, v1, v2 src0_sel:BYTE_0 src1_sel:DWORD
	s_and_saveexec_b32 s1, s0
	s_cbranch_execz .LBB245_247
; %bb.240:                              ;   in Loop: Header=BB245_191 Depth=1
	v_cmp_ne_u16_sdwa s0, v1, v22 src0_sel:BYTE_0 src1_sel:DWORD
	v_mov_b32_e32 v42, 0x8000
	s_and_saveexec_b32 s19, s0
	s_cbranch_execz .LBB245_246
; %bb.241:                              ;   in Loop: Header=BB245_191 Depth=1
	v_bfe_u32 v44, v10, 16, 7
	v_mov_b32_e32 v42, 0x7c01
	s_mov_b32 s22, exec_lo
	v_cmpx_ne_u32_e32 0x7f, v44
	s_cbranch_execz .LBB245_245
; %bb.242:                              ;   in Loop: Header=BB245_191 Depth=1
	v_and_b32_e32 v42, 7, v1
	v_lshrrev_b32_e32 v43, 3, v44
	s_mov_b32 s23, exec_lo
	v_cmpx_gt_u32_e32 8, v44
; %bb.243:                              ;   in Loop: Header=BB245_191 Depth=1
	v_ffbh_u32_e32 v42, v42
	v_min_u32_e32 v44, 32, v42
	v_subrev_nc_u32_e32 v42, 28, v44
	v_lshlrev_b64 v[42:43], v42, v[1:2]
	v_sub_nc_u32_e32 v43, 29, v44
	v_and_b32_e32 v42, 7, v42
; %bb.244:                              ;   in Loop: Header=BB245_191 Depth=1
	s_or_b32 exec_lo, exec_lo, s23
	v_lshlrev_b32_e32 v1, 8, v1
	v_lshl_add_u32 v43, v43, 10, 0x2000
	v_lshlrev_b32_e32 v42, 7, v42
	v_and_b32_e32 v1, 0x8000, v1
	v_and_b32_e32 v43, 0xfc00, v43
	v_or3_b32 v42, v1, v43, v42
.LBB245_245:                            ;   in Loop: Header=BB245_191 Depth=1
	s_or_b32 exec_lo, exec_lo, s22
.LBB245_246:                            ;   in Loop: Header=BB245_191 Depth=1
	s_or_b32 exec_lo, exec_lo, s19
.LBB245_247:                            ;   in Loop: Header=BB245_191 Depth=1
	s_or_b32 exec_lo, exec_lo, s1
	v_mov_b32_e32 v43, 0
	s_mov_b32 s1, exec_lo
	v_cmpx_lt_u64_e64 s[4:5], v[9:10]
	s_cbranch_execz .LBB245_255
; %bb.248:                              ;   in Loop: Header=BB245_191 Depth=1
	v_lshrrev_b32_e32 v1, 24, v10
	v_bfrev_b32_e32 v43, 1
	s_mov_b32 s19, exec_lo
	v_cmpx_ne_u32_e32 0x80, v1
	s_cbranch_execz .LBB245_254
; %bb.249:                              ;   in Loop: Header=BB245_191 Depth=1
	v_and_b32_e32 v44, 0x7f, v1
	v_mov_b32_e32 v43, 0x7c010000
	s_mov_b32 s22, exec_lo
	v_cmpx_ne_u32_e32 0x7f, v44
	s_cbranch_execz .LBB245_253
; %bb.250:                              ;   in Loop: Header=BB245_191 Depth=1
	v_and_b32_e32 v9, 7, v1
	v_lshrrev_b32_e32 v10, 3, v44
	s_mov_b32 s23, exec_lo
	v_cmpx_gt_u32_e32 8, v44
; %bb.251:                              ;   in Loop: Header=BB245_191 Depth=1
	v_ffbh_u32_e32 v9, v9
	v_min_u32_e32 v43, 32, v9
	v_subrev_nc_u32_e32 v9, 28, v43
	v_lshlrev_b64 v[9:10], v9, v[1:2]
	v_sub_nc_u32_e32 v10, 29, v43
	v_and_b32_e32 v9, 7, v9
; %bb.252:                              ;   in Loop: Header=BB245_191 Depth=1
	s_or_b32 exec_lo, exec_lo, s23
	v_lshlrev_b32_e32 v1, 8, v1
	v_lshl_add_u32 v10, v10, 10, 0x2000
	v_lshlrev_b32_e32 v9, 23, v9
	v_and_or_b32 v1, 0x8000, v1, v10
	v_lshl_or_b32 v43, v1, 16, v9
.LBB245_253:                            ;   in Loop: Header=BB245_191 Depth=1
	s_or_b32 exec_lo, exec_lo, s22
.LBB245_254:                            ;   in Loop: Header=BB245_191 Depth=1
	s_or_b32 exec_lo, exec_lo, s19
.LBB245_255:                            ;   in Loop: Header=BB245_191 Depth=1
	s_or_b32 exec_lo, exec_lo, s1
	v_or_b32_e32 v1, v40, v38
	s_waitcnt vmcnt(0)
	v_fma_mixlo_f16 v10, v35, v40, 0 op_sel:[0,1,0] op_sel_hi:[0,1,0]
	v_or_b32_e32 v36, v37, v36
	v_fma_mixlo_f16 v37, v35, v37, 0 op_sel:[0,1,0] op_sel_hi:[0,1,0]
	v_or_b32_e32 v40, v41, v39
	v_or_b32_e32 v42, v43, v42
	v_fma_mixlo_f16 v38, v35, v1, 0 op_sel_hi:[0,1,0]
	v_lshlrev_b32_e32 v1, 16, v10
	v_lshlrev_b32_e32 v39, 16, v37
	v_fma_mixlo_f16 v10, v35, v36, 0 op_sel_hi:[0,1,0]
	v_fma_mixlo_f16 v36, v35, v41, 0 op_sel:[0,1,0] op_sel_hi:[0,1,0]
	v_fma_mixlo_f16 v37, v35, v40, 0 op_sel_hi:[0,1,0]
	v_fma_mixlo_f16 v40, v35, v43, 0 op_sel:[0,1,0] op_sel_hi:[0,1,0]
	v_fma_mixlo_f16 v41, v35, v42, 0 op_sel_hi:[0,1,0]
	v_and_b32_e32 v38, 0xffff, v38
	v_and_b32_e32 v44, 0xffff, v10
	v_lshlrev_b32_e32 v35, 16, v36
	v_and_b32_e32 v37, 0xffff, v37
	v_lshlrev_b32_e32 v10, 16, v40
	v_and_b32_e32 v36, 0xffff, v41
	v_add_nc_u32_e32 v9, -7, v20
	v_cmp_eq_u32_e64 s0, s17, v26
	v_or_b32_e32 v40, v1, v38
	v_or_b32_e32 v41, v39, v44
	;; [unrolled: 1-line block ×4, first 2 shown]
	s_and_saveexec_b32 s19, s0
	s_cbranch_execz .LBB245_257
; %bb.256:                              ;   in Loop: Header=BB245_191 Depth=1
	v_add_nc_u32_e32 v40, -6, v20
	v_cmp_gt_i32_e64 s1, s11, v9
	v_add_nc_u32_e32 v41, -5, v20
	v_add_nc_u32_e32 v43, -2, v20
	v_cndmask_b32_e64 v42, 0, v44, s1
	v_cmp_gt_i32_e64 s1, s11, v40
	v_add_nc_u32_e32 v40, -4, v20
	v_cndmask_b32_e64 v39, 0, v39, s1
	v_cmp_gt_i32_e64 s1, s11, v41
	;; [unrolled: 3-line block ×4, first 2 shown]
	v_or_b32_e32 v41, v39, v42
	v_cndmask_b32_e64 v37, 0, v37, s1
	v_cmp_gt_i32_e64 s1, s11, v43
	v_cndmask_b32_e64 v35, 0, v35, s1
	v_cmp_gt_i32_e64 s1, s11, v40
	v_or_b32_e32 v40, v1, v38
	v_or_b32_e32 v42, v35, v37
	v_cndmask_b32_e64 v36, 0, v36, s1
	v_cmp_gt_i32_e64 s1, s11, v20
	v_cndmask_b32_e64 v10, 0, v10, s1
	v_or_b32_e32 v43, v10, v36
.LBB245_257:                            ;   in Loop: Header=BB245_191 Depth=1
	s_or_b32 exec_lo, exec_lo, s19
	v_and_b32_e32 v1, 0xffff, v30
	v_and_b32_e32 v10, 0xffff, v31
	;; [unrolled: 1-line block ×4, first 2 shown]
	v_lshl_or_b32 v31, v27, 16, v1
	;;#ASMSTART
	v_pk_mul_f16 v1, v31, v41;

	;;#ASMEND
	v_lshl_or_b32 v30, v28, 16, v10
	v_lshl_or_b32 v29, v29, 16, v33
	;; [unrolled: 1-line block ×3, first 2 shown]
	;;#ASMSTART
	v_pk_mul_f16 v10, v30, v40;

	;;#ASMEND
	;;#ASMSTART
	v_pk_mul_f16 v27, v29, v42;

	;;#ASMEND
	;; [unrolled: 4-line block ×3, first 2 shown]
	;;#ASMSTART
	v_pk_add_f16 v1, v1, v10;

	;;#ASMEND
	;;#ASMSTART
	v_pk_add_f16 v1, v1, v27;

	;;#ASMEND
	;; [unrolled: 4-line block ×3, first 2 shown]
	v_and_b32_e32 v10, 0xffff, v1
	v_lshrrev_b32_e32 v1, 16, v1
	;;#ASMSTART
	v_cvt_f32_f16 v10, v10;
	;;#ASMEND
	;;#ASMSTART
	v_cvt_f32_f16 v27, v1;
	;;#ASMEND
	global_load_dwordx2 v[7:8], v[7:8], off offset:256
	v_mov_b32_e32 v33, 0
	v_mov_b32_e32 v34, 0
	global_load_dword v32, v33, s[14:15]
	s_waitcnt vmcnt(1)
	v_cmp_ne_u16_sdwa s1, v7, v2 src0_sel:BYTE_0 src1_sel:DWORD
	s_and_saveexec_b32 s19, s1
	s_cbranch_execz .LBB245_265
; %bb.258:                              ;   in Loop: Header=BB245_191 Depth=1
	v_cmp_ne_u16_sdwa s1, v7, v22 src0_sel:BYTE_0 src1_sel:DWORD
	v_mov_b32_e32 v34, 0x8000
	s_and_saveexec_b32 s22, s1
	s_cbranch_execz .LBB245_264
; %bb.259:                              ;   in Loop: Header=BB245_191 Depth=1
	v_and_b32_e32 v35, 0x7f, v7
	v_mov_b32_e32 v34, 0x7c01
	s_mov_b32 s23, exec_lo
	v_cmpx_ne_u32_e32 0x7f, v35
	s_cbranch_execz .LBB245_263
; %bb.260:                              ;   in Loop: Header=BB245_191 Depth=1
	v_and_b32_e32 v1, 7, v7
	v_lshrrev_b32_e32 v34, 3, v35
	s_mov_b32 s24, exec_lo
	v_cmpx_gt_u32_e32 8, v35
; %bb.261:                              ;   in Loop: Header=BB245_191 Depth=1
	v_ffbh_u32_e32 v1, v1
	v_min_u32_e32 v1, 32, v1
	v_subrev_nc_u32_e32 v34, 28, v1
	v_lshlrev_b64 v[35:36], v34, v[7:8]
	v_sub_nc_u32_e32 v34, 29, v1
	v_and_b32_e32 v1, 7, v35
; %bb.262:                              ;   in Loop: Header=BB245_191 Depth=1
	s_or_b32 exec_lo, exec_lo, s24
	v_lshlrev_b32_e32 v35, 8, v7
	v_lshl_add_u32 v34, v34, 10, 0x2000
	v_lshlrev_b32_e32 v1, 7, v1
	v_and_b32_e32 v35, 0x8000, v35
	v_and_b32_e32 v34, 0xfc00, v34
	v_or3_b32 v34, v35, v34, v1
.LBB245_263:                            ;   in Loop: Header=BB245_191 Depth=1
	s_or_b32 exec_lo, exec_lo, s23
.LBB245_264:                            ;   in Loop: Header=BB245_191 Depth=1
	s_or_b32 exec_lo, exec_lo, s22
.LBB245_265:                            ;   in Loop: Header=BB245_191 Depth=1
	s_or_b32 exec_lo, exec_lo, s19
	v_lshrrev_b16 v1, 8, v7
	s_mov_b32 s19, exec_lo
	v_cmpx_ne_u16_e32 0, v1
	s_cbranch_execz .LBB245_273
; %bb.266:                              ;   in Loop: Header=BB245_191 Depth=1
	v_bfrev_b32_e32 v33, 1
	s_mov_b32 s22, exec_lo
	v_cmpx_ne_u16_e32 0x80, v1
	s_cbranch_execz .LBB245_272
; %bb.267:                              ;   in Loop: Header=BB245_191 Depth=1
	v_and_b32_sdwa v36, v1, v23 dst_sel:DWORD dst_unused:UNUSED_PAD src0_sel:WORD_0 src1_sel:DWORD
	v_mov_b32_e32 v33, 0x7c010000
	s_mov_b32 s23, exec_lo
	v_cmpx_ne_u32_e32 0x7f, v36
	s_cbranch_execz .LBB245_271
; %bb.268:                              ;   in Loop: Header=BB245_191 Depth=1
	v_and_b32_sdwa v33, v1, v24 dst_sel:DWORD dst_unused:UNUSED_PAD src0_sel:WORD_0 src1_sel:DWORD
	v_lshrrev_b32_e32 v35, 3, v36
	s_mov_b32 s24, exec_lo
	v_cmpx_gt_u32_e32 8, v36
; %bb.269:                              ;   in Loop: Header=BB245_191 Depth=1
	v_ffbh_u32_e32 v33, v33
	v_min_u32_e32 v33, 32, v33
	v_subrev_nc_u32_e32 v35, 28, v33
	v_lshlrev_b64 v[36:37], v35, v[1:2]
	v_sub_nc_u32_e32 v35, 29, v33
	v_and_b32_e32 v33, 7, v36
; %bb.270:                              ;   in Loop: Header=BB245_191 Depth=1
	s_or_b32 exec_lo, exec_lo, s24
	v_lshlrev_b32_sdwa v1, v25, v1 dst_sel:DWORD dst_unused:UNUSED_PAD src0_sel:DWORD src1_sel:WORD_0
	v_lshl_add_u32 v35, v35, 10, 0x2000
	v_lshlrev_b32_e32 v33, 23, v33
	v_and_or_b32 v1, 0x8000, v1, v35
	v_lshl_or_b32 v33, v1, 16, v33
.LBB245_271:                            ;   in Loop: Header=BB245_191 Depth=1
	s_or_b32 exec_lo, exec_lo, s23
.LBB245_272:                            ;   in Loop: Header=BB245_191 Depth=1
	s_or_b32 exec_lo, exec_lo, s22
.LBB245_273:                            ;   in Loop: Header=BB245_191 Depth=1
	s_or_b32 exec_lo, exec_lo, s19
	v_lshrrev_b32_e32 v1, 16, v7
	v_mov_b32_e32 v35, 0
	v_mov_b32_e32 v36, 0
	v_cmp_ne_u16_sdwa s1, v1, v2 src0_sel:BYTE_0 src1_sel:DWORD
	s_and_saveexec_b32 s19, s1
	s_cbranch_execz .LBB245_281
; %bb.274:                              ;   in Loop: Header=BB245_191 Depth=1
	v_cmp_ne_u16_sdwa s1, v1, v22 src0_sel:BYTE_0 src1_sel:DWORD
	v_mov_b32_e32 v36, 0x8000
	s_and_saveexec_b32 s22, s1
	s_cbranch_execz .LBB245_280
; %bb.275:                              ;   in Loop: Header=BB245_191 Depth=1
	v_bfe_u32 v38, v7, 16, 7
	v_mov_b32_e32 v36, 0x7c01
	s_mov_b32 s23, exec_lo
	v_cmpx_ne_u32_e32 0x7f, v38
	s_cbranch_execz .LBB245_279
; %bb.276:                              ;   in Loop: Header=BB245_191 Depth=1
	v_and_b32_e32 v36, 7, v1
	v_lshrrev_b32_e32 v37, 3, v38
	s_mov_b32 s24, exec_lo
	v_cmpx_gt_u32_e32 8, v38
; %bb.277:                              ;   in Loop: Header=BB245_191 Depth=1
	v_ffbh_u32_e32 v36, v36
	v_min_u32_e32 v38, 32, v36
	v_subrev_nc_u32_e32 v36, 28, v38
	v_lshlrev_b64 v[36:37], v36, v[1:2]
	v_sub_nc_u32_e32 v37, 29, v38
	v_and_b32_e32 v36, 7, v36
; %bb.278:                              ;   in Loop: Header=BB245_191 Depth=1
	s_or_b32 exec_lo, exec_lo, s24
	v_lshlrev_b32_e32 v1, 8, v1
	v_lshl_add_u32 v37, v37, 10, 0x2000
	v_lshlrev_b32_e32 v36, 7, v36
	v_and_b32_e32 v1, 0x8000, v1
	v_and_b32_e32 v37, 0xfc00, v37
	v_or3_b32 v36, v1, v37, v36
.LBB245_279:                            ;   in Loop: Header=BB245_191 Depth=1
	s_or_b32 exec_lo, exec_lo, s23
.LBB245_280:                            ;   in Loop: Header=BB245_191 Depth=1
	s_or_b32 exec_lo, exec_lo, s22
.LBB245_281:                            ;   in Loop: Header=BB245_191 Depth=1
	s_or_b32 exec_lo, exec_lo, s19
	s_mov_b32 s19, exec_lo
	v_cmpx_lt_u32_e32 0xffffff, v7
	s_cbranch_execz .LBB245_289
; %bb.282:                              ;   in Loop: Header=BB245_191 Depth=1
	v_lshrrev_b32_e32 v1, 24, v7
	v_bfrev_b32_e32 v35, 1
	s_mov_b32 s22, exec_lo
	v_cmpx_ne_u32_e32 0x80, v1
	s_cbranch_execz .LBB245_288
; %bb.283:                              ;   in Loop: Header=BB245_191 Depth=1
	v_and_b32_e32 v38, 0x7f, v1
	v_mov_b32_e32 v35, 0x7c010000
	s_mov_b32 s23, exec_lo
	v_cmpx_ne_u32_e32 0x7f, v38
	s_cbranch_execz .LBB245_287
; %bb.284:                              ;   in Loop: Header=BB245_191 Depth=1
	v_and_b32_e32 v35, 7, v1
	v_lshrrev_b32_e32 v37, 3, v38
	s_mov_b32 s24, exec_lo
	v_cmpx_gt_u32_e32 8, v38
; %bb.285:                              ;   in Loop: Header=BB245_191 Depth=1
	v_ffbh_u32_e32 v35, v35
	v_min_u32_e32 v35, 32, v35
	v_subrev_nc_u32_e32 v37, 28, v35
	v_lshlrev_b64 v[38:39], v37, v[1:2]
	v_sub_nc_u32_e32 v37, 29, v35
	v_and_b32_e32 v35, 7, v38
; %bb.286:                              ;   in Loop: Header=BB245_191 Depth=1
	s_or_b32 exec_lo, exec_lo, s24
	v_lshlrev_b32_e32 v1, 8, v1
	v_lshl_add_u32 v37, v37, 10, 0x2000
	v_lshlrev_b32_e32 v35, 23, v35
	v_and_or_b32 v1, 0x8000, v1, v37
	v_lshl_or_b32 v35, v1, 16, v35
.LBB245_287:                            ;   in Loop: Header=BB245_191 Depth=1
	s_or_b32 exec_lo, exec_lo, s23
.LBB245_288:                            ;   in Loop: Header=BB245_191 Depth=1
	s_or_b32 exec_lo, exec_lo, s22
.LBB245_289:                            ;   in Loop: Header=BB245_191 Depth=1
	s_or_b32 exec_lo, exec_lo, s19
	v_mov_b32_e32 v1, v8
	v_cmp_ne_u16_sdwa s1, v8, v2 src0_sel:BYTE_0 src1_sel:DWORD
	v_mov_b32_e32 v37, 0
	v_mov_b32_e32 v38, 0
	s_and_saveexec_b32 s19, s1
	s_cbranch_execz .LBB245_297
; %bb.290:                              ;   in Loop: Header=BB245_191 Depth=1
	v_cmp_ne_u16_sdwa s1, v8, v22 src0_sel:BYTE_0 src1_sel:DWORD
	v_mov_b32_e32 v38, 0x8000
	s_and_saveexec_b32 s22, s1
	s_cbranch_execz .LBB245_296
; %bb.291:                              ;   in Loop: Header=BB245_191 Depth=1
	v_and_b32_e32 v40, 0x7f, v8
	v_mov_b32_e32 v38, 0x7c01
	s_mov_b32 s23, exec_lo
	v_cmpx_ne_u32_e32 0x7f, v40
	s_cbranch_execz .LBB245_295
; %bb.292:                              ;   in Loop: Header=BB245_191 Depth=1
	v_and_b32_e32 v38, 7, v8
	v_lshrrev_b32_e32 v39, 3, v40
	s_mov_b32 s24, exec_lo
	v_cmpx_gt_u32_e32 8, v40
; %bb.293:                              ;   in Loop: Header=BB245_191 Depth=1
	v_ffbh_u32_e32 v38, v38
	v_min_u32_e32 v40, 32, v38
	v_subrev_nc_u32_e32 v38, 28, v40
	v_lshlrev_b64 v[38:39], v38, v[1:2]
	v_sub_nc_u32_e32 v39, 29, v40
	v_and_b32_e32 v38, 7, v38
; %bb.294:                              ;   in Loop: Header=BB245_191 Depth=1
	s_or_b32 exec_lo, exec_lo, s24
	v_lshlrev_b32_e32 v40, 8, v8
	v_lshl_add_u32 v39, v39, 10, 0x2000
	v_lshlrev_b32_e32 v38, 7, v38
	v_and_b32_e32 v40, 0x8000, v40
	v_and_b32_e32 v39, 0xfc00, v39
	v_or3_b32 v38, v40, v39, v38
.LBB245_295:                            ;   in Loop: Header=BB245_191 Depth=1
	s_or_b32 exec_lo, exec_lo, s23
.LBB245_296:                            ;   in Loop: Header=BB245_191 Depth=1
	s_or_b32 exec_lo, exec_lo, s22
.LBB245_297:                            ;   in Loop: Header=BB245_191 Depth=1
	s_or_b32 exec_lo, exec_lo, s19
	v_lshrrev_b16 v1, 8, v1
	v_mov_b32_e32 v39, 0
	s_mov_b32 s19, exec_lo
	v_cmpx_ne_u16_e32 0, v1
	s_cbranch_execz .LBB245_305
; %bb.298:                              ;   in Loop: Header=BB245_191 Depth=1
	v_bfrev_b32_e32 v39, 1
	s_mov_b32 s22, exec_lo
	v_cmpx_ne_u16_e32 0x80, v1
	s_cbranch_execz .LBB245_304
; %bb.299:                              ;   in Loop: Header=BB245_191 Depth=1
	v_and_b32_sdwa v41, v1, v23 dst_sel:DWORD dst_unused:UNUSED_PAD src0_sel:WORD_0 src1_sel:DWORD
	v_mov_b32_e32 v39, 0x7c010000
	s_mov_b32 s23, exec_lo
	v_cmpx_ne_u32_e32 0x7f, v41
	s_cbranch_execz .LBB245_303
; %bb.300:                              ;   in Loop: Header=BB245_191 Depth=1
	v_and_b32_sdwa v39, v1, v24 dst_sel:DWORD dst_unused:UNUSED_PAD src0_sel:WORD_0 src1_sel:DWORD
	v_lshrrev_b32_e32 v40, 3, v41
	s_mov_b32 s24, exec_lo
	v_cmpx_gt_u32_e32 8, v41
; %bb.301:                              ;   in Loop: Header=BB245_191 Depth=1
	v_ffbh_u32_e32 v39, v39
	v_min_u32_e32 v41, 32, v39
	v_subrev_nc_u32_e32 v39, 28, v41
	v_lshlrev_b64 v[39:40], v39, v[1:2]
	v_sub_nc_u32_e32 v40, 29, v41
	v_and_b32_e32 v39, 7, v39
; %bb.302:                              ;   in Loop: Header=BB245_191 Depth=1
	s_or_b32 exec_lo, exec_lo, s24
	v_lshlrev_b32_sdwa v1, v25, v1 dst_sel:DWORD dst_unused:UNUSED_PAD src0_sel:DWORD src1_sel:WORD_0
	v_lshl_add_u32 v40, v40, 10, 0x2000
	v_lshlrev_b32_e32 v39, 23, v39
	v_and_or_b32 v1, 0x8000, v1, v40
	v_lshl_or_b32 v39, v1, 16, v39
.LBB245_303:                            ;   in Loop: Header=BB245_191 Depth=1
	s_or_b32 exec_lo, exec_lo, s23
.LBB245_304:                            ;   in Loop: Header=BB245_191 Depth=1
	s_or_b32 exec_lo, exec_lo, s22
.LBB245_305:                            ;   in Loop: Header=BB245_191 Depth=1
	s_or_b32 exec_lo, exec_lo, s19
	v_lshrrev_b32_e32 v1, 16, v8
	v_cmp_ne_u16_sdwa s1, v1, v2 src0_sel:BYTE_0 src1_sel:DWORD
	s_and_saveexec_b32 s19, s1
	s_cbranch_execz .LBB245_313
; %bb.306:                              ;   in Loop: Header=BB245_191 Depth=1
	v_cmp_ne_u16_sdwa s1, v1, v22 src0_sel:BYTE_0 src1_sel:DWORD
	v_mov_b32_e32 v37, 0x8000
	s_and_saveexec_b32 s22, s1
	s_cbranch_execz .LBB245_312
; %bb.307:                              ;   in Loop: Header=BB245_191 Depth=1
	v_bfe_u32 v41, v8, 16, 7
	v_mov_b32_e32 v37, 0x7c01
	s_mov_b32 s23, exec_lo
	v_cmpx_ne_u32_e32 0x7f, v41
	s_cbranch_execz .LBB245_311
; %bb.308:                              ;   in Loop: Header=BB245_191 Depth=1
	v_and_b32_e32 v37, 7, v1
	v_lshrrev_b32_e32 v40, 3, v41
	s_mov_b32 s24, exec_lo
	v_cmpx_gt_u32_e32 8, v41
; %bb.309:                              ;   in Loop: Header=BB245_191 Depth=1
	v_ffbh_u32_e32 v37, v37
	v_min_u32_e32 v37, 32, v37
	v_subrev_nc_u32_e32 v40, 28, v37
	v_lshlrev_b64 v[41:42], v40, v[1:2]
	v_sub_nc_u32_e32 v40, 29, v37
	v_and_b32_e32 v37, 7, v41
; %bb.310:                              ;   in Loop: Header=BB245_191 Depth=1
	s_or_b32 exec_lo, exec_lo, s24
	v_lshlrev_b32_e32 v1, 8, v1
	v_lshl_add_u32 v40, v40, 10, 0x2000
	v_lshlrev_b32_e32 v37, 7, v37
	v_and_b32_e32 v1, 0x8000, v1
	v_and_b32_e32 v40, 0xfc00, v40
	v_or3_b32 v37, v1, v40, v37
.LBB245_311:                            ;   in Loop: Header=BB245_191 Depth=1
	s_or_b32 exec_lo, exec_lo, s23
.LBB245_312:                            ;   in Loop: Header=BB245_191 Depth=1
	s_or_b32 exec_lo, exec_lo, s22
.LBB245_313:                            ;   in Loop: Header=BB245_191 Depth=1
	s_or_b32 exec_lo, exec_lo, s19
	v_cmp_lt_u64_e64 s1, s[4:5], v[7:8]
	v_mov_b32_e32 v7, 0
	s_and_saveexec_b32 s19, s1
	s_cbranch_execz .LBB245_321
; %bb.314:                              ;   in Loop: Header=BB245_191 Depth=1
	v_lshrrev_b32_e32 v1, 24, v8
	v_bfrev_b32_e32 v7, 1
	s_mov_b32 s22, exec_lo
	v_cmpx_ne_u32_e32 0x80, v1
	s_cbranch_execz .LBB245_320
; %bb.315:                              ;   in Loop: Header=BB245_191 Depth=1
	v_and_b32_e32 v40, 0x7f, v1
	v_mov_b32_e32 v7, 0x7c010000
	s_mov_b32 s23, exec_lo
	v_cmpx_ne_u32_e32 0x7f, v40
	s_cbranch_execz .LBB245_319
; %bb.316:                              ;   in Loop: Header=BB245_191 Depth=1
	v_and_b32_e32 v7, 7, v1
	v_lshrrev_b32_e32 v8, 3, v40
	s_mov_b32 s24, exec_lo
	v_cmpx_gt_u32_e32 8, v40
; %bb.317:                              ;   in Loop: Header=BB245_191 Depth=1
	v_ffbh_u32_e32 v7, v7
	v_min_u32_e32 v40, 32, v7
	v_subrev_nc_u32_e32 v7, 28, v40
	v_lshlrev_b64 v[7:8], v7, v[1:2]
	v_sub_nc_u32_e32 v8, 29, v40
	v_and_b32_e32 v7, 7, v7
; %bb.318:                              ;   in Loop: Header=BB245_191 Depth=1
	s_or_b32 exec_lo, exec_lo, s24
	v_lshlrev_b32_e32 v1, 8, v1
	v_lshl_add_u32 v8, v8, 10, 0x2000
	v_lshlrev_b32_e32 v7, 23, v7
	v_and_or_b32 v1, 0x8000, v1, v8
	v_lshl_or_b32 v7, v1, 16, v7
.LBB245_319:                            ;   in Loop: Header=BB245_191 Depth=1
	s_or_b32 exec_lo, exec_lo, s23
.LBB245_320:                            ;   in Loop: Header=BB245_191 Depth=1
	s_or_b32 exec_lo, exec_lo, s22
.LBB245_321:                            ;   in Loop: Header=BB245_191 Depth=1
	s_or_b32 exec_lo, exec_lo, s19
	v_or_b32_e32 v1, v35, v36
	s_waitcnt vmcnt(0)
	v_fma_mixlo_f16 v8, v32, v35, 0 op_sel:[0,1,0] op_sel_hi:[0,1,0]
	v_or_b32_e32 v34, v33, v34
	v_fma_mixlo_f16 v33, v32, v33, 0 op_sel:[0,1,0] op_sel_hi:[0,1,0]
	v_or_b32_e32 v36, v39, v38
	v_or_b32_e32 v37, v7, v37
	v_fma_mixlo_f16 v38, v32, v1, 0 op_sel_hi:[0,1,0]
	v_lshlrev_b32_e32 v1, 16, v8
	v_lshlrev_b32_e32 v35, 16, v33
	v_fma_mixlo_f16 v8, v32, v34, 0 op_sel_hi:[0,1,0]
	v_fma_mixlo_f16 v33, v32, v39, 0 op_sel:[0,1,0] op_sel_hi:[0,1,0]
	v_fma_mixlo_f16 v36, v32, v36, 0 op_sel_hi:[0,1,0]
	v_fma_mixlo_f16 v7, v32, v7, 0 op_sel:[0,1,0] op_sel_hi:[0,1,0]
	v_fma_mixlo_f16 v32, v32, v37, 0 op_sel_hi:[0,1,0]
	v_and_b32_e32 v34, 0xffff, v38
	v_and_b32_e32 v39, 0xffff, v8
	v_lshlrev_b32_e32 v8, 16, v33
	v_and_b32_e32 v33, 0xffff, v36
	v_lshlrev_b32_e32 v7, 16, v7
	v_and_b32_e32 v32, 0xffff, v32
	v_or_b32_e32 v36, v1, v34
	v_or_b32_e32 v40, v35, v39
	v_or_b32_e32 v38, v8, v33
	v_or_b32_e32 v37, v7, v32
	s_and_saveexec_b32 s19, s0
	s_cbranch_execz .LBB245_323
; %bb.322:                              ;   in Loop: Header=BB245_191 Depth=1
	v_add_nc_u32_e32 v36, -6, v20
	v_cmp_gt_i32_e64 s1, s11, v9
	v_add_nc_u32_e32 v37, -5, v20
	v_cndmask_b32_e64 v38, 0, v39, s1
	v_cmp_gt_i32_e64 s1, s11, v36
	v_add_nc_u32_e32 v36, -4, v20
	v_add_nc_u32_e32 v39, -2, v20
	v_cndmask_b32_e64 v35, 0, v35, s1
	v_cmp_gt_i32_e64 s1, s11, v37
	v_add_nc_u32_e32 v37, -3, v20
	v_or_b32_e32 v40, v35, v38
	v_cndmask_b32_e64 v34, 0, v34, s1
	v_cmp_gt_i32_e64 s1, s11, v36
	v_add_nc_u32_e32 v36, -1, v20
	v_cndmask_b32_e64 v1, 0, v1, s1
	v_cmp_gt_i32_e64 s1, s11, v37
	v_cndmask_b32_e64 v33, 0, v33, s1
	v_cmp_gt_i32_e64 s1, s11, v39
	;; [unrolled: 2-line block ×3, first 2 shown]
	v_or_b32_e32 v36, v1, v34
	v_or_b32_e32 v38, v8, v33
	v_cndmask_b32_e64 v32, 0, v32, s1
	v_cmp_gt_i32_e64 s1, s11, v20
	v_cndmask_b32_e64 v7, 0, v7, s1
	v_or_b32_e32 v37, v7, v32
.LBB245_323:                            ;   in Loop: Header=BB245_191 Depth=1
	s_or_b32 exec_lo, exec_lo, s19
	;;#ASMSTART
	v_pk_mul_f16 v1, v31, v40;

	;;#ASMEND
	;;#ASMSTART
	v_pk_mul_f16 v7, v30, v36;

	;;#ASMEND
	;; [unrolled: 4-line block ×4, first 2 shown]
	;;#ASMSTART
	v_pk_add_f16 v1, v1, v7;

	;;#ASMEND
	;;#ASMSTART
	v_pk_add_f16 v1, v1, v8;

	;;#ASMEND
	;; [unrolled: 4-line block ×3, first 2 shown]
	v_and_b32_e32 v7, 0xffff, v1
	v_lshrrev_b32_e32 v1, 16, v1
	;;#ASMSTART
	v_cvt_f32_f16 v7, v7;
	;;#ASMEND
	;;#ASMSTART
	v_cvt_f32_f16 v8, v1;
	;;#ASMEND
	s_and_saveexec_b32 s19, vcc_lo
	s_cbranch_execz .LBB245_190
; %bb.324:                              ;   in Loop: Header=BB245_191 Depth=1
	v_add_co_u32 v5, s1, v5, v19
	v_add_co_ci_u32_e64 v6, null, 0, v6, s1
	v_mov_b32_e32 v33, 0
	v_mov_b32_e32 v34, 0
	global_load_dwordx2 v[5:6], v[5:6], off
	global_load_dword v32, v33, s[14:15]
	s_waitcnt vmcnt(1)
	v_cmp_ne_u16_sdwa s1, v5, v2 src0_sel:BYTE_0 src1_sel:DWORD
	s_and_saveexec_b32 s22, s1
	s_cbranch_execz .LBB245_332
; %bb.325:                              ;   in Loop: Header=BB245_191 Depth=1
	v_cmp_ne_u16_sdwa s1, v5, v22 src0_sel:BYTE_0 src1_sel:DWORD
	v_mov_b32_e32 v34, 0x8000
	s_and_saveexec_b32 s23, s1
	s_cbranch_execz .LBB245_331
; %bb.326:                              ;   in Loop: Header=BB245_191 Depth=1
	v_and_b32_e32 v35, 0x7f, v5
	v_mov_b32_e32 v34, 0x7c01
	s_mov_b32 s24, exec_lo
	v_cmpx_ne_u32_e32 0x7f, v35
	s_cbranch_execz .LBB245_330
; %bb.327:                              ;   in Loop: Header=BB245_191 Depth=1
	v_and_b32_e32 v1, 7, v5
	v_lshrrev_b32_e32 v34, 3, v35
	s_mov_b32 s25, exec_lo
	v_cmpx_gt_u32_e32 8, v35
; %bb.328:                              ;   in Loop: Header=BB245_191 Depth=1
	v_ffbh_u32_e32 v1, v1
	v_min_u32_e32 v1, 32, v1
	v_subrev_nc_u32_e32 v34, 28, v1
	v_lshlrev_b64 v[35:36], v34, v[5:6]
	v_sub_nc_u32_e32 v34, 29, v1
	v_and_b32_e32 v1, 7, v35
; %bb.329:                              ;   in Loop: Header=BB245_191 Depth=1
	s_or_b32 exec_lo, exec_lo, s25
	v_lshlrev_b32_e32 v35, 8, v5
	v_lshl_add_u32 v34, v34, 10, 0x2000
	v_lshlrev_b32_e32 v1, 7, v1
	v_and_b32_e32 v35, 0x8000, v35
	v_and_b32_e32 v34, 0xfc00, v34
	v_or3_b32 v34, v35, v34, v1
.LBB245_330:                            ;   in Loop: Header=BB245_191 Depth=1
	s_or_b32 exec_lo, exec_lo, s24
.LBB245_331:                            ;   in Loop: Header=BB245_191 Depth=1
	s_or_b32 exec_lo, exec_lo, s23
.LBB245_332:                            ;   in Loop: Header=BB245_191 Depth=1
	s_or_b32 exec_lo, exec_lo, s22
	v_lshrrev_b16 v1, 8, v5
	s_mov_b32 s22, exec_lo
	v_cmpx_ne_u16_e32 0, v1
	s_cbranch_execz .LBB245_340
; %bb.333:                              ;   in Loop: Header=BB245_191 Depth=1
	v_bfrev_b32_e32 v33, 1
	s_mov_b32 s23, exec_lo
	v_cmpx_ne_u16_e32 0x80, v1
	s_cbranch_execz .LBB245_339
; %bb.334:                              ;   in Loop: Header=BB245_191 Depth=1
	v_and_b32_sdwa v36, v1, v23 dst_sel:DWORD dst_unused:UNUSED_PAD src0_sel:WORD_0 src1_sel:DWORD
	v_mov_b32_e32 v33, 0x7c010000
	s_mov_b32 s24, exec_lo
	v_cmpx_ne_u32_e32 0x7f, v36
	s_cbranch_execz .LBB245_338
; %bb.335:                              ;   in Loop: Header=BB245_191 Depth=1
	v_and_b32_sdwa v33, v1, v24 dst_sel:DWORD dst_unused:UNUSED_PAD src0_sel:WORD_0 src1_sel:DWORD
	v_lshrrev_b32_e32 v35, 3, v36
	s_mov_b32 s25, exec_lo
	v_cmpx_gt_u32_e32 8, v36
; %bb.336:                              ;   in Loop: Header=BB245_191 Depth=1
	v_ffbh_u32_e32 v33, v33
	v_min_u32_e32 v33, 32, v33
	v_subrev_nc_u32_e32 v35, 28, v33
	v_lshlrev_b64 v[36:37], v35, v[1:2]
	v_sub_nc_u32_e32 v35, 29, v33
	v_and_b32_e32 v33, 7, v36
; %bb.337:                              ;   in Loop: Header=BB245_191 Depth=1
	s_or_b32 exec_lo, exec_lo, s25
	v_lshlrev_b32_sdwa v1, v25, v1 dst_sel:DWORD dst_unused:UNUSED_PAD src0_sel:DWORD src1_sel:WORD_0
	v_lshl_add_u32 v35, v35, 10, 0x2000
	v_lshlrev_b32_e32 v33, 23, v33
	v_and_or_b32 v1, 0x8000, v1, v35
	v_lshl_or_b32 v33, v1, 16, v33
.LBB245_338:                            ;   in Loop: Header=BB245_191 Depth=1
	s_or_b32 exec_lo, exec_lo, s24
.LBB245_339:                            ;   in Loop: Header=BB245_191 Depth=1
	s_or_b32 exec_lo, exec_lo, s23
.LBB245_340:                            ;   in Loop: Header=BB245_191 Depth=1
	s_or_b32 exec_lo, exec_lo, s22
	v_lshrrev_b32_e32 v1, 16, v5
	v_mov_b32_e32 v35, 0
	v_mov_b32_e32 v36, 0
	v_cmp_ne_u16_sdwa s1, v1, v2 src0_sel:BYTE_0 src1_sel:DWORD
	s_and_saveexec_b32 s22, s1
	s_cbranch_execz .LBB245_348
; %bb.341:                              ;   in Loop: Header=BB245_191 Depth=1
	v_cmp_ne_u16_sdwa s1, v1, v22 src0_sel:BYTE_0 src1_sel:DWORD
	v_mov_b32_e32 v36, 0x8000
	s_and_saveexec_b32 s23, s1
	s_cbranch_execz .LBB245_347
; %bb.342:                              ;   in Loop: Header=BB245_191 Depth=1
	v_bfe_u32 v38, v5, 16, 7
	v_mov_b32_e32 v36, 0x7c01
	s_mov_b32 s24, exec_lo
	v_cmpx_ne_u32_e32 0x7f, v38
	s_cbranch_execz .LBB245_346
; %bb.343:                              ;   in Loop: Header=BB245_191 Depth=1
	v_and_b32_e32 v36, 7, v1
	v_lshrrev_b32_e32 v37, 3, v38
	s_mov_b32 s25, exec_lo
	v_cmpx_gt_u32_e32 8, v38
; %bb.344:                              ;   in Loop: Header=BB245_191 Depth=1
	v_ffbh_u32_e32 v36, v36
	v_min_u32_e32 v38, 32, v36
	v_subrev_nc_u32_e32 v36, 28, v38
	v_lshlrev_b64 v[36:37], v36, v[1:2]
	v_sub_nc_u32_e32 v37, 29, v38
	v_and_b32_e32 v36, 7, v36
; %bb.345:                              ;   in Loop: Header=BB245_191 Depth=1
	s_or_b32 exec_lo, exec_lo, s25
	v_lshlrev_b32_e32 v1, 8, v1
	v_lshl_add_u32 v37, v37, 10, 0x2000
	v_lshlrev_b32_e32 v36, 7, v36
	v_and_b32_e32 v1, 0x8000, v1
	v_and_b32_e32 v37, 0xfc00, v37
	v_or3_b32 v36, v1, v37, v36
.LBB245_346:                            ;   in Loop: Header=BB245_191 Depth=1
	s_or_b32 exec_lo, exec_lo, s24
.LBB245_347:                            ;   in Loop: Header=BB245_191 Depth=1
	s_or_b32 exec_lo, exec_lo, s23
.LBB245_348:                            ;   in Loop: Header=BB245_191 Depth=1
	s_or_b32 exec_lo, exec_lo, s22
	s_mov_b32 s22, exec_lo
	v_cmpx_lt_u32_e32 0xffffff, v5
	s_cbranch_execz .LBB245_356
; %bb.349:                              ;   in Loop: Header=BB245_191 Depth=1
	v_lshrrev_b32_e32 v1, 24, v5
	v_bfrev_b32_e32 v35, 1
	s_mov_b32 s23, exec_lo
	v_cmpx_ne_u32_e32 0x80, v1
	s_cbranch_execz .LBB245_355
; %bb.350:                              ;   in Loop: Header=BB245_191 Depth=1
	v_and_b32_e32 v38, 0x7f, v1
	v_mov_b32_e32 v35, 0x7c010000
	s_mov_b32 s24, exec_lo
	v_cmpx_ne_u32_e32 0x7f, v38
	s_cbranch_execz .LBB245_354
; %bb.351:                              ;   in Loop: Header=BB245_191 Depth=1
	v_and_b32_e32 v35, 7, v1
	v_lshrrev_b32_e32 v37, 3, v38
	s_mov_b32 s25, exec_lo
	v_cmpx_gt_u32_e32 8, v38
; %bb.352:                              ;   in Loop: Header=BB245_191 Depth=1
	v_ffbh_u32_e32 v35, v35
	v_min_u32_e32 v35, 32, v35
	v_subrev_nc_u32_e32 v37, 28, v35
	v_lshlrev_b64 v[38:39], v37, v[1:2]
	v_sub_nc_u32_e32 v37, 29, v35
	v_and_b32_e32 v35, 7, v38
; %bb.353:                              ;   in Loop: Header=BB245_191 Depth=1
	s_or_b32 exec_lo, exec_lo, s25
	v_lshlrev_b32_e32 v1, 8, v1
	v_lshl_add_u32 v37, v37, 10, 0x2000
	v_lshlrev_b32_e32 v35, 23, v35
	v_and_or_b32 v1, 0x8000, v1, v37
	v_lshl_or_b32 v35, v1, 16, v35
.LBB245_354:                            ;   in Loop: Header=BB245_191 Depth=1
	s_or_b32 exec_lo, exec_lo, s24
.LBB245_355:                            ;   in Loop: Header=BB245_191 Depth=1
	s_or_b32 exec_lo, exec_lo, s23
.LBB245_356:                            ;   in Loop: Header=BB245_191 Depth=1
	s_or_b32 exec_lo, exec_lo, s22
	v_mov_b32_e32 v1, v6
	v_cmp_ne_u16_sdwa s1, v6, v2 src0_sel:BYTE_0 src1_sel:DWORD
	v_mov_b32_e32 v37, 0
	v_mov_b32_e32 v38, 0
	s_and_saveexec_b32 s22, s1
	s_cbranch_execz .LBB245_364
; %bb.357:                              ;   in Loop: Header=BB245_191 Depth=1
	v_cmp_ne_u16_sdwa s1, v6, v22 src0_sel:BYTE_0 src1_sel:DWORD
	v_mov_b32_e32 v38, 0x8000
	s_and_saveexec_b32 s23, s1
	s_cbranch_execz .LBB245_363
; %bb.358:                              ;   in Loop: Header=BB245_191 Depth=1
	v_and_b32_e32 v40, 0x7f, v6
	v_mov_b32_e32 v38, 0x7c01
	s_mov_b32 s24, exec_lo
	v_cmpx_ne_u32_e32 0x7f, v40
	s_cbranch_execz .LBB245_362
; %bb.359:                              ;   in Loop: Header=BB245_191 Depth=1
	v_and_b32_e32 v38, 7, v6
	v_lshrrev_b32_e32 v39, 3, v40
	s_mov_b32 s25, exec_lo
	v_cmpx_gt_u32_e32 8, v40
; %bb.360:                              ;   in Loop: Header=BB245_191 Depth=1
	v_ffbh_u32_e32 v38, v38
	v_min_u32_e32 v40, 32, v38
	v_subrev_nc_u32_e32 v38, 28, v40
	v_lshlrev_b64 v[38:39], v38, v[1:2]
	v_sub_nc_u32_e32 v39, 29, v40
	v_and_b32_e32 v38, 7, v38
; %bb.361:                              ;   in Loop: Header=BB245_191 Depth=1
	s_or_b32 exec_lo, exec_lo, s25
	v_lshlrev_b32_e32 v40, 8, v6
	v_lshl_add_u32 v39, v39, 10, 0x2000
	v_lshlrev_b32_e32 v38, 7, v38
	v_and_b32_e32 v40, 0x8000, v40
	v_and_b32_e32 v39, 0xfc00, v39
	v_or3_b32 v38, v40, v39, v38
.LBB245_362:                            ;   in Loop: Header=BB245_191 Depth=1
	s_or_b32 exec_lo, exec_lo, s24
.LBB245_363:                            ;   in Loop: Header=BB245_191 Depth=1
	s_or_b32 exec_lo, exec_lo, s23
.LBB245_364:                            ;   in Loop: Header=BB245_191 Depth=1
	s_or_b32 exec_lo, exec_lo, s22
	v_lshrrev_b16 v1, 8, v1
	v_mov_b32_e32 v39, 0
	s_mov_b32 s22, exec_lo
	v_cmpx_ne_u16_e32 0, v1
	s_cbranch_execz .LBB245_372
; %bb.365:                              ;   in Loop: Header=BB245_191 Depth=1
	v_bfrev_b32_e32 v39, 1
	s_mov_b32 s23, exec_lo
	v_cmpx_ne_u16_e32 0x80, v1
	s_cbranch_execz .LBB245_371
; %bb.366:                              ;   in Loop: Header=BB245_191 Depth=1
	v_and_b32_sdwa v41, v1, v23 dst_sel:DWORD dst_unused:UNUSED_PAD src0_sel:WORD_0 src1_sel:DWORD
	v_mov_b32_e32 v39, 0x7c010000
	s_mov_b32 s24, exec_lo
	v_cmpx_ne_u32_e32 0x7f, v41
	s_cbranch_execz .LBB245_370
; %bb.367:                              ;   in Loop: Header=BB245_191 Depth=1
	v_and_b32_sdwa v39, v1, v24 dst_sel:DWORD dst_unused:UNUSED_PAD src0_sel:WORD_0 src1_sel:DWORD
	v_lshrrev_b32_e32 v40, 3, v41
	s_mov_b32 s25, exec_lo
	v_cmpx_gt_u32_e32 8, v41
; %bb.368:                              ;   in Loop: Header=BB245_191 Depth=1
	v_ffbh_u32_e32 v39, v39
	v_min_u32_e32 v41, 32, v39
	v_subrev_nc_u32_e32 v39, 28, v41
	v_lshlrev_b64 v[39:40], v39, v[1:2]
	v_sub_nc_u32_e32 v40, 29, v41
	v_and_b32_e32 v39, 7, v39
; %bb.369:                              ;   in Loop: Header=BB245_191 Depth=1
	s_or_b32 exec_lo, exec_lo, s25
	v_lshlrev_b32_sdwa v1, v25, v1 dst_sel:DWORD dst_unused:UNUSED_PAD src0_sel:DWORD src1_sel:WORD_0
	v_lshl_add_u32 v40, v40, 10, 0x2000
	v_lshlrev_b32_e32 v39, 23, v39
	v_and_or_b32 v1, 0x8000, v1, v40
	v_lshl_or_b32 v39, v1, 16, v39
.LBB245_370:                            ;   in Loop: Header=BB245_191 Depth=1
	s_or_b32 exec_lo, exec_lo, s24
.LBB245_371:                            ;   in Loop: Header=BB245_191 Depth=1
	s_or_b32 exec_lo, exec_lo, s23
.LBB245_372:                            ;   in Loop: Header=BB245_191 Depth=1
	s_or_b32 exec_lo, exec_lo, s22
	v_lshrrev_b32_e32 v1, 16, v6
	v_cmp_ne_u16_sdwa s1, v1, v2 src0_sel:BYTE_0 src1_sel:DWORD
	s_and_saveexec_b32 s22, s1
	s_cbranch_execz .LBB245_380
; %bb.373:                              ;   in Loop: Header=BB245_191 Depth=1
	v_cmp_ne_u16_sdwa s1, v1, v22 src0_sel:BYTE_0 src1_sel:DWORD
	v_mov_b32_e32 v37, 0x8000
	s_and_saveexec_b32 s23, s1
	s_cbranch_execz .LBB245_379
; %bb.374:                              ;   in Loop: Header=BB245_191 Depth=1
	v_bfe_u32 v41, v6, 16, 7
	v_mov_b32_e32 v37, 0x7c01
	s_mov_b32 s24, exec_lo
	v_cmpx_ne_u32_e32 0x7f, v41
	s_cbranch_execz .LBB245_378
; %bb.375:                              ;   in Loop: Header=BB245_191 Depth=1
	v_and_b32_e32 v37, 7, v1
	v_lshrrev_b32_e32 v40, 3, v41
	s_mov_b32 s25, exec_lo
	v_cmpx_gt_u32_e32 8, v41
; %bb.376:                              ;   in Loop: Header=BB245_191 Depth=1
	v_ffbh_u32_e32 v37, v37
	v_min_u32_e32 v37, 32, v37
	v_subrev_nc_u32_e32 v40, 28, v37
	v_lshlrev_b64 v[41:42], v40, v[1:2]
	v_sub_nc_u32_e32 v40, 29, v37
	v_and_b32_e32 v37, 7, v41
; %bb.377:                              ;   in Loop: Header=BB245_191 Depth=1
	s_or_b32 exec_lo, exec_lo, s25
	v_lshlrev_b32_e32 v1, 8, v1
	v_lshl_add_u32 v40, v40, 10, 0x2000
	v_lshlrev_b32_e32 v37, 7, v37
	v_and_b32_e32 v1, 0x8000, v1
	v_and_b32_e32 v40, 0xfc00, v40
	v_or3_b32 v37, v1, v40, v37
.LBB245_378:                            ;   in Loop: Header=BB245_191 Depth=1
	s_or_b32 exec_lo, exec_lo, s24
.LBB245_379:                            ;   in Loop: Header=BB245_191 Depth=1
	s_or_b32 exec_lo, exec_lo, s23
.LBB245_380:                            ;   in Loop: Header=BB245_191 Depth=1
	s_or_b32 exec_lo, exec_lo, s22
	v_cmp_lt_u64_e64 s1, s[4:5], v[5:6]
	v_mov_b32_e32 v5, 0
	s_and_saveexec_b32 s22, s1
	s_cbranch_execz .LBB245_388
; %bb.381:                              ;   in Loop: Header=BB245_191 Depth=1
	v_lshrrev_b32_e32 v1, 24, v6
	v_bfrev_b32_e32 v5, 1
	s_mov_b32 s23, exec_lo
	v_cmpx_ne_u32_e32 0x80, v1
	s_cbranch_execz .LBB245_387
; %bb.382:                              ;   in Loop: Header=BB245_191 Depth=1
	v_and_b32_e32 v40, 0x7f, v1
	v_mov_b32_e32 v5, 0x7c010000
	s_mov_b32 s24, exec_lo
	v_cmpx_ne_u32_e32 0x7f, v40
	s_cbranch_execz .LBB245_386
; %bb.383:                              ;   in Loop: Header=BB245_191 Depth=1
	v_and_b32_e32 v5, 7, v1
	v_lshrrev_b32_e32 v6, 3, v40
	s_mov_b32 s25, exec_lo
	v_cmpx_gt_u32_e32 8, v40
; %bb.384:                              ;   in Loop: Header=BB245_191 Depth=1
	v_ffbh_u32_e32 v5, v5
	v_min_u32_e32 v40, 32, v5
	v_subrev_nc_u32_e32 v5, 28, v40
	v_lshlrev_b64 v[5:6], v5, v[1:2]
	v_sub_nc_u32_e32 v6, 29, v40
	v_and_b32_e32 v5, 7, v5
; %bb.385:                              ;   in Loop: Header=BB245_191 Depth=1
	s_or_b32 exec_lo, exec_lo, s25
	v_lshlrev_b32_e32 v1, 8, v1
	v_lshl_add_u32 v6, v6, 10, 0x2000
	v_lshlrev_b32_e32 v5, 23, v5
	v_and_or_b32 v1, 0x8000, v1, v6
	v_lshl_or_b32 v5, v1, 16, v5
.LBB245_386:                            ;   in Loop: Header=BB245_191 Depth=1
	s_or_b32 exec_lo, exec_lo, s24
.LBB245_387:                            ;   in Loop: Header=BB245_191 Depth=1
	s_or_b32 exec_lo, exec_lo, s23
.LBB245_388:                            ;   in Loop: Header=BB245_191 Depth=1
	s_or_b32 exec_lo, exec_lo, s22
	v_or_b32_e32 v1, v35, v36
	s_waitcnt vmcnt(0)
	v_fma_mixlo_f16 v6, v32, v35, 0 op_sel:[0,1,0] op_sel_hi:[0,1,0]
	v_or_b32_e32 v34, v33, v34
	v_fma_mixlo_f16 v33, v32, v33, 0 op_sel:[0,1,0] op_sel_hi:[0,1,0]
	v_or_b32_e32 v36, v39, v38
	v_or_b32_e32 v37, v5, v37
	v_fma_mixlo_f16 v38, v32, v1, 0 op_sel_hi:[0,1,0]
	v_lshlrev_b32_e32 v1, 16, v6
	v_lshlrev_b32_e32 v35, 16, v33
	v_fma_mixlo_f16 v6, v32, v34, 0 op_sel_hi:[0,1,0]
	v_fma_mixlo_f16 v33, v32, v39, 0 op_sel:[0,1,0] op_sel_hi:[0,1,0]
	v_fma_mixlo_f16 v36, v32, v36, 0 op_sel_hi:[0,1,0]
	v_fma_mixlo_f16 v5, v32, v5, 0 op_sel:[0,1,0] op_sel_hi:[0,1,0]
	v_fma_mixlo_f16 v32, v32, v37, 0 op_sel_hi:[0,1,0]
	v_and_b32_e32 v34, 0xffff, v38
	v_and_b32_e32 v40, 0xffff, v6
	v_lshlrev_b32_e32 v6, 16, v33
	v_and_b32_e32 v33, 0xffff, v36
	v_lshlrev_b32_e32 v5, 16, v5
	v_and_b32_e32 v32, 0xffff, v32
	v_or_b32_e32 v38, v1, v34
	v_or_b32_e32 v39, v35, v40
	;; [unrolled: 1-line block ×4, first 2 shown]
	s_and_saveexec_b32 s1, s0
	s_cbranch_execz .LBB245_189
; %bb.389:                              ;   in Loop: Header=BB245_191 Depth=1
	v_add_nc_u32_e32 v36, -6, v20
	v_cmp_gt_i32_e64 s0, s11, v9
	v_add_nc_u32_e32 v37, -5, v20
	v_add_nc_u32_e32 v38, -2, v20
	v_cndmask_b32_e64 v9, 0, v40, s0
	v_cmp_gt_i32_e64 s0, s11, v36
	v_add_nc_u32_e32 v36, -4, v20
	v_cndmask_b32_e64 v35, 0, v35, s0
	v_cmp_gt_i32_e64 s0, s11, v37
	v_add_nc_u32_e32 v37, -3, v20
	v_or_b32_e32 v39, v35, v9
	v_cndmask_b32_e64 v34, 0, v34, s0
	v_cmp_gt_i32_e64 s0, s11, v36
	v_add_nc_u32_e32 v36, -1, v20
	v_cndmask_b32_e64 v1, 0, v1, s0
	v_cmp_gt_i32_e64 s0, s11, v37
	v_cndmask_b32_e64 v33, 0, v33, s0
	v_cmp_gt_i32_e64 s0, s11, v38
	v_or_b32_e32 v38, v1, v34
	v_cndmask_b32_e64 v6, 0, v6, s0
	v_cmp_gt_i32_e64 s0, s11, v36
	v_or_b32_e32 v37, v6, v33
	v_cndmask_b32_e64 v32, 0, v32, s0
	v_cmp_gt_i32_e64 s0, s11, v20
	v_cndmask_b32_e64 v5, 0, v5, s0
	v_or_b32_e32 v36, v5, v32
	s_branch .LBB245_189
.LBB245_390:
	s_or_b32 exec_lo, exec_lo, s18
.LBB245_391:
	s_or_b32 exec_lo, exec_lo, s12
	s_movk_i32 s0, 0x140
	v_and_b32_e32 v2, 0x3c0, v0
	v_mad_u32_u24 v1, v11, s0, 0xc0
	s_mov_b32 s0, exec_lo
	s_barrier
	buffer_gl0_inv
	v_cmpx_eq_u32_e32 64, v2
	s_cbranch_execz .LBB245_394
; %bb.392:
	v_add_nc_u32_e32 v2, 0xfffffd80, v1
	v_cmp_gt_u32_e32 vcc_lo, 0x50, v17
	v_lshl_add_u32 v3, v12, 2, v2
	ds_write2_b32 v3, v16, v15 offset1:32
	s_and_b32 exec_lo, exec_lo, vcc_lo
; %bb.393:
	v_lshl_add_u32 v2, v17, 2, v2
	ds_write_b32 v2, v14
.LBB245_394:
	s_or_b32 exec_lo, exec_lo, s0
	v_lshl_add_u32 v2, v12, 2, v1
	s_mov_b32 s0, exec_lo
	s_waitcnt lgkmcnt(0)
	s_barrier
	buffer_gl0_inv
	v_cmpx_gt_u32_e32 64, v0
	s_cbranch_execz .LBB245_398
; %bb.395:
	v_lshl_or_b32 v3, v0, 2, 0x80
	s_mov_b32 s1, exec_lo
	v_add_nc_u32_e32 v4, v1, v3
	ds_read_b32 v3, v2
	ds_read_b32 v4, v4
	v_cmpx_gt_u32_e32 0x50, v17
	s_cbranch_execz .LBB245_397
; %bb.396:
	ds_read_b32 v5, v2 offset:256
	s_waitcnt lgkmcnt(0)
	v_add_f32_e32 v14, v14, v5
.LBB245_397:
	s_or_b32 exec_lo, exec_lo, s1
	s_waitcnt lgkmcnt(1)
	v_add_f32_e32 v16, v16, v3
	s_waitcnt lgkmcnt(0)
	v_add_f32_e32 v15, v15, v4
.LBB245_398:
	s_or_b32 exec_lo, exec_lo, s0
	v_and_b32_e32 v3, 0x3e0, v0
	s_mov_b32 s0, exec_lo
	s_barrier
	buffer_gl0_inv
	v_cmpx_eq_u32_e32 32, v3
	s_cbranch_execz .LBB245_401
; %bb.399:
	v_lshl_add_u32 v3, v12, 2, 0xc0
	v_cmp_gt_u32_e32 vcc_lo, 0x50, v17
	ds_write_b32 v3, v16
	ds_write_b32 v13, v15
	s_and_b32 exec_lo, exec_lo, vcc_lo
; %bb.400:
	ds_write_b32 v3, v14 offset:256
.LBB245_401:
	s_or_b32 exec_lo, exec_lo, s0
	v_cmp_gt_u32_e32 vcc_lo, 32, v0
	v_or_b32_e32 v3, 64, v0
	s_waitcnt lgkmcnt(0)
	s_barrier
	buffer_gl0_inv
	s_and_saveexec_b32 s1, vcc_lo
	s_cbranch_execz .LBB245_405
; %bb.402:
	v_lshl_add_u32 v4, v0, 2, v1
	s_mov_b32 s2, exec_lo
	ds_read_b32 v1, v2
	ds_read_b32 v2, v4 offset:128
	v_cmpx_gt_u32_e32 0x50, v3
	s_cbranch_execz .LBB245_404
; %bb.403:
	ds_read_b32 v4, v4 offset:256
	s_waitcnt lgkmcnt(0)
	v_add_f32_e32 v14, v14, v4
.LBB245_404:
	s_or_b32 exec_lo, exec_lo, s2
	s_waitcnt lgkmcnt(1)
	v_add_f32_e32 v16, v16, v1
	s_waitcnt lgkmcnt(0)
	v_add_f32_e32 v15, v15, v2
.LBB245_405:
	s_or_b32 exec_lo, exec_lo, s1
	s_barrier
	buffer_gl0_inv
	s_and_saveexec_b32 s0, vcc_lo
	s_cbranch_execz .LBB245_408
; %bb.406:
	s_mul_i32 s0, s10, s7
	s_mul_i32 s2, s7, s6
	;; [unrolled: 1-line block ×3, first 2 shown]
	v_lshlrev_b32_e32 v0, 1, v0
	s_mulk_i32 s0, 0x50
	v_cmp_gt_u32_e32 vcc_lo, 0x50, v3
	s_ashr_i32 s1, s0, 31
	;;#ASMSTART
	v_cvt_f16_f32 v1, v16;

	;;#ASMEND
	s_lshl_b64 s[0:1], s[0:1], 1
	s_add_u32 s4, s20, s0
	s_addc_u32 s5, s21, s1
	s_ashr_i32 s3, s2, 31
	s_lshl_b64 s[0:1], s[2:3], 1
	s_mul_i32 s2, s8, 0x50
	s_add_u32 s4, s4, s0
	s_addc_u32 s5, s5, s1
	s_ashr_i32 s3, s2, 31
	s_lshl_b64 s[0:1], s[2:3], 1
	s_add_u32 s0, s4, s0
	s_addc_u32 s1, s5, s1
	global_store_short v0, v1, s[0:1]
	;;#ASMSTART
	v_cvt_f16_f32 v1, v15;

	;;#ASMEND
	global_store_short v0, v1, s[0:1] offset:64
	s_and_b32 exec_lo, exec_lo, vcc_lo
	s_cbranch_execz .LBB245_408
; %bb.407:
	v_add_co_u32 v0, s0, s0, v0
	v_add_co_ci_u32_e64 v1, null, s1, 0, s0
	;;#ASMSTART
	v_cvt_f16_f32 v2, v14;

	;;#ASMEND
	global_store_short v[0:1], v2, off offset:128
.LBB245_408:
	s_endpgm
	.section	.rodata,"a",@progbits
	.p2align	6, 0x0
	.amdhsa_kernel _ZN4vllm25paged_attention_v1_kernelIthLi80ELi8ELi128ELNS_18Fp8KVCacheDataTypeE1ELb0EEEvPT_PKS2_PKT0_S8_ifPKiSA_iPKfiiiSC_SC_iiiii
		.amdhsa_group_segment_fixed_size 192
		.amdhsa_private_segment_fixed_size 0
		.amdhsa_kernarg_size 384
		.amdhsa_user_sgpr_count 6
		.amdhsa_user_sgpr_private_segment_buffer 1
		.amdhsa_user_sgpr_dispatch_ptr 0
		.amdhsa_user_sgpr_queue_ptr 0
		.amdhsa_user_sgpr_kernarg_segment_ptr 1
		.amdhsa_user_sgpr_dispatch_id 0
		.amdhsa_user_sgpr_flat_scratch_init 0
		.amdhsa_user_sgpr_private_segment_size 0
		.amdhsa_wavefront_size32 1
		.amdhsa_uses_dynamic_stack 0
		.amdhsa_system_sgpr_private_segment_wavefront_offset 0
		.amdhsa_system_sgpr_workgroup_id_x 1
		.amdhsa_system_sgpr_workgroup_id_y 1
		.amdhsa_system_sgpr_workgroup_id_z 1
		.amdhsa_system_sgpr_workgroup_info 0
		.amdhsa_system_vgpr_workitem_id 0
		.amdhsa_next_free_vgpr 58
		.amdhsa_next_free_sgpr 35
		.amdhsa_reserve_vcc 1
		.amdhsa_reserve_flat_scratch 0
		.amdhsa_float_round_mode_32 0
		.amdhsa_float_round_mode_16_64 0
		.amdhsa_float_denorm_mode_32 3
		.amdhsa_float_denorm_mode_16_64 3
		.amdhsa_dx10_clamp 1
		.amdhsa_ieee_mode 1
		.amdhsa_fp16_overflow 0
		.amdhsa_workgroup_processor_mode 1
		.amdhsa_memory_ordered 1
		.amdhsa_forward_progress 1
		.amdhsa_shared_vgpr_count 0
		.amdhsa_exception_fp_ieee_invalid_op 0
		.amdhsa_exception_fp_denorm_src 0
		.amdhsa_exception_fp_ieee_div_zero 0
		.amdhsa_exception_fp_ieee_overflow 0
		.amdhsa_exception_fp_ieee_underflow 0
		.amdhsa_exception_fp_ieee_inexact 0
		.amdhsa_exception_int_div_zero 0
	.end_amdhsa_kernel
	.section	.text._ZN4vllm25paged_attention_v1_kernelIthLi80ELi8ELi128ELNS_18Fp8KVCacheDataTypeE1ELb0EEEvPT_PKS2_PKT0_S8_ifPKiSA_iPKfiiiSC_SC_iiiii,"axG",@progbits,_ZN4vllm25paged_attention_v1_kernelIthLi80ELi8ELi128ELNS_18Fp8KVCacheDataTypeE1ELb0EEEvPT_PKS2_PKT0_S8_ifPKiSA_iPKfiiiSC_SC_iiiii,comdat
.Lfunc_end245:
	.size	_ZN4vllm25paged_attention_v1_kernelIthLi80ELi8ELi128ELNS_18Fp8KVCacheDataTypeE1ELb0EEEvPT_PKS2_PKT0_S8_ifPKiSA_iPKfiiiSC_SC_iiiii, .Lfunc_end245-_ZN4vllm25paged_attention_v1_kernelIthLi80ELi8ELi128ELNS_18Fp8KVCacheDataTypeE1ELb0EEEvPT_PKS2_PKT0_S8_ifPKiSA_iPKfiiiSC_SC_iiiii
                                        ; -- End function
	.set _ZN4vllm25paged_attention_v1_kernelIthLi80ELi8ELi128ELNS_18Fp8KVCacheDataTypeE1ELb0EEEvPT_PKS2_PKT0_S8_ifPKiSA_iPKfiiiSC_SC_iiiii.num_vgpr, 58
	.set _ZN4vllm25paged_attention_v1_kernelIthLi80ELi8ELi128ELNS_18Fp8KVCacheDataTypeE1ELb0EEEvPT_PKS2_PKT0_S8_ifPKiSA_iPKfiiiSC_SC_iiiii.num_agpr, 0
	.set _ZN4vllm25paged_attention_v1_kernelIthLi80ELi8ELi128ELNS_18Fp8KVCacheDataTypeE1ELb0EEEvPT_PKS2_PKT0_S8_ifPKiSA_iPKfiiiSC_SC_iiiii.numbered_sgpr, 35
	.set _ZN4vllm25paged_attention_v1_kernelIthLi80ELi8ELi128ELNS_18Fp8KVCacheDataTypeE1ELb0EEEvPT_PKS2_PKT0_S8_ifPKiSA_iPKfiiiSC_SC_iiiii.num_named_barrier, 0
	.set _ZN4vllm25paged_attention_v1_kernelIthLi80ELi8ELi128ELNS_18Fp8KVCacheDataTypeE1ELb0EEEvPT_PKS2_PKT0_S8_ifPKiSA_iPKfiiiSC_SC_iiiii.private_seg_size, 0
	.set _ZN4vllm25paged_attention_v1_kernelIthLi80ELi8ELi128ELNS_18Fp8KVCacheDataTypeE1ELb0EEEvPT_PKS2_PKT0_S8_ifPKiSA_iPKfiiiSC_SC_iiiii.uses_vcc, 1
	.set _ZN4vllm25paged_attention_v1_kernelIthLi80ELi8ELi128ELNS_18Fp8KVCacheDataTypeE1ELb0EEEvPT_PKS2_PKT0_S8_ifPKiSA_iPKfiiiSC_SC_iiiii.uses_flat_scratch, 0
	.set _ZN4vllm25paged_attention_v1_kernelIthLi80ELi8ELi128ELNS_18Fp8KVCacheDataTypeE1ELb0EEEvPT_PKS2_PKT0_S8_ifPKiSA_iPKfiiiSC_SC_iiiii.has_dyn_sized_stack, 0
	.set _ZN4vllm25paged_attention_v1_kernelIthLi80ELi8ELi128ELNS_18Fp8KVCacheDataTypeE1ELb0EEEvPT_PKS2_PKT0_S8_ifPKiSA_iPKfiiiSC_SC_iiiii.has_recursion, 0
	.set _ZN4vllm25paged_attention_v1_kernelIthLi80ELi8ELi128ELNS_18Fp8KVCacheDataTypeE1ELb0EEEvPT_PKS2_PKT0_S8_ifPKiSA_iPKfiiiSC_SC_iiiii.has_indirect_call, 0
	.section	.AMDGPU.csdata,"",@progbits
; Kernel info:
; codeLenInByte = 14504
; TotalNumSgprs: 37
; NumVgprs: 58
; ScratchSize: 0
; MemoryBound: 0
; FloatMode: 240
; IeeeMode: 1
; LDSByteSize: 192 bytes/workgroup (compile time only)
; SGPRBlocks: 0
; VGPRBlocks: 7
; NumSGPRsForWavesPerEU: 37
; NumVGPRsForWavesPerEU: 58
; Occupancy: 16
; WaveLimiterHint : 1
; COMPUTE_PGM_RSRC2:SCRATCH_EN: 0
; COMPUTE_PGM_RSRC2:USER_SGPR: 6
; COMPUTE_PGM_RSRC2:TRAP_HANDLER: 0
; COMPUTE_PGM_RSRC2:TGID_X_EN: 1
; COMPUTE_PGM_RSRC2:TGID_Y_EN: 1
; COMPUTE_PGM_RSRC2:TGID_Z_EN: 1
; COMPUTE_PGM_RSRC2:TIDIG_COMP_CNT: 0
	.section	.text._ZN4vllm25paged_attention_v1_kernelIthLi96ELi8ELi128ELNS_18Fp8KVCacheDataTypeE1ELb0EEEvPT_PKS2_PKT0_S8_ifPKiSA_iPKfiiiSC_SC_iiiii,"axG",@progbits,_ZN4vllm25paged_attention_v1_kernelIthLi96ELi8ELi128ELNS_18Fp8KVCacheDataTypeE1ELb0EEEvPT_PKS2_PKT0_S8_ifPKiSA_iPKfiiiSC_SC_iiiii,comdat
	.protected	_ZN4vllm25paged_attention_v1_kernelIthLi96ELi8ELi128ELNS_18Fp8KVCacheDataTypeE1ELb0EEEvPT_PKS2_PKT0_S8_ifPKiSA_iPKfiiiSC_SC_iiiii ; -- Begin function _ZN4vllm25paged_attention_v1_kernelIthLi96ELi8ELi128ELNS_18Fp8KVCacheDataTypeE1ELb0EEEvPT_PKS2_PKT0_S8_ifPKiSA_iPKfiiiSC_SC_iiiii
	.globl	_ZN4vllm25paged_attention_v1_kernelIthLi96ELi8ELi128ELNS_18Fp8KVCacheDataTypeE1ELb0EEEvPT_PKS2_PKT0_S8_ifPKiSA_iPKfiiiSC_SC_iiiii
	.p2align	8
	.type	_ZN4vllm25paged_attention_v1_kernelIthLi96ELi8ELi128ELNS_18Fp8KVCacheDataTypeE1ELb0EEEvPT_PKS2_PKT0_S8_ifPKiSA_iPKfiiiSC_SC_iiiii,@function
_ZN4vllm25paged_attention_v1_kernelIthLi96ELi8ELi128ELNS_18Fp8KVCacheDataTypeE1ELb0EEEvPT_PKS2_PKT0_S8_ifPKiSA_iPKfiiiSC_SC_iiiii: ; @_ZN4vllm25paged_attention_v1_kernelIthLi96ELi8ELi128ELNS_18Fp8KVCacheDataTypeE1ELb0EEEvPT_PKS2_PKT0_S8_ifPKiSA_iPKfiiiSC_SC_iiiii
; %bb.0:
	s_clause 0x2
	s_load_dword s9, s[4:5], 0x80
	s_load_dwordx2 s[0:1], s[4:5], 0x30
	s_load_dwordx2 s[28:29], s[4:5], 0x20
	s_mov_b32 s10, s7
	s_ashr_i32 s11, s7, 31
	s_lshl_b64 s[2:3], s[10:11], 2
	s_waitcnt lgkmcnt(0)
	s_add_u32 s0, s0, s2
	s_addc_u32 s1, s1, s3
	s_abs_i32 s2, s28
	s_abs_i32 s11, s9
	v_cvt_f32_u32_e32 v1, s2
	s_sub_i32 s7, 0, s2
	v_rcp_iflag_f32_e32 v1, v1
	v_mul_f32_e32 v1, 0x4f7ffffe, v1
	v_cvt_u32_f32_e32 v1, v1
	v_readfirstlane_b32 s3, v1
	s_mul_i32 s7, s7, s3
	s_mul_hi_u32 s7, s3, s7
	s_add_i32 s3, s3, s7
	s_xor_b32 s7, s9, s28
	s_mul_hi_u32 s3, s11, s3
	s_ashr_i32 s7, s7, 31
	s_mul_i32 s12, s3, s2
	s_mov_b32 s28, 0
	s_sub_i32 s11, s11, s12
	s_add_i32 s12, s3, 1
	s_sub_i32 s13, s11, s2
	s_cmp_ge_u32 s11, s2
	s_cselect_b32 s3, s12, s3
	s_cselect_b32 s11, s13, s11
	s_add_i32 s12, s3, 1
	s_cmp_ge_u32 s11, s2
	s_cselect_b32 s2, s12, s3
	s_abs_i32 s13, s6
	s_xor_b32 s2, s2, s7
	s_sub_i32 s15, s2, s7
	s_load_dwordx2 s[2:3], s[4:5], 0x40
	s_abs_i32 s12, s15
	v_cvt_f32_u32_e32 v1, s12
	s_sub_i32 s11, 0, s12
	v_rcp_iflag_f32_e32 v1, v1
	v_mul_f32_e32 v1, 0x4f7ffffe, v1
	v_cvt_u32_f32_e32 v1, v1
	v_readfirstlane_b32 s7, v1
	s_mul_i32 s11, s11, s7
	s_mul_hi_u32 s11, s7, s11
	s_add_i32 s7, s7, s11
	s_waitcnt lgkmcnt(0)
	s_cmp_eq_u64 s[2:3], 0
	s_mul_hi_u32 s14, s13, s7
	s_cbranch_scc1 .LBB246_2
; %bb.1:
	s_ashr_i32 s7, s6, 31
	s_lshl_b64 s[16:17], s[6:7], 2
	s_add_u32 s2, s2, s16
	s_addc_u32 s3, s3, s17
	s_load_dword s28, s[2:3], 0x0
.LBB246_2:
	s_load_dword s11, s[0:1], 0x0
	s_load_dwordx4 s[16:19], s[4:5], 0x48
	v_and_b32_e32 v1, 3, v0
	s_ashr_i32 s0, s6, 31
	s_ashr_i32 s1, s15, 31
	s_mulk_i32 s6, 0x60
	s_mov_b32 s2, exec_lo
	v_cmpx_gt_u32_e32 48, v0
	s_cbranch_execz .LBB246_4
; %bb.3:
	s_load_dwordx2 s[20:21], s[4:5], 0x8
	s_waitcnt lgkmcnt(0)
	s_mul_i32 s22, s16, s10
	v_lshlrev_b32_e32 v2, 2, v0
	s_ashr_i32 s23, s22, 31
	v_and_b32_e32 v3, 0x3fc, v0
	s_lshl_b64 s[22:23], s[22:23], 1
	v_mad_u32_u24 v3, v1, 48, v3
	s_add_u32 s3, s20, s22
	s_addc_u32 s15, s21, s23
	s_ashr_i32 s7, s6, 31
	s_lshl_b64 s[20:21], s[6:7], 1
	s_add_u32 s20, s3, s20
	s_addc_u32 s21, s15, s21
	global_load_dword v2, v2, s[20:21]
	s_waitcnt vmcnt(0)
	ds_write_b32 v3, v2
.LBB246_4:
	s_or_b32 exec_lo, exec_lo, s2
	s_waitcnt lgkmcnt(0)
	s_add_i32 s2, s11, 7
	s_clause 0x1
	s_load_dwordx2 s[22:23], s[4:5], 0x28
	s_load_dword s7, s[4:5], 0x38
	s_ashr_i32 s3, s2, 31
	s_xor_b32 s0, s0, s1
	s_lshr_b32 s3, s3, 29
	s_mul_i32 s1, s14, s12
	s_add_i32 s2, s2, s3
	s_sub_i32 s1, s13, s1
	s_ashr_i32 s16, s2, 3
	s_add_i32 s2, s14, 1
	s_sub_i32 s3, s1, s12
	s_cmp_ge_u32 s1, s12
	v_lshrrev_b32_e32 v11, 5, v0
	s_cselect_b32 s2, s2, s14
	s_cselect_b32 s1, s3, s1
	s_add_i32 s3, s2, 1
	s_cmp_ge_u32 s1, s12
	v_mbcnt_lo_u32_b32 v10, -1, 0
	s_cselect_b32 s1, s3, s2
	s_mov_b32 s2, exec_lo
	s_xor_b32 s1, s1, s0
	s_waitcnt lgkmcnt(0)
	s_mul_i32 s24, s7, s10
	s_sub_i32 s1, s1, s0
	v_cmp_gt_i32_e64 s0, s16, v11
	s_ashr_i32 s25, s24, 31
	s_barrier
	buffer_gl0_inv
                                        ; implicit-def: $vgpr2
                                        ; implicit-def: $vgpr13
	v_cmpx_le_i32_e64 s16, v11
	s_xor_b32 s2, exec_lo, s2
; %bb.5:
	v_mov_b32_e32 v2, 0
	v_mbcnt_lo_u32_b32 v10, -1, 0
	v_mov_b32_e32 v13, 32
                                        ; implicit-def: $vgpr1
; %bb.6:
	s_or_saveexec_b32 s19, s2
	s_clause 0x3
	s_load_dwordx2 s[20:21], s[4:5], 0x0
	s_load_dwordx2 s[26:27], s[4:5], 0x18
	s_load_dword s7, s[4:5], 0x88
	s_load_dwordx4 s[12:15], s[4:5], 0x58
	v_mov_b32_e32 v12, 0xff7fffff
	v_lshrrev_b32_e32 v9, 3, v0
	s_mul_i32 s18, s1, s18
	s_xor_b32 exec_lo, exec_lo, s19
	s_cbranch_execz .LBB246_204
; %bb.7:
	s_load_dwordx2 s[2:3], s[4:5], 0x10
	v_bfe_u32 v3, v0, 2, 3
	v_lshlrev_b32_e32 v5, 1, v1
	v_mul_u32_u24_e32 v14, 48, v1
	v_cmp_eq_u32_e32 vcc_lo, 0, v1
	s_ashr_i32 s4, s18, 31
	v_lshlrev_b32_e32 v4, 2, v3
	v_and_b32_e32 v6, 0x7c, v9
	v_lshl_or_b32 v15, v11, 3, v3
	v_mov_b32_e32 v2, 0
	v_cmp_neq_f32_e64 s1, s28, 0
	v_lshl_or_b32 v1, v11, 5, v4
	v_lshlrev_b32_e32 v4, 4, v3
	v_mov_b32_e32 v12, 0xff7fffff
	v_mov_b32_e32 v13, 32
	;; [unrolled: 1-line block ×3, first 2 shown]
	v_add_nc_u32_e32 v16, 0xe0, v1
	v_mov_b32_e32 v18, 0x7f
	v_mov_b32_e32 v19, 7
	;; [unrolled: 1-line block ×3, first 2 shown]
	s_waitcnt lgkmcnt(0)
	s_add_u32 s5, s2, s18
	s_addc_u32 s30, s3, s4
	v_add_co_u32 v1, s5, s5, v4
	v_add_co_ci_u32_e64 v4, null, s30, 0, s5
	s_lshl_b64 s[2:3], s[24:25], 2
	s_sub_i32 s4, 1, s11
	s_add_u32 s5, s22, s2
	v_add_co_u32 v3, s2, v1, v5
	s_addc_u32 s3, s23, s3
	v_add_co_ci_u32_e64 v4, null, 0, v4, s2
	v_add_co_u32 v5, s2, s5, v6
	v_add_co_ci_u32_e64 v6, null, s3, 0, s2
	v_mov_b32_e32 v21, v11
	s_mov_b32 s30, s17
	s_mov_b32 s5, 0
	s_branch .LBB246_9
.LBB246_8:                              ;   in Loop: Header=BB246_9 Depth=1
	s_or_b32 exec_lo, exec_lo, s3
	v_add_nc_u32_e32 v21, 4, v21
	v_add_co_u32 v5, s3, v5, 16
	v_add_nc_u32_e32 v15, 32, v15
	v_add_nc_u32_e32 v16, 0x80, v16
	v_cmp_le_i32_e64 s2, s16, v21
	v_add_co_ci_u32_e64 v6, null, 0, v6, s3
	s_or_b32 s5, s2, s5
	s_andn2_b32 exec_lo, exec_lo, s5
	s_cbranch_execz .LBB246_203
.LBB246_9:                              ; =>This Inner Loop Header: Depth=1
	global_load_dword v1, v[5:6], off
	s_waitcnt vmcnt(0) lgkmcnt(0)
	v_mad_i64_i32 v[7:8], null, v1, s30, v[3:4]
	global_load_ushort v23, v[7:8], off
	global_load_dword v22, v2, s[12:13]
	s_waitcnt vmcnt(1)
	v_and_b32_e32 v1, 0xffff, v23
	v_cmp_ne_u16_sdwa s2, v23, v2 src0_sel:BYTE_0 src1_sel:DWORD
	v_mov_b32_e32 v23, 0
	s_and_saveexec_b32 s3, s2
	s_cbranch_execz .LBB246_17
; %bb.10:                               ;   in Loop: Header=BB246_9 Depth=1
	v_cmp_ne_u16_sdwa s2, v1, v17 src0_sel:BYTE_0 src1_sel:DWORD
	v_mov_b32_e32 v23, 0x8000
	s_and_saveexec_b32 s31, s2
	s_cbranch_execz .LBB246_16
; %bb.11:                               ;   in Loop: Header=BB246_9 Depth=1
	v_and_b32_e32 v25, 0x7f, v1
	v_mov_b32_e32 v23, 0x7c01
	s_mov_b32 s33, exec_lo
	v_cmpx_ne_u32_e32 0x7f, v25
	s_cbranch_execz .LBB246_15
; %bb.12:                               ;   in Loop: Header=BB246_9 Depth=1
	v_and_b32_e32 v23, 7, v1
	v_lshrrev_b32_e32 v24, 3, v25
	s_mov_b32 s34, exec_lo
	v_cmpx_gt_u32_e32 8, v25
; %bb.13:                               ;   in Loop: Header=BB246_9 Depth=1
	v_ffbh_u32_e32 v23, v23
	v_min_u32_e32 v25, 32, v23
	v_subrev_nc_u32_e32 v23, 28, v25
	v_lshlrev_b64 v[23:24], v23, v[1:2]
	v_sub_nc_u32_e32 v24, 29, v25
	v_and_b32_e32 v23, 7, v23
; %bb.14:                               ;   in Loop: Header=BB246_9 Depth=1
	s_or_b32 exec_lo, exec_lo, s34
	v_lshlrev_b32_e32 v25, 8, v1
	v_lshl_add_u32 v24, v24, 10, 0x2000
	v_lshlrev_b32_e32 v23, 7, v23
	v_and_b32_e32 v25, 0x8000, v25
	v_and_b32_e32 v24, 0xfc00, v24
	v_or3_b32 v23, v25, v24, v23
.LBB246_15:                             ;   in Loop: Header=BB246_9 Depth=1
	s_or_b32 exec_lo, exec_lo, s33
.LBB246_16:                             ;   in Loop: Header=BB246_9 Depth=1
	s_or_b32 exec_lo, exec_lo, s31
.LBB246_17:                             ;   in Loop: Header=BB246_9 Depth=1
	s_or_b32 exec_lo, exec_lo, s3
	v_lshrrev_b16 v1, 8, v1
	v_mov_b32_e32 v24, 0
	s_mov_b32 s3, exec_lo
	v_cmpx_ne_u16_e32 0, v1
	s_cbranch_execz .LBB246_25
; %bb.18:                               ;   in Loop: Header=BB246_9 Depth=1
	v_bfrev_b32_e32 v24, 1
	s_mov_b32 s31, exec_lo
	v_cmpx_ne_u16_e32 0x80, v1
	s_cbranch_execz .LBB246_24
; %bb.19:                               ;   in Loop: Header=BB246_9 Depth=1
	v_and_b32_sdwa v26, v1, v18 dst_sel:DWORD dst_unused:UNUSED_PAD src0_sel:WORD_0 src1_sel:DWORD
	v_mov_b32_e32 v24, 0x7c010000
	s_mov_b32 s33, exec_lo
	v_cmpx_ne_u32_e32 0x7f, v26
	s_cbranch_execz .LBB246_23
; %bb.20:                               ;   in Loop: Header=BB246_9 Depth=1
	v_and_b32_sdwa v24, v1, v19 dst_sel:DWORD dst_unused:UNUSED_PAD src0_sel:WORD_0 src1_sel:DWORD
	v_lshrrev_b32_e32 v25, 3, v26
	s_mov_b32 s34, exec_lo
	v_cmpx_gt_u32_e32 8, v26
; %bb.21:                               ;   in Loop: Header=BB246_9 Depth=1
	v_ffbh_u32_e32 v24, v24
	v_min_u32_e32 v26, 32, v24
	v_subrev_nc_u32_e32 v24, 28, v26
	v_lshlrev_b64 v[24:25], v24, v[1:2]
	v_sub_nc_u32_e32 v25, 29, v26
	v_and_b32_e32 v24, 7, v24
; %bb.22:                               ;   in Loop: Header=BB246_9 Depth=1
	s_or_b32 exec_lo, exec_lo, s34
	v_lshlrev_b32_sdwa v1, v20, v1 dst_sel:DWORD dst_unused:UNUSED_PAD src0_sel:DWORD src1_sel:WORD_0
	v_lshl_add_u32 v25, v25, 10, 0x2000
	v_lshlrev_b32_e32 v24, 23, v24
	v_and_or_b32 v1, 0x8000, v1, v25
	v_lshl_or_b32 v24, v1, 16, v24
.LBB246_23:                             ;   in Loop: Header=BB246_9 Depth=1
	s_or_b32 exec_lo, exec_lo, s33
.LBB246_24:                             ;   in Loop: Header=BB246_9 Depth=1
	s_or_b32 exec_lo, exec_lo, s31
.LBB246_25:                             ;   in Loop: Header=BB246_9 Depth=1
	s_or_b32 exec_lo, exec_lo, s3
	global_load_ushort v26, v[7:8], off offset:8
	v_mov_b32_e32 v25, 0
	s_waitcnt vmcnt(0)
	v_and_b32_e32 v1, 0xffff, v26
	v_cmp_ne_u16_sdwa s2, v26, v2 src0_sel:BYTE_0 src1_sel:DWORD
	v_mov_b32_e32 v26, 0
	s_and_saveexec_b32 s3, s2
	s_cbranch_execz .LBB246_33
; %bb.26:                               ;   in Loop: Header=BB246_9 Depth=1
	v_cmp_ne_u16_sdwa s2, v1, v17 src0_sel:BYTE_0 src1_sel:DWORD
	v_mov_b32_e32 v26, 0x8000
	s_and_saveexec_b32 s31, s2
	s_cbranch_execz .LBB246_32
; %bb.27:                               ;   in Loop: Header=BB246_9 Depth=1
	v_and_b32_e32 v28, 0x7f, v1
	v_mov_b32_e32 v26, 0x7c01
	s_mov_b32 s33, exec_lo
	v_cmpx_ne_u32_e32 0x7f, v28
	s_cbranch_execz .LBB246_31
; %bb.28:                               ;   in Loop: Header=BB246_9 Depth=1
	v_and_b32_e32 v26, 7, v1
	v_lshrrev_b32_e32 v27, 3, v28
	s_mov_b32 s34, exec_lo
	v_cmpx_gt_u32_e32 8, v28
; %bb.29:                               ;   in Loop: Header=BB246_9 Depth=1
	v_ffbh_u32_e32 v26, v26
	v_min_u32_e32 v28, 32, v26
	v_subrev_nc_u32_e32 v26, 28, v28
	v_lshlrev_b64 v[26:27], v26, v[1:2]
	v_sub_nc_u32_e32 v27, 29, v28
	v_and_b32_e32 v26, 7, v26
; %bb.30:                               ;   in Loop: Header=BB246_9 Depth=1
	s_or_b32 exec_lo, exec_lo, s34
	v_lshlrev_b32_e32 v28, 8, v1
	v_lshl_add_u32 v27, v27, 10, 0x2000
	v_lshlrev_b32_e32 v26, 7, v26
	v_and_b32_e32 v28, 0x8000, v28
	v_and_b32_e32 v27, 0xfc00, v27
	v_or3_b32 v26, v28, v27, v26
.LBB246_31:                             ;   in Loop: Header=BB246_9 Depth=1
	s_or_b32 exec_lo, exec_lo, s33
.LBB246_32:                             ;   in Loop: Header=BB246_9 Depth=1
	s_or_b32 exec_lo, exec_lo, s31
.LBB246_33:                             ;   in Loop: Header=BB246_9 Depth=1
	s_or_b32 exec_lo, exec_lo, s3
	v_lshrrev_b16 v1, 8, v1
	s_mov_b32 s3, exec_lo
	v_cmpx_ne_u16_e32 0, v1
	s_cbranch_execz .LBB246_41
; %bb.34:                               ;   in Loop: Header=BB246_9 Depth=1
	v_bfrev_b32_e32 v25, 1
	s_mov_b32 s31, exec_lo
	v_cmpx_ne_u16_e32 0x80, v1
	s_cbranch_execz .LBB246_40
; %bb.35:                               ;   in Loop: Header=BB246_9 Depth=1
	v_and_b32_sdwa v28, v1, v18 dst_sel:DWORD dst_unused:UNUSED_PAD src0_sel:WORD_0 src1_sel:DWORD
	v_mov_b32_e32 v25, 0x7c010000
	s_mov_b32 s33, exec_lo
	v_cmpx_ne_u32_e32 0x7f, v28
	s_cbranch_execz .LBB246_39
; %bb.36:                               ;   in Loop: Header=BB246_9 Depth=1
	v_and_b32_sdwa v25, v1, v19 dst_sel:DWORD dst_unused:UNUSED_PAD src0_sel:WORD_0 src1_sel:DWORD
	v_lshrrev_b32_e32 v27, 3, v28
	s_mov_b32 s34, exec_lo
	v_cmpx_gt_u32_e32 8, v28
; %bb.37:                               ;   in Loop: Header=BB246_9 Depth=1
	v_ffbh_u32_e32 v25, v25
	v_min_u32_e32 v25, 32, v25
	v_subrev_nc_u32_e32 v27, 28, v25
	v_lshlrev_b64 v[28:29], v27, v[1:2]
	v_sub_nc_u32_e32 v27, 29, v25
	v_and_b32_e32 v25, 7, v28
; %bb.38:                               ;   in Loop: Header=BB246_9 Depth=1
	s_or_b32 exec_lo, exec_lo, s34
	v_lshlrev_b32_sdwa v1, v20, v1 dst_sel:DWORD dst_unused:UNUSED_PAD src0_sel:DWORD src1_sel:WORD_0
	v_lshl_add_u32 v27, v27, 10, 0x2000
	v_lshlrev_b32_e32 v25, 23, v25
	v_and_or_b32 v1, 0x8000, v1, v27
	v_lshl_or_b32 v25, v1, 16, v25
.LBB246_39:                             ;   in Loop: Header=BB246_9 Depth=1
	s_or_b32 exec_lo, exec_lo, s33
.LBB246_40:                             ;   in Loop: Header=BB246_9 Depth=1
	s_or_b32 exec_lo, exec_lo, s31
.LBB246_41:                             ;   in Loop: Header=BB246_9 Depth=1
	s_or_b32 exec_lo, exec_lo, s3
	global_load_ushort v28, v[7:8], off offset:128
	v_mov_b32_e32 v27, 0
	s_waitcnt vmcnt(0)
	v_and_b32_e32 v1, 0xffff, v28
	v_cmp_ne_u16_sdwa s2, v28, v2 src0_sel:BYTE_0 src1_sel:DWORD
	v_mov_b32_e32 v28, 0
	s_and_saveexec_b32 s3, s2
	s_cbranch_execz .LBB246_49
; %bb.42:                               ;   in Loop: Header=BB246_9 Depth=1
	v_cmp_ne_u16_sdwa s2, v1, v17 src0_sel:BYTE_0 src1_sel:DWORD
	v_mov_b32_e32 v28, 0x8000
	s_and_saveexec_b32 s31, s2
	s_cbranch_execz .LBB246_48
; %bb.43:                               ;   in Loop: Header=BB246_9 Depth=1
	v_and_b32_e32 v30, 0x7f, v1
	v_mov_b32_e32 v28, 0x7c01
	s_mov_b32 s33, exec_lo
	v_cmpx_ne_u32_e32 0x7f, v30
	s_cbranch_execz .LBB246_47
; %bb.44:                               ;   in Loop: Header=BB246_9 Depth=1
	v_and_b32_e32 v28, 7, v1
	v_lshrrev_b32_e32 v29, 3, v30
	s_mov_b32 s34, exec_lo
	v_cmpx_gt_u32_e32 8, v30
; %bb.45:                               ;   in Loop: Header=BB246_9 Depth=1
	v_ffbh_u32_e32 v28, v28
	v_min_u32_e32 v30, 32, v28
	v_subrev_nc_u32_e32 v28, 28, v30
	v_lshlrev_b64 v[28:29], v28, v[1:2]
	v_sub_nc_u32_e32 v29, 29, v30
	v_and_b32_e32 v28, 7, v28
; %bb.46:                               ;   in Loop: Header=BB246_9 Depth=1
	s_or_b32 exec_lo, exec_lo, s34
	v_lshlrev_b32_e32 v30, 8, v1
	v_lshl_add_u32 v29, v29, 10, 0x2000
	v_lshlrev_b32_e32 v28, 7, v28
	v_and_b32_e32 v30, 0x8000, v30
	v_and_b32_e32 v29, 0xfc00, v29
	v_or3_b32 v28, v30, v29, v28
.LBB246_47:                             ;   in Loop: Header=BB246_9 Depth=1
	s_or_b32 exec_lo, exec_lo, s33
.LBB246_48:                             ;   in Loop: Header=BB246_9 Depth=1
	s_or_b32 exec_lo, exec_lo, s31
.LBB246_49:                             ;   in Loop: Header=BB246_9 Depth=1
	s_or_b32 exec_lo, exec_lo, s3
	v_lshrrev_b16 v1, 8, v1
	s_mov_b32 s3, exec_lo
	v_cmpx_ne_u16_e32 0, v1
	s_cbranch_execz .LBB246_57
; %bb.50:                               ;   in Loop: Header=BB246_9 Depth=1
	v_bfrev_b32_e32 v27, 1
	s_mov_b32 s31, exec_lo
	v_cmpx_ne_u16_e32 0x80, v1
	s_cbranch_execz .LBB246_56
; %bb.51:                               ;   in Loop: Header=BB246_9 Depth=1
	v_and_b32_sdwa v30, v1, v18 dst_sel:DWORD dst_unused:UNUSED_PAD src0_sel:WORD_0 src1_sel:DWORD
	v_mov_b32_e32 v27, 0x7c010000
	s_mov_b32 s33, exec_lo
	v_cmpx_ne_u32_e32 0x7f, v30
	s_cbranch_execz .LBB246_55
; %bb.52:                               ;   in Loop: Header=BB246_9 Depth=1
	v_and_b32_sdwa v27, v1, v19 dst_sel:DWORD dst_unused:UNUSED_PAD src0_sel:WORD_0 src1_sel:DWORD
	v_lshrrev_b32_e32 v29, 3, v30
	s_mov_b32 s34, exec_lo
	v_cmpx_gt_u32_e32 8, v30
; %bb.53:                               ;   in Loop: Header=BB246_9 Depth=1
	v_ffbh_u32_e32 v27, v27
	v_min_u32_e32 v27, 32, v27
	v_subrev_nc_u32_e32 v29, 28, v27
	v_lshlrev_b64 v[30:31], v29, v[1:2]
	v_sub_nc_u32_e32 v29, 29, v27
	v_and_b32_e32 v27, 7, v30
; %bb.54:                               ;   in Loop: Header=BB246_9 Depth=1
	s_or_b32 exec_lo, exec_lo, s34
	v_lshlrev_b32_sdwa v1, v20, v1 dst_sel:DWORD dst_unused:UNUSED_PAD src0_sel:DWORD src1_sel:WORD_0
	v_lshl_add_u32 v29, v29, 10, 0x2000
	v_lshlrev_b32_e32 v27, 23, v27
	v_and_or_b32 v1, 0x8000, v1, v29
	v_lshl_or_b32 v27, v1, 16, v27
.LBB246_55:                             ;   in Loop: Header=BB246_9 Depth=1
	s_or_b32 exec_lo, exec_lo, s33
.LBB246_56:                             ;   in Loop: Header=BB246_9 Depth=1
	s_or_b32 exec_lo, exec_lo, s31
.LBB246_57:                             ;   in Loop: Header=BB246_9 Depth=1
	s_or_b32 exec_lo, exec_lo, s3
	global_load_ushort v30, v[7:8], off offset:136
	v_mov_b32_e32 v29, 0
	s_waitcnt vmcnt(0)
	v_and_b32_e32 v1, 0xffff, v30
	v_cmp_ne_u16_sdwa s2, v30, v2 src0_sel:BYTE_0 src1_sel:DWORD
	v_mov_b32_e32 v30, 0
	s_and_saveexec_b32 s3, s2
	s_cbranch_execz .LBB246_65
; %bb.58:                               ;   in Loop: Header=BB246_9 Depth=1
	v_cmp_ne_u16_sdwa s2, v1, v17 src0_sel:BYTE_0 src1_sel:DWORD
	v_mov_b32_e32 v30, 0x8000
	s_and_saveexec_b32 s31, s2
	s_cbranch_execz .LBB246_64
; %bb.59:                               ;   in Loop: Header=BB246_9 Depth=1
	v_and_b32_e32 v32, 0x7f, v1
	v_mov_b32_e32 v30, 0x7c01
	s_mov_b32 s33, exec_lo
	v_cmpx_ne_u32_e32 0x7f, v32
	s_cbranch_execz .LBB246_63
; %bb.60:                               ;   in Loop: Header=BB246_9 Depth=1
	v_and_b32_e32 v30, 7, v1
	v_lshrrev_b32_e32 v31, 3, v32
	s_mov_b32 s34, exec_lo
	v_cmpx_gt_u32_e32 8, v32
; %bb.61:                               ;   in Loop: Header=BB246_9 Depth=1
	v_ffbh_u32_e32 v30, v30
	v_min_u32_e32 v32, 32, v30
	v_subrev_nc_u32_e32 v30, 28, v32
	v_lshlrev_b64 v[30:31], v30, v[1:2]
	v_sub_nc_u32_e32 v31, 29, v32
	v_and_b32_e32 v30, 7, v30
; %bb.62:                               ;   in Loop: Header=BB246_9 Depth=1
	s_or_b32 exec_lo, exec_lo, s34
	v_lshlrev_b32_e32 v32, 8, v1
	v_lshl_add_u32 v31, v31, 10, 0x2000
	v_lshlrev_b32_e32 v30, 7, v30
	v_and_b32_e32 v32, 0x8000, v32
	v_and_b32_e32 v31, 0xfc00, v31
	v_or3_b32 v30, v32, v31, v30
.LBB246_63:                             ;   in Loop: Header=BB246_9 Depth=1
	s_or_b32 exec_lo, exec_lo, s33
.LBB246_64:                             ;   in Loop: Header=BB246_9 Depth=1
	s_or_b32 exec_lo, exec_lo, s31
.LBB246_65:                             ;   in Loop: Header=BB246_9 Depth=1
	s_or_b32 exec_lo, exec_lo, s3
	v_lshrrev_b16 v1, 8, v1
	s_mov_b32 s3, exec_lo
	v_cmpx_ne_u16_e32 0, v1
	s_cbranch_execz .LBB246_73
; %bb.66:                               ;   in Loop: Header=BB246_9 Depth=1
	v_bfrev_b32_e32 v29, 1
	s_mov_b32 s31, exec_lo
	v_cmpx_ne_u16_e32 0x80, v1
	s_cbranch_execz .LBB246_72
; %bb.67:                               ;   in Loop: Header=BB246_9 Depth=1
	v_and_b32_sdwa v32, v1, v18 dst_sel:DWORD dst_unused:UNUSED_PAD src0_sel:WORD_0 src1_sel:DWORD
	v_mov_b32_e32 v29, 0x7c010000
	s_mov_b32 s33, exec_lo
	v_cmpx_ne_u32_e32 0x7f, v32
	s_cbranch_execz .LBB246_71
; %bb.68:                               ;   in Loop: Header=BB246_9 Depth=1
	v_and_b32_sdwa v29, v1, v19 dst_sel:DWORD dst_unused:UNUSED_PAD src0_sel:WORD_0 src1_sel:DWORD
	v_lshrrev_b32_e32 v31, 3, v32
	s_mov_b32 s34, exec_lo
	v_cmpx_gt_u32_e32 8, v32
; %bb.69:                               ;   in Loop: Header=BB246_9 Depth=1
	v_ffbh_u32_e32 v29, v29
	v_min_u32_e32 v29, 32, v29
	v_subrev_nc_u32_e32 v31, 28, v29
	v_lshlrev_b64 v[32:33], v31, v[1:2]
	v_sub_nc_u32_e32 v31, 29, v29
	v_and_b32_e32 v29, 7, v32
; %bb.70:                               ;   in Loop: Header=BB246_9 Depth=1
	s_or_b32 exec_lo, exec_lo, s34
	v_lshlrev_b32_sdwa v1, v20, v1 dst_sel:DWORD dst_unused:UNUSED_PAD src0_sel:DWORD src1_sel:WORD_0
	v_lshl_add_u32 v31, v31, 10, 0x2000
	v_lshlrev_b32_e32 v29, 23, v29
	v_and_or_b32 v1, 0x8000, v1, v31
	v_lshl_or_b32 v29, v1, 16, v29
.LBB246_71:                             ;   in Loop: Header=BB246_9 Depth=1
	s_or_b32 exec_lo, exec_lo, s33
.LBB246_72:                             ;   in Loop: Header=BB246_9 Depth=1
	s_or_b32 exec_lo, exec_lo, s31
.LBB246_73:                             ;   in Loop: Header=BB246_9 Depth=1
	s_or_b32 exec_lo, exec_lo, s3
	global_load_ushort v32, v[7:8], off offset:256
	v_mov_b32_e32 v31, 0
	s_waitcnt vmcnt(0)
	v_and_b32_e32 v1, 0xffff, v32
	v_cmp_ne_u16_sdwa s2, v32, v2 src0_sel:BYTE_0 src1_sel:DWORD
	v_mov_b32_e32 v32, 0
	s_and_saveexec_b32 s3, s2
	s_cbranch_execz .LBB246_81
; %bb.74:                               ;   in Loop: Header=BB246_9 Depth=1
	v_cmp_ne_u16_sdwa s2, v1, v17 src0_sel:BYTE_0 src1_sel:DWORD
	v_mov_b32_e32 v32, 0x8000
	s_and_saveexec_b32 s31, s2
	s_cbranch_execz .LBB246_80
; %bb.75:                               ;   in Loop: Header=BB246_9 Depth=1
	v_and_b32_e32 v34, 0x7f, v1
	v_mov_b32_e32 v32, 0x7c01
	s_mov_b32 s33, exec_lo
	v_cmpx_ne_u32_e32 0x7f, v34
	s_cbranch_execz .LBB246_79
; %bb.76:                               ;   in Loop: Header=BB246_9 Depth=1
	v_and_b32_e32 v32, 7, v1
	v_lshrrev_b32_e32 v33, 3, v34
	s_mov_b32 s34, exec_lo
	v_cmpx_gt_u32_e32 8, v34
; %bb.77:                               ;   in Loop: Header=BB246_9 Depth=1
	v_ffbh_u32_e32 v32, v32
	v_min_u32_e32 v34, 32, v32
	v_subrev_nc_u32_e32 v32, 28, v34
	v_lshlrev_b64 v[32:33], v32, v[1:2]
	v_sub_nc_u32_e32 v33, 29, v34
	v_and_b32_e32 v32, 7, v32
; %bb.78:                               ;   in Loop: Header=BB246_9 Depth=1
	s_or_b32 exec_lo, exec_lo, s34
	v_lshlrev_b32_e32 v34, 8, v1
	v_lshl_add_u32 v33, v33, 10, 0x2000
	v_lshlrev_b32_e32 v32, 7, v32
	v_and_b32_e32 v34, 0x8000, v34
	v_and_b32_e32 v33, 0xfc00, v33
	v_or3_b32 v32, v34, v33, v32
.LBB246_79:                             ;   in Loop: Header=BB246_9 Depth=1
	s_or_b32 exec_lo, exec_lo, s33
.LBB246_80:                             ;   in Loop: Header=BB246_9 Depth=1
	s_or_b32 exec_lo, exec_lo, s31
.LBB246_81:                             ;   in Loop: Header=BB246_9 Depth=1
	s_or_b32 exec_lo, exec_lo, s3
	v_lshrrev_b16 v1, 8, v1
	s_mov_b32 s3, exec_lo
	v_cmpx_ne_u16_e32 0, v1
	s_cbranch_execz .LBB246_89
; %bb.82:                               ;   in Loop: Header=BB246_9 Depth=1
	v_bfrev_b32_e32 v31, 1
	s_mov_b32 s31, exec_lo
	v_cmpx_ne_u16_e32 0x80, v1
	s_cbranch_execz .LBB246_88
; %bb.83:                               ;   in Loop: Header=BB246_9 Depth=1
	v_and_b32_sdwa v34, v1, v18 dst_sel:DWORD dst_unused:UNUSED_PAD src0_sel:WORD_0 src1_sel:DWORD
	v_mov_b32_e32 v31, 0x7c010000
	s_mov_b32 s33, exec_lo
	v_cmpx_ne_u32_e32 0x7f, v34
	s_cbranch_execz .LBB246_87
; %bb.84:                               ;   in Loop: Header=BB246_9 Depth=1
	v_and_b32_sdwa v31, v1, v19 dst_sel:DWORD dst_unused:UNUSED_PAD src0_sel:WORD_0 src1_sel:DWORD
	v_lshrrev_b32_e32 v33, 3, v34
	s_mov_b32 s34, exec_lo
	v_cmpx_gt_u32_e32 8, v34
; %bb.85:                               ;   in Loop: Header=BB246_9 Depth=1
	v_ffbh_u32_e32 v31, v31
	v_min_u32_e32 v31, 32, v31
	v_subrev_nc_u32_e32 v33, 28, v31
	v_lshlrev_b64 v[34:35], v33, v[1:2]
	v_sub_nc_u32_e32 v33, 29, v31
	v_and_b32_e32 v31, 7, v34
; %bb.86:                               ;   in Loop: Header=BB246_9 Depth=1
	s_or_b32 exec_lo, exec_lo, s34
	v_lshlrev_b32_sdwa v1, v20, v1 dst_sel:DWORD dst_unused:UNUSED_PAD src0_sel:DWORD src1_sel:WORD_0
	v_lshl_add_u32 v33, v33, 10, 0x2000
	v_lshlrev_b32_e32 v31, 23, v31
	v_and_or_b32 v1, 0x8000, v1, v33
	v_lshl_or_b32 v31, v1, 16, v31
.LBB246_87:                             ;   in Loop: Header=BB246_9 Depth=1
	s_or_b32 exec_lo, exec_lo, s33
.LBB246_88:                             ;   in Loop: Header=BB246_9 Depth=1
	s_or_b32 exec_lo, exec_lo, s31
.LBB246_89:                             ;   in Loop: Header=BB246_9 Depth=1
	s_or_b32 exec_lo, exec_lo, s3
	global_load_ushort v34, v[7:8], off offset:264
	v_mov_b32_e32 v33, 0
	s_waitcnt vmcnt(0)
	v_and_b32_e32 v1, 0xffff, v34
	v_cmp_ne_u16_sdwa s2, v34, v2 src0_sel:BYTE_0 src1_sel:DWORD
	v_mov_b32_e32 v34, 0
	s_and_saveexec_b32 s3, s2
	s_cbranch_execz .LBB246_97
; %bb.90:                               ;   in Loop: Header=BB246_9 Depth=1
	v_cmp_ne_u16_sdwa s2, v1, v17 src0_sel:BYTE_0 src1_sel:DWORD
	v_mov_b32_e32 v34, 0x8000
	s_and_saveexec_b32 s31, s2
	s_cbranch_execz .LBB246_96
; %bb.91:                               ;   in Loop: Header=BB246_9 Depth=1
	v_and_b32_e32 v36, 0x7f, v1
	v_mov_b32_e32 v34, 0x7c01
	s_mov_b32 s33, exec_lo
	v_cmpx_ne_u32_e32 0x7f, v36
	s_cbranch_execz .LBB246_95
; %bb.92:                               ;   in Loop: Header=BB246_9 Depth=1
	v_and_b32_e32 v34, 7, v1
	v_lshrrev_b32_e32 v35, 3, v36
	s_mov_b32 s34, exec_lo
	v_cmpx_gt_u32_e32 8, v36
; %bb.93:                               ;   in Loop: Header=BB246_9 Depth=1
	v_ffbh_u32_e32 v34, v34
	v_min_u32_e32 v36, 32, v34
	v_subrev_nc_u32_e32 v34, 28, v36
	v_lshlrev_b64 v[34:35], v34, v[1:2]
	v_sub_nc_u32_e32 v35, 29, v36
	v_and_b32_e32 v34, 7, v34
; %bb.94:                               ;   in Loop: Header=BB246_9 Depth=1
	s_or_b32 exec_lo, exec_lo, s34
	v_lshlrev_b32_e32 v36, 8, v1
	v_lshl_add_u32 v35, v35, 10, 0x2000
	v_lshlrev_b32_e32 v34, 7, v34
	v_and_b32_e32 v36, 0x8000, v36
	v_and_b32_e32 v35, 0xfc00, v35
	v_or3_b32 v34, v36, v35, v34
.LBB246_95:                             ;   in Loop: Header=BB246_9 Depth=1
	s_or_b32 exec_lo, exec_lo, s33
.LBB246_96:                             ;   in Loop: Header=BB246_9 Depth=1
	s_or_b32 exec_lo, exec_lo, s31
.LBB246_97:                             ;   in Loop: Header=BB246_9 Depth=1
	s_or_b32 exec_lo, exec_lo, s3
	v_lshrrev_b16 v1, 8, v1
	s_mov_b32 s3, exec_lo
	v_cmpx_ne_u16_e32 0, v1
	s_cbranch_execz .LBB246_105
; %bb.98:                               ;   in Loop: Header=BB246_9 Depth=1
	v_bfrev_b32_e32 v33, 1
	s_mov_b32 s31, exec_lo
	v_cmpx_ne_u16_e32 0x80, v1
	s_cbranch_execz .LBB246_104
; %bb.99:                               ;   in Loop: Header=BB246_9 Depth=1
	v_and_b32_sdwa v36, v1, v18 dst_sel:DWORD dst_unused:UNUSED_PAD src0_sel:WORD_0 src1_sel:DWORD
	v_mov_b32_e32 v33, 0x7c010000
	s_mov_b32 s33, exec_lo
	v_cmpx_ne_u32_e32 0x7f, v36
	s_cbranch_execz .LBB246_103
; %bb.100:                              ;   in Loop: Header=BB246_9 Depth=1
	v_and_b32_sdwa v33, v1, v19 dst_sel:DWORD dst_unused:UNUSED_PAD src0_sel:WORD_0 src1_sel:DWORD
	v_lshrrev_b32_e32 v35, 3, v36
	s_mov_b32 s34, exec_lo
	v_cmpx_gt_u32_e32 8, v36
; %bb.101:                              ;   in Loop: Header=BB246_9 Depth=1
	v_ffbh_u32_e32 v33, v33
	v_min_u32_e32 v33, 32, v33
	v_subrev_nc_u32_e32 v35, 28, v33
	v_lshlrev_b64 v[36:37], v35, v[1:2]
	v_sub_nc_u32_e32 v35, 29, v33
	v_and_b32_e32 v33, 7, v36
; %bb.102:                              ;   in Loop: Header=BB246_9 Depth=1
	s_or_b32 exec_lo, exec_lo, s34
	v_lshlrev_b32_sdwa v1, v20, v1 dst_sel:DWORD dst_unused:UNUSED_PAD src0_sel:DWORD src1_sel:WORD_0
	v_lshl_add_u32 v35, v35, 10, 0x2000
	v_lshlrev_b32_e32 v33, 23, v33
	v_and_or_b32 v1, 0x8000, v1, v35
	v_lshl_or_b32 v33, v1, 16, v33
.LBB246_103:                            ;   in Loop: Header=BB246_9 Depth=1
	s_or_b32 exec_lo, exec_lo, s33
.LBB246_104:                            ;   in Loop: Header=BB246_9 Depth=1
	s_or_b32 exec_lo, exec_lo, s31
.LBB246_105:                            ;   in Loop: Header=BB246_9 Depth=1
	s_or_b32 exec_lo, exec_lo, s3
	global_load_ushort v36, v[7:8], off offset:384
	v_mov_b32_e32 v35, 0
	s_waitcnt vmcnt(0)
	v_and_b32_e32 v1, 0xffff, v36
	v_cmp_ne_u16_sdwa s2, v36, v2 src0_sel:BYTE_0 src1_sel:DWORD
	v_mov_b32_e32 v36, 0
	s_and_saveexec_b32 s3, s2
	s_cbranch_execz .LBB246_113
; %bb.106:                              ;   in Loop: Header=BB246_9 Depth=1
	v_cmp_ne_u16_sdwa s2, v1, v17 src0_sel:BYTE_0 src1_sel:DWORD
	v_mov_b32_e32 v36, 0x8000
	s_and_saveexec_b32 s31, s2
	s_cbranch_execz .LBB246_112
; %bb.107:                              ;   in Loop: Header=BB246_9 Depth=1
	v_and_b32_e32 v38, 0x7f, v1
	v_mov_b32_e32 v36, 0x7c01
	s_mov_b32 s33, exec_lo
	v_cmpx_ne_u32_e32 0x7f, v38
	s_cbranch_execz .LBB246_111
; %bb.108:                              ;   in Loop: Header=BB246_9 Depth=1
	v_and_b32_e32 v36, 7, v1
	v_lshrrev_b32_e32 v37, 3, v38
	s_mov_b32 s34, exec_lo
	v_cmpx_gt_u32_e32 8, v38
; %bb.109:                              ;   in Loop: Header=BB246_9 Depth=1
	v_ffbh_u32_e32 v36, v36
	v_min_u32_e32 v38, 32, v36
	v_subrev_nc_u32_e32 v36, 28, v38
	v_lshlrev_b64 v[36:37], v36, v[1:2]
	v_sub_nc_u32_e32 v37, 29, v38
	v_and_b32_e32 v36, 7, v36
; %bb.110:                              ;   in Loop: Header=BB246_9 Depth=1
	s_or_b32 exec_lo, exec_lo, s34
	v_lshlrev_b32_e32 v38, 8, v1
	v_lshl_add_u32 v37, v37, 10, 0x2000
	v_lshlrev_b32_e32 v36, 7, v36
	v_and_b32_e32 v38, 0x8000, v38
	v_and_b32_e32 v37, 0xfc00, v37
	v_or3_b32 v36, v38, v37, v36
.LBB246_111:                            ;   in Loop: Header=BB246_9 Depth=1
	s_or_b32 exec_lo, exec_lo, s33
.LBB246_112:                            ;   in Loop: Header=BB246_9 Depth=1
	s_or_b32 exec_lo, exec_lo, s31
.LBB246_113:                            ;   in Loop: Header=BB246_9 Depth=1
	s_or_b32 exec_lo, exec_lo, s3
	v_lshrrev_b16 v1, 8, v1
	s_mov_b32 s3, exec_lo
	v_cmpx_ne_u16_e32 0, v1
	s_cbranch_execz .LBB246_121
; %bb.114:                              ;   in Loop: Header=BB246_9 Depth=1
	v_bfrev_b32_e32 v35, 1
	s_mov_b32 s31, exec_lo
	v_cmpx_ne_u16_e32 0x80, v1
	s_cbranch_execz .LBB246_120
; %bb.115:                              ;   in Loop: Header=BB246_9 Depth=1
	v_and_b32_sdwa v38, v1, v18 dst_sel:DWORD dst_unused:UNUSED_PAD src0_sel:WORD_0 src1_sel:DWORD
	v_mov_b32_e32 v35, 0x7c010000
	s_mov_b32 s33, exec_lo
	v_cmpx_ne_u32_e32 0x7f, v38
	s_cbranch_execz .LBB246_119
; %bb.116:                              ;   in Loop: Header=BB246_9 Depth=1
	v_and_b32_sdwa v35, v1, v19 dst_sel:DWORD dst_unused:UNUSED_PAD src0_sel:WORD_0 src1_sel:DWORD
	v_lshrrev_b32_e32 v37, 3, v38
	s_mov_b32 s34, exec_lo
	v_cmpx_gt_u32_e32 8, v38
; %bb.117:                              ;   in Loop: Header=BB246_9 Depth=1
	v_ffbh_u32_e32 v35, v35
	v_min_u32_e32 v35, 32, v35
	v_subrev_nc_u32_e32 v37, 28, v35
	v_lshlrev_b64 v[38:39], v37, v[1:2]
	v_sub_nc_u32_e32 v37, 29, v35
	v_and_b32_e32 v35, 7, v38
; %bb.118:                              ;   in Loop: Header=BB246_9 Depth=1
	s_or_b32 exec_lo, exec_lo, s34
	v_lshlrev_b32_sdwa v1, v20, v1 dst_sel:DWORD dst_unused:UNUSED_PAD src0_sel:DWORD src1_sel:WORD_0
	v_lshl_add_u32 v37, v37, 10, 0x2000
	v_lshlrev_b32_e32 v35, 23, v35
	v_and_or_b32 v1, 0x8000, v1, v37
	v_lshl_or_b32 v35, v1, 16, v35
.LBB246_119:                            ;   in Loop: Header=BB246_9 Depth=1
	s_or_b32 exec_lo, exec_lo, s33
.LBB246_120:                            ;   in Loop: Header=BB246_9 Depth=1
	s_or_b32 exec_lo, exec_lo, s31
.LBB246_121:                            ;   in Loop: Header=BB246_9 Depth=1
	s_or_b32 exec_lo, exec_lo, s3
	global_load_ushort v38, v[7:8], off offset:392
	v_mov_b32_e32 v37, 0
	s_waitcnt vmcnt(0)
	v_and_b32_e32 v1, 0xffff, v38
	v_cmp_ne_u16_sdwa s2, v38, v2 src0_sel:BYTE_0 src1_sel:DWORD
	v_mov_b32_e32 v38, 0
	s_and_saveexec_b32 s3, s2
	s_cbranch_execz .LBB246_129
; %bb.122:                              ;   in Loop: Header=BB246_9 Depth=1
	v_cmp_ne_u16_sdwa s2, v1, v17 src0_sel:BYTE_0 src1_sel:DWORD
	v_mov_b32_e32 v38, 0x8000
	s_and_saveexec_b32 s31, s2
	s_cbranch_execz .LBB246_128
; %bb.123:                              ;   in Loop: Header=BB246_9 Depth=1
	v_and_b32_e32 v40, 0x7f, v1
	v_mov_b32_e32 v38, 0x7c01
	s_mov_b32 s33, exec_lo
	v_cmpx_ne_u32_e32 0x7f, v40
	s_cbranch_execz .LBB246_127
; %bb.124:                              ;   in Loop: Header=BB246_9 Depth=1
	v_and_b32_e32 v38, 7, v1
	v_lshrrev_b32_e32 v39, 3, v40
	s_mov_b32 s34, exec_lo
	v_cmpx_gt_u32_e32 8, v40
; %bb.125:                              ;   in Loop: Header=BB246_9 Depth=1
	v_ffbh_u32_e32 v38, v38
	v_min_u32_e32 v40, 32, v38
	v_subrev_nc_u32_e32 v38, 28, v40
	v_lshlrev_b64 v[38:39], v38, v[1:2]
	v_sub_nc_u32_e32 v39, 29, v40
	v_and_b32_e32 v38, 7, v38
; %bb.126:                              ;   in Loop: Header=BB246_9 Depth=1
	s_or_b32 exec_lo, exec_lo, s34
	v_lshlrev_b32_e32 v40, 8, v1
	v_lshl_add_u32 v39, v39, 10, 0x2000
	v_lshlrev_b32_e32 v38, 7, v38
	v_and_b32_e32 v40, 0x8000, v40
	v_and_b32_e32 v39, 0xfc00, v39
	v_or3_b32 v38, v40, v39, v38
.LBB246_127:                            ;   in Loop: Header=BB246_9 Depth=1
	s_or_b32 exec_lo, exec_lo, s33
.LBB246_128:                            ;   in Loop: Header=BB246_9 Depth=1
	s_or_b32 exec_lo, exec_lo, s31
.LBB246_129:                            ;   in Loop: Header=BB246_9 Depth=1
	s_or_b32 exec_lo, exec_lo, s3
	v_lshrrev_b16 v1, 8, v1
	s_mov_b32 s3, exec_lo
	v_cmpx_ne_u16_e32 0, v1
	s_cbranch_execz .LBB246_137
; %bb.130:                              ;   in Loop: Header=BB246_9 Depth=1
	v_bfrev_b32_e32 v37, 1
	s_mov_b32 s31, exec_lo
	v_cmpx_ne_u16_e32 0x80, v1
	s_cbranch_execz .LBB246_136
; %bb.131:                              ;   in Loop: Header=BB246_9 Depth=1
	v_and_b32_sdwa v40, v1, v18 dst_sel:DWORD dst_unused:UNUSED_PAD src0_sel:WORD_0 src1_sel:DWORD
	v_mov_b32_e32 v37, 0x7c010000
	s_mov_b32 s33, exec_lo
	v_cmpx_ne_u32_e32 0x7f, v40
	s_cbranch_execz .LBB246_135
; %bb.132:                              ;   in Loop: Header=BB246_9 Depth=1
	v_and_b32_sdwa v37, v1, v19 dst_sel:DWORD dst_unused:UNUSED_PAD src0_sel:WORD_0 src1_sel:DWORD
	v_lshrrev_b32_e32 v39, 3, v40
	s_mov_b32 s34, exec_lo
	v_cmpx_gt_u32_e32 8, v40
; %bb.133:                              ;   in Loop: Header=BB246_9 Depth=1
	v_ffbh_u32_e32 v37, v37
	v_min_u32_e32 v37, 32, v37
	v_subrev_nc_u32_e32 v39, 28, v37
	v_lshlrev_b64 v[40:41], v39, v[1:2]
	v_sub_nc_u32_e32 v39, 29, v37
	v_and_b32_e32 v37, 7, v40
; %bb.134:                              ;   in Loop: Header=BB246_9 Depth=1
	s_or_b32 exec_lo, exec_lo, s34
	v_lshlrev_b32_sdwa v1, v20, v1 dst_sel:DWORD dst_unused:UNUSED_PAD src0_sel:DWORD src1_sel:WORD_0
	v_lshl_add_u32 v39, v39, 10, 0x2000
	v_lshlrev_b32_e32 v37, 23, v37
	v_and_or_b32 v1, 0x8000, v1, v39
	v_lshl_or_b32 v37, v1, 16, v37
.LBB246_135:                            ;   in Loop: Header=BB246_9 Depth=1
	s_or_b32 exec_lo, exec_lo, s33
.LBB246_136:                            ;   in Loop: Header=BB246_9 Depth=1
	s_or_b32 exec_lo, exec_lo, s31
.LBB246_137:                            ;   in Loop: Header=BB246_9 Depth=1
	s_or_b32 exec_lo, exec_lo, s3
	global_load_ushort v40, v[7:8], off offset:512
	v_mov_b32_e32 v39, 0
	s_waitcnt vmcnt(0)
	v_and_b32_e32 v1, 0xffff, v40
	v_cmp_ne_u16_sdwa s2, v40, v2 src0_sel:BYTE_0 src1_sel:DWORD
	v_mov_b32_e32 v40, 0
	s_and_saveexec_b32 s3, s2
	s_cbranch_execz .LBB246_145
; %bb.138:                              ;   in Loop: Header=BB246_9 Depth=1
	v_cmp_ne_u16_sdwa s2, v1, v17 src0_sel:BYTE_0 src1_sel:DWORD
	v_mov_b32_e32 v40, 0x8000
	s_and_saveexec_b32 s31, s2
	s_cbranch_execz .LBB246_144
; %bb.139:                              ;   in Loop: Header=BB246_9 Depth=1
	v_and_b32_e32 v42, 0x7f, v1
	v_mov_b32_e32 v40, 0x7c01
	s_mov_b32 s33, exec_lo
	v_cmpx_ne_u32_e32 0x7f, v42
	s_cbranch_execz .LBB246_143
; %bb.140:                              ;   in Loop: Header=BB246_9 Depth=1
	v_and_b32_e32 v40, 7, v1
	v_lshrrev_b32_e32 v41, 3, v42
	s_mov_b32 s34, exec_lo
	v_cmpx_gt_u32_e32 8, v42
; %bb.141:                              ;   in Loop: Header=BB246_9 Depth=1
	v_ffbh_u32_e32 v40, v40
	v_min_u32_e32 v42, 32, v40
	v_subrev_nc_u32_e32 v40, 28, v42
	v_lshlrev_b64 v[40:41], v40, v[1:2]
	v_sub_nc_u32_e32 v41, 29, v42
	v_and_b32_e32 v40, 7, v40
; %bb.142:                              ;   in Loop: Header=BB246_9 Depth=1
	s_or_b32 exec_lo, exec_lo, s34
	v_lshlrev_b32_e32 v42, 8, v1
	v_lshl_add_u32 v41, v41, 10, 0x2000
	v_lshlrev_b32_e32 v40, 7, v40
	v_and_b32_e32 v42, 0x8000, v42
	v_and_b32_e32 v41, 0xfc00, v41
	v_or3_b32 v40, v42, v41, v40
.LBB246_143:                            ;   in Loop: Header=BB246_9 Depth=1
	s_or_b32 exec_lo, exec_lo, s33
.LBB246_144:                            ;   in Loop: Header=BB246_9 Depth=1
	s_or_b32 exec_lo, exec_lo, s31
.LBB246_145:                            ;   in Loop: Header=BB246_9 Depth=1
	s_or_b32 exec_lo, exec_lo, s3
	v_lshrrev_b16 v1, 8, v1
	s_mov_b32 s3, exec_lo
	v_cmpx_ne_u16_e32 0, v1
	s_cbranch_execz .LBB246_153
; %bb.146:                              ;   in Loop: Header=BB246_9 Depth=1
	v_bfrev_b32_e32 v39, 1
	s_mov_b32 s31, exec_lo
	v_cmpx_ne_u16_e32 0x80, v1
	s_cbranch_execz .LBB246_152
; %bb.147:                              ;   in Loop: Header=BB246_9 Depth=1
	v_and_b32_sdwa v42, v1, v18 dst_sel:DWORD dst_unused:UNUSED_PAD src0_sel:WORD_0 src1_sel:DWORD
	v_mov_b32_e32 v39, 0x7c010000
	s_mov_b32 s33, exec_lo
	v_cmpx_ne_u32_e32 0x7f, v42
	s_cbranch_execz .LBB246_151
; %bb.148:                              ;   in Loop: Header=BB246_9 Depth=1
	v_and_b32_sdwa v39, v1, v19 dst_sel:DWORD dst_unused:UNUSED_PAD src0_sel:WORD_0 src1_sel:DWORD
	v_lshrrev_b32_e32 v41, 3, v42
	s_mov_b32 s34, exec_lo
	v_cmpx_gt_u32_e32 8, v42
; %bb.149:                              ;   in Loop: Header=BB246_9 Depth=1
	v_ffbh_u32_e32 v39, v39
	v_min_u32_e32 v39, 32, v39
	v_subrev_nc_u32_e32 v41, 28, v39
	v_lshlrev_b64 v[42:43], v41, v[1:2]
	v_sub_nc_u32_e32 v41, 29, v39
	v_and_b32_e32 v39, 7, v42
; %bb.150:                              ;   in Loop: Header=BB246_9 Depth=1
	s_or_b32 exec_lo, exec_lo, s34
	v_lshlrev_b32_sdwa v1, v20, v1 dst_sel:DWORD dst_unused:UNUSED_PAD src0_sel:DWORD src1_sel:WORD_0
	v_lshl_add_u32 v41, v41, 10, 0x2000
	v_lshlrev_b32_e32 v39, 23, v39
	v_and_or_b32 v1, 0x8000, v1, v41
	v_lshl_or_b32 v39, v1, 16, v39
.LBB246_151:                            ;   in Loop: Header=BB246_9 Depth=1
	s_or_b32 exec_lo, exec_lo, s33
.LBB246_152:                            ;   in Loop: Header=BB246_9 Depth=1
	s_or_b32 exec_lo, exec_lo, s31
.LBB246_153:                            ;   in Loop: Header=BB246_9 Depth=1
	s_or_b32 exec_lo, exec_lo, s3
	global_load_ushort v42, v[7:8], off offset:520
	v_mov_b32_e32 v41, 0
	s_waitcnt vmcnt(0)
	v_and_b32_e32 v1, 0xffff, v42
	v_cmp_ne_u16_sdwa s2, v42, v2 src0_sel:BYTE_0 src1_sel:DWORD
	v_mov_b32_e32 v42, 0
	s_and_saveexec_b32 s3, s2
	s_cbranch_execz .LBB246_161
; %bb.154:                              ;   in Loop: Header=BB246_9 Depth=1
	v_cmp_ne_u16_sdwa s2, v1, v17 src0_sel:BYTE_0 src1_sel:DWORD
	v_mov_b32_e32 v42, 0x8000
	s_and_saveexec_b32 s31, s2
	s_cbranch_execz .LBB246_160
; %bb.155:                              ;   in Loop: Header=BB246_9 Depth=1
	v_and_b32_e32 v44, 0x7f, v1
	v_mov_b32_e32 v42, 0x7c01
	s_mov_b32 s33, exec_lo
	v_cmpx_ne_u32_e32 0x7f, v44
	s_cbranch_execz .LBB246_159
; %bb.156:                              ;   in Loop: Header=BB246_9 Depth=1
	v_and_b32_e32 v42, 7, v1
	v_lshrrev_b32_e32 v43, 3, v44
	s_mov_b32 s34, exec_lo
	v_cmpx_gt_u32_e32 8, v44
; %bb.157:                              ;   in Loop: Header=BB246_9 Depth=1
	v_ffbh_u32_e32 v42, v42
	v_min_u32_e32 v44, 32, v42
	v_subrev_nc_u32_e32 v42, 28, v44
	v_lshlrev_b64 v[42:43], v42, v[1:2]
	v_sub_nc_u32_e32 v43, 29, v44
	v_and_b32_e32 v42, 7, v42
; %bb.158:                              ;   in Loop: Header=BB246_9 Depth=1
	s_or_b32 exec_lo, exec_lo, s34
	v_lshlrev_b32_e32 v44, 8, v1
	v_lshl_add_u32 v43, v43, 10, 0x2000
	v_lshlrev_b32_e32 v42, 7, v42
	v_and_b32_e32 v44, 0x8000, v44
	v_and_b32_e32 v43, 0xfc00, v43
	v_or3_b32 v42, v44, v43, v42
.LBB246_159:                            ;   in Loop: Header=BB246_9 Depth=1
	s_or_b32 exec_lo, exec_lo, s33
.LBB246_160:                            ;   in Loop: Header=BB246_9 Depth=1
	s_or_b32 exec_lo, exec_lo, s31
.LBB246_161:                            ;   in Loop: Header=BB246_9 Depth=1
	s_or_b32 exec_lo, exec_lo, s3
	v_lshrrev_b16 v1, 8, v1
	s_mov_b32 s3, exec_lo
	v_cmpx_ne_u16_e32 0, v1
	s_cbranch_execz .LBB246_169
; %bb.162:                              ;   in Loop: Header=BB246_9 Depth=1
	v_bfrev_b32_e32 v41, 1
	s_mov_b32 s31, exec_lo
	v_cmpx_ne_u16_e32 0x80, v1
	s_cbranch_execz .LBB246_168
; %bb.163:                              ;   in Loop: Header=BB246_9 Depth=1
	v_and_b32_sdwa v44, v1, v18 dst_sel:DWORD dst_unused:UNUSED_PAD src0_sel:WORD_0 src1_sel:DWORD
	v_mov_b32_e32 v41, 0x7c010000
	s_mov_b32 s33, exec_lo
	v_cmpx_ne_u32_e32 0x7f, v44
	s_cbranch_execz .LBB246_167
; %bb.164:                              ;   in Loop: Header=BB246_9 Depth=1
	v_and_b32_sdwa v41, v1, v19 dst_sel:DWORD dst_unused:UNUSED_PAD src0_sel:WORD_0 src1_sel:DWORD
	v_lshrrev_b32_e32 v43, 3, v44
	s_mov_b32 s34, exec_lo
	v_cmpx_gt_u32_e32 8, v44
; %bb.165:                              ;   in Loop: Header=BB246_9 Depth=1
	v_ffbh_u32_e32 v41, v41
	v_min_u32_e32 v41, 32, v41
	v_subrev_nc_u32_e32 v43, 28, v41
	v_lshlrev_b64 v[44:45], v43, v[1:2]
	v_sub_nc_u32_e32 v43, 29, v41
	v_and_b32_e32 v41, 7, v44
; %bb.166:                              ;   in Loop: Header=BB246_9 Depth=1
	s_or_b32 exec_lo, exec_lo, s34
	v_lshlrev_b32_sdwa v1, v20, v1 dst_sel:DWORD dst_unused:UNUSED_PAD src0_sel:DWORD src1_sel:WORD_0
	v_lshl_add_u32 v43, v43, 10, 0x2000
	v_lshlrev_b32_e32 v41, 23, v41
	v_and_or_b32 v1, 0x8000, v1, v43
	v_lshl_or_b32 v41, v1, 16, v41
.LBB246_167:                            ;   in Loop: Header=BB246_9 Depth=1
	s_or_b32 exec_lo, exec_lo, s33
.LBB246_168:                            ;   in Loop: Header=BB246_9 Depth=1
	s_or_b32 exec_lo, exec_lo, s31
.LBB246_169:                            ;   in Loop: Header=BB246_9 Depth=1
	s_or_b32 exec_lo, exec_lo, s3
	global_load_ushort v44, v[7:8], off offset:640
	v_mov_b32_e32 v43, 0
	s_waitcnt vmcnt(0)
	v_and_b32_e32 v1, 0xffff, v44
	v_cmp_ne_u16_sdwa s2, v44, v2 src0_sel:BYTE_0 src1_sel:DWORD
	v_mov_b32_e32 v44, 0
	s_and_saveexec_b32 s3, s2
	s_cbranch_execz .LBB246_177
; %bb.170:                              ;   in Loop: Header=BB246_9 Depth=1
	v_cmp_ne_u16_sdwa s2, v1, v17 src0_sel:BYTE_0 src1_sel:DWORD
	v_mov_b32_e32 v44, 0x8000
	s_and_saveexec_b32 s31, s2
	s_cbranch_execz .LBB246_176
; %bb.171:                              ;   in Loop: Header=BB246_9 Depth=1
	v_and_b32_e32 v46, 0x7f, v1
	v_mov_b32_e32 v44, 0x7c01
	s_mov_b32 s33, exec_lo
	v_cmpx_ne_u32_e32 0x7f, v46
	s_cbranch_execz .LBB246_175
; %bb.172:                              ;   in Loop: Header=BB246_9 Depth=1
	v_and_b32_e32 v44, 7, v1
	v_lshrrev_b32_e32 v45, 3, v46
	s_mov_b32 s34, exec_lo
	v_cmpx_gt_u32_e32 8, v46
; %bb.173:                              ;   in Loop: Header=BB246_9 Depth=1
	v_ffbh_u32_e32 v44, v44
	v_min_u32_e32 v46, 32, v44
	v_subrev_nc_u32_e32 v44, 28, v46
	v_lshlrev_b64 v[44:45], v44, v[1:2]
	v_sub_nc_u32_e32 v45, 29, v46
	v_and_b32_e32 v44, 7, v44
; %bb.174:                              ;   in Loop: Header=BB246_9 Depth=1
	s_or_b32 exec_lo, exec_lo, s34
	v_lshlrev_b32_e32 v46, 8, v1
	v_lshl_add_u32 v45, v45, 10, 0x2000
	v_lshlrev_b32_e32 v44, 7, v44
	v_and_b32_e32 v46, 0x8000, v46
	v_and_b32_e32 v45, 0xfc00, v45
	v_or3_b32 v44, v46, v45, v44
.LBB246_175:                            ;   in Loop: Header=BB246_9 Depth=1
	s_or_b32 exec_lo, exec_lo, s33
.LBB246_176:                            ;   in Loop: Header=BB246_9 Depth=1
	s_or_b32 exec_lo, exec_lo, s31
.LBB246_177:                            ;   in Loop: Header=BB246_9 Depth=1
	s_or_b32 exec_lo, exec_lo, s3
	v_lshrrev_b16 v1, 8, v1
	s_mov_b32 s3, exec_lo
	v_cmpx_ne_u16_e32 0, v1
	s_cbranch_execz .LBB246_185
; %bb.178:                              ;   in Loop: Header=BB246_9 Depth=1
	v_bfrev_b32_e32 v43, 1
	s_mov_b32 s31, exec_lo
	v_cmpx_ne_u16_e32 0x80, v1
	s_cbranch_execz .LBB246_184
; %bb.179:                              ;   in Loop: Header=BB246_9 Depth=1
	v_and_b32_sdwa v46, v1, v18 dst_sel:DWORD dst_unused:UNUSED_PAD src0_sel:WORD_0 src1_sel:DWORD
	v_mov_b32_e32 v43, 0x7c010000
	s_mov_b32 s33, exec_lo
	v_cmpx_ne_u32_e32 0x7f, v46
	s_cbranch_execz .LBB246_183
; %bb.180:                              ;   in Loop: Header=BB246_9 Depth=1
	v_and_b32_sdwa v43, v1, v19 dst_sel:DWORD dst_unused:UNUSED_PAD src0_sel:WORD_0 src1_sel:DWORD
	v_lshrrev_b32_e32 v45, 3, v46
	s_mov_b32 s34, exec_lo
	v_cmpx_gt_u32_e32 8, v46
; %bb.181:                              ;   in Loop: Header=BB246_9 Depth=1
	v_ffbh_u32_e32 v43, v43
	v_min_u32_e32 v43, 32, v43
	v_subrev_nc_u32_e32 v45, 28, v43
	v_lshlrev_b64 v[46:47], v45, v[1:2]
	v_sub_nc_u32_e32 v45, 29, v43
	v_and_b32_e32 v43, 7, v46
; %bb.182:                              ;   in Loop: Header=BB246_9 Depth=1
	s_or_b32 exec_lo, exec_lo, s34
	v_lshlrev_b32_sdwa v1, v20, v1 dst_sel:DWORD dst_unused:UNUSED_PAD src0_sel:DWORD src1_sel:WORD_0
	v_lshl_add_u32 v45, v45, 10, 0x2000
	v_lshlrev_b32_e32 v43, 23, v43
	v_and_or_b32 v1, 0x8000, v1, v45
	v_lshl_or_b32 v43, v1, 16, v43
.LBB246_183:                            ;   in Loop: Header=BB246_9 Depth=1
	s_or_b32 exec_lo, exec_lo, s33
.LBB246_184:                            ;   in Loop: Header=BB246_9 Depth=1
	s_or_b32 exec_lo, exec_lo, s31
.LBB246_185:                            ;   in Loop: Header=BB246_9 Depth=1
	s_or_b32 exec_lo, exec_lo, s3
	global_load_ushort v8, v[7:8], off offset:648
	v_mov_b32_e32 v7, 0
	s_waitcnt vmcnt(0)
	v_and_b32_e32 v1, 0xffff, v8
	v_cmp_ne_u16_sdwa s2, v8, v2 src0_sel:BYTE_0 src1_sel:DWORD
	v_mov_b32_e32 v8, 0
	s_and_saveexec_b32 s3, s2
	s_cbranch_execz .LBB246_193
; %bb.186:                              ;   in Loop: Header=BB246_9 Depth=1
	v_cmp_ne_u16_sdwa s2, v1, v17 src0_sel:BYTE_0 src1_sel:DWORD
	v_mov_b32_e32 v8, 0x8000
	s_and_saveexec_b32 s31, s2
	s_cbranch_execz .LBB246_192
; %bb.187:                              ;   in Loop: Header=BB246_9 Depth=1
	v_and_b32_e32 v46, 0x7f, v1
	v_mov_b32_e32 v8, 0x7c01
	s_mov_b32 s33, exec_lo
	v_cmpx_ne_u32_e32 0x7f, v46
	s_cbranch_execz .LBB246_191
; %bb.188:                              ;   in Loop: Header=BB246_9 Depth=1
	v_and_b32_e32 v8, 7, v1
	v_lshrrev_b32_e32 v45, 3, v46
	s_mov_b32 s34, exec_lo
	v_cmpx_gt_u32_e32 8, v46
; %bb.189:                              ;   in Loop: Header=BB246_9 Depth=1
	v_ffbh_u32_e32 v8, v8
	v_min_u32_e32 v8, 32, v8
	v_subrev_nc_u32_e32 v45, 28, v8
	v_lshlrev_b64 v[46:47], v45, v[1:2]
	v_sub_nc_u32_e32 v45, 29, v8
	v_and_b32_e32 v8, 7, v46
; %bb.190:                              ;   in Loop: Header=BB246_9 Depth=1
	s_or_b32 exec_lo, exec_lo, s34
	v_lshlrev_b32_e32 v46, 8, v1
	v_lshl_add_u32 v45, v45, 10, 0x2000
	v_lshlrev_b32_e32 v8, 7, v8
	v_and_b32_e32 v46, 0x8000, v46
	v_and_b32_e32 v45, 0xfc00, v45
	v_or3_b32 v8, v46, v45, v8
.LBB246_191:                            ;   in Loop: Header=BB246_9 Depth=1
	s_or_b32 exec_lo, exec_lo, s33
.LBB246_192:                            ;   in Loop: Header=BB246_9 Depth=1
	s_or_b32 exec_lo, exec_lo, s31
.LBB246_193:                            ;   in Loop: Header=BB246_9 Depth=1
	s_or_b32 exec_lo, exec_lo, s3
	v_lshrrev_b16 v1, 8, v1
	s_mov_b32 s3, exec_lo
	v_cmpx_ne_u16_e32 0, v1
	s_cbranch_execz .LBB246_201
; %bb.194:                              ;   in Loop: Header=BB246_9 Depth=1
	v_bfrev_b32_e32 v7, 1
	s_mov_b32 s31, exec_lo
	v_cmpx_ne_u16_e32 0x80, v1
	s_cbranch_execz .LBB246_200
; %bb.195:                              ;   in Loop: Header=BB246_9 Depth=1
	v_and_b32_sdwa v46, v1, v18 dst_sel:DWORD dst_unused:UNUSED_PAD src0_sel:WORD_0 src1_sel:DWORD
	v_mov_b32_e32 v7, 0x7c010000
	s_mov_b32 s33, exec_lo
	v_cmpx_ne_u32_e32 0x7f, v46
	s_cbranch_execz .LBB246_199
; %bb.196:                              ;   in Loop: Header=BB246_9 Depth=1
	v_and_b32_sdwa v7, v1, v19 dst_sel:DWORD dst_unused:UNUSED_PAD src0_sel:WORD_0 src1_sel:DWORD
	v_lshrrev_b32_e32 v45, 3, v46
	s_mov_b32 s34, exec_lo
	v_cmpx_gt_u32_e32 8, v46
; %bb.197:                              ;   in Loop: Header=BB246_9 Depth=1
	v_ffbh_u32_e32 v7, v7
	v_min_u32_e32 v7, 32, v7
	v_subrev_nc_u32_e32 v45, 28, v7
	v_lshlrev_b64 v[46:47], v45, v[1:2]
	v_sub_nc_u32_e32 v45, 29, v7
	v_and_b32_e32 v7, 7, v46
; %bb.198:                              ;   in Loop: Header=BB246_9 Depth=1
	s_or_b32 exec_lo, exec_lo, s34
	v_lshlrev_b32_sdwa v1, v20, v1 dst_sel:DWORD dst_unused:UNUSED_PAD src0_sel:DWORD src1_sel:WORD_0
	v_lshl_add_u32 v45, v45, 10, 0x2000
	v_lshlrev_b32_e32 v7, 23, v7
	v_and_or_b32 v1, 0x8000, v1, v45
	v_lshl_or_b32 v7, v1, 16, v7
.LBB246_199:                            ;   in Loop: Header=BB246_9 Depth=1
	s_or_b32 exec_lo, exec_lo, s33
.LBB246_200:                            ;   in Loop: Header=BB246_9 Depth=1
	s_or_b32 exec_lo, exec_lo, s31
.LBB246_201:                            ;   in Loop: Header=BB246_9 Depth=1
	s_or_b32 exec_lo, exec_lo, s3
	ds_read_b32 v1, v14
	v_or_b32_e32 v23, v24, v23
	v_fma_mixlo_f16 v24, v22, v24, 0 op_sel:[0,1,0] op_sel_hi:[0,1,0]
	v_or_b32_e32 v26, v25, v26
	v_fma_mixlo_f16 v25, v22, v25, 0 op_sel:[0,1,0] op_sel_hi:[0,1,0]
	v_or_b32_e32 v28, v27, v28
	v_fma_mixlo_f16 v23, v22, v23, 0 op_sel_hi:[0,1,0]
	v_and_b32_e32 v48, 0xffff, v24
	v_fma_mixlo_f16 v26, v22, v26, 0 op_sel_hi:[0,1,0]
	v_and_b32_e32 v49, 0xffff, v25
	;; [unrolled: 2-line block ×3, first 2 shown]
	v_fma_mixlo_f16 v27, v22, v27, 0 op_sel:[0,1,0] op_sel_hi:[0,1,0]
	v_or_b32_e32 v30, v29, v30
	v_fma_mixlo_f16 v29, v22, v29, 0 op_sel:[0,1,0] op_sel_hi:[0,1,0]
	v_and_b32_e32 v50, 0xffff, v28
	v_or_b32_e32 v32, v31, v32
	v_and_b32_e32 v51, 0xffff, v27
	v_fma_mixlo_f16 v30, v22, v30, 0 op_sel_hi:[0,1,0]
	v_and_b32_e32 v53, 0xffff, v29
	s_waitcnt lgkmcnt(0)
	v_and_b32_e32 v45, 0xffff, v1
	v_lshrrev_b32_e32 v46, 16, v1
	;;#ASMSTART
	v_cvt_f32_f16 v1, v45;
	;;#ASMEND
	;;#ASMSTART
	v_cvt_f32_f16 v23, v46;
	;;#ASMEND
	;; [unrolled: 3-line block ×4, first 2 shown]
	ds_read_b32 v46, v14 offset:4
	v_and_b32_e32 v48, 0xffff, v26
	v_and_b32_e32 v52, 0xffff, v30
	v_fma_mixlo_f16 v32, v22, v32, 0 op_sel_hi:[0,1,0]
	v_fma_mixlo_f16 v31, v22, v31, 0 op_sel:[0,1,0] op_sel_hi:[0,1,0]
	v_or_b32_e32 v34, v33, v34
	v_fma_mixlo_f16 v33, v22, v33, 0 op_sel:[0,1,0] op_sel_hi:[0,1,0]
	v_or_b32_e32 v36, v35, v36
	v_and_b32_e32 v54, 0xffff, v32
	v_and_b32_e32 v55, 0xffff, v31
	v_fma_mixlo_f16 v34, v22, v34, 0 op_sel_hi:[0,1,0]
	v_and_b32_e32 v57, 0xffff, v33
	v_fma_mixlo_f16 v36, v22, v36, 0 op_sel_hi:[0,1,0]
	v_fma_mixlo_f16 v35, v22, v35, 0 op_sel:[0,1,0] op_sel_hi:[0,1,0]
	v_or_b32_e32 v38, v37, v38
	v_and_b32_e32 v56, 0xffff, v34
	v_fma_mixlo_f16 v37, v22, v37, 0 op_sel:[0,1,0] op_sel_hi:[0,1,0]
	v_and_b32_e32 v58, 0xffff, v36
	v_and_b32_e32 v59, 0xffff, v35
	v_fma_mixlo_f16 v38, v22, v38, 0 op_sel_hi:[0,1,0]
	s_waitcnt lgkmcnt(0)
	v_and_b32_e32 v47, 0xffff, v46
	v_lshrrev_b32_e32 v46, 16, v46
	;;#ASMSTART
	v_cvt_f32_f16 v25, v47;
	;;#ASMEND
	;;#ASMSTART
	v_cvt_f32_f16 v26, v46;
	;;#ASMEND
	;; [unrolled: 3-line block ×4, first 2 shown]
	ds_read_b32 v48, v14 offset:8
	v_and_b32_e32 v60, 0xffff, v38
	v_and_b32_e32 v61, 0xffff, v37
	v_or_b32_e32 v40, v39, v40
	v_fma_mixlo_f16 v39, v22, v39, 0 op_sel:[0,1,0] op_sel_hi:[0,1,0]
	v_mul_f32_e32 v25, v25, v46
	v_mul_f32_e32 v26, v26, v47
	v_or_b32_e32 v42, v41, v42
	v_fma_mixlo_f16 v40, v22, v40, 0 op_sel_hi:[0,1,0]
	v_and_b32_e32 v63, 0xffff, v39
	v_fmac_f32_e32 v25, v1, v24
	v_fmac_f32_e32 v26, v23, v45
	v_fma_mixlo_f16 v41, v22, v41, 0 op_sel:[0,1,0] op_sel_hi:[0,1,0]
	v_and_b32_e32 v62, 0xffff, v40
	v_fma_mixlo_f16 v42, v22, v42, 0 op_sel_hi:[0,1,0]
	v_or_b32_e32 v1, v43, v44
	v_fma_mixlo_f16 v23, v22, v43, 0 op_sel:[0,1,0] op_sel_hi:[0,1,0]
	v_or_b32_e32 v8, v7, v8
	v_fma_mixlo_f16 v7, v22, v7, 0 op_sel:[0,1,0] op_sel_hi:[0,1,0]
	v_and_b32_e32 v64, 0xffff, v42
	s_waitcnt lgkmcnt(0)
	v_and_b32_e32 v49, 0xffff, v48
	v_lshrrev_b32_e32 v48, 16, v48
	;;#ASMSTART
	v_cvt_f32_f16 v27, v49;
	;;#ASMEND
	;;#ASMSTART
	v_cvt_f32_f16 v28, v48;
	;;#ASMEND
	;; [unrolled: 3-line block ×4, first 2 shown]
	ds_read_b32 v50, v14 offset:12
	v_fmac_f32_e32 v25, v27, v48
	v_fmac_f32_e32 v26, v28, v49
	v_fma_mixlo_f16 v1, v22, v1, 0 op_sel_hi:[0,1,0]
	v_and_b32_e32 v27, 0xffff, v23
	v_fma_mixlo_f16 v8, v22, v8, 0 op_sel_hi:[0,1,0]
	v_and_b32_e32 v28, 0xffff, v1
	s_waitcnt lgkmcnt(0)
	v_and_b32_e32 v51, 0xffff, v50
	v_lshrrev_b32_e32 v50, 16, v50
	;;#ASMSTART
	v_cvt_f32_f16 v29, v51;
	;;#ASMEND
	;;#ASMSTART
	v_cvt_f32_f16 v30, v50;
	;;#ASMEND
	;; [unrolled: 3-line block ×4, first 2 shown]
	ds_read_b32 v52, v14 offset:16
	v_fmac_f32_e32 v25, v29, v50
	v_fmac_f32_e32 v26, v30, v51
	v_xor_b32_e32 v29, 2, v10
	v_and_b32_e32 v30, 0xffff, v7
	v_cmp_gt_i32_e64 s2, 32, v29
	v_cndmask_b32_e64 v7, v10, v29, s2
	v_and_b32_e32 v29, 0xffff, v8
	s_waitcnt lgkmcnt(0)
	v_and_b32_e32 v53, 0xffff, v52
	v_lshrrev_b32_e32 v52, 16, v52
	;;#ASMSTART
	v_cvt_f32_f16 v31, v53;
	;;#ASMEND
	;;#ASMSTART
	v_cvt_f32_f16 v32, v52;
	;;#ASMEND
	;;#ASMSTART
	v_cvt_f32_f16 v52, v54;
	;;#ASMEND
	;;#ASMSTART
	v_cvt_f32_f16 v53, v55;
	;;#ASMEND
	ds_read_b32 v54, v14 offset:20
	v_fmac_f32_e32 v25, v31, v52
	v_fmac_f32_e32 v26, v32, v53
	s_waitcnt lgkmcnt(0)
	v_and_b32_e32 v55, 0xffff, v54
	v_lshrrev_b32_e32 v54, 16, v54
	;;#ASMSTART
	v_cvt_f32_f16 v33, v55;
	;;#ASMEND
	;;#ASMSTART
	v_cvt_f32_f16 v34, v54;
	;;#ASMEND
	;;#ASMSTART
	v_cvt_f32_f16 v54, v56;
	;;#ASMEND
	;;#ASMSTART
	v_cvt_f32_f16 v55, v57;
	;;#ASMEND
	ds_read_b32 v56, v14 offset:24
	v_fmac_f32_e32 v25, v33, v54
	v_fmac_f32_e32 v26, v34, v55
	;; [unrolled: 18-line block ×4, first 2 shown]
	s_waitcnt lgkmcnt(0)
	v_and_b32_e32 v61, 0xffff, v60
	v_lshrrev_b32_e32 v60, 16, v60
	;;#ASMSTART
	v_cvt_f32_f16 v39, v61;
	;;#ASMEND
	;;#ASMSTART
	v_cvt_f32_f16 v40, v60;
	;;#ASMEND
	;; [unrolled: 3-line block ×4, first 2 shown]
	ds_read_b32 v62, v14 offset:36
	v_and_b32_e32 v63, 0xffff, v41
	v_fmac_f32_e32 v25, v39, v60
	v_fmac_f32_e32 v26, v40, v61
	s_waitcnt lgkmcnt(0)
	v_and_b32_e32 v41, 0xffff, v62
	v_lshrrev_b32_e32 v62, 16, v62
	;;#ASMSTART
	v_cvt_f32_f16 v41, v41;
	;;#ASMEND
	;;#ASMSTART
	v_cvt_f32_f16 v42, v62;
	;;#ASMEND
	;;#ASMSTART
	v_cvt_f32_f16 v46, v64;
	;;#ASMEND
	;;#ASMSTART
	v_cvt_f32_f16 v47, v63;
	;;#ASMEND
	ds_read_b32 v62, v14 offset:40
	v_fmac_f32_e32 v25, v41, v46
	v_fmac_f32_e32 v26, v42, v47
	s_waitcnt lgkmcnt(0)
	v_and_b32_e32 v23, 0xffff, v62
	v_lshrrev_b32_e32 v24, 16, v62
	;;#ASMSTART
	v_cvt_f32_f16 v1, v23;
	;;#ASMEND
	;;#ASMSTART
	v_cvt_f32_f16 v23, v24;
	;;#ASMEND
	;; [unrolled: 3-line block ×4, first 2 shown]
	ds_read_b32 v28, v14 offset:44
	v_fmac_f32_e32 v25, v1, v24
	v_fmac_f32_e32 v26, v23, v27
	s_waitcnt lgkmcnt(0)
	v_and_b32_e32 v22, 0xffff, v28
	v_lshrrev_b32_e32 v28, 16, v28
	;;#ASMSTART
	v_cvt_f32_f16 v1, v22;
	;;#ASMEND
	;;#ASMSTART
	v_cvt_f32_f16 v8, v28;
	;;#ASMEND
	;; [unrolled: 3-line block ×4, first 2 shown]
	v_fmac_f32_e32 v25, v1, v22
	v_fmac_f32_e32 v26, v8, v23
	v_lshlrev_b32_e32 v1, 2, v7
	v_xor_b32_e32 v8, 1, v10
	v_add_f32_e32 v7, v25, v26
	v_cmp_gt_i32_e64 s2, 32, v8
	ds_bpermute_b32 v1, v1, v7
	v_cndmask_b32_e64 v8, v10, v8, s2
	s_waitcnt lgkmcnt(0)
	v_add_f32_e32 v1, v7, v1
	v_lshlrev_b32_e32 v7, 2, v8
	ds_bpermute_b32 v7, v7, v1
	s_and_saveexec_b32 s3, vcc_lo
	s_cbranch_execz .LBB246_8
; %bb.202:                              ;   in Loop: Header=BB246_9 Depth=1
	v_add_nc_u32_e32 v8, s4, v15
	s_waitcnt lgkmcnt(0)
	v_add_f32_e32 v1, v1, v7
	v_cmp_gt_i32_e64 s2, s11, v15
	v_cvt_f32_i32_e32 v8, v8
	v_mul_f32_e32 v8, s28, v8
	v_cndmask_b32_e64 v7, 0, v8, s1
	v_max_f32_e32 v8, v12, v12
	v_fmac_f32_e32 v7, s29, v1
	v_max_f32_e32 v1, v8, v7
	v_cndmask_b32_e64 v7, 0, v7, s2
	v_cndmask_b32_e64 v12, v12, v1, s2
	ds_write_b32 v16, v7
	s_branch .LBB246_8
.LBB246_203:
	s_or_b32 exec_lo, exec_lo, s5
.LBB246_204:
	s_or_b32 exec_lo, exec_lo, s19
	v_xor_b32_e32 v1, 16, v10
	v_xor_b32_e32 v4, 8, v10
	v_max_f32_e32 v5, v12, v12
	v_xor_b32_e32 v6, 4, v10
	v_cmp_lt_i32_e32 vcc_lo, v1, v13
	v_cndmask_b32_e32 v1, v10, v1, vcc_lo
	v_cmp_lt_i32_e32 vcc_lo, v4, v13
	v_lshlrev_b32_e32 v3, 2, v1
	v_cndmask_b32_e32 v4, v10, v4, vcc_lo
	v_cmp_lt_i32_e32 vcc_lo, v6, v13
	ds_bpermute_b32 v1, v3, v12
	v_lshlrev_b32_e32 v4, 2, v4
	v_cndmask_b32_e32 v6, v10, v6, vcc_lo
	v_and_b32_e32 v12, 31, v0
	s_waitcnt lgkmcnt(0)
	v_lshlrev_b32_e32 v7, 2, v6
	v_cmp_eq_u32_e32 vcc_lo, 0, v12
	v_max_f32_e32 v1, v1, v1
	v_max_f32_e32 v1, v5, v1
	ds_bpermute_b32 v5, v4, v1
	s_waitcnt lgkmcnt(0)
	v_max_f32_e32 v5, v5, v5
	v_max_f32_e32 v1, v1, v5
	v_lshlrev_b32_e32 v5, 2, v11
	ds_bpermute_b32 v6, v7, v1
	s_and_saveexec_b32 s1, vcc_lo
	s_cbranch_execz .LBB246_206
; %bb.205:
	s_waitcnt lgkmcnt(0)
	v_max_f32_e32 v6, v6, v6
	v_max_f32_e32 v1, v1, v1
	;; [unrolled: 1-line block ×3, first 2 shown]
	ds_write_b32 v5, v1 offset:192
.LBB246_206:
	s_or_b32 exec_lo, exec_lo, s1
	v_cmp_gt_u32_e64 s1, 4, v12
	v_mov_b32_e32 v1, 0xff7fffff
	s_waitcnt lgkmcnt(0)
	v_lshlrev_b32_e32 v6, 2, v12
	s_barrier
	buffer_gl0_inv
	s_and_saveexec_b32 s2, s1
; %bb.207:
	ds_read_b32 v1, v6 offset:192
; %bb.208:
	s_or_b32 exec_lo, exec_lo, s2
	v_xor_b32_e32 v8, 2, v10
	v_xor_b32_e32 v15, 1, v10
	v_lshlrev_b32_e32 v2, 2, v2
	v_cmp_lt_i32_e64 s2, v8, v13
	v_cndmask_b32_e64 v8, v10, v8, s2
	v_cmp_lt_i32_e64 s2, v15, v13
	v_lshlrev_b32_e32 v8, 2, v8
	v_cndmask_b32_e64 v13, v10, v15, s2
	s_lshl_b32 s2, s16, 3
	s_min_i32 s4, s2, s11
	s_waitcnt lgkmcnt(0)
	ds_bpermute_b32 v14, v8, v1
	v_max_f32_e32 v1, v1, v1
	v_lshlrev_b32_e32 v13, 2, v13
	v_cmp_gt_i32_e64 s2, s4, v0
	s_waitcnt lgkmcnt(0)
	v_max_f32_e32 v14, v14, v14
	v_max_f32_e32 v1, v1, v14
	ds_bpermute_b32 v14, v13, v1
	s_waitcnt lgkmcnt(0)
	v_max_f32_e32 v14, v14, v14
	v_max_f32_e32 v1, v1, v14
	ds_bpermute_b32 v14, v2, v1
	v_mov_b32_e32 v2, 0
	v_lshl_add_u32 v1, v0, 2, 0xe0
	s_and_saveexec_b32 s5, s2
	s_cbranch_execz .LBB246_212
; %bb.209:
	v_lshl_add_u32 v15, v0, 2, 0xe0
	v_mov_b32_e32 v2, 0
	v_mov_b32_e32 v16, v0
	s_mov_b32 s12, 0
	.p2align	6
.LBB246_210:                            ; =>This Inner Loop Header: Depth=1
	ds_read_b32 v17, v15
	v_add_nc_u32_e32 v16, 0x80, v16
	v_cmp_le_i32_e64 s3, s4, v16
	s_or_b32 s12, s3, s12
	s_waitcnt lgkmcnt(0)
	v_sub_f32_e32 v17, v17, v14
	v_mul_f32_e32 v17, 0x3fb8aa3b, v17
	v_exp_f32_e32 v17, v17
	ds_write_b32 v15, v17
	v_add_f32_e32 v2, v2, v17
	v_add_nc_u32_e32 v15, 0x200, v15
	s_andn2_b32 exec_lo, exec_lo, s12
	s_cbranch_execnz .LBB246_210
; %bb.211:
	s_or_b32 exec_lo, exec_lo, s12
.LBB246_212:
	s_or_b32 exec_lo, exec_lo, s5
	ds_bpermute_b32 v3, v3, v2
	s_waitcnt lgkmcnt(0)
	v_add_f32_e32 v2, v2, v3
	ds_bpermute_b32 v3, v4, v2
	s_waitcnt lgkmcnt(0)
	v_add_f32_e32 v2, v2, v3
	;; [unrolled: 3-line block ×5, first 2 shown]
	s_and_saveexec_b32 s3, vcc_lo
; %bb.213:
	ds_write_b32 v5, v2 offset:208
; %bb.214:
	s_or_b32 exec_lo, exec_lo, s3
	s_waitcnt lgkmcnt(0)
	s_barrier
	buffer_gl0_inv
	s_and_saveexec_b32 s3, s1
; %bb.215:
	ds_read_b32 v2, v6 offset:208
; %bb.216:
	s_or_b32 exec_lo, exec_lo, s3
	s_waitcnt lgkmcnt(0)
	ds_bpermute_b32 v3, v8, v2
	v_lshlrev_b32_e32 v4, 2, v10
	s_waitcnt lgkmcnt(0)
	v_add_f32_e32 v2, v2, v3
	ds_bpermute_b32 v3, v13, v2
	s_waitcnt lgkmcnt(0)
	v_add_f32_e32 v2, v2, v3
	v_and_b32_e32 v3, 0xffffff80, v4
	ds_bpermute_b32 v2, v3, v2
	s_and_saveexec_b32 s1, s2
	s_cbranch_execz .LBB246_219
; %bb.217:
	s_waitcnt lgkmcnt(0)
	v_add_f32_e32 v2, 0x358637bd, v2
	s_mov_b32 s2, 0
	v_div_scale_f32 v3, null, v2, v2, 1.0
	v_div_scale_f32 v6, vcc_lo, 1.0, v2, 1.0
	v_rcp_f32_e32 v4, v3
	v_fma_f32 v5, -v3, v4, 1.0
	v_fmac_f32_e32 v4, v5, v4
	v_mul_f32_e32 v5, v6, v4
	v_fma_f32 v7, -v3, v5, v6
	v_fmac_f32_e32 v5, v7, v4
	v_fma_f32 v3, -v3, v5, v6
	v_div_fmas_f32 v3, v3, v4, v5
	v_div_fixup_f32 v2, v3, v2, 1.0
	v_mov_b32_e32 v3, v0
.LBB246_218:                            ; =>This Inner Loop Header: Depth=1
	ds_read_b32 v4, v1
	v_add_nc_u32_e32 v3, 0x80, v3
	v_cmp_le_i32_e32 vcc_lo, s4, v3
	s_or_b32 s2, vcc_lo, s2
	s_waitcnt lgkmcnt(0)
	v_mul_f32_e32 v4, v2, v4
	ds_write_b32 v1, v4
	v_add_nc_u32_e32 v1, 0x200, v1
	s_andn2_b32 exec_lo, exec_lo, s2
	s_cbranch_execnz .LBB246_218
.LBB246_219:
	s_or_b32 exec_lo, exec_lo, s1
	v_mov_b32_e32 v15, 0
	v_mov_b32_e32 v14, 0
	;; [unrolled: 1-line block ×3, first 2 shown]
	s_waitcnt lgkmcnt(0)
	s_barrier
	buffer_gl0_inv
	s_and_saveexec_b32 s1, s0
	s_cbranch_execz .LBB246_421
; %bb.220:
	v_lshlrev_b32_e32 v1, 3, v12
	s_ashr_i32 s0, s18, 31
	s_add_u32 s2, s26, s18
	s_addc_u32 s0, s27, s0
	s_add_i32 s5, s16, -1
	v_add_co_u32 v3, s2, s2, v1
	v_and_b32_e32 v1, 0x7c, v9
	v_add_co_ci_u32_e64 v4, null, s0, 0, s2
	s_lshl_b64 s[2:3], s[24:25], 2
	v_mov_b32_e32 v2, 0
	s_add_u32 s0, s22, s2
	s_addc_u32 s2, s23, s3
	v_add_co_u32 v5, s0, s0, v1
	v_lshl_or_b32 v16, v11, 3, 7
	v_lshl_add_u32 v17, v11, 5, 0xe0
	v_add_co_ci_u32_e64 v6, null, s2, 0, s0
	v_mov_b32_e32 v18, 0x80
	v_mov_b32_e32 v19, 0x7f
	;; [unrolled: 1-line block ×8, first 2 shown]
	s_mov_b32 s2, -1
	s_mov_b32 s4, s17
	s_mov_b32 s3, 0xffffff
	;; [unrolled: 1-line block ×3, first 2 shown]
	s_branch .LBB246_222
.LBB246_221:                            ;   in Loop: Header=BB246_222 Depth=1
	s_or_b32 exec_lo, exec_lo, s0
	;;#ASMSTART
	v_pk_mul_f16 v1, v33, v41;

	;;#ASMEND
	;;#ASMSTART
	v_pk_mul_f16 v7, v32, v8;

	;;#ASMEND
	;; [unrolled: 4-line block ×4, first 2 shown]
	;;#ASMSTART
	v_pk_add_f16 v1, v1, v7;

	;;#ASMEND
	;;#ASMSTART
	v_pk_add_f16 v1, v1, v8;

	;;#ASMEND
	;; [unrolled: 4-line block ×3, first 2 shown]
	v_and_b32_e32 v8, 0xffff, v1
	v_add_nc_u32_e32 v22, 4, v22
	;;#ASMSTART
	v_cvt_f32_f16 v8, v8;
	;;#ASMEND
	v_lshrrev_b32_e32 v23, 16, v1
	v_add_f32_e32 v1, v9, v10
	v_add_f32_e32 v7, v34, v35
	;;#ASMSTART
	v_cvt_f32_f16 v9, v23;
	;;#ASMEND
	v_add_f32_e32 v8, v8, v9
	v_cmp_le_i32_e32 vcc_lo, s16, v22
	v_add_co_u32 v5, s0, v5, 16
	v_add_f32_e32 v14, v14, v1
	v_add_f32_e32 v15, v15, v7
	;; [unrolled: 1-line block ×3, first 2 shown]
	v_add_nc_u32_e32 v16, 32, v16
	v_add_nc_u32_e32 v17, 0x80, v17
	v_add_co_ci_u32_e64 v6, null, 0, v6, s0
	s_or_b32 s12, vcc_lo, s12
	s_andn2_b32 exec_lo, exec_lo, s12
	s_cbranch_execz .LBB246_420
.LBB246_222:                            ; =>This Inner Loop Header: Depth=1
	global_load_dword v1, v[5:6], off
	ds_read2_b64 v[23:26], v17 offset1:1
	ds_read2_b64 v[36:39], v17 offset0:2 offset1:3
	s_waitcnt lgkmcnt(1)
	;;#ASMSTART
	v_cvt_f16_f32 v30, v23;

	;;#ASMEND
	;;#ASMSTART
	v_cvt_f16_f32 v31, v24;

	;;#ASMEND
	;; [unrolled: 4-line block ×4, first 2 shown]
	s_waitcnt lgkmcnt(0)
	;;#ASMSTART
	v_cvt_f16_f32 v36, v36;

	;;#ASMEND
	;;#ASMSTART
	v_cvt_f16_f32 v34, v37;

	;;#ASMEND
	;; [unrolled: 4-line block ×4, first 2 shown]
	v_mov_b32_e32 v25, 0
	s_waitcnt vmcnt(0)
	v_mad_i64_i32 v[7:8], null, v1, s4, v[3:4]
	global_load_dwordx2 v[9:10], v[7:8], off
	global_load_dword v24, v2, s[14:15]
	s_waitcnt vmcnt(1)
	v_cmp_ne_u16_sdwa s13, v9, v2 src0_sel:BYTE_0 src1_sel:DWORD
	s_and_saveexec_b32 s0, s13
	s_cbranch_execz .LBB246_230
; %bb.223:                              ;   in Loop: Header=BB246_222 Depth=1
	v_cmp_ne_u16_sdwa s17, v9, v18 src0_sel:BYTE_0 src1_sel:DWORD
	v_mov_b32_e32 v25, 0x8000
	s_and_saveexec_b32 s13, s17
	s_cbranch_execz .LBB246_229
; %bb.224:                              ;   in Loop: Header=BB246_222 Depth=1
	v_and_b32_e32 v26, 0x7f, v9
	v_mov_b32_e32 v25, 0x7c01
	s_mov_b32 s17, exec_lo
	v_cmpx_ne_u32_e32 0x7f, v26
	s_cbranch_execz .LBB246_228
; %bb.225:                              ;   in Loop: Header=BB246_222 Depth=1
	v_and_b32_e32 v1, 7, v9
	v_lshrrev_b32_e32 v23, 3, v26
	s_mov_b32 s18, exec_lo
	v_cmpx_gt_u32_e32 8, v26
; %bb.226:                              ;   in Loop: Header=BB246_222 Depth=1
	v_ffbh_u32_e32 v1, v1
	v_min_u32_e32 v1, 32, v1
	v_subrev_nc_u32_e32 v23, 28, v1
	v_lshlrev_b64 v[25:26], v23, v[9:10]
	v_sub_nc_u32_e32 v23, 29, v1
	v_and_b32_e32 v1, 7, v25
; %bb.227:                              ;   in Loop: Header=BB246_222 Depth=1
	s_or_b32 exec_lo, exec_lo, s18
	v_lshlrev_b32_e32 v25, 8, v9
	v_lshl_add_u32 v23, v23, 10, 0x2000
	v_lshlrev_b32_e32 v1, 7, v1
	v_and_b32_e32 v25, 0x8000, v25
	v_and_b32_e32 v23, 0xfc00, v23
	v_or3_b32 v25, v25, v23, v1
.LBB246_228:                            ;   in Loop: Header=BB246_222 Depth=1
	s_or_b32 exec_lo, exec_lo, s17
.LBB246_229:                            ;   in Loop: Header=BB246_222 Depth=1
	s_or_b32 exec_lo, exec_lo, s13
.LBB246_230:                            ;   in Loop: Header=BB246_222 Depth=1
	s_or_b32 exec_lo, exec_lo, s0
	v_lshrrev_b16 v1, 8, v9
	v_mov_b32_e32 v23, 0
	v_mov_b32_e32 v26, 0
	s_mov_b32 s0, exec_lo
	v_cmpx_ne_u16_e32 0, v1
	s_cbranch_execz .LBB246_238
; %bb.231:                              ;   in Loop: Header=BB246_222 Depth=1
	v_bfrev_b32_e32 v26, 1
	s_mov_b32 s13, exec_lo
	v_cmpx_ne_u16_e32 0x80, v1
	s_cbranch_execz .LBB246_237
; %bb.232:                              ;   in Loop: Header=BB246_222 Depth=1
	v_and_b32_sdwa v28, v1, v19 dst_sel:DWORD dst_unused:UNUSED_PAD src0_sel:WORD_0 src1_sel:DWORD
	v_mov_b32_e32 v26, 0x7c010000
	s_mov_b32 s17, exec_lo
	v_cmpx_ne_u32_e32 0x7f, v28
	s_cbranch_execz .LBB246_236
; %bb.233:                              ;   in Loop: Header=BB246_222 Depth=1
	v_and_b32_sdwa v26, v1, v20 dst_sel:DWORD dst_unused:UNUSED_PAD src0_sel:WORD_0 src1_sel:DWORD
	v_lshrrev_b32_e32 v27, 3, v28
	s_mov_b32 s18, exec_lo
	v_cmpx_gt_u32_e32 8, v28
; %bb.234:                              ;   in Loop: Header=BB246_222 Depth=1
	v_ffbh_u32_e32 v26, v26
	v_min_u32_e32 v28, 32, v26
	v_subrev_nc_u32_e32 v26, 28, v28
	v_lshlrev_b64 v[26:27], v26, v[1:2]
	v_sub_nc_u32_e32 v27, 29, v28
	v_and_b32_e32 v26, 7, v26
; %bb.235:                              ;   in Loop: Header=BB246_222 Depth=1
	s_or_b32 exec_lo, exec_lo, s18
	v_lshlrev_b32_sdwa v1, v21, v1 dst_sel:DWORD dst_unused:UNUSED_PAD src0_sel:DWORD src1_sel:WORD_0
	v_lshl_add_u32 v27, v27, 10, 0x2000
	v_lshlrev_b32_e32 v26, 23, v26
	v_and_or_b32 v1, 0x8000, v1, v27
	v_lshl_or_b32 v26, v1, 16, v26
.LBB246_236:                            ;   in Loop: Header=BB246_222 Depth=1
	s_or_b32 exec_lo, exec_lo, s17
.LBB246_237:                            ;   in Loop: Header=BB246_222 Depth=1
	s_or_b32 exec_lo, exec_lo, s13
.LBB246_238:                            ;   in Loop: Header=BB246_222 Depth=1
	s_or_b32 exec_lo, exec_lo, s0
	v_lshrrev_b32_e32 v1, 16, v9
	v_cmp_ne_u16_sdwa s13, v1, v2 src0_sel:BYTE_0 src1_sel:DWORD
	s_and_saveexec_b32 s0, s13
	s_cbranch_execz .LBB246_246
; %bb.239:                              ;   in Loop: Header=BB246_222 Depth=1
	v_cmp_ne_u16_sdwa s17, v1, v18 src0_sel:BYTE_0 src1_sel:DWORD
	v_mov_b32_e32 v23, 0x8000
	s_and_saveexec_b32 s13, s17
	s_cbranch_execz .LBB246_245
; %bb.240:                              ;   in Loop: Header=BB246_222 Depth=1
	v_bfe_u32 v28, v9, 16, 7
	v_mov_b32_e32 v23, 0x7c01
	s_mov_b32 s17, exec_lo
	v_cmpx_ne_u32_e32 0x7f, v28
	s_cbranch_execz .LBB246_244
; %bb.241:                              ;   in Loop: Header=BB246_222 Depth=1
	v_and_b32_e32 v23, 7, v1
	v_lshrrev_b32_e32 v27, 3, v28
	s_mov_b32 s18, exec_lo
	v_cmpx_gt_u32_e32 8, v28
; %bb.242:                              ;   in Loop: Header=BB246_222 Depth=1
	v_ffbh_u32_e32 v23, v23
	v_min_u32_e32 v23, 32, v23
	v_subrev_nc_u32_e32 v27, 28, v23
	v_lshlrev_b64 v[28:29], v27, v[1:2]
	v_sub_nc_u32_e32 v27, 29, v23
	v_and_b32_e32 v23, 7, v28
; %bb.243:                              ;   in Loop: Header=BB246_222 Depth=1
	s_or_b32 exec_lo, exec_lo, s18
	v_lshlrev_b32_e32 v1, 8, v1
	v_lshl_add_u32 v27, v27, 10, 0x2000
	v_lshlrev_b32_e32 v23, 7, v23
	v_and_b32_e32 v1, 0x8000, v1
	v_and_b32_e32 v27, 0xfc00, v27
	v_or3_b32 v23, v1, v27, v23
.LBB246_244:                            ;   in Loop: Header=BB246_222 Depth=1
	s_or_b32 exec_lo, exec_lo, s17
.LBB246_245:                            ;   in Loop: Header=BB246_222 Depth=1
	s_or_b32 exec_lo, exec_lo, s13
.LBB246_246:                            ;   in Loop: Header=BB246_222 Depth=1
	s_or_b32 exec_lo, exec_lo, s0
	v_mov_b32_e32 v27, 0
	v_mov_b32_e32 v28, 0
	s_mov_b32 s0, exec_lo
	v_cmpx_lt_u32_e32 0xffffff, v9
	s_cbranch_execz .LBB246_254
; %bb.247:                              ;   in Loop: Header=BB246_222 Depth=1
	v_lshrrev_b32_e32 v1, 24, v9
	v_bfrev_b32_e32 v28, 1
	s_mov_b32 s13, exec_lo
	v_cmpx_ne_u32_e32 0x80, v1
	s_cbranch_execz .LBB246_253
; %bb.248:                              ;   in Loop: Header=BB246_222 Depth=1
	v_and_b32_e32 v38, 0x7f, v1
	v_mov_b32_e32 v28, 0x7c010000
	s_mov_b32 s17, exec_lo
	v_cmpx_ne_u32_e32 0x7f, v38
	s_cbranch_execz .LBB246_252
; %bb.249:                              ;   in Loop: Header=BB246_222 Depth=1
	v_and_b32_e32 v28, 7, v1
	v_lshrrev_b32_e32 v29, 3, v38
	s_mov_b32 s18, exec_lo
	v_cmpx_gt_u32_e32 8, v38
; %bb.250:                              ;   in Loop: Header=BB246_222 Depth=1
	v_ffbh_u32_e32 v28, v28
	v_min_u32_e32 v38, 32, v28
	v_subrev_nc_u32_e32 v28, 28, v38
	v_lshlrev_b64 v[28:29], v28, v[1:2]
	v_sub_nc_u32_e32 v29, 29, v38
	v_and_b32_e32 v28, 7, v28
; %bb.251:                              ;   in Loop: Header=BB246_222 Depth=1
	s_or_b32 exec_lo, exec_lo, s18
	v_lshlrev_b32_e32 v1, 8, v1
	v_lshl_add_u32 v29, v29, 10, 0x2000
	v_lshlrev_b32_e32 v28, 23, v28
	v_and_or_b32 v1, 0x8000, v1, v29
	v_lshl_or_b32 v28, v1, 16, v28
.LBB246_252:                            ;   in Loop: Header=BB246_222 Depth=1
	s_or_b32 exec_lo, exec_lo, s17
.LBB246_253:                            ;   in Loop: Header=BB246_222 Depth=1
	s_or_b32 exec_lo, exec_lo, s13
.LBB246_254:                            ;   in Loop: Header=BB246_222 Depth=1
	s_or_b32 exec_lo, exec_lo, s0
	v_mov_b32_e32 v1, v10
	v_cmp_ne_u16_sdwa s13, v10, v2 src0_sel:BYTE_0 src1_sel:DWORD
	s_and_saveexec_b32 s0, s13
	s_cbranch_execz .LBB246_262
; %bb.255:                              ;   in Loop: Header=BB246_222 Depth=1
	v_cmp_ne_u16_sdwa s17, v10, v18 src0_sel:BYTE_0 src1_sel:DWORD
	v_mov_b32_e32 v27, 0x8000
	s_and_saveexec_b32 s13, s17
	s_cbranch_execz .LBB246_261
; %bb.256:                              ;   in Loop: Header=BB246_222 Depth=1
	v_and_b32_e32 v38, 0x7f, v10
	v_mov_b32_e32 v27, 0x7c01
	s_mov_b32 s17, exec_lo
	v_cmpx_ne_u32_e32 0x7f, v38
	s_cbranch_execz .LBB246_260
; %bb.257:                              ;   in Loop: Header=BB246_222 Depth=1
	v_and_b32_e32 v27, 7, v10
	v_lshrrev_b32_e32 v29, 3, v38
	s_mov_b32 s18, exec_lo
	v_cmpx_gt_u32_e32 8, v38
; %bb.258:                              ;   in Loop: Header=BB246_222 Depth=1
	v_ffbh_u32_e32 v27, v27
	v_min_u32_e32 v27, 32, v27
	v_subrev_nc_u32_e32 v29, 28, v27
	v_lshlrev_b64 v[38:39], v29, v[1:2]
	v_sub_nc_u32_e32 v29, 29, v27
	v_and_b32_e32 v27, 7, v38
; %bb.259:                              ;   in Loop: Header=BB246_222 Depth=1
	s_or_b32 exec_lo, exec_lo, s18
	v_lshlrev_b32_e32 v38, 8, v10
	v_lshl_add_u32 v29, v29, 10, 0x2000
	v_lshlrev_b32_e32 v27, 7, v27
	v_and_b32_e32 v38, 0x8000, v38
	v_and_b32_e32 v29, 0xfc00, v29
	v_or3_b32 v27, v38, v29, v27
.LBB246_260:                            ;   in Loop: Header=BB246_222 Depth=1
	s_or_b32 exec_lo, exec_lo, s17
.LBB246_261:                            ;   in Loop: Header=BB246_222 Depth=1
	s_or_b32 exec_lo, exec_lo, s13
.LBB246_262:                            ;   in Loop: Header=BB246_222 Depth=1
	s_or_b32 exec_lo, exec_lo, s0
	v_lshrrev_b16 v1, 8, v1
	v_mov_b32_e32 v38, 0
	v_mov_b32_e32 v29, 0
	s_mov_b32 s0, exec_lo
	v_cmpx_ne_u16_e32 0, v1
	s_cbranch_execz .LBB246_270
; %bb.263:                              ;   in Loop: Header=BB246_222 Depth=1
	v_bfrev_b32_e32 v29, 1
	s_mov_b32 s13, exec_lo
	v_cmpx_ne_u16_e32 0x80, v1
	s_cbranch_execz .LBB246_269
; %bb.264:                              ;   in Loop: Header=BB246_222 Depth=1
	v_and_b32_sdwa v40, v1, v19 dst_sel:DWORD dst_unused:UNUSED_PAD src0_sel:WORD_0 src1_sel:DWORD
	v_mov_b32_e32 v29, 0x7c010000
	s_mov_b32 s17, exec_lo
	v_cmpx_ne_u32_e32 0x7f, v40
	s_cbranch_execz .LBB246_268
; %bb.265:                              ;   in Loop: Header=BB246_222 Depth=1
	v_and_b32_sdwa v29, v1, v20 dst_sel:DWORD dst_unused:UNUSED_PAD src0_sel:WORD_0 src1_sel:DWORD
	v_lshrrev_b32_e32 v39, 3, v40
	s_mov_b32 s18, exec_lo
	v_cmpx_gt_u32_e32 8, v40
; %bb.266:                              ;   in Loop: Header=BB246_222 Depth=1
	v_ffbh_u32_e32 v29, v29
	v_min_u32_e32 v29, 32, v29
	v_subrev_nc_u32_e32 v39, 28, v29
	v_lshlrev_b64 v[40:41], v39, v[1:2]
	v_sub_nc_u32_e32 v39, 29, v29
	v_and_b32_e32 v29, 7, v40
; %bb.267:                              ;   in Loop: Header=BB246_222 Depth=1
	s_or_b32 exec_lo, exec_lo, s18
	v_lshlrev_b32_sdwa v1, v21, v1 dst_sel:DWORD dst_unused:UNUSED_PAD src0_sel:DWORD src1_sel:WORD_0
	v_lshl_add_u32 v39, v39, 10, 0x2000
	v_lshlrev_b32_e32 v29, 23, v29
	v_and_or_b32 v1, 0x8000, v1, v39
	v_lshl_or_b32 v29, v1, 16, v29
.LBB246_268:                            ;   in Loop: Header=BB246_222 Depth=1
	s_or_b32 exec_lo, exec_lo, s17
.LBB246_269:                            ;   in Loop: Header=BB246_222 Depth=1
	s_or_b32 exec_lo, exec_lo, s13
.LBB246_270:                            ;   in Loop: Header=BB246_222 Depth=1
	s_or_b32 exec_lo, exec_lo, s0
	v_lshrrev_b32_e32 v1, 16, v10
	v_cmp_ne_u16_sdwa s13, v1, v2 src0_sel:BYTE_0 src1_sel:DWORD
	s_and_saveexec_b32 s0, s13
	s_cbranch_execz .LBB246_278
; %bb.271:                              ;   in Loop: Header=BB246_222 Depth=1
	v_cmp_ne_u16_sdwa s17, v1, v18 src0_sel:BYTE_0 src1_sel:DWORD
	v_mov_b32_e32 v38, 0x8000
	s_and_saveexec_b32 s13, s17
	s_cbranch_execz .LBB246_277
; %bb.272:                              ;   in Loop: Header=BB246_222 Depth=1
	v_bfe_u32 v40, v10, 16, 7
	v_mov_b32_e32 v38, 0x7c01
	s_mov_b32 s17, exec_lo
	v_cmpx_ne_u32_e32 0x7f, v40
	s_cbranch_execz .LBB246_276
; %bb.273:                              ;   in Loop: Header=BB246_222 Depth=1
	v_and_b32_e32 v38, 7, v1
	v_lshrrev_b32_e32 v39, 3, v40
	s_mov_b32 s18, exec_lo
	v_cmpx_gt_u32_e32 8, v40
; %bb.274:                              ;   in Loop: Header=BB246_222 Depth=1
	v_ffbh_u32_e32 v38, v38
	v_min_u32_e32 v40, 32, v38
	v_subrev_nc_u32_e32 v38, 28, v40
	v_lshlrev_b64 v[38:39], v38, v[1:2]
	v_sub_nc_u32_e32 v39, 29, v40
	v_and_b32_e32 v38, 7, v38
; %bb.275:                              ;   in Loop: Header=BB246_222 Depth=1
	s_or_b32 exec_lo, exec_lo, s18
	v_lshlrev_b32_e32 v1, 8, v1
	v_lshl_add_u32 v39, v39, 10, 0x2000
	v_lshlrev_b32_e32 v38, 7, v38
	v_and_b32_e32 v1, 0x8000, v1
	v_and_b32_e32 v39, 0xfc00, v39
	v_or3_b32 v38, v1, v39, v38
.LBB246_276:                            ;   in Loop: Header=BB246_222 Depth=1
	s_or_b32 exec_lo, exec_lo, s17
.LBB246_277:                            ;   in Loop: Header=BB246_222 Depth=1
	s_or_b32 exec_lo, exec_lo, s13
.LBB246_278:                            ;   in Loop: Header=BB246_222 Depth=1
	s_or_b32 exec_lo, exec_lo, s0
	v_cmp_lt_u64_e32 vcc_lo, s[2:3], v[9:10]
	v_mov_b32_e32 v9, 0
	s_and_saveexec_b32 s0, vcc_lo
	s_cbranch_execz .LBB246_286
; %bb.279:                              ;   in Loop: Header=BB246_222 Depth=1
	v_lshrrev_b32_e32 v1, 24, v10
	v_bfrev_b32_e32 v9, 1
	s_mov_b32 s13, exec_lo
	v_cmpx_ne_u32_e32 0x80, v1
	s_cbranch_execz .LBB246_285
; %bb.280:                              ;   in Loop: Header=BB246_222 Depth=1
	v_and_b32_e32 v39, 0x7f, v1
	v_mov_b32_e32 v9, 0x7c010000
	s_mov_b32 s17, exec_lo
	v_cmpx_ne_u32_e32 0x7f, v39
	s_cbranch_execz .LBB246_284
; %bb.281:                              ;   in Loop: Header=BB246_222 Depth=1
	v_and_b32_e32 v9, 7, v1
	v_lshrrev_b32_e32 v10, 3, v39
	s_mov_b32 s18, exec_lo
	v_cmpx_gt_u32_e32 8, v39
; %bb.282:                              ;   in Loop: Header=BB246_222 Depth=1
	v_ffbh_u32_e32 v9, v9
	v_min_u32_e32 v39, 32, v9
	v_subrev_nc_u32_e32 v9, 28, v39
	v_lshlrev_b64 v[9:10], v9, v[1:2]
	v_sub_nc_u32_e32 v10, 29, v39
	v_and_b32_e32 v9, 7, v9
; %bb.283:                              ;   in Loop: Header=BB246_222 Depth=1
	s_or_b32 exec_lo, exec_lo, s18
	v_lshlrev_b32_e32 v1, 8, v1
	v_lshl_add_u32 v10, v10, 10, 0x2000
	v_lshlrev_b32_e32 v9, 23, v9
	v_and_or_b32 v1, 0x8000, v1, v10
	v_lshl_or_b32 v9, v1, 16, v9
.LBB246_284:                            ;   in Loop: Header=BB246_222 Depth=1
	s_or_b32 exec_lo, exec_lo, s17
.LBB246_285:                            ;   in Loop: Header=BB246_222 Depth=1
	s_or_b32 exec_lo, exec_lo, s13
.LBB246_286:                            ;   in Loop: Header=BB246_222 Depth=1
	s_or_b32 exec_lo, exec_lo, s0
	v_or_b32_e32 v1, v28, v23
	s_waitcnt vmcnt(0)
	v_fma_mixlo_f16 v10, v24, v28, 0 op_sel:[0,1,0] op_sel_hi:[0,1,0]
	v_or_b32_e32 v25, v26, v25
	v_fma_mixlo_f16 v26, v24, v26, 0 op_sel:[0,1,0] op_sel_hi:[0,1,0]
	v_or_b32_e32 v27, v29, v27
	v_fma_mixlo_f16 v1, v24, v1, 0 op_sel_hi:[0,1,0]
	v_or_b32_e32 v28, v9, v38
	v_fma_mixlo_f16 v9, v24, v9, 0 op_sel:[0,1,0] op_sel_hi:[0,1,0]
	v_lshlrev_b32_e32 v44, 16, v26
	v_fma_mixlo_f16 v26, v24, v27, 0 op_sel_hi:[0,1,0]
	v_and_b32_e32 v41, 0xffff, v1
	v_fma_mixlo_f16 v1, v24, v25, 0 op_sel_hi:[0,1,0]
	v_fma_mixlo_f16 v25, v24, v29, 0 op_sel:[0,1,0] op_sel_hi:[0,1,0]
	v_fma_mixlo_f16 v24, v24, v28, 0 op_sel_hi:[0,1,0]
	v_lshlrev_b32_e32 v10, 16, v10
	v_and_b32_e32 v45, 0xffff, v26
	v_and_b32_e32 v46, 0xffff, v1
	v_lshlrev_b32_e32 v42, 16, v25
	v_lshlrev_b32_e32 v39, 16, v9
	v_and_b32_e32 v43, 0xffff, v24
	v_add_nc_u32_e32 v23, -7, v16
	v_cmp_eq_u32_e32 vcc_lo, s5, v22
	v_or_b32_e32 v1, v10, v41
	v_or_b32_e32 v9, v44, v46
	;; [unrolled: 1-line block ×4, first 2 shown]
	v_add_nc_u32_e32 v29, -6, v16
	v_add_nc_u32_e32 v28, -5, v16
	v_add_nc_u32_e32 v27, -4, v16
	v_add_nc_u32_e32 v26, -3, v16
	v_add_nc_u32_e32 v25, -2, v16
	v_add_nc_u32_e32 v24, -1, v16
	s_and_saveexec_b32 s13, vcc_lo
	s_cbranch_execz .LBB246_288
; %bb.287:                              ;   in Loop: Header=BB246_222 Depth=1
	v_cmp_gt_i32_e64 s0, s11, v23
	v_cndmask_b32_e64 v1, 0, v46, s0
	v_cmp_gt_i32_e64 s0, s11, v29
	v_cndmask_b32_e64 v9, 0, v44, s0
	v_cmp_gt_i32_e64 s0, s11, v28
	v_or_b32_e32 v9, v9, v1
	v_cndmask_b32_e64 v38, 0, v41, s0
	v_cmp_gt_i32_e64 s0, s11, v27
	v_cndmask_b32_e64 v10, 0, v10, s0
	v_cmp_gt_i32_e64 s0, s11, v26
	v_or_b32_e32 v1, v10, v38
	;; [unrolled: 5-line block ×3, first 2 shown]
	v_cndmask_b32_e64 v42, 0, v43, s0
	v_cmp_gt_i32_e64 s0, s11, v16
	v_cndmask_b32_e64 v39, 0, v39, s0
	v_or_b32_e32 v40, v39, v42
.LBB246_288:                            ;   in Loop: Header=BB246_222 Depth=1
	s_or_b32 exec_lo, exec_lo, s13
	v_and_b32_e32 v10, 0xffff, v30
	v_and_b32_e32 v30, 0xffff, v33
	;; [unrolled: 1-line block ×4, first 2 shown]
	v_lshl_or_b32 v33, v31, 16, v10
	v_lshl_or_b32 v32, v32, 16, v30
	;;#ASMSTART
	v_pk_mul_f16 v9, v33, v9;

	;;#ASMEND
	;;#ASMSTART
	v_pk_mul_f16 v1, v32, v1;

	;;#ASMEND
	v_lshl_or_b32 v31, v34, 16, v36
	v_lshl_or_b32 v30, v35, 16, v37
	;;#ASMSTART
	v_pk_mul_f16 v10, v31, v38;

	;;#ASMEND
	;;#ASMSTART
	v_pk_mul_f16 v34, v30, v40;

	;;#ASMEND
	;;#ASMSTART
	v_pk_add_f16 v1, v9, v1;

	;;#ASMEND
	;;#ASMSTART
	v_pk_add_f16 v1, v1, v10;
	;; [unrolled: 4-line block ×3, first 2 shown]

	;;#ASMEND
	v_and_b32_e32 v9, 0xffff, v1
	v_lshrrev_b32_e32 v1, 16, v1
	;;#ASMSTART
	v_cvt_f32_f16 v34, v9;
	;;#ASMEND
	;;#ASMSTART
	v_cvt_f32_f16 v35, v1;
	;;#ASMEND
	global_load_dwordx2 v[9:10], v[7:8], off offset:256
	v_mov_b32_e32 v37, 0
	v_mov_b32_e32 v38, 0
	global_load_dword v36, v37, s[14:15]
	s_waitcnt vmcnt(1)
	v_cmp_ne_u16_sdwa s0, v9, v2 src0_sel:BYTE_0 src1_sel:DWORD
	s_and_saveexec_b32 s13, s0
	s_cbranch_execz .LBB246_296
; %bb.289:                              ;   in Loop: Header=BB246_222 Depth=1
	v_cmp_ne_u16_sdwa s0, v9, v18 src0_sel:BYTE_0 src1_sel:DWORD
	v_mov_b32_e32 v38, 0x8000
	s_and_saveexec_b32 s17, s0
	s_cbranch_execz .LBB246_295
; %bb.290:                              ;   in Loop: Header=BB246_222 Depth=1
	v_and_b32_e32 v39, 0x7f, v9
	v_mov_b32_e32 v38, 0x7c01
	s_mov_b32 s18, exec_lo
	v_cmpx_ne_u32_e32 0x7f, v39
	s_cbranch_execz .LBB246_294
; %bb.291:                              ;   in Loop: Header=BB246_222 Depth=1
	v_and_b32_e32 v1, 7, v9
	v_lshrrev_b32_e32 v38, 3, v39
	s_mov_b32 s19, exec_lo
	v_cmpx_gt_u32_e32 8, v39
; %bb.292:                              ;   in Loop: Header=BB246_222 Depth=1
	v_ffbh_u32_e32 v1, v1
	v_min_u32_e32 v1, 32, v1
	v_subrev_nc_u32_e32 v38, 28, v1
	v_lshlrev_b64 v[39:40], v38, v[9:10]
	v_sub_nc_u32_e32 v38, 29, v1
	v_and_b32_e32 v1, 7, v39
; %bb.293:                              ;   in Loop: Header=BB246_222 Depth=1
	s_or_b32 exec_lo, exec_lo, s19
	v_lshlrev_b32_e32 v39, 8, v9
	v_lshl_add_u32 v38, v38, 10, 0x2000
	v_lshlrev_b32_e32 v1, 7, v1
	v_and_b32_e32 v39, 0x8000, v39
	v_and_b32_e32 v38, 0xfc00, v38
	v_or3_b32 v38, v39, v38, v1
.LBB246_294:                            ;   in Loop: Header=BB246_222 Depth=1
	s_or_b32 exec_lo, exec_lo, s18
.LBB246_295:                            ;   in Loop: Header=BB246_222 Depth=1
	s_or_b32 exec_lo, exec_lo, s17
.LBB246_296:                            ;   in Loop: Header=BB246_222 Depth=1
	s_or_b32 exec_lo, exec_lo, s13
	v_lshrrev_b16 v1, 8, v9
	s_mov_b32 s13, exec_lo
	v_cmpx_ne_u16_e32 0, v1
	s_cbranch_execz .LBB246_304
; %bb.297:                              ;   in Loop: Header=BB246_222 Depth=1
	v_bfrev_b32_e32 v37, 1
	s_mov_b32 s17, exec_lo
	v_cmpx_ne_u16_e32 0x80, v1
	s_cbranch_execz .LBB246_303
; %bb.298:                              ;   in Loop: Header=BB246_222 Depth=1
	v_and_b32_sdwa v40, v1, v19 dst_sel:DWORD dst_unused:UNUSED_PAD src0_sel:WORD_0 src1_sel:DWORD
	v_mov_b32_e32 v37, 0x7c010000
	s_mov_b32 s18, exec_lo
	v_cmpx_ne_u32_e32 0x7f, v40
	s_cbranch_execz .LBB246_302
; %bb.299:                              ;   in Loop: Header=BB246_222 Depth=1
	v_and_b32_sdwa v37, v1, v20 dst_sel:DWORD dst_unused:UNUSED_PAD src0_sel:WORD_0 src1_sel:DWORD
	v_lshrrev_b32_e32 v39, 3, v40
	s_mov_b32 s19, exec_lo
	v_cmpx_gt_u32_e32 8, v40
; %bb.300:                              ;   in Loop: Header=BB246_222 Depth=1
	v_ffbh_u32_e32 v37, v37
	v_min_u32_e32 v37, 32, v37
	v_subrev_nc_u32_e32 v39, 28, v37
	v_lshlrev_b64 v[40:41], v39, v[1:2]
	v_sub_nc_u32_e32 v39, 29, v37
	v_and_b32_e32 v37, 7, v40
; %bb.301:                              ;   in Loop: Header=BB246_222 Depth=1
	s_or_b32 exec_lo, exec_lo, s19
	v_lshlrev_b32_sdwa v1, v21, v1 dst_sel:DWORD dst_unused:UNUSED_PAD src0_sel:DWORD src1_sel:WORD_0
	v_lshl_add_u32 v39, v39, 10, 0x2000
	v_lshlrev_b32_e32 v37, 23, v37
	v_and_or_b32 v1, 0x8000, v1, v39
	v_lshl_or_b32 v37, v1, 16, v37
.LBB246_302:                            ;   in Loop: Header=BB246_222 Depth=1
	s_or_b32 exec_lo, exec_lo, s18
.LBB246_303:                            ;   in Loop: Header=BB246_222 Depth=1
	s_or_b32 exec_lo, exec_lo, s17
.LBB246_304:                            ;   in Loop: Header=BB246_222 Depth=1
	s_or_b32 exec_lo, exec_lo, s13
	v_lshrrev_b32_e32 v1, 16, v9
	v_mov_b32_e32 v39, 0
	v_mov_b32_e32 v40, 0
	v_cmp_ne_u16_sdwa s0, v1, v2 src0_sel:BYTE_0 src1_sel:DWORD
	s_and_saveexec_b32 s13, s0
	s_cbranch_execz .LBB246_312
; %bb.305:                              ;   in Loop: Header=BB246_222 Depth=1
	v_cmp_ne_u16_sdwa s0, v1, v18 src0_sel:BYTE_0 src1_sel:DWORD
	v_mov_b32_e32 v40, 0x8000
	s_and_saveexec_b32 s17, s0
	s_cbranch_execz .LBB246_311
; %bb.306:                              ;   in Loop: Header=BB246_222 Depth=1
	v_bfe_u32 v42, v9, 16, 7
	v_mov_b32_e32 v40, 0x7c01
	s_mov_b32 s18, exec_lo
	v_cmpx_ne_u32_e32 0x7f, v42
	s_cbranch_execz .LBB246_310
; %bb.307:                              ;   in Loop: Header=BB246_222 Depth=1
	v_and_b32_e32 v40, 7, v1
	v_lshrrev_b32_e32 v41, 3, v42
	s_mov_b32 s19, exec_lo
	v_cmpx_gt_u32_e32 8, v42
; %bb.308:                              ;   in Loop: Header=BB246_222 Depth=1
	v_ffbh_u32_e32 v40, v40
	v_min_u32_e32 v42, 32, v40
	v_subrev_nc_u32_e32 v40, 28, v42
	v_lshlrev_b64 v[40:41], v40, v[1:2]
	v_sub_nc_u32_e32 v41, 29, v42
	v_and_b32_e32 v40, 7, v40
; %bb.309:                              ;   in Loop: Header=BB246_222 Depth=1
	s_or_b32 exec_lo, exec_lo, s19
	v_lshlrev_b32_e32 v1, 8, v1
	v_lshl_add_u32 v41, v41, 10, 0x2000
	v_lshlrev_b32_e32 v40, 7, v40
	v_and_b32_e32 v1, 0x8000, v1
	v_and_b32_e32 v41, 0xfc00, v41
	v_or3_b32 v40, v1, v41, v40
.LBB246_310:                            ;   in Loop: Header=BB246_222 Depth=1
	s_or_b32 exec_lo, exec_lo, s18
.LBB246_311:                            ;   in Loop: Header=BB246_222 Depth=1
	s_or_b32 exec_lo, exec_lo, s17
.LBB246_312:                            ;   in Loop: Header=BB246_222 Depth=1
	s_or_b32 exec_lo, exec_lo, s13
	s_mov_b32 s13, exec_lo
	v_cmpx_lt_u32_e32 0xffffff, v9
	s_cbranch_execz .LBB246_320
; %bb.313:                              ;   in Loop: Header=BB246_222 Depth=1
	v_lshrrev_b32_e32 v1, 24, v9
	v_bfrev_b32_e32 v39, 1
	s_mov_b32 s17, exec_lo
	v_cmpx_ne_u32_e32 0x80, v1
	s_cbranch_execz .LBB246_319
; %bb.314:                              ;   in Loop: Header=BB246_222 Depth=1
	v_and_b32_e32 v42, 0x7f, v1
	v_mov_b32_e32 v39, 0x7c010000
	s_mov_b32 s18, exec_lo
	v_cmpx_ne_u32_e32 0x7f, v42
	s_cbranch_execz .LBB246_318
; %bb.315:                              ;   in Loop: Header=BB246_222 Depth=1
	v_and_b32_e32 v39, 7, v1
	v_lshrrev_b32_e32 v41, 3, v42
	s_mov_b32 s19, exec_lo
	v_cmpx_gt_u32_e32 8, v42
; %bb.316:                              ;   in Loop: Header=BB246_222 Depth=1
	v_ffbh_u32_e32 v39, v39
	v_min_u32_e32 v39, 32, v39
	v_subrev_nc_u32_e32 v41, 28, v39
	v_lshlrev_b64 v[42:43], v41, v[1:2]
	v_sub_nc_u32_e32 v41, 29, v39
	v_and_b32_e32 v39, 7, v42
; %bb.317:                              ;   in Loop: Header=BB246_222 Depth=1
	s_or_b32 exec_lo, exec_lo, s19
	v_lshlrev_b32_e32 v1, 8, v1
	v_lshl_add_u32 v41, v41, 10, 0x2000
	v_lshlrev_b32_e32 v39, 23, v39
	v_and_or_b32 v1, 0x8000, v1, v41
	v_lshl_or_b32 v39, v1, 16, v39
.LBB246_318:                            ;   in Loop: Header=BB246_222 Depth=1
	s_or_b32 exec_lo, exec_lo, s18
.LBB246_319:                            ;   in Loop: Header=BB246_222 Depth=1
	s_or_b32 exec_lo, exec_lo, s17
.LBB246_320:                            ;   in Loop: Header=BB246_222 Depth=1
	s_or_b32 exec_lo, exec_lo, s13
	v_mov_b32_e32 v1, v10
	v_cmp_ne_u16_sdwa s0, v10, v2 src0_sel:BYTE_0 src1_sel:DWORD
	v_mov_b32_e32 v41, 0
	v_mov_b32_e32 v42, 0
	s_and_saveexec_b32 s13, s0
	s_cbranch_execz .LBB246_328
; %bb.321:                              ;   in Loop: Header=BB246_222 Depth=1
	v_cmp_ne_u16_sdwa s0, v10, v18 src0_sel:BYTE_0 src1_sel:DWORD
	v_mov_b32_e32 v42, 0x8000
	s_and_saveexec_b32 s17, s0
	s_cbranch_execz .LBB246_327
; %bb.322:                              ;   in Loop: Header=BB246_222 Depth=1
	v_and_b32_e32 v44, 0x7f, v10
	v_mov_b32_e32 v42, 0x7c01
	s_mov_b32 s18, exec_lo
	v_cmpx_ne_u32_e32 0x7f, v44
	s_cbranch_execz .LBB246_326
; %bb.323:                              ;   in Loop: Header=BB246_222 Depth=1
	v_and_b32_e32 v42, 7, v10
	v_lshrrev_b32_e32 v43, 3, v44
	s_mov_b32 s19, exec_lo
	v_cmpx_gt_u32_e32 8, v44
; %bb.324:                              ;   in Loop: Header=BB246_222 Depth=1
	v_ffbh_u32_e32 v42, v42
	v_min_u32_e32 v44, 32, v42
	v_subrev_nc_u32_e32 v42, 28, v44
	v_lshlrev_b64 v[42:43], v42, v[1:2]
	v_sub_nc_u32_e32 v43, 29, v44
	v_and_b32_e32 v42, 7, v42
; %bb.325:                              ;   in Loop: Header=BB246_222 Depth=1
	s_or_b32 exec_lo, exec_lo, s19
	v_lshlrev_b32_e32 v44, 8, v10
	v_lshl_add_u32 v43, v43, 10, 0x2000
	v_lshlrev_b32_e32 v42, 7, v42
	v_and_b32_e32 v44, 0x8000, v44
	v_and_b32_e32 v43, 0xfc00, v43
	v_or3_b32 v42, v44, v43, v42
.LBB246_326:                            ;   in Loop: Header=BB246_222 Depth=1
	s_or_b32 exec_lo, exec_lo, s18
.LBB246_327:                            ;   in Loop: Header=BB246_222 Depth=1
	s_or_b32 exec_lo, exec_lo, s17
.LBB246_328:                            ;   in Loop: Header=BB246_222 Depth=1
	s_or_b32 exec_lo, exec_lo, s13
	v_lshrrev_b16 v1, 8, v1
	v_mov_b32_e32 v43, 0
	s_mov_b32 s13, exec_lo
	v_cmpx_ne_u16_e32 0, v1
	s_cbranch_execz .LBB246_336
; %bb.329:                              ;   in Loop: Header=BB246_222 Depth=1
	v_bfrev_b32_e32 v43, 1
	s_mov_b32 s17, exec_lo
	v_cmpx_ne_u16_e32 0x80, v1
	s_cbranch_execz .LBB246_335
; %bb.330:                              ;   in Loop: Header=BB246_222 Depth=1
	v_and_b32_sdwa v45, v1, v19 dst_sel:DWORD dst_unused:UNUSED_PAD src0_sel:WORD_0 src1_sel:DWORD
	v_mov_b32_e32 v43, 0x7c010000
	s_mov_b32 s18, exec_lo
	v_cmpx_ne_u32_e32 0x7f, v45
	s_cbranch_execz .LBB246_334
; %bb.331:                              ;   in Loop: Header=BB246_222 Depth=1
	v_and_b32_sdwa v43, v1, v20 dst_sel:DWORD dst_unused:UNUSED_PAD src0_sel:WORD_0 src1_sel:DWORD
	v_lshrrev_b32_e32 v44, 3, v45
	s_mov_b32 s19, exec_lo
	v_cmpx_gt_u32_e32 8, v45
; %bb.332:                              ;   in Loop: Header=BB246_222 Depth=1
	v_ffbh_u32_e32 v43, v43
	v_min_u32_e32 v45, 32, v43
	v_subrev_nc_u32_e32 v43, 28, v45
	v_lshlrev_b64 v[43:44], v43, v[1:2]
	v_sub_nc_u32_e32 v44, 29, v45
	v_and_b32_e32 v43, 7, v43
; %bb.333:                              ;   in Loop: Header=BB246_222 Depth=1
	s_or_b32 exec_lo, exec_lo, s19
	v_lshlrev_b32_sdwa v1, v21, v1 dst_sel:DWORD dst_unused:UNUSED_PAD src0_sel:DWORD src1_sel:WORD_0
	v_lshl_add_u32 v44, v44, 10, 0x2000
	v_lshlrev_b32_e32 v43, 23, v43
	v_and_or_b32 v1, 0x8000, v1, v44
	v_lshl_or_b32 v43, v1, 16, v43
.LBB246_334:                            ;   in Loop: Header=BB246_222 Depth=1
	s_or_b32 exec_lo, exec_lo, s18
.LBB246_335:                            ;   in Loop: Header=BB246_222 Depth=1
	s_or_b32 exec_lo, exec_lo, s17
.LBB246_336:                            ;   in Loop: Header=BB246_222 Depth=1
	s_or_b32 exec_lo, exec_lo, s13
	v_lshrrev_b32_e32 v1, 16, v10
	v_cmp_ne_u16_sdwa s0, v1, v2 src0_sel:BYTE_0 src1_sel:DWORD
	s_and_saveexec_b32 s13, s0
	s_cbranch_execz .LBB246_344
; %bb.337:                              ;   in Loop: Header=BB246_222 Depth=1
	v_cmp_ne_u16_sdwa s0, v1, v18 src0_sel:BYTE_0 src1_sel:DWORD
	v_mov_b32_e32 v41, 0x8000
	s_and_saveexec_b32 s17, s0
	s_cbranch_execz .LBB246_343
; %bb.338:                              ;   in Loop: Header=BB246_222 Depth=1
	v_bfe_u32 v45, v10, 16, 7
	v_mov_b32_e32 v41, 0x7c01
	s_mov_b32 s18, exec_lo
	v_cmpx_ne_u32_e32 0x7f, v45
	s_cbranch_execz .LBB246_342
; %bb.339:                              ;   in Loop: Header=BB246_222 Depth=1
	v_and_b32_e32 v41, 7, v1
	v_lshrrev_b32_e32 v44, 3, v45
	s_mov_b32 s19, exec_lo
	v_cmpx_gt_u32_e32 8, v45
; %bb.340:                              ;   in Loop: Header=BB246_222 Depth=1
	v_ffbh_u32_e32 v41, v41
	v_min_u32_e32 v41, 32, v41
	v_subrev_nc_u32_e32 v44, 28, v41
	v_lshlrev_b64 v[45:46], v44, v[1:2]
	v_sub_nc_u32_e32 v44, 29, v41
	v_and_b32_e32 v41, 7, v45
; %bb.341:                              ;   in Loop: Header=BB246_222 Depth=1
	s_or_b32 exec_lo, exec_lo, s19
	v_lshlrev_b32_e32 v1, 8, v1
	v_lshl_add_u32 v44, v44, 10, 0x2000
	v_lshlrev_b32_e32 v41, 7, v41
	v_and_b32_e32 v1, 0x8000, v1
	v_and_b32_e32 v44, 0xfc00, v44
	v_or3_b32 v41, v1, v44, v41
.LBB246_342:                            ;   in Loop: Header=BB246_222 Depth=1
	s_or_b32 exec_lo, exec_lo, s18
.LBB246_343:                            ;   in Loop: Header=BB246_222 Depth=1
	s_or_b32 exec_lo, exec_lo, s17
.LBB246_344:                            ;   in Loop: Header=BB246_222 Depth=1
	s_or_b32 exec_lo, exec_lo, s13
	v_cmp_lt_u64_e64 s0, s[2:3], v[9:10]
	v_mov_b32_e32 v9, 0
	s_and_saveexec_b32 s13, s0
	s_cbranch_execz .LBB246_352
; %bb.345:                              ;   in Loop: Header=BB246_222 Depth=1
	v_lshrrev_b32_e32 v1, 24, v10
	v_bfrev_b32_e32 v9, 1
	s_mov_b32 s17, exec_lo
	v_cmpx_ne_u32_e32 0x80, v1
	s_cbranch_execz .LBB246_351
; %bb.346:                              ;   in Loop: Header=BB246_222 Depth=1
	v_and_b32_e32 v44, 0x7f, v1
	v_mov_b32_e32 v9, 0x7c010000
	s_mov_b32 s18, exec_lo
	v_cmpx_ne_u32_e32 0x7f, v44
	s_cbranch_execz .LBB246_350
; %bb.347:                              ;   in Loop: Header=BB246_222 Depth=1
	v_and_b32_e32 v9, 7, v1
	v_lshrrev_b32_e32 v10, 3, v44
	s_mov_b32 s19, exec_lo
	v_cmpx_gt_u32_e32 8, v44
; %bb.348:                              ;   in Loop: Header=BB246_222 Depth=1
	v_ffbh_u32_e32 v9, v9
	v_min_u32_e32 v44, 32, v9
	v_subrev_nc_u32_e32 v9, 28, v44
	v_lshlrev_b64 v[9:10], v9, v[1:2]
	v_sub_nc_u32_e32 v10, 29, v44
	v_and_b32_e32 v9, 7, v9
; %bb.349:                              ;   in Loop: Header=BB246_222 Depth=1
	s_or_b32 exec_lo, exec_lo, s19
	v_lshlrev_b32_e32 v1, 8, v1
	v_lshl_add_u32 v10, v10, 10, 0x2000
	v_lshlrev_b32_e32 v9, 23, v9
	v_and_or_b32 v1, 0x8000, v1, v10
	v_lshl_or_b32 v9, v1, 16, v9
.LBB246_350:                            ;   in Loop: Header=BB246_222 Depth=1
	s_or_b32 exec_lo, exec_lo, s18
.LBB246_351:                            ;   in Loop: Header=BB246_222 Depth=1
	s_or_b32 exec_lo, exec_lo, s17
.LBB246_352:                            ;   in Loop: Header=BB246_222 Depth=1
	s_or_b32 exec_lo, exec_lo, s13
	v_or_b32_e32 v1, v39, v40
	s_waitcnt vmcnt(0)
	v_fma_mixlo_f16 v10, v36, v39, 0 op_sel:[0,1,0] op_sel_hi:[0,1,0]
	v_or_b32_e32 v39, v37, v38
	v_fma_mixlo_f16 v37, v36, v37, 0 op_sel:[0,1,0] op_sel_hi:[0,1,0]
	v_or_b32_e32 v40, v43, v42
	v_or_b32_e32 v41, v9, v41
	v_fma_mixlo_f16 v42, v36, v1, 0 op_sel_hi:[0,1,0]
	v_fma_mixlo_f16 v9, v36, v9, 0 op_sel:[0,1,0] op_sel_hi:[0,1,0]
	v_lshlrev_b32_e32 v38, 16, v37
	v_fma_mixlo_f16 v37, v36, v39, 0 op_sel_hi:[0,1,0]
	v_fma_mixlo_f16 v39, v36, v43, 0 op_sel:[0,1,0] op_sel_hi:[0,1,0]
	v_fma_mixlo_f16 v40, v36, v40, 0 op_sel_hi:[0,1,0]
	v_fma_mixlo_f16 v41, v36, v41, 0 op_sel_hi:[0,1,0]
	v_lshlrev_b32_e32 v1, 16, v10
	v_and_b32_e32 v10, 0xffff, v42
	v_and_b32_e32 v44, 0xffff, v37
	v_lshlrev_b32_e32 v36, 16, v39
	v_and_b32_e32 v40, 0xffff, v40
	v_lshlrev_b32_e32 v9, 16, v9
	v_and_b32_e32 v37, 0xffff, v41
	v_or_b32_e32 v39, v1, v10
	v_or_b32_e32 v43, v38, v44
	;; [unrolled: 1-line block ×4, first 2 shown]
	s_and_saveexec_b32 s13, vcc_lo
	s_cbranch_execz .LBB246_354
; %bb.353:                              ;   in Loop: Header=BB246_222 Depth=1
	v_cmp_gt_i32_e64 s0, s11, v23
	v_cndmask_b32_e64 v39, 0, v44, s0
	v_cmp_gt_i32_e64 s0, s11, v29
	v_cndmask_b32_e64 v38, 0, v38, s0
	v_cmp_gt_i32_e64 s0, s11, v28
	v_or_b32_e32 v43, v38, v39
	v_cndmask_b32_e64 v10, 0, v10, s0
	v_cmp_gt_i32_e64 s0, s11, v27
	v_cndmask_b32_e64 v1, 0, v1, s0
	v_cmp_gt_i32_e64 s0, s11, v26
	v_or_b32_e32 v39, v1, v10
	;; [unrolled: 5-line block ×3, first 2 shown]
	v_cndmask_b32_e64 v37, 0, v37, s0
	v_cmp_gt_i32_e64 s0, s11, v16
	v_cndmask_b32_e64 v9, 0, v9, s0
	v_or_b32_e32 v41, v9, v37
.LBB246_354:                            ;   in Loop: Header=BB246_222 Depth=1
	s_or_b32 exec_lo, exec_lo, s13
	;;#ASMSTART
	v_pk_mul_f16 v1, v33, v43;

	;;#ASMEND
	;;#ASMSTART
	v_pk_mul_f16 v9, v32, v39;

	;;#ASMEND
	;; [unrolled: 4-line block ×4, first 2 shown]
	;;#ASMSTART
	v_pk_add_f16 v1, v1, v9;

	;;#ASMEND
	;;#ASMSTART
	v_pk_add_f16 v1, v1, v10;

	;;#ASMEND
	;; [unrolled: 4-line block ×3, first 2 shown]
	v_and_b32_e32 v9, 0xffff, v1
	v_lshrrev_b32_e32 v1, 16, v1
	;;#ASMSTART
	v_cvt_f32_f16 v9, v9;
	;;#ASMEND
	;;#ASMSTART
	v_cvt_f32_f16 v10, v1;
	;;#ASMEND
	global_load_dwordx2 v[7:8], v[7:8], off offset:512
	v_mov_b32_e32 v37, 0
	v_mov_b32_e32 v38, 0
	global_load_dword v36, v37, s[14:15]
	s_waitcnt vmcnt(1)
	v_cmp_ne_u16_sdwa s0, v7, v2 src0_sel:BYTE_0 src1_sel:DWORD
	s_and_saveexec_b32 s13, s0
	s_cbranch_execz .LBB246_362
; %bb.355:                              ;   in Loop: Header=BB246_222 Depth=1
	v_cmp_ne_u16_sdwa s0, v7, v18 src0_sel:BYTE_0 src1_sel:DWORD
	v_mov_b32_e32 v38, 0x8000
	s_and_saveexec_b32 s17, s0
	s_cbranch_execz .LBB246_361
; %bb.356:                              ;   in Loop: Header=BB246_222 Depth=1
	v_and_b32_e32 v39, 0x7f, v7
	v_mov_b32_e32 v38, 0x7c01
	s_mov_b32 s18, exec_lo
	v_cmpx_ne_u32_e32 0x7f, v39
	s_cbranch_execz .LBB246_360
; %bb.357:                              ;   in Loop: Header=BB246_222 Depth=1
	v_and_b32_e32 v1, 7, v7
	v_lshrrev_b32_e32 v38, 3, v39
	s_mov_b32 s19, exec_lo
	v_cmpx_gt_u32_e32 8, v39
; %bb.358:                              ;   in Loop: Header=BB246_222 Depth=1
	v_ffbh_u32_e32 v1, v1
	v_min_u32_e32 v1, 32, v1
	v_subrev_nc_u32_e32 v38, 28, v1
	v_lshlrev_b64 v[39:40], v38, v[7:8]
	v_sub_nc_u32_e32 v38, 29, v1
	v_and_b32_e32 v1, 7, v39
; %bb.359:                              ;   in Loop: Header=BB246_222 Depth=1
	s_or_b32 exec_lo, exec_lo, s19
	v_lshlrev_b32_e32 v39, 8, v7
	v_lshl_add_u32 v38, v38, 10, 0x2000
	v_lshlrev_b32_e32 v1, 7, v1
	v_and_b32_e32 v39, 0x8000, v39
	v_and_b32_e32 v38, 0xfc00, v38
	v_or3_b32 v38, v39, v38, v1
.LBB246_360:                            ;   in Loop: Header=BB246_222 Depth=1
	s_or_b32 exec_lo, exec_lo, s18
.LBB246_361:                            ;   in Loop: Header=BB246_222 Depth=1
	s_or_b32 exec_lo, exec_lo, s17
.LBB246_362:                            ;   in Loop: Header=BB246_222 Depth=1
	s_or_b32 exec_lo, exec_lo, s13
	v_lshrrev_b16 v1, 8, v7
	s_mov_b32 s13, exec_lo
	v_cmpx_ne_u16_e32 0, v1
	s_cbranch_execz .LBB246_370
; %bb.363:                              ;   in Loop: Header=BB246_222 Depth=1
	v_bfrev_b32_e32 v37, 1
	s_mov_b32 s17, exec_lo
	v_cmpx_ne_u16_e32 0x80, v1
	s_cbranch_execz .LBB246_369
; %bb.364:                              ;   in Loop: Header=BB246_222 Depth=1
	v_and_b32_sdwa v40, v1, v19 dst_sel:DWORD dst_unused:UNUSED_PAD src0_sel:WORD_0 src1_sel:DWORD
	v_mov_b32_e32 v37, 0x7c010000
	s_mov_b32 s18, exec_lo
	v_cmpx_ne_u32_e32 0x7f, v40
	s_cbranch_execz .LBB246_368
; %bb.365:                              ;   in Loop: Header=BB246_222 Depth=1
	v_and_b32_sdwa v37, v1, v20 dst_sel:DWORD dst_unused:UNUSED_PAD src0_sel:WORD_0 src1_sel:DWORD
	v_lshrrev_b32_e32 v39, 3, v40
	s_mov_b32 s19, exec_lo
	v_cmpx_gt_u32_e32 8, v40
; %bb.366:                              ;   in Loop: Header=BB246_222 Depth=1
	v_ffbh_u32_e32 v37, v37
	v_min_u32_e32 v37, 32, v37
	v_subrev_nc_u32_e32 v39, 28, v37
	v_lshlrev_b64 v[40:41], v39, v[1:2]
	v_sub_nc_u32_e32 v39, 29, v37
	v_and_b32_e32 v37, 7, v40
; %bb.367:                              ;   in Loop: Header=BB246_222 Depth=1
	s_or_b32 exec_lo, exec_lo, s19
	v_lshlrev_b32_sdwa v1, v21, v1 dst_sel:DWORD dst_unused:UNUSED_PAD src0_sel:DWORD src1_sel:WORD_0
	v_lshl_add_u32 v39, v39, 10, 0x2000
	v_lshlrev_b32_e32 v37, 23, v37
	v_and_or_b32 v1, 0x8000, v1, v39
	v_lshl_or_b32 v37, v1, 16, v37
.LBB246_368:                            ;   in Loop: Header=BB246_222 Depth=1
	s_or_b32 exec_lo, exec_lo, s18
.LBB246_369:                            ;   in Loop: Header=BB246_222 Depth=1
	s_or_b32 exec_lo, exec_lo, s17
.LBB246_370:                            ;   in Loop: Header=BB246_222 Depth=1
	s_or_b32 exec_lo, exec_lo, s13
	v_lshrrev_b32_e32 v1, 16, v7
	v_mov_b32_e32 v39, 0
	v_mov_b32_e32 v40, 0
	v_cmp_ne_u16_sdwa s0, v1, v2 src0_sel:BYTE_0 src1_sel:DWORD
	s_and_saveexec_b32 s13, s0
	s_cbranch_execz .LBB246_378
; %bb.371:                              ;   in Loop: Header=BB246_222 Depth=1
	v_cmp_ne_u16_sdwa s0, v1, v18 src0_sel:BYTE_0 src1_sel:DWORD
	v_mov_b32_e32 v40, 0x8000
	s_and_saveexec_b32 s17, s0
	s_cbranch_execz .LBB246_377
; %bb.372:                              ;   in Loop: Header=BB246_222 Depth=1
	v_bfe_u32 v42, v7, 16, 7
	v_mov_b32_e32 v40, 0x7c01
	s_mov_b32 s18, exec_lo
	v_cmpx_ne_u32_e32 0x7f, v42
	s_cbranch_execz .LBB246_376
; %bb.373:                              ;   in Loop: Header=BB246_222 Depth=1
	v_and_b32_e32 v40, 7, v1
	v_lshrrev_b32_e32 v41, 3, v42
	s_mov_b32 s19, exec_lo
	v_cmpx_gt_u32_e32 8, v42
; %bb.374:                              ;   in Loop: Header=BB246_222 Depth=1
	v_ffbh_u32_e32 v40, v40
	v_min_u32_e32 v42, 32, v40
	v_subrev_nc_u32_e32 v40, 28, v42
	v_lshlrev_b64 v[40:41], v40, v[1:2]
	v_sub_nc_u32_e32 v41, 29, v42
	v_and_b32_e32 v40, 7, v40
; %bb.375:                              ;   in Loop: Header=BB246_222 Depth=1
	s_or_b32 exec_lo, exec_lo, s19
	v_lshlrev_b32_e32 v1, 8, v1
	v_lshl_add_u32 v41, v41, 10, 0x2000
	v_lshlrev_b32_e32 v40, 7, v40
	v_and_b32_e32 v1, 0x8000, v1
	v_and_b32_e32 v41, 0xfc00, v41
	v_or3_b32 v40, v1, v41, v40
.LBB246_376:                            ;   in Loop: Header=BB246_222 Depth=1
	s_or_b32 exec_lo, exec_lo, s18
.LBB246_377:                            ;   in Loop: Header=BB246_222 Depth=1
	s_or_b32 exec_lo, exec_lo, s17
.LBB246_378:                            ;   in Loop: Header=BB246_222 Depth=1
	s_or_b32 exec_lo, exec_lo, s13
	s_mov_b32 s13, exec_lo
	v_cmpx_lt_u32_e32 0xffffff, v7
	s_cbranch_execz .LBB246_386
; %bb.379:                              ;   in Loop: Header=BB246_222 Depth=1
	v_lshrrev_b32_e32 v1, 24, v7
	v_bfrev_b32_e32 v39, 1
	s_mov_b32 s17, exec_lo
	v_cmpx_ne_u32_e32 0x80, v1
	s_cbranch_execz .LBB246_385
; %bb.380:                              ;   in Loop: Header=BB246_222 Depth=1
	v_and_b32_e32 v42, 0x7f, v1
	v_mov_b32_e32 v39, 0x7c010000
	s_mov_b32 s18, exec_lo
	v_cmpx_ne_u32_e32 0x7f, v42
	s_cbranch_execz .LBB246_384
; %bb.381:                              ;   in Loop: Header=BB246_222 Depth=1
	v_and_b32_e32 v39, 7, v1
	v_lshrrev_b32_e32 v41, 3, v42
	s_mov_b32 s19, exec_lo
	v_cmpx_gt_u32_e32 8, v42
; %bb.382:                              ;   in Loop: Header=BB246_222 Depth=1
	v_ffbh_u32_e32 v39, v39
	v_min_u32_e32 v39, 32, v39
	v_subrev_nc_u32_e32 v41, 28, v39
	v_lshlrev_b64 v[42:43], v41, v[1:2]
	v_sub_nc_u32_e32 v41, 29, v39
	v_and_b32_e32 v39, 7, v42
; %bb.383:                              ;   in Loop: Header=BB246_222 Depth=1
	s_or_b32 exec_lo, exec_lo, s19
	v_lshlrev_b32_e32 v1, 8, v1
	v_lshl_add_u32 v41, v41, 10, 0x2000
	v_lshlrev_b32_e32 v39, 23, v39
	v_and_or_b32 v1, 0x8000, v1, v41
	v_lshl_or_b32 v39, v1, 16, v39
.LBB246_384:                            ;   in Loop: Header=BB246_222 Depth=1
	s_or_b32 exec_lo, exec_lo, s18
.LBB246_385:                            ;   in Loop: Header=BB246_222 Depth=1
	s_or_b32 exec_lo, exec_lo, s17
.LBB246_386:                            ;   in Loop: Header=BB246_222 Depth=1
	s_or_b32 exec_lo, exec_lo, s13
	v_mov_b32_e32 v1, v8
	v_cmp_ne_u16_sdwa s0, v8, v2 src0_sel:BYTE_0 src1_sel:DWORD
	v_mov_b32_e32 v41, 0
	v_mov_b32_e32 v42, 0
	s_and_saveexec_b32 s13, s0
	s_cbranch_execz .LBB246_394
; %bb.387:                              ;   in Loop: Header=BB246_222 Depth=1
	v_cmp_ne_u16_sdwa s0, v8, v18 src0_sel:BYTE_0 src1_sel:DWORD
	v_mov_b32_e32 v42, 0x8000
	s_and_saveexec_b32 s17, s0
	s_cbranch_execz .LBB246_393
; %bb.388:                              ;   in Loop: Header=BB246_222 Depth=1
	v_and_b32_e32 v44, 0x7f, v8
	v_mov_b32_e32 v42, 0x7c01
	s_mov_b32 s18, exec_lo
	v_cmpx_ne_u32_e32 0x7f, v44
	s_cbranch_execz .LBB246_392
; %bb.389:                              ;   in Loop: Header=BB246_222 Depth=1
	v_and_b32_e32 v42, 7, v8
	v_lshrrev_b32_e32 v43, 3, v44
	s_mov_b32 s19, exec_lo
	v_cmpx_gt_u32_e32 8, v44
; %bb.390:                              ;   in Loop: Header=BB246_222 Depth=1
	v_ffbh_u32_e32 v42, v42
	v_min_u32_e32 v44, 32, v42
	v_subrev_nc_u32_e32 v42, 28, v44
	v_lshlrev_b64 v[42:43], v42, v[1:2]
	v_sub_nc_u32_e32 v43, 29, v44
	v_and_b32_e32 v42, 7, v42
; %bb.391:                              ;   in Loop: Header=BB246_222 Depth=1
	s_or_b32 exec_lo, exec_lo, s19
	v_lshlrev_b32_e32 v44, 8, v8
	v_lshl_add_u32 v43, v43, 10, 0x2000
	v_lshlrev_b32_e32 v42, 7, v42
	v_and_b32_e32 v44, 0x8000, v44
	v_and_b32_e32 v43, 0xfc00, v43
	v_or3_b32 v42, v44, v43, v42
.LBB246_392:                            ;   in Loop: Header=BB246_222 Depth=1
	s_or_b32 exec_lo, exec_lo, s18
.LBB246_393:                            ;   in Loop: Header=BB246_222 Depth=1
	s_or_b32 exec_lo, exec_lo, s17
.LBB246_394:                            ;   in Loop: Header=BB246_222 Depth=1
	s_or_b32 exec_lo, exec_lo, s13
	v_lshrrev_b16 v1, 8, v1
	v_mov_b32_e32 v43, 0
	s_mov_b32 s13, exec_lo
	v_cmpx_ne_u16_e32 0, v1
	s_cbranch_execz .LBB246_402
; %bb.395:                              ;   in Loop: Header=BB246_222 Depth=1
	v_bfrev_b32_e32 v43, 1
	s_mov_b32 s17, exec_lo
	v_cmpx_ne_u16_e32 0x80, v1
	s_cbranch_execz .LBB246_401
; %bb.396:                              ;   in Loop: Header=BB246_222 Depth=1
	v_and_b32_sdwa v45, v1, v19 dst_sel:DWORD dst_unused:UNUSED_PAD src0_sel:WORD_0 src1_sel:DWORD
	v_mov_b32_e32 v43, 0x7c010000
	s_mov_b32 s18, exec_lo
	v_cmpx_ne_u32_e32 0x7f, v45
	s_cbranch_execz .LBB246_400
; %bb.397:                              ;   in Loop: Header=BB246_222 Depth=1
	v_and_b32_sdwa v43, v1, v20 dst_sel:DWORD dst_unused:UNUSED_PAD src0_sel:WORD_0 src1_sel:DWORD
	v_lshrrev_b32_e32 v44, 3, v45
	s_mov_b32 s19, exec_lo
	v_cmpx_gt_u32_e32 8, v45
; %bb.398:                              ;   in Loop: Header=BB246_222 Depth=1
	v_ffbh_u32_e32 v43, v43
	v_min_u32_e32 v45, 32, v43
	v_subrev_nc_u32_e32 v43, 28, v45
	v_lshlrev_b64 v[43:44], v43, v[1:2]
	v_sub_nc_u32_e32 v44, 29, v45
	v_and_b32_e32 v43, 7, v43
; %bb.399:                              ;   in Loop: Header=BB246_222 Depth=1
	s_or_b32 exec_lo, exec_lo, s19
	v_lshlrev_b32_sdwa v1, v21, v1 dst_sel:DWORD dst_unused:UNUSED_PAD src0_sel:DWORD src1_sel:WORD_0
	v_lshl_add_u32 v44, v44, 10, 0x2000
	v_lshlrev_b32_e32 v43, 23, v43
	v_and_or_b32 v1, 0x8000, v1, v44
	v_lshl_or_b32 v43, v1, 16, v43
.LBB246_400:                            ;   in Loop: Header=BB246_222 Depth=1
	s_or_b32 exec_lo, exec_lo, s18
.LBB246_401:                            ;   in Loop: Header=BB246_222 Depth=1
	s_or_b32 exec_lo, exec_lo, s17
.LBB246_402:                            ;   in Loop: Header=BB246_222 Depth=1
	s_or_b32 exec_lo, exec_lo, s13
	v_lshrrev_b32_e32 v1, 16, v8
	v_cmp_ne_u16_sdwa s0, v1, v2 src0_sel:BYTE_0 src1_sel:DWORD
	s_and_saveexec_b32 s13, s0
	s_cbranch_execz .LBB246_410
; %bb.403:                              ;   in Loop: Header=BB246_222 Depth=1
	v_cmp_ne_u16_sdwa s0, v1, v18 src0_sel:BYTE_0 src1_sel:DWORD
	v_mov_b32_e32 v41, 0x8000
	s_and_saveexec_b32 s17, s0
	s_cbranch_execz .LBB246_409
; %bb.404:                              ;   in Loop: Header=BB246_222 Depth=1
	v_bfe_u32 v45, v8, 16, 7
	v_mov_b32_e32 v41, 0x7c01
	s_mov_b32 s18, exec_lo
	v_cmpx_ne_u32_e32 0x7f, v45
	s_cbranch_execz .LBB246_408
; %bb.405:                              ;   in Loop: Header=BB246_222 Depth=1
	v_and_b32_e32 v41, 7, v1
	v_lshrrev_b32_e32 v44, 3, v45
	s_mov_b32 s19, exec_lo
	v_cmpx_gt_u32_e32 8, v45
; %bb.406:                              ;   in Loop: Header=BB246_222 Depth=1
	v_ffbh_u32_e32 v41, v41
	v_min_u32_e32 v41, 32, v41
	v_subrev_nc_u32_e32 v44, 28, v41
	v_lshlrev_b64 v[45:46], v44, v[1:2]
	v_sub_nc_u32_e32 v44, 29, v41
	v_and_b32_e32 v41, 7, v45
; %bb.407:                              ;   in Loop: Header=BB246_222 Depth=1
	s_or_b32 exec_lo, exec_lo, s19
	v_lshlrev_b32_e32 v1, 8, v1
	v_lshl_add_u32 v44, v44, 10, 0x2000
	v_lshlrev_b32_e32 v41, 7, v41
	v_and_b32_e32 v1, 0x8000, v1
	v_and_b32_e32 v44, 0xfc00, v44
	v_or3_b32 v41, v1, v44, v41
.LBB246_408:                            ;   in Loop: Header=BB246_222 Depth=1
	s_or_b32 exec_lo, exec_lo, s18
.LBB246_409:                            ;   in Loop: Header=BB246_222 Depth=1
	s_or_b32 exec_lo, exec_lo, s17
.LBB246_410:                            ;   in Loop: Header=BB246_222 Depth=1
	s_or_b32 exec_lo, exec_lo, s13
	v_cmp_lt_u64_e64 s0, s[2:3], v[7:8]
	v_mov_b32_e32 v7, 0
	s_and_saveexec_b32 s13, s0
	s_cbranch_execz .LBB246_418
; %bb.411:                              ;   in Loop: Header=BB246_222 Depth=1
	v_lshrrev_b32_e32 v1, 24, v8
	v_bfrev_b32_e32 v7, 1
	s_mov_b32 s17, exec_lo
	v_cmpx_ne_u32_e32 0x80, v1
	s_cbranch_execz .LBB246_417
; %bb.412:                              ;   in Loop: Header=BB246_222 Depth=1
	v_and_b32_e32 v44, 0x7f, v1
	v_mov_b32_e32 v7, 0x7c010000
	s_mov_b32 s18, exec_lo
	v_cmpx_ne_u32_e32 0x7f, v44
	s_cbranch_execz .LBB246_416
; %bb.413:                              ;   in Loop: Header=BB246_222 Depth=1
	v_and_b32_e32 v7, 7, v1
	v_lshrrev_b32_e32 v8, 3, v44
	s_mov_b32 s19, exec_lo
	v_cmpx_gt_u32_e32 8, v44
; %bb.414:                              ;   in Loop: Header=BB246_222 Depth=1
	v_ffbh_u32_e32 v7, v7
	v_min_u32_e32 v44, 32, v7
	v_subrev_nc_u32_e32 v7, 28, v44
	v_lshlrev_b64 v[7:8], v7, v[1:2]
	v_sub_nc_u32_e32 v8, 29, v44
	v_and_b32_e32 v7, 7, v7
; %bb.415:                              ;   in Loop: Header=BB246_222 Depth=1
	s_or_b32 exec_lo, exec_lo, s19
	v_lshlrev_b32_e32 v1, 8, v1
	v_lshl_add_u32 v8, v8, 10, 0x2000
	v_lshlrev_b32_e32 v7, 23, v7
	v_and_or_b32 v1, 0x8000, v1, v8
	v_lshl_or_b32 v7, v1, 16, v7
.LBB246_416:                            ;   in Loop: Header=BB246_222 Depth=1
	s_or_b32 exec_lo, exec_lo, s18
.LBB246_417:                            ;   in Loop: Header=BB246_222 Depth=1
	s_or_b32 exec_lo, exec_lo, s17
.LBB246_418:                            ;   in Loop: Header=BB246_222 Depth=1
	s_or_b32 exec_lo, exec_lo, s13
	v_or_b32_e32 v1, v39, v40
	s_waitcnt vmcnt(0)
	v_fma_mixlo_f16 v8, v36, v39, 0 op_sel:[0,1,0] op_sel_hi:[0,1,0]
	v_or_b32_e32 v38, v37, v38
	v_fma_mixlo_f16 v37, v36, v37, 0 op_sel:[0,1,0] op_sel_hi:[0,1,0]
	v_or_b32_e32 v39, v43, v42
	v_fma_mixlo_f16 v40, v36, v1, 0 op_sel_hi:[0,1,0]
	v_or_b32_e32 v41, v7, v41
	v_lshlrev_b32_e32 v1, 16, v8
	v_lshlrev_b32_e32 v42, 16, v37
	v_fma_mixlo_f16 v8, v36, v38, 0 op_sel_hi:[0,1,0]
	v_and_b32_e32 v38, 0xffff, v40
	v_fma_mixlo_f16 v37, v36, v43, 0 op_sel:[0,1,0] op_sel_hi:[0,1,0]
	v_fma_mixlo_f16 v40, v36, v39, 0 op_sel_hi:[0,1,0]
	v_fma_mixlo_f16 v7, v36, v7, 0 op_sel:[0,1,0] op_sel_hi:[0,1,0]
	v_fma_mixlo_f16 v36, v36, v41, 0 op_sel_hi:[0,1,0]
	v_and_b32_e32 v44, 0xffff, v8
	v_lshlrev_b32_e32 v39, 16, v37
	v_and_b32_e32 v43, 0xffff, v40
	v_lshlrev_b32_e32 v7, 16, v7
	v_and_b32_e32 v40, 0xffff, v36
	v_or_b32_e32 v8, v1, v38
	v_or_b32_e32 v41, v42, v44
	;; [unrolled: 1-line block ×4, first 2 shown]
	s_and_saveexec_b32 s0, vcc_lo
	s_cbranch_execz .LBB246_221
; %bb.419:                              ;   in Loop: Header=BB246_222 Depth=1
	v_cmp_gt_i32_e32 vcc_lo, s11, v23
	v_cndmask_b32_e32 v8, 0, v44, vcc_lo
	v_cmp_gt_i32_e32 vcc_lo, s11, v29
	v_cndmask_b32_e32 v23, 0, v42, vcc_lo
	v_cmp_gt_i32_e32 vcc_lo, s11, v28
	v_or_b32_e32 v41, v23, v8
	v_cndmask_b32_e32 v28, 0, v38, vcc_lo
	v_cmp_gt_i32_e32 vcc_lo, s11, v27
	v_cndmask_b32_e32 v1, 0, v1, vcc_lo
	v_cmp_gt_i32_e32 vcc_lo, s11, v26
	v_or_b32_e32 v8, v1, v28
	;; [unrolled: 5-line block ×3, first 2 shown]
	v_cndmask_b32_e32 v24, 0, v40, vcc_lo
	v_cmp_gt_i32_e32 vcc_lo, s11, v16
	v_cndmask_b32_e32 v7, 0, v7, vcc_lo
	v_or_b32_e32 v36, v7, v24
	s_branch .LBB246_221
.LBB246_420:
	s_or_b32 exec_lo, exec_lo, s12
.LBB246_421:
	s_or_b32 exec_lo, exec_lo, s1
	v_lshl_add_u32 v2, v12, 2, 0xe0
	v_and_b32_e32 v3, 0x3c0, v0
	s_mov_b32 s0, exec_lo
	s_barrier
	v_mad_u32_u24 v1, 0x180, v11, v2
	buffer_gl0_inv
	v_cmpx_eq_u32_e32 64, v3
	s_cbranch_execz .LBB246_423
; %bb.422:
	v_add_nc_u32_e32 v3, 0xfffffd00, v1
	v_add_nc_u32_e32 v4, 0xfffffd80, v1
	v_add_nc_u32_e32 v5, 0xfffffe00, v1
	ds_write_b32 v3, v15
	ds_write_b32 v4, v14
	;; [unrolled: 1-line block ×3, first 2 shown]
.LBB246_423:
	s_or_b32 exec_lo, exec_lo, s0
	s_mov_b32 s0, exec_lo
	s_waitcnt lgkmcnt(0)
	s_barrier
	buffer_gl0_inv
	v_cmpx_gt_u32_e32 64, v0
	s_cbranch_execz .LBB246_425
; %bb.424:
	ds_read2_b32 v[3:4], v1 offset1:32
	ds_read_b32 v5, v1 offset:256
	s_waitcnt lgkmcnt(1)
	v_add_f32_e32 v15, v15, v3
	v_add_f32_e32 v14, v14, v4
	s_waitcnt lgkmcnt(0)
	v_add_f32_e32 v13, v13, v5
.LBB246_425:
	s_or_b32 exec_lo, exec_lo, s0
	v_and_b32_e32 v3, 0x3e0, v0
	s_mov_b32 s0, exec_lo
	s_barrier
	buffer_gl0_inv
	v_cmpx_eq_u32_e32 32, v3
	s_cbranch_execz .LBB246_427
; %bb.426:
	ds_write2_b32 v2, v15, v14 offset1:32
	ds_write_b32 v2, v13 offset:256
.LBB246_427:
	s_or_b32 exec_lo, exec_lo, s0
	v_cmp_gt_u32_e32 vcc_lo, 32, v0
	s_waitcnt lgkmcnt(0)
	s_barrier
	buffer_gl0_inv
	s_and_saveexec_b32 s0, vcc_lo
	s_cbranch_execz .LBB246_429
; %bb.428:
	ds_read2_b32 v[2:3], v1 offset1:32
	ds_read_b32 v1, v1 offset:256
	s_waitcnt lgkmcnt(1)
	v_add_f32_e32 v15, v15, v2
	v_add_f32_e32 v14, v14, v3
	s_waitcnt lgkmcnt(0)
	v_add_f32_e32 v13, v13, v1
.LBB246_429:
	s_or_b32 exec_lo, exec_lo, s0
	s_barrier
	buffer_gl0_inv
	s_and_saveexec_b32 s0, vcc_lo
	s_cbranch_execz .LBB246_431
; %bb.430:
	s_mul_i32 s0, s10, s7
	s_mul_i32 s2, s7, s6
	;; [unrolled: 1-line block ×3, first 2 shown]
	v_lshlrev_b32_e32 v0, 1, v0
	s_mulk_i32 s0, 0x60
	;;#ASMSTART
	v_cvt_f16_f32 v1, v15;

	;;#ASMEND
	s_ashr_i32 s1, s0, 31
	s_lshl_b64 s[0:1], s[0:1], 1
	s_add_u32 s4, s20, s0
	s_addc_u32 s5, s21, s1
	s_ashr_i32 s3, s2, 31
	s_lshl_b64 s[0:1], s[2:3], 1
	s_mul_i32 s2, s8, 0x60
	s_add_u32 s4, s4, s0
	s_addc_u32 s5, s5, s1
	s_ashr_i32 s3, s2, 31
	s_lshl_b64 s[0:1], s[2:3], 1
	s_add_u32 s0, s4, s0
	s_addc_u32 s1, s5, s1
	global_store_short v0, v1, s[0:1]
	;;#ASMSTART
	v_cvt_f16_f32 v1, v14;

	;;#ASMEND
	global_store_short v0, v1, s[0:1] offset:64
	;;#ASMSTART
	v_cvt_f16_f32 v1, v13;

	;;#ASMEND
	global_store_short v0, v1, s[0:1] offset:128
.LBB246_431:
	s_endpgm
	.section	.rodata,"a",@progbits
	.p2align	6, 0x0
	.amdhsa_kernel _ZN4vllm25paged_attention_v1_kernelIthLi96ELi8ELi128ELNS_18Fp8KVCacheDataTypeE1ELb0EEEvPT_PKS2_PKT0_S8_ifPKiSA_iPKfiiiSC_SC_iiiii
		.amdhsa_group_segment_fixed_size 224
		.amdhsa_private_segment_fixed_size 0
		.amdhsa_kernarg_size 384
		.amdhsa_user_sgpr_count 6
		.amdhsa_user_sgpr_private_segment_buffer 1
		.amdhsa_user_sgpr_dispatch_ptr 0
		.amdhsa_user_sgpr_queue_ptr 0
		.amdhsa_user_sgpr_kernarg_segment_ptr 1
		.amdhsa_user_sgpr_dispatch_id 0
		.amdhsa_user_sgpr_flat_scratch_init 0
		.amdhsa_user_sgpr_private_segment_size 0
		.amdhsa_wavefront_size32 1
		.amdhsa_uses_dynamic_stack 0
		.amdhsa_system_sgpr_private_segment_wavefront_offset 0
		.amdhsa_system_sgpr_workgroup_id_x 1
		.amdhsa_system_sgpr_workgroup_id_y 1
		.amdhsa_system_sgpr_workgroup_id_z 1
		.amdhsa_system_sgpr_workgroup_info 0
		.amdhsa_system_vgpr_workitem_id 0
		.amdhsa_next_free_vgpr 65
		.amdhsa_next_free_sgpr 35
		.amdhsa_reserve_vcc 1
		.amdhsa_reserve_flat_scratch 0
		.amdhsa_float_round_mode_32 0
		.amdhsa_float_round_mode_16_64 0
		.amdhsa_float_denorm_mode_32 3
		.amdhsa_float_denorm_mode_16_64 3
		.amdhsa_dx10_clamp 1
		.amdhsa_ieee_mode 1
		.amdhsa_fp16_overflow 0
		.amdhsa_workgroup_processor_mode 1
		.amdhsa_memory_ordered 1
		.amdhsa_forward_progress 1
		.amdhsa_shared_vgpr_count 0
		.amdhsa_exception_fp_ieee_invalid_op 0
		.amdhsa_exception_fp_denorm_src 0
		.amdhsa_exception_fp_ieee_div_zero 0
		.amdhsa_exception_fp_ieee_overflow 0
		.amdhsa_exception_fp_ieee_underflow 0
		.amdhsa_exception_fp_ieee_inexact 0
		.amdhsa_exception_int_div_zero 0
	.end_amdhsa_kernel
	.section	.text._ZN4vllm25paged_attention_v1_kernelIthLi96ELi8ELi128ELNS_18Fp8KVCacheDataTypeE1ELb0EEEvPT_PKS2_PKT0_S8_ifPKiSA_iPKfiiiSC_SC_iiiii,"axG",@progbits,_ZN4vllm25paged_attention_v1_kernelIthLi96ELi8ELi128ELNS_18Fp8KVCacheDataTypeE1ELb0EEEvPT_PKS2_PKT0_S8_ifPKiSA_iPKfiiiSC_SC_iiiii,comdat
.Lfunc_end246:
	.size	_ZN4vllm25paged_attention_v1_kernelIthLi96ELi8ELi128ELNS_18Fp8KVCacheDataTypeE1ELb0EEEvPT_PKS2_PKT0_S8_ifPKiSA_iPKfiiiSC_SC_iiiii, .Lfunc_end246-_ZN4vllm25paged_attention_v1_kernelIthLi96ELi8ELi128ELNS_18Fp8KVCacheDataTypeE1ELb0EEEvPT_PKS2_PKT0_S8_ifPKiSA_iPKfiiiSC_SC_iiiii
                                        ; -- End function
	.set _ZN4vllm25paged_attention_v1_kernelIthLi96ELi8ELi128ELNS_18Fp8KVCacheDataTypeE1ELb0EEEvPT_PKS2_PKT0_S8_ifPKiSA_iPKfiiiSC_SC_iiiii.num_vgpr, 65
	.set _ZN4vllm25paged_attention_v1_kernelIthLi96ELi8ELi128ELNS_18Fp8KVCacheDataTypeE1ELb0EEEvPT_PKS2_PKT0_S8_ifPKiSA_iPKfiiiSC_SC_iiiii.num_agpr, 0
	.set _ZN4vllm25paged_attention_v1_kernelIthLi96ELi8ELi128ELNS_18Fp8KVCacheDataTypeE1ELb0EEEvPT_PKS2_PKT0_S8_ifPKiSA_iPKfiiiSC_SC_iiiii.numbered_sgpr, 35
	.set _ZN4vllm25paged_attention_v1_kernelIthLi96ELi8ELi128ELNS_18Fp8KVCacheDataTypeE1ELb0EEEvPT_PKS2_PKT0_S8_ifPKiSA_iPKfiiiSC_SC_iiiii.num_named_barrier, 0
	.set _ZN4vllm25paged_attention_v1_kernelIthLi96ELi8ELi128ELNS_18Fp8KVCacheDataTypeE1ELb0EEEvPT_PKS2_PKT0_S8_ifPKiSA_iPKfiiiSC_SC_iiiii.private_seg_size, 0
	.set _ZN4vllm25paged_attention_v1_kernelIthLi96ELi8ELi128ELNS_18Fp8KVCacheDataTypeE1ELb0EEEvPT_PKS2_PKT0_S8_ifPKiSA_iPKfiiiSC_SC_iiiii.uses_vcc, 1
	.set _ZN4vllm25paged_attention_v1_kernelIthLi96ELi8ELi128ELNS_18Fp8KVCacheDataTypeE1ELb0EEEvPT_PKS2_PKT0_S8_ifPKiSA_iPKfiiiSC_SC_iiiii.uses_flat_scratch, 0
	.set _ZN4vllm25paged_attention_v1_kernelIthLi96ELi8ELi128ELNS_18Fp8KVCacheDataTypeE1ELb0EEEvPT_PKS2_PKT0_S8_ifPKiSA_iPKfiiiSC_SC_iiiii.has_dyn_sized_stack, 0
	.set _ZN4vllm25paged_attention_v1_kernelIthLi96ELi8ELi128ELNS_18Fp8KVCacheDataTypeE1ELb0EEEvPT_PKS2_PKT0_S8_ifPKiSA_iPKfiiiSC_SC_iiiii.has_recursion, 0
	.set _ZN4vllm25paged_attention_v1_kernelIthLi96ELi8ELi128ELNS_18Fp8KVCacheDataTypeE1ELb0EEEvPT_PKS2_PKT0_S8_ifPKiSA_iPKfiiiSC_SC_iiiii.has_indirect_call, 0
	.section	.AMDGPU.csdata,"",@progbits
; Kernel info:
; codeLenInByte = 15196
; TotalNumSgprs: 37
; NumVgprs: 65
; ScratchSize: 0
; MemoryBound: 0
; FloatMode: 240
; IeeeMode: 1
; LDSByteSize: 224 bytes/workgroup (compile time only)
; SGPRBlocks: 0
; VGPRBlocks: 8
; NumSGPRsForWavesPerEU: 37
; NumVGPRsForWavesPerEU: 65
; Occupancy: 12
; WaveLimiterHint : 1
; COMPUTE_PGM_RSRC2:SCRATCH_EN: 0
; COMPUTE_PGM_RSRC2:USER_SGPR: 6
; COMPUTE_PGM_RSRC2:TRAP_HANDLER: 0
; COMPUTE_PGM_RSRC2:TGID_X_EN: 1
; COMPUTE_PGM_RSRC2:TGID_Y_EN: 1
; COMPUTE_PGM_RSRC2:TGID_Z_EN: 1
; COMPUTE_PGM_RSRC2:TIDIG_COMP_CNT: 0
	.section	.text._ZN4vllm25paged_attention_v1_kernelIthLi112ELi8ELi128ELNS_18Fp8KVCacheDataTypeE1ELb0EEEvPT_PKS2_PKT0_S8_ifPKiSA_iPKfiiiSC_SC_iiiii,"axG",@progbits,_ZN4vllm25paged_attention_v1_kernelIthLi112ELi8ELi128ELNS_18Fp8KVCacheDataTypeE1ELb0EEEvPT_PKS2_PKT0_S8_ifPKiSA_iPKfiiiSC_SC_iiiii,comdat
	.protected	_ZN4vllm25paged_attention_v1_kernelIthLi112ELi8ELi128ELNS_18Fp8KVCacheDataTypeE1ELb0EEEvPT_PKS2_PKT0_S8_ifPKiSA_iPKfiiiSC_SC_iiiii ; -- Begin function _ZN4vllm25paged_attention_v1_kernelIthLi112ELi8ELi128ELNS_18Fp8KVCacheDataTypeE1ELb0EEEvPT_PKS2_PKT0_S8_ifPKiSA_iPKfiiiSC_SC_iiiii
	.globl	_ZN4vllm25paged_attention_v1_kernelIthLi112ELi8ELi128ELNS_18Fp8KVCacheDataTypeE1ELb0EEEvPT_PKS2_PKT0_S8_ifPKiSA_iPKfiiiSC_SC_iiiii
	.p2align	8
	.type	_ZN4vllm25paged_attention_v1_kernelIthLi112ELi8ELi128ELNS_18Fp8KVCacheDataTypeE1ELb0EEEvPT_PKS2_PKT0_S8_ifPKiSA_iPKfiiiSC_SC_iiiii,@function
_ZN4vllm25paged_attention_v1_kernelIthLi112ELi8ELi128ELNS_18Fp8KVCacheDataTypeE1ELb0EEEvPT_PKS2_PKT0_S8_ifPKiSA_iPKfiiiSC_SC_iiiii: ; @_ZN4vllm25paged_attention_v1_kernelIthLi112ELi8ELi128ELNS_18Fp8KVCacheDataTypeE1ELb0EEEvPT_PKS2_PKT0_S8_ifPKiSA_iPKfiiiSC_SC_iiiii
; %bb.0:
	s_clause 0x2
	s_load_dword s9, s[4:5], 0x80
	s_load_dwordx2 s[0:1], s[4:5], 0x30
	s_load_dwordx2 s[28:29], s[4:5], 0x20
	s_mov_b32 s10, s7
	s_ashr_i32 s11, s7, 31
	s_lshl_b64 s[2:3], s[10:11], 2
	s_waitcnt lgkmcnt(0)
	s_add_u32 s0, s0, s2
	s_addc_u32 s1, s1, s3
	s_abs_i32 s2, s28
	s_abs_i32 s11, s9
	v_cvt_f32_u32_e32 v1, s2
	s_sub_i32 s7, 0, s2
	v_rcp_iflag_f32_e32 v1, v1
	v_mul_f32_e32 v1, 0x4f7ffffe, v1
	v_cvt_u32_f32_e32 v1, v1
	v_readfirstlane_b32 s3, v1
	s_mul_i32 s7, s7, s3
	s_mul_hi_u32 s7, s3, s7
	s_add_i32 s3, s3, s7
	s_xor_b32 s7, s9, s28
	s_mul_hi_u32 s3, s11, s3
	s_ashr_i32 s7, s7, 31
	s_mul_i32 s12, s3, s2
	s_mov_b32 s28, 0
	s_sub_i32 s11, s11, s12
	s_add_i32 s12, s3, 1
	s_sub_i32 s13, s11, s2
	s_cmp_ge_u32 s11, s2
	s_cselect_b32 s3, s12, s3
	s_cselect_b32 s11, s13, s11
	s_add_i32 s12, s3, 1
	s_cmp_ge_u32 s11, s2
	s_cselect_b32 s2, s12, s3
	s_abs_i32 s13, s6
	s_xor_b32 s2, s2, s7
	s_sub_i32 s15, s2, s7
	s_load_dwordx2 s[2:3], s[4:5], 0x40
	s_abs_i32 s12, s15
	v_cvt_f32_u32_e32 v1, s12
	s_sub_i32 s11, 0, s12
	v_rcp_iflag_f32_e32 v1, v1
	v_mul_f32_e32 v1, 0x4f7ffffe, v1
	v_cvt_u32_f32_e32 v1, v1
	v_readfirstlane_b32 s7, v1
	s_mul_i32 s11, s11, s7
	s_mul_hi_u32 s11, s7, s11
	s_add_i32 s7, s7, s11
	s_waitcnt lgkmcnt(0)
	s_cmp_eq_u64 s[2:3], 0
	s_mul_hi_u32 s14, s13, s7
	s_cbranch_scc1 .LBB247_2
; %bb.1:
	s_ashr_i32 s7, s6, 31
	s_lshl_b64 s[16:17], s[6:7], 2
	s_add_u32 s2, s2, s16
	s_addc_u32 s3, s3, s17
	s_load_dword s28, s[2:3], 0x0
.LBB247_2:
	s_load_dword s11, s[0:1], 0x0
	s_load_dwordx4 s[16:19], s[4:5], 0x48
	v_and_b32_e32 v1, 3, v0
	s_ashr_i32 s0, s6, 31
	s_ashr_i32 s1, s15, 31
	s_mulk_i32 s6, 0x70
	s_mov_b32 s2, exec_lo
	v_cmpx_gt_u32_e32 56, v0
	s_cbranch_execz .LBB247_4
; %bb.3:
	s_load_dwordx2 s[20:21], s[4:5], 0x8
	s_waitcnt lgkmcnt(0)
	s_mul_i32 s22, s16, s10
	v_lshlrev_b32_e32 v2, 2, v0
	s_ashr_i32 s23, s22, 31
	v_and_b32_e32 v3, 0x3fc, v0
	s_lshl_b64 s[22:23], s[22:23], 1
	v_mad_u32_u24 v3, v1, 56, v3
	s_add_u32 s3, s20, s22
	s_addc_u32 s15, s21, s23
	s_ashr_i32 s7, s6, 31
	s_lshl_b64 s[20:21], s[6:7], 1
	s_add_u32 s20, s3, s20
	s_addc_u32 s21, s15, s21
	global_load_dword v2, v2, s[20:21]
	s_waitcnt vmcnt(0)
	ds_write_b32 v3, v2
.LBB247_4:
	s_or_b32 exec_lo, exec_lo, s2
	s_waitcnt lgkmcnt(0)
	s_add_i32 s2, s11, 7
	s_clause 0x1
	s_load_dwordx2 s[22:23], s[4:5], 0x28
	s_load_dword s7, s[4:5], 0x38
	s_ashr_i32 s3, s2, 31
	s_xor_b32 s0, s0, s1
	s_lshr_b32 s3, s3, 29
	s_mul_i32 s1, s14, s12
	s_add_i32 s2, s2, s3
	s_sub_i32 s1, s13, s1
	s_ashr_i32 s16, s2, 3
	s_add_i32 s2, s14, 1
	s_sub_i32 s3, s1, s12
	s_cmp_ge_u32 s1, s12
	v_lshrrev_b32_e32 v11, 5, v0
	s_cselect_b32 s2, s2, s14
	s_cselect_b32 s1, s3, s1
	s_add_i32 s3, s2, 1
	s_cmp_ge_u32 s1, s12
	v_mbcnt_lo_u32_b32 v10, -1, 0
	s_cselect_b32 s1, s3, s2
	s_mov_b32 s2, exec_lo
	s_xor_b32 s1, s1, s0
	s_waitcnt lgkmcnt(0)
	s_mul_i32 s24, s7, s10
	s_sub_i32 s1, s1, s0
	v_cmp_gt_i32_e64 s0, s16, v11
	s_ashr_i32 s25, s24, 31
	s_barrier
	buffer_gl0_inv
                                        ; implicit-def: $vgpr2
                                        ; implicit-def: $vgpr13
	v_cmpx_le_i32_e64 s16, v11
	s_xor_b32 s2, exec_lo, s2
; %bb.5:
	v_mov_b32_e32 v2, 0
	v_mbcnt_lo_u32_b32 v10, -1, 0
	v_mov_b32_e32 v13, 32
                                        ; implicit-def: $vgpr1
; %bb.6:
	s_or_saveexec_b32 s19, s2
	s_clause 0x3
	s_load_dwordx2 s[20:21], s[4:5], 0x0
	s_load_dwordx2 s[26:27], s[4:5], 0x18
	s_load_dword s7, s[4:5], 0x88
	s_load_dwordx4 s[12:15], s[4:5], 0x58
	v_mov_b32_e32 v12, 0xff7fffff
	v_lshrrev_b32_e32 v9, 3, v0
	s_mul_i32 s18, s1, s18
	s_xor_b32 exec_lo, exec_lo, s19
	s_cbranch_execz .LBB247_236
; %bb.7:
	s_load_dwordx2 s[2:3], s[4:5], 0x10
	v_bfe_u32 v3, v0, 2, 3
	v_lshlrev_b32_e32 v5, 1, v1
	v_mul_u32_u24_e32 v14, 56, v1
	v_cmp_eq_u32_e32 vcc_lo, 0, v1
	s_ashr_i32 s4, s18, 31
	v_lshlrev_b32_e32 v4, 2, v3
	v_and_b32_e32 v6, 0x7c, v9
	v_lshl_or_b32 v15, v11, 3, v3
	v_mov_b32_e32 v2, 0
	v_cmp_neq_f32_e64 s1, s28, 0
	v_lshl_or_b32 v1, v11, 5, v4
	v_lshlrev_b32_e32 v4, 4, v3
	v_mov_b32_e32 v12, 0xff7fffff
	v_mov_b32_e32 v13, 32
	;; [unrolled: 1-line block ×3, first 2 shown]
	v_add_nc_u32_e32 v16, 0x100, v1
	v_mov_b32_e32 v18, 0x7f
	v_mov_b32_e32 v19, 7
	;; [unrolled: 1-line block ×3, first 2 shown]
	s_waitcnt lgkmcnt(0)
	s_add_u32 s5, s2, s18
	s_addc_u32 s30, s3, s4
	v_add_co_u32 v1, s5, s5, v4
	v_add_co_ci_u32_e64 v4, null, s30, 0, s5
	s_lshl_b64 s[2:3], s[24:25], 2
	s_sub_i32 s4, 1, s11
	s_add_u32 s5, s22, s2
	v_add_co_u32 v3, s2, v1, v5
	s_addc_u32 s3, s23, s3
	v_add_co_ci_u32_e64 v4, null, 0, v4, s2
	v_add_co_u32 v5, s2, s5, v6
	v_add_co_ci_u32_e64 v6, null, s3, 0, s2
	v_mov_b32_e32 v21, v11
	s_mov_b32 s30, s17
	s_mov_b32 s5, 0
	s_branch .LBB247_9
.LBB247_8:                              ;   in Loop: Header=BB247_9 Depth=1
	s_or_b32 exec_lo, exec_lo, s3
	v_add_nc_u32_e32 v21, 4, v21
	v_add_co_u32 v5, s3, v5, 16
	v_add_nc_u32_e32 v15, 32, v15
	v_add_nc_u32_e32 v16, 0x80, v16
	v_cmp_le_i32_e64 s2, s16, v21
	v_add_co_ci_u32_e64 v6, null, 0, v6, s3
	s_or_b32 s5, s2, s5
	s_andn2_b32 exec_lo, exec_lo, s5
	s_cbranch_execz .LBB247_235
.LBB247_9:                              ; =>This Inner Loop Header: Depth=1
	global_load_dword v1, v[5:6], off
	s_waitcnt vmcnt(0) lgkmcnt(0)
	v_mad_i64_i32 v[7:8], null, v1, s30, v[3:4]
	global_load_ushort v23, v[7:8], off
	global_load_dword v22, v2, s[12:13]
	s_waitcnt vmcnt(1)
	v_and_b32_e32 v1, 0xffff, v23
	v_cmp_ne_u16_sdwa s2, v23, v2 src0_sel:BYTE_0 src1_sel:DWORD
	v_mov_b32_e32 v23, 0
	s_and_saveexec_b32 s3, s2
	s_cbranch_execz .LBB247_17
; %bb.10:                               ;   in Loop: Header=BB247_9 Depth=1
	v_cmp_ne_u16_sdwa s2, v1, v17 src0_sel:BYTE_0 src1_sel:DWORD
	v_mov_b32_e32 v23, 0x8000
	s_and_saveexec_b32 s31, s2
	s_cbranch_execz .LBB247_16
; %bb.11:                               ;   in Loop: Header=BB247_9 Depth=1
	v_and_b32_e32 v25, 0x7f, v1
	v_mov_b32_e32 v23, 0x7c01
	s_mov_b32 s33, exec_lo
	v_cmpx_ne_u32_e32 0x7f, v25
	s_cbranch_execz .LBB247_15
; %bb.12:                               ;   in Loop: Header=BB247_9 Depth=1
	v_and_b32_e32 v23, 7, v1
	v_lshrrev_b32_e32 v24, 3, v25
	s_mov_b32 s34, exec_lo
	v_cmpx_gt_u32_e32 8, v25
; %bb.13:                               ;   in Loop: Header=BB247_9 Depth=1
	v_ffbh_u32_e32 v23, v23
	v_min_u32_e32 v25, 32, v23
	v_subrev_nc_u32_e32 v23, 28, v25
	v_lshlrev_b64 v[23:24], v23, v[1:2]
	v_sub_nc_u32_e32 v24, 29, v25
	v_and_b32_e32 v23, 7, v23
; %bb.14:                               ;   in Loop: Header=BB247_9 Depth=1
	s_or_b32 exec_lo, exec_lo, s34
	v_lshlrev_b32_e32 v25, 8, v1
	v_lshl_add_u32 v24, v24, 10, 0x2000
	v_lshlrev_b32_e32 v23, 7, v23
	v_and_b32_e32 v25, 0x8000, v25
	v_and_b32_e32 v24, 0xfc00, v24
	v_or3_b32 v23, v25, v24, v23
.LBB247_15:                             ;   in Loop: Header=BB247_9 Depth=1
	s_or_b32 exec_lo, exec_lo, s33
.LBB247_16:                             ;   in Loop: Header=BB247_9 Depth=1
	s_or_b32 exec_lo, exec_lo, s31
.LBB247_17:                             ;   in Loop: Header=BB247_9 Depth=1
	s_or_b32 exec_lo, exec_lo, s3
	v_lshrrev_b16 v1, 8, v1
	v_mov_b32_e32 v24, 0
	s_mov_b32 s3, exec_lo
	v_cmpx_ne_u16_e32 0, v1
	s_cbranch_execz .LBB247_25
; %bb.18:                               ;   in Loop: Header=BB247_9 Depth=1
	v_bfrev_b32_e32 v24, 1
	s_mov_b32 s31, exec_lo
	v_cmpx_ne_u16_e32 0x80, v1
	s_cbranch_execz .LBB247_24
; %bb.19:                               ;   in Loop: Header=BB247_9 Depth=1
	v_and_b32_sdwa v26, v1, v18 dst_sel:DWORD dst_unused:UNUSED_PAD src0_sel:WORD_0 src1_sel:DWORD
	v_mov_b32_e32 v24, 0x7c010000
	s_mov_b32 s33, exec_lo
	v_cmpx_ne_u32_e32 0x7f, v26
	s_cbranch_execz .LBB247_23
; %bb.20:                               ;   in Loop: Header=BB247_9 Depth=1
	v_and_b32_sdwa v24, v1, v19 dst_sel:DWORD dst_unused:UNUSED_PAD src0_sel:WORD_0 src1_sel:DWORD
	v_lshrrev_b32_e32 v25, 3, v26
	s_mov_b32 s34, exec_lo
	v_cmpx_gt_u32_e32 8, v26
; %bb.21:                               ;   in Loop: Header=BB247_9 Depth=1
	v_ffbh_u32_e32 v24, v24
	v_min_u32_e32 v26, 32, v24
	v_subrev_nc_u32_e32 v24, 28, v26
	v_lshlrev_b64 v[24:25], v24, v[1:2]
	v_sub_nc_u32_e32 v25, 29, v26
	v_and_b32_e32 v24, 7, v24
; %bb.22:                               ;   in Loop: Header=BB247_9 Depth=1
	s_or_b32 exec_lo, exec_lo, s34
	v_lshlrev_b32_sdwa v1, v20, v1 dst_sel:DWORD dst_unused:UNUSED_PAD src0_sel:DWORD src1_sel:WORD_0
	v_lshl_add_u32 v25, v25, 10, 0x2000
	v_lshlrev_b32_e32 v24, 23, v24
	v_and_or_b32 v1, 0x8000, v1, v25
	v_lshl_or_b32 v24, v1, 16, v24
.LBB247_23:                             ;   in Loop: Header=BB247_9 Depth=1
	s_or_b32 exec_lo, exec_lo, s33
.LBB247_24:                             ;   in Loop: Header=BB247_9 Depth=1
	s_or_b32 exec_lo, exec_lo, s31
.LBB247_25:                             ;   in Loop: Header=BB247_9 Depth=1
	s_or_b32 exec_lo, exec_lo, s3
	global_load_ushort v26, v[7:8], off offset:8
	v_mov_b32_e32 v25, 0
	s_waitcnt vmcnt(0)
	v_and_b32_e32 v1, 0xffff, v26
	v_cmp_ne_u16_sdwa s2, v26, v2 src0_sel:BYTE_0 src1_sel:DWORD
	v_mov_b32_e32 v26, 0
	s_and_saveexec_b32 s3, s2
	s_cbranch_execz .LBB247_33
; %bb.26:                               ;   in Loop: Header=BB247_9 Depth=1
	v_cmp_ne_u16_sdwa s2, v1, v17 src0_sel:BYTE_0 src1_sel:DWORD
	v_mov_b32_e32 v26, 0x8000
	s_and_saveexec_b32 s31, s2
	s_cbranch_execz .LBB247_32
; %bb.27:                               ;   in Loop: Header=BB247_9 Depth=1
	v_and_b32_e32 v28, 0x7f, v1
	v_mov_b32_e32 v26, 0x7c01
	s_mov_b32 s33, exec_lo
	v_cmpx_ne_u32_e32 0x7f, v28
	s_cbranch_execz .LBB247_31
; %bb.28:                               ;   in Loop: Header=BB247_9 Depth=1
	v_and_b32_e32 v26, 7, v1
	v_lshrrev_b32_e32 v27, 3, v28
	s_mov_b32 s34, exec_lo
	v_cmpx_gt_u32_e32 8, v28
; %bb.29:                               ;   in Loop: Header=BB247_9 Depth=1
	v_ffbh_u32_e32 v26, v26
	v_min_u32_e32 v28, 32, v26
	v_subrev_nc_u32_e32 v26, 28, v28
	v_lshlrev_b64 v[26:27], v26, v[1:2]
	v_sub_nc_u32_e32 v27, 29, v28
	v_and_b32_e32 v26, 7, v26
; %bb.30:                               ;   in Loop: Header=BB247_9 Depth=1
	s_or_b32 exec_lo, exec_lo, s34
	v_lshlrev_b32_e32 v28, 8, v1
	v_lshl_add_u32 v27, v27, 10, 0x2000
	v_lshlrev_b32_e32 v26, 7, v26
	v_and_b32_e32 v28, 0x8000, v28
	v_and_b32_e32 v27, 0xfc00, v27
	v_or3_b32 v26, v28, v27, v26
.LBB247_31:                             ;   in Loop: Header=BB247_9 Depth=1
	s_or_b32 exec_lo, exec_lo, s33
.LBB247_32:                             ;   in Loop: Header=BB247_9 Depth=1
	s_or_b32 exec_lo, exec_lo, s31
.LBB247_33:                             ;   in Loop: Header=BB247_9 Depth=1
	s_or_b32 exec_lo, exec_lo, s3
	v_lshrrev_b16 v1, 8, v1
	s_mov_b32 s3, exec_lo
	v_cmpx_ne_u16_e32 0, v1
	s_cbranch_execz .LBB247_41
; %bb.34:                               ;   in Loop: Header=BB247_9 Depth=1
	v_bfrev_b32_e32 v25, 1
	s_mov_b32 s31, exec_lo
	v_cmpx_ne_u16_e32 0x80, v1
	s_cbranch_execz .LBB247_40
; %bb.35:                               ;   in Loop: Header=BB247_9 Depth=1
	v_and_b32_sdwa v28, v1, v18 dst_sel:DWORD dst_unused:UNUSED_PAD src0_sel:WORD_0 src1_sel:DWORD
	v_mov_b32_e32 v25, 0x7c010000
	s_mov_b32 s33, exec_lo
	v_cmpx_ne_u32_e32 0x7f, v28
	s_cbranch_execz .LBB247_39
; %bb.36:                               ;   in Loop: Header=BB247_9 Depth=1
	v_and_b32_sdwa v25, v1, v19 dst_sel:DWORD dst_unused:UNUSED_PAD src0_sel:WORD_0 src1_sel:DWORD
	v_lshrrev_b32_e32 v27, 3, v28
	s_mov_b32 s34, exec_lo
	v_cmpx_gt_u32_e32 8, v28
; %bb.37:                               ;   in Loop: Header=BB247_9 Depth=1
	v_ffbh_u32_e32 v25, v25
	v_min_u32_e32 v25, 32, v25
	v_subrev_nc_u32_e32 v27, 28, v25
	v_lshlrev_b64 v[28:29], v27, v[1:2]
	v_sub_nc_u32_e32 v27, 29, v25
	v_and_b32_e32 v25, 7, v28
; %bb.38:                               ;   in Loop: Header=BB247_9 Depth=1
	s_or_b32 exec_lo, exec_lo, s34
	v_lshlrev_b32_sdwa v1, v20, v1 dst_sel:DWORD dst_unused:UNUSED_PAD src0_sel:DWORD src1_sel:WORD_0
	v_lshl_add_u32 v27, v27, 10, 0x2000
	v_lshlrev_b32_e32 v25, 23, v25
	v_and_or_b32 v1, 0x8000, v1, v27
	v_lshl_or_b32 v25, v1, 16, v25
.LBB247_39:                             ;   in Loop: Header=BB247_9 Depth=1
	s_or_b32 exec_lo, exec_lo, s33
.LBB247_40:                             ;   in Loop: Header=BB247_9 Depth=1
	s_or_b32 exec_lo, exec_lo, s31
.LBB247_41:                             ;   in Loop: Header=BB247_9 Depth=1
	s_or_b32 exec_lo, exec_lo, s3
	global_load_ushort v28, v[7:8], off offset:128
	v_mov_b32_e32 v27, 0
	s_waitcnt vmcnt(0)
	v_and_b32_e32 v1, 0xffff, v28
	v_cmp_ne_u16_sdwa s2, v28, v2 src0_sel:BYTE_0 src1_sel:DWORD
	v_mov_b32_e32 v28, 0
	s_and_saveexec_b32 s3, s2
	s_cbranch_execz .LBB247_49
; %bb.42:                               ;   in Loop: Header=BB247_9 Depth=1
	v_cmp_ne_u16_sdwa s2, v1, v17 src0_sel:BYTE_0 src1_sel:DWORD
	v_mov_b32_e32 v28, 0x8000
	s_and_saveexec_b32 s31, s2
	s_cbranch_execz .LBB247_48
; %bb.43:                               ;   in Loop: Header=BB247_9 Depth=1
	v_and_b32_e32 v30, 0x7f, v1
	v_mov_b32_e32 v28, 0x7c01
	s_mov_b32 s33, exec_lo
	v_cmpx_ne_u32_e32 0x7f, v30
	s_cbranch_execz .LBB247_47
; %bb.44:                               ;   in Loop: Header=BB247_9 Depth=1
	v_and_b32_e32 v28, 7, v1
	v_lshrrev_b32_e32 v29, 3, v30
	s_mov_b32 s34, exec_lo
	v_cmpx_gt_u32_e32 8, v30
; %bb.45:                               ;   in Loop: Header=BB247_9 Depth=1
	v_ffbh_u32_e32 v28, v28
	v_min_u32_e32 v30, 32, v28
	v_subrev_nc_u32_e32 v28, 28, v30
	v_lshlrev_b64 v[28:29], v28, v[1:2]
	v_sub_nc_u32_e32 v29, 29, v30
	v_and_b32_e32 v28, 7, v28
; %bb.46:                               ;   in Loop: Header=BB247_9 Depth=1
	s_or_b32 exec_lo, exec_lo, s34
	v_lshlrev_b32_e32 v30, 8, v1
	v_lshl_add_u32 v29, v29, 10, 0x2000
	v_lshlrev_b32_e32 v28, 7, v28
	v_and_b32_e32 v30, 0x8000, v30
	v_and_b32_e32 v29, 0xfc00, v29
	v_or3_b32 v28, v30, v29, v28
.LBB247_47:                             ;   in Loop: Header=BB247_9 Depth=1
	s_or_b32 exec_lo, exec_lo, s33
.LBB247_48:                             ;   in Loop: Header=BB247_9 Depth=1
	s_or_b32 exec_lo, exec_lo, s31
.LBB247_49:                             ;   in Loop: Header=BB247_9 Depth=1
	s_or_b32 exec_lo, exec_lo, s3
	v_lshrrev_b16 v1, 8, v1
	s_mov_b32 s3, exec_lo
	v_cmpx_ne_u16_e32 0, v1
	s_cbranch_execz .LBB247_57
; %bb.50:                               ;   in Loop: Header=BB247_9 Depth=1
	v_bfrev_b32_e32 v27, 1
	s_mov_b32 s31, exec_lo
	v_cmpx_ne_u16_e32 0x80, v1
	s_cbranch_execz .LBB247_56
; %bb.51:                               ;   in Loop: Header=BB247_9 Depth=1
	v_and_b32_sdwa v30, v1, v18 dst_sel:DWORD dst_unused:UNUSED_PAD src0_sel:WORD_0 src1_sel:DWORD
	v_mov_b32_e32 v27, 0x7c010000
	s_mov_b32 s33, exec_lo
	v_cmpx_ne_u32_e32 0x7f, v30
	s_cbranch_execz .LBB247_55
; %bb.52:                               ;   in Loop: Header=BB247_9 Depth=1
	v_and_b32_sdwa v27, v1, v19 dst_sel:DWORD dst_unused:UNUSED_PAD src0_sel:WORD_0 src1_sel:DWORD
	v_lshrrev_b32_e32 v29, 3, v30
	s_mov_b32 s34, exec_lo
	v_cmpx_gt_u32_e32 8, v30
; %bb.53:                               ;   in Loop: Header=BB247_9 Depth=1
	v_ffbh_u32_e32 v27, v27
	v_min_u32_e32 v27, 32, v27
	v_subrev_nc_u32_e32 v29, 28, v27
	v_lshlrev_b64 v[30:31], v29, v[1:2]
	v_sub_nc_u32_e32 v29, 29, v27
	v_and_b32_e32 v27, 7, v30
; %bb.54:                               ;   in Loop: Header=BB247_9 Depth=1
	s_or_b32 exec_lo, exec_lo, s34
	v_lshlrev_b32_sdwa v1, v20, v1 dst_sel:DWORD dst_unused:UNUSED_PAD src0_sel:DWORD src1_sel:WORD_0
	v_lshl_add_u32 v29, v29, 10, 0x2000
	v_lshlrev_b32_e32 v27, 23, v27
	v_and_or_b32 v1, 0x8000, v1, v29
	v_lshl_or_b32 v27, v1, 16, v27
.LBB247_55:                             ;   in Loop: Header=BB247_9 Depth=1
	s_or_b32 exec_lo, exec_lo, s33
.LBB247_56:                             ;   in Loop: Header=BB247_9 Depth=1
	s_or_b32 exec_lo, exec_lo, s31
.LBB247_57:                             ;   in Loop: Header=BB247_9 Depth=1
	s_or_b32 exec_lo, exec_lo, s3
	global_load_ushort v30, v[7:8], off offset:136
	v_mov_b32_e32 v29, 0
	s_waitcnt vmcnt(0)
	v_and_b32_e32 v1, 0xffff, v30
	v_cmp_ne_u16_sdwa s2, v30, v2 src0_sel:BYTE_0 src1_sel:DWORD
	v_mov_b32_e32 v30, 0
	s_and_saveexec_b32 s3, s2
	s_cbranch_execz .LBB247_65
; %bb.58:                               ;   in Loop: Header=BB247_9 Depth=1
	v_cmp_ne_u16_sdwa s2, v1, v17 src0_sel:BYTE_0 src1_sel:DWORD
	v_mov_b32_e32 v30, 0x8000
	s_and_saveexec_b32 s31, s2
	s_cbranch_execz .LBB247_64
; %bb.59:                               ;   in Loop: Header=BB247_9 Depth=1
	v_and_b32_e32 v32, 0x7f, v1
	v_mov_b32_e32 v30, 0x7c01
	s_mov_b32 s33, exec_lo
	v_cmpx_ne_u32_e32 0x7f, v32
	s_cbranch_execz .LBB247_63
; %bb.60:                               ;   in Loop: Header=BB247_9 Depth=1
	v_and_b32_e32 v30, 7, v1
	v_lshrrev_b32_e32 v31, 3, v32
	s_mov_b32 s34, exec_lo
	v_cmpx_gt_u32_e32 8, v32
; %bb.61:                               ;   in Loop: Header=BB247_9 Depth=1
	v_ffbh_u32_e32 v30, v30
	v_min_u32_e32 v32, 32, v30
	v_subrev_nc_u32_e32 v30, 28, v32
	v_lshlrev_b64 v[30:31], v30, v[1:2]
	v_sub_nc_u32_e32 v31, 29, v32
	v_and_b32_e32 v30, 7, v30
; %bb.62:                               ;   in Loop: Header=BB247_9 Depth=1
	s_or_b32 exec_lo, exec_lo, s34
	v_lshlrev_b32_e32 v32, 8, v1
	v_lshl_add_u32 v31, v31, 10, 0x2000
	v_lshlrev_b32_e32 v30, 7, v30
	v_and_b32_e32 v32, 0x8000, v32
	v_and_b32_e32 v31, 0xfc00, v31
	v_or3_b32 v30, v32, v31, v30
.LBB247_63:                             ;   in Loop: Header=BB247_9 Depth=1
	s_or_b32 exec_lo, exec_lo, s33
.LBB247_64:                             ;   in Loop: Header=BB247_9 Depth=1
	s_or_b32 exec_lo, exec_lo, s31
.LBB247_65:                             ;   in Loop: Header=BB247_9 Depth=1
	s_or_b32 exec_lo, exec_lo, s3
	v_lshrrev_b16 v1, 8, v1
	s_mov_b32 s3, exec_lo
	v_cmpx_ne_u16_e32 0, v1
	s_cbranch_execz .LBB247_73
; %bb.66:                               ;   in Loop: Header=BB247_9 Depth=1
	v_bfrev_b32_e32 v29, 1
	s_mov_b32 s31, exec_lo
	v_cmpx_ne_u16_e32 0x80, v1
	s_cbranch_execz .LBB247_72
; %bb.67:                               ;   in Loop: Header=BB247_9 Depth=1
	v_and_b32_sdwa v32, v1, v18 dst_sel:DWORD dst_unused:UNUSED_PAD src0_sel:WORD_0 src1_sel:DWORD
	v_mov_b32_e32 v29, 0x7c010000
	s_mov_b32 s33, exec_lo
	v_cmpx_ne_u32_e32 0x7f, v32
	s_cbranch_execz .LBB247_71
; %bb.68:                               ;   in Loop: Header=BB247_9 Depth=1
	v_and_b32_sdwa v29, v1, v19 dst_sel:DWORD dst_unused:UNUSED_PAD src0_sel:WORD_0 src1_sel:DWORD
	v_lshrrev_b32_e32 v31, 3, v32
	s_mov_b32 s34, exec_lo
	v_cmpx_gt_u32_e32 8, v32
; %bb.69:                               ;   in Loop: Header=BB247_9 Depth=1
	v_ffbh_u32_e32 v29, v29
	v_min_u32_e32 v29, 32, v29
	v_subrev_nc_u32_e32 v31, 28, v29
	v_lshlrev_b64 v[32:33], v31, v[1:2]
	v_sub_nc_u32_e32 v31, 29, v29
	v_and_b32_e32 v29, 7, v32
; %bb.70:                               ;   in Loop: Header=BB247_9 Depth=1
	s_or_b32 exec_lo, exec_lo, s34
	v_lshlrev_b32_sdwa v1, v20, v1 dst_sel:DWORD dst_unused:UNUSED_PAD src0_sel:DWORD src1_sel:WORD_0
	v_lshl_add_u32 v31, v31, 10, 0x2000
	v_lshlrev_b32_e32 v29, 23, v29
	v_and_or_b32 v1, 0x8000, v1, v31
	v_lshl_or_b32 v29, v1, 16, v29
.LBB247_71:                             ;   in Loop: Header=BB247_9 Depth=1
	s_or_b32 exec_lo, exec_lo, s33
.LBB247_72:                             ;   in Loop: Header=BB247_9 Depth=1
	s_or_b32 exec_lo, exec_lo, s31
.LBB247_73:                             ;   in Loop: Header=BB247_9 Depth=1
	s_or_b32 exec_lo, exec_lo, s3
	global_load_ushort v32, v[7:8], off offset:256
	v_mov_b32_e32 v31, 0
	s_waitcnt vmcnt(0)
	v_and_b32_e32 v1, 0xffff, v32
	v_cmp_ne_u16_sdwa s2, v32, v2 src0_sel:BYTE_0 src1_sel:DWORD
	v_mov_b32_e32 v32, 0
	s_and_saveexec_b32 s3, s2
	s_cbranch_execz .LBB247_81
; %bb.74:                               ;   in Loop: Header=BB247_9 Depth=1
	v_cmp_ne_u16_sdwa s2, v1, v17 src0_sel:BYTE_0 src1_sel:DWORD
	v_mov_b32_e32 v32, 0x8000
	s_and_saveexec_b32 s31, s2
	s_cbranch_execz .LBB247_80
; %bb.75:                               ;   in Loop: Header=BB247_9 Depth=1
	v_and_b32_e32 v34, 0x7f, v1
	v_mov_b32_e32 v32, 0x7c01
	s_mov_b32 s33, exec_lo
	v_cmpx_ne_u32_e32 0x7f, v34
	s_cbranch_execz .LBB247_79
; %bb.76:                               ;   in Loop: Header=BB247_9 Depth=1
	v_and_b32_e32 v32, 7, v1
	v_lshrrev_b32_e32 v33, 3, v34
	s_mov_b32 s34, exec_lo
	v_cmpx_gt_u32_e32 8, v34
; %bb.77:                               ;   in Loop: Header=BB247_9 Depth=1
	v_ffbh_u32_e32 v32, v32
	v_min_u32_e32 v34, 32, v32
	v_subrev_nc_u32_e32 v32, 28, v34
	v_lshlrev_b64 v[32:33], v32, v[1:2]
	v_sub_nc_u32_e32 v33, 29, v34
	v_and_b32_e32 v32, 7, v32
; %bb.78:                               ;   in Loop: Header=BB247_9 Depth=1
	s_or_b32 exec_lo, exec_lo, s34
	v_lshlrev_b32_e32 v34, 8, v1
	v_lshl_add_u32 v33, v33, 10, 0x2000
	v_lshlrev_b32_e32 v32, 7, v32
	v_and_b32_e32 v34, 0x8000, v34
	v_and_b32_e32 v33, 0xfc00, v33
	v_or3_b32 v32, v34, v33, v32
.LBB247_79:                             ;   in Loop: Header=BB247_9 Depth=1
	s_or_b32 exec_lo, exec_lo, s33
.LBB247_80:                             ;   in Loop: Header=BB247_9 Depth=1
	s_or_b32 exec_lo, exec_lo, s31
.LBB247_81:                             ;   in Loop: Header=BB247_9 Depth=1
	s_or_b32 exec_lo, exec_lo, s3
	v_lshrrev_b16 v1, 8, v1
	s_mov_b32 s3, exec_lo
	v_cmpx_ne_u16_e32 0, v1
	s_cbranch_execz .LBB247_89
; %bb.82:                               ;   in Loop: Header=BB247_9 Depth=1
	v_bfrev_b32_e32 v31, 1
	s_mov_b32 s31, exec_lo
	v_cmpx_ne_u16_e32 0x80, v1
	s_cbranch_execz .LBB247_88
; %bb.83:                               ;   in Loop: Header=BB247_9 Depth=1
	v_and_b32_sdwa v34, v1, v18 dst_sel:DWORD dst_unused:UNUSED_PAD src0_sel:WORD_0 src1_sel:DWORD
	v_mov_b32_e32 v31, 0x7c010000
	s_mov_b32 s33, exec_lo
	v_cmpx_ne_u32_e32 0x7f, v34
	s_cbranch_execz .LBB247_87
; %bb.84:                               ;   in Loop: Header=BB247_9 Depth=1
	v_and_b32_sdwa v31, v1, v19 dst_sel:DWORD dst_unused:UNUSED_PAD src0_sel:WORD_0 src1_sel:DWORD
	v_lshrrev_b32_e32 v33, 3, v34
	s_mov_b32 s34, exec_lo
	v_cmpx_gt_u32_e32 8, v34
; %bb.85:                               ;   in Loop: Header=BB247_9 Depth=1
	v_ffbh_u32_e32 v31, v31
	v_min_u32_e32 v31, 32, v31
	v_subrev_nc_u32_e32 v33, 28, v31
	v_lshlrev_b64 v[34:35], v33, v[1:2]
	v_sub_nc_u32_e32 v33, 29, v31
	v_and_b32_e32 v31, 7, v34
; %bb.86:                               ;   in Loop: Header=BB247_9 Depth=1
	s_or_b32 exec_lo, exec_lo, s34
	v_lshlrev_b32_sdwa v1, v20, v1 dst_sel:DWORD dst_unused:UNUSED_PAD src0_sel:DWORD src1_sel:WORD_0
	v_lshl_add_u32 v33, v33, 10, 0x2000
	v_lshlrev_b32_e32 v31, 23, v31
	v_and_or_b32 v1, 0x8000, v1, v33
	v_lshl_or_b32 v31, v1, 16, v31
.LBB247_87:                             ;   in Loop: Header=BB247_9 Depth=1
	s_or_b32 exec_lo, exec_lo, s33
.LBB247_88:                             ;   in Loop: Header=BB247_9 Depth=1
	s_or_b32 exec_lo, exec_lo, s31
.LBB247_89:                             ;   in Loop: Header=BB247_9 Depth=1
	s_or_b32 exec_lo, exec_lo, s3
	global_load_ushort v34, v[7:8], off offset:264
	v_mov_b32_e32 v33, 0
	s_waitcnt vmcnt(0)
	v_and_b32_e32 v1, 0xffff, v34
	v_cmp_ne_u16_sdwa s2, v34, v2 src0_sel:BYTE_0 src1_sel:DWORD
	v_mov_b32_e32 v34, 0
	s_and_saveexec_b32 s3, s2
	s_cbranch_execz .LBB247_97
; %bb.90:                               ;   in Loop: Header=BB247_9 Depth=1
	v_cmp_ne_u16_sdwa s2, v1, v17 src0_sel:BYTE_0 src1_sel:DWORD
	v_mov_b32_e32 v34, 0x8000
	s_and_saveexec_b32 s31, s2
	s_cbranch_execz .LBB247_96
; %bb.91:                               ;   in Loop: Header=BB247_9 Depth=1
	v_and_b32_e32 v36, 0x7f, v1
	v_mov_b32_e32 v34, 0x7c01
	s_mov_b32 s33, exec_lo
	v_cmpx_ne_u32_e32 0x7f, v36
	s_cbranch_execz .LBB247_95
; %bb.92:                               ;   in Loop: Header=BB247_9 Depth=1
	v_and_b32_e32 v34, 7, v1
	v_lshrrev_b32_e32 v35, 3, v36
	s_mov_b32 s34, exec_lo
	v_cmpx_gt_u32_e32 8, v36
; %bb.93:                               ;   in Loop: Header=BB247_9 Depth=1
	v_ffbh_u32_e32 v34, v34
	v_min_u32_e32 v36, 32, v34
	v_subrev_nc_u32_e32 v34, 28, v36
	v_lshlrev_b64 v[34:35], v34, v[1:2]
	v_sub_nc_u32_e32 v35, 29, v36
	v_and_b32_e32 v34, 7, v34
; %bb.94:                               ;   in Loop: Header=BB247_9 Depth=1
	s_or_b32 exec_lo, exec_lo, s34
	v_lshlrev_b32_e32 v36, 8, v1
	v_lshl_add_u32 v35, v35, 10, 0x2000
	v_lshlrev_b32_e32 v34, 7, v34
	v_and_b32_e32 v36, 0x8000, v36
	v_and_b32_e32 v35, 0xfc00, v35
	v_or3_b32 v34, v36, v35, v34
.LBB247_95:                             ;   in Loop: Header=BB247_9 Depth=1
	s_or_b32 exec_lo, exec_lo, s33
.LBB247_96:                             ;   in Loop: Header=BB247_9 Depth=1
	s_or_b32 exec_lo, exec_lo, s31
.LBB247_97:                             ;   in Loop: Header=BB247_9 Depth=1
	s_or_b32 exec_lo, exec_lo, s3
	v_lshrrev_b16 v1, 8, v1
	s_mov_b32 s3, exec_lo
	v_cmpx_ne_u16_e32 0, v1
	s_cbranch_execz .LBB247_105
; %bb.98:                               ;   in Loop: Header=BB247_9 Depth=1
	v_bfrev_b32_e32 v33, 1
	s_mov_b32 s31, exec_lo
	v_cmpx_ne_u16_e32 0x80, v1
	s_cbranch_execz .LBB247_104
; %bb.99:                               ;   in Loop: Header=BB247_9 Depth=1
	v_and_b32_sdwa v36, v1, v18 dst_sel:DWORD dst_unused:UNUSED_PAD src0_sel:WORD_0 src1_sel:DWORD
	v_mov_b32_e32 v33, 0x7c010000
	s_mov_b32 s33, exec_lo
	v_cmpx_ne_u32_e32 0x7f, v36
	s_cbranch_execz .LBB247_103
; %bb.100:                              ;   in Loop: Header=BB247_9 Depth=1
	v_and_b32_sdwa v33, v1, v19 dst_sel:DWORD dst_unused:UNUSED_PAD src0_sel:WORD_0 src1_sel:DWORD
	v_lshrrev_b32_e32 v35, 3, v36
	s_mov_b32 s34, exec_lo
	v_cmpx_gt_u32_e32 8, v36
; %bb.101:                              ;   in Loop: Header=BB247_9 Depth=1
	v_ffbh_u32_e32 v33, v33
	v_min_u32_e32 v33, 32, v33
	v_subrev_nc_u32_e32 v35, 28, v33
	v_lshlrev_b64 v[36:37], v35, v[1:2]
	v_sub_nc_u32_e32 v35, 29, v33
	v_and_b32_e32 v33, 7, v36
; %bb.102:                              ;   in Loop: Header=BB247_9 Depth=1
	s_or_b32 exec_lo, exec_lo, s34
	v_lshlrev_b32_sdwa v1, v20, v1 dst_sel:DWORD dst_unused:UNUSED_PAD src0_sel:DWORD src1_sel:WORD_0
	v_lshl_add_u32 v35, v35, 10, 0x2000
	v_lshlrev_b32_e32 v33, 23, v33
	v_and_or_b32 v1, 0x8000, v1, v35
	v_lshl_or_b32 v33, v1, 16, v33
.LBB247_103:                            ;   in Loop: Header=BB247_9 Depth=1
	s_or_b32 exec_lo, exec_lo, s33
.LBB247_104:                            ;   in Loop: Header=BB247_9 Depth=1
	s_or_b32 exec_lo, exec_lo, s31
.LBB247_105:                            ;   in Loop: Header=BB247_9 Depth=1
	s_or_b32 exec_lo, exec_lo, s3
	global_load_ushort v36, v[7:8], off offset:384
	v_mov_b32_e32 v35, 0
	s_waitcnt vmcnt(0)
	v_and_b32_e32 v1, 0xffff, v36
	v_cmp_ne_u16_sdwa s2, v36, v2 src0_sel:BYTE_0 src1_sel:DWORD
	v_mov_b32_e32 v36, 0
	s_and_saveexec_b32 s3, s2
	s_cbranch_execz .LBB247_113
; %bb.106:                              ;   in Loop: Header=BB247_9 Depth=1
	v_cmp_ne_u16_sdwa s2, v1, v17 src0_sel:BYTE_0 src1_sel:DWORD
	v_mov_b32_e32 v36, 0x8000
	s_and_saveexec_b32 s31, s2
	s_cbranch_execz .LBB247_112
; %bb.107:                              ;   in Loop: Header=BB247_9 Depth=1
	v_and_b32_e32 v38, 0x7f, v1
	v_mov_b32_e32 v36, 0x7c01
	s_mov_b32 s33, exec_lo
	v_cmpx_ne_u32_e32 0x7f, v38
	s_cbranch_execz .LBB247_111
; %bb.108:                              ;   in Loop: Header=BB247_9 Depth=1
	v_and_b32_e32 v36, 7, v1
	v_lshrrev_b32_e32 v37, 3, v38
	s_mov_b32 s34, exec_lo
	v_cmpx_gt_u32_e32 8, v38
; %bb.109:                              ;   in Loop: Header=BB247_9 Depth=1
	v_ffbh_u32_e32 v36, v36
	v_min_u32_e32 v38, 32, v36
	v_subrev_nc_u32_e32 v36, 28, v38
	v_lshlrev_b64 v[36:37], v36, v[1:2]
	v_sub_nc_u32_e32 v37, 29, v38
	v_and_b32_e32 v36, 7, v36
; %bb.110:                              ;   in Loop: Header=BB247_9 Depth=1
	s_or_b32 exec_lo, exec_lo, s34
	v_lshlrev_b32_e32 v38, 8, v1
	v_lshl_add_u32 v37, v37, 10, 0x2000
	v_lshlrev_b32_e32 v36, 7, v36
	v_and_b32_e32 v38, 0x8000, v38
	v_and_b32_e32 v37, 0xfc00, v37
	v_or3_b32 v36, v38, v37, v36
.LBB247_111:                            ;   in Loop: Header=BB247_9 Depth=1
	s_or_b32 exec_lo, exec_lo, s33
.LBB247_112:                            ;   in Loop: Header=BB247_9 Depth=1
	s_or_b32 exec_lo, exec_lo, s31
.LBB247_113:                            ;   in Loop: Header=BB247_9 Depth=1
	s_or_b32 exec_lo, exec_lo, s3
	v_lshrrev_b16 v1, 8, v1
	s_mov_b32 s3, exec_lo
	v_cmpx_ne_u16_e32 0, v1
	s_cbranch_execz .LBB247_121
; %bb.114:                              ;   in Loop: Header=BB247_9 Depth=1
	v_bfrev_b32_e32 v35, 1
	s_mov_b32 s31, exec_lo
	v_cmpx_ne_u16_e32 0x80, v1
	s_cbranch_execz .LBB247_120
; %bb.115:                              ;   in Loop: Header=BB247_9 Depth=1
	v_and_b32_sdwa v38, v1, v18 dst_sel:DWORD dst_unused:UNUSED_PAD src0_sel:WORD_0 src1_sel:DWORD
	v_mov_b32_e32 v35, 0x7c010000
	s_mov_b32 s33, exec_lo
	v_cmpx_ne_u32_e32 0x7f, v38
	s_cbranch_execz .LBB247_119
; %bb.116:                              ;   in Loop: Header=BB247_9 Depth=1
	v_and_b32_sdwa v35, v1, v19 dst_sel:DWORD dst_unused:UNUSED_PAD src0_sel:WORD_0 src1_sel:DWORD
	v_lshrrev_b32_e32 v37, 3, v38
	s_mov_b32 s34, exec_lo
	v_cmpx_gt_u32_e32 8, v38
; %bb.117:                              ;   in Loop: Header=BB247_9 Depth=1
	v_ffbh_u32_e32 v35, v35
	v_min_u32_e32 v35, 32, v35
	v_subrev_nc_u32_e32 v37, 28, v35
	v_lshlrev_b64 v[38:39], v37, v[1:2]
	v_sub_nc_u32_e32 v37, 29, v35
	v_and_b32_e32 v35, 7, v38
; %bb.118:                              ;   in Loop: Header=BB247_9 Depth=1
	s_or_b32 exec_lo, exec_lo, s34
	v_lshlrev_b32_sdwa v1, v20, v1 dst_sel:DWORD dst_unused:UNUSED_PAD src0_sel:DWORD src1_sel:WORD_0
	v_lshl_add_u32 v37, v37, 10, 0x2000
	v_lshlrev_b32_e32 v35, 23, v35
	v_and_or_b32 v1, 0x8000, v1, v37
	v_lshl_or_b32 v35, v1, 16, v35
.LBB247_119:                            ;   in Loop: Header=BB247_9 Depth=1
	s_or_b32 exec_lo, exec_lo, s33
.LBB247_120:                            ;   in Loop: Header=BB247_9 Depth=1
	s_or_b32 exec_lo, exec_lo, s31
.LBB247_121:                            ;   in Loop: Header=BB247_9 Depth=1
	s_or_b32 exec_lo, exec_lo, s3
	global_load_ushort v38, v[7:8], off offset:392
	v_mov_b32_e32 v37, 0
	s_waitcnt vmcnt(0)
	v_and_b32_e32 v1, 0xffff, v38
	v_cmp_ne_u16_sdwa s2, v38, v2 src0_sel:BYTE_0 src1_sel:DWORD
	v_mov_b32_e32 v38, 0
	s_and_saveexec_b32 s3, s2
	s_cbranch_execz .LBB247_129
; %bb.122:                              ;   in Loop: Header=BB247_9 Depth=1
	v_cmp_ne_u16_sdwa s2, v1, v17 src0_sel:BYTE_0 src1_sel:DWORD
	v_mov_b32_e32 v38, 0x8000
	s_and_saveexec_b32 s31, s2
	s_cbranch_execz .LBB247_128
; %bb.123:                              ;   in Loop: Header=BB247_9 Depth=1
	v_and_b32_e32 v40, 0x7f, v1
	v_mov_b32_e32 v38, 0x7c01
	s_mov_b32 s33, exec_lo
	v_cmpx_ne_u32_e32 0x7f, v40
	s_cbranch_execz .LBB247_127
; %bb.124:                              ;   in Loop: Header=BB247_9 Depth=1
	v_and_b32_e32 v38, 7, v1
	v_lshrrev_b32_e32 v39, 3, v40
	s_mov_b32 s34, exec_lo
	v_cmpx_gt_u32_e32 8, v40
; %bb.125:                              ;   in Loop: Header=BB247_9 Depth=1
	v_ffbh_u32_e32 v38, v38
	v_min_u32_e32 v40, 32, v38
	v_subrev_nc_u32_e32 v38, 28, v40
	v_lshlrev_b64 v[38:39], v38, v[1:2]
	v_sub_nc_u32_e32 v39, 29, v40
	v_and_b32_e32 v38, 7, v38
; %bb.126:                              ;   in Loop: Header=BB247_9 Depth=1
	s_or_b32 exec_lo, exec_lo, s34
	v_lshlrev_b32_e32 v40, 8, v1
	v_lshl_add_u32 v39, v39, 10, 0x2000
	v_lshlrev_b32_e32 v38, 7, v38
	v_and_b32_e32 v40, 0x8000, v40
	v_and_b32_e32 v39, 0xfc00, v39
	v_or3_b32 v38, v40, v39, v38
.LBB247_127:                            ;   in Loop: Header=BB247_9 Depth=1
	s_or_b32 exec_lo, exec_lo, s33
.LBB247_128:                            ;   in Loop: Header=BB247_9 Depth=1
	s_or_b32 exec_lo, exec_lo, s31
.LBB247_129:                            ;   in Loop: Header=BB247_9 Depth=1
	s_or_b32 exec_lo, exec_lo, s3
	v_lshrrev_b16 v1, 8, v1
	s_mov_b32 s3, exec_lo
	v_cmpx_ne_u16_e32 0, v1
	s_cbranch_execz .LBB247_137
; %bb.130:                              ;   in Loop: Header=BB247_9 Depth=1
	v_bfrev_b32_e32 v37, 1
	s_mov_b32 s31, exec_lo
	v_cmpx_ne_u16_e32 0x80, v1
	s_cbranch_execz .LBB247_136
; %bb.131:                              ;   in Loop: Header=BB247_9 Depth=1
	v_and_b32_sdwa v40, v1, v18 dst_sel:DWORD dst_unused:UNUSED_PAD src0_sel:WORD_0 src1_sel:DWORD
	v_mov_b32_e32 v37, 0x7c010000
	s_mov_b32 s33, exec_lo
	v_cmpx_ne_u32_e32 0x7f, v40
	s_cbranch_execz .LBB247_135
; %bb.132:                              ;   in Loop: Header=BB247_9 Depth=1
	v_and_b32_sdwa v37, v1, v19 dst_sel:DWORD dst_unused:UNUSED_PAD src0_sel:WORD_0 src1_sel:DWORD
	v_lshrrev_b32_e32 v39, 3, v40
	s_mov_b32 s34, exec_lo
	v_cmpx_gt_u32_e32 8, v40
; %bb.133:                              ;   in Loop: Header=BB247_9 Depth=1
	v_ffbh_u32_e32 v37, v37
	v_min_u32_e32 v37, 32, v37
	v_subrev_nc_u32_e32 v39, 28, v37
	v_lshlrev_b64 v[40:41], v39, v[1:2]
	v_sub_nc_u32_e32 v39, 29, v37
	v_and_b32_e32 v37, 7, v40
; %bb.134:                              ;   in Loop: Header=BB247_9 Depth=1
	s_or_b32 exec_lo, exec_lo, s34
	v_lshlrev_b32_sdwa v1, v20, v1 dst_sel:DWORD dst_unused:UNUSED_PAD src0_sel:DWORD src1_sel:WORD_0
	v_lshl_add_u32 v39, v39, 10, 0x2000
	v_lshlrev_b32_e32 v37, 23, v37
	v_and_or_b32 v1, 0x8000, v1, v39
	v_lshl_or_b32 v37, v1, 16, v37
.LBB247_135:                            ;   in Loop: Header=BB247_9 Depth=1
	s_or_b32 exec_lo, exec_lo, s33
.LBB247_136:                            ;   in Loop: Header=BB247_9 Depth=1
	s_or_b32 exec_lo, exec_lo, s31
.LBB247_137:                            ;   in Loop: Header=BB247_9 Depth=1
	s_or_b32 exec_lo, exec_lo, s3
	global_load_ushort v40, v[7:8], off offset:512
	v_mov_b32_e32 v39, 0
	s_waitcnt vmcnt(0)
	v_and_b32_e32 v1, 0xffff, v40
	v_cmp_ne_u16_sdwa s2, v40, v2 src0_sel:BYTE_0 src1_sel:DWORD
	v_mov_b32_e32 v40, 0
	s_and_saveexec_b32 s3, s2
	s_cbranch_execz .LBB247_145
; %bb.138:                              ;   in Loop: Header=BB247_9 Depth=1
	v_cmp_ne_u16_sdwa s2, v1, v17 src0_sel:BYTE_0 src1_sel:DWORD
	v_mov_b32_e32 v40, 0x8000
	s_and_saveexec_b32 s31, s2
	s_cbranch_execz .LBB247_144
; %bb.139:                              ;   in Loop: Header=BB247_9 Depth=1
	v_and_b32_e32 v42, 0x7f, v1
	v_mov_b32_e32 v40, 0x7c01
	s_mov_b32 s33, exec_lo
	v_cmpx_ne_u32_e32 0x7f, v42
	s_cbranch_execz .LBB247_143
; %bb.140:                              ;   in Loop: Header=BB247_9 Depth=1
	v_and_b32_e32 v40, 7, v1
	v_lshrrev_b32_e32 v41, 3, v42
	s_mov_b32 s34, exec_lo
	v_cmpx_gt_u32_e32 8, v42
; %bb.141:                              ;   in Loop: Header=BB247_9 Depth=1
	v_ffbh_u32_e32 v40, v40
	v_min_u32_e32 v42, 32, v40
	v_subrev_nc_u32_e32 v40, 28, v42
	v_lshlrev_b64 v[40:41], v40, v[1:2]
	v_sub_nc_u32_e32 v41, 29, v42
	v_and_b32_e32 v40, 7, v40
; %bb.142:                              ;   in Loop: Header=BB247_9 Depth=1
	s_or_b32 exec_lo, exec_lo, s34
	v_lshlrev_b32_e32 v42, 8, v1
	v_lshl_add_u32 v41, v41, 10, 0x2000
	v_lshlrev_b32_e32 v40, 7, v40
	v_and_b32_e32 v42, 0x8000, v42
	v_and_b32_e32 v41, 0xfc00, v41
	v_or3_b32 v40, v42, v41, v40
.LBB247_143:                            ;   in Loop: Header=BB247_9 Depth=1
	s_or_b32 exec_lo, exec_lo, s33
.LBB247_144:                            ;   in Loop: Header=BB247_9 Depth=1
	s_or_b32 exec_lo, exec_lo, s31
.LBB247_145:                            ;   in Loop: Header=BB247_9 Depth=1
	s_or_b32 exec_lo, exec_lo, s3
	v_lshrrev_b16 v1, 8, v1
	s_mov_b32 s3, exec_lo
	v_cmpx_ne_u16_e32 0, v1
	s_cbranch_execz .LBB247_153
; %bb.146:                              ;   in Loop: Header=BB247_9 Depth=1
	v_bfrev_b32_e32 v39, 1
	s_mov_b32 s31, exec_lo
	v_cmpx_ne_u16_e32 0x80, v1
	s_cbranch_execz .LBB247_152
; %bb.147:                              ;   in Loop: Header=BB247_9 Depth=1
	v_and_b32_sdwa v42, v1, v18 dst_sel:DWORD dst_unused:UNUSED_PAD src0_sel:WORD_0 src1_sel:DWORD
	v_mov_b32_e32 v39, 0x7c010000
	s_mov_b32 s33, exec_lo
	v_cmpx_ne_u32_e32 0x7f, v42
	s_cbranch_execz .LBB247_151
; %bb.148:                              ;   in Loop: Header=BB247_9 Depth=1
	v_and_b32_sdwa v39, v1, v19 dst_sel:DWORD dst_unused:UNUSED_PAD src0_sel:WORD_0 src1_sel:DWORD
	v_lshrrev_b32_e32 v41, 3, v42
	s_mov_b32 s34, exec_lo
	v_cmpx_gt_u32_e32 8, v42
; %bb.149:                              ;   in Loop: Header=BB247_9 Depth=1
	v_ffbh_u32_e32 v39, v39
	v_min_u32_e32 v39, 32, v39
	v_subrev_nc_u32_e32 v41, 28, v39
	v_lshlrev_b64 v[42:43], v41, v[1:2]
	v_sub_nc_u32_e32 v41, 29, v39
	v_and_b32_e32 v39, 7, v42
; %bb.150:                              ;   in Loop: Header=BB247_9 Depth=1
	s_or_b32 exec_lo, exec_lo, s34
	v_lshlrev_b32_sdwa v1, v20, v1 dst_sel:DWORD dst_unused:UNUSED_PAD src0_sel:DWORD src1_sel:WORD_0
	v_lshl_add_u32 v41, v41, 10, 0x2000
	v_lshlrev_b32_e32 v39, 23, v39
	v_and_or_b32 v1, 0x8000, v1, v41
	v_lshl_or_b32 v39, v1, 16, v39
.LBB247_151:                            ;   in Loop: Header=BB247_9 Depth=1
	s_or_b32 exec_lo, exec_lo, s33
.LBB247_152:                            ;   in Loop: Header=BB247_9 Depth=1
	s_or_b32 exec_lo, exec_lo, s31
.LBB247_153:                            ;   in Loop: Header=BB247_9 Depth=1
	s_or_b32 exec_lo, exec_lo, s3
	global_load_ushort v42, v[7:8], off offset:520
	v_mov_b32_e32 v41, 0
	s_waitcnt vmcnt(0)
	v_and_b32_e32 v1, 0xffff, v42
	v_cmp_ne_u16_sdwa s2, v42, v2 src0_sel:BYTE_0 src1_sel:DWORD
	v_mov_b32_e32 v42, 0
	s_and_saveexec_b32 s3, s2
	s_cbranch_execz .LBB247_161
; %bb.154:                              ;   in Loop: Header=BB247_9 Depth=1
	v_cmp_ne_u16_sdwa s2, v1, v17 src0_sel:BYTE_0 src1_sel:DWORD
	v_mov_b32_e32 v42, 0x8000
	s_and_saveexec_b32 s31, s2
	s_cbranch_execz .LBB247_160
; %bb.155:                              ;   in Loop: Header=BB247_9 Depth=1
	v_and_b32_e32 v44, 0x7f, v1
	v_mov_b32_e32 v42, 0x7c01
	s_mov_b32 s33, exec_lo
	v_cmpx_ne_u32_e32 0x7f, v44
	s_cbranch_execz .LBB247_159
; %bb.156:                              ;   in Loop: Header=BB247_9 Depth=1
	v_and_b32_e32 v42, 7, v1
	v_lshrrev_b32_e32 v43, 3, v44
	s_mov_b32 s34, exec_lo
	v_cmpx_gt_u32_e32 8, v44
; %bb.157:                              ;   in Loop: Header=BB247_9 Depth=1
	v_ffbh_u32_e32 v42, v42
	v_min_u32_e32 v44, 32, v42
	v_subrev_nc_u32_e32 v42, 28, v44
	v_lshlrev_b64 v[42:43], v42, v[1:2]
	v_sub_nc_u32_e32 v43, 29, v44
	v_and_b32_e32 v42, 7, v42
; %bb.158:                              ;   in Loop: Header=BB247_9 Depth=1
	s_or_b32 exec_lo, exec_lo, s34
	v_lshlrev_b32_e32 v44, 8, v1
	v_lshl_add_u32 v43, v43, 10, 0x2000
	v_lshlrev_b32_e32 v42, 7, v42
	v_and_b32_e32 v44, 0x8000, v44
	v_and_b32_e32 v43, 0xfc00, v43
	v_or3_b32 v42, v44, v43, v42
.LBB247_159:                            ;   in Loop: Header=BB247_9 Depth=1
	s_or_b32 exec_lo, exec_lo, s33
.LBB247_160:                            ;   in Loop: Header=BB247_9 Depth=1
	s_or_b32 exec_lo, exec_lo, s31
.LBB247_161:                            ;   in Loop: Header=BB247_9 Depth=1
	s_or_b32 exec_lo, exec_lo, s3
	v_lshrrev_b16 v1, 8, v1
	s_mov_b32 s3, exec_lo
	v_cmpx_ne_u16_e32 0, v1
	s_cbranch_execz .LBB247_169
; %bb.162:                              ;   in Loop: Header=BB247_9 Depth=1
	v_bfrev_b32_e32 v41, 1
	s_mov_b32 s31, exec_lo
	v_cmpx_ne_u16_e32 0x80, v1
	s_cbranch_execz .LBB247_168
; %bb.163:                              ;   in Loop: Header=BB247_9 Depth=1
	v_and_b32_sdwa v44, v1, v18 dst_sel:DWORD dst_unused:UNUSED_PAD src0_sel:WORD_0 src1_sel:DWORD
	v_mov_b32_e32 v41, 0x7c010000
	s_mov_b32 s33, exec_lo
	v_cmpx_ne_u32_e32 0x7f, v44
	s_cbranch_execz .LBB247_167
; %bb.164:                              ;   in Loop: Header=BB247_9 Depth=1
	v_and_b32_sdwa v41, v1, v19 dst_sel:DWORD dst_unused:UNUSED_PAD src0_sel:WORD_0 src1_sel:DWORD
	v_lshrrev_b32_e32 v43, 3, v44
	s_mov_b32 s34, exec_lo
	v_cmpx_gt_u32_e32 8, v44
; %bb.165:                              ;   in Loop: Header=BB247_9 Depth=1
	v_ffbh_u32_e32 v41, v41
	v_min_u32_e32 v41, 32, v41
	v_subrev_nc_u32_e32 v43, 28, v41
	v_lshlrev_b64 v[44:45], v43, v[1:2]
	v_sub_nc_u32_e32 v43, 29, v41
	v_and_b32_e32 v41, 7, v44
; %bb.166:                              ;   in Loop: Header=BB247_9 Depth=1
	s_or_b32 exec_lo, exec_lo, s34
	v_lshlrev_b32_sdwa v1, v20, v1 dst_sel:DWORD dst_unused:UNUSED_PAD src0_sel:DWORD src1_sel:WORD_0
	v_lshl_add_u32 v43, v43, 10, 0x2000
	v_lshlrev_b32_e32 v41, 23, v41
	v_and_or_b32 v1, 0x8000, v1, v43
	v_lshl_or_b32 v41, v1, 16, v41
.LBB247_167:                            ;   in Loop: Header=BB247_9 Depth=1
	s_or_b32 exec_lo, exec_lo, s33
.LBB247_168:                            ;   in Loop: Header=BB247_9 Depth=1
	s_or_b32 exec_lo, exec_lo, s31
.LBB247_169:                            ;   in Loop: Header=BB247_9 Depth=1
	s_or_b32 exec_lo, exec_lo, s3
	global_load_ushort v44, v[7:8], off offset:640
	v_mov_b32_e32 v43, 0
	s_waitcnt vmcnt(0)
	v_and_b32_e32 v1, 0xffff, v44
	v_cmp_ne_u16_sdwa s2, v44, v2 src0_sel:BYTE_0 src1_sel:DWORD
	v_mov_b32_e32 v44, 0
	s_and_saveexec_b32 s3, s2
	s_cbranch_execz .LBB247_177
; %bb.170:                              ;   in Loop: Header=BB247_9 Depth=1
	v_cmp_ne_u16_sdwa s2, v1, v17 src0_sel:BYTE_0 src1_sel:DWORD
	v_mov_b32_e32 v44, 0x8000
	s_and_saveexec_b32 s31, s2
	s_cbranch_execz .LBB247_176
; %bb.171:                              ;   in Loop: Header=BB247_9 Depth=1
	v_and_b32_e32 v46, 0x7f, v1
	v_mov_b32_e32 v44, 0x7c01
	s_mov_b32 s33, exec_lo
	v_cmpx_ne_u32_e32 0x7f, v46
	s_cbranch_execz .LBB247_175
; %bb.172:                              ;   in Loop: Header=BB247_9 Depth=1
	v_and_b32_e32 v44, 7, v1
	v_lshrrev_b32_e32 v45, 3, v46
	s_mov_b32 s34, exec_lo
	v_cmpx_gt_u32_e32 8, v46
; %bb.173:                              ;   in Loop: Header=BB247_9 Depth=1
	v_ffbh_u32_e32 v44, v44
	v_min_u32_e32 v46, 32, v44
	v_subrev_nc_u32_e32 v44, 28, v46
	v_lshlrev_b64 v[44:45], v44, v[1:2]
	v_sub_nc_u32_e32 v45, 29, v46
	v_and_b32_e32 v44, 7, v44
; %bb.174:                              ;   in Loop: Header=BB247_9 Depth=1
	s_or_b32 exec_lo, exec_lo, s34
	v_lshlrev_b32_e32 v46, 8, v1
	v_lshl_add_u32 v45, v45, 10, 0x2000
	v_lshlrev_b32_e32 v44, 7, v44
	v_and_b32_e32 v46, 0x8000, v46
	v_and_b32_e32 v45, 0xfc00, v45
	v_or3_b32 v44, v46, v45, v44
.LBB247_175:                            ;   in Loop: Header=BB247_9 Depth=1
	s_or_b32 exec_lo, exec_lo, s33
.LBB247_176:                            ;   in Loop: Header=BB247_9 Depth=1
	s_or_b32 exec_lo, exec_lo, s31
.LBB247_177:                            ;   in Loop: Header=BB247_9 Depth=1
	s_or_b32 exec_lo, exec_lo, s3
	v_lshrrev_b16 v1, 8, v1
	s_mov_b32 s3, exec_lo
	v_cmpx_ne_u16_e32 0, v1
	s_cbranch_execz .LBB247_185
; %bb.178:                              ;   in Loop: Header=BB247_9 Depth=1
	v_bfrev_b32_e32 v43, 1
	s_mov_b32 s31, exec_lo
	v_cmpx_ne_u16_e32 0x80, v1
	s_cbranch_execz .LBB247_184
; %bb.179:                              ;   in Loop: Header=BB247_9 Depth=1
	v_and_b32_sdwa v46, v1, v18 dst_sel:DWORD dst_unused:UNUSED_PAD src0_sel:WORD_0 src1_sel:DWORD
	v_mov_b32_e32 v43, 0x7c010000
	s_mov_b32 s33, exec_lo
	v_cmpx_ne_u32_e32 0x7f, v46
	s_cbranch_execz .LBB247_183
; %bb.180:                              ;   in Loop: Header=BB247_9 Depth=1
	v_and_b32_sdwa v43, v1, v19 dst_sel:DWORD dst_unused:UNUSED_PAD src0_sel:WORD_0 src1_sel:DWORD
	v_lshrrev_b32_e32 v45, 3, v46
	s_mov_b32 s34, exec_lo
	v_cmpx_gt_u32_e32 8, v46
; %bb.181:                              ;   in Loop: Header=BB247_9 Depth=1
	v_ffbh_u32_e32 v43, v43
	v_min_u32_e32 v43, 32, v43
	v_subrev_nc_u32_e32 v45, 28, v43
	v_lshlrev_b64 v[46:47], v45, v[1:2]
	v_sub_nc_u32_e32 v45, 29, v43
	v_and_b32_e32 v43, 7, v46
; %bb.182:                              ;   in Loop: Header=BB247_9 Depth=1
	s_or_b32 exec_lo, exec_lo, s34
	v_lshlrev_b32_sdwa v1, v20, v1 dst_sel:DWORD dst_unused:UNUSED_PAD src0_sel:DWORD src1_sel:WORD_0
	v_lshl_add_u32 v45, v45, 10, 0x2000
	v_lshlrev_b32_e32 v43, 23, v43
	v_and_or_b32 v1, 0x8000, v1, v45
	v_lshl_or_b32 v43, v1, 16, v43
.LBB247_183:                            ;   in Loop: Header=BB247_9 Depth=1
	s_or_b32 exec_lo, exec_lo, s33
.LBB247_184:                            ;   in Loop: Header=BB247_9 Depth=1
	s_or_b32 exec_lo, exec_lo, s31
.LBB247_185:                            ;   in Loop: Header=BB247_9 Depth=1
	s_or_b32 exec_lo, exec_lo, s3
	global_load_ushort v46, v[7:8], off offset:648
	v_mov_b32_e32 v45, 0
	s_waitcnt vmcnt(0)
	v_and_b32_e32 v1, 0xffff, v46
	v_cmp_ne_u16_sdwa s2, v46, v2 src0_sel:BYTE_0 src1_sel:DWORD
	v_mov_b32_e32 v46, 0
	s_and_saveexec_b32 s3, s2
	s_cbranch_execz .LBB247_193
; %bb.186:                              ;   in Loop: Header=BB247_9 Depth=1
	v_cmp_ne_u16_sdwa s2, v1, v17 src0_sel:BYTE_0 src1_sel:DWORD
	v_mov_b32_e32 v46, 0x8000
	s_and_saveexec_b32 s31, s2
	s_cbranch_execz .LBB247_192
; %bb.187:                              ;   in Loop: Header=BB247_9 Depth=1
	v_and_b32_e32 v48, 0x7f, v1
	v_mov_b32_e32 v46, 0x7c01
	s_mov_b32 s33, exec_lo
	v_cmpx_ne_u32_e32 0x7f, v48
	s_cbranch_execz .LBB247_191
; %bb.188:                              ;   in Loop: Header=BB247_9 Depth=1
	v_and_b32_e32 v46, 7, v1
	v_lshrrev_b32_e32 v47, 3, v48
	s_mov_b32 s34, exec_lo
	v_cmpx_gt_u32_e32 8, v48
; %bb.189:                              ;   in Loop: Header=BB247_9 Depth=1
	v_ffbh_u32_e32 v46, v46
	v_min_u32_e32 v48, 32, v46
	v_subrev_nc_u32_e32 v46, 28, v48
	v_lshlrev_b64 v[46:47], v46, v[1:2]
	v_sub_nc_u32_e32 v47, 29, v48
	v_and_b32_e32 v46, 7, v46
; %bb.190:                              ;   in Loop: Header=BB247_9 Depth=1
	s_or_b32 exec_lo, exec_lo, s34
	v_lshlrev_b32_e32 v48, 8, v1
	v_lshl_add_u32 v47, v47, 10, 0x2000
	v_lshlrev_b32_e32 v46, 7, v46
	v_and_b32_e32 v48, 0x8000, v48
	v_and_b32_e32 v47, 0xfc00, v47
	v_or3_b32 v46, v48, v47, v46
.LBB247_191:                            ;   in Loop: Header=BB247_9 Depth=1
	s_or_b32 exec_lo, exec_lo, s33
.LBB247_192:                            ;   in Loop: Header=BB247_9 Depth=1
	s_or_b32 exec_lo, exec_lo, s31
.LBB247_193:                            ;   in Loop: Header=BB247_9 Depth=1
	s_or_b32 exec_lo, exec_lo, s3
	v_lshrrev_b16 v1, 8, v1
	s_mov_b32 s3, exec_lo
	v_cmpx_ne_u16_e32 0, v1
	s_cbranch_execz .LBB247_201
; %bb.194:                              ;   in Loop: Header=BB247_9 Depth=1
	v_bfrev_b32_e32 v45, 1
	s_mov_b32 s31, exec_lo
	v_cmpx_ne_u16_e32 0x80, v1
	s_cbranch_execz .LBB247_200
; %bb.195:                              ;   in Loop: Header=BB247_9 Depth=1
	v_and_b32_sdwa v48, v1, v18 dst_sel:DWORD dst_unused:UNUSED_PAD src0_sel:WORD_0 src1_sel:DWORD
	v_mov_b32_e32 v45, 0x7c010000
	s_mov_b32 s33, exec_lo
	v_cmpx_ne_u32_e32 0x7f, v48
	s_cbranch_execz .LBB247_199
; %bb.196:                              ;   in Loop: Header=BB247_9 Depth=1
	v_and_b32_sdwa v45, v1, v19 dst_sel:DWORD dst_unused:UNUSED_PAD src0_sel:WORD_0 src1_sel:DWORD
	v_lshrrev_b32_e32 v47, 3, v48
	s_mov_b32 s34, exec_lo
	v_cmpx_gt_u32_e32 8, v48
; %bb.197:                              ;   in Loop: Header=BB247_9 Depth=1
	v_ffbh_u32_e32 v45, v45
	v_min_u32_e32 v45, 32, v45
	v_subrev_nc_u32_e32 v47, 28, v45
	v_lshlrev_b64 v[48:49], v47, v[1:2]
	v_sub_nc_u32_e32 v47, 29, v45
	v_and_b32_e32 v45, 7, v48
; %bb.198:                              ;   in Loop: Header=BB247_9 Depth=1
	s_or_b32 exec_lo, exec_lo, s34
	v_lshlrev_b32_sdwa v1, v20, v1 dst_sel:DWORD dst_unused:UNUSED_PAD src0_sel:DWORD src1_sel:WORD_0
	v_lshl_add_u32 v47, v47, 10, 0x2000
	v_lshlrev_b32_e32 v45, 23, v45
	v_and_or_b32 v1, 0x8000, v1, v47
	v_lshl_or_b32 v45, v1, 16, v45
.LBB247_199:                            ;   in Loop: Header=BB247_9 Depth=1
	s_or_b32 exec_lo, exec_lo, s33
.LBB247_200:                            ;   in Loop: Header=BB247_9 Depth=1
	s_or_b32 exec_lo, exec_lo, s31
.LBB247_201:                            ;   in Loop: Header=BB247_9 Depth=1
	s_or_b32 exec_lo, exec_lo, s3
	global_load_ushort v48, v[7:8], off offset:768
	v_mov_b32_e32 v47, 0
	s_waitcnt vmcnt(0)
	v_and_b32_e32 v1, 0xffff, v48
	v_cmp_ne_u16_sdwa s2, v48, v2 src0_sel:BYTE_0 src1_sel:DWORD
	v_mov_b32_e32 v48, 0
	s_and_saveexec_b32 s3, s2
	s_cbranch_execz .LBB247_209
; %bb.202:                              ;   in Loop: Header=BB247_9 Depth=1
	v_cmp_ne_u16_sdwa s2, v1, v17 src0_sel:BYTE_0 src1_sel:DWORD
	v_mov_b32_e32 v48, 0x8000
	s_and_saveexec_b32 s31, s2
	s_cbranch_execz .LBB247_208
; %bb.203:                              ;   in Loop: Header=BB247_9 Depth=1
	v_and_b32_e32 v50, 0x7f, v1
	v_mov_b32_e32 v48, 0x7c01
	s_mov_b32 s33, exec_lo
	v_cmpx_ne_u32_e32 0x7f, v50
	s_cbranch_execz .LBB247_207
; %bb.204:                              ;   in Loop: Header=BB247_9 Depth=1
	v_and_b32_e32 v48, 7, v1
	v_lshrrev_b32_e32 v49, 3, v50
	s_mov_b32 s34, exec_lo
	v_cmpx_gt_u32_e32 8, v50
; %bb.205:                              ;   in Loop: Header=BB247_9 Depth=1
	v_ffbh_u32_e32 v48, v48
	v_min_u32_e32 v50, 32, v48
	v_subrev_nc_u32_e32 v48, 28, v50
	v_lshlrev_b64 v[48:49], v48, v[1:2]
	v_sub_nc_u32_e32 v49, 29, v50
	v_and_b32_e32 v48, 7, v48
; %bb.206:                              ;   in Loop: Header=BB247_9 Depth=1
	s_or_b32 exec_lo, exec_lo, s34
	v_lshlrev_b32_e32 v50, 8, v1
	v_lshl_add_u32 v49, v49, 10, 0x2000
	v_lshlrev_b32_e32 v48, 7, v48
	v_and_b32_e32 v50, 0x8000, v50
	v_and_b32_e32 v49, 0xfc00, v49
	v_or3_b32 v48, v50, v49, v48
.LBB247_207:                            ;   in Loop: Header=BB247_9 Depth=1
	s_or_b32 exec_lo, exec_lo, s33
.LBB247_208:                            ;   in Loop: Header=BB247_9 Depth=1
	s_or_b32 exec_lo, exec_lo, s31
.LBB247_209:                            ;   in Loop: Header=BB247_9 Depth=1
	s_or_b32 exec_lo, exec_lo, s3
	v_lshrrev_b16 v1, 8, v1
	s_mov_b32 s3, exec_lo
	v_cmpx_ne_u16_e32 0, v1
	s_cbranch_execz .LBB247_217
; %bb.210:                              ;   in Loop: Header=BB247_9 Depth=1
	v_bfrev_b32_e32 v47, 1
	s_mov_b32 s31, exec_lo
	v_cmpx_ne_u16_e32 0x80, v1
	s_cbranch_execz .LBB247_216
; %bb.211:                              ;   in Loop: Header=BB247_9 Depth=1
	v_and_b32_sdwa v50, v1, v18 dst_sel:DWORD dst_unused:UNUSED_PAD src0_sel:WORD_0 src1_sel:DWORD
	v_mov_b32_e32 v47, 0x7c010000
	s_mov_b32 s33, exec_lo
	v_cmpx_ne_u32_e32 0x7f, v50
	s_cbranch_execz .LBB247_215
; %bb.212:                              ;   in Loop: Header=BB247_9 Depth=1
	v_and_b32_sdwa v47, v1, v19 dst_sel:DWORD dst_unused:UNUSED_PAD src0_sel:WORD_0 src1_sel:DWORD
	v_lshrrev_b32_e32 v49, 3, v50
	s_mov_b32 s34, exec_lo
	v_cmpx_gt_u32_e32 8, v50
; %bb.213:                              ;   in Loop: Header=BB247_9 Depth=1
	v_ffbh_u32_e32 v47, v47
	v_min_u32_e32 v47, 32, v47
	v_subrev_nc_u32_e32 v49, 28, v47
	v_lshlrev_b64 v[50:51], v49, v[1:2]
	v_sub_nc_u32_e32 v49, 29, v47
	v_and_b32_e32 v47, 7, v50
; %bb.214:                              ;   in Loop: Header=BB247_9 Depth=1
	s_or_b32 exec_lo, exec_lo, s34
	v_lshlrev_b32_sdwa v1, v20, v1 dst_sel:DWORD dst_unused:UNUSED_PAD src0_sel:DWORD src1_sel:WORD_0
	v_lshl_add_u32 v49, v49, 10, 0x2000
	v_lshlrev_b32_e32 v47, 23, v47
	v_and_or_b32 v1, 0x8000, v1, v49
	v_lshl_or_b32 v47, v1, 16, v47
.LBB247_215:                            ;   in Loop: Header=BB247_9 Depth=1
	s_or_b32 exec_lo, exec_lo, s33
.LBB247_216:                            ;   in Loop: Header=BB247_9 Depth=1
	s_or_b32 exec_lo, exec_lo, s31
.LBB247_217:                            ;   in Loop: Header=BB247_9 Depth=1
	s_or_b32 exec_lo, exec_lo, s3
	global_load_ushort v8, v[7:8], off offset:776
	v_mov_b32_e32 v7, 0
	s_waitcnt vmcnt(0)
	v_and_b32_e32 v1, 0xffff, v8
	v_cmp_ne_u16_sdwa s2, v8, v2 src0_sel:BYTE_0 src1_sel:DWORD
	v_mov_b32_e32 v8, 0
	s_and_saveexec_b32 s3, s2
	s_cbranch_execz .LBB247_225
; %bb.218:                              ;   in Loop: Header=BB247_9 Depth=1
	v_cmp_ne_u16_sdwa s2, v1, v17 src0_sel:BYTE_0 src1_sel:DWORD
	v_mov_b32_e32 v8, 0x8000
	s_and_saveexec_b32 s31, s2
	s_cbranch_execz .LBB247_224
; %bb.219:                              ;   in Loop: Header=BB247_9 Depth=1
	v_and_b32_e32 v50, 0x7f, v1
	v_mov_b32_e32 v8, 0x7c01
	s_mov_b32 s33, exec_lo
	v_cmpx_ne_u32_e32 0x7f, v50
	s_cbranch_execz .LBB247_223
; %bb.220:                              ;   in Loop: Header=BB247_9 Depth=1
	v_and_b32_e32 v8, 7, v1
	v_lshrrev_b32_e32 v49, 3, v50
	s_mov_b32 s34, exec_lo
	v_cmpx_gt_u32_e32 8, v50
; %bb.221:                              ;   in Loop: Header=BB247_9 Depth=1
	v_ffbh_u32_e32 v8, v8
	v_min_u32_e32 v8, 32, v8
	v_subrev_nc_u32_e32 v49, 28, v8
	v_lshlrev_b64 v[50:51], v49, v[1:2]
	v_sub_nc_u32_e32 v49, 29, v8
	v_and_b32_e32 v8, 7, v50
; %bb.222:                              ;   in Loop: Header=BB247_9 Depth=1
	s_or_b32 exec_lo, exec_lo, s34
	v_lshlrev_b32_e32 v50, 8, v1
	v_lshl_add_u32 v49, v49, 10, 0x2000
	v_lshlrev_b32_e32 v8, 7, v8
	v_and_b32_e32 v50, 0x8000, v50
	v_and_b32_e32 v49, 0xfc00, v49
	v_or3_b32 v8, v50, v49, v8
.LBB247_223:                            ;   in Loop: Header=BB247_9 Depth=1
	s_or_b32 exec_lo, exec_lo, s33
.LBB247_224:                            ;   in Loop: Header=BB247_9 Depth=1
	s_or_b32 exec_lo, exec_lo, s31
.LBB247_225:                            ;   in Loop: Header=BB247_9 Depth=1
	s_or_b32 exec_lo, exec_lo, s3
	v_lshrrev_b16 v1, 8, v1
	s_mov_b32 s3, exec_lo
	v_cmpx_ne_u16_e32 0, v1
	s_cbranch_execz .LBB247_233
; %bb.226:                              ;   in Loop: Header=BB247_9 Depth=1
	v_bfrev_b32_e32 v7, 1
	s_mov_b32 s31, exec_lo
	v_cmpx_ne_u16_e32 0x80, v1
	s_cbranch_execz .LBB247_232
; %bb.227:                              ;   in Loop: Header=BB247_9 Depth=1
	v_and_b32_sdwa v50, v1, v18 dst_sel:DWORD dst_unused:UNUSED_PAD src0_sel:WORD_0 src1_sel:DWORD
	v_mov_b32_e32 v7, 0x7c010000
	s_mov_b32 s33, exec_lo
	v_cmpx_ne_u32_e32 0x7f, v50
	s_cbranch_execz .LBB247_231
; %bb.228:                              ;   in Loop: Header=BB247_9 Depth=1
	v_and_b32_sdwa v7, v1, v19 dst_sel:DWORD dst_unused:UNUSED_PAD src0_sel:WORD_0 src1_sel:DWORD
	v_lshrrev_b32_e32 v49, 3, v50
	s_mov_b32 s34, exec_lo
	v_cmpx_gt_u32_e32 8, v50
; %bb.229:                              ;   in Loop: Header=BB247_9 Depth=1
	v_ffbh_u32_e32 v7, v7
	v_min_u32_e32 v7, 32, v7
	v_subrev_nc_u32_e32 v49, 28, v7
	v_lshlrev_b64 v[50:51], v49, v[1:2]
	v_sub_nc_u32_e32 v49, 29, v7
	v_and_b32_e32 v7, 7, v50
; %bb.230:                              ;   in Loop: Header=BB247_9 Depth=1
	s_or_b32 exec_lo, exec_lo, s34
	v_lshlrev_b32_sdwa v1, v20, v1 dst_sel:DWORD dst_unused:UNUSED_PAD src0_sel:DWORD src1_sel:WORD_0
	v_lshl_add_u32 v49, v49, 10, 0x2000
	v_lshlrev_b32_e32 v7, 23, v7
	v_and_or_b32 v1, 0x8000, v1, v49
	v_lshl_or_b32 v7, v1, 16, v7
.LBB247_231:                            ;   in Loop: Header=BB247_9 Depth=1
	s_or_b32 exec_lo, exec_lo, s33
.LBB247_232:                            ;   in Loop: Header=BB247_9 Depth=1
	s_or_b32 exec_lo, exec_lo, s31
.LBB247_233:                            ;   in Loop: Header=BB247_9 Depth=1
	s_or_b32 exec_lo, exec_lo, s3
	ds_read_b32 v1, v14
	v_or_b32_e32 v23, v24, v23
	v_fma_mixlo_f16 v24, v22, v24, 0 op_sel:[0,1,0] op_sel_hi:[0,1,0]
	v_or_b32_e32 v26, v25, v26
	v_fma_mixlo_f16 v25, v22, v25, 0 op_sel:[0,1,0] op_sel_hi:[0,1,0]
	v_or_b32_e32 v28, v27, v28
	v_fma_mixlo_f16 v23, v22, v23, 0 op_sel_hi:[0,1,0]
	v_and_b32_e32 v52, 0xffff, v24
	v_fma_mixlo_f16 v26, v22, v26, 0 op_sel_hi:[0,1,0]
	v_and_b32_e32 v53, 0xffff, v25
	;; [unrolled: 2-line block ×3, first 2 shown]
	v_fma_mixlo_f16 v27, v22, v27, 0 op_sel:[0,1,0] op_sel_hi:[0,1,0]
	v_or_b32_e32 v30, v29, v30
	v_fma_mixlo_f16 v29, v22, v29, 0 op_sel:[0,1,0] op_sel_hi:[0,1,0]
	v_and_b32_e32 v54, 0xffff, v28
	v_or_b32_e32 v32, v31, v32
	v_and_b32_e32 v55, 0xffff, v27
	v_fma_mixlo_f16 v30, v22, v30, 0 op_sel_hi:[0,1,0]
	v_and_b32_e32 v57, 0xffff, v29
	s_waitcnt lgkmcnt(0)
	v_and_b32_e32 v49, 0xffff, v1
	v_lshrrev_b32_e32 v50, 16, v1
	;;#ASMSTART
	v_cvt_f32_f16 v1, v49;
	;;#ASMEND
	;;#ASMSTART
	v_cvt_f32_f16 v23, v50;
	;;#ASMEND
	;; [unrolled: 3-line block ×4, first 2 shown]
	ds_read_b32 v50, v14 offset:4
	v_and_b32_e32 v52, 0xffff, v26
	v_and_b32_e32 v56, 0xffff, v30
	v_fma_mixlo_f16 v32, v22, v32, 0 op_sel_hi:[0,1,0]
	v_fma_mixlo_f16 v31, v22, v31, 0 op_sel:[0,1,0] op_sel_hi:[0,1,0]
	v_or_b32_e32 v34, v33, v34
	v_fma_mixlo_f16 v33, v22, v33, 0 op_sel:[0,1,0] op_sel_hi:[0,1,0]
	v_or_b32_e32 v36, v35, v36
	v_and_b32_e32 v58, 0xffff, v32
	v_and_b32_e32 v59, 0xffff, v31
	v_fma_mixlo_f16 v34, v22, v34, 0 op_sel_hi:[0,1,0]
	v_and_b32_e32 v61, 0xffff, v33
	v_fma_mixlo_f16 v36, v22, v36, 0 op_sel_hi:[0,1,0]
	v_fma_mixlo_f16 v35, v22, v35, 0 op_sel:[0,1,0] op_sel_hi:[0,1,0]
	v_or_b32_e32 v38, v37, v38
	v_and_b32_e32 v60, 0xffff, v34
	v_fma_mixlo_f16 v37, v22, v37, 0 op_sel:[0,1,0] op_sel_hi:[0,1,0]
	v_and_b32_e32 v62, 0xffff, v36
	v_and_b32_e32 v63, 0xffff, v35
	v_fma_mixlo_f16 v38, v22, v38, 0 op_sel_hi:[0,1,0]
	s_waitcnt lgkmcnt(0)
	v_and_b32_e32 v51, 0xffff, v50
	v_lshrrev_b32_e32 v50, 16, v50
	;;#ASMSTART
	v_cvt_f32_f16 v25, v51;
	;;#ASMEND
	;;#ASMSTART
	v_cvt_f32_f16 v26, v50;
	;;#ASMEND
	;; [unrolled: 3-line block ×4, first 2 shown]
	ds_read_b32 v52, v14 offset:8
	v_and_b32_e32 v64, 0xffff, v38
	v_and_b32_e32 v65, 0xffff, v37
	v_or_b32_e32 v40, v39, v40
	v_fma_mixlo_f16 v39, v22, v39, 0 op_sel:[0,1,0] op_sel_hi:[0,1,0]
	v_or_b32_e32 v42, v41, v42
	v_fma_mixlo_f16 v41, v22, v41, 0 op_sel:[0,1,0] op_sel_hi:[0,1,0]
	v_or_b32_e32 v44, v43, v44
	v_fma_mixlo_f16 v40, v22, v40, 0 op_sel_hi:[0,1,0]
	v_and_b32_e32 v67, 0xffff, v39
	v_fma_mixlo_f16 v42, v22, v42, 0 op_sel_hi:[0,1,0]
	v_and_b32_e32 v69, 0xffff, v41
	;; [unrolled: 2-line block ×3, first 2 shown]
	v_fma_mixlo_f16 v43, v22, v43, 0 op_sel:[0,1,0] op_sel_hi:[0,1,0]
	v_and_b32_e32 v68, 0xffff, v42
	v_mul_f32_e32 v25, v25, v50
	v_mul_f32_e32 v26, v26, v51
	v_and_b32_e32 v70, 0xffff, v44
	v_and_b32_e32 v71, 0xffff, v43
	s_waitcnt lgkmcnt(0)
	v_and_b32_e32 v53, 0xffff, v52
	v_lshrrev_b32_e32 v52, 16, v52
	;;#ASMSTART
	v_cvt_f32_f16 v27, v53;
	;;#ASMEND
	;;#ASMSTART
	v_cvt_f32_f16 v28, v52;
	;;#ASMEND
	;; [unrolled: 3-line block ×4, first 2 shown]
	ds_read_b32 v54, v14 offset:12
	v_fmac_f32_e32 v25, v1, v24
	v_fmac_f32_e32 v26, v23, v49
	v_or_b32_e32 v46, v45, v46
	v_fma_mixlo_f16 v45, v22, v45, 0 op_sel:[0,1,0] op_sel_hi:[0,1,0]
	v_or_b32_e32 v8, v7, v8
	v_fmac_f32_e32 v25, v27, v52
	v_fmac_f32_e32 v26, v28, v53
	v_fma_mixlo_f16 v46, v22, v46, 0 op_sel_hi:[0,1,0]
	v_and_b32_e32 v45, 0xffff, v45
	v_fma_mixlo_f16 v8, v22, v8, 0 op_sel_hi:[0,1,0]
	v_fma_mixlo_f16 v7, v22, v7, 0 op_sel:[0,1,0] op_sel_hi:[0,1,0]
	v_and_b32_e32 v24, 0xffff, v46
	s_waitcnt lgkmcnt(0)
	v_and_b32_e32 v55, 0xffff, v54
	v_lshrrev_b32_e32 v54, 16, v54
	;;#ASMSTART
	v_cvt_f32_f16 v29, v55;
	;;#ASMEND
	;;#ASMSTART
	v_cvt_f32_f16 v30, v54;
	;;#ASMEND
	;; [unrolled: 3-line block ×4, first 2 shown]
	ds_read_b32 v56, v14 offset:16
	v_fmac_f32_e32 v25, v29, v54
	v_fmac_f32_e32 v26, v30, v55
	v_or_b32_e32 v29, v47, v48
	v_fma_mixlo_f16 v30, v22, v47, 0 op_sel:[0,1,0] op_sel_hi:[0,1,0]
	v_fma_mixlo_f16 v29, v22, v29, 0 op_sel_hi:[0,1,0]
	s_waitcnt lgkmcnt(0)
	v_and_b32_e32 v57, 0xffff, v56
	v_lshrrev_b32_e32 v56, 16, v56
	;;#ASMSTART
	v_cvt_f32_f16 v31, v57;
	;;#ASMEND
	;;#ASMSTART
	v_cvt_f32_f16 v32, v56;
	;;#ASMEND
	;; [unrolled: 3-line block ×4, first 2 shown]
	ds_read_b32 v58, v14 offset:20
	v_fmac_f32_e32 v25, v31, v56
	v_fmac_f32_e32 v26, v32, v57
	v_and_b32_e32 v31, 0xffff, v30
	s_waitcnt lgkmcnt(0)
	v_and_b32_e32 v59, 0xffff, v58
	v_lshrrev_b32_e32 v58, 16, v58
	;;#ASMSTART
	v_cvt_f32_f16 v33, v59;
	;;#ASMEND
	;;#ASMSTART
	v_cvt_f32_f16 v34, v58;
	;;#ASMEND
	;; [unrolled: 3-line block ×4, first 2 shown]
	ds_read_b32 v60, v14 offset:24
	v_fmac_f32_e32 v25, v33, v58
	v_fmac_f32_e32 v26, v34, v59
	v_and_b32_e32 v33, 0xffff, v29
	v_and_b32_e32 v34, 0xffff, v7
	s_waitcnt lgkmcnt(0)
	v_and_b32_e32 v61, 0xffff, v60
	v_lshrrev_b32_e32 v60, 16, v60
	;;#ASMSTART
	v_cvt_f32_f16 v35, v61;
	;;#ASMEND
	;;#ASMSTART
	v_cvt_f32_f16 v36, v60;
	;;#ASMEND
	;;#ASMSTART
	v_cvt_f32_f16 v60, v62;
	;;#ASMEND
	;;#ASMSTART
	v_cvt_f32_f16 v61, v63;
	;;#ASMEND
	ds_read_b32 v62, v14 offset:28
	v_fmac_f32_e32 v25, v35, v60
	v_fmac_f32_e32 v26, v36, v61
	s_waitcnt lgkmcnt(0)
	v_and_b32_e32 v63, 0xffff, v62
	v_lshrrev_b32_e32 v62, 16, v62
	;;#ASMSTART
	v_cvt_f32_f16 v37, v63;
	;;#ASMEND
	;;#ASMSTART
	v_cvt_f32_f16 v38, v62;
	;;#ASMEND
	;;#ASMSTART
	v_cvt_f32_f16 v62, v64;
	;;#ASMEND
	;;#ASMSTART
	v_cvt_f32_f16 v63, v65;
	;;#ASMEND
	ds_read_b32 v64, v14 offset:32
	v_fmac_f32_e32 v25, v37, v62
	v_fmac_f32_e32 v26, v38, v63
	;; [unrolled: 18-line block ×6, first 2 shown]
	v_and_b32_e32 v23, 0xffff, v8
	s_waitcnt lgkmcnt(0)
	v_and_b32_e32 v30, 0xffff, v28
	v_lshrrev_b32_e32 v32, 16, v28
	;;#ASMSTART
	v_cvt_f32_f16 v28, v30;
	;;#ASMEND
	;;#ASMSTART
	v_cvt_f32_f16 v29, v32;
	;;#ASMEND
	;; [unrolled: 3-line block ×4, first 2 shown]
	ds_read_b32 v32, v14 offset:52
	v_xor_b32_e32 v33, 2, v10
	v_fmac_f32_e32 v25, v28, v30
	v_fmac_f32_e32 v26, v29, v31
	v_cmp_gt_i32_e64 s2, 32, v33
	v_cndmask_b32_e64 v7, v10, v33, s2
	s_waitcnt lgkmcnt(0)
	v_and_b32_e32 v1, 0xffff, v32
	v_lshrrev_b32_e32 v22, 16, v32
	;;#ASMSTART
	v_cvt_f32_f16 v1, v1;
	;;#ASMEND
	;;#ASMSTART
	v_cvt_f32_f16 v8, v22;
	;;#ASMEND
	;;#ASMSTART
	v_cvt_f32_f16 v22, v23;
	;;#ASMEND
	;;#ASMSTART
	v_cvt_f32_f16 v23, v34;
	;;#ASMEND
	v_fmac_f32_e32 v25, v1, v22
	v_fmac_f32_e32 v26, v8, v23
	v_lshlrev_b32_e32 v1, 2, v7
	v_xor_b32_e32 v8, 1, v10
	v_add_f32_e32 v7, v25, v26
	v_cmp_gt_i32_e64 s2, 32, v8
	ds_bpermute_b32 v1, v1, v7
	v_cndmask_b32_e64 v8, v10, v8, s2
	s_waitcnt lgkmcnt(0)
	v_add_f32_e32 v1, v7, v1
	v_lshlrev_b32_e32 v7, 2, v8
	ds_bpermute_b32 v7, v7, v1
	s_and_saveexec_b32 s3, vcc_lo
	s_cbranch_execz .LBB247_8
; %bb.234:                              ;   in Loop: Header=BB247_9 Depth=1
	v_add_nc_u32_e32 v8, s4, v15
	s_waitcnt lgkmcnt(0)
	v_add_f32_e32 v1, v1, v7
	v_cmp_gt_i32_e64 s2, s11, v15
	v_cvt_f32_i32_e32 v8, v8
	v_mul_f32_e32 v8, s28, v8
	v_cndmask_b32_e64 v7, 0, v8, s1
	v_max_f32_e32 v8, v12, v12
	v_fmac_f32_e32 v7, s29, v1
	v_max_f32_e32 v1, v8, v7
	v_cndmask_b32_e64 v7, 0, v7, s2
	v_cndmask_b32_e64 v12, v12, v1, s2
	ds_write_b32 v16, v7
	s_branch .LBB247_8
.LBB247_235:
	s_or_b32 exec_lo, exec_lo, s5
.LBB247_236:
	s_or_b32 exec_lo, exec_lo, s19
	v_xor_b32_e32 v1, 16, v10
	v_xor_b32_e32 v4, 8, v10
	v_max_f32_e32 v5, v12, v12
	v_cmp_lt_i32_e32 vcc_lo, v1, v13
	v_cndmask_b32_e32 v1, v10, v1, vcc_lo
	v_cmp_lt_i32_e32 vcc_lo, v4, v13
	v_lshlrev_b32_e32 v1, 2, v1
	v_cndmask_b32_e32 v4, v10, v4, vcc_lo
	ds_bpermute_b32 v3, v1, v12
	v_and_b32_e32 v12, 31, v0
	s_waitcnt lgkmcnt(0)
	v_max_f32_e32 v6, v3, v3
	v_lshlrev_b32_e32 v3, 2, v4
	v_max_f32_e32 v4, v5, v6
	v_xor_b32_e32 v6, 4, v10
	ds_bpermute_b32 v5, v3, v4
	v_cmp_lt_i32_e32 vcc_lo, v6, v13
	v_cndmask_b32_e32 v6, v10, v6, vcc_lo
	v_cmp_eq_u32_e32 vcc_lo, 0, v12
	v_lshlrev_b32_e32 v6, 2, v6
	s_waitcnt lgkmcnt(0)
	v_max_f32_e32 v5, v5, v5
	v_max_f32_e32 v5, v4, v5
	v_lshlrev_b32_e32 v4, 2, v11
	ds_bpermute_b32 v7, v6, v5
	s_and_saveexec_b32 s1, vcc_lo
	s_cbranch_execz .LBB247_238
; %bb.237:
	s_waitcnt lgkmcnt(0)
	v_max_f32_e32 v7, v7, v7
	v_max_f32_e32 v5, v5, v5
	v_max_f32_e32 v5, v5, v7
	ds_write_b32 v4, v5 offset:224
.LBB247_238:
	s_or_b32 exec_lo, exec_lo, s1
	v_cmp_gt_u32_e64 s1, 4, v12
	v_mov_b32_e32 v8, 0xff7fffff
	v_lshlrev_b32_e32 v5, 2, v12
	s_waitcnt lgkmcnt(0)
	s_barrier
	buffer_gl0_inv
	s_and_saveexec_b32 s2, s1
; %bb.239:
	ds_read_b32 v8, v5 offset:224
; %bb.240:
	s_or_b32 exec_lo, exec_lo, s2
	v_xor_b32_e32 v7, 2, v10
	v_xor_b32_e32 v15, 1, v10
	s_waitcnt lgkmcnt(0)
	v_max_f32_e32 v16, v8, v8
	v_lshlrev_b32_e32 v2, 2, v2
	v_cmp_lt_i32_e64 s2, v7, v13
	v_cndmask_b32_e64 v7, v10, v7, s2
	v_cmp_lt_i32_e64 s2, v15, v13
	v_lshlrev_b32_e32 v7, 2, v7
	ds_bpermute_b32 v14, v7, v8
	v_cndmask_b32_e64 v8, v10, v15, s2
	s_lshl_b32 s2, s16, 3
	s_min_i32 s4, s2, s11
	v_lshlrev_b32_e32 v8, 2, v8
	v_cmp_gt_i32_e64 s2, s4, v0
	s_waitcnt lgkmcnt(0)
	v_max_f32_e32 v13, v14, v14
	v_max_f32_e32 v13, v16, v13
	ds_bpermute_b32 v14, v8, v13
	s_waitcnt lgkmcnt(0)
	v_max_f32_e32 v14, v14, v14
	v_max_f32_e32 v13, v13, v14
	ds_bpermute_b32 v14, v2, v13
	v_mov_b32_e32 v2, 0
	v_lshl_add_u32 v13, v0, 2, 0x100
	s_and_saveexec_b32 s5, s2
	s_cbranch_execz .LBB247_244
; %bb.241:
	v_lshl_add_u32 v15, v0, 2, 0x100
	v_mov_b32_e32 v2, 0
	v_mov_b32_e32 v16, v0
	s_mov_b32 s12, 0
	.p2align	6
.LBB247_242:                            ; =>This Inner Loop Header: Depth=1
	ds_read_b32 v17, v15
	v_add_nc_u32_e32 v16, 0x80, v16
	v_cmp_le_i32_e64 s3, s4, v16
	s_or_b32 s12, s3, s12
	s_waitcnt lgkmcnt(0)
	v_sub_f32_e32 v17, v17, v14
	v_mul_f32_e32 v17, 0x3fb8aa3b, v17
	v_exp_f32_e32 v17, v17
	ds_write_b32 v15, v17
	v_add_f32_e32 v2, v2, v17
	v_add_nc_u32_e32 v15, 0x200, v15
	s_andn2_b32 exec_lo, exec_lo, s12
	s_cbranch_execnz .LBB247_242
; %bb.243:
	s_or_b32 exec_lo, exec_lo, s12
.LBB247_244:
	s_or_b32 exec_lo, exec_lo, s5
	ds_bpermute_b32 v1, v1, v2
	s_waitcnt lgkmcnt(0)
	v_add_f32_e32 v1, v2, v1
	ds_bpermute_b32 v2, v3, v1
	s_waitcnt lgkmcnt(0)
	v_add_f32_e32 v1, v1, v2
	;; [unrolled: 3-line block ×5, first 2 shown]
	s_and_saveexec_b32 s3, vcc_lo
; %bb.245:
	ds_write_b32 v4, v1 offset:240
; %bb.246:
	s_or_b32 exec_lo, exec_lo, s3
	s_waitcnt lgkmcnt(0)
	s_barrier
	buffer_gl0_inv
	s_and_saveexec_b32 s3, s1
; %bb.247:
	ds_read_b32 v1, v5 offset:240
; %bb.248:
	s_or_b32 exec_lo, exec_lo, s3
	s_waitcnt lgkmcnt(0)
	ds_bpermute_b32 v2, v7, v1
	v_lshlrev_b32_e32 v3, 2, v10
	s_waitcnt lgkmcnt(0)
	v_add_f32_e32 v1, v1, v2
	ds_bpermute_b32 v2, v8, v1
	s_waitcnt lgkmcnt(0)
	v_add_f32_e32 v1, v1, v2
	v_and_b32_e32 v2, 0xffffff80, v3
	ds_bpermute_b32 v1, v2, v1
	s_and_saveexec_b32 s1, s2
	s_cbranch_execz .LBB247_251
; %bb.249:
	s_waitcnt lgkmcnt(0)
	v_add_f32_e32 v2, 0x358637bd, v1
	s_mov_b32 s2, 0
	v_div_scale_f32 v1, null, v2, v2, 1.0
	v_div_scale_f32 v5, vcc_lo, 1.0, v2, 1.0
	v_rcp_f32_e32 v3, v1
	v_fma_f32 v4, -v1, v3, 1.0
	v_fmac_f32_e32 v3, v4, v3
	v_mul_f32_e32 v4, v5, v3
	v_fma_f32 v6, -v1, v4, v5
	v_fmac_f32_e32 v4, v6, v3
	v_fma_f32 v1, -v1, v4, v5
	v_div_fmas_f32 v3, v1, v3, v4
	v_mov_b32_e32 v1, v13
	v_div_fixup_f32 v2, v3, v2, 1.0
	v_mov_b32_e32 v3, v0
.LBB247_250:                            ; =>This Inner Loop Header: Depth=1
	ds_read_b32 v4, v1
	v_add_nc_u32_e32 v3, 0x80, v3
	v_cmp_le_i32_e32 vcc_lo, s4, v3
	s_or_b32 s2, vcc_lo, s2
	s_waitcnt lgkmcnt(0)
	v_mul_f32_e32 v4, v2, v4
	ds_write_b32 v1, v4
	v_add_nc_u32_e32 v1, 0x200, v1
	s_andn2_b32 exec_lo, exec_lo, s2
	s_cbranch_execnz .LBB247_250
.LBB247_251:
	s_or_b32 exec_lo, exec_lo, s1
	v_mov_b32_e32 v17, 0
	v_mov_b32_e32 v16, 0
	;; [unrolled: 1-line block ×4, first 2 shown]
	s_waitcnt lgkmcnt(0)
	s_barrier
	buffer_gl0_inv
	s_and_saveexec_b32 s12, s0
	s_cbranch_execz .LBB247_521
; %bb.252:
	v_or_b32_e32 v1, 0x60, v12
	s_ashr_i32 s0, s18, 31
	s_add_u32 s2, s26, s18
	s_addc_u32 s3, s27, s0
	s_lshl_b64 s[0:1], s[24:25], 2
	v_cmp_gt_u32_e32 vcc_lo, 0x70, v1
	v_lshlrev_b32_e32 v19, 3, v1
	v_and_b32_e32 v1, 0x7c, v9
	s_mov_b32 s13, s17
	s_add_i32 s17, s16, -1
	s_add_u32 s0, s22, s0
	s_addc_u32 s1, s23, s1
	v_add_co_u32 v3, s0, s0, v1
	v_lshlrev_b32_e32 v18, 3, v12
	v_mov_b32_e32 v2, 0
	v_lshl_or_b32 v20, v11, 3, 7
	v_lshl_add_u32 v21, v11, 5, 0x100
	v_add_co_ci_u32_e64 v4, null, s1, 0, s0
	v_mov_b32_e32 v22, 0x80
	v_mov_b32_e32 v23, 0x7f
	;; [unrolled: 1-line block ×9, first 2 shown]
	s_mov_b32 s4, -1
	s_mov_b32 s5, 0xffffff
	s_mov_b32 s18, 0
	s_branch .LBB247_255
.LBB247_253:                            ;   in Loop: Header=BB247_255 Depth=1
	s_or_b32 exec_lo, exec_lo, s1
	;;#ASMSTART
	v_pk_mul_f16 v1, v33, v41;

	;;#ASMEND
	;;#ASMSTART
	v_pk_mul_f16 v5, v32, v40;

	;;#ASMEND
	;; [unrolled: 4-line block ×4, first 2 shown]
	;;#ASMSTART
	v_pk_add_f16 v1, v1, v5;

	;;#ASMEND
	;;#ASMSTART
	v_pk_add_f16 v1, v1, v6;

	;;#ASMEND
	;; [unrolled: 4-line block ×3, first 2 shown]
	v_and_b32_e32 v5, 0xffff, v1
	v_lshrrev_b32_e32 v6, 16, v1
	;;#ASMSTART
	v_cvt_f32_f16 v1, v5;
	;;#ASMEND
	;;#ASMSTART
	v_cvt_f32_f16 v5, v6;
	;;#ASMEND
	v_add_f32_e32 v1, v1, v5
	v_add_f32_e32 v14, v14, v1
.LBB247_254:                            ;   in Loop: Header=BB247_255 Depth=1
	s_or_b32 exec_lo, exec_lo, s19
	v_add_nc_u32_e32 v26, 4, v26
	v_add_f32_e32 v1, v7, v8
	v_add_f32_e32 v5, v9, v10
	;; [unrolled: 1-line block ×3, first 2 shown]
	v_add_co_u32 v3, s1, v3, 16
	v_cmp_le_i32_e64 s0, s16, v26
	v_add_f32_e32 v15, v15, v1
	v_add_f32_e32 v16, v16, v5
	;; [unrolled: 1-line block ×3, first 2 shown]
	v_add_nc_u32_e32 v20, 32, v20
	v_add_nc_u32_e32 v21, 0x80, v21
	v_add_co_ci_u32_e64 v4, null, 0, v4, s1
	s_or_b32 s18, s0, s18
	s_andn2_b32 exec_lo, exec_lo, s18
	s_cbranch_execz .LBB247_520
.LBB247_255:                            ; =>This Inner Loop Header: Depth=1
	global_load_dword v1, v[3:4], off
	ds_read2_b64 v[7:10], v21 offset1:1
	ds_read2_b64 v[33:36], v21 offset0:2 offset1:3
	v_mov_b32_e32 v37, 0
	s_waitcnt lgkmcnt(1)
	;;#ASMSTART
	v_cvt_f16_f32 v31, v7;

	;;#ASMEND
	;;#ASMSTART
	v_cvt_f16_f32 v28, v8;

	;;#ASMEND
	;; [unrolled: 4-line block ×4, first 2 shown]
	s_waitcnt lgkmcnt(0)
	;;#ASMSTART
	v_cvt_f16_f32 v33, v33;

	;;#ASMEND
	;;#ASMSTART
	v_cvt_f16_f32 v30, v34;

	;;#ASMEND
	;; [unrolled: 4-line block ×4, first 2 shown]
	s_waitcnt vmcnt(0)
	v_mad_i64_i32 v[5:6], null, v1, s13, s[2:3]
	v_add_co_u32 v7, s0, v5, v18
	v_add_co_ci_u32_e64 v8, null, 0, v6, s0
	global_load_dwordx2 v[9:10], v[7:8], off
	global_load_dword v36, v2, s[14:15]
	s_waitcnt vmcnt(1)
	v_cmp_ne_u16_sdwa s0, v9, v2 src0_sel:BYTE_0 src1_sel:DWORD
	s_and_saveexec_b32 s1, s0
	s_cbranch_execz .LBB247_263
; %bb.256:                              ;   in Loop: Header=BB247_255 Depth=1
	v_cmp_ne_u16_sdwa s0, v9, v22 src0_sel:BYTE_0 src1_sel:DWORD
	v_mov_b32_e32 v37, 0x8000
	s_and_saveexec_b32 s19, s0
	s_cbranch_execz .LBB247_262
; %bb.257:                              ;   in Loop: Header=BB247_255 Depth=1
	v_and_b32_e32 v38, 0x7f, v9
	v_mov_b32_e32 v37, 0x7c01
	s_mov_b32 s22, exec_lo
	v_cmpx_ne_u32_e32 0x7f, v38
	s_cbranch_execz .LBB247_261
; %bb.258:                              ;   in Loop: Header=BB247_255 Depth=1
	v_and_b32_e32 v1, 7, v9
	v_lshrrev_b32_e32 v27, 3, v38
	s_mov_b32 s23, exec_lo
	v_cmpx_gt_u32_e32 8, v38
; %bb.259:                              ;   in Loop: Header=BB247_255 Depth=1
	v_ffbh_u32_e32 v1, v1
	v_min_u32_e32 v1, 32, v1
	v_subrev_nc_u32_e32 v27, 28, v1
	v_lshlrev_b64 v[37:38], v27, v[9:10]
	v_sub_nc_u32_e32 v27, 29, v1
	v_and_b32_e32 v1, 7, v37
; %bb.260:                              ;   in Loop: Header=BB247_255 Depth=1
	s_or_b32 exec_lo, exec_lo, s23
	v_lshlrev_b32_e32 v37, 8, v9
	v_lshl_add_u32 v27, v27, 10, 0x2000
	v_lshlrev_b32_e32 v1, 7, v1
	v_and_b32_e32 v37, 0x8000, v37
	v_and_b32_e32 v27, 0xfc00, v27
	v_or3_b32 v37, v37, v27, v1
.LBB247_261:                            ;   in Loop: Header=BB247_255 Depth=1
	s_or_b32 exec_lo, exec_lo, s22
.LBB247_262:                            ;   in Loop: Header=BB247_255 Depth=1
	s_or_b32 exec_lo, exec_lo, s19
.LBB247_263:                            ;   in Loop: Header=BB247_255 Depth=1
	s_or_b32 exec_lo, exec_lo, s1
	v_lshrrev_b16 v1, 8, v9
	v_mov_b32_e32 v27, 0
	v_mov_b32_e32 v38, 0
	s_mov_b32 s1, exec_lo
	v_cmpx_ne_u16_e32 0, v1
	s_cbranch_execz .LBB247_271
; %bb.264:                              ;   in Loop: Header=BB247_255 Depth=1
	v_bfrev_b32_e32 v38, 1
	s_mov_b32 s19, exec_lo
	v_cmpx_ne_u16_e32 0x80, v1
	s_cbranch_execz .LBB247_270
; %bb.265:                              ;   in Loop: Header=BB247_255 Depth=1
	v_and_b32_sdwa v40, v1, v23 dst_sel:DWORD dst_unused:UNUSED_PAD src0_sel:WORD_0 src1_sel:DWORD
	v_mov_b32_e32 v38, 0x7c010000
	s_mov_b32 s22, exec_lo
	v_cmpx_ne_u32_e32 0x7f, v40
	s_cbranch_execz .LBB247_269
; %bb.266:                              ;   in Loop: Header=BB247_255 Depth=1
	v_and_b32_sdwa v38, v1, v24 dst_sel:DWORD dst_unused:UNUSED_PAD src0_sel:WORD_0 src1_sel:DWORD
	v_lshrrev_b32_e32 v39, 3, v40
	s_mov_b32 s23, exec_lo
	v_cmpx_gt_u32_e32 8, v40
; %bb.267:                              ;   in Loop: Header=BB247_255 Depth=1
	v_ffbh_u32_e32 v38, v38
	v_min_u32_e32 v40, 32, v38
	v_subrev_nc_u32_e32 v38, 28, v40
	v_lshlrev_b64 v[38:39], v38, v[1:2]
	v_sub_nc_u32_e32 v39, 29, v40
	v_and_b32_e32 v38, 7, v38
; %bb.268:                              ;   in Loop: Header=BB247_255 Depth=1
	s_or_b32 exec_lo, exec_lo, s23
	v_lshlrev_b32_sdwa v1, v25, v1 dst_sel:DWORD dst_unused:UNUSED_PAD src0_sel:DWORD src1_sel:WORD_0
	v_lshl_add_u32 v39, v39, 10, 0x2000
	v_lshlrev_b32_e32 v38, 23, v38
	v_and_or_b32 v1, 0x8000, v1, v39
	v_lshl_or_b32 v38, v1, 16, v38
.LBB247_269:                            ;   in Loop: Header=BB247_255 Depth=1
	s_or_b32 exec_lo, exec_lo, s22
.LBB247_270:                            ;   in Loop: Header=BB247_255 Depth=1
	s_or_b32 exec_lo, exec_lo, s19
.LBB247_271:                            ;   in Loop: Header=BB247_255 Depth=1
	s_or_b32 exec_lo, exec_lo, s1
	v_lshrrev_b32_e32 v1, 16, v9
	v_cmp_ne_u16_sdwa s0, v1, v2 src0_sel:BYTE_0 src1_sel:DWORD
	s_and_saveexec_b32 s1, s0
	s_cbranch_execz .LBB247_279
; %bb.272:                              ;   in Loop: Header=BB247_255 Depth=1
	v_cmp_ne_u16_sdwa s0, v1, v22 src0_sel:BYTE_0 src1_sel:DWORD
	v_mov_b32_e32 v27, 0x8000
	s_and_saveexec_b32 s19, s0
	s_cbranch_execz .LBB247_278
; %bb.273:                              ;   in Loop: Header=BB247_255 Depth=1
	v_bfe_u32 v40, v9, 16, 7
	v_mov_b32_e32 v27, 0x7c01
	s_mov_b32 s22, exec_lo
	v_cmpx_ne_u32_e32 0x7f, v40
	s_cbranch_execz .LBB247_277
; %bb.274:                              ;   in Loop: Header=BB247_255 Depth=1
	v_and_b32_e32 v27, 7, v1
	v_lshrrev_b32_e32 v39, 3, v40
	s_mov_b32 s23, exec_lo
	v_cmpx_gt_u32_e32 8, v40
; %bb.275:                              ;   in Loop: Header=BB247_255 Depth=1
	v_ffbh_u32_e32 v27, v27
	v_min_u32_e32 v27, 32, v27
	v_subrev_nc_u32_e32 v39, 28, v27
	v_lshlrev_b64 v[40:41], v39, v[1:2]
	v_sub_nc_u32_e32 v39, 29, v27
	v_and_b32_e32 v27, 7, v40
; %bb.276:                              ;   in Loop: Header=BB247_255 Depth=1
	s_or_b32 exec_lo, exec_lo, s23
	v_lshlrev_b32_e32 v1, 8, v1
	v_lshl_add_u32 v39, v39, 10, 0x2000
	v_lshlrev_b32_e32 v27, 7, v27
	v_and_b32_e32 v1, 0x8000, v1
	v_and_b32_e32 v39, 0xfc00, v39
	v_or3_b32 v27, v1, v39, v27
.LBB247_277:                            ;   in Loop: Header=BB247_255 Depth=1
	s_or_b32 exec_lo, exec_lo, s22
.LBB247_278:                            ;   in Loop: Header=BB247_255 Depth=1
	s_or_b32 exec_lo, exec_lo, s19
.LBB247_279:                            ;   in Loop: Header=BB247_255 Depth=1
	s_or_b32 exec_lo, exec_lo, s1
	v_mov_b32_e32 v39, 0
	v_mov_b32_e32 v40, 0
	s_mov_b32 s1, exec_lo
	v_cmpx_lt_u32_e32 0xffffff, v9
	s_cbranch_execz .LBB247_287
; %bb.280:                              ;   in Loop: Header=BB247_255 Depth=1
	v_lshrrev_b32_e32 v1, 24, v9
	v_bfrev_b32_e32 v40, 1
	s_mov_b32 s19, exec_lo
	v_cmpx_ne_u32_e32 0x80, v1
	s_cbranch_execz .LBB247_286
; %bb.281:                              ;   in Loop: Header=BB247_255 Depth=1
	v_and_b32_e32 v42, 0x7f, v1
	v_mov_b32_e32 v40, 0x7c010000
	s_mov_b32 s22, exec_lo
	v_cmpx_ne_u32_e32 0x7f, v42
	s_cbranch_execz .LBB247_285
; %bb.282:                              ;   in Loop: Header=BB247_255 Depth=1
	v_and_b32_e32 v40, 7, v1
	v_lshrrev_b32_e32 v41, 3, v42
	s_mov_b32 s23, exec_lo
	v_cmpx_gt_u32_e32 8, v42
; %bb.283:                              ;   in Loop: Header=BB247_255 Depth=1
	v_ffbh_u32_e32 v40, v40
	v_min_u32_e32 v42, 32, v40
	v_subrev_nc_u32_e32 v40, 28, v42
	v_lshlrev_b64 v[40:41], v40, v[1:2]
	v_sub_nc_u32_e32 v41, 29, v42
	v_and_b32_e32 v40, 7, v40
; %bb.284:                              ;   in Loop: Header=BB247_255 Depth=1
	s_or_b32 exec_lo, exec_lo, s23
	v_lshlrev_b32_e32 v1, 8, v1
	v_lshl_add_u32 v41, v41, 10, 0x2000
	v_lshlrev_b32_e32 v40, 23, v40
	v_and_or_b32 v1, 0x8000, v1, v41
	v_lshl_or_b32 v40, v1, 16, v40
.LBB247_285:                            ;   in Loop: Header=BB247_255 Depth=1
	s_or_b32 exec_lo, exec_lo, s22
.LBB247_286:                            ;   in Loop: Header=BB247_255 Depth=1
	s_or_b32 exec_lo, exec_lo, s19
.LBB247_287:                            ;   in Loop: Header=BB247_255 Depth=1
	s_or_b32 exec_lo, exec_lo, s1
	v_mov_b32_e32 v1, v10
	v_cmp_ne_u16_sdwa s0, v10, v2 src0_sel:BYTE_0 src1_sel:DWORD
	s_and_saveexec_b32 s1, s0
	s_cbranch_execz .LBB247_295
; %bb.288:                              ;   in Loop: Header=BB247_255 Depth=1
	v_cmp_ne_u16_sdwa s0, v10, v22 src0_sel:BYTE_0 src1_sel:DWORD
	v_mov_b32_e32 v39, 0x8000
	s_and_saveexec_b32 s19, s0
	s_cbranch_execz .LBB247_294
; %bb.289:                              ;   in Loop: Header=BB247_255 Depth=1
	v_and_b32_e32 v42, 0x7f, v10
	v_mov_b32_e32 v39, 0x7c01
	s_mov_b32 s22, exec_lo
	v_cmpx_ne_u32_e32 0x7f, v42
	s_cbranch_execz .LBB247_293
; %bb.290:                              ;   in Loop: Header=BB247_255 Depth=1
	v_and_b32_e32 v39, 7, v10
	v_lshrrev_b32_e32 v41, 3, v42
	s_mov_b32 s23, exec_lo
	v_cmpx_gt_u32_e32 8, v42
; %bb.291:                              ;   in Loop: Header=BB247_255 Depth=1
	v_ffbh_u32_e32 v39, v39
	v_min_u32_e32 v39, 32, v39
	v_subrev_nc_u32_e32 v41, 28, v39
	v_lshlrev_b64 v[42:43], v41, v[1:2]
	v_sub_nc_u32_e32 v41, 29, v39
	v_and_b32_e32 v39, 7, v42
; %bb.292:                              ;   in Loop: Header=BB247_255 Depth=1
	s_or_b32 exec_lo, exec_lo, s23
	v_lshlrev_b32_e32 v42, 8, v10
	v_lshl_add_u32 v41, v41, 10, 0x2000
	v_lshlrev_b32_e32 v39, 7, v39
	v_and_b32_e32 v42, 0x8000, v42
	v_and_b32_e32 v41, 0xfc00, v41
	v_or3_b32 v39, v42, v41, v39
.LBB247_293:                            ;   in Loop: Header=BB247_255 Depth=1
	s_or_b32 exec_lo, exec_lo, s22
.LBB247_294:                            ;   in Loop: Header=BB247_255 Depth=1
	s_or_b32 exec_lo, exec_lo, s19
.LBB247_295:                            ;   in Loop: Header=BB247_255 Depth=1
	s_or_b32 exec_lo, exec_lo, s1
	v_lshrrev_b16 v1, 8, v1
	v_mov_b32_e32 v42, 0
	v_mov_b32_e32 v41, 0
	s_mov_b32 s1, exec_lo
	v_cmpx_ne_u16_e32 0, v1
	s_cbranch_execz .LBB247_303
; %bb.296:                              ;   in Loop: Header=BB247_255 Depth=1
	v_bfrev_b32_e32 v41, 1
	s_mov_b32 s19, exec_lo
	v_cmpx_ne_u16_e32 0x80, v1
	s_cbranch_execz .LBB247_302
; %bb.297:                              ;   in Loop: Header=BB247_255 Depth=1
	v_and_b32_sdwa v44, v1, v23 dst_sel:DWORD dst_unused:UNUSED_PAD src0_sel:WORD_0 src1_sel:DWORD
	v_mov_b32_e32 v41, 0x7c010000
	s_mov_b32 s22, exec_lo
	v_cmpx_ne_u32_e32 0x7f, v44
	s_cbranch_execz .LBB247_301
; %bb.298:                              ;   in Loop: Header=BB247_255 Depth=1
	v_and_b32_sdwa v41, v1, v24 dst_sel:DWORD dst_unused:UNUSED_PAD src0_sel:WORD_0 src1_sel:DWORD
	v_lshrrev_b32_e32 v43, 3, v44
	s_mov_b32 s23, exec_lo
	v_cmpx_gt_u32_e32 8, v44
; %bb.299:                              ;   in Loop: Header=BB247_255 Depth=1
	v_ffbh_u32_e32 v41, v41
	v_min_u32_e32 v41, 32, v41
	v_subrev_nc_u32_e32 v43, 28, v41
	v_lshlrev_b64 v[44:45], v43, v[1:2]
	v_sub_nc_u32_e32 v43, 29, v41
	v_and_b32_e32 v41, 7, v44
; %bb.300:                              ;   in Loop: Header=BB247_255 Depth=1
	s_or_b32 exec_lo, exec_lo, s23
	v_lshlrev_b32_sdwa v1, v25, v1 dst_sel:DWORD dst_unused:UNUSED_PAD src0_sel:DWORD src1_sel:WORD_0
	v_lshl_add_u32 v43, v43, 10, 0x2000
	v_lshlrev_b32_e32 v41, 23, v41
	v_and_or_b32 v1, 0x8000, v1, v43
	v_lshl_or_b32 v41, v1, 16, v41
.LBB247_301:                            ;   in Loop: Header=BB247_255 Depth=1
	s_or_b32 exec_lo, exec_lo, s22
.LBB247_302:                            ;   in Loop: Header=BB247_255 Depth=1
	s_or_b32 exec_lo, exec_lo, s19
.LBB247_303:                            ;   in Loop: Header=BB247_255 Depth=1
	s_or_b32 exec_lo, exec_lo, s1
	v_lshrrev_b32_e32 v1, 16, v10
	v_cmp_ne_u16_sdwa s0, v1, v2 src0_sel:BYTE_0 src1_sel:DWORD
	s_and_saveexec_b32 s1, s0
	s_cbranch_execz .LBB247_311
; %bb.304:                              ;   in Loop: Header=BB247_255 Depth=1
	v_cmp_ne_u16_sdwa s0, v1, v22 src0_sel:BYTE_0 src1_sel:DWORD
	v_mov_b32_e32 v42, 0x8000
	s_and_saveexec_b32 s19, s0
	s_cbranch_execz .LBB247_310
; %bb.305:                              ;   in Loop: Header=BB247_255 Depth=1
	v_bfe_u32 v44, v10, 16, 7
	v_mov_b32_e32 v42, 0x7c01
	s_mov_b32 s22, exec_lo
	v_cmpx_ne_u32_e32 0x7f, v44
	s_cbranch_execz .LBB247_309
; %bb.306:                              ;   in Loop: Header=BB247_255 Depth=1
	v_and_b32_e32 v42, 7, v1
	v_lshrrev_b32_e32 v43, 3, v44
	s_mov_b32 s23, exec_lo
	v_cmpx_gt_u32_e32 8, v44
; %bb.307:                              ;   in Loop: Header=BB247_255 Depth=1
	v_ffbh_u32_e32 v42, v42
	v_min_u32_e32 v44, 32, v42
	v_subrev_nc_u32_e32 v42, 28, v44
	v_lshlrev_b64 v[42:43], v42, v[1:2]
	v_sub_nc_u32_e32 v43, 29, v44
	v_and_b32_e32 v42, 7, v42
; %bb.308:                              ;   in Loop: Header=BB247_255 Depth=1
	s_or_b32 exec_lo, exec_lo, s23
	v_lshlrev_b32_e32 v1, 8, v1
	v_lshl_add_u32 v43, v43, 10, 0x2000
	v_lshlrev_b32_e32 v42, 7, v42
	v_and_b32_e32 v1, 0x8000, v1
	v_and_b32_e32 v43, 0xfc00, v43
	v_or3_b32 v42, v1, v43, v42
.LBB247_309:                            ;   in Loop: Header=BB247_255 Depth=1
	s_or_b32 exec_lo, exec_lo, s22
.LBB247_310:                            ;   in Loop: Header=BB247_255 Depth=1
	s_or_b32 exec_lo, exec_lo, s19
.LBB247_311:                            ;   in Loop: Header=BB247_255 Depth=1
	s_or_b32 exec_lo, exec_lo, s1
	v_cmp_lt_u64_e64 s0, s[4:5], v[9:10]
	v_mov_b32_e32 v9, 0
	s_and_saveexec_b32 s1, s0
	s_cbranch_execz .LBB247_319
; %bb.312:                              ;   in Loop: Header=BB247_255 Depth=1
	v_lshrrev_b32_e32 v1, 24, v10
	v_bfrev_b32_e32 v9, 1
	s_mov_b32 s19, exec_lo
	v_cmpx_ne_u32_e32 0x80, v1
	s_cbranch_execz .LBB247_318
; %bb.313:                              ;   in Loop: Header=BB247_255 Depth=1
	v_and_b32_e32 v43, 0x7f, v1
	v_mov_b32_e32 v9, 0x7c010000
	s_mov_b32 s22, exec_lo
	v_cmpx_ne_u32_e32 0x7f, v43
	s_cbranch_execz .LBB247_317
; %bb.314:                              ;   in Loop: Header=BB247_255 Depth=1
	v_and_b32_e32 v9, 7, v1
	v_lshrrev_b32_e32 v10, 3, v43
	s_mov_b32 s23, exec_lo
	v_cmpx_gt_u32_e32 8, v43
; %bb.315:                              ;   in Loop: Header=BB247_255 Depth=1
	v_ffbh_u32_e32 v9, v9
	v_min_u32_e32 v43, 32, v9
	v_subrev_nc_u32_e32 v9, 28, v43
	v_lshlrev_b64 v[9:10], v9, v[1:2]
	v_sub_nc_u32_e32 v10, 29, v43
	v_and_b32_e32 v9, 7, v9
; %bb.316:                              ;   in Loop: Header=BB247_255 Depth=1
	s_or_b32 exec_lo, exec_lo, s23
	v_lshlrev_b32_e32 v1, 8, v1
	v_lshl_add_u32 v10, v10, 10, 0x2000
	v_lshlrev_b32_e32 v9, 23, v9
	v_and_or_b32 v1, 0x8000, v1, v10
	v_lshl_or_b32 v9, v1, 16, v9
.LBB247_317:                            ;   in Loop: Header=BB247_255 Depth=1
	s_or_b32 exec_lo, exec_lo, s22
.LBB247_318:                            ;   in Loop: Header=BB247_255 Depth=1
	s_or_b32 exec_lo, exec_lo, s19
.LBB247_319:                            ;   in Loop: Header=BB247_255 Depth=1
	s_or_b32 exec_lo, exec_lo, s1
	v_or_b32_e32 v1, v40, v27
	s_waitcnt vmcnt(0)
	v_fma_mixlo_f16 v10, v36, v40, 0 op_sel:[0,1,0] op_sel_hi:[0,1,0]
	v_or_b32_e32 v37, v38, v37
	v_fma_mixlo_f16 v38, v36, v38, 0 op_sel:[0,1,0] op_sel_hi:[0,1,0]
	v_or_b32_e32 v43, v41, v39
	v_fma_mixlo_f16 v40, v36, v1, 0 op_sel_hi:[0,1,0]
	v_or_b32_e32 v42, v9, v42
	v_lshlrev_b32_e32 v1, 16, v10
	v_lshlrev_b32_e32 v39, 16, v38
	v_fma_mixlo_f16 v10, v36, v37, 0 op_sel_hi:[0,1,0]
	v_and_b32_e32 v38, 0xffff, v40
	v_fma_mixlo_f16 v37, v36, v41, 0 op_sel:[0,1,0] op_sel_hi:[0,1,0]
	v_fma_mixlo_f16 v40, v36, v43, 0 op_sel_hi:[0,1,0]
	v_fma_mixlo_f16 v9, v36, v9, 0 op_sel:[0,1,0] op_sel_hi:[0,1,0]
	v_fma_mixlo_f16 v36, v36, v42, 0 op_sel_hi:[0,1,0]
	v_and_b32_e32 v44, 0xffff, v10
	v_lshlrev_b32_e32 v10, 16, v37
	v_and_b32_e32 v37, 0xffff, v40
	v_lshlrev_b32_e32 v9, 16, v9
	v_and_b32_e32 v36, 0xffff, v36
	v_add_nc_u32_e32 v27, -7, v20
	v_cmp_eq_u32_e64 s0, s17, v26
	v_or_b32_e32 v40, v1, v38
	v_or_b32_e32 v41, v39, v44
	;; [unrolled: 1-line block ×4, first 2 shown]
	s_and_saveexec_b32 s19, s0
	s_cbranch_execz .LBB247_321
; %bb.320:                              ;   in Loop: Header=BB247_255 Depth=1
	v_add_nc_u32_e32 v40, -6, v20
	v_cmp_gt_i32_e64 s1, s11, v27
	v_add_nc_u32_e32 v41, -5, v20
	v_add_nc_u32_e32 v43, -2, v20
	v_cndmask_b32_e64 v42, 0, v44, s1
	v_cmp_gt_i32_e64 s1, s11, v40
	v_add_nc_u32_e32 v40, -4, v20
	v_cndmask_b32_e64 v39, 0, v39, s1
	v_cmp_gt_i32_e64 s1, s11, v41
	;; [unrolled: 3-line block ×4, first 2 shown]
	v_or_b32_e32 v41, v39, v42
	v_cndmask_b32_e64 v37, 0, v37, s1
	v_cmp_gt_i32_e64 s1, s11, v43
	v_cndmask_b32_e64 v10, 0, v10, s1
	v_cmp_gt_i32_e64 s1, s11, v40
	v_or_b32_e32 v40, v1, v38
	v_or_b32_e32 v42, v10, v37
	v_cndmask_b32_e64 v36, 0, v36, s1
	v_cmp_gt_i32_e64 s1, s11, v20
	v_cndmask_b32_e64 v9, 0, v9, s1
	v_or_b32_e32 v43, v9, v36
.LBB247_321:                            ;   in Loop: Header=BB247_255 Depth=1
	s_or_b32 exec_lo, exec_lo, s19
	v_and_b32_e32 v1, 0xffff, v31
	v_and_b32_e32 v9, 0xffff, v32
	;; [unrolled: 1-line block ×4, first 2 shown]
	v_mov_b32_e32 v36, 0
	v_lshl_or_b32 v33, v28, 16, v1
	;;#ASMSTART
	v_pk_mul_f16 v1, v33, v41;

	;;#ASMEND
	v_lshl_or_b32 v32, v29, 16, v9
	v_lshl_or_b32 v31, v30, 16, v10
	;; [unrolled: 1-line block ×3, first 2 shown]
	;;#ASMSTART
	v_pk_mul_f16 v9, v32, v40;

	;;#ASMEND
	;;#ASMSTART
	v_pk_mul_f16 v10, v31, v42;

	;;#ASMEND
	;; [unrolled: 4-line block ×3, first 2 shown]
	;;#ASMSTART
	v_pk_add_f16 v1, v1, v9;

	;;#ASMEND
	;;#ASMSTART
	v_pk_add_f16 v1, v1, v10;

	;;#ASMEND
	;; [unrolled: 4-line block ×3, first 2 shown]
	v_and_b32_e32 v9, 0xffff, v1
	v_lshrrev_b32_e32 v1, 16, v1
	;;#ASMSTART
	v_cvt_f32_f16 v28, v9;
	;;#ASMEND
	;;#ASMSTART
	v_cvt_f32_f16 v29, v1;
	;;#ASMEND
	global_load_dwordx2 v[9:10], v[7:8], off offset:256
	v_mov_b32_e32 v35, 0
	global_load_dword v34, v35, s[14:15]
	s_waitcnt vmcnt(1)
	v_cmp_ne_u16_sdwa s1, v9, v2 src0_sel:BYTE_0 src1_sel:DWORD
	s_and_saveexec_b32 s19, s1
	s_cbranch_execz .LBB247_329
; %bb.322:                              ;   in Loop: Header=BB247_255 Depth=1
	v_cmp_ne_u16_sdwa s1, v9, v22 src0_sel:BYTE_0 src1_sel:DWORD
	v_mov_b32_e32 v36, 0x8000
	s_and_saveexec_b32 s22, s1
	s_cbranch_execz .LBB247_328
; %bb.323:                              ;   in Loop: Header=BB247_255 Depth=1
	v_and_b32_e32 v37, 0x7f, v9
	v_mov_b32_e32 v36, 0x7c01
	s_mov_b32 s23, exec_lo
	v_cmpx_ne_u32_e32 0x7f, v37
	s_cbranch_execz .LBB247_327
; %bb.324:                              ;   in Loop: Header=BB247_255 Depth=1
	v_and_b32_e32 v1, 7, v9
	v_lshrrev_b32_e32 v36, 3, v37
	s_mov_b32 s24, exec_lo
	v_cmpx_gt_u32_e32 8, v37
; %bb.325:                              ;   in Loop: Header=BB247_255 Depth=1
	v_ffbh_u32_e32 v1, v1
	v_min_u32_e32 v1, 32, v1
	v_subrev_nc_u32_e32 v36, 28, v1
	v_lshlrev_b64 v[37:38], v36, v[9:10]
	v_sub_nc_u32_e32 v36, 29, v1
	v_and_b32_e32 v1, 7, v37
; %bb.326:                              ;   in Loop: Header=BB247_255 Depth=1
	s_or_b32 exec_lo, exec_lo, s24
	v_lshlrev_b32_e32 v37, 8, v9
	v_lshl_add_u32 v36, v36, 10, 0x2000
	v_lshlrev_b32_e32 v1, 7, v1
	v_and_b32_e32 v37, 0x8000, v37
	v_and_b32_e32 v36, 0xfc00, v36
	v_or3_b32 v36, v37, v36, v1
.LBB247_327:                            ;   in Loop: Header=BB247_255 Depth=1
	s_or_b32 exec_lo, exec_lo, s23
.LBB247_328:                            ;   in Loop: Header=BB247_255 Depth=1
	s_or_b32 exec_lo, exec_lo, s22
.LBB247_329:                            ;   in Loop: Header=BB247_255 Depth=1
	s_or_b32 exec_lo, exec_lo, s19
	v_lshrrev_b16 v1, 8, v9
	s_mov_b32 s19, exec_lo
	v_cmpx_ne_u16_e32 0, v1
	s_cbranch_execz .LBB247_337
; %bb.330:                              ;   in Loop: Header=BB247_255 Depth=1
	v_bfrev_b32_e32 v35, 1
	s_mov_b32 s22, exec_lo
	v_cmpx_ne_u16_e32 0x80, v1
	s_cbranch_execz .LBB247_336
; %bb.331:                              ;   in Loop: Header=BB247_255 Depth=1
	v_and_b32_sdwa v38, v1, v23 dst_sel:DWORD dst_unused:UNUSED_PAD src0_sel:WORD_0 src1_sel:DWORD
	v_mov_b32_e32 v35, 0x7c010000
	s_mov_b32 s23, exec_lo
	v_cmpx_ne_u32_e32 0x7f, v38
	s_cbranch_execz .LBB247_335
; %bb.332:                              ;   in Loop: Header=BB247_255 Depth=1
	v_and_b32_sdwa v35, v1, v24 dst_sel:DWORD dst_unused:UNUSED_PAD src0_sel:WORD_0 src1_sel:DWORD
	v_lshrrev_b32_e32 v37, 3, v38
	s_mov_b32 s24, exec_lo
	v_cmpx_gt_u32_e32 8, v38
; %bb.333:                              ;   in Loop: Header=BB247_255 Depth=1
	v_ffbh_u32_e32 v35, v35
	v_min_u32_e32 v35, 32, v35
	v_subrev_nc_u32_e32 v37, 28, v35
	v_lshlrev_b64 v[38:39], v37, v[1:2]
	v_sub_nc_u32_e32 v37, 29, v35
	v_and_b32_e32 v35, 7, v38
; %bb.334:                              ;   in Loop: Header=BB247_255 Depth=1
	s_or_b32 exec_lo, exec_lo, s24
	v_lshlrev_b32_sdwa v1, v25, v1 dst_sel:DWORD dst_unused:UNUSED_PAD src0_sel:DWORD src1_sel:WORD_0
	v_lshl_add_u32 v37, v37, 10, 0x2000
	v_lshlrev_b32_e32 v35, 23, v35
	v_and_or_b32 v1, 0x8000, v1, v37
	v_lshl_or_b32 v35, v1, 16, v35
.LBB247_335:                            ;   in Loop: Header=BB247_255 Depth=1
	s_or_b32 exec_lo, exec_lo, s23
.LBB247_336:                            ;   in Loop: Header=BB247_255 Depth=1
	s_or_b32 exec_lo, exec_lo, s22
.LBB247_337:                            ;   in Loop: Header=BB247_255 Depth=1
	s_or_b32 exec_lo, exec_lo, s19
	v_lshrrev_b32_e32 v1, 16, v9
	v_mov_b32_e32 v37, 0
	v_mov_b32_e32 v38, 0
	v_cmp_ne_u16_sdwa s1, v1, v2 src0_sel:BYTE_0 src1_sel:DWORD
	s_and_saveexec_b32 s19, s1
	s_cbranch_execz .LBB247_345
; %bb.338:                              ;   in Loop: Header=BB247_255 Depth=1
	v_cmp_ne_u16_sdwa s1, v1, v22 src0_sel:BYTE_0 src1_sel:DWORD
	v_mov_b32_e32 v38, 0x8000
	s_and_saveexec_b32 s22, s1
	s_cbranch_execz .LBB247_344
; %bb.339:                              ;   in Loop: Header=BB247_255 Depth=1
	v_bfe_u32 v40, v9, 16, 7
	v_mov_b32_e32 v38, 0x7c01
	s_mov_b32 s23, exec_lo
	v_cmpx_ne_u32_e32 0x7f, v40
	s_cbranch_execz .LBB247_343
; %bb.340:                              ;   in Loop: Header=BB247_255 Depth=1
	v_and_b32_e32 v38, 7, v1
	v_lshrrev_b32_e32 v39, 3, v40
	s_mov_b32 s24, exec_lo
	v_cmpx_gt_u32_e32 8, v40
; %bb.341:                              ;   in Loop: Header=BB247_255 Depth=1
	v_ffbh_u32_e32 v38, v38
	v_min_u32_e32 v40, 32, v38
	v_subrev_nc_u32_e32 v38, 28, v40
	v_lshlrev_b64 v[38:39], v38, v[1:2]
	v_sub_nc_u32_e32 v39, 29, v40
	v_and_b32_e32 v38, 7, v38
; %bb.342:                              ;   in Loop: Header=BB247_255 Depth=1
	s_or_b32 exec_lo, exec_lo, s24
	v_lshlrev_b32_e32 v1, 8, v1
	v_lshl_add_u32 v39, v39, 10, 0x2000
	v_lshlrev_b32_e32 v38, 7, v38
	v_and_b32_e32 v1, 0x8000, v1
	v_and_b32_e32 v39, 0xfc00, v39
	v_or3_b32 v38, v1, v39, v38
.LBB247_343:                            ;   in Loop: Header=BB247_255 Depth=1
	s_or_b32 exec_lo, exec_lo, s23
.LBB247_344:                            ;   in Loop: Header=BB247_255 Depth=1
	s_or_b32 exec_lo, exec_lo, s22
.LBB247_345:                            ;   in Loop: Header=BB247_255 Depth=1
	s_or_b32 exec_lo, exec_lo, s19
	s_mov_b32 s19, exec_lo
	v_cmpx_lt_u32_e32 0xffffff, v9
	s_cbranch_execz .LBB247_353
; %bb.346:                              ;   in Loop: Header=BB247_255 Depth=1
	v_lshrrev_b32_e32 v1, 24, v9
	v_bfrev_b32_e32 v37, 1
	s_mov_b32 s22, exec_lo
	v_cmpx_ne_u32_e32 0x80, v1
	s_cbranch_execz .LBB247_352
; %bb.347:                              ;   in Loop: Header=BB247_255 Depth=1
	v_and_b32_e32 v40, 0x7f, v1
	v_mov_b32_e32 v37, 0x7c010000
	s_mov_b32 s23, exec_lo
	v_cmpx_ne_u32_e32 0x7f, v40
	s_cbranch_execz .LBB247_351
; %bb.348:                              ;   in Loop: Header=BB247_255 Depth=1
	v_and_b32_e32 v37, 7, v1
	v_lshrrev_b32_e32 v39, 3, v40
	s_mov_b32 s24, exec_lo
	v_cmpx_gt_u32_e32 8, v40
; %bb.349:                              ;   in Loop: Header=BB247_255 Depth=1
	v_ffbh_u32_e32 v37, v37
	v_min_u32_e32 v37, 32, v37
	v_subrev_nc_u32_e32 v39, 28, v37
	v_lshlrev_b64 v[40:41], v39, v[1:2]
	v_sub_nc_u32_e32 v39, 29, v37
	v_and_b32_e32 v37, 7, v40
; %bb.350:                              ;   in Loop: Header=BB247_255 Depth=1
	s_or_b32 exec_lo, exec_lo, s24
	v_lshlrev_b32_e32 v1, 8, v1
	v_lshl_add_u32 v39, v39, 10, 0x2000
	v_lshlrev_b32_e32 v37, 23, v37
	v_and_or_b32 v1, 0x8000, v1, v39
	v_lshl_or_b32 v37, v1, 16, v37
.LBB247_351:                            ;   in Loop: Header=BB247_255 Depth=1
	s_or_b32 exec_lo, exec_lo, s23
.LBB247_352:                            ;   in Loop: Header=BB247_255 Depth=1
	s_or_b32 exec_lo, exec_lo, s22
.LBB247_353:                            ;   in Loop: Header=BB247_255 Depth=1
	s_or_b32 exec_lo, exec_lo, s19
	v_mov_b32_e32 v1, v10
	v_cmp_ne_u16_sdwa s1, v10, v2 src0_sel:BYTE_0 src1_sel:DWORD
	v_mov_b32_e32 v39, 0
	v_mov_b32_e32 v40, 0
	s_and_saveexec_b32 s19, s1
	s_cbranch_execz .LBB247_361
; %bb.354:                              ;   in Loop: Header=BB247_255 Depth=1
	v_cmp_ne_u16_sdwa s1, v10, v22 src0_sel:BYTE_0 src1_sel:DWORD
	v_mov_b32_e32 v40, 0x8000
	s_and_saveexec_b32 s22, s1
	s_cbranch_execz .LBB247_360
; %bb.355:                              ;   in Loop: Header=BB247_255 Depth=1
	v_and_b32_e32 v42, 0x7f, v10
	v_mov_b32_e32 v40, 0x7c01
	s_mov_b32 s23, exec_lo
	v_cmpx_ne_u32_e32 0x7f, v42
	s_cbranch_execz .LBB247_359
; %bb.356:                              ;   in Loop: Header=BB247_255 Depth=1
	v_and_b32_e32 v40, 7, v10
	v_lshrrev_b32_e32 v41, 3, v42
	s_mov_b32 s24, exec_lo
	v_cmpx_gt_u32_e32 8, v42
; %bb.357:                              ;   in Loop: Header=BB247_255 Depth=1
	v_ffbh_u32_e32 v40, v40
	v_min_u32_e32 v42, 32, v40
	v_subrev_nc_u32_e32 v40, 28, v42
	v_lshlrev_b64 v[40:41], v40, v[1:2]
	v_sub_nc_u32_e32 v41, 29, v42
	v_and_b32_e32 v40, 7, v40
; %bb.358:                              ;   in Loop: Header=BB247_255 Depth=1
	s_or_b32 exec_lo, exec_lo, s24
	v_lshlrev_b32_e32 v42, 8, v10
	v_lshl_add_u32 v41, v41, 10, 0x2000
	v_lshlrev_b32_e32 v40, 7, v40
	v_and_b32_e32 v42, 0x8000, v42
	v_and_b32_e32 v41, 0xfc00, v41
	v_or3_b32 v40, v42, v41, v40
.LBB247_359:                            ;   in Loop: Header=BB247_255 Depth=1
	s_or_b32 exec_lo, exec_lo, s23
.LBB247_360:                            ;   in Loop: Header=BB247_255 Depth=1
	s_or_b32 exec_lo, exec_lo, s22
.LBB247_361:                            ;   in Loop: Header=BB247_255 Depth=1
	s_or_b32 exec_lo, exec_lo, s19
	v_lshrrev_b16 v1, 8, v1
	v_mov_b32_e32 v41, 0
	s_mov_b32 s19, exec_lo
	v_cmpx_ne_u16_e32 0, v1
	s_cbranch_execz .LBB247_369
; %bb.362:                              ;   in Loop: Header=BB247_255 Depth=1
	v_bfrev_b32_e32 v41, 1
	s_mov_b32 s22, exec_lo
	v_cmpx_ne_u16_e32 0x80, v1
	s_cbranch_execz .LBB247_368
; %bb.363:                              ;   in Loop: Header=BB247_255 Depth=1
	v_and_b32_sdwa v43, v1, v23 dst_sel:DWORD dst_unused:UNUSED_PAD src0_sel:WORD_0 src1_sel:DWORD
	v_mov_b32_e32 v41, 0x7c010000
	s_mov_b32 s23, exec_lo
	v_cmpx_ne_u32_e32 0x7f, v43
	s_cbranch_execz .LBB247_367
; %bb.364:                              ;   in Loop: Header=BB247_255 Depth=1
	v_and_b32_sdwa v41, v1, v24 dst_sel:DWORD dst_unused:UNUSED_PAD src0_sel:WORD_0 src1_sel:DWORD
	v_lshrrev_b32_e32 v42, 3, v43
	s_mov_b32 s24, exec_lo
	v_cmpx_gt_u32_e32 8, v43
; %bb.365:                              ;   in Loop: Header=BB247_255 Depth=1
	v_ffbh_u32_e32 v41, v41
	v_min_u32_e32 v43, 32, v41
	v_subrev_nc_u32_e32 v41, 28, v43
	v_lshlrev_b64 v[41:42], v41, v[1:2]
	v_sub_nc_u32_e32 v42, 29, v43
	v_and_b32_e32 v41, 7, v41
; %bb.366:                              ;   in Loop: Header=BB247_255 Depth=1
	s_or_b32 exec_lo, exec_lo, s24
	v_lshlrev_b32_sdwa v1, v25, v1 dst_sel:DWORD dst_unused:UNUSED_PAD src0_sel:DWORD src1_sel:WORD_0
	v_lshl_add_u32 v42, v42, 10, 0x2000
	v_lshlrev_b32_e32 v41, 23, v41
	v_and_or_b32 v1, 0x8000, v1, v42
	v_lshl_or_b32 v41, v1, 16, v41
.LBB247_367:                            ;   in Loop: Header=BB247_255 Depth=1
	s_or_b32 exec_lo, exec_lo, s23
.LBB247_368:                            ;   in Loop: Header=BB247_255 Depth=1
	s_or_b32 exec_lo, exec_lo, s22
.LBB247_369:                            ;   in Loop: Header=BB247_255 Depth=1
	s_or_b32 exec_lo, exec_lo, s19
	v_lshrrev_b32_e32 v1, 16, v10
	v_cmp_ne_u16_sdwa s1, v1, v2 src0_sel:BYTE_0 src1_sel:DWORD
	s_and_saveexec_b32 s19, s1
	s_cbranch_execz .LBB247_377
; %bb.370:                              ;   in Loop: Header=BB247_255 Depth=1
	v_cmp_ne_u16_sdwa s1, v1, v22 src0_sel:BYTE_0 src1_sel:DWORD
	v_mov_b32_e32 v39, 0x8000
	s_and_saveexec_b32 s22, s1
	s_cbranch_execz .LBB247_376
; %bb.371:                              ;   in Loop: Header=BB247_255 Depth=1
	v_bfe_u32 v43, v10, 16, 7
	v_mov_b32_e32 v39, 0x7c01
	s_mov_b32 s23, exec_lo
	v_cmpx_ne_u32_e32 0x7f, v43
	s_cbranch_execz .LBB247_375
; %bb.372:                              ;   in Loop: Header=BB247_255 Depth=1
	v_and_b32_e32 v39, 7, v1
	v_lshrrev_b32_e32 v42, 3, v43
	s_mov_b32 s24, exec_lo
	v_cmpx_gt_u32_e32 8, v43
; %bb.373:                              ;   in Loop: Header=BB247_255 Depth=1
	v_ffbh_u32_e32 v39, v39
	v_min_u32_e32 v39, 32, v39
	v_subrev_nc_u32_e32 v42, 28, v39
	v_lshlrev_b64 v[43:44], v42, v[1:2]
	v_sub_nc_u32_e32 v42, 29, v39
	v_and_b32_e32 v39, 7, v43
; %bb.374:                              ;   in Loop: Header=BB247_255 Depth=1
	s_or_b32 exec_lo, exec_lo, s24
	v_lshlrev_b32_e32 v1, 8, v1
	v_lshl_add_u32 v42, v42, 10, 0x2000
	v_lshlrev_b32_e32 v39, 7, v39
	v_and_b32_e32 v1, 0x8000, v1
	v_and_b32_e32 v42, 0xfc00, v42
	v_or3_b32 v39, v1, v42, v39
.LBB247_375:                            ;   in Loop: Header=BB247_255 Depth=1
	s_or_b32 exec_lo, exec_lo, s23
.LBB247_376:                            ;   in Loop: Header=BB247_255 Depth=1
	s_or_b32 exec_lo, exec_lo, s22
.LBB247_377:                            ;   in Loop: Header=BB247_255 Depth=1
	s_or_b32 exec_lo, exec_lo, s19
	v_cmp_lt_u64_e64 s1, s[4:5], v[9:10]
	v_mov_b32_e32 v9, 0
	s_and_saveexec_b32 s19, s1
	s_cbranch_execz .LBB247_385
; %bb.378:                              ;   in Loop: Header=BB247_255 Depth=1
	v_lshrrev_b32_e32 v1, 24, v10
	v_bfrev_b32_e32 v9, 1
	s_mov_b32 s22, exec_lo
	v_cmpx_ne_u32_e32 0x80, v1
	s_cbranch_execz .LBB247_384
; %bb.379:                              ;   in Loop: Header=BB247_255 Depth=1
	v_and_b32_e32 v42, 0x7f, v1
	v_mov_b32_e32 v9, 0x7c010000
	s_mov_b32 s23, exec_lo
	v_cmpx_ne_u32_e32 0x7f, v42
	s_cbranch_execz .LBB247_383
; %bb.380:                              ;   in Loop: Header=BB247_255 Depth=1
	v_and_b32_e32 v9, 7, v1
	v_lshrrev_b32_e32 v10, 3, v42
	s_mov_b32 s24, exec_lo
	v_cmpx_gt_u32_e32 8, v42
; %bb.381:                              ;   in Loop: Header=BB247_255 Depth=1
	v_ffbh_u32_e32 v9, v9
	v_min_u32_e32 v42, 32, v9
	v_subrev_nc_u32_e32 v9, 28, v42
	v_lshlrev_b64 v[9:10], v9, v[1:2]
	v_sub_nc_u32_e32 v10, 29, v42
	v_and_b32_e32 v9, 7, v9
; %bb.382:                              ;   in Loop: Header=BB247_255 Depth=1
	s_or_b32 exec_lo, exec_lo, s24
	v_lshlrev_b32_e32 v1, 8, v1
	v_lshl_add_u32 v10, v10, 10, 0x2000
	v_lshlrev_b32_e32 v9, 23, v9
	v_and_or_b32 v1, 0x8000, v1, v10
	v_lshl_or_b32 v9, v1, 16, v9
.LBB247_383:                            ;   in Loop: Header=BB247_255 Depth=1
	s_or_b32 exec_lo, exec_lo, s23
.LBB247_384:                            ;   in Loop: Header=BB247_255 Depth=1
	s_or_b32 exec_lo, exec_lo, s22
.LBB247_385:                            ;   in Loop: Header=BB247_255 Depth=1
	s_or_b32 exec_lo, exec_lo, s19
	v_or_b32_e32 v1, v37, v38
	s_waitcnt vmcnt(0)
	v_fma_mixlo_f16 v10, v34, v37, 0 op_sel:[0,1,0] op_sel_hi:[0,1,0]
	v_or_b32_e32 v36, v35, v36
	v_fma_mixlo_f16 v35, v34, v35, 0 op_sel:[0,1,0] op_sel_hi:[0,1,0]
	v_or_b32_e32 v38, v41, v40
	v_or_b32_e32 v39, v9, v39
	v_fma_mixlo_f16 v40, v34, v1, 0 op_sel_hi:[0,1,0]
	v_lshlrev_b32_e32 v1, 16, v10
	v_lshlrev_b32_e32 v37, 16, v35
	v_fma_mixlo_f16 v10, v34, v36, 0 op_sel_hi:[0,1,0]
	v_fma_mixlo_f16 v35, v34, v41, 0 op_sel:[0,1,0] op_sel_hi:[0,1,0]
	v_fma_mixlo_f16 v38, v34, v38, 0 op_sel_hi:[0,1,0]
	v_fma_mixlo_f16 v9, v34, v9, 0 op_sel:[0,1,0] op_sel_hi:[0,1,0]
	v_fma_mixlo_f16 v34, v34, v39, 0 op_sel_hi:[0,1,0]
	v_and_b32_e32 v36, 0xffff, v40
	v_and_b32_e32 v41, 0xffff, v10
	v_lshlrev_b32_e32 v10, 16, v35
	v_and_b32_e32 v35, 0xffff, v38
	v_lshlrev_b32_e32 v9, 16, v9
	v_and_b32_e32 v34, 0xffff, v34
	v_or_b32_e32 v38, v1, v36
	v_or_b32_e32 v42, v37, v41
	;; [unrolled: 1-line block ×4, first 2 shown]
	s_and_saveexec_b32 s19, s0
	s_cbranch_execz .LBB247_387
; %bb.386:                              ;   in Loop: Header=BB247_255 Depth=1
	v_add_nc_u32_e32 v38, -6, v20
	v_cmp_gt_i32_e64 s1, s11, v27
	v_add_nc_u32_e32 v39, -5, v20
	v_cndmask_b32_e64 v40, 0, v41, s1
	v_cmp_gt_i32_e64 s1, s11, v38
	v_add_nc_u32_e32 v38, -4, v20
	v_add_nc_u32_e32 v41, -2, v20
	v_cndmask_b32_e64 v37, 0, v37, s1
	v_cmp_gt_i32_e64 s1, s11, v39
	v_add_nc_u32_e32 v39, -3, v20
	v_or_b32_e32 v42, v37, v40
	v_cndmask_b32_e64 v36, 0, v36, s1
	v_cmp_gt_i32_e64 s1, s11, v38
	v_add_nc_u32_e32 v38, -1, v20
	v_cndmask_b32_e64 v1, 0, v1, s1
	v_cmp_gt_i32_e64 s1, s11, v39
	v_cndmask_b32_e64 v35, 0, v35, s1
	v_cmp_gt_i32_e64 s1, s11, v41
	;; [unrolled: 2-line block ×3, first 2 shown]
	v_or_b32_e32 v38, v1, v36
	v_or_b32_e32 v40, v10, v35
	v_cndmask_b32_e64 v34, 0, v34, s1
	v_cmp_gt_i32_e64 s1, s11, v20
	v_cndmask_b32_e64 v9, 0, v9, s1
	v_or_b32_e32 v39, v9, v34
.LBB247_387:                            ;   in Loop: Header=BB247_255 Depth=1
	s_or_b32 exec_lo, exec_lo, s19
	;;#ASMSTART
	v_pk_mul_f16 v1, v33, v42;

	;;#ASMEND
	;;#ASMSTART
	v_pk_mul_f16 v9, v32, v38;

	;;#ASMEND
	;; [unrolled: 4-line block ×4, first 2 shown]
	;;#ASMSTART
	v_pk_add_f16 v1, v1, v9;

	;;#ASMEND
	;;#ASMSTART
	v_pk_add_f16 v1, v1, v10;

	;;#ASMEND
	;; [unrolled: 4-line block ×3, first 2 shown]
	v_and_b32_e32 v9, 0xffff, v1
	v_lshrrev_b32_e32 v1, 16, v1
	;;#ASMSTART
	v_cvt_f32_f16 v9, v9;
	;;#ASMEND
	;;#ASMSTART
	v_cvt_f32_f16 v10, v1;
	;;#ASMEND
	global_load_dwordx2 v[7:8], v[7:8], off offset:512
	v_mov_b32_e32 v35, 0
	v_mov_b32_e32 v36, 0
	global_load_dword v34, v35, s[14:15]
	s_waitcnt vmcnt(1)
	v_cmp_ne_u16_sdwa s1, v7, v2 src0_sel:BYTE_0 src1_sel:DWORD
	s_and_saveexec_b32 s19, s1
	s_cbranch_execz .LBB247_395
; %bb.388:                              ;   in Loop: Header=BB247_255 Depth=1
	v_cmp_ne_u16_sdwa s1, v7, v22 src0_sel:BYTE_0 src1_sel:DWORD
	v_mov_b32_e32 v36, 0x8000
	s_and_saveexec_b32 s22, s1
	s_cbranch_execz .LBB247_394
; %bb.389:                              ;   in Loop: Header=BB247_255 Depth=1
	v_and_b32_e32 v37, 0x7f, v7
	v_mov_b32_e32 v36, 0x7c01
	s_mov_b32 s23, exec_lo
	v_cmpx_ne_u32_e32 0x7f, v37
	s_cbranch_execz .LBB247_393
; %bb.390:                              ;   in Loop: Header=BB247_255 Depth=1
	v_and_b32_e32 v1, 7, v7
	v_lshrrev_b32_e32 v36, 3, v37
	s_mov_b32 s24, exec_lo
	v_cmpx_gt_u32_e32 8, v37
; %bb.391:                              ;   in Loop: Header=BB247_255 Depth=1
	v_ffbh_u32_e32 v1, v1
	v_min_u32_e32 v1, 32, v1
	v_subrev_nc_u32_e32 v36, 28, v1
	v_lshlrev_b64 v[37:38], v36, v[7:8]
	v_sub_nc_u32_e32 v36, 29, v1
	v_and_b32_e32 v1, 7, v37
; %bb.392:                              ;   in Loop: Header=BB247_255 Depth=1
	s_or_b32 exec_lo, exec_lo, s24
	v_lshlrev_b32_e32 v37, 8, v7
	v_lshl_add_u32 v36, v36, 10, 0x2000
	v_lshlrev_b32_e32 v1, 7, v1
	v_and_b32_e32 v37, 0x8000, v37
	v_and_b32_e32 v36, 0xfc00, v36
	v_or3_b32 v36, v37, v36, v1
.LBB247_393:                            ;   in Loop: Header=BB247_255 Depth=1
	s_or_b32 exec_lo, exec_lo, s23
.LBB247_394:                            ;   in Loop: Header=BB247_255 Depth=1
	s_or_b32 exec_lo, exec_lo, s22
.LBB247_395:                            ;   in Loop: Header=BB247_255 Depth=1
	s_or_b32 exec_lo, exec_lo, s19
	v_lshrrev_b16 v1, 8, v7
	s_mov_b32 s19, exec_lo
	v_cmpx_ne_u16_e32 0, v1
	s_cbranch_execz .LBB247_403
; %bb.396:                              ;   in Loop: Header=BB247_255 Depth=1
	v_bfrev_b32_e32 v35, 1
	s_mov_b32 s22, exec_lo
	v_cmpx_ne_u16_e32 0x80, v1
	s_cbranch_execz .LBB247_402
; %bb.397:                              ;   in Loop: Header=BB247_255 Depth=1
	v_and_b32_sdwa v38, v1, v23 dst_sel:DWORD dst_unused:UNUSED_PAD src0_sel:WORD_0 src1_sel:DWORD
	v_mov_b32_e32 v35, 0x7c010000
	s_mov_b32 s23, exec_lo
	v_cmpx_ne_u32_e32 0x7f, v38
	s_cbranch_execz .LBB247_401
; %bb.398:                              ;   in Loop: Header=BB247_255 Depth=1
	v_and_b32_sdwa v35, v1, v24 dst_sel:DWORD dst_unused:UNUSED_PAD src0_sel:WORD_0 src1_sel:DWORD
	v_lshrrev_b32_e32 v37, 3, v38
	s_mov_b32 s24, exec_lo
	v_cmpx_gt_u32_e32 8, v38
; %bb.399:                              ;   in Loop: Header=BB247_255 Depth=1
	v_ffbh_u32_e32 v35, v35
	v_min_u32_e32 v35, 32, v35
	v_subrev_nc_u32_e32 v37, 28, v35
	v_lshlrev_b64 v[38:39], v37, v[1:2]
	v_sub_nc_u32_e32 v37, 29, v35
	v_and_b32_e32 v35, 7, v38
; %bb.400:                              ;   in Loop: Header=BB247_255 Depth=1
	s_or_b32 exec_lo, exec_lo, s24
	v_lshlrev_b32_sdwa v1, v25, v1 dst_sel:DWORD dst_unused:UNUSED_PAD src0_sel:DWORD src1_sel:WORD_0
	v_lshl_add_u32 v37, v37, 10, 0x2000
	v_lshlrev_b32_e32 v35, 23, v35
	v_and_or_b32 v1, 0x8000, v1, v37
	v_lshl_or_b32 v35, v1, 16, v35
.LBB247_401:                            ;   in Loop: Header=BB247_255 Depth=1
	s_or_b32 exec_lo, exec_lo, s23
.LBB247_402:                            ;   in Loop: Header=BB247_255 Depth=1
	s_or_b32 exec_lo, exec_lo, s22
.LBB247_403:                            ;   in Loop: Header=BB247_255 Depth=1
	s_or_b32 exec_lo, exec_lo, s19
	v_lshrrev_b32_e32 v1, 16, v7
	v_mov_b32_e32 v37, 0
	v_mov_b32_e32 v38, 0
	v_cmp_ne_u16_sdwa s1, v1, v2 src0_sel:BYTE_0 src1_sel:DWORD
	s_and_saveexec_b32 s19, s1
	s_cbranch_execz .LBB247_411
; %bb.404:                              ;   in Loop: Header=BB247_255 Depth=1
	v_cmp_ne_u16_sdwa s1, v1, v22 src0_sel:BYTE_0 src1_sel:DWORD
	v_mov_b32_e32 v38, 0x8000
	s_and_saveexec_b32 s22, s1
	s_cbranch_execz .LBB247_410
; %bb.405:                              ;   in Loop: Header=BB247_255 Depth=1
	v_bfe_u32 v40, v7, 16, 7
	v_mov_b32_e32 v38, 0x7c01
	s_mov_b32 s23, exec_lo
	v_cmpx_ne_u32_e32 0x7f, v40
	s_cbranch_execz .LBB247_409
; %bb.406:                              ;   in Loop: Header=BB247_255 Depth=1
	v_and_b32_e32 v38, 7, v1
	v_lshrrev_b32_e32 v39, 3, v40
	s_mov_b32 s24, exec_lo
	v_cmpx_gt_u32_e32 8, v40
; %bb.407:                              ;   in Loop: Header=BB247_255 Depth=1
	v_ffbh_u32_e32 v38, v38
	v_min_u32_e32 v40, 32, v38
	v_subrev_nc_u32_e32 v38, 28, v40
	v_lshlrev_b64 v[38:39], v38, v[1:2]
	v_sub_nc_u32_e32 v39, 29, v40
	v_and_b32_e32 v38, 7, v38
; %bb.408:                              ;   in Loop: Header=BB247_255 Depth=1
	s_or_b32 exec_lo, exec_lo, s24
	v_lshlrev_b32_e32 v1, 8, v1
	v_lshl_add_u32 v39, v39, 10, 0x2000
	v_lshlrev_b32_e32 v38, 7, v38
	v_and_b32_e32 v1, 0x8000, v1
	v_and_b32_e32 v39, 0xfc00, v39
	v_or3_b32 v38, v1, v39, v38
.LBB247_409:                            ;   in Loop: Header=BB247_255 Depth=1
	s_or_b32 exec_lo, exec_lo, s23
.LBB247_410:                            ;   in Loop: Header=BB247_255 Depth=1
	s_or_b32 exec_lo, exec_lo, s22
.LBB247_411:                            ;   in Loop: Header=BB247_255 Depth=1
	s_or_b32 exec_lo, exec_lo, s19
	s_mov_b32 s19, exec_lo
	v_cmpx_lt_u32_e32 0xffffff, v7
	s_cbranch_execz .LBB247_419
; %bb.412:                              ;   in Loop: Header=BB247_255 Depth=1
	v_lshrrev_b32_e32 v1, 24, v7
	v_bfrev_b32_e32 v37, 1
	s_mov_b32 s22, exec_lo
	v_cmpx_ne_u32_e32 0x80, v1
	s_cbranch_execz .LBB247_418
; %bb.413:                              ;   in Loop: Header=BB247_255 Depth=1
	v_and_b32_e32 v40, 0x7f, v1
	v_mov_b32_e32 v37, 0x7c010000
	s_mov_b32 s23, exec_lo
	v_cmpx_ne_u32_e32 0x7f, v40
	s_cbranch_execz .LBB247_417
; %bb.414:                              ;   in Loop: Header=BB247_255 Depth=1
	v_and_b32_e32 v37, 7, v1
	v_lshrrev_b32_e32 v39, 3, v40
	s_mov_b32 s24, exec_lo
	v_cmpx_gt_u32_e32 8, v40
; %bb.415:                              ;   in Loop: Header=BB247_255 Depth=1
	v_ffbh_u32_e32 v37, v37
	v_min_u32_e32 v37, 32, v37
	v_subrev_nc_u32_e32 v39, 28, v37
	v_lshlrev_b64 v[40:41], v39, v[1:2]
	v_sub_nc_u32_e32 v39, 29, v37
	v_and_b32_e32 v37, 7, v40
; %bb.416:                              ;   in Loop: Header=BB247_255 Depth=1
	s_or_b32 exec_lo, exec_lo, s24
	v_lshlrev_b32_e32 v1, 8, v1
	v_lshl_add_u32 v39, v39, 10, 0x2000
	v_lshlrev_b32_e32 v37, 23, v37
	v_and_or_b32 v1, 0x8000, v1, v39
	v_lshl_or_b32 v37, v1, 16, v37
.LBB247_417:                            ;   in Loop: Header=BB247_255 Depth=1
	s_or_b32 exec_lo, exec_lo, s23
.LBB247_418:                            ;   in Loop: Header=BB247_255 Depth=1
	s_or_b32 exec_lo, exec_lo, s22
.LBB247_419:                            ;   in Loop: Header=BB247_255 Depth=1
	s_or_b32 exec_lo, exec_lo, s19
	v_mov_b32_e32 v1, v8
	v_cmp_ne_u16_sdwa s1, v8, v2 src0_sel:BYTE_0 src1_sel:DWORD
	v_mov_b32_e32 v39, 0
	v_mov_b32_e32 v40, 0
	s_and_saveexec_b32 s19, s1
	s_cbranch_execz .LBB247_427
; %bb.420:                              ;   in Loop: Header=BB247_255 Depth=1
	v_cmp_ne_u16_sdwa s1, v8, v22 src0_sel:BYTE_0 src1_sel:DWORD
	v_mov_b32_e32 v40, 0x8000
	s_and_saveexec_b32 s22, s1
	s_cbranch_execz .LBB247_426
; %bb.421:                              ;   in Loop: Header=BB247_255 Depth=1
	v_and_b32_e32 v42, 0x7f, v8
	v_mov_b32_e32 v40, 0x7c01
	s_mov_b32 s23, exec_lo
	v_cmpx_ne_u32_e32 0x7f, v42
	s_cbranch_execz .LBB247_425
; %bb.422:                              ;   in Loop: Header=BB247_255 Depth=1
	v_and_b32_e32 v40, 7, v8
	v_lshrrev_b32_e32 v41, 3, v42
	s_mov_b32 s24, exec_lo
	v_cmpx_gt_u32_e32 8, v42
; %bb.423:                              ;   in Loop: Header=BB247_255 Depth=1
	v_ffbh_u32_e32 v40, v40
	v_min_u32_e32 v42, 32, v40
	v_subrev_nc_u32_e32 v40, 28, v42
	v_lshlrev_b64 v[40:41], v40, v[1:2]
	v_sub_nc_u32_e32 v41, 29, v42
	v_and_b32_e32 v40, 7, v40
; %bb.424:                              ;   in Loop: Header=BB247_255 Depth=1
	s_or_b32 exec_lo, exec_lo, s24
	v_lshlrev_b32_e32 v42, 8, v8
	v_lshl_add_u32 v41, v41, 10, 0x2000
	v_lshlrev_b32_e32 v40, 7, v40
	v_and_b32_e32 v42, 0x8000, v42
	v_and_b32_e32 v41, 0xfc00, v41
	v_or3_b32 v40, v42, v41, v40
.LBB247_425:                            ;   in Loop: Header=BB247_255 Depth=1
	s_or_b32 exec_lo, exec_lo, s23
.LBB247_426:                            ;   in Loop: Header=BB247_255 Depth=1
	s_or_b32 exec_lo, exec_lo, s22
.LBB247_427:                            ;   in Loop: Header=BB247_255 Depth=1
	s_or_b32 exec_lo, exec_lo, s19
	v_lshrrev_b16 v1, 8, v1
	v_mov_b32_e32 v41, 0
	s_mov_b32 s19, exec_lo
	v_cmpx_ne_u16_e32 0, v1
	s_cbranch_execz .LBB247_435
; %bb.428:                              ;   in Loop: Header=BB247_255 Depth=1
	v_bfrev_b32_e32 v41, 1
	s_mov_b32 s22, exec_lo
	v_cmpx_ne_u16_e32 0x80, v1
	s_cbranch_execz .LBB247_434
; %bb.429:                              ;   in Loop: Header=BB247_255 Depth=1
	v_and_b32_sdwa v43, v1, v23 dst_sel:DWORD dst_unused:UNUSED_PAD src0_sel:WORD_0 src1_sel:DWORD
	v_mov_b32_e32 v41, 0x7c010000
	s_mov_b32 s23, exec_lo
	v_cmpx_ne_u32_e32 0x7f, v43
	s_cbranch_execz .LBB247_433
; %bb.430:                              ;   in Loop: Header=BB247_255 Depth=1
	v_and_b32_sdwa v41, v1, v24 dst_sel:DWORD dst_unused:UNUSED_PAD src0_sel:WORD_0 src1_sel:DWORD
	v_lshrrev_b32_e32 v42, 3, v43
	s_mov_b32 s24, exec_lo
	v_cmpx_gt_u32_e32 8, v43
; %bb.431:                              ;   in Loop: Header=BB247_255 Depth=1
	v_ffbh_u32_e32 v41, v41
	v_min_u32_e32 v43, 32, v41
	v_subrev_nc_u32_e32 v41, 28, v43
	v_lshlrev_b64 v[41:42], v41, v[1:2]
	v_sub_nc_u32_e32 v42, 29, v43
	v_and_b32_e32 v41, 7, v41
; %bb.432:                              ;   in Loop: Header=BB247_255 Depth=1
	s_or_b32 exec_lo, exec_lo, s24
	v_lshlrev_b32_sdwa v1, v25, v1 dst_sel:DWORD dst_unused:UNUSED_PAD src0_sel:DWORD src1_sel:WORD_0
	v_lshl_add_u32 v42, v42, 10, 0x2000
	v_lshlrev_b32_e32 v41, 23, v41
	v_and_or_b32 v1, 0x8000, v1, v42
	v_lshl_or_b32 v41, v1, 16, v41
.LBB247_433:                            ;   in Loop: Header=BB247_255 Depth=1
	s_or_b32 exec_lo, exec_lo, s23
.LBB247_434:                            ;   in Loop: Header=BB247_255 Depth=1
	s_or_b32 exec_lo, exec_lo, s22
.LBB247_435:                            ;   in Loop: Header=BB247_255 Depth=1
	s_or_b32 exec_lo, exec_lo, s19
	v_lshrrev_b32_e32 v1, 16, v8
	v_cmp_ne_u16_sdwa s1, v1, v2 src0_sel:BYTE_0 src1_sel:DWORD
	s_and_saveexec_b32 s19, s1
	s_cbranch_execz .LBB247_443
; %bb.436:                              ;   in Loop: Header=BB247_255 Depth=1
	v_cmp_ne_u16_sdwa s1, v1, v22 src0_sel:BYTE_0 src1_sel:DWORD
	v_mov_b32_e32 v39, 0x8000
	s_and_saveexec_b32 s22, s1
	s_cbranch_execz .LBB247_442
; %bb.437:                              ;   in Loop: Header=BB247_255 Depth=1
	v_bfe_u32 v43, v8, 16, 7
	v_mov_b32_e32 v39, 0x7c01
	s_mov_b32 s23, exec_lo
	v_cmpx_ne_u32_e32 0x7f, v43
	s_cbranch_execz .LBB247_441
; %bb.438:                              ;   in Loop: Header=BB247_255 Depth=1
	v_and_b32_e32 v39, 7, v1
	v_lshrrev_b32_e32 v42, 3, v43
	s_mov_b32 s24, exec_lo
	v_cmpx_gt_u32_e32 8, v43
; %bb.439:                              ;   in Loop: Header=BB247_255 Depth=1
	v_ffbh_u32_e32 v39, v39
	v_min_u32_e32 v39, 32, v39
	v_subrev_nc_u32_e32 v42, 28, v39
	v_lshlrev_b64 v[43:44], v42, v[1:2]
	v_sub_nc_u32_e32 v42, 29, v39
	v_and_b32_e32 v39, 7, v43
; %bb.440:                              ;   in Loop: Header=BB247_255 Depth=1
	s_or_b32 exec_lo, exec_lo, s24
	v_lshlrev_b32_e32 v1, 8, v1
	v_lshl_add_u32 v42, v42, 10, 0x2000
	v_lshlrev_b32_e32 v39, 7, v39
	v_and_b32_e32 v1, 0x8000, v1
	v_and_b32_e32 v42, 0xfc00, v42
	v_or3_b32 v39, v1, v42, v39
.LBB247_441:                            ;   in Loop: Header=BB247_255 Depth=1
	s_or_b32 exec_lo, exec_lo, s23
.LBB247_442:                            ;   in Loop: Header=BB247_255 Depth=1
	s_or_b32 exec_lo, exec_lo, s22
.LBB247_443:                            ;   in Loop: Header=BB247_255 Depth=1
	s_or_b32 exec_lo, exec_lo, s19
	v_cmp_lt_u64_e64 s1, s[4:5], v[7:8]
	v_mov_b32_e32 v7, 0
	s_and_saveexec_b32 s19, s1
	s_cbranch_execz .LBB247_451
; %bb.444:                              ;   in Loop: Header=BB247_255 Depth=1
	v_lshrrev_b32_e32 v1, 24, v8
	v_bfrev_b32_e32 v7, 1
	s_mov_b32 s22, exec_lo
	v_cmpx_ne_u32_e32 0x80, v1
	s_cbranch_execz .LBB247_450
; %bb.445:                              ;   in Loop: Header=BB247_255 Depth=1
	v_and_b32_e32 v42, 0x7f, v1
	v_mov_b32_e32 v7, 0x7c010000
	s_mov_b32 s23, exec_lo
	v_cmpx_ne_u32_e32 0x7f, v42
	s_cbranch_execz .LBB247_449
; %bb.446:                              ;   in Loop: Header=BB247_255 Depth=1
	v_and_b32_e32 v7, 7, v1
	v_lshrrev_b32_e32 v8, 3, v42
	s_mov_b32 s24, exec_lo
	v_cmpx_gt_u32_e32 8, v42
; %bb.447:                              ;   in Loop: Header=BB247_255 Depth=1
	v_ffbh_u32_e32 v7, v7
	v_min_u32_e32 v42, 32, v7
	v_subrev_nc_u32_e32 v7, 28, v42
	v_lshlrev_b64 v[7:8], v7, v[1:2]
	v_sub_nc_u32_e32 v8, 29, v42
	v_and_b32_e32 v7, 7, v7
; %bb.448:                              ;   in Loop: Header=BB247_255 Depth=1
	s_or_b32 exec_lo, exec_lo, s24
	v_lshlrev_b32_e32 v1, 8, v1
	v_lshl_add_u32 v8, v8, 10, 0x2000
	v_lshlrev_b32_e32 v7, 23, v7
	v_and_or_b32 v1, 0x8000, v1, v8
	v_lshl_or_b32 v7, v1, 16, v7
.LBB247_449:                            ;   in Loop: Header=BB247_255 Depth=1
	s_or_b32 exec_lo, exec_lo, s23
.LBB247_450:                            ;   in Loop: Header=BB247_255 Depth=1
	s_or_b32 exec_lo, exec_lo, s22
.LBB247_451:                            ;   in Loop: Header=BB247_255 Depth=1
	s_or_b32 exec_lo, exec_lo, s19
	v_or_b32_e32 v1, v37, v38
	s_waitcnt vmcnt(0)
	v_fma_mixlo_f16 v8, v34, v37, 0 op_sel:[0,1,0] op_sel_hi:[0,1,0]
	v_or_b32_e32 v36, v35, v36
	v_fma_mixlo_f16 v35, v34, v35, 0 op_sel:[0,1,0] op_sel_hi:[0,1,0]
	v_or_b32_e32 v38, v41, v40
	v_or_b32_e32 v39, v7, v39
	v_fma_mixlo_f16 v40, v34, v1, 0 op_sel_hi:[0,1,0]
	v_lshlrev_b32_e32 v1, 16, v8
	v_lshlrev_b32_e32 v37, 16, v35
	v_fma_mixlo_f16 v8, v34, v36, 0 op_sel_hi:[0,1,0]
	v_fma_mixlo_f16 v35, v34, v41, 0 op_sel:[0,1,0] op_sel_hi:[0,1,0]
	v_fma_mixlo_f16 v38, v34, v38, 0 op_sel_hi:[0,1,0]
	v_fma_mixlo_f16 v7, v34, v7, 0 op_sel:[0,1,0] op_sel_hi:[0,1,0]
	v_fma_mixlo_f16 v34, v34, v39, 0 op_sel_hi:[0,1,0]
	v_and_b32_e32 v36, 0xffff, v40
	v_and_b32_e32 v41, 0xffff, v8
	v_lshlrev_b32_e32 v8, 16, v35
	v_and_b32_e32 v35, 0xffff, v38
	v_lshlrev_b32_e32 v7, 16, v7
	v_and_b32_e32 v34, 0xffff, v34
	v_or_b32_e32 v38, v1, v36
	v_or_b32_e32 v42, v37, v41
	;; [unrolled: 1-line block ×4, first 2 shown]
	s_and_saveexec_b32 s19, s0
	s_cbranch_execz .LBB247_453
; %bb.452:                              ;   in Loop: Header=BB247_255 Depth=1
	v_add_nc_u32_e32 v38, -6, v20
	v_cmp_gt_i32_e64 s1, s11, v27
	v_add_nc_u32_e32 v39, -5, v20
	v_cndmask_b32_e64 v40, 0, v41, s1
	v_cmp_gt_i32_e64 s1, s11, v38
	v_add_nc_u32_e32 v38, -4, v20
	v_add_nc_u32_e32 v41, -2, v20
	v_cndmask_b32_e64 v37, 0, v37, s1
	v_cmp_gt_i32_e64 s1, s11, v39
	v_add_nc_u32_e32 v39, -3, v20
	v_or_b32_e32 v42, v37, v40
	v_cndmask_b32_e64 v36, 0, v36, s1
	v_cmp_gt_i32_e64 s1, s11, v38
	v_add_nc_u32_e32 v38, -1, v20
	v_cndmask_b32_e64 v1, 0, v1, s1
	v_cmp_gt_i32_e64 s1, s11, v39
	v_cndmask_b32_e64 v35, 0, v35, s1
	v_cmp_gt_i32_e64 s1, s11, v41
	;; [unrolled: 2-line block ×3, first 2 shown]
	v_or_b32_e32 v38, v1, v36
	v_or_b32_e32 v40, v8, v35
	v_cndmask_b32_e64 v34, 0, v34, s1
	v_cmp_gt_i32_e64 s1, s11, v20
	v_cndmask_b32_e64 v7, 0, v7, s1
	v_or_b32_e32 v39, v7, v34
.LBB247_453:                            ;   in Loop: Header=BB247_255 Depth=1
	s_or_b32 exec_lo, exec_lo, s19
	;;#ASMSTART
	v_pk_mul_f16 v1, v33, v42;

	;;#ASMEND
	;;#ASMSTART
	v_pk_mul_f16 v7, v32, v38;

	;;#ASMEND
	;; [unrolled: 4-line block ×4, first 2 shown]
	;;#ASMSTART
	v_pk_add_f16 v1, v1, v7;

	;;#ASMEND
	;;#ASMSTART
	v_pk_add_f16 v1, v1, v8;

	;;#ASMEND
	;; [unrolled: 4-line block ×3, first 2 shown]
	v_and_b32_e32 v7, 0xffff, v1
	v_lshrrev_b32_e32 v1, 16, v1
	;;#ASMSTART
	v_cvt_f32_f16 v7, v7;
	;;#ASMEND
	;;#ASMSTART
	v_cvt_f32_f16 v8, v1;
	;;#ASMEND
	s_and_saveexec_b32 s19, vcc_lo
	s_cbranch_execz .LBB247_254
; %bb.454:                              ;   in Loop: Header=BB247_255 Depth=1
	v_add_co_u32 v5, s1, v5, v19
	v_add_co_ci_u32_e64 v6, null, 0, v6, s1
	v_mov_b32_e32 v35, 0
	v_mov_b32_e32 v36, 0
	global_load_dwordx2 v[5:6], v[5:6], off
	global_load_dword v34, v35, s[14:15]
	s_waitcnt vmcnt(1)
	v_cmp_ne_u16_sdwa s1, v5, v2 src0_sel:BYTE_0 src1_sel:DWORD
	s_and_saveexec_b32 s22, s1
	s_cbranch_execz .LBB247_462
; %bb.455:                              ;   in Loop: Header=BB247_255 Depth=1
	v_cmp_ne_u16_sdwa s1, v5, v22 src0_sel:BYTE_0 src1_sel:DWORD
	v_mov_b32_e32 v36, 0x8000
	s_and_saveexec_b32 s23, s1
	s_cbranch_execz .LBB247_461
; %bb.456:                              ;   in Loop: Header=BB247_255 Depth=1
	v_and_b32_e32 v37, 0x7f, v5
	v_mov_b32_e32 v36, 0x7c01
	s_mov_b32 s24, exec_lo
	v_cmpx_ne_u32_e32 0x7f, v37
	s_cbranch_execz .LBB247_460
; %bb.457:                              ;   in Loop: Header=BB247_255 Depth=1
	v_and_b32_e32 v1, 7, v5
	v_lshrrev_b32_e32 v36, 3, v37
	s_mov_b32 s25, exec_lo
	v_cmpx_gt_u32_e32 8, v37
; %bb.458:                              ;   in Loop: Header=BB247_255 Depth=1
	v_ffbh_u32_e32 v1, v1
	v_min_u32_e32 v1, 32, v1
	v_subrev_nc_u32_e32 v36, 28, v1
	v_lshlrev_b64 v[37:38], v36, v[5:6]
	v_sub_nc_u32_e32 v36, 29, v1
	v_and_b32_e32 v1, 7, v37
; %bb.459:                              ;   in Loop: Header=BB247_255 Depth=1
	s_or_b32 exec_lo, exec_lo, s25
	v_lshlrev_b32_e32 v37, 8, v5
	v_lshl_add_u32 v36, v36, 10, 0x2000
	v_lshlrev_b32_e32 v1, 7, v1
	v_and_b32_e32 v37, 0x8000, v37
	v_and_b32_e32 v36, 0xfc00, v36
	v_or3_b32 v36, v37, v36, v1
.LBB247_460:                            ;   in Loop: Header=BB247_255 Depth=1
	s_or_b32 exec_lo, exec_lo, s24
.LBB247_461:                            ;   in Loop: Header=BB247_255 Depth=1
	s_or_b32 exec_lo, exec_lo, s23
.LBB247_462:                            ;   in Loop: Header=BB247_255 Depth=1
	s_or_b32 exec_lo, exec_lo, s22
	v_lshrrev_b16 v1, 8, v5
	s_mov_b32 s22, exec_lo
	v_cmpx_ne_u16_e32 0, v1
	s_cbranch_execz .LBB247_470
; %bb.463:                              ;   in Loop: Header=BB247_255 Depth=1
	v_bfrev_b32_e32 v35, 1
	s_mov_b32 s23, exec_lo
	v_cmpx_ne_u16_e32 0x80, v1
	s_cbranch_execz .LBB247_469
; %bb.464:                              ;   in Loop: Header=BB247_255 Depth=1
	v_and_b32_sdwa v38, v1, v23 dst_sel:DWORD dst_unused:UNUSED_PAD src0_sel:WORD_0 src1_sel:DWORD
	v_mov_b32_e32 v35, 0x7c010000
	s_mov_b32 s24, exec_lo
	v_cmpx_ne_u32_e32 0x7f, v38
	s_cbranch_execz .LBB247_468
; %bb.465:                              ;   in Loop: Header=BB247_255 Depth=1
	v_and_b32_sdwa v35, v1, v24 dst_sel:DWORD dst_unused:UNUSED_PAD src0_sel:WORD_0 src1_sel:DWORD
	v_lshrrev_b32_e32 v37, 3, v38
	s_mov_b32 s25, exec_lo
	v_cmpx_gt_u32_e32 8, v38
; %bb.466:                              ;   in Loop: Header=BB247_255 Depth=1
	v_ffbh_u32_e32 v35, v35
	v_min_u32_e32 v35, 32, v35
	v_subrev_nc_u32_e32 v37, 28, v35
	v_lshlrev_b64 v[38:39], v37, v[1:2]
	v_sub_nc_u32_e32 v37, 29, v35
	v_and_b32_e32 v35, 7, v38
; %bb.467:                              ;   in Loop: Header=BB247_255 Depth=1
	s_or_b32 exec_lo, exec_lo, s25
	v_lshlrev_b32_sdwa v1, v25, v1 dst_sel:DWORD dst_unused:UNUSED_PAD src0_sel:DWORD src1_sel:WORD_0
	v_lshl_add_u32 v37, v37, 10, 0x2000
	v_lshlrev_b32_e32 v35, 23, v35
	v_and_or_b32 v1, 0x8000, v1, v37
	v_lshl_or_b32 v35, v1, 16, v35
.LBB247_468:                            ;   in Loop: Header=BB247_255 Depth=1
	s_or_b32 exec_lo, exec_lo, s24
.LBB247_469:                            ;   in Loop: Header=BB247_255 Depth=1
	s_or_b32 exec_lo, exec_lo, s23
.LBB247_470:                            ;   in Loop: Header=BB247_255 Depth=1
	s_or_b32 exec_lo, exec_lo, s22
	v_lshrrev_b32_e32 v1, 16, v5
	v_mov_b32_e32 v37, 0
	v_mov_b32_e32 v38, 0
	v_cmp_ne_u16_sdwa s1, v1, v2 src0_sel:BYTE_0 src1_sel:DWORD
	s_and_saveexec_b32 s22, s1
	s_cbranch_execz .LBB247_478
; %bb.471:                              ;   in Loop: Header=BB247_255 Depth=1
	v_cmp_ne_u16_sdwa s1, v1, v22 src0_sel:BYTE_0 src1_sel:DWORD
	v_mov_b32_e32 v38, 0x8000
	s_and_saveexec_b32 s23, s1
	s_cbranch_execz .LBB247_477
; %bb.472:                              ;   in Loop: Header=BB247_255 Depth=1
	v_bfe_u32 v40, v5, 16, 7
	v_mov_b32_e32 v38, 0x7c01
	s_mov_b32 s24, exec_lo
	v_cmpx_ne_u32_e32 0x7f, v40
	s_cbranch_execz .LBB247_476
; %bb.473:                              ;   in Loop: Header=BB247_255 Depth=1
	v_and_b32_e32 v38, 7, v1
	v_lshrrev_b32_e32 v39, 3, v40
	s_mov_b32 s25, exec_lo
	v_cmpx_gt_u32_e32 8, v40
; %bb.474:                              ;   in Loop: Header=BB247_255 Depth=1
	v_ffbh_u32_e32 v38, v38
	v_min_u32_e32 v40, 32, v38
	v_subrev_nc_u32_e32 v38, 28, v40
	v_lshlrev_b64 v[38:39], v38, v[1:2]
	v_sub_nc_u32_e32 v39, 29, v40
	v_and_b32_e32 v38, 7, v38
; %bb.475:                              ;   in Loop: Header=BB247_255 Depth=1
	s_or_b32 exec_lo, exec_lo, s25
	v_lshlrev_b32_e32 v1, 8, v1
	v_lshl_add_u32 v39, v39, 10, 0x2000
	v_lshlrev_b32_e32 v38, 7, v38
	v_and_b32_e32 v1, 0x8000, v1
	v_and_b32_e32 v39, 0xfc00, v39
	v_or3_b32 v38, v1, v39, v38
.LBB247_476:                            ;   in Loop: Header=BB247_255 Depth=1
	s_or_b32 exec_lo, exec_lo, s24
.LBB247_477:                            ;   in Loop: Header=BB247_255 Depth=1
	s_or_b32 exec_lo, exec_lo, s23
.LBB247_478:                            ;   in Loop: Header=BB247_255 Depth=1
	s_or_b32 exec_lo, exec_lo, s22
	s_mov_b32 s22, exec_lo
	v_cmpx_lt_u32_e32 0xffffff, v5
	s_cbranch_execz .LBB247_486
; %bb.479:                              ;   in Loop: Header=BB247_255 Depth=1
	v_lshrrev_b32_e32 v1, 24, v5
	v_bfrev_b32_e32 v37, 1
	s_mov_b32 s23, exec_lo
	v_cmpx_ne_u32_e32 0x80, v1
	s_cbranch_execz .LBB247_485
; %bb.480:                              ;   in Loop: Header=BB247_255 Depth=1
	v_and_b32_e32 v40, 0x7f, v1
	v_mov_b32_e32 v37, 0x7c010000
	s_mov_b32 s24, exec_lo
	v_cmpx_ne_u32_e32 0x7f, v40
	s_cbranch_execz .LBB247_484
; %bb.481:                              ;   in Loop: Header=BB247_255 Depth=1
	v_and_b32_e32 v37, 7, v1
	v_lshrrev_b32_e32 v39, 3, v40
	s_mov_b32 s25, exec_lo
	v_cmpx_gt_u32_e32 8, v40
; %bb.482:                              ;   in Loop: Header=BB247_255 Depth=1
	v_ffbh_u32_e32 v37, v37
	v_min_u32_e32 v37, 32, v37
	v_subrev_nc_u32_e32 v39, 28, v37
	v_lshlrev_b64 v[40:41], v39, v[1:2]
	v_sub_nc_u32_e32 v39, 29, v37
	v_and_b32_e32 v37, 7, v40
; %bb.483:                              ;   in Loop: Header=BB247_255 Depth=1
	s_or_b32 exec_lo, exec_lo, s25
	v_lshlrev_b32_e32 v1, 8, v1
	v_lshl_add_u32 v39, v39, 10, 0x2000
	v_lshlrev_b32_e32 v37, 23, v37
	v_and_or_b32 v1, 0x8000, v1, v39
	v_lshl_or_b32 v37, v1, 16, v37
.LBB247_484:                            ;   in Loop: Header=BB247_255 Depth=1
	s_or_b32 exec_lo, exec_lo, s24
.LBB247_485:                            ;   in Loop: Header=BB247_255 Depth=1
	s_or_b32 exec_lo, exec_lo, s23
.LBB247_486:                            ;   in Loop: Header=BB247_255 Depth=1
	s_or_b32 exec_lo, exec_lo, s22
	v_mov_b32_e32 v1, v6
	v_cmp_ne_u16_sdwa s1, v6, v2 src0_sel:BYTE_0 src1_sel:DWORD
	v_mov_b32_e32 v39, 0
	v_mov_b32_e32 v40, 0
	s_and_saveexec_b32 s22, s1
	s_cbranch_execz .LBB247_494
; %bb.487:                              ;   in Loop: Header=BB247_255 Depth=1
	v_cmp_ne_u16_sdwa s1, v6, v22 src0_sel:BYTE_0 src1_sel:DWORD
	v_mov_b32_e32 v40, 0x8000
	s_and_saveexec_b32 s23, s1
	s_cbranch_execz .LBB247_493
; %bb.488:                              ;   in Loop: Header=BB247_255 Depth=1
	v_and_b32_e32 v42, 0x7f, v6
	v_mov_b32_e32 v40, 0x7c01
	s_mov_b32 s24, exec_lo
	v_cmpx_ne_u32_e32 0x7f, v42
	s_cbranch_execz .LBB247_492
; %bb.489:                              ;   in Loop: Header=BB247_255 Depth=1
	v_and_b32_e32 v40, 7, v6
	v_lshrrev_b32_e32 v41, 3, v42
	s_mov_b32 s25, exec_lo
	v_cmpx_gt_u32_e32 8, v42
; %bb.490:                              ;   in Loop: Header=BB247_255 Depth=1
	v_ffbh_u32_e32 v40, v40
	v_min_u32_e32 v42, 32, v40
	v_subrev_nc_u32_e32 v40, 28, v42
	v_lshlrev_b64 v[40:41], v40, v[1:2]
	v_sub_nc_u32_e32 v41, 29, v42
	v_and_b32_e32 v40, 7, v40
; %bb.491:                              ;   in Loop: Header=BB247_255 Depth=1
	s_or_b32 exec_lo, exec_lo, s25
	v_lshlrev_b32_e32 v42, 8, v6
	v_lshl_add_u32 v41, v41, 10, 0x2000
	v_lshlrev_b32_e32 v40, 7, v40
	v_and_b32_e32 v42, 0x8000, v42
	v_and_b32_e32 v41, 0xfc00, v41
	v_or3_b32 v40, v42, v41, v40
.LBB247_492:                            ;   in Loop: Header=BB247_255 Depth=1
	s_or_b32 exec_lo, exec_lo, s24
.LBB247_493:                            ;   in Loop: Header=BB247_255 Depth=1
	s_or_b32 exec_lo, exec_lo, s23
.LBB247_494:                            ;   in Loop: Header=BB247_255 Depth=1
	s_or_b32 exec_lo, exec_lo, s22
	v_lshrrev_b16 v1, 8, v1
	v_mov_b32_e32 v41, 0
	s_mov_b32 s22, exec_lo
	v_cmpx_ne_u16_e32 0, v1
	s_cbranch_execz .LBB247_502
; %bb.495:                              ;   in Loop: Header=BB247_255 Depth=1
	v_bfrev_b32_e32 v41, 1
	s_mov_b32 s23, exec_lo
	v_cmpx_ne_u16_e32 0x80, v1
	s_cbranch_execz .LBB247_501
; %bb.496:                              ;   in Loop: Header=BB247_255 Depth=1
	v_and_b32_sdwa v43, v1, v23 dst_sel:DWORD dst_unused:UNUSED_PAD src0_sel:WORD_0 src1_sel:DWORD
	v_mov_b32_e32 v41, 0x7c010000
	s_mov_b32 s24, exec_lo
	v_cmpx_ne_u32_e32 0x7f, v43
	s_cbranch_execz .LBB247_500
; %bb.497:                              ;   in Loop: Header=BB247_255 Depth=1
	v_and_b32_sdwa v41, v1, v24 dst_sel:DWORD dst_unused:UNUSED_PAD src0_sel:WORD_0 src1_sel:DWORD
	v_lshrrev_b32_e32 v42, 3, v43
	s_mov_b32 s25, exec_lo
	v_cmpx_gt_u32_e32 8, v43
; %bb.498:                              ;   in Loop: Header=BB247_255 Depth=1
	v_ffbh_u32_e32 v41, v41
	v_min_u32_e32 v43, 32, v41
	v_subrev_nc_u32_e32 v41, 28, v43
	v_lshlrev_b64 v[41:42], v41, v[1:2]
	v_sub_nc_u32_e32 v42, 29, v43
	v_and_b32_e32 v41, 7, v41
; %bb.499:                              ;   in Loop: Header=BB247_255 Depth=1
	s_or_b32 exec_lo, exec_lo, s25
	v_lshlrev_b32_sdwa v1, v25, v1 dst_sel:DWORD dst_unused:UNUSED_PAD src0_sel:DWORD src1_sel:WORD_0
	v_lshl_add_u32 v42, v42, 10, 0x2000
	v_lshlrev_b32_e32 v41, 23, v41
	v_and_or_b32 v1, 0x8000, v1, v42
	v_lshl_or_b32 v41, v1, 16, v41
.LBB247_500:                            ;   in Loop: Header=BB247_255 Depth=1
	s_or_b32 exec_lo, exec_lo, s24
.LBB247_501:                            ;   in Loop: Header=BB247_255 Depth=1
	s_or_b32 exec_lo, exec_lo, s23
.LBB247_502:                            ;   in Loop: Header=BB247_255 Depth=1
	s_or_b32 exec_lo, exec_lo, s22
	v_lshrrev_b32_e32 v1, 16, v6
	v_cmp_ne_u16_sdwa s1, v1, v2 src0_sel:BYTE_0 src1_sel:DWORD
	s_and_saveexec_b32 s22, s1
	s_cbranch_execz .LBB247_510
; %bb.503:                              ;   in Loop: Header=BB247_255 Depth=1
	v_cmp_ne_u16_sdwa s1, v1, v22 src0_sel:BYTE_0 src1_sel:DWORD
	v_mov_b32_e32 v39, 0x8000
	s_and_saveexec_b32 s23, s1
	s_cbranch_execz .LBB247_509
; %bb.504:                              ;   in Loop: Header=BB247_255 Depth=1
	v_bfe_u32 v43, v6, 16, 7
	v_mov_b32_e32 v39, 0x7c01
	s_mov_b32 s24, exec_lo
	v_cmpx_ne_u32_e32 0x7f, v43
	s_cbranch_execz .LBB247_508
; %bb.505:                              ;   in Loop: Header=BB247_255 Depth=1
	v_and_b32_e32 v39, 7, v1
	v_lshrrev_b32_e32 v42, 3, v43
	s_mov_b32 s25, exec_lo
	v_cmpx_gt_u32_e32 8, v43
; %bb.506:                              ;   in Loop: Header=BB247_255 Depth=1
	v_ffbh_u32_e32 v39, v39
	v_min_u32_e32 v39, 32, v39
	v_subrev_nc_u32_e32 v42, 28, v39
	v_lshlrev_b64 v[43:44], v42, v[1:2]
	v_sub_nc_u32_e32 v42, 29, v39
	v_and_b32_e32 v39, 7, v43
; %bb.507:                              ;   in Loop: Header=BB247_255 Depth=1
	s_or_b32 exec_lo, exec_lo, s25
	v_lshlrev_b32_e32 v1, 8, v1
	v_lshl_add_u32 v42, v42, 10, 0x2000
	v_lshlrev_b32_e32 v39, 7, v39
	v_and_b32_e32 v1, 0x8000, v1
	v_and_b32_e32 v42, 0xfc00, v42
	v_or3_b32 v39, v1, v42, v39
.LBB247_508:                            ;   in Loop: Header=BB247_255 Depth=1
	s_or_b32 exec_lo, exec_lo, s24
.LBB247_509:                            ;   in Loop: Header=BB247_255 Depth=1
	s_or_b32 exec_lo, exec_lo, s23
.LBB247_510:                            ;   in Loop: Header=BB247_255 Depth=1
	s_or_b32 exec_lo, exec_lo, s22
	v_cmp_lt_u64_e64 s1, s[4:5], v[5:6]
	v_mov_b32_e32 v5, 0
	s_and_saveexec_b32 s22, s1
	s_cbranch_execz .LBB247_518
; %bb.511:                              ;   in Loop: Header=BB247_255 Depth=1
	v_lshrrev_b32_e32 v1, 24, v6
	v_bfrev_b32_e32 v5, 1
	s_mov_b32 s23, exec_lo
	v_cmpx_ne_u32_e32 0x80, v1
	s_cbranch_execz .LBB247_517
; %bb.512:                              ;   in Loop: Header=BB247_255 Depth=1
	v_and_b32_e32 v42, 0x7f, v1
	v_mov_b32_e32 v5, 0x7c010000
	s_mov_b32 s24, exec_lo
	v_cmpx_ne_u32_e32 0x7f, v42
	s_cbranch_execz .LBB247_516
; %bb.513:                              ;   in Loop: Header=BB247_255 Depth=1
	v_and_b32_e32 v5, 7, v1
	v_lshrrev_b32_e32 v6, 3, v42
	s_mov_b32 s25, exec_lo
	v_cmpx_gt_u32_e32 8, v42
; %bb.514:                              ;   in Loop: Header=BB247_255 Depth=1
	v_ffbh_u32_e32 v5, v5
	v_min_u32_e32 v42, 32, v5
	v_subrev_nc_u32_e32 v5, 28, v42
	v_lshlrev_b64 v[5:6], v5, v[1:2]
	v_sub_nc_u32_e32 v6, 29, v42
	v_and_b32_e32 v5, 7, v5
; %bb.515:                              ;   in Loop: Header=BB247_255 Depth=1
	s_or_b32 exec_lo, exec_lo, s25
	v_lshlrev_b32_e32 v1, 8, v1
	v_lshl_add_u32 v6, v6, 10, 0x2000
	v_lshlrev_b32_e32 v5, 23, v5
	v_and_or_b32 v1, 0x8000, v1, v6
	v_lshl_or_b32 v5, v1, 16, v5
.LBB247_516:                            ;   in Loop: Header=BB247_255 Depth=1
	s_or_b32 exec_lo, exec_lo, s24
.LBB247_517:                            ;   in Loop: Header=BB247_255 Depth=1
	s_or_b32 exec_lo, exec_lo, s23
.LBB247_518:                            ;   in Loop: Header=BB247_255 Depth=1
	s_or_b32 exec_lo, exec_lo, s22
	v_or_b32_e32 v1, v37, v38
	s_waitcnt vmcnt(0)
	v_fma_mixlo_f16 v6, v34, v37, 0 op_sel:[0,1,0] op_sel_hi:[0,1,0]
	v_or_b32_e32 v36, v35, v36
	v_fma_mixlo_f16 v35, v34, v35, 0 op_sel:[0,1,0] op_sel_hi:[0,1,0]
	v_or_b32_e32 v38, v41, v40
	v_or_b32_e32 v39, v5, v39
	v_fma_mixlo_f16 v40, v34, v1, 0 op_sel_hi:[0,1,0]
	v_lshlrev_b32_e32 v1, 16, v6
	v_lshlrev_b32_e32 v37, 16, v35
	v_fma_mixlo_f16 v6, v34, v36, 0 op_sel_hi:[0,1,0]
	v_fma_mixlo_f16 v35, v34, v41, 0 op_sel:[0,1,0] op_sel_hi:[0,1,0]
	v_fma_mixlo_f16 v38, v34, v38, 0 op_sel_hi:[0,1,0]
	v_fma_mixlo_f16 v5, v34, v5, 0 op_sel:[0,1,0] op_sel_hi:[0,1,0]
	v_fma_mixlo_f16 v34, v34, v39, 0 op_sel_hi:[0,1,0]
	v_and_b32_e32 v36, 0xffff, v40
	v_and_b32_e32 v42, 0xffff, v6
	v_lshlrev_b32_e32 v6, 16, v35
	v_and_b32_e32 v35, 0xffff, v38
	v_lshlrev_b32_e32 v5, 16, v5
	v_and_b32_e32 v34, 0xffff, v34
	v_or_b32_e32 v40, v1, v36
	v_or_b32_e32 v41, v37, v42
	;; [unrolled: 1-line block ×4, first 2 shown]
	s_and_saveexec_b32 s1, s0
	s_cbranch_execz .LBB247_253
; %bb.519:                              ;   in Loop: Header=BB247_255 Depth=1
	v_add_nc_u32_e32 v38, -6, v20
	v_cmp_gt_i32_e64 s0, s11, v27
	v_add_nc_u32_e32 v39, -5, v20
	v_add_nc_u32_e32 v40, -2, v20
	v_cndmask_b32_e64 v27, 0, v42, s0
	v_cmp_gt_i32_e64 s0, s11, v38
	v_add_nc_u32_e32 v38, -4, v20
	v_cndmask_b32_e64 v37, 0, v37, s0
	v_cmp_gt_i32_e64 s0, s11, v39
	v_add_nc_u32_e32 v39, -3, v20
	v_or_b32_e32 v41, v37, v27
	v_cndmask_b32_e64 v36, 0, v36, s0
	v_cmp_gt_i32_e64 s0, s11, v38
	v_add_nc_u32_e32 v38, -1, v20
	v_cndmask_b32_e64 v1, 0, v1, s0
	v_cmp_gt_i32_e64 s0, s11, v39
	v_cndmask_b32_e64 v35, 0, v35, s0
	v_cmp_gt_i32_e64 s0, s11, v40
	v_or_b32_e32 v40, v1, v36
	v_cndmask_b32_e64 v6, 0, v6, s0
	v_cmp_gt_i32_e64 s0, s11, v38
	v_or_b32_e32 v39, v6, v35
	v_cndmask_b32_e64 v34, 0, v34, s0
	v_cmp_gt_i32_e64 s0, s11, v20
	v_cndmask_b32_e64 v5, 0, v5, s0
	v_or_b32_e32 v38, v5, v34
	s_branch .LBB247_253
.LBB247_520:
	s_or_b32 exec_lo, exec_lo, s18
.LBB247_521:
	s_or_b32 exec_lo, exec_lo, s12
	s_movk_i32 s0, 0x1c0
	v_and_b32_e32 v1, 0x3c0, v0
	v_mad_u32_u24 v4, v11, s0, 0x100
	v_or_b32_e32 v3, 0x60, v0
	s_mov_b32 s0, exec_lo
	s_barrier
	buffer_gl0_inv
	v_cmpx_eq_u32_e32 64, v1
	s_cbranch_execz .LBB247_524
; %bb.522:
	v_add_nc_u32_e32 v1, 0xfffffc80, v4
	v_cmp_gt_u32_e32 vcc_lo, 0x70, v3
	v_lshl_add_u32 v2, v12, 2, v1
	ds_write2_b32 v2, v17, v16 offset1:32
	ds_write_b32 v2, v15 offset:256
	s_and_b32 exec_lo, exec_lo, vcc_lo
; %bb.523:
	v_lshl_add_u32 v1, v3, 2, v1
	ds_write_b32 v1, v14
.LBB247_524:
	s_or_b32 exec_lo, exec_lo, s0
	v_lshl_add_u32 v5, v12, 2, v4
	s_mov_b32 s0, exec_lo
	s_waitcnt lgkmcnt(0)
	s_barrier
	buffer_gl0_inv
	v_cmpx_gt_u32_e32 64, v0
	s_cbranch_execz .LBB247_528
; %bb.525:
	v_lshl_or_b32 v1, v0, 2, 0x80
	s_mov_b32 s1, exec_lo
	v_add_nc_u32_e32 v6, v4, v1
	ds_read2st64_b32 v[1:2], v5 offset1:1
	ds_read_b32 v6, v6
	v_cmpx_gt_u32_e32 0x70, v3
	s_cbranch_execz .LBB247_527
; %bb.526:
	v_lshl_add_u32 v7, v3, 2, v4
	ds_read_b32 v7, v7
	s_waitcnt lgkmcnt(0)
	v_add_f32_e32 v14, v14, v7
.LBB247_527:
	s_or_b32 exec_lo, exec_lo, s1
	s_waitcnt lgkmcnt(1)
	v_add_f32_e32 v17, v17, v1
	s_waitcnt lgkmcnt(0)
	v_add_f32_e32 v16, v16, v6
	v_add_f32_e32 v15, v15, v2
.LBB247_528:
	s_or_b32 exec_lo, exec_lo, s0
	v_and_b32_e32 v1, 0x3e0, v0
	s_mov_b32 s0, exec_lo
	s_barrier
	buffer_gl0_inv
	v_cmpx_eq_u32_e32 32, v1
	s_cbranch_execz .LBB247_531
; %bb.529:
	v_lshl_add_u32 v1, v12, 2, 0x100
	v_cmp_gt_u32_e32 vcc_lo, 0x70, v3
	ds_write_b32 v1, v17
	ds_write_b32 v13, v16
	ds_write_b32 v1, v15 offset:256
	s_and_b32 exec_lo, exec_lo, vcc_lo
; %bb.530:
	v_lshl_add_u32 v1, v3, 2, 0x100
	ds_write_b32 v1, v14
.LBB247_531:
	s_or_b32 exec_lo, exec_lo, s0
	v_cmp_gt_u32_e32 vcc_lo, 32, v0
	s_waitcnt lgkmcnt(0)
	s_barrier
	buffer_gl0_inv
	s_and_saveexec_b32 s1, vcc_lo
	s_cbranch_execz .LBB247_535
; %bb.532:
	v_lshl_add_u32 v6, v0, 2, v4
	s_mov_b32 s2, exec_lo
	ds_read_b32 v4, v5
	ds_read2_b32 v[1:2], v6 offset0:32 offset1:64
	v_cmpx_gt_u32_e32 0x70, v3
	s_cbranch_execz .LBB247_534
; %bb.533:
	ds_read_b32 v5, v6 offset:384
	s_waitcnt lgkmcnt(0)
	v_add_f32_e32 v14, v14, v5
.LBB247_534:
	s_or_b32 exec_lo, exec_lo, s2
	s_waitcnt lgkmcnt(1)
	v_add_f32_e32 v17, v17, v4
	s_waitcnt lgkmcnt(0)
	v_add_f32_e32 v16, v16, v1
	v_add_f32_e32 v15, v15, v2
.LBB247_535:
	s_or_b32 exec_lo, exec_lo, s1
	s_barrier
	buffer_gl0_inv
	s_and_saveexec_b32 s0, vcc_lo
	s_cbranch_execz .LBB247_538
; %bb.536:
	s_mul_i32 s0, s10, s7
	s_mul_i32 s2, s7, s6
	;; [unrolled: 1-line block ×3, first 2 shown]
	v_lshlrev_b32_e32 v0, 1, v0
	s_mulk_i32 s0, 0x70
	v_cmp_gt_u32_e32 vcc_lo, 0x70, v3
	s_ashr_i32 s1, s0, 31
	;;#ASMSTART
	v_cvt_f16_f32 v1, v17;

	;;#ASMEND
	s_lshl_b64 s[0:1], s[0:1], 1
	s_add_u32 s4, s20, s0
	s_addc_u32 s5, s21, s1
	s_ashr_i32 s3, s2, 31
	s_lshl_b64 s[0:1], s[2:3], 1
	s_mul_i32 s2, s8, 0x70
	s_add_u32 s4, s4, s0
	s_addc_u32 s5, s5, s1
	s_ashr_i32 s3, s2, 31
	s_lshl_b64 s[0:1], s[2:3], 1
	s_add_u32 s0, s4, s0
	s_addc_u32 s1, s5, s1
	global_store_short v0, v1, s[0:1]
	;;#ASMSTART
	v_cvt_f16_f32 v1, v16;

	;;#ASMEND
	global_store_short v0, v1, s[0:1] offset:64
	;;#ASMSTART
	v_cvt_f16_f32 v1, v15;

	;;#ASMEND
	global_store_short v0, v1, s[0:1] offset:128
	s_and_b32 exec_lo, exec_lo, vcc_lo
	s_cbranch_execz .LBB247_538
; %bb.537:
	v_add_co_u32 v0, s0, s0, v0
	v_add_co_ci_u32_e64 v1, null, s1, 0, s0
	;;#ASMSTART
	v_cvt_f16_f32 v2, v14;

	;;#ASMEND
	global_store_short v[0:1], v2, off offset:192
.LBB247_538:
	s_endpgm
	.section	.rodata,"a",@progbits
	.p2align	6, 0x0
	.amdhsa_kernel _ZN4vllm25paged_attention_v1_kernelIthLi112ELi8ELi128ELNS_18Fp8KVCacheDataTypeE1ELb0EEEvPT_PKS2_PKT0_S8_ifPKiSA_iPKfiiiSC_SC_iiiii
		.amdhsa_group_segment_fixed_size 256
		.amdhsa_private_segment_fixed_size 0
		.amdhsa_kernarg_size 384
		.amdhsa_user_sgpr_count 6
		.amdhsa_user_sgpr_private_segment_buffer 1
		.amdhsa_user_sgpr_dispatch_ptr 0
		.amdhsa_user_sgpr_queue_ptr 0
		.amdhsa_user_sgpr_kernarg_segment_ptr 1
		.amdhsa_user_sgpr_dispatch_id 0
		.amdhsa_user_sgpr_flat_scratch_init 0
		.amdhsa_user_sgpr_private_segment_size 0
		.amdhsa_wavefront_size32 1
		.amdhsa_uses_dynamic_stack 0
		.amdhsa_system_sgpr_private_segment_wavefront_offset 0
		.amdhsa_system_sgpr_workgroup_id_x 1
		.amdhsa_system_sgpr_workgroup_id_y 1
		.amdhsa_system_sgpr_workgroup_id_z 1
		.amdhsa_system_sgpr_workgroup_info 0
		.amdhsa_system_vgpr_workitem_id 0
		.amdhsa_next_free_vgpr 72
		.amdhsa_next_free_sgpr 35
		.amdhsa_reserve_vcc 1
		.amdhsa_reserve_flat_scratch 0
		.amdhsa_float_round_mode_32 0
		.amdhsa_float_round_mode_16_64 0
		.amdhsa_float_denorm_mode_32 3
		.amdhsa_float_denorm_mode_16_64 3
		.amdhsa_dx10_clamp 1
		.amdhsa_ieee_mode 1
		.amdhsa_fp16_overflow 0
		.amdhsa_workgroup_processor_mode 1
		.amdhsa_memory_ordered 1
		.amdhsa_forward_progress 1
		.amdhsa_shared_vgpr_count 0
		.amdhsa_exception_fp_ieee_invalid_op 0
		.amdhsa_exception_fp_denorm_src 0
		.amdhsa_exception_fp_ieee_div_zero 0
		.amdhsa_exception_fp_ieee_overflow 0
		.amdhsa_exception_fp_ieee_underflow 0
		.amdhsa_exception_fp_ieee_inexact 0
		.amdhsa_exception_int_div_zero 0
	.end_amdhsa_kernel
	.section	.text._ZN4vllm25paged_attention_v1_kernelIthLi112ELi8ELi128ELNS_18Fp8KVCacheDataTypeE1ELb0EEEvPT_PKS2_PKT0_S8_ifPKiSA_iPKfiiiSC_SC_iiiii,"axG",@progbits,_ZN4vllm25paged_attention_v1_kernelIthLi112ELi8ELi128ELNS_18Fp8KVCacheDataTypeE1ELb0EEEvPT_PKS2_PKT0_S8_ifPKiSA_iPKfiiiSC_SC_iiiii,comdat
.Lfunc_end247:
	.size	_ZN4vllm25paged_attention_v1_kernelIthLi112ELi8ELi128ELNS_18Fp8KVCacheDataTypeE1ELb0EEEvPT_PKS2_PKT0_S8_ifPKiSA_iPKfiiiSC_SC_iiiii, .Lfunc_end247-_ZN4vllm25paged_attention_v1_kernelIthLi112ELi8ELi128ELNS_18Fp8KVCacheDataTypeE1ELb0EEEvPT_PKS2_PKT0_S8_ifPKiSA_iPKfiiiSC_SC_iiiii
                                        ; -- End function
	.set _ZN4vllm25paged_attention_v1_kernelIthLi112ELi8ELi128ELNS_18Fp8KVCacheDataTypeE1ELb0EEEvPT_PKS2_PKT0_S8_ifPKiSA_iPKfiiiSC_SC_iiiii.num_vgpr, 72
	.set _ZN4vllm25paged_attention_v1_kernelIthLi112ELi8ELi128ELNS_18Fp8KVCacheDataTypeE1ELb0EEEvPT_PKS2_PKT0_S8_ifPKiSA_iPKfiiiSC_SC_iiiii.num_agpr, 0
	.set _ZN4vllm25paged_attention_v1_kernelIthLi112ELi8ELi128ELNS_18Fp8KVCacheDataTypeE1ELb0EEEvPT_PKS2_PKT0_S8_ifPKiSA_iPKfiiiSC_SC_iiiii.numbered_sgpr, 35
	.set _ZN4vllm25paged_attention_v1_kernelIthLi112ELi8ELi128ELNS_18Fp8KVCacheDataTypeE1ELb0EEEvPT_PKS2_PKT0_S8_ifPKiSA_iPKfiiiSC_SC_iiiii.num_named_barrier, 0
	.set _ZN4vllm25paged_attention_v1_kernelIthLi112ELi8ELi128ELNS_18Fp8KVCacheDataTypeE1ELb0EEEvPT_PKS2_PKT0_S8_ifPKiSA_iPKfiiiSC_SC_iiiii.private_seg_size, 0
	.set _ZN4vllm25paged_attention_v1_kernelIthLi112ELi8ELi128ELNS_18Fp8KVCacheDataTypeE1ELb0EEEvPT_PKS2_PKT0_S8_ifPKiSA_iPKfiiiSC_SC_iiiii.uses_vcc, 1
	.set _ZN4vllm25paged_attention_v1_kernelIthLi112ELi8ELi128ELNS_18Fp8KVCacheDataTypeE1ELb0EEEvPT_PKS2_PKT0_S8_ifPKiSA_iPKfiiiSC_SC_iiiii.uses_flat_scratch, 0
	.set _ZN4vllm25paged_attention_v1_kernelIthLi112ELi8ELi128ELNS_18Fp8KVCacheDataTypeE1ELb0EEEvPT_PKS2_PKT0_S8_ifPKiSA_iPKfiiiSC_SC_iiiii.has_dyn_sized_stack, 0
	.set _ZN4vllm25paged_attention_v1_kernelIthLi112ELi8ELi128ELNS_18Fp8KVCacheDataTypeE1ELb0EEEvPT_PKS2_PKT0_S8_ifPKiSA_iPKfiiiSC_SC_iiiii.has_recursion, 0
	.set _ZN4vllm25paged_attention_v1_kernelIthLi112ELi8ELi128ELNS_18Fp8KVCacheDataTypeE1ELb0EEEvPT_PKS2_PKT0_S8_ifPKiSA_iPKfiiiSC_SC_iiiii.has_indirect_call, 0
	.section	.AMDGPU.csdata,"",@progbits
; Kernel info:
; codeLenInByte = 18704
; TotalNumSgprs: 37
; NumVgprs: 72
; ScratchSize: 0
; MemoryBound: 0
; FloatMode: 240
; IeeeMode: 1
; LDSByteSize: 256 bytes/workgroup (compile time only)
; SGPRBlocks: 0
; VGPRBlocks: 8
; NumSGPRsForWavesPerEU: 37
; NumVGPRsForWavesPerEU: 72
; Occupancy: 12
; WaveLimiterHint : 1
; COMPUTE_PGM_RSRC2:SCRATCH_EN: 0
; COMPUTE_PGM_RSRC2:USER_SGPR: 6
; COMPUTE_PGM_RSRC2:TRAP_HANDLER: 0
; COMPUTE_PGM_RSRC2:TGID_X_EN: 1
; COMPUTE_PGM_RSRC2:TGID_Y_EN: 1
; COMPUTE_PGM_RSRC2:TGID_Z_EN: 1
; COMPUTE_PGM_RSRC2:TIDIG_COMP_CNT: 0
	.section	.text._ZN4vllm25paged_attention_v1_kernelIthLi120ELi8ELi128ELNS_18Fp8KVCacheDataTypeE1ELb0EEEvPT_PKS2_PKT0_S8_ifPKiSA_iPKfiiiSC_SC_iiiii,"axG",@progbits,_ZN4vllm25paged_attention_v1_kernelIthLi120ELi8ELi128ELNS_18Fp8KVCacheDataTypeE1ELb0EEEvPT_PKS2_PKT0_S8_ifPKiSA_iPKfiiiSC_SC_iiiii,comdat
	.protected	_ZN4vllm25paged_attention_v1_kernelIthLi120ELi8ELi128ELNS_18Fp8KVCacheDataTypeE1ELb0EEEvPT_PKS2_PKT0_S8_ifPKiSA_iPKfiiiSC_SC_iiiii ; -- Begin function _ZN4vllm25paged_attention_v1_kernelIthLi120ELi8ELi128ELNS_18Fp8KVCacheDataTypeE1ELb0EEEvPT_PKS2_PKT0_S8_ifPKiSA_iPKfiiiSC_SC_iiiii
	.globl	_ZN4vllm25paged_attention_v1_kernelIthLi120ELi8ELi128ELNS_18Fp8KVCacheDataTypeE1ELb0EEEvPT_PKS2_PKT0_S8_ifPKiSA_iPKfiiiSC_SC_iiiii
	.p2align	8
	.type	_ZN4vllm25paged_attention_v1_kernelIthLi120ELi8ELi128ELNS_18Fp8KVCacheDataTypeE1ELb0EEEvPT_PKS2_PKT0_S8_ifPKiSA_iPKfiiiSC_SC_iiiii,@function
_ZN4vllm25paged_attention_v1_kernelIthLi120ELi8ELi128ELNS_18Fp8KVCacheDataTypeE1ELb0EEEvPT_PKS2_PKT0_S8_ifPKiSA_iPKfiiiSC_SC_iiiii: ; @_ZN4vllm25paged_attention_v1_kernelIthLi120ELi8ELi128ELNS_18Fp8KVCacheDataTypeE1ELb0EEEvPT_PKS2_PKT0_S8_ifPKiSA_iPKfiiiSC_SC_iiiii
; %bb.0:
	s_clause 0x2
	s_load_dword s9, s[4:5], 0x80
	s_load_dwordx2 s[0:1], s[4:5], 0x30
	s_load_dwordx2 s[28:29], s[4:5], 0x20
	s_mov_b32 s10, s7
	s_ashr_i32 s11, s7, 31
	s_lshl_b64 s[2:3], s[10:11], 2
	s_waitcnt lgkmcnt(0)
	s_add_u32 s0, s0, s2
	s_addc_u32 s1, s1, s3
	s_abs_i32 s2, s28
	s_abs_i32 s11, s9
	v_cvt_f32_u32_e32 v1, s2
	s_sub_i32 s7, 0, s2
	v_rcp_iflag_f32_e32 v1, v1
	v_mul_f32_e32 v1, 0x4f7ffffe, v1
	v_cvt_u32_f32_e32 v1, v1
	v_readfirstlane_b32 s3, v1
	s_mul_i32 s7, s7, s3
	s_mul_hi_u32 s7, s3, s7
	s_add_i32 s3, s3, s7
	s_xor_b32 s7, s9, s28
	s_mul_hi_u32 s3, s11, s3
	s_ashr_i32 s7, s7, 31
	s_mul_i32 s12, s3, s2
	s_mov_b32 s28, 0
	s_sub_i32 s11, s11, s12
	s_add_i32 s12, s3, 1
	s_sub_i32 s13, s11, s2
	s_cmp_ge_u32 s11, s2
	s_cselect_b32 s3, s12, s3
	s_cselect_b32 s11, s13, s11
	s_add_i32 s12, s3, 1
	s_cmp_ge_u32 s11, s2
	s_cselect_b32 s2, s12, s3
	s_abs_i32 s13, s6
	s_xor_b32 s2, s2, s7
	s_sub_i32 s15, s2, s7
	s_load_dwordx2 s[2:3], s[4:5], 0x40
	s_abs_i32 s12, s15
	v_cvt_f32_u32_e32 v1, s12
	s_sub_i32 s11, 0, s12
	v_rcp_iflag_f32_e32 v1, v1
	v_mul_f32_e32 v1, 0x4f7ffffe, v1
	v_cvt_u32_f32_e32 v1, v1
	v_readfirstlane_b32 s7, v1
	s_mul_i32 s11, s11, s7
	s_mul_hi_u32 s11, s7, s11
	s_add_i32 s7, s7, s11
	s_waitcnt lgkmcnt(0)
	s_cmp_eq_u64 s[2:3], 0
	s_mul_hi_u32 s14, s13, s7
	s_cbranch_scc1 .LBB248_2
; %bb.1:
	s_ashr_i32 s7, s6, 31
	s_lshl_b64 s[16:17], s[6:7], 2
	s_add_u32 s2, s2, s16
	s_addc_u32 s3, s3, s17
	s_load_dword s28, s[2:3], 0x0
.LBB248_2:
	s_load_dword s11, s[0:1], 0x0
	s_load_dwordx4 s[16:19], s[4:5], 0x48
	v_and_b32_e32 v1, 3, v0
	s_ashr_i32 s0, s6, 31
	s_ashr_i32 s1, s15, 31
	s_mulk_i32 s6, 0x78
	s_mov_b32 s2, exec_lo
	v_cmpx_gt_u32_e32 60, v0
	s_cbranch_execz .LBB248_4
; %bb.3:
	s_load_dwordx2 s[20:21], s[4:5], 0x8
	s_waitcnt lgkmcnt(0)
	s_mul_i32 s22, s16, s10
	v_lshlrev_b32_e32 v2, 2, v0
	s_ashr_i32 s23, s22, 31
	v_and_b32_e32 v3, 0x3fc, v0
	s_lshl_b64 s[22:23], s[22:23], 1
	v_mad_u32_u24 v3, v1, 60, v3
	s_add_u32 s3, s20, s22
	s_addc_u32 s15, s21, s23
	s_ashr_i32 s7, s6, 31
	s_lshl_b64 s[20:21], s[6:7], 1
	s_add_u32 s20, s3, s20
	s_addc_u32 s21, s15, s21
	global_load_dword v2, v2, s[20:21]
	s_waitcnt vmcnt(0)
	ds_write_b32 v3, v2
.LBB248_4:
	s_or_b32 exec_lo, exec_lo, s2
	s_waitcnt lgkmcnt(0)
	s_add_i32 s2, s11, 7
	s_clause 0x1
	s_load_dwordx2 s[22:23], s[4:5], 0x28
	s_load_dword s7, s[4:5], 0x38
	s_ashr_i32 s3, s2, 31
	s_xor_b32 s0, s0, s1
	s_lshr_b32 s3, s3, 29
	s_mul_i32 s1, s14, s12
	s_add_i32 s2, s2, s3
	s_sub_i32 s1, s13, s1
	s_ashr_i32 s16, s2, 3
	s_add_i32 s2, s14, 1
	s_sub_i32 s3, s1, s12
	s_cmp_ge_u32 s1, s12
	v_lshrrev_b32_e32 v11, 5, v0
	s_cselect_b32 s2, s2, s14
	s_cselect_b32 s1, s3, s1
	s_add_i32 s3, s2, 1
	s_cmp_ge_u32 s1, s12
	v_mbcnt_lo_u32_b32 v10, -1, 0
	s_cselect_b32 s1, s3, s2
	s_mov_b32 s2, exec_lo
	s_xor_b32 s1, s1, s0
	s_waitcnt lgkmcnt(0)
	s_mul_i32 s24, s7, s10
	s_sub_i32 s1, s1, s0
	v_cmp_gt_i32_e64 s0, s16, v11
	s_ashr_i32 s25, s24, 31
	s_barrier
	buffer_gl0_inv
                                        ; implicit-def: $vgpr2
                                        ; implicit-def: $vgpr13
	v_cmpx_le_i32_e64 s16, v11
	s_xor_b32 s2, exec_lo, s2
; %bb.5:
	v_mov_b32_e32 v2, 0
	v_mbcnt_lo_u32_b32 v10, -1, 0
	v_mov_b32_e32 v13, 32
                                        ; implicit-def: $vgpr1
; %bb.6:
	s_or_saveexec_b32 s19, s2
	s_clause 0x3
	s_load_dwordx2 s[20:21], s[4:5], 0x0
	s_load_dwordx2 s[26:27], s[4:5], 0x18
	s_load_dword s7, s[4:5], 0x88
	s_load_dwordx4 s[12:15], s[4:5], 0x58
	v_mov_b32_e32 v12, 0xff7fffff
	v_lshrrev_b32_e32 v9, 3, v0
	s_mul_i32 s18, s1, s18
	s_xor_b32 exec_lo, exec_lo, s19
	s_cbranch_execz .LBB248_252
; %bb.7:
	s_load_dwordx2 s[2:3], s[4:5], 0x10
	v_bfe_u32 v3, v0, 2, 3
	v_lshlrev_b32_e32 v5, 1, v1
	v_mul_u32_u24_e32 v14, 60, v1
	v_cmp_eq_u32_e32 vcc_lo, 0, v1
	s_ashr_i32 s4, s18, 31
	v_lshlrev_b32_e32 v4, 2, v3
	v_and_b32_e32 v6, 0x7c, v9
	v_lshl_or_b32 v15, v11, 3, v3
	v_mov_b32_e32 v2, 0
	v_cmp_neq_f32_e64 s1, s28, 0
	v_lshl_or_b32 v1, v11, 5, v4
	v_lshlrev_b32_e32 v4, 4, v3
	v_mov_b32_e32 v12, 0xff7fffff
	v_mov_b32_e32 v13, 32
	;; [unrolled: 1-line block ×3, first 2 shown]
	v_add_nc_u32_e32 v16, 0x110, v1
	v_mov_b32_e32 v18, 0x7f
	v_mov_b32_e32 v19, 7
	;; [unrolled: 1-line block ×3, first 2 shown]
	s_waitcnt lgkmcnt(0)
	s_add_u32 s5, s2, s18
	s_addc_u32 s30, s3, s4
	v_add_co_u32 v1, s5, s5, v4
	v_add_co_ci_u32_e64 v4, null, s30, 0, s5
	s_lshl_b64 s[2:3], s[24:25], 2
	s_sub_i32 s4, 1, s11
	s_add_u32 s5, s22, s2
	v_add_co_u32 v3, s2, v1, v5
	s_addc_u32 s3, s23, s3
	v_add_co_ci_u32_e64 v4, null, 0, v4, s2
	v_add_co_u32 v5, s2, s5, v6
	v_add_co_ci_u32_e64 v6, null, s3, 0, s2
	v_mov_b32_e32 v21, v11
	s_mov_b32 s30, s17
	s_mov_b32 s5, 0
	s_branch .LBB248_9
.LBB248_8:                              ;   in Loop: Header=BB248_9 Depth=1
	s_or_b32 exec_lo, exec_lo, s3
	v_add_nc_u32_e32 v21, 4, v21
	v_add_co_u32 v5, s3, v5, 16
	v_add_nc_u32_e32 v15, 32, v15
	v_add_nc_u32_e32 v16, 0x80, v16
	v_cmp_le_i32_e64 s2, s16, v21
	v_add_co_ci_u32_e64 v6, null, 0, v6, s3
	s_or_b32 s5, s2, s5
	s_andn2_b32 exec_lo, exec_lo, s5
	s_cbranch_execz .LBB248_251
.LBB248_9:                              ; =>This Inner Loop Header: Depth=1
	global_load_dword v1, v[5:6], off
	s_waitcnt vmcnt(0) lgkmcnt(0)
	v_mad_i64_i32 v[7:8], null, v1, s30, v[3:4]
	global_load_ushort v23, v[7:8], off
	global_load_dword v22, v2, s[12:13]
	s_waitcnt vmcnt(1)
	v_and_b32_e32 v1, 0xffff, v23
	v_cmp_ne_u16_sdwa s2, v23, v2 src0_sel:BYTE_0 src1_sel:DWORD
	v_mov_b32_e32 v23, 0
	s_and_saveexec_b32 s3, s2
	s_cbranch_execz .LBB248_17
; %bb.10:                               ;   in Loop: Header=BB248_9 Depth=1
	v_cmp_ne_u16_sdwa s2, v1, v17 src0_sel:BYTE_0 src1_sel:DWORD
	v_mov_b32_e32 v23, 0x8000
	s_and_saveexec_b32 s31, s2
	s_cbranch_execz .LBB248_16
; %bb.11:                               ;   in Loop: Header=BB248_9 Depth=1
	v_and_b32_e32 v25, 0x7f, v1
	v_mov_b32_e32 v23, 0x7c01
	s_mov_b32 s33, exec_lo
	v_cmpx_ne_u32_e32 0x7f, v25
	s_cbranch_execz .LBB248_15
; %bb.12:                               ;   in Loop: Header=BB248_9 Depth=1
	v_and_b32_e32 v23, 7, v1
	v_lshrrev_b32_e32 v24, 3, v25
	s_mov_b32 s34, exec_lo
	v_cmpx_gt_u32_e32 8, v25
; %bb.13:                               ;   in Loop: Header=BB248_9 Depth=1
	v_ffbh_u32_e32 v23, v23
	v_min_u32_e32 v25, 32, v23
	v_subrev_nc_u32_e32 v23, 28, v25
	v_lshlrev_b64 v[23:24], v23, v[1:2]
	v_sub_nc_u32_e32 v24, 29, v25
	v_and_b32_e32 v23, 7, v23
; %bb.14:                               ;   in Loop: Header=BB248_9 Depth=1
	s_or_b32 exec_lo, exec_lo, s34
	v_lshlrev_b32_e32 v25, 8, v1
	v_lshl_add_u32 v24, v24, 10, 0x2000
	v_lshlrev_b32_e32 v23, 7, v23
	v_and_b32_e32 v25, 0x8000, v25
	v_and_b32_e32 v24, 0xfc00, v24
	v_or3_b32 v23, v25, v24, v23
.LBB248_15:                             ;   in Loop: Header=BB248_9 Depth=1
	s_or_b32 exec_lo, exec_lo, s33
.LBB248_16:                             ;   in Loop: Header=BB248_9 Depth=1
	s_or_b32 exec_lo, exec_lo, s31
.LBB248_17:                             ;   in Loop: Header=BB248_9 Depth=1
	s_or_b32 exec_lo, exec_lo, s3
	v_lshrrev_b16 v1, 8, v1
	v_mov_b32_e32 v24, 0
	s_mov_b32 s3, exec_lo
	v_cmpx_ne_u16_e32 0, v1
	s_cbranch_execz .LBB248_25
; %bb.18:                               ;   in Loop: Header=BB248_9 Depth=1
	v_bfrev_b32_e32 v24, 1
	s_mov_b32 s31, exec_lo
	v_cmpx_ne_u16_e32 0x80, v1
	s_cbranch_execz .LBB248_24
; %bb.19:                               ;   in Loop: Header=BB248_9 Depth=1
	v_and_b32_sdwa v26, v1, v18 dst_sel:DWORD dst_unused:UNUSED_PAD src0_sel:WORD_0 src1_sel:DWORD
	v_mov_b32_e32 v24, 0x7c010000
	s_mov_b32 s33, exec_lo
	v_cmpx_ne_u32_e32 0x7f, v26
	s_cbranch_execz .LBB248_23
; %bb.20:                               ;   in Loop: Header=BB248_9 Depth=1
	v_and_b32_sdwa v24, v1, v19 dst_sel:DWORD dst_unused:UNUSED_PAD src0_sel:WORD_0 src1_sel:DWORD
	v_lshrrev_b32_e32 v25, 3, v26
	s_mov_b32 s34, exec_lo
	v_cmpx_gt_u32_e32 8, v26
; %bb.21:                               ;   in Loop: Header=BB248_9 Depth=1
	v_ffbh_u32_e32 v24, v24
	v_min_u32_e32 v26, 32, v24
	v_subrev_nc_u32_e32 v24, 28, v26
	v_lshlrev_b64 v[24:25], v24, v[1:2]
	v_sub_nc_u32_e32 v25, 29, v26
	v_and_b32_e32 v24, 7, v24
; %bb.22:                               ;   in Loop: Header=BB248_9 Depth=1
	s_or_b32 exec_lo, exec_lo, s34
	v_lshlrev_b32_sdwa v1, v20, v1 dst_sel:DWORD dst_unused:UNUSED_PAD src0_sel:DWORD src1_sel:WORD_0
	v_lshl_add_u32 v25, v25, 10, 0x2000
	v_lshlrev_b32_e32 v24, 23, v24
	v_and_or_b32 v1, 0x8000, v1, v25
	v_lshl_or_b32 v24, v1, 16, v24
.LBB248_23:                             ;   in Loop: Header=BB248_9 Depth=1
	s_or_b32 exec_lo, exec_lo, s33
.LBB248_24:                             ;   in Loop: Header=BB248_9 Depth=1
	s_or_b32 exec_lo, exec_lo, s31
.LBB248_25:                             ;   in Loop: Header=BB248_9 Depth=1
	s_or_b32 exec_lo, exec_lo, s3
	global_load_ushort v26, v[7:8], off offset:8
	v_mov_b32_e32 v25, 0
	s_waitcnt vmcnt(0)
	v_and_b32_e32 v1, 0xffff, v26
	v_cmp_ne_u16_sdwa s2, v26, v2 src0_sel:BYTE_0 src1_sel:DWORD
	v_mov_b32_e32 v26, 0
	s_and_saveexec_b32 s3, s2
	s_cbranch_execz .LBB248_33
; %bb.26:                               ;   in Loop: Header=BB248_9 Depth=1
	v_cmp_ne_u16_sdwa s2, v1, v17 src0_sel:BYTE_0 src1_sel:DWORD
	v_mov_b32_e32 v26, 0x8000
	s_and_saveexec_b32 s31, s2
	s_cbranch_execz .LBB248_32
; %bb.27:                               ;   in Loop: Header=BB248_9 Depth=1
	v_and_b32_e32 v28, 0x7f, v1
	v_mov_b32_e32 v26, 0x7c01
	s_mov_b32 s33, exec_lo
	v_cmpx_ne_u32_e32 0x7f, v28
	s_cbranch_execz .LBB248_31
; %bb.28:                               ;   in Loop: Header=BB248_9 Depth=1
	v_and_b32_e32 v26, 7, v1
	v_lshrrev_b32_e32 v27, 3, v28
	s_mov_b32 s34, exec_lo
	v_cmpx_gt_u32_e32 8, v28
; %bb.29:                               ;   in Loop: Header=BB248_9 Depth=1
	v_ffbh_u32_e32 v26, v26
	v_min_u32_e32 v28, 32, v26
	v_subrev_nc_u32_e32 v26, 28, v28
	v_lshlrev_b64 v[26:27], v26, v[1:2]
	v_sub_nc_u32_e32 v27, 29, v28
	v_and_b32_e32 v26, 7, v26
; %bb.30:                               ;   in Loop: Header=BB248_9 Depth=1
	s_or_b32 exec_lo, exec_lo, s34
	v_lshlrev_b32_e32 v28, 8, v1
	v_lshl_add_u32 v27, v27, 10, 0x2000
	v_lshlrev_b32_e32 v26, 7, v26
	v_and_b32_e32 v28, 0x8000, v28
	v_and_b32_e32 v27, 0xfc00, v27
	v_or3_b32 v26, v28, v27, v26
.LBB248_31:                             ;   in Loop: Header=BB248_9 Depth=1
	s_or_b32 exec_lo, exec_lo, s33
.LBB248_32:                             ;   in Loop: Header=BB248_9 Depth=1
	s_or_b32 exec_lo, exec_lo, s31
.LBB248_33:                             ;   in Loop: Header=BB248_9 Depth=1
	s_or_b32 exec_lo, exec_lo, s3
	v_lshrrev_b16 v1, 8, v1
	s_mov_b32 s3, exec_lo
	v_cmpx_ne_u16_e32 0, v1
	s_cbranch_execz .LBB248_41
; %bb.34:                               ;   in Loop: Header=BB248_9 Depth=1
	v_bfrev_b32_e32 v25, 1
	s_mov_b32 s31, exec_lo
	v_cmpx_ne_u16_e32 0x80, v1
	s_cbranch_execz .LBB248_40
; %bb.35:                               ;   in Loop: Header=BB248_9 Depth=1
	v_and_b32_sdwa v28, v1, v18 dst_sel:DWORD dst_unused:UNUSED_PAD src0_sel:WORD_0 src1_sel:DWORD
	v_mov_b32_e32 v25, 0x7c010000
	s_mov_b32 s33, exec_lo
	v_cmpx_ne_u32_e32 0x7f, v28
	s_cbranch_execz .LBB248_39
; %bb.36:                               ;   in Loop: Header=BB248_9 Depth=1
	v_and_b32_sdwa v25, v1, v19 dst_sel:DWORD dst_unused:UNUSED_PAD src0_sel:WORD_0 src1_sel:DWORD
	v_lshrrev_b32_e32 v27, 3, v28
	s_mov_b32 s34, exec_lo
	v_cmpx_gt_u32_e32 8, v28
; %bb.37:                               ;   in Loop: Header=BB248_9 Depth=1
	v_ffbh_u32_e32 v25, v25
	v_min_u32_e32 v25, 32, v25
	v_subrev_nc_u32_e32 v27, 28, v25
	v_lshlrev_b64 v[28:29], v27, v[1:2]
	v_sub_nc_u32_e32 v27, 29, v25
	v_and_b32_e32 v25, 7, v28
; %bb.38:                               ;   in Loop: Header=BB248_9 Depth=1
	s_or_b32 exec_lo, exec_lo, s34
	v_lshlrev_b32_sdwa v1, v20, v1 dst_sel:DWORD dst_unused:UNUSED_PAD src0_sel:DWORD src1_sel:WORD_0
	v_lshl_add_u32 v27, v27, 10, 0x2000
	v_lshlrev_b32_e32 v25, 23, v25
	v_and_or_b32 v1, 0x8000, v1, v27
	v_lshl_or_b32 v25, v1, 16, v25
.LBB248_39:                             ;   in Loop: Header=BB248_9 Depth=1
	s_or_b32 exec_lo, exec_lo, s33
.LBB248_40:                             ;   in Loop: Header=BB248_9 Depth=1
	s_or_b32 exec_lo, exec_lo, s31
.LBB248_41:                             ;   in Loop: Header=BB248_9 Depth=1
	s_or_b32 exec_lo, exec_lo, s3
	global_load_ushort v28, v[7:8], off offset:128
	v_mov_b32_e32 v27, 0
	s_waitcnt vmcnt(0)
	v_and_b32_e32 v1, 0xffff, v28
	v_cmp_ne_u16_sdwa s2, v28, v2 src0_sel:BYTE_0 src1_sel:DWORD
	v_mov_b32_e32 v28, 0
	s_and_saveexec_b32 s3, s2
	s_cbranch_execz .LBB248_49
; %bb.42:                               ;   in Loop: Header=BB248_9 Depth=1
	v_cmp_ne_u16_sdwa s2, v1, v17 src0_sel:BYTE_0 src1_sel:DWORD
	v_mov_b32_e32 v28, 0x8000
	s_and_saveexec_b32 s31, s2
	s_cbranch_execz .LBB248_48
; %bb.43:                               ;   in Loop: Header=BB248_9 Depth=1
	v_and_b32_e32 v30, 0x7f, v1
	v_mov_b32_e32 v28, 0x7c01
	s_mov_b32 s33, exec_lo
	v_cmpx_ne_u32_e32 0x7f, v30
	s_cbranch_execz .LBB248_47
; %bb.44:                               ;   in Loop: Header=BB248_9 Depth=1
	v_and_b32_e32 v28, 7, v1
	v_lshrrev_b32_e32 v29, 3, v30
	s_mov_b32 s34, exec_lo
	v_cmpx_gt_u32_e32 8, v30
; %bb.45:                               ;   in Loop: Header=BB248_9 Depth=1
	v_ffbh_u32_e32 v28, v28
	v_min_u32_e32 v30, 32, v28
	v_subrev_nc_u32_e32 v28, 28, v30
	v_lshlrev_b64 v[28:29], v28, v[1:2]
	v_sub_nc_u32_e32 v29, 29, v30
	v_and_b32_e32 v28, 7, v28
; %bb.46:                               ;   in Loop: Header=BB248_9 Depth=1
	s_or_b32 exec_lo, exec_lo, s34
	v_lshlrev_b32_e32 v30, 8, v1
	v_lshl_add_u32 v29, v29, 10, 0x2000
	v_lshlrev_b32_e32 v28, 7, v28
	v_and_b32_e32 v30, 0x8000, v30
	v_and_b32_e32 v29, 0xfc00, v29
	v_or3_b32 v28, v30, v29, v28
.LBB248_47:                             ;   in Loop: Header=BB248_9 Depth=1
	s_or_b32 exec_lo, exec_lo, s33
.LBB248_48:                             ;   in Loop: Header=BB248_9 Depth=1
	s_or_b32 exec_lo, exec_lo, s31
.LBB248_49:                             ;   in Loop: Header=BB248_9 Depth=1
	s_or_b32 exec_lo, exec_lo, s3
	v_lshrrev_b16 v1, 8, v1
	s_mov_b32 s3, exec_lo
	v_cmpx_ne_u16_e32 0, v1
	s_cbranch_execz .LBB248_57
; %bb.50:                               ;   in Loop: Header=BB248_9 Depth=1
	v_bfrev_b32_e32 v27, 1
	s_mov_b32 s31, exec_lo
	v_cmpx_ne_u16_e32 0x80, v1
	s_cbranch_execz .LBB248_56
; %bb.51:                               ;   in Loop: Header=BB248_9 Depth=1
	v_and_b32_sdwa v30, v1, v18 dst_sel:DWORD dst_unused:UNUSED_PAD src0_sel:WORD_0 src1_sel:DWORD
	v_mov_b32_e32 v27, 0x7c010000
	s_mov_b32 s33, exec_lo
	v_cmpx_ne_u32_e32 0x7f, v30
	s_cbranch_execz .LBB248_55
; %bb.52:                               ;   in Loop: Header=BB248_9 Depth=1
	v_and_b32_sdwa v27, v1, v19 dst_sel:DWORD dst_unused:UNUSED_PAD src0_sel:WORD_0 src1_sel:DWORD
	v_lshrrev_b32_e32 v29, 3, v30
	s_mov_b32 s34, exec_lo
	v_cmpx_gt_u32_e32 8, v30
; %bb.53:                               ;   in Loop: Header=BB248_9 Depth=1
	v_ffbh_u32_e32 v27, v27
	v_min_u32_e32 v27, 32, v27
	v_subrev_nc_u32_e32 v29, 28, v27
	v_lshlrev_b64 v[30:31], v29, v[1:2]
	v_sub_nc_u32_e32 v29, 29, v27
	v_and_b32_e32 v27, 7, v30
; %bb.54:                               ;   in Loop: Header=BB248_9 Depth=1
	s_or_b32 exec_lo, exec_lo, s34
	v_lshlrev_b32_sdwa v1, v20, v1 dst_sel:DWORD dst_unused:UNUSED_PAD src0_sel:DWORD src1_sel:WORD_0
	v_lshl_add_u32 v29, v29, 10, 0x2000
	v_lshlrev_b32_e32 v27, 23, v27
	v_and_or_b32 v1, 0x8000, v1, v29
	v_lshl_or_b32 v27, v1, 16, v27
.LBB248_55:                             ;   in Loop: Header=BB248_9 Depth=1
	s_or_b32 exec_lo, exec_lo, s33
.LBB248_56:                             ;   in Loop: Header=BB248_9 Depth=1
	s_or_b32 exec_lo, exec_lo, s31
.LBB248_57:                             ;   in Loop: Header=BB248_9 Depth=1
	s_or_b32 exec_lo, exec_lo, s3
	global_load_ushort v30, v[7:8], off offset:136
	v_mov_b32_e32 v29, 0
	s_waitcnt vmcnt(0)
	v_and_b32_e32 v1, 0xffff, v30
	v_cmp_ne_u16_sdwa s2, v30, v2 src0_sel:BYTE_0 src1_sel:DWORD
	v_mov_b32_e32 v30, 0
	s_and_saveexec_b32 s3, s2
	s_cbranch_execz .LBB248_65
; %bb.58:                               ;   in Loop: Header=BB248_9 Depth=1
	v_cmp_ne_u16_sdwa s2, v1, v17 src0_sel:BYTE_0 src1_sel:DWORD
	v_mov_b32_e32 v30, 0x8000
	s_and_saveexec_b32 s31, s2
	s_cbranch_execz .LBB248_64
; %bb.59:                               ;   in Loop: Header=BB248_9 Depth=1
	v_and_b32_e32 v32, 0x7f, v1
	v_mov_b32_e32 v30, 0x7c01
	s_mov_b32 s33, exec_lo
	v_cmpx_ne_u32_e32 0x7f, v32
	s_cbranch_execz .LBB248_63
; %bb.60:                               ;   in Loop: Header=BB248_9 Depth=1
	v_and_b32_e32 v30, 7, v1
	v_lshrrev_b32_e32 v31, 3, v32
	s_mov_b32 s34, exec_lo
	v_cmpx_gt_u32_e32 8, v32
; %bb.61:                               ;   in Loop: Header=BB248_9 Depth=1
	v_ffbh_u32_e32 v30, v30
	v_min_u32_e32 v32, 32, v30
	v_subrev_nc_u32_e32 v30, 28, v32
	v_lshlrev_b64 v[30:31], v30, v[1:2]
	v_sub_nc_u32_e32 v31, 29, v32
	v_and_b32_e32 v30, 7, v30
; %bb.62:                               ;   in Loop: Header=BB248_9 Depth=1
	s_or_b32 exec_lo, exec_lo, s34
	v_lshlrev_b32_e32 v32, 8, v1
	v_lshl_add_u32 v31, v31, 10, 0x2000
	v_lshlrev_b32_e32 v30, 7, v30
	v_and_b32_e32 v32, 0x8000, v32
	v_and_b32_e32 v31, 0xfc00, v31
	v_or3_b32 v30, v32, v31, v30
.LBB248_63:                             ;   in Loop: Header=BB248_9 Depth=1
	s_or_b32 exec_lo, exec_lo, s33
.LBB248_64:                             ;   in Loop: Header=BB248_9 Depth=1
	s_or_b32 exec_lo, exec_lo, s31
.LBB248_65:                             ;   in Loop: Header=BB248_9 Depth=1
	s_or_b32 exec_lo, exec_lo, s3
	v_lshrrev_b16 v1, 8, v1
	s_mov_b32 s3, exec_lo
	v_cmpx_ne_u16_e32 0, v1
	s_cbranch_execz .LBB248_73
; %bb.66:                               ;   in Loop: Header=BB248_9 Depth=1
	v_bfrev_b32_e32 v29, 1
	s_mov_b32 s31, exec_lo
	v_cmpx_ne_u16_e32 0x80, v1
	s_cbranch_execz .LBB248_72
; %bb.67:                               ;   in Loop: Header=BB248_9 Depth=1
	v_and_b32_sdwa v32, v1, v18 dst_sel:DWORD dst_unused:UNUSED_PAD src0_sel:WORD_0 src1_sel:DWORD
	v_mov_b32_e32 v29, 0x7c010000
	s_mov_b32 s33, exec_lo
	v_cmpx_ne_u32_e32 0x7f, v32
	s_cbranch_execz .LBB248_71
; %bb.68:                               ;   in Loop: Header=BB248_9 Depth=1
	v_and_b32_sdwa v29, v1, v19 dst_sel:DWORD dst_unused:UNUSED_PAD src0_sel:WORD_0 src1_sel:DWORD
	v_lshrrev_b32_e32 v31, 3, v32
	s_mov_b32 s34, exec_lo
	v_cmpx_gt_u32_e32 8, v32
; %bb.69:                               ;   in Loop: Header=BB248_9 Depth=1
	v_ffbh_u32_e32 v29, v29
	v_min_u32_e32 v29, 32, v29
	v_subrev_nc_u32_e32 v31, 28, v29
	v_lshlrev_b64 v[32:33], v31, v[1:2]
	v_sub_nc_u32_e32 v31, 29, v29
	v_and_b32_e32 v29, 7, v32
; %bb.70:                               ;   in Loop: Header=BB248_9 Depth=1
	s_or_b32 exec_lo, exec_lo, s34
	v_lshlrev_b32_sdwa v1, v20, v1 dst_sel:DWORD dst_unused:UNUSED_PAD src0_sel:DWORD src1_sel:WORD_0
	v_lshl_add_u32 v31, v31, 10, 0x2000
	v_lshlrev_b32_e32 v29, 23, v29
	v_and_or_b32 v1, 0x8000, v1, v31
	v_lshl_or_b32 v29, v1, 16, v29
.LBB248_71:                             ;   in Loop: Header=BB248_9 Depth=1
	s_or_b32 exec_lo, exec_lo, s33
.LBB248_72:                             ;   in Loop: Header=BB248_9 Depth=1
	s_or_b32 exec_lo, exec_lo, s31
.LBB248_73:                             ;   in Loop: Header=BB248_9 Depth=1
	s_or_b32 exec_lo, exec_lo, s3
	global_load_ushort v32, v[7:8], off offset:256
	v_mov_b32_e32 v31, 0
	s_waitcnt vmcnt(0)
	v_and_b32_e32 v1, 0xffff, v32
	v_cmp_ne_u16_sdwa s2, v32, v2 src0_sel:BYTE_0 src1_sel:DWORD
	v_mov_b32_e32 v32, 0
	s_and_saveexec_b32 s3, s2
	s_cbranch_execz .LBB248_81
; %bb.74:                               ;   in Loop: Header=BB248_9 Depth=1
	v_cmp_ne_u16_sdwa s2, v1, v17 src0_sel:BYTE_0 src1_sel:DWORD
	v_mov_b32_e32 v32, 0x8000
	s_and_saveexec_b32 s31, s2
	s_cbranch_execz .LBB248_80
; %bb.75:                               ;   in Loop: Header=BB248_9 Depth=1
	v_and_b32_e32 v34, 0x7f, v1
	v_mov_b32_e32 v32, 0x7c01
	s_mov_b32 s33, exec_lo
	v_cmpx_ne_u32_e32 0x7f, v34
	s_cbranch_execz .LBB248_79
; %bb.76:                               ;   in Loop: Header=BB248_9 Depth=1
	v_and_b32_e32 v32, 7, v1
	v_lshrrev_b32_e32 v33, 3, v34
	s_mov_b32 s34, exec_lo
	v_cmpx_gt_u32_e32 8, v34
; %bb.77:                               ;   in Loop: Header=BB248_9 Depth=1
	v_ffbh_u32_e32 v32, v32
	v_min_u32_e32 v34, 32, v32
	v_subrev_nc_u32_e32 v32, 28, v34
	v_lshlrev_b64 v[32:33], v32, v[1:2]
	v_sub_nc_u32_e32 v33, 29, v34
	v_and_b32_e32 v32, 7, v32
; %bb.78:                               ;   in Loop: Header=BB248_9 Depth=1
	s_or_b32 exec_lo, exec_lo, s34
	v_lshlrev_b32_e32 v34, 8, v1
	v_lshl_add_u32 v33, v33, 10, 0x2000
	v_lshlrev_b32_e32 v32, 7, v32
	v_and_b32_e32 v34, 0x8000, v34
	v_and_b32_e32 v33, 0xfc00, v33
	v_or3_b32 v32, v34, v33, v32
.LBB248_79:                             ;   in Loop: Header=BB248_9 Depth=1
	s_or_b32 exec_lo, exec_lo, s33
.LBB248_80:                             ;   in Loop: Header=BB248_9 Depth=1
	s_or_b32 exec_lo, exec_lo, s31
.LBB248_81:                             ;   in Loop: Header=BB248_9 Depth=1
	s_or_b32 exec_lo, exec_lo, s3
	v_lshrrev_b16 v1, 8, v1
	s_mov_b32 s3, exec_lo
	v_cmpx_ne_u16_e32 0, v1
	s_cbranch_execz .LBB248_89
; %bb.82:                               ;   in Loop: Header=BB248_9 Depth=1
	v_bfrev_b32_e32 v31, 1
	s_mov_b32 s31, exec_lo
	v_cmpx_ne_u16_e32 0x80, v1
	s_cbranch_execz .LBB248_88
; %bb.83:                               ;   in Loop: Header=BB248_9 Depth=1
	v_and_b32_sdwa v34, v1, v18 dst_sel:DWORD dst_unused:UNUSED_PAD src0_sel:WORD_0 src1_sel:DWORD
	v_mov_b32_e32 v31, 0x7c010000
	s_mov_b32 s33, exec_lo
	v_cmpx_ne_u32_e32 0x7f, v34
	s_cbranch_execz .LBB248_87
; %bb.84:                               ;   in Loop: Header=BB248_9 Depth=1
	v_and_b32_sdwa v31, v1, v19 dst_sel:DWORD dst_unused:UNUSED_PAD src0_sel:WORD_0 src1_sel:DWORD
	v_lshrrev_b32_e32 v33, 3, v34
	s_mov_b32 s34, exec_lo
	v_cmpx_gt_u32_e32 8, v34
; %bb.85:                               ;   in Loop: Header=BB248_9 Depth=1
	v_ffbh_u32_e32 v31, v31
	v_min_u32_e32 v31, 32, v31
	v_subrev_nc_u32_e32 v33, 28, v31
	v_lshlrev_b64 v[34:35], v33, v[1:2]
	v_sub_nc_u32_e32 v33, 29, v31
	v_and_b32_e32 v31, 7, v34
; %bb.86:                               ;   in Loop: Header=BB248_9 Depth=1
	s_or_b32 exec_lo, exec_lo, s34
	v_lshlrev_b32_sdwa v1, v20, v1 dst_sel:DWORD dst_unused:UNUSED_PAD src0_sel:DWORD src1_sel:WORD_0
	v_lshl_add_u32 v33, v33, 10, 0x2000
	v_lshlrev_b32_e32 v31, 23, v31
	v_and_or_b32 v1, 0x8000, v1, v33
	v_lshl_or_b32 v31, v1, 16, v31
.LBB248_87:                             ;   in Loop: Header=BB248_9 Depth=1
	s_or_b32 exec_lo, exec_lo, s33
.LBB248_88:                             ;   in Loop: Header=BB248_9 Depth=1
	s_or_b32 exec_lo, exec_lo, s31
.LBB248_89:                             ;   in Loop: Header=BB248_9 Depth=1
	s_or_b32 exec_lo, exec_lo, s3
	global_load_ushort v34, v[7:8], off offset:264
	v_mov_b32_e32 v33, 0
	s_waitcnt vmcnt(0)
	v_and_b32_e32 v1, 0xffff, v34
	v_cmp_ne_u16_sdwa s2, v34, v2 src0_sel:BYTE_0 src1_sel:DWORD
	v_mov_b32_e32 v34, 0
	s_and_saveexec_b32 s3, s2
	s_cbranch_execz .LBB248_97
; %bb.90:                               ;   in Loop: Header=BB248_9 Depth=1
	v_cmp_ne_u16_sdwa s2, v1, v17 src0_sel:BYTE_0 src1_sel:DWORD
	v_mov_b32_e32 v34, 0x8000
	s_and_saveexec_b32 s31, s2
	s_cbranch_execz .LBB248_96
; %bb.91:                               ;   in Loop: Header=BB248_9 Depth=1
	v_and_b32_e32 v36, 0x7f, v1
	v_mov_b32_e32 v34, 0x7c01
	s_mov_b32 s33, exec_lo
	v_cmpx_ne_u32_e32 0x7f, v36
	s_cbranch_execz .LBB248_95
; %bb.92:                               ;   in Loop: Header=BB248_9 Depth=1
	v_and_b32_e32 v34, 7, v1
	v_lshrrev_b32_e32 v35, 3, v36
	s_mov_b32 s34, exec_lo
	v_cmpx_gt_u32_e32 8, v36
; %bb.93:                               ;   in Loop: Header=BB248_9 Depth=1
	v_ffbh_u32_e32 v34, v34
	v_min_u32_e32 v36, 32, v34
	v_subrev_nc_u32_e32 v34, 28, v36
	v_lshlrev_b64 v[34:35], v34, v[1:2]
	v_sub_nc_u32_e32 v35, 29, v36
	v_and_b32_e32 v34, 7, v34
; %bb.94:                               ;   in Loop: Header=BB248_9 Depth=1
	s_or_b32 exec_lo, exec_lo, s34
	v_lshlrev_b32_e32 v36, 8, v1
	v_lshl_add_u32 v35, v35, 10, 0x2000
	v_lshlrev_b32_e32 v34, 7, v34
	v_and_b32_e32 v36, 0x8000, v36
	v_and_b32_e32 v35, 0xfc00, v35
	v_or3_b32 v34, v36, v35, v34
.LBB248_95:                             ;   in Loop: Header=BB248_9 Depth=1
	s_or_b32 exec_lo, exec_lo, s33
.LBB248_96:                             ;   in Loop: Header=BB248_9 Depth=1
	s_or_b32 exec_lo, exec_lo, s31
.LBB248_97:                             ;   in Loop: Header=BB248_9 Depth=1
	s_or_b32 exec_lo, exec_lo, s3
	v_lshrrev_b16 v1, 8, v1
	s_mov_b32 s3, exec_lo
	v_cmpx_ne_u16_e32 0, v1
	s_cbranch_execz .LBB248_105
; %bb.98:                               ;   in Loop: Header=BB248_9 Depth=1
	v_bfrev_b32_e32 v33, 1
	s_mov_b32 s31, exec_lo
	v_cmpx_ne_u16_e32 0x80, v1
	s_cbranch_execz .LBB248_104
; %bb.99:                               ;   in Loop: Header=BB248_9 Depth=1
	v_and_b32_sdwa v36, v1, v18 dst_sel:DWORD dst_unused:UNUSED_PAD src0_sel:WORD_0 src1_sel:DWORD
	v_mov_b32_e32 v33, 0x7c010000
	s_mov_b32 s33, exec_lo
	v_cmpx_ne_u32_e32 0x7f, v36
	s_cbranch_execz .LBB248_103
; %bb.100:                              ;   in Loop: Header=BB248_9 Depth=1
	v_and_b32_sdwa v33, v1, v19 dst_sel:DWORD dst_unused:UNUSED_PAD src0_sel:WORD_0 src1_sel:DWORD
	v_lshrrev_b32_e32 v35, 3, v36
	s_mov_b32 s34, exec_lo
	v_cmpx_gt_u32_e32 8, v36
; %bb.101:                              ;   in Loop: Header=BB248_9 Depth=1
	v_ffbh_u32_e32 v33, v33
	v_min_u32_e32 v33, 32, v33
	v_subrev_nc_u32_e32 v35, 28, v33
	v_lshlrev_b64 v[36:37], v35, v[1:2]
	v_sub_nc_u32_e32 v35, 29, v33
	v_and_b32_e32 v33, 7, v36
; %bb.102:                              ;   in Loop: Header=BB248_9 Depth=1
	s_or_b32 exec_lo, exec_lo, s34
	v_lshlrev_b32_sdwa v1, v20, v1 dst_sel:DWORD dst_unused:UNUSED_PAD src0_sel:DWORD src1_sel:WORD_0
	v_lshl_add_u32 v35, v35, 10, 0x2000
	v_lshlrev_b32_e32 v33, 23, v33
	v_and_or_b32 v1, 0x8000, v1, v35
	v_lshl_or_b32 v33, v1, 16, v33
.LBB248_103:                            ;   in Loop: Header=BB248_9 Depth=1
	s_or_b32 exec_lo, exec_lo, s33
.LBB248_104:                            ;   in Loop: Header=BB248_9 Depth=1
	s_or_b32 exec_lo, exec_lo, s31
.LBB248_105:                            ;   in Loop: Header=BB248_9 Depth=1
	s_or_b32 exec_lo, exec_lo, s3
	global_load_ushort v36, v[7:8], off offset:384
	v_mov_b32_e32 v35, 0
	s_waitcnt vmcnt(0)
	v_and_b32_e32 v1, 0xffff, v36
	v_cmp_ne_u16_sdwa s2, v36, v2 src0_sel:BYTE_0 src1_sel:DWORD
	v_mov_b32_e32 v36, 0
	s_and_saveexec_b32 s3, s2
	s_cbranch_execz .LBB248_113
; %bb.106:                              ;   in Loop: Header=BB248_9 Depth=1
	v_cmp_ne_u16_sdwa s2, v1, v17 src0_sel:BYTE_0 src1_sel:DWORD
	v_mov_b32_e32 v36, 0x8000
	s_and_saveexec_b32 s31, s2
	s_cbranch_execz .LBB248_112
; %bb.107:                              ;   in Loop: Header=BB248_9 Depth=1
	v_and_b32_e32 v38, 0x7f, v1
	v_mov_b32_e32 v36, 0x7c01
	s_mov_b32 s33, exec_lo
	v_cmpx_ne_u32_e32 0x7f, v38
	s_cbranch_execz .LBB248_111
; %bb.108:                              ;   in Loop: Header=BB248_9 Depth=1
	v_and_b32_e32 v36, 7, v1
	v_lshrrev_b32_e32 v37, 3, v38
	s_mov_b32 s34, exec_lo
	v_cmpx_gt_u32_e32 8, v38
; %bb.109:                              ;   in Loop: Header=BB248_9 Depth=1
	v_ffbh_u32_e32 v36, v36
	v_min_u32_e32 v38, 32, v36
	v_subrev_nc_u32_e32 v36, 28, v38
	v_lshlrev_b64 v[36:37], v36, v[1:2]
	v_sub_nc_u32_e32 v37, 29, v38
	v_and_b32_e32 v36, 7, v36
; %bb.110:                              ;   in Loop: Header=BB248_9 Depth=1
	s_or_b32 exec_lo, exec_lo, s34
	v_lshlrev_b32_e32 v38, 8, v1
	v_lshl_add_u32 v37, v37, 10, 0x2000
	v_lshlrev_b32_e32 v36, 7, v36
	v_and_b32_e32 v38, 0x8000, v38
	v_and_b32_e32 v37, 0xfc00, v37
	v_or3_b32 v36, v38, v37, v36
.LBB248_111:                            ;   in Loop: Header=BB248_9 Depth=1
	s_or_b32 exec_lo, exec_lo, s33
.LBB248_112:                            ;   in Loop: Header=BB248_9 Depth=1
	s_or_b32 exec_lo, exec_lo, s31
.LBB248_113:                            ;   in Loop: Header=BB248_9 Depth=1
	s_or_b32 exec_lo, exec_lo, s3
	v_lshrrev_b16 v1, 8, v1
	s_mov_b32 s3, exec_lo
	v_cmpx_ne_u16_e32 0, v1
	s_cbranch_execz .LBB248_121
; %bb.114:                              ;   in Loop: Header=BB248_9 Depth=1
	v_bfrev_b32_e32 v35, 1
	s_mov_b32 s31, exec_lo
	v_cmpx_ne_u16_e32 0x80, v1
	s_cbranch_execz .LBB248_120
; %bb.115:                              ;   in Loop: Header=BB248_9 Depth=1
	v_and_b32_sdwa v38, v1, v18 dst_sel:DWORD dst_unused:UNUSED_PAD src0_sel:WORD_0 src1_sel:DWORD
	v_mov_b32_e32 v35, 0x7c010000
	s_mov_b32 s33, exec_lo
	v_cmpx_ne_u32_e32 0x7f, v38
	s_cbranch_execz .LBB248_119
; %bb.116:                              ;   in Loop: Header=BB248_9 Depth=1
	v_and_b32_sdwa v35, v1, v19 dst_sel:DWORD dst_unused:UNUSED_PAD src0_sel:WORD_0 src1_sel:DWORD
	v_lshrrev_b32_e32 v37, 3, v38
	s_mov_b32 s34, exec_lo
	v_cmpx_gt_u32_e32 8, v38
; %bb.117:                              ;   in Loop: Header=BB248_9 Depth=1
	v_ffbh_u32_e32 v35, v35
	v_min_u32_e32 v35, 32, v35
	v_subrev_nc_u32_e32 v37, 28, v35
	v_lshlrev_b64 v[38:39], v37, v[1:2]
	v_sub_nc_u32_e32 v37, 29, v35
	v_and_b32_e32 v35, 7, v38
; %bb.118:                              ;   in Loop: Header=BB248_9 Depth=1
	s_or_b32 exec_lo, exec_lo, s34
	v_lshlrev_b32_sdwa v1, v20, v1 dst_sel:DWORD dst_unused:UNUSED_PAD src0_sel:DWORD src1_sel:WORD_0
	v_lshl_add_u32 v37, v37, 10, 0x2000
	v_lshlrev_b32_e32 v35, 23, v35
	v_and_or_b32 v1, 0x8000, v1, v37
	v_lshl_or_b32 v35, v1, 16, v35
.LBB248_119:                            ;   in Loop: Header=BB248_9 Depth=1
	s_or_b32 exec_lo, exec_lo, s33
.LBB248_120:                            ;   in Loop: Header=BB248_9 Depth=1
	s_or_b32 exec_lo, exec_lo, s31
.LBB248_121:                            ;   in Loop: Header=BB248_9 Depth=1
	s_or_b32 exec_lo, exec_lo, s3
	global_load_ushort v38, v[7:8], off offset:392
	v_mov_b32_e32 v37, 0
	s_waitcnt vmcnt(0)
	v_and_b32_e32 v1, 0xffff, v38
	v_cmp_ne_u16_sdwa s2, v38, v2 src0_sel:BYTE_0 src1_sel:DWORD
	v_mov_b32_e32 v38, 0
	s_and_saveexec_b32 s3, s2
	s_cbranch_execz .LBB248_129
; %bb.122:                              ;   in Loop: Header=BB248_9 Depth=1
	v_cmp_ne_u16_sdwa s2, v1, v17 src0_sel:BYTE_0 src1_sel:DWORD
	v_mov_b32_e32 v38, 0x8000
	s_and_saveexec_b32 s31, s2
	s_cbranch_execz .LBB248_128
; %bb.123:                              ;   in Loop: Header=BB248_9 Depth=1
	v_and_b32_e32 v40, 0x7f, v1
	v_mov_b32_e32 v38, 0x7c01
	s_mov_b32 s33, exec_lo
	v_cmpx_ne_u32_e32 0x7f, v40
	s_cbranch_execz .LBB248_127
; %bb.124:                              ;   in Loop: Header=BB248_9 Depth=1
	v_and_b32_e32 v38, 7, v1
	v_lshrrev_b32_e32 v39, 3, v40
	s_mov_b32 s34, exec_lo
	v_cmpx_gt_u32_e32 8, v40
; %bb.125:                              ;   in Loop: Header=BB248_9 Depth=1
	v_ffbh_u32_e32 v38, v38
	v_min_u32_e32 v40, 32, v38
	v_subrev_nc_u32_e32 v38, 28, v40
	v_lshlrev_b64 v[38:39], v38, v[1:2]
	v_sub_nc_u32_e32 v39, 29, v40
	v_and_b32_e32 v38, 7, v38
; %bb.126:                              ;   in Loop: Header=BB248_9 Depth=1
	s_or_b32 exec_lo, exec_lo, s34
	v_lshlrev_b32_e32 v40, 8, v1
	v_lshl_add_u32 v39, v39, 10, 0x2000
	v_lshlrev_b32_e32 v38, 7, v38
	v_and_b32_e32 v40, 0x8000, v40
	v_and_b32_e32 v39, 0xfc00, v39
	v_or3_b32 v38, v40, v39, v38
.LBB248_127:                            ;   in Loop: Header=BB248_9 Depth=1
	s_or_b32 exec_lo, exec_lo, s33
.LBB248_128:                            ;   in Loop: Header=BB248_9 Depth=1
	s_or_b32 exec_lo, exec_lo, s31
.LBB248_129:                            ;   in Loop: Header=BB248_9 Depth=1
	s_or_b32 exec_lo, exec_lo, s3
	v_lshrrev_b16 v1, 8, v1
	s_mov_b32 s3, exec_lo
	v_cmpx_ne_u16_e32 0, v1
	s_cbranch_execz .LBB248_137
; %bb.130:                              ;   in Loop: Header=BB248_9 Depth=1
	v_bfrev_b32_e32 v37, 1
	s_mov_b32 s31, exec_lo
	v_cmpx_ne_u16_e32 0x80, v1
	s_cbranch_execz .LBB248_136
; %bb.131:                              ;   in Loop: Header=BB248_9 Depth=1
	v_and_b32_sdwa v40, v1, v18 dst_sel:DWORD dst_unused:UNUSED_PAD src0_sel:WORD_0 src1_sel:DWORD
	v_mov_b32_e32 v37, 0x7c010000
	s_mov_b32 s33, exec_lo
	v_cmpx_ne_u32_e32 0x7f, v40
	s_cbranch_execz .LBB248_135
; %bb.132:                              ;   in Loop: Header=BB248_9 Depth=1
	v_and_b32_sdwa v37, v1, v19 dst_sel:DWORD dst_unused:UNUSED_PAD src0_sel:WORD_0 src1_sel:DWORD
	v_lshrrev_b32_e32 v39, 3, v40
	s_mov_b32 s34, exec_lo
	v_cmpx_gt_u32_e32 8, v40
; %bb.133:                              ;   in Loop: Header=BB248_9 Depth=1
	v_ffbh_u32_e32 v37, v37
	v_min_u32_e32 v37, 32, v37
	v_subrev_nc_u32_e32 v39, 28, v37
	v_lshlrev_b64 v[40:41], v39, v[1:2]
	v_sub_nc_u32_e32 v39, 29, v37
	v_and_b32_e32 v37, 7, v40
; %bb.134:                              ;   in Loop: Header=BB248_9 Depth=1
	s_or_b32 exec_lo, exec_lo, s34
	v_lshlrev_b32_sdwa v1, v20, v1 dst_sel:DWORD dst_unused:UNUSED_PAD src0_sel:DWORD src1_sel:WORD_0
	v_lshl_add_u32 v39, v39, 10, 0x2000
	v_lshlrev_b32_e32 v37, 23, v37
	v_and_or_b32 v1, 0x8000, v1, v39
	v_lshl_or_b32 v37, v1, 16, v37
.LBB248_135:                            ;   in Loop: Header=BB248_9 Depth=1
	s_or_b32 exec_lo, exec_lo, s33
.LBB248_136:                            ;   in Loop: Header=BB248_9 Depth=1
	s_or_b32 exec_lo, exec_lo, s31
.LBB248_137:                            ;   in Loop: Header=BB248_9 Depth=1
	s_or_b32 exec_lo, exec_lo, s3
	global_load_ushort v40, v[7:8], off offset:512
	v_mov_b32_e32 v39, 0
	s_waitcnt vmcnt(0)
	v_and_b32_e32 v1, 0xffff, v40
	v_cmp_ne_u16_sdwa s2, v40, v2 src0_sel:BYTE_0 src1_sel:DWORD
	v_mov_b32_e32 v40, 0
	s_and_saveexec_b32 s3, s2
	s_cbranch_execz .LBB248_145
; %bb.138:                              ;   in Loop: Header=BB248_9 Depth=1
	v_cmp_ne_u16_sdwa s2, v1, v17 src0_sel:BYTE_0 src1_sel:DWORD
	v_mov_b32_e32 v40, 0x8000
	s_and_saveexec_b32 s31, s2
	s_cbranch_execz .LBB248_144
; %bb.139:                              ;   in Loop: Header=BB248_9 Depth=1
	v_and_b32_e32 v42, 0x7f, v1
	v_mov_b32_e32 v40, 0x7c01
	s_mov_b32 s33, exec_lo
	v_cmpx_ne_u32_e32 0x7f, v42
	s_cbranch_execz .LBB248_143
; %bb.140:                              ;   in Loop: Header=BB248_9 Depth=1
	v_and_b32_e32 v40, 7, v1
	v_lshrrev_b32_e32 v41, 3, v42
	s_mov_b32 s34, exec_lo
	v_cmpx_gt_u32_e32 8, v42
; %bb.141:                              ;   in Loop: Header=BB248_9 Depth=1
	v_ffbh_u32_e32 v40, v40
	v_min_u32_e32 v42, 32, v40
	v_subrev_nc_u32_e32 v40, 28, v42
	v_lshlrev_b64 v[40:41], v40, v[1:2]
	v_sub_nc_u32_e32 v41, 29, v42
	v_and_b32_e32 v40, 7, v40
; %bb.142:                              ;   in Loop: Header=BB248_9 Depth=1
	s_or_b32 exec_lo, exec_lo, s34
	v_lshlrev_b32_e32 v42, 8, v1
	v_lshl_add_u32 v41, v41, 10, 0x2000
	v_lshlrev_b32_e32 v40, 7, v40
	v_and_b32_e32 v42, 0x8000, v42
	v_and_b32_e32 v41, 0xfc00, v41
	v_or3_b32 v40, v42, v41, v40
.LBB248_143:                            ;   in Loop: Header=BB248_9 Depth=1
	s_or_b32 exec_lo, exec_lo, s33
.LBB248_144:                            ;   in Loop: Header=BB248_9 Depth=1
	s_or_b32 exec_lo, exec_lo, s31
.LBB248_145:                            ;   in Loop: Header=BB248_9 Depth=1
	s_or_b32 exec_lo, exec_lo, s3
	v_lshrrev_b16 v1, 8, v1
	s_mov_b32 s3, exec_lo
	v_cmpx_ne_u16_e32 0, v1
	s_cbranch_execz .LBB248_153
; %bb.146:                              ;   in Loop: Header=BB248_9 Depth=1
	v_bfrev_b32_e32 v39, 1
	s_mov_b32 s31, exec_lo
	v_cmpx_ne_u16_e32 0x80, v1
	s_cbranch_execz .LBB248_152
; %bb.147:                              ;   in Loop: Header=BB248_9 Depth=1
	v_and_b32_sdwa v42, v1, v18 dst_sel:DWORD dst_unused:UNUSED_PAD src0_sel:WORD_0 src1_sel:DWORD
	v_mov_b32_e32 v39, 0x7c010000
	s_mov_b32 s33, exec_lo
	v_cmpx_ne_u32_e32 0x7f, v42
	s_cbranch_execz .LBB248_151
; %bb.148:                              ;   in Loop: Header=BB248_9 Depth=1
	v_and_b32_sdwa v39, v1, v19 dst_sel:DWORD dst_unused:UNUSED_PAD src0_sel:WORD_0 src1_sel:DWORD
	v_lshrrev_b32_e32 v41, 3, v42
	s_mov_b32 s34, exec_lo
	v_cmpx_gt_u32_e32 8, v42
; %bb.149:                              ;   in Loop: Header=BB248_9 Depth=1
	v_ffbh_u32_e32 v39, v39
	v_min_u32_e32 v39, 32, v39
	v_subrev_nc_u32_e32 v41, 28, v39
	v_lshlrev_b64 v[42:43], v41, v[1:2]
	v_sub_nc_u32_e32 v41, 29, v39
	v_and_b32_e32 v39, 7, v42
; %bb.150:                              ;   in Loop: Header=BB248_9 Depth=1
	s_or_b32 exec_lo, exec_lo, s34
	v_lshlrev_b32_sdwa v1, v20, v1 dst_sel:DWORD dst_unused:UNUSED_PAD src0_sel:DWORD src1_sel:WORD_0
	v_lshl_add_u32 v41, v41, 10, 0x2000
	v_lshlrev_b32_e32 v39, 23, v39
	v_and_or_b32 v1, 0x8000, v1, v41
	v_lshl_or_b32 v39, v1, 16, v39
.LBB248_151:                            ;   in Loop: Header=BB248_9 Depth=1
	s_or_b32 exec_lo, exec_lo, s33
.LBB248_152:                            ;   in Loop: Header=BB248_9 Depth=1
	s_or_b32 exec_lo, exec_lo, s31
.LBB248_153:                            ;   in Loop: Header=BB248_9 Depth=1
	s_or_b32 exec_lo, exec_lo, s3
	global_load_ushort v42, v[7:8], off offset:520
	v_mov_b32_e32 v41, 0
	s_waitcnt vmcnt(0)
	v_and_b32_e32 v1, 0xffff, v42
	v_cmp_ne_u16_sdwa s2, v42, v2 src0_sel:BYTE_0 src1_sel:DWORD
	v_mov_b32_e32 v42, 0
	s_and_saveexec_b32 s3, s2
	s_cbranch_execz .LBB248_161
; %bb.154:                              ;   in Loop: Header=BB248_9 Depth=1
	v_cmp_ne_u16_sdwa s2, v1, v17 src0_sel:BYTE_0 src1_sel:DWORD
	v_mov_b32_e32 v42, 0x8000
	s_and_saveexec_b32 s31, s2
	s_cbranch_execz .LBB248_160
; %bb.155:                              ;   in Loop: Header=BB248_9 Depth=1
	v_and_b32_e32 v44, 0x7f, v1
	v_mov_b32_e32 v42, 0x7c01
	s_mov_b32 s33, exec_lo
	v_cmpx_ne_u32_e32 0x7f, v44
	s_cbranch_execz .LBB248_159
; %bb.156:                              ;   in Loop: Header=BB248_9 Depth=1
	v_and_b32_e32 v42, 7, v1
	v_lshrrev_b32_e32 v43, 3, v44
	s_mov_b32 s34, exec_lo
	v_cmpx_gt_u32_e32 8, v44
; %bb.157:                              ;   in Loop: Header=BB248_9 Depth=1
	v_ffbh_u32_e32 v42, v42
	v_min_u32_e32 v44, 32, v42
	v_subrev_nc_u32_e32 v42, 28, v44
	v_lshlrev_b64 v[42:43], v42, v[1:2]
	v_sub_nc_u32_e32 v43, 29, v44
	v_and_b32_e32 v42, 7, v42
; %bb.158:                              ;   in Loop: Header=BB248_9 Depth=1
	s_or_b32 exec_lo, exec_lo, s34
	v_lshlrev_b32_e32 v44, 8, v1
	v_lshl_add_u32 v43, v43, 10, 0x2000
	v_lshlrev_b32_e32 v42, 7, v42
	v_and_b32_e32 v44, 0x8000, v44
	v_and_b32_e32 v43, 0xfc00, v43
	v_or3_b32 v42, v44, v43, v42
.LBB248_159:                            ;   in Loop: Header=BB248_9 Depth=1
	s_or_b32 exec_lo, exec_lo, s33
.LBB248_160:                            ;   in Loop: Header=BB248_9 Depth=1
	s_or_b32 exec_lo, exec_lo, s31
.LBB248_161:                            ;   in Loop: Header=BB248_9 Depth=1
	s_or_b32 exec_lo, exec_lo, s3
	v_lshrrev_b16 v1, 8, v1
	s_mov_b32 s3, exec_lo
	v_cmpx_ne_u16_e32 0, v1
	s_cbranch_execz .LBB248_169
; %bb.162:                              ;   in Loop: Header=BB248_9 Depth=1
	v_bfrev_b32_e32 v41, 1
	s_mov_b32 s31, exec_lo
	v_cmpx_ne_u16_e32 0x80, v1
	s_cbranch_execz .LBB248_168
; %bb.163:                              ;   in Loop: Header=BB248_9 Depth=1
	v_and_b32_sdwa v44, v1, v18 dst_sel:DWORD dst_unused:UNUSED_PAD src0_sel:WORD_0 src1_sel:DWORD
	v_mov_b32_e32 v41, 0x7c010000
	s_mov_b32 s33, exec_lo
	v_cmpx_ne_u32_e32 0x7f, v44
	s_cbranch_execz .LBB248_167
; %bb.164:                              ;   in Loop: Header=BB248_9 Depth=1
	v_and_b32_sdwa v41, v1, v19 dst_sel:DWORD dst_unused:UNUSED_PAD src0_sel:WORD_0 src1_sel:DWORD
	v_lshrrev_b32_e32 v43, 3, v44
	s_mov_b32 s34, exec_lo
	v_cmpx_gt_u32_e32 8, v44
; %bb.165:                              ;   in Loop: Header=BB248_9 Depth=1
	v_ffbh_u32_e32 v41, v41
	v_min_u32_e32 v41, 32, v41
	v_subrev_nc_u32_e32 v43, 28, v41
	v_lshlrev_b64 v[44:45], v43, v[1:2]
	v_sub_nc_u32_e32 v43, 29, v41
	v_and_b32_e32 v41, 7, v44
; %bb.166:                              ;   in Loop: Header=BB248_9 Depth=1
	s_or_b32 exec_lo, exec_lo, s34
	v_lshlrev_b32_sdwa v1, v20, v1 dst_sel:DWORD dst_unused:UNUSED_PAD src0_sel:DWORD src1_sel:WORD_0
	v_lshl_add_u32 v43, v43, 10, 0x2000
	v_lshlrev_b32_e32 v41, 23, v41
	v_and_or_b32 v1, 0x8000, v1, v43
	v_lshl_or_b32 v41, v1, 16, v41
.LBB248_167:                            ;   in Loop: Header=BB248_9 Depth=1
	s_or_b32 exec_lo, exec_lo, s33
.LBB248_168:                            ;   in Loop: Header=BB248_9 Depth=1
	s_or_b32 exec_lo, exec_lo, s31
.LBB248_169:                            ;   in Loop: Header=BB248_9 Depth=1
	s_or_b32 exec_lo, exec_lo, s3
	global_load_ushort v44, v[7:8], off offset:640
	v_mov_b32_e32 v43, 0
	s_waitcnt vmcnt(0)
	v_and_b32_e32 v1, 0xffff, v44
	v_cmp_ne_u16_sdwa s2, v44, v2 src0_sel:BYTE_0 src1_sel:DWORD
	v_mov_b32_e32 v44, 0
	s_and_saveexec_b32 s3, s2
	s_cbranch_execz .LBB248_177
; %bb.170:                              ;   in Loop: Header=BB248_9 Depth=1
	v_cmp_ne_u16_sdwa s2, v1, v17 src0_sel:BYTE_0 src1_sel:DWORD
	v_mov_b32_e32 v44, 0x8000
	s_and_saveexec_b32 s31, s2
	s_cbranch_execz .LBB248_176
; %bb.171:                              ;   in Loop: Header=BB248_9 Depth=1
	v_and_b32_e32 v46, 0x7f, v1
	v_mov_b32_e32 v44, 0x7c01
	s_mov_b32 s33, exec_lo
	v_cmpx_ne_u32_e32 0x7f, v46
	s_cbranch_execz .LBB248_175
; %bb.172:                              ;   in Loop: Header=BB248_9 Depth=1
	v_and_b32_e32 v44, 7, v1
	v_lshrrev_b32_e32 v45, 3, v46
	s_mov_b32 s34, exec_lo
	v_cmpx_gt_u32_e32 8, v46
; %bb.173:                              ;   in Loop: Header=BB248_9 Depth=1
	v_ffbh_u32_e32 v44, v44
	v_min_u32_e32 v46, 32, v44
	v_subrev_nc_u32_e32 v44, 28, v46
	v_lshlrev_b64 v[44:45], v44, v[1:2]
	v_sub_nc_u32_e32 v45, 29, v46
	v_and_b32_e32 v44, 7, v44
; %bb.174:                              ;   in Loop: Header=BB248_9 Depth=1
	s_or_b32 exec_lo, exec_lo, s34
	v_lshlrev_b32_e32 v46, 8, v1
	v_lshl_add_u32 v45, v45, 10, 0x2000
	v_lshlrev_b32_e32 v44, 7, v44
	v_and_b32_e32 v46, 0x8000, v46
	v_and_b32_e32 v45, 0xfc00, v45
	v_or3_b32 v44, v46, v45, v44
.LBB248_175:                            ;   in Loop: Header=BB248_9 Depth=1
	s_or_b32 exec_lo, exec_lo, s33
.LBB248_176:                            ;   in Loop: Header=BB248_9 Depth=1
	s_or_b32 exec_lo, exec_lo, s31
.LBB248_177:                            ;   in Loop: Header=BB248_9 Depth=1
	s_or_b32 exec_lo, exec_lo, s3
	v_lshrrev_b16 v1, 8, v1
	s_mov_b32 s3, exec_lo
	v_cmpx_ne_u16_e32 0, v1
	s_cbranch_execz .LBB248_185
; %bb.178:                              ;   in Loop: Header=BB248_9 Depth=1
	v_bfrev_b32_e32 v43, 1
	s_mov_b32 s31, exec_lo
	v_cmpx_ne_u16_e32 0x80, v1
	s_cbranch_execz .LBB248_184
; %bb.179:                              ;   in Loop: Header=BB248_9 Depth=1
	v_and_b32_sdwa v46, v1, v18 dst_sel:DWORD dst_unused:UNUSED_PAD src0_sel:WORD_0 src1_sel:DWORD
	v_mov_b32_e32 v43, 0x7c010000
	s_mov_b32 s33, exec_lo
	v_cmpx_ne_u32_e32 0x7f, v46
	s_cbranch_execz .LBB248_183
; %bb.180:                              ;   in Loop: Header=BB248_9 Depth=1
	v_and_b32_sdwa v43, v1, v19 dst_sel:DWORD dst_unused:UNUSED_PAD src0_sel:WORD_0 src1_sel:DWORD
	v_lshrrev_b32_e32 v45, 3, v46
	s_mov_b32 s34, exec_lo
	v_cmpx_gt_u32_e32 8, v46
; %bb.181:                              ;   in Loop: Header=BB248_9 Depth=1
	v_ffbh_u32_e32 v43, v43
	v_min_u32_e32 v43, 32, v43
	v_subrev_nc_u32_e32 v45, 28, v43
	v_lshlrev_b64 v[46:47], v45, v[1:2]
	v_sub_nc_u32_e32 v45, 29, v43
	v_and_b32_e32 v43, 7, v46
; %bb.182:                              ;   in Loop: Header=BB248_9 Depth=1
	s_or_b32 exec_lo, exec_lo, s34
	v_lshlrev_b32_sdwa v1, v20, v1 dst_sel:DWORD dst_unused:UNUSED_PAD src0_sel:DWORD src1_sel:WORD_0
	v_lshl_add_u32 v45, v45, 10, 0x2000
	v_lshlrev_b32_e32 v43, 23, v43
	v_and_or_b32 v1, 0x8000, v1, v45
	v_lshl_or_b32 v43, v1, 16, v43
.LBB248_183:                            ;   in Loop: Header=BB248_9 Depth=1
	s_or_b32 exec_lo, exec_lo, s33
.LBB248_184:                            ;   in Loop: Header=BB248_9 Depth=1
	s_or_b32 exec_lo, exec_lo, s31
.LBB248_185:                            ;   in Loop: Header=BB248_9 Depth=1
	s_or_b32 exec_lo, exec_lo, s3
	global_load_ushort v46, v[7:8], off offset:648
	v_mov_b32_e32 v45, 0
	s_waitcnt vmcnt(0)
	v_and_b32_e32 v1, 0xffff, v46
	v_cmp_ne_u16_sdwa s2, v46, v2 src0_sel:BYTE_0 src1_sel:DWORD
	v_mov_b32_e32 v46, 0
	s_and_saveexec_b32 s3, s2
	s_cbranch_execz .LBB248_193
; %bb.186:                              ;   in Loop: Header=BB248_9 Depth=1
	v_cmp_ne_u16_sdwa s2, v1, v17 src0_sel:BYTE_0 src1_sel:DWORD
	v_mov_b32_e32 v46, 0x8000
	s_and_saveexec_b32 s31, s2
	s_cbranch_execz .LBB248_192
; %bb.187:                              ;   in Loop: Header=BB248_9 Depth=1
	v_and_b32_e32 v48, 0x7f, v1
	v_mov_b32_e32 v46, 0x7c01
	s_mov_b32 s33, exec_lo
	v_cmpx_ne_u32_e32 0x7f, v48
	s_cbranch_execz .LBB248_191
; %bb.188:                              ;   in Loop: Header=BB248_9 Depth=1
	v_and_b32_e32 v46, 7, v1
	v_lshrrev_b32_e32 v47, 3, v48
	s_mov_b32 s34, exec_lo
	v_cmpx_gt_u32_e32 8, v48
; %bb.189:                              ;   in Loop: Header=BB248_9 Depth=1
	v_ffbh_u32_e32 v46, v46
	v_min_u32_e32 v48, 32, v46
	v_subrev_nc_u32_e32 v46, 28, v48
	v_lshlrev_b64 v[46:47], v46, v[1:2]
	v_sub_nc_u32_e32 v47, 29, v48
	v_and_b32_e32 v46, 7, v46
; %bb.190:                              ;   in Loop: Header=BB248_9 Depth=1
	s_or_b32 exec_lo, exec_lo, s34
	v_lshlrev_b32_e32 v48, 8, v1
	v_lshl_add_u32 v47, v47, 10, 0x2000
	v_lshlrev_b32_e32 v46, 7, v46
	v_and_b32_e32 v48, 0x8000, v48
	v_and_b32_e32 v47, 0xfc00, v47
	v_or3_b32 v46, v48, v47, v46
.LBB248_191:                            ;   in Loop: Header=BB248_9 Depth=1
	s_or_b32 exec_lo, exec_lo, s33
.LBB248_192:                            ;   in Loop: Header=BB248_9 Depth=1
	s_or_b32 exec_lo, exec_lo, s31
.LBB248_193:                            ;   in Loop: Header=BB248_9 Depth=1
	s_or_b32 exec_lo, exec_lo, s3
	v_lshrrev_b16 v1, 8, v1
	s_mov_b32 s3, exec_lo
	v_cmpx_ne_u16_e32 0, v1
	s_cbranch_execz .LBB248_201
; %bb.194:                              ;   in Loop: Header=BB248_9 Depth=1
	v_bfrev_b32_e32 v45, 1
	s_mov_b32 s31, exec_lo
	v_cmpx_ne_u16_e32 0x80, v1
	s_cbranch_execz .LBB248_200
; %bb.195:                              ;   in Loop: Header=BB248_9 Depth=1
	v_and_b32_sdwa v48, v1, v18 dst_sel:DWORD dst_unused:UNUSED_PAD src0_sel:WORD_0 src1_sel:DWORD
	v_mov_b32_e32 v45, 0x7c010000
	s_mov_b32 s33, exec_lo
	v_cmpx_ne_u32_e32 0x7f, v48
	s_cbranch_execz .LBB248_199
; %bb.196:                              ;   in Loop: Header=BB248_9 Depth=1
	v_and_b32_sdwa v45, v1, v19 dst_sel:DWORD dst_unused:UNUSED_PAD src0_sel:WORD_0 src1_sel:DWORD
	v_lshrrev_b32_e32 v47, 3, v48
	s_mov_b32 s34, exec_lo
	v_cmpx_gt_u32_e32 8, v48
; %bb.197:                              ;   in Loop: Header=BB248_9 Depth=1
	v_ffbh_u32_e32 v45, v45
	v_min_u32_e32 v45, 32, v45
	v_subrev_nc_u32_e32 v47, 28, v45
	v_lshlrev_b64 v[48:49], v47, v[1:2]
	v_sub_nc_u32_e32 v47, 29, v45
	v_and_b32_e32 v45, 7, v48
; %bb.198:                              ;   in Loop: Header=BB248_9 Depth=1
	s_or_b32 exec_lo, exec_lo, s34
	v_lshlrev_b32_sdwa v1, v20, v1 dst_sel:DWORD dst_unused:UNUSED_PAD src0_sel:DWORD src1_sel:WORD_0
	v_lshl_add_u32 v47, v47, 10, 0x2000
	v_lshlrev_b32_e32 v45, 23, v45
	v_and_or_b32 v1, 0x8000, v1, v47
	v_lshl_or_b32 v45, v1, 16, v45
.LBB248_199:                            ;   in Loop: Header=BB248_9 Depth=1
	s_or_b32 exec_lo, exec_lo, s33
.LBB248_200:                            ;   in Loop: Header=BB248_9 Depth=1
	s_or_b32 exec_lo, exec_lo, s31
.LBB248_201:                            ;   in Loop: Header=BB248_9 Depth=1
	s_or_b32 exec_lo, exec_lo, s3
	global_load_ushort v48, v[7:8], off offset:768
	v_mov_b32_e32 v47, 0
	s_waitcnt vmcnt(0)
	v_and_b32_e32 v1, 0xffff, v48
	v_cmp_ne_u16_sdwa s2, v48, v2 src0_sel:BYTE_0 src1_sel:DWORD
	v_mov_b32_e32 v48, 0
	s_and_saveexec_b32 s3, s2
	s_cbranch_execz .LBB248_209
; %bb.202:                              ;   in Loop: Header=BB248_9 Depth=1
	v_cmp_ne_u16_sdwa s2, v1, v17 src0_sel:BYTE_0 src1_sel:DWORD
	v_mov_b32_e32 v48, 0x8000
	s_and_saveexec_b32 s31, s2
	s_cbranch_execz .LBB248_208
; %bb.203:                              ;   in Loop: Header=BB248_9 Depth=1
	v_and_b32_e32 v50, 0x7f, v1
	v_mov_b32_e32 v48, 0x7c01
	s_mov_b32 s33, exec_lo
	v_cmpx_ne_u32_e32 0x7f, v50
	s_cbranch_execz .LBB248_207
; %bb.204:                              ;   in Loop: Header=BB248_9 Depth=1
	v_and_b32_e32 v48, 7, v1
	v_lshrrev_b32_e32 v49, 3, v50
	s_mov_b32 s34, exec_lo
	v_cmpx_gt_u32_e32 8, v50
; %bb.205:                              ;   in Loop: Header=BB248_9 Depth=1
	v_ffbh_u32_e32 v48, v48
	v_min_u32_e32 v50, 32, v48
	v_subrev_nc_u32_e32 v48, 28, v50
	v_lshlrev_b64 v[48:49], v48, v[1:2]
	v_sub_nc_u32_e32 v49, 29, v50
	v_and_b32_e32 v48, 7, v48
; %bb.206:                              ;   in Loop: Header=BB248_9 Depth=1
	s_or_b32 exec_lo, exec_lo, s34
	v_lshlrev_b32_e32 v50, 8, v1
	v_lshl_add_u32 v49, v49, 10, 0x2000
	v_lshlrev_b32_e32 v48, 7, v48
	v_and_b32_e32 v50, 0x8000, v50
	v_and_b32_e32 v49, 0xfc00, v49
	v_or3_b32 v48, v50, v49, v48
.LBB248_207:                            ;   in Loop: Header=BB248_9 Depth=1
	s_or_b32 exec_lo, exec_lo, s33
.LBB248_208:                            ;   in Loop: Header=BB248_9 Depth=1
	s_or_b32 exec_lo, exec_lo, s31
.LBB248_209:                            ;   in Loop: Header=BB248_9 Depth=1
	s_or_b32 exec_lo, exec_lo, s3
	v_lshrrev_b16 v1, 8, v1
	s_mov_b32 s3, exec_lo
	v_cmpx_ne_u16_e32 0, v1
	s_cbranch_execz .LBB248_217
; %bb.210:                              ;   in Loop: Header=BB248_9 Depth=1
	v_bfrev_b32_e32 v47, 1
	s_mov_b32 s31, exec_lo
	v_cmpx_ne_u16_e32 0x80, v1
	s_cbranch_execz .LBB248_216
; %bb.211:                              ;   in Loop: Header=BB248_9 Depth=1
	v_and_b32_sdwa v50, v1, v18 dst_sel:DWORD dst_unused:UNUSED_PAD src0_sel:WORD_0 src1_sel:DWORD
	v_mov_b32_e32 v47, 0x7c010000
	s_mov_b32 s33, exec_lo
	v_cmpx_ne_u32_e32 0x7f, v50
	s_cbranch_execz .LBB248_215
; %bb.212:                              ;   in Loop: Header=BB248_9 Depth=1
	v_and_b32_sdwa v47, v1, v19 dst_sel:DWORD dst_unused:UNUSED_PAD src0_sel:WORD_0 src1_sel:DWORD
	v_lshrrev_b32_e32 v49, 3, v50
	s_mov_b32 s34, exec_lo
	v_cmpx_gt_u32_e32 8, v50
; %bb.213:                              ;   in Loop: Header=BB248_9 Depth=1
	v_ffbh_u32_e32 v47, v47
	v_min_u32_e32 v47, 32, v47
	v_subrev_nc_u32_e32 v49, 28, v47
	v_lshlrev_b64 v[50:51], v49, v[1:2]
	v_sub_nc_u32_e32 v49, 29, v47
	v_and_b32_e32 v47, 7, v50
; %bb.214:                              ;   in Loop: Header=BB248_9 Depth=1
	s_or_b32 exec_lo, exec_lo, s34
	v_lshlrev_b32_sdwa v1, v20, v1 dst_sel:DWORD dst_unused:UNUSED_PAD src0_sel:DWORD src1_sel:WORD_0
	v_lshl_add_u32 v49, v49, 10, 0x2000
	v_lshlrev_b32_e32 v47, 23, v47
	v_and_or_b32 v1, 0x8000, v1, v49
	v_lshl_or_b32 v47, v1, 16, v47
.LBB248_215:                            ;   in Loop: Header=BB248_9 Depth=1
	s_or_b32 exec_lo, exec_lo, s33
.LBB248_216:                            ;   in Loop: Header=BB248_9 Depth=1
	s_or_b32 exec_lo, exec_lo, s31
.LBB248_217:                            ;   in Loop: Header=BB248_9 Depth=1
	s_or_b32 exec_lo, exec_lo, s3
	global_load_ushort v50, v[7:8], off offset:776
	v_mov_b32_e32 v49, 0
	s_waitcnt vmcnt(0)
	v_and_b32_e32 v1, 0xffff, v50
	v_cmp_ne_u16_sdwa s2, v50, v2 src0_sel:BYTE_0 src1_sel:DWORD
	v_mov_b32_e32 v50, 0
	s_and_saveexec_b32 s3, s2
	s_cbranch_execz .LBB248_225
; %bb.218:                              ;   in Loop: Header=BB248_9 Depth=1
	v_cmp_ne_u16_sdwa s2, v1, v17 src0_sel:BYTE_0 src1_sel:DWORD
	v_mov_b32_e32 v50, 0x8000
	s_and_saveexec_b32 s31, s2
	s_cbranch_execz .LBB248_224
; %bb.219:                              ;   in Loop: Header=BB248_9 Depth=1
	v_and_b32_e32 v52, 0x7f, v1
	v_mov_b32_e32 v50, 0x7c01
	s_mov_b32 s33, exec_lo
	v_cmpx_ne_u32_e32 0x7f, v52
	s_cbranch_execz .LBB248_223
; %bb.220:                              ;   in Loop: Header=BB248_9 Depth=1
	v_and_b32_e32 v50, 7, v1
	v_lshrrev_b32_e32 v51, 3, v52
	s_mov_b32 s34, exec_lo
	v_cmpx_gt_u32_e32 8, v52
; %bb.221:                              ;   in Loop: Header=BB248_9 Depth=1
	v_ffbh_u32_e32 v50, v50
	v_min_u32_e32 v52, 32, v50
	v_subrev_nc_u32_e32 v50, 28, v52
	v_lshlrev_b64 v[50:51], v50, v[1:2]
	v_sub_nc_u32_e32 v51, 29, v52
	v_and_b32_e32 v50, 7, v50
; %bb.222:                              ;   in Loop: Header=BB248_9 Depth=1
	s_or_b32 exec_lo, exec_lo, s34
	v_lshlrev_b32_e32 v52, 8, v1
	v_lshl_add_u32 v51, v51, 10, 0x2000
	v_lshlrev_b32_e32 v50, 7, v50
	v_and_b32_e32 v52, 0x8000, v52
	v_and_b32_e32 v51, 0xfc00, v51
	v_or3_b32 v50, v52, v51, v50
.LBB248_223:                            ;   in Loop: Header=BB248_9 Depth=1
	s_or_b32 exec_lo, exec_lo, s33
.LBB248_224:                            ;   in Loop: Header=BB248_9 Depth=1
	s_or_b32 exec_lo, exec_lo, s31
.LBB248_225:                            ;   in Loop: Header=BB248_9 Depth=1
	s_or_b32 exec_lo, exec_lo, s3
	v_lshrrev_b16 v1, 8, v1
	s_mov_b32 s3, exec_lo
	v_cmpx_ne_u16_e32 0, v1
	s_cbranch_execz .LBB248_233
; %bb.226:                              ;   in Loop: Header=BB248_9 Depth=1
	v_bfrev_b32_e32 v49, 1
	s_mov_b32 s31, exec_lo
	v_cmpx_ne_u16_e32 0x80, v1
	s_cbranch_execz .LBB248_232
; %bb.227:                              ;   in Loop: Header=BB248_9 Depth=1
	v_and_b32_sdwa v52, v1, v18 dst_sel:DWORD dst_unused:UNUSED_PAD src0_sel:WORD_0 src1_sel:DWORD
	v_mov_b32_e32 v49, 0x7c010000
	s_mov_b32 s33, exec_lo
	v_cmpx_ne_u32_e32 0x7f, v52
	s_cbranch_execz .LBB248_231
; %bb.228:                              ;   in Loop: Header=BB248_9 Depth=1
	v_and_b32_sdwa v49, v1, v19 dst_sel:DWORD dst_unused:UNUSED_PAD src0_sel:WORD_0 src1_sel:DWORD
	v_lshrrev_b32_e32 v51, 3, v52
	s_mov_b32 s34, exec_lo
	v_cmpx_gt_u32_e32 8, v52
; %bb.229:                              ;   in Loop: Header=BB248_9 Depth=1
	v_ffbh_u32_e32 v49, v49
	v_min_u32_e32 v49, 32, v49
	v_subrev_nc_u32_e32 v51, 28, v49
	v_lshlrev_b64 v[52:53], v51, v[1:2]
	v_sub_nc_u32_e32 v51, 29, v49
	v_and_b32_e32 v49, 7, v52
; %bb.230:                              ;   in Loop: Header=BB248_9 Depth=1
	s_or_b32 exec_lo, exec_lo, s34
	v_lshlrev_b32_sdwa v1, v20, v1 dst_sel:DWORD dst_unused:UNUSED_PAD src0_sel:DWORD src1_sel:WORD_0
	v_lshl_add_u32 v51, v51, 10, 0x2000
	v_lshlrev_b32_e32 v49, 23, v49
	v_and_or_b32 v1, 0x8000, v1, v51
	v_lshl_or_b32 v49, v1, 16, v49
.LBB248_231:                            ;   in Loop: Header=BB248_9 Depth=1
	s_or_b32 exec_lo, exec_lo, s33
.LBB248_232:                            ;   in Loop: Header=BB248_9 Depth=1
	s_or_b32 exec_lo, exec_lo, s31
.LBB248_233:                            ;   in Loop: Header=BB248_9 Depth=1
	s_or_b32 exec_lo, exec_lo, s3
	global_load_ushort v8, v[7:8], off offset:896
	v_mov_b32_e32 v7, 0
	s_waitcnt vmcnt(0)
	v_and_b32_e32 v1, 0xffff, v8
	v_cmp_ne_u16_sdwa s2, v8, v2 src0_sel:BYTE_0 src1_sel:DWORD
	v_mov_b32_e32 v8, 0
	s_and_saveexec_b32 s3, s2
	s_cbranch_execz .LBB248_241
; %bb.234:                              ;   in Loop: Header=BB248_9 Depth=1
	v_cmp_ne_u16_sdwa s2, v1, v17 src0_sel:BYTE_0 src1_sel:DWORD
	v_mov_b32_e32 v8, 0x8000
	s_and_saveexec_b32 s31, s2
	s_cbranch_execz .LBB248_240
; %bb.235:                              ;   in Loop: Header=BB248_9 Depth=1
	v_and_b32_e32 v52, 0x7f, v1
	v_mov_b32_e32 v8, 0x7c01
	s_mov_b32 s33, exec_lo
	v_cmpx_ne_u32_e32 0x7f, v52
	s_cbranch_execz .LBB248_239
; %bb.236:                              ;   in Loop: Header=BB248_9 Depth=1
	v_and_b32_e32 v8, 7, v1
	v_lshrrev_b32_e32 v51, 3, v52
	s_mov_b32 s34, exec_lo
	v_cmpx_gt_u32_e32 8, v52
; %bb.237:                              ;   in Loop: Header=BB248_9 Depth=1
	v_ffbh_u32_e32 v8, v8
	v_min_u32_e32 v8, 32, v8
	v_subrev_nc_u32_e32 v51, 28, v8
	v_lshlrev_b64 v[52:53], v51, v[1:2]
	v_sub_nc_u32_e32 v51, 29, v8
	v_and_b32_e32 v8, 7, v52
; %bb.238:                              ;   in Loop: Header=BB248_9 Depth=1
	s_or_b32 exec_lo, exec_lo, s34
	v_lshlrev_b32_e32 v52, 8, v1
	v_lshl_add_u32 v51, v51, 10, 0x2000
	v_lshlrev_b32_e32 v8, 7, v8
	v_and_b32_e32 v52, 0x8000, v52
	v_and_b32_e32 v51, 0xfc00, v51
	v_or3_b32 v8, v52, v51, v8
.LBB248_239:                            ;   in Loop: Header=BB248_9 Depth=1
	s_or_b32 exec_lo, exec_lo, s33
.LBB248_240:                            ;   in Loop: Header=BB248_9 Depth=1
	s_or_b32 exec_lo, exec_lo, s31
.LBB248_241:                            ;   in Loop: Header=BB248_9 Depth=1
	s_or_b32 exec_lo, exec_lo, s3
	v_lshrrev_b16 v1, 8, v1
	s_mov_b32 s3, exec_lo
	v_cmpx_ne_u16_e32 0, v1
	s_cbranch_execz .LBB248_249
; %bb.242:                              ;   in Loop: Header=BB248_9 Depth=1
	v_bfrev_b32_e32 v7, 1
	s_mov_b32 s31, exec_lo
	v_cmpx_ne_u16_e32 0x80, v1
	s_cbranch_execz .LBB248_248
; %bb.243:                              ;   in Loop: Header=BB248_9 Depth=1
	v_and_b32_sdwa v52, v1, v18 dst_sel:DWORD dst_unused:UNUSED_PAD src0_sel:WORD_0 src1_sel:DWORD
	v_mov_b32_e32 v7, 0x7c010000
	s_mov_b32 s33, exec_lo
	v_cmpx_ne_u32_e32 0x7f, v52
	s_cbranch_execz .LBB248_247
; %bb.244:                              ;   in Loop: Header=BB248_9 Depth=1
	v_and_b32_sdwa v7, v1, v19 dst_sel:DWORD dst_unused:UNUSED_PAD src0_sel:WORD_0 src1_sel:DWORD
	v_lshrrev_b32_e32 v51, 3, v52
	s_mov_b32 s34, exec_lo
	v_cmpx_gt_u32_e32 8, v52
; %bb.245:                              ;   in Loop: Header=BB248_9 Depth=1
	v_ffbh_u32_e32 v7, v7
	v_min_u32_e32 v7, 32, v7
	v_subrev_nc_u32_e32 v51, 28, v7
	v_lshlrev_b64 v[52:53], v51, v[1:2]
	v_sub_nc_u32_e32 v51, 29, v7
	v_and_b32_e32 v7, 7, v52
; %bb.246:                              ;   in Loop: Header=BB248_9 Depth=1
	s_or_b32 exec_lo, exec_lo, s34
	v_lshlrev_b32_sdwa v1, v20, v1 dst_sel:DWORD dst_unused:UNUSED_PAD src0_sel:DWORD src1_sel:WORD_0
	v_lshl_add_u32 v51, v51, 10, 0x2000
	v_lshlrev_b32_e32 v7, 23, v7
	v_and_or_b32 v1, 0x8000, v1, v51
	v_lshl_or_b32 v7, v1, 16, v7
.LBB248_247:                            ;   in Loop: Header=BB248_9 Depth=1
	s_or_b32 exec_lo, exec_lo, s33
.LBB248_248:                            ;   in Loop: Header=BB248_9 Depth=1
	s_or_b32 exec_lo, exec_lo, s31
.LBB248_249:                            ;   in Loop: Header=BB248_9 Depth=1
	s_or_b32 exec_lo, exec_lo, s3
	ds_read_b32 v1, v14
	v_or_b32_e32 v23, v24, v23
	v_fma_mixlo_f16 v24, v22, v24, 0 op_sel:[0,1,0] op_sel_hi:[0,1,0]
	v_or_b32_e32 v26, v25, v26
	v_fma_mixlo_f16 v25, v22, v25, 0 op_sel:[0,1,0] op_sel_hi:[0,1,0]
	v_or_b32_e32 v28, v27, v28
	v_fma_mixlo_f16 v23, v22, v23, 0 op_sel_hi:[0,1,0]
	v_and_b32_e32 v54, 0xffff, v24
	v_fma_mixlo_f16 v26, v22, v26, 0 op_sel_hi:[0,1,0]
	v_and_b32_e32 v55, 0xffff, v25
	;; [unrolled: 2-line block ×3, first 2 shown]
	v_fma_mixlo_f16 v27, v22, v27, 0 op_sel:[0,1,0] op_sel_hi:[0,1,0]
	v_or_b32_e32 v30, v29, v30
	v_fma_mixlo_f16 v29, v22, v29, 0 op_sel:[0,1,0] op_sel_hi:[0,1,0]
	v_and_b32_e32 v56, 0xffff, v28
	v_or_b32_e32 v32, v31, v32
	v_and_b32_e32 v57, 0xffff, v27
	v_fma_mixlo_f16 v30, v22, v30, 0 op_sel_hi:[0,1,0]
	v_and_b32_e32 v59, 0xffff, v29
	s_waitcnt lgkmcnt(0)
	v_and_b32_e32 v51, 0xffff, v1
	v_lshrrev_b32_e32 v52, 16, v1
	;;#ASMSTART
	v_cvt_f32_f16 v1, v51;
	;;#ASMEND
	;;#ASMSTART
	v_cvt_f32_f16 v23, v52;
	;;#ASMEND
	;; [unrolled: 3-line block ×4, first 2 shown]
	ds_read_b32 v52, v14 offset:4
	v_and_b32_e32 v54, 0xffff, v26
	v_and_b32_e32 v58, 0xffff, v30
	v_fma_mixlo_f16 v32, v22, v32, 0 op_sel_hi:[0,1,0]
	v_fma_mixlo_f16 v31, v22, v31, 0 op_sel:[0,1,0] op_sel_hi:[0,1,0]
	v_or_b32_e32 v34, v33, v34
	v_fma_mixlo_f16 v33, v22, v33, 0 op_sel:[0,1,0] op_sel_hi:[0,1,0]
	v_or_b32_e32 v36, v35, v36
	v_and_b32_e32 v60, 0xffff, v32
	v_and_b32_e32 v61, 0xffff, v31
	v_fma_mixlo_f16 v34, v22, v34, 0 op_sel_hi:[0,1,0]
	v_and_b32_e32 v63, 0xffff, v33
	v_fma_mixlo_f16 v36, v22, v36, 0 op_sel_hi:[0,1,0]
	v_fma_mixlo_f16 v35, v22, v35, 0 op_sel:[0,1,0] op_sel_hi:[0,1,0]
	v_or_b32_e32 v38, v37, v38
	v_and_b32_e32 v62, 0xffff, v34
	v_fma_mixlo_f16 v37, v22, v37, 0 op_sel:[0,1,0] op_sel_hi:[0,1,0]
	v_and_b32_e32 v64, 0xffff, v36
	v_and_b32_e32 v65, 0xffff, v35
	v_fma_mixlo_f16 v38, v22, v38, 0 op_sel_hi:[0,1,0]
	s_waitcnt lgkmcnt(0)
	v_and_b32_e32 v53, 0xffff, v52
	v_lshrrev_b32_e32 v52, 16, v52
	;;#ASMSTART
	v_cvt_f32_f16 v25, v53;
	;;#ASMEND
	;;#ASMSTART
	v_cvt_f32_f16 v26, v52;
	;;#ASMEND
	;; [unrolled: 3-line block ×4, first 2 shown]
	ds_read_b32 v54, v14 offset:8
	v_and_b32_e32 v66, 0xffff, v38
	v_and_b32_e32 v67, 0xffff, v37
	v_or_b32_e32 v40, v39, v40
	v_fma_mixlo_f16 v39, v22, v39, 0 op_sel:[0,1,0] op_sel_hi:[0,1,0]
	v_or_b32_e32 v42, v41, v42
	v_fma_mixlo_f16 v41, v22, v41, 0 op_sel:[0,1,0] op_sel_hi:[0,1,0]
	v_or_b32_e32 v44, v43, v44
	v_fma_mixlo_f16 v40, v22, v40, 0 op_sel_hi:[0,1,0]
	v_and_b32_e32 v69, 0xffff, v39
	v_fma_mixlo_f16 v42, v22, v42, 0 op_sel_hi:[0,1,0]
	v_and_b32_e32 v71, 0xffff, v41
	;; [unrolled: 2-line block ×3, first 2 shown]
	v_fma_mixlo_f16 v43, v22, v43, 0 op_sel:[0,1,0] op_sel_hi:[0,1,0]
	v_and_b32_e32 v70, 0xffff, v42
	v_or_b32_e32 v46, v45, v46
	v_and_b32_e32 v72, 0xffff, v44
	v_mul_f32_e32 v25, v25, v52
	v_and_b32_e32 v73, 0xffff, v43
	s_waitcnt lgkmcnt(0)
	v_and_b32_e32 v55, 0xffff, v54
	v_lshrrev_b32_e32 v54, 16, v54
	;;#ASMSTART
	v_cvt_f32_f16 v27, v55;
	;;#ASMEND
	;;#ASMSTART
	v_cvt_f32_f16 v28, v54;
	;;#ASMEND
	;; [unrolled: 3-line block ×4, first 2 shown]
	ds_read_b32 v56, v14 offset:12
	v_mul_f32_e32 v26, v26, v53
	v_fma_mixlo_f16 v46, v22, v46, 0 op_sel_hi:[0,1,0]
	v_fma_mixlo_f16 v45, v22, v45, 0 op_sel:[0,1,0] op_sel_hi:[0,1,0]
	v_fmac_f32_e32 v25, v1, v24
	v_or_b32_e32 v48, v47, v48
	v_fmac_f32_e32 v26, v23, v51
	v_and_b32_e32 v74, 0xffff, v46
	v_and_b32_e32 v75, 0xffff, v45
	v_fmac_f32_e32 v25, v27, v54
	v_fma_mixlo_f16 v1, v22, v48, 0 op_sel_hi:[0,1,0]
	v_fmac_f32_e32 v26, v28, v55
	v_fma_mixlo_f16 v47, v22, v47, 0 op_sel:[0,1,0] op_sel_hi:[0,1,0]
	v_or_b32_e32 v8, v7, v8
	v_fma_mixlo_f16 v7, v22, v7, 0 op_sel:[0,1,0] op_sel_hi:[0,1,0]
	v_and_b32_e32 v27, 0xffff, v1
	v_and_b32_e32 v47, 0xffff, v47
	v_fma_mixlo_f16 v8, v22, v8, 0 op_sel_hi:[0,1,0]
	s_waitcnt lgkmcnt(0)
	v_and_b32_e32 v57, 0xffff, v56
	v_lshrrev_b32_e32 v56, 16, v56
	;;#ASMSTART
	v_cvt_f32_f16 v29, v57;
	;;#ASMEND
	;;#ASMSTART
	v_cvt_f32_f16 v30, v56;
	;;#ASMEND
	;; [unrolled: 3-line block ×4, first 2 shown]
	ds_read_b32 v58, v14 offset:16
	v_fmac_f32_e32 v25, v29, v56
	v_fmac_f32_e32 v26, v30, v57
	v_or_b32_e32 v29, v49, v50
	v_fma_mixlo_f16 v30, v22, v49, 0 op_sel:[0,1,0] op_sel_hi:[0,1,0]
	v_fma_mixlo_f16 v29, v22, v29, 0 op_sel_hi:[0,1,0]
	s_waitcnt lgkmcnt(0)
	v_and_b32_e32 v59, 0xffff, v58
	v_lshrrev_b32_e32 v58, 16, v58
	;;#ASMSTART
	v_cvt_f32_f16 v31, v59;
	;;#ASMEND
	;;#ASMSTART
	v_cvt_f32_f16 v32, v58;
	;;#ASMEND
	;; [unrolled: 3-line block ×4, first 2 shown]
	ds_read_b32 v60, v14 offset:20
	v_fmac_f32_e32 v25, v31, v58
	v_fmac_f32_e32 v26, v32, v59
	v_and_b32_e32 v31, 0xffff, v30
	s_waitcnt lgkmcnt(0)
	v_and_b32_e32 v61, 0xffff, v60
	v_lshrrev_b32_e32 v60, 16, v60
	;;#ASMSTART
	v_cvt_f32_f16 v33, v61;
	;;#ASMEND
	;;#ASMSTART
	v_cvt_f32_f16 v34, v60;
	;;#ASMEND
	;; [unrolled: 3-line block ×4, first 2 shown]
	ds_read_b32 v62, v14 offset:24
	v_fmac_f32_e32 v25, v33, v60
	v_fmac_f32_e32 v26, v34, v61
	v_and_b32_e32 v33, 0xffff, v29
	v_and_b32_e32 v34, 0xffff, v7
	s_waitcnt lgkmcnt(0)
	v_and_b32_e32 v63, 0xffff, v62
	v_lshrrev_b32_e32 v62, 16, v62
	;;#ASMSTART
	v_cvt_f32_f16 v35, v63;
	;;#ASMEND
	;;#ASMSTART
	v_cvt_f32_f16 v36, v62;
	;;#ASMEND
	;;#ASMSTART
	v_cvt_f32_f16 v62, v64;
	;;#ASMEND
	;;#ASMSTART
	v_cvt_f32_f16 v63, v65;
	;;#ASMEND
	ds_read_b32 v64, v14 offset:28
	v_fmac_f32_e32 v25, v35, v62
	v_fmac_f32_e32 v26, v36, v63
	s_waitcnt lgkmcnt(0)
	v_and_b32_e32 v65, 0xffff, v64
	v_lshrrev_b32_e32 v64, 16, v64
	;;#ASMSTART
	v_cvt_f32_f16 v37, v65;
	;;#ASMEND
	;;#ASMSTART
	v_cvt_f32_f16 v38, v64;
	;;#ASMEND
	;;#ASMSTART
	v_cvt_f32_f16 v64, v66;
	;;#ASMEND
	;;#ASMSTART
	v_cvt_f32_f16 v65, v67;
	;;#ASMEND
	ds_read_b32 v66, v14 offset:32
	v_fmac_f32_e32 v25, v37, v64
	v_fmac_f32_e32 v26, v38, v65
	;; [unrolled: 18-line block ×7, first 2 shown]
	v_and_b32_e32 v23, 0xffff, v8
	s_waitcnt lgkmcnt(0)
	v_and_b32_e32 v30, 0xffff, v28
	v_lshrrev_b32_e32 v32, 16, v28
	;;#ASMSTART
	v_cvt_f32_f16 v28, v30;
	;;#ASMEND
	;;#ASMSTART
	v_cvt_f32_f16 v29, v32;
	;;#ASMEND
	;; [unrolled: 3-line block ×4, first 2 shown]
	ds_read_b32 v32, v14 offset:56
	v_xor_b32_e32 v33, 2, v10
	v_fmac_f32_e32 v25, v28, v30
	v_fmac_f32_e32 v26, v29, v31
	v_cmp_gt_i32_e64 s2, 32, v33
	v_cndmask_b32_e64 v7, v10, v33, s2
	s_waitcnt lgkmcnt(0)
	v_and_b32_e32 v1, 0xffff, v32
	v_lshrrev_b32_e32 v22, 16, v32
	;;#ASMSTART
	v_cvt_f32_f16 v1, v1;
	;;#ASMEND
	;;#ASMSTART
	v_cvt_f32_f16 v8, v22;
	;;#ASMEND
	;; [unrolled: 3-line block ×4, first 2 shown]
	v_fmac_f32_e32 v25, v1, v22
	v_fmac_f32_e32 v26, v8, v23
	v_lshlrev_b32_e32 v1, 2, v7
	v_xor_b32_e32 v8, 1, v10
	v_add_f32_e32 v7, v25, v26
	v_cmp_gt_i32_e64 s2, 32, v8
	ds_bpermute_b32 v1, v1, v7
	v_cndmask_b32_e64 v8, v10, v8, s2
	s_waitcnt lgkmcnt(0)
	v_add_f32_e32 v1, v7, v1
	v_lshlrev_b32_e32 v7, 2, v8
	ds_bpermute_b32 v7, v7, v1
	s_and_saveexec_b32 s3, vcc_lo
	s_cbranch_execz .LBB248_8
; %bb.250:                              ;   in Loop: Header=BB248_9 Depth=1
	v_add_nc_u32_e32 v8, s4, v15
	s_waitcnt lgkmcnt(0)
	v_add_f32_e32 v1, v1, v7
	v_cmp_gt_i32_e64 s2, s11, v15
	v_cvt_f32_i32_e32 v8, v8
	v_mul_f32_e32 v8, s28, v8
	v_cndmask_b32_e64 v7, 0, v8, s1
	v_max_f32_e32 v8, v12, v12
	v_fmac_f32_e32 v7, s29, v1
	v_max_f32_e32 v1, v8, v7
	v_cndmask_b32_e64 v7, 0, v7, s2
	v_cndmask_b32_e64 v12, v12, v1, s2
	ds_write_b32 v16, v7
	s_branch .LBB248_8
.LBB248_251:
	s_or_b32 exec_lo, exec_lo, s5
.LBB248_252:
	s_or_b32 exec_lo, exec_lo, s19
	v_xor_b32_e32 v1, 16, v10
	v_xor_b32_e32 v4, 8, v10
	v_max_f32_e32 v5, v12, v12
	v_cmp_lt_i32_e32 vcc_lo, v1, v13
	v_cndmask_b32_e32 v1, v10, v1, vcc_lo
	v_cmp_lt_i32_e32 vcc_lo, v4, v13
	v_lshlrev_b32_e32 v1, 2, v1
	v_cndmask_b32_e32 v4, v10, v4, vcc_lo
	ds_bpermute_b32 v3, v1, v12
	v_and_b32_e32 v12, 31, v0
	s_waitcnt lgkmcnt(0)
	v_max_f32_e32 v6, v3, v3
	v_lshlrev_b32_e32 v3, 2, v4
	v_max_f32_e32 v4, v5, v6
	v_xor_b32_e32 v6, 4, v10
	ds_bpermute_b32 v5, v3, v4
	v_cmp_lt_i32_e32 vcc_lo, v6, v13
	v_cndmask_b32_e32 v6, v10, v6, vcc_lo
	v_cmp_eq_u32_e32 vcc_lo, 0, v12
	v_lshlrev_b32_e32 v6, 2, v6
	s_waitcnt lgkmcnt(0)
	v_max_f32_e32 v5, v5, v5
	v_max_f32_e32 v5, v4, v5
	v_lshlrev_b32_e32 v4, 2, v11
	ds_bpermute_b32 v7, v6, v5
	s_and_saveexec_b32 s1, vcc_lo
	s_cbranch_execz .LBB248_254
; %bb.253:
	s_waitcnt lgkmcnt(0)
	v_max_f32_e32 v7, v7, v7
	v_max_f32_e32 v5, v5, v5
	;; [unrolled: 1-line block ×3, first 2 shown]
	ds_write_b32 v4, v5 offset:240
.LBB248_254:
	s_or_b32 exec_lo, exec_lo, s1
	v_cmp_gt_u32_e64 s1, 4, v12
	v_mov_b32_e32 v8, 0xff7fffff
	v_lshlrev_b32_e32 v5, 2, v12
	s_waitcnt lgkmcnt(0)
	s_barrier
	buffer_gl0_inv
	s_and_saveexec_b32 s2, s1
; %bb.255:
	ds_read_b32 v8, v5 offset:240
; %bb.256:
	s_or_b32 exec_lo, exec_lo, s2
	v_xor_b32_e32 v7, 2, v10
	v_xor_b32_e32 v15, 1, v10
	s_waitcnt lgkmcnt(0)
	v_max_f32_e32 v16, v8, v8
	v_lshlrev_b32_e32 v2, 2, v2
	v_cmp_lt_i32_e64 s2, v7, v13
	v_cndmask_b32_e64 v7, v10, v7, s2
	v_cmp_lt_i32_e64 s2, v15, v13
	v_lshlrev_b32_e32 v7, 2, v7
	ds_bpermute_b32 v14, v7, v8
	v_cndmask_b32_e64 v8, v10, v15, s2
	s_lshl_b32 s2, s16, 3
	s_min_i32 s4, s2, s11
	v_lshlrev_b32_e32 v8, 2, v8
	v_cmp_gt_i32_e64 s2, s4, v0
	s_waitcnt lgkmcnt(0)
	v_max_f32_e32 v13, v14, v14
	v_max_f32_e32 v13, v16, v13
	ds_bpermute_b32 v14, v8, v13
	s_waitcnt lgkmcnt(0)
	v_max_f32_e32 v14, v14, v14
	v_max_f32_e32 v13, v13, v14
	ds_bpermute_b32 v14, v2, v13
	v_mov_b32_e32 v2, 0
	v_lshl_add_u32 v13, v0, 2, 0x110
	s_and_saveexec_b32 s5, s2
	s_cbranch_execz .LBB248_260
; %bb.257:
	v_lshl_add_u32 v15, v0, 2, 0x110
	v_mov_b32_e32 v2, 0
	v_mov_b32_e32 v16, v0
	s_mov_b32 s12, 0
	.p2align	6
.LBB248_258:                            ; =>This Inner Loop Header: Depth=1
	ds_read_b32 v17, v15
	v_add_nc_u32_e32 v16, 0x80, v16
	v_cmp_le_i32_e64 s3, s4, v16
	s_or_b32 s12, s3, s12
	s_waitcnt lgkmcnt(0)
	v_sub_f32_e32 v17, v17, v14
	v_mul_f32_e32 v17, 0x3fb8aa3b, v17
	v_exp_f32_e32 v17, v17
	ds_write_b32 v15, v17
	v_add_f32_e32 v2, v2, v17
	v_add_nc_u32_e32 v15, 0x200, v15
	s_andn2_b32 exec_lo, exec_lo, s12
	s_cbranch_execnz .LBB248_258
; %bb.259:
	s_or_b32 exec_lo, exec_lo, s12
.LBB248_260:
	s_or_b32 exec_lo, exec_lo, s5
	ds_bpermute_b32 v1, v1, v2
	s_waitcnt lgkmcnt(0)
	v_add_f32_e32 v1, v2, v1
	ds_bpermute_b32 v2, v3, v1
	s_waitcnt lgkmcnt(0)
	v_add_f32_e32 v1, v1, v2
	;; [unrolled: 3-line block ×5, first 2 shown]
	s_and_saveexec_b32 s3, vcc_lo
; %bb.261:
	ds_write_b32 v4, v1 offset:256
; %bb.262:
	s_or_b32 exec_lo, exec_lo, s3
	s_waitcnt lgkmcnt(0)
	s_barrier
	buffer_gl0_inv
	s_and_saveexec_b32 s3, s1
; %bb.263:
	ds_read_b32 v1, v5 offset:256
; %bb.264:
	s_or_b32 exec_lo, exec_lo, s3
	s_waitcnt lgkmcnt(0)
	ds_bpermute_b32 v2, v7, v1
	v_lshlrev_b32_e32 v3, 2, v10
	s_waitcnt lgkmcnt(0)
	v_add_f32_e32 v1, v1, v2
	ds_bpermute_b32 v2, v8, v1
	s_waitcnt lgkmcnt(0)
	v_add_f32_e32 v1, v1, v2
	v_and_b32_e32 v2, 0xffffff80, v3
	ds_bpermute_b32 v1, v2, v1
	s_and_saveexec_b32 s1, s2
	s_cbranch_execz .LBB248_267
; %bb.265:
	s_waitcnt lgkmcnt(0)
	v_add_f32_e32 v2, 0x358637bd, v1
	s_mov_b32 s2, 0
	v_div_scale_f32 v1, null, v2, v2, 1.0
	v_div_scale_f32 v5, vcc_lo, 1.0, v2, 1.0
	v_rcp_f32_e32 v3, v1
	v_fma_f32 v4, -v1, v3, 1.0
	v_fmac_f32_e32 v3, v4, v3
	v_mul_f32_e32 v4, v5, v3
	v_fma_f32 v6, -v1, v4, v5
	v_fmac_f32_e32 v4, v6, v3
	v_fma_f32 v1, -v1, v4, v5
	v_div_fmas_f32 v3, v1, v3, v4
	v_mov_b32_e32 v1, v13
	v_div_fixup_f32 v2, v3, v2, 1.0
	v_mov_b32_e32 v3, v0
.LBB248_266:                            ; =>This Inner Loop Header: Depth=1
	ds_read_b32 v4, v1
	v_add_nc_u32_e32 v3, 0x80, v3
	v_cmp_le_i32_e32 vcc_lo, s4, v3
	s_or_b32 s2, vcc_lo, s2
	s_waitcnt lgkmcnt(0)
	v_mul_f32_e32 v4, v2, v4
	ds_write_b32 v1, v4
	v_add_nc_u32_e32 v1, 0x200, v1
	s_andn2_b32 exec_lo, exec_lo, s2
	s_cbranch_execnz .LBB248_266
.LBB248_267:
	s_or_b32 exec_lo, exec_lo, s1
	v_mov_b32_e32 v17, 0
	v_mov_b32_e32 v16, 0
	v_mov_b32_e32 v15, 0
	v_mov_b32_e32 v14, 0
	s_waitcnt lgkmcnt(0)
	s_barrier
	buffer_gl0_inv
	s_and_saveexec_b32 s12, s0
	s_cbranch_execz .LBB248_537
; %bb.268:
	v_or_b32_e32 v1, 0x60, v12
	s_ashr_i32 s0, s18, 31
	s_add_u32 s2, s26, s18
	s_addc_u32 s3, s27, s0
	s_lshl_b64 s[0:1], s[24:25], 2
	v_cmp_gt_u32_e32 vcc_lo, 0x78, v1
	v_lshlrev_b32_e32 v19, 3, v1
	v_and_b32_e32 v1, 0x7c, v9
	s_mov_b32 s13, s17
	s_add_i32 s17, s16, -1
	s_add_u32 s0, s22, s0
	s_addc_u32 s1, s23, s1
	v_add_co_u32 v3, s0, s0, v1
	v_lshlrev_b32_e32 v18, 3, v12
	v_mov_b32_e32 v2, 0
	v_lshl_or_b32 v20, v11, 3, 7
	v_lshl_add_u32 v21, v11, 5, 0x110
	v_add_co_ci_u32_e64 v4, null, s1, 0, s0
	v_mov_b32_e32 v22, 0x80
	v_mov_b32_e32 v23, 0x7f
	;; [unrolled: 1-line block ×9, first 2 shown]
	s_mov_b32 s4, -1
	s_mov_b32 s5, 0xffffff
	s_mov_b32 s18, 0
	s_branch .LBB248_271
.LBB248_269:                            ;   in Loop: Header=BB248_271 Depth=1
	s_or_b32 exec_lo, exec_lo, s1
	;;#ASMSTART
	v_pk_mul_f16 v1, v33, v41;

	;;#ASMEND
	;;#ASMSTART
	v_pk_mul_f16 v5, v32, v40;

	;;#ASMEND
	;; [unrolled: 4-line block ×4, first 2 shown]
	;;#ASMSTART
	v_pk_add_f16 v1, v1, v5;

	;;#ASMEND
	;;#ASMSTART
	v_pk_add_f16 v1, v1, v6;

	;;#ASMEND
	;; [unrolled: 4-line block ×3, first 2 shown]
	v_and_b32_e32 v5, 0xffff, v1
	v_lshrrev_b32_e32 v6, 16, v1
	;;#ASMSTART
	v_cvt_f32_f16 v1, v5;
	;;#ASMEND
	;;#ASMSTART
	v_cvt_f32_f16 v5, v6;
	;;#ASMEND
	v_add_f32_e32 v1, v1, v5
	v_add_f32_e32 v14, v14, v1
.LBB248_270:                            ;   in Loop: Header=BB248_271 Depth=1
	s_or_b32 exec_lo, exec_lo, s19
	v_add_nc_u32_e32 v26, 4, v26
	v_add_f32_e32 v1, v7, v8
	v_add_f32_e32 v5, v9, v10
	;; [unrolled: 1-line block ×3, first 2 shown]
	v_add_co_u32 v3, s1, v3, 16
	v_cmp_le_i32_e64 s0, s16, v26
	v_add_f32_e32 v15, v15, v1
	v_add_f32_e32 v16, v16, v5
	;; [unrolled: 1-line block ×3, first 2 shown]
	v_add_nc_u32_e32 v20, 32, v20
	v_add_nc_u32_e32 v21, 0x80, v21
	v_add_co_ci_u32_e64 v4, null, 0, v4, s1
	s_or_b32 s18, s0, s18
	s_andn2_b32 exec_lo, exec_lo, s18
	s_cbranch_execz .LBB248_536
.LBB248_271:                            ; =>This Inner Loop Header: Depth=1
	global_load_dword v1, v[3:4], off
	ds_read2_b64 v[7:10], v21 offset1:1
	ds_read2_b64 v[33:36], v21 offset0:2 offset1:3
	v_mov_b32_e32 v37, 0
	s_waitcnt lgkmcnt(1)
	;;#ASMSTART
	v_cvt_f16_f32 v31, v7;

	;;#ASMEND
	;;#ASMSTART
	v_cvt_f16_f32 v28, v8;

	;;#ASMEND
	;; [unrolled: 4-line block ×4, first 2 shown]
	s_waitcnt lgkmcnt(0)
	;;#ASMSTART
	v_cvt_f16_f32 v33, v33;

	;;#ASMEND
	;;#ASMSTART
	v_cvt_f16_f32 v30, v34;

	;;#ASMEND
	;; [unrolled: 4-line block ×4, first 2 shown]
	s_waitcnt vmcnt(0)
	v_mad_i64_i32 v[5:6], null, v1, s13, s[2:3]
	v_add_co_u32 v7, s0, v5, v18
	v_add_co_ci_u32_e64 v8, null, 0, v6, s0
	global_load_dwordx2 v[9:10], v[7:8], off
	global_load_dword v36, v2, s[14:15]
	s_waitcnt vmcnt(1)
	v_cmp_ne_u16_sdwa s0, v9, v2 src0_sel:BYTE_0 src1_sel:DWORD
	s_and_saveexec_b32 s1, s0
	s_cbranch_execz .LBB248_279
; %bb.272:                              ;   in Loop: Header=BB248_271 Depth=1
	v_cmp_ne_u16_sdwa s0, v9, v22 src0_sel:BYTE_0 src1_sel:DWORD
	v_mov_b32_e32 v37, 0x8000
	s_and_saveexec_b32 s19, s0
	s_cbranch_execz .LBB248_278
; %bb.273:                              ;   in Loop: Header=BB248_271 Depth=1
	v_and_b32_e32 v38, 0x7f, v9
	v_mov_b32_e32 v37, 0x7c01
	s_mov_b32 s22, exec_lo
	v_cmpx_ne_u32_e32 0x7f, v38
	s_cbranch_execz .LBB248_277
; %bb.274:                              ;   in Loop: Header=BB248_271 Depth=1
	v_and_b32_e32 v1, 7, v9
	v_lshrrev_b32_e32 v27, 3, v38
	s_mov_b32 s23, exec_lo
	v_cmpx_gt_u32_e32 8, v38
; %bb.275:                              ;   in Loop: Header=BB248_271 Depth=1
	v_ffbh_u32_e32 v1, v1
	v_min_u32_e32 v1, 32, v1
	v_subrev_nc_u32_e32 v27, 28, v1
	v_lshlrev_b64 v[37:38], v27, v[9:10]
	v_sub_nc_u32_e32 v27, 29, v1
	v_and_b32_e32 v1, 7, v37
; %bb.276:                              ;   in Loop: Header=BB248_271 Depth=1
	s_or_b32 exec_lo, exec_lo, s23
	v_lshlrev_b32_e32 v37, 8, v9
	v_lshl_add_u32 v27, v27, 10, 0x2000
	v_lshlrev_b32_e32 v1, 7, v1
	v_and_b32_e32 v37, 0x8000, v37
	v_and_b32_e32 v27, 0xfc00, v27
	v_or3_b32 v37, v37, v27, v1
.LBB248_277:                            ;   in Loop: Header=BB248_271 Depth=1
	s_or_b32 exec_lo, exec_lo, s22
.LBB248_278:                            ;   in Loop: Header=BB248_271 Depth=1
	s_or_b32 exec_lo, exec_lo, s19
.LBB248_279:                            ;   in Loop: Header=BB248_271 Depth=1
	s_or_b32 exec_lo, exec_lo, s1
	v_lshrrev_b16 v1, 8, v9
	v_mov_b32_e32 v27, 0
	v_mov_b32_e32 v38, 0
	s_mov_b32 s1, exec_lo
	v_cmpx_ne_u16_e32 0, v1
	s_cbranch_execz .LBB248_287
; %bb.280:                              ;   in Loop: Header=BB248_271 Depth=1
	v_bfrev_b32_e32 v38, 1
	s_mov_b32 s19, exec_lo
	v_cmpx_ne_u16_e32 0x80, v1
	s_cbranch_execz .LBB248_286
; %bb.281:                              ;   in Loop: Header=BB248_271 Depth=1
	v_and_b32_sdwa v40, v1, v23 dst_sel:DWORD dst_unused:UNUSED_PAD src0_sel:WORD_0 src1_sel:DWORD
	v_mov_b32_e32 v38, 0x7c010000
	s_mov_b32 s22, exec_lo
	v_cmpx_ne_u32_e32 0x7f, v40
	s_cbranch_execz .LBB248_285
; %bb.282:                              ;   in Loop: Header=BB248_271 Depth=1
	v_and_b32_sdwa v38, v1, v24 dst_sel:DWORD dst_unused:UNUSED_PAD src0_sel:WORD_0 src1_sel:DWORD
	v_lshrrev_b32_e32 v39, 3, v40
	s_mov_b32 s23, exec_lo
	v_cmpx_gt_u32_e32 8, v40
; %bb.283:                              ;   in Loop: Header=BB248_271 Depth=1
	v_ffbh_u32_e32 v38, v38
	v_min_u32_e32 v40, 32, v38
	v_subrev_nc_u32_e32 v38, 28, v40
	v_lshlrev_b64 v[38:39], v38, v[1:2]
	v_sub_nc_u32_e32 v39, 29, v40
	v_and_b32_e32 v38, 7, v38
; %bb.284:                              ;   in Loop: Header=BB248_271 Depth=1
	s_or_b32 exec_lo, exec_lo, s23
	v_lshlrev_b32_sdwa v1, v25, v1 dst_sel:DWORD dst_unused:UNUSED_PAD src0_sel:DWORD src1_sel:WORD_0
	v_lshl_add_u32 v39, v39, 10, 0x2000
	v_lshlrev_b32_e32 v38, 23, v38
	v_and_or_b32 v1, 0x8000, v1, v39
	v_lshl_or_b32 v38, v1, 16, v38
.LBB248_285:                            ;   in Loop: Header=BB248_271 Depth=1
	s_or_b32 exec_lo, exec_lo, s22
.LBB248_286:                            ;   in Loop: Header=BB248_271 Depth=1
	s_or_b32 exec_lo, exec_lo, s19
.LBB248_287:                            ;   in Loop: Header=BB248_271 Depth=1
	s_or_b32 exec_lo, exec_lo, s1
	v_lshrrev_b32_e32 v1, 16, v9
	v_cmp_ne_u16_sdwa s0, v1, v2 src0_sel:BYTE_0 src1_sel:DWORD
	s_and_saveexec_b32 s1, s0
	s_cbranch_execz .LBB248_295
; %bb.288:                              ;   in Loop: Header=BB248_271 Depth=1
	v_cmp_ne_u16_sdwa s0, v1, v22 src0_sel:BYTE_0 src1_sel:DWORD
	v_mov_b32_e32 v27, 0x8000
	s_and_saveexec_b32 s19, s0
	s_cbranch_execz .LBB248_294
; %bb.289:                              ;   in Loop: Header=BB248_271 Depth=1
	v_bfe_u32 v40, v9, 16, 7
	v_mov_b32_e32 v27, 0x7c01
	s_mov_b32 s22, exec_lo
	v_cmpx_ne_u32_e32 0x7f, v40
	s_cbranch_execz .LBB248_293
; %bb.290:                              ;   in Loop: Header=BB248_271 Depth=1
	v_and_b32_e32 v27, 7, v1
	v_lshrrev_b32_e32 v39, 3, v40
	s_mov_b32 s23, exec_lo
	v_cmpx_gt_u32_e32 8, v40
; %bb.291:                              ;   in Loop: Header=BB248_271 Depth=1
	v_ffbh_u32_e32 v27, v27
	v_min_u32_e32 v27, 32, v27
	v_subrev_nc_u32_e32 v39, 28, v27
	v_lshlrev_b64 v[40:41], v39, v[1:2]
	v_sub_nc_u32_e32 v39, 29, v27
	v_and_b32_e32 v27, 7, v40
; %bb.292:                              ;   in Loop: Header=BB248_271 Depth=1
	s_or_b32 exec_lo, exec_lo, s23
	v_lshlrev_b32_e32 v1, 8, v1
	v_lshl_add_u32 v39, v39, 10, 0x2000
	v_lshlrev_b32_e32 v27, 7, v27
	v_and_b32_e32 v1, 0x8000, v1
	v_and_b32_e32 v39, 0xfc00, v39
	v_or3_b32 v27, v1, v39, v27
.LBB248_293:                            ;   in Loop: Header=BB248_271 Depth=1
	s_or_b32 exec_lo, exec_lo, s22
.LBB248_294:                            ;   in Loop: Header=BB248_271 Depth=1
	s_or_b32 exec_lo, exec_lo, s19
.LBB248_295:                            ;   in Loop: Header=BB248_271 Depth=1
	s_or_b32 exec_lo, exec_lo, s1
	v_mov_b32_e32 v39, 0
	v_mov_b32_e32 v40, 0
	s_mov_b32 s1, exec_lo
	v_cmpx_lt_u32_e32 0xffffff, v9
	s_cbranch_execz .LBB248_303
; %bb.296:                              ;   in Loop: Header=BB248_271 Depth=1
	v_lshrrev_b32_e32 v1, 24, v9
	v_bfrev_b32_e32 v40, 1
	s_mov_b32 s19, exec_lo
	v_cmpx_ne_u32_e32 0x80, v1
	s_cbranch_execz .LBB248_302
; %bb.297:                              ;   in Loop: Header=BB248_271 Depth=1
	v_and_b32_e32 v42, 0x7f, v1
	v_mov_b32_e32 v40, 0x7c010000
	s_mov_b32 s22, exec_lo
	v_cmpx_ne_u32_e32 0x7f, v42
	s_cbranch_execz .LBB248_301
; %bb.298:                              ;   in Loop: Header=BB248_271 Depth=1
	v_and_b32_e32 v40, 7, v1
	v_lshrrev_b32_e32 v41, 3, v42
	s_mov_b32 s23, exec_lo
	v_cmpx_gt_u32_e32 8, v42
; %bb.299:                              ;   in Loop: Header=BB248_271 Depth=1
	v_ffbh_u32_e32 v40, v40
	v_min_u32_e32 v42, 32, v40
	v_subrev_nc_u32_e32 v40, 28, v42
	v_lshlrev_b64 v[40:41], v40, v[1:2]
	v_sub_nc_u32_e32 v41, 29, v42
	v_and_b32_e32 v40, 7, v40
; %bb.300:                              ;   in Loop: Header=BB248_271 Depth=1
	s_or_b32 exec_lo, exec_lo, s23
	v_lshlrev_b32_e32 v1, 8, v1
	v_lshl_add_u32 v41, v41, 10, 0x2000
	v_lshlrev_b32_e32 v40, 23, v40
	v_and_or_b32 v1, 0x8000, v1, v41
	v_lshl_or_b32 v40, v1, 16, v40
.LBB248_301:                            ;   in Loop: Header=BB248_271 Depth=1
	s_or_b32 exec_lo, exec_lo, s22
.LBB248_302:                            ;   in Loop: Header=BB248_271 Depth=1
	s_or_b32 exec_lo, exec_lo, s19
.LBB248_303:                            ;   in Loop: Header=BB248_271 Depth=1
	s_or_b32 exec_lo, exec_lo, s1
	v_mov_b32_e32 v1, v10
	v_cmp_ne_u16_sdwa s0, v10, v2 src0_sel:BYTE_0 src1_sel:DWORD
	s_and_saveexec_b32 s1, s0
	s_cbranch_execz .LBB248_311
; %bb.304:                              ;   in Loop: Header=BB248_271 Depth=1
	v_cmp_ne_u16_sdwa s0, v10, v22 src0_sel:BYTE_0 src1_sel:DWORD
	v_mov_b32_e32 v39, 0x8000
	s_and_saveexec_b32 s19, s0
	s_cbranch_execz .LBB248_310
; %bb.305:                              ;   in Loop: Header=BB248_271 Depth=1
	v_and_b32_e32 v42, 0x7f, v10
	v_mov_b32_e32 v39, 0x7c01
	s_mov_b32 s22, exec_lo
	v_cmpx_ne_u32_e32 0x7f, v42
	s_cbranch_execz .LBB248_309
; %bb.306:                              ;   in Loop: Header=BB248_271 Depth=1
	v_and_b32_e32 v39, 7, v10
	v_lshrrev_b32_e32 v41, 3, v42
	s_mov_b32 s23, exec_lo
	v_cmpx_gt_u32_e32 8, v42
; %bb.307:                              ;   in Loop: Header=BB248_271 Depth=1
	v_ffbh_u32_e32 v39, v39
	v_min_u32_e32 v39, 32, v39
	v_subrev_nc_u32_e32 v41, 28, v39
	v_lshlrev_b64 v[42:43], v41, v[1:2]
	v_sub_nc_u32_e32 v41, 29, v39
	v_and_b32_e32 v39, 7, v42
; %bb.308:                              ;   in Loop: Header=BB248_271 Depth=1
	s_or_b32 exec_lo, exec_lo, s23
	v_lshlrev_b32_e32 v42, 8, v10
	v_lshl_add_u32 v41, v41, 10, 0x2000
	v_lshlrev_b32_e32 v39, 7, v39
	v_and_b32_e32 v42, 0x8000, v42
	v_and_b32_e32 v41, 0xfc00, v41
	v_or3_b32 v39, v42, v41, v39
.LBB248_309:                            ;   in Loop: Header=BB248_271 Depth=1
	s_or_b32 exec_lo, exec_lo, s22
.LBB248_310:                            ;   in Loop: Header=BB248_271 Depth=1
	s_or_b32 exec_lo, exec_lo, s19
.LBB248_311:                            ;   in Loop: Header=BB248_271 Depth=1
	s_or_b32 exec_lo, exec_lo, s1
	v_lshrrev_b16 v1, 8, v1
	v_mov_b32_e32 v42, 0
	v_mov_b32_e32 v41, 0
	s_mov_b32 s1, exec_lo
	v_cmpx_ne_u16_e32 0, v1
	s_cbranch_execz .LBB248_319
; %bb.312:                              ;   in Loop: Header=BB248_271 Depth=1
	v_bfrev_b32_e32 v41, 1
	s_mov_b32 s19, exec_lo
	v_cmpx_ne_u16_e32 0x80, v1
	s_cbranch_execz .LBB248_318
; %bb.313:                              ;   in Loop: Header=BB248_271 Depth=1
	v_and_b32_sdwa v44, v1, v23 dst_sel:DWORD dst_unused:UNUSED_PAD src0_sel:WORD_0 src1_sel:DWORD
	v_mov_b32_e32 v41, 0x7c010000
	s_mov_b32 s22, exec_lo
	v_cmpx_ne_u32_e32 0x7f, v44
	s_cbranch_execz .LBB248_317
; %bb.314:                              ;   in Loop: Header=BB248_271 Depth=1
	v_and_b32_sdwa v41, v1, v24 dst_sel:DWORD dst_unused:UNUSED_PAD src0_sel:WORD_0 src1_sel:DWORD
	v_lshrrev_b32_e32 v43, 3, v44
	s_mov_b32 s23, exec_lo
	v_cmpx_gt_u32_e32 8, v44
; %bb.315:                              ;   in Loop: Header=BB248_271 Depth=1
	v_ffbh_u32_e32 v41, v41
	v_min_u32_e32 v41, 32, v41
	v_subrev_nc_u32_e32 v43, 28, v41
	v_lshlrev_b64 v[44:45], v43, v[1:2]
	v_sub_nc_u32_e32 v43, 29, v41
	v_and_b32_e32 v41, 7, v44
; %bb.316:                              ;   in Loop: Header=BB248_271 Depth=1
	s_or_b32 exec_lo, exec_lo, s23
	v_lshlrev_b32_sdwa v1, v25, v1 dst_sel:DWORD dst_unused:UNUSED_PAD src0_sel:DWORD src1_sel:WORD_0
	v_lshl_add_u32 v43, v43, 10, 0x2000
	v_lshlrev_b32_e32 v41, 23, v41
	v_and_or_b32 v1, 0x8000, v1, v43
	v_lshl_or_b32 v41, v1, 16, v41
.LBB248_317:                            ;   in Loop: Header=BB248_271 Depth=1
	s_or_b32 exec_lo, exec_lo, s22
.LBB248_318:                            ;   in Loop: Header=BB248_271 Depth=1
	s_or_b32 exec_lo, exec_lo, s19
.LBB248_319:                            ;   in Loop: Header=BB248_271 Depth=1
	s_or_b32 exec_lo, exec_lo, s1
	v_lshrrev_b32_e32 v1, 16, v10
	v_cmp_ne_u16_sdwa s0, v1, v2 src0_sel:BYTE_0 src1_sel:DWORD
	s_and_saveexec_b32 s1, s0
	s_cbranch_execz .LBB248_327
; %bb.320:                              ;   in Loop: Header=BB248_271 Depth=1
	v_cmp_ne_u16_sdwa s0, v1, v22 src0_sel:BYTE_0 src1_sel:DWORD
	v_mov_b32_e32 v42, 0x8000
	s_and_saveexec_b32 s19, s0
	s_cbranch_execz .LBB248_326
; %bb.321:                              ;   in Loop: Header=BB248_271 Depth=1
	v_bfe_u32 v44, v10, 16, 7
	v_mov_b32_e32 v42, 0x7c01
	s_mov_b32 s22, exec_lo
	v_cmpx_ne_u32_e32 0x7f, v44
	s_cbranch_execz .LBB248_325
; %bb.322:                              ;   in Loop: Header=BB248_271 Depth=1
	v_and_b32_e32 v42, 7, v1
	v_lshrrev_b32_e32 v43, 3, v44
	s_mov_b32 s23, exec_lo
	v_cmpx_gt_u32_e32 8, v44
; %bb.323:                              ;   in Loop: Header=BB248_271 Depth=1
	v_ffbh_u32_e32 v42, v42
	v_min_u32_e32 v44, 32, v42
	v_subrev_nc_u32_e32 v42, 28, v44
	v_lshlrev_b64 v[42:43], v42, v[1:2]
	v_sub_nc_u32_e32 v43, 29, v44
	v_and_b32_e32 v42, 7, v42
; %bb.324:                              ;   in Loop: Header=BB248_271 Depth=1
	s_or_b32 exec_lo, exec_lo, s23
	v_lshlrev_b32_e32 v1, 8, v1
	v_lshl_add_u32 v43, v43, 10, 0x2000
	v_lshlrev_b32_e32 v42, 7, v42
	v_and_b32_e32 v1, 0x8000, v1
	v_and_b32_e32 v43, 0xfc00, v43
	v_or3_b32 v42, v1, v43, v42
.LBB248_325:                            ;   in Loop: Header=BB248_271 Depth=1
	s_or_b32 exec_lo, exec_lo, s22
.LBB248_326:                            ;   in Loop: Header=BB248_271 Depth=1
	s_or_b32 exec_lo, exec_lo, s19
.LBB248_327:                            ;   in Loop: Header=BB248_271 Depth=1
	s_or_b32 exec_lo, exec_lo, s1
	v_cmp_lt_u64_e64 s0, s[4:5], v[9:10]
	v_mov_b32_e32 v9, 0
	s_and_saveexec_b32 s1, s0
	s_cbranch_execz .LBB248_335
; %bb.328:                              ;   in Loop: Header=BB248_271 Depth=1
	v_lshrrev_b32_e32 v1, 24, v10
	v_bfrev_b32_e32 v9, 1
	s_mov_b32 s19, exec_lo
	v_cmpx_ne_u32_e32 0x80, v1
	s_cbranch_execz .LBB248_334
; %bb.329:                              ;   in Loop: Header=BB248_271 Depth=1
	v_and_b32_e32 v43, 0x7f, v1
	v_mov_b32_e32 v9, 0x7c010000
	s_mov_b32 s22, exec_lo
	v_cmpx_ne_u32_e32 0x7f, v43
	s_cbranch_execz .LBB248_333
; %bb.330:                              ;   in Loop: Header=BB248_271 Depth=1
	v_and_b32_e32 v9, 7, v1
	v_lshrrev_b32_e32 v10, 3, v43
	s_mov_b32 s23, exec_lo
	v_cmpx_gt_u32_e32 8, v43
; %bb.331:                              ;   in Loop: Header=BB248_271 Depth=1
	v_ffbh_u32_e32 v9, v9
	v_min_u32_e32 v43, 32, v9
	v_subrev_nc_u32_e32 v9, 28, v43
	v_lshlrev_b64 v[9:10], v9, v[1:2]
	v_sub_nc_u32_e32 v10, 29, v43
	v_and_b32_e32 v9, 7, v9
; %bb.332:                              ;   in Loop: Header=BB248_271 Depth=1
	s_or_b32 exec_lo, exec_lo, s23
	v_lshlrev_b32_e32 v1, 8, v1
	v_lshl_add_u32 v10, v10, 10, 0x2000
	v_lshlrev_b32_e32 v9, 23, v9
	v_and_or_b32 v1, 0x8000, v1, v10
	v_lshl_or_b32 v9, v1, 16, v9
.LBB248_333:                            ;   in Loop: Header=BB248_271 Depth=1
	s_or_b32 exec_lo, exec_lo, s22
.LBB248_334:                            ;   in Loop: Header=BB248_271 Depth=1
	s_or_b32 exec_lo, exec_lo, s19
.LBB248_335:                            ;   in Loop: Header=BB248_271 Depth=1
	s_or_b32 exec_lo, exec_lo, s1
	v_or_b32_e32 v1, v40, v27
	s_waitcnt vmcnt(0)
	v_fma_mixlo_f16 v10, v36, v40, 0 op_sel:[0,1,0] op_sel_hi:[0,1,0]
	v_or_b32_e32 v37, v38, v37
	v_fma_mixlo_f16 v38, v36, v38, 0 op_sel:[0,1,0] op_sel_hi:[0,1,0]
	v_or_b32_e32 v43, v41, v39
	v_fma_mixlo_f16 v40, v36, v1, 0 op_sel_hi:[0,1,0]
	v_or_b32_e32 v42, v9, v42
	v_lshlrev_b32_e32 v1, 16, v10
	v_lshlrev_b32_e32 v39, 16, v38
	v_fma_mixlo_f16 v10, v36, v37, 0 op_sel_hi:[0,1,0]
	v_and_b32_e32 v38, 0xffff, v40
	v_fma_mixlo_f16 v37, v36, v41, 0 op_sel:[0,1,0] op_sel_hi:[0,1,0]
	v_fma_mixlo_f16 v40, v36, v43, 0 op_sel_hi:[0,1,0]
	v_fma_mixlo_f16 v9, v36, v9, 0 op_sel:[0,1,0] op_sel_hi:[0,1,0]
	v_fma_mixlo_f16 v36, v36, v42, 0 op_sel_hi:[0,1,0]
	v_and_b32_e32 v44, 0xffff, v10
	v_lshlrev_b32_e32 v10, 16, v37
	v_and_b32_e32 v37, 0xffff, v40
	v_lshlrev_b32_e32 v9, 16, v9
	v_and_b32_e32 v36, 0xffff, v36
	v_add_nc_u32_e32 v27, -7, v20
	v_cmp_eq_u32_e64 s0, s17, v26
	v_or_b32_e32 v40, v1, v38
	v_or_b32_e32 v41, v39, v44
	;; [unrolled: 1-line block ×4, first 2 shown]
	s_and_saveexec_b32 s19, s0
	s_cbranch_execz .LBB248_337
; %bb.336:                              ;   in Loop: Header=BB248_271 Depth=1
	v_add_nc_u32_e32 v40, -6, v20
	v_cmp_gt_i32_e64 s1, s11, v27
	v_add_nc_u32_e32 v41, -5, v20
	v_add_nc_u32_e32 v43, -2, v20
	v_cndmask_b32_e64 v42, 0, v44, s1
	v_cmp_gt_i32_e64 s1, s11, v40
	v_add_nc_u32_e32 v40, -4, v20
	v_cndmask_b32_e64 v39, 0, v39, s1
	v_cmp_gt_i32_e64 s1, s11, v41
	;; [unrolled: 3-line block ×4, first 2 shown]
	v_or_b32_e32 v41, v39, v42
	v_cndmask_b32_e64 v37, 0, v37, s1
	v_cmp_gt_i32_e64 s1, s11, v43
	v_cndmask_b32_e64 v10, 0, v10, s1
	v_cmp_gt_i32_e64 s1, s11, v40
	v_or_b32_e32 v40, v1, v38
	v_or_b32_e32 v42, v10, v37
	v_cndmask_b32_e64 v36, 0, v36, s1
	v_cmp_gt_i32_e64 s1, s11, v20
	v_cndmask_b32_e64 v9, 0, v9, s1
	v_or_b32_e32 v43, v9, v36
.LBB248_337:                            ;   in Loop: Header=BB248_271 Depth=1
	s_or_b32 exec_lo, exec_lo, s19
	v_and_b32_e32 v1, 0xffff, v31
	v_and_b32_e32 v9, 0xffff, v32
	;; [unrolled: 1-line block ×4, first 2 shown]
	v_mov_b32_e32 v36, 0
	v_lshl_or_b32 v33, v28, 16, v1
	;;#ASMSTART
	v_pk_mul_f16 v1, v33, v41;

	;;#ASMEND
	v_lshl_or_b32 v32, v29, 16, v9
	v_lshl_or_b32 v31, v30, 16, v10
	;; [unrolled: 1-line block ×3, first 2 shown]
	;;#ASMSTART
	v_pk_mul_f16 v9, v32, v40;

	;;#ASMEND
	;;#ASMSTART
	v_pk_mul_f16 v10, v31, v42;

	;;#ASMEND
	;; [unrolled: 4-line block ×3, first 2 shown]
	;;#ASMSTART
	v_pk_add_f16 v1, v1, v9;

	;;#ASMEND
	;;#ASMSTART
	v_pk_add_f16 v1, v1, v10;

	;;#ASMEND
	;; [unrolled: 4-line block ×3, first 2 shown]
	v_and_b32_e32 v9, 0xffff, v1
	v_lshrrev_b32_e32 v1, 16, v1
	;;#ASMSTART
	v_cvt_f32_f16 v28, v9;
	;;#ASMEND
	;;#ASMSTART
	v_cvt_f32_f16 v29, v1;
	;;#ASMEND
	global_load_dwordx2 v[9:10], v[7:8], off offset:256
	v_mov_b32_e32 v35, 0
	global_load_dword v34, v35, s[14:15]
	s_waitcnt vmcnt(1)
	v_cmp_ne_u16_sdwa s1, v9, v2 src0_sel:BYTE_0 src1_sel:DWORD
	s_and_saveexec_b32 s19, s1
	s_cbranch_execz .LBB248_345
; %bb.338:                              ;   in Loop: Header=BB248_271 Depth=1
	v_cmp_ne_u16_sdwa s1, v9, v22 src0_sel:BYTE_0 src1_sel:DWORD
	v_mov_b32_e32 v36, 0x8000
	s_and_saveexec_b32 s22, s1
	s_cbranch_execz .LBB248_344
; %bb.339:                              ;   in Loop: Header=BB248_271 Depth=1
	v_and_b32_e32 v37, 0x7f, v9
	v_mov_b32_e32 v36, 0x7c01
	s_mov_b32 s23, exec_lo
	v_cmpx_ne_u32_e32 0x7f, v37
	s_cbranch_execz .LBB248_343
; %bb.340:                              ;   in Loop: Header=BB248_271 Depth=1
	v_and_b32_e32 v1, 7, v9
	v_lshrrev_b32_e32 v36, 3, v37
	s_mov_b32 s24, exec_lo
	v_cmpx_gt_u32_e32 8, v37
; %bb.341:                              ;   in Loop: Header=BB248_271 Depth=1
	v_ffbh_u32_e32 v1, v1
	v_min_u32_e32 v1, 32, v1
	v_subrev_nc_u32_e32 v36, 28, v1
	v_lshlrev_b64 v[37:38], v36, v[9:10]
	v_sub_nc_u32_e32 v36, 29, v1
	v_and_b32_e32 v1, 7, v37
; %bb.342:                              ;   in Loop: Header=BB248_271 Depth=1
	s_or_b32 exec_lo, exec_lo, s24
	v_lshlrev_b32_e32 v37, 8, v9
	v_lshl_add_u32 v36, v36, 10, 0x2000
	v_lshlrev_b32_e32 v1, 7, v1
	v_and_b32_e32 v37, 0x8000, v37
	v_and_b32_e32 v36, 0xfc00, v36
	v_or3_b32 v36, v37, v36, v1
.LBB248_343:                            ;   in Loop: Header=BB248_271 Depth=1
	s_or_b32 exec_lo, exec_lo, s23
.LBB248_344:                            ;   in Loop: Header=BB248_271 Depth=1
	s_or_b32 exec_lo, exec_lo, s22
.LBB248_345:                            ;   in Loop: Header=BB248_271 Depth=1
	s_or_b32 exec_lo, exec_lo, s19
	v_lshrrev_b16 v1, 8, v9
	s_mov_b32 s19, exec_lo
	v_cmpx_ne_u16_e32 0, v1
	s_cbranch_execz .LBB248_353
; %bb.346:                              ;   in Loop: Header=BB248_271 Depth=1
	v_bfrev_b32_e32 v35, 1
	s_mov_b32 s22, exec_lo
	v_cmpx_ne_u16_e32 0x80, v1
	s_cbranch_execz .LBB248_352
; %bb.347:                              ;   in Loop: Header=BB248_271 Depth=1
	v_and_b32_sdwa v38, v1, v23 dst_sel:DWORD dst_unused:UNUSED_PAD src0_sel:WORD_0 src1_sel:DWORD
	v_mov_b32_e32 v35, 0x7c010000
	s_mov_b32 s23, exec_lo
	v_cmpx_ne_u32_e32 0x7f, v38
	s_cbranch_execz .LBB248_351
; %bb.348:                              ;   in Loop: Header=BB248_271 Depth=1
	v_and_b32_sdwa v35, v1, v24 dst_sel:DWORD dst_unused:UNUSED_PAD src0_sel:WORD_0 src1_sel:DWORD
	v_lshrrev_b32_e32 v37, 3, v38
	s_mov_b32 s24, exec_lo
	v_cmpx_gt_u32_e32 8, v38
; %bb.349:                              ;   in Loop: Header=BB248_271 Depth=1
	v_ffbh_u32_e32 v35, v35
	v_min_u32_e32 v35, 32, v35
	v_subrev_nc_u32_e32 v37, 28, v35
	v_lshlrev_b64 v[38:39], v37, v[1:2]
	v_sub_nc_u32_e32 v37, 29, v35
	v_and_b32_e32 v35, 7, v38
; %bb.350:                              ;   in Loop: Header=BB248_271 Depth=1
	s_or_b32 exec_lo, exec_lo, s24
	v_lshlrev_b32_sdwa v1, v25, v1 dst_sel:DWORD dst_unused:UNUSED_PAD src0_sel:DWORD src1_sel:WORD_0
	v_lshl_add_u32 v37, v37, 10, 0x2000
	v_lshlrev_b32_e32 v35, 23, v35
	v_and_or_b32 v1, 0x8000, v1, v37
	v_lshl_or_b32 v35, v1, 16, v35
.LBB248_351:                            ;   in Loop: Header=BB248_271 Depth=1
	s_or_b32 exec_lo, exec_lo, s23
.LBB248_352:                            ;   in Loop: Header=BB248_271 Depth=1
	s_or_b32 exec_lo, exec_lo, s22
.LBB248_353:                            ;   in Loop: Header=BB248_271 Depth=1
	s_or_b32 exec_lo, exec_lo, s19
	v_lshrrev_b32_e32 v1, 16, v9
	v_mov_b32_e32 v37, 0
	v_mov_b32_e32 v38, 0
	v_cmp_ne_u16_sdwa s1, v1, v2 src0_sel:BYTE_0 src1_sel:DWORD
	s_and_saveexec_b32 s19, s1
	s_cbranch_execz .LBB248_361
; %bb.354:                              ;   in Loop: Header=BB248_271 Depth=1
	v_cmp_ne_u16_sdwa s1, v1, v22 src0_sel:BYTE_0 src1_sel:DWORD
	v_mov_b32_e32 v38, 0x8000
	s_and_saveexec_b32 s22, s1
	s_cbranch_execz .LBB248_360
; %bb.355:                              ;   in Loop: Header=BB248_271 Depth=1
	v_bfe_u32 v40, v9, 16, 7
	v_mov_b32_e32 v38, 0x7c01
	s_mov_b32 s23, exec_lo
	v_cmpx_ne_u32_e32 0x7f, v40
	s_cbranch_execz .LBB248_359
; %bb.356:                              ;   in Loop: Header=BB248_271 Depth=1
	v_and_b32_e32 v38, 7, v1
	v_lshrrev_b32_e32 v39, 3, v40
	s_mov_b32 s24, exec_lo
	v_cmpx_gt_u32_e32 8, v40
; %bb.357:                              ;   in Loop: Header=BB248_271 Depth=1
	v_ffbh_u32_e32 v38, v38
	v_min_u32_e32 v40, 32, v38
	v_subrev_nc_u32_e32 v38, 28, v40
	v_lshlrev_b64 v[38:39], v38, v[1:2]
	v_sub_nc_u32_e32 v39, 29, v40
	v_and_b32_e32 v38, 7, v38
; %bb.358:                              ;   in Loop: Header=BB248_271 Depth=1
	s_or_b32 exec_lo, exec_lo, s24
	v_lshlrev_b32_e32 v1, 8, v1
	v_lshl_add_u32 v39, v39, 10, 0x2000
	v_lshlrev_b32_e32 v38, 7, v38
	v_and_b32_e32 v1, 0x8000, v1
	v_and_b32_e32 v39, 0xfc00, v39
	v_or3_b32 v38, v1, v39, v38
.LBB248_359:                            ;   in Loop: Header=BB248_271 Depth=1
	s_or_b32 exec_lo, exec_lo, s23
.LBB248_360:                            ;   in Loop: Header=BB248_271 Depth=1
	s_or_b32 exec_lo, exec_lo, s22
.LBB248_361:                            ;   in Loop: Header=BB248_271 Depth=1
	s_or_b32 exec_lo, exec_lo, s19
	s_mov_b32 s19, exec_lo
	v_cmpx_lt_u32_e32 0xffffff, v9
	s_cbranch_execz .LBB248_369
; %bb.362:                              ;   in Loop: Header=BB248_271 Depth=1
	v_lshrrev_b32_e32 v1, 24, v9
	v_bfrev_b32_e32 v37, 1
	s_mov_b32 s22, exec_lo
	v_cmpx_ne_u32_e32 0x80, v1
	s_cbranch_execz .LBB248_368
; %bb.363:                              ;   in Loop: Header=BB248_271 Depth=1
	v_and_b32_e32 v40, 0x7f, v1
	v_mov_b32_e32 v37, 0x7c010000
	s_mov_b32 s23, exec_lo
	v_cmpx_ne_u32_e32 0x7f, v40
	s_cbranch_execz .LBB248_367
; %bb.364:                              ;   in Loop: Header=BB248_271 Depth=1
	v_and_b32_e32 v37, 7, v1
	v_lshrrev_b32_e32 v39, 3, v40
	s_mov_b32 s24, exec_lo
	v_cmpx_gt_u32_e32 8, v40
; %bb.365:                              ;   in Loop: Header=BB248_271 Depth=1
	v_ffbh_u32_e32 v37, v37
	v_min_u32_e32 v37, 32, v37
	v_subrev_nc_u32_e32 v39, 28, v37
	v_lshlrev_b64 v[40:41], v39, v[1:2]
	v_sub_nc_u32_e32 v39, 29, v37
	v_and_b32_e32 v37, 7, v40
; %bb.366:                              ;   in Loop: Header=BB248_271 Depth=1
	s_or_b32 exec_lo, exec_lo, s24
	v_lshlrev_b32_e32 v1, 8, v1
	v_lshl_add_u32 v39, v39, 10, 0x2000
	v_lshlrev_b32_e32 v37, 23, v37
	v_and_or_b32 v1, 0x8000, v1, v39
	v_lshl_or_b32 v37, v1, 16, v37
.LBB248_367:                            ;   in Loop: Header=BB248_271 Depth=1
	s_or_b32 exec_lo, exec_lo, s23
.LBB248_368:                            ;   in Loop: Header=BB248_271 Depth=1
	s_or_b32 exec_lo, exec_lo, s22
.LBB248_369:                            ;   in Loop: Header=BB248_271 Depth=1
	s_or_b32 exec_lo, exec_lo, s19
	v_mov_b32_e32 v1, v10
	v_cmp_ne_u16_sdwa s1, v10, v2 src0_sel:BYTE_0 src1_sel:DWORD
	v_mov_b32_e32 v39, 0
	v_mov_b32_e32 v40, 0
	s_and_saveexec_b32 s19, s1
	s_cbranch_execz .LBB248_377
; %bb.370:                              ;   in Loop: Header=BB248_271 Depth=1
	v_cmp_ne_u16_sdwa s1, v10, v22 src0_sel:BYTE_0 src1_sel:DWORD
	v_mov_b32_e32 v40, 0x8000
	s_and_saveexec_b32 s22, s1
	s_cbranch_execz .LBB248_376
; %bb.371:                              ;   in Loop: Header=BB248_271 Depth=1
	v_and_b32_e32 v42, 0x7f, v10
	v_mov_b32_e32 v40, 0x7c01
	s_mov_b32 s23, exec_lo
	v_cmpx_ne_u32_e32 0x7f, v42
	s_cbranch_execz .LBB248_375
; %bb.372:                              ;   in Loop: Header=BB248_271 Depth=1
	v_and_b32_e32 v40, 7, v10
	v_lshrrev_b32_e32 v41, 3, v42
	s_mov_b32 s24, exec_lo
	v_cmpx_gt_u32_e32 8, v42
; %bb.373:                              ;   in Loop: Header=BB248_271 Depth=1
	v_ffbh_u32_e32 v40, v40
	v_min_u32_e32 v42, 32, v40
	v_subrev_nc_u32_e32 v40, 28, v42
	v_lshlrev_b64 v[40:41], v40, v[1:2]
	v_sub_nc_u32_e32 v41, 29, v42
	v_and_b32_e32 v40, 7, v40
; %bb.374:                              ;   in Loop: Header=BB248_271 Depth=1
	s_or_b32 exec_lo, exec_lo, s24
	v_lshlrev_b32_e32 v42, 8, v10
	v_lshl_add_u32 v41, v41, 10, 0x2000
	v_lshlrev_b32_e32 v40, 7, v40
	v_and_b32_e32 v42, 0x8000, v42
	v_and_b32_e32 v41, 0xfc00, v41
	v_or3_b32 v40, v42, v41, v40
.LBB248_375:                            ;   in Loop: Header=BB248_271 Depth=1
	s_or_b32 exec_lo, exec_lo, s23
.LBB248_376:                            ;   in Loop: Header=BB248_271 Depth=1
	s_or_b32 exec_lo, exec_lo, s22
.LBB248_377:                            ;   in Loop: Header=BB248_271 Depth=1
	s_or_b32 exec_lo, exec_lo, s19
	v_lshrrev_b16 v1, 8, v1
	v_mov_b32_e32 v41, 0
	s_mov_b32 s19, exec_lo
	v_cmpx_ne_u16_e32 0, v1
	s_cbranch_execz .LBB248_385
; %bb.378:                              ;   in Loop: Header=BB248_271 Depth=1
	v_bfrev_b32_e32 v41, 1
	s_mov_b32 s22, exec_lo
	v_cmpx_ne_u16_e32 0x80, v1
	s_cbranch_execz .LBB248_384
; %bb.379:                              ;   in Loop: Header=BB248_271 Depth=1
	v_and_b32_sdwa v43, v1, v23 dst_sel:DWORD dst_unused:UNUSED_PAD src0_sel:WORD_0 src1_sel:DWORD
	v_mov_b32_e32 v41, 0x7c010000
	s_mov_b32 s23, exec_lo
	v_cmpx_ne_u32_e32 0x7f, v43
	s_cbranch_execz .LBB248_383
; %bb.380:                              ;   in Loop: Header=BB248_271 Depth=1
	v_and_b32_sdwa v41, v1, v24 dst_sel:DWORD dst_unused:UNUSED_PAD src0_sel:WORD_0 src1_sel:DWORD
	v_lshrrev_b32_e32 v42, 3, v43
	s_mov_b32 s24, exec_lo
	v_cmpx_gt_u32_e32 8, v43
; %bb.381:                              ;   in Loop: Header=BB248_271 Depth=1
	v_ffbh_u32_e32 v41, v41
	v_min_u32_e32 v43, 32, v41
	v_subrev_nc_u32_e32 v41, 28, v43
	v_lshlrev_b64 v[41:42], v41, v[1:2]
	v_sub_nc_u32_e32 v42, 29, v43
	v_and_b32_e32 v41, 7, v41
; %bb.382:                              ;   in Loop: Header=BB248_271 Depth=1
	s_or_b32 exec_lo, exec_lo, s24
	v_lshlrev_b32_sdwa v1, v25, v1 dst_sel:DWORD dst_unused:UNUSED_PAD src0_sel:DWORD src1_sel:WORD_0
	v_lshl_add_u32 v42, v42, 10, 0x2000
	v_lshlrev_b32_e32 v41, 23, v41
	v_and_or_b32 v1, 0x8000, v1, v42
	v_lshl_or_b32 v41, v1, 16, v41
.LBB248_383:                            ;   in Loop: Header=BB248_271 Depth=1
	s_or_b32 exec_lo, exec_lo, s23
.LBB248_384:                            ;   in Loop: Header=BB248_271 Depth=1
	s_or_b32 exec_lo, exec_lo, s22
.LBB248_385:                            ;   in Loop: Header=BB248_271 Depth=1
	s_or_b32 exec_lo, exec_lo, s19
	v_lshrrev_b32_e32 v1, 16, v10
	v_cmp_ne_u16_sdwa s1, v1, v2 src0_sel:BYTE_0 src1_sel:DWORD
	s_and_saveexec_b32 s19, s1
	s_cbranch_execz .LBB248_393
; %bb.386:                              ;   in Loop: Header=BB248_271 Depth=1
	v_cmp_ne_u16_sdwa s1, v1, v22 src0_sel:BYTE_0 src1_sel:DWORD
	v_mov_b32_e32 v39, 0x8000
	s_and_saveexec_b32 s22, s1
	s_cbranch_execz .LBB248_392
; %bb.387:                              ;   in Loop: Header=BB248_271 Depth=1
	v_bfe_u32 v43, v10, 16, 7
	v_mov_b32_e32 v39, 0x7c01
	s_mov_b32 s23, exec_lo
	v_cmpx_ne_u32_e32 0x7f, v43
	s_cbranch_execz .LBB248_391
; %bb.388:                              ;   in Loop: Header=BB248_271 Depth=1
	v_and_b32_e32 v39, 7, v1
	v_lshrrev_b32_e32 v42, 3, v43
	s_mov_b32 s24, exec_lo
	v_cmpx_gt_u32_e32 8, v43
; %bb.389:                              ;   in Loop: Header=BB248_271 Depth=1
	v_ffbh_u32_e32 v39, v39
	v_min_u32_e32 v39, 32, v39
	v_subrev_nc_u32_e32 v42, 28, v39
	v_lshlrev_b64 v[43:44], v42, v[1:2]
	v_sub_nc_u32_e32 v42, 29, v39
	v_and_b32_e32 v39, 7, v43
; %bb.390:                              ;   in Loop: Header=BB248_271 Depth=1
	s_or_b32 exec_lo, exec_lo, s24
	v_lshlrev_b32_e32 v1, 8, v1
	v_lshl_add_u32 v42, v42, 10, 0x2000
	v_lshlrev_b32_e32 v39, 7, v39
	v_and_b32_e32 v1, 0x8000, v1
	v_and_b32_e32 v42, 0xfc00, v42
	v_or3_b32 v39, v1, v42, v39
.LBB248_391:                            ;   in Loop: Header=BB248_271 Depth=1
	s_or_b32 exec_lo, exec_lo, s23
.LBB248_392:                            ;   in Loop: Header=BB248_271 Depth=1
	s_or_b32 exec_lo, exec_lo, s22
.LBB248_393:                            ;   in Loop: Header=BB248_271 Depth=1
	s_or_b32 exec_lo, exec_lo, s19
	v_cmp_lt_u64_e64 s1, s[4:5], v[9:10]
	v_mov_b32_e32 v9, 0
	s_and_saveexec_b32 s19, s1
	s_cbranch_execz .LBB248_401
; %bb.394:                              ;   in Loop: Header=BB248_271 Depth=1
	v_lshrrev_b32_e32 v1, 24, v10
	v_bfrev_b32_e32 v9, 1
	s_mov_b32 s22, exec_lo
	v_cmpx_ne_u32_e32 0x80, v1
	s_cbranch_execz .LBB248_400
; %bb.395:                              ;   in Loop: Header=BB248_271 Depth=1
	v_and_b32_e32 v42, 0x7f, v1
	v_mov_b32_e32 v9, 0x7c010000
	s_mov_b32 s23, exec_lo
	v_cmpx_ne_u32_e32 0x7f, v42
	s_cbranch_execz .LBB248_399
; %bb.396:                              ;   in Loop: Header=BB248_271 Depth=1
	v_and_b32_e32 v9, 7, v1
	v_lshrrev_b32_e32 v10, 3, v42
	s_mov_b32 s24, exec_lo
	v_cmpx_gt_u32_e32 8, v42
; %bb.397:                              ;   in Loop: Header=BB248_271 Depth=1
	v_ffbh_u32_e32 v9, v9
	v_min_u32_e32 v42, 32, v9
	v_subrev_nc_u32_e32 v9, 28, v42
	v_lshlrev_b64 v[9:10], v9, v[1:2]
	v_sub_nc_u32_e32 v10, 29, v42
	v_and_b32_e32 v9, 7, v9
; %bb.398:                              ;   in Loop: Header=BB248_271 Depth=1
	s_or_b32 exec_lo, exec_lo, s24
	v_lshlrev_b32_e32 v1, 8, v1
	v_lshl_add_u32 v10, v10, 10, 0x2000
	v_lshlrev_b32_e32 v9, 23, v9
	v_and_or_b32 v1, 0x8000, v1, v10
	v_lshl_or_b32 v9, v1, 16, v9
.LBB248_399:                            ;   in Loop: Header=BB248_271 Depth=1
	s_or_b32 exec_lo, exec_lo, s23
.LBB248_400:                            ;   in Loop: Header=BB248_271 Depth=1
	s_or_b32 exec_lo, exec_lo, s22
.LBB248_401:                            ;   in Loop: Header=BB248_271 Depth=1
	s_or_b32 exec_lo, exec_lo, s19
	v_or_b32_e32 v1, v37, v38
	s_waitcnt vmcnt(0)
	v_fma_mixlo_f16 v10, v34, v37, 0 op_sel:[0,1,0] op_sel_hi:[0,1,0]
	v_or_b32_e32 v36, v35, v36
	v_fma_mixlo_f16 v35, v34, v35, 0 op_sel:[0,1,0] op_sel_hi:[0,1,0]
	v_or_b32_e32 v38, v41, v40
	v_or_b32_e32 v39, v9, v39
	v_fma_mixlo_f16 v40, v34, v1, 0 op_sel_hi:[0,1,0]
	v_lshlrev_b32_e32 v1, 16, v10
	v_lshlrev_b32_e32 v37, 16, v35
	v_fma_mixlo_f16 v10, v34, v36, 0 op_sel_hi:[0,1,0]
	v_fma_mixlo_f16 v35, v34, v41, 0 op_sel:[0,1,0] op_sel_hi:[0,1,0]
	v_fma_mixlo_f16 v38, v34, v38, 0 op_sel_hi:[0,1,0]
	v_fma_mixlo_f16 v9, v34, v9, 0 op_sel:[0,1,0] op_sel_hi:[0,1,0]
	v_fma_mixlo_f16 v34, v34, v39, 0 op_sel_hi:[0,1,0]
	v_and_b32_e32 v36, 0xffff, v40
	v_and_b32_e32 v41, 0xffff, v10
	v_lshlrev_b32_e32 v10, 16, v35
	v_and_b32_e32 v35, 0xffff, v38
	v_lshlrev_b32_e32 v9, 16, v9
	v_and_b32_e32 v34, 0xffff, v34
	v_or_b32_e32 v38, v1, v36
	v_or_b32_e32 v42, v37, v41
	;; [unrolled: 1-line block ×4, first 2 shown]
	s_and_saveexec_b32 s19, s0
	s_cbranch_execz .LBB248_403
; %bb.402:                              ;   in Loop: Header=BB248_271 Depth=1
	v_add_nc_u32_e32 v38, -6, v20
	v_cmp_gt_i32_e64 s1, s11, v27
	v_add_nc_u32_e32 v39, -5, v20
	v_cndmask_b32_e64 v40, 0, v41, s1
	v_cmp_gt_i32_e64 s1, s11, v38
	v_add_nc_u32_e32 v38, -4, v20
	v_add_nc_u32_e32 v41, -2, v20
	v_cndmask_b32_e64 v37, 0, v37, s1
	v_cmp_gt_i32_e64 s1, s11, v39
	v_add_nc_u32_e32 v39, -3, v20
	v_or_b32_e32 v42, v37, v40
	v_cndmask_b32_e64 v36, 0, v36, s1
	v_cmp_gt_i32_e64 s1, s11, v38
	v_add_nc_u32_e32 v38, -1, v20
	v_cndmask_b32_e64 v1, 0, v1, s1
	v_cmp_gt_i32_e64 s1, s11, v39
	v_cndmask_b32_e64 v35, 0, v35, s1
	v_cmp_gt_i32_e64 s1, s11, v41
	;; [unrolled: 2-line block ×3, first 2 shown]
	v_or_b32_e32 v38, v1, v36
	v_or_b32_e32 v40, v10, v35
	v_cndmask_b32_e64 v34, 0, v34, s1
	v_cmp_gt_i32_e64 s1, s11, v20
	v_cndmask_b32_e64 v9, 0, v9, s1
	v_or_b32_e32 v39, v9, v34
.LBB248_403:                            ;   in Loop: Header=BB248_271 Depth=1
	s_or_b32 exec_lo, exec_lo, s19
	;;#ASMSTART
	v_pk_mul_f16 v1, v33, v42;

	;;#ASMEND
	;;#ASMSTART
	v_pk_mul_f16 v9, v32, v38;

	;;#ASMEND
	;; [unrolled: 4-line block ×4, first 2 shown]
	;;#ASMSTART
	v_pk_add_f16 v1, v1, v9;

	;;#ASMEND
	;;#ASMSTART
	v_pk_add_f16 v1, v1, v10;

	;;#ASMEND
	;; [unrolled: 4-line block ×3, first 2 shown]
	v_and_b32_e32 v9, 0xffff, v1
	v_lshrrev_b32_e32 v1, 16, v1
	;;#ASMSTART
	v_cvt_f32_f16 v9, v9;
	;;#ASMEND
	;;#ASMSTART
	v_cvt_f32_f16 v10, v1;
	;;#ASMEND
	global_load_dwordx2 v[7:8], v[7:8], off offset:512
	v_mov_b32_e32 v35, 0
	v_mov_b32_e32 v36, 0
	global_load_dword v34, v35, s[14:15]
	s_waitcnt vmcnt(1)
	v_cmp_ne_u16_sdwa s1, v7, v2 src0_sel:BYTE_0 src1_sel:DWORD
	s_and_saveexec_b32 s19, s1
	s_cbranch_execz .LBB248_411
; %bb.404:                              ;   in Loop: Header=BB248_271 Depth=1
	v_cmp_ne_u16_sdwa s1, v7, v22 src0_sel:BYTE_0 src1_sel:DWORD
	v_mov_b32_e32 v36, 0x8000
	s_and_saveexec_b32 s22, s1
	s_cbranch_execz .LBB248_410
; %bb.405:                              ;   in Loop: Header=BB248_271 Depth=1
	v_and_b32_e32 v37, 0x7f, v7
	v_mov_b32_e32 v36, 0x7c01
	s_mov_b32 s23, exec_lo
	v_cmpx_ne_u32_e32 0x7f, v37
	s_cbranch_execz .LBB248_409
; %bb.406:                              ;   in Loop: Header=BB248_271 Depth=1
	v_and_b32_e32 v1, 7, v7
	v_lshrrev_b32_e32 v36, 3, v37
	s_mov_b32 s24, exec_lo
	v_cmpx_gt_u32_e32 8, v37
; %bb.407:                              ;   in Loop: Header=BB248_271 Depth=1
	v_ffbh_u32_e32 v1, v1
	v_min_u32_e32 v1, 32, v1
	v_subrev_nc_u32_e32 v36, 28, v1
	v_lshlrev_b64 v[37:38], v36, v[7:8]
	v_sub_nc_u32_e32 v36, 29, v1
	v_and_b32_e32 v1, 7, v37
; %bb.408:                              ;   in Loop: Header=BB248_271 Depth=1
	s_or_b32 exec_lo, exec_lo, s24
	v_lshlrev_b32_e32 v37, 8, v7
	v_lshl_add_u32 v36, v36, 10, 0x2000
	v_lshlrev_b32_e32 v1, 7, v1
	v_and_b32_e32 v37, 0x8000, v37
	v_and_b32_e32 v36, 0xfc00, v36
	v_or3_b32 v36, v37, v36, v1
.LBB248_409:                            ;   in Loop: Header=BB248_271 Depth=1
	s_or_b32 exec_lo, exec_lo, s23
.LBB248_410:                            ;   in Loop: Header=BB248_271 Depth=1
	s_or_b32 exec_lo, exec_lo, s22
.LBB248_411:                            ;   in Loop: Header=BB248_271 Depth=1
	s_or_b32 exec_lo, exec_lo, s19
	v_lshrrev_b16 v1, 8, v7
	s_mov_b32 s19, exec_lo
	v_cmpx_ne_u16_e32 0, v1
	s_cbranch_execz .LBB248_419
; %bb.412:                              ;   in Loop: Header=BB248_271 Depth=1
	v_bfrev_b32_e32 v35, 1
	s_mov_b32 s22, exec_lo
	v_cmpx_ne_u16_e32 0x80, v1
	s_cbranch_execz .LBB248_418
; %bb.413:                              ;   in Loop: Header=BB248_271 Depth=1
	v_and_b32_sdwa v38, v1, v23 dst_sel:DWORD dst_unused:UNUSED_PAD src0_sel:WORD_0 src1_sel:DWORD
	v_mov_b32_e32 v35, 0x7c010000
	s_mov_b32 s23, exec_lo
	v_cmpx_ne_u32_e32 0x7f, v38
	s_cbranch_execz .LBB248_417
; %bb.414:                              ;   in Loop: Header=BB248_271 Depth=1
	v_and_b32_sdwa v35, v1, v24 dst_sel:DWORD dst_unused:UNUSED_PAD src0_sel:WORD_0 src1_sel:DWORD
	v_lshrrev_b32_e32 v37, 3, v38
	s_mov_b32 s24, exec_lo
	v_cmpx_gt_u32_e32 8, v38
; %bb.415:                              ;   in Loop: Header=BB248_271 Depth=1
	v_ffbh_u32_e32 v35, v35
	v_min_u32_e32 v35, 32, v35
	v_subrev_nc_u32_e32 v37, 28, v35
	v_lshlrev_b64 v[38:39], v37, v[1:2]
	v_sub_nc_u32_e32 v37, 29, v35
	v_and_b32_e32 v35, 7, v38
; %bb.416:                              ;   in Loop: Header=BB248_271 Depth=1
	s_or_b32 exec_lo, exec_lo, s24
	v_lshlrev_b32_sdwa v1, v25, v1 dst_sel:DWORD dst_unused:UNUSED_PAD src0_sel:DWORD src1_sel:WORD_0
	v_lshl_add_u32 v37, v37, 10, 0x2000
	v_lshlrev_b32_e32 v35, 23, v35
	v_and_or_b32 v1, 0x8000, v1, v37
	v_lshl_or_b32 v35, v1, 16, v35
.LBB248_417:                            ;   in Loop: Header=BB248_271 Depth=1
	s_or_b32 exec_lo, exec_lo, s23
.LBB248_418:                            ;   in Loop: Header=BB248_271 Depth=1
	s_or_b32 exec_lo, exec_lo, s22
.LBB248_419:                            ;   in Loop: Header=BB248_271 Depth=1
	s_or_b32 exec_lo, exec_lo, s19
	v_lshrrev_b32_e32 v1, 16, v7
	v_mov_b32_e32 v37, 0
	v_mov_b32_e32 v38, 0
	v_cmp_ne_u16_sdwa s1, v1, v2 src0_sel:BYTE_0 src1_sel:DWORD
	s_and_saveexec_b32 s19, s1
	s_cbranch_execz .LBB248_427
; %bb.420:                              ;   in Loop: Header=BB248_271 Depth=1
	v_cmp_ne_u16_sdwa s1, v1, v22 src0_sel:BYTE_0 src1_sel:DWORD
	v_mov_b32_e32 v38, 0x8000
	s_and_saveexec_b32 s22, s1
	s_cbranch_execz .LBB248_426
; %bb.421:                              ;   in Loop: Header=BB248_271 Depth=1
	v_bfe_u32 v40, v7, 16, 7
	v_mov_b32_e32 v38, 0x7c01
	s_mov_b32 s23, exec_lo
	v_cmpx_ne_u32_e32 0x7f, v40
	s_cbranch_execz .LBB248_425
; %bb.422:                              ;   in Loop: Header=BB248_271 Depth=1
	v_and_b32_e32 v38, 7, v1
	v_lshrrev_b32_e32 v39, 3, v40
	s_mov_b32 s24, exec_lo
	v_cmpx_gt_u32_e32 8, v40
; %bb.423:                              ;   in Loop: Header=BB248_271 Depth=1
	v_ffbh_u32_e32 v38, v38
	v_min_u32_e32 v40, 32, v38
	v_subrev_nc_u32_e32 v38, 28, v40
	v_lshlrev_b64 v[38:39], v38, v[1:2]
	v_sub_nc_u32_e32 v39, 29, v40
	v_and_b32_e32 v38, 7, v38
; %bb.424:                              ;   in Loop: Header=BB248_271 Depth=1
	s_or_b32 exec_lo, exec_lo, s24
	v_lshlrev_b32_e32 v1, 8, v1
	v_lshl_add_u32 v39, v39, 10, 0x2000
	v_lshlrev_b32_e32 v38, 7, v38
	v_and_b32_e32 v1, 0x8000, v1
	v_and_b32_e32 v39, 0xfc00, v39
	v_or3_b32 v38, v1, v39, v38
.LBB248_425:                            ;   in Loop: Header=BB248_271 Depth=1
	s_or_b32 exec_lo, exec_lo, s23
.LBB248_426:                            ;   in Loop: Header=BB248_271 Depth=1
	s_or_b32 exec_lo, exec_lo, s22
.LBB248_427:                            ;   in Loop: Header=BB248_271 Depth=1
	s_or_b32 exec_lo, exec_lo, s19
	s_mov_b32 s19, exec_lo
	v_cmpx_lt_u32_e32 0xffffff, v7
	s_cbranch_execz .LBB248_435
; %bb.428:                              ;   in Loop: Header=BB248_271 Depth=1
	v_lshrrev_b32_e32 v1, 24, v7
	v_bfrev_b32_e32 v37, 1
	s_mov_b32 s22, exec_lo
	v_cmpx_ne_u32_e32 0x80, v1
	s_cbranch_execz .LBB248_434
; %bb.429:                              ;   in Loop: Header=BB248_271 Depth=1
	v_and_b32_e32 v40, 0x7f, v1
	v_mov_b32_e32 v37, 0x7c010000
	s_mov_b32 s23, exec_lo
	v_cmpx_ne_u32_e32 0x7f, v40
	s_cbranch_execz .LBB248_433
; %bb.430:                              ;   in Loop: Header=BB248_271 Depth=1
	v_and_b32_e32 v37, 7, v1
	v_lshrrev_b32_e32 v39, 3, v40
	s_mov_b32 s24, exec_lo
	v_cmpx_gt_u32_e32 8, v40
; %bb.431:                              ;   in Loop: Header=BB248_271 Depth=1
	v_ffbh_u32_e32 v37, v37
	v_min_u32_e32 v37, 32, v37
	v_subrev_nc_u32_e32 v39, 28, v37
	v_lshlrev_b64 v[40:41], v39, v[1:2]
	v_sub_nc_u32_e32 v39, 29, v37
	v_and_b32_e32 v37, 7, v40
; %bb.432:                              ;   in Loop: Header=BB248_271 Depth=1
	s_or_b32 exec_lo, exec_lo, s24
	v_lshlrev_b32_e32 v1, 8, v1
	v_lshl_add_u32 v39, v39, 10, 0x2000
	v_lshlrev_b32_e32 v37, 23, v37
	v_and_or_b32 v1, 0x8000, v1, v39
	v_lshl_or_b32 v37, v1, 16, v37
.LBB248_433:                            ;   in Loop: Header=BB248_271 Depth=1
	s_or_b32 exec_lo, exec_lo, s23
.LBB248_434:                            ;   in Loop: Header=BB248_271 Depth=1
	s_or_b32 exec_lo, exec_lo, s22
.LBB248_435:                            ;   in Loop: Header=BB248_271 Depth=1
	s_or_b32 exec_lo, exec_lo, s19
	v_mov_b32_e32 v1, v8
	v_cmp_ne_u16_sdwa s1, v8, v2 src0_sel:BYTE_0 src1_sel:DWORD
	v_mov_b32_e32 v39, 0
	v_mov_b32_e32 v40, 0
	s_and_saveexec_b32 s19, s1
	s_cbranch_execz .LBB248_443
; %bb.436:                              ;   in Loop: Header=BB248_271 Depth=1
	v_cmp_ne_u16_sdwa s1, v8, v22 src0_sel:BYTE_0 src1_sel:DWORD
	v_mov_b32_e32 v40, 0x8000
	s_and_saveexec_b32 s22, s1
	s_cbranch_execz .LBB248_442
; %bb.437:                              ;   in Loop: Header=BB248_271 Depth=1
	v_and_b32_e32 v42, 0x7f, v8
	v_mov_b32_e32 v40, 0x7c01
	s_mov_b32 s23, exec_lo
	v_cmpx_ne_u32_e32 0x7f, v42
	s_cbranch_execz .LBB248_441
; %bb.438:                              ;   in Loop: Header=BB248_271 Depth=1
	v_and_b32_e32 v40, 7, v8
	v_lshrrev_b32_e32 v41, 3, v42
	s_mov_b32 s24, exec_lo
	v_cmpx_gt_u32_e32 8, v42
; %bb.439:                              ;   in Loop: Header=BB248_271 Depth=1
	v_ffbh_u32_e32 v40, v40
	v_min_u32_e32 v42, 32, v40
	v_subrev_nc_u32_e32 v40, 28, v42
	v_lshlrev_b64 v[40:41], v40, v[1:2]
	v_sub_nc_u32_e32 v41, 29, v42
	v_and_b32_e32 v40, 7, v40
; %bb.440:                              ;   in Loop: Header=BB248_271 Depth=1
	s_or_b32 exec_lo, exec_lo, s24
	v_lshlrev_b32_e32 v42, 8, v8
	v_lshl_add_u32 v41, v41, 10, 0x2000
	v_lshlrev_b32_e32 v40, 7, v40
	v_and_b32_e32 v42, 0x8000, v42
	v_and_b32_e32 v41, 0xfc00, v41
	v_or3_b32 v40, v42, v41, v40
.LBB248_441:                            ;   in Loop: Header=BB248_271 Depth=1
	s_or_b32 exec_lo, exec_lo, s23
.LBB248_442:                            ;   in Loop: Header=BB248_271 Depth=1
	s_or_b32 exec_lo, exec_lo, s22
.LBB248_443:                            ;   in Loop: Header=BB248_271 Depth=1
	s_or_b32 exec_lo, exec_lo, s19
	v_lshrrev_b16 v1, 8, v1
	v_mov_b32_e32 v41, 0
	s_mov_b32 s19, exec_lo
	v_cmpx_ne_u16_e32 0, v1
	s_cbranch_execz .LBB248_451
; %bb.444:                              ;   in Loop: Header=BB248_271 Depth=1
	v_bfrev_b32_e32 v41, 1
	s_mov_b32 s22, exec_lo
	v_cmpx_ne_u16_e32 0x80, v1
	s_cbranch_execz .LBB248_450
; %bb.445:                              ;   in Loop: Header=BB248_271 Depth=1
	v_and_b32_sdwa v43, v1, v23 dst_sel:DWORD dst_unused:UNUSED_PAD src0_sel:WORD_0 src1_sel:DWORD
	v_mov_b32_e32 v41, 0x7c010000
	s_mov_b32 s23, exec_lo
	v_cmpx_ne_u32_e32 0x7f, v43
	s_cbranch_execz .LBB248_449
; %bb.446:                              ;   in Loop: Header=BB248_271 Depth=1
	v_and_b32_sdwa v41, v1, v24 dst_sel:DWORD dst_unused:UNUSED_PAD src0_sel:WORD_0 src1_sel:DWORD
	v_lshrrev_b32_e32 v42, 3, v43
	s_mov_b32 s24, exec_lo
	v_cmpx_gt_u32_e32 8, v43
; %bb.447:                              ;   in Loop: Header=BB248_271 Depth=1
	v_ffbh_u32_e32 v41, v41
	v_min_u32_e32 v43, 32, v41
	v_subrev_nc_u32_e32 v41, 28, v43
	v_lshlrev_b64 v[41:42], v41, v[1:2]
	v_sub_nc_u32_e32 v42, 29, v43
	v_and_b32_e32 v41, 7, v41
; %bb.448:                              ;   in Loop: Header=BB248_271 Depth=1
	s_or_b32 exec_lo, exec_lo, s24
	v_lshlrev_b32_sdwa v1, v25, v1 dst_sel:DWORD dst_unused:UNUSED_PAD src0_sel:DWORD src1_sel:WORD_0
	v_lshl_add_u32 v42, v42, 10, 0x2000
	v_lshlrev_b32_e32 v41, 23, v41
	v_and_or_b32 v1, 0x8000, v1, v42
	v_lshl_or_b32 v41, v1, 16, v41
.LBB248_449:                            ;   in Loop: Header=BB248_271 Depth=1
	s_or_b32 exec_lo, exec_lo, s23
.LBB248_450:                            ;   in Loop: Header=BB248_271 Depth=1
	s_or_b32 exec_lo, exec_lo, s22
.LBB248_451:                            ;   in Loop: Header=BB248_271 Depth=1
	s_or_b32 exec_lo, exec_lo, s19
	v_lshrrev_b32_e32 v1, 16, v8
	v_cmp_ne_u16_sdwa s1, v1, v2 src0_sel:BYTE_0 src1_sel:DWORD
	s_and_saveexec_b32 s19, s1
	s_cbranch_execz .LBB248_459
; %bb.452:                              ;   in Loop: Header=BB248_271 Depth=1
	v_cmp_ne_u16_sdwa s1, v1, v22 src0_sel:BYTE_0 src1_sel:DWORD
	v_mov_b32_e32 v39, 0x8000
	s_and_saveexec_b32 s22, s1
	s_cbranch_execz .LBB248_458
; %bb.453:                              ;   in Loop: Header=BB248_271 Depth=1
	v_bfe_u32 v43, v8, 16, 7
	v_mov_b32_e32 v39, 0x7c01
	s_mov_b32 s23, exec_lo
	v_cmpx_ne_u32_e32 0x7f, v43
	s_cbranch_execz .LBB248_457
; %bb.454:                              ;   in Loop: Header=BB248_271 Depth=1
	v_and_b32_e32 v39, 7, v1
	v_lshrrev_b32_e32 v42, 3, v43
	s_mov_b32 s24, exec_lo
	v_cmpx_gt_u32_e32 8, v43
; %bb.455:                              ;   in Loop: Header=BB248_271 Depth=1
	v_ffbh_u32_e32 v39, v39
	v_min_u32_e32 v39, 32, v39
	v_subrev_nc_u32_e32 v42, 28, v39
	v_lshlrev_b64 v[43:44], v42, v[1:2]
	v_sub_nc_u32_e32 v42, 29, v39
	v_and_b32_e32 v39, 7, v43
; %bb.456:                              ;   in Loop: Header=BB248_271 Depth=1
	s_or_b32 exec_lo, exec_lo, s24
	v_lshlrev_b32_e32 v1, 8, v1
	v_lshl_add_u32 v42, v42, 10, 0x2000
	v_lshlrev_b32_e32 v39, 7, v39
	v_and_b32_e32 v1, 0x8000, v1
	v_and_b32_e32 v42, 0xfc00, v42
	v_or3_b32 v39, v1, v42, v39
.LBB248_457:                            ;   in Loop: Header=BB248_271 Depth=1
	s_or_b32 exec_lo, exec_lo, s23
.LBB248_458:                            ;   in Loop: Header=BB248_271 Depth=1
	s_or_b32 exec_lo, exec_lo, s22
.LBB248_459:                            ;   in Loop: Header=BB248_271 Depth=1
	s_or_b32 exec_lo, exec_lo, s19
	v_cmp_lt_u64_e64 s1, s[4:5], v[7:8]
	v_mov_b32_e32 v7, 0
	s_and_saveexec_b32 s19, s1
	s_cbranch_execz .LBB248_467
; %bb.460:                              ;   in Loop: Header=BB248_271 Depth=1
	v_lshrrev_b32_e32 v1, 24, v8
	v_bfrev_b32_e32 v7, 1
	s_mov_b32 s22, exec_lo
	v_cmpx_ne_u32_e32 0x80, v1
	s_cbranch_execz .LBB248_466
; %bb.461:                              ;   in Loop: Header=BB248_271 Depth=1
	v_and_b32_e32 v42, 0x7f, v1
	v_mov_b32_e32 v7, 0x7c010000
	s_mov_b32 s23, exec_lo
	v_cmpx_ne_u32_e32 0x7f, v42
	s_cbranch_execz .LBB248_465
; %bb.462:                              ;   in Loop: Header=BB248_271 Depth=1
	v_and_b32_e32 v7, 7, v1
	v_lshrrev_b32_e32 v8, 3, v42
	s_mov_b32 s24, exec_lo
	v_cmpx_gt_u32_e32 8, v42
; %bb.463:                              ;   in Loop: Header=BB248_271 Depth=1
	v_ffbh_u32_e32 v7, v7
	v_min_u32_e32 v42, 32, v7
	v_subrev_nc_u32_e32 v7, 28, v42
	v_lshlrev_b64 v[7:8], v7, v[1:2]
	v_sub_nc_u32_e32 v8, 29, v42
	v_and_b32_e32 v7, 7, v7
; %bb.464:                              ;   in Loop: Header=BB248_271 Depth=1
	s_or_b32 exec_lo, exec_lo, s24
	v_lshlrev_b32_e32 v1, 8, v1
	v_lshl_add_u32 v8, v8, 10, 0x2000
	v_lshlrev_b32_e32 v7, 23, v7
	v_and_or_b32 v1, 0x8000, v1, v8
	v_lshl_or_b32 v7, v1, 16, v7
.LBB248_465:                            ;   in Loop: Header=BB248_271 Depth=1
	s_or_b32 exec_lo, exec_lo, s23
.LBB248_466:                            ;   in Loop: Header=BB248_271 Depth=1
	s_or_b32 exec_lo, exec_lo, s22
.LBB248_467:                            ;   in Loop: Header=BB248_271 Depth=1
	s_or_b32 exec_lo, exec_lo, s19
	v_or_b32_e32 v1, v37, v38
	s_waitcnt vmcnt(0)
	v_fma_mixlo_f16 v8, v34, v37, 0 op_sel:[0,1,0] op_sel_hi:[0,1,0]
	v_or_b32_e32 v36, v35, v36
	v_fma_mixlo_f16 v35, v34, v35, 0 op_sel:[0,1,0] op_sel_hi:[0,1,0]
	v_or_b32_e32 v38, v41, v40
	v_or_b32_e32 v39, v7, v39
	v_fma_mixlo_f16 v40, v34, v1, 0 op_sel_hi:[0,1,0]
	v_lshlrev_b32_e32 v1, 16, v8
	v_lshlrev_b32_e32 v37, 16, v35
	v_fma_mixlo_f16 v8, v34, v36, 0 op_sel_hi:[0,1,0]
	v_fma_mixlo_f16 v35, v34, v41, 0 op_sel:[0,1,0] op_sel_hi:[0,1,0]
	v_fma_mixlo_f16 v38, v34, v38, 0 op_sel_hi:[0,1,0]
	v_fma_mixlo_f16 v7, v34, v7, 0 op_sel:[0,1,0] op_sel_hi:[0,1,0]
	v_fma_mixlo_f16 v34, v34, v39, 0 op_sel_hi:[0,1,0]
	v_and_b32_e32 v36, 0xffff, v40
	v_and_b32_e32 v41, 0xffff, v8
	v_lshlrev_b32_e32 v8, 16, v35
	v_and_b32_e32 v35, 0xffff, v38
	v_lshlrev_b32_e32 v7, 16, v7
	v_and_b32_e32 v34, 0xffff, v34
	v_or_b32_e32 v38, v1, v36
	v_or_b32_e32 v42, v37, v41
	;; [unrolled: 1-line block ×4, first 2 shown]
	s_and_saveexec_b32 s19, s0
	s_cbranch_execz .LBB248_469
; %bb.468:                              ;   in Loop: Header=BB248_271 Depth=1
	v_add_nc_u32_e32 v38, -6, v20
	v_cmp_gt_i32_e64 s1, s11, v27
	v_add_nc_u32_e32 v39, -5, v20
	v_cndmask_b32_e64 v40, 0, v41, s1
	v_cmp_gt_i32_e64 s1, s11, v38
	v_add_nc_u32_e32 v38, -4, v20
	v_add_nc_u32_e32 v41, -2, v20
	v_cndmask_b32_e64 v37, 0, v37, s1
	v_cmp_gt_i32_e64 s1, s11, v39
	v_add_nc_u32_e32 v39, -3, v20
	v_or_b32_e32 v42, v37, v40
	v_cndmask_b32_e64 v36, 0, v36, s1
	v_cmp_gt_i32_e64 s1, s11, v38
	v_add_nc_u32_e32 v38, -1, v20
	v_cndmask_b32_e64 v1, 0, v1, s1
	v_cmp_gt_i32_e64 s1, s11, v39
	v_cndmask_b32_e64 v35, 0, v35, s1
	v_cmp_gt_i32_e64 s1, s11, v41
	;; [unrolled: 2-line block ×3, first 2 shown]
	v_or_b32_e32 v38, v1, v36
	v_or_b32_e32 v40, v8, v35
	v_cndmask_b32_e64 v34, 0, v34, s1
	v_cmp_gt_i32_e64 s1, s11, v20
	v_cndmask_b32_e64 v7, 0, v7, s1
	v_or_b32_e32 v39, v7, v34
.LBB248_469:                            ;   in Loop: Header=BB248_271 Depth=1
	s_or_b32 exec_lo, exec_lo, s19
	;;#ASMSTART
	v_pk_mul_f16 v1, v33, v42;

	;;#ASMEND
	;;#ASMSTART
	v_pk_mul_f16 v7, v32, v38;

	;;#ASMEND
	;; [unrolled: 4-line block ×4, first 2 shown]
	;;#ASMSTART
	v_pk_add_f16 v1, v1, v7;

	;;#ASMEND
	;;#ASMSTART
	v_pk_add_f16 v1, v1, v8;

	;;#ASMEND
	;;#ASMSTART
	v_pk_add_f16 v1, v1, v34;

	;;#ASMEND
	v_and_b32_e32 v7, 0xffff, v1
	v_lshrrev_b32_e32 v1, 16, v1
	;;#ASMSTART
	v_cvt_f32_f16 v7, v7;
	;;#ASMEND
	;;#ASMSTART
	v_cvt_f32_f16 v8, v1;
	;;#ASMEND
	s_and_saveexec_b32 s19, vcc_lo
	s_cbranch_execz .LBB248_270
; %bb.470:                              ;   in Loop: Header=BB248_271 Depth=1
	v_add_co_u32 v5, s1, v5, v19
	v_add_co_ci_u32_e64 v6, null, 0, v6, s1
	v_mov_b32_e32 v35, 0
	v_mov_b32_e32 v36, 0
	global_load_dwordx2 v[5:6], v[5:6], off
	global_load_dword v34, v35, s[14:15]
	s_waitcnt vmcnt(1)
	v_cmp_ne_u16_sdwa s1, v5, v2 src0_sel:BYTE_0 src1_sel:DWORD
	s_and_saveexec_b32 s22, s1
	s_cbranch_execz .LBB248_478
; %bb.471:                              ;   in Loop: Header=BB248_271 Depth=1
	v_cmp_ne_u16_sdwa s1, v5, v22 src0_sel:BYTE_0 src1_sel:DWORD
	v_mov_b32_e32 v36, 0x8000
	s_and_saveexec_b32 s23, s1
	s_cbranch_execz .LBB248_477
; %bb.472:                              ;   in Loop: Header=BB248_271 Depth=1
	v_and_b32_e32 v37, 0x7f, v5
	v_mov_b32_e32 v36, 0x7c01
	s_mov_b32 s24, exec_lo
	v_cmpx_ne_u32_e32 0x7f, v37
	s_cbranch_execz .LBB248_476
; %bb.473:                              ;   in Loop: Header=BB248_271 Depth=1
	v_and_b32_e32 v1, 7, v5
	v_lshrrev_b32_e32 v36, 3, v37
	s_mov_b32 s25, exec_lo
	v_cmpx_gt_u32_e32 8, v37
; %bb.474:                              ;   in Loop: Header=BB248_271 Depth=1
	v_ffbh_u32_e32 v1, v1
	v_min_u32_e32 v1, 32, v1
	v_subrev_nc_u32_e32 v36, 28, v1
	v_lshlrev_b64 v[37:38], v36, v[5:6]
	v_sub_nc_u32_e32 v36, 29, v1
	v_and_b32_e32 v1, 7, v37
; %bb.475:                              ;   in Loop: Header=BB248_271 Depth=1
	s_or_b32 exec_lo, exec_lo, s25
	v_lshlrev_b32_e32 v37, 8, v5
	v_lshl_add_u32 v36, v36, 10, 0x2000
	v_lshlrev_b32_e32 v1, 7, v1
	v_and_b32_e32 v37, 0x8000, v37
	v_and_b32_e32 v36, 0xfc00, v36
	v_or3_b32 v36, v37, v36, v1
.LBB248_476:                            ;   in Loop: Header=BB248_271 Depth=1
	s_or_b32 exec_lo, exec_lo, s24
.LBB248_477:                            ;   in Loop: Header=BB248_271 Depth=1
	s_or_b32 exec_lo, exec_lo, s23
.LBB248_478:                            ;   in Loop: Header=BB248_271 Depth=1
	s_or_b32 exec_lo, exec_lo, s22
	v_lshrrev_b16 v1, 8, v5
	s_mov_b32 s22, exec_lo
	v_cmpx_ne_u16_e32 0, v1
	s_cbranch_execz .LBB248_486
; %bb.479:                              ;   in Loop: Header=BB248_271 Depth=1
	v_bfrev_b32_e32 v35, 1
	s_mov_b32 s23, exec_lo
	v_cmpx_ne_u16_e32 0x80, v1
	s_cbranch_execz .LBB248_485
; %bb.480:                              ;   in Loop: Header=BB248_271 Depth=1
	v_and_b32_sdwa v38, v1, v23 dst_sel:DWORD dst_unused:UNUSED_PAD src0_sel:WORD_0 src1_sel:DWORD
	v_mov_b32_e32 v35, 0x7c010000
	s_mov_b32 s24, exec_lo
	v_cmpx_ne_u32_e32 0x7f, v38
	s_cbranch_execz .LBB248_484
; %bb.481:                              ;   in Loop: Header=BB248_271 Depth=1
	v_and_b32_sdwa v35, v1, v24 dst_sel:DWORD dst_unused:UNUSED_PAD src0_sel:WORD_0 src1_sel:DWORD
	v_lshrrev_b32_e32 v37, 3, v38
	s_mov_b32 s25, exec_lo
	v_cmpx_gt_u32_e32 8, v38
; %bb.482:                              ;   in Loop: Header=BB248_271 Depth=1
	v_ffbh_u32_e32 v35, v35
	v_min_u32_e32 v35, 32, v35
	v_subrev_nc_u32_e32 v37, 28, v35
	v_lshlrev_b64 v[38:39], v37, v[1:2]
	v_sub_nc_u32_e32 v37, 29, v35
	v_and_b32_e32 v35, 7, v38
; %bb.483:                              ;   in Loop: Header=BB248_271 Depth=1
	s_or_b32 exec_lo, exec_lo, s25
	v_lshlrev_b32_sdwa v1, v25, v1 dst_sel:DWORD dst_unused:UNUSED_PAD src0_sel:DWORD src1_sel:WORD_0
	v_lshl_add_u32 v37, v37, 10, 0x2000
	v_lshlrev_b32_e32 v35, 23, v35
	v_and_or_b32 v1, 0x8000, v1, v37
	v_lshl_or_b32 v35, v1, 16, v35
.LBB248_484:                            ;   in Loop: Header=BB248_271 Depth=1
	s_or_b32 exec_lo, exec_lo, s24
.LBB248_485:                            ;   in Loop: Header=BB248_271 Depth=1
	s_or_b32 exec_lo, exec_lo, s23
.LBB248_486:                            ;   in Loop: Header=BB248_271 Depth=1
	s_or_b32 exec_lo, exec_lo, s22
	v_lshrrev_b32_e32 v1, 16, v5
	v_mov_b32_e32 v37, 0
	v_mov_b32_e32 v38, 0
	v_cmp_ne_u16_sdwa s1, v1, v2 src0_sel:BYTE_0 src1_sel:DWORD
	s_and_saveexec_b32 s22, s1
	s_cbranch_execz .LBB248_494
; %bb.487:                              ;   in Loop: Header=BB248_271 Depth=1
	v_cmp_ne_u16_sdwa s1, v1, v22 src0_sel:BYTE_0 src1_sel:DWORD
	v_mov_b32_e32 v38, 0x8000
	s_and_saveexec_b32 s23, s1
	s_cbranch_execz .LBB248_493
; %bb.488:                              ;   in Loop: Header=BB248_271 Depth=1
	v_bfe_u32 v40, v5, 16, 7
	v_mov_b32_e32 v38, 0x7c01
	s_mov_b32 s24, exec_lo
	v_cmpx_ne_u32_e32 0x7f, v40
	s_cbranch_execz .LBB248_492
; %bb.489:                              ;   in Loop: Header=BB248_271 Depth=1
	v_and_b32_e32 v38, 7, v1
	v_lshrrev_b32_e32 v39, 3, v40
	s_mov_b32 s25, exec_lo
	v_cmpx_gt_u32_e32 8, v40
; %bb.490:                              ;   in Loop: Header=BB248_271 Depth=1
	v_ffbh_u32_e32 v38, v38
	v_min_u32_e32 v40, 32, v38
	v_subrev_nc_u32_e32 v38, 28, v40
	v_lshlrev_b64 v[38:39], v38, v[1:2]
	v_sub_nc_u32_e32 v39, 29, v40
	v_and_b32_e32 v38, 7, v38
; %bb.491:                              ;   in Loop: Header=BB248_271 Depth=1
	s_or_b32 exec_lo, exec_lo, s25
	v_lshlrev_b32_e32 v1, 8, v1
	v_lshl_add_u32 v39, v39, 10, 0x2000
	v_lshlrev_b32_e32 v38, 7, v38
	v_and_b32_e32 v1, 0x8000, v1
	v_and_b32_e32 v39, 0xfc00, v39
	v_or3_b32 v38, v1, v39, v38
.LBB248_492:                            ;   in Loop: Header=BB248_271 Depth=1
	s_or_b32 exec_lo, exec_lo, s24
.LBB248_493:                            ;   in Loop: Header=BB248_271 Depth=1
	s_or_b32 exec_lo, exec_lo, s23
.LBB248_494:                            ;   in Loop: Header=BB248_271 Depth=1
	s_or_b32 exec_lo, exec_lo, s22
	s_mov_b32 s22, exec_lo
	v_cmpx_lt_u32_e32 0xffffff, v5
	s_cbranch_execz .LBB248_502
; %bb.495:                              ;   in Loop: Header=BB248_271 Depth=1
	v_lshrrev_b32_e32 v1, 24, v5
	v_bfrev_b32_e32 v37, 1
	s_mov_b32 s23, exec_lo
	v_cmpx_ne_u32_e32 0x80, v1
	s_cbranch_execz .LBB248_501
; %bb.496:                              ;   in Loop: Header=BB248_271 Depth=1
	v_and_b32_e32 v40, 0x7f, v1
	v_mov_b32_e32 v37, 0x7c010000
	s_mov_b32 s24, exec_lo
	v_cmpx_ne_u32_e32 0x7f, v40
	s_cbranch_execz .LBB248_500
; %bb.497:                              ;   in Loop: Header=BB248_271 Depth=1
	v_and_b32_e32 v37, 7, v1
	v_lshrrev_b32_e32 v39, 3, v40
	s_mov_b32 s25, exec_lo
	v_cmpx_gt_u32_e32 8, v40
; %bb.498:                              ;   in Loop: Header=BB248_271 Depth=1
	v_ffbh_u32_e32 v37, v37
	v_min_u32_e32 v37, 32, v37
	v_subrev_nc_u32_e32 v39, 28, v37
	v_lshlrev_b64 v[40:41], v39, v[1:2]
	v_sub_nc_u32_e32 v39, 29, v37
	v_and_b32_e32 v37, 7, v40
; %bb.499:                              ;   in Loop: Header=BB248_271 Depth=1
	s_or_b32 exec_lo, exec_lo, s25
	v_lshlrev_b32_e32 v1, 8, v1
	v_lshl_add_u32 v39, v39, 10, 0x2000
	v_lshlrev_b32_e32 v37, 23, v37
	v_and_or_b32 v1, 0x8000, v1, v39
	v_lshl_or_b32 v37, v1, 16, v37
.LBB248_500:                            ;   in Loop: Header=BB248_271 Depth=1
	s_or_b32 exec_lo, exec_lo, s24
.LBB248_501:                            ;   in Loop: Header=BB248_271 Depth=1
	s_or_b32 exec_lo, exec_lo, s23
.LBB248_502:                            ;   in Loop: Header=BB248_271 Depth=1
	s_or_b32 exec_lo, exec_lo, s22
	v_mov_b32_e32 v1, v6
	v_cmp_ne_u16_sdwa s1, v6, v2 src0_sel:BYTE_0 src1_sel:DWORD
	v_mov_b32_e32 v39, 0
	v_mov_b32_e32 v40, 0
	s_and_saveexec_b32 s22, s1
	s_cbranch_execz .LBB248_510
; %bb.503:                              ;   in Loop: Header=BB248_271 Depth=1
	v_cmp_ne_u16_sdwa s1, v6, v22 src0_sel:BYTE_0 src1_sel:DWORD
	v_mov_b32_e32 v40, 0x8000
	s_and_saveexec_b32 s23, s1
	s_cbranch_execz .LBB248_509
; %bb.504:                              ;   in Loop: Header=BB248_271 Depth=1
	v_and_b32_e32 v42, 0x7f, v6
	v_mov_b32_e32 v40, 0x7c01
	s_mov_b32 s24, exec_lo
	v_cmpx_ne_u32_e32 0x7f, v42
	s_cbranch_execz .LBB248_508
; %bb.505:                              ;   in Loop: Header=BB248_271 Depth=1
	v_and_b32_e32 v40, 7, v6
	v_lshrrev_b32_e32 v41, 3, v42
	s_mov_b32 s25, exec_lo
	v_cmpx_gt_u32_e32 8, v42
; %bb.506:                              ;   in Loop: Header=BB248_271 Depth=1
	v_ffbh_u32_e32 v40, v40
	v_min_u32_e32 v42, 32, v40
	v_subrev_nc_u32_e32 v40, 28, v42
	v_lshlrev_b64 v[40:41], v40, v[1:2]
	v_sub_nc_u32_e32 v41, 29, v42
	v_and_b32_e32 v40, 7, v40
; %bb.507:                              ;   in Loop: Header=BB248_271 Depth=1
	s_or_b32 exec_lo, exec_lo, s25
	v_lshlrev_b32_e32 v42, 8, v6
	v_lshl_add_u32 v41, v41, 10, 0x2000
	v_lshlrev_b32_e32 v40, 7, v40
	v_and_b32_e32 v42, 0x8000, v42
	v_and_b32_e32 v41, 0xfc00, v41
	v_or3_b32 v40, v42, v41, v40
.LBB248_508:                            ;   in Loop: Header=BB248_271 Depth=1
	s_or_b32 exec_lo, exec_lo, s24
.LBB248_509:                            ;   in Loop: Header=BB248_271 Depth=1
	s_or_b32 exec_lo, exec_lo, s23
.LBB248_510:                            ;   in Loop: Header=BB248_271 Depth=1
	s_or_b32 exec_lo, exec_lo, s22
	v_lshrrev_b16 v1, 8, v1
	v_mov_b32_e32 v41, 0
	s_mov_b32 s22, exec_lo
	v_cmpx_ne_u16_e32 0, v1
	s_cbranch_execz .LBB248_518
; %bb.511:                              ;   in Loop: Header=BB248_271 Depth=1
	v_bfrev_b32_e32 v41, 1
	s_mov_b32 s23, exec_lo
	v_cmpx_ne_u16_e32 0x80, v1
	s_cbranch_execz .LBB248_517
; %bb.512:                              ;   in Loop: Header=BB248_271 Depth=1
	v_and_b32_sdwa v43, v1, v23 dst_sel:DWORD dst_unused:UNUSED_PAD src0_sel:WORD_0 src1_sel:DWORD
	v_mov_b32_e32 v41, 0x7c010000
	s_mov_b32 s24, exec_lo
	v_cmpx_ne_u32_e32 0x7f, v43
	s_cbranch_execz .LBB248_516
; %bb.513:                              ;   in Loop: Header=BB248_271 Depth=1
	v_and_b32_sdwa v41, v1, v24 dst_sel:DWORD dst_unused:UNUSED_PAD src0_sel:WORD_0 src1_sel:DWORD
	v_lshrrev_b32_e32 v42, 3, v43
	s_mov_b32 s25, exec_lo
	v_cmpx_gt_u32_e32 8, v43
; %bb.514:                              ;   in Loop: Header=BB248_271 Depth=1
	v_ffbh_u32_e32 v41, v41
	v_min_u32_e32 v43, 32, v41
	v_subrev_nc_u32_e32 v41, 28, v43
	v_lshlrev_b64 v[41:42], v41, v[1:2]
	v_sub_nc_u32_e32 v42, 29, v43
	v_and_b32_e32 v41, 7, v41
; %bb.515:                              ;   in Loop: Header=BB248_271 Depth=1
	s_or_b32 exec_lo, exec_lo, s25
	v_lshlrev_b32_sdwa v1, v25, v1 dst_sel:DWORD dst_unused:UNUSED_PAD src0_sel:DWORD src1_sel:WORD_0
	v_lshl_add_u32 v42, v42, 10, 0x2000
	v_lshlrev_b32_e32 v41, 23, v41
	v_and_or_b32 v1, 0x8000, v1, v42
	v_lshl_or_b32 v41, v1, 16, v41
.LBB248_516:                            ;   in Loop: Header=BB248_271 Depth=1
	s_or_b32 exec_lo, exec_lo, s24
.LBB248_517:                            ;   in Loop: Header=BB248_271 Depth=1
	s_or_b32 exec_lo, exec_lo, s23
.LBB248_518:                            ;   in Loop: Header=BB248_271 Depth=1
	s_or_b32 exec_lo, exec_lo, s22
	v_lshrrev_b32_e32 v1, 16, v6
	v_cmp_ne_u16_sdwa s1, v1, v2 src0_sel:BYTE_0 src1_sel:DWORD
	s_and_saveexec_b32 s22, s1
	s_cbranch_execz .LBB248_526
; %bb.519:                              ;   in Loop: Header=BB248_271 Depth=1
	v_cmp_ne_u16_sdwa s1, v1, v22 src0_sel:BYTE_0 src1_sel:DWORD
	v_mov_b32_e32 v39, 0x8000
	s_and_saveexec_b32 s23, s1
	s_cbranch_execz .LBB248_525
; %bb.520:                              ;   in Loop: Header=BB248_271 Depth=1
	v_bfe_u32 v43, v6, 16, 7
	v_mov_b32_e32 v39, 0x7c01
	s_mov_b32 s24, exec_lo
	v_cmpx_ne_u32_e32 0x7f, v43
	s_cbranch_execz .LBB248_524
; %bb.521:                              ;   in Loop: Header=BB248_271 Depth=1
	v_and_b32_e32 v39, 7, v1
	v_lshrrev_b32_e32 v42, 3, v43
	s_mov_b32 s25, exec_lo
	v_cmpx_gt_u32_e32 8, v43
; %bb.522:                              ;   in Loop: Header=BB248_271 Depth=1
	v_ffbh_u32_e32 v39, v39
	v_min_u32_e32 v39, 32, v39
	v_subrev_nc_u32_e32 v42, 28, v39
	v_lshlrev_b64 v[43:44], v42, v[1:2]
	v_sub_nc_u32_e32 v42, 29, v39
	v_and_b32_e32 v39, 7, v43
; %bb.523:                              ;   in Loop: Header=BB248_271 Depth=1
	s_or_b32 exec_lo, exec_lo, s25
	v_lshlrev_b32_e32 v1, 8, v1
	v_lshl_add_u32 v42, v42, 10, 0x2000
	v_lshlrev_b32_e32 v39, 7, v39
	v_and_b32_e32 v1, 0x8000, v1
	v_and_b32_e32 v42, 0xfc00, v42
	v_or3_b32 v39, v1, v42, v39
.LBB248_524:                            ;   in Loop: Header=BB248_271 Depth=1
	s_or_b32 exec_lo, exec_lo, s24
.LBB248_525:                            ;   in Loop: Header=BB248_271 Depth=1
	s_or_b32 exec_lo, exec_lo, s23
.LBB248_526:                            ;   in Loop: Header=BB248_271 Depth=1
	s_or_b32 exec_lo, exec_lo, s22
	v_cmp_lt_u64_e64 s1, s[4:5], v[5:6]
	v_mov_b32_e32 v5, 0
	s_and_saveexec_b32 s22, s1
	s_cbranch_execz .LBB248_534
; %bb.527:                              ;   in Loop: Header=BB248_271 Depth=1
	v_lshrrev_b32_e32 v1, 24, v6
	v_bfrev_b32_e32 v5, 1
	s_mov_b32 s23, exec_lo
	v_cmpx_ne_u32_e32 0x80, v1
	s_cbranch_execz .LBB248_533
; %bb.528:                              ;   in Loop: Header=BB248_271 Depth=1
	v_and_b32_e32 v42, 0x7f, v1
	v_mov_b32_e32 v5, 0x7c010000
	s_mov_b32 s24, exec_lo
	v_cmpx_ne_u32_e32 0x7f, v42
	s_cbranch_execz .LBB248_532
; %bb.529:                              ;   in Loop: Header=BB248_271 Depth=1
	v_and_b32_e32 v5, 7, v1
	v_lshrrev_b32_e32 v6, 3, v42
	s_mov_b32 s25, exec_lo
	v_cmpx_gt_u32_e32 8, v42
; %bb.530:                              ;   in Loop: Header=BB248_271 Depth=1
	v_ffbh_u32_e32 v5, v5
	v_min_u32_e32 v42, 32, v5
	v_subrev_nc_u32_e32 v5, 28, v42
	v_lshlrev_b64 v[5:6], v5, v[1:2]
	v_sub_nc_u32_e32 v6, 29, v42
	v_and_b32_e32 v5, 7, v5
; %bb.531:                              ;   in Loop: Header=BB248_271 Depth=1
	s_or_b32 exec_lo, exec_lo, s25
	v_lshlrev_b32_e32 v1, 8, v1
	v_lshl_add_u32 v6, v6, 10, 0x2000
	v_lshlrev_b32_e32 v5, 23, v5
	v_and_or_b32 v1, 0x8000, v1, v6
	v_lshl_or_b32 v5, v1, 16, v5
.LBB248_532:                            ;   in Loop: Header=BB248_271 Depth=1
	s_or_b32 exec_lo, exec_lo, s24
.LBB248_533:                            ;   in Loop: Header=BB248_271 Depth=1
	s_or_b32 exec_lo, exec_lo, s23
.LBB248_534:                            ;   in Loop: Header=BB248_271 Depth=1
	s_or_b32 exec_lo, exec_lo, s22
	v_or_b32_e32 v1, v37, v38
	s_waitcnt vmcnt(0)
	v_fma_mixlo_f16 v6, v34, v37, 0 op_sel:[0,1,0] op_sel_hi:[0,1,0]
	v_or_b32_e32 v36, v35, v36
	v_fma_mixlo_f16 v35, v34, v35, 0 op_sel:[0,1,0] op_sel_hi:[0,1,0]
	v_or_b32_e32 v38, v41, v40
	v_or_b32_e32 v39, v5, v39
	v_fma_mixlo_f16 v40, v34, v1, 0 op_sel_hi:[0,1,0]
	v_lshlrev_b32_e32 v1, 16, v6
	v_lshlrev_b32_e32 v37, 16, v35
	v_fma_mixlo_f16 v6, v34, v36, 0 op_sel_hi:[0,1,0]
	v_fma_mixlo_f16 v35, v34, v41, 0 op_sel:[0,1,0] op_sel_hi:[0,1,0]
	v_fma_mixlo_f16 v38, v34, v38, 0 op_sel_hi:[0,1,0]
	v_fma_mixlo_f16 v5, v34, v5, 0 op_sel:[0,1,0] op_sel_hi:[0,1,0]
	v_fma_mixlo_f16 v34, v34, v39, 0 op_sel_hi:[0,1,0]
	v_and_b32_e32 v36, 0xffff, v40
	v_and_b32_e32 v42, 0xffff, v6
	v_lshlrev_b32_e32 v6, 16, v35
	v_and_b32_e32 v35, 0xffff, v38
	v_lshlrev_b32_e32 v5, 16, v5
	v_and_b32_e32 v34, 0xffff, v34
	v_or_b32_e32 v40, v1, v36
	v_or_b32_e32 v41, v37, v42
	;; [unrolled: 1-line block ×4, first 2 shown]
	s_and_saveexec_b32 s1, s0
	s_cbranch_execz .LBB248_269
; %bb.535:                              ;   in Loop: Header=BB248_271 Depth=1
	v_add_nc_u32_e32 v38, -6, v20
	v_cmp_gt_i32_e64 s0, s11, v27
	v_add_nc_u32_e32 v39, -5, v20
	v_add_nc_u32_e32 v40, -2, v20
	v_cndmask_b32_e64 v27, 0, v42, s0
	v_cmp_gt_i32_e64 s0, s11, v38
	v_add_nc_u32_e32 v38, -4, v20
	v_cndmask_b32_e64 v37, 0, v37, s0
	v_cmp_gt_i32_e64 s0, s11, v39
	v_add_nc_u32_e32 v39, -3, v20
	v_or_b32_e32 v41, v37, v27
	v_cndmask_b32_e64 v36, 0, v36, s0
	v_cmp_gt_i32_e64 s0, s11, v38
	v_add_nc_u32_e32 v38, -1, v20
	v_cndmask_b32_e64 v1, 0, v1, s0
	v_cmp_gt_i32_e64 s0, s11, v39
	v_cndmask_b32_e64 v35, 0, v35, s0
	v_cmp_gt_i32_e64 s0, s11, v40
	v_or_b32_e32 v40, v1, v36
	v_cndmask_b32_e64 v6, 0, v6, s0
	v_cmp_gt_i32_e64 s0, s11, v38
	v_or_b32_e32 v39, v6, v35
	v_cndmask_b32_e64 v34, 0, v34, s0
	v_cmp_gt_i32_e64 s0, s11, v20
	v_cndmask_b32_e64 v5, 0, v5, s0
	v_or_b32_e32 v38, v5, v34
	s_branch .LBB248_269
.LBB248_536:
	s_or_b32 exec_lo, exec_lo, s18
.LBB248_537:
	s_or_b32 exec_lo, exec_lo, s12
	s_movk_i32 s0, 0x1e0
	v_and_b32_e32 v1, 0x3c0, v0
	v_mad_u32_u24 v4, v11, s0, 0x110
	v_or_b32_e32 v3, 0x60, v0
	s_mov_b32 s0, exec_lo
	s_barrier
	buffer_gl0_inv
	v_cmpx_eq_u32_e32 64, v1
	s_cbranch_execz .LBB248_540
; %bb.538:
	v_add_nc_u32_e32 v1, 0xfffffc40, v4
	v_cmp_gt_u32_e32 vcc_lo, 0x78, v3
	v_lshl_add_u32 v2, v12, 2, v1
	ds_write2_b32 v2, v17, v16 offset1:32
	ds_write_b32 v2, v15 offset:256
	s_and_b32 exec_lo, exec_lo, vcc_lo
; %bb.539:
	v_lshl_add_u32 v1, v3, 2, v1
	ds_write_b32 v1, v14
.LBB248_540:
	s_or_b32 exec_lo, exec_lo, s0
	v_lshl_add_u32 v5, v12, 2, v4
	s_mov_b32 s0, exec_lo
	s_waitcnt lgkmcnt(0)
	s_barrier
	buffer_gl0_inv
	v_cmpx_gt_u32_e32 64, v0
	s_cbranch_execz .LBB248_544
; %bb.541:
	v_lshl_or_b32 v1, v0, 2, 0x80
	s_mov_b32 s1, exec_lo
	v_add_nc_u32_e32 v6, v4, v1
	ds_read2st64_b32 v[1:2], v5 offset1:1
	ds_read_b32 v6, v6
	v_cmpx_gt_u32_e32 0x78, v3
	s_cbranch_execz .LBB248_543
; %bb.542:
	v_lshl_add_u32 v7, v3, 2, v4
	ds_read_b32 v7, v7
	s_waitcnt lgkmcnt(0)
	v_add_f32_e32 v14, v14, v7
.LBB248_543:
	s_or_b32 exec_lo, exec_lo, s1
	s_waitcnt lgkmcnt(1)
	v_add_f32_e32 v17, v17, v1
	s_waitcnt lgkmcnt(0)
	v_add_f32_e32 v16, v16, v6
	v_add_f32_e32 v15, v15, v2
.LBB248_544:
	s_or_b32 exec_lo, exec_lo, s0
	v_and_b32_e32 v1, 0x3e0, v0
	s_mov_b32 s0, exec_lo
	s_barrier
	buffer_gl0_inv
	v_cmpx_eq_u32_e32 32, v1
	s_cbranch_execz .LBB248_547
; %bb.545:
	v_lshl_add_u32 v1, v12, 2, 0x110
	v_cmp_gt_u32_e32 vcc_lo, 0x78, v3
	ds_write_b32 v1, v17
	ds_write_b32 v13, v16
	ds_write_b32 v1, v15 offset:256
	s_and_b32 exec_lo, exec_lo, vcc_lo
; %bb.546:
	v_lshl_add_u32 v1, v3, 2, 0x110
	ds_write_b32 v1, v14
.LBB248_547:
	s_or_b32 exec_lo, exec_lo, s0
	v_cmp_gt_u32_e32 vcc_lo, 32, v0
	s_waitcnt lgkmcnt(0)
	s_barrier
	buffer_gl0_inv
	s_and_saveexec_b32 s1, vcc_lo
	s_cbranch_execz .LBB248_551
; %bb.548:
	v_lshl_add_u32 v6, v0, 2, v4
	s_mov_b32 s2, exec_lo
	ds_read_b32 v4, v5
	ds_read2_b32 v[1:2], v6 offset0:32 offset1:64
	v_cmpx_gt_u32_e32 0x78, v3
	s_cbranch_execz .LBB248_550
; %bb.549:
	ds_read_b32 v5, v6 offset:384
	s_waitcnt lgkmcnt(0)
	v_add_f32_e32 v14, v14, v5
.LBB248_550:
	s_or_b32 exec_lo, exec_lo, s2
	s_waitcnt lgkmcnt(1)
	v_add_f32_e32 v17, v17, v4
	s_waitcnt lgkmcnt(0)
	v_add_f32_e32 v16, v16, v1
	v_add_f32_e32 v15, v15, v2
.LBB248_551:
	s_or_b32 exec_lo, exec_lo, s1
	s_barrier
	buffer_gl0_inv
	s_and_saveexec_b32 s0, vcc_lo
	s_cbranch_execz .LBB248_554
; %bb.552:
	s_mul_i32 s0, s10, s7
	s_mul_i32 s2, s7, s6
	;; [unrolled: 1-line block ×3, first 2 shown]
	v_lshlrev_b32_e32 v0, 1, v0
	s_mulk_i32 s0, 0x78
	v_cmp_gt_u32_e32 vcc_lo, 0x78, v3
	s_ashr_i32 s1, s0, 31
	;;#ASMSTART
	v_cvt_f16_f32 v1, v17;

	;;#ASMEND
	s_lshl_b64 s[0:1], s[0:1], 1
	s_add_u32 s4, s20, s0
	s_addc_u32 s5, s21, s1
	s_ashr_i32 s3, s2, 31
	s_lshl_b64 s[0:1], s[2:3], 1
	s_mul_i32 s2, s8, 0x78
	s_add_u32 s4, s4, s0
	s_addc_u32 s5, s5, s1
	s_ashr_i32 s3, s2, 31
	s_lshl_b64 s[0:1], s[2:3], 1
	s_add_u32 s0, s4, s0
	s_addc_u32 s1, s5, s1
	global_store_short v0, v1, s[0:1]
	;;#ASMSTART
	v_cvt_f16_f32 v1, v16;

	;;#ASMEND
	global_store_short v0, v1, s[0:1] offset:64
	;;#ASMSTART
	v_cvt_f16_f32 v1, v15;

	;;#ASMEND
	global_store_short v0, v1, s[0:1] offset:128
	s_and_b32 exec_lo, exec_lo, vcc_lo
	s_cbranch_execz .LBB248_554
; %bb.553:
	v_add_co_u32 v0, s0, s0, v0
	v_add_co_ci_u32_e64 v1, null, s1, 0, s0
	;;#ASMSTART
	v_cvt_f16_f32 v2, v14;

	;;#ASMEND
	global_store_short v[0:1], v2, off offset:192
.LBB248_554:
	s_endpgm
	.section	.rodata,"a",@progbits
	.p2align	6, 0x0
	.amdhsa_kernel _ZN4vllm25paged_attention_v1_kernelIthLi120ELi8ELi128ELNS_18Fp8KVCacheDataTypeE1ELb0EEEvPT_PKS2_PKT0_S8_ifPKiSA_iPKfiiiSC_SC_iiiii
		.amdhsa_group_segment_fixed_size 272
		.amdhsa_private_segment_fixed_size 0
		.amdhsa_kernarg_size 384
		.amdhsa_user_sgpr_count 6
		.amdhsa_user_sgpr_private_segment_buffer 1
		.amdhsa_user_sgpr_dispatch_ptr 0
		.amdhsa_user_sgpr_queue_ptr 0
		.amdhsa_user_sgpr_kernarg_segment_ptr 1
		.amdhsa_user_sgpr_dispatch_id 0
		.amdhsa_user_sgpr_flat_scratch_init 0
		.amdhsa_user_sgpr_private_segment_size 0
		.amdhsa_wavefront_size32 1
		.amdhsa_uses_dynamic_stack 0
		.amdhsa_system_sgpr_private_segment_wavefront_offset 0
		.amdhsa_system_sgpr_workgroup_id_x 1
		.amdhsa_system_sgpr_workgroup_id_y 1
		.amdhsa_system_sgpr_workgroup_id_z 1
		.amdhsa_system_sgpr_workgroup_info 0
		.amdhsa_system_vgpr_workitem_id 0
		.amdhsa_next_free_vgpr 76
		.amdhsa_next_free_sgpr 35
		.amdhsa_reserve_vcc 1
		.amdhsa_reserve_flat_scratch 0
		.amdhsa_float_round_mode_32 0
		.amdhsa_float_round_mode_16_64 0
		.amdhsa_float_denorm_mode_32 3
		.amdhsa_float_denorm_mode_16_64 3
		.amdhsa_dx10_clamp 1
		.amdhsa_ieee_mode 1
		.amdhsa_fp16_overflow 0
		.amdhsa_workgroup_processor_mode 1
		.amdhsa_memory_ordered 1
		.amdhsa_forward_progress 1
		.amdhsa_shared_vgpr_count 0
		.amdhsa_exception_fp_ieee_invalid_op 0
		.amdhsa_exception_fp_denorm_src 0
		.amdhsa_exception_fp_ieee_div_zero 0
		.amdhsa_exception_fp_ieee_overflow 0
		.amdhsa_exception_fp_ieee_underflow 0
		.amdhsa_exception_fp_ieee_inexact 0
		.amdhsa_exception_int_div_zero 0
	.end_amdhsa_kernel
	.section	.text._ZN4vllm25paged_attention_v1_kernelIthLi120ELi8ELi128ELNS_18Fp8KVCacheDataTypeE1ELb0EEEvPT_PKS2_PKT0_S8_ifPKiSA_iPKfiiiSC_SC_iiiii,"axG",@progbits,_ZN4vllm25paged_attention_v1_kernelIthLi120ELi8ELi128ELNS_18Fp8KVCacheDataTypeE1ELb0EEEvPT_PKS2_PKT0_S8_ifPKiSA_iPKfiiiSC_SC_iiiii,comdat
.Lfunc_end248:
	.size	_ZN4vllm25paged_attention_v1_kernelIthLi120ELi8ELi128ELNS_18Fp8KVCacheDataTypeE1ELb0EEEvPT_PKS2_PKT0_S8_ifPKiSA_iPKfiiiSC_SC_iiiii, .Lfunc_end248-_ZN4vllm25paged_attention_v1_kernelIthLi120ELi8ELi128ELNS_18Fp8KVCacheDataTypeE1ELb0EEEvPT_PKS2_PKT0_S8_ifPKiSA_iPKfiiiSC_SC_iiiii
                                        ; -- End function
	.set _ZN4vllm25paged_attention_v1_kernelIthLi120ELi8ELi128ELNS_18Fp8KVCacheDataTypeE1ELb0EEEvPT_PKS2_PKT0_S8_ifPKiSA_iPKfiiiSC_SC_iiiii.num_vgpr, 76
	.set _ZN4vllm25paged_attention_v1_kernelIthLi120ELi8ELi128ELNS_18Fp8KVCacheDataTypeE1ELb0EEEvPT_PKS2_PKT0_S8_ifPKiSA_iPKfiiiSC_SC_iiiii.num_agpr, 0
	.set _ZN4vllm25paged_attention_v1_kernelIthLi120ELi8ELi128ELNS_18Fp8KVCacheDataTypeE1ELb0EEEvPT_PKS2_PKT0_S8_ifPKiSA_iPKfiiiSC_SC_iiiii.numbered_sgpr, 35
	.set _ZN4vllm25paged_attention_v1_kernelIthLi120ELi8ELi128ELNS_18Fp8KVCacheDataTypeE1ELb0EEEvPT_PKS2_PKT0_S8_ifPKiSA_iPKfiiiSC_SC_iiiii.num_named_barrier, 0
	.set _ZN4vllm25paged_attention_v1_kernelIthLi120ELi8ELi128ELNS_18Fp8KVCacheDataTypeE1ELb0EEEvPT_PKS2_PKT0_S8_ifPKiSA_iPKfiiiSC_SC_iiiii.private_seg_size, 0
	.set _ZN4vllm25paged_attention_v1_kernelIthLi120ELi8ELi128ELNS_18Fp8KVCacheDataTypeE1ELb0EEEvPT_PKS2_PKT0_S8_ifPKiSA_iPKfiiiSC_SC_iiiii.uses_vcc, 1
	.set _ZN4vllm25paged_attention_v1_kernelIthLi120ELi8ELi128ELNS_18Fp8KVCacheDataTypeE1ELb0EEEvPT_PKS2_PKT0_S8_ifPKiSA_iPKfiiiSC_SC_iiiii.uses_flat_scratch, 0
	.set _ZN4vllm25paged_attention_v1_kernelIthLi120ELi8ELi128ELNS_18Fp8KVCacheDataTypeE1ELb0EEEvPT_PKS2_PKT0_S8_ifPKiSA_iPKfiiiSC_SC_iiiii.has_dyn_sized_stack, 0
	.set _ZN4vllm25paged_attention_v1_kernelIthLi120ELi8ELi128ELNS_18Fp8KVCacheDataTypeE1ELb0EEEvPT_PKS2_PKT0_S8_ifPKiSA_iPKfiiiSC_SC_iiiii.has_recursion, 0
	.set _ZN4vllm25paged_attention_v1_kernelIthLi120ELi8ELi128ELNS_18Fp8KVCacheDataTypeE1ELb0EEEvPT_PKS2_PKT0_S8_ifPKiSA_iPKfiiiSC_SC_iiiii.has_indirect_call, 0
	.section	.AMDGPU.csdata,"",@progbits
; Kernel info:
; codeLenInByte = 19216
; TotalNumSgprs: 37
; NumVgprs: 76
; ScratchSize: 0
; MemoryBound: 0
; FloatMode: 240
; IeeeMode: 1
; LDSByteSize: 272 bytes/workgroup (compile time only)
; SGPRBlocks: 0
; VGPRBlocks: 9
; NumSGPRsForWavesPerEU: 37
; NumVGPRsForWavesPerEU: 76
; Occupancy: 12
; WaveLimiterHint : 1
; COMPUTE_PGM_RSRC2:SCRATCH_EN: 0
; COMPUTE_PGM_RSRC2:USER_SGPR: 6
; COMPUTE_PGM_RSRC2:TRAP_HANDLER: 0
; COMPUTE_PGM_RSRC2:TGID_X_EN: 1
; COMPUTE_PGM_RSRC2:TGID_Y_EN: 1
; COMPUTE_PGM_RSRC2:TGID_Z_EN: 1
; COMPUTE_PGM_RSRC2:TIDIG_COMP_CNT: 0
	.section	.text._ZN4vllm25paged_attention_v1_kernelIthLi128ELi8ELi128ELNS_18Fp8KVCacheDataTypeE1ELb0EEEvPT_PKS2_PKT0_S8_ifPKiSA_iPKfiiiSC_SC_iiiii,"axG",@progbits,_ZN4vllm25paged_attention_v1_kernelIthLi128ELi8ELi128ELNS_18Fp8KVCacheDataTypeE1ELb0EEEvPT_PKS2_PKT0_S8_ifPKiSA_iPKfiiiSC_SC_iiiii,comdat
	.protected	_ZN4vllm25paged_attention_v1_kernelIthLi128ELi8ELi128ELNS_18Fp8KVCacheDataTypeE1ELb0EEEvPT_PKS2_PKT0_S8_ifPKiSA_iPKfiiiSC_SC_iiiii ; -- Begin function _ZN4vllm25paged_attention_v1_kernelIthLi128ELi8ELi128ELNS_18Fp8KVCacheDataTypeE1ELb0EEEvPT_PKS2_PKT0_S8_ifPKiSA_iPKfiiiSC_SC_iiiii
	.globl	_ZN4vllm25paged_attention_v1_kernelIthLi128ELi8ELi128ELNS_18Fp8KVCacheDataTypeE1ELb0EEEvPT_PKS2_PKT0_S8_ifPKiSA_iPKfiiiSC_SC_iiiii
	.p2align	8
	.type	_ZN4vllm25paged_attention_v1_kernelIthLi128ELi8ELi128ELNS_18Fp8KVCacheDataTypeE1ELb0EEEvPT_PKS2_PKT0_S8_ifPKiSA_iPKfiiiSC_SC_iiiii,@function
_ZN4vllm25paged_attention_v1_kernelIthLi128ELi8ELi128ELNS_18Fp8KVCacheDataTypeE1ELb0EEEvPT_PKS2_PKT0_S8_ifPKiSA_iPKfiiiSC_SC_iiiii: ; @_ZN4vllm25paged_attention_v1_kernelIthLi128ELi8ELi128ELNS_18Fp8KVCacheDataTypeE1ELb0EEEvPT_PKS2_PKT0_S8_ifPKiSA_iPKfiiiSC_SC_iiiii
; %bb.0:
	s_clause 0x2
	s_load_dword s9, s[4:5], 0x80
	s_load_dwordx2 s[0:1], s[4:5], 0x30
	s_load_dwordx2 s[28:29], s[4:5], 0x20
	s_mov_b32 s10, s7
	s_ashr_i32 s11, s7, 31
	s_lshl_b64 s[2:3], s[10:11], 2
	s_waitcnt lgkmcnt(0)
	s_add_u32 s0, s0, s2
	s_addc_u32 s1, s1, s3
	s_abs_i32 s2, s28
	s_abs_i32 s11, s9
	v_cvt_f32_u32_e32 v1, s2
	s_sub_i32 s7, 0, s2
	v_rcp_iflag_f32_e32 v1, v1
	v_mul_f32_e32 v1, 0x4f7ffffe, v1
	v_cvt_u32_f32_e32 v1, v1
	v_readfirstlane_b32 s3, v1
	s_mul_i32 s7, s7, s3
	s_mul_hi_u32 s7, s3, s7
	s_add_i32 s3, s3, s7
	s_xor_b32 s7, s9, s28
	s_mul_hi_u32 s3, s11, s3
	s_ashr_i32 s7, s7, 31
	s_mul_i32 s12, s3, s2
	s_mov_b32 s28, 0
	s_sub_i32 s11, s11, s12
	s_add_i32 s12, s3, 1
	s_sub_i32 s13, s11, s2
	s_cmp_ge_u32 s11, s2
	s_cselect_b32 s3, s12, s3
	s_cselect_b32 s11, s13, s11
	s_add_i32 s12, s3, 1
	s_cmp_ge_u32 s11, s2
	s_cselect_b32 s2, s12, s3
	s_abs_i32 s13, s6
	s_xor_b32 s2, s2, s7
	s_sub_i32 s15, s2, s7
	s_load_dwordx2 s[2:3], s[4:5], 0x40
	s_abs_i32 s12, s15
	v_cvt_f32_u32_e32 v1, s12
	s_sub_i32 s11, 0, s12
	v_rcp_iflag_f32_e32 v1, v1
	v_mul_f32_e32 v1, 0x4f7ffffe, v1
	v_cvt_u32_f32_e32 v1, v1
	v_readfirstlane_b32 s7, v1
	s_mul_i32 s11, s11, s7
	s_mul_hi_u32 s11, s7, s11
	s_add_i32 s7, s7, s11
	s_waitcnt lgkmcnt(0)
	s_cmp_eq_u64 s[2:3], 0
	s_mul_hi_u32 s14, s13, s7
	s_cbranch_scc1 .LBB249_2
; %bb.1:
	s_ashr_i32 s7, s6, 31
	s_lshl_b64 s[16:17], s[6:7], 2
	s_add_u32 s2, s2, s16
	s_addc_u32 s3, s3, s17
	s_load_dword s28, s[2:3], 0x0
.LBB249_2:
	s_load_dword s11, s[0:1], 0x0
	s_load_dwordx4 s[16:19], s[4:5], 0x48
	v_and_b32_e32 v1, 3, v0
	v_cmp_gt_u32_e64 s0, 64, v0
	s_ashr_i32 s1, s6, 31
	s_ashr_i32 s2, s15, 31
	s_lshl_b32 s6, s6, 7
	s_and_saveexec_b32 s3, s0
	s_cbranch_execz .LBB249_4
; %bb.3:
	s_load_dwordx2 s[20:21], s[4:5], 0x8
	s_waitcnt lgkmcnt(0)
	s_mul_i32 s22, s16, s10
	v_lshlrev_b32_e32 v2, 2, v0
	s_ashr_i32 s23, s22, 31
	v_and_b32_e32 v3, 0x3fc, v0
	s_lshl_b64 s[22:23], s[22:23], 1
	v_lshl_add_u32 v3, v1, 6, v3
	s_add_u32 s15, s20, s22
	s_addc_u32 s16, s21, s23
	s_ashr_i32 s7, s6, 31
	s_lshl_b64 s[20:21], s[6:7], 1
	s_add_u32 s20, s15, s20
	s_addc_u32 s21, s16, s21
	global_load_dword v2, v2, s[20:21]
	s_waitcnt vmcnt(0)
	ds_write_b32 v3, v2
.LBB249_4:
	s_or_b32 exec_lo, exec_lo, s3
	s_waitcnt lgkmcnt(0)
	s_add_i32 s3, s11, 7
	s_clause 0x1
	s_load_dwordx2 s[22:23], s[4:5], 0x28
	s_load_dword s15, s[4:5], 0x38
	s_ashr_i32 s7, s3, 31
	s_xor_b32 s1, s1, s2
	s_lshr_b32 s7, s7, 29
	s_mul_i32 s2, s14, s12
	s_add_i32 s3, s3, s7
	s_sub_i32 s2, s13, s2
	s_ashr_i32 s16, s3, 3
	s_add_i32 s3, s14, 1
	s_sub_i32 s7, s2, s12
	s_cmp_ge_u32 s2, s12
	v_lshrrev_b32_e32 v11, 5, v0
	s_cselect_b32 s3, s3, s14
	s_cselect_b32 s2, s7, s2
	s_add_i32 s7, s3, 1
	s_cmp_ge_u32 s2, s12
	v_mbcnt_lo_u32_b32 v10, -1, 0
	s_cselect_b32 s2, s7, s3
	s_mov_b32 s3, exec_lo
	s_xor_b32 s2, s2, s1
	s_waitcnt lgkmcnt(0)
	s_mul_i32 s24, s15, s10
	s_sub_i32 s2, s2, s1
	v_cmp_gt_i32_e64 s1, s16, v11
	s_ashr_i32 s25, s24, 31
	s_barrier
	buffer_gl0_inv
                                        ; implicit-def: $vgpr2
                                        ; implicit-def: $vgpr12
	v_cmpx_le_i32_e64 s16, v11
	s_xor_b32 s3, exec_lo, s3
; %bb.5:
	v_mov_b32_e32 v2, 0
	v_mbcnt_lo_u32_b32 v10, -1, 0
	v_mov_b32_e32 v12, 32
                                        ; implicit-def: $vgpr1
; %bb.6:
	s_or_saveexec_b32 s19, s3
	s_clause 0x3
	s_load_dwordx2 s[20:21], s[4:5], 0x0
	s_load_dwordx2 s[26:27], s[4:5], 0x18
	s_load_dword s7, s[4:5], 0x88
	s_load_dwordx4 s[12:15], s[4:5], 0x58
	v_mov_b32_e32 v13, 0xff7fffff
	v_lshrrev_b32_e32 v9, 3, v0
	s_mul_i32 s18, s2, s18
	s_xor_b32 exec_lo, exec_lo, s19
	s_cbranch_execz .LBB249_268
; %bb.7:
	s_load_dwordx2 s[4:5], s[4:5], 0x10
	v_bfe_u32 v3, v0, 2, 3
	v_lshlrev_b32_e32 v5, 1, v1
	v_lshlrev_b32_e32 v14, 6, v1
	v_cmp_eq_u32_e32 vcc_lo, 0, v1
	s_ashr_i32 s3, s18, 31
	v_lshlrev_b32_e32 v4, 2, v3
	v_and_b32_e32 v6, 0x7c, v9
	v_lshl_or_b32 v15, v11, 3, v3
	v_mov_b32_e32 v2, 0
	v_cmp_neq_f32_e64 s2, s28, 0
	v_lshl_or_b32 v1, v11, 5, v4
	v_lshlrev_b32_e32 v4, 4, v3
	v_mov_b32_e32 v13, 0xff7fffff
	v_mov_b32_e32 v12, 32
	;; [unrolled: 1-line block ×3, first 2 shown]
	v_add_nc_u32_e32 v16, 0x120, v1
	v_mov_b32_e32 v18, 0x7f
	v_mov_b32_e32 v19, 7
	;; [unrolled: 1-line block ×3, first 2 shown]
	s_waitcnt lgkmcnt(0)
	s_add_u32 s4, s4, s18
	s_addc_u32 s3, s5, s3
	v_add_co_u32 v1, s4, s4, v4
	v_add_co_ci_u32_e64 v4, null, s3, 0, s4
	s_lshl_b64 s[30:31], s[24:25], 2
	s_sub_i32 s5, 1, s11
	s_add_u32 s4, s22, s30
	v_add_co_u32 v3, s3, v1, v5
	s_addc_u32 s30, s23, s31
	v_add_co_ci_u32_e64 v4, null, 0, v4, s3
	v_add_co_u32 v5, s3, s4, v6
	v_add_co_ci_u32_e64 v6, null, s30, 0, s3
	v_mov_b32_e32 v21, v11
	s_mov_b32 s31, s17
	s_mov_b32 s30, 0
	s_branch .LBB249_9
.LBB249_8:                              ;   in Loop: Header=BB249_9 Depth=1
	s_or_b32 exec_lo, exec_lo, s4
	v_add_nc_u32_e32 v21, 4, v21
	v_add_co_u32 v5, s4, v5, 16
	v_add_nc_u32_e32 v15, 32, v15
	v_add_nc_u32_e32 v16, 0x80, v16
	v_cmp_le_i32_e64 s3, s16, v21
	v_add_co_ci_u32_e64 v6, null, 0, v6, s4
	s_or_b32 s30, s3, s30
	s_andn2_b32 exec_lo, exec_lo, s30
	s_cbranch_execz .LBB249_267
.LBB249_9:                              ; =>This Inner Loop Header: Depth=1
	global_load_dword v1, v[5:6], off
	s_waitcnt vmcnt(0) lgkmcnt(0)
	v_mad_i64_i32 v[7:8], null, v1, s31, v[3:4]
	global_load_ushort v23, v[7:8], off
	global_load_dword v22, v2, s[12:13]
	s_waitcnt vmcnt(1)
	v_and_b32_e32 v1, 0xffff, v23
	v_cmp_ne_u16_sdwa s3, v23, v2 src0_sel:BYTE_0 src1_sel:DWORD
	v_mov_b32_e32 v23, 0
	s_and_saveexec_b32 s4, s3
	s_cbranch_execz .LBB249_17
; %bb.10:                               ;   in Loop: Header=BB249_9 Depth=1
	v_cmp_ne_u16_sdwa s3, v1, v17 src0_sel:BYTE_0 src1_sel:DWORD
	v_mov_b32_e32 v23, 0x8000
	s_and_saveexec_b32 s33, s3
	s_cbranch_execz .LBB249_16
; %bb.11:                               ;   in Loop: Header=BB249_9 Depth=1
	v_and_b32_e32 v25, 0x7f, v1
	v_mov_b32_e32 v23, 0x7c01
	s_mov_b32 s34, exec_lo
	v_cmpx_ne_u32_e32 0x7f, v25
	s_cbranch_execz .LBB249_15
; %bb.12:                               ;   in Loop: Header=BB249_9 Depth=1
	v_and_b32_e32 v23, 7, v1
	v_lshrrev_b32_e32 v24, 3, v25
	s_mov_b32 s35, exec_lo
	v_cmpx_gt_u32_e32 8, v25
; %bb.13:                               ;   in Loop: Header=BB249_9 Depth=1
	v_ffbh_u32_e32 v23, v23
	v_min_u32_e32 v25, 32, v23
	v_subrev_nc_u32_e32 v23, 28, v25
	v_lshlrev_b64 v[23:24], v23, v[1:2]
	v_sub_nc_u32_e32 v24, 29, v25
	v_and_b32_e32 v23, 7, v23
; %bb.14:                               ;   in Loop: Header=BB249_9 Depth=1
	s_or_b32 exec_lo, exec_lo, s35
	v_lshlrev_b32_e32 v25, 8, v1
	v_lshl_add_u32 v24, v24, 10, 0x2000
	v_lshlrev_b32_e32 v23, 7, v23
	v_and_b32_e32 v25, 0x8000, v25
	v_and_b32_e32 v24, 0xfc00, v24
	v_or3_b32 v23, v25, v24, v23
.LBB249_15:                             ;   in Loop: Header=BB249_9 Depth=1
	s_or_b32 exec_lo, exec_lo, s34
.LBB249_16:                             ;   in Loop: Header=BB249_9 Depth=1
	s_or_b32 exec_lo, exec_lo, s33
.LBB249_17:                             ;   in Loop: Header=BB249_9 Depth=1
	s_or_b32 exec_lo, exec_lo, s4
	v_lshrrev_b16 v1, 8, v1
	v_mov_b32_e32 v24, 0
	s_mov_b32 s4, exec_lo
	v_cmpx_ne_u16_e32 0, v1
	s_cbranch_execz .LBB249_25
; %bb.18:                               ;   in Loop: Header=BB249_9 Depth=1
	v_bfrev_b32_e32 v24, 1
	s_mov_b32 s33, exec_lo
	v_cmpx_ne_u16_e32 0x80, v1
	s_cbranch_execz .LBB249_24
; %bb.19:                               ;   in Loop: Header=BB249_9 Depth=1
	v_and_b32_sdwa v26, v1, v18 dst_sel:DWORD dst_unused:UNUSED_PAD src0_sel:WORD_0 src1_sel:DWORD
	v_mov_b32_e32 v24, 0x7c010000
	s_mov_b32 s34, exec_lo
	v_cmpx_ne_u32_e32 0x7f, v26
	s_cbranch_execz .LBB249_23
; %bb.20:                               ;   in Loop: Header=BB249_9 Depth=1
	v_and_b32_sdwa v24, v1, v19 dst_sel:DWORD dst_unused:UNUSED_PAD src0_sel:WORD_0 src1_sel:DWORD
	v_lshrrev_b32_e32 v25, 3, v26
	s_mov_b32 s35, exec_lo
	v_cmpx_gt_u32_e32 8, v26
; %bb.21:                               ;   in Loop: Header=BB249_9 Depth=1
	v_ffbh_u32_e32 v24, v24
	v_min_u32_e32 v26, 32, v24
	v_subrev_nc_u32_e32 v24, 28, v26
	v_lshlrev_b64 v[24:25], v24, v[1:2]
	v_sub_nc_u32_e32 v25, 29, v26
	v_and_b32_e32 v24, 7, v24
; %bb.22:                               ;   in Loop: Header=BB249_9 Depth=1
	s_or_b32 exec_lo, exec_lo, s35
	v_lshlrev_b32_sdwa v1, v20, v1 dst_sel:DWORD dst_unused:UNUSED_PAD src0_sel:DWORD src1_sel:WORD_0
	v_lshl_add_u32 v25, v25, 10, 0x2000
	v_lshlrev_b32_e32 v24, 23, v24
	v_and_or_b32 v1, 0x8000, v1, v25
	v_lshl_or_b32 v24, v1, 16, v24
.LBB249_23:                             ;   in Loop: Header=BB249_9 Depth=1
	s_or_b32 exec_lo, exec_lo, s34
.LBB249_24:                             ;   in Loop: Header=BB249_9 Depth=1
	s_or_b32 exec_lo, exec_lo, s33
.LBB249_25:                             ;   in Loop: Header=BB249_9 Depth=1
	s_or_b32 exec_lo, exec_lo, s4
	global_load_ushort v26, v[7:8], off offset:8
	v_mov_b32_e32 v25, 0
	s_waitcnt vmcnt(0)
	v_and_b32_e32 v1, 0xffff, v26
	v_cmp_ne_u16_sdwa s3, v26, v2 src0_sel:BYTE_0 src1_sel:DWORD
	v_mov_b32_e32 v26, 0
	s_and_saveexec_b32 s4, s3
	s_cbranch_execz .LBB249_33
; %bb.26:                               ;   in Loop: Header=BB249_9 Depth=1
	v_cmp_ne_u16_sdwa s3, v1, v17 src0_sel:BYTE_0 src1_sel:DWORD
	v_mov_b32_e32 v26, 0x8000
	s_and_saveexec_b32 s33, s3
	s_cbranch_execz .LBB249_32
; %bb.27:                               ;   in Loop: Header=BB249_9 Depth=1
	v_and_b32_e32 v28, 0x7f, v1
	v_mov_b32_e32 v26, 0x7c01
	s_mov_b32 s34, exec_lo
	v_cmpx_ne_u32_e32 0x7f, v28
	s_cbranch_execz .LBB249_31
; %bb.28:                               ;   in Loop: Header=BB249_9 Depth=1
	v_and_b32_e32 v26, 7, v1
	v_lshrrev_b32_e32 v27, 3, v28
	s_mov_b32 s35, exec_lo
	v_cmpx_gt_u32_e32 8, v28
; %bb.29:                               ;   in Loop: Header=BB249_9 Depth=1
	v_ffbh_u32_e32 v26, v26
	v_min_u32_e32 v28, 32, v26
	v_subrev_nc_u32_e32 v26, 28, v28
	v_lshlrev_b64 v[26:27], v26, v[1:2]
	v_sub_nc_u32_e32 v27, 29, v28
	v_and_b32_e32 v26, 7, v26
; %bb.30:                               ;   in Loop: Header=BB249_9 Depth=1
	s_or_b32 exec_lo, exec_lo, s35
	v_lshlrev_b32_e32 v28, 8, v1
	v_lshl_add_u32 v27, v27, 10, 0x2000
	v_lshlrev_b32_e32 v26, 7, v26
	v_and_b32_e32 v28, 0x8000, v28
	v_and_b32_e32 v27, 0xfc00, v27
	v_or3_b32 v26, v28, v27, v26
.LBB249_31:                             ;   in Loop: Header=BB249_9 Depth=1
	s_or_b32 exec_lo, exec_lo, s34
.LBB249_32:                             ;   in Loop: Header=BB249_9 Depth=1
	s_or_b32 exec_lo, exec_lo, s33
.LBB249_33:                             ;   in Loop: Header=BB249_9 Depth=1
	s_or_b32 exec_lo, exec_lo, s4
	v_lshrrev_b16 v1, 8, v1
	s_mov_b32 s4, exec_lo
	v_cmpx_ne_u16_e32 0, v1
	s_cbranch_execz .LBB249_41
; %bb.34:                               ;   in Loop: Header=BB249_9 Depth=1
	v_bfrev_b32_e32 v25, 1
	s_mov_b32 s33, exec_lo
	v_cmpx_ne_u16_e32 0x80, v1
	s_cbranch_execz .LBB249_40
; %bb.35:                               ;   in Loop: Header=BB249_9 Depth=1
	v_and_b32_sdwa v28, v1, v18 dst_sel:DWORD dst_unused:UNUSED_PAD src0_sel:WORD_0 src1_sel:DWORD
	v_mov_b32_e32 v25, 0x7c010000
	s_mov_b32 s34, exec_lo
	v_cmpx_ne_u32_e32 0x7f, v28
	s_cbranch_execz .LBB249_39
; %bb.36:                               ;   in Loop: Header=BB249_9 Depth=1
	v_and_b32_sdwa v25, v1, v19 dst_sel:DWORD dst_unused:UNUSED_PAD src0_sel:WORD_0 src1_sel:DWORD
	v_lshrrev_b32_e32 v27, 3, v28
	s_mov_b32 s35, exec_lo
	v_cmpx_gt_u32_e32 8, v28
; %bb.37:                               ;   in Loop: Header=BB249_9 Depth=1
	v_ffbh_u32_e32 v25, v25
	v_min_u32_e32 v25, 32, v25
	v_subrev_nc_u32_e32 v27, 28, v25
	v_lshlrev_b64 v[28:29], v27, v[1:2]
	v_sub_nc_u32_e32 v27, 29, v25
	v_and_b32_e32 v25, 7, v28
; %bb.38:                               ;   in Loop: Header=BB249_9 Depth=1
	s_or_b32 exec_lo, exec_lo, s35
	v_lshlrev_b32_sdwa v1, v20, v1 dst_sel:DWORD dst_unused:UNUSED_PAD src0_sel:DWORD src1_sel:WORD_0
	v_lshl_add_u32 v27, v27, 10, 0x2000
	v_lshlrev_b32_e32 v25, 23, v25
	v_and_or_b32 v1, 0x8000, v1, v27
	v_lshl_or_b32 v25, v1, 16, v25
.LBB249_39:                             ;   in Loop: Header=BB249_9 Depth=1
	s_or_b32 exec_lo, exec_lo, s34
.LBB249_40:                             ;   in Loop: Header=BB249_9 Depth=1
	s_or_b32 exec_lo, exec_lo, s33
.LBB249_41:                             ;   in Loop: Header=BB249_9 Depth=1
	s_or_b32 exec_lo, exec_lo, s4
	global_load_ushort v28, v[7:8], off offset:128
	v_mov_b32_e32 v27, 0
	s_waitcnt vmcnt(0)
	v_and_b32_e32 v1, 0xffff, v28
	v_cmp_ne_u16_sdwa s3, v28, v2 src0_sel:BYTE_0 src1_sel:DWORD
	v_mov_b32_e32 v28, 0
	s_and_saveexec_b32 s4, s3
	s_cbranch_execz .LBB249_49
; %bb.42:                               ;   in Loop: Header=BB249_9 Depth=1
	v_cmp_ne_u16_sdwa s3, v1, v17 src0_sel:BYTE_0 src1_sel:DWORD
	v_mov_b32_e32 v28, 0x8000
	s_and_saveexec_b32 s33, s3
	s_cbranch_execz .LBB249_48
; %bb.43:                               ;   in Loop: Header=BB249_9 Depth=1
	v_and_b32_e32 v30, 0x7f, v1
	v_mov_b32_e32 v28, 0x7c01
	s_mov_b32 s34, exec_lo
	v_cmpx_ne_u32_e32 0x7f, v30
	s_cbranch_execz .LBB249_47
; %bb.44:                               ;   in Loop: Header=BB249_9 Depth=1
	v_and_b32_e32 v28, 7, v1
	v_lshrrev_b32_e32 v29, 3, v30
	s_mov_b32 s35, exec_lo
	v_cmpx_gt_u32_e32 8, v30
; %bb.45:                               ;   in Loop: Header=BB249_9 Depth=1
	v_ffbh_u32_e32 v28, v28
	v_min_u32_e32 v30, 32, v28
	v_subrev_nc_u32_e32 v28, 28, v30
	v_lshlrev_b64 v[28:29], v28, v[1:2]
	v_sub_nc_u32_e32 v29, 29, v30
	v_and_b32_e32 v28, 7, v28
; %bb.46:                               ;   in Loop: Header=BB249_9 Depth=1
	s_or_b32 exec_lo, exec_lo, s35
	v_lshlrev_b32_e32 v30, 8, v1
	v_lshl_add_u32 v29, v29, 10, 0x2000
	v_lshlrev_b32_e32 v28, 7, v28
	v_and_b32_e32 v30, 0x8000, v30
	v_and_b32_e32 v29, 0xfc00, v29
	v_or3_b32 v28, v30, v29, v28
.LBB249_47:                             ;   in Loop: Header=BB249_9 Depth=1
	s_or_b32 exec_lo, exec_lo, s34
.LBB249_48:                             ;   in Loop: Header=BB249_9 Depth=1
	s_or_b32 exec_lo, exec_lo, s33
.LBB249_49:                             ;   in Loop: Header=BB249_9 Depth=1
	s_or_b32 exec_lo, exec_lo, s4
	v_lshrrev_b16 v1, 8, v1
	s_mov_b32 s4, exec_lo
	v_cmpx_ne_u16_e32 0, v1
	s_cbranch_execz .LBB249_57
; %bb.50:                               ;   in Loop: Header=BB249_9 Depth=1
	v_bfrev_b32_e32 v27, 1
	s_mov_b32 s33, exec_lo
	v_cmpx_ne_u16_e32 0x80, v1
	s_cbranch_execz .LBB249_56
; %bb.51:                               ;   in Loop: Header=BB249_9 Depth=1
	v_and_b32_sdwa v30, v1, v18 dst_sel:DWORD dst_unused:UNUSED_PAD src0_sel:WORD_0 src1_sel:DWORD
	v_mov_b32_e32 v27, 0x7c010000
	s_mov_b32 s34, exec_lo
	v_cmpx_ne_u32_e32 0x7f, v30
	s_cbranch_execz .LBB249_55
; %bb.52:                               ;   in Loop: Header=BB249_9 Depth=1
	v_and_b32_sdwa v27, v1, v19 dst_sel:DWORD dst_unused:UNUSED_PAD src0_sel:WORD_0 src1_sel:DWORD
	v_lshrrev_b32_e32 v29, 3, v30
	s_mov_b32 s35, exec_lo
	v_cmpx_gt_u32_e32 8, v30
; %bb.53:                               ;   in Loop: Header=BB249_9 Depth=1
	v_ffbh_u32_e32 v27, v27
	v_min_u32_e32 v27, 32, v27
	v_subrev_nc_u32_e32 v29, 28, v27
	v_lshlrev_b64 v[30:31], v29, v[1:2]
	v_sub_nc_u32_e32 v29, 29, v27
	v_and_b32_e32 v27, 7, v30
; %bb.54:                               ;   in Loop: Header=BB249_9 Depth=1
	s_or_b32 exec_lo, exec_lo, s35
	v_lshlrev_b32_sdwa v1, v20, v1 dst_sel:DWORD dst_unused:UNUSED_PAD src0_sel:DWORD src1_sel:WORD_0
	v_lshl_add_u32 v29, v29, 10, 0x2000
	v_lshlrev_b32_e32 v27, 23, v27
	v_and_or_b32 v1, 0x8000, v1, v29
	v_lshl_or_b32 v27, v1, 16, v27
.LBB249_55:                             ;   in Loop: Header=BB249_9 Depth=1
	s_or_b32 exec_lo, exec_lo, s34
.LBB249_56:                             ;   in Loop: Header=BB249_9 Depth=1
	s_or_b32 exec_lo, exec_lo, s33
.LBB249_57:                             ;   in Loop: Header=BB249_9 Depth=1
	s_or_b32 exec_lo, exec_lo, s4
	global_load_ushort v30, v[7:8], off offset:136
	v_mov_b32_e32 v29, 0
	s_waitcnt vmcnt(0)
	v_and_b32_e32 v1, 0xffff, v30
	v_cmp_ne_u16_sdwa s3, v30, v2 src0_sel:BYTE_0 src1_sel:DWORD
	v_mov_b32_e32 v30, 0
	s_and_saveexec_b32 s4, s3
	s_cbranch_execz .LBB249_65
; %bb.58:                               ;   in Loop: Header=BB249_9 Depth=1
	v_cmp_ne_u16_sdwa s3, v1, v17 src0_sel:BYTE_0 src1_sel:DWORD
	v_mov_b32_e32 v30, 0x8000
	s_and_saveexec_b32 s33, s3
	s_cbranch_execz .LBB249_64
; %bb.59:                               ;   in Loop: Header=BB249_9 Depth=1
	v_and_b32_e32 v32, 0x7f, v1
	v_mov_b32_e32 v30, 0x7c01
	s_mov_b32 s34, exec_lo
	v_cmpx_ne_u32_e32 0x7f, v32
	s_cbranch_execz .LBB249_63
; %bb.60:                               ;   in Loop: Header=BB249_9 Depth=1
	v_and_b32_e32 v30, 7, v1
	v_lshrrev_b32_e32 v31, 3, v32
	s_mov_b32 s35, exec_lo
	v_cmpx_gt_u32_e32 8, v32
; %bb.61:                               ;   in Loop: Header=BB249_9 Depth=1
	v_ffbh_u32_e32 v30, v30
	v_min_u32_e32 v32, 32, v30
	v_subrev_nc_u32_e32 v30, 28, v32
	v_lshlrev_b64 v[30:31], v30, v[1:2]
	v_sub_nc_u32_e32 v31, 29, v32
	v_and_b32_e32 v30, 7, v30
; %bb.62:                               ;   in Loop: Header=BB249_9 Depth=1
	s_or_b32 exec_lo, exec_lo, s35
	v_lshlrev_b32_e32 v32, 8, v1
	v_lshl_add_u32 v31, v31, 10, 0x2000
	v_lshlrev_b32_e32 v30, 7, v30
	v_and_b32_e32 v32, 0x8000, v32
	v_and_b32_e32 v31, 0xfc00, v31
	v_or3_b32 v30, v32, v31, v30
.LBB249_63:                             ;   in Loop: Header=BB249_9 Depth=1
	s_or_b32 exec_lo, exec_lo, s34
.LBB249_64:                             ;   in Loop: Header=BB249_9 Depth=1
	s_or_b32 exec_lo, exec_lo, s33
.LBB249_65:                             ;   in Loop: Header=BB249_9 Depth=1
	s_or_b32 exec_lo, exec_lo, s4
	v_lshrrev_b16 v1, 8, v1
	s_mov_b32 s4, exec_lo
	v_cmpx_ne_u16_e32 0, v1
	s_cbranch_execz .LBB249_73
; %bb.66:                               ;   in Loop: Header=BB249_9 Depth=1
	v_bfrev_b32_e32 v29, 1
	s_mov_b32 s33, exec_lo
	v_cmpx_ne_u16_e32 0x80, v1
	s_cbranch_execz .LBB249_72
; %bb.67:                               ;   in Loop: Header=BB249_9 Depth=1
	v_and_b32_sdwa v32, v1, v18 dst_sel:DWORD dst_unused:UNUSED_PAD src0_sel:WORD_0 src1_sel:DWORD
	v_mov_b32_e32 v29, 0x7c010000
	s_mov_b32 s34, exec_lo
	v_cmpx_ne_u32_e32 0x7f, v32
	s_cbranch_execz .LBB249_71
; %bb.68:                               ;   in Loop: Header=BB249_9 Depth=1
	v_and_b32_sdwa v29, v1, v19 dst_sel:DWORD dst_unused:UNUSED_PAD src0_sel:WORD_0 src1_sel:DWORD
	v_lshrrev_b32_e32 v31, 3, v32
	s_mov_b32 s35, exec_lo
	v_cmpx_gt_u32_e32 8, v32
; %bb.69:                               ;   in Loop: Header=BB249_9 Depth=1
	v_ffbh_u32_e32 v29, v29
	v_min_u32_e32 v29, 32, v29
	v_subrev_nc_u32_e32 v31, 28, v29
	v_lshlrev_b64 v[32:33], v31, v[1:2]
	v_sub_nc_u32_e32 v31, 29, v29
	v_and_b32_e32 v29, 7, v32
; %bb.70:                               ;   in Loop: Header=BB249_9 Depth=1
	s_or_b32 exec_lo, exec_lo, s35
	v_lshlrev_b32_sdwa v1, v20, v1 dst_sel:DWORD dst_unused:UNUSED_PAD src0_sel:DWORD src1_sel:WORD_0
	v_lshl_add_u32 v31, v31, 10, 0x2000
	v_lshlrev_b32_e32 v29, 23, v29
	v_and_or_b32 v1, 0x8000, v1, v31
	v_lshl_or_b32 v29, v1, 16, v29
.LBB249_71:                             ;   in Loop: Header=BB249_9 Depth=1
	s_or_b32 exec_lo, exec_lo, s34
.LBB249_72:                             ;   in Loop: Header=BB249_9 Depth=1
	s_or_b32 exec_lo, exec_lo, s33
.LBB249_73:                             ;   in Loop: Header=BB249_9 Depth=1
	s_or_b32 exec_lo, exec_lo, s4
	global_load_ushort v32, v[7:8], off offset:256
	v_mov_b32_e32 v31, 0
	s_waitcnt vmcnt(0)
	v_and_b32_e32 v1, 0xffff, v32
	v_cmp_ne_u16_sdwa s3, v32, v2 src0_sel:BYTE_0 src1_sel:DWORD
	v_mov_b32_e32 v32, 0
	s_and_saveexec_b32 s4, s3
	s_cbranch_execz .LBB249_81
; %bb.74:                               ;   in Loop: Header=BB249_9 Depth=1
	v_cmp_ne_u16_sdwa s3, v1, v17 src0_sel:BYTE_0 src1_sel:DWORD
	v_mov_b32_e32 v32, 0x8000
	s_and_saveexec_b32 s33, s3
	s_cbranch_execz .LBB249_80
; %bb.75:                               ;   in Loop: Header=BB249_9 Depth=1
	v_and_b32_e32 v34, 0x7f, v1
	v_mov_b32_e32 v32, 0x7c01
	s_mov_b32 s34, exec_lo
	v_cmpx_ne_u32_e32 0x7f, v34
	s_cbranch_execz .LBB249_79
; %bb.76:                               ;   in Loop: Header=BB249_9 Depth=1
	v_and_b32_e32 v32, 7, v1
	v_lshrrev_b32_e32 v33, 3, v34
	s_mov_b32 s35, exec_lo
	v_cmpx_gt_u32_e32 8, v34
; %bb.77:                               ;   in Loop: Header=BB249_9 Depth=1
	v_ffbh_u32_e32 v32, v32
	v_min_u32_e32 v34, 32, v32
	v_subrev_nc_u32_e32 v32, 28, v34
	v_lshlrev_b64 v[32:33], v32, v[1:2]
	v_sub_nc_u32_e32 v33, 29, v34
	v_and_b32_e32 v32, 7, v32
; %bb.78:                               ;   in Loop: Header=BB249_9 Depth=1
	s_or_b32 exec_lo, exec_lo, s35
	v_lshlrev_b32_e32 v34, 8, v1
	v_lshl_add_u32 v33, v33, 10, 0x2000
	v_lshlrev_b32_e32 v32, 7, v32
	v_and_b32_e32 v34, 0x8000, v34
	v_and_b32_e32 v33, 0xfc00, v33
	v_or3_b32 v32, v34, v33, v32
.LBB249_79:                             ;   in Loop: Header=BB249_9 Depth=1
	s_or_b32 exec_lo, exec_lo, s34
.LBB249_80:                             ;   in Loop: Header=BB249_9 Depth=1
	s_or_b32 exec_lo, exec_lo, s33
.LBB249_81:                             ;   in Loop: Header=BB249_9 Depth=1
	s_or_b32 exec_lo, exec_lo, s4
	v_lshrrev_b16 v1, 8, v1
	s_mov_b32 s4, exec_lo
	v_cmpx_ne_u16_e32 0, v1
	s_cbranch_execz .LBB249_89
; %bb.82:                               ;   in Loop: Header=BB249_9 Depth=1
	v_bfrev_b32_e32 v31, 1
	s_mov_b32 s33, exec_lo
	v_cmpx_ne_u16_e32 0x80, v1
	s_cbranch_execz .LBB249_88
; %bb.83:                               ;   in Loop: Header=BB249_9 Depth=1
	v_and_b32_sdwa v34, v1, v18 dst_sel:DWORD dst_unused:UNUSED_PAD src0_sel:WORD_0 src1_sel:DWORD
	v_mov_b32_e32 v31, 0x7c010000
	s_mov_b32 s34, exec_lo
	v_cmpx_ne_u32_e32 0x7f, v34
	s_cbranch_execz .LBB249_87
; %bb.84:                               ;   in Loop: Header=BB249_9 Depth=1
	v_and_b32_sdwa v31, v1, v19 dst_sel:DWORD dst_unused:UNUSED_PAD src0_sel:WORD_0 src1_sel:DWORD
	v_lshrrev_b32_e32 v33, 3, v34
	s_mov_b32 s35, exec_lo
	v_cmpx_gt_u32_e32 8, v34
; %bb.85:                               ;   in Loop: Header=BB249_9 Depth=1
	v_ffbh_u32_e32 v31, v31
	v_min_u32_e32 v31, 32, v31
	v_subrev_nc_u32_e32 v33, 28, v31
	v_lshlrev_b64 v[34:35], v33, v[1:2]
	v_sub_nc_u32_e32 v33, 29, v31
	v_and_b32_e32 v31, 7, v34
; %bb.86:                               ;   in Loop: Header=BB249_9 Depth=1
	s_or_b32 exec_lo, exec_lo, s35
	v_lshlrev_b32_sdwa v1, v20, v1 dst_sel:DWORD dst_unused:UNUSED_PAD src0_sel:DWORD src1_sel:WORD_0
	v_lshl_add_u32 v33, v33, 10, 0x2000
	v_lshlrev_b32_e32 v31, 23, v31
	v_and_or_b32 v1, 0x8000, v1, v33
	v_lshl_or_b32 v31, v1, 16, v31
.LBB249_87:                             ;   in Loop: Header=BB249_9 Depth=1
	s_or_b32 exec_lo, exec_lo, s34
.LBB249_88:                             ;   in Loop: Header=BB249_9 Depth=1
	s_or_b32 exec_lo, exec_lo, s33
.LBB249_89:                             ;   in Loop: Header=BB249_9 Depth=1
	s_or_b32 exec_lo, exec_lo, s4
	global_load_ushort v34, v[7:8], off offset:264
	v_mov_b32_e32 v33, 0
	s_waitcnt vmcnt(0)
	v_and_b32_e32 v1, 0xffff, v34
	v_cmp_ne_u16_sdwa s3, v34, v2 src0_sel:BYTE_0 src1_sel:DWORD
	v_mov_b32_e32 v34, 0
	s_and_saveexec_b32 s4, s3
	s_cbranch_execz .LBB249_97
; %bb.90:                               ;   in Loop: Header=BB249_9 Depth=1
	v_cmp_ne_u16_sdwa s3, v1, v17 src0_sel:BYTE_0 src1_sel:DWORD
	v_mov_b32_e32 v34, 0x8000
	s_and_saveexec_b32 s33, s3
	s_cbranch_execz .LBB249_96
; %bb.91:                               ;   in Loop: Header=BB249_9 Depth=1
	v_and_b32_e32 v36, 0x7f, v1
	v_mov_b32_e32 v34, 0x7c01
	s_mov_b32 s34, exec_lo
	v_cmpx_ne_u32_e32 0x7f, v36
	s_cbranch_execz .LBB249_95
; %bb.92:                               ;   in Loop: Header=BB249_9 Depth=1
	v_and_b32_e32 v34, 7, v1
	v_lshrrev_b32_e32 v35, 3, v36
	s_mov_b32 s35, exec_lo
	v_cmpx_gt_u32_e32 8, v36
; %bb.93:                               ;   in Loop: Header=BB249_9 Depth=1
	v_ffbh_u32_e32 v34, v34
	v_min_u32_e32 v36, 32, v34
	v_subrev_nc_u32_e32 v34, 28, v36
	v_lshlrev_b64 v[34:35], v34, v[1:2]
	v_sub_nc_u32_e32 v35, 29, v36
	v_and_b32_e32 v34, 7, v34
; %bb.94:                               ;   in Loop: Header=BB249_9 Depth=1
	s_or_b32 exec_lo, exec_lo, s35
	v_lshlrev_b32_e32 v36, 8, v1
	v_lshl_add_u32 v35, v35, 10, 0x2000
	v_lshlrev_b32_e32 v34, 7, v34
	v_and_b32_e32 v36, 0x8000, v36
	v_and_b32_e32 v35, 0xfc00, v35
	v_or3_b32 v34, v36, v35, v34
.LBB249_95:                             ;   in Loop: Header=BB249_9 Depth=1
	s_or_b32 exec_lo, exec_lo, s34
.LBB249_96:                             ;   in Loop: Header=BB249_9 Depth=1
	s_or_b32 exec_lo, exec_lo, s33
.LBB249_97:                             ;   in Loop: Header=BB249_9 Depth=1
	s_or_b32 exec_lo, exec_lo, s4
	v_lshrrev_b16 v1, 8, v1
	s_mov_b32 s4, exec_lo
	v_cmpx_ne_u16_e32 0, v1
	s_cbranch_execz .LBB249_105
; %bb.98:                               ;   in Loop: Header=BB249_9 Depth=1
	v_bfrev_b32_e32 v33, 1
	s_mov_b32 s33, exec_lo
	v_cmpx_ne_u16_e32 0x80, v1
	s_cbranch_execz .LBB249_104
; %bb.99:                               ;   in Loop: Header=BB249_9 Depth=1
	v_and_b32_sdwa v36, v1, v18 dst_sel:DWORD dst_unused:UNUSED_PAD src0_sel:WORD_0 src1_sel:DWORD
	v_mov_b32_e32 v33, 0x7c010000
	s_mov_b32 s34, exec_lo
	v_cmpx_ne_u32_e32 0x7f, v36
	s_cbranch_execz .LBB249_103
; %bb.100:                              ;   in Loop: Header=BB249_9 Depth=1
	v_and_b32_sdwa v33, v1, v19 dst_sel:DWORD dst_unused:UNUSED_PAD src0_sel:WORD_0 src1_sel:DWORD
	v_lshrrev_b32_e32 v35, 3, v36
	s_mov_b32 s35, exec_lo
	v_cmpx_gt_u32_e32 8, v36
; %bb.101:                              ;   in Loop: Header=BB249_9 Depth=1
	v_ffbh_u32_e32 v33, v33
	v_min_u32_e32 v33, 32, v33
	v_subrev_nc_u32_e32 v35, 28, v33
	v_lshlrev_b64 v[36:37], v35, v[1:2]
	v_sub_nc_u32_e32 v35, 29, v33
	v_and_b32_e32 v33, 7, v36
; %bb.102:                              ;   in Loop: Header=BB249_9 Depth=1
	s_or_b32 exec_lo, exec_lo, s35
	v_lshlrev_b32_sdwa v1, v20, v1 dst_sel:DWORD dst_unused:UNUSED_PAD src0_sel:DWORD src1_sel:WORD_0
	v_lshl_add_u32 v35, v35, 10, 0x2000
	v_lshlrev_b32_e32 v33, 23, v33
	v_and_or_b32 v1, 0x8000, v1, v35
	v_lshl_or_b32 v33, v1, 16, v33
.LBB249_103:                            ;   in Loop: Header=BB249_9 Depth=1
	s_or_b32 exec_lo, exec_lo, s34
.LBB249_104:                            ;   in Loop: Header=BB249_9 Depth=1
	s_or_b32 exec_lo, exec_lo, s33
.LBB249_105:                            ;   in Loop: Header=BB249_9 Depth=1
	s_or_b32 exec_lo, exec_lo, s4
	global_load_ushort v36, v[7:8], off offset:384
	v_mov_b32_e32 v35, 0
	s_waitcnt vmcnt(0)
	v_and_b32_e32 v1, 0xffff, v36
	v_cmp_ne_u16_sdwa s3, v36, v2 src0_sel:BYTE_0 src1_sel:DWORD
	v_mov_b32_e32 v36, 0
	s_and_saveexec_b32 s4, s3
	s_cbranch_execz .LBB249_113
; %bb.106:                              ;   in Loop: Header=BB249_9 Depth=1
	v_cmp_ne_u16_sdwa s3, v1, v17 src0_sel:BYTE_0 src1_sel:DWORD
	v_mov_b32_e32 v36, 0x8000
	s_and_saveexec_b32 s33, s3
	s_cbranch_execz .LBB249_112
; %bb.107:                              ;   in Loop: Header=BB249_9 Depth=1
	v_and_b32_e32 v38, 0x7f, v1
	v_mov_b32_e32 v36, 0x7c01
	s_mov_b32 s34, exec_lo
	v_cmpx_ne_u32_e32 0x7f, v38
	s_cbranch_execz .LBB249_111
; %bb.108:                              ;   in Loop: Header=BB249_9 Depth=1
	v_and_b32_e32 v36, 7, v1
	v_lshrrev_b32_e32 v37, 3, v38
	s_mov_b32 s35, exec_lo
	v_cmpx_gt_u32_e32 8, v38
; %bb.109:                              ;   in Loop: Header=BB249_9 Depth=1
	v_ffbh_u32_e32 v36, v36
	v_min_u32_e32 v38, 32, v36
	v_subrev_nc_u32_e32 v36, 28, v38
	v_lshlrev_b64 v[36:37], v36, v[1:2]
	v_sub_nc_u32_e32 v37, 29, v38
	v_and_b32_e32 v36, 7, v36
; %bb.110:                              ;   in Loop: Header=BB249_9 Depth=1
	s_or_b32 exec_lo, exec_lo, s35
	v_lshlrev_b32_e32 v38, 8, v1
	v_lshl_add_u32 v37, v37, 10, 0x2000
	v_lshlrev_b32_e32 v36, 7, v36
	v_and_b32_e32 v38, 0x8000, v38
	v_and_b32_e32 v37, 0xfc00, v37
	v_or3_b32 v36, v38, v37, v36
.LBB249_111:                            ;   in Loop: Header=BB249_9 Depth=1
	s_or_b32 exec_lo, exec_lo, s34
.LBB249_112:                            ;   in Loop: Header=BB249_9 Depth=1
	s_or_b32 exec_lo, exec_lo, s33
.LBB249_113:                            ;   in Loop: Header=BB249_9 Depth=1
	s_or_b32 exec_lo, exec_lo, s4
	v_lshrrev_b16 v1, 8, v1
	s_mov_b32 s4, exec_lo
	v_cmpx_ne_u16_e32 0, v1
	s_cbranch_execz .LBB249_121
; %bb.114:                              ;   in Loop: Header=BB249_9 Depth=1
	v_bfrev_b32_e32 v35, 1
	s_mov_b32 s33, exec_lo
	v_cmpx_ne_u16_e32 0x80, v1
	s_cbranch_execz .LBB249_120
; %bb.115:                              ;   in Loop: Header=BB249_9 Depth=1
	v_and_b32_sdwa v38, v1, v18 dst_sel:DWORD dst_unused:UNUSED_PAD src0_sel:WORD_0 src1_sel:DWORD
	v_mov_b32_e32 v35, 0x7c010000
	s_mov_b32 s34, exec_lo
	v_cmpx_ne_u32_e32 0x7f, v38
	s_cbranch_execz .LBB249_119
; %bb.116:                              ;   in Loop: Header=BB249_9 Depth=1
	v_and_b32_sdwa v35, v1, v19 dst_sel:DWORD dst_unused:UNUSED_PAD src0_sel:WORD_0 src1_sel:DWORD
	v_lshrrev_b32_e32 v37, 3, v38
	s_mov_b32 s35, exec_lo
	v_cmpx_gt_u32_e32 8, v38
; %bb.117:                              ;   in Loop: Header=BB249_9 Depth=1
	v_ffbh_u32_e32 v35, v35
	v_min_u32_e32 v35, 32, v35
	v_subrev_nc_u32_e32 v37, 28, v35
	v_lshlrev_b64 v[38:39], v37, v[1:2]
	v_sub_nc_u32_e32 v37, 29, v35
	v_and_b32_e32 v35, 7, v38
; %bb.118:                              ;   in Loop: Header=BB249_9 Depth=1
	s_or_b32 exec_lo, exec_lo, s35
	v_lshlrev_b32_sdwa v1, v20, v1 dst_sel:DWORD dst_unused:UNUSED_PAD src0_sel:DWORD src1_sel:WORD_0
	v_lshl_add_u32 v37, v37, 10, 0x2000
	v_lshlrev_b32_e32 v35, 23, v35
	v_and_or_b32 v1, 0x8000, v1, v37
	v_lshl_or_b32 v35, v1, 16, v35
.LBB249_119:                            ;   in Loop: Header=BB249_9 Depth=1
	s_or_b32 exec_lo, exec_lo, s34
.LBB249_120:                            ;   in Loop: Header=BB249_9 Depth=1
	s_or_b32 exec_lo, exec_lo, s33
.LBB249_121:                            ;   in Loop: Header=BB249_9 Depth=1
	s_or_b32 exec_lo, exec_lo, s4
	global_load_ushort v38, v[7:8], off offset:392
	v_mov_b32_e32 v37, 0
	s_waitcnt vmcnt(0)
	v_and_b32_e32 v1, 0xffff, v38
	v_cmp_ne_u16_sdwa s3, v38, v2 src0_sel:BYTE_0 src1_sel:DWORD
	v_mov_b32_e32 v38, 0
	s_and_saveexec_b32 s4, s3
	s_cbranch_execz .LBB249_129
; %bb.122:                              ;   in Loop: Header=BB249_9 Depth=1
	v_cmp_ne_u16_sdwa s3, v1, v17 src0_sel:BYTE_0 src1_sel:DWORD
	v_mov_b32_e32 v38, 0x8000
	s_and_saveexec_b32 s33, s3
	s_cbranch_execz .LBB249_128
; %bb.123:                              ;   in Loop: Header=BB249_9 Depth=1
	v_and_b32_e32 v40, 0x7f, v1
	v_mov_b32_e32 v38, 0x7c01
	s_mov_b32 s34, exec_lo
	v_cmpx_ne_u32_e32 0x7f, v40
	s_cbranch_execz .LBB249_127
; %bb.124:                              ;   in Loop: Header=BB249_9 Depth=1
	v_and_b32_e32 v38, 7, v1
	v_lshrrev_b32_e32 v39, 3, v40
	s_mov_b32 s35, exec_lo
	v_cmpx_gt_u32_e32 8, v40
; %bb.125:                              ;   in Loop: Header=BB249_9 Depth=1
	v_ffbh_u32_e32 v38, v38
	v_min_u32_e32 v40, 32, v38
	v_subrev_nc_u32_e32 v38, 28, v40
	v_lshlrev_b64 v[38:39], v38, v[1:2]
	v_sub_nc_u32_e32 v39, 29, v40
	v_and_b32_e32 v38, 7, v38
; %bb.126:                              ;   in Loop: Header=BB249_9 Depth=1
	s_or_b32 exec_lo, exec_lo, s35
	v_lshlrev_b32_e32 v40, 8, v1
	v_lshl_add_u32 v39, v39, 10, 0x2000
	v_lshlrev_b32_e32 v38, 7, v38
	v_and_b32_e32 v40, 0x8000, v40
	v_and_b32_e32 v39, 0xfc00, v39
	v_or3_b32 v38, v40, v39, v38
.LBB249_127:                            ;   in Loop: Header=BB249_9 Depth=1
	s_or_b32 exec_lo, exec_lo, s34
.LBB249_128:                            ;   in Loop: Header=BB249_9 Depth=1
	s_or_b32 exec_lo, exec_lo, s33
.LBB249_129:                            ;   in Loop: Header=BB249_9 Depth=1
	s_or_b32 exec_lo, exec_lo, s4
	v_lshrrev_b16 v1, 8, v1
	s_mov_b32 s4, exec_lo
	v_cmpx_ne_u16_e32 0, v1
	s_cbranch_execz .LBB249_137
; %bb.130:                              ;   in Loop: Header=BB249_9 Depth=1
	v_bfrev_b32_e32 v37, 1
	s_mov_b32 s33, exec_lo
	v_cmpx_ne_u16_e32 0x80, v1
	s_cbranch_execz .LBB249_136
; %bb.131:                              ;   in Loop: Header=BB249_9 Depth=1
	v_and_b32_sdwa v40, v1, v18 dst_sel:DWORD dst_unused:UNUSED_PAD src0_sel:WORD_0 src1_sel:DWORD
	v_mov_b32_e32 v37, 0x7c010000
	s_mov_b32 s34, exec_lo
	v_cmpx_ne_u32_e32 0x7f, v40
	s_cbranch_execz .LBB249_135
; %bb.132:                              ;   in Loop: Header=BB249_9 Depth=1
	v_and_b32_sdwa v37, v1, v19 dst_sel:DWORD dst_unused:UNUSED_PAD src0_sel:WORD_0 src1_sel:DWORD
	v_lshrrev_b32_e32 v39, 3, v40
	s_mov_b32 s35, exec_lo
	v_cmpx_gt_u32_e32 8, v40
; %bb.133:                              ;   in Loop: Header=BB249_9 Depth=1
	v_ffbh_u32_e32 v37, v37
	v_min_u32_e32 v37, 32, v37
	v_subrev_nc_u32_e32 v39, 28, v37
	v_lshlrev_b64 v[40:41], v39, v[1:2]
	v_sub_nc_u32_e32 v39, 29, v37
	v_and_b32_e32 v37, 7, v40
; %bb.134:                              ;   in Loop: Header=BB249_9 Depth=1
	s_or_b32 exec_lo, exec_lo, s35
	v_lshlrev_b32_sdwa v1, v20, v1 dst_sel:DWORD dst_unused:UNUSED_PAD src0_sel:DWORD src1_sel:WORD_0
	v_lshl_add_u32 v39, v39, 10, 0x2000
	v_lshlrev_b32_e32 v37, 23, v37
	v_and_or_b32 v1, 0x8000, v1, v39
	v_lshl_or_b32 v37, v1, 16, v37
.LBB249_135:                            ;   in Loop: Header=BB249_9 Depth=1
	s_or_b32 exec_lo, exec_lo, s34
.LBB249_136:                            ;   in Loop: Header=BB249_9 Depth=1
	s_or_b32 exec_lo, exec_lo, s33
.LBB249_137:                            ;   in Loop: Header=BB249_9 Depth=1
	s_or_b32 exec_lo, exec_lo, s4
	global_load_ushort v40, v[7:8], off offset:512
	v_mov_b32_e32 v39, 0
	s_waitcnt vmcnt(0)
	v_and_b32_e32 v1, 0xffff, v40
	v_cmp_ne_u16_sdwa s3, v40, v2 src0_sel:BYTE_0 src1_sel:DWORD
	v_mov_b32_e32 v40, 0
	s_and_saveexec_b32 s4, s3
	s_cbranch_execz .LBB249_145
; %bb.138:                              ;   in Loop: Header=BB249_9 Depth=1
	v_cmp_ne_u16_sdwa s3, v1, v17 src0_sel:BYTE_0 src1_sel:DWORD
	v_mov_b32_e32 v40, 0x8000
	s_and_saveexec_b32 s33, s3
	s_cbranch_execz .LBB249_144
; %bb.139:                              ;   in Loop: Header=BB249_9 Depth=1
	v_and_b32_e32 v42, 0x7f, v1
	v_mov_b32_e32 v40, 0x7c01
	s_mov_b32 s34, exec_lo
	v_cmpx_ne_u32_e32 0x7f, v42
	s_cbranch_execz .LBB249_143
; %bb.140:                              ;   in Loop: Header=BB249_9 Depth=1
	v_and_b32_e32 v40, 7, v1
	v_lshrrev_b32_e32 v41, 3, v42
	s_mov_b32 s35, exec_lo
	v_cmpx_gt_u32_e32 8, v42
; %bb.141:                              ;   in Loop: Header=BB249_9 Depth=1
	v_ffbh_u32_e32 v40, v40
	v_min_u32_e32 v42, 32, v40
	v_subrev_nc_u32_e32 v40, 28, v42
	v_lshlrev_b64 v[40:41], v40, v[1:2]
	v_sub_nc_u32_e32 v41, 29, v42
	v_and_b32_e32 v40, 7, v40
; %bb.142:                              ;   in Loop: Header=BB249_9 Depth=1
	s_or_b32 exec_lo, exec_lo, s35
	v_lshlrev_b32_e32 v42, 8, v1
	v_lshl_add_u32 v41, v41, 10, 0x2000
	v_lshlrev_b32_e32 v40, 7, v40
	v_and_b32_e32 v42, 0x8000, v42
	v_and_b32_e32 v41, 0xfc00, v41
	v_or3_b32 v40, v42, v41, v40
.LBB249_143:                            ;   in Loop: Header=BB249_9 Depth=1
	s_or_b32 exec_lo, exec_lo, s34
.LBB249_144:                            ;   in Loop: Header=BB249_9 Depth=1
	s_or_b32 exec_lo, exec_lo, s33
.LBB249_145:                            ;   in Loop: Header=BB249_9 Depth=1
	s_or_b32 exec_lo, exec_lo, s4
	v_lshrrev_b16 v1, 8, v1
	s_mov_b32 s4, exec_lo
	v_cmpx_ne_u16_e32 0, v1
	s_cbranch_execz .LBB249_153
; %bb.146:                              ;   in Loop: Header=BB249_9 Depth=1
	v_bfrev_b32_e32 v39, 1
	s_mov_b32 s33, exec_lo
	v_cmpx_ne_u16_e32 0x80, v1
	s_cbranch_execz .LBB249_152
; %bb.147:                              ;   in Loop: Header=BB249_9 Depth=1
	v_and_b32_sdwa v42, v1, v18 dst_sel:DWORD dst_unused:UNUSED_PAD src0_sel:WORD_0 src1_sel:DWORD
	v_mov_b32_e32 v39, 0x7c010000
	s_mov_b32 s34, exec_lo
	v_cmpx_ne_u32_e32 0x7f, v42
	s_cbranch_execz .LBB249_151
; %bb.148:                              ;   in Loop: Header=BB249_9 Depth=1
	v_and_b32_sdwa v39, v1, v19 dst_sel:DWORD dst_unused:UNUSED_PAD src0_sel:WORD_0 src1_sel:DWORD
	v_lshrrev_b32_e32 v41, 3, v42
	s_mov_b32 s35, exec_lo
	v_cmpx_gt_u32_e32 8, v42
; %bb.149:                              ;   in Loop: Header=BB249_9 Depth=1
	v_ffbh_u32_e32 v39, v39
	v_min_u32_e32 v39, 32, v39
	v_subrev_nc_u32_e32 v41, 28, v39
	v_lshlrev_b64 v[42:43], v41, v[1:2]
	v_sub_nc_u32_e32 v41, 29, v39
	v_and_b32_e32 v39, 7, v42
; %bb.150:                              ;   in Loop: Header=BB249_9 Depth=1
	s_or_b32 exec_lo, exec_lo, s35
	v_lshlrev_b32_sdwa v1, v20, v1 dst_sel:DWORD dst_unused:UNUSED_PAD src0_sel:DWORD src1_sel:WORD_0
	v_lshl_add_u32 v41, v41, 10, 0x2000
	v_lshlrev_b32_e32 v39, 23, v39
	v_and_or_b32 v1, 0x8000, v1, v41
	v_lshl_or_b32 v39, v1, 16, v39
.LBB249_151:                            ;   in Loop: Header=BB249_9 Depth=1
	s_or_b32 exec_lo, exec_lo, s34
.LBB249_152:                            ;   in Loop: Header=BB249_9 Depth=1
	s_or_b32 exec_lo, exec_lo, s33
.LBB249_153:                            ;   in Loop: Header=BB249_9 Depth=1
	s_or_b32 exec_lo, exec_lo, s4
	global_load_ushort v42, v[7:8], off offset:520
	v_mov_b32_e32 v41, 0
	s_waitcnt vmcnt(0)
	v_and_b32_e32 v1, 0xffff, v42
	v_cmp_ne_u16_sdwa s3, v42, v2 src0_sel:BYTE_0 src1_sel:DWORD
	v_mov_b32_e32 v42, 0
	s_and_saveexec_b32 s4, s3
	s_cbranch_execz .LBB249_161
; %bb.154:                              ;   in Loop: Header=BB249_9 Depth=1
	v_cmp_ne_u16_sdwa s3, v1, v17 src0_sel:BYTE_0 src1_sel:DWORD
	v_mov_b32_e32 v42, 0x8000
	s_and_saveexec_b32 s33, s3
	s_cbranch_execz .LBB249_160
; %bb.155:                              ;   in Loop: Header=BB249_9 Depth=1
	v_and_b32_e32 v44, 0x7f, v1
	v_mov_b32_e32 v42, 0x7c01
	s_mov_b32 s34, exec_lo
	v_cmpx_ne_u32_e32 0x7f, v44
	s_cbranch_execz .LBB249_159
; %bb.156:                              ;   in Loop: Header=BB249_9 Depth=1
	v_and_b32_e32 v42, 7, v1
	v_lshrrev_b32_e32 v43, 3, v44
	s_mov_b32 s35, exec_lo
	v_cmpx_gt_u32_e32 8, v44
; %bb.157:                              ;   in Loop: Header=BB249_9 Depth=1
	v_ffbh_u32_e32 v42, v42
	v_min_u32_e32 v44, 32, v42
	v_subrev_nc_u32_e32 v42, 28, v44
	v_lshlrev_b64 v[42:43], v42, v[1:2]
	v_sub_nc_u32_e32 v43, 29, v44
	v_and_b32_e32 v42, 7, v42
; %bb.158:                              ;   in Loop: Header=BB249_9 Depth=1
	s_or_b32 exec_lo, exec_lo, s35
	v_lshlrev_b32_e32 v44, 8, v1
	v_lshl_add_u32 v43, v43, 10, 0x2000
	v_lshlrev_b32_e32 v42, 7, v42
	v_and_b32_e32 v44, 0x8000, v44
	v_and_b32_e32 v43, 0xfc00, v43
	v_or3_b32 v42, v44, v43, v42
.LBB249_159:                            ;   in Loop: Header=BB249_9 Depth=1
	s_or_b32 exec_lo, exec_lo, s34
.LBB249_160:                            ;   in Loop: Header=BB249_9 Depth=1
	s_or_b32 exec_lo, exec_lo, s33
.LBB249_161:                            ;   in Loop: Header=BB249_9 Depth=1
	s_or_b32 exec_lo, exec_lo, s4
	v_lshrrev_b16 v1, 8, v1
	s_mov_b32 s4, exec_lo
	v_cmpx_ne_u16_e32 0, v1
	s_cbranch_execz .LBB249_169
; %bb.162:                              ;   in Loop: Header=BB249_9 Depth=1
	v_bfrev_b32_e32 v41, 1
	s_mov_b32 s33, exec_lo
	v_cmpx_ne_u16_e32 0x80, v1
	s_cbranch_execz .LBB249_168
; %bb.163:                              ;   in Loop: Header=BB249_9 Depth=1
	v_and_b32_sdwa v44, v1, v18 dst_sel:DWORD dst_unused:UNUSED_PAD src0_sel:WORD_0 src1_sel:DWORD
	v_mov_b32_e32 v41, 0x7c010000
	s_mov_b32 s34, exec_lo
	v_cmpx_ne_u32_e32 0x7f, v44
	s_cbranch_execz .LBB249_167
; %bb.164:                              ;   in Loop: Header=BB249_9 Depth=1
	v_and_b32_sdwa v41, v1, v19 dst_sel:DWORD dst_unused:UNUSED_PAD src0_sel:WORD_0 src1_sel:DWORD
	v_lshrrev_b32_e32 v43, 3, v44
	s_mov_b32 s35, exec_lo
	v_cmpx_gt_u32_e32 8, v44
; %bb.165:                              ;   in Loop: Header=BB249_9 Depth=1
	v_ffbh_u32_e32 v41, v41
	v_min_u32_e32 v41, 32, v41
	v_subrev_nc_u32_e32 v43, 28, v41
	v_lshlrev_b64 v[44:45], v43, v[1:2]
	v_sub_nc_u32_e32 v43, 29, v41
	v_and_b32_e32 v41, 7, v44
; %bb.166:                              ;   in Loop: Header=BB249_9 Depth=1
	s_or_b32 exec_lo, exec_lo, s35
	v_lshlrev_b32_sdwa v1, v20, v1 dst_sel:DWORD dst_unused:UNUSED_PAD src0_sel:DWORD src1_sel:WORD_0
	v_lshl_add_u32 v43, v43, 10, 0x2000
	v_lshlrev_b32_e32 v41, 23, v41
	v_and_or_b32 v1, 0x8000, v1, v43
	v_lshl_or_b32 v41, v1, 16, v41
.LBB249_167:                            ;   in Loop: Header=BB249_9 Depth=1
	s_or_b32 exec_lo, exec_lo, s34
.LBB249_168:                            ;   in Loop: Header=BB249_9 Depth=1
	s_or_b32 exec_lo, exec_lo, s33
.LBB249_169:                            ;   in Loop: Header=BB249_9 Depth=1
	s_or_b32 exec_lo, exec_lo, s4
	global_load_ushort v44, v[7:8], off offset:640
	v_mov_b32_e32 v43, 0
	s_waitcnt vmcnt(0)
	v_and_b32_e32 v1, 0xffff, v44
	v_cmp_ne_u16_sdwa s3, v44, v2 src0_sel:BYTE_0 src1_sel:DWORD
	v_mov_b32_e32 v44, 0
	s_and_saveexec_b32 s4, s3
	s_cbranch_execz .LBB249_177
; %bb.170:                              ;   in Loop: Header=BB249_9 Depth=1
	v_cmp_ne_u16_sdwa s3, v1, v17 src0_sel:BYTE_0 src1_sel:DWORD
	v_mov_b32_e32 v44, 0x8000
	s_and_saveexec_b32 s33, s3
	s_cbranch_execz .LBB249_176
; %bb.171:                              ;   in Loop: Header=BB249_9 Depth=1
	v_and_b32_e32 v46, 0x7f, v1
	v_mov_b32_e32 v44, 0x7c01
	s_mov_b32 s34, exec_lo
	v_cmpx_ne_u32_e32 0x7f, v46
	s_cbranch_execz .LBB249_175
; %bb.172:                              ;   in Loop: Header=BB249_9 Depth=1
	v_and_b32_e32 v44, 7, v1
	v_lshrrev_b32_e32 v45, 3, v46
	s_mov_b32 s35, exec_lo
	v_cmpx_gt_u32_e32 8, v46
; %bb.173:                              ;   in Loop: Header=BB249_9 Depth=1
	v_ffbh_u32_e32 v44, v44
	v_min_u32_e32 v46, 32, v44
	v_subrev_nc_u32_e32 v44, 28, v46
	v_lshlrev_b64 v[44:45], v44, v[1:2]
	v_sub_nc_u32_e32 v45, 29, v46
	v_and_b32_e32 v44, 7, v44
; %bb.174:                              ;   in Loop: Header=BB249_9 Depth=1
	s_or_b32 exec_lo, exec_lo, s35
	v_lshlrev_b32_e32 v46, 8, v1
	v_lshl_add_u32 v45, v45, 10, 0x2000
	v_lshlrev_b32_e32 v44, 7, v44
	v_and_b32_e32 v46, 0x8000, v46
	v_and_b32_e32 v45, 0xfc00, v45
	v_or3_b32 v44, v46, v45, v44
.LBB249_175:                            ;   in Loop: Header=BB249_9 Depth=1
	s_or_b32 exec_lo, exec_lo, s34
.LBB249_176:                            ;   in Loop: Header=BB249_9 Depth=1
	s_or_b32 exec_lo, exec_lo, s33
.LBB249_177:                            ;   in Loop: Header=BB249_9 Depth=1
	s_or_b32 exec_lo, exec_lo, s4
	v_lshrrev_b16 v1, 8, v1
	s_mov_b32 s4, exec_lo
	v_cmpx_ne_u16_e32 0, v1
	s_cbranch_execz .LBB249_185
; %bb.178:                              ;   in Loop: Header=BB249_9 Depth=1
	v_bfrev_b32_e32 v43, 1
	s_mov_b32 s33, exec_lo
	v_cmpx_ne_u16_e32 0x80, v1
	s_cbranch_execz .LBB249_184
; %bb.179:                              ;   in Loop: Header=BB249_9 Depth=1
	v_and_b32_sdwa v46, v1, v18 dst_sel:DWORD dst_unused:UNUSED_PAD src0_sel:WORD_0 src1_sel:DWORD
	v_mov_b32_e32 v43, 0x7c010000
	s_mov_b32 s34, exec_lo
	v_cmpx_ne_u32_e32 0x7f, v46
	s_cbranch_execz .LBB249_183
; %bb.180:                              ;   in Loop: Header=BB249_9 Depth=1
	v_and_b32_sdwa v43, v1, v19 dst_sel:DWORD dst_unused:UNUSED_PAD src0_sel:WORD_0 src1_sel:DWORD
	v_lshrrev_b32_e32 v45, 3, v46
	s_mov_b32 s35, exec_lo
	v_cmpx_gt_u32_e32 8, v46
; %bb.181:                              ;   in Loop: Header=BB249_9 Depth=1
	v_ffbh_u32_e32 v43, v43
	v_min_u32_e32 v43, 32, v43
	v_subrev_nc_u32_e32 v45, 28, v43
	v_lshlrev_b64 v[46:47], v45, v[1:2]
	v_sub_nc_u32_e32 v45, 29, v43
	v_and_b32_e32 v43, 7, v46
; %bb.182:                              ;   in Loop: Header=BB249_9 Depth=1
	s_or_b32 exec_lo, exec_lo, s35
	v_lshlrev_b32_sdwa v1, v20, v1 dst_sel:DWORD dst_unused:UNUSED_PAD src0_sel:DWORD src1_sel:WORD_0
	v_lshl_add_u32 v45, v45, 10, 0x2000
	v_lshlrev_b32_e32 v43, 23, v43
	v_and_or_b32 v1, 0x8000, v1, v45
	v_lshl_or_b32 v43, v1, 16, v43
.LBB249_183:                            ;   in Loop: Header=BB249_9 Depth=1
	s_or_b32 exec_lo, exec_lo, s34
.LBB249_184:                            ;   in Loop: Header=BB249_9 Depth=1
	s_or_b32 exec_lo, exec_lo, s33
.LBB249_185:                            ;   in Loop: Header=BB249_9 Depth=1
	s_or_b32 exec_lo, exec_lo, s4
	global_load_ushort v46, v[7:8], off offset:648
	v_mov_b32_e32 v45, 0
	s_waitcnt vmcnt(0)
	v_and_b32_e32 v1, 0xffff, v46
	v_cmp_ne_u16_sdwa s3, v46, v2 src0_sel:BYTE_0 src1_sel:DWORD
	v_mov_b32_e32 v46, 0
	s_and_saveexec_b32 s4, s3
	s_cbranch_execz .LBB249_193
; %bb.186:                              ;   in Loop: Header=BB249_9 Depth=1
	v_cmp_ne_u16_sdwa s3, v1, v17 src0_sel:BYTE_0 src1_sel:DWORD
	v_mov_b32_e32 v46, 0x8000
	s_and_saveexec_b32 s33, s3
	s_cbranch_execz .LBB249_192
; %bb.187:                              ;   in Loop: Header=BB249_9 Depth=1
	v_and_b32_e32 v48, 0x7f, v1
	v_mov_b32_e32 v46, 0x7c01
	s_mov_b32 s34, exec_lo
	v_cmpx_ne_u32_e32 0x7f, v48
	s_cbranch_execz .LBB249_191
; %bb.188:                              ;   in Loop: Header=BB249_9 Depth=1
	v_and_b32_e32 v46, 7, v1
	v_lshrrev_b32_e32 v47, 3, v48
	s_mov_b32 s35, exec_lo
	v_cmpx_gt_u32_e32 8, v48
; %bb.189:                              ;   in Loop: Header=BB249_9 Depth=1
	v_ffbh_u32_e32 v46, v46
	v_min_u32_e32 v48, 32, v46
	v_subrev_nc_u32_e32 v46, 28, v48
	v_lshlrev_b64 v[46:47], v46, v[1:2]
	v_sub_nc_u32_e32 v47, 29, v48
	v_and_b32_e32 v46, 7, v46
; %bb.190:                              ;   in Loop: Header=BB249_9 Depth=1
	s_or_b32 exec_lo, exec_lo, s35
	v_lshlrev_b32_e32 v48, 8, v1
	v_lshl_add_u32 v47, v47, 10, 0x2000
	v_lshlrev_b32_e32 v46, 7, v46
	v_and_b32_e32 v48, 0x8000, v48
	v_and_b32_e32 v47, 0xfc00, v47
	v_or3_b32 v46, v48, v47, v46
.LBB249_191:                            ;   in Loop: Header=BB249_9 Depth=1
	s_or_b32 exec_lo, exec_lo, s34
.LBB249_192:                            ;   in Loop: Header=BB249_9 Depth=1
	s_or_b32 exec_lo, exec_lo, s33
.LBB249_193:                            ;   in Loop: Header=BB249_9 Depth=1
	s_or_b32 exec_lo, exec_lo, s4
	v_lshrrev_b16 v1, 8, v1
	s_mov_b32 s4, exec_lo
	v_cmpx_ne_u16_e32 0, v1
	s_cbranch_execz .LBB249_201
; %bb.194:                              ;   in Loop: Header=BB249_9 Depth=1
	v_bfrev_b32_e32 v45, 1
	s_mov_b32 s33, exec_lo
	v_cmpx_ne_u16_e32 0x80, v1
	s_cbranch_execz .LBB249_200
; %bb.195:                              ;   in Loop: Header=BB249_9 Depth=1
	v_and_b32_sdwa v48, v1, v18 dst_sel:DWORD dst_unused:UNUSED_PAD src0_sel:WORD_0 src1_sel:DWORD
	v_mov_b32_e32 v45, 0x7c010000
	s_mov_b32 s34, exec_lo
	v_cmpx_ne_u32_e32 0x7f, v48
	s_cbranch_execz .LBB249_199
; %bb.196:                              ;   in Loop: Header=BB249_9 Depth=1
	v_and_b32_sdwa v45, v1, v19 dst_sel:DWORD dst_unused:UNUSED_PAD src0_sel:WORD_0 src1_sel:DWORD
	v_lshrrev_b32_e32 v47, 3, v48
	s_mov_b32 s35, exec_lo
	v_cmpx_gt_u32_e32 8, v48
; %bb.197:                              ;   in Loop: Header=BB249_9 Depth=1
	v_ffbh_u32_e32 v45, v45
	v_min_u32_e32 v45, 32, v45
	v_subrev_nc_u32_e32 v47, 28, v45
	v_lshlrev_b64 v[48:49], v47, v[1:2]
	v_sub_nc_u32_e32 v47, 29, v45
	v_and_b32_e32 v45, 7, v48
; %bb.198:                              ;   in Loop: Header=BB249_9 Depth=1
	s_or_b32 exec_lo, exec_lo, s35
	v_lshlrev_b32_sdwa v1, v20, v1 dst_sel:DWORD dst_unused:UNUSED_PAD src0_sel:DWORD src1_sel:WORD_0
	v_lshl_add_u32 v47, v47, 10, 0x2000
	v_lshlrev_b32_e32 v45, 23, v45
	v_and_or_b32 v1, 0x8000, v1, v47
	v_lshl_or_b32 v45, v1, 16, v45
.LBB249_199:                            ;   in Loop: Header=BB249_9 Depth=1
	s_or_b32 exec_lo, exec_lo, s34
.LBB249_200:                            ;   in Loop: Header=BB249_9 Depth=1
	s_or_b32 exec_lo, exec_lo, s33
.LBB249_201:                            ;   in Loop: Header=BB249_9 Depth=1
	s_or_b32 exec_lo, exec_lo, s4
	global_load_ushort v48, v[7:8], off offset:768
	v_mov_b32_e32 v47, 0
	s_waitcnt vmcnt(0)
	v_and_b32_e32 v1, 0xffff, v48
	v_cmp_ne_u16_sdwa s3, v48, v2 src0_sel:BYTE_0 src1_sel:DWORD
	v_mov_b32_e32 v48, 0
	s_and_saveexec_b32 s4, s3
	s_cbranch_execz .LBB249_209
; %bb.202:                              ;   in Loop: Header=BB249_9 Depth=1
	v_cmp_ne_u16_sdwa s3, v1, v17 src0_sel:BYTE_0 src1_sel:DWORD
	v_mov_b32_e32 v48, 0x8000
	s_and_saveexec_b32 s33, s3
	s_cbranch_execz .LBB249_208
; %bb.203:                              ;   in Loop: Header=BB249_9 Depth=1
	v_and_b32_e32 v50, 0x7f, v1
	v_mov_b32_e32 v48, 0x7c01
	s_mov_b32 s34, exec_lo
	v_cmpx_ne_u32_e32 0x7f, v50
	s_cbranch_execz .LBB249_207
; %bb.204:                              ;   in Loop: Header=BB249_9 Depth=1
	v_and_b32_e32 v48, 7, v1
	v_lshrrev_b32_e32 v49, 3, v50
	s_mov_b32 s35, exec_lo
	v_cmpx_gt_u32_e32 8, v50
; %bb.205:                              ;   in Loop: Header=BB249_9 Depth=1
	v_ffbh_u32_e32 v48, v48
	v_min_u32_e32 v50, 32, v48
	v_subrev_nc_u32_e32 v48, 28, v50
	v_lshlrev_b64 v[48:49], v48, v[1:2]
	v_sub_nc_u32_e32 v49, 29, v50
	v_and_b32_e32 v48, 7, v48
; %bb.206:                              ;   in Loop: Header=BB249_9 Depth=1
	s_or_b32 exec_lo, exec_lo, s35
	v_lshlrev_b32_e32 v50, 8, v1
	v_lshl_add_u32 v49, v49, 10, 0x2000
	v_lshlrev_b32_e32 v48, 7, v48
	v_and_b32_e32 v50, 0x8000, v50
	v_and_b32_e32 v49, 0xfc00, v49
	v_or3_b32 v48, v50, v49, v48
.LBB249_207:                            ;   in Loop: Header=BB249_9 Depth=1
	s_or_b32 exec_lo, exec_lo, s34
.LBB249_208:                            ;   in Loop: Header=BB249_9 Depth=1
	s_or_b32 exec_lo, exec_lo, s33
.LBB249_209:                            ;   in Loop: Header=BB249_9 Depth=1
	s_or_b32 exec_lo, exec_lo, s4
	v_lshrrev_b16 v1, 8, v1
	s_mov_b32 s4, exec_lo
	v_cmpx_ne_u16_e32 0, v1
	s_cbranch_execz .LBB249_217
; %bb.210:                              ;   in Loop: Header=BB249_9 Depth=1
	v_bfrev_b32_e32 v47, 1
	s_mov_b32 s33, exec_lo
	v_cmpx_ne_u16_e32 0x80, v1
	s_cbranch_execz .LBB249_216
; %bb.211:                              ;   in Loop: Header=BB249_9 Depth=1
	v_and_b32_sdwa v50, v1, v18 dst_sel:DWORD dst_unused:UNUSED_PAD src0_sel:WORD_0 src1_sel:DWORD
	v_mov_b32_e32 v47, 0x7c010000
	s_mov_b32 s34, exec_lo
	v_cmpx_ne_u32_e32 0x7f, v50
	s_cbranch_execz .LBB249_215
; %bb.212:                              ;   in Loop: Header=BB249_9 Depth=1
	v_and_b32_sdwa v47, v1, v19 dst_sel:DWORD dst_unused:UNUSED_PAD src0_sel:WORD_0 src1_sel:DWORD
	v_lshrrev_b32_e32 v49, 3, v50
	s_mov_b32 s35, exec_lo
	v_cmpx_gt_u32_e32 8, v50
; %bb.213:                              ;   in Loop: Header=BB249_9 Depth=1
	v_ffbh_u32_e32 v47, v47
	v_min_u32_e32 v47, 32, v47
	v_subrev_nc_u32_e32 v49, 28, v47
	v_lshlrev_b64 v[50:51], v49, v[1:2]
	v_sub_nc_u32_e32 v49, 29, v47
	v_and_b32_e32 v47, 7, v50
; %bb.214:                              ;   in Loop: Header=BB249_9 Depth=1
	s_or_b32 exec_lo, exec_lo, s35
	v_lshlrev_b32_sdwa v1, v20, v1 dst_sel:DWORD dst_unused:UNUSED_PAD src0_sel:DWORD src1_sel:WORD_0
	v_lshl_add_u32 v49, v49, 10, 0x2000
	v_lshlrev_b32_e32 v47, 23, v47
	v_and_or_b32 v1, 0x8000, v1, v49
	v_lshl_or_b32 v47, v1, 16, v47
.LBB249_215:                            ;   in Loop: Header=BB249_9 Depth=1
	s_or_b32 exec_lo, exec_lo, s34
.LBB249_216:                            ;   in Loop: Header=BB249_9 Depth=1
	s_or_b32 exec_lo, exec_lo, s33
.LBB249_217:                            ;   in Loop: Header=BB249_9 Depth=1
	s_or_b32 exec_lo, exec_lo, s4
	global_load_ushort v50, v[7:8], off offset:776
	v_mov_b32_e32 v49, 0
	s_waitcnt vmcnt(0)
	v_and_b32_e32 v1, 0xffff, v50
	v_cmp_ne_u16_sdwa s3, v50, v2 src0_sel:BYTE_0 src1_sel:DWORD
	v_mov_b32_e32 v50, 0
	s_and_saveexec_b32 s4, s3
	s_cbranch_execz .LBB249_225
; %bb.218:                              ;   in Loop: Header=BB249_9 Depth=1
	v_cmp_ne_u16_sdwa s3, v1, v17 src0_sel:BYTE_0 src1_sel:DWORD
	v_mov_b32_e32 v50, 0x8000
	s_and_saveexec_b32 s33, s3
	s_cbranch_execz .LBB249_224
; %bb.219:                              ;   in Loop: Header=BB249_9 Depth=1
	v_and_b32_e32 v52, 0x7f, v1
	v_mov_b32_e32 v50, 0x7c01
	s_mov_b32 s34, exec_lo
	v_cmpx_ne_u32_e32 0x7f, v52
	s_cbranch_execz .LBB249_223
; %bb.220:                              ;   in Loop: Header=BB249_9 Depth=1
	v_and_b32_e32 v50, 7, v1
	v_lshrrev_b32_e32 v51, 3, v52
	s_mov_b32 s35, exec_lo
	v_cmpx_gt_u32_e32 8, v52
; %bb.221:                              ;   in Loop: Header=BB249_9 Depth=1
	v_ffbh_u32_e32 v50, v50
	v_min_u32_e32 v52, 32, v50
	v_subrev_nc_u32_e32 v50, 28, v52
	v_lshlrev_b64 v[50:51], v50, v[1:2]
	v_sub_nc_u32_e32 v51, 29, v52
	v_and_b32_e32 v50, 7, v50
; %bb.222:                              ;   in Loop: Header=BB249_9 Depth=1
	s_or_b32 exec_lo, exec_lo, s35
	v_lshlrev_b32_e32 v52, 8, v1
	v_lshl_add_u32 v51, v51, 10, 0x2000
	v_lshlrev_b32_e32 v50, 7, v50
	v_and_b32_e32 v52, 0x8000, v52
	v_and_b32_e32 v51, 0xfc00, v51
	v_or3_b32 v50, v52, v51, v50
.LBB249_223:                            ;   in Loop: Header=BB249_9 Depth=1
	s_or_b32 exec_lo, exec_lo, s34
.LBB249_224:                            ;   in Loop: Header=BB249_9 Depth=1
	s_or_b32 exec_lo, exec_lo, s33
.LBB249_225:                            ;   in Loop: Header=BB249_9 Depth=1
	s_or_b32 exec_lo, exec_lo, s4
	v_lshrrev_b16 v1, 8, v1
	s_mov_b32 s4, exec_lo
	v_cmpx_ne_u16_e32 0, v1
	s_cbranch_execz .LBB249_233
; %bb.226:                              ;   in Loop: Header=BB249_9 Depth=1
	v_bfrev_b32_e32 v49, 1
	s_mov_b32 s33, exec_lo
	v_cmpx_ne_u16_e32 0x80, v1
	s_cbranch_execz .LBB249_232
; %bb.227:                              ;   in Loop: Header=BB249_9 Depth=1
	v_and_b32_sdwa v52, v1, v18 dst_sel:DWORD dst_unused:UNUSED_PAD src0_sel:WORD_0 src1_sel:DWORD
	v_mov_b32_e32 v49, 0x7c010000
	s_mov_b32 s34, exec_lo
	v_cmpx_ne_u32_e32 0x7f, v52
	s_cbranch_execz .LBB249_231
; %bb.228:                              ;   in Loop: Header=BB249_9 Depth=1
	v_and_b32_sdwa v49, v1, v19 dst_sel:DWORD dst_unused:UNUSED_PAD src0_sel:WORD_0 src1_sel:DWORD
	v_lshrrev_b32_e32 v51, 3, v52
	s_mov_b32 s35, exec_lo
	v_cmpx_gt_u32_e32 8, v52
; %bb.229:                              ;   in Loop: Header=BB249_9 Depth=1
	v_ffbh_u32_e32 v49, v49
	v_min_u32_e32 v49, 32, v49
	v_subrev_nc_u32_e32 v51, 28, v49
	v_lshlrev_b64 v[52:53], v51, v[1:2]
	v_sub_nc_u32_e32 v51, 29, v49
	v_and_b32_e32 v49, 7, v52
; %bb.230:                              ;   in Loop: Header=BB249_9 Depth=1
	s_or_b32 exec_lo, exec_lo, s35
	v_lshlrev_b32_sdwa v1, v20, v1 dst_sel:DWORD dst_unused:UNUSED_PAD src0_sel:DWORD src1_sel:WORD_0
	v_lshl_add_u32 v51, v51, 10, 0x2000
	v_lshlrev_b32_e32 v49, 23, v49
	v_and_or_b32 v1, 0x8000, v1, v51
	v_lshl_or_b32 v49, v1, 16, v49
.LBB249_231:                            ;   in Loop: Header=BB249_9 Depth=1
	s_or_b32 exec_lo, exec_lo, s34
.LBB249_232:                            ;   in Loop: Header=BB249_9 Depth=1
	s_or_b32 exec_lo, exec_lo, s33
.LBB249_233:                            ;   in Loop: Header=BB249_9 Depth=1
	s_or_b32 exec_lo, exec_lo, s4
	global_load_ushort v52, v[7:8], off offset:896
	v_mov_b32_e32 v51, 0
	s_waitcnt vmcnt(0)
	v_and_b32_e32 v1, 0xffff, v52
	v_cmp_ne_u16_sdwa s3, v52, v2 src0_sel:BYTE_0 src1_sel:DWORD
	v_mov_b32_e32 v52, 0
	s_and_saveexec_b32 s4, s3
	s_cbranch_execz .LBB249_241
; %bb.234:                              ;   in Loop: Header=BB249_9 Depth=1
	v_cmp_ne_u16_sdwa s3, v1, v17 src0_sel:BYTE_0 src1_sel:DWORD
	v_mov_b32_e32 v52, 0x8000
	s_and_saveexec_b32 s33, s3
	s_cbranch_execz .LBB249_240
; %bb.235:                              ;   in Loop: Header=BB249_9 Depth=1
	v_and_b32_e32 v54, 0x7f, v1
	v_mov_b32_e32 v52, 0x7c01
	s_mov_b32 s34, exec_lo
	v_cmpx_ne_u32_e32 0x7f, v54
	s_cbranch_execz .LBB249_239
; %bb.236:                              ;   in Loop: Header=BB249_9 Depth=1
	v_and_b32_e32 v52, 7, v1
	v_lshrrev_b32_e32 v53, 3, v54
	s_mov_b32 s35, exec_lo
	v_cmpx_gt_u32_e32 8, v54
; %bb.237:                              ;   in Loop: Header=BB249_9 Depth=1
	v_ffbh_u32_e32 v52, v52
	v_min_u32_e32 v54, 32, v52
	v_subrev_nc_u32_e32 v52, 28, v54
	v_lshlrev_b64 v[52:53], v52, v[1:2]
	v_sub_nc_u32_e32 v53, 29, v54
	v_and_b32_e32 v52, 7, v52
; %bb.238:                              ;   in Loop: Header=BB249_9 Depth=1
	s_or_b32 exec_lo, exec_lo, s35
	v_lshlrev_b32_e32 v54, 8, v1
	v_lshl_add_u32 v53, v53, 10, 0x2000
	v_lshlrev_b32_e32 v52, 7, v52
	v_and_b32_e32 v54, 0x8000, v54
	v_and_b32_e32 v53, 0xfc00, v53
	v_or3_b32 v52, v54, v53, v52
.LBB249_239:                            ;   in Loop: Header=BB249_9 Depth=1
	s_or_b32 exec_lo, exec_lo, s34
.LBB249_240:                            ;   in Loop: Header=BB249_9 Depth=1
	s_or_b32 exec_lo, exec_lo, s33
.LBB249_241:                            ;   in Loop: Header=BB249_9 Depth=1
	s_or_b32 exec_lo, exec_lo, s4
	v_lshrrev_b16 v1, 8, v1
	s_mov_b32 s4, exec_lo
	v_cmpx_ne_u16_e32 0, v1
	s_cbranch_execz .LBB249_249
; %bb.242:                              ;   in Loop: Header=BB249_9 Depth=1
	v_bfrev_b32_e32 v51, 1
	s_mov_b32 s33, exec_lo
	v_cmpx_ne_u16_e32 0x80, v1
	s_cbranch_execz .LBB249_248
; %bb.243:                              ;   in Loop: Header=BB249_9 Depth=1
	v_and_b32_sdwa v54, v1, v18 dst_sel:DWORD dst_unused:UNUSED_PAD src0_sel:WORD_0 src1_sel:DWORD
	v_mov_b32_e32 v51, 0x7c010000
	s_mov_b32 s34, exec_lo
	v_cmpx_ne_u32_e32 0x7f, v54
	s_cbranch_execz .LBB249_247
; %bb.244:                              ;   in Loop: Header=BB249_9 Depth=1
	v_and_b32_sdwa v51, v1, v19 dst_sel:DWORD dst_unused:UNUSED_PAD src0_sel:WORD_0 src1_sel:DWORD
	v_lshrrev_b32_e32 v53, 3, v54
	s_mov_b32 s35, exec_lo
	v_cmpx_gt_u32_e32 8, v54
; %bb.245:                              ;   in Loop: Header=BB249_9 Depth=1
	v_ffbh_u32_e32 v51, v51
	v_min_u32_e32 v51, 32, v51
	v_subrev_nc_u32_e32 v53, 28, v51
	v_lshlrev_b64 v[54:55], v53, v[1:2]
	v_sub_nc_u32_e32 v53, 29, v51
	v_and_b32_e32 v51, 7, v54
; %bb.246:                              ;   in Loop: Header=BB249_9 Depth=1
	s_or_b32 exec_lo, exec_lo, s35
	v_lshlrev_b32_sdwa v1, v20, v1 dst_sel:DWORD dst_unused:UNUSED_PAD src0_sel:DWORD src1_sel:WORD_0
	v_lshl_add_u32 v53, v53, 10, 0x2000
	v_lshlrev_b32_e32 v51, 23, v51
	v_and_or_b32 v1, 0x8000, v1, v53
	v_lshl_or_b32 v51, v1, 16, v51
.LBB249_247:                            ;   in Loop: Header=BB249_9 Depth=1
	s_or_b32 exec_lo, exec_lo, s34
.LBB249_248:                            ;   in Loop: Header=BB249_9 Depth=1
	s_or_b32 exec_lo, exec_lo, s33
.LBB249_249:                            ;   in Loop: Header=BB249_9 Depth=1
	s_or_b32 exec_lo, exec_lo, s4
	global_load_ushort v8, v[7:8], off offset:904
	v_mov_b32_e32 v7, 0
	s_waitcnt vmcnt(0)
	v_and_b32_e32 v1, 0xffff, v8
	v_cmp_ne_u16_sdwa s3, v8, v2 src0_sel:BYTE_0 src1_sel:DWORD
	v_mov_b32_e32 v8, 0
	s_and_saveexec_b32 s4, s3
	s_cbranch_execz .LBB249_257
; %bb.250:                              ;   in Loop: Header=BB249_9 Depth=1
	v_cmp_ne_u16_sdwa s3, v1, v17 src0_sel:BYTE_0 src1_sel:DWORD
	v_mov_b32_e32 v8, 0x8000
	s_and_saveexec_b32 s33, s3
	s_cbranch_execz .LBB249_256
; %bb.251:                              ;   in Loop: Header=BB249_9 Depth=1
	v_and_b32_e32 v54, 0x7f, v1
	v_mov_b32_e32 v8, 0x7c01
	s_mov_b32 s34, exec_lo
	v_cmpx_ne_u32_e32 0x7f, v54
	s_cbranch_execz .LBB249_255
; %bb.252:                              ;   in Loop: Header=BB249_9 Depth=1
	v_and_b32_e32 v8, 7, v1
	v_lshrrev_b32_e32 v53, 3, v54
	s_mov_b32 s35, exec_lo
	v_cmpx_gt_u32_e32 8, v54
; %bb.253:                              ;   in Loop: Header=BB249_9 Depth=1
	v_ffbh_u32_e32 v8, v8
	v_min_u32_e32 v8, 32, v8
	v_subrev_nc_u32_e32 v53, 28, v8
	v_lshlrev_b64 v[54:55], v53, v[1:2]
	v_sub_nc_u32_e32 v53, 29, v8
	v_and_b32_e32 v8, 7, v54
; %bb.254:                              ;   in Loop: Header=BB249_9 Depth=1
	s_or_b32 exec_lo, exec_lo, s35
	v_lshlrev_b32_e32 v54, 8, v1
	v_lshl_add_u32 v53, v53, 10, 0x2000
	v_lshlrev_b32_e32 v8, 7, v8
	v_and_b32_e32 v54, 0x8000, v54
	v_and_b32_e32 v53, 0xfc00, v53
	v_or3_b32 v8, v54, v53, v8
.LBB249_255:                            ;   in Loop: Header=BB249_9 Depth=1
	s_or_b32 exec_lo, exec_lo, s34
.LBB249_256:                            ;   in Loop: Header=BB249_9 Depth=1
	s_or_b32 exec_lo, exec_lo, s33
.LBB249_257:                            ;   in Loop: Header=BB249_9 Depth=1
	s_or_b32 exec_lo, exec_lo, s4
	v_lshrrev_b16 v1, 8, v1
	s_mov_b32 s4, exec_lo
	v_cmpx_ne_u16_e32 0, v1
	s_cbranch_execz .LBB249_265
; %bb.258:                              ;   in Loop: Header=BB249_9 Depth=1
	v_bfrev_b32_e32 v7, 1
	s_mov_b32 s33, exec_lo
	v_cmpx_ne_u16_e32 0x80, v1
	s_cbranch_execz .LBB249_264
; %bb.259:                              ;   in Loop: Header=BB249_9 Depth=1
	v_and_b32_sdwa v54, v1, v18 dst_sel:DWORD dst_unused:UNUSED_PAD src0_sel:WORD_0 src1_sel:DWORD
	v_mov_b32_e32 v7, 0x7c010000
	s_mov_b32 s34, exec_lo
	v_cmpx_ne_u32_e32 0x7f, v54
	s_cbranch_execz .LBB249_263
; %bb.260:                              ;   in Loop: Header=BB249_9 Depth=1
	v_and_b32_sdwa v7, v1, v19 dst_sel:DWORD dst_unused:UNUSED_PAD src0_sel:WORD_0 src1_sel:DWORD
	v_lshrrev_b32_e32 v53, 3, v54
	s_mov_b32 s35, exec_lo
	v_cmpx_gt_u32_e32 8, v54
; %bb.261:                              ;   in Loop: Header=BB249_9 Depth=1
	v_ffbh_u32_e32 v7, v7
	v_min_u32_e32 v7, 32, v7
	v_subrev_nc_u32_e32 v53, 28, v7
	v_lshlrev_b64 v[54:55], v53, v[1:2]
	v_sub_nc_u32_e32 v53, 29, v7
	v_and_b32_e32 v7, 7, v54
; %bb.262:                              ;   in Loop: Header=BB249_9 Depth=1
	s_or_b32 exec_lo, exec_lo, s35
	v_lshlrev_b32_sdwa v1, v20, v1 dst_sel:DWORD dst_unused:UNUSED_PAD src0_sel:DWORD src1_sel:WORD_0
	v_lshl_add_u32 v53, v53, 10, 0x2000
	v_lshlrev_b32_e32 v7, 23, v7
	v_and_or_b32 v1, 0x8000, v1, v53
	v_lshl_or_b32 v7, v1, 16, v7
.LBB249_263:                            ;   in Loop: Header=BB249_9 Depth=1
	s_or_b32 exec_lo, exec_lo, s34
.LBB249_264:                            ;   in Loop: Header=BB249_9 Depth=1
	s_or_b32 exec_lo, exec_lo, s33
.LBB249_265:                            ;   in Loop: Header=BB249_9 Depth=1
	s_or_b32 exec_lo, exec_lo, s4
	ds_read_b32 v1, v14
	v_or_b32_e32 v23, v24, v23
	v_fma_mixlo_f16 v24, v22, v24, 0 op_sel:[0,1,0] op_sel_hi:[0,1,0]
	v_or_b32_e32 v26, v25, v26
	v_fma_mixlo_f16 v25, v22, v25, 0 op_sel:[0,1,0] op_sel_hi:[0,1,0]
	v_or_b32_e32 v28, v27, v28
	v_fma_mixlo_f16 v23, v22, v23, 0 op_sel_hi:[0,1,0]
	v_and_b32_e32 v56, 0xffff, v24
	v_fma_mixlo_f16 v26, v22, v26, 0 op_sel_hi:[0,1,0]
	v_and_b32_e32 v57, 0xffff, v25
	;; [unrolled: 2-line block ×3, first 2 shown]
	v_fma_mixlo_f16 v27, v22, v27, 0 op_sel:[0,1,0] op_sel_hi:[0,1,0]
	v_or_b32_e32 v30, v29, v30
	v_fma_mixlo_f16 v29, v22, v29, 0 op_sel:[0,1,0] op_sel_hi:[0,1,0]
	v_and_b32_e32 v58, 0xffff, v28
	v_or_b32_e32 v32, v31, v32
	v_and_b32_e32 v59, 0xffff, v27
	v_fma_mixlo_f16 v30, v22, v30, 0 op_sel_hi:[0,1,0]
	v_and_b32_e32 v61, 0xffff, v29
	s_waitcnt lgkmcnt(0)
	v_and_b32_e32 v53, 0xffff, v1
	v_lshrrev_b32_e32 v54, 16, v1
	;;#ASMSTART
	v_cvt_f32_f16 v1, v53;
	;;#ASMEND
	;;#ASMSTART
	v_cvt_f32_f16 v23, v54;
	;;#ASMEND
	;; [unrolled: 3-line block ×4, first 2 shown]
	ds_read_b32 v54, v14 offset:4
	v_and_b32_e32 v56, 0xffff, v26
	v_and_b32_e32 v60, 0xffff, v30
	v_fma_mixlo_f16 v32, v22, v32, 0 op_sel_hi:[0,1,0]
	v_fma_mixlo_f16 v31, v22, v31, 0 op_sel:[0,1,0] op_sel_hi:[0,1,0]
	v_or_b32_e32 v34, v33, v34
	v_fma_mixlo_f16 v33, v22, v33, 0 op_sel:[0,1,0] op_sel_hi:[0,1,0]
	v_or_b32_e32 v36, v35, v36
	v_and_b32_e32 v62, 0xffff, v32
	v_and_b32_e32 v63, 0xffff, v31
	v_fma_mixlo_f16 v34, v22, v34, 0 op_sel_hi:[0,1,0]
	v_and_b32_e32 v65, 0xffff, v33
	v_fma_mixlo_f16 v36, v22, v36, 0 op_sel_hi:[0,1,0]
	v_fma_mixlo_f16 v35, v22, v35, 0 op_sel:[0,1,0] op_sel_hi:[0,1,0]
	v_or_b32_e32 v38, v37, v38
	v_and_b32_e32 v64, 0xffff, v34
	v_fma_mixlo_f16 v37, v22, v37, 0 op_sel:[0,1,0] op_sel_hi:[0,1,0]
	v_and_b32_e32 v66, 0xffff, v36
	v_and_b32_e32 v67, 0xffff, v35
	v_fma_mixlo_f16 v38, v22, v38, 0 op_sel_hi:[0,1,0]
	s_waitcnt lgkmcnt(0)
	v_and_b32_e32 v55, 0xffff, v54
	v_lshrrev_b32_e32 v54, 16, v54
	;;#ASMSTART
	v_cvt_f32_f16 v25, v55;
	;;#ASMEND
	;;#ASMSTART
	v_cvt_f32_f16 v26, v54;
	;;#ASMEND
	;; [unrolled: 3-line block ×4, first 2 shown]
	ds_read_b32 v56, v14 offset:8
	v_and_b32_e32 v68, 0xffff, v38
	v_and_b32_e32 v69, 0xffff, v37
	v_or_b32_e32 v40, v39, v40
	v_fma_mixlo_f16 v39, v22, v39, 0 op_sel:[0,1,0] op_sel_hi:[0,1,0]
	v_or_b32_e32 v42, v41, v42
	v_fma_mixlo_f16 v41, v22, v41, 0 op_sel:[0,1,0] op_sel_hi:[0,1,0]
	v_or_b32_e32 v44, v43, v44
	v_fma_mixlo_f16 v40, v22, v40, 0 op_sel_hi:[0,1,0]
	v_and_b32_e32 v71, 0xffff, v39
	v_fma_mixlo_f16 v42, v22, v42, 0 op_sel_hi:[0,1,0]
	v_and_b32_e32 v73, 0xffff, v41
	;; [unrolled: 2-line block ×3, first 2 shown]
	v_fma_mixlo_f16 v43, v22, v43, 0 op_sel:[0,1,0] op_sel_hi:[0,1,0]
	v_and_b32_e32 v72, 0xffff, v42
	v_or_b32_e32 v46, v45, v46
	v_and_b32_e32 v74, 0xffff, v44
	v_fma_mixlo_f16 v45, v22, v45, 0 op_sel:[0,1,0] op_sel_hi:[0,1,0]
	v_and_b32_e32 v75, 0xffff, v43
	s_waitcnt lgkmcnt(0)
	v_and_b32_e32 v57, 0xffff, v56
	v_lshrrev_b32_e32 v56, 16, v56
	;;#ASMSTART
	v_cvt_f32_f16 v27, v57;
	;;#ASMEND
	;;#ASMSTART
	v_cvt_f32_f16 v28, v56;
	;;#ASMEND
	;; [unrolled: 3-line block ×4, first 2 shown]
	ds_read_b32 v58, v14 offset:12
	v_fma_mixlo_f16 v46, v22, v46, 0 op_sel_hi:[0,1,0]
	v_and_b32_e32 v77, 0xffff, v45
	v_mul_f32_e32 v25, v25, v54
	v_mul_f32_e32 v26, v26, v55
	v_or_b32_e32 v48, v47, v48
	v_and_b32_e32 v76, 0xffff, v46
	v_fma_mixlo_f16 v47, v22, v47, 0 op_sel:[0,1,0] op_sel_hi:[0,1,0]
	v_fmac_f32_e32 v25, v1, v24
	v_fmac_f32_e32 v26, v23, v53
	v_fma_mixlo_f16 v48, v22, v48, 0 op_sel_hi:[0,1,0]
	v_or_b32_e32 v1, v49, v50
	v_and_b32_e32 v79, 0xffff, v47
	v_fmac_f32_e32 v25, v27, v56
	v_fmac_f32_e32 v26, v28, v57
	v_and_b32_e32 v78, 0xffff, v48
	v_fma_mixlo_f16 v23, v22, v49, 0 op_sel:[0,1,0] op_sel_hi:[0,1,0]
	v_fma_mixlo_f16 v1, v22, v1, 0 op_sel_hi:[0,1,0]
	v_or_b32_e32 v8, v7, v8
	v_fma_mixlo_f16 v7, v22, v7, 0 op_sel:[0,1,0] op_sel_hi:[0,1,0]
	s_waitcnt lgkmcnt(0)
	v_and_b32_e32 v59, 0xffff, v58
	v_lshrrev_b32_e32 v58, 16, v58
	;;#ASMSTART
	v_cvt_f32_f16 v29, v59;
	;;#ASMEND
	;;#ASMSTART
	v_cvt_f32_f16 v30, v58;
	;;#ASMEND
	;; [unrolled: 3-line block ×4, first 2 shown]
	ds_read_b32 v60, v14 offset:16
	v_fmac_f32_e32 v25, v29, v58
	v_fmac_f32_e32 v26, v30, v59
	v_and_b32_e32 v27, 0xffff, v23
	v_and_b32_e32 v28, 0xffff, v1
	v_or_b32_e32 v29, v51, v52
	v_fma_mixlo_f16 v30, v22, v51, 0 op_sel:[0,1,0] op_sel_hi:[0,1,0]
	v_fma_mixlo_f16 v8, v22, v8, 0 op_sel_hi:[0,1,0]
	v_fma_mixlo_f16 v29, v22, v29, 0 op_sel_hi:[0,1,0]
	s_waitcnt lgkmcnt(0)
	v_and_b32_e32 v61, 0xffff, v60
	v_lshrrev_b32_e32 v60, 16, v60
	;;#ASMSTART
	v_cvt_f32_f16 v31, v61;
	;;#ASMEND
	;;#ASMSTART
	v_cvt_f32_f16 v32, v60;
	;;#ASMEND
	;; [unrolled: 3-line block ×4, first 2 shown]
	ds_read_b32 v62, v14 offset:20
	v_fmac_f32_e32 v25, v31, v60
	v_fmac_f32_e32 v26, v32, v61
	v_and_b32_e32 v31, 0xffff, v30
	s_waitcnt lgkmcnt(0)
	v_and_b32_e32 v63, 0xffff, v62
	v_lshrrev_b32_e32 v62, 16, v62
	;;#ASMSTART
	v_cvt_f32_f16 v33, v63;
	;;#ASMEND
	;;#ASMSTART
	v_cvt_f32_f16 v34, v62;
	;;#ASMEND
	;; [unrolled: 3-line block ×4, first 2 shown]
	ds_read_b32 v64, v14 offset:24
	v_fmac_f32_e32 v25, v33, v62
	v_fmac_f32_e32 v26, v34, v63
	v_and_b32_e32 v33, 0xffff, v29
	v_and_b32_e32 v34, 0xffff, v7
	s_waitcnt lgkmcnt(0)
	v_and_b32_e32 v65, 0xffff, v64
	v_lshrrev_b32_e32 v64, 16, v64
	;;#ASMSTART
	v_cvt_f32_f16 v35, v65;
	;;#ASMEND
	;;#ASMSTART
	v_cvt_f32_f16 v36, v64;
	;;#ASMEND
	;;#ASMSTART
	v_cvt_f32_f16 v64, v66;
	;;#ASMEND
	;;#ASMSTART
	v_cvt_f32_f16 v65, v67;
	;;#ASMEND
	ds_read_b32 v66, v14 offset:28
	v_fmac_f32_e32 v25, v35, v64
	v_fmac_f32_e32 v26, v36, v65
	s_waitcnt lgkmcnt(0)
	v_and_b32_e32 v67, 0xffff, v66
	v_lshrrev_b32_e32 v66, 16, v66
	;;#ASMSTART
	v_cvt_f32_f16 v37, v67;
	;;#ASMEND
	;;#ASMSTART
	v_cvt_f32_f16 v38, v66;
	;;#ASMEND
	;;#ASMSTART
	v_cvt_f32_f16 v66, v68;
	;;#ASMEND
	;;#ASMSTART
	v_cvt_f32_f16 v67, v69;
	;;#ASMEND
	ds_read_b32 v68, v14 offset:32
	v_fmac_f32_e32 v25, v37, v66
	v_fmac_f32_e32 v26, v38, v67
	;; [unrolled: 18-line block ×8, first 2 shown]
	v_and_b32_e32 v23, 0xffff, v8
	s_waitcnt lgkmcnt(0)
	v_and_b32_e32 v30, 0xffff, v28
	v_lshrrev_b32_e32 v32, 16, v28
	;;#ASMSTART
	v_cvt_f32_f16 v28, v30;
	;;#ASMEND
	;;#ASMSTART
	v_cvt_f32_f16 v29, v32;
	;;#ASMEND
	;; [unrolled: 3-line block ×4, first 2 shown]
	ds_read_b32 v32, v14 offset:60
	v_xor_b32_e32 v33, 2, v10
	v_fmac_f32_e32 v25, v28, v30
	v_fmac_f32_e32 v26, v29, v31
	v_cmp_gt_i32_e64 s3, 32, v33
	v_cndmask_b32_e64 v7, v10, v33, s3
	s_waitcnt lgkmcnt(0)
	v_and_b32_e32 v1, 0xffff, v32
	v_lshrrev_b32_e32 v22, 16, v32
	;;#ASMSTART
	v_cvt_f32_f16 v1, v1;
	;;#ASMEND
	;;#ASMSTART
	v_cvt_f32_f16 v8, v22;
	;;#ASMEND
	;; [unrolled: 3-line block ×4, first 2 shown]
	v_fmac_f32_e32 v25, v1, v22
	v_fmac_f32_e32 v26, v8, v23
	v_lshlrev_b32_e32 v1, 2, v7
	v_xor_b32_e32 v8, 1, v10
	v_add_f32_e32 v7, v25, v26
	v_cmp_gt_i32_e64 s3, 32, v8
	ds_bpermute_b32 v1, v1, v7
	v_cndmask_b32_e64 v8, v10, v8, s3
	s_waitcnt lgkmcnt(0)
	v_add_f32_e32 v1, v7, v1
	v_lshlrev_b32_e32 v7, 2, v8
	ds_bpermute_b32 v7, v7, v1
	s_and_saveexec_b32 s4, vcc_lo
	s_cbranch_execz .LBB249_8
; %bb.266:                              ;   in Loop: Header=BB249_9 Depth=1
	v_add_nc_u32_e32 v8, s5, v15
	s_waitcnt lgkmcnt(0)
	v_add_f32_e32 v1, v1, v7
	v_cmp_gt_i32_e64 s3, s11, v15
	v_cvt_f32_i32_e32 v8, v8
	v_mul_f32_e32 v8, s28, v8
	v_cndmask_b32_e64 v7, 0, v8, s2
	v_max_f32_e32 v8, v13, v13
	v_fmac_f32_e32 v7, s29, v1
	v_max_f32_e32 v1, v8, v7
	v_cndmask_b32_e64 v7, 0, v7, s3
	v_cndmask_b32_e64 v13, v13, v1, s3
	ds_write_b32 v16, v7
	s_branch .LBB249_8
.LBB249_267:
	s_or_b32 exec_lo, exec_lo, s30
.LBB249_268:
	s_or_b32 exec_lo, exec_lo, s19
	v_xor_b32_e32 v1, 16, v10
	v_xor_b32_e32 v4, 8, v10
	v_max_f32_e32 v5, v13, v13
	v_xor_b32_e32 v6, 4, v10
	v_cmp_lt_i32_e32 vcc_lo, v1, v12
	v_cndmask_b32_e32 v1, v10, v1, vcc_lo
	v_cmp_lt_i32_e32 vcc_lo, v4, v12
	v_lshlrev_b32_e32 v3, 2, v1
	v_cndmask_b32_e32 v4, v10, v4, vcc_lo
	v_cmp_lt_i32_e32 vcc_lo, v6, v12
	ds_bpermute_b32 v1, v3, v13
	v_lshlrev_b32_e32 v4, 2, v4
	v_cndmask_b32_e32 v6, v10, v6, vcc_lo
	v_and_b32_e32 v13, 31, v0
	s_waitcnt lgkmcnt(0)
	v_lshlrev_b32_e32 v7, 2, v6
	v_cmp_eq_u32_e32 vcc_lo, 0, v13
	v_max_f32_e32 v1, v1, v1
	v_max_f32_e32 v1, v5, v1
	ds_bpermute_b32 v5, v4, v1
	s_waitcnt lgkmcnt(0)
	v_max_f32_e32 v5, v5, v5
	v_max_f32_e32 v1, v1, v5
	v_lshlrev_b32_e32 v5, 2, v11
	ds_bpermute_b32 v6, v7, v1
	s_and_saveexec_b32 s2, vcc_lo
	s_cbranch_execz .LBB249_270
; %bb.269:
	s_waitcnt lgkmcnt(0)
	v_max_f32_e32 v6, v6, v6
	v_max_f32_e32 v1, v1, v1
	;; [unrolled: 1-line block ×3, first 2 shown]
	ds_write_b32 v5, v1 offset:256
.LBB249_270:
	s_or_b32 exec_lo, exec_lo, s2
	v_cmp_gt_u32_e64 s2, 4, v13
	v_mov_b32_e32 v1, 0xff7fffff
	s_waitcnt lgkmcnt(0)
	v_lshlrev_b32_e32 v6, 2, v13
	s_barrier
	buffer_gl0_inv
	s_and_saveexec_b32 s3, s2
; %bb.271:
	ds_read_b32 v1, v6 offset:256
; %bb.272:
	s_or_b32 exec_lo, exec_lo, s3
	v_xor_b32_e32 v8, 2, v10
	v_xor_b32_e32 v15, 1, v10
	v_lshlrev_b32_e32 v2, 2, v2
	v_cmp_lt_i32_e64 s3, v8, v12
	v_cndmask_b32_e64 v8, v10, v8, s3
	v_cmp_lt_i32_e64 s3, v15, v12
	v_lshlrev_b32_e32 v8, 2, v8
	v_cndmask_b32_e64 v12, v10, v15, s3
	s_lshl_b32 s3, s16, 3
	s_min_i32 s5, s3, s11
	s_waitcnt lgkmcnt(0)
	ds_bpermute_b32 v14, v8, v1
	v_max_f32_e32 v1, v1, v1
	v_lshlrev_b32_e32 v12, 2, v12
	v_cmp_gt_i32_e64 s3, s5, v0
	s_waitcnt lgkmcnt(0)
	v_max_f32_e32 v14, v14, v14
	v_max_f32_e32 v1, v1, v14
	ds_bpermute_b32 v14, v12, v1
	s_waitcnt lgkmcnt(0)
	v_max_f32_e32 v14, v14, v14
	v_max_f32_e32 v1, v1, v14
	ds_bpermute_b32 v14, v2, v1
	v_mov_b32_e32 v2, 0
	v_lshl_add_u32 v1, v0, 2, 0x120
	s_and_saveexec_b32 s12, s3
	s_cbranch_execz .LBB249_276
; %bb.273:
	v_lshl_add_u32 v15, v0, 2, 0x120
	v_mov_b32_e32 v2, 0
	v_mov_b32_e32 v16, v0
	s_mov_b32 s13, 0
	.p2align	6
.LBB249_274:                            ; =>This Inner Loop Header: Depth=1
	ds_read_b32 v17, v15
	v_add_nc_u32_e32 v16, 0x80, v16
	v_cmp_le_i32_e64 s4, s5, v16
	s_or_b32 s13, s4, s13
	s_waitcnt lgkmcnt(0)
	v_sub_f32_e32 v17, v17, v14
	v_mul_f32_e32 v17, 0x3fb8aa3b, v17
	v_exp_f32_e32 v17, v17
	ds_write_b32 v15, v17
	v_add_f32_e32 v2, v2, v17
	v_add_nc_u32_e32 v15, 0x200, v15
	s_andn2_b32 exec_lo, exec_lo, s13
	s_cbranch_execnz .LBB249_274
; %bb.275:
	s_or_b32 exec_lo, exec_lo, s13
.LBB249_276:
	s_or_b32 exec_lo, exec_lo, s12
	ds_bpermute_b32 v3, v3, v2
	s_waitcnt lgkmcnt(0)
	v_add_f32_e32 v2, v2, v3
	ds_bpermute_b32 v3, v4, v2
	s_waitcnt lgkmcnt(0)
	v_add_f32_e32 v2, v2, v3
	;; [unrolled: 3-line block ×5, first 2 shown]
	s_and_saveexec_b32 s4, vcc_lo
; %bb.277:
	ds_write_b32 v5, v2 offset:272
; %bb.278:
	s_or_b32 exec_lo, exec_lo, s4
	s_waitcnt lgkmcnt(0)
	s_barrier
	buffer_gl0_inv
	s_and_saveexec_b32 s4, s2
; %bb.279:
	ds_read_b32 v2, v6 offset:272
; %bb.280:
	s_or_b32 exec_lo, exec_lo, s4
	s_waitcnt lgkmcnt(0)
	ds_bpermute_b32 v3, v8, v2
	v_lshlrev_b32_e32 v4, 2, v10
	s_waitcnt lgkmcnt(0)
	v_add_f32_e32 v2, v2, v3
	ds_bpermute_b32 v3, v12, v2
	s_waitcnt lgkmcnt(0)
	v_add_f32_e32 v2, v2, v3
	v_and_b32_e32 v3, 0xffffff80, v4
	ds_bpermute_b32 v2, v3, v2
	s_and_saveexec_b32 s2, s3
	s_cbranch_execz .LBB249_283
; %bb.281:
	s_waitcnt lgkmcnt(0)
	v_add_f32_e32 v2, 0x358637bd, v2
	s_mov_b32 s3, 0
	v_div_scale_f32 v3, null, v2, v2, 1.0
	v_div_scale_f32 v6, vcc_lo, 1.0, v2, 1.0
	v_rcp_f32_e32 v4, v3
	v_fma_f32 v5, -v3, v4, 1.0
	v_fmac_f32_e32 v4, v5, v4
	v_mul_f32_e32 v5, v6, v4
	v_fma_f32 v7, -v3, v5, v6
	v_fmac_f32_e32 v5, v7, v4
	v_fma_f32 v3, -v3, v5, v6
	v_div_fmas_f32 v3, v3, v4, v5
	v_div_fixup_f32 v2, v3, v2, 1.0
	v_mov_b32_e32 v3, v0
.LBB249_282:                            ; =>This Inner Loop Header: Depth=1
	ds_read_b32 v4, v1
	v_add_nc_u32_e32 v3, 0x80, v3
	v_cmp_le_i32_e32 vcc_lo, s5, v3
	s_or_b32 s3, vcc_lo, s3
	s_waitcnt lgkmcnt(0)
	v_mul_f32_e32 v4, v2, v4
	ds_write_b32 v1, v4
	v_add_nc_u32_e32 v1, 0x200, v1
	s_andn2_b32 exec_lo, exec_lo, s3
	s_cbranch_execnz .LBB249_282
.LBB249_283:
	s_or_b32 exec_lo, exec_lo, s2
	v_mov_b32_e32 v16, 0
	v_mov_b32_e32 v15, 0
	;; [unrolled: 1-line block ×4, first 2 shown]
	s_waitcnt lgkmcnt(0)
	s_barrier
	buffer_gl0_inv
	s_and_saveexec_b32 s4, s1
	s_cbranch_execz .LBB249_551
; %bb.284:
	v_lshlrev_b32_e32 v1, 3, v13
	s_ashr_i32 s1, s18, 31
	s_add_u32 s2, s26, s18
	s_addc_u32 s1, s27, s1
	s_add_i32 s12, s16, -1
	v_add_co_u32 v3, s2, s2, v1
	v_and_b32_e32 v1, 0x7c, v9
	v_add_co_ci_u32_e64 v4, null, s1, 0, s2
	s_lshl_b64 s[2:3], s[24:25], 2
	v_mov_b32_e32 v2, 0
	s_add_u32 s1, s22, s2
	s_addc_u32 s2, s23, s3
	v_add_co_u32 v5, s1, s1, v1
	v_lshl_or_b32 v17, v11, 3, 7
	v_lshl_add_u32 v18, v11, 5, 0x120
	v_add_co_ci_u32_e64 v6, null, s2, 0, s1
	v_mov_b32_e32 v19, 0x80
	v_mov_b32_e32 v20, 0x7f
	;; [unrolled: 1-line block ×9, first 2 shown]
	s_mov_b32 s2, -1
	s_mov_b32 s5, s17
	s_mov_b32 s3, 0xffffff
	;; [unrolled: 1-line block ×3, first 2 shown]
	s_branch .LBB249_286
.LBB249_285:                            ;   in Loop: Header=BB249_286 Depth=1
	s_or_b32 exec_lo, exec_lo, s1
	;;#ASMSTART
	v_pk_mul_f16 v1, v35, v41;

	;;#ASMEND
	;;#ASMSTART
	v_pk_mul_f16 v7, v33, v7;

	;;#ASMEND
	;; [unrolled: 4-line block ×4, first 2 shown]
	;;#ASMSTART
	v_pk_add_f16 v1, v1, v7;

	;;#ASMEND
	;;#ASMSTART
	v_pk_add_f16 v1, v1, v8;

	;;#ASMEND
	;; [unrolled: 4-line block ×3, first 2 shown]
	v_add_nc_u32_e32 v23, 4, v23
	v_and_b32_e32 v24, 0xffff, v1
	v_lshrrev_b32_e32 v25, 16, v1
	v_add_f32_e32 v1, v9, v10
	;;#ASMSTART
	v_cvt_f32_f16 v9, v24;
	;;#ASMEND
	v_add_f32_e32 v7, v37, v38
	v_add_f32_e32 v8, v34, v36
	;;#ASMSTART
	v_cvt_f32_f16 v10, v25;
	;;#ASMEND
	v_add_f32_e32 v9, v9, v10
	v_cmp_le_i32_e32 vcc_lo, s16, v23
	v_add_co_u32 v5, s1, v5, 16
	v_add_f32_e32 v14, v14, v1
	v_add_f32_e32 v15, v15, v7
	;; [unrolled: 1-line block ×4, first 2 shown]
	v_add_nc_u32_e32 v17, 32, v17
	v_add_nc_u32_e32 v18, 0x80, v18
	v_add_co_ci_u32_e64 v6, null, 0, v6, s1
	s_or_b32 s13, vcc_lo, s13
	s_andn2_b32 exec_lo, exec_lo, s13
	s_cbranch_execz .LBB249_550
.LBB249_286:                            ; =>This Inner Loop Header: Depth=1
	global_load_dword v1, v[5:6], off
	ds_read2_b64 v[24:27], v18 offset1:1
	ds_read2_b64 v[37:40], v18 offset0:2 offset1:3
	s_waitcnt lgkmcnt(1)
	;;#ASMSTART
	v_cvt_f16_f32 v31, v24;

	;;#ASMEND
	;;#ASMSTART
	v_cvt_f16_f32 v32, v25;

	;;#ASMEND
	;;#ASMSTART
	v_cvt_f16_f32 v35, v26;

	;;#ASMEND
	;;#ASMSTART
	v_cvt_f16_f32 v33, v27;

	;;#ASMEND
	s_waitcnt lgkmcnt(0)
	;;#ASMSTART
	v_cvt_f16_f32 v37, v37;

	;;#ASMEND
	;;#ASMSTART
	v_cvt_f16_f32 v34, v38;

	;;#ASMEND
	;; [unrolled: 4-line block ×4, first 2 shown]
	v_mov_b32_e32 v26, 0
	s_waitcnt vmcnt(0)
	v_mad_i64_i32 v[7:8], null, v1, s5, v[3:4]
	global_load_dwordx2 v[9:10], v[7:8], off
	global_load_dword v25, v2, s[14:15]
	s_waitcnt vmcnt(1)
	v_cmp_ne_u16_sdwa s17, v9, v2 src0_sel:BYTE_0 src1_sel:DWORD
	s_and_saveexec_b32 s1, s17
	s_cbranch_execz .LBB249_294
; %bb.287:                              ;   in Loop: Header=BB249_286 Depth=1
	v_cmp_ne_u16_sdwa s18, v9, v19 src0_sel:BYTE_0 src1_sel:DWORD
	v_mov_b32_e32 v26, 0x8000
	s_and_saveexec_b32 s17, s18
	s_cbranch_execz .LBB249_293
; %bb.288:                              ;   in Loop: Header=BB249_286 Depth=1
	v_and_b32_e32 v27, 0x7f, v9
	v_mov_b32_e32 v26, 0x7c01
	s_mov_b32 s18, exec_lo
	v_cmpx_ne_u32_e32 0x7f, v27
	s_cbranch_execz .LBB249_292
; %bb.289:                              ;   in Loop: Header=BB249_286 Depth=1
	v_and_b32_e32 v1, 7, v9
	v_lshrrev_b32_e32 v24, 3, v27
	s_mov_b32 s19, exec_lo
	v_cmpx_gt_u32_e32 8, v27
; %bb.290:                              ;   in Loop: Header=BB249_286 Depth=1
	v_ffbh_u32_e32 v1, v1
	v_min_u32_e32 v1, 32, v1
	v_subrev_nc_u32_e32 v24, 28, v1
	v_lshlrev_b64 v[26:27], v24, v[9:10]
	v_sub_nc_u32_e32 v24, 29, v1
	v_and_b32_e32 v1, 7, v26
; %bb.291:                              ;   in Loop: Header=BB249_286 Depth=1
	s_or_b32 exec_lo, exec_lo, s19
	v_lshlrev_b32_e32 v26, 8, v9
	v_lshl_add_u32 v24, v24, 10, 0x2000
	v_lshlrev_b32_e32 v1, 7, v1
	v_and_b32_e32 v26, 0x8000, v26
	v_and_b32_e32 v24, 0xfc00, v24
	v_or3_b32 v26, v26, v24, v1
.LBB249_292:                            ;   in Loop: Header=BB249_286 Depth=1
	s_or_b32 exec_lo, exec_lo, s18
.LBB249_293:                            ;   in Loop: Header=BB249_286 Depth=1
	s_or_b32 exec_lo, exec_lo, s17
.LBB249_294:                            ;   in Loop: Header=BB249_286 Depth=1
	s_or_b32 exec_lo, exec_lo, s1
	v_lshrrev_b16 v1, 8, v9
	v_mov_b32_e32 v24, 0
	v_mov_b32_e32 v27, 0
	s_mov_b32 s1, exec_lo
	v_cmpx_ne_u16_e32 0, v1
	s_cbranch_execz .LBB249_302
; %bb.295:                              ;   in Loop: Header=BB249_286 Depth=1
	v_bfrev_b32_e32 v27, 1
	s_mov_b32 s17, exec_lo
	v_cmpx_ne_u16_e32 0x80, v1
	s_cbranch_execz .LBB249_301
; %bb.296:                              ;   in Loop: Header=BB249_286 Depth=1
	v_and_b32_sdwa v29, v1, v20 dst_sel:DWORD dst_unused:UNUSED_PAD src0_sel:WORD_0 src1_sel:DWORD
	v_mov_b32_e32 v27, 0x7c010000
	s_mov_b32 s18, exec_lo
	v_cmpx_ne_u32_e32 0x7f, v29
	s_cbranch_execz .LBB249_300
; %bb.297:                              ;   in Loop: Header=BB249_286 Depth=1
	v_and_b32_sdwa v27, v1, v21 dst_sel:DWORD dst_unused:UNUSED_PAD src0_sel:WORD_0 src1_sel:DWORD
	v_lshrrev_b32_e32 v28, 3, v29
	s_mov_b32 s19, exec_lo
	v_cmpx_gt_u32_e32 8, v29
; %bb.298:                              ;   in Loop: Header=BB249_286 Depth=1
	v_ffbh_u32_e32 v27, v27
	v_min_u32_e32 v29, 32, v27
	v_subrev_nc_u32_e32 v27, 28, v29
	v_lshlrev_b64 v[27:28], v27, v[1:2]
	v_sub_nc_u32_e32 v28, 29, v29
	v_and_b32_e32 v27, 7, v27
; %bb.299:                              ;   in Loop: Header=BB249_286 Depth=1
	s_or_b32 exec_lo, exec_lo, s19
	v_lshlrev_b32_sdwa v1, v22, v1 dst_sel:DWORD dst_unused:UNUSED_PAD src0_sel:DWORD src1_sel:WORD_0
	v_lshl_add_u32 v28, v28, 10, 0x2000
	v_lshlrev_b32_e32 v27, 23, v27
	v_and_or_b32 v1, 0x8000, v1, v28
	v_lshl_or_b32 v27, v1, 16, v27
.LBB249_300:                            ;   in Loop: Header=BB249_286 Depth=1
	s_or_b32 exec_lo, exec_lo, s18
.LBB249_301:                            ;   in Loop: Header=BB249_286 Depth=1
	s_or_b32 exec_lo, exec_lo, s17
.LBB249_302:                            ;   in Loop: Header=BB249_286 Depth=1
	s_or_b32 exec_lo, exec_lo, s1
	v_lshrrev_b32_e32 v1, 16, v9
	v_cmp_ne_u16_sdwa s17, v1, v2 src0_sel:BYTE_0 src1_sel:DWORD
	s_and_saveexec_b32 s1, s17
	s_cbranch_execz .LBB249_310
; %bb.303:                              ;   in Loop: Header=BB249_286 Depth=1
	v_cmp_ne_u16_sdwa s18, v1, v19 src0_sel:BYTE_0 src1_sel:DWORD
	v_mov_b32_e32 v24, 0x8000
	s_and_saveexec_b32 s17, s18
	s_cbranch_execz .LBB249_309
; %bb.304:                              ;   in Loop: Header=BB249_286 Depth=1
	v_bfe_u32 v29, v9, 16, 7
	v_mov_b32_e32 v24, 0x7c01
	s_mov_b32 s18, exec_lo
	v_cmpx_ne_u32_e32 0x7f, v29
	s_cbranch_execz .LBB249_308
; %bb.305:                              ;   in Loop: Header=BB249_286 Depth=1
	v_and_b32_e32 v24, 7, v1
	v_lshrrev_b32_e32 v28, 3, v29
	s_mov_b32 s19, exec_lo
	v_cmpx_gt_u32_e32 8, v29
; %bb.306:                              ;   in Loop: Header=BB249_286 Depth=1
	v_ffbh_u32_e32 v24, v24
	v_min_u32_e32 v24, 32, v24
	v_subrev_nc_u32_e32 v28, 28, v24
	v_lshlrev_b64 v[29:30], v28, v[1:2]
	v_sub_nc_u32_e32 v28, 29, v24
	v_and_b32_e32 v24, 7, v29
; %bb.307:                              ;   in Loop: Header=BB249_286 Depth=1
	s_or_b32 exec_lo, exec_lo, s19
	v_lshlrev_b32_e32 v1, 8, v1
	v_lshl_add_u32 v28, v28, 10, 0x2000
	v_lshlrev_b32_e32 v24, 7, v24
	v_and_b32_e32 v1, 0x8000, v1
	v_and_b32_e32 v28, 0xfc00, v28
	v_or3_b32 v24, v1, v28, v24
.LBB249_308:                            ;   in Loop: Header=BB249_286 Depth=1
	s_or_b32 exec_lo, exec_lo, s18
.LBB249_309:                            ;   in Loop: Header=BB249_286 Depth=1
	s_or_b32 exec_lo, exec_lo, s17
.LBB249_310:                            ;   in Loop: Header=BB249_286 Depth=1
	s_or_b32 exec_lo, exec_lo, s1
	v_mov_b32_e32 v28, 0
	v_mov_b32_e32 v29, 0
	s_mov_b32 s1, exec_lo
	v_cmpx_lt_u32_e32 0xffffff, v9
	s_cbranch_execz .LBB249_318
; %bb.311:                              ;   in Loop: Header=BB249_286 Depth=1
	v_lshrrev_b32_e32 v1, 24, v9
	v_bfrev_b32_e32 v29, 1
	s_mov_b32 s17, exec_lo
	v_cmpx_ne_u32_e32 0x80, v1
	s_cbranch_execz .LBB249_317
; %bb.312:                              ;   in Loop: Header=BB249_286 Depth=1
	v_and_b32_e32 v39, 0x7f, v1
	v_mov_b32_e32 v29, 0x7c010000
	s_mov_b32 s18, exec_lo
	v_cmpx_ne_u32_e32 0x7f, v39
	s_cbranch_execz .LBB249_316
; %bb.313:                              ;   in Loop: Header=BB249_286 Depth=1
	v_and_b32_e32 v29, 7, v1
	v_lshrrev_b32_e32 v30, 3, v39
	s_mov_b32 s19, exec_lo
	v_cmpx_gt_u32_e32 8, v39
; %bb.314:                              ;   in Loop: Header=BB249_286 Depth=1
	v_ffbh_u32_e32 v29, v29
	v_min_u32_e32 v39, 32, v29
	v_subrev_nc_u32_e32 v29, 28, v39
	v_lshlrev_b64 v[29:30], v29, v[1:2]
	v_sub_nc_u32_e32 v30, 29, v39
	v_and_b32_e32 v29, 7, v29
; %bb.315:                              ;   in Loop: Header=BB249_286 Depth=1
	s_or_b32 exec_lo, exec_lo, s19
	v_lshlrev_b32_e32 v1, 8, v1
	v_lshl_add_u32 v30, v30, 10, 0x2000
	v_lshlrev_b32_e32 v29, 23, v29
	v_and_or_b32 v1, 0x8000, v1, v30
	v_lshl_or_b32 v29, v1, 16, v29
.LBB249_316:                            ;   in Loop: Header=BB249_286 Depth=1
	s_or_b32 exec_lo, exec_lo, s18
.LBB249_317:                            ;   in Loop: Header=BB249_286 Depth=1
	s_or_b32 exec_lo, exec_lo, s17
.LBB249_318:                            ;   in Loop: Header=BB249_286 Depth=1
	s_or_b32 exec_lo, exec_lo, s1
	v_mov_b32_e32 v1, v10
	v_cmp_ne_u16_sdwa s17, v10, v2 src0_sel:BYTE_0 src1_sel:DWORD
	s_and_saveexec_b32 s1, s17
	s_cbranch_execz .LBB249_326
; %bb.319:                              ;   in Loop: Header=BB249_286 Depth=1
	v_cmp_ne_u16_sdwa s18, v10, v19 src0_sel:BYTE_0 src1_sel:DWORD
	v_mov_b32_e32 v28, 0x8000
	s_and_saveexec_b32 s17, s18
	s_cbranch_execz .LBB249_325
; %bb.320:                              ;   in Loop: Header=BB249_286 Depth=1
	v_and_b32_e32 v39, 0x7f, v10
	v_mov_b32_e32 v28, 0x7c01
	s_mov_b32 s18, exec_lo
	v_cmpx_ne_u32_e32 0x7f, v39
	s_cbranch_execz .LBB249_324
; %bb.321:                              ;   in Loop: Header=BB249_286 Depth=1
	v_and_b32_e32 v28, 7, v10
	v_lshrrev_b32_e32 v30, 3, v39
	s_mov_b32 s19, exec_lo
	v_cmpx_gt_u32_e32 8, v39
; %bb.322:                              ;   in Loop: Header=BB249_286 Depth=1
	v_ffbh_u32_e32 v28, v28
	v_min_u32_e32 v28, 32, v28
	v_subrev_nc_u32_e32 v30, 28, v28
	v_lshlrev_b64 v[39:40], v30, v[1:2]
	v_sub_nc_u32_e32 v30, 29, v28
	v_and_b32_e32 v28, 7, v39
; %bb.323:                              ;   in Loop: Header=BB249_286 Depth=1
	s_or_b32 exec_lo, exec_lo, s19
	v_lshlrev_b32_e32 v39, 8, v10
	v_lshl_add_u32 v30, v30, 10, 0x2000
	v_lshlrev_b32_e32 v28, 7, v28
	v_and_b32_e32 v39, 0x8000, v39
	v_and_b32_e32 v30, 0xfc00, v30
	v_or3_b32 v28, v39, v30, v28
.LBB249_324:                            ;   in Loop: Header=BB249_286 Depth=1
	s_or_b32 exec_lo, exec_lo, s18
.LBB249_325:                            ;   in Loop: Header=BB249_286 Depth=1
	s_or_b32 exec_lo, exec_lo, s17
.LBB249_326:                            ;   in Loop: Header=BB249_286 Depth=1
	s_or_b32 exec_lo, exec_lo, s1
	v_lshrrev_b16 v1, 8, v1
	v_mov_b32_e32 v39, 0
	v_mov_b32_e32 v30, 0
	s_mov_b32 s1, exec_lo
	v_cmpx_ne_u16_e32 0, v1
	s_cbranch_execz .LBB249_334
; %bb.327:                              ;   in Loop: Header=BB249_286 Depth=1
	v_bfrev_b32_e32 v30, 1
	s_mov_b32 s17, exec_lo
	v_cmpx_ne_u16_e32 0x80, v1
	s_cbranch_execz .LBB249_333
; %bb.328:                              ;   in Loop: Header=BB249_286 Depth=1
	v_and_b32_sdwa v41, v1, v20 dst_sel:DWORD dst_unused:UNUSED_PAD src0_sel:WORD_0 src1_sel:DWORD
	v_mov_b32_e32 v30, 0x7c010000
	s_mov_b32 s18, exec_lo
	v_cmpx_ne_u32_e32 0x7f, v41
	s_cbranch_execz .LBB249_332
; %bb.329:                              ;   in Loop: Header=BB249_286 Depth=1
	v_and_b32_sdwa v30, v1, v21 dst_sel:DWORD dst_unused:UNUSED_PAD src0_sel:WORD_0 src1_sel:DWORD
	v_lshrrev_b32_e32 v40, 3, v41
	s_mov_b32 s19, exec_lo
	v_cmpx_gt_u32_e32 8, v41
; %bb.330:                              ;   in Loop: Header=BB249_286 Depth=1
	v_ffbh_u32_e32 v30, v30
	v_min_u32_e32 v30, 32, v30
	v_subrev_nc_u32_e32 v40, 28, v30
	v_lshlrev_b64 v[41:42], v40, v[1:2]
	v_sub_nc_u32_e32 v40, 29, v30
	v_and_b32_e32 v30, 7, v41
; %bb.331:                              ;   in Loop: Header=BB249_286 Depth=1
	s_or_b32 exec_lo, exec_lo, s19
	v_lshlrev_b32_sdwa v1, v22, v1 dst_sel:DWORD dst_unused:UNUSED_PAD src0_sel:DWORD src1_sel:WORD_0
	v_lshl_add_u32 v40, v40, 10, 0x2000
	v_lshlrev_b32_e32 v30, 23, v30
	v_and_or_b32 v1, 0x8000, v1, v40
	v_lshl_or_b32 v30, v1, 16, v30
.LBB249_332:                            ;   in Loop: Header=BB249_286 Depth=1
	s_or_b32 exec_lo, exec_lo, s18
.LBB249_333:                            ;   in Loop: Header=BB249_286 Depth=1
	s_or_b32 exec_lo, exec_lo, s17
.LBB249_334:                            ;   in Loop: Header=BB249_286 Depth=1
	s_or_b32 exec_lo, exec_lo, s1
	v_lshrrev_b32_e32 v1, 16, v10
	v_cmp_ne_u16_sdwa s17, v1, v2 src0_sel:BYTE_0 src1_sel:DWORD
	s_and_saveexec_b32 s1, s17
	s_cbranch_execz .LBB249_342
; %bb.335:                              ;   in Loop: Header=BB249_286 Depth=1
	v_cmp_ne_u16_sdwa s18, v1, v19 src0_sel:BYTE_0 src1_sel:DWORD
	v_mov_b32_e32 v39, 0x8000
	s_and_saveexec_b32 s17, s18
	s_cbranch_execz .LBB249_341
; %bb.336:                              ;   in Loop: Header=BB249_286 Depth=1
	v_bfe_u32 v41, v10, 16, 7
	v_mov_b32_e32 v39, 0x7c01
	s_mov_b32 s18, exec_lo
	v_cmpx_ne_u32_e32 0x7f, v41
	s_cbranch_execz .LBB249_340
; %bb.337:                              ;   in Loop: Header=BB249_286 Depth=1
	v_and_b32_e32 v39, 7, v1
	v_lshrrev_b32_e32 v40, 3, v41
	s_mov_b32 s19, exec_lo
	v_cmpx_gt_u32_e32 8, v41
; %bb.338:                              ;   in Loop: Header=BB249_286 Depth=1
	v_ffbh_u32_e32 v39, v39
	v_min_u32_e32 v41, 32, v39
	v_subrev_nc_u32_e32 v39, 28, v41
	v_lshlrev_b64 v[39:40], v39, v[1:2]
	v_sub_nc_u32_e32 v40, 29, v41
	v_and_b32_e32 v39, 7, v39
; %bb.339:                              ;   in Loop: Header=BB249_286 Depth=1
	s_or_b32 exec_lo, exec_lo, s19
	v_lshlrev_b32_e32 v1, 8, v1
	v_lshl_add_u32 v40, v40, 10, 0x2000
	v_lshlrev_b32_e32 v39, 7, v39
	v_and_b32_e32 v1, 0x8000, v1
	v_and_b32_e32 v40, 0xfc00, v40
	v_or3_b32 v39, v1, v40, v39
.LBB249_340:                            ;   in Loop: Header=BB249_286 Depth=1
	s_or_b32 exec_lo, exec_lo, s18
.LBB249_341:                            ;   in Loop: Header=BB249_286 Depth=1
	s_or_b32 exec_lo, exec_lo, s17
.LBB249_342:                            ;   in Loop: Header=BB249_286 Depth=1
	s_or_b32 exec_lo, exec_lo, s1
	v_cmp_lt_u64_e32 vcc_lo, s[2:3], v[9:10]
	v_mov_b32_e32 v9, 0
	s_and_saveexec_b32 s1, vcc_lo
	s_cbranch_execz .LBB249_350
; %bb.343:                              ;   in Loop: Header=BB249_286 Depth=1
	v_lshrrev_b32_e32 v1, 24, v10
	v_bfrev_b32_e32 v9, 1
	s_mov_b32 s17, exec_lo
	v_cmpx_ne_u32_e32 0x80, v1
	s_cbranch_execz .LBB249_349
; %bb.344:                              ;   in Loop: Header=BB249_286 Depth=1
	v_and_b32_e32 v40, 0x7f, v1
	v_mov_b32_e32 v9, 0x7c010000
	s_mov_b32 s18, exec_lo
	v_cmpx_ne_u32_e32 0x7f, v40
	s_cbranch_execz .LBB249_348
; %bb.345:                              ;   in Loop: Header=BB249_286 Depth=1
	v_and_b32_e32 v9, 7, v1
	v_lshrrev_b32_e32 v10, 3, v40
	s_mov_b32 s19, exec_lo
	v_cmpx_gt_u32_e32 8, v40
; %bb.346:                              ;   in Loop: Header=BB249_286 Depth=1
	v_ffbh_u32_e32 v9, v9
	v_min_u32_e32 v40, 32, v9
	v_subrev_nc_u32_e32 v9, 28, v40
	v_lshlrev_b64 v[9:10], v9, v[1:2]
	v_sub_nc_u32_e32 v10, 29, v40
	v_and_b32_e32 v9, 7, v9
; %bb.347:                              ;   in Loop: Header=BB249_286 Depth=1
	s_or_b32 exec_lo, exec_lo, s19
	v_lshlrev_b32_e32 v1, 8, v1
	v_lshl_add_u32 v10, v10, 10, 0x2000
	v_lshlrev_b32_e32 v9, 23, v9
	v_and_or_b32 v1, 0x8000, v1, v10
	v_lshl_or_b32 v9, v1, 16, v9
.LBB249_348:                            ;   in Loop: Header=BB249_286 Depth=1
	s_or_b32 exec_lo, exec_lo, s18
.LBB249_349:                            ;   in Loop: Header=BB249_286 Depth=1
	s_or_b32 exec_lo, exec_lo, s17
.LBB249_350:                            ;   in Loop: Header=BB249_286 Depth=1
	s_or_b32 exec_lo, exec_lo, s1
	v_or_b32_e32 v1, v29, v24
	s_waitcnt vmcnt(0)
	v_fma_mixlo_f16 v10, v25, v29, 0 op_sel:[0,1,0] op_sel_hi:[0,1,0]
	v_or_b32_e32 v26, v27, v26
	v_fma_mixlo_f16 v27, v25, v27, 0 op_sel:[0,1,0] op_sel_hi:[0,1,0]
	v_or_b32_e32 v28, v30, v28
	v_fma_mixlo_f16 v1, v25, v1, 0 op_sel_hi:[0,1,0]
	v_or_b32_e32 v29, v9, v39
	v_fma_mixlo_f16 v9, v25, v9, 0 op_sel:[0,1,0] op_sel_hi:[0,1,0]
	v_lshlrev_b32_e32 v45, 16, v27
	v_fma_mixlo_f16 v27, v25, v28, 0 op_sel_hi:[0,1,0]
	v_and_b32_e32 v42, 0xffff, v1
	v_fma_mixlo_f16 v1, v25, v26, 0 op_sel_hi:[0,1,0]
	v_fma_mixlo_f16 v26, v25, v30, 0 op_sel:[0,1,0] op_sel_hi:[0,1,0]
	v_fma_mixlo_f16 v25, v25, v29, 0 op_sel_hi:[0,1,0]
	v_lshlrev_b32_e32 v10, 16, v10
	v_and_b32_e32 v46, 0xffff, v27
	v_and_b32_e32 v47, 0xffff, v1
	v_lshlrev_b32_e32 v43, 16, v26
	v_lshlrev_b32_e32 v40, 16, v9
	v_and_b32_e32 v44, 0xffff, v25
	v_add_nc_u32_e32 v24, -7, v17
	v_cmp_eq_u32_e32 vcc_lo, s12, v23
	v_or_b32_e32 v1, v10, v42
	v_or_b32_e32 v9, v45, v47
	v_or_b32_e32 v39, v43, v46
	v_or_b32_e32 v41, v40, v44
	v_add_nc_u32_e32 v30, -6, v17
	v_add_nc_u32_e32 v29, -5, v17
	;; [unrolled: 1-line block ×6, first 2 shown]
	s_and_saveexec_b32 s17, vcc_lo
	s_cbranch_execz .LBB249_352
; %bb.351:                              ;   in Loop: Header=BB249_286 Depth=1
	v_cmp_gt_i32_e64 s1, s11, v24
	v_cndmask_b32_e64 v1, 0, v47, s1
	v_cmp_gt_i32_e64 s1, s11, v30
	v_cndmask_b32_e64 v9, 0, v45, s1
	v_cmp_gt_i32_e64 s1, s11, v29
	v_or_b32_e32 v9, v9, v1
	v_cndmask_b32_e64 v39, 0, v42, s1
	v_cmp_gt_i32_e64 s1, s11, v28
	v_cndmask_b32_e64 v10, 0, v10, s1
	v_cmp_gt_i32_e64 s1, s11, v27
	v_or_b32_e32 v1, v10, v39
	;; [unrolled: 5-line block ×3, first 2 shown]
	v_cndmask_b32_e64 v43, 0, v44, s1
	v_cmp_gt_i32_e64 s1, s11, v17
	v_cndmask_b32_e64 v40, 0, v40, s1
	v_or_b32_e32 v41, v40, v43
.LBB249_352:                            ;   in Loop: Header=BB249_286 Depth=1
	s_or_b32 exec_lo, exec_lo, s17
	v_and_b32_e32 v10, 0xffff, v31
	v_and_b32_e32 v31, 0xffff, v35
	;; [unrolled: 1-line block ×4, first 2 shown]
	v_lshl_or_b32 v35, v32, 16, v10
	v_lshl_or_b32 v33, v33, 16, v31
	;;#ASMSTART
	v_pk_mul_f16 v9, v35, v9;

	;;#ASMEND
	;;#ASMSTART
	v_pk_mul_f16 v1, v33, v1;

	;;#ASMEND
	v_lshl_or_b32 v32, v34, 16, v37
	v_lshl_or_b32 v31, v36, 16, v38
	;;#ASMSTART
	v_pk_mul_f16 v10, v32, v39;

	;;#ASMEND
	;;#ASMSTART
	v_pk_mul_f16 v34, v31, v41;

	;;#ASMEND
	;;#ASMSTART
	v_pk_add_f16 v1, v9, v1;

	;;#ASMEND
	;;#ASMSTART
	v_pk_add_f16 v1, v1, v10;
	;; [unrolled: 4-line block ×3, first 2 shown]

	;;#ASMEND
	v_and_b32_e32 v9, 0xffff, v1
	v_lshrrev_b32_e32 v1, 16, v1
	;;#ASMSTART
	v_cvt_f32_f16 v34, v9;
	;;#ASMEND
	;;#ASMSTART
	v_cvt_f32_f16 v36, v1;
	;;#ASMEND
	global_load_dwordx2 v[9:10], v[7:8], off offset:256
	v_mov_b32_e32 v38, 0
	v_mov_b32_e32 v39, 0
	global_load_dword v37, v38, s[14:15]
	s_waitcnt vmcnt(1)
	v_cmp_ne_u16_sdwa s1, v9, v2 src0_sel:BYTE_0 src1_sel:DWORD
	s_and_saveexec_b32 s17, s1
	s_cbranch_execz .LBB249_360
; %bb.353:                              ;   in Loop: Header=BB249_286 Depth=1
	v_cmp_ne_u16_sdwa s1, v9, v19 src0_sel:BYTE_0 src1_sel:DWORD
	v_mov_b32_e32 v39, 0x8000
	s_and_saveexec_b32 s18, s1
	s_cbranch_execz .LBB249_359
; %bb.354:                              ;   in Loop: Header=BB249_286 Depth=1
	v_and_b32_e32 v40, 0x7f, v9
	v_mov_b32_e32 v39, 0x7c01
	s_mov_b32 s19, exec_lo
	v_cmpx_ne_u32_e32 0x7f, v40
	s_cbranch_execz .LBB249_358
; %bb.355:                              ;   in Loop: Header=BB249_286 Depth=1
	v_and_b32_e32 v1, 7, v9
	v_lshrrev_b32_e32 v39, 3, v40
	s_mov_b32 s22, exec_lo
	v_cmpx_gt_u32_e32 8, v40
; %bb.356:                              ;   in Loop: Header=BB249_286 Depth=1
	v_ffbh_u32_e32 v1, v1
	v_min_u32_e32 v1, 32, v1
	v_subrev_nc_u32_e32 v39, 28, v1
	v_lshlrev_b64 v[40:41], v39, v[9:10]
	v_sub_nc_u32_e32 v39, 29, v1
	v_and_b32_e32 v1, 7, v40
; %bb.357:                              ;   in Loop: Header=BB249_286 Depth=1
	s_or_b32 exec_lo, exec_lo, s22
	v_lshlrev_b32_e32 v40, 8, v9
	v_lshl_add_u32 v39, v39, 10, 0x2000
	v_lshlrev_b32_e32 v1, 7, v1
	v_and_b32_e32 v40, 0x8000, v40
	v_and_b32_e32 v39, 0xfc00, v39
	v_or3_b32 v39, v40, v39, v1
.LBB249_358:                            ;   in Loop: Header=BB249_286 Depth=1
	s_or_b32 exec_lo, exec_lo, s19
.LBB249_359:                            ;   in Loop: Header=BB249_286 Depth=1
	s_or_b32 exec_lo, exec_lo, s18
.LBB249_360:                            ;   in Loop: Header=BB249_286 Depth=1
	s_or_b32 exec_lo, exec_lo, s17
	v_lshrrev_b16 v1, 8, v9
	s_mov_b32 s17, exec_lo
	v_cmpx_ne_u16_e32 0, v1
	s_cbranch_execz .LBB249_368
; %bb.361:                              ;   in Loop: Header=BB249_286 Depth=1
	v_bfrev_b32_e32 v38, 1
	s_mov_b32 s18, exec_lo
	v_cmpx_ne_u16_e32 0x80, v1
	s_cbranch_execz .LBB249_367
; %bb.362:                              ;   in Loop: Header=BB249_286 Depth=1
	v_and_b32_sdwa v41, v1, v20 dst_sel:DWORD dst_unused:UNUSED_PAD src0_sel:WORD_0 src1_sel:DWORD
	v_mov_b32_e32 v38, 0x7c010000
	s_mov_b32 s19, exec_lo
	v_cmpx_ne_u32_e32 0x7f, v41
	s_cbranch_execz .LBB249_366
; %bb.363:                              ;   in Loop: Header=BB249_286 Depth=1
	v_and_b32_sdwa v38, v1, v21 dst_sel:DWORD dst_unused:UNUSED_PAD src0_sel:WORD_0 src1_sel:DWORD
	v_lshrrev_b32_e32 v40, 3, v41
	s_mov_b32 s22, exec_lo
	v_cmpx_gt_u32_e32 8, v41
; %bb.364:                              ;   in Loop: Header=BB249_286 Depth=1
	v_ffbh_u32_e32 v38, v38
	v_min_u32_e32 v38, 32, v38
	v_subrev_nc_u32_e32 v40, 28, v38
	v_lshlrev_b64 v[41:42], v40, v[1:2]
	v_sub_nc_u32_e32 v40, 29, v38
	v_and_b32_e32 v38, 7, v41
; %bb.365:                              ;   in Loop: Header=BB249_286 Depth=1
	s_or_b32 exec_lo, exec_lo, s22
	v_lshlrev_b32_sdwa v1, v22, v1 dst_sel:DWORD dst_unused:UNUSED_PAD src0_sel:DWORD src1_sel:WORD_0
	v_lshl_add_u32 v40, v40, 10, 0x2000
	v_lshlrev_b32_e32 v38, 23, v38
	v_and_or_b32 v1, 0x8000, v1, v40
	v_lshl_or_b32 v38, v1, 16, v38
.LBB249_366:                            ;   in Loop: Header=BB249_286 Depth=1
	s_or_b32 exec_lo, exec_lo, s19
.LBB249_367:                            ;   in Loop: Header=BB249_286 Depth=1
	s_or_b32 exec_lo, exec_lo, s18
.LBB249_368:                            ;   in Loop: Header=BB249_286 Depth=1
	s_or_b32 exec_lo, exec_lo, s17
	v_lshrrev_b32_e32 v1, 16, v9
	v_mov_b32_e32 v40, 0
	v_mov_b32_e32 v41, 0
	v_cmp_ne_u16_sdwa s1, v1, v2 src0_sel:BYTE_0 src1_sel:DWORD
	s_and_saveexec_b32 s17, s1
	s_cbranch_execz .LBB249_376
; %bb.369:                              ;   in Loop: Header=BB249_286 Depth=1
	v_cmp_ne_u16_sdwa s1, v1, v19 src0_sel:BYTE_0 src1_sel:DWORD
	v_mov_b32_e32 v41, 0x8000
	s_and_saveexec_b32 s18, s1
	s_cbranch_execz .LBB249_375
; %bb.370:                              ;   in Loop: Header=BB249_286 Depth=1
	v_bfe_u32 v43, v9, 16, 7
	v_mov_b32_e32 v41, 0x7c01
	s_mov_b32 s19, exec_lo
	v_cmpx_ne_u32_e32 0x7f, v43
	s_cbranch_execz .LBB249_374
; %bb.371:                              ;   in Loop: Header=BB249_286 Depth=1
	v_and_b32_e32 v41, 7, v1
	v_lshrrev_b32_e32 v42, 3, v43
	s_mov_b32 s22, exec_lo
	v_cmpx_gt_u32_e32 8, v43
; %bb.372:                              ;   in Loop: Header=BB249_286 Depth=1
	v_ffbh_u32_e32 v41, v41
	v_min_u32_e32 v43, 32, v41
	v_subrev_nc_u32_e32 v41, 28, v43
	v_lshlrev_b64 v[41:42], v41, v[1:2]
	v_sub_nc_u32_e32 v42, 29, v43
	v_and_b32_e32 v41, 7, v41
; %bb.373:                              ;   in Loop: Header=BB249_286 Depth=1
	s_or_b32 exec_lo, exec_lo, s22
	v_lshlrev_b32_e32 v1, 8, v1
	v_lshl_add_u32 v42, v42, 10, 0x2000
	v_lshlrev_b32_e32 v41, 7, v41
	v_and_b32_e32 v1, 0x8000, v1
	v_and_b32_e32 v42, 0xfc00, v42
	v_or3_b32 v41, v1, v42, v41
.LBB249_374:                            ;   in Loop: Header=BB249_286 Depth=1
	s_or_b32 exec_lo, exec_lo, s19
.LBB249_375:                            ;   in Loop: Header=BB249_286 Depth=1
	s_or_b32 exec_lo, exec_lo, s18
.LBB249_376:                            ;   in Loop: Header=BB249_286 Depth=1
	s_or_b32 exec_lo, exec_lo, s17
	s_mov_b32 s17, exec_lo
	v_cmpx_lt_u32_e32 0xffffff, v9
	s_cbranch_execz .LBB249_384
; %bb.377:                              ;   in Loop: Header=BB249_286 Depth=1
	v_lshrrev_b32_e32 v1, 24, v9
	v_bfrev_b32_e32 v40, 1
	s_mov_b32 s18, exec_lo
	v_cmpx_ne_u32_e32 0x80, v1
	s_cbranch_execz .LBB249_383
; %bb.378:                              ;   in Loop: Header=BB249_286 Depth=1
	v_and_b32_e32 v43, 0x7f, v1
	v_mov_b32_e32 v40, 0x7c010000
	s_mov_b32 s19, exec_lo
	v_cmpx_ne_u32_e32 0x7f, v43
	s_cbranch_execz .LBB249_382
; %bb.379:                              ;   in Loop: Header=BB249_286 Depth=1
	v_and_b32_e32 v40, 7, v1
	v_lshrrev_b32_e32 v42, 3, v43
	s_mov_b32 s22, exec_lo
	v_cmpx_gt_u32_e32 8, v43
; %bb.380:                              ;   in Loop: Header=BB249_286 Depth=1
	v_ffbh_u32_e32 v40, v40
	v_min_u32_e32 v40, 32, v40
	v_subrev_nc_u32_e32 v42, 28, v40
	v_lshlrev_b64 v[43:44], v42, v[1:2]
	v_sub_nc_u32_e32 v42, 29, v40
	v_and_b32_e32 v40, 7, v43
; %bb.381:                              ;   in Loop: Header=BB249_286 Depth=1
	s_or_b32 exec_lo, exec_lo, s22
	v_lshlrev_b32_e32 v1, 8, v1
	v_lshl_add_u32 v42, v42, 10, 0x2000
	v_lshlrev_b32_e32 v40, 23, v40
	v_and_or_b32 v1, 0x8000, v1, v42
	v_lshl_or_b32 v40, v1, 16, v40
.LBB249_382:                            ;   in Loop: Header=BB249_286 Depth=1
	s_or_b32 exec_lo, exec_lo, s19
.LBB249_383:                            ;   in Loop: Header=BB249_286 Depth=1
	s_or_b32 exec_lo, exec_lo, s18
.LBB249_384:                            ;   in Loop: Header=BB249_286 Depth=1
	s_or_b32 exec_lo, exec_lo, s17
	v_mov_b32_e32 v1, v10
	v_cmp_ne_u16_sdwa s1, v10, v2 src0_sel:BYTE_0 src1_sel:DWORD
	v_mov_b32_e32 v42, 0
	v_mov_b32_e32 v43, 0
	s_and_saveexec_b32 s17, s1
	s_cbranch_execz .LBB249_392
; %bb.385:                              ;   in Loop: Header=BB249_286 Depth=1
	v_cmp_ne_u16_sdwa s1, v10, v19 src0_sel:BYTE_0 src1_sel:DWORD
	v_mov_b32_e32 v43, 0x8000
	s_and_saveexec_b32 s18, s1
	s_cbranch_execz .LBB249_391
; %bb.386:                              ;   in Loop: Header=BB249_286 Depth=1
	v_and_b32_e32 v45, 0x7f, v10
	v_mov_b32_e32 v43, 0x7c01
	s_mov_b32 s19, exec_lo
	v_cmpx_ne_u32_e32 0x7f, v45
	s_cbranch_execz .LBB249_390
; %bb.387:                              ;   in Loop: Header=BB249_286 Depth=1
	v_and_b32_e32 v43, 7, v10
	v_lshrrev_b32_e32 v44, 3, v45
	s_mov_b32 s22, exec_lo
	v_cmpx_gt_u32_e32 8, v45
; %bb.388:                              ;   in Loop: Header=BB249_286 Depth=1
	v_ffbh_u32_e32 v43, v43
	v_min_u32_e32 v45, 32, v43
	v_subrev_nc_u32_e32 v43, 28, v45
	v_lshlrev_b64 v[43:44], v43, v[1:2]
	v_sub_nc_u32_e32 v44, 29, v45
	v_and_b32_e32 v43, 7, v43
; %bb.389:                              ;   in Loop: Header=BB249_286 Depth=1
	s_or_b32 exec_lo, exec_lo, s22
	v_lshlrev_b32_e32 v45, 8, v10
	v_lshl_add_u32 v44, v44, 10, 0x2000
	v_lshlrev_b32_e32 v43, 7, v43
	v_and_b32_e32 v45, 0x8000, v45
	v_and_b32_e32 v44, 0xfc00, v44
	v_or3_b32 v43, v45, v44, v43
.LBB249_390:                            ;   in Loop: Header=BB249_286 Depth=1
	s_or_b32 exec_lo, exec_lo, s19
.LBB249_391:                            ;   in Loop: Header=BB249_286 Depth=1
	s_or_b32 exec_lo, exec_lo, s18
.LBB249_392:                            ;   in Loop: Header=BB249_286 Depth=1
	s_or_b32 exec_lo, exec_lo, s17
	v_lshrrev_b16 v1, 8, v1
	v_mov_b32_e32 v44, 0
	s_mov_b32 s17, exec_lo
	v_cmpx_ne_u16_e32 0, v1
	s_cbranch_execz .LBB249_400
; %bb.393:                              ;   in Loop: Header=BB249_286 Depth=1
	v_bfrev_b32_e32 v44, 1
	s_mov_b32 s18, exec_lo
	v_cmpx_ne_u16_e32 0x80, v1
	s_cbranch_execz .LBB249_399
; %bb.394:                              ;   in Loop: Header=BB249_286 Depth=1
	v_and_b32_sdwa v46, v1, v20 dst_sel:DWORD dst_unused:UNUSED_PAD src0_sel:WORD_0 src1_sel:DWORD
	v_mov_b32_e32 v44, 0x7c010000
	s_mov_b32 s19, exec_lo
	v_cmpx_ne_u32_e32 0x7f, v46
	s_cbranch_execz .LBB249_398
; %bb.395:                              ;   in Loop: Header=BB249_286 Depth=1
	v_and_b32_sdwa v44, v1, v21 dst_sel:DWORD dst_unused:UNUSED_PAD src0_sel:WORD_0 src1_sel:DWORD
	v_lshrrev_b32_e32 v45, 3, v46
	s_mov_b32 s22, exec_lo
	v_cmpx_gt_u32_e32 8, v46
; %bb.396:                              ;   in Loop: Header=BB249_286 Depth=1
	v_ffbh_u32_e32 v44, v44
	v_min_u32_e32 v46, 32, v44
	v_subrev_nc_u32_e32 v44, 28, v46
	v_lshlrev_b64 v[44:45], v44, v[1:2]
	v_sub_nc_u32_e32 v45, 29, v46
	v_and_b32_e32 v44, 7, v44
; %bb.397:                              ;   in Loop: Header=BB249_286 Depth=1
	s_or_b32 exec_lo, exec_lo, s22
	v_lshlrev_b32_sdwa v1, v22, v1 dst_sel:DWORD dst_unused:UNUSED_PAD src0_sel:DWORD src1_sel:WORD_0
	v_lshl_add_u32 v45, v45, 10, 0x2000
	v_lshlrev_b32_e32 v44, 23, v44
	v_and_or_b32 v1, 0x8000, v1, v45
	v_lshl_or_b32 v44, v1, 16, v44
.LBB249_398:                            ;   in Loop: Header=BB249_286 Depth=1
	s_or_b32 exec_lo, exec_lo, s19
.LBB249_399:                            ;   in Loop: Header=BB249_286 Depth=1
	s_or_b32 exec_lo, exec_lo, s18
.LBB249_400:                            ;   in Loop: Header=BB249_286 Depth=1
	s_or_b32 exec_lo, exec_lo, s17
	v_lshrrev_b32_e32 v1, 16, v10
	v_cmp_ne_u16_sdwa s1, v1, v2 src0_sel:BYTE_0 src1_sel:DWORD
	s_and_saveexec_b32 s17, s1
	s_cbranch_execz .LBB249_408
; %bb.401:                              ;   in Loop: Header=BB249_286 Depth=1
	v_cmp_ne_u16_sdwa s1, v1, v19 src0_sel:BYTE_0 src1_sel:DWORD
	v_mov_b32_e32 v42, 0x8000
	s_and_saveexec_b32 s18, s1
	s_cbranch_execz .LBB249_407
; %bb.402:                              ;   in Loop: Header=BB249_286 Depth=1
	v_bfe_u32 v46, v10, 16, 7
	v_mov_b32_e32 v42, 0x7c01
	s_mov_b32 s19, exec_lo
	v_cmpx_ne_u32_e32 0x7f, v46
	s_cbranch_execz .LBB249_406
; %bb.403:                              ;   in Loop: Header=BB249_286 Depth=1
	v_and_b32_e32 v42, 7, v1
	v_lshrrev_b32_e32 v45, 3, v46
	s_mov_b32 s22, exec_lo
	v_cmpx_gt_u32_e32 8, v46
; %bb.404:                              ;   in Loop: Header=BB249_286 Depth=1
	v_ffbh_u32_e32 v42, v42
	v_min_u32_e32 v42, 32, v42
	v_subrev_nc_u32_e32 v45, 28, v42
	v_lshlrev_b64 v[46:47], v45, v[1:2]
	v_sub_nc_u32_e32 v45, 29, v42
	v_and_b32_e32 v42, 7, v46
; %bb.405:                              ;   in Loop: Header=BB249_286 Depth=1
	s_or_b32 exec_lo, exec_lo, s22
	v_lshlrev_b32_e32 v1, 8, v1
	v_lshl_add_u32 v45, v45, 10, 0x2000
	v_lshlrev_b32_e32 v42, 7, v42
	v_and_b32_e32 v1, 0x8000, v1
	v_and_b32_e32 v45, 0xfc00, v45
	v_or3_b32 v42, v1, v45, v42
.LBB249_406:                            ;   in Loop: Header=BB249_286 Depth=1
	s_or_b32 exec_lo, exec_lo, s19
.LBB249_407:                            ;   in Loop: Header=BB249_286 Depth=1
	s_or_b32 exec_lo, exec_lo, s18
.LBB249_408:                            ;   in Loop: Header=BB249_286 Depth=1
	s_or_b32 exec_lo, exec_lo, s17
	v_cmp_lt_u64_e64 s1, s[2:3], v[9:10]
	v_mov_b32_e32 v9, 0
	s_and_saveexec_b32 s17, s1
	s_cbranch_execz .LBB249_416
; %bb.409:                              ;   in Loop: Header=BB249_286 Depth=1
	v_lshrrev_b32_e32 v1, 24, v10
	v_bfrev_b32_e32 v9, 1
	s_mov_b32 s18, exec_lo
	v_cmpx_ne_u32_e32 0x80, v1
	s_cbranch_execz .LBB249_415
; %bb.410:                              ;   in Loop: Header=BB249_286 Depth=1
	v_and_b32_e32 v45, 0x7f, v1
	v_mov_b32_e32 v9, 0x7c010000
	s_mov_b32 s19, exec_lo
	v_cmpx_ne_u32_e32 0x7f, v45
	s_cbranch_execz .LBB249_414
; %bb.411:                              ;   in Loop: Header=BB249_286 Depth=1
	v_and_b32_e32 v9, 7, v1
	v_lshrrev_b32_e32 v10, 3, v45
	s_mov_b32 s22, exec_lo
	v_cmpx_gt_u32_e32 8, v45
; %bb.412:                              ;   in Loop: Header=BB249_286 Depth=1
	v_ffbh_u32_e32 v9, v9
	v_min_u32_e32 v45, 32, v9
	v_subrev_nc_u32_e32 v9, 28, v45
	v_lshlrev_b64 v[9:10], v9, v[1:2]
	v_sub_nc_u32_e32 v10, 29, v45
	v_and_b32_e32 v9, 7, v9
; %bb.413:                              ;   in Loop: Header=BB249_286 Depth=1
	s_or_b32 exec_lo, exec_lo, s22
	v_lshlrev_b32_e32 v1, 8, v1
	v_lshl_add_u32 v10, v10, 10, 0x2000
	v_lshlrev_b32_e32 v9, 23, v9
	v_and_or_b32 v1, 0x8000, v1, v10
	v_lshl_or_b32 v9, v1, 16, v9
.LBB249_414:                            ;   in Loop: Header=BB249_286 Depth=1
	s_or_b32 exec_lo, exec_lo, s19
.LBB249_415:                            ;   in Loop: Header=BB249_286 Depth=1
	s_or_b32 exec_lo, exec_lo, s18
.LBB249_416:                            ;   in Loop: Header=BB249_286 Depth=1
	s_or_b32 exec_lo, exec_lo, s17
	v_or_b32_e32 v1, v40, v41
	s_waitcnt vmcnt(0)
	v_fma_mixlo_f16 v10, v37, v40, 0 op_sel:[0,1,0] op_sel_hi:[0,1,0]
	v_or_b32_e32 v40, v38, v39
	v_fma_mixlo_f16 v38, v37, v38, 0 op_sel:[0,1,0] op_sel_hi:[0,1,0]
	v_or_b32_e32 v41, v44, v43
	v_or_b32_e32 v42, v9, v42
	v_fma_mixlo_f16 v43, v37, v1, 0 op_sel_hi:[0,1,0]
	v_fma_mixlo_f16 v9, v37, v9, 0 op_sel:[0,1,0] op_sel_hi:[0,1,0]
	v_lshlrev_b32_e32 v39, 16, v38
	v_fma_mixlo_f16 v38, v37, v40, 0 op_sel_hi:[0,1,0]
	v_fma_mixlo_f16 v40, v37, v44, 0 op_sel:[0,1,0] op_sel_hi:[0,1,0]
	v_fma_mixlo_f16 v41, v37, v41, 0 op_sel_hi:[0,1,0]
	v_fma_mixlo_f16 v42, v37, v42, 0 op_sel_hi:[0,1,0]
	v_lshlrev_b32_e32 v1, 16, v10
	v_and_b32_e32 v10, 0xffff, v43
	v_and_b32_e32 v45, 0xffff, v38
	v_lshlrev_b32_e32 v37, 16, v40
	v_and_b32_e32 v41, 0xffff, v41
	v_lshlrev_b32_e32 v9, 16, v9
	v_and_b32_e32 v38, 0xffff, v42
	v_or_b32_e32 v40, v1, v10
	v_or_b32_e32 v44, v39, v45
	;; [unrolled: 1-line block ×4, first 2 shown]
	s_and_saveexec_b32 s17, vcc_lo
	s_cbranch_execz .LBB249_418
; %bb.417:                              ;   in Loop: Header=BB249_286 Depth=1
	v_cmp_gt_i32_e64 s1, s11, v24
	v_cndmask_b32_e64 v40, 0, v45, s1
	v_cmp_gt_i32_e64 s1, s11, v30
	v_cndmask_b32_e64 v39, 0, v39, s1
	v_cmp_gt_i32_e64 s1, s11, v29
	v_or_b32_e32 v44, v39, v40
	v_cndmask_b32_e64 v10, 0, v10, s1
	v_cmp_gt_i32_e64 s1, s11, v28
	v_cndmask_b32_e64 v1, 0, v1, s1
	v_cmp_gt_i32_e64 s1, s11, v27
	v_or_b32_e32 v40, v1, v10
	;; [unrolled: 5-line block ×3, first 2 shown]
	v_cndmask_b32_e64 v38, 0, v38, s1
	v_cmp_gt_i32_e64 s1, s11, v17
	v_cndmask_b32_e64 v9, 0, v9, s1
	v_or_b32_e32 v42, v9, v38
.LBB249_418:                            ;   in Loop: Header=BB249_286 Depth=1
	s_or_b32 exec_lo, exec_lo, s17
	;;#ASMSTART
	v_pk_mul_f16 v1, v35, v44;

	;;#ASMEND
	;;#ASMSTART
	v_pk_mul_f16 v9, v33, v40;

	;;#ASMEND
	;; [unrolled: 4-line block ×4, first 2 shown]
	;;#ASMSTART
	v_pk_add_f16 v1, v1, v9;

	;;#ASMEND
	;;#ASMSTART
	v_pk_add_f16 v1, v1, v10;

	;;#ASMEND
	;;#ASMSTART
	v_pk_add_f16 v1, v1, v37;

	;;#ASMEND
	v_and_b32_e32 v9, 0xffff, v1
	v_lshrrev_b32_e32 v1, 16, v1
	;;#ASMSTART
	v_cvt_f32_f16 v37, v9;
	;;#ASMEND
	;;#ASMSTART
	v_cvt_f32_f16 v38, v1;
	;;#ASMEND
	global_load_dwordx2 v[9:10], v[7:8], off offset:512
	v_mov_b32_e32 v40, 0
	v_mov_b32_e32 v41, 0
	global_load_dword v39, v40, s[14:15]
	s_waitcnt vmcnt(1)
	v_cmp_ne_u16_sdwa s1, v9, v2 src0_sel:BYTE_0 src1_sel:DWORD
	s_and_saveexec_b32 s17, s1
	s_cbranch_execz .LBB249_426
; %bb.419:                              ;   in Loop: Header=BB249_286 Depth=1
	v_cmp_ne_u16_sdwa s1, v9, v19 src0_sel:BYTE_0 src1_sel:DWORD
	v_mov_b32_e32 v41, 0x8000
	s_and_saveexec_b32 s18, s1
	s_cbranch_execz .LBB249_425
; %bb.420:                              ;   in Loop: Header=BB249_286 Depth=1
	v_and_b32_e32 v42, 0x7f, v9
	v_mov_b32_e32 v41, 0x7c01
	s_mov_b32 s19, exec_lo
	v_cmpx_ne_u32_e32 0x7f, v42
	s_cbranch_execz .LBB249_424
; %bb.421:                              ;   in Loop: Header=BB249_286 Depth=1
	v_and_b32_e32 v1, 7, v9
	v_lshrrev_b32_e32 v41, 3, v42
	s_mov_b32 s22, exec_lo
	v_cmpx_gt_u32_e32 8, v42
; %bb.422:                              ;   in Loop: Header=BB249_286 Depth=1
	v_ffbh_u32_e32 v1, v1
	v_min_u32_e32 v1, 32, v1
	v_subrev_nc_u32_e32 v41, 28, v1
	v_lshlrev_b64 v[42:43], v41, v[9:10]
	v_sub_nc_u32_e32 v41, 29, v1
	v_and_b32_e32 v1, 7, v42
; %bb.423:                              ;   in Loop: Header=BB249_286 Depth=1
	s_or_b32 exec_lo, exec_lo, s22
	v_lshlrev_b32_e32 v42, 8, v9
	v_lshl_add_u32 v41, v41, 10, 0x2000
	v_lshlrev_b32_e32 v1, 7, v1
	v_and_b32_e32 v42, 0x8000, v42
	v_and_b32_e32 v41, 0xfc00, v41
	v_or3_b32 v41, v42, v41, v1
.LBB249_424:                            ;   in Loop: Header=BB249_286 Depth=1
	s_or_b32 exec_lo, exec_lo, s19
.LBB249_425:                            ;   in Loop: Header=BB249_286 Depth=1
	s_or_b32 exec_lo, exec_lo, s18
.LBB249_426:                            ;   in Loop: Header=BB249_286 Depth=1
	s_or_b32 exec_lo, exec_lo, s17
	v_lshrrev_b16 v1, 8, v9
	s_mov_b32 s17, exec_lo
	v_cmpx_ne_u16_e32 0, v1
	s_cbranch_execz .LBB249_434
; %bb.427:                              ;   in Loop: Header=BB249_286 Depth=1
	v_bfrev_b32_e32 v40, 1
	s_mov_b32 s18, exec_lo
	v_cmpx_ne_u16_e32 0x80, v1
	s_cbranch_execz .LBB249_433
; %bb.428:                              ;   in Loop: Header=BB249_286 Depth=1
	v_and_b32_sdwa v43, v1, v20 dst_sel:DWORD dst_unused:UNUSED_PAD src0_sel:WORD_0 src1_sel:DWORD
	v_mov_b32_e32 v40, 0x7c010000
	s_mov_b32 s19, exec_lo
	v_cmpx_ne_u32_e32 0x7f, v43
	s_cbranch_execz .LBB249_432
; %bb.429:                              ;   in Loop: Header=BB249_286 Depth=1
	v_and_b32_sdwa v40, v1, v21 dst_sel:DWORD dst_unused:UNUSED_PAD src0_sel:WORD_0 src1_sel:DWORD
	v_lshrrev_b32_e32 v42, 3, v43
	s_mov_b32 s22, exec_lo
	v_cmpx_gt_u32_e32 8, v43
; %bb.430:                              ;   in Loop: Header=BB249_286 Depth=1
	v_ffbh_u32_e32 v40, v40
	v_min_u32_e32 v40, 32, v40
	v_subrev_nc_u32_e32 v42, 28, v40
	v_lshlrev_b64 v[43:44], v42, v[1:2]
	v_sub_nc_u32_e32 v42, 29, v40
	v_and_b32_e32 v40, 7, v43
; %bb.431:                              ;   in Loop: Header=BB249_286 Depth=1
	s_or_b32 exec_lo, exec_lo, s22
	v_lshlrev_b32_sdwa v1, v22, v1 dst_sel:DWORD dst_unused:UNUSED_PAD src0_sel:DWORD src1_sel:WORD_0
	v_lshl_add_u32 v42, v42, 10, 0x2000
	v_lshlrev_b32_e32 v40, 23, v40
	v_and_or_b32 v1, 0x8000, v1, v42
	v_lshl_or_b32 v40, v1, 16, v40
.LBB249_432:                            ;   in Loop: Header=BB249_286 Depth=1
	s_or_b32 exec_lo, exec_lo, s19
.LBB249_433:                            ;   in Loop: Header=BB249_286 Depth=1
	s_or_b32 exec_lo, exec_lo, s18
.LBB249_434:                            ;   in Loop: Header=BB249_286 Depth=1
	s_or_b32 exec_lo, exec_lo, s17
	v_lshrrev_b32_e32 v1, 16, v9
	v_mov_b32_e32 v42, 0
	v_mov_b32_e32 v43, 0
	v_cmp_ne_u16_sdwa s1, v1, v2 src0_sel:BYTE_0 src1_sel:DWORD
	s_and_saveexec_b32 s17, s1
	s_cbranch_execz .LBB249_442
; %bb.435:                              ;   in Loop: Header=BB249_286 Depth=1
	v_cmp_ne_u16_sdwa s1, v1, v19 src0_sel:BYTE_0 src1_sel:DWORD
	v_mov_b32_e32 v43, 0x8000
	s_and_saveexec_b32 s18, s1
	s_cbranch_execz .LBB249_441
; %bb.436:                              ;   in Loop: Header=BB249_286 Depth=1
	v_bfe_u32 v45, v9, 16, 7
	v_mov_b32_e32 v43, 0x7c01
	s_mov_b32 s19, exec_lo
	v_cmpx_ne_u32_e32 0x7f, v45
	s_cbranch_execz .LBB249_440
; %bb.437:                              ;   in Loop: Header=BB249_286 Depth=1
	v_and_b32_e32 v43, 7, v1
	v_lshrrev_b32_e32 v44, 3, v45
	s_mov_b32 s22, exec_lo
	v_cmpx_gt_u32_e32 8, v45
; %bb.438:                              ;   in Loop: Header=BB249_286 Depth=1
	v_ffbh_u32_e32 v43, v43
	v_min_u32_e32 v45, 32, v43
	v_subrev_nc_u32_e32 v43, 28, v45
	v_lshlrev_b64 v[43:44], v43, v[1:2]
	v_sub_nc_u32_e32 v44, 29, v45
	v_and_b32_e32 v43, 7, v43
; %bb.439:                              ;   in Loop: Header=BB249_286 Depth=1
	s_or_b32 exec_lo, exec_lo, s22
	v_lshlrev_b32_e32 v1, 8, v1
	v_lshl_add_u32 v44, v44, 10, 0x2000
	v_lshlrev_b32_e32 v43, 7, v43
	v_and_b32_e32 v1, 0x8000, v1
	v_and_b32_e32 v44, 0xfc00, v44
	v_or3_b32 v43, v1, v44, v43
.LBB249_440:                            ;   in Loop: Header=BB249_286 Depth=1
	s_or_b32 exec_lo, exec_lo, s19
.LBB249_441:                            ;   in Loop: Header=BB249_286 Depth=1
	s_or_b32 exec_lo, exec_lo, s18
.LBB249_442:                            ;   in Loop: Header=BB249_286 Depth=1
	s_or_b32 exec_lo, exec_lo, s17
	s_mov_b32 s17, exec_lo
	v_cmpx_lt_u32_e32 0xffffff, v9
	s_cbranch_execz .LBB249_450
; %bb.443:                              ;   in Loop: Header=BB249_286 Depth=1
	v_lshrrev_b32_e32 v1, 24, v9
	v_bfrev_b32_e32 v42, 1
	s_mov_b32 s18, exec_lo
	v_cmpx_ne_u32_e32 0x80, v1
	s_cbranch_execz .LBB249_449
; %bb.444:                              ;   in Loop: Header=BB249_286 Depth=1
	v_and_b32_e32 v45, 0x7f, v1
	v_mov_b32_e32 v42, 0x7c010000
	s_mov_b32 s19, exec_lo
	v_cmpx_ne_u32_e32 0x7f, v45
	s_cbranch_execz .LBB249_448
; %bb.445:                              ;   in Loop: Header=BB249_286 Depth=1
	v_and_b32_e32 v42, 7, v1
	v_lshrrev_b32_e32 v44, 3, v45
	s_mov_b32 s22, exec_lo
	v_cmpx_gt_u32_e32 8, v45
; %bb.446:                              ;   in Loop: Header=BB249_286 Depth=1
	v_ffbh_u32_e32 v42, v42
	v_min_u32_e32 v42, 32, v42
	v_subrev_nc_u32_e32 v44, 28, v42
	v_lshlrev_b64 v[45:46], v44, v[1:2]
	v_sub_nc_u32_e32 v44, 29, v42
	v_and_b32_e32 v42, 7, v45
; %bb.447:                              ;   in Loop: Header=BB249_286 Depth=1
	s_or_b32 exec_lo, exec_lo, s22
	v_lshlrev_b32_e32 v1, 8, v1
	v_lshl_add_u32 v44, v44, 10, 0x2000
	v_lshlrev_b32_e32 v42, 23, v42
	v_and_or_b32 v1, 0x8000, v1, v44
	v_lshl_or_b32 v42, v1, 16, v42
.LBB249_448:                            ;   in Loop: Header=BB249_286 Depth=1
	s_or_b32 exec_lo, exec_lo, s19
.LBB249_449:                            ;   in Loop: Header=BB249_286 Depth=1
	s_or_b32 exec_lo, exec_lo, s18
.LBB249_450:                            ;   in Loop: Header=BB249_286 Depth=1
	s_or_b32 exec_lo, exec_lo, s17
	v_mov_b32_e32 v1, v10
	v_cmp_ne_u16_sdwa s1, v10, v2 src0_sel:BYTE_0 src1_sel:DWORD
	v_mov_b32_e32 v44, 0
	v_mov_b32_e32 v45, 0
	s_and_saveexec_b32 s17, s1
	s_cbranch_execz .LBB249_458
; %bb.451:                              ;   in Loop: Header=BB249_286 Depth=1
	v_cmp_ne_u16_sdwa s1, v10, v19 src0_sel:BYTE_0 src1_sel:DWORD
	v_mov_b32_e32 v45, 0x8000
	s_and_saveexec_b32 s18, s1
	s_cbranch_execz .LBB249_457
; %bb.452:                              ;   in Loop: Header=BB249_286 Depth=1
	v_and_b32_e32 v47, 0x7f, v10
	v_mov_b32_e32 v45, 0x7c01
	s_mov_b32 s19, exec_lo
	v_cmpx_ne_u32_e32 0x7f, v47
	s_cbranch_execz .LBB249_456
; %bb.453:                              ;   in Loop: Header=BB249_286 Depth=1
	v_and_b32_e32 v45, 7, v10
	v_lshrrev_b32_e32 v46, 3, v47
	s_mov_b32 s22, exec_lo
	v_cmpx_gt_u32_e32 8, v47
; %bb.454:                              ;   in Loop: Header=BB249_286 Depth=1
	v_ffbh_u32_e32 v45, v45
	v_min_u32_e32 v47, 32, v45
	v_subrev_nc_u32_e32 v45, 28, v47
	v_lshlrev_b64 v[45:46], v45, v[1:2]
	v_sub_nc_u32_e32 v46, 29, v47
	v_and_b32_e32 v45, 7, v45
; %bb.455:                              ;   in Loop: Header=BB249_286 Depth=1
	s_or_b32 exec_lo, exec_lo, s22
	v_lshlrev_b32_e32 v47, 8, v10
	v_lshl_add_u32 v46, v46, 10, 0x2000
	v_lshlrev_b32_e32 v45, 7, v45
	v_and_b32_e32 v47, 0x8000, v47
	v_and_b32_e32 v46, 0xfc00, v46
	v_or3_b32 v45, v47, v46, v45
.LBB249_456:                            ;   in Loop: Header=BB249_286 Depth=1
	s_or_b32 exec_lo, exec_lo, s19
.LBB249_457:                            ;   in Loop: Header=BB249_286 Depth=1
	s_or_b32 exec_lo, exec_lo, s18
.LBB249_458:                            ;   in Loop: Header=BB249_286 Depth=1
	s_or_b32 exec_lo, exec_lo, s17
	v_lshrrev_b16 v1, 8, v1
	v_mov_b32_e32 v46, 0
	s_mov_b32 s17, exec_lo
	v_cmpx_ne_u16_e32 0, v1
	s_cbranch_execz .LBB249_466
; %bb.459:                              ;   in Loop: Header=BB249_286 Depth=1
	v_bfrev_b32_e32 v46, 1
	s_mov_b32 s18, exec_lo
	v_cmpx_ne_u16_e32 0x80, v1
	s_cbranch_execz .LBB249_465
; %bb.460:                              ;   in Loop: Header=BB249_286 Depth=1
	v_and_b32_sdwa v48, v1, v20 dst_sel:DWORD dst_unused:UNUSED_PAD src0_sel:WORD_0 src1_sel:DWORD
	v_mov_b32_e32 v46, 0x7c010000
	s_mov_b32 s19, exec_lo
	v_cmpx_ne_u32_e32 0x7f, v48
	s_cbranch_execz .LBB249_464
; %bb.461:                              ;   in Loop: Header=BB249_286 Depth=1
	v_and_b32_sdwa v46, v1, v21 dst_sel:DWORD dst_unused:UNUSED_PAD src0_sel:WORD_0 src1_sel:DWORD
	v_lshrrev_b32_e32 v47, 3, v48
	s_mov_b32 s22, exec_lo
	v_cmpx_gt_u32_e32 8, v48
; %bb.462:                              ;   in Loop: Header=BB249_286 Depth=1
	v_ffbh_u32_e32 v46, v46
	v_min_u32_e32 v48, 32, v46
	v_subrev_nc_u32_e32 v46, 28, v48
	v_lshlrev_b64 v[46:47], v46, v[1:2]
	v_sub_nc_u32_e32 v47, 29, v48
	v_and_b32_e32 v46, 7, v46
; %bb.463:                              ;   in Loop: Header=BB249_286 Depth=1
	s_or_b32 exec_lo, exec_lo, s22
	v_lshlrev_b32_sdwa v1, v22, v1 dst_sel:DWORD dst_unused:UNUSED_PAD src0_sel:DWORD src1_sel:WORD_0
	v_lshl_add_u32 v47, v47, 10, 0x2000
	v_lshlrev_b32_e32 v46, 23, v46
	v_and_or_b32 v1, 0x8000, v1, v47
	v_lshl_or_b32 v46, v1, 16, v46
.LBB249_464:                            ;   in Loop: Header=BB249_286 Depth=1
	s_or_b32 exec_lo, exec_lo, s19
.LBB249_465:                            ;   in Loop: Header=BB249_286 Depth=1
	s_or_b32 exec_lo, exec_lo, s18
.LBB249_466:                            ;   in Loop: Header=BB249_286 Depth=1
	s_or_b32 exec_lo, exec_lo, s17
	v_lshrrev_b32_e32 v1, 16, v10
	v_cmp_ne_u16_sdwa s1, v1, v2 src0_sel:BYTE_0 src1_sel:DWORD
	s_and_saveexec_b32 s17, s1
	s_cbranch_execz .LBB249_474
; %bb.467:                              ;   in Loop: Header=BB249_286 Depth=1
	v_cmp_ne_u16_sdwa s1, v1, v19 src0_sel:BYTE_0 src1_sel:DWORD
	v_mov_b32_e32 v44, 0x8000
	s_and_saveexec_b32 s18, s1
	s_cbranch_execz .LBB249_473
; %bb.468:                              ;   in Loop: Header=BB249_286 Depth=1
	v_bfe_u32 v48, v10, 16, 7
	v_mov_b32_e32 v44, 0x7c01
	s_mov_b32 s19, exec_lo
	v_cmpx_ne_u32_e32 0x7f, v48
	s_cbranch_execz .LBB249_472
; %bb.469:                              ;   in Loop: Header=BB249_286 Depth=1
	v_and_b32_e32 v44, 7, v1
	v_lshrrev_b32_e32 v47, 3, v48
	s_mov_b32 s22, exec_lo
	v_cmpx_gt_u32_e32 8, v48
; %bb.470:                              ;   in Loop: Header=BB249_286 Depth=1
	v_ffbh_u32_e32 v44, v44
	v_min_u32_e32 v44, 32, v44
	v_subrev_nc_u32_e32 v47, 28, v44
	v_lshlrev_b64 v[48:49], v47, v[1:2]
	v_sub_nc_u32_e32 v47, 29, v44
	v_and_b32_e32 v44, 7, v48
; %bb.471:                              ;   in Loop: Header=BB249_286 Depth=1
	s_or_b32 exec_lo, exec_lo, s22
	v_lshlrev_b32_e32 v1, 8, v1
	v_lshl_add_u32 v47, v47, 10, 0x2000
	v_lshlrev_b32_e32 v44, 7, v44
	v_and_b32_e32 v1, 0x8000, v1
	v_and_b32_e32 v47, 0xfc00, v47
	v_or3_b32 v44, v1, v47, v44
.LBB249_472:                            ;   in Loop: Header=BB249_286 Depth=1
	s_or_b32 exec_lo, exec_lo, s19
.LBB249_473:                            ;   in Loop: Header=BB249_286 Depth=1
	s_or_b32 exec_lo, exec_lo, s18
.LBB249_474:                            ;   in Loop: Header=BB249_286 Depth=1
	s_or_b32 exec_lo, exec_lo, s17
	v_cmp_lt_u64_e64 s1, s[2:3], v[9:10]
	v_mov_b32_e32 v9, 0
	s_and_saveexec_b32 s17, s1
	s_cbranch_execz .LBB249_482
; %bb.475:                              ;   in Loop: Header=BB249_286 Depth=1
	v_lshrrev_b32_e32 v1, 24, v10
	v_bfrev_b32_e32 v9, 1
	s_mov_b32 s18, exec_lo
	v_cmpx_ne_u32_e32 0x80, v1
	s_cbranch_execz .LBB249_481
; %bb.476:                              ;   in Loop: Header=BB249_286 Depth=1
	v_and_b32_e32 v47, 0x7f, v1
	v_mov_b32_e32 v9, 0x7c010000
	s_mov_b32 s19, exec_lo
	v_cmpx_ne_u32_e32 0x7f, v47
	s_cbranch_execz .LBB249_480
; %bb.477:                              ;   in Loop: Header=BB249_286 Depth=1
	v_and_b32_e32 v9, 7, v1
	v_lshrrev_b32_e32 v10, 3, v47
	s_mov_b32 s22, exec_lo
	v_cmpx_gt_u32_e32 8, v47
; %bb.478:                              ;   in Loop: Header=BB249_286 Depth=1
	v_ffbh_u32_e32 v9, v9
	v_min_u32_e32 v47, 32, v9
	v_subrev_nc_u32_e32 v9, 28, v47
	v_lshlrev_b64 v[9:10], v9, v[1:2]
	v_sub_nc_u32_e32 v10, 29, v47
	v_and_b32_e32 v9, 7, v9
; %bb.479:                              ;   in Loop: Header=BB249_286 Depth=1
	s_or_b32 exec_lo, exec_lo, s22
	v_lshlrev_b32_e32 v1, 8, v1
	v_lshl_add_u32 v10, v10, 10, 0x2000
	v_lshlrev_b32_e32 v9, 23, v9
	v_and_or_b32 v1, 0x8000, v1, v10
	v_lshl_or_b32 v9, v1, 16, v9
.LBB249_480:                            ;   in Loop: Header=BB249_286 Depth=1
	s_or_b32 exec_lo, exec_lo, s19
.LBB249_481:                            ;   in Loop: Header=BB249_286 Depth=1
	s_or_b32 exec_lo, exec_lo, s18
.LBB249_482:                            ;   in Loop: Header=BB249_286 Depth=1
	s_or_b32 exec_lo, exec_lo, s17
	v_or_b32_e32 v1, v42, v43
	s_waitcnt vmcnt(0)
	v_fma_mixlo_f16 v10, v39, v42, 0 op_sel:[0,1,0] op_sel_hi:[0,1,0]
	v_or_b32_e32 v42, v40, v41
	v_fma_mixlo_f16 v40, v39, v40, 0 op_sel:[0,1,0] op_sel_hi:[0,1,0]
	v_or_b32_e32 v43, v46, v45
	v_or_b32_e32 v44, v9, v44
	v_fma_mixlo_f16 v45, v39, v1, 0 op_sel_hi:[0,1,0]
	v_fma_mixlo_f16 v9, v39, v9, 0 op_sel:[0,1,0] op_sel_hi:[0,1,0]
	v_lshlrev_b32_e32 v41, 16, v40
	v_fma_mixlo_f16 v40, v39, v42, 0 op_sel_hi:[0,1,0]
	v_fma_mixlo_f16 v42, v39, v46, 0 op_sel:[0,1,0] op_sel_hi:[0,1,0]
	v_fma_mixlo_f16 v43, v39, v43, 0 op_sel_hi:[0,1,0]
	v_fma_mixlo_f16 v44, v39, v44, 0 op_sel_hi:[0,1,0]
	v_lshlrev_b32_e32 v1, 16, v10
	v_and_b32_e32 v10, 0xffff, v45
	v_and_b32_e32 v47, 0xffff, v40
	v_lshlrev_b32_e32 v39, 16, v42
	v_and_b32_e32 v43, 0xffff, v43
	v_lshlrev_b32_e32 v9, 16, v9
	v_and_b32_e32 v40, 0xffff, v44
	v_or_b32_e32 v42, v1, v10
	v_or_b32_e32 v46, v41, v47
	v_or_b32_e32 v45, v39, v43
	v_or_b32_e32 v44, v9, v40
	s_and_saveexec_b32 s17, vcc_lo
	s_cbranch_execz .LBB249_484
; %bb.483:                              ;   in Loop: Header=BB249_286 Depth=1
	v_cmp_gt_i32_e64 s1, s11, v24
	v_cndmask_b32_e64 v42, 0, v47, s1
	v_cmp_gt_i32_e64 s1, s11, v30
	v_cndmask_b32_e64 v41, 0, v41, s1
	v_cmp_gt_i32_e64 s1, s11, v29
	v_or_b32_e32 v46, v41, v42
	v_cndmask_b32_e64 v10, 0, v10, s1
	v_cmp_gt_i32_e64 s1, s11, v28
	v_cndmask_b32_e64 v1, 0, v1, s1
	v_cmp_gt_i32_e64 s1, s11, v27
	v_or_b32_e32 v42, v1, v10
	;; [unrolled: 5-line block ×3, first 2 shown]
	v_cndmask_b32_e64 v40, 0, v40, s1
	v_cmp_gt_i32_e64 s1, s11, v17
	v_cndmask_b32_e64 v9, 0, v9, s1
	v_or_b32_e32 v44, v9, v40
.LBB249_484:                            ;   in Loop: Header=BB249_286 Depth=1
	s_or_b32 exec_lo, exec_lo, s17
	;;#ASMSTART
	v_pk_mul_f16 v1, v35, v46;

	;;#ASMEND
	;;#ASMSTART
	v_pk_mul_f16 v9, v33, v42;

	;;#ASMEND
	;; [unrolled: 4-line block ×4, first 2 shown]
	;;#ASMSTART
	v_pk_add_f16 v1, v1, v9;

	;;#ASMEND
	;;#ASMSTART
	v_pk_add_f16 v1, v1, v10;

	;;#ASMEND
	;; [unrolled: 4-line block ×3, first 2 shown]
	v_and_b32_e32 v9, 0xffff, v1
	v_lshrrev_b32_e32 v1, 16, v1
	;;#ASMSTART
	v_cvt_f32_f16 v9, v9;
	;;#ASMEND
	;;#ASMSTART
	v_cvt_f32_f16 v10, v1;
	;;#ASMEND
	global_load_dwordx2 v[7:8], v[7:8], off offset:768
	v_mov_b32_e32 v40, 0
	v_mov_b32_e32 v41, 0
	global_load_dword v39, v40, s[14:15]
	s_waitcnt vmcnt(1)
	v_cmp_ne_u16_sdwa s1, v7, v2 src0_sel:BYTE_0 src1_sel:DWORD
	s_and_saveexec_b32 s17, s1
	s_cbranch_execz .LBB249_492
; %bb.485:                              ;   in Loop: Header=BB249_286 Depth=1
	v_cmp_ne_u16_sdwa s1, v7, v19 src0_sel:BYTE_0 src1_sel:DWORD
	v_mov_b32_e32 v41, 0x8000
	s_and_saveexec_b32 s18, s1
	s_cbranch_execz .LBB249_491
; %bb.486:                              ;   in Loop: Header=BB249_286 Depth=1
	v_and_b32_e32 v42, 0x7f, v7
	v_mov_b32_e32 v41, 0x7c01
	s_mov_b32 s19, exec_lo
	v_cmpx_ne_u32_e32 0x7f, v42
	s_cbranch_execz .LBB249_490
; %bb.487:                              ;   in Loop: Header=BB249_286 Depth=1
	v_and_b32_e32 v1, 7, v7
	v_lshrrev_b32_e32 v41, 3, v42
	s_mov_b32 s22, exec_lo
	v_cmpx_gt_u32_e32 8, v42
; %bb.488:                              ;   in Loop: Header=BB249_286 Depth=1
	v_ffbh_u32_e32 v1, v1
	v_min_u32_e32 v1, 32, v1
	v_subrev_nc_u32_e32 v41, 28, v1
	v_lshlrev_b64 v[42:43], v41, v[7:8]
	v_sub_nc_u32_e32 v41, 29, v1
	v_and_b32_e32 v1, 7, v42
; %bb.489:                              ;   in Loop: Header=BB249_286 Depth=1
	s_or_b32 exec_lo, exec_lo, s22
	v_lshlrev_b32_e32 v42, 8, v7
	v_lshl_add_u32 v41, v41, 10, 0x2000
	v_lshlrev_b32_e32 v1, 7, v1
	v_and_b32_e32 v42, 0x8000, v42
	v_and_b32_e32 v41, 0xfc00, v41
	v_or3_b32 v41, v42, v41, v1
.LBB249_490:                            ;   in Loop: Header=BB249_286 Depth=1
	s_or_b32 exec_lo, exec_lo, s19
.LBB249_491:                            ;   in Loop: Header=BB249_286 Depth=1
	s_or_b32 exec_lo, exec_lo, s18
.LBB249_492:                            ;   in Loop: Header=BB249_286 Depth=1
	s_or_b32 exec_lo, exec_lo, s17
	v_lshrrev_b16 v1, 8, v7
	s_mov_b32 s17, exec_lo
	v_cmpx_ne_u16_e32 0, v1
	s_cbranch_execz .LBB249_500
; %bb.493:                              ;   in Loop: Header=BB249_286 Depth=1
	v_bfrev_b32_e32 v40, 1
	s_mov_b32 s18, exec_lo
	v_cmpx_ne_u16_e32 0x80, v1
	s_cbranch_execz .LBB249_499
; %bb.494:                              ;   in Loop: Header=BB249_286 Depth=1
	v_and_b32_sdwa v43, v1, v20 dst_sel:DWORD dst_unused:UNUSED_PAD src0_sel:WORD_0 src1_sel:DWORD
	v_mov_b32_e32 v40, 0x7c010000
	s_mov_b32 s19, exec_lo
	v_cmpx_ne_u32_e32 0x7f, v43
	s_cbranch_execz .LBB249_498
; %bb.495:                              ;   in Loop: Header=BB249_286 Depth=1
	v_and_b32_sdwa v40, v1, v21 dst_sel:DWORD dst_unused:UNUSED_PAD src0_sel:WORD_0 src1_sel:DWORD
	v_lshrrev_b32_e32 v42, 3, v43
	s_mov_b32 s22, exec_lo
	v_cmpx_gt_u32_e32 8, v43
; %bb.496:                              ;   in Loop: Header=BB249_286 Depth=1
	v_ffbh_u32_e32 v40, v40
	v_min_u32_e32 v40, 32, v40
	v_subrev_nc_u32_e32 v42, 28, v40
	v_lshlrev_b64 v[43:44], v42, v[1:2]
	v_sub_nc_u32_e32 v42, 29, v40
	v_and_b32_e32 v40, 7, v43
; %bb.497:                              ;   in Loop: Header=BB249_286 Depth=1
	s_or_b32 exec_lo, exec_lo, s22
	v_lshlrev_b32_sdwa v1, v22, v1 dst_sel:DWORD dst_unused:UNUSED_PAD src0_sel:DWORD src1_sel:WORD_0
	v_lshl_add_u32 v42, v42, 10, 0x2000
	v_lshlrev_b32_e32 v40, 23, v40
	v_and_or_b32 v1, 0x8000, v1, v42
	v_lshl_or_b32 v40, v1, 16, v40
.LBB249_498:                            ;   in Loop: Header=BB249_286 Depth=1
	s_or_b32 exec_lo, exec_lo, s19
.LBB249_499:                            ;   in Loop: Header=BB249_286 Depth=1
	s_or_b32 exec_lo, exec_lo, s18
.LBB249_500:                            ;   in Loop: Header=BB249_286 Depth=1
	s_or_b32 exec_lo, exec_lo, s17
	v_lshrrev_b32_e32 v1, 16, v7
	v_mov_b32_e32 v42, 0
	v_mov_b32_e32 v43, 0
	v_cmp_ne_u16_sdwa s1, v1, v2 src0_sel:BYTE_0 src1_sel:DWORD
	s_and_saveexec_b32 s17, s1
	s_cbranch_execz .LBB249_508
; %bb.501:                              ;   in Loop: Header=BB249_286 Depth=1
	v_cmp_ne_u16_sdwa s1, v1, v19 src0_sel:BYTE_0 src1_sel:DWORD
	v_mov_b32_e32 v43, 0x8000
	s_and_saveexec_b32 s18, s1
	s_cbranch_execz .LBB249_507
; %bb.502:                              ;   in Loop: Header=BB249_286 Depth=1
	v_bfe_u32 v45, v7, 16, 7
	v_mov_b32_e32 v43, 0x7c01
	s_mov_b32 s19, exec_lo
	v_cmpx_ne_u32_e32 0x7f, v45
	s_cbranch_execz .LBB249_506
; %bb.503:                              ;   in Loop: Header=BB249_286 Depth=1
	v_and_b32_e32 v43, 7, v1
	v_lshrrev_b32_e32 v44, 3, v45
	s_mov_b32 s22, exec_lo
	v_cmpx_gt_u32_e32 8, v45
; %bb.504:                              ;   in Loop: Header=BB249_286 Depth=1
	v_ffbh_u32_e32 v43, v43
	v_min_u32_e32 v45, 32, v43
	v_subrev_nc_u32_e32 v43, 28, v45
	v_lshlrev_b64 v[43:44], v43, v[1:2]
	v_sub_nc_u32_e32 v44, 29, v45
	v_and_b32_e32 v43, 7, v43
; %bb.505:                              ;   in Loop: Header=BB249_286 Depth=1
	s_or_b32 exec_lo, exec_lo, s22
	v_lshlrev_b32_e32 v1, 8, v1
	v_lshl_add_u32 v44, v44, 10, 0x2000
	v_lshlrev_b32_e32 v43, 7, v43
	v_and_b32_e32 v1, 0x8000, v1
	v_and_b32_e32 v44, 0xfc00, v44
	v_or3_b32 v43, v1, v44, v43
.LBB249_506:                            ;   in Loop: Header=BB249_286 Depth=1
	s_or_b32 exec_lo, exec_lo, s19
.LBB249_507:                            ;   in Loop: Header=BB249_286 Depth=1
	s_or_b32 exec_lo, exec_lo, s18
.LBB249_508:                            ;   in Loop: Header=BB249_286 Depth=1
	s_or_b32 exec_lo, exec_lo, s17
	s_mov_b32 s17, exec_lo
	v_cmpx_lt_u32_e32 0xffffff, v7
	s_cbranch_execz .LBB249_516
; %bb.509:                              ;   in Loop: Header=BB249_286 Depth=1
	v_lshrrev_b32_e32 v1, 24, v7
	v_bfrev_b32_e32 v42, 1
	s_mov_b32 s18, exec_lo
	v_cmpx_ne_u32_e32 0x80, v1
	s_cbranch_execz .LBB249_515
; %bb.510:                              ;   in Loop: Header=BB249_286 Depth=1
	v_and_b32_e32 v45, 0x7f, v1
	v_mov_b32_e32 v42, 0x7c010000
	s_mov_b32 s19, exec_lo
	v_cmpx_ne_u32_e32 0x7f, v45
	s_cbranch_execz .LBB249_514
; %bb.511:                              ;   in Loop: Header=BB249_286 Depth=1
	v_and_b32_e32 v42, 7, v1
	v_lshrrev_b32_e32 v44, 3, v45
	s_mov_b32 s22, exec_lo
	v_cmpx_gt_u32_e32 8, v45
; %bb.512:                              ;   in Loop: Header=BB249_286 Depth=1
	v_ffbh_u32_e32 v42, v42
	v_min_u32_e32 v42, 32, v42
	v_subrev_nc_u32_e32 v44, 28, v42
	v_lshlrev_b64 v[45:46], v44, v[1:2]
	v_sub_nc_u32_e32 v44, 29, v42
	v_and_b32_e32 v42, 7, v45
; %bb.513:                              ;   in Loop: Header=BB249_286 Depth=1
	s_or_b32 exec_lo, exec_lo, s22
	v_lshlrev_b32_e32 v1, 8, v1
	v_lshl_add_u32 v44, v44, 10, 0x2000
	v_lshlrev_b32_e32 v42, 23, v42
	v_and_or_b32 v1, 0x8000, v1, v44
	v_lshl_or_b32 v42, v1, 16, v42
.LBB249_514:                            ;   in Loop: Header=BB249_286 Depth=1
	s_or_b32 exec_lo, exec_lo, s19
.LBB249_515:                            ;   in Loop: Header=BB249_286 Depth=1
	s_or_b32 exec_lo, exec_lo, s18
.LBB249_516:                            ;   in Loop: Header=BB249_286 Depth=1
	s_or_b32 exec_lo, exec_lo, s17
	v_mov_b32_e32 v1, v8
	v_cmp_ne_u16_sdwa s1, v8, v2 src0_sel:BYTE_0 src1_sel:DWORD
	v_mov_b32_e32 v44, 0
	v_mov_b32_e32 v45, 0
	s_and_saveexec_b32 s17, s1
	s_cbranch_execz .LBB249_524
; %bb.517:                              ;   in Loop: Header=BB249_286 Depth=1
	v_cmp_ne_u16_sdwa s1, v8, v19 src0_sel:BYTE_0 src1_sel:DWORD
	v_mov_b32_e32 v45, 0x8000
	s_and_saveexec_b32 s18, s1
	s_cbranch_execz .LBB249_523
; %bb.518:                              ;   in Loop: Header=BB249_286 Depth=1
	v_and_b32_e32 v47, 0x7f, v8
	v_mov_b32_e32 v45, 0x7c01
	s_mov_b32 s19, exec_lo
	v_cmpx_ne_u32_e32 0x7f, v47
	s_cbranch_execz .LBB249_522
; %bb.519:                              ;   in Loop: Header=BB249_286 Depth=1
	v_and_b32_e32 v45, 7, v8
	v_lshrrev_b32_e32 v46, 3, v47
	s_mov_b32 s22, exec_lo
	v_cmpx_gt_u32_e32 8, v47
; %bb.520:                              ;   in Loop: Header=BB249_286 Depth=1
	v_ffbh_u32_e32 v45, v45
	v_min_u32_e32 v47, 32, v45
	v_subrev_nc_u32_e32 v45, 28, v47
	v_lshlrev_b64 v[45:46], v45, v[1:2]
	v_sub_nc_u32_e32 v46, 29, v47
	v_and_b32_e32 v45, 7, v45
; %bb.521:                              ;   in Loop: Header=BB249_286 Depth=1
	s_or_b32 exec_lo, exec_lo, s22
	v_lshlrev_b32_e32 v47, 8, v8
	v_lshl_add_u32 v46, v46, 10, 0x2000
	v_lshlrev_b32_e32 v45, 7, v45
	v_and_b32_e32 v47, 0x8000, v47
	v_and_b32_e32 v46, 0xfc00, v46
	v_or3_b32 v45, v47, v46, v45
.LBB249_522:                            ;   in Loop: Header=BB249_286 Depth=1
	s_or_b32 exec_lo, exec_lo, s19
.LBB249_523:                            ;   in Loop: Header=BB249_286 Depth=1
	s_or_b32 exec_lo, exec_lo, s18
.LBB249_524:                            ;   in Loop: Header=BB249_286 Depth=1
	s_or_b32 exec_lo, exec_lo, s17
	v_lshrrev_b16 v1, 8, v1
	v_mov_b32_e32 v46, 0
	s_mov_b32 s17, exec_lo
	v_cmpx_ne_u16_e32 0, v1
	s_cbranch_execz .LBB249_532
; %bb.525:                              ;   in Loop: Header=BB249_286 Depth=1
	v_bfrev_b32_e32 v46, 1
	s_mov_b32 s18, exec_lo
	v_cmpx_ne_u16_e32 0x80, v1
	s_cbranch_execz .LBB249_531
; %bb.526:                              ;   in Loop: Header=BB249_286 Depth=1
	v_and_b32_sdwa v48, v1, v20 dst_sel:DWORD dst_unused:UNUSED_PAD src0_sel:WORD_0 src1_sel:DWORD
	v_mov_b32_e32 v46, 0x7c010000
	s_mov_b32 s19, exec_lo
	v_cmpx_ne_u32_e32 0x7f, v48
	s_cbranch_execz .LBB249_530
; %bb.527:                              ;   in Loop: Header=BB249_286 Depth=1
	v_and_b32_sdwa v46, v1, v21 dst_sel:DWORD dst_unused:UNUSED_PAD src0_sel:WORD_0 src1_sel:DWORD
	v_lshrrev_b32_e32 v47, 3, v48
	s_mov_b32 s22, exec_lo
	v_cmpx_gt_u32_e32 8, v48
; %bb.528:                              ;   in Loop: Header=BB249_286 Depth=1
	v_ffbh_u32_e32 v46, v46
	v_min_u32_e32 v48, 32, v46
	v_subrev_nc_u32_e32 v46, 28, v48
	v_lshlrev_b64 v[46:47], v46, v[1:2]
	v_sub_nc_u32_e32 v47, 29, v48
	v_and_b32_e32 v46, 7, v46
; %bb.529:                              ;   in Loop: Header=BB249_286 Depth=1
	s_or_b32 exec_lo, exec_lo, s22
	v_lshlrev_b32_sdwa v1, v22, v1 dst_sel:DWORD dst_unused:UNUSED_PAD src0_sel:DWORD src1_sel:WORD_0
	v_lshl_add_u32 v47, v47, 10, 0x2000
	v_lshlrev_b32_e32 v46, 23, v46
	v_and_or_b32 v1, 0x8000, v1, v47
	v_lshl_or_b32 v46, v1, 16, v46
.LBB249_530:                            ;   in Loop: Header=BB249_286 Depth=1
	s_or_b32 exec_lo, exec_lo, s19
.LBB249_531:                            ;   in Loop: Header=BB249_286 Depth=1
	s_or_b32 exec_lo, exec_lo, s18
.LBB249_532:                            ;   in Loop: Header=BB249_286 Depth=1
	s_or_b32 exec_lo, exec_lo, s17
	v_lshrrev_b32_e32 v1, 16, v8
	v_cmp_ne_u16_sdwa s1, v1, v2 src0_sel:BYTE_0 src1_sel:DWORD
	s_and_saveexec_b32 s17, s1
	s_cbranch_execz .LBB249_540
; %bb.533:                              ;   in Loop: Header=BB249_286 Depth=1
	v_cmp_ne_u16_sdwa s1, v1, v19 src0_sel:BYTE_0 src1_sel:DWORD
	v_mov_b32_e32 v44, 0x8000
	s_and_saveexec_b32 s18, s1
	s_cbranch_execz .LBB249_539
; %bb.534:                              ;   in Loop: Header=BB249_286 Depth=1
	v_bfe_u32 v48, v8, 16, 7
	v_mov_b32_e32 v44, 0x7c01
	s_mov_b32 s19, exec_lo
	v_cmpx_ne_u32_e32 0x7f, v48
	s_cbranch_execz .LBB249_538
; %bb.535:                              ;   in Loop: Header=BB249_286 Depth=1
	v_and_b32_e32 v44, 7, v1
	v_lshrrev_b32_e32 v47, 3, v48
	s_mov_b32 s22, exec_lo
	v_cmpx_gt_u32_e32 8, v48
; %bb.536:                              ;   in Loop: Header=BB249_286 Depth=1
	v_ffbh_u32_e32 v44, v44
	v_min_u32_e32 v44, 32, v44
	v_subrev_nc_u32_e32 v47, 28, v44
	v_lshlrev_b64 v[48:49], v47, v[1:2]
	v_sub_nc_u32_e32 v47, 29, v44
	v_and_b32_e32 v44, 7, v48
; %bb.537:                              ;   in Loop: Header=BB249_286 Depth=1
	s_or_b32 exec_lo, exec_lo, s22
	v_lshlrev_b32_e32 v1, 8, v1
	v_lshl_add_u32 v47, v47, 10, 0x2000
	v_lshlrev_b32_e32 v44, 7, v44
	v_and_b32_e32 v1, 0x8000, v1
	v_and_b32_e32 v47, 0xfc00, v47
	v_or3_b32 v44, v1, v47, v44
.LBB249_538:                            ;   in Loop: Header=BB249_286 Depth=1
	s_or_b32 exec_lo, exec_lo, s19
.LBB249_539:                            ;   in Loop: Header=BB249_286 Depth=1
	s_or_b32 exec_lo, exec_lo, s18
.LBB249_540:                            ;   in Loop: Header=BB249_286 Depth=1
	s_or_b32 exec_lo, exec_lo, s17
	v_cmp_lt_u64_e64 s1, s[2:3], v[7:8]
	v_mov_b32_e32 v7, 0
	s_and_saveexec_b32 s17, s1
	s_cbranch_execz .LBB249_548
; %bb.541:                              ;   in Loop: Header=BB249_286 Depth=1
	v_lshrrev_b32_e32 v1, 24, v8
	v_bfrev_b32_e32 v7, 1
	s_mov_b32 s18, exec_lo
	v_cmpx_ne_u32_e32 0x80, v1
	s_cbranch_execz .LBB249_547
; %bb.542:                              ;   in Loop: Header=BB249_286 Depth=1
	v_and_b32_e32 v47, 0x7f, v1
	v_mov_b32_e32 v7, 0x7c010000
	s_mov_b32 s19, exec_lo
	v_cmpx_ne_u32_e32 0x7f, v47
	s_cbranch_execz .LBB249_546
; %bb.543:                              ;   in Loop: Header=BB249_286 Depth=1
	v_and_b32_e32 v7, 7, v1
	v_lshrrev_b32_e32 v8, 3, v47
	s_mov_b32 s22, exec_lo
	v_cmpx_gt_u32_e32 8, v47
; %bb.544:                              ;   in Loop: Header=BB249_286 Depth=1
	v_ffbh_u32_e32 v7, v7
	v_min_u32_e32 v47, 32, v7
	v_subrev_nc_u32_e32 v7, 28, v47
	v_lshlrev_b64 v[7:8], v7, v[1:2]
	v_sub_nc_u32_e32 v8, 29, v47
	v_and_b32_e32 v7, 7, v7
; %bb.545:                              ;   in Loop: Header=BB249_286 Depth=1
	s_or_b32 exec_lo, exec_lo, s22
	v_lshlrev_b32_e32 v1, 8, v1
	v_lshl_add_u32 v8, v8, 10, 0x2000
	v_lshlrev_b32_e32 v7, 23, v7
	v_and_or_b32 v1, 0x8000, v1, v8
	v_lshl_or_b32 v7, v1, 16, v7
.LBB249_546:                            ;   in Loop: Header=BB249_286 Depth=1
	s_or_b32 exec_lo, exec_lo, s19
.LBB249_547:                            ;   in Loop: Header=BB249_286 Depth=1
	s_or_b32 exec_lo, exec_lo, s18
.LBB249_548:                            ;   in Loop: Header=BB249_286 Depth=1
	s_or_b32 exec_lo, exec_lo, s17
	v_or_b32_e32 v1, v42, v43
	s_waitcnt vmcnt(0)
	v_fma_mixlo_f16 v8, v39, v42, 0 op_sel:[0,1,0] op_sel_hi:[0,1,0]
	v_or_b32_e32 v41, v40, v41
	v_fma_mixlo_f16 v40, v39, v40, 0 op_sel:[0,1,0] op_sel_hi:[0,1,0]
	v_or_b32_e32 v43, v46, v45
	v_or_b32_e32 v44, v7, v44
	v_fma_mixlo_f16 v42, v39, v1, 0 op_sel_hi:[0,1,0]
	v_lshlrev_b32_e32 v1, 16, v8
	v_lshlrev_b32_e32 v45, 16, v40
	v_fma_mixlo_f16 v8, v39, v41, 0 op_sel_hi:[0,1,0]
	v_fma_mixlo_f16 v40, v39, v46, 0 op_sel:[0,1,0] op_sel_hi:[0,1,0]
	v_fma_mixlo_f16 v41, v39, v43, 0 op_sel_hi:[0,1,0]
	v_fma_mixlo_f16 v7, v39, v7, 0 op_sel:[0,1,0] op_sel_hi:[0,1,0]
	v_fma_mixlo_f16 v39, v39, v44, 0 op_sel_hi:[0,1,0]
	v_and_b32_e32 v42, 0xffff, v42
	v_and_b32_e32 v47, 0xffff, v8
	v_lshlrev_b32_e32 v43, 16, v40
	v_and_b32_e32 v46, 0xffff, v41
	v_lshlrev_b32_e32 v8, 16, v7
	v_and_b32_e32 v44, 0xffff, v39
	v_or_b32_e32 v7, v1, v42
	v_or_b32_e32 v41, v45, v47
	;; [unrolled: 1-line block ×4, first 2 shown]
	s_and_saveexec_b32 s1, vcc_lo
	s_cbranch_execz .LBB249_285
; %bb.549:                              ;   in Loop: Header=BB249_286 Depth=1
	v_cmp_gt_i32_e32 vcc_lo, s11, v24
	v_cndmask_b32_e32 v7, 0, v47, vcc_lo
	v_cmp_gt_i32_e32 vcc_lo, s11, v30
	v_cndmask_b32_e32 v24, 0, v45, vcc_lo
	v_cmp_gt_i32_e32 vcc_lo, s11, v29
	v_or_b32_e32 v41, v24, v7
	v_cndmask_b32_e32 v29, 0, v42, vcc_lo
	v_cmp_gt_i32_e32 vcc_lo, s11, v28
	v_cndmask_b32_e32 v1, 0, v1, vcc_lo
	v_cmp_gt_i32_e32 vcc_lo, s11, v27
	v_or_b32_e32 v7, v1, v29
	v_cndmask_b32_e32 v27, 0, v46, vcc_lo
	v_cmp_gt_i32_e32 vcc_lo, s11, v26
	v_cndmask_b32_e32 v26, 0, v43, vcc_lo
	v_cmp_gt_i32_e32 vcc_lo, s11, v25
	v_or_b32_e32 v40, v26, v27
	v_cndmask_b32_e32 v25, 0, v44, vcc_lo
	v_cmp_gt_i32_e32 vcc_lo, s11, v17
	v_cndmask_b32_e32 v8, 0, v8, vcc_lo
	v_or_b32_e32 v39, v8, v25
	s_branch .LBB249_285
.LBB249_550:
	s_or_b32 exec_lo, exec_lo, s13
.LBB249_551:
	s_or_b32 exec_lo, exec_lo, s4
	v_lshl_add_u32 v2, v13, 2, 0x120
	v_and_b32_e32 v3, 0x3c0, v0
	s_mov_b32 s1, exec_lo
	s_barrier
	v_lshl_add_u32 v1, v11, 9, v2
	buffer_gl0_inv
	v_cmpx_eq_u32_e32 64, v3
	s_cbranch_execz .LBB249_553
; %bb.552:
	v_add_nc_u32_e32 v3, 0xfffffc00, v1
	v_add_nc_u32_e32 v4, 0xfffffc80, v1
	;; [unrolled: 1-line block ×4, first 2 shown]
	ds_write_b32 v3, v16
	ds_write_b32 v4, v15
	;; [unrolled: 1-line block ×4, first 2 shown]
.LBB249_553:
	s_or_b32 exec_lo, exec_lo, s1
	s_waitcnt lgkmcnt(0)
	s_barrier
	buffer_gl0_inv
	s_and_saveexec_b32 s1, s0
	s_cbranch_execz .LBB249_555
; %bb.554:
	ds_read2_b32 v[3:4], v1 offset1:32
	ds_read2_b32 v[5:6], v1 offset0:64 offset1:96
	s_waitcnt lgkmcnt(1)
	v_add_f32_e32 v16, v16, v3
	v_add_f32_e32 v15, v15, v4
	s_waitcnt lgkmcnt(0)
	v_add_f32_e32 v14, v14, v5
	v_add_f32_e32 v12, v12, v6
.LBB249_555:
	s_or_b32 exec_lo, exec_lo, s1
	v_and_b32_e32 v3, 0x3e0, v0
	s_mov_b32 s0, exec_lo
	s_barrier
	buffer_gl0_inv
	v_cmpx_eq_u32_e32 32, v3
	s_cbranch_execz .LBB249_557
; %bb.556:
	ds_write2_b32 v2, v16, v15 offset1:32
	ds_write2_b32 v2, v14, v12 offset0:64 offset1:96
.LBB249_557:
	s_or_b32 exec_lo, exec_lo, s0
	v_cmp_gt_u32_e32 vcc_lo, 32, v0
	s_waitcnt lgkmcnt(0)
	s_barrier
	buffer_gl0_inv
	s_and_saveexec_b32 s0, vcc_lo
	s_cbranch_execz .LBB249_559
; %bb.558:
	ds_read2_b32 v[2:3], v1 offset1:32
	ds_read2_b32 v[4:5], v1 offset0:64 offset1:96
	s_waitcnt lgkmcnt(1)
	v_add_f32_e32 v16, v16, v2
	v_add_f32_e32 v15, v15, v3
	s_waitcnt lgkmcnt(0)
	v_add_f32_e32 v14, v14, v4
	v_add_f32_e32 v12, v12, v5
.LBB249_559:
	s_or_b32 exec_lo, exec_lo, s0
	s_barrier
	buffer_gl0_inv
	s_and_saveexec_b32 s0, vcc_lo
	s_cbranch_execz .LBB249_561
; %bb.560:
	s_mul_i32 s0, s10, s7
	s_mul_i32 s2, s7, s6
	;; [unrolled: 1-line block ×3, first 2 shown]
	v_lshlrev_b32_e32 v0, 1, v0
	s_lshl_b32 s0, s0, 7
	;;#ASMSTART
	v_cvt_f16_f32 v1, v16;

	;;#ASMEND
	s_ashr_i32 s1, s0, 31
	s_lshl_b64 s[0:1], s[0:1], 1
	s_add_u32 s4, s20, s0
	s_addc_u32 s5, s21, s1
	s_ashr_i32 s3, s2, 31
	s_lshl_b64 s[0:1], s[2:3], 1
	s_add_u32 s2, s4, s0
	s_addc_u32 s3, s5, s1
	s_lshl_b32 s0, s8, 7
	s_ashr_i32 s1, s0, 31
	s_lshl_b64 s[0:1], s[0:1], 1
	s_add_u32 s0, s2, s0
	s_addc_u32 s1, s3, s1
	global_store_short v0, v1, s[0:1]
	;;#ASMSTART
	v_cvt_f16_f32 v1, v15;

	;;#ASMEND
	global_store_short v0, v1, s[0:1] offset:64
	;;#ASMSTART
	v_cvt_f16_f32 v1, v14;

	;;#ASMEND
	global_store_short v0, v1, s[0:1] offset:128
	;;#ASMSTART
	v_cvt_f16_f32 v1, v12;

	;;#ASMEND
	global_store_short v0, v1, s[0:1] offset:192
.LBB249_561:
	s_endpgm
	.section	.rodata,"a",@progbits
	.p2align	6, 0x0
	.amdhsa_kernel _ZN4vllm25paged_attention_v1_kernelIthLi128ELi8ELi128ELNS_18Fp8KVCacheDataTypeE1ELb0EEEvPT_PKS2_PKT0_S8_ifPKiSA_iPKfiiiSC_SC_iiiii
		.amdhsa_group_segment_fixed_size 288
		.amdhsa_private_segment_fixed_size 0
		.amdhsa_kernarg_size 384
		.amdhsa_user_sgpr_count 6
		.amdhsa_user_sgpr_private_segment_buffer 1
		.amdhsa_user_sgpr_dispatch_ptr 0
		.amdhsa_user_sgpr_queue_ptr 0
		.amdhsa_user_sgpr_kernarg_segment_ptr 1
		.amdhsa_user_sgpr_dispatch_id 0
		.amdhsa_user_sgpr_flat_scratch_init 0
		.amdhsa_user_sgpr_private_segment_size 0
		.amdhsa_wavefront_size32 1
		.amdhsa_uses_dynamic_stack 0
		.amdhsa_system_sgpr_private_segment_wavefront_offset 0
		.amdhsa_system_sgpr_workgroup_id_x 1
		.amdhsa_system_sgpr_workgroup_id_y 1
		.amdhsa_system_sgpr_workgroup_id_z 1
		.amdhsa_system_sgpr_workgroup_info 0
		.amdhsa_system_vgpr_workitem_id 0
		.amdhsa_next_free_vgpr 80
		.amdhsa_next_free_sgpr 36
		.amdhsa_reserve_vcc 1
		.amdhsa_reserve_flat_scratch 0
		.amdhsa_float_round_mode_32 0
		.amdhsa_float_round_mode_16_64 0
		.amdhsa_float_denorm_mode_32 3
		.amdhsa_float_denorm_mode_16_64 3
		.amdhsa_dx10_clamp 1
		.amdhsa_ieee_mode 1
		.amdhsa_fp16_overflow 0
		.amdhsa_workgroup_processor_mode 1
		.amdhsa_memory_ordered 1
		.amdhsa_forward_progress 1
		.amdhsa_shared_vgpr_count 0
		.amdhsa_exception_fp_ieee_invalid_op 0
		.amdhsa_exception_fp_denorm_src 0
		.amdhsa_exception_fp_ieee_div_zero 0
		.amdhsa_exception_fp_ieee_overflow 0
		.amdhsa_exception_fp_ieee_underflow 0
		.amdhsa_exception_fp_ieee_inexact 0
		.amdhsa_exception_int_div_zero 0
	.end_amdhsa_kernel
	.section	.text._ZN4vllm25paged_attention_v1_kernelIthLi128ELi8ELi128ELNS_18Fp8KVCacheDataTypeE1ELb0EEEvPT_PKS2_PKT0_S8_ifPKiSA_iPKfiiiSC_SC_iiiii,"axG",@progbits,_ZN4vllm25paged_attention_v1_kernelIthLi128ELi8ELi128ELNS_18Fp8KVCacheDataTypeE1ELb0EEEvPT_PKS2_PKT0_S8_ifPKiSA_iPKfiiiSC_SC_iiiii,comdat
.Lfunc_end249:
	.size	_ZN4vllm25paged_attention_v1_kernelIthLi128ELi8ELi128ELNS_18Fp8KVCacheDataTypeE1ELb0EEEvPT_PKS2_PKT0_S8_ifPKiSA_iPKfiiiSC_SC_iiiii, .Lfunc_end249-_ZN4vllm25paged_attention_v1_kernelIthLi128ELi8ELi128ELNS_18Fp8KVCacheDataTypeE1ELb0EEEvPT_PKS2_PKT0_S8_ifPKiSA_iPKfiiiSC_SC_iiiii
                                        ; -- End function
	.set _ZN4vllm25paged_attention_v1_kernelIthLi128ELi8ELi128ELNS_18Fp8KVCacheDataTypeE1ELb0EEEvPT_PKS2_PKT0_S8_ifPKiSA_iPKfiiiSC_SC_iiiii.num_vgpr, 80
	.set _ZN4vllm25paged_attention_v1_kernelIthLi128ELi8ELi128ELNS_18Fp8KVCacheDataTypeE1ELb0EEEvPT_PKS2_PKT0_S8_ifPKiSA_iPKfiiiSC_SC_iiiii.num_agpr, 0
	.set _ZN4vllm25paged_attention_v1_kernelIthLi128ELi8ELi128ELNS_18Fp8KVCacheDataTypeE1ELb0EEEvPT_PKS2_PKT0_S8_ifPKiSA_iPKfiiiSC_SC_iiiii.numbered_sgpr, 36
	.set _ZN4vllm25paged_attention_v1_kernelIthLi128ELi8ELi128ELNS_18Fp8KVCacheDataTypeE1ELb0EEEvPT_PKS2_PKT0_S8_ifPKiSA_iPKfiiiSC_SC_iiiii.num_named_barrier, 0
	.set _ZN4vllm25paged_attention_v1_kernelIthLi128ELi8ELi128ELNS_18Fp8KVCacheDataTypeE1ELb0EEEvPT_PKS2_PKT0_S8_ifPKiSA_iPKfiiiSC_SC_iiiii.private_seg_size, 0
	.set _ZN4vllm25paged_attention_v1_kernelIthLi128ELi8ELi128ELNS_18Fp8KVCacheDataTypeE1ELb0EEEvPT_PKS2_PKT0_S8_ifPKiSA_iPKfiiiSC_SC_iiiii.uses_vcc, 1
	.set _ZN4vllm25paged_attention_v1_kernelIthLi128ELi8ELi128ELNS_18Fp8KVCacheDataTypeE1ELb0EEEvPT_PKS2_PKT0_S8_ifPKiSA_iPKfiiiSC_SC_iiiii.uses_flat_scratch, 0
	.set _ZN4vllm25paged_attention_v1_kernelIthLi128ELi8ELi128ELNS_18Fp8KVCacheDataTypeE1ELb0EEEvPT_PKS2_PKT0_S8_ifPKiSA_iPKfiiiSC_SC_iiiii.has_dyn_sized_stack, 0
	.set _ZN4vllm25paged_attention_v1_kernelIthLi128ELi8ELi128ELNS_18Fp8KVCacheDataTypeE1ELb0EEEvPT_PKS2_PKT0_S8_ifPKiSA_iPKfiiiSC_SC_iiiii.has_recursion, 0
	.set _ZN4vllm25paged_attention_v1_kernelIthLi128ELi8ELi128ELNS_18Fp8KVCacheDataTypeE1ELb0EEEvPT_PKS2_PKT0_S8_ifPKiSA_iPKfiiiSC_SC_iiiii.has_indirect_call, 0
	.section	.AMDGPU.csdata,"",@progbits
; Kernel info:
; codeLenInByte = 19332
; TotalNumSgprs: 38
; NumVgprs: 80
; ScratchSize: 0
; MemoryBound: 0
; FloatMode: 240
; IeeeMode: 1
; LDSByteSize: 288 bytes/workgroup (compile time only)
; SGPRBlocks: 0
; VGPRBlocks: 9
; NumSGPRsForWavesPerEU: 38
; NumVGPRsForWavesPerEU: 80
; Occupancy: 12
; WaveLimiterHint : 1
; COMPUTE_PGM_RSRC2:SCRATCH_EN: 0
; COMPUTE_PGM_RSRC2:USER_SGPR: 6
; COMPUTE_PGM_RSRC2:TRAP_HANDLER: 0
; COMPUTE_PGM_RSRC2:TGID_X_EN: 1
; COMPUTE_PGM_RSRC2:TGID_Y_EN: 1
; COMPUTE_PGM_RSRC2:TGID_Z_EN: 1
; COMPUTE_PGM_RSRC2:TIDIG_COMP_CNT: 0
	.section	.text._ZN4vllm25paged_attention_v1_kernelIthLi192ELi8ELi128ELNS_18Fp8KVCacheDataTypeE1ELb0EEEvPT_PKS2_PKT0_S8_ifPKiSA_iPKfiiiSC_SC_iiiii,"axG",@progbits,_ZN4vllm25paged_attention_v1_kernelIthLi192ELi8ELi128ELNS_18Fp8KVCacheDataTypeE1ELb0EEEvPT_PKS2_PKT0_S8_ifPKiSA_iPKfiiiSC_SC_iiiii,comdat
	.protected	_ZN4vllm25paged_attention_v1_kernelIthLi192ELi8ELi128ELNS_18Fp8KVCacheDataTypeE1ELb0EEEvPT_PKS2_PKT0_S8_ifPKiSA_iPKfiiiSC_SC_iiiii ; -- Begin function _ZN4vllm25paged_attention_v1_kernelIthLi192ELi8ELi128ELNS_18Fp8KVCacheDataTypeE1ELb0EEEvPT_PKS2_PKT0_S8_ifPKiSA_iPKfiiiSC_SC_iiiii
	.globl	_ZN4vllm25paged_attention_v1_kernelIthLi192ELi8ELi128ELNS_18Fp8KVCacheDataTypeE1ELb0EEEvPT_PKS2_PKT0_S8_ifPKiSA_iPKfiiiSC_SC_iiiii
	.p2align	8
	.type	_ZN4vllm25paged_attention_v1_kernelIthLi192ELi8ELi128ELNS_18Fp8KVCacheDataTypeE1ELb0EEEvPT_PKS2_PKT0_S8_ifPKiSA_iPKfiiiSC_SC_iiiii,@function
_ZN4vllm25paged_attention_v1_kernelIthLi192ELi8ELi128ELNS_18Fp8KVCacheDataTypeE1ELb0EEEvPT_PKS2_PKT0_S8_ifPKiSA_iPKfiiiSC_SC_iiiii: ; @_ZN4vllm25paged_attention_v1_kernelIthLi192ELi8ELi128ELNS_18Fp8KVCacheDataTypeE1ELb0EEEvPT_PKS2_PKT0_S8_ifPKiSA_iPKfiiiSC_SC_iiiii
; %bb.0:
	s_clause 0x2
	s_load_dword s9, s[4:5], 0x80
	s_load_dwordx2 s[0:1], s[4:5], 0x30
	s_load_dwordx2 s[28:29], s[4:5], 0x20
	s_mov_b32 s10, s7
	s_ashr_i32 s11, s7, 31
	s_lshl_b64 s[2:3], s[10:11], 2
	s_waitcnt lgkmcnt(0)
	s_add_u32 s0, s0, s2
	s_addc_u32 s1, s1, s3
	s_abs_i32 s2, s28
	s_abs_i32 s11, s9
	v_cvt_f32_u32_e32 v1, s2
	s_sub_i32 s7, 0, s2
	v_rcp_iflag_f32_e32 v1, v1
	v_mul_f32_e32 v1, 0x4f7ffffe, v1
	v_cvt_u32_f32_e32 v1, v1
	v_readfirstlane_b32 s3, v1
	s_mul_i32 s7, s7, s3
	s_mul_hi_u32 s7, s3, s7
	s_add_i32 s3, s3, s7
	s_xor_b32 s7, s9, s28
	s_mul_hi_u32 s3, s11, s3
	s_ashr_i32 s7, s7, 31
	s_mul_i32 s12, s3, s2
	s_mov_b32 s28, 0
	s_sub_i32 s11, s11, s12
	s_add_i32 s12, s3, 1
	s_sub_i32 s13, s11, s2
	s_cmp_ge_u32 s11, s2
	s_cselect_b32 s3, s12, s3
	s_cselect_b32 s11, s13, s11
	s_add_i32 s12, s3, 1
	s_cmp_ge_u32 s11, s2
	s_cselect_b32 s2, s12, s3
	s_abs_i32 s13, s6
	s_xor_b32 s2, s2, s7
	s_sub_i32 s15, s2, s7
	s_load_dwordx2 s[2:3], s[4:5], 0x40
	s_abs_i32 s12, s15
	v_cvt_f32_u32_e32 v1, s12
	s_sub_i32 s11, 0, s12
	v_rcp_iflag_f32_e32 v1, v1
	v_mul_f32_e32 v1, 0x4f7ffffe, v1
	v_cvt_u32_f32_e32 v1, v1
	v_readfirstlane_b32 s7, v1
	s_mul_i32 s11, s11, s7
	s_mul_hi_u32 s11, s7, s11
	s_add_i32 s7, s7, s11
	s_waitcnt lgkmcnt(0)
	s_cmp_eq_u64 s[2:3], 0
	s_mul_hi_u32 s14, s13, s7
	s_cbranch_scc1 .LBB250_2
; %bb.1:
	s_ashr_i32 s7, s6, 31
	s_lshl_b64 s[16:17], s[6:7], 2
	s_add_u32 s2, s2, s16
	s_addc_u32 s3, s3, s17
	s_load_dword s28, s[2:3], 0x0
.LBB250_2:
	s_load_dword s11, s[0:1], 0x0
	s_load_dwordx4 s[16:19], s[4:5], 0x48
	v_and_b32_e32 v1, 3, v0
	s_ashr_i32 s0, s6, 31
	s_ashr_i32 s1, s15, 31
	s_mulk_i32 s6, 0xc0
	s_mov_b32 s2, exec_lo
	v_cmpx_gt_u32_e32 0x60, v0
	s_cbranch_execz .LBB250_4
; %bb.3:
	s_load_dwordx2 s[20:21], s[4:5], 0x8
	s_waitcnt lgkmcnt(0)
	s_mul_i32 s22, s16, s10
	v_lshlrev_b32_e32 v2, 2, v0
	s_ashr_i32 s23, s22, 31
	v_and_b32_e32 v3, 0x3fc, v0
	s_lshl_b64 s[22:23], s[22:23], 1
	v_mad_u32_u24 v3, 0x60, v1, v3
	s_add_u32 s3, s20, s22
	s_addc_u32 s15, s21, s23
	s_ashr_i32 s7, s6, 31
	s_lshl_b64 s[20:21], s[6:7], 1
	s_add_u32 s20, s3, s20
	s_addc_u32 s21, s15, s21
	global_load_dword v2, v2, s[20:21]
	s_waitcnt vmcnt(0)
	ds_write_b32 v3, v2
.LBB250_4:
	s_or_b32 exec_lo, exec_lo, s2
	s_waitcnt lgkmcnt(0)
	s_add_i32 s2, s11, 7
	s_clause 0x1
	s_load_dwordx2 s[22:23], s[4:5], 0x28
	s_load_dword s7, s[4:5], 0x38
	s_ashr_i32 s3, s2, 31
	s_xor_b32 s0, s0, s1
	s_lshr_b32 s3, s3, 29
	s_mul_i32 s1, s14, s12
	s_add_i32 s2, s2, s3
	s_sub_i32 s1, s13, s1
	s_ashr_i32 s16, s2, 3
	s_add_i32 s2, s14, 1
	s_sub_i32 s3, s1, s12
	s_cmp_ge_u32 s1, s12
	v_lshrrev_b32_e32 v11, 5, v0
	s_cselect_b32 s2, s2, s14
	s_cselect_b32 s1, s3, s1
	s_add_i32 s3, s2, 1
	s_cmp_ge_u32 s1, s12
	v_mbcnt_lo_u32_b32 v10, -1, 0
	s_cselect_b32 s1, s3, s2
	s_mov_b32 s2, exec_lo
	s_xor_b32 s1, s1, s0
	s_waitcnt lgkmcnt(0)
	s_mul_i32 s24, s7, s10
	s_sub_i32 s1, s1, s0
	v_cmp_gt_i32_e64 s0, s16, v11
	s_ashr_i32 s25, s24, 31
	s_barrier
	buffer_gl0_inv
                                        ; implicit-def: $vgpr2
                                        ; implicit-def: $vgpr12
	v_cmpx_le_i32_e64 s16, v11
	s_xor_b32 s2, exec_lo, s2
; %bb.5:
	v_mov_b32_e32 v2, 0
	v_mbcnt_lo_u32_b32 v10, -1, 0
	v_mov_b32_e32 v12, 32
                                        ; implicit-def: $vgpr1
; %bb.6:
	s_or_saveexec_b32 s19, s2
	s_clause 0x3
	s_load_dwordx2 s[20:21], s[4:5], 0x0
	s_load_dwordx2 s[26:27], s[4:5], 0x18
	s_load_dword s7, s[4:5], 0x88
	s_load_dwordx4 s[12:15], s[4:5], 0x58
	v_mov_b32_e32 v13, 0xff7fffff
	v_lshrrev_b32_e32 v9, 3, v0
	s_mul_i32 s18, s1, s18
	s_xor_b32 exec_lo, exec_lo, s19
	s_cbranch_execz .LBB250_396
; %bb.7:
	s_load_dwordx2 s[2:3], s[4:5], 0x10
	v_bfe_u32 v3, v0, 2, 3
	v_lshlrev_b32_e32 v5, 1, v1
	v_mul_u32_u24_e32 v14, 0x60, v1
	v_cmp_eq_u32_e32 vcc_lo, 0, v1
	s_ashr_i32 s4, s18, 31
	v_lshlrev_b32_e32 v4, 2, v3
	v_and_b32_e32 v6, 0x7c, v9
	v_lshl_or_b32 v15, v11, 3, v3
	v_mov_b32_e32 v2, 0
	v_cmp_neq_f32_e64 s1, s28, 0
	v_lshl_or_b32 v1, v11, 5, v4
	v_lshlrev_b32_e32 v4, 4, v3
	v_mov_b32_e32 v13, 0xff7fffff
	v_mov_b32_e32 v12, 32
	;; [unrolled: 1-line block ×3, first 2 shown]
	v_add_nc_u32_e32 v16, 0x1a0, v1
	v_mov_b32_e32 v18, 0x7f
	v_mov_b32_e32 v19, 7
	;; [unrolled: 1-line block ×3, first 2 shown]
	s_waitcnt lgkmcnt(0)
	s_add_u32 s5, s2, s18
	s_addc_u32 s30, s3, s4
	v_add_co_u32 v1, s5, s5, v4
	v_add_co_ci_u32_e64 v4, null, s30, 0, s5
	s_lshl_b64 s[2:3], s[24:25], 2
	s_sub_i32 s4, 1, s11
	s_add_u32 s5, s22, s2
	v_add_co_u32 v3, s2, v1, v5
	s_addc_u32 s3, s23, s3
	v_add_co_ci_u32_e64 v4, null, 0, v4, s2
	v_add_co_u32 v5, s2, s5, v6
	v_add_co_ci_u32_e64 v6, null, s3, 0, s2
	v_mov_b32_e32 v21, v11
	s_mov_b32 s30, s17
	s_mov_b32 s5, 0
	s_branch .LBB250_9
.LBB250_8:                              ;   in Loop: Header=BB250_9 Depth=1
	s_or_b32 exec_lo, exec_lo, s3
	v_add_nc_u32_e32 v21, 4, v21
	v_add_co_u32 v5, s3, v5, 16
	v_add_nc_u32_e32 v15, 32, v15
	v_add_nc_u32_e32 v16, 0x80, v16
	v_cmp_le_i32_e64 s2, s16, v21
	v_add_co_ci_u32_e64 v6, null, 0, v6, s3
	s_or_b32 s5, s2, s5
	s_andn2_b32 exec_lo, exec_lo, s5
	s_cbranch_execz .LBB250_395
.LBB250_9:                              ; =>This Inner Loop Header: Depth=1
	global_load_dword v1, v[5:6], off
	s_waitcnt vmcnt(0) lgkmcnt(0)
	v_mad_i64_i32 v[7:8], null, v1, s30, v[3:4]
	global_load_ushort v23, v[7:8], off
	global_load_dword v22, v2, s[12:13]
	s_waitcnt vmcnt(1)
	v_and_b32_e32 v1, 0xffff, v23
	v_cmp_ne_u16_sdwa s2, v23, v2 src0_sel:BYTE_0 src1_sel:DWORD
	v_mov_b32_e32 v23, 0
	s_and_saveexec_b32 s3, s2
	s_cbranch_execz .LBB250_17
; %bb.10:                               ;   in Loop: Header=BB250_9 Depth=1
	v_cmp_ne_u16_sdwa s2, v1, v17 src0_sel:BYTE_0 src1_sel:DWORD
	v_mov_b32_e32 v23, 0x8000
	s_and_saveexec_b32 s31, s2
	s_cbranch_execz .LBB250_16
; %bb.11:                               ;   in Loop: Header=BB250_9 Depth=1
	v_and_b32_e32 v25, 0x7f, v1
	v_mov_b32_e32 v23, 0x7c01
	s_mov_b32 s33, exec_lo
	v_cmpx_ne_u32_e32 0x7f, v25
	s_cbranch_execz .LBB250_15
; %bb.12:                               ;   in Loop: Header=BB250_9 Depth=1
	v_and_b32_e32 v23, 7, v1
	v_lshrrev_b32_e32 v24, 3, v25
	s_mov_b32 s34, exec_lo
	v_cmpx_gt_u32_e32 8, v25
; %bb.13:                               ;   in Loop: Header=BB250_9 Depth=1
	v_ffbh_u32_e32 v23, v23
	v_min_u32_e32 v25, 32, v23
	v_subrev_nc_u32_e32 v23, 28, v25
	v_lshlrev_b64 v[23:24], v23, v[1:2]
	v_sub_nc_u32_e32 v24, 29, v25
	v_and_b32_e32 v23, 7, v23
; %bb.14:                               ;   in Loop: Header=BB250_9 Depth=1
	s_or_b32 exec_lo, exec_lo, s34
	v_lshlrev_b32_e32 v25, 8, v1
	v_lshl_add_u32 v24, v24, 10, 0x2000
	v_lshlrev_b32_e32 v23, 7, v23
	v_and_b32_e32 v25, 0x8000, v25
	v_and_b32_e32 v24, 0xfc00, v24
	v_or3_b32 v23, v25, v24, v23
.LBB250_15:                             ;   in Loop: Header=BB250_9 Depth=1
	s_or_b32 exec_lo, exec_lo, s33
.LBB250_16:                             ;   in Loop: Header=BB250_9 Depth=1
	s_or_b32 exec_lo, exec_lo, s31
.LBB250_17:                             ;   in Loop: Header=BB250_9 Depth=1
	s_or_b32 exec_lo, exec_lo, s3
	v_lshrrev_b16 v1, 8, v1
	v_mov_b32_e32 v24, 0
	s_mov_b32 s3, exec_lo
	v_cmpx_ne_u16_e32 0, v1
	s_cbranch_execz .LBB250_25
; %bb.18:                               ;   in Loop: Header=BB250_9 Depth=1
	v_bfrev_b32_e32 v24, 1
	s_mov_b32 s31, exec_lo
	v_cmpx_ne_u16_e32 0x80, v1
	s_cbranch_execz .LBB250_24
; %bb.19:                               ;   in Loop: Header=BB250_9 Depth=1
	v_and_b32_sdwa v26, v1, v18 dst_sel:DWORD dst_unused:UNUSED_PAD src0_sel:WORD_0 src1_sel:DWORD
	v_mov_b32_e32 v24, 0x7c010000
	s_mov_b32 s33, exec_lo
	v_cmpx_ne_u32_e32 0x7f, v26
	s_cbranch_execz .LBB250_23
; %bb.20:                               ;   in Loop: Header=BB250_9 Depth=1
	v_and_b32_sdwa v24, v1, v19 dst_sel:DWORD dst_unused:UNUSED_PAD src0_sel:WORD_0 src1_sel:DWORD
	v_lshrrev_b32_e32 v25, 3, v26
	s_mov_b32 s34, exec_lo
	v_cmpx_gt_u32_e32 8, v26
; %bb.21:                               ;   in Loop: Header=BB250_9 Depth=1
	v_ffbh_u32_e32 v24, v24
	v_min_u32_e32 v26, 32, v24
	v_subrev_nc_u32_e32 v24, 28, v26
	v_lshlrev_b64 v[24:25], v24, v[1:2]
	v_sub_nc_u32_e32 v25, 29, v26
	v_and_b32_e32 v24, 7, v24
; %bb.22:                               ;   in Loop: Header=BB250_9 Depth=1
	s_or_b32 exec_lo, exec_lo, s34
	v_lshlrev_b32_sdwa v1, v20, v1 dst_sel:DWORD dst_unused:UNUSED_PAD src0_sel:DWORD src1_sel:WORD_0
	v_lshl_add_u32 v25, v25, 10, 0x2000
	v_lshlrev_b32_e32 v24, 23, v24
	v_and_or_b32 v1, 0x8000, v1, v25
	v_lshl_or_b32 v24, v1, 16, v24
.LBB250_23:                             ;   in Loop: Header=BB250_9 Depth=1
	s_or_b32 exec_lo, exec_lo, s33
.LBB250_24:                             ;   in Loop: Header=BB250_9 Depth=1
	s_or_b32 exec_lo, exec_lo, s31
.LBB250_25:                             ;   in Loop: Header=BB250_9 Depth=1
	s_or_b32 exec_lo, exec_lo, s3
	global_load_ushort v26, v[7:8], off offset:8
	v_mov_b32_e32 v25, 0
	s_waitcnt vmcnt(0)
	v_and_b32_e32 v1, 0xffff, v26
	v_cmp_ne_u16_sdwa s2, v26, v2 src0_sel:BYTE_0 src1_sel:DWORD
	v_mov_b32_e32 v26, 0
	s_and_saveexec_b32 s3, s2
	s_cbranch_execz .LBB250_33
; %bb.26:                               ;   in Loop: Header=BB250_9 Depth=1
	v_cmp_ne_u16_sdwa s2, v1, v17 src0_sel:BYTE_0 src1_sel:DWORD
	v_mov_b32_e32 v26, 0x8000
	s_and_saveexec_b32 s31, s2
	s_cbranch_execz .LBB250_32
; %bb.27:                               ;   in Loop: Header=BB250_9 Depth=1
	v_and_b32_e32 v28, 0x7f, v1
	v_mov_b32_e32 v26, 0x7c01
	s_mov_b32 s33, exec_lo
	v_cmpx_ne_u32_e32 0x7f, v28
	s_cbranch_execz .LBB250_31
; %bb.28:                               ;   in Loop: Header=BB250_9 Depth=1
	v_and_b32_e32 v26, 7, v1
	v_lshrrev_b32_e32 v27, 3, v28
	s_mov_b32 s34, exec_lo
	v_cmpx_gt_u32_e32 8, v28
; %bb.29:                               ;   in Loop: Header=BB250_9 Depth=1
	v_ffbh_u32_e32 v26, v26
	v_min_u32_e32 v28, 32, v26
	v_subrev_nc_u32_e32 v26, 28, v28
	v_lshlrev_b64 v[26:27], v26, v[1:2]
	v_sub_nc_u32_e32 v27, 29, v28
	v_and_b32_e32 v26, 7, v26
; %bb.30:                               ;   in Loop: Header=BB250_9 Depth=1
	s_or_b32 exec_lo, exec_lo, s34
	v_lshlrev_b32_e32 v28, 8, v1
	v_lshl_add_u32 v27, v27, 10, 0x2000
	v_lshlrev_b32_e32 v26, 7, v26
	v_and_b32_e32 v28, 0x8000, v28
	v_and_b32_e32 v27, 0xfc00, v27
	v_or3_b32 v26, v28, v27, v26
.LBB250_31:                             ;   in Loop: Header=BB250_9 Depth=1
	s_or_b32 exec_lo, exec_lo, s33
.LBB250_32:                             ;   in Loop: Header=BB250_9 Depth=1
	s_or_b32 exec_lo, exec_lo, s31
.LBB250_33:                             ;   in Loop: Header=BB250_9 Depth=1
	s_or_b32 exec_lo, exec_lo, s3
	v_lshrrev_b16 v1, 8, v1
	s_mov_b32 s3, exec_lo
	v_cmpx_ne_u16_e32 0, v1
	s_cbranch_execz .LBB250_41
; %bb.34:                               ;   in Loop: Header=BB250_9 Depth=1
	v_bfrev_b32_e32 v25, 1
	s_mov_b32 s31, exec_lo
	v_cmpx_ne_u16_e32 0x80, v1
	s_cbranch_execz .LBB250_40
; %bb.35:                               ;   in Loop: Header=BB250_9 Depth=1
	v_and_b32_sdwa v28, v1, v18 dst_sel:DWORD dst_unused:UNUSED_PAD src0_sel:WORD_0 src1_sel:DWORD
	v_mov_b32_e32 v25, 0x7c010000
	s_mov_b32 s33, exec_lo
	v_cmpx_ne_u32_e32 0x7f, v28
	s_cbranch_execz .LBB250_39
; %bb.36:                               ;   in Loop: Header=BB250_9 Depth=1
	v_and_b32_sdwa v25, v1, v19 dst_sel:DWORD dst_unused:UNUSED_PAD src0_sel:WORD_0 src1_sel:DWORD
	v_lshrrev_b32_e32 v27, 3, v28
	s_mov_b32 s34, exec_lo
	v_cmpx_gt_u32_e32 8, v28
; %bb.37:                               ;   in Loop: Header=BB250_9 Depth=1
	v_ffbh_u32_e32 v25, v25
	v_min_u32_e32 v25, 32, v25
	v_subrev_nc_u32_e32 v27, 28, v25
	v_lshlrev_b64 v[28:29], v27, v[1:2]
	v_sub_nc_u32_e32 v27, 29, v25
	v_and_b32_e32 v25, 7, v28
; %bb.38:                               ;   in Loop: Header=BB250_9 Depth=1
	s_or_b32 exec_lo, exec_lo, s34
	v_lshlrev_b32_sdwa v1, v20, v1 dst_sel:DWORD dst_unused:UNUSED_PAD src0_sel:DWORD src1_sel:WORD_0
	v_lshl_add_u32 v27, v27, 10, 0x2000
	v_lshlrev_b32_e32 v25, 23, v25
	v_and_or_b32 v1, 0x8000, v1, v27
	v_lshl_or_b32 v25, v1, 16, v25
.LBB250_39:                             ;   in Loop: Header=BB250_9 Depth=1
	s_or_b32 exec_lo, exec_lo, s33
.LBB250_40:                             ;   in Loop: Header=BB250_9 Depth=1
	s_or_b32 exec_lo, exec_lo, s31
.LBB250_41:                             ;   in Loop: Header=BB250_9 Depth=1
	s_or_b32 exec_lo, exec_lo, s3
	global_load_ushort v28, v[7:8], off offset:128
	v_mov_b32_e32 v27, 0
	s_waitcnt vmcnt(0)
	v_and_b32_e32 v1, 0xffff, v28
	v_cmp_ne_u16_sdwa s2, v28, v2 src0_sel:BYTE_0 src1_sel:DWORD
	v_mov_b32_e32 v28, 0
	s_and_saveexec_b32 s3, s2
	s_cbranch_execz .LBB250_49
; %bb.42:                               ;   in Loop: Header=BB250_9 Depth=1
	v_cmp_ne_u16_sdwa s2, v1, v17 src0_sel:BYTE_0 src1_sel:DWORD
	v_mov_b32_e32 v28, 0x8000
	s_and_saveexec_b32 s31, s2
	s_cbranch_execz .LBB250_48
; %bb.43:                               ;   in Loop: Header=BB250_9 Depth=1
	v_and_b32_e32 v30, 0x7f, v1
	v_mov_b32_e32 v28, 0x7c01
	s_mov_b32 s33, exec_lo
	v_cmpx_ne_u32_e32 0x7f, v30
	s_cbranch_execz .LBB250_47
; %bb.44:                               ;   in Loop: Header=BB250_9 Depth=1
	v_and_b32_e32 v28, 7, v1
	v_lshrrev_b32_e32 v29, 3, v30
	s_mov_b32 s34, exec_lo
	v_cmpx_gt_u32_e32 8, v30
; %bb.45:                               ;   in Loop: Header=BB250_9 Depth=1
	v_ffbh_u32_e32 v28, v28
	v_min_u32_e32 v30, 32, v28
	v_subrev_nc_u32_e32 v28, 28, v30
	v_lshlrev_b64 v[28:29], v28, v[1:2]
	v_sub_nc_u32_e32 v29, 29, v30
	v_and_b32_e32 v28, 7, v28
; %bb.46:                               ;   in Loop: Header=BB250_9 Depth=1
	s_or_b32 exec_lo, exec_lo, s34
	v_lshlrev_b32_e32 v30, 8, v1
	v_lshl_add_u32 v29, v29, 10, 0x2000
	v_lshlrev_b32_e32 v28, 7, v28
	v_and_b32_e32 v30, 0x8000, v30
	v_and_b32_e32 v29, 0xfc00, v29
	v_or3_b32 v28, v30, v29, v28
.LBB250_47:                             ;   in Loop: Header=BB250_9 Depth=1
	s_or_b32 exec_lo, exec_lo, s33
.LBB250_48:                             ;   in Loop: Header=BB250_9 Depth=1
	s_or_b32 exec_lo, exec_lo, s31
.LBB250_49:                             ;   in Loop: Header=BB250_9 Depth=1
	s_or_b32 exec_lo, exec_lo, s3
	v_lshrrev_b16 v1, 8, v1
	s_mov_b32 s3, exec_lo
	v_cmpx_ne_u16_e32 0, v1
	s_cbranch_execz .LBB250_57
; %bb.50:                               ;   in Loop: Header=BB250_9 Depth=1
	v_bfrev_b32_e32 v27, 1
	s_mov_b32 s31, exec_lo
	v_cmpx_ne_u16_e32 0x80, v1
	s_cbranch_execz .LBB250_56
; %bb.51:                               ;   in Loop: Header=BB250_9 Depth=1
	v_and_b32_sdwa v30, v1, v18 dst_sel:DWORD dst_unused:UNUSED_PAD src0_sel:WORD_0 src1_sel:DWORD
	v_mov_b32_e32 v27, 0x7c010000
	s_mov_b32 s33, exec_lo
	v_cmpx_ne_u32_e32 0x7f, v30
	s_cbranch_execz .LBB250_55
; %bb.52:                               ;   in Loop: Header=BB250_9 Depth=1
	v_and_b32_sdwa v27, v1, v19 dst_sel:DWORD dst_unused:UNUSED_PAD src0_sel:WORD_0 src1_sel:DWORD
	v_lshrrev_b32_e32 v29, 3, v30
	s_mov_b32 s34, exec_lo
	v_cmpx_gt_u32_e32 8, v30
; %bb.53:                               ;   in Loop: Header=BB250_9 Depth=1
	v_ffbh_u32_e32 v27, v27
	v_min_u32_e32 v27, 32, v27
	v_subrev_nc_u32_e32 v29, 28, v27
	v_lshlrev_b64 v[30:31], v29, v[1:2]
	v_sub_nc_u32_e32 v29, 29, v27
	v_and_b32_e32 v27, 7, v30
; %bb.54:                               ;   in Loop: Header=BB250_9 Depth=1
	s_or_b32 exec_lo, exec_lo, s34
	v_lshlrev_b32_sdwa v1, v20, v1 dst_sel:DWORD dst_unused:UNUSED_PAD src0_sel:DWORD src1_sel:WORD_0
	v_lshl_add_u32 v29, v29, 10, 0x2000
	v_lshlrev_b32_e32 v27, 23, v27
	v_and_or_b32 v1, 0x8000, v1, v29
	v_lshl_or_b32 v27, v1, 16, v27
.LBB250_55:                             ;   in Loop: Header=BB250_9 Depth=1
	s_or_b32 exec_lo, exec_lo, s33
.LBB250_56:                             ;   in Loop: Header=BB250_9 Depth=1
	s_or_b32 exec_lo, exec_lo, s31
.LBB250_57:                             ;   in Loop: Header=BB250_9 Depth=1
	s_or_b32 exec_lo, exec_lo, s3
	global_load_ushort v30, v[7:8], off offset:136
	v_mov_b32_e32 v29, 0
	s_waitcnt vmcnt(0)
	v_and_b32_e32 v1, 0xffff, v30
	v_cmp_ne_u16_sdwa s2, v30, v2 src0_sel:BYTE_0 src1_sel:DWORD
	v_mov_b32_e32 v30, 0
	s_and_saveexec_b32 s3, s2
	s_cbranch_execz .LBB250_65
; %bb.58:                               ;   in Loop: Header=BB250_9 Depth=1
	v_cmp_ne_u16_sdwa s2, v1, v17 src0_sel:BYTE_0 src1_sel:DWORD
	v_mov_b32_e32 v30, 0x8000
	s_and_saveexec_b32 s31, s2
	s_cbranch_execz .LBB250_64
; %bb.59:                               ;   in Loop: Header=BB250_9 Depth=1
	v_and_b32_e32 v32, 0x7f, v1
	v_mov_b32_e32 v30, 0x7c01
	s_mov_b32 s33, exec_lo
	v_cmpx_ne_u32_e32 0x7f, v32
	s_cbranch_execz .LBB250_63
; %bb.60:                               ;   in Loop: Header=BB250_9 Depth=1
	v_and_b32_e32 v30, 7, v1
	v_lshrrev_b32_e32 v31, 3, v32
	s_mov_b32 s34, exec_lo
	v_cmpx_gt_u32_e32 8, v32
; %bb.61:                               ;   in Loop: Header=BB250_9 Depth=1
	v_ffbh_u32_e32 v30, v30
	v_min_u32_e32 v32, 32, v30
	v_subrev_nc_u32_e32 v30, 28, v32
	v_lshlrev_b64 v[30:31], v30, v[1:2]
	v_sub_nc_u32_e32 v31, 29, v32
	v_and_b32_e32 v30, 7, v30
; %bb.62:                               ;   in Loop: Header=BB250_9 Depth=1
	s_or_b32 exec_lo, exec_lo, s34
	v_lshlrev_b32_e32 v32, 8, v1
	v_lshl_add_u32 v31, v31, 10, 0x2000
	v_lshlrev_b32_e32 v30, 7, v30
	v_and_b32_e32 v32, 0x8000, v32
	v_and_b32_e32 v31, 0xfc00, v31
	v_or3_b32 v30, v32, v31, v30
.LBB250_63:                             ;   in Loop: Header=BB250_9 Depth=1
	s_or_b32 exec_lo, exec_lo, s33
.LBB250_64:                             ;   in Loop: Header=BB250_9 Depth=1
	s_or_b32 exec_lo, exec_lo, s31
.LBB250_65:                             ;   in Loop: Header=BB250_9 Depth=1
	s_or_b32 exec_lo, exec_lo, s3
	v_lshrrev_b16 v1, 8, v1
	s_mov_b32 s3, exec_lo
	v_cmpx_ne_u16_e32 0, v1
	s_cbranch_execz .LBB250_73
; %bb.66:                               ;   in Loop: Header=BB250_9 Depth=1
	v_bfrev_b32_e32 v29, 1
	s_mov_b32 s31, exec_lo
	v_cmpx_ne_u16_e32 0x80, v1
	s_cbranch_execz .LBB250_72
; %bb.67:                               ;   in Loop: Header=BB250_9 Depth=1
	v_and_b32_sdwa v32, v1, v18 dst_sel:DWORD dst_unused:UNUSED_PAD src0_sel:WORD_0 src1_sel:DWORD
	v_mov_b32_e32 v29, 0x7c010000
	s_mov_b32 s33, exec_lo
	v_cmpx_ne_u32_e32 0x7f, v32
	s_cbranch_execz .LBB250_71
; %bb.68:                               ;   in Loop: Header=BB250_9 Depth=1
	v_and_b32_sdwa v29, v1, v19 dst_sel:DWORD dst_unused:UNUSED_PAD src0_sel:WORD_0 src1_sel:DWORD
	v_lshrrev_b32_e32 v31, 3, v32
	s_mov_b32 s34, exec_lo
	v_cmpx_gt_u32_e32 8, v32
; %bb.69:                               ;   in Loop: Header=BB250_9 Depth=1
	v_ffbh_u32_e32 v29, v29
	v_min_u32_e32 v29, 32, v29
	v_subrev_nc_u32_e32 v31, 28, v29
	v_lshlrev_b64 v[32:33], v31, v[1:2]
	v_sub_nc_u32_e32 v31, 29, v29
	v_and_b32_e32 v29, 7, v32
; %bb.70:                               ;   in Loop: Header=BB250_9 Depth=1
	s_or_b32 exec_lo, exec_lo, s34
	v_lshlrev_b32_sdwa v1, v20, v1 dst_sel:DWORD dst_unused:UNUSED_PAD src0_sel:DWORD src1_sel:WORD_0
	v_lshl_add_u32 v31, v31, 10, 0x2000
	v_lshlrev_b32_e32 v29, 23, v29
	v_and_or_b32 v1, 0x8000, v1, v31
	v_lshl_or_b32 v29, v1, 16, v29
.LBB250_71:                             ;   in Loop: Header=BB250_9 Depth=1
	s_or_b32 exec_lo, exec_lo, s33
.LBB250_72:                             ;   in Loop: Header=BB250_9 Depth=1
	s_or_b32 exec_lo, exec_lo, s31
.LBB250_73:                             ;   in Loop: Header=BB250_9 Depth=1
	s_or_b32 exec_lo, exec_lo, s3
	global_load_ushort v32, v[7:8], off offset:256
	v_mov_b32_e32 v31, 0
	s_waitcnt vmcnt(0)
	v_and_b32_e32 v1, 0xffff, v32
	v_cmp_ne_u16_sdwa s2, v32, v2 src0_sel:BYTE_0 src1_sel:DWORD
	v_mov_b32_e32 v32, 0
	s_and_saveexec_b32 s3, s2
	s_cbranch_execz .LBB250_81
; %bb.74:                               ;   in Loop: Header=BB250_9 Depth=1
	v_cmp_ne_u16_sdwa s2, v1, v17 src0_sel:BYTE_0 src1_sel:DWORD
	v_mov_b32_e32 v32, 0x8000
	s_and_saveexec_b32 s31, s2
	s_cbranch_execz .LBB250_80
; %bb.75:                               ;   in Loop: Header=BB250_9 Depth=1
	v_and_b32_e32 v34, 0x7f, v1
	v_mov_b32_e32 v32, 0x7c01
	s_mov_b32 s33, exec_lo
	v_cmpx_ne_u32_e32 0x7f, v34
	s_cbranch_execz .LBB250_79
; %bb.76:                               ;   in Loop: Header=BB250_9 Depth=1
	v_and_b32_e32 v32, 7, v1
	v_lshrrev_b32_e32 v33, 3, v34
	s_mov_b32 s34, exec_lo
	v_cmpx_gt_u32_e32 8, v34
; %bb.77:                               ;   in Loop: Header=BB250_9 Depth=1
	v_ffbh_u32_e32 v32, v32
	v_min_u32_e32 v34, 32, v32
	v_subrev_nc_u32_e32 v32, 28, v34
	v_lshlrev_b64 v[32:33], v32, v[1:2]
	v_sub_nc_u32_e32 v33, 29, v34
	v_and_b32_e32 v32, 7, v32
; %bb.78:                               ;   in Loop: Header=BB250_9 Depth=1
	s_or_b32 exec_lo, exec_lo, s34
	v_lshlrev_b32_e32 v34, 8, v1
	v_lshl_add_u32 v33, v33, 10, 0x2000
	v_lshlrev_b32_e32 v32, 7, v32
	v_and_b32_e32 v34, 0x8000, v34
	v_and_b32_e32 v33, 0xfc00, v33
	v_or3_b32 v32, v34, v33, v32
.LBB250_79:                             ;   in Loop: Header=BB250_9 Depth=1
	s_or_b32 exec_lo, exec_lo, s33
.LBB250_80:                             ;   in Loop: Header=BB250_9 Depth=1
	s_or_b32 exec_lo, exec_lo, s31
.LBB250_81:                             ;   in Loop: Header=BB250_9 Depth=1
	s_or_b32 exec_lo, exec_lo, s3
	v_lshrrev_b16 v1, 8, v1
	s_mov_b32 s3, exec_lo
	v_cmpx_ne_u16_e32 0, v1
	s_cbranch_execz .LBB250_89
; %bb.82:                               ;   in Loop: Header=BB250_9 Depth=1
	v_bfrev_b32_e32 v31, 1
	s_mov_b32 s31, exec_lo
	v_cmpx_ne_u16_e32 0x80, v1
	s_cbranch_execz .LBB250_88
; %bb.83:                               ;   in Loop: Header=BB250_9 Depth=1
	v_and_b32_sdwa v34, v1, v18 dst_sel:DWORD dst_unused:UNUSED_PAD src0_sel:WORD_0 src1_sel:DWORD
	v_mov_b32_e32 v31, 0x7c010000
	s_mov_b32 s33, exec_lo
	v_cmpx_ne_u32_e32 0x7f, v34
	s_cbranch_execz .LBB250_87
; %bb.84:                               ;   in Loop: Header=BB250_9 Depth=1
	v_and_b32_sdwa v31, v1, v19 dst_sel:DWORD dst_unused:UNUSED_PAD src0_sel:WORD_0 src1_sel:DWORD
	v_lshrrev_b32_e32 v33, 3, v34
	s_mov_b32 s34, exec_lo
	v_cmpx_gt_u32_e32 8, v34
; %bb.85:                               ;   in Loop: Header=BB250_9 Depth=1
	v_ffbh_u32_e32 v31, v31
	v_min_u32_e32 v31, 32, v31
	v_subrev_nc_u32_e32 v33, 28, v31
	v_lshlrev_b64 v[34:35], v33, v[1:2]
	v_sub_nc_u32_e32 v33, 29, v31
	v_and_b32_e32 v31, 7, v34
; %bb.86:                               ;   in Loop: Header=BB250_9 Depth=1
	s_or_b32 exec_lo, exec_lo, s34
	v_lshlrev_b32_sdwa v1, v20, v1 dst_sel:DWORD dst_unused:UNUSED_PAD src0_sel:DWORD src1_sel:WORD_0
	v_lshl_add_u32 v33, v33, 10, 0x2000
	v_lshlrev_b32_e32 v31, 23, v31
	v_and_or_b32 v1, 0x8000, v1, v33
	v_lshl_or_b32 v31, v1, 16, v31
.LBB250_87:                             ;   in Loop: Header=BB250_9 Depth=1
	s_or_b32 exec_lo, exec_lo, s33
.LBB250_88:                             ;   in Loop: Header=BB250_9 Depth=1
	s_or_b32 exec_lo, exec_lo, s31
.LBB250_89:                             ;   in Loop: Header=BB250_9 Depth=1
	s_or_b32 exec_lo, exec_lo, s3
	global_load_ushort v34, v[7:8], off offset:264
	v_mov_b32_e32 v33, 0
	s_waitcnt vmcnt(0)
	v_and_b32_e32 v1, 0xffff, v34
	v_cmp_ne_u16_sdwa s2, v34, v2 src0_sel:BYTE_0 src1_sel:DWORD
	v_mov_b32_e32 v34, 0
	s_and_saveexec_b32 s3, s2
	s_cbranch_execz .LBB250_97
; %bb.90:                               ;   in Loop: Header=BB250_9 Depth=1
	v_cmp_ne_u16_sdwa s2, v1, v17 src0_sel:BYTE_0 src1_sel:DWORD
	v_mov_b32_e32 v34, 0x8000
	s_and_saveexec_b32 s31, s2
	s_cbranch_execz .LBB250_96
; %bb.91:                               ;   in Loop: Header=BB250_9 Depth=1
	v_and_b32_e32 v36, 0x7f, v1
	v_mov_b32_e32 v34, 0x7c01
	s_mov_b32 s33, exec_lo
	v_cmpx_ne_u32_e32 0x7f, v36
	s_cbranch_execz .LBB250_95
; %bb.92:                               ;   in Loop: Header=BB250_9 Depth=1
	v_and_b32_e32 v34, 7, v1
	v_lshrrev_b32_e32 v35, 3, v36
	s_mov_b32 s34, exec_lo
	v_cmpx_gt_u32_e32 8, v36
; %bb.93:                               ;   in Loop: Header=BB250_9 Depth=1
	v_ffbh_u32_e32 v34, v34
	v_min_u32_e32 v36, 32, v34
	v_subrev_nc_u32_e32 v34, 28, v36
	v_lshlrev_b64 v[34:35], v34, v[1:2]
	v_sub_nc_u32_e32 v35, 29, v36
	v_and_b32_e32 v34, 7, v34
; %bb.94:                               ;   in Loop: Header=BB250_9 Depth=1
	s_or_b32 exec_lo, exec_lo, s34
	v_lshlrev_b32_e32 v36, 8, v1
	v_lshl_add_u32 v35, v35, 10, 0x2000
	v_lshlrev_b32_e32 v34, 7, v34
	v_and_b32_e32 v36, 0x8000, v36
	v_and_b32_e32 v35, 0xfc00, v35
	v_or3_b32 v34, v36, v35, v34
.LBB250_95:                             ;   in Loop: Header=BB250_9 Depth=1
	s_or_b32 exec_lo, exec_lo, s33
.LBB250_96:                             ;   in Loop: Header=BB250_9 Depth=1
	s_or_b32 exec_lo, exec_lo, s31
.LBB250_97:                             ;   in Loop: Header=BB250_9 Depth=1
	s_or_b32 exec_lo, exec_lo, s3
	v_lshrrev_b16 v1, 8, v1
	s_mov_b32 s3, exec_lo
	v_cmpx_ne_u16_e32 0, v1
	s_cbranch_execz .LBB250_105
; %bb.98:                               ;   in Loop: Header=BB250_9 Depth=1
	v_bfrev_b32_e32 v33, 1
	s_mov_b32 s31, exec_lo
	v_cmpx_ne_u16_e32 0x80, v1
	s_cbranch_execz .LBB250_104
; %bb.99:                               ;   in Loop: Header=BB250_9 Depth=1
	v_and_b32_sdwa v36, v1, v18 dst_sel:DWORD dst_unused:UNUSED_PAD src0_sel:WORD_0 src1_sel:DWORD
	v_mov_b32_e32 v33, 0x7c010000
	s_mov_b32 s33, exec_lo
	v_cmpx_ne_u32_e32 0x7f, v36
	s_cbranch_execz .LBB250_103
; %bb.100:                              ;   in Loop: Header=BB250_9 Depth=1
	v_and_b32_sdwa v33, v1, v19 dst_sel:DWORD dst_unused:UNUSED_PAD src0_sel:WORD_0 src1_sel:DWORD
	v_lshrrev_b32_e32 v35, 3, v36
	s_mov_b32 s34, exec_lo
	v_cmpx_gt_u32_e32 8, v36
; %bb.101:                              ;   in Loop: Header=BB250_9 Depth=1
	v_ffbh_u32_e32 v33, v33
	v_min_u32_e32 v33, 32, v33
	v_subrev_nc_u32_e32 v35, 28, v33
	v_lshlrev_b64 v[36:37], v35, v[1:2]
	v_sub_nc_u32_e32 v35, 29, v33
	v_and_b32_e32 v33, 7, v36
; %bb.102:                              ;   in Loop: Header=BB250_9 Depth=1
	s_or_b32 exec_lo, exec_lo, s34
	v_lshlrev_b32_sdwa v1, v20, v1 dst_sel:DWORD dst_unused:UNUSED_PAD src0_sel:DWORD src1_sel:WORD_0
	v_lshl_add_u32 v35, v35, 10, 0x2000
	v_lshlrev_b32_e32 v33, 23, v33
	v_and_or_b32 v1, 0x8000, v1, v35
	v_lshl_or_b32 v33, v1, 16, v33
.LBB250_103:                            ;   in Loop: Header=BB250_9 Depth=1
	s_or_b32 exec_lo, exec_lo, s33
.LBB250_104:                            ;   in Loop: Header=BB250_9 Depth=1
	s_or_b32 exec_lo, exec_lo, s31
.LBB250_105:                            ;   in Loop: Header=BB250_9 Depth=1
	s_or_b32 exec_lo, exec_lo, s3
	global_load_ushort v36, v[7:8], off offset:384
	v_mov_b32_e32 v35, 0
	s_waitcnt vmcnt(0)
	v_and_b32_e32 v1, 0xffff, v36
	v_cmp_ne_u16_sdwa s2, v36, v2 src0_sel:BYTE_0 src1_sel:DWORD
	v_mov_b32_e32 v36, 0
	s_and_saveexec_b32 s3, s2
	s_cbranch_execz .LBB250_113
; %bb.106:                              ;   in Loop: Header=BB250_9 Depth=1
	v_cmp_ne_u16_sdwa s2, v1, v17 src0_sel:BYTE_0 src1_sel:DWORD
	v_mov_b32_e32 v36, 0x8000
	s_and_saveexec_b32 s31, s2
	s_cbranch_execz .LBB250_112
; %bb.107:                              ;   in Loop: Header=BB250_9 Depth=1
	v_and_b32_e32 v38, 0x7f, v1
	v_mov_b32_e32 v36, 0x7c01
	s_mov_b32 s33, exec_lo
	v_cmpx_ne_u32_e32 0x7f, v38
	s_cbranch_execz .LBB250_111
; %bb.108:                              ;   in Loop: Header=BB250_9 Depth=1
	v_and_b32_e32 v36, 7, v1
	v_lshrrev_b32_e32 v37, 3, v38
	s_mov_b32 s34, exec_lo
	v_cmpx_gt_u32_e32 8, v38
; %bb.109:                              ;   in Loop: Header=BB250_9 Depth=1
	v_ffbh_u32_e32 v36, v36
	v_min_u32_e32 v38, 32, v36
	v_subrev_nc_u32_e32 v36, 28, v38
	v_lshlrev_b64 v[36:37], v36, v[1:2]
	v_sub_nc_u32_e32 v37, 29, v38
	v_and_b32_e32 v36, 7, v36
; %bb.110:                              ;   in Loop: Header=BB250_9 Depth=1
	s_or_b32 exec_lo, exec_lo, s34
	v_lshlrev_b32_e32 v38, 8, v1
	v_lshl_add_u32 v37, v37, 10, 0x2000
	v_lshlrev_b32_e32 v36, 7, v36
	v_and_b32_e32 v38, 0x8000, v38
	v_and_b32_e32 v37, 0xfc00, v37
	v_or3_b32 v36, v38, v37, v36
.LBB250_111:                            ;   in Loop: Header=BB250_9 Depth=1
	s_or_b32 exec_lo, exec_lo, s33
.LBB250_112:                            ;   in Loop: Header=BB250_9 Depth=1
	s_or_b32 exec_lo, exec_lo, s31
.LBB250_113:                            ;   in Loop: Header=BB250_9 Depth=1
	s_or_b32 exec_lo, exec_lo, s3
	v_lshrrev_b16 v1, 8, v1
	s_mov_b32 s3, exec_lo
	v_cmpx_ne_u16_e32 0, v1
	s_cbranch_execz .LBB250_121
; %bb.114:                              ;   in Loop: Header=BB250_9 Depth=1
	v_bfrev_b32_e32 v35, 1
	s_mov_b32 s31, exec_lo
	v_cmpx_ne_u16_e32 0x80, v1
	s_cbranch_execz .LBB250_120
; %bb.115:                              ;   in Loop: Header=BB250_9 Depth=1
	v_and_b32_sdwa v38, v1, v18 dst_sel:DWORD dst_unused:UNUSED_PAD src0_sel:WORD_0 src1_sel:DWORD
	v_mov_b32_e32 v35, 0x7c010000
	s_mov_b32 s33, exec_lo
	v_cmpx_ne_u32_e32 0x7f, v38
	s_cbranch_execz .LBB250_119
; %bb.116:                              ;   in Loop: Header=BB250_9 Depth=1
	v_and_b32_sdwa v35, v1, v19 dst_sel:DWORD dst_unused:UNUSED_PAD src0_sel:WORD_0 src1_sel:DWORD
	v_lshrrev_b32_e32 v37, 3, v38
	s_mov_b32 s34, exec_lo
	v_cmpx_gt_u32_e32 8, v38
; %bb.117:                              ;   in Loop: Header=BB250_9 Depth=1
	v_ffbh_u32_e32 v35, v35
	v_min_u32_e32 v35, 32, v35
	v_subrev_nc_u32_e32 v37, 28, v35
	v_lshlrev_b64 v[38:39], v37, v[1:2]
	v_sub_nc_u32_e32 v37, 29, v35
	v_and_b32_e32 v35, 7, v38
; %bb.118:                              ;   in Loop: Header=BB250_9 Depth=1
	s_or_b32 exec_lo, exec_lo, s34
	v_lshlrev_b32_sdwa v1, v20, v1 dst_sel:DWORD dst_unused:UNUSED_PAD src0_sel:DWORD src1_sel:WORD_0
	v_lshl_add_u32 v37, v37, 10, 0x2000
	v_lshlrev_b32_e32 v35, 23, v35
	v_and_or_b32 v1, 0x8000, v1, v37
	v_lshl_or_b32 v35, v1, 16, v35
.LBB250_119:                            ;   in Loop: Header=BB250_9 Depth=1
	s_or_b32 exec_lo, exec_lo, s33
.LBB250_120:                            ;   in Loop: Header=BB250_9 Depth=1
	s_or_b32 exec_lo, exec_lo, s31
.LBB250_121:                            ;   in Loop: Header=BB250_9 Depth=1
	s_or_b32 exec_lo, exec_lo, s3
	global_load_ushort v38, v[7:8], off offset:392
	v_mov_b32_e32 v37, 0
	s_waitcnt vmcnt(0)
	v_and_b32_e32 v1, 0xffff, v38
	v_cmp_ne_u16_sdwa s2, v38, v2 src0_sel:BYTE_0 src1_sel:DWORD
	v_mov_b32_e32 v38, 0
	s_and_saveexec_b32 s3, s2
	s_cbranch_execz .LBB250_129
; %bb.122:                              ;   in Loop: Header=BB250_9 Depth=1
	v_cmp_ne_u16_sdwa s2, v1, v17 src0_sel:BYTE_0 src1_sel:DWORD
	v_mov_b32_e32 v38, 0x8000
	s_and_saveexec_b32 s31, s2
	s_cbranch_execz .LBB250_128
; %bb.123:                              ;   in Loop: Header=BB250_9 Depth=1
	v_and_b32_e32 v40, 0x7f, v1
	v_mov_b32_e32 v38, 0x7c01
	s_mov_b32 s33, exec_lo
	v_cmpx_ne_u32_e32 0x7f, v40
	s_cbranch_execz .LBB250_127
; %bb.124:                              ;   in Loop: Header=BB250_9 Depth=1
	v_and_b32_e32 v38, 7, v1
	v_lshrrev_b32_e32 v39, 3, v40
	s_mov_b32 s34, exec_lo
	v_cmpx_gt_u32_e32 8, v40
; %bb.125:                              ;   in Loop: Header=BB250_9 Depth=1
	v_ffbh_u32_e32 v38, v38
	v_min_u32_e32 v40, 32, v38
	v_subrev_nc_u32_e32 v38, 28, v40
	v_lshlrev_b64 v[38:39], v38, v[1:2]
	v_sub_nc_u32_e32 v39, 29, v40
	v_and_b32_e32 v38, 7, v38
; %bb.126:                              ;   in Loop: Header=BB250_9 Depth=1
	s_or_b32 exec_lo, exec_lo, s34
	v_lshlrev_b32_e32 v40, 8, v1
	v_lshl_add_u32 v39, v39, 10, 0x2000
	v_lshlrev_b32_e32 v38, 7, v38
	v_and_b32_e32 v40, 0x8000, v40
	v_and_b32_e32 v39, 0xfc00, v39
	v_or3_b32 v38, v40, v39, v38
.LBB250_127:                            ;   in Loop: Header=BB250_9 Depth=1
	s_or_b32 exec_lo, exec_lo, s33
.LBB250_128:                            ;   in Loop: Header=BB250_9 Depth=1
	s_or_b32 exec_lo, exec_lo, s31
.LBB250_129:                            ;   in Loop: Header=BB250_9 Depth=1
	s_or_b32 exec_lo, exec_lo, s3
	v_lshrrev_b16 v1, 8, v1
	s_mov_b32 s3, exec_lo
	v_cmpx_ne_u16_e32 0, v1
	s_cbranch_execz .LBB250_137
; %bb.130:                              ;   in Loop: Header=BB250_9 Depth=1
	v_bfrev_b32_e32 v37, 1
	s_mov_b32 s31, exec_lo
	v_cmpx_ne_u16_e32 0x80, v1
	s_cbranch_execz .LBB250_136
; %bb.131:                              ;   in Loop: Header=BB250_9 Depth=1
	v_and_b32_sdwa v40, v1, v18 dst_sel:DWORD dst_unused:UNUSED_PAD src0_sel:WORD_0 src1_sel:DWORD
	v_mov_b32_e32 v37, 0x7c010000
	s_mov_b32 s33, exec_lo
	v_cmpx_ne_u32_e32 0x7f, v40
	s_cbranch_execz .LBB250_135
; %bb.132:                              ;   in Loop: Header=BB250_9 Depth=1
	v_and_b32_sdwa v37, v1, v19 dst_sel:DWORD dst_unused:UNUSED_PAD src0_sel:WORD_0 src1_sel:DWORD
	v_lshrrev_b32_e32 v39, 3, v40
	s_mov_b32 s34, exec_lo
	v_cmpx_gt_u32_e32 8, v40
; %bb.133:                              ;   in Loop: Header=BB250_9 Depth=1
	v_ffbh_u32_e32 v37, v37
	v_min_u32_e32 v37, 32, v37
	v_subrev_nc_u32_e32 v39, 28, v37
	v_lshlrev_b64 v[40:41], v39, v[1:2]
	v_sub_nc_u32_e32 v39, 29, v37
	v_and_b32_e32 v37, 7, v40
; %bb.134:                              ;   in Loop: Header=BB250_9 Depth=1
	s_or_b32 exec_lo, exec_lo, s34
	v_lshlrev_b32_sdwa v1, v20, v1 dst_sel:DWORD dst_unused:UNUSED_PAD src0_sel:DWORD src1_sel:WORD_0
	v_lshl_add_u32 v39, v39, 10, 0x2000
	v_lshlrev_b32_e32 v37, 23, v37
	v_and_or_b32 v1, 0x8000, v1, v39
	v_lshl_or_b32 v37, v1, 16, v37
.LBB250_135:                            ;   in Loop: Header=BB250_9 Depth=1
	s_or_b32 exec_lo, exec_lo, s33
.LBB250_136:                            ;   in Loop: Header=BB250_9 Depth=1
	s_or_b32 exec_lo, exec_lo, s31
.LBB250_137:                            ;   in Loop: Header=BB250_9 Depth=1
	s_or_b32 exec_lo, exec_lo, s3
	global_load_ushort v40, v[7:8], off offset:512
	v_mov_b32_e32 v39, 0
	s_waitcnt vmcnt(0)
	v_and_b32_e32 v1, 0xffff, v40
	v_cmp_ne_u16_sdwa s2, v40, v2 src0_sel:BYTE_0 src1_sel:DWORD
	v_mov_b32_e32 v40, 0
	s_and_saveexec_b32 s3, s2
	s_cbranch_execz .LBB250_145
; %bb.138:                              ;   in Loop: Header=BB250_9 Depth=1
	v_cmp_ne_u16_sdwa s2, v1, v17 src0_sel:BYTE_0 src1_sel:DWORD
	v_mov_b32_e32 v40, 0x8000
	s_and_saveexec_b32 s31, s2
	s_cbranch_execz .LBB250_144
; %bb.139:                              ;   in Loop: Header=BB250_9 Depth=1
	v_and_b32_e32 v42, 0x7f, v1
	v_mov_b32_e32 v40, 0x7c01
	s_mov_b32 s33, exec_lo
	v_cmpx_ne_u32_e32 0x7f, v42
	s_cbranch_execz .LBB250_143
; %bb.140:                              ;   in Loop: Header=BB250_9 Depth=1
	v_and_b32_e32 v40, 7, v1
	v_lshrrev_b32_e32 v41, 3, v42
	s_mov_b32 s34, exec_lo
	v_cmpx_gt_u32_e32 8, v42
; %bb.141:                              ;   in Loop: Header=BB250_9 Depth=1
	v_ffbh_u32_e32 v40, v40
	v_min_u32_e32 v42, 32, v40
	v_subrev_nc_u32_e32 v40, 28, v42
	v_lshlrev_b64 v[40:41], v40, v[1:2]
	v_sub_nc_u32_e32 v41, 29, v42
	v_and_b32_e32 v40, 7, v40
; %bb.142:                              ;   in Loop: Header=BB250_9 Depth=1
	s_or_b32 exec_lo, exec_lo, s34
	v_lshlrev_b32_e32 v42, 8, v1
	v_lshl_add_u32 v41, v41, 10, 0x2000
	v_lshlrev_b32_e32 v40, 7, v40
	v_and_b32_e32 v42, 0x8000, v42
	v_and_b32_e32 v41, 0xfc00, v41
	v_or3_b32 v40, v42, v41, v40
.LBB250_143:                            ;   in Loop: Header=BB250_9 Depth=1
	s_or_b32 exec_lo, exec_lo, s33
.LBB250_144:                            ;   in Loop: Header=BB250_9 Depth=1
	s_or_b32 exec_lo, exec_lo, s31
.LBB250_145:                            ;   in Loop: Header=BB250_9 Depth=1
	s_or_b32 exec_lo, exec_lo, s3
	v_lshrrev_b16 v1, 8, v1
	s_mov_b32 s3, exec_lo
	v_cmpx_ne_u16_e32 0, v1
	s_cbranch_execz .LBB250_153
; %bb.146:                              ;   in Loop: Header=BB250_9 Depth=1
	v_bfrev_b32_e32 v39, 1
	s_mov_b32 s31, exec_lo
	v_cmpx_ne_u16_e32 0x80, v1
	s_cbranch_execz .LBB250_152
; %bb.147:                              ;   in Loop: Header=BB250_9 Depth=1
	v_and_b32_sdwa v42, v1, v18 dst_sel:DWORD dst_unused:UNUSED_PAD src0_sel:WORD_0 src1_sel:DWORD
	v_mov_b32_e32 v39, 0x7c010000
	s_mov_b32 s33, exec_lo
	v_cmpx_ne_u32_e32 0x7f, v42
	s_cbranch_execz .LBB250_151
; %bb.148:                              ;   in Loop: Header=BB250_9 Depth=1
	v_and_b32_sdwa v39, v1, v19 dst_sel:DWORD dst_unused:UNUSED_PAD src0_sel:WORD_0 src1_sel:DWORD
	v_lshrrev_b32_e32 v41, 3, v42
	s_mov_b32 s34, exec_lo
	v_cmpx_gt_u32_e32 8, v42
; %bb.149:                              ;   in Loop: Header=BB250_9 Depth=1
	v_ffbh_u32_e32 v39, v39
	v_min_u32_e32 v39, 32, v39
	v_subrev_nc_u32_e32 v41, 28, v39
	v_lshlrev_b64 v[42:43], v41, v[1:2]
	v_sub_nc_u32_e32 v41, 29, v39
	v_and_b32_e32 v39, 7, v42
; %bb.150:                              ;   in Loop: Header=BB250_9 Depth=1
	s_or_b32 exec_lo, exec_lo, s34
	v_lshlrev_b32_sdwa v1, v20, v1 dst_sel:DWORD dst_unused:UNUSED_PAD src0_sel:DWORD src1_sel:WORD_0
	v_lshl_add_u32 v41, v41, 10, 0x2000
	v_lshlrev_b32_e32 v39, 23, v39
	v_and_or_b32 v1, 0x8000, v1, v41
	v_lshl_or_b32 v39, v1, 16, v39
.LBB250_151:                            ;   in Loop: Header=BB250_9 Depth=1
	s_or_b32 exec_lo, exec_lo, s33
.LBB250_152:                            ;   in Loop: Header=BB250_9 Depth=1
	s_or_b32 exec_lo, exec_lo, s31
.LBB250_153:                            ;   in Loop: Header=BB250_9 Depth=1
	s_or_b32 exec_lo, exec_lo, s3
	global_load_ushort v42, v[7:8], off offset:520
	v_mov_b32_e32 v41, 0
	s_waitcnt vmcnt(0)
	v_and_b32_e32 v1, 0xffff, v42
	v_cmp_ne_u16_sdwa s2, v42, v2 src0_sel:BYTE_0 src1_sel:DWORD
	v_mov_b32_e32 v42, 0
	s_and_saveexec_b32 s3, s2
	s_cbranch_execz .LBB250_161
; %bb.154:                              ;   in Loop: Header=BB250_9 Depth=1
	v_cmp_ne_u16_sdwa s2, v1, v17 src0_sel:BYTE_0 src1_sel:DWORD
	v_mov_b32_e32 v42, 0x8000
	s_and_saveexec_b32 s31, s2
	s_cbranch_execz .LBB250_160
; %bb.155:                              ;   in Loop: Header=BB250_9 Depth=1
	v_and_b32_e32 v44, 0x7f, v1
	v_mov_b32_e32 v42, 0x7c01
	s_mov_b32 s33, exec_lo
	v_cmpx_ne_u32_e32 0x7f, v44
	s_cbranch_execz .LBB250_159
; %bb.156:                              ;   in Loop: Header=BB250_9 Depth=1
	v_and_b32_e32 v42, 7, v1
	v_lshrrev_b32_e32 v43, 3, v44
	s_mov_b32 s34, exec_lo
	v_cmpx_gt_u32_e32 8, v44
; %bb.157:                              ;   in Loop: Header=BB250_9 Depth=1
	v_ffbh_u32_e32 v42, v42
	v_min_u32_e32 v44, 32, v42
	v_subrev_nc_u32_e32 v42, 28, v44
	v_lshlrev_b64 v[42:43], v42, v[1:2]
	v_sub_nc_u32_e32 v43, 29, v44
	v_and_b32_e32 v42, 7, v42
; %bb.158:                              ;   in Loop: Header=BB250_9 Depth=1
	s_or_b32 exec_lo, exec_lo, s34
	v_lshlrev_b32_e32 v44, 8, v1
	v_lshl_add_u32 v43, v43, 10, 0x2000
	v_lshlrev_b32_e32 v42, 7, v42
	v_and_b32_e32 v44, 0x8000, v44
	v_and_b32_e32 v43, 0xfc00, v43
	v_or3_b32 v42, v44, v43, v42
.LBB250_159:                            ;   in Loop: Header=BB250_9 Depth=1
	s_or_b32 exec_lo, exec_lo, s33
.LBB250_160:                            ;   in Loop: Header=BB250_9 Depth=1
	s_or_b32 exec_lo, exec_lo, s31
.LBB250_161:                            ;   in Loop: Header=BB250_9 Depth=1
	s_or_b32 exec_lo, exec_lo, s3
	v_lshrrev_b16 v1, 8, v1
	s_mov_b32 s3, exec_lo
	v_cmpx_ne_u16_e32 0, v1
	s_cbranch_execz .LBB250_169
; %bb.162:                              ;   in Loop: Header=BB250_9 Depth=1
	v_bfrev_b32_e32 v41, 1
	s_mov_b32 s31, exec_lo
	v_cmpx_ne_u16_e32 0x80, v1
	s_cbranch_execz .LBB250_168
; %bb.163:                              ;   in Loop: Header=BB250_9 Depth=1
	v_and_b32_sdwa v44, v1, v18 dst_sel:DWORD dst_unused:UNUSED_PAD src0_sel:WORD_0 src1_sel:DWORD
	v_mov_b32_e32 v41, 0x7c010000
	s_mov_b32 s33, exec_lo
	v_cmpx_ne_u32_e32 0x7f, v44
	s_cbranch_execz .LBB250_167
; %bb.164:                              ;   in Loop: Header=BB250_9 Depth=1
	v_and_b32_sdwa v41, v1, v19 dst_sel:DWORD dst_unused:UNUSED_PAD src0_sel:WORD_0 src1_sel:DWORD
	v_lshrrev_b32_e32 v43, 3, v44
	s_mov_b32 s34, exec_lo
	v_cmpx_gt_u32_e32 8, v44
; %bb.165:                              ;   in Loop: Header=BB250_9 Depth=1
	v_ffbh_u32_e32 v41, v41
	v_min_u32_e32 v41, 32, v41
	v_subrev_nc_u32_e32 v43, 28, v41
	v_lshlrev_b64 v[44:45], v43, v[1:2]
	v_sub_nc_u32_e32 v43, 29, v41
	v_and_b32_e32 v41, 7, v44
; %bb.166:                              ;   in Loop: Header=BB250_9 Depth=1
	s_or_b32 exec_lo, exec_lo, s34
	v_lshlrev_b32_sdwa v1, v20, v1 dst_sel:DWORD dst_unused:UNUSED_PAD src0_sel:DWORD src1_sel:WORD_0
	v_lshl_add_u32 v43, v43, 10, 0x2000
	v_lshlrev_b32_e32 v41, 23, v41
	v_and_or_b32 v1, 0x8000, v1, v43
	v_lshl_or_b32 v41, v1, 16, v41
.LBB250_167:                            ;   in Loop: Header=BB250_9 Depth=1
	s_or_b32 exec_lo, exec_lo, s33
.LBB250_168:                            ;   in Loop: Header=BB250_9 Depth=1
	s_or_b32 exec_lo, exec_lo, s31
.LBB250_169:                            ;   in Loop: Header=BB250_9 Depth=1
	s_or_b32 exec_lo, exec_lo, s3
	global_load_ushort v44, v[7:8], off offset:640
	v_mov_b32_e32 v43, 0
	s_waitcnt vmcnt(0)
	v_and_b32_e32 v1, 0xffff, v44
	v_cmp_ne_u16_sdwa s2, v44, v2 src0_sel:BYTE_0 src1_sel:DWORD
	v_mov_b32_e32 v44, 0
	s_and_saveexec_b32 s3, s2
	s_cbranch_execz .LBB250_177
; %bb.170:                              ;   in Loop: Header=BB250_9 Depth=1
	v_cmp_ne_u16_sdwa s2, v1, v17 src0_sel:BYTE_0 src1_sel:DWORD
	v_mov_b32_e32 v44, 0x8000
	s_and_saveexec_b32 s31, s2
	s_cbranch_execz .LBB250_176
; %bb.171:                              ;   in Loop: Header=BB250_9 Depth=1
	v_and_b32_e32 v46, 0x7f, v1
	v_mov_b32_e32 v44, 0x7c01
	s_mov_b32 s33, exec_lo
	v_cmpx_ne_u32_e32 0x7f, v46
	s_cbranch_execz .LBB250_175
; %bb.172:                              ;   in Loop: Header=BB250_9 Depth=1
	v_and_b32_e32 v44, 7, v1
	v_lshrrev_b32_e32 v45, 3, v46
	s_mov_b32 s34, exec_lo
	v_cmpx_gt_u32_e32 8, v46
; %bb.173:                              ;   in Loop: Header=BB250_9 Depth=1
	v_ffbh_u32_e32 v44, v44
	v_min_u32_e32 v46, 32, v44
	v_subrev_nc_u32_e32 v44, 28, v46
	v_lshlrev_b64 v[44:45], v44, v[1:2]
	v_sub_nc_u32_e32 v45, 29, v46
	v_and_b32_e32 v44, 7, v44
; %bb.174:                              ;   in Loop: Header=BB250_9 Depth=1
	s_or_b32 exec_lo, exec_lo, s34
	v_lshlrev_b32_e32 v46, 8, v1
	v_lshl_add_u32 v45, v45, 10, 0x2000
	v_lshlrev_b32_e32 v44, 7, v44
	v_and_b32_e32 v46, 0x8000, v46
	v_and_b32_e32 v45, 0xfc00, v45
	v_or3_b32 v44, v46, v45, v44
.LBB250_175:                            ;   in Loop: Header=BB250_9 Depth=1
	s_or_b32 exec_lo, exec_lo, s33
.LBB250_176:                            ;   in Loop: Header=BB250_9 Depth=1
	s_or_b32 exec_lo, exec_lo, s31
.LBB250_177:                            ;   in Loop: Header=BB250_9 Depth=1
	s_or_b32 exec_lo, exec_lo, s3
	v_lshrrev_b16 v1, 8, v1
	s_mov_b32 s3, exec_lo
	v_cmpx_ne_u16_e32 0, v1
	s_cbranch_execz .LBB250_185
; %bb.178:                              ;   in Loop: Header=BB250_9 Depth=1
	v_bfrev_b32_e32 v43, 1
	s_mov_b32 s31, exec_lo
	v_cmpx_ne_u16_e32 0x80, v1
	s_cbranch_execz .LBB250_184
; %bb.179:                              ;   in Loop: Header=BB250_9 Depth=1
	v_and_b32_sdwa v46, v1, v18 dst_sel:DWORD dst_unused:UNUSED_PAD src0_sel:WORD_0 src1_sel:DWORD
	v_mov_b32_e32 v43, 0x7c010000
	s_mov_b32 s33, exec_lo
	v_cmpx_ne_u32_e32 0x7f, v46
	s_cbranch_execz .LBB250_183
; %bb.180:                              ;   in Loop: Header=BB250_9 Depth=1
	v_and_b32_sdwa v43, v1, v19 dst_sel:DWORD dst_unused:UNUSED_PAD src0_sel:WORD_0 src1_sel:DWORD
	v_lshrrev_b32_e32 v45, 3, v46
	s_mov_b32 s34, exec_lo
	v_cmpx_gt_u32_e32 8, v46
; %bb.181:                              ;   in Loop: Header=BB250_9 Depth=1
	v_ffbh_u32_e32 v43, v43
	v_min_u32_e32 v43, 32, v43
	v_subrev_nc_u32_e32 v45, 28, v43
	v_lshlrev_b64 v[46:47], v45, v[1:2]
	v_sub_nc_u32_e32 v45, 29, v43
	v_and_b32_e32 v43, 7, v46
; %bb.182:                              ;   in Loop: Header=BB250_9 Depth=1
	s_or_b32 exec_lo, exec_lo, s34
	v_lshlrev_b32_sdwa v1, v20, v1 dst_sel:DWORD dst_unused:UNUSED_PAD src0_sel:DWORD src1_sel:WORD_0
	v_lshl_add_u32 v45, v45, 10, 0x2000
	v_lshlrev_b32_e32 v43, 23, v43
	v_and_or_b32 v1, 0x8000, v1, v45
	v_lshl_or_b32 v43, v1, 16, v43
.LBB250_183:                            ;   in Loop: Header=BB250_9 Depth=1
	s_or_b32 exec_lo, exec_lo, s33
.LBB250_184:                            ;   in Loop: Header=BB250_9 Depth=1
	s_or_b32 exec_lo, exec_lo, s31
.LBB250_185:                            ;   in Loop: Header=BB250_9 Depth=1
	s_or_b32 exec_lo, exec_lo, s3
	global_load_ushort v46, v[7:8], off offset:648
	v_mov_b32_e32 v45, 0
	s_waitcnt vmcnt(0)
	v_and_b32_e32 v1, 0xffff, v46
	v_cmp_ne_u16_sdwa s2, v46, v2 src0_sel:BYTE_0 src1_sel:DWORD
	v_mov_b32_e32 v46, 0
	s_and_saveexec_b32 s3, s2
	s_cbranch_execz .LBB250_193
; %bb.186:                              ;   in Loop: Header=BB250_9 Depth=1
	v_cmp_ne_u16_sdwa s2, v1, v17 src0_sel:BYTE_0 src1_sel:DWORD
	v_mov_b32_e32 v46, 0x8000
	s_and_saveexec_b32 s31, s2
	s_cbranch_execz .LBB250_192
; %bb.187:                              ;   in Loop: Header=BB250_9 Depth=1
	v_and_b32_e32 v48, 0x7f, v1
	v_mov_b32_e32 v46, 0x7c01
	s_mov_b32 s33, exec_lo
	v_cmpx_ne_u32_e32 0x7f, v48
	s_cbranch_execz .LBB250_191
; %bb.188:                              ;   in Loop: Header=BB250_9 Depth=1
	v_and_b32_e32 v46, 7, v1
	v_lshrrev_b32_e32 v47, 3, v48
	s_mov_b32 s34, exec_lo
	v_cmpx_gt_u32_e32 8, v48
; %bb.189:                              ;   in Loop: Header=BB250_9 Depth=1
	v_ffbh_u32_e32 v46, v46
	v_min_u32_e32 v48, 32, v46
	v_subrev_nc_u32_e32 v46, 28, v48
	v_lshlrev_b64 v[46:47], v46, v[1:2]
	v_sub_nc_u32_e32 v47, 29, v48
	v_and_b32_e32 v46, 7, v46
; %bb.190:                              ;   in Loop: Header=BB250_9 Depth=1
	s_or_b32 exec_lo, exec_lo, s34
	v_lshlrev_b32_e32 v48, 8, v1
	v_lshl_add_u32 v47, v47, 10, 0x2000
	v_lshlrev_b32_e32 v46, 7, v46
	v_and_b32_e32 v48, 0x8000, v48
	v_and_b32_e32 v47, 0xfc00, v47
	v_or3_b32 v46, v48, v47, v46
.LBB250_191:                            ;   in Loop: Header=BB250_9 Depth=1
	s_or_b32 exec_lo, exec_lo, s33
.LBB250_192:                            ;   in Loop: Header=BB250_9 Depth=1
	s_or_b32 exec_lo, exec_lo, s31
.LBB250_193:                            ;   in Loop: Header=BB250_9 Depth=1
	s_or_b32 exec_lo, exec_lo, s3
	v_lshrrev_b16 v1, 8, v1
	s_mov_b32 s3, exec_lo
	v_cmpx_ne_u16_e32 0, v1
	s_cbranch_execz .LBB250_201
; %bb.194:                              ;   in Loop: Header=BB250_9 Depth=1
	v_bfrev_b32_e32 v45, 1
	s_mov_b32 s31, exec_lo
	v_cmpx_ne_u16_e32 0x80, v1
	s_cbranch_execz .LBB250_200
; %bb.195:                              ;   in Loop: Header=BB250_9 Depth=1
	v_and_b32_sdwa v48, v1, v18 dst_sel:DWORD dst_unused:UNUSED_PAD src0_sel:WORD_0 src1_sel:DWORD
	v_mov_b32_e32 v45, 0x7c010000
	s_mov_b32 s33, exec_lo
	v_cmpx_ne_u32_e32 0x7f, v48
	s_cbranch_execz .LBB250_199
; %bb.196:                              ;   in Loop: Header=BB250_9 Depth=1
	v_and_b32_sdwa v45, v1, v19 dst_sel:DWORD dst_unused:UNUSED_PAD src0_sel:WORD_0 src1_sel:DWORD
	v_lshrrev_b32_e32 v47, 3, v48
	s_mov_b32 s34, exec_lo
	v_cmpx_gt_u32_e32 8, v48
; %bb.197:                              ;   in Loop: Header=BB250_9 Depth=1
	v_ffbh_u32_e32 v45, v45
	v_min_u32_e32 v45, 32, v45
	v_subrev_nc_u32_e32 v47, 28, v45
	v_lshlrev_b64 v[48:49], v47, v[1:2]
	v_sub_nc_u32_e32 v47, 29, v45
	v_and_b32_e32 v45, 7, v48
; %bb.198:                              ;   in Loop: Header=BB250_9 Depth=1
	s_or_b32 exec_lo, exec_lo, s34
	v_lshlrev_b32_sdwa v1, v20, v1 dst_sel:DWORD dst_unused:UNUSED_PAD src0_sel:DWORD src1_sel:WORD_0
	v_lshl_add_u32 v47, v47, 10, 0x2000
	v_lshlrev_b32_e32 v45, 23, v45
	v_and_or_b32 v1, 0x8000, v1, v47
	v_lshl_or_b32 v45, v1, 16, v45
.LBB250_199:                            ;   in Loop: Header=BB250_9 Depth=1
	s_or_b32 exec_lo, exec_lo, s33
.LBB250_200:                            ;   in Loop: Header=BB250_9 Depth=1
	s_or_b32 exec_lo, exec_lo, s31
.LBB250_201:                            ;   in Loop: Header=BB250_9 Depth=1
	s_or_b32 exec_lo, exec_lo, s3
	global_load_ushort v48, v[7:8], off offset:768
	v_mov_b32_e32 v47, 0
	s_waitcnt vmcnt(0)
	v_and_b32_e32 v1, 0xffff, v48
	v_cmp_ne_u16_sdwa s2, v48, v2 src0_sel:BYTE_0 src1_sel:DWORD
	v_mov_b32_e32 v48, 0
	s_and_saveexec_b32 s3, s2
	s_cbranch_execz .LBB250_209
; %bb.202:                              ;   in Loop: Header=BB250_9 Depth=1
	v_cmp_ne_u16_sdwa s2, v1, v17 src0_sel:BYTE_0 src1_sel:DWORD
	v_mov_b32_e32 v48, 0x8000
	s_and_saveexec_b32 s31, s2
	s_cbranch_execz .LBB250_208
; %bb.203:                              ;   in Loop: Header=BB250_9 Depth=1
	v_and_b32_e32 v50, 0x7f, v1
	v_mov_b32_e32 v48, 0x7c01
	s_mov_b32 s33, exec_lo
	v_cmpx_ne_u32_e32 0x7f, v50
	s_cbranch_execz .LBB250_207
; %bb.204:                              ;   in Loop: Header=BB250_9 Depth=1
	v_and_b32_e32 v48, 7, v1
	v_lshrrev_b32_e32 v49, 3, v50
	s_mov_b32 s34, exec_lo
	v_cmpx_gt_u32_e32 8, v50
; %bb.205:                              ;   in Loop: Header=BB250_9 Depth=1
	v_ffbh_u32_e32 v48, v48
	v_min_u32_e32 v50, 32, v48
	v_subrev_nc_u32_e32 v48, 28, v50
	v_lshlrev_b64 v[48:49], v48, v[1:2]
	v_sub_nc_u32_e32 v49, 29, v50
	v_and_b32_e32 v48, 7, v48
; %bb.206:                              ;   in Loop: Header=BB250_9 Depth=1
	s_or_b32 exec_lo, exec_lo, s34
	v_lshlrev_b32_e32 v50, 8, v1
	v_lshl_add_u32 v49, v49, 10, 0x2000
	v_lshlrev_b32_e32 v48, 7, v48
	v_and_b32_e32 v50, 0x8000, v50
	v_and_b32_e32 v49, 0xfc00, v49
	v_or3_b32 v48, v50, v49, v48
.LBB250_207:                            ;   in Loop: Header=BB250_9 Depth=1
	s_or_b32 exec_lo, exec_lo, s33
.LBB250_208:                            ;   in Loop: Header=BB250_9 Depth=1
	s_or_b32 exec_lo, exec_lo, s31
.LBB250_209:                            ;   in Loop: Header=BB250_9 Depth=1
	s_or_b32 exec_lo, exec_lo, s3
	v_lshrrev_b16 v1, 8, v1
	s_mov_b32 s3, exec_lo
	v_cmpx_ne_u16_e32 0, v1
	s_cbranch_execz .LBB250_217
; %bb.210:                              ;   in Loop: Header=BB250_9 Depth=1
	v_bfrev_b32_e32 v47, 1
	s_mov_b32 s31, exec_lo
	v_cmpx_ne_u16_e32 0x80, v1
	s_cbranch_execz .LBB250_216
; %bb.211:                              ;   in Loop: Header=BB250_9 Depth=1
	v_and_b32_sdwa v50, v1, v18 dst_sel:DWORD dst_unused:UNUSED_PAD src0_sel:WORD_0 src1_sel:DWORD
	v_mov_b32_e32 v47, 0x7c010000
	s_mov_b32 s33, exec_lo
	v_cmpx_ne_u32_e32 0x7f, v50
	s_cbranch_execz .LBB250_215
; %bb.212:                              ;   in Loop: Header=BB250_9 Depth=1
	v_and_b32_sdwa v47, v1, v19 dst_sel:DWORD dst_unused:UNUSED_PAD src0_sel:WORD_0 src1_sel:DWORD
	v_lshrrev_b32_e32 v49, 3, v50
	s_mov_b32 s34, exec_lo
	v_cmpx_gt_u32_e32 8, v50
; %bb.213:                              ;   in Loop: Header=BB250_9 Depth=1
	v_ffbh_u32_e32 v47, v47
	v_min_u32_e32 v47, 32, v47
	v_subrev_nc_u32_e32 v49, 28, v47
	v_lshlrev_b64 v[50:51], v49, v[1:2]
	v_sub_nc_u32_e32 v49, 29, v47
	v_and_b32_e32 v47, 7, v50
; %bb.214:                              ;   in Loop: Header=BB250_9 Depth=1
	s_or_b32 exec_lo, exec_lo, s34
	v_lshlrev_b32_sdwa v1, v20, v1 dst_sel:DWORD dst_unused:UNUSED_PAD src0_sel:DWORD src1_sel:WORD_0
	v_lshl_add_u32 v49, v49, 10, 0x2000
	v_lshlrev_b32_e32 v47, 23, v47
	v_and_or_b32 v1, 0x8000, v1, v49
	v_lshl_or_b32 v47, v1, 16, v47
.LBB250_215:                            ;   in Loop: Header=BB250_9 Depth=1
	s_or_b32 exec_lo, exec_lo, s33
.LBB250_216:                            ;   in Loop: Header=BB250_9 Depth=1
	s_or_b32 exec_lo, exec_lo, s31
.LBB250_217:                            ;   in Loop: Header=BB250_9 Depth=1
	s_or_b32 exec_lo, exec_lo, s3
	global_load_ushort v50, v[7:8], off offset:776
	v_mov_b32_e32 v49, 0
	s_waitcnt vmcnt(0)
	v_and_b32_e32 v1, 0xffff, v50
	v_cmp_ne_u16_sdwa s2, v50, v2 src0_sel:BYTE_0 src1_sel:DWORD
	v_mov_b32_e32 v50, 0
	s_and_saveexec_b32 s3, s2
	s_cbranch_execz .LBB250_225
; %bb.218:                              ;   in Loop: Header=BB250_9 Depth=1
	v_cmp_ne_u16_sdwa s2, v1, v17 src0_sel:BYTE_0 src1_sel:DWORD
	v_mov_b32_e32 v50, 0x8000
	s_and_saveexec_b32 s31, s2
	s_cbranch_execz .LBB250_224
; %bb.219:                              ;   in Loop: Header=BB250_9 Depth=1
	v_and_b32_e32 v52, 0x7f, v1
	v_mov_b32_e32 v50, 0x7c01
	s_mov_b32 s33, exec_lo
	v_cmpx_ne_u32_e32 0x7f, v52
	s_cbranch_execz .LBB250_223
; %bb.220:                              ;   in Loop: Header=BB250_9 Depth=1
	v_and_b32_e32 v50, 7, v1
	v_lshrrev_b32_e32 v51, 3, v52
	s_mov_b32 s34, exec_lo
	v_cmpx_gt_u32_e32 8, v52
; %bb.221:                              ;   in Loop: Header=BB250_9 Depth=1
	v_ffbh_u32_e32 v50, v50
	v_min_u32_e32 v52, 32, v50
	v_subrev_nc_u32_e32 v50, 28, v52
	v_lshlrev_b64 v[50:51], v50, v[1:2]
	v_sub_nc_u32_e32 v51, 29, v52
	v_and_b32_e32 v50, 7, v50
; %bb.222:                              ;   in Loop: Header=BB250_9 Depth=1
	s_or_b32 exec_lo, exec_lo, s34
	v_lshlrev_b32_e32 v52, 8, v1
	v_lshl_add_u32 v51, v51, 10, 0x2000
	v_lshlrev_b32_e32 v50, 7, v50
	v_and_b32_e32 v52, 0x8000, v52
	v_and_b32_e32 v51, 0xfc00, v51
	v_or3_b32 v50, v52, v51, v50
.LBB250_223:                            ;   in Loop: Header=BB250_9 Depth=1
	s_or_b32 exec_lo, exec_lo, s33
.LBB250_224:                            ;   in Loop: Header=BB250_9 Depth=1
	s_or_b32 exec_lo, exec_lo, s31
.LBB250_225:                            ;   in Loop: Header=BB250_9 Depth=1
	s_or_b32 exec_lo, exec_lo, s3
	v_lshrrev_b16 v1, 8, v1
	s_mov_b32 s3, exec_lo
	v_cmpx_ne_u16_e32 0, v1
	s_cbranch_execz .LBB250_233
; %bb.226:                              ;   in Loop: Header=BB250_9 Depth=1
	v_bfrev_b32_e32 v49, 1
	s_mov_b32 s31, exec_lo
	v_cmpx_ne_u16_e32 0x80, v1
	s_cbranch_execz .LBB250_232
; %bb.227:                              ;   in Loop: Header=BB250_9 Depth=1
	v_and_b32_sdwa v52, v1, v18 dst_sel:DWORD dst_unused:UNUSED_PAD src0_sel:WORD_0 src1_sel:DWORD
	v_mov_b32_e32 v49, 0x7c010000
	s_mov_b32 s33, exec_lo
	v_cmpx_ne_u32_e32 0x7f, v52
	s_cbranch_execz .LBB250_231
; %bb.228:                              ;   in Loop: Header=BB250_9 Depth=1
	v_and_b32_sdwa v49, v1, v19 dst_sel:DWORD dst_unused:UNUSED_PAD src0_sel:WORD_0 src1_sel:DWORD
	v_lshrrev_b32_e32 v51, 3, v52
	s_mov_b32 s34, exec_lo
	v_cmpx_gt_u32_e32 8, v52
; %bb.229:                              ;   in Loop: Header=BB250_9 Depth=1
	v_ffbh_u32_e32 v49, v49
	v_min_u32_e32 v49, 32, v49
	v_subrev_nc_u32_e32 v51, 28, v49
	v_lshlrev_b64 v[52:53], v51, v[1:2]
	v_sub_nc_u32_e32 v51, 29, v49
	v_and_b32_e32 v49, 7, v52
; %bb.230:                              ;   in Loop: Header=BB250_9 Depth=1
	s_or_b32 exec_lo, exec_lo, s34
	v_lshlrev_b32_sdwa v1, v20, v1 dst_sel:DWORD dst_unused:UNUSED_PAD src0_sel:DWORD src1_sel:WORD_0
	v_lshl_add_u32 v51, v51, 10, 0x2000
	v_lshlrev_b32_e32 v49, 23, v49
	v_and_or_b32 v1, 0x8000, v1, v51
	v_lshl_or_b32 v49, v1, 16, v49
.LBB250_231:                            ;   in Loop: Header=BB250_9 Depth=1
	s_or_b32 exec_lo, exec_lo, s33
.LBB250_232:                            ;   in Loop: Header=BB250_9 Depth=1
	s_or_b32 exec_lo, exec_lo, s31
.LBB250_233:                            ;   in Loop: Header=BB250_9 Depth=1
	s_or_b32 exec_lo, exec_lo, s3
	global_load_ushort v52, v[7:8], off offset:896
	v_mov_b32_e32 v51, 0
	s_waitcnt vmcnt(0)
	v_and_b32_e32 v1, 0xffff, v52
	v_cmp_ne_u16_sdwa s2, v52, v2 src0_sel:BYTE_0 src1_sel:DWORD
	v_mov_b32_e32 v52, 0
	s_and_saveexec_b32 s3, s2
	s_cbranch_execz .LBB250_241
; %bb.234:                              ;   in Loop: Header=BB250_9 Depth=1
	v_cmp_ne_u16_sdwa s2, v1, v17 src0_sel:BYTE_0 src1_sel:DWORD
	v_mov_b32_e32 v52, 0x8000
	s_and_saveexec_b32 s31, s2
	s_cbranch_execz .LBB250_240
; %bb.235:                              ;   in Loop: Header=BB250_9 Depth=1
	v_and_b32_e32 v54, 0x7f, v1
	v_mov_b32_e32 v52, 0x7c01
	s_mov_b32 s33, exec_lo
	v_cmpx_ne_u32_e32 0x7f, v54
	s_cbranch_execz .LBB250_239
; %bb.236:                              ;   in Loop: Header=BB250_9 Depth=1
	v_and_b32_e32 v52, 7, v1
	v_lshrrev_b32_e32 v53, 3, v54
	s_mov_b32 s34, exec_lo
	v_cmpx_gt_u32_e32 8, v54
; %bb.237:                              ;   in Loop: Header=BB250_9 Depth=1
	v_ffbh_u32_e32 v52, v52
	v_min_u32_e32 v54, 32, v52
	v_subrev_nc_u32_e32 v52, 28, v54
	v_lshlrev_b64 v[52:53], v52, v[1:2]
	v_sub_nc_u32_e32 v53, 29, v54
	v_and_b32_e32 v52, 7, v52
; %bb.238:                              ;   in Loop: Header=BB250_9 Depth=1
	s_or_b32 exec_lo, exec_lo, s34
	v_lshlrev_b32_e32 v54, 8, v1
	v_lshl_add_u32 v53, v53, 10, 0x2000
	v_lshlrev_b32_e32 v52, 7, v52
	v_and_b32_e32 v54, 0x8000, v54
	v_and_b32_e32 v53, 0xfc00, v53
	v_or3_b32 v52, v54, v53, v52
.LBB250_239:                            ;   in Loop: Header=BB250_9 Depth=1
	s_or_b32 exec_lo, exec_lo, s33
.LBB250_240:                            ;   in Loop: Header=BB250_9 Depth=1
	s_or_b32 exec_lo, exec_lo, s31
.LBB250_241:                            ;   in Loop: Header=BB250_9 Depth=1
	s_or_b32 exec_lo, exec_lo, s3
	v_lshrrev_b16 v1, 8, v1
	s_mov_b32 s3, exec_lo
	v_cmpx_ne_u16_e32 0, v1
	s_cbranch_execz .LBB250_249
; %bb.242:                              ;   in Loop: Header=BB250_9 Depth=1
	v_bfrev_b32_e32 v51, 1
	s_mov_b32 s31, exec_lo
	v_cmpx_ne_u16_e32 0x80, v1
	s_cbranch_execz .LBB250_248
; %bb.243:                              ;   in Loop: Header=BB250_9 Depth=1
	v_and_b32_sdwa v54, v1, v18 dst_sel:DWORD dst_unused:UNUSED_PAD src0_sel:WORD_0 src1_sel:DWORD
	v_mov_b32_e32 v51, 0x7c010000
	s_mov_b32 s33, exec_lo
	v_cmpx_ne_u32_e32 0x7f, v54
	s_cbranch_execz .LBB250_247
; %bb.244:                              ;   in Loop: Header=BB250_9 Depth=1
	v_and_b32_sdwa v51, v1, v19 dst_sel:DWORD dst_unused:UNUSED_PAD src0_sel:WORD_0 src1_sel:DWORD
	v_lshrrev_b32_e32 v53, 3, v54
	s_mov_b32 s34, exec_lo
	v_cmpx_gt_u32_e32 8, v54
; %bb.245:                              ;   in Loop: Header=BB250_9 Depth=1
	v_ffbh_u32_e32 v51, v51
	v_min_u32_e32 v51, 32, v51
	v_subrev_nc_u32_e32 v53, 28, v51
	v_lshlrev_b64 v[54:55], v53, v[1:2]
	v_sub_nc_u32_e32 v53, 29, v51
	v_and_b32_e32 v51, 7, v54
; %bb.246:                              ;   in Loop: Header=BB250_9 Depth=1
	s_or_b32 exec_lo, exec_lo, s34
	v_lshlrev_b32_sdwa v1, v20, v1 dst_sel:DWORD dst_unused:UNUSED_PAD src0_sel:DWORD src1_sel:WORD_0
	v_lshl_add_u32 v53, v53, 10, 0x2000
	v_lshlrev_b32_e32 v51, 23, v51
	v_and_or_b32 v1, 0x8000, v1, v53
	v_lshl_or_b32 v51, v1, 16, v51
.LBB250_247:                            ;   in Loop: Header=BB250_9 Depth=1
	s_or_b32 exec_lo, exec_lo, s33
.LBB250_248:                            ;   in Loop: Header=BB250_9 Depth=1
	s_or_b32 exec_lo, exec_lo, s31
.LBB250_249:                            ;   in Loop: Header=BB250_9 Depth=1
	s_or_b32 exec_lo, exec_lo, s3
	global_load_ushort v54, v[7:8], off offset:904
	v_mov_b32_e32 v53, 0
	s_waitcnt vmcnt(0)
	v_and_b32_e32 v1, 0xffff, v54
	v_cmp_ne_u16_sdwa s2, v54, v2 src0_sel:BYTE_0 src1_sel:DWORD
	v_mov_b32_e32 v54, 0
	s_and_saveexec_b32 s3, s2
	s_cbranch_execz .LBB250_257
; %bb.250:                              ;   in Loop: Header=BB250_9 Depth=1
	v_cmp_ne_u16_sdwa s2, v1, v17 src0_sel:BYTE_0 src1_sel:DWORD
	v_mov_b32_e32 v54, 0x8000
	s_and_saveexec_b32 s31, s2
	s_cbranch_execz .LBB250_256
; %bb.251:                              ;   in Loop: Header=BB250_9 Depth=1
	v_and_b32_e32 v56, 0x7f, v1
	v_mov_b32_e32 v54, 0x7c01
	s_mov_b32 s33, exec_lo
	v_cmpx_ne_u32_e32 0x7f, v56
	s_cbranch_execz .LBB250_255
; %bb.252:                              ;   in Loop: Header=BB250_9 Depth=1
	v_and_b32_e32 v54, 7, v1
	v_lshrrev_b32_e32 v55, 3, v56
	s_mov_b32 s34, exec_lo
	v_cmpx_gt_u32_e32 8, v56
; %bb.253:                              ;   in Loop: Header=BB250_9 Depth=1
	v_ffbh_u32_e32 v54, v54
	v_min_u32_e32 v56, 32, v54
	v_subrev_nc_u32_e32 v54, 28, v56
	v_lshlrev_b64 v[54:55], v54, v[1:2]
	v_sub_nc_u32_e32 v55, 29, v56
	v_and_b32_e32 v54, 7, v54
; %bb.254:                              ;   in Loop: Header=BB250_9 Depth=1
	s_or_b32 exec_lo, exec_lo, s34
	v_lshlrev_b32_e32 v56, 8, v1
	v_lshl_add_u32 v55, v55, 10, 0x2000
	v_lshlrev_b32_e32 v54, 7, v54
	v_and_b32_e32 v56, 0x8000, v56
	v_and_b32_e32 v55, 0xfc00, v55
	v_or3_b32 v54, v56, v55, v54
.LBB250_255:                            ;   in Loop: Header=BB250_9 Depth=1
	s_or_b32 exec_lo, exec_lo, s33
.LBB250_256:                            ;   in Loop: Header=BB250_9 Depth=1
	s_or_b32 exec_lo, exec_lo, s31
.LBB250_257:                            ;   in Loop: Header=BB250_9 Depth=1
	s_or_b32 exec_lo, exec_lo, s3
	v_lshrrev_b16 v1, 8, v1
	s_mov_b32 s3, exec_lo
	v_cmpx_ne_u16_e32 0, v1
	s_cbranch_execz .LBB250_265
; %bb.258:                              ;   in Loop: Header=BB250_9 Depth=1
	v_bfrev_b32_e32 v53, 1
	s_mov_b32 s31, exec_lo
	v_cmpx_ne_u16_e32 0x80, v1
	s_cbranch_execz .LBB250_264
; %bb.259:                              ;   in Loop: Header=BB250_9 Depth=1
	v_and_b32_sdwa v56, v1, v18 dst_sel:DWORD dst_unused:UNUSED_PAD src0_sel:WORD_0 src1_sel:DWORD
	v_mov_b32_e32 v53, 0x7c010000
	s_mov_b32 s33, exec_lo
	v_cmpx_ne_u32_e32 0x7f, v56
	s_cbranch_execz .LBB250_263
; %bb.260:                              ;   in Loop: Header=BB250_9 Depth=1
	v_and_b32_sdwa v53, v1, v19 dst_sel:DWORD dst_unused:UNUSED_PAD src0_sel:WORD_0 src1_sel:DWORD
	v_lshrrev_b32_e32 v55, 3, v56
	s_mov_b32 s34, exec_lo
	v_cmpx_gt_u32_e32 8, v56
; %bb.261:                              ;   in Loop: Header=BB250_9 Depth=1
	v_ffbh_u32_e32 v53, v53
	v_min_u32_e32 v53, 32, v53
	v_subrev_nc_u32_e32 v55, 28, v53
	v_lshlrev_b64 v[56:57], v55, v[1:2]
	v_sub_nc_u32_e32 v55, 29, v53
	v_and_b32_e32 v53, 7, v56
; %bb.262:                              ;   in Loop: Header=BB250_9 Depth=1
	s_or_b32 exec_lo, exec_lo, s34
	v_lshlrev_b32_sdwa v1, v20, v1 dst_sel:DWORD dst_unused:UNUSED_PAD src0_sel:DWORD src1_sel:WORD_0
	v_lshl_add_u32 v55, v55, 10, 0x2000
	v_lshlrev_b32_e32 v53, 23, v53
	v_and_or_b32 v1, 0x8000, v1, v55
	v_lshl_or_b32 v53, v1, 16, v53
.LBB250_263:                            ;   in Loop: Header=BB250_9 Depth=1
	s_or_b32 exec_lo, exec_lo, s33
.LBB250_264:                            ;   in Loop: Header=BB250_9 Depth=1
	s_or_b32 exec_lo, exec_lo, s31
.LBB250_265:                            ;   in Loop: Header=BB250_9 Depth=1
	s_or_b32 exec_lo, exec_lo, s3
	global_load_ushort v56, v[7:8], off offset:1024
	v_mov_b32_e32 v55, 0
	s_waitcnt vmcnt(0)
	v_and_b32_e32 v1, 0xffff, v56
	v_cmp_ne_u16_sdwa s2, v56, v2 src0_sel:BYTE_0 src1_sel:DWORD
	v_mov_b32_e32 v56, 0
	s_and_saveexec_b32 s3, s2
	s_cbranch_execz .LBB250_273
; %bb.266:                              ;   in Loop: Header=BB250_9 Depth=1
	v_cmp_ne_u16_sdwa s2, v1, v17 src0_sel:BYTE_0 src1_sel:DWORD
	v_mov_b32_e32 v56, 0x8000
	s_and_saveexec_b32 s31, s2
	s_cbranch_execz .LBB250_272
; %bb.267:                              ;   in Loop: Header=BB250_9 Depth=1
	v_and_b32_e32 v58, 0x7f, v1
	v_mov_b32_e32 v56, 0x7c01
	s_mov_b32 s33, exec_lo
	v_cmpx_ne_u32_e32 0x7f, v58
	s_cbranch_execz .LBB250_271
; %bb.268:                              ;   in Loop: Header=BB250_9 Depth=1
	v_and_b32_e32 v56, 7, v1
	v_lshrrev_b32_e32 v57, 3, v58
	s_mov_b32 s34, exec_lo
	v_cmpx_gt_u32_e32 8, v58
; %bb.269:                              ;   in Loop: Header=BB250_9 Depth=1
	v_ffbh_u32_e32 v56, v56
	v_min_u32_e32 v58, 32, v56
	v_subrev_nc_u32_e32 v56, 28, v58
	v_lshlrev_b64 v[56:57], v56, v[1:2]
	v_sub_nc_u32_e32 v57, 29, v58
	v_and_b32_e32 v56, 7, v56
; %bb.270:                              ;   in Loop: Header=BB250_9 Depth=1
	s_or_b32 exec_lo, exec_lo, s34
	v_lshlrev_b32_e32 v58, 8, v1
	v_lshl_add_u32 v57, v57, 10, 0x2000
	v_lshlrev_b32_e32 v56, 7, v56
	v_and_b32_e32 v58, 0x8000, v58
	v_and_b32_e32 v57, 0xfc00, v57
	v_or3_b32 v56, v58, v57, v56
.LBB250_271:                            ;   in Loop: Header=BB250_9 Depth=1
	s_or_b32 exec_lo, exec_lo, s33
.LBB250_272:                            ;   in Loop: Header=BB250_9 Depth=1
	s_or_b32 exec_lo, exec_lo, s31
.LBB250_273:                            ;   in Loop: Header=BB250_9 Depth=1
	s_or_b32 exec_lo, exec_lo, s3
	v_lshrrev_b16 v1, 8, v1
	s_mov_b32 s3, exec_lo
	v_cmpx_ne_u16_e32 0, v1
	s_cbranch_execz .LBB250_281
; %bb.274:                              ;   in Loop: Header=BB250_9 Depth=1
	v_bfrev_b32_e32 v55, 1
	s_mov_b32 s31, exec_lo
	v_cmpx_ne_u16_e32 0x80, v1
	s_cbranch_execz .LBB250_280
; %bb.275:                              ;   in Loop: Header=BB250_9 Depth=1
	v_and_b32_sdwa v58, v1, v18 dst_sel:DWORD dst_unused:UNUSED_PAD src0_sel:WORD_0 src1_sel:DWORD
	v_mov_b32_e32 v55, 0x7c010000
	s_mov_b32 s33, exec_lo
	v_cmpx_ne_u32_e32 0x7f, v58
	s_cbranch_execz .LBB250_279
; %bb.276:                              ;   in Loop: Header=BB250_9 Depth=1
	v_and_b32_sdwa v55, v1, v19 dst_sel:DWORD dst_unused:UNUSED_PAD src0_sel:WORD_0 src1_sel:DWORD
	v_lshrrev_b32_e32 v57, 3, v58
	s_mov_b32 s34, exec_lo
	v_cmpx_gt_u32_e32 8, v58
; %bb.277:                              ;   in Loop: Header=BB250_9 Depth=1
	v_ffbh_u32_e32 v55, v55
	v_min_u32_e32 v55, 32, v55
	v_subrev_nc_u32_e32 v57, 28, v55
	v_lshlrev_b64 v[58:59], v57, v[1:2]
	v_sub_nc_u32_e32 v57, 29, v55
	v_and_b32_e32 v55, 7, v58
; %bb.278:                              ;   in Loop: Header=BB250_9 Depth=1
	s_or_b32 exec_lo, exec_lo, s34
	v_lshlrev_b32_sdwa v1, v20, v1 dst_sel:DWORD dst_unused:UNUSED_PAD src0_sel:DWORD src1_sel:WORD_0
	v_lshl_add_u32 v57, v57, 10, 0x2000
	v_lshlrev_b32_e32 v55, 23, v55
	v_and_or_b32 v1, 0x8000, v1, v57
	v_lshl_or_b32 v55, v1, 16, v55
.LBB250_279:                            ;   in Loop: Header=BB250_9 Depth=1
	s_or_b32 exec_lo, exec_lo, s33
.LBB250_280:                            ;   in Loop: Header=BB250_9 Depth=1
	s_or_b32 exec_lo, exec_lo, s31
.LBB250_281:                            ;   in Loop: Header=BB250_9 Depth=1
	s_or_b32 exec_lo, exec_lo, s3
	global_load_ushort v58, v[7:8], off offset:1032
	v_mov_b32_e32 v57, 0
	s_waitcnt vmcnt(0)
	v_and_b32_e32 v1, 0xffff, v58
	v_cmp_ne_u16_sdwa s2, v58, v2 src0_sel:BYTE_0 src1_sel:DWORD
	v_mov_b32_e32 v58, 0
	s_and_saveexec_b32 s3, s2
	s_cbranch_execz .LBB250_289
; %bb.282:                              ;   in Loop: Header=BB250_9 Depth=1
	v_cmp_ne_u16_sdwa s2, v1, v17 src0_sel:BYTE_0 src1_sel:DWORD
	v_mov_b32_e32 v58, 0x8000
	s_and_saveexec_b32 s31, s2
	s_cbranch_execz .LBB250_288
; %bb.283:                              ;   in Loop: Header=BB250_9 Depth=1
	v_and_b32_e32 v60, 0x7f, v1
	v_mov_b32_e32 v58, 0x7c01
	s_mov_b32 s33, exec_lo
	v_cmpx_ne_u32_e32 0x7f, v60
	s_cbranch_execz .LBB250_287
; %bb.284:                              ;   in Loop: Header=BB250_9 Depth=1
	v_and_b32_e32 v58, 7, v1
	v_lshrrev_b32_e32 v59, 3, v60
	s_mov_b32 s34, exec_lo
	v_cmpx_gt_u32_e32 8, v60
; %bb.285:                              ;   in Loop: Header=BB250_9 Depth=1
	v_ffbh_u32_e32 v58, v58
	v_min_u32_e32 v60, 32, v58
	v_subrev_nc_u32_e32 v58, 28, v60
	v_lshlrev_b64 v[58:59], v58, v[1:2]
	v_sub_nc_u32_e32 v59, 29, v60
	v_and_b32_e32 v58, 7, v58
; %bb.286:                              ;   in Loop: Header=BB250_9 Depth=1
	s_or_b32 exec_lo, exec_lo, s34
	v_lshlrev_b32_e32 v60, 8, v1
	v_lshl_add_u32 v59, v59, 10, 0x2000
	v_lshlrev_b32_e32 v58, 7, v58
	v_and_b32_e32 v60, 0x8000, v60
	v_and_b32_e32 v59, 0xfc00, v59
	v_or3_b32 v58, v60, v59, v58
.LBB250_287:                            ;   in Loop: Header=BB250_9 Depth=1
	s_or_b32 exec_lo, exec_lo, s33
.LBB250_288:                            ;   in Loop: Header=BB250_9 Depth=1
	s_or_b32 exec_lo, exec_lo, s31
.LBB250_289:                            ;   in Loop: Header=BB250_9 Depth=1
	s_or_b32 exec_lo, exec_lo, s3
	v_lshrrev_b16 v1, 8, v1
	s_mov_b32 s3, exec_lo
	v_cmpx_ne_u16_e32 0, v1
	s_cbranch_execz .LBB250_297
; %bb.290:                              ;   in Loop: Header=BB250_9 Depth=1
	v_bfrev_b32_e32 v57, 1
	s_mov_b32 s31, exec_lo
	v_cmpx_ne_u16_e32 0x80, v1
	s_cbranch_execz .LBB250_296
; %bb.291:                              ;   in Loop: Header=BB250_9 Depth=1
	v_and_b32_sdwa v60, v1, v18 dst_sel:DWORD dst_unused:UNUSED_PAD src0_sel:WORD_0 src1_sel:DWORD
	v_mov_b32_e32 v57, 0x7c010000
	s_mov_b32 s33, exec_lo
	v_cmpx_ne_u32_e32 0x7f, v60
	s_cbranch_execz .LBB250_295
; %bb.292:                              ;   in Loop: Header=BB250_9 Depth=1
	v_and_b32_sdwa v57, v1, v19 dst_sel:DWORD dst_unused:UNUSED_PAD src0_sel:WORD_0 src1_sel:DWORD
	v_lshrrev_b32_e32 v59, 3, v60
	s_mov_b32 s34, exec_lo
	v_cmpx_gt_u32_e32 8, v60
; %bb.293:                              ;   in Loop: Header=BB250_9 Depth=1
	v_ffbh_u32_e32 v57, v57
	v_min_u32_e32 v57, 32, v57
	v_subrev_nc_u32_e32 v59, 28, v57
	v_lshlrev_b64 v[60:61], v59, v[1:2]
	v_sub_nc_u32_e32 v59, 29, v57
	v_and_b32_e32 v57, 7, v60
; %bb.294:                              ;   in Loop: Header=BB250_9 Depth=1
	s_or_b32 exec_lo, exec_lo, s34
	v_lshlrev_b32_sdwa v1, v20, v1 dst_sel:DWORD dst_unused:UNUSED_PAD src0_sel:DWORD src1_sel:WORD_0
	v_lshl_add_u32 v59, v59, 10, 0x2000
	v_lshlrev_b32_e32 v57, 23, v57
	v_and_or_b32 v1, 0x8000, v1, v59
	v_lshl_or_b32 v57, v1, 16, v57
.LBB250_295:                            ;   in Loop: Header=BB250_9 Depth=1
	s_or_b32 exec_lo, exec_lo, s33
.LBB250_296:                            ;   in Loop: Header=BB250_9 Depth=1
	s_or_b32 exec_lo, exec_lo, s31
.LBB250_297:                            ;   in Loop: Header=BB250_9 Depth=1
	s_or_b32 exec_lo, exec_lo, s3
	global_load_ushort v60, v[7:8], off offset:1152
	v_mov_b32_e32 v59, 0
	s_waitcnt vmcnt(0)
	v_and_b32_e32 v1, 0xffff, v60
	v_cmp_ne_u16_sdwa s2, v60, v2 src0_sel:BYTE_0 src1_sel:DWORD
	v_mov_b32_e32 v60, 0
	s_and_saveexec_b32 s3, s2
	s_cbranch_execz .LBB250_305
; %bb.298:                              ;   in Loop: Header=BB250_9 Depth=1
	v_cmp_ne_u16_sdwa s2, v1, v17 src0_sel:BYTE_0 src1_sel:DWORD
	v_mov_b32_e32 v60, 0x8000
	s_and_saveexec_b32 s31, s2
	s_cbranch_execz .LBB250_304
; %bb.299:                              ;   in Loop: Header=BB250_9 Depth=1
	v_and_b32_e32 v62, 0x7f, v1
	v_mov_b32_e32 v60, 0x7c01
	s_mov_b32 s33, exec_lo
	v_cmpx_ne_u32_e32 0x7f, v62
	s_cbranch_execz .LBB250_303
; %bb.300:                              ;   in Loop: Header=BB250_9 Depth=1
	v_and_b32_e32 v60, 7, v1
	v_lshrrev_b32_e32 v61, 3, v62
	s_mov_b32 s34, exec_lo
	v_cmpx_gt_u32_e32 8, v62
; %bb.301:                              ;   in Loop: Header=BB250_9 Depth=1
	v_ffbh_u32_e32 v60, v60
	v_min_u32_e32 v62, 32, v60
	v_subrev_nc_u32_e32 v60, 28, v62
	v_lshlrev_b64 v[60:61], v60, v[1:2]
	v_sub_nc_u32_e32 v61, 29, v62
	v_and_b32_e32 v60, 7, v60
; %bb.302:                              ;   in Loop: Header=BB250_9 Depth=1
	s_or_b32 exec_lo, exec_lo, s34
	v_lshlrev_b32_e32 v62, 8, v1
	v_lshl_add_u32 v61, v61, 10, 0x2000
	v_lshlrev_b32_e32 v60, 7, v60
	v_and_b32_e32 v62, 0x8000, v62
	v_and_b32_e32 v61, 0xfc00, v61
	v_or3_b32 v60, v62, v61, v60
.LBB250_303:                            ;   in Loop: Header=BB250_9 Depth=1
	s_or_b32 exec_lo, exec_lo, s33
.LBB250_304:                            ;   in Loop: Header=BB250_9 Depth=1
	s_or_b32 exec_lo, exec_lo, s31
.LBB250_305:                            ;   in Loop: Header=BB250_9 Depth=1
	s_or_b32 exec_lo, exec_lo, s3
	v_lshrrev_b16 v1, 8, v1
	s_mov_b32 s3, exec_lo
	v_cmpx_ne_u16_e32 0, v1
	s_cbranch_execz .LBB250_313
; %bb.306:                              ;   in Loop: Header=BB250_9 Depth=1
	v_bfrev_b32_e32 v59, 1
	s_mov_b32 s31, exec_lo
	v_cmpx_ne_u16_e32 0x80, v1
	s_cbranch_execz .LBB250_312
; %bb.307:                              ;   in Loop: Header=BB250_9 Depth=1
	v_and_b32_sdwa v62, v1, v18 dst_sel:DWORD dst_unused:UNUSED_PAD src0_sel:WORD_0 src1_sel:DWORD
	v_mov_b32_e32 v59, 0x7c010000
	s_mov_b32 s33, exec_lo
	v_cmpx_ne_u32_e32 0x7f, v62
	s_cbranch_execz .LBB250_311
; %bb.308:                              ;   in Loop: Header=BB250_9 Depth=1
	v_and_b32_sdwa v59, v1, v19 dst_sel:DWORD dst_unused:UNUSED_PAD src0_sel:WORD_0 src1_sel:DWORD
	v_lshrrev_b32_e32 v61, 3, v62
	s_mov_b32 s34, exec_lo
	v_cmpx_gt_u32_e32 8, v62
; %bb.309:                              ;   in Loop: Header=BB250_9 Depth=1
	v_ffbh_u32_e32 v59, v59
	v_min_u32_e32 v59, 32, v59
	v_subrev_nc_u32_e32 v61, 28, v59
	v_lshlrev_b64 v[62:63], v61, v[1:2]
	v_sub_nc_u32_e32 v61, 29, v59
	v_and_b32_e32 v59, 7, v62
; %bb.310:                              ;   in Loop: Header=BB250_9 Depth=1
	s_or_b32 exec_lo, exec_lo, s34
	v_lshlrev_b32_sdwa v1, v20, v1 dst_sel:DWORD dst_unused:UNUSED_PAD src0_sel:DWORD src1_sel:WORD_0
	v_lshl_add_u32 v61, v61, 10, 0x2000
	v_lshlrev_b32_e32 v59, 23, v59
	v_and_or_b32 v1, 0x8000, v1, v61
	v_lshl_or_b32 v59, v1, 16, v59
.LBB250_311:                            ;   in Loop: Header=BB250_9 Depth=1
	s_or_b32 exec_lo, exec_lo, s33
.LBB250_312:                            ;   in Loop: Header=BB250_9 Depth=1
	s_or_b32 exec_lo, exec_lo, s31
.LBB250_313:                            ;   in Loop: Header=BB250_9 Depth=1
	s_or_b32 exec_lo, exec_lo, s3
	global_load_ushort v62, v[7:8], off offset:1160
	v_mov_b32_e32 v61, 0
	s_waitcnt vmcnt(0)
	v_and_b32_e32 v1, 0xffff, v62
	v_cmp_ne_u16_sdwa s2, v62, v2 src0_sel:BYTE_0 src1_sel:DWORD
	v_mov_b32_e32 v62, 0
	s_and_saveexec_b32 s3, s2
	s_cbranch_execz .LBB250_321
; %bb.314:                              ;   in Loop: Header=BB250_9 Depth=1
	v_cmp_ne_u16_sdwa s2, v1, v17 src0_sel:BYTE_0 src1_sel:DWORD
	v_mov_b32_e32 v62, 0x8000
	s_and_saveexec_b32 s31, s2
	s_cbranch_execz .LBB250_320
; %bb.315:                              ;   in Loop: Header=BB250_9 Depth=1
	v_and_b32_e32 v64, 0x7f, v1
	v_mov_b32_e32 v62, 0x7c01
	s_mov_b32 s33, exec_lo
	v_cmpx_ne_u32_e32 0x7f, v64
	s_cbranch_execz .LBB250_319
; %bb.316:                              ;   in Loop: Header=BB250_9 Depth=1
	v_and_b32_e32 v62, 7, v1
	v_lshrrev_b32_e32 v63, 3, v64
	s_mov_b32 s34, exec_lo
	v_cmpx_gt_u32_e32 8, v64
; %bb.317:                              ;   in Loop: Header=BB250_9 Depth=1
	v_ffbh_u32_e32 v62, v62
	v_min_u32_e32 v64, 32, v62
	v_subrev_nc_u32_e32 v62, 28, v64
	v_lshlrev_b64 v[62:63], v62, v[1:2]
	v_sub_nc_u32_e32 v63, 29, v64
	v_and_b32_e32 v62, 7, v62
; %bb.318:                              ;   in Loop: Header=BB250_9 Depth=1
	s_or_b32 exec_lo, exec_lo, s34
	v_lshlrev_b32_e32 v64, 8, v1
	v_lshl_add_u32 v63, v63, 10, 0x2000
	v_lshlrev_b32_e32 v62, 7, v62
	v_and_b32_e32 v64, 0x8000, v64
	v_and_b32_e32 v63, 0xfc00, v63
	v_or3_b32 v62, v64, v63, v62
.LBB250_319:                            ;   in Loop: Header=BB250_9 Depth=1
	s_or_b32 exec_lo, exec_lo, s33
.LBB250_320:                            ;   in Loop: Header=BB250_9 Depth=1
	s_or_b32 exec_lo, exec_lo, s31
.LBB250_321:                            ;   in Loop: Header=BB250_9 Depth=1
	s_or_b32 exec_lo, exec_lo, s3
	v_lshrrev_b16 v1, 8, v1
	s_mov_b32 s3, exec_lo
	v_cmpx_ne_u16_e32 0, v1
	s_cbranch_execz .LBB250_329
; %bb.322:                              ;   in Loop: Header=BB250_9 Depth=1
	v_bfrev_b32_e32 v61, 1
	s_mov_b32 s31, exec_lo
	v_cmpx_ne_u16_e32 0x80, v1
	s_cbranch_execz .LBB250_328
; %bb.323:                              ;   in Loop: Header=BB250_9 Depth=1
	v_and_b32_sdwa v64, v1, v18 dst_sel:DWORD dst_unused:UNUSED_PAD src0_sel:WORD_0 src1_sel:DWORD
	v_mov_b32_e32 v61, 0x7c010000
	s_mov_b32 s33, exec_lo
	v_cmpx_ne_u32_e32 0x7f, v64
	s_cbranch_execz .LBB250_327
; %bb.324:                              ;   in Loop: Header=BB250_9 Depth=1
	v_and_b32_sdwa v61, v1, v19 dst_sel:DWORD dst_unused:UNUSED_PAD src0_sel:WORD_0 src1_sel:DWORD
	v_lshrrev_b32_e32 v63, 3, v64
	s_mov_b32 s34, exec_lo
	v_cmpx_gt_u32_e32 8, v64
; %bb.325:                              ;   in Loop: Header=BB250_9 Depth=1
	v_ffbh_u32_e32 v61, v61
	v_min_u32_e32 v61, 32, v61
	v_subrev_nc_u32_e32 v63, 28, v61
	v_lshlrev_b64 v[64:65], v63, v[1:2]
	v_sub_nc_u32_e32 v63, 29, v61
	v_and_b32_e32 v61, 7, v64
; %bb.326:                              ;   in Loop: Header=BB250_9 Depth=1
	s_or_b32 exec_lo, exec_lo, s34
	v_lshlrev_b32_sdwa v1, v20, v1 dst_sel:DWORD dst_unused:UNUSED_PAD src0_sel:DWORD src1_sel:WORD_0
	v_lshl_add_u32 v63, v63, 10, 0x2000
	v_lshlrev_b32_e32 v61, 23, v61
	v_and_or_b32 v1, 0x8000, v1, v63
	v_lshl_or_b32 v61, v1, 16, v61
.LBB250_327:                            ;   in Loop: Header=BB250_9 Depth=1
	s_or_b32 exec_lo, exec_lo, s33
.LBB250_328:                            ;   in Loop: Header=BB250_9 Depth=1
	s_or_b32 exec_lo, exec_lo, s31
.LBB250_329:                            ;   in Loop: Header=BB250_9 Depth=1
	s_or_b32 exec_lo, exec_lo, s3
	global_load_ushort v64, v[7:8], off offset:1280
	v_mov_b32_e32 v63, 0
	s_waitcnt vmcnt(0)
	v_and_b32_e32 v1, 0xffff, v64
	v_cmp_ne_u16_sdwa s2, v64, v2 src0_sel:BYTE_0 src1_sel:DWORD
	v_mov_b32_e32 v64, 0
	s_and_saveexec_b32 s3, s2
	s_cbranch_execz .LBB250_337
; %bb.330:                              ;   in Loop: Header=BB250_9 Depth=1
	v_cmp_ne_u16_sdwa s2, v1, v17 src0_sel:BYTE_0 src1_sel:DWORD
	v_mov_b32_e32 v64, 0x8000
	s_and_saveexec_b32 s31, s2
	s_cbranch_execz .LBB250_336
; %bb.331:                              ;   in Loop: Header=BB250_9 Depth=1
	v_and_b32_e32 v66, 0x7f, v1
	v_mov_b32_e32 v64, 0x7c01
	s_mov_b32 s33, exec_lo
	v_cmpx_ne_u32_e32 0x7f, v66
	s_cbranch_execz .LBB250_335
; %bb.332:                              ;   in Loop: Header=BB250_9 Depth=1
	v_and_b32_e32 v64, 7, v1
	v_lshrrev_b32_e32 v65, 3, v66
	s_mov_b32 s34, exec_lo
	v_cmpx_gt_u32_e32 8, v66
; %bb.333:                              ;   in Loop: Header=BB250_9 Depth=1
	v_ffbh_u32_e32 v64, v64
	v_min_u32_e32 v66, 32, v64
	v_subrev_nc_u32_e32 v64, 28, v66
	v_lshlrev_b64 v[64:65], v64, v[1:2]
	v_sub_nc_u32_e32 v65, 29, v66
	v_and_b32_e32 v64, 7, v64
; %bb.334:                              ;   in Loop: Header=BB250_9 Depth=1
	s_or_b32 exec_lo, exec_lo, s34
	v_lshlrev_b32_e32 v66, 8, v1
	v_lshl_add_u32 v65, v65, 10, 0x2000
	v_lshlrev_b32_e32 v64, 7, v64
	v_and_b32_e32 v66, 0x8000, v66
	v_and_b32_e32 v65, 0xfc00, v65
	v_or3_b32 v64, v66, v65, v64
.LBB250_335:                            ;   in Loop: Header=BB250_9 Depth=1
	s_or_b32 exec_lo, exec_lo, s33
.LBB250_336:                            ;   in Loop: Header=BB250_9 Depth=1
	s_or_b32 exec_lo, exec_lo, s31
.LBB250_337:                            ;   in Loop: Header=BB250_9 Depth=1
	s_or_b32 exec_lo, exec_lo, s3
	v_lshrrev_b16 v1, 8, v1
	s_mov_b32 s3, exec_lo
	v_cmpx_ne_u16_e32 0, v1
	s_cbranch_execz .LBB250_345
; %bb.338:                              ;   in Loop: Header=BB250_9 Depth=1
	v_bfrev_b32_e32 v63, 1
	s_mov_b32 s31, exec_lo
	v_cmpx_ne_u16_e32 0x80, v1
	s_cbranch_execz .LBB250_344
; %bb.339:                              ;   in Loop: Header=BB250_9 Depth=1
	v_and_b32_sdwa v66, v1, v18 dst_sel:DWORD dst_unused:UNUSED_PAD src0_sel:WORD_0 src1_sel:DWORD
	v_mov_b32_e32 v63, 0x7c010000
	s_mov_b32 s33, exec_lo
	v_cmpx_ne_u32_e32 0x7f, v66
	s_cbranch_execz .LBB250_343
; %bb.340:                              ;   in Loop: Header=BB250_9 Depth=1
	v_and_b32_sdwa v63, v1, v19 dst_sel:DWORD dst_unused:UNUSED_PAD src0_sel:WORD_0 src1_sel:DWORD
	v_lshrrev_b32_e32 v65, 3, v66
	s_mov_b32 s34, exec_lo
	v_cmpx_gt_u32_e32 8, v66
; %bb.341:                              ;   in Loop: Header=BB250_9 Depth=1
	v_ffbh_u32_e32 v63, v63
	v_min_u32_e32 v63, 32, v63
	v_subrev_nc_u32_e32 v65, 28, v63
	v_lshlrev_b64 v[66:67], v65, v[1:2]
	v_sub_nc_u32_e32 v65, 29, v63
	v_and_b32_e32 v63, 7, v66
; %bb.342:                              ;   in Loop: Header=BB250_9 Depth=1
	s_or_b32 exec_lo, exec_lo, s34
	v_lshlrev_b32_sdwa v1, v20, v1 dst_sel:DWORD dst_unused:UNUSED_PAD src0_sel:DWORD src1_sel:WORD_0
	v_lshl_add_u32 v65, v65, 10, 0x2000
	v_lshlrev_b32_e32 v63, 23, v63
	v_and_or_b32 v1, 0x8000, v1, v65
	v_lshl_or_b32 v63, v1, 16, v63
.LBB250_343:                            ;   in Loop: Header=BB250_9 Depth=1
	s_or_b32 exec_lo, exec_lo, s33
.LBB250_344:                            ;   in Loop: Header=BB250_9 Depth=1
	s_or_b32 exec_lo, exec_lo, s31
.LBB250_345:                            ;   in Loop: Header=BB250_9 Depth=1
	s_or_b32 exec_lo, exec_lo, s3
	global_load_ushort v66, v[7:8], off offset:1288
	v_mov_b32_e32 v65, 0
	s_waitcnt vmcnt(0)
	v_and_b32_e32 v1, 0xffff, v66
	v_cmp_ne_u16_sdwa s2, v66, v2 src0_sel:BYTE_0 src1_sel:DWORD
	v_mov_b32_e32 v66, 0
	s_and_saveexec_b32 s3, s2
	s_cbranch_execz .LBB250_353
; %bb.346:                              ;   in Loop: Header=BB250_9 Depth=1
	v_cmp_ne_u16_sdwa s2, v1, v17 src0_sel:BYTE_0 src1_sel:DWORD
	v_mov_b32_e32 v66, 0x8000
	s_and_saveexec_b32 s31, s2
	s_cbranch_execz .LBB250_352
; %bb.347:                              ;   in Loop: Header=BB250_9 Depth=1
	v_and_b32_e32 v68, 0x7f, v1
	v_mov_b32_e32 v66, 0x7c01
	s_mov_b32 s33, exec_lo
	v_cmpx_ne_u32_e32 0x7f, v68
	s_cbranch_execz .LBB250_351
; %bb.348:                              ;   in Loop: Header=BB250_9 Depth=1
	v_and_b32_e32 v66, 7, v1
	v_lshrrev_b32_e32 v67, 3, v68
	s_mov_b32 s34, exec_lo
	v_cmpx_gt_u32_e32 8, v68
; %bb.349:                              ;   in Loop: Header=BB250_9 Depth=1
	v_ffbh_u32_e32 v66, v66
	v_min_u32_e32 v68, 32, v66
	v_subrev_nc_u32_e32 v66, 28, v68
	v_lshlrev_b64 v[66:67], v66, v[1:2]
	v_sub_nc_u32_e32 v67, 29, v68
	v_and_b32_e32 v66, 7, v66
; %bb.350:                              ;   in Loop: Header=BB250_9 Depth=1
	s_or_b32 exec_lo, exec_lo, s34
	v_lshlrev_b32_e32 v68, 8, v1
	v_lshl_add_u32 v67, v67, 10, 0x2000
	v_lshlrev_b32_e32 v66, 7, v66
	v_and_b32_e32 v68, 0x8000, v68
	v_and_b32_e32 v67, 0xfc00, v67
	v_or3_b32 v66, v68, v67, v66
.LBB250_351:                            ;   in Loop: Header=BB250_9 Depth=1
	s_or_b32 exec_lo, exec_lo, s33
.LBB250_352:                            ;   in Loop: Header=BB250_9 Depth=1
	s_or_b32 exec_lo, exec_lo, s31
.LBB250_353:                            ;   in Loop: Header=BB250_9 Depth=1
	s_or_b32 exec_lo, exec_lo, s3
	v_lshrrev_b16 v1, 8, v1
	s_mov_b32 s3, exec_lo
	v_cmpx_ne_u16_e32 0, v1
	s_cbranch_execz .LBB250_361
; %bb.354:                              ;   in Loop: Header=BB250_9 Depth=1
	v_bfrev_b32_e32 v65, 1
	s_mov_b32 s31, exec_lo
	v_cmpx_ne_u16_e32 0x80, v1
	s_cbranch_execz .LBB250_360
; %bb.355:                              ;   in Loop: Header=BB250_9 Depth=1
	v_and_b32_sdwa v68, v1, v18 dst_sel:DWORD dst_unused:UNUSED_PAD src0_sel:WORD_0 src1_sel:DWORD
	v_mov_b32_e32 v65, 0x7c010000
	s_mov_b32 s33, exec_lo
	v_cmpx_ne_u32_e32 0x7f, v68
	s_cbranch_execz .LBB250_359
; %bb.356:                              ;   in Loop: Header=BB250_9 Depth=1
	v_and_b32_sdwa v65, v1, v19 dst_sel:DWORD dst_unused:UNUSED_PAD src0_sel:WORD_0 src1_sel:DWORD
	v_lshrrev_b32_e32 v67, 3, v68
	s_mov_b32 s34, exec_lo
	v_cmpx_gt_u32_e32 8, v68
; %bb.357:                              ;   in Loop: Header=BB250_9 Depth=1
	v_ffbh_u32_e32 v65, v65
	v_min_u32_e32 v65, 32, v65
	v_subrev_nc_u32_e32 v67, 28, v65
	v_lshlrev_b64 v[68:69], v67, v[1:2]
	v_sub_nc_u32_e32 v67, 29, v65
	v_and_b32_e32 v65, 7, v68
; %bb.358:                              ;   in Loop: Header=BB250_9 Depth=1
	s_or_b32 exec_lo, exec_lo, s34
	v_lshlrev_b32_sdwa v1, v20, v1 dst_sel:DWORD dst_unused:UNUSED_PAD src0_sel:DWORD src1_sel:WORD_0
	v_lshl_add_u32 v67, v67, 10, 0x2000
	v_lshlrev_b32_e32 v65, 23, v65
	v_and_or_b32 v1, 0x8000, v1, v67
	v_lshl_or_b32 v65, v1, 16, v65
.LBB250_359:                            ;   in Loop: Header=BB250_9 Depth=1
	s_or_b32 exec_lo, exec_lo, s33
.LBB250_360:                            ;   in Loop: Header=BB250_9 Depth=1
	s_or_b32 exec_lo, exec_lo, s31
.LBB250_361:                            ;   in Loop: Header=BB250_9 Depth=1
	s_or_b32 exec_lo, exec_lo, s3
	global_load_ushort v68, v[7:8], off offset:1408
	v_mov_b32_e32 v67, 0
	s_waitcnt vmcnt(0)
	v_and_b32_e32 v1, 0xffff, v68
	v_cmp_ne_u16_sdwa s2, v68, v2 src0_sel:BYTE_0 src1_sel:DWORD
	v_mov_b32_e32 v68, 0
	s_and_saveexec_b32 s3, s2
	s_cbranch_execz .LBB250_369
; %bb.362:                              ;   in Loop: Header=BB250_9 Depth=1
	v_cmp_ne_u16_sdwa s2, v1, v17 src0_sel:BYTE_0 src1_sel:DWORD
	v_mov_b32_e32 v68, 0x8000
	s_and_saveexec_b32 s31, s2
	s_cbranch_execz .LBB250_368
; %bb.363:                              ;   in Loop: Header=BB250_9 Depth=1
	v_and_b32_e32 v70, 0x7f, v1
	v_mov_b32_e32 v68, 0x7c01
	s_mov_b32 s33, exec_lo
	v_cmpx_ne_u32_e32 0x7f, v70
	s_cbranch_execz .LBB250_367
; %bb.364:                              ;   in Loop: Header=BB250_9 Depth=1
	v_and_b32_e32 v68, 7, v1
	v_lshrrev_b32_e32 v69, 3, v70
	s_mov_b32 s34, exec_lo
	v_cmpx_gt_u32_e32 8, v70
; %bb.365:                              ;   in Loop: Header=BB250_9 Depth=1
	v_ffbh_u32_e32 v68, v68
	v_min_u32_e32 v70, 32, v68
	v_subrev_nc_u32_e32 v68, 28, v70
	v_lshlrev_b64 v[68:69], v68, v[1:2]
	v_sub_nc_u32_e32 v69, 29, v70
	v_and_b32_e32 v68, 7, v68
; %bb.366:                              ;   in Loop: Header=BB250_9 Depth=1
	s_or_b32 exec_lo, exec_lo, s34
	v_lshlrev_b32_e32 v70, 8, v1
	v_lshl_add_u32 v69, v69, 10, 0x2000
	v_lshlrev_b32_e32 v68, 7, v68
	v_and_b32_e32 v70, 0x8000, v70
	v_and_b32_e32 v69, 0xfc00, v69
	v_or3_b32 v68, v70, v69, v68
.LBB250_367:                            ;   in Loop: Header=BB250_9 Depth=1
	s_or_b32 exec_lo, exec_lo, s33
.LBB250_368:                            ;   in Loop: Header=BB250_9 Depth=1
	s_or_b32 exec_lo, exec_lo, s31
.LBB250_369:                            ;   in Loop: Header=BB250_9 Depth=1
	s_or_b32 exec_lo, exec_lo, s3
	v_lshrrev_b16 v1, 8, v1
	s_mov_b32 s3, exec_lo
	v_cmpx_ne_u16_e32 0, v1
	s_cbranch_execz .LBB250_377
; %bb.370:                              ;   in Loop: Header=BB250_9 Depth=1
	v_bfrev_b32_e32 v67, 1
	s_mov_b32 s31, exec_lo
	v_cmpx_ne_u16_e32 0x80, v1
	s_cbranch_execz .LBB250_376
; %bb.371:                              ;   in Loop: Header=BB250_9 Depth=1
	v_and_b32_sdwa v70, v1, v18 dst_sel:DWORD dst_unused:UNUSED_PAD src0_sel:WORD_0 src1_sel:DWORD
	v_mov_b32_e32 v67, 0x7c010000
	s_mov_b32 s33, exec_lo
	v_cmpx_ne_u32_e32 0x7f, v70
	s_cbranch_execz .LBB250_375
; %bb.372:                              ;   in Loop: Header=BB250_9 Depth=1
	v_and_b32_sdwa v67, v1, v19 dst_sel:DWORD dst_unused:UNUSED_PAD src0_sel:WORD_0 src1_sel:DWORD
	v_lshrrev_b32_e32 v69, 3, v70
	s_mov_b32 s34, exec_lo
	v_cmpx_gt_u32_e32 8, v70
; %bb.373:                              ;   in Loop: Header=BB250_9 Depth=1
	v_ffbh_u32_e32 v67, v67
	v_min_u32_e32 v67, 32, v67
	v_subrev_nc_u32_e32 v69, 28, v67
	v_lshlrev_b64 v[70:71], v69, v[1:2]
	v_sub_nc_u32_e32 v69, 29, v67
	v_and_b32_e32 v67, 7, v70
; %bb.374:                              ;   in Loop: Header=BB250_9 Depth=1
	s_or_b32 exec_lo, exec_lo, s34
	v_lshlrev_b32_sdwa v1, v20, v1 dst_sel:DWORD dst_unused:UNUSED_PAD src0_sel:DWORD src1_sel:WORD_0
	v_lshl_add_u32 v69, v69, 10, 0x2000
	v_lshlrev_b32_e32 v67, 23, v67
	v_and_or_b32 v1, 0x8000, v1, v69
	v_lshl_or_b32 v67, v1, 16, v67
.LBB250_375:                            ;   in Loop: Header=BB250_9 Depth=1
	s_or_b32 exec_lo, exec_lo, s33
.LBB250_376:                            ;   in Loop: Header=BB250_9 Depth=1
	s_or_b32 exec_lo, exec_lo, s31
.LBB250_377:                            ;   in Loop: Header=BB250_9 Depth=1
	s_or_b32 exec_lo, exec_lo, s3
	global_load_ushort v8, v[7:8], off offset:1416
	v_mov_b32_e32 v7, 0
	s_waitcnt vmcnt(0)
	v_and_b32_e32 v1, 0xffff, v8
	v_cmp_ne_u16_sdwa s2, v8, v2 src0_sel:BYTE_0 src1_sel:DWORD
	v_mov_b32_e32 v8, 0
	s_and_saveexec_b32 s3, s2
	s_cbranch_execz .LBB250_385
; %bb.378:                              ;   in Loop: Header=BB250_9 Depth=1
	v_cmp_ne_u16_sdwa s2, v1, v17 src0_sel:BYTE_0 src1_sel:DWORD
	v_mov_b32_e32 v8, 0x8000
	s_and_saveexec_b32 s31, s2
	s_cbranch_execz .LBB250_384
; %bb.379:                              ;   in Loop: Header=BB250_9 Depth=1
	v_and_b32_e32 v70, 0x7f, v1
	v_mov_b32_e32 v8, 0x7c01
	s_mov_b32 s33, exec_lo
	v_cmpx_ne_u32_e32 0x7f, v70
	s_cbranch_execz .LBB250_383
; %bb.380:                              ;   in Loop: Header=BB250_9 Depth=1
	v_and_b32_e32 v8, 7, v1
	v_lshrrev_b32_e32 v69, 3, v70
	s_mov_b32 s34, exec_lo
	v_cmpx_gt_u32_e32 8, v70
; %bb.381:                              ;   in Loop: Header=BB250_9 Depth=1
	v_ffbh_u32_e32 v8, v8
	v_min_u32_e32 v8, 32, v8
	v_subrev_nc_u32_e32 v69, 28, v8
	v_lshlrev_b64 v[70:71], v69, v[1:2]
	v_sub_nc_u32_e32 v69, 29, v8
	v_and_b32_e32 v8, 7, v70
; %bb.382:                              ;   in Loop: Header=BB250_9 Depth=1
	s_or_b32 exec_lo, exec_lo, s34
	v_lshlrev_b32_e32 v70, 8, v1
	v_lshl_add_u32 v69, v69, 10, 0x2000
	v_lshlrev_b32_e32 v8, 7, v8
	v_and_b32_e32 v70, 0x8000, v70
	v_and_b32_e32 v69, 0xfc00, v69
	v_or3_b32 v8, v70, v69, v8
.LBB250_383:                            ;   in Loop: Header=BB250_9 Depth=1
	s_or_b32 exec_lo, exec_lo, s33
.LBB250_384:                            ;   in Loop: Header=BB250_9 Depth=1
	s_or_b32 exec_lo, exec_lo, s31
.LBB250_385:                            ;   in Loop: Header=BB250_9 Depth=1
	s_or_b32 exec_lo, exec_lo, s3
	v_lshrrev_b16 v1, 8, v1
	s_mov_b32 s3, exec_lo
	v_cmpx_ne_u16_e32 0, v1
	s_cbranch_execz .LBB250_393
; %bb.386:                              ;   in Loop: Header=BB250_9 Depth=1
	v_bfrev_b32_e32 v7, 1
	s_mov_b32 s31, exec_lo
	v_cmpx_ne_u16_e32 0x80, v1
	s_cbranch_execz .LBB250_392
; %bb.387:                              ;   in Loop: Header=BB250_9 Depth=1
	v_and_b32_sdwa v70, v1, v18 dst_sel:DWORD dst_unused:UNUSED_PAD src0_sel:WORD_0 src1_sel:DWORD
	v_mov_b32_e32 v7, 0x7c010000
	s_mov_b32 s33, exec_lo
	v_cmpx_ne_u32_e32 0x7f, v70
	s_cbranch_execz .LBB250_391
; %bb.388:                              ;   in Loop: Header=BB250_9 Depth=1
	v_and_b32_sdwa v7, v1, v19 dst_sel:DWORD dst_unused:UNUSED_PAD src0_sel:WORD_0 src1_sel:DWORD
	v_lshrrev_b32_e32 v69, 3, v70
	s_mov_b32 s34, exec_lo
	v_cmpx_gt_u32_e32 8, v70
; %bb.389:                              ;   in Loop: Header=BB250_9 Depth=1
	v_ffbh_u32_e32 v7, v7
	v_min_u32_e32 v7, 32, v7
	v_subrev_nc_u32_e32 v69, 28, v7
	v_lshlrev_b64 v[70:71], v69, v[1:2]
	v_sub_nc_u32_e32 v69, 29, v7
	v_and_b32_e32 v7, 7, v70
; %bb.390:                              ;   in Loop: Header=BB250_9 Depth=1
	s_or_b32 exec_lo, exec_lo, s34
	v_lshlrev_b32_sdwa v1, v20, v1 dst_sel:DWORD dst_unused:UNUSED_PAD src0_sel:DWORD src1_sel:WORD_0
	v_lshl_add_u32 v69, v69, 10, 0x2000
	v_lshlrev_b32_e32 v7, 23, v7
	v_and_or_b32 v1, 0x8000, v1, v69
	v_lshl_or_b32 v7, v1, 16, v7
.LBB250_391:                            ;   in Loop: Header=BB250_9 Depth=1
	s_or_b32 exec_lo, exec_lo, s33
.LBB250_392:                            ;   in Loop: Header=BB250_9 Depth=1
	s_or_b32 exec_lo, exec_lo, s31
.LBB250_393:                            ;   in Loop: Header=BB250_9 Depth=1
	s_or_b32 exec_lo, exec_lo, s3
	ds_read_b32 v1, v14
	v_or_b32_e32 v23, v24, v23
	v_fma_mixlo_f16 v24, v22, v24, 0 op_sel:[0,1,0] op_sel_hi:[0,1,0]
	v_or_b32_e32 v26, v25, v26
	v_fma_mixlo_f16 v25, v22, v25, 0 op_sel:[0,1,0] op_sel_hi:[0,1,0]
	v_or_b32_e32 v28, v27, v28
	v_fma_mixlo_f16 v23, v22, v23, 0 op_sel_hi:[0,1,0]
	v_and_b32_e32 v72, 0xffff, v24
	v_fma_mixlo_f16 v26, v22, v26, 0 op_sel_hi:[0,1,0]
	v_and_b32_e32 v73, 0xffff, v25
	;; [unrolled: 2-line block ×3, first 2 shown]
	v_fma_mixlo_f16 v27, v22, v27, 0 op_sel:[0,1,0] op_sel_hi:[0,1,0]
	v_or_b32_e32 v30, v29, v30
	v_fma_mixlo_f16 v29, v22, v29, 0 op_sel:[0,1,0] op_sel_hi:[0,1,0]
	v_and_b32_e32 v74, 0xffff, v28
	v_or_b32_e32 v32, v31, v32
	v_and_b32_e32 v75, 0xffff, v27
	v_fma_mixlo_f16 v30, v22, v30, 0 op_sel_hi:[0,1,0]
	v_and_b32_e32 v77, 0xffff, v29
	s_waitcnt lgkmcnt(0)
	v_and_b32_e32 v69, 0xffff, v1
	v_lshrrev_b32_e32 v70, 16, v1
	;;#ASMSTART
	v_cvt_f32_f16 v1, v69;
	;;#ASMEND
	;;#ASMSTART
	v_cvt_f32_f16 v23, v70;
	;;#ASMEND
	;; [unrolled: 3-line block ×4, first 2 shown]
	ds_read_b32 v70, v14 offset:4
	v_and_b32_e32 v72, 0xffff, v26
	v_and_b32_e32 v76, 0xffff, v30
	v_fma_mixlo_f16 v32, v22, v32, 0 op_sel_hi:[0,1,0]
	v_fma_mixlo_f16 v31, v22, v31, 0 op_sel:[0,1,0] op_sel_hi:[0,1,0]
	v_or_b32_e32 v34, v33, v34
	v_fma_mixlo_f16 v33, v22, v33, 0 op_sel:[0,1,0] op_sel_hi:[0,1,0]
	v_or_b32_e32 v36, v35, v36
	v_and_b32_e32 v78, 0xffff, v32
	v_and_b32_e32 v79, 0xffff, v31
	v_fma_mixlo_f16 v34, v22, v34, 0 op_sel_hi:[0,1,0]
	v_and_b32_e32 v81, 0xffff, v33
	v_fma_mixlo_f16 v36, v22, v36, 0 op_sel_hi:[0,1,0]
	v_fma_mixlo_f16 v35, v22, v35, 0 op_sel:[0,1,0] op_sel_hi:[0,1,0]
	v_or_b32_e32 v38, v37, v38
	v_and_b32_e32 v80, 0xffff, v34
	v_fma_mixlo_f16 v37, v22, v37, 0 op_sel:[0,1,0] op_sel_hi:[0,1,0]
	v_and_b32_e32 v82, 0xffff, v36
	v_and_b32_e32 v83, 0xffff, v35
	v_fma_mixlo_f16 v38, v22, v38, 0 op_sel_hi:[0,1,0]
	s_waitcnt lgkmcnt(0)
	v_and_b32_e32 v71, 0xffff, v70
	v_lshrrev_b32_e32 v70, 16, v70
	;;#ASMSTART
	v_cvt_f32_f16 v25, v71;
	;;#ASMEND
	;;#ASMSTART
	v_cvt_f32_f16 v26, v70;
	;;#ASMEND
	;; [unrolled: 3-line block ×4, first 2 shown]
	ds_read_b32 v72, v14 offset:8
	v_and_b32_e32 v84, 0xffff, v38
	v_and_b32_e32 v85, 0xffff, v37
	v_or_b32_e32 v40, v39, v40
	v_fma_mixlo_f16 v39, v22, v39, 0 op_sel:[0,1,0] op_sel_hi:[0,1,0]
	v_or_b32_e32 v42, v41, v42
	v_fma_mixlo_f16 v41, v22, v41, 0 op_sel:[0,1,0] op_sel_hi:[0,1,0]
	v_or_b32_e32 v44, v43, v44
	v_fma_mixlo_f16 v40, v22, v40, 0 op_sel_hi:[0,1,0]
	v_and_b32_e32 v87, 0xffff, v39
	v_fma_mixlo_f16 v42, v22, v42, 0 op_sel_hi:[0,1,0]
	v_and_b32_e32 v89, 0xffff, v41
	;; [unrolled: 2-line block ×3, first 2 shown]
	v_fma_mixlo_f16 v43, v22, v43, 0 op_sel:[0,1,0] op_sel_hi:[0,1,0]
	v_and_b32_e32 v88, 0xffff, v42
	v_or_b32_e32 v46, v45, v46
	v_and_b32_e32 v90, 0xffff, v44
	v_fma_mixlo_f16 v45, v22, v45, 0 op_sel:[0,1,0] op_sel_hi:[0,1,0]
	v_and_b32_e32 v91, 0xffff, v43
	s_waitcnt lgkmcnt(0)
	v_and_b32_e32 v73, 0xffff, v72
	v_lshrrev_b32_e32 v72, 16, v72
	;;#ASMSTART
	v_cvt_f32_f16 v27, v73;
	;;#ASMEND
	;;#ASMSTART
	v_cvt_f32_f16 v28, v72;
	;;#ASMEND
	;;#ASMSTART
	v_cvt_f32_f16 v72, v74;
	;;#ASMEND
	;;#ASMSTART
	v_cvt_f32_f16 v73, v75;
	;;#ASMEND
	ds_read_b32 v74, v14 offset:12
	v_fma_mixlo_f16 v46, v22, v46, 0 op_sel_hi:[0,1,0]
	v_and_b32_e32 v93, 0xffff, v45
	v_or_b32_e32 v48, v47, v48
	v_fma_mixlo_f16 v47, v22, v47, 0 op_sel:[0,1,0] op_sel_hi:[0,1,0]
	v_or_b32_e32 v50, v49, v50
	v_and_b32_e32 v92, 0xffff, v46
	v_fma_mixlo_f16 v49, v22, v49, 0 op_sel:[0,1,0] op_sel_hi:[0,1,0]
	v_fma_mixlo_f16 v48, v22, v48, 0 op_sel_hi:[0,1,0]
	v_and_b32_e32 v95, 0xffff, v47
	v_fma_mixlo_f16 v50, v22, v50, 0 op_sel_hi:[0,1,0]
	v_or_b32_e32 v52, v51, v52
	v_and_b32_e32 v97, 0xffff, v49
	v_and_b32_e32 v94, 0xffff, v48
	v_fma_mixlo_f16 v51, v22, v51, 0 op_sel:[0,1,0] op_sel_hi:[0,1,0]
	v_and_b32_e32 v96, 0xffff, v50
	v_fma_mixlo_f16 v52, v22, v52, 0 op_sel_hi:[0,1,0]
	v_or_b32_e32 v54, v53, v54
	v_fma_mixlo_f16 v53, v22, v53, 0 op_sel:[0,1,0] op_sel_hi:[0,1,0]
	v_and_b32_e32 v99, 0xffff, v51
	s_waitcnt lgkmcnt(0)
	v_and_b32_e32 v75, 0xffff, v74
	v_lshrrev_b32_e32 v74, 16, v74
	;;#ASMSTART
	v_cvt_f32_f16 v29, v75;
	;;#ASMEND
	;;#ASMSTART
	v_cvt_f32_f16 v30, v74;
	;;#ASMEND
	;; [unrolled: 3-line block ×4, first 2 shown]
	ds_read_b32 v76, v14 offset:16
	v_and_b32_e32 v98, 0xffff, v52
	v_fma_mixlo_f16 v54, v22, v54, 0 op_sel_hi:[0,1,0]
	v_and_b32_e32 v101, 0xffff, v53
	v_or_b32_e32 v56, v55, v56
	v_fma_mixlo_f16 v55, v22, v55, 0 op_sel:[0,1,0] op_sel_hi:[0,1,0]
	v_or_b32_e32 v58, v57, v58
	v_and_b32_e32 v100, 0xffff, v54
	v_fma_mixlo_f16 v57, v22, v57, 0 op_sel:[0,1,0] op_sel_hi:[0,1,0]
	v_fma_mixlo_f16 v56, v22, v56, 0 op_sel_hi:[0,1,0]
	v_and_b32_e32 v103, 0xffff, v55
	v_fma_mixlo_f16 v58, v22, v58, 0 op_sel_hi:[0,1,0]
	v_or_b32_e32 v60, v59, v60
	v_and_b32_e32 v105, 0xffff, v57
	v_and_b32_e32 v102, 0xffff, v56
	v_mul_f32_e32 v25, v25, v70
	v_and_b32_e32 v104, 0xffff, v58
	v_mul_f32_e32 v26, v26, v71
	v_fma_mixlo_f16 v60, v22, v60, 0 op_sel_hi:[0,1,0]
	v_fma_mixlo_f16 v59, v22, v59, 0 op_sel:[0,1,0] op_sel_hi:[0,1,0]
	s_waitcnt lgkmcnt(0)
	v_and_b32_e32 v77, 0xffff, v76
	v_lshrrev_b32_e32 v76, 16, v76
	;;#ASMSTART
	v_cvt_f32_f16 v31, v77;
	;;#ASMEND
	;;#ASMSTART
	v_cvt_f32_f16 v32, v76;
	;;#ASMEND
	;; [unrolled: 3-line block ×4, first 2 shown]
	ds_read_b32 v78, v14 offset:20
	v_fmac_f32_e32 v25, v1, v24
	v_fmac_f32_e32 v26, v23, v69
	v_and_b32_e32 v106, 0xffff, v60
	v_and_b32_e32 v107, 0xffff, v59
	v_or_b32_e32 v62, v61, v62
	v_fmac_f32_e32 v25, v27, v72
	v_fmac_f32_e32 v26, v28, v73
	v_fma_mixlo_f16 v61, v22, v61, 0 op_sel:[0,1,0] op_sel_hi:[0,1,0]
	v_or_b32_e32 v8, v7, v8
	v_fma_mixlo_f16 v62, v22, v62, 0 op_sel_hi:[0,1,0]
	v_fmac_f32_e32 v25, v29, v74
	v_fmac_f32_e32 v26, v30, v75
	v_and_b32_e32 v61, 0xffff, v61
	v_or_b32_e32 v29, v63, v64
	v_and_b32_e32 v24, 0xffff, v62
	v_fmac_f32_e32 v25, v31, v76
	v_fmac_f32_e32 v26, v32, v77
	v_fma_mixlo_f16 v30, v22, v63, 0 op_sel:[0,1,0] op_sel_hi:[0,1,0]
	v_fma_mixlo_f16 v29, v22, v29, 0 op_sel_hi:[0,1,0]
	s_waitcnt lgkmcnt(0)
	v_and_b32_e32 v79, 0xffff, v78
	v_lshrrev_b32_e32 v78, 16, v78
	;;#ASMSTART
	v_cvt_f32_f16 v33, v79;
	;;#ASMEND
	;;#ASMSTART
	v_cvt_f32_f16 v34, v78;
	;;#ASMEND
	;; [unrolled: 3-line block ×4, first 2 shown]
	ds_read_b32 v80, v14 offset:24
	v_fmac_f32_e32 v25, v33, v78
	v_fmac_f32_e32 v26, v34, v79
	v_and_b32_e32 v31, 0xffff, v30
	v_and_b32_e32 v33, 0xffff, v29
	v_fma_mixlo_f16 v34, v22, v65, 0 op_sel:[0,1,0] op_sel_hi:[0,1,0]
	v_fma_mixlo_f16 v8, v22, v8, 0 op_sel_hi:[0,1,0]
	s_waitcnt lgkmcnt(0)
	v_and_b32_e32 v81, 0xffff, v80
	v_lshrrev_b32_e32 v80, 16, v80
	;;#ASMSTART
	v_cvt_f32_f16 v35, v81;
	;;#ASMEND
	;;#ASMSTART
	v_cvt_f32_f16 v36, v80;
	;;#ASMEND
	;; [unrolled: 3-line block ×4, first 2 shown]
	ds_read_b32 v82, v14 offset:28
	v_fmac_f32_e32 v25, v35, v80
	v_fmac_f32_e32 v26, v36, v81
	v_and_b32_e32 v35, 0xffff, v34
	s_waitcnt lgkmcnt(0)
	v_and_b32_e32 v83, 0xffff, v82
	v_lshrrev_b32_e32 v82, 16, v82
	;;#ASMSTART
	v_cvt_f32_f16 v37, v83;
	;;#ASMEND
	;;#ASMSTART
	v_cvt_f32_f16 v38, v82;
	;;#ASMEND
	;;#ASMSTART
	v_cvt_f32_f16 v82, v84;
	;;#ASMEND
	;;#ASMSTART
	v_cvt_f32_f16 v83, v85;
	;;#ASMEND
	ds_read_b32 v84, v14 offset:32
	v_fmac_f32_e32 v25, v37, v82
	v_fmac_f32_e32 v26, v38, v83
	v_fma_mixlo_f16 v38, v22, v67, 0 op_sel:[0,1,0] op_sel_hi:[0,1,0]
	s_waitcnt lgkmcnt(0)
	v_and_b32_e32 v85, 0xffff, v84
	v_lshrrev_b32_e32 v84, 16, v84
	;;#ASMSTART
	v_cvt_f32_f16 v39, v85;
	;;#ASMEND
	;;#ASMSTART
	v_cvt_f32_f16 v40, v84;
	;;#ASMEND
	;; [unrolled: 3-line block ×4, first 2 shown]
	ds_read_b32 v86, v14 offset:36
	v_fmac_f32_e32 v25, v39, v84
	v_fmac_f32_e32 v26, v40, v85
	v_and_b32_e32 v39, 0xffff, v38
	s_waitcnt lgkmcnt(0)
	v_and_b32_e32 v87, 0xffff, v86
	v_lshrrev_b32_e32 v86, 16, v86
	;;#ASMSTART
	v_cvt_f32_f16 v41, v87;
	;;#ASMEND
	;;#ASMSTART
	v_cvt_f32_f16 v42, v86;
	;;#ASMEND
	;;#ASMSTART
	v_cvt_f32_f16 v86, v88;
	;;#ASMEND
	;;#ASMSTART
	v_cvt_f32_f16 v87, v89;
	;;#ASMEND
	ds_read_b32 v88, v14 offset:40
	v_fmac_f32_e32 v25, v41, v86
	v_fmac_f32_e32 v26, v42, v87
	s_waitcnt lgkmcnt(0)
	v_and_b32_e32 v89, 0xffff, v88
	v_lshrrev_b32_e32 v88, 16, v88
	;;#ASMSTART
	v_cvt_f32_f16 v43, v89;
	;;#ASMEND
	;;#ASMSTART
	v_cvt_f32_f16 v44, v88;
	;;#ASMEND
	;;#ASMSTART
	v_cvt_f32_f16 v88, v90;
	;;#ASMEND
	;;#ASMSTART
	v_cvt_f32_f16 v89, v91;
	;;#ASMEND
	ds_read_b32 v90, v14 offset:44
	v_fmac_f32_e32 v25, v43, v88
	v_fmac_f32_e32 v26, v44, v89
	;; [unrolled: 18-line block ×11, first 2 shown]
	v_fma_mixlo_f16 v1, v22, v7, 0 op_sel:[0,1,0] op_sel_hi:[0,1,0]
	v_xor_b32_e32 v7, 2, v10
	v_and_b32_e32 v24, 0xffff, v8
	v_and_b32_e32 v23, 0xffff, v1
	v_cmp_gt_i32_e64 s2, 32, v7
	v_cndmask_b32_e64 v1, v10, v7, s2
	v_lshlrev_b32_e32 v1, 2, v1
	s_waitcnt lgkmcnt(0)
	v_and_b32_e32 v30, 0xffff, v28
	v_lshrrev_b32_e32 v32, 16, v28
	;;#ASMSTART
	v_cvt_f32_f16 v28, v30;
	;;#ASMEND
	;;#ASMSTART
	v_cvt_f32_f16 v29, v32;
	;;#ASMEND
	;; [unrolled: 3-line block ×4, first 2 shown]
	ds_read_b32 v32, v14 offset:84
	v_or_b32_e32 v33, v65, v66
	v_fmac_f32_e32 v25, v28, v30
	v_fmac_f32_e32 v26, v29, v31
	v_fma_mixlo_f16 v33, v22, v33, 0 op_sel_hi:[0,1,0]
	v_and_b32_e32 v37, 0xffff, v33
	s_waitcnt lgkmcnt(0)
	v_and_b32_e32 v34, 0xffff, v32
	v_lshrrev_b32_e32 v36, 16, v32
	;;#ASMSTART
	v_cvt_f32_f16 v32, v34;
	;;#ASMEND
	;;#ASMSTART
	v_cvt_f32_f16 v33, v36;
	;;#ASMEND
	;; [unrolled: 3-line block ×4, first 2 shown]
	ds_read_b32 v36, v14 offset:88
	v_or_b32_e32 v37, v67, v68
	v_fmac_f32_e32 v25, v32, v34
	v_fmac_f32_e32 v26, v33, v35
	v_fma_mixlo_f16 v37, v22, v37, 0 op_sel_hi:[0,1,0]
	v_and_b32_e32 v41, 0xffff, v37
	s_waitcnt lgkmcnt(0)
	v_and_b32_e32 v38, 0xffff, v36
	v_lshrrev_b32_e32 v40, 16, v36
	;;#ASMSTART
	v_cvt_f32_f16 v36, v38;
	;;#ASMEND
	;;#ASMSTART
	v_cvt_f32_f16 v37, v40;
	;;#ASMEND
	;; [unrolled: 3-line block ×4, first 2 shown]
	ds_read_b32 v40, v14 offset:92
	v_fmac_f32_e32 v25, v36, v38
	v_fmac_f32_e32 v26, v37, v39
	s_waitcnt lgkmcnt(0)
	v_and_b32_e32 v7, 0xffff, v40
	v_lshrrev_b32_e32 v22, 16, v40
	;;#ASMSTART
	v_cvt_f32_f16 v7, v7;
	;;#ASMEND
	;;#ASMSTART
	v_cvt_f32_f16 v8, v22;
	;;#ASMEND
	;; [unrolled: 3-line block ×4, first 2 shown]
	v_fmac_f32_e32 v25, v7, v22
	v_fmac_f32_e32 v26, v8, v23
	v_xor_b32_e32 v8, 1, v10
	v_add_f32_e32 v7, v25, v26
	v_cmp_gt_i32_e64 s2, 32, v8
	ds_bpermute_b32 v1, v1, v7
	v_cndmask_b32_e64 v8, v10, v8, s2
	s_waitcnt lgkmcnt(0)
	v_add_f32_e32 v1, v7, v1
	v_lshlrev_b32_e32 v7, 2, v8
	ds_bpermute_b32 v7, v7, v1
	s_and_saveexec_b32 s3, vcc_lo
	s_cbranch_execz .LBB250_8
; %bb.394:                              ;   in Loop: Header=BB250_9 Depth=1
	v_add_nc_u32_e32 v8, s4, v15
	s_waitcnt lgkmcnt(0)
	v_add_f32_e32 v1, v1, v7
	v_cmp_gt_i32_e64 s2, s11, v15
	v_cvt_f32_i32_e32 v8, v8
	v_mul_f32_e32 v8, s28, v8
	v_cndmask_b32_e64 v7, 0, v8, s1
	v_max_f32_e32 v8, v13, v13
	v_fmac_f32_e32 v7, s29, v1
	v_max_f32_e32 v1, v8, v7
	v_cndmask_b32_e64 v7, 0, v7, s2
	v_cndmask_b32_e64 v13, v13, v1, s2
	ds_write_b32 v16, v7
	s_branch .LBB250_8
.LBB250_395:
	s_or_b32 exec_lo, exec_lo, s5
.LBB250_396:
	s_or_b32 exec_lo, exec_lo, s19
	v_xor_b32_e32 v1, 16, v10
	v_xor_b32_e32 v4, 8, v10
	v_max_f32_e32 v5, v13, v13
	v_xor_b32_e32 v6, 4, v10
	v_cmp_lt_i32_e32 vcc_lo, v1, v12
	v_cndmask_b32_e32 v1, v10, v1, vcc_lo
	v_cmp_lt_i32_e32 vcc_lo, v4, v12
	v_lshlrev_b32_e32 v3, 2, v1
	v_cndmask_b32_e32 v4, v10, v4, vcc_lo
	v_cmp_lt_i32_e32 vcc_lo, v6, v12
	ds_bpermute_b32 v1, v3, v13
	v_lshlrev_b32_e32 v4, 2, v4
	v_cndmask_b32_e32 v6, v10, v6, vcc_lo
	v_and_b32_e32 v13, 31, v0
	s_waitcnt lgkmcnt(0)
	v_lshlrev_b32_e32 v7, 2, v6
	v_cmp_eq_u32_e32 vcc_lo, 0, v13
	v_max_f32_e32 v1, v1, v1
	v_max_f32_e32 v1, v5, v1
	ds_bpermute_b32 v5, v4, v1
	s_waitcnt lgkmcnt(0)
	v_max_f32_e32 v5, v5, v5
	v_max_f32_e32 v1, v1, v5
	v_lshlrev_b32_e32 v5, 2, v11
	ds_bpermute_b32 v6, v7, v1
	s_and_saveexec_b32 s1, vcc_lo
	s_cbranch_execz .LBB250_398
; %bb.397:
	s_waitcnt lgkmcnt(0)
	v_max_f32_e32 v6, v6, v6
	v_max_f32_e32 v1, v1, v1
	;; [unrolled: 1-line block ×3, first 2 shown]
	ds_write_b32 v5, v1 offset:384
.LBB250_398:
	s_or_b32 exec_lo, exec_lo, s1
	v_cmp_gt_u32_e64 s1, 4, v13
	v_mov_b32_e32 v1, 0xff7fffff
	s_waitcnt lgkmcnt(0)
	v_lshlrev_b32_e32 v6, 2, v13
	s_barrier
	buffer_gl0_inv
	s_and_saveexec_b32 s2, s1
; %bb.399:
	ds_read_b32 v1, v6 offset:384
; %bb.400:
	s_or_b32 exec_lo, exec_lo, s2
	v_xor_b32_e32 v8, 2, v10
	v_xor_b32_e32 v15, 1, v10
	v_lshlrev_b32_e32 v2, 2, v2
	v_cmp_lt_i32_e64 s2, v8, v12
	v_cndmask_b32_e64 v8, v10, v8, s2
	v_cmp_lt_i32_e64 s2, v15, v12
	v_lshlrev_b32_e32 v8, 2, v8
	v_cndmask_b32_e64 v12, v10, v15, s2
	s_lshl_b32 s2, s16, 3
	s_min_i32 s4, s2, s11
	s_waitcnt lgkmcnt(0)
	ds_bpermute_b32 v14, v8, v1
	v_max_f32_e32 v1, v1, v1
	v_lshlrev_b32_e32 v12, 2, v12
	v_cmp_gt_i32_e64 s2, s4, v0
	s_waitcnt lgkmcnt(0)
	v_max_f32_e32 v14, v14, v14
	v_max_f32_e32 v1, v1, v14
	ds_bpermute_b32 v14, v12, v1
	s_waitcnt lgkmcnt(0)
	v_max_f32_e32 v14, v14, v14
	v_max_f32_e32 v1, v1, v14
	ds_bpermute_b32 v14, v2, v1
	v_mov_b32_e32 v2, 0
	v_lshl_add_u32 v1, v0, 2, 0x1a0
	s_and_saveexec_b32 s5, s2
	s_cbranch_execz .LBB250_404
; %bb.401:
	v_lshl_add_u32 v15, v0, 2, 0x1a0
	v_mov_b32_e32 v2, 0
	v_mov_b32_e32 v16, v0
	s_mov_b32 s12, 0
	.p2align	6
.LBB250_402:                            ; =>This Inner Loop Header: Depth=1
	ds_read_b32 v17, v15
	v_add_nc_u32_e32 v16, 0x80, v16
	v_cmp_le_i32_e64 s3, s4, v16
	s_or_b32 s12, s3, s12
	s_waitcnt lgkmcnt(0)
	v_sub_f32_e32 v17, v17, v14
	v_mul_f32_e32 v17, 0x3fb8aa3b, v17
	v_exp_f32_e32 v17, v17
	ds_write_b32 v15, v17
	v_add_f32_e32 v2, v2, v17
	v_add_nc_u32_e32 v15, 0x200, v15
	s_andn2_b32 exec_lo, exec_lo, s12
	s_cbranch_execnz .LBB250_402
; %bb.403:
	s_or_b32 exec_lo, exec_lo, s12
.LBB250_404:
	s_or_b32 exec_lo, exec_lo, s5
	ds_bpermute_b32 v3, v3, v2
	s_waitcnt lgkmcnt(0)
	v_add_f32_e32 v2, v2, v3
	ds_bpermute_b32 v3, v4, v2
	s_waitcnt lgkmcnt(0)
	v_add_f32_e32 v2, v2, v3
	ds_bpermute_b32 v3, v7, v2
	s_waitcnt lgkmcnt(0)
	v_add_f32_e32 v2, v2, v3
	ds_bpermute_b32 v3, v8, v2
	s_waitcnt lgkmcnt(0)
	v_add_f32_e32 v2, v2, v3
	ds_bpermute_b32 v3, v12, v2
	s_waitcnt lgkmcnt(0)
	v_add_f32_e32 v2, v2, v3
	s_and_saveexec_b32 s3, vcc_lo
; %bb.405:
	ds_write_b32 v5, v2 offset:400
; %bb.406:
	s_or_b32 exec_lo, exec_lo, s3
	s_waitcnt lgkmcnt(0)
	s_barrier
	buffer_gl0_inv
	s_and_saveexec_b32 s3, s1
; %bb.407:
	ds_read_b32 v2, v6 offset:400
; %bb.408:
	s_or_b32 exec_lo, exec_lo, s3
	s_waitcnt lgkmcnt(0)
	ds_bpermute_b32 v3, v8, v2
	v_lshlrev_b32_e32 v4, 2, v10
	s_waitcnt lgkmcnt(0)
	v_add_f32_e32 v2, v2, v3
	ds_bpermute_b32 v3, v12, v2
	s_waitcnt lgkmcnt(0)
	v_add_f32_e32 v2, v2, v3
	v_and_b32_e32 v3, 0xffffff80, v4
	ds_bpermute_b32 v2, v3, v2
	s_and_saveexec_b32 s1, s2
	s_cbranch_execz .LBB250_411
; %bb.409:
	s_waitcnt lgkmcnt(0)
	v_add_f32_e32 v2, 0x358637bd, v2
	s_mov_b32 s2, 0
	v_div_scale_f32 v3, null, v2, v2, 1.0
	v_div_scale_f32 v6, vcc_lo, 1.0, v2, 1.0
	v_rcp_f32_e32 v4, v3
	v_fma_f32 v5, -v3, v4, 1.0
	v_fmac_f32_e32 v4, v5, v4
	v_mul_f32_e32 v5, v6, v4
	v_fma_f32 v7, -v3, v5, v6
	v_fmac_f32_e32 v5, v7, v4
	v_fma_f32 v3, -v3, v5, v6
	v_div_fmas_f32 v3, v3, v4, v5
	v_div_fixup_f32 v2, v3, v2, 1.0
	v_mov_b32_e32 v3, v0
.LBB250_410:                            ; =>This Inner Loop Header: Depth=1
	ds_read_b32 v4, v1
	v_add_nc_u32_e32 v3, 0x80, v3
	v_cmp_le_i32_e32 vcc_lo, s4, v3
	s_or_b32 s2, vcc_lo, s2
	s_waitcnt lgkmcnt(0)
	v_mul_f32_e32 v4, v2, v4
	ds_write_b32 v1, v4
	v_add_nc_u32_e32 v1, 0x200, v1
	s_andn2_b32 exec_lo, exec_lo, s2
	s_cbranch_execnz .LBB250_410
.LBB250_411:
	s_or_b32 exec_lo, exec_lo, s1
	v_mov_b32_e32 v18, 0
	v_mov_b32_e32 v17, 0
	;; [unrolled: 1-line block ×6, first 2 shown]
	s_waitcnt lgkmcnt(0)
	s_barrier
	buffer_gl0_inv
	s_and_saveexec_b32 s1, s0
	s_cbranch_execz .LBB250_811
; %bb.412:
	v_lshlrev_b32_e32 v1, 3, v13
	s_ashr_i32 s0, s18, 31
	s_add_u32 s2, s26, s18
	s_addc_u32 s0, s27, s0
	s_add_i32 s5, s16, -1
	v_add_co_u32 v3, s2, s2, v1
	v_and_b32_e32 v1, 0x7c, v9
	v_add_co_ci_u32_e64 v4, null, s0, 0, s2
	s_lshl_b64 s[2:3], s[24:25], 2
	v_mov_b32_e32 v2, 0
	s_add_u32 s0, s22, s2
	s_addc_u32 s2, s23, s3
	v_add_co_u32 v5, s0, s0, v1
	v_lshl_or_b32 v19, v11, 3, 7
	v_lshl_add_u32 v20, v11, 5, 0x1a0
	v_add_co_ci_u32_e64 v6, null, s2, 0, s0
	v_mov_b32_e32 v21, 0x80
	v_mov_b32_e32 v22, 0x7f
	;; [unrolled: 1-line block ×11, first 2 shown]
	s_mov_b32 s2, -1
	s_mov_b32 s4, s17
	s_mov_b32 s3, 0xffffff
	;; [unrolled: 1-line block ×3, first 2 shown]
	s_branch .LBB250_414
.LBB250_413:                            ;   in Loop: Header=BB250_414 Depth=1
	s_or_b32 exec_lo, exec_lo, s0
	v_add_f32_e32 v9, v9, v10
	v_add_f32_e32 v10, v43, v44
	;;#ASMSTART
	v_pk_mul_f16 v26, v38, v45;

	;;#ASMEND
	;;#ASMSTART
	v_pk_mul_f16 v8, v36, v8;

	;;#ASMEND
	;;#ASMSTART
	v_pk_mul_f16 v7, v34, v7;

	;;#ASMEND
	;;#ASMSTART
	v_pk_mul_f16 v1, v33, v1;

	;;#ASMEND
	v_add_f32_e32 v14, v14, v9
	;;#ASMSTART
	v_pk_add_f16 v8, v26, v8;

	;;#ASMEND
	;;#ASMSTART
	v_pk_add_f16 v7, v8, v7;

	;;#ASMEND
	;; [unrolled: 4-line block ×3, first 2 shown]
	v_and_b32_e32 v9, 0xffff, v1
	v_add_nc_u32_e32 v25, 4, v25
	v_add_f32_e32 v15, v15, v10
	v_lshrrev_b32_e32 v10, 16, v1
	;;#ASMSTART
	v_cvt_f32_f16 v9, v9;
	;;#ASMEND
	v_add_f32_e32 v1, v41, v42
	v_add_f32_e32 v7, v39, v40
	;; [unrolled: 1-line block ×3, first 2 shown]
	;;#ASMSTART
	v_cvt_f32_f16 v10, v10;
	;;#ASMEND
	v_add_f32_e32 v9, v9, v10
	v_cmp_le_i32_e32 vcc_lo, s16, v25
	v_add_co_u32 v5, s0, v5, 16
	v_add_f32_e32 v16, v16, v1
	v_add_f32_e32 v17, v17, v7
	;; [unrolled: 1-line block ×4, first 2 shown]
	v_add_nc_u32_e32 v19, 32, v19
	v_add_nc_u32_e32 v20, 0x80, v20
	v_add_co_ci_u32_e64 v6, null, 0, v6, s0
	s_or_b32 s12, vcc_lo, s12
	s_andn2_b32 exec_lo, exec_lo, s12
	s_cbranch_execz .LBB250_810
.LBB250_414:                            ; =>This Inner Loop Header: Depth=1
	global_load_dword v1, v[5:6], off
	ds_read2_b64 v[26:29], v20 offset1:1
	ds_read2_b64 v[38:41], v20 offset0:2 offset1:3
	s_waitcnt lgkmcnt(1)
	;;#ASMSTART
	v_cvt_f16_f32 v33, v26;

	;;#ASMEND
	;;#ASMSTART
	v_cvt_f16_f32 v34, v27;

	;;#ASMEND
	;; [unrolled: 4-line block ×4, first 2 shown]
	s_waitcnt lgkmcnt(0)
	;;#ASMSTART
	v_cvt_f16_f32 v38, v38;

	;;#ASMEND
	;;#ASMSTART
	v_cvt_f16_f32 v37, v39;

	;;#ASMEND
	;;#ASMSTART
	v_cvt_f16_f32 v40, v40;

	;;#ASMEND
	;;#ASMSTART
	v_cvt_f16_f32 v39, v41;

	;;#ASMEND
	v_mov_b32_e32 v28, 0
	s_waitcnt vmcnt(0)
	v_mad_i64_i32 v[7:8], null, v1, s4, v[3:4]
	global_load_dwordx2 v[9:10], v[7:8], off
	global_load_dword v27, v2, s[14:15]
	s_waitcnt vmcnt(1)
	v_cmp_ne_u16_sdwa s13, v9, v2 src0_sel:BYTE_0 src1_sel:DWORD
	s_and_saveexec_b32 s0, s13
	s_cbranch_execz .LBB250_422
; %bb.415:                              ;   in Loop: Header=BB250_414 Depth=1
	v_cmp_ne_u16_sdwa s17, v9, v21 src0_sel:BYTE_0 src1_sel:DWORD
	v_mov_b32_e32 v28, 0x8000
	s_and_saveexec_b32 s13, s17
	s_cbranch_execz .LBB250_421
; %bb.416:                              ;   in Loop: Header=BB250_414 Depth=1
	v_and_b32_e32 v29, 0x7f, v9
	v_mov_b32_e32 v28, 0x7c01
	s_mov_b32 s17, exec_lo
	v_cmpx_ne_u32_e32 0x7f, v29
	s_cbranch_execz .LBB250_420
; %bb.417:                              ;   in Loop: Header=BB250_414 Depth=1
	v_and_b32_e32 v1, 7, v9
	v_lshrrev_b32_e32 v26, 3, v29
	s_mov_b32 s18, exec_lo
	v_cmpx_gt_u32_e32 8, v29
; %bb.418:                              ;   in Loop: Header=BB250_414 Depth=1
	v_ffbh_u32_e32 v1, v1
	v_min_u32_e32 v1, 32, v1
	v_subrev_nc_u32_e32 v26, 28, v1
	v_lshlrev_b64 v[28:29], v26, v[9:10]
	v_sub_nc_u32_e32 v26, 29, v1
	v_and_b32_e32 v1, 7, v28
; %bb.419:                              ;   in Loop: Header=BB250_414 Depth=1
	s_or_b32 exec_lo, exec_lo, s18
	v_lshlrev_b32_e32 v28, 8, v9
	v_lshl_add_u32 v26, v26, 10, 0x2000
	v_lshlrev_b32_e32 v1, 7, v1
	v_and_b32_e32 v28, 0x8000, v28
	v_and_b32_e32 v26, 0xfc00, v26
	v_or3_b32 v28, v28, v26, v1
.LBB250_420:                            ;   in Loop: Header=BB250_414 Depth=1
	s_or_b32 exec_lo, exec_lo, s17
.LBB250_421:                            ;   in Loop: Header=BB250_414 Depth=1
	s_or_b32 exec_lo, exec_lo, s13
.LBB250_422:                            ;   in Loop: Header=BB250_414 Depth=1
	s_or_b32 exec_lo, exec_lo, s0
	v_lshrrev_b16 v1, 8, v9
	v_mov_b32_e32 v26, 0
	v_mov_b32_e32 v29, 0
	s_mov_b32 s0, exec_lo
	v_cmpx_ne_u16_e32 0, v1
	s_cbranch_execz .LBB250_430
; %bb.423:                              ;   in Loop: Header=BB250_414 Depth=1
	v_bfrev_b32_e32 v29, 1
	s_mov_b32 s13, exec_lo
	v_cmpx_ne_u16_e32 0x80, v1
	s_cbranch_execz .LBB250_429
; %bb.424:                              ;   in Loop: Header=BB250_414 Depth=1
	v_and_b32_sdwa v31, v1, v22 dst_sel:DWORD dst_unused:UNUSED_PAD src0_sel:WORD_0 src1_sel:DWORD
	v_mov_b32_e32 v29, 0x7c010000
	s_mov_b32 s17, exec_lo
	v_cmpx_ne_u32_e32 0x7f, v31
	s_cbranch_execz .LBB250_428
; %bb.425:                              ;   in Loop: Header=BB250_414 Depth=1
	v_and_b32_sdwa v29, v1, v23 dst_sel:DWORD dst_unused:UNUSED_PAD src0_sel:WORD_0 src1_sel:DWORD
	v_lshrrev_b32_e32 v30, 3, v31
	s_mov_b32 s18, exec_lo
	v_cmpx_gt_u32_e32 8, v31
; %bb.426:                              ;   in Loop: Header=BB250_414 Depth=1
	v_ffbh_u32_e32 v29, v29
	v_min_u32_e32 v31, 32, v29
	v_subrev_nc_u32_e32 v29, 28, v31
	v_lshlrev_b64 v[29:30], v29, v[1:2]
	v_sub_nc_u32_e32 v30, 29, v31
	v_and_b32_e32 v29, 7, v29
; %bb.427:                              ;   in Loop: Header=BB250_414 Depth=1
	s_or_b32 exec_lo, exec_lo, s18
	v_lshlrev_b32_sdwa v1, v24, v1 dst_sel:DWORD dst_unused:UNUSED_PAD src0_sel:DWORD src1_sel:WORD_0
	v_lshl_add_u32 v30, v30, 10, 0x2000
	v_lshlrev_b32_e32 v29, 23, v29
	v_and_or_b32 v1, 0x8000, v1, v30
	v_lshl_or_b32 v29, v1, 16, v29
.LBB250_428:                            ;   in Loop: Header=BB250_414 Depth=1
	s_or_b32 exec_lo, exec_lo, s17
.LBB250_429:                            ;   in Loop: Header=BB250_414 Depth=1
	s_or_b32 exec_lo, exec_lo, s13
.LBB250_430:                            ;   in Loop: Header=BB250_414 Depth=1
	s_or_b32 exec_lo, exec_lo, s0
	v_lshrrev_b32_e32 v1, 16, v9
	v_cmp_ne_u16_sdwa s13, v1, v2 src0_sel:BYTE_0 src1_sel:DWORD
	s_and_saveexec_b32 s0, s13
	s_cbranch_execz .LBB250_438
; %bb.431:                              ;   in Loop: Header=BB250_414 Depth=1
	v_cmp_ne_u16_sdwa s17, v1, v21 src0_sel:BYTE_0 src1_sel:DWORD
	v_mov_b32_e32 v26, 0x8000
	s_and_saveexec_b32 s13, s17
	s_cbranch_execz .LBB250_437
; %bb.432:                              ;   in Loop: Header=BB250_414 Depth=1
	v_bfe_u32 v31, v9, 16, 7
	v_mov_b32_e32 v26, 0x7c01
	s_mov_b32 s17, exec_lo
	v_cmpx_ne_u32_e32 0x7f, v31
	s_cbranch_execz .LBB250_436
; %bb.433:                              ;   in Loop: Header=BB250_414 Depth=1
	v_and_b32_e32 v26, 7, v1
	v_lshrrev_b32_e32 v30, 3, v31
	s_mov_b32 s18, exec_lo
	v_cmpx_gt_u32_e32 8, v31
; %bb.434:                              ;   in Loop: Header=BB250_414 Depth=1
	v_ffbh_u32_e32 v26, v26
	v_min_u32_e32 v26, 32, v26
	v_subrev_nc_u32_e32 v30, 28, v26
	v_lshlrev_b64 v[31:32], v30, v[1:2]
	v_sub_nc_u32_e32 v30, 29, v26
	v_and_b32_e32 v26, 7, v31
; %bb.435:                              ;   in Loop: Header=BB250_414 Depth=1
	s_or_b32 exec_lo, exec_lo, s18
	v_lshlrev_b32_e32 v1, 8, v1
	v_lshl_add_u32 v30, v30, 10, 0x2000
	v_lshlrev_b32_e32 v26, 7, v26
	v_and_b32_e32 v1, 0x8000, v1
	v_and_b32_e32 v30, 0xfc00, v30
	v_or3_b32 v26, v1, v30, v26
.LBB250_436:                            ;   in Loop: Header=BB250_414 Depth=1
	s_or_b32 exec_lo, exec_lo, s17
.LBB250_437:                            ;   in Loop: Header=BB250_414 Depth=1
	s_or_b32 exec_lo, exec_lo, s13
.LBB250_438:                            ;   in Loop: Header=BB250_414 Depth=1
	s_or_b32 exec_lo, exec_lo, s0
	v_mov_b32_e32 v30, 0
	v_mov_b32_e32 v31, 0
	s_mov_b32 s0, exec_lo
	v_cmpx_lt_u32_e32 0xffffff, v9
	s_cbranch_execz .LBB250_446
; %bb.439:                              ;   in Loop: Header=BB250_414 Depth=1
	v_lshrrev_b32_e32 v1, 24, v9
	v_bfrev_b32_e32 v31, 1
	s_mov_b32 s13, exec_lo
	v_cmpx_ne_u32_e32 0x80, v1
	s_cbranch_execz .LBB250_445
; %bb.440:                              ;   in Loop: Header=BB250_414 Depth=1
	v_and_b32_e32 v41, 0x7f, v1
	v_mov_b32_e32 v31, 0x7c010000
	s_mov_b32 s17, exec_lo
	v_cmpx_ne_u32_e32 0x7f, v41
	s_cbranch_execz .LBB250_444
; %bb.441:                              ;   in Loop: Header=BB250_414 Depth=1
	v_and_b32_e32 v31, 7, v1
	v_lshrrev_b32_e32 v32, 3, v41
	s_mov_b32 s18, exec_lo
	v_cmpx_gt_u32_e32 8, v41
; %bb.442:                              ;   in Loop: Header=BB250_414 Depth=1
	v_ffbh_u32_e32 v31, v31
	v_min_u32_e32 v41, 32, v31
	v_subrev_nc_u32_e32 v31, 28, v41
	v_lshlrev_b64 v[31:32], v31, v[1:2]
	v_sub_nc_u32_e32 v32, 29, v41
	v_and_b32_e32 v31, 7, v31
; %bb.443:                              ;   in Loop: Header=BB250_414 Depth=1
	s_or_b32 exec_lo, exec_lo, s18
	v_lshlrev_b32_e32 v1, 8, v1
	v_lshl_add_u32 v32, v32, 10, 0x2000
	v_lshlrev_b32_e32 v31, 23, v31
	v_and_or_b32 v1, 0x8000, v1, v32
	v_lshl_or_b32 v31, v1, 16, v31
.LBB250_444:                            ;   in Loop: Header=BB250_414 Depth=1
	s_or_b32 exec_lo, exec_lo, s17
.LBB250_445:                            ;   in Loop: Header=BB250_414 Depth=1
	s_or_b32 exec_lo, exec_lo, s13
.LBB250_446:                            ;   in Loop: Header=BB250_414 Depth=1
	s_or_b32 exec_lo, exec_lo, s0
	v_mov_b32_e32 v1, v10
	v_cmp_ne_u16_sdwa s13, v10, v2 src0_sel:BYTE_0 src1_sel:DWORD
	s_and_saveexec_b32 s0, s13
	s_cbranch_execz .LBB250_454
; %bb.447:                              ;   in Loop: Header=BB250_414 Depth=1
	v_cmp_ne_u16_sdwa s17, v10, v21 src0_sel:BYTE_0 src1_sel:DWORD
	v_mov_b32_e32 v30, 0x8000
	s_and_saveexec_b32 s13, s17
	s_cbranch_execz .LBB250_453
; %bb.448:                              ;   in Loop: Header=BB250_414 Depth=1
	v_and_b32_e32 v41, 0x7f, v10
	v_mov_b32_e32 v30, 0x7c01
	s_mov_b32 s17, exec_lo
	v_cmpx_ne_u32_e32 0x7f, v41
	s_cbranch_execz .LBB250_452
; %bb.449:                              ;   in Loop: Header=BB250_414 Depth=1
	v_and_b32_e32 v30, 7, v10
	v_lshrrev_b32_e32 v32, 3, v41
	s_mov_b32 s18, exec_lo
	v_cmpx_gt_u32_e32 8, v41
; %bb.450:                              ;   in Loop: Header=BB250_414 Depth=1
	v_ffbh_u32_e32 v30, v30
	v_min_u32_e32 v30, 32, v30
	v_subrev_nc_u32_e32 v32, 28, v30
	v_lshlrev_b64 v[41:42], v32, v[1:2]
	v_sub_nc_u32_e32 v32, 29, v30
	v_and_b32_e32 v30, 7, v41
; %bb.451:                              ;   in Loop: Header=BB250_414 Depth=1
	s_or_b32 exec_lo, exec_lo, s18
	v_lshlrev_b32_e32 v41, 8, v10
	v_lshl_add_u32 v32, v32, 10, 0x2000
	v_lshlrev_b32_e32 v30, 7, v30
	v_and_b32_e32 v41, 0x8000, v41
	v_and_b32_e32 v32, 0xfc00, v32
	v_or3_b32 v30, v41, v32, v30
.LBB250_452:                            ;   in Loop: Header=BB250_414 Depth=1
	s_or_b32 exec_lo, exec_lo, s17
.LBB250_453:                            ;   in Loop: Header=BB250_414 Depth=1
	s_or_b32 exec_lo, exec_lo, s13
.LBB250_454:                            ;   in Loop: Header=BB250_414 Depth=1
	s_or_b32 exec_lo, exec_lo, s0
	v_lshrrev_b16 v1, 8, v1
	v_mov_b32_e32 v41, 0
	v_mov_b32_e32 v32, 0
	s_mov_b32 s0, exec_lo
	v_cmpx_ne_u16_e32 0, v1
	s_cbranch_execz .LBB250_462
; %bb.455:                              ;   in Loop: Header=BB250_414 Depth=1
	v_bfrev_b32_e32 v32, 1
	s_mov_b32 s13, exec_lo
	v_cmpx_ne_u16_e32 0x80, v1
	s_cbranch_execz .LBB250_461
; %bb.456:                              ;   in Loop: Header=BB250_414 Depth=1
	v_and_b32_sdwa v43, v1, v22 dst_sel:DWORD dst_unused:UNUSED_PAD src0_sel:WORD_0 src1_sel:DWORD
	v_mov_b32_e32 v32, 0x7c010000
	s_mov_b32 s17, exec_lo
	v_cmpx_ne_u32_e32 0x7f, v43
	s_cbranch_execz .LBB250_460
; %bb.457:                              ;   in Loop: Header=BB250_414 Depth=1
	v_and_b32_sdwa v32, v1, v23 dst_sel:DWORD dst_unused:UNUSED_PAD src0_sel:WORD_0 src1_sel:DWORD
	v_lshrrev_b32_e32 v42, 3, v43
	s_mov_b32 s18, exec_lo
	v_cmpx_gt_u32_e32 8, v43
; %bb.458:                              ;   in Loop: Header=BB250_414 Depth=1
	v_ffbh_u32_e32 v32, v32
	v_min_u32_e32 v32, 32, v32
	v_subrev_nc_u32_e32 v42, 28, v32
	v_lshlrev_b64 v[43:44], v42, v[1:2]
	v_sub_nc_u32_e32 v42, 29, v32
	v_and_b32_e32 v32, 7, v43
; %bb.459:                              ;   in Loop: Header=BB250_414 Depth=1
	s_or_b32 exec_lo, exec_lo, s18
	v_lshlrev_b32_sdwa v1, v24, v1 dst_sel:DWORD dst_unused:UNUSED_PAD src0_sel:DWORD src1_sel:WORD_0
	v_lshl_add_u32 v42, v42, 10, 0x2000
	v_lshlrev_b32_e32 v32, 23, v32
	v_and_or_b32 v1, 0x8000, v1, v42
	v_lshl_or_b32 v32, v1, 16, v32
.LBB250_460:                            ;   in Loop: Header=BB250_414 Depth=1
	s_or_b32 exec_lo, exec_lo, s17
.LBB250_461:                            ;   in Loop: Header=BB250_414 Depth=1
	s_or_b32 exec_lo, exec_lo, s13
.LBB250_462:                            ;   in Loop: Header=BB250_414 Depth=1
	s_or_b32 exec_lo, exec_lo, s0
	v_lshrrev_b32_e32 v1, 16, v10
	v_cmp_ne_u16_sdwa s13, v1, v2 src0_sel:BYTE_0 src1_sel:DWORD
	s_and_saveexec_b32 s0, s13
	s_cbranch_execz .LBB250_470
; %bb.463:                              ;   in Loop: Header=BB250_414 Depth=1
	v_cmp_ne_u16_sdwa s17, v1, v21 src0_sel:BYTE_0 src1_sel:DWORD
	v_mov_b32_e32 v41, 0x8000
	s_and_saveexec_b32 s13, s17
	s_cbranch_execz .LBB250_469
; %bb.464:                              ;   in Loop: Header=BB250_414 Depth=1
	v_bfe_u32 v43, v10, 16, 7
	v_mov_b32_e32 v41, 0x7c01
	s_mov_b32 s17, exec_lo
	v_cmpx_ne_u32_e32 0x7f, v43
	s_cbranch_execz .LBB250_468
; %bb.465:                              ;   in Loop: Header=BB250_414 Depth=1
	v_and_b32_e32 v41, 7, v1
	v_lshrrev_b32_e32 v42, 3, v43
	s_mov_b32 s18, exec_lo
	v_cmpx_gt_u32_e32 8, v43
; %bb.466:                              ;   in Loop: Header=BB250_414 Depth=1
	v_ffbh_u32_e32 v41, v41
	v_min_u32_e32 v43, 32, v41
	v_subrev_nc_u32_e32 v41, 28, v43
	v_lshlrev_b64 v[41:42], v41, v[1:2]
	v_sub_nc_u32_e32 v42, 29, v43
	v_and_b32_e32 v41, 7, v41
; %bb.467:                              ;   in Loop: Header=BB250_414 Depth=1
	s_or_b32 exec_lo, exec_lo, s18
	v_lshlrev_b32_e32 v1, 8, v1
	v_lshl_add_u32 v42, v42, 10, 0x2000
	v_lshlrev_b32_e32 v41, 7, v41
	v_and_b32_e32 v1, 0x8000, v1
	v_and_b32_e32 v42, 0xfc00, v42
	v_or3_b32 v41, v1, v42, v41
.LBB250_468:                            ;   in Loop: Header=BB250_414 Depth=1
	s_or_b32 exec_lo, exec_lo, s17
.LBB250_469:                            ;   in Loop: Header=BB250_414 Depth=1
	s_or_b32 exec_lo, exec_lo, s13
.LBB250_470:                            ;   in Loop: Header=BB250_414 Depth=1
	s_or_b32 exec_lo, exec_lo, s0
	v_cmp_lt_u64_e32 vcc_lo, s[2:3], v[9:10]
	v_mov_b32_e32 v9, 0
	s_and_saveexec_b32 s0, vcc_lo
	s_cbranch_execz .LBB250_478
; %bb.471:                              ;   in Loop: Header=BB250_414 Depth=1
	v_lshrrev_b32_e32 v1, 24, v10
	v_bfrev_b32_e32 v9, 1
	s_mov_b32 s13, exec_lo
	v_cmpx_ne_u32_e32 0x80, v1
	s_cbranch_execz .LBB250_477
; %bb.472:                              ;   in Loop: Header=BB250_414 Depth=1
	v_and_b32_e32 v42, 0x7f, v1
	v_mov_b32_e32 v9, 0x7c010000
	s_mov_b32 s17, exec_lo
	v_cmpx_ne_u32_e32 0x7f, v42
	s_cbranch_execz .LBB250_476
; %bb.473:                              ;   in Loop: Header=BB250_414 Depth=1
	v_and_b32_e32 v9, 7, v1
	v_lshrrev_b32_e32 v10, 3, v42
	s_mov_b32 s18, exec_lo
	v_cmpx_gt_u32_e32 8, v42
; %bb.474:                              ;   in Loop: Header=BB250_414 Depth=1
	v_ffbh_u32_e32 v9, v9
	v_min_u32_e32 v42, 32, v9
	v_subrev_nc_u32_e32 v9, 28, v42
	v_lshlrev_b64 v[9:10], v9, v[1:2]
	v_sub_nc_u32_e32 v10, 29, v42
	v_and_b32_e32 v9, 7, v9
; %bb.475:                              ;   in Loop: Header=BB250_414 Depth=1
	s_or_b32 exec_lo, exec_lo, s18
	v_lshlrev_b32_e32 v1, 8, v1
	v_lshl_add_u32 v10, v10, 10, 0x2000
	v_lshlrev_b32_e32 v9, 23, v9
	v_and_or_b32 v1, 0x8000, v1, v10
	v_lshl_or_b32 v9, v1, 16, v9
.LBB250_476:                            ;   in Loop: Header=BB250_414 Depth=1
	s_or_b32 exec_lo, exec_lo, s17
.LBB250_477:                            ;   in Loop: Header=BB250_414 Depth=1
	s_or_b32 exec_lo, exec_lo, s13
.LBB250_478:                            ;   in Loop: Header=BB250_414 Depth=1
	s_or_b32 exec_lo, exec_lo, s0
	v_or_b32_e32 v1, v31, v26
	s_waitcnt vmcnt(0)
	v_fma_mixlo_f16 v10, v27, v31, 0 op_sel:[0,1,0] op_sel_hi:[0,1,0]
	v_or_b32_e32 v28, v29, v28
	v_fma_mixlo_f16 v29, v27, v29, 0 op_sel:[0,1,0] op_sel_hi:[0,1,0]
	v_or_b32_e32 v30, v32, v30
	v_fma_mixlo_f16 v1, v27, v1, 0 op_sel_hi:[0,1,0]
	v_or_b32_e32 v31, v9, v41
	v_fma_mixlo_f16 v9, v27, v9, 0 op_sel:[0,1,0] op_sel_hi:[0,1,0]
	v_lshlrev_b32_e32 v47, 16, v29
	v_fma_mixlo_f16 v29, v27, v30, 0 op_sel_hi:[0,1,0]
	v_and_b32_e32 v44, 0xffff, v1
	v_fma_mixlo_f16 v1, v27, v28, 0 op_sel_hi:[0,1,0]
	v_fma_mixlo_f16 v28, v27, v32, 0 op_sel:[0,1,0] op_sel_hi:[0,1,0]
	v_fma_mixlo_f16 v27, v27, v31, 0 op_sel_hi:[0,1,0]
	v_lshlrev_b32_e32 v10, 16, v10
	v_and_b32_e32 v48, 0xffff, v29
	v_and_b32_e32 v49, 0xffff, v1
	v_lshlrev_b32_e32 v45, 16, v28
	v_lshlrev_b32_e32 v42, 16, v9
	v_and_b32_e32 v46, 0xffff, v27
	v_add_nc_u32_e32 v26, -7, v19
	v_cmp_eq_u32_e32 vcc_lo, s5, v25
	v_or_b32_e32 v1, v10, v44
	v_or_b32_e32 v9, v47, v49
	;; [unrolled: 1-line block ×4, first 2 shown]
	v_add_nc_u32_e32 v32, -6, v19
	v_add_nc_u32_e32 v31, -5, v19
	;; [unrolled: 1-line block ×6, first 2 shown]
	s_and_saveexec_b32 s13, vcc_lo
	s_cbranch_execz .LBB250_480
; %bb.479:                              ;   in Loop: Header=BB250_414 Depth=1
	v_cmp_gt_i32_e64 s0, s11, v26
	v_cndmask_b32_e64 v1, 0, v49, s0
	v_cmp_gt_i32_e64 s0, s11, v32
	v_cndmask_b32_e64 v9, 0, v47, s0
	v_cmp_gt_i32_e64 s0, s11, v31
	v_or_b32_e32 v9, v9, v1
	v_cndmask_b32_e64 v41, 0, v44, s0
	v_cmp_gt_i32_e64 s0, s11, v30
	v_cndmask_b32_e64 v10, 0, v10, s0
	v_cmp_gt_i32_e64 s0, s11, v29
	v_or_b32_e32 v1, v10, v41
	;; [unrolled: 5-line block ×3, first 2 shown]
	v_cndmask_b32_e64 v45, 0, v46, s0
	v_cmp_gt_i32_e64 s0, s11, v19
	v_cndmask_b32_e64 v42, 0, v42, s0
	v_or_b32_e32 v43, v42, v45
.LBB250_480:                            ;   in Loop: Header=BB250_414 Depth=1
	s_or_b32 exec_lo, exec_lo, s13
	v_and_b32_e32 v10, 0xffff, v33
	v_and_b32_e32 v33, 0xffff, v36
	;; [unrolled: 1-line block ×4, first 2 shown]
	v_lshl_or_b32 v38, v34, 16, v10
	v_lshl_or_b32 v36, v35, 16, v33
	;;#ASMSTART
	v_pk_mul_f16 v9, v38, v9;

	;;#ASMEND
	;;#ASMSTART
	v_pk_mul_f16 v1, v36, v1;

	;;#ASMEND
	v_lshl_or_b32 v34, v37, 16, v42
	v_lshl_or_b32 v33, v39, 16, v40
	;;#ASMSTART
	v_pk_mul_f16 v10, v34, v41;

	;;#ASMEND
	;;#ASMSTART
	v_pk_mul_f16 v35, v33, v43;

	;;#ASMEND
	;;#ASMSTART
	v_pk_add_f16 v1, v9, v1;

	;;#ASMEND
	;;#ASMSTART
	v_pk_add_f16 v1, v1, v10;
	;; [unrolled: 4-line block ×3, first 2 shown]

	;;#ASMEND
	v_and_b32_e32 v9, 0xffff, v1
	v_lshrrev_b32_e32 v1, 16, v1
	;;#ASMSTART
	v_cvt_f32_f16 v35, v9;
	;;#ASMEND
	;;#ASMSTART
	v_cvt_f32_f16 v37, v1;
	;;#ASMEND
	global_load_dwordx2 v[9:10], v[7:8], off offset:256
	v_mov_b32_e32 v40, 0
	v_mov_b32_e32 v41, 0
	global_load_dword v39, v40, s[14:15]
	s_waitcnt vmcnt(1)
	v_cmp_ne_u16_sdwa s0, v9, v2 src0_sel:BYTE_0 src1_sel:DWORD
	s_and_saveexec_b32 s13, s0
	s_cbranch_execz .LBB250_488
; %bb.481:                              ;   in Loop: Header=BB250_414 Depth=1
	v_cmp_ne_u16_sdwa s0, v9, v21 src0_sel:BYTE_0 src1_sel:DWORD
	v_mov_b32_e32 v41, 0x8000
	s_and_saveexec_b32 s17, s0
	s_cbranch_execz .LBB250_487
; %bb.482:                              ;   in Loop: Header=BB250_414 Depth=1
	v_and_b32_e32 v42, 0x7f, v9
	v_mov_b32_e32 v41, 0x7c01
	s_mov_b32 s18, exec_lo
	v_cmpx_ne_u32_e32 0x7f, v42
	s_cbranch_execz .LBB250_486
; %bb.483:                              ;   in Loop: Header=BB250_414 Depth=1
	v_and_b32_e32 v1, 7, v9
	v_lshrrev_b32_e32 v41, 3, v42
	s_mov_b32 s19, exec_lo
	v_cmpx_gt_u32_e32 8, v42
; %bb.484:                              ;   in Loop: Header=BB250_414 Depth=1
	v_ffbh_u32_e32 v1, v1
	v_min_u32_e32 v1, 32, v1
	v_subrev_nc_u32_e32 v41, 28, v1
	v_lshlrev_b64 v[42:43], v41, v[9:10]
	v_sub_nc_u32_e32 v41, 29, v1
	v_and_b32_e32 v1, 7, v42
; %bb.485:                              ;   in Loop: Header=BB250_414 Depth=1
	s_or_b32 exec_lo, exec_lo, s19
	v_lshlrev_b32_e32 v42, 8, v9
	v_lshl_add_u32 v41, v41, 10, 0x2000
	v_lshlrev_b32_e32 v1, 7, v1
	v_and_b32_e32 v42, 0x8000, v42
	v_and_b32_e32 v41, 0xfc00, v41
	v_or3_b32 v41, v42, v41, v1
.LBB250_486:                            ;   in Loop: Header=BB250_414 Depth=1
	s_or_b32 exec_lo, exec_lo, s18
.LBB250_487:                            ;   in Loop: Header=BB250_414 Depth=1
	s_or_b32 exec_lo, exec_lo, s17
.LBB250_488:                            ;   in Loop: Header=BB250_414 Depth=1
	s_or_b32 exec_lo, exec_lo, s13
	v_lshrrev_b16 v1, 8, v9
	s_mov_b32 s13, exec_lo
	v_cmpx_ne_u16_e32 0, v1
	s_cbranch_execz .LBB250_496
; %bb.489:                              ;   in Loop: Header=BB250_414 Depth=1
	v_bfrev_b32_e32 v40, 1
	s_mov_b32 s17, exec_lo
	v_cmpx_ne_u16_e32 0x80, v1
	s_cbranch_execz .LBB250_495
; %bb.490:                              ;   in Loop: Header=BB250_414 Depth=1
	v_and_b32_sdwa v43, v1, v22 dst_sel:DWORD dst_unused:UNUSED_PAD src0_sel:WORD_0 src1_sel:DWORD
	v_mov_b32_e32 v40, 0x7c010000
	s_mov_b32 s18, exec_lo
	v_cmpx_ne_u32_e32 0x7f, v43
	s_cbranch_execz .LBB250_494
; %bb.491:                              ;   in Loop: Header=BB250_414 Depth=1
	v_and_b32_sdwa v40, v1, v23 dst_sel:DWORD dst_unused:UNUSED_PAD src0_sel:WORD_0 src1_sel:DWORD
	v_lshrrev_b32_e32 v42, 3, v43
	s_mov_b32 s19, exec_lo
	v_cmpx_gt_u32_e32 8, v43
; %bb.492:                              ;   in Loop: Header=BB250_414 Depth=1
	v_ffbh_u32_e32 v40, v40
	v_min_u32_e32 v40, 32, v40
	v_subrev_nc_u32_e32 v42, 28, v40
	v_lshlrev_b64 v[43:44], v42, v[1:2]
	v_sub_nc_u32_e32 v42, 29, v40
	v_and_b32_e32 v40, 7, v43
; %bb.493:                              ;   in Loop: Header=BB250_414 Depth=1
	s_or_b32 exec_lo, exec_lo, s19
	v_lshlrev_b32_sdwa v1, v24, v1 dst_sel:DWORD dst_unused:UNUSED_PAD src0_sel:DWORD src1_sel:WORD_0
	v_lshl_add_u32 v42, v42, 10, 0x2000
	v_lshlrev_b32_e32 v40, 23, v40
	v_and_or_b32 v1, 0x8000, v1, v42
	v_lshl_or_b32 v40, v1, 16, v40
.LBB250_494:                            ;   in Loop: Header=BB250_414 Depth=1
	s_or_b32 exec_lo, exec_lo, s18
.LBB250_495:                            ;   in Loop: Header=BB250_414 Depth=1
	s_or_b32 exec_lo, exec_lo, s17
.LBB250_496:                            ;   in Loop: Header=BB250_414 Depth=1
	s_or_b32 exec_lo, exec_lo, s13
	v_lshrrev_b32_e32 v1, 16, v9
	v_mov_b32_e32 v42, 0
	v_mov_b32_e32 v43, 0
	v_cmp_ne_u16_sdwa s0, v1, v2 src0_sel:BYTE_0 src1_sel:DWORD
	s_and_saveexec_b32 s13, s0
	s_cbranch_execz .LBB250_504
; %bb.497:                              ;   in Loop: Header=BB250_414 Depth=1
	v_cmp_ne_u16_sdwa s0, v1, v21 src0_sel:BYTE_0 src1_sel:DWORD
	v_mov_b32_e32 v43, 0x8000
	s_and_saveexec_b32 s17, s0
	s_cbranch_execz .LBB250_503
; %bb.498:                              ;   in Loop: Header=BB250_414 Depth=1
	v_bfe_u32 v45, v9, 16, 7
	v_mov_b32_e32 v43, 0x7c01
	s_mov_b32 s18, exec_lo
	v_cmpx_ne_u32_e32 0x7f, v45
	s_cbranch_execz .LBB250_502
; %bb.499:                              ;   in Loop: Header=BB250_414 Depth=1
	v_and_b32_e32 v43, 7, v1
	v_lshrrev_b32_e32 v44, 3, v45
	s_mov_b32 s19, exec_lo
	v_cmpx_gt_u32_e32 8, v45
; %bb.500:                              ;   in Loop: Header=BB250_414 Depth=1
	v_ffbh_u32_e32 v43, v43
	v_min_u32_e32 v45, 32, v43
	v_subrev_nc_u32_e32 v43, 28, v45
	v_lshlrev_b64 v[43:44], v43, v[1:2]
	v_sub_nc_u32_e32 v44, 29, v45
	v_and_b32_e32 v43, 7, v43
; %bb.501:                              ;   in Loop: Header=BB250_414 Depth=1
	s_or_b32 exec_lo, exec_lo, s19
	v_lshlrev_b32_e32 v1, 8, v1
	v_lshl_add_u32 v44, v44, 10, 0x2000
	v_lshlrev_b32_e32 v43, 7, v43
	v_and_b32_e32 v1, 0x8000, v1
	v_and_b32_e32 v44, 0xfc00, v44
	v_or3_b32 v43, v1, v44, v43
.LBB250_502:                            ;   in Loop: Header=BB250_414 Depth=1
	s_or_b32 exec_lo, exec_lo, s18
.LBB250_503:                            ;   in Loop: Header=BB250_414 Depth=1
	s_or_b32 exec_lo, exec_lo, s17
.LBB250_504:                            ;   in Loop: Header=BB250_414 Depth=1
	s_or_b32 exec_lo, exec_lo, s13
	s_mov_b32 s13, exec_lo
	v_cmpx_lt_u32_e32 0xffffff, v9
	s_cbranch_execz .LBB250_512
; %bb.505:                              ;   in Loop: Header=BB250_414 Depth=1
	v_lshrrev_b32_e32 v1, 24, v9
	v_bfrev_b32_e32 v42, 1
	s_mov_b32 s17, exec_lo
	v_cmpx_ne_u32_e32 0x80, v1
	s_cbranch_execz .LBB250_511
; %bb.506:                              ;   in Loop: Header=BB250_414 Depth=1
	v_and_b32_e32 v45, 0x7f, v1
	v_mov_b32_e32 v42, 0x7c010000
	s_mov_b32 s18, exec_lo
	v_cmpx_ne_u32_e32 0x7f, v45
	s_cbranch_execz .LBB250_510
; %bb.507:                              ;   in Loop: Header=BB250_414 Depth=1
	v_and_b32_e32 v42, 7, v1
	v_lshrrev_b32_e32 v44, 3, v45
	s_mov_b32 s19, exec_lo
	v_cmpx_gt_u32_e32 8, v45
; %bb.508:                              ;   in Loop: Header=BB250_414 Depth=1
	v_ffbh_u32_e32 v42, v42
	v_min_u32_e32 v42, 32, v42
	v_subrev_nc_u32_e32 v44, 28, v42
	v_lshlrev_b64 v[45:46], v44, v[1:2]
	v_sub_nc_u32_e32 v44, 29, v42
	v_and_b32_e32 v42, 7, v45
; %bb.509:                              ;   in Loop: Header=BB250_414 Depth=1
	s_or_b32 exec_lo, exec_lo, s19
	v_lshlrev_b32_e32 v1, 8, v1
	v_lshl_add_u32 v44, v44, 10, 0x2000
	v_lshlrev_b32_e32 v42, 23, v42
	v_and_or_b32 v1, 0x8000, v1, v44
	v_lshl_or_b32 v42, v1, 16, v42
.LBB250_510:                            ;   in Loop: Header=BB250_414 Depth=1
	s_or_b32 exec_lo, exec_lo, s18
.LBB250_511:                            ;   in Loop: Header=BB250_414 Depth=1
	s_or_b32 exec_lo, exec_lo, s17
.LBB250_512:                            ;   in Loop: Header=BB250_414 Depth=1
	s_or_b32 exec_lo, exec_lo, s13
	v_mov_b32_e32 v1, v10
	v_cmp_ne_u16_sdwa s0, v10, v2 src0_sel:BYTE_0 src1_sel:DWORD
	v_mov_b32_e32 v44, 0
	v_mov_b32_e32 v45, 0
	s_and_saveexec_b32 s13, s0
	s_cbranch_execz .LBB250_520
; %bb.513:                              ;   in Loop: Header=BB250_414 Depth=1
	v_cmp_ne_u16_sdwa s0, v10, v21 src0_sel:BYTE_0 src1_sel:DWORD
	v_mov_b32_e32 v45, 0x8000
	s_and_saveexec_b32 s17, s0
	s_cbranch_execz .LBB250_519
; %bb.514:                              ;   in Loop: Header=BB250_414 Depth=1
	v_and_b32_e32 v47, 0x7f, v10
	v_mov_b32_e32 v45, 0x7c01
	s_mov_b32 s18, exec_lo
	v_cmpx_ne_u32_e32 0x7f, v47
	s_cbranch_execz .LBB250_518
; %bb.515:                              ;   in Loop: Header=BB250_414 Depth=1
	v_and_b32_e32 v45, 7, v10
	v_lshrrev_b32_e32 v46, 3, v47
	s_mov_b32 s19, exec_lo
	v_cmpx_gt_u32_e32 8, v47
; %bb.516:                              ;   in Loop: Header=BB250_414 Depth=1
	v_ffbh_u32_e32 v45, v45
	v_min_u32_e32 v47, 32, v45
	v_subrev_nc_u32_e32 v45, 28, v47
	v_lshlrev_b64 v[45:46], v45, v[1:2]
	v_sub_nc_u32_e32 v46, 29, v47
	v_and_b32_e32 v45, 7, v45
; %bb.517:                              ;   in Loop: Header=BB250_414 Depth=1
	s_or_b32 exec_lo, exec_lo, s19
	v_lshlrev_b32_e32 v47, 8, v10
	v_lshl_add_u32 v46, v46, 10, 0x2000
	v_lshlrev_b32_e32 v45, 7, v45
	v_and_b32_e32 v47, 0x8000, v47
	v_and_b32_e32 v46, 0xfc00, v46
	v_or3_b32 v45, v47, v46, v45
.LBB250_518:                            ;   in Loop: Header=BB250_414 Depth=1
	s_or_b32 exec_lo, exec_lo, s18
.LBB250_519:                            ;   in Loop: Header=BB250_414 Depth=1
	s_or_b32 exec_lo, exec_lo, s17
.LBB250_520:                            ;   in Loop: Header=BB250_414 Depth=1
	s_or_b32 exec_lo, exec_lo, s13
	v_lshrrev_b16 v1, 8, v1
	v_mov_b32_e32 v46, 0
	s_mov_b32 s13, exec_lo
	v_cmpx_ne_u16_e32 0, v1
	s_cbranch_execz .LBB250_528
; %bb.521:                              ;   in Loop: Header=BB250_414 Depth=1
	v_bfrev_b32_e32 v46, 1
	s_mov_b32 s17, exec_lo
	v_cmpx_ne_u16_e32 0x80, v1
	s_cbranch_execz .LBB250_527
; %bb.522:                              ;   in Loop: Header=BB250_414 Depth=1
	v_and_b32_sdwa v48, v1, v22 dst_sel:DWORD dst_unused:UNUSED_PAD src0_sel:WORD_0 src1_sel:DWORD
	v_mov_b32_e32 v46, 0x7c010000
	s_mov_b32 s18, exec_lo
	v_cmpx_ne_u32_e32 0x7f, v48
	s_cbranch_execz .LBB250_526
; %bb.523:                              ;   in Loop: Header=BB250_414 Depth=1
	v_and_b32_sdwa v46, v1, v23 dst_sel:DWORD dst_unused:UNUSED_PAD src0_sel:WORD_0 src1_sel:DWORD
	v_lshrrev_b32_e32 v47, 3, v48
	s_mov_b32 s19, exec_lo
	v_cmpx_gt_u32_e32 8, v48
; %bb.524:                              ;   in Loop: Header=BB250_414 Depth=1
	v_ffbh_u32_e32 v46, v46
	v_min_u32_e32 v48, 32, v46
	v_subrev_nc_u32_e32 v46, 28, v48
	v_lshlrev_b64 v[46:47], v46, v[1:2]
	v_sub_nc_u32_e32 v47, 29, v48
	v_and_b32_e32 v46, 7, v46
; %bb.525:                              ;   in Loop: Header=BB250_414 Depth=1
	s_or_b32 exec_lo, exec_lo, s19
	v_lshlrev_b32_sdwa v1, v24, v1 dst_sel:DWORD dst_unused:UNUSED_PAD src0_sel:DWORD src1_sel:WORD_0
	v_lshl_add_u32 v47, v47, 10, 0x2000
	v_lshlrev_b32_e32 v46, 23, v46
	v_and_or_b32 v1, 0x8000, v1, v47
	v_lshl_or_b32 v46, v1, 16, v46
.LBB250_526:                            ;   in Loop: Header=BB250_414 Depth=1
	s_or_b32 exec_lo, exec_lo, s18
.LBB250_527:                            ;   in Loop: Header=BB250_414 Depth=1
	s_or_b32 exec_lo, exec_lo, s17
.LBB250_528:                            ;   in Loop: Header=BB250_414 Depth=1
	s_or_b32 exec_lo, exec_lo, s13
	v_lshrrev_b32_e32 v1, 16, v10
	v_cmp_ne_u16_sdwa s0, v1, v2 src0_sel:BYTE_0 src1_sel:DWORD
	s_and_saveexec_b32 s13, s0
	s_cbranch_execz .LBB250_536
; %bb.529:                              ;   in Loop: Header=BB250_414 Depth=1
	v_cmp_ne_u16_sdwa s0, v1, v21 src0_sel:BYTE_0 src1_sel:DWORD
	v_mov_b32_e32 v44, 0x8000
	s_and_saveexec_b32 s17, s0
	s_cbranch_execz .LBB250_535
; %bb.530:                              ;   in Loop: Header=BB250_414 Depth=1
	v_bfe_u32 v48, v10, 16, 7
	v_mov_b32_e32 v44, 0x7c01
	s_mov_b32 s18, exec_lo
	v_cmpx_ne_u32_e32 0x7f, v48
	s_cbranch_execz .LBB250_534
; %bb.531:                              ;   in Loop: Header=BB250_414 Depth=1
	v_and_b32_e32 v44, 7, v1
	v_lshrrev_b32_e32 v47, 3, v48
	s_mov_b32 s19, exec_lo
	v_cmpx_gt_u32_e32 8, v48
; %bb.532:                              ;   in Loop: Header=BB250_414 Depth=1
	v_ffbh_u32_e32 v44, v44
	v_min_u32_e32 v44, 32, v44
	v_subrev_nc_u32_e32 v47, 28, v44
	v_lshlrev_b64 v[48:49], v47, v[1:2]
	v_sub_nc_u32_e32 v47, 29, v44
	v_and_b32_e32 v44, 7, v48
; %bb.533:                              ;   in Loop: Header=BB250_414 Depth=1
	s_or_b32 exec_lo, exec_lo, s19
	v_lshlrev_b32_e32 v1, 8, v1
	v_lshl_add_u32 v47, v47, 10, 0x2000
	v_lshlrev_b32_e32 v44, 7, v44
	v_and_b32_e32 v1, 0x8000, v1
	v_and_b32_e32 v47, 0xfc00, v47
	v_or3_b32 v44, v1, v47, v44
.LBB250_534:                            ;   in Loop: Header=BB250_414 Depth=1
	s_or_b32 exec_lo, exec_lo, s18
.LBB250_535:                            ;   in Loop: Header=BB250_414 Depth=1
	s_or_b32 exec_lo, exec_lo, s17
.LBB250_536:                            ;   in Loop: Header=BB250_414 Depth=1
	s_or_b32 exec_lo, exec_lo, s13
	v_cmp_lt_u64_e64 s0, s[2:3], v[9:10]
	v_mov_b32_e32 v9, 0
	s_and_saveexec_b32 s13, s0
	s_cbranch_execz .LBB250_544
; %bb.537:                              ;   in Loop: Header=BB250_414 Depth=1
	v_lshrrev_b32_e32 v1, 24, v10
	v_bfrev_b32_e32 v9, 1
	s_mov_b32 s17, exec_lo
	v_cmpx_ne_u32_e32 0x80, v1
	s_cbranch_execz .LBB250_543
; %bb.538:                              ;   in Loop: Header=BB250_414 Depth=1
	v_and_b32_e32 v47, 0x7f, v1
	v_mov_b32_e32 v9, 0x7c010000
	s_mov_b32 s18, exec_lo
	v_cmpx_ne_u32_e32 0x7f, v47
	s_cbranch_execz .LBB250_542
; %bb.539:                              ;   in Loop: Header=BB250_414 Depth=1
	v_and_b32_e32 v9, 7, v1
	v_lshrrev_b32_e32 v10, 3, v47
	s_mov_b32 s19, exec_lo
	v_cmpx_gt_u32_e32 8, v47
; %bb.540:                              ;   in Loop: Header=BB250_414 Depth=1
	v_ffbh_u32_e32 v9, v9
	v_min_u32_e32 v47, 32, v9
	v_subrev_nc_u32_e32 v9, 28, v47
	v_lshlrev_b64 v[9:10], v9, v[1:2]
	v_sub_nc_u32_e32 v10, 29, v47
	v_and_b32_e32 v9, 7, v9
; %bb.541:                              ;   in Loop: Header=BB250_414 Depth=1
	s_or_b32 exec_lo, exec_lo, s19
	v_lshlrev_b32_e32 v1, 8, v1
	v_lshl_add_u32 v10, v10, 10, 0x2000
	v_lshlrev_b32_e32 v9, 23, v9
	v_and_or_b32 v1, 0x8000, v1, v10
	v_lshl_or_b32 v9, v1, 16, v9
.LBB250_542:                            ;   in Loop: Header=BB250_414 Depth=1
	s_or_b32 exec_lo, exec_lo, s18
.LBB250_543:                            ;   in Loop: Header=BB250_414 Depth=1
	s_or_b32 exec_lo, exec_lo, s17
.LBB250_544:                            ;   in Loop: Header=BB250_414 Depth=1
	s_or_b32 exec_lo, exec_lo, s13
	v_or_b32_e32 v1, v42, v43
	s_waitcnt vmcnt(0)
	v_fma_mixlo_f16 v10, v39, v42, 0 op_sel:[0,1,0] op_sel_hi:[0,1,0]
	v_or_b32_e32 v42, v40, v41
	v_fma_mixlo_f16 v40, v39, v40, 0 op_sel:[0,1,0] op_sel_hi:[0,1,0]
	v_or_b32_e32 v43, v46, v45
	v_or_b32_e32 v44, v9, v44
	v_fma_mixlo_f16 v45, v39, v1, 0 op_sel_hi:[0,1,0]
	v_fma_mixlo_f16 v9, v39, v9, 0 op_sel:[0,1,0] op_sel_hi:[0,1,0]
	v_lshlrev_b32_e32 v41, 16, v40
	v_fma_mixlo_f16 v40, v39, v42, 0 op_sel_hi:[0,1,0]
	v_fma_mixlo_f16 v42, v39, v46, 0 op_sel:[0,1,0] op_sel_hi:[0,1,0]
	v_fma_mixlo_f16 v43, v39, v43, 0 op_sel_hi:[0,1,0]
	v_fma_mixlo_f16 v44, v39, v44, 0 op_sel_hi:[0,1,0]
	v_lshlrev_b32_e32 v1, 16, v10
	v_and_b32_e32 v10, 0xffff, v45
	v_and_b32_e32 v47, 0xffff, v40
	v_lshlrev_b32_e32 v39, 16, v42
	v_and_b32_e32 v43, 0xffff, v43
	v_lshlrev_b32_e32 v9, 16, v9
	v_and_b32_e32 v40, 0xffff, v44
	v_or_b32_e32 v42, v1, v10
	v_or_b32_e32 v46, v41, v47
	;; [unrolled: 1-line block ×4, first 2 shown]
	s_and_saveexec_b32 s13, vcc_lo
	s_cbranch_execz .LBB250_546
; %bb.545:                              ;   in Loop: Header=BB250_414 Depth=1
	v_cmp_gt_i32_e64 s0, s11, v26
	v_cndmask_b32_e64 v42, 0, v47, s0
	v_cmp_gt_i32_e64 s0, s11, v32
	v_cndmask_b32_e64 v41, 0, v41, s0
	v_cmp_gt_i32_e64 s0, s11, v31
	v_or_b32_e32 v46, v41, v42
	v_cndmask_b32_e64 v10, 0, v10, s0
	v_cmp_gt_i32_e64 s0, s11, v30
	v_cndmask_b32_e64 v1, 0, v1, s0
	v_cmp_gt_i32_e64 s0, s11, v29
	v_or_b32_e32 v42, v1, v10
	;; [unrolled: 5-line block ×3, first 2 shown]
	v_cndmask_b32_e64 v40, 0, v40, s0
	v_cmp_gt_i32_e64 s0, s11, v19
	v_cndmask_b32_e64 v9, 0, v9, s0
	v_or_b32_e32 v44, v9, v40
.LBB250_546:                            ;   in Loop: Header=BB250_414 Depth=1
	s_or_b32 exec_lo, exec_lo, s13
	;;#ASMSTART
	v_pk_mul_f16 v1, v38, v46;

	;;#ASMEND
	;;#ASMSTART
	v_pk_mul_f16 v9, v36, v42;

	;;#ASMEND
	;; [unrolled: 4-line block ×4, first 2 shown]
	;;#ASMSTART
	v_pk_add_f16 v1, v1, v9;

	;;#ASMEND
	;;#ASMSTART
	v_pk_add_f16 v1, v1, v10;

	;;#ASMEND
	;; [unrolled: 4-line block ×3, first 2 shown]
	v_and_b32_e32 v9, 0xffff, v1
	v_lshrrev_b32_e32 v1, 16, v1
	;;#ASMSTART
	v_cvt_f32_f16 v39, v9;
	;;#ASMEND
	;;#ASMSTART
	v_cvt_f32_f16 v40, v1;
	;;#ASMEND
	global_load_dwordx2 v[9:10], v[7:8], off offset:512
	v_mov_b32_e32 v42, 0
	v_mov_b32_e32 v43, 0
	global_load_dword v41, v42, s[14:15]
	s_waitcnt vmcnt(1)
	v_cmp_ne_u16_sdwa s0, v9, v2 src0_sel:BYTE_0 src1_sel:DWORD
	s_and_saveexec_b32 s13, s0
	s_cbranch_execz .LBB250_554
; %bb.547:                              ;   in Loop: Header=BB250_414 Depth=1
	v_cmp_ne_u16_sdwa s0, v9, v21 src0_sel:BYTE_0 src1_sel:DWORD
	v_mov_b32_e32 v43, 0x8000
	s_and_saveexec_b32 s17, s0
	s_cbranch_execz .LBB250_553
; %bb.548:                              ;   in Loop: Header=BB250_414 Depth=1
	v_and_b32_e32 v44, 0x7f, v9
	v_mov_b32_e32 v43, 0x7c01
	s_mov_b32 s18, exec_lo
	v_cmpx_ne_u32_e32 0x7f, v44
	s_cbranch_execz .LBB250_552
; %bb.549:                              ;   in Loop: Header=BB250_414 Depth=1
	v_and_b32_e32 v1, 7, v9
	v_lshrrev_b32_e32 v43, 3, v44
	s_mov_b32 s19, exec_lo
	v_cmpx_gt_u32_e32 8, v44
; %bb.550:                              ;   in Loop: Header=BB250_414 Depth=1
	v_ffbh_u32_e32 v1, v1
	v_min_u32_e32 v1, 32, v1
	v_subrev_nc_u32_e32 v43, 28, v1
	v_lshlrev_b64 v[44:45], v43, v[9:10]
	v_sub_nc_u32_e32 v43, 29, v1
	v_and_b32_e32 v1, 7, v44
; %bb.551:                              ;   in Loop: Header=BB250_414 Depth=1
	s_or_b32 exec_lo, exec_lo, s19
	v_lshlrev_b32_e32 v44, 8, v9
	v_lshl_add_u32 v43, v43, 10, 0x2000
	v_lshlrev_b32_e32 v1, 7, v1
	v_and_b32_e32 v44, 0x8000, v44
	v_and_b32_e32 v43, 0xfc00, v43
	v_or3_b32 v43, v44, v43, v1
.LBB250_552:                            ;   in Loop: Header=BB250_414 Depth=1
	s_or_b32 exec_lo, exec_lo, s18
.LBB250_553:                            ;   in Loop: Header=BB250_414 Depth=1
	s_or_b32 exec_lo, exec_lo, s17
.LBB250_554:                            ;   in Loop: Header=BB250_414 Depth=1
	s_or_b32 exec_lo, exec_lo, s13
	v_lshrrev_b16 v1, 8, v9
	s_mov_b32 s13, exec_lo
	v_cmpx_ne_u16_e32 0, v1
	s_cbranch_execz .LBB250_562
; %bb.555:                              ;   in Loop: Header=BB250_414 Depth=1
	v_bfrev_b32_e32 v42, 1
	s_mov_b32 s17, exec_lo
	v_cmpx_ne_u16_e32 0x80, v1
	s_cbranch_execz .LBB250_561
; %bb.556:                              ;   in Loop: Header=BB250_414 Depth=1
	v_and_b32_sdwa v45, v1, v22 dst_sel:DWORD dst_unused:UNUSED_PAD src0_sel:WORD_0 src1_sel:DWORD
	v_mov_b32_e32 v42, 0x7c010000
	s_mov_b32 s18, exec_lo
	v_cmpx_ne_u32_e32 0x7f, v45
	s_cbranch_execz .LBB250_560
; %bb.557:                              ;   in Loop: Header=BB250_414 Depth=1
	v_and_b32_sdwa v42, v1, v23 dst_sel:DWORD dst_unused:UNUSED_PAD src0_sel:WORD_0 src1_sel:DWORD
	v_lshrrev_b32_e32 v44, 3, v45
	s_mov_b32 s19, exec_lo
	v_cmpx_gt_u32_e32 8, v45
; %bb.558:                              ;   in Loop: Header=BB250_414 Depth=1
	v_ffbh_u32_e32 v42, v42
	v_min_u32_e32 v42, 32, v42
	v_subrev_nc_u32_e32 v44, 28, v42
	v_lshlrev_b64 v[45:46], v44, v[1:2]
	v_sub_nc_u32_e32 v44, 29, v42
	v_and_b32_e32 v42, 7, v45
; %bb.559:                              ;   in Loop: Header=BB250_414 Depth=1
	s_or_b32 exec_lo, exec_lo, s19
	v_lshlrev_b32_sdwa v1, v24, v1 dst_sel:DWORD dst_unused:UNUSED_PAD src0_sel:DWORD src1_sel:WORD_0
	v_lshl_add_u32 v44, v44, 10, 0x2000
	v_lshlrev_b32_e32 v42, 23, v42
	v_and_or_b32 v1, 0x8000, v1, v44
	v_lshl_or_b32 v42, v1, 16, v42
.LBB250_560:                            ;   in Loop: Header=BB250_414 Depth=1
	s_or_b32 exec_lo, exec_lo, s18
.LBB250_561:                            ;   in Loop: Header=BB250_414 Depth=1
	s_or_b32 exec_lo, exec_lo, s17
.LBB250_562:                            ;   in Loop: Header=BB250_414 Depth=1
	s_or_b32 exec_lo, exec_lo, s13
	v_lshrrev_b32_e32 v1, 16, v9
	v_mov_b32_e32 v44, 0
	v_mov_b32_e32 v45, 0
	v_cmp_ne_u16_sdwa s0, v1, v2 src0_sel:BYTE_0 src1_sel:DWORD
	s_and_saveexec_b32 s13, s0
	s_cbranch_execz .LBB250_570
; %bb.563:                              ;   in Loop: Header=BB250_414 Depth=1
	v_cmp_ne_u16_sdwa s0, v1, v21 src0_sel:BYTE_0 src1_sel:DWORD
	v_mov_b32_e32 v45, 0x8000
	s_and_saveexec_b32 s17, s0
	s_cbranch_execz .LBB250_569
; %bb.564:                              ;   in Loop: Header=BB250_414 Depth=1
	v_bfe_u32 v47, v9, 16, 7
	v_mov_b32_e32 v45, 0x7c01
	s_mov_b32 s18, exec_lo
	v_cmpx_ne_u32_e32 0x7f, v47
	s_cbranch_execz .LBB250_568
; %bb.565:                              ;   in Loop: Header=BB250_414 Depth=1
	v_and_b32_e32 v45, 7, v1
	v_lshrrev_b32_e32 v46, 3, v47
	s_mov_b32 s19, exec_lo
	v_cmpx_gt_u32_e32 8, v47
; %bb.566:                              ;   in Loop: Header=BB250_414 Depth=1
	v_ffbh_u32_e32 v45, v45
	v_min_u32_e32 v47, 32, v45
	v_subrev_nc_u32_e32 v45, 28, v47
	v_lshlrev_b64 v[45:46], v45, v[1:2]
	v_sub_nc_u32_e32 v46, 29, v47
	v_and_b32_e32 v45, 7, v45
; %bb.567:                              ;   in Loop: Header=BB250_414 Depth=1
	s_or_b32 exec_lo, exec_lo, s19
	v_lshlrev_b32_e32 v1, 8, v1
	v_lshl_add_u32 v46, v46, 10, 0x2000
	v_lshlrev_b32_e32 v45, 7, v45
	v_and_b32_e32 v1, 0x8000, v1
	v_and_b32_e32 v46, 0xfc00, v46
	v_or3_b32 v45, v1, v46, v45
.LBB250_568:                            ;   in Loop: Header=BB250_414 Depth=1
	s_or_b32 exec_lo, exec_lo, s18
.LBB250_569:                            ;   in Loop: Header=BB250_414 Depth=1
	s_or_b32 exec_lo, exec_lo, s17
.LBB250_570:                            ;   in Loop: Header=BB250_414 Depth=1
	s_or_b32 exec_lo, exec_lo, s13
	s_mov_b32 s13, exec_lo
	v_cmpx_lt_u32_e32 0xffffff, v9
	s_cbranch_execz .LBB250_578
; %bb.571:                              ;   in Loop: Header=BB250_414 Depth=1
	v_lshrrev_b32_e32 v1, 24, v9
	v_bfrev_b32_e32 v44, 1
	s_mov_b32 s17, exec_lo
	v_cmpx_ne_u32_e32 0x80, v1
	s_cbranch_execz .LBB250_577
; %bb.572:                              ;   in Loop: Header=BB250_414 Depth=1
	v_and_b32_e32 v47, 0x7f, v1
	v_mov_b32_e32 v44, 0x7c010000
	s_mov_b32 s18, exec_lo
	v_cmpx_ne_u32_e32 0x7f, v47
	s_cbranch_execz .LBB250_576
; %bb.573:                              ;   in Loop: Header=BB250_414 Depth=1
	v_and_b32_e32 v44, 7, v1
	v_lshrrev_b32_e32 v46, 3, v47
	s_mov_b32 s19, exec_lo
	v_cmpx_gt_u32_e32 8, v47
; %bb.574:                              ;   in Loop: Header=BB250_414 Depth=1
	v_ffbh_u32_e32 v44, v44
	v_min_u32_e32 v44, 32, v44
	v_subrev_nc_u32_e32 v46, 28, v44
	v_lshlrev_b64 v[47:48], v46, v[1:2]
	v_sub_nc_u32_e32 v46, 29, v44
	v_and_b32_e32 v44, 7, v47
; %bb.575:                              ;   in Loop: Header=BB250_414 Depth=1
	s_or_b32 exec_lo, exec_lo, s19
	v_lshlrev_b32_e32 v1, 8, v1
	v_lshl_add_u32 v46, v46, 10, 0x2000
	v_lshlrev_b32_e32 v44, 23, v44
	v_and_or_b32 v1, 0x8000, v1, v46
	v_lshl_or_b32 v44, v1, 16, v44
.LBB250_576:                            ;   in Loop: Header=BB250_414 Depth=1
	s_or_b32 exec_lo, exec_lo, s18
.LBB250_577:                            ;   in Loop: Header=BB250_414 Depth=1
	s_or_b32 exec_lo, exec_lo, s17
.LBB250_578:                            ;   in Loop: Header=BB250_414 Depth=1
	s_or_b32 exec_lo, exec_lo, s13
	v_mov_b32_e32 v1, v10
	v_cmp_ne_u16_sdwa s0, v10, v2 src0_sel:BYTE_0 src1_sel:DWORD
	v_mov_b32_e32 v46, 0
	v_mov_b32_e32 v47, 0
	s_and_saveexec_b32 s13, s0
	s_cbranch_execz .LBB250_586
; %bb.579:                              ;   in Loop: Header=BB250_414 Depth=1
	v_cmp_ne_u16_sdwa s0, v10, v21 src0_sel:BYTE_0 src1_sel:DWORD
	v_mov_b32_e32 v47, 0x8000
	s_and_saveexec_b32 s17, s0
	s_cbranch_execz .LBB250_585
; %bb.580:                              ;   in Loop: Header=BB250_414 Depth=1
	v_and_b32_e32 v49, 0x7f, v10
	v_mov_b32_e32 v47, 0x7c01
	s_mov_b32 s18, exec_lo
	v_cmpx_ne_u32_e32 0x7f, v49
	s_cbranch_execz .LBB250_584
; %bb.581:                              ;   in Loop: Header=BB250_414 Depth=1
	v_and_b32_e32 v47, 7, v10
	v_lshrrev_b32_e32 v48, 3, v49
	s_mov_b32 s19, exec_lo
	v_cmpx_gt_u32_e32 8, v49
; %bb.582:                              ;   in Loop: Header=BB250_414 Depth=1
	v_ffbh_u32_e32 v47, v47
	v_min_u32_e32 v49, 32, v47
	v_subrev_nc_u32_e32 v47, 28, v49
	v_lshlrev_b64 v[47:48], v47, v[1:2]
	v_sub_nc_u32_e32 v48, 29, v49
	v_and_b32_e32 v47, 7, v47
; %bb.583:                              ;   in Loop: Header=BB250_414 Depth=1
	s_or_b32 exec_lo, exec_lo, s19
	v_lshlrev_b32_e32 v49, 8, v10
	v_lshl_add_u32 v48, v48, 10, 0x2000
	v_lshlrev_b32_e32 v47, 7, v47
	v_and_b32_e32 v49, 0x8000, v49
	v_and_b32_e32 v48, 0xfc00, v48
	v_or3_b32 v47, v49, v48, v47
.LBB250_584:                            ;   in Loop: Header=BB250_414 Depth=1
	s_or_b32 exec_lo, exec_lo, s18
.LBB250_585:                            ;   in Loop: Header=BB250_414 Depth=1
	s_or_b32 exec_lo, exec_lo, s17
.LBB250_586:                            ;   in Loop: Header=BB250_414 Depth=1
	s_or_b32 exec_lo, exec_lo, s13
	v_lshrrev_b16 v1, 8, v1
	v_mov_b32_e32 v48, 0
	s_mov_b32 s13, exec_lo
	v_cmpx_ne_u16_e32 0, v1
	s_cbranch_execz .LBB250_594
; %bb.587:                              ;   in Loop: Header=BB250_414 Depth=1
	v_bfrev_b32_e32 v48, 1
	s_mov_b32 s17, exec_lo
	v_cmpx_ne_u16_e32 0x80, v1
	s_cbranch_execz .LBB250_593
; %bb.588:                              ;   in Loop: Header=BB250_414 Depth=1
	v_and_b32_sdwa v50, v1, v22 dst_sel:DWORD dst_unused:UNUSED_PAD src0_sel:WORD_0 src1_sel:DWORD
	v_mov_b32_e32 v48, 0x7c010000
	s_mov_b32 s18, exec_lo
	v_cmpx_ne_u32_e32 0x7f, v50
	s_cbranch_execz .LBB250_592
; %bb.589:                              ;   in Loop: Header=BB250_414 Depth=1
	v_and_b32_sdwa v48, v1, v23 dst_sel:DWORD dst_unused:UNUSED_PAD src0_sel:WORD_0 src1_sel:DWORD
	v_lshrrev_b32_e32 v49, 3, v50
	s_mov_b32 s19, exec_lo
	v_cmpx_gt_u32_e32 8, v50
; %bb.590:                              ;   in Loop: Header=BB250_414 Depth=1
	v_ffbh_u32_e32 v48, v48
	v_min_u32_e32 v50, 32, v48
	v_subrev_nc_u32_e32 v48, 28, v50
	v_lshlrev_b64 v[48:49], v48, v[1:2]
	v_sub_nc_u32_e32 v49, 29, v50
	v_and_b32_e32 v48, 7, v48
; %bb.591:                              ;   in Loop: Header=BB250_414 Depth=1
	s_or_b32 exec_lo, exec_lo, s19
	v_lshlrev_b32_sdwa v1, v24, v1 dst_sel:DWORD dst_unused:UNUSED_PAD src0_sel:DWORD src1_sel:WORD_0
	v_lshl_add_u32 v49, v49, 10, 0x2000
	v_lshlrev_b32_e32 v48, 23, v48
	v_and_or_b32 v1, 0x8000, v1, v49
	v_lshl_or_b32 v48, v1, 16, v48
.LBB250_592:                            ;   in Loop: Header=BB250_414 Depth=1
	s_or_b32 exec_lo, exec_lo, s18
.LBB250_593:                            ;   in Loop: Header=BB250_414 Depth=1
	s_or_b32 exec_lo, exec_lo, s17
.LBB250_594:                            ;   in Loop: Header=BB250_414 Depth=1
	s_or_b32 exec_lo, exec_lo, s13
	v_lshrrev_b32_e32 v1, 16, v10
	v_cmp_ne_u16_sdwa s0, v1, v2 src0_sel:BYTE_0 src1_sel:DWORD
	s_and_saveexec_b32 s13, s0
	s_cbranch_execz .LBB250_602
; %bb.595:                              ;   in Loop: Header=BB250_414 Depth=1
	v_cmp_ne_u16_sdwa s0, v1, v21 src0_sel:BYTE_0 src1_sel:DWORD
	v_mov_b32_e32 v46, 0x8000
	s_and_saveexec_b32 s17, s0
	s_cbranch_execz .LBB250_601
; %bb.596:                              ;   in Loop: Header=BB250_414 Depth=1
	v_bfe_u32 v50, v10, 16, 7
	v_mov_b32_e32 v46, 0x7c01
	s_mov_b32 s18, exec_lo
	v_cmpx_ne_u32_e32 0x7f, v50
	s_cbranch_execz .LBB250_600
; %bb.597:                              ;   in Loop: Header=BB250_414 Depth=1
	v_and_b32_e32 v46, 7, v1
	v_lshrrev_b32_e32 v49, 3, v50
	s_mov_b32 s19, exec_lo
	v_cmpx_gt_u32_e32 8, v50
; %bb.598:                              ;   in Loop: Header=BB250_414 Depth=1
	v_ffbh_u32_e32 v46, v46
	v_min_u32_e32 v46, 32, v46
	v_subrev_nc_u32_e32 v49, 28, v46
	v_lshlrev_b64 v[50:51], v49, v[1:2]
	v_sub_nc_u32_e32 v49, 29, v46
	v_and_b32_e32 v46, 7, v50
; %bb.599:                              ;   in Loop: Header=BB250_414 Depth=1
	s_or_b32 exec_lo, exec_lo, s19
	v_lshlrev_b32_e32 v1, 8, v1
	v_lshl_add_u32 v49, v49, 10, 0x2000
	v_lshlrev_b32_e32 v46, 7, v46
	v_and_b32_e32 v1, 0x8000, v1
	v_and_b32_e32 v49, 0xfc00, v49
	v_or3_b32 v46, v1, v49, v46
.LBB250_600:                            ;   in Loop: Header=BB250_414 Depth=1
	s_or_b32 exec_lo, exec_lo, s18
.LBB250_601:                            ;   in Loop: Header=BB250_414 Depth=1
	s_or_b32 exec_lo, exec_lo, s17
.LBB250_602:                            ;   in Loop: Header=BB250_414 Depth=1
	s_or_b32 exec_lo, exec_lo, s13
	v_cmp_lt_u64_e64 s0, s[2:3], v[9:10]
	v_mov_b32_e32 v9, 0
	s_and_saveexec_b32 s13, s0
	s_cbranch_execz .LBB250_610
; %bb.603:                              ;   in Loop: Header=BB250_414 Depth=1
	v_lshrrev_b32_e32 v1, 24, v10
	v_bfrev_b32_e32 v9, 1
	s_mov_b32 s17, exec_lo
	v_cmpx_ne_u32_e32 0x80, v1
	s_cbranch_execz .LBB250_609
; %bb.604:                              ;   in Loop: Header=BB250_414 Depth=1
	v_and_b32_e32 v49, 0x7f, v1
	v_mov_b32_e32 v9, 0x7c010000
	s_mov_b32 s18, exec_lo
	v_cmpx_ne_u32_e32 0x7f, v49
	s_cbranch_execz .LBB250_608
; %bb.605:                              ;   in Loop: Header=BB250_414 Depth=1
	v_and_b32_e32 v9, 7, v1
	v_lshrrev_b32_e32 v10, 3, v49
	s_mov_b32 s19, exec_lo
	v_cmpx_gt_u32_e32 8, v49
; %bb.606:                              ;   in Loop: Header=BB250_414 Depth=1
	v_ffbh_u32_e32 v9, v9
	v_min_u32_e32 v49, 32, v9
	v_subrev_nc_u32_e32 v9, 28, v49
	v_lshlrev_b64 v[9:10], v9, v[1:2]
	v_sub_nc_u32_e32 v10, 29, v49
	v_and_b32_e32 v9, 7, v9
; %bb.607:                              ;   in Loop: Header=BB250_414 Depth=1
	s_or_b32 exec_lo, exec_lo, s19
	v_lshlrev_b32_e32 v1, 8, v1
	v_lshl_add_u32 v10, v10, 10, 0x2000
	v_lshlrev_b32_e32 v9, 23, v9
	v_and_or_b32 v1, 0x8000, v1, v10
	v_lshl_or_b32 v9, v1, 16, v9
.LBB250_608:                            ;   in Loop: Header=BB250_414 Depth=1
	s_or_b32 exec_lo, exec_lo, s18
.LBB250_609:                            ;   in Loop: Header=BB250_414 Depth=1
	s_or_b32 exec_lo, exec_lo, s17
.LBB250_610:                            ;   in Loop: Header=BB250_414 Depth=1
	s_or_b32 exec_lo, exec_lo, s13
	v_or_b32_e32 v1, v44, v45
	s_waitcnt vmcnt(0)
	v_fma_mixlo_f16 v10, v41, v44, 0 op_sel:[0,1,0] op_sel_hi:[0,1,0]
	v_or_b32_e32 v44, v42, v43
	v_fma_mixlo_f16 v42, v41, v42, 0 op_sel:[0,1,0] op_sel_hi:[0,1,0]
	v_or_b32_e32 v45, v48, v47
	v_or_b32_e32 v46, v9, v46
	v_fma_mixlo_f16 v47, v41, v1, 0 op_sel_hi:[0,1,0]
	v_fma_mixlo_f16 v9, v41, v9, 0 op_sel:[0,1,0] op_sel_hi:[0,1,0]
	v_lshlrev_b32_e32 v43, 16, v42
	v_fma_mixlo_f16 v42, v41, v44, 0 op_sel_hi:[0,1,0]
	v_fma_mixlo_f16 v44, v41, v48, 0 op_sel:[0,1,0] op_sel_hi:[0,1,0]
	v_fma_mixlo_f16 v45, v41, v45, 0 op_sel_hi:[0,1,0]
	v_fma_mixlo_f16 v46, v41, v46, 0 op_sel_hi:[0,1,0]
	v_lshlrev_b32_e32 v1, 16, v10
	v_and_b32_e32 v10, 0xffff, v47
	v_and_b32_e32 v49, 0xffff, v42
	v_lshlrev_b32_e32 v41, 16, v44
	v_and_b32_e32 v45, 0xffff, v45
	v_lshlrev_b32_e32 v9, 16, v9
	v_and_b32_e32 v42, 0xffff, v46
	v_or_b32_e32 v44, v1, v10
	v_or_b32_e32 v48, v43, v49
	;; [unrolled: 1-line block ×4, first 2 shown]
	s_and_saveexec_b32 s13, vcc_lo
	s_cbranch_execz .LBB250_612
; %bb.611:                              ;   in Loop: Header=BB250_414 Depth=1
	v_cmp_gt_i32_e64 s0, s11, v26
	v_cndmask_b32_e64 v44, 0, v49, s0
	v_cmp_gt_i32_e64 s0, s11, v32
	v_cndmask_b32_e64 v43, 0, v43, s0
	v_cmp_gt_i32_e64 s0, s11, v31
	v_or_b32_e32 v48, v43, v44
	v_cndmask_b32_e64 v10, 0, v10, s0
	v_cmp_gt_i32_e64 s0, s11, v30
	v_cndmask_b32_e64 v1, 0, v1, s0
	v_cmp_gt_i32_e64 s0, s11, v29
	v_or_b32_e32 v44, v1, v10
	v_cndmask_b32_e64 v45, 0, v45, s0
	v_cmp_gt_i32_e64 s0, s11, v28
	v_cndmask_b32_e64 v41, 0, v41, s0
	v_cmp_gt_i32_e64 s0, s11, v27
	v_or_b32_e32 v47, v41, v45
	v_cndmask_b32_e64 v42, 0, v42, s0
	v_cmp_gt_i32_e64 s0, s11, v19
	v_cndmask_b32_e64 v9, 0, v9, s0
	v_or_b32_e32 v46, v9, v42
.LBB250_612:                            ;   in Loop: Header=BB250_414 Depth=1
	s_or_b32 exec_lo, exec_lo, s13
	;;#ASMSTART
	v_pk_mul_f16 v1, v38, v48;

	;;#ASMEND
	;;#ASMSTART
	v_pk_mul_f16 v9, v36, v44;

	;;#ASMEND
	;; [unrolled: 4-line block ×4, first 2 shown]
	;;#ASMSTART
	v_pk_add_f16 v1, v1, v9;

	;;#ASMEND
	;;#ASMSTART
	v_pk_add_f16 v1, v1, v10;

	;;#ASMEND
	;; [unrolled: 4-line block ×3, first 2 shown]
	v_and_b32_e32 v9, 0xffff, v1
	v_lshrrev_b32_e32 v1, 16, v1
	;;#ASMSTART
	v_cvt_f32_f16 v41, v9;
	;;#ASMEND
	;;#ASMSTART
	v_cvt_f32_f16 v42, v1;
	;;#ASMEND
	global_load_dwordx2 v[9:10], v[7:8], off offset:768
	v_mov_b32_e32 v44, 0
	v_mov_b32_e32 v45, 0
	global_load_dword v43, v44, s[14:15]
	s_waitcnt vmcnt(1)
	v_cmp_ne_u16_sdwa s0, v9, v2 src0_sel:BYTE_0 src1_sel:DWORD
	s_and_saveexec_b32 s13, s0
	s_cbranch_execz .LBB250_620
; %bb.613:                              ;   in Loop: Header=BB250_414 Depth=1
	v_cmp_ne_u16_sdwa s0, v9, v21 src0_sel:BYTE_0 src1_sel:DWORD
	v_mov_b32_e32 v45, 0x8000
	s_and_saveexec_b32 s17, s0
	s_cbranch_execz .LBB250_619
; %bb.614:                              ;   in Loop: Header=BB250_414 Depth=1
	v_and_b32_e32 v46, 0x7f, v9
	v_mov_b32_e32 v45, 0x7c01
	s_mov_b32 s18, exec_lo
	v_cmpx_ne_u32_e32 0x7f, v46
	s_cbranch_execz .LBB250_618
; %bb.615:                              ;   in Loop: Header=BB250_414 Depth=1
	v_and_b32_e32 v1, 7, v9
	v_lshrrev_b32_e32 v45, 3, v46
	s_mov_b32 s19, exec_lo
	v_cmpx_gt_u32_e32 8, v46
; %bb.616:                              ;   in Loop: Header=BB250_414 Depth=1
	v_ffbh_u32_e32 v1, v1
	v_min_u32_e32 v1, 32, v1
	v_subrev_nc_u32_e32 v45, 28, v1
	v_lshlrev_b64 v[46:47], v45, v[9:10]
	v_sub_nc_u32_e32 v45, 29, v1
	v_and_b32_e32 v1, 7, v46
; %bb.617:                              ;   in Loop: Header=BB250_414 Depth=1
	s_or_b32 exec_lo, exec_lo, s19
	v_lshlrev_b32_e32 v46, 8, v9
	v_lshl_add_u32 v45, v45, 10, 0x2000
	v_lshlrev_b32_e32 v1, 7, v1
	v_and_b32_e32 v46, 0x8000, v46
	v_and_b32_e32 v45, 0xfc00, v45
	v_or3_b32 v45, v46, v45, v1
.LBB250_618:                            ;   in Loop: Header=BB250_414 Depth=1
	s_or_b32 exec_lo, exec_lo, s18
.LBB250_619:                            ;   in Loop: Header=BB250_414 Depth=1
	s_or_b32 exec_lo, exec_lo, s17
.LBB250_620:                            ;   in Loop: Header=BB250_414 Depth=1
	s_or_b32 exec_lo, exec_lo, s13
	v_lshrrev_b16 v1, 8, v9
	s_mov_b32 s13, exec_lo
	v_cmpx_ne_u16_e32 0, v1
	s_cbranch_execz .LBB250_628
; %bb.621:                              ;   in Loop: Header=BB250_414 Depth=1
	v_bfrev_b32_e32 v44, 1
	s_mov_b32 s17, exec_lo
	v_cmpx_ne_u16_e32 0x80, v1
	s_cbranch_execz .LBB250_627
; %bb.622:                              ;   in Loop: Header=BB250_414 Depth=1
	v_and_b32_sdwa v47, v1, v22 dst_sel:DWORD dst_unused:UNUSED_PAD src0_sel:WORD_0 src1_sel:DWORD
	v_mov_b32_e32 v44, 0x7c010000
	s_mov_b32 s18, exec_lo
	v_cmpx_ne_u32_e32 0x7f, v47
	s_cbranch_execz .LBB250_626
; %bb.623:                              ;   in Loop: Header=BB250_414 Depth=1
	v_and_b32_sdwa v44, v1, v23 dst_sel:DWORD dst_unused:UNUSED_PAD src0_sel:WORD_0 src1_sel:DWORD
	v_lshrrev_b32_e32 v46, 3, v47
	s_mov_b32 s19, exec_lo
	v_cmpx_gt_u32_e32 8, v47
; %bb.624:                              ;   in Loop: Header=BB250_414 Depth=1
	v_ffbh_u32_e32 v44, v44
	v_min_u32_e32 v44, 32, v44
	v_subrev_nc_u32_e32 v46, 28, v44
	v_lshlrev_b64 v[47:48], v46, v[1:2]
	v_sub_nc_u32_e32 v46, 29, v44
	v_and_b32_e32 v44, 7, v47
; %bb.625:                              ;   in Loop: Header=BB250_414 Depth=1
	s_or_b32 exec_lo, exec_lo, s19
	v_lshlrev_b32_sdwa v1, v24, v1 dst_sel:DWORD dst_unused:UNUSED_PAD src0_sel:DWORD src1_sel:WORD_0
	v_lshl_add_u32 v46, v46, 10, 0x2000
	v_lshlrev_b32_e32 v44, 23, v44
	v_and_or_b32 v1, 0x8000, v1, v46
	v_lshl_or_b32 v44, v1, 16, v44
.LBB250_626:                            ;   in Loop: Header=BB250_414 Depth=1
	s_or_b32 exec_lo, exec_lo, s18
.LBB250_627:                            ;   in Loop: Header=BB250_414 Depth=1
	s_or_b32 exec_lo, exec_lo, s17
.LBB250_628:                            ;   in Loop: Header=BB250_414 Depth=1
	s_or_b32 exec_lo, exec_lo, s13
	v_lshrrev_b32_e32 v1, 16, v9
	v_mov_b32_e32 v46, 0
	v_mov_b32_e32 v47, 0
	v_cmp_ne_u16_sdwa s0, v1, v2 src0_sel:BYTE_0 src1_sel:DWORD
	s_and_saveexec_b32 s13, s0
	s_cbranch_execz .LBB250_636
; %bb.629:                              ;   in Loop: Header=BB250_414 Depth=1
	v_cmp_ne_u16_sdwa s0, v1, v21 src0_sel:BYTE_0 src1_sel:DWORD
	v_mov_b32_e32 v47, 0x8000
	s_and_saveexec_b32 s17, s0
	s_cbranch_execz .LBB250_635
; %bb.630:                              ;   in Loop: Header=BB250_414 Depth=1
	v_bfe_u32 v49, v9, 16, 7
	v_mov_b32_e32 v47, 0x7c01
	s_mov_b32 s18, exec_lo
	v_cmpx_ne_u32_e32 0x7f, v49
	s_cbranch_execz .LBB250_634
; %bb.631:                              ;   in Loop: Header=BB250_414 Depth=1
	v_and_b32_e32 v47, 7, v1
	v_lshrrev_b32_e32 v48, 3, v49
	s_mov_b32 s19, exec_lo
	v_cmpx_gt_u32_e32 8, v49
; %bb.632:                              ;   in Loop: Header=BB250_414 Depth=1
	v_ffbh_u32_e32 v47, v47
	v_min_u32_e32 v49, 32, v47
	v_subrev_nc_u32_e32 v47, 28, v49
	v_lshlrev_b64 v[47:48], v47, v[1:2]
	v_sub_nc_u32_e32 v48, 29, v49
	v_and_b32_e32 v47, 7, v47
; %bb.633:                              ;   in Loop: Header=BB250_414 Depth=1
	s_or_b32 exec_lo, exec_lo, s19
	v_lshlrev_b32_e32 v1, 8, v1
	v_lshl_add_u32 v48, v48, 10, 0x2000
	v_lshlrev_b32_e32 v47, 7, v47
	v_and_b32_e32 v1, 0x8000, v1
	v_and_b32_e32 v48, 0xfc00, v48
	v_or3_b32 v47, v1, v48, v47
.LBB250_634:                            ;   in Loop: Header=BB250_414 Depth=1
	s_or_b32 exec_lo, exec_lo, s18
.LBB250_635:                            ;   in Loop: Header=BB250_414 Depth=1
	s_or_b32 exec_lo, exec_lo, s17
.LBB250_636:                            ;   in Loop: Header=BB250_414 Depth=1
	s_or_b32 exec_lo, exec_lo, s13
	s_mov_b32 s13, exec_lo
	v_cmpx_lt_u32_e32 0xffffff, v9
	s_cbranch_execz .LBB250_644
; %bb.637:                              ;   in Loop: Header=BB250_414 Depth=1
	v_lshrrev_b32_e32 v1, 24, v9
	v_bfrev_b32_e32 v46, 1
	s_mov_b32 s17, exec_lo
	v_cmpx_ne_u32_e32 0x80, v1
	s_cbranch_execz .LBB250_643
; %bb.638:                              ;   in Loop: Header=BB250_414 Depth=1
	v_and_b32_e32 v49, 0x7f, v1
	v_mov_b32_e32 v46, 0x7c010000
	s_mov_b32 s18, exec_lo
	v_cmpx_ne_u32_e32 0x7f, v49
	s_cbranch_execz .LBB250_642
; %bb.639:                              ;   in Loop: Header=BB250_414 Depth=1
	v_and_b32_e32 v46, 7, v1
	v_lshrrev_b32_e32 v48, 3, v49
	s_mov_b32 s19, exec_lo
	v_cmpx_gt_u32_e32 8, v49
; %bb.640:                              ;   in Loop: Header=BB250_414 Depth=1
	v_ffbh_u32_e32 v46, v46
	v_min_u32_e32 v46, 32, v46
	v_subrev_nc_u32_e32 v48, 28, v46
	v_lshlrev_b64 v[49:50], v48, v[1:2]
	v_sub_nc_u32_e32 v48, 29, v46
	v_and_b32_e32 v46, 7, v49
; %bb.641:                              ;   in Loop: Header=BB250_414 Depth=1
	s_or_b32 exec_lo, exec_lo, s19
	v_lshlrev_b32_e32 v1, 8, v1
	v_lshl_add_u32 v48, v48, 10, 0x2000
	v_lshlrev_b32_e32 v46, 23, v46
	v_and_or_b32 v1, 0x8000, v1, v48
	v_lshl_or_b32 v46, v1, 16, v46
.LBB250_642:                            ;   in Loop: Header=BB250_414 Depth=1
	s_or_b32 exec_lo, exec_lo, s18
.LBB250_643:                            ;   in Loop: Header=BB250_414 Depth=1
	s_or_b32 exec_lo, exec_lo, s17
.LBB250_644:                            ;   in Loop: Header=BB250_414 Depth=1
	s_or_b32 exec_lo, exec_lo, s13
	v_mov_b32_e32 v1, v10
	v_cmp_ne_u16_sdwa s0, v10, v2 src0_sel:BYTE_0 src1_sel:DWORD
	v_mov_b32_e32 v48, 0
	v_mov_b32_e32 v49, 0
	s_and_saveexec_b32 s13, s0
	s_cbranch_execz .LBB250_652
; %bb.645:                              ;   in Loop: Header=BB250_414 Depth=1
	v_cmp_ne_u16_sdwa s0, v10, v21 src0_sel:BYTE_0 src1_sel:DWORD
	v_mov_b32_e32 v49, 0x8000
	s_and_saveexec_b32 s17, s0
	s_cbranch_execz .LBB250_651
; %bb.646:                              ;   in Loop: Header=BB250_414 Depth=1
	v_and_b32_e32 v51, 0x7f, v10
	v_mov_b32_e32 v49, 0x7c01
	s_mov_b32 s18, exec_lo
	v_cmpx_ne_u32_e32 0x7f, v51
	s_cbranch_execz .LBB250_650
; %bb.647:                              ;   in Loop: Header=BB250_414 Depth=1
	v_and_b32_e32 v49, 7, v10
	v_lshrrev_b32_e32 v50, 3, v51
	s_mov_b32 s19, exec_lo
	v_cmpx_gt_u32_e32 8, v51
; %bb.648:                              ;   in Loop: Header=BB250_414 Depth=1
	v_ffbh_u32_e32 v49, v49
	v_min_u32_e32 v51, 32, v49
	v_subrev_nc_u32_e32 v49, 28, v51
	v_lshlrev_b64 v[49:50], v49, v[1:2]
	v_sub_nc_u32_e32 v50, 29, v51
	v_and_b32_e32 v49, 7, v49
; %bb.649:                              ;   in Loop: Header=BB250_414 Depth=1
	s_or_b32 exec_lo, exec_lo, s19
	v_lshlrev_b32_e32 v51, 8, v10
	v_lshl_add_u32 v50, v50, 10, 0x2000
	v_lshlrev_b32_e32 v49, 7, v49
	v_and_b32_e32 v51, 0x8000, v51
	v_and_b32_e32 v50, 0xfc00, v50
	v_or3_b32 v49, v51, v50, v49
.LBB250_650:                            ;   in Loop: Header=BB250_414 Depth=1
	s_or_b32 exec_lo, exec_lo, s18
.LBB250_651:                            ;   in Loop: Header=BB250_414 Depth=1
	s_or_b32 exec_lo, exec_lo, s17
.LBB250_652:                            ;   in Loop: Header=BB250_414 Depth=1
	s_or_b32 exec_lo, exec_lo, s13
	v_lshrrev_b16 v1, 8, v1
	v_mov_b32_e32 v50, 0
	s_mov_b32 s13, exec_lo
	v_cmpx_ne_u16_e32 0, v1
	s_cbranch_execz .LBB250_660
; %bb.653:                              ;   in Loop: Header=BB250_414 Depth=1
	v_bfrev_b32_e32 v50, 1
	s_mov_b32 s17, exec_lo
	v_cmpx_ne_u16_e32 0x80, v1
	s_cbranch_execz .LBB250_659
; %bb.654:                              ;   in Loop: Header=BB250_414 Depth=1
	v_and_b32_sdwa v52, v1, v22 dst_sel:DWORD dst_unused:UNUSED_PAD src0_sel:WORD_0 src1_sel:DWORD
	v_mov_b32_e32 v50, 0x7c010000
	s_mov_b32 s18, exec_lo
	v_cmpx_ne_u32_e32 0x7f, v52
	s_cbranch_execz .LBB250_658
; %bb.655:                              ;   in Loop: Header=BB250_414 Depth=1
	v_and_b32_sdwa v50, v1, v23 dst_sel:DWORD dst_unused:UNUSED_PAD src0_sel:WORD_0 src1_sel:DWORD
	v_lshrrev_b32_e32 v51, 3, v52
	s_mov_b32 s19, exec_lo
	v_cmpx_gt_u32_e32 8, v52
; %bb.656:                              ;   in Loop: Header=BB250_414 Depth=1
	v_ffbh_u32_e32 v50, v50
	v_min_u32_e32 v52, 32, v50
	v_subrev_nc_u32_e32 v50, 28, v52
	v_lshlrev_b64 v[50:51], v50, v[1:2]
	v_sub_nc_u32_e32 v51, 29, v52
	v_and_b32_e32 v50, 7, v50
; %bb.657:                              ;   in Loop: Header=BB250_414 Depth=1
	s_or_b32 exec_lo, exec_lo, s19
	v_lshlrev_b32_sdwa v1, v24, v1 dst_sel:DWORD dst_unused:UNUSED_PAD src0_sel:DWORD src1_sel:WORD_0
	v_lshl_add_u32 v51, v51, 10, 0x2000
	v_lshlrev_b32_e32 v50, 23, v50
	v_and_or_b32 v1, 0x8000, v1, v51
	v_lshl_or_b32 v50, v1, 16, v50
.LBB250_658:                            ;   in Loop: Header=BB250_414 Depth=1
	s_or_b32 exec_lo, exec_lo, s18
.LBB250_659:                            ;   in Loop: Header=BB250_414 Depth=1
	s_or_b32 exec_lo, exec_lo, s17
.LBB250_660:                            ;   in Loop: Header=BB250_414 Depth=1
	s_or_b32 exec_lo, exec_lo, s13
	v_lshrrev_b32_e32 v1, 16, v10
	v_cmp_ne_u16_sdwa s0, v1, v2 src0_sel:BYTE_0 src1_sel:DWORD
	s_and_saveexec_b32 s13, s0
	s_cbranch_execz .LBB250_668
; %bb.661:                              ;   in Loop: Header=BB250_414 Depth=1
	v_cmp_ne_u16_sdwa s0, v1, v21 src0_sel:BYTE_0 src1_sel:DWORD
	v_mov_b32_e32 v48, 0x8000
	s_and_saveexec_b32 s17, s0
	s_cbranch_execz .LBB250_667
; %bb.662:                              ;   in Loop: Header=BB250_414 Depth=1
	v_bfe_u32 v52, v10, 16, 7
	v_mov_b32_e32 v48, 0x7c01
	s_mov_b32 s18, exec_lo
	v_cmpx_ne_u32_e32 0x7f, v52
	s_cbranch_execz .LBB250_666
; %bb.663:                              ;   in Loop: Header=BB250_414 Depth=1
	v_and_b32_e32 v48, 7, v1
	v_lshrrev_b32_e32 v51, 3, v52
	s_mov_b32 s19, exec_lo
	v_cmpx_gt_u32_e32 8, v52
; %bb.664:                              ;   in Loop: Header=BB250_414 Depth=1
	v_ffbh_u32_e32 v48, v48
	v_min_u32_e32 v48, 32, v48
	v_subrev_nc_u32_e32 v51, 28, v48
	v_lshlrev_b64 v[52:53], v51, v[1:2]
	v_sub_nc_u32_e32 v51, 29, v48
	v_and_b32_e32 v48, 7, v52
; %bb.665:                              ;   in Loop: Header=BB250_414 Depth=1
	s_or_b32 exec_lo, exec_lo, s19
	v_lshlrev_b32_e32 v1, 8, v1
	v_lshl_add_u32 v51, v51, 10, 0x2000
	v_lshlrev_b32_e32 v48, 7, v48
	v_and_b32_e32 v1, 0x8000, v1
	v_and_b32_e32 v51, 0xfc00, v51
	v_or3_b32 v48, v1, v51, v48
.LBB250_666:                            ;   in Loop: Header=BB250_414 Depth=1
	s_or_b32 exec_lo, exec_lo, s18
.LBB250_667:                            ;   in Loop: Header=BB250_414 Depth=1
	s_or_b32 exec_lo, exec_lo, s17
.LBB250_668:                            ;   in Loop: Header=BB250_414 Depth=1
	s_or_b32 exec_lo, exec_lo, s13
	v_cmp_lt_u64_e64 s0, s[2:3], v[9:10]
	v_mov_b32_e32 v9, 0
	s_and_saveexec_b32 s13, s0
	s_cbranch_execz .LBB250_676
; %bb.669:                              ;   in Loop: Header=BB250_414 Depth=1
	v_lshrrev_b32_e32 v1, 24, v10
	v_bfrev_b32_e32 v9, 1
	s_mov_b32 s17, exec_lo
	v_cmpx_ne_u32_e32 0x80, v1
	s_cbranch_execz .LBB250_675
; %bb.670:                              ;   in Loop: Header=BB250_414 Depth=1
	v_and_b32_e32 v51, 0x7f, v1
	v_mov_b32_e32 v9, 0x7c010000
	s_mov_b32 s18, exec_lo
	v_cmpx_ne_u32_e32 0x7f, v51
	s_cbranch_execz .LBB250_674
; %bb.671:                              ;   in Loop: Header=BB250_414 Depth=1
	v_and_b32_e32 v9, 7, v1
	v_lshrrev_b32_e32 v10, 3, v51
	s_mov_b32 s19, exec_lo
	v_cmpx_gt_u32_e32 8, v51
; %bb.672:                              ;   in Loop: Header=BB250_414 Depth=1
	v_ffbh_u32_e32 v9, v9
	v_min_u32_e32 v51, 32, v9
	v_subrev_nc_u32_e32 v9, 28, v51
	v_lshlrev_b64 v[9:10], v9, v[1:2]
	v_sub_nc_u32_e32 v10, 29, v51
	v_and_b32_e32 v9, 7, v9
; %bb.673:                              ;   in Loop: Header=BB250_414 Depth=1
	s_or_b32 exec_lo, exec_lo, s19
	v_lshlrev_b32_e32 v1, 8, v1
	v_lshl_add_u32 v10, v10, 10, 0x2000
	v_lshlrev_b32_e32 v9, 23, v9
	v_and_or_b32 v1, 0x8000, v1, v10
	v_lshl_or_b32 v9, v1, 16, v9
.LBB250_674:                            ;   in Loop: Header=BB250_414 Depth=1
	s_or_b32 exec_lo, exec_lo, s18
.LBB250_675:                            ;   in Loop: Header=BB250_414 Depth=1
	s_or_b32 exec_lo, exec_lo, s17
.LBB250_676:                            ;   in Loop: Header=BB250_414 Depth=1
	s_or_b32 exec_lo, exec_lo, s13
	v_or_b32_e32 v1, v46, v47
	s_waitcnt vmcnt(0)
	v_fma_mixlo_f16 v10, v43, v46, 0 op_sel:[0,1,0] op_sel_hi:[0,1,0]
	v_or_b32_e32 v46, v44, v45
	v_fma_mixlo_f16 v44, v43, v44, 0 op_sel:[0,1,0] op_sel_hi:[0,1,0]
	v_or_b32_e32 v47, v50, v49
	v_or_b32_e32 v48, v9, v48
	v_fma_mixlo_f16 v49, v43, v1, 0 op_sel_hi:[0,1,0]
	v_fma_mixlo_f16 v9, v43, v9, 0 op_sel:[0,1,0] op_sel_hi:[0,1,0]
	v_lshlrev_b32_e32 v45, 16, v44
	v_fma_mixlo_f16 v44, v43, v46, 0 op_sel_hi:[0,1,0]
	v_fma_mixlo_f16 v46, v43, v50, 0 op_sel:[0,1,0] op_sel_hi:[0,1,0]
	v_fma_mixlo_f16 v47, v43, v47, 0 op_sel_hi:[0,1,0]
	v_fma_mixlo_f16 v48, v43, v48, 0 op_sel_hi:[0,1,0]
	v_lshlrev_b32_e32 v1, 16, v10
	v_and_b32_e32 v10, 0xffff, v49
	v_and_b32_e32 v51, 0xffff, v44
	v_lshlrev_b32_e32 v43, 16, v46
	v_and_b32_e32 v47, 0xffff, v47
	v_lshlrev_b32_e32 v9, 16, v9
	v_and_b32_e32 v44, 0xffff, v48
	v_or_b32_e32 v46, v1, v10
	v_or_b32_e32 v50, v45, v51
	;; [unrolled: 1-line block ×4, first 2 shown]
	s_and_saveexec_b32 s13, vcc_lo
	s_cbranch_execz .LBB250_678
; %bb.677:                              ;   in Loop: Header=BB250_414 Depth=1
	v_cmp_gt_i32_e64 s0, s11, v26
	v_cndmask_b32_e64 v46, 0, v51, s0
	v_cmp_gt_i32_e64 s0, s11, v32
	v_cndmask_b32_e64 v45, 0, v45, s0
	v_cmp_gt_i32_e64 s0, s11, v31
	v_or_b32_e32 v50, v45, v46
	v_cndmask_b32_e64 v10, 0, v10, s0
	v_cmp_gt_i32_e64 s0, s11, v30
	v_cndmask_b32_e64 v1, 0, v1, s0
	v_cmp_gt_i32_e64 s0, s11, v29
	v_or_b32_e32 v46, v1, v10
	;; [unrolled: 5-line block ×3, first 2 shown]
	v_cndmask_b32_e64 v44, 0, v44, s0
	v_cmp_gt_i32_e64 s0, s11, v19
	v_cndmask_b32_e64 v9, 0, v9, s0
	v_or_b32_e32 v48, v9, v44
.LBB250_678:                            ;   in Loop: Header=BB250_414 Depth=1
	s_or_b32 exec_lo, exec_lo, s13
	;;#ASMSTART
	v_pk_mul_f16 v1, v38, v50;

	;;#ASMEND
	;;#ASMSTART
	v_pk_mul_f16 v9, v36, v46;

	;;#ASMEND
	;; [unrolled: 4-line block ×4, first 2 shown]
	;;#ASMSTART
	v_pk_add_f16 v1, v1, v9;

	;;#ASMEND
	;;#ASMSTART
	v_pk_add_f16 v1, v1, v10;

	;;#ASMEND
	;; [unrolled: 4-line block ×3, first 2 shown]
	v_and_b32_e32 v9, 0xffff, v1
	v_lshrrev_b32_e32 v1, 16, v1
	;;#ASMSTART
	v_cvt_f32_f16 v43, v9;
	;;#ASMEND
	;;#ASMSTART
	v_cvt_f32_f16 v44, v1;
	;;#ASMEND
	global_load_dwordx2 v[9:10], v[7:8], off offset:1024
	v_mov_b32_e32 v46, 0
	v_mov_b32_e32 v47, 0
	global_load_dword v45, v46, s[14:15]
	s_waitcnt vmcnt(1)
	v_cmp_ne_u16_sdwa s0, v9, v2 src0_sel:BYTE_0 src1_sel:DWORD
	s_and_saveexec_b32 s13, s0
	s_cbranch_execz .LBB250_686
; %bb.679:                              ;   in Loop: Header=BB250_414 Depth=1
	v_cmp_ne_u16_sdwa s0, v9, v21 src0_sel:BYTE_0 src1_sel:DWORD
	v_mov_b32_e32 v47, 0x8000
	s_and_saveexec_b32 s17, s0
	s_cbranch_execz .LBB250_685
; %bb.680:                              ;   in Loop: Header=BB250_414 Depth=1
	v_and_b32_e32 v48, 0x7f, v9
	v_mov_b32_e32 v47, 0x7c01
	s_mov_b32 s18, exec_lo
	v_cmpx_ne_u32_e32 0x7f, v48
	s_cbranch_execz .LBB250_684
; %bb.681:                              ;   in Loop: Header=BB250_414 Depth=1
	v_and_b32_e32 v1, 7, v9
	v_lshrrev_b32_e32 v47, 3, v48
	s_mov_b32 s19, exec_lo
	v_cmpx_gt_u32_e32 8, v48
; %bb.682:                              ;   in Loop: Header=BB250_414 Depth=1
	v_ffbh_u32_e32 v1, v1
	v_min_u32_e32 v1, 32, v1
	v_subrev_nc_u32_e32 v47, 28, v1
	v_lshlrev_b64 v[48:49], v47, v[9:10]
	v_sub_nc_u32_e32 v47, 29, v1
	v_and_b32_e32 v1, 7, v48
; %bb.683:                              ;   in Loop: Header=BB250_414 Depth=1
	s_or_b32 exec_lo, exec_lo, s19
	v_lshlrev_b32_e32 v48, 8, v9
	v_lshl_add_u32 v47, v47, 10, 0x2000
	v_lshlrev_b32_e32 v1, 7, v1
	v_and_b32_e32 v48, 0x8000, v48
	v_and_b32_e32 v47, 0xfc00, v47
	v_or3_b32 v47, v48, v47, v1
.LBB250_684:                            ;   in Loop: Header=BB250_414 Depth=1
	s_or_b32 exec_lo, exec_lo, s18
.LBB250_685:                            ;   in Loop: Header=BB250_414 Depth=1
	s_or_b32 exec_lo, exec_lo, s17
.LBB250_686:                            ;   in Loop: Header=BB250_414 Depth=1
	s_or_b32 exec_lo, exec_lo, s13
	v_lshrrev_b16 v1, 8, v9
	s_mov_b32 s13, exec_lo
	v_cmpx_ne_u16_e32 0, v1
	s_cbranch_execz .LBB250_694
; %bb.687:                              ;   in Loop: Header=BB250_414 Depth=1
	v_bfrev_b32_e32 v46, 1
	s_mov_b32 s17, exec_lo
	v_cmpx_ne_u16_e32 0x80, v1
	s_cbranch_execz .LBB250_693
; %bb.688:                              ;   in Loop: Header=BB250_414 Depth=1
	v_and_b32_sdwa v49, v1, v22 dst_sel:DWORD dst_unused:UNUSED_PAD src0_sel:WORD_0 src1_sel:DWORD
	v_mov_b32_e32 v46, 0x7c010000
	s_mov_b32 s18, exec_lo
	v_cmpx_ne_u32_e32 0x7f, v49
	s_cbranch_execz .LBB250_692
; %bb.689:                              ;   in Loop: Header=BB250_414 Depth=1
	v_and_b32_sdwa v46, v1, v23 dst_sel:DWORD dst_unused:UNUSED_PAD src0_sel:WORD_0 src1_sel:DWORD
	v_lshrrev_b32_e32 v48, 3, v49
	s_mov_b32 s19, exec_lo
	v_cmpx_gt_u32_e32 8, v49
; %bb.690:                              ;   in Loop: Header=BB250_414 Depth=1
	v_ffbh_u32_e32 v46, v46
	v_min_u32_e32 v46, 32, v46
	v_subrev_nc_u32_e32 v48, 28, v46
	v_lshlrev_b64 v[49:50], v48, v[1:2]
	v_sub_nc_u32_e32 v48, 29, v46
	v_and_b32_e32 v46, 7, v49
; %bb.691:                              ;   in Loop: Header=BB250_414 Depth=1
	s_or_b32 exec_lo, exec_lo, s19
	v_lshlrev_b32_sdwa v1, v24, v1 dst_sel:DWORD dst_unused:UNUSED_PAD src0_sel:DWORD src1_sel:WORD_0
	v_lshl_add_u32 v48, v48, 10, 0x2000
	v_lshlrev_b32_e32 v46, 23, v46
	v_and_or_b32 v1, 0x8000, v1, v48
	v_lshl_or_b32 v46, v1, 16, v46
.LBB250_692:                            ;   in Loop: Header=BB250_414 Depth=1
	s_or_b32 exec_lo, exec_lo, s18
.LBB250_693:                            ;   in Loop: Header=BB250_414 Depth=1
	s_or_b32 exec_lo, exec_lo, s17
.LBB250_694:                            ;   in Loop: Header=BB250_414 Depth=1
	s_or_b32 exec_lo, exec_lo, s13
	v_lshrrev_b32_e32 v1, 16, v9
	v_mov_b32_e32 v48, 0
	v_mov_b32_e32 v49, 0
	v_cmp_ne_u16_sdwa s0, v1, v2 src0_sel:BYTE_0 src1_sel:DWORD
	s_and_saveexec_b32 s13, s0
	s_cbranch_execz .LBB250_702
; %bb.695:                              ;   in Loop: Header=BB250_414 Depth=1
	v_cmp_ne_u16_sdwa s0, v1, v21 src0_sel:BYTE_0 src1_sel:DWORD
	v_mov_b32_e32 v49, 0x8000
	s_and_saveexec_b32 s17, s0
	s_cbranch_execz .LBB250_701
; %bb.696:                              ;   in Loop: Header=BB250_414 Depth=1
	v_bfe_u32 v51, v9, 16, 7
	v_mov_b32_e32 v49, 0x7c01
	s_mov_b32 s18, exec_lo
	v_cmpx_ne_u32_e32 0x7f, v51
	s_cbranch_execz .LBB250_700
; %bb.697:                              ;   in Loop: Header=BB250_414 Depth=1
	v_and_b32_e32 v49, 7, v1
	v_lshrrev_b32_e32 v50, 3, v51
	s_mov_b32 s19, exec_lo
	v_cmpx_gt_u32_e32 8, v51
; %bb.698:                              ;   in Loop: Header=BB250_414 Depth=1
	v_ffbh_u32_e32 v49, v49
	v_min_u32_e32 v51, 32, v49
	v_subrev_nc_u32_e32 v49, 28, v51
	v_lshlrev_b64 v[49:50], v49, v[1:2]
	v_sub_nc_u32_e32 v50, 29, v51
	v_and_b32_e32 v49, 7, v49
; %bb.699:                              ;   in Loop: Header=BB250_414 Depth=1
	s_or_b32 exec_lo, exec_lo, s19
	v_lshlrev_b32_e32 v1, 8, v1
	v_lshl_add_u32 v50, v50, 10, 0x2000
	v_lshlrev_b32_e32 v49, 7, v49
	v_and_b32_e32 v1, 0x8000, v1
	v_and_b32_e32 v50, 0xfc00, v50
	v_or3_b32 v49, v1, v50, v49
.LBB250_700:                            ;   in Loop: Header=BB250_414 Depth=1
	s_or_b32 exec_lo, exec_lo, s18
.LBB250_701:                            ;   in Loop: Header=BB250_414 Depth=1
	s_or_b32 exec_lo, exec_lo, s17
.LBB250_702:                            ;   in Loop: Header=BB250_414 Depth=1
	s_or_b32 exec_lo, exec_lo, s13
	s_mov_b32 s13, exec_lo
	v_cmpx_lt_u32_e32 0xffffff, v9
	s_cbranch_execz .LBB250_710
; %bb.703:                              ;   in Loop: Header=BB250_414 Depth=1
	v_lshrrev_b32_e32 v1, 24, v9
	v_bfrev_b32_e32 v48, 1
	s_mov_b32 s17, exec_lo
	v_cmpx_ne_u32_e32 0x80, v1
	s_cbranch_execz .LBB250_709
; %bb.704:                              ;   in Loop: Header=BB250_414 Depth=1
	v_and_b32_e32 v51, 0x7f, v1
	v_mov_b32_e32 v48, 0x7c010000
	s_mov_b32 s18, exec_lo
	v_cmpx_ne_u32_e32 0x7f, v51
	s_cbranch_execz .LBB250_708
; %bb.705:                              ;   in Loop: Header=BB250_414 Depth=1
	v_and_b32_e32 v48, 7, v1
	v_lshrrev_b32_e32 v50, 3, v51
	s_mov_b32 s19, exec_lo
	v_cmpx_gt_u32_e32 8, v51
; %bb.706:                              ;   in Loop: Header=BB250_414 Depth=1
	v_ffbh_u32_e32 v48, v48
	v_min_u32_e32 v48, 32, v48
	v_subrev_nc_u32_e32 v50, 28, v48
	v_lshlrev_b64 v[51:52], v50, v[1:2]
	v_sub_nc_u32_e32 v50, 29, v48
	v_and_b32_e32 v48, 7, v51
; %bb.707:                              ;   in Loop: Header=BB250_414 Depth=1
	s_or_b32 exec_lo, exec_lo, s19
	v_lshlrev_b32_e32 v1, 8, v1
	v_lshl_add_u32 v50, v50, 10, 0x2000
	v_lshlrev_b32_e32 v48, 23, v48
	v_and_or_b32 v1, 0x8000, v1, v50
	v_lshl_or_b32 v48, v1, 16, v48
.LBB250_708:                            ;   in Loop: Header=BB250_414 Depth=1
	s_or_b32 exec_lo, exec_lo, s18
.LBB250_709:                            ;   in Loop: Header=BB250_414 Depth=1
	s_or_b32 exec_lo, exec_lo, s17
.LBB250_710:                            ;   in Loop: Header=BB250_414 Depth=1
	s_or_b32 exec_lo, exec_lo, s13
	v_mov_b32_e32 v1, v10
	v_cmp_ne_u16_sdwa s0, v10, v2 src0_sel:BYTE_0 src1_sel:DWORD
	v_mov_b32_e32 v50, 0
	v_mov_b32_e32 v51, 0
	s_and_saveexec_b32 s13, s0
	s_cbranch_execz .LBB250_718
; %bb.711:                              ;   in Loop: Header=BB250_414 Depth=1
	v_cmp_ne_u16_sdwa s0, v10, v21 src0_sel:BYTE_0 src1_sel:DWORD
	v_mov_b32_e32 v51, 0x8000
	s_and_saveexec_b32 s17, s0
	s_cbranch_execz .LBB250_717
; %bb.712:                              ;   in Loop: Header=BB250_414 Depth=1
	v_and_b32_e32 v53, 0x7f, v10
	v_mov_b32_e32 v51, 0x7c01
	s_mov_b32 s18, exec_lo
	v_cmpx_ne_u32_e32 0x7f, v53
	s_cbranch_execz .LBB250_716
; %bb.713:                              ;   in Loop: Header=BB250_414 Depth=1
	v_and_b32_e32 v51, 7, v10
	v_lshrrev_b32_e32 v52, 3, v53
	s_mov_b32 s19, exec_lo
	v_cmpx_gt_u32_e32 8, v53
; %bb.714:                              ;   in Loop: Header=BB250_414 Depth=1
	v_ffbh_u32_e32 v51, v51
	v_min_u32_e32 v53, 32, v51
	v_subrev_nc_u32_e32 v51, 28, v53
	v_lshlrev_b64 v[51:52], v51, v[1:2]
	v_sub_nc_u32_e32 v52, 29, v53
	v_and_b32_e32 v51, 7, v51
; %bb.715:                              ;   in Loop: Header=BB250_414 Depth=1
	s_or_b32 exec_lo, exec_lo, s19
	v_lshlrev_b32_e32 v53, 8, v10
	v_lshl_add_u32 v52, v52, 10, 0x2000
	v_lshlrev_b32_e32 v51, 7, v51
	v_and_b32_e32 v53, 0x8000, v53
	v_and_b32_e32 v52, 0xfc00, v52
	v_or3_b32 v51, v53, v52, v51
.LBB250_716:                            ;   in Loop: Header=BB250_414 Depth=1
	s_or_b32 exec_lo, exec_lo, s18
.LBB250_717:                            ;   in Loop: Header=BB250_414 Depth=1
	s_or_b32 exec_lo, exec_lo, s17
.LBB250_718:                            ;   in Loop: Header=BB250_414 Depth=1
	s_or_b32 exec_lo, exec_lo, s13
	v_lshrrev_b16 v1, 8, v1
	v_mov_b32_e32 v52, 0
	s_mov_b32 s13, exec_lo
	v_cmpx_ne_u16_e32 0, v1
	s_cbranch_execz .LBB250_726
; %bb.719:                              ;   in Loop: Header=BB250_414 Depth=1
	v_bfrev_b32_e32 v52, 1
	s_mov_b32 s17, exec_lo
	v_cmpx_ne_u16_e32 0x80, v1
	s_cbranch_execz .LBB250_725
; %bb.720:                              ;   in Loop: Header=BB250_414 Depth=1
	v_and_b32_sdwa v54, v1, v22 dst_sel:DWORD dst_unused:UNUSED_PAD src0_sel:WORD_0 src1_sel:DWORD
	v_mov_b32_e32 v52, 0x7c010000
	s_mov_b32 s18, exec_lo
	v_cmpx_ne_u32_e32 0x7f, v54
	s_cbranch_execz .LBB250_724
; %bb.721:                              ;   in Loop: Header=BB250_414 Depth=1
	v_and_b32_sdwa v52, v1, v23 dst_sel:DWORD dst_unused:UNUSED_PAD src0_sel:WORD_0 src1_sel:DWORD
	v_lshrrev_b32_e32 v53, 3, v54
	s_mov_b32 s19, exec_lo
	v_cmpx_gt_u32_e32 8, v54
; %bb.722:                              ;   in Loop: Header=BB250_414 Depth=1
	v_ffbh_u32_e32 v52, v52
	v_min_u32_e32 v54, 32, v52
	v_subrev_nc_u32_e32 v52, 28, v54
	v_lshlrev_b64 v[52:53], v52, v[1:2]
	v_sub_nc_u32_e32 v53, 29, v54
	v_and_b32_e32 v52, 7, v52
; %bb.723:                              ;   in Loop: Header=BB250_414 Depth=1
	s_or_b32 exec_lo, exec_lo, s19
	v_lshlrev_b32_sdwa v1, v24, v1 dst_sel:DWORD dst_unused:UNUSED_PAD src0_sel:DWORD src1_sel:WORD_0
	v_lshl_add_u32 v53, v53, 10, 0x2000
	v_lshlrev_b32_e32 v52, 23, v52
	v_and_or_b32 v1, 0x8000, v1, v53
	v_lshl_or_b32 v52, v1, 16, v52
.LBB250_724:                            ;   in Loop: Header=BB250_414 Depth=1
	s_or_b32 exec_lo, exec_lo, s18
.LBB250_725:                            ;   in Loop: Header=BB250_414 Depth=1
	s_or_b32 exec_lo, exec_lo, s17
.LBB250_726:                            ;   in Loop: Header=BB250_414 Depth=1
	s_or_b32 exec_lo, exec_lo, s13
	v_lshrrev_b32_e32 v1, 16, v10
	v_cmp_ne_u16_sdwa s0, v1, v2 src0_sel:BYTE_0 src1_sel:DWORD
	s_and_saveexec_b32 s13, s0
	s_cbranch_execz .LBB250_734
; %bb.727:                              ;   in Loop: Header=BB250_414 Depth=1
	v_cmp_ne_u16_sdwa s0, v1, v21 src0_sel:BYTE_0 src1_sel:DWORD
	v_mov_b32_e32 v50, 0x8000
	s_and_saveexec_b32 s17, s0
	s_cbranch_execz .LBB250_733
; %bb.728:                              ;   in Loop: Header=BB250_414 Depth=1
	v_bfe_u32 v54, v10, 16, 7
	v_mov_b32_e32 v50, 0x7c01
	s_mov_b32 s18, exec_lo
	v_cmpx_ne_u32_e32 0x7f, v54
	s_cbranch_execz .LBB250_732
; %bb.729:                              ;   in Loop: Header=BB250_414 Depth=1
	v_and_b32_e32 v50, 7, v1
	v_lshrrev_b32_e32 v53, 3, v54
	s_mov_b32 s19, exec_lo
	v_cmpx_gt_u32_e32 8, v54
; %bb.730:                              ;   in Loop: Header=BB250_414 Depth=1
	v_ffbh_u32_e32 v50, v50
	v_min_u32_e32 v50, 32, v50
	v_subrev_nc_u32_e32 v53, 28, v50
	v_lshlrev_b64 v[54:55], v53, v[1:2]
	v_sub_nc_u32_e32 v53, 29, v50
	v_and_b32_e32 v50, 7, v54
; %bb.731:                              ;   in Loop: Header=BB250_414 Depth=1
	s_or_b32 exec_lo, exec_lo, s19
	v_lshlrev_b32_e32 v1, 8, v1
	v_lshl_add_u32 v53, v53, 10, 0x2000
	v_lshlrev_b32_e32 v50, 7, v50
	v_and_b32_e32 v1, 0x8000, v1
	v_and_b32_e32 v53, 0xfc00, v53
	v_or3_b32 v50, v1, v53, v50
.LBB250_732:                            ;   in Loop: Header=BB250_414 Depth=1
	s_or_b32 exec_lo, exec_lo, s18
.LBB250_733:                            ;   in Loop: Header=BB250_414 Depth=1
	s_or_b32 exec_lo, exec_lo, s17
.LBB250_734:                            ;   in Loop: Header=BB250_414 Depth=1
	s_or_b32 exec_lo, exec_lo, s13
	v_cmp_lt_u64_e64 s0, s[2:3], v[9:10]
	v_mov_b32_e32 v9, 0
	s_and_saveexec_b32 s13, s0
	s_cbranch_execz .LBB250_742
; %bb.735:                              ;   in Loop: Header=BB250_414 Depth=1
	v_lshrrev_b32_e32 v1, 24, v10
	v_bfrev_b32_e32 v9, 1
	s_mov_b32 s17, exec_lo
	v_cmpx_ne_u32_e32 0x80, v1
	s_cbranch_execz .LBB250_741
; %bb.736:                              ;   in Loop: Header=BB250_414 Depth=1
	v_and_b32_e32 v53, 0x7f, v1
	v_mov_b32_e32 v9, 0x7c010000
	s_mov_b32 s18, exec_lo
	v_cmpx_ne_u32_e32 0x7f, v53
	s_cbranch_execz .LBB250_740
; %bb.737:                              ;   in Loop: Header=BB250_414 Depth=1
	v_and_b32_e32 v9, 7, v1
	v_lshrrev_b32_e32 v10, 3, v53
	s_mov_b32 s19, exec_lo
	v_cmpx_gt_u32_e32 8, v53
; %bb.738:                              ;   in Loop: Header=BB250_414 Depth=1
	v_ffbh_u32_e32 v9, v9
	v_min_u32_e32 v53, 32, v9
	v_subrev_nc_u32_e32 v9, 28, v53
	v_lshlrev_b64 v[9:10], v9, v[1:2]
	v_sub_nc_u32_e32 v10, 29, v53
	v_and_b32_e32 v9, 7, v9
; %bb.739:                              ;   in Loop: Header=BB250_414 Depth=1
	s_or_b32 exec_lo, exec_lo, s19
	v_lshlrev_b32_e32 v1, 8, v1
	v_lshl_add_u32 v10, v10, 10, 0x2000
	v_lshlrev_b32_e32 v9, 23, v9
	v_and_or_b32 v1, 0x8000, v1, v10
	v_lshl_or_b32 v9, v1, 16, v9
.LBB250_740:                            ;   in Loop: Header=BB250_414 Depth=1
	s_or_b32 exec_lo, exec_lo, s18
.LBB250_741:                            ;   in Loop: Header=BB250_414 Depth=1
	s_or_b32 exec_lo, exec_lo, s17
.LBB250_742:                            ;   in Loop: Header=BB250_414 Depth=1
	s_or_b32 exec_lo, exec_lo, s13
	v_or_b32_e32 v1, v48, v49
	s_waitcnt vmcnt(0)
	v_fma_mixlo_f16 v10, v45, v48, 0 op_sel:[0,1,0] op_sel_hi:[0,1,0]
	v_or_b32_e32 v48, v46, v47
	v_fma_mixlo_f16 v46, v45, v46, 0 op_sel:[0,1,0] op_sel_hi:[0,1,0]
	v_or_b32_e32 v49, v52, v51
	v_or_b32_e32 v50, v9, v50
	v_fma_mixlo_f16 v51, v45, v1, 0 op_sel_hi:[0,1,0]
	v_fma_mixlo_f16 v9, v45, v9, 0 op_sel:[0,1,0] op_sel_hi:[0,1,0]
	v_lshlrev_b32_e32 v47, 16, v46
	v_fma_mixlo_f16 v46, v45, v48, 0 op_sel_hi:[0,1,0]
	v_fma_mixlo_f16 v48, v45, v52, 0 op_sel:[0,1,0] op_sel_hi:[0,1,0]
	v_fma_mixlo_f16 v49, v45, v49, 0 op_sel_hi:[0,1,0]
	v_fma_mixlo_f16 v50, v45, v50, 0 op_sel_hi:[0,1,0]
	v_lshlrev_b32_e32 v1, 16, v10
	v_and_b32_e32 v10, 0xffff, v51
	v_and_b32_e32 v53, 0xffff, v46
	v_lshlrev_b32_e32 v45, 16, v48
	v_and_b32_e32 v49, 0xffff, v49
	v_lshlrev_b32_e32 v9, 16, v9
	v_and_b32_e32 v46, 0xffff, v50
	v_or_b32_e32 v48, v1, v10
	v_or_b32_e32 v52, v47, v53
	;; [unrolled: 1-line block ×4, first 2 shown]
	s_and_saveexec_b32 s13, vcc_lo
	s_cbranch_execz .LBB250_744
; %bb.743:                              ;   in Loop: Header=BB250_414 Depth=1
	v_cmp_gt_i32_e64 s0, s11, v26
	v_cndmask_b32_e64 v48, 0, v53, s0
	v_cmp_gt_i32_e64 s0, s11, v32
	v_cndmask_b32_e64 v47, 0, v47, s0
	v_cmp_gt_i32_e64 s0, s11, v31
	v_or_b32_e32 v52, v47, v48
	v_cndmask_b32_e64 v10, 0, v10, s0
	v_cmp_gt_i32_e64 s0, s11, v30
	v_cndmask_b32_e64 v1, 0, v1, s0
	v_cmp_gt_i32_e64 s0, s11, v29
	v_or_b32_e32 v48, v1, v10
	;; [unrolled: 5-line block ×3, first 2 shown]
	v_cndmask_b32_e64 v46, 0, v46, s0
	v_cmp_gt_i32_e64 s0, s11, v19
	v_cndmask_b32_e64 v9, 0, v9, s0
	v_or_b32_e32 v50, v9, v46
.LBB250_744:                            ;   in Loop: Header=BB250_414 Depth=1
	s_or_b32 exec_lo, exec_lo, s13
	;;#ASMSTART
	v_pk_mul_f16 v1, v38, v52;

	;;#ASMEND
	;;#ASMSTART
	v_pk_mul_f16 v9, v36, v48;

	;;#ASMEND
	;; [unrolled: 4-line block ×4, first 2 shown]
	;;#ASMSTART
	v_pk_add_f16 v1, v1, v9;

	;;#ASMEND
	;;#ASMSTART
	v_pk_add_f16 v1, v1, v10;

	;;#ASMEND
	;; [unrolled: 4-line block ×3, first 2 shown]
	v_and_b32_e32 v9, 0xffff, v1
	v_lshrrev_b32_e32 v1, 16, v1
	;;#ASMSTART
	v_cvt_f32_f16 v9, v9;
	;;#ASMEND
	;;#ASMSTART
	v_cvt_f32_f16 v10, v1;
	;;#ASMEND
	global_load_dwordx2 v[7:8], v[7:8], off offset:1280
	v_mov_b32_e32 v46, 0
	v_mov_b32_e32 v47, 0
	global_load_dword v45, v46, s[14:15]
	s_waitcnt vmcnt(1)
	v_cmp_ne_u16_sdwa s0, v7, v2 src0_sel:BYTE_0 src1_sel:DWORD
	s_and_saveexec_b32 s13, s0
	s_cbranch_execz .LBB250_752
; %bb.745:                              ;   in Loop: Header=BB250_414 Depth=1
	v_cmp_ne_u16_sdwa s0, v7, v21 src0_sel:BYTE_0 src1_sel:DWORD
	v_mov_b32_e32 v47, 0x8000
	s_and_saveexec_b32 s17, s0
	s_cbranch_execz .LBB250_751
; %bb.746:                              ;   in Loop: Header=BB250_414 Depth=1
	v_and_b32_e32 v48, 0x7f, v7
	v_mov_b32_e32 v47, 0x7c01
	s_mov_b32 s18, exec_lo
	v_cmpx_ne_u32_e32 0x7f, v48
	s_cbranch_execz .LBB250_750
; %bb.747:                              ;   in Loop: Header=BB250_414 Depth=1
	v_and_b32_e32 v1, 7, v7
	v_lshrrev_b32_e32 v47, 3, v48
	s_mov_b32 s19, exec_lo
	v_cmpx_gt_u32_e32 8, v48
; %bb.748:                              ;   in Loop: Header=BB250_414 Depth=1
	v_ffbh_u32_e32 v1, v1
	v_min_u32_e32 v1, 32, v1
	v_subrev_nc_u32_e32 v47, 28, v1
	v_lshlrev_b64 v[48:49], v47, v[7:8]
	v_sub_nc_u32_e32 v47, 29, v1
	v_and_b32_e32 v1, 7, v48
; %bb.749:                              ;   in Loop: Header=BB250_414 Depth=1
	s_or_b32 exec_lo, exec_lo, s19
	v_lshlrev_b32_e32 v48, 8, v7
	v_lshl_add_u32 v47, v47, 10, 0x2000
	v_lshlrev_b32_e32 v1, 7, v1
	v_and_b32_e32 v48, 0x8000, v48
	v_and_b32_e32 v47, 0xfc00, v47
	v_or3_b32 v47, v48, v47, v1
.LBB250_750:                            ;   in Loop: Header=BB250_414 Depth=1
	s_or_b32 exec_lo, exec_lo, s18
.LBB250_751:                            ;   in Loop: Header=BB250_414 Depth=1
	s_or_b32 exec_lo, exec_lo, s17
.LBB250_752:                            ;   in Loop: Header=BB250_414 Depth=1
	s_or_b32 exec_lo, exec_lo, s13
	v_lshrrev_b16 v1, 8, v7
	s_mov_b32 s13, exec_lo
	v_cmpx_ne_u16_e32 0, v1
	s_cbranch_execz .LBB250_760
; %bb.753:                              ;   in Loop: Header=BB250_414 Depth=1
	v_bfrev_b32_e32 v46, 1
	s_mov_b32 s17, exec_lo
	v_cmpx_ne_u16_e32 0x80, v1
	s_cbranch_execz .LBB250_759
; %bb.754:                              ;   in Loop: Header=BB250_414 Depth=1
	v_and_b32_sdwa v49, v1, v22 dst_sel:DWORD dst_unused:UNUSED_PAD src0_sel:WORD_0 src1_sel:DWORD
	v_mov_b32_e32 v46, 0x7c010000
	s_mov_b32 s18, exec_lo
	v_cmpx_ne_u32_e32 0x7f, v49
	s_cbranch_execz .LBB250_758
; %bb.755:                              ;   in Loop: Header=BB250_414 Depth=1
	v_and_b32_sdwa v46, v1, v23 dst_sel:DWORD dst_unused:UNUSED_PAD src0_sel:WORD_0 src1_sel:DWORD
	v_lshrrev_b32_e32 v48, 3, v49
	s_mov_b32 s19, exec_lo
	v_cmpx_gt_u32_e32 8, v49
; %bb.756:                              ;   in Loop: Header=BB250_414 Depth=1
	v_ffbh_u32_e32 v46, v46
	v_min_u32_e32 v46, 32, v46
	v_subrev_nc_u32_e32 v48, 28, v46
	v_lshlrev_b64 v[49:50], v48, v[1:2]
	v_sub_nc_u32_e32 v48, 29, v46
	v_and_b32_e32 v46, 7, v49
; %bb.757:                              ;   in Loop: Header=BB250_414 Depth=1
	s_or_b32 exec_lo, exec_lo, s19
	v_lshlrev_b32_sdwa v1, v24, v1 dst_sel:DWORD dst_unused:UNUSED_PAD src0_sel:DWORD src1_sel:WORD_0
	v_lshl_add_u32 v48, v48, 10, 0x2000
	v_lshlrev_b32_e32 v46, 23, v46
	v_and_or_b32 v1, 0x8000, v1, v48
	v_lshl_or_b32 v46, v1, 16, v46
.LBB250_758:                            ;   in Loop: Header=BB250_414 Depth=1
	s_or_b32 exec_lo, exec_lo, s18
.LBB250_759:                            ;   in Loop: Header=BB250_414 Depth=1
	s_or_b32 exec_lo, exec_lo, s17
.LBB250_760:                            ;   in Loop: Header=BB250_414 Depth=1
	s_or_b32 exec_lo, exec_lo, s13
	v_lshrrev_b32_e32 v1, 16, v7
	v_mov_b32_e32 v48, 0
	v_mov_b32_e32 v49, 0
	v_cmp_ne_u16_sdwa s0, v1, v2 src0_sel:BYTE_0 src1_sel:DWORD
	s_and_saveexec_b32 s13, s0
	s_cbranch_execz .LBB250_768
; %bb.761:                              ;   in Loop: Header=BB250_414 Depth=1
	v_cmp_ne_u16_sdwa s0, v1, v21 src0_sel:BYTE_0 src1_sel:DWORD
	v_mov_b32_e32 v49, 0x8000
	s_and_saveexec_b32 s17, s0
	s_cbranch_execz .LBB250_767
; %bb.762:                              ;   in Loop: Header=BB250_414 Depth=1
	v_bfe_u32 v51, v7, 16, 7
	v_mov_b32_e32 v49, 0x7c01
	s_mov_b32 s18, exec_lo
	v_cmpx_ne_u32_e32 0x7f, v51
	s_cbranch_execz .LBB250_766
; %bb.763:                              ;   in Loop: Header=BB250_414 Depth=1
	v_and_b32_e32 v49, 7, v1
	v_lshrrev_b32_e32 v50, 3, v51
	s_mov_b32 s19, exec_lo
	v_cmpx_gt_u32_e32 8, v51
; %bb.764:                              ;   in Loop: Header=BB250_414 Depth=1
	v_ffbh_u32_e32 v49, v49
	v_min_u32_e32 v51, 32, v49
	v_subrev_nc_u32_e32 v49, 28, v51
	v_lshlrev_b64 v[49:50], v49, v[1:2]
	v_sub_nc_u32_e32 v50, 29, v51
	v_and_b32_e32 v49, 7, v49
; %bb.765:                              ;   in Loop: Header=BB250_414 Depth=1
	s_or_b32 exec_lo, exec_lo, s19
	v_lshlrev_b32_e32 v1, 8, v1
	v_lshl_add_u32 v50, v50, 10, 0x2000
	v_lshlrev_b32_e32 v49, 7, v49
	v_and_b32_e32 v1, 0x8000, v1
	v_and_b32_e32 v50, 0xfc00, v50
	v_or3_b32 v49, v1, v50, v49
.LBB250_766:                            ;   in Loop: Header=BB250_414 Depth=1
	s_or_b32 exec_lo, exec_lo, s18
.LBB250_767:                            ;   in Loop: Header=BB250_414 Depth=1
	s_or_b32 exec_lo, exec_lo, s17
.LBB250_768:                            ;   in Loop: Header=BB250_414 Depth=1
	s_or_b32 exec_lo, exec_lo, s13
	s_mov_b32 s13, exec_lo
	v_cmpx_lt_u32_e32 0xffffff, v7
	s_cbranch_execz .LBB250_776
; %bb.769:                              ;   in Loop: Header=BB250_414 Depth=1
	v_lshrrev_b32_e32 v1, 24, v7
	v_bfrev_b32_e32 v48, 1
	s_mov_b32 s17, exec_lo
	v_cmpx_ne_u32_e32 0x80, v1
	s_cbranch_execz .LBB250_775
; %bb.770:                              ;   in Loop: Header=BB250_414 Depth=1
	v_and_b32_e32 v51, 0x7f, v1
	v_mov_b32_e32 v48, 0x7c010000
	s_mov_b32 s18, exec_lo
	v_cmpx_ne_u32_e32 0x7f, v51
	s_cbranch_execz .LBB250_774
; %bb.771:                              ;   in Loop: Header=BB250_414 Depth=1
	v_and_b32_e32 v48, 7, v1
	v_lshrrev_b32_e32 v50, 3, v51
	s_mov_b32 s19, exec_lo
	v_cmpx_gt_u32_e32 8, v51
; %bb.772:                              ;   in Loop: Header=BB250_414 Depth=1
	v_ffbh_u32_e32 v48, v48
	v_min_u32_e32 v48, 32, v48
	v_subrev_nc_u32_e32 v50, 28, v48
	v_lshlrev_b64 v[51:52], v50, v[1:2]
	v_sub_nc_u32_e32 v50, 29, v48
	v_and_b32_e32 v48, 7, v51
; %bb.773:                              ;   in Loop: Header=BB250_414 Depth=1
	s_or_b32 exec_lo, exec_lo, s19
	v_lshlrev_b32_e32 v1, 8, v1
	v_lshl_add_u32 v50, v50, 10, 0x2000
	v_lshlrev_b32_e32 v48, 23, v48
	v_and_or_b32 v1, 0x8000, v1, v50
	v_lshl_or_b32 v48, v1, 16, v48
.LBB250_774:                            ;   in Loop: Header=BB250_414 Depth=1
	s_or_b32 exec_lo, exec_lo, s18
.LBB250_775:                            ;   in Loop: Header=BB250_414 Depth=1
	s_or_b32 exec_lo, exec_lo, s17
.LBB250_776:                            ;   in Loop: Header=BB250_414 Depth=1
	s_or_b32 exec_lo, exec_lo, s13
	v_mov_b32_e32 v1, v8
	v_cmp_ne_u16_sdwa s0, v8, v2 src0_sel:BYTE_0 src1_sel:DWORD
	v_mov_b32_e32 v50, 0
	v_mov_b32_e32 v51, 0
	s_and_saveexec_b32 s13, s0
	s_cbranch_execz .LBB250_784
; %bb.777:                              ;   in Loop: Header=BB250_414 Depth=1
	v_cmp_ne_u16_sdwa s0, v8, v21 src0_sel:BYTE_0 src1_sel:DWORD
	v_mov_b32_e32 v51, 0x8000
	s_and_saveexec_b32 s17, s0
	s_cbranch_execz .LBB250_783
; %bb.778:                              ;   in Loop: Header=BB250_414 Depth=1
	v_and_b32_e32 v53, 0x7f, v8
	v_mov_b32_e32 v51, 0x7c01
	s_mov_b32 s18, exec_lo
	v_cmpx_ne_u32_e32 0x7f, v53
	s_cbranch_execz .LBB250_782
; %bb.779:                              ;   in Loop: Header=BB250_414 Depth=1
	v_and_b32_e32 v51, 7, v8
	v_lshrrev_b32_e32 v52, 3, v53
	s_mov_b32 s19, exec_lo
	v_cmpx_gt_u32_e32 8, v53
; %bb.780:                              ;   in Loop: Header=BB250_414 Depth=1
	v_ffbh_u32_e32 v51, v51
	v_min_u32_e32 v53, 32, v51
	v_subrev_nc_u32_e32 v51, 28, v53
	v_lshlrev_b64 v[51:52], v51, v[1:2]
	v_sub_nc_u32_e32 v52, 29, v53
	v_and_b32_e32 v51, 7, v51
; %bb.781:                              ;   in Loop: Header=BB250_414 Depth=1
	s_or_b32 exec_lo, exec_lo, s19
	v_lshlrev_b32_e32 v53, 8, v8
	v_lshl_add_u32 v52, v52, 10, 0x2000
	v_lshlrev_b32_e32 v51, 7, v51
	v_and_b32_e32 v53, 0x8000, v53
	v_and_b32_e32 v52, 0xfc00, v52
	v_or3_b32 v51, v53, v52, v51
.LBB250_782:                            ;   in Loop: Header=BB250_414 Depth=1
	s_or_b32 exec_lo, exec_lo, s18
.LBB250_783:                            ;   in Loop: Header=BB250_414 Depth=1
	s_or_b32 exec_lo, exec_lo, s17
.LBB250_784:                            ;   in Loop: Header=BB250_414 Depth=1
	s_or_b32 exec_lo, exec_lo, s13
	v_lshrrev_b16 v1, 8, v1
	v_mov_b32_e32 v52, 0
	s_mov_b32 s13, exec_lo
	v_cmpx_ne_u16_e32 0, v1
	s_cbranch_execz .LBB250_792
; %bb.785:                              ;   in Loop: Header=BB250_414 Depth=1
	v_bfrev_b32_e32 v52, 1
	s_mov_b32 s17, exec_lo
	v_cmpx_ne_u16_e32 0x80, v1
	s_cbranch_execz .LBB250_791
; %bb.786:                              ;   in Loop: Header=BB250_414 Depth=1
	v_and_b32_sdwa v54, v1, v22 dst_sel:DWORD dst_unused:UNUSED_PAD src0_sel:WORD_0 src1_sel:DWORD
	v_mov_b32_e32 v52, 0x7c010000
	s_mov_b32 s18, exec_lo
	v_cmpx_ne_u32_e32 0x7f, v54
	s_cbranch_execz .LBB250_790
; %bb.787:                              ;   in Loop: Header=BB250_414 Depth=1
	v_and_b32_sdwa v52, v1, v23 dst_sel:DWORD dst_unused:UNUSED_PAD src0_sel:WORD_0 src1_sel:DWORD
	v_lshrrev_b32_e32 v53, 3, v54
	s_mov_b32 s19, exec_lo
	v_cmpx_gt_u32_e32 8, v54
; %bb.788:                              ;   in Loop: Header=BB250_414 Depth=1
	v_ffbh_u32_e32 v52, v52
	v_min_u32_e32 v54, 32, v52
	v_subrev_nc_u32_e32 v52, 28, v54
	v_lshlrev_b64 v[52:53], v52, v[1:2]
	v_sub_nc_u32_e32 v53, 29, v54
	v_and_b32_e32 v52, 7, v52
; %bb.789:                              ;   in Loop: Header=BB250_414 Depth=1
	s_or_b32 exec_lo, exec_lo, s19
	v_lshlrev_b32_sdwa v1, v24, v1 dst_sel:DWORD dst_unused:UNUSED_PAD src0_sel:DWORD src1_sel:WORD_0
	v_lshl_add_u32 v53, v53, 10, 0x2000
	v_lshlrev_b32_e32 v52, 23, v52
	v_and_or_b32 v1, 0x8000, v1, v53
	v_lshl_or_b32 v52, v1, 16, v52
.LBB250_790:                            ;   in Loop: Header=BB250_414 Depth=1
	s_or_b32 exec_lo, exec_lo, s18
.LBB250_791:                            ;   in Loop: Header=BB250_414 Depth=1
	s_or_b32 exec_lo, exec_lo, s17
.LBB250_792:                            ;   in Loop: Header=BB250_414 Depth=1
	s_or_b32 exec_lo, exec_lo, s13
	v_lshrrev_b32_e32 v1, 16, v8
	v_cmp_ne_u16_sdwa s0, v1, v2 src0_sel:BYTE_0 src1_sel:DWORD
	s_and_saveexec_b32 s13, s0
	s_cbranch_execz .LBB250_800
; %bb.793:                              ;   in Loop: Header=BB250_414 Depth=1
	v_cmp_ne_u16_sdwa s0, v1, v21 src0_sel:BYTE_0 src1_sel:DWORD
	v_mov_b32_e32 v50, 0x8000
	s_and_saveexec_b32 s17, s0
	s_cbranch_execz .LBB250_799
; %bb.794:                              ;   in Loop: Header=BB250_414 Depth=1
	v_bfe_u32 v54, v8, 16, 7
	v_mov_b32_e32 v50, 0x7c01
	s_mov_b32 s18, exec_lo
	v_cmpx_ne_u32_e32 0x7f, v54
	s_cbranch_execz .LBB250_798
; %bb.795:                              ;   in Loop: Header=BB250_414 Depth=1
	v_and_b32_e32 v50, 7, v1
	v_lshrrev_b32_e32 v53, 3, v54
	s_mov_b32 s19, exec_lo
	v_cmpx_gt_u32_e32 8, v54
; %bb.796:                              ;   in Loop: Header=BB250_414 Depth=1
	v_ffbh_u32_e32 v50, v50
	v_min_u32_e32 v50, 32, v50
	v_subrev_nc_u32_e32 v53, 28, v50
	v_lshlrev_b64 v[54:55], v53, v[1:2]
	v_sub_nc_u32_e32 v53, 29, v50
	v_and_b32_e32 v50, 7, v54
; %bb.797:                              ;   in Loop: Header=BB250_414 Depth=1
	s_or_b32 exec_lo, exec_lo, s19
	v_lshlrev_b32_e32 v1, 8, v1
	v_lshl_add_u32 v53, v53, 10, 0x2000
	v_lshlrev_b32_e32 v50, 7, v50
	v_and_b32_e32 v1, 0x8000, v1
	v_and_b32_e32 v53, 0xfc00, v53
	v_or3_b32 v50, v1, v53, v50
.LBB250_798:                            ;   in Loop: Header=BB250_414 Depth=1
	s_or_b32 exec_lo, exec_lo, s18
.LBB250_799:                            ;   in Loop: Header=BB250_414 Depth=1
	s_or_b32 exec_lo, exec_lo, s17
.LBB250_800:                            ;   in Loop: Header=BB250_414 Depth=1
	s_or_b32 exec_lo, exec_lo, s13
	v_cmp_lt_u64_e64 s0, s[2:3], v[7:8]
	v_mov_b32_e32 v7, 0
	s_and_saveexec_b32 s13, s0
	s_cbranch_execz .LBB250_808
; %bb.801:                              ;   in Loop: Header=BB250_414 Depth=1
	v_lshrrev_b32_e32 v1, 24, v8
	v_bfrev_b32_e32 v7, 1
	s_mov_b32 s17, exec_lo
	v_cmpx_ne_u32_e32 0x80, v1
	s_cbranch_execz .LBB250_807
; %bb.802:                              ;   in Loop: Header=BB250_414 Depth=1
	v_and_b32_e32 v53, 0x7f, v1
	v_mov_b32_e32 v7, 0x7c010000
	s_mov_b32 s18, exec_lo
	v_cmpx_ne_u32_e32 0x7f, v53
	s_cbranch_execz .LBB250_806
; %bb.803:                              ;   in Loop: Header=BB250_414 Depth=1
	v_and_b32_e32 v7, 7, v1
	v_lshrrev_b32_e32 v8, 3, v53
	s_mov_b32 s19, exec_lo
	v_cmpx_gt_u32_e32 8, v53
; %bb.804:                              ;   in Loop: Header=BB250_414 Depth=1
	v_ffbh_u32_e32 v7, v7
	v_min_u32_e32 v53, 32, v7
	v_subrev_nc_u32_e32 v7, 28, v53
	v_lshlrev_b64 v[7:8], v7, v[1:2]
	v_sub_nc_u32_e32 v8, 29, v53
	v_and_b32_e32 v7, 7, v7
; %bb.805:                              ;   in Loop: Header=BB250_414 Depth=1
	s_or_b32 exec_lo, exec_lo, s19
	v_lshlrev_b32_e32 v1, 8, v1
	v_lshl_add_u32 v8, v8, 10, 0x2000
	v_lshlrev_b32_e32 v7, 23, v7
	v_and_or_b32 v1, 0x8000, v1, v8
	v_lshl_or_b32 v7, v1, 16, v7
.LBB250_806:                            ;   in Loop: Header=BB250_414 Depth=1
	s_or_b32 exec_lo, exec_lo, s18
.LBB250_807:                            ;   in Loop: Header=BB250_414 Depth=1
	s_or_b32 exec_lo, exec_lo, s17
.LBB250_808:                            ;   in Loop: Header=BB250_414 Depth=1
	s_or_b32 exec_lo, exec_lo, s13
	v_or_b32_e32 v1, v48, v49
	s_waitcnt vmcnt(0)
	v_fma_mixlo_f16 v8, v45, v48, 0 op_sel:[0,1,0] op_sel_hi:[0,1,0]
	v_or_b32_e32 v47, v46, v47
	v_fma_mixlo_f16 v48, v45, v46, 0 op_sel:[0,1,0] op_sel_hi:[0,1,0]
	v_or_b32_e32 v49, v52, v51
	v_fma_mixlo_f16 v1, v45, v1, 0 op_sel_hi:[0,1,0]
	v_or_b32_e32 v50, v7, v50
	v_lshlrev_b32_e32 v46, 16, v8
	v_lshlrev_b32_e32 v51, 16, v48
	v_fma_mixlo_f16 v8, v45, v47, 0 op_sel_hi:[0,1,0]
	v_and_b32_e32 v48, 0xffff, v1
	v_fma_mixlo_f16 v1, v45, v52, 0 op_sel:[0,1,0] op_sel_hi:[0,1,0]
	v_fma_mixlo_f16 v47, v45, v49, 0 op_sel_hi:[0,1,0]
	v_fma_mixlo_f16 v7, v45, v7, 0 op_sel:[0,1,0] op_sel_hi:[0,1,0]
	v_fma_mixlo_f16 v45, v45, v50, 0 op_sel_hi:[0,1,0]
	v_and_b32_e32 v53, 0xffff, v8
	v_lshlrev_b32_e32 v49, 16, v1
	v_and_b32_e32 v52, 0xffff, v47
	v_lshlrev_b32_e32 v47, 16, v7
	v_and_b32_e32 v50, 0xffff, v45
	v_or_b32_e32 v8, v46, v48
	v_or_b32_e32 v45, v51, v53
	;; [unrolled: 1-line block ×4, first 2 shown]
	s_and_saveexec_b32 s0, vcc_lo
	s_cbranch_execz .LBB250_413
; %bb.809:                              ;   in Loop: Header=BB250_414 Depth=1
	v_cmp_gt_i32_e32 vcc_lo, s11, v26
	v_cndmask_b32_e32 v1, 0, v53, vcc_lo
	v_cmp_gt_i32_e32 vcc_lo, s11, v32
	v_cndmask_b32_e32 v7, 0, v51, vcc_lo
	v_cmp_gt_i32_e32 vcc_lo, s11, v31
	v_or_b32_e32 v45, v7, v1
	v_cndmask_b32_e32 v8, 0, v48, vcc_lo
	v_cmp_gt_i32_e32 vcc_lo, s11, v30
	v_cndmask_b32_e32 v26, 0, v46, vcc_lo
	v_cmp_gt_i32_e32 vcc_lo, s11, v29
	v_or_b32_e32 v8, v26, v8
	;; [unrolled: 5-line block ×3, first 2 shown]
	v_cndmask_b32_e32 v27, 0, v50, vcc_lo
	v_cmp_gt_i32_e32 vcc_lo, s11, v19
	v_cndmask_b32_e32 v30, 0, v47, vcc_lo
	v_or_b32_e32 v1, v30, v27
	s_branch .LBB250_413
.LBB250_810:
	s_or_b32 exec_lo, exec_lo, s12
.LBB250_811:
	s_or_b32 exec_lo, exec_lo, s1
	v_lshl_add_u32 v2, v13, 2, 0x1a0
	v_and_b32_e32 v3, 0x3c0, v0
	s_mov_b32 s0, exec_lo
	s_barrier
	v_mad_u32_u24 v1, 0x300, v11, v2
	buffer_gl0_inv
	v_cmpx_eq_u32_e32 64, v3
	s_cbranch_execz .LBB250_813
; %bb.812:
	v_add_nc_u32_e32 v3, 0xfffffa00, v1
	v_add_nc_u32_e32 v4, 0xfffffa80, v1
	;; [unrolled: 1-line block ×5, first 2 shown]
	ds_write_b32 v3, v18
	v_add_nc_u32_e32 v3, 0xfffffc80, v1
	ds_write_b32 v4, v17
	ds_write_b32 v5, v16
	ds_write_b32 v6, v15
	ds_write_b32 v7, v14
	ds_write_b32 v3, v12
.LBB250_813:
	s_or_b32 exec_lo, exec_lo, s0
	s_mov_b32 s0, exec_lo
	s_waitcnt lgkmcnt(0)
	s_barrier
	buffer_gl0_inv
	v_cmpx_gt_u32_e32 64, v0
	s_cbranch_execz .LBB250_815
; %bb.814:
	ds_read2_b32 v[3:4], v1 offset1:32
	ds_read2_b32 v[5:6], v1 offset0:64 offset1:96
	ds_read2_b32 v[7:8], v1 offset0:128 offset1:160
	s_waitcnt lgkmcnt(2)
	v_add_f32_e32 v18, v18, v3
	v_add_f32_e32 v17, v17, v4
	s_waitcnt lgkmcnt(1)
	v_add_f32_e32 v16, v16, v5
	v_add_f32_e32 v15, v15, v6
	;; [unrolled: 3-line block ×3, first 2 shown]
.LBB250_815:
	s_or_b32 exec_lo, exec_lo, s0
	v_and_b32_e32 v3, 0x3e0, v0
	s_mov_b32 s0, exec_lo
	s_barrier
	buffer_gl0_inv
	v_cmpx_eq_u32_e32 32, v3
	s_cbranch_execz .LBB250_817
; %bb.816:
	ds_write2_b32 v2, v18, v17 offset1:32
	ds_write2_b32 v2, v16, v15 offset0:64 offset1:96
	ds_write2_b32 v2, v14, v12 offset0:128 offset1:160
.LBB250_817:
	s_or_b32 exec_lo, exec_lo, s0
	v_cmp_gt_u32_e32 vcc_lo, 32, v0
	s_waitcnt lgkmcnt(0)
	s_barrier
	buffer_gl0_inv
	s_and_saveexec_b32 s0, vcc_lo
	s_cbranch_execz .LBB250_819
; %bb.818:
	ds_read2_b32 v[2:3], v1 offset1:32
	ds_read2_b32 v[4:5], v1 offset0:64 offset1:96
	ds_read2_b32 v[6:7], v1 offset0:128 offset1:160
	s_waitcnt lgkmcnt(2)
	v_add_f32_e32 v18, v18, v2
	v_add_f32_e32 v17, v17, v3
	s_waitcnt lgkmcnt(1)
	v_add_f32_e32 v16, v16, v4
	v_add_f32_e32 v15, v15, v5
	;; [unrolled: 3-line block ×3, first 2 shown]
.LBB250_819:
	s_or_b32 exec_lo, exec_lo, s0
	s_barrier
	buffer_gl0_inv
	s_and_saveexec_b32 s0, vcc_lo
	s_cbranch_execz .LBB250_821
; %bb.820:
	s_mul_i32 s0, s10, s7
	s_mul_i32 s2, s7, s6
	;; [unrolled: 1-line block ×3, first 2 shown]
	v_lshlrev_b32_e32 v0, 1, v0
	s_mulk_i32 s0, 0xc0
	;;#ASMSTART
	v_cvt_f16_f32 v1, v18;

	;;#ASMEND
	s_ashr_i32 s1, s0, 31
	s_lshl_b64 s[0:1], s[0:1], 1
	s_add_u32 s4, s20, s0
	s_addc_u32 s5, s21, s1
	s_ashr_i32 s3, s2, 31
	s_lshl_b64 s[0:1], s[2:3], 1
	s_mul_i32 s2, s8, 0xc0
	s_add_u32 s4, s4, s0
	s_addc_u32 s5, s5, s1
	s_ashr_i32 s3, s2, 31
	s_lshl_b64 s[0:1], s[2:3], 1
	s_add_u32 s0, s4, s0
	s_addc_u32 s1, s5, s1
	global_store_short v0, v1, s[0:1]
	;;#ASMSTART
	v_cvt_f16_f32 v1, v17;

	;;#ASMEND
	global_store_short v0, v1, s[0:1] offset:64
	;;#ASMSTART
	v_cvt_f16_f32 v1, v16;

	;;#ASMEND
	global_store_short v0, v1, s[0:1] offset:128
	;; [unrolled: 5-line block ×5, first 2 shown]
.LBB250_821:
	s_endpgm
	.section	.rodata,"a",@progbits
	.p2align	6, 0x0
	.amdhsa_kernel _ZN4vllm25paged_attention_v1_kernelIthLi192ELi8ELi128ELNS_18Fp8KVCacheDataTypeE1ELb0EEEvPT_PKS2_PKT0_S8_ifPKiSA_iPKfiiiSC_SC_iiiii
		.amdhsa_group_segment_fixed_size 416
		.amdhsa_private_segment_fixed_size 0
		.amdhsa_kernarg_size 384
		.amdhsa_user_sgpr_count 6
		.amdhsa_user_sgpr_private_segment_buffer 1
		.amdhsa_user_sgpr_dispatch_ptr 0
		.amdhsa_user_sgpr_queue_ptr 0
		.amdhsa_user_sgpr_kernarg_segment_ptr 1
		.amdhsa_user_sgpr_dispatch_id 0
		.amdhsa_user_sgpr_flat_scratch_init 0
		.amdhsa_user_sgpr_private_segment_size 0
		.amdhsa_wavefront_size32 1
		.amdhsa_uses_dynamic_stack 0
		.amdhsa_system_sgpr_private_segment_wavefront_offset 0
		.amdhsa_system_sgpr_workgroup_id_x 1
		.amdhsa_system_sgpr_workgroup_id_y 1
		.amdhsa_system_sgpr_workgroup_id_z 1
		.amdhsa_system_sgpr_workgroup_info 0
		.amdhsa_system_vgpr_workitem_id 0
		.amdhsa_next_free_vgpr 108
		.amdhsa_next_free_sgpr 35
		.amdhsa_reserve_vcc 1
		.amdhsa_reserve_flat_scratch 0
		.amdhsa_float_round_mode_32 0
		.amdhsa_float_round_mode_16_64 0
		.amdhsa_float_denorm_mode_32 3
		.amdhsa_float_denorm_mode_16_64 3
		.amdhsa_dx10_clamp 1
		.amdhsa_ieee_mode 1
		.amdhsa_fp16_overflow 0
		.amdhsa_workgroup_processor_mode 1
		.amdhsa_memory_ordered 1
		.amdhsa_forward_progress 1
		.amdhsa_shared_vgpr_count 0
		.amdhsa_exception_fp_ieee_invalid_op 0
		.amdhsa_exception_fp_denorm_src 0
		.amdhsa_exception_fp_ieee_div_zero 0
		.amdhsa_exception_fp_ieee_overflow 0
		.amdhsa_exception_fp_ieee_underflow 0
		.amdhsa_exception_fp_ieee_inexact 0
		.amdhsa_exception_int_div_zero 0
	.end_amdhsa_kernel
	.section	.text._ZN4vllm25paged_attention_v1_kernelIthLi192ELi8ELi128ELNS_18Fp8KVCacheDataTypeE1ELb0EEEvPT_PKS2_PKT0_S8_ifPKiSA_iPKfiiiSC_SC_iiiii,"axG",@progbits,_ZN4vllm25paged_attention_v1_kernelIthLi192ELi8ELi128ELNS_18Fp8KVCacheDataTypeE1ELb0EEEvPT_PKS2_PKT0_S8_ifPKiSA_iPKfiiiSC_SC_iiiii,comdat
.Lfunc_end250:
	.size	_ZN4vllm25paged_attention_v1_kernelIthLi192ELi8ELi128ELNS_18Fp8KVCacheDataTypeE1ELb0EEEvPT_PKS2_PKT0_S8_ifPKiSA_iPKfiiiSC_SC_iiiii, .Lfunc_end250-_ZN4vllm25paged_attention_v1_kernelIthLi192ELi8ELi128ELNS_18Fp8KVCacheDataTypeE1ELb0EEEvPT_PKS2_PKT0_S8_ifPKiSA_iPKfiiiSC_SC_iiiii
                                        ; -- End function
	.set _ZN4vllm25paged_attention_v1_kernelIthLi192ELi8ELi128ELNS_18Fp8KVCacheDataTypeE1ELb0EEEvPT_PKS2_PKT0_S8_ifPKiSA_iPKfiiiSC_SC_iiiii.num_vgpr, 108
	.set _ZN4vllm25paged_attention_v1_kernelIthLi192ELi8ELi128ELNS_18Fp8KVCacheDataTypeE1ELb0EEEvPT_PKS2_PKT0_S8_ifPKiSA_iPKfiiiSC_SC_iiiii.num_agpr, 0
	.set _ZN4vllm25paged_attention_v1_kernelIthLi192ELi8ELi128ELNS_18Fp8KVCacheDataTypeE1ELb0EEEvPT_PKS2_PKT0_S8_ifPKiSA_iPKfiiiSC_SC_iiiii.numbered_sgpr, 35
	.set _ZN4vllm25paged_attention_v1_kernelIthLi192ELi8ELi128ELNS_18Fp8KVCacheDataTypeE1ELb0EEEvPT_PKS2_PKT0_S8_ifPKiSA_iPKfiiiSC_SC_iiiii.num_named_barrier, 0
	.set _ZN4vllm25paged_attention_v1_kernelIthLi192ELi8ELi128ELNS_18Fp8KVCacheDataTypeE1ELb0EEEvPT_PKS2_PKT0_S8_ifPKiSA_iPKfiiiSC_SC_iiiii.private_seg_size, 0
	.set _ZN4vllm25paged_attention_v1_kernelIthLi192ELi8ELi128ELNS_18Fp8KVCacheDataTypeE1ELb0EEEvPT_PKS2_PKT0_S8_ifPKiSA_iPKfiiiSC_SC_iiiii.uses_vcc, 1
	.set _ZN4vllm25paged_attention_v1_kernelIthLi192ELi8ELi128ELNS_18Fp8KVCacheDataTypeE1ELb0EEEvPT_PKS2_PKT0_S8_ifPKiSA_iPKfiiiSC_SC_iiiii.uses_flat_scratch, 0
	.set _ZN4vllm25paged_attention_v1_kernelIthLi192ELi8ELi128ELNS_18Fp8KVCacheDataTypeE1ELb0EEEvPT_PKS2_PKT0_S8_ifPKiSA_iPKfiiiSC_SC_iiiii.has_dyn_sized_stack, 0
	.set _ZN4vllm25paged_attention_v1_kernelIthLi192ELi8ELi128ELNS_18Fp8KVCacheDataTypeE1ELb0EEEvPT_PKS2_PKT0_S8_ifPKiSA_iPKfiiiSC_SC_iiiii.has_recursion, 0
	.set _ZN4vllm25paged_attention_v1_kernelIthLi192ELi8ELi128ELNS_18Fp8KVCacheDataTypeE1ELb0EEEvPT_PKS2_PKT0_S8_ifPKiSA_iPKfiiiSC_SC_iiiii.has_indirect_call, 0
	.section	.AMDGPU.csdata,"",@progbits
; Kernel info:
; codeLenInByte = 27736
; TotalNumSgprs: 37
; NumVgprs: 108
; ScratchSize: 0
; MemoryBound: 0
; FloatMode: 240
; IeeeMode: 1
; LDSByteSize: 416 bytes/workgroup (compile time only)
; SGPRBlocks: 0
; VGPRBlocks: 13
; NumSGPRsForWavesPerEU: 37
; NumVGPRsForWavesPerEU: 108
; Occupancy: 9
; WaveLimiterHint : 1
; COMPUTE_PGM_RSRC2:SCRATCH_EN: 0
; COMPUTE_PGM_RSRC2:USER_SGPR: 6
; COMPUTE_PGM_RSRC2:TRAP_HANDLER: 0
; COMPUTE_PGM_RSRC2:TGID_X_EN: 1
; COMPUTE_PGM_RSRC2:TGID_Y_EN: 1
; COMPUTE_PGM_RSRC2:TGID_Z_EN: 1
; COMPUTE_PGM_RSRC2:TIDIG_COMP_CNT: 0
	.section	.text._ZN4vllm25paged_attention_v1_kernelIthLi256ELi8ELi128ELNS_18Fp8KVCacheDataTypeE1ELb0EEEvPT_PKS2_PKT0_S8_ifPKiSA_iPKfiiiSC_SC_iiiii,"axG",@progbits,_ZN4vllm25paged_attention_v1_kernelIthLi256ELi8ELi128ELNS_18Fp8KVCacheDataTypeE1ELb0EEEvPT_PKS2_PKT0_S8_ifPKiSA_iPKfiiiSC_SC_iiiii,comdat
	.protected	_ZN4vllm25paged_attention_v1_kernelIthLi256ELi8ELi128ELNS_18Fp8KVCacheDataTypeE1ELb0EEEvPT_PKS2_PKT0_S8_ifPKiSA_iPKfiiiSC_SC_iiiii ; -- Begin function _ZN4vllm25paged_attention_v1_kernelIthLi256ELi8ELi128ELNS_18Fp8KVCacheDataTypeE1ELb0EEEvPT_PKS2_PKT0_S8_ifPKiSA_iPKfiiiSC_SC_iiiii
	.globl	_ZN4vllm25paged_attention_v1_kernelIthLi256ELi8ELi128ELNS_18Fp8KVCacheDataTypeE1ELb0EEEvPT_PKS2_PKT0_S8_ifPKiSA_iPKfiiiSC_SC_iiiii
	.p2align	8
	.type	_ZN4vllm25paged_attention_v1_kernelIthLi256ELi8ELi128ELNS_18Fp8KVCacheDataTypeE1ELb0EEEvPT_PKS2_PKT0_S8_ifPKiSA_iPKfiiiSC_SC_iiiii,@function
_ZN4vllm25paged_attention_v1_kernelIthLi256ELi8ELi128ELNS_18Fp8KVCacheDataTypeE1ELb0EEEvPT_PKS2_PKT0_S8_ifPKiSA_iPKfiiiSC_SC_iiiii: ; @_ZN4vllm25paged_attention_v1_kernelIthLi256ELi8ELi128ELNS_18Fp8KVCacheDataTypeE1ELb0EEEvPT_PKS2_PKT0_S8_ifPKiSA_iPKfiiiSC_SC_iiiii
; %bb.0:
	s_clause 0x2
	s_load_dword s9, s[4:5], 0x80
	s_load_dwordx2 s[0:1], s[4:5], 0x30
	s_load_dwordx2 s[28:29], s[4:5], 0x20
	s_mov_b32 s10, s7
	s_ashr_i32 s11, s7, 31
	s_lshl_b64 s[2:3], s[10:11], 2
	s_waitcnt lgkmcnt(0)
	s_add_u32 s0, s0, s2
	s_addc_u32 s1, s1, s3
	s_abs_i32 s2, s28
	s_abs_i32 s11, s9
	v_cvt_f32_u32_e32 v1, s2
	s_sub_i32 s7, 0, s2
	v_rcp_iflag_f32_e32 v1, v1
	v_mul_f32_e32 v1, 0x4f7ffffe, v1
	v_cvt_u32_f32_e32 v1, v1
	v_readfirstlane_b32 s3, v1
	s_mul_i32 s7, s7, s3
	s_mul_hi_u32 s7, s3, s7
	s_add_i32 s3, s3, s7
	s_xor_b32 s7, s9, s28
	s_mul_hi_u32 s3, s11, s3
	s_ashr_i32 s7, s7, 31
	s_mul_i32 s12, s3, s2
	s_mov_b32 s28, 0
	s_sub_i32 s11, s11, s12
	s_add_i32 s12, s3, 1
	s_sub_i32 s13, s11, s2
	s_cmp_ge_u32 s11, s2
	s_cselect_b32 s3, s12, s3
	s_cselect_b32 s11, s13, s11
	s_add_i32 s12, s3, 1
	s_cmp_ge_u32 s11, s2
	s_cselect_b32 s2, s12, s3
	s_abs_i32 s13, s6
	s_xor_b32 s2, s2, s7
	s_sub_i32 s15, s2, s7
	s_load_dwordx2 s[2:3], s[4:5], 0x40
	s_abs_i32 s12, s15
	v_cvt_f32_u32_e32 v1, s12
	s_sub_i32 s11, 0, s12
	v_rcp_iflag_f32_e32 v1, v1
	v_mul_f32_e32 v1, 0x4f7ffffe, v1
	v_cvt_u32_f32_e32 v1, v1
	v_readfirstlane_b32 s7, v1
	s_mul_i32 s11, s11, s7
	s_mul_hi_u32 s11, s7, s11
	s_add_i32 s7, s7, s11
	s_waitcnt lgkmcnt(0)
	s_cmp_eq_u64 s[2:3], 0
	s_mul_hi_u32 s14, s13, s7
	s_cbranch_scc1 .LBB251_2
; %bb.1:
	s_ashr_i32 s7, s6, 31
	s_lshl_b64 s[16:17], s[6:7], 2
	s_add_u32 s2, s2, s16
	s_addc_u32 s3, s3, s17
	s_load_dword s28, s[2:3], 0x0
.LBB251_2:
	s_load_dword s11, s[0:1], 0x0
	s_load_dwordx4 s[16:19], s[4:5], 0x48
	v_and_b32_e32 v1, 3, v0
	s_ashr_i32 s0, s6, 31
	s_ashr_i32 s1, s15, 31
	s_lshl_b32 s6, s6, 8
	s_mov_b32 s2, exec_lo
	v_cmpx_gt_u32_e32 0x80, v0
	s_cbranch_execz .LBB251_4
; %bb.3:
	s_load_dwordx2 s[20:21], s[4:5], 0x8
	s_waitcnt lgkmcnt(0)
	s_mul_i32 s22, s16, s10
	v_lshlrev_b32_e32 v2, 2, v0
	s_ashr_i32 s23, s22, 31
	v_and_b32_e32 v3, 0x3fc, v0
	s_lshl_b64 s[22:23], s[22:23], 1
	v_lshl_add_u32 v3, v1, 7, v3
	s_add_u32 s3, s20, s22
	s_addc_u32 s15, s21, s23
	s_ashr_i32 s7, s6, 31
	s_lshl_b64 s[20:21], s[6:7], 1
	s_add_u32 s20, s3, s20
	s_addc_u32 s21, s15, s21
	global_load_dword v2, v2, s[20:21]
	s_waitcnt vmcnt(0)
	ds_write_b32 v3, v2
.LBB251_4:
	s_or_b32 exec_lo, exec_lo, s2
	s_waitcnt lgkmcnt(0)
	s_add_i32 s2, s11, 7
	s_clause 0x1
	s_load_dwordx2 s[22:23], s[4:5], 0x28
	s_load_dword s7, s[4:5], 0x38
	s_ashr_i32 s3, s2, 31
	s_xor_b32 s0, s0, s1
	s_lshr_b32 s3, s3, 29
	s_mul_i32 s1, s14, s12
	s_add_i32 s2, s2, s3
	s_sub_i32 s1, s13, s1
	s_ashr_i32 s16, s2, 3
	s_add_i32 s2, s14, 1
	s_sub_i32 s3, s1, s12
	s_cmp_ge_u32 s1, s12
	v_lshrrev_b32_e32 v11, 5, v0
	s_cselect_b32 s2, s2, s14
	s_cselect_b32 s1, s3, s1
	s_add_i32 s3, s2, 1
	s_cmp_ge_u32 s1, s12
	v_mbcnt_lo_u32_b32 v10, -1, 0
	s_cselect_b32 s1, s3, s2
	s_mov_b32 s2, exec_lo
	s_xor_b32 s1, s1, s0
	s_waitcnt lgkmcnt(0)
	s_mul_i32 s24, s7, s10
	s_sub_i32 s1, s1, s0
	v_cmp_gt_i32_e64 s0, s16, v11
	s_ashr_i32 s25, s24, 31
	s_barrier
	buffer_gl0_inv
                                        ; implicit-def: $vgpr2
                                        ; implicit-def: $vgpr12
	v_cmpx_le_i32_e64 s16, v11
	s_xor_b32 s2, exec_lo, s2
; %bb.5:
	v_mov_b32_e32 v2, 0
	v_mbcnt_lo_u32_b32 v10, -1, 0
	v_mov_b32_e32 v12, 32
                                        ; implicit-def: $vgpr1
; %bb.6:
	s_or_saveexec_b32 s19, s2
	s_clause 0x3
	s_load_dwordx2 s[20:21], s[4:5], 0x0
	s_load_dwordx2 s[26:27], s[4:5], 0x18
	s_load_dword s7, s[4:5], 0x88
	s_load_dwordx4 s[12:15], s[4:5], 0x58
	v_mov_b32_e32 v13, 0xff7fffff
	v_lshrrev_b32_e32 v9, 3, v0
	s_mul_i32 s18, s1, s18
	s_xor_b32 exec_lo, exec_lo, s19
	s_cbranch_execz .LBB251_524
; %bb.7:
	s_load_dwordx2 s[2:3], s[4:5], 0x10
	v_bfe_u32 v3, v0, 2, 3
	v_lshlrev_b32_e32 v5, 1, v1
	v_lshlrev_b32_e32 v14, 7, v1
	v_cmp_eq_u32_e32 vcc_lo, 0, v1
	s_ashr_i32 s4, s18, 31
	v_lshlrev_b32_e32 v4, 2, v3
	v_and_b32_e32 v6, 0x7c, v9
	v_lshl_or_b32 v15, v11, 3, v3
	v_mov_b32_e32 v2, 0
	v_cmp_neq_f32_e64 s1, s28, 0
	v_lshl_or_b32 v1, v11, 5, v4
	v_lshlrev_b32_e32 v4, 4, v3
	v_mov_b32_e32 v13, 0xff7fffff
	v_mov_b32_e32 v12, 32
	;; [unrolled: 1-line block ×3, first 2 shown]
	v_add_nc_u32_e32 v16, 0x220, v1
	v_mov_b32_e32 v18, 0x7f
	v_mov_b32_e32 v19, 7
	;; [unrolled: 1-line block ×3, first 2 shown]
	s_waitcnt lgkmcnt(0)
	s_add_u32 s5, s2, s18
	s_addc_u32 s30, s3, s4
	v_add_co_u32 v1, s5, s5, v4
	v_add_co_ci_u32_e64 v4, null, s30, 0, s5
	s_lshl_b64 s[2:3], s[24:25], 2
	s_sub_i32 s4, 1, s11
	s_add_u32 s5, s22, s2
	v_add_co_u32 v3, s2, v1, v5
	s_addc_u32 s3, s23, s3
	v_add_co_ci_u32_e64 v4, null, 0, v4, s2
	v_add_co_u32 v5, s2, s5, v6
	v_add_co_ci_u32_e64 v6, null, s3, 0, s2
	v_mov_b32_e32 v21, v11
	s_mov_b32 s30, s17
	s_mov_b32 s5, 0
	s_branch .LBB251_9
.LBB251_8:                              ;   in Loop: Header=BB251_9 Depth=1
	s_or_b32 exec_lo, exec_lo, s3
	v_add_nc_u32_e32 v21, 4, v21
	v_add_co_u32 v5, s3, v5, 16
	v_add_nc_u32_e32 v15, 32, v15
	v_add_nc_u32_e32 v16, 0x80, v16
	v_cmp_le_i32_e64 s2, s16, v21
	v_add_co_ci_u32_e64 v6, null, 0, v6, s3
	s_or_b32 s5, s2, s5
	s_andn2_b32 exec_lo, exec_lo, s5
	s_cbranch_execz .LBB251_523
.LBB251_9:                              ; =>This Inner Loop Header: Depth=1
	global_load_dword v1, v[5:6], off
	s_waitcnt vmcnt(0) lgkmcnt(0)
	v_mad_i64_i32 v[7:8], null, v1, s30, v[3:4]
	global_load_ushort v23, v[7:8], off
	global_load_dword v22, v2, s[12:13]
	s_waitcnt vmcnt(1)
	v_and_b32_e32 v1, 0xffff, v23
	v_cmp_ne_u16_sdwa s2, v23, v2 src0_sel:BYTE_0 src1_sel:DWORD
	v_mov_b32_e32 v23, 0
	s_and_saveexec_b32 s3, s2
	s_cbranch_execz .LBB251_17
; %bb.10:                               ;   in Loop: Header=BB251_9 Depth=1
	v_cmp_ne_u16_sdwa s2, v1, v17 src0_sel:BYTE_0 src1_sel:DWORD
	v_mov_b32_e32 v23, 0x8000
	s_and_saveexec_b32 s31, s2
	s_cbranch_execz .LBB251_16
; %bb.11:                               ;   in Loop: Header=BB251_9 Depth=1
	v_and_b32_e32 v25, 0x7f, v1
	v_mov_b32_e32 v23, 0x7c01
	s_mov_b32 s33, exec_lo
	v_cmpx_ne_u32_e32 0x7f, v25
	s_cbranch_execz .LBB251_15
; %bb.12:                               ;   in Loop: Header=BB251_9 Depth=1
	v_and_b32_e32 v23, 7, v1
	v_lshrrev_b32_e32 v24, 3, v25
	s_mov_b32 s34, exec_lo
	v_cmpx_gt_u32_e32 8, v25
; %bb.13:                               ;   in Loop: Header=BB251_9 Depth=1
	v_ffbh_u32_e32 v23, v23
	v_min_u32_e32 v25, 32, v23
	v_subrev_nc_u32_e32 v23, 28, v25
	v_lshlrev_b64 v[23:24], v23, v[1:2]
	v_sub_nc_u32_e32 v24, 29, v25
	v_and_b32_e32 v23, 7, v23
; %bb.14:                               ;   in Loop: Header=BB251_9 Depth=1
	s_or_b32 exec_lo, exec_lo, s34
	v_lshlrev_b32_e32 v25, 8, v1
	v_lshl_add_u32 v24, v24, 10, 0x2000
	v_lshlrev_b32_e32 v23, 7, v23
	v_and_b32_e32 v25, 0x8000, v25
	v_and_b32_e32 v24, 0xfc00, v24
	v_or3_b32 v23, v25, v24, v23
.LBB251_15:                             ;   in Loop: Header=BB251_9 Depth=1
	s_or_b32 exec_lo, exec_lo, s33
.LBB251_16:                             ;   in Loop: Header=BB251_9 Depth=1
	s_or_b32 exec_lo, exec_lo, s31
.LBB251_17:                             ;   in Loop: Header=BB251_9 Depth=1
	s_or_b32 exec_lo, exec_lo, s3
	v_lshrrev_b16 v1, 8, v1
	v_mov_b32_e32 v24, 0
	s_mov_b32 s3, exec_lo
	v_cmpx_ne_u16_e32 0, v1
	s_cbranch_execz .LBB251_25
; %bb.18:                               ;   in Loop: Header=BB251_9 Depth=1
	v_bfrev_b32_e32 v24, 1
	s_mov_b32 s31, exec_lo
	v_cmpx_ne_u16_e32 0x80, v1
	s_cbranch_execz .LBB251_24
; %bb.19:                               ;   in Loop: Header=BB251_9 Depth=1
	v_and_b32_sdwa v26, v1, v18 dst_sel:DWORD dst_unused:UNUSED_PAD src0_sel:WORD_0 src1_sel:DWORD
	v_mov_b32_e32 v24, 0x7c010000
	s_mov_b32 s33, exec_lo
	v_cmpx_ne_u32_e32 0x7f, v26
	s_cbranch_execz .LBB251_23
; %bb.20:                               ;   in Loop: Header=BB251_9 Depth=1
	v_and_b32_sdwa v24, v1, v19 dst_sel:DWORD dst_unused:UNUSED_PAD src0_sel:WORD_0 src1_sel:DWORD
	v_lshrrev_b32_e32 v25, 3, v26
	s_mov_b32 s34, exec_lo
	v_cmpx_gt_u32_e32 8, v26
; %bb.21:                               ;   in Loop: Header=BB251_9 Depth=1
	v_ffbh_u32_e32 v24, v24
	v_min_u32_e32 v26, 32, v24
	v_subrev_nc_u32_e32 v24, 28, v26
	v_lshlrev_b64 v[24:25], v24, v[1:2]
	v_sub_nc_u32_e32 v25, 29, v26
	v_and_b32_e32 v24, 7, v24
; %bb.22:                               ;   in Loop: Header=BB251_9 Depth=1
	s_or_b32 exec_lo, exec_lo, s34
	v_lshlrev_b32_sdwa v1, v20, v1 dst_sel:DWORD dst_unused:UNUSED_PAD src0_sel:DWORD src1_sel:WORD_0
	v_lshl_add_u32 v25, v25, 10, 0x2000
	v_lshlrev_b32_e32 v24, 23, v24
	v_and_or_b32 v1, 0x8000, v1, v25
	v_lshl_or_b32 v24, v1, 16, v24
.LBB251_23:                             ;   in Loop: Header=BB251_9 Depth=1
	s_or_b32 exec_lo, exec_lo, s33
.LBB251_24:                             ;   in Loop: Header=BB251_9 Depth=1
	s_or_b32 exec_lo, exec_lo, s31
.LBB251_25:                             ;   in Loop: Header=BB251_9 Depth=1
	s_or_b32 exec_lo, exec_lo, s3
	global_load_ushort v26, v[7:8], off offset:8
	v_mov_b32_e32 v25, 0
	s_waitcnt vmcnt(0)
	v_and_b32_e32 v1, 0xffff, v26
	v_cmp_ne_u16_sdwa s2, v26, v2 src0_sel:BYTE_0 src1_sel:DWORD
	v_mov_b32_e32 v26, 0
	s_and_saveexec_b32 s3, s2
	s_cbranch_execz .LBB251_33
; %bb.26:                               ;   in Loop: Header=BB251_9 Depth=1
	v_cmp_ne_u16_sdwa s2, v1, v17 src0_sel:BYTE_0 src1_sel:DWORD
	v_mov_b32_e32 v26, 0x8000
	s_and_saveexec_b32 s31, s2
	s_cbranch_execz .LBB251_32
; %bb.27:                               ;   in Loop: Header=BB251_9 Depth=1
	v_and_b32_e32 v28, 0x7f, v1
	v_mov_b32_e32 v26, 0x7c01
	s_mov_b32 s33, exec_lo
	v_cmpx_ne_u32_e32 0x7f, v28
	s_cbranch_execz .LBB251_31
; %bb.28:                               ;   in Loop: Header=BB251_9 Depth=1
	v_and_b32_e32 v26, 7, v1
	v_lshrrev_b32_e32 v27, 3, v28
	s_mov_b32 s34, exec_lo
	v_cmpx_gt_u32_e32 8, v28
; %bb.29:                               ;   in Loop: Header=BB251_9 Depth=1
	v_ffbh_u32_e32 v26, v26
	v_min_u32_e32 v28, 32, v26
	v_subrev_nc_u32_e32 v26, 28, v28
	v_lshlrev_b64 v[26:27], v26, v[1:2]
	v_sub_nc_u32_e32 v27, 29, v28
	v_and_b32_e32 v26, 7, v26
; %bb.30:                               ;   in Loop: Header=BB251_9 Depth=1
	s_or_b32 exec_lo, exec_lo, s34
	v_lshlrev_b32_e32 v28, 8, v1
	v_lshl_add_u32 v27, v27, 10, 0x2000
	v_lshlrev_b32_e32 v26, 7, v26
	v_and_b32_e32 v28, 0x8000, v28
	v_and_b32_e32 v27, 0xfc00, v27
	v_or3_b32 v26, v28, v27, v26
.LBB251_31:                             ;   in Loop: Header=BB251_9 Depth=1
	s_or_b32 exec_lo, exec_lo, s33
.LBB251_32:                             ;   in Loop: Header=BB251_9 Depth=1
	s_or_b32 exec_lo, exec_lo, s31
.LBB251_33:                             ;   in Loop: Header=BB251_9 Depth=1
	s_or_b32 exec_lo, exec_lo, s3
	v_lshrrev_b16 v1, 8, v1
	s_mov_b32 s3, exec_lo
	v_cmpx_ne_u16_e32 0, v1
	s_cbranch_execz .LBB251_41
; %bb.34:                               ;   in Loop: Header=BB251_9 Depth=1
	v_bfrev_b32_e32 v25, 1
	s_mov_b32 s31, exec_lo
	v_cmpx_ne_u16_e32 0x80, v1
	s_cbranch_execz .LBB251_40
; %bb.35:                               ;   in Loop: Header=BB251_9 Depth=1
	v_and_b32_sdwa v28, v1, v18 dst_sel:DWORD dst_unused:UNUSED_PAD src0_sel:WORD_0 src1_sel:DWORD
	v_mov_b32_e32 v25, 0x7c010000
	s_mov_b32 s33, exec_lo
	v_cmpx_ne_u32_e32 0x7f, v28
	s_cbranch_execz .LBB251_39
; %bb.36:                               ;   in Loop: Header=BB251_9 Depth=1
	v_and_b32_sdwa v25, v1, v19 dst_sel:DWORD dst_unused:UNUSED_PAD src0_sel:WORD_0 src1_sel:DWORD
	v_lshrrev_b32_e32 v27, 3, v28
	s_mov_b32 s34, exec_lo
	v_cmpx_gt_u32_e32 8, v28
; %bb.37:                               ;   in Loop: Header=BB251_9 Depth=1
	v_ffbh_u32_e32 v25, v25
	v_min_u32_e32 v25, 32, v25
	v_subrev_nc_u32_e32 v27, 28, v25
	v_lshlrev_b64 v[28:29], v27, v[1:2]
	v_sub_nc_u32_e32 v27, 29, v25
	v_and_b32_e32 v25, 7, v28
; %bb.38:                               ;   in Loop: Header=BB251_9 Depth=1
	s_or_b32 exec_lo, exec_lo, s34
	v_lshlrev_b32_sdwa v1, v20, v1 dst_sel:DWORD dst_unused:UNUSED_PAD src0_sel:DWORD src1_sel:WORD_0
	v_lshl_add_u32 v27, v27, 10, 0x2000
	v_lshlrev_b32_e32 v25, 23, v25
	v_and_or_b32 v1, 0x8000, v1, v27
	v_lshl_or_b32 v25, v1, 16, v25
.LBB251_39:                             ;   in Loop: Header=BB251_9 Depth=1
	s_or_b32 exec_lo, exec_lo, s33
.LBB251_40:                             ;   in Loop: Header=BB251_9 Depth=1
	s_or_b32 exec_lo, exec_lo, s31
.LBB251_41:                             ;   in Loop: Header=BB251_9 Depth=1
	s_or_b32 exec_lo, exec_lo, s3
	global_load_ushort v28, v[7:8], off offset:128
	v_mov_b32_e32 v27, 0
	s_waitcnt vmcnt(0)
	v_and_b32_e32 v1, 0xffff, v28
	v_cmp_ne_u16_sdwa s2, v28, v2 src0_sel:BYTE_0 src1_sel:DWORD
	v_mov_b32_e32 v28, 0
	s_and_saveexec_b32 s3, s2
	s_cbranch_execz .LBB251_49
; %bb.42:                               ;   in Loop: Header=BB251_9 Depth=1
	v_cmp_ne_u16_sdwa s2, v1, v17 src0_sel:BYTE_0 src1_sel:DWORD
	v_mov_b32_e32 v28, 0x8000
	s_and_saveexec_b32 s31, s2
	s_cbranch_execz .LBB251_48
; %bb.43:                               ;   in Loop: Header=BB251_9 Depth=1
	v_and_b32_e32 v30, 0x7f, v1
	v_mov_b32_e32 v28, 0x7c01
	s_mov_b32 s33, exec_lo
	v_cmpx_ne_u32_e32 0x7f, v30
	s_cbranch_execz .LBB251_47
; %bb.44:                               ;   in Loop: Header=BB251_9 Depth=1
	v_and_b32_e32 v28, 7, v1
	v_lshrrev_b32_e32 v29, 3, v30
	s_mov_b32 s34, exec_lo
	v_cmpx_gt_u32_e32 8, v30
; %bb.45:                               ;   in Loop: Header=BB251_9 Depth=1
	v_ffbh_u32_e32 v28, v28
	v_min_u32_e32 v30, 32, v28
	v_subrev_nc_u32_e32 v28, 28, v30
	v_lshlrev_b64 v[28:29], v28, v[1:2]
	v_sub_nc_u32_e32 v29, 29, v30
	v_and_b32_e32 v28, 7, v28
; %bb.46:                               ;   in Loop: Header=BB251_9 Depth=1
	s_or_b32 exec_lo, exec_lo, s34
	v_lshlrev_b32_e32 v30, 8, v1
	v_lshl_add_u32 v29, v29, 10, 0x2000
	v_lshlrev_b32_e32 v28, 7, v28
	v_and_b32_e32 v30, 0x8000, v30
	v_and_b32_e32 v29, 0xfc00, v29
	v_or3_b32 v28, v30, v29, v28
.LBB251_47:                             ;   in Loop: Header=BB251_9 Depth=1
	s_or_b32 exec_lo, exec_lo, s33
.LBB251_48:                             ;   in Loop: Header=BB251_9 Depth=1
	s_or_b32 exec_lo, exec_lo, s31
.LBB251_49:                             ;   in Loop: Header=BB251_9 Depth=1
	s_or_b32 exec_lo, exec_lo, s3
	v_lshrrev_b16 v1, 8, v1
	s_mov_b32 s3, exec_lo
	v_cmpx_ne_u16_e32 0, v1
	s_cbranch_execz .LBB251_57
; %bb.50:                               ;   in Loop: Header=BB251_9 Depth=1
	v_bfrev_b32_e32 v27, 1
	s_mov_b32 s31, exec_lo
	v_cmpx_ne_u16_e32 0x80, v1
	s_cbranch_execz .LBB251_56
; %bb.51:                               ;   in Loop: Header=BB251_9 Depth=1
	v_and_b32_sdwa v30, v1, v18 dst_sel:DWORD dst_unused:UNUSED_PAD src0_sel:WORD_0 src1_sel:DWORD
	v_mov_b32_e32 v27, 0x7c010000
	s_mov_b32 s33, exec_lo
	v_cmpx_ne_u32_e32 0x7f, v30
	s_cbranch_execz .LBB251_55
; %bb.52:                               ;   in Loop: Header=BB251_9 Depth=1
	v_and_b32_sdwa v27, v1, v19 dst_sel:DWORD dst_unused:UNUSED_PAD src0_sel:WORD_0 src1_sel:DWORD
	v_lshrrev_b32_e32 v29, 3, v30
	s_mov_b32 s34, exec_lo
	v_cmpx_gt_u32_e32 8, v30
; %bb.53:                               ;   in Loop: Header=BB251_9 Depth=1
	v_ffbh_u32_e32 v27, v27
	v_min_u32_e32 v27, 32, v27
	v_subrev_nc_u32_e32 v29, 28, v27
	v_lshlrev_b64 v[30:31], v29, v[1:2]
	v_sub_nc_u32_e32 v29, 29, v27
	v_and_b32_e32 v27, 7, v30
; %bb.54:                               ;   in Loop: Header=BB251_9 Depth=1
	s_or_b32 exec_lo, exec_lo, s34
	v_lshlrev_b32_sdwa v1, v20, v1 dst_sel:DWORD dst_unused:UNUSED_PAD src0_sel:DWORD src1_sel:WORD_0
	v_lshl_add_u32 v29, v29, 10, 0x2000
	v_lshlrev_b32_e32 v27, 23, v27
	v_and_or_b32 v1, 0x8000, v1, v29
	v_lshl_or_b32 v27, v1, 16, v27
.LBB251_55:                             ;   in Loop: Header=BB251_9 Depth=1
	s_or_b32 exec_lo, exec_lo, s33
.LBB251_56:                             ;   in Loop: Header=BB251_9 Depth=1
	s_or_b32 exec_lo, exec_lo, s31
.LBB251_57:                             ;   in Loop: Header=BB251_9 Depth=1
	s_or_b32 exec_lo, exec_lo, s3
	global_load_ushort v30, v[7:8], off offset:136
	v_mov_b32_e32 v29, 0
	s_waitcnt vmcnt(0)
	v_and_b32_e32 v1, 0xffff, v30
	v_cmp_ne_u16_sdwa s2, v30, v2 src0_sel:BYTE_0 src1_sel:DWORD
	v_mov_b32_e32 v30, 0
	s_and_saveexec_b32 s3, s2
	s_cbranch_execz .LBB251_65
; %bb.58:                               ;   in Loop: Header=BB251_9 Depth=1
	v_cmp_ne_u16_sdwa s2, v1, v17 src0_sel:BYTE_0 src1_sel:DWORD
	v_mov_b32_e32 v30, 0x8000
	s_and_saveexec_b32 s31, s2
	s_cbranch_execz .LBB251_64
; %bb.59:                               ;   in Loop: Header=BB251_9 Depth=1
	v_and_b32_e32 v32, 0x7f, v1
	v_mov_b32_e32 v30, 0x7c01
	s_mov_b32 s33, exec_lo
	v_cmpx_ne_u32_e32 0x7f, v32
	s_cbranch_execz .LBB251_63
; %bb.60:                               ;   in Loop: Header=BB251_9 Depth=1
	v_and_b32_e32 v30, 7, v1
	v_lshrrev_b32_e32 v31, 3, v32
	s_mov_b32 s34, exec_lo
	v_cmpx_gt_u32_e32 8, v32
; %bb.61:                               ;   in Loop: Header=BB251_9 Depth=1
	v_ffbh_u32_e32 v30, v30
	v_min_u32_e32 v32, 32, v30
	v_subrev_nc_u32_e32 v30, 28, v32
	v_lshlrev_b64 v[30:31], v30, v[1:2]
	v_sub_nc_u32_e32 v31, 29, v32
	v_and_b32_e32 v30, 7, v30
; %bb.62:                               ;   in Loop: Header=BB251_9 Depth=1
	s_or_b32 exec_lo, exec_lo, s34
	v_lshlrev_b32_e32 v32, 8, v1
	v_lshl_add_u32 v31, v31, 10, 0x2000
	v_lshlrev_b32_e32 v30, 7, v30
	v_and_b32_e32 v32, 0x8000, v32
	v_and_b32_e32 v31, 0xfc00, v31
	v_or3_b32 v30, v32, v31, v30
.LBB251_63:                             ;   in Loop: Header=BB251_9 Depth=1
	s_or_b32 exec_lo, exec_lo, s33
.LBB251_64:                             ;   in Loop: Header=BB251_9 Depth=1
	s_or_b32 exec_lo, exec_lo, s31
.LBB251_65:                             ;   in Loop: Header=BB251_9 Depth=1
	s_or_b32 exec_lo, exec_lo, s3
	v_lshrrev_b16 v1, 8, v1
	s_mov_b32 s3, exec_lo
	v_cmpx_ne_u16_e32 0, v1
	s_cbranch_execz .LBB251_73
; %bb.66:                               ;   in Loop: Header=BB251_9 Depth=1
	v_bfrev_b32_e32 v29, 1
	s_mov_b32 s31, exec_lo
	v_cmpx_ne_u16_e32 0x80, v1
	s_cbranch_execz .LBB251_72
; %bb.67:                               ;   in Loop: Header=BB251_9 Depth=1
	v_and_b32_sdwa v32, v1, v18 dst_sel:DWORD dst_unused:UNUSED_PAD src0_sel:WORD_0 src1_sel:DWORD
	v_mov_b32_e32 v29, 0x7c010000
	s_mov_b32 s33, exec_lo
	v_cmpx_ne_u32_e32 0x7f, v32
	s_cbranch_execz .LBB251_71
; %bb.68:                               ;   in Loop: Header=BB251_9 Depth=1
	v_and_b32_sdwa v29, v1, v19 dst_sel:DWORD dst_unused:UNUSED_PAD src0_sel:WORD_0 src1_sel:DWORD
	v_lshrrev_b32_e32 v31, 3, v32
	s_mov_b32 s34, exec_lo
	v_cmpx_gt_u32_e32 8, v32
; %bb.69:                               ;   in Loop: Header=BB251_9 Depth=1
	v_ffbh_u32_e32 v29, v29
	v_min_u32_e32 v29, 32, v29
	v_subrev_nc_u32_e32 v31, 28, v29
	v_lshlrev_b64 v[32:33], v31, v[1:2]
	v_sub_nc_u32_e32 v31, 29, v29
	v_and_b32_e32 v29, 7, v32
; %bb.70:                               ;   in Loop: Header=BB251_9 Depth=1
	s_or_b32 exec_lo, exec_lo, s34
	v_lshlrev_b32_sdwa v1, v20, v1 dst_sel:DWORD dst_unused:UNUSED_PAD src0_sel:DWORD src1_sel:WORD_0
	v_lshl_add_u32 v31, v31, 10, 0x2000
	v_lshlrev_b32_e32 v29, 23, v29
	v_and_or_b32 v1, 0x8000, v1, v31
	v_lshl_or_b32 v29, v1, 16, v29
.LBB251_71:                             ;   in Loop: Header=BB251_9 Depth=1
	s_or_b32 exec_lo, exec_lo, s33
.LBB251_72:                             ;   in Loop: Header=BB251_9 Depth=1
	s_or_b32 exec_lo, exec_lo, s31
.LBB251_73:                             ;   in Loop: Header=BB251_9 Depth=1
	s_or_b32 exec_lo, exec_lo, s3
	global_load_ushort v32, v[7:8], off offset:256
	v_mov_b32_e32 v31, 0
	s_waitcnt vmcnt(0)
	v_and_b32_e32 v1, 0xffff, v32
	v_cmp_ne_u16_sdwa s2, v32, v2 src0_sel:BYTE_0 src1_sel:DWORD
	v_mov_b32_e32 v32, 0
	s_and_saveexec_b32 s3, s2
	s_cbranch_execz .LBB251_81
; %bb.74:                               ;   in Loop: Header=BB251_9 Depth=1
	v_cmp_ne_u16_sdwa s2, v1, v17 src0_sel:BYTE_0 src1_sel:DWORD
	v_mov_b32_e32 v32, 0x8000
	s_and_saveexec_b32 s31, s2
	s_cbranch_execz .LBB251_80
; %bb.75:                               ;   in Loop: Header=BB251_9 Depth=1
	v_and_b32_e32 v34, 0x7f, v1
	v_mov_b32_e32 v32, 0x7c01
	s_mov_b32 s33, exec_lo
	v_cmpx_ne_u32_e32 0x7f, v34
	s_cbranch_execz .LBB251_79
; %bb.76:                               ;   in Loop: Header=BB251_9 Depth=1
	v_and_b32_e32 v32, 7, v1
	v_lshrrev_b32_e32 v33, 3, v34
	s_mov_b32 s34, exec_lo
	v_cmpx_gt_u32_e32 8, v34
; %bb.77:                               ;   in Loop: Header=BB251_9 Depth=1
	v_ffbh_u32_e32 v32, v32
	v_min_u32_e32 v34, 32, v32
	v_subrev_nc_u32_e32 v32, 28, v34
	v_lshlrev_b64 v[32:33], v32, v[1:2]
	v_sub_nc_u32_e32 v33, 29, v34
	v_and_b32_e32 v32, 7, v32
; %bb.78:                               ;   in Loop: Header=BB251_9 Depth=1
	s_or_b32 exec_lo, exec_lo, s34
	v_lshlrev_b32_e32 v34, 8, v1
	v_lshl_add_u32 v33, v33, 10, 0x2000
	v_lshlrev_b32_e32 v32, 7, v32
	v_and_b32_e32 v34, 0x8000, v34
	v_and_b32_e32 v33, 0xfc00, v33
	v_or3_b32 v32, v34, v33, v32
.LBB251_79:                             ;   in Loop: Header=BB251_9 Depth=1
	s_or_b32 exec_lo, exec_lo, s33
.LBB251_80:                             ;   in Loop: Header=BB251_9 Depth=1
	s_or_b32 exec_lo, exec_lo, s31
.LBB251_81:                             ;   in Loop: Header=BB251_9 Depth=1
	s_or_b32 exec_lo, exec_lo, s3
	v_lshrrev_b16 v1, 8, v1
	s_mov_b32 s3, exec_lo
	v_cmpx_ne_u16_e32 0, v1
	s_cbranch_execz .LBB251_89
; %bb.82:                               ;   in Loop: Header=BB251_9 Depth=1
	v_bfrev_b32_e32 v31, 1
	s_mov_b32 s31, exec_lo
	v_cmpx_ne_u16_e32 0x80, v1
	s_cbranch_execz .LBB251_88
; %bb.83:                               ;   in Loop: Header=BB251_9 Depth=1
	v_and_b32_sdwa v34, v1, v18 dst_sel:DWORD dst_unused:UNUSED_PAD src0_sel:WORD_0 src1_sel:DWORD
	v_mov_b32_e32 v31, 0x7c010000
	s_mov_b32 s33, exec_lo
	v_cmpx_ne_u32_e32 0x7f, v34
	s_cbranch_execz .LBB251_87
; %bb.84:                               ;   in Loop: Header=BB251_9 Depth=1
	v_and_b32_sdwa v31, v1, v19 dst_sel:DWORD dst_unused:UNUSED_PAD src0_sel:WORD_0 src1_sel:DWORD
	v_lshrrev_b32_e32 v33, 3, v34
	s_mov_b32 s34, exec_lo
	v_cmpx_gt_u32_e32 8, v34
; %bb.85:                               ;   in Loop: Header=BB251_9 Depth=1
	v_ffbh_u32_e32 v31, v31
	v_min_u32_e32 v31, 32, v31
	v_subrev_nc_u32_e32 v33, 28, v31
	v_lshlrev_b64 v[34:35], v33, v[1:2]
	v_sub_nc_u32_e32 v33, 29, v31
	v_and_b32_e32 v31, 7, v34
; %bb.86:                               ;   in Loop: Header=BB251_9 Depth=1
	s_or_b32 exec_lo, exec_lo, s34
	v_lshlrev_b32_sdwa v1, v20, v1 dst_sel:DWORD dst_unused:UNUSED_PAD src0_sel:DWORD src1_sel:WORD_0
	v_lshl_add_u32 v33, v33, 10, 0x2000
	v_lshlrev_b32_e32 v31, 23, v31
	v_and_or_b32 v1, 0x8000, v1, v33
	v_lshl_or_b32 v31, v1, 16, v31
.LBB251_87:                             ;   in Loop: Header=BB251_9 Depth=1
	s_or_b32 exec_lo, exec_lo, s33
.LBB251_88:                             ;   in Loop: Header=BB251_9 Depth=1
	s_or_b32 exec_lo, exec_lo, s31
.LBB251_89:                             ;   in Loop: Header=BB251_9 Depth=1
	s_or_b32 exec_lo, exec_lo, s3
	global_load_ushort v34, v[7:8], off offset:264
	v_mov_b32_e32 v33, 0
	s_waitcnt vmcnt(0)
	v_and_b32_e32 v1, 0xffff, v34
	v_cmp_ne_u16_sdwa s2, v34, v2 src0_sel:BYTE_0 src1_sel:DWORD
	v_mov_b32_e32 v34, 0
	s_and_saveexec_b32 s3, s2
	s_cbranch_execz .LBB251_97
; %bb.90:                               ;   in Loop: Header=BB251_9 Depth=1
	v_cmp_ne_u16_sdwa s2, v1, v17 src0_sel:BYTE_0 src1_sel:DWORD
	v_mov_b32_e32 v34, 0x8000
	s_and_saveexec_b32 s31, s2
	s_cbranch_execz .LBB251_96
; %bb.91:                               ;   in Loop: Header=BB251_9 Depth=1
	v_and_b32_e32 v36, 0x7f, v1
	v_mov_b32_e32 v34, 0x7c01
	s_mov_b32 s33, exec_lo
	v_cmpx_ne_u32_e32 0x7f, v36
	s_cbranch_execz .LBB251_95
; %bb.92:                               ;   in Loop: Header=BB251_9 Depth=1
	v_and_b32_e32 v34, 7, v1
	v_lshrrev_b32_e32 v35, 3, v36
	s_mov_b32 s34, exec_lo
	v_cmpx_gt_u32_e32 8, v36
; %bb.93:                               ;   in Loop: Header=BB251_9 Depth=1
	v_ffbh_u32_e32 v34, v34
	v_min_u32_e32 v36, 32, v34
	v_subrev_nc_u32_e32 v34, 28, v36
	v_lshlrev_b64 v[34:35], v34, v[1:2]
	v_sub_nc_u32_e32 v35, 29, v36
	v_and_b32_e32 v34, 7, v34
; %bb.94:                               ;   in Loop: Header=BB251_9 Depth=1
	s_or_b32 exec_lo, exec_lo, s34
	v_lshlrev_b32_e32 v36, 8, v1
	v_lshl_add_u32 v35, v35, 10, 0x2000
	v_lshlrev_b32_e32 v34, 7, v34
	v_and_b32_e32 v36, 0x8000, v36
	v_and_b32_e32 v35, 0xfc00, v35
	v_or3_b32 v34, v36, v35, v34
.LBB251_95:                             ;   in Loop: Header=BB251_9 Depth=1
	s_or_b32 exec_lo, exec_lo, s33
.LBB251_96:                             ;   in Loop: Header=BB251_9 Depth=1
	s_or_b32 exec_lo, exec_lo, s31
.LBB251_97:                             ;   in Loop: Header=BB251_9 Depth=1
	s_or_b32 exec_lo, exec_lo, s3
	v_lshrrev_b16 v1, 8, v1
	s_mov_b32 s3, exec_lo
	v_cmpx_ne_u16_e32 0, v1
	s_cbranch_execz .LBB251_105
; %bb.98:                               ;   in Loop: Header=BB251_9 Depth=1
	v_bfrev_b32_e32 v33, 1
	s_mov_b32 s31, exec_lo
	v_cmpx_ne_u16_e32 0x80, v1
	s_cbranch_execz .LBB251_104
; %bb.99:                               ;   in Loop: Header=BB251_9 Depth=1
	v_and_b32_sdwa v36, v1, v18 dst_sel:DWORD dst_unused:UNUSED_PAD src0_sel:WORD_0 src1_sel:DWORD
	v_mov_b32_e32 v33, 0x7c010000
	s_mov_b32 s33, exec_lo
	v_cmpx_ne_u32_e32 0x7f, v36
	s_cbranch_execz .LBB251_103
; %bb.100:                              ;   in Loop: Header=BB251_9 Depth=1
	v_and_b32_sdwa v33, v1, v19 dst_sel:DWORD dst_unused:UNUSED_PAD src0_sel:WORD_0 src1_sel:DWORD
	v_lshrrev_b32_e32 v35, 3, v36
	s_mov_b32 s34, exec_lo
	v_cmpx_gt_u32_e32 8, v36
; %bb.101:                              ;   in Loop: Header=BB251_9 Depth=1
	v_ffbh_u32_e32 v33, v33
	v_min_u32_e32 v33, 32, v33
	v_subrev_nc_u32_e32 v35, 28, v33
	v_lshlrev_b64 v[36:37], v35, v[1:2]
	v_sub_nc_u32_e32 v35, 29, v33
	v_and_b32_e32 v33, 7, v36
; %bb.102:                              ;   in Loop: Header=BB251_9 Depth=1
	s_or_b32 exec_lo, exec_lo, s34
	v_lshlrev_b32_sdwa v1, v20, v1 dst_sel:DWORD dst_unused:UNUSED_PAD src0_sel:DWORD src1_sel:WORD_0
	v_lshl_add_u32 v35, v35, 10, 0x2000
	v_lshlrev_b32_e32 v33, 23, v33
	v_and_or_b32 v1, 0x8000, v1, v35
	v_lshl_or_b32 v33, v1, 16, v33
.LBB251_103:                            ;   in Loop: Header=BB251_9 Depth=1
	s_or_b32 exec_lo, exec_lo, s33
.LBB251_104:                            ;   in Loop: Header=BB251_9 Depth=1
	s_or_b32 exec_lo, exec_lo, s31
.LBB251_105:                            ;   in Loop: Header=BB251_9 Depth=1
	s_or_b32 exec_lo, exec_lo, s3
	global_load_ushort v36, v[7:8], off offset:384
	v_mov_b32_e32 v35, 0
	s_waitcnt vmcnt(0)
	v_and_b32_e32 v1, 0xffff, v36
	v_cmp_ne_u16_sdwa s2, v36, v2 src0_sel:BYTE_0 src1_sel:DWORD
	v_mov_b32_e32 v36, 0
	s_and_saveexec_b32 s3, s2
	s_cbranch_execz .LBB251_113
; %bb.106:                              ;   in Loop: Header=BB251_9 Depth=1
	v_cmp_ne_u16_sdwa s2, v1, v17 src0_sel:BYTE_0 src1_sel:DWORD
	v_mov_b32_e32 v36, 0x8000
	s_and_saveexec_b32 s31, s2
	s_cbranch_execz .LBB251_112
; %bb.107:                              ;   in Loop: Header=BB251_9 Depth=1
	v_and_b32_e32 v38, 0x7f, v1
	v_mov_b32_e32 v36, 0x7c01
	s_mov_b32 s33, exec_lo
	v_cmpx_ne_u32_e32 0x7f, v38
	s_cbranch_execz .LBB251_111
; %bb.108:                              ;   in Loop: Header=BB251_9 Depth=1
	v_and_b32_e32 v36, 7, v1
	v_lshrrev_b32_e32 v37, 3, v38
	s_mov_b32 s34, exec_lo
	v_cmpx_gt_u32_e32 8, v38
; %bb.109:                              ;   in Loop: Header=BB251_9 Depth=1
	v_ffbh_u32_e32 v36, v36
	v_min_u32_e32 v38, 32, v36
	v_subrev_nc_u32_e32 v36, 28, v38
	v_lshlrev_b64 v[36:37], v36, v[1:2]
	v_sub_nc_u32_e32 v37, 29, v38
	v_and_b32_e32 v36, 7, v36
; %bb.110:                              ;   in Loop: Header=BB251_9 Depth=1
	s_or_b32 exec_lo, exec_lo, s34
	v_lshlrev_b32_e32 v38, 8, v1
	v_lshl_add_u32 v37, v37, 10, 0x2000
	v_lshlrev_b32_e32 v36, 7, v36
	v_and_b32_e32 v38, 0x8000, v38
	v_and_b32_e32 v37, 0xfc00, v37
	v_or3_b32 v36, v38, v37, v36
.LBB251_111:                            ;   in Loop: Header=BB251_9 Depth=1
	s_or_b32 exec_lo, exec_lo, s33
.LBB251_112:                            ;   in Loop: Header=BB251_9 Depth=1
	s_or_b32 exec_lo, exec_lo, s31
.LBB251_113:                            ;   in Loop: Header=BB251_9 Depth=1
	s_or_b32 exec_lo, exec_lo, s3
	v_lshrrev_b16 v1, 8, v1
	s_mov_b32 s3, exec_lo
	v_cmpx_ne_u16_e32 0, v1
	s_cbranch_execz .LBB251_121
; %bb.114:                              ;   in Loop: Header=BB251_9 Depth=1
	v_bfrev_b32_e32 v35, 1
	s_mov_b32 s31, exec_lo
	v_cmpx_ne_u16_e32 0x80, v1
	s_cbranch_execz .LBB251_120
; %bb.115:                              ;   in Loop: Header=BB251_9 Depth=1
	v_and_b32_sdwa v38, v1, v18 dst_sel:DWORD dst_unused:UNUSED_PAD src0_sel:WORD_0 src1_sel:DWORD
	v_mov_b32_e32 v35, 0x7c010000
	s_mov_b32 s33, exec_lo
	v_cmpx_ne_u32_e32 0x7f, v38
	s_cbranch_execz .LBB251_119
; %bb.116:                              ;   in Loop: Header=BB251_9 Depth=1
	v_and_b32_sdwa v35, v1, v19 dst_sel:DWORD dst_unused:UNUSED_PAD src0_sel:WORD_0 src1_sel:DWORD
	v_lshrrev_b32_e32 v37, 3, v38
	s_mov_b32 s34, exec_lo
	v_cmpx_gt_u32_e32 8, v38
; %bb.117:                              ;   in Loop: Header=BB251_9 Depth=1
	v_ffbh_u32_e32 v35, v35
	v_min_u32_e32 v35, 32, v35
	v_subrev_nc_u32_e32 v37, 28, v35
	v_lshlrev_b64 v[38:39], v37, v[1:2]
	v_sub_nc_u32_e32 v37, 29, v35
	v_and_b32_e32 v35, 7, v38
; %bb.118:                              ;   in Loop: Header=BB251_9 Depth=1
	s_or_b32 exec_lo, exec_lo, s34
	v_lshlrev_b32_sdwa v1, v20, v1 dst_sel:DWORD dst_unused:UNUSED_PAD src0_sel:DWORD src1_sel:WORD_0
	v_lshl_add_u32 v37, v37, 10, 0x2000
	v_lshlrev_b32_e32 v35, 23, v35
	v_and_or_b32 v1, 0x8000, v1, v37
	v_lshl_or_b32 v35, v1, 16, v35
.LBB251_119:                            ;   in Loop: Header=BB251_9 Depth=1
	s_or_b32 exec_lo, exec_lo, s33
.LBB251_120:                            ;   in Loop: Header=BB251_9 Depth=1
	s_or_b32 exec_lo, exec_lo, s31
.LBB251_121:                            ;   in Loop: Header=BB251_9 Depth=1
	s_or_b32 exec_lo, exec_lo, s3
	global_load_ushort v38, v[7:8], off offset:392
	v_mov_b32_e32 v37, 0
	s_waitcnt vmcnt(0)
	v_and_b32_e32 v1, 0xffff, v38
	v_cmp_ne_u16_sdwa s2, v38, v2 src0_sel:BYTE_0 src1_sel:DWORD
	v_mov_b32_e32 v38, 0
	s_and_saveexec_b32 s3, s2
	s_cbranch_execz .LBB251_129
; %bb.122:                              ;   in Loop: Header=BB251_9 Depth=1
	v_cmp_ne_u16_sdwa s2, v1, v17 src0_sel:BYTE_0 src1_sel:DWORD
	v_mov_b32_e32 v38, 0x8000
	s_and_saveexec_b32 s31, s2
	s_cbranch_execz .LBB251_128
; %bb.123:                              ;   in Loop: Header=BB251_9 Depth=1
	v_and_b32_e32 v40, 0x7f, v1
	v_mov_b32_e32 v38, 0x7c01
	s_mov_b32 s33, exec_lo
	v_cmpx_ne_u32_e32 0x7f, v40
	s_cbranch_execz .LBB251_127
; %bb.124:                              ;   in Loop: Header=BB251_9 Depth=1
	v_and_b32_e32 v38, 7, v1
	v_lshrrev_b32_e32 v39, 3, v40
	s_mov_b32 s34, exec_lo
	v_cmpx_gt_u32_e32 8, v40
; %bb.125:                              ;   in Loop: Header=BB251_9 Depth=1
	v_ffbh_u32_e32 v38, v38
	v_min_u32_e32 v40, 32, v38
	v_subrev_nc_u32_e32 v38, 28, v40
	v_lshlrev_b64 v[38:39], v38, v[1:2]
	v_sub_nc_u32_e32 v39, 29, v40
	v_and_b32_e32 v38, 7, v38
; %bb.126:                              ;   in Loop: Header=BB251_9 Depth=1
	s_or_b32 exec_lo, exec_lo, s34
	v_lshlrev_b32_e32 v40, 8, v1
	v_lshl_add_u32 v39, v39, 10, 0x2000
	v_lshlrev_b32_e32 v38, 7, v38
	v_and_b32_e32 v40, 0x8000, v40
	v_and_b32_e32 v39, 0xfc00, v39
	v_or3_b32 v38, v40, v39, v38
.LBB251_127:                            ;   in Loop: Header=BB251_9 Depth=1
	s_or_b32 exec_lo, exec_lo, s33
.LBB251_128:                            ;   in Loop: Header=BB251_9 Depth=1
	s_or_b32 exec_lo, exec_lo, s31
.LBB251_129:                            ;   in Loop: Header=BB251_9 Depth=1
	s_or_b32 exec_lo, exec_lo, s3
	v_lshrrev_b16 v1, 8, v1
	s_mov_b32 s3, exec_lo
	v_cmpx_ne_u16_e32 0, v1
	s_cbranch_execz .LBB251_137
; %bb.130:                              ;   in Loop: Header=BB251_9 Depth=1
	v_bfrev_b32_e32 v37, 1
	s_mov_b32 s31, exec_lo
	v_cmpx_ne_u16_e32 0x80, v1
	s_cbranch_execz .LBB251_136
; %bb.131:                              ;   in Loop: Header=BB251_9 Depth=1
	v_and_b32_sdwa v40, v1, v18 dst_sel:DWORD dst_unused:UNUSED_PAD src0_sel:WORD_0 src1_sel:DWORD
	v_mov_b32_e32 v37, 0x7c010000
	s_mov_b32 s33, exec_lo
	v_cmpx_ne_u32_e32 0x7f, v40
	s_cbranch_execz .LBB251_135
; %bb.132:                              ;   in Loop: Header=BB251_9 Depth=1
	v_and_b32_sdwa v37, v1, v19 dst_sel:DWORD dst_unused:UNUSED_PAD src0_sel:WORD_0 src1_sel:DWORD
	v_lshrrev_b32_e32 v39, 3, v40
	s_mov_b32 s34, exec_lo
	v_cmpx_gt_u32_e32 8, v40
; %bb.133:                              ;   in Loop: Header=BB251_9 Depth=1
	v_ffbh_u32_e32 v37, v37
	v_min_u32_e32 v37, 32, v37
	v_subrev_nc_u32_e32 v39, 28, v37
	v_lshlrev_b64 v[40:41], v39, v[1:2]
	v_sub_nc_u32_e32 v39, 29, v37
	v_and_b32_e32 v37, 7, v40
; %bb.134:                              ;   in Loop: Header=BB251_9 Depth=1
	s_or_b32 exec_lo, exec_lo, s34
	v_lshlrev_b32_sdwa v1, v20, v1 dst_sel:DWORD dst_unused:UNUSED_PAD src0_sel:DWORD src1_sel:WORD_0
	v_lshl_add_u32 v39, v39, 10, 0x2000
	v_lshlrev_b32_e32 v37, 23, v37
	v_and_or_b32 v1, 0x8000, v1, v39
	v_lshl_or_b32 v37, v1, 16, v37
.LBB251_135:                            ;   in Loop: Header=BB251_9 Depth=1
	s_or_b32 exec_lo, exec_lo, s33
.LBB251_136:                            ;   in Loop: Header=BB251_9 Depth=1
	s_or_b32 exec_lo, exec_lo, s31
.LBB251_137:                            ;   in Loop: Header=BB251_9 Depth=1
	s_or_b32 exec_lo, exec_lo, s3
	global_load_ushort v40, v[7:8], off offset:512
	v_mov_b32_e32 v39, 0
	s_waitcnt vmcnt(0)
	v_and_b32_e32 v1, 0xffff, v40
	v_cmp_ne_u16_sdwa s2, v40, v2 src0_sel:BYTE_0 src1_sel:DWORD
	v_mov_b32_e32 v40, 0
	s_and_saveexec_b32 s3, s2
	s_cbranch_execz .LBB251_145
; %bb.138:                              ;   in Loop: Header=BB251_9 Depth=1
	v_cmp_ne_u16_sdwa s2, v1, v17 src0_sel:BYTE_0 src1_sel:DWORD
	v_mov_b32_e32 v40, 0x8000
	s_and_saveexec_b32 s31, s2
	s_cbranch_execz .LBB251_144
; %bb.139:                              ;   in Loop: Header=BB251_9 Depth=1
	v_and_b32_e32 v42, 0x7f, v1
	v_mov_b32_e32 v40, 0x7c01
	s_mov_b32 s33, exec_lo
	v_cmpx_ne_u32_e32 0x7f, v42
	s_cbranch_execz .LBB251_143
; %bb.140:                              ;   in Loop: Header=BB251_9 Depth=1
	v_and_b32_e32 v40, 7, v1
	v_lshrrev_b32_e32 v41, 3, v42
	s_mov_b32 s34, exec_lo
	v_cmpx_gt_u32_e32 8, v42
; %bb.141:                              ;   in Loop: Header=BB251_9 Depth=1
	v_ffbh_u32_e32 v40, v40
	v_min_u32_e32 v42, 32, v40
	v_subrev_nc_u32_e32 v40, 28, v42
	v_lshlrev_b64 v[40:41], v40, v[1:2]
	v_sub_nc_u32_e32 v41, 29, v42
	v_and_b32_e32 v40, 7, v40
; %bb.142:                              ;   in Loop: Header=BB251_9 Depth=1
	s_or_b32 exec_lo, exec_lo, s34
	v_lshlrev_b32_e32 v42, 8, v1
	v_lshl_add_u32 v41, v41, 10, 0x2000
	v_lshlrev_b32_e32 v40, 7, v40
	v_and_b32_e32 v42, 0x8000, v42
	v_and_b32_e32 v41, 0xfc00, v41
	v_or3_b32 v40, v42, v41, v40
.LBB251_143:                            ;   in Loop: Header=BB251_9 Depth=1
	s_or_b32 exec_lo, exec_lo, s33
.LBB251_144:                            ;   in Loop: Header=BB251_9 Depth=1
	s_or_b32 exec_lo, exec_lo, s31
.LBB251_145:                            ;   in Loop: Header=BB251_9 Depth=1
	s_or_b32 exec_lo, exec_lo, s3
	v_lshrrev_b16 v1, 8, v1
	s_mov_b32 s3, exec_lo
	v_cmpx_ne_u16_e32 0, v1
	s_cbranch_execz .LBB251_153
; %bb.146:                              ;   in Loop: Header=BB251_9 Depth=1
	v_bfrev_b32_e32 v39, 1
	s_mov_b32 s31, exec_lo
	v_cmpx_ne_u16_e32 0x80, v1
	s_cbranch_execz .LBB251_152
; %bb.147:                              ;   in Loop: Header=BB251_9 Depth=1
	v_and_b32_sdwa v42, v1, v18 dst_sel:DWORD dst_unused:UNUSED_PAD src0_sel:WORD_0 src1_sel:DWORD
	v_mov_b32_e32 v39, 0x7c010000
	s_mov_b32 s33, exec_lo
	v_cmpx_ne_u32_e32 0x7f, v42
	s_cbranch_execz .LBB251_151
; %bb.148:                              ;   in Loop: Header=BB251_9 Depth=1
	v_and_b32_sdwa v39, v1, v19 dst_sel:DWORD dst_unused:UNUSED_PAD src0_sel:WORD_0 src1_sel:DWORD
	v_lshrrev_b32_e32 v41, 3, v42
	s_mov_b32 s34, exec_lo
	v_cmpx_gt_u32_e32 8, v42
; %bb.149:                              ;   in Loop: Header=BB251_9 Depth=1
	v_ffbh_u32_e32 v39, v39
	v_min_u32_e32 v39, 32, v39
	v_subrev_nc_u32_e32 v41, 28, v39
	v_lshlrev_b64 v[42:43], v41, v[1:2]
	v_sub_nc_u32_e32 v41, 29, v39
	v_and_b32_e32 v39, 7, v42
; %bb.150:                              ;   in Loop: Header=BB251_9 Depth=1
	s_or_b32 exec_lo, exec_lo, s34
	v_lshlrev_b32_sdwa v1, v20, v1 dst_sel:DWORD dst_unused:UNUSED_PAD src0_sel:DWORD src1_sel:WORD_0
	v_lshl_add_u32 v41, v41, 10, 0x2000
	v_lshlrev_b32_e32 v39, 23, v39
	v_and_or_b32 v1, 0x8000, v1, v41
	v_lshl_or_b32 v39, v1, 16, v39
.LBB251_151:                            ;   in Loop: Header=BB251_9 Depth=1
	s_or_b32 exec_lo, exec_lo, s33
.LBB251_152:                            ;   in Loop: Header=BB251_9 Depth=1
	s_or_b32 exec_lo, exec_lo, s31
.LBB251_153:                            ;   in Loop: Header=BB251_9 Depth=1
	s_or_b32 exec_lo, exec_lo, s3
	global_load_ushort v42, v[7:8], off offset:520
	v_mov_b32_e32 v41, 0
	s_waitcnt vmcnt(0)
	v_and_b32_e32 v1, 0xffff, v42
	v_cmp_ne_u16_sdwa s2, v42, v2 src0_sel:BYTE_0 src1_sel:DWORD
	v_mov_b32_e32 v42, 0
	s_and_saveexec_b32 s3, s2
	s_cbranch_execz .LBB251_161
; %bb.154:                              ;   in Loop: Header=BB251_9 Depth=1
	v_cmp_ne_u16_sdwa s2, v1, v17 src0_sel:BYTE_0 src1_sel:DWORD
	v_mov_b32_e32 v42, 0x8000
	s_and_saveexec_b32 s31, s2
	s_cbranch_execz .LBB251_160
; %bb.155:                              ;   in Loop: Header=BB251_9 Depth=1
	v_and_b32_e32 v44, 0x7f, v1
	v_mov_b32_e32 v42, 0x7c01
	s_mov_b32 s33, exec_lo
	v_cmpx_ne_u32_e32 0x7f, v44
	s_cbranch_execz .LBB251_159
; %bb.156:                              ;   in Loop: Header=BB251_9 Depth=1
	v_and_b32_e32 v42, 7, v1
	v_lshrrev_b32_e32 v43, 3, v44
	s_mov_b32 s34, exec_lo
	v_cmpx_gt_u32_e32 8, v44
; %bb.157:                              ;   in Loop: Header=BB251_9 Depth=1
	v_ffbh_u32_e32 v42, v42
	v_min_u32_e32 v44, 32, v42
	v_subrev_nc_u32_e32 v42, 28, v44
	v_lshlrev_b64 v[42:43], v42, v[1:2]
	v_sub_nc_u32_e32 v43, 29, v44
	v_and_b32_e32 v42, 7, v42
; %bb.158:                              ;   in Loop: Header=BB251_9 Depth=1
	s_or_b32 exec_lo, exec_lo, s34
	v_lshlrev_b32_e32 v44, 8, v1
	v_lshl_add_u32 v43, v43, 10, 0x2000
	v_lshlrev_b32_e32 v42, 7, v42
	v_and_b32_e32 v44, 0x8000, v44
	v_and_b32_e32 v43, 0xfc00, v43
	v_or3_b32 v42, v44, v43, v42
.LBB251_159:                            ;   in Loop: Header=BB251_9 Depth=1
	s_or_b32 exec_lo, exec_lo, s33
.LBB251_160:                            ;   in Loop: Header=BB251_9 Depth=1
	s_or_b32 exec_lo, exec_lo, s31
.LBB251_161:                            ;   in Loop: Header=BB251_9 Depth=1
	s_or_b32 exec_lo, exec_lo, s3
	v_lshrrev_b16 v1, 8, v1
	s_mov_b32 s3, exec_lo
	v_cmpx_ne_u16_e32 0, v1
	s_cbranch_execz .LBB251_169
; %bb.162:                              ;   in Loop: Header=BB251_9 Depth=1
	v_bfrev_b32_e32 v41, 1
	s_mov_b32 s31, exec_lo
	v_cmpx_ne_u16_e32 0x80, v1
	s_cbranch_execz .LBB251_168
; %bb.163:                              ;   in Loop: Header=BB251_9 Depth=1
	v_and_b32_sdwa v44, v1, v18 dst_sel:DWORD dst_unused:UNUSED_PAD src0_sel:WORD_0 src1_sel:DWORD
	v_mov_b32_e32 v41, 0x7c010000
	s_mov_b32 s33, exec_lo
	v_cmpx_ne_u32_e32 0x7f, v44
	s_cbranch_execz .LBB251_167
; %bb.164:                              ;   in Loop: Header=BB251_9 Depth=1
	v_and_b32_sdwa v41, v1, v19 dst_sel:DWORD dst_unused:UNUSED_PAD src0_sel:WORD_0 src1_sel:DWORD
	v_lshrrev_b32_e32 v43, 3, v44
	s_mov_b32 s34, exec_lo
	v_cmpx_gt_u32_e32 8, v44
; %bb.165:                              ;   in Loop: Header=BB251_9 Depth=1
	v_ffbh_u32_e32 v41, v41
	v_min_u32_e32 v41, 32, v41
	v_subrev_nc_u32_e32 v43, 28, v41
	v_lshlrev_b64 v[44:45], v43, v[1:2]
	v_sub_nc_u32_e32 v43, 29, v41
	v_and_b32_e32 v41, 7, v44
; %bb.166:                              ;   in Loop: Header=BB251_9 Depth=1
	s_or_b32 exec_lo, exec_lo, s34
	v_lshlrev_b32_sdwa v1, v20, v1 dst_sel:DWORD dst_unused:UNUSED_PAD src0_sel:DWORD src1_sel:WORD_0
	v_lshl_add_u32 v43, v43, 10, 0x2000
	v_lshlrev_b32_e32 v41, 23, v41
	v_and_or_b32 v1, 0x8000, v1, v43
	v_lshl_or_b32 v41, v1, 16, v41
.LBB251_167:                            ;   in Loop: Header=BB251_9 Depth=1
	s_or_b32 exec_lo, exec_lo, s33
.LBB251_168:                            ;   in Loop: Header=BB251_9 Depth=1
	s_or_b32 exec_lo, exec_lo, s31
.LBB251_169:                            ;   in Loop: Header=BB251_9 Depth=1
	s_or_b32 exec_lo, exec_lo, s3
	global_load_ushort v44, v[7:8], off offset:640
	v_mov_b32_e32 v43, 0
	s_waitcnt vmcnt(0)
	v_and_b32_e32 v1, 0xffff, v44
	v_cmp_ne_u16_sdwa s2, v44, v2 src0_sel:BYTE_0 src1_sel:DWORD
	v_mov_b32_e32 v44, 0
	s_and_saveexec_b32 s3, s2
	s_cbranch_execz .LBB251_177
; %bb.170:                              ;   in Loop: Header=BB251_9 Depth=1
	v_cmp_ne_u16_sdwa s2, v1, v17 src0_sel:BYTE_0 src1_sel:DWORD
	v_mov_b32_e32 v44, 0x8000
	s_and_saveexec_b32 s31, s2
	s_cbranch_execz .LBB251_176
; %bb.171:                              ;   in Loop: Header=BB251_9 Depth=1
	v_and_b32_e32 v46, 0x7f, v1
	v_mov_b32_e32 v44, 0x7c01
	s_mov_b32 s33, exec_lo
	v_cmpx_ne_u32_e32 0x7f, v46
	s_cbranch_execz .LBB251_175
; %bb.172:                              ;   in Loop: Header=BB251_9 Depth=1
	v_and_b32_e32 v44, 7, v1
	v_lshrrev_b32_e32 v45, 3, v46
	s_mov_b32 s34, exec_lo
	v_cmpx_gt_u32_e32 8, v46
; %bb.173:                              ;   in Loop: Header=BB251_9 Depth=1
	v_ffbh_u32_e32 v44, v44
	v_min_u32_e32 v46, 32, v44
	v_subrev_nc_u32_e32 v44, 28, v46
	v_lshlrev_b64 v[44:45], v44, v[1:2]
	v_sub_nc_u32_e32 v45, 29, v46
	v_and_b32_e32 v44, 7, v44
; %bb.174:                              ;   in Loop: Header=BB251_9 Depth=1
	s_or_b32 exec_lo, exec_lo, s34
	v_lshlrev_b32_e32 v46, 8, v1
	v_lshl_add_u32 v45, v45, 10, 0x2000
	v_lshlrev_b32_e32 v44, 7, v44
	v_and_b32_e32 v46, 0x8000, v46
	v_and_b32_e32 v45, 0xfc00, v45
	v_or3_b32 v44, v46, v45, v44
.LBB251_175:                            ;   in Loop: Header=BB251_9 Depth=1
	s_or_b32 exec_lo, exec_lo, s33
.LBB251_176:                            ;   in Loop: Header=BB251_9 Depth=1
	s_or_b32 exec_lo, exec_lo, s31
.LBB251_177:                            ;   in Loop: Header=BB251_9 Depth=1
	s_or_b32 exec_lo, exec_lo, s3
	v_lshrrev_b16 v1, 8, v1
	s_mov_b32 s3, exec_lo
	v_cmpx_ne_u16_e32 0, v1
	s_cbranch_execz .LBB251_185
; %bb.178:                              ;   in Loop: Header=BB251_9 Depth=1
	v_bfrev_b32_e32 v43, 1
	s_mov_b32 s31, exec_lo
	v_cmpx_ne_u16_e32 0x80, v1
	s_cbranch_execz .LBB251_184
; %bb.179:                              ;   in Loop: Header=BB251_9 Depth=1
	v_and_b32_sdwa v46, v1, v18 dst_sel:DWORD dst_unused:UNUSED_PAD src0_sel:WORD_0 src1_sel:DWORD
	v_mov_b32_e32 v43, 0x7c010000
	s_mov_b32 s33, exec_lo
	v_cmpx_ne_u32_e32 0x7f, v46
	s_cbranch_execz .LBB251_183
; %bb.180:                              ;   in Loop: Header=BB251_9 Depth=1
	v_and_b32_sdwa v43, v1, v19 dst_sel:DWORD dst_unused:UNUSED_PAD src0_sel:WORD_0 src1_sel:DWORD
	v_lshrrev_b32_e32 v45, 3, v46
	s_mov_b32 s34, exec_lo
	v_cmpx_gt_u32_e32 8, v46
; %bb.181:                              ;   in Loop: Header=BB251_9 Depth=1
	v_ffbh_u32_e32 v43, v43
	v_min_u32_e32 v43, 32, v43
	v_subrev_nc_u32_e32 v45, 28, v43
	v_lshlrev_b64 v[46:47], v45, v[1:2]
	v_sub_nc_u32_e32 v45, 29, v43
	v_and_b32_e32 v43, 7, v46
; %bb.182:                              ;   in Loop: Header=BB251_9 Depth=1
	s_or_b32 exec_lo, exec_lo, s34
	v_lshlrev_b32_sdwa v1, v20, v1 dst_sel:DWORD dst_unused:UNUSED_PAD src0_sel:DWORD src1_sel:WORD_0
	v_lshl_add_u32 v45, v45, 10, 0x2000
	v_lshlrev_b32_e32 v43, 23, v43
	v_and_or_b32 v1, 0x8000, v1, v45
	v_lshl_or_b32 v43, v1, 16, v43
.LBB251_183:                            ;   in Loop: Header=BB251_9 Depth=1
	s_or_b32 exec_lo, exec_lo, s33
.LBB251_184:                            ;   in Loop: Header=BB251_9 Depth=1
	s_or_b32 exec_lo, exec_lo, s31
.LBB251_185:                            ;   in Loop: Header=BB251_9 Depth=1
	s_or_b32 exec_lo, exec_lo, s3
	global_load_ushort v46, v[7:8], off offset:648
	v_mov_b32_e32 v45, 0
	s_waitcnt vmcnt(0)
	v_and_b32_e32 v1, 0xffff, v46
	v_cmp_ne_u16_sdwa s2, v46, v2 src0_sel:BYTE_0 src1_sel:DWORD
	v_mov_b32_e32 v46, 0
	s_and_saveexec_b32 s3, s2
	s_cbranch_execz .LBB251_193
; %bb.186:                              ;   in Loop: Header=BB251_9 Depth=1
	v_cmp_ne_u16_sdwa s2, v1, v17 src0_sel:BYTE_0 src1_sel:DWORD
	v_mov_b32_e32 v46, 0x8000
	s_and_saveexec_b32 s31, s2
	s_cbranch_execz .LBB251_192
; %bb.187:                              ;   in Loop: Header=BB251_9 Depth=1
	v_and_b32_e32 v48, 0x7f, v1
	v_mov_b32_e32 v46, 0x7c01
	s_mov_b32 s33, exec_lo
	v_cmpx_ne_u32_e32 0x7f, v48
	s_cbranch_execz .LBB251_191
; %bb.188:                              ;   in Loop: Header=BB251_9 Depth=1
	v_and_b32_e32 v46, 7, v1
	v_lshrrev_b32_e32 v47, 3, v48
	s_mov_b32 s34, exec_lo
	v_cmpx_gt_u32_e32 8, v48
; %bb.189:                              ;   in Loop: Header=BB251_9 Depth=1
	v_ffbh_u32_e32 v46, v46
	v_min_u32_e32 v48, 32, v46
	v_subrev_nc_u32_e32 v46, 28, v48
	v_lshlrev_b64 v[46:47], v46, v[1:2]
	v_sub_nc_u32_e32 v47, 29, v48
	v_and_b32_e32 v46, 7, v46
; %bb.190:                              ;   in Loop: Header=BB251_9 Depth=1
	s_or_b32 exec_lo, exec_lo, s34
	v_lshlrev_b32_e32 v48, 8, v1
	v_lshl_add_u32 v47, v47, 10, 0x2000
	v_lshlrev_b32_e32 v46, 7, v46
	v_and_b32_e32 v48, 0x8000, v48
	v_and_b32_e32 v47, 0xfc00, v47
	v_or3_b32 v46, v48, v47, v46
.LBB251_191:                            ;   in Loop: Header=BB251_9 Depth=1
	s_or_b32 exec_lo, exec_lo, s33
.LBB251_192:                            ;   in Loop: Header=BB251_9 Depth=1
	s_or_b32 exec_lo, exec_lo, s31
.LBB251_193:                            ;   in Loop: Header=BB251_9 Depth=1
	s_or_b32 exec_lo, exec_lo, s3
	v_lshrrev_b16 v1, 8, v1
	s_mov_b32 s3, exec_lo
	v_cmpx_ne_u16_e32 0, v1
	s_cbranch_execz .LBB251_201
; %bb.194:                              ;   in Loop: Header=BB251_9 Depth=1
	v_bfrev_b32_e32 v45, 1
	s_mov_b32 s31, exec_lo
	v_cmpx_ne_u16_e32 0x80, v1
	s_cbranch_execz .LBB251_200
; %bb.195:                              ;   in Loop: Header=BB251_9 Depth=1
	v_and_b32_sdwa v48, v1, v18 dst_sel:DWORD dst_unused:UNUSED_PAD src0_sel:WORD_0 src1_sel:DWORD
	v_mov_b32_e32 v45, 0x7c010000
	s_mov_b32 s33, exec_lo
	v_cmpx_ne_u32_e32 0x7f, v48
	s_cbranch_execz .LBB251_199
; %bb.196:                              ;   in Loop: Header=BB251_9 Depth=1
	v_and_b32_sdwa v45, v1, v19 dst_sel:DWORD dst_unused:UNUSED_PAD src0_sel:WORD_0 src1_sel:DWORD
	v_lshrrev_b32_e32 v47, 3, v48
	s_mov_b32 s34, exec_lo
	v_cmpx_gt_u32_e32 8, v48
; %bb.197:                              ;   in Loop: Header=BB251_9 Depth=1
	v_ffbh_u32_e32 v45, v45
	v_min_u32_e32 v45, 32, v45
	v_subrev_nc_u32_e32 v47, 28, v45
	v_lshlrev_b64 v[48:49], v47, v[1:2]
	v_sub_nc_u32_e32 v47, 29, v45
	v_and_b32_e32 v45, 7, v48
; %bb.198:                              ;   in Loop: Header=BB251_9 Depth=1
	s_or_b32 exec_lo, exec_lo, s34
	v_lshlrev_b32_sdwa v1, v20, v1 dst_sel:DWORD dst_unused:UNUSED_PAD src0_sel:DWORD src1_sel:WORD_0
	v_lshl_add_u32 v47, v47, 10, 0x2000
	v_lshlrev_b32_e32 v45, 23, v45
	v_and_or_b32 v1, 0x8000, v1, v47
	v_lshl_or_b32 v45, v1, 16, v45
.LBB251_199:                            ;   in Loop: Header=BB251_9 Depth=1
	s_or_b32 exec_lo, exec_lo, s33
.LBB251_200:                            ;   in Loop: Header=BB251_9 Depth=1
	s_or_b32 exec_lo, exec_lo, s31
.LBB251_201:                            ;   in Loop: Header=BB251_9 Depth=1
	s_or_b32 exec_lo, exec_lo, s3
	global_load_ushort v48, v[7:8], off offset:768
	v_mov_b32_e32 v47, 0
	s_waitcnt vmcnt(0)
	v_and_b32_e32 v1, 0xffff, v48
	v_cmp_ne_u16_sdwa s2, v48, v2 src0_sel:BYTE_0 src1_sel:DWORD
	v_mov_b32_e32 v48, 0
	s_and_saveexec_b32 s3, s2
	s_cbranch_execz .LBB251_209
; %bb.202:                              ;   in Loop: Header=BB251_9 Depth=1
	v_cmp_ne_u16_sdwa s2, v1, v17 src0_sel:BYTE_0 src1_sel:DWORD
	v_mov_b32_e32 v48, 0x8000
	s_and_saveexec_b32 s31, s2
	s_cbranch_execz .LBB251_208
; %bb.203:                              ;   in Loop: Header=BB251_9 Depth=1
	v_and_b32_e32 v50, 0x7f, v1
	v_mov_b32_e32 v48, 0x7c01
	s_mov_b32 s33, exec_lo
	v_cmpx_ne_u32_e32 0x7f, v50
	s_cbranch_execz .LBB251_207
; %bb.204:                              ;   in Loop: Header=BB251_9 Depth=1
	v_and_b32_e32 v48, 7, v1
	v_lshrrev_b32_e32 v49, 3, v50
	s_mov_b32 s34, exec_lo
	v_cmpx_gt_u32_e32 8, v50
; %bb.205:                              ;   in Loop: Header=BB251_9 Depth=1
	v_ffbh_u32_e32 v48, v48
	v_min_u32_e32 v50, 32, v48
	v_subrev_nc_u32_e32 v48, 28, v50
	v_lshlrev_b64 v[48:49], v48, v[1:2]
	v_sub_nc_u32_e32 v49, 29, v50
	v_and_b32_e32 v48, 7, v48
; %bb.206:                              ;   in Loop: Header=BB251_9 Depth=1
	s_or_b32 exec_lo, exec_lo, s34
	v_lshlrev_b32_e32 v50, 8, v1
	v_lshl_add_u32 v49, v49, 10, 0x2000
	v_lshlrev_b32_e32 v48, 7, v48
	v_and_b32_e32 v50, 0x8000, v50
	v_and_b32_e32 v49, 0xfc00, v49
	v_or3_b32 v48, v50, v49, v48
.LBB251_207:                            ;   in Loop: Header=BB251_9 Depth=1
	s_or_b32 exec_lo, exec_lo, s33
.LBB251_208:                            ;   in Loop: Header=BB251_9 Depth=1
	s_or_b32 exec_lo, exec_lo, s31
.LBB251_209:                            ;   in Loop: Header=BB251_9 Depth=1
	s_or_b32 exec_lo, exec_lo, s3
	v_lshrrev_b16 v1, 8, v1
	s_mov_b32 s3, exec_lo
	v_cmpx_ne_u16_e32 0, v1
	s_cbranch_execz .LBB251_217
; %bb.210:                              ;   in Loop: Header=BB251_9 Depth=1
	v_bfrev_b32_e32 v47, 1
	s_mov_b32 s31, exec_lo
	v_cmpx_ne_u16_e32 0x80, v1
	s_cbranch_execz .LBB251_216
; %bb.211:                              ;   in Loop: Header=BB251_9 Depth=1
	v_and_b32_sdwa v50, v1, v18 dst_sel:DWORD dst_unused:UNUSED_PAD src0_sel:WORD_0 src1_sel:DWORD
	v_mov_b32_e32 v47, 0x7c010000
	s_mov_b32 s33, exec_lo
	v_cmpx_ne_u32_e32 0x7f, v50
	s_cbranch_execz .LBB251_215
; %bb.212:                              ;   in Loop: Header=BB251_9 Depth=1
	v_and_b32_sdwa v47, v1, v19 dst_sel:DWORD dst_unused:UNUSED_PAD src0_sel:WORD_0 src1_sel:DWORD
	v_lshrrev_b32_e32 v49, 3, v50
	s_mov_b32 s34, exec_lo
	v_cmpx_gt_u32_e32 8, v50
; %bb.213:                              ;   in Loop: Header=BB251_9 Depth=1
	v_ffbh_u32_e32 v47, v47
	v_min_u32_e32 v47, 32, v47
	v_subrev_nc_u32_e32 v49, 28, v47
	v_lshlrev_b64 v[50:51], v49, v[1:2]
	v_sub_nc_u32_e32 v49, 29, v47
	v_and_b32_e32 v47, 7, v50
; %bb.214:                              ;   in Loop: Header=BB251_9 Depth=1
	s_or_b32 exec_lo, exec_lo, s34
	v_lshlrev_b32_sdwa v1, v20, v1 dst_sel:DWORD dst_unused:UNUSED_PAD src0_sel:DWORD src1_sel:WORD_0
	v_lshl_add_u32 v49, v49, 10, 0x2000
	v_lshlrev_b32_e32 v47, 23, v47
	v_and_or_b32 v1, 0x8000, v1, v49
	v_lshl_or_b32 v47, v1, 16, v47
.LBB251_215:                            ;   in Loop: Header=BB251_9 Depth=1
	s_or_b32 exec_lo, exec_lo, s33
.LBB251_216:                            ;   in Loop: Header=BB251_9 Depth=1
	s_or_b32 exec_lo, exec_lo, s31
.LBB251_217:                            ;   in Loop: Header=BB251_9 Depth=1
	s_or_b32 exec_lo, exec_lo, s3
	global_load_ushort v50, v[7:8], off offset:776
	v_mov_b32_e32 v49, 0
	s_waitcnt vmcnt(0)
	v_and_b32_e32 v1, 0xffff, v50
	v_cmp_ne_u16_sdwa s2, v50, v2 src0_sel:BYTE_0 src1_sel:DWORD
	v_mov_b32_e32 v50, 0
	s_and_saveexec_b32 s3, s2
	s_cbranch_execz .LBB251_225
; %bb.218:                              ;   in Loop: Header=BB251_9 Depth=1
	v_cmp_ne_u16_sdwa s2, v1, v17 src0_sel:BYTE_0 src1_sel:DWORD
	v_mov_b32_e32 v50, 0x8000
	s_and_saveexec_b32 s31, s2
	s_cbranch_execz .LBB251_224
; %bb.219:                              ;   in Loop: Header=BB251_9 Depth=1
	v_and_b32_e32 v52, 0x7f, v1
	v_mov_b32_e32 v50, 0x7c01
	s_mov_b32 s33, exec_lo
	v_cmpx_ne_u32_e32 0x7f, v52
	s_cbranch_execz .LBB251_223
; %bb.220:                              ;   in Loop: Header=BB251_9 Depth=1
	v_and_b32_e32 v50, 7, v1
	v_lshrrev_b32_e32 v51, 3, v52
	s_mov_b32 s34, exec_lo
	v_cmpx_gt_u32_e32 8, v52
; %bb.221:                              ;   in Loop: Header=BB251_9 Depth=1
	v_ffbh_u32_e32 v50, v50
	v_min_u32_e32 v52, 32, v50
	v_subrev_nc_u32_e32 v50, 28, v52
	v_lshlrev_b64 v[50:51], v50, v[1:2]
	v_sub_nc_u32_e32 v51, 29, v52
	v_and_b32_e32 v50, 7, v50
; %bb.222:                              ;   in Loop: Header=BB251_9 Depth=1
	s_or_b32 exec_lo, exec_lo, s34
	v_lshlrev_b32_e32 v52, 8, v1
	v_lshl_add_u32 v51, v51, 10, 0x2000
	v_lshlrev_b32_e32 v50, 7, v50
	v_and_b32_e32 v52, 0x8000, v52
	v_and_b32_e32 v51, 0xfc00, v51
	v_or3_b32 v50, v52, v51, v50
.LBB251_223:                            ;   in Loop: Header=BB251_9 Depth=1
	s_or_b32 exec_lo, exec_lo, s33
.LBB251_224:                            ;   in Loop: Header=BB251_9 Depth=1
	s_or_b32 exec_lo, exec_lo, s31
.LBB251_225:                            ;   in Loop: Header=BB251_9 Depth=1
	s_or_b32 exec_lo, exec_lo, s3
	v_lshrrev_b16 v1, 8, v1
	s_mov_b32 s3, exec_lo
	v_cmpx_ne_u16_e32 0, v1
	s_cbranch_execz .LBB251_233
; %bb.226:                              ;   in Loop: Header=BB251_9 Depth=1
	v_bfrev_b32_e32 v49, 1
	s_mov_b32 s31, exec_lo
	v_cmpx_ne_u16_e32 0x80, v1
	s_cbranch_execz .LBB251_232
; %bb.227:                              ;   in Loop: Header=BB251_9 Depth=1
	v_and_b32_sdwa v52, v1, v18 dst_sel:DWORD dst_unused:UNUSED_PAD src0_sel:WORD_0 src1_sel:DWORD
	v_mov_b32_e32 v49, 0x7c010000
	s_mov_b32 s33, exec_lo
	v_cmpx_ne_u32_e32 0x7f, v52
	s_cbranch_execz .LBB251_231
; %bb.228:                              ;   in Loop: Header=BB251_9 Depth=1
	v_and_b32_sdwa v49, v1, v19 dst_sel:DWORD dst_unused:UNUSED_PAD src0_sel:WORD_0 src1_sel:DWORD
	v_lshrrev_b32_e32 v51, 3, v52
	s_mov_b32 s34, exec_lo
	v_cmpx_gt_u32_e32 8, v52
; %bb.229:                              ;   in Loop: Header=BB251_9 Depth=1
	v_ffbh_u32_e32 v49, v49
	v_min_u32_e32 v49, 32, v49
	v_subrev_nc_u32_e32 v51, 28, v49
	v_lshlrev_b64 v[52:53], v51, v[1:2]
	v_sub_nc_u32_e32 v51, 29, v49
	v_and_b32_e32 v49, 7, v52
; %bb.230:                              ;   in Loop: Header=BB251_9 Depth=1
	s_or_b32 exec_lo, exec_lo, s34
	v_lshlrev_b32_sdwa v1, v20, v1 dst_sel:DWORD dst_unused:UNUSED_PAD src0_sel:DWORD src1_sel:WORD_0
	v_lshl_add_u32 v51, v51, 10, 0x2000
	v_lshlrev_b32_e32 v49, 23, v49
	v_and_or_b32 v1, 0x8000, v1, v51
	v_lshl_or_b32 v49, v1, 16, v49
.LBB251_231:                            ;   in Loop: Header=BB251_9 Depth=1
	s_or_b32 exec_lo, exec_lo, s33
.LBB251_232:                            ;   in Loop: Header=BB251_9 Depth=1
	s_or_b32 exec_lo, exec_lo, s31
.LBB251_233:                            ;   in Loop: Header=BB251_9 Depth=1
	s_or_b32 exec_lo, exec_lo, s3
	global_load_ushort v52, v[7:8], off offset:896
	v_mov_b32_e32 v51, 0
	s_waitcnt vmcnt(0)
	v_and_b32_e32 v1, 0xffff, v52
	v_cmp_ne_u16_sdwa s2, v52, v2 src0_sel:BYTE_0 src1_sel:DWORD
	v_mov_b32_e32 v52, 0
	s_and_saveexec_b32 s3, s2
	s_cbranch_execz .LBB251_241
; %bb.234:                              ;   in Loop: Header=BB251_9 Depth=1
	v_cmp_ne_u16_sdwa s2, v1, v17 src0_sel:BYTE_0 src1_sel:DWORD
	v_mov_b32_e32 v52, 0x8000
	s_and_saveexec_b32 s31, s2
	s_cbranch_execz .LBB251_240
; %bb.235:                              ;   in Loop: Header=BB251_9 Depth=1
	v_and_b32_e32 v54, 0x7f, v1
	v_mov_b32_e32 v52, 0x7c01
	s_mov_b32 s33, exec_lo
	v_cmpx_ne_u32_e32 0x7f, v54
	s_cbranch_execz .LBB251_239
; %bb.236:                              ;   in Loop: Header=BB251_9 Depth=1
	v_and_b32_e32 v52, 7, v1
	v_lshrrev_b32_e32 v53, 3, v54
	s_mov_b32 s34, exec_lo
	v_cmpx_gt_u32_e32 8, v54
; %bb.237:                              ;   in Loop: Header=BB251_9 Depth=1
	v_ffbh_u32_e32 v52, v52
	v_min_u32_e32 v54, 32, v52
	v_subrev_nc_u32_e32 v52, 28, v54
	v_lshlrev_b64 v[52:53], v52, v[1:2]
	v_sub_nc_u32_e32 v53, 29, v54
	v_and_b32_e32 v52, 7, v52
; %bb.238:                              ;   in Loop: Header=BB251_9 Depth=1
	s_or_b32 exec_lo, exec_lo, s34
	v_lshlrev_b32_e32 v54, 8, v1
	v_lshl_add_u32 v53, v53, 10, 0x2000
	v_lshlrev_b32_e32 v52, 7, v52
	v_and_b32_e32 v54, 0x8000, v54
	v_and_b32_e32 v53, 0xfc00, v53
	v_or3_b32 v52, v54, v53, v52
.LBB251_239:                            ;   in Loop: Header=BB251_9 Depth=1
	s_or_b32 exec_lo, exec_lo, s33
.LBB251_240:                            ;   in Loop: Header=BB251_9 Depth=1
	s_or_b32 exec_lo, exec_lo, s31
.LBB251_241:                            ;   in Loop: Header=BB251_9 Depth=1
	s_or_b32 exec_lo, exec_lo, s3
	v_lshrrev_b16 v1, 8, v1
	s_mov_b32 s3, exec_lo
	v_cmpx_ne_u16_e32 0, v1
	s_cbranch_execz .LBB251_249
; %bb.242:                              ;   in Loop: Header=BB251_9 Depth=1
	v_bfrev_b32_e32 v51, 1
	s_mov_b32 s31, exec_lo
	v_cmpx_ne_u16_e32 0x80, v1
	s_cbranch_execz .LBB251_248
; %bb.243:                              ;   in Loop: Header=BB251_9 Depth=1
	v_and_b32_sdwa v54, v1, v18 dst_sel:DWORD dst_unused:UNUSED_PAD src0_sel:WORD_0 src1_sel:DWORD
	v_mov_b32_e32 v51, 0x7c010000
	s_mov_b32 s33, exec_lo
	v_cmpx_ne_u32_e32 0x7f, v54
	s_cbranch_execz .LBB251_247
; %bb.244:                              ;   in Loop: Header=BB251_9 Depth=1
	v_and_b32_sdwa v51, v1, v19 dst_sel:DWORD dst_unused:UNUSED_PAD src0_sel:WORD_0 src1_sel:DWORD
	v_lshrrev_b32_e32 v53, 3, v54
	s_mov_b32 s34, exec_lo
	v_cmpx_gt_u32_e32 8, v54
; %bb.245:                              ;   in Loop: Header=BB251_9 Depth=1
	v_ffbh_u32_e32 v51, v51
	v_min_u32_e32 v51, 32, v51
	v_subrev_nc_u32_e32 v53, 28, v51
	v_lshlrev_b64 v[54:55], v53, v[1:2]
	v_sub_nc_u32_e32 v53, 29, v51
	v_and_b32_e32 v51, 7, v54
; %bb.246:                              ;   in Loop: Header=BB251_9 Depth=1
	s_or_b32 exec_lo, exec_lo, s34
	v_lshlrev_b32_sdwa v1, v20, v1 dst_sel:DWORD dst_unused:UNUSED_PAD src0_sel:DWORD src1_sel:WORD_0
	v_lshl_add_u32 v53, v53, 10, 0x2000
	v_lshlrev_b32_e32 v51, 23, v51
	v_and_or_b32 v1, 0x8000, v1, v53
	v_lshl_or_b32 v51, v1, 16, v51
.LBB251_247:                            ;   in Loop: Header=BB251_9 Depth=1
	s_or_b32 exec_lo, exec_lo, s33
.LBB251_248:                            ;   in Loop: Header=BB251_9 Depth=1
	s_or_b32 exec_lo, exec_lo, s31
.LBB251_249:                            ;   in Loop: Header=BB251_9 Depth=1
	s_or_b32 exec_lo, exec_lo, s3
	global_load_ushort v54, v[7:8], off offset:904
	v_mov_b32_e32 v53, 0
	s_waitcnt vmcnt(0)
	v_and_b32_e32 v1, 0xffff, v54
	v_cmp_ne_u16_sdwa s2, v54, v2 src0_sel:BYTE_0 src1_sel:DWORD
	v_mov_b32_e32 v54, 0
	s_and_saveexec_b32 s3, s2
	s_cbranch_execz .LBB251_257
; %bb.250:                              ;   in Loop: Header=BB251_9 Depth=1
	v_cmp_ne_u16_sdwa s2, v1, v17 src0_sel:BYTE_0 src1_sel:DWORD
	v_mov_b32_e32 v54, 0x8000
	s_and_saveexec_b32 s31, s2
	s_cbranch_execz .LBB251_256
; %bb.251:                              ;   in Loop: Header=BB251_9 Depth=1
	v_and_b32_e32 v56, 0x7f, v1
	v_mov_b32_e32 v54, 0x7c01
	s_mov_b32 s33, exec_lo
	v_cmpx_ne_u32_e32 0x7f, v56
	s_cbranch_execz .LBB251_255
; %bb.252:                              ;   in Loop: Header=BB251_9 Depth=1
	v_and_b32_e32 v54, 7, v1
	v_lshrrev_b32_e32 v55, 3, v56
	s_mov_b32 s34, exec_lo
	v_cmpx_gt_u32_e32 8, v56
; %bb.253:                              ;   in Loop: Header=BB251_9 Depth=1
	v_ffbh_u32_e32 v54, v54
	v_min_u32_e32 v56, 32, v54
	v_subrev_nc_u32_e32 v54, 28, v56
	v_lshlrev_b64 v[54:55], v54, v[1:2]
	v_sub_nc_u32_e32 v55, 29, v56
	v_and_b32_e32 v54, 7, v54
; %bb.254:                              ;   in Loop: Header=BB251_9 Depth=1
	s_or_b32 exec_lo, exec_lo, s34
	v_lshlrev_b32_e32 v56, 8, v1
	v_lshl_add_u32 v55, v55, 10, 0x2000
	v_lshlrev_b32_e32 v54, 7, v54
	v_and_b32_e32 v56, 0x8000, v56
	v_and_b32_e32 v55, 0xfc00, v55
	v_or3_b32 v54, v56, v55, v54
.LBB251_255:                            ;   in Loop: Header=BB251_9 Depth=1
	s_or_b32 exec_lo, exec_lo, s33
.LBB251_256:                            ;   in Loop: Header=BB251_9 Depth=1
	s_or_b32 exec_lo, exec_lo, s31
.LBB251_257:                            ;   in Loop: Header=BB251_9 Depth=1
	s_or_b32 exec_lo, exec_lo, s3
	v_lshrrev_b16 v1, 8, v1
	s_mov_b32 s3, exec_lo
	v_cmpx_ne_u16_e32 0, v1
	s_cbranch_execz .LBB251_265
; %bb.258:                              ;   in Loop: Header=BB251_9 Depth=1
	v_bfrev_b32_e32 v53, 1
	s_mov_b32 s31, exec_lo
	v_cmpx_ne_u16_e32 0x80, v1
	s_cbranch_execz .LBB251_264
; %bb.259:                              ;   in Loop: Header=BB251_9 Depth=1
	v_and_b32_sdwa v56, v1, v18 dst_sel:DWORD dst_unused:UNUSED_PAD src0_sel:WORD_0 src1_sel:DWORD
	v_mov_b32_e32 v53, 0x7c010000
	s_mov_b32 s33, exec_lo
	v_cmpx_ne_u32_e32 0x7f, v56
	s_cbranch_execz .LBB251_263
; %bb.260:                              ;   in Loop: Header=BB251_9 Depth=1
	v_and_b32_sdwa v53, v1, v19 dst_sel:DWORD dst_unused:UNUSED_PAD src0_sel:WORD_0 src1_sel:DWORD
	v_lshrrev_b32_e32 v55, 3, v56
	s_mov_b32 s34, exec_lo
	v_cmpx_gt_u32_e32 8, v56
; %bb.261:                              ;   in Loop: Header=BB251_9 Depth=1
	v_ffbh_u32_e32 v53, v53
	v_min_u32_e32 v53, 32, v53
	v_subrev_nc_u32_e32 v55, 28, v53
	v_lshlrev_b64 v[56:57], v55, v[1:2]
	v_sub_nc_u32_e32 v55, 29, v53
	v_and_b32_e32 v53, 7, v56
; %bb.262:                              ;   in Loop: Header=BB251_9 Depth=1
	s_or_b32 exec_lo, exec_lo, s34
	v_lshlrev_b32_sdwa v1, v20, v1 dst_sel:DWORD dst_unused:UNUSED_PAD src0_sel:DWORD src1_sel:WORD_0
	v_lshl_add_u32 v55, v55, 10, 0x2000
	v_lshlrev_b32_e32 v53, 23, v53
	v_and_or_b32 v1, 0x8000, v1, v55
	v_lshl_or_b32 v53, v1, 16, v53
.LBB251_263:                            ;   in Loop: Header=BB251_9 Depth=1
	s_or_b32 exec_lo, exec_lo, s33
.LBB251_264:                            ;   in Loop: Header=BB251_9 Depth=1
	s_or_b32 exec_lo, exec_lo, s31
.LBB251_265:                            ;   in Loop: Header=BB251_9 Depth=1
	s_or_b32 exec_lo, exec_lo, s3
	global_load_ushort v56, v[7:8], off offset:1024
	v_mov_b32_e32 v55, 0
	s_waitcnt vmcnt(0)
	v_and_b32_e32 v1, 0xffff, v56
	v_cmp_ne_u16_sdwa s2, v56, v2 src0_sel:BYTE_0 src1_sel:DWORD
	v_mov_b32_e32 v56, 0
	s_and_saveexec_b32 s3, s2
	s_cbranch_execz .LBB251_273
; %bb.266:                              ;   in Loop: Header=BB251_9 Depth=1
	v_cmp_ne_u16_sdwa s2, v1, v17 src0_sel:BYTE_0 src1_sel:DWORD
	v_mov_b32_e32 v56, 0x8000
	s_and_saveexec_b32 s31, s2
	s_cbranch_execz .LBB251_272
; %bb.267:                              ;   in Loop: Header=BB251_9 Depth=1
	v_and_b32_e32 v58, 0x7f, v1
	v_mov_b32_e32 v56, 0x7c01
	s_mov_b32 s33, exec_lo
	v_cmpx_ne_u32_e32 0x7f, v58
	s_cbranch_execz .LBB251_271
; %bb.268:                              ;   in Loop: Header=BB251_9 Depth=1
	v_and_b32_e32 v56, 7, v1
	v_lshrrev_b32_e32 v57, 3, v58
	s_mov_b32 s34, exec_lo
	v_cmpx_gt_u32_e32 8, v58
; %bb.269:                              ;   in Loop: Header=BB251_9 Depth=1
	v_ffbh_u32_e32 v56, v56
	v_min_u32_e32 v58, 32, v56
	v_subrev_nc_u32_e32 v56, 28, v58
	v_lshlrev_b64 v[56:57], v56, v[1:2]
	v_sub_nc_u32_e32 v57, 29, v58
	v_and_b32_e32 v56, 7, v56
; %bb.270:                              ;   in Loop: Header=BB251_9 Depth=1
	s_or_b32 exec_lo, exec_lo, s34
	v_lshlrev_b32_e32 v58, 8, v1
	v_lshl_add_u32 v57, v57, 10, 0x2000
	v_lshlrev_b32_e32 v56, 7, v56
	v_and_b32_e32 v58, 0x8000, v58
	v_and_b32_e32 v57, 0xfc00, v57
	v_or3_b32 v56, v58, v57, v56
.LBB251_271:                            ;   in Loop: Header=BB251_9 Depth=1
	s_or_b32 exec_lo, exec_lo, s33
.LBB251_272:                            ;   in Loop: Header=BB251_9 Depth=1
	s_or_b32 exec_lo, exec_lo, s31
.LBB251_273:                            ;   in Loop: Header=BB251_9 Depth=1
	s_or_b32 exec_lo, exec_lo, s3
	v_lshrrev_b16 v1, 8, v1
	s_mov_b32 s3, exec_lo
	v_cmpx_ne_u16_e32 0, v1
	s_cbranch_execz .LBB251_281
; %bb.274:                              ;   in Loop: Header=BB251_9 Depth=1
	v_bfrev_b32_e32 v55, 1
	s_mov_b32 s31, exec_lo
	v_cmpx_ne_u16_e32 0x80, v1
	s_cbranch_execz .LBB251_280
; %bb.275:                              ;   in Loop: Header=BB251_9 Depth=1
	v_and_b32_sdwa v58, v1, v18 dst_sel:DWORD dst_unused:UNUSED_PAD src0_sel:WORD_0 src1_sel:DWORD
	v_mov_b32_e32 v55, 0x7c010000
	s_mov_b32 s33, exec_lo
	v_cmpx_ne_u32_e32 0x7f, v58
	s_cbranch_execz .LBB251_279
; %bb.276:                              ;   in Loop: Header=BB251_9 Depth=1
	v_and_b32_sdwa v55, v1, v19 dst_sel:DWORD dst_unused:UNUSED_PAD src0_sel:WORD_0 src1_sel:DWORD
	v_lshrrev_b32_e32 v57, 3, v58
	s_mov_b32 s34, exec_lo
	v_cmpx_gt_u32_e32 8, v58
; %bb.277:                              ;   in Loop: Header=BB251_9 Depth=1
	v_ffbh_u32_e32 v55, v55
	v_min_u32_e32 v55, 32, v55
	v_subrev_nc_u32_e32 v57, 28, v55
	v_lshlrev_b64 v[58:59], v57, v[1:2]
	v_sub_nc_u32_e32 v57, 29, v55
	v_and_b32_e32 v55, 7, v58
; %bb.278:                              ;   in Loop: Header=BB251_9 Depth=1
	s_or_b32 exec_lo, exec_lo, s34
	v_lshlrev_b32_sdwa v1, v20, v1 dst_sel:DWORD dst_unused:UNUSED_PAD src0_sel:DWORD src1_sel:WORD_0
	v_lshl_add_u32 v57, v57, 10, 0x2000
	v_lshlrev_b32_e32 v55, 23, v55
	v_and_or_b32 v1, 0x8000, v1, v57
	v_lshl_or_b32 v55, v1, 16, v55
.LBB251_279:                            ;   in Loop: Header=BB251_9 Depth=1
	s_or_b32 exec_lo, exec_lo, s33
.LBB251_280:                            ;   in Loop: Header=BB251_9 Depth=1
	s_or_b32 exec_lo, exec_lo, s31
.LBB251_281:                            ;   in Loop: Header=BB251_9 Depth=1
	s_or_b32 exec_lo, exec_lo, s3
	global_load_ushort v58, v[7:8], off offset:1032
	v_mov_b32_e32 v57, 0
	s_waitcnt vmcnt(0)
	v_and_b32_e32 v1, 0xffff, v58
	v_cmp_ne_u16_sdwa s2, v58, v2 src0_sel:BYTE_0 src1_sel:DWORD
	v_mov_b32_e32 v58, 0
	s_and_saveexec_b32 s3, s2
	s_cbranch_execz .LBB251_289
; %bb.282:                              ;   in Loop: Header=BB251_9 Depth=1
	v_cmp_ne_u16_sdwa s2, v1, v17 src0_sel:BYTE_0 src1_sel:DWORD
	v_mov_b32_e32 v58, 0x8000
	s_and_saveexec_b32 s31, s2
	s_cbranch_execz .LBB251_288
; %bb.283:                              ;   in Loop: Header=BB251_9 Depth=1
	v_and_b32_e32 v60, 0x7f, v1
	v_mov_b32_e32 v58, 0x7c01
	s_mov_b32 s33, exec_lo
	v_cmpx_ne_u32_e32 0x7f, v60
	s_cbranch_execz .LBB251_287
; %bb.284:                              ;   in Loop: Header=BB251_9 Depth=1
	v_and_b32_e32 v58, 7, v1
	v_lshrrev_b32_e32 v59, 3, v60
	s_mov_b32 s34, exec_lo
	v_cmpx_gt_u32_e32 8, v60
; %bb.285:                              ;   in Loop: Header=BB251_9 Depth=1
	v_ffbh_u32_e32 v58, v58
	v_min_u32_e32 v60, 32, v58
	v_subrev_nc_u32_e32 v58, 28, v60
	v_lshlrev_b64 v[58:59], v58, v[1:2]
	v_sub_nc_u32_e32 v59, 29, v60
	v_and_b32_e32 v58, 7, v58
; %bb.286:                              ;   in Loop: Header=BB251_9 Depth=1
	s_or_b32 exec_lo, exec_lo, s34
	v_lshlrev_b32_e32 v60, 8, v1
	v_lshl_add_u32 v59, v59, 10, 0x2000
	v_lshlrev_b32_e32 v58, 7, v58
	v_and_b32_e32 v60, 0x8000, v60
	v_and_b32_e32 v59, 0xfc00, v59
	v_or3_b32 v58, v60, v59, v58
.LBB251_287:                            ;   in Loop: Header=BB251_9 Depth=1
	s_or_b32 exec_lo, exec_lo, s33
.LBB251_288:                            ;   in Loop: Header=BB251_9 Depth=1
	s_or_b32 exec_lo, exec_lo, s31
.LBB251_289:                            ;   in Loop: Header=BB251_9 Depth=1
	s_or_b32 exec_lo, exec_lo, s3
	v_lshrrev_b16 v1, 8, v1
	s_mov_b32 s3, exec_lo
	v_cmpx_ne_u16_e32 0, v1
	s_cbranch_execz .LBB251_297
; %bb.290:                              ;   in Loop: Header=BB251_9 Depth=1
	v_bfrev_b32_e32 v57, 1
	s_mov_b32 s31, exec_lo
	v_cmpx_ne_u16_e32 0x80, v1
	s_cbranch_execz .LBB251_296
; %bb.291:                              ;   in Loop: Header=BB251_9 Depth=1
	v_and_b32_sdwa v60, v1, v18 dst_sel:DWORD dst_unused:UNUSED_PAD src0_sel:WORD_0 src1_sel:DWORD
	v_mov_b32_e32 v57, 0x7c010000
	s_mov_b32 s33, exec_lo
	v_cmpx_ne_u32_e32 0x7f, v60
	s_cbranch_execz .LBB251_295
; %bb.292:                              ;   in Loop: Header=BB251_9 Depth=1
	v_and_b32_sdwa v57, v1, v19 dst_sel:DWORD dst_unused:UNUSED_PAD src0_sel:WORD_0 src1_sel:DWORD
	v_lshrrev_b32_e32 v59, 3, v60
	s_mov_b32 s34, exec_lo
	v_cmpx_gt_u32_e32 8, v60
; %bb.293:                              ;   in Loop: Header=BB251_9 Depth=1
	v_ffbh_u32_e32 v57, v57
	v_min_u32_e32 v57, 32, v57
	v_subrev_nc_u32_e32 v59, 28, v57
	v_lshlrev_b64 v[60:61], v59, v[1:2]
	v_sub_nc_u32_e32 v59, 29, v57
	v_and_b32_e32 v57, 7, v60
; %bb.294:                              ;   in Loop: Header=BB251_9 Depth=1
	s_or_b32 exec_lo, exec_lo, s34
	v_lshlrev_b32_sdwa v1, v20, v1 dst_sel:DWORD dst_unused:UNUSED_PAD src0_sel:DWORD src1_sel:WORD_0
	v_lshl_add_u32 v59, v59, 10, 0x2000
	v_lshlrev_b32_e32 v57, 23, v57
	v_and_or_b32 v1, 0x8000, v1, v59
	v_lshl_or_b32 v57, v1, 16, v57
.LBB251_295:                            ;   in Loop: Header=BB251_9 Depth=1
	s_or_b32 exec_lo, exec_lo, s33
.LBB251_296:                            ;   in Loop: Header=BB251_9 Depth=1
	s_or_b32 exec_lo, exec_lo, s31
.LBB251_297:                            ;   in Loop: Header=BB251_9 Depth=1
	s_or_b32 exec_lo, exec_lo, s3
	global_load_ushort v60, v[7:8], off offset:1152
	v_mov_b32_e32 v59, 0
	s_waitcnt vmcnt(0)
	v_and_b32_e32 v1, 0xffff, v60
	v_cmp_ne_u16_sdwa s2, v60, v2 src0_sel:BYTE_0 src1_sel:DWORD
	v_mov_b32_e32 v60, 0
	s_and_saveexec_b32 s3, s2
	s_cbranch_execz .LBB251_305
; %bb.298:                              ;   in Loop: Header=BB251_9 Depth=1
	v_cmp_ne_u16_sdwa s2, v1, v17 src0_sel:BYTE_0 src1_sel:DWORD
	v_mov_b32_e32 v60, 0x8000
	s_and_saveexec_b32 s31, s2
	s_cbranch_execz .LBB251_304
; %bb.299:                              ;   in Loop: Header=BB251_9 Depth=1
	v_and_b32_e32 v62, 0x7f, v1
	v_mov_b32_e32 v60, 0x7c01
	s_mov_b32 s33, exec_lo
	v_cmpx_ne_u32_e32 0x7f, v62
	s_cbranch_execz .LBB251_303
; %bb.300:                              ;   in Loop: Header=BB251_9 Depth=1
	v_and_b32_e32 v60, 7, v1
	v_lshrrev_b32_e32 v61, 3, v62
	s_mov_b32 s34, exec_lo
	v_cmpx_gt_u32_e32 8, v62
; %bb.301:                              ;   in Loop: Header=BB251_9 Depth=1
	v_ffbh_u32_e32 v60, v60
	v_min_u32_e32 v62, 32, v60
	v_subrev_nc_u32_e32 v60, 28, v62
	v_lshlrev_b64 v[60:61], v60, v[1:2]
	v_sub_nc_u32_e32 v61, 29, v62
	v_and_b32_e32 v60, 7, v60
; %bb.302:                              ;   in Loop: Header=BB251_9 Depth=1
	s_or_b32 exec_lo, exec_lo, s34
	v_lshlrev_b32_e32 v62, 8, v1
	v_lshl_add_u32 v61, v61, 10, 0x2000
	v_lshlrev_b32_e32 v60, 7, v60
	v_and_b32_e32 v62, 0x8000, v62
	v_and_b32_e32 v61, 0xfc00, v61
	v_or3_b32 v60, v62, v61, v60
.LBB251_303:                            ;   in Loop: Header=BB251_9 Depth=1
	s_or_b32 exec_lo, exec_lo, s33
.LBB251_304:                            ;   in Loop: Header=BB251_9 Depth=1
	s_or_b32 exec_lo, exec_lo, s31
.LBB251_305:                            ;   in Loop: Header=BB251_9 Depth=1
	s_or_b32 exec_lo, exec_lo, s3
	v_lshrrev_b16 v1, 8, v1
	s_mov_b32 s3, exec_lo
	v_cmpx_ne_u16_e32 0, v1
	s_cbranch_execz .LBB251_313
; %bb.306:                              ;   in Loop: Header=BB251_9 Depth=1
	v_bfrev_b32_e32 v59, 1
	s_mov_b32 s31, exec_lo
	v_cmpx_ne_u16_e32 0x80, v1
	s_cbranch_execz .LBB251_312
; %bb.307:                              ;   in Loop: Header=BB251_9 Depth=1
	v_and_b32_sdwa v62, v1, v18 dst_sel:DWORD dst_unused:UNUSED_PAD src0_sel:WORD_0 src1_sel:DWORD
	v_mov_b32_e32 v59, 0x7c010000
	s_mov_b32 s33, exec_lo
	v_cmpx_ne_u32_e32 0x7f, v62
	s_cbranch_execz .LBB251_311
; %bb.308:                              ;   in Loop: Header=BB251_9 Depth=1
	v_and_b32_sdwa v59, v1, v19 dst_sel:DWORD dst_unused:UNUSED_PAD src0_sel:WORD_0 src1_sel:DWORD
	v_lshrrev_b32_e32 v61, 3, v62
	s_mov_b32 s34, exec_lo
	v_cmpx_gt_u32_e32 8, v62
; %bb.309:                              ;   in Loop: Header=BB251_9 Depth=1
	v_ffbh_u32_e32 v59, v59
	v_min_u32_e32 v59, 32, v59
	v_subrev_nc_u32_e32 v61, 28, v59
	v_lshlrev_b64 v[62:63], v61, v[1:2]
	v_sub_nc_u32_e32 v61, 29, v59
	v_and_b32_e32 v59, 7, v62
; %bb.310:                              ;   in Loop: Header=BB251_9 Depth=1
	s_or_b32 exec_lo, exec_lo, s34
	v_lshlrev_b32_sdwa v1, v20, v1 dst_sel:DWORD dst_unused:UNUSED_PAD src0_sel:DWORD src1_sel:WORD_0
	v_lshl_add_u32 v61, v61, 10, 0x2000
	v_lshlrev_b32_e32 v59, 23, v59
	v_and_or_b32 v1, 0x8000, v1, v61
	v_lshl_or_b32 v59, v1, 16, v59
.LBB251_311:                            ;   in Loop: Header=BB251_9 Depth=1
	s_or_b32 exec_lo, exec_lo, s33
.LBB251_312:                            ;   in Loop: Header=BB251_9 Depth=1
	s_or_b32 exec_lo, exec_lo, s31
.LBB251_313:                            ;   in Loop: Header=BB251_9 Depth=1
	s_or_b32 exec_lo, exec_lo, s3
	global_load_ushort v62, v[7:8], off offset:1160
	v_mov_b32_e32 v61, 0
	s_waitcnt vmcnt(0)
	v_and_b32_e32 v1, 0xffff, v62
	v_cmp_ne_u16_sdwa s2, v62, v2 src0_sel:BYTE_0 src1_sel:DWORD
	v_mov_b32_e32 v62, 0
	s_and_saveexec_b32 s3, s2
	s_cbranch_execz .LBB251_321
; %bb.314:                              ;   in Loop: Header=BB251_9 Depth=1
	v_cmp_ne_u16_sdwa s2, v1, v17 src0_sel:BYTE_0 src1_sel:DWORD
	v_mov_b32_e32 v62, 0x8000
	s_and_saveexec_b32 s31, s2
	s_cbranch_execz .LBB251_320
; %bb.315:                              ;   in Loop: Header=BB251_9 Depth=1
	v_and_b32_e32 v64, 0x7f, v1
	v_mov_b32_e32 v62, 0x7c01
	s_mov_b32 s33, exec_lo
	v_cmpx_ne_u32_e32 0x7f, v64
	s_cbranch_execz .LBB251_319
; %bb.316:                              ;   in Loop: Header=BB251_9 Depth=1
	v_and_b32_e32 v62, 7, v1
	v_lshrrev_b32_e32 v63, 3, v64
	s_mov_b32 s34, exec_lo
	v_cmpx_gt_u32_e32 8, v64
; %bb.317:                              ;   in Loop: Header=BB251_9 Depth=1
	v_ffbh_u32_e32 v62, v62
	v_min_u32_e32 v64, 32, v62
	v_subrev_nc_u32_e32 v62, 28, v64
	v_lshlrev_b64 v[62:63], v62, v[1:2]
	v_sub_nc_u32_e32 v63, 29, v64
	v_and_b32_e32 v62, 7, v62
; %bb.318:                              ;   in Loop: Header=BB251_9 Depth=1
	s_or_b32 exec_lo, exec_lo, s34
	v_lshlrev_b32_e32 v64, 8, v1
	v_lshl_add_u32 v63, v63, 10, 0x2000
	v_lshlrev_b32_e32 v62, 7, v62
	v_and_b32_e32 v64, 0x8000, v64
	v_and_b32_e32 v63, 0xfc00, v63
	v_or3_b32 v62, v64, v63, v62
.LBB251_319:                            ;   in Loop: Header=BB251_9 Depth=1
	s_or_b32 exec_lo, exec_lo, s33
.LBB251_320:                            ;   in Loop: Header=BB251_9 Depth=1
	s_or_b32 exec_lo, exec_lo, s31
.LBB251_321:                            ;   in Loop: Header=BB251_9 Depth=1
	s_or_b32 exec_lo, exec_lo, s3
	v_lshrrev_b16 v1, 8, v1
	s_mov_b32 s3, exec_lo
	v_cmpx_ne_u16_e32 0, v1
	s_cbranch_execz .LBB251_329
; %bb.322:                              ;   in Loop: Header=BB251_9 Depth=1
	v_bfrev_b32_e32 v61, 1
	s_mov_b32 s31, exec_lo
	v_cmpx_ne_u16_e32 0x80, v1
	s_cbranch_execz .LBB251_328
; %bb.323:                              ;   in Loop: Header=BB251_9 Depth=1
	v_and_b32_sdwa v64, v1, v18 dst_sel:DWORD dst_unused:UNUSED_PAD src0_sel:WORD_0 src1_sel:DWORD
	v_mov_b32_e32 v61, 0x7c010000
	s_mov_b32 s33, exec_lo
	v_cmpx_ne_u32_e32 0x7f, v64
	s_cbranch_execz .LBB251_327
; %bb.324:                              ;   in Loop: Header=BB251_9 Depth=1
	v_and_b32_sdwa v61, v1, v19 dst_sel:DWORD dst_unused:UNUSED_PAD src0_sel:WORD_0 src1_sel:DWORD
	v_lshrrev_b32_e32 v63, 3, v64
	s_mov_b32 s34, exec_lo
	v_cmpx_gt_u32_e32 8, v64
; %bb.325:                              ;   in Loop: Header=BB251_9 Depth=1
	v_ffbh_u32_e32 v61, v61
	v_min_u32_e32 v61, 32, v61
	v_subrev_nc_u32_e32 v63, 28, v61
	v_lshlrev_b64 v[64:65], v63, v[1:2]
	v_sub_nc_u32_e32 v63, 29, v61
	v_and_b32_e32 v61, 7, v64
; %bb.326:                              ;   in Loop: Header=BB251_9 Depth=1
	s_or_b32 exec_lo, exec_lo, s34
	v_lshlrev_b32_sdwa v1, v20, v1 dst_sel:DWORD dst_unused:UNUSED_PAD src0_sel:DWORD src1_sel:WORD_0
	v_lshl_add_u32 v63, v63, 10, 0x2000
	v_lshlrev_b32_e32 v61, 23, v61
	v_and_or_b32 v1, 0x8000, v1, v63
	v_lshl_or_b32 v61, v1, 16, v61
.LBB251_327:                            ;   in Loop: Header=BB251_9 Depth=1
	s_or_b32 exec_lo, exec_lo, s33
.LBB251_328:                            ;   in Loop: Header=BB251_9 Depth=1
	s_or_b32 exec_lo, exec_lo, s31
.LBB251_329:                            ;   in Loop: Header=BB251_9 Depth=1
	s_or_b32 exec_lo, exec_lo, s3
	global_load_ushort v64, v[7:8], off offset:1280
	v_mov_b32_e32 v63, 0
	s_waitcnt vmcnt(0)
	v_and_b32_e32 v1, 0xffff, v64
	v_cmp_ne_u16_sdwa s2, v64, v2 src0_sel:BYTE_0 src1_sel:DWORD
	v_mov_b32_e32 v64, 0
	s_and_saveexec_b32 s3, s2
	s_cbranch_execz .LBB251_337
; %bb.330:                              ;   in Loop: Header=BB251_9 Depth=1
	v_cmp_ne_u16_sdwa s2, v1, v17 src0_sel:BYTE_0 src1_sel:DWORD
	v_mov_b32_e32 v64, 0x8000
	s_and_saveexec_b32 s31, s2
	s_cbranch_execz .LBB251_336
; %bb.331:                              ;   in Loop: Header=BB251_9 Depth=1
	v_and_b32_e32 v66, 0x7f, v1
	v_mov_b32_e32 v64, 0x7c01
	s_mov_b32 s33, exec_lo
	v_cmpx_ne_u32_e32 0x7f, v66
	s_cbranch_execz .LBB251_335
; %bb.332:                              ;   in Loop: Header=BB251_9 Depth=1
	v_and_b32_e32 v64, 7, v1
	v_lshrrev_b32_e32 v65, 3, v66
	s_mov_b32 s34, exec_lo
	v_cmpx_gt_u32_e32 8, v66
; %bb.333:                              ;   in Loop: Header=BB251_9 Depth=1
	v_ffbh_u32_e32 v64, v64
	v_min_u32_e32 v66, 32, v64
	v_subrev_nc_u32_e32 v64, 28, v66
	v_lshlrev_b64 v[64:65], v64, v[1:2]
	v_sub_nc_u32_e32 v65, 29, v66
	v_and_b32_e32 v64, 7, v64
; %bb.334:                              ;   in Loop: Header=BB251_9 Depth=1
	s_or_b32 exec_lo, exec_lo, s34
	v_lshlrev_b32_e32 v66, 8, v1
	v_lshl_add_u32 v65, v65, 10, 0x2000
	v_lshlrev_b32_e32 v64, 7, v64
	v_and_b32_e32 v66, 0x8000, v66
	v_and_b32_e32 v65, 0xfc00, v65
	v_or3_b32 v64, v66, v65, v64
.LBB251_335:                            ;   in Loop: Header=BB251_9 Depth=1
	s_or_b32 exec_lo, exec_lo, s33
.LBB251_336:                            ;   in Loop: Header=BB251_9 Depth=1
	s_or_b32 exec_lo, exec_lo, s31
.LBB251_337:                            ;   in Loop: Header=BB251_9 Depth=1
	s_or_b32 exec_lo, exec_lo, s3
	v_lshrrev_b16 v1, 8, v1
	s_mov_b32 s3, exec_lo
	v_cmpx_ne_u16_e32 0, v1
	s_cbranch_execz .LBB251_345
; %bb.338:                              ;   in Loop: Header=BB251_9 Depth=1
	v_bfrev_b32_e32 v63, 1
	s_mov_b32 s31, exec_lo
	v_cmpx_ne_u16_e32 0x80, v1
	s_cbranch_execz .LBB251_344
; %bb.339:                              ;   in Loop: Header=BB251_9 Depth=1
	v_and_b32_sdwa v66, v1, v18 dst_sel:DWORD dst_unused:UNUSED_PAD src0_sel:WORD_0 src1_sel:DWORD
	v_mov_b32_e32 v63, 0x7c010000
	s_mov_b32 s33, exec_lo
	v_cmpx_ne_u32_e32 0x7f, v66
	s_cbranch_execz .LBB251_343
; %bb.340:                              ;   in Loop: Header=BB251_9 Depth=1
	v_and_b32_sdwa v63, v1, v19 dst_sel:DWORD dst_unused:UNUSED_PAD src0_sel:WORD_0 src1_sel:DWORD
	v_lshrrev_b32_e32 v65, 3, v66
	s_mov_b32 s34, exec_lo
	v_cmpx_gt_u32_e32 8, v66
; %bb.341:                              ;   in Loop: Header=BB251_9 Depth=1
	v_ffbh_u32_e32 v63, v63
	v_min_u32_e32 v63, 32, v63
	v_subrev_nc_u32_e32 v65, 28, v63
	v_lshlrev_b64 v[66:67], v65, v[1:2]
	v_sub_nc_u32_e32 v65, 29, v63
	v_and_b32_e32 v63, 7, v66
; %bb.342:                              ;   in Loop: Header=BB251_9 Depth=1
	s_or_b32 exec_lo, exec_lo, s34
	v_lshlrev_b32_sdwa v1, v20, v1 dst_sel:DWORD dst_unused:UNUSED_PAD src0_sel:DWORD src1_sel:WORD_0
	v_lshl_add_u32 v65, v65, 10, 0x2000
	v_lshlrev_b32_e32 v63, 23, v63
	v_and_or_b32 v1, 0x8000, v1, v65
	v_lshl_or_b32 v63, v1, 16, v63
.LBB251_343:                            ;   in Loop: Header=BB251_9 Depth=1
	s_or_b32 exec_lo, exec_lo, s33
.LBB251_344:                            ;   in Loop: Header=BB251_9 Depth=1
	s_or_b32 exec_lo, exec_lo, s31
.LBB251_345:                            ;   in Loop: Header=BB251_9 Depth=1
	s_or_b32 exec_lo, exec_lo, s3
	global_load_ushort v66, v[7:8], off offset:1288
	v_mov_b32_e32 v65, 0
	s_waitcnt vmcnt(0)
	v_and_b32_e32 v1, 0xffff, v66
	v_cmp_ne_u16_sdwa s2, v66, v2 src0_sel:BYTE_0 src1_sel:DWORD
	v_mov_b32_e32 v66, 0
	s_and_saveexec_b32 s3, s2
	s_cbranch_execz .LBB251_353
; %bb.346:                              ;   in Loop: Header=BB251_9 Depth=1
	v_cmp_ne_u16_sdwa s2, v1, v17 src0_sel:BYTE_0 src1_sel:DWORD
	v_mov_b32_e32 v66, 0x8000
	s_and_saveexec_b32 s31, s2
	s_cbranch_execz .LBB251_352
; %bb.347:                              ;   in Loop: Header=BB251_9 Depth=1
	v_and_b32_e32 v68, 0x7f, v1
	v_mov_b32_e32 v66, 0x7c01
	s_mov_b32 s33, exec_lo
	v_cmpx_ne_u32_e32 0x7f, v68
	s_cbranch_execz .LBB251_351
; %bb.348:                              ;   in Loop: Header=BB251_9 Depth=1
	v_and_b32_e32 v66, 7, v1
	v_lshrrev_b32_e32 v67, 3, v68
	s_mov_b32 s34, exec_lo
	v_cmpx_gt_u32_e32 8, v68
; %bb.349:                              ;   in Loop: Header=BB251_9 Depth=1
	v_ffbh_u32_e32 v66, v66
	v_min_u32_e32 v68, 32, v66
	v_subrev_nc_u32_e32 v66, 28, v68
	v_lshlrev_b64 v[66:67], v66, v[1:2]
	v_sub_nc_u32_e32 v67, 29, v68
	v_and_b32_e32 v66, 7, v66
; %bb.350:                              ;   in Loop: Header=BB251_9 Depth=1
	s_or_b32 exec_lo, exec_lo, s34
	v_lshlrev_b32_e32 v68, 8, v1
	v_lshl_add_u32 v67, v67, 10, 0x2000
	v_lshlrev_b32_e32 v66, 7, v66
	v_and_b32_e32 v68, 0x8000, v68
	v_and_b32_e32 v67, 0xfc00, v67
	v_or3_b32 v66, v68, v67, v66
.LBB251_351:                            ;   in Loop: Header=BB251_9 Depth=1
	s_or_b32 exec_lo, exec_lo, s33
.LBB251_352:                            ;   in Loop: Header=BB251_9 Depth=1
	s_or_b32 exec_lo, exec_lo, s31
.LBB251_353:                            ;   in Loop: Header=BB251_9 Depth=1
	s_or_b32 exec_lo, exec_lo, s3
	v_lshrrev_b16 v1, 8, v1
	s_mov_b32 s3, exec_lo
	v_cmpx_ne_u16_e32 0, v1
	s_cbranch_execz .LBB251_361
; %bb.354:                              ;   in Loop: Header=BB251_9 Depth=1
	v_bfrev_b32_e32 v65, 1
	s_mov_b32 s31, exec_lo
	v_cmpx_ne_u16_e32 0x80, v1
	s_cbranch_execz .LBB251_360
; %bb.355:                              ;   in Loop: Header=BB251_9 Depth=1
	v_and_b32_sdwa v68, v1, v18 dst_sel:DWORD dst_unused:UNUSED_PAD src0_sel:WORD_0 src1_sel:DWORD
	v_mov_b32_e32 v65, 0x7c010000
	s_mov_b32 s33, exec_lo
	v_cmpx_ne_u32_e32 0x7f, v68
	s_cbranch_execz .LBB251_359
; %bb.356:                              ;   in Loop: Header=BB251_9 Depth=1
	v_and_b32_sdwa v65, v1, v19 dst_sel:DWORD dst_unused:UNUSED_PAD src0_sel:WORD_0 src1_sel:DWORD
	v_lshrrev_b32_e32 v67, 3, v68
	s_mov_b32 s34, exec_lo
	v_cmpx_gt_u32_e32 8, v68
; %bb.357:                              ;   in Loop: Header=BB251_9 Depth=1
	v_ffbh_u32_e32 v65, v65
	v_min_u32_e32 v65, 32, v65
	v_subrev_nc_u32_e32 v67, 28, v65
	v_lshlrev_b64 v[68:69], v67, v[1:2]
	v_sub_nc_u32_e32 v67, 29, v65
	v_and_b32_e32 v65, 7, v68
; %bb.358:                              ;   in Loop: Header=BB251_9 Depth=1
	s_or_b32 exec_lo, exec_lo, s34
	v_lshlrev_b32_sdwa v1, v20, v1 dst_sel:DWORD dst_unused:UNUSED_PAD src0_sel:DWORD src1_sel:WORD_0
	v_lshl_add_u32 v67, v67, 10, 0x2000
	v_lshlrev_b32_e32 v65, 23, v65
	v_and_or_b32 v1, 0x8000, v1, v67
	v_lshl_or_b32 v65, v1, 16, v65
.LBB251_359:                            ;   in Loop: Header=BB251_9 Depth=1
	s_or_b32 exec_lo, exec_lo, s33
.LBB251_360:                            ;   in Loop: Header=BB251_9 Depth=1
	s_or_b32 exec_lo, exec_lo, s31
.LBB251_361:                            ;   in Loop: Header=BB251_9 Depth=1
	s_or_b32 exec_lo, exec_lo, s3
	global_load_ushort v68, v[7:8], off offset:1408
	v_mov_b32_e32 v67, 0
	s_waitcnt vmcnt(0)
	v_and_b32_e32 v1, 0xffff, v68
	v_cmp_ne_u16_sdwa s2, v68, v2 src0_sel:BYTE_0 src1_sel:DWORD
	v_mov_b32_e32 v68, 0
	s_and_saveexec_b32 s3, s2
	s_cbranch_execz .LBB251_369
; %bb.362:                              ;   in Loop: Header=BB251_9 Depth=1
	v_cmp_ne_u16_sdwa s2, v1, v17 src0_sel:BYTE_0 src1_sel:DWORD
	v_mov_b32_e32 v68, 0x8000
	s_and_saveexec_b32 s31, s2
	s_cbranch_execz .LBB251_368
; %bb.363:                              ;   in Loop: Header=BB251_9 Depth=1
	v_and_b32_e32 v70, 0x7f, v1
	v_mov_b32_e32 v68, 0x7c01
	s_mov_b32 s33, exec_lo
	v_cmpx_ne_u32_e32 0x7f, v70
	s_cbranch_execz .LBB251_367
; %bb.364:                              ;   in Loop: Header=BB251_9 Depth=1
	v_and_b32_e32 v68, 7, v1
	v_lshrrev_b32_e32 v69, 3, v70
	s_mov_b32 s34, exec_lo
	v_cmpx_gt_u32_e32 8, v70
; %bb.365:                              ;   in Loop: Header=BB251_9 Depth=1
	v_ffbh_u32_e32 v68, v68
	v_min_u32_e32 v70, 32, v68
	v_subrev_nc_u32_e32 v68, 28, v70
	v_lshlrev_b64 v[68:69], v68, v[1:2]
	v_sub_nc_u32_e32 v69, 29, v70
	v_and_b32_e32 v68, 7, v68
; %bb.366:                              ;   in Loop: Header=BB251_9 Depth=1
	s_or_b32 exec_lo, exec_lo, s34
	v_lshlrev_b32_e32 v70, 8, v1
	v_lshl_add_u32 v69, v69, 10, 0x2000
	v_lshlrev_b32_e32 v68, 7, v68
	v_and_b32_e32 v70, 0x8000, v70
	v_and_b32_e32 v69, 0xfc00, v69
	v_or3_b32 v68, v70, v69, v68
.LBB251_367:                            ;   in Loop: Header=BB251_9 Depth=1
	s_or_b32 exec_lo, exec_lo, s33
.LBB251_368:                            ;   in Loop: Header=BB251_9 Depth=1
	s_or_b32 exec_lo, exec_lo, s31
.LBB251_369:                            ;   in Loop: Header=BB251_9 Depth=1
	s_or_b32 exec_lo, exec_lo, s3
	v_lshrrev_b16 v1, 8, v1
	s_mov_b32 s3, exec_lo
	v_cmpx_ne_u16_e32 0, v1
	s_cbranch_execz .LBB251_377
; %bb.370:                              ;   in Loop: Header=BB251_9 Depth=1
	v_bfrev_b32_e32 v67, 1
	s_mov_b32 s31, exec_lo
	v_cmpx_ne_u16_e32 0x80, v1
	s_cbranch_execz .LBB251_376
; %bb.371:                              ;   in Loop: Header=BB251_9 Depth=1
	v_and_b32_sdwa v70, v1, v18 dst_sel:DWORD dst_unused:UNUSED_PAD src0_sel:WORD_0 src1_sel:DWORD
	v_mov_b32_e32 v67, 0x7c010000
	s_mov_b32 s33, exec_lo
	v_cmpx_ne_u32_e32 0x7f, v70
	s_cbranch_execz .LBB251_375
; %bb.372:                              ;   in Loop: Header=BB251_9 Depth=1
	v_and_b32_sdwa v67, v1, v19 dst_sel:DWORD dst_unused:UNUSED_PAD src0_sel:WORD_0 src1_sel:DWORD
	v_lshrrev_b32_e32 v69, 3, v70
	s_mov_b32 s34, exec_lo
	v_cmpx_gt_u32_e32 8, v70
; %bb.373:                              ;   in Loop: Header=BB251_9 Depth=1
	v_ffbh_u32_e32 v67, v67
	v_min_u32_e32 v67, 32, v67
	v_subrev_nc_u32_e32 v69, 28, v67
	v_lshlrev_b64 v[70:71], v69, v[1:2]
	v_sub_nc_u32_e32 v69, 29, v67
	v_and_b32_e32 v67, 7, v70
; %bb.374:                              ;   in Loop: Header=BB251_9 Depth=1
	s_or_b32 exec_lo, exec_lo, s34
	v_lshlrev_b32_sdwa v1, v20, v1 dst_sel:DWORD dst_unused:UNUSED_PAD src0_sel:DWORD src1_sel:WORD_0
	v_lshl_add_u32 v69, v69, 10, 0x2000
	v_lshlrev_b32_e32 v67, 23, v67
	v_and_or_b32 v1, 0x8000, v1, v69
	v_lshl_or_b32 v67, v1, 16, v67
.LBB251_375:                            ;   in Loop: Header=BB251_9 Depth=1
	s_or_b32 exec_lo, exec_lo, s33
.LBB251_376:                            ;   in Loop: Header=BB251_9 Depth=1
	s_or_b32 exec_lo, exec_lo, s31
.LBB251_377:                            ;   in Loop: Header=BB251_9 Depth=1
	s_or_b32 exec_lo, exec_lo, s3
	global_load_ushort v70, v[7:8], off offset:1416
	v_mov_b32_e32 v69, 0
	s_waitcnt vmcnt(0)
	v_and_b32_e32 v1, 0xffff, v70
	v_cmp_ne_u16_sdwa s2, v70, v2 src0_sel:BYTE_0 src1_sel:DWORD
	v_mov_b32_e32 v70, 0
	s_and_saveexec_b32 s3, s2
	s_cbranch_execz .LBB251_385
; %bb.378:                              ;   in Loop: Header=BB251_9 Depth=1
	v_cmp_ne_u16_sdwa s2, v1, v17 src0_sel:BYTE_0 src1_sel:DWORD
	v_mov_b32_e32 v70, 0x8000
	s_and_saveexec_b32 s31, s2
	s_cbranch_execz .LBB251_384
; %bb.379:                              ;   in Loop: Header=BB251_9 Depth=1
	v_and_b32_e32 v72, 0x7f, v1
	v_mov_b32_e32 v70, 0x7c01
	s_mov_b32 s33, exec_lo
	v_cmpx_ne_u32_e32 0x7f, v72
	s_cbranch_execz .LBB251_383
; %bb.380:                              ;   in Loop: Header=BB251_9 Depth=1
	v_and_b32_e32 v70, 7, v1
	v_lshrrev_b32_e32 v71, 3, v72
	s_mov_b32 s34, exec_lo
	v_cmpx_gt_u32_e32 8, v72
; %bb.381:                              ;   in Loop: Header=BB251_9 Depth=1
	v_ffbh_u32_e32 v70, v70
	v_min_u32_e32 v72, 32, v70
	v_subrev_nc_u32_e32 v70, 28, v72
	v_lshlrev_b64 v[70:71], v70, v[1:2]
	v_sub_nc_u32_e32 v71, 29, v72
	v_and_b32_e32 v70, 7, v70
; %bb.382:                              ;   in Loop: Header=BB251_9 Depth=1
	s_or_b32 exec_lo, exec_lo, s34
	v_lshlrev_b32_e32 v72, 8, v1
	v_lshl_add_u32 v71, v71, 10, 0x2000
	v_lshlrev_b32_e32 v70, 7, v70
	v_and_b32_e32 v72, 0x8000, v72
	v_and_b32_e32 v71, 0xfc00, v71
	v_or3_b32 v70, v72, v71, v70
.LBB251_383:                            ;   in Loop: Header=BB251_9 Depth=1
	s_or_b32 exec_lo, exec_lo, s33
.LBB251_384:                            ;   in Loop: Header=BB251_9 Depth=1
	s_or_b32 exec_lo, exec_lo, s31
.LBB251_385:                            ;   in Loop: Header=BB251_9 Depth=1
	s_or_b32 exec_lo, exec_lo, s3
	v_lshrrev_b16 v1, 8, v1
	s_mov_b32 s3, exec_lo
	v_cmpx_ne_u16_e32 0, v1
	s_cbranch_execz .LBB251_393
; %bb.386:                              ;   in Loop: Header=BB251_9 Depth=1
	v_bfrev_b32_e32 v69, 1
	s_mov_b32 s31, exec_lo
	v_cmpx_ne_u16_e32 0x80, v1
	s_cbranch_execz .LBB251_392
; %bb.387:                              ;   in Loop: Header=BB251_9 Depth=1
	v_and_b32_sdwa v72, v1, v18 dst_sel:DWORD dst_unused:UNUSED_PAD src0_sel:WORD_0 src1_sel:DWORD
	v_mov_b32_e32 v69, 0x7c010000
	s_mov_b32 s33, exec_lo
	v_cmpx_ne_u32_e32 0x7f, v72
	s_cbranch_execz .LBB251_391
; %bb.388:                              ;   in Loop: Header=BB251_9 Depth=1
	v_and_b32_sdwa v69, v1, v19 dst_sel:DWORD dst_unused:UNUSED_PAD src0_sel:WORD_0 src1_sel:DWORD
	v_lshrrev_b32_e32 v71, 3, v72
	s_mov_b32 s34, exec_lo
	v_cmpx_gt_u32_e32 8, v72
; %bb.389:                              ;   in Loop: Header=BB251_9 Depth=1
	v_ffbh_u32_e32 v69, v69
	v_min_u32_e32 v69, 32, v69
	v_subrev_nc_u32_e32 v71, 28, v69
	v_lshlrev_b64 v[72:73], v71, v[1:2]
	v_sub_nc_u32_e32 v71, 29, v69
	v_and_b32_e32 v69, 7, v72
; %bb.390:                              ;   in Loop: Header=BB251_9 Depth=1
	s_or_b32 exec_lo, exec_lo, s34
	v_lshlrev_b32_sdwa v1, v20, v1 dst_sel:DWORD dst_unused:UNUSED_PAD src0_sel:DWORD src1_sel:WORD_0
	v_lshl_add_u32 v71, v71, 10, 0x2000
	v_lshlrev_b32_e32 v69, 23, v69
	v_and_or_b32 v1, 0x8000, v1, v71
	v_lshl_or_b32 v69, v1, 16, v69
.LBB251_391:                            ;   in Loop: Header=BB251_9 Depth=1
	s_or_b32 exec_lo, exec_lo, s33
.LBB251_392:                            ;   in Loop: Header=BB251_9 Depth=1
	s_or_b32 exec_lo, exec_lo, s31
.LBB251_393:                            ;   in Loop: Header=BB251_9 Depth=1
	s_or_b32 exec_lo, exec_lo, s3
	global_load_ushort v72, v[7:8], off offset:1536
	v_mov_b32_e32 v71, 0
	s_waitcnt vmcnt(0)
	v_and_b32_e32 v1, 0xffff, v72
	v_cmp_ne_u16_sdwa s2, v72, v2 src0_sel:BYTE_0 src1_sel:DWORD
	v_mov_b32_e32 v72, 0
	s_and_saveexec_b32 s3, s2
	s_cbranch_execz .LBB251_401
; %bb.394:                              ;   in Loop: Header=BB251_9 Depth=1
	v_cmp_ne_u16_sdwa s2, v1, v17 src0_sel:BYTE_0 src1_sel:DWORD
	v_mov_b32_e32 v72, 0x8000
	s_and_saveexec_b32 s31, s2
	s_cbranch_execz .LBB251_400
; %bb.395:                              ;   in Loop: Header=BB251_9 Depth=1
	v_and_b32_e32 v74, 0x7f, v1
	v_mov_b32_e32 v72, 0x7c01
	s_mov_b32 s33, exec_lo
	v_cmpx_ne_u32_e32 0x7f, v74
	s_cbranch_execz .LBB251_399
; %bb.396:                              ;   in Loop: Header=BB251_9 Depth=1
	v_and_b32_e32 v72, 7, v1
	v_lshrrev_b32_e32 v73, 3, v74
	s_mov_b32 s34, exec_lo
	v_cmpx_gt_u32_e32 8, v74
; %bb.397:                              ;   in Loop: Header=BB251_9 Depth=1
	v_ffbh_u32_e32 v72, v72
	v_min_u32_e32 v74, 32, v72
	v_subrev_nc_u32_e32 v72, 28, v74
	v_lshlrev_b64 v[72:73], v72, v[1:2]
	v_sub_nc_u32_e32 v73, 29, v74
	v_and_b32_e32 v72, 7, v72
; %bb.398:                              ;   in Loop: Header=BB251_9 Depth=1
	s_or_b32 exec_lo, exec_lo, s34
	v_lshlrev_b32_e32 v74, 8, v1
	v_lshl_add_u32 v73, v73, 10, 0x2000
	v_lshlrev_b32_e32 v72, 7, v72
	v_and_b32_e32 v74, 0x8000, v74
	v_and_b32_e32 v73, 0xfc00, v73
	v_or3_b32 v72, v74, v73, v72
.LBB251_399:                            ;   in Loop: Header=BB251_9 Depth=1
	s_or_b32 exec_lo, exec_lo, s33
.LBB251_400:                            ;   in Loop: Header=BB251_9 Depth=1
	s_or_b32 exec_lo, exec_lo, s31
.LBB251_401:                            ;   in Loop: Header=BB251_9 Depth=1
	s_or_b32 exec_lo, exec_lo, s3
	v_lshrrev_b16 v1, 8, v1
	s_mov_b32 s3, exec_lo
	v_cmpx_ne_u16_e32 0, v1
	s_cbranch_execz .LBB251_409
; %bb.402:                              ;   in Loop: Header=BB251_9 Depth=1
	v_bfrev_b32_e32 v71, 1
	s_mov_b32 s31, exec_lo
	v_cmpx_ne_u16_e32 0x80, v1
	s_cbranch_execz .LBB251_408
; %bb.403:                              ;   in Loop: Header=BB251_9 Depth=1
	v_and_b32_sdwa v74, v1, v18 dst_sel:DWORD dst_unused:UNUSED_PAD src0_sel:WORD_0 src1_sel:DWORD
	v_mov_b32_e32 v71, 0x7c010000
	s_mov_b32 s33, exec_lo
	v_cmpx_ne_u32_e32 0x7f, v74
	s_cbranch_execz .LBB251_407
; %bb.404:                              ;   in Loop: Header=BB251_9 Depth=1
	v_and_b32_sdwa v71, v1, v19 dst_sel:DWORD dst_unused:UNUSED_PAD src0_sel:WORD_0 src1_sel:DWORD
	v_lshrrev_b32_e32 v73, 3, v74
	s_mov_b32 s34, exec_lo
	v_cmpx_gt_u32_e32 8, v74
; %bb.405:                              ;   in Loop: Header=BB251_9 Depth=1
	v_ffbh_u32_e32 v71, v71
	v_min_u32_e32 v71, 32, v71
	v_subrev_nc_u32_e32 v73, 28, v71
	v_lshlrev_b64 v[74:75], v73, v[1:2]
	v_sub_nc_u32_e32 v73, 29, v71
	v_and_b32_e32 v71, 7, v74
; %bb.406:                              ;   in Loop: Header=BB251_9 Depth=1
	s_or_b32 exec_lo, exec_lo, s34
	v_lshlrev_b32_sdwa v1, v20, v1 dst_sel:DWORD dst_unused:UNUSED_PAD src0_sel:DWORD src1_sel:WORD_0
	v_lshl_add_u32 v73, v73, 10, 0x2000
	v_lshlrev_b32_e32 v71, 23, v71
	v_and_or_b32 v1, 0x8000, v1, v73
	v_lshl_or_b32 v71, v1, 16, v71
.LBB251_407:                            ;   in Loop: Header=BB251_9 Depth=1
	s_or_b32 exec_lo, exec_lo, s33
.LBB251_408:                            ;   in Loop: Header=BB251_9 Depth=1
	s_or_b32 exec_lo, exec_lo, s31
.LBB251_409:                            ;   in Loop: Header=BB251_9 Depth=1
	s_or_b32 exec_lo, exec_lo, s3
	global_load_ushort v74, v[7:8], off offset:1544
	v_mov_b32_e32 v73, 0
	s_waitcnt vmcnt(0)
	v_and_b32_e32 v1, 0xffff, v74
	v_cmp_ne_u16_sdwa s2, v74, v2 src0_sel:BYTE_0 src1_sel:DWORD
	v_mov_b32_e32 v74, 0
	s_and_saveexec_b32 s3, s2
	s_cbranch_execz .LBB251_417
; %bb.410:                              ;   in Loop: Header=BB251_9 Depth=1
	v_cmp_ne_u16_sdwa s2, v1, v17 src0_sel:BYTE_0 src1_sel:DWORD
	v_mov_b32_e32 v74, 0x8000
	s_and_saveexec_b32 s31, s2
	s_cbranch_execz .LBB251_416
; %bb.411:                              ;   in Loop: Header=BB251_9 Depth=1
	v_and_b32_e32 v76, 0x7f, v1
	v_mov_b32_e32 v74, 0x7c01
	s_mov_b32 s33, exec_lo
	v_cmpx_ne_u32_e32 0x7f, v76
	s_cbranch_execz .LBB251_415
; %bb.412:                              ;   in Loop: Header=BB251_9 Depth=1
	v_and_b32_e32 v74, 7, v1
	v_lshrrev_b32_e32 v75, 3, v76
	s_mov_b32 s34, exec_lo
	v_cmpx_gt_u32_e32 8, v76
; %bb.413:                              ;   in Loop: Header=BB251_9 Depth=1
	v_ffbh_u32_e32 v74, v74
	v_min_u32_e32 v76, 32, v74
	v_subrev_nc_u32_e32 v74, 28, v76
	v_lshlrev_b64 v[74:75], v74, v[1:2]
	v_sub_nc_u32_e32 v75, 29, v76
	v_and_b32_e32 v74, 7, v74
; %bb.414:                              ;   in Loop: Header=BB251_9 Depth=1
	s_or_b32 exec_lo, exec_lo, s34
	v_lshlrev_b32_e32 v76, 8, v1
	v_lshl_add_u32 v75, v75, 10, 0x2000
	v_lshlrev_b32_e32 v74, 7, v74
	v_and_b32_e32 v76, 0x8000, v76
	v_and_b32_e32 v75, 0xfc00, v75
	v_or3_b32 v74, v76, v75, v74
.LBB251_415:                            ;   in Loop: Header=BB251_9 Depth=1
	s_or_b32 exec_lo, exec_lo, s33
.LBB251_416:                            ;   in Loop: Header=BB251_9 Depth=1
	s_or_b32 exec_lo, exec_lo, s31
.LBB251_417:                            ;   in Loop: Header=BB251_9 Depth=1
	s_or_b32 exec_lo, exec_lo, s3
	v_lshrrev_b16 v1, 8, v1
	s_mov_b32 s3, exec_lo
	v_cmpx_ne_u16_e32 0, v1
	s_cbranch_execz .LBB251_425
; %bb.418:                              ;   in Loop: Header=BB251_9 Depth=1
	v_bfrev_b32_e32 v73, 1
	s_mov_b32 s31, exec_lo
	v_cmpx_ne_u16_e32 0x80, v1
	s_cbranch_execz .LBB251_424
; %bb.419:                              ;   in Loop: Header=BB251_9 Depth=1
	v_and_b32_sdwa v76, v1, v18 dst_sel:DWORD dst_unused:UNUSED_PAD src0_sel:WORD_0 src1_sel:DWORD
	v_mov_b32_e32 v73, 0x7c010000
	s_mov_b32 s33, exec_lo
	v_cmpx_ne_u32_e32 0x7f, v76
	s_cbranch_execz .LBB251_423
; %bb.420:                              ;   in Loop: Header=BB251_9 Depth=1
	v_and_b32_sdwa v73, v1, v19 dst_sel:DWORD dst_unused:UNUSED_PAD src0_sel:WORD_0 src1_sel:DWORD
	v_lshrrev_b32_e32 v75, 3, v76
	s_mov_b32 s34, exec_lo
	v_cmpx_gt_u32_e32 8, v76
; %bb.421:                              ;   in Loop: Header=BB251_9 Depth=1
	v_ffbh_u32_e32 v73, v73
	v_min_u32_e32 v73, 32, v73
	v_subrev_nc_u32_e32 v75, 28, v73
	v_lshlrev_b64 v[76:77], v75, v[1:2]
	v_sub_nc_u32_e32 v75, 29, v73
	v_and_b32_e32 v73, 7, v76
; %bb.422:                              ;   in Loop: Header=BB251_9 Depth=1
	s_or_b32 exec_lo, exec_lo, s34
	v_lshlrev_b32_sdwa v1, v20, v1 dst_sel:DWORD dst_unused:UNUSED_PAD src0_sel:DWORD src1_sel:WORD_0
	v_lshl_add_u32 v75, v75, 10, 0x2000
	v_lshlrev_b32_e32 v73, 23, v73
	v_and_or_b32 v1, 0x8000, v1, v75
	v_lshl_or_b32 v73, v1, 16, v73
.LBB251_423:                            ;   in Loop: Header=BB251_9 Depth=1
	s_or_b32 exec_lo, exec_lo, s33
.LBB251_424:                            ;   in Loop: Header=BB251_9 Depth=1
	s_or_b32 exec_lo, exec_lo, s31
.LBB251_425:                            ;   in Loop: Header=BB251_9 Depth=1
	s_or_b32 exec_lo, exec_lo, s3
	global_load_ushort v76, v[7:8], off offset:1664
	v_mov_b32_e32 v75, 0
	s_waitcnt vmcnt(0)
	v_and_b32_e32 v1, 0xffff, v76
	v_cmp_ne_u16_sdwa s2, v76, v2 src0_sel:BYTE_0 src1_sel:DWORD
	v_mov_b32_e32 v76, 0
	s_and_saveexec_b32 s3, s2
	s_cbranch_execz .LBB251_433
; %bb.426:                              ;   in Loop: Header=BB251_9 Depth=1
	v_cmp_ne_u16_sdwa s2, v1, v17 src0_sel:BYTE_0 src1_sel:DWORD
	v_mov_b32_e32 v76, 0x8000
	s_and_saveexec_b32 s31, s2
	s_cbranch_execz .LBB251_432
; %bb.427:                              ;   in Loop: Header=BB251_9 Depth=1
	v_and_b32_e32 v78, 0x7f, v1
	v_mov_b32_e32 v76, 0x7c01
	s_mov_b32 s33, exec_lo
	v_cmpx_ne_u32_e32 0x7f, v78
	s_cbranch_execz .LBB251_431
; %bb.428:                              ;   in Loop: Header=BB251_9 Depth=1
	v_and_b32_e32 v76, 7, v1
	v_lshrrev_b32_e32 v77, 3, v78
	s_mov_b32 s34, exec_lo
	v_cmpx_gt_u32_e32 8, v78
; %bb.429:                              ;   in Loop: Header=BB251_9 Depth=1
	v_ffbh_u32_e32 v76, v76
	v_min_u32_e32 v78, 32, v76
	v_subrev_nc_u32_e32 v76, 28, v78
	v_lshlrev_b64 v[76:77], v76, v[1:2]
	v_sub_nc_u32_e32 v77, 29, v78
	v_and_b32_e32 v76, 7, v76
; %bb.430:                              ;   in Loop: Header=BB251_9 Depth=1
	s_or_b32 exec_lo, exec_lo, s34
	v_lshlrev_b32_e32 v78, 8, v1
	v_lshl_add_u32 v77, v77, 10, 0x2000
	v_lshlrev_b32_e32 v76, 7, v76
	v_and_b32_e32 v78, 0x8000, v78
	v_and_b32_e32 v77, 0xfc00, v77
	v_or3_b32 v76, v78, v77, v76
.LBB251_431:                            ;   in Loop: Header=BB251_9 Depth=1
	s_or_b32 exec_lo, exec_lo, s33
.LBB251_432:                            ;   in Loop: Header=BB251_9 Depth=1
	s_or_b32 exec_lo, exec_lo, s31
.LBB251_433:                            ;   in Loop: Header=BB251_9 Depth=1
	s_or_b32 exec_lo, exec_lo, s3
	v_lshrrev_b16 v1, 8, v1
	s_mov_b32 s3, exec_lo
	v_cmpx_ne_u16_e32 0, v1
	s_cbranch_execz .LBB251_441
; %bb.434:                              ;   in Loop: Header=BB251_9 Depth=1
	v_bfrev_b32_e32 v75, 1
	s_mov_b32 s31, exec_lo
	v_cmpx_ne_u16_e32 0x80, v1
	s_cbranch_execz .LBB251_440
; %bb.435:                              ;   in Loop: Header=BB251_9 Depth=1
	v_and_b32_sdwa v78, v1, v18 dst_sel:DWORD dst_unused:UNUSED_PAD src0_sel:WORD_0 src1_sel:DWORD
	v_mov_b32_e32 v75, 0x7c010000
	s_mov_b32 s33, exec_lo
	v_cmpx_ne_u32_e32 0x7f, v78
	s_cbranch_execz .LBB251_439
; %bb.436:                              ;   in Loop: Header=BB251_9 Depth=1
	v_and_b32_sdwa v75, v1, v19 dst_sel:DWORD dst_unused:UNUSED_PAD src0_sel:WORD_0 src1_sel:DWORD
	v_lshrrev_b32_e32 v77, 3, v78
	s_mov_b32 s34, exec_lo
	v_cmpx_gt_u32_e32 8, v78
; %bb.437:                              ;   in Loop: Header=BB251_9 Depth=1
	v_ffbh_u32_e32 v75, v75
	v_min_u32_e32 v75, 32, v75
	v_subrev_nc_u32_e32 v77, 28, v75
	v_lshlrev_b64 v[78:79], v77, v[1:2]
	v_sub_nc_u32_e32 v77, 29, v75
	v_and_b32_e32 v75, 7, v78
; %bb.438:                              ;   in Loop: Header=BB251_9 Depth=1
	s_or_b32 exec_lo, exec_lo, s34
	v_lshlrev_b32_sdwa v1, v20, v1 dst_sel:DWORD dst_unused:UNUSED_PAD src0_sel:DWORD src1_sel:WORD_0
	v_lshl_add_u32 v77, v77, 10, 0x2000
	v_lshlrev_b32_e32 v75, 23, v75
	v_and_or_b32 v1, 0x8000, v1, v77
	v_lshl_or_b32 v75, v1, 16, v75
.LBB251_439:                            ;   in Loop: Header=BB251_9 Depth=1
	s_or_b32 exec_lo, exec_lo, s33
.LBB251_440:                            ;   in Loop: Header=BB251_9 Depth=1
	s_or_b32 exec_lo, exec_lo, s31
.LBB251_441:                            ;   in Loop: Header=BB251_9 Depth=1
	s_or_b32 exec_lo, exec_lo, s3
	global_load_ushort v78, v[7:8], off offset:1672
	v_mov_b32_e32 v77, 0
	s_waitcnt vmcnt(0)
	v_and_b32_e32 v1, 0xffff, v78
	v_cmp_ne_u16_sdwa s2, v78, v2 src0_sel:BYTE_0 src1_sel:DWORD
	v_mov_b32_e32 v78, 0
	s_and_saveexec_b32 s3, s2
	s_cbranch_execz .LBB251_449
; %bb.442:                              ;   in Loop: Header=BB251_9 Depth=1
	v_cmp_ne_u16_sdwa s2, v1, v17 src0_sel:BYTE_0 src1_sel:DWORD
	v_mov_b32_e32 v78, 0x8000
	s_and_saveexec_b32 s31, s2
	s_cbranch_execz .LBB251_448
; %bb.443:                              ;   in Loop: Header=BB251_9 Depth=1
	v_and_b32_e32 v80, 0x7f, v1
	v_mov_b32_e32 v78, 0x7c01
	s_mov_b32 s33, exec_lo
	v_cmpx_ne_u32_e32 0x7f, v80
	s_cbranch_execz .LBB251_447
; %bb.444:                              ;   in Loop: Header=BB251_9 Depth=1
	v_and_b32_e32 v78, 7, v1
	v_lshrrev_b32_e32 v79, 3, v80
	s_mov_b32 s34, exec_lo
	v_cmpx_gt_u32_e32 8, v80
; %bb.445:                              ;   in Loop: Header=BB251_9 Depth=1
	v_ffbh_u32_e32 v78, v78
	v_min_u32_e32 v80, 32, v78
	v_subrev_nc_u32_e32 v78, 28, v80
	v_lshlrev_b64 v[78:79], v78, v[1:2]
	v_sub_nc_u32_e32 v79, 29, v80
	v_and_b32_e32 v78, 7, v78
; %bb.446:                              ;   in Loop: Header=BB251_9 Depth=1
	s_or_b32 exec_lo, exec_lo, s34
	v_lshlrev_b32_e32 v80, 8, v1
	v_lshl_add_u32 v79, v79, 10, 0x2000
	v_lshlrev_b32_e32 v78, 7, v78
	v_and_b32_e32 v80, 0x8000, v80
	v_and_b32_e32 v79, 0xfc00, v79
	v_or3_b32 v78, v80, v79, v78
.LBB251_447:                            ;   in Loop: Header=BB251_9 Depth=1
	s_or_b32 exec_lo, exec_lo, s33
.LBB251_448:                            ;   in Loop: Header=BB251_9 Depth=1
	s_or_b32 exec_lo, exec_lo, s31
.LBB251_449:                            ;   in Loop: Header=BB251_9 Depth=1
	s_or_b32 exec_lo, exec_lo, s3
	v_lshrrev_b16 v1, 8, v1
	s_mov_b32 s3, exec_lo
	v_cmpx_ne_u16_e32 0, v1
	s_cbranch_execz .LBB251_457
; %bb.450:                              ;   in Loop: Header=BB251_9 Depth=1
	v_bfrev_b32_e32 v77, 1
	s_mov_b32 s31, exec_lo
	v_cmpx_ne_u16_e32 0x80, v1
	s_cbranch_execz .LBB251_456
; %bb.451:                              ;   in Loop: Header=BB251_9 Depth=1
	v_and_b32_sdwa v80, v1, v18 dst_sel:DWORD dst_unused:UNUSED_PAD src0_sel:WORD_0 src1_sel:DWORD
	v_mov_b32_e32 v77, 0x7c010000
	s_mov_b32 s33, exec_lo
	v_cmpx_ne_u32_e32 0x7f, v80
	s_cbranch_execz .LBB251_455
; %bb.452:                              ;   in Loop: Header=BB251_9 Depth=1
	v_and_b32_sdwa v77, v1, v19 dst_sel:DWORD dst_unused:UNUSED_PAD src0_sel:WORD_0 src1_sel:DWORD
	v_lshrrev_b32_e32 v79, 3, v80
	s_mov_b32 s34, exec_lo
	v_cmpx_gt_u32_e32 8, v80
; %bb.453:                              ;   in Loop: Header=BB251_9 Depth=1
	v_ffbh_u32_e32 v77, v77
	v_min_u32_e32 v77, 32, v77
	v_subrev_nc_u32_e32 v79, 28, v77
	v_lshlrev_b64 v[80:81], v79, v[1:2]
	v_sub_nc_u32_e32 v79, 29, v77
	v_and_b32_e32 v77, 7, v80
; %bb.454:                              ;   in Loop: Header=BB251_9 Depth=1
	s_or_b32 exec_lo, exec_lo, s34
	v_lshlrev_b32_sdwa v1, v20, v1 dst_sel:DWORD dst_unused:UNUSED_PAD src0_sel:DWORD src1_sel:WORD_0
	v_lshl_add_u32 v79, v79, 10, 0x2000
	v_lshlrev_b32_e32 v77, 23, v77
	v_and_or_b32 v1, 0x8000, v1, v79
	v_lshl_or_b32 v77, v1, 16, v77
.LBB251_455:                            ;   in Loop: Header=BB251_9 Depth=1
	s_or_b32 exec_lo, exec_lo, s33
.LBB251_456:                            ;   in Loop: Header=BB251_9 Depth=1
	s_or_b32 exec_lo, exec_lo, s31
.LBB251_457:                            ;   in Loop: Header=BB251_9 Depth=1
	s_or_b32 exec_lo, exec_lo, s3
	global_load_ushort v80, v[7:8], off offset:1792
	v_mov_b32_e32 v79, 0
	s_waitcnt vmcnt(0)
	v_and_b32_e32 v1, 0xffff, v80
	v_cmp_ne_u16_sdwa s2, v80, v2 src0_sel:BYTE_0 src1_sel:DWORD
	v_mov_b32_e32 v80, 0
	s_and_saveexec_b32 s3, s2
	s_cbranch_execz .LBB251_465
; %bb.458:                              ;   in Loop: Header=BB251_9 Depth=1
	v_cmp_ne_u16_sdwa s2, v1, v17 src0_sel:BYTE_0 src1_sel:DWORD
	v_mov_b32_e32 v80, 0x8000
	s_and_saveexec_b32 s31, s2
	s_cbranch_execz .LBB251_464
; %bb.459:                              ;   in Loop: Header=BB251_9 Depth=1
	v_and_b32_e32 v82, 0x7f, v1
	v_mov_b32_e32 v80, 0x7c01
	s_mov_b32 s33, exec_lo
	v_cmpx_ne_u32_e32 0x7f, v82
	s_cbranch_execz .LBB251_463
; %bb.460:                              ;   in Loop: Header=BB251_9 Depth=1
	v_and_b32_e32 v80, 7, v1
	v_lshrrev_b32_e32 v81, 3, v82
	s_mov_b32 s34, exec_lo
	v_cmpx_gt_u32_e32 8, v82
; %bb.461:                              ;   in Loop: Header=BB251_9 Depth=1
	v_ffbh_u32_e32 v80, v80
	v_min_u32_e32 v82, 32, v80
	v_subrev_nc_u32_e32 v80, 28, v82
	v_lshlrev_b64 v[80:81], v80, v[1:2]
	v_sub_nc_u32_e32 v81, 29, v82
	v_and_b32_e32 v80, 7, v80
; %bb.462:                              ;   in Loop: Header=BB251_9 Depth=1
	s_or_b32 exec_lo, exec_lo, s34
	v_lshlrev_b32_e32 v82, 8, v1
	v_lshl_add_u32 v81, v81, 10, 0x2000
	v_lshlrev_b32_e32 v80, 7, v80
	v_and_b32_e32 v82, 0x8000, v82
	v_and_b32_e32 v81, 0xfc00, v81
	v_or3_b32 v80, v82, v81, v80
.LBB251_463:                            ;   in Loop: Header=BB251_9 Depth=1
	s_or_b32 exec_lo, exec_lo, s33
.LBB251_464:                            ;   in Loop: Header=BB251_9 Depth=1
	s_or_b32 exec_lo, exec_lo, s31
.LBB251_465:                            ;   in Loop: Header=BB251_9 Depth=1
	s_or_b32 exec_lo, exec_lo, s3
	v_lshrrev_b16 v1, 8, v1
	s_mov_b32 s3, exec_lo
	v_cmpx_ne_u16_e32 0, v1
	s_cbranch_execz .LBB251_473
; %bb.466:                              ;   in Loop: Header=BB251_9 Depth=1
	v_bfrev_b32_e32 v79, 1
	s_mov_b32 s31, exec_lo
	v_cmpx_ne_u16_e32 0x80, v1
	s_cbranch_execz .LBB251_472
; %bb.467:                              ;   in Loop: Header=BB251_9 Depth=1
	v_and_b32_sdwa v82, v1, v18 dst_sel:DWORD dst_unused:UNUSED_PAD src0_sel:WORD_0 src1_sel:DWORD
	v_mov_b32_e32 v79, 0x7c010000
	s_mov_b32 s33, exec_lo
	v_cmpx_ne_u32_e32 0x7f, v82
	s_cbranch_execz .LBB251_471
; %bb.468:                              ;   in Loop: Header=BB251_9 Depth=1
	v_and_b32_sdwa v79, v1, v19 dst_sel:DWORD dst_unused:UNUSED_PAD src0_sel:WORD_0 src1_sel:DWORD
	v_lshrrev_b32_e32 v81, 3, v82
	s_mov_b32 s34, exec_lo
	v_cmpx_gt_u32_e32 8, v82
; %bb.469:                              ;   in Loop: Header=BB251_9 Depth=1
	v_ffbh_u32_e32 v79, v79
	v_min_u32_e32 v79, 32, v79
	v_subrev_nc_u32_e32 v81, 28, v79
	v_lshlrev_b64 v[82:83], v81, v[1:2]
	v_sub_nc_u32_e32 v81, 29, v79
	v_and_b32_e32 v79, 7, v82
; %bb.470:                              ;   in Loop: Header=BB251_9 Depth=1
	s_or_b32 exec_lo, exec_lo, s34
	v_lshlrev_b32_sdwa v1, v20, v1 dst_sel:DWORD dst_unused:UNUSED_PAD src0_sel:DWORD src1_sel:WORD_0
	v_lshl_add_u32 v81, v81, 10, 0x2000
	v_lshlrev_b32_e32 v79, 23, v79
	v_and_or_b32 v1, 0x8000, v1, v81
	v_lshl_or_b32 v79, v1, 16, v79
.LBB251_471:                            ;   in Loop: Header=BB251_9 Depth=1
	s_or_b32 exec_lo, exec_lo, s33
.LBB251_472:                            ;   in Loop: Header=BB251_9 Depth=1
	s_or_b32 exec_lo, exec_lo, s31
.LBB251_473:                            ;   in Loop: Header=BB251_9 Depth=1
	s_or_b32 exec_lo, exec_lo, s3
	global_load_ushort v82, v[7:8], off offset:1800
	v_mov_b32_e32 v81, 0
	s_waitcnt vmcnt(0)
	v_and_b32_e32 v1, 0xffff, v82
	v_cmp_ne_u16_sdwa s2, v82, v2 src0_sel:BYTE_0 src1_sel:DWORD
	v_mov_b32_e32 v82, 0
	s_and_saveexec_b32 s3, s2
	s_cbranch_execz .LBB251_481
; %bb.474:                              ;   in Loop: Header=BB251_9 Depth=1
	v_cmp_ne_u16_sdwa s2, v1, v17 src0_sel:BYTE_0 src1_sel:DWORD
	v_mov_b32_e32 v82, 0x8000
	s_and_saveexec_b32 s31, s2
	s_cbranch_execz .LBB251_480
; %bb.475:                              ;   in Loop: Header=BB251_9 Depth=1
	v_and_b32_e32 v84, 0x7f, v1
	v_mov_b32_e32 v82, 0x7c01
	s_mov_b32 s33, exec_lo
	v_cmpx_ne_u32_e32 0x7f, v84
	s_cbranch_execz .LBB251_479
; %bb.476:                              ;   in Loop: Header=BB251_9 Depth=1
	v_and_b32_e32 v82, 7, v1
	v_lshrrev_b32_e32 v83, 3, v84
	s_mov_b32 s34, exec_lo
	v_cmpx_gt_u32_e32 8, v84
; %bb.477:                              ;   in Loop: Header=BB251_9 Depth=1
	v_ffbh_u32_e32 v82, v82
	v_min_u32_e32 v84, 32, v82
	v_subrev_nc_u32_e32 v82, 28, v84
	v_lshlrev_b64 v[82:83], v82, v[1:2]
	v_sub_nc_u32_e32 v83, 29, v84
	v_and_b32_e32 v82, 7, v82
; %bb.478:                              ;   in Loop: Header=BB251_9 Depth=1
	s_or_b32 exec_lo, exec_lo, s34
	v_lshlrev_b32_e32 v84, 8, v1
	v_lshl_add_u32 v83, v83, 10, 0x2000
	v_lshlrev_b32_e32 v82, 7, v82
	v_and_b32_e32 v84, 0x8000, v84
	v_and_b32_e32 v83, 0xfc00, v83
	v_or3_b32 v82, v84, v83, v82
.LBB251_479:                            ;   in Loop: Header=BB251_9 Depth=1
	s_or_b32 exec_lo, exec_lo, s33
.LBB251_480:                            ;   in Loop: Header=BB251_9 Depth=1
	s_or_b32 exec_lo, exec_lo, s31
.LBB251_481:                            ;   in Loop: Header=BB251_9 Depth=1
	s_or_b32 exec_lo, exec_lo, s3
	v_lshrrev_b16 v1, 8, v1
	s_mov_b32 s3, exec_lo
	v_cmpx_ne_u16_e32 0, v1
	s_cbranch_execz .LBB251_489
; %bb.482:                              ;   in Loop: Header=BB251_9 Depth=1
	v_bfrev_b32_e32 v81, 1
	s_mov_b32 s31, exec_lo
	v_cmpx_ne_u16_e32 0x80, v1
	s_cbranch_execz .LBB251_488
; %bb.483:                              ;   in Loop: Header=BB251_9 Depth=1
	v_and_b32_sdwa v84, v1, v18 dst_sel:DWORD dst_unused:UNUSED_PAD src0_sel:WORD_0 src1_sel:DWORD
	v_mov_b32_e32 v81, 0x7c010000
	s_mov_b32 s33, exec_lo
	v_cmpx_ne_u32_e32 0x7f, v84
	s_cbranch_execz .LBB251_487
; %bb.484:                              ;   in Loop: Header=BB251_9 Depth=1
	v_and_b32_sdwa v81, v1, v19 dst_sel:DWORD dst_unused:UNUSED_PAD src0_sel:WORD_0 src1_sel:DWORD
	v_lshrrev_b32_e32 v83, 3, v84
	s_mov_b32 s34, exec_lo
	v_cmpx_gt_u32_e32 8, v84
; %bb.485:                              ;   in Loop: Header=BB251_9 Depth=1
	v_ffbh_u32_e32 v81, v81
	v_min_u32_e32 v81, 32, v81
	v_subrev_nc_u32_e32 v83, 28, v81
	v_lshlrev_b64 v[84:85], v83, v[1:2]
	v_sub_nc_u32_e32 v83, 29, v81
	v_and_b32_e32 v81, 7, v84
; %bb.486:                              ;   in Loop: Header=BB251_9 Depth=1
	s_or_b32 exec_lo, exec_lo, s34
	v_lshlrev_b32_sdwa v1, v20, v1 dst_sel:DWORD dst_unused:UNUSED_PAD src0_sel:DWORD src1_sel:WORD_0
	v_lshl_add_u32 v83, v83, 10, 0x2000
	v_lshlrev_b32_e32 v81, 23, v81
	v_and_or_b32 v1, 0x8000, v1, v83
	v_lshl_or_b32 v81, v1, 16, v81
.LBB251_487:                            ;   in Loop: Header=BB251_9 Depth=1
	s_or_b32 exec_lo, exec_lo, s33
.LBB251_488:                            ;   in Loop: Header=BB251_9 Depth=1
	s_or_b32 exec_lo, exec_lo, s31
.LBB251_489:                            ;   in Loop: Header=BB251_9 Depth=1
	s_or_b32 exec_lo, exec_lo, s3
	global_load_ushort v84, v[7:8], off offset:1920
	v_mov_b32_e32 v83, 0
	s_waitcnt vmcnt(0)
	v_and_b32_e32 v1, 0xffff, v84
	v_cmp_ne_u16_sdwa s2, v84, v2 src0_sel:BYTE_0 src1_sel:DWORD
	v_mov_b32_e32 v84, 0
	s_and_saveexec_b32 s3, s2
	s_cbranch_execz .LBB251_497
; %bb.490:                              ;   in Loop: Header=BB251_9 Depth=1
	v_cmp_ne_u16_sdwa s2, v1, v17 src0_sel:BYTE_0 src1_sel:DWORD
	v_mov_b32_e32 v84, 0x8000
	s_and_saveexec_b32 s31, s2
	s_cbranch_execz .LBB251_496
; %bb.491:                              ;   in Loop: Header=BB251_9 Depth=1
	v_and_b32_e32 v86, 0x7f, v1
	v_mov_b32_e32 v84, 0x7c01
	s_mov_b32 s33, exec_lo
	v_cmpx_ne_u32_e32 0x7f, v86
	s_cbranch_execz .LBB251_495
; %bb.492:                              ;   in Loop: Header=BB251_9 Depth=1
	v_and_b32_e32 v84, 7, v1
	v_lshrrev_b32_e32 v85, 3, v86
	s_mov_b32 s34, exec_lo
	v_cmpx_gt_u32_e32 8, v86
; %bb.493:                              ;   in Loop: Header=BB251_9 Depth=1
	v_ffbh_u32_e32 v84, v84
	v_min_u32_e32 v86, 32, v84
	v_subrev_nc_u32_e32 v84, 28, v86
	v_lshlrev_b64 v[84:85], v84, v[1:2]
	v_sub_nc_u32_e32 v85, 29, v86
	v_and_b32_e32 v84, 7, v84
; %bb.494:                              ;   in Loop: Header=BB251_9 Depth=1
	s_or_b32 exec_lo, exec_lo, s34
	v_lshlrev_b32_e32 v86, 8, v1
	v_lshl_add_u32 v85, v85, 10, 0x2000
	v_lshlrev_b32_e32 v84, 7, v84
	v_and_b32_e32 v86, 0x8000, v86
	v_and_b32_e32 v85, 0xfc00, v85
	v_or3_b32 v84, v86, v85, v84
.LBB251_495:                            ;   in Loop: Header=BB251_9 Depth=1
	s_or_b32 exec_lo, exec_lo, s33
.LBB251_496:                            ;   in Loop: Header=BB251_9 Depth=1
	s_or_b32 exec_lo, exec_lo, s31
.LBB251_497:                            ;   in Loop: Header=BB251_9 Depth=1
	s_or_b32 exec_lo, exec_lo, s3
	v_lshrrev_b16 v1, 8, v1
	s_mov_b32 s3, exec_lo
	v_cmpx_ne_u16_e32 0, v1
	s_cbranch_execz .LBB251_505
; %bb.498:                              ;   in Loop: Header=BB251_9 Depth=1
	v_bfrev_b32_e32 v83, 1
	s_mov_b32 s31, exec_lo
	v_cmpx_ne_u16_e32 0x80, v1
	s_cbranch_execz .LBB251_504
; %bb.499:                              ;   in Loop: Header=BB251_9 Depth=1
	v_and_b32_sdwa v86, v1, v18 dst_sel:DWORD dst_unused:UNUSED_PAD src0_sel:WORD_0 src1_sel:DWORD
	v_mov_b32_e32 v83, 0x7c010000
	s_mov_b32 s33, exec_lo
	v_cmpx_ne_u32_e32 0x7f, v86
	s_cbranch_execz .LBB251_503
; %bb.500:                              ;   in Loop: Header=BB251_9 Depth=1
	v_and_b32_sdwa v83, v1, v19 dst_sel:DWORD dst_unused:UNUSED_PAD src0_sel:WORD_0 src1_sel:DWORD
	v_lshrrev_b32_e32 v85, 3, v86
	s_mov_b32 s34, exec_lo
	v_cmpx_gt_u32_e32 8, v86
; %bb.501:                              ;   in Loop: Header=BB251_9 Depth=1
	v_ffbh_u32_e32 v83, v83
	v_min_u32_e32 v83, 32, v83
	v_subrev_nc_u32_e32 v85, 28, v83
	v_lshlrev_b64 v[86:87], v85, v[1:2]
	v_sub_nc_u32_e32 v85, 29, v83
	v_and_b32_e32 v83, 7, v86
; %bb.502:                              ;   in Loop: Header=BB251_9 Depth=1
	s_or_b32 exec_lo, exec_lo, s34
	v_lshlrev_b32_sdwa v1, v20, v1 dst_sel:DWORD dst_unused:UNUSED_PAD src0_sel:DWORD src1_sel:WORD_0
	v_lshl_add_u32 v85, v85, 10, 0x2000
	v_lshlrev_b32_e32 v83, 23, v83
	v_and_or_b32 v1, 0x8000, v1, v85
	v_lshl_or_b32 v83, v1, 16, v83
.LBB251_503:                            ;   in Loop: Header=BB251_9 Depth=1
	s_or_b32 exec_lo, exec_lo, s33
.LBB251_504:                            ;   in Loop: Header=BB251_9 Depth=1
	s_or_b32 exec_lo, exec_lo, s31
.LBB251_505:                            ;   in Loop: Header=BB251_9 Depth=1
	s_or_b32 exec_lo, exec_lo, s3
	global_load_ushort v8, v[7:8], off offset:1928
	v_mov_b32_e32 v7, 0
	s_waitcnt vmcnt(0)
	v_and_b32_e32 v1, 0xffff, v8
	v_cmp_ne_u16_sdwa s2, v8, v2 src0_sel:BYTE_0 src1_sel:DWORD
	v_mov_b32_e32 v8, 0
	s_and_saveexec_b32 s3, s2
	s_cbranch_execz .LBB251_513
; %bb.506:                              ;   in Loop: Header=BB251_9 Depth=1
	v_cmp_ne_u16_sdwa s2, v1, v17 src0_sel:BYTE_0 src1_sel:DWORD
	v_mov_b32_e32 v8, 0x8000
	s_and_saveexec_b32 s31, s2
	s_cbranch_execz .LBB251_512
; %bb.507:                              ;   in Loop: Header=BB251_9 Depth=1
	v_and_b32_e32 v86, 0x7f, v1
	v_mov_b32_e32 v8, 0x7c01
	s_mov_b32 s33, exec_lo
	v_cmpx_ne_u32_e32 0x7f, v86
	s_cbranch_execz .LBB251_511
; %bb.508:                              ;   in Loop: Header=BB251_9 Depth=1
	v_and_b32_e32 v8, 7, v1
	v_lshrrev_b32_e32 v85, 3, v86
	s_mov_b32 s34, exec_lo
	v_cmpx_gt_u32_e32 8, v86
; %bb.509:                              ;   in Loop: Header=BB251_9 Depth=1
	v_ffbh_u32_e32 v8, v8
	v_min_u32_e32 v8, 32, v8
	v_subrev_nc_u32_e32 v85, 28, v8
	v_lshlrev_b64 v[86:87], v85, v[1:2]
	v_sub_nc_u32_e32 v85, 29, v8
	v_and_b32_e32 v8, 7, v86
; %bb.510:                              ;   in Loop: Header=BB251_9 Depth=1
	s_or_b32 exec_lo, exec_lo, s34
	v_lshlrev_b32_e32 v86, 8, v1
	v_lshl_add_u32 v85, v85, 10, 0x2000
	v_lshlrev_b32_e32 v8, 7, v8
	v_and_b32_e32 v86, 0x8000, v86
	v_and_b32_e32 v85, 0xfc00, v85
	v_or3_b32 v8, v86, v85, v8
.LBB251_511:                            ;   in Loop: Header=BB251_9 Depth=1
	s_or_b32 exec_lo, exec_lo, s33
.LBB251_512:                            ;   in Loop: Header=BB251_9 Depth=1
	s_or_b32 exec_lo, exec_lo, s31
.LBB251_513:                            ;   in Loop: Header=BB251_9 Depth=1
	s_or_b32 exec_lo, exec_lo, s3
	v_lshrrev_b16 v1, 8, v1
	s_mov_b32 s3, exec_lo
	v_cmpx_ne_u16_e32 0, v1
	s_cbranch_execz .LBB251_521
; %bb.514:                              ;   in Loop: Header=BB251_9 Depth=1
	v_bfrev_b32_e32 v7, 1
	s_mov_b32 s31, exec_lo
	v_cmpx_ne_u16_e32 0x80, v1
	s_cbranch_execz .LBB251_520
; %bb.515:                              ;   in Loop: Header=BB251_9 Depth=1
	v_and_b32_sdwa v86, v1, v18 dst_sel:DWORD dst_unused:UNUSED_PAD src0_sel:WORD_0 src1_sel:DWORD
	v_mov_b32_e32 v7, 0x7c010000
	s_mov_b32 s33, exec_lo
	v_cmpx_ne_u32_e32 0x7f, v86
	s_cbranch_execz .LBB251_519
; %bb.516:                              ;   in Loop: Header=BB251_9 Depth=1
	v_and_b32_sdwa v7, v1, v19 dst_sel:DWORD dst_unused:UNUSED_PAD src0_sel:WORD_0 src1_sel:DWORD
	v_lshrrev_b32_e32 v85, 3, v86
	s_mov_b32 s34, exec_lo
	v_cmpx_gt_u32_e32 8, v86
; %bb.517:                              ;   in Loop: Header=BB251_9 Depth=1
	v_ffbh_u32_e32 v7, v7
	v_min_u32_e32 v7, 32, v7
	v_subrev_nc_u32_e32 v85, 28, v7
	v_lshlrev_b64 v[86:87], v85, v[1:2]
	v_sub_nc_u32_e32 v85, 29, v7
	v_and_b32_e32 v7, 7, v86
; %bb.518:                              ;   in Loop: Header=BB251_9 Depth=1
	s_or_b32 exec_lo, exec_lo, s34
	v_lshlrev_b32_sdwa v1, v20, v1 dst_sel:DWORD dst_unused:UNUSED_PAD src0_sel:DWORD src1_sel:WORD_0
	v_lshl_add_u32 v85, v85, 10, 0x2000
	v_lshlrev_b32_e32 v7, 23, v7
	v_and_or_b32 v1, 0x8000, v1, v85
	v_lshl_or_b32 v7, v1, 16, v7
.LBB251_519:                            ;   in Loop: Header=BB251_9 Depth=1
	s_or_b32 exec_lo, exec_lo, s33
.LBB251_520:                            ;   in Loop: Header=BB251_9 Depth=1
	s_or_b32 exec_lo, exec_lo, s31
.LBB251_521:                            ;   in Loop: Header=BB251_9 Depth=1
	s_or_b32 exec_lo, exec_lo, s3
	ds_read_b32 v1, v14
	v_or_b32_e32 v23, v24, v23
	v_fma_mixlo_f16 v24, v22, v24, 0 op_sel:[0,1,0] op_sel_hi:[0,1,0]
	v_or_b32_e32 v36, v35, v36
	v_fma_mixlo_f16 v35, v22, v35, 0 op_sel:[0,1,0] op_sel_hi:[0,1,0]
	v_or_b32_e32 v38, v37, v38
	v_fma_mixlo_f16 v23, v22, v23, 0 op_sel_hi:[0,1,0]
	v_and_b32_e32 v24, 0xffff, v24
	v_fma_mixlo_f16 v36, v22, v36, 0 op_sel_hi:[0,1,0]
	v_and_b32_e32 v93, 0xffff, v35
	;; [unrolled: 2-line block ×3, first 2 shown]
	v_fma_mixlo_f16 v37, v22, v37, 0 op_sel:[0,1,0] op_sel_hi:[0,1,0]
	v_or_b32_e32 v40, v39, v40
	v_fma_mixlo_f16 v39, v22, v39, 0 op_sel:[0,1,0] op_sel_hi:[0,1,0]
	v_and_b32_e32 v100, 0xffff, v38
	v_or_b32_e32 v42, v41, v42
	v_and_b32_e32 v101, 0xffff, v37
	v_fma_mixlo_f16 v40, v22, v40, 0 op_sel_hi:[0,1,0]
	v_and_b32_e32 v103, 0xffff, v39
	s_waitcnt lgkmcnt(0)
	v_and_b32_e32 v85, 0xffff, v1
	v_lshrrev_b32_e32 v1, 16, v1
	;;#ASMSTART
	v_cvt_f32_f16 v96, v85;
	;;#ASMEND
	;;#ASMSTART
	v_cvt_f32_f16 v86, v1;
	;;#ASMEND
	;; [unrolled: 3-line block ×4, first 2 shown]
	ds_read_b32 v1, v14 offset:4
	v_or_b32_e32 v23, v25, v26
	v_fma_mixlo_f16 v24, v22, v25, 0 op_sel:[0,1,0] op_sel_hi:[0,1,0]
	v_and_b32_e32 v102, 0xffff, v40
	v_fma_mixlo_f16 v42, v22, v42, 0 op_sel_hi:[0,1,0]
	v_fma_mixlo_f16 v41, v22, v41, 0 op_sel:[0,1,0] op_sel_hi:[0,1,0]
	v_fma_mixlo_f16 v23, v22, v23, 0 op_sel_hi:[0,1,0]
	v_and_b32_e32 v24, 0xffff, v24
	v_or_b32_e32 v44, v43, v44
	v_and_b32_e32 v104, 0xffff, v42
	v_and_b32_e32 v105, 0xffff, v41
	;; [unrolled: 1-line block ×3, first 2 shown]
	v_fma_mixlo_f16 v43, v22, v43, 0 op_sel:[0,1,0] op_sel_hi:[0,1,0]
	v_fma_mixlo_f16 v44, v22, v44, 0 op_sel_hi:[0,1,0]
	v_or_b32_e32 v46, v45, v46
	v_fma_mixlo_f16 v45, v22, v45, 0 op_sel:[0,1,0] op_sel_hi:[0,1,0]
	v_or_b32_e32 v48, v47, v48
	v_and_b32_e32 v107, 0xffff, v43
	v_and_b32_e32 v106, 0xffff, v44
	v_fma_mixlo_f16 v46, v22, v46, 0 op_sel_hi:[0,1,0]
	s_waitcnt lgkmcnt(0)
	v_and_b32_e32 v25, 0xffff, v1
	v_lshrrev_b32_e32 v1, 16, v1
	;;#ASMSTART
	v_cvt_f32_f16 v98, v25;
	;;#ASMEND
	;;#ASMSTART
	v_cvt_f32_f16 v94, v1;
	;;#ASMEND
	;; [unrolled: 3-line block ×4, first 2 shown]
	ds_read_b32 v1, v14 offset:8
	v_or_b32_e32 v23, v27, v28
	v_fma_mixlo_f16 v24, v22, v27, 0 op_sel:[0,1,0] op_sel_hi:[0,1,0]
	v_fma_mixlo_f16 v28, v22, v31, 0 op_sel:[0,1,0] op_sel_hi:[0,1,0]
	v_and_b32_e32 v108, 0xffff, v46
	v_and_b32_e32 v109, 0xffff, v45
	v_fma_mixlo_f16 v23, v22, v23, 0 op_sel_hi:[0,1,0]
	v_and_b32_e32 v26, 0xffff, v24
	v_and_b32_e32 v90, 0xffff, v28
	v_fma_mixlo_f16 v48, v22, v48, 0 op_sel_hi:[0,1,0]
	v_fma_mixlo_f16 v47, v22, v47, 0 op_sel:[0,1,0] op_sel_hi:[0,1,0]
	v_and_b32_e32 v23, 0xffff, v23
	v_or_b32_e32 v50, v49, v50
	v_fma_mixlo_f16 v49, v22, v49, 0 op_sel:[0,1,0] op_sel_hi:[0,1,0]
	v_and_b32_e32 v110, 0xffff, v48
	v_and_b32_e32 v111, 0xffff, v47
	v_or_b32_e32 v52, v51, v52
	v_fma_mixlo_f16 v50, v22, v50, 0 op_sel_hi:[0,1,0]
	v_and_b32_e32 v113, 0xffff, v49
	v_fma_mixlo_f16 v51, v22, v51, 0 op_sel:[0,1,0] op_sel_hi:[0,1,0]
	s_waitcnt lgkmcnt(0)
	v_and_b32_e32 v25, 0xffff, v1
	v_lshrrev_b32_e32 v1, 16, v1
	;;#ASMSTART
	v_cvt_f32_f16 v88, v25;
	;;#ASMEND
	;;#ASMSTART
	v_cvt_f32_f16 v24, v1;
	;;#ASMEND
	;;#ASMSTART
	v_cvt_f32_f16 v89, v23;
	;;#ASMEND
	;;#ASMSTART
	v_cvt_f32_f16 v27, v26;
	;;#ASMEND
	ds_read_b32 v1, v14 offset:12
	v_or_b32_e32 v23, v29, v30
	v_fma_mixlo_f16 v25, v22, v29, 0 op_sel:[0,1,0] op_sel_hi:[0,1,0]
	v_and_b32_e32 v112, 0xffff, v50
	v_fma_mixlo_f16 v52, v22, v52, 0 op_sel_hi:[0,1,0]
	v_and_b32_e32 v115, 0xffff, v51
	v_fma_mixlo_f16 v23, v22, v23, 0 op_sel_hi:[0,1,0]
	v_and_b32_e32 v25, 0xffff, v25
	v_or_b32_e32 v54, v53, v54
	v_and_b32_e32 v114, 0xffff, v52
	v_fma_mixlo_f16 v53, v22, v53, 0 op_sel:[0,1,0] op_sel_hi:[0,1,0]
	v_and_b32_e32 v23, 0xffff, v23
	v_or_b32_e32 v56, v55, v56
	v_fma_mixlo_f16 v54, v22, v54, 0 op_sel_hi:[0,1,0]
	v_fma_mixlo_f16 v55, v22, v55, 0 op_sel:[0,1,0] op_sel_hi:[0,1,0]
	v_and_b32_e32 v117, 0xffff, v53
	v_or_b32_e32 v58, v57, v58
	v_fma_mixlo_f16 v56, v22, v56, 0 op_sel_hi:[0,1,0]
	v_and_b32_e32 v116, 0xffff, v54
	v_and_b32_e32 v55, 0xffff, v55
	s_waitcnt lgkmcnt(0)
	v_and_b32_e32 v26, 0xffff, v1
	v_lshrrev_b32_e32 v1, 16, v1
	;;#ASMSTART
	v_cvt_f32_f16 v30, v26;
	;;#ASMEND
	;;#ASMSTART
	v_cvt_f32_f16 v1, v1;
	;;#ASMEND
	;;#ASMSTART
	v_cvt_f32_f16 v85, v23;
	;;#ASMEND
	;;#ASMSTART
	v_cvt_f32_f16 v23, v25;
	;;#ASMEND
	ds_read_b32 v25, v14 offset:16
	v_or_b32_e32 v26, v31, v32
	v_and_b32_e32 v118, 0xffff, v56
	v_fma_mixlo_f16 v58, v22, v58, 0 op_sel_hi:[0,1,0]
	v_fma_mixlo_f16 v57, v22, v57, 0 op_sel:[0,1,0] op_sel_hi:[0,1,0]
	v_or_b32_e32 v66, v65, v66
	v_fma_mixlo_f16 v26, v22, v26, 0 op_sel_hi:[0,1,0]
	v_fma_mixlo_f16 v65, v22, v65, 0 op_sel:[0,1,0] op_sel_hi:[0,1,0]
	v_and_b32_e32 v120, 0xffff, v58
	v_and_b32_e32 v57, 0xffff, v57
	v_fma_mixlo_f16 v66, v22, v66, 0 op_sel_hi:[0,1,0]
	v_and_b32_e32 v32, 0xffff, v26
	v_and_b32_e32 v127, 0xffff, v65
	v_or_b32_e32 v68, v67, v68
	v_fma_mixlo_f16 v67, v22, v67, 0 op_sel:[0,1,0] op_sel_hi:[0,1,0]
	v_or_b32_e32 v70, v69, v70
	v_fma_mixlo_f16 v69, v22, v69, 0 op_sel:[0,1,0] op_sel_hi:[0,1,0]
	v_or_b32_e32 v72, v71, v72
	v_fma_mixlo_f16 v68, v22, v68, 0 op_sel_hi:[0,1,0]
	v_fma_mixlo_f16 v71, v22, v71, 0 op_sel:[0,1,0] op_sel_hi:[0,1,0]
	s_waitcnt lgkmcnt(0)
	v_and_b32_e32 v29, 0xffff, v25
	v_lshrrev_b32_e32 v31, 16, v25
	;;#ASMSTART
	v_cvt_f32_f16 v25, v29;
	;;#ASMEND
	;;#ASMSTART
	v_cvt_f32_f16 v26, v31;
	;;#ASMEND
	;; [unrolled: 3-line block ×4, first 2 shown]
	ds_read_b32 v31, v14 offset:20
	v_or_b32_e32 v32, v33, v34
	v_fma_mixlo_f16 v33, v22, v33, 0 op_sel:[0,1,0] op_sel_hi:[0,1,0]
	v_fma_mixlo_f16 v70, v22, v70, 0 op_sel_hi:[0,1,0]
	v_fma_mixlo_f16 v72, v22, v72, 0 op_sel_hi:[0,1,0]
	v_or_b32_e32 v74, v73, v74
	v_fma_mixlo_f16 v32, v22, v32, 0 op_sel_hi:[0,1,0]
	v_and_b32_e32 v92, 0xffff, v33
	v_fma_mixlo_f16 v73, v22, v73, 0 op_sel:[0,1,0] op_sel_hi:[0,1,0]
	v_and_b32_e32 v72, 0xffff, v72
	v_fma_mixlo_f16 v74, v22, v74, 0 op_sel_hi:[0,1,0]
	v_and_b32_e32 v91, 0xffff, v32
	v_or_b32_e32 v76, v75, v76
	v_fma_mixlo_f16 v75, v22, v75, 0 op_sel:[0,1,0] op_sel_hi:[0,1,0]
	v_and_b32_e32 v74, 0xffff, v74
	v_and_b32_e32 v75, 0xffff, v75
	s_waitcnt lgkmcnt(0)
	v_and_b32_e32 v34, 0xffff, v31
	v_lshrrev_b32_e32 v90, 16, v31
	;;#ASMSTART
	v_cvt_f32_f16 v31, v34;
	;;#ASMEND
	;;#ASMSTART
	v_cvt_f32_f16 v32, v90;
	;;#ASMEND
	;; [unrolled: 3-line block ×4, first 2 shown]
	ds_read_b32 v90, v14 offset:24
	v_and_b32_e32 v92, 0xffff, v36
	s_waitcnt lgkmcnt(0)
	v_and_b32_e32 v91, 0xffff, v90
	v_lshrrev_b32_e32 v90, 16, v90
	;;#ASMSTART
	v_cvt_f32_f16 v35, v91;
	;;#ASMEND
	;;#ASMSTART
	v_cvt_f32_f16 v36, v90;
	;;#ASMEND
	;;#ASMSTART
	v_cvt_f32_f16 v90, v92;
	;;#ASMEND
	;;#ASMSTART
	v_cvt_f32_f16 v91, v93;
	;;#ASMEND
	ds_read_b32 v92, v14 offset:28
	s_waitcnt lgkmcnt(0)
	v_and_b32_e32 v93, 0xffff, v92
	v_lshrrev_b32_e32 v92, 16, v92
	;;#ASMSTART
	v_cvt_f32_f16 v37, v93;
	;;#ASMEND
	;;#ASMSTART
	v_cvt_f32_f16 v38, v92;
	;;#ASMEND
	;;#ASMSTART
	v_cvt_f32_f16 v92, v100;
	;;#ASMEND
	;;#ASMSTART
	v_cvt_f32_f16 v93, v101;
	;;#ASMEND
	ds_read_b32 v100, v14 offset:32
	;; [unrolled: 16-line block ×12, first 2 shown]
	v_or_b32_e32 v57, v59, v60
	v_fma_mixlo_f16 v59, v22, v59, 0 op_sel:[0,1,0] op_sel_hi:[0,1,0]
	v_fma_mixlo_f16 v57, v22, v57, 0 op_sel_hi:[0,1,0]
	v_and_b32_e32 v123, 0xffff, v59
	v_and_b32_e32 v57, 0xffff, v57
	s_waitcnt lgkmcnt(0)
	v_and_b32_e32 v60, 0xffff, v55
	v_lshrrev_b32_e32 v55, 16, v55
	;;#ASMSTART
	v_cvt_f32_f16 v59, v60;
	;;#ASMEND
	;;#ASMSTART
	v_cvt_f32_f16 v60, v55;
	;;#ASMEND
	;; [unrolled: 3-line block ×4, first 2 shown]
	ds_read_b32 v55, v14 offset:76
	v_or_b32_e32 v57, v61, v62
	v_fma_mixlo_f16 v61, v22, v61, 0 op_sel:[0,1,0] op_sel_hi:[0,1,0]
	v_fma_mixlo_f16 v57, v22, v57, 0 op_sel_hi:[0,1,0]
	v_and_b32_e32 v125, 0xffff, v61
	v_and_b32_e32 v57, 0xffff, v57
	s_waitcnt lgkmcnt(0)
	v_and_b32_e32 v62, 0xffff, v55
	v_lshrrev_b32_e32 v55, 16, v55
	;;#ASMSTART
	v_cvt_f32_f16 v61, v62;
	;;#ASMEND
	;;#ASMSTART
	v_cvt_f32_f16 v62, v55;
	;;#ASMEND
	;; [unrolled: 3-line block ×4, first 2 shown]
	ds_read_b32 v57, v14 offset:80
	v_or_b32_e32 v55, v63, v64
	v_fma_mixlo_f16 v63, v22, v63, 0 op_sel:[0,1,0] op_sel_hi:[0,1,0]
	v_fma_mixlo_f16 v64, v22, v55, 0 op_sel_hi:[0,1,0]
	v_mul_f32_e32 v55, v98, v99
	v_and_b32_e32 v126, 0xffff, v63
	v_and_b32_e32 v99, 0xffff, v64
	v_fmac_f32_e32 v55, v96, v97
	v_fmac_f32_e32 v55, v88, v89
	s_waitcnt lgkmcnt(0)
	v_and_b32_e32 v98, 0xffff, v57
	v_lshrrev_b32_e32 v57, 16, v57
	;;#ASMSTART
	v_cvt_f32_f16 v63, v98;
	;;#ASMEND
	;;#ASMSTART
	v_cvt_f32_f16 v64, v57;
	;;#ASMEND
	;; [unrolled: 3-line block ×4, first 2 shown]
	ds_read_b32 v57, v14 offset:84
	v_and_b32_e32 v126, 0xffff, v66
	v_fmac_f32_e32 v55, v30, v85
	v_fmac_f32_e32 v55, v25, v28
	;; [unrolled: 1-line block ×3, first 2 shown]
	v_fma_mixlo_f16 v31, v22, v77, 0 op_sel:[0,1,0] op_sel_hi:[0,1,0]
	v_fmac_f32_e32 v55, v35, v90
	v_fma_mixlo_f16 v35, v22, v79, 0 op_sel:[0,1,0] op_sel_hi:[0,1,0]
	s_waitcnt lgkmcnt(0)
	v_and_b32_e32 v98, 0xffff, v57
	v_lshrrev_b32_e32 v99, 16, v57
	v_mul_f32_e32 v57, v94, v95
	;;#ASMSTART
	v_cvt_f32_f16 v65, v98;
	;;#ASMEND
	;;#ASMSTART
	v_cvt_f32_f16 v66, v99;
	;;#ASMEND
	;; [unrolled: 3-line block ×4, first 2 shown]
	ds_read_b32 v98, v14 offset:88
	v_fmac_f32_e32 v57, v86, v87
	v_and_b32_e32 v99, 0xffff, v67
	v_fmac_f32_e32 v55, v37, v92
	v_fmac_f32_e32 v57, v24, v27
	;; [unrolled: 1-line block ×3, first 2 shown]
	v_fma_mixlo_f16 v39, v22, v81, 0 op_sel:[0,1,0] op_sel_hi:[0,1,0]
	v_fmac_f32_e32 v57, v1, v23
	v_fma_mixlo_f16 v1, v22, v76, 0 op_sel_hi:[0,1,0]
	v_fmac_f32_e32 v55, v41, v102
	v_fmac_f32_e32 v57, v26, v29
	v_and_b32_e32 v26, 0xffff, v1
	v_fmac_f32_e32 v55, v43, v104
	v_or_b32_e32 v29, v77, v78
	s_waitcnt lgkmcnt(0)
	v_and_b32_e32 v86, 0xffff, v98
	v_lshrrev_b32_e32 v87, 16, v98
	v_and_b32_e32 v98, 0xffff, v68
	;;#ASMSTART
	v_cvt_f32_f16 v67, v86;
	;;#ASMEND
	;;#ASMSTART
	v_cvt_f32_f16 v68, v87;
	;;#ASMEND
	;; [unrolled: 3-line block ×4, first 2 shown]
	ds_read_b32 v98, v14 offset:92
	v_and_b32_e32 v99, 0xffff, v69
	v_fmac_f32_e32 v57, v32, v34
	v_fmac_f32_e32 v55, v45, v106
	v_fma_mixlo_f16 v29, v22, v29, 0 op_sel_hi:[0,1,0]
	v_and_b32_e32 v32, 0xffff, v31
	v_fma_mixlo_f16 v43, v22, v83, 0 op_sel:[0,1,0] op_sel_hi:[0,1,0]
	v_fmac_f32_e32 v57, v36, v91
	v_fmac_f32_e32 v55, v47, v108
	v_and_b32_e32 v34, 0xffff, v29
	v_and_b32_e32 v36, 0xffff, v35
	;; [unrolled: 1-line block ×3, first 2 shown]
	v_fmac_f32_e32 v57, v38, v93
	v_fmac_f32_e32 v55, v49, v110
	;; [unrolled: 1-line block ×4, first 2 shown]
	v_and_b32_e32 v40, 0xffff, v39
	s_waitcnt lgkmcnt(0)
	v_and_b32_e32 v88, 0xffff, v98
	v_lshrrev_b32_e32 v89, 16, v98
	v_and_b32_e32 v98, 0xffff, v70
	;;#ASMSTART
	v_cvt_f32_f16 v69, v88;
	;;#ASMEND
	;;#ASMSTART
	v_cvt_f32_f16 v70, v89;
	;;#ASMEND
	;; [unrolled: 3-line block ×4, first 2 shown]
	ds_read_b32 v98, v14 offset:96
	v_fmac_f32_e32 v57, v42, v103
	v_fmac_f32_e32 v55, v53, v114
	;; [unrolled: 1-line block ×8, first 2 shown]
	s_waitcnt lgkmcnt(0)
	v_and_b32_e32 v24, 0xffff, v98
	v_lshrrev_b32_e32 v27, 16, v98
	v_and_b32_e32 v98, 0xffff, v71
	;;#ASMSTART
	v_cvt_f32_f16 v24, v24;
	;;#ASMEND
	;;#ASMSTART
	v_cvt_f32_f16 v27, v27;
	;;#ASMEND
	;; [unrolled: 3-line block ×4, first 2 shown]
	ds_read_b32 v98, v14 offset:100
	v_fmac_f32_e32 v57, v50, v111
	v_fmac_f32_e32 v55, v61, v124
	;; [unrolled: 1-line block ×8, first 2 shown]
	s_waitcnt lgkmcnt(0)
	v_and_b32_e32 v30, 0xffff, v98
	v_lshrrev_b32_e32 v85, 16, v98
	v_and_b32_e32 v98, 0xffff, v73
	;;#ASMSTART
	v_cvt_f32_f16 v30, v30;
	;;#ASMEND
	;;#ASMSTART
	v_cvt_f32_f16 v73, v85;
	;;#ASMEND
	;; [unrolled: 3-line block ×4, first 2 shown]
	ds_read_b32 v98, v14 offset:104
	v_fmac_f32_e32 v57, v119, v121
	v_fmac_f32_e32 v55, v69, v88
	;; [unrolled: 1-line block ×7, first 2 shown]
	s_waitcnt lgkmcnt(0)
	v_and_b32_e32 v23, 0xffff, v98
	v_lshrrev_b32_e32 v25, 16, v98
	;;#ASMSTART
	v_cvt_f32_f16 v1, v23;
	;;#ASMEND
	;;#ASMSTART
	v_cvt_f32_f16 v23, v25;
	;;#ASMEND
	;; [unrolled: 3-line block ×4, first 2 shown]
	ds_read_b32 v28, v14 offset:108
	v_fmac_f32_e32 v57, v66, v95
	v_fmac_f32_e32 v55, v1, v25
	v_or_b32_e32 v1, v7, v8
	v_xor_b32_e32 v8, 2, v10
	v_fma_mixlo_f16 v7, v22, v7, 0 op_sel:[0,1,0] op_sel_hi:[0,1,0]
	v_fmac_f32_e32 v57, v68, v87
	v_fma_mixlo_f16 v1, v22, v1, 0 op_sel_hi:[0,1,0]
	v_cmp_gt_i32_e64 s2, 32, v8
	v_fmac_f32_e32 v57, v70, v89
	v_and_b32_e32 v25, 0xffff, v1
	v_fmac_f32_e32 v57, v27, v72
	s_waitcnt lgkmcnt(0)
	v_and_b32_e32 v31, 0xffff, v28
	v_lshrrev_b32_e32 v33, 16, v28
	;;#ASMSTART
	v_cvt_f32_f16 v28, v31;
	;;#ASMEND
	;;#ASMSTART
	v_cvt_f32_f16 v29, v33;
	;;#ASMEND
	;; [unrolled: 3-line block ×4, first 2 shown]
	ds_read_b32 v33, v14 offset:112
	v_or_b32_e32 v34, v79, v80
	v_fmac_f32_e32 v57, v73, v85
	v_fmac_f32_e32 v55, v28, v31
	v_fma_mixlo_f16 v34, v22, v34, 0 op_sel_hi:[0,1,0]
	v_fmac_f32_e32 v57, v23, v26
	v_and_b32_e32 v23, 0xffff, v7
	v_cndmask_b32_e64 v7, v10, v8, s2
	v_and_b32_e32 v38, 0xffff, v34
	v_fmac_f32_e32 v57, v29, v32
	s_waitcnt lgkmcnt(0)
	v_and_b32_e32 v35, 0xffff, v33
	v_lshrrev_b32_e32 v37, 16, v33
	;;#ASMSTART
	v_cvt_f32_f16 v33, v35;
	;;#ASMEND
	;;#ASMSTART
	v_cvt_f32_f16 v34, v37;
	;;#ASMEND
	;; [unrolled: 3-line block ×4, first 2 shown]
	ds_read_b32 v37, v14 offset:116
	v_or_b32_e32 v38, v81, v82
	v_fmac_f32_e32 v55, v33, v35
	v_fmac_f32_e32 v57, v34, v36
	v_fma_mixlo_f16 v38, v22, v38, 0 op_sel_hi:[0,1,0]
	v_and_b32_e32 v42, 0xffff, v38
	s_waitcnt lgkmcnt(0)
	v_and_b32_e32 v39, 0xffff, v37
	v_lshrrev_b32_e32 v41, 16, v37
	;;#ASMSTART
	v_cvt_f32_f16 v37, v39;
	;;#ASMEND
	;;#ASMSTART
	v_cvt_f32_f16 v38, v41;
	;;#ASMEND
	;; [unrolled: 3-line block ×4, first 2 shown]
	ds_read_b32 v41, v14 offset:120
	v_or_b32_e32 v42, v83, v84
	v_fmac_f32_e32 v55, v37, v39
	v_fmac_f32_e32 v57, v38, v40
	v_fma_mixlo_f16 v42, v22, v42, 0 op_sel_hi:[0,1,0]
	s_waitcnt lgkmcnt(0)
	v_and_b32_e32 v24, 0xffff, v41
	v_lshrrev_b32_e32 v27, 16, v41
	v_and_b32_e32 v41, 0xffff, v42
	;;#ASMSTART
	v_cvt_f32_f16 v24, v24;
	;;#ASMEND
	;;#ASMSTART
	v_cvt_f32_f16 v27, v27;
	;;#ASMEND
	;; [unrolled: 3-line block ×4, first 2 shown]
	ds_read_b32 v42, v14 offset:124
	v_fmac_f32_e32 v55, v24, v30
	v_fmac_f32_e32 v57, v27, v41
	s_waitcnt lgkmcnt(0)
	v_and_b32_e32 v8, 0xffff, v42
	v_lshrrev_b32_e32 v22, 16, v42
	;;#ASMSTART
	v_cvt_f32_f16 v1, v8;
	;;#ASMEND
	;;#ASMSTART
	v_cvt_f32_f16 v8, v22;
	;;#ASMEND
	;; [unrolled: 3-line block ×4, first 2 shown]
	v_fmac_f32_e32 v55, v1, v22
	v_fmac_f32_e32 v57, v8, v23
	v_lshlrev_b32_e32 v1, 2, v7
	v_xor_b32_e32 v8, 1, v10
	v_add_f32_e32 v7, v55, v57
	v_cmp_gt_i32_e64 s2, 32, v8
	ds_bpermute_b32 v1, v1, v7
	v_cndmask_b32_e64 v8, v10, v8, s2
	s_waitcnt lgkmcnt(0)
	v_add_f32_e32 v1, v7, v1
	v_lshlrev_b32_e32 v7, 2, v8
	ds_bpermute_b32 v7, v7, v1
	s_and_saveexec_b32 s3, vcc_lo
	s_cbranch_execz .LBB251_8
; %bb.522:                              ;   in Loop: Header=BB251_9 Depth=1
	v_add_nc_u32_e32 v8, s4, v15
	s_waitcnt lgkmcnt(0)
	v_add_f32_e32 v1, v1, v7
	v_cmp_gt_i32_e64 s2, s11, v15
	v_cvt_f32_i32_e32 v8, v8
	v_mul_f32_e32 v8, s28, v8
	v_cndmask_b32_e64 v7, 0, v8, s1
	v_max_f32_e32 v8, v13, v13
	v_fmac_f32_e32 v7, s29, v1
	v_max_f32_e32 v1, v8, v7
	v_cndmask_b32_e64 v7, 0, v7, s2
	v_cndmask_b32_e64 v13, v13, v1, s2
	ds_write_b32 v16, v7
	s_branch .LBB251_8
.LBB251_523:
	s_or_b32 exec_lo, exec_lo, s5
.LBB251_524:
	s_or_b32 exec_lo, exec_lo, s19
	v_xor_b32_e32 v1, 16, v10
	v_xor_b32_e32 v4, 8, v10
	v_max_f32_e32 v5, v13, v13
	v_xor_b32_e32 v6, 4, v10
	v_cmp_lt_i32_e32 vcc_lo, v1, v12
	v_cndmask_b32_e32 v1, v10, v1, vcc_lo
	v_cmp_lt_i32_e32 vcc_lo, v4, v12
	v_lshlrev_b32_e32 v3, 2, v1
	v_cndmask_b32_e32 v4, v10, v4, vcc_lo
	v_cmp_lt_i32_e32 vcc_lo, v6, v12
	ds_bpermute_b32 v1, v3, v13
	v_lshlrev_b32_e32 v4, 2, v4
	v_cndmask_b32_e32 v6, v10, v6, vcc_lo
	v_and_b32_e32 v13, 31, v0
	s_waitcnt lgkmcnt(0)
	v_lshlrev_b32_e32 v7, 2, v6
	v_cmp_eq_u32_e32 vcc_lo, 0, v13
	v_max_f32_e32 v1, v1, v1
	v_max_f32_e32 v1, v5, v1
	ds_bpermute_b32 v5, v4, v1
	s_waitcnt lgkmcnt(0)
	v_max_f32_e32 v5, v5, v5
	v_max_f32_e32 v1, v1, v5
	v_lshlrev_b32_e32 v5, 2, v11
	ds_bpermute_b32 v6, v7, v1
	s_and_saveexec_b32 s1, vcc_lo
	s_cbranch_execz .LBB251_526
; %bb.525:
	s_waitcnt lgkmcnt(0)
	v_max_f32_e32 v6, v6, v6
	v_max_f32_e32 v1, v1, v1
	;; [unrolled: 1-line block ×3, first 2 shown]
	ds_write_b32 v5, v1 offset:512
.LBB251_526:
	s_or_b32 exec_lo, exec_lo, s1
	v_cmp_gt_u32_e64 s1, 4, v13
	v_mov_b32_e32 v1, 0xff7fffff
	s_waitcnt lgkmcnt(0)
	v_lshlrev_b32_e32 v6, 2, v13
	s_barrier
	buffer_gl0_inv
	s_and_saveexec_b32 s2, s1
; %bb.527:
	ds_read_b32 v1, v6 offset:512
; %bb.528:
	s_or_b32 exec_lo, exec_lo, s2
	v_xor_b32_e32 v8, 2, v10
	v_xor_b32_e32 v15, 1, v10
	v_lshlrev_b32_e32 v2, 2, v2
	v_cmp_lt_i32_e64 s2, v8, v12
	v_cndmask_b32_e64 v8, v10, v8, s2
	v_cmp_lt_i32_e64 s2, v15, v12
	v_lshlrev_b32_e32 v8, 2, v8
	v_cndmask_b32_e64 v12, v10, v15, s2
	s_lshl_b32 s2, s16, 3
	s_min_i32 s4, s2, s11
	s_waitcnt lgkmcnt(0)
	ds_bpermute_b32 v14, v8, v1
	v_max_f32_e32 v1, v1, v1
	v_lshlrev_b32_e32 v12, 2, v12
	v_cmp_gt_i32_e64 s2, s4, v0
	s_waitcnt lgkmcnt(0)
	v_max_f32_e32 v14, v14, v14
	v_max_f32_e32 v1, v1, v14
	ds_bpermute_b32 v14, v12, v1
	s_waitcnt lgkmcnt(0)
	v_max_f32_e32 v14, v14, v14
	v_max_f32_e32 v1, v1, v14
	ds_bpermute_b32 v14, v2, v1
	v_mov_b32_e32 v2, 0
	v_lshl_add_u32 v1, v0, 2, 0x220
	s_and_saveexec_b32 s5, s2
	s_cbranch_execz .LBB251_532
; %bb.529:
	v_lshl_add_u32 v15, v0, 2, 0x220
	v_mov_b32_e32 v2, 0
	v_mov_b32_e32 v16, v0
	s_mov_b32 s12, 0
	.p2align	6
.LBB251_530:                            ; =>This Inner Loop Header: Depth=1
	ds_read_b32 v17, v15
	v_add_nc_u32_e32 v16, 0x80, v16
	v_cmp_le_i32_e64 s3, s4, v16
	s_or_b32 s12, s3, s12
	s_waitcnt lgkmcnt(0)
	v_sub_f32_e32 v17, v17, v14
	v_mul_f32_e32 v17, 0x3fb8aa3b, v17
	v_exp_f32_e32 v17, v17
	ds_write_b32 v15, v17
	v_add_f32_e32 v2, v2, v17
	v_add_nc_u32_e32 v15, 0x200, v15
	s_andn2_b32 exec_lo, exec_lo, s12
	s_cbranch_execnz .LBB251_530
; %bb.531:
	s_or_b32 exec_lo, exec_lo, s12
.LBB251_532:
	s_or_b32 exec_lo, exec_lo, s5
	ds_bpermute_b32 v3, v3, v2
	s_waitcnt lgkmcnt(0)
	v_add_f32_e32 v2, v2, v3
	ds_bpermute_b32 v3, v4, v2
	s_waitcnt lgkmcnt(0)
	v_add_f32_e32 v2, v2, v3
	;; [unrolled: 3-line block ×5, first 2 shown]
	s_and_saveexec_b32 s3, vcc_lo
; %bb.533:
	ds_write_b32 v5, v2 offset:528
; %bb.534:
	s_or_b32 exec_lo, exec_lo, s3
	s_waitcnt lgkmcnt(0)
	s_barrier
	buffer_gl0_inv
	s_and_saveexec_b32 s3, s1
; %bb.535:
	ds_read_b32 v2, v6 offset:528
; %bb.536:
	s_or_b32 exec_lo, exec_lo, s3
	s_waitcnt lgkmcnt(0)
	ds_bpermute_b32 v3, v8, v2
	v_lshlrev_b32_e32 v4, 2, v10
	s_waitcnt lgkmcnt(0)
	v_add_f32_e32 v2, v2, v3
	ds_bpermute_b32 v3, v12, v2
	s_waitcnt lgkmcnt(0)
	v_add_f32_e32 v2, v2, v3
	v_and_b32_e32 v3, 0xffffff80, v4
	ds_bpermute_b32 v2, v3, v2
	s_and_saveexec_b32 s1, s2
	s_cbranch_execz .LBB251_539
; %bb.537:
	s_waitcnt lgkmcnt(0)
	v_add_f32_e32 v2, 0x358637bd, v2
	s_mov_b32 s2, 0
	v_div_scale_f32 v3, null, v2, v2, 1.0
	v_div_scale_f32 v6, vcc_lo, 1.0, v2, 1.0
	v_rcp_f32_e32 v4, v3
	v_fma_f32 v5, -v3, v4, 1.0
	v_fmac_f32_e32 v4, v5, v4
	v_mul_f32_e32 v5, v6, v4
	v_fma_f32 v7, -v3, v5, v6
	v_fmac_f32_e32 v5, v7, v4
	v_fma_f32 v3, -v3, v5, v6
	v_div_fmas_f32 v3, v3, v4, v5
	v_div_fixup_f32 v2, v3, v2, 1.0
	v_mov_b32_e32 v3, v0
.LBB251_538:                            ; =>This Inner Loop Header: Depth=1
	ds_read_b32 v4, v1
	v_add_nc_u32_e32 v3, 0x80, v3
	v_cmp_le_i32_e32 vcc_lo, s4, v3
	s_or_b32 s2, vcc_lo, s2
	s_waitcnt lgkmcnt(0)
	v_mul_f32_e32 v4, v2, v4
	ds_write_b32 v1, v4
	v_add_nc_u32_e32 v1, 0x200, v1
	s_andn2_b32 exec_lo, exec_lo, s2
	s_cbranch_execnz .LBB251_538
.LBB251_539:
	s_or_b32 exec_lo, exec_lo, s1
	v_mov_b32_e32 v20, 0
	v_mov_b32_e32 v19, 0
	;; [unrolled: 1-line block ×8, first 2 shown]
	s_waitcnt lgkmcnt(0)
	s_barrier
	buffer_gl0_inv
	s_and_saveexec_b32 s1, s0
	s_cbranch_execz .LBB251_1071
; %bb.540:
	v_lshlrev_b32_e32 v1, 3, v13
	s_ashr_i32 s0, s18, 31
	s_add_u32 s2, s26, s18
	s_addc_u32 s0, s27, s0
	s_add_i32 s5, s16, -1
	v_add_co_u32 v3, s2, s2, v1
	v_and_b32_e32 v1, 0x7c, v9
	v_add_co_ci_u32_e64 v4, null, s0, 0, s2
	s_lshl_b64 s[2:3], s[24:25], 2
	v_mov_b32_e32 v2, 0
	s_add_u32 s0, s22, s2
	s_addc_u32 s2, s23, s3
	v_add_co_u32 v5, s0, s0, v1
	v_lshl_or_b32 v21, v11, 3, 7
	v_lshl_add_u32 v22, v11, 5, 0x220
	v_add_co_ci_u32_e64 v6, null, s2, 0, s0
	v_mov_b32_e32 v23, 0x80
	v_mov_b32_e32 v24, 0x7f
	;; [unrolled: 1-line block ×13, first 2 shown]
	s_mov_b32 s2, -1
	s_mov_b32 s4, s17
	s_mov_b32 s3, 0xffffff
	;; [unrolled: 1-line block ×3, first 2 shown]
	s_branch .LBB251_542
.LBB251_541:                            ;   in Loop: Header=BB251_542 Depth=1
	s_or_b32 exec_lo, exec_lo, s0
	v_add_f32_e32 v9, v9, v10
	v_add_f32_e32 v10, v49, v50
	v_add_nc_u32_e32 v27, 4, v27
	v_add_f32_e32 v28, v47, v48
	v_add_f32_e32 v29, v45, v46
	;; [unrolled: 1-line block ×3, first 2 shown]
	;;#ASMSTART
	v_pk_mul_f16 v9, v39, v51;

	;;#ASMEND
	;;#ASMSTART
	v_pk_mul_f16 v1, v37, v1;

	;;#ASMEND
	;; [unrolled: 4-line block ×4, first 2 shown]
	;;#ASMSTART
	v_pk_add_f16 v1, v9, v1;

	;;#ASMEND
	;;#ASMSTART
	v_pk_add_f16 v1, v1, v8;

	;;#ASMEND
	;; [unrolled: 4-line block ×3, first 2 shown]
	v_and_b32_e32 v9, 0xffff, v1
	v_add_f32_e32 v15, v15, v10
	v_lshrrev_b32_e32 v10, 16, v1
	;;#ASMSTART
	v_cvt_f32_f16 v9, v9;
	;;#ASMEND
	v_add_f32_e32 v1, v43, v44
	v_add_f32_e32 v7, v41, v42
	;; [unrolled: 1-line block ×3, first 2 shown]
	;;#ASMSTART
	v_cvt_f32_f16 v10, v10;
	;;#ASMEND
	v_add_f32_e32 v9, v9, v10
	v_cmp_le_i32_e32 vcc_lo, s16, v27
	v_add_co_u32 v5, s0, v5, 16
	v_add_f32_e32 v16, v16, v28
	v_add_f32_e32 v17, v17, v29
	;; [unrolled: 1-line block ×6, first 2 shown]
	v_add_nc_u32_e32 v21, 32, v21
	v_add_nc_u32_e32 v22, 0x80, v22
	v_add_co_ci_u32_e64 v6, null, 0, v6, s0
	s_or_b32 s12, vcc_lo, s12
	s_andn2_b32 exec_lo, exec_lo, s12
	s_cbranch_execz .LBB251_1070
.LBB251_542:                            ; =>This Inner Loop Header: Depth=1
	global_load_dword v1, v[5:6], off
	ds_read2_b64 v[28:31], v22 offset1:1
	ds_read2_b64 v[41:44], v22 offset0:2 offset1:3
	s_waitcnt lgkmcnt(1)
	;;#ASMSTART
	v_cvt_f16_f32 v35, v28;

	;;#ASMEND
	;;#ASMSTART
	v_cvt_f16_f32 v36, v29;

	;;#ASMEND
	;; [unrolled: 4-line block ×4, first 2 shown]
	s_waitcnt lgkmcnt(0)
	;;#ASMSTART
	v_cvt_f16_f32 v41, v41;

	;;#ASMEND
	;;#ASMSTART
	v_cvt_f16_f32 v38, v42;

	;;#ASMEND
	;; [unrolled: 4-line block ×4, first 2 shown]
	v_mov_b32_e32 v30, 0
	s_waitcnt vmcnt(0)
	v_mad_i64_i32 v[7:8], null, v1, s4, v[3:4]
	global_load_dwordx2 v[9:10], v[7:8], off
	global_load_dword v29, v2, s[14:15]
	s_waitcnt vmcnt(1)
	v_cmp_ne_u16_sdwa s13, v9, v2 src0_sel:BYTE_0 src1_sel:DWORD
	s_and_saveexec_b32 s0, s13
	s_cbranch_execz .LBB251_550
; %bb.543:                              ;   in Loop: Header=BB251_542 Depth=1
	v_cmp_ne_u16_sdwa s17, v9, v23 src0_sel:BYTE_0 src1_sel:DWORD
	v_mov_b32_e32 v30, 0x8000
	s_and_saveexec_b32 s13, s17
	s_cbranch_execz .LBB251_549
; %bb.544:                              ;   in Loop: Header=BB251_542 Depth=1
	v_and_b32_e32 v31, 0x7f, v9
	v_mov_b32_e32 v30, 0x7c01
	s_mov_b32 s17, exec_lo
	v_cmpx_ne_u32_e32 0x7f, v31
	s_cbranch_execz .LBB251_548
; %bb.545:                              ;   in Loop: Header=BB251_542 Depth=1
	v_and_b32_e32 v1, 7, v9
	v_lshrrev_b32_e32 v28, 3, v31
	s_mov_b32 s18, exec_lo
	v_cmpx_gt_u32_e32 8, v31
; %bb.546:                              ;   in Loop: Header=BB251_542 Depth=1
	v_ffbh_u32_e32 v1, v1
	v_min_u32_e32 v1, 32, v1
	v_subrev_nc_u32_e32 v28, 28, v1
	v_lshlrev_b64 v[30:31], v28, v[9:10]
	v_sub_nc_u32_e32 v28, 29, v1
	v_and_b32_e32 v1, 7, v30
; %bb.547:                              ;   in Loop: Header=BB251_542 Depth=1
	s_or_b32 exec_lo, exec_lo, s18
	v_lshlrev_b32_e32 v30, 8, v9
	v_lshl_add_u32 v28, v28, 10, 0x2000
	v_lshlrev_b32_e32 v1, 7, v1
	v_and_b32_e32 v30, 0x8000, v30
	v_and_b32_e32 v28, 0xfc00, v28
	v_or3_b32 v30, v30, v28, v1
.LBB251_548:                            ;   in Loop: Header=BB251_542 Depth=1
	s_or_b32 exec_lo, exec_lo, s17
.LBB251_549:                            ;   in Loop: Header=BB251_542 Depth=1
	s_or_b32 exec_lo, exec_lo, s13
.LBB251_550:                            ;   in Loop: Header=BB251_542 Depth=1
	s_or_b32 exec_lo, exec_lo, s0
	v_lshrrev_b16 v1, 8, v9
	v_mov_b32_e32 v28, 0
	v_mov_b32_e32 v31, 0
	s_mov_b32 s0, exec_lo
	v_cmpx_ne_u16_e32 0, v1
	s_cbranch_execz .LBB251_558
; %bb.551:                              ;   in Loop: Header=BB251_542 Depth=1
	v_bfrev_b32_e32 v31, 1
	s_mov_b32 s13, exec_lo
	v_cmpx_ne_u16_e32 0x80, v1
	s_cbranch_execz .LBB251_557
; %bb.552:                              ;   in Loop: Header=BB251_542 Depth=1
	v_and_b32_sdwa v33, v1, v24 dst_sel:DWORD dst_unused:UNUSED_PAD src0_sel:WORD_0 src1_sel:DWORD
	v_mov_b32_e32 v31, 0x7c010000
	s_mov_b32 s17, exec_lo
	v_cmpx_ne_u32_e32 0x7f, v33
	s_cbranch_execz .LBB251_556
; %bb.553:                              ;   in Loop: Header=BB251_542 Depth=1
	v_and_b32_sdwa v31, v1, v25 dst_sel:DWORD dst_unused:UNUSED_PAD src0_sel:WORD_0 src1_sel:DWORD
	v_lshrrev_b32_e32 v32, 3, v33
	s_mov_b32 s18, exec_lo
	v_cmpx_gt_u32_e32 8, v33
; %bb.554:                              ;   in Loop: Header=BB251_542 Depth=1
	v_ffbh_u32_e32 v31, v31
	v_min_u32_e32 v33, 32, v31
	v_subrev_nc_u32_e32 v31, 28, v33
	v_lshlrev_b64 v[31:32], v31, v[1:2]
	v_sub_nc_u32_e32 v32, 29, v33
	v_and_b32_e32 v31, 7, v31
; %bb.555:                              ;   in Loop: Header=BB251_542 Depth=1
	s_or_b32 exec_lo, exec_lo, s18
	v_lshlrev_b32_sdwa v1, v26, v1 dst_sel:DWORD dst_unused:UNUSED_PAD src0_sel:DWORD src1_sel:WORD_0
	v_lshl_add_u32 v32, v32, 10, 0x2000
	v_lshlrev_b32_e32 v31, 23, v31
	v_and_or_b32 v1, 0x8000, v1, v32
	v_lshl_or_b32 v31, v1, 16, v31
.LBB251_556:                            ;   in Loop: Header=BB251_542 Depth=1
	s_or_b32 exec_lo, exec_lo, s17
.LBB251_557:                            ;   in Loop: Header=BB251_542 Depth=1
	s_or_b32 exec_lo, exec_lo, s13
.LBB251_558:                            ;   in Loop: Header=BB251_542 Depth=1
	s_or_b32 exec_lo, exec_lo, s0
	v_lshrrev_b32_e32 v1, 16, v9
	v_cmp_ne_u16_sdwa s13, v1, v2 src0_sel:BYTE_0 src1_sel:DWORD
	s_and_saveexec_b32 s0, s13
	s_cbranch_execz .LBB251_566
; %bb.559:                              ;   in Loop: Header=BB251_542 Depth=1
	v_cmp_ne_u16_sdwa s17, v1, v23 src0_sel:BYTE_0 src1_sel:DWORD
	v_mov_b32_e32 v28, 0x8000
	s_and_saveexec_b32 s13, s17
	s_cbranch_execz .LBB251_565
; %bb.560:                              ;   in Loop: Header=BB251_542 Depth=1
	v_bfe_u32 v33, v9, 16, 7
	v_mov_b32_e32 v28, 0x7c01
	s_mov_b32 s17, exec_lo
	v_cmpx_ne_u32_e32 0x7f, v33
	s_cbranch_execz .LBB251_564
; %bb.561:                              ;   in Loop: Header=BB251_542 Depth=1
	v_and_b32_e32 v28, 7, v1
	v_lshrrev_b32_e32 v32, 3, v33
	s_mov_b32 s18, exec_lo
	v_cmpx_gt_u32_e32 8, v33
; %bb.562:                              ;   in Loop: Header=BB251_542 Depth=1
	v_ffbh_u32_e32 v28, v28
	v_min_u32_e32 v28, 32, v28
	v_subrev_nc_u32_e32 v32, 28, v28
	v_lshlrev_b64 v[33:34], v32, v[1:2]
	v_sub_nc_u32_e32 v32, 29, v28
	v_and_b32_e32 v28, 7, v33
; %bb.563:                              ;   in Loop: Header=BB251_542 Depth=1
	s_or_b32 exec_lo, exec_lo, s18
	v_lshlrev_b32_e32 v1, 8, v1
	v_lshl_add_u32 v32, v32, 10, 0x2000
	v_lshlrev_b32_e32 v28, 7, v28
	v_and_b32_e32 v1, 0x8000, v1
	v_and_b32_e32 v32, 0xfc00, v32
	v_or3_b32 v28, v1, v32, v28
.LBB251_564:                            ;   in Loop: Header=BB251_542 Depth=1
	s_or_b32 exec_lo, exec_lo, s17
.LBB251_565:                            ;   in Loop: Header=BB251_542 Depth=1
	s_or_b32 exec_lo, exec_lo, s13
.LBB251_566:                            ;   in Loop: Header=BB251_542 Depth=1
	s_or_b32 exec_lo, exec_lo, s0
	v_mov_b32_e32 v32, 0
	v_mov_b32_e32 v33, 0
	s_mov_b32 s0, exec_lo
	v_cmpx_lt_u32_e32 0xffffff, v9
	s_cbranch_execz .LBB251_574
; %bb.567:                              ;   in Loop: Header=BB251_542 Depth=1
	v_lshrrev_b32_e32 v1, 24, v9
	v_bfrev_b32_e32 v33, 1
	s_mov_b32 s13, exec_lo
	v_cmpx_ne_u32_e32 0x80, v1
	s_cbranch_execz .LBB251_573
; %bb.568:                              ;   in Loop: Header=BB251_542 Depth=1
	v_and_b32_e32 v43, 0x7f, v1
	v_mov_b32_e32 v33, 0x7c010000
	s_mov_b32 s17, exec_lo
	v_cmpx_ne_u32_e32 0x7f, v43
	s_cbranch_execz .LBB251_572
; %bb.569:                              ;   in Loop: Header=BB251_542 Depth=1
	v_and_b32_e32 v33, 7, v1
	v_lshrrev_b32_e32 v34, 3, v43
	s_mov_b32 s18, exec_lo
	v_cmpx_gt_u32_e32 8, v43
; %bb.570:                              ;   in Loop: Header=BB251_542 Depth=1
	v_ffbh_u32_e32 v33, v33
	v_min_u32_e32 v43, 32, v33
	v_subrev_nc_u32_e32 v33, 28, v43
	v_lshlrev_b64 v[33:34], v33, v[1:2]
	v_sub_nc_u32_e32 v34, 29, v43
	v_and_b32_e32 v33, 7, v33
; %bb.571:                              ;   in Loop: Header=BB251_542 Depth=1
	s_or_b32 exec_lo, exec_lo, s18
	v_lshlrev_b32_e32 v1, 8, v1
	v_lshl_add_u32 v34, v34, 10, 0x2000
	v_lshlrev_b32_e32 v33, 23, v33
	v_and_or_b32 v1, 0x8000, v1, v34
	v_lshl_or_b32 v33, v1, 16, v33
.LBB251_572:                            ;   in Loop: Header=BB251_542 Depth=1
	s_or_b32 exec_lo, exec_lo, s17
.LBB251_573:                            ;   in Loop: Header=BB251_542 Depth=1
	s_or_b32 exec_lo, exec_lo, s13
.LBB251_574:                            ;   in Loop: Header=BB251_542 Depth=1
	s_or_b32 exec_lo, exec_lo, s0
	v_mov_b32_e32 v1, v10
	v_cmp_ne_u16_sdwa s13, v10, v2 src0_sel:BYTE_0 src1_sel:DWORD
	s_and_saveexec_b32 s0, s13
	s_cbranch_execz .LBB251_582
; %bb.575:                              ;   in Loop: Header=BB251_542 Depth=1
	v_cmp_ne_u16_sdwa s17, v10, v23 src0_sel:BYTE_0 src1_sel:DWORD
	v_mov_b32_e32 v32, 0x8000
	s_and_saveexec_b32 s13, s17
	s_cbranch_execz .LBB251_581
; %bb.576:                              ;   in Loop: Header=BB251_542 Depth=1
	v_and_b32_e32 v43, 0x7f, v10
	v_mov_b32_e32 v32, 0x7c01
	s_mov_b32 s17, exec_lo
	v_cmpx_ne_u32_e32 0x7f, v43
	s_cbranch_execz .LBB251_580
; %bb.577:                              ;   in Loop: Header=BB251_542 Depth=1
	v_and_b32_e32 v32, 7, v10
	v_lshrrev_b32_e32 v34, 3, v43
	s_mov_b32 s18, exec_lo
	v_cmpx_gt_u32_e32 8, v43
; %bb.578:                              ;   in Loop: Header=BB251_542 Depth=1
	v_ffbh_u32_e32 v32, v32
	v_min_u32_e32 v32, 32, v32
	v_subrev_nc_u32_e32 v34, 28, v32
	v_lshlrev_b64 v[43:44], v34, v[1:2]
	v_sub_nc_u32_e32 v34, 29, v32
	v_and_b32_e32 v32, 7, v43
; %bb.579:                              ;   in Loop: Header=BB251_542 Depth=1
	s_or_b32 exec_lo, exec_lo, s18
	v_lshlrev_b32_e32 v43, 8, v10
	v_lshl_add_u32 v34, v34, 10, 0x2000
	v_lshlrev_b32_e32 v32, 7, v32
	v_and_b32_e32 v43, 0x8000, v43
	v_and_b32_e32 v34, 0xfc00, v34
	v_or3_b32 v32, v43, v34, v32
.LBB251_580:                            ;   in Loop: Header=BB251_542 Depth=1
	s_or_b32 exec_lo, exec_lo, s17
.LBB251_581:                            ;   in Loop: Header=BB251_542 Depth=1
	s_or_b32 exec_lo, exec_lo, s13
.LBB251_582:                            ;   in Loop: Header=BB251_542 Depth=1
	s_or_b32 exec_lo, exec_lo, s0
	v_lshrrev_b16 v1, 8, v1
	v_mov_b32_e32 v43, 0
	v_mov_b32_e32 v34, 0
	s_mov_b32 s0, exec_lo
	v_cmpx_ne_u16_e32 0, v1
	s_cbranch_execz .LBB251_590
; %bb.583:                              ;   in Loop: Header=BB251_542 Depth=1
	v_bfrev_b32_e32 v34, 1
	s_mov_b32 s13, exec_lo
	v_cmpx_ne_u16_e32 0x80, v1
	s_cbranch_execz .LBB251_589
; %bb.584:                              ;   in Loop: Header=BB251_542 Depth=1
	v_and_b32_sdwa v45, v1, v24 dst_sel:DWORD dst_unused:UNUSED_PAD src0_sel:WORD_0 src1_sel:DWORD
	v_mov_b32_e32 v34, 0x7c010000
	s_mov_b32 s17, exec_lo
	v_cmpx_ne_u32_e32 0x7f, v45
	s_cbranch_execz .LBB251_588
; %bb.585:                              ;   in Loop: Header=BB251_542 Depth=1
	v_and_b32_sdwa v34, v1, v25 dst_sel:DWORD dst_unused:UNUSED_PAD src0_sel:WORD_0 src1_sel:DWORD
	v_lshrrev_b32_e32 v44, 3, v45
	s_mov_b32 s18, exec_lo
	v_cmpx_gt_u32_e32 8, v45
; %bb.586:                              ;   in Loop: Header=BB251_542 Depth=1
	v_ffbh_u32_e32 v34, v34
	v_min_u32_e32 v34, 32, v34
	v_subrev_nc_u32_e32 v44, 28, v34
	v_lshlrev_b64 v[45:46], v44, v[1:2]
	v_sub_nc_u32_e32 v44, 29, v34
	v_and_b32_e32 v34, 7, v45
; %bb.587:                              ;   in Loop: Header=BB251_542 Depth=1
	s_or_b32 exec_lo, exec_lo, s18
	v_lshlrev_b32_sdwa v1, v26, v1 dst_sel:DWORD dst_unused:UNUSED_PAD src0_sel:DWORD src1_sel:WORD_0
	v_lshl_add_u32 v44, v44, 10, 0x2000
	v_lshlrev_b32_e32 v34, 23, v34
	v_and_or_b32 v1, 0x8000, v1, v44
	v_lshl_or_b32 v34, v1, 16, v34
.LBB251_588:                            ;   in Loop: Header=BB251_542 Depth=1
	s_or_b32 exec_lo, exec_lo, s17
.LBB251_589:                            ;   in Loop: Header=BB251_542 Depth=1
	s_or_b32 exec_lo, exec_lo, s13
.LBB251_590:                            ;   in Loop: Header=BB251_542 Depth=1
	s_or_b32 exec_lo, exec_lo, s0
	v_lshrrev_b32_e32 v1, 16, v10
	v_cmp_ne_u16_sdwa s13, v1, v2 src0_sel:BYTE_0 src1_sel:DWORD
	s_and_saveexec_b32 s0, s13
	s_cbranch_execz .LBB251_598
; %bb.591:                              ;   in Loop: Header=BB251_542 Depth=1
	v_cmp_ne_u16_sdwa s17, v1, v23 src0_sel:BYTE_0 src1_sel:DWORD
	v_mov_b32_e32 v43, 0x8000
	s_and_saveexec_b32 s13, s17
	s_cbranch_execz .LBB251_597
; %bb.592:                              ;   in Loop: Header=BB251_542 Depth=1
	v_bfe_u32 v45, v10, 16, 7
	v_mov_b32_e32 v43, 0x7c01
	s_mov_b32 s17, exec_lo
	v_cmpx_ne_u32_e32 0x7f, v45
	s_cbranch_execz .LBB251_596
; %bb.593:                              ;   in Loop: Header=BB251_542 Depth=1
	v_and_b32_e32 v43, 7, v1
	v_lshrrev_b32_e32 v44, 3, v45
	s_mov_b32 s18, exec_lo
	v_cmpx_gt_u32_e32 8, v45
; %bb.594:                              ;   in Loop: Header=BB251_542 Depth=1
	v_ffbh_u32_e32 v43, v43
	v_min_u32_e32 v45, 32, v43
	v_subrev_nc_u32_e32 v43, 28, v45
	v_lshlrev_b64 v[43:44], v43, v[1:2]
	v_sub_nc_u32_e32 v44, 29, v45
	v_and_b32_e32 v43, 7, v43
; %bb.595:                              ;   in Loop: Header=BB251_542 Depth=1
	s_or_b32 exec_lo, exec_lo, s18
	v_lshlrev_b32_e32 v1, 8, v1
	v_lshl_add_u32 v44, v44, 10, 0x2000
	v_lshlrev_b32_e32 v43, 7, v43
	v_and_b32_e32 v1, 0x8000, v1
	v_and_b32_e32 v44, 0xfc00, v44
	v_or3_b32 v43, v1, v44, v43
.LBB251_596:                            ;   in Loop: Header=BB251_542 Depth=1
	s_or_b32 exec_lo, exec_lo, s17
.LBB251_597:                            ;   in Loop: Header=BB251_542 Depth=1
	s_or_b32 exec_lo, exec_lo, s13
.LBB251_598:                            ;   in Loop: Header=BB251_542 Depth=1
	s_or_b32 exec_lo, exec_lo, s0
	v_cmp_lt_u64_e32 vcc_lo, s[2:3], v[9:10]
	v_mov_b32_e32 v9, 0
	s_and_saveexec_b32 s0, vcc_lo
	s_cbranch_execz .LBB251_606
; %bb.599:                              ;   in Loop: Header=BB251_542 Depth=1
	v_lshrrev_b32_e32 v1, 24, v10
	v_bfrev_b32_e32 v9, 1
	s_mov_b32 s13, exec_lo
	v_cmpx_ne_u32_e32 0x80, v1
	s_cbranch_execz .LBB251_605
; %bb.600:                              ;   in Loop: Header=BB251_542 Depth=1
	v_and_b32_e32 v44, 0x7f, v1
	v_mov_b32_e32 v9, 0x7c010000
	s_mov_b32 s17, exec_lo
	v_cmpx_ne_u32_e32 0x7f, v44
	s_cbranch_execz .LBB251_604
; %bb.601:                              ;   in Loop: Header=BB251_542 Depth=1
	v_and_b32_e32 v9, 7, v1
	v_lshrrev_b32_e32 v10, 3, v44
	s_mov_b32 s18, exec_lo
	v_cmpx_gt_u32_e32 8, v44
; %bb.602:                              ;   in Loop: Header=BB251_542 Depth=1
	v_ffbh_u32_e32 v9, v9
	v_min_u32_e32 v44, 32, v9
	v_subrev_nc_u32_e32 v9, 28, v44
	v_lshlrev_b64 v[9:10], v9, v[1:2]
	v_sub_nc_u32_e32 v10, 29, v44
	v_and_b32_e32 v9, 7, v9
; %bb.603:                              ;   in Loop: Header=BB251_542 Depth=1
	s_or_b32 exec_lo, exec_lo, s18
	v_lshlrev_b32_e32 v1, 8, v1
	v_lshl_add_u32 v10, v10, 10, 0x2000
	v_lshlrev_b32_e32 v9, 23, v9
	v_and_or_b32 v1, 0x8000, v1, v10
	v_lshl_or_b32 v9, v1, 16, v9
.LBB251_604:                            ;   in Loop: Header=BB251_542 Depth=1
	s_or_b32 exec_lo, exec_lo, s17
.LBB251_605:                            ;   in Loop: Header=BB251_542 Depth=1
	s_or_b32 exec_lo, exec_lo, s13
.LBB251_606:                            ;   in Loop: Header=BB251_542 Depth=1
	s_or_b32 exec_lo, exec_lo, s0
	v_or_b32_e32 v1, v33, v28
	s_waitcnt vmcnt(0)
	v_fma_mixlo_f16 v10, v29, v33, 0 op_sel:[0,1,0] op_sel_hi:[0,1,0]
	v_or_b32_e32 v30, v31, v30
	v_fma_mixlo_f16 v31, v29, v31, 0 op_sel:[0,1,0] op_sel_hi:[0,1,0]
	v_or_b32_e32 v32, v34, v32
	v_fma_mixlo_f16 v1, v29, v1, 0 op_sel_hi:[0,1,0]
	v_or_b32_e32 v33, v9, v43
	v_fma_mixlo_f16 v9, v29, v9, 0 op_sel:[0,1,0] op_sel_hi:[0,1,0]
	v_lshlrev_b32_e32 v49, 16, v31
	v_fma_mixlo_f16 v31, v29, v32, 0 op_sel_hi:[0,1,0]
	v_and_b32_e32 v46, 0xffff, v1
	v_fma_mixlo_f16 v1, v29, v30, 0 op_sel_hi:[0,1,0]
	v_fma_mixlo_f16 v30, v29, v34, 0 op_sel:[0,1,0] op_sel_hi:[0,1,0]
	v_fma_mixlo_f16 v29, v29, v33, 0 op_sel_hi:[0,1,0]
	v_lshlrev_b32_e32 v10, 16, v10
	v_and_b32_e32 v50, 0xffff, v31
	v_and_b32_e32 v51, 0xffff, v1
	v_lshlrev_b32_e32 v47, 16, v30
	v_lshlrev_b32_e32 v44, 16, v9
	v_and_b32_e32 v48, 0xffff, v29
	v_add_nc_u32_e32 v28, -7, v21
	v_cmp_eq_u32_e32 vcc_lo, s5, v27
	v_or_b32_e32 v1, v10, v46
	v_or_b32_e32 v9, v49, v51
	;; [unrolled: 1-line block ×4, first 2 shown]
	v_add_nc_u32_e32 v34, -6, v21
	v_add_nc_u32_e32 v33, -5, v21
	;; [unrolled: 1-line block ×6, first 2 shown]
	s_and_saveexec_b32 s13, vcc_lo
	s_cbranch_execz .LBB251_608
; %bb.607:                              ;   in Loop: Header=BB251_542 Depth=1
	v_cmp_gt_i32_e64 s0, s11, v28
	v_cndmask_b32_e64 v1, 0, v51, s0
	v_cmp_gt_i32_e64 s0, s11, v34
	v_cndmask_b32_e64 v9, 0, v49, s0
	v_cmp_gt_i32_e64 s0, s11, v33
	v_or_b32_e32 v9, v9, v1
	v_cndmask_b32_e64 v43, 0, v46, s0
	v_cmp_gt_i32_e64 s0, s11, v32
	v_cndmask_b32_e64 v10, 0, v10, s0
	v_cmp_gt_i32_e64 s0, s11, v31
	v_or_b32_e32 v1, v10, v43
	;; [unrolled: 5-line block ×3, first 2 shown]
	v_cndmask_b32_e64 v47, 0, v48, s0
	v_cmp_gt_i32_e64 s0, s11, v21
	v_cndmask_b32_e64 v44, 0, v44, s0
	v_or_b32_e32 v45, v44, v47
.LBB251_608:                            ;   in Loop: Header=BB251_542 Depth=1
	s_or_b32 exec_lo, exec_lo, s13
	v_and_b32_e32 v10, 0xffff, v35
	v_and_b32_e32 v35, 0xffff, v39
	;; [unrolled: 1-line block ×4, first 2 shown]
	v_lshl_or_b32 v39, v36, 16, v10
	v_lshl_or_b32 v37, v37, 16, v35
	;;#ASMSTART
	v_pk_mul_f16 v9, v39, v9;

	;;#ASMEND
	;;#ASMSTART
	v_pk_mul_f16 v1, v37, v1;

	;;#ASMEND
	v_lshl_or_b32 v36, v38, 16, v41
	v_lshl_or_b32 v35, v40, 16, v42
	;;#ASMSTART
	v_pk_mul_f16 v10, v36, v43;

	;;#ASMEND
	;;#ASMSTART
	v_pk_mul_f16 v38, v35, v45;

	;;#ASMEND
	;;#ASMSTART
	v_pk_add_f16 v1, v9, v1;

	;;#ASMEND
	;;#ASMSTART
	v_pk_add_f16 v1, v1, v10;
	;; [unrolled: 4-line block ×3, first 2 shown]

	;;#ASMEND
	v_and_b32_e32 v9, 0xffff, v1
	v_lshrrev_b32_e32 v1, 16, v1
	;;#ASMSTART
	v_cvt_f32_f16 v38, v9;
	;;#ASMEND
	;;#ASMSTART
	v_cvt_f32_f16 v40, v1;
	;;#ASMEND
	global_load_dwordx2 v[9:10], v[7:8], off offset:256
	v_mov_b32_e32 v42, 0
	v_mov_b32_e32 v43, 0
	global_load_dword v41, v42, s[14:15]
	s_waitcnt vmcnt(1)
	v_cmp_ne_u16_sdwa s0, v9, v2 src0_sel:BYTE_0 src1_sel:DWORD
	s_and_saveexec_b32 s13, s0
	s_cbranch_execz .LBB251_616
; %bb.609:                              ;   in Loop: Header=BB251_542 Depth=1
	v_cmp_ne_u16_sdwa s0, v9, v23 src0_sel:BYTE_0 src1_sel:DWORD
	v_mov_b32_e32 v43, 0x8000
	s_and_saveexec_b32 s17, s0
	s_cbranch_execz .LBB251_615
; %bb.610:                              ;   in Loop: Header=BB251_542 Depth=1
	v_and_b32_e32 v44, 0x7f, v9
	v_mov_b32_e32 v43, 0x7c01
	s_mov_b32 s18, exec_lo
	v_cmpx_ne_u32_e32 0x7f, v44
	s_cbranch_execz .LBB251_614
; %bb.611:                              ;   in Loop: Header=BB251_542 Depth=1
	v_and_b32_e32 v1, 7, v9
	v_lshrrev_b32_e32 v43, 3, v44
	s_mov_b32 s19, exec_lo
	v_cmpx_gt_u32_e32 8, v44
; %bb.612:                              ;   in Loop: Header=BB251_542 Depth=1
	v_ffbh_u32_e32 v1, v1
	v_min_u32_e32 v1, 32, v1
	v_subrev_nc_u32_e32 v43, 28, v1
	v_lshlrev_b64 v[44:45], v43, v[9:10]
	v_sub_nc_u32_e32 v43, 29, v1
	v_and_b32_e32 v1, 7, v44
; %bb.613:                              ;   in Loop: Header=BB251_542 Depth=1
	s_or_b32 exec_lo, exec_lo, s19
	v_lshlrev_b32_e32 v44, 8, v9
	v_lshl_add_u32 v43, v43, 10, 0x2000
	v_lshlrev_b32_e32 v1, 7, v1
	v_and_b32_e32 v44, 0x8000, v44
	v_and_b32_e32 v43, 0xfc00, v43
	v_or3_b32 v43, v44, v43, v1
.LBB251_614:                            ;   in Loop: Header=BB251_542 Depth=1
	s_or_b32 exec_lo, exec_lo, s18
.LBB251_615:                            ;   in Loop: Header=BB251_542 Depth=1
	s_or_b32 exec_lo, exec_lo, s17
.LBB251_616:                            ;   in Loop: Header=BB251_542 Depth=1
	s_or_b32 exec_lo, exec_lo, s13
	v_lshrrev_b16 v1, 8, v9
	s_mov_b32 s13, exec_lo
	v_cmpx_ne_u16_e32 0, v1
	s_cbranch_execz .LBB251_624
; %bb.617:                              ;   in Loop: Header=BB251_542 Depth=1
	v_bfrev_b32_e32 v42, 1
	s_mov_b32 s17, exec_lo
	v_cmpx_ne_u16_e32 0x80, v1
	s_cbranch_execz .LBB251_623
; %bb.618:                              ;   in Loop: Header=BB251_542 Depth=1
	v_and_b32_sdwa v45, v1, v24 dst_sel:DWORD dst_unused:UNUSED_PAD src0_sel:WORD_0 src1_sel:DWORD
	v_mov_b32_e32 v42, 0x7c010000
	s_mov_b32 s18, exec_lo
	v_cmpx_ne_u32_e32 0x7f, v45
	s_cbranch_execz .LBB251_622
; %bb.619:                              ;   in Loop: Header=BB251_542 Depth=1
	v_and_b32_sdwa v42, v1, v25 dst_sel:DWORD dst_unused:UNUSED_PAD src0_sel:WORD_0 src1_sel:DWORD
	v_lshrrev_b32_e32 v44, 3, v45
	s_mov_b32 s19, exec_lo
	v_cmpx_gt_u32_e32 8, v45
; %bb.620:                              ;   in Loop: Header=BB251_542 Depth=1
	v_ffbh_u32_e32 v42, v42
	v_min_u32_e32 v42, 32, v42
	v_subrev_nc_u32_e32 v44, 28, v42
	v_lshlrev_b64 v[45:46], v44, v[1:2]
	v_sub_nc_u32_e32 v44, 29, v42
	v_and_b32_e32 v42, 7, v45
; %bb.621:                              ;   in Loop: Header=BB251_542 Depth=1
	s_or_b32 exec_lo, exec_lo, s19
	v_lshlrev_b32_sdwa v1, v26, v1 dst_sel:DWORD dst_unused:UNUSED_PAD src0_sel:DWORD src1_sel:WORD_0
	v_lshl_add_u32 v44, v44, 10, 0x2000
	v_lshlrev_b32_e32 v42, 23, v42
	v_and_or_b32 v1, 0x8000, v1, v44
	v_lshl_or_b32 v42, v1, 16, v42
.LBB251_622:                            ;   in Loop: Header=BB251_542 Depth=1
	s_or_b32 exec_lo, exec_lo, s18
.LBB251_623:                            ;   in Loop: Header=BB251_542 Depth=1
	s_or_b32 exec_lo, exec_lo, s17
.LBB251_624:                            ;   in Loop: Header=BB251_542 Depth=1
	s_or_b32 exec_lo, exec_lo, s13
	v_lshrrev_b32_e32 v1, 16, v9
	v_mov_b32_e32 v44, 0
	v_mov_b32_e32 v45, 0
	v_cmp_ne_u16_sdwa s0, v1, v2 src0_sel:BYTE_0 src1_sel:DWORD
	s_and_saveexec_b32 s13, s0
	s_cbranch_execz .LBB251_632
; %bb.625:                              ;   in Loop: Header=BB251_542 Depth=1
	v_cmp_ne_u16_sdwa s0, v1, v23 src0_sel:BYTE_0 src1_sel:DWORD
	v_mov_b32_e32 v45, 0x8000
	s_and_saveexec_b32 s17, s0
	s_cbranch_execz .LBB251_631
; %bb.626:                              ;   in Loop: Header=BB251_542 Depth=1
	v_bfe_u32 v47, v9, 16, 7
	v_mov_b32_e32 v45, 0x7c01
	s_mov_b32 s18, exec_lo
	v_cmpx_ne_u32_e32 0x7f, v47
	s_cbranch_execz .LBB251_630
; %bb.627:                              ;   in Loop: Header=BB251_542 Depth=1
	v_and_b32_e32 v45, 7, v1
	v_lshrrev_b32_e32 v46, 3, v47
	s_mov_b32 s19, exec_lo
	v_cmpx_gt_u32_e32 8, v47
; %bb.628:                              ;   in Loop: Header=BB251_542 Depth=1
	v_ffbh_u32_e32 v45, v45
	v_min_u32_e32 v47, 32, v45
	v_subrev_nc_u32_e32 v45, 28, v47
	v_lshlrev_b64 v[45:46], v45, v[1:2]
	v_sub_nc_u32_e32 v46, 29, v47
	v_and_b32_e32 v45, 7, v45
; %bb.629:                              ;   in Loop: Header=BB251_542 Depth=1
	s_or_b32 exec_lo, exec_lo, s19
	v_lshlrev_b32_e32 v1, 8, v1
	v_lshl_add_u32 v46, v46, 10, 0x2000
	v_lshlrev_b32_e32 v45, 7, v45
	v_and_b32_e32 v1, 0x8000, v1
	v_and_b32_e32 v46, 0xfc00, v46
	v_or3_b32 v45, v1, v46, v45
.LBB251_630:                            ;   in Loop: Header=BB251_542 Depth=1
	s_or_b32 exec_lo, exec_lo, s18
.LBB251_631:                            ;   in Loop: Header=BB251_542 Depth=1
	s_or_b32 exec_lo, exec_lo, s17
.LBB251_632:                            ;   in Loop: Header=BB251_542 Depth=1
	s_or_b32 exec_lo, exec_lo, s13
	s_mov_b32 s13, exec_lo
	v_cmpx_lt_u32_e32 0xffffff, v9
	s_cbranch_execz .LBB251_640
; %bb.633:                              ;   in Loop: Header=BB251_542 Depth=1
	v_lshrrev_b32_e32 v1, 24, v9
	v_bfrev_b32_e32 v44, 1
	s_mov_b32 s17, exec_lo
	v_cmpx_ne_u32_e32 0x80, v1
	s_cbranch_execz .LBB251_639
; %bb.634:                              ;   in Loop: Header=BB251_542 Depth=1
	v_and_b32_e32 v47, 0x7f, v1
	v_mov_b32_e32 v44, 0x7c010000
	s_mov_b32 s18, exec_lo
	v_cmpx_ne_u32_e32 0x7f, v47
	s_cbranch_execz .LBB251_638
; %bb.635:                              ;   in Loop: Header=BB251_542 Depth=1
	v_and_b32_e32 v44, 7, v1
	v_lshrrev_b32_e32 v46, 3, v47
	s_mov_b32 s19, exec_lo
	v_cmpx_gt_u32_e32 8, v47
; %bb.636:                              ;   in Loop: Header=BB251_542 Depth=1
	v_ffbh_u32_e32 v44, v44
	v_min_u32_e32 v44, 32, v44
	v_subrev_nc_u32_e32 v46, 28, v44
	v_lshlrev_b64 v[47:48], v46, v[1:2]
	v_sub_nc_u32_e32 v46, 29, v44
	v_and_b32_e32 v44, 7, v47
; %bb.637:                              ;   in Loop: Header=BB251_542 Depth=1
	s_or_b32 exec_lo, exec_lo, s19
	v_lshlrev_b32_e32 v1, 8, v1
	v_lshl_add_u32 v46, v46, 10, 0x2000
	v_lshlrev_b32_e32 v44, 23, v44
	v_and_or_b32 v1, 0x8000, v1, v46
	v_lshl_or_b32 v44, v1, 16, v44
.LBB251_638:                            ;   in Loop: Header=BB251_542 Depth=1
	s_or_b32 exec_lo, exec_lo, s18
.LBB251_639:                            ;   in Loop: Header=BB251_542 Depth=1
	s_or_b32 exec_lo, exec_lo, s17
.LBB251_640:                            ;   in Loop: Header=BB251_542 Depth=1
	s_or_b32 exec_lo, exec_lo, s13
	v_mov_b32_e32 v1, v10
	v_cmp_ne_u16_sdwa s0, v10, v2 src0_sel:BYTE_0 src1_sel:DWORD
	v_mov_b32_e32 v46, 0
	v_mov_b32_e32 v47, 0
	s_and_saveexec_b32 s13, s0
	s_cbranch_execz .LBB251_648
; %bb.641:                              ;   in Loop: Header=BB251_542 Depth=1
	v_cmp_ne_u16_sdwa s0, v10, v23 src0_sel:BYTE_0 src1_sel:DWORD
	v_mov_b32_e32 v47, 0x8000
	s_and_saveexec_b32 s17, s0
	s_cbranch_execz .LBB251_647
; %bb.642:                              ;   in Loop: Header=BB251_542 Depth=1
	v_and_b32_e32 v49, 0x7f, v10
	v_mov_b32_e32 v47, 0x7c01
	s_mov_b32 s18, exec_lo
	v_cmpx_ne_u32_e32 0x7f, v49
	s_cbranch_execz .LBB251_646
; %bb.643:                              ;   in Loop: Header=BB251_542 Depth=1
	v_and_b32_e32 v47, 7, v10
	v_lshrrev_b32_e32 v48, 3, v49
	s_mov_b32 s19, exec_lo
	v_cmpx_gt_u32_e32 8, v49
; %bb.644:                              ;   in Loop: Header=BB251_542 Depth=1
	v_ffbh_u32_e32 v47, v47
	v_min_u32_e32 v49, 32, v47
	v_subrev_nc_u32_e32 v47, 28, v49
	v_lshlrev_b64 v[47:48], v47, v[1:2]
	v_sub_nc_u32_e32 v48, 29, v49
	v_and_b32_e32 v47, 7, v47
; %bb.645:                              ;   in Loop: Header=BB251_542 Depth=1
	s_or_b32 exec_lo, exec_lo, s19
	v_lshlrev_b32_e32 v49, 8, v10
	v_lshl_add_u32 v48, v48, 10, 0x2000
	v_lshlrev_b32_e32 v47, 7, v47
	v_and_b32_e32 v49, 0x8000, v49
	v_and_b32_e32 v48, 0xfc00, v48
	v_or3_b32 v47, v49, v48, v47
.LBB251_646:                            ;   in Loop: Header=BB251_542 Depth=1
	s_or_b32 exec_lo, exec_lo, s18
.LBB251_647:                            ;   in Loop: Header=BB251_542 Depth=1
	s_or_b32 exec_lo, exec_lo, s17
.LBB251_648:                            ;   in Loop: Header=BB251_542 Depth=1
	s_or_b32 exec_lo, exec_lo, s13
	v_lshrrev_b16 v1, 8, v1
	v_mov_b32_e32 v48, 0
	s_mov_b32 s13, exec_lo
	v_cmpx_ne_u16_e32 0, v1
	s_cbranch_execz .LBB251_656
; %bb.649:                              ;   in Loop: Header=BB251_542 Depth=1
	v_bfrev_b32_e32 v48, 1
	s_mov_b32 s17, exec_lo
	v_cmpx_ne_u16_e32 0x80, v1
	s_cbranch_execz .LBB251_655
; %bb.650:                              ;   in Loop: Header=BB251_542 Depth=1
	v_and_b32_sdwa v50, v1, v24 dst_sel:DWORD dst_unused:UNUSED_PAD src0_sel:WORD_0 src1_sel:DWORD
	v_mov_b32_e32 v48, 0x7c010000
	s_mov_b32 s18, exec_lo
	v_cmpx_ne_u32_e32 0x7f, v50
	s_cbranch_execz .LBB251_654
; %bb.651:                              ;   in Loop: Header=BB251_542 Depth=1
	v_and_b32_sdwa v48, v1, v25 dst_sel:DWORD dst_unused:UNUSED_PAD src0_sel:WORD_0 src1_sel:DWORD
	v_lshrrev_b32_e32 v49, 3, v50
	s_mov_b32 s19, exec_lo
	v_cmpx_gt_u32_e32 8, v50
; %bb.652:                              ;   in Loop: Header=BB251_542 Depth=1
	v_ffbh_u32_e32 v48, v48
	v_min_u32_e32 v50, 32, v48
	v_subrev_nc_u32_e32 v48, 28, v50
	v_lshlrev_b64 v[48:49], v48, v[1:2]
	v_sub_nc_u32_e32 v49, 29, v50
	v_and_b32_e32 v48, 7, v48
; %bb.653:                              ;   in Loop: Header=BB251_542 Depth=1
	s_or_b32 exec_lo, exec_lo, s19
	v_lshlrev_b32_sdwa v1, v26, v1 dst_sel:DWORD dst_unused:UNUSED_PAD src0_sel:DWORD src1_sel:WORD_0
	v_lshl_add_u32 v49, v49, 10, 0x2000
	v_lshlrev_b32_e32 v48, 23, v48
	v_and_or_b32 v1, 0x8000, v1, v49
	v_lshl_or_b32 v48, v1, 16, v48
.LBB251_654:                            ;   in Loop: Header=BB251_542 Depth=1
	s_or_b32 exec_lo, exec_lo, s18
.LBB251_655:                            ;   in Loop: Header=BB251_542 Depth=1
	s_or_b32 exec_lo, exec_lo, s17
.LBB251_656:                            ;   in Loop: Header=BB251_542 Depth=1
	s_or_b32 exec_lo, exec_lo, s13
	v_lshrrev_b32_e32 v1, 16, v10
	v_cmp_ne_u16_sdwa s0, v1, v2 src0_sel:BYTE_0 src1_sel:DWORD
	s_and_saveexec_b32 s13, s0
	s_cbranch_execz .LBB251_664
; %bb.657:                              ;   in Loop: Header=BB251_542 Depth=1
	v_cmp_ne_u16_sdwa s0, v1, v23 src0_sel:BYTE_0 src1_sel:DWORD
	v_mov_b32_e32 v46, 0x8000
	s_and_saveexec_b32 s17, s0
	s_cbranch_execz .LBB251_663
; %bb.658:                              ;   in Loop: Header=BB251_542 Depth=1
	v_bfe_u32 v50, v10, 16, 7
	v_mov_b32_e32 v46, 0x7c01
	s_mov_b32 s18, exec_lo
	v_cmpx_ne_u32_e32 0x7f, v50
	s_cbranch_execz .LBB251_662
; %bb.659:                              ;   in Loop: Header=BB251_542 Depth=1
	v_and_b32_e32 v46, 7, v1
	v_lshrrev_b32_e32 v49, 3, v50
	s_mov_b32 s19, exec_lo
	v_cmpx_gt_u32_e32 8, v50
; %bb.660:                              ;   in Loop: Header=BB251_542 Depth=1
	v_ffbh_u32_e32 v46, v46
	v_min_u32_e32 v46, 32, v46
	v_subrev_nc_u32_e32 v49, 28, v46
	v_lshlrev_b64 v[50:51], v49, v[1:2]
	v_sub_nc_u32_e32 v49, 29, v46
	v_and_b32_e32 v46, 7, v50
; %bb.661:                              ;   in Loop: Header=BB251_542 Depth=1
	s_or_b32 exec_lo, exec_lo, s19
	v_lshlrev_b32_e32 v1, 8, v1
	v_lshl_add_u32 v49, v49, 10, 0x2000
	v_lshlrev_b32_e32 v46, 7, v46
	v_and_b32_e32 v1, 0x8000, v1
	v_and_b32_e32 v49, 0xfc00, v49
	v_or3_b32 v46, v1, v49, v46
.LBB251_662:                            ;   in Loop: Header=BB251_542 Depth=1
	s_or_b32 exec_lo, exec_lo, s18
.LBB251_663:                            ;   in Loop: Header=BB251_542 Depth=1
	s_or_b32 exec_lo, exec_lo, s17
.LBB251_664:                            ;   in Loop: Header=BB251_542 Depth=1
	s_or_b32 exec_lo, exec_lo, s13
	v_cmp_lt_u64_e64 s0, s[2:3], v[9:10]
	v_mov_b32_e32 v9, 0
	s_and_saveexec_b32 s13, s0
	s_cbranch_execz .LBB251_672
; %bb.665:                              ;   in Loop: Header=BB251_542 Depth=1
	v_lshrrev_b32_e32 v1, 24, v10
	v_bfrev_b32_e32 v9, 1
	s_mov_b32 s17, exec_lo
	v_cmpx_ne_u32_e32 0x80, v1
	s_cbranch_execz .LBB251_671
; %bb.666:                              ;   in Loop: Header=BB251_542 Depth=1
	v_and_b32_e32 v49, 0x7f, v1
	v_mov_b32_e32 v9, 0x7c010000
	s_mov_b32 s18, exec_lo
	v_cmpx_ne_u32_e32 0x7f, v49
	s_cbranch_execz .LBB251_670
; %bb.667:                              ;   in Loop: Header=BB251_542 Depth=1
	v_and_b32_e32 v9, 7, v1
	v_lshrrev_b32_e32 v10, 3, v49
	s_mov_b32 s19, exec_lo
	v_cmpx_gt_u32_e32 8, v49
; %bb.668:                              ;   in Loop: Header=BB251_542 Depth=1
	v_ffbh_u32_e32 v9, v9
	v_min_u32_e32 v49, 32, v9
	v_subrev_nc_u32_e32 v9, 28, v49
	v_lshlrev_b64 v[9:10], v9, v[1:2]
	v_sub_nc_u32_e32 v10, 29, v49
	v_and_b32_e32 v9, 7, v9
; %bb.669:                              ;   in Loop: Header=BB251_542 Depth=1
	s_or_b32 exec_lo, exec_lo, s19
	v_lshlrev_b32_e32 v1, 8, v1
	v_lshl_add_u32 v10, v10, 10, 0x2000
	v_lshlrev_b32_e32 v9, 23, v9
	v_and_or_b32 v1, 0x8000, v1, v10
	v_lshl_or_b32 v9, v1, 16, v9
.LBB251_670:                            ;   in Loop: Header=BB251_542 Depth=1
	s_or_b32 exec_lo, exec_lo, s18
.LBB251_671:                            ;   in Loop: Header=BB251_542 Depth=1
	s_or_b32 exec_lo, exec_lo, s17
.LBB251_672:                            ;   in Loop: Header=BB251_542 Depth=1
	s_or_b32 exec_lo, exec_lo, s13
	v_or_b32_e32 v1, v44, v45
	s_waitcnt vmcnt(0)
	v_fma_mixlo_f16 v10, v41, v44, 0 op_sel:[0,1,0] op_sel_hi:[0,1,0]
	v_or_b32_e32 v44, v42, v43
	v_fma_mixlo_f16 v42, v41, v42, 0 op_sel:[0,1,0] op_sel_hi:[0,1,0]
	v_or_b32_e32 v45, v48, v47
	v_or_b32_e32 v46, v9, v46
	v_fma_mixlo_f16 v47, v41, v1, 0 op_sel_hi:[0,1,0]
	v_fma_mixlo_f16 v9, v41, v9, 0 op_sel:[0,1,0] op_sel_hi:[0,1,0]
	v_lshlrev_b32_e32 v43, 16, v42
	v_fma_mixlo_f16 v42, v41, v44, 0 op_sel_hi:[0,1,0]
	v_fma_mixlo_f16 v44, v41, v48, 0 op_sel:[0,1,0] op_sel_hi:[0,1,0]
	v_fma_mixlo_f16 v45, v41, v45, 0 op_sel_hi:[0,1,0]
	v_fma_mixlo_f16 v46, v41, v46, 0 op_sel_hi:[0,1,0]
	v_lshlrev_b32_e32 v1, 16, v10
	v_and_b32_e32 v10, 0xffff, v47
	v_and_b32_e32 v49, 0xffff, v42
	v_lshlrev_b32_e32 v41, 16, v44
	v_and_b32_e32 v45, 0xffff, v45
	v_lshlrev_b32_e32 v9, 16, v9
	v_and_b32_e32 v42, 0xffff, v46
	v_or_b32_e32 v44, v1, v10
	v_or_b32_e32 v48, v43, v49
	v_or_b32_e32 v47, v41, v45
	v_or_b32_e32 v46, v9, v42
	s_and_saveexec_b32 s13, vcc_lo
	s_cbranch_execz .LBB251_674
; %bb.673:                              ;   in Loop: Header=BB251_542 Depth=1
	v_cmp_gt_i32_e64 s0, s11, v28
	v_cndmask_b32_e64 v44, 0, v49, s0
	v_cmp_gt_i32_e64 s0, s11, v34
	v_cndmask_b32_e64 v43, 0, v43, s0
	v_cmp_gt_i32_e64 s0, s11, v33
	v_or_b32_e32 v48, v43, v44
	v_cndmask_b32_e64 v10, 0, v10, s0
	v_cmp_gt_i32_e64 s0, s11, v32
	v_cndmask_b32_e64 v1, 0, v1, s0
	v_cmp_gt_i32_e64 s0, s11, v31
	v_or_b32_e32 v44, v1, v10
	;; [unrolled: 5-line block ×3, first 2 shown]
	v_cndmask_b32_e64 v42, 0, v42, s0
	v_cmp_gt_i32_e64 s0, s11, v21
	v_cndmask_b32_e64 v9, 0, v9, s0
	v_or_b32_e32 v46, v9, v42
.LBB251_674:                            ;   in Loop: Header=BB251_542 Depth=1
	s_or_b32 exec_lo, exec_lo, s13
	;;#ASMSTART
	v_pk_mul_f16 v1, v39, v48;

	;;#ASMEND
	;;#ASMSTART
	v_pk_mul_f16 v9, v37, v44;

	;;#ASMEND
	;; [unrolled: 4-line block ×4, first 2 shown]
	;;#ASMSTART
	v_pk_add_f16 v1, v1, v9;

	;;#ASMEND
	;;#ASMSTART
	v_pk_add_f16 v1, v1, v10;

	;;#ASMEND
	;; [unrolled: 4-line block ×3, first 2 shown]
	v_and_b32_e32 v9, 0xffff, v1
	v_lshrrev_b32_e32 v1, 16, v1
	;;#ASMSTART
	v_cvt_f32_f16 v41, v9;
	;;#ASMEND
	;;#ASMSTART
	v_cvt_f32_f16 v42, v1;
	;;#ASMEND
	global_load_dwordx2 v[9:10], v[7:8], off offset:512
	v_mov_b32_e32 v44, 0
	v_mov_b32_e32 v45, 0
	global_load_dword v43, v44, s[14:15]
	s_waitcnt vmcnt(1)
	v_cmp_ne_u16_sdwa s0, v9, v2 src0_sel:BYTE_0 src1_sel:DWORD
	s_and_saveexec_b32 s13, s0
	s_cbranch_execz .LBB251_682
; %bb.675:                              ;   in Loop: Header=BB251_542 Depth=1
	v_cmp_ne_u16_sdwa s0, v9, v23 src0_sel:BYTE_0 src1_sel:DWORD
	v_mov_b32_e32 v45, 0x8000
	s_and_saveexec_b32 s17, s0
	s_cbranch_execz .LBB251_681
; %bb.676:                              ;   in Loop: Header=BB251_542 Depth=1
	v_and_b32_e32 v46, 0x7f, v9
	v_mov_b32_e32 v45, 0x7c01
	s_mov_b32 s18, exec_lo
	v_cmpx_ne_u32_e32 0x7f, v46
	s_cbranch_execz .LBB251_680
; %bb.677:                              ;   in Loop: Header=BB251_542 Depth=1
	v_and_b32_e32 v1, 7, v9
	v_lshrrev_b32_e32 v45, 3, v46
	s_mov_b32 s19, exec_lo
	v_cmpx_gt_u32_e32 8, v46
; %bb.678:                              ;   in Loop: Header=BB251_542 Depth=1
	v_ffbh_u32_e32 v1, v1
	v_min_u32_e32 v1, 32, v1
	v_subrev_nc_u32_e32 v45, 28, v1
	v_lshlrev_b64 v[46:47], v45, v[9:10]
	v_sub_nc_u32_e32 v45, 29, v1
	v_and_b32_e32 v1, 7, v46
; %bb.679:                              ;   in Loop: Header=BB251_542 Depth=1
	s_or_b32 exec_lo, exec_lo, s19
	v_lshlrev_b32_e32 v46, 8, v9
	v_lshl_add_u32 v45, v45, 10, 0x2000
	v_lshlrev_b32_e32 v1, 7, v1
	v_and_b32_e32 v46, 0x8000, v46
	v_and_b32_e32 v45, 0xfc00, v45
	v_or3_b32 v45, v46, v45, v1
.LBB251_680:                            ;   in Loop: Header=BB251_542 Depth=1
	s_or_b32 exec_lo, exec_lo, s18
.LBB251_681:                            ;   in Loop: Header=BB251_542 Depth=1
	s_or_b32 exec_lo, exec_lo, s17
.LBB251_682:                            ;   in Loop: Header=BB251_542 Depth=1
	s_or_b32 exec_lo, exec_lo, s13
	v_lshrrev_b16 v1, 8, v9
	s_mov_b32 s13, exec_lo
	v_cmpx_ne_u16_e32 0, v1
	s_cbranch_execz .LBB251_690
; %bb.683:                              ;   in Loop: Header=BB251_542 Depth=1
	v_bfrev_b32_e32 v44, 1
	s_mov_b32 s17, exec_lo
	v_cmpx_ne_u16_e32 0x80, v1
	s_cbranch_execz .LBB251_689
; %bb.684:                              ;   in Loop: Header=BB251_542 Depth=1
	v_and_b32_sdwa v47, v1, v24 dst_sel:DWORD dst_unused:UNUSED_PAD src0_sel:WORD_0 src1_sel:DWORD
	v_mov_b32_e32 v44, 0x7c010000
	s_mov_b32 s18, exec_lo
	v_cmpx_ne_u32_e32 0x7f, v47
	s_cbranch_execz .LBB251_688
; %bb.685:                              ;   in Loop: Header=BB251_542 Depth=1
	v_and_b32_sdwa v44, v1, v25 dst_sel:DWORD dst_unused:UNUSED_PAD src0_sel:WORD_0 src1_sel:DWORD
	v_lshrrev_b32_e32 v46, 3, v47
	s_mov_b32 s19, exec_lo
	v_cmpx_gt_u32_e32 8, v47
; %bb.686:                              ;   in Loop: Header=BB251_542 Depth=1
	v_ffbh_u32_e32 v44, v44
	v_min_u32_e32 v44, 32, v44
	v_subrev_nc_u32_e32 v46, 28, v44
	v_lshlrev_b64 v[47:48], v46, v[1:2]
	v_sub_nc_u32_e32 v46, 29, v44
	v_and_b32_e32 v44, 7, v47
; %bb.687:                              ;   in Loop: Header=BB251_542 Depth=1
	s_or_b32 exec_lo, exec_lo, s19
	v_lshlrev_b32_sdwa v1, v26, v1 dst_sel:DWORD dst_unused:UNUSED_PAD src0_sel:DWORD src1_sel:WORD_0
	v_lshl_add_u32 v46, v46, 10, 0x2000
	v_lshlrev_b32_e32 v44, 23, v44
	v_and_or_b32 v1, 0x8000, v1, v46
	v_lshl_or_b32 v44, v1, 16, v44
.LBB251_688:                            ;   in Loop: Header=BB251_542 Depth=1
	s_or_b32 exec_lo, exec_lo, s18
.LBB251_689:                            ;   in Loop: Header=BB251_542 Depth=1
	s_or_b32 exec_lo, exec_lo, s17
.LBB251_690:                            ;   in Loop: Header=BB251_542 Depth=1
	s_or_b32 exec_lo, exec_lo, s13
	v_lshrrev_b32_e32 v1, 16, v9
	v_mov_b32_e32 v46, 0
	v_mov_b32_e32 v47, 0
	v_cmp_ne_u16_sdwa s0, v1, v2 src0_sel:BYTE_0 src1_sel:DWORD
	s_and_saveexec_b32 s13, s0
	s_cbranch_execz .LBB251_698
; %bb.691:                              ;   in Loop: Header=BB251_542 Depth=1
	v_cmp_ne_u16_sdwa s0, v1, v23 src0_sel:BYTE_0 src1_sel:DWORD
	v_mov_b32_e32 v47, 0x8000
	s_and_saveexec_b32 s17, s0
	s_cbranch_execz .LBB251_697
; %bb.692:                              ;   in Loop: Header=BB251_542 Depth=1
	v_bfe_u32 v49, v9, 16, 7
	v_mov_b32_e32 v47, 0x7c01
	s_mov_b32 s18, exec_lo
	v_cmpx_ne_u32_e32 0x7f, v49
	s_cbranch_execz .LBB251_696
; %bb.693:                              ;   in Loop: Header=BB251_542 Depth=1
	v_and_b32_e32 v47, 7, v1
	v_lshrrev_b32_e32 v48, 3, v49
	s_mov_b32 s19, exec_lo
	v_cmpx_gt_u32_e32 8, v49
; %bb.694:                              ;   in Loop: Header=BB251_542 Depth=1
	v_ffbh_u32_e32 v47, v47
	v_min_u32_e32 v49, 32, v47
	v_subrev_nc_u32_e32 v47, 28, v49
	v_lshlrev_b64 v[47:48], v47, v[1:2]
	v_sub_nc_u32_e32 v48, 29, v49
	v_and_b32_e32 v47, 7, v47
; %bb.695:                              ;   in Loop: Header=BB251_542 Depth=1
	s_or_b32 exec_lo, exec_lo, s19
	v_lshlrev_b32_e32 v1, 8, v1
	v_lshl_add_u32 v48, v48, 10, 0x2000
	v_lshlrev_b32_e32 v47, 7, v47
	v_and_b32_e32 v1, 0x8000, v1
	v_and_b32_e32 v48, 0xfc00, v48
	v_or3_b32 v47, v1, v48, v47
.LBB251_696:                            ;   in Loop: Header=BB251_542 Depth=1
	s_or_b32 exec_lo, exec_lo, s18
.LBB251_697:                            ;   in Loop: Header=BB251_542 Depth=1
	s_or_b32 exec_lo, exec_lo, s17
.LBB251_698:                            ;   in Loop: Header=BB251_542 Depth=1
	s_or_b32 exec_lo, exec_lo, s13
	s_mov_b32 s13, exec_lo
	v_cmpx_lt_u32_e32 0xffffff, v9
	s_cbranch_execz .LBB251_706
; %bb.699:                              ;   in Loop: Header=BB251_542 Depth=1
	v_lshrrev_b32_e32 v1, 24, v9
	v_bfrev_b32_e32 v46, 1
	s_mov_b32 s17, exec_lo
	v_cmpx_ne_u32_e32 0x80, v1
	s_cbranch_execz .LBB251_705
; %bb.700:                              ;   in Loop: Header=BB251_542 Depth=1
	v_and_b32_e32 v49, 0x7f, v1
	v_mov_b32_e32 v46, 0x7c010000
	s_mov_b32 s18, exec_lo
	v_cmpx_ne_u32_e32 0x7f, v49
	s_cbranch_execz .LBB251_704
; %bb.701:                              ;   in Loop: Header=BB251_542 Depth=1
	v_and_b32_e32 v46, 7, v1
	v_lshrrev_b32_e32 v48, 3, v49
	s_mov_b32 s19, exec_lo
	v_cmpx_gt_u32_e32 8, v49
; %bb.702:                              ;   in Loop: Header=BB251_542 Depth=1
	v_ffbh_u32_e32 v46, v46
	v_min_u32_e32 v46, 32, v46
	v_subrev_nc_u32_e32 v48, 28, v46
	v_lshlrev_b64 v[49:50], v48, v[1:2]
	v_sub_nc_u32_e32 v48, 29, v46
	v_and_b32_e32 v46, 7, v49
; %bb.703:                              ;   in Loop: Header=BB251_542 Depth=1
	s_or_b32 exec_lo, exec_lo, s19
	v_lshlrev_b32_e32 v1, 8, v1
	v_lshl_add_u32 v48, v48, 10, 0x2000
	v_lshlrev_b32_e32 v46, 23, v46
	v_and_or_b32 v1, 0x8000, v1, v48
	v_lshl_or_b32 v46, v1, 16, v46
.LBB251_704:                            ;   in Loop: Header=BB251_542 Depth=1
	s_or_b32 exec_lo, exec_lo, s18
.LBB251_705:                            ;   in Loop: Header=BB251_542 Depth=1
	s_or_b32 exec_lo, exec_lo, s17
.LBB251_706:                            ;   in Loop: Header=BB251_542 Depth=1
	s_or_b32 exec_lo, exec_lo, s13
	v_mov_b32_e32 v1, v10
	v_cmp_ne_u16_sdwa s0, v10, v2 src0_sel:BYTE_0 src1_sel:DWORD
	v_mov_b32_e32 v48, 0
	v_mov_b32_e32 v49, 0
	s_and_saveexec_b32 s13, s0
	s_cbranch_execz .LBB251_714
; %bb.707:                              ;   in Loop: Header=BB251_542 Depth=1
	v_cmp_ne_u16_sdwa s0, v10, v23 src0_sel:BYTE_0 src1_sel:DWORD
	v_mov_b32_e32 v49, 0x8000
	s_and_saveexec_b32 s17, s0
	s_cbranch_execz .LBB251_713
; %bb.708:                              ;   in Loop: Header=BB251_542 Depth=1
	v_and_b32_e32 v51, 0x7f, v10
	v_mov_b32_e32 v49, 0x7c01
	s_mov_b32 s18, exec_lo
	v_cmpx_ne_u32_e32 0x7f, v51
	s_cbranch_execz .LBB251_712
; %bb.709:                              ;   in Loop: Header=BB251_542 Depth=1
	v_and_b32_e32 v49, 7, v10
	v_lshrrev_b32_e32 v50, 3, v51
	s_mov_b32 s19, exec_lo
	v_cmpx_gt_u32_e32 8, v51
; %bb.710:                              ;   in Loop: Header=BB251_542 Depth=1
	v_ffbh_u32_e32 v49, v49
	v_min_u32_e32 v51, 32, v49
	v_subrev_nc_u32_e32 v49, 28, v51
	v_lshlrev_b64 v[49:50], v49, v[1:2]
	v_sub_nc_u32_e32 v50, 29, v51
	v_and_b32_e32 v49, 7, v49
; %bb.711:                              ;   in Loop: Header=BB251_542 Depth=1
	s_or_b32 exec_lo, exec_lo, s19
	v_lshlrev_b32_e32 v51, 8, v10
	v_lshl_add_u32 v50, v50, 10, 0x2000
	v_lshlrev_b32_e32 v49, 7, v49
	v_and_b32_e32 v51, 0x8000, v51
	v_and_b32_e32 v50, 0xfc00, v50
	v_or3_b32 v49, v51, v50, v49
.LBB251_712:                            ;   in Loop: Header=BB251_542 Depth=1
	s_or_b32 exec_lo, exec_lo, s18
.LBB251_713:                            ;   in Loop: Header=BB251_542 Depth=1
	s_or_b32 exec_lo, exec_lo, s17
.LBB251_714:                            ;   in Loop: Header=BB251_542 Depth=1
	s_or_b32 exec_lo, exec_lo, s13
	v_lshrrev_b16 v1, 8, v1
	v_mov_b32_e32 v50, 0
	s_mov_b32 s13, exec_lo
	v_cmpx_ne_u16_e32 0, v1
	s_cbranch_execz .LBB251_722
; %bb.715:                              ;   in Loop: Header=BB251_542 Depth=1
	v_bfrev_b32_e32 v50, 1
	s_mov_b32 s17, exec_lo
	v_cmpx_ne_u16_e32 0x80, v1
	s_cbranch_execz .LBB251_721
; %bb.716:                              ;   in Loop: Header=BB251_542 Depth=1
	v_and_b32_sdwa v52, v1, v24 dst_sel:DWORD dst_unused:UNUSED_PAD src0_sel:WORD_0 src1_sel:DWORD
	v_mov_b32_e32 v50, 0x7c010000
	s_mov_b32 s18, exec_lo
	v_cmpx_ne_u32_e32 0x7f, v52
	s_cbranch_execz .LBB251_720
; %bb.717:                              ;   in Loop: Header=BB251_542 Depth=1
	v_and_b32_sdwa v50, v1, v25 dst_sel:DWORD dst_unused:UNUSED_PAD src0_sel:WORD_0 src1_sel:DWORD
	v_lshrrev_b32_e32 v51, 3, v52
	s_mov_b32 s19, exec_lo
	v_cmpx_gt_u32_e32 8, v52
; %bb.718:                              ;   in Loop: Header=BB251_542 Depth=1
	v_ffbh_u32_e32 v50, v50
	v_min_u32_e32 v52, 32, v50
	v_subrev_nc_u32_e32 v50, 28, v52
	v_lshlrev_b64 v[50:51], v50, v[1:2]
	v_sub_nc_u32_e32 v51, 29, v52
	v_and_b32_e32 v50, 7, v50
; %bb.719:                              ;   in Loop: Header=BB251_542 Depth=1
	s_or_b32 exec_lo, exec_lo, s19
	v_lshlrev_b32_sdwa v1, v26, v1 dst_sel:DWORD dst_unused:UNUSED_PAD src0_sel:DWORD src1_sel:WORD_0
	v_lshl_add_u32 v51, v51, 10, 0x2000
	v_lshlrev_b32_e32 v50, 23, v50
	v_and_or_b32 v1, 0x8000, v1, v51
	v_lshl_or_b32 v50, v1, 16, v50
.LBB251_720:                            ;   in Loop: Header=BB251_542 Depth=1
	s_or_b32 exec_lo, exec_lo, s18
.LBB251_721:                            ;   in Loop: Header=BB251_542 Depth=1
	s_or_b32 exec_lo, exec_lo, s17
.LBB251_722:                            ;   in Loop: Header=BB251_542 Depth=1
	s_or_b32 exec_lo, exec_lo, s13
	v_lshrrev_b32_e32 v1, 16, v10
	v_cmp_ne_u16_sdwa s0, v1, v2 src0_sel:BYTE_0 src1_sel:DWORD
	s_and_saveexec_b32 s13, s0
	s_cbranch_execz .LBB251_730
; %bb.723:                              ;   in Loop: Header=BB251_542 Depth=1
	v_cmp_ne_u16_sdwa s0, v1, v23 src0_sel:BYTE_0 src1_sel:DWORD
	v_mov_b32_e32 v48, 0x8000
	s_and_saveexec_b32 s17, s0
	s_cbranch_execz .LBB251_729
; %bb.724:                              ;   in Loop: Header=BB251_542 Depth=1
	v_bfe_u32 v52, v10, 16, 7
	v_mov_b32_e32 v48, 0x7c01
	s_mov_b32 s18, exec_lo
	v_cmpx_ne_u32_e32 0x7f, v52
	s_cbranch_execz .LBB251_728
; %bb.725:                              ;   in Loop: Header=BB251_542 Depth=1
	v_and_b32_e32 v48, 7, v1
	v_lshrrev_b32_e32 v51, 3, v52
	s_mov_b32 s19, exec_lo
	v_cmpx_gt_u32_e32 8, v52
; %bb.726:                              ;   in Loop: Header=BB251_542 Depth=1
	v_ffbh_u32_e32 v48, v48
	v_min_u32_e32 v48, 32, v48
	v_subrev_nc_u32_e32 v51, 28, v48
	v_lshlrev_b64 v[52:53], v51, v[1:2]
	v_sub_nc_u32_e32 v51, 29, v48
	v_and_b32_e32 v48, 7, v52
; %bb.727:                              ;   in Loop: Header=BB251_542 Depth=1
	s_or_b32 exec_lo, exec_lo, s19
	v_lshlrev_b32_e32 v1, 8, v1
	v_lshl_add_u32 v51, v51, 10, 0x2000
	v_lshlrev_b32_e32 v48, 7, v48
	v_and_b32_e32 v1, 0x8000, v1
	v_and_b32_e32 v51, 0xfc00, v51
	v_or3_b32 v48, v1, v51, v48
.LBB251_728:                            ;   in Loop: Header=BB251_542 Depth=1
	s_or_b32 exec_lo, exec_lo, s18
.LBB251_729:                            ;   in Loop: Header=BB251_542 Depth=1
	s_or_b32 exec_lo, exec_lo, s17
.LBB251_730:                            ;   in Loop: Header=BB251_542 Depth=1
	s_or_b32 exec_lo, exec_lo, s13
	v_cmp_lt_u64_e64 s0, s[2:3], v[9:10]
	v_mov_b32_e32 v9, 0
	s_and_saveexec_b32 s13, s0
	s_cbranch_execz .LBB251_738
; %bb.731:                              ;   in Loop: Header=BB251_542 Depth=1
	v_lshrrev_b32_e32 v1, 24, v10
	v_bfrev_b32_e32 v9, 1
	s_mov_b32 s17, exec_lo
	v_cmpx_ne_u32_e32 0x80, v1
	s_cbranch_execz .LBB251_737
; %bb.732:                              ;   in Loop: Header=BB251_542 Depth=1
	v_and_b32_e32 v51, 0x7f, v1
	v_mov_b32_e32 v9, 0x7c010000
	s_mov_b32 s18, exec_lo
	v_cmpx_ne_u32_e32 0x7f, v51
	s_cbranch_execz .LBB251_736
; %bb.733:                              ;   in Loop: Header=BB251_542 Depth=1
	v_and_b32_e32 v9, 7, v1
	v_lshrrev_b32_e32 v10, 3, v51
	s_mov_b32 s19, exec_lo
	v_cmpx_gt_u32_e32 8, v51
; %bb.734:                              ;   in Loop: Header=BB251_542 Depth=1
	v_ffbh_u32_e32 v9, v9
	v_min_u32_e32 v51, 32, v9
	v_subrev_nc_u32_e32 v9, 28, v51
	v_lshlrev_b64 v[9:10], v9, v[1:2]
	v_sub_nc_u32_e32 v10, 29, v51
	v_and_b32_e32 v9, 7, v9
; %bb.735:                              ;   in Loop: Header=BB251_542 Depth=1
	s_or_b32 exec_lo, exec_lo, s19
	v_lshlrev_b32_e32 v1, 8, v1
	v_lshl_add_u32 v10, v10, 10, 0x2000
	v_lshlrev_b32_e32 v9, 23, v9
	v_and_or_b32 v1, 0x8000, v1, v10
	v_lshl_or_b32 v9, v1, 16, v9
.LBB251_736:                            ;   in Loop: Header=BB251_542 Depth=1
	s_or_b32 exec_lo, exec_lo, s18
.LBB251_737:                            ;   in Loop: Header=BB251_542 Depth=1
	s_or_b32 exec_lo, exec_lo, s17
.LBB251_738:                            ;   in Loop: Header=BB251_542 Depth=1
	s_or_b32 exec_lo, exec_lo, s13
	v_or_b32_e32 v1, v46, v47
	s_waitcnt vmcnt(0)
	v_fma_mixlo_f16 v10, v43, v46, 0 op_sel:[0,1,0] op_sel_hi:[0,1,0]
	v_or_b32_e32 v46, v44, v45
	v_fma_mixlo_f16 v44, v43, v44, 0 op_sel:[0,1,0] op_sel_hi:[0,1,0]
	v_or_b32_e32 v47, v50, v49
	v_or_b32_e32 v48, v9, v48
	v_fma_mixlo_f16 v49, v43, v1, 0 op_sel_hi:[0,1,0]
	v_fma_mixlo_f16 v9, v43, v9, 0 op_sel:[0,1,0] op_sel_hi:[0,1,0]
	v_lshlrev_b32_e32 v45, 16, v44
	v_fma_mixlo_f16 v44, v43, v46, 0 op_sel_hi:[0,1,0]
	v_fma_mixlo_f16 v46, v43, v50, 0 op_sel:[0,1,0] op_sel_hi:[0,1,0]
	v_fma_mixlo_f16 v47, v43, v47, 0 op_sel_hi:[0,1,0]
	v_fma_mixlo_f16 v48, v43, v48, 0 op_sel_hi:[0,1,0]
	v_lshlrev_b32_e32 v1, 16, v10
	v_and_b32_e32 v10, 0xffff, v49
	v_and_b32_e32 v51, 0xffff, v44
	v_lshlrev_b32_e32 v43, 16, v46
	v_and_b32_e32 v47, 0xffff, v47
	v_lshlrev_b32_e32 v9, 16, v9
	v_and_b32_e32 v44, 0xffff, v48
	v_or_b32_e32 v46, v1, v10
	v_or_b32_e32 v50, v45, v51
	;; [unrolled: 1-line block ×4, first 2 shown]
	s_and_saveexec_b32 s13, vcc_lo
	s_cbranch_execz .LBB251_740
; %bb.739:                              ;   in Loop: Header=BB251_542 Depth=1
	v_cmp_gt_i32_e64 s0, s11, v28
	v_cndmask_b32_e64 v46, 0, v51, s0
	v_cmp_gt_i32_e64 s0, s11, v34
	v_cndmask_b32_e64 v45, 0, v45, s0
	v_cmp_gt_i32_e64 s0, s11, v33
	v_or_b32_e32 v50, v45, v46
	v_cndmask_b32_e64 v10, 0, v10, s0
	v_cmp_gt_i32_e64 s0, s11, v32
	v_cndmask_b32_e64 v1, 0, v1, s0
	v_cmp_gt_i32_e64 s0, s11, v31
	v_or_b32_e32 v46, v1, v10
	;; [unrolled: 5-line block ×3, first 2 shown]
	v_cndmask_b32_e64 v44, 0, v44, s0
	v_cmp_gt_i32_e64 s0, s11, v21
	v_cndmask_b32_e64 v9, 0, v9, s0
	v_or_b32_e32 v48, v9, v44
.LBB251_740:                            ;   in Loop: Header=BB251_542 Depth=1
	s_or_b32 exec_lo, exec_lo, s13
	;;#ASMSTART
	v_pk_mul_f16 v1, v39, v50;

	;;#ASMEND
	;;#ASMSTART
	v_pk_mul_f16 v9, v37, v46;

	;;#ASMEND
	;; [unrolled: 4-line block ×4, first 2 shown]
	;;#ASMSTART
	v_pk_add_f16 v1, v1, v9;

	;;#ASMEND
	;;#ASMSTART
	v_pk_add_f16 v1, v1, v10;

	;;#ASMEND
	;; [unrolled: 4-line block ×3, first 2 shown]
	v_and_b32_e32 v9, 0xffff, v1
	v_lshrrev_b32_e32 v1, 16, v1
	;;#ASMSTART
	v_cvt_f32_f16 v43, v9;
	;;#ASMEND
	;;#ASMSTART
	v_cvt_f32_f16 v44, v1;
	;;#ASMEND
	global_load_dwordx2 v[9:10], v[7:8], off offset:768
	v_mov_b32_e32 v46, 0
	v_mov_b32_e32 v47, 0
	global_load_dword v45, v46, s[14:15]
	s_waitcnt vmcnt(1)
	v_cmp_ne_u16_sdwa s0, v9, v2 src0_sel:BYTE_0 src1_sel:DWORD
	s_and_saveexec_b32 s13, s0
	s_cbranch_execz .LBB251_748
; %bb.741:                              ;   in Loop: Header=BB251_542 Depth=1
	v_cmp_ne_u16_sdwa s0, v9, v23 src0_sel:BYTE_0 src1_sel:DWORD
	v_mov_b32_e32 v47, 0x8000
	s_and_saveexec_b32 s17, s0
	s_cbranch_execz .LBB251_747
; %bb.742:                              ;   in Loop: Header=BB251_542 Depth=1
	v_and_b32_e32 v48, 0x7f, v9
	v_mov_b32_e32 v47, 0x7c01
	s_mov_b32 s18, exec_lo
	v_cmpx_ne_u32_e32 0x7f, v48
	s_cbranch_execz .LBB251_746
; %bb.743:                              ;   in Loop: Header=BB251_542 Depth=1
	v_and_b32_e32 v1, 7, v9
	v_lshrrev_b32_e32 v47, 3, v48
	s_mov_b32 s19, exec_lo
	v_cmpx_gt_u32_e32 8, v48
; %bb.744:                              ;   in Loop: Header=BB251_542 Depth=1
	v_ffbh_u32_e32 v1, v1
	v_min_u32_e32 v1, 32, v1
	v_subrev_nc_u32_e32 v47, 28, v1
	v_lshlrev_b64 v[48:49], v47, v[9:10]
	v_sub_nc_u32_e32 v47, 29, v1
	v_and_b32_e32 v1, 7, v48
; %bb.745:                              ;   in Loop: Header=BB251_542 Depth=1
	s_or_b32 exec_lo, exec_lo, s19
	v_lshlrev_b32_e32 v48, 8, v9
	v_lshl_add_u32 v47, v47, 10, 0x2000
	v_lshlrev_b32_e32 v1, 7, v1
	v_and_b32_e32 v48, 0x8000, v48
	v_and_b32_e32 v47, 0xfc00, v47
	v_or3_b32 v47, v48, v47, v1
.LBB251_746:                            ;   in Loop: Header=BB251_542 Depth=1
	s_or_b32 exec_lo, exec_lo, s18
.LBB251_747:                            ;   in Loop: Header=BB251_542 Depth=1
	s_or_b32 exec_lo, exec_lo, s17
.LBB251_748:                            ;   in Loop: Header=BB251_542 Depth=1
	s_or_b32 exec_lo, exec_lo, s13
	v_lshrrev_b16 v1, 8, v9
	s_mov_b32 s13, exec_lo
	v_cmpx_ne_u16_e32 0, v1
	s_cbranch_execz .LBB251_756
; %bb.749:                              ;   in Loop: Header=BB251_542 Depth=1
	v_bfrev_b32_e32 v46, 1
	s_mov_b32 s17, exec_lo
	v_cmpx_ne_u16_e32 0x80, v1
	s_cbranch_execz .LBB251_755
; %bb.750:                              ;   in Loop: Header=BB251_542 Depth=1
	v_and_b32_sdwa v49, v1, v24 dst_sel:DWORD dst_unused:UNUSED_PAD src0_sel:WORD_0 src1_sel:DWORD
	v_mov_b32_e32 v46, 0x7c010000
	s_mov_b32 s18, exec_lo
	v_cmpx_ne_u32_e32 0x7f, v49
	s_cbranch_execz .LBB251_754
; %bb.751:                              ;   in Loop: Header=BB251_542 Depth=1
	v_and_b32_sdwa v46, v1, v25 dst_sel:DWORD dst_unused:UNUSED_PAD src0_sel:WORD_0 src1_sel:DWORD
	v_lshrrev_b32_e32 v48, 3, v49
	s_mov_b32 s19, exec_lo
	v_cmpx_gt_u32_e32 8, v49
; %bb.752:                              ;   in Loop: Header=BB251_542 Depth=1
	v_ffbh_u32_e32 v46, v46
	v_min_u32_e32 v46, 32, v46
	v_subrev_nc_u32_e32 v48, 28, v46
	v_lshlrev_b64 v[49:50], v48, v[1:2]
	v_sub_nc_u32_e32 v48, 29, v46
	v_and_b32_e32 v46, 7, v49
; %bb.753:                              ;   in Loop: Header=BB251_542 Depth=1
	s_or_b32 exec_lo, exec_lo, s19
	v_lshlrev_b32_sdwa v1, v26, v1 dst_sel:DWORD dst_unused:UNUSED_PAD src0_sel:DWORD src1_sel:WORD_0
	v_lshl_add_u32 v48, v48, 10, 0x2000
	v_lshlrev_b32_e32 v46, 23, v46
	v_and_or_b32 v1, 0x8000, v1, v48
	v_lshl_or_b32 v46, v1, 16, v46
.LBB251_754:                            ;   in Loop: Header=BB251_542 Depth=1
	s_or_b32 exec_lo, exec_lo, s18
.LBB251_755:                            ;   in Loop: Header=BB251_542 Depth=1
	s_or_b32 exec_lo, exec_lo, s17
.LBB251_756:                            ;   in Loop: Header=BB251_542 Depth=1
	s_or_b32 exec_lo, exec_lo, s13
	v_lshrrev_b32_e32 v1, 16, v9
	v_mov_b32_e32 v48, 0
	v_mov_b32_e32 v49, 0
	v_cmp_ne_u16_sdwa s0, v1, v2 src0_sel:BYTE_0 src1_sel:DWORD
	s_and_saveexec_b32 s13, s0
	s_cbranch_execz .LBB251_764
; %bb.757:                              ;   in Loop: Header=BB251_542 Depth=1
	v_cmp_ne_u16_sdwa s0, v1, v23 src0_sel:BYTE_0 src1_sel:DWORD
	v_mov_b32_e32 v49, 0x8000
	s_and_saveexec_b32 s17, s0
	s_cbranch_execz .LBB251_763
; %bb.758:                              ;   in Loop: Header=BB251_542 Depth=1
	v_bfe_u32 v51, v9, 16, 7
	v_mov_b32_e32 v49, 0x7c01
	s_mov_b32 s18, exec_lo
	v_cmpx_ne_u32_e32 0x7f, v51
	s_cbranch_execz .LBB251_762
; %bb.759:                              ;   in Loop: Header=BB251_542 Depth=1
	v_and_b32_e32 v49, 7, v1
	v_lshrrev_b32_e32 v50, 3, v51
	s_mov_b32 s19, exec_lo
	v_cmpx_gt_u32_e32 8, v51
; %bb.760:                              ;   in Loop: Header=BB251_542 Depth=1
	v_ffbh_u32_e32 v49, v49
	v_min_u32_e32 v51, 32, v49
	v_subrev_nc_u32_e32 v49, 28, v51
	v_lshlrev_b64 v[49:50], v49, v[1:2]
	v_sub_nc_u32_e32 v50, 29, v51
	v_and_b32_e32 v49, 7, v49
; %bb.761:                              ;   in Loop: Header=BB251_542 Depth=1
	s_or_b32 exec_lo, exec_lo, s19
	v_lshlrev_b32_e32 v1, 8, v1
	v_lshl_add_u32 v50, v50, 10, 0x2000
	v_lshlrev_b32_e32 v49, 7, v49
	v_and_b32_e32 v1, 0x8000, v1
	v_and_b32_e32 v50, 0xfc00, v50
	v_or3_b32 v49, v1, v50, v49
.LBB251_762:                            ;   in Loop: Header=BB251_542 Depth=1
	s_or_b32 exec_lo, exec_lo, s18
.LBB251_763:                            ;   in Loop: Header=BB251_542 Depth=1
	s_or_b32 exec_lo, exec_lo, s17
.LBB251_764:                            ;   in Loop: Header=BB251_542 Depth=1
	s_or_b32 exec_lo, exec_lo, s13
	s_mov_b32 s13, exec_lo
	v_cmpx_lt_u32_e32 0xffffff, v9
	s_cbranch_execz .LBB251_772
; %bb.765:                              ;   in Loop: Header=BB251_542 Depth=1
	v_lshrrev_b32_e32 v1, 24, v9
	v_bfrev_b32_e32 v48, 1
	s_mov_b32 s17, exec_lo
	v_cmpx_ne_u32_e32 0x80, v1
	s_cbranch_execz .LBB251_771
; %bb.766:                              ;   in Loop: Header=BB251_542 Depth=1
	v_and_b32_e32 v51, 0x7f, v1
	v_mov_b32_e32 v48, 0x7c010000
	s_mov_b32 s18, exec_lo
	v_cmpx_ne_u32_e32 0x7f, v51
	s_cbranch_execz .LBB251_770
; %bb.767:                              ;   in Loop: Header=BB251_542 Depth=1
	v_and_b32_e32 v48, 7, v1
	v_lshrrev_b32_e32 v50, 3, v51
	s_mov_b32 s19, exec_lo
	v_cmpx_gt_u32_e32 8, v51
; %bb.768:                              ;   in Loop: Header=BB251_542 Depth=1
	v_ffbh_u32_e32 v48, v48
	v_min_u32_e32 v48, 32, v48
	v_subrev_nc_u32_e32 v50, 28, v48
	v_lshlrev_b64 v[51:52], v50, v[1:2]
	v_sub_nc_u32_e32 v50, 29, v48
	v_and_b32_e32 v48, 7, v51
; %bb.769:                              ;   in Loop: Header=BB251_542 Depth=1
	s_or_b32 exec_lo, exec_lo, s19
	v_lshlrev_b32_e32 v1, 8, v1
	v_lshl_add_u32 v50, v50, 10, 0x2000
	v_lshlrev_b32_e32 v48, 23, v48
	v_and_or_b32 v1, 0x8000, v1, v50
	v_lshl_or_b32 v48, v1, 16, v48
.LBB251_770:                            ;   in Loop: Header=BB251_542 Depth=1
	s_or_b32 exec_lo, exec_lo, s18
.LBB251_771:                            ;   in Loop: Header=BB251_542 Depth=1
	s_or_b32 exec_lo, exec_lo, s17
.LBB251_772:                            ;   in Loop: Header=BB251_542 Depth=1
	s_or_b32 exec_lo, exec_lo, s13
	v_mov_b32_e32 v1, v10
	v_cmp_ne_u16_sdwa s0, v10, v2 src0_sel:BYTE_0 src1_sel:DWORD
	v_mov_b32_e32 v50, 0
	v_mov_b32_e32 v51, 0
	s_and_saveexec_b32 s13, s0
	s_cbranch_execz .LBB251_780
; %bb.773:                              ;   in Loop: Header=BB251_542 Depth=1
	v_cmp_ne_u16_sdwa s0, v10, v23 src0_sel:BYTE_0 src1_sel:DWORD
	v_mov_b32_e32 v51, 0x8000
	s_and_saveexec_b32 s17, s0
	s_cbranch_execz .LBB251_779
; %bb.774:                              ;   in Loop: Header=BB251_542 Depth=1
	v_and_b32_e32 v53, 0x7f, v10
	v_mov_b32_e32 v51, 0x7c01
	s_mov_b32 s18, exec_lo
	v_cmpx_ne_u32_e32 0x7f, v53
	s_cbranch_execz .LBB251_778
; %bb.775:                              ;   in Loop: Header=BB251_542 Depth=1
	v_and_b32_e32 v51, 7, v10
	v_lshrrev_b32_e32 v52, 3, v53
	s_mov_b32 s19, exec_lo
	v_cmpx_gt_u32_e32 8, v53
; %bb.776:                              ;   in Loop: Header=BB251_542 Depth=1
	v_ffbh_u32_e32 v51, v51
	v_min_u32_e32 v53, 32, v51
	v_subrev_nc_u32_e32 v51, 28, v53
	v_lshlrev_b64 v[51:52], v51, v[1:2]
	v_sub_nc_u32_e32 v52, 29, v53
	v_and_b32_e32 v51, 7, v51
; %bb.777:                              ;   in Loop: Header=BB251_542 Depth=1
	s_or_b32 exec_lo, exec_lo, s19
	v_lshlrev_b32_e32 v53, 8, v10
	v_lshl_add_u32 v52, v52, 10, 0x2000
	v_lshlrev_b32_e32 v51, 7, v51
	v_and_b32_e32 v53, 0x8000, v53
	v_and_b32_e32 v52, 0xfc00, v52
	v_or3_b32 v51, v53, v52, v51
.LBB251_778:                            ;   in Loop: Header=BB251_542 Depth=1
	s_or_b32 exec_lo, exec_lo, s18
.LBB251_779:                            ;   in Loop: Header=BB251_542 Depth=1
	s_or_b32 exec_lo, exec_lo, s17
.LBB251_780:                            ;   in Loop: Header=BB251_542 Depth=1
	s_or_b32 exec_lo, exec_lo, s13
	v_lshrrev_b16 v1, 8, v1
	v_mov_b32_e32 v52, 0
	s_mov_b32 s13, exec_lo
	v_cmpx_ne_u16_e32 0, v1
	s_cbranch_execz .LBB251_788
; %bb.781:                              ;   in Loop: Header=BB251_542 Depth=1
	v_bfrev_b32_e32 v52, 1
	s_mov_b32 s17, exec_lo
	v_cmpx_ne_u16_e32 0x80, v1
	s_cbranch_execz .LBB251_787
; %bb.782:                              ;   in Loop: Header=BB251_542 Depth=1
	v_and_b32_sdwa v54, v1, v24 dst_sel:DWORD dst_unused:UNUSED_PAD src0_sel:WORD_0 src1_sel:DWORD
	v_mov_b32_e32 v52, 0x7c010000
	s_mov_b32 s18, exec_lo
	v_cmpx_ne_u32_e32 0x7f, v54
	s_cbranch_execz .LBB251_786
; %bb.783:                              ;   in Loop: Header=BB251_542 Depth=1
	v_and_b32_sdwa v52, v1, v25 dst_sel:DWORD dst_unused:UNUSED_PAD src0_sel:WORD_0 src1_sel:DWORD
	v_lshrrev_b32_e32 v53, 3, v54
	s_mov_b32 s19, exec_lo
	v_cmpx_gt_u32_e32 8, v54
; %bb.784:                              ;   in Loop: Header=BB251_542 Depth=1
	v_ffbh_u32_e32 v52, v52
	v_min_u32_e32 v54, 32, v52
	v_subrev_nc_u32_e32 v52, 28, v54
	v_lshlrev_b64 v[52:53], v52, v[1:2]
	v_sub_nc_u32_e32 v53, 29, v54
	v_and_b32_e32 v52, 7, v52
; %bb.785:                              ;   in Loop: Header=BB251_542 Depth=1
	s_or_b32 exec_lo, exec_lo, s19
	v_lshlrev_b32_sdwa v1, v26, v1 dst_sel:DWORD dst_unused:UNUSED_PAD src0_sel:DWORD src1_sel:WORD_0
	v_lshl_add_u32 v53, v53, 10, 0x2000
	v_lshlrev_b32_e32 v52, 23, v52
	v_and_or_b32 v1, 0x8000, v1, v53
	v_lshl_or_b32 v52, v1, 16, v52
.LBB251_786:                            ;   in Loop: Header=BB251_542 Depth=1
	s_or_b32 exec_lo, exec_lo, s18
.LBB251_787:                            ;   in Loop: Header=BB251_542 Depth=1
	s_or_b32 exec_lo, exec_lo, s17
.LBB251_788:                            ;   in Loop: Header=BB251_542 Depth=1
	s_or_b32 exec_lo, exec_lo, s13
	v_lshrrev_b32_e32 v1, 16, v10
	v_cmp_ne_u16_sdwa s0, v1, v2 src0_sel:BYTE_0 src1_sel:DWORD
	s_and_saveexec_b32 s13, s0
	s_cbranch_execz .LBB251_796
; %bb.789:                              ;   in Loop: Header=BB251_542 Depth=1
	v_cmp_ne_u16_sdwa s0, v1, v23 src0_sel:BYTE_0 src1_sel:DWORD
	v_mov_b32_e32 v50, 0x8000
	s_and_saveexec_b32 s17, s0
	s_cbranch_execz .LBB251_795
; %bb.790:                              ;   in Loop: Header=BB251_542 Depth=1
	v_bfe_u32 v54, v10, 16, 7
	v_mov_b32_e32 v50, 0x7c01
	s_mov_b32 s18, exec_lo
	v_cmpx_ne_u32_e32 0x7f, v54
	s_cbranch_execz .LBB251_794
; %bb.791:                              ;   in Loop: Header=BB251_542 Depth=1
	v_and_b32_e32 v50, 7, v1
	v_lshrrev_b32_e32 v53, 3, v54
	s_mov_b32 s19, exec_lo
	v_cmpx_gt_u32_e32 8, v54
; %bb.792:                              ;   in Loop: Header=BB251_542 Depth=1
	v_ffbh_u32_e32 v50, v50
	v_min_u32_e32 v50, 32, v50
	v_subrev_nc_u32_e32 v53, 28, v50
	v_lshlrev_b64 v[54:55], v53, v[1:2]
	v_sub_nc_u32_e32 v53, 29, v50
	v_and_b32_e32 v50, 7, v54
; %bb.793:                              ;   in Loop: Header=BB251_542 Depth=1
	s_or_b32 exec_lo, exec_lo, s19
	v_lshlrev_b32_e32 v1, 8, v1
	v_lshl_add_u32 v53, v53, 10, 0x2000
	v_lshlrev_b32_e32 v50, 7, v50
	v_and_b32_e32 v1, 0x8000, v1
	v_and_b32_e32 v53, 0xfc00, v53
	v_or3_b32 v50, v1, v53, v50
.LBB251_794:                            ;   in Loop: Header=BB251_542 Depth=1
	s_or_b32 exec_lo, exec_lo, s18
.LBB251_795:                            ;   in Loop: Header=BB251_542 Depth=1
	s_or_b32 exec_lo, exec_lo, s17
.LBB251_796:                            ;   in Loop: Header=BB251_542 Depth=1
	s_or_b32 exec_lo, exec_lo, s13
	v_cmp_lt_u64_e64 s0, s[2:3], v[9:10]
	v_mov_b32_e32 v9, 0
	s_and_saveexec_b32 s13, s0
	s_cbranch_execz .LBB251_804
; %bb.797:                              ;   in Loop: Header=BB251_542 Depth=1
	v_lshrrev_b32_e32 v1, 24, v10
	v_bfrev_b32_e32 v9, 1
	s_mov_b32 s17, exec_lo
	v_cmpx_ne_u32_e32 0x80, v1
	s_cbranch_execz .LBB251_803
; %bb.798:                              ;   in Loop: Header=BB251_542 Depth=1
	v_and_b32_e32 v53, 0x7f, v1
	v_mov_b32_e32 v9, 0x7c010000
	s_mov_b32 s18, exec_lo
	v_cmpx_ne_u32_e32 0x7f, v53
	s_cbranch_execz .LBB251_802
; %bb.799:                              ;   in Loop: Header=BB251_542 Depth=1
	v_and_b32_e32 v9, 7, v1
	v_lshrrev_b32_e32 v10, 3, v53
	s_mov_b32 s19, exec_lo
	v_cmpx_gt_u32_e32 8, v53
; %bb.800:                              ;   in Loop: Header=BB251_542 Depth=1
	v_ffbh_u32_e32 v9, v9
	v_min_u32_e32 v53, 32, v9
	v_subrev_nc_u32_e32 v9, 28, v53
	v_lshlrev_b64 v[9:10], v9, v[1:2]
	v_sub_nc_u32_e32 v10, 29, v53
	v_and_b32_e32 v9, 7, v9
; %bb.801:                              ;   in Loop: Header=BB251_542 Depth=1
	s_or_b32 exec_lo, exec_lo, s19
	v_lshlrev_b32_e32 v1, 8, v1
	v_lshl_add_u32 v10, v10, 10, 0x2000
	v_lshlrev_b32_e32 v9, 23, v9
	v_and_or_b32 v1, 0x8000, v1, v10
	v_lshl_or_b32 v9, v1, 16, v9
.LBB251_802:                            ;   in Loop: Header=BB251_542 Depth=1
	s_or_b32 exec_lo, exec_lo, s18
.LBB251_803:                            ;   in Loop: Header=BB251_542 Depth=1
	s_or_b32 exec_lo, exec_lo, s17
.LBB251_804:                            ;   in Loop: Header=BB251_542 Depth=1
	s_or_b32 exec_lo, exec_lo, s13
	v_or_b32_e32 v1, v48, v49
	s_waitcnt vmcnt(0)
	v_fma_mixlo_f16 v10, v45, v48, 0 op_sel:[0,1,0] op_sel_hi:[0,1,0]
	v_or_b32_e32 v48, v46, v47
	v_fma_mixlo_f16 v46, v45, v46, 0 op_sel:[0,1,0] op_sel_hi:[0,1,0]
	v_or_b32_e32 v49, v52, v51
	v_or_b32_e32 v50, v9, v50
	v_fma_mixlo_f16 v51, v45, v1, 0 op_sel_hi:[0,1,0]
	v_fma_mixlo_f16 v9, v45, v9, 0 op_sel:[0,1,0] op_sel_hi:[0,1,0]
	v_lshlrev_b32_e32 v47, 16, v46
	v_fma_mixlo_f16 v46, v45, v48, 0 op_sel_hi:[0,1,0]
	v_fma_mixlo_f16 v48, v45, v52, 0 op_sel:[0,1,0] op_sel_hi:[0,1,0]
	v_fma_mixlo_f16 v49, v45, v49, 0 op_sel_hi:[0,1,0]
	v_fma_mixlo_f16 v50, v45, v50, 0 op_sel_hi:[0,1,0]
	v_lshlrev_b32_e32 v1, 16, v10
	v_and_b32_e32 v10, 0xffff, v51
	v_and_b32_e32 v53, 0xffff, v46
	v_lshlrev_b32_e32 v45, 16, v48
	v_and_b32_e32 v49, 0xffff, v49
	v_lshlrev_b32_e32 v9, 16, v9
	v_and_b32_e32 v46, 0xffff, v50
	v_or_b32_e32 v48, v1, v10
	v_or_b32_e32 v52, v47, v53
	v_or_b32_e32 v51, v45, v49
	v_or_b32_e32 v50, v9, v46
	s_and_saveexec_b32 s13, vcc_lo
	s_cbranch_execz .LBB251_806
; %bb.805:                              ;   in Loop: Header=BB251_542 Depth=1
	v_cmp_gt_i32_e64 s0, s11, v28
	v_cndmask_b32_e64 v48, 0, v53, s0
	v_cmp_gt_i32_e64 s0, s11, v34
	v_cndmask_b32_e64 v47, 0, v47, s0
	v_cmp_gt_i32_e64 s0, s11, v33
	v_or_b32_e32 v52, v47, v48
	v_cndmask_b32_e64 v10, 0, v10, s0
	v_cmp_gt_i32_e64 s0, s11, v32
	v_cndmask_b32_e64 v1, 0, v1, s0
	v_cmp_gt_i32_e64 s0, s11, v31
	v_or_b32_e32 v48, v1, v10
	;; [unrolled: 5-line block ×3, first 2 shown]
	v_cndmask_b32_e64 v46, 0, v46, s0
	v_cmp_gt_i32_e64 s0, s11, v21
	v_cndmask_b32_e64 v9, 0, v9, s0
	v_or_b32_e32 v50, v9, v46
.LBB251_806:                            ;   in Loop: Header=BB251_542 Depth=1
	s_or_b32 exec_lo, exec_lo, s13
	;;#ASMSTART
	v_pk_mul_f16 v1, v39, v52;

	;;#ASMEND
	;;#ASMSTART
	v_pk_mul_f16 v9, v37, v48;

	;;#ASMEND
	;;#ASMSTART
	v_pk_mul_f16 v10, v36, v51;

	;;#ASMEND
	;;#ASMSTART
	v_pk_mul_f16 v45, v35, v50;

	;;#ASMEND
	;;#ASMSTART
	v_pk_add_f16 v1, v1, v9;

	;;#ASMEND
	;;#ASMSTART
	v_pk_add_f16 v1, v1, v10;

	;;#ASMEND
	;; [unrolled: 4-line block ×3, first 2 shown]
	v_and_b32_e32 v9, 0xffff, v1
	v_lshrrev_b32_e32 v1, 16, v1
	;;#ASMSTART
	v_cvt_f32_f16 v45, v9;
	;;#ASMEND
	;;#ASMSTART
	v_cvt_f32_f16 v46, v1;
	;;#ASMEND
	global_load_dwordx2 v[9:10], v[7:8], off offset:1024
	v_mov_b32_e32 v48, 0
	v_mov_b32_e32 v49, 0
	global_load_dword v47, v48, s[14:15]
	s_waitcnt vmcnt(1)
	v_cmp_ne_u16_sdwa s0, v9, v2 src0_sel:BYTE_0 src1_sel:DWORD
	s_and_saveexec_b32 s13, s0
	s_cbranch_execz .LBB251_814
; %bb.807:                              ;   in Loop: Header=BB251_542 Depth=1
	v_cmp_ne_u16_sdwa s0, v9, v23 src0_sel:BYTE_0 src1_sel:DWORD
	v_mov_b32_e32 v49, 0x8000
	s_and_saveexec_b32 s17, s0
	s_cbranch_execz .LBB251_813
; %bb.808:                              ;   in Loop: Header=BB251_542 Depth=1
	v_and_b32_e32 v50, 0x7f, v9
	v_mov_b32_e32 v49, 0x7c01
	s_mov_b32 s18, exec_lo
	v_cmpx_ne_u32_e32 0x7f, v50
	s_cbranch_execz .LBB251_812
; %bb.809:                              ;   in Loop: Header=BB251_542 Depth=1
	v_and_b32_e32 v1, 7, v9
	v_lshrrev_b32_e32 v49, 3, v50
	s_mov_b32 s19, exec_lo
	v_cmpx_gt_u32_e32 8, v50
; %bb.810:                              ;   in Loop: Header=BB251_542 Depth=1
	v_ffbh_u32_e32 v1, v1
	v_min_u32_e32 v1, 32, v1
	v_subrev_nc_u32_e32 v49, 28, v1
	v_lshlrev_b64 v[50:51], v49, v[9:10]
	v_sub_nc_u32_e32 v49, 29, v1
	v_and_b32_e32 v1, 7, v50
; %bb.811:                              ;   in Loop: Header=BB251_542 Depth=1
	s_or_b32 exec_lo, exec_lo, s19
	v_lshlrev_b32_e32 v50, 8, v9
	v_lshl_add_u32 v49, v49, 10, 0x2000
	v_lshlrev_b32_e32 v1, 7, v1
	v_and_b32_e32 v50, 0x8000, v50
	v_and_b32_e32 v49, 0xfc00, v49
	v_or3_b32 v49, v50, v49, v1
.LBB251_812:                            ;   in Loop: Header=BB251_542 Depth=1
	s_or_b32 exec_lo, exec_lo, s18
.LBB251_813:                            ;   in Loop: Header=BB251_542 Depth=1
	s_or_b32 exec_lo, exec_lo, s17
.LBB251_814:                            ;   in Loop: Header=BB251_542 Depth=1
	s_or_b32 exec_lo, exec_lo, s13
	v_lshrrev_b16 v1, 8, v9
	s_mov_b32 s13, exec_lo
	v_cmpx_ne_u16_e32 0, v1
	s_cbranch_execz .LBB251_822
; %bb.815:                              ;   in Loop: Header=BB251_542 Depth=1
	v_bfrev_b32_e32 v48, 1
	s_mov_b32 s17, exec_lo
	v_cmpx_ne_u16_e32 0x80, v1
	s_cbranch_execz .LBB251_821
; %bb.816:                              ;   in Loop: Header=BB251_542 Depth=1
	v_and_b32_sdwa v51, v1, v24 dst_sel:DWORD dst_unused:UNUSED_PAD src0_sel:WORD_0 src1_sel:DWORD
	v_mov_b32_e32 v48, 0x7c010000
	s_mov_b32 s18, exec_lo
	v_cmpx_ne_u32_e32 0x7f, v51
	s_cbranch_execz .LBB251_820
; %bb.817:                              ;   in Loop: Header=BB251_542 Depth=1
	v_and_b32_sdwa v48, v1, v25 dst_sel:DWORD dst_unused:UNUSED_PAD src0_sel:WORD_0 src1_sel:DWORD
	v_lshrrev_b32_e32 v50, 3, v51
	s_mov_b32 s19, exec_lo
	v_cmpx_gt_u32_e32 8, v51
; %bb.818:                              ;   in Loop: Header=BB251_542 Depth=1
	v_ffbh_u32_e32 v48, v48
	v_min_u32_e32 v48, 32, v48
	v_subrev_nc_u32_e32 v50, 28, v48
	v_lshlrev_b64 v[51:52], v50, v[1:2]
	v_sub_nc_u32_e32 v50, 29, v48
	v_and_b32_e32 v48, 7, v51
; %bb.819:                              ;   in Loop: Header=BB251_542 Depth=1
	s_or_b32 exec_lo, exec_lo, s19
	v_lshlrev_b32_sdwa v1, v26, v1 dst_sel:DWORD dst_unused:UNUSED_PAD src0_sel:DWORD src1_sel:WORD_0
	v_lshl_add_u32 v50, v50, 10, 0x2000
	v_lshlrev_b32_e32 v48, 23, v48
	v_and_or_b32 v1, 0x8000, v1, v50
	v_lshl_or_b32 v48, v1, 16, v48
.LBB251_820:                            ;   in Loop: Header=BB251_542 Depth=1
	s_or_b32 exec_lo, exec_lo, s18
.LBB251_821:                            ;   in Loop: Header=BB251_542 Depth=1
	s_or_b32 exec_lo, exec_lo, s17
.LBB251_822:                            ;   in Loop: Header=BB251_542 Depth=1
	s_or_b32 exec_lo, exec_lo, s13
	v_lshrrev_b32_e32 v1, 16, v9
	v_mov_b32_e32 v50, 0
	v_mov_b32_e32 v51, 0
	v_cmp_ne_u16_sdwa s0, v1, v2 src0_sel:BYTE_0 src1_sel:DWORD
	s_and_saveexec_b32 s13, s0
	s_cbranch_execz .LBB251_830
; %bb.823:                              ;   in Loop: Header=BB251_542 Depth=1
	v_cmp_ne_u16_sdwa s0, v1, v23 src0_sel:BYTE_0 src1_sel:DWORD
	v_mov_b32_e32 v51, 0x8000
	s_and_saveexec_b32 s17, s0
	s_cbranch_execz .LBB251_829
; %bb.824:                              ;   in Loop: Header=BB251_542 Depth=1
	v_bfe_u32 v53, v9, 16, 7
	v_mov_b32_e32 v51, 0x7c01
	s_mov_b32 s18, exec_lo
	v_cmpx_ne_u32_e32 0x7f, v53
	s_cbranch_execz .LBB251_828
; %bb.825:                              ;   in Loop: Header=BB251_542 Depth=1
	v_and_b32_e32 v51, 7, v1
	v_lshrrev_b32_e32 v52, 3, v53
	s_mov_b32 s19, exec_lo
	v_cmpx_gt_u32_e32 8, v53
; %bb.826:                              ;   in Loop: Header=BB251_542 Depth=1
	v_ffbh_u32_e32 v51, v51
	v_min_u32_e32 v53, 32, v51
	v_subrev_nc_u32_e32 v51, 28, v53
	v_lshlrev_b64 v[51:52], v51, v[1:2]
	v_sub_nc_u32_e32 v52, 29, v53
	v_and_b32_e32 v51, 7, v51
; %bb.827:                              ;   in Loop: Header=BB251_542 Depth=1
	s_or_b32 exec_lo, exec_lo, s19
	v_lshlrev_b32_e32 v1, 8, v1
	v_lshl_add_u32 v52, v52, 10, 0x2000
	v_lshlrev_b32_e32 v51, 7, v51
	v_and_b32_e32 v1, 0x8000, v1
	v_and_b32_e32 v52, 0xfc00, v52
	v_or3_b32 v51, v1, v52, v51
.LBB251_828:                            ;   in Loop: Header=BB251_542 Depth=1
	s_or_b32 exec_lo, exec_lo, s18
.LBB251_829:                            ;   in Loop: Header=BB251_542 Depth=1
	s_or_b32 exec_lo, exec_lo, s17
.LBB251_830:                            ;   in Loop: Header=BB251_542 Depth=1
	s_or_b32 exec_lo, exec_lo, s13
	s_mov_b32 s13, exec_lo
	v_cmpx_lt_u32_e32 0xffffff, v9
	s_cbranch_execz .LBB251_838
; %bb.831:                              ;   in Loop: Header=BB251_542 Depth=1
	v_lshrrev_b32_e32 v1, 24, v9
	v_bfrev_b32_e32 v50, 1
	s_mov_b32 s17, exec_lo
	v_cmpx_ne_u32_e32 0x80, v1
	s_cbranch_execz .LBB251_837
; %bb.832:                              ;   in Loop: Header=BB251_542 Depth=1
	v_and_b32_e32 v53, 0x7f, v1
	v_mov_b32_e32 v50, 0x7c010000
	s_mov_b32 s18, exec_lo
	v_cmpx_ne_u32_e32 0x7f, v53
	s_cbranch_execz .LBB251_836
; %bb.833:                              ;   in Loop: Header=BB251_542 Depth=1
	v_and_b32_e32 v50, 7, v1
	v_lshrrev_b32_e32 v52, 3, v53
	s_mov_b32 s19, exec_lo
	v_cmpx_gt_u32_e32 8, v53
; %bb.834:                              ;   in Loop: Header=BB251_542 Depth=1
	v_ffbh_u32_e32 v50, v50
	v_min_u32_e32 v50, 32, v50
	v_subrev_nc_u32_e32 v52, 28, v50
	v_lshlrev_b64 v[53:54], v52, v[1:2]
	v_sub_nc_u32_e32 v52, 29, v50
	v_and_b32_e32 v50, 7, v53
; %bb.835:                              ;   in Loop: Header=BB251_542 Depth=1
	s_or_b32 exec_lo, exec_lo, s19
	v_lshlrev_b32_e32 v1, 8, v1
	v_lshl_add_u32 v52, v52, 10, 0x2000
	v_lshlrev_b32_e32 v50, 23, v50
	v_and_or_b32 v1, 0x8000, v1, v52
	v_lshl_or_b32 v50, v1, 16, v50
.LBB251_836:                            ;   in Loop: Header=BB251_542 Depth=1
	s_or_b32 exec_lo, exec_lo, s18
.LBB251_837:                            ;   in Loop: Header=BB251_542 Depth=1
	s_or_b32 exec_lo, exec_lo, s17
.LBB251_838:                            ;   in Loop: Header=BB251_542 Depth=1
	s_or_b32 exec_lo, exec_lo, s13
	v_mov_b32_e32 v1, v10
	v_cmp_ne_u16_sdwa s0, v10, v2 src0_sel:BYTE_0 src1_sel:DWORD
	v_mov_b32_e32 v52, 0
	v_mov_b32_e32 v53, 0
	s_and_saveexec_b32 s13, s0
	s_cbranch_execz .LBB251_846
; %bb.839:                              ;   in Loop: Header=BB251_542 Depth=1
	v_cmp_ne_u16_sdwa s0, v10, v23 src0_sel:BYTE_0 src1_sel:DWORD
	v_mov_b32_e32 v53, 0x8000
	s_and_saveexec_b32 s17, s0
	s_cbranch_execz .LBB251_845
; %bb.840:                              ;   in Loop: Header=BB251_542 Depth=1
	v_and_b32_e32 v55, 0x7f, v10
	v_mov_b32_e32 v53, 0x7c01
	s_mov_b32 s18, exec_lo
	v_cmpx_ne_u32_e32 0x7f, v55
	s_cbranch_execz .LBB251_844
; %bb.841:                              ;   in Loop: Header=BB251_542 Depth=1
	v_and_b32_e32 v53, 7, v10
	v_lshrrev_b32_e32 v54, 3, v55
	s_mov_b32 s19, exec_lo
	v_cmpx_gt_u32_e32 8, v55
; %bb.842:                              ;   in Loop: Header=BB251_542 Depth=1
	v_ffbh_u32_e32 v53, v53
	v_min_u32_e32 v55, 32, v53
	v_subrev_nc_u32_e32 v53, 28, v55
	v_lshlrev_b64 v[53:54], v53, v[1:2]
	v_sub_nc_u32_e32 v54, 29, v55
	v_and_b32_e32 v53, 7, v53
; %bb.843:                              ;   in Loop: Header=BB251_542 Depth=1
	s_or_b32 exec_lo, exec_lo, s19
	v_lshlrev_b32_e32 v55, 8, v10
	v_lshl_add_u32 v54, v54, 10, 0x2000
	v_lshlrev_b32_e32 v53, 7, v53
	v_and_b32_e32 v55, 0x8000, v55
	v_and_b32_e32 v54, 0xfc00, v54
	v_or3_b32 v53, v55, v54, v53
.LBB251_844:                            ;   in Loop: Header=BB251_542 Depth=1
	s_or_b32 exec_lo, exec_lo, s18
.LBB251_845:                            ;   in Loop: Header=BB251_542 Depth=1
	s_or_b32 exec_lo, exec_lo, s17
.LBB251_846:                            ;   in Loop: Header=BB251_542 Depth=1
	s_or_b32 exec_lo, exec_lo, s13
	v_lshrrev_b16 v1, 8, v1
	v_mov_b32_e32 v54, 0
	s_mov_b32 s13, exec_lo
	v_cmpx_ne_u16_e32 0, v1
	s_cbranch_execz .LBB251_854
; %bb.847:                              ;   in Loop: Header=BB251_542 Depth=1
	v_bfrev_b32_e32 v54, 1
	s_mov_b32 s17, exec_lo
	v_cmpx_ne_u16_e32 0x80, v1
	s_cbranch_execz .LBB251_853
; %bb.848:                              ;   in Loop: Header=BB251_542 Depth=1
	v_and_b32_sdwa v56, v1, v24 dst_sel:DWORD dst_unused:UNUSED_PAD src0_sel:WORD_0 src1_sel:DWORD
	v_mov_b32_e32 v54, 0x7c010000
	s_mov_b32 s18, exec_lo
	v_cmpx_ne_u32_e32 0x7f, v56
	s_cbranch_execz .LBB251_852
; %bb.849:                              ;   in Loop: Header=BB251_542 Depth=1
	v_and_b32_sdwa v54, v1, v25 dst_sel:DWORD dst_unused:UNUSED_PAD src0_sel:WORD_0 src1_sel:DWORD
	v_lshrrev_b32_e32 v55, 3, v56
	s_mov_b32 s19, exec_lo
	v_cmpx_gt_u32_e32 8, v56
; %bb.850:                              ;   in Loop: Header=BB251_542 Depth=1
	v_ffbh_u32_e32 v54, v54
	v_min_u32_e32 v56, 32, v54
	v_subrev_nc_u32_e32 v54, 28, v56
	v_lshlrev_b64 v[54:55], v54, v[1:2]
	v_sub_nc_u32_e32 v55, 29, v56
	v_and_b32_e32 v54, 7, v54
; %bb.851:                              ;   in Loop: Header=BB251_542 Depth=1
	s_or_b32 exec_lo, exec_lo, s19
	v_lshlrev_b32_sdwa v1, v26, v1 dst_sel:DWORD dst_unused:UNUSED_PAD src0_sel:DWORD src1_sel:WORD_0
	v_lshl_add_u32 v55, v55, 10, 0x2000
	v_lshlrev_b32_e32 v54, 23, v54
	v_and_or_b32 v1, 0x8000, v1, v55
	v_lshl_or_b32 v54, v1, 16, v54
.LBB251_852:                            ;   in Loop: Header=BB251_542 Depth=1
	s_or_b32 exec_lo, exec_lo, s18
.LBB251_853:                            ;   in Loop: Header=BB251_542 Depth=1
	s_or_b32 exec_lo, exec_lo, s17
.LBB251_854:                            ;   in Loop: Header=BB251_542 Depth=1
	s_or_b32 exec_lo, exec_lo, s13
	v_lshrrev_b32_e32 v1, 16, v10
	v_cmp_ne_u16_sdwa s0, v1, v2 src0_sel:BYTE_0 src1_sel:DWORD
	s_and_saveexec_b32 s13, s0
	s_cbranch_execz .LBB251_862
; %bb.855:                              ;   in Loop: Header=BB251_542 Depth=1
	v_cmp_ne_u16_sdwa s0, v1, v23 src0_sel:BYTE_0 src1_sel:DWORD
	v_mov_b32_e32 v52, 0x8000
	s_and_saveexec_b32 s17, s0
	s_cbranch_execz .LBB251_861
; %bb.856:                              ;   in Loop: Header=BB251_542 Depth=1
	v_bfe_u32 v56, v10, 16, 7
	v_mov_b32_e32 v52, 0x7c01
	s_mov_b32 s18, exec_lo
	v_cmpx_ne_u32_e32 0x7f, v56
	s_cbranch_execz .LBB251_860
; %bb.857:                              ;   in Loop: Header=BB251_542 Depth=1
	v_and_b32_e32 v52, 7, v1
	v_lshrrev_b32_e32 v55, 3, v56
	s_mov_b32 s19, exec_lo
	v_cmpx_gt_u32_e32 8, v56
; %bb.858:                              ;   in Loop: Header=BB251_542 Depth=1
	v_ffbh_u32_e32 v52, v52
	v_min_u32_e32 v52, 32, v52
	v_subrev_nc_u32_e32 v55, 28, v52
	v_lshlrev_b64 v[56:57], v55, v[1:2]
	v_sub_nc_u32_e32 v55, 29, v52
	v_and_b32_e32 v52, 7, v56
; %bb.859:                              ;   in Loop: Header=BB251_542 Depth=1
	s_or_b32 exec_lo, exec_lo, s19
	v_lshlrev_b32_e32 v1, 8, v1
	v_lshl_add_u32 v55, v55, 10, 0x2000
	v_lshlrev_b32_e32 v52, 7, v52
	v_and_b32_e32 v1, 0x8000, v1
	v_and_b32_e32 v55, 0xfc00, v55
	v_or3_b32 v52, v1, v55, v52
.LBB251_860:                            ;   in Loop: Header=BB251_542 Depth=1
	s_or_b32 exec_lo, exec_lo, s18
.LBB251_861:                            ;   in Loop: Header=BB251_542 Depth=1
	s_or_b32 exec_lo, exec_lo, s17
.LBB251_862:                            ;   in Loop: Header=BB251_542 Depth=1
	s_or_b32 exec_lo, exec_lo, s13
	v_cmp_lt_u64_e64 s0, s[2:3], v[9:10]
	v_mov_b32_e32 v9, 0
	s_and_saveexec_b32 s13, s0
	s_cbranch_execz .LBB251_870
; %bb.863:                              ;   in Loop: Header=BB251_542 Depth=1
	v_lshrrev_b32_e32 v1, 24, v10
	v_bfrev_b32_e32 v9, 1
	s_mov_b32 s17, exec_lo
	v_cmpx_ne_u32_e32 0x80, v1
	s_cbranch_execz .LBB251_869
; %bb.864:                              ;   in Loop: Header=BB251_542 Depth=1
	v_and_b32_e32 v55, 0x7f, v1
	v_mov_b32_e32 v9, 0x7c010000
	s_mov_b32 s18, exec_lo
	v_cmpx_ne_u32_e32 0x7f, v55
	s_cbranch_execz .LBB251_868
; %bb.865:                              ;   in Loop: Header=BB251_542 Depth=1
	v_and_b32_e32 v9, 7, v1
	v_lshrrev_b32_e32 v10, 3, v55
	s_mov_b32 s19, exec_lo
	v_cmpx_gt_u32_e32 8, v55
; %bb.866:                              ;   in Loop: Header=BB251_542 Depth=1
	v_ffbh_u32_e32 v9, v9
	v_min_u32_e32 v55, 32, v9
	v_subrev_nc_u32_e32 v9, 28, v55
	v_lshlrev_b64 v[9:10], v9, v[1:2]
	v_sub_nc_u32_e32 v10, 29, v55
	v_and_b32_e32 v9, 7, v9
; %bb.867:                              ;   in Loop: Header=BB251_542 Depth=1
	s_or_b32 exec_lo, exec_lo, s19
	v_lshlrev_b32_e32 v1, 8, v1
	v_lshl_add_u32 v10, v10, 10, 0x2000
	v_lshlrev_b32_e32 v9, 23, v9
	v_and_or_b32 v1, 0x8000, v1, v10
	v_lshl_or_b32 v9, v1, 16, v9
.LBB251_868:                            ;   in Loop: Header=BB251_542 Depth=1
	s_or_b32 exec_lo, exec_lo, s18
.LBB251_869:                            ;   in Loop: Header=BB251_542 Depth=1
	s_or_b32 exec_lo, exec_lo, s17
.LBB251_870:                            ;   in Loop: Header=BB251_542 Depth=1
	s_or_b32 exec_lo, exec_lo, s13
	v_or_b32_e32 v1, v50, v51
	s_waitcnt vmcnt(0)
	v_fma_mixlo_f16 v10, v47, v50, 0 op_sel:[0,1,0] op_sel_hi:[0,1,0]
	v_or_b32_e32 v50, v48, v49
	v_fma_mixlo_f16 v48, v47, v48, 0 op_sel:[0,1,0] op_sel_hi:[0,1,0]
	v_or_b32_e32 v51, v54, v53
	v_or_b32_e32 v52, v9, v52
	v_fma_mixlo_f16 v53, v47, v1, 0 op_sel_hi:[0,1,0]
	v_fma_mixlo_f16 v9, v47, v9, 0 op_sel:[0,1,0] op_sel_hi:[0,1,0]
	v_lshlrev_b32_e32 v49, 16, v48
	v_fma_mixlo_f16 v48, v47, v50, 0 op_sel_hi:[0,1,0]
	v_fma_mixlo_f16 v50, v47, v54, 0 op_sel:[0,1,0] op_sel_hi:[0,1,0]
	v_fma_mixlo_f16 v51, v47, v51, 0 op_sel_hi:[0,1,0]
	v_fma_mixlo_f16 v52, v47, v52, 0 op_sel_hi:[0,1,0]
	v_lshlrev_b32_e32 v1, 16, v10
	v_and_b32_e32 v10, 0xffff, v53
	v_and_b32_e32 v55, 0xffff, v48
	v_lshlrev_b32_e32 v47, 16, v50
	v_and_b32_e32 v51, 0xffff, v51
	v_lshlrev_b32_e32 v9, 16, v9
	v_and_b32_e32 v48, 0xffff, v52
	v_or_b32_e32 v50, v1, v10
	v_or_b32_e32 v54, v49, v55
	v_or_b32_e32 v53, v47, v51
	v_or_b32_e32 v52, v9, v48
	s_and_saveexec_b32 s13, vcc_lo
	s_cbranch_execz .LBB251_872
; %bb.871:                              ;   in Loop: Header=BB251_542 Depth=1
	v_cmp_gt_i32_e64 s0, s11, v28
	v_cndmask_b32_e64 v50, 0, v55, s0
	v_cmp_gt_i32_e64 s0, s11, v34
	v_cndmask_b32_e64 v49, 0, v49, s0
	v_cmp_gt_i32_e64 s0, s11, v33
	v_or_b32_e32 v54, v49, v50
	v_cndmask_b32_e64 v10, 0, v10, s0
	v_cmp_gt_i32_e64 s0, s11, v32
	v_cndmask_b32_e64 v1, 0, v1, s0
	v_cmp_gt_i32_e64 s0, s11, v31
	v_or_b32_e32 v50, v1, v10
	;; [unrolled: 5-line block ×3, first 2 shown]
	v_cndmask_b32_e64 v48, 0, v48, s0
	v_cmp_gt_i32_e64 s0, s11, v21
	v_cndmask_b32_e64 v9, 0, v9, s0
	v_or_b32_e32 v52, v9, v48
.LBB251_872:                            ;   in Loop: Header=BB251_542 Depth=1
	s_or_b32 exec_lo, exec_lo, s13
	;;#ASMSTART
	v_pk_mul_f16 v1, v39, v54;

	;;#ASMEND
	;;#ASMSTART
	v_pk_mul_f16 v9, v37, v50;

	;;#ASMEND
	;; [unrolled: 4-line block ×4, first 2 shown]
	;;#ASMSTART
	v_pk_add_f16 v1, v1, v9;

	;;#ASMEND
	;;#ASMSTART
	v_pk_add_f16 v1, v1, v10;

	;;#ASMEND
	;; [unrolled: 4-line block ×3, first 2 shown]
	v_and_b32_e32 v9, 0xffff, v1
	v_lshrrev_b32_e32 v1, 16, v1
	;;#ASMSTART
	v_cvt_f32_f16 v47, v9;
	;;#ASMEND
	;;#ASMSTART
	v_cvt_f32_f16 v48, v1;
	;;#ASMEND
	global_load_dwordx2 v[9:10], v[7:8], off offset:1280
	v_mov_b32_e32 v50, 0
	v_mov_b32_e32 v51, 0
	global_load_dword v49, v50, s[14:15]
	s_waitcnt vmcnt(1)
	v_cmp_ne_u16_sdwa s0, v9, v2 src0_sel:BYTE_0 src1_sel:DWORD
	s_and_saveexec_b32 s13, s0
	s_cbranch_execz .LBB251_880
; %bb.873:                              ;   in Loop: Header=BB251_542 Depth=1
	v_cmp_ne_u16_sdwa s0, v9, v23 src0_sel:BYTE_0 src1_sel:DWORD
	v_mov_b32_e32 v51, 0x8000
	s_and_saveexec_b32 s17, s0
	s_cbranch_execz .LBB251_879
; %bb.874:                              ;   in Loop: Header=BB251_542 Depth=1
	v_and_b32_e32 v52, 0x7f, v9
	v_mov_b32_e32 v51, 0x7c01
	s_mov_b32 s18, exec_lo
	v_cmpx_ne_u32_e32 0x7f, v52
	s_cbranch_execz .LBB251_878
; %bb.875:                              ;   in Loop: Header=BB251_542 Depth=1
	v_and_b32_e32 v1, 7, v9
	v_lshrrev_b32_e32 v51, 3, v52
	s_mov_b32 s19, exec_lo
	v_cmpx_gt_u32_e32 8, v52
; %bb.876:                              ;   in Loop: Header=BB251_542 Depth=1
	v_ffbh_u32_e32 v1, v1
	v_min_u32_e32 v1, 32, v1
	v_subrev_nc_u32_e32 v51, 28, v1
	v_lshlrev_b64 v[52:53], v51, v[9:10]
	v_sub_nc_u32_e32 v51, 29, v1
	v_and_b32_e32 v1, 7, v52
; %bb.877:                              ;   in Loop: Header=BB251_542 Depth=1
	s_or_b32 exec_lo, exec_lo, s19
	v_lshlrev_b32_e32 v52, 8, v9
	v_lshl_add_u32 v51, v51, 10, 0x2000
	v_lshlrev_b32_e32 v1, 7, v1
	v_and_b32_e32 v52, 0x8000, v52
	v_and_b32_e32 v51, 0xfc00, v51
	v_or3_b32 v51, v52, v51, v1
.LBB251_878:                            ;   in Loop: Header=BB251_542 Depth=1
	s_or_b32 exec_lo, exec_lo, s18
.LBB251_879:                            ;   in Loop: Header=BB251_542 Depth=1
	s_or_b32 exec_lo, exec_lo, s17
.LBB251_880:                            ;   in Loop: Header=BB251_542 Depth=1
	s_or_b32 exec_lo, exec_lo, s13
	v_lshrrev_b16 v1, 8, v9
	s_mov_b32 s13, exec_lo
	v_cmpx_ne_u16_e32 0, v1
	s_cbranch_execz .LBB251_888
; %bb.881:                              ;   in Loop: Header=BB251_542 Depth=1
	v_bfrev_b32_e32 v50, 1
	s_mov_b32 s17, exec_lo
	v_cmpx_ne_u16_e32 0x80, v1
	s_cbranch_execz .LBB251_887
; %bb.882:                              ;   in Loop: Header=BB251_542 Depth=1
	v_and_b32_sdwa v53, v1, v24 dst_sel:DWORD dst_unused:UNUSED_PAD src0_sel:WORD_0 src1_sel:DWORD
	v_mov_b32_e32 v50, 0x7c010000
	s_mov_b32 s18, exec_lo
	v_cmpx_ne_u32_e32 0x7f, v53
	s_cbranch_execz .LBB251_886
; %bb.883:                              ;   in Loop: Header=BB251_542 Depth=1
	v_and_b32_sdwa v50, v1, v25 dst_sel:DWORD dst_unused:UNUSED_PAD src0_sel:WORD_0 src1_sel:DWORD
	v_lshrrev_b32_e32 v52, 3, v53
	s_mov_b32 s19, exec_lo
	v_cmpx_gt_u32_e32 8, v53
; %bb.884:                              ;   in Loop: Header=BB251_542 Depth=1
	v_ffbh_u32_e32 v50, v50
	v_min_u32_e32 v50, 32, v50
	v_subrev_nc_u32_e32 v52, 28, v50
	v_lshlrev_b64 v[53:54], v52, v[1:2]
	v_sub_nc_u32_e32 v52, 29, v50
	v_and_b32_e32 v50, 7, v53
; %bb.885:                              ;   in Loop: Header=BB251_542 Depth=1
	s_or_b32 exec_lo, exec_lo, s19
	v_lshlrev_b32_sdwa v1, v26, v1 dst_sel:DWORD dst_unused:UNUSED_PAD src0_sel:DWORD src1_sel:WORD_0
	v_lshl_add_u32 v52, v52, 10, 0x2000
	v_lshlrev_b32_e32 v50, 23, v50
	v_and_or_b32 v1, 0x8000, v1, v52
	v_lshl_or_b32 v50, v1, 16, v50
.LBB251_886:                            ;   in Loop: Header=BB251_542 Depth=1
	s_or_b32 exec_lo, exec_lo, s18
.LBB251_887:                            ;   in Loop: Header=BB251_542 Depth=1
	s_or_b32 exec_lo, exec_lo, s17
.LBB251_888:                            ;   in Loop: Header=BB251_542 Depth=1
	s_or_b32 exec_lo, exec_lo, s13
	v_lshrrev_b32_e32 v1, 16, v9
	v_mov_b32_e32 v52, 0
	v_mov_b32_e32 v53, 0
	v_cmp_ne_u16_sdwa s0, v1, v2 src0_sel:BYTE_0 src1_sel:DWORD
	s_and_saveexec_b32 s13, s0
	s_cbranch_execz .LBB251_896
; %bb.889:                              ;   in Loop: Header=BB251_542 Depth=1
	v_cmp_ne_u16_sdwa s0, v1, v23 src0_sel:BYTE_0 src1_sel:DWORD
	v_mov_b32_e32 v53, 0x8000
	s_and_saveexec_b32 s17, s0
	s_cbranch_execz .LBB251_895
; %bb.890:                              ;   in Loop: Header=BB251_542 Depth=1
	v_bfe_u32 v55, v9, 16, 7
	v_mov_b32_e32 v53, 0x7c01
	s_mov_b32 s18, exec_lo
	v_cmpx_ne_u32_e32 0x7f, v55
	s_cbranch_execz .LBB251_894
; %bb.891:                              ;   in Loop: Header=BB251_542 Depth=1
	v_and_b32_e32 v53, 7, v1
	v_lshrrev_b32_e32 v54, 3, v55
	s_mov_b32 s19, exec_lo
	v_cmpx_gt_u32_e32 8, v55
; %bb.892:                              ;   in Loop: Header=BB251_542 Depth=1
	v_ffbh_u32_e32 v53, v53
	v_min_u32_e32 v55, 32, v53
	v_subrev_nc_u32_e32 v53, 28, v55
	v_lshlrev_b64 v[53:54], v53, v[1:2]
	v_sub_nc_u32_e32 v54, 29, v55
	v_and_b32_e32 v53, 7, v53
; %bb.893:                              ;   in Loop: Header=BB251_542 Depth=1
	s_or_b32 exec_lo, exec_lo, s19
	v_lshlrev_b32_e32 v1, 8, v1
	v_lshl_add_u32 v54, v54, 10, 0x2000
	v_lshlrev_b32_e32 v53, 7, v53
	v_and_b32_e32 v1, 0x8000, v1
	v_and_b32_e32 v54, 0xfc00, v54
	v_or3_b32 v53, v1, v54, v53
.LBB251_894:                            ;   in Loop: Header=BB251_542 Depth=1
	s_or_b32 exec_lo, exec_lo, s18
.LBB251_895:                            ;   in Loop: Header=BB251_542 Depth=1
	s_or_b32 exec_lo, exec_lo, s17
.LBB251_896:                            ;   in Loop: Header=BB251_542 Depth=1
	s_or_b32 exec_lo, exec_lo, s13
	s_mov_b32 s13, exec_lo
	v_cmpx_lt_u32_e32 0xffffff, v9
	s_cbranch_execz .LBB251_904
; %bb.897:                              ;   in Loop: Header=BB251_542 Depth=1
	v_lshrrev_b32_e32 v1, 24, v9
	v_bfrev_b32_e32 v52, 1
	s_mov_b32 s17, exec_lo
	v_cmpx_ne_u32_e32 0x80, v1
	s_cbranch_execz .LBB251_903
; %bb.898:                              ;   in Loop: Header=BB251_542 Depth=1
	v_and_b32_e32 v55, 0x7f, v1
	v_mov_b32_e32 v52, 0x7c010000
	s_mov_b32 s18, exec_lo
	v_cmpx_ne_u32_e32 0x7f, v55
	s_cbranch_execz .LBB251_902
; %bb.899:                              ;   in Loop: Header=BB251_542 Depth=1
	v_and_b32_e32 v52, 7, v1
	v_lshrrev_b32_e32 v54, 3, v55
	s_mov_b32 s19, exec_lo
	v_cmpx_gt_u32_e32 8, v55
; %bb.900:                              ;   in Loop: Header=BB251_542 Depth=1
	v_ffbh_u32_e32 v52, v52
	v_min_u32_e32 v52, 32, v52
	v_subrev_nc_u32_e32 v54, 28, v52
	v_lshlrev_b64 v[55:56], v54, v[1:2]
	v_sub_nc_u32_e32 v54, 29, v52
	v_and_b32_e32 v52, 7, v55
; %bb.901:                              ;   in Loop: Header=BB251_542 Depth=1
	s_or_b32 exec_lo, exec_lo, s19
	v_lshlrev_b32_e32 v1, 8, v1
	v_lshl_add_u32 v54, v54, 10, 0x2000
	v_lshlrev_b32_e32 v52, 23, v52
	v_and_or_b32 v1, 0x8000, v1, v54
	v_lshl_or_b32 v52, v1, 16, v52
.LBB251_902:                            ;   in Loop: Header=BB251_542 Depth=1
	s_or_b32 exec_lo, exec_lo, s18
.LBB251_903:                            ;   in Loop: Header=BB251_542 Depth=1
	s_or_b32 exec_lo, exec_lo, s17
.LBB251_904:                            ;   in Loop: Header=BB251_542 Depth=1
	s_or_b32 exec_lo, exec_lo, s13
	v_mov_b32_e32 v1, v10
	v_cmp_ne_u16_sdwa s0, v10, v2 src0_sel:BYTE_0 src1_sel:DWORD
	v_mov_b32_e32 v54, 0
	v_mov_b32_e32 v55, 0
	s_and_saveexec_b32 s13, s0
	s_cbranch_execz .LBB251_912
; %bb.905:                              ;   in Loop: Header=BB251_542 Depth=1
	v_cmp_ne_u16_sdwa s0, v10, v23 src0_sel:BYTE_0 src1_sel:DWORD
	v_mov_b32_e32 v55, 0x8000
	s_and_saveexec_b32 s17, s0
	s_cbranch_execz .LBB251_911
; %bb.906:                              ;   in Loop: Header=BB251_542 Depth=1
	v_and_b32_e32 v57, 0x7f, v10
	v_mov_b32_e32 v55, 0x7c01
	s_mov_b32 s18, exec_lo
	v_cmpx_ne_u32_e32 0x7f, v57
	s_cbranch_execz .LBB251_910
; %bb.907:                              ;   in Loop: Header=BB251_542 Depth=1
	v_and_b32_e32 v55, 7, v10
	v_lshrrev_b32_e32 v56, 3, v57
	s_mov_b32 s19, exec_lo
	v_cmpx_gt_u32_e32 8, v57
; %bb.908:                              ;   in Loop: Header=BB251_542 Depth=1
	v_ffbh_u32_e32 v55, v55
	v_min_u32_e32 v57, 32, v55
	v_subrev_nc_u32_e32 v55, 28, v57
	v_lshlrev_b64 v[55:56], v55, v[1:2]
	v_sub_nc_u32_e32 v56, 29, v57
	v_and_b32_e32 v55, 7, v55
; %bb.909:                              ;   in Loop: Header=BB251_542 Depth=1
	s_or_b32 exec_lo, exec_lo, s19
	v_lshlrev_b32_e32 v57, 8, v10
	v_lshl_add_u32 v56, v56, 10, 0x2000
	v_lshlrev_b32_e32 v55, 7, v55
	v_and_b32_e32 v57, 0x8000, v57
	v_and_b32_e32 v56, 0xfc00, v56
	v_or3_b32 v55, v57, v56, v55
.LBB251_910:                            ;   in Loop: Header=BB251_542 Depth=1
	s_or_b32 exec_lo, exec_lo, s18
.LBB251_911:                            ;   in Loop: Header=BB251_542 Depth=1
	s_or_b32 exec_lo, exec_lo, s17
.LBB251_912:                            ;   in Loop: Header=BB251_542 Depth=1
	s_or_b32 exec_lo, exec_lo, s13
	v_lshrrev_b16 v1, 8, v1
	v_mov_b32_e32 v56, 0
	s_mov_b32 s13, exec_lo
	v_cmpx_ne_u16_e32 0, v1
	s_cbranch_execz .LBB251_920
; %bb.913:                              ;   in Loop: Header=BB251_542 Depth=1
	v_bfrev_b32_e32 v56, 1
	s_mov_b32 s17, exec_lo
	v_cmpx_ne_u16_e32 0x80, v1
	s_cbranch_execz .LBB251_919
; %bb.914:                              ;   in Loop: Header=BB251_542 Depth=1
	v_and_b32_sdwa v58, v1, v24 dst_sel:DWORD dst_unused:UNUSED_PAD src0_sel:WORD_0 src1_sel:DWORD
	v_mov_b32_e32 v56, 0x7c010000
	s_mov_b32 s18, exec_lo
	v_cmpx_ne_u32_e32 0x7f, v58
	s_cbranch_execz .LBB251_918
; %bb.915:                              ;   in Loop: Header=BB251_542 Depth=1
	v_and_b32_sdwa v56, v1, v25 dst_sel:DWORD dst_unused:UNUSED_PAD src0_sel:WORD_0 src1_sel:DWORD
	v_lshrrev_b32_e32 v57, 3, v58
	s_mov_b32 s19, exec_lo
	v_cmpx_gt_u32_e32 8, v58
; %bb.916:                              ;   in Loop: Header=BB251_542 Depth=1
	v_ffbh_u32_e32 v56, v56
	v_min_u32_e32 v58, 32, v56
	v_subrev_nc_u32_e32 v56, 28, v58
	v_lshlrev_b64 v[56:57], v56, v[1:2]
	v_sub_nc_u32_e32 v57, 29, v58
	v_and_b32_e32 v56, 7, v56
; %bb.917:                              ;   in Loop: Header=BB251_542 Depth=1
	s_or_b32 exec_lo, exec_lo, s19
	v_lshlrev_b32_sdwa v1, v26, v1 dst_sel:DWORD dst_unused:UNUSED_PAD src0_sel:DWORD src1_sel:WORD_0
	v_lshl_add_u32 v57, v57, 10, 0x2000
	v_lshlrev_b32_e32 v56, 23, v56
	v_and_or_b32 v1, 0x8000, v1, v57
	v_lshl_or_b32 v56, v1, 16, v56
.LBB251_918:                            ;   in Loop: Header=BB251_542 Depth=1
	s_or_b32 exec_lo, exec_lo, s18
.LBB251_919:                            ;   in Loop: Header=BB251_542 Depth=1
	s_or_b32 exec_lo, exec_lo, s17
.LBB251_920:                            ;   in Loop: Header=BB251_542 Depth=1
	s_or_b32 exec_lo, exec_lo, s13
	v_lshrrev_b32_e32 v1, 16, v10
	v_cmp_ne_u16_sdwa s0, v1, v2 src0_sel:BYTE_0 src1_sel:DWORD
	s_and_saveexec_b32 s13, s0
	s_cbranch_execz .LBB251_928
; %bb.921:                              ;   in Loop: Header=BB251_542 Depth=1
	v_cmp_ne_u16_sdwa s0, v1, v23 src0_sel:BYTE_0 src1_sel:DWORD
	v_mov_b32_e32 v54, 0x8000
	s_and_saveexec_b32 s17, s0
	s_cbranch_execz .LBB251_927
; %bb.922:                              ;   in Loop: Header=BB251_542 Depth=1
	v_bfe_u32 v58, v10, 16, 7
	v_mov_b32_e32 v54, 0x7c01
	s_mov_b32 s18, exec_lo
	v_cmpx_ne_u32_e32 0x7f, v58
	s_cbranch_execz .LBB251_926
; %bb.923:                              ;   in Loop: Header=BB251_542 Depth=1
	v_and_b32_e32 v54, 7, v1
	v_lshrrev_b32_e32 v57, 3, v58
	s_mov_b32 s19, exec_lo
	v_cmpx_gt_u32_e32 8, v58
; %bb.924:                              ;   in Loop: Header=BB251_542 Depth=1
	v_ffbh_u32_e32 v54, v54
	v_min_u32_e32 v54, 32, v54
	v_subrev_nc_u32_e32 v57, 28, v54
	v_lshlrev_b64 v[58:59], v57, v[1:2]
	v_sub_nc_u32_e32 v57, 29, v54
	v_and_b32_e32 v54, 7, v58
; %bb.925:                              ;   in Loop: Header=BB251_542 Depth=1
	s_or_b32 exec_lo, exec_lo, s19
	v_lshlrev_b32_e32 v1, 8, v1
	v_lshl_add_u32 v57, v57, 10, 0x2000
	v_lshlrev_b32_e32 v54, 7, v54
	v_and_b32_e32 v1, 0x8000, v1
	v_and_b32_e32 v57, 0xfc00, v57
	v_or3_b32 v54, v1, v57, v54
.LBB251_926:                            ;   in Loop: Header=BB251_542 Depth=1
	s_or_b32 exec_lo, exec_lo, s18
.LBB251_927:                            ;   in Loop: Header=BB251_542 Depth=1
	s_or_b32 exec_lo, exec_lo, s17
.LBB251_928:                            ;   in Loop: Header=BB251_542 Depth=1
	s_or_b32 exec_lo, exec_lo, s13
	v_cmp_lt_u64_e64 s0, s[2:3], v[9:10]
	v_mov_b32_e32 v9, 0
	s_and_saveexec_b32 s13, s0
	s_cbranch_execz .LBB251_936
; %bb.929:                              ;   in Loop: Header=BB251_542 Depth=1
	v_lshrrev_b32_e32 v1, 24, v10
	v_bfrev_b32_e32 v9, 1
	s_mov_b32 s17, exec_lo
	v_cmpx_ne_u32_e32 0x80, v1
	s_cbranch_execz .LBB251_935
; %bb.930:                              ;   in Loop: Header=BB251_542 Depth=1
	v_and_b32_e32 v57, 0x7f, v1
	v_mov_b32_e32 v9, 0x7c010000
	s_mov_b32 s18, exec_lo
	v_cmpx_ne_u32_e32 0x7f, v57
	s_cbranch_execz .LBB251_934
; %bb.931:                              ;   in Loop: Header=BB251_542 Depth=1
	v_and_b32_e32 v9, 7, v1
	v_lshrrev_b32_e32 v10, 3, v57
	s_mov_b32 s19, exec_lo
	v_cmpx_gt_u32_e32 8, v57
; %bb.932:                              ;   in Loop: Header=BB251_542 Depth=1
	v_ffbh_u32_e32 v9, v9
	v_min_u32_e32 v57, 32, v9
	v_subrev_nc_u32_e32 v9, 28, v57
	v_lshlrev_b64 v[9:10], v9, v[1:2]
	v_sub_nc_u32_e32 v10, 29, v57
	v_and_b32_e32 v9, 7, v9
; %bb.933:                              ;   in Loop: Header=BB251_542 Depth=1
	s_or_b32 exec_lo, exec_lo, s19
	v_lshlrev_b32_e32 v1, 8, v1
	v_lshl_add_u32 v10, v10, 10, 0x2000
	v_lshlrev_b32_e32 v9, 23, v9
	v_and_or_b32 v1, 0x8000, v1, v10
	v_lshl_or_b32 v9, v1, 16, v9
.LBB251_934:                            ;   in Loop: Header=BB251_542 Depth=1
	s_or_b32 exec_lo, exec_lo, s18
.LBB251_935:                            ;   in Loop: Header=BB251_542 Depth=1
	s_or_b32 exec_lo, exec_lo, s17
.LBB251_936:                            ;   in Loop: Header=BB251_542 Depth=1
	s_or_b32 exec_lo, exec_lo, s13
	v_or_b32_e32 v1, v52, v53
	s_waitcnt vmcnt(0)
	v_fma_mixlo_f16 v10, v49, v52, 0 op_sel:[0,1,0] op_sel_hi:[0,1,0]
	v_or_b32_e32 v52, v50, v51
	v_fma_mixlo_f16 v50, v49, v50, 0 op_sel:[0,1,0] op_sel_hi:[0,1,0]
	v_or_b32_e32 v53, v56, v55
	v_or_b32_e32 v54, v9, v54
	v_fma_mixlo_f16 v55, v49, v1, 0 op_sel_hi:[0,1,0]
	v_fma_mixlo_f16 v9, v49, v9, 0 op_sel:[0,1,0] op_sel_hi:[0,1,0]
	v_lshlrev_b32_e32 v51, 16, v50
	v_fma_mixlo_f16 v50, v49, v52, 0 op_sel_hi:[0,1,0]
	v_fma_mixlo_f16 v52, v49, v56, 0 op_sel:[0,1,0] op_sel_hi:[0,1,0]
	v_fma_mixlo_f16 v53, v49, v53, 0 op_sel_hi:[0,1,0]
	v_fma_mixlo_f16 v54, v49, v54, 0 op_sel_hi:[0,1,0]
	v_lshlrev_b32_e32 v1, 16, v10
	v_and_b32_e32 v10, 0xffff, v55
	v_and_b32_e32 v57, 0xffff, v50
	v_lshlrev_b32_e32 v49, 16, v52
	v_and_b32_e32 v53, 0xffff, v53
	v_lshlrev_b32_e32 v9, 16, v9
	v_and_b32_e32 v50, 0xffff, v54
	v_or_b32_e32 v52, v1, v10
	v_or_b32_e32 v56, v51, v57
	;; [unrolled: 1-line block ×4, first 2 shown]
	s_and_saveexec_b32 s13, vcc_lo
	s_cbranch_execz .LBB251_938
; %bb.937:                              ;   in Loop: Header=BB251_542 Depth=1
	v_cmp_gt_i32_e64 s0, s11, v28
	v_cndmask_b32_e64 v52, 0, v57, s0
	v_cmp_gt_i32_e64 s0, s11, v34
	v_cndmask_b32_e64 v51, 0, v51, s0
	v_cmp_gt_i32_e64 s0, s11, v33
	v_or_b32_e32 v56, v51, v52
	v_cndmask_b32_e64 v10, 0, v10, s0
	v_cmp_gt_i32_e64 s0, s11, v32
	v_cndmask_b32_e64 v1, 0, v1, s0
	v_cmp_gt_i32_e64 s0, s11, v31
	v_or_b32_e32 v52, v1, v10
	;; [unrolled: 5-line block ×3, first 2 shown]
	v_cndmask_b32_e64 v50, 0, v50, s0
	v_cmp_gt_i32_e64 s0, s11, v21
	v_cndmask_b32_e64 v9, 0, v9, s0
	v_or_b32_e32 v54, v9, v50
.LBB251_938:                            ;   in Loop: Header=BB251_542 Depth=1
	s_or_b32 exec_lo, exec_lo, s13
	;;#ASMSTART
	v_pk_mul_f16 v1, v39, v56;

	;;#ASMEND
	;;#ASMSTART
	v_pk_mul_f16 v9, v37, v52;

	;;#ASMEND
	;; [unrolled: 4-line block ×4, first 2 shown]
	;;#ASMSTART
	v_pk_add_f16 v1, v1, v9;

	;;#ASMEND
	;;#ASMSTART
	v_pk_add_f16 v1, v1, v10;

	;;#ASMEND
	;; [unrolled: 4-line block ×3, first 2 shown]
	v_and_b32_e32 v9, 0xffff, v1
	v_lshrrev_b32_e32 v1, 16, v1
	;;#ASMSTART
	v_cvt_f32_f16 v49, v9;
	;;#ASMEND
	;;#ASMSTART
	v_cvt_f32_f16 v50, v1;
	;;#ASMEND
	global_load_dwordx2 v[9:10], v[7:8], off offset:1536
	v_mov_b32_e32 v52, 0
	v_mov_b32_e32 v53, 0
	global_load_dword v51, v52, s[14:15]
	s_waitcnt vmcnt(1)
	v_cmp_ne_u16_sdwa s0, v9, v2 src0_sel:BYTE_0 src1_sel:DWORD
	s_and_saveexec_b32 s13, s0
	s_cbranch_execz .LBB251_946
; %bb.939:                              ;   in Loop: Header=BB251_542 Depth=1
	v_cmp_ne_u16_sdwa s0, v9, v23 src0_sel:BYTE_0 src1_sel:DWORD
	v_mov_b32_e32 v53, 0x8000
	s_and_saveexec_b32 s17, s0
	s_cbranch_execz .LBB251_945
; %bb.940:                              ;   in Loop: Header=BB251_542 Depth=1
	v_and_b32_e32 v54, 0x7f, v9
	v_mov_b32_e32 v53, 0x7c01
	s_mov_b32 s18, exec_lo
	v_cmpx_ne_u32_e32 0x7f, v54
	s_cbranch_execz .LBB251_944
; %bb.941:                              ;   in Loop: Header=BB251_542 Depth=1
	v_and_b32_e32 v1, 7, v9
	v_lshrrev_b32_e32 v53, 3, v54
	s_mov_b32 s19, exec_lo
	v_cmpx_gt_u32_e32 8, v54
; %bb.942:                              ;   in Loop: Header=BB251_542 Depth=1
	v_ffbh_u32_e32 v1, v1
	v_min_u32_e32 v1, 32, v1
	v_subrev_nc_u32_e32 v53, 28, v1
	v_lshlrev_b64 v[54:55], v53, v[9:10]
	v_sub_nc_u32_e32 v53, 29, v1
	v_and_b32_e32 v1, 7, v54
; %bb.943:                              ;   in Loop: Header=BB251_542 Depth=1
	s_or_b32 exec_lo, exec_lo, s19
	v_lshlrev_b32_e32 v54, 8, v9
	v_lshl_add_u32 v53, v53, 10, 0x2000
	v_lshlrev_b32_e32 v1, 7, v1
	v_and_b32_e32 v54, 0x8000, v54
	v_and_b32_e32 v53, 0xfc00, v53
	v_or3_b32 v53, v54, v53, v1
.LBB251_944:                            ;   in Loop: Header=BB251_542 Depth=1
	s_or_b32 exec_lo, exec_lo, s18
.LBB251_945:                            ;   in Loop: Header=BB251_542 Depth=1
	s_or_b32 exec_lo, exec_lo, s17
.LBB251_946:                            ;   in Loop: Header=BB251_542 Depth=1
	s_or_b32 exec_lo, exec_lo, s13
	v_lshrrev_b16 v1, 8, v9
	s_mov_b32 s13, exec_lo
	v_cmpx_ne_u16_e32 0, v1
	s_cbranch_execz .LBB251_954
; %bb.947:                              ;   in Loop: Header=BB251_542 Depth=1
	v_bfrev_b32_e32 v52, 1
	s_mov_b32 s17, exec_lo
	v_cmpx_ne_u16_e32 0x80, v1
	s_cbranch_execz .LBB251_953
; %bb.948:                              ;   in Loop: Header=BB251_542 Depth=1
	v_and_b32_sdwa v55, v1, v24 dst_sel:DWORD dst_unused:UNUSED_PAD src0_sel:WORD_0 src1_sel:DWORD
	v_mov_b32_e32 v52, 0x7c010000
	s_mov_b32 s18, exec_lo
	v_cmpx_ne_u32_e32 0x7f, v55
	s_cbranch_execz .LBB251_952
; %bb.949:                              ;   in Loop: Header=BB251_542 Depth=1
	v_and_b32_sdwa v52, v1, v25 dst_sel:DWORD dst_unused:UNUSED_PAD src0_sel:WORD_0 src1_sel:DWORD
	v_lshrrev_b32_e32 v54, 3, v55
	s_mov_b32 s19, exec_lo
	v_cmpx_gt_u32_e32 8, v55
; %bb.950:                              ;   in Loop: Header=BB251_542 Depth=1
	v_ffbh_u32_e32 v52, v52
	v_min_u32_e32 v52, 32, v52
	v_subrev_nc_u32_e32 v54, 28, v52
	v_lshlrev_b64 v[55:56], v54, v[1:2]
	v_sub_nc_u32_e32 v54, 29, v52
	v_and_b32_e32 v52, 7, v55
; %bb.951:                              ;   in Loop: Header=BB251_542 Depth=1
	s_or_b32 exec_lo, exec_lo, s19
	v_lshlrev_b32_sdwa v1, v26, v1 dst_sel:DWORD dst_unused:UNUSED_PAD src0_sel:DWORD src1_sel:WORD_0
	v_lshl_add_u32 v54, v54, 10, 0x2000
	v_lshlrev_b32_e32 v52, 23, v52
	v_and_or_b32 v1, 0x8000, v1, v54
	v_lshl_or_b32 v52, v1, 16, v52
.LBB251_952:                            ;   in Loop: Header=BB251_542 Depth=1
	s_or_b32 exec_lo, exec_lo, s18
.LBB251_953:                            ;   in Loop: Header=BB251_542 Depth=1
	s_or_b32 exec_lo, exec_lo, s17
.LBB251_954:                            ;   in Loop: Header=BB251_542 Depth=1
	s_or_b32 exec_lo, exec_lo, s13
	v_lshrrev_b32_e32 v1, 16, v9
	v_mov_b32_e32 v54, 0
	v_mov_b32_e32 v55, 0
	v_cmp_ne_u16_sdwa s0, v1, v2 src0_sel:BYTE_0 src1_sel:DWORD
	s_and_saveexec_b32 s13, s0
	s_cbranch_execz .LBB251_962
; %bb.955:                              ;   in Loop: Header=BB251_542 Depth=1
	v_cmp_ne_u16_sdwa s0, v1, v23 src0_sel:BYTE_0 src1_sel:DWORD
	v_mov_b32_e32 v55, 0x8000
	s_and_saveexec_b32 s17, s0
	s_cbranch_execz .LBB251_961
; %bb.956:                              ;   in Loop: Header=BB251_542 Depth=1
	v_bfe_u32 v57, v9, 16, 7
	v_mov_b32_e32 v55, 0x7c01
	s_mov_b32 s18, exec_lo
	v_cmpx_ne_u32_e32 0x7f, v57
	s_cbranch_execz .LBB251_960
; %bb.957:                              ;   in Loop: Header=BB251_542 Depth=1
	v_and_b32_e32 v55, 7, v1
	v_lshrrev_b32_e32 v56, 3, v57
	s_mov_b32 s19, exec_lo
	v_cmpx_gt_u32_e32 8, v57
; %bb.958:                              ;   in Loop: Header=BB251_542 Depth=1
	v_ffbh_u32_e32 v55, v55
	v_min_u32_e32 v57, 32, v55
	v_subrev_nc_u32_e32 v55, 28, v57
	v_lshlrev_b64 v[55:56], v55, v[1:2]
	v_sub_nc_u32_e32 v56, 29, v57
	v_and_b32_e32 v55, 7, v55
; %bb.959:                              ;   in Loop: Header=BB251_542 Depth=1
	s_or_b32 exec_lo, exec_lo, s19
	v_lshlrev_b32_e32 v1, 8, v1
	v_lshl_add_u32 v56, v56, 10, 0x2000
	v_lshlrev_b32_e32 v55, 7, v55
	v_and_b32_e32 v1, 0x8000, v1
	v_and_b32_e32 v56, 0xfc00, v56
	v_or3_b32 v55, v1, v56, v55
.LBB251_960:                            ;   in Loop: Header=BB251_542 Depth=1
	s_or_b32 exec_lo, exec_lo, s18
.LBB251_961:                            ;   in Loop: Header=BB251_542 Depth=1
	s_or_b32 exec_lo, exec_lo, s17
.LBB251_962:                            ;   in Loop: Header=BB251_542 Depth=1
	s_or_b32 exec_lo, exec_lo, s13
	s_mov_b32 s13, exec_lo
	v_cmpx_lt_u32_e32 0xffffff, v9
	s_cbranch_execz .LBB251_970
; %bb.963:                              ;   in Loop: Header=BB251_542 Depth=1
	v_lshrrev_b32_e32 v1, 24, v9
	v_bfrev_b32_e32 v54, 1
	s_mov_b32 s17, exec_lo
	v_cmpx_ne_u32_e32 0x80, v1
	s_cbranch_execz .LBB251_969
; %bb.964:                              ;   in Loop: Header=BB251_542 Depth=1
	v_and_b32_e32 v57, 0x7f, v1
	v_mov_b32_e32 v54, 0x7c010000
	s_mov_b32 s18, exec_lo
	v_cmpx_ne_u32_e32 0x7f, v57
	s_cbranch_execz .LBB251_968
; %bb.965:                              ;   in Loop: Header=BB251_542 Depth=1
	v_and_b32_e32 v54, 7, v1
	v_lshrrev_b32_e32 v56, 3, v57
	s_mov_b32 s19, exec_lo
	v_cmpx_gt_u32_e32 8, v57
; %bb.966:                              ;   in Loop: Header=BB251_542 Depth=1
	v_ffbh_u32_e32 v54, v54
	v_min_u32_e32 v54, 32, v54
	v_subrev_nc_u32_e32 v56, 28, v54
	v_lshlrev_b64 v[57:58], v56, v[1:2]
	v_sub_nc_u32_e32 v56, 29, v54
	v_and_b32_e32 v54, 7, v57
; %bb.967:                              ;   in Loop: Header=BB251_542 Depth=1
	s_or_b32 exec_lo, exec_lo, s19
	v_lshlrev_b32_e32 v1, 8, v1
	v_lshl_add_u32 v56, v56, 10, 0x2000
	v_lshlrev_b32_e32 v54, 23, v54
	v_and_or_b32 v1, 0x8000, v1, v56
	v_lshl_or_b32 v54, v1, 16, v54
.LBB251_968:                            ;   in Loop: Header=BB251_542 Depth=1
	s_or_b32 exec_lo, exec_lo, s18
.LBB251_969:                            ;   in Loop: Header=BB251_542 Depth=1
	s_or_b32 exec_lo, exec_lo, s17
.LBB251_970:                            ;   in Loop: Header=BB251_542 Depth=1
	s_or_b32 exec_lo, exec_lo, s13
	v_mov_b32_e32 v1, v10
	v_cmp_ne_u16_sdwa s0, v10, v2 src0_sel:BYTE_0 src1_sel:DWORD
	v_mov_b32_e32 v56, 0
	v_mov_b32_e32 v57, 0
	s_and_saveexec_b32 s13, s0
	s_cbranch_execz .LBB251_978
; %bb.971:                              ;   in Loop: Header=BB251_542 Depth=1
	v_cmp_ne_u16_sdwa s0, v10, v23 src0_sel:BYTE_0 src1_sel:DWORD
	v_mov_b32_e32 v57, 0x8000
	s_and_saveexec_b32 s17, s0
	s_cbranch_execz .LBB251_977
; %bb.972:                              ;   in Loop: Header=BB251_542 Depth=1
	v_and_b32_e32 v59, 0x7f, v10
	v_mov_b32_e32 v57, 0x7c01
	s_mov_b32 s18, exec_lo
	v_cmpx_ne_u32_e32 0x7f, v59
	s_cbranch_execz .LBB251_976
; %bb.973:                              ;   in Loop: Header=BB251_542 Depth=1
	v_and_b32_e32 v57, 7, v10
	v_lshrrev_b32_e32 v58, 3, v59
	s_mov_b32 s19, exec_lo
	v_cmpx_gt_u32_e32 8, v59
; %bb.974:                              ;   in Loop: Header=BB251_542 Depth=1
	v_ffbh_u32_e32 v57, v57
	v_min_u32_e32 v59, 32, v57
	v_subrev_nc_u32_e32 v57, 28, v59
	v_lshlrev_b64 v[57:58], v57, v[1:2]
	v_sub_nc_u32_e32 v58, 29, v59
	v_and_b32_e32 v57, 7, v57
; %bb.975:                              ;   in Loop: Header=BB251_542 Depth=1
	s_or_b32 exec_lo, exec_lo, s19
	v_lshlrev_b32_e32 v59, 8, v10
	v_lshl_add_u32 v58, v58, 10, 0x2000
	v_lshlrev_b32_e32 v57, 7, v57
	v_and_b32_e32 v59, 0x8000, v59
	v_and_b32_e32 v58, 0xfc00, v58
	v_or3_b32 v57, v59, v58, v57
.LBB251_976:                            ;   in Loop: Header=BB251_542 Depth=1
	s_or_b32 exec_lo, exec_lo, s18
.LBB251_977:                            ;   in Loop: Header=BB251_542 Depth=1
	s_or_b32 exec_lo, exec_lo, s17
.LBB251_978:                            ;   in Loop: Header=BB251_542 Depth=1
	s_or_b32 exec_lo, exec_lo, s13
	v_lshrrev_b16 v1, 8, v1
	v_mov_b32_e32 v58, 0
	s_mov_b32 s13, exec_lo
	v_cmpx_ne_u16_e32 0, v1
	s_cbranch_execz .LBB251_986
; %bb.979:                              ;   in Loop: Header=BB251_542 Depth=1
	v_bfrev_b32_e32 v58, 1
	s_mov_b32 s17, exec_lo
	v_cmpx_ne_u16_e32 0x80, v1
	s_cbranch_execz .LBB251_985
; %bb.980:                              ;   in Loop: Header=BB251_542 Depth=1
	v_and_b32_sdwa v60, v1, v24 dst_sel:DWORD dst_unused:UNUSED_PAD src0_sel:WORD_0 src1_sel:DWORD
	v_mov_b32_e32 v58, 0x7c010000
	s_mov_b32 s18, exec_lo
	v_cmpx_ne_u32_e32 0x7f, v60
	s_cbranch_execz .LBB251_984
; %bb.981:                              ;   in Loop: Header=BB251_542 Depth=1
	v_and_b32_sdwa v58, v1, v25 dst_sel:DWORD dst_unused:UNUSED_PAD src0_sel:WORD_0 src1_sel:DWORD
	v_lshrrev_b32_e32 v59, 3, v60
	s_mov_b32 s19, exec_lo
	v_cmpx_gt_u32_e32 8, v60
; %bb.982:                              ;   in Loop: Header=BB251_542 Depth=1
	v_ffbh_u32_e32 v58, v58
	v_min_u32_e32 v60, 32, v58
	v_subrev_nc_u32_e32 v58, 28, v60
	v_lshlrev_b64 v[58:59], v58, v[1:2]
	v_sub_nc_u32_e32 v59, 29, v60
	v_and_b32_e32 v58, 7, v58
; %bb.983:                              ;   in Loop: Header=BB251_542 Depth=1
	s_or_b32 exec_lo, exec_lo, s19
	v_lshlrev_b32_sdwa v1, v26, v1 dst_sel:DWORD dst_unused:UNUSED_PAD src0_sel:DWORD src1_sel:WORD_0
	v_lshl_add_u32 v59, v59, 10, 0x2000
	v_lshlrev_b32_e32 v58, 23, v58
	v_and_or_b32 v1, 0x8000, v1, v59
	v_lshl_or_b32 v58, v1, 16, v58
.LBB251_984:                            ;   in Loop: Header=BB251_542 Depth=1
	s_or_b32 exec_lo, exec_lo, s18
.LBB251_985:                            ;   in Loop: Header=BB251_542 Depth=1
	s_or_b32 exec_lo, exec_lo, s17
.LBB251_986:                            ;   in Loop: Header=BB251_542 Depth=1
	s_or_b32 exec_lo, exec_lo, s13
	v_lshrrev_b32_e32 v1, 16, v10
	v_cmp_ne_u16_sdwa s0, v1, v2 src0_sel:BYTE_0 src1_sel:DWORD
	s_and_saveexec_b32 s13, s0
	s_cbranch_execz .LBB251_994
; %bb.987:                              ;   in Loop: Header=BB251_542 Depth=1
	v_cmp_ne_u16_sdwa s0, v1, v23 src0_sel:BYTE_0 src1_sel:DWORD
	v_mov_b32_e32 v56, 0x8000
	s_and_saveexec_b32 s17, s0
	s_cbranch_execz .LBB251_993
; %bb.988:                              ;   in Loop: Header=BB251_542 Depth=1
	v_bfe_u32 v60, v10, 16, 7
	v_mov_b32_e32 v56, 0x7c01
	s_mov_b32 s18, exec_lo
	v_cmpx_ne_u32_e32 0x7f, v60
	s_cbranch_execz .LBB251_992
; %bb.989:                              ;   in Loop: Header=BB251_542 Depth=1
	v_and_b32_e32 v56, 7, v1
	v_lshrrev_b32_e32 v59, 3, v60
	s_mov_b32 s19, exec_lo
	v_cmpx_gt_u32_e32 8, v60
; %bb.990:                              ;   in Loop: Header=BB251_542 Depth=1
	v_ffbh_u32_e32 v56, v56
	v_min_u32_e32 v56, 32, v56
	v_subrev_nc_u32_e32 v59, 28, v56
	v_lshlrev_b64 v[60:61], v59, v[1:2]
	v_sub_nc_u32_e32 v59, 29, v56
	v_and_b32_e32 v56, 7, v60
; %bb.991:                              ;   in Loop: Header=BB251_542 Depth=1
	s_or_b32 exec_lo, exec_lo, s19
	v_lshlrev_b32_e32 v1, 8, v1
	v_lshl_add_u32 v59, v59, 10, 0x2000
	v_lshlrev_b32_e32 v56, 7, v56
	v_and_b32_e32 v1, 0x8000, v1
	v_and_b32_e32 v59, 0xfc00, v59
	v_or3_b32 v56, v1, v59, v56
.LBB251_992:                            ;   in Loop: Header=BB251_542 Depth=1
	s_or_b32 exec_lo, exec_lo, s18
.LBB251_993:                            ;   in Loop: Header=BB251_542 Depth=1
	s_or_b32 exec_lo, exec_lo, s17
.LBB251_994:                            ;   in Loop: Header=BB251_542 Depth=1
	s_or_b32 exec_lo, exec_lo, s13
	v_cmp_lt_u64_e64 s0, s[2:3], v[9:10]
	v_mov_b32_e32 v9, 0
	s_and_saveexec_b32 s13, s0
	s_cbranch_execz .LBB251_1002
; %bb.995:                              ;   in Loop: Header=BB251_542 Depth=1
	v_lshrrev_b32_e32 v1, 24, v10
	v_bfrev_b32_e32 v9, 1
	s_mov_b32 s17, exec_lo
	v_cmpx_ne_u32_e32 0x80, v1
	s_cbranch_execz .LBB251_1001
; %bb.996:                              ;   in Loop: Header=BB251_542 Depth=1
	v_and_b32_e32 v59, 0x7f, v1
	v_mov_b32_e32 v9, 0x7c010000
	s_mov_b32 s18, exec_lo
	v_cmpx_ne_u32_e32 0x7f, v59
	s_cbranch_execz .LBB251_1000
; %bb.997:                              ;   in Loop: Header=BB251_542 Depth=1
	v_and_b32_e32 v9, 7, v1
	v_lshrrev_b32_e32 v10, 3, v59
	s_mov_b32 s19, exec_lo
	v_cmpx_gt_u32_e32 8, v59
; %bb.998:                              ;   in Loop: Header=BB251_542 Depth=1
	v_ffbh_u32_e32 v9, v9
	v_min_u32_e32 v59, 32, v9
	v_subrev_nc_u32_e32 v9, 28, v59
	v_lshlrev_b64 v[9:10], v9, v[1:2]
	v_sub_nc_u32_e32 v10, 29, v59
	v_and_b32_e32 v9, 7, v9
; %bb.999:                              ;   in Loop: Header=BB251_542 Depth=1
	s_or_b32 exec_lo, exec_lo, s19
	v_lshlrev_b32_e32 v1, 8, v1
	v_lshl_add_u32 v10, v10, 10, 0x2000
	v_lshlrev_b32_e32 v9, 23, v9
	v_and_or_b32 v1, 0x8000, v1, v10
	v_lshl_or_b32 v9, v1, 16, v9
.LBB251_1000:                           ;   in Loop: Header=BB251_542 Depth=1
	s_or_b32 exec_lo, exec_lo, s18
.LBB251_1001:                           ;   in Loop: Header=BB251_542 Depth=1
	s_or_b32 exec_lo, exec_lo, s17
.LBB251_1002:                           ;   in Loop: Header=BB251_542 Depth=1
	s_or_b32 exec_lo, exec_lo, s13
	v_or_b32_e32 v1, v54, v55
	s_waitcnt vmcnt(0)
	v_fma_mixlo_f16 v10, v51, v54, 0 op_sel:[0,1,0] op_sel_hi:[0,1,0]
	v_or_b32_e32 v54, v52, v53
	v_fma_mixlo_f16 v52, v51, v52, 0 op_sel:[0,1,0] op_sel_hi:[0,1,0]
	v_or_b32_e32 v55, v58, v57
	v_or_b32_e32 v56, v9, v56
	v_fma_mixlo_f16 v57, v51, v1, 0 op_sel_hi:[0,1,0]
	v_fma_mixlo_f16 v9, v51, v9, 0 op_sel:[0,1,0] op_sel_hi:[0,1,0]
	v_lshlrev_b32_e32 v53, 16, v52
	v_fma_mixlo_f16 v52, v51, v54, 0 op_sel_hi:[0,1,0]
	v_fma_mixlo_f16 v54, v51, v58, 0 op_sel:[0,1,0] op_sel_hi:[0,1,0]
	v_fma_mixlo_f16 v55, v51, v55, 0 op_sel_hi:[0,1,0]
	v_fma_mixlo_f16 v56, v51, v56, 0 op_sel_hi:[0,1,0]
	v_lshlrev_b32_e32 v1, 16, v10
	v_and_b32_e32 v10, 0xffff, v57
	v_and_b32_e32 v59, 0xffff, v52
	v_lshlrev_b32_e32 v51, 16, v54
	v_and_b32_e32 v55, 0xffff, v55
	v_lshlrev_b32_e32 v9, 16, v9
	v_and_b32_e32 v52, 0xffff, v56
	v_or_b32_e32 v54, v1, v10
	v_or_b32_e32 v58, v53, v59
	;; [unrolled: 1-line block ×4, first 2 shown]
	s_and_saveexec_b32 s13, vcc_lo
	s_cbranch_execz .LBB251_1004
; %bb.1003:                             ;   in Loop: Header=BB251_542 Depth=1
	v_cmp_gt_i32_e64 s0, s11, v28
	v_cndmask_b32_e64 v54, 0, v59, s0
	v_cmp_gt_i32_e64 s0, s11, v34
	v_cndmask_b32_e64 v53, 0, v53, s0
	v_cmp_gt_i32_e64 s0, s11, v33
	v_or_b32_e32 v58, v53, v54
	v_cndmask_b32_e64 v10, 0, v10, s0
	v_cmp_gt_i32_e64 s0, s11, v32
	v_cndmask_b32_e64 v1, 0, v1, s0
	v_cmp_gt_i32_e64 s0, s11, v31
	v_or_b32_e32 v54, v1, v10
	;; [unrolled: 5-line block ×3, first 2 shown]
	v_cndmask_b32_e64 v52, 0, v52, s0
	v_cmp_gt_i32_e64 s0, s11, v21
	v_cndmask_b32_e64 v9, 0, v9, s0
	v_or_b32_e32 v56, v9, v52
.LBB251_1004:                           ;   in Loop: Header=BB251_542 Depth=1
	s_or_b32 exec_lo, exec_lo, s13
	;;#ASMSTART
	v_pk_mul_f16 v1, v39, v58;

	;;#ASMEND
	;;#ASMSTART
	v_pk_mul_f16 v9, v37, v54;

	;;#ASMEND
	;; [unrolled: 4-line block ×4, first 2 shown]
	;;#ASMSTART
	v_pk_add_f16 v1, v1, v9;

	;;#ASMEND
	;;#ASMSTART
	v_pk_add_f16 v1, v1, v10;

	;;#ASMEND
	;; [unrolled: 4-line block ×3, first 2 shown]
	v_and_b32_e32 v9, 0xffff, v1
	v_lshrrev_b32_e32 v1, 16, v1
	;;#ASMSTART
	v_cvt_f32_f16 v9, v9;
	;;#ASMEND
	;;#ASMSTART
	v_cvt_f32_f16 v10, v1;
	;;#ASMEND
	global_load_dwordx2 v[7:8], v[7:8], off offset:1792
	v_mov_b32_e32 v52, 0
	v_mov_b32_e32 v53, 0
	global_load_dword v51, v52, s[14:15]
	s_waitcnt vmcnt(1)
	v_cmp_ne_u16_sdwa s0, v7, v2 src0_sel:BYTE_0 src1_sel:DWORD
	s_and_saveexec_b32 s13, s0
	s_cbranch_execz .LBB251_1012
; %bb.1005:                             ;   in Loop: Header=BB251_542 Depth=1
	v_cmp_ne_u16_sdwa s0, v7, v23 src0_sel:BYTE_0 src1_sel:DWORD
	v_mov_b32_e32 v53, 0x8000
	s_and_saveexec_b32 s17, s0
	s_cbranch_execz .LBB251_1011
; %bb.1006:                             ;   in Loop: Header=BB251_542 Depth=1
	v_and_b32_e32 v54, 0x7f, v7
	v_mov_b32_e32 v53, 0x7c01
	s_mov_b32 s18, exec_lo
	v_cmpx_ne_u32_e32 0x7f, v54
	s_cbranch_execz .LBB251_1010
; %bb.1007:                             ;   in Loop: Header=BB251_542 Depth=1
	v_and_b32_e32 v1, 7, v7
	v_lshrrev_b32_e32 v53, 3, v54
	s_mov_b32 s19, exec_lo
	v_cmpx_gt_u32_e32 8, v54
; %bb.1008:                             ;   in Loop: Header=BB251_542 Depth=1
	v_ffbh_u32_e32 v1, v1
	v_min_u32_e32 v1, 32, v1
	v_subrev_nc_u32_e32 v53, 28, v1
	v_lshlrev_b64 v[54:55], v53, v[7:8]
	v_sub_nc_u32_e32 v53, 29, v1
	v_and_b32_e32 v1, 7, v54
; %bb.1009:                             ;   in Loop: Header=BB251_542 Depth=1
	s_or_b32 exec_lo, exec_lo, s19
	v_lshlrev_b32_e32 v54, 8, v7
	v_lshl_add_u32 v53, v53, 10, 0x2000
	v_lshlrev_b32_e32 v1, 7, v1
	v_and_b32_e32 v54, 0x8000, v54
	v_and_b32_e32 v53, 0xfc00, v53
	v_or3_b32 v53, v54, v53, v1
.LBB251_1010:                           ;   in Loop: Header=BB251_542 Depth=1
	s_or_b32 exec_lo, exec_lo, s18
.LBB251_1011:                           ;   in Loop: Header=BB251_542 Depth=1
	s_or_b32 exec_lo, exec_lo, s17
.LBB251_1012:                           ;   in Loop: Header=BB251_542 Depth=1
	s_or_b32 exec_lo, exec_lo, s13
	v_lshrrev_b16 v1, 8, v7
	s_mov_b32 s13, exec_lo
	v_cmpx_ne_u16_e32 0, v1
	s_cbranch_execz .LBB251_1020
; %bb.1013:                             ;   in Loop: Header=BB251_542 Depth=1
	v_bfrev_b32_e32 v52, 1
	s_mov_b32 s17, exec_lo
	v_cmpx_ne_u16_e32 0x80, v1
	s_cbranch_execz .LBB251_1019
; %bb.1014:                             ;   in Loop: Header=BB251_542 Depth=1
	v_and_b32_sdwa v55, v1, v24 dst_sel:DWORD dst_unused:UNUSED_PAD src0_sel:WORD_0 src1_sel:DWORD
	v_mov_b32_e32 v52, 0x7c010000
	s_mov_b32 s18, exec_lo
	v_cmpx_ne_u32_e32 0x7f, v55
	s_cbranch_execz .LBB251_1018
; %bb.1015:                             ;   in Loop: Header=BB251_542 Depth=1
	v_and_b32_sdwa v52, v1, v25 dst_sel:DWORD dst_unused:UNUSED_PAD src0_sel:WORD_0 src1_sel:DWORD
	v_lshrrev_b32_e32 v54, 3, v55
	s_mov_b32 s19, exec_lo
	v_cmpx_gt_u32_e32 8, v55
; %bb.1016:                             ;   in Loop: Header=BB251_542 Depth=1
	v_ffbh_u32_e32 v52, v52
	v_min_u32_e32 v52, 32, v52
	v_subrev_nc_u32_e32 v54, 28, v52
	v_lshlrev_b64 v[55:56], v54, v[1:2]
	v_sub_nc_u32_e32 v54, 29, v52
	v_and_b32_e32 v52, 7, v55
; %bb.1017:                             ;   in Loop: Header=BB251_542 Depth=1
	s_or_b32 exec_lo, exec_lo, s19
	v_lshlrev_b32_sdwa v1, v26, v1 dst_sel:DWORD dst_unused:UNUSED_PAD src0_sel:DWORD src1_sel:WORD_0
	v_lshl_add_u32 v54, v54, 10, 0x2000
	v_lshlrev_b32_e32 v52, 23, v52
	v_and_or_b32 v1, 0x8000, v1, v54
	v_lshl_or_b32 v52, v1, 16, v52
.LBB251_1018:                           ;   in Loop: Header=BB251_542 Depth=1
	s_or_b32 exec_lo, exec_lo, s18
.LBB251_1019:                           ;   in Loop: Header=BB251_542 Depth=1
	s_or_b32 exec_lo, exec_lo, s17
.LBB251_1020:                           ;   in Loop: Header=BB251_542 Depth=1
	s_or_b32 exec_lo, exec_lo, s13
	v_lshrrev_b32_e32 v1, 16, v7
	v_mov_b32_e32 v54, 0
	v_mov_b32_e32 v55, 0
	v_cmp_ne_u16_sdwa s0, v1, v2 src0_sel:BYTE_0 src1_sel:DWORD
	s_and_saveexec_b32 s13, s0
	s_cbranch_execz .LBB251_1028
; %bb.1021:                             ;   in Loop: Header=BB251_542 Depth=1
	v_cmp_ne_u16_sdwa s0, v1, v23 src0_sel:BYTE_0 src1_sel:DWORD
	v_mov_b32_e32 v55, 0x8000
	s_and_saveexec_b32 s17, s0
	s_cbranch_execz .LBB251_1027
; %bb.1022:                             ;   in Loop: Header=BB251_542 Depth=1
	v_bfe_u32 v57, v7, 16, 7
	v_mov_b32_e32 v55, 0x7c01
	s_mov_b32 s18, exec_lo
	v_cmpx_ne_u32_e32 0x7f, v57
	s_cbranch_execz .LBB251_1026
; %bb.1023:                             ;   in Loop: Header=BB251_542 Depth=1
	v_and_b32_e32 v55, 7, v1
	v_lshrrev_b32_e32 v56, 3, v57
	s_mov_b32 s19, exec_lo
	v_cmpx_gt_u32_e32 8, v57
; %bb.1024:                             ;   in Loop: Header=BB251_542 Depth=1
	v_ffbh_u32_e32 v55, v55
	v_min_u32_e32 v57, 32, v55
	v_subrev_nc_u32_e32 v55, 28, v57
	v_lshlrev_b64 v[55:56], v55, v[1:2]
	v_sub_nc_u32_e32 v56, 29, v57
	v_and_b32_e32 v55, 7, v55
; %bb.1025:                             ;   in Loop: Header=BB251_542 Depth=1
	s_or_b32 exec_lo, exec_lo, s19
	v_lshlrev_b32_e32 v1, 8, v1
	v_lshl_add_u32 v56, v56, 10, 0x2000
	v_lshlrev_b32_e32 v55, 7, v55
	v_and_b32_e32 v1, 0x8000, v1
	v_and_b32_e32 v56, 0xfc00, v56
	v_or3_b32 v55, v1, v56, v55
.LBB251_1026:                           ;   in Loop: Header=BB251_542 Depth=1
	s_or_b32 exec_lo, exec_lo, s18
.LBB251_1027:                           ;   in Loop: Header=BB251_542 Depth=1
	s_or_b32 exec_lo, exec_lo, s17
.LBB251_1028:                           ;   in Loop: Header=BB251_542 Depth=1
	s_or_b32 exec_lo, exec_lo, s13
	s_mov_b32 s13, exec_lo
	v_cmpx_lt_u32_e32 0xffffff, v7
	s_cbranch_execz .LBB251_1036
; %bb.1029:                             ;   in Loop: Header=BB251_542 Depth=1
	v_lshrrev_b32_e32 v1, 24, v7
	v_bfrev_b32_e32 v54, 1
	s_mov_b32 s17, exec_lo
	v_cmpx_ne_u32_e32 0x80, v1
	s_cbranch_execz .LBB251_1035
; %bb.1030:                             ;   in Loop: Header=BB251_542 Depth=1
	v_and_b32_e32 v57, 0x7f, v1
	v_mov_b32_e32 v54, 0x7c010000
	s_mov_b32 s18, exec_lo
	v_cmpx_ne_u32_e32 0x7f, v57
	s_cbranch_execz .LBB251_1034
; %bb.1031:                             ;   in Loop: Header=BB251_542 Depth=1
	v_and_b32_e32 v54, 7, v1
	v_lshrrev_b32_e32 v56, 3, v57
	s_mov_b32 s19, exec_lo
	v_cmpx_gt_u32_e32 8, v57
; %bb.1032:                             ;   in Loop: Header=BB251_542 Depth=1
	v_ffbh_u32_e32 v54, v54
	v_min_u32_e32 v54, 32, v54
	v_subrev_nc_u32_e32 v56, 28, v54
	v_lshlrev_b64 v[57:58], v56, v[1:2]
	v_sub_nc_u32_e32 v56, 29, v54
	v_and_b32_e32 v54, 7, v57
; %bb.1033:                             ;   in Loop: Header=BB251_542 Depth=1
	s_or_b32 exec_lo, exec_lo, s19
	v_lshlrev_b32_e32 v1, 8, v1
	v_lshl_add_u32 v56, v56, 10, 0x2000
	v_lshlrev_b32_e32 v54, 23, v54
	v_and_or_b32 v1, 0x8000, v1, v56
	v_lshl_or_b32 v54, v1, 16, v54
.LBB251_1034:                           ;   in Loop: Header=BB251_542 Depth=1
	s_or_b32 exec_lo, exec_lo, s18
.LBB251_1035:                           ;   in Loop: Header=BB251_542 Depth=1
	s_or_b32 exec_lo, exec_lo, s17
.LBB251_1036:                           ;   in Loop: Header=BB251_542 Depth=1
	s_or_b32 exec_lo, exec_lo, s13
	v_mov_b32_e32 v1, v8
	v_cmp_ne_u16_sdwa s0, v8, v2 src0_sel:BYTE_0 src1_sel:DWORD
	v_mov_b32_e32 v56, 0
	v_mov_b32_e32 v57, 0
	s_and_saveexec_b32 s13, s0
	s_cbranch_execz .LBB251_1044
; %bb.1037:                             ;   in Loop: Header=BB251_542 Depth=1
	v_cmp_ne_u16_sdwa s0, v8, v23 src0_sel:BYTE_0 src1_sel:DWORD
	v_mov_b32_e32 v57, 0x8000
	s_and_saveexec_b32 s17, s0
	s_cbranch_execz .LBB251_1043
; %bb.1038:                             ;   in Loop: Header=BB251_542 Depth=1
	v_and_b32_e32 v59, 0x7f, v8
	v_mov_b32_e32 v57, 0x7c01
	s_mov_b32 s18, exec_lo
	v_cmpx_ne_u32_e32 0x7f, v59
	s_cbranch_execz .LBB251_1042
; %bb.1039:                             ;   in Loop: Header=BB251_542 Depth=1
	v_and_b32_e32 v57, 7, v8
	v_lshrrev_b32_e32 v58, 3, v59
	s_mov_b32 s19, exec_lo
	v_cmpx_gt_u32_e32 8, v59
; %bb.1040:                             ;   in Loop: Header=BB251_542 Depth=1
	v_ffbh_u32_e32 v57, v57
	v_min_u32_e32 v59, 32, v57
	v_subrev_nc_u32_e32 v57, 28, v59
	v_lshlrev_b64 v[57:58], v57, v[1:2]
	v_sub_nc_u32_e32 v58, 29, v59
	v_and_b32_e32 v57, 7, v57
; %bb.1041:                             ;   in Loop: Header=BB251_542 Depth=1
	s_or_b32 exec_lo, exec_lo, s19
	v_lshlrev_b32_e32 v59, 8, v8
	v_lshl_add_u32 v58, v58, 10, 0x2000
	v_lshlrev_b32_e32 v57, 7, v57
	v_and_b32_e32 v59, 0x8000, v59
	v_and_b32_e32 v58, 0xfc00, v58
	v_or3_b32 v57, v59, v58, v57
.LBB251_1042:                           ;   in Loop: Header=BB251_542 Depth=1
	s_or_b32 exec_lo, exec_lo, s18
.LBB251_1043:                           ;   in Loop: Header=BB251_542 Depth=1
	s_or_b32 exec_lo, exec_lo, s17
.LBB251_1044:                           ;   in Loop: Header=BB251_542 Depth=1
	s_or_b32 exec_lo, exec_lo, s13
	v_lshrrev_b16 v1, 8, v1
	v_mov_b32_e32 v58, 0
	s_mov_b32 s13, exec_lo
	v_cmpx_ne_u16_e32 0, v1
	s_cbranch_execz .LBB251_1052
; %bb.1045:                             ;   in Loop: Header=BB251_542 Depth=1
	v_bfrev_b32_e32 v58, 1
	s_mov_b32 s17, exec_lo
	v_cmpx_ne_u16_e32 0x80, v1
	s_cbranch_execz .LBB251_1051
; %bb.1046:                             ;   in Loop: Header=BB251_542 Depth=1
	v_and_b32_sdwa v60, v1, v24 dst_sel:DWORD dst_unused:UNUSED_PAD src0_sel:WORD_0 src1_sel:DWORD
	v_mov_b32_e32 v58, 0x7c010000
	s_mov_b32 s18, exec_lo
	v_cmpx_ne_u32_e32 0x7f, v60
	s_cbranch_execz .LBB251_1050
; %bb.1047:                             ;   in Loop: Header=BB251_542 Depth=1
	v_and_b32_sdwa v58, v1, v25 dst_sel:DWORD dst_unused:UNUSED_PAD src0_sel:WORD_0 src1_sel:DWORD
	v_lshrrev_b32_e32 v59, 3, v60
	s_mov_b32 s19, exec_lo
	v_cmpx_gt_u32_e32 8, v60
; %bb.1048:                             ;   in Loop: Header=BB251_542 Depth=1
	v_ffbh_u32_e32 v58, v58
	v_min_u32_e32 v60, 32, v58
	v_subrev_nc_u32_e32 v58, 28, v60
	v_lshlrev_b64 v[58:59], v58, v[1:2]
	v_sub_nc_u32_e32 v59, 29, v60
	v_and_b32_e32 v58, 7, v58
; %bb.1049:                             ;   in Loop: Header=BB251_542 Depth=1
	s_or_b32 exec_lo, exec_lo, s19
	v_lshlrev_b32_sdwa v1, v26, v1 dst_sel:DWORD dst_unused:UNUSED_PAD src0_sel:DWORD src1_sel:WORD_0
	v_lshl_add_u32 v59, v59, 10, 0x2000
	v_lshlrev_b32_e32 v58, 23, v58
	v_and_or_b32 v1, 0x8000, v1, v59
	v_lshl_or_b32 v58, v1, 16, v58
.LBB251_1050:                           ;   in Loop: Header=BB251_542 Depth=1
	s_or_b32 exec_lo, exec_lo, s18
.LBB251_1051:                           ;   in Loop: Header=BB251_542 Depth=1
	s_or_b32 exec_lo, exec_lo, s17
.LBB251_1052:                           ;   in Loop: Header=BB251_542 Depth=1
	s_or_b32 exec_lo, exec_lo, s13
	v_lshrrev_b32_e32 v1, 16, v8
	v_cmp_ne_u16_sdwa s0, v1, v2 src0_sel:BYTE_0 src1_sel:DWORD
	s_and_saveexec_b32 s13, s0
	s_cbranch_execz .LBB251_1060
; %bb.1053:                             ;   in Loop: Header=BB251_542 Depth=1
	v_cmp_ne_u16_sdwa s0, v1, v23 src0_sel:BYTE_0 src1_sel:DWORD
	v_mov_b32_e32 v56, 0x8000
	s_and_saveexec_b32 s17, s0
	s_cbranch_execz .LBB251_1059
; %bb.1054:                             ;   in Loop: Header=BB251_542 Depth=1
	v_bfe_u32 v60, v8, 16, 7
	v_mov_b32_e32 v56, 0x7c01
	s_mov_b32 s18, exec_lo
	v_cmpx_ne_u32_e32 0x7f, v60
	s_cbranch_execz .LBB251_1058
; %bb.1055:                             ;   in Loop: Header=BB251_542 Depth=1
	v_and_b32_e32 v56, 7, v1
	v_lshrrev_b32_e32 v59, 3, v60
	s_mov_b32 s19, exec_lo
	v_cmpx_gt_u32_e32 8, v60
; %bb.1056:                             ;   in Loop: Header=BB251_542 Depth=1
	v_ffbh_u32_e32 v56, v56
	v_min_u32_e32 v56, 32, v56
	v_subrev_nc_u32_e32 v59, 28, v56
	v_lshlrev_b64 v[60:61], v59, v[1:2]
	v_sub_nc_u32_e32 v59, 29, v56
	v_and_b32_e32 v56, 7, v60
; %bb.1057:                             ;   in Loop: Header=BB251_542 Depth=1
	s_or_b32 exec_lo, exec_lo, s19
	v_lshlrev_b32_e32 v1, 8, v1
	v_lshl_add_u32 v59, v59, 10, 0x2000
	v_lshlrev_b32_e32 v56, 7, v56
	v_and_b32_e32 v1, 0x8000, v1
	v_and_b32_e32 v59, 0xfc00, v59
	v_or3_b32 v56, v1, v59, v56
.LBB251_1058:                           ;   in Loop: Header=BB251_542 Depth=1
	s_or_b32 exec_lo, exec_lo, s18
.LBB251_1059:                           ;   in Loop: Header=BB251_542 Depth=1
	s_or_b32 exec_lo, exec_lo, s17
.LBB251_1060:                           ;   in Loop: Header=BB251_542 Depth=1
	s_or_b32 exec_lo, exec_lo, s13
	v_cmp_lt_u64_e64 s0, s[2:3], v[7:8]
	v_mov_b32_e32 v7, 0
	s_and_saveexec_b32 s13, s0
	s_cbranch_execz .LBB251_1068
; %bb.1061:                             ;   in Loop: Header=BB251_542 Depth=1
	v_lshrrev_b32_e32 v1, 24, v8
	v_bfrev_b32_e32 v7, 1
	s_mov_b32 s17, exec_lo
	v_cmpx_ne_u32_e32 0x80, v1
	s_cbranch_execz .LBB251_1067
; %bb.1062:                             ;   in Loop: Header=BB251_542 Depth=1
	v_and_b32_e32 v59, 0x7f, v1
	v_mov_b32_e32 v7, 0x7c010000
	s_mov_b32 s18, exec_lo
	v_cmpx_ne_u32_e32 0x7f, v59
	s_cbranch_execz .LBB251_1066
; %bb.1063:                             ;   in Loop: Header=BB251_542 Depth=1
	v_and_b32_e32 v7, 7, v1
	v_lshrrev_b32_e32 v8, 3, v59
	s_mov_b32 s19, exec_lo
	v_cmpx_gt_u32_e32 8, v59
; %bb.1064:                             ;   in Loop: Header=BB251_542 Depth=1
	v_ffbh_u32_e32 v7, v7
	v_min_u32_e32 v59, 32, v7
	v_subrev_nc_u32_e32 v7, 28, v59
	v_lshlrev_b64 v[7:8], v7, v[1:2]
	v_sub_nc_u32_e32 v8, 29, v59
	v_and_b32_e32 v7, 7, v7
; %bb.1065:                             ;   in Loop: Header=BB251_542 Depth=1
	s_or_b32 exec_lo, exec_lo, s19
	v_lshlrev_b32_e32 v1, 8, v1
	v_lshl_add_u32 v8, v8, 10, 0x2000
	v_lshlrev_b32_e32 v7, 23, v7
	v_and_or_b32 v1, 0x8000, v1, v8
	v_lshl_or_b32 v7, v1, 16, v7
.LBB251_1066:                           ;   in Loop: Header=BB251_542 Depth=1
	s_or_b32 exec_lo, exec_lo, s18
.LBB251_1067:                           ;   in Loop: Header=BB251_542 Depth=1
	s_or_b32 exec_lo, exec_lo, s17
.LBB251_1068:                           ;   in Loop: Header=BB251_542 Depth=1
	s_or_b32 exec_lo, exec_lo, s13
	v_or_b32_e32 v1, v54, v55
	s_waitcnt vmcnt(0)
	v_fma_mixlo_f16 v8, v51, v54, 0 op_sel:[0,1,0] op_sel_hi:[0,1,0]
	v_or_b32_e32 v53, v52, v53
	v_fma_mixlo_f16 v54, v51, v52, 0 op_sel:[0,1,0] op_sel_hi:[0,1,0]
	v_or_b32_e32 v55, v58, v57
	v_fma_mixlo_f16 v1, v51, v1, 0 op_sel_hi:[0,1,0]
	v_or_b32_e32 v56, v7, v56
	v_lshlrev_b32_e32 v52, 16, v8
	v_lshlrev_b32_e32 v57, 16, v54
	v_fma_mixlo_f16 v8, v51, v53, 0 op_sel_hi:[0,1,0]
	v_and_b32_e32 v54, 0xffff, v1
	v_fma_mixlo_f16 v1, v51, v58, 0 op_sel:[0,1,0] op_sel_hi:[0,1,0]
	v_fma_mixlo_f16 v53, v51, v55, 0 op_sel_hi:[0,1,0]
	v_fma_mixlo_f16 v7, v51, v7, 0 op_sel:[0,1,0] op_sel_hi:[0,1,0]
	v_fma_mixlo_f16 v51, v51, v56, 0 op_sel_hi:[0,1,0]
	v_and_b32_e32 v59, 0xffff, v8
	v_lshlrev_b32_e32 v55, 16, v1
	v_and_b32_e32 v58, 0xffff, v53
	v_lshlrev_b32_e32 v53, 16, v7
	v_and_b32_e32 v56, 0xffff, v51
	v_or_b32_e32 v1, v52, v54
	v_or_b32_e32 v51, v57, v59
	;; [unrolled: 1-line block ×4, first 2 shown]
	s_and_saveexec_b32 s0, vcc_lo
	s_cbranch_execz .LBB251_541
; %bb.1069:                             ;   in Loop: Header=BB251_542 Depth=1
	v_cmp_gt_i32_e32 vcc_lo, s11, v28
	v_cndmask_b32_e32 v1, 0, v59, vcc_lo
	v_cmp_gt_i32_e32 vcc_lo, s11, v34
	v_cndmask_b32_e32 v7, 0, v57, vcc_lo
	v_cmp_gt_i32_e32 vcc_lo, s11, v33
	v_or_b32_e32 v51, v7, v1
	v_cndmask_b32_e32 v8, 0, v54, vcc_lo
	v_cmp_gt_i32_e32 vcc_lo, s11, v32
	v_cndmask_b32_e32 v28, 0, v52, vcc_lo
	v_cmp_gt_i32_e32 vcc_lo, s11, v31
	v_or_b32_e32 v1, v28, v8
	;; [unrolled: 5-line block ×3, first 2 shown]
	v_cndmask_b32_e32 v29, 0, v56, vcc_lo
	v_cmp_gt_i32_e32 vcc_lo, s11, v21
	v_cndmask_b32_e32 v32, 0, v53, vcc_lo
	v_or_b32_e32 v7, v32, v29
	s_branch .LBB251_541
.LBB251_1070:
	s_or_b32 exec_lo, exec_lo, s12
.LBB251_1071:
	s_or_b32 exec_lo, exec_lo, s1
	v_lshl_add_u32 v2, v13, 2, 0x220
	v_and_b32_e32 v3, 0x3c0, v0
	s_mov_b32 s0, exec_lo
	s_barrier
	v_lshl_add_u32 v1, v11, 10, v2
	buffer_gl0_inv
	v_cmpx_eq_u32_e32 64, v3
	s_cbranch_execz .LBB251_1073
; %bb.1072:
	v_add_nc_u32_e32 v3, 0xfffff800, v1
	v_add_nc_u32_e32 v4, 0xfffff880, v1
	;; [unrolled: 1-line block ×5, first 2 shown]
	ds_write_b32 v3, v20
	ds_write_b32 v4, v19
	;; [unrolled: 1-line block ×3, first 2 shown]
	v_add_nc_u32_e32 v3, 0xfffff980, v1
	v_add_nc_u32_e32 v4, 0xfffffa00, v1
	v_add_nc_u32_e32 v5, 0xfffffa80, v1
	ds_write_b32 v3, v17
	ds_write_b32 v4, v16
	;; [unrolled: 1-line block ×5, first 2 shown]
.LBB251_1073:
	s_or_b32 exec_lo, exec_lo, s0
	s_mov_b32 s0, exec_lo
	s_waitcnt lgkmcnt(0)
	s_barrier
	buffer_gl0_inv
	v_cmpx_gt_u32_e32 64, v0
	s_cbranch_execz .LBB251_1075
; %bb.1074:
	ds_read2_b32 v[3:4], v1 offset1:32
	ds_read2_b32 v[5:6], v1 offset0:64 offset1:96
	ds_read2_b32 v[7:8], v1 offset0:128 offset1:160
	;; [unrolled: 1-line block ×3, first 2 shown]
	s_waitcnt lgkmcnt(3)
	v_add_f32_e32 v20, v20, v3
	v_add_f32_e32 v19, v19, v4
	s_waitcnt lgkmcnt(2)
	v_add_f32_e32 v18, v18, v5
	v_add_f32_e32 v17, v17, v6
	;; [unrolled: 3-line block ×4, first 2 shown]
.LBB251_1075:
	s_or_b32 exec_lo, exec_lo, s0
	v_and_b32_e32 v3, 0x3e0, v0
	s_mov_b32 s0, exec_lo
	s_barrier
	buffer_gl0_inv
	v_cmpx_eq_u32_e32 32, v3
	s_cbranch_execz .LBB251_1077
; %bb.1076:
	ds_write2_b32 v2, v20, v19 offset1:32
	ds_write2_b32 v2, v18, v17 offset0:64 offset1:96
	ds_write2_b32 v2, v16, v15 offset0:128 offset1:160
	;; [unrolled: 1-line block ×3, first 2 shown]
.LBB251_1077:
	s_or_b32 exec_lo, exec_lo, s0
	v_cmp_gt_u32_e32 vcc_lo, 32, v0
	s_waitcnt lgkmcnt(0)
	s_barrier
	buffer_gl0_inv
	s_and_saveexec_b32 s0, vcc_lo
	s_cbranch_execz .LBB251_1079
; %bb.1078:
	ds_read2_b32 v[2:3], v1 offset1:32
	ds_read2_b32 v[4:5], v1 offset0:64 offset1:96
	ds_read2_b32 v[6:7], v1 offset0:128 offset1:160
	;; [unrolled: 1-line block ×3, first 2 shown]
	s_waitcnt lgkmcnt(3)
	v_add_f32_e32 v20, v20, v2
	v_add_f32_e32 v19, v19, v3
	s_waitcnt lgkmcnt(2)
	v_add_f32_e32 v18, v18, v4
	v_add_f32_e32 v17, v17, v5
	;; [unrolled: 3-line block ×4, first 2 shown]
.LBB251_1079:
	s_or_b32 exec_lo, exec_lo, s0
	s_barrier
	buffer_gl0_inv
	s_and_saveexec_b32 s0, vcc_lo
	s_cbranch_execz .LBB251_1081
; %bb.1080:
	s_mul_i32 s0, s10, s7
	s_mul_i32 s2, s7, s6
	;; [unrolled: 1-line block ×3, first 2 shown]
	v_lshlrev_b32_e32 v0, 1, v0
	s_lshl_b32 s0, s0, 8
	;;#ASMSTART
	v_cvt_f16_f32 v1, v20;

	;;#ASMEND
	s_ashr_i32 s1, s0, 31
	s_lshl_b64 s[0:1], s[0:1], 1
	s_add_u32 s4, s20, s0
	s_addc_u32 s5, s21, s1
	s_ashr_i32 s3, s2, 31
	s_lshl_b64 s[0:1], s[2:3], 1
	s_add_u32 s2, s4, s0
	s_addc_u32 s3, s5, s1
	s_lshl_b32 s0, s8, 8
	s_ashr_i32 s1, s0, 31
	s_lshl_b64 s[0:1], s[0:1], 1
	s_add_u32 s0, s2, s0
	s_addc_u32 s1, s3, s1
	global_store_short v0, v1, s[0:1]
	;;#ASMSTART
	v_cvt_f16_f32 v1, v19;

	;;#ASMEND
	global_store_short v0, v1, s[0:1] offset:64
	;;#ASMSTART
	v_cvt_f16_f32 v1, v18;

	;;#ASMEND
	global_store_short v0, v1, s[0:1] offset:128
	;; [unrolled: 5-line block ×7, first 2 shown]
.LBB251_1081:
	s_endpgm
	.section	.rodata,"a",@progbits
	.p2align	6, 0x0
	.amdhsa_kernel _ZN4vllm25paged_attention_v1_kernelIthLi256ELi8ELi128ELNS_18Fp8KVCacheDataTypeE1ELb0EEEvPT_PKS2_PKT0_S8_ifPKiSA_iPKfiiiSC_SC_iiiii
		.amdhsa_group_segment_fixed_size 544
		.amdhsa_private_segment_fixed_size 0
		.amdhsa_kernarg_size 384
		.amdhsa_user_sgpr_count 6
		.amdhsa_user_sgpr_private_segment_buffer 1
		.amdhsa_user_sgpr_dispatch_ptr 0
		.amdhsa_user_sgpr_queue_ptr 0
		.amdhsa_user_sgpr_kernarg_segment_ptr 1
		.amdhsa_user_sgpr_dispatch_id 0
		.amdhsa_user_sgpr_flat_scratch_init 0
		.amdhsa_user_sgpr_private_segment_size 0
		.amdhsa_wavefront_size32 1
		.amdhsa_uses_dynamic_stack 0
		.amdhsa_system_sgpr_private_segment_wavefront_offset 0
		.amdhsa_system_sgpr_workgroup_id_x 1
		.amdhsa_system_sgpr_workgroup_id_y 1
		.amdhsa_system_sgpr_workgroup_id_z 1
		.amdhsa_system_sgpr_workgroup_info 0
		.amdhsa_system_vgpr_workitem_id 0
		.amdhsa_next_free_vgpr 128
		.amdhsa_next_free_sgpr 35
		.amdhsa_reserve_vcc 1
		.amdhsa_reserve_flat_scratch 0
		.amdhsa_float_round_mode_32 0
		.amdhsa_float_round_mode_16_64 0
		.amdhsa_float_denorm_mode_32 3
		.amdhsa_float_denorm_mode_16_64 3
		.amdhsa_dx10_clamp 1
		.amdhsa_ieee_mode 1
		.amdhsa_fp16_overflow 0
		.amdhsa_workgroup_processor_mode 1
		.amdhsa_memory_ordered 1
		.amdhsa_forward_progress 1
		.amdhsa_shared_vgpr_count 0
		.amdhsa_exception_fp_ieee_invalid_op 0
		.amdhsa_exception_fp_denorm_src 0
		.amdhsa_exception_fp_ieee_div_zero 0
		.amdhsa_exception_fp_ieee_overflow 0
		.amdhsa_exception_fp_ieee_underflow 0
		.amdhsa_exception_fp_ieee_inexact 0
		.amdhsa_exception_int_div_zero 0
	.end_amdhsa_kernel
	.section	.text._ZN4vllm25paged_attention_v1_kernelIthLi256ELi8ELi128ELNS_18Fp8KVCacheDataTypeE1ELb0EEEvPT_PKS2_PKT0_S8_ifPKiSA_iPKfiiiSC_SC_iiiii,"axG",@progbits,_ZN4vllm25paged_attention_v1_kernelIthLi256ELi8ELi128ELNS_18Fp8KVCacheDataTypeE1ELb0EEEvPT_PKS2_PKT0_S8_ifPKiSA_iPKfiiiSC_SC_iiiii,comdat
.Lfunc_end251:
	.size	_ZN4vllm25paged_attention_v1_kernelIthLi256ELi8ELi128ELNS_18Fp8KVCacheDataTypeE1ELb0EEEvPT_PKS2_PKT0_S8_ifPKiSA_iPKfiiiSC_SC_iiiii, .Lfunc_end251-_ZN4vllm25paged_attention_v1_kernelIthLi256ELi8ELi128ELNS_18Fp8KVCacheDataTypeE1ELb0EEEvPT_PKS2_PKT0_S8_ifPKiSA_iPKfiiiSC_SC_iiiii
                                        ; -- End function
	.set _ZN4vllm25paged_attention_v1_kernelIthLi256ELi8ELi128ELNS_18Fp8KVCacheDataTypeE1ELb0EEEvPT_PKS2_PKT0_S8_ifPKiSA_iPKfiiiSC_SC_iiiii.num_vgpr, 128
	.set _ZN4vllm25paged_attention_v1_kernelIthLi256ELi8ELi128ELNS_18Fp8KVCacheDataTypeE1ELb0EEEvPT_PKS2_PKT0_S8_ifPKiSA_iPKfiiiSC_SC_iiiii.num_agpr, 0
	.set _ZN4vllm25paged_attention_v1_kernelIthLi256ELi8ELi128ELNS_18Fp8KVCacheDataTypeE1ELb0EEEvPT_PKS2_PKT0_S8_ifPKiSA_iPKfiiiSC_SC_iiiii.numbered_sgpr, 35
	.set _ZN4vllm25paged_attention_v1_kernelIthLi256ELi8ELi128ELNS_18Fp8KVCacheDataTypeE1ELb0EEEvPT_PKS2_PKT0_S8_ifPKiSA_iPKfiiiSC_SC_iiiii.num_named_barrier, 0
	.set _ZN4vllm25paged_attention_v1_kernelIthLi256ELi8ELi128ELNS_18Fp8KVCacheDataTypeE1ELb0EEEvPT_PKS2_PKT0_S8_ifPKiSA_iPKfiiiSC_SC_iiiii.private_seg_size, 0
	.set _ZN4vllm25paged_attention_v1_kernelIthLi256ELi8ELi128ELNS_18Fp8KVCacheDataTypeE1ELb0EEEvPT_PKS2_PKT0_S8_ifPKiSA_iPKfiiiSC_SC_iiiii.uses_vcc, 1
	.set _ZN4vllm25paged_attention_v1_kernelIthLi256ELi8ELi128ELNS_18Fp8KVCacheDataTypeE1ELb0EEEvPT_PKS2_PKT0_S8_ifPKiSA_iPKfiiiSC_SC_iiiii.uses_flat_scratch, 0
	.set _ZN4vllm25paged_attention_v1_kernelIthLi256ELi8ELi128ELNS_18Fp8KVCacheDataTypeE1ELb0EEEvPT_PKS2_PKT0_S8_ifPKiSA_iPKfiiiSC_SC_iiiii.has_dyn_sized_stack, 0
	.set _ZN4vllm25paged_attention_v1_kernelIthLi256ELi8ELi128ELNS_18Fp8KVCacheDataTypeE1ELb0EEEvPT_PKS2_PKT0_S8_ifPKiSA_iPKfiiiSC_SC_iiiii.has_recursion, 0
	.set _ZN4vllm25paged_attention_v1_kernelIthLi256ELi8ELi128ELNS_18Fp8KVCacheDataTypeE1ELb0EEEvPT_PKS2_PKT0_S8_ifPKiSA_iPKfiiiSC_SC_iiiii.has_indirect_call, 0
	.section	.AMDGPU.csdata,"",@progbits
; Kernel info:
; codeLenInByte = 36056
; TotalNumSgprs: 37
; NumVgprs: 128
; ScratchSize: 0
; MemoryBound: 0
; FloatMode: 240
; IeeeMode: 1
; LDSByteSize: 544 bytes/workgroup (compile time only)
; SGPRBlocks: 0
; VGPRBlocks: 15
; NumSGPRsForWavesPerEU: 37
; NumVGPRsForWavesPerEU: 128
; Occupancy: 8
; WaveLimiterHint : 1
; COMPUTE_PGM_RSRC2:SCRATCH_EN: 0
; COMPUTE_PGM_RSRC2:USER_SGPR: 6
; COMPUTE_PGM_RSRC2:TRAP_HANDLER: 0
; COMPUTE_PGM_RSRC2:TGID_X_EN: 1
; COMPUTE_PGM_RSRC2:TGID_Y_EN: 1
; COMPUTE_PGM_RSRC2:TGID_Z_EN: 1
; COMPUTE_PGM_RSRC2:TIDIG_COMP_CNT: 0
	.section	.text._ZN4vllm25paged_attention_v1_kernelIthLi32ELi16ELi128ELNS_18Fp8KVCacheDataTypeE1ELb1EEEvPT_PKS2_PKT0_S8_ifPKiSA_iPKfiiiSC_SC_iiiii,"axG",@progbits,_ZN4vllm25paged_attention_v1_kernelIthLi32ELi16ELi128ELNS_18Fp8KVCacheDataTypeE1ELb1EEEvPT_PKS2_PKT0_S8_ifPKiSA_iPKfiiiSC_SC_iiiii,comdat
	.protected	_ZN4vllm25paged_attention_v1_kernelIthLi32ELi16ELi128ELNS_18Fp8KVCacheDataTypeE1ELb1EEEvPT_PKS2_PKT0_S8_ifPKiSA_iPKfiiiSC_SC_iiiii ; -- Begin function _ZN4vllm25paged_attention_v1_kernelIthLi32ELi16ELi128ELNS_18Fp8KVCacheDataTypeE1ELb1EEEvPT_PKS2_PKT0_S8_ifPKiSA_iPKfiiiSC_SC_iiiii
	.globl	_ZN4vllm25paged_attention_v1_kernelIthLi32ELi16ELi128ELNS_18Fp8KVCacheDataTypeE1ELb1EEEvPT_PKS2_PKT0_S8_ifPKiSA_iPKfiiiSC_SC_iiiii
	.p2align	8
	.type	_ZN4vllm25paged_attention_v1_kernelIthLi32ELi16ELi128ELNS_18Fp8KVCacheDataTypeE1ELb1EEEvPT_PKS2_PKT0_S8_ifPKiSA_iPKfiiiSC_SC_iiiii,@function
_ZN4vllm25paged_attention_v1_kernelIthLi32ELi16ELi128ELNS_18Fp8KVCacheDataTypeE1ELb1EEEvPT_PKS2_PKT0_S8_ifPKiSA_iPKfiiiSC_SC_iiiii: ; @_ZN4vllm25paged_attention_v1_kernelIthLi32ELi16ELi128ELNS_18Fp8KVCacheDataTypeE1ELb1EEEvPT_PKS2_PKT0_S8_ifPKiSA_iPKfiiiSC_SC_iiiii
; %bb.0:
	s_clause 0x2
	s_load_dword s9, s[4:5], 0x80
	s_load_dwordx2 s[0:1], s[4:5], 0x30
	s_load_dwordx2 s[34:35], s[4:5], 0x20
	s_mov_b32 s10, s7
	s_ashr_i32 s11, s7, 31
	s_mov_b32 s36, 0
	s_lshl_b64 s[2:3], s[10:11], 2
	s_waitcnt lgkmcnt(0)
	s_add_u32 s0, s0, s2
	s_addc_u32 s1, s1, s3
	s_abs_i32 s2, s34
	s_abs_i32 s11, s9
	v_cvt_f32_u32_e32 v1, s2
	s_sub_i32 s7, 0, s2
	v_rcp_iflag_f32_e32 v1, v1
	v_mul_f32_e32 v1, 0x4f7ffffe, v1
	v_cvt_u32_f32_e32 v1, v1
	v_readfirstlane_b32 s3, v1
	s_mul_i32 s7, s7, s3
	s_mul_hi_u32 s7, s3, s7
	s_add_i32 s3, s3, s7
	s_xor_b32 s7, s9, s34
	s_mul_hi_u32 s3, s11, s3
	s_ashr_i32 s7, s7, 31
	s_mul_i32 s12, s3, s2
	s_sub_i32 s11, s11, s12
	s_add_i32 s12, s3, 1
	s_sub_i32 s13, s11, s2
	s_cmp_ge_u32 s11, s2
	s_cselect_b32 s3, s12, s3
	s_cselect_b32 s11, s13, s11
	s_add_i32 s12, s3, 1
	s_cmp_ge_u32 s11, s2
	s_cselect_b32 s2, s12, s3
	s_xor_b32 s2, s2, s7
	s_sub_i32 s14, s2, s7
	s_load_dwordx2 s[2:3], s[4:5], 0x40
	s_abs_i32 s11, s14
	v_cvt_f32_u32_e32 v1, s11
	s_sub_i32 s12, 0, s11
	v_rcp_iflag_f32_e32 v1, v1
	v_mul_f32_e32 v1, 0x4f7ffffe, v1
	v_cvt_u32_f32_e32 v1, v1
	v_readfirstlane_b32 s7, v1
	s_mul_i32 s12, s12, s7
	s_mul_hi_u32 s13, s7, s12
	s_abs_i32 s12, s6
	s_add_i32 s7, s7, s13
	s_waitcnt lgkmcnt(0)
	s_cmp_eq_u64 s[2:3], 0
	s_mul_hi_u32 s13, s12, s7
	s_cbranch_scc1 .LBB252_2
; %bb.1:
	s_ashr_i32 s7, s6, 31
	s_lshl_b64 s[16:17], s[6:7], 2
	s_add_u32 s2, s2, s16
	s_addc_u32 s3, s3, s17
	s_load_dword s36, s[2:3], 0x0
.LBB252_2:
	s_load_dword s33, s[0:1], 0x0
	s_load_dwordx4 s[16:19], s[4:5], 0x48
	v_lshrrev_b32_e32 v11, 1, v0
	v_and_b32_e32 v12, 1, v0
	v_lshlrev_b32_e32 v10, 3, v0
	s_ashr_i32 s0, s6, 31
	s_ashr_i32 s1, s14, 31
	s_lshl_b32 s24, s6, 5
	s_mov_b32 s2, exec_lo
	v_cmpx_gt_u32_e32 8, v0
	s_cbranch_execz .LBB252_4
; %bb.3:
	s_load_dwordx2 s[14:15], s[4:5], 0x8
	s_waitcnt lgkmcnt(0)
	s_mul_i32 s20, s16, s10
	v_lshlrev_b32_e32 v3, 3, v11
	s_ashr_i32 s21, s20, 31
	s_lshl_b64 s[20:21], s[20:21], 1
	v_lshl_add_u32 v3, v12, 5, v3
	s_add_u32 s3, s14, s20
	s_addc_u32 s7, s15, s21
	s_ashr_i32 s25, s24, 31
	s_lshl_b64 s[14:15], s[24:25], 1
	s_add_u32 s14, s3, s14
	s_addc_u32 s15, s7, s15
	global_load_dwordx2 v[1:2], v10, s[14:15]
	s_waitcnt vmcnt(0)
	ds_write_b64 v3, v[1:2]
.LBB252_4:
	s_or_b32 exec_lo, exec_lo, s2
	s_load_dwordx4 s[20:23], s[4:5], 0x68
	s_mul_i32 s2, s13, s11
	s_xor_b32 s1, s0, s1
	s_sub_i32 s0, s12, s2
	s_add_i32 s2, s13, 1
	s_sub_i32 s3, s0, s11
	s_cmp_ge_u32 s0, s11
	s_mov_b32 s12, -1
	s_cselect_b32 s2, s2, s13
	s_cselect_b32 s0, s3, s0
	s_add_i32 s3, s2, 1
	s_cmp_ge_u32 s0, s11
	s_load_dword s0, s[4:5], 0x78
	s_cselect_b32 s2, s3, s2
	s_waitcnt lgkmcnt(0)
	s_add_i32 s7, s33, -1
	s_xor_b32 s2, s2, s1
	s_abs_i32 s3, s7
	s_sub_i32 s1, s2, s1
	s_barrier
	s_abs_i32 s16, s23
	buffer_gl0_inv
	v_cvt_f32_u32_e32 v1, s16
	s_sub_i32 s2, 0, s16
                                        ; implicit-def: $sgpr25
	v_rcp_iflag_f32_e32 v1, v1
	v_mul_f32_e32 v1, 0x4f7ffffe, v1
	v_cvt_u32_f32_e32 v1, v1
	v_readfirstlane_b32 s19, v1
	s_mul_i32 s2, s2, s19
	s_mul_hi_u32 s2, s19, s2
	s_add_i32 s19, s19, s2
	s_cmp_lt_i32 s0, 0
	s_mul_hi_u32 s2, s3, s19
	s_cbranch_scc0 .LBB252_6
; %bb.5:
	s_mul_i32 s11, s20, s34
	s_mov_b32 s12, 0
	s_add_i32 s11, s1, s11
	s_mul_i32 s11, s11, s0
	s_sub_i32 s25, 1, s11
.LBB252_6:
	s_load_dwordx2 s[26:27], s[4:5], 0x28
	s_ashr_i32 s11, s7, 31
	s_andn2_b32 vcc_lo, exec_lo, s12
	s_ashr_i32 s23, s23, 31
	s_cbranch_vccnz .LBB252_8
; %bb.7:
	s_mul_i32 s7, s9, s20
	s_add_i32 s6, s7, s6
	s_mul_i32 s0, s6, s0
	s_add_i32 s25, s0, 1
.LBB252_8:
	s_clause 0x2
	s_load_dword s0, s[4:5], 0x38
	s_load_dwordx2 s[6:7], s[4:5], 0x0
	s_load_dwordx2 s[30:31], s[4:5], 0x18
	s_xor_b32 s34, s11, s23
	s_mul_i32 s11, s2, s16
	s_add_i32 s20, s2, 1
	s_sub_i32 s3, s3, s11
	s_clause 0x1
	s_load_dword s11, s[4:5], 0x88
	s_load_dwordx4 s[12:15], s[4:5], 0x58
	v_lshrrev_b32_e32 v13, 5, v0
	v_mov_b32_e32 v19, 0xff7fffff
	v_lshrrev_b32_e32 v15, 3, v0
	v_mbcnt_lo_u32_b32 v17, -1, 0
	s_mul_i32 s18, s1, s18
	v_lshlrev_b32_e32 v14, 4, v13
	s_waitcnt lgkmcnt(0)
	s_mul_i32 s28, s0, s10
	s_sub_i32 s0, s3, s16
	s_ashr_i32 s29, s28, 31
	s_cmp_ge_u32 s3, s16
	s_cselect_b32 s2, s20, s2
	s_cselect_b32 s0, s0, s3
	s_add_i32 s3, s2, 1
	s_cmp_ge_u32 s0, s16
	s_cselect_b32 s0, s3, s2
	s_add_i32 s2, s33, 15
	s_ashr_i32 s3, s2, 31
	s_lshr_b32 s3, s3, 28
	s_add_i32 s2, s2, s3
	s_ashr_i32 s20, s2, 4
	s_xor_b32 s2, s0, s34
	v_cmp_gt_i32_e64 s0, s20, v13
	s_sub_i32 s34, s2, s34
	s_and_saveexec_b32 s37, s0
	s_cbranch_execz .LBB252_148
; %bb.9:
	s_load_dwordx2 s[2:3], s[4:5], 0x10
	s_sub_i32 s4, s34, s21
	s_ashr_i32 s1, s18, 31
	v_bfe_u32 v16, v0, 1, 4
	v_and_b32_e32 v3, 0x7c, v15
	v_lshlrev_b32_e32 v5, 2, v12
	v_mov_b32_e32 v2, 0
	v_lshlrev_b32_e32 v18, 5, v12
	v_lshlrev_b32_e32 v4, 2, v16
	v_subrev_nc_u32_e32 v6, s33, v16
	v_lshlrev_b32_e32 v7, 4, v16
	v_lshlrev_b32_e32 v20, 4, v13
	v_mov_b32_e32 v21, 0xff7fffff
	v_lshl_or_b32 v4, v13, 6, v4
	v_add_nc_u32_e32 v26, 1, v6
	v_mov_b32_e32 v22, 0x80
	v_mov_b32_e32 v23, 0x7f
	;; [unrolled: 1-line block ×3, first 2 shown]
	v_add_nc_u32_e32 v27, 0x60, v4
	v_mov_b32_e32 v25, 8
	s_waitcnt lgkmcnt(0)
	s_add_u32 s38, s2, s18
	s_addc_u32 s39, s3, s1
	s_abs_i32 s5, s22
	v_add_co_u32 v6, s38, s38, v7
	v_cvt_f32_u32_e32 v1, s5
	s_sub_i32 s2, 0, s5
	v_add_co_ci_u32_e64 v7, null, s39, 0, s38
	v_cmp_neq_f32_e64 s1, s36, 0
	v_rcp_iflag_f32_e32 v1, v1
	v_mov_b32_e32 v19, 0xff7fffff
	v_mov_b32_e32 v29, v13
	s_mov_b32 s38, 0
	s_mov_b32 s39, s17
	v_cmp_eq_u32_e32 vcc_lo, 0, v12
	v_mul_f32_e32 v1, 0x4f7ffffe, v1
	v_cvt_u32_f32_e32 v1, v1
	v_mul_lo_u32 v4, s2, v1
	s_lshl_b64 s[2:3], s[28:29], 2
	s_add_u32 s2, s26, s2
	s_addc_u32 s3, s27, s3
	v_add_co_u32 v3, s2, s2, v3
	v_mul_hi_u32 v8, v1, v4
	v_add_co_ci_u32_e64 v4, null, s3, 0, s2
	v_add_co_u32 v5, s2, v6, v5
	v_add_co_ci_u32_e64 v6, null, 0, v7, s2
	v_add_nc_u32_e32 v28, v1, v8
	s_branch .LBB252_12
.LBB252_10:                             ;   in Loop: Header=BB252_12 Depth=1
	s_or_b32 exec_lo, exec_lo, s40
.LBB252_11:                             ;   in Loop: Header=BB252_12 Depth=1
	s_or_b32 exec_lo, exec_lo, s3
	v_add_nc_u32_e32 v29, 4, v29
	v_add_co_u32 v3, s3, v3, 16
	v_add_co_ci_u32_e64 v4, null, 0, v4, s3
	v_cmp_le_i32_e64 s2, s20, v29
	v_add_nc_u32_e32 v20, 64, v20
	v_add_nc_u32_e32 v27, 0x100, v27
	s_or_b32 s38, s2, s38
	s_andn2_b32 exec_lo, exec_lo, s38
	s_cbranch_execz .LBB252_147
.LBB252_12:                             ; =>This Inner Loop Header: Depth=1
	v_mul_hi_u32 v1, v20, s19
	s_waitcnt lgkmcnt(0)
	v_mul_lo_u32 v7, v1, s16
	v_add_nc_u32_e32 v8, 1, v1
	v_sub_nc_u32_e32 v7, v20, v7
	v_subrev_nc_u32_e32 v9, s16, v7
	v_cmp_le_u32_e64 s2, s16, v7
	v_cndmask_b32_e64 v1, v1, v8, s2
	v_cndmask_b32_e64 v7, v7, v9, s2
	v_add_nc_u32_e32 v8, 1, v1
	v_cmp_le_u32_e64 s2, s16, v7
	v_cndmask_b32_e64 v1, v1, v8, s2
	v_xor_b32_e32 v1, s23, v1
	v_subrev_nc_u32_e32 v1, s23, v1
	v_add_nc_u32_e32 v7, s25, v1
	v_cmp_ge_i32_e64 s3, s4, v1
	v_sub_nc_u32_e32 v8, 0, v7
	v_max_i32_e32 v8, v7, v8
	v_ashrrev_i32_e32 v7, 31, v7
	v_mul_hi_u32 v9, v8, v28
	v_mul_lo_u32 v9, v9, s5
	v_sub_nc_u32_e32 v8, v8, v9
	v_subrev_nc_u32_e32 v9, s5, v8
	v_cmp_le_u32_e64 s2, s5, v8
	v_cndmask_b32_e64 v8, v8, v9, s2
	v_subrev_nc_u32_e32 v9, s5, v8
	v_cmp_le_u32_e64 s2, s5, v8
	v_cndmask_b32_e64 v8, v8, v9, s2
	v_xor_b32_e32 v8, v8, v7
	v_sub_nc_u32_e32 v7, v8, v7
	v_cmp_ne_u32_e64 s2, 0, v7
	s_and_b32 s2, s2, s3
	s_and_saveexec_b32 s3, s2
	s_xor_b32 s2, exec_lo, s3
	s_cbranch_execz .LBB252_16
; %bb.13:                               ;   in Loop: Header=BB252_12 Depth=1
	s_and_saveexec_b32 s3, vcc_lo
; %bb.14:                               ;   in Loop: Header=BB252_12 Depth=1
	ds_write_b32 v27, v21
; %bb.15:                               ;   in Loop: Header=BB252_12 Depth=1
	s_or_b32 exec_lo, exec_lo, s3
.LBB252_16:                             ;   in Loop: Header=BB252_12 Depth=1
	s_andn2_saveexec_b32 s3, s2
	s_cbranch_execz .LBB252_11
; %bb.17:                               ;   in Loop: Header=BB252_12 Depth=1
	global_load_dword v1, v[3:4], off
	v_mov_b32_e32 v31, 0
	v_mov_b32_e32 v32, 0
	global_load_dword v30, v31, s[12:13]
	s_waitcnt vmcnt(1)
	v_mad_i64_i32 v[7:8], null, v1, s39, v[5:6]
	global_load_dword v9, v[7:8], off
	s_waitcnt vmcnt(0)
	v_cmp_ne_u16_sdwa s2, v9, v2 src0_sel:BYTE_0 src1_sel:DWORD
	s_and_saveexec_b32 s40, s2
	s_cbranch_execz .LBB252_25
; %bb.18:                               ;   in Loop: Header=BB252_12 Depth=1
	v_cmp_ne_u16_sdwa s2, v9, v22 src0_sel:BYTE_0 src1_sel:DWORD
	v_mov_b32_e32 v32, 0x8000
	s_and_saveexec_b32 s41, s2
	s_cbranch_execz .LBB252_24
; %bb.19:                               ;   in Loop: Header=BB252_12 Depth=1
	v_and_b32_e32 v33, 0x7f, v9
	v_mov_b32_e32 v32, 0x7c01
	s_mov_b32 s42, exec_lo
	v_cmpx_ne_u32_e32 0x7f, v33
	s_cbranch_execz .LBB252_23
; %bb.20:                               ;   in Loop: Header=BB252_12 Depth=1
	v_and_b32_e32 v1, 7, v9
	v_lshrrev_b32_e32 v32, 3, v33
	s_mov_b32 s43, exec_lo
	v_cmpx_gt_u32_e32 8, v33
; %bb.21:                               ;   in Loop: Header=BB252_12 Depth=1
	v_ffbh_u32_e32 v1, v1
	v_min_u32_e32 v1, 32, v1
	v_subrev_nc_u32_e32 v32, 28, v1
	v_lshlrev_b64 v[33:34], v32, v[9:10]
	v_sub_nc_u32_e32 v32, 29, v1
	v_and_b32_e32 v1, 7, v33
; %bb.22:                               ;   in Loop: Header=BB252_12 Depth=1
	s_or_b32 exec_lo, exec_lo, s43
	v_lshlrev_b32_e32 v33, 8, v9
	v_lshl_add_u32 v32, v32, 10, 0x2000
	v_lshlrev_b32_e32 v1, 7, v1
	v_and_b32_e32 v33, 0x8000, v33
	v_and_b32_e32 v32, 0xfc00, v32
	v_or3_b32 v32, v33, v32, v1
.LBB252_23:                             ;   in Loop: Header=BB252_12 Depth=1
	s_or_b32 exec_lo, exec_lo, s42
.LBB252_24:                             ;   in Loop: Header=BB252_12 Depth=1
	s_or_b32 exec_lo, exec_lo, s41
.LBB252_25:                             ;   in Loop: Header=BB252_12 Depth=1
	s_or_b32 exec_lo, exec_lo, s40
	v_lshrrev_b16 v1, 8, v9
	s_mov_b32 s40, exec_lo
	v_cmpx_ne_u16_e32 0, v1
	s_cbranch_execz .LBB252_33
; %bb.26:                               ;   in Loop: Header=BB252_12 Depth=1
	v_bfrev_b32_e32 v31, 1
	s_mov_b32 s41, exec_lo
	v_cmpx_ne_u16_e32 0x80, v1
	s_cbranch_execz .LBB252_32
; %bb.27:                               ;   in Loop: Header=BB252_12 Depth=1
	v_and_b32_sdwa v34, v1, v23 dst_sel:DWORD dst_unused:UNUSED_PAD src0_sel:WORD_0 src1_sel:DWORD
	v_mov_b32_e32 v31, 0x7c010000
	s_mov_b32 s42, exec_lo
	v_cmpx_ne_u32_e32 0x7f, v34
	s_cbranch_execz .LBB252_31
; %bb.28:                               ;   in Loop: Header=BB252_12 Depth=1
	v_and_b32_sdwa v31, v1, v24 dst_sel:DWORD dst_unused:UNUSED_PAD src0_sel:WORD_0 src1_sel:DWORD
	v_lshrrev_b32_e32 v33, 3, v34
	s_mov_b32 s43, exec_lo
	v_cmpx_gt_u32_e32 8, v34
; %bb.29:                               ;   in Loop: Header=BB252_12 Depth=1
	v_ffbh_u32_e32 v31, v31
	v_min_u32_e32 v31, 32, v31
	v_subrev_nc_u32_e32 v33, 28, v31
	v_lshlrev_b64 v[34:35], v33, v[1:2]
	v_sub_nc_u32_e32 v33, 29, v31
	v_and_b32_e32 v31, 7, v34
; %bb.30:                               ;   in Loop: Header=BB252_12 Depth=1
	s_or_b32 exec_lo, exec_lo, s43
	v_lshlrev_b32_sdwa v1, v25, v1 dst_sel:DWORD dst_unused:UNUSED_PAD src0_sel:DWORD src1_sel:WORD_0
	v_lshl_add_u32 v33, v33, 10, 0x2000
	v_lshlrev_b32_e32 v31, 23, v31
	v_and_or_b32 v1, 0x8000, v1, v33
	v_lshl_or_b32 v31, v1, 16, v31
.LBB252_31:                             ;   in Loop: Header=BB252_12 Depth=1
	s_or_b32 exec_lo, exec_lo, s42
.LBB252_32:                             ;   in Loop: Header=BB252_12 Depth=1
	s_or_b32 exec_lo, exec_lo, s41
.LBB252_33:                             ;   in Loop: Header=BB252_12 Depth=1
	s_or_b32 exec_lo, exec_lo, s40
	v_lshrrev_b32_e32 v1, 16, v9
	v_mov_b32_e32 v33, 0
	v_mov_b32_e32 v34, 0
	v_cmp_ne_u16_sdwa s2, v1, v2 src0_sel:BYTE_0 src1_sel:DWORD
	s_and_saveexec_b32 s40, s2
	s_cbranch_execz .LBB252_41
; %bb.34:                               ;   in Loop: Header=BB252_12 Depth=1
	v_cmp_ne_u16_sdwa s2, v1, v22 src0_sel:BYTE_0 src1_sel:DWORD
	v_mov_b32_e32 v34, 0x8000
	s_and_saveexec_b32 s41, s2
	s_cbranch_execz .LBB252_40
; %bb.35:                               ;   in Loop: Header=BB252_12 Depth=1
	v_bfe_u32 v36, v9, 16, 7
	v_mov_b32_e32 v34, 0x7c01
	s_mov_b32 s42, exec_lo
	v_cmpx_ne_u32_e32 0x7f, v36
	s_cbranch_execz .LBB252_39
; %bb.36:                               ;   in Loop: Header=BB252_12 Depth=1
	v_and_b32_e32 v34, 7, v1
	v_lshrrev_b32_e32 v35, 3, v36
	s_mov_b32 s43, exec_lo
	v_cmpx_gt_u32_e32 8, v36
; %bb.37:                               ;   in Loop: Header=BB252_12 Depth=1
	v_ffbh_u32_e32 v34, v34
	v_min_u32_e32 v36, 32, v34
	v_subrev_nc_u32_e32 v34, 28, v36
	v_lshlrev_b64 v[34:35], v34, v[1:2]
	v_sub_nc_u32_e32 v35, 29, v36
	v_and_b32_e32 v34, 7, v34
; %bb.38:                               ;   in Loop: Header=BB252_12 Depth=1
	s_or_b32 exec_lo, exec_lo, s43
	v_lshlrev_b32_e32 v1, 8, v1
	v_lshl_add_u32 v35, v35, 10, 0x2000
	v_lshlrev_b32_e32 v34, 7, v34
	v_and_b32_e32 v1, 0x8000, v1
	v_and_b32_e32 v35, 0xfc00, v35
	v_or3_b32 v34, v1, v35, v34
.LBB252_39:                             ;   in Loop: Header=BB252_12 Depth=1
	s_or_b32 exec_lo, exec_lo, s42
.LBB252_40:                             ;   in Loop: Header=BB252_12 Depth=1
	s_or_b32 exec_lo, exec_lo, s41
.LBB252_41:                             ;   in Loop: Header=BB252_12 Depth=1
	s_or_b32 exec_lo, exec_lo, s40
	s_mov_b32 s40, exec_lo
	v_cmpx_lt_u32_e32 0xffffff, v9
	s_cbranch_execz .LBB252_49
; %bb.42:                               ;   in Loop: Header=BB252_12 Depth=1
	v_lshrrev_b32_e32 v1, 24, v9
	v_bfrev_b32_e32 v33, 1
	s_mov_b32 s41, exec_lo
	v_cmpx_ne_u32_e32 0x80, v1
	s_cbranch_execz .LBB252_48
; %bb.43:                               ;   in Loop: Header=BB252_12 Depth=1
	v_and_b32_e32 v35, 0x7f, v1
	v_mov_b32_e32 v33, 0x7c010000
	s_mov_b32 s42, exec_lo
	v_cmpx_ne_u32_e32 0x7f, v35
	s_cbranch_execz .LBB252_47
; %bb.44:                               ;   in Loop: Header=BB252_12 Depth=1
	v_and_b32_e32 v9, 7, v1
	v_lshrrev_b32_e32 v33, 3, v35
	s_mov_b32 s43, exec_lo
	v_cmpx_gt_u32_e32 8, v35
; %bb.45:                               ;   in Loop: Header=BB252_12 Depth=1
	v_ffbh_u32_e32 v9, v9
	v_min_u32_e32 v9, 32, v9
	v_subrev_nc_u32_e32 v33, 28, v9
	v_lshlrev_b64 v[35:36], v33, v[1:2]
	v_sub_nc_u32_e32 v33, 29, v9
	v_and_b32_e32 v9, 7, v35
; %bb.46:                               ;   in Loop: Header=BB252_12 Depth=1
	s_or_b32 exec_lo, exec_lo, s43
	v_lshlrev_b32_e32 v1, 8, v1
	v_lshl_add_u32 v33, v33, 10, 0x2000
	v_lshlrev_b32_e32 v9, 23, v9
	v_and_or_b32 v1, 0x8000, v1, v33
	v_lshl_or_b32 v33, v1, 16, v9
.LBB252_47:                             ;   in Loop: Header=BB252_12 Depth=1
	s_or_b32 exec_lo, exec_lo, s42
.LBB252_48:                             ;   in Loop: Header=BB252_12 Depth=1
	s_or_b32 exec_lo, exec_lo, s41
.LBB252_49:                             ;   in Loop: Header=BB252_12 Depth=1
	s_or_b32 exec_lo, exec_lo, s40
	global_load_dword v9, v[7:8], off offset:8
	v_mov_b32_e32 v35, 0
	v_mov_b32_e32 v36, 0
	s_waitcnt vmcnt(0)
	v_cmp_ne_u16_sdwa s2, v9, v2 src0_sel:BYTE_0 src1_sel:DWORD
	s_and_saveexec_b32 s40, s2
	s_cbranch_execz .LBB252_57
; %bb.50:                               ;   in Loop: Header=BB252_12 Depth=1
	v_cmp_ne_u16_sdwa s2, v9, v22 src0_sel:BYTE_0 src1_sel:DWORD
	v_mov_b32_e32 v36, 0x8000
	s_and_saveexec_b32 s41, s2
	s_cbranch_execz .LBB252_56
; %bb.51:                               ;   in Loop: Header=BB252_12 Depth=1
	v_and_b32_e32 v37, 0x7f, v9
	v_mov_b32_e32 v36, 0x7c01
	s_mov_b32 s42, exec_lo
	v_cmpx_ne_u32_e32 0x7f, v37
	s_cbranch_execz .LBB252_55
; %bb.52:                               ;   in Loop: Header=BB252_12 Depth=1
	v_and_b32_e32 v1, 7, v9
	v_lshrrev_b32_e32 v36, 3, v37
	s_mov_b32 s43, exec_lo
	v_cmpx_gt_u32_e32 8, v37
; %bb.53:                               ;   in Loop: Header=BB252_12 Depth=1
	v_ffbh_u32_e32 v1, v1
	v_min_u32_e32 v1, 32, v1
	v_subrev_nc_u32_e32 v36, 28, v1
	v_lshlrev_b64 v[37:38], v36, v[9:10]
	v_sub_nc_u32_e32 v36, 29, v1
	v_and_b32_e32 v1, 7, v37
; %bb.54:                               ;   in Loop: Header=BB252_12 Depth=1
	s_or_b32 exec_lo, exec_lo, s43
	v_lshlrev_b32_e32 v37, 8, v9
	v_lshl_add_u32 v36, v36, 10, 0x2000
	v_lshlrev_b32_e32 v1, 7, v1
	v_and_b32_e32 v37, 0x8000, v37
	v_and_b32_e32 v36, 0xfc00, v36
	v_or3_b32 v36, v37, v36, v1
.LBB252_55:                             ;   in Loop: Header=BB252_12 Depth=1
	s_or_b32 exec_lo, exec_lo, s42
.LBB252_56:                             ;   in Loop: Header=BB252_12 Depth=1
	s_or_b32 exec_lo, exec_lo, s41
.LBB252_57:                             ;   in Loop: Header=BB252_12 Depth=1
	s_or_b32 exec_lo, exec_lo, s40
	v_lshrrev_b16 v1, 8, v9
	s_mov_b32 s40, exec_lo
	v_cmpx_ne_u16_e32 0, v1
	s_cbranch_execz .LBB252_65
; %bb.58:                               ;   in Loop: Header=BB252_12 Depth=1
	v_bfrev_b32_e32 v35, 1
	s_mov_b32 s41, exec_lo
	v_cmpx_ne_u16_e32 0x80, v1
	s_cbranch_execz .LBB252_64
; %bb.59:                               ;   in Loop: Header=BB252_12 Depth=1
	v_and_b32_sdwa v38, v1, v23 dst_sel:DWORD dst_unused:UNUSED_PAD src0_sel:WORD_0 src1_sel:DWORD
	v_mov_b32_e32 v35, 0x7c010000
	s_mov_b32 s42, exec_lo
	v_cmpx_ne_u32_e32 0x7f, v38
	s_cbranch_execz .LBB252_63
; %bb.60:                               ;   in Loop: Header=BB252_12 Depth=1
	v_and_b32_sdwa v35, v1, v24 dst_sel:DWORD dst_unused:UNUSED_PAD src0_sel:WORD_0 src1_sel:DWORD
	v_lshrrev_b32_e32 v37, 3, v38
	s_mov_b32 s43, exec_lo
	v_cmpx_gt_u32_e32 8, v38
; %bb.61:                               ;   in Loop: Header=BB252_12 Depth=1
	v_ffbh_u32_e32 v35, v35
	v_min_u32_e32 v35, 32, v35
	v_subrev_nc_u32_e32 v37, 28, v35
	v_lshlrev_b64 v[38:39], v37, v[1:2]
	v_sub_nc_u32_e32 v37, 29, v35
	v_and_b32_e32 v35, 7, v38
; %bb.62:                               ;   in Loop: Header=BB252_12 Depth=1
	s_or_b32 exec_lo, exec_lo, s43
	v_lshlrev_b32_sdwa v1, v25, v1 dst_sel:DWORD dst_unused:UNUSED_PAD src0_sel:DWORD src1_sel:WORD_0
	v_lshl_add_u32 v37, v37, 10, 0x2000
	v_lshlrev_b32_e32 v35, 23, v35
	v_and_or_b32 v1, 0x8000, v1, v37
	v_lshl_or_b32 v35, v1, 16, v35
.LBB252_63:                             ;   in Loop: Header=BB252_12 Depth=1
	s_or_b32 exec_lo, exec_lo, s42
.LBB252_64:                             ;   in Loop: Header=BB252_12 Depth=1
	s_or_b32 exec_lo, exec_lo, s41
.LBB252_65:                             ;   in Loop: Header=BB252_12 Depth=1
	s_or_b32 exec_lo, exec_lo, s40
	v_lshrrev_b32_e32 v1, 16, v9
	v_mov_b32_e32 v37, 0
	v_mov_b32_e32 v38, 0
	v_cmp_ne_u16_sdwa s2, v1, v2 src0_sel:BYTE_0 src1_sel:DWORD
	s_and_saveexec_b32 s40, s2
	s_cbranch_execz .LBB252_73
; %bb.66:                               ;   in Loop: Header=BB252_12 Depth=1
	v_cmp_ne_u16_sdwa s2, v1, v22 src0_sel:BYTE_0 src1_sel:DWORD
	v_mov_b32_e32 v38, 0x8000
	s_and_saveexec_b32 s41, s2
	s_cbranch_execz .LBB252_72
; %bb.67:                               ;   in Loop: Header=BB252_12 Depth=1
	v_bfe_u32 v40, v9, 16, 7
	v_mov_b32_e32 v38, 0x7c01
	s_mov_b32 s42, exec_lo
	v_cmpx_ne_u32_e32 0x7f, v40
	s_cbranch_execz .LBB252_71
; %bb.68:                               ;   in Loop: Header=BB252_12 Depth=1
	v_and_b32_e32 v38, 7, v1
	v_lshrrev_b32_e32 v39, 3, v40
	s_mov_b32 s43, exec_lo
	v_cmpx_gt_u32_e32 8, v40
; %bb.69:                               ;   in Loop: Header=BB252_12 Depth=1
	v_ffbh_u32_e32 v38, v38
	v_min_u32_e32 v40, 32, v38
	v_subrev_nc_u32_e32 v38, 28, v40
	v_lshlrev_b64 v[38:39], v38, v[1:2]
	v_sub_nc_u32_e32 v39, 29, v40
	v_and_b32_e32 v38, 7, v38
; %bb.70:                               ;   in Loop: Header=BB252_12 Depth=1
	s_or_b32 exec_lo, exec_lo, s43
	v_lshlrev_b32_e32 v1, 8, v1
	v_lshl_add_u32 v39, v39, 10, 0x2000
	v_lshlrev_b32_e32 v38, 7, v38
	v_and_b32_e32 v1, 0x8000, v1
	v_and_b32_e32 v39, 0xfc00, v39
	v_or3_b32 v38, v1, v39, v38
.LBB252_71:                             ;   in Loop: Header=BB252_12 Depth=1
	s_or_b32 exec_lo, exec_lo, s42
.LBB252_72:                             ;   in Loop: Header=BB252_12 Depth=1
	s_or_b32 exec_lo, exec_lo, s41
.LBB252_73:                             ;   in Loop: Header=BB252_12 Depth=1
	s_or_b32 exec_lo, exec_lo, s40
	s_mov_b32 s40, exec_lo
	v_cmpx_lt_u32_e32 0xffffff, v9
	s_cbranch_execz .LBB252_81
; %bb.74:                               ;   in Loop: Header=BB252_12 Depth=1
	v_lshrrev_b32_e32 v1, 24, v9
	v_bfrev_b32_e32 v37, 1
	s_mov_b32 s41, exec_lo
	v_cmpx_ne_u32_e32 0x80, v1
	s_cbranch_execz .LBB252_80
; %bb.75:                               ;   in Loop: Header=BB252_12 Depth=1
	v_and_b32_e32 v39, 0x7f, v1
	v_mov_b32_e32 v37, 0x7c010000
	s_mov_b32 s42, exec_lo
	v_cmpx_ne_u32_e32 0x7f, v39
	s_cbranch_execz .LBB252_79
; %bb.76:                               ;   in Loop: Header=BB252_12 Depth=1
	v_and_b32_e32 v9, 7, v1
	v_lshrrev_b32_e32 v37, 3, v39
	s_mov_b32 s43, exec_lo
	v_cmpx_gt_u32_e32 8, v39
; %bb.77:                               ;   in Loop: Header=BB252_12 Depth=1
	v_ffbh_u32_e32 v9, v9
	v_min_u32_e32 v9, 32, v9
	v_subrev_nc_u32_e32 v37, 28, v9
	v_lshlrev_b64 v[39:40], v37, v[1:2]
	v_sub_nc_u32_e32 v37, 29, v9
	v_and_b32_e32 v9, 7, v39
; %bb.78:                               ;   in Loop: Header=BB252_12 Depth=1
	s_or_b32 exec_lo, exec_lo, s43
	v_lshlrev_b32_e32 v1, 8, v1
	v_lshl_add_u32 v37, v37, 10, 0x2000
	v_lshlrev_b32_e32 v9, 23, v9
	v_and_or_b32 v1, 0x8000, v1, v37
	v_lshl_or_b32 v37, v1, 16, v9
.LBB252_79:                             ;   in Loop: Header=BB252_12 Depth=1
	s_or_b32 exec_lo, exec_lo, s42
.LBB252_80:                             ;   in Loop: Header=BB252_12 Depth=1
	s_or_b32 exec_lo, exec_lo, s41
.LBB252_81:                             ;   in Loop: Header=BB252_12 Depth=1
	s_or_b32 exec_lo, exec_lo, s40
	global_load_dword v9, v[7:8], off offset:256
	v_mov_b32_e32 v39, 0
	v_mov_b32_e32 v40, 0
	s_waitcnt vmcnt(0)
	v_cmp_ne_u16_sdwa s2, v9, v2 src0_sel:BYTE_0 src1_sel:DWORD
	s_and_saveexec_b32 s40, s2
	s_cbranch_execz .LBB252_89
; %bb.82:                               ;   in Loop: Header=BB252_12 Depth=1
	v_cmp_ne_u16_sdwa s2, v9, v22 src0_sel:BYTE_0 src1_sel:DWORD
	v_mov_b32_e32 v40, 0x8000
	s_and_saveexec_b32 s41, s2
	s_cbranch_execz .LBB252_88
; %bb.83:                               ;   in Loop: Header=BB252_12 Depth=1
	v_and_b32_e32 v41, 0x7f, v9
	v_mov_b32_e32 v40, 0x7c01
	s_mov_b32 s42, exec_lo
	v_cmpx_ne_u32_e32 0x7f, v41
	s_cbranch_execz .LBB252_87
; %bb.84:                               ;   in Loop: Header=BB252_12 Depth=1
	v_and_b32_e32 v1, 7, v9
	v_lshrrev_b32_e32 v40, 3, v41
	s_mov_b32 s43, exec_lo
	v_cmpx_gt_u32_e32 8, v41
; %bb.85:                               ;   in Loop: Header=BB252_12 Depth=1
	v_ffbh_u32_e32 v1, v1
	v_min_u32_e32 v1, 32, v1
	v_subrev_nc_u32_e32 v40, 28, v1
	v_lshlrev_b64 v[41:42], v40, v[9:10]
	v_sub_nc_u32_e32 v40, 29, v1
	v_and_b32_e32 v1, 7, v41
; %bb.86:                               ;   in Loop: Header=BB252_12 Depth=1
	s_or_b32 exec_lo, exec_lo, s43
	v_lshlrev_b32_e32 v41, 8, v9
	v_lshl_add_u32 v40, v40, 10, 0x2000
	v_lshlrev_b32_e32 v1, 7, v1
	v_and_b32_e32 v41, 0x8000, v41
	v_and_b32_e32 v40, 0xfc00, v40
	v_or3_b32 v40, v41, v40, v1
.LBB252_87:                             ;   in Loop: Header=BB252_12 Depth=1
	s_or_b32 exec_lo, exec_lo, s42
.LBB252_88:                             ;   in Loop: Header=BB252_12 Depth=1
	s_or_b32 exec_lo, exec_lo, s41
.LBB252_89:                             ;   in Loop: Header=BB252_12 Depth=1
	s_or_b32 exec_lo, exec_lo, s40
	v_lshrrev_b16 v1, 8, v9
	s_mov_b32 s40, exec_lo
	v_cmpx_ne_u16_e32 0, v1
	s_cbranch_execz .LBB252_97
; %bb.90:                               ;   in Loop: Header=BB252_12 Depth=1
	v_bfrev_b32_e32 v39, 1
	s_mov_b32 s41, exec_lo
	v_cmpx_ne_u16_e32 0x80, v1
	s_cbranch_execz .LBB252_96
; %bb.91:                               ;   in Loop: Header=BB252_12 Depth=1
	v_and_b32_sdwa v42, v1, v23 dst_sel:DWORD dst_unused:UNUSED_PAD src0_sel:WORD_0 src1_sel:DWORD
	v_mov_b32_e32 v39, 0x7c010000
	s_mov_b32 s42, exec_lo
	v_cmpx_ne_u32_e32 0x7f, v42
	s_cbranch_execz .LBB252_95
; %bb.92:                               ;   in Loop: Header=BB252_12 Depth=1
	v_and_b32_sdwa v39, v1, v24 dst_sel:DWORD dst_unused:UNUSED_PAD src0_sel:WORD_0 src1_sel:DWORD
	v_lshrrev_b32_e32 v41, 3, v42
	s_mov_b32 s43, exec_lo
	v_cmpx_gt_u32_e32 8, v42
; %bb.93:                               ;   in Loop: Header=BB252_12 Depth=1
	v_ffbh_u32_e32 v39, v39
	v_min_u32_e32 v39, 32, v39
	v_subrev_nc_u32_e32 v41, 28, v39
	v_lshlrev_b64 v[42:43], v41, v[1:2]
	v_sub_nc_u32_e32 v41, 29, v39
	v_and_b32_e32 v39, 7, v42
; %bb.94:                               ;   in Loop: Header=BB252_12 Depth=1
	s_or_b32 exec_lo, exec_lo, s43
	v_lshlrev_b32_sdwa v1, v25, v1 dst_sel:DWORD dst_unused:UNUSED_PAD src0_sel:DWORD src1_sel:WORD_0
	v_lshl_add_u32 v41, v41, 10, 0x2000
	v_lshlrev_b32_e32 v39, 23, v39
	v_and_or_b32 v1, 0x8000, v1, v41
	v_lshl_or_b32 v39, v1, 16, v39
.LBB252_95:                             ;   in Loop: Header=BB252_12 Depth=1
	s_or_b32 exec_lo, exec_lo, s42
.LBB252_96:                             ;   in Loop: Header=BB252_12 Depth=1
	s_or_b32 exec_lo, exec_lo, s41
.LBB252_97:                             ;   in Loop: Header=BB252_12 Depth=1
	s_or_b32 exec_lo, exec_lo, s40
	v_lshrrev_b32_e32 v1, 16, v9
	v_mov_b32_e32 v41, 0
	v_mov_b32_e32 v42, 0
	v_cmp_ne_u16_sdwa s2, v1, v2 src0_sel:BYTE_0 src1_sel:DWORD
	s_and_saveexec_b32 s40, s2
	s_cbranch_execz .LBB252_105
; %bb.98:                               ;   in Loop: Header=BB252_12 Depth=1
	v_cmp_ne_u16_sdwa s2, v1, v22 src0_sel:BYTE_0 src1_sel:DWORD
	v_mov_b32_e32 v42, 0x8000
	s_and_saveexec_b32 s41, s2
	s_cbranch_execz .LBB252_104
; %bb.99:                               ;   in Loop: Header=BB252_12 Depth=1
	v_bfe_u32 v44, v9, 16, 7
	v_mov_b32_e32 v42, 0x7c01
	s_mov_b32 s42, exec_lo
	v_cmpx_ne_u32_e32 0x7f, v44
	s_cbranch_execz .LBB252_103
; %bb.100:                              ;   in Loop: Header=BB252_12 Depth=1
	v_and_b32_e32 v42, 7, v1
	v_lshrrev_b32_e32 v43, 3, v44
	s_mov_b32 s43, exec_lo
	v_cmpx_gt_u32_e32 8, v44
; %bb.101:                              ;   in Loop: Header=BB252_12 Depth=1
	v_ffbh_u32_e32 v42, v42
	v_min_u32_e32 v44, 32, v42
	v_subrev_nc_u32_e32 v42, 28, v44
	v_lshlrev_b64 v[42:43], v42, v[1:2]
	v_sub_nc_u32_e32 v43, 29, v44
	v_and_b32_e32 v42, 7, v42
; %bb.102:                              ;   in Loop: Header=BB252_12 Depth=1
	s_or_b32 exec_lo, exec_lo, s43
	v_lshlrev_b32_e32 v1, 8, v1
	v_lshl_add_u32 v43, v43, 10, 0x2000
	v_lshlrev_b32_e32 v42, 7, v42
	v_and_b32_e32 v1, 0x8000, v1
	v_and_b32_e32 v43, 0xfc00, v43
	v_or3_b32 v42, v1, v43, v42
.LBB252_103:                            ;   in Loop: Header=BB252_12 Depth=1
	s_or_b32 exec_lo, exec_lo, s42
.LBB252_104:                            ;   in Loop: Header=BB252_12 Depth=1
	s_or_b32 exec_lo, exec_lo, s41
.LBB252_105:                            ;   in Loop: Header=BB252_12 Depth=1
	s_or_b32 exec_lo, exec_lo, s40
	s_mov_b32 s40, exec_lo
	v_cmpx_lt_u32_e32 0xffffff, v9
	s_cbranch_execz .LBB252_113
; %bb.106:                              ;   in Loop: Header=BB252_12 Depth=1
	v_lshrrev_b32_e32 v1, 24, v9
	v_bfrev_b32_e32 v41, 1
	s_mov_b32 s41, exec_lo
	v_cmpx_ne_u32_e32 0x80, v1
	s_cbranch_execz .LBB252_112
; %bb.107:                              ;   in Loop: Header=BB252_12 Depth=1
	v_and_b32_e32 v43, 0x7f, v1
	v_mov_b32_e32 v41, 0x7c010000
	s_mov_b32 s42, exec_lo
	v_cmpx_ne_u32_e32 0x7f, v43
	s_cbranch_execz .LBB252_111
; %bb.108:                              ;   in Loop: Header=BB252_12 Depth=1
	v_and_b32_e32 v9, 7, v1
	v_lshrrev_b32_e32 v41, 3, v43
	s_mov_b32 s43, exec_lo
	v_cmpx_gt_u32_e32 8, v43
; %bb.109:                              ;   in Loop: Header=BB252_12 Depth=1
	v_ffbh_u32_e32 v9, v9
	v_min_u32_e32 v9, 32, v9
	v_subrev_nc_u32_e32 v41, 28, v9
	v_lshlrev_b64 v[43:44], v41, v[1:2]
	v_sub_nc_u32_e32 v41, 29, v9
	v_and_b32_e32 v9, 7, v43
; %bb.110:                              ;   in Loop: Header=BB252_12 Depth=1
	s_or_b32 exec_lo, exec_lo, s43
	v_lshlrev_b32_e32 v1, 8, v1
	v_lshl_add_u32 v41, v41, 10, 0x2000
	v_lshlrev_b32_e32 v9, 23, v9
	v_and_or_b32 v1, 0x8000, v1, v41
	v_lshl_or_b32 v41, v1, 16, v9
.LBB252_111:                            ;   in Loop: Header=BB252_12 Depth=1
	s_or_b32 exec_lo, exec_lo, s42
.LBB252_112:                            ;   in Loop: Header=BB252_12 Depth=1
	s_or_b32 exec_lo, exec_lo, s41
.LBB252_113:                            ;   in Loop: Header=BB252_12 Depth=1
	s_or_b32 exec_lo, exec_lo, s40
	global_load_dword v7, v[7:8], off offset:264
	v_mov_b32_e32 v8, 0
	v_mov_b32_e32 v9, 0
	s_waitcnt vmcnt(0)
	v_cmp_ne_u16_sdwa s2, v7, v2 src0_sel:BYTE_0 src1_sel:DWORD
	s_and_saveexec_b32 s40, s2
	s_cbranch_execz .LBB252_121
; %bb.114:                              ;   in Loop: Header=BB252_12 Depth=1
	v_cmp_ne_u16_sdwa s2, v7, v22 src0_sel:BYTE_0 src1_sel:DWORD
	v_mov_b32_e32 v9, 0x8000
	s_and_saveexec_b32 s41, s2
	s_cbranch_execz .LBB252_120
; %bb.115:                              ;   in Loop: Header=BB252_12 Depth=1
	v_and_b32_e32 v43, 0x7f, v7
	v_mov_b32_e32 v9, 0x7c01
	s_mov_b32 s42, exec_lo
	v_cmpx_ne_u32_e32 0x7f, v43
	s_cbranch_execz .LBB252_119
; %bb.116:                              ;   in Loop: Header=BB252_12 Depth=1
	v_and_b32_e32 v1, 7, v7
	v_lshrrev_b32_e32 v9, 3, v43
	s_mov_b32 s43, exec_lo
	v_cmpx_gt_u32_e32 8, v43
; %bb.117:                              ;   in Loop: Header=BB252_12 Depth=1
	v_ffbh_u32_e32 v1, v1
	v_min_u32_e32 v1, 32, v1
	v_subrev_nc_u32_e32 v9, 28, v1
	v_lshlrev_b64 v[43:44], v9, v[7:8]
	v_sub_nc_u32_e32 v9, 29, v1
	v_and_b32_e32 v1, 7, v43
; %bb.118:                              ;   in Loop: Header=BB252_12 Depth=1
	s_or_b32 exec_lo, exec_lo, s43
	v_lshlrev_b32_e32 v43, 8, v7
	v_lshl_add_u32 v9, v9, 10, 0x2000
	v_lshlrev_b32_e32 v1, 7, v1
	v_and_b32_e32 v43, 0x8000, v43
	v_and_b32_e32 v9, 0xfc00, v9
	v_or3_b32 v9, v43, v9, v1
.LBB252_119:                            ;   in Loop: Header=BB252_12 Depth=1
	s_or_b32 exec_lo, exec_lo, s42
.LBB252_120:                            ;   in Loop: Header=BB252_12 Depth=1
	s_or_b32 exec_lo, exec_lo, s41
.LBB252_121:                            ;   in Loop: Header=BB252_12 Depth=1
	s_or_b32 exec_lo, exec_lo, s40
	v_lshrrev_b16 v1, 8, v7
	s_mov_b32 s40, exec_lo
	v_cmpx_ne_u16_e32 0, v1
	s_cbranch_execz .LBB252_129
; %bb.122:                              ;   in Loop: Header=BB252_12 Depth=1
	v_bfrev_b32_e32 v8, 1
	s_mov_b32 s41, exec_lo
	v_cmpx_ne_u16_e32 0x80, v1
	s_cbranch_execz .LBB252_128
; %bb.123:                              ;   in Loop: Header=BB252_12 Depth=1
	v_and_b32_sdwa v44, v1, v23 dst_sel:DWORD dst_unused:UNUSED_PAD src0_sel:WORD_0 src1_sel:DWORD
	v_mov_b32_e32 v8, 0x7c010000
	s_mov_b32 s42, exec_lo
	v_cmpx_ne_u32_e32 0x7f, v44
	s_cbranch_execz .LBB252_127
; %bb.124:                              ;   in Loop: Header=BB252_12 Depth=1
	v_and_b32_sdwa v8, v1, v24 dst_sel:DWORD dst_unused:UNUSED_PAD src0_sel:WORD_0 src1_sel:DWORD
	v_lshrrev_b32_e32 v43, 3, v44
	s_mov_b32 s43, exec_lo
	v_cmpx_gt_u32_e32 8, v44
; %bb.125:                              ;   in Loop: Header=BB252_12 Depth=1
	v_ffbh_u32_e32 v8, v8
	v_min_u32_e32 v8, 32, v8
	v_subrev_nc_u32_e32 v43, 28, v8
	v_lshlrev_b64 v[44:45], v43, v[1:2]
	v_sub_nc_u32_e32 v43, 29, v8
	v_and_b32_e32 v8, 7, v44
; %bb.126:                              ;   in Loop: Header=BB252_12 Depth=1
	s_or_b32 exec_lo, exec_lo, s43
	v_lshlrev_b32_sdwa v1, v25, v1 dst_sel:DWORD dst_unused:UNUSED_PAD src0_sel:DWORD src1_sel:WORD_0
	v_lshl_add_u32 v43, v43, 10, 0x2000
	v_lshlrev_b32_e32 v8, 23, v8
	v_and_or_b32 v1, 0x8000, v1, v43
	v_lshl_or_b32 v8, v1, 16, v8
.LBB252_127:                            ;   in Loop: Header=BB252_12 Depth=1
	s_or_b32 exec_lo, exec_lo, s42
.LBB252_128:                            ;   in Loop: Header=BB252_12 Depth=1
	s_or_b32 exec_lo, exec_lo, s41
.LBB252_129:                            ;   in Loop: Header=BB252_12 Depth=1
	s_or_b32 exec_lo, exec_lo, s40
	v_lshrrev_b32_e32 v1, 16, v7
	v_mov_b32_e32 v43, 0
	v_mov_b32_e32 v44, 0
	v_cmp_ne_u16_sdwa s2, v1, v2 src0_sel:BYTE_0 src1_sel:DWORD
	s_and_saveexec_b32 s40, s2
	s_cbranch_execz .LBB252_137
; %bb.130:                              ;   in Loop: Header=BB252_12 Depth=1
	v_cmp_ne_u16_sdwa s2, v1, v22 src0_sel:BYTE_0 src1_sel:DWORD
	v_mov_b32_e32 v44, 0x8000
	s_and_saveexec_b32 s41, s2
	s_cbranch_execz .LBB252_136
; %bb.131:                              ;   in Loop: Header=BB252_12 Depth=1
	v_bfe_u32 v46, v7, 16, 7
	v_mov_b32_e32 v44, 0x7c01
	s_mov_b32 s42, exec_lo
	v_cmpx_ne_u32_e32 0x7f, v46
	s_cbranch_execz .LBB252_135
; %bb.132:                              ;   in Loop: Header=BB252_12 Depth=1
	v_and_b32_e32 v44, 7, v1
	v_lshrrev_b32_e32 v45, 3, v46
	s_mov_b32 s43, exec_lo
	v_cmpx_gt_u32_e32 8, v46
; %bb.133:                              ;   in Loop: Header=BB252_12 Depth=1
	v_ffbh_u32_e32 v44, v44
	v_min_u32_e32 v46, 32, v44
	v_subrev_nc_u32_e32 v44, 28, v46
	v_lshlrev_b64 v[44:45], v44, v[1:2]
	v_sub_nc_u32_e32 v45, 29, v46
	v_and_b32_e32 v44, 7, v44
; %bb.134:                              ;   in Loop: Header=BB252_12 Depth=1
	s_or_b32 exec_lo, exec_lo, s43
	v_lshlrev_b32_e32 v1, 8, v1
	v_lshl_add_u32 v45, v45, 10, 0x2000
	v_lshlrev_b32_e32 v44, 7, v44
	v_and_b32_e32 v1, 0x8000, v1
	v_and_b32_e32 v45, 0xfc00, v45
	v_or3_b32 v44, v1, v45, v44
.LBB252_135:                            ;   in Loop: Header=BB252_12 Depth=1
	s_or_b32 exec_lo, exec_lo, s42
.LBB252_136:                            ;   in Loop: Header=BB252_12 Depth=1
	s_or_b32 exec_lo, exec_lo, s41
.LBB252_137:                            ;   in Loop: Header=BB252_12 Depth=1
	s_or_b32 exec_lo, exec_lo, s40
	s_mov_b32 s40, exec_lo
	v_cmpx_lt_u32_e32 0xffffff, v7
	s_cbranch_execz .LBB252_145
; %bb.138:                              ;   in Loop: Header=BB252_12 Depth=1
	v_lshrrev_b32_e32 v1, 24, v7
	v_bfrev_b32_e32 v43, 1
	s_mov_b32 s41, exec_lo
	v_cmpx_ne_u32_e32 0x80, v1
	s_cbranch_execz .LBB252_144
; %bb.139:                              ;   in Loop: Header=BB252_12 Depth=1
	v_and_b32_e32 v45, 0x7f, v1
	v_mov_b32_e32 v43, 0x7c010000
	s_mov_b32 s42, exec_lo
	v_cmpx_ne_u32_e32 0x7f, v45
	s_cbranch_execz .LBB252_143
; %bb.140:                              ;   in Loop: Header=BB252_12 Depth=1
	v_and_b32_e32 v7, 7, v1
	v_lshrrev_b32_e32 v43, 3, v45
	s_mov_b32 s43, exec_lo
	v_cmpx_gt_u32_e32 8, v45
; %bb.141:                              ;   in Loop: Header=BB252_12 Depth=1
	v_ffbh_u32_e32 v7, v7
	v_min_u32_e32 v7, 32, v7
	v_subrev_nc_u32_e32 v43, 28, v7
	v_lshlrev_b64 v[45:46], v43, v[1:2]
	v_sub_nc_u32_e32 v43, 29, v7
	v_and_b32_e32 v7, 7, v45
; %bb.142:                              ;   in Loop: Header=BB252_12 Depth=1
	s_or_b32 exec_lo, exec_lo, s43
	v_lshlrev_b32_e32 v1, 8, v1
	v_lshl_add_u32 v43, v43, 10, 0x2000
	v_lshlrev_b32_e32 v7, 23, v7
	v_and_or_b32 v1, 0x8000, v1, v43
	v_lshl_or_b32 v43, v1, 16, v7
.LBB252_143:                            ;   in Loop: Header=BB252_12 Depth=1
	s_or_b32 exec_lo, exec_lo, s42
.LBB252_144:                            ;   in Loop: Header=BB252_12 Depth=1
	s_or_b32 exec_lo, exec_lo, s41
.LBB252_145:                            ;   in Loop: Header=BB252_12 Depth=1
	s_or_b32 exec_lo, exec_lo, s40
	ds_read_b64 v[45:46], v18
	v_or_b32_e32 v1, v31, v32
	v_or_b32_e32 v7, v33, v34
	v_fma_mixlo_f16 v31, v30, v31, 0 op_sel:[0,1,0] op_sel_hi:[0,1,0]
	v_fma_mixlo_f16 v32, v30, v33, 0 op_sel:[0,1,0] op_sel_hi:[0,1,0]
	v_or_b32_e32 v9, v8, v9
	v_fma_mixlo_f16 v1, v30, v1, 0 op_sel_hi:[0,1,0]
	v_fma_mixlo_f16 v7, v30, v7, 0 op_sel_hi:[0,1,0]
	v_and_b32_e32 v31, 0xffff, v31
	v_and_b32_e32 v32, 0xffff, v32
	v_or_b32_e32 v44, v43, v44
	v_and_b32_e32 v34, 0xffff, v1
	v_and_b32_e32 v7, 0xffff, v7
	v_fma_mixlo_f16 v9, v30, v9, 0 op_sel_hi:[0,1,0]
	v_fma_mixlo_f16 v43, v30, v43, 0 op_sel:[0,1,0] op_sel_hi:[0,1,0]
	v_and_b32_e32 v43, 0xffff, v43
	s_waitcnt lgkmcnt(0)
	v_and_b32_e32 v1, 0xffff, v45
	v_lshrrev_b32_e32 v33, 16, v45
	v_lshrrev_b32_e32 v47, 16, v46
	v_and_b32_e32 v46, 0xffff, v46
	;;#ASMSTART
	v_cvt_f32_f16 v1, v1;
	;;#ASMEND
	;;#ASMSTART
	v_cvt_f32_f16 v33, v33;
	;;#ASMEND
	;; [unrolled: 3-line block ×8, first 2 shown]
	ds_read_b64 v[31:32], v18 offset:8
	v_or_b32_e32 v7, v35, v36
	v_or_b32_e32 v36, v37, v38
	v_fma_mixlo_f16 v35, v30, v35, 0 op_sel:[0,1,0] op_sel_hi:[0,1,0]
	v_fma_mixlo_f16 v37, v30, v37, 0 op_sel:[0,1,0] op_sel_hi:[0,1,0]
	v_fma_mixlo_f16 v7, v30, v7, 0 op_sel_hi:[0,1,0]
	v_fma_mixlo_f16 v36, v30, v36, 0 op_sel_hi:[0,1,0]
	v_and_b32_e32 v38, 0xffff, v35
	v_and_b32_e32 v53, 0xffff, v37
	;; [unrolled: 1-line block ×4, first 2 shown]
	s_waitcnt lgkmcnt(0)
	v_and_b32_e32 v35, 0xffff, v31
	v_lshrrev_b32_e32 v31, 16, v31
	v_lshrrev_b32_e32 v51, 16, v32
	v_and_b32_e32 v32, 0xffff, v32
	;;#ASMSTART
	v_cvt_f32_f16 v35, v35;
	;;#ASMEND
	;;#ASMSTART
	v_cvt_f32_f16 v36, v31;
	;;#ASMEND
	;; [unrolled: 3-line block ×8, first 2 shown]
	ds_read_b64 v[31:32], v18 offset:16
	v_or_b32_e32 v7, v39, v40
	v_or_b32_e32 v40, v41, v42
	v_fma_mixlo_f16 v39, v30, v39, 0 op_sel:[0,1,0] op_sel_hi:[0,1,0]
	v_fma_mixlo_f16 v41, v30, v41, 0 op_sel:[0,1,0] op_sel_hi:[0,1,0]
	;; [unrolled: 1-line block ×3, first 2 shown]
	v_fma_mixlo_f16 v7, v30, v7, 0 op_sel_hi:[0,1,0]
	v_fma_mixlo_f16 v8, v30, v40, 0 op_sel_hi:[0,1,0]
	v_and_b32_e32 v40, 0xffff, v39
	v_and_b32_e32 v56, 0xffff, v41
	v_mul_f32_e32 v35, v35, v37
	v_and_b32_e32 v7, 0xffff, v7
	v_and_b32_e32 v8, 0xffff, v8
	v_mul_f32_e32 v36, v36, v38
	v_mul_f32_e32 v37, v50, v52
	v_fmac_f32_e32 v35, v1, v34
	v_fma_mixlo_f16 v30, v30, v44, 0 op_sel_hi:[0,1,0]
	v_and_b32_e32 v38, 0xffff, v9
	v_fmac_f32_e32 v36, v33, v45
	v_fmac_f32_e32 v37, v46, v48
	s_waitcnt lgkmcnt(0)
	v_and_b32_e32 v39, 0xffff, v31
	v_lshrrev_b32_e32 v41, 16, v31
	v_lshrrev_b32_e32 v54, 16, v32
	v_and_b32_e32 v55, 0xffff, v32
	;;#ASMSTART
	v_cvt_f32_f16 v31, v39;
	;;#ASMEND
	;;#ASMSTART
	v_cvt_f32_f16 v32, v41;
	;;#ASMEND
	;; [unrolled: 3-line block ×8, first 2 shown]
	ds_read_b64 v[7:8], v18 offset:24
	v_fmac_f32_e32 v35, v31, v39
	v_fmac_f32_e32 v36, v32, v40
	v_mul_f32_e32 v9, v51, v53
	v_fmac_f32_e32 v37, v41, v55
	v_and_b32_e32 v42, 0xffff, v42
	v_and_b32_e32 v33, 0xffff, v30
	v_fmac_f32_e32 v9, v47, v49
	v_fmac_f32_e32 v9, v54, v56
	s_waitcnt lgkmcnt(0)
	v_and_b32_e32 v1, 0xffff, v7
	v_lshrrev_b32_e32 v7, 16, v7
	v_lshrrev_b32_e32 v31, 16, v8
	v_and_b32_e32 v32, 0xffff, v8
	;;#ASMSTART
	v_cvt_f32_f16 v1, v1;
	;;#ASMEND
	;;#ASMSTART
	v_cvt_f32_f16 v7, v7;
	;;#ASMEND
	;; [unrolled: 3-line block ×4, first 2 shown]
	v_fmac_f32_e32 v35, v1, v8
	v_fmac_f32_e32 v36, v7, v30
	;;#ASMSTART
	v_cvt_f32_f16 v1, v32;
	;;#ASMEND
	;;#ASMSTART
	v_cvt_f32_f16 v7, v31;
	;;#ASMEND
	;; [unrolled: 3-line block ×3, first 2 shown]
	v_fmac_f32_e32 v37, v1, v8
	v_xor_b32_e32 v8, 1, v17
	v_add_f32_e32 v1, v35, v36
	;;#ASMSTART
	v_cvt_f32_f16 v30, v43;
	;;#ASMEND
	v_fmac_f32_e32 v9, v7, v30
	v_cmp_gt_i32_e64 s2, 32, v8
	v_add_f32_e32 v1, v1, v37
	v_cndmask_b32_e64 v7, v17, v8, s2
	v_add_f32_e32 v1, v9, v1
	v_lshlrev_b32_e32 v7, 2, v7
	ds_bpermute_b32 v7, v7, v1
	s_and_saveexec_b32 s40, vcc_lo
	s_cbranch_execz .LBB252_10
; %bb.146:                              ;   in Loop: Header=BB252_12 Depth=1
	v_add_nc_u32_e32 v8, v26, v20
	s_waitcnt lgkmcnt(0)
	v_add_f32_e32 v1, v1, v7
	v_cvt_f32_i32_e32 v8, v8
	v_mul_f32_e32 v8, s36, v8
	v_cndmask_b32_e64 v7, 0, v8, s1
	v_max_f32_e32 v8, v19, v19
	v_fmac_f32_e32 v7, s35, v1
	v_add_nc_u32_e32 v1, v16, v20
	v_max_f32_e32 v8, v8, v7
	v_cmp_gt_i32_e64 s2, s33, v1
	v_cndmask_b32_e64 v1, 0, v7, s2
	v_cndmask_b32_e64 v19, v19, v8, s2
	ds_write_b32 v27, v1
	s_branch .LBB252_10
.LBB252_147:
	s_or_b32 exec_lo, exec_lo, s38
.LBB252_148:
	s_or_b32 exec_lo, exec_lo, s37
	v_xor_b32_e32 v1, 16, v17
	v_xor_b32_e32 v3, 8, v17
	v_max_f32_e32 v5, v19, v19
	v_xor_b32_e32 v6, 2, v17
	v_and_b32_e32 v16, 31, v0
	v_cmp_gt_i32_e32 vcc_lo, 32, v1
	v_cndmask_b32_e32 v1, v17, v1, vcc_lo
	v_cmp_gt_i32_e32 vcc_lo, 32, v3
	v_lshlrev_b32_e32 v2, 2, v1
	v_cndmask_b32_e32 v3, v17, v3, vcc_lo
	ds_bpermute_b32 v1, v2, v19
	v_lshlrev_b32_e32 v4, 2, v3
	s_waitcnt lgkmcnt(0)
	v_max_f32_e32 v1, v1, v1
	v_max_f32_e32 v1, v5, v1
	v_xor_b32_e32 v5, 4, v17
	ds_bpermute_b32 v3, v4, v1
	v_cmp_gt_i32_e32 vcc_lo, 32, v5
	v_cndmask_b32_e32 v5, v17, v5, vcc_lo
	v_cmp_gt_i32_e32 vcc_lo, 32, v6
	v_lshlrev_b32_e32 v5, 2, v5
	v_cndmask_b32_e32 v6, v17, v6, vcc_lo
	v_cmp_eq_u32_e32 vcc_lo, 0, v16
	s_waitcnt lgkmcnt(0)
	v_max_f32_e32 v3, v3, v3
	v_max_f32_e32 v1, v1, v3
	ds_bpermute_b32 v3, v5, v1
	s_waitcnt lgkmcnt(0)
	v_max_f32_e32 v3, v3, v3
	v_max_f32_e32 v3, v1, v3
	v_lshlrev_b32_e32 v1, 2, v6
	v_lshlrev_b32_e32 v6, 2, v13
	ds_bpermute_b32 v7, v1, v3
	s_and_saveexec_b32 s1, vcc_lo
	s_cbranch_execz .LBB252_150
; %bb.149:
	s_waitcnt lgkmcnt(0)
	v_max_f32_e32 v7, v7, v7
	v_max_f32_e32 v3, v3, v3
	;; [unrolled: 1-line block ×3, first 2 shown]
	ds_write_b32 v6, v3 offset:64
.LBB252_150:
	s_or_b32 exec_lo, exec_lo, s1
	v_cmp_gt_u32_e64 s1, 4, v16
	v_mov_b32_e32 v3, 0xff7fffff
	s_waitcnt lgkmcnt(0)
	v_lshlrev_b32_e32 v7, 2, v16
	s_barrier
	buffer_gl0_inv
	s_and_saveexec_b32 s2, s1
; %bb.151:
	ds_read_b32 v3, v7 offset:64
; %bb.152:
	s_or_b32 exec_lo, exec_lo, s2
	s_waitcnt lgkmcnt(0)
	ds_bpermute_b32 v8, v1, v3
	v_xor_b32_e32 v9, 1, v17
	v_max_f32_e32 v3, v3, v3
	v_cmp_gt_i32_e64 s2, 32, v9
	v_cndmask_b32_e64 v9, v17, v9, s2
	s_lshl_b32 s2, s20, 4
	s_min_i32 s4, s2, s33
	v_lshlrev_b32_e32 v17, 2, v9
	v_cmp_gt_i32_e64 s2, s4, v0
	s_waitcnt lgkmcnt(0)
	v_max_f32_e32 v8, v8, v8
	v_max_f32_e32 v3, v3, v8
	ds_bpermute_b32 v8, v17, v3
	s_waitcnt lgkmcnt(0)
	v_max_f32_e32 v8, v8, v8
	v_max_f32_e32 v3, v3, v8
	v_mov_b32_e32 v8, 0
	ds_bpermute_b32 v9, v8, v3
	v_lshl_add_u32 v3, v0, 2, 0x60
	s_and_saveexec_b32 s5, s2
	s_cbranch_execz .LBB252_156
; %bb.153:
	v_lshl_add_u32 v18, v0, 2, 0x60
	v_mov_b32_e32 v8, 0
	v_mov_b32_e32 v19, v0
	s_mov_b32 s12, 0
	.p2align	6
.LBB252_154:                            ; =>This Inner Loop Header: Depth=1
	ds_read_b32 v20, v18
	v_add_nc_u32_e32 v19, 0x80, v19
	v_cmp_le_i32_e64 s3, s4, v19
	s_or_b32 s12, s3, s12
	s_waitcnt lgkmcnt(0)
	v_sub_f32_e32 v20, v20, v9
	v_mul_f32_e32 v20, 0x3fb8aa3b, v20
	v_exp_f32_e32 v20, v20
	ds_write_b32 v18, v20
	v_add_f32_e32 v8, v8, v20
	v_add_nc_u32_e32 v18, 0x200, v18
	s_andn2_b32 exec_lo, exec_lo, s12
	s_cbranch_execnz .LBB252_154
; %bb.155:
	s_or_b32 exec_lo, exec_lo, s12
.LBB252_156:
	s_or_b32 exec_lo, exec_lo, s5
	ds_bpermute_b32 v2, v2, v8
	s_waitcnt lgkmcnt(0)
	v_add_f32_e32 v2, v8, v2
	ds_bpermute_b32 v4, v4, v2
	s_waitcnt lgkmcnt(0)
	v_add_f32_e32 v2, v2, v4
	;; [unrolled: 3-line block ×5, first 2 shown]
	s_and_saveexec_b32 s3, vcc_lo
; %bb.157:
	ds_write_b32 v6, v2 offset:80
; %bb.158:
	s_or_b32 exec_lo, exec_lo, s3
	s_waitcnt lgkmcnt(0)
	s_barrier
	buffer_gl0_inv
	s_and_saveexec_b32 s3, s1
; %bb.159:
	ds_read_b32 v2, v7 offset:80
; %bb.160:
	s_or_b32 exec_lo, exec_lo, s3
	s_waitcnt lgkmcnt(0)
	ds_bpermute_b32 v1, v1, v2
	s_waitcnt lgkmcnt(0)
	v_add_f32_e32 v1, v2, v1
	ds_bpermute_b32 v2, v17, v1
	s_waitcnt lgkmcnt(0)
	v_add_f32_e32 v1, v1, v2
	v_mov_b32_e32 v2, 0
	ds_bpermute_b32 v1, v2, v1
	s_and_saveexec_b32 s1, s2
	s_cbranch_execz .LBB252_163
; %bb.161:
	s_waitcnt lgkmcnt(0)
	v_add_f32_e32 v1, 0x358637bd, v1
	s_mov_b32 s2, 0
	v_div_scale_f32 v2, null, v1, v1, 1.0
	v_div_scale_f32 v6, vcc_lo, 1.0, v1, 1.0
	v_rcp_f32_e32 v4, v2
	v_fma_f32 v5, -v2, v4, 1.0
	v_fmac_f32_e32 v4, v5, v4
	v_mul_f32_e32 v5, v6, v4
	v_fma_f32 v7, -v2, v5, v6
	v_fmac_f32_e32 v5, v7, v4
	v_fma_f32 v2, -v2, v5, v6
	v_div_fmas_f32 v2, v2, v4, v5
	v_div_fixup_f32 v1, v2, v1, 1.0
	v_mov_b32_e32 v2, v0
.LBB252_162:                            ; =>This Inner Loop Header: Depth=1
	ds_read_b32 v4, v3
	v_add_nc_u32_e32 v2, 0x80, v2
	v_cmp_le_i32_e32 vcc_lo, s4, v2
	s_or_b32 s2, vcc_lo, s2
	s_waitcnt lgkmcnt(0)
	v_mul_f32_e32 v4, v1, v4
	ds_write_b32 v3, v4
	v_add_nc_u32_e32 v3, 0x200, v3
	s_andn2_b32 exec_lo, exec_lo, s2
	s_cbranch_execnz .LBB252_162
.LBB252_163:
	s_or_b32 exec_lo, exec_lo, s1
	v_mov_b32_e32 v20, 0
	v_mov_b32_e32 v19, 0
	s_waitcnt lgkmcnt(0)
	s_barrier
	buffer_gl0_inv
	s_and_saveexec_b32 s1, s0
	s_cbranch_execz .LBB252_301
; %bb.164:
	s_sub_i32 s4, s34, s21
	s_ashr_i32 s0, s18, 31
	s_add_u32 s18, s30, s18
	s_addc_u32 s0, s31, s0
	s_abs_i32 s5, s22
	v_and_b32_e32 v3, 0xf8, v10
	v_cvt_f32_u32_e32 v1, s5
	s_sub_i32 s2, 0, s5
	v_lshlrev_b32_e32 v6, 5, v12
	v_and_b32_e32 v5, 0x7c, v15
	s_mov_b32 s12, s17
	v_rcp_iflag_f32_e32 v1, v1
	v_add_co_u32 v3, s17, s18, v3
	s_add_i32 s13, s20, -1
	v_lshl_or_b32 v8, v13, 6, v6
	v_add_co_ci_u32_e64 v4, null, s0, 0, s17
	v_and_b32_e32 v18, 8, v10
	v_mov_b32_e32 v2, 0
	v_mov_b32_e32 v15, 0x80
	v_mul_f32_e32 v1, 0x4f7ffffe, v1
	v_mov_b32_e32 v21, 0x7f
	v_mov_b32_e32 v22, 7
	;; [unrolled: 1-line block ×4, first 2 shown]
	v_cvt_u32_f32_e32 v1, v1
	v_mov_b32_e32 v19, 0
	v_add_nc_u32_e32 v25, 0x60, v8
	v_mov_b32_e32 v20, 0
	s_mov_b32 s17, 0
	v_mul_lo_u32 v7, s2, v1
	s_lshl_b64 s[2:3], s[28:29], 2
	s_add_u32 s0, s26, s2
	s_addc_u32 s2, s27, s3
	v_add_co_u32 v5, s0, s0, v5
	v_add_co_ci_u32_e64 v6, null, s2, 0, s0
	v_mul_hi_u32 v7, v1, v7
	s_mov_b32 s2, -1
	s_mov_b32 s3, 0xffffff
	v_add_nc_u32_e32 v26, v1, v7
	s_branch .LBB252_167
.LBB252_165:                            ;   in Loop: Header=BB252_167 Depth=1
	s_or_b32 exec_lo, exec_lo, s0
	;;#ASMSTART
	v_pk_mul_f16 v1, v39, v45;

	;;#ASMEND
	;;#ASMSTART
	v_pk_mul_f16 v7, v37, v40;

	;;#ASMEND
	;;#ASMSTART
	v_pk_mul_f16 v9, v36, v38;

	;;#ASMEND
	;;#ASMSTART
	v_pk_mul_f16 v8, v34, v8;

	;;#ASMEND
	;;#ASMSTART
	v_pk_add_f16 v1, v1, v7;

	;;#ASMEND
	;;#ASMSTART
	v_pk_add_f16 v1, v1, v9;

	;;#ASMEND
	;; [unrolled: 4-line block ×3, first 2 shown]
	v_and_b32_e32 v7, 0xffff, v1
	v_lshrrev_b32_e32 v8, 16, v1
	;;#ASMSTART
	v_cvt_f32_f16 v7, v7;
	;;#ASMEND
	v_add_f32_e32 v1, v33, v35
	;;#ASMSTART
	v_cvt_f32_f16 v8, v8;
	;;#ASMEND
	v_add_f32_e32 v7, v7, v8
	v_add_f32_e32 v19, v19, v1
	;; [unrolled: 1-line block ×3, first 2 shown]
.LBB252_166:                            ;   in Loop: Header=BB252_167 Depth=1
	s_or_b32 exec_lo, exec_lo, s18
	v_add_nc_u32_e32 v24, 4, v24
	v_add_co_u32 v5, s0, v5, 16
	v_add_co_ci_u32_e64 v6, null, 0, v6, s0
	v_cmp_le_i32_e32 vcc_lo, s20, v24
	v_add_nc_u32_e32 v14, 64, v14
	v_add_nc_u32_e32 v25, 0x100, v25
	s_or_b32 s17, vcc_lo, s17
	s_andn2_b32 exec_lo, exec_lo, s17
	s_cbranch_execz .LBB252_300
.LBB252_167:                            ; =>This Inner Loop Header: Depth=1
	v_mul_hi_u32 v1, v14, s19
	v_mul_lo_u32 v7, v1, s16
	v_add_nc_u32_e32 v8, 1, v1
	v_sub_nc_u32_e32 v7, v14, v7
	v_subrev_nc_u32_e32 v9, s16, v7
	v_cmp_le_u32_e32 vcc_lo, s16, v7
	v_cndmask_b32_e32 v1, v1, v8, vcc_lo
	v_cndmask_b32_e32 v7, v7, v9, vcc_lo
	v_add_nc_u32_e32 v8, 1, v1
	v_cmp_le_u32_e32 vcc_lo, s16, v7
	v_cndmask_b32_e32 v1, v1, v8, vcc_lo
	v_xor_b32_e32 v1, s23, v1
	v_subrev_nc_u32_e32 v1, s23, v1
	v_add_nc_u32_e32 v7, s25, v1
	v_cmp_lt_i32_e64 s0, s4, v1
	v_sub_nc_u32_e32 v8, 0, v7
	v_max_i32_e32 v8, v7, v8
	v_ashrrev_i32_e32 v7, 31, v7
	v_mul_hi_u32 v9, v8, v26
	v_mul_lo_u32 v9, v9, s5
	v_sub_nc_u32_e32 v8, v8, v9
	v_subrev_nc_u32_e32 v9, s5, v8
	v_cmp_le_u32_e32 vcc_lo, s5, v8
	v_cndmask_b32_e32 v8, v8, v9, vcc_lo
	v_subrev_nc_u32_e32 v9, s5, v8
	v_cmp_le_u32_e32 vcc_lo, s5, v8
	v_cndmask_b32_e32 v8, v8, v9, vcc_lo
	v_xor_b32_e32 v8, v8, v7
	v_sub_nc_u32_e32 v7, v8, v7
	v_cmp_eq_u32_e32 vcc_lo, 0, v7
	s_or_b32 s0, vcc_lo, s0
	s_and_saveexec_b32 s18, s0
	s_cbranch_execz .LBB252_166
; %bb.168:                              ;   in Loop: Header=BB252_167 Depth=1
	global_load_dword v1, v[5:6], off
	ds_read2_b64 v[27:30], v25 offset1:1
	ds_read2_b64 v[39:42], v25 offset0:2 offset1:3
	s_waitcnt lgkmcnt(1)
	;;#ASMSTART
	v_cvt_f16_f32 v33, v27;

	;;#ASMEND
	;;#ASMSTART
	v_cvt_f16_f32 v34, v28;

	;;#ASMEND
	;; [unrolled: 4-line block ×4, first 2 shown]
	s_waitcnt lgkmcnt(0)
	;;#ASMSTART
	v_cvt_f16_f32 v39, v39;

	;;#ASMEND
	;;#ASMSTART
	v_cvt_f16_f32 v36, v40;

	;;#ASMEND
	;; [unrolled: 4-line block ×4, first 2 shown]
	v_mov_b32_e32 v28, 0
	v_mov_b32_e32 v29, 0
	global_load_dword v27, v28, s[14:15]
	s_waitcnt vmcnt(1)
	v_mad_i64_i32 v[7:8], null, v1, s12, v[3:4]
	global_load_dwordx2 v[9:10], v[7:8], off
	s_waitcnt vmcnt(0)
	v_cmp_ne_u16_sdwa s21, v9, v2 src0_sel:BYTE_0 src1_sel:DWORD
	s_and_saveexec_b32 s0, s21
	s_cbranch_execz .LBB252_176
; %bb.169:                              ;   in Loop: Header=BB252_167 Depth=1
	v_cmp_ne_u16_sdwa s22, v9, v15 src0_sel:BYTE_0 src1_sel:DWORD
	v_mov_b32_e32 v29, 0x8000
	s_and_saveexec_b32 s21, s22
	s_cbranch_execz .LBB252_175
; %bb.170:                              ;   in Loop: Header=BB252_167 Depth=1
	v_and_b32_e32 v30, 0x7f, v9
	v_mov_b32_e32 v29, 0x7c01
	s_mov_b32 s22, exec_lo
	v_cmpx_ne_u32_e32 0x7f, v30
	s_cbranch_execz .LBB252_174
; %bb.171:                              ;   in Loop: Header=BB252_167 Depth=1
	v_and_b32_e32 v1, 7, v9
	v_lshrrev_b32_e32 v29, 3, v30
	s_mov_b32 s26, exec_lo
	v_cmpx_gt_u32_e32 8, v30
; %bb.172:                              ;   in Loop: Header=BB252_167 Depth=1
	v_ffbh_u32_e32 v1, v1
	v_min_u32_e32 v1, 32, v1
	v_subrev_nc_u32_e32 v29, 28, v1
	v_lshlrev_b64 v[30:31], v29, v[9:10]
	v_sub_nc_u32_e32 v29, 29, v1
	v_and_b32_e32 v1, 7, v30
; %bb.173:                              ;   in Loop: Header=BB252_167 Depth=1
	s_or_b32 exec_lo, exec_lo, s26
	v_lshlrev_b32_e32 v30, 8, v9
	v_lshl_add_u32 v29, v29, 10, 0x2000
	v_lshlrev_b32_e32 v1, 7, v1
	v_and_b32_e32 v30, 0x8000, v30
	v_and_b32_e32 v29, 0xfc00, v29
	v_or3_b32 v29, v30, v29, v1
.LBB252_174:                            ;   in Loop: Header=BB252_167 Depth=1
	s_or_b32 exec_lo, exec_lo, s22
.LBB252_175:                            ;   in Loop: Header=BB252_167 Depth=1
	s_or_b32 exec_lo, exec_lo, s21
.LBB252_176:                            ;   in Loop: Header=BB252_167 Depth=1
	s_or_b32 exec_lo, exec_lo, s0
	v_lshrrev_b16 v1, 8, v9
	s_mov_b32 s0, exec_lo
	v_cmpx_ne_u16_e32 0, v1
	s_cbranch_execz .LBB252_184
; %bb.177:                              ;   in Loop: Header=BB252_167 Depth=1
	v_bfrev_b32_e32 v28, 1
	s_mov_b32 s21, exec_lo
	v_cmpx_ne_u16_e32 0x80, v1
	s_cbranch_execz .LBB252_183
; %bb.178:                              ;   in Loop: Header=BB252_167 Depth=1
	v_and_b32_sdwa v31, v1, v21 dst_sel:DWORD dst_unused:UNUSED_PAD src0_sel:WORD_0 src1_sel:DWORD
	v_mov_b32_e32 v28, 0x7c010000
	s_mov_b32 s22, exec_lo
	v_cmpx_ne_u32_e32 0x7f, v31
	s_cbranch_execz .LBB252_182
; %bb.179:                              ;   in Loop: Header=BB252_167 Depth=1
	v_and_b32_sdwa v28, v1, v22 dst_sel:DWORD dst_unused:UNUSED_PAD src0_sel:WORD_0 src1_sel:DWORD
	v_lshrrev_b32_e32 v30, 3, v31
	s_mov_b32 s26, exec_lo
	v_cmpx_gt_u32_e32 8, v31
; %bb.180:                              ;   in Loop: Header=BB252_167 Depth=1
	v_ffbh_u32_e32 v28, v28
	v_min_u32_e32 v28, 32, v28
	v_subrev_nc_u32_e32 v30, 28, v28
	v_lshlrev_b64 v[31:32], v30, v[1:2]
	v_sub_nc_u32_e32 v30, 29, v28
	v_and_b32_e32 v28, 7, v31
; %bb.181:                              ;   in Loop: Header=BB252_167 Depth=1
	s_or_b32 exec_lo, exec_lo, s26
	v_lshlrev_b32_sdwa v1, v23, v1 dst_sel:DWORD dst_unused:UNUSED_PAD src0_sel:DWORD src1_sel:WORD_0
	v_lshl_add_u32 v30, v30, 10, 0x2000
	v_lshlrev_b32_e32 v28, 23, v28
	v_and_or_b32 v1, 0x8000, v1, v30
	v_lshl_or_b32 v28, v1, 16, v28
.LBB252_182:                            ;   in Loop: Header=BB252_167 Depth=1
	s_or_b32 exec_lo, exec_lo, s22
.LBB252_183:                            ;   in Loop: Header=BB252_167 Depth=1
	s_or_b32 exec_lo, exec_lo, s21
.LBB252_184:                            ;   in Loop: Header=BB252_167 Depth=1
	s_or_b32 exec_lo, exec_lo, s0
	v_lshrrev_b32_e32 v1, 16, v9
	v_mov_b32_e32 v30, 0
	v_mov_b32_e32 v31, 0
	v_cmp_ne_u16_sdwa s21, v1, v2 src0_sel:BYTE_0 src1_sel:DWORD
	s_and_saveexec_b32 s0, s21
	s_cbranch_execz .LBB252_192
; %bb.185:                              ;   in Loop: Header=BB252_167 Depth=1
	v_cmp_ne_u16_sdwa s22, v1, v15 src0_sel:BYTE_0 src1_sel:DWORD
	v_mov_b32_e32 v31, 0x8000
	s_and_saveexec_b32 s21, s22
	s_cbranch_execz .LBB252_191
; %bb.186:                              ;   in Loop: Header=BB252_167 Depth=1
	v_bfe_u32 v41, v9, 16, 7
	v_mov_b32_e32 v31, 0x7c01
	s_mov_b32 s22, exec_lo
	v_cmpx_ne_u32_e32 0x7f, v41
	s_cbranch_execz .LBB252_190
; %bb.187:                              ;   in Loop: Header=BB252_167 Depth=1
	v_and_b32_e32 v31, 7, v1
	v_lshrrev_b32_e32 v32, 3, v41
	s_mov_b32 s26, exec_lo
	v_cmpx_gt_u32_e32 8, v41
; %bb.188:                              ;   in Loop: Header=BB252_167 Depth=1
	v_ffbh_u32_e32 v31, v31
	v_min_u32_e32 v41, 32, v31
	v_subrev_nc_u32_e32 v31, 28, v41
	v_lshlrev_b64 v[31:32], v31, v[1:2]
	v_sub_nc_u32_e32 v32, 29, v41
	v_and_b32_e32 v31, 7, v31
; %bb.189:                              ;   in Loop: Header=BB252_167 Depth=1
	s_or_b32 exec_lo, exec_lo, s26
	v_lshlrev_b32_e32 v1, 8, v1
	v_lshl_add_u32 v32, v32, 10, 0x2000
	v_lshlrev_b32_e32 v31, 7, v31
	v_and_b32_e32 v1, 0x8000, v1
	v_and_b32_e32 v32, 0xfc00, v32
	v_or3_b32 v31, v1, v32, v31
.LBB252_190:                            ;   in Loop: Header=BB252_167 Depth=1
	s_or_b32 exec_lo, exec_lo, s22
.LBB252_191:                            ;   in Loop: Header=BB252_167 Depth=1
	s_or_b32 exec_lo, exec_lo, s21
.LBB252_192:                            ;   in Loop: Header=BB252_167 Depth=1
	s_or_b32 exec_lo, exec_lo, s0
	s_mov_b32 s0, exec_lo
	v_cmpx_lt_u32_e32 0xffffff, v9
	s_cbranch_execz .LBB252_200
; %bb.193:                              ;   in Loop: Header=BB252_167 Depth=1
	v_lshrrev_b32_e32 v1, 24, v9
	v_bfrev_b32_e32 v30, 1
	s_mov_b32 s21, exec_lo
	v_cmpx_ne_u32_e32 0x80, v1
	s_cbranch_execz .LBB252_199
; %bb.194:                              ;   in Loop: Header=BB252_167 Depth=1
	v_and_b32_e32 v41, 0x7f, v1
	v_mov_b32_e32 v30, 0x7c010000
	s_mov_b32 s22, exec_lo
	v_cmpx_ne_u32_e32 0x7f, v41
	s_cbranch_execz .LBB252_198
; %bb.195:                              ;   in Loop: Header=BB252_167 Depth=1
	v_and_b32_e32 v30, 7, v1
	v_lshrrev_b32_e32 v32, 3, v41
	s_mov_b32 s26, exec_lo
	v_cmpx_gt_u32_e32 8, v41
; %bb.196:                              ;   in Loop: Header=BB252_167 Depth=1
	v_ffbh_u32_e32 v30, v30
	v_min_u32_e32 v30, 32, v30
	v_subrev_nc_u32_e32 v32, 28, v30
	v_lshlrev_b64 v[41:42], v32, v[1:2]
	v_sub_nc_u32_e32 v32, 29, v30
	v_and_b32_e32 v30, 7, v41
; %bb.197:                              ;   in Loop: Header=BB252_167 Depth=1
	s_or_b32 exec_lo, exec_lo, s26
	v_lshlrev_b32_e32 v1, 8, v1
	v_lshl_add_u32 v32, v32, 10, 0x2000
	v_lshlrev_b32_e32 v30, 23, v30
	v_and_or_b32 v1, 0x8000, v1, v32
	v_lshl_or_b32 v30, v1, 16, v30
.LBB252_198:                            ;   in Loop: Header=BB252_167 Depth=1
	s_or_b32 exec_lo, exec_lo, s22
.LBB252_199:                            ;   in Loop: Header=BB252_167 Depth=1
	s_or_b32 exec_lo, exec_lo, s21
.LBB252_200:                            ;   in Loop: Header=BB252_167 Depth=1
	s_or_b32 exec_lo, exec_lo, s0
	v_mov_b32_e32 v1, v10
	v_cmp_ne_u16_sdwa s21, v10, v2 src0_sel:BYTE_0 src1_sel:DWORD
	v_mov_b32_e32 v32, 0
	v_mov_b32_e32 v41, 0
	s_and_saveexec_b32 s0, s21
	s_cbranch_execz .LBB252_208
; %bb.201:                              ;   in Loop: Header=BB252_167 Depth=1
	v_cmp_ne_u16_sdwa s22, v10, v15 src0_sel:BYTE_0 src1_sel:DWORD
	v_mov_b32_e32 v41, 0x8000
	s_and_saveexec_b32 s21, s22
	s_cbranch_execz .LBB252_207
; %bb.202:                              ;   in Loop: Header=BB252_167 Depth=1
	v_and_b32_e32 v43, 0x7f, v10
	v_mov_b32_e32 v41, 0x7c01
	s_mov_b32 s22, exec_lo
	v_cmpx_ne_u32_e32 0x7f, v43
	s_cbranch_execz .LBB252_206
; %bb.203:                              ;   in Loop: Header=BB252_167 Depth=1
	v_and_b32_e32 v41, 7, v10
	v_lshrrev_b32_e32 v42, 3, v43
	s_mov_b32 s26, exec_lo
	v_cmpx_gt_u32_e32 8, v43
; %bb.204:                              ;   in Loop: Header=BB252_167 Depth=1
	v_ffbh_u32_e32 v41, v41
	v_min_u32_e32 v43, 32, v41
	v_subrev_nc_u32_e32 v41, 28, v43
	v_lshlrev_b64 v[41:42], v41, v[1:2]
	v_sub_nc_u32_e32 v42, 29, v43
	v_and_b32_e32 v41, 7, v41
; %bb.205:                              ;   in Loop: Header=BB252_167 Depth=1
	s_or_b32 exec_lo, exec_lo, s26
	v_lshlrev_b32_e32 v43, 8, v10
	v_lshl_add_u32 v42, v42, 10, 0x2000
	v_lshlrev_b32_e32 v41, 7, v41
	v_and_b32_e32 v43, 0x8000, v43
	v_and_b32_e32 v42, 0xfc00, v42
	v_or3_b32 v41, v43, v42, v41
.LBB252_206:                            ;   in Loop: Header=BB252_167 Depth=1
	s_or_b32 exec_lo, exec_lo, s22
.LBB252_207:                            ;   in Loop: Header=BB252_167 Depth=1
	s_or_b32 exec_lo, exec_lo, s21
.LBB252_208:                            ;   in Loop: Header=BB252_167 Depth=1
	s_or_b32 exec_lo, exec_lo, s0
	v_lshrrev_b16 v1, 8, v1
	v_mov_b32_e32 v42, 0
	s_mov_b32 s0, exec_lo
	v_cmpx_ne_u16_e32 0, v1
	s_cbranch_execz .LBB252_216
; %bb.209:                              ;   in Loop: Header=BB252_167 Depth=1
	v_bfrev_b32_e32 v42, 1
	s_mov_b32 s21, exec_lo
	v_cmpx_ne_u16_e32 0x80, v1
	s_cbranch_execz .LBB252_215
; %bb.210:                              ;   in Loop: Header=BB252_167 Depth=1
	v_and_b32_sdwa v44, v1, v21 dst_sel:DWORD dst_unused:UNUSED_PAD src0_sel:WORD_0 src1_sel:DWORD
	v_mov_b32_e32 v42, 0x7c010000
	s_mov_b32 s22, exec_lo
	v_cmpx_ne_u32_e32 0x7f, v44
	s_cbranch_execz .LBB252_214
; %bb.211:                              ;   in Loop: Header=BB252_167 Depth=1
	v_and_b32_sdwa v42, v1, v22 dst_sel:DWORD dst_unused:UNUSED_PAD src0_sel:WORD_0 src1_sel:DWORD
	v_lshrrev_b32_e32 v43, 3, v44
	s_mov_b32 s26, exec_lo
	v_cmpx_gt_u32_e32 8, v44
; %bb.212:                              ;   in Loop: Header=BB252_167 Depth=1
	v_ffbh_u32_e32 v42, v42
	v_min_u32_e32 v44, 32, v42
	v_subrev_nc_u32_e32 v42, 28, v44
	v_lshlrev_b64 v[42:43], v42, v[1:2]
	v_sub_nc_u32_e32 v43, 29, v44
	v_and_b32_e32 v42, 7, v42
; %bb.213:                              ;   in Loop: Header=BB252_167 Depth=1
	s_or_b32 exec_lo, exec_lo, s26
	v_lshlrev_b32_sdwa v1, v23, v1 dst_sel:DWORD dst_unused:UNUSED_PAD src0_sel:DWORD src1_sel:WORD_0
	v_lshl_add_u32 v43, v43, 10, 0x2000
	v_lshlrev_b32_e32 v42, 23, v42
	v_and_or_b32 v1, 0x8000, v1, v43
	v_lshl_or_b32 v42, v1, 16, v42
.LBB252_214:                            ;   in Loop: Header=BB252_167 Depth=1
	s_or_b32 exec_lo, exec_lo, s22
.LBB252_215:                            ;   in Loop: Header=BB252_167 Depth=1
	s_or_b32 exec_lo, exec_lo, s21
.LBB252_216:                            ;   in Loop: Header=BB252_167 Depth=1
	s_or_b32 exec_lo, exec_lo, s0
	v_lshrrev_b32_e32 v1, 16, v10
	v_cmp_ne_u16_sdwa s21, v1, v2 src0_sel:BYTE_0 src1_sel:DWORD
	s_and_saveexec_b32 s0, s21
	s_cbranch_execz .LBB252_224
; %bb.217:                              ;   in Loop: Header=BB252_167 Depth=1
	v_cmp_ne_u16_sdwa s22, v1, v15 src0_sel:BYTE_0 src1_sel:DWORD
	v_mov_b32_e32 v32, 0x8000
	s_and_saveexec_b32 s21, s22
	s_cbranch_execz .LBB252_223
; %bb.218:                              ;   in Loop: Header=BB252_167 Depth=1
	v_bfe_u32 v44, v10, 16, 7
	v_mov_b32_e32 v32, 0x7c01
	s_mov_b32 s22, exec_lo
	v_cmpx_ne_u32_e32 0x7f, v44
	s_cbranch_execz .LBB252_222
; %bb.219:                              ;   in Loop: Header=BB252_167 Depth=1
	v_and_b32_e32 v32, 7, v1
	v_lshrrev_b32_e32 v43, 3, v44
	s_mov_b32 s26, exec_lo
	v_cmpx_gt_u32_e32 8, v44
; %bb.220:                              ;   in Loop: Header=BB252_167 Depth=1
	v_ffbh_u32_e32 v32, v32
	v_min_u32_e32 v32, 32, v32
	v_subrev_nc_u32_e32 v43, 28, v32
	v_lshlrev_b64 v[44:45], v43, v[1:2]
	v_sub_nc_u32_e32 v43, 29, v32
	v_and_b32_e32 v32, 7, v44
; %bb.221:                              ;   in Loop: Header=BB252_167 Depth=1
	s_or_b32 exec_lo, exec_lo, s26
	v_lshlrev_b32_e32 v1, 8, v1
	v_lshl_add_u32 v43, v43, 10, 0x2000
	v_lshlrev_b32_e32 v32, 7, v32
	v_and_b32_e32 v1, 0x8000, v1
	v_and_b32_e32 v43, 0xfc00, v43
	v_or3_b32 v32, v1, v43, v32
.LBB252_222:                            ;   in Loop: Header=BB252_167 Depth=1
	s_or_b32 exec_lo, exec_lo, s22
.LBB252_223:                            ;   in Loop: Header=BB252_167 Depth=1
	s_or_b32 exec_lo, exec_lo, s21
.LBB252_224:                            ;   in Loop: Header=BB252_167 Depth=1
	s_or_b32 exec_lo, exec_lo, s0
	v_mov_b32_e32 v43, 0
	s_mov_b32 s0, exec_lo
	v_cmpx_lt_u64_e64 s[2:3], v[9:10]
	s_cbranch_execz .LBB252_232
; %bb.225:                              ;   in Loop: Header=BB252_167 Depth=1
	v_lshrrev_b32_e32 v1, 24, v10
	v_bfrev_b32_e32 v43, 1
	s_mov_b32 s21, exec_lo
	v_cmpx_ne_u32_e32 0x80, v1
	s_cbranch_execz .LBB252_231
; %bb.226:                              ;   in Loop: Header=BB252_167 Depth=1
	v_and_b32_e32 v44, 0x7f, v1
	v_mov_b32_e32 v43, 0x7c010000
	s_mov_b32 s22, exec_lo
	v_cmpx_ne_u32_e32 0x7f, v44
	s_cbranch_execz .LBB252_230
; %bb.227:                              ;   in Loop: Header=BB252_167 Depth=1
	v_and_b32_e32 v9, 7, v1
	v_lshrrev_b32_e32 v10, 3, v44
	s_mov_b32 s26, exec_lo
	v_cmpx_gt_u32_e32 8, v44
; %bb.228:                              ;   in Loop: Header=BB252_167 Depth=1
	v_ffbh_u32_e32 v9, v9
	v_min_u32_e32 v43, 32, v9
	v_subrev_nc_u32_e32 v9, 28, v43
	v_lshlrev_b64 v[9:10], v9, v[1:2]
	v_sub_nc_u32_e32 v10, 29, v43
	v_and_b32_e32 v9, 7, v9
; %bb.229:                              ;   in Loop: Header=BB252_167 Depth=1
	s_or_b32 exec_lo, exec_lo, s26
	v_lshlrev_b32_e32 v1, 8, v1
	v_lshl_add_u32 v10, v10, 10, 0x2000
	v_lshlrev_b32_e32 v9, 23, v9
	v_and_or_b32 v1, 0x8000, v1, v10
	v_lshl_or_b32 v43, v1, 16, v9
.LBB252_230:                            ;   in Loop: Header=BB252_167 Depth=1
	s_or_b32 exec_lo, exec_lo, s22
.LBB252_231:                            ;   in Loop: Header=BB252_167 Depth=1
	s_or_b32 exec_lo, exec_lo, s21
.LBB252_232:                            ;   in Loop: Header=BB252_167 Depth=1
	s_or_b32 exec_lo, exec_lo, s0
	v_or_b32_e32 v1, v30, v31
	v_fma_mixlo_f16 v10, v27, v30, 0 op_sel:[0,1,0] op_sel_hi:[0,1,0]
	v_or_b32_e32 v29, v28, v29
	v_fma_mixlo_f16 v28, v27, v28, 0 op_sel:[0,1,0] op_sel_hi:[0,1,0]
	v_or_b32_e32 v30, v42, v41
	v_fma_mixlo_f16 v1, v27, v1, 0 op_sel_hi:[0,1,0]
	v_or_b32_e32 v31, v43, v32
	v_lshlrev_b32_e32 v41, 16, v10
	v_lshlrev_b32_e32 v49, 16, v28
	v_fma_mixlo_f16 v10, v27, v42, 0 op_sel:[0,1,0] op_sel_hi:[0,1,0]
	v_and_b32_e32 v46, 0xffff, v1
	v_fma_mixlo_f16 v1, v27, v29, 0 op_sel_hi:[0,1,0]
	v_fma_mixlo_f16 v28, v27, v30, 0 op_sel_hi:[0,1,0]
	v_fma_mixlo_f16 v29, v27, v43, 0 op_sel:[0,1,0] op_sel_hi:[0,1,0]
	v_fma_mixlo_f16 v27, v27, v31, 0 op_sel_hi:[0,1,0]
	v_add_nc_u32_e32 v9, v18, v14
	v_and_b32_e32 v51, 0xffff, v1
	v_lshlrev_b32_e32 v47, 16, v10
	v_and_b32_e32 v50, 0xffff, v28
	v_lshlrev_b32_e32 v44, 16, v29
	v_and_b32_e32 v48, 0xffff, v27
	v_cmp_eq_u32_e32 vcc_lo, s13, v24
	v_or_b32_e32 v1, v41, v46
	v_or_b32_e32 v42, v49, v51
	;; [unrolled: 1-line block ×4, first 2 shown]
	v_add_nc_u32_e32 v32, 1, v9
	v_add_nc_u32_e32 v31, 2, v9
	;; [unrolled: 1-line block ×7, first 2 shown]
	s_and_saveexec_b32 s21, vcc_lo
	s_cbranch_execz .LBB252_234
; %bb.233:                              ;   in Loop: Header=BB252_167 Depth=1
	v_cmp_gt_i32_e64 s0, s33, v9
	v_cndmask_b32_e64 v1, 0, v51, s0
	v_cmp_gt_i32_e64 s0, s33, v32
	v_cndmask_b32_e64 v42, 0, v49, s0
	v_cmp_gt_i32_e64 s0, s33, v31
	v_or_b32_e32 v42, v42, v1
	v_cndmask_b32_e64 v43, 0, v46, s0
	v_cmp_gt_i32_e64 s0, s33, v30
	v_cndmask_b32_e64 v41, 0, v41, s0
	v_cmp_gt_i32_e64 s0, s33, v29
	v_or_b32_e32 v1, v41, v43
	;; [unrolled: 5-line block ×3, first 2 shown]
	v_cndmask_b32_e64 v47, 0, v48, s0
	v_cmp_gt_i32_e64 s0, s33, v10
	v_cndmask_b32_e64 v44, 0, v44, s0
	v_or_b32_e32 v45, v44, v47
.LBB252_234:                            ;   in Loop: Header=BB252_167 Depth=1
	s_or_b32 exec_lo, exec_lo, s21
	v_and_b32_e32 v33, 0xffff, v33
	v_and_b32_e32 v37, 0xffff, v37
	;; [unrolled: 1-line block ×4, first 2 shown]
	v_lshl_or_b32 v39, v34, 16, v33
	v_lshl_or_b32 v37, v35, 16, v37
	;;#ASMSTART
	v_pk_mul_f16 v33, v39, v42;

	;;#ASMEND
	;;#ASMSTART
	v_pk_mul_f16 v1, v37, v1;

	;;#ASMEND
	v_lshl_or_b32 v36, v36, 16, v41
	v_lshl_or_b32 v34, v38, 16, v40
	;;#ASMSTART
	v_pk_mul_f16 v35, v36, v43;

	;;#ASMEND
	;;#ASMSTART
	v_pk_mul_f16 v38, v34, v45;

	;;#ASMEND
	;;#ASMSTART
	v_pk_add_f16 v1, v33, v1;

	;;#ASMEND
	;;#ASMSTART
	v_pk_add_f16 v1, v1, v35;
	;; [unrolled: 4-line block ×3, first 2 shown]

	;;#ASMEND
	v_and_b32_e32 v33, 0xffff, v1
	v_lshrrev_b32_e32 v1, 16, v1
	;;#ASMSTART
	v_cvt_f32_f16 v33, v33;
	;;#ASMEND
	;;#ASMSTART
	v_cvt_f32_f16 v35, v1;
	;;#ASMEND
	global_load_dwordx2 v[7:8], v[7:8], off offset:256
	v_mov_b32_e32 v40, 0
	v_mov_b32_e32 v41, 0
	global_load_dword v38, v40, s[14:15]
	s_waitcnt vmcnt(1)
	v_cmp_ne_u16_sdwa s0, v7, v2 src0_sel:BYTE_0 src1_sel:DWORD
	s_and_saveexec_b32 s21, s0
	s_cbranch_execz .LBB252_242
; %bb.235:                              ;   in Loop: Header=BB252_167 Depth=1
	v_cmp_ne_u16_sdwa s0, v7, v15 src0_sel:BYTE_0 src1_sel:DWORD
	v_mov_b32_e32 v41, 0x8000
	s_and_saveexec_b32 s22, s0
	s_cbranch_execz .LBB252_241
; %bb.236:                              ;   in Loop: Header=BB252_167 Depth=1
	v_and_b32_e32 v42, 0x7f, v7
	v_mov_b32_e32 v41, 0x7c01
	s_mov_b32 s26, exec_lo
	v_cmpx_ne_u32_e32 0x7f, v42
	s_cbranch_execz .LBB252_240
; %bb.237:                              ;   in Loop: Header=BB252_167 Depth=1
	v_and_b32_e32 v1, 7, v7
	v_lshrrev_b32_e32 v41, 3, v42
	s_mov_b32 s27, exec_lo
	v_cmpx_gt_u32_e32 8, v42
; %bb.238:                              ;   in Loop: Header=BB252_167 Depth=1
	v_ffbh_u32_e32 v1, v1
	v_min_u32_e32 v1, 32, v1
	v_subrev_nc_u32_e32 v41, 28, v1
	v_lshlrev_b64 v[42:43], v41, v[7:8]
	v_sub_nc_u32_e32 v41, 29, v1
	v_and_b32_e32 v1, 7, v42
; %bb.239:                              ;   in Loop: Header=BB252_167 Depth=1
	s_or_b32 exec_lo, exec_lo, s27
	v_lshlrev_b32_e32 v42, 8, v7
	v_lshl_add_u32 v41, v41, 10, 0x2000
	v_lshlrev_b32_e32 v1, 7, v1
	v_and_b32_e32 v42, 0x8000, v42
	v_and_b32_e32 v41, 0xfc00, v41
	v_or3_b32 v41, v42, v41, v1
.LBB252_240:                            ;   in Loop: Header=BB252_167 Depth=1
	s_or_b32 exec_lo, exec_lo, s26
.LBB252_241:                            ;   in Loop: Header=BB252_167 Depth=1
	s_or_b32 exec_lo, exec_lo, s22
.LBB252_242:                            ;   in Loop: Header=BB252_167 Depth=1
	s_or_b32 exec_lo, exec_lo, s21
	v_lshrrev_b16 v1, 8, v7
	s_mov_b32 s21, exec_lo
	v_cmpx_ne_u16_e32 0, v1
	s_cbranch_execz .LBB252_250
; %bb.243:                              ;   in Loop: Header=BB252_167 Depth=1
	v_bfrev_b32_e32 v40, 1
	s_mov_b32 s22, exec_lo
	v_cmpx_ne_u16_e32 0x80, v1
	s_cbranch_execz .LBB252_249
; %bb.244:                              ;   in Loop: Header=BB252_167 Depth=1
	v_and_b32_sdwa v43, v1, v21 dst_sel:DWORD dst_unused:UNUSED_PAD src0_sel:WORD_0 src1_sel:DWORD
	v_mov_b32_e32 v40, 0x7c010000
	s_mov_b32 s26, exec_lo
	v_cmpx_ne_u32_e32 0x7f, v43
	s_cbranch_execz .LBB252_248
; %bb.245:                              ;   in Loop: Header=BB252_167 Depth=1
	v_and_b32_sdwa v40, v1, v22 dst_sel:DWORD dst_unused:UNUSED_PAD src0_sel:WORD_0 src1_sel:DWORD
	v_lshrrev_b32_e32 v42, 3, v43
	s_mov_b32 s27, exec_lo
	v_cmpx_gt_u32_e32 8, v43
; %bb.246:                              ;   in Loop: Header=BB252_167 Depth=1
	v_ffbh_u32_e32 v40, v40
	v_min_u32_e32 v40, 32, v40
	v_subrev_nc_u32_e32 v42, 28, v40
	v_lshlrev_b64 v[43:44], v42, v[1:2]
	v_sub_nc_u32_e32 v42, 29, v40
	v_and_b32_e32 v40, 7, v43
; %bb.247:                              ;   in Loop: Header=BB252_167 Depth=1
	s_or_b32 exec_lo, exec_lo, s27
	v_lshlrev_b32_sdwa v1, v23, v1 dst_sel:DWORD dst_unused:UNUSED_PAD src0_sel:DWORD src1_sel:WORD_0
	v_lshl_add_u32 v42, v42, 10, 0x2000
	v_lshlrev_b32_e32 v40, 23, v40
	v_and_or_b32 v1, 0x8000, v1, v42
	v_lshl_or_b32 v40, v1, 16, v40
.LBB252_248:                            ;   in Loop: Header=BB252_167 Depth=1
	s_or_b32 exec_lo, exec_lo, s26
.LBB252_249:                            ;   in Loop: Header=BB252_167 Depth=1
	s_or_b32 exec_lo, exec_lo, s22
.LBB252_250:                            ;   in Loop: Header=BB252_167 Depth=1
	s_or_b32 exec_lo, exec_lo, s21
	v_lshrrev_b32_e32 v1, 16, v7
	v_mov_b32_e32 v42, 0
	v_mov_b32_e32 v43, 0
	v_cmp_ne_u16_sdwa s0, v1, v2 src0_sel:BYTE_0 src1_sel:DWORD
	s_and_saveexec_b32 s21, s0
	s_cbranch_execz .LBB252_258
; %bb.251:                              ;   in Loop: Header=BB252_167 Depth=1
	v_cmp_ne_u16_sdwa s0, v1, v15 src0_sel:BYTE_0 src1_sel:DWORD
	v_mov_b32_e32 v43, 0x8000
	s_and_saveexec_b32 s22, s0
	s_cbranch_execz .LBB252_257
; %bb.252:                              ;   in Loop: Header=BB252_167 Depth=1
	v_bfe_u32 v45, v7, 16, 7
	v_mov_b32_e32 v43, 0x7c01
	s_mov_b32 s26, exec_lo
	v_cmpx_ne_u32_e32 0x7f, v45
	s_cbranch_execz .LBB252_256
; %bb.253:                              ;   in Loop: Header=BB252_167 Depth=1
	v_and_b32_e32 v43, 7, v1
	v_lshrrev_b32_e32 v44, 3, v45
	s_mov_b32 s27, exec_lo
	v_cmpx_gt_u32_e32 8, v45
; %bb.254:                              ;   in Loop: Header=BB252_167 Depth=1
	v_ffbh_u32_e32 v43, v43
	v_min_u32_e32 v45, 32, v43
	v_subrev_nc_u32_e32 v43, 28, v45
	v_lshlrev_b64 v[43:44], v43, v[1:2]
	v_sub_nc_u32_e32 v44, 29, v45
	v_and_b32_e32 v43, 7, v43
; %bb.255:                              ;   in Loop: Header=BB252_167 Depth=1
	s_or_b32 exec_lo, exec_lo, s27
	v_lshlrev_b32_e32 v1, 8, v1
	v_lshl_add_u32 v44, v44, 10, 0x2000
	v_lshlrev_b32_e32 v43, 7, v43
	v_and_b32_e32 v1, 0x8000, v1
	v_and_b32_e32 v44, 0xfc00, v44
	v_or3_b32 v43, v1, v44, v43
.LBB252_256:                            ;   in Loop: Header=BB252_167 Depth=1
	s_or_b32 exec_lo, exec_lo, s26
.LBB252_257:                            ;   in Loop: Header=BB252_167 Depth=1
	s_or_b32 exec_lo, exec_lo, s22
.LBB252_258:                            ;   in Loop: Header=BB252_167 Depth=1
	s_or_b32 exec_lo, exec_lo, s21
	s_mov_b32 s21, exec_lo
	v_cmpx_lt_u32_e32 0xffffff, v7
	s_cbranch_execz .LBB252_266
; %bb.259:                              ;   in Loop: Header=BB252_167 Depth=1
	v_lshrrev_b32_e32 v1, 24, v7
	v_bfrev_b32_e32 v42, 1
	s_mov_b32 s22, exec_lo
	v_cmpx_ne_u32_e32 0x80, v1
	s_cbranch_execz .LBB252_265
; %bb.260:                              ;   in Loop: Header=BB252_167 Depth=1
	v_and_b32_e32 v45, 0x7f, v1
	v_mov_b32_e32 v42, 0x7c010000
	s_mov_b32 s26, exec_lo
	v_cmpx_ne_u32_e32 0x7f, v45
	s_cbranch_execz .LBB252_264
; %bb.261:                              ;   in Loop: Header=BB252_167 Depth=1
	v_and_b32_e32 v42, 7, v1
	v_lshrrev_b32_e32 v44, 3, v45
	s_mov_b32 s27, exec_lo
	v_cmpx_gt_u32_e32 8, v45
; %bb.262:                              ;   in Loop: Header=BB252_167 Depth=1
	v_ffbh_u32_e32 v42, v42
	v_min_u32_e32 v42, 32, v42
	v_subrev_nc_u32_e32 v44, 28, v42
	v_lshlrev_b64 v[45:46], v44, v[1:2]
	v_sub_nc_u32_e32 v44, 29, v42
	v_and_b32_e32 v42, 7, v45
; %bb.263:                              ;   in Loop: Header=BB252_167 Depth=1
	s_or_b32 exec_lo, exec_lo, s27
	v_lshlrev_b32_e32 v1, 8, v1
	v_lshl_add_u32 v44, v44, 10, 0x2000
	v_lshlrev_b32_e32 v42, 23, v42
	v_and_or_b32 v1, 0x8000, v1, v44
	v_lshl_or_b32 v42, v1, 16, v42
.LBB252_264:                            ;   in Loop: Header=BB252_167 Depth=1
	s_or_b32 exec_lo, exec_lo, s26
.LBB252_265:                            ;   in Loop: Header=BB252_167 Depth=1
	s_or_b32 exec_lo, exec_lo, s22
.LBB252_266:                            ;   in Loop: Header=BB252_167 Depth=1
	s_or_b32 exec_lo, exec_lo, s21
	v_mov_b32_e32 v1, v8
	v_cmp_ne_u16_sdwa s0, v8, v2 src0_sel:BYTE_0 src1_sel:DWORD
	v_mov_b32_e32 v44, 0
	v_mov_b32_e32 v45, 0
	s_and_saveexec_b32 s21, s0
	s_cbranch_execz .LBB252_274
; %bb.267:                              ;   in Loop: Header=BB252_167 Depth=1
	v_cmp_ne_u16_sdwa s0, v8, v15 src0_sel:BYTE_0 src1_sel:DWORD
	v_mov_b32_e32 v45, 0x8000
	s_and_saveexec_b32 s22, s0
	s_cbranch_execz .LBB252_273
; %bb.268:                              ;   in Loop: Header=BB252_167 Depth=1
	v_and_b32_e32 v47, 0x7f, v8
	v_mov_b32_e32 v45, 0x7c01
	s_mov_b32 s26, exec_lo
	v_cmpx_ne_u32_e32 0x7f, v47
	s_cbranch_execz .LBB252_272
; %bb.269:                              ;   in Loop: Header=BB252_167 Depth=1
	v_and_b32_e32 v45, 7, v8
	v_lshrrev_b32_e32 v46, 3, v47
	s_mov_b32 s27, exec_lo
	v_cmpx_gt_u32_e32 8, v47
; %bb.270:                              ;   in Loop: Header=BB252_167 Depth=1
	v_ffbh_u32_e32 v45, v45
	v_min_u32_e32 v47, 32, v45
	v_subrev_nc_u32_e32 v45, 28, v47
	v_lshlrev_b64 v[45:46], v45, v[1:2]
	v_sub_nc_u32_e32 v46, 29, v47
	v_and_b32_e32 v45, 7, v45
; %bb.271:                              ;   in Loop: Header=BB252_167 Depth=1
	s_or_b32 exec_lo, exec_lo, s27
	v_lshlrev_b32_e32 v47, 8, v8
	v_lshl_add_u32 v46, v46, 10, 0x2000
	v_lshlrev_b32_e32 v45, 7, v45
	v_and_b32_e32 v47, 0x8000, v47
	v_and_b32_e32 v46, 0xfc00, v46
	v_or3_b32 v45, v47, v46, v45
.LBB252_272:                            ;   in Loop: Header=BB252_167 Depth=1
	s_or_b32 exec_lo, exec_lo, s26
.LBB252_273:                            ;   in Loop: Header=BB252_167 Depth=1
	s_or_b32 exec_lo, exec_lo, s22
.LBB252_274:                            ;   in Loop: Header=BB252_167 Depth=1
	s_or_b32 exec_lo, exec_lo, s21
	v_lshrrev_b16 v1, 8, v1
	v_mov_b32_e32 v46, 0
	s_mov_b32 s21, exec_lo
	v_cmpx_ne_u16_e32 0, v1
	s_cbranch_execz .LBB252_282
; %bb.275:                              ;   in Loop: Header=BB252_167 Depth=1
	v_bfrev_b32_e32 v46, 1
	s_mov_b32 s22, exec_lo
	v_cmpx_ne_u16_e32 0x80, v1
	s_cbranch_execz .LBB252_281
; %bb.276:                              ;   in Loop: Header=BB252_167 Depth=1
	v_and_b32_sdwa v48, v1, v21 dst_sel:DWORD dst_unused:UNUSED_PAD src0_sel:WORD_0 src1_sel:DWORD
	v_mov_b32_e32 v46, 0x7c010000
	s_mov_b32 s26, exec_lo
	v_cmpx_ne_u32_e32 0x7f, v48
	s_cbranch_execz .LBB252_280
; %bb.277:                              ;   in Loop: Header=BB252_167 Depth=1
	v_and_b32_sdwa v46, v1, v22 dst_sel:DWORD dst_unused:UNUSED_PAD src0_sel:WORD_0 src1_sel:DWORD
	v_lshrrev_b32_e32 v47, 3, v48
	s_mov_b32 s27, exec_lo
	v_cmpx_gt_u32_e32 8, v48
; %bb.278:                              ;   in Loop: Header=BB252_167 Depth=1
	v_ffbh_u32_e32 v46, v46
	v_min_u32_e32 v48, 32, v46
	v_subrev_nc_u32_e32 v46, 28, v48
	v_lshlrev_b64 v[46:47], v46, v[1:2]
	v_sub_nc_u32_e32 v47, 29, v48
	v_and_b32_e32 v46, 7, v46
; %bb.279:                              ;   in Loop: Header=BB252_167 Depth=1
	s_or_b32 exec_lo, exec_lo, s27
	v_lshlrev_b32_sdwa v1, v23, v1 dst_sel:DWORD dst_unused:UNUSED_PAD src0_sel:DWORD src1_sel:WORD_0
	v_lshl_add_u32 v47, v47, 10, 0x2000
	v_lshlrev_b32_e32 v46, 23, v46
	v_and_or_b32 v1, 0x8000, v1, v47
	v_lshl_or_b32 v46, v1, 16, v46
.LBB252_280:                            ;   in Loop: Header=BB252_167 Depth=1
	s_or_b32 exec_lo, exec_lo, s26
.LBB252_281:                            ;   in Loop: Header=BB252_167 Depth=1
	s_or_b32 exec_lo, exec_lo, s22
.LBB252_282:                            ;   in Loop: Header=BB252_167 Depth=1
	s_or_b32 exec_lo, exec_lo, s21
	v_lshrrev_b32_e32 v1, 16, v8
	v_cmp_ne_u16_sdwa s0, v1, v2 src0_sel:BYTE_0 src1_sel:DWORD
	s_and_saveexec_b32 s21, s0
	s_cbranch_execz .LBB252_290
; %bb.283:                              ;   in Loop: Header=BB252_167 Depth=1
	v_cmp_ne_u16_sdwa s0, v1, v15 src0_sel:BYTE_0 src1_sel:DWORD
	v_mov_b32_e32 v44, 0x8000
	s_and_saveexec_b32 s22, s0
	s_cbranch_execz .LBB252_289
; %bb.284:                              ;   in Loop: Header=BB252_167 Depth=1
	v_bfe_u32 v48, v8, 16, 7
	v_mov_b32_e32 v44, 0x7c01
	s_mov_b32 s26, exec_lo
	v_cmpx_ne_u32_e32 0x7f, v48
	s_cbranch_execz .LBB252_288
; %bb.285:                              ;   in Loop: Header=BB252_167 Depth=1
	v_and_b32_e32 v44, 7, v1
	v_lshrrev_b32_e32 v47, 3, v48
	s_mov_b32 s27, exec_lo
	v_cmpx_gt_u32_e32 8, v48
; %bb.286:                              ;   in Loop: Header=BB252_167 Depth=1
	v_ffbh_u32_e32 v44, v44
	v_min_u32_e32 v44, 32, v44
	v_subrev_nc_u32_e32 v47, 28, v44
	v_lshlrev_b64 v[48:49], v47, v[1:2]
	v_sub_nc_u32_e32 v47, 29, v44
	v_and_b32_e32 v44, 7, v48
; %bb.287:                              ;   in Loop: Header=BB252_167 Depth=1
	s_or_b32 exec_lo, exec_lo, s27
	v_lshlrev_b32_e32 v1, 8, v1
	v_lshl_add_u32 v47, v47, 10, 0x2000
	v_lshlrev_b32_e32 v44, 7, v44
	v_and_b32_e32 v1, 0x8000, v1
	v_and_b32_e32 v47, 0xfc00, v47
	v_or3_b32 v44, v1, v47, v44
.LBB252_288:                            ;   in Loop: Header=BB252_167 Depth=1
	s_or_b32 exec_lo, exec_lo, s26
.LBB252_289:                            ;   in Loop: Header=BB252_167 Depth=1
	s_or_b32 exec_lo, exec_lo, s22
.LBB252_290:                            ;   in Loop: Header=BB252_167 Depth=1
	s_or_b32 exec_lo, exec_lo, s21
	v_cmp_lt_u64_e64 s0, s[2:3], v[7:8]
	v_mov_b32_e32 v7, 0
	s_and_saveexec_b32 s21, s0
	s_cbranch_execz .LBB252_298
; %bb.291:                              ;   in Loop: Header=BB252_167 Depth=1
	v_lshrrev_b32_e32 v1, 24, v8
	v_bfrev_b32_e32 v7, 1
	s_mov_b32 s22, exec_lo
	v_cmpx_ne_u32_e32 0x80, v1
	s_cbranch_execz .LBB252_297
; %bb.292:                              ;   in Loop: Header=BB252_167 Depth=1
	v_and_b32_e32 v47, 0x7f, v1
	v_mov_b32_e32 v7, 0x7c010000
	s_mov_b32 s26, exec_lo
	v_cmpx_ne_u32_e32 0x7f, v47
	s_cbranch_execz .LBB252_296
; %bb.293:                              ;   in Loop: Header=BB252_167 Depth=1
	v_and_b32_e32 v7, 7, v1
	v_lshrrev_b32_e32 v8, 3, v47
	s_mov_b32 s27, exec_lo
	v_cmpx_gt_u32_e32 8, v47
; %bb.294:                              ;   in Loop: Header=BB252_167 Depth=1
	v_ffbh_u32_e32 v7, v7
	v_min_u32_e32 v47, 32, v7
	v_subrev_nc_u32_e32 v7, 28, v47
	v_lshlrev_b64 v[7:8], v7, v[1:2]
	v_sub_nc_u32_e32 v8, 29, v47
	v_and_b32_e32 v7, 7, v7
; %bb.295:                              ;   in Loop: Header=BB252_167 Depth=1
	s_or_b32 exec_lo, exec_lo, s27
	v_lshlrev_b32_e32 v1, 8, v1
	v_lshl_add_u32 v8, v8, 10, 0x2000
	v_lshlrev_b32_e32 v7, 23, v7
	v_and_or_b32 v1, 0x8000, v1, v8
	v_lshl_or_b32 v7, v1, 16, v7
.LBB252_296:                            ;   in Loop: Header=BB252_167 Depth=1
	s_or_b32 exec_lo, exec_lo, s26
.LBB252_297:                            ;   in Loop: Header=BB252_167 Depth=1
	s_or_b32 exec_lo, exec_lo, s22
.LBB252_298:                            ;   in Loop: Header=BB252_167 Depth=1
	s_or_b32 exec_lo, exec_lo, s21
	v_or_b32_e32 v1, v42, v43
	s_waitcnt vmcnt(0)
	v_fma_mixlo_f16 v8, v38, v42, 0 op_sel:[0,1,0] op_sel_hi:[0,1,0]
	v_or_b32_e32 v41, v40, v41
	v_fma_mixlo_f16 v40, v38, v40, 0 op_sel:[0,1,0] op_sel_hi:[0,1,0]
	v_or_b32_e32 v42, v46, v45
	v_fma_mixlo_f16 v43, v38, v1, 0 op_sel_hi:[0,1,0]
	v_or_b32_e32 v45, v7, v44
	v_lshlrev_b32_e32 v1, 16, v8
	v_lshlrev_b32_e32 v44, 16, v40
	v_fma_mixlo_f16 v8, v38, v41, 0 op_sel_hi:[0,1,0]
	v_and_b32_e32 v41, 0xffff, v43
	v_fma_mixlo_f16 v40, v38, v46, 0 op_sel:[0,1,0] op_sel_hi:[0,1,0]
	v_fma_mixlo_f16 v43, v38, v42, 0 op_sel_hi:[0,1,0]
	v_fma_mixlo_f16 v7, v38, v7, 0 op_sel:[0,1,0] op_sel_hi:[0,1,0]
	v_fma_mixlo_f16 v38, v38, v45, 0 op_sel_hi:[0,1,0]
	v_and_b32_e32 v47, 0xffff, v8
	v_lshlrev_b32_e32 v42, 16, v40
	v_and_b32_e32 v46, 0xffff, v43
	v_lshlrev_b32_e32 v7, 16, v7
	v_and_b32_e32 v43, 0xffff, v38
	v_or_b32_e32 v40, v1, v41
	v_or_b32_e32 v45, v44, v47
	;; [unrolled: 1-line block ×4, first 2 shown]
	s_and_saveexec_b32 s0, vcc_lo
	s_cbranch_execz .LBB252_165
; %bb.299:                              ;   in Loop: Header=BB252_167 Depth=1
	v_cmp_gt_i32_e32 vcc_lo, s33, v9
	v_cndmask_b32_e32 v8, 0, v47, vcc_lo
	v_cmp_gt_i32_e32 vcc_lo, s33, v32
	v_cndmask_b32_e32 v9, 0, v44, vcc_lo
	v_cmp_gt_i32_e32 vcc_lo, s33, v31
	v_or_b32_e32 v45, v9, v8
	v_cndmask_b32_e32 v31, 0, v41, vcc_lo
	v_cmp_gt_i32_e32 vcc_lo, s33, v30
	v_cndmask_b32_e32 v1, 0, v1, vcc_lo
	v_cmp_gt_i32_e32 vcc_lo, s33, v29
	v_or_b32_e32 v40, v1, v31
	;; [unrolled: 5-line block ×3, first 2 shown]
	v_cndmask_b32_e32 v27, 0, v43, vcc_lo
	v_cmp_gt_i32_e32 vcc_lo, s33, v10
	v_cndmask_b32_e32 v7, 0, v7, vcc_lo
	v_or_b32_e32 v8, v7, v27
	s_branch .LBB252_165
.LBB252_300:
	s_or_b32 exec_lo, exec_lo, s17
.LBB252_301:
	s_or_b32 exec_lo, exec_lo, s1
	ds_bpermute_b32 v1, v17, v19
	ds_bpermute_b32 v5, v17, v20
	v_lshrrev_b32_e32 v3, 1, v16
	v_and_b32_e32 v6, 0x3c1, v0
	s_mov_b32 s0, exec_lo
	s_waitcnt lgkmcnt(0)
	s_barrier
	v_lshl_add_u32 v4, v3, 2, 0x60
	buffer_gl0_inv
	v_add_f32_e32 v2, v19, v1
	v_add_f32_e32 v1, v20, v5
	v_cmpx_eq_u32_e32 64, v6
	s_cbranch_execz .LBB252_303
; %bb.302:
	v_lshl_add_u32 v5, v13, 7, v4
	v_add_nc_u32_e32 v6, 0xffffff00, v5
	v_add_nc_u32_e32 v5, 0xffffff40, v5
	ds_write_b32 v6, v2
	ds_write_b32 v5, v1
.LBB252_303:
	s_or_b32 exec_lo, exec_lo, s0
	v_and_b32_e32 v5, 0x3e0, v0
	v_lshlrev_b32_e32 v3, 2, v3
	s_mov_b32 s1, exec_lo
	v_cmp_eq_u32_e32 vcc_lo, 0, v12
	s_waitcnt lgkmcnt(0)
	v_lshlrev_b32_e32 v5, 2, v5
	s_barrier
	buffer_gl0_inv
	v_add3_u32 v3, 0x60, v5, v3
	v_cmpx_gt_u32_e32 64, v0
	s_cbranch_execz .LBB252_309
; %bb.304:
	s_and_saveexec_b32 s0, vcc_lo
	s_cbranch_execz .LBB252_306
; %bb.305:
	ds_read_b32 v5, v3
	s_waitcnt lgkmcnt(0)
	v_add_f32_e32 v2, v2, v5
.LBB252_306:
	s_or_b32 exec_lo, exec_lo, s0
	s_and_saveexec_b32 s0, vcc_lo
	s_cbranch_execz .LBB252_308
; %bb.307:
	ds_read_b32 v5, v3 offset:64
	s_waitcnt lgkmcnt(0)
	v_add_f32_e32 v1, v1, v5
.LBB252_308:
	s_or_b32 exec_lo, exec_lo, s0
.LBB252_309:
	s_or_b32 exec_lo, exec_lo, s1
	v_and_b32_e32 v5, 0x3e1, v0
	s_mov_b32 s1, exec_lo
	s_barrier
	buffer_gl0_inv
	v_cmpx_eq_u32_e32 32, v5
; %bb.310:
	ds_write2_b32 v4, v2, v1 offset1:16
; %bb.311:
	s_or_b32 exec_lo, exec_lo, s1
	s_mov_b32 s1, exec_lo
	s_waitcnt lgkmcnt(0)
	s_barrier
	buffer_gl0_inv
	v_cmpx_gt_u32_e32 32, v0
	s_cbranch_execz .LBB252_317
; %bb.312:
	s_and_saveexec_b32 s0, vcc_lo
	s_cbranch_execz .LBB252_314
; %bb.313:
	ds_read_b32 v0, v3
	s_waitcnt lgkmcnt(0)
	v_add_f32_e32 v2, v2, v0
.LBB252_314:
	s_or_b32 exec_lo, exec_lo, s0
	s_and_saveexec_b32 s0, vcc_lo
	s_cbranch_execz .LBB252_316
; %bb.315:
	ds_read_b32 v0, v3 offset:64
	s_waitcnt lgkmcnt(0)
	v_add_f32_e32 v1, v1, v0
.LBB252_316:
	s_or_b32 exec_lo, exec_lo, s0
.LBB252_317:
	s_or_b32 exec_lo, exec_lo, s1
	s_barrier
	buffer_gl0_inv
	s_mov_b32 s0, exec_lo
	v_cmpx_eq_u32_e32 0, v5
	s_cbranch_execz .LBB252_319
; %bb.318:
	s_mul_i32 s0, s10, s11
	s_mul_i32 s2, s11, s24
	;; [unrolled: 1-line block ×3, first 2 shown]
	v_lshlrev_b32_e32 v0, 1, v11
	s_lshl_b32 s0, s0, 5
	;;#ASMSTART
	v_cvt_f16_f32 v2, v2;

	;;#ASMEND
	s_ashr_i32 s1, s0, 31
	s_lshl_b64 s[0:1], s[0:1], 1
	s_add_u32 s4, s6, s0
	s_addc_u32 s5, s7, s1
	s_ashr_i32 s3, s2, 31
	s_lshl_b64 s[0:1], s[2:3], 1
	s_add_u32 s2, s4, s0
	s_addc_u32 s3, s5, s1
	s_lshl_b32 s0, s8, 5
	s_ashr_i32 s1, s0, 31
	s_lshl_b64 s[0:1], s[0:1], 1
	s_add_u32 s0, s2, s0
	s_addc_u32 s1, s3, s1
	global_store_short v0, v2, s[0:1]
	;;#ASMSTART
	v_cvt_f16_f32 v1, v1;

	;;#ASMEND
	global_store_short v0, v1, s[0:1] offset:32
.LBB252_319:
	s_endpgm
	.section	.rodata,"a",@progbits
	.p2align	6, 0x0
	.amdhsa_kernel _ZN4vllm25paged_attention_v1_kernelIthLi32ELi16ELi128ELNS_18Fp8KVCacheDataTypeE1ELb1EEEvPT_PKS2_PKT0_S8_ifPKiSA_iPKfiiiSC_SC_iiiii
		.amdhsa_group_segment_fixed_size 96
		.amdhsa_private_segment_fixed_size 0
		.amdhsa_kernarg_size 384
		.amdhsa_user_sgpr_count 6
		.amdhsa_user_sgpr_private_segment_buffer 1
		.amdhsa_user_sgpr_dispatch_ptr 0
		.amdhsa_user_sgpr_queue_ptr 0
		.amdhsa_user_sgpr_kernarg_segment_ptr 1
		.amdhsa_user_sgpr_dispatch_id 0
		.amdhsa_user_sgpr_flat_scratch_init 0
		.amdhsa_user_sgpr_private_segment_size 0
		.amdhsa_wavefront_size32 1
		.amdhsa_uses_dynamic_stack 0
		.amdhsa_system_sgpr_private_segment_wavefront_offset 0
		.amdhsa_system_sgpr_workgroup_id_x 1
		.amdhsa_system_sgpr_workgroup_id_y 1
		.amdhsa_system_sgpr_workgroup_id_z 1
		.amdhsa_system_sgpr_workgroup_info 0
		.amdhsa_system_vgpr_workitem_id 0
		.amdhsa_next_free_vgpr 57
		.amdhsa_next_free_sgpr 44
		.amdhsa_reserve_vcc 1
		.amdhsa_reserve_flat_scratch 0
		.amdhsa_float_round_mode_32 0
		.amdhsa_float_round_mode_16_64 0
		.amdhsa_float_denorm_mode_32 3
		.amdhsa_float_denorm_mode_16_64 3
		.amdhsa_dx10_clamp 1
		.amdhsa_ieee_mode 1
		.amdhsa_fp16_overflow 0
		.amdhsa_workgroup_processor_mode 1
		.amdhsa_memory_ordered 1
		.amdhsa_forward_progress 1
		.amdhsa_shared_vgpr_count 0
		.amdhsa_exception_fp_ieee_invalid_op 0
		.amdhsa_exception_fp_denorm_src 0
		.amdhsa_exception_fp_ieee_div_zero 0
		.amdhsa_exception_fp_ieee_overflow 0
		.amdhsa_exception_fp_ieee_underflow 0
		.amdhsa_exception_fp_ieee_inexact 0
		.amdhsa_exception_int_div_zero 0
	.end_amdhsa_kernel
	.section	.text._ZN4vllm25paged_attention_v1_kernelIthLi32ELi16ELi128ELNS_18Fp8KVCacheDataTypeE1ELb1EEEvPT_PKS2_PKT0_S8_ifPKiSA_iPKfiiiSC_SC_iiiii,"axG",@progbits,_ZN4vllm25paged_attention_v1_kernelIthLi32ELi16ELi128ELNS_18Fp8KVCacheDataTypeE1ELb1EEEvPT_PKS2_PKT0_S8_ifPKiSA_iPKfiiiSC_SC_iiiii,comdat
.Lfunc_end252:
	.size	_ZN4vllm25paged_attention_v1_kernelIthLi32ELi16ELi128ELNS_18Fp8KVCacheDataTypeE1ELb1EEEvPT_PKS2_PKT0_S8_ifPKiSA_iPKfiiiSC_SC_iiiii, .Lfunc_end252-_ZN4vllm25paged_attention_v1_kernelIthLi32ELi16ELi128ELNS_18Fp8KVCacheDataTypeE1ELb1EEEvPT_PKS2_PKT0_S8_ifPKiSA_iPKfiiiSC_SC_iiiii
                                        ; -- End function
	.set _ZN4vllm25paged_attention_v1_kernelIthLi32ELi16ELi128ELNS_18Fp8KVCacheDataTypeE1ELb1EEEvPT_PKS2_PKT0_S8_ifPKiSA_iPKfiiiSC_SC_iiiii.num_vgpr, 57
	.set _ZN4vllm25paged_attention_v1_kernelIthLi32ELi16ELi128ELNS_18Fp8KVCacheDataTypeE1ELb1EEEvPT_PKS2_PKT0_S8_ifPKiSA_iPKfiiiSC_SC_iiiii.num_agpr, 0
	.set _ZN4vllm25paged_attention_v1_kernelIthLi32ELi16ELi128ELNS_18Fp8KVCacheDataTypeE1ELb1EEEvPT_PKS2_PKT0_S8_ifPKiSA_iPKfiiiSC_SC_iiiii.numbered_sgpr, 44
	.set _ZN4vllm25paged_attention_v1_kernelIthLi32ELi16ELi128ELNS_18Fp8KVCacheDataTypeE1ELb1EEEvPT_PKS2_PKT0_S8_ifPKiSA_iPKfiiiSC_SC_iiiii.num_named_barrier, 0
	.set _ZN4vllm25paged_attention_v1_kernelIthLi32ELi16ELi128ELNS_18Fp8KVCacheDataTypeE1ELb1EEEvPT_PKS2_PKT0_S8_ifPKiSA_iPKfiiiSC_SC_iiiii.private_seg_size, 0
	.set _ZN4vllm25paged_attention_v1_kernelIthLi32ELi16ELi128ELNS_18Fp8KVCacheDataTypeE1ELb1EEEvPT_PKS2_PKT0_S8_ifPKiSA_iPKfiiiSC_SC_iiiii.uses_vcc, 1
	.set _ZN4vllm25paged_attention_v1_kernelIthLi32ELi16ELi128ELNS_18Fp8KVCacheDataTypeE1ELb1EEEvPT_PKS2_PKT0_S8_ifPKiSA_iPKfiiiSC_SC_iiiii.uses_flat_scratch, 0
	.set _ZN4vllm25paged_attention_v1_kernelIthLi32ELi16ELi128ELNS_18Fp8KVCacheDataTypeE1ELb1EEEvPT_PKS2_PKT0_S8_ifPKiSA_iPKfiiiSC_SC_iiiii.has_dyn_sized_stack, 0
	.set _ZN4vllm25paged_attention_v1_kernelIthLi32ELi16ELi128ELNS_18Fp8KVCacheDataTypeE1ELb1EEEvPT_PKS2_PKT0_S8_ifPKiSA_iPKfiiiSC_SC_iiiii.has_recursion, 0
	.set _ZN4vllm25paged_attention_v1_kernelIthLi32ELi16ELi128ELNS_18Fp8KVCacheDataTypeE1ELb1EEEvPT_PKS2_PKT0_S8_ifPKiSA_iPKfiiiSC_SC_iiiii.has_indirect_call, 0
	.section	.AMDGPU.csdata,"",@progbits
; Kernel info:
; codeLenInByte = 11612
; TotalNumSgprs: 46
; NumVgprs: 57
; ScratchSize: 0
; MemoryBound: 0
; FloatMode: 240
; IeeeMode: 1
; LDSByteSize: 96 bytes/workgroup (compile time only)
; SGPRBlocks: 0
; VGPRBlocks: 7
; NumSGPRsForWavesPerEU: 46
; NumVGPRsForWavesPerEU: 57
; Occupancy: 16
; WaveLimiterHint : 1
; COMPUTE_PGM_RSRC2:SCRATCH_EN: 0
; COMPUTE_PGM_RSRC2:USER_SGPR: 6
; COMPUTE_PGM_RSRC2:TRAP_HANDLER: 0
; COMPUTE_PGM_RSRC2:TGID_X_EN: 1
; COMPUTE_PGM_RSRC2:TGID_Y_EN: 1
; COMPUTE_PGM_RSRC2:TGID_Z_EN: 1
; COMPUTE_PGM_RSRC2:TIDIG_COMP_CNT: 0
	.section	.text._ZN4vllm25paged_attention_v1_kernelIthLi64ELi16ELi128ELNS_18Fp8KVCacheDataTypeE1ELb1EEEvPT_PKS2_PKT0_S8_ifPKiSA_iPKfiiiSC_SC_iiiii,"axG",@progbits,_ZN4vllm25paged_attention_v1_kernelIthLi64ELi16ELi128ELNS_18Fp8KVCacheDataTypeE1ELb1EEEvPT_PKS2_PKT0_S8_ifPKiSA_iPKfiiiSC_SC_iiiii,comdat
	.protected	_ZN4vllm25paged_attention_v1_kernelIthLi64ELi16ELi128ELNS_18Fp8KVCacheDataTypeE1ELb1EEEvPT_PKS2_PKT0_S8_ifPKiSA_iPKfiiiSC_SC_iiiii ; -- Begin function _ZN4vllm25paged_attention_v1_kernelIthLi64ELi16ELi128ELNS_18Fp8KVCacheDataTypeE1ELb1EEEvPT_PKS2_PKT0_S8_ifPKiSA_iPKfiiiSC_SC_iiiii
	.globl	_ZN4vllm25paged_attention_v1_kernelIthLi64ELi16ELi128ELNS_18Fp8KVCacheDataTypeE1ELb1EEEvPT_PKS2_PKT0_S8_ifPKiSA_iPKfiiiSC_SC_iiiii
	.p2align	8
	.type	_ZN4vllm25paged_attention_v1_kernelIthLi64ELi16ELi128ELNS_18Fp8KVCacheDataTypeE1ELb1EEEvPT_PKS2_PKT0_S8_ifPKiSA_iPKfiiiSC_SC_iiiii,@function
_ZN4vllm25paged_attention_v1_kernelIthLi64ELi16ELi128ELNS_18Fp8KVCacheDataTypeE1ELb1EEEvPT_PKS2_PKT0_S8_ifPKiSA_iPKfiiiSC_SC_iiiii: ; @_ZN4vllm25paged_attention_v1_kernelIthLi64ELi16ELi128ELNS_18Fp8KVCacheDataTypeE1ELb1EEEvPT_PKS2_PKT0_S8_ifPKiSA_iPKfiiiSC_SC_iiiii
; %bb.0:
	s_clause 0x2
	s_load_dword s9, s[4:5], 0x80
	s_load_dwordx2 s[0:1], s[4:5], 0x30
	s_load_dwordx2 s[34:35], s[4:5], 0x20
	s_mov_b32 s10, s7
	s_ashr_i32 s11, s7, 31
	s_mov_b32 s36, 0
	s_lshl_b64 s[2:3], s[10:11], 2
	s_waitcnt lgkmcnt(0)
	s_add_u32 s0, s0, s2
	s_addc_u32 s1, s1, s3
	s_abs_i32 s2, s34
	s_abs_i32 s11, s9
	v_cvt_f32_u32_e32 v1, s2
	s_sub_i32 s7, 0, s2
	v_rcp_iflag_f32_e32 v1, v1
	v_mul_f32_e32 v1, 0x4f7ffffe, v1
	v_cvt_u32_f32_e32 v1, v1
	v_readfirstlane_b32 s3, v1
	s_mul_i32 s7, s7, s3
	s_mul_hi_u32 s7, s3, s7
	s_add_i32 s3, s3, s7
	s_xor_b32 s7, s9, s34
	s_mul_hi_u32 s3, s11, s3
	s_ashr_i32 s7, s7, 31
	s_mul_i32 s12, s3, s2
	s_sub_i32 s11, s11, s12
	s_add_i32 s12, s3, 1
	s_sub_i32 s13, s11, s2
	s_cmp_ge_u32 s11, s2
	s_cselect_b32 s3, s12, s3
	s_cselect_b32 s11, s13, s11
	s_add_i32 s12, s3, 1
	s_cmp_ge_u32 s11, s2
	s_cselect_b32 s2, s12, s3
	s_xor_b32 s2, s2, s7
	s_sub_i32 s14, s2, s7
	s_load_dwordx2 s[2:3], s[4:5], 0x40
	s_abs_i32 s11, s14
	v_cvt_f32_u32_e32 v1, s11
	s_sub_i32 s12, 0, s11
	v_rcp_iflag_f32_e32 v1, v1
	v_mul_f32_e32 v1, 0x4f7ffffe, v1
	v_cvt_u32_f32_e32 v1, v1
	v_readfirstlane_b32 s7, v1
	s_mul_i32 s12, s12, s7
	s_mul_hi_u32 s13, s7, s12
	s_abs_i32 s12, s6
	s_add_i32 s7, s7, s13
	s_waitcnt lgkmcnt(0)
	s_cmp_eq_u64 s[2:3], 0
	s_mul_hi_u32 s13, s12, s7
	s_cbranch_scc1 .LBB253_2
; %bb.1:
	s_ashr_i32 s7, s6, 31
	s_lshl_b64 s[16:17], s[6:7], 2
	s_add_u32 s2, s2, s16
	s_addc_u32 s3, s3, s17
	s_load_dword s36, s[2:3], 0x0
.LBB253_2:
	s_load_dword s33, s[0:1], 0x0
	s_load_dwordx4 s[16:19], s[4:5], 0x48
	v_lshrrev_b32_e32 v11, 1, v0
	v_and_b32_e32 v12, 1, v0
	v_lshlrev_b32_e32 v10, 3, v0
	s_ashr_i32 s0, s6, 31
	s_ashr_i32 s1, s14, 31
	s_lshl_b32 s24, s6, 6
	s_mov_b32 s2, exec_lo
	v_cmpx_gt_u32_e32 16, v0
	s_cbranch_execz .LBB253_4
; %bb.3:
	s_load_dwordx2 s[14:15], s[4:5], 0x8
	s_waitcnt lgkmcnt(0)
	s_mul_i32 s20, s16, s10
	v_lshlrev_b32_e32 v3, 3, v11
	s_ashr_i32 s21, s20, 31
	s_lshl_b64 s[20:21], s[20:21], 1
	v_lshl_add_u32 v3, v12, 6, v3
	s_add_u32 s3, s14, s20
	s_addc_u32 s7, s15, s21
	s_ashr_i32 s25, s24, 31
	s_lshl_b64 s[14:15], s[24:25], 1
	s_add_u32 s14, s3, s14
	s_addc_u32 s15, s7, s15
	global_load_dwordx2 v[1:2], v10, s[14:15]
	s_waitcnt vmcnt(0)
	ds_write_b64 v3, v[1:2]
.LBB253_4:
	s_or_b32 exec_lo, exec_lo, s2
	s_load_dwordx4 s[20:23], s[4:5], 0x68
	s_mul_i32 s2, s13, s11
	s_xor_b32 s1, s0, s1
	s_sub_i32 s0, s12, s2
	s_add_i32 s2, s13, 1
	s_sub_i32 s3, s0, s11
	s_cmp_ge_u32 s0, s11
	s_mov_b32 s12, -1
	s_cselect_b32 s2, s2, s13
	s_cselect_b32 s0, s3, s0
	s_add_i32 s3, s2, 1
	s_cmp_ge_u32 s0, s11
	s_load_dword s0, s[4:5], 0x78
	s_cselect_b32 s2, s3, s2
	s_waitcnt lgkmcnt(0)
	s_add_i32 s7, s33, -1
	s_xor_b32 s2, s2, s1
	s_abs_i32 s3, s7
	s_sub_i32 s1, s2, s1
	s_barrier
	s_abs_i32 s16, s23
	buffer_gl0_inv
	v_cvt_f32_u32_e32 v1, s16
	s_sub_i32 s2, 0, s16
                                        ; implicit-def: $sgpr25
	v_rcp_iflag_f32_e32 v1, v1
	v_mul_f32_e32 v1, 0x4f7ffffe, v1
	v_cvt_u32_f32_e32 v1, v1
	v_readfirstlane_b32 s19, v1
	s_mul_i32 s2, s2, s19
	s_mul_hi_u32 s2, s19, s2
	s_add_i32 s19, s19, s2
	s_cmp_lt_i32 s0, 0
	s_mul_hi_u32 s2, s3, s19
	s_cbranch_scc0 .LBB253_6
; %bb.5:
	s_mul_i32 s11, s20, s34
	s_mov_b32 s12, 0
	s_add_i32 s11, s1, s11
	s_mul_i32 s11, s11, s0
	s_sub_i32 s25, 1, s11
.LBB253_6:
	s_load_dwordx2 s[26:27], s[4:5], 0x28
	s_ashr_i32 s11, s7, 31
	s_andn2_b32 vcc_lo, exec_lo, s12
	s_ashr_i32 s23, s23, 31
	s_cbranch_vccnz .LBB253_8
; %bb.7:
	s_mul_i32 s7, s9, s20
	s_add_i32 s6, s7, s6
	s_mul_i32 s0, s6, s0
	s_add_i32 s25, s0, 1
.LBB253_8:
	s_clause 0x2
	s_load_dword s0, s[4:5], 0x38
	s_load_dwordx2 s[6:7], s[4:5], 0x0
	s_load_dwordx2 s[30:31], s[4:5], 0x18
	s_xor_b32 s34, s11, s23
	s_mul_i32 s11, s2, s16
	s_add_i32 s20, s2, 1
	s_sub_i32 s3, s3, s11
	s_clause 0x1
	s_load_dword s11, s[4:5], 0x88
	s_load_dwordx4 s[12:15], s[4:5], 0x58
	v_lshrrev_b32_e32 v13, 5, v0
	v_mov_b32_e32 v19, 0xff7fffff
	v_lshrrev_b32_e32 v15, 3, v0
	v_mbcnt_lo_u32_b32 v17, -1, 0
	s_mul_i32 s18, s1, s18
	v_lshlrev_b32_e32 v14, 4, v13
	s_waitcnt lgkmcnt(0)
	s_mul_i32 s28, s0, s10
	s_sub_i32 s0, s3, s16
	s_ashr_i32 s29, s28, 31
	s_cmp_ge_u32 s3, s16
	s_cselect_b32 s2, s20, s2
	s_cselect_b32 s0, s0, s3
	s_add_i32 s3, s2, 1
	s_cmp_ge_u32 s0, s16
	s_cselect_b32 s0, s3, s2
	s_add_i32 s2, s33, 15
	s_ashr_i32 s3, s2, 31
	s_lshr_b32 s3, s3, 28
	s_add_i32 s2, s2, s3
	s_ashr_i32 s20, s2, 4
	s_xor_b32 s2, s0, s34
	v_cmp_gt_i32_e64 s0, s20, v13
	s_sub_i32 s34, s2, s34
	s_and_saveexec_b32 s37, s0
	s_cbranch_execz .LBB253_276
; %bb.9:
	s_load_dwordx2 s[2:3], s[4:5], 0x10
	s_sub_i32 s4, s34, s21
	s_ashr_i32 s1, s18, 31
	v_bfe_u32 v16, v0, 1, 4
	v_and_b32_e32 v3, 0x7c, v15
	v_lshlrev_b32_e32 v5, 2, v12
	v_mov_b32_e32 v2, 0
	v_lshlrev_b32_e32 v18, 6, v12
	v_lshlrev_b32_e32 v4, 2, v16
	v_subrev_nc_u32_e32 v6, s33, v16
	v_lshlrev_b32_e32 v7, 4, v16
	v_lshlrev_b32_e32 v20, 4, v13
	v_mov_b32_e32 v21, 0xff7fffff
	v_lshl_or_b32 v4, v13, 6, v4
	v_add_nc_u32_e32 v26, 1, v6
	v_mov_b32_e32 v22, 0x80
	v_mov_b32_e32 v23, 0x7f
	;; [unrolled: 1-line block ×3, first 2 shown]
	v_add_nc_u32_e32 v27, 0xa0, v4
	v_mov_b32_e32 v25, 8
	s_waitcnt lgkmcnt(0)
	s_add_u32 s38, s2, s18
	s_addc_u32 s39, s3, s1
	s_abs_i32 s5, s22
	v_add_co_u32 v6, s38, s38, v7
	v_cvt_f32_u32_e32 v1, s5
	s_sub_i32 s2, 0, s5
	v_add_co_ci_u32_e64 v7, null, s39, 0, s38
	v_cmp_neq_f32_e64 s1, s36, 0
	v_rcp_iflag_f32_e32 v1, v1
	v_mov_b32_e32 v19, 0xff7fffff
	v_mov_b32_e32 v29, v13
	s_mov_b32 s38, 0
	s_mov_b32 s39, s17
	v_cmp_eq_u32_e32 vcc_lo, 0, v12
	v_mul_f32_e32 v1, 0x4f7ffffe, v1
	v_cvt_u32_f32_e32 v1, v1
	v_mul_lo_u32 v4, s2, v1
	s_lshl_b64 s[2:3], s[28:29], 2
	s_add_u32 s2, s26, s2
	s_addc_u32 s3, s27, s3
	v_add_co_u32 v3, s2, s2, v3
	v_mul_hi_u32 v8, v1, v4
	v_add_co_ci_u32_e64 v4, null, s3, 0, s2
	v_add_co_u32 v5, s2, v6, v5
	v_add_co_ci_u32_e64 v6, null, 0, v7, s2
	v_add_nc_u32_e32 v28, v1, v8
	s_branch .LBB253_12
.LBB253_10:                             ;   in Loop: Header=BB253_12 Depth=1
	s_or_b32 exec_lo, exec_lo, s40
.LBB253_11:                             ;   in Loop: Header=BB253_12 Depth=1
	s_or_b32 exec_lo, exec_lo, s3
	v_add_nc_u32_e32 v29, 4, v29
	v_add_co_u32 v3, s3, v3, 16
	v_add_co_ci_u32_e64 v4, null, 0, v4, s3
	v_cmp_le_i32_e64 s2, s20, v29
	v_add_nc_u32_e32 v20, 64, v20
	v_add_nc_u32_e32 v27, 0x100, v27
	s_or_b32 s38, s2, s38
	s_andn2_b32 exec_lo, exec_lo, s38
	s_cbranch_execz .LBB253_275
.LBB253_12:                             ; =>This Inner Loop Header: Depth=1
	v_mul_hi_u32 v1, v20, s19
	s_waitcnt lgkmcnt(0)
	v_mul_lo_u32 v7, v1, s16
	v_add_nc_u32_e32 v8, 1, v1
	v_sub_nc_u32_e32 v7, v20, v7
	v_subrev_nc_u32_e32 v9, s16, v7
	v_cmp_le_u32_e64 s2, s16, v7
	v_cndmask_b32_e64 v1, v1, v8, s2
	v_cndmask_b32_e64 v7, v7, v9, s2
	v_add_nc_u32_e32 v8, 1, v1
	v_cmp_le_u32_e64 s2, s16, v7
	v_cndmask_b32_e64 v1, v1, v8, s2
	v_xor_b32_e32 v1, s23, v1
	v_subrev_nc_u32_e32 v1, s23, v1
	v_add_nc_u32_e32 v7, s25, v1
	v_cmp_ge_i32_e64 s3, s4, v1
	v_sub_nc_u32_e32 v8, 0, v7
	v_max_i32_e32 v8, v7, v8
	v_ashrrev_i32_e32 v7, 31, v7
	v_mul_hi_u32 v9, v8, v28
	v_mul_lo_u32 v9, v9, s5
	v_sub_nc_u32_e32 v8, v8, v9
	v_subrev_nc_u32_e32 v9, s5, v8
	v_cmp_le_u32_e64 s2, s5, v8
	v_cndmask_b32_e64 v8, v8, v9, s2
	v_subrev_nc_u32_e32 v9, s5, v8
	v_cmp_le_u32_e64 s2, s5, v8
	v_cndmask_b32_e64 v8, v8, v9, s2
	v_xor_b32_e32 v8, v8, v7
	v_sub_nc_u32_e32 v7, v8, v7
	v_cmp_ne_u32_e64 s2, 0, v7
	s_and_b32 s2, s2, s3
	s_and_saveexec_b32 s3, s2
	s_xor_b32 s2, exec_lo, s3
	s_cbranch_execz .LBB253_16
; %bb.13:                               ;   in Loop: Header=BB253_12 Depth=1
	s_and_saveexec_b32 s3, vcc_lo
; %bb.14:                               ;   in Loop: Header=BB253_12 Depth=1
	ds_write_b32 v27, v21
; %bb.15:                               ;   in Loop: Header=BB253_12 Depth=1
	s_or_b32 exec_lo, exec_lo, s3
.LBB253_16:                             ;   in Loop: Header=BB253_12 Depth=1
	s_andn2_saveexec_b32 s3, s2
	s_cbranch_execz .LBB253_11
; %bb.17:                               ;   in Loop: Header=BB253_12 Depth=1
	global_load_dword v1, v[3:4], off
	v_mov_b32_e32 v31, 0
	v_mov_b32_e32 v32, 0
	global_load_dword v30, v31, s[12:13]
	s_waitcnt vmcnt(1)
	v_mad_i64_i32 v[7:8], null, v1, s39, v[5:6]
	global_load_dword v9, v[7:8], off
	s_waitcnt vmcnt(0)
	v_cmp_ne_u16_sdwa s2, v9, v2 src0_sel:BYTE_0 src1_sel:DWORD
	s_and_saveexec_b32 s40, s2
	s_cbranch_execz .LBB253_25
; %bb.18:                               ;   in Loop: Header=BB253_12 Depth=1
	v_cmp_ne_u16_sdwa s2, v9, v22 src0_sel:BYTE_0 src1_sel:DWORD
	v_mov_b32_e32 v32, 0x8000
	s_and_saveexec_b32 s41, s2
	s_cbranch_execz .LBB253_24
; %bb.19:                               ;   in Loop: Header=BB253_12 Depth=1
	v_and_b32_e32 v33, 0x7f, v9
	v_mov_b32_e32 v32, 0x7c01
	s_mov_b32 s42, exec_lo
	v_cmpx_ne_u32_e32 0x7f, v33
	s_cbranch_execz .LBB253_23
; %bb.20:                               ;   in Loop: Header=BB253_12 Depth=1
	v_and_b32_e32 v1, 7, v9
	v_lshrrev_b32_e32 v32, 3, v33
	s_mov_b32 s43, exec_lo
	v_cmpx_gt_u32_e32 8, v33
; %bb.21:                               ;   in Loop: Header=BB253_12 Depth=1
	v_ffbh_u32_e32 v1, v1
	v_min_u32_e32 v1, 32, v1
	v_subrev_nc_u32_e32 v32, 28, v1
	v_lshlrev_b64 v[33:34], v32, v[9:10]
	v_sub_nc_u32_e32 v32, 29, v1
	v_and_b32_e32 v1, 7, v33
; %bb.22:                               ;   in Loop: Header=BB253_12 Depth=1
	s_or_b32 exec_lo, exec_lo, s43
	v_lshlrev_b32_e32 v33, 8, v9
	v_lshl_add_u32 v32, v32, 10, 0x2000
	v_lshlrev_b32_e32 v1, 7, v1
	v_and_b32_e32 v33, 0x8000, v33
	v_and_b32_e32 v32, 0xfc00, v32
	v_or3_b32 v32, v33, v32, v1
.LBB253_23:                             ;   in Loop: Header=BB253_12 Depth=1
	s_or_b32 exec_lo, exec_lo, s42
.LBB253_24:                             ;   in Loop: Header=BB253_12 Depth=1
	s_or_b32 exec_lo, exec_lo, s41
.LBB253_25:                             ;   in Loop: Header=BB253_12 Depth=1
	s_or_b32 exec_lo, exec_lo, s40
	v_lshrrev_b16 v1, 8, v9
	s_mov_b32 s40, exec_lo
	v_cmpx_ne_u16_e32 0, v1
	s_cbranch_execz .LBB253_33
; %bb.26:                               ;   in Loop: Header=BB253_12 Depth=1
	v_bfrev_b32_e32 v31, 1
	s_mov_b32 s41, exec_lo
	v_cmpx_ne_u16_e32 0x80, v1
	s_cbranch_execz .LBB253_32
; %bb.27:                               ;   in Loop: Header=BB253_12 Depth=1
	v_and_b32_sdwa v34, v1, v23 dst_sel:DWORD dst_unused:UNUSED_PAD src0_sel:WORD_0 src1_sel:DWORD
	v_mov_b32_e32 v31, 0x7c010000
	s_mov_b32 s42, exec_lo
	v_cmpx_ne_u32_e32 0x7f, v34
	s_cbranch_execz .LBB253_31
; %bb.28:                               ;   in Loop: Header=BB253_12 Depth=1
	v_and_b32_sdwa v31, v1, v24 dst_sel:DWORD dst_unused:UNUSED_PAD src0_sel:WORD_0 src1_sel:DWORD
	v_lshrrev_b32_e32 v33, 3, v34
	s_mov_b32 s43, exec_lo
	v_cmpx_gt_u32_e32 8, v34
; %bb.29:                               ;   in Loop: Header=BB253_12 Depth=1
	v_ffbh_u32_e32 v31, v31
	v_min_u32_e32 v31, 32, v31
	v_subrev_nc_u32_e32 v33, 28, v31
	v_lshlrev_b64 v[34:35], v33, v[1:2]
	v_sub_nc_u32_e32 v33, 29, v31
	v_and_b32_e32 v31, 7, v34
; %bb.30:                               ;   in Loop: Header=BB253_12 Depth=1
	s_or_b32 exec_lo, exec_lo, s43
	v_lshlrev_b32_sdwa v1, v25, v1 dst_sel:DWORD dst_unused:UNUSED_PAD src0_sel:DWORD src1_sel:WORD_0
	v_lshl_add_u32 v33, v33, 10, 0x2000
	v_lshlrev_b32_e32 v31, 23, v31
	v_and_or_b32 v1, 0x8000, v1, v33
	v_lshl_or_b32 v31, v1, 16, v31
.LBB253_31:                             ;   in Loop: Header=BB253_12 Depth=1
	s_or_b32 exec_lo, exec_lo, s42
.LBB253_32:                             ;   in Loop: Header=BB253_12 Depth=1
	s_or_b32 exec_lo, exec_lo, s41
.LBB253_33:                             ;   in Loop: Header=BB253_12 Depth=1
	s_or_b32 exec_lo, exec_lo, s40
	v_lshrrev_b32_e32 v1, 16, v9
	v_mov_b32_e32 v33, 0
	v_mov_b32_e32 v34, 0
	v_cmp_ne_u16_sdwa s2, v1, v2 src0_sel:BYTE_0 src1_sel:DWORD
	s_and_saveexec_b32 s40, s2
	s_cbranch_execz .LBB253_41
; %bb.34:                               ;   in Loop: Header=BB253_12 Depth=1
	v_cmp_ne_u16_sdwa s2, v1, v22 src0_sel:BYTE_0 src1_sel:DWORD
	v_mov_b32_e32 v34, 0x8000
	s_and_saveexec_b32 s41, s2
	s_cbranch_execz .LBB253_40
; %bb.35:                               ;   in Loop: Header=BB253_12 Depth=1
	v_bfe_u32 v36, v9, 16, 7
	v_mov_b32_e32 v34, 0x7c01
	s_mov_b32 s42, exec_lo
	v_cmpx_ne_u32_e32 0x7f, v36
	s_cbranch_execz .LBB253_39
; %bb.36:                               ;   in Loop: Header=BB253_12 Depth=1
	v_and_b32_e32 v34, 7, v1
	v_lshrrev_b32_e32 v35, 3, v36
	s_mov_b32 s43, exec_lo
	v_cmpx_gt_u32_e32 8, v36
; %bb.37:                               ;   in Loop: Header=BB253_12 Depth=1
	v_ffbh_u32_e32 v34, v34
	v_min_u32_e32 v36, 32, v34
	v_subrev_nc_u32_e32 v34, 28, v36
	v_lshlrev_b64 v[34:35], v34, v[1:2]
	v_sub_nc_u32_e32 v35, 29, v36
	v_and_b32_e32 v34, 7, v34
; %bb.38:                               ;   in Loop: Header=BB253_12 Depth=1
	s_or_b32 exec_lo, exec_lo, s43
	v_lshlrev_b32_e32 v1, 8, v1
	v_lshl_add_u32 v35, v35, 10, 0x2000
	v_lshlrev_b32_e32 v34, 7, v34
	v_and_b32_e32 v1, 0x8000, v1
	v_and_b32_e32 v35, 0xfc00, v35
	v_or3_b32 v34, v1, v35, v34
.LBB253_39:                             ;   in Loop: Header=BB253_12 Depth=1
	s_or_b32 exec_lo, exec_lo, s42
.LBB253_40:                             ;   in Loop: Header=BB253_12 Depth=1
	s_or_b32 exec_lo, exec_lo, s41
.LBB253_41:                             ;   in Loop: Header=BB253_12 Depth=1
	s_or_b32 exec_lo, exec_lo, s40
	s_mov_b32 s40, exec_lo
	v_cmpx_lt_u32_e32 0xffffff, v9
	s_cbranch_execz .LBB253_49
; %bb.42:                               ;   in Loop: Header=BB253_12 Depth=1
	v_lshrrev_b32_e32 v1, 24, v9
	v_bfrev_b32_e32 v33, 1
	s_mov_b32 s41, exec_lo
	v_cmpx_ne_u32_e32 0x80, v1
	s_cbranch_execz .LBB253_48
; %bb.43:                               ;   in Loop: Header=BB253_12 Depth=1
	v_and_b32_e32 v35, 0x7f, v1
	v_mov_b32_e32 v33, 0x7c010000
	s_mov_b32 s42, exec_lo
	v_cmpx_ne_u32_e32 0x7f, v35
	s_cbranch_execz .LBB253_47
; %bb.44:                               ;   in Loop: Header=BB253_12 Depth=1
	v_and_b32_e32 v9, 7, v1
	v_lshrrev_b32_e32 v33, 3, v35
	s_mov_b32 s43, exec_lo
	v_cmpx_gt_u32_e32 8, v35
; %bb.45:                               ;   in Loop: Header=BB253_12 Depth=1
	v_ffbh_u32_e32 v9, v9
	v_min_u32_e32 v9, 32, v9
	v_subrev_nc_u32_e32 v33, 28, v9
	v_lshlrev_b64 v[35:36], v33, v[1:2]
	v_sub_nc_u32_e32 v33, 29, v9
	v_and_b32_e32 v9, 7, v35
; %bb.46:                               ;   in Loop: Header=BB253_12 Depth=1
	s_or_b32 exec_lo, exec_lo, s43
	v_lshlrev_b32_e32 v1, 8, v1
	v_lshl_add_u32 v33, v33, 10, 0x2000
	v_lshlrev_b32_e32 v9, 23, v9
	v_and_or_b32 v1, 0x8000, v1, v33
	v_lshl_or_b32 v33, v1, 16, v9
.LBB253_47:                             ;   in Loop: Header=BB253_12 Depth=1
	s_or_b32 exec_lo, exec_lo, s42
.LBB253_48:                             ;   in Loop: Header=BB253_12 Depth=1
	s_or_b32 exec_lo, exec_lo, s41
.LBB253_49:                             ;   in Loop: Header=BB253_12 Depth=1
	s_or_b32 exec_lo, exec_lo, s40
	global_load_dword v9, v[7:8], off offset:8
	v_mov_b32_e32 v35, 0
	v_mov_b32_e32 v36, 0
	s_waitcnt vmcnt(0)
	v_cmp_ne_u16_sdwa s2, v9, v2 src0_sel:BYTE_0 src1_sel:DWORD
	s_and_saveexec_b32 s40, s2
	s_cbranch_execz .LBB253_57
; %bb.50:                               ;   in Loop: Header=BB253_12 Depth=1
	v_cmp_ne_u16_sdwa s2, v9, v22 src0_sel:BYTE_0 src1_sel:DWORD
	v_mov_b32_e32 v36, 0x8000
	s_and_saveexec_b32 s41, s2
	s_cbranch_execz .LBB253_56
; %bb.51:                               ;   in Loop: Header=BB253_12 Depth=1
	v_and_b32_e32 v37, 0x7f, v9
	v_mov_b32_e32 v36, 0x7c01
	s_mov_b32 s42, exec_lo
	v_cmpx_ne_u32_e32 0x7f, v37
	s_cbranch_execz .LBB253_55
; %bb.52:                               ;   in Loop: Header=BB253_12 Depth=1
	v_and_b32_e32 v1, 7, v9
	v_lshrrev_b32_e32 v36, 3, v37
	s_mov_b32 s43, exec_lo
	v_cmpx_gt_u32_e32 8, v37
; %bb.53:                               ;   in Loop: Header=BB253_12 Depth=1
	v_ffbh_u32_e32 v1, v1
	v_min_u32_e32 v1, 32, v1
	v_subrev_nc_u32_e32 v36, 28, v1
	v_lshlrev_b64 v[37:38], v36, v[9:10]
	v_sub_nc_u32_e32 v36, 29, v1
	v_and_b32_e32 v1, 7, v37
; %bb.54:                               ;   in Loop: Header=BB253_12 Depth=1
	s_or_b32 exec_lo, exec_lo, s43
	v_lshlrev_b32_e32 v37, 8, v9
	v_lshl_add_u32 v36, v36, 10, 0x2000
	v_lshlrev_b32_e32 v1, 7, v1
	v_and_b32_e32 v37, 0x8000, v37
	v_and_b32_e32 v36, 0xfc00, v36
	v_or3_b32 v36, v37, v36, v1
.LBB253_55:                             ;   in Loop: Header=BB253_12 Depth=1
	s_or_b32 exec_lo, exec_lo, s42
.LBB253_56:                             ;   in Loop: Header=BB253_12 Depth=1
	s_or_b32 exec_lo, exec_lo, s41
.LBB253_57:                             ;   in Loop: Header=BB253_12 Depth=1
	s_or_b32 exec_lo, exec_lo, s40
	v_lshrrev_b16 v1, 8, v9
	s_mov_b32 s40, exec_lo
	v_cmpx_ne_u16_e32 0, v1
	s_cbranch_execz .LBB253_65
; %bb.58:                               ;   in Loop: Header=BB253_12 Depth=1
	v_bfrev_b32_e32 v35, 1
	s_mov_b32 s41, exec_lo
	v_cmpx_ne_u16_e32 0x80, v1
	s_cbranch_execz .LBB253_64
; %bb.59:                               ;   in Loop: Header=BB253_12 Depth=1
	v_and_b32_sdwa v38, v1, v23 dst_sel:DWORD dst_unused:UNUSED_PAD src0_sel:WORD_0 src1_sel:DWORD
	v_mov_b32_e32 v35, 0x7c010000
	s_mov_b32 s42, exec_lo
	v_cmpx_ne_u32_e32 0x7f, v38
	s_cbranch_execz .LBB253_63
; %bb.60:                               ;   in Loop: Header=BB253_12 Depth=1
	v_and_b32_sdwa v35, v1, v24 dst_sel:DWORD dst_unused:UNUSED_PAD src0_sel:WORD_0 src1_sel:DWORD
	v_lshrrev_b32_e32 v37, 3, v38
	s_mov_b32 s43, exec_lo
	v_cmpx_gt_u32_e32 8, v38
; %bb.61:                               ;   in Loop: Header=BB253_12 Depth=1
	v_ffbh_u32_e32 v35, v35
	v_min_u32_e32 v35, 32, v35
	v_subrev_nc_u32_e32 v37, 28, v35
	v_lshlrev_b64 v[38:39], v37, v[1:2]
	v_sub_nc_u32_e32 v37, 29, v35
	v_and_b32_e32 v35, 7, v38
; %bb.62:                               ;   in Loop: Header=BB253_12 Depth=1
	s_or_b32 exec_lo, exec_lo, s43
	v_lshlrev_b32_sdwa v1, v25, v1 dst_sel:DWORD dst_unused:UNUSED_PAD src0_sel:DWORD src1_sel:WORD_0
	v_lshl_add_u32 v37, v37, 10, 0x2000
	v_lshlrev_b32_e32 v35, 23, v35
	v_and_or_b32 v1, 0x8000, v1, v37
	v_lshl_or_b32 v35, v1, 16, v35
.LBB253_63:                             ;   in Loop: Header=BB253_12 Depth=1
	s_or_b32 exec_lo, exec_lo, s42
.LBB253_64:                             ;   in Loop: Header=BB253_12 Depth=1
	s_or_b32 exec_lo, exec_lo, s41
.LBB253_65:                             ;   in Loop: Header=BB253_12 Depth=1
	s_or_b32 exec_lo, exec_lo, s40
	v_lshrrev_b32_e32 v1, 16, v9
	v_mov_b32_e32 v37, 0
	v_mov_b32_e32 v38, 0
	v_cmp_ne_u16_sdwa s2, v1, v2 src0_sel:BYTE_0 src1_sel:DWORD
	s_and_saveexec_b32 s40, s2
	s_cbranch_execz .LBB253_73
; %bb.66:                               ;   in Loop: Header=BB253_12 Depth=1
	v_cmp_ne_u16_sdwa s2, v1, v22 src0_sel:BYTE_0 src1_sel:DWORD
	v_mov_b32_e32 v38, 0x8000
	s_and_saveexec_b32 s41, s2
	s_cbranch_execz .LBB253_72
; %bb.67:                               ;   in Loop: Header=BB253_12 Depth=1
	v_bfe_u32 v40, v9, 16, 7
	v_mov_b32_e32 v38, 0x7c01
	s_mov_b32 s42, exec_lo
	v_cmpx_ne_u32_e32 0x7f, v40
	s_cbranch_execz .LBB253_71
; %bb.68:                               ;   in Loop: Header=BB253_12 Depth=1
	v_and_b32_e32 v38, 7, v1
	v_lshrrev_b32_e32 v39, 3, v40
	s_mov_b32 s43, exec_lo
	v_cmpx_gt_u32_e32 8, v40
; %bb.69:                               ;   in Loop: Header=BB253_12 Depth=1
	v_ffbh_u32_e32 v38, v38
	v_min_u32_e32 v40, 32, v38
	v_subrev_nc_u32_e32 v38, 28, v40
	v_lshlrev_b64 v[38:39], v38, v[1:2]
	v_sub_nc_u32_e32 v39, 29, v40
	v_and_b32_e32 v38, 7, v38
; %bb.70:                               ;   in Loop: Header=BB253_12 Depth=1
	s_or_b32 exec_lo, exec_lo, s43
	v_lshlrev_b32_e32 v1, 8, v1
	v_lshl_add_u32 v39, v39, 10, 0x2000
	v_lshlrev_b32_e32 v38, 7, v38
	v_and_b32_e32 v1, 0x8000, v1
	v_and_b32_e32 v39, 0xfc00, v39
	v_or3_b32 v38, v1, v39, v38
.LBB253_71:                             ;   in Loop: Header=BB253_12 Depth=1
	s_or_b32 exec_lo, exec_lo, s42
.LBB253_72:                             ;   in Loop: Header=BB253_12 Depth=1
	s_or_b32 exec_lo, exec_lo, s41
.LBB253_73:                             ;   in Loop: Header=BB253_12 Depth=1
	s_or_b32 exec_lo, exec_lo, s40
	s_mov_b32 s40, exec_lo
	v_cmpx_lt_u32_e32 0xffffff, v9
	s_cbranch_execz .LBB253_81
; %bb.74:                               ;   in Loop: Header=BB253_12 Depth=1
	v_lshrrev_b32_e32 v1, 24, v9
	v_bfrev_b32_e32 v37, 1
	s_mov_b32 s41, exec_lo
	v_cmpx_ne_u32_e32 0x80, v1
	s_cbranch_execz .LBB253_80
; %bb.75:                               ;   in Loop: Header=BB253_12 Depth=1
	v_and_b32_e32 v39, 0x7f, v1
	v_mov_b32_e32 v37, 0x7c010000
	s_mov_b32 s42, exec_lo
	v_cmpx_ne_u32_e32 0x7f, v39
	s_cbranch_execz .LBB253_79
; %bb.76:                               ;   in Loop: Header=BB253_12 Depth=1
	v_and_b32_e32 v9, 7, v1
	v_lshrrev_b32_e32 v37, 3, v39
	s_mov_b32 s43, exec_lo
	v_cmpx_gt_u32_e32 8, v39
; %bb.77:                               ;   in Loop: Header=BB253_12 Depth=1
	v_ffbh_u32_e32 v9, v9
	v_min_u32_e32 v9, 32, v9
	v_subrev_nc_u32_e32 v37, 28, v9
	v_lshlrev_b64 v[39:40], v37, v[1:2]
	v_sub_nc_u32_e32 v37, 29, v9
	v_and_b32_e32 v9, 7, v39
; %bb.78:                               ;   in Loop: Header=BB253_12 Depth=1
	s_or_b32 exec_lo, exec_lo, s43
	v_lshlrev_b32_e32 v1, 8, v1
	v_lshl_add_u32 v37, v37, 10, 0x2000
	v_lshlrev_b32_e32 v9, 23, v9
	v_and_or_b32 v1, 0x8000, v1, v37
	v_lshl_or_b32 v37, v1, 16, v9
.LBB253_79:                             ;   in Loop: Header=BB253_12 Depth=1
	s_or_b32 exec_lo, exec_lo, s42
.LBB253_80:                             ;   in Loop: Header=BB253_12 Depth=1
	s_or_b32 exec_lo, exec_lo, s41
.LBB253_81:                             ;   in Loop: Header=BB253_12 Depth=1
	s_or_b32 exec_lo, exec_lo, s40
	global_load_dword v9, v[7:8], off offset:256
	v_mov_b32_e32 v39, 0
	v_mov_b32_e32 v40, 0
	s_waitcnt vmcnt(0)
	v_cmp_ne_u16_sdwa s2, v9, v2 src0_sel:BYTE_0 src1_sel:DWORD
	s_and_saveexec_b32 s40, s2
	s_cbranch_execz .LBB253_89
; %bb.82:                               ;   in Loop: Header=BB253_12 Depth=1
	v_cmp_ne_u16_sdwa s2, v9, v22 src0_sel:BYTE_0 src1_sel:DWORD
	v_mov_b32_e32 v40, 0x8000
	s_and_saveexec_b32 s41, s2
	s_cbranch_execz .LBB253_88
; %bb.83:                               ;   in Loop: Header=BB253_12 Depth=1
	v_and_b32_e32 v41, 0x7f, v9
	v_mov_b32_e32 v40, 0x7c01
	s_mov_b32 s42, exec_lo
	v_cmpx_ne_u32_e32 0x7f, v41
	s_cbranch_execz .LBB253_87
; %bb.84:                               ;   in Loop: Header=BB253_12 Depth=1
	v_and_b32_e32 v1, 7, v9
	v_lshrrev_b32_e32 v40, 3, v41
	s_mov_b32 s43, exec_lo
	v_cmpx_gt_u32_e32 8, v41
; %bb.85:                               ;   in Loop: Header=BB253_12 Depth=1
	v_ffbh_u32_e32 v1, v1
	v_min_u32_e32 v1, 32, v1
	v_subrev_nc_u32_e32 v40, 28, v1
	v_lshlrev_b64 v[41:42], v40, v[9:10]
	v_sub_nc_u32_e32 v40, 29, v1
	v_and_b32_e32 v1, 7, v41
; %bb.86:                               ;   in Loop: Header=BB253_12 Depth=1
	s_or_b32 exec_lo, exec_lo, s43
	v_lshlrev_b32_e32 v41, 8, v9
	v_lshl_add_u32 v40, v40, 10, 0x2000
	v_lshlrev_b32_e32 v1, 7, v1
	v_and_b32_e32 v41, 0x8000, v41
	v_and_b32_e32 v40, 0xfc00, v40
	v_or3_b32 v40, v41, v40, v1
.LBB253_87:                             ;   in Loop: Header=BB253_12 Depth=1
	s_or_b32 exec_lo, exec_lo, s42
.LBB253_88:                             ;   in Loop: Header=BB253_12 Depth=1
	s_or_b32 exec_lo, exec_lo, s41
.LBB253_89:                             ;   in Loop: Header=BB253_12 Depth=1
	s_or_b32 exec_lo, exec_lo, s40
	v_lshrrev_b16 v1, 8, v9
	s_mov_b32 s40, exec_lo
	v_cmpx_ne_u16_e32 0, v1
	s_cbranch_execz .LBB253_97
; %bb.90:                               ;   in Loop: Header=BB253_12 Depth=1
	v_bfrev_b32_e32 v39, 1
	s_mov_b32 s41, exec_lo
	v_cmpx_ne_u16_e32 0x80, v1
	s_cbranch_execz .LBB253_96
; %bb.91:                               ;   in Loop: Header=BB253_12 Depth=1
	v_and_b32_sdwa v42, v1, v23 dst_sel:DWORD dst_unused:UNUSED_PAD src0_sel:WORD_0 src1_sel:DWORD
	v_mov_b32_e32 v39, 0x7c010000
	s_mov_b32 s42, exec_lo
	v_cmpx_ne_u32_e32 0x7f, v42
	s_cbranch_execz .LBB253_95
; %bb.92:                               ;   in Loop: Header=BB253_12 Depth=1
	v_and_b32_sdwa v39, v1, v24 dst_sel:DWORD dst_unused:UNUSED_PAD src0_sel:WORD_0 src1_sel:DWORD
	v_lshrrev_b32_e32 v41, 3, v42
	s_mov_b32 s43, exec_lo
	v_cmpx_gt_u32_e32 8, v42
; %bb.93:                               ;   in Loop: Header=BB253_12 Depth=1
	v_ffbh_u32_e32 v39, v39
	v_min_u32_e32 v39, 32, v39
	v_subrev_nc_u32_e32 v41, 28, v39
	v_lshlrev_b64 v[42:43], v41, v[1:2]
	v_sub_nc_u32_e32 v41, 29, v39
	v_and_b32_e32 v39, 7, v42
; %bb.94:                               ;   in Loop: Header=BB253_12 Depth=1
	s_or_b32 exec_lo, exec_lo, s43
	v_lshlrev_b32_sdwa v1, v25, v1 dst_sel:DWORD dst_unused:UNUSED_PAD src0_sel:DWORD src1_sel:WORD_0
	v_lshl_add_u32 v41, v41, 10, 0x2000
	v_lshlrev_b32_e32 v39, 23, v39
	v_and_or_b32 v1, 0x8000, v1, v41
	v_lshl_or_b32 v39, v1, 16, v39
.LBB253_95:                             ;   in Loop: Header=BB253_12 Depth=1
	s_or_b32 exec_lo, exec_lo, s42
.LBB253_96:                             ;   in Loop: Header=BB253_12 Depth=1
	s_or_b32 exec_lo, exec_lo, s41
.LBB253_97:                             ;   in Loop: Header=BB253_12 Depth=1
	s_or_b32 exec_lo, exec_lo, s40
	v_lshrrev_b32_e32 v1, 16, v9
	v_mov_b32_e32 v41, 0
	v_mov_b32_e32 v42, 0
	v_cmp_ne_u16_sdwa s2, v1, v2 src0_sel:BYTE_0 src1_sel:DWORD
	s_and_saveexec_b32 s40, s2
	s_cbranch_execz .LBB253_105
; %bb.98:                               ;   in Loop: Header=BB253_12 Depth=1
	v_cmp_ne_u16_sdwa s2, v1, v22 src0_sel:BYTE_0 src1_sel:DWORD
	v_mov_b32_e32 v42, 0x8000
	s_and_saveexec_b32 s41, s2
	s_cbranch_execz .LBB253_104
; %bb.99:                               ;   in Loop: Header=BB253_12 Depth=1
	v_bfe_u32 v44, v9, 16, 7
	v_mov_b32_e32 v42, 0x7c01
	s_mov_b32 s42, exec_lo
	v_cmpx_ne_u32_e32 0x7f, v44
	s_cbranch_execz .LBB253_103
; %bb.100:                              ;   in Loop: Header=BB253_12 Depth=1
	v_and_b32_e32 v42, 7, v1
	v_lshrrev_b32_e32 v43, 3, v44
	s_mov_b32 s43, exec_lo
	v_cmpx_gt_u32_e32 8, v44
; %bb.101:                              ;   in Loop: Header=BB253_12 Depth=1
	v_ffbh_u32_e32 v42, v42
	v_min_u32_e32 v44, 32, v42
	v_subrev_nc_u32_e32 v42, 28, v44
	v_lshlrev_b64 v[42:43], v42, v[1:2]
	v_sub_nc_u32_e32 v43, 29, v44
	v_and_b32_e32 v42, 7, v42
; %bb.102:                              ;   in Loop: Header=BB253_12 Depth=1
	s_or_b32 exec_lo, exec_lo, s43
	v_lshlrev_b32_e32 v1, 8, v1
	v_lshl_add_u32 v43, v43, 10, 0x2000
	v_lshlrev_b32_e32 v42, 7, v42
	v_and_b32_e32 v1, 0x8000, v1
	v_and_b32_e32 v43, 0xfc00, v43
	v_or3_b32 v42, v1, v43, v42
.LBB253_103:                            ;   in Loop: Header=BB253_12 Depth=1
	s_or_b32 exec_lo, exec_lo, s42
.LBB253_104:                            ;   in Loop: Header=BB253_12 Depth=1
	s_or_b32 exec_lo, exec_lo, s41
.LBB253_105:                            ;   in Loop: Header=BB253_12 Depth=1
	s_or_b32 exec_lo, exec_lo, s40
	s_mov_b32 s40, exec_lo
	v_cmpx_lt_u32_e32 0xffffff, v9
	s_cbranch_execz .LBB253_113
; %bb.106:                              ;   in Loop: Header=BB253_12 Depth=1
	v_lshrrev_b32_e32 v1, 24, v9
	v_bfrev_b32_e32 v41, 1
	s_mov_b32 s41, exec_lo
	v_cmpx_ne_u32_e32 0x80, v1
	s_cbranch_execz .LBB253_112
; %bb.107:                              ;   in Loop: Header=BB253_12 Depth=1
	v_and_b32_e32 v43, 0x7f, v1
	v_mov_b32_e32 v41, 0x7c010000
	s_mov_b32 s42, exec_lo
	v_cmpx_ne_u32_e32 0x7f, v43
	s_cbranch_execz .LBB253_111
; %bb.108:                              ;   in Loop: Header=BB253_12 Depth=1
	v_and_b32_e32 v9, 7, v1
	v_lshrrev_b32_e32 v41, 3, v43
	s_mov_b32 s43, exec_lo
	v_cmpx_gt_u32_e32 8, v43
; %bb.109:                              ;   in Loop: Header=BB253_12 Depth=1
	v_ffbh_u32_e32 v9, v9
	v_min_u32_e32 v9, 32, v9
	v_subrev_nc_u32_e32 v41, 28, v9
	v_lshlrev_b64 v[43:44], v41, v[1:2]
	v_sub_nc_u32_e32 v41, 29, v9
	v_and_b32_e32 v9, 7, v43
; %bb.110:                              ;   in Loop: Header=BB253_12 Depth=1
	s_or_b32 exec_lo, exec_lo, s43
	v_lshlrev_b32_e32 v1, 8, v1
	v_lshl_add_u32 v41, v41, 10, 0x2000
	v_lshlrev_b32_e32 v9, 23, v9
	v_and_or_b32 v1, 0x8000, v1, v41
	v_lshl_or_b32 v41, v1, 16, v9
.LBB253_111:                            ;   in Loop: Header=BB253_12 Depth=1
	s_or_b32 exec_lo, exec_lo, s42
.LBB253_112:                            ;   in Loop: Header=BB253_12 Depth=1
	s_or_b32 exec_lo, exec_lo, s41
.LBB253_113:                            ;   in Loop: Header=BB253_12 Depth=1
	s_or_b32 exec_lo, exec_lo, s40
	global_load_dword v9, v[7:8], off offset:264
	v_mov_b32_e32 v43, 0
	v_mov_b32_e32 v44, 0
	s_waitcnt vmcnt(0)
	v_cmp_ne_u16_sdwa s2, v9, v2 src0_sel:BYTE_0 src1_sel:DWORD
	s_and_saveexec_b32 s40, s2
	s_cbranch_execz .LBB253_121
; %bb.114:                              ;   in Loop: Header=BB253_12 Depth=1
	v_cmp_ne_u16_sdwa s2, v9, v22 src0_sel:BYTE_0 src1_sel:DWORD
	v_mov_b32_e32 v44, 0x8000
	s_and_saveexec_b32 s41, s2
	s_cbranch_execz .LBB253_120
; %bb.115:                              ;   in Loop: Header=BB253_12 Depth=1
	v_and_b32_e32 v45, 0x7f, v9
	v_mov_b32_e32 v44, 0x7c01
	s_mov_b32 s42, exec_lo
	v_cmpx_ne_u32_e32 0x7f, v45
	s_cbranch_execz .LBB253_119
; %bb.116:                              ;   in Loop: Header=BB253_12 Depth=1
	v_and_b32_e32 v1, 7, v9
	v_lshrrev_b32_e32 v44, 3, v45
	s_mov_b32 s43, exec_lo
	v_cmpx_gt_u32_e32 8, v45
; %bb.117:                              ;   in Loop: Header=BB253_12 Depth=1
	v_ffbh_u32_e32 v1, v1
	v_min_u32_e32 v1, 32, v1
	v_subrev_nc_u32_e32 v44, 28, v1
	v_lshlrev_b64 v[45:46], v44, v[9:10]
	v_sub_nc_u32_e32 v44, 29, v1
	v_and_b32_e32 v1, 7, v45
; %bb.118:                              ;   in Loop: Header=BB253_12 Depth=1
	s_or_b32 exec_lo, exec_lo, s43
	v_lshlrev_b32_e32 v45, 8, v9
	v_lshl_add_u32 v44, v44, 10, 0x2000
	v_lshlrev_b32_e32 v1, 7, v1
	v_and_b32_e32 v45, 0x8000, v45
	v_and_b32_e32 v44, 0xfc00, v44
	v_or3_b32 v44, v45, v44, v1
.LBB253_119:                            ;   in Loop: Header=BB253_12 Depth=1
	s_or_b32 exec_lo, exec_lo, s42
.LBB253_120:                            ;   in Loop: Header=BB253_12 Depth=1
	s_or_b32 exec_lo, exec_lo, s41
.LBB253_121:                            ;   in Loop: Header=BB253_12 Depth=1
	s_or_b32 exec_lo, exec_lo, s40
	v_lshrrev_b16 v1, 8, v9
	s_mov_b32 s40, exec_lo
	v_cmpx_ne_u16_e32 0, v1
	s_cbranch_execz .LBB253_129
; %bb.122:                              ;   in Loop: Header=BB253_12 Depth=1
	v_bfrev_b32_e32 v43, 1
	s_mov_b32 s41, exec_lo
	v_cmpx_ne_u16_e32 0x80, v1
	s_cbranch_execz .LBB253_128
; %bb.123:                              ;   in Loop: Header=BB253_12 Depth=1
	v_and_b32_sdwa v46, v1, v23 dst_sel:DWORD dst_unused:UNUSED_PAD src0_sel:WORD_0 src1_sel:DWORD
	v_mov_b32_e32 v43, 0x7c010000
	s_mov_b32 s42, exec_lo
	v_cmpx_ne_u32_e32 0x7f, v46
	s_cbranch_execz .LBB253_127
; %bb.124:                              ;   in Loop: Header=BB253_12 Depth=1
	v_and_b32_sdwa v43, v1, v24 dst_sel:DWORD dst_unused:UNUSED_PAD src0_sel:WORD_0 src1_sel:DWORD
	v_lshrrev_b32_e32 v45, 3, v46
	s_mov_b32 s43, exec_lo
	v_cmpx_gt_u32_e32 8, v46
; %bb.125:                              ;   in Loop: Header=BB253_12 Depth=1
	v_ffbh_u32_e32 v43, v43
	v_min_u32_e32 v43, 32, v43
	v_subrev_nc_u32_e32 v45, 28, v43
	v_lshlrev_b64 v[46:47], v45, v[1:2]
	v_sub_nc_u32_e32 v45, 29, v43
	v_and_b32_e32 v43, 7, v46
; %bb.126:                              ;   in Loop: Header=BB253_12 Depth=1
	s_or_b32 exec_lo, exec_lo, s43
	v_lshlrev_b32_sdwa v1, v25, v1 dst_sel:DWORD dst_unused:UNUSED_PAD src0_sel:DWORD src1_sel:WORD_0
	v_lshl_add_u32 v45, v45, 10, 0x2000
	v_lshlrev_b32_e32 v43, 23, v43
	v_and_or_b32 v1, 0x8000, v1, v45
	v_lshl_or_b32 v43, v1, 16, v43
.LBB253_127:                            ;   in Loop: Header=BB253_12 Depth=1
	s_or_b32 exec_lo, exec_lo, s42
.LBB253_128:                            ;   in Loop: Header=BB253_12 Depth=1
	s_or_b32 exec_lo, exec_lo, s41
.LBB253_129:                            ;   in Loop: Header=BB253_12 Depth=1
	s_or_b32 exec_lo, exec_lo, s40
	v_lshrrev_b32_e32 v1, 16, v9
	v_mov_b32_e32 v45, 0
	v_mov_b32_e32 v46, 0
	v_cmp_ne_u16_sdwa s2, v1, v2 src0_sel:BYTE_0 src1_sel:DWORD
	s_and_saveexec_b32 s40, s2
	s_cbranch_execz .LBB253_137
; %bb.130:                              ;   in Loop: Header=BB253_12 Depth=1
	v_cmp_ne_u16_sdwa s2, v1, v22 src0_sel:BYTE_0 src1_sel:DWORD
	v_mov_b32_e32 v46, 0x8000
	s_and_saveexec_b32 s41, s2
	s_cbranch_execz .LBB253_136
; %bb.131:                              ;   in Loop: Header=BB253_12 Depth=1
	v_bfe_u32 v48, v9, 16, 7
	v_mov_b32_e32 v46, 0x7c01
	s_mov_b32 s42, exec_lo
	v_cmpx_ne_u32_e32 0x7f, v48
	s_cbranch_execz .LBB253_135
; %bb.132:                              ;   in Loop: Header=BB253_12 Depth=1
	v_and_b32_e32 v46, 7, v1
	v_lshrrev_b32_e32 v47, 3, v48
	s_mov_b32 s43, exec_lo
	v_cmpx_gt_u32_e32 8, v48
; %bb.133:                              ;   in Loop: Header=BB253_12 Depth=1
	v_ffbh_u32_e32 v46, v46
	v_min_u32_e32 v48, 32, v46
	v_subrev_nc_u32_e32 v46, 28, v48
	v_lshlrev_b64 v[46:47], v46, v[1:2]
	v_sub_nc_u32_e32 v47, 29, v48
	v_and_b32_e32 v46, 7, v46
; %bb.134:                              ;   in Loop: Header=BB253_12 Depth=1
	s_or_b32 exec_lo, exec_lo, s43
	v_lshlrev_b32_e32 v1, 8, v1
	v_lshl_add_u32 v47, v47, 10, 0x2000
	v_lshlrev_b32_e32 v46, 7, v46
	v_and_b32_e32 v1, 0x8000, v1
	v_and_b32_e32 v47, 0xfc00, v47
	v_or3_b32 v46, v1, v47, v46
.LBB253_135:                            ;   in Loop: Header=BB253_12 Depth=1
	s_or_b32 exec_lo, exec_lo, s42
.LBB253_136:                            ;   in Loop: Header=BB253_12 Depth=1
	s_or_b32 exec_lo, exec_lo, s41
.LBB253_137:                            ;   in Loop: Header=BB253_12 Depth=1
	s_or_b32 exec_lo, exec_lo, s40
	s_mov_b32 s40, exec_lo
	v_cmpx_lt_u32_e32 0xffffff, v9
	s_cbranch_execz .LBB253_145
; %bb.138:                              ;   in Loop: Header=BB253_12 Depth=1
	v_lshrrev_b32_e32 v1, 24, v9
	v_bfrev_b32_e32 v45, 1
	s_mov_b32 s41, exec_lo
	v_cmpx_ne_u32_e32 0x80, v1
	s_cbranch_execz .LBB253_144
; %bb.139:                              ;   in Loop: Header=BB253_12 Depth=1
	v_and_b32_e32 v47, 0x7f, v1
	v_mov_b32_e32 v45, 0x7c010000
	s_mov_b32 s42, exec_lo
	v_cmpx_ne_u32_e32 0x7f, v47
	s_cbranch_execz .LBB253_143
; %bb.140:                              ;   in Loop: Header=BB253_12 Depth=1
	v_and_b32_e32 v9, 7, v1
	v_lshrrev_b32_e32 v45, 3, v47
	s_mov_b32 s43, exec_lo
	v_cmpx_gt_u32_e32 8, v47
; %bb.141:                              ;   in Loop: Header=BB253_12 Depth=1
	v_ffbh_u32_e32 v9, v9
	v_min_u32_e32 v9, 32, v9
	v_subrev_nc_u32_e32 v45, 28, v9
	v_lshlrev_b64 v[47:48], v45, v[1:2]
	v_sub_nc_u32_e32 v45, 29, v9
	v_and_b32_e32 v9, 7, v47
; %bb.142:                              ;   in Loop: Header=BB253_12 Depth=1
	s_or_b32 exec_lo, exec_lo, s43
	v_lshlrev_b32_e32 v1, 8, v1
	v_lshl_add_u32 v45, v45, 10, 0x2000
	v_lshlrev_b32_e32 v9, 23, v9
	v_and_or_b32 v1, 0x8000, v1, v45
	v_lshl_or_b32 v45, v1, 16, v9
.LBB253_143:                            ;   in Loop: Header=BB253_12 Depth=1
	s_or_b32 exec_lo, exec_lo, s42
.LBB253_144:                            ;   in Loop: Header=BB253_12 Depth=1
	s_or_b32 exec_lo, exec_lo, s41
.LBB253_145:                            ;   in Loop: Header=BB253_12 Depth=1
	s_or_b32 exec_lo, exec_lo, s40
	global_load_dword v9, v[7:8], off offset:512
	v_mov_b32_e32 v47, 0
	v_mov_b32_e32 v48, 0
	s_waitcnt vmcnt(0)
	v_cmp_ne_u16_sdwa s2, v9, v2 src0_sel:BYTE_0 src1_sel:DWORD
	s_and_saveexec_b32 s40, s2
	s_cbranch_execz .LBB253_153
; %bb.146:                              ;   in Loop: Header=BB253_12 Depth=1
	v_cmp_ne_u16_sdwa s2, v9, v22 src0_sel:BYTE_0 src1_sel:DWORD
	v_mov_b32_e32 v48, 0x8000
	s_and_saveexec_b32 s41, s2
	s_cbranch_execz .LBB253_152
; %bb.147:                              ;   in Loop: Header=BB253_12 Depth=1
	v_and_b32_e32 v49, 0x7f, v9
	v_mov_b32_e32 v48, 0x7c01
	s_mov_b32 s42, exec_lo
	v_cmpx_ne_u32_e32 0x7f, v49
	s_cbranch_execz .LBB253_151
; %bb.148:                              ;   in Loop: Header=BB253_12 Depth=1
	v_and_b32_e32 v1, 7, v9
	v_lshrrev_b32_e32 v48, 3, v49
	s_mov_b32 s43, exec_lo
	v_cmpx_gt_u32_e32 8, v49
; %bb.149:                              ;   in Loop: Header=BB253_12 Depth=1
	v_ffbh_u32_e32 v1, v1
	v_min_u32_e32 v1, 32, v1
	v_subrev_nc_u32_e32 v48, 28, v1
	v_lshlrev_b64 v[49:50], v48, v[9:10]
	v_sub_nc_u32_e32 v48, 29, v1
	v_and_b32_e32 v1, 7, v49
; %bb.150:                              ;   in Loop: Header=BB253_12 Depth=1
	s_or_b32 exec_lo, exec_lo, s43
	v_lshlrev_b32_e32 v49, 8, v9
	v_lshl_add_u32 v48, v48, 10, 0x2000
	v_lshlrev_b32_e32 v1, 7, v1
	v_and_b32_e32 v49, 0x8000, v49
	v_and_b32_e32 v48, 0xfc00, v48
	v_or3_b32 v48, v49, v48, v1
.LBB253_151:                            ;   in Loop: Header=BB253_12 Depth=1
	s_or_b32 exec_lo, exec_lo, s42
.LBB253_152:                            ;   in Loop: Header=BB253_12 Depth=1
	s_or_b32 exec_lo, exec_lo, s41
.LBB253_153:                            ;   in Loop: Header=BB253_12 Depth=1
	s_or_b32 exec_lo, exec_lo, s40
	v_lshrrev_b16 v1, 8, v9
	s_mov_b32 s40, exec_lo
	v_cmpx_ne_u16_e32 0, v1
	s_cbranch_execz .LBB253_161
; %bb.154:                              ;   in Loop: Header=BB253_12 Depth=1
	v_bfrev_b32_e32 v47, 1
	s_mov_b32 s41, exec_lo
	v_cmpx_ne_u16_e32 0x80, v1
	s_cbranch_execz .LBB253_160
; %bb.155:                              ;   in Loop: Header=BB253_12 Depth=1
	v_and_b32_sdwa v50, v1, v23 dst_sel:DWORD dst_unused:UNUSED_PAD src0_sel:WORD_0 src1_sel:DWORD
	v_mov_b32_e32 v47, 0x7c010000
	s_mov_b32 s42, exec_lo
	v_cmpx_ne_u32_e32 0x7f, v50
	s_cbranch_execz .LBB253_159
; %bb.156:                              ;   in Loop: Header=BB253_12 Depth=1
	v_and_b32_sdwa v47, v1, v24 dst_sel:DWORD dst_unused:UNUSED_PAD src0_sel:WORD_0 src1_sel:DWORD
	v_lshrrev_b32_e32 v49, 3, v50
	s_mov_b32 s43, exec_lo
	v_cmpx_gt_u32_e32 8, v50
; %bb.157:                              ;   in Loop: Header=BB253_12 Depth=1
	v_ffbh_u32_e32 v47, v47
	v_min_u32_e32 v47, 32, v47
	v_subrev_nc_u32_e32 v49, 28, v47
	v_lshlrev_b64 v[50:51], v49, v[1:2]
	v_sub_nc_u32_e32 v49, 29, v47
	v_and_b32_e32 v47, 7, v50
; %bb.158:                              ;   in Loop: Header=BB253_12 Depth=1
	s_or_b32 exec_lo, exec_lo, s43
	v_lshlrev_b32_sdwa v1, v25, v1 dst_sel:DWORD dst_unused:UNUSED_PAD src0_sel:DWORD src1_sel:WORD_0
	v_lshl_add_u32 v49, v49, 10, 0x2000
	v_lshlrev_b32_e32 v47, 23, v47
	v_and_or_b32 v1, 0x8000, v1, v49
	v_lshl_or_b32 v47, v1, 16, v47
.LBB253_159:                            ;   in Loop: Header=BB253_12 Depth=1
	s_or_b32 exec_lo, exec_lo, s42
.LBB253_160:                            ;   in Loop: Header=BB253_12 Depth=1
	s_or_b32 exec_lo, exec_lo, s41
.LBB253_161:                            ;   in Loop: Header=BB253_12 Depth=1
	s_or_b32 exec_lo, exec_lo, s40
	v_lshrrev_b32_e32 v1, 16, v9
	v_mov_b32_e32 v49, 0
	v_mov_b32_e32 v50, 0
	v_cmp_ne_u16_sdwa s2, v1, v2 src0_sel:BYTE_0 src1_sel:DWORD
	s_and_saveexec_b32 s40, s2
	s_cbranch_execz .LBB253_169
; %bb.162:                              ;   in Loop: Header=BB253_12 Depth=1
	v_cmp_ne_u16_sdwa s2, v1, v22 src0_sel:BYTE_0 src1_sel:DWORD
	v_mov_b32_e32 v50, 0x8000
	s_and_saveexec_b32 s41, s2
	s_cbranch_execz .LBB253_168
; %bb.163:                              ;   in Loop: Header=BB253_12 Depth=1
	v_bfe_u32 v52, v9, 16, 7
	v_mov_b32_e32 v50, 0x7c01
	s_mov_b32 s42, exec_lo
	v_cmpx_ne_u32_e32 0x7f, v52
	s_cbranch_execz .LBB253_167
; %bb.164:                              ;   in Loop: Header=BB253_12 Depth=1
	v_and_b32_e32 v50, 7, v1
	v_lshrrev_b32_e32 v51, 3, v52
	s_mov_b32 s43, exec_lo
	v_cmpx_gt_u32_e32 8, v52
; %bb.165:                              ;   in Loop: Header=BB253_12 Depth=1
	v_ffbh_u32_e32 v50, v50
	v_min_u32_e32 v52, 32, v50
	v_subrev_nc_u32_e32 v50, 28, v52
	v_lshlrev_b64 v[50:51], v50, v[1:2]
	v_sub_nc_u32_e32 v51, 29, v52
	v_and_b32_e32 v50, 7, v50
; %bb.166:                              ;   in Loop: Header=BB253_12 Depth=1
	s_or_b32 exec_lo, exec_lo, s43
	v_lshlrev_b32_e32 v1, 8, v1
	v_lshl_add_u32 v51, v51, 10, 0x2000
	v_lshlrev_b32_e32 v50, 7, v50
	v_and_b32_e32 v1, 0x8000, v1
	v_and_b32_e32 v51, 0xfc00, v51
	v_or3_b32 v50, v1, v51, v50
.LBB253_167:                            ;   in Loop: Header=BB253_12 Depth=1
	s_or_b32 exec_lo, exec_lo, s42
.LBB253_168:                            ;   in Loop: Header=BB253_12 Depth=1
	s_or_b32 exec_lo, exec_lo, s41
.LBB253_169:                            ;   in Loop: Header=BB253_12 Depth=1
	s_or_b32 exec_lo, exec_lo, s40
	s_mov_b32 s40, exec_lo
	v_cmpx_lt_u32_e32 0xffffff, v9
	s_cbranch_execz .LBB253_177
; %bb.170:                              ;   in Loop: Header=BB253_12 Depth=1
	v_lshrrev_b32_e32 v1, 24, v9
	v_bfrev_b32_e32 v49, 1
	s_mov_b32 s41, exec_lo
	v_cmpx_ne_u32_e32 0x80, v1
	s_cbranch_execz .LBB253_176
; %bb.171:                              ;   in Loop: Header=BB253_12 Depth=1
	v_and_b32_e32 v51, 0x7f, v1
	v_mov_b32_e32 v49, 0x7c010000
	s_mov_b32 s42, exec_lo
	v_cmpx_ne_u32_e32 0x7f, v51
	s_cbranch_execz .LBB253_175
; %bb.172:                              ;   in Loop: Header=BB253_12 Depth=1
	v_and_b32_e32 v9, 7, v1
	v_lshrrev_b32_e32 v49, 3, v51
	s_mov_b32 s43, exec_lo
	v_cmpx_gt_u32_e32 8, v51
; %bb.173:                              ;   in Loop: Header=BB253_12 Depth=1
	v_ffbh_u32_e32 v9, v9
	v_min_u32_e32 v9, 32, v9
	v_subrev_nc_u32_e32 v49, 28, v9
	v_lshlrev_b64 v[51:52], v49, v[1:2]
	v_sub_nc_u32_e32 v49, 29, v9
	v_and_b32_e32 v9, 7, v51
; %bb.174:                              ;   in Loop: Header=BB253_12 Depth=1
	s_or_b32 exec_lo, exec_lo, s43
	v_lshlrev_b32_e32 v1, 8, v1
	v_lshl_add_u32 v49, v49, 10, 0x2000
	v_lshlrev_b32_e32 v9, 23, v9
	v_and_or_b32 v1, 0x8000, v1, v49
	v_lshl_or_b32 v49, v1, 16, v9
.LBB253_175:                            ;   in Loop: Header=BB253_12 Depth=1
	s_or_b32 exec_lo, exec_lo, s42
.LBB253_176:                            ;   in Loop: Header=BB253_12 Depth=1
	s_or_b32 exec_lo, exec_lo, s41
.LBB253_177:                            ;   in Loop: Header=BB253_12 Depth=1
	s_or_b32 exec_lo, exec_lo, s40
	global_load_dword v9, v[7:8], off offset:520
	v_mov_b32_e32 v51, 0
	v_mov_b32_e32 v52, 0
	s_waitcnt vmcnt(0)
	v_cmp_ne_u16_sdwa s2, v9, v2 src0_sel:BYTE_0 src1_sel:DWORD
	s_and_saveexec_b32 s40, s2
	s_cbranch_execz .LBB253_185
; %bb.178:                              ;   in Loop: Header=BB253_12 Depth=1
	v_cmp_ne_u16_sdwa s2, v9, v22 src0_sel:BYTE_0 src1_sel:DWORD
	v_mov_b32_e32 v52, 0x8000
	s_and_saveexec_b32 s41, s2
	s_cbranch_execz .LBB253_184
; %bb.179:                              ;   in Loop: Header=BB253_12 Depth=1
	v_and_b32_e32 v53, 0x7f, v9
	v_mov_b32_e32 v52, 0x7c01
	s_mov_b32 s42, exec_lo
	v_cmpx_ne_u32_e32 0x7f, v53
	s_cbranch_execz .LBB253_183
; %bb.180:                              ;   in Loop: Header=BB253_12 Depth=1
	v_and_b32_e32 v1, 7, v9
	v_lshrrev_b32_e32 v52, 3, v53
	s_mov_b32 s43, exec_lo
	v_cmpx_gt_u32_e32 8, v53
; %bb.181:                              ;   in Loop: Header=BB253_12 Depth=1
	v_ffbh_u32_e32 v1, v1
	v_min_u32_e32 v1, 32, v1
	v_subrev_nc_u32_e32 v52, 28, v1
	v_lshlrev_b64 v[53:54], v52, v[9:10]
	v_sub_nc_u32_e32 v52, 29, v1
	v_and_b32_e32 v1, 7, v53
; %bb.182:                              ;   in Loop: Header=BB253_12 Depth=1
	s_or_b32 exec_lo, exec_lo, s43
	v_lshlrev_b32_e32 v53, 8, v9
	v_lshl_add_u32 v52, v52, 10, 0x2000
	v_lshlrev_b32_e32 v1, 7, v1
	v_and_b32_e32 v53, 0x8000, v53
	v_and_b32_e32 v52, 0xfc00, v52
	v_or3_b32 v52, v53, v52, v1
.LBB253_183:                            ;   in Loop: Header=BB253_12 Depth=1
	s_or_b32 exec_lo, exec_lo, s42
.LBB253_184:                            ;   in Loop: Header=BB253_12 Depth=1
	s_or_b32 exec_lo, exec_lo, s41
.LBB253_185:                            ;   in Loop: Header=BB253_12 Depth=1
	s_or_b32 exec_lo, exec_lo, s40
	v_lshrrev_b16 v1, 8, v9
	s_mov_b32 s40, exec_lo
	v_cmpx_ne_u16_e32 0, v1
	s_cbranch_execz .LBB253_193
; %bb.186:                              ;   in Loop: Header=BB253_12 Depth=1
	v_bfrev_b32_e32 v51, 1
	s_mov_b32 s41, exec_lo
	v_cmpx_ne_u16_e32 0x80, v1
	s_cbranch_execz .LBB253_192
; %bb.187:                              ;   in Loop: Header=BB253_12 Depth=1
	v_and_b32_sdwa v54, v1, v23 dst_sel:DWORD dst_unused:UNUSED_PAD src0_sel:WORD_0 src1_sel:DWORD
	v_mov_b32_e32 v51, 0x7c010000
	s_mov_b32 s42, exec_lo
	v_cmpx_ne_u32_e32 0x7f, v54
	s_cbranch_execz .LBB253_191
; %bb.188:                              ;   in Loop: Header=BB253_12 Depth=1
	v_and_b32_sdwa v51, v1, v24 dst_sel:DWORD dst_unused:UNUSED_PAD src0_sel:WORD_0 src1_sel:DWORD
	v_lshrrev_b32_e32 v53, 3, v54
	s_mov_b32 s43, exec_lo
	v_cmpx_gt_u32_e32 8, v54
; %bb.189:                              ;   in Loop: Header=BB253_12 Depth=1
	v_ffbh_u32_e32 v51, v51
	v_min_u32_e32 v51, 32, v51
	v_subrev_nc_u32_e32 v53, 28, v51
	v_lshlrev_b64 v[54:55], v53, v[1:2]
	v_sub_nc_u32_e32 v53, 29, v51
	v_and_b32_e32 v51, 7, v54
; %bb.190:                              ;   in Loop: Header=BB253_12 Depth=1
	s_or_b32 exec_lo, exec_lo, s43
	v_lshlrev_b32_sdwa v1, v25, v1 dst_sel:DWORD dst_unused:UNUSED_PAD src0_sel:DWORD src1_sel:WORD_0
	v_lshl_add_u32 v53, v53, 10, 0x2000
	v_lshlrev_b32_e32 v51, 23, v51
	v_and_or_b32 v1, 0x8000, v1, v53
	v_lshl_or_b32 v51, v1, 16, v51
.LBB253_191:                            ;   in Loop: Header=BB253_12 Depth=1
	s_or_b32 exec_lo, exec_lo, s42
.LBB253_192:                            ;   in Loop: Header=BB253_12 Depth=1
	s_or_b32 exec_lo, exec_lo, s41
.LBB253_193:                            ;   in Loop: Header=BB253_12 Depth=1
	s_or_b32 exec_lo, exec_lo, s40
	v_lshrrev_b32_e32 v1, 16, v9
	v_mov_b32_e32 v53, 0
	v_mov_b32_e32 v54, 0
	v_cmp_ne_u16_sdwa s2, v1, v2 src0_sel:BYTE_0 src1_sel:DWORD
	s_and_saveexec_b32 s40, s2
	s_cbranch_execz .LBB253_201
; %bb.194:                              ;   in Loop: Header=BB253_12 Depth=1
	v_cmp_ne_u16_sdwa s2, v1, v22 src0_sel:BYTE_0 src1_sel:DWORD
	v_mov_b32_e32 v54, 0x8000
	s_and_saveexec_b32 s41, s2
	s_cbranch_execz .LBB253_200
; %bb.195:                              ;   in Loop: Header=BB253_12 Depth=1
	v_bfe_u32 v56, v9, 16, 7
	v_mov_b32_e32 v54, 0x7c01
	s_mov_b32 s42, exec_lo
	v_cmpx_ne_u32_e32 0x7f, v56
	s_cbranch_execz .LBB253_199
; %bb.196:                              ;   in Loop: Header=BB253_12 Depth=1
	v_and_b32_e32 v54, 7, v1
	v_lshrrev_b32_e32 v55, 3, v56
	s_mov_b32 s43, exec_lo
	v_cmpx_gt_u32_e32 8, v56
; %bb.197:                              ;   in Loop: Header=BB253_12 Depth=1
	v_ffbh_u32_e32 v54, v54
	v_min_u32_e32 v56, 32, v54
	v_subrev_nc_u32_e32 v54, 28, v56
	v_lshlrev_b64 v[54:55], v54, v[1:2]
	v_sub_nc_u32_e32 v55, 29, v56
	v_and_b32_e32 v54, 7, v54
; %bb.198:                              ;   in Loop: Header=BB253_12 Depth=1
	s_or_b32 exec_lo, exec_lo, s43
	v_lshlrev_b32_e32 v1, 8, v1
	v_lshl_add_u32 v55, v55, 10, 0x2000
	v_lshlrev_b32_e32 v54, 7, v54
	v_and_b32_e32 v1, 0x8000, v1
	v_and_b32_e32 v55, 0xfc00, v55
	v_or3_b32 v54, v1, v55, v54
.LBB253_199:                            ;   in Loop: Header=BB253_12 Depth=1
	s_or_b32 exec_lo, exec_lo, s42
.LBB253_200:                            ;   in Loop: Header=BB253_12 Depth=1
	s_or_b32 exec_lo, exec_lo, s41
.LBB253_201:                            ;   in Loop: Header=BB253_12 Depth=1
	s_or_b32 exec_lo, exec_lo, s40
	s_mov_b32 s40, exec_lo
	v_cmpx_lt_u32_e32 0xffffff, v9
	s_cbranch_execz .LBB253_209
; %bb.202:                              ;   in Loop: Header=BB253_12 Depth=1
	v_lshrrev_b32_e32 v1, 24, v9
	v_bfrev_b32_e32 v53, 1
	s_mov_b32 s41, exec_lo
	v_cmpx_ne_u32_e32 0x80, v1
	s_cbranch_execz .LBB253_208
; %bb.203:                              ;   in Loop: Header=BB253_12 Depth=1
	v_and_b32_e32 v55, 0x7f, v1
	v_mov_b32_e32 v53, 0x7c010000
	s_mov_b32 s42, exec_lo
	v_cmpx_ne_u32_e32 0x7f, v55
	s_cbranch_execz .LBB253_207
; %bb.204:                              ;   in Loop: Header=BB253_12 Depth=1
	v_and_b32_e32 v9, 7, v1
	v_lshrrev_b32_e32 v53, 3, v55
	s_mov_b32 s43, exec_lo
	v_cmpx_gt_u32_e32 8, v55
; %bb.205:                              ;   in Loop: Header=BB253_12 Depth=1
	v_ffbh_u32_e32 v9, v9
	v_min_u32_e32 v9, 32, v9
	v_subrev_nc_u32_e32 v53, 28, v9
	v_lshlrev_b64 v[55:56], v53, v[1:2]
	v_sub_nc_u32_e32 v53, 29, v9
	v_and_b32_e32 v9, 7, v55
; %bb.206:                              ;   in Loop: Header=BB253_12 Depth=1
	s_or_b32 exec_lo, exec_lo, s43
	v_lshlrev_b32_e32 v1, 8, v1
	v_lshl_add_u32 v53, v53, 10, 0x2000
	v_lshlrev_b32_e32 v9, 23, v9
	v_and_or_b32 v1, 0x8000, v1, v53
	v_lshl_or_b32 v53, v1, 16, v9
.LBB253_207:                            ;   in Loop: Header=BB253_12 Depth=1
	s_or_b32 exec_lo, exec_lo, s42
.LBB253_208:                            ;   in Loop: Header=BB253_12 Depth=1
	s_or_b32 exec_lo, exec_lo, s41
.LBB253_209:                            ;   in Loop: Header=BB253_12 Depth=1
	s_or_b32 exec_lo, exec_lo, s40
	global_load_dword v9, v[7:8], off offset:768
	v_mov_b32_e32 v55, 0
	v_mov_b32_e32 v56, 0
	s_waitcnt vmcnt(0)
	v_cmp_ne_u16_sdwa s2, v9, v2 src0_sel:BYTE_0 src1_sel:DWORD
	s_and_saveexec_b32 s40, s2
	s_cbranch_execz .LBB253_217
; %bb.210:                              ;   in Loop: Header=BB253_12 Depth=1
	v_cmp_ne_u16_sdwa s2, v9, v22 src0_sel:BYTE_0 src1_sel:DWORD
	v_mov_b32_e32 v56, 0x8000
	s_and_saveexec_b32 s41, s2
	s_cbranch_execz .LBB253_216
; %bb.211:                              ;   in Loop: Header=BB253_12 Depth=1
	v_and_b32_e32 v57, 0x7f, v9
	v_mov_b32_e32 v56, 0x7c01
	s_mov_b32 s42, exec_lo
	v_cmpx_ne_u32_e32 0x7f, v57
	s_cbranch_execz .LBB253_215
; %bb.212:                              ;   in Loop: Header=BB253_12 Depth=1
	v_and_b32_e32 v1, 7, v9
	v_lshrrev_b32_e32 v56, 3, v57
	s_mov_b32 s43, exec_lo
	v_cmpx_gt_u32_e32 8, v57
; %bb.213:                              ;   in Loop: Header=BB253_12 Depth=1
	v_ffbh_u32_e32 v1, v1
	v_min_u32_e32 v1, 32, v1
	v_subrev_nc_u32_e32 v56, 28, v1
	v_lshlrev_b64 v[57:58], v56, v[9:10]
	v_sub_nc_u32_e32 v56, 29, v1
	v_and_b32_e32 v1, 7, v57
; %bb.214:                              ;   in Loop: Header=BB253_12 Depth=1
	s_or_b32 exec_lo, exec_lo, s43
	v_lshlrev_b32_e32 v57, 8, v9
	v_lshl_add_u32 v56, v56, 10, 0x2000
	v_lshlrev_b32_e32 v1, 7, v1
	v_and_b32_e32 v57, 0x8000, v57
	v_and_b32_e32 v56, 0xfc00, v56
	v_or3_b32 v56, v57, v56, v1
.LBB253_215:                            ;   in Loop: Header=BB253_12 Depth=1
	s_or_b32 exec_lo, exec_lo, s42
.LBB253_216:                            ;   in Loop: Header=BB253_12 Depth=1
	s_or_b32 exec_lo, exec_lo, s41
.LBB253_217:                            ;   in Loop: Header=BB253_12 Depth=1
	s_or_b32 exec_lo, exec_lo, s40
	v_lshrrev_b16 v1, 8, v9
	s_mov_b32 s40, exec_lo
	v_cmpx_ne_u16_e32 0, v1
	s_cbranch_execz .LBB253_225
; %bb.218:                              ;   in Loop: Header=BB253_12 Depth=1
	v_bfrev_b32_e32 v55, 1
	s_mov_b32 s41, exec_lo
	v_cmpx_ne_u16_e32 0x80, v1
	s_cbranch_execz .LBB253_224
; %bb.219:                              ;   in Loop: Header=BB253_12 Depth=1
	v_and_b32_sdwa v58, v1, v23 dst_sel:DWORD dst_unused:UNUSED_PAD src0_sel:WORD_0 src1_sel:DWORD
	v_mov_b32_e32 v55, 0x7c010000
	s_mov_b32 s42, exec_lo
	v_cmpx_ne_u32_e32 0x7f, v58
	s_cbranch_execz .LBB253_223
; %bb.220:                              ;   in Loop: Header=BB253_12 Depth=1
	v_and_b32_sdwa v55, v1, v24 dst_sel:DWORD dst_unused:UNUSED_PAD src0_sel:WORD_0 src1_sel:DWORD
	v_lshrrev_b32_e32 v57, 3, v58
	s_mov_b32 s43, exec_lo
	v_cmpx_gt_u32_e32 8, v58
; %bb.221:                              ;   in Loop: Header=BB253_12 Depth=1
	v_ffbh_u32_e32 v55, v55
	v_min_u32_e32 v55, 32, v55
	v_subrev_nc_u32_e32 v57, 28, v55
	v_lshlrev_b64 v[58:59], v57, v[1:2]
	v_sub_nc_u32_e32 v57, 29, v55
	v_and_b32_e32 v55, 7, v58
; %bb.222:                              ;   in Loop: Header=BB253_12 Depth=1
	s_or_b32 exec_lo, exec_lo, s43
	v_lshlrev_b32_sdwa v1, v25, v1 dst_sel:DWORD dst_unused:UNUSED_PAD src0_sel:DWORD src1_sel:WORD_0
	v_lshl_add_u32 v57, v57, 10, 0x2000
	v_lshlrev_b32_e32 v55, 23, v55
	v_and_or_b32 v1, 0x8000, v1, v57
	v_lshl_or_b32 v55, v1, 16, v55
.LBB253_223:                            ;   in Loop: Header=BB253_12 Depth=1
	s_or_b32 exec_lo, exec_lo, s42
.LBB253_224:                            ;   in Loop: Header=BB253_12 Depth=1
	s_or_b32 exec_lo, exec_lo, s41
.LBB253_225:                            ;   in Loop: Header=BB253_12 Depth=1
	s_or_b32 exec_lo, exec_lo, s40
	v_lshrrev_b32_e32 v1, 16, v9
	v_mov_b32_e32 v57, 0
	v_mov_b32_e32 v58, 0
	v_cmp_ne_u16_sdwa s2, v1, v2 src0_sel:BYTE_0 src1_sel:DWORD
	s_and_saveexec_b32 s40, s2
	s_cbranch_execz .LBB253_233
; %bb.226:                              ;   in Loop: Header=BB253_12 Depth=1
	v_cmp_ne_u16_sdwa s2, v1, v22 src0_sel:BYTE_0 src1_sel:DWORD
	v_mov_b32_e32 v58, 0x8000
	s_and_saveexec_b32 s41, s2
	s_cbranch_execz .LBB253_232
; %bb.227:                              ;   in Loop: Header=BB253_12 Depth=1
	v_bfe_u32 v60, v9, 16, 7
	v_mov_b32_e32 v58, 0x7c01
	s_mov_b32 s42, exec_lo
	v_cmpx_ne_u32_e32 0x7f, v60
	s_cbranch_execz .LBB253_231
; %bb.228:                              ;   in Loop: Header=BB253_12 Depth=1
	v_and_b32_e32 v58, 7, v1
	v_lshrrev_b32_e32 v59, 3, v60
	s_mov_b32 s43, exec_lo
	v_cmpx_gt_u32_e32 8, v60
; %bb.229:                              ;   in Loop: Header=BB253_12 Depth=1
	v_ffbh_u32_e32 v58, v58
	v_min_u32_e32 v60, 32, v58
	v_subrev_nc_u32_e32 v58, 28, v60
	v_lshlrev_b64 v[58:59], v58, v[1:2]
	v_sub_nc_u32_e32 v59, 29, v60
	v_and_b32_e32 v58, 7, v58
; %bb.230:                              ;   in Loop: Header=BB253_12 Depth=1
	s_or_b32 exec_lo, exec_lo, s43
	v_lshlrev_b32_e32 v1, 8, v1
	v_lshl_add_u32 v59, v59, 10, 0x2000
	v_lshlrev_b32_e32 v58, 7, v58
	v_and_b32_e32 v1, 0x8000, v1
	v_and_b32_e32 v59, 0xfc00, v59
	v_or3_b32 v58, v1, v59, v58
.LBB253_231:                            ;   in Loop: Header=BB253_12 Depth=1
	s_or_b32 exec_lo, exec_lo, s42
.LBB253_232:                            ;   in Loop: Header=BB253_12 Depth=1
	s_or_b32 exec_lo, exec_lo, s41
.LBB253_233:                            ;   in Loop: Header=BB253_12 Depth=1
	s_or_b32 exec_lo, exec_lo, s40
	s_mov_b32 s40, exec_lo
	v_cmpx_lt_u32_e32 0xffffff, v9
	s_cbranch_execz .LBB253_241
; %bb.234:                              ;   in Loop: Header=BB253_12 Depth=1
	v_lshrrev_b32_e32 v1, 24, v9
	v_bfrev_b32_e32 v57, 1
	s_mov_b32 s41, exec_lo
	v_cmpx_ne_u32_e32 0x80, v1
	s_cbranch_execz .LBB253_240
; %bb.235:                              ;   in Loop: Header=BB253_12 Depth=1
	v_and_b32_e32 v59, 0x7f, v1
	v_mov_b32_e32 v57, 0x7c010000
	s_mov_b32 s42, exec_lo
	v_cmpx_ne_u32_e32 0x7f, v59
	s_cbranch_execz .LBB253_239
; %bb.236:                              ;   in Loop: Header=BB253_12 Depth=1
	v_and_b32_e32 v9, 7, v1
	v_lshrrev_b32_e32 v57, 3, v59
	s_mov_b32 s43, exec_lo
	v_cmpx_gt_u32_e32 8, v59
; %bb.237:                              ;   in Loop: Header=BB253_12 Depth=1
	v_ffbh_u32_e32 v9, v9
	v_min_u32_e32 v9, 32, v9
	v_subrev_nc_u32_e32 v57, 28, v9
	v_lshlrev_b64 v[59:60], v57, v[1:2]
	v_sub_nc_u32_e32 v57, 29, v9
	v_and_b32_e32 v9, 7, v59
; %bb.238:                              ;   in Loop: Header=BB253_12 Depth=1
	s_or_b32 exec_lo, exec_lo, s43
	v_lshlrev_b32_e32 v1, 8, v1
	v_lshl_add_u32 v57, v57, 10, 0x2000
	v_lshlrev_b32_e32 v9, 23, v9
	v_and_or_b32 v1, 0x8000, v1, v57
	v_lshl_or_b32 v57, v1, 16, v9
.LBB253_239:                            ;   in Loop: Header=BB253_12 Depth=1
	s_or_b32 exec_lo, exec_lo, s42
.LBB253_240:                            ;   in Loop: Header=BB253_12 Depth=1
	s_or_b32 exec_lo, exec_lo, s41
.LBB253_241:                            ;   in Loop: Header=BB253_12 Depth=1
	s_or_b32 exec_lo, exec_lo, s40
	global_load_dword v7, v[7:8], off offset:776
	v_mov_b32_e32 v8, 0
	v_mov_b32_e32 v9, 0
	s_waitcnt vmcnt(0)
	v_cmp_ne_u16_sdwa s2, v7, v2 src0_sel:BYTE_0 src1_sel:DWORD
	s_and_saveexec_b32 s40, s2
	s_cbranch_execz .LBB253_249
; %bb.242:                              ;   in Loop: Header=BB253_12 Depth=1
	v_cmp_ne_u16_sdwa s2, v7, v22 src0_sel:BYTE_0 src1_sel:DWORD
	v_mov_b32_e32 v9, 0x8000
	s_and_saveexec_b32 s41, s2
	s_cbranch_execz .LBB253_248
; %bb.243:                              ;   in Loop: Header=BB253_12 Depth=1
	v_and_b32_e32 v59, 0x7f, v7
	v_mov_b32_e32 v9, 0x7c01
	s_mov_b32 s42, exec_lo
	v_cmpx_ne_u32_e32 0x7f, v59
	s_cbranch_execz .LBB253_247
; %bb.244:                              ;   in Loop: Header=BB253_12 Depth=1
	v_and_b32_e32 v1, 7, v7
	v_lshrrev_b32_e32 v9, 3, v59
	s_mov_b32 s43, exec_lo
	v_cmpx_gt_u32_e32 8, v59
; %bb.245:                              ;   in Loop: Header=BB253_12 Depth=1
	v_ffbh_u32_e32 v1, v1
	v_min_u32_e32 v1, 32, v1
	v_subrev_nc_u32_e32 v9, 28, v1
	v_lshlrev_b64 v[59:60], v9, v[7:8]
	v_sub_nc_u32_e32 v9, 29, v1
	v_and_b32_e32 v1, 7, v59
; %bb.246:                              ;   in Loop: Header=BB253_12 Depth=1
	s_or_b32 exec_lo, exec_lo, s43
	v_lshlrev_b32_e32 v59, 8, v7
	v_lshl_add_u32 v9, v9, 10, 0x2000
	v_lshlrev_b32_e32 v1, 7, v1
	v_and_b32_e32 v59, 0x8000, v59
	v_and_b32_e32 v9, 0xfc00, v9
	v_or3_b32 v9, v59, v9, v1
.LBB253_247:                            ;   in Loop: Header=BB253_12 Depth=1
	s_or_b32 exec_lo, exec_lo, s42
.LBB253_248:                            ;   in Loop: Header=BB253_12 Depth=1
	s_or_b32 exec_lo, exec_lo, s41
.LBB253_249:                            ;   in Loop: Header=BB253_12 Depth=1
	s_or_b32 exec_lo, exec_lo, s40
	v_lshrrev_b16 v1, 8, v7
	s_mov_b32 s40, exec_lo
	v_cmpx_ne_u16_e32 0, v1
	s_cbranch_execz .LBB253_257
; %bb.250:                              ;   in Loop: Header=BB253_12 Depth=1
	v_bfrev_b32_e32 v8, 1
	s_mov_b32 s41, exec_lo
	v_cmpx_ne_u16_e32 0x80, v1
	s_cbranch_execz .LBB253_256
; %bb.251:                              ;   in Loop: Header=BB253_12 Depth=1
	v_and_b32_sdwa v60, v1, v23 dst_sel:DWORD dst_unused:UNUSED_PAD src0_sel:WORD_0 src1_sel:DWORD
	v_mov_b32_e32 v8, 0x7c010000
	s_mov_b32 s42, exec_lo
	v_cmpx_ne_u32_e32 0x7f, v60
	s_cbranch_execz .LBB253_255
; %bb.252:                              ;   in Loop: Header=BB253_12 Depth=1
	v_and_b32_sdwa v8, v1, v24 dst_sel:DWORD dst_unused:UNUSED_PAD src0_sel:WORD_0 src1_sel:DWORD
	v_lshrrev_b32_e32 v59, 3, v60
	s_mov_b32 s43, exec_lo
	v_cmpx_gt_u32_e32 8, v60
; %bb.253:                              ;   in Loop: Header=BB253_12 Depth=1
	v_ffbh_u32_e32 v8, v8
	v_min_u32_e32 v8, 32, v8
	v_subrev_nc_u32_e32 v59, 28, v8
	v_lshlrev_b64 v[60:61], v59, v[1:2]
	v_sub_nc_u32_e32 v59, 29, v8
	v_and_b32_e32 v8, 7, v60
; %bb.254:                              ;   in Loop: Header=BB253_12 Depth=1
	s_or_b32 exec_lo, exec_lo, s43
	v_lshlrev_b32_sdwa v1, v25, v1 dst_sel:DWORD dst_unused:UNUSED_PAD src0_sel:DWORD src1_sel:WORD_0
	v_lshl_add_u32 v59, v59, 10, 0x2000
	v_lshlrev_b32_e32 v8, 23, v8
	v_and_or_b32 v1, 0x8000, v1, v59
	v_lshl_or_b32 v8, v1, 16, v8
.LBB253_255:                            ;   in Loop: Header=BB253_12 Depth=1
	s_or_b32 exec_lo, exec_lo, s42
.LBB253_256:                            ;   in Loop: Header=BB253_12 Depth=1
	s_or_b32 exec_lo, exec_lo, s41
.LBB253_257:                            ;   in Loop: Header=BB253_12 Depth=1
	s_or_b32 exec_lo, exec_lo, s40
	v_lshrrev_b32_e32 v1, 16, v7
	v_mov_b32_e32 v59, 0
	v_mov_b32_e32 v60, 0
	v_cmp_ne_u16_sdwa s2, v1, v2 src0_sel:BYTE_0 src1_sel:DWORD
	s_and_saveexec_b32 s40, s2
	s_cbranch_execz .LBB253_265
; %bb.258:                              ;   in Loop: Header=BB253_12 Depth=1
	v_cmp_ne_u16_sdwa s2, v1, v22 src0_sel:BYTE_0 src1_sel:DWORD
	v_mov_b32_e32 v60, 0x8000
	s_and_saveexec_b32 s41, s2
	s_cbranch_execz .LBB253_264
; %bb.259:                              ;   in Loop: Header=BB253_12 Depth=1
	v_bfe_u32 v62, v7, 16, 7
	v_mov_b32_e32 v60, 0x7c01
	s_mov_b32 s42, exec_lo
	v_cmpx_ne_u32_e32 0x7f, v62
	s_cbranch_execz .LBB253_263
; %bb.260:                              ;   in Loop: Header=BB253_12 Depth=1
	v_and_b32_e32 v60, 7, v1
	v_lshrrev_b32_e32 v61, 3, v62
	s_mov_b32 s43, exec_lo
	v_cmpx_gt_u32_e32 8, v62
; %bb.261:                              ;   in Loop: Header=BB253_12 Depth=1
	v_ffbh_u32_e32 v60, v60
	v_min_u32_e32 v62, 32, v60
	v_subrev_nc_u32_e32 v60, 28, v62
	v_lshlrev_b64 v[60:61], v60, v[1:2]
	v_sub_nc_u32_e32 v61, 29, v62
	v_and_b32_e32 v60, 7, v60
; %bb.262:                              ;   in Loop: Header=BB253_12 Depth=1
	s_or_b32 exec_lo, exec_lo, s43
	v_lshlrev_b32_e32 v1, 8, v1
	v_lshl_add_u32 v61, v61, 10, 0x2000
	v_lshlrev_b32_e32 v60, 7, v60
	v_and_b32_e32 v1, 0x8000, v1
	v_and_b32_e32 v61, 0xfc00, v61
	v_or3_b32 v60, v1, v61, v60
.LBB253_263:                            ;   in Loop: Header=BB253_12 Depth=1
	s_or_b32 exec_lo, exec_lo, s42
.LBB253_264:                            ;   in Loop: Header=BB253_12 Depth=1
	s_or_b32 exec_lo, exec_lo, s41
.LBB253_265:                            ;   in Loop: Header=BB253_12 Depth=1
	s_or_b32 exec_lo, exec_lo, s40
	s_mov_b32 s40, exec_lo
	v_cmpx_lt_u32_e32 0xffffff, v7
	s_cbranch_execz .LBB253_273
; %bb.266:                              ;   in Loop: Header=BB253_12 Depth=1
	v_lshrrev_b32_e32 v1, 24, v7
	v_bfrev_b32_e32 v59, 1
	s_mov_b32 s41, exec_lo
	v_cmpx_ne_u32_e32 0x80, v1
	s_cbranch_execz .LBB253_272
; %bb.267:                              ;   in Loop: Header=BB253_12 Depth=1
	v_and_b32_e32 v61, 0x7f, v1
	v_mov_b32_e32 v59, 0x7c010000
	s_mov_b32 s42, exec_lo
	v_cmpx_ne_u32_e32 0x7f, v61
	s_cbranch_execz .LBB253_271
; %bb.268:                              ;   in Loop: Header=BB253_12 Depth=1
	v_and_b32_e32 v7, 7, v1
	v_lshrrev_b32_e32 v59, 3, v61
	s_mov_b32 s43, exec_lo
	v_cmpx_gt_u32_e32 8, v61
; %bb.269:                              ;   in Loop: Header=BB253_12 Depth=1
	v_ffbh_u32_e32 v7, v7
	v_min_u32_e32 v7, 32, v7
	v_subrev_nc_u32_e32 v59, 28, v7
	v_lshlrev_b64 v[61:62], v59, v[1:2]
	v_sub_nc_u32_e32 v59, 29, v7
	v_and_b32_e32 v7, 7, v61
; %bb.270:                              ;   in Loop: Header=BB253_12 Depth=1
	s_or_b32 exec_lo, exec_lo, s43
	v_lshlrev_b32_e32 v1, 8, v1
	v_lshl_add_u32 v59, v59, 10, 0x2000
	v_lshlrev_b32_e32 v7, 23, v7
	v_and_or_b32 v1, 0x8000, v1, v59
	v_lshl_or_b32 v59, v1, 16, v7
.LBB253_271:                            ;   in Loop: Header=BB253_12 Depth=1
	s_or_b32 exec_lo, exec_lo, s42
.LBB253_272:                            ;   in Loop: Header=BB253_12 Depth=1
	s_or_b32 exec_lo, exec_lo, s41
.LBB253_273:                            ;   in Loop: Header=BB253_12 Depth=1
	s_or_b32 exec_lo, exec_lo, s40
	ds_read_b64 v[61:62], v18
	v_or_b32_e32 v1, v31, v32
	v_or_b32_e32 v7, v33, v34
	v_fma_mixlo_f16 v31, v30, v31, 0 op_sel:[0,1,0] op_sel_hi:[0,1,0]
	v_fma_mixlo_f16 v32, v30, v33, 0 op_sel:[0,1,0] op_sel_hi:[0,1,0]
	v_or_b32_e32 v36, v35, v36
	v_fma_mixlo_f16 v1, v30, v1, 0 op_sel_hi:[0,1,0]
	v_fma_mixlo_f16 v7, v30, v7, 0 op_sel_hi:[0,1,0]
	v_and_b32_e32 v33, 0xffff, v31
	v_and_b32_e32 v63, 0xffff, v32
	v_or_b32_e32 v38, v37, v38
	v_and_b32_e32 v31, 0xffff, v1
	v_fma_mixlo_f16 v35, v30, v35, 0 op_sel:[0,1,0] op_sel_hi:[0,1,0]
	v_fma_mixlo_f16 v37, v30, v37, 0 op_sel:[0,1,0] op_sel_hi:[0,1,0]
	v_fma_mixlo_f16 v36, v30, v36, 0 op_sel_hi:[0,1,0]
	v_fma_mixlo_f16 v38, v30, v38, 0 op_sel_hi:[0,1,0]
	v_or_b32_e32 v40, v39, v40
	v_and_b32_e32 v65, 0xffff, v35
	v_and_b32_e32 v66, 0xffff, v37
	v_and_b32_e32 v37, 0xffff, v36
	s_waitcnt lgkmcnt(0)
	v_and_b32_e32 v1, 0xffff, v61
	v_lshrrev_b32_e32 v32, 16, v61
	v_and_b32_e32 v61, 0xffff, v7
	v_lshrrev_b32_e32 v34, 16, v62
	v_and_b32_e32 v62, 0xffff, v62
	;;#ASMSTART
	v_cvt_f32_f16 v1, v1;
	;;#ASMEND
	;;#ASMSTART
	v_cvt_f32_f16 v7, v32;
	;;#ASMEND
	;; [unrolled: 3-line block ×8, first 2 shown]
	ds_read_b64 v[63:64], v18 offset:8
	v_and_b32_e32 v67, 0xffff, v38
	v_or_b32_e32 v42, v41, v42
	v_fma_mixlo_f16 v39, v30, v39, 0 op_sel:[0,1,0] op_sel_hi:[0,1,0]
	v_fma_mixlo_f16 v41, v30, v41, 0 op_sel:[0,1,0] op_sel_hi:[0,1,0]
	v_fma_mixlo_f16 v40, v30, v40, 0 op_sel_hi:[0,1,0]
	v_or_b32_e32 v44, v43, v44
	v_fma_mixlo_f16 v42, v30, v42, 0 op_sel_hi:[0,1,0]
	v_and_b32_e32 v39, 0xffff, v39
	v_and_b32_e32 v72, 0xffff, v41
	;; [unrolled: 1-line block ×3, first 2 shown]
	v_or_b32_e32 v46, v45, v46
	v_and_b32_e32 v71, 0xffff, v42
	v_fma_mixlo_f16 v43, v30, v43, 0 op_sel:[0,1,0] op_sel_hi:[0,1,0]
	v_fma_mixlo_f16 v45, v30, v45, 0 op_sel:[0,1,0] op_sel_hi:[0,1,0]
	v_fma_mixlo_f16 v44, v30, v44, 0 op_sel_hi:[0,1,0]
	v_fma_mixlo_f16 v46, v30, v46, 0 op_sel_hi:[0,1,0]
	v_or_b32_e32 v48, v47, v48
	v_and_b32_e32 v73, 0xffff, v43
	v_and_b32_e32 v76, 0xffff, v45
	s_waitcnt lgkmcnt(0)
	v_and_b32_e32 v35, 0xffff, v63
	v_lshrrev_b32_e32 v36, 16, v63
	v_lshrrev_b32_e32 v68, 16, v64
	v_and_b32_e32 v63, 0xffff, v64
	;;#ASMSTART
	v_cvt_f32_f16 v35, v35;
	;;#ASMEND
	;;#ASMSTART
	v_cvt_f32_f16 v36, v36;
	;;#ASMEND
	;; [unrolled: 3-line block ×8, first 2 shown]
	ds_read_b64 v[67:68], v18 offset:16
	v_and_b32_e32 v45, 0xffff, v44
	v_and_b32_e32 v75, 0xffff, v46
	v_or_b32_e32 v50, v49, v50
	v_fma_mixlo_f16 v47, v30, v47, 0 op_sel:[0,1,0] op_sel_hi:[0,1,0]
	v_fma_mixlo_f16 v49, v30, v49, 0 op_sel:[0,1,0] op_sel_hi:[0,1,0]
	v_fma_mixlo_f16 v48, v30, v48, 0 op_sel_hi:[0,1,0]
	v_or_b32_e32 v52, v51, v52
	v_fma_mixlo_f16 v50, v30, v50, 0 op_sel_hi:[0,1,0]
	v_and_b32_e32 v77, 0xffff, v47
	v_and_b32_e32 v80, 0xffff, v49
	;; [unrolled: 1-line block ×3, first 2 shown]
	v_or_b32_e32 v54, v53, v54
	v_and_b32_e32 v79, 0xffff, v50
	v_fma_mixlo_f16 v51, v30, v51, 0 op_sel:[0,1,0] op_sel_hi:[0,1,0]
	v_fma_mixlo_f16 v53, v30, v53, 0 op_sel:[0,1,0] op_sel_hi:[0,1,0]
	v_fma_mixlo_f16 v52, v30, v52, 0 op_sel_hi:[0,1,0]
	v_fma_mixlo_f16 v54, v30, v54, 0 op_sel_hi:[0,1,0]
	v_mul_f32_e32 v35, v35, v37
	v_and_b32_e32 v81, 0xffff, v51
	s_waitcnt lgkmcnt(0)
	v_and_b32_e32 v41, 0xffff, v67
	v_lshrrev_b32_e32 v67, 16, v67
	v_lshrrev_b32_e32 v70, 16, v68
	v_and_b32_e32 v69, 0xffff, v68
	;;#ASMSTART
	v_cvt_f32_f16 v41, v41;
	;;#ASMEND
	;;#ASMSTART
	v_cvt_f32_f16 v42, v67;
	;;#ASMEND
	;; [unrolled: 3-line block ×8, first 2 shown]
	ds_read_b64 v[39:40], v18 offset:24
	v_and_b32_e32 v84, 0xffff, v53
	v_and_b32_e32 v53, 0xffff, v52
	;; [unrolled: 1-line block ×3, first 2 shown]
	v_mul_f32_e32 v36, v36, v38
	v_mul_f32_e32 v37, v63, v65
	v_or_b32_e32 v56, v55, v56
	v_or_b32_e32 v58, v57, v58
	v_fmac_f32_e32 v35, v1, v31
	v_fmac_f32_e32 v36, v7, v32
	;; [unrolled: 1-line block ×3, first 2 shown]
	v_or_b32_e32 v9, v8, v9
	v_fma_mixlo_f16 v85, v30, v8, 0 op_sel:[0,1,0] op_sel_hi:[0,1,0]
	v_fma_mixlo_f16 v8, v30, v56, 0 op_sel_hi:[0,1,0]
	v_mul_f32_e32 v38, v64, v66
	v_fma_mixlo_f16 v55, v30, v55, 0 op_sel:[0,1,0] op_sel_hi:[0,1,0]
	v_fma_mixlo_f16 v57, v30, v57, 0 op_sel:[0,1,0] op_sel_hi:[0,1,0]
	v_fma_mixlo_f16 v56, v30, v58, 0 op_sel_hi:[0,1,0]
	v_fmac_f32_e32 v35, v41, v67
	v_fmac_f32_e32 v36, v42, v68
	s_waitcnt lgkmcnt(0)
	v_and_b32_e32 v43, 0xffff, v39
	v_lshrrev_b32_e32 v39, 16, v39
	v_lshrrev_b32_e32 v74, 16, v40
	v_and_b32_e32 v40, 0xffff, v40
	;;#ASMSTART
	v_cvt_f32_f16 v43, v43;
	;;#ASMEND
	;;#ASMSTART
	v_cvt_f32_f16 v44, v39;
	;;#ASMEND
	;; [unrolled: 3-line block ×8, first 2 shown]
	ds_read_b64 v[39:40], v18 offset:32
	v_fmac_f32_e32 v37, v69, v71
	v_and_b32_e32 v8, 0xffff, v8
	v_fmac_f32_e32 v38, v34, v62
	v_and_b32_e32 v55, 0xffff, v55
	v_and_b32_e32 v57, 0xffff, v57
	;; [unrolled: 1-line block ×3, first 2 shown]
	v_fmac_f32_e32 v35, v43, v45
	v_fmac_f32_e32 v36, v44, v46
	;; [unrolled: 1-line block ×4, first 2 shown]
	v_or_b32_e32 v60, v59, v60
	v_fma_mixlo_f16 v9, v30, v9, 0 op_sel_hi:[0,1,0]
	v_fma_mixlo_f16 v59, v30, v59, 0 op_sel:[0,1,0] op_sel_hi:[0,1,0]
	v_and_b32_e32 v42, 0xffff, v85
	v_fmac_f32_e32 v38, v74, v76
	v_fma_mixlo_f16 v30, v30, v60, 0 op_sel_hi:[0,1,0]
	v_and_b32_e32 v9, 0xffff, v9
	s_waitcnt lgkmcnt(0)
	v_and_b32_e32 v47, 0xffff, v39
	v_lshrrev_b32_e32 v39, 16, v39
	v_lshrrev_b32_e32 v78, 16, v40
	v_and_b32_e32 v40, 0xffff, v40
	;;#ASMSTART
	v_cvt_f32_f16 v47, v47;
	;;#ASMEND
	;;#ASMSTART
	v_cvt_f32_f16 v48, v39;
	;;#ASMEND
	;; [unrolled: 3-line block ×8, first 2 shown]
	ds_read_b64 v[39:40], v18 offset:40
	v_fmac_f32_e32 v35, v47, v49
	v_fmac_f32_e32 v36, v48, v50
	;; [unrolled: 1-line block ×4, first 2 shown]
	v_and_b32_e32 v30, 0xffff, v30
	s_waitcnt lgkmcnt(0)
	v_and_b32_e32 v51, 0xffff, v39
	v_lshrrev_b32_e32 v39, 16, v39
	v_lshrrev_b32_e32 v82, 16, v40
	v_and_b32_e32 v40, 0xffff, v40
	;;#ASMSTART
	v_cvt_f32_f16 v51, v51;
	;;#ASMEND
	;;#ASMSTART
	v_cvt_f32_f16 v52, v39;
	;;#ASMEND
	;; [unrolled: 3-line block ×8, first 2 shown]
	ds_read_b64 v[39:40], v18 offset:48
	v_fmac_f32_e32 v35, v51, v53
	v_fmac_f32_e32 v36, v52, v54
	;; [unrolled: 1-line block ×4, first 2 shown]
	s_waitcnt lgkmcnt(0)
	v_and_b32_e32 v1, 0xffff, v39
	v_lshrrev_b32_e32 v7, 16, v39
	v_lshrrev_b32_e32 v39, 16, v40
	v_and_b32_e32 v34, 0xffff, v40
	;;#ASMSTART
	v_cvt_f32_f16 v1, v1;
	;;#ASMEND
	;;#ASMSTART
	v_cvt_f32_f16 v31, v7;
	;;#ASMEND
	;; [unrolled: 3-line block ×8, first 2 shown]
	ds_read_b64 v[7:8], v18 offset:56
	v_fmac_f32_e32 v35, v1, v32
	v_fmac_f32_e32 v36, v31, v33
	;; [unrolled: 1-line block ×4, first 2 shown]
	s_waitcnt lgkmcnt(0)
	v_and_b32_e32 v1, 0xffff, v7
	v_lshrrev_b32_e32 v7, 16, v7
	;;#ASMSTART
	v_cvt_f32_f16 v1, v1;
	;;#ASMEND
	;;#ASMSTART
	v_cvt_f32_f16 v7, v7;
	;;#ASMEND
	v_and_b32_e32 v32, 0xffff, v8
	v_lshrrev_b32_e32 v8, 16, v8
	;;#ASMSTART
	v_cvt_f32_f16 v9, v9;
	;;#ASMEND
	;;#ASMSTART
	v_cvt_f32_f16 v31, v42;
	;;#ASMEND
	v_fmac_f32_e32 v35, v1, v9
	v_fmac_f32_e32 v36, v7, v31
	;;#ASMSTART
	v_cvt_f32_f16 v1, v32;
	;;#ASMEND
	;;#ASMSTART
	v_cvt_f32_f16 v7, v8;
	;;#ASMEND
	;; [unrolled: 3-line block ×3, first 2 shown]
	v_fmac_f32_e32 v37, v1, v8
	v_xor_b32_e32 v8, 1, v17
	v_add_f32_e32 v1, v35, v36
	v_and_b32_e32 v9, 0xffff, v59
	;;#ASMSTART
	v_cvt_f32_f16 v9, v9;
	;;#ASMEND
	v_fmac_f32_e32 v38, v7, v9
	v_cmp_gt_i32_e64 s2, 32, v8
	v_add_f32_e32 v1, v1, v37
	v_cndmask_b32_e64 v7, v17, v8, s2
	v_add_f32_e32 v1, v38, v1
	v_lshlrev_b32_e32 v7, 2, v7
	ds_bpermute_b32 v7, v7, v1
	s_and_saveexec_b32 s40, vcc_lo
	s_cbranch_execz .LBB253_10
; %bb.274:                              ;   in Loop: Header=BB253_12 Depth=1
	v_add_nc_u32_e32 v8, v26, v20
	s_waitcnt lgkmcnt(0)
	v_add_f32_e32 v1, v1, v7
	v_cvt_f32_i32_e32 v8, v8
	v_mul_f32_e32 v8, s36, v8
	v_cndmask_b32_e64 v7, 0, v8, s1
	v_max_f32_e32 v8, v19, v19
	v_fmac_f32_e32 v7, s35, v1
	v_add_nc_u32_e32 v1, v16, v20
	v_max_f32_e32 v8, v8, v7
	v_cmp_gt_i32_e64 s2, s33, v1
	v_cndmask_b32_e64 v1, 0, v7, s2
	v_cndmask_b32_e64 v19, v19, v8, s2
	ds_write_b32 v27, v1
	s_branch .LBB253_10
.LBB253_275:
	s_or_b32 exec_lo, exec_lo, s38
.LBB253_276:
	s_or_b32 exec_lo, exec_lo, s37
	v_xor_b32_e32 v1, 16, v17
	v_xor_b32_e32 v3, 8, v17
	v_max_f32_e32 v5, v19, v19
	v_xor_b32_e32 v6, 2, v17
	v_and_b32_e32 v16, 31, v0
	v_cmp_gt_i32_e32 vcc_lo, 32, v1
	v_cndmask_b32_e32 v1, v17, v1, vcc_lo
	v_cmp_gt_i32_e32 vcc_lo, 32, v3
	v_lshlrev_b32_e32 v2, 2, v1
	v_cndmask_b32_e32 v3, v17, v3, vcc_lo
	ds_bpermute_b32 v1, v2, v19
	v_lshlrev_b32_e32 v4, 2, v3
	s_waitcnt lgkmcnt(0)
	v_max_f32_e32 v1, v1, v1
	v_max_f32_e32 v1, v5, v1
	v_xor_b32_e32 v5, 4, v17
	ds_bpermute_b32 v3, v4, v1
	v_cmp_gt_i32_e32 vcc_lo, 32, v5
	v_cndmask_b32_e32 v5, v17, v5, vcc_lo
	v_cmp_gt_i32_e32 vcc_lo, 32, v6
	v_lshlrev_b32_e32 v5, 2, v5
	v_cndmask_b32_e32 v6, v17, v6, vcc_lo
	v_cmp_eq_u32_e32 vcc_lo, 0, v16
	s_waitcnt lgkmcnt(0)
	v_max_f32_e32 v3, v3, v3
	v_max_f32_e32 v1, v1, v3
	ds_bpermute_b32 v3, v5, v1
	s_waitcnt lgkmcnt(0)
	v_max_f32_e32 v3, v3, v3
	v_max_f32_e32 v3, v1, v3
	v_lshlrev_b32_e32 v1, 2, v6
	v_lshlrev_b32_e32 v6, 2, v13
	ds_bpermute_b32 v7, v1, v3
	s_and_saveexec_b32 s1, vcc_lo
	s_cbranch_execz .LBB253_278
; %bb.277:
	s_waitcnt lgkmcnt(0)
	v_max_f32_e32 v7, v7, v7
	v_max_f32_e32 v3, v3, v3
	;; [unrolled: 1-line block ×3, first 2 shown]
	ds_write_b32 v6, v3 offset:128
.LBB253_278:
	s_or_b32 exec_lo, exec_lo, s1
	v_cmp_gt_u32_e64 s1, 4, v16
	v_mov_b32_e32 v3, 0xff7fffff
	s_waitcnt lgkmcnt(0)
	v_lshlrev_b32_e32 v7, 2, v16
	s_barrier
	buffer_gl0_inv
	s_and_saveexec_b32 s2, s1
; %bb.279:
	ds_read_b32 v3, v7 offset:128
; %bb.280:
	s_or_b32 exec_lo, exec_lo, s2
	s_waitcnt lgkmcnt(0)
	ds_bpermute_b32 v8, v1, v3
	v_xor_b32_e32 v9, 1, v17
	v_max_f32_e32 v3, v3, v3
	v_cmp_gt_i32_e64 s2, 32, v9
	v_cndmask_b32_e64 v9, v17, v9, s2
	s_lshl_b32 s2, s20, 4
	s_min_i32 s4, s2, s33
	v_lshlrev_b32_e32 v17, 2, v9
	v_cmp_gt_i32_e64 s2, s4, v0
	s_waitcnt lgkmcnt(0)
	v_max_f32_e32 v8, v8, v8
	v_max_f32_e32 v3, v3, v8
	ds_bpermute_b32 v8, v17, v3
	s_waitcnt lgkmcnt(0)
	v_max_f32_e32 v8, v8, v8
	v_max_f32_e32 v3, v3, v8
	v_mov_b32_e32 v8, 0
	ds_bpermute_b32 v9, v8, v3
	v_lshl_add_u32 v3, v0, 2, 0xa0
	s_and_saveexec_b32 s5, s2
	s_cbranch_execz .LBB253_284
; %bb.281:
	v_lshl_add_u32 v18, v0, 2, 0xa0
	v_mov_b32_e32 v8, 0
	v_mov_b32_e32 v19, v0
	s_mov_b32 s12, 0
	.p2align	6
.LBB253_282:                            ; =>This Inner Loop Header: Depth=1
	ds_read_b32 v20, v18
	v_add_nc_u32_e32 v19, 0x80, v19
	v_cmp_le_i32_e64 s3, s4, v19
	s_or_b32 s12, s3, s12
	s_waitcnt lgkmcnt(0)
	v_sub_f32_e32 v20, v20, v9
	v_mul_f32_e32 v20, 0x3fb8aa3b, v20
	v_exp_f32_e32 v20, v20
	ds_write_b32 v18, v20
	v_add_f32_e32 v8, v8, v20
	v_add_nc_u32_e32 v18, 0x200, v18
	s_andn2_b32 exec_lo, exec_lo, s12
	s_cbranch_execnz .LBB253_282
; %bb.283:
	s_or_b32 exec_lo, exec_lo, s12
.LBB253_284:
	s_or_b32 exec_lo, exec_lo, s5
	ds_bpermute_b32 v2, v2, v8
	s_waitcnt lgkmcnt(0)
	v_add_f32_e32 v2, v8, v2
	ds_bpermute_b32 v4, v4, v2
	s_waitcnt lgkmcnt(0)
	v_add_f32_e32 v2, v2, v4
	ds_bpermute_b32 v4, v5, v2
	s_waitcnt lgkmcnt(0)
	v_add_f32_e32 v2, v2, v4
	ds_bpermute_b32 v4, v1, v2
	s_waitcnt lgkmcnt(0)
	v_add_f32_e32 v2, v2, v4
	ds_bpermute_b32 v4, v17, v2
	s_waitcnt lgkmcnt(0)
	v_add_f32_e32 v2, v2, v4
	s_and_saveexec_b32 s3, vcc_lo
; %bb.285:
	ds_write_b32 v6, v2 offset:144
; %bb.286:
	s_or_b32 exec_lo, exec_lo, s3
	s_waitcnt lgkmcnt(0)
	s_barrier
	buffer_gl0_inv
	s_and_saveexec_b32 s3, s1
; %bb.287:
	ds_read_b32 v2, v7 offset:144
; %bb.288:
	s_or_b32 exec_lo, exec_lo, s3
	s_waitcnt lgkmcnt(0)
	ds_bpermute_b32 v1, v1, v2
	s_waitcnt lgkmcnt(0)
	v_add_f32_e32 v1, v2, v1
	ds_bpermute_b32 v2, v17, v1
	s_waitcnt lgkmcnt(0)
	v_add_f32_e32 v1, v1, v2
	v_mov_b32_e32 v2, 0
	ds_bpermute_b32 v1, v2, v1
	s_and_saveexec_b32 s1, s2
	s_cbranch_execz .LBB253_291
; %bb.289:
	s_waitcnt lgkmcnt(0)
	v_add_f32_e32 v1, 0x358637bd, v1
	s_mov_b32 s2, 0
	v_div_scale_f32 v2, null, v1, v1, 1.0
	v_div_scale_f32 v6, vcc_lo, 1.0, v1, 1.0
	v_rcp_f32_e32 v4, v2
	v_fma_f32 v5, -v2, v4, 1.0
	v_fmac_f32_e32 v4, v5, v4
	v_mul_f32_e32 v5, v6, v4
	v_fma_f32 v7, -v2, v5, v6
	v_fmac_f32_e32 v5, v7, v4
	v_fma_f32 v2, -v2, v5, v6
	v_div_fmas_f32 v2, v2, v4, v5
	v_div_fixup_f32 v1, v2, v1, 1.0
	v_mov_b32_e32 v2, v0
.LBB253_290:                            ; =>This Inner Loop Header: Depth=1
	ds_read_b32 v4, v3
	v_add_nc_u32_e32 v2, 0x80, v2
	v_cmp_le_i32_e32 vcc_lo, s4, v2
	s_or_b32 s2, vcc_lo, s2
	s_waitcnt lgkmcnt(0)
	v_mul_f32_e32 v4, v1, v4
	ds_write_b32 v3, v4
	v_add_nc_u32_e32 v3, 0x200, v3
	s_andn2_b32 exec_lo, exec_lo, s2
	s_cbranch_execnz .LBB253_290
.LBB253_291:
	s_or_b32 exec_lo, exec_lo, s1
	v_mov_b32_e32 v21, 0
	v_mov_b32_e32 v20, 0
	;; [unrolled: 1-line block ×4, first 2 shown]
	s_waitcnt lgkmcnt(0)
	s_barrier
	buffer_gl0_inv
	s_and_saveexec_b32 s1, s0
	s_cbranch_execz .LBB253_561
; %bb.292:
	s_sub_i32 s4, s34, s21
	s_ashr_i32 s0, s18, 31
	s_add_u32 s18, s30, s18
	s_addc_u32 s0, s31, s0
	s_abs_i32 s5, s22
	v_and_b32_e32 v3, 0xf8, v10
	v_cvt_f32_u32_e32 v1, s5
	s_sub_i32 s2, 0, s5
	v_lshlrev_b32_e32 v6, 5, v12
	v_and_b32_e32 v5, 0x7c, v15
	s_mov_b32 s12, s17
	v_rcp_iflag_f32_e32 v1, v1
	v_add_co_u32 v3, s17, s18, v3
	s_add_i32 s13, s20, -1
	v_lshl_or_b32 v8, v13, 6, v6
	v_add_co_ci_u32_e64 v4, null, s0, 0, s17
	v_and_b32_e32 v22, 8, v10
	v_mov_b32_e32 v2, 0
	v_mov_b32_e32 v15, 0x80
	v_mul_f32_e32 v1, 0x4f7ffffe, v1
	v_mov_b32_e32 v23, 0x7f
	v_mov_b32_e32 v24, 7
	;; [unrolled: 1-line block ×4, first 2 shown]
	v_cvt_u32_f32_e32 v1, v1
	v_mov_b32_e32 v19, 0
	v_mov_b32_e32 v20, 0
	;; [unrolled: 1-line block ×3, first 2 shown]
	v_add_nc_u32_e32 v26, 0xa0, v8
	v_mul_lo_u32 v7, s2, v1
	s_lshl_b64 s[2:3], s[28:29], 2
	v_mov_b32_e32 v28, v13
	s_add_u32 s0, s26, s2
	s_addc_u32 s2, s27, s3
	v_add_co_u32 v5, s0, s0, v5
	v_add_co_ci_u32_e64 v6, null, s2, 0, s0
	v_mul_hi_u32 v7, v1, v7
	s_mov_b32 s2, -1
	s_mov_b32 s3, 0xffffff
	s_mov_b32 s17, 0
	v_add_nc_u32_e32 v27, v1, v7
	s_branch .LBB253_295
.LBB253_293:                            ;   in Loop: Header=BB253_295 Depth=1
	s_or_b32 exec_lo, exec_lo, s0
	;;#ASMSTART
	v_pk_mul_f16 v29, v42, v47;

	;;#ASMEND
	;;#ASMSTART
	v_pk_mul_f16 v8, v41, v8;

	;;#ASMEND
	;; [unrolled: 4-line block ×4, first 2 shown]
	;;#ASMSTART
	v_pk_add_f16 v8, v29, v8;

	;;#ASMEND
	;;#ASMSTART
	v_pk_add_f16 v7, v8, v7;

	;;#ASMEND
	;; [unrolled: 4-line block ×3, first 2 shown]
	v_and_b32_e32 v29, 0xffff, v1
	v_lshrrev_b32_e32 v30, 16, v1
	v_add_f32_e32 v1, v9, v10
	;;#ASMSTART
	v_cvt_f32_f16 v9, v29;
	;;#ASMEND
	v_add_f32_e32 v7, v43, v44
	v_add_f32_e32 v8, v37, v38
	;;#ASMSTART
	v_cvt_f32_f16 v10, v30;
	;;#ASMEND
	v_add_f32_e32 v9, v9, v10
	v_add_f32_e32 v19, v19, v1
	;; [unrolled: 1-line block ×5, first 2 shown]
.LBB253_294:                            ;   in Loop: Header=BB253_295 Depth=1
	s_or_b32 exec_lo, exec_lo, s18
	v_add_nc_u32_e32 v28, 4, v28
	v_add_co_u32 v5, s0, v5, 16
	v_add_co_ci_u32_e64 v6, null, 0, v6, s0
	v_cmp_le_i32_e32 vcc_lo, s20, v28
	v_add_nc_u32_e32 v14, 64, v14
	v_add_nc_u32_e32 v26, 0x100, v26
	s_or_b32 s17, vcc_lo, s17
	s_andn2_b32 exec_lo, exec_lo, s17
	s_cbranch_execz .LBB253_560
.LBB253_295:                            ; =>This Inner Loop Header: Depth=1
	v_mul_hi_u32 v1, v14, s19
	v_mul_lo_u32 v7, v1, s16
	v_add_nc_u32_e32 v8, 1, v1
	v_sub_nc_u32_e32 v7, v14, v7
	v_subrev_nc_u32_e32 v9, s16, v7
	v_cmp_le_u32_e32 vcc_lo, s16, v7
	v_cndmask_b32_e32 v1, v1, v8, vcc_lo
	v_cndmask_b32_e32 v7, v7, v9, vcc_lo
	v_add_nc_u32_e32 v8, 1, v1
	v_cmp_le_u32_e32 vcc_lo, s16, v7
	v_cndmask_b32_e32 v1, v1, v8, vcc_lo
	v_xor_b32_e32 v1, s23, v1
	v_subrev_nc_u32_e32 v1, s23, v1
	v_add_nc_u32_e32 v7, s25, v1
	v_cmp_lt_i32_e64 s0, s4, v1
	v_sub_nc_u32_e32 v8, 0, v7
	v_max_i32_e32 v8, v7, v8
	v_ashrrev_i32_e32 v7, 31, v7
	v_mul_hi_u32 v9, v8, v27
	v_mul_lo_u32 v9, v9, s5
	v_sub_nc_u32_e32 v8, v8, v9
	v_subrev_nc_u32_e32 v9, s5, v8
	v_cmp_le_u32_e32 vcc_lo, s5, v8
	v_cndmask_b32_e32 v8, v8, v9, vcc_lo
	v_subrev_nc_u32_e32 v9, s5, v8
	v_cmp_le_u32_e32 vcc_lo, s5, v8
	v_cndmask_b32_e32 v8, v8, v9, vcc_lo
	v_xor_b32_e32 v8, v8, v7
	v_sub_nc_u32_e32 v7, v8, v7
	v_cmp_eq_u32_e32 vcc_lo, 0, v7
	s_or_b32 s0, vcc_lo, s0
	s_and_saveexec_b32 s18, s0
	s_cbranch_execz .LBB253_294
; %bb.296:                              ;   in Loop: Header=BB253_295 Depth=1
	global_load_dword v1, v[5:6], off
	ds_read2_b64 v[29:32], v26 offset1:1
	ds_read2_b64 v[33:36], v26 offset0:2 offset1:3
	s_waitcnt lgkmcnt(1)
	;;#ASMSTART
	v_cvt_f16_f32 v37, v29;

	;;#ASMEND
	;;#ASMSTART
	v_cvt_f16_f32 v38, v30;

	;;#ASMEND
	;; [unrolled: 4-line block ×4, first 2 shown]
	s_waitcnt lgkmcnt(0)
	;;#ASMSTART
	v_cvt_f16_f32 v42, v33;

	;;#ASMEND
	;;#ASMSTART
	v_cvt_f16_f32 v40, v34;

	;;#ASMEND
	;; [unrolled: 4-line block ×4, first 2 shown]
	v_mov_b32_e32 v31, 0
	v_mov_b32_e32 v32, 0
	global_load_dword v30, v31, s[14:15]
	s_waitcnt vmcnt(1)
	v_mad_i64_i32 v[7:8], null, v1, s12, v[3:4]
	global_load_dwordx2 v[9:10], v[7:8], off
	s_waitcnt vmcnt(0)
	v_cmp_ne_u16_sdwa s21, v9, v2 src0_sel:BYTE_0 src1_sel:DWORD
	s_and_saveexec_b32 s0, s21
	s_cbranch_execz .LBB253_304
; %bb.297:                              ;   in Loop: Header=BB253_295 Depth=1
	v_cmp_ne_u16_sdwa s22, v9, v15 src0_sel:BYTE_0 src1_sel:DWORD
	v_mov_b32_e32 v32, 0x8000
	s_and_saveexec_b32 s21, s22
	s_cbranch_execz .LBB253_303
; %bb.298:                              ;   in Loop: Header=BB253_295 Depth=1
	v_and_b32_e32 v33, 0x7f, v9
	v_mov_b32_e32 v32, 0x7c01
	s_mov_b32 s22, exec_lo
	v_cmpx_ne_u32_e32 0x7f, v33
	s_cbranch_execz .LBB253_302
; %bb.299:                              ;   in Loop: Header=BB253_295 Depth=1
	v_and_b32_e32 v1, 7, v9
	v_lshrrev_b32_e32 v29, 3, v33
	s_mov_b32 s26, exec_lo
	v_cmpx_gt_u32_e32 8, v33
; %bb.300:                              ;   in Loop: Header=BB253_295 Depth=1
	v_ffbh_u32_e32 v1, v1
	v_min_u32_e32 v1, 32, v1
	v_subrev_nc_u32_e32 v29, 28, v1
	v_lshlrev_b64 v[32:33], v29, v[9:10]
	v_sub_nc_u32_e32 v29, 29, v1
	v_and_b32_e32 v1, 7, v32
; %bb.301:                              ;   in Loop: Header=BB253_295 Depth=1
	s_or_b32 exec_lo, exec_lo, s26
	v_lshlrev_b32_e32 v32, 8, v9
	v_lshl_add_u32 v29, v29, 10, 0x2000
	v_lshlrev_b32_e32 v1, 7, v1
	v_and_b32_e32 v32, 0x8000, v32
	v_and_b32_e32 v29, 0xfc00, v29
	v_or3_b32 v32, v32, v29, v1
.LBB253_302:                            ;   in Loop: Header=BB253_295 Depth=1
	s_or_b32 exec_lo, exec_lo, s22
.LBB253_303:                            ;   in Loop: Header=BB253_295 Depth=1
	s_or_b32 exec_lo, exec_lo, s21
.LBB253_304:                            ;   in Loop: Header=BB253_295 Depth=1
	s_or_b32 exec_lo, exec_lo, s0
	v_lshrrev_b16 v1, 8, v9
	s_mov_b32 s0, exec_lo
	v_cmpx_ne_u16_e32 0, v1
	s_cbranch_execz .LBB253_312
; %bb.305:                              ;   in Loop: Header=BB253_295 Depth=1
	v_bfrev_b32_e32 v31, 1
	s_mov_b32 s21, exec_lo
	v_cmpx_ne_u16_e32 0x80, v1
	s_cbranch_execz .LBB253_311
; %bb.306:                              ;   in Loop: Header=BB253_295 Depth=1
	v_and_b32_sdwa v33, v1, v23 dst_sel:DWORD dst_unused:UNUSED_PAD src0_sel:WORD_0 src1_sel:DWORD
	v_mov_b32_e32 v31, 0x7c010000
	s_mov_b32 s22, exec_lo
	v_cmpx_ne_u32_e32 0x7f, v33
	s_cbranch_execz .LBB253_310
; %bb.307:                              ;   in Loop: Header=BB253_295 Depth=1
	v_and_b32_sdwa v29, v1, v24 dst_sel:DWORD dst_unused:UNUSED_PAD src0_sel:WORD_0 src1_sel:DWORD
	v_lshrrev_b32_e32 v31, 3, v33
	s_mov_b32 s26, exec_lo
	v_cmpx_gt_u32_e32 8, v33
; %bb.308:                              ;   in Loop: Header=BB253_295 Depth=1
	v_ffbh_u32_e32 v29, v29
	v_min_u32_e32 v29, 32, v29
	v_subrev_nc_u32_e32 v31, 28, v29
	v_lshlrev_b64 v[33:34], v31, v[1:2]
	v_sub_nc_u32_e32 v31, 29, v29
	v_and_b32_e32 v29, 7, v33
; %bb.309:                              ;   in Loop: Header=BB253_295 Depth=1
	s_or_b32 exec_lo, exec_lo, s26
	v_lshlrev_b32_sdwa v1, v25, v1 dst_sel:DWORD dst_unused:UNUSED_PAD src0_sel:DWORD src1_sel:WORD_0
	v_lshl_add_u32 v31, v31, 10, 0x2000
	v_lshlrev_b32_e32 v29, 23, v29
	v_and_or_b32 v1, 0x8000, v1, v31
	v_lshl_or_b32 v31, v1, 16, v29
.LBB253_310:                            ;   in Loop: Header=BB253_295 Depth=1
	s_or_b32 exec_lo, exec_lo, s22
.LBB253_311:                            ;   in Loop: Header=BB253_295 Depth=1
	s_or_b32 exec_lo, exec_lo, s21
.LBB253_312:                            ;   in Loop: Header=BB253_295 Depth=1
	s_or_b32 exec_lo, exec_lo, s0
	v_lshrrev_b32_e32 v1, 16, v9
	v_mov_b32_e32 v33, 0
	v_mov_b32_e32 v29, 0
	v_cmp_ne_u16_sdwa s21, v1, v2 src0_sel:BYTE_0 src1_sel:DWORD
	s_and_saveexec_b32 s0, s21
	s_cbranch_execz .LBB253_320
; %bb.313:                              ;   in Loop: Header=BB253_295 Depth=1
	v_cmp_ne_u16_sdwa s22, v1, v15 src0_sel:BYTE_0 src1_sel:DWORD
	v_mov_b32_e32 v29, 0x8000
	s_and_saveexec_b32 s21, s22
	s_cbranch_execz .LBB253_319
; %bb.314:                              ;   in Loop: Header=BB253_295 Depth=1
	v_bfe_u32 v35, v9, 16, 7
	v_mov_b32_e32 v29, 0x7c01
	s_mov_b32 s22, exec_lo
	v_cmpx_ne_u32_e32 0x7f, v35
	s_cbranch_execz .LBB253_318
; %bb.315:                              ;   in Loop: Header=BB253_295 Depth=1
	v_and_b32_e32 v29, 7, v1
	v_lshrrev_b32_e32 v34, 3, v35
	s_mov_b32 s26, exec_lo
	v_cmpx_gt_u32_e32 8, v35
; %bb.316:                              ;   in Loop: Header=BB253_295 Depth=1
	v_ffbh_u32_e32 v29, v29
	v_min_u32_e32 v29, 32, v29
	v_subrev_nc_u32_e32 v34, 28, v29
	v_lshlrev_b64 v[35:36], v34, v[1:2]
	v_sub_nc_u32_e32 v34, 29, v29
	v_and_b32_e32 v29, 7, v35
; %bb.317:                              ;   in Loop: Header=BB253_295 Depth=1
	s_or_b32 exec_lo, exec_lo, s26
	v_lshlrev_b32_e32 v1, 8, v1
	v_lshl_add_u32 v34, v34, 10, 0x2000
	v_lshlrev_b32_e32 v29, 7, v29
	v_and_b32_e32 v1, 0x8000, v1
	v_and_b32_e32 v34, 0xfc00, v34
	v_or3_b32 v29, v1, v34, v29
.LBB253_318:                            ;   in Loop: Header=BB253_295 Depth=1
	s_or_b32 exec_lo, exec_lo, s22
.LBB253_319:                            ;   in Loop: Header=BB253_295 Depth=1
	s_or_b32 exec_lo, exec_lo, s21
.LBB253_320:                            ;   in Loop: Header=BB253_295 Depth=1
	s_or_b32 exec_lo, exec_lo, s0
	s_mov_b32 s0, exec_lo
	v_cmpx_lt_u32_e32 0xffffff, v9
	s_cbranch_execz .LBB253_328
; %bb.321:                              ;   in Loop: Header=BB253_295 Depth=1
	v_lshrrev_b32_e32 v1, 24, v9
	v_bfrev_b32_e32 v33, 1
	s_mov_b32 s21, exec_lo
	v_cmpx_ne_u32_e32 0x80, v1
	s_cbranch_execz .LBB253_327
; %bb.322:                              ;   in Loop: Header=BB253_295 Depth=1
	v_and_b32_e32 v35, 0x7f, v1
	v_mov_b32_e32 v33, 0x7c010000
	s_mov_b32 s22, exec_lo
	v_cmpx_ne_u32_e32 0x7f, v35
	s_cbranch_execz .LBB253_326
; %bb.323:                              ;   in Loop: Header=BB253_295 Depth=1
	v_and_b32_e32 v33, 7, v1
	v_lshrrev_b32_e32 v34, 3, v35
	s_mov_b32 s26, exec_lo
	v_cmpx_gt_u32_e32 8, v35
; %bb.324:                              ;   in Loop: Header=BB253_295 Depth=1
	v_ffbh_u32_e32 v33, v33
	v_min_u32_e32 v35, 32, v33
	v_subrev_nc_u32_e32 v33, 28, v35
	v_lshlrev_b64 v[33:34], v33, v[1:2]
	v_sub_nc_u32_e32 v34, 29, v35
	v_and_b32_e32 v33, 7, v33
; %bb.325:                              ;   in Loop: Header=BB253_295 Depth=1
	s_or_b32 exec_lo, exec_lo, s26
	v_lshlrev_b32_e32 v1, 8, v1
	v_lshl_add_u32 v34, v34, 10, 0x2000
	v_lshlrev_b32_e32 v33, 23, v33
	v_and_or_b32 v1, 0x8000, v1, v34
	v_lshl_or_b32 v33, v1, 16, v33
.LBB253_326:                            ;   in Loop: Header=BB253_295 Depth=1
	s_or_b32 exec_lo, exec_lo, s22
.LBB253_327:                            ;   in Loop: Header=BB253_295 Depth=1
	s_or_b32 exec_lo, exec_lo, s21
.LBB253_328:                            ;   in Loop: Header=BB253_295 Depth=1
	s_or_b32 exec_lo, exec_lo, s0
	v_mov_b32_e32 v1, v10
	v_cmp_ne_u16_sdwa s21, v10, v2 src0_sel:BYTE_0 src1_sel:DWORD
	v_mov_b32_e32 v34, 0
	v_mov_b32_e32 v35, 0
	s_and_saveexec_b32 s0, s21
	s_cbranch_execz .LBB253_336
; %bb.329:                              ;   in Loop: Header=BB253_295 Depth=1
	v_cmp_ne_u16_sdwa s22, v10, v15 src0_sel:BYTE_0 src1_sel:DWORD
	v_mov_b32_e32 v35, 0x8000
	s_and_saveexec_b32 s21, s22
	s_cbranch_execz .LBB253_335
; %bb.330:                              ;   in Loop: Header=BB253_295 Depth=1
	v_and_b32_e32 v45, 0x7f, v10
	v_mov_b32_e32 v35, 0x7c01
	s_mov_b32 s22, exec_lo
	v_cmpx_ne_u32_e32 0x7f, v45
	s_cbranch_execz .LBB253_334
; %bb.331:                              ;   in Loop: Header=BB253_295 Depth=1
	v_and_b32_e32 v35, 7, v10
	v_lshrrev_b32_e32 v36, 3, v45
	s_mov_b32 s26, exec_lo
	v_cmpx_gt_u32_e32 8, v45
; %bb.332:                              ;   in Loop: Header=BB253_295 Depth=1
	v_ffbh_u32_e32 v35, v35
	v_min_u32_e32 v45, 32, v35
	v_subrev_nc_u32_e32 v35, 28, v45
	v_lshlrev_b64 v[35:36], v35, v[1:2]
	v_sub_nc_u32_e32 v36, 29, v45
	v_and_b32_e32 v35, 7, v35
; %bb.333:                              ;   in Loop: Header=BB253_295 Depth=1
	s_or_b32 exec_lo, exec_lo, s26
	v_lshlrev_b32_e32 v45, 8, v10
	v_lshl_add_u32 v36, v36, 10, 0x2000
	v_lshlrev_b32_e32 v35, 7, v35
	v_and_b32_e32 v45, 0x8000, v45
	v_and_b32_e32 v36, 0xfc00, v36
	v_or3_b32 v35, v45, v36, v35
.LBB253_334:                            ;   in Loop: Header=BB253_295 Depth=1
	s_or_b32 exec_lo, exec_lo, s22
.LBB253_335:                            ;   in Loop: Header=BB253_295 Depth=1
	s_or_b32 exec_lo, exec_lo, s21
.LBB253_336:                            ;   in Loop: Header=BB253_295 Depth=1
	s_or_b32 exec_lo, exec_lo, s0
	v_lshrrev_b16 v1, 8, v1
	v_mov_b32_e32 v36, 0
	s_mov_b32 s0, exec_lo
	v_cmpx_ne_u16_e32 0, v1
	s_cbranch_execz .LBB253_344
; %bb.337:                              ;   in Loop: Header=BB253_295 Depth=1
	v_bfrev_b32_e32 v36, 1
	s_mov_b32 s21, exec_lo
	v_cmpx_ne_u16_e32 0x80, v1
	s_cbranch_execz .LBB253_343
; %bb.338:                              ;   in Loop: Header=BB253_295 Depth=1
	v_and_b32_sdwa v46, v1, v23 dst_sel:DWORD dst_unused:UNUSED_PAD src0_sel:WORD_0 src1_sel:DWORD
	v_mov_b32_e32 v36, 0x7c010000
	s_mov_b32 s22, exec_lo
	v_cmpx_ne_u32_e32 0x7f, v46
	s_cbranch_execz .LBB253_342
; %bb.339:                              ;   in Loop: Header=BB253_295 Depth=1
	v_and_b32_sdwa v36, v1, v24 dst_sel:DWORD dst_unused:UNUSED_PAD src0_sel:WORD_0 src1_sel:DWORD
	v_lshrrev_b32_e32 v45, 3, v46
	s_mov_b32 s26, exec_lo
	v_cmpx_gt_u32_e32 8, v46
; %bb.340:                              ;   in Loop: Header=BB253_295 Depth=1
	v_ffbh_u32_e32 v36, v36
	v_min_u32_e32 v36, 32, v36
	v_subrev_nc_u32_e32 v45, 28, v36
	v_lshlrev_b64 v[46:47], v45, v[1:2]
	v_sub_nc_u32_e32 v45, 29, v36
	v_and_b32_e32 v36, 7, v46
; %bb.341:                              ;   in Loop: Header=BB253_295 Depth=1
	s_or_b32 exec_lo, exec_lo, s26
	v_lshlrev_b32_sdwa v1, v25, v1 dst_sel:DWORD dst_unused:UNUSED_PAD src0_sel:DWORD src1_sel:WORD_0
	v_lshl_add_u32 v45, v45, 10, 0x2000
	v_lshlrev_b32_e32 v36, 23, v36
	v_and_or_b32 v1, 0x8000, v1, v45
	v_lshl_or_b32 v36, v1, 16, v36
.LBB253_342:                            ;   in Loop: Header=BB253_295 Depth=1
	s_or_b32 exec_lo, exec_lo, s22
.LBB253_343:                            ;   in Loop: Header=BB253_295 Depth=1
	s_or_b32 exec_lo, exec_lo, s21
.LBB253_344:                            ;   in Loop: Header=BB253_295 Depth=1
	s_or_b32 exec_lo, exec_lo, s0
	v_lshrrev_b32_e32 v1, 16, v10
	v_cmp_ne_u16_sdwa s21, v1, v2 src0_sel:BYTE_0 src1_sel:DWORD
	s_and_saveexec_b32 s0, s21
	s_cbranch_execz .LBB253_352
; %bb.345:                              ;   in Loop: Header=BB253_295 Depth=1
	v_cmp_ne_u16_sdwa s22, v1, v15 src0_sel:BYTE_0 src1_sel:DWORD
	v_mov_b32_e32 v34, 0x8000
	s_and_saveexec_b32 s21, s22
	s_cbranch_execz .LBB253_351
; %bb.346:                              ;   in Loop: Header=BB253_295 Depth=1
	v_bfe_u32 v46, v10, 16, 7
	v_mov_b32_e32 v34, 0x7c01
	s_mov_b32 s22, exec_lo
	v_cmpx_ne_u32_e32 0x7f, v46
	s_cbranch_execz .LBB253_350
; %bb.347:                              ;   in Loop: Header=BB253_295 Depth=1
	v_and_b32_e32 v34, 7, v1
	v_lshrrev_b32_e32 v45, 3, v46
	s_mov_b32 s26, exec_lo
	v_cmpx_gt_u32_e32 8, v46
; %bb.348:                              ;   in Loop: Header=BB253_295 Depth=1
	v_ffbh_u32_e32 v34, v34
	v_min_u32_e32 v34, 32, v34
	v_subrev_nc_u32_e32 v45, 28, v34
	v_lshlrev_b64 v[46:47], v45, v[1:2]
	v_sub_nc_u32_e32 v45, 29, v34
	v_and_b32_e32 v34, 7, v46
; %bb.349:                              ;   in Loop: Header=BB253_295 Depth=1
	s_or_b32 exec_lo, exec_lo, s26
	v_lshlrev_b32_e32 v1, 8, v1
	v_lshl_add_u32 v45, v45, 10, 0x2000
	v_lshlrev_b32_e32 v34, 7, v34
	v_and_b32_e32 v1, 0x8000, v1
	v_and_b32_e32 v45, 0xfc00, v45
	v_or3_b32 v34, v1, v45, v34
.LBB253_350:                            ;   in Loop: Header=BB253_295 Depth=1
	s_or_b32 exec_lo, exec_lo, s22
.LBB253_351:                            ;   in Loop: Header=BB253_295 Depth=1
	s_or_b32 exec_lo, exec_lo, s21
.LBB253_352:                            ;   in Loop: Header=BB253_295 Depth=1
	s_or_b32 exec_lo, exec_lo, s0
	v_cmp_lt_u64_e32 vcc_lo, s[2:3], v[9:10]
	v_mov_b32_e32 v9, 0
	s_and_saveexec_b32 s0, vcc_lo
	s_cbranch_execz .LBB253_360
; %bb.353:                              ;   in Loop: Header=BB253_295 Depth=1
	v_lshrrev_b32_e32 v1, 24, v10
	v_bfrev_b32_e32 v9, 1
	s_mov_b32 s21, exec_lo
	v_cmpx_ne_u32_e32 0x80, v1
	s_cbranch_execz .LBB253_359
; %bb.354:                              ;   in Loop: Header=BB253_295 Depth=1
	v_and_b32_e32 v45, 0x7f, v1
	v_mov_b32_e32 v9, 0x7c010000
	s_mov_b32 s22, exec_lo
	v_cmpx_ne_u32_e32 0x7f, v45
	s_cbranch_execz .LBB253_358
; %bb.355:                              ;   in Loop: Header=BB253_295 Depth=1
	v_and_b32_e32 v9, 7, v1
	v_lshrrev_b32_e32 v10, 3, v45
	s_mov_b32 s26, exec_lo
	v_cmpx_gt_u32_e32 8, v45
; %bb.356:                              ;   in Loop: Header=BB253_295 Depth=1
	v_ffbh_u32_e32 v9, v9
	v_min_u32_e32 v45, 32, v9
	v_subrev_nc_u32_e32 v9, 28, v45
	v_lshlrev_b64 v[9:10], v9, v[1:2]
	v_sub_nc_u32_e32 v10, 29, v45
	v_and_b32_e32 v9, 7, v9
; %bb.357:                              ;   in Loop: Header=BB253_295 Depth=1
	s_or_b32 exec_lo, exec_lo, s26
	v_lshlrev_b32_e32 v1, 8, v1
	v_lshl_add_u32 v10, v10, 10, 0x2000
	v_lshlrev_b32_e32 v9, 23, v9
	v_and_or_b32 v1, 0x8000, v1, v10
	v_lshl_or_b32 v9, v1, 16, v9
.LBB253_358:                            ;   in Loop: Header=BB253_295 Depth=1
	s_or_b32 exec_lo, exec_lo, s22
.LBB253_359:                            ;   in Loop: Header=BB253_295 Depth=1
	s_or_b32 exec_lo, exec_lo, s21
.LBB253_360:                            ;   in Loop: Header=BB253_295 Depth=1
	s_or_b32 exec_lo, exec_lo, s0
	v_or_b32_e32 v1, v33, v29
	v_fma_mixlo_f16 v10, v30, v33, 0 op_sel:[0,1,0] op_sel_hi:[0,1,0]
	v_or_b32_e32 v32, v31, v32
	v_fma_mixlo_f16 v31, v30, v31, 0 op_sel:[0,1,0] op_sel_hi:[0,1,0]
	v_or_b32_e32 v33, v36, v35
	v_fma_mixlo_f16 v1, v30, v1, 0 op_sel_hi:[0,1,0]
	v_or_b32_e32 v34, v9, v34
	v_fma_mixlo_f16 v9, v30, v9, 0 op_sel:[0,1,0] op_sel_hi:[0,1,0]
	v_lshlrev_b32_e32 v51, 16, v31
	v_fma_mixlo_f16 v31, v30, v36, 0 op_sel:[0,1,0] op_sel_hi:[0,1,0]
	v_and_b32_e32 v48, 0xffff, v1
	v_fma_mixlo_f16 v1, v30, v32, 0 op_sel_hi:[0,1,0]
	v_fma_mixlo_f16 v32, v30, v33, 0 op_sel_hi:[0,1,0]
	;; [unrolled: 1-line block ×3, first 2 shown]
	v_add_nc_u32_e32 v29, v22, v14
	v_lshlrev_b32_e32 v10, 16, v10
	v_and_b32_e32 v53, 0xffff, v1
	v_lshlrev_b32_e32 v49, 16, v31
	v_and_b32_e32 v52, 0xffff, v32
	;; [unrolled: 2-line block ×3, first 2 shown]
	v_cmp_eq_u32_e32 vcc_lo, s13, v28
	v_or_b32_e32 v1, v10, v48
	v_or_b32_e32 v9, v51, v53
	;; [unrolled: 1-line block ×4, first 2 shown]
	v_add_nc_u32_e32 v36, 1, v29
	v_add_nc_u32_e32 v35, 2, v29
	;; [unrolled: 1-line block ×7, first 2 shown]
	s_and_saveexec_b32 s21, vcc_lo
	s_cbranch_execz .LBB253_362
; %bb.361:                              ;   in Loop: Header=BB253_295 Depth=1
	v_cmp_gt_i32_e64 s0, s33, v29
	v_cndmask_b32_e64 v1, 0, v53, s0
	v_cmp_gt_i32_e64 s0, s33, v36
	v_cndmask_b32_e64 v9, 0, v51, s0
	v_cmp_gt_i32_e64 s0, s33, v35
	v_or_b32_e32 v9, v9, v1
	v_cndmask_b32_e64 v45, 0, v48, s0
	v_cmp_gt_i32_e64 s0, s33, v34
	v_cndmask_b32_e64 v10, 0, v10, s0
	v_cmp_gt_i32_e64 s0, s33, v33
	v_or_b32_e32 v1, v10, v45
	;; [unrolled: 5-line block ×3, first 2 shown]
	v_cndmask_b32_e64 v49, 0, v50, s0
	v_cmp_gt_i32_e64 s0, s33, v30
	v_cndmask_b32_e64 v46, 0, v46, s0
	v_or_b32_e32 v47, v46, v49
.LBB253_362:                            ;   in Loop: Header=BB253_295 Depth=1
	s_or_b32 exec_lo, exec_lo, s21
	v_and_b32_e32 v10, 0xffff, v37
	v_and_b32_e32 v37, 0xffff, v41
	;; [unrolled: 1-line block ×4, first 2 shown]
	v_lshl_or_b32 v42, v38, 16, v10
	v_lshl_or_b32 v41, v39, 16, v37
	;;#ASMSTART
	v_pk_mul_f16 v9, v42, v9;

	;;#ASMEND
	;;#ASMSTART
	v_pk_mul_f16 v1, v41, v1;

	;;#ASMEND
	v_lshl_or_b32 v40, v40, 16, v46
	v_lshl_or_b32 v39, v43, 16, v44
	;;#ASMSTART
	v_pk_mul_f16 v10, v40, v45;

	;;#ASMEND
	;;#ASMSTART
	v_pk_mul_f16 v37, v39, v47;

	;;#ASMEND
	;;#ASMSTART
	v_pk_add_f16 v1, v9, v1;

	;;#ASMEND
	;;#ASMSTART
	v_pk_add_f16 v1, v1, v10;
	;; [unrolled: 4-line block ×3, first 2 shown]

	;;#ASMEND
	v_and_b32_e32 v9, 0xffff, v1
	v_lshrrev_b32_e32 v1, 16, v1
	;;#ASMSTART
	v_cvt_f32_f16 v37, v9;
	;;#ASMEND
	;;#ASMSTART
	v_cvt_f32_f16 v38, v1;
	;;#ASMEND
	global_load_dwordx2 v[9:10], v[7:8], off offset:256
	v_mov_b32_e32 v44, 0
	v_mov_b32_e32 v45, 0
	global_load_dword v43, v44, s[14:15]
	s_waitcnt vmcnt(1)
	v_cmp_ne_u16_sdwa s0, v9, v2 src0_sel:BYTE_0 src1_sel:DWORD
	s_and_saveexec_b32 s21, s0
	s_cbranch_execz .LBB253_370
; %bb.363:                              ;   in Loop: Header=BB253_295 Depth=1
	v_cmp_ne_u16_sdwa s0, v9, v15 src0_sel:BYTE_0 src1_sel:DWORD
	v_mov_b32_e32 v45, 0x8000
	s_and_saveexec_b32 s22, s0
	s_cbranch_execz .LBB253_369
; %bb.364:                              ;   in Loop: Header=BB253_295 Depth=1
	v_and_b32_e32 v46, 0x7f, v9
	v_mov_b32_e32 v45, 0x7c01
	s_mov_b32 s26, exec_lo
	v_cmpx_ne_u32_e32 0x7f, v46
	s_cbranch_execz .LBB253_368
; %bb.365:                              ;   in Loop: Header=BB253_295 Depth=1
	v_and_b32_e32 v1, 7, v9
	v_lshrrev_b32_e32 v45, 3, v46
	s_mov_b32 s27, exec_lo
	v_cmpx_gt_u32_e32 8, v46
; %bb.366:                              ;   in Loop: Header=BB253_295 Depth=1
	v_ffbh_u32_e32 v1, v1
	v_min_u32_e32 v1, 32, v1
	v_subrev_nc_u32_e32 v45, 28, v1
	v_lshlrev_b64 v[46:47], v45, v[9:10]
	v_sub_nc_u32_e32 v45, 29, v1
	v_and_b32_e32 v1, 7, v46
; %bb.367:                              ;   in Loop: Header=BB253_295 Depth=1
	s_or_b32 exec_lo, exec_lo, s27
	v_lshlrev_b32_e32 v46, 8, v9
	v_lshl_add_u32 v45, v45, 10, 0x2000
	v_lshlrev_b32_e32 v1, 7, v1
	v_and_b32_e32 v46, 0x8000, v46
	v_and_b32_e32 v45, 0xfc00, v45
	v_or3_b32 v45, v46, v45, v1
.LBB253_368:                            ;   in Loop: Header=BB253_295 Depth=1
	s_or_b32 exec_lo, exec_lo, s26
.LBB253_369:                            ;   in Loop: Header=BB253_295 Depth=1
	s_or_b32 exec_lo, exec_lo, s22
.LBB253_370:                            ;   in Loop: Header=BB253_295 Depth=1
	s_or_b32 exec_lo, exec_lo, s21
	v_lshrrev_b16 v1, 8, v9
	s_mov_b32 s21, exec_lo
	v_cmpx_ne_u16_e32 0, v1
	s_cbranch_execz .LBB253_378
; %bb.371:                              ;   in Loop: Header=BB253_295 Depth=1
	v_bfrev_b32_e32 v44, 1
	s_mov_b32 s22, exec_lo
	v_cmpx_ne_u16_e32 0x80, v1
	s_cbranch_execz .LBB253_377
; %bb.372:                              ;   in Loop: Header=BB253_295 Depth=1
	v_and_b32_sdwa v47, v1, v23 dst_sel:DWORD dst_unused:UNUSED_PAD src0_sel:WORD_0 src1_sel:DWORD
	v_mov_b32_e32 v44, 0x7c010000
	s_mov_b32 s26, exec_lo
	v_cmpx_ne_u32_e32 0x7f, v47
	s_cbranch_execz .LBB253_376
; %bb.373:                              ;   in Loop: Header=BB253_295 Depth=1
	v_and_b32_sdwa v44, v1, v24 dst_sel:DWORD dst_unused:UNUSED_PAD src0_sel:WORD_0 src1_sel:DWORD
	v_lshrrev_b32_e32 v46, 3, v47
	s_mov_b32 s27, exec_lo
	v_cmpx_gt_u32_e32 8, v47
; %bb.374:                              ;   in Loop: Header=BB253_295 Depth=1
	v_ffbh_u32_e32 v44, v44
	v_min_u32_e32 v44, 32, v44
	v_subrev_nc_u32_e32 v46, 28, v44
	v_lshlrev_b64 v[47:48], v46, v[1:2]
	v_sub_nc_u32_e32 v46, 29, v44
	v_and_b32_e32 v44, 7, v47
; %bb.375:                              ;   in Loop: Header=BB253_295 Depth=1
	s_or_b32 exec_lo, exec_lo, s27
	v_lshlrev_b32_sdwa v1, v25, v1 dst_sel:DWORD dst_unused:UNUSED_PAD src0_sel:DWORD src1_sel:WORD_0
	v_lshl_add_u32 v46, v46, 10, 0x2000
	v_lshlrev_b32_e32 v44, 23, v44
	v_and_or_b32 v1, 0x8000, v1, v46
	v_lshl_or_b32 v44, v1, 16, v44
.LBB253_376:                            ;   in Loop: Header=BB253_295 Depth=1
	s_or_b32 exec_lo, exec_lo, s26
.LBB253_377:                            ;   in Loop: Header=BB253_295 Depth=1
	s_or_b32 exec_lo, exec_lo, s22
.LBB253_378:                            ;   in Loop: Header=BB253_295 Depth=1
	s_or_b32 exec_lo, exec_lo, s21
	v_lshrrev_b32_e32 v1, 16, v9
	v_mov_b32_e32 v46, 0
	v_mov_b32_e32 v47, 0
	v_cmp_ne_u16_sdwa s0, v1, v2 src0_sel:BYTE_0 src1_sel:DWORD
	s_and_saveexec_b32 s21, s0
	s_cbranch_execz .LBB253_386
; %bb.379:                              ;   in Loop: Header=BB253_295 Depth=1
	v_cmp_ne_u16_sdwa s0, v1, v15 src0_sel:BYTE_0 src1_sel:DWORD
	v_mov_b32_e32 v47, 0x8000
	s_and_saveexec_b32 s22, s0
	s_cbranch_execz .LBB253_385
; %bb.380:                              ;   in Loop: Header=BB253_295 Depth=1
	v_bfe_u32 v49, v9, 16, 7
	v_mov_b32_e32 v47, 0x7c01
	s_mov_b32 s26, exec_lo
	v_cmpx_ne_u32_e32 0x7f, v49
	s_cbranch_execz .LBB253_384
; %bb.381:                              ;   in Loop: Header=BB253_295 Depth=1
	v_and_b32_e32 v47, 7, v1
	v_lshrrev_b32_e32 v48, 3, v49
	s_mov_b32 s27, exec_lo
	v_cmpx_gt_u32_e32 8, v49
; %bb.382:                              ;   in Loop: Header=BB253_295 Depth=1
	v_ffbh_u32_e32 v47, v47
	v_min_u32_e32 v49, 32, v47
	v_subrev_nc_u32_e32 v47, 28, v49
	v_lshlrev_b64 v[47:48], v47, v[1:2]
	v_sub_nc_u32_e32 v48, 29, v49
	v_and_b32_e32 v47, 7, v47
; %bb.383:                              ;   in Loop: Header=BB253_295 Depth=1
	s_or_b32 exec_lo, exec_lo, s27
	v_lshlrev_b32_e32 v1, 8, v1
	v_lshl_add_u32 v48, v48, 10, 0x2000
	v_lshlrev_b32_e32 v47, 7, v47
	v_and_b32_e32 v1, 0x8000, v1
	v_and_b32_e32 v48, 0xfc00, v48
	v_or3_b32 v47, v1, v48, v47
.LBB253_384:                            ;   in Loop: Header=BB253_295 Depth=1
	s_or_b32 exec_lo, exec_lo, s26
.LBB253_385:                            ;   in Loop: Header=BB253_295 Depth=1
	s_or_b32 exec_lo, exec_lo, s22
.LBB253_386:                            ;   in Loop: Header=BB253_295 Depth=1
	s_or_b32 exec_lo, exec_lo, s21
	s_mov_b32 s21, exec_lo
	v_cmpx_lt_u32_e32 0xffffff, v9
	s_cbranch_execz .LBB253_394
; %bb.387:                              ;   in Loop: Header=BB253_295 Depth=1
	v_lshrrev_b32_e32 v1, 24, v9
	v_bfrev_b32_e32 v46, 1
	s_mov_b32 s22, exec_lo
	v_cmpx_ne_u32_e32 0x80, v1
	s_cbranch_execz .LBB253_393
; %bb.388:                              ;   in Loop: Header=BB253_295 Depth=1
	v_and_b32_e32 v49, 0x7f, v1
	v_mov_b32_e32 v46, 0x7c010000
	s_mov_b32 s26, exec_lo
	v_cmpx_ne_u32_e32 0x7f, v49
	s_cbranch_execz .LBB253_392
; %bb.389:                              ;   in Loop: Header=BB253_295 Depth=1
	v_and_b32_e32 v46, 7, v1
	v_lshrrev_b32_e32 v48, 3, v49
	s_mov_b32 s27, exec_lo
	v_cmpx_gt_u32_e32 8, v49
; %bb.390:                              ;   in Loop: Header=BB253_295 Depth=1
	v_ffbh_u32_e32 v46, v46
	v_min_u32_e32 v46, 32, v46
	v_subrev_nc_u32_e32 v48, 28, v46
	v_lshlrev_b64 v[49:50], v48, v[1:2]
	v_sub_nc_u32_e32 v48, 29, v46
	v_and_b32_e32 v46, 7, v49
; %bb.391:                              ;   in Loop: Header=BB253_295 Depth=1
	s_or_b32 exec_lo, exec_lo, s27
	v_lshlrev_b32_e32 v1, 8, v1
	v_lshl_add_u32 v48, v48, 10, 0x2000
	v_lshlrev_b32_e32 v46, 23, v46
	v_and_or_b32 v1, 0x8000, v1, v48
	v_lshl_or_b32 v46, v1, 16, v46
.LBB253_392:                            ;   in Loop: Header=BB253_295 Depth=1
	s_or_b32 exec_lo, exec_lo, s26
.LBB253_393:                            ;   in Loop: Header=BB253_295 Depth=1
	s_or_b32 exec_lo, exec_lo, s22
.LBB253_394:                            ;   in Loop: Header=BB253_295 Depth=1
	s_or_b32 exec_lo, exec_lo, s21
	v_mov_b32_e32 v1, v10
	v_cmp_ne_u16_sdwa s0, v10, v2 src0_sel:BYTE_0 src1_sel:DWORD
	v_mov_b32_e32 v48, 0
	v_mov_b32_e32 v49, 0
	s_and_saveexec_b32 s21, s0
	s_cbranch_execz .LBB253_402
; %bb.395:                              ;   in Loop: Header=BB253_295 Depth=1
	v_cmp_ne_u16_sdwa s0, v10, v15 src0_sel:BYTE_0 src1_sel:DWORD
	v_mov_b32_e32 v49, 0x8000
	s_and_saveexec_b32 s22, s0
	s_cbranch_execz .LBB253_401
; %bb.396:                              ;   in Loop: Header=BB253_295 Depth=1
	v_and_b32_e32 v51, 0x7f, v10
	v_mov_b32_e32 v49, 0x7c01
	s_mov_b32 s26, exec_lo
	v_cmpx_ne_u32_e32 0x7f, v51
	s_cbranch_execz .LBB253_400
; %bb.397:                              ;   in Loop: Header=BB253_295 Depth=1
	v_and_b32_e32 v49, 7, v10
	v_lshrrev_b32_e32 v50, 3, v51
	s_mov_b32 s27, exec_lo
	v_cmpx_gt_u32_e32 8, v51
; %bb.398:                              ;   in Loop: Header=BB253_295 Depth=1
	v_ffbh_u32_e32 v49, v49
	v_min_u32_e32 v51, 32, v49
	v_subrev_nc_u32_e32 v49, 28, v51
	v_lshlrev_b64 v[49:50], v49, v[1:2]
	v_sub_nc_u32_e32 v50, 29, v51
	v_and_b32_e32 v49, 7, v49
; %bb.399:                              ;   in Loop: Header=BB253_295 Depth=1
	s_or_b32 exec_lo, exec_lo, s27
	v_lshlrev_b32_e32 v51, 8, v10
	v_lshl_add_u32 v50, v50, 10, 0x2000
	v_lshlrev_b32_e32 v49, 7, v49
	v_and_b32_e32 v51, 0x8000, v51
	v_and_b32_e32 v50, 0xfc00, v50
	v_or3_b32 v49, v51, v50, v49
.LBB253_400:                            ;   in Loop: Header=BB253_295 Depth=1
	s_or_b32 exec_lo, exec_lo, s26
.LBB253_401:                            ;   in Loop: Header=BB253_295 Depth=1
	s_or_b32 exec_lo, exec_lo, s22
.LBB253_402:                            ;   in Loop: Header=BB253_295 Depth=1
	s_or_b32 exec_lo, exec_lo, s21
	v_lshrrev_b16 v1, 8, v1
	v_mov_b32_e32 v50, 0
	s_mov_b32 s21, exec_lo
	v_cmpx_ne_u16_e32 0, v1
	s_cbranch_execz .LBB253_410
; %bb.403:                              ;   in Loop: Header=BB253_295 Depth=1
	v_bfrev_b32_e32 v50, 1
	s_mov_b32 s22, exec_lo
	v_cmpx_ne_u16_e32 0x80, v1
	s_cbranch_execz .LBB253_409
; %bb.404:                              ;   in Loop: Header=BB253_295 Depth=1
	v_and_b32_sdwa v52, v1, v23 dst_sel:DWORD dst_unused:UNUSED_PAD src0_sel:WORD_0 src1_sel:DWORD
	v_mov_b32_e32 v50, 0x7c010000
	s_mov_b32 s26, exec_lo
	v_cmpx_ne_u32_e32 0x7f, v52
	s_cbranch_execz .LBB253_408
; %bb.405:                              ;   in Loop: Header=BB253_295 Depth=1
	v_and_b32_sdwa v50, v1, v24 dst_sel:DWORD dst_unused:UNUSED_PAD src0_sel:WORD_0 src1_sel:DWORD
	v_lshrrev_b32_e32 v51, 3, v52
	s_mov_b32 s27, exec_lo
	v_cmpx_gt_u32_e32 8, v52
; %bb.406:                              ;   in Loop: Header=BB253_295 Depth=1
	v_ffbh_u32_e32 v50, v50
	v_min_u32_e32 v52, 32, v50
	v_subrev_nc_u32_e32 v50, 28, v52
	v_lshlrev_b64 v[50:51], v50, v[1:2]
	v_sub_nc_u32_e32 v51, 29, v52
	v_and_b32_e32 v50, 7, v50
; %bb.407:                              ;   in Loop: Header=BB253_295 Depth=1
	s_or_b32 exec_lo, exec_lo, s27
	v_lshlrev_b32_sdwa v1, v25, v1 dst_sel:DWORD dst_unused:UNUSED_PAD src0_sel:DWORD src1_sel:WORD_0
	v_lshl_add_u32 v51, v51, 10, 0x2000
	v_lshlrev_b32_e32 v50, 23, v50
	v_and_or_b32 v1, 0x8000, v1, v51
	v_lshl_or_b32 v50, v1, 16, v50
.LBB253_408:                            ;   in Loop: Header=BB253_295 Depth=1
	s_or_b32 exec_lo, exec_lo, s26
.LBB253_409:                            ;   in Loop: Header=BB253_295 Depth=1
	s_or_b32 exec_lo, exec_lo, s22
.LBB253_410:                            ;   in Loop: Header=BB253_295 Depth=1
	s_or_b32 exec_lo, exec_lo, s21
	v_lshrrev_b32_e32 v1, 16, v10
	v_cmp_ne_u16_sdwa s0, v1, v2 src0_sel:BYTE_0 src1_sel:DWORD
	s_and_saveexec_b32 s21, s0
	s_cbranch_execz .LBB253_418
; %bb.411:                              ;   in Loop: Header=BB253_295 Depth=1
	v_cmp_ne_u16_sdwa s0, v1, v15 src0_sel:BYTE_0 src1_sel:DWORD
	v_mov_b32_e32 v48, 0x8000
	s_and_saveexec_b32 s22, s0
	s_cbranch_execz .LBB253_417
; %bb.412:                              ;   in Loop: Header=BB253_295 Depth=1
	v_bfe_u32 v52, v10, 16, 7
	v_mov_b32_e32 v48, 0x7c01
	s_mov_b32 s26, exec_lo
	v_cmpx_ne_u32_e32 0x7f, v52
	s_cbranch_execz .LBB253_416
; %bb.413:                              ;   in Loop: Header=BB253_295 Depth=1
	v_and_b32_e32 v48, 7, v1
	v_lshrrev_b32_e32 v51, 3, v52
	s_mov_b32 s27, exec_lo
	v_cmpx_gt_u32_e32 8, v52
; %bb.414:                              ;   in Loop: Header=BB253_295 Depth=1
	v_ffbh_u32_e32 v48, v48
	v_min_u32_e32 v48, 32, v48
	v_subrev_nc_u32_e32 v51, 28, v48
	v_lshlrev_b64 v[52:53], v51, v[1:2]
	v_sub_nc_u32_e32 v51, 29, v48
	v_and_b32_e32 v48, 7, v52
; %bb.415:                              ;   in Loop: Header=BB253_295 Depth=1
	s_or_b32 exec_lo, exec_lo, s27
	v_lshlrev_b32_e32 v1, 8, v1
	v_lshl_add_u32 v51, v51, 10, 0x2000
	v_lshlrev_b32_e32 v48, 7, v48
	v_and_b32_e32 v1, 0x8000, v1
	v_and_b32_e32 v51, 0xfc00, v51
	v_or3_b32 v48, v1, v51, v48
.LBB253_416:                            ;   in Loop: Header=BB253_295 Depth=1
	s_or_b32 exec_lo, exec_lo, s26
.LBB253_417:                            ;   in Loop: Header=BB253_295 Depth=1
	s_or_b32 exec_lo, exec_lo, s22
.LBB253_418:                            ;   in Loop: Header=BB253_295 Depth=1
	s_or_b32 exec_lo, exec_lo, s21
	v_cmp_lt_u64_e64 s0, s[2:3], v[9:10]
	v_mov_b32_e32 v9, 0
	s_and_saveexec_b32 s21, s0
	s_cbranch_execz .LBB253_426
; %bb.419:                              ;   in Loop: Header=BB253_295 Depth=1
	v_lshrrev_b32_e32 v1, 24, v10
	v_bfrev_b32_e32 v9, 1
	s_mov_b32 s22, exec_lo
	v_cmpx_ne_u32_e32 0x80, v1
	s_cbranch_execz .LBB253_425
; %bb.420:                              ;   in Loop: Header=BB253_295 Depth=1
	v_and_b32_e32 v51, 0x7f, v1
	v_mov_b32_e32 v9, 0x7c010000
	s_mov_b32 s26, exec_lo
	v_cmpx_ne_u32_e32 0x7f, v51
	s_cbranch_execz .LBB253_424
; %bb.421:                              ;   in Loop: Header=BB253_295 Depth=1
	v_and_b32_e32 v9, 7, v1
	v_lshrrev_b32_e32 v10, 3, v51
	s_mov_b32 s27, exec_lo
	v_cmpx_gt_u32_e32 8, v51
; %bb.422:                              ;   in Loop: Header=BB253_295 Depth=1
	v_ffbh_u32_e32 v9, v9
	v_min_u32_e32 v51, 32, v9
	v_subrev_nc_u32_e32 v9, 28, v51
	v_lshlrev_b64 v[9:10], v9, v[1:2]
	v_sub_nc_u32_e32 v10, 29, v51
	v_and_b32_e32 v9, 7, v9
; %bb.423:                              ;   in Loop: Header=BB253_295 Depth=1
	s_or_b32 exec_lo, exec_lo, s27
	v_lshlrev_b32_e32 v1, 8, v1
	v_lshl_add_u32 v10, v10, 10, 0x2000
	v_lshlrev_b32_e32 v9, 23, v9
	v_and_or_b32 v1, 0x8000, v1, v10
	v_lshl_or_b32 v9, v1, 16, v9
.LBB253_424:                            ;   in Loop: Header=BB253_295 Depth=1
	s_or_b32 exec_lo, exec_lo, s26
.LBB253_425:                            ;   in Loop: Header=BB253_295 Depth=1
	s_or_b32 exec_lo, exec_lo, s22
.LBB253_426:                            ;   in Loop: Header=BB253_295 Depth=1
	s_or_b32 exec_lo, exec_lo, s21
	v_or_b32_e32 v1, v46, v47
	s_waitcnt vmcnt(0)
	v_fma_mixlo_f16 v10, v43, v46, 0 op_sel:[0,1,0] op_sel_hi:[0,1,0]
	v_or_b32_e32 v46, v44, v45
	v_fma_mixlo_f16 v44, v43, v44, 0 op_sel:[0,1,0] op_sel_hi:[0,1,0]
	v_or_b32_e32 v47, v50, v49
	v_or_b32_e32 v48, v9, v48
	v_fma_mixlo_f16 v49, v43, v1, 0 op_sel_hi:[0,1,0]
	v_fma_mixlo_f16 v9, v43, v9, 0 op_sel:[0,1,0] op_sel_hi:[0,1,0]
	v_lshlrev_b32_e32 v45, 16, v44
	v_fma_mixlo_f16 v44, v43, v46, 0 op_sel_hi:[0,1,0]
	v_fma_mixlo_f16 v46, v43, v50, 0 op_sel:[0,1,0] op_sel_hi:[0,1,0]
	v_fma_mixlo_f16 v47, v43, v47, 0 op_sel_hi:[0,1,0]
	v_fma_mixlo_f16 v48, v43, v48, 0 op_sel_hi:[0,1,0]
	v_lshlrev_b32_e32 v1, 16, v10
	v_and_b32_e32 v10, 0xffff, v49
	v_and_b32_e32 v51, 0xffff, v44
	v_lshlrev_b32_e32 v43, 16, v46
	v_and_b32_e32 v47, 0xffff, v47
	v_lshlrev_b32_e32 v9, 16, v9
	v_and_b32_e32 v44, 0xffff, v48
	v_or_b32_e32 v46, v1, v10
	v_or_b32_e32 v50, v45, v51
	;; [unrolled: 1-line block ×4, first 2 shown]
	s_and_saveexec_b32 s21, vcc_lo
	s_cbranch_execz .LBB253_428
; %bb.427:                              ;   in Loop: Header=BB253_295 Depth=1
	v_cmp_gt_i32_e64 s0, s33, v29
	v_cndmask_b32_e64 v46, 0, v51, s0
	v_cmp_gt_i32_e64 s0, s33, v36
	v_cndmask_b32_e64 v45, 0, v45, s0
	v_cmp_gt_i32_e64 s0, s33, v35
	v_or_b32_e32 v50, v45, v46
	v_cndmask_b32_e64 v10, 0, v10, s0
	v_cmp_gt_i32_e64 s0, s33, v34
	v_cndmask_b32_e64 v1, 0, v1, s0
	v_cmp_gt_i32_e64 s0, s33, v33
	v_or_b32_e32 v46, v1, v10
	v_cndmask_b32_e64 v47, 0, v47, s0
	v_cmp_gt_i32_e64 s0, s33, v32
	v_cndmask_b32_e64 v43, 0, v43, s0
	v_cmp_gt_i32_e64 s0, s33, v31
	v_or_b32_e32 v49, v43, v47
	v_cndmask_b32_e64 v44, 0, v44, s0
	v_cmp_gt_i32_e64 s0, s33, v30
	v_cndmask_b32_e64 v9, 0, v9, s0
	v_or_b32_e32 v48, v9, v44
.LBB253_428:                            ;   in Loop: Header=BB253_295 Depth=1
	s_or_b32 exec_lo, exec_lo, s21
	;;#ASMSTART
	v_pk_mul_f16 v1, v42, v50;

	;;#ASMEND
	;;#ASMSTART
	v_pk_mul_f16 v9, v41, v46;

	;;#ASMEND
	;; [unrolled: 4-line block ×4, first 2 shown]
	;;#ASMSTART
	v_pk_add_f16 v1, v1, v9;

	;;#ASMEND
	;;#ASMSTART
	v_pk_add_f16 v1, v1, v10;

	;;#ASMEND
	;; [unrolled: 4-line block ×3, first 2 shown]
	v_and_b32_e32 v9, 0xffff, v1
	v_lshrrev_b32_e32 v1, 16, v1
	;;#ASMSTART
	v_cvt_f32_f16 v43, v9;
	;;#ASMEND
	;;#ASMSTART
	v_cvt_f32_f16 v44, v1;
	;;#ASMEND
	global_load_dwordx2 v[9:10], v[7:8], off offset:512
	v_mov_b32_e32 v46, 0
	v_mov_b32_e32 v47, 0
	global_load_dword v45, v46, s[14:15]
	s_waitcnt vmcnt(1)
	v_cmp_ne_u16_sdwa s0, v9, v2 src0_sel:BYTE_0 src1_sel:DWORD
	s_and_saveexec_b32 s21, s0
	s_cbranch_execz .LBB253_436
; %bb.429:                              ;   in Loop: Header=BB253_295 Depth=1
	v_cmp_ne_u16_sdwa s0, v9, v15 src0_sel:BYTE_0 src1_sel:DWORD
	v_mov_b32_e32 v47, 0x8000
	s_and_saveexec_b32 s22, s0
	s_cbranch_execz .LBB253_435
; %bb.430:                              ;   in Loop: Header=BB253_295 Depth=1
	v_and_b32_e32 v48, 0x7f, v9
	v_mov_b32_e32 v47, 0x7c01
	s_mov_b32 s26, exec_lo
	v_cmpx_ne_u32_e32 0x7f, v48
	s_cbranch_execz .LBB253_434
; %bb.431:                              ;   in Loop: Header=BB253_295 Depth=1
	v_and_b32_e32 v1, 7, v9
	v_lshrrev_b32_e32 v47, 3, v48
	s_mov_b32 s27, exec_lo
	v_cmpx_gt_u32_e32 8, v48
; %bb.432:                              ;   in Loop: Header=BB253_295 Depth=1
	v_ffbh_u32_e32 v1, v1
	v_min_u32_e32 v1, 32, v1
	v_subrev_nc_u32_e32 v47, 28, v1
	v_lshlrev_b64 v[48:49], v47, v[9:10]
	v_sub_nc_u32_e32 v47, 29, v1
	v_and_b32_e32 v1, 7, v48
; %bb.433:                              ;   in Loop: Header=BB253_295 Depth=1
	s_or_b32 exec_lo, exec_lo, s27
	v_lshlrev_b32_e32 v48, 8, v9
	v_lshl_add_u32 v47, v47, 10, 0x2000
	v_lshlrev_b32_e32 v1, 7, v1
	v_and_b32_e32 v48, 0x8000, v48
	v_and_b32_e32 v47, 0xfc00, v47
	v_or3_b32 v47, v48, v47, v1
.LBB253_434:                            ;   in Loop: Header=BB253_295 Depth=1
	s_or_b32 exec_lo, exec_lo, s26
.LBB253_435:                            ;   in Loop: Header=BB253_295 Depth=1
	s_or_b32 exec_lo, exec_lo, s22
.LBB253_436:                            ;   in Loop: Header=BB253_295 Depth=1
	s_or_b32 exec_lo, exec_lo, s21
	v_lshrrev_b16 v1, 8, v9
	s_mov_b32 s21, exec_lo
	v_cmpx_ne_u16_e32 0, v1
	s_cbranch_execz .LBB253_444
; %bb.437:                              ;   in Loop: Header=BB253_295 Depth=1
	v_bfrev_b32_e32 v46, 1
	s_mov_b32 s22, exec_lo
	v_cmpx_ne_u16_e32 0x80, v1
	s_cbranch_execz .LBB253_443
; %bb.438:                              ;   in Loop: Header=BB253_295 Depth=1
	v_and_b32_sdwa v49, v1, v23 dst_sel:DWORD dst_unused:UNUSED_PAD src0_sel:WORD_0 src1_sel:DWORD
	v_mov_b32_e32 v46, 0x7c010000
	s_mov_b32 s26, exec_lo
	v_cmpx_ne_u32_e32 0x7f, v49
	s_cbranch_execz .LBB253_442
; %bb.439:                              ;   in Loop: Header=BB253_295 Depth=1
	v_and_b32_sdwa v46, v1, v24 dst_sel:DWORD dst_unused:UNUSED_PAD src0_sel:WORD_0 src1_sel:DWORD
	v_lshrrev_b32_e32 v48, 3, v49
	s_mov_b32 s27, exec_lo
	v_cmpx_gt_u32_e32 8, v49
; %bb.440:                              ;   in Loop: Header=BB253_295 Depth=1
	v_ffbh_u32_e32 v46, v46
	v_min_u32_e32 v46, 32, v46
	v_subrev_nc_u32_e32 v48, 28, v46
	v_lshlrev_b64 v[49:50], v48, v[1:2]
	v_sub_nc_u32_e32 v48, 29, v46
	v_and_b32_e32 v46, 7, v49
; %bb.441:                              ;   in Loop: Header=BB253_295 Depth=1
	s_or_b32 exec_lo, exec_lo, s27
	v_lshlrev_b32_sdwa v1, v25, v1 dst_sel:DWORD dst_unused:UNUSED_PAD src0_sel:DWORD src1_sel:WORD_0
	v_lshl_add_u32 v48, v48, 10, 0x2000
	v_lshlrev_b32_e32 v46, 23, v46
	v_and_or_b32 v1, 0x8000, v1, v48
	v_lshl_or_b32 v46, v1, 16, v46
.LBB253_442:                            ;   in Loop: Header=BB253_295 Depth=1
	s_or_b32 exec_lo, exec_lo, s26
.LBB253_443:                            ;   in Loop: Header=BB253_295 Depth=1
	s_or_b32 exec_lo, exec_lo, s22
.LBB253_444:                            ;   in Loop: Header=BB253_295 Depth=1
	s_or_b32 exec_lo, exec_lo, s21
	v_lshrrev_b32_e32 v1, 16, v9
	v_mov_b32_e32 v48, 0
	v_mov_b32_e32 v49, 0
	v_cmp_ne_u16_sdwa s0, v1, v2 src0_sel:BYTE_0 src1_sel:DWORD
	s_and_saveexec_b32 s21, s0
	s_cbranch_execz .LBB253_452
; %bb.445:                              ;   in Loop: Header=BB253_295 Depth=1
	v_cmp_ne_u16_sdwa s0, v1, v15 src0_sel:BYTE_0 src1_sel:DWORD
	v_mov_b32_e32 v49, 0x8000
	s_and_saveexec_b32 s22, s0
	s_cbranch_execz .LBB253_451
; %bb.446:                              ;   in Loop: Header=BB253_295 Depth=1
	v_bfe_u32 v51, v9, 16, 7
	v_mov_b32_e32 v49, 0x7c01
	s_mov_b32 s26, exec_lo
	v_cmpx_ne_u32_e32 0x7f, v51
	s_cbranch_execz .LBB253_450
; %bb.447:                              ;   in Loop: Header=BB253_295 Depth=1
	v_and_b32_e32 v49, 7, v1
	v_lshrrev_b32_e32 v50, 3, v51
	s_mov_b32 s27, exec_lo
	v_cmpx_gt_u32_e32 8, v51
; %bb.448:                              ;   in Loop: Header=BB253_295 Depth=1
	v_ffbh_u32_e32 v49, v49
	v_min_u32_e32 v51, 32, v49
	v_subrev_nc_u32_e32 v49, 28, v51
	v_lshlrev_b64 v[49:50], v49, v[1:2]
	v_sub_nc_u32_e32 v50, 29, v51
	v_and_b32_e32 v49, 7, v49
; %bb.449:                              ;   in Loop: Header=BB253_295 Depth=1
	s_or_b32 exec_lo, exec_lo, s27
	v_lshlrev_b32_e32 v1, 8, v1
	v_lshl_add_u32 v50, v50, 10, 0x2000
	v_lshlrev_b32_e32 v49, 7, v49
	v_and_b32_e32 v1, 0x8000, v1
	v_and_b32_e32 v50, 0xfc00, v50
	v_or3_b32 v49, v1, v50, v49
.LBB253_450:                            ;   in Loop: Header=BB253_295 Depth=1
	s_or_b32 exec_lo, exec_lo, s26
.LBB253_451:                            ;   in Loop: Header=BB253_295 Depth=1
	s_or_b32 exec_lo, exec_lo, s22
.LBB253_452:                            ;   in Loop: Header=BB253_295 Depth=1
	s_or_b32 exec_lo, exec_lo, s21
	s_mov_b32 s21, exec_lo
	v_cmpx_lt_u32_e32 0xffffff, v9
	s_cbranch_execz .LBB253_460
; %bb.453:                              ;   in Loop: Header=BB253_295 Depth=1
	v_lshrrev_b32_e32 v1, 24, v9
	v_bfrev_b32_e32 v48, 1
	s_mov_b32 s22, exec_lo
	v_cmpx_ne_u32_e32 0x80, v1
	s_cbranch_execz .LBB253_459
; %bb.454:                              ;   in Loop: Header=BB253_295 Depth=1
	v_and_b32_e32 v51, 0x7f, v1
	v_mov_b32_e32 v48, 0x7c010000
	s_mov_b32 s26, exec_lo
	v_cmpx_ne_u32_e32 0x7f, v51
	s_cbranch_execz .LBB253_458
; %bb.455:                              ;   in Loop: Header=BB253_295 Depth=1
	v_and_b32_e32 v48, 7, v1
	v_lshrrev_b32_e32 v50, 3, v51
	s_mov_b32 s27, exec_lo
	v_cmpx_gt_u32_e32 8, v51
; %bb.456:                              ;   in Loop: Header=BB253_295 Depth=1
	v_ffbh_u32_e32 v48, v48
	v_min_u32_e32 v48, 32, v48
	v_subrev_nc_u32_e32 v50, 28, v48
	v_lshlrev_b64 v[51:52], v50, v[1:2]
	v_sub_nc_u32_e32 v50, 29, v48
	v_and_b32_e32 v48, 7, v51
; %bb.457:                              ;   in Loop: Header=BB253_295 Depth=1
	s_or_b32 exec_lo, exec_lo, s27
	v_lshlrev_b32_e32 v1, 8, v1
	v_lshl_add_u32 v50, v50, 10, 0x2000
	v_lshlrev_b32_e32 v48, 23, v48
	v_and_or_b32 v1, 0x8000, v1, v50
	v_lshl_or_b32 v48, v1, 16, v48
.LBB253_458:                            ;   in Loop: Header=BB253_295 Depth=1
	s_or_b32 exec_lo, exec_lo, s26
.LBB253_459:                            ;   in Loop: Header=BB253_295 Depth=1
	s_or_b32 exec_lo, exec_lo, s22
.LBB253_460:                            ;   in Loop: Header=BB253_295 Depth=1
	s_or_b32 exec_lo, exec_lo, s21
	v_mov_b32_e32 v1, v10
	v_cmp_ne_u16_sdwa s0, v10, v2 src0_sel:BYTE_0 src1_sel:DWORD
	v_mov_b32_e32 v50, 0
	v_mov_b32_e32 v51, 0
	s_and_saveexec_b32 s21, s0
	s_cbranch_execz .LBB253_468
; %bb.461:                              ;   in Loop: Header=BB253_295 Depth=1
	v_cmp_ne_u16_sdwa s0, v10, v15 src0_sel:BYTE_0 src1_sel:DWORD
	v_mov_b32_e32 v51, 0x8000
	s_and_saveexec_b32 s22, s0
	s_cbranch_execz .LBB253_467
; %bb.462:                              ;   in Loop: Header=BB253_295 Depth=1
	v_and_b32_e32 v53, 0x7f, v10
	v_mov_b32_e32 v51, 0x7c01
	s_mov_b32 s26, exec_lo
	v_cmpx_ne_u32_e32 0x7f, v53
	s_cbranch_execz .LBB253_466
; %bb.463:                              ;   in Loop: Header=BB253_295 Depth=1
	v_and_b32_e32 v51, 7, v10
	v_lshrrev_b32_e32 v52, 3, v53
	s_mov_b32 s27, exec_lo
	v_cmpx_gt_u32_e32 8, v53
; %bb.464:                              ;   in Loop: Header=BB253_295 Depth=1
	v_ffbh_u32_e32 v51, v51
	v_min_u32_e32 v53, 32, v51
	v_subrev_nc_u32_e32 v51, 28, v53
	v_lshlrev_b64 v[51:52], v51, v[1:2]
	v_sub_nc_u32_e32 v52, 29, v53
	v_and_b32_e32 v51, 7, v51
; %bb.465:                              ;   in Loop: Header=BB253_295 Depth=1
	s_or_b32 exec_lo, exec_lo, s27
	v_lshlrev_b32_e32 v53, 8, v10
	v_lshl_add_u32 v52, v52, 10, 0x2000
	v_lshlrev_b32_e32 v51, 7, v51
	v_and_b32_e32 v53, 0x8000, v53
	v_and_b32_e32 v52, 0xfc00, v52
	v_or3_b32 v51, v53, v52, v51
.LBB253_466:                            ;   in Loop: Header=BB253_295 Depth=1
	s_or_b32 exec_lo, exec_lo, s26
.LBB253_467:                            ;   in Loop: Header=BB253_295 Depth=1
	s_or_b32 exec_lo, exec_lo, s22
.LBB253_468:                            ;   in Loop: Header=BB253_295 Depth=1
	s_or_b32 exec_lo, exec_lo, s21
	v_lshrrev_b16 v1, 8, v1
	v_mov_b32_e32 v52, 0
	s_mov_b32 s21, exec_lo
	v_cmpx_ne_u16_e32 0, v1
	s_cbranch_execz .LBB253_476
; %bb.469:                              ;   in Loop: Header=BB253_295 Depth=1
	v_bfrev_b32_e32 v52, 1
	s_mov_b32 s22, exec_lo
	v_cmpx_ne_u16_e32 0x80, v1
	s_cbranch_execz .LBB253_475
; %bb.470:                              ;   in Loop: Header=BB253_295 Depth=1
	v_and_b32_sdwa v54, v1, v23 dst_sel:DWORD dst_unused:UNUSED_PAD src0_sel:WORD_0 src1_sel:DWORD
	v_mov_b32_e32 v52, 0x7c010000
	s_mov_b32 s26, exec_lo
	v_cmpx_ne_u32_e32 0x7f, v54
	s_cbranch_execz .LBB253_474
; %bb.471:                              ;   in Loop: Header=BB253_295 Depth=1
	v_and_b32_sdwa v52, v1, v24 dst_sel:DWORD dst_unused:UNUSED_PAD src0_sel:WORD_0 src1_sel:DWORD
	v_lshrrev_b32_e32 v53, 3, v54
	s_mov_b32 s27, exec_lo
	v_cmpx_gt_u32_e32 8, v54
; %bb.472:                              ;   in Loop: Header=BB253_295 Depth=1
	v_ffbh_u32_e32 v52, v52
	v_min_u32_e32 v54, 32, v52
	v_subrev_nc_u32_e32 v52, 28, v54
	v_lshlrev_b64 v[52:53], v52, v[1:2]
	v_sub_nc_u32_e32 v53, 29, v54
	v_and_b32_e32 v52, 7, v52
; %bb.473:                              ;   in Loop: Header=BB253_295 Depth=1
	s_or_b32 exec_lo, exec_lo, s27
	v_lshlrev_b32_sdwa v1, v25, v1 dst_sel:DWORD dst_unused:UNUSED_PAD src0_sel:DWORD src1_sel:WORD_0
	v_lshl_add_u32 v53, v53, 10, 0x2000
	v_lshlrev_b32_e32 v52, 23, v52
	v_and_or_b32 v1, 0x8000, v1, v53
	v_lshl_or_b32 v52, v1, 16, v52
.LBB253_474:                            ;   in Loop: Header=BB253_295 Depth=1
	s_or_b32 exec_lo, exec_lo, s26
.LBB253_475:                            ;   in Loop: Header=BB253_295 Depth=1
	s_or_b32 exec_lo, exec_lo, s22
.LBB253_476:                            ;   in Loop: Header=BB253_295 Depth=1
	s_or_b32 exec_lo, exec_lo, s21
	v_lshrrev_b32_e32 v1, 16, v10
	v_cmp_ne_u16_sdwa s0, v1, v2 src0_sel:BYTE_0 src1_sel:DWORD
	s_and_saveexec_b32 s21, s0
	s_cbranch_execz .LBB253_484
; %bb.477:                              ;   in Loop: Header=BB253_295 Depth=1
	v_cmp_ne_u16_sdwa s0, v1, v15 src0_sel:BYTE_0 src1_sel:DWORD
	v_mov_b32_e32 v50, 0x8000
	s_and_saveexec_b32 s22, s0
	s_cbranch_execz .LBB253_483
; %bb.478:                              ;   in Loop: Header=BB253_295 Depth=1
	v_bfe_u32 v54, v10, 16, 7
	v_mov_b32_e32 v50, 0x7c01
	s_mov_b32 s26, exec_lo
	v_cmpx_ne_u32_e32 0x7f, v54
	s_cbranch_execz .LBB253_482
; %bb.479:                              ;   in Loop: Header=BB253_295 Depth=1
	v_and_b32_e32 v50, 7, v1
	v_lshrrev_b32_e32 v53, 3, v54
	s_mov_b32 s27, exec_lo
	v_cmpx_gt_u32_e32 8, v54
; %bb.480:                              ;   in Loop: Header=BB253_295 Depth=1
	v_ffbh_u32_e32 v50, v50
	v_min_u32_e32 v50, 32, v50
	v_subrev_nc_u32_e32 v53, 28, v50
	v_lshlrev_b64 v[54:55], v53, v[1:2]
	v_sub_nc_u32_e32 v53, 29, v50
	v_and_b32_e32 v50, 7, v54
; %bb.481:                              ;   in Loop: Header=BB253_295 Depth=1
	s_or_b32 exec_lo, exec_lo, s27
	v_lshlrev_b32_e32 v1, 8, v1
	v_lshl_add_u32 v53, v53, 10, 0x2000
	v_lshlrev_b32_e32 v50, 7, v50
	v_and_b32_e32 v1, 0x8000, v1
	v_and_b32_e32 v53, 0xfc00, v53
	v_or3_b32 v50, v1, v53, v50
.LBB253_482:                            ;   in Loop: Header=BB253_295 Depth=1
	s_or_b32 exec_lo, exec_lo, s26
.LBB253_483:                            ;   in Loop: Header=BB253_295 Depth=1
	s_or_b32 exec_lo, exec_lo, s22
.LBB253_484:                            ;   in Loop: Header=BB253_295 Depth=1
	s_or_b32 exec_lo, exec_lo, s21
	v_cmp_lt_u64_e64 s0, s[2:3], v[9:10]
	v_mov_b32_e32 v9, 0
	s_and_saveexec_b32 s21, s0
	s_cbranch_execz .LBB253_492
; %bb.485:                              ;   in Loop: Header=BB253_295 Depth=1
	v_lshrrev_b32_e32 v1, 24, v10
	v_bfrev_b32_e32 v9, 1
	s_mov_b32 s22, exec_lo
	v_cmpx_ne_u32_e32 0x80, v1
	s_cbranch_execz .LBB253_491
; %bb.486:                              ;   in Loop: Header=BB253_295 Depth=1
	v_and_b32_e32 v53, 0x7f, v1
	v_mov_b32_e32 v9, 0x7c010000
	s_mov_b32 s26, exec_lo
	v_cmpx_ne_u32_e32 0x7f, v53
	s_cbranch_execz .LBB253_490
; %bb.487:                              ;   in Loop: Header=BB253_295 Depth=1
	v_and_b32_e32 v9, 7, v1
	v_lshrrev_b32_e32 v10, 3, v53
	s_mov_b32 s27, exec_lo
	v_cmpx_gt_u32_e32 8, v53
; %bb.488:                              ;   in Loop: Header=BB253_295 Depth=1
	v_ffbh_u32_e32 v9, v9
	v_min_u32_e32 v53, 32, v9
	v_subrev_nc_u32_e32 v9, 28, v53
	v_lshlrev_b64 v[9:10], v9, v[1:2]
	v_sub_nc_u32_e32 v10, 29, v53
	v_and_b32_e32 v9, 7, v9
; %bb.489:                              ;   in Loop: Header=BB253_295 Depth=1
	s_or_b32 exec_lo, exec_lo, s27
	v_lshlrev_b32_e32 v1, 8, v1
	v_lshl_add_u32 v10, v10, 10, 0x2000
	v_lshlrev_b32_e32 v9, 23, v9
	v_and_or_b32 v1, 0x8000, v1, v10
	v_lshl_or_b32 v9, v1, 16, v9
.LBB253_490:                            ;   in Loop: Header=BB253_295 Depth=1
	s_or_b32 exec_lo, exec_lo, s26
.LBB253_491:                            ;   in Loop: Header=BB253_295 Depth=1
	s_or_b32 exec_lo, exec_lo, s22
.LBB253_492:                            ;   in Loop: Header=BB253_295 Depth=1
	s_or_b32 exec_lo, exec_lo, s21
	v_or_b32_e32 v1, v48, v49
	s_waitcnt vmcnt(0)
	v_fma_mixlo_f16 v10, v45, v48, 0 op_sel:[0,1,0] op_sel_hi:[0,1,0]
	v_or_b32_e32 v48, v46, v47
	v_fma_mixlo_f16 v46, v45, v46, 0 op_sel:[0,1,0] op_sel_hi:[0,1,0]
	v_or_b32_e32 v49, v52, v51
	v_or_b32_e32 v50, v9, v50
	v_fma_mixlo_f16 v51, v45, v1, 0 op_sel_hi:[0,1,0]
	v_fma_mixlo_f16 v9, v45, v9, 0 op_sel:[0,1,0] op_sel_hi:[0,1,0]
	v_lshlrev_b32_e32 v47, 16, v46
	v_fma_mixlo_f16 v46, v45, v48, 0 op_sel_hi:[0,1,0]
	v_fma_mixlo_f16 v48, v45, v52, 0 op_sel:[0,1,0] op_sel_hi:[0,1,0]
	v_fma_mixlo_f16 v49, v45, v49, 0 op_sel_hi:[0,1,0]
	v_fma_mixlo_f16 v50, v45, v50, 0 op_sel_hi:[0,1,0]
	v_lshlrev_b32_e32 v1, 16, v10
	v_and_b32_e32 v10, 0xffff, v51
	v_and_b32_e32 v53, 0xffff, v46
	v_lshlrev_b32_e32 v45, 16, v48
	v_and_b32_e32 v49, 0xffff, v49
	v_lshlrev_b32_e32 v9, 16, v9
	v_and_b32_e32 v46, 0xffff, v50
	v_or_b32_e32 v48, v1, v10
	v_or_b32_e32 v52, v47, v53
	;; [unrolled: 1-line block ×4, first 2 shown]
	s_and_saveexec_b32 s21, vcc_lo
	s_cbranch_execz .LBB253_494
; %bb.493:                              ;   in Loop: Header=BB253_295 Depth=1
	v_cmp_gt_i32_e64 s0, s33, v29
	v_cndmask_b32_e64 v48, 0, v53, s0
	v_cmp_gt_i32_e64 s0, s33, v36
	v_cndmask_b32_e64 v47, 0, v47, s0
	v_cmp_gt_i32_e64 s0, s33, v35
	v_or_b32_e32 v52, v47, v48
	v_cndmask_b32_e64 v10, 0, v10, s0
	v_cmp_gt_i32_e64 s0, s33, v34
	v_cndmask_b32_e64 v1, 0, v1, s0
	v_cmp_gt_i32_e64 s0, s33, v33
	v_or_b32_e32 v48, v1, v10
	;; [unrolled: 5-line block ×3, first 2 shown]
	v_cndmask_b32_e64 v46, 0, v46, s0
	v_cmp_gt_i32_e64 s0, s33, v30
	v_cndmask_b32_e64 v9, 0, v9, s0
	v_or_b32_e32 v50, v9, v46
.LBB253_494:                            ;   in Loop: Header=BB253_295 Depth=1
	s_or_b32 exec_lo, exec_lo, s21
	;;#ASMSTART
	v_pk_mul_f16 v1, v42, v52;

	;;#ASMEND
	;;#ASMSTART
	v_pk_mul_f16 v9, v41, v48;

	;;#ASMEND
	;; [unrolled: 4-line block ×4, first 2 shown]
	;;#ASMSTART
	v_pk_add_f16 v1, v1, v9;

	;;#ASMEND
	;;#ASMSTART
	v_pk_add_f16 v1, v1, v10;

	;;#ASMEND
	;; [unrolled: 4-line block ×3, first 2 shown]
	v_and_b32_e32 v9, 0xffff, v1
	v_lshrrev_b32_e32 v1, 16, v1
	;;#ASMSTART
	v_cvt_f32_f16 v9, v9;
	;;#ASMEND
	;;#ASMSTART
	v_cvt_f32_f16 v10, v1;
	;;#ASMEND
	global_load_dwordx2 v[7:8], v[7:8], off offset:768
	v_mov_b32_e32 v46, 0
	v_mov_b32_e32 v47, 0
	global_load_dword v45, v46, s[14:15]
	s_waitcnt vmcnt(1)
	v_cmp_ne_u16_sdwa s0, v7, v2 src0_sel:BYTE_0 src1_sel:DWORD
	s_and_saveexec_b32 s21, s0
	s_cbranch_execz .LBB253_502
; %bb.495:                              ;   in Loop: Header=BB253_295 Depth=1
	v_cmp_ne_u16_sdwa s0, v7, v15 src0_sel:BYTE_0 src1_sel:DWORD
	v_mov_b32_e32 v47, 0x8000
	s_and_saveexec_b32 s22, s0
	s_cbranch_execz .LBB253_501
; %bb.496:                              ;   in Loop: Header=BB253_295 Depth=1
	v_and_b32_e32 v48, 0x7f, v7
	v_mov_b32_e32 v47, 0x7c01
	s_mov_b32 s26, exec_lo
	v_cmpx_ne_u32_e32 0x7f, v48
	s_cbranch_execz .LBB253_500
; %bb.497:                              ;   in Loop: Header=BB253_295 Depth=1
	v_and_b32_e32 v1, 7, v7
	v_lshrrev_b32_e32 v47, 3, v48
	s_mov_b32 s27, exec_lo
	v_cmpx_gt_u32_e32 8, v48
; %bb.498:                              ;   in Loop: Header=BB253_295 Depth=1
	v_ffbh_u32_e32 v1, v1
	v_min_u32_e32 v1, 32, v1
	v_subrev_nc_u32_e32 v47, 28, v1
	v_lshlrev_b64 v[48:49], v47, v[7:8]
	v_sub_nc_u32_e32 v47, 29, v1
	v_and_b32_e32 v1, 7, v48
; %bb.499:                              ;   in Loop: Header=BB253_295 Depth=1
	s_or_b32 exec_lo, exec_lo, s27
	v_lshlrev_b32_e32 v48, 8, v7
	v_lshl_add_u32 v47, v47, 10, 0x2000
	v_lshlrev_b32_e32 v1, 7, v1
	v_and_b32_e32 v48, 0x8000, v48
	v_and_b32_e32 v47, 0xfc00, v47
	v_or3_b32 v47, v48, v47, v1
.LBB253_500:                            ;   in Loop: Header=BB253_295 Depth=1
	s_or_b32 exec_lo, exec_lo, s26
.LBB253_501:                            ;   in Loop: Header=BB253_295 Depth=1
	s_or_b32 exec_lo, exec_lo, s22
.LBB253_502:                            ;   in Loop: Header=BB253_295 Depth=1
	s_or_b32 exec_lo, exec_lo, s21
	v_lshrrev_b16 v1, 8, v7
	s_mov_b32 s21, exec_lo
	v_cmpx_ne_u16_e32 0, v1
	s_cbranch_execz .LBB253_510
; %bb.503:                              ;   in Loop: Header=BB253_295 Depth=1
	v_bfrev_b32_e32 v46, 1
	s_mov_b32 s22, exec_lo
	v_cmpx_ne_u16_e32 0x80, v1
	s_cbranch_execz .LBB253_509
; %bb.504:                              ;   in Loop: Header=BB253_295 Depth=1
	v_and_b32_sdwa v49, v1, v23 dst_sel:DWORD dst_unused:UNUSED_PAD src0_sel:WORD_0 src1_sel:DWORD
	v_mov_b32_e32 v46, 0x7c010000
	s_mov_b32 s26, exec_lo
	v_cmpx_ne_u32_e32 0x7f, v49
	s_cbranch_execz .LBB253_508
; %bb.505:                              ;   in Loop: Header=BB253_295 Depth=1
	v_and_b32_sdwa v46, v1, v24 dst_sel:DWORD dst_unused:UNUSED_PAD src0_sel:WORD_0 src1_sel:DWORD
	v_lshrrev_b32_e32 v48, 3, v49
	s_mov_b32 s27, exec_lo
	v_cmpx_gt_u32_e32 8, v49
; %bb.506:                              ;   in Loop: Header=BB253_295 Depth=1
	v_ffbh_u32_e32 v46, v46
	v_min_u32_e32 v46, 32, v46
	v_subrev_nc_u32_e32 v48, 28, v46
	v_lshlrev_b64 v[49:50], v48, v[1:2]
	v_sub_nc_u32_e32 v48, 29, v46
	v_and_b32_e32 v46, 7, v49
; %bb.507:                              ;   in Loop: Header=BB253_295 Depth=1
	s_or_b32 exec_lo, exec_lo, s27
	v_lshlrev_b32_sdwa v1, v25, v1 dst_sel:DWORD dst_unused:UNUSED_PAD src0_sel:DWORD src1_sel:WORD_0
	v_lshl_add_u32 v48, v48, 10, 0x2000
	v_lshlrev_b32_e32 v46, 23, v46
	v_and_or_b32 v1, 0x8000, v1, v48
	v_lshl_or_b32 v46, v1, 16, v46
.LBB253_508:                            ;   in Loop: Header=BB253_295 Depth=1
	s_or_b32 exec_lo, exec_lo, s26
.LBB253_509:                            ;   in Loop: Header=BB253_295 Depth=1
	s_or_b32 exec_lo, exec_lo, s22
.LBB253_510:                            ;   in Loop: Header=BB253_295 Depth=1
	s_or_b32 exec_lo, exec_lo, s21
	v_lshrrev_b32_e32 v1, 16, v7
	v_mov_b32_e32 v48, 0
	v_mov_b32_e32 v49, 0
	v_cmp_ne_u16_sdwa s0, v1, v2 src0_sel:BYTE_0 src1_sel:DWORD
	s_and_saveexec_b32 s21, s0
	s_cbranch_execz .LBB253_518
; %bb.511:                              ;   in Loop: Header=BB253_295 Depth=1
	v_cmp_ne_u16_sdwa s0, v1, v15 src0_sel:BYTE_0 src1_sel:DWORD
	v_mov_b32_e32 v49, 0x8000
	s_and_saveexec_b32 s22, s0
	s_cbranch_execz .LBB253_517
; %bb.512:                              ;   in Loop: Header=BB253_295 Depth=1
	v_bfe_u32 v51, v7, 16, 7
	v_mov_b32_e32 v49, 0x7c01
	s_mov_b32 s26, exec_lo
	v_cmpx_ne_u32_e32 0x7f, v51
	s_cbranch_execz .LBB253_516
; %bb.513:                              ;   in Loop: Header=BB253_295 Depth=1
	v_and_b32_e32 v49, 7, v1
	v_lshrrev_b32_e32 v50, 3, v51
	s_mov_b32 s27, exec_lo
	v_cmpx_gt_u32_e32 8, v51
; %bb.514:                              ;   in Loop: Header=BB253_295 Depth=1
	v_ffbh_u32_e32 v49, v49
	v_min_u32_e32 v51, 32, v49
	v_subrev_nc_u32_e32 v49, 28, v51
	v_lshlrev_b64 v[49:50], v49, v[1:2]
	v_sub_nc_u32_e32 v50, 29, v51
	v_and_b32_e32 v49, 7, v49
; %bb.515:                              ;   in Loop: Header=BB253_295 Depth=1
	s_or_b32 exec_lo, exec_lo, s27
	v_lshlrev_b32_e32 v1, 8, v1
	v_lshl_add_u32 v50, v50, 10, 0x2000
	v_lshlrev_b32_e32 v49, 7, v49
	v_and_b32_e32 v1, 0x8000, v1
	v_and_b32_e32 v50, 0xfc00, v50
	v_or3_b32 v49, v1, v50, v49
.LBB253_516:                            ;   in Loop: Header=BB253_295 Depth=1
	s_or_b32 exec_lo, exec_lo, s26
.LBB253_517:                            ;   in Loop: Header=BB253_295 Depth=1
	s_or_b32 exec_lo, exec_lo, s22
.LBB253_518:                            ;   in Loop: Header=BB253_295 Depth=1
	s_or_b32 exec_lo, exec_lo, s21
	s_mov_b32 s21, exec_lo
	v_cmpx_lt_u32_e32 0xffffff, v7
	s_cbranch_execz .LBB253_526
; %bb.519:                              ;   in Loop: Header=BB253_295 Depth=1
	v_lshrrev_b32_e32 v1, 24, v7
	v_bfrev_b32_e32 v48, 1
	s_mov_b32 s22, exec_lo
	v_cmpx_ne_u32_e32 0x80, v1
	s_cbranch_execz .LBB253_525
; %bb.520:                              ;   in Loop: Header=BB253_295 Depth=1
	v_and_b32_e32 v51, 0x7f, v1
	v_mov_b32_e32 v48, 0x7c010000
	s_mov_b32 s26, exec_lo
	v_cmpx_ne_u32_e32 0x7f, v51
	s_cbranch_execz .LBB253_524
; %bb.521:                              ;   in Loop: Header=BB253_295 Depth=1
	v_and_b32_e32 v48, 7, v1
	v_lshrrev_b32_e32 v50, 3, v51
	s_mov_b32 s27, exec_lo
	v_cmpx_gt_u32_e32 8, v51
; %bb.522:                              ;   in Loop: Header=BB253_295 Depth=1
	v_ffbh_u32_e32 v48, v48
	v_min_u32_e32 v48, 32, v48
	v_subrev_nc_u32_e32 v50, 28, v48
	v_lshlrev_b64 v[51:52], v50, v[1:2]
	v_sub_nc_u32_e32 v50, 29, v48
	v_and_b32_e32 v48, 7, v51
; %bb.523:                              ;   in Loop: Header=BB253_295 Depth=1
	s_or_b32 exec_lo, exec_lo, s27
	v_lshlrev_b32_e32 v1, 8, v1
	v_lshl_add_u32 v50, v50, 10, 0x2000
	v_lshlrev_b32_e32 v48, 23, v48
	v_and_or_b32 v1, 0x8000, v1, v50
	v_lshl_or_b32 v48, v1, 16, v48
.LBB253_524:                            ;   in Loop: Header=BB253_295 Depth=1
	s_or_b32 exec_lo, exec_lo, s26
.LBB253_525:                            ;   in Loop: Header=BB253_295 Depth=1
	s_or_b32 exec_lo, exec_lo, s22
.LBB253_526:                            ;   in Loop: Header=BB253_295 Depth=1
	s_or_b32 exec_lo, exec_lo, s21
	v_mov_b32_e32 v1, v8
	v_cmp_ne_u16_sdwa s0, v8, v2 src0_sel:BYTE_0 src1_sel:DWORD
	v_mov_b32_e32 v50, 0
	v_mov_b32_e32 v51, 0
	s_and_saveexec_b32 s21, s0
	s_cbranch_execz .LBB253_534
; %bb.527:                              ;   in Loop: Header=BB253_295 Depth=1
	v_cmp_ne_u16_sdwa s0, v8, v15 src0_sel:BYTE_0 src1_sel:DWORD
	v_mov_b32_e32 v51, 0x8000
	s_and_saveexec_b32 s22, s0
	s_cbranch_execz .LBB253_533
; %bb.528:                              ;   in Loop: Header=BB253_295 Depth=1
	v_and_b32_e32 v53, 0x7f, v8
	v_mov_b32_e32 v51, 0x7c01
	s_mov_b32 s26, exec_lo
	v_cmpx_ne_u32_e32 0x7f, v53
	s_cbranch_execz .LBB253_532
; %bb.529:                              ;   in Loop: Header=BB253_295 Depth=1
	v_and_b32_e32 v51, 7, v8
	v_lshrrev_b32_e32 v52, 3, v53
	s_mov_b32 s27, exec_lo
	v_cmpx_gt_u32_e32 8, v53
; %bb.530:                              ;   in Loop: Header=BB253_295 Depth=1
	v_ffbh_u32_e32 v51, v51
	v_min_u32_e32 v53, 32, v51
	v_subrev_nc_u32_e32 v51, 28, v53
	v_lshlrev_b64 v[51:52], v51, v[1:2]
	v_sub_nc_u32_e32 v52, 29, v53
	v_and_b32_e32 v51, 7, v51
; %bb.531:                              ;   in Loop: Header=BB253_295 Depth=1
	s_or_b32 exec_lo, exec_lo, s27
	v_lshlrev_b32_e32 v53, 8, v8
	v_lshl_add_u32 v52, v52, 10, 0x2000
	v_lshlrev_b32_e32 v51, 7, v51
	v_and_b32_e32 v53, 0x8000, v53
	v_and_b32_e32 v52, 0xfc00, v52
	v_or3_b32 v51, v53, v52, v51
.LBB253_532:                            ;   in Loop: Header=BB253_295 Depth=1
	s_or_b32 exec_lo, exec_lo, s26
.LBB253_533:                            ;   in Loop: Header=BB253_295 Depth=1
	s_or_b32 exec_lo, exec_lo, s22
.LBB253_534:                            ;   in Loop: Header=BB253_295 Depth=1
	s_or_b32 exec_lo, exec_lo, s21
	v_lshrrev_b16 v1, 8, v1
	v_mov_b32_e32 v52, 0
	s_mov_b32 s21, exec_lo
	v_cmpx_ne_u16_e32 0, v1
	s_cbranch_execz .LBB253_542
; %bb.535:                              ;   in Loop: Header=BB253_295 Depth=1
	v_bfrev_b32_e32 v52, 1
	s_mov_b32 s22, exec_lo
	v_cmpx_ne_u16_e32 0x80, v1
	s_cbranch_execz .LBB253_541
; %bb.536:                              ;   in Loop: Header=BB253_295 Depth=1
	v_and_b32_sdwa v54, v1, v23 dst_sel:DWORD dst_unused:UNUSED_PAD src0_sel:WORD_0 src1_sel:DWORD
	v_mov_b32_e32 v52, 0x7c010000
	s_mov_b32 s26, exec_lo
	v_cmpx_ne_u32_e32 0x7f, v54
	s_cbranch_execz .LBB253_540
; %bb.537:                              ;   in Loop: Header=BB253_295 Depth=1
	v_and_b32_sdwa v52, v1, v24 dst_sel:DWORD dst_unused:UNUSED_PAD src0_sel:WORD_0 src1_sel:DWORD
	v_lshrrev_b32_e32 v53, 3, v54
	s_mov_b32 s27, exec_lo
	v_cmpx_gt_u32_e32 8, v54
; %bb.538:                              ;   in Loop: Header=BB253_295 Depth=1
	v_ffbh_u32_e32 v52, v52
	v_min_u32_e32 v54, 32, v52
	v_subrev_nc_u32_e32 v52, 28, v54
	v_lshlrev_b64 v[52:53], v52, v[1:2]
	v_sub_nc_u32_e32 v53, 29, v54
	v_and_b32_e32 v52, 7, v52
; %bb.539:                              ;   in Loop: Header=BB253_295 Depth=1
	s_or_b32 exec_lo, exec_lo, s27
	v_lshlrev_b32_sdwa v1, v25, v1 dst_sel:DWORD dst_unused:UNUSED_PAD src0_sel:DWORD src1_sel:WORD_0
	v_lshl_add_u32 v53, v53, 10, 0x2000
	v_lshlrev_b32_e32 v52, 23, v52
	v_and_or_b32 v1, 0x8000, v1, v53
	v_lshl_or_b32 v52, v1, 16, v52
.LBB253_540:                            ;   in Loop: Header=BB253_295 Depth=1
	s_or_b32 exec_lo, exec_lo, s26
.LBB253_541:                            ;   in Loop: Header=BB253_295 Depth=1
	s_or_b32 exec_lo, exec_lo, s22
.LBB253_542:                            ;   in Loop: Header=BB253_295 Depth=1
	s_or_b32 exec_lo, exec_lo, s21
	v_lshrrev_b32_e32 v1, 16, v8
	v_cmp_ne_u16_sdwa s0, v1, v2 src0_sel:BYTE_0 src1_sel:DWORD
	s_and_saveexec_b32 s21, s0
	s_cbranch_execz .LBB253_550
; %bb.543:                              ;   in Loop: Header=BB253_295 Depth=1
	v_cmp_ne_u16_sdwa s0, v1, v15 src0_sel:BYTE_0 src1_sel:DWORD
	v_mov_b32_e32 v50, 0x8000
	s_and_saveexec_b32 s22, s0
	s_cbranch_execz .LBB253_549
; %bb.544:                              ;   in Loop: Header=BB253_295 Depth=1
	v_bfe_u32 v54, v8, 16, 7
	v_mov_b32_e32 v50, 0x7c01
	s_mov_b32 s26, exec_lo
	v_cmpx_ne_u32_e32 0x7f, v54
	s_cbranch_execz .LBB253_548
; %bb.545:                              ;   in Loop: Header=BB253_295 Depth=1
	v_and_b32_e32 v50, 7, v1
	v_lshrrev_b32_e32 v53, 3, v54
	s_mov_b32 s27, exec_lo
	v_cmpx_gt_u32_e32 8, v54
; %bb.546:                              ;   in Loop: Header=BB253_295 Depth=1
	v_ffbh_u32_e32 v50, v50
	v_min_u32_e32 v50, 32, v50
	v_subrev_nc_u32_e32 v53, 28, v50
	v_lshlrev_b64 v[54:55], v53, v[1:2]
	v_sub_nc_u32_e32 v53, 29, v50
	v_and_b32_e32 v50, 7, v54
; %bb.547:                              ;   in Loop: Header=BB253_295 Depth=1
	s_or_b32 exec_lo, exec_lo, s27
	v_lshlrev_b32_e32 v1, 8, v1
	v_lshl_add_u32 v53, v53, 10, 0x2000
	v_lshlrev_b32_e32 v50, 7, v50
	v_and_b32_e32 v1, 0x8000, v1
	v_and_b32_e32 v53, 0xfc00, v53
	v_or3_b32 v50, v1, v53, v50
.LBB253_548:                            ;   in Loop: Header=BB253_295 Depth=1
	s_or_b32 exec_lo, exec_lo, s26
.LBB253_549:                            ;   in Loop: Header=BB253_295 Depth=1
	s_or_b32 exec_lo, exec_lo, s22
.LBB253_550:                            ;   in Loop: Header=BB253_295 Depth=1
	s_or_b32 exec_lo, exec_lo, s21
	v_cmp_lt_u64_e64 s0, s[2:3], v[7:8]
	v_mov_b32_e32 v7, 0
	s_and_saveexec_b32 s21, s0
	s_cbranch_execz .LBB253_558
; %bb.551:                              ;   in Loop: Header=BB253_295 Depth=1
	v_lshrrev_b32_e32 v1, 24, v8
	v_bfrev_b32_e32 v7, 1
	s_mov_b32 s22, exec_lo
	v_cmpx_ne_u32_e32 0x80, v1
	s_cbranch_execz .LBB253_557
; %bb.552:                              ;   in Loop: Header=BB253_295 Depth=1
	v_and_b32_e32 v53, 0x7f, v1
	v_mov_b32_e32 v7, 0x7c010000
	s_mov_b32 s26, exec_lo
	v_cmpx_ne_u32_e32 0x7f, v53
	s_cbranch_execz .LBB253_556
; %bb.553:                              ;   in Loop: Header=BB253_295 Depth=1
	v_and_b32_e32 v7, 7, v1
	v_lshrrev_b32_e32 v8, 3, v53
	s_mov_b32 s27, exec_lo
	v_cmpx_gt_u32_e32 8, v53
; %bb.554:                              ;   in Loop: Header=BB253_295 Depth=1
	v_ffbh_u32_e32 v7, v7
	v_min_u32_e32 v53, 32, v7
	v_subrev_nc_u32_e32 v7, 28, v53
	v_lshlrev_b64 v[7:8], v7, v[1:2]
	v_sub_nc_u32_e32 v8, 29, v53
	v_and_b32_e32 v7, 7, v7
; %bb.555:                              ;   in Loop: Header=BB253_295 Depth=1
	s_or_b32 exec_lo, exec_lo, s27
	v_lshlrev_b32_e32 v1, 8, v1
	v_lshl_add_u32 v8, v8, 10, 0x2000
	v_lshlrev_b32_e32 v7, 23, v7
	v_and_or_b32 v1, 0x8000, v1, v8
	v_lshl_or_b32 v7, v1, 16, v7
.LBB253_556:                            ;   in Loop: Header=BB253_295 Depth=1
	s_or_b32 exec_lo, exec_lo, s26
.LBB253_557:                            ;   in Loop: Header=BB253_295 Depth=1
	s_or_b32 exec_lo, exec_lo, s22
.LBB253_558:                            ;   in Loop: Header=BB253_295 Depth=1
	s_or_b32 exec_lo, exec_lo, s21
	v_or_b32_e32 v1, v48, v49
	s_waitcnt vmcnt(0)
	v_fma_mixlo_f16 v8, v45, v48, 0 op_sel:[0,1,0] op_sel_hi:[0,1,0]
	v_or_b32_e32 v47, v46, v47
	v_fma_mixlo_f16 v48, v45, v46, 0 op_sel:[0,1,0] op_sel_hi:[0,1,0]
	v_or_b32_e32 v49, v52, v51
	v_fma_mixlo_f16 v1, v45, v1, 0 op_sel_hi:[0,1,0]
	v_or_b32_e32 v50, v7, v50
	v_lshlrev_b32_e32 v46, 16, v8
	v_lshlrev_b32_e32 v51, 16, v48
	v_fma_mixlo_f16 v8, v45, v47, 0 op_sel_hi:[0,1,0]
	v_and_b32_e32 v48, 0xffff, v1
	v_fma_mixlo_f16 v1, v45, v52, 0 op_sel:[0,1,0] op_sel_hi:[0,1,0]
	v_fma_mixlo_f16 v47, v45, v49, 0 op_sel_hi:[0,1,0]
	v_fma_mixlo_f16 v7, v45, v7, 0 op_sel:[0,1,0] op_sel_hi:[0,1,0]
	v_fma_mixlo_f16 v50, v45, v50, 0 op_sel_hi:[0,1,0]
	v_and_b32_e32 v53, 0xffff, v8
	v_lshlrev_b32_e32 v49, 16, v1
	v_and_b32_e32 v52, 0xffff, v47
	v_lshlrev_b32_e32 v45, 16, v7
	v_and_b32_e32 v50, 0xffff, v50
	v_or_b32_e32 v8, v46, v48
	v_or_b32_e32 v47, v51, v53
	;; [unrolled: 1-line block ×4, first 2 shown]
	s_and_saveexec_b32 s0, vcc_lo
	s_cbranch_execz .LBB253_293
; %bb.559:                              ;   in Loop: Header=BB253_295 Depth=1
	v_cmp_gt_i32_e32 vcc_lo, s33, v29
	v_cndmask_b32_e32 v1, 0, v53, vcc_lo
	v_cmp_gt_i32_e32 vcc_lo, s33, v36
	v_cndmask_b32_e32 v7, 0, v51, vcc_lo
	v_cmp_gt_i32_e32 vcc_lo, s33, v35
	v_or_b32_e32 v47, v7, v1
	v_cndmask_b32_e32 v8, 0, v48, vcc_lo
	v_cmp_gt_i32_e32 vcc_lo, s33, v34
	v_cndmask_b32_e32 v29, 0, v46, vcc_lo
	v_cmp_gt_i32_e32 vcc_lo, s33, v33
	v_or_b32_e32 v8, v29, v8
	;; [unrolled: 5-line block ×3, first 2 shown]
	v_cndmask_b32_e32 v31, 0, v50, vcc_lo
	v_cmp_gt_i32_e32 vcc_lo, s33, v30
	v_cndmask_b32_e32 v30, 0, v45, vcc_lo
	v_or_b32_e32 v1, v30, v31
	s_branch .LBB253_293
.LBB253_560:
	s_or_b32 exec_lo, exec_lo, s17
.LBB253_561:
	s_or_b32 exec_lo, exec_lo, s1
	ds_bpermute_b32 v1, v17, v21
	ds_bpermute_b32 v2, v17, v20
	;; [unrolled: 1-line block ×4, first 2 shown]
	v_lshrrev_b32_e32 v5, 1, v16
	v_lshlrev_b32_e32 v7, 8, v13
	v_and_b32_e32 v10, 0x3c1, v0
	s_mov_b32 s0, exec_lo
	s_waitcnt lgkmcnt(0)
	v_lshl_add_u32 v6, v5, 2, 0xa0
	s_barrier
	buffer_gl0_inv
	v_add_f32_e32 v4, v21, v1
	v_add_f32_e32 v3, v20, v2
	v_add_f32_e32 v2, v19, v8
	v_add_f32_e32 v1, v18, v9
	v_cmpx_eq_u32_e32 64, v10
	s_cbranch_execz .LBB253_563
; %bb.562:
	v_add_nc_u32_e32 v8, v6, v7
	v_add_nc_u32_e32 v9, 0xfffffe00, v8
	;; [unrolled: 1-line block ×5, first 2 shown]
	ds_write_b32 v9, v4
	ds_write_b32 v10, v3
	;; [unrolled: 1-line block ×4, first 2 shown]
.LBB253_563:
	s_or_b32 exec_lo, exec_lo, s0
	v_lshlrev_b32_e32 v5, 2, v5
	s_mov_b32 s1, exec_lo
	v_cmp_eq_u32_e32 vcc_lo, 0, v12
	s_waitcnt lgkmcnt(0)
	s_barrier
	v_add3_u32 v5, 0xa0, v7, v5
	buffer_gl0_inv
	v_cmpx_gt_u32_e32 64, v0
	s_cbranch_execz .LBB253_570
; %bb.564:
	s_and_saveexec_b32 s0, vcc_lo
	s_cbranch_execnz .LBB253_582
; %bb.565:
	s_or_b32 exec_lo, exec_lo, s0
	s_and_saveexec_b32 s0, vcc_lo
	s_cbranch_execnz .LBB253_583
.LBB253_566:
	s_or_b32 exec_lo, exec_lo, s0
	s_and_saveexec_b32 s0, vcc_lo
	s_cbranch_execnz .LBB253_584
.LBB253_567:
	s_or_b32 exec_lo, exec_lo, s0
	s_and_saveexec_b32 s0, vcc_lo
	s_cbranch_execz .LBB253_569
.LBB253_568:
	ds_read_b32 v7, v5 offset:192
	s_waitcnt lgkmcnt(0)
	v_add_f32_e32 v1, v1, v7
.LBB253_569:
	s_or_b32 exec_lo, exec_lo, s0
.LBB253_570:
	s_or_b32 exec_lo, exec_lo, s1
	v_and_b32_e32 v7, 0x3e1, v0
	s_mov_b32 s1, exec_lo
	s_barrier
	buffer_gl0_inv
	v_cmpx_eq_u32_e32 32, v7
	s_cbranch_execz .LBB253_572
; %bb.571:
	ds_write2_b32 v6, v4, v3 offset1:16
	ds_write2_b32 v6, v2, v1 offset0:32 offset1:48
.LBB253_572:
	s_or_b32 exec_lo, exec_lo, s1
	s_mov_b32 s1, exec_lo
	s_waitcnt lgkmcnt(0)
	s_barrier
	buffer_gl0_inv
	v_cmpx_gt_u32_e32 32, v0
	s_cbranch_execz .LBB253_579
; %bb.573:
	s_and_saveexec_b32 s0, vcc_lo
	s_cbranch_execnz .LBB253_585
; %bb.574:
	s_or_b32 exec_lo, exec_lo, s0
	s_and_saveexec_b32 s0, vcc_lo
	s_cbranch_execnz .LBB253_586
.LBB253_575:
	s_or_b32 exec_lo, exec_lo, s0
	s_and_saveexec_b32 s0, vcc_lo
	s_cbranch_execnz .LBB253_587
.LBB253_576:
	s_or_b32 exec_lo, exec_lo, s0
	s_and_saveexec_b32 s0, vcc_lo
	s_cbranch_execz .LBB253_578
.LBB253_577:
	ds_read_b32 v0, v5 offset:192
	s_waitcnt lgkmcnt(0)
	v_add_f32_e32 v1, v1, v0
.LBB253_578:
	s_or_b32 exec_lo, exec_lo, s0
.LBB253_579:
	s_or_b32 exec_lo, exec_lo, s1
	s_barrier
	buffer_gl0_inv
	s_mov_b32 s0, exec_lo
	v_cmpx_eq_u32_e32 0, v7
	s_cbranch_execz .LBB253_581
; %bb.580:
	s_mul_i32 s0, s10, s11
	s_mul_i32 s2, s11, s24
	;; [unrolled: 1-line block ×3, first 2 shown]
	v_lshlrev_b32_e32 v0, 1, v11
	s_lshl_b32 s0, s0, 6
	;;#ASMSTART
	v_cvt_f16_f32 v4, v4;

	;;#ASMEND
	s_ashr_i32 s1, s0, 31
	s_lshl_b64 s[0:1], s[0:1], 1
	s_add_u32 s4, s6, s0
	s_addc_u32 s5, s7, s1
	s_ashr_i32 s3, s2, 31
	s_lshl_b64 s[0:1], s[2:3], 1
	s_add_u32 s2, s4, s0
	s_addc_u32 s3, s5, s1
	s_lshl_b32 s0, s8, 6
	s_ashr_i32 s1, s0, 31
	s_lshl_b64 s[0:1], s[0:1], 1
	s_add_u32 s0, s2, s0
	s_addc_u32 s1, s3, s1
	global_store_short v0, v4, s[0:1]
	;;#ASMSTART
	v_cvt_f16_f32 v3, v3;

	;;#ASMEND
	global_store_short v0, v3, s[0:1] offset:32
	;;#ASMSTART
	v_cvt_f16_f32 v2, v2;

	;;#ASMEND
	global_store_short v0, v2, s[0:1] offset:64
	;; [unrolled: 5-line block ×3, first 2 shown]
.LBB253_581:
	s_endpgm
.LBB253_582:
	ds_read_b32 v7, v5
	s_waitcnt lgkmcnt(0)
	v_add_f32_e32 v4, v4, v7
	s_or_b32 exec_lo, exec_lo, s0
	s_and_saveexec_b32 s0, vcc_lo
	s_cbranch_execz .LBB253_566
.LBB253_583:
	ds_read_b32 v7, v5 offset:64
	s_waitcnt lgkmcnt(0)
	v_add_f32_e32 v3, v3, v7
	s_or_b32 exec_lo, exec_lo, s0
	s_and_saveexec_b32 s0, vcc_lo
	s_cbranch_execz .LBB253_567
.LBB253_584:
	ds_read_b32 v7, v5 offset:128
	s_waitcnt lgkmcnt(0)
	v_add_f32_e32 v2, v2, v7
	s_or_b32 exec_lo, exec_lo, s0
	s_and_saveexec_b32 s0, vcc_lo
	s_cbranch_execnz .LBB253_568
	s_branch .LBB253_569
.LBB253_585:
	ds_read_b32 v0, v5
	s_waitcnt lgkmcnt(0)
	v_add_f32_e32 v4, v4, v0
	s_or_b32 exec_lo, exec_lo, s0
	s_and_saveexec_b32 s0, vcc_lo
	s_cbranch_execz .LBB253_575
.LBB253_586:
	ds_read_b32 v0, v5 offset:64
	s_waitcnt lgkmcnt(0)
	v_add_f32_e32 v3, v3, v0
	s_or_b32 exec_lo, exec_lo, s0
	s_and_saveexec_b32 s0, vcc_lo
	s_cbranch_execz .LBB253_576
.LBB253_587:
	ds_read_b32 v0, v5 offset:128
	s_waitcnt lgkmcnt(0)
	v_add_f32_e32 v2, v2, v0
	s_or_b32 exec_lo, exec_lo, s0
	s_and_saveexec_b32 s0, vcc_lo
	s_cbranch_execnz .LBB253_577
	s_branch .LBB253_578
	.section	.rodata,"a",@progbits
	.p2align	6, 0x0
	.amdhsa_kernel _ZN4vllm25paged_attention_v1_kernelIthLi64ELi16ELi128ELNS_18Fp8KVCacheDataTypeE1ELb1EEEvPT_PKS2_PKT0_S8_ifPKiSA_iPKfiiiSC_SC_iiiii
		.amdhsa_group_segment_fixed_size 160
		.amdhsa_private_segment_fixed_size 0
		.amdhsa_kernarg_size 384
		.amdhsa_user_sgpr_count 6
		.amdhsa_user_sgpr_private_segment_buffer 1
		.amdhsa_user_sgpr_dispatch_ptr 0
		.amdhsa_user_sgpr_queue_ptr 0
		.amdhsa_user_sgpr_kernarg_segment_ptr 1
		.amdhsa_user_sgpr_dispatch_id 0
		.amdhsa_user_sgpr_flat_scratch_init 0
		.amdhsa_user_sgpr_private_segment_size 0
		.amdhsa_wavefront_size32 1
		.amdhsa_uses_dynamic_stack 0
		.amdhsa_system_sgpr_private_segment_wavefront_offset 0
		.amdhsa_system_sgpr_workgroup_id_x 1
		.amdhsa_system_sgpr_workgroup_id_y 1
		.amdhsa_system_sgpr_workgroup_id_z 1
		.amdhsa_system_sgpr_workgroup_info 0
		.amdhsa_system_vgpr_workitem_id 0
		.amdhsa_next_free_vgpr 86
		.amdhsa_next_free_sgpr 44
		.amdhsa_reserve_vcc 1
		.amdhsa_reserve_flat_scratch 0
		.amdhsa_float_round_mode_32 0
		.amdhsa_float_round_mode_16_64 0
		.amdhsa_float_denorm_mode_32 3
		.amdhsa_float_denorm_mode_16_64 3
		.amdhsa_dx10_clamp 1
		.amdhsa_ieee_mode 1
		.amdhsa_fp16_overflow 0
		.amdhsa_workgroup_processor_mode 1
		.amdhsa_memory_ordered 1
		.amdhsa_forward_progress 1
		.amdhsa_shared_vgpr_count 0
		.amdhsa_exception_fp_ieee_invalid_op 0
		.amdhsa_exception_fp_denorm_src 0
		.amdhsa_exception_fp_ieee_div_zero 0
		.amdhsa_exception_fp_ieee_overflow 0
		.amdhsa_exception_fp_ieee_underflow 0
		.amdhsa_exception_fp_ieee_inexact 0
		.amdhsa_exception_int_div_zero 0
	.end_amdhsa_kernel
	.section	.text._ZN4vllm25paged_attention_v1_kernelIthLi64ELi16ELi128ELNS_18Fp8KVCacheDataTypeE1ELb1EEEvPT_PKS2_PKT0_S8_ifPKiSA_iPKfiiiSC_SC_iiiii,"axG",@progbits,_ZN4vllm25paged_attention_v1_kernelIthLi64ELi16ELi128ELNS_18Fp8KVCacheDataTypeE1ELb1EEEvPT_PKS2_PKT0_S8_ifPKiSA_iPKfiiiSC_SC_iiiii,comdat
.Lfunc_end253:
	.size	_ZN4vllm25paged_attention_v1_kernelIthLi64ELi16ELi128ELNS_18Fp8KVCacheDataTypeE1ELb1EEEvPT_PKS2_PKT0_S8_ifPKiSA_iPKfiiiSC_SC_iiiii, .Lfunc_end253-_ZN4vllm25paged_attention_v1_kernelIthLi64ELi16ELi128ELNS_18Fp8KVCacheDataTypeE1ELb1EEEvPT_PKS2_PKT0_S8_ifPKiSA_iPKfiiiSC_SC_iiiii
                                        ; -- End function
	.set _ZN4vllm25paged_attention_v1_kernelIthLi64ELi16ELi128ELNS_18Fp8KVCacheDataTypeE1ELb1EEEvPT_PKS2_PKT0_S8_ifPKiSA_iPKfiiiSC_SC_iiiii.num_vgpr, 86
	.set _ZN4vllm25paged_attention_v1_kernelIthLi64ELi16ELi128ELNS_18Fp8KVCacheDataTypeE1ELb1EEEvPT_PKS2_PKT0_S8_ifPKiSA_iPKfiiiSC_SC_iiiii.num_agpr, 0
	.set _ZN4vllm25paged_attention_v1_kernelIthLi64ELi16ELi128ELNS_18Fp8KVCacheDataTypeE1ELb1EEEvPT_PKS2_PKT0_S8_ifPKiSA_iPKfiiiSC_SC_iiiii.numbered_sgpr, 44
	.set _ZN4vllm25paged_attention_v1_kernelIthLi64ELi16ELi128ELNS_18Fp8KVCacheDataTypeE1ELb1EEEvPT_PKS2_PKT0_S8_ifPKiSA_iPKfiiiSC_SC_iiiii.num_named_barrier, 0
	.set _ZN4vllm25paged_attention_v1_kernelIthLi64ELi16ELi128ELNS_18Fp8KVCacheDataTypeE1ELb1EEEvPT_PKS2_PKT0_S8_ifPKiSA_iPKfiiiSC_SC_iiiii.private_seg_size, 0
	.set _ZN4vllm25paged_attention_v1_kernelIthLi64ELi16ELi128ELNS_18Fp8KVCacheDataTypeE1ELb1EEEvPT_PKS2_PKT0_S8_ifPKiSA_iPKfiiiSC_SC_iiiii.uses_vcc, 1
	.set _ZN4vllm25paged_attention_v1_kernelIthLi64ELi16ELi128ELNS_18Fp8KVCacheDataTypeE1ELb1EEEvPT_PKS2_PKT0_S8_ifPKiSA_iPKfiiiSC_SC_iiiii.uses_flat_scratch, 0
	.set _ZN4vllm25paged_attention_v1_kernelIthLi64ELi16ELi128ELNS_18Fp8KVCacheDataTypeE1ELb1EEEvPT_PKS2_PKT0_S8_ifPKiSA_iPKfiiiSC_SC_iiiii.has_dyn_sized_stack, 0
	.set _ZN4vllm25paged_attention_v1_kernelIthLi64ELi16ELi128ELNS_18Fp8KVCacheDataTypeE1ELb1EEEvPT_PKS2_PKT0_S8_ifPKiSA_iPKfiiiSC_SC_iiiii.has_recursion, 0
	.set _ZN4vllm25paged_attention_v1_kernelIthLi64ELi16ELi128ELNS_18Fp8KVCacheDataTypeE1ELb1EEEvPT_PKS2_PKT0_S8_ifPKiSA_iPKfiiiSC_SC_iiiii.has_indirect_call, 0
	.section	.AMDGPU.csdata,"",@progbits
; Kernel info:
; codeLenInByte = 19912
; TotalNumSgprs: 46
; NumVgprs: 86
; ScratchSize: 0
; MemoryBound: 0
; FloatMode: 240
; IeeeMode: 1
; LDSByteSize: 160 bytes/workgroup (compile time only)
; SGPRBlocks: 0
; VGPRBlocks: 10
; NumSGPRsForWavesPerEU: 46
; NumVGPRsForWavesPerEU: 86
; Occupancy: 10
; WaveLimiterHint : 1
; COMPUTE_PGM_RSRC2:SCRATCH_EN: 0
; COMPUTE_PGM_RSRC2:USER_SGPR: 6
; COMPUTE_PGM_RSRC2:TRAP_HANDLER: 0
; COMPUTE_PGM_RSRC2:TGID_X_EN: 1
; COMPUTE_PGM_RSRC2:TGID_Y_EN: 1
; COMPUTE_PGM_RSRC2:TGID_Z_EN: 1
; COMPUTE_PGM_RSRC2:TIDIG_COMP_CNT: 0
	.section	.text._ZN4vllm25paged_attention_v1_kernelIthLi80ELi16ELi128ELNS_18Fp8KVCacheDataTypeE1ELb1EEEvPT_PKS2_PKT0_S8_ifPKiSA_iPKfiiiSC_SC_iiiii,"axG",@progbits,_ZN4vllm25paged_attention_v1_kernelIthLi80ELi16ELi128ELNS_18Fp8KVCacheDataTypeE1ELb1EEEvPT_PKS2_PKT0_S8_ifPKiSA_iPKfiiiSC_SC_iiiii,comdat
	.protected	_ZN4vllm25paged_attention_v1_kernelIthLi80ELi16ELi128ELNS_18Fp8KVCacheDataTypeE1ELb1EEEvPT_PKS2_PKT0_S8_ifPKiSA_iPKfiiiSC_SC_iiiii ; -- Begin function _ZN4vllm25paged_attention_v1_kernelIthLi80ELi16ELi128ELNS_18Fp8KVCacheDataTypeE1ELb1EEEvPT_PKS2_PKT0_S8_ifPKiSA_iPKfiiiSC_SC_iiiii
	.globl	_ZN4vllm25paged_attention_v1_kernelIthLi80ELi16ELi128ELNS_18Fp8KVCacheDataTypeE1ELb1EEEvPT_PKS2_PKT0_S8_ifPKiSA_iPKfiiiSC_SC_iiiii
	.p2align	8
	.type	_ZN4vllm25paged_attention_v1_kernelIthLi80ELi16ELi128ELNS_18Fp8KVCacheDataTypeE1ELb1EEEvPT_PKS2_PKT0_S8_ifPKiSA_iPKfiiiSC_SC_iiiii,@function
_ZN4vllm25paged_attention_v1_kernelIthLi80ELi16ELi128ELNS_18Fp8KVCacheDataTypeE1ELb1EEEvPT_PKS2_PKT0_S8_ifPKiSA_iPKfiiiSC_SC_iiiii: ; @_ZN4vllm25paged_attention_v1_kernelIthLi80ELi16ELi128ELNS_18Fp8KVCacheDataTypeE1ELb1EEEvPT_PKS2_PKT0_S8_ifPKiSA_iPKfiiiSC_SC_iiiii
; %bb.0:
	s_clause 0x2
	s_load_dword s9, s[4:5], 0x80
	s_load_dwordx2 s[0:1], s[4:5], 0x30
	s_load_dwordx2 s[34:35], s[4:5], 0x20
	s_mov_b32 s10, s7
	s_ashr_i32 s11, s7, 31
	s_mov_b32 s36, 0
	s_lshl_b64 s[2:3], s[10:11], 2
	s_waitcnt lgkmcnt(0)
	s_add_u32 s0, s0, s2
	s_addc_u32 s1, s1, s3
	s_abs_i32 s2, s34
	s_abs_i32 s11, s9
	v_cvt_f32_u32_e32 v1, s2
	s_sub_i32 s7, 0, s2
	v_rcp_iflag_f32_e32 v1, v1
	v_mul_f32_e32 v1, 0x4f7ffffe, v1
	v_cvt_u32_f32_e32 v1, v1
	v_readfirstlane_b32 s3, v1
	s_mul_i32 s7, s7, s3
	s_mul_hi_u32 s7, s3, s7
	s_add_i32 s3, s3, s7
	s_xor_b32 s7, s9, s34
	s_mul_hi_u32 s3, s11, s3
	s_ashr_i32 s7, s7, 31
	s_mul_i32 s12, s3, s2
	s_sub_i32 s11, s11, s12
	s_add_i32 s12, s3, 1
	s_sub_i32 s13, s11, s2
	s_cmp_ge_u32 s11, s2
	s_cselect_b32 s3, s12, s3
	s_cselect_b32 s11, s13, s11
	s_add_i32 s12, s3, 1
	s_cmp_ge_u32 s11, s2
	s_cselect_b32 s2, s12, s3
	s_xor_b32 s2, s2, s7
	s_sub_i32 s14, s2, s7
	s_load_dwordx2 s[2:3], s[4:5], 0x40
	s_abs_i32 s11, s14
	v_cvt_f32_u32_e32 v1, s11
	s_sub_i32 s12, 0, s11
	v_rcp_iflag_f32_e32 v1, v1
	v_mul_f32_e32 v1, 0x4f7ffffe, v1
	v_cvt_u32_f32_e32 v1, v1
	v_readfirstlane_b32 s7, v1
	s_mul_i32 s12, s12, s7
	s_mul_hi_u32 s13, s7, s12
	s_abs_i32 s12, s6
	s_add_i32 s7, s7, s13
	s_waitcnt lgkmcnt(0)
	s_cmp_eq_u64 s[2:3], 0
	s_mul_hi_u32 s13, s12, s7
	s_cbranch_scc1 .LBB254_2
; %bb.1:
	s_ashr_i32 s7, s6, 31
	s_lshl_b64 s[16:17], s[6:7], 2
	s_add_u32 s2, s2, s16
	s_addc_u32 s3, s3, s17
	s_load_dword s36, s[2:3], 0x0
.LBB254_2:
	s_load_dword s33, s[0:1], 0x0
	s_load_dwordx4 s[16:19], s[4:5], 0x48
	v_lshrrev_b32_e32 v11, 1, v0
	v_and_b32_e32 v12, 1, v0
	v_lshlrev_b32_e32 v10, 3, v0
	s_ashr_i32 s0, s6, 31
	s_ashr_i32 s1, s14, 31
	s_mul_i32 s24, s6, 0x50
	s_mov_b32 s2, exec_lo
	v_cmpx_gt_u32_e32 20, v0
	s_cbranch_execz .LBB254_4
; %bb.3:
	s_load_dwordx2 s[14:15], s[4:5], 0x8
	s_waitcnt lgkmcnt(0)
	s_mul_i32 s20, s16, s10
	v_lshlrev_b32_e32 v3, 3, v11
	s_ashr_i32 s21, s20, 31
	s_lshl_b64 s[20:21], s[20:21], 1
	v_mad_u32_u24 v3, 0x50, v12, v3
	s_add_u32 s3, s14, s20
	s_addc_u32 s7, s15, s21
	s_ashr_i32 s25, s24, 31
	s_lshl_b64 s[14:15], s[24:25], 1
	s_add_u32 s14, s3, s14
	s_addc_u32 s15, s7, s15
	global_load_dwordx2 v[1:2], v10, s[14:15]
	s_waitcnt vmcnt(0)
	ds_write_b64 v3, v[1:2]
.LBB254_4:
	s_or_b32 exec_lo, exec_lo, s2
	s_load_dwordx4 s[20:23], s[4:5], 0x68
	s_mul_i32 s2, s13, s11
	s_xor_b32 s1, s0, s1
	s_sub_i32 s0, s12, s2
	s_add_i32 s2, s13, 1
	s_sub_i32 s3, s0, s11
	s_cmp_ge_u32 s0, s11
	s_mov_b32 s12, -1
	s_cselect_b32 s2, s2, s13
	s_cselect_b32 s0, s3, s0
	s_add_i32 s3, s2, 1
	s_cmp_ge_u32 s0, s11
	s_load_dword s0, s[4:5], 0x78
	s_cselect_b32 s2, s3, s2
	s_waitcnt lgkmcnt(0)
	s_add_i32 s7, s33, -1
	s_xor_b32 s2, s2, s1
	s_abs_i32 s3, s7
	s_sub_i32 s1, s2, s1
	s_barrier
	s_abs_i32 s16, s23
	buffer_gl0_inv
	v_cvt_f32_u32_e32 v1, s16
	s_sub_i32 s2, 0, s16
                                        ; implicit-def: $sgpr25
	v_rcp_iflag_f32_e32 v1, v1
	v_mul_f32_e32 v1, 0x4f7ffffe, v1
	v_cvt_u32_f32_e32 v1, v1
	v_readfirstlane_b32 s19, v1
	s_mul_i32 s2, s2, s19
	s_mul_hi_u32 s2, s19, s2
	s_add_i32 s19, s19, s2
	s_cmp_lt_i32 s0, 0
	s_mul_hi_u32 s2, s3, s19
	s_cbranch_scc0 .LBB254_6
; %bb.5:
	s_mul_i32 s11, s20, s34
	s_mov_b32 s12, 0
	s_add_i32 s11, s1, s11
	s_mul_i32 s11, s11, s0
	s_sub_i32 s25, 1, s11
.LBB254_6:
	s_load_dwordx2 s[26:27], s[4:5], 0x28
	s_ashr_i32 s11, s7, 31
	s_andn2_b32 vcc_lo, exec_lo, s12
	s_ashr_i32 s23, s23, 31
	s_cbranch_vccnz .LBB254_8
; %bb.7:
	s_mul_i32 s7, s9, s20
	s_add_i32 s6, s7, s6
	s_mul_i32 s0, s6, s0
	s_add_i32 s25, s0, 1
.LBB254_8:
	s_clause 0x2
	s_load_dword s0, s[4:5], 0x38
	s_load_dwordx2 s[6:7], s[4:5], 0x0
	s_load_dwordx2 s[30:31], s[4:5], 0x18
	s_xor_b32 s34, s11, s23
	s_mul_i32 s11, s2, s16
	s_add_i32 s20, s2, 1
	s_sub_i32 s3, s3, s11
	s_clause 0x1
	s_load_dword s11, s[4:5], 0x88
	s_load_dwordx4 s[12:15], s[4:5], 0x58
	v_lshrrev_b32_e32 v13, 5, v0
	v_mov_b32_e32 v19, 0xff7fffff
	v_lshrrev_b32_e32 v15, 3, v0
	v_mbcnt_lo_u32_b32 v17, -1, 0
	s_mul_i32 s18, s1, s18
	v_lshlrev_b32_e32 v14, 4, v13
	s_waitcnt lgkmcnt(0)
	s_mul_i32 s28, s0, s10
	s_sub_i32 s0, s3, s16
	s_ashr_i32 s29, s28, 31
	s_cmp_ge_u32 s3, s16
	s_cselect_b32 s2, s20, s2
	s_cselect_b32 s0, s0, s3
	s_add_i32 s3, s2, 1
	s_cmp_ge_u32 s0, s16
	s_cselect_b32 s0, s3, s2
	s_add_i32 s2, s33, 15
	s_ashr_i32 s3, s2, 31
	s_lshr_b32 s3, s3, 28
	s_add_i32 s2, s2, s3
	s_ashr_i32 s20, s2, 4
	s_xor_b32 s2, s0, s34
	v_cmp_gt_i32_e64 s0, s20, v13
	s_sub_i32 s34, s2, s34
	s_and_saveexec_b32 s37, s0
	s_cbranch_execz .LBB254_340
; %bb.9:
	s_load_dwordx2 s[2:3], s[4:5], 0x10
	s_sub_i32 s4, s34, s21
	s_ashr_i32 s1, s18, 31
	v_bfe_u32 v16, v0, 1, 4
	v_and_b32_e32 v3, 0x7c, v15
	v_lshlrev_b32_e32 v5, 2, v12
	v_mov_b32_e32 v2, 0
	v_mul_u32_u24_e32 v18, 0x50, v12
	v_lshlrev_b32_e32 v4, 2, v16
	v_subrev_nc_u32_e32 v6, s33, v16
	v_lshlrev_b32_e32 v7, 4, v16
	v_lshlrev_b32_e32 v20, 4, v13
	v_mov_b32_e32 v21, 0xff7fffff
	v_lshl_or_b32 v4, v13, 6, v4
	v_add_nc_u32_e32 v26, 1, v6
	v_mov_b32_e32 v22, 0x80
	v_mov_b32_e32 v23, 0x7f
	;; [unrolled: 1-line block ×3, first 2 shown]
	v_add_nc_u32_e32 v27, 0xc0, v4
	v_mov_b32_e32 v25, 8
	s_waitcnt lgkmcnt(0)
	s_add_u32 s38, s2, s18
	s_addc_u32 s39, s3, s1
	s_abs_i32 s5, s22
	v_add_co_u32 v6, s38, s38, v7
	v_cvt_f32_u32_e32 v1, s5
	s_sub_i32 s2, 0, s5
	v_add_co_ci_u32_e64 v7, null, s39, 0, s38
	v_cmp_neq_f32_e64 s1, s36, 0
	v_rcp_iflag_f32_e32 v1, v1
	v_mov_b32_e32 v19, 0xff7fffff
	v_mov_b32_e32 v29, v13
	s_mov_b32 s38, 0
	s_mov_b32 s39, s17
	v_cmp_eq_u32_e32 vcc_lo, 0, v12
	v_mul_f32_e32 v1, 0x4f7ffffe, v1
	v_cvt_u32_f32_e32 v1, v1
	v_mul_lo_u32 v4, s2, v1
	s_lshl_b64 s[2:3], s[28:29], 2
	s_add_u32 s2, s26, s2
	s_addc_u32 s3, s27, s3
	v_add_co_u32 v3, s2, s2, v3
	v_mul_hi_u32 v8, v1, v4
	v_add_co_ci_u32_e64 v4, null, s3, 0, s2
	v_add_co_u32 v5, s2, v6, v5
	v_add_co_ci_u32_e64 v6, null, 0, v7, s2
	v_add_nc_u32_e32 v28, v1, v8
	s_branch .LBB254_12
.LBB254_10:                             ;   in Loop: Header=BB254_12 Depth=1
	s_or_b32 exec_lo, exec_lo, s40
.LBB254_11:                             ;   in Loop: Header=BB254_12 Depth=1
	s_or_b32 exec_lo, exec_lo, s3
	v_add_nc_u32_e32 v29, 4, v29
	v_add_co_u32 v3, s3, v3, 16
	v_add_co_ci_u32_e64 v4, null, 0, v4, s3
	v_cmp_le_i32_e64 s2, s20, v29
	v_add_nc_u32_e32 v20, 64, v20
	v_add_nc_u32_e32 v27, 0x100, v27
	s_or_b32 s38, s2, s38
	s_andn2_b32 exec_lo, exec_lo, s38
	s_cbranch_execz .LBB254_339
.LBB254_12:                             ; =>This Inner Loop Header: Depth=1
	v_mul_hi_u32 v1, v20, s19
	s_waitcnt lgkmcnt(0)
	v_mul_lo_u32 v7, v1, s16
	v_add_nc_u32_e32 v8, 1, v1
	v_sub_nc_u32_e32 v7, v20, v7
	v_subrev_nc_u32_e32 v9, s16, v7
	v_cmp_le_u32_e64 s2, s16, v7
	v_cndmask_b32_e64 v1, v1, v8, s2
	v_cndmask_b32_e64 v7, v7, v9, s2
	v_add_nc_u32_e32 v8, 1, v1
	v_cmp_le_u32_e64 s2, s16, v7
	v_cndmask_b32_e64 v1, v1, v8, s2
	v_xor_b32_e32 v1, s23, v1
	v_subrev_nc_u32_e32 v1, s23, v1
	v_add_nc_u32_e32 v7, s25, v1
	v_cmp_ge_i32_e64 s3, s4, v1
	v_sub_nc_u32_e32 v8, 0, v7
	v_max_i32_e32 v8, v7, v8
	v_ashrrev_i32_e32 v7, 31, v7
	v_mul_hi_u32 v9, v8, v28
	v_mul_lo_u32 v9, v9, s5
	v_sub_nc_u32_e32 v8, v8, v9
	v_subrev_nc_u32_e32 v9, s5, v8
	v_cmp_le_u32_e64 s2, s5, v8
	v_cndmask_b32_e64 v8, v8, v9, s2
	v_subrev_nc_u32_e32 v9, s5, v8
	v_cmp_le_u32_e64 s2, s5, v8
	v_cndmask_b32_e64 v8, v8, v9, s2
	v_xor_b32_e32 v8, v8, v7
	v_sub_nc_u32_e32 v7, v8, v7
	v_cmp_ne_u32_e64 s2, 0, v7
	s_and_b32 s2, s2, s3
	s_and_saveexec_b32 s3, s2
	s_xor_b32 s2, exec_lo, s3
	s_cbranch_execz .LBB254_16
; %bb.13:                               ;   in Loop: Header=BB254_12 Depth=1
	s_and_saveexec_b32 s3, vcc_lo
; %bb.14:                               ;   in Loop: Header=BB254_12 Depth=1
	ds_write_b32 v27, v21
; %bb.15:                               ;   in Loop: Header=BB254_12 Depth=1
	s_or_b32 exec_lo, exec_lo, s3
.LBB254_16:                             ;   in Loop: Header=BB254_12 Depth=1
	s_andn2_saveexec_b32 s3, s2
	s_cbranch_execz .LBB254_11
; %bb.17:                               ;   in Loop: Header=BB254_12 Depth=1
	global_load_dword v1, v[3:4], off
	v_mov_b32_e32 v31, 0
	v_mov_b32_e32 v32, 0
	global_load_dword v30, v31, s[12:13]
	s_waitcnt vmcnt(1)
	v_mad_i64_i32 v[7:8], null, v1, s39, v[5:6]
	global_load_dword v9, v[7:8], off
	s_waitcnt vmcnt(0)
	v_cmp_ne_u16_sdwa s2, v9, v2 src0_sel:BYTE_0 src1_sel:DWORD
	s_and_saveexec_b32 s40, s2
	s_cbranch_execz .LBB254_25
; %bb.18:                               ;   in Loop: Header=BB254_12 Depth=1
	v_cmp_ne_u16_sdwa s2, v9, v22 src0_sel:BYTE_0 src1_sel:DWORD
	v_mov_b32_e32 v32, 0x8000
	s_and_saveexec_b32 s41, s2
	s_cbranch_execz .LBB254_24
; %bb.19:                               ;   in Loop: Header=BB254_12 Depth=1
	v_and_b32_e32 v33, 0x7f, v9
	v_mov_b32_e32 v32, 0x7c01
	s_mov_b32 s42, exec_lo
	v_cmpx_ne_u32_e32 0x7f, v33
	s_cbranch_execz .LBB254_23
; %bb.20:                               ;   in Loop: Header=BB254_12 Depth=1
	v_and_b32_e32 v1, 7, v9
	v_lshrrev_b32_e32 v32, 3, v33
	s_mov_b32 s43, exec_lo
	v_cmpx_gt_u32_e32 8, v33
; %bb.21:                               ;   in Loop: Header=BB254_12 Depth=1
	v_ffbh_u32_e32 v1, v1
	v_min_u32_e32 v1, 32, v1
	v_subrev_nc_u32_e32 v32, 28, v1
	v_lshlrev_b64 v[33:34], v32, v[9:10]
	v_sub_nc_u32_e32 v32, 29, v1
	v_and_b32_e32 v1, 7, v33
; %bb.22:                               ;   in Loop: Header=BB254_12 Depth=1
	s_or_b32 exec_lo, exec_lo, s43
	v_lshlrev_b32_e32 v33, 8, v9
	v_lshl_add_u32 v32, v32, 10, 0x2000
	v_lshlrev_b32_e32 v1, 7, v1
	v_and_b32_e32 v33, 0x8000, v33
	v_and_b32_e32 v32, 0xfc00, v32
	v_or3_b32 v32, v33, v32, v1
.LBB254_23:                             ;   in Loop: Header=BB254_12 Depth=1
	s_or_b32 exec_lo, exec_lo, s42
.LBB254_24:                             ;   in Loop: Header=BB254_12 Depth=1
	s_or_b32 exec_lo, exec_lo, s41
.LBB254_25:                             ;   in Loop: Header=BB254_12 Depth=1
	s_or_b32 exec_lo, exec_lo, s40
	v_lshrrev_b16 v1, 8, v9
	s_mov_b32 s40, exec_lo
	v_cmpx_ne_u16_e32 0, v1
	s_cbranch_execz .LBB254_33
; %bb.26:                               ;   in Loop: Header=BB254_12 Depth=1
	v_bfrev_b32_e32 v31, 1
	s_mov_b32 s41, exec_lo
	v_cmpx_ne_u16_e32 0x80, v1
	s_cbranch_execz .LBB254_32
; %bb.27:                               ;   in Loop: Header=BB254_12 Depth=1
	v_and_b32_sdwa v34, v1, v23 dst_sel:DWORD dst_unused:UNUSED_PAD src0_sel:WORD_0 src1_sel:DWORD
	v_mov_b32_e32 v31, 0x7c010000
	s_mov_b32 s42, exec_lo
	v_cmpx_ne_u32_e32 0x7f, v34
	s_cbranch_execz .LBB254_31
; %bb.28:                               ;   in Loop: Header=BB254_12 Depth=1
	v_and_b32_sdwa v31, v1, v24 dst_sel:DWORD dst_unused:UNUSED_PAD src0_sel:WORD_0 src1_sel:DWORD
	v_lshrrev_b32_e32 v33, 3, v34
	s_mov_b32 s43, exec_lo
	v_cmpx_gt_u32_e32 8, v34
; %bb.29:                               ;   in Loop: Header=BB254_12 Depth=1
	v_ffbh_u32_e32 v31, v31
	v_min_u32_e32 v31, 32, v31
	v_subrev_nc_u32_e32 v33, 28, v31
	v_lshlrev_b64 v[34:35], v33, v[1:2]
	v_sub_nc_u32_e32 v33, 29, v31
	v_and_b32_e32 v31, 7, v34
; %bb.30:                               ;   in Loop: Header=BB254_12 Depth=1
	s_or_b32 exec_lo, exec_lo, s43
	v_lshlrev_b32_sdwa v1, v25, v1 dst_sel:DWORD dst_unused:UNUSED_PAD src0_sel:DWORD src1_sel:WORD_0
	v_lshl_add_u32 v33, v33, 10, 0x2000
	v_lshlrev_b32_e32 v31, 23, v31
	v_and_or_b32 v1, 0x8000, v1, v33
	v_lshl_or_b32 v31, v1, 16, v31
.LBB254_31:                             ;   in Loop: Header=BB254_12 Depth=1
	s_or_b32 exec_lo, exec_lo, s42
.LBB254_32:                             ;   in Loop: Header=BB254_12 Depth=1
	s_or_b32 exec_lo, exec_lo, s41
.LBB254_33:                             ;   in Loop: Header=BB254_12 Depth=1
	s_or_b32 exec_lo, exec_lo, s40
	v_lshrrev_b32_e32 v1, 16, v9
	v_mov_b32_e32 v33, 0
	v_mov_b32_e32 v34, 0
	v_cmp_ne_u16_sdwa s2, v1, v2 src0_sel:BYTE_0 src1_sel:DWORD
	s_and_saveexec_b32 s40, s2
	s_cbranch_execz .LBB254_41
; %bb.34:                               ;   in Loop: Header=BB254_12 Depth=1
	v_cmp_ne_u16_sdwa s2, v1, v22 src0_sel:BYTE_0 src1_sel:DWORD
	v_mov_b32_e32 v34, 0x8000
	s_and_saveexec_b32 s41, s2
	s_cbranch_execz .LBB254_40
; %bb.35:                               ;   in Loop: Header=BB254_12 Depth=1
	v_bfe_u32 v36, v9, 16, 7
	v_mov_b32_e32 v34, 0x7c01
	s_mov_b32 s42, exec_lo
	v_cmpx_ne_u32_e32 0x7f, v36
	s_cbranch_execz .LBB254_39
; %bb.36:                               ;   in Loop: Header=BB254_12 Depth=1
	v_and_b32_e32 v34, 7, v1
	v_lshrrev_b32_e32 v35, 3, v36
	s_mov_b32 s43, exec_lo
	v_cmpx_gt_u32_e32 8, v36
; %bb.37:                               ;   in Loop: Header=BB254_12 Depth=1
	v_ffbh_u32_e32 v34, v34
	v_min_u32_e32 v36, 32, v34
	v_subrev_nc_u32_e32 v34, 28, v36
	v_lshlrev_b64 v[34:35], v34, v[1:2]
	v_sub_nc_u32_e32 v35, 29, v36
	v_and_b32_e32 v34, 7, v34
; %bb.38:                               ;   in Loop: Header=BB254_12 Depth=1
	s_or_b32 exec_lo, exec_lo, s43
	v_lshlrev_b32_e32 v1, 8, v1
	v_lshl_add_u32 v35, v35, 10, 0x2000
	v_lshlrev_b32_e32 v34, 7, v34
	v_and_b32_e32 v1, 0x8000, v1
	v_and_b32_e32 v35, 0xfc00, v35
	v_or3_b32 v34, v1, v35, v34
.LBB254_39:                             ;   in Loop: Header=BB254_12 Depth=1
	s_or_b32 exec_lo, exec_lo, s42
.LBB254_40:                             ;   in Loop: Header=BB254_12 Depth=1
	s_or_b32 exec_lo, exec_lo, s41
.LBB254_41:                             ;   in Loop: Header=BB254_12 Depth=1
	s_or_b32 exec_lo, exec_lo, s40
	s_mov_b32 s40, exec_lo
	v_cmpx_lt_u32_e32 0xffffff, v9
	s_cbranch_execz .LBB254_49
; %bb.42:                               ;   in Loop: Header=BB254_12 Depth=1
	v_lshrrev_b32_e32 v1, 24, v9
	v_bfrev_b32_e32 v33, 1
	s_mov_b32 s41, exec_lo
	v_cmpx_ne_u32_e32 0x80, v1
	s_cbranch_execz .LBB254_48
; %bb.43:                               ;   in Loop: Header=BB254_12 Depth=1
	v_and_b32_e32 v35, 0x7f, v1
	v_mov_b32_e32 v33, 0x7c010000
	s_mov_b32 s42, exec_lo
	v_cmpx_ne_u32_e32 0x7f, v35
	s_cbranch_execz .LBB254_47
; %bb.44:                               ;   in Loop: Header=BB254_12 Depth=1
	v_and_b32_e32 v9, 7, v1
	v_lshrrev_b32_e32 v33, 3, v35
	s_mov_b32 s43, exec_lo
	v_cmpx_gt_u32_e32 8, v35
; %bb.45:                               ;   in Loop: Header=BB254_12 Depth=1
	v_ffbh_u32_e32 v9, v9
	v_min_u32_e32 v9, 32, v9
	v_subrev_nc_u32_e32 v33, 28, v9
	v_lshlrev_b64 v[35:36], v33, v[1:2]
	v_sub_nc_u32_e32 v33, 29, v9
	v_and_b32_e32 v9, 7, v35
; %bb.46:                               ;   in Loop: Header=BB254_12 Depth=1
	s_or_b32 exec_lo, exec_lo, s43
	v_lshlrev_b32_e32 v1, 8, v1
	v_lshl_add_u32 v33, v33, 10, 0x2000
	v_lshlrev_b32_e32 v9, 23, v9
	v_and_or_b32 v1, 0x8000, v1, v33
	v_lshl_or_b32 v33, v1, 16, v9
.LBB254_47:                             ;   in Loop: Header=BB254_12 Depth=1
	s_or_b32 exec_lo, exec_lo, s42
.LBB254_48:                             ;   in Loop: Header=BB254_12 Depth=1
	s_or_b32 exec_lo, exec_lo, s41
.LBB254_49:                             ;   in Loop: Header=BB254_12 Depth=1
	s_or_b32 exec_lo, exec_lo, s40
	global_load_dword v9, v[7:8], off offset:8
	v_mov_b32_e32 v35, 0
	v_mov_b32_e32 v36, 0
	s_waitcnt vmcnt(0)
	v_cmp_ne_u16_sdwa s2, v9, v2 src0_sel:BYTE_0 src1_sel:DWORD
	s_and_saveexec_b32 s40, s2
	s_cbranch_execz .LBB254_57
; %bb.50:                               ;   in Loop: Header=BB254_12 Depth=1
	v_cmp_ne_u16_sdwa s2, v9, v22 src0_sel:BYTE_0 src1_sel:DWORD
	v_mov_b32_e32 v36, 0x8000
	s_and_saveexec_b32 s41, s2
	s_cbranch_execz .LBB254_56
; %bb.51:                               ;   in Loop: Header=BB254_12 Depth=1
	v_and_b32_e32 v37, 0x7f, v9
	v_mov_b32_e32 v36, 0x7c01
	s_mov_b32 s42, exec_lo
	v_cmpx_ne_u32_e32 0x7f, v37
	s_cbranch_execz .LBB254_55
; %bb.52:                               ;   in Loop: Header=BB254_12 Depth=1
	v_and_b32_e32 v1, 7, v9
	v_lshrrev_b32_e32 v36, 3, v37
	s_mov_b32 s43, exec_lo
	v_cmpx_gt_u32_e32 8, v37
; %bb.53:                               ;   in Loop: Header=BB254_12 Depth=1
	v_ffbh_u32_e32 v1, v1
	v_min_u32_e32 v1, 32, v1
	v_subrev_nc_u32_e32 v36, 28, v1
	v_lshlrev_b64 v[37:38], v36, v[9:10]
	v_sub_nc_u32_e32 v36, 29, v1
	v_and_b32_e32 v1, 7, v37
; %bb.54:                               ;   in Loop: Header=BB254_12 Depth=1
	s_or_b32 exec_lo, exec_lo, s43
	v_lshlrev_b32_e32 v37, 8, v9
	v_lshl_add_u32 v36, v36, 10, 0x2000
	v_lshlrev_b32_e32 v1, 7, v1
	v_and_b32_e32 v37, 0x8000, v37
	v_and_b32_e32 v36, 0xfc00, v36
	v_or3_b32 v36, v37, v36, v1
.LBB254_55:                             ;   in Loop: Header=BB254_12 Depth=1
	s_or_b32 exec_lo, exec_lo, s42
.LBB254_56:                             ;   in Loop: Header=BB254_12 Depth=1
	s_or_b32 exec_lo, exec_lo, s41
.LBB254_57:                             ;   in Loop: Header=BB254_12 Depth=1
	s_or_b32 exec_lo, exec_lo, s40
	v_lshrrev_b16 v1, 8, v9
	s_mov_b32 s40, exec_lo
	v_cmpx_ne_u16_e32 0, v1
	s_cbranch_execz .LBB254_65
; %bb.58:                               ;   in Loop: Header=BB254_12 Depth=1
	v_bfrev_b32_e32 v35, 1
	s_mov_b32 s41, exec_lo
	v_cmpx_ne_u16_e32 0x80, v1
	s_cbranch_execz .LBB254_64
; %bb.59:                               ;   in Loop: Header=BB254_12 Depth=1
	v_and_b32_sdwa v38, v1, v23 dst_sel:DWORD dst_unused:UNUSED_PAD src0_sel:WORD_0 src1_sel:DWORD
	v_mov_b32_e32 v35, 0x7c010000
	s_mov_b32 s42, exec_lo
	v_cmpx_ne_u32_e32 0x7f, v38
	s_cbranch_execz .LBB254_63
; %bb.60:                               ;   in Loop: Header=BB254_12 Depth=1
	v_and_b32_sdwa v35, v1, v24 dst_sel:DWORD dst_unused:UNUSED_PAD src0_sel:WORD_0 src1_sel:DWORD
	v_lshrrev_b32_e32 v37, 3, v38
	s_mov_b32 s43, exec_lo
	v_cmpx_gt_u32_e32 8, v38
; %bb.61:                               ;   in Loop: Header=BB254_12 Depth=1
	v_ffbh_u32_e32 v35, v35
	v_min_u32_e32 v35, 32, v35
	v_subrev_nc_u32_e32 v37, 28, v35
	v_lshlrev_b64 v[38:39], v37, v[1:2]
	v_sub_nc_u32_e32 v37, 29, v35
	v_and_b32_e32 v35, 7, v38
; %bb.62:                               ;   in Loop: Header=BB254_12 Depth=1
	s_or_b32 exec_lo, exec_lo, s43
	v_lshlrev_b32_sdwa v1, v25, v1 dst_sel:DWORD dst_unused:UNUSED_PAD src0_sel:DWORD src1_sel:WORD_0
	v_lshl_add_u32 v37, v37, 10, 0x2000
	v_lshlrev_b32_e32 v35, 23, v35
	v_and_or_b32 v1, 0x8000, v1, v37
	v_lshl_or_b32 v35, v1, 16, v35
.LBB254_63:                             ;   in Loop: Header=BB254_12 Depth=1
	s_or_b32 exec_lo, exec_lo, s42
.LBB254_64:                             ;   in Loop: Header=BB254_12 Depth=1
	s_or_b32 exec_lo, exec_lo, s41
.LBB254_65:                             ;   in Loop: Header=BB254_12 Depth=1
	s_or_b32 exec_lo, exec_lo, s40
	v_lshrrev_b32_e32 v1, 16, v9
	v_mov_b32_e32 v37, 0
	v_mov_b32_e32 v38, 0
	v_cmp_ne_u16_sdwa s2, v1, v2 src0_sel:BYTE_0 src1_sel:DWORD
	s_and_saveexec_b32 s40, s2
	s_cbranch_execz .LBB254_73
; %bb.66:                               ;   in Loop: Header=BB254_12 Depth=1
	v_cmp_ne_u16_sdwa s2, v1, v22 src0_sel:BYTE_0 src1_sel:DWORD
	v_mov_b32_e32 v38, 0x8000
	s_and_saveexec_b32 s41, s2
	s_cbranch_execz .LBB254_72
; %bb.67:                               ;   in Loop: Header=BB254_12 Depth=1
	v_bfe_u32 v40, v9, 16, 7
	v_mov_b32_e32 v38, 0x7c01
	s_mov_b32 s42, exec_lo
	v_cmpx_ne_u32_e32 0x7f, v40
	s_cbranch_execz .LBB254_71
; %bb.68:                               ;   in Loop: Header=BB254_12 Depth=1
	v_and_b32_e32 v38, 7, v1
	v_lshrrev_b32_e32 v39, 3, v40
	s_mov_b32 s43, exec_lo
	v_cmpx_gt_u32_e32 8, v40
; %bb.69:                               ;   in Loop: Header=BB254_12 Depth=1
	v_ffbh_u32_e32 v38, v38
	v_min_u32_e32 v40, 32, v38
	v_subrev_nc_u32_e32 v38, 28, v40
	v_lshlrev_b64 v[38:39], v38, v[1:2]
	v_sub_nc_u32_e32 v39, 29, v40
	v_and_b32_e32 v38, 7, v38
; %bb.70:                               ;   in Loop: Header=BB254_12 Depth=1
	s_or_b32 exec_lo, exec_lo, s43
	v_lshlrev_b32_e32 v1, 8, v1
	v_lshl_add_u32 v39, v39, 10, 0x2000
	v_lshlrev_b32_e32 v38, 7, v38
	v_and_b32_e32 v1, 0x8000, v1
	v_and_b32_e32 v39, 0xfc00, v39
	v_or3_b32 v38, v1, v39, v38
.LBB254_71:                             ;   in Loop: Header=BB254_12 Depth=1
	s_or_b32 exec_lo, exec_lo, s42
.LBB254_72:                             ;   in Loop: Header=BB254_12 Depth=1
	s_or_b32 exec_lo, exec_lo, s41
.LBB254_73:                             ;   in Loop: Header=BB254_12 Depth=1
	s_or_b32 exec_lo, exec_lo, s40
	s_mov_b32 s40, exec_lo
	v_cmpx_lt_u32_e32 0xffffff, v9
	s_cbranch_execz .LBB254_81
; %bb.74:                               ;   in Loop: Header=BB254_12 Depth=1
	v_lshrrev_b32_e32 v1, 24, v9
	v_bfrev_b32_e32 v37, 1
	s_mov_b32 s41, exec_lo
	v_cmpx_ne_u32_e32 0x80, v1
	s_cbranch_execz .LBB254_80
; %bb.75:                               ;   in Loop: Header=BB254_12 Depth=1
	v_and_b32_e32 v39, 0x7f, v1
	v_mov_b32_e32 v37, 0x7c010000
	s_mov_b32 s42, exec_lo
	v_cmpx_ne_u32_e32 0x7f, v39
	s_cbranch_execz .LBB254_79
; %bb.76:                               ;   in Loop: Header=BB254_12 Depth=1
	v_and_b32_e32 v9, 7, v1
	v_lshrrev_b32_e32 v37, 3, v39
	s_mov_b32 s43, exec_lo
	v_cmpx_gt_u32_e32 8, v39
; %bb.77:                               ;   in Loop: Header=BB254_12 Depth=1
	v_ffbh_u32_e32 v9, v9
	v_min_u32_e32 v9, 32, v9
	v_subrev_nc_u32_e32 v37, 28, v9
	v_lshlrev_b64 v[39:40], v37, v[1:2]
	v_sub_nc_u32_e32 v37, 29, v9
	v_and_b32_e32 v9, 7, v39
; %bb.78:                               ;   in Loop: Header=BB254_12 Depth=1
	s_or_b32 exec_lo, exec_lo, s43
	v_lshlrev_b32_e32 v1, 8, v1
	v_lshl_add_u32 v37, v37, 10, 0x2000
	v_lshlrev_b32_e32 v9, 23, v9
	v_and_or_b32 v1, 0x8000, v1, v37
	v_lshl_or_b32 v37, v1, 16, v9
.LBB254_79:                             ;   in Loop: Header=BB254_12 Depth=1
	s_or_b32 exec_lo, exec_lo, s42
.LBB254_80:                             ;   in Loop: Header=BB254_12 Depth=1
	s_or_b32 exec_lo, exec_lo, s41
.LBB254_81:                             ;   in Loop: Header=BB254_12 Depth=1
	s_or_b32 exec_lo, exec_lo, s40
	global_load_dword v9, v[7:8], off offset:256
	v_mov_b32_e32 v39, 0
	v_mov_b32_e32 v40, 0
	s_waitcnt vmcnt(0)
	v_cmp_ne_u16_sdwa s2, v9, v2 src0_sel:BYTE_0 src1_sel:DWORD
	s_and_saveexec_b32 s40, s2
	s_cbranch_execz .LBB254_89
; %bb.82:                               ;   in Loop: Header=BB254_12 Depth=1
	v_cmp_ne_u16_sdwa s2, v9, v22 src0_sel:BYTE_0 src1_sel:DWORD
	v_mov_b32_e32 v40, 0x8000
	s_and_saveexec_b32 s41, s2
	s_cbranch_execz .LBB254_88
; %bb.83:                               ;   in Loop: Header=BB254_12 Depth=1
	v_and_b32_e32 v41, 0x7f, v9
	v_mov_b32_e32 v40, 0x7c01
	s_mov_b32 s42, exec_lo
	v_cmpx_ne_u32_e32 0x7f, v41
	s_cbranch_execz .LBB254_87
; %bb.84:                               ;   in Loop: Header=BB254_12 Depth=1
	v_and_b32_e32 v1, 7, v9
	v_lshrrev_b32_e32 v40, 3, v41
	s_mov_b32 s43, exec_lo
	v_cmpx_gt_u32_e32 8, v41
; %bb.85:                               ;   in Loop: Header=BB254_12 Depth=1
	v_ffbh_u32_e32 v1, v1
	v_min_u32_e32 v1, 32, v1
	v_subrev_nc_u32_e32 v40, 28, v1
	v_lshlrev_b64 v[41:42], v40, v[9:10]
	v_sub_nc_u32_e32 v40, 29, v1
	v_and_b32_e32 v1, 7, v41
; %bb.86:                               ;   in Loop: Header=BB254_12 Depth=1
	s_or_b32 exec_lo, exec_lo, s43
	v_lshlrev_b32_e32 v41, 8, v9
	v_lshl_add_u32 v40, v40, 10, 0x2000
	v_lshlrev_b32_e32 v1, 7, v1
	v_and_b32_e32 v41, 0x8000, v41
	v_and_b32_e32 v40, 0xfc00, v40
	v_or3_b32 v40, v41, v40, v1
.LBB254_87:                             ;   in Loop: Header=BB254_12 Depth=1
	s_or_b32 exec_lo, exec_lo, s42
.LBB254_88:                             ;   in Loop: Header=BB254_12 Depth=1
	s_or_b32 exec_lo, exec_lo, s41
.LBB254_89:                             ;   in Loop: Header=BB254_12 Depth=1
	s_or_b32 exec_lo, exec_lo, s40
	v_lshrrev_b16 v1, 8, v9
	s_mov_b32 s40, exec_lo
	v_cmpx_ne_u16_e32 0, v1
	s_cbranch_execz .LBB254_97
; %bb.90:                               ;   in Loop: Header=BB254_12 Depth=1
	v_bfrev_b32_e32 v39, 1
	s_mov_b32 s41, exec_lo
	v_cmpx_ne_u16_e32 0x80, v1
	s_cbranch_execz .LBB254_96
; %bb.91:                               ;   in Loop: Header=BB254_12 Depth=1
	v_and_b32_sdwa v42, v1, v23 dst_sel:DWORD dst_unused:UNUSED_PAD src0_sel:WORD_0 src1_sel:DWORD
	v_mov_b32_e32 v39, 0x7c010000
	s_mov_b32 s42, exec_lo
	v_cmpx_ne_u32_e32 0x7f, v42
	s_cbranch_execz .LBB254_95
; %bb.92:                               ;   in Loop: Header=BB254_12 Depth=1
	v_and_b32_sdwa v39, v1, v24 dst_sel:DWORD dst_unused:UNUSED_PAD src0_sel:WORD_0 src1_sel:DWORD
	v_lshrrev_b32_e32 v41, 3, v42
	s_mov_b32 s43, exec_lo
	v_cmpx_gt_u32_e32 8, v42
; %bb.93:                               ;   in Loop: Header=BB254_12 Depth=1
	v_ffbh_u32_e32 v39, v39
	v_min_u32_e32 v39, 32, v39
	v_subrev_nc_u32_e32 v41, 28, v39
	v_lshlrev_b64 v[42:43], v41, v[1:2]
	v_sub_nc_u32_e32 v41, 29, v39
	v_and_b32_e32 v39, 7, v42
; %bb.94:                               ;   in Loop: Header=BB254_12 Depth=1
	s_or_b32 exec_lo, exec_lo, s43
	v_lshlrev_b32_sdwa v1, v25, v1 dst_sel:DWORD dst_unused:UNUSED_PAD src0_sel:DWORD src1_sel:WORD_0
	v_lshl_add_u32 v41, v41, 10, 0x2000
	v_lshlrev_b32_e32 v39, 23, v39
	v_and_or_b32 v1, 0x8000, v1, v41
	v_lshl_or_b32 v39, v1, 16, v39
.LBB254_95:                             ;   in Loop: Header=BB254_12 Depth=1
	s_or_b32 exec_lo, exec_lo, s42
.LBB254_96:                             ;   in Loop: Header=BB254_12 Depth=1
	s_or_b32 exec_lo, exec_lo, s41
.LBB254_97:                             ;   in Loop: Header=BB254_12 Depth=1
	s_or_b32 exec_lo, exec_lo, s40
	v_lshrrev_b32_e32 v1, 16, v9
	v_mov_b32_e32 v41, 0
	v_mov_b32_e32 v42, 0
	v_cmp_ne_u16_sdwa s2, v1, v2 src0_sel:BYTE_0 src1_sel:DWORD
	s_and_saveexec_b32 s40, s2
	s_cbranch_execz .LBB254_105
; %bb.98:                               ;   in Loop: Header=BB254_12 Depth=1
	v_cmp_ne_u16_sdwa s2, v1, v22 src0_sel:BYTE_0 src1_sel:DWORD
	v_mov_b32_e32 v42, 0x8000
	s_and_saveexec_b32 s41, s2
	s_cbranch_execz .LBB254_104
; %bb.99:                               ;   in Loop: Header=BB254_12 Depth=1
	v_bfe_u32 v44, v9, 16, 7
	v_mov_b32_e32 v42, 0x7c01
	s_mov_b32 s42, exec_lo
	v_cmpx_ne_u32_e32 0x7f, v44
	s_cbranch_execz .LBB254_103
; %bb.100:                              ;   in Loop: Header=BB254_12 Depth=1
	v_and_b32_e32 v42, 7, v1
	v_lshrrev_b32_e32 v43, 3, v44
	s_mov_b32 s43, exec_lo
	v_cmpx_gt_u32_e32 8, v44
; %bb.101:                              ;   in Loop: Header=BB254_12 Depth=1
	v_ffbh_u32_e32 v42, v42
	v_min_u32_e32 v44, 32, v42
	v_subrev_nc_u32_e32 v42, 28, v44
	v_lshlrev_b64 v[42:43], v42, v[1:2]
	v_sub_nc_u32_e32 v43, 29, v44
	v_and_b32_e32 v42, 7, v42
; %bb.102:                              ;   in Loop: Header=BB254_12 Depth=1
	s_or_b32 exec_lo, exec_lo, s43
	v_lshlrev_b32_e32 v1, 8, v1
	v_lshl_add_u32 v43, v43, 10, 0x2000
	v_lshlrev_b32_e32 v42, 7, v42
	v_and_b32_e32 v1, 0x8000, v1
	v_and_b32_e32 v43, 0xfc00, v43
	v_or3_b32 v42, v1, v43, v42
.LBB254_103:                            ;   in Loop: Header=BB254_12 Depth=1
	s_or_b32 exec_lo, exec_lo, s42
.LBB254_104:                            ;   in Loop: Header=BB254_12 Depth=1
	s_or_b32 exec_lo, exec_lo, s41
.LBB254_105:                            ;   in Loop: Header=BB254_12 Depth=1
	s_or_b32 exec_lo, exec_lo, s40
	s_mov_b32 s40, exec_lo
	v_cmpx_lt_u32_e32 0xffffff, v9
	s_cbranch_execz .LBB254_113
; %bb.106:                              ;   in Loop: Header=BB254_12 Depth=1
	v_lshrrev_b32_e32 v1, 24, v9
	v_bfrev_b32_e32 v41, 1
	s_mov_b32 s41, exec_lo
	v_cmpx_ne_u32_e32 0x80, v1
	s_cbranch_execz .LBB254_112
; %bb.107:                              ;   in Loop: Header=BB254_12 Depth=1
	v_and_b32_e32 v43, 0x7f, v1
	v_mov_b32_e32 v41, 0x7c010000
	s_mov_b32 s42, exec_lo
	v_cmpx_ne_u32_e32 0x7f, v43
	s_cbranch_execz .LBB254_111
; %bb.108:                              ;   in Loop: Header=BB254_12 Depth=1
	v_and_b32_e32 v9, 7, v1
	v_lshrrev_b32_e32 v41, 3, v43
	s_mov_b32 s43, exec_lo
	v_cmpx_gt_u32_e32 8, v43
; %bb.109:                              ;   in Loop: Header=BB254_12 Depth=1
	v_ffbh_u32_e32 v9, v9
	v_min_u32_e32 v9, 32, v9
	v_subrev_nc_u32_e32 v41, 28, v9
	v_lshlrev_b64 v[43:44], v41, v[1:2]
	v_sub_nc_u32_e32 v41, 29, v9
	v_and_b32_e32 v9, 7, v43
; %bb.110:                              ;   in Loop: Header=BB254_12 Depth=1
	s_or_b32 exec_lo, exec_lo, s43
	v_lshlrev_b32_e32 v1, 8, v1
	v_lshl_add_u32 v41, v41, 10, 0x2000
	v_lshlrev_b32_e32 v9, 23, v9
	v_and_or_b32 v1, 0x8000, v1, v41
	v_lshl_or_b32 v41, v1, 16, v9
.LBB254_111:                            ;   in Loop: Header=BB254_12 Depth=1
	s_or_b32 exec_lo, exec_lo, s42
.LBB254_112:                            ;   in Loop: Header=BB254_12 Depth=1
	s_or_b32 exec_lo, exec_lo, s41
.LBB254_113:                            ;   in Loop: Header=BB254_12 Depth=1
	s_or_b32 exec_lo, exec_lo, s40
	global_load_dword v9, v[7:8], off offset:264
	v_mov_b32_e32 v43, 0
	v_mov_b32_e32 v44, 0
	s_waitcnt vmcnt(0)
	v_cmp_ne_u16_sdwa s2, v9, v2 src0_sel:BYTE_0 src1_sel:DWORD
	s_and_saveexec_b32 s40, s2
	s_cbranch_execz .LBB254_121
; %bb.114:                              ;   in Loop: Header=BB254_12 Depth=1
	v_cmp_ne_u16_sdwa s2, v9, v22 src0_sel:BYTE_0 src1_sel:DWORD
	v_mov_b32_e32 v44, 0x8000
	s_and_saveexec_b32 s41, s2
	s_cbranch_execz .LBB254_120
; %bb.115:                              ;   in Loop: Header=BB254_12 Depth=1
	v_and_b32_e32 v45, 0x7f, v9
	v_mov_b32_e32 v44, 0x7c01
	s_mov_b32 s42, exec_lo
	v_cmpx_ne_u32_e32 0x7f, v45
	s_cbranch_execz .LBB254_119
; %bb.116:                              ;   in Loop: Header=BB254_12 Depth=1
	v_and_b32_e32 v1, 7, v9
	v_lshrrev_b32_e32 v44, 3, v45
	s_mov_b32 s43, exec_lo
	v_cmpx_gt_u32_e32 8, v45
; %bb.117:                              ;   in Loop: Header=BB254_12 Depth=1
	v_ffbh_u32_e32 v1, v1
	v_min_u32_e32 v1, 32, v1
	v_subrev_nc_u32_e32 v44, 28, v1
	v_lshlrev_b64 v[45:46], v44, v[9:10]
	v_sub_nc_u32_e32 v44, 29, v1
	v_and_b32_e32 v1, 7, v45
; %bb.118:                              ;   in Loop: Header=BB254_12 Depth=1
	s_or_b32 exec_lo, exec_lo, s43
	v_lshlrev_b32_e32 v45, 8, v9
	v_lshl_add_u32 v44, v44, 10, 0x2000
	v_lshlrev_b32_e32 v1, 7, v1
	v_and_b32_e32 v45, 0x8000, v45
	v_and_b32_e32 v44, 0xfc00, v44
	v_or3_b32 v44, v45, v44, v1
.LBB254_119:                            ;   in Loop: Header=BB254_12 Depth=1
	s_or_b32 exec_lo, exec_lo, s42
.LBB254_120:                            ;   in Loop: Header=BB254_12 Depth=1
	s_or_b32 exec_lo, exec_lo, s41
.LBB254_121:                            ;   in Loop: Header=BB254_12 Depth=1
	s_or_b32 exec_lo, exec_lo, s40
	v_lshrrev_b16 v1, 8, v9
	s_mov_b32 s40, exec_lo
	v_cmpx_ne_u16_e32 0, v1
	s_cbranch_execz .LBB254_129
; %bb.122:                              ;   in Loop: Header=BB254_12 Depth=1
	v_bfrev_b32_e32 v43, 1
	s_mov_b32 s41, exec_lo
	v_cmpx_ne_u16_e32 0x80, v1
	s_cbranch_execz .LBB254_128
; %bb.123:                              ;   in Loop: Header=BB254_12 Depth=1
	v_and_b32_sdwa v46, v1, v23 dst_sel:DWORD dst_unused:UNUSED_PAD src0_sel:WORD_0 src1_sel:DWORD
	v_mov_b32_e32 v43, 0x7c010000
	s_mov_b32 s42, exec_lo
	v_cmpx_ne_u32_e32 0x7f, v46
	s_cbranch_execz .LBB254_127
; %bb.124:                              ;   in Loop: Header=BB254_12 Depth=1
	v_and_b32_sdwa v43, v1, v24 dst_sel:DWORD dst_unused:UNUSED_PAD src0_sel:WORD_0 src1_sel:DWORD
	v_lshrrev_b32_e32 v45, 3, v46
	s_mov_b32 s43, exec_lo
	v_cmpx_gt_u32_e32 8, v46
; %bb.125:                              ;   in Loop: Header=BB254_12 Depth=1
	v_ffbh_u32_e32 v43, v43
	v_min_u32_e32 v43, 32, v43
	v_subrev_nc_u32_e32 v45, 28, v43
	v_lshlrev_b64 v[46:47], v45, v[1:2]
	v_sub_nc_u32_e32 v45, 29, v43
	v_and_b32_e32 v43, 7, v46
; %bb.126:                              ;   in Loop: Header=BB254_12 Depth=1
	s_or_b32 exec_lo, exec_lo, s43
	v_lshlrev_b32_sdwa v1, v25, v1 dst_sel:DWORD dst_unused:UNUSED_PAD src0_sel:DWORD src1_sel:WORD_0
	v_lshl_add_u32 v45, v45, 10, 0x2000
	v_lshlrev_b32_e32 v43, 23, v43
	v_and_or_b32 v1, 0x8000, v1, v45
	v_lshl_or_b32 v43, v1, 16, v43
.LBB254_127:                            ;   in Loop: Header=BB254_12 Depth=1
	s_or_b32 exec_lo, exec_lo, s42
.LBB254_128:                            ;   in Loop: Header=BB254_12 Depth=1
	s_or_b32 exec_lo, exec_lo, s41
.LBB254_129:                            ;   in Loop: Header=BB254_12 Depth=1
	s_or_b32 exec_lo, exec_lo, s40
	v_lshrrev_b32_e32 v1, 16, v9
	v_mov_b32_e32 v45, 0
	v_mov_b32_e32 v46, 0
	v_cmp_ne_u16_sdwa s2, v1, v2 src0_sel:BYTE_0 src1_sel:DWORD
	s_and_saveexec_b32 s40, s2
	s_cbranch_execz .LBB254_137
; %bb.130:                              ;   in Loop: Header=BB254_12 Depth=1
	v_cmp_ne_u16_sdwa s2, v1, v22 src0_sel:BYTE_0 src1_sel:DWORD
	v_mov_b32_e32 v46, 0x8000
	s_and_saveexec_b32 s41, s2
	s_cbranch_execz .LBB254_136
; %bb.131:                              ;   in Loop: Header=BB254_12 Depth=1
	v_bfe_u32 v48, v9, 16, 7
	v_mov_b32_e32 v46, 0x7c01
	s_mov_b32 s42, exec_lo
	v_cmpx_ne_u32_e32 0x7f, v48
	s_cbranch_execz .LBB254_135
; %bb.132:                              ;   in Loop: Header=BB254_12 Depth=1
	v_and_b32_e32 v46, 7, v1
	v_lshrrev_b32_e32 v47, 3, v48
	s_mov_b32 s43, exec_lo
	v_cmpx_gt_u32_e32 8, v48
; %bb.133:                              ;   in Loop: Header=BB254_12 Depth=1
	v_ffbh_u32_e32 v46, v46
	v_min_u32_e32 v48, 32, v46
	v_subrev_nc_u32_e32 v46, 28, v48
	v_lshlrev_b64 v[46:47], v46, v[1:2]
	v_sub_nc_u32_e32 v47, 29, v48
	v_and_b32_e32 v46, 7, v46
; %bb.134:                              ;   in Loop: Header=BB254_12 Depth=1
	s_or_b32 exec_lo, exec_lo, s43
	v_lshlrev_b32_e32 v1, 8, v1
	v_lshl_add_u32 v47, v47, 10, 0x2000
	v_lshlrev_b32_e32 v46, 7, v46
	v_and_b32_e32 v1, 0x8000, v1
	v_and_b32_e32 v47, 0xfc00, v47
	v_or3_b32 v46, v1, v47, v46
.LBB254_135:                            ;   in Loop: Header=BB254_12 Depth=1
	s_or_b32 exec_lo, exec_lo, s42
.LBB254_136:                            ;   in Loop: Header=BB254_12 Depth=1
	s_or_b32 exec_lo, exec_lo, s41
.LBB254_137:                            ;   in Loop: Header=BB254_12 Depth=1
	s_or_b32 exec_lo, exec_lo, s40
	s_mov_b32 s40, exec_lo
	v_cmpx_lt_u32_e32 0xffffff, v9
	s_cbranch_execz .LBB254_145
; %bb.138:                              ;   in Loop: Header=BB254_12 Depth=1
	v_lshrrev_b32_e32 v1, 24, v9
	v_bfrev_b32_e32 v45, 1
	s_mov_b32 s41, exec_lo
	v_cmpx_ne_u32_e32 0x80, v1
	s_cbranch_execz .LBB254_144
; %bb.139:                              ;   in Loop: Header=BB254_12 Depth=1
	v_and_b32_e32 v47, 0x7f, v1
	v_mov_b32_e32 v45, 0x7c010000
	s_mov_b32 s42, exec_lo
	v_cmpx_ne_u32_e32 0x7f, v47
	s_cbranch_execz .LBB254_143
; %bb.140:                              ;   in Loop: Header=BB254_12 Depth=1
	v_and_b32_e32 v9, 7, v1
	v_lshrrev_b32_e32 v45, 3, v47
	s_mov_b32 s43, exec_lo
	v_cmpx_gt_u32_e32 8, v47
; %bb.141:                              ;   in Loop: Header=BB254_12 Depth=1
	v_ffbh_u32_e32 v9, v9
	v_min_u32_e32 v9, 32, v9
	v_subrev_nc_u32_e32 v45, 28, v9
	v_lshlrev_b64 v[47:48], v45, v[1:2]
	v_sub_nc_u32_e32 v45, 29, v9
	v_and_b32_e32 v9, 7, v47
; %bb.142:                              ;   in Loop: Header=BB254_12 Depth=1
	s_or_b32 exec_lo, exec_lo, s43
	v_lshlrev_b32_e32 v1, 8, v1
	v_lshl_add_u32 v45, v45, 10, 0x2000
	v_lshlrev_b32_e32 v9, 23, v9
	v_and_or_b32 v1, 0x8000, v1, v45
	v_lshl_or_b32 v45, v1, 16, v9
.LBB254_143:                            ;   in Loop: Header=BB254_12 Depth=1
	s_or_b32 exec_lo, exec_lo, s42
.LBB254_144:                            ;   in Loop: Header=BB254_12 Depth=1
	s_or_b32 exec_lo, exec_lo, s41
.LBB254_145:                            ;   in Loop: Header=BB254_12 Depth=1
	s_or_b32 exec_lo, exec_lo, s40
	global_load_dword v9, v[7:8], off offset:512
	v_mov_b32_e32 v47, 0
	v_mov_b32_e32 v48, 0
	s_waitcnt vmcnt(0)
	v_cmp_ne_u16_sdwa s2, v9, v2 src0_sel:BYTE_0 src1_sel:DWORD
	s_and_saveexec_b32 s40, s2
	s_cbranch_execz .LBB254_153
; %bb.146:                              ;   in Loop: Header=BB254_12 Depth=1
	v_cmp_ne_u16_sdwa s2, v9, v22 src0_sel:BYTE_0 src1_sel:DWORD
	v_mov_b32_e32 v48, 0x8000
	s_and_saveexec_b32 s41, s2
	s_cbranch_execz .LBB254_152
; %bb.147:                              ;   in Loop: Header=BB254_12 Depth=1
	v_and_b32_e32 v49, 0x7f, v9
	v_mov_b32_e32 v48, 0x7c01
	s_mov_b32 s42, exec_lo
	v_cmpx_ne_u32_e32 0x7f, v49
	s_cbranch_execz .LBB254_151
; %bb.148:                              ;   in Loop: Header=BB254_12 Depth=1
	v_and_b32_e32 v1, 7, v9
	v_lshrrev_b32_e32 v48, 3, v49
	s_mov_b32 s43, exec_lo
	v_cmpx_gt_u32_e32 8, v49
; %bb.149:                              ;   in Loop: Header=BB254_12 Depth=1
	v_ffbh_u32_e32 v1, v1
	v_min_u32_e32 v1, 32, v1
	v_subrev_nc_u32_e32 v48, 28, v1
	v_lshlrev_b64 v[49:50], v48, v[9:10]
	v_sub_nc_u32_e32 v48, 29, v1
	v_and_b32_e32 v1, 7, v49
; %bb.150:                              ;   in Loop: Header=BB254_12 Depth=1
	s_or_b32 exec_lo, exec_lo, s43
	v_lshlrev_b32_e32 v49, 8, v9
	v_lshl_add_u32 v48, v48, 10, 0x2000
	v_lshlrev_b32_e32 v1, 7, v1
	v_and_b32_e32 v49, 0x8000, v49
	v_and_b32_e32 v48, 0xfc00, v48
	v_or3_b32 v48, v49, v48, v1
.LBB254_151:                            ;   in Loop: Header=BB254_12 Depth=1
	s_or_b32 exec_lo, exec_lo, s42
.LBB254_152:                            ;   in Loop: Header=BB254_12 Depth=1
	s_or_b32 exec_lo, exec_lo, s41
.LBB254_153:                            ;   in Loop: Header=BB254_12 Depth=1
	s_or_b32 exec_lo, exec_lo, s40
	v_lshrrev_b16 v1, 8, v9
	s_mov_b32 s40, exec_lo
	v_cmpx_ne_u16_e32 0, v1
	s_cbranch_execz .LBB254_161
; %bb.154:                              ;   in Loop: Header=BB254_12 Depth=1
	v_bfrev_b32_e32 v47, 1
	s_mov_b32 s41, exec_lo
	v_cmpx_ne_u16_e32 0x80, v1
	s_cbranch_execz .LBB254_160
; %bb.155:                              ;   in Loop: Header=BB254_12 Depth=1
	v_and_b32_sdwa v50, v1, v23 dst_sel:DWORD dst_unused:UNUSED_PAD src0_sel:WORD_0 src1_sel:DWORD
	v_mov_b32_e32 v47, 0x7c010000
	s_mov_b32 s42, exec_lo
	v_cmpx_ne_u32_e32 0x7f, v50
	s_cbranch_execz .LBB254_159
; %bb.156:                              ;   in Loop: Header=BB254_12 Depth=1
	v_and_b32_sdwa v47, v1, v24 dst_sel:DWORD dst_unused:UNUSED_PAD src0_sel:WORD_0 src1_sel:DWORD
	v_lshrrev_b32_e32 v49, 3, v50
	s_mov_b32 s43, exec_lo
	v_cmpx_gt_u32_e32 8, v50
; %bb.157:                              ;   in Loop: Header=BB254_12 Depth=1
	v_ffbh_u32_e32 v47, v47
	v_min_u32_e32 v47, 32, v47
	v_subrev_nc_u32_e32 v49, 28, v47
	v_lshlrev_b64 v[50:51], v49, v[1:2]
	v_sub_nc_u32_e32 v49, 29, v47
	v_and_b32_e32 v47, 7, v50
; %bb.158:                              ;   in Loop: Header=BB254_12 Depth=1
	s_or_b32 exec_lo, exec_lo, s43
	v_lshlrev_b32_sdwa v1, v25, v1 dst_sel:DWORD dst_unused:UNUSED_PAD src0_sel:DWORD src1_sel:WORD_0
	v_lshl_add_u32 v49, v49, 10, 0x2000
	v_lshlrev_b32_e32 v47, 23, v47
	v_and_or_b32 v1, 0x8000, v1, v49
	v_lshl_or_b32 v47, v1, 16, v47
.LBB254_159:                            ;   in Loop: Header=BB254_12 Depth=1
	s_or_b32 exec_lo, exec_lo, s42
.LBB254_160:                            ;   in Loop: Header=BB254_12 Depth=1
	s_or_b32 exec_lo, exec_lo, s41
.LBB254_161:                            ;   in Loop: Header=BB254_12 Depth=1
	s_or_b32 exec_lo, exec_lo, s40
	v_lshrrev_b32_e32 v1, 16, v9
	v_mov_b32_e32 v49, 0
	v_mov_b32_e32 v50, 0
	v_cmp_ne_u16_sdwa s2, v1, v2 src0_sel:BYTE_0 src1_sel:DWORD
	s_and_saveexec_b32 s40, s2
	s_cbranch_execz .LBB254_169
; %bb.162:                              ;   in Loop: Header=BB254_12 Depth=1
	v_cmp_ne_u16_sdwa s2, v1, v22 src0_sel:BYTE_0 src1_sel:DWORD
	v_mov_b32_e32 v50, 0x8000
	s_and_saveexec_b32 s41, s2
	s_cbranch_execz .LBB254_168
; %bb.163:                              ;   in Loop: Header=BB254_12 Depth=1
	v_bfe_u32 v52, v9, 16, 7
	v_mov_b32_e32 v50, 0x7c01
	s_mov_b32 s42, exec_lo
	v_cmpx_ne_u32_e32 0x7f, v52
	s_cbranch_execz .LBB254_167
; %bb.164:                              ;   in Loop: Header=BB254_12 Depth=1
	v_and_b32_e32 v50, 7, v1
	v_lshrrev_b32_e32 v51, 3, v52
	s_mov_b32 s43, exec_lo
	v_cmpx_gt_u32_e32 8, v52
; %bb.165:                              ;   in Loop: Header=BB254_12 Depth=1
	v_ffbh_u32_e32 v50, v50
	v_min_u32_e32 v52, 32, v50
	v_subrev_nc_u32_e32 v50, 28, v52
	v_lshlrev_b64 v[50:51], v50, v[1:2]
	v_sub_nc_u32_e32 v51, 29, v52
	v_and_b32_e32 v50, 7, v50
; %bb.166:                              ;   in Loop: Header=BB254_12 Depth=1
	s_or_b32 exec_lo, exec_lo, s43
	v_lshlrev_b32_e32 v1, 8, v1
	v_lshl_add_u32 v51, v51, 10, 0x2000
	v_lshlrev_b32_e32 v50, 7, v50
	v_and_b32_e32 v1, 0x8000, v1
	v_and_b32_e32 v51, 0xfc00, v51
	v_or3_b32 v50, v1, v51, v50
.LBB254_167:                            ;   in Loop: Header=BB254_12 Depth=1
	s_or_b32 exec_lo, exec_lo, s42
.LBB254_168:                            ;   in Loop: Header=BB254_12 Depth=1
	s_or_b32 exec_lo, exec_lo, s41
.LBB254_169:                            ;   in Loop: Header=BB254_12 Depth=1
	s_or_b32 exec_lo, exec_lo, s40
	s_mov_b32 s40, exec_lo
	v_cmpx_lt_u32_e32 0xffffff, v9
	s_cbranch_execz .LBB254_177
; %bb.170:                              ;   in Loop: Header=BB254_12 Depth=1
	v_lshrrev_b32_e32 v1, 24, v9
	v_bfrev_b32_e32 v49, 1
	s_mov_b32 s41, exec_lo
	v_cmpx_ne_u32_e32 0x80, v1
	s_cbranch_execz .LBB254_176
; %bb.171:                              ;   in Loop: Header=BB254_12 Depth=1
	v_and_b32_e32 v51, 0x7f, v1
	v_mov_b32_e32 v49, 0x7c010000
	s_mov_b32 s42, exec_lo
	v_cmpx_ne_u32_e32 0x7f, v51
	s_cbranch_execz .LBB254_175
; %bb.172:                              ;   in Loop: Header=BB254_12 Depth=1
	v_and_b32_e32 v9, 7, v1
	v_lshrrev_b32_e32 v49, 3, v51
	s_mov_b32 s43, exec_lo
	v_cmpx_gt_u32_e32 8, v51
; %bb.173:                              ;   in Loop: Header=BB254_12 Depth=1
	v_ffbh_u32_e32 v9, v9
	v_min_u32_e32 v9, 32, v9
	v_subrev_nc_u32_e32 v49, 28, v9
	v_lshlrev_b64 v[51:52], v49, v[1:2]
	v_sub_nc_u32_e32 v49, 29, v9
	v_and_b32_e32 v9, 7, v51
; %bb.174:                              ;   in Loop: Header=BB254_12 Depth=1
	s_or_b32 exec_lo, exec_lo, s43
	v_lshlrev_b32_e32 v1, 8, v1
	v_lshl_add_u32 v49, v49, 10, 0x2000
	v_lshlrev_b32_e32 v9, 23, v9
	v_and_or_b32 v1, 0x8000, v1, v49
	v_lshl_or_b32 v49, v1, 16, v9
.LBB254_175:                            ;   in Loop: Header=BB254_12 Depth=1
	s_or_b32 exec_lo, exec_lo, s42
.LBB254_176:                            ;   in Loop: Header=BB254_12 Depth=1
	s_or_b32 exec_lo, exec_lo, s41
.LBB254_177:                            ;   in Loop: Header=BB254_12 Depth=1
	s_or_b32 exec_lo, exec_lo, s40
	global_load_dword v9, v[7:8], off offset:520
	v_mov_b32_e32 v51, 0
	v_mov_b32_e32 v52, 0
	s_waitcnt vmcnt(0)
	v_cmp_ne_u16_sdwa s2, v9, v2 src0_sel:BYTE_0 src1_sel:DWORD
	s_and_saveexec_b32 s40, s2
	s_cbranch_execz .LBB254_185
; %bb.178:                              ;   in Loop: Header=BB254_12 Depth=1
	v_cmp_ne_u16_sdwa s2, v9, v22 src0_sel:BYTE_0 src1_sel:DWORD
	v_mov_b32_e32 v52, 0x8000
	s_and_saveexec_b32 s41, s2
	s_cbranch_execz .LBB254_184
; %bb.179:                              ;   in Loop: Header=BB254_12 Depth=1
	v_and_b32_e32 v53, 0x7f, v9
	v_mov_b32_e32 v52, 0x7c01
	s_mov_b32 s42, exec_lo
	v_cmpx_ne_u32_e32 0x7f, v53
	s_cbranch_execz .LBB254_183
; %bb.180:                              ;   in Loop: Header=BB254_12 Depth=1
	v_and_b32_e32 v1, 7, v9
	v_lshrrev_b32_e32 v52, 3, v53
	s_mov_b32 s43, exec_lo
	v_cmpx_gt_u32_e32 8, v53
; %bb.181:                              ;   in Loop: Header=BB254_12 Depth=1
	v_ffbh_u32_e32 v1, v1
	v_min_u32_e32 v1, 32, v1
	v_subrev_nc_u32_e32 v52, 28, v1
	v_lshlrev_b64 v[53:54], v52, v[9:10]
	v_sub_nc_u32_e32 v52, 29, v1
	v_and_b32_e32 v1, 7, v53
; %bb.182:                              ;   in Loop: Header=BB254_12 Depth=1
	s_or_b32 exec_lo, exec_lo, s43
	v_lshlrev_b32_e32 v53, 8, v9
	v_lshl_add_u32 v52, v52, 10, 0x2000
	v_lshlrev_b32_e32 v1, 7, v1
	v_and_b32_e32 v53, 0x8000, v53
	v_and_b32_e32 v52, 0xfc00, v52
	v_or3_b32 v52, v53, v52, v1
.LBB254_183:                            ;   in Loop: Header=BB254_12 Depth=1
	s_or_b32 exec_lo, exec_lo, s42
.LBB254_184:                            ;   in Loop: Header=BB254_12 Depth=1
	s_or_b32 exec_lo, exec_lo, s41
.LBB254_185:                            ;   in Loop: Header=BB254_12 Depth=1
	s_or_b32 exec_lo, exec_lo, s40
	v_lshrrev_b16 v1, 8, v9
	s_mov_b32 s40, exec_lo
	v_cmpx_ne_u16_e32 0, v1
	s_cbranch_execz .LBB254_193
; %bb.186:                              ;   in Loop: Header=BB254_12 Depth=1
	v_bfrev_b32_e32 v51, 1
	s_mov_b32 s41, exec_lo
	v_cmpx_ne_u16_e32 0x80, v1
	s_cbranch_execz .LBB254_192
; %bb.187:                              ;   in Loop: Header=BB254_12 Depth=1
	v_and_b32_sdwa v54, v1, v23 dst_sel:DWORD dst_unused:UNUSED_PAD src0_sel:WORD_0 src1_sel:DWORD
	v_mov_b32_e32 v51, 0x7c010000
	s_mov_b32 s42, exec_lo
	v_cmpx_ne_u32_e32 0x7f, v54
	s_cbranch_execz .LBB254_191
; %bb.188:                              ;   in Loop: Header=BB254_12 Depth=1
	v_and_b32_sdwa v51, v1, v24 dst_sel:DWORD dst_unused:UNUSED_PAD src0_sel:WORD_0 src1_sel:DWORD
	v_lshrrev_b32_e32 v53, 3, v54
	s_mov_b32 s43, exec_lo
	v_cmpx_gt_u32_e32 8, v54
; %bb.189:                              ;   in Loop: Header=BB254_12 Depth=1
	v_ffbh_u32_e32 v51, v51
	v_min_u32_e32 v51, 32, v51
	v_subrev_nc_u32_e32 v53, 28, v51
	v_lshlrev_b64 v[54:55], v53, v[1:2]
	v_sub_nc_u32_e32 v53, 29, v51
	v_and_b32_e32 v51, 7, v54
; %bb.190:                              ;   in Loop: Header=BB254_12 Depth=1
	s_or_b32 exec_lo, exec_lo, s43
	v_lshlrev_b32_sdwa v1, v25, v1 dst_sel:DWORD dst_unused:UNUSED_PAD src0_sel:DWORD src1_sel:WORD_0
	v_lshl_add_u32 v53, v53, 10, 0x2000
	v_lshlrev_b32_e32 v51, 23, v51
	v_and_or_b32 v1, 0x8000, v1, v53
	v_lshl_or_b32 v51, v1, 16, v51
.LBB254_191:                            ;   in Loop: Header=BB254_12 Depth=1
	s_or_b32 exec_lo, exec_lo, s42
.LBB254_192:                            ;   in Loop: Header=BB254_12 Depth=1
	s_or_b32 exec_lo, exec_lo, s41
.LBB254_193:                            ;   in Loop: Header=BB254_12 Depth=1
	s_or_b32 exec_lo, exec_lo, s40
	v_lshrrev_b32_e32 v1, 16, v9
	v_mov_b32_e32 v53, 0
	v_mov_b32_e32 v54, 0
	v_cmp_ne_u16_sdwa s2, v1, v2 src0_sel:BYTE_0 src1_sel:DWORD
	s_and_saveexec_b32 s40, s2
	s_cbranch_execz .LBB254_201
; %bb.194:                              ;   in Loop: Header=BB254_12 Depth=1
	v_cmp_ne_u16_sdwa s2, v1, v22 src0_sel:BYTE_0 src1_sel:DWORD
	v_mov_b32_e32 v54, 0x8000
	s_and_saveexec_b32 s41, s2
	s_cbranch_execz .LBB254_200
; %bb.195:                              ;   in Loop: Header=BB254_12 Depth=1
	v_bfe_u32 v56, v9, 16, 7
	v_mov_b32_e32 v54, 0x7c01
	s_mov_b32 s42, exec_lo
	v_cmpx_ne_u32_e32 0x7f, v56
	s_cbranch_execz .LBB254_199
; %bb.196:                              ;   in Loop: Header=BB254_12 Depth=1
	v_and_b32_e32 v54, 7, v1
	v_lshrrev_b32_e32 v55, 3, v56
	s_mov_b32 s43, exec_lo
	v_cmpx_gt_u32_e32 8, v56
; %bb.197:                              ;   in Loop: Header=BB254_12 Depth=1
	v_ffbh_u32_e32 v54, v54
	v_min_u32_e32 v56, 32, v54
	v_subrev_nc_u32_e32 v54, 28, v56
	v_lshlrev_b64 v[54:55], v54, v[1:2]
	v_sub_nc_u32_e32 v55, 29, v56
	v_and_b32_e32 v54, 7, v54
; %bb.198:                              ;   in Loop: Header=BB254_12 Depth=1
	s_or_b32 exec_lo, exec_lo, s43
	v_lshlrev_b32_e32 v1, 8, v1
	v_lshl_add_u32 v55, v55, 10, 0x2000
	v_lshlrev_b32_e32 v54, 7, v54
	v_and_b32_e32 v1, 0x8000, v1
	v_and_b32_e32 v55, 0xfc00, v55
	v_or3_b32 v54, v1, v55, v54
.LBB254_199:                            ;   in Loop: Header=BB254_12 Depth=1
	s_or_b32 exec_lo, exec_lo, s42
.LBB254_200:                            ;   in Loop: Header=BB254_12 Depth=1
	s_or_b32 exec_lo, exec_lo, s41
.LBB254_201:                            ;   in Loop: Header=BB254_12 Depth=1
	s_or_b32 exec_lo, exec_lo, s40
	s_mov_b32 s40, exec_lo
	v_cmpx_lt_u32_e32 0xffffff, v9
	s_cbranch_execz .LBB254_209
; %bb.202:                              ;   in Loop: Header=BB254_12 Depth=1
	v_lshrrev_b32_e32 v1, 24, v9
	v_bfrev_b32_e32 v53, 1
	s_mov_b32 s41, exec_lo
	v_cmpx_ne_u32_e32 0x80, v1
	s_cbranch_execz .LBB254_208
; %bb.203:                              ;   in Loop: Header=BB254_12 Depth=1
	v_and_b32_e32 v55, 0x7f, v1
	v_mov_b32_e32 v53, 0x7c010000
	s_mov_b32 s42, exec_lo
	v_cmpx_ne_u32_e32 0x7f, v55
	s_cbranch_execz .LBB254_207
; %bb.204:                              ;   in Loop: Header=BB254_12 Depth=1
	v_and_b32_e32 v9, 7, v1
	v_lshrrev_b32_e32 v53, 3, v55
	s_mov_b32 s43, exec_lo
	v_cmpx_gt_u32_e32 8, v55
; %bb.205:                              ;   in Loop: Header=BB254_12 Depth=1
	v_ffbh_u32_e32 v9, v9
	v_min_u32_e32 v9, 32, v9
	v_subrev_nc_u32_e32 v53, 28, v9
	v_lshlrev_b64 v[55:56], v53, v[1:2]
	v_sub_nc_u32_e32 v53, 29, v9
	v_and_b32_e32 v9, 7, v55
; %bb.206:                              ;   in Loop: Header=BB254_12 Depth=1
	s_or_b32 exec_lo, exec_lo, s43
	v_lshlrev_b32_e32 v1, 8, v1
	v_lshl_add_u32 v53, v53, 10, 0x2000
	v_lshlrev_b32_e32 v9, 23, v9
	v_and_or_b32 v1, 0x8000, v1, v53
	v_lshl_or_b32 v53, v1, 16, v9
.LBB254_207:                            ;   in Loop: Header=BB254_12 Depth=1
	s_or_b32 exec_lo, exec_lo, s42
.LBB254_208:                            ;   in Loop: Header=BB254_12 Depth=1
	s_or_b32 exec_lo, exec_lo, s41
.LBB254_209:                            ;   in Loop: Header=BB254_12 Depth=1
	s_or_b32 exec_lo, exec_lo, s40
	global_load_dword v9, v[7:8], off offset:768
	v_mov_b32_e32 v55, 0
	v_mov_b32_e32 v56, 0
	s_waitcnt vmcnt(0)
	v_cmp_ne_u16_sdwa s2, v9, v2 src0_sel:BYTE_0 src1_sel:DWORD
	s_and_saveexec_b32 s40, s2
	s_cbranch_execz .LBB254_217
; %bb.210:                              ;   in Loop: Header=BB254_12 Depth=1
	v_cmp_ne_u16_sdwa s2, v9, v22 src0_sel:BYTE_0 src1_sel:DWORD
	v_mov_b32_e32 v56, 0x8000
	s_and_saveexec_b32 s41, s2
	s_cbranch_execz .LBB254_216
; %bb.211:                              ;   in Loop: Header=BB254_12 Depth=1
	v_and_b32_e32 v57, 0x7f, v9
	v_mov_b32_e32 v56, 0x7c01
	s_mov_b32 s42, exec_lo
	v_cmpx_ne_u32_e32 0x7f, v57
	s_cbranch_execz .LBB254_215
; %bb.212:                              ;   in Loop: Header=BB254_12 Depth=1
	v_and_b32_e32 v1, 7, v9
	v_lshrrev_b32_e32 v56, 3, v57
	s_mov_b32 s43, exec_lo
	v_cmpx_gt_u32_e32 8, v57
; %bb.213:                              ;   in Loop: Header=BB254_12 Depth=1
	v_ffbh_u32_e32 v1, v1
	v_min_u32_e32 v1, 32, v1
	v_subrev_nc_u32_e32 v56, 28, v1
	v_lshlrev_b64 v[57:58], v56, v[9:10]
	v_sub_nc_u32_e32 v56, 29, v1
	v_and_b32_e32 v1, 7, v57
; %bb.214:                              ;   in Loop: Header=BB254_12 Depth=1
	s_or_b32 exec_lo, exec_lo, s43
	v_lshlrev_b32_e32 v57, 8, v9
	v_lshl_add_u32 v56, v56, 10, 0x2000
	v_lshlrev_b32_e32 v1, 7, v1
	v_and_b32_e32 v57, 0x8000, v57
	v_and_b32_e32 v56, 0xfc00, v56
	v_or3_b32 v56, v57, v56, v1
.LBB254_215:                            ;   in Loop: Header=BB254_12 Depth=1
	s_or_b32 exec_lo, exec_lo, s42
.LBB254_216:                            ;   in Loop: Header=BB254_12 Depth=1
	s_or_b32 exec_lo, exec_lo, s41
.LBB254_217:                            ;   in Loop: Header=BB254_12 Depth=1
	s_or_b32 exec_lo, exec_lo, s40
	v_lshrrev_b16 v1, 8, v9
	s_mov_b32 s40, exec_lo
	v_cmpx_ne_u16_e32 0, v1
	s_cbranch_execz .LBB254_225
; %bb.218:                              ;   in Loop: Header=BB254_12 Depth=1
	v_bfrev_b32_e32 v55, 1
	s_mov_b32 s41, exec_lo
	v_cmpx_ne_u16_e32 0x80, v1
	s_cbranch_execz .LBB254_224
; %bb.219:                              ;   in Loop: Header=BB254_12 Depth=1
	v_and_b32_sdwa v58, v1, v23 dst_sel:DWORD dst_unused:UNUSED_PAD src0_sel:WORD_0 src1_sel:DWORD
	v_mov_b32_e32 v55, 0x7c010000
	s_mov_b32 s42, exec_lo
	v_cmpx_ne_u32_e32 0x7f, v58
	s_cbranch_execz .LBB254_223
; %bb.220:                              ;   in Loop: Header=BB254_12 Depth=1
	v_and_b32_sdwa v55, v1, v24 dst_sel:DWORD dst_unused:UNUSED_PAD src0_sel:WORD_0 src1_sel:DWORD
	v_lshrrev_b32_e32 v57, 3, v58
	s_mov_b32 s43, exec_lo
	v_cmpx_gt_u32_e32 8, v58
; %bb.221:                              ;   in Loop: Header=BB254_12 Depth=1
	v_ffbh_u32_e32 v55, v55
	v_min_u32_e32 v55, 32, v55
	v_subrev_nc_u32_e32 v57, 28, v55
	v_lshlrev_b64 v[58:59], v57, v[1:2]
	v_sub_nc_u32_e32 v57, 29, v55
	v_and_b32_e32 v55, 7, v58
; %bb.222:                              ;   in Loop: Header=BB254_12 Depth=1
	s_or_b32 exec_lo, exec_lo, s43
	v_lshlrev_b32_sdwa v1, v25, v1 dst_sel:DWORD dst_unused:UNUSED_PAD src0_sel:DWORD src1_sel:WORD_0
	v_lshl_add_u32 v57, v57, 10, 0x2000
	v_lshlrev_b32_e32 v55, 23, v55
	v_and_or_b32 v1, 0x8000, v1, v57
	v_lshl_or_b32 v55, v1, 16, v55
.LBB254_223:                            ;   in Loop: Header=BB254_12 Depth=1
	s_or_b32 exec_lo, exec_lo, s42
.LBB254_224:                            ;   in Loop: Header=BB254_12 Depth=1
	s_or_b32 exec_lo, exec_lo, s41
.LBB254_225:                            ;   in Loop: Header=BB254_12 Depth=1
	s_or_b32 exec_lo, exec_lo, s40
	v_lshrrev_b32_e32 v1, 16, v9
	v_mov_b32_e32 v57, 0
	v_mov_b32_e32 v58, 0
	v_cmp_ne_u16_sdwa s2, v1, v2 src0_sel:BYTE_0 src1_sel:DWORD
	s_and_saveexec_b32 s40, s2
	s_cbranch_execz .LBB254_233
; %bb.226:                              ;   in Loop: Header=BB254_12 Depth=1
	v_cmp_ne_u16_sdwa s2, v1, v22 src0_sel:BYTE_0 src1_sel:DWORD
	v_mov_b32_e32 v58, 0x8000
	s_and_saveexec_b32 s41, s2
	s_cbranch_execz .LBB254_232
; %bb.227:                              ;   in Loop: Header=BB254_12 Depth=1
	v_bfe_u32 v60, v9, 16, 7
	v_mov_b32_e32 v58, 0x7c01
	s_mov_b32 s42, exec_lo
	v_cmpx_ne_u32_e32 0x7f, v60
	s_cbranch_execz .LBB254_231
; %bb.228:                              ;   in Loop: Header=BB254_12 Depth=1
	v_and_b32_e32 v58, 7, v1
	v_lshrrev_b32_e32 v59, 3, v60
	s_mov_b32 s43, exec_lo
	v_cmpx_gt_u32_e32 8, v60
; %bb.229:                              ;   in Loop: Header=BB254_12 Depth=1
	v_ffbh_u32_e32 v58, v58
	v_min_u32_e32 v60, 32, v58
	v_subrev_nc_u32_e32 v58, 28, v60
	v_lshlrev_b64 v[58:59], v58, v[1:2]
	v_sub_nc_u32_e32 v59, 29, v60
	v_and_b32_e32 v58, 7, v58
; %bb.230:                              ;   in Loop: Header=BB254_12 Depth=1
	s_or_b32 exec_lo, exec_lo, s43
	v_lshlrev_b32_e32 v1, 8, v1
	v_lshl_add_u32 v59, v59, 10, 0x2000
	v_lshlrev_b32_e32 v58, 7, v58
	v_and_b32_e32 v1, 0x8000, v1
	v_and_b32_e32 v59, 0xfc00, v59
	v_or3_b32 v58, v1, v59, v58
.LBB254_231:                            ;   in Loop: Header=BB254_12 Depth=1
	s_or_b32 exec_lo, exec_lo, s42
.LBB254_232:                            ;   in Loop: Header=BB254_12 Depth=1
	s_or_b32 exec_lo, exec_lo, s41
.LBB254_233:                            ;   in Loop: Header=BB254_12 Depth=1
	s_or_b32 exec_lo, exec_lo, s40
	s_mov_b32 s40, exec_lo
	v_cmpx_lt_u32_e32 0xffffff, v9
	s_cbranch_execz .LBB254_241
; %bb.234:                              ;   in Loop: Header=BB254_12 Depth=1
	v_lshrrev_b32_e32 v1, 24, v9
	v_bfrev_b32_e32 v57, 1
	s_mov_b32 s41, exec_lo
	v_cmpx_ne_u32_e32 0x80, v1
	s_cbranch_execz .LBB254_240
; %bb.235:                              ;   in Loop: Header=BB254_12 Depth=1
	v_and_b32_e32 v59, 0x7f, v1
	v_mov_b32_e32 v57, 0x7c010000
	s_mov_b32 s42, exec_lo
	v_cmpx_ne_u32_e32 0x7f, v59
	s_cbranch_execz .LBB254_239
; %bb.236:                              ;   in Loop: Header=BB254_12 Depth=1
	v_and_b32_e32 v9, 7, v1
	v_lshrrev_b32_e32 v57, 3, v59
	s_mov_b32 s43, exec_lo
	v_cmpx_gt_u32_e32 8, v59
; %bb.237:                              ;   in Loop: Header=BB254_12 Depth=1
	v_ffbh_u32_e32 v9, v9
	v_min_u32_e32 v9, 32, v9
	v_subrev_nc_u32_e32 v57, 28, v9
	v_lshlrev_b64 v[59:60], v57, v[1:2]
	v_sub_nc_u32_e32 v57, 29, v9
	v_and_b32_e32 v9, 7, v59
; %bb.238:                              ;   in Loop: Header=BB254_12 Depth=1
	s_or_b32 exec_lo, exec_lo, s43
	v_lshlrev_b32_e32 v1, 8, v1
	v_lshl_add_u32 v57, v57, 10, 0x2000
	v_lshlrev_b32_e32 v9, 23, v9
	v_and_or_b32 v1, 0x8000, v1, v57
	v_lshl_or_b32 v57, v1, 16, v9
.LBB254_239:                            ;   in Loop: Header=BB254_12 Depth=1
	s_or_b32 exec_lo, exec_lo, s42
.LBB254_240:                            ;   in Loop: Header=BB254_12 Depth=1
	s_or_b32 exec_lo, exec_lo, s41
.LBB254_241:                            ;   in Loop: Header=BB254_12 Depth=1
	s_or_b32 exec_lo, exec_lo, s40
	global_load_dword v9, v[7:8], off offset:776
	v_mov_b32_e32 v59, 0
	v_mov_b32_e32 v60, 0
	s_waitcnt vmcnt(0)
	v_cmp_ne_u16_sdwa s2, v9, v2 src0_sel:BYTE_0 src1_sel:DWORD
	s_and_saveexec_b32 s40, s2
	s_cbranch_execz .LBB254_249
; %bb.242:                              ;   in Loop: Header=BB254_12 Depth=1
	v_cmp_ne_u16_sdwa s2, v9, v22 src0_sel:BYTE_0 src1_sel:DWORD
	v_mov_b32_e32 v60, 0x8000
	s_and_saveexec_b32 s41, s2
	s_cbranch_execz .LBB254_248
; %bb.243:                              ;   in Loop: Header=BB254_12 Depth=1
	v_and_b32_e32 v61, 0x7f, v9
	v_mov_b32_e32 v60, 0x7c01
	s_mov_b32 s42, exec_lo
	v_cmpx_ne_u32_e32 0x7f, v61
	s_cbranch_execz .LBB254_247
; %bb.244:                              ;   in Loop: Header=BB254_12 Depth=1
	v_and_b32_e32 v1, 7, v9
	v_lshrrev_b32_e32 v60, 3, v61
	s_mov_b32 s43, exec_lo
	v_cmpx_gt_u32_e32 8, v61
; %bb.245:                              ;   in Loop: Header=BB254_12 Depth=1
	v_ffbh_u32_e32 v1, v1
	v_min_u32_e32 v1, 32, v1
	v_subrev_nc_u32_e32 v60, 28, v1
	v_lshlrev_b64 v[61:62], v60, v[9:10]
	v_sub_nc_u32_e32 v60, 29, v1
	v_and_b32_e32 v1, 7, v61
; %bb.246:                              ;   in Loop: Header=BB254_12 Depth=1
	s_or_b32 exec_lo, exec_lo, s43
	v_lshlrev_b32_e32 v61, 8, v9
	v_lshl_add_u32 v60, v60, 10, 0x2000
	v_lshlrev_b32_e32 v1, 7, v1
	v_and_b32_e32 v61, 0x8000, v61
	v_and_b32_e32 v60, 0xfc00, v60
	v_or3_b32 v60, v61, v60, v1
.LBB254_247:                            ;   in Loop: Header=BB254_12 Depth=1
	s_or_b32 exec_lo, exec_lo, s42
.LBB254_248:                            ;   in Loop: Header=BB254_12 Depth=1
	s_or_b32 exec_lo, exec_lo, s41
.LBB254_249:                            ;   in Loop: Header=BB254_12 Depth=1
	s_or_b32 exec_lo, exec_lo, s40
	v_lshrrev_b16 v1, 8, v9
	s_mov_b32 s40, exec_lo
	v_cmpx_ne_u16_e32 0, v1
	s_cbranch_execz .LBB254_257
; %bb.250:                              ;   in Loop: Header=BB254_12 Depth=1
	v_bfrev_b32_e32 v59, 1
	s_mov_b32 s41, exec_lo
	v_cmpx_ne_u16_e32 0x80, v1
	s_cbranch_execz .LBB254_256
; %bb.251:                              ;   in Loop: Header=BB254_12 Depth=1
	v_and_b32_sdwa v62, v1, v23 dst_sel:DWORD dst_unused:UNUSED_PAD src0_sel:WORD_0 src1_sel:DWORD
	v_mov_b32_e32 v59, 0x7c010000
	s_mov_b32 s42, exec_lo
	v_cmpx_ne_u32_e32 0x7f, v62
	s_cbranch_execz .LBB254_255
; %bb.252:                              ;   in Loop: Header=BB254_12 Depth=1
	v_and_b32_sdwa v59, v1, v24 dst_sel:DWORD dst_unused:UNUSED_PAD src0_sel:WORD_0 src1_sel:DWORD
	v_lshrrev_b32_e32 v61, 3, v62
	s_mov_b32 s43, exec_lo
	v_cmpx_gt_u32_e32 8, v62
; %bb.253:                              ;   in Loop: Header=BB254_12 Depth=1
	v_ffbh_u32_e32 v59, v59
	v_min_u32_e32 v59, 32, v59
	v_subrev_nc_u32_e32 v61, 28, v59
	v_lshlrev_b64 v[62:63], v61, v[1:2]
	v_sub_nc_u32_e32 v61, 29, v59
	v_and_b32_e32 v59, 7, v62
; %bb.254:                              ;   in Loop: Header=BB254_12 Depth=1
	s_or_b32 exec_lo, exec_lo, s43
	v_lshlrev_b32_sdwa v1, v25, v1 dst_sel:DWORD dst_unused:UNUSED_PAD src0_sel:DWORD src1_sel:WORD_0
	v_lshl_add_u32 v61, v61, 10, 0x2000
	v_lshlrev_b32_e32 v59, 23, v59
	v_and_or_b32 v1, 0x8000, v1, v61
	v_lshl_or_b32 v59, v1, 16, v59
.LBB254_255:                            ;   in Loop: Header=BB254_12 Depth=1
	s_or_b32 exec_lo, exec_lo, s42
.LBB254_256:                            ;   in Loop: Header=BB254_12 Depth=1
	s_or_b32 exec_lo, exec_lo, s41
.LBB254_257:                            ;   in Loop: Header=BB254_12 Depth=1
	s_or_b32 exec_lo, exec_lo, s40
	v_lshrrev_b32_e32 v1, 16, v9
	v_mov_b32_e32 v61, 0
	v_mov_b32_e32 v62, 0
	v_cmp_ne_u16_sdwa s2, v1, v2 src0_sel:BYTE_0 src1_sel:DWORD
	s_and_saveexec_b32 s40, s2
	s_cbranch_execz .LBB254_265
; %bb.258:                              ;   in Loop: Header=BB254_12 Depth=1
	v_cmp_ne_u16_sdwa s2, v1, v22 src0_sel:BYTE_0 src1_sel:DWORD
	v_mov_b32_e32 v62, 0x8000
	s_and_saveexec_b32 s41, s2
	s_cbranch_execz .LBB254_264
; %bb.259:                              ;   in Loop: Header=BB254_12 Depth=1
	v_bfe_u32 v64, v9, 16, 7
	v_mov_b32_e32 v62, 0x7c01
	s_mov_b32 s42, exec_lo
	v_cmpx_ne_u32_e32 0x7f, v64
	s_cbranch_execz .LBB254_263
; %bb.260:                              ;   in Loop: Header=BB254_12 Depth=1
	v_and_b32_e32 v62, 7, v1
	v_lshrrev_b32_e32 v63, 3, v64
	s_mov_b32 s43, exec_lo
	v_cmpx_gt_u32_e32 8, v64
; %bb.261:                              ;   in Loop: Header=BB254_12 Depth=1
	v_ffbh_u32_e32 v62, v62
	v_min_u32_e32 v64, 32, v62
	v_subrev_nc_u32_e32 v62, 28, v64
	v_lshlrev_b64 v[62:63], v62, v[1:2]
	v_sub_nc_u32_e32 v63, 29, v64
	v_and_b32_e32 v62, 7, v62
; %bb.262:                              ;   in Loop: Header=BB254_12 Depth=1
	s_or_b32 exec_lo, exec_lo, s43
	v_lshlrev_b32_e32 v1, 8, v1
	v_lshl_add_u32 v63, v63, 10, 0x2000
	v_lshlrev_b32_e32 v62, 7, v62
	v_and_b32_e32 v1, 0x8000, v1
	v_and_b32_e32 v63, 0xfc00, v63
	v_or3_b32 v62, v1, v63, v62
.LBB254_263:                            ;   in Loop: Header=BB254_12 Depth=1
	s_or_b32 exec_lo, exec_lo, s42
.LBB254_264:                            ;   in Loop: Header=BB254_12 Depth=1
	s_or_b32 exec_lo, exec_lo, s41
.LBB254_265:                            ;   in Loop: Header=BB254_12 Depth=1
	s_or_b32 exec_lo, exec_lo, s40
	s_mov_b32 s40, exec_lo
	v_cmpx_lt_u32_e32 0xffffff, v9
	s_cbranch_execz .LBB254_273
; %bb.266:                              ;   in Loop: Header=BB254_12 Depth=1
	v_lshrrev_b32_e32 v1, 24, v9
	v_bfrev_b32_e32 v61, 1
	s_mov_b32 s41, exec_lo
	v_cmpx_ne_u32_e32 0x80, v1
	s_cbranch_execz .LBB254_272
; %bb.267:                              ;   in Loop: Header=BB254_12 Depth=1
	v_and_b32_e32 v63, 0x7f, v1
	v_mov_b32_e32 v61, 0x7c010000
	s_mov_b32 s42, exec_lo
	v_cmpx_ne_u32_e32 0x7f, v63
	s_cbranch_execz .LBB254_271
; %bb.268:                              ;   in Loop: Header=BB254_12 Depth=1
	v_and_b32_e32 v9, 7, v1
	v_lshrrev_b32_e32 v61, 3, v63
	s_mov_b32 s43, exec_lo
	v_cmpx_gt_u32_e32 8, v63
; %bb.269:                              ;   in Loop: Header=BB254_12 Depth=1
	v_ffbh_u32_e32 v9, v9
	v_min_u32_e32 v9, 32, v9
	v_subrev_nc_u32_e32 v61, 28, v9
	v_lshlrev_b64 v[63:64], v61, v[1:2]
	v_sub_nc_u32_e32 v61, 29, v9
	v_and_b32_e32 v9, 7, v63
; %bb.270:                              ;   in Loop: Header=BB254_12 Depth=1
	s_or_b32 exec_lo, exec_lo, s43
	v_lshlrev_b32_e32 v1, 8, v1
	v_lshl_add_u32 v61, v61, 10, 0x2000
	v_lshlrev_b32_e32 v9, 23, v9
	v_and_or_b32 v1, 0x8000, v1, v61
	v_lshl_or_b32 v61, v1, 16, v9
.LBB254_271:                            ;   in Loop: Header=BB254_12 Depth=1
	s_or_b32 exec_lo, exec_lo, s42
.LBB254_272:                            ;   in Loop: Header=BB254_12 Depth=1
	s_or_b32 exec_lo, exec_lo, s41
.LBB254_273:                            ;   in Loop: Header=BB254_12 Depth=1
	s_or_b32 exec_lo, exec_lo, s40
	global_load_dword v9, v[7:8], off offset:1024
	v_mov_b32_e32 v63, 0
	v_mov_b32_e32 v64, 0
	s_waitcnt vmcnt(0)
	v_cmp_ne_u16_sdwa s2, v9, v2 src0_sel:BYTE_0 src1_sel:DWORD
	s_and_saveexec_b32 s40, s2
	s_cbranch_execz .LBB254_281
; %bb.274:                              ;   in Loop: Header=BB254_12 Depth=1
	v_cmp_ne_u16_sdwa s2, v9, v22 src0_sel:BYTE_0 src1_sel:DWORD
	v_mov_b32_e32 v64, 0x8000
	s_and_saveexec_b32 s41, s2
	s_cbranch_execz .LBB254_280
; %bb.275:                              ;   in Loop: Header=BB254_12 Depth=1
	v_and_b32_e32 v65, 0x7f, v9
	v_mov_b32_e32 v64, 0x7c01
	s_mov_b32 s42, exec_lo
	v_cmpx_ne_u32_e32 0x7f, v65
	s_cbranch_execz .LBB254_279
; %bb.276:                              ;   in Loop: Header=BB254_12 Depth=1
	v_and_b32_e32 v1, 7, v9
	v_lshrrev_b32_e32 v64, 3, v65
	s_mov_b32 s43, exec_lo
	v_cmpx_gt_u32_e32 8, v65
; %bb.277:                              ;   in Loop: Header=BB254_12 Depth=1
	v_ffbh_u32_e32 v1, v1
	v_min_u32_e32 v1, 32, v1
	v_subrev_nc_u32_e32 v64, 28, v1
	v_lshlrev_b64 v[65:66], v64, v[9:10]
	v_sub_nc_u32_e32 v64, 29, v1
	v_and_b32_e32 v1, 7, v65
; %bb.278:                              ;   in Loop: Header=BB254_12 Depth=1
	s_or_b32 exec_lo, exec_lo, s43
	v_lshlrev_b32_e32 v65, 8, v9
	v_lshl_add_u32 v64, v64, 10, 0x2000
	v_lshlrev_b32_e32 v1, 7, v1
	v_and_b32_e32 v65, 0x8000, v65
	v_and_b32_e32 v64, 0xfc00, v64
	v_or3_b32 v64, v65, v64, v1
.LBB254_279:                            ;   in Loop: Header=BB254_12 Depth=1
	s_or_b32 exec_lo, exec_lo, s42
.LBB254_280:                            ;   in Loop: Header=BB254_12 Depth=1
	s_or_b32 exec_lo, exec_lo, s41
.LBB254_281:                            ;   in Loop: Header=BB254_12 Depth=1
	s_or_b32 exec_lo, exec_lo, s40
	v_lshrrev_b16 v1, 8, v9
	s_mov_b32 s40, exec_lo
	v_cmpx_ne_u16_e32 0, v1
	s_cbranch_execz .LBB254_289
; %bb.282:                              ;   in Loop: Header=BB254_12 Depth=1
	v_bfrev_b32_e32 v63, 1
	s_mov_b32 s41, exec_lo
	v_cmpx_ne_u16_e32 0x80, v1
	s_cbranch_execz .LBB254_288
; %bb.283:                              ;   in Loop: Header=BB254_12 Depth=1
	v_and_b32_sdwa v66, v1, v23 dst_sel:DWORD dst_unused:UNUSED_PAD src0_sel:WORD_0 src1_sel:DWORD
	v_mov_b32_e32 v63, 0x7c010000
	s_mov_b32 s42, exec_lo
	v_cmpx_ne_u32_e32 0x7f, v66
	s_cbranch_execz .LBB254_287
; %bb.284:                              ;   in Loop: Header=BB254_12 Depth=1
	v_and_b32_sdwa v63, v1, v24 dst_sel:DWORD dst_unused:UNUSED_PAD src0_sel:WORD_0 src1_sel:DWORD
	v_lshrrev_b32_e32 v65, 3, v66
	s_mov_b32 s43, exec_lo
	v_cmpx_gt_u32_e32 8, v66
; %bb.285:                              ;   in Loop: Header=BB254_12 Depth=1
	v_ffbh_u32_e32 v63, v63
	v_min_u32_e32 v63, 32, v63
	v_subrev_nc_u32_e32 v65, 28, v63
	v_lshlrev_b64 v[66:67], v65, v[1:2]
	v_sub_nc_u32_e32 v65, 29, v63
	v_and_b32_e32 v63, 7, v66
; %bb.286:                              ;   in Loop: Header=BB254_12 Depth=1
	s_or_b32 exec_lo, exec_lo, s43
	v_lshlrev_b32_sdwa v1, v25, v1 dst_sel:DWORD dst_unused:UNUSED_PAD src0_sel:DWORD src1_sel:WORD_0
	v_lshl_add_u32 v65, v65, 10, 0x2000
	v_lshlrev_b32_e32 v63, 23, v63
	v_and_or_b32 v1, 0x8000, v1, v65
	v_lshl_or_b32 v63, v1, 16, v63
.LBB254_287:                            ;   in Loop: Header=BB254_12 Depth=1
	s_or_b32 exec_lo, exec_lo, s42
.LBB254_288:                            ;   in Loop: Header=BB254_12 Depth=1
	s_or_b32 exec_lo, exec_lo, s41
.LBB254_289:                            ;   in Loop: Header=BB254_12 Depth=1
	s_or_b32 exec_lo, exec_lo, s40
	v_lshrrev_b32_e32 v1, 16, v9
	v_mov_b32_e32 v65, 0
	v_mov_b32_e32 v66, 0
	v_cmp_ne_u16_sdwa s2, v1, v2 src0_sel:BYTE_0 src1_sel:DWORD
	s_and_saveexec_b32 s40, s2
	s_cbranch_execz .LBB254_297
; %bb.290:                              ;   in Loop: Header=BB254_12 Depth=1
	v_cmp_ne_u16_sdwa s2, v1, v22 src0_sel:BYTE_0 src1_sel:DWORD
	v_mov_b32_e32 v66, 0x8000
	s_and_saveexec_b32 s41, s2
	s_cbranch_execz .LBB254_296
; %bb.291:                              ;   in Loop: Header=BB254_12 Depth=1
	v_bfe_u32 v68, v9, 16, 7
	v_mov_b32_e32 v66, 0x7c01
	s_mov_b32 s42, exec_lo
	v_cmpx_ne_u32_e32 0x7f, v68
	s_cbranch_execz .LBB254_295
; %bb.292:                              ;   in Loop: Header=BB254_12 Depth=1
	v_and_b32_e32 v66, 7, v1
	v_lshrrev_b32_e32 v67, 3, v68
	s_mov_b32 s43, exec_lo
	v_cmpx_gt_u32_e32 8, v68
; %bb.293:                              ;   in Loop: Header=BB254_12 Depth=1
	v_ffbh_u32_e32 v66, v66
	v_min_u32_e32 v68, 32, v66
	v_subrev_nc_u32_e32 v66, 28, v68
	v_lshlrev_b64 v[66:67], v66, v[1:2]
	v_sub_nc_u32_e32 v67, 29, v68
	v_and_b32_e32 v66, 7, v66
; %bb.294:                              ;   in Loop: Header=BB254_12 Depth=1
	s_or_b32 exec_lo, exec_lo, s43
	v_lshlrev_b32_e32 v1, 8, v1
	v_lshl_add_u32 v67, v67, 10, 0x2000
	v_lshlrev_b32_e32 v66, 7, v66
	v_and_b32_e32 v1, 0x8000, v1
	v_and_b32_e32 v67, 0xfc00, v67
	v_or3_b32 v66, v1, v67, v66
.LBB254_295:                            ;   in Loop: Header=BB254_12 Depth=1
	s_or_b32 exec_lo, exec_lo, s42
.LBB254_296:                            ;   in Loop: Header=BB254_12 Depth=1
	s_or_b32 exec_lo, exec_lo, s41
.LBB254_297:                            ;   in Loop: Header=BB254_12 Depth=1
	s_or_b32 exec_lo, exec_lo, s40
	s_mov_b32 s40, exec_lo
	v_cmpx_lt_u32_e32 0xffffff, v9
	s_cbranch_execz .LBB254_305
; %bb.298:                              ;   in Loop: Header=BB254_12 Depth=1
	v_lshrrev_b32_e32 v1, 24, v9
	v_bfrev_b32_e32 v65, 1
	s_mov_b32 s41, exec_lo
	v_cmpx_ne_u32_e32 0x80, v1
	s_cbranch_execz .LBB254_304
; %bb.299:                              ;   in Loop: Header=BB254_12 Depth=1
	v_and_b32_e32 v67, 0x7f, v1
	v_mov_b32_e32 v65, 0x7c010000
	s_mov_b32 s42, exec_lo
	v_cmpx_ne_u32_e32 0x7f, v67
	s_cbranch_execz .LBB254_303
; %bb.300:                              ;   in Loop: Header=BB254_12 Depth=1
	v_and_b32_e32 v9, 7, v1
	v_lshrrev_b32_e32 v65, 3, v67
	s_mov_b32 s43, exec_lo
	v_cmpx_gt_u32_e32 8, v67
; %bb.301:                              ;   in Loop: Header=BB254_12 Depth=1
	v_ffbh_u32_e32 v9, v9
	v_min_u32_e32 v9, 32, v9
	v_subrev_nc_u32_e32 v65, 28, v9
	v_lshlrev_b64 v[67:68], v65, v[1:2]
	v_sub_nc_u32_e32 v65, 29, v9
	v_and_b32_e32 v9, 7, v67
; %bb.302:                              ;   in Loop: Header=BB254_12 Depth=1
	s_or_b32 exec_lo, exec_lo, s43
	v_lshlrev_b32_e32 v1, 8, v1
	v_lshl_add_u32 v65, v65, 10, 0x2000
	v_lshlrev_b32_e32 v9, 23, v9
	v_and_or_b32 v1, 0x8000, v1, v65
	v_lshl_or_b32 v65, v1, 16, v9
.LBB254_303:                            ;   in Loop: Header=BB254_12 Depth=1
	s_or_b32 exec_lo, exec_lo, s42
.LBB254_304:                            ;   in Loop: Header=BB254_12 Depth=1
	s_or_b32 exec_lo, exec_lo, s41
.LBB254_305:                            ;   in Loop: Header=BB254_12 Depth=1
	s_or_b32 exec_lo, exec_lo, s40
	global_load_dword v7, v[7:8], off offset:1032
	v_mov_b32_e32 v8, 0
	v_mov_b32_e32 v9, 0
	s_waitcnt vmcnt(0)
	v_cmp_ne_u16_sdwa s2, v7, v2 src0_sel:BYTE_0 src1_sel:DWORD
	s_and_saveexec_b32 s40, s2
	s_cbranch_execz .LBB254_313
; %bb.306:                              ;   in Loop: Header=BB254_12 Depth=1
	v_cmp_ne_u16_sdwa s2, v7, v22 src0_sel:BYTE_0 src1_sel:DWORD
	v_mov_b32_e32 v9, 0x8000
	s_and_saveexec_b32 s41, s2
	s_cbranch_execz .LBB254_312
; %bb.307:                              ;   in Loop: Header=BB254_12 Depth=1
	v_and_b32_e32 v67, 0x7f, v7
	v_mov_b32_e32 v9, 0x7c01
	s_mov_b32 s42, exec_lo
	v_cmpx_ne_u32_e32 0x7f, v67
	s_cbranch_execz .LBB254_311
; %bb.308:                              ;   in Loop: Header=BB254_12 Depth=1
	v_and_b32_e32 v1, 7, v7
	v_lshrrev_b32_e32 v9, 3, v67
	s_mov_b32 s43, exec_lo
	v_cmpx_gt_u32_e32 8, v67
; %bb.309:                              ;   in Loop: Header=BB254_12 Depth=1
	v_ffbh_u32_e32 v1, v1
	v_min_u32_e32 v1, 32, v1
	v_subrev_nc_u32_e32 v9, 28, v1
	v_lshlrev_b64 v[67:68], v9, v[7:8]
	v_sub_nc_u32_e32 v9, 29, v1
	v_and_b32_e32 v1, 7, v67
; %bb.310:                              ;   in Loop: Header=BB254_12 Depth=1
	s_or_b32 exec_lo, exec_lo, s43
	v_lshlrev_b32_e32 v67, 8, v7
	v_lshl_add_u32 v9, v9, 10, 0x2000
	v_lshlrev_b32_e32 v1, 7, v1
	v_and_b32_e32 v67, 0x8000, v67
	v_and_b32_e32 v9, 0xfc00, v9
	v_or3_b32 v9, v67, v9, v1
.LBB254_311:                            ;   in Loop: Header=BB254_12 Depth=1
	s_or_b32 exec_lo, exec_lo, s42
.LBB254_312:                            ;   in Loop: Header=BB254_12 Depth=1
	s_or_b32 exec_lo, exec_lo, s41
.LBB254_313:                            ;   in Loop: Header=BB254_12 Depth=1
	s_or_b32 exec_lo, exec_lo, s40
	v_lshrrev_b16 v1, 8, v7
	s_mov_b32 s40, exec_lo
	v_cmpx_ne_u16_e32 0, v1
	s_cbranch_execz .LBB254_321
; %bb.314:                              ;   in Loop: Header=BB254_12 Depth=1
	v_bfrev_b32_e32 v8, 1
	s_mov_b32 s41, exec_lo
	v_cmpx_ne_u16_e32 0x80, v1
	s_cbranch_execz .LBB254_320
; %bb.315:                              ;   in Loop: Header=BB254_12 Depth=1
	v_and_b32_sdwa v68, v1, v23 dst_sel:DWORD dst_unused:UNUSED_PAD src0_sel:WORD_0 src1_sel:DWORD
	v_mov_b32_e32 v8, 0x7c010000
	s_mov_b32 s42, exec_lo
	v_cmpx_ne_u32_e32 0x7f, v68
	s_cbranch_execz .LBB254_319
; %bb.316:                              ;   in Loop: Header=BB254_12 Depth=1
	v_and_b32_sdwa v8, v1, v24 dst_sel:DWORD dst_unused:UNUSED_PAD src0_sel:WORD_0 src1_sel:DWORD
	v_lshrrev_b32_e32 v67, 3, v68
	s_mov_b32 s43, exec_lo
	v_cmpx_gt_u32_e32 8, v68
; %bb.317:                              ;   in Loop: Header=BB254_12 Depth=1
	v_ffbh_u32_e32 v8, v8
	v_min_u32_e32 v8, 32, v8
	v_subrev_nc_u32_e32 v67, 28, v8
	v_lshlrev_b64 v[68:69], v67, v[1:2]
	v_sub_nc_u32_e32 v67, 29, v8
	v_and_b32_e32 v8, 7, v68
; %bb.318:                              ;   in Loop: Header=BB254_12 Depth=1
	s_or_b32 exec_lo, exec_lo, s43
	v_lshlrev_b32_sdwa v1, v25, v1 dst_sel:DWORD dst_unused:UNUSED_PAD src0_sel:DWORD src1_sel:WORD_0
	v_lshl_add_u32 v67, v67, 10, 0x2000
	v_lshlrev_b32_e32 v8, 23, v8
	v_and_or_b32 v1, 0x8000, v1, v67
	v_lshl_or_b32 v8, v1, 16, v8
.LBB254_319:                            ;   in Loop: Header=BB254_12 Depth=1
	s_or_b32 exec_lo, exec_lo, s42
.LBB254_320:                            ;   in Loop: Header=BB254_12 Depth=1
	s_or_b32 exec_lo, exec_lo, s41
.LBB254_321:                            ;   in Loop: Header=BB254_12 Depth=1
	s_or_b32 exec_lo, exec_lo, s40
	v_lshrrev_b32_e32 v1, 16, v7
	v_mov_b32_e32 v67, 0
	v_mov_b32_e32 v68, 0
	v_cmp_ne_u16_sdwa s2, v1, v2 src0_sel:BYTE_0 src1_sel:DWORD
	s_and_saveexec_b32 s40, s2
	s_cbranch_execz .LBB254_329
; %bb.322:                              ;   in Loop: Header=BB254_12 Depth=1
	v_cmp_ne_u16_sdwa s2, v1, v22 src0_sel:BYTE_0 src1_sel:DWORD
	v_mov_b32_e32 v68, 0x8000
	s_and_saveexec_b32 s41, s2
	s_cbranch_execz .LBB254_328
; %bb.323:                              ;   in Loop: Header=BB254_12 Depth=1
	v_bfe_u32 v70, v7, 16, 7
	v_mov_b32_e32 v68, 0x7c01
	s_mov_b32 s42, exec_lo
	v_cmpx_ne_u32_e32 0x7f, v70
	s_cbranch_execz .LBB254_327
; %bb.324:                              ;   in Loop: Header=BB254_12 Depth=1
	v_and_b32_e32 v68, 7, v1
	v_lshrrev_b32_e32 v69, 3, v70
	s_mov_b32 s43, exec_lo
	v_cmpx_gt_u32_e32 8, v70
; %bb.325:                              ;   in Loop: Header=BB254_12 Depth=1
	v_ffbh_u32_e32 v68, v68
	v_min_u32_e32 v70, 32, v68
	v_subrev_nc_u32_e32 v68, 28, v70
	v_lshlrev_b64 v[68:69], v68, v[1:2]
	v_sub_nc_u32_e32 v69, 29, v70
	v_and_b32_e32 v68, 7, v68
; %bb.326:                              ;   in Loop: Header=BB254_12 Depth=1
	s_or_b32 exec_lo, exec_lo, s43
	v_lshlrev_b32_e32 v1, 8, v1
	v_lshl_add_u32 v69, v69, 10, 0x2000
	v_lshlrev_b32_e32 v68, 7, v68
	v_and_b32_e32 v1, 0x8000, v1
	v_and_b32_e32 v69, 0xfc00, v69
	v_or3_b32 v68, v1, v69, v68
.LBB254_327:                            ;   in Loop: Header=BB254_12 Depth=1
	s_or_b32 exec_lo, exec_lo, s42
.LBB254_328:                            ;   in Loop: Header=BB254_12 Depth=1
	s_or_b32 exec_lo, exec_lo, s41
.LBB254_329:                            ;   in Loop: Header=BB254_12 Depth=1
	s_or_b32 exec_lo, exec_lo, s40
	s_mov_b32 s40, exec_lo
	v_cmpx_lt_u32_e32 0xffffff, v7
	s_cbranch_execz .LBB254_337
; %bb.330:                              ;   in Loop: Header=BB254_12 Depth=1
	v_lshrrev_b32_e32 v1, 24, v7
	v_bfrev_b32_e32 v67, 1
	s_mov_b32 s41, exec_lo
	v_cmpx_ne_u32_e32 0x80, v1
	s_cbranch_execz .LBB254_336
; %bb.331:                              ;   in Loop: Header=BB254_12 Depth=1
	v_and_b32_e32 v69, 0x7f, v1
	v_mov_b32_e32 v67, 0x7c010000
	s_mov_b32 s42, exec_lo
	v_cmpx_ne_u32_e32 0x7f, v69
	s_cbranch_execz .LBB254_335
; %bb.332:                              ;   in Loop: Header=BB254_12 Depth=1
	v_and_b32_e32 v7, 7, v1
	v_lshrrev_b32_e32 v67, 3, v69
	s_mov_b32 s43, exec_lo
	v_cmpx_gt_u32_e32 8, v69
; %bb.333:                              ;   in Loop: Header=BB254_12 Depth=1
	v_ffbh_u32_e32 v7, v7
	v_min_u32_e32 v7, 32, v7
	v_subrev_nc_u32_e32 v67, 28, v7
	v_lshlrev_b64 v[69:70], v67, v[1:2]
	v_sub_nc_u32_e32 v67, 29, v7
	v_and_b32_e32 v7, 7, v69
; %bb.334:                              ;   in Loop: Header=BB254_12 Depth=1
	s_or_b32 exec_lo, exec_lo, s43
	v_lshlrev_b32_e32 v1, 8, v1
	v_lshl_add_u32 v67, v67, 10, 0x2000
	v_lshlrev_b32_e32 v7, 23, v7
	v_and_or_b32 v1, 0x8000, v1, v67
	v_lshl_or_b32 v67, v1, 16, v7
.LBB254_335:                            ;   in Loop: Header=BB254_12 Depth=1
	s_or_b32 exec_lo, exec_lo, s42
.LBB254_336:                            ;   in Loop: Header=BB254_12 Depth=1
	s_or_b32 exec_lo, exec_lo, s41
.LBB254_337:                            ;   in Loop: Header=BB254_12 Depth=1
	s_or_b32 exec_lo, exec_lo, s40
	ds_read_b64 v[69:70], v18
	v_or_b32_e32 v1, v31, v32
	v_or_b32_e32 v7, v33, v34
	v_fma_mixlo_f16 v31, v30, v31, 0 op_sel:[0,1,0] op_sel_hi:[0,1,0]
	v_fma_mixlo_f16 v32, v30, v33, 0 op_sel:[0,1,0] op_sel_hi:[0,1,0]
	v_or_b32_e32 v36, v35, v36
	v_fma_mixlo_f16 v1, v30, v1, 0 op_sel_hi:[0,1,0]
	v_fma_mixlo_f16 v7, v30, v7, 0 op_sel_hi:[0,1,0]
	v_and_b32_e32 v31, 0xffff, v31
	v_and_b32_e32 v32, 0xffff, v32
	v_or_b32_e32 v38, v37, v38
	v_and_b32_e32 v1, 0xffff, v1
	v_and_b32_e32 v71, 0xffff, v7
	v_fma_mixlo_f16 v35, v30, v35, 0 op_sel:[0,1,0] op_sel_hi:[0,1,0]
	v_fma_mixlo_f16 v37, v30, v37, 0 op_sel:[0,1,0] op_sel_hi:[0,1,0]
	v_fma_mixlo_f16 v36, v30, v36, 0 op_sel_hi:[0,1,0]
	v_fma_mixlo_f16 v38, v30, v38, 0 op_sel_hi:[0,1,0]
	v_or_b32_e32 v40, v39, v40
	v_and_b32_e32 v35, 0xffff, v35
	v_and_b32_e32 v75, 0xffff, v37
	s_waitcnt lgkmcnt(0)
	v_and_b32_e32 v33, 0xffff, v69
	v_lshrrev_b32_e32 v34, 16, v69
	v_lshrrev_b32_e32 v7, 16, v70
	v_and_b32_e32 v72, 0xffff, v70
	;;#ASMSTART
	v_cvt_f32_f16 v33, v33;
	;;#ASMEND
	;;#ASMSTART
	v_cvt_f32_f16 v34, v34;
	;;#ASMEND
	;; [unrolled: 3-line block ×8, first 2 shown]
	ds_read_b64 v[71:72], v18 offset:8
	v_and_b32_e32 v36, 0xffff, v36
	v_and_b32_e32 v38, 0xffff, v38
	v_or_b32_e32 v42, v41, v42
	v_fma_mixlo_f16 v39, v30, v39, 0 op_sel:[0,1,0] op_sel_hi:[0,1,0]
	v_fma_mixlo_f16 v41, v30, v41, 0 op_sel:[0,1,0] op_sel_hi:[0,1,0]
	v_fma_mixlo_f16 v40, v30, v40, 0 op_sel_hi:[0,1,0]
	v_or_b32_e32 v44, v43, v44
	v_fma_mixlo_f16 v42, v30, v42, 0 op_sel_hi:[0,1,0]
	v_or_b32_e32 v46, v45, v46
	v_and_b32_e32 v78, 0xffff, v41
	v_and_b32_e32 v41, 0xffff, v40
	v_fma_mixlo_f16 v43, v30, v43, 0 op_sel:[0,1,0] op_sel_hi:[0,1,0]
	v_and_b32_e32 v79, 0xffff, v42
	v_fma_mixlo_f16 v45, v30, v45, 0 op_sel:[0,1,0] op_sel_hi:[0,1,0]
	v_fma_mixlo_f16 v44, v30, v44, 0 op_sel_hi:[0,1,0]
	v_fma_mixlo_f16 v46, v30, v46, 0 op_sel_hi:[0,1,0]
	v_and_b32_e32 v81, 0xffff, v43
	v_or_b32_e32 v48, v47, v48
	v_and_b32_e32 v82, 0xffff, v45
	s_waitcnt lgkmcnt(0)
	v_and_b32_e32 v37, 0xffff, v71
	v_lshrrev_b32_e32 v71, 16, v71
	v_lshrrev_b32_e32 v76, 16, v72
	v_and_b32_e32 v77, 0xffff, v72
	;;#ASMSTART
	v_cvt_f32_f16 v72, v37;
	;;#ASMEND
	;;#ASMSTART
	v_cvt_f32_f16 v71, v71;
	;;#ASMEND
	;; [unrolled: 3-line block ×8, first 2 shown]
	ds_read_b64 v[75:76], v18 offset:16
	v_and_b32_e32 v77, 0xffff, v39
	v_and_b32_e32 v45, 0xffff, v44
	;; [unrolled: 1-line block ×3, first 2 shown]
	v_or_b32_e32 v50, v49, v50
	v_fma_mixlo_f16 v47, v30, v47, 0 op_sel:[0,1,0] op_sel_hi:[0,1,0]
	v_fma_mixlo_f16 v49, v30, v49, 0 op_sel:[0,1,0] op_sel_hi:[0,1,0]
	v_fma_mixlo_f16 v48, v30, v48, 0 op_sel_hi:[0,1,0]
	v_or_b32_e32 v52, v51, v52
	v_fma_mixlo_f16 v50, v30, v50, 0 op_sel_hi:[0,1,0]
	v_and_b32_e32 v47, 0xffff, v47
	v_and_b32_e32 v88, 0xffff, v49
	;; [unrolled: 1-line block ×3, first 2 shown]
	v_or_b32_e32 v54, v53, v54
	v_and_b32_e32 v87, 0xffff, v50
	v_fma_mixlo_f16 v51, v30, v51, 0 op_sel:[0,1,0] op_sel_hi:[0,1,0]
	v_fma_mixlo_f16 v53, v30, v53, 0 op_sel:[0,1,0] op_sel_hi:[0,1,0]
	v_fma_mixlo_f16 v52, v30, v52, 0 op_sel_hi:[0,1,0]
	v_fma_mixlo_f16 v54, v30, v54, 0 op_sel_hi:[0,1,0]
	v_or_b32_e32 v56, v55, v56
	s_waitcnt lgkmcnt(0)
	v_and_b32_e32 v39, 0xffff, v75
	v_lshrrev_b32_e32 v40, 16, v75
	v_lshrrev_b32_e32 v42, 16, v76
	v_and_b32_e32 v80, 0xffff, v76
	;;#ASMSTART
	v_cvt_f32_f16 v39, v39;
	;;#ASMEND
	;;#ASMSTART
	v_cvt_f32_f16 v40, v40;
	;;#ASMEND
	;; [unrolled: 3-line block ×8, first 2 shown]
	ds_read_b64 v[79:80], v18 offset:24
	v_and_b32_e32 v89, 0xffff, v51
	v_and_b32_e32 v92, 0xffff, v53
	;; [unrolled: 1-line block ×4, first 2 shown]
	v_or_b32_e32 v58, v57, v58
	v_fma_mixlo_f16 v55, v30, v55, 0 op_sel:[0,1,0] op_sel_hi:[0,1,0]
	v_fma_mixlo_f16 v57, v30, v57, 0 op_sel:[0,1,0] op_sel_hi:[0,1,0]
	v_fma_mixlo_f16 v56, v30, v56, 0 op_sel_hi:[0,1,0]
	v_or_b32_e32 v60, v59, v60
	v_fma_mixlo_f16 v58, v30, v58, 0 op_sel_hi:[0,1,0]
	v_and_b32_e32 v93, 0xffff, v55
	v_and_b32_e32 v96, 0xffff, v57
	;; [unrolled: 1-line block ×3, first 2 shown]
	v_or_b32_e32 v62, v61, v62
	v_and_b32_e32 v95, 0xffff, v58
	v_fma_mixlo_f16 v59, v30, v59, 0 op_sel:[0,1,0] op_sel_hi:[0,1,0]
	v_fma_mixlo_f16 v61, v30, v61, 0 op_sel:[0,1,0] op_sel_hi:[0,1,0]
	v_or_b32_e32 v9, v8, v9
	v_fma_mixlo_f16 v97, v30, v8, 0 op_sel:[0,1,0] op_sel_hi:[0,1,0]
	s_waitcnt lgkmcnt(0)
	v_and_b32_e32 v43, 0xffff, v79
	v_lshrrev_b32_e32 v44, 16, v79
	v_lshrrev_b32_e32 v46, 16, v80
	v_and_b32_e32 v84, 0xffff, v80
	;;#ASMSTART
	v_cvt_f32_f16 v43, v43;
	;;#ASMEND
	;;#ASMSTART
	v_cvt_f32_f16 v44, v44;
	;;#ASMEND
	;; [unrolled: 3-line block ×8, first 2 shown]
	ds_read_b64 v[83:84], v18 offset:32
	v_fma_mixlo_f16 v8, v30, v60, 0 op_sel_hi:[0,1,0]
	v_fma_mixlo_f16 v60, v30, v62, 0 op_sel_hi:[0,1,0]
	v_or_b32_e32 v64, v63, v64
	v_fma_mixlo_f16 v63, v30, v63, 0 op_sel:[0,1,0] op_sel_hi:[0,1,0]
	v_fma_mixlo_f16 v62, v30, v9, 0 op_sel_hi:[0,1,0]
	v_and_b32_e32 v9, 0xffff, v59
	v_and_b32_e32 v98, 0xffff, v61
	;; [unrolled: 1-line block ×3, first 2 shown]
	v_mul_f32_e32 v59, v72, v74
	v_and_b32_e32 v8, 0xffff, v8
	v_mul_f32_e32 v35, v35, v37
	v_and_b32_e32 v99, 0xffff, v63
	v_mul_f32_e32 v36, v36, v38
	v_fmac_f32_e32 v59, v33, v69
	v_or_b32_e32 v66, v65, v66
	v_fmac_f32_e32 v35, v1, v31
	v_fma_mixlo_f16 v65, v30, v65, 0 op_sel:[0,1,0] op_sel_hi:[0,1,0]
	v_fmac_f32_e32 v36, v7, v32
	v_fmac_f32_e32 v59, v39, v75
	s_waitcnt lgkmcnt(0)
	v_and_b32_e32 v49, 0xffff, v83
	v_lshrrev_b32_e32 v83, 16, v83
	v_lshrrev_b32_e32 v86, 16, v84
	v_and_b32_e32 v85, 0xffff, v84
	;;#ASMSTART
	v_cvt_f32_f16 v49, v49;
	;;#ASMEND
	;;#ASMSTART
	v_cvt_f32_f16 v50, v83;
	;;#ASMEND
	;; [unrolled: 3-line block ×8, first 2 shown]
	ds_read_b64 v[47:48], v18 offset:40
	v_fmac_f32_e32 v35, v41, v77
	v_fmac_f32_e32 v59, v43, v79
	v_fma_mixlo_f16 v64, v30, v64, 0 op_sel_hi:[0,1,0]
	v_fma_mixlo_f16 v66, v30, v66, 0 op_sel_hi:[0,1,0]
	v_fmac_f32_e32 v36, v42, v78
	v_fmac_f32_e32 v35, v45, v81
	;; [unrolled: 1-line block ×3, first 2 shown]
	v_and_b32_e32 v38, 0xffff, v65
	v_and_b32_e32 v7, 0xffff, v64
	;; [unrolled: 1-line block ×3, first 2 shown]
	v_fmac_f32_e32 v35, v85, v87
	v_fmac_f32_e32 v36, v46, v82
	v_or_b32_e32 v39, v67, v68
	v_fmac_f32_e32 v36, v86, v88
	v_fma_mixlo_f16 v39, v30, v39, 0 op_sel_hi:[0,1,0]
	v_fma_mixlo_f16 v30, v30, v67, 0 op_sel:[0,1,0] op_sel_hi:[0,1,0]
	s_waitcnt lgkmcnt(0)
	v_and_b32_e32 v51, 0xffff, v47
	v_lshrrev_b32_e32 v47, 16, v47
	v_lshrrev_b32_e32 v90, 16, v48
	v_and_b32_e32 v48, 0xffff, v48
	;;#ASMSTART
	v_cvt_f32_f16 v51, v51;
	;;#ASMEND
	;;#ASMSTART
	v_cvt_f32_f16 v52, v47;
	;;#ASMEND
	;; [unrolled: 3-line block ×8, first 2 shown]
	ds_read_b64 v[47:48], v18 offset:48
	v_fmac_f32_e32 v59, v51, v53
	v_fmac_f32_e32 v35, v89, v91
	;; [unrolled: 1-line block ×3, first 2 shown]
	s_waitcnt lgkmcnt(0)
	v_and_b32_e32 v55, 0xffff, v47
	v_lshrrev_b32_e32 v47, 16, v47
	v_lshrrev_b32_e32 v94, 16, v48
	v_and_b32_e32 v48, 0xffff, v48
	;;#ASMSTART
	v_cvt_f32_f16 v55, v55;
	;;#ASMEND
	;;#ASMSTART
	v_cvt_f32_f16 v56, v47;
	;;#ASMEND
	;; [unrolled: 3-line block ×8, first 2 shown]
	ds_read_b64 v[47:48], v18 offset:56
	v_fmac_f32_e32 v59, v55, v57
	v_fmac_f32_e32 v35, v93, v95
	;; [unrolled: 1-line block ×3, first 2 shown]
	s_waitcnt lgkmcnt(0)
	v_and_b32_e32 v60, 0xffff, v47
	v_lshrrev_b32_e32 v61, 16, v47
	v_mul_f32_e32 v47, v71, v73
	v_lshrrev_b32_e32 v72, 16, v48
	v_and_b32_e32 v71, 0xffff, v48
	;;#ASMSTART
	v_cvt_f32_f16 v48, v60;
	;;#ASMEND
	;;#ASMSTART
	v_cvt_f32_f16 v60, v61;
	;;#ASMEND
	;; [unrolled: 3-line block ×8, first 2 shown]
	ds_read_b64 v[8:9], v18 offset:64
	v_fmac_f32_e32 v47, v34, v70
	v_fmac_f32_e32 v59, v48, v61
	v_fmac_f32_e32 v35, v71, v73
	v_fmac_f32_e32 v36, v72, v74
	v_fmac_f32_e32 v47, v40, v76
	v_fmac_f32_e32 v47, v44, v80
	v_fmac_f32_e32 v47, v50, v84
	s_waitcnt lgkmcnt(0)
	v_and_b32_e32 v1, 0xffff, v8
	v_lshrrev_b32_e32 v8, 16, v8
	v_lshrrev_b32_e32 v34, 16, v9
	v_and_b32_e32 v33, 0xffff, v9
	;;#ASMSTART
	v_cvt_f32_f16 v1, v1;
	;;#ASMEND
	;;#ASMSTART
	v_cvt_f32_f16 v9, v8;
	;;#ASMEND
	;; [unrolled: 3-line block ×8, first 2 shown]
	ds_read_b64 v[7:8], v18 offset:72
	v_fmac_f32_e32 v47, v52, v54
	v_fmac_f32_e32 v59, v1, v31
	;; [unrolled: 1-line block ×3, first 2 shown]
	v_and_b32_e32 v31, 0xffff, v97
	v_and_b32_e32 v33, 0xffff, v39
	v_fmac_f32_e32 v47, v56, v58
	v_fmac_f32_e32 v36, v34, v38
	;; [unrolled: 1-line block ×4, first 2 shown]
	v_and_b32_e32 v9, 0xffff, v62
	s_waitcnt lgkmcnt(0)
	v_and_b32_e32 v1, 0xffff, v7
	v_lshrrev_b32_e32 v7, 16, v7
	;;#ASMSTART
	v_cvt_f32_f16 v1, v1;
	;;#ASMEND
	;;#ASMSTART
	v_cvt_f32_f16 v7, v7;
	;;#ASMEND
	v_and_b32_e32 v32, 0xffff, v8
	v_lshrrev_b32_e32 v8, 16, v8
	;;#ASMSTART
	v_cvt_f32_f16 v9, v9;
	;;#ASMEND
	;;#ASMSTART
	v_cvt_f32_f16 v31, v31;
	;;#ASMEND
	v_fmac_f32_e32 v59, v1, v9
	v_fmac_f32_e32 v47, v7, v31
	;;#ASMSTART
	v_cvt_f32_f16 v1, v32;
	;;#ASMEND
	;;#ASMSTART
	v_cvt_f32_f16 v7, v8;
	;;#ASMEND
	;; [unrolled: 3-line block ×3, first 2 shown]
	v_fmac_f32_e32 v35, v1, v8
	v_xor_b32_e32 v8, 1, v17
	v_add_f32_e32 v1, v59, v47
	v_and_b32_e32 v9, 0xffff, v30
	;;#ASMSTART
	v_cvt_f32_f16 v9, v9;
	;;#ASMEND
	v_fmac_f32_e32 v36, v7, v9
	v_cmp_gt_i32_e64 s2, 32, v8
	v_add_f32_e32 v1, v1, v35
	v_cndmask_b32_e64 v7, v17, v8, s2
	v_add_f32_e32 v1, v36, v1
	v_lshlrev_b32_e32 v7, 2, v7
	ds_bpermute_b32 v7, v7, v1
	s_and_saveexec_b32 s40, vcc_lo
	s_cbranch_execz .LBB254_10
; %bb.338:                              ;   in Loop: Header=BB254_12 Depth=1
	v_add_nc_u32_e32 v8, v26, v20
	s_waitcnt lgkmcnt(0)
	v_add_f32_e32 v1, v1, v7
	v_cvt_f32_i32_e32 v8, v8
	v_mul_f32_e32 v8, s36, v8
	v_cndmask_b32_e64 v7, 0, v8, s1
	v_max_f32_e32 v8, v19, v19
	v_fmac_f32_e32 v7, s35, v1
	v_add_nc_u32_e32 v1, v16, v20
	v_max_f32_e32 v8, v8, v7
	v_cmp_gt_i32_e64 s2, s33, v1
	v_cndmask_b32_e64 v1, 0, v7, s2
	v_cndmask_b32_e64 v19, v19, v8, s2
	ds_write_b32 v27, v1
	s_branch .LBB254_10
.LBB254_339:
	s_or_b32 exec_lo, exec_lo, s38
.LBB254_340:
	s_or_b32 exec_lo, exec_lo, s37
	v_xor_b32_e32 v1, 16, v17
	v_xor_b32_e32 v3, 8, v17
	v_max_f32_e32 v5, v19, v19
	v_xor_b32_e32 v6, 2, v17
	v_and_b32_e32 v16, 31, v0
	v_cmp_gt_i32_e32 vcc_lo, 32, v1
	v_cndmask_b32_e32 v1, v17, v1, vcc_lo
	v_cmp_gt_i32_e32 vcc_lo, 32, v3
	v_lshlrev_b32_e32 v2, 2, v1
	v_cndmask_b32_e32 v3, v17, v3, vcc_lo
	ds_bpermute_b32 v1, v2, v19
	v_lshlrev_b32_e32 v4, 2, v3
	s_waitcnt lgkmcnt(0)
	v_max_f32_e32 v1, v1, v1
	v_max_f32_e32 v1, v5, v1
	v_xor_b32_e32 v5, 4, v17
	ds_bpermute_b32 v3, v4, v1
	v_cmp_gt_i32_e32 vcc_lo, 32, v5
	v_cndmask_b32_e32 v5, v17, v5, vcc_lo
	v_cmp_gt_i32_e32 vcc_lo, 32, v6
	v_lshlrev_b32_e32 v5, 2, v5
	v_cndmask_b32_e32 v6, v17, v6, vcc_lo
	v_cmp_eq_u32_e32 vcc_lo, 0, v16
	s_waitcnt lgkmcnt(0)
	v_max_f32_e32 v3, v3, v3
	v_max_f32_e32 v1, v1, v3
	ds_bpermute_b32 v3, v5, v1
	s_waitcnt lgkmcnt(0)
	v_max_f32_e32 v3, v3, v3
	v_max_f32_e32 v3, v1, v3
	v_lshlrev_b32_e32 v1, 2, v6
	v_lshlrev_b32_e32 v6, 2, v13
	ds_bpermute_b32 v7, v1, v3
	s_and_saveexec_b32 s1, vcc_lo
	s_cbranch_execz .LBB254_342
; %bb.341:
	s_waitcnt lgkmcnt(0)
	v_max_f32_e32 v7, v7, v7
	v_max_f32_e32 v3, v3, v3
	;; [unrolled: 1-line block ×3, first 2 shown]
	ds_write_b32 v6, v3 offset:160
.LBB254_342:
	s_or_b32 exec_lo, exec_lo, s1
	v_cmp_gt_u32_e64 s1, 4, v16
	v_mov_b32_e32 v3, 0xff7fffff
	s_waitcnt lgkmcnt(0)
	v_lshlrev_b32_e32 v7, 2, v16
	s_barrier
	buffer_gl0_inv
	s_and_saveexec_b32 s2, s1
; %bb.343:
	ds_read_b32 v3, v7 offset:160
; %bb.344:
	s_or_b32 exec_lo, exec_lo, s2
	s_waitcnt lgkmcnt(0)
	ds_bpermute_b32 v8, v1, v3
	v_xor_b32_e32 v9, 1, v17
	v_max_f32_e32 v3, v3, v3
	v_cmp_gt_i32_e64 s2, 32, v9
	v_cndmask_b32_e64 v9, v17, v9, s2
	s_lshl_b32 s2, s20, 4
	s_min_i32 s4, s2, s33
	v_lshlrev_b32_e32 v17, 2, v9
	v_cmp_gt_i32_e64 s2, s4, v0
	s_waitcnt lgkmcnt(0)
	v_max_f32_e32 v8, v8, v8
	v_max_f32_e32 v3, v3, v8
	ds_bpermute_b32 v8, v17, v3
	s_waitcnt lgkmcnt(0)
	v_max_f32_e32 v8, v8, v8
	v_max_f32_e32 v3, v3, v8
	v_mov_b32_e32 v8, 0
	ds_bpermute_b32 v9, v8, v3
	v_lshl_add_u32 v3, v0, 2, 0xc0
	s_and_saveexec_b32 s5, s2
	s_cbranch_execz .LBB254_348
; %bb.345:
	v_lshl_add_u32 v18, v0, 2, 0xc0
	v_mov_b32_e32 v8, 0
	v_mov_b32_e32 v19, v0
	s_mov_b32 s12, 0
	.p2align	6
.LBB254_346:                            ; =>This Inner Loop Header: Depth=1
	ds_read_b32 v20, v18
	v_add_nc_u32_e32 v19, 0x80, v19
	v_cmp_le_i32_e64 s3, s4, v19
	s_or_b32 s12, s3, s12
	s_waitcnt lgkmcnt(0)
	v_sub_f32_e32 v20, v20, v9
	v_mul_f32_e32 v20, 0x3fb8aa3b, v20
	v_exp_f32_e32 v20, v20
	ds_write_b32 v18, v20
	v_add_f32_e32 v8, v8, v20
	v_add_nc_u32_e32 v18, 0x200, v18
	s_andn2_b32 exec_lo, exec_lo, s12
	s_cbranch_execnz .LBB254_346
; %bb.347:
	s_or_b32 exec_lo, exec_lo, s12
.LBB254_348:
	s_or_b32 exec_lo, exec_lo, s5
	ds_bpermute_b32 v2, v2, v8
	s_waitcnt lgkmcnt(0)
	v_add_f32_e32 v2, v8, v2
	ds_bpermute_b32 v4, v4, v2
	s_waitcnt lgkmcnt(0)
	v_add_f32_e32 v2, v2, v4
	;; [unrolled: 3-line block ×5, first 2 shown]
	s_and_saveexec_b32 s3, vcc_lo
; %bb.349:
	ds_write_b32 v6, v2 offset:176
; %bb.350:
	s_or_b32 exec_lo, exec_lo, s3
	s_waitcnt lgkmcnt(0)
	s_barrier
	buffer_gl0_inv
	s_and_saveexec_b32 s3, s1
; %bb.351:
	ds_read_b32 v2, v7 offset:176
; %bb.352:
	s_or_b32 exec_lo, exec_lo, s3
	s_waitcnt lgkmcnt(0)
	ds_bpermute_b32 v1, v1, v2
	s_waitcnt lgkmcnt(0)
	v_add_f32_e32 v1, v2, v1
	ds_bpermute_b32 v2, v17, v1
	s_waitcnt lgkmcnt(0)
	v_add_f32_e32 v1, v1, v2
	v_mov_b32_e32 v2, 0
	ds_bpermute_b32 v1, v2, v1
	s_and_saveexec_b32 s1, s2
	s_cbranch_execz .LBB254_355
; %bb.353:
	s_waitcnt lgkmcnt(0)
	v_add_f32_e32 v1, 0x358637bd, v1
	s_mov_b32 s2, 0
	v_div_scale_f32 v2, null, v1, v1, 1.0
	v_div_scale_f32 v6, vcc_lo, 1.0, v1, 1.0
	v_rcp_f32_e32 v4, v2
	v_fma_f32 v5, -v2, v4, 1.0
	v_fmac_f32_e32 v4, v5, v4
	v_mul_f32_e32 v5, v6, v4
	v_fma_f32 v7, -v2, v5, v6
	v_fmac_f32_e32 v5, v7, v4
	v_fma_f32 v2, -v2, v5, v6
	v_div_fmas_f32 v2, v2, v4, v5
	v_div_fixup_f32 v1, v2, v1, 1.0
	v_mov_b32_e32 v2, v0
.LBB254_354:                            ; =>This Inner Loop Header: Depth=1
	ds_read_b32 v4, v3
	v_add_nc_u32_e32 v2, 0x80, v2
	v_cmp_le_i32_e32 vcc_lo, s4, v2
	s_or_b32 s2, vcc_lo, s2
	s_waitcnt lgkmcnt(0)
	v_mul_f32_e32 v4, v1, v4
	ds_write_b32 v3, v4
	v_add_nc_u32_e32 v3, 0x200, v3
	s_andn2_b32 exec_lo, exec_lo, s2
	s_cbranch_execnz .LBB254_354
.LBB254_355:
	s_or_b32 exec_lo, exec_lo, s1
	v_mov_b32_e32 v22, 0
	v_mov_b32_e32 v21, 0
	;; [unrolled: 1-line block ×5, first 2 shown]
	s_waitcnt lgkmcnt(0)
	s_barrier
	buffer_gl0_inv
	s_and_saveexec_b32 s1, s0
	s_cbranch_execz .LBB254_691
; %bb.356:
	s_sub_i32 s4, s34, s21
	s_ashr_i32 s0, s18, 31
	s_add_u32 s18, s30, s18
	s_addc_u32 s0, s31, s0
	s_abs_i32 s5, s22
	v_and_b32_e32 v3, 0xf8, v10
	v_cvt_f32_u32_e32 v1, s5
	s_sub_i32 s2, 0, s5
	v_lshlrev_b32_e32 v6, 5, v12
	v_and_b32_e32 v5, 0x7c, v15
	s_mov_b32 s12, s17
	v_rcp_iflag_f32_e32 v1, v1
	v_add_co_u32 v3, s17, s18, v3
	s_add_i32 s13, s20, -1
	v_lshl_or_b32 v8, v13, 6, v6
	v_add_co_ci_u32_e64 v4, null, s0, 0, s17
	v_and_b32_e32 v23, 8, v10
	v_mov_b32_e32 v2, 0
	v_mov_b32_e32 v15, 0x80
	v_mul_f32_e32 v1, 0x4f7ffffe, v1
	v_mov_b32_e32 v24, 0x7f
	v_mov_b32_e32 v25, 7
	;; [unrolled: 1-line block ×4, first 2 shown]
	v_cvt_u32_f32_e32 v1, v1
	v_mov_b32_e32 v19, 0
	v_mov_b32_e32 v20, 0
	;; [unrolled: 1-line block ×4, first 2 shown]
	v_mul_lo_u32 v7, s2, v1
	s_lshl_b64 s[2:3], s[28:29], 2
	v_add_nc_u32_e32 v27, 0xc0, v8
	s_add_u32 s0, s26, s2
	s_addc_u32 s2, s27, s3
	v_add_co_u32 v5, s0, s0, v5
	v_add_co_ci_u32_e64 v6, null, s2, 0, s0
	v_mul_hi_u32 v7, v1, v7
	v_mov_b32_e32 v29, v13
	s_mov_b32 s2, -1
	s_mov_b32 s3, 0xffffff
	s_mov_b32 s17, 0
	v_add_nc_u32_e32 v28, v1, v7
	s_branch .LBB254_359
.LBB254_357:                            ;   in Loop: Header=BB254_359 Depth=1
	s_or_b32 exec_lo, exec_lo, s0
	v_add_f32_e32 v9, v9, v10
	;;#ASMSTART
	v_pk_mul_f16 v10, v43, v48;

	;;#ASMEND
	;;#ASMSTART
	v_pk_mul_f16 v8, v42, v8;

	;;#ASMEND
	;; [unrolled: 4-line block ×4, first 2 shown]
	;;#ASMSTART
	v_pk_add_f16 v8, v10, v8;

	;;#ASMEND
	;;#ASMSTART
	v_pk_add_f16 v7, v8, v7;

	;;#ASMEND
	;; [unrolled: 4-line block ×3, first 2 shown]
	v_and_b32_e32 v10, 0xffff, v1
	v_lshrrev_b32_e32 v30, 16, v1
	;;#ASMSTART
	v_cvt_f32_f16 v10, v10;
	;;#ASMEND
	v_add_f32_e32 v1, v46, v47
	v_add_f32_e32 v7, v44, v45
	;; [unrolled: 1-line block ×3, first 2 shown]
	;;#ASMSTART
	v_cvt_f32_f16 v30, v30;
	;;#ASMEND
	v_add_f32_e32 v10, v10, v30
	v_add_f32_e32 v19, v19, v9
	;; [unrolled: 1-line block ×6, first 2 shown]
.LBB254_358:                            ;   in Loop: Header=BB254_359 Depth=1
	s_or_b32 exec_lo, exec_lo, s18
	v_add_nc_u32_e32 v29, 4, v29
	v_add_co_u32 v5, s0, v5, 16
	v_add_co_ci_u32_e64 v6, null, 0, v6, s0
	v_cmp_le_i32_e32 vcc_lo, s20, v29
	v_add_nc_u32_e32 v14, 64, v14
	v_add_nc_u32_e32 v27, 0x100, v27
	s_or_b32 s17, vcc_lo, s17
	s_andn2_b32 exec_lo, exec_lo, s17
	s_cbranch_execz .LBB254_690
.LBB254_359:                            ; =>This Inner Loop Header: Depth=1
	v_mul_hi_u32 v1, v14, s19
	v_mul_lo_u32 v7, v1, s16
	v_add_nc_u32_e32 v8, 1, v1
	v_sub_nc_u32_e32 v7, v14, v7
	v_subrev_nc_u32_e32 v9, s16, v7
	v_cmp_le_u32_e32 vcc_lo, s16, v7
	v_cndmask_b32_e32 v1, v1, v8, vcc_lo
	v_cndmask_b32_e32 v7, v7, v9, vcc_lo
	v_add_nc_u32_e32 v8, 1, v1
	v_cmp_le_u32_e32 vcc_lo, s16, v7
	v_cndmask_b32_e32 v1, v1, v8, vcc_lo
	v_xor_b32_e32 v1, s23, v1
	v_subrev_nc_u32_e32 v1, s23, v1
	v_add_nc_u32_e32 v7, s25, v1
	v_cmp_lt_i32_e64 s0, s4, v1
	v_sub_nc_u32_e32 v8, 0, v7
	v_max_i32_e32 v8, v7, v8
	v_ashrrev_i32_e32 v7, 31, v7
	v_mul_hi_u32 v9, v8, v28
	v_mul_lo_u32 v9, v9, s5
	v_sub_nc_u32_e32 v8, v8, v9
	v_subrev_nc_u32_e32 v9, s5, v8
	v_cmp_le_u32_e32 vcc_lo, s5, v8
	v_cndmask_b32_e32 v8, v8, v9, vcc_lo
	v_subrev_nc_u32_e32 v9, s5, v8
	v_cmp_le_u32_e32 vcc_lo, s5, v8
	v_cndmask_b32_e32 v8, v8, v9, vcc_lo
	v_xor_b32_e32 v8, v8, v7
	v_sub_nc_u32_e32 v7, v8, v7
	v_cmp_eq_u32_e32 vcc_lo, 0, v7
	s_or_b32 s0, vcc_lo, s0
	s_and_saveexec_b32 s18, s0
	s_cbranch_execz .LBB254_358
; %bb.360:                              ;   in Loop: Header=BB254_359 Depth=1
	global_load_dword v1, v[5:6], off
	ds_read2_b64 v[30:33], v27 offset1:1
	ds_read2_b64 v[34:37], v27 offset0:2 offset1:3
	s_waitcnt lgkmcnt(1)
	;;#ASMSTART
	v_cvt_f16_f32 v38, v30;

	;;#ASMEND
	;;#ASMSTART
	v_cvt_f16_f32 v39, v31;

	;;#ASMEND
	;; [unrolled: 4-line block ×4, first 2 shown]
	s_waitcnt lgkmcnt(0)
	;;#ASMSTART
	v_cvt_f16_f32 v43, v34;

	;;#ASMEND
	;;#ASMSTART
	v_cvt_f16_f32 v41, v35;

	;;#ASMEND
	;; [unrolled: 4-line block ×4, first 2 shown]
	v_mov_b32_e32 v32, 0
	v_mov_b32_e32 v33, 0
	global_load_dword v31, v32, s[14:15]
	s_waitcnt vmcnt(1)
	v_mad_i64_i32 v[7:8], null, v1, s12, v[3:4]
	global_load_dwordx2 v[9:10], v[7:8], off
	s_waitcnt vmcnt(0)
	v_cmp_ne_u16_sdwa s21, v9, v2 src0_sel:BYTE_0 src1_sel:DWORD
	s_and_saveexec_b32 s0, s21
	s_cbranch_execz .LBB254_368
; %bb.361:                              ;   in Loop: Header=BB254_359 Depth=1
	v_cmp_ne_u16_sdwa s22, v9, v15 src0_sel:BYTE_0 src1_sel:DWORD
	v_mov_b32_e32 v33, 0x8000
	s_and_saveexec_b32 s21, s22
	s_cbranch_execz .LBB254_367
; %bb.362:                              ;   in Loop: Header=BB254_359 Depth=1
	v_and_b32_e32 v34, 0x7f, v9
	v_mov_b32_e32 v33, 0x7c01
	s_mov_b32 s22, exec_lo
	v_cmpx_ne_u32_e32 0x7f, v34
	s_cbranch_execz .LBB254_366
; %bb.363:                              ;   in Loop: Header=BB254_359 Depth=1
	v_and_b32_e32 v1, 7, v9
	v_lshrrev_b32_e32 v30, 3, v34
	s_mov_b32 s26, exec_lo
	v_cmpx_gt_u32_e32 8, v34
; %bb.364:                              ;   in Loop: Header=BB254_359 Depth=1
	v_ffbh_u32_e32 v1, v1
	v_min_u32_e32 v1, 32, v1
	v_subrev_nc_u32_e32 v30, 28, v1
	v_lshlrev_b64 v[33:34], v30, v[9:10]
	v_sub_nc_u32_e32 v30, 29, v1
	v_and_b32_e32 v1, 7, v33
; %bb.365:                              ;   in Loop: Header=BB254_359 Depth=1
	s_or_b32 exec_lo, exec_lo, s26
	v_lshlrev_b32_e32 v33, 8, v9
	v_lshl_add_u32 v30, v30, 10, 0x2000
	v_lshlrev_b32_e32 v1, 7, v1
	v_and_b32_e32 v33, 0x8000, v33
	v_and_b32_e32 v30, 0xfc00, v30
	v_or3_b32 v33, v33, v30, v1
.LBB254_366:                            ;   in Loop: Header=BB254_359 Depth=1
	s_or_b32 exec_lo, exec_lo, s22
.LBB254_367:                            ;   in Loop: Header=BB254_359 Depth=1
	s_or_b32 exec_lo, exec_lo, s21
.LBB254_368:                            ;   in Loop: Header=BB254_359 Depth=1
	s_or_b32 exec_lo, exec_lo, s0
	v_lshrrev_b16 v1, 8, v9
	s_mov_b32 s0, exec_lo
	v_cmpx_ne_u16_e32 0, v1
	s_cbranch_execz .LBB254_376
; %bb.369:                              ;   in Loop: Header=BB254_359 Depth=1
	v_bfrev_b32_e32 v32, 1
	s_mov_b32 s21, exec_lo
	v_cmpx_ne_u16_e32 0x80, v1
	s_cbranch_execz .LBB254_375
; %bb.370:                              ;   in Loop: Header=BB254_359 Depth=1
	v_and_b32_sdwa v34, v1, v24 dst_sel:DWORD dst_unused:UNUSED_PAD src0_sel:WORD_0 src1_sel:DWORD
	v_mov_b32_e32 v32, 0x7c010000
	s_mov_b32 s22, exec_lo
	v_cmpx_ne_u32_e32 0x7f, v34
	s_cbranch_execz .LBB254_374
; %bb.371:                              ;   in Loop: Header=BB254_359 Depth=1
	v_and_b32_sdwa v30, v1, v25 dst_sel:DWORD dst_unused:UNUSED_PAD src0_sel:WORD_0 src1_sel:DWORD
	v_lshrrev_b32_e32 v32, 3, v34
	s_mov_b32 s26, exec_lo
	v_cmpx_gt_u32_e32 8, v34
; %bb.372:                              ;   in Loop: Header=BB254_359 Depth=1
	v_ffbh_u32_e32 v30, v30
	v_min_u32_e32 v30, 32, v30
	v_subrev_nc_u32_e32 v32, 28, v30
	v_lshlrev_b64 v[34:35], v32, v[1:2]
	v_sub_nc_u32_e32 v32, 29, v30
	v_and_b32_e32 v30, 7, v34
; %bb.373:                              ;   in Loop: Header=BB254_359 Depth=1
	s_or_b32 exec_lo, exec_lo, s26
	v_lshlrev_b32_sdwa v1, v26, v1 dst_sel:DWORD dst_unused:UNUSED_PAD src0_sel:DWORD src1_sel:WORD_0
	v_lshl_add_u32 v32, v32, 10, 0x2000
	v_lshlrev_b32_e32 v30, 23, v30
	v_and_or_b32 v1, 0x8000, v1, v32
	v_lshl_or_b32 v32, v1, 16, v30
.LBB254_374:                            ;   in Loop: Header=BB254_359 Depth=1
	s_or_b32 exec_lo, exec_lo, s22
.LBB254_375:                            ;   in Loop: Header=BB254_359 Depth=1
	s_or_b32 exec_lo, exec_lo, s21
.LBB254_376:                            ;   in Loop: Header=BB254_359 Depth=1
	s_or_b32 exec_lo, exec_lo, s0
	v_lshrrev_b32_e32 v1, 16, v9
	v_mov_b32_e32 v34, 0
	v_mov_b32_e32 v30, 0
	v_cmp_ne_u16_sdwa s21, v1, v2 src0_sel:BYTE_0 src1_sel:DWORD
	s_and_saveexec_b32 s0, s21
	s_cbranch_execz .LBB254_384
; %bb.377:                              ;   in Loop: Header=BB254_359 Depth=1
	v_cmp_ne_u16_sdwa s22, v1, v15 src0_sel:BYTE_0 src1_sel:DWORD
	v_mov_b32_e32 v30, 0x8000
	s_and_saveexec_b32 s21, s22
	s_cbranch_execz .LBB254_383
; %bb.378:                              ;   in Loop: Header=BB254_359 Depth=1
	v_bfe_u32 v36, v9, 16, 7
	v_mov_b32_e32 v30, 0x7c01
	s_mov_b32 s22, exec_lo
	v_cmpx_ne_u32_e32 0x7f, v36
	s_cbranch_execz .LBB254_382
; %bb.379:                              ;   in Loop: Header=BB254_359 Depth=1
	v_and_b32_e32 v30, 7, v1
	v_lshrrev_b32_e32 v35, 3, v36
	s_mov_b32 s26, exec_lo
	v_cmpx_gt_u32_e32 8, v36
; %bb.380:                              ;   in Loop: Header=BB254_359 Depth=1
	v_ffbh_u32_e32 v30, v30
	v_min_u32_e32 v30, 32, v30
	v_subrev_nc_u32_e32 v35, 28, v30
	v_lshlrev_b64 v[36:37], v35, v[1:2]
	v_sub_nc_u32_e32 v35, 29, v30
	v_and_b32_e32 v30, 7, v36
; %bb.381:                              ;   in Loop: Header=BB254_359 Depth=1
	s_or_b32 exec_lo, exec_lo, s26
	v_lshlrev_b32_e32 v1, 8, v1
	v_lshl_add_u32 v35, v35, 10, 0x2000
	v_lshlrev_b32_e32 v30, 7, v30
	v_and_b32_e32 v1, 0x8000, v1
	v_and_b32_e32 v35, 0xfc00, v35
	v_or3_b32 v30, v1, v35, v30
.LBB254_382:                            ;   in Loop: Header=BB254_359 Depth=1
	s_or_b32 exec_lo, exec_lo, s22
.LBB254_383:                            ;   in Loop: Header=BB254_359 Depth=1
	s_or_b32 exec_lo, exec_lo, s21
.LBB254_384:                            ;   in Loop: Header=BB254_359 Depth=1
	s_or_b32 exec_lo, exec_lo, s0
	s_mov_b32 s0, exec_lo
	v_cmpx_lt_u32_e32 0xffffff, v9
	s_cbranch_execz .LBB254_392
; %bb.385:                              ;   in Loop: Header=BB254_359 Depth=1
	v_lshrrev_b32_e32 v1, 24, v9
	v_bfrev_b32_e32 v34, 1
	s_mov_b32 s21, exec_lo
	v_cmpx_ne_u32_e32 0x80, v1
	s_cbranch_execz .LBB254_391
; %bb.386:                              ;   in Loop: Header=BB254_359 Depth=1
	v_and_b32_e32 v36, 0x7f, v1
	v_mov_b32_e32 v34, 0x7c010000
	s_mov_b32 s22, exec_lo
	v_cmpx_ne_u32_e32 0x7f, v36
	s_cbranch_execz .LBB254_390
; %bb.387:                              ;   in Loop: Header=BB254_359 Depth=1
	v_and_b32_e32 v34, 7, v1
	v_lshrrev_b32_e32 v35, 3, v36
	s_mov_b32 s26, exec_lo
	v_cmpx_gt_u32_e32 8, v36
; %bb.388:                              ;   in Loop: Header=BB254_359 Depth=1
	v_ffbh_u32_e32 v34, v34
	v_min_u32_e32 v36, 32, v34
	v_subrev_nc_u32_e32 v34, 28, v36
	v_lshlrev_b64 v[34:35], v34, v[1:2]
	v_sub_nc_u32_e32 v35, 29, v36
	v_and_b32_e32 v34, 7, v34
; %bb.389:                              ;   in Loop: Header=BB254_359 Depth=1
	s_or_b32 exec_lo, exec_lo, s26
	v_lshlrev_b32_e32 v1, 8, v1
	v_lshl_add_u32 v35, v35, 10, 0x2000
	v_lshlrev_b32_e32 v34, 23, v34
	v_and_or_b32 v1, 0x8000, v1, v35
	v_lshl_or_b32 v34, v1, 16, v34
.LBB254_390:                            ;   in Loop: Header=BB254_359 Depth=1
	s_or_b32 exec_lo, exec_lo, s22
.LBB254_391:                            ;   in Loop: Header=BB254_359 Depth=1
	s_or_b32 exec_lo, exec_lo, s21
.LBB254_392:                            ;   in Loop: Header=BB254_359 Depth=1
	s_or_b32 exec_lo, exec_lo, s0
	v_mov_b32_e32 v1, v10
	v_cmp_ne_u16_sdwa s21, v10, v2 src0_sel:BYTE_0 src1_sel:DWORD
	v_mov_b32_e32 v35, 0
	v_mov_b32_e32 v36, 0
	s_and_saveexec_b32 s0, s21
	s_cbranch_execz .LBB254_400
; %bb.393:                              ;   in Loop: Header=BB254_359 Depth=1
	v_cmp_ne_u16_sdwa s22, v10, v15 src0_sel:BYTE_0 src1_sel:DWORD
	v_mov_b32_e32 v36, 0x8000
	s_and_saveexec_b32 s21, s22
	s_cbranch_execz .LBB254_399
; %bb.394:                              ;   in Loop: Header=BB254_359 Depth=1
	v_and_b32_e32 v46, 0x7f, v10
	v_mov_b32_e32 v36, 0x7c01
	s_mov_b32 s22, exec_lo
	v_cmpx_ne_u32_e32 0x7f, v46
	s_cbranch_execz .LBB254_398
; %bb.395:                              ;   in Loop: Header=BB254_359 Depth=1
	v_and_b32_e32 v36, 7, v10
	v_lshrrev_b32_e32 v37, 3, v46
	s_mov_b32 s26, exec_lo
	v_cmpx_gt_u32_e32 8, v46
; %bb.396:                              ;   in Loop: Header=BB254_359 Depth=1
	v_ffbh_u32_e32 v36, v36
	v_min_u32_e32 v46, 32, v36
	v_subrev_nc_u32_e32 v36, 28, v46
	v_lshlrev_b64 v[36:37], v36, v[1:2]
	v_sub_nc_u32_e32 v37, 29, v46
	v_and_b32_e32 v36, 7, v36
; %bb.397:                              ;   in Loop: Header=BB254_359 Depth=1
	s_or_b32 exec_lo, exec_lo, s26
	v_lshlrev_b32_e32 v46, 8, v10
	v_lshl_add_u32 v37, v37, 10, 0x2000
	v_lshlrev_b32_e32 v36, 7, v36
	v_and_b32_e32 v46, 0x8000, v46
	v_and_b32_e32 v37, 0xfc00, v37
	v_or3_b32 v36, v46, v37, v36
.LBB254_398:                            ;   in Loop: Header=BB254_359 Depth=1
	s_or_b32 exec_lo, exec_lo, s22
.LBB254_399:                            ;   in Loop: Header=BB254_359 Depth=1
	s_or_b32 exec_lo, exec_lo, s21
.LBB254_400:                            ;   in Loop: Header=BB254_359 Depth=1
	s_or_b32 exec_lo, exec_lo, s0
	v_lshrrev_b16 v1, 8, v1
	v_mov_b32_e32 v37, 0
	s_mov_b32 s0, exec_lo
	v_cmpx_ne_u16_e32 0, v1
	s_cbranch_execz .LBB254_408
; %bb.401:                              ;   in Loop: Header=BB254_359 Depth=1
	v_bfrev_b32_e32 v37, 1
	s_mov_b32 s21, exec_lo
	v_cmpx_ne_u16_e32 0x80, v1
	s_cbranch_execz .LBB254_407
; %bb.402:                              ;   in Loop: Header=BB254_359 Depth=1
	v_and_b32_sdwa v47, v1, v24 dst_sel:DWORD dst_unused:UNUSED_PAD src0_sel:WORD_0 src1_sel:DWORD
	v_mov_b32_e32 v37, 0x7c010000
	s_mov_b32 s22, exec_lo
	v_cmpx_ne_u32_e32 0x7f, v47
	s_cbranch_execz .LBB254_406
; %bb.403:                              ;   in Loop: Header=BB254_359 Depth=1
	v_and_b32_sdwa v37, v1, v25 dst_sel:DWORD dst_unused:UNUSED_PAD src0_sel:WORD_0 src1_sel:DWORD
	v_lshrrev_b32_e32 v46, 3, v47
	s_mov_b32 s26, exec_lo
	v_cmpx_gt_u32_e32 8, v47
; %bb.404:                              ;   in Loop: Header=BB254_359 Depth=1
	v_ffbh_u32_e32 v37, v37
	v_min_u32_e32 v37, 32, v37
	v_subrev_nc_u32_e32 v46, 28, v37
	v_lshlrev_b64 v[47:48], v46, v[1:2]
	v_sub_nc_u32_e32 v46, 29, v37
	v_and_b32_e32 v37, 7, v47
; %bb.405:                              ;   in Loop: Header=BB254_359 Depth=1
	s_or_b32 exec_lo, exec_lo, s26
	v_lshlrev_b32_sdwa v1, v26, v1 dst_sel:DWORD dst_unused:UNUSED_PAD src0_sel:DWORD src1_sel:WORD_0
	v_lshl_add_u32 v46, v46, 10, 0x2000
	v_lshlrev_b32_e32 v37, 23, v37
	v_and_or_b32 v1, 0x8000, v1, v46
	v_lshl_or_b32 v37, v1, 16, v37
.LBB254_406:                            ;   in Loop: Header=BB254_359 Depth=1
	s_or_b32 exec_lo, exec_lo, s22
.LBB254_407:                            ;   in Loop: Header=BB254_359 Depth=1
	s_or_b32 exec_lo, exec_lo, s21
.LBB254_408:                            ;   in Loop: Header=BB254_359 Depth=1
	s_or_b32 exec_lo, exec_lo, s0
	v_lshrrev_b32_e32 v1, 16, v10
	v_cmp_ne_u16_sdwa s21, v1, v2 src0_sel:BYTE_0 src1_sel:DWORD
	s_and_saveexec_b32 s0, s21
	s_cbranch_execz .LBB254_416
; %bb.409:                              ;   in Loop: Header=BB254_359 Depth=1
	v_cmp_ne_u16_sdwa s22, v1, v15 src0_sel:BYTE_0 src1_sel:DWORD
	v_mov_b32_e32 v35, 0x8000
	s_and_saveexec_b32 s21, s22
	s_cbranch_execz .LBB254_415
; %bb.410:                              ;   in Loop: Header=BB254_359 Depth=1
	v_bfe_u32 v47, v10, 16, 7
	v_mov_b32_e32 v35, 0x7c01
	s_mov_b32 s22, exec_lo
	v_cmpx_ne_u32_e32 0x7f, v47
	s_cbranch_execz .LBB254_414
; %bb.411:                              ;   in Loop: Header=BB254_359 Depth=1
	v_and_b32_e32 v35, 7, v1
	v_lshrrev_b32_e32 v46, 3, v47
	s_mov_b32 s26, exec_lo
	v_cmpx_gt_u32_e32 8, v47
; %bb.412:                              ;   in Loop: Header=BB254_359 Depth=1
	v_ffbh_u32_e32 v35, v35
	v_min_u32_e32 v35, 32, v35
	v_subrev_nc_u32_e32 v46, 28, v35
	v_lshlrev_b64 v[47:48], v46, v[1:2]
	v_sub_nc_u32_e32 v46, 29, v35
	v_and_b32_e32 v35, 7, v47
; %bb.413:                              ;   in Loop: Header=BB254_359 Depth=1
	s_or_b32 exec_lo, exec_lo, s26
	v_lshlrev_b32_e32 v1, 8, v1
	v_lshl_add_u32 v46, v46, 10, 0x2000
	v_lshlrev_b32_e32 v35, 7, v35
	v_and_b32_e32 v1, 0x8000, v1
	v_and_b32_e32 v46, 0xfc00, v46
	v_or3_b32 v35, v1, v46, v35
.LBB254_414:                            ;   in Loop: Header=BB254_359 Depth=1
	s_or_b32 exec_lo, exec_lo, s22
.LBB254_415:                            ;   in Loop: Header=BB254_359 Depth=1
	s_or_b32 exec_lo, exec_lo, s21
.LBB254_416:                            ;   in Loop: Header=BB254_359 Depth=1
	s_or_b32 exec_lo, exec_lo, s0
	v_cmp_lt_u64_e32 vcc_lo, s[2:3], v[9:10]
	v_mov_b32_e32 v9, 0
	s_and_saveexec_b32 s0, vcc_lo
	s_cbranch_execz .LBB254_424
; %bb.417:                              ;   in Loop: Header=BB254_359 Depth=1
	v_lshrrev_b32_e32 v1, 24, v10
	v_bfrev_b32_e32 v9, 1
	s_mov_b32 s21, exec_lo
	v_cmpx_ne_u32_e32 0x80, v1
	s_cbranch_execz .LBB254_423
; %bb.418:                              ;   in Loop: Header=BB254_359 Depth=1
	v_and_b32_e32 v46, 0x7f, v1
	v_mov_b32_e32 v9, 0x7c010000
	s_mov_b32 s22, exec_lo
	v_cmpx_ne_u32_e32 0x7f, v46
	s_cbranch_execz .LBB254_422
; %bb.419:                              ;   in Loop: Header=BB254_359 Depth=1
	v_and_b32_e32 v9, 7, v1
	v_lshrrev_b32_e32 v10, 3, v46
	s_mov_b32 s26, exec_lo
	v_cmpx_gt_u32_e32 8, v46
; %bb.420:                              ;   in Loop: Header=BB254_359 Depth=1
	v_ffbh_u32_e32 v9, v9
	v_min_u32_e32 v46, 32, v9
	v_subrev_nc_u32_e32 v9, 28, v46
	v_lshlrev_b64 v[9:10], v9, v[1:2]
	v_sub_nc_u32_e32 v10, 29, v46
	v_and_b32_e32 v9, 7, v9
; %bb.421:                              ;   in Loop: Header=BB254_359 Depth=1
	s_or_b32 exec_lo, exec_lo, s26
	v_lshlrev_b32_e32 v1, 8, v1
	v_lshl_add_u32 v10, v10, 10, 0x2000
	v_lshlrev_b32_e32 v9, 23, v9
	v_and_or_b32 v1, 0x8000, v1, v10
	v_lshl_or_b32 v9, v1, 16, v9
.LBB254_422:                            ;   in Loop: Header=BB254_359 Depth=1
	s_or_b32 exec_lo, exec_lo, s22
.LBB254_423:                            ;   in Loop: Header=BB254_359 Depth=1
	s_or_b32 exec_lo, exec_lo, s21
.LBB254_424:                            ;   in Loop: Header=BB254_359 Depth=1
	s_or_b32 exec_lo, exec_lo, s0
	v_or_b32_e32 v1, v34, v30
	v_fma_mixlo_f16 v10, v31, v34, 0 op_sel:[0,1,0] op_sel_hi:[0,1,0]
	v_or_b32_e32 v33, v32, v33
	v_fma_mixlo_f16 v32, v31, v32, 0 op_sel:[0,1,0] op_sel_hi:[0,1,0]
	v_or_b32_e32 v34, v37, v36
	v_fma_mixlo_f16 v1, v31, v1, 0 op_sel_hi:[0,1,0]
	v_or_b32_e32 v35, v9, v35
	v_fma_mixlo_f16 v9, v31, v9, 0 op_sel:[0,1,0] op_sel_hi:[0,1,0]
	v_lshlrev_b32_e32 v52, 16, v32
	v_fma_mixlo_f16 v32, v31, v37, 0 op_sel:[0,1,0] op_sel_hi:[0,1,0]
	v_and_b32_e32 v49, 0xffff, v1
	v_fma_mixlo_f16 v1, v31, v33, 0 op_sel_hi:[0,1,0]
	v_fma_mixlo_f16 v33, v31, v34, 0 op_sel_hi:[0,1,0]
	;; [unrolled: 1-line block ×3, first 2 shown]
	v_add_nc_u32_e32 v30, v23, v14
	v_lshlrev_b32_e32 v10, 16, v10
	v_and_b32_e32 v54, 0xffff, v1
	v_lshlrev_b32_e32 v50, 16, v32
	v_and_b32_e32 v53, 0xffff, v33
	;; [unrolled: 2-line block ×3, first 2 shown]
	v_cmp_eq_u32_e32 vcc_lo, s13, v29
	v_or_b32_e32 v1, v10, v49
	v_or_b32_e32 v9, v52, v54
	;; [unrolled: 1-line block ×4, first 2 shown]
	v_add_nc_u32_e32 v37, 1, v30
	v_add_nc_u32_e32 v36, 2, v30
	;; [unrolled: 1-line block ×7, first 2 shown]
	s_and_saveexec_b32 s21, vcc_lo
	s_cbranch_execz .LBB254_426
; %bb.425:                              ;   in Loop: Header=BB254_359 Depth=1
	v_cmp_gt_i32_e64 s0, s33, v30
	v_cndmask_b32_e64 v1, 0, v54, s0
	v_cmp_gt_i32_e64 s0, s33, v37
	v_cndmask_b32_e64 v9, 0, v52, s0
	v_cmp_gt_i32_e64 s0, s33, v36
	v_or_b32_e32 v9, v9, v1
	v_cndmask_b32_e64 v46, 0, v49, s0
	v_cmp_gt_i32_e64 s0, s33, v35
	v_cndmask_b32_e64 v10, 0, v10, s0
	v_cmp_gt_i32_e64 s0, s33, v34
	v_or_b32_e32 v1, v10, v46
	;; [unrolled: 5-line block ×3, first 2 shown]
	v_cndmask_b32_e64 v50, 0, v51, s0
	v_cmp_gt_i32_e64 s0, s33, v31
	v_cndmask_b32_e64 v47, 0, v47, s0
	v_or_b32_e32 v48, v47, v50
.LBB254_426:                            ;   in Loop: Header=BB254_359 Depth=1
	s_or_b32 exec_lo, exec_lo, s21
	v_and_b32_e32 v10, 0xffff, v38
	v_and_b32_e32 v38, 0xffff, v42
	;; [unrolled: 1-line block ×4, first 2 shown]
	v_lshl_or_b32 v43, v39, 16, v10
	v_lshl_or_b32 v42, v40, 16, v38
	;;#ASMSTART
	v_pk_mul_f16 v9, v43, v9;

	;;#ASMEND
	;;#ASMSTART
	v_pk_mul_f16 v1, v42, v1;

	;;#ASMEND
	v_lshl_or_b32 v41, v41, 16, v47
	v_lshl_or_b32 v40, v44, 16, v45
	;;#ASMSTART
	v_pk_mul_f16 v10, v41, v46;

	;;#ASMEND
	;;#ASMSTART
	v_pk_mul_f16 v38, v40, v48;

	;;#ASMEND
	;;#ASMSTART
	v_pk_add_f16 v1, v9, v1;

	;;#ASMEND
	;;#ASMSTART
	v_pk_add_f16 v1, v1, v10;
	;; [unrolled: 4-line block ×3, first 2 shown]

	;;#ASMEND
	v_and_b32_e32 v9, 0xffff, v1
	v_lshrrev_b32_e32 v1, 16, v1
	;;#ASMSTART
	v_cvt_f32_f16 v38, v9;
	;;#ASMEND
	;;#ASMSTART
	v_cvt_f32_f16 v39, v1;
	;;#ASMEND
	global_load_dwordx2 v[9:10], v[7:8], off offset:256
	v_mov_b32_e32 v45, 0
	v_mov_b32_e32 v46, 0
	global_load_dword v44, v45, s[14:15]
	s_waitcnt vmcnt(1)
	v_cmp_ne_u16_sdwa s0, v9, v2 src0_sel:BYTE_0 src1_sel:DWORD
	s_and_saveexec_b32 s21, s0
	s_cbranch_execz .LBB254_434
; %bb.427:                              ;   in Loop: Header=BB254_359 Depth=1
	v_cmp_ne_u16_sdwa s0, v9, v15 src0_sel:BYTE_0 src1_sel:DWORD
	v_mov_b32_e32 v46, 0x8000
	s_and_saveexec_b32 s22, s0
	s_cbranch_execz .LBB254_433
; %bb.428:                              ;   in Loop: Header=BB254_359 Depth=1
	v_and_b32_e32 v47, 0x7f, v9
	v_mov_b32_e32 v46, 0x7c01
	s_mov_b32 s26, exec_lo
	v_cmpx_ne_u32_e32 0x7f, v47
	s_cbranch_execz .LBB254_432
; %bb.429:                              ;   in Loop: Header=BB254_359 Depth=1
	v_and_b32_e32 v1, 7, v9
	v_lshrrev_b32_e32 v46, 3, v47
	s_mov_b32 s27, exec_lo
	v_cmpx_gt_u32_e32 8, v47
; %bb.430:                              ;   in Loop: Header=BB254_359 Depth=1
	v_ffbh_u32_e32 v1, v1
	v_min_u32_e32 v1, 32, v1
	v_subrev_nc_u32_e32 v46, 28, v1
	v_lshlrev_b64 v[47:48], v46, v[9:10]
	v_sub_nc_u32_e32 v46, 29, v1
	v_and_b32_e32 v1, 7, v47
; %bb.431:                              ;   in Loop: Header=BB254_359 Depth=1
	s_or_b32 exec_lo, exec_lo, s27
	v_lshlrev_b32_e32 v47, 8, v9
	v_lshl_add_u32 v46, v46, 10, 0x2000
	v_lshlrev_b32_e32 v1, 7, v1
	v_and_b32_e32 v47, 0x8000, v47
	v_and_b32_e32 v46, 0xfc00, v46
	v_or3_b32 v46, v47, v46, v1
.LBB254_432:                            ;   in Loop: Header=BB254_359 Depth=1
	s_or_b32 exec_lo, exec_lo, s26
.LBB254_433:                            ;   in Loop: Header=BB254_359 Depth=1
	s_or_b32 exec_lo, exec_lo, s22
.LBB254_434:                            ;   in Loop: Header=BB254_359 Depth=1
	s_or_b32 exec_lo, exec_lo, s21
	v_lshrrev_b16 v1, 8, v9
	s_mov_b32 s21, exec_lo
	v_cmpx_ne_u16_e32 0, v1
	s_cbranch_execz .LBB254_442
; %bb.435:                              ;   in Loop: Header=BB254_359 Depth=1
	v_bfrev_b32_e32 v45, 1
	s_mov_b32 s22, exec_lo
	v_cmpx_ne_u16_e32 0x80, v1
	s_cbranch_execz .LBB254_441
; %bb.436:                              ;   in Loop: Header=BB254_359 Depth=1
	v_and_b32_sdwa v48, v1, v24 dst_sel:DWORD dst_unused:UNUSED_PAD src0_sel:WORD_0 src1_sel:DWORD
	v_mov_b32_e32 v45, 0x7c010000
	s_mov_b32 s26, exec_lo
	v_cmpx_ne_u32_e32 0x7f, v48
	s_cbranch_execz .LBB254_440
; %bb.437:                              ;   in Loop: Header=BB254_359 Depth=1
	v_and_b32_sdwa v45, v1, v25 dst_sel:DWORD dst_unused:UNUSED_PAD src0_sel:WORD_0 src1_sel:DWORD
	v_lshrrev_b32_e32 v47, 3, v48
	s_mov_b32 s27, exec_lo
	v_cmpx_gt_u32_e32 8, v48
; %bb.438:                              ;   in Loop: Header=BB254_359 Depth=1
	v_ffbh_u32_e32 v45, v45
	v_min_u32_e32 v45, 32, v45
	v_subrev_nc_u32_e32 v47, 28, v45
	v_lshlrev_b64 v[48:49], v47, v[1:2]
	v_sub_nc_u32_e32 v47, 29, v45
	v_and_b32_e32 v45, 7, v48
; %bb.439:                              ;   in Loop: Header=BB254_359 Depth=1
	s_or_b32 exec_lo, exec_lo, s27
	v_lshlrev_b32_sdwa v1, v26, v1 dst_sel:DWORD dst_unused:UNUSED_PAD src0_sel:DWORD src1_sel:WORD_0
	v_lshl_add_u32 v47, v47, 10, 0x2000
	v_lshlrev_b32_e32 v45, 23, v45
	v_and_or_b32 v1, 0x8000, v1, v47
	v_lshl_or_b32 v45, v1, 16, v45
.LBB254_440:                            ;   in Loop: Header=BB254_359 Depth=1
	s_or_b32 exec_lo, exec_lo, s26
.LBB254_441:                            ;   in Loop: Header=BB254_359 Depth=1
	s_or_b32 exec_lo, exec_lo, s22
.LBB254_442:                            ;   in Loop: Header=BB254_359 Depth=1
	s_or_b32 exec_lo, exec_lo, s21
	v_lshrrev_b32_e32 v1, 16, v9
	v_mov_b32_e32 v47, 0
	v_mov_b32_e32 v48, 0
	v_cmp_ne_u16_sdwa s0, v1, v2 src0_sel:BYTE_0 src1_sel:DWORD
	s_and_saveexec_b32 s21, s0
	s_cbranch_execz .LBB254_450
; %bb.443:                              ;   in Loop: Header=BB254_359 Depth=1
	v_cmp_ne_u16_sdwa s0, v1, v15 src0_sel:BYTE_0 src1_sel:DWORD
	v_mov_b32_e32 v48, 0x8000
	s_and_saveexec_b32 s22, s0
	s_cbranch_execz .LBB254_449
; %bb.444:                              ;   in Loop: Header=BB254_359 Depth=1
	v_bfe_u32 v50, v9, 16, 7
	v_mov_b32_e32 v48, 0x7c01
	s_mov_b32 s26, exec_lo
	v_cmpx_ne_u32_e32 0x7f, v50
	s_cbranch_execz .LBB254_448
; %bb.445:                              ;   in Loop: Header=BB254_359 Depth=1
	v_and_b32_e32 v48, 7, v1
	v_lshrrev_b32_e32 v49, 3, v50
	s_mov_b32 s27, exec_lo
	v_cmpx_gt_u32_e32 8, v50
; %bb.446:                              ;   in Loop: Header=BB254_359 Depth=1
	v_ffbh_u32_e32 v48, v48
	v_min_u32_e32 v50, 32, v48
	v_subrev_nc_u32_e32 v48, 28, v50
	v_lshlrev_b64 v[48:49], v48, v[1:2]
	v_sub_nc_u32_e32 v49, 29, v50
	v_and_b32_e32 v48, 7, v48
; %bb.447:                              ;   in Loop: Header=BB254_359 Depth=1
	s_or_b32 exec_lo, exec_lo, s27
	v_lshlrev_b32_e32 v1, 8, v1
	v_lshl_add_u32 v49, v49, 10, 0x2000
	v_lshlrev_b32_e32 v48, 7, v48
	v_and_b32_e32 v1, 0x8000, v1
	v_and_b32_e32 v49, 0xfc00, v49
	v_or3_b32 v48, v1, v49, v48
.LBB254_448:                            ;   in Loop: Header=BB254_359 Depth=1
	s_or_b32 exec_lo, exec_lo, s26
.LBB254_449:                            ;   in Loop: Header=BB254_359 Depth=1
	s_or_b32 exec_lo, exec_lo, s22
.LBB254_450:                            ;   in Loop: Header=BB254_359 Depth=1
	s_or_b32 exec_lo, exec_lo, s21
	s_mov_b32 s21, exec_lo
	v_cmpx_lt_u32_e32 0xffffff, v9
	s_cbranch_execz .LBB254_458
; %bb.451:                              ;   in Loop: Header=BB254_359 Depth=1
	v_lshrrev_b32_e32 v1, 24, v9
	v_bfrev_b32_e32 v47, 1
	s_mov_b32 s22, exec_lo
	v_cmpx_ne_u32_e32 0x80, v1
	s_cbranch_execz .LBB254_457
; %bb.452:                              ;   in Loop: Header=BB254_359 Depth=1
	v_and_b32_e32 v50, 0x7f, v1
	v_mov_b32_e32 v47, 0x7c010000
	s_mov_b32 s26, exec_lo
	v_cmpx_ne_u32_e32 0x7f, v50
	s_cbranch_execz .LBB254_456
; %bb.453:                              ;   in Loop: Header=BB254_359 Depth=1
	v_and_b32_e32 v47, 7, v1
	v_lshrrev_b32_e32 v49, 3, v50
	s_mov_b32 s27, exec_lo
	v_cmpx_gt_u32_e32 8, v50
; %bb.454:                              ;   in Loop: Header=BB254_359 Depth=1
	v_ffbh_u32_e32 v47, v47
	v_min_u32_e32 v47, 32, v47
	v_subrev_nc_u32_e32 v49, 28, v47
	v_lshlrev_b64 v[50:51], v49, v[1:2]
	v_sub_nc_u32_e32 v49, 29, v47
	v_and_b32_e32 v47, 7, v50
; %bb.455:                              ;   in Loop: Header=BB254_359 Depth=1
	s_or_b32 exec_lo, exec_lo, s27
	v_lshlrev_b32_e32 v1, 8, v1
	v_lshl_add_u32 v49, v49, 10, 0x2000
	v_lshlrev_b32_e32 v47, 23, v47
	v_and_or_b32 v1, 0x8000, v1, v49
	v_lshl_or_b32 v47, v1, 16, v47
.LBB254_456:                            ;   in Loop: Header=BB254_359 Depth=1
	s_or_b32 exec_lo, exec_lo, s26
.LBB254_457:                            ;   in Loop: Header=BB254_359 Depth=1
	s_or_b32 exec_lo, exec_lo, s22
.LBB254_458:                            ;   in Loop: Header=BB254_359 Depth=1
	s_or_b32 exec_lo, exec_lo, s21
	v_mov_b32_e32 v1, v10
	v_cmp_ne_u16_sdwa s0, v10, v2 src0_sel:BYTE_0 src1_sel:DWORD
	v_mov_b32_e32 v49, 0
	v_mov_b32_e32 v50, 0
	s_and_saveexec_b32 s21, s0
	s_cbranch_execz .LBB254_466
; %bb.459:                              ;   in Loop: Header=BB254_359 Depth=1
	v_cmp_ne_u16_sdwa s0, v10, v15 src0_sel:BYTE_0 src1_sel:DWORD
	v_mov_b32_e32 v50, 0x8000
	s_and_saveexec_b32 s22, s0
	s_cbranch_execz .LBB254_465
; %bb.460:                              ;   in Loop: Header=BB254_359 Depth=1
	v_and_b32_e32 v52, 0x7f, v10
	v_mov_b32_e32 v50, 0x7c01
	s_mov_b32 s26, exec_lo
	v_cmpx_ne_u32_e32 0x7f, v52
	s_cbranch_execz .LBB254_464
; %bb.461:                              ;   in Loop: Header=BB254_359 Depth=1
	v_and_b32_e32 v50, 7, v10
	v_lshrrev_b32_e32 v51, 3, v52
	s_mov_b32 s27, exec_lo
	v_cmpx_gt_u32_e32 8, v52
; %bb.462:                              ;   in Loop: Header=BB254_359 Depth=1
	v_ffbh_u32_e32 v50, v50
	v_min_u32_e32 v52, 32, v50
	v_subrev_nc_u32_e32 v50, 28, v52
	v_lshlrev_b64 v[50:51], v50, v[1:2]
	v_sub_nc_u32_e32 v51, 29, v52
	v_and_b32_e32 v50, 7, v50
; %bb.463:                              ;   in Loop: Header=BB254_359 Depth=1
	s_or_b32 exec_lo, exec_lo, s27
	v_lshlrev_b32_e32 v52, 8, v10
	v_lshl_add_u32 v51, v51, 10, 0x2000
	v_lshlrev_b32_e32 v50, 7, v50
	v_and_b32_e32 v52, 0x8000, v52
	v_and_b32_e32 v51, 0xfc00, v51
	v_or3_b32 v50, v52, v51, v50
.LBB254_464:                            ;   in Loop: Header=BB254_359 Depth=1
	s_or_b32 exec_lo, exec_lo, s26
.LBB254_465:                            ;   in Loop: Header=BB254_359 Depth=1
	s_or_b32 exec_lo, exec_lo, s22
.LBB254_466:                            ;   in Loop: Header=BB254_359 Depth=1
	s_or_b32 exec_lo, exec_lo, s21
	v_lshrrev_b16 v1, 8, v1
	v_mov_b32_e32 v51, 0
	s_mov_b32 s21, exec_lo
	v_cmpx_ne_u16_e32 0, v1
	s_cbranch_execz .LBB254_474
; %bb.467:                              ;   in Loop: Header=BB254_359 Depth=1
	v_bfrev_b32_e32 v51, 1
	s_mov_b32 s22, exec_lo
	v_cmpx_ne_u16_e32 0x80, v1
	s_cbranch_execz .LBB254_473
; %bb.468:                              ;   in Loop: Header=BB254_359 Depth=1
	v_and_b32_sdwa v53, v1, v24 dst_sel:DWORD dst_unused:UNUSED_PAD src0_sel:WORD_0 src1_sel:DWORD
	v_mov_b32_e32 v51, 0x7c010000
	s_mov_b32 s26, exec_lo
	v_cmpx_ne_u32_e32 0x7f, v53
	s_cbranch_execz .LBB254_472
; %bb.469:                              ;   in Loop: Header=BB254_359 Depth=1
	v_and_b32_sdwa v51, v1, v25 dst_sel:DWORD dst_unused:UNUSED_PAD src0_sel:WORD_0 src1_sel:DWORD
	v_lshrrev_b32_e32 v52, 3, v53
	s_mov_b32 s27, exec_lo
	v_cmpx_gt_u32_e32 8, v53
; %bb.470:                              ;   in Loop: Header=BB254_359 Depth=1
	v_ffbh_u32_e32 v51, v51
	v_min_u32_e32 v53, 32, v51
	v_subrev_nc_u32_e32 v51, 28, v53
	v_lshlrev_b64 v[51:52], v51, v[1:2]
	v_sub_nc_u32_e32 v52, 29, v53
	v_and_b32_e32 v51, 7, v51
; %bb.471:                              ;   in Loop: Header=BB254_359 Depth=1
	s_or_b32 exec_lo, exec_lo, s27
	v_lshlrev_b32_sdwa v1, v26, v1 dst_sel:DWORD dst_unused:UNUSED_PAD src0_sel:DWORD src1_sel:WORD_0
	v_lshl_add_u32 v52, v52, 10, 0x2000
	v_lshlrev_b32_e32 v51, 23, v51
	v_and_or_b32 v1, 0x8000, v1, v52
	v_lshl_or_b32 v51, v1, 16, v51
.LBB254_472:                            ;   in Loop: Header=BB254_359 Depth=1
	s_or_b32 exec_lo, exec_lo, s26
.LBB254_473:                            ;   in Loop: Header=BB254_359 Depth=1
	s_or_b32 exec_lo, exec_lo, s22
.LBB254_474:                            ;   in Loop: Header=BB254_359 Depth=1
	s_or_b32 exec_lo, exec_lo, s21
	v_lshrrev_b32_e32 v1, 16, v10
	v_cmp_ne_u16_sdwa s0, v1, v2 src0_sel:BYTE_0 src1_sel:DWORD
	s_and_saveexec_b32 s21, s0
	s_cbranch_execz .LBB254_482
; %bb.475:                              ;   in Loop: Header=BB254_359 Depth=1
	v_cmp_ne_u16_sdwa s0, v1, v15 src0_sel:BYTE_0 src1_sel:DWORD
	v_mov_b32_e32 v49, 0x8000
	s_and_saveexec_b32 s22, s0
	s_cbranch_execz .LBB254_481
; %bb.476:                              ;   in Loop: Header=BB254_359 Depth=1
	v_bfe_u32 v53, v10, 16, 7
	v_mov_b32_e32 v49, 0x7c01
	s_mov_b32 s26, exec_lo
	v_cmpx_ne_u32_e32 0x7f, v53
	s_cbranch_execz .LBB254_480
; %bb.477:                              ;   in Loop: Header=BB254_359 Depth=1
	v_and_b32_e32 v49, 7, v1
	v_lshrrev_b32_e32 v52, 3, v53
	s_mov_b32 s27, exec_lo
	v_cmpx_gt_u32_e32 8, v53
; %bb.478:                              ;   in Loop: Header=BB254_359 Depth=1
	v_ffbh_u32_e32 v49, v49
	v_min_u32_e32 v49, 32, v49
	v_subrev_nc_u32_e32 v52, 28, v49
	v_lshlrev_b64 v[53:54], v52, v[1:2]
	v_sub_nc_u32_e32 v52, 29, v49
	v_and_b32_e32 v49, 7, v53
; %bb.479:                              ;   in Loop: Header=BB254_359 Depth=1
	s_or_b32 exec_lo, exec_lo, s27
	v_lshlrev_b32_e32 v1, 8, v1
	v_lshl_add_u32 v52, v52, 10, 0x2000
	v_lshlrev_b32_e32 v49, 7, v49
	v_and_b32_e32 v1, 0x8000, v1
	v_and_b32_e32 v52, 0xfc00, v52
	v_or3_b32 v49, v1, v52, v49
.LBB254_480:                            ;   in Loop: Header=BB254_359 Depth=1
	s_or_b32 exec_lo, exec_lo, s26
.LBB254_481:                            ;   in Loop: Header=BB254_359 Depth=1
	s_or_b32 exec_lo, exec_lo, s22
.LBB254_482:                            ;   in Loop: Header=BB254_359 Depth=1
	s_or_b32 exec_lo, exec_lo, s21
	v_cmp_lt_u64_e64 s0, s[2:3], v[9:10]
	v_mov_b32_e32 v9, 0
	s_and_saveexec_b32 s21, s0
	s_cbranch_execz .LBB254_490
; %bb.483:                              ;   in Loop: Header=BB254_359 Depth=1
	v_lshrrev_b32_e32 v1, 24, v10
	v_bfrev_b32_e32 v9, 1
	s_mov_b32 s22, exec_lo
	v_cmpx_ne_u32_e32 0x80, v1
	s_cbranch_execz .LBB254_489
; %bb.484:                              ;   in Loop: Header=BB254_359 Depth=1
	v_and_b32_e32 v52, 0x7f, v1
	v_mov_b32_e32 v9, 0x7c010000
	s_mov_b32 s26, exec_lo
	v_cmpx_ne_u32_e32 0x7f, v52
	s_cbranch_execz .LBB254_488
; %bb.485:                              ;   in Loop: Header=BB254_359 Depth=1
	v_and_b32_e32 v9, 7, v1
	v_lshrrev_b32_e32 v10, 3, v52
	s_mov_b32 s27, exec_lo
	v_cmpx_gt_u32_e32 8, v52
; %bb.486:                              ;   in Loop: Header=BB254_359 Depth=1
	v_ffbh_u32_e32 v9, v9
	v_min_u32_e32 v52, 32, v9
	v_subrev_nc_u32_e32 v9, 28, v52
	v_lshlrev_b64 v[9:10], v9, v[1:2]
	v_sub_nc_u32_e32 v10, 29, v52
	v_and_b32_e32 v9, 7, v9
; %bb.487:                              ;   in Loop: Header=BB254_359 Depth=1
	s_or_b32 exec_lo, exec_lo, s27
	v_lshlrev_b32_e32 v1, 8, v1
	v_lshl_add_u32 v10, v10, 10, 0x2000
	v_lshlrev_b32_e32 v9, 23, v9
	v_and_or_b32 v1, 0x8000, v1, v10
	v_lshl_or_b32 v9, v1, 16, v9
.LBB254_488:                            ;   in Loop: Header=BB254_359 Depth=1
	s_or_b32 exec_lo, exec_lo, s26
.LBB254_489:                            ;   in Loop: Header=BB254_359 Depth=1
	s_or_b32 exec_lo, exec_lo, s22
.LBB254_490:                            ;   in Loop: Header=BB254_359 Depth=1
	s_or_b32 exec_lo, exec_lo, s21
	v_or_b32_e32 v1, v47, v48
	s_waitcnt vmcnt(0)
	v_fma_mixlo_f16 v10, v44, v47, 0 op_sel:[0,1,0] op_sel_hi:[0,1,0]
	v_or_b32_e32 v47, v45, v46
	v_fma_mixlo_f16 v45, v44, v45, 0 op_sel:[0,1,0] op_sel_hi:[0,1,0]
	v_or_b32_e32 v48, v51, v50
	v_or_b32_e32 v49, v9, v49
	v_fma_mixlo_f16 v50, v44, v1, 0 op_sel_hi:[0,1,0]
	v_fma_mixlo_f16 v9, v44, v9, 0 op_sel:[0,1,0] op_sel_hi:[0,1,0]
	v_lshlrev_b32_e32 v46, 16, v45
	v_fma_mixlo_f16 v45, v44, v47, 0 op_sel_hi:[0,1,0]
	v_fma_mixlo_f16 v47, v44, v51, 0 op_sel:[0,1,0] op_sel_hi:[0,1,0]
	v_fma_mixlo_f16 v48, v44, v48, 0 op_sel_hi:[0,1,0]
	v_fma_mixlo_f16 v49, v44, v49, 0 op_sel_hi:[0,1,0]
	v_lshlrev_b32_e32 v1, 16, v10
	v_and_b32_e32 v10, 0xffff, v50
	v_and_b32_e32 v52, 0xffff, v45
	v_lshlrev_b32_e32 v44, 16, v47
	v_and_b32_e32 v48, 0xffff, v48
	v_lshlrev_b32_e32 v9, 16, v9
	v_and_b32_e32 v45, 0xffff, v49
	v_or_b32_e32 v47, v1, v10
	v_or_b32_e32 v51, v46, v52
	;; [unrolled: 1-line block ×4, first 2 shown]
	s_and_saveexec_b32 s21, vcc_lo
	s_cbranch_execz .LBB254_492
; %bb.491:                              ;   in Loop: Header=BB254_359 Depth=1
	v_cmp_gt_i32_e64 s0, s33, v30
	v_cndmask_b32_e64 v47, 0, v52, s0
	v_cmp_gt_i32_e64 s0, s33, v37
	v_cndmask_b32_e64 v46, 0, v46, s0
	v_cmp_gt_i32_e64 s0, s33, v36
	v_or_b32_e32 v51, v46, v47
	v_cndmask_b32_e64 v10, 0, v10, s0
	v_cmp_gt_i32_e64 s0, s33, v35
	v_cndmask_b32_e64 v1, 0, v1, s0
	v_cmp_gt_i32_e64 s0, s33, v34
	v_or_b32_e32 v47, v1, v10
	;; [unrolled: 5-line block ×3, first 2 shown]
	v_cndmask_b32_e64 v45, 0, v45, s0
	v_cmp_gt_i32_e64 s0, s33, v31
	v_cndmask_b32_e64 v9, 0, v9, s0
	v_or_b32_e32 v49, v9, v45
.LBB254_492:                            ;   in Loop: Header=BB254_359 Depth=1
	s_or_b32 exec_lo, exec_lo, s21
	;;#ASMSTART
	v_pk_mul_f16 v1, v43, v51;

	;;#ASMEND
	;;#ASMSTART
	v_pk_mul_f16 v9, v42, v47;

	;;#ASMEND
	;; [unrolled: 4-line block ×4, first 2 shown]
	;;#ASMSTART
	v_pk_add_f16 v1, v1, v9;

	;;#ASMEND
	;;#ASMSTART
	v_pk_add_f16 v1, v1, v10;

	;;#ASMEND
	;; [unrolled: 4-line block ×3, first 2 shown]
	v_and_b32_e32 v9, 0xffff, v1
	v_lshrrev_b32_e32 v1, 16, v1
	;;#ASMSTART
	v_cvt_f32_f16 v44, v9;
	;;#ASMEND
	;;#ASMSTART
	v_cvt_f32_f16 v45, v1;
	;;#ASMEND
	global_load_dwordx2 v[9:10], v[7:8], off offset:512
	v_mov_b32_e32 v47, 0
	v_mov_b32_e32 v48, 0
	global_load_dword v46, v47, s[14:15]
	s_waitcnt vmcnt(1)
	v_cmp_ne_u16_sdwa s0, v9, v2 src0_sel:BYTE_0 src1_sel:DWORD
	s_and_saveexec_b32 s21, s0
	s_cbranch_execz .LBB254_500
; %bb.493:                              ;   in Loop: Header=BB254_359 Depth=1
	v_cmp_ne_u16_sdwa s0, v9, v15 src0_sel:BYTE_0 src1_sel:DWORD
	v_mov_b32_e32 v48, 0x8000
	s_and_saveexec_b32 s22, s0
	s_cbranch_execz .LBB254_499
; %bb.494:                              ;   in Loop: Header=BB254_359 Depth=1
	v_and_b32_e32 v49, 0x7f, v9
	v_mov_b32_e32 v48, 0x7c01
	s_mov_b32 s26, exec_lo
	v_cmpx_ne_u32_e32 0x7f, v49
	s_cbranch_execz .LBB254_498
; %bb.495:                              ;   in Loop: Header=BB254_359 Depth=1
	v_and_b32_e32 v1, 7, v9
	v_lshrrev_b32_e32 v48, 3, v49
	s_mov_b32 s27, exec_lo
	v_cmpx_gt_u32_e32 8, v49
; %bb.496:                              ;   in Loop: Header=BB254_359 Depth=1
	v_ffbh_u32_e32 v1, v1
	v_min_u32_e32 v1, 32, v1
	v_subrev_nc_u32_e32 v48, 28, v1
	v_lshlrev_b64 v[49:50], v48, v[9:10]
	v_sub_nc_u32_e32 v48, 29, v1
	v_and_b32_e32 v1, 7, v49
; %bb.497:                              ;   in Loop: Header=BB254_359 Depth=1
	s_or_b32 exec_lo, exec_lo, s27
	v_lshlrev_b32_e32 v49, 8, v9
	v_lshl_add_u32 v48, v48, 10, 0x2000
	v_lshlrev_b32_e32 v1, 7, v1
	v_and_b32_e32 v49, 0x8000, v49
	v_and_b32_e32 v48, 0xfc00, v48
	v_or3_b32 v48, v49, v48, v1
.LBB254_498:                            ;   in Loop: Header=BB254_359 Depth=1
	s_or_b32 exec_lo, exec_lo, s26
.LBB254_499:                            ;   in Loop: Header=BB254_359 Depth=1
	s_or_b32 exec_lo, exec_lo, s22
.LBB254_500:                            ;   in Loop: Header=BB254_359 Depth=1
	s_or_b32 exec_lo, exec_lo, s21
	v_lshrrev_b16 v1, 8, v9
	s_mov_b32 s21, exec_lo
	v_cmpx_ne_u16_e32 0, v1
	s_cbranch_execz .LBB254_508
; %bb.501:                              ;   in Loop: Header=BB254_359 Depth=1
	v_bfrev_b32_e32 v47, 1
	s_mov_b32 s22, exec_lo
	v_cmpx_ne_u16_e32 0x80, v1
	s_cbranch_execz .LBB254_507
; %bb.502:                              ;   in Loop: Header=BB254_359 Depth=1
	v_and_b32_sdwa v50, v1, v24 dst_sel:DWORD dst_unused:UNUSED_PAD src0_sel:WORD_0 src1_sel:DWORD
	v_mov_b32_e32 v47, 0x7c010000
	s_mov_b32 s26, exec_lo
	v_cmpx_ne_u32_e32 0x7f, v50
	s_cbranch_execz .LBB254_506
; %bb.503:                              ;   in Loop: Header=BB254_359 Depth=1
	v_and_b32_sdwa v47, v1, v25 dst_sel:DWORD dst_unused:UNUSED_PAD src0_sel:WORD_0 src1_sel:DWORD
	v_lshrrev_b32_e32 v49, 3, v50
	s_mov_b32 s27, exec_lo
	v_cmpx_gt_u32_e32 8, v50
; %bb.504:                              ;   in Loop: Header=BB254_359 Depth=1
	v_ffbh_u32_e32 v47, v47
	v_min_u32_e32 v47, 32, v47
	v_subrev_nc_u32_e32 v49, 28, v47
	v_lshlrev_b64 v[50:51], v49, v[1:2]
	v_sub_nc_u32_e32 v49, 29, v47
	v_and_b32_e32 v47, 7, v50
; %bb.505:                              ;   in Loop: Header=BB254_359 Depth=1
	s_or_b32 exec_lo, exec_lo, s27
	v_lshlrev_b32_sdwa v1, v26, v1 dst_sel:DWORD dst_unused:UNUSED_PAD src0_sel:DWORD src1_sel:WORD_0
	v_lshl_add_u32 v49, v49, 10, 0x2000
	v_lshlrev_b32_e32 v47, 23, v47
	v_and_or_b32 v1, 0x8000, v1, v49
	v_lshl_or_b32 v47, v1, 16, v47
.LBB254_506:                            ;   in Loop: Header=BB254_359 Depth=1
	s_or_b32 exec_lo, exec_lo, s26
.LBB254_507:                            ;   in Loop: Header=BB254_359 Depth=1
	s_or_b32 exec_lo, exec_lo, s22
.LBB254_508:                            ;   in Loop: Header=BB254_359 Depth=1
	s_or_b32 exec_lo, exec_lo, s21
	v_lshrrev_b32_e32 v1, 16, v9
	v_mov_b32_e32 v49, 0
	v_mov_b32_e32 v50, 0
	v_cmp_ne_u16_sdwa s0, v1, v2 src0_sel:BYTE_0 src1_sel:DWORD
	s_and_saveexec_b32 s21, s0
	s_cbranch_execz .LBB254_516
; %bb.509:                              ;   in Loop: Header=BB254_359 Depth=1
	v_cmp_ne_u16_sdwa s0, v1, v15 src0_sel:BYTE_0 src1_sel:DWORD
	v_mov_b32_e32 v50, 0x8000
	s_and_saveexec_b32 s22, s0
	s_cbranch_execz .LBB254_515
; %bb.510:                              ;   in Loop: Header=BB254_359 Depth=1
	v_bfe_u32 v52, v9, 16, 7
	v_mov_b32_e32 v50, 0x7c01
	s_mov_b32 s26, exec_lo
	v_cmpx_ne_u32_e32 0x7f, v52
	s_cbranch_execz .LBB254_514
; %bb.511:                              ;   in Loop: Header=BB254_359 Depth=1
	v_and_b32_e32 v50, 7, v1
	v_lshrrev_b32_e32 v51, 3, v52
	s_mov_b32 s27, exec_lo
	v_cmpx_gt_u32_e32 8, v52
; %bb.512:                              ;   in Loop: Header=BB254_359 Depth=1
	v_ffbh_u32_e32 v50, v50
	v_min_u32_e32 v52, 32, v50
	v_subrev_nc_u32_e32 v50, 28, v52
	v_lshlrev_b64 v[50:51], v50, v[1:2]
	v_sub_nc_u32_e32 v51, 29, v52
	v_and_b32_e32 v50, 7, v50
; %bb.513:                              ;   in Loop: Header=BB254_359 Depth=1
	s_or_b32 exec_lo, exec_lo, s27
	v_lshlrev_b32_e32 v1, 8, v1
	v_lshl_add_u32 v51, v51, 10, 0x2000
	v_lshlrev_b32_e32 v50, 7, v50
	v_and_b32_e32 v1, 0x8000, v1
	v_and_b32_e32 v51, 0xfc00, v51
	v_or3_b32 v50, v1, v51, v50
.LBB254_514:                            ;   in Loop: Header=BB254_359 Depth=1
	s_or_b32 exec_lo, exec_lo, s26
.LBB254_515:                            ;   in Loop: Header=BB254_359 Depth=1
	s_or_b32 exec_lo, exec_lo, s22
.LBB254_516:                            ;   in Loop: Header=BB254_359 Depth=1
	s_or_b32 exec_lo, exec_lo, s21
	s_mov_b32 s21, exec_lo
	v_cmpx_lt_u32_e32 0xffffff, v9
	s_cbranch_execz .LBB254_524
; %bb.517:                              ;   in Loop: Header=BB254_359 Depth=1
	v_lshrrev_b32_e32 v1, 24, v9
	v_bfrev_b32_e32 v49, 1
	s_mov_b32 s22, exec_lo
	v_cmpx_ne_u32_e32 0x80, v1
	s_cbranch_execz .LBB254_523
; %bb.518:                              ;   in Loop: Header=BB254_359 Depth=1
	v_and_b32_e32 v52, 0x7f, v1
	v_mov_b32_e32 v49, 0x7c010000
	s_mov_b32 s26, exec_lo
	v_cmpx_ne_u32_e32 0x7f, v52
	s_cbranch_execz .LBB254_522
; %bb.519:                              ;   in Loop: Header=BB254_359 Depth=1
	v_and_b32_e32 v49, 7, v1
	v_lshrrev_b32_e32 v51, 3, v52
	s_mov_b32 s27, exec_lo
	v_cmpx_gt_u32_e32 8, v52
; %bb.520:                              ;   in Loop: Header=BB254_359 Depth=1
	v_ffbh_u32_e32 v49, v49
	v_min_u32_e32 v49, 32, v49
	v_subrev_nc_u32_e32 v51, 28, v49
	v_lshlrev_b64 v[52:53], v51, v[1:2]
	v_sub_nc_u32_e32 v51, 29, v49
	v_and_b32_e32 v49, 7, v52
; %bb.521:                              ;   in Loop: Header=BB254_359 Depth=1
	s_or_b32 exec_lo, exec_lo, s27
	v_lshlrev_b32_e32 v1, 8, v1
	v_lshl_add_u32 v51, v51, 10, 0x2000
	v_lshlrev_b32_e32 v49, 23, v49
	v_and_or_b32 v1, 0x8000, v1, v51
	v_lshl_or_b32 v49, v1, 16, v49
.LBB254_522:                            ;   in Loop: Header=BB254_359 Depth=1
	s_or_b32 exec_lo, exec_lo, s26
.LBB254_523:                            ;   in Loop: Header=BB254_359 Depth=1
	s_or_b32 exec_lo, exec_lo, s22
.LBB254_524:                            ;   in Loop: Header=BB254_359 Depth=1
	s_or_b32 exec_lo, exec_lo, s21
	v_mov_b32_e32 v1, v10
	v_cmp_ne_u16_sdwa s0, v10, v2 src0_sel:BYTE_0 src1_sel:DWORD
	v_mov_b32_e32 v51, 0
	v_mov_b32_e32 v52, 0
	s_and_saveexec_b32 s21, s0
	s_cbranch_execz .LBB254_532
; %bb.525:                              ;   in Loop: Header=BB254_359 Depth=1
	v_cmp_ne_u16_sdwa s0, v10, v15 src0_sel:BYTE_0 src1_sel:DWORD
	v_mov_b32_e32 v52, 0x8000
	s_and_saveexec_b32 s22, s0
	s_cbranch_execz .LBB254_531
; %bb.526:                              ;   in Loop: Header=BB254_359 Depth=1
	v_and_b32_e32 v54, 0x7f, v10
	v_mov_b32_e32 v52, 0x7c01
	s_mov_b32 s26, exec_lo
	v_cmpx_ne_u32_e32 0x7f, v54
	s_cbranch_execz .LBB254_530
; %bb.527:                              ;   in Loop: Header=BB254_359 Depth=1
	v_and_b32_e32 v52, 7, v10
	v_lshrrev_b32_e32 v53, 3, v54
	s_mov_b32 s27, exec_lo
	v_cmpx_gt_u32_e32 8, v54
; %bb.528:                              ;   in Loop: Header=BB254_359 Depth=1
	v_ffbh_u32_e32 v52, v52
	v_min_u32_e32 v54, 32, v52
	v_subrev_nc_u32_e32 v52, 28, v54
	v_lshlrev_b64 v[52:53], v52, v[1:2]
	v_sub_nc_u32_e32 v53, 29, v54
	v_and_b32_e32 v52, 7, v52
; %bb.529:                              ;   in Loop: Header=BB254_359 Depth=1
	s_or_b32 exec_lo, exec_lo, s27
	v_lshlrev_b32_e32 v54, 8, v10
	v_lshl_add_u32 v53, v53, 10, 0x2000
	v_lshlrev_b32_e32 v52, 7, v52
	v_and_b32_e32 v54, 0x8000, v54
	v_and_b32_e32 v53, 0xfc00, v53
	v_or3_b32 v52, v54, v53, v52
.LBB254_530:                            ;   in Loop: Header=BB254_359 Depth=1
	s_or_b32 exec_lo, exec_lo, s26
.LBB254_531:                            ;   in Loop: Header=BB254_359 Depth=1
	s_or_b32 exec_lo, exec_lo, s22
.LBB254_532:                            ;   in Loop: Header=BB254_359 Depth=1
	s_or_b32 exec_lo, exec_lo, s21
	v_lshrrev_b16 v1, 8, v1
	v_mov_b32_e32 v53, 0
	s_mov_b32 s21, exec_lo
	v_cmpx_ne_u16_e32 0, v1
	s_cbranch_execz .LBB254_540
; %bb.533:                              ;   in Loop: Header=BB254_359 Depth=1
	v_bfrev_b32_e32 v53, 1
	s_mov_b32 s22, exec_lo
	v_cmpx_ne_u16_e32 0x80, v1
	s_cbranch_execz .LBB254_539
; %bb.534:                              ;   in Loop: Header=BB254_359 Depth=1
	v_and_b32_sdwa v55, v1, v24 dst_sel:DWORD dst_unused:UNUSED_PAD src0_sel:WORD_0 src1_sel:DWORD
	v_mov_b32_e32 v53, 0x7c010000
	s_mov_b32 s26, exec_lo
	v_cmpx_ne_u32_e32 0x7f, v55
	s_cbranch_execz .LBB254_538
; %bb.535:                              ;   in Loop: Header=BB254_359 Depth=1
	v_and_b32_sdwa v53, v1, v25 dst_sel:DWORD dst_unused:UNUSED_PAD src0_sel:WORD_0 src1_sel:DWORD
	v_lshrrev_b32_e32 v54, 3, v55
	s_mov_b32 s27, exec_lo
	v_cmpx_gt_u32_e32 8, v55
; %bb.536:                              ;   in Loop: Header=BB254_359 Depth=1
	v_ffbh_u32_e32 v53, v53
	v_min_u32_e32 v55, 32, v53
	v_subrev_nc_u32_e32 v53, 28, v55
	v_lshlrev_b64 v[53:54], v53, v[1:2]
	v_sub_nc_u32_e32 v54, 29, v55
	v_and_b32_e32 v53, 7, v53
; %bb.537:                              ;   in Loop: Header=BB254_359 Depth=1
	s_or_b32 exec_lo, exec_lo, s27
	v_lshlrev_b32_sdwa v1, v26, v1 dst_sel:DWORD dst_unused:UNUSED_PAD src0_sel:DWORD src1_sel:WORD_0
	v_lshl_add_u32 v54, v54, 10, 0x2000
	v_lshlrev_b32_e32 v53, 23, v53
	v_and_or_b32 v1, 0x8000, v1, v54
	v_lshl_or_b32 v53, v1, 16, v53
.LBB254_538:                            ;   in Loop: Header=BB254_359 Depth=1
	s_or_b32 exec_lo, exec_lo, s26
.LBB254_539:                            ;   in Loop: Header=BB254_359 Depth=1
	s_or_b32 exec_lo, exec_lo, s22
.LBB254_540:                            ;   in Loop: Header=BB254_359 Depth=1
	s_or_b32 exec_lo, exec_lo, s21
	v_lshrrev_b32_e32 v1, 16, v10
	v_cmp_ne_u16_sdwa s0, v1, v2 src0_sel:BYTE_0 src1_sel:DWORD
	s_and_saveexec_b32 s21, s0
	s_cbranch_execz .LBB254_548
; %bb.541:                              ;   in Loop: Header=BB254_359 Depth=1
	v_cmp_ne_u16_sdwa s0, v1, v15 src0_sel:BYTE_0 src1_sel:DWORD
	v_mov_b32_e32 v51, 0x8000
	s_and_saveexec_b32 s22, s0
	s_cbranch_execz .LBB254_547
; %bb.542:                              ;   in Loop: Header=BB254_359 Depth=1
	v_bfe_u32 v55, v10, 16, 7
	v_mov_b32_e32 v51, 0x7c01
	s_mov_b32 s26, exec_lo
	v_cmpx_ne_u32_e32 0x7f, v55
	s_cbranch_execz .LBB254_546
; %bb.543:                              ;   in Loop: Header=BB254_359 Depth=1
	v_and_b32_e32 v51, 7, v1
	v_lshrrev_b32_e32 v54, 3, v55
	s_mov_b32 s27, exec_lo
	v_cmpx_gt_u32_e32 8, v55
; %bb.544:                              ;   in Loop: Header=BB254_359 Depth=1
	v_ffbh_u32_e32 v51, v51
	v_min_u32_e32 v51, 32, v51
	v_subrev_nc_u32_e32 v54, 28, v51
	v_lshlrev_b64 v[55:56], v54, v[1:2]
	v_sub_nc_u32_e32 v54, 29, v51
	v_and_b32_e32 v51, 7, v55
; %bb.545:                              ;   in Loop: Header=BB254_359 Depth=1
	s_or_b32 exec_lo, exec_lo, s27
	v_lshlrev_b32_e32 v1, 8, v1
	v_lshl_add_u32 v54, v54, 10, 0x2000
	v_lshlrev_b32_e32 v51, 7, v51
	v_and_b32_e32 v1, 0x8000, v1
	v_and_b32_e32 v54, 0xfc00, v54
	v_or3_b32 v51, v1, v54, v51
.LBB254_546:                            ;   in Loop: Header=BB254_359 Depth=1
	s_or_b32 exec_lo, exec_lo, s26
.LBB254_547:                            ;   in Loop: Header=BB254_359 Depth=1
	s_or_b32 exec_lo, exec_lo, s22
.LBB254_548:                            ;   in Loop: Header=BB254_359 Depth=1
	s_or_b32 exec_lo, exec_lo, s21
	v_cmp_lt_u64_e64 s0, s[2:3], v[9:10]
	v_mov_b32_e32 v9, 0
	s_and_saveexec_b32 s21, s0
	s_cbranch_execz .LBB254_556
; %bb.549:                              ;   in Loop: Header=BB254_359 Depth=1
	v_lshrrev_b32_e32 v1, 24, v10
	v_bfrev_b32_e32 v9, 1
	s_mov_b32 s22, exec_lo
	v_cmpx_ne_u32_e32 0x80, v1
	s_cbranch_execz .LBB254_555
; %bb.550:                              ;   in Loop: Header=BB254_359 Depth=1
	v_and_b32_e32 v54, 0x7f, v1
	v_mov_b32_e32 v9, 0x7c010000
	s_mov_b32 s26, exec_lo
	v_cmpx_ne_u32_e32 0x7f, v54
	s_cbranch_execz .LBB254_554
; %bb.551:                              ;   in Loop: Header=BB254_359 Depth=1
	v_and_b32_e32 v9, 7, v1
	v_lshrrev_b32_e32 v10, 3, v54
	s_mov_b32 s27, exec_lo
	v_cmpx_gt_u32_e32 8, v54
; %bb.552:                              ;   in Loop: Header=BB254_359 Depth=1
	v_ffbh_u32_e32 v9, v9
	v_min_u32_e32 v54, 32, v9
	v_subrev_nc_u32_e32 v9, 28, v54
	v_lshlrev_b64 v[9:10], v9, v[1:2]
	v_sub_nc_u32_e32 v10, 29, v54
	v_and_b32_e32 v9, 7, v9
; %bb.553:                              ;   in Loop: Header=BB254_359 Depth=1
	s_or_b32 exec_lo, exec_lo, s27
	v_lshlrev_b32_e32 v1, 8, v1
	v_lshl_add_u32 v10, v10, 10, 0x2000
	v_lshlrev_b32_e32 v9, 23, v9
	v_and_or_b32 v1, 0x8000, v1, v10
	v_lshl_or_b32 v9, v1, 16, v9
.LBB254_554:                            ;   in Loop: Header=BB254_359 Depth=1
	s_or_b32 exec_lo, exec_lo, s26
.LBB254_555:                            ;   in Loop: Header=BB254_359 Depth=1
	s_or_b32 exec_lo, exec_lo, s22
.LBB254_556:                            ;   in Loop: Header=BB254_359 Depth=1
	s_or_b32 exec_lo, exec_lo, s21
	v_or_b32_e32 v1, v49, v50
	s_waitcnt vmcnt(0)
	v_fma_mixlo_f16 v10, v46, v49, 0 op_sel:[0,1,0] op_sel_hi:[0,1,0]
	v_or_b32_e32 v49, v47, v48
	v_fma_mixlo_f16 v47, v46, v47, 0 op_sel:[0,1,0] op_sel_hi:[0,1,0]
	v_or_b32_e32 v50, v53, v52
	v_or_b32_e32 v51, v9, v51
	v_fma_mixlo_f16 v52, v46, v1, 0 op_sel_hi:[0,1,0]
	v_fma_mixlo_f16 v9, v46, v9, 0 op_sel:[0,1,0] op_sel_hi:[0,1,0]
	v_lshlrev_b32_e32 v48, 16, v47
	v_fma_mixlo_f16 v47, v46, v49, 0 op_sel_hi:[0,1,0]
	v_fma_mixlo_f16 v49, v46, v53, 0 op_sel:[0,1,0] op_sel_hi:[0,1,0]
	v_fma_mixlo_f16 v50, v46, v50, 0 op_sel_hi:[0,1,0]
	v_fma_mixlo_f16 v51, v46, v51, 0 op_sel_hi:[0,1,0]
	v_lshlrev_b32_e32 v1, 16, v10
	v_and_b32_e32 v10, 0xffff, v52
	v_and_b32_e32 v54, 0xffff, v47
	v_lshlrev_b32_e32 v46, 16, v49
	v_and_b32_e32 v50, 0xffff, v50
	v_lshlrev_b32_e32 v9, 16, v9
	v_and_b32_e32 v47, 0xffff, v51
	v_or_b32_e32 v49, v1, v10
	v_or_b32_e32 v53, v48, v54
	;; [unrolled: 1-line block ×4, first 2 shown]
	s_and_saveexec_b32 s21, vcc_lo
	s_cbranch_execz .LBB254_558
; %bb.557:                              ;   in Loop: Header=BB254_359 Depth=1
	v_cmp_gt_i32_e64 s0, s33, v30
	v_cndmask_b32_e64 v49, 0, v54, s0
	v_cmp_gt_i32_e64 s0, s33, v37
	v_cndmask_b32_e64 v48, 0, v48, s0
	v_cmp_gt_i32_e64 s0, s33, v36
	v_or_b32_e32 v53, v48, v49
	v_cndmask_b32_e64 v10, 0, v10, s0
	v_cmp_gt_i32_e64 s0, s33, v35
	v_cndmask_b32_e64 v1, 0, v1, s0
	v_cmp_gt_i32_e64 s0, s33, v34
	v_or_b32_e32 v49, v1, v10
	;; [unrolled: 5-line block ×3, first 2 shown]
	v_cndmask_b32_e64 v47, 0, v47, s0
	v_cmp_gt_i32_e64 s0, s33, v31
	v_cndmask_b32_e64 v9, 0, v9, s0
	v_or_b32_e32 v51, v9, v47
.LBB254_558:                            ;   in Loop: Header=BB254_359 Depth=1
	s_or_b32 exec_lo, exec_lo, s21
	;;#ASMSTART
	v_pk_mul_f16 v1, v43, v53;

	;;#ASMEND
	;;#ASMSTART
	v_pk_mul_f16 v9, v42, v49;

	;;#ASMEND
	;; [unrolled: 4-line block ×4, first 2 shown]
	;;#ASMSTART
	v_pk_add_f16 v1, v1, v9;

	;;#ASMEND
	;;#ASMSTART
	v_pk_add_f16 v1, v1, v10;

	;;#ASMEND
	;; [unrolled: 4-line block ×3, first 2 shown]
	v_and_b32_e32 v9, 0xffff, v1
	v_lshrrev_b32_e32 v1, 16, v1
	;;#ASMSTART
	v_cvt_f32_f16 v46, v9;
	;;#ASMEND
	;;#ASMSTART
	v_cvt_f32_f16 v47, v1;
	;;#ASMEND
	global_load_dwordx2 v[9:10], v[7:8], off offset:768
	v_mov_b32_e32 v49, 0
	v_mov_b32_e32 v50, 0
	global_load_dword v48, v49, s[14:15]
	s_waitcnt vmcnt(1)
	v_cmp_ne_u16_sdwa s0, v9, v2 src0_sel:BYTE_0 src1_sel:DWORD
	s_and_saveexec_b32 s21, s0
	s_cbranch_execz .LBB254_566
; %bb.559:                              ;   in Loop: Header=BB254_359 Depth=1
	v_cmp_ne_u16_sdwa s0, v9, v15 src0_sel:BYTE_0 src1_sel:DWORD
	v_mov_b32_e32 v50, 0x8000
	s_and_saveexec_b32 s22, s0
	s_cbranch_execz .LBB254_565
; %bb.560:                              ;   in Loop: Header=BB254_359 Depth=1
	v_and_b32_e32 v51, 0x7f, v9
	v_mov_b32_e32 v50, 0x7c01
	s_mov_b32 s26, exec_lo
	v_cmpx_ne_u32_e32 0x7f, v51
	s_cbranch_execz .LBB254_564
; %bb.561:                              ;   in Loop: Header=BB254_359 Depth=1
	v_and_b32_e32 v1, 7, v9
	v_lshrrev_b32_e32 v50, 3, v51
	s_mov_b32 s27, exec_lo
	v_cmpx_gt_u32_e32 8, v51
; %bb.562:                              ;   in Loop: Header=BB254_359 Depth=1
	v_ffbh_u32_e32 v1, v1
	v_min_u32_e32 v1, 32, v1
	v_subrev_nc_u32_e32 v50, 28, v1
	v_lshlrev_b64 v[51:52], v50, v[9:10]
	v_sub_nc_u32_e32 v50, 29, v1
	v_and_b32_e32 v1, 7, v51
; %bb.563:                              ;   in Loop: Header=BB254_359 Depth=1
	s_or_b32 exec_lo, exec_lo, s27
	v_lshlrev_b32_e32 v51, 8, v9
	v_lshl_add_u32 v50, v50, 10, 0x2000
	v_lshlrev_b32_e32 v1, 7, v1
	v_and_b32_e32 v51, 0x8000, v51
	v_and_b32_e32 v50, 0xfc00, v50
	v_or3_b32 v50, v51, v50, v1
.LBB254_564:                            ;   in Loop: Header=BB254_359 Depth=1
	s_or_b32 exec_lo, exec_lo, s26
.LBB254_565:                            ;   in Loop: Header=BB254_359 Depth=1
	s_or_b32 exec_lo, exec_lo, s22
.LBB254_566:                            ;   in Loop: Header=BB254_359 Depth=1
	s_or_b32 exec_lo, exec_lo, s21
	v_lshrrev_b16 v1, 8, v9
	s_mov_b32 s21, exec_lo
	v_cmpx_ne_u16_e32 0, v1
	s_cbranch_execz .LBB254_574
; %bb.567:                              ;   in Loop: Header=BB254_359 Depth=1
	v_bfrev_b32_e32 v49, 1
	s_mov_b32 s22, exec_lo
	v_cmpx_ne_u16_e32 0x80, v1
	s_cbranch_execz .LBB254_573
; %bb.568:                              ;   in Loop: Header=BB254_359 Depth=1
	v_and_b32_sdwa v52, v1, v24 dst_sel:DWORD dst_unused:UNUSED_PAD src0_sel:WORD_0 src1_sel:DWORD
	v_mov_b32_e32 v49, 0x7c010000
	s_mov_b32 s26, exec_lo
	v_cmpx_ne_u32_e32 0x7f, v52
	s_cbranch_execz .LBB254_572
; %bb.569:                              ;   in Loop: Header=BB254_359 Depth=1
	v_and_b32_sdwa v49, v1, v25 dst_sel:DWORD dst_unused:UNUSED_PAD src0_sel:WORD_0 src1_sel:DWORD
	v_lshrrev_b32_e32 v51, 3, v52
	s_mov_b32 s27, exec_lo
	v_cmpx_gt_u32_e32 8, v52
; %bb.570:                              ;   in Loop: Header=BB254_359 Depth=1
	v_ffbh_u32_e32 v49, v49
	v_min_u32_e32 v49, 32, v49
	v_subrev_nc_u32_e32 v51, 28, v49
	v_lshlrev_b64 v[52:53], v51, v[1:2]
	v_sub_nc_u32_e32 v51, 29, v49
	v_and_b32_e32 v49, 7, v52
; %bb.571:                              ;   in Loop: Header=BB254_359 Depth=1
	s_or_b32 exec_lo, exec_lo, s27
	v_lshlrev_b32_sdwa v1, v26, v1 dst_sel:DWORD dst_unused:UNUSED_PAD src0_sel:DWORD src1_sel:WORD_0
	v_lshl_add_u32 v51, v51, 10, 0x2000
	v_lshlrev_b32_e32 v49, 23, v49
	v_and_or_b32 v1, 0x8000, v1, v51
	v_lshl_or_b32 v49, v1, 16, v49
.LBB254_572:                            ;   in Loop: Header=BB254_359 Depth=1
	s_or_b32 exec_lo, exec_lo, s26
.LBB254_573:                            ;   in Loop: Header=BB254_359 Depth=1
	s_or_b32 exec_lo, exec_lo, s22
.LBB254_574:                            ;   in Loop: Header=BB254_359 Depth=1
	s_or_b32 exec_lo, exec_lo, s21
	v_lshrrev_b32_e32 v1, 16, v9
	v_mov_b32_e32 v51, 0
	v_mov_b32_e32 v52, 0
	v_cmp_ne_u16_sdwa s0, v1, v2 src0_sel:BYTE_0 src1_sel:DWORD
	s_and_saveexec_b32 s21, s0
	s_cbranch_execz .LBB254_582
; %bb.575:                              ;   in Loop: Header=BB254_359 Depth=1
	v_cmp_ne_u16_sdwa s0, v1, v15 src0_sel:BYTE_0 src1_sel:DWORD
	v_mov_b32_e32 v52, 0x8000
	s_and_saveexec_b32 s22, s0
	s_cbranch_execz .LBB254_581
; %bb.576:                              ;   in Loop: Header=BB254_359 Depth=1
	v_bfe_u32 v54, v9, 16, 7
	v_mov_b32_e32 v52, 0x7c01
	s_mov_b32 s26, exec_lo
	v_cmpx_ne_u32_e32 0x7f, v54
	s_cbranch_execz .LBB254_580
; %bb.577:                              ;   in Loop: Header=BB254_359 Depth=1
	v_and_b32_e32 v52, 7, v1
	v_lshrrev_b32_e32 v53, 3, v54
	s_mov_b32 s27, exec_lo
	v_cmpx_gt_u32_e32 8, v54
; %bb.578:                              ;   in Loop: Header=BB254_359 Depth=1
	v_ffbh_u32_e32 v52, v52
	v_min_u32_e32 v54, 32, v52
	v_subrev_nc_u32_e32 v52, 28, v54
	v_lshlrev_b64 v[52:53], v52, v[1:2]
	v_sub_nc_u32_e32 v53, 29, v54
	v_and_b32_e32 v52, 7, v52
; %bb.579:                              ;   in Loop: Header=BB254_359 Depth=1
	s_or_b32 exec_lo, exec_lo, s27
	v_lshlrev_b32_e32 v1, 8, v1
	v_lshl_add_u32 v53, v53, 10, 0x2000
	v_lshlrev_b32_e32 v52, 7, v52
	v_and_b32_e32 v1, 0x8000, v1
	v_and_b32_e32 v53, 0xfc00, v53
	v_or3_b32 v52, v1, v53, v52
.LBB254_580:                            ;   in Loop: Header=BB254_359 Depth=1
	s_or_b32 exec_lo, exec_lo, s26
.LBB254_581:                            ;   in Loop: Header=BB254_359 Depth=1
	s_or_b32 exec_lo, exec_lo, s22
.LBB254_582:                            ;   in Loop: Header=BB254_359 Depth=1
	s_or_b32 exec_lo, exec_lo, s21
	s_mov_b32 s21, exec_lo
	v_cmpx_lt_u32_e32 0xffffff, v9
	s_cbranch_execz .LBB254_590
; %bb.583:                              ;   in Loop: Header=BB254_359 Depth=1
	v_lshrrev_b32_e32 v1, 24, v9
	v_bfrev_b32_e32 v51, 1
	s_mov_b32 s22, exec_lo
	v_cmpx_ne_u32_e32 0x80, v1
	s_cbranch_execz .LBB254_589
; %bb.584:                              ;   in Loop: Header=BB254_359 Depth=1
	v_and_b32_e32 v54, 0x7f, v1
	v_mov_b32_e32 v51, 0x7c010000
	s_mov_b32 s26, exec_lo
	v_cmpx_ne_u32_e32 0x7f, v54
	s_cbranch_execz .LBB254_588
; %bb.585:                              ;   in Loop: Header=BB254_359 Depth=1
	v_and_b32_e32 v51, 7, v1
	v_lshrrev_b32_e32 v53, 3, v54
	s_mov_b32 s27, exec_lo
	v_cmpx_gt_u32_e32 8, v54
; %bb.586:                              ;   in Loop: Header=BB254_359 Depth=1
	v_ffbh_u32_e32 v51, v51
	v_min_u32_e32 v51, 32, v51
	v_subrev_nc_u32_e32 v53, 28, v51
	v_lshlrev_b64 v[54:55], v53, v[1:2]
	v_sub_nc_u32_e32 v53, 29, v51
	v_and_b32_e32 v51, 7, v54
; %bb.587:                              ;   in Loop: Header=BB254_359 Depth=1
	s_or_b32 exec_lo, exec_lo, s27
	v_lshlrev_b32_e32 v1, 8, v1
	v_lshl_add_u32 v53, v53, 10, 0x2000
	v_lshlrev_b32_e32 v51, 23, v51
	v_and_or_b32 v1, 0x8000, v1, v53
	v_lshl_or_b32 v51, v1, 16, v51
.LBB254_588:                            ;   in Loop: Header=BB254_359 Depth=1
	s_or_b32 exec_lo, exec_lo, s26
.LBB254_589:                            ;   in Loop: Header=BB254_359 Depth=1
	s_or_b32 exec_lo, exec_lo, s22
.LBB254_590:                            ;   in Loop: Header=BB254_359 Depth=1
	s_or_b32 exec_lo, exec_lo, s21
	v_mov_b32_e32 v1, v10
	v_cmp_ne_u16_sdwa s0, v10, v2 src0_sel:BYTE_0 src1_sel:DWORD
	v_mov_b32_e32 v53, 0
	v_mov_b32_e32 v54, 0
	s_and_saveexec_b32 s21, s0
	s_cbranch_execz .LBB254_598
; %bb.591:                              ;   in Loop: Header=BB254_359 Depth=1
	v_cmp_ne_u16_sdwa s0, v10, v15 src0_sel:BYTE_0 src1_sel:DWORD
	v_mov_b32_e32 v54, 0x8000
	s_and_saveexec_b32 s22, s0
	s_cbranch_execz .LBB254_597
; %bb.592:                              ;   in Loop: Header=BB254_359 Depth=1
	v_and_b32_e32 v56, 0x7f, v10
	v_mov_b32_e32 v54, 0x7c01
	s_mov_b32 s26, exec_lo
	v_cmpx_ne_u32_e32 0x7f, v56
	s_cbranch_execz .LBB254_596
; %bb.593:                              ;   in Loop: Header=BB254_359 Depth=1
	v_and_b32_e32 v54, 7, v10
	v_lshrrev_b32_e32 v55, 3, v56
	s_mov_b32 s27, exec_lo
	v_cmpx_gt_u32_e32 8, v56
; %bb.594:                              ;   in Loop: Header=BB254_359 Depth=1
	v_ffbh_u32_e32 v54, v54
	v_min_u32_e32 v56, 32, v54
	v_subrev_nc_u32_e32 v54, 28, v56
	v_lshlrev_b64 v[54:55], v54, v[1:2]
	v_sub_nc_u32_e32 v55, 29, v56
	v_and_b32_e32 v54, 7, v54
; %bb.595:                              ;   in Loop: Header=BB254_359 Depth=1
	s_or_b32 exec_lo, exec_lo, s27
	v_lshlrev_b32_e32 v56, 8, v10
	v_lshl_add_u32 v55, v55, 10, 0x2000
	v_lshlrev_b32_e32 v54, 7, v54
	v_and_b32_e32 v56, 0x8000, v56
	v_and_b32_e32 v55, 0xfc00, v55
	v_or3_b32 v54, v56, v55, v54
.LBB254_596:                            ;   in Loop: Header=BB254_359 Depth=1
	s_or_b32 exec_lo, exec_lo, s26
.LBB254_597:                            ;   in Loop: Header=BB254_359 Depth=1
	s_or_b32 exec_lo, exec_lo, s22
.LBB254_598:                            ;   in Loop: Header=BB254_359 Depth=1
	s_or_b32 exec_lo, exec_lo, s21
	v_lshrrev_b16 v1, 8, v1
	v_mov_b32_e32 v55, 0
	s_mov_b32 s21, exec_lo
	v_cmpx_ne_u16_e32 0, v1
	s_cbranch_execz .LBB254_606
; %bb.599:                              ;   in Loop: Header=BB254_359 Depth=1
	v_bfrev_b32_e32 v55, 1
	s_mov_b32 s22, exec_lo
	v_cmpx_ne_u16_e32 0x80, v1
	s_cbranch_execz .LBB254_605
; %bb.600:                              ;   in Loop: Header=BB254_359 Depth=1
	v_and_b32_sdwa v57, v1, v24 dst_sel:DWORD dst_unused:UNUSED_PAD src0_sel:WORD_0 src1_sel:DWORD
	v_mov_b32_e32 v55, 0x7c010000
	s_mov_b32 s26, exec_lo
	v_cmpx_ne_u32_e32 0x7f, v57
	s_cbranch_execz .LBB254_604
; %bb.601:                              ;   in Loop: Header=BB254_359 Depth=1
	v_and_b32_sdwa v55, v1, v25 dst_sel:DWORD dst_unused:UNUSED_PAD src0_sel:WORD_0 src1_sel:DWORD
	v_lshrrev_b32_e32 v56, 3, v57
	s_mov_b32 s27, exec_lo
	v_cmpx_gt_u32_e32 8, v57
; %bb.602:                              ;   in Loop: Header=BB254_359 Depth=1
	v_ffbh_u32_e32 v55, v55
	v_min_u32_e32 v57, 32, v55
	v_subrev_nc_u32_e32 v55, 28, v57
	v_lshlrev_b64 v[55:56], v55, v[1:2]
	v_sub_nc_u32_e32 v56, 29, v57
	v_and_b32_e32 v55, 7, v55
; %bb.603:                              ;   in Loop: Header=BB254_359 Depth=1
	s_or_b32 exec_lo, exec_lo, s27
	v_lshlrev_b32_sdwa v1, v26, v1 dst_sel:DWORD dst_unused:UNUSED_PAD src0_sel:DWORD src1_sel:WORD_0
	v_lshl_add_u32 v56, v56, 10, 0x2000
	v_lshlrev_b32_e32 v55, 23, v55
	v_and_or_b32 v1, 0x8000, v1, v56
	v_lshl_or_b32 v55, v1, 16, v55
.LBB254_604:                            ;   in Loop: Header=BB254_359 Depth=1
	s_or_b32 exec_lo, exec_lo, s26
.LBB254_605:                            ;   in Loop: Header=BB254_359 Depth=1
	s_or_b32 exec_lo, exec_lo, s22
.LBB254_606:                            ;   in Loop: Header=BB254_359 Depth=1
	s_or_b32 exec_lo, exec_lo, s21
	v_lshrrev_b32_e32 v1, 16, v10
	v_cmp_ne_u16_sdwa s0, v1, v2 src0_sel:BYTE_0 src1_sel:DWORD
	s_and_saveexec_b32 s21, s0
	s_cbranch_execz .LBB254_614
; %bb.607:                              ;   in Loop: Header=BB254_359 Depth=1
	v_cmp_ne_u16_sdwa s0, v1, v15 src0_sel:BYTE_0 src1_sel:DWORD
	v_mov_b32_e32 v53, 0x8000
	s_and_saveexec_b32 s22, s0
	s_cbranch_execz .LBB254_613
; %bb.608:                              ;   in Loop: Header=BB254_359 Depth=1
	v_bfe_u32 v57, v10, 16, 7
	v_mov_b32_e32 v53, 0x7c01
	s_mov_b32 s26, exec_lo
	v_cmpx_ne_u32_e32 0x7f, v57
	s_cbranch_execz .LBB254_612
; %bb.609:                              ;   in Loop: Header=BB254_359 Depth=1
	v_and_b32_e32 v53, 7, v1
	v_lshrrev_b32_e32 v56, 3, v57
	s_mov_b32 s27, exec_lo
	v_cmpx_gt_u32_e32 8, v57
; %bb.610:                              ;   in Loop: Header=BB254_359 Depth=1
	v_ffbh_u32_e32 v53, v53
	v_min_u32_e32 v53, 32, v53
	v_subrev_nc_u32_e32 v56, 28, v53
	v_lshlrev_b64 v[57:58], v56, v[1:2]
	v_sub_nc_u32_e32 v56, 29, v53
	v_and_b32_e32 v53, 7, v57
; %bb.611:                              ;   in Loop: Header=BB254_359 Depth=1
	s_or_b32 exec_lo, exec_lo, s27
	v_lshlrev_b32_e32 v1, 8, v1
	v_lshl_add_u32 v56, v56, 10, 0x2000
	v_lshlrev_b32_e32 v53, 7, v53
	v_and_b32_e32 v1, 0x8000, v1
	v_and_b32_e32 v56, 0xfc00, v56
	v_or3_b32 v53, v1, v56, v53
.LBB254_612:                            ;   in Loop: Header=BB254_359 Depth=1
	s_or_b32 exec_lo, exec_lo, s26
.LBB254_613:                            ;   in Loop: Header=BB254_359 Depth=1
	s_or_b32 exec_lo, exec_lo, s22
.LBB254_614:                            ;   in Loop: Header=BB254_359 Depth=1
	s_or_b32 exec_lo, exec_lo, s21
	v_cmp_lt_u64_e64 s0, s[2:3], v[9:10]
	v_mov_b32_e32 v9, 0
	s_and_saveexec_b32 s21, s0
	s_cbranch_execz .LBB254_622
; %bb.615:                              ;   in Loop: Header=BB254_359 Depth=1
	v_lshrrev_b32_e32 v1, 24, v10
	v_bfrev_b32_e32 v9, 1
	s_mov_b32 s22, exec_lo
	v_cmpx_ne_u32_e32 0x80, v1
	s_cbranch_execz .LBB254_621
; %bb.616:                              ;   in Loop: Header=BB254_359 Depth=1
	v_and_b32_e32 v56, 0x7f, v1
	v_mov_b32_e32 v9, 0x7c010000
	s_mov_b32 s26, exec_lo
	v_cmpx_ne_u32_e32 0x7f, v56
	s_cbranch_execz .LBB254_620
; %bb.617:                              ;   in Loop: Header=BB254_359 Depth=1
	v_and_b32_e32 v9, 7, v1
	v_lshrrev_b32_e32 v10, 3, v56
	s_mov_b32 s27, exec_lo
	v_cmpx_gt_u32_e32 8, v56
; %bb.618:                              ;   in Loop: Header=BB254_359 Depth=1
	v_ffbh_u32_e32 v9, v9
	v_min_u32_e32 v56, 32, v9
	v_subrev_nc_u32_e32 v9, 28, v56
	v_lshlrev_b64 v[9:10], v9, v[1:2]
	v_sub_nc_u32_e32 v10, 29, v56
	v_and_b32_e32 v9, 7, v9
; %bb.619:                              ;   in Loop: Header=BB254_359 Depth=1
	s_or_b32 exec_lo, exec_lo, s27
	v_lshlrev_b32_e32 v1, 8, v1
	v_lshl_add_u32 v10, v10, 10, 0x2000
	v_lshlrev_b32_e32 v9, 23, v9
	v_and_or_b32 v1, 0x8000, v1, v10
	v_lshl_or_b32 v9, v1, 16, v9
.LBB254_620:                            ;   in Loop: Header=BB254_359 Depth=1
	s_or_b32 exec_lo, exec_lo, s26
.LBB254_621:                            ;   in Loop: Header=BB254_359 Depth=1
	s_or_b32 exec_lo, exec_lo, s22
.LBB254_622:                            ;   in Loop: Header=BB254_359 Depth=1
	s_or_b32 exec_lo, exec_lo, s21
	v_or_b32_e32 v1, v51, v52
	s_waitcnt vmcnt(0)
	v_fma_mixlo_f16 v10, v48, v51, 0 op_sel:[0,1,0] op_sel_hi:[0,1,0]
	v_or_b32_e32 v51, v49, v50
	v_fma_mixlo_f16 v49, v48, v49, 0 op_sel:[0,1,0] op_sel_hi:[0,1,0]
	v_or_b32_e32 v52, v55, v54
	v_or_b32_e32 v53, v9, v53
	v_fma_mixlo_f16 v54, v48, v1, 0 op_sel_hi:[0,1,0]
	v_fma_mixlo_f16 v9, v48, v9, 0 op_sel:[0,1,0] op_sel_hi:[0,1,0]
	v_lshlrev_b32_e32 v50, 16, v49
	v_fma_mixlo_f16 v49, v48, v51, 0 op_sel_hi:[0,1,0]
	v_fma_mixlo_f16 v51, v48, v55, 0 op_sel:[0,1,0] op_sel_hi:[0,1,0]
	v_fma_mixlo_f16 v52, v48, v52, 0 op_sel_hi:[0,1,0]
	v_fma_mixlo_f16 v53, v48, v53, 0 op_sel_hi:[0,1,0]
	v_lshlrev_b32_e32 v1, 16, v10
	v_and_b32_e32 v10, 0xffff, v54
	v_and_b32_e32 v56, 0xffff, v49
	v_lshlrev_b32_e32 v48, 16, v51
	v_and_b32_e32 v52, 0xffff, v52
	v_lshlrev_b32_e32 v9, 16, v9
	v_and_b32_e32 v49, 0xffff, v53
	v_or_b32_e32 v51, v1, v10
	v_or_b32_e32 v55, v50, v56
	;; [unrolled: 1-line block ×4, first 2 shown]
	s_and_saveexec_b32 s21, vcc_lo
	s_cbranch_execz .LBB254_624
; %bb.623:                              ;   in Loop: Header=BB254_359 Depth=1
	v_cmp_gt_i32_e64 s0, s33, v30
	v_cndmask_b32_e64 v51, 0, v56, s0
	v_cmp_gt_i32_e64 s0, s33, v37
	v_cndmask_b32_e64 v50, 0, v50, s0
	v_cmp_gt_i32_e64 s0, s33, v36
	v_or_b32_e32 v55, v50, v51
	v_cndmask_b32_e64 v10, 0, v10, s0
	v_cmp_gt_i32_e64 s0, s33, v35
	v_cndmask_b32_e64 v1, 0, v1, s0
	v_cmp_gt_i32_e64 s0, s33, v34
	v_or_b32_e32 v51, v1, v10
	;; [unrolled: 5-line block ×3, first 2 shown]
	v_cndmask_b32_e64 v49, 0, v49, s0
	v_cmp_gt_i32_e64 s0, s33, v31
	v_cndmask_b32_e64 v9, 0, v9, s0
	v_or_b32_e32 v53, v9, v49
.LBB254_624:                            ;   in Loop: Header=BB254_359 Depth=1
	s_or_b32 exec_lo, exec_lo, s21
	;;#ASMSTART
	v_pk_mul_f16 v1, v43, v55;

	;;#ASMEND
	;;#ASMSTART
	v_pk_mul_f16 v9, v42, v51;

	;;#ASMEND
	;; [unrolled: 4-line block ×4, first 2 shown]
	;;#ASMSTART
	v_pk_add_f16 v1, v1, v9;

	;;#ASMEND
	;;#ASMSTART
	v_pk_add_f16 v1, v1, v10;

	;;#ASMEND
	;; [unrolled: 4-line block ×3, first 2 shown]
	v_and_b32_e32 v9, 0xffff, v1
	v_lshrrev_b32_e32 v1, 16, v1
	;;#ASMSTART
	v_cvt_f32_f16 v9, v9;
	;;#ASMEND
	;;#ASMSTART
	v_cvt_f32_f16 v10, v1;
	;;#ASMEND
	global_load_dwordx2 v[7:8], v[7:8], off offset:1024
	v_mov_b32_e32 v49, 0
	v_mov_b32_e32 v50, 0
	global_load_dword v48, v49, s[14:15]
	s_waitcnt vmcnt(1)
	v_cmp_ne_u16_sdwa s0, v7, v2 src0_sel:BYTE_0 src1_sel:DWORD
	s_and_saveexec_b32 s21, s0
	s_cbranch_execz .LBB254_632
; %bb.625:                              ;   in Loop: Header=BB254_359 Depth=1
	v_cmp_ne_u16_sdwa s0, v7, v15 src0_sel:BYTE_0 src1_sel:DWORD
	v_mov_b32_e32 v50, 0x8000
	s_and_saveexec_b32 s22, s0
	s_cbranch_execz .LBB254_631
; %bb.626:                              ;   in Loop: Header=BB254_359 Depth=1
	v_and_b32_e32 v51, 0x7f, v7
	v_mov_b32_e32 v50, 0x7c01
	s_mov_b32 s26, exec_lo
	v_cmpx_ne_u32_e32 0x7f, v51
	s_cbranch_execz .LBB254_630
; %bb.627:                              ;   in Loop: Header=BB254_359 Depth=1
	v_and_b32_e32 v1, 7, v7
	v_lshrrev_b32_e32 v50, 3, v51
	s_mov_b32 s27, exec_lo
	v_cmpx_gt_u32_e32 8, v51
; %bb.628:                              ;   in Loop: Header=BB254_359 Depth=1
	v_ffbh_u32_e32 v1, v1
	v_min_u32_e32 v1, 32, v1
	v_subrev_nc_u32_e32 v50, 28, v1
	v_lshlrev_b64 v[51:52], v50, v[7:8]
	v_sub_nc_u32_e32 v50, 29, v1
	v_and_b32_e32 v1, 7, v51
; %bb.629:                              ;   in Loop: Header=BB254_359 Depth=1
	s_or_b32 exec_lo, exec_lo, s27
	v_lshlrev_b32_e32 v51, 8, v7
	v_lshl_add_u32 v50, v50, 10, 0x2000
	v_lshlrev_b32_e32 v1, 7, v1
	v_and_b32_e32 v51, 0x8000, v51
	v_and_b32_e32 v50, 0xfc00, v50
	v_or3_b32 v50, v51, v50, v1
.LBB254_630:                            ;   in Loop: Header=BB254_359 Depth=1
	s_or_b32 exec_lo, exec_lo, s26
.LBB254_631:                            ;   in Loop: Header=BB254_359 Depth=1
	s_or_b32 exec_lo, exec_lo, s22
.LBB254_632:                            ;   in Loop: Header=BB254_359 Depth=1
	s_or_b32 exec_lo, exec_lo, s21
	v_lshrrev_b16 v1, 8, v7
	s_mov_b32 s21, exec_lo
	v_cmpx_ne_u16_e32 0, v1
	s_cbranch_execz .LBB254_640
; %bb.633:                              ;   in Loop: Header=BB254_359 Depth=1
	v_bfrev_b32_e32 v49, 1
	s_mov_b32 s22, exec_lo
	v_cmpx_ne_u16_e32 0x80, v1
	s_cbranch_execz .LBB254_639
; %bb.634:                              ;   in Loop: Header=BB254_359 Depth=1
	v_and_b32_sdwa v52, v1, v24 dst_sel:DWORD dst_unused:UNUSED_PAD src0_sel:WORD_0 src1_sel:DWORD
	v_mov_b32_e32 v49, 0x7c010000
	s_mov_b32 s26, exec_lo
	v_cmpx_ne_u32_e32 0x7f, v52
	s_cbranch_execz .LBB254_638
; %bb.635:                              ;   in Loop: Header=BB254_359 Depth=1
	v_and_b32_sdwa v49, v1, v25 dst_sel:DWORD dst_unused:UNUSED_PAD src0_sel:WORD_0 src1_sel:DWORD
	v_lshrrev_b32_e32 v51, 3, v52
	s_mov_b32 s27, exec_lo
	v_cmpx_gt_u32_e32 8, v52
; %bb.636:                              ;   in Loop: Header=BB254_359 Depth=1
	v_ffbh_u32_e32 v49, v49
	v_min_u32_e32 v49, 32, v49
	v_subrev_nc_u32_e32 v51, 28, v49
	v_lshlrev_b64 v[52:53], v51, v[1:2]
	v_sub_nc_u32_e32 v51, 29, v49
	v_and_b32_e32 v49, 7, v52
; %bb.637:                              ;   in Loop: Header=BB254_359 Depth=1
	s_or_b32 exec_lo, exec_lo, s27
	v_lshlrev_b32_sdwa v1, v26, v1 dst_sel:DWORD dst_unused:UNUSED_PAD src0_sel:DWORD src1_sel:WORD_0
	v_lshl_add_u32 v51, v51, 10, 0x2000
	v_lshlrev_b32_e32 v49, 23, v49
	v_and_or_b32 v1, 0x8000, v1, v51
	v_lshl_or_b32 v49, v1, 16, v49
.LBB254_638:                            ;   in Loop: Header=BB254_359 Depth=1
	s_or_b32 exec_lo, exec_lo, s26
.LBB254_639:                            ;   in Loop: Header=BB254_359 Depth=1
	s_or_b32 exec_lo, exec_lo, s22
.LBB254_640:                            ;   in Loop: Header=BB254_359 Depth=1
	s_or_b32 exec_lo, exec_lo, s21
	v_lshrrev_b32_e32 v1, 16, v7
	v_mov_b32_e32 v51, 0
	v_mov_b32_e32 v52, 0
	v_cmp_ne_u16_sdwa s0, v1, v2 src0_sel:BYTE_0 src1_sel:DWORD
	s_and_saveexec_b32 s21, s0
	s_cbranch_execz .LBB254_648
; %bb.641:                              ;   in Loop: Header=BB254_359 Depth=1
	v_cmp_ne_u16_sdwa s0, v1, v15 src0_sel:BYTE_0 src1_sel:DWORD
	v_mov_b32_e32 v52, 0x8000
	s_and_saveexec_b32 s22, s0
	s_cbranch_execz .LBB254_647
; %bb.642:                              ;   in Loop: Header=BB254_359 Depth=1
	v_bfe_u32 v54, v7, 16, 7
	v_mov_b32_e32 v52, 0x7c01
	s_mov_b32 s26, exec_lo
	v_cmpx_ne_u32_e32 0x7f, v54
	s_cbranch_execz .LBB254_646
; %bb.643:                              ;   in Loop: Header=BB254_359 Depth=1
	v_and_b32_e32 v52, 7, v1
	v_lshrrev_b32_e32 v53, 3, v54
	s_mov_b32 s27, exec_lo
	v_cmpx_gt_u32_e32 8, v54
; %bb.644:                              ;   in Loop: Header=BB254_359 Depth=1
	v_ffbh_u32_e32 v52, v52
	v_min_u32_e32 v54, 32, v52
	v_subrev_nc_u32_e32 v52, 28, v54
	v_lshlrev_b64 v[52:53], v52, v[1:2]
	v_sub_nc_u32_e32 v53, 29, v54
	v_and_b32_e32 v52, 7, v52
; %bb.645:                              ;   in Loop: Header=BB254_359 Depth=1
	s_or_b32 exec_lo, exec_lo, s27
	v_lshlrev_b32_e32 v1, 8, v1
	v_lshl_add_u32 v53, v53, 10, 0x2000
	v_lshlrev_b32_e32 v52, 7, v52
	v_and_b32_e32 v1, 0x8000, v1
	v_and_b32_e32 v53, 0xfc00, v53
	v_or3_b32 v52, v1, v53, v52
.LBB254_646:                            ;   in Loop: Header=BB254_359 Depth=1
	s_or_b32 exec_lo, exec_lo, s26
.LBB254_647:                            ;   in Loop: Header=BB254_359 Depth=1
	s_or_b32 exec_lo, exec_lo, s22
.LBB254_648:                            ;   in Loop: Header=BB254_359 Depth=1
	s_or_b32 exec_lo, exec_lo, s21
	s_mov_b32 s21, exec_lo
	v_cmpx_lt_u32_e32 0xffffff, v7
	s_cbranch_execz .LBB254_656
; %bb.649:                              ;   in Loop: Header=BB254_359 Depth=1
	v_lshrrev_b32_e32 v1, 24, v7
	v_bfrev_b32_e32 v51, 1
	s_mov_b32 s22, exec_lo
	v_cmpx_ne_u32_e32 0x80, v1
	s_cbranch_execz .LBB254_655
; %bb.650:                              ;   in Loop: Header=BB254_359 Depth=1
	v_and_b32_e32 v54, 0x7f, v1
	v_mov_b32_e32 v51, 0x7c010000
	s_mov_b32 s26, exec_lo
	v_cmpx_ne_u32_e32 0x7f, v54
	s_cbranch_execz .LBB254_654
; %bb.651:                              ;   in Loop: Header=BB254_359 Depth=1
	v_and_b32_e32 v51, 7, v1
	v_lshrrev_b32_e32 v53, 3, v54
	s_mov_b32 s27, exec_lo
	v_cmpx_gt_u32_e32 8, v54
; %bb.652:                              ;   in Loop: Header=BB254_359 Depth=1
	v_ffbh_u32_e32 v51, v51
	v_min_u32_e32 v51, 32, v51
	v_subrev_nc_u32_e32 v53, 28, v51
	v_lshlrev_b64 v[54:55], v53, v[1:2]
	v_sub_nc_u32_e32 v53, 29, v51
	v_and_b32_e32 v51, 7, v54
; %bb.653:                              ;   in Loop: Header=BB254_359 Depth=1
	s_or_b32 exec_lo, exec_lo, s27
	v_lshlrev_b32_e32 v1, 8, v1
	v_lshl_add_u32 v53, v53, 10, 0x2000
	v_lshlrev_b32_e32 v51, 23, v51
	v_and_or_b32 v1, 0x8000, v1, v53
	v_lshl_or_b32 v51, v1, 16, v51
.LBB254_654:                            ;   in Loop: Header=BB254_359 Depth=1
	s_or_b32 exec_lo, exec_lo, s26
.LBB254_655:                            ;   in Loop: Header=BB254_359 Depth=1
	s_or_b32 exec_lo, exec_lo, s22
.LBB254_656:                            ;   in Loop: Header=BB254_359 Depth=1
	s_or_b32 exec_lo, exec_lo, s21
	v_mov_b32_e32 v1, v8
	v_cmp_ne_u16_sdwa s0, v8, v2 src0_sel:BYTE_0 src1_sel:DWORD
	v_mov_b32_e32 v53, 0
	v_mov_b32_e32 v54, 0
	s_and_saveexec_b32 s21, s0
	s_cbranch_execz .LBB254_664
; %bb.657:                              ;   in Loop: Header=BB254_359 Depth=1
	v_cmp_ne_u16_sdwa s0, v8, v15 src0_sel:BYTE_0 src1_sel:DWORD
	v_mov_b32_e32 v54, 0x8000
	s_and_saveexec_b32 s22, s0
	s_cbranch_execz .LBB254_663
; %bb.658:                              ;   in Loop: Header=BB254_359 Depth=1
	v_and_b32_e32 v56, 0x7f, v8
	v_mov_b32_e32 v54, 0x7c01
	s_mov_b32 s26, exec_lo
	v_cmpx_ne_u32_e32 0x7f, v56
	s_cbranch_execz .LBB254_662
; %bb.659:                              ;   in Loop: Header=BB254_359 Depth=1
	v_and_b32_e32 v54, 7, v8
	v_lshrrev_b32_e32 v55, 3, v56
	s_mov_b32 s27, exec_lo
	v_cmpx_gt_u32_e32 8, v56
; %bb.660:                              ;   in Loop: Header=BB254_359 Depth=1
	v_ffbh_u32_e32 v54, v54
	v_min_u32_e32 v56, 32, v54
	v_subrev_nc_u32_e32 v54, 28, v56
	v_lshlrev_b64 v[54:55], v54, v[1:2]
	v_sub_nc_u32_e32 v55, 29, v56
	v_and_b32_e32 v54, 7, v54
; %bb.661:                              ;   in Loop: Header=BB254_359 Depth=1
	s_or_b32 exec_lo, exec_lo, s27
	v_lshlrev_b32_e32 v56, 8, v8
	v_lshl_add_u32 v55, v55, 10, 0x2000
	v_lshlrev_b32_e32 v54, 7, v54
	v_and_b32_e32 v56, 0x8000, v56
	v_and_b32_e32 v55, 0xfc00, v55
	v_or3_b32 v54, v56, v55, v54
.LBB254_662:                            ;   in Loop: Header=BB254_359 Depth=1
	s_or_b32 exec_lo, exec_lo, s26
.LBB254_663:                            ;   in Loop: Header=BB254_359 Depth=1
	s_or_b32 exec_lo, exec_lo, s22
.LBB254_664:                            ;   in Loop: Header=BB254_359 Depth=1
	s_or_b32 exec_lo, exec_lo, s21
	v_lshrrev_b16 v1, 8, v1
	v_mov_b32_e32 v55, 0
	s_mov_b32 s21, exec_lo
	v_cmpx_ne_u16_e32 0, v1
	s_cbranch_execz .LBB254_672
; %bb.665:                              ;   in Loop: Header=BB254_359 Depth=1
	v_bfrev_b32_e32 v55, 1
	s_mov_b32 s22, exec_lo
	v_cmpx_ne_u16_e32 0x80, v1
	s_cbranch_execz .LBB254_671
; %bb.666:                              ;   in Loop: Header=BB254_359 Depth=1
	v_and_b32_sdwa v57, v1, v24 dst_sel:DWORD dst_unused:UNUSED_PAD src0_sel:WORD_0 src1_sel:DWORD
	v_mov_b32_e32 v55, 0x7c010000
	s_mov_b32 s26, exec_lo
	v_cmpx_ne_u32_e32 0x7f, v57
	s_cbranch_execz .LBB254_670
; %bb.667:                              ;   in Loop: Header=BB254_359 Depth=1
	v_and_b32_sdwa v55, v1, v25 dst_sel:DWORD dst_unused:UNUSED_PAD src0_sel:WORD_0 src1_sel:DWORD
	v_lshrrev_b32_e32 v56, 3, v57
	s_mov_b32 s27, exec_lo
	v_cmpx_gt_u32_e32 8, v57
; %bb.668:                              ;   in Loop: Header=BB254_359 Depth=1
	v_ffbh_u32_e32 v55, v55
	v_min_u32_e32 v57, 32, v55
	v_subrev_nc_u32_e32 v55, 28, v57
	v_lshlrev_b64 v[55:56], v55, v[1:2]
	v_sub_nc_u32_e32 v56, 29, v57
	v_and_b32_e32 v55, 7, v55
; %bb.669:                              ;   in Loop: Header=BB254_359 Depth=1
	s_or_b32 exec_lo, exec_lo, s27
	v_lshlrev_b32_sdwa v1, v26, v1 dst_sel:DWORD dst_unused:UNUSED_PAD src0_sel:DWORD src1_sel:WORD_0
	v_lshl_add_u32 v56, v56, 10, 0x2000
	v_lshlrev_b32_e32 v55, 23, v55
	v_and_or_b32 v1, 0x8000, v1, v56
	v_lshl_or_b32 v55, v1, 16, v55
.LBB254_670:                            ;   in Loop: Header=BB254_359 Depth=1
	s_or_b32 exec_lo, exec_lo, s26
.LBB254_671:                            ;   in Loop: Header=BB254_359 Depth=1
	s_or_b32 exec_lo, exec_lo, s22
.LBB254_672:                            ;   in Loop: Header=BB254_359 Depth=1
	s_or_b32 exec_lo, exec_lo, s21
	v_lshrrev_b32_e32 v1, 16, v8
	v_cmp_ne_u16_sdwa s0, v1, v2 src0_sel:BYTE_0 src1_sel:DWORD
	s_and_saveexec_b32 s21, s0
	s_cbranch_execz .LBB254_680
; %bb.673:                              ;   in Loop: Header=BB254_359 Depth=1
	v_cmp_ne_u16_sdwa s0, v1, v15 src0_sel:BYTE_0 src1_sel:DWORD
	v_mov_b32_e32 v53, 0x8000
	s_and_saveexec_b32 s22, s0
	s_cbranch_execz .LBB254_679
; %bb.674:                              ;   in Loop: Header=BB254_359 Depth=1
	v_bfe_u32 v57, v8, 16, 7
	v_mov_b32_e32 v53, 0x7c01
	s_mov_b32 s26, exec_lo
	v_cmpx_ne_u32_e32 0x7f, v57
	s_cbranch_execz .LBB254_678
; %bb.675:                              ;   in Loop: Header=BB254_359 Depth=1
	v_and_b32_e32 v53, 7, v1
	v_lshrrev_b32_e32 v56, 3, v57
	s_mov_b32 s27, exec_lo
	v_cmpx_gt_u32_e32 8, v57
; %bb.676:                              ;   in Loop: Header=BB254_359 Depth=1
	v_ffbh_u32_e32 v53, v53
	v_min_u32_e32 v53, 32, v53
	v_subrev_nc_u32_e32 v56, 28, v53
	v_lshlrev_b64 v[57:58], v56, v[1:2]
	v_sub_nc_u32_e32 v56, 29, v53
	v_and_b32_e32 v53, 7, v57
; %bb.677:                              ;   in Loop: Header=BB254_359 Depth=1
	s_or_b32 exec_lo, exec_lo, s27
	v_lshlrev_b32_e32 v1, 8, v1
	v_lshl_add_u32 v56, v56, 10, 0x2000
	v_lshlrev_b32_e32 v53, 7, v53
	v_and_b32_e32 v1, 0x8000, v1
	v_and_b32_e32 v56, 0xfc00, v56
	v_or3_b32 v53, v1, v56, v53
.LBB254_678:                            ;   in Loop: Header=BB254_359 Depth=1
	s_or_b32 exec_lo, exec_lo, s26
.LBB254_679:                            ;   in Loop: Header=BB254_359 Depth=1
	s_or_b32 exec_lo, exec_lo, s22
.LBB254_680:                            ;   in Loop: Header=BB254_359 Depth=1
	s_or_b32 exec_lo, exec_lo, s21
	v_cmp_lt_u64_e64 s0, s[2:3], v[7:8]
	v_mov_b32_e32 v7, 0
	s_and_saveexec_b32 s21, s0
	s_cbranch_execz .LBB254_688
; %bb.681:                              ;   in Loop: Header=BB254_359 Depth=1
	v_lshrrev_b32_e32 v1, 24, v8
	v_bfrev_b32_e32 v7, 1
	s_mov_b32 s22, exec_lo
	v_cmpx_ne_u32_e32 0x80, v1
	s_cbranch_execz .LBB254_687
; %bb.682:                              ;   in Loop: Header=BB254_359 Depth=1
	v_and_b32_e32 v56, 0x7f, v1
	v_mov_b32_e32 v7, 0x7c010000
	s_mov_b32 s26, exec_lo
	v_cmpx_ne_u32_e32 0x7f, v56
	s_cbranch_execz .LBB254_686
; %bb.683:                              ;   in Loop: Header=BB254_359 Depth=1
	v_and_b32_e32 v7, 7, v1
	v_lshrrev_b32_e32 v8, 3, v56
	s_mov_b32 s27, exec_lo
	v_cmpx_gt_u32_e32 8, v56
; %bb.684:                              ;   in Loop: Header=BB254_359 Depth=1
	v_ffbh_u32_e32 v7, v7
	v_min_u32_e32 v56, 32, v7
	v_subrev_nc_u32_e32 v7, 28, v56
	v_lshlrev_b64 v[7:8], v7, v[1:2]
	v_sub_nc_u32_e32 v8, 29, v56
	v_and_b32_e32 v7, 7, v7
; %bb.685:                              ;   in Loop: Header=BB254_359 Depth=1
	s_or_b32 exec_lo, exec_lo, s27
	v_lshlrev_b32_e32 v1, 8, v1
	v_lshl_add_u32 v8, v8, 10, 0x2000
	v_lshlrev_b32_e32 v7, 23, v7
	v_and_or_b32 v1, 0x8000, v1, v8
	v_lshl_or_b32 v7, v1, 16, v7
.LBB254_686:                            ;   in Loop: Header=BB254_359 Depth=1
	s_or_b32 exec_lo, exec_lo, s26
.LBB254_687:                            ;   in Loop: Header=BB254_359 Depth=1
	s_or_b32 exec_lo, exec_lo, s22
.LBB254_688:                            ;   in Loop: Header=BB254_359 Depth=1
	s_or_b32 exec_lo, exec_lo, s21
	v_or_b32_e32 v1, v51, v52
	s_waitcnt vmcnt(0)
	v_fma_mixlo_f16 v8, v48, v51, 0 op_sel:[0,1,0] op_sel_hi:[0,1,0]
	v_or_b32_e32 v50, v49, v50
	v_fma_mixlo_f16 v51, v48, v49, 0 op_sel:[0,1,0] op_sel_hi:[0,1,0]
	v_or_b32_e32 v52, v55, v54
	v_fma_mixlo_f16 v1, v48, v1, 0 op_sel_hi:[0,1,0]
	v_or_b32_e32 v53, v7, v53
	v_lshlrev_b32_e32 v49, 16, v8
	v_lshlrev_b32_e32 v54, 16, v51
	v_fma_mixlo_f16 v8, v48, v50, 0 op_sel_hi:[0,1,0]
	v_and_b32_e32 v51, 0xffff, v1
	v_fma_mixlo_f16 v1, v48, v55, 0 op_sel:[0,1,0] op_sel_hi:[0,1,0]
	v_fma_mixlo_f16 v50, v48, v52, 0 op_sel_hi:[0,1,0]
	v_fma_mixlo_f16 v7, v48, v7, 0 op_sel:[0,1,0] op_sel_hi:[0,1,0]
	v_fma_mixlo_f16 v48, v48, v53, 0 op_sel_hi:[0,1,0]
	v_and_b32_e32 v56, 0xffff, v8
	v_lshlrev_b32_e32 v52, 16, v1
	v_and_b32_e32 v55, 0xffff, v50
	v_lshlrev_b32_e32 v50, 16, v7
	v_and_b32_e32 v53, 0xffff, v48
	v_or_b32_e32 v8, v49, v51
	v_or_b32_e32 v48, v54, v56
	;; [unrolled: 1-line block ×4, first 2 shown]
	s_and_saveexec_b32 s0, vcc_lo
	s_cbranch_execz .LBB254_357
; %bb.689:                              ;   in Loop: Header=BB254_359 Depth=1
	v_cmp_gt_i32_e32 vcc_lo, s33, v30
	v_cndmask_b32_e32 v1, 0, v56, vcc_lo
	v_cmp_gt_i32_e32 vcc_lo, s33, v37
	v_cndmask_b32_e32 v7, 0, v54, vcc_lo
	v_cmp_gt_i32_e32 vcc_lo, s33, v36
	v_or_b32_e32 v48, v7, v1
	v_cndmask_b32_e32 v8, 0, v51, vcc_lo
	v_cmp_gt_i32_e32 vcc_lo, s33, v35
	v_cndmask_b32_e32 v30, 0, v49, vcc_lo
	v_cmp_gt_i32_e32 vcc_lo, s33, v34
	v_or_b32_e32 v8, v30, v8
	v_cndmask_b32_e32 v34, 0, v55, vcc_lo
	v_cmp_gt_i32_e32 vcc_lo, s33, v33
	v_cndmask_b32_e32 v33, 0, v52, vcc_lo
	v_cmp_gt_i32_e32 vcc_lo, s33, v32
	v_or_b32_e32 v7, v33, v34
	v_cndmask_b32_e32 v32, 0, v53, vcc_lo
	v_cmp_gt_i32_e32 vcc_lo, s33, v31
	v_cndmask_b32_e32 v31, 0, v50, vcc_lo
	v_or_b32_e32 v1, v31, v32
	s_branch .LBB254_357
.LBB254_690:
	s_or_b32 exec_lo, exec_lo, s17
.LBB254_691:
	s_or_b32 exec_lo, exec_lo, s1
	ds_bpermute_b32 v1, v17, v22
	ds_bpermute_b32 v2, v17, v21
	;; [unrolled: 1-line block ×5, first 2 shown]
	v_lshrrev_b32_e32 v6, 1, v16
	v_mul_u32_u24_e32 v8, 0x140, v13
	v_and_b32_e32 v13, 0x3c1, v0
	s_mov_b32 s0, exec_lo
	s_waitcnt lgkmcnt(0)
	v_lshl_add_u32 v7, v6, 2, 0xc0
	s_barrier
	buffer_gl0_inv
	v_add_f32_e32 v5, v22, v1
	v_add_f32_e32 v4, v21, v2
	;; [unrolled: 1-line block ×5, first 2 shown]
	v_cmpx_eq_u32_e32 64, v13
	s_cbranch_execz .LBB254_693
; %bb.692:
	v_add_nc_u32_e32 v9, v7, v8
	v_add_nc_u32_e32 v10, 0xfffffd80, v9
	;; [unrolled: 1-line block ×6, first 2 shown]
	ds_write_b32 v10, v5
	ds_write_b32 v13, v4
	;; [unrolled: 1-line block ×5, first 2 shown]
.LBB254_693:
	s_or_b32 exec_lo, exec_lo, s0
	v_lshlrev_b32_e32 v6, 2, v6
	s_mov_b32 s1, exec_lo
	v_cmp_eq_u32_e32 vcc_lo, 0, v12
	s_waitcnt lgkmcnt(0)
	s_barrier
	v_add3_u32 v6, 0xc0, v8, v6
	buffer_gl0_inv
	v_cmpx_gt_u32_e32 64, v0
	s_cbranch_execz .LBB254_701
; %bb.694:
	s_and_saveexec_b32 s0, vcc_lo
	s_cbranch_execnz .LBB254_714
; %bb.695:
	s_or_b32 exec_lo, exec_lo, s0
	s_and_saveexec_b32 s0, vcc_lo
	s_cbranch_execnz .LBB254_715
.LBB254_696:
	s_or_b32 exec_lo, exec_lo, s0
	s_and_saveexec_b32 s0, vcc_lo
	s_cbranch_execnz .LBB254_716
.LBB254_697:
	s_or_b32 exec_lo, exec_lo, s0
	s_and_saveexec_b32 s0, vcc_lo
	s_cbranch_execnz .LBB254_717
.LBB254_698:
	s_or_b32 exec_lo, exec_lo, s0
	s_and_saveexec_b32 s0, vcc_lo
	s_cbranch_execz .LBB254_700
.LBB254_699:
	ds_read_b32 v8, v6 offset:256
	s_waitcnt lgkmcnt(0)
	v_add_f32_e32 v1, v1, v8
.LBB254_700:
	s_or_b32 exec_lo, exec_lo, s0
.LBB254_701:
	s_or_b32 exec_lo, exec_lo, s1
	v_and_b32_e32 v8, 0x3e1, v0
	s_mov_b32 s1, exec_lo
	s_barrier
	buffer_gl0_inv
	v_cmpx_eq_u32_e32 32, v8
	s_cbranch_execz .LBB254_703
; %bb.702:
	ds_write2_b32 v7, v5, v4 offset1:16
	ds_write2_b32 v7, v3, v2 offset0:32 offset1:48
	ds_write_b32 v7, v1 offset:256
.LBB254_703:
	s_or_b32 exec_lo, exec_lo, s1
	s_mov_b32 s1, exec_lo
	s_waitcnt lgkmcnt(0)
	s_barrier
	buffer_gl0_inv
	v_cmpx_gt_u32_e32 32, v0
	s_cbranch_execz .LBB254_711
; %bb.704:
	s_and_saveexec_b32 s0, vcc_lo
	s_cbranch_execnz .LBB254_718
; %bb.705:
	s_or_b32 exec_lo, exec_lo, s0
	s_and_saveexec_b32 s0, vcc_lo
	s_cbranch_execnz .LBB254_719
.LBB254_706:
	s_or_b32 exec_lo, exec_lo, s0
	s_and_saveexec_b32 s0, vcc_lo
	s_cbranch_execnz .LBB254_720
.LBB254_707:
	s_or_b32 exec_lo, exec_lo, s0
	s_and_saveexec_b32 s0, vcc_lo
	s_cbranch_execnz .LBB254_721
.LBB254_708:
	s_or_b32 exec_lo, exec_lo, s0
	s_and_saveexec_b32 s0, vcc_lo
	s_cbranch_execz .LBB254_710
.LBB254_709:
	ds_read_b32 v0, v6 offset:256
	s_waitcnt lgkmcnt(0)
	v_add_f32_e32 v1, v1, v0
.LBB254_710:
	s_or_b32 exec_lo, exec_lo, s0
.LBB254_711:
	s_or_b32 exec_lo, exec_lo, s1
	s_barrier
	buffer_gl0_inv
	s_mov_b32 s0, exec_lo
	v_cmpx_eq_u32_e32 0, v8
	s_cbranch_execz .LBB254_713
; %bb.712:
	s_mul_i32 s0, s10, s11
	s_mul_i32 s2, s11, s24
	s_mul_i32 s0, s0, s9
	v_lshlrev_b32_e32 v0, 1, v11
	s_mulk_i32 s0, 0x50
	;;#ASMSTART
	v_cvt_f16_f32 v5, v5;

	;;#ASMEND
	s_ashr_i32 s1, s0, 31
	s_lshl_b64 s[0:1], s[0:1], 1
	s_add_u32 s4, s6, s0
	s_addc_u32 s5, s7, s1
	s_ashr_i32 s3, s2, 31
	s_lshl_b64 s[0:1], s[2:3], 1
	s_mul_i32 s2, s8, 0x50
	s_add_u32 s4, s4, s0
	s_addc_u32 s5, s5, s1
	s_ashr_i32 s3, s2, 31
	s_lshl_b64 s[0:1], s[2:3], 1
	s_add_u32 s0, s4, s0
	s_addc_u32 s1, s5, s1
	global_store_short v0, v5, s[0:1]
	;;#ASMSTART
	v_cvt_f16_f32 v4, v4;

	;;#ASMEND
	global_store_short v0, v4, s[0:1] offset:32
	;;#ASMSTART
	v_cvt_f16_f32 v3, v3;

	;;#ASMEND
	global_store_short v0, v3, s[0:1] offset:64
	;; [unrolled: 5-line block ×4, first 2 shown]
.LBB254_713:
	s_endpgm
.LBB254_714:
	ds_read_b32 v8, v6
	s_waitcnt lgkmcnt(0)
	v_add_f32_e32 v5, v5, v8
	s_or_b32 exec_lo, exec_lo, s0
	s_and_saveexec_b32 s0, vcc_lo
	s_cbranch_execz .LBB254_696
.LBB254_715:
	ds_read_b32 v8, v6 offset:64
	s_waitcnt lgkmcnt(0)
	v_add_f32_e32 v4, v4, v8
	s_or_b32 exec_lo, exec_lo, s0
	s_and_saveexec_b32 s0, vcc_lo
	s_cbranch_execz .LBB254_697
.LBB254_716:
	ds_read_b32 v8, v6 offset:128
	s_waitcnt lgkmcnt(0)
	v_add_f32_e32 v3, v3, v8
	s_or_b32 exec_lo, exec_lo, s0
	s_and_saveexec_b32 s0, vcc_lo
	s_cbranch_execz .LBB254_698
.LBB254_717:
	ds_read_b32 v8, v6 offset:192
	s_waitcnt lgkmcnt(0)
	v_add_f32_e32 v2, v2, v8
	s_or_b32 exec_lo, exec_lo, s0
	s_and_saveexec_b32 s0, vcc_lo
	s_cbranch_execnz .LBB254_699
	s_branch .LBB254_700
.LBB254_718:
	ds_read_b32 v0, v6
	s_waitcnt lgkmcnt(0)
	v_add_f32_e32 v5, v5, v0
	s_or_b32 exec_lo, exec_lo, s0
	s_and_saveexec_b32 s0, vcc_lo
	s_cbranch_execz .LBB254_706
.LBB254_719:
	ds_read_b32 v0, v6 offset:64
	s_waitcnt lgkmcnt(0)
	v_add_f32_e32 v4, v4, v0
	s_or_b32 exec_lo, exec_lo, s0
	s_and_saveexec_b32 s0, vcc_lo
	s_cbranch_execz .LBB254_707
.LBB254_720:
	ds_read_b32 v0, v6 offset:128
	s_waitcnt lgkmcnt(0)
	v_add_f32_e32 v3, v3, v0
	s_or_b32 exec_lo, exec_lo, s0
	s_and_saveexec_b32 s0, vcc_lo
	s_cbranch_execz .LBB254_708
.LBB254_721:
	ds_read_b32 v0, v6 offset:192
	s_waitcnt lgkmcnt(0)
	v_add_f32_e32 v2, v2, v0
	s_or_b32 exec_lo, exec_lo, s0
	s_and_saveexec_b32 s0, vcc_lo
	s_cbranch_execnz .LBB254_709
	s_branch .LBB254_710
	.section	.rodata,"a",@progbits
	.p2align	6, 0x0
	.amdhsa_kernel _ZN4vllm25paged_attention_v1_kernelIthLi80ELi16ELi128ELNS_18Fp8KVCacheDataTypeE1ELb1EEEvPT_PKS2_PKT0_S8_ifPKiSA_iPKfiiiSC_SC_iiiii
		.amdhsa_group_segment_fixed_size 192
		.amdhsa_private_segment_fixed_size 0
		.amdhsa_kernarg_size 384
		.amdhsa_user_sgpr_count 6
		.amdhsa_user_sgpr_private_segment_buffer 1
		.amdhsa_user_sgpr_dispatch_ptr 0
		.amdhsa_user_sgpr_queue_ptr 0
		.amdhsa_user_sgpr_kernarg_segment_ptr 1
		.amdhsa_user_sgpr_dispatch_id 0
		.amdhsa_user_sgpr_flat_scratch_init 0
		.amdhsa_user_sgpr_private_segment_size 0
		.amdhsa_wavefront_size32 1
		.amdhsa_uses_dynamic_stack 0
		.amdhsa_system_sgpr_private_segment_wavefront_offset 0
		.amdhsa_system_sgpr_workgroup_id_x 1
		.amdhsa_system_sgpr_workgroup_id_y 1
		.amdhsa_system_sgpr_workgroup_id_z 1
		.amdhsa_system_sgpr_workgroup_info 0
		.amdhsa_system_vgpr_workitem_id 0
		.amdhsa_next_free_vgpr 101
		.amdhsa_next_free_sgpr 44
		.amdhsa_reserve_vcc 1
		.amdhsa_reserve_flat_scratch 0
		.amdhsa_float_round_mode_32 0
		.amdhsa_float_round_mode_16_64 0
		.amdhsa_float_denorm_mode_32 3
		.amdhsa_float_denorm_mode_16_64 3
		.amdhsa_dx10_clamp 1
		.amdhsa_ieee_mode 1
		.amdhsa_fp16_overflow 0
		.amdhsa_workgroup_processor_mode 1
		.amdhsa_memory_ordered 1
		.amdhsa_forward_progress 1
		.amdhsa_shared_vgpr_count 0
		.amdhsa_exception_fp_ieee_invalid_op 0
		.amdhsa_exception_fp_denorm_src 0
		.amdhsa_exception_fp_ieee_div_zero 0
		.amdhsa_exception_fp_ieee_overflow 0
		.amdhsa_exception_fp_ieee_underflow 0
		.amdhsa_exception_fp_ieee_inexact 0
		.amdhsa_exception_int_div_zero 0
	.end_amdhsa_kernel
	.section	.text._ZN4vllm25paged_attention_v1_kernelIthLi80ELi16ELi128ELNS_18Fp8KVCacheDataTypeE1ELb1EEEvPT_PKS2_PKT0_S8_ifPKiSA_iPKfiiiSC_SC_iiiii,"axG",@progbits,_ZN4vllm25paged_attention_v1_kernelIthLi80ELi16ELi128ELNS_18Fp8KVCacheDataTypeE1ELb1EEEvPT_PKS2_PKT0_S8_ifPKiSA_iPKfiiiSC_SC_iiiii,comdat
.Lfunc_end254:
	.size	_ZN4vllm25paged_attention_v1_kernelIthLi80ELi16ELi128ELNS_18Fp8KVCacheDataTypeE1ELb1EEEvPT_PKS2_PKT0_S8_ifPKiSA_iPKfiiiSC_SC_iiiii, .Lfunc_end254-_ZN4vllm25paged_attention_v1_kernelIthLi80ELi16ELi128ELNS_18Fp8KVCacheDataTypeE1ELb1EEEvPT_PKS2_PKT0_S8_ifPKiSA_iPKfiiiSC_SC_iiiii
                                        ; -- End function
	.set _ZN4vllm25paged_attention_v1_kernelIthLi80ELi16ELi128ELNS_18Fp8KVCacheDataTypeE1ELb1EEEvPT_PKS2_PKT0_S8_ifPKiSA_iPKfiiiSC_SC_iiiii.num_vgpr, 101
	.set _ZN4vllm25paged_attention_v1_kernelIthLi80ELi16ELi128ELNS_18Fp8KVCacheDataTypeE1ELb1EEEvPT_PKS2_PKT0_S8_ifPKiSA_iPKfiiiSC_SC_iiiii.num_agpr, 0
	.set _ZN4vllm25paged_attention_v1_kernelIthLi80ELi16ELi128ELNS_18Fp8KVCacheDataTypeE1ELb1EEEvPT_PKS2_PKT0_S8_ifPKiSA_iPKfiiiSC_SC_iiiii.numbered_sgpr, 44
	.set _ZN4vllm25paged_attention_v1_kernelIthLi80ELi16ELi128ELNS_18Fp8KVCacheDataTypeE1ELb1EEEvPT_PKS2_PKT0_S8_ifPKiSA_iPKfiiiSC_SC_iiiii.num_named_barrier, 0
	.set _ZN4vllm25paged_attention_v1_kernelIthLi80ELi16ELi128ELNS_18Fp8KVCacheDataTypeE1ELb1EEEvPT_PKS2_PKT0_S8_ifPKiSA_iPKfiiiSC_SC_iiiii.private_seg_size, 0
	.set _ZN4vllm25paged_attention_v1_kernelIthLi80ELi16ELi128ELNS_18Fp8KVCacheDataTypeE1ELb1EEEvPT_PKS2_PKT0_S8_ifPKiSA_iPKfiiiSC_SC_iiiii.uses_vcc, 1
	.set _ZN4vllm25paged_attention_v1_kernelIthLi80ELi16ELi128ELNS_18Fp8KVCacheDataTypeE1ELb1EEEvPT_PKS2_PKT0_S8_ifPKiSA_iPKfiiiSC_SC_iiiii.uses_flat_scratch, 0
	.set _ZN4vllm25paged_attention_v1_kernelIthLi80ELi16ELi128ELNS_18Fp8KVCacheDataTypeE1ELb1EEEvPT_PKS2_PKT0_S8_ifPKiSA_iPKfiiiSC_SC_iiiii.has_dyn_sized_stack, 0
	.set _ZN4vllm25paged_attention_v1_kernelIthLi80ELi16ELi128ELNS_18Fp8KVCacheDataTypeE1ELb1EEEvPT_PKS2_PKT0_S8_ifPKiSA_iPKfiiiSC_SC_iiiii.has_recursion, 0
	.set _ZN4vllm25paged_attention_v1_kernelIthLi80ELi16ELi128ELNS_18Fp8KVCacheDataTypeE1ELb1EEEvPT_PKS2_PKT0_S8_ifPKiSA_iPKfiiiSC_SC_iiiii.has_indirect_call, 0
	.section	.AMDGPU.csdata,"",@progbits
; Kernel info:
; codeLenInByte = 24160
; TotalNumSgprs: 46
; NumVgprs: 101
; ScratchSize: 0
; MemoryBound: 0
; FloatMode: 240
; IeeeMode: 1
; LDSByteSize: 192 bytes/workgroup (compile time only)
; SGPRBlocks: 0
; VGPRBlocks: 12
; NumSGPRsForWavesPerEU: 46
; NumVGPRsForWavesPerEU: 101
; Occupancy: 9
; WaveLimiterHint : 1
; COMPUTE_PGM_RSRC2:SCRATCH_EN: 0
; COMPUTE_PGM_RSRC2:USER_SGPR: 6
; COMPUTE_PGM_RSRC2:TRAP_HANDLER: 0
; COMPUTE_PGM_RSRC2:TGID_X_EN: 1
; COMPUTE_PGM_RSRC2:TGID_Y_EN: 1
; COMPUTE_PGM_RSRC2:TGID_Z_EN: 1
; COMPUTE_PGM_RSRC2:TIDIG_COMP_CNT: 0
	.section	.text._ZN4vllm25paged_attention_v1_kernelIthLi96ELi16ELi128ELNS_18Fp8KVCacheDataTypeE1ELb1EEEvPT_PKS2_PKT0_S8_ifPKiSA_iPKfiiiSC_SC_iiiii,"axG",@progbits,_ZN4vllm25paged_attention_v1_kernelIthLi96ELi16ELi128ELNS_18Fp8KVCacheDataTypeE1ELb1EEEvPT_PKS2_PKT0_S8_ifPKiSA_iPKfiiiSC_SC_iiiii,comdat
	.protected	_ZN4vllm25paged_attention_v1_kernelIthLi96ELi16ELi128ELNS_18Fp8KVCacheDataTypeE1ELb1EEEvPT_PKS2_PKT0_S8_ifPKiSA_iPKfiiiSC_SC_iiiii ; -- Begin function _ZN4vllm25paged_attention_v1_kernelIthLi96ELi16ELi128ELNS_18Fp8KVCacheDataTypeE1ELb1EEEvPT_PKS2_PKT0_S8_ifPKiSA_iPKfiiiSC_SC_iiiii
	.globl	_ZN4vllm25paged_attention_v1_kernelIthLi96ELi16ELi128ELNS_18Fp8KVCacheDataTypeE1ELb1EEEvPT_PKS2_PKT0_S8_ifPKiSA_iPKfiiiSC_SC_iiiii
	.p2align	8
	.type	_ZN4vllm25paged_attention_v1_kernelIthLi96ELi16ELi128ELNS_18Fp8KVCacheDataTypeE1ELb1EEEvPT_PKS2_PKT0_S8_ifPKiSA_iPKfiiiSC_SC_iiiii,@function
_ZN4vllm25paged_attention_v1_kernelIthLi96ELi16ELi128ELNS_18Fp8KVCacheDataTypeE1ELb1EEEvPT_PKS2_PKT0_S8_ifPKiSA_iPKfiiiSC_SC_iiiii: ; @_ZN4vllm25paged_attention_v1_kernelIthLi96ELi16ELi128ELNS_18Fp8KVCacheDataTypeE1ELb1EEEvPT_PKS2_PKT0_S8_ifPKiSA_iPKfiiiSC_SC_iiiii
; %bb.0:
	s_clause 0x2
	s_load_dword s9, s[4:5], 0x80
	s_load_dwordx2 s[0:1], s[4:5], 0x30
	s_load_dwordx2 s[34:35], s[4:5], 0x20
	s_mov_b32 s10, s7
	s_ashr_i32 s11, s7, 31
	s_mov_b32 s36, 0
	s_lshl_b64 s[2:3], s[10:11], 2
	s_waitcnt lgkmcnt(0)
	s_add_u32 s0, s0, s2
	s_addc_u32 s1, s1, s3
	s_abs_i32 s2, s34
	s_abs_i32 s11, s9
	v_cvt_f32_u32_e32 v1, s2
	s_sub_i32 s7, 0, s2
	v_rcp_iflag_f32_e32 v1, v1
	v_mul_f32_e32 v1, 0x4f7ffffe, v1
	v_cvt_u32_f32_e32 v1, v1
	v_readfirstlane_b32 s3, v1
	s_mul_i32 s7, s7, s3
	s_mul_hi_u32 s7, s3, s7
	s_add_i32 s3, s3, s7
	s_xor_b32 s7, s9, s34
	s_mul_hi_u32 s3, s11, s3
	s_ashr_i32 s7, s7, 31
	s_mul_i32 s12, s3, s2
	s_sub_i32 s11, s11, s12
	s_add_i32 s12, s3, 1
	s_sub_i32 s13, s11, s2
	s_cmp_ge_u32 s11, s2
	s_cselect_b32 s3, s12, s3
	s_cselect_b32 s11, s13, s11
	s_add_i32 s12, s3, 1
	s_cmp_ge_u32 s11, s2
	s_cselect_b32 s2, s12, s3
	s_xor_b32 s2, s2, s7
	s_sub_i32 s14, s2, s7
	s_load_dwordx2 s[2:3], s[4:5], 0x40
	s_abs_i32 s11, s14
	v_cvt_f32_u32_e32 v1, s11
	s_sub_i32 s12, 0, s11
	v_rcp_iflag_f32_e32 v1, v1
	v_mul_f32_e32 v1, 0x4f7ffffe, v1
	v_cvt_u32_f32_e32 v1, v1
	v_readfirstlane_b32 s7, v1
	s_mul_i32 s12, s12, s7
	s_mul_hi_u32 s13, s7, s12
	s_abs_i32 s12, s6
	s_add_i32 s7, s7, s13
	s_waitcnt lgkmcnt(0)
	s_cmp_eq_u64 s[2:3], 0
	s_mul_hi_u32 s13, s12, s7
	s_cbranch_scc1 .LBB255_2
; %bb.1:
	s_ashr_i32 s7, s6, 31
	s_lshl_b64 s[16:17], s[6:7], 2
	s_add_u32 s2, s2, s16
	s_addc_u32 s3, s3, s17
	s_load_dword s36, s[2:3], 0x0
.LBB255_2:
	s_load_dword s33, s[0:1], 0x0
	s_load_dwordx4 s[16:19], s[4:5], 0x48
	v_lshrrev_b32_e32 v11, 1, v0
	v_and_b32_e32 v12, 1, v0
	v_lshlrev_b32_e32 v10, 3, v0
	s_ashr_i32 s0, s6, 31
	s_ashr_i32 s1, s14, 31
	s_mul_i32 s24, s6, 0x60
	s_mov_b32 s2, exec_lo
	v_cmpx_gt_u32_e32 24, v0
	s_cbranch_execz .LBB255_4
; %bb.3:
	s_load_dwordx2 s[14:15], s[4:5], 0x8
	s_waitcnt lgkmcnt(0)
	s_mul_i32 s20, s16, s10
	v_lshlrev_b32_e32 v3, 3, v11
	s_ashr_i32 s21, s20, 31
	s_lshl_b64 s[20:21], s[20:21], 1
	v_mad_u32_u24 v3, 0x60, v12, v3
	s_add_u32 s3, s14, s20
	s_addc_u32 s7, s15, s21
	s_ashr_i32 s25, s24, 31
	s_lshl_b64 s[14:15], s[24:25], 1
	s_add_u32 s14, s3, s14
	s_addc_u32 s15, s7, s15
	global_load_dwordx2 v[1:2], v10, s[14:15]
	s_waitcnt vmcnt(0)
	ds_write_b64 v3, v[1:2]
.LBB255_4:
	s_or_b32 exec_lo, exec_lo, s2
	s_load_dwordx4 s[20:23], s[4:5], 0x68
	s_mul_i32 s2, s13, s11
	s_xor_b32 s1, s0, s1
	s_sub_i32 s0, s12, s2
	s_add_i32 s2, s13, 1
	s_sub_i32 s3, s0, s11
	s_cmp_ge_u32 s0, s11
	s_mov_b32 s12, -1
	s_cselect_b32 s2, s2, s13
	s_cselect_b32 s0, s3, s0
	s_add_i32 s3, s2, 1
	s_cmp_ge_u32 s0, s11
	s_load_dword s0, s[4:5], 0x78
	s_cselect_b32 s2, s3, s2
	s_waitcnt lgkmcnt(0)
	s_add_i32 s7, s33, -1
	s_xor_b32 s2, s2, s1
	s_abs_i32 s3, s7
	s_sub_i32 s1, s2, s1
	s_barrier
	s_abs_i32 s16, s23
	buffer_gl0_inv
	v_cvt_f32_u32_e32 v1, s16
	s_sub_i32 s2, 0, s16
                                        ; implicit-def: $sgpr25
	v_rcp_iflag_f32_e32 v1, v1
	v_mul_f32_e32 v1, 0x4f7ffffe, v1
	v_cvt_u32_f32_e32 v1, v1
	v_readfirstlane_b32 s19, v1
	s_mul_i32 s2, s2, s19
	s_mul_hi_u32 s2, s19, s2
	s_add_i32 s19, s19, s2
	s_cmp_lt_i32 s0, 0
	s_mul_hi_u32 s2, s3, s19
	s_cbranch_scc0 .LBB255_6
; %bb.5:
	s_mul_i32 s11, s20, s34
	s_mov_b32 s12, 0
	s_add_i32 s11, s1, s11
	s_mul_i32 s11, s11, s0
	s_sub_i32 s25, 1, s11
.LBB255_6:
	s_load_dwordx2 s[26:27], s[4:5], 0x28
	s_ashr_i32 s11, s7, 31
	s_andn2_b32 vcc_lo, exec_lo, s12
	s_ashr_i32 s23, s23, 31
	s_cbranch_vccnz .LBB255_8
; %bb.7:
	s_mul_i32 s7, s9, s20
	s_add_i32 s6, s7, s6
	s_mul_i32 s0, s6, s0
	s_add_i32 s25, s0, 1
.LBB255_8:
	s_clause 0x2
	s_load_dword s0, s[4:5], 0x38
	s_load_dwordx2 s[6:7], s[4:5], 0x0
	s_load_dwordx2 s[30:31], s[4:5], 0x18
	s_xor_b32 s34, s11, s23
	s_mul_i32 s11, s2, s16
	s_add_i32 s20, s2, 1
	s_sub_i32 s3, s3, s11
	s_clause 0x1
	s_load_dword s11, s[4:5], 0x88
	s_load_dwordx4 s[12:15], s[4:5], 0x58
	v_lshrrev_b32_e32 v13, 5, v0
	v_mov_b32_e32 v19, 0xff7fffff
	v_lshrrev_b32_e32 v15, 3, v0
	v_mbcnt_lo_u32_b32 v16, -1, 0
	s_mul_i32 s18, s1, s18
	v_lshlrev_b32_e32 v14, 4, v13
	s_waitcnt lgkmcnt(0)
	s_mul_i32 s28, s0, s10
	s_sub_i32 s0, s3, s16
	s_ashr_i32 s29, s28, 31
	s_cmp_ge_u32 s3, s16
	s_cselect_b32 s2, s20, s2
	s_cselect_b32 s0, s0, s3
	s_add_i32 s3, s2, 1
	s_cmp_ge_u32 s0, s16
	s_cselect_b32 s0, s3, s2
	s_add_i32 s2, s33, 15
	s_ashr_i32 s3, s2, 31
	s_lshr_b32 s3, s3, 28
	s_add_i32 s2, s2, s3
	s_ashr_i32 s20, s2, 4
	s_xor_b32 s2, s0, s34
	v_cmp_gt_i32_e64 s0, s20, v13
	s_sub_i32 s34, s2, s34
	s_and_saveexec_b32 s37, s0
	s_cbranch_execz .LBB255_404
; %bb.9:
	s_load_dwordx2 s[2:3], s[4:5], 0x10
	s_sub_i32 s4, s34, s21
	s_ashr_i32 s1, s18, 31
	v_bfe_u32 v17, v0, 1, 4
	v_and_b32_e32 v3, 0x7c, v15
	v_lshlrev_b32_e32 v5, 2, v12
	v_mov_b32_e32 v2, 0
	v_mul_u32_u24_e32 v18, 0x60, v12
	v_lshlrev_b32_e32 v4, 2, v17
	v_subrev_nc_u32_e32 v6, s33, v17
	v_lshlrev_b32_e32 v7, 4, v17
	v_lshlrev_b32_e32 v20, 4, v13
	v_mov_b32_e32 v21, 0xff7fffff
	v_lshl_or_b32 v4, v13, 6, v4
	v_add_nc_u32_e32 v26, 1, v6
	v_mov_b32_e32 v22, 0x80
	v_mov_b32_e32 v23, 0x7f
	;; [unrolled: 1-line block ×3, first 2 shown]
	v_add_nc_u32_e32 v27, 0xe0, v4
	v_mov_b32_e32 v25, 8
	s_waitcnt lgkmcnt(0)
	s_add_u32 s38, s2, s18
	s_addc_u32 s39, s3, s1
	s_abs_i32 s5, s22
	v_add_co_u32 v6, s38, s38, v7
	v_cvt_f32_u32_e32 v1, s5
	s_sub_i32 s2, 0, s5
	v_add_co_ci_u32_e64 v7, null, s39, 0, s38
	v_cmp_neq_f32_e64 s1, s36, 0
	v_rcp_iflag_f32_e32 v1, v1
	v_mov_b32_e32 v19, 0xff7fffff
	v_mov_b32_e32 v29, v13
	s_mov_b32 s38, 0
	s_mov_b32 s39, s17
	v_cmp_eq_u32_e32 vcc_lo, 0, v12
	v_mul_f32_e32 v1, 0x4f7ffffe, v1
	v_cvt_u32_f32_e32 v1, v1
	v_mul_lo_u32 v4, s2, v1
	s_lshl_b64 s[2:3], s[28:29], 2
	s_add_u32 s2, s26, s2
	s_addc_u32 s3, s27, s3
	v_add_co_u32 v3, s2, s2, v3
	v_mul_hi_u32 v8, v1, v4
	v_add_co_ci_u32_e64 v4, null, s3, 0, s2
	v_add_co_u32 v5, s2, v6, v5
	v_add_co_ci_u32_e64 v6, null, 0, v7, s2
	v_add_nc_u32_e32 v28, v1, v8
	s_branch .LBB255_12
.LBB255_10:                             ;   in Loop: Header=BB255_12 Depth=1
	s_or_b32 exec_lo, exec_lo, s40
.LBB255_11:                             ;   in Loop: Header=BB255_12 Depth=1
	s_or_b32 exec_lo, exec_lo, s3
	v_add_nc_u32_e32 v29, 4, v29
	v_add_co_u32 v3, s3, v3, 16
	v_add_co_ci_u32_e64 v4, null, 0, v4, s3
	v_cmp_le_i32_e64 s2, s20, v29
	v_add_nc_u32_e32 v20, 64, v20
	v_add_nc_u32_e32 v27, 0x100, v27
	s_or_b32 s38, s2, s38
	s_andn2_b32 exec_lo, exec_lo, s38
	s_cbranch_execz .LBB255_403
.LBB255_12:                             ; =>This Inner Loop Header: Depth=1
	v_mul_hi_u32 v1, v20, s19
	s_waitcnt lgkmcnt(0)
	v_mul_lo_u32 v7, v1, s16
	v_add_nc_u32_e32 v8, 1, v1
	v_sub_nc_u32_e32 v7, v20, v7
	v_subrev_nc_u32_e32 v9, s16, v7
	v_cmp_le_u32_e64 s2, s16, v7
	v_cndmask_b32_e64 v1, v1, v8, s2
	v_cndmask_b32_e64 v7, v7, v9, s2
	v_add_nc_u32_e32 v8, 1, v1
	v_cmp_le_u32_e64 s2, s16, v7
	v_cndmask_b32_e64 v1, v1, v8, s2
	v_xor_b32_e32 v1, s23, v1
	v_subrev_nc_u32_e32 v1, s23, v1
	v_add_nc_u32_e32 v7, s25, v1
	v_cmp_ge_i32_e64 s3, s4, v1
	v_sub_nc_u32_e32 v8, 0, v7
	v_max_i32_e32 v8, v7, v8
	v_ashrrev_i32_e32 v7, 31, v7
	v_mul_hi_u32 v9, v8, v28
	v_mul_lo_u32 v9, v9, s5
	v_sub_nc_u32_e32 v8, v8, v9
	v_subrev_nc_u32_e32 v9, s5, v8
	v_cmp_le_u32_e64 s2, s5, v8
	v_cndmask_b32_e64 v8, v8, v9, s2
	v_subrev_nc_u32_e32 v9, s5, v8
	v_cmp_le_u32_e64 s2, s5, v8
	v_cndmask_b32_e64 v8, v8, v9, s2
	v_xor_b32_e32 v8, v8, v7
	v_sub_nc_u32_e32 v7, v8, v7
	v_cmp_ne_u32_e64 s2, 0, v7
	s_and_b32 s2, s2, s3
	s_and_saveexec_b32 s3, s2
	s_xor_b32 s2, exec_lo, s3
	s_cbranch_execz .LBB255_16
; %bb.13:                               ;   in Loop: Header=BB255_12 Depth=1
	s_and_saveexec_b32 s3, vcc_lo
; %bb.14:                               ;   in Loop: Header=BB255_12 Depth=1
	ds_write_b32 v27, v21
; %bb.15:                               ;   in Loop: Header=BB255_12 Depth=1
	s_or_b32 exec_lo, exec_lo, s3
.LBB255_16:                             ;   in Loop: Header=BB255_12 Depth=1
	s_andn2_saveexec_b32 s3, s2
	s_cbranch_execz .LBB255_11
; %bb.17:                               ;   in Loop: Header=BB255_12 Depth=1
	global_load_dword v1, v[3:4], off
	v_mov_b32_e32 v31, 0
	v_mov_b32_e32 v32, 0
	global_load_dword v30, v31, s[12:13]
	s_waitcnt vmcnt(1)
	v_mad_i64_i32 v[7:8], null, v1, s39, v[5:6]
	global_load_dword v9, v[7:8], off
	s_waitcnt vmcnt(0)
	v_cmp_ne_u16_sdwa s2, v9, v2 src0_sel:BYTE_0 src1_sel:DWORD
	s_and_saveexec_b32 s40, s2
	s_cbranch_execz .LBB255_25
; %bb.18:                               ;   in Loop: Header=BB255_12 Depth=1
	v_cmp_ne_u16_sdwa s2, v9, v22 src0_sel:BYTE_0 src1_sel:DWORD
	v_mov_b32_e32 v32, 0x8000
	s_and_saveexec_b32 s41, s2
	s_cbranch_execz .LBB255_24
; %bb.19:                               ;   in Loop: Header=BB255_12 Depth=1
	v_and_b32_e32 v33, 0x7f, v9
	v_mov_b32_e32 v32, 0x7c01
	s_mov_b32 s42, exec_lo
	v_cmpx_ne_u32_e32 0x7f, v33
	s_cbranch_execz .LBB255_23
; %bb.20:                               ;   in Loop: Header=BB255_12 Depth=1
	v_and_b32_e32 v1, 7, v9
	v_lshrrev_b32_e32 v32, 3, v33
	s_mov_b32 s43, exec_lo
	v_cmpx_gt_u32_e32 8, v33
; %bb.21:                               ;   in Loop: Header=BB255_12 Depth=1
	v_ffbh_u32_e32 v1, v1
	v_min_u32_e32 v1, 32, v1
	v_subrev_nc_u32_e32 v32, 28, v1
	v_lshlrev_b64 v[33:34], v32, v[9:10]
	v_sub_nc_u32_e32 v32, 29, v1
	v_and_b32_e32 v1, 7, v33
; %bb.22:                               ;   in Loop: Header=BB255_12 Depth=1
	s_or_b32 exec_lo, exec_lo, s43
	v_lshlrev_b32_e32 v33, 8, v9
	v_lshl_add_u32 v32, v32, 10, 0x2000
	v_lshlrev_b32_e32 v1, 7, v1
	v_and_b32_e32 v33, 0x8000, v33
	v_and_b32_e32 v32, 0xfc00, v32
	v_or3_b32 v32, v33, v32, v1
.LBB255_23:                             ;   in Loop: Header=BB255_12 Depth=1
	s_or_b32 exec_lo, exec_lo, s42
.LBB255_24:                             ;   in Loop: Header=BB255_12 Depth=1
	s_or_b32 exec_lo, exec_lo, s41
.LBB255_25:                             ;   in Loop: Header=BB255_12 Depth=1
	s_or_b32 exec_lo, exec_lo, s40
	v_lshrrev_b16 v1, 8, v9
	s_mov_b32 s40, exec_lo
	v_cmpx_ne_u16_e32 0, v1
	s_cbranch_execz .LBB255_33
; %bb.26:                               ;   in Loop: Header=BB255_12 Depth=1
	v_bfrev_b32_e32 v31, 1
	s_mov_b32 s41, exec_lo
	v_cmpx_ne_u16_e32 0x80, v1
	s_cbranch_execz .LBB255_32
; %bb.27:                               ;   in Loop: Header=BB255_12 Depth=1
	v_and_b32_sdwa v34, v1, v23 dst_sel:DWORD dst_unused:UNUSED_PAD src0_sel:WORD_0 src1_sel:DWORD
	v_mov_b32_e32 v31, 0x7c010000
	s_mov_b32 s42, exec_lo
	v_cmpx_ne_u32_e32 0x7f, v34
	s_cbranch_execz .LBB255_31
; %bb.28:                               ;   in Loop: Header=BB255_12 Depth=1
	v_and_b32_sdwa v31, v1, v24 dst_sel:DWORD dst_unused:UNUSED_PAD src0_sel:WORD_0 src1_sel:DWORD
	v_lshrrev_b32_e32 v33, 3, v34
	s_mov_b32 s43, exec_lo
	v_cmpx_gt_u32_e32 8, v34
; %bb.29:                               ;   in Loop: Header=BB255_12 Depth=1
	v_ffbh_u32_e32 v31, v31
	v_min_u32_e32 v31, 32, v31
	v_subrev_nc_u32_e32 v33, 28, v31
	v_lshlrev_b64 v[34:35], v33, v[1:2]
	v_sub_nc_u32_e32 v33, 29, v31
	v_and_b32_e32 v31, 7, v34
; %bb.30:                               ;   in Loop: Header=BB255_12 Depth=1
	s_or_b32 exec_lo, exec_lo, s43
	v_lshlrev_b32_sdwa v1, v25, v1 dst_sel:DWORD dst_unused:UNUSED_PAD src0_sel:DWORD src1_sel:WORD_0
	v_lshl_add_u32 v33, v33, 10, 0x2000
	v_lshlrev_b32_e32 v31, 23, v31
	v_and_or_b32 v1, 0x8000, v1, v33
	v_lshl_or_b32 v31, v1, 16, v31
.LBB255_31:                             ;   in Loop: Header=BB255_12 Depth=1
	s_or_b32 exec_lo, exec_lo, s42
.LBB255_32:                             ;   in Loop: Header=BB255_12 Depth=1
	s_or_b32 exec_lo, exec_lo, s41
.LBB255_33:                             ;   in Loop: Header=BB255_12 Depth=1
	s_or_b32 exec_lo, exec_lo, s40
	v_lshrrev_b32_e32 v1, 16, v9
	v_mov_b32_e32 v33, 0
	v_mov_b32_e32 v34, 0
	v_cmp_ne_u16_sdwa s2, v1, v2 src0_sel:BYTE_0 src1_sel:DWORD
	s_and_saveexec_b32 s40, s2
	s_cbranch_execz .LBB255_41
; %bb.34:                               ;   in Loop: Header=BB255_12 Depth=1
	v_cmp_ne_u16_sdwa s2, v1, v22 src0_sel:BYTE_0 src1_sel:DWORD
	v_mov_b32_e32 v34, 0x8000
	s_and_saveexec_b32 s41, s2
	s_cbranch_execz .LBB255_40
; %bb.35:                               ;   in Loop: Header=BB255_12 Depth=1
	v_bfe_u32 v36, v9, 16, 7
	v_mov_b32_e32 v34, 0x7c01
	s_mov_b32 s42, exec_lo
	v_cmpx_ne_u32_e32 0x7f, v36
	s_cbranch_execz .LBB255_39
; %bb.36:                               ;   in Loop: Header=BB255_12 Depth=1
	v_and_b32_e32 v34, 7, v1
	v_lshrrev_b32_e32 v35, 3, v36
	s_mov_b32 s43, exec_lo
	v_cmpx_gt_u32_e32 8, v36
; %bb.37:                               ;   in Loop: Header=BB255_12 Depth=1
	v_ffbh_u32_e32 v34, v34
	v_min_u32_e32 v36, 32, v34
	v_subrev_nc_u32_e32 v34, 28, v36
	v_lshlrev_b64 v[34:35], v34, v[1:2]
	v_sub_nc_u32_e32 v35, 29, v36
	v_and_b32_e32 v34, 7, v34
; %bb.38:                               ;   in Loop: Header=BB255_12 Depth=1
	s_or_b32 exec_lo, exec_lo, s43
	v_lshlrev_b32_e32 v1, 8, v1
	v_lshl_add_u32 v35, v35, 10, 0x2000
	v_lshlrev_b32_e32 v34, 7, v34
	v_and_b32_e32 v1, 0x8000, v1
	v_and_b32_e32 v35, 0xfc00, v35
	v_or3_b32 v34, v1, v35, v34
.LBB255_39:                             ;   in Loop: Header=BB255_12 Depth=1
	s_or_b32 exec_lo, exec_lo, s42
.LBB255_40:                             ;   in Loop: Header=BB255_12 Depth=1
	s_or_b32 exec_lo, exec_lo, s41
.LBB255_41:                             ;   in Loop: Header=BB255_12 Depth=1
	s_or_b32 exec_lo, exec_lo, s40
	s_mov_b32 s40, exec_lo
	v_cmpx_lt_u32_e32 0xffffff, v9
	s_cbranch_execz .LBB255_49
; %bb.42:                               ;   in Loop: Header=BB255_12 Depth=1
	v_lshrrev_b32_e32 v1, 24, v9
	v_bfrev_b32_e32 v33, 1
	s_mov_b32 s41, exec_lo
	v_cmpx_ne_u32_e32 0x80, v1
	s_cbranch_execz .LBB255_48
; %bb.43:                               ;   in Loop: Header=BB255_12 Depth=1
	v_and_b32_e32 v35, 0x7f, v1
	v_mov_b32_e32 v33, 0x7c010000
	s_mov_b32 s42, exec_lo
	v_cmpx_ne_u32_e32 0x7f, v35
	s_cbranch_execz .LBB255_47
; %bb.44:                               ;   in Loop: Header=BB255_12 Depth=1
	v_and_b32_e32 v9, 7, v1
	v_lshrrev_b32_e32 v33, 3, v35
	s_mov_b32 s43, exec_lo
	v_cmpx_gt_u32_e32 8, v35
; %bb.45:                               ;   in Loop: Header=BB255_12 Depth=1
	v_ffbh_u32_e32 v9, v9
	v_min_u32_e32 v9, 32, v9
	v_subrev_nc_u32_e32 v33, 28, v9
	v_lshlrev_b64 v[35:36], v33, v[1:2]
	v_sub_nc_u32_e32 v33, 29, v9
	v_and_b32_e32 v9, 7, v35
; %bb.46:                               ;   in Loop: Header=BB255_12 Depth=1
	s_or_b32 exec_lo, exec_lo, s43
	v_lshlrev_b32_e32 v1, 8, v1
	v_lshl_add_u32 v33, v33, 10, 0x2000
	v_lshlrev_b32_e32 v9, 23, v9
	v_and_or_b32 v1, 0x8000, v1, v33
	v_lshl_or_b32 v33, v1, 16, v9
.LBB255_47:                             ;   in Loop: Header=BB255_12 Depth=1
	s_or_b32 exec_lo, exec_lo, s42
.LBB255_48:                             ;   in Loop: Header=BB255_12 Depth=1
	s_or_b32 exec_lo, exec_lo, s41
.LBB255_49:                             ;   in Loop: Header=BB255_12 Depth=1
	s_or_b32 exec_lo, exec_lo, s40
	global_load_dword v9, v[7:8], off offset:8
	v_mov_b32_e32 v35, 0
	v_mov_b32_e32 v36, 0
	s_waitcnt vmcnt(0)
	v_cmp_ne_u16_sdwa s2, v9, v2 src0_sel:BYTE_0 src1_sel:DWORD
	s_and_saveexec_b32 s40, s2
	s_cbranch_execz .LBB255_57
; %bb.50:                               ;   in Loop: Header=BB255_12 Depth=1
	v_cmp_ne_u16_sdwa s2, v9, v22 src0_sel:BYTE_0 src1_sel:DWORD
	v_mov_b32_e32 v36, 0x8000
	s_and_saveexec_b32 s41, s2
	s_cbranch_execz .LBB255_56
; %bb.51:                               ;   in Loop: Header=BB255_12 Depth=1
	v_and_b32_e32 v37, 0x7f, v9
	v_mov_b32_e32 v36, 0x7c01
	s_mov_b32 s42, exec_lo
	v_cmpx_ne_u32_e32 0x7f, v37
	s_cbranch_execz .LBB255_55
; %bb.52:                               ;   in Loop: Header=BB255_12 Depth=1
	v_and_b32_e32 v1, 7, v9
	v_lshrrev_b32_e32 v36, 3, v37
	s_mov_b32 s43, exec_lo
	v_cmpx_gt_u32_e32 8, v37
; %bb.53:                               ;   in Loop: Header=BB255_12 Depth=1
	v_ffbh_u32_e32 v1, v1
	v_min_u32_e32 v1, 32, v1
	v_subrev_nc_u32_e32 v36, 28, v1
	v_lshlrev_b64 v[37:38], v36, v[9:10]
	v_sub_nc_u32_e32 v36, 29, v1
	v_and_b32_e32 v1, 7, v37
; %bb.54:                               ;   in Loop: Header=BB255_12 Depth=1
	s_or_b32 exec_lo, exec_lo, s43
	v_lshlrev_b32_e32 v37, 8, v9
	v_lshl_add_u32 v36, v36, 10, 0x2000
	v_lshlrev_b32_e32 v1, 7, v1
	v_and_b32_e32 v37, 0x8000, v37
	v_and_b32_e32 v36, 0xfc00, v36
	v_or3_b32 v36, v37, v36, v1
.LBB255_55:                             ;   in Loop: Header=BB255_12 Depth=1
	s_or_b32 exec_lo, exec_lo, s42
.LBB255_56:                             ;   in Loop: Header=BB255_12 Depth=1
	s_or_b32 exec_lo, exec_lo, s41
.LBB255_57:                             ;   in Loop: Header=BB255_12 Depth=1
	s_or_b32 exec_lo, exec_lo, s40
	v_lshrrev_b16 v1, 8, v9
	s_mov_b32 s40, exec_lo
	v_cmpx_ne_u16_e32 0, v1
	s_cbranch_execz .LBB255_65
; %bb.58:                               ;   in Loop: Header=BB255_12 Depth=1
	v_bfrev_b32_e32 v35, 1
	s_mov_b32 s41, exec_lo
	v_cmpx_ne_u16_e32 0x80, v1
	s_cbranch_execz .LBB255_64
; %bb.59:                               ;   in Loop: Header=BB255_12 Depth=1
	v_and_b32_sdwa v38, v1, v23 dst_sel:DWORD dst_unused:UNUSED_PAD src0_sel:WORD_0 src1_sel:DWORD
	v_mov_b32_e32 v35, 0x7c010000
	s_mov_b32 s42, exec_lo
	v_cmpx_ne_u32_e32 0x7f, v38
	s_cbranch_execz .LBB255_63
; %bb.60:                               ;   in Loop: Header=BB255_12 Depth=1
	v_and_b32_sdwa v35, v1, v24 dst_sel:DWORD dst_unused:UNUSED_PAD src0_sel:WORD_0 src1_sel:DWORD
	v_lshrrev_b32_e32 v37, 3, v38
	s_mov_b32 s43, exec_lo
	v_cmpx_gt_u32_e32 8, v38
; %bb.61:                               ;   in Loop: Header=BB255_12 Depth=1
	v_ffbh_u32_e32 v35, v35
	v_min_u32_e32 v35, 32, v35
	v_subrev_nc_u32_e32 v37, 28, v35
	v_lshlrev_b64 v[38:39], v37, v[1:2]
	v_sub_nc_u32_e32 v37, 29, v35
	v_and_b32_e32 v35, 7, v38
; %bb.62:                               ;   in Loop: Header=BB255_12 Depth=1
	s_or_b32 exec_lo, exec_lo, s43
	v_lshlrev_b32_sdwa v1, v25, v1 dst_sel:DWORD dst_unused:UNUSED_PAD src0_sel:DWORD src1_sel:WORD_0
	v_lshl_add_u32 v37, v37, 10, 0x2000
	v_lshlrev_b32_e32 v35, 23, v35
	v_and_or_b32 v1, 0x8000, v1, v37
	v_lshl_or_b32 v35, v1, 16, v35
.LBB255_63:                             ;   in Loop: Header=BB255_12 Depth=1
	s_or_b32 exec_lo, exec_lo, s42
.LBB255_64:                             ;   in Loop: Header=BB255_12 Depth=1
	s_or_b32 exec_lo, exec_lo, s41
.LBB255_65:                             ;   in Loop: Header=BB255_12 Depth=1
	s_or_b32 exec_lo, exec_lo, s40
	v_lshrrev_b32_e32 v1, 16, v9
	v_mov_b32_e32 v37, 0
	v_mov_b32_e32 v38, 0
	v_cmp_ne_u16_sdwa s2, v1, v2 src0_sel:BYTE_0 src1_sel:DWORD
	s_and_saveexec_b32 s40, s2
	s_cbranch_execz .LBB255_73
; %bb.66:                               ;   in Loop: Header=BB255_12 Depth=1
	v_cmp_ne_u16_sdwa s2, v1, v22 src0_sel:BYTE_0 src1_sel:DWORD
	v_mov_b32_e32 v38, 0x8000
	s_and_saveexec_b32 s41, s2
	s_cbranch_execz .LBB255_72
; %bb.67:                               ;   in Loop: Header=BB255_12 Depth=1
	v_bfe_u32 v40, v9, 16, 7
	v_mov_b32_e32 v38, 0x7c01
	s_mov_b32 s42, exec_lo
	v_cmpx_ne_u32_e32 0x7f, v40
	s_cbranch_execz .LBB255_71
; %bb.68:                               ;   in Loop: Header=BB255_12 Depth=1
	v_and_b32_e32 v38, 7, v1
	v_lshrrev_b32_e32 v39, 3, v40
	s_mov_b32 s43, exec_lo
	v_cmpx_gt_u32_e32 8, v40
; %bb.69:                               ;   in Loop: Header=BB255_12 Depth=1
	v_ffbh_u32_e32 v38, v38
	v_min_u32_e32 v40, 32, v38
	v_subrev_nc_u32_e32 v38, 28, v40
	v_lshlrev_b64 v[38:39], v38, v[1:2]
	v_sub_nc_u32_e32 v39, 29, v40
	v_and_b32_e32 v38, 7, v38
; %bb.70:                               ;   in Loop: Header=BB255_12 Depth=1
	s_or_b32 exec_lo, exec_lo, s43
	v_lshlrev_b32_e32 v1, 8, v1
	v_lshl_add_u32 v39, v39, 10, 0x2000
	v_lshlrev_b32_e32 v38, 7, v38
	v_and_b32_e32 v1, 0x8000, v1
	v_and_b32_e32 v39, 0xfc00, v39
	v_or3_b32 v38, v1, v39, v38
.LBB255_71:                             ;   in Loop: Header=BB255_12 Depth=1
	s_or_b32 exec_lo, exec_lo, s42
.LBB255_72:                             ;   in Loop: Header=BB255_12 Depth=1
	s_or_b32 exec_lo, exec_lo, s41
.LBB255_73:                             ;   in Loop: Header=BB255_12 Depth=1
	s_or_b32 exec_lo, exec_lo, s40
	s_mov_b32 s40, exec_lo
	v_cmpx_lt_u32_e32 0xffffff, v9
	s_cbranch_execz .LBB255_81
; %bb.74:                               ;   in Loop: Header=BB255_12 Depth=1
	v_lshrrev_b32_e32 v1, 24, v9
	v_bfrev_b32_e32 v37, 1
	s_mov_b32 s41, exec_lo
	v_cmpx_ne_u32_e32 0x80, v1
	s_cbranch_execz .LBB255_80
; %bb.75:                               ;   in Loop: Header=BB255_12 Depth=1
	v_and_b32_e32 v39, 0x7f, v1
	v_mov_b32_e32 v37, 0x7c010000
	s_mov_b32 s42, exec_lo
	v_cmpx_ne_u32_e32 0x7f, v39
	s_cbranch_execz .LBB255_79
; %bb.76:                               ;   in Loop: Header=BB255_12 Depth=1
	v_and_b32_e32 v9, 7, v1
	v_lshrrev_b32_e32 v37, 3, v39
	s_mov_b32 s43, exec_lo
	v_cmpx_gt_u32_e32 8, v39
; %bb.77:                               ;   in Loop: Header=BB255_12 Depth=1
	v_ffbh_u32_e32 v9, v9
	v_min_u32_e32 v9, 32, v9
	v_subrev_nc_u32_e32 v37, 28, v9
	v_lshlrev_b64 v[39:40], v37, v[1:2]
	v_sub_nc_u32_e32 v37, 29, v9
	v_and_b32_e32 v9, 7, v39
; %bb.78:                               ;   in Loop: Header=BB255_12 Depth=1
	s_or_b32 exec_lo, exec_lo, s43
	v_lshlrev_b32_e32 v1, 8, v1
	v_lshl_add_u32 v37, v37, 10, 0x2000
	v_lshlrev_b32_e32 v9, 23, v9
	v_and_or_b32 v1, 0x8000, v1, v37
	v_lshl_or_b32 v37, v1, 16, v9
.LBB255_79:                             ;   in Loop: Header=BB255_12 Depth=1
	s_or_b32 exec_lo, exec_lo, s42
.LBB255_80:                             ;   in Loop: Header=BB255_12 Depth=1
	s_or_b32 exec_lo, exec_lo, s41
.LBB255_81:                             ;   in Loop: Header=BB255_12 Depth=1
	s_or_b32 exec_lo, exec_lo, s40
	global_load_dword v9, v[7:8], off offset:256
	v_mov_b32_e32 v39, 0
	v_mov_b32_e32 v40, 0
	s_waitcnt vmcnt(0)
	v_cmp_ne_u16_sdwa s2, v9, v2 src0_sel:BYTE_0 src1_sel:DWORD
	s_and_saveexec_b32 s40, s2
	s_cbranch_execz .LBB255_89
; %bb.82:                               ;   in Loop: Header=BB255_12 Depth=1
	v_cmp_ne_u16_sdwa s2, v9, v22 src0_sel:BYTE_0 src1_sel:DWORD
	v_mov_b32_e32 v40, 0x8000
	s_and_saveexec_b32 s41, s2
	s_cbranch_execz .LBB255_88
; %bb.83:                               ;   in Loop: Header=BB255_12 Depth=1
	v_and_b32_e32 v41, 0x7f, v9
	v_mov_b32_e32 v40, 0x7c01
	s_mov_b32 s42, exec_lo
	v_cmpx_ne_u32_e32 0x7f, v41
	s_cbranch_execz .LBB255_87
; %bb.84:                               ;   in Loop: Header=BB255_12 Depth=1
	v_and_b32_e32 v1, 7, v9
	v_lshrrev_b32_e32 v40, 3, v41
	s_mov_b32 s43, exec_lo
	v_cmpx_gt_u32_e32 8, v41
; %bb.85:                               ;   in Loop: Header=BB255_12 Depth=1
	v_ffbh_u32_e32 v1, v1
	v_min_u32_e32 v1, 32, v1
	v_subrev_nc_u32_e32 v40, 28, v1
	v_lshlrev_b64 v[41:42], v40, v[9:10]
	v_sub_nc_u32_e32 v40, 29, v1
	v_and_b32_e32 v1, 7, v41
; %bb.86:                               ;   in Loop: Header=BB255_12 Depth=1
	s_or_b32 exec_lo, exec_lo, s43
	v_lshlrev_b32_e32 v41, 8, v9
	v_lshl_add_u32 v40, v40, 10, 0x2000
	v_lshlrev_b32_e32 v1, 7, v1
	v_and_b32_e32 v41, 0x8000, v41
	v_and_b32_e32 v40, 0xfc00, v40
	v_or3_b32 v40, v41, v40, v1
.LBB255_87:                             ;   in Loop: Header=BB255_12 Depth=1
	s_or_b32 exec_lo, exec_lo, s42
.LBB255_88:                             ;   in Loop: Header=BB255_12 Depth=1
	s_or_b32 exec_lo, exec_lo, s41
.LBB255_89:                             ;   in Loop: Header=BB255_12 Depth=1
	s_or_b32 exec_lo, exec_lo, s40
	v_lshrrev_b16 v1, 8, v9
	s_mov_b32 s40, exec_lo
	v_cmpx_ne_u16_e32 0, v1
	s_cbranch_execz .LBB255_97
; %bb.90:                               ;   in Loop: Header=BB255_12 Depth=1
	v_bfrev_b32_e32 v39, 1
	s_mov_b32 s41, exec_lo
	v_cmpx_ne_u16_e32 0x80, v1
	s_cbranch_execz .LBB255_96
; %bb.91:                               ;   in Loop: Header=BB255_12 Depth=1
	v_and_b32_sdwa v42, v1, v23 dst_sel:DWORD dst_unused:UNUSED_PAD src0_sel:WORD_0 src1_sel:DWORD
	v_mov_b32_e32 v39, 0x7c010000
	s_mov_b32 s42, exec_lo
	v_cmpx_ne_u32_e32 0x7f, v42
	s_cbranch_execz .LBB255_95
; %bb.92:                               ;   in Loop: Header=BB255_12 Depth=1
	v_and_b32_sdwa v39, v1, v24 dst_sel:DWORD dst_unused:UNUSED_PAD src0_sel:WORD_0 src1_sel:DWORD
	v_lshrrev_b32_e32 v41, 3, v42
	s_mov_b32 s43, exec_lo
	v_cmpx_gt_u32_e32 8, v42
; %bb.93:                               ;   in Loop: Header=BB255_12 Depth=1
	v_ffbh_u32_e32 v39, v39
	v_min_u32_e32 v39, 32, v39
	v_subrev_nc_u32_e32 v41, 28, v39
	v_lshlrev_b64 v[42:43], v41, v[1:2]
	v_sub_nc_u32_e32 v41, 29, v39
	v_and_b32_e32 v39, 7, v42
; %bb.94:                               ;   in Loop: Header=BB255_12 Depth=1
	s_or_b32 exec_lo, exec_lo, s43
	v_lshlrev_b32_sdwa v1, v25, v1 dst_sel:DWORD dst_unused:UNUSED_PAD src0_sel:DWORD src1_sel:WORD_0
	v_lshl_add_u32 v41, v41, 10, 0x2000
	v_lshlrev_b32_e32 v39, 23, v39
	v_and_or_b32 v1, 0x8000, v1, v41
	v_lshl_or_b32 v39, v1, 16, v39
.LBB255_95:                             ;   in Loop: Header=BB255_12 Depth=1
	s_or_b32 exec_lo, exec_lo, s42
.LBB255_96:                             ;   in Loop: Header=BB255_12 Depth=1
	s_or_b32 exec_lo, exec_lo, s41
.LBB255_97:                             ;   in Loop: Header=BB255_12 Depth=1
	s_or_b32 exec_lo, exec_lo, s40
	v_lshrrev_b32_e32 v1, 16, v9
	v_mov_b32_e32 v41, 0
	v_mov_b32_e32 v42, 0
	v_cmp_ne_u16_sdwa s2, v1, v2 src0_sel:BYTE_0 src1_sel:DWORD
	s_and_saveexec_b32 s40, s2
	s_cbranch_execz .LBB255_105
; %bb.98:                               ;   in Loop: Header=BB255_12 Depth=1
	v_cmp_ne_u16_sdwa s2, v1, v22 src0_sel:BYTE_0 src1_sel:DWORD
	v_mov_b32_e32 v42, 0x8000
	s_and_saveexec_b32 s41, s2
	s_cbranch_execz .LBB255_104
; %bb.99:                               ;   in Loop: Header=BB255_12 Depth=1
	v_bfe_u32 v44, v9, 16, 7
	v_mov_b32_e32 v42, 0x7c01
	s_mov_b32 s42, exec_lo
	v_cmpx_ne_u32_e32 0x7f, v44
	s_cbranch_execz .LBB255_103
; %bb.100:                              ;   in Loop: Header=BB255_12 Depth=1
	v_and_b32_e32 v42, 7, v1
	v_lshrrev_b32_e32 v43, 3, v44
	s_mov_b32 s43, exec_lo
	v_cmpx_gt_u32_e32 8, v44
; %bb.101:                              ;   in Loop: Header=BB255_12 Depth=1
	v_ffbh_u32_e32 v42, v42
	v_min_u32_e32 v44, 32, v42
	v_subrev_nc_u32_e32 v42, 28, v44
	v_lshlrev_b64 v[42:43], v42, v[1:2]
	v_sub_nc_u32_e32 v43, 29, v44
	v_and_b32_e32 v42, 7, v42
; %bb.102:                              ;   in Loop: Header=BB255_12 Depth=1
	s_or_b32 exec_lo, exec_lo, s43
	v_lshlrev_b32_e32 v1, 8, v1
	v_lshl_add_u32 v43, v43, 10, 0x2000
	v_lshlrev_b32_e32 v42, 7, v42
	v_and_b32_e32 v1, 0x8000, v1
	v_and_b32_e32 v43, 0xfc00, v43
	v_or3_b32 v42, v1, v43, v42
.LBB255_103:                            ;   in Loop: Header=BB255_12 Depth=1
	s_or_b32 exec_lo, exec_lo, s42
.LBB255_104:                            ;   in Loop: Header=BB255_12 Depth=1
	s_or_b32 exec_lo, exec_lo, s41
.LBB255_105:                            ;   in Loop: Header=BB255_12 Depth=1
	s_or_b32 exec_lo, exec_lo, s40
	s_mov_b32 s40, exec_lo
	v_cmpx_lt_u32_e32 0xffffff, v9
	s_cbranch_execz .LBB255_113
; %bb.106:                              ;   in Loop: Header=BB255_12 Depth=1
	v_lshrrev_b32_e32 v1, 24, v9
	v_bfrev_b32_e32 v41, 1
	s_mov_b32 s41, exec_lo
	v_cmpx_ne_u32_e32 0x80, v1
	s_cbranch_execz .LBB255_112
; %bb.107:                              ;   in Loop: Header=BB255_12 Depth=1
	v_and_b32_e32 v43, 0x7f, v1
	v_mov_b32_e32 v41, 0x7c010000
	s_mov_b32 s42, exec_lo
	v_cmpx_ne_u32_e32 0x7f, v43
	s_cbranch_execz .LBB255_111
; %bb.108:                              ;   in Loop: Header=BB255_12 Depth=1
	v_and_b32_e32 v9, 7, v1
	v_lshrrev_b32_e32 v41, 3, v43
	s_mov_b32 s43, exec_lo
	v_cmpx_gt_u32_e32 8, v43
; %bb.109:                              ;   in Loop: Header=BB255_12 Depth=1
	v_ffbh_u32_e32 v9, v9
	v_min_u32_e32 v9, 32, v9
	v_subrev_nc_u32_e32 v41, 28, v9
	v_lshlrev_b64 v[43:44], v41, v[1:2]
	v_sub_nc_u32_e32 v41, 29, v9
	v_and_b32_e32 v9, 7, v43
; %bb.110:                              ;   in Loop: Header=BB255_12 Depth=1
	s_or_b32 exec_lo, exec_lo, s43
	v_lshlrev_b32_e32 v1, 8, v1
	v_lshl_add_u32 v41, v41, 10, 0x2000
	v_lshlrev_b32_e32 v9, 23, v9
	v_and_or_b32 v1, 0x8000, v1, v41
	v_lshl_or_b32 v41, v1, 16, v9
.LBB255_111:                            ;   in Loop: Header=BB255_12 Depth=1
	s_or_b32 exec_lo, exec_lo, s42
.LBB255_112:                            ;   in Loop: Header=BB255_12 Depth=1
	s_or_b32 exec_lo, exec_lo, s41
.LBB255_113:                            ;   in Loop: Header=BB255_12 Depth=1
	s_or_b32 exec_lo, exec_lo, s40
	global_load_dword v9, v[7:8], off offset:264
	v_mov_b32_e32 v43, 0
	v_mov_b32_e32 v44, 0
	s_waitcnt vmcnt(0)
	v_cmp_ne_u16_sdwa s2, v9, v2 src0_sel:BYTE_0 src1_sel:DWORD
	s_and_saveexec_b32 s40, s2
	s_cbranch_execz .LBB255_121
; %bb.114:                              ;   in Loop: Header=BB255_12 Depth=1
	v_cmp_ne_u16_sdwa s2, v9, v22 src0_sel:BYTE_0 src1_sel:DWORD
	v_mov_b32_e32 v44, 0x8000
	s_and_saveexec_b32 s41, s2
	s_cbranch_execz .LBB255_120
; %bb.115:                              ;   in Loop: Header=BB255_12 Depth=1
	v_and_b32_e32 v45, 0x7f, v9
	v_mov_b32_e32 v44, 0x7c01
	s_mov_b32 s42, exec_lo
	v_cmpx_ne_u32_e32 0x7f, v45
	s_cbranch_execz .LBB255_119
; %bb.116:                              ;   in Loop: Header=BB255_12 Depth=1
	v_and_b32_e32 v1, 7, v9
	v_lshrrev_b32_e32 v44, 3, v45
	s_mov_b32 s43, exec_lo
	v_cmpx_gt_u32_e32 8, v45
; %bb.117:                              ;   in Loop: Header=BB255_12 Depth=1
	v_ffbh_u32_e32 v1, v1
	v_min_u32_e32 v1, 32, v1
	v_subrev_nc_u32_e32 v44, 28, v1
	v_lshlrev_b64 v[45:46], v44, v[9:10]
	v_sub_nc_u32_e32 v44, 29, v1
	v_and_b32_e32 v1, 7, v45
; %bb.118:                              ;   in Loop: Header=BB255_12 Depth=1
	s_or_b32 exec_lo, exec_lo, s43
	v_lshlrev_b32_e32 v45, 8, v9
	v_lshl_add_u32 v44, v44, 10, 0x2000
	v_lshlrev_b32_e32 v1, 7, v1
	v_and_b32_e32 v45, 0x8000, v45
	v_and_b32_e32 v44, 0xfc00, v44
	v_or3_b32 v44, v45, v44, v1
.LBB255_119:                            ;   in Loop: Header=BB255_12 Depth=1
	s_or_b32 exec_lo, exec_lo, s42
.LBB255_120:                            ;   in Loop: Header=BB255_12 Depth=1
	s_or_b32 exec_lo, exec_lo, s41
.LBB255_121:                            ;   in Loop: Header=BB255_12 Depth=1
	s_or_b32 exec_lo, exec_lo, s40
	v_lshrrev_b16 v1, 8, v9
	s_mov_b32 s40, exec_lo
	v_cmpx_ne_u16_e32 0, v1
	s_cbranch_execz .LBB255_129
; %bb.122:                              ;   in Loop: Header=BB255_12 Depth=1
	v_bfrev_b32_e32 v43, 1
	s_mov_b32 s41, exec_lo
	v_cmpx_ne_u16_e32 0x80, v1
	s_cbranch_execz .LBB255_128
; %bb.123:                              ;   in Loop: Header=BB255_12 Depth=1
	v_and_b32_sdwa v46, v1, v23 dst_sel:DWORD dst_unused:UNUSED_PAD src0_sel:WORD_0 src1_sel:DWORD
	v_mov_b32_e32 v43, 0x7c010000
	s_mov_b32 s42, exec_lo
	v_cmpx_ne_u32_e32 0x7f, v46
	s_cbranch_execz .LBB255_127
; %bb.124:                              ;   in Loop: Header=BB255_12 Depth=1
	v_and_b32_sdwa v43, v1, v24 dst_sel:DWORD dst_unused:UNUSED_PAD src0_sel:WORD_0 src1_sel:DWORD
	v_lshrrev_b32_e32 v45, 3, v46
	s_mov_b32 s43, exec_lo
	v_cmpx_gt_u32_e32 8, v46
; %bb.125:                              ;   in Loop: Header=BB255_12 Depth=1
	v_ffbh_u32_e32 v43, v43
	v_min_u32_e32 v43, 32, v43
	v_subrev_nc_u32_e32 v45, 28, v43
	v_lshlrev_b64 v[46:47], v45, v[1:2]
	v_sub_nc_u32_e32 v45, 29, v43
	v_and_b32_e32 v43, 7, v46
; %bb.126:                              ;   in Loop: Header=BB255_12 Depth=1
	s_or_b32 exec_lo, exec_lo, s43
	v_lshlrev_b32_sdwa v1, v25, v1 dst_sel:DWORD dst_unused:UNUSED_PAD src0_sel:DWORD src1_sel:WORD_0
	v_lshl_add_u32 v45, v45, 10, 0x2000
	v_lshlrev_b32_e32 v43, 23, v43
	v_and_or_b32 v1, 0x8000, v1, v45
	v_lshl_or_b32 v43, v1, 16, v43
.LBB255_127:                            ;   in Loop: Header=BB255_12 Depth=1
	s_or_b32 exec_lo, exec_lo, s42
.LBB255_128:                            ;   in Loop: Header=BB255_12 Depth=1
	s_or_b32 exec_lo, exec_lo, s41
.LBB255_129:                            ;   in Loop: Header=BB255_12 Depth=1
	s_or_b32 exec_lo, exec_lo, s40
	v_lshrrev_b32_e32 v1, 16, v9
	v_mov_b32_e32 v45, 0
	v_mov_b32_e32 v46, 0
	v_cmp_ne_u16_sdwa s2, v1, v2 src0_sel:BYTE_0 src1_sel:DWORD
	s_and_saveexec_b32 s40, s2
	s_cbranch_execz .LBB255_137
; %bb.130:                              ;   in Loop: Header=BB255_12 Depth=1
	v_cmp_ne_u16_sdwa s2, v1, v22 src0_sel:BYTE_0 src1_sel:DWORD
	v_mov_b32_e32 v46, 0x8000
	s_and_saveexec_b32 s41, s2
	s_cbranch_execz .LBB255_136
; %bb.131:                              ;   in Loop: Header=BB255_12 Depth=1
	v_bfe_u32 v48, v9, 16, 7
	v_mov_b32_e32 v46, 0x7c01
	s_mov_b32 s42, exec_lo
	v_cmpx_ne_u32_e32 0x7f, v48
	s_cbranch_execz .LBB255_135
; %bb.132:                              ;   in Loop: Header=BB255_12 Depth=1
	v_and_b32_e32 v46, 7, v1
	v_lshrrev_b32_e32 v47, 3, v48
	s_mov_b32 s43, exec_lo
	v_cmpx_gt_u32_e32 8, v48
; %bb.133:                              ;   in Loop: Header=BB255_12 Depth=1
	v_ffbh_u32_e32 v46, v46
	v_min_u32_e32 v48, 32, v46
	v_subrev_nc_u32_e32 v46, 28, v48
	v_lshlrev_b64 v[46:47], v46, v[1:2]
	v_sub_nc_u32_e32 v47, 29, v48
	v_and_b32_e32 v46, 7, v46
; %bb.134:                              ;   in Loop: Header=BB255_12 Depth=1
	s_or_b32 exec_lo, exec_lo, s43
	v_lshlrev_b32_e32 v1, 8, v1
	v_lshl_add_u32 v47, v47, 10, 0x2000
	v_lshlrev_b32_e32 v46, 7, v46
	v_and_b32_e32 v1, 0x8000, v1
	v_and_b32_e32 v47, 0xfc00, v47
	v_or3_b32 v46, v1, v47, v46
.LBB255_135:                            ;   in Loop: Header=BB255_12 Depth=1
	s_or_b32 exec_lo, exec_lo, s42
.LBB255_136:                            ;   in Loop: Header=BB255_12 Depth=1
	s_or_b32 exec_lo, exec_lo, s41
.LBB255_137:                            ;   in Loop: Header=BB255_12 Depth=1
	s_or_b32 exec_lo, exec_lo, s40
	s_mov_b32 s40, exec_lo
	v_cmpx_lt_u32_e32 0xffffff, v9
	s_cbranch_execz .LBB255_145
; %bb.138:                              ;   in Loop: Header=BB255_12 Depth=1
	v_lshrrev_b32_e32 v1, 24, v9
	v_bfrev_b32_e32 v45, 1
	s_mov_b32 s41, exec_lo
	v_cmpx_ne_u32_e32 0x80, v1
	s_cbranch_execz .LBB255_144
; %bb.139:                              ;   in Loop: Header=BB255_12 Depth=1
	v_and_b32_e32 v47, 0x7f, v1
	v_mov_b32_e32 v45, 0x7c010000
	s_mov_b32 s42, exec_lo
	v_cmpx_ne_u32_e32 0x7f, v47
	s_cbranch_execz .LBB255_143
; %bb.140:                              ;   in Loop: Header=BB255_12 Depth=1
	v_and_b32_e32 v9, 7, v1
	v_lshrrev_b32_e32 v45, 3, v47
	s_mov_b32 s43, exec_lo
	v_cmpx_gt_u32_e32 8, v47
; %bb.141:                              ;   in Loop: Header=BB255_12 Depth=1
	v_ffbh_u32_e32 v9, v9
	v_min_u32_e32 v9, 32, v9
	v_subrev_nc_u32_e32 v45, 28, v9
	v_lshlrev_b64 v[47:48], v45, v[1:2]
	v_sub_nc_u32_e32 v45, 29, v9
	v_and_b32_e32 v9, 7, v47
; %bb.142:                              ;   in Loop: Header=BB255_12 Depth=1
	s_or_b32 exec_lo, exec_lo, s43
	v_lshlrev_b32_e32 v1, 8, v1
	v_lshl_add_u32 v45, v45, 10, 0x2000
	v_lshlrev_b32_e32 v9, 23, v9
	v_and_or_b32 v1, 0x8000, v1, v45
	v_lshl_or_b32 v45, v1, 16, v9
.LBB255_143:                            ;   in Loop: Header=BB255_12 Depth=1
	s_or_b32 exec_lo, exec_lo, s42
.LBB255_144:                            ;   in Loop: Header=BB255_12 Depth=1
	s_or_b32 exec_lo, exec_lo, s41
.LBB255_145:                            ;   in Loop: Header=BB255_12 Depth=1
	s_or_b32 exec_lo, exec_lo, s40
	global_load_dword v9, v[7:8], off offset:512
	v_mov_b32_e32 v47, 0
	v_mov_b32_e32 v48, 0
	s_waitcnt vmcnt(0)
	v_cmp_ne_u16_sdwa s2, v9, v2 src0_sel:BYTE_0 src1_sel:DWORD
	s_and_saveexec_b32 s40, s2
	s_cbranch_execz .LBB255_153
; %bb.146:                              ;   in Loop: Header=BB255_12 Depth=1
	v_cmp_ne_u16_sdwa s2, v9, v22 src0_sel:BYTE_0 src1_sel:DWORD
	v_mov_b32_e32 v48, 0x8000
	s_and_saveexec_b32 s41, s2
	s_cbranch_execz .LBB255_152
; %bb.147:                              ;   in Loop: Header=BB255_12 Depth=1
	v_and_b32_e32 v49, 0x7f, v9
	v_mov_b32_e32 v48, 0x7c01
	s_mov_b32 s42, exec_lo
	v_cmpx_ne_u32_e32 0x7f, v49
	s_cbranch_execz .LBB255_151
; %bb.148:                              ;   in Loop: Header=BB255_12 Depth=1
	v_and_b32_e32 v1, 7, v9
	v_lshrrev_b32_e32 v48, 3, v49
	s_mov_b32 s43, exec_lo
	v_cmpx_gt_u32_e32 8, v49
; %bb.149:                              ;   in Loop: Header=BB255_12 Depth=1
	v_ffbh_u32_e32 v1, v1
	v_min_u32_e32 v1, 32, v1
	v_subrev_nc_u32_e32 v48, 28, v1
	v_lshlrev_b64 v[49:50], v48, v[9:10]
	v_sub_nc_u32_e32 v48, 29, v1
	v_and_b32_e32 v1, 7, v49
; %bb.150:                              ;   in Loop: Header=BB255_12 Depth=1
	s_or_b32 exec_lo, exec_lo, s43
	v_lshlrev_b32_e32 v49, 8, v9
	v_lshl_add_u32 v48, v48, 10, 0x2000
	v_lshlrev_b32_e32 v1, 7, v1
	v_and_b32_e32 v49, 0x8000, v49
	v_and_b32_e32 v48, 0xfc00, v48
	v_or3_b32 v48, v49, v48, v1
.LBB255_151:                            ;   in Loop: Header=BB255_12 Depth=1
	s_or_b32 exec_lo, exec_lo, s42
.LBB255_152:                            ;   in Loop: Header=BB255_12 Depth=1
	s_or_b32 exec_lo, exec_lo, s41
.LBB255_153:                            ;   in Loop: Header=BB255_12 Depth=1
	s_or_b32 exec_lo, exec_lo, s40
	v_lshrrev_b16 v1, 8, v9
	s_mov_b32 s40, exec_lo
	v_cmpx_ne_u16_e32 0, v1
	s_cbranch_execz .LBB255_161
; %bb.154:                              ;   in Loop: Header=BB255_12 Depth=1
	v_bfrev_b32_e32 v47, 1
	s_mov_b32 s41, exec_lo
	v_cmpx_ne_u16_e32 0x80, v1
	s_cbranch_execz .LBB255_160
; %bb.155:                              ;   in Loop: Header=BB255_12 Depth=1
	v_and_b32_sdwa v50, v1, v23 dst_sel:DWORD dst_unused:UNUSED_PAD src0_sel:WORD_0 src1_sel:DWORD
	v_mov_b32_e32 v47, 0x7c010000
	s_mov_b32 s42, exec_lo
	v_cmpx_ne_u32_e32 0x7f, v50
	s_cbranch_execz .LBB255_159
; %bb.156:                              ;   in Loop: Header=BB255_12 Depth=1
	v_and_b32_sdwa v47, v1, v24 dst_sel:DWORD dst_unused:UNUSED_PAD src0_sel:WORD_0 src1_sel:DWORD
	v_lshrrev_b32_e32 v49, 3, v50
	s_mov_b32 s43, exec_lo
	v_cmpx_gt_u32_e32 8, v50
; %bb.157:                              ;   in Loop: Header=BB255_12 Depth=1
	v_ffbh_u32_e32 v47, v47
	v_min_u32_e32 v47, 32, v47
	v_subrev_nc_u32_e32 v49, 28, v47
	v_lshlrev_b64 v[50:51], v49, v[1:2]
	v_sub_nc_u32_e32 v49, 29, v47
	v_and_b32_e32 v47, 7, v50
; %bb.158:                              ;   in Loop: Header=BB255_12 Depth=1
	s_or_b32 exec_lo, exec_lo, s43
	v_lshlrev_b32_sdwa v1, v25, v1 dst_sel:DWORD dst_unused:UNUSED_PAD src0_sel:DWORD src1_sel:WORD_0
	v_lshl_add_u32 v49, v49, 10, 0x2000
	v_lshlrev_b32_e32 v47, 23, v47
	v_and_or_b32 v1, 0x8000, v1, v49
	v_lshl_or_b32 v47, v1, 16, v47
.LBB255_159:                            ;   in Loop: Header=BB255_12 Depth=1
	s_or_b32 exec_lo, exec_lo, s42
.LBB255_160:                            ;   in Loop: Header=BB255_12 Depth=1
	s_or_b32 exec_lo, exec_lo, s41
.LBB255_161:                            ;   in Loop: Header=BB255_12 Depth=1
	s_or_b32 exec_lo, exec_lo, s40
	v_lshrrev_b32_e32 v1, 16, v9
	v_mov_b32_e32 v49, 0
	v_mov_b32_e32 v50, 0
	v_cmp_ne_u16_sdwa s2, v1, v2 src0_sel:BYTE_0 src1_sel:DWORD
	s_and_saveexec_b32 s40, s2
	s_cbranch_execz .LBB255_169
; %bb.162:                              ;   in Loop: Header=BB255_12 Depth=1
	v_cmp_ne_u16_sdwa s2, v1, v22 src0_sel:BYTE_0 src1_sel:DWORD
	v_mov_b32_e32 v50, 0x8000
	s_and_saveexec_b32 s41, s2
	s_cbranch_execz .LBB255_168
; %bb.163:                              ;   in Loop: Header=BB255_12 Depth=1
	v_bfe_u32 v52, v9, 16, 7
	v_mov_b32_e32 v50, 0x7c01
	s_mov_b32 s42, exec_lo
	v_cmpx_ne_u32_e32 0x7f, v52
	s_cbranch_execz .LBB255_167
; %bb.164:                              ;   in Loop: Header=BB255_12 Depth=1
	v_and_b32_e32 v50, 7, v1
	v_lshrrev_b32_e32 v51, 3, v52
	s_mov_b32 s43, exec_lo
	v_cmpx_gt_u32_e32 8, v52
; %bb.165:                              ;   in Loop: Header=BB255_12 Depth=1
	v_ffbh_u32_e32 v50, v50
	v_min_u32_e32 v52, 32, v50
	v_subrev_nc_u32_e32 v50, 28, v52
	v_lshlrev_b64 v[50:51], v50, v[1:2]
	v_sub_nc_u32_e32 v51, 29, v52
	v_and_b32_e32 v50, 7, v50
; %bb.166:                              ;   in Loop: Header=BB255_12 Depth=1
	s_or_b32 exec_lo, exec_lo, s43
	v_lshlrev_b32_e32 v1, 8, v1
	v_lshl_add_u32 v51, v51, 10, 0x2000
	v_lshlrev_b32_e32 v50, 7, v50
	v_and_b32_e32 v1, 0x8000, v1
	v_and_b32_e32 v51, 0xfc00, v51
	v_or3_b32 v50, v1, v51, v50
.LBB255_167:                            ;   in Loop: Header=BB255_12 Depth=1
	s_or_b32 exec_lo, exec_lo, s42
.LBB255_168:                            ;   in Loop: Header=BB255_12 Depth=1
	s_or_b32 exec_lo, exec_lo, s41
.LBB255_169:                            ;   in Loop: Header=BB255_12 Depth=1
	s_or_b32 exec_lo, exec_lo, s40
	s_mov_b32 s40, exec_lo
	v_cmpx_lt_u32_e32 0xffffff, v9
	s_cbranch_execz .LBB255_177
; %bb.170:                              ;   in Loop: Header=BB255_12 Depth=1
	v_lshrrev_b32_e32 v1, 24, v9
	v_bfrev_b32_e32 v49, 1
	s_mov_b32 s41, exec_lo
	v_cmpx_ne_u32_e32 0x80, v1
	s_cbranch_execz .LBB255_176
; %bb.171:                              ;   in Loop: Header=BB255_12 Depth=1
	v_and_b32_e32 v51, 0x7f, v1
	v_mov_b32_e32 v49, 0x7c010000
	s_mov_b32 s42, exec_lo
	v_cmpx_ne_u32_e32 0x7f, v51
	s_cbranch_execz .LBB255_175
; %bb.172:                              ;   in Loop: Header=BB255_12 Depth=1
	v_and_b32_e32 v9, 7, v1
	v_lshrrev_b32_e32 v49, 3, v51
	s_mov_b32 s43, exec_lo
	v_cmpx_gt_u32_e32 8, v51
; %bb.173:                              ;   in Loop: Header=BB255_12 Depth=1
	v_ffbh_u32_e32 v9, v9
	v_min_u32_e32 v9, 32, v9
	v_subrev_nc_u32_e32 v49, 28, v9
	v_lshlrev_b64 v[51:52], v49, v[1:2]
	v_sub_nc_u32_e32 v49, 29, v9
	v_and_b32_e32 v9, 7, v51
; %bb.174:                              ;   in Loop: Header=BB255_12 Depth=1
	s_or_b32 exec_lo, exec_lo, s43
	v_lshlrev_b32_e32 v1, 8, v1
	v_lshl_add_u32 v49, v49, 10, 0x2000
	v_lshlrev_b32_e32 v9, 23, v9
	v_and_or_b32 v1, 0x8000, v1, v49
	v_lshl_or_b32 v49, v1, 16, v9
.LBB255_175:                            ;   in Loop: Header=BB255_12 Depth=1
	s_or_b32 exec_lo, exec_lo, s42
.LBB255_176:                            ;   in Loop: Header=BB255_12 Depth=1
	s_or_b32 exec_lo, exec_lo, s41
.LBB255_177:                            ;   in Loop: Header=BB255_12 Depth=1
	s_or_b32 exec_lo, exec_lo, s40
	global_load_dword v9, v[7:8], off offset:520
	v_mov_b32_e32 v51, 0
	v_mov_b32_e32 v52, 0
	s_waitcnt vmcnt(0)
	v_cmp_ne_u16_sdwa s2, v9, v2 src0_sel:BYTE_0 src1_sel:DWORD
	s_and_saveexec_b32 s40, s2
	s_cbranch_execz .LBB255_185
; %bb.178:                              ;   in Loop: Header=BB255_12 Depth=1
	v_cmp_ne_u16_sdwa s2, v9, v22 src0_sel:BYTE_0 src1_sel:DWORD
	v_mov_b32_e32 v52, 0x8000
	s_and_saveexec_b32 s41, s2
	s_cbranch_execz .LBB255_184
; %bb.179:                              ;   in Loop: Header=BB255_12 Depth=1
	v_and_b32_e32 v53, 0x7f, v9
	v_mov_b32_e32 v52, 0x7c01
	s_mov_b32 s42, exec_lo
	v_cmpx_ne_u32_e32 0x7f, v53
	s_cbranch_execz .LBB255_183
; %bb.180:                              ;   in Loop: Header=BB255_12 Depth=1
	v_and_b32_e32 v1, 7, v9
	v_lshrrev_b32_e32 v52, 3, v53
	s_mov_b32 s43, exec_lo
	v_cmpx_gt_u32_e32 8, v53
; %bb.181:                              ;   in Loop: Header=BB255_12 Depth=1
	v_ffbh_u32_e32 v1, v1
	v_min_u32_e32 v1, 32, v1
	v_subrev_nc_u32_e32 v52, 28, v1
	v_lshlrev_b64 v[53:54], v52, v[9:10]
	v_sub_nc_u32_e32 v52, 29, v1
	v_and_b32_e32 v1, 7, v53
; %bb.182:                              ;   in Loop: Header=BB255_12 Depth=1
	s_or_b32 exec_lo, exec_lo, s43
	v_lshlrev_b32_e32 v53, 8, v9
	v_lshl_add_u32 v52, v52, 10, 0x2000
	v_lshlrev_b32_e32 v1, 7, v1
	v_and_b32_e32 v53, 0x8000, v53
	v_and_b32_e32 v52, 0xfc00, v52
	v_or3_b32 v52, v53, v52, v1
.LBB255_183:                            ;   in Loop: Header=BB255_12 Depth=1
	s_or_b32 exec_lo, exec_lo, s42
.LBB255_184:                            ;   in Loop: Header=BB255_12 Depth=1
	s_or_b32 exec_lo, exec_lo, s41
.LBB255_185:                            ;   in Loop: Header=BB255_12 Depth=1
	s_or_b32 exec_lo, exec_lo, s40
	v_lshrrev_b16 v1, 8, v9
	s_mov_b32 s40, exec_lo
	v_cmpx_ne_u16_e32 0, v1
	s_cbranch_execz .LBB255_193
; %bb.186:                              ;   in Loop: Header=BB255_12 Depth=1
	v_bfrev_b32_e32 v51, 1
	s_mov_b32 s41, exec_lo
	v_cmpx_ne_u16_e32 0x80, v1
	s_cbranch_execz .LBB255_192
; %bb.187:                              ;   in Loop: Header=BB255_12 Depth=1
	v_and_b32_sdwa v54, v1, v23 dst_sel:DWORD dst_unused:UNUSED_PAD src0_sel:WORD_0 src1_sel:DWORD
	v_mov_b32_e32 v51, 0x7c010000
	s_mov_b32 s42, exec_lo
	v_cmpx_ne_u32_e32 0x7f, v54
	s_cbranch_execz .LBB255_191
; %bb.188:                              ;   in Loop: Header=BB255_12 Depth=1
	v_and_b32_sdwa v51, v1, v24 dst_sel:DWORD dst_unused:UNUSED_PAD src0_sel:WORD_0 src1_sel:DWORD
	v_lshrrev_b32_e32 v53, 3, v54
	s_mov_b32 s43, exec_lo
	v_cmpx_gt_u32_e32 8, v54
; %bb.189:                              ;   in Loop: Header=BB255_12 Depth=1
	v_ffbh_u32_e32 v51, v51
	v_min_u32_e32 v51, 32, v51
	v_subrev_nc_u32_e32 v53, 28, v51
	v_lshlrev_b64 v[54:55], v53, v[1:2]
	v_sub_nc_u32_e32 v53, 29, v51
	v_and_b32_e32 v51, 7, v54
; %bb.190:                              ;   in Loop: Header=BB255_12 Depth=1
	s_or_b32 exec_lo, exec_lo, s43
	v_lshlrev_b32_sdwa v1, v25, v1 dst_sel:DWORD dst_unused:UNUSED_PAD src0_sel:DWORD src1_sel:WORD_0
	v_lshl_add_u32 v53, v53, 10, 0x2000
	v_lshlrev_b32_e32 v51, 23, v51
	v_and_or_b32 v1, 0x8000, v1, v53
	v_lshl_or_b32 v51, v1, 16, v51
.LBB255_191:                            ;   in Loop: Header=BB255_12 Depth=1
	s_or_b32 exec_lo, exec_lo, s42
.LBB255_192:                            ;   in Loop: Header=BB255_12 Depth=1
	s_or_b32 exec_lo, exec_lo, s41
.LBB255_193:                            ;   in Loop: Header=BB255_12 Depth=1
	s_or_b32 exec_lo, exec_lo, s40
	v_lshrrev_b32_e32 v1, 16, v9
	v_mov_b32_e32 v53, 0
	v_mov_b32_e32 v54, 0
	v_cmp_ne_u16_sdwa s2, v1, v2 src0_sel:BYTE_0 src1_sel:DWORD
	s_and_saveexec_b32 s40, s2
	s_cbranch_execz .LBB255_201
; %bb.194:                              ;   in Loop: Header=BB255_12 Depth=1
	v_cmp_ne_u16_sdwa s2, v1, v22 src0_sel:BYTE_0 src1_sel:DWORD
	v_mov_b32_e32 v54, 0x8000
	s_and_saveexec_b32 s41, s2
	s_cbranch_execz .LBB255_200
; %bb.195:                              ;   in Loop: Header=BB255_12 Depth=1
	v_bfe_u32 v56, v9, 16, 7
	v_mov_b32_e32 v54, 0x7c01
	s_mov_b32 s42, exec_lo
	v_cmpx_ne_u32_e32 0x7f, v56
	s_cbranch_execz .LBB255_199
; %bb.196:                              ;   in Loop: Header=BB255_12 Depth=1
	v_and_b32_e32 v54, 7, v1
	v_lshrrev_b32_e32 v55, 3, v56
	s_mov_b32 s43, exec_lo
	v_cmpx_gt_u32_e32 8, v56
; %bb.197:                              ;   in Loop: Header=BB255_12 Depth=1
	v_ffbh_u32_e32 v54, v54
	v_min_u32_e32 v56, 32, v54
	v_subrev_nc_u32_e32 v54, 28, v56
	v_lshlrev_b64 v[54:55], v54, v[1:2]
	v_sub_nc_u32_e32 v55, 29, v56
	v_and_b32_e32 v54, 7, v54
; %bb.198:                              ;   in Loop: Header=BB255_12 Depth=1
	s_or_b32 exec_lo, exec_lo, s43
	v_lshlrev_b32_e32 v1, 8, v1
	v_lshl_add_u32 v55, v55, 10, 0x2000
	v_lshlrev_b32_e32 v54, 7, v54
	v_and_b32_e32 v1, 0x8000, v1
	v_and_b32_e32 v55, 0xfc00, v55
	v_or3_b32 v54, v1, v55, v54
.LBB255_199:                            ;   in Loop: Header=BB255_12 Depth=1
	s_or_b32 exec_lo, exec_lo, s42
.LBB255_200:                            ;   in Loop: Header=BB255_12 Depth=1
	s_or_b32 exec_lo, exec_lo, s41
.LBB255_201:                            ;   in Loop: Header=BB255_12 Depth=1
	s_or_b32 exec_lo, exec_lo, s40
	s_mov_b32 s40, exec_lo
	v_cmpx_lt_u32_e32 0xffffff, v9
	s_cbranch_execz .LBB255_209
; %bb.202:                              ;   in Loop: Header=BB255_12 Depth=1
	v_lshrrev_b32_e32 v1, 24, v9
	v_bfrev_b32_e32 v53, 1
	s_mov_b32 s41, exec_lo
	v_cmpx_ne_u32_e32 0x80, v1
	s_cbranch_execz .LBB255_208
; %bb.203:                              ;   in Loop: Header=BB255_12 Depth=1
	v_and_b32_e32 v55, 0x7f, v1
	v_mov_b32_e32 v53, 0x7c010000
	s_mov_b32 s42, exec_lo
	v_cmpx_ne_u32_e32 0x7f, v55
	s_cbranch_execz .LBB255_207
; %bb.204:                              ;   in Loop: Header=BB255_12 Depth=1
	v_and_b32_e32 v9, 7, v1
	v_lshrrev_b32_e32 v53, 3, v55
	s_mov_b32 s43, exec_lo
	v_cmpx_gt_u32_e32 8, v55
; %bb.205:                              ;   in Loop: Header=BB255_12 Depth=1
	v_ffbh_u32_e32 v9, v9
	v_min_u32_e32 v9, 32, v9
	v_subrev_nc_u32_e32 v53, 28, v9
	v_lshlrev_b64 v[55:56], v53, v[1:2]
	v_sub_nc_u32_e32 v53, 29, v9
	v_and_b32_e32 v9, 7, v55
; %bb.206:                              ;   in Loop: Header=BB255_12 Depth=1
	s_or_b32 exec_lo, exec_lo, s43
	v_lshlrev_b32_e32 v1, 8, v1
	v_lshl_add_u32 v53, v53, 10, 0x2000
	v_lshlrev_b32_e32 v9, 23, v9
	v_and_or_b32 v1, 0x8000, v1, v53
	v_lshl_or_b32 v53, v1, 16, v9
.LBB255_207:                            ;   in Loop: Header=BB255_12 Depth=1
	s_or_b32 exec_lo, exec_lo, s42
.LBB255_208:                            ;   in Loop: Header=BB255_12 Depth=1
	s_or_b32 exec_lo, exec_lo, s41
.LBB255_209:                            ;   in Loop: Header=BB255_12 Depth=1
	s_or_b32 exec_lo, exec_lo, s40
	global_load_dword v9, v[7:8], off offset:768
	v_mov_b32_e32 v55, 0
	v_mov_b32_e32 v56, 0
	s_waitcnt vmcnt(0)
	v_cmp_ne_u16_sdwa s2, v9, v2 src0_sel:BYTE_0 src1_sel:DWORD
	s_and_saveexec_b32 s40, s2
	s_cbranch_execz .LBB255_217
; %bb.210:                              ;   in Loop: Header=BB255_12 Depth=1
	v_cmp_ne_u16_sdwa s2, v9, v22 src0_sel:BYTE_0 src1_sel:DWORD
	v_mov_b32_e32 v56, 0x8000
	s_and_saveexec_b32 s41, s2
	s_cbranch_execz .LBB255_216
; %bb.211:                              ;   in Loop: Header=BB255_12 Depth=1
	v_and_b32_e32 v57, 0x7f, v9
	v_mov_b32_e32 v56, 0x7c01
	s_mov_b32 s42, exec_lo
	v_cmpx_ne_u32_e32 0x7f, v57
	s_cbranch_execz .LBB255_215
; %bb.212:                              ;   in Loop: Header=BB255_12 Depth=1
	v_and_b32_e32 v1, 7, v9
	v_lshrrev_b32_e32 v56, 3, v57
	s_mov_b32 s43, exec_lo
	v_cmpx_gt_u32_e32 8, v57
; %bb.213:                              ;   in Loop: Header=BB255_12 Depth=1
	v_ffbh_u32_e32 v1, v1
	v_min_u32_e32 v1, 32, v1
	v_subrev_nc_u32_e32 v56, 28, v1
	v_lshlrev_b64 v[57:58], v56, v[9:10]
	v_sub_nc_u32_e32 v56, 29, v1
	v_and_b32_e32 v1, 7, v57
; %bb.214:                              ;   in Loop: Header=BB255_12 Depth=1
	s_or_b32 exec_lo, exec_lo, s43
	v_lshlrev_b32_e32 v57, 8, v9
	v_lshl_add_u32 v56, v56, 10, 0x2000
	v_lshlrev_b32_e32 v1, 7, v1
	v_and_b32_e32 v57, 0x8000, v57
	v_and_b32_e32 v56, 0xfc00, v56
	v_or3_b32 v56, v57, v56, v1
.LBB255_215:                            ;   in Loop: Header=BB255_12 Depth=1
	s_or_b32 exec_lo, exec_lo, s42
.LBB255_216:                            ;   in Loop: Header=BB255_12 Depth=1
	s_or_b32 exec_lo, exec_lo, s41
.LBB255_217:                            ;   in Loop: Header=BB255_12 Depth=1
	s_or_b32 exec_lo, exec_lo, s40
	v_lshrrev_b16 v1, 8, v9
	s_mov_b32 s40, exec_lo
	v_cmpx_ne_u16_e32 0, v1
	s_cbranch_execz .LBB255_225
; %bb.218:                              ;   in Loop: Header=BB255_12 Depth=1
	v_bfrev_b32_e32 v55, 1
	s_mov_b32 s41, exec_lo
	v_cmpx_ne_u16_e32 0x80, v1
	s_cbranch_execz .LBB255_224
; %bb.219:                              ;   in Loop: Header=BB255_12 Depth=1
	v_and_b32_sdwa v58, v1, v23 dst_sel:DWORD dst_unused:UNUSED_PAD src0_sel:WORD_0 src1_sel:DWORD
	v_mov_b32_e32 v55, 0x7c010000
	s_mov_b32 s42, exec_lo
	v_cmpx_ne_u32_e32 0x7f, v58
	s_cbranch_execz .LBB255_223
; %bb.220:                              ;   in Loop: Header=BB255_12 Depth=1
	v_and_b32_sdwa v55, v1, v24 dst_sel:DWORD dst_unused:UNUSED_PAD src0_sel:WORD_0 src1_sel:DWORD
	v_lshrrev_b32_e32 v57, 3, v58
	s_mov_b32 s43, exec_lo
	v_cmpx_gt_u32_e32 8, v58
; %bb.221:                              ;   in Loop: Header=BB255_12 Depth=1
	v_ffbh_u32_e32 v55, v55
	v_min_u32_e32 v55, 32, v55
	v_subrev_nc_u32_e32 v57, 28, v55
	v_lshlrev_b64 v[58:59], v57, v[1:2]
	v_sub_nc_u32_e32 v57, 29, v55
	v_and_b32_e32 v55, 7, v58
; %bb.222:                              ;   in Loop: Header=BB255_12 Depth=1
	s_or_b32 exec_lo, exec_lo, s43
	v_lshlrev_b32_sdwa v1, v25, v1 dst_sel:DWORD dst_unused:UNUSED_PAD src0_sel:DWORD src1_sel:WORD_0
	v_lshl_add_u32 v57, v57, 10, 0x2000
	v_lshlrev_b32_e32 v55, 23, v55
	v_and_or_b32 v1, 0x8000, v1, v57
	v_lshl_or_b32 v55, v1, 16, v55
.LBB255_223:                            ;   in Loop: Header=BB255_12 Depth=1
	s_or_b32 exec_lo, exec_lo, s42
.LBB255_224:                            ;   in Loop: Header=BB255_12 Depth=1
	s_or_b32 exec_lo, exec_lo, s41
.LBB255_225:                            ;   in Loop: Header=BB255_12 Depth=1
	s_or_b32 exec_lo, exec_lo, s40
	v_lshrrev_b32_e32 v1, 16, v9
	v_mov_b32_e32 v57, 0
	v_mov_b32_e32 v58, 0
	v_cmp_ne_u16_sdwa s2, v1, v2 src0_sel:BYTE_0 src1_sel:DWORD
	s_and_saveexec_b32 s40, s2
	s_cbranch_execz .LBB255_233
; %bb.226:                              ;   in Loop: Header=BB255_12 Depth=1
	v_cmp_ne_u16_sdwa s2, v1, v22 src0_sel:BYTE_0 src1_sel:DWORD
	v_mov_b32_e32 v58, 0x8000
	s_and_saveexec_b32 s41, s2
	s_cbranch_execz .LBB255_232
; %bb.227:                              ;   in Loop: Header=BB255_12 Depth=1
	v_bfe_u32 v60, v9, 16, 7
	v_mov_b32_e32 v58, 0x7c01
	s_mov_b32 s42, exec_lo
	v_cmpx_ne_u32_e32 0x7f, v60
	s_cbranch_execz .LBB255_231
; %bb.228:                              ;   in Loop: Header=BB255_12 Depth=1
	v_and_b32_e32 v58, 7, v1
	v_lshrrev_b32_e32 v59, 3, v60
	s_mov_b32 s43, exec_lo
	v_cmpx_gt_u32_e32 8, v60
; %bb.229:                              ;   in Loop: Header=BB255_12 Depth=1
	v_ffbh_u32_e32 v58, v58
	v_min_u32_e32 v60, 32, v58
	v_subrev_nc_u32_e32 v58, 28, v60
	v_lshlrev_b64 v[58:59], v58, v[1:2]
	v_sub_nc_u32_e32 v59, 29, v60
	v_and_b32_e32 v58, 7, v58
; %bb.230:                              ;   in Loop: Header=BB255_12 Depth=1
	s_or_b32 exec_lo, exec_lo, s43
	v_lshlrev_b32_e32 v1, 8, v1
	v_lshl_add_u32 v59, v59, 10, 0x2000
	v_lshlrev_b32_e32 v58, 7, v58
	v_and_b32_e32 v1, 0x8000, v1
	v_and_b32_e32 v59, 0xfc00, v59
	v_or3_b32 v58, v1, v59, v58
.LBB255_231:                            ;   in Loop: Header=BB255_12 Depth=1
	s_or_b32 exec_lo, exec_lo, s42
.LBB255_232:                            ;   in Loop: Header=BB255_12 Depth=1
	s_or_b32 exec_lo, exec_lo, s41
.LBB255_233:                            ;   in Loop: Header=BB255_12 Depth=1
	s_or_b32 exec_lo, exec_lo, s40
	s_mov_b32 s40, exec_lo
	v_cmpx_lt_u32_e32 0xffffff, v9
	s_cbranch_execz .LBB255_241
; %bb.234:                              ;   in Loop: Header=BB255_12 Depth=1
	v_lshrrev_b32_e32 v1, 24, v9
	v_bfrev_b32_e32 v57, 1
	s_mov_b32 s41, exec_lo
	v_cmpx_ne_u32_e32 0x80, v1
	s_cbranch_execz .LBB255_240
; %bb.235:                              ;   in Loop: Header=BB255_12 Depth=1
	v_and_b32_e32 v59, 0x7f, v1
	v_mov_b32_e32 v57, 0x7c010000
	s_mov_b32 s42, exec_lo
	v_cmpx_ne_u32_e32 0x7f, v59
	s_cbranch_execz .LBB255_239
; %bb.236:                              ;   in Loop: Header=BB255_12 Depth=1
	v_and_b32_e32 v9, 7, v1
	v_lshrrev_b32_e32 v57, 3, v59
	s_mov_b32 s43, exec_lo
	v_cmpx_gt_u32_e32 8, v59
; %bb.237:                              ;   in Loop: Header=BB255_12 Depth=1
	v_ffbh_u32_e32 v9, v9
	v_min_u32_e32 v9, 32, v9
	v_subrev_nc_u32_e32 v57, 28, v9
	v_lshlrev_b64 v[59:60], v57, v[1:2]
	v_sub_nc_u32_e32 v57, 29, v9
	v_and_b32_e32 v9, 7, v59
; %bb.238:                              ;   in Loop: Header=BB255_12 Depth=1
	s_or_b32 exec_lo, exec_lo, s43
	v_lshlrev_b32_e32 v1, 8, v1
	v_lshl_add_u32 v57, v57, 10, 0x2000
	v_lshlrev_b32_e32 v9, 23, v9
	v_and_or_b32 v1, 0x8000, v1, v57
	v_lshl_or_b32 v57, v1, 16, v9
.LBB255_239:                            ;   in Loop: Header=BB255_12 Depth=1
	s_or_b32 exec_lo, exec_lo, s42
.LBB255_240:                            ;   in Loop: Header=BB255_12 Depth=1
	s_or_b32 exec_lo, exec_lo, s41
.LBB255_241:                            ;   in Loop: Header=BB255_12 Depth=1
	s_or_b32 exec_lo, exec_lo, s40
	global_load_dword v9, v[7:8], off offset:776
	v_mov_b32_e32 v59, 0
	v_mov_b32_e32 v60, 0
	s_waitcnt vmcnt(0)
	v_cmp_ne_u16_sdwa s2, v9, v2 src0_sel:BYTE_0 src1_sel:DWORD
	s_and_saveexec_b32 s40, s2
	s_cbranch_execz .LBB255_249
; %bb.242:                              ;   in Loop: Header=BB255_12 Depth=1
	v_cmp_ne_u16_sdwa s2, v9, v22 src0_sel:BYTE_0 src1_sel:DWORD
	v_mov_b32_e32 v60, 0x8000
	s_and_saveexec_b32 s41, s2
	s_cbranch_execz .LBB255_248
; %bb.243:                              ;   in Loop: Header=BB255_12 Depth=1
	v_and_b32_e32 v61, 0x7f, v9
	v_mov_b32_e32 v60, 0x7c01
	s_mov_b32 s42, exec_lo
	v_cmpx_ne_u32_e32 0x7f, v61
	s_cbranch_execz .LBB255_247
; %bb.244:                              ;   in Loop: Header=BB255_12 Depth=1
	v_and_b32_e32 v1, 7, v9
	v_lshrrev_b32_e32 v60, 3, v61
	s_mov_b32 s43, exec_lo
	v_cmpx_gt_u32_e32 8, v61
; %bb.245:                              ;   in Loop: Header=BB255_12 Depth=1
	v_ffbh_u32_e32 v1, v1
	v_min_u32_e32 v1, 32, v1
	v_subrev_nc_u32_e32 v60, 28, v1
	v_lshlrev_b64 v[61:62], v60, v[9:10]
	v_sub_nc_u32_e32 v60, 29, v1
	v_and_b32_e32 v1, 7, v61
; %bb.246:                              ;   in Loop: Header=BB255_12 Depth=1
	s_or_b32 exec_lo, exec_lo, s43
	v_lshlrev_b32_e32 v61, 8, v9
	v_lshl_add_u32 v60, v60, 10, 0x2000
	v_lshlrev_b32_e32 v1, 7, v1
	v_and_b32_e32 v61, 0x8000, v61
	v_and_b32_e32 v60, 0xfc00, v60
	v_or3_b32 v60, v61, v60, v1
.LBB255_247:                            ;   in Loop: Header=BB255_12 Depth=1
	s_or_b32 exec_lo, exec_lo, s42
.LBB255_248:                            ;   in Loop: Header=BB255_12 Depth=1
	s_or_b32 exec_lo, exec_lo, s41
.LBB255_249:                            ;   in Loop: Header=BB255_12 Depth=1
	s_or_b32 exec_lo, exec_lo, s40
	v_lshrrev_b16 v1, 8, v9
	s_mov_b32 s40, exec_lo
	v_cmpx_ne_u16_e32 0, v1
	s_cbranch_execz .LBB255_257
; %bb.250:                              ;   in Loop: Header=BB255_12 Depth=1
	v_bfrev_b32_e32 v59, 1
	s_mov_b32 s41, exec_lo
	v_cmpx_ne_u16_e32 0x80, v1
	s_cbranch_execz .LBB255_256
; %bb.251:                              ;   in Loop: Header=BB255_12 Depth=1
	v_and_b32_sdwa v62, v1, v23 dst_sel:DWORD dst_unused:UNUSED_PAD src0_sel:WORD_0 src1_sel:DWORD
	v_mov_b32_e32 v59, 0x7c010000
	s_mov_b32 s42, exec_lo
	v_cmpx_ne_u32_e32 0x7f, v62
	s_cbranch_execz .LBB255_255
; %bb.252:                              ;   in Loop: Header=BB255_12 Depth=1
	v_and_b32_sdwa v59, v1, v24 dst_sel:DWORD dst_unused:UNUSED_PAD src0_sel:WORD_0 src1_sel:DWORD
	v_lshrrev_b32_e32 v61, 3, v62
	s_mov_b32 s43, exec_lo
	v_cmpx_gt_u32_e32 8, v62
; %bb.253:                              ;   in Loop: Header=BB255_12 Depth=1
	v_ffbh_u32_e32 v59, v59
	v_min_u32_e32 v59, 32, v59
	v_subrev_nc_u32_e32 v61, 28, v59
	v_lshlrev_b64 v[62:63], v61, v[1:2]
	v_sub_nc_u32_e32 v61, 29, v59
	v_and_b32_e32 v59, 7, v62
; %bb.254:                              ;   in Loop: Header=BB255_12 Depth=1
	s_or_b32 exec_lo, exec_lo, s43
	v_lshlrev_b32_sdwa v1, v25, v1 dst_sel:DWORD dst_unused:UNUSED_PAD src0_sel:DWORD src1_sel:WORD_0
	v_lshl_add_u32 v61, v61, 10, 0x2000
	v_lshlrev_b32_e32 v59, 23, v59
	v_and_or_b32 v1, 0x8000, v1, v61
	v_lshl_or_b32 v59, v1, 16, v59
.LBB255_255:                            ;   in Loop: Header=BB255_12 Depth=1
	s_or_b32 exec_lo, exec_lo, s42
.LBB255_256:                            ;   in Loop: Header=BB255_12 Depth=1
	s_or_b32 exec_lo, exec_lo, s41
.LBB255_257:                            ;   in Loop: Header=BB255_12 Depth=1
	s_or_b32 exec_lo, exec_lo, s40
	v_lshrrev_b32_e32 v1, 16, v9
	v_mov_b32_e32 v61, 0
	v_mov_b32_e32 v62, 0
	v_cmp_ne_u16_sdwa s2, v1, v2 src0_sel:BYTE_0 src1_sel:DWORD
	s_and_saveexec_b32 s40, s2
	s_cbranch_execz .LBB255_265
; %bb.258:                              ;   in Loop: Header=BB255_12 Depth=1
	v_cmp_ne_u16_sdwa s2, v1, v22 src0_sel:BYTE_0 src1_sel:DWORD
	v_mov_b32_e32 v62, 0x8000
	s_and_saveexec_b32 s41, s2
	s_cbranch_execz .LBB255_264
; %bb.259:                              ;   in Loop: Header=BB255_12 Depth=1
	v_bfe_u32 v64, v9, 16, 7
	v_mov_b32_e32 v62, 0x7c01
	s_mov_b32 s42, exec_lo
	v_cmpx_ne_u32_e32 0x7f, v64
	s_cbranch_execz .LBB255_263
; %bb.260:                              ;   in Loop: Header=BB255_12 Depth=1
	v_and_b32_e32 v62, 7, v1
	v_lshrrev_b32_e32 v63, 3, v64
	s_mov_b32 s43, exec_lo
	v_cmpx_gt_u32_e32 8, v64
; %bb.261:                              ;   in Loop: Header=BB255_12 Depth=1
	v_ffbh_u32_e32 v62, v62
	v_min_u32_e32 v64, 32, v62
	v_subrev_nc_u32_e32 v62, 28, v64
	v_lshlrev_b64 v[62:63], v62, v[1:2]
	v_sub_nc_u32_e32 v63, 29, v64
	v_and_b32_e32 v62, 7, v62
; %bb.262:                              ;   in Loop: Header=BB255_12 Depth=1
	s_or_b32 exec_lo, exec_lo, s43
	v_lshlrev_b32_e32 v1, 8, v1
	v_lshl_add_u32 v63, v63, 10, 0x2000
	v_lshlrev_b32_e32 v62, 7, v62
	v_and_b32_e32 v1, 0x8000, v1
	v_and_b32_e32 v63, 0xfc00, v63
	v_or3_b32 v62, v1, v63, v62
.LBB255_263:                            ;   in Loop: Header=BB255_12 Depth=1
	s_or_b32 exec_lo, exec_lo, s42
.LBB255_264:                            ;   in Loop: Header=BB255_12 Depth=1
	s_or_b32 exec_lo, exec_lo, s41
.LBB255_265:                            ;   in Loop: Header=BB255_12 Depth=1
	s_or_b32 exec_lo, exec_lo, s40
	s_mov_b32 s40, exec_lo
	v_cmpx_lt_u32_e32 0xffffff, v9
	s_cbranch_execz .LBB255_273
; %bb.266:                              ;   in Loop: Header=BB255_12 Depth=1
	v_lshrrev_b32_e32 v1, 24, v9
	v_bfrev_b32_e32 v61, 1
	s_mov_b32 s41, exec_lo
	v_cmpx_ne_u32_e32 0x80, v1
	s_cbranch_execz .LBB255_272
; %bb.267:                              ;   in Loop: Header=BB255_12 Depth=1
	v_and_b32_e32 v63, 0x7f, v1
	v_mov_b32_e32 v61, 0x7c010000
	s_mov_b32 s42, exec_lo
	v_cmpx_ne_u32_e32 0x7f, v63
	s_cbranch_execz .LBB255_271
; %bb.268:                              ;   in Loop: Header=BB255_12 Depth=1
	v_and_b32_e32 v9, 7, v1
	v_lshrrev_b32_e32 v61, 3, v63
	s_mov_b32 s43, exec_lo
	v_cmpx_gt_u32_e32 8, v63
; %bb.269:                              ;   in Loop: Header=BB255_12 Depth=1
	v_ffbh_u32_e32 v9, v9
	v_min_u32_e32 v9, 32, v9
	v_subrev_nc_u32_e32 v61, 28, v9
	v_lshlrev_b64 v[63:64], v61, v[1:2]
	v_sub_nc_u32_e32 v61, 29, v9
	v_and_b32_e32 v9, 7, v63
; %bb.270:                              ;   in Loop: Header=BB255_12 Depth=1
	s_or_b32 exec_lo, exec_lo, s43
	v_lshlrev_b32_e32 v1, 8, v1
	v_lshl_add_u32 v61, v61, 10, 0x2000
	v_lshlrev_b32_e32 v9, 23, v9
	v_and_or_b32 v1, 0x8000, v1, v61
	v_lshl_or_b32 v61, v1, 16, v9
.LBB255_271:                            ;   in Loop: Header=BB255_12 Depth=1
	s_or_b32 exec_lo, exec_lo, s42
.LBB255_272:                            ;   in Loop: Header=BB255_12 Depth=1
	s_or_b32 exec_lo, exec_lo, s41
.LBB255_273:                            ;   in Loop: Header=BB255_12 Depth=1
	s_or_b32 exec_lo, exec_lo, s40
	global_load_dword v9, v[7:8], off offset:1024
	v_mov_b32_e32 v63, 0
	v_mov_b32_e32 v64, 0
	s_waitcnt vmcnt(0)
	v_cmp_ne_u16_sdwa s2, v9, v2 src0_sel:BYTE_0 src1_sel:DWORD
	s_and_saveexec_b32 s40, s2
	s_cbranch_execz .LBB255_281
; %bb.274:                              ;   in Loop: Header=BB255_12 Depth=1
	v_cmp_ne_u16_sdwa s2, v9, v22 src0_sel:BYTE_0 src1_sel:DWORD
	v_mov_b32_e32 v64, 0x8000
	s_and_saveexec_b32 s41, s2
	s_cbranch_execz .LBB255_280
; %bb.275:                              ;   in Loop: Header=BB255_12 Depth=1
	v_and_b32_e32 v65, 0x7f, v9
	v_mov_b32_e32 v64, 0x7c01
	s_mov_b32 s42, exec_lo
	v_cmpx_ne_u32_e32 0x7f, v65
	s_cbranch_execz .LBB255_279
; %bb.276:                              ;   in Loop: Header=BB255_12 Depth=1
	v_and_b32_e32 v1, 7, v9
	v_lshrrev_b32_e32 v64, 3, v65
	s_mov_b32 s43, exec_lo
	v_cmpx_gt_u32_e32 8, v65
; %bb.277:                              ;   in Loop: Header=BB255_12 Depth=1
	v_ffbh_u32_e32 v1, v1
	v_min_u32_e32 v1, 32, v1
	v_subrev_nc_u32_e32 v64, 28, v1
	v_lshlrev_b64 v[65:66], v64, v[9:10]
	v_sub_nc_u32_e32 v64, 29, v1
	v_and_b32_e32 v1, 7, v65
; %bb.278:                              ;   in Loop: Header=BB255_12 Depth=1
	s_or_b32 exec_lo, exec_lo, s43
	v_lshlrev_b32_e32 v65, 8, v9
	v_lshl_add_u32 v64, v64, 10, 0x2000
	v_lshlrev_b32_e32 v1, 7, v1
	v_and_b32_e32 v65, 0x8000, v65
	v_and_b32_e32 v64, 0xfc00, v64
	v_or3_b32 v64, v65, v64, v1
.LBB255_279:                            ;   in Loop: Header=BB255_12 Depth=1
	s_or_b32 exec_lo, exec_lo, s42
.LBB255_280:                            ;   in Loop: Header=BB255_12 Depth=1
	s_or_b32 exec_lo, exec_lo, s41
.LBB255_281:                            ;   in Loop: Header=BB255_12 Depth=1
	s_or_b32 exec_lo, exec_lo, s40
	v_lshrrev_b16 v1, 8, v9
	s_mov_b32 s40, exec_lo
	v_cmpx_ne_u16_e32 0, v1
	s_cbranch_execz .LBB255_289
; %bb.282:                              ;   in Loop: Header=BB255_12 Depth=1
	v_bfrev_b32_e32 v63, 1
	s_mov_b32 s41, exec_lo
	v_cmpx_ne_u16_e32 0x80, v1
	s_cbranch_execz .LBB255_288
; %bb.283:                              ;   in Loop: Header=BB255_12 Depth=1
	v_and_b32_sdwa v66, v1, v23 dst_sel:DWORD dst_unused:UNUSED_PAD src0_sel:WORD_0 src1_sel:DWORD
	v_mov_b32_e32 v63, 0x7c010000
	s_mov_b32 s42, exec_lo
	v_cmpx_ne_u32_e32 0x7f, v66
	s_cbranch_execz .LBB255_287
; %bb.284:                              ;   in Loop: Header=BB255_12 Depth=1
	v_and_b32_sdwa v63, v1, v24 dst_sel:DWORD dst_unused:UNUSED_PAD src0_sel:WORD_0 src1_sel:DWORD
	v_lshrrev_b32_e32 v65, 3, v66
	s_mov_b32 s43, exec_lo
	v_cmpx_gt_u32_e32 8, v66
; %bb.285:                              ;   in Loop: Header=BB255_12 Depth=1
	v_ffbh_u32_e32 v63, v63
	v_min_u32_e32 v63, 32, v63
	v_subrev_nc_u32_e32 v65, 28, v63
	v_lshlrev_b64 v[66:67], v65, v[1:2]
	v_sub_nc_u32_e32 v65, 29, v63
	v_and_b32_e32 v63, 7, v66
; %bb.286:                              ;   in Loop: Header=BB255_12 Depth=1
	s_or_b32 exec_lo, exec_lo, s43
	v_lshlrev_b32_sdwa v1, v25, v1 dst_sel:DWORD dst_unused:UNUSED_PAD src0_sel:DWORD src1_sel:WORD_0
	v_lshl_add_u32 v65, v65, 10, 0x2000
	v_lshlrev_b32_e32 v63, 23, v63
	v_and_or_b32 v1, 0x8000, v1, v65
	v_lshl_or_b32 v63, v1, 16, v63
.LBB255_287:                            ;   in Loop: Header=BB255_12 Depth=1
	s_or_b32 exec_lo, exec_lo, s42
.LBB255_288:                            ;   in Loop: Header=BB255_12 Depth=1
	s_or_b32 exec_lo, exec_lo, s41
.LBB255_289:                            ;   in Loop: Header=BB255_12 Depth=1
	s_or_b32 exec_lo, exec_lo, s40
	v_lshrrev_b32_e32 v1, 16, v9
	v_mov_b32_e32 v65, 0
	v_mov_b32_e32 v66, 0
	v_cmp_ne_u16_sdwa s2, v1, v2 src0_sel:BYTE_0 src1_sel:DWORD
	s_and_saveexec_b32 s40, s2
	s_cbranch_execz .LBB255_297
; %bb.290:                              ;   in Loop: Header=BB255_12 Depth=1
	v_cmp_ne_u16_sdwa s2, v1, v22 src0_sel:BYTE_0 src1_sel:DWORD
	v_mov_b32_e32 v66, 0x8000
	s_and_saveexec_b32 s41, s2
	s_cbranch_execz .LBB255_296
; %bb.291:                              ;   in Loop: Header=BB255_12 Depth=1
	v_bfe_u32 v68, v9, 16, 7
	v_mov_b32_e32 v66, 0x7c01
	s_mov_b32 s42, exec_lo
	v_cmpx_ne_u32_e32 0x7f, v68
	s_cbranch_execz .LBB255_295
; %bb.292:                              ;   in Loop: Header=BB255_12 Depth=1
	v_and_b32_e32 v66, 7, v1
	v_lshrrev_b32_e32 v67, 3, v68
	s_mov_b32 s43, exec_lo
	v_cmpx_gt_u32_e32 8, v68
; %bb.293:                              ;   in Loop: Header=BB255_12 Depth=1
	v_ffbh_u32_e32 v66, v66
	v_min_u32_e32 v68, 32, v66
	v_subrev_nc_u32_e32 v66, 28, v68
	v_lshlrev_b64 v[66:67], v66, v[1:2]
	v_sub_nc_u32_e32 v67, 29, v68
	v_and_b32_e32 v66, 7, v66
; %bb.294:                              ;   in Loop: Header=BB255_12 Depth=1
	s_or_b32 exec_lo, exec_lo, s43
	v_lshlrev_b32_e32 v1, 8, v1
	v_lshl_add_u32 v67, v67, 10, 0x2000
	v_lshlrev_b32_e32 v66, 7, v66
	v_and_b32_e32 v1, 0x8000, v1
	v_and_b32_e32 v67, 0xfc00, v67
	v_or3_b32 v66, v1, v67, v66
.LBB255_295:                            ;   in Loop: Header=BB255_12 Depth=1
	s_or_b32 exec_lo, exec_lo, s42
.LBB255_296:                            ;   in Loop: Header=BB255_12 Depth=1
	s_or_b32 exec_lo, exec_lo, s41
.LBB255_297:                            ;   in Loop: Header=BB255_12 Depth=1
	s_or_b32 exec_lo, exec_lo, s40
	s_mov_b32 s40, exec_lo
	v_cmpx_lt_u32_e32 0xffffff, v9
	s_cbranch_execz .LBB255_305
; %bb.298:                              ;   in Loop: Header=BB255_12 Depth=1
	v_lshrrev_b32_e32 v1, 24, v9
	v_bfrev_b32_e32 v65, 1
	s_mov_b32 s41, exec_lo
	v_cmpx_ne_u32_e32 0x80, v1
	s_cbranch_execz .LBB255_304
; %bb.299:                              ;   in Loop: Header=BB255_12 Depth=1
	v_and_b32_e32 v67, 0x7f, v1
	v_mov_b32_e32 v65, 0x7c010000
	s_mov_b32 s42, exec_lo
	v_cmpx_ne_u32_e32 0x7f, v67
	s_cbranch_execz .LBB255_303
; %bb.300:                              ;   in Loop: Header=BB255_12 Depth=1
	v_and_b32_e32 v9, 7, v1
	v_lshrrev_b32_e32 v65, 3, v67
	s_mov_b32 s43, exec_lo
	v_cmpx_gt_u32_e32 8, v67
; %bb.301:                              ;   in Loop: Header=BB255_12 Depth=1
	v_ffbh_u32_e32 v9, v9
	v_min_u32_e32 v9, 32, v9
	v_subrev_nc_u32_e32 v65, 28, v9
	v_lshlrev_b64 v[67:68], v65, v[1:2]
	v_sub_nc_u32_e32 v65, 29, v9
	v_and_b32_e32 v9, 7, v67
; %bb.302:                              ;   in Loop: Header=BB255_12 Depth=1
	s_or_b32 exec_lo, exec_lo, s43
	v_lshlrev_b32_e32 v1, 8, v1
	v_lshl_add_u32 v65, v65, 10, 0x2000
	v_lshlrev_b32_e32 v9, 23, v9
	v_and_or_b32 v1, 0x8000, v1, v65
	v_lshl_or_b32 v65, v1, 16, v9
.LBB255_303:                            ;   in Loop: Header=BB255_12 Depth=1
	s_or_b32 exec_lo, exec_lo, s42
.LBB255_304:                            ;   in Loop: Header=BB255_12 Depth=1
	s_or_b32 exec_lo, exec_lo, s41
.LBB255_305:                            ;   in Loop: Header=BB255_12 Depth=1
	s_or_b32 exec_lo, exec_lo, s40
	global_load_dword v9, v[7:8], off offset:1032
	v_mov_b32_e32 v67, 0
	v_mov_b32_e32 v68, 0
	s_waitcnt vmcnt(0)
	v_cmp_ne_u16_sdwa s2, v9, v2 src0_sel:BYTE_0 src1_sel:DWORD
	s_and_saveexec_b32 s40, s2
	s_cbranch_execz .LBB255_313
; %bb.306:                              ;   in Loop: Header=BB255_12 Depth=1
	v_cmp_ne_u16_sdwa s2, v9, v22 src0_sel:BYTE_0 src1_sel:DWORD
	v_mov_b32_e32 v68, 0x8000
	s_and_saveexec_b32 s41, s2
	s_cbranch_execz .LBB255_312
; %bb.307:                              ;   in Loop: Header=BB255_12 Depth=1
	v_and_b32_e32 v69, 0x7f, v9
	v_mov_b32_e32 v68, 0x7c01
	s_mov_b32 s42, exec_lo
	v_cmpx_ne_u32_e32 0x7f, v69
	s_cbranch_execz .LBB255_311
; %bb.308:                              ;   in Loop: Header=BB255_12 Depth=1
	v_and_b32_e32 v1, 7, v9
	v_lshrrev_b32_e32 v68, 3, v69
	s_mov_b32 s43, exec_lo
	v_cmpx_gt_u32_e32 8, v69
; %bb.309:                              ;   in Loop: Header=BB255_12 Depth=1
	v_ffbh_u32_e32 v1, v1
	v_min_u32_e32 v1, 32, v1
	v_subrev_nc_u32_e32 v68, 28, v1
	v_lshlrev_b64 v[69:70], v68, v[9:10]
	v_sub_nc_u32_e32 v68, 29, v1
	v_and_b32_e32 v1, 7, v69
; %bb.310:                              ;   in Loop: Header=BB255_12 Depth=1
	s_or_b32 exec_lo, exec_lo, s43
	v_lshlrev_b32_e32 v69, 8, v9
	v_lshl_add_u32 v68, v68, 10, 0x2000
	v_lshlrev_b32_e32 v1, 7, v1
	v_and_b32_e32 v69, 0x8000, v69
	v_and_b32_e32 v68, 0xfc00, v68
	v_or3_b32 v68, v69, v68, v1
.LBB255_311:                            ;   in Loop: Header=BB255_12 Depth=1
	s_or_b32 exec_lo, exec_lo, s42
.LBB255_312:                            ;   in Loop: Header=BB255_12 Depth=1
	s_or_b32 exec_lo, exec_lo, s41
.LBB255_313:                            ;   in Loop: Header=BB255_12 Depth=1
	s_or_b32 exec_lo, exec_lo, s40
	v_lshrrev_b16 v1, 8, v9
	s_mov_b32 s40, exec_lo
	v_cmpx_ne_u16_e32 0, v1
	s_cbranch_execz .LBB255_321
; %bb.314:                              ;   in Loop: Header=BB255_12 Depth=1
	v_bfrev_b32_e32 v67, 1
	s_mov_b32 s41, exec_lo
	v_cmpx_ne_u16_e32 0x80, v1
	s_cbranch_execz .LBB255_320
; %bb.315:                              ;   in Loop: Header=BB255_12 Depth=1
	v_and_b32_sdwa v70, v1, v23 dst_sel:DWORD dst_unused:UNUSED_PAD src0_sel:WORD_0 src1_sel:DWORD
	v_mov_b32_e32 v67, 0x7c010000
	s_mov_b32 s42, exec_lo
	v_cmpx_ne_u32_e32 0x7f, v70
	s_cbranch_execz .LBB255_319
; %bb.316:                              ;   in Loop: Header=BB255_12 Depth=1
	v_and_b32_sdwa v67, v1, v24 dst_sel:DWORD dst_unused:UNUSED_PAD src0_sel:WORD_0 src1_sel:DWORD
	v_lshrrev_b32_e32 v69, 3, v70
	s_mov_b32 s43, exec_lo
	v_cmpx_gt_u32_e32 8, v70
; %bb.317:                              ;   in Loop: Header=BB255_12 Depth=1
	v_ffbh_u32_e32 v67, v67
	v_min_u32_e32 v67, 32, v67
	v_subrev_nc_u32_e32 v69, 28, v67
	v_lshlrev_b64 v[70:71], v69, v[1:2]
	v_sub_nc_u32_e32 v69, 29, v67
	v_and_b32_e32 v67, 7, v70
; %bb.318:                              ;   in Loop: Header=BB255_12 Depth=1
	s_or_b32 exec_lo, exec_lo, s43
	v_lshlrev_b32_sdwa v1, v25, v1 dst_sel:DWORD dst_unused:UNUSED_PAD src0_sel:DWORD src1_sel:WORD_0
	v_lshl_add_u32 v69, v69, 10, 0x2000
	v_lshlrev_b32_e32 v67, 23, v67
	v_and_or_b32 v1, 0x8000, v1, v69
	v_lshl_or_b32 v67, v1, 16, v67
.LBB255_319:                            ;   in Loop: Header=BB255_12 Depth=1
	s_or_b32 exec_lo, exec_lo, s42
.LBB255_320:                            ;   in Loop: Header=BB255_12 Depth=1
	s_or_b32 exec_lo, exec_lo, s41
.LBB255_321:                            ;   in Loop: Header=BB255_12 Depth=1
	s_or_b32 exec_lo, exec_lo, s40
	v_lshrrev_b32_e32 v1, 16, v9
	v_mov_b32_e32 v69, 0
	v_mov_b32_e32 v70, 0
	v_cmp_ne_u16_sdwa s2, v1, v2 src0_sel:BYTE_0 src1_sel:DWORD
	s_and_saveexec_b32 s40, s2
	s_cbranch_execz .LBB255_329
; %bb.322:                              ;   in Loop: Header=BB255_12 Depth=1
	v_cmp_ne_u16_sdwa s2, v1, v22 src0_sel:BYTE_0 src1_sel:DWORD
	v_mov_b32_e32 v70, 0x8000
	s_and_saveexec_b32 s41, s2
	s_cbranch_execz .LBB255_328
; %bb.323:                              ;   in Loop: Header=BB255_12 Depth=1
	v_bfe_u32 v72, v9, 16, 7
	v_mov_b32_e32 v70, 0x7c01
	s_mov_b32 s42, exec_lo
	v_cmpx_ne_u32_e32 0x7f, v72
	s_cbranch_execz .LBB255_327
; %bb.324:                              ;   in Loop: Header=BB255_12 Depth=1
	v_and_b32_e32 v70, 7, v1
	v_lshrrev_b32_e32 v71, 3, v72
	s_mov_b32 s43, exec_lo
	v_cmpx_gt_u32_e32 8, v72
; %bb.325:                              ;   in Loop: Header=BB255_12 Depth=1
	v_ffbh_u32_e32 v70, v70
	v_min_u32_e32 v72, 32, v70
	v_subrev_nc_u32_e32 v70, 28, v72
	v_lshlrev_b64 v[70:71], v70, v[1:2]
	v_sub_nc_u32_e32 v71, 29, v72
	v_and_b32_e32 v70, 7, v70
; %bb.326:                              ;   in Loop: Header=BB255_12 Depth=1
	s_or_b32 exec_lo, exec_lo, s43
	v_lshlrev_b32_e32 v1, 8, v1
	v_lshl_add_u32 v71, v71, 10, 0x2000
	v_lshlrev_b32_e32 v70, 7, v70
	v_and_b32_e32 v1, 0x8000, v1
	v_and_b32_e32 v71, 0xfc00, v71
	v_or3_b32 v70, v1, v71, v70
.LBB255_327:                            ;   in Loop: Header=BB255_12 Depth=1
	s_or_b32 exec_lo, exec_lo, s42
.LBB255_328:                            ;   in Loop: Header=BB255_12 Depth=1
	s_or_b32 exec_lo, exec_lo, s41
.LBB255_329:                            ;   in Loop: Header=BB255_12 Depth=1
	s_or_b32 exec_lo, exec_lo, s40
	s_mov_b32 s40, exec_lo
	v_cmpx_lt_u32_e32 0xffffff, v9
	s_cbranch_execz .LBB255_337
; %bb.330:                              ;   in Loop: Header=BB255_12 Depth=1
	v_lshrrev_b32_e32 v1, 24, v9
	v_bfrev_b32_e32 v69, 1
	s_mov_b32 s41, exec_lo
	v_cmpx_ne_u32_e32 0x80, v1
	s_cbranch_execz .LBB255_336
; %bb.331:                              ;   in Loop: Header=BB255_12 Depth=1
	v_and_b32_e32 v71, 0x7f, v1
	v_mov_b32_e32 v69, 0x7c010000
	s_mov_b32 s42, exec_lo
	v_cmpx_ne_u32_e32 0x7f, v71
	s_cbranch_execz .LBB255_335
; %bb.332:                              ;   in Loop: Header=BB255_12 Depth=1
	v_and_b32_e32 v9, 7, v1
	v_lshrrev_b32_e32 v69, 3, v71
	s_mov_b32 s43, exec_lo
	v_cmpx_gt_u32_e32 8, v71
; %bb.333:                              ;   in Loop: Header=BB255_12 Depth=1
	v_ffbh_u32_e32 v9, v9
	v_min_u32_e32 v9, 32, v9
	v_subrev_nc_u32_e32 v69, 28, v9
	v_lshlrev_b64 v[71:72], v69, v[1:2]
	v_sub_nc_u32_e32 v69, 29, v9
	v_and_b32_e32 v9, 7, v71
; %bb.334:                              ;   in Loop: Header=BB255_12 Depth=1
	s_or_b32 exec_lo, exec_lo, s43
	v_lshlrev_b32_e32 v1, 8, v1
	v_lshl_add_u32 v69, v69, 10, 0x2000
	v_lshlrev_b32_e32 v9, 23, v9
	v_and_or_b32 v1, 0x8000, v1, v69
	v_lshl_or_b32 v69, v1, 16, v9
.LBB255_335:                            ;   in Loop: Header=BB255_12 Depth=1
	s_or_b32 exec_lo, exec_lo, s42
.LBB255_336:                            ;   in Loop: Header=BB255_12 Depth=1
	s_or_b32 exec_lo, exec_lo, s41
.LBB255_337:                            ;   in Loop: Header=BB255_12 Depth=1
	s_or_b32 exec_lo, exec_lo, s40
	global_load_dword v9, v[7:8], off offset:1280
	v_mov_b32_e32 v71, 0
	v_mov_b32_e32 v72, 0
	s_waitcnt vmcnt(0)
	v_cmp_ne_u16_sdwa s2, v9, v2 src0_sel:BYTE_0 src1_sel:DWORD
	s_and_saveexec_b32 s40, s2
	s_cbranch_execz .LBB255_345
; %bb.338:                              ;   in Loop: Header=BB255_12 Depth=1
	v_cmp_ne_u16_sdwa s2, v9, v22 src0_sel:BYTE_0 src1_sel:DWORD
	v_mov_b32_e32 v72, 0x8000
	s_and_saveexec_b32 s41, s2
	s_cbranch_execz .LBB255_344
; %bb.339:                              ;   in Loop: Header=BB255_12 Depth=1
	v_and_b32_e32 v73, 0x7f, v9
	v_mov_b32_e32 v72, 0x7c01
	s_mov_b32 s42, exec_lo
	v_cmpx_ne_u32_e32 0x7f, v73
	s_cbranch_execz .LBB255_343
; %bb.340:                              ;   in Loop: Header=BB255_12 Depth=1
	v_and_b32_e32 v1, 7, v9
	v_lshrrev_b32_e32 v72, 3, v73
	s_mov_b32 s43, exec_lo
	v_cmpx_gt_u32_e32 8, v73
; %bb.341:                              ;   in Loop: Header=BB255_12 Depth=1
	v_ffbh_u32_e32 v1, v1
	v_min_u32_e32 v1, 32, v1
	v_subrev_nc_u32_e32 v72, 28, v1
	v_lshlrev_b64 v[73:74], v72, v[9:10]
	v_sub_nc_u32_e32 v72, 29, v1
	v_and_b32_e32 v1, 7, v73
; %bb.342:                              ;   in Loop: Header=BB255_12 Depth=1
	s_or_b32 exec_lo, exec_lo, s43
	v_lshlrev_b32_e32 v73, 8, v9
	v_lshl_add_u32 v72, v72, 10, 0x2000
	v_lshlrev_b32_e32 v1, 7, v1
	v_and_b32_e32 v73, 0x8000, v73
	v_and_b32_e32 v72, 0xfc00, v72
	v_or3_b32 v72, v73, v72, v1
.LBB255_343:                            ;   in Loop: Header=BB255_12 Depth=1
	s_or_b32 exec_lo, exec_lo, s42
.LBB255_344:                            ;   in Loop: Header=BB255_12 Depth=1
	s_or_b32 exec_lo, exec_lo, s41
.LBB255_345:                            ;   in Loop: Header=BB255_12 Depth=1
	s_or_b32 exec_lo, exec_lo, s40
	v_lshrrev_b16 v1, 8, v9
	s_mov_b32 s40, exec_lo
	v_cmpx_ne_u16_e32 0, v1
	s_cbranch_execz .LBB255_353
; %bb.346:                              ;   in Loop: Header=BB255_12 Depth=1
	v_bfrev_b32_e32 v71, 1
	s_mov_b32 s41, exec_lo
	v_cmpx_ne_u16_e32 0x80, v1
	s_cbranch_execz .LBB255_352
; %bb.347:                              ;   in Loop: Header=BB255_12 Depth=1
	v_and_b32_sdwa v74, v1, v23 dst_sel:DWORD dst_unused:UNUSED_PAD src0_sel:WORD_0 src1_sel:DWORD
	v_mov_b32_e32 v71, 0x7c010000
	s_mov_b32 s42, exec_lo
	v_cmpx_ne_u32_e32 0x7f, v74
	s_cbranch_execz .LBB255_351
; %bb.348:                              ;   in Loop: Header=BB255_12 Depth=1
	v_and_b32_sdwa v71, v1, v24 dst_sel:DWORD dst_unused:UNUSED_PAD src0_sel:WORD_0 src1_sel:DWORD
	v_lshrrev_b32_e32 v73, 3, v74
	s_mov_b32 s43, exec_lo
	v_cmpx_gt_u32_e32 8, v74
; %bb.349:                              ;   in Loop: Header=BB255_12 Depth=1
	v_ffbh_u32_e32 v71, v71
	v_min_u32_e32 v71, 32, v71
	v_subrev_nc_u32_e32 v73, 28, v71
	v_lshlrev_b64 v[74:75], v73, v[1:2]
	v_sub_nc_u32_e32 v73, 29, v71
	v_and_b32_e32 v71, 7, v74
; %bb.350:                              ;   in Loop: Header=BB255_12 Depth=1
	s_or_b32 exec_lo, exec_lo, s43
	v_lshlrev_b32_sdwa v1, v25, v1 dst_sel:DWORD dst_unused:UNUSED_PAD src0_sel:DWORD src1_sel:WORD_0
	v_lshl_add_u32 v73, v73, 10, 0x2000
	v_lshlrev_b32_e32 v71, 23, v71
	v_and_or_b32 v1, 0x8000, v1, v73
	v_lshl_or_b32 v71, v1, 16, v71
.LBB255_351:                            ;   in Loop: Header=BB255_12 Depth=1
	s_or_b32 exec_lo, exec_lo, s42
.LBB255_352:                            ;   in Loop: Header=BB255_12 Depth=1
	s_or_b32 exec_lo, exec_lo, s41
.LBB255_353:                            ;   in Loop: Header=BB255_12 Depth=1
	s_or_b32 exec_lo, exec_lo, s40
	v_lshrrev_b32_e32 v1, 16, v9
	v_mov_b32_e32 v73, 0
	v_mov_b32_e32 v74, 0
	v_cmp_ne_u16_sdwa s2, v1, v2 src0_sel:BYTE_0 src1_sel:DWORD
	s_and_saveexec_b32 s40, s2
	s_cbranch_execz .LBB255_361
; %bb.354:                              ;   in Loop: Header=BB255_12 Depth=1
	v_cmp_ne_u16_sdwa s2, v1, v22 src0_sel:BYTE_0 src1_sel:DWORD
	v_mov_b32_e32 v74, 0x8000
	s_and_saveexec_b32 s41, s2
	s_cbranch_execz .LBB255_360
; %bb.355:                              ;   in Loop: Header=BB255_12 Depth=1
	v_bfe_u32 v76, v9, 16, 7
	v_mov_b32_e32 v74, 0x7c01
	s_mov_b32 s42, exec_lo
	v_cmpx_ne_u32_e32 0x7f, v76
	s_cbranch_execz .LBB255_359
; %bb.356:                              ;   in Loop: Header=BB255_12 Depth=1
	v_and_b32_e32 v74, 7, v1
	v_lshrrev_b32_e32 v75, 3, v76
	s_mov_b32 s43, exec_lo
	v_cmpx_gt_u32_e32 8, v76
; %bb.357:                              ;   in Loop: Header=BB255_12 Depth=1
	v_ffbh_u32_e32 v74, v74
	v_min_u32_e32 v76, 32, v74
	v_subrev_nc_u32_e32 v74, 28, v76
	v_lshlrev_b64 v[74:75], v74, v[1:2]
	v_sub_nc_u32_e32 v75, 29, v76
	v_and_b32_e32 v74, 7, v74
; %bb.358:                              ;   in Loop: Header=BB255_12 Depth=1
	s_or_b32 exec_lo, exec_lo, s43
	v_lshlrev_b32_e32 v1, 8, v1
	v_lshl_add_u32 v75, v75, 10, 0x2000
	v_lshlrev_b32_e32 v74, 7, v74
	v_and_b32_e32 v1, 0x8000, v1
	v_and_b32_e32 v75, 0xfc00, v75
	v_or3_b32 v74, v1, v75, v74
.LBB255_359:                            ;   in Loop: Header=BB255_12 Depth=1
	s_or_b32 exec_lo, exec_lo, s42
.LBB255_360:                            ;   in Loop: Header=BB255_12 Depth=1
	s_or_b32 exec_lo, exec_lo, s41
.LBB255_361:                            ;   in Loop: Header=BB255_12 Depth=1
	s_or_b32 exec_lo, exec_lo, s40
	s_mov_b32 s40, exec_lo
	v_cmpx_lt_u32_e32 0xffffff, v9
	s_cbranch_execz .LBB255_369
; %bb.362:                              ;   in Loop: Header=BB255_12 Depth=1
	v_lshrrev_b32_e32 v1, 24, v9
	v_bfrev_b32_e32 v73, 1
	s_mov_b32 s41, exec_lo
	v_cmpx_ne_u32_e32 0x80, v1
	s_cbranch_execz .LBB255_368
; %bb.363:                              ;   in Loop: Header=BB255_12 Depth=1
	v_and_b32_e32 v75, 0x7f, v1
	v_mov_b32_e32 v73, 0x7c010000
	s_mov_b32 s42, exec_lo
	v_cmpx_ne_u32_e32 0x7f, v75
	s_cbranch_execz .LBB255_367
; %bb.364:                              ;   in Loop: Header=BB255_12 Depth=1
	v_and_b32_e32 v9, 7, v1
	v_lshrrev_b32_e32 v73, 3, v75
	s_mov_b32 s43, exec_lo
	v_cmpx_gt_u32_e32 8, v75
; %bb.365:                              ;   in Loop: Header=BB255_12 Depth=1
	v_ffbh_u32_e32 v9, v9
	v_min_u32_e32 v9, 32, v9
	v_subrev_nc_u32_e32 v73, 28, v9
	v_lshlrev_b64 v[75:76], v73, v[1:2]
	v_sub_nc_u32_e32 v73, 29, v9
	v_and_b32_e32 v9, 7, v75
; %bb.366:                              ;   in Loop: Header=BB255_12 Depth=1
	s_or_b32 exec_lo, exec_lo, s43
	v_lshlrev_b32_e32 v1, 8, v1
	v_lshl_add_u32 v73, v73, 10, 0x2000
	v_lshlrev_b32_e32 v9, 23, v9
	v_and_or_b32 v1, 0x8000, v1, v73
	v_lshl_or_b32 v73, v1, 16, v9
.LBB255_367:                            ;   in Loop: Header=BB255_12 Depth=1
	s_or_b32 exec_lo, exec_lo, s42
.LBB255_368:                            ;   in Loop: Header=BB255_12 Depth=1
	s_or_b32 exec_lo, exec_lo, s41
.LBB255_369:                            ;   in Loop: Header=BB255_12 Depth=1
	s_or_b32 exec_lo, exec_lo, s40
	global_load_dword v7, v[7:8], off offset:1288
	v_mov_b32_e32 v9, 0
	v_mov_b32_e32 v75, 0
	s_waitcnt vmcnt(0)
	v_cmp_ne_u16_sdwa s2, v7, v2 src0_sel:BYTE_0 src1_sel:DWORD
	s_and_saveexec_b32 s40, s2
	s_cbranch_execz .LBB255_377
; %bb.370:                              ;   in Loop: Header=BB255_12 Depth=1
	v_cmp_ne_u16_sdwa s2, v7, v22 src0_sel:BYTE_0 src1_sel:DWORD
	v_mov_b32_e32 v75, 0x8000
	s_and_saveexec_b32 s41, s2
	s_cbranch_execz .LBB255_376
; %bb.371:                              ;   in Loop: Header=BB255_12 Depth=1
	v_and_b32_e32 v76, 0x7f, v7
	v_mov_b32_e32 v75, 0x7c01
	s_mov_b32 s42, exec_lo
	v_cmpx_ne_u32_e32 0x7f, v76
	s_cbranch_execz .LBB255_375
; %bb.372:                              ;   in Loop: Header=BB255_12 Depth=1
	v_and_b32_e32 v1, 7, v7
	v_lshrrev_b32_e32 v8, 3, v76
	s_mov_b32 s43, exec_lo
	v_cmpx_gt_u32_e32 8, v76
; %bb.373:                              ;   in Loop: Header=BB255_12 Depth=1
	v_ffbh_u32_e32 v1, v1
	v_min_u32_e32 v1, 32, v1
	v_subrev_nc_u32_e32 v8, 28, v1
	v_lshlrev_b64 v[75:76], v8, v[7:8]
	v_sub_nc_u32_e32 v8, 29, v1
	v_and_b32_e32 v1, 7, v75
; %bb.374:                              ;   in Loop: Header=BB255_12 Depth=1
	s_or_b32 exec_lo, exec_lo, s43
	v_lshlrev_b32_e32 v75, 8, v7
	v_lshl_add_u32 v8, v8, 10, 0x2000
	v_lshlrev_b32_e32 v1, 7, v1
	v_and_b32_e32 v75, 0x8000, v75
	v_and_b32_e32 v8, 0xfc00, v8
	v_or3_b32 v75, v75, v8, v1
.LBB255_375:                            ;   in Loop: Header=BB255_12 Depth=1
	s_or_b32 exec_lo, exec_lo, s42
.LBB255_376:                            ;   in Loop: Header=BB255_12 Depth=1
	s_or_b32 exec_lo, exec_lo, s41
.LBB255_377:                            ;   in Loop: Header=BB255_12 Depth=1
	s_or_b32 exec_lo, exec_lo, s40
	v_lshrrev_b16 v1, 8, v7
	s_mov_b32 s40, exec_lo
	v_cmpx_ne_u16_e32 0, v1
	s_cbranch_execz .LBB255_385
; %bb.378:                              ;   in Loop: Header=BB255_12 Depth=1
	v_bfrev_b32_e32 v9, 1
	s_mov_b32 s41, exec_lo
	v_cmpx_ne_u16_e32 0x80, v1
	s_cbranch_execz .LBB255_384
; %bb.379:                              ;   in Loop: Header=BB255_12 Depth=1
	v_and_b32_sdwa v76, v1, v23 dst_sel:DWORD dst_unused:UNUSED_PAD src0_sel:WORD_0 src1_sel:DWORD
	v_mov_b32_e32 v9, 0x7c010000
	s_mov_b32 s42, exec_lo
	v_cmpx_ne_u32_e32 0x7f, v76
	s_cbranch_execz .LBB255_383
; %bb.380:                              ;   in Loop: Header=BB255_12 Depth=1
	v_and_b32_sdwa v8, v1, v24 dst_sel:DWORD dst_unused:UNUSED_PAD src0_sel:WORD_0 src1_sel:DWORD
	v_lshrrev_b32_e32 v9, 3, v76
	s_mov_b32 s43, exec_lo
	v_cmpx_gt_u32_e32 8, v76
; %bb.381:                              ;   in Loop: Header=BB255_12 Depth=1
	v_ffbh_u32_e32 v8, v8
	v_min_u32_e32 v76, 32, v8
	v_subrev_nc_u32_e32 v8, 28, v76
	v_lshlrev_b64 v[8:9], v8, v[1:2]
	v_sub_nc_u32_e32 v9, 29, v76
	v_and_b32_e32 v8, 7, v8
; %bb.382:                              ;   in Loop: Header=BB255_12 Depth=1
	s_or_b32 exec_lo, exec_lo, s43
	v_lshlrev_b32_sdwa v1, v25, v1 dst_sel:DWORD dst_unused:UNUSED_PAD src0_sel:DWORD src1_sel:WORD_0
	v_lshl_add_u32 v9, v9, 10, 0x2000
	v_lshlrev_b32_e32 v8, 23, v8
	v_and_or_b32 v1, 0x8000, v1, v9
	v_lshl_or_b32 v9, v1, 16, v8
.LBB255_383:                            ;   in Loop: Header=BB255_12 Depth=1
	s_or_b32 exec_lo, exec_lo, s42
.LBB255_384:                            ;   in Loop: Header=BB255_12 Depth=1
	s_or_b32 exec_lo, exec_lo, s41
.LBB255_385:                            ;   in Loop: Header=BB255_12 Depth=1
	s_or_b32 exec_lo, exec_lo, s40
	v_lshrrev_b32_e32 v1, 16, v7
	v_mov_b32_e32 v8, 0
	v_mov_b32_e32 v76, 0
	v_cmp_ne_u16_sdwa s2, v1, v2 src0_sel:BYTE_0 src1_sel:DWORD
	s_and_saveexec_b32 s40, s2
	s_cbranch_execz .LBB255_393
; %bb.386:                              ;   in Loop: Header=BB255_12 Depth=1
	v_cmp_ne_u16_sdwa s2, v1, v22 src0_sel:BYTE_0 src1_sel:DWORD
	v_mov_b32_e32 v76, 0x8000
	s_and_saveexec_b32 s41, s2
	s_cbranch_execz .LBB255_392
; %bb.387:                              ;   in Loop: Header=BB255_12 Depth=1
	v_bfe_u32 v78, v7, 16, 7
	v_mov_b32_e32 v76, 0x7c01
	s_mov_b32 s42, exec_lo
	v_cmpx_ne_u32_e32 0x7f, v78
	s_cbranch_execz .LBB255_391
; %bb.388:                              ;   in Loop: Header=BB255_12 Depth=1
	v_and_b32_e32 v76, 7, v1
	v_lshrrev_b32_e32 v77, 3, v78
	s_mov_b32 s43, exec_lo
	v_cmpx_gt_u32_e32 8, v78
; %bb.389:                              ;   in Loop: Header=BB255_12 Depth=1
	v_ffbh_u32_e32 v76, v76
	v_min_u32_e32 v78, 32, v76
	v_subrev_nc_u32_e32 v76, 28, v78
	v_lshlrev_b64 v[76:77], v76, v[1:2]
	v_sub_nc_u32_e32 v77, 29, v78
	v_and_b32_e32 v76, 7, v76
; %bb.390:                              ;   in Loop: Header=BB255_12 Depth=1
	s_or_b32 exec_lo, exec_lo, s43
	v_lshlrev_b32_e32 v1, 8, v1
	v_lshl_add_u32 v77, v77, 10, 0x2000
	v_lshlrev_b32_e32 v76, 7, v76
	v_and_b32_e32 v1, 0x8000, v1
	v_and_b32_e32 v77, 0xfc00, v77
	v_or3_b32 v76, v1, v77, v76
.LBB255_391:                            ;   in Loop: Header=BB255_12 Depth=1
	s_or_b32 exec_lo, exec_lo, s42
.LBB255_392:                            ;   in Loop: Header=BB255_12 Depth=1
	s_or_b32 exec_lo, exec_lo, s41
.LBB255_393:                            ;   in Loop: Header=BB255_12 Depth=1
	s_or_b32 exec_lo, exec_lo, s40
	s_mov_b32 s40, exec_lo
	v_cmpx_lt_u32_e32 0xffffff, v7
	s_cbranch_execz .LBB255_401
; %bb.394:                              ;   in Loop: Header=BB255_12 Depth=1
	v_lshrrev_b32_e32 v1, 24, v7
	v_bfrev_b32_e32 v8, 1
	s_mov_b32 s41, exec_lo
	v_cmpx_ne_u32_e32 0x80, v1
	s_cbranch_execz .LBB255_400
; %bb.395:                              ;   in Loop: Header=BB255_12 Depth=1
	v_and_b32_e32 v77, 0x7f, v1
	v_mov_b32_e32 v8, 0x7c010000
	s_mov_b32 s42, exec_lo
	v_cmpx_ne_u32_e32 0x7f, v77
	s_cbranch_execz .LBB255_399
; %bb.396:                              ;   in Loop: Header=BB255_12 Depth=1
	v_and_b32_e32 v7, 7, v1
	v_lshrrev_b32_e32 v8, 3, v77
	s_mov_b32 s43, exec_lo
	v_cmpx_gt_u32_e32 8, v77
; %bb.397:                              ;   in Loop: Header=BB255_12 Depth=1
	v_ffbh_u32_e32 v7, v7
	v_min_u32_e32 v77, 32, v7
	v_subrev_nc_u32_e32 v7, 28, v77
	v_lshlrev_b64 v[7:8], v7, v[1:2]
	v_sub_nc_u32_e32 v8, 29, v77
	v_and_b32_e32 v7, 7, v7
; %bb.398:                              ;   in Loop: Header=BB255_12 Depth=1
	s_or_b32 exec_lo, exec_lo, s43
	v_lshlrev_b32_e32 v1, 8, v1
	v_lshl_add_u32 v8, v8, 10, 0x2000
	v_lshlrev_b32_e32 v7, 23, v7
	v_and_or_b32 v1, 0x8000, v1, v8
	v_lshl_or_b32 v8, v1, 16, v7
.LBB255_399:                            ;   in Loop: Header=BB255_12 Depth=1
	s_or_b32 exec_lo, exec_lo, s42
.LBB255_400:                            ;   in Loop: Header=BB255_12 Depth=1
	s_or_b32 exec_lo, exec_lo, s41
.LBB255_401:                            ;   in Loop: Header=BB255_12 Depth=1
	s_or_b32 exec_lo, exec_lo, s40
	ds_read_b64 v[77:78], v18
	v_or_b32_e32 v1, v31, v32
	v_or_b32_e32 v7, v33, v34
	v_fma_mixlo_f16 v31, v30, v31, 0 op_sel:[0,1,0] op_sel_hi:[0,1,0]
	v_fma_mixlo_f16 v32, v30, v33, 0 op_sel:[0,1,0] op_sel_hi:[0,1,0]
	v_or_b32_e32 v36, v35, v36
	v_fma_mixlo_f16 v1, v30, v1, 0 op_sel_hi:[0,1,0]
	v_fma_mixlo_f16 v7, v30, v7, 0 op_sel_hi:[0,1,0]
	v_and_b32_e32 v31, 0xffff, v31
	v_and_b32_e32 v79, 0xffff, v32
	v_or_b32_e32 v38, v37, v38
	v_and_b32_e32 v32, 0xffff, v1
	v_fma_mixlo_f16 v35, v30, v35, 0 op_sel:[0,1,0] op_sel_hi:[0,1,0]
	v_fma_mixlo_f16 v37, v30, v37, 0 op_sel:[0,1,0] op_sel_hi:[0,1,0]
	v_fma_mixlo_f16 v36, v30, v36, 0 op_sel_hi:[0,1,0]
	v_fma_mixlo_f16 v38, v30, v38, 0 op_sel_hi:[0,1,0]
	v_or_b32_e32 v40, v39, v40
	v_and_b32_e32 v81, 0xffff, v35
	v_and_b32_e32 v82, 0xffff, v37
	;; [unrolled: 1-line block ×3, first 2 shown]
	s_waitcnt lgkmcnt(0)
	v_and_b32_e32 v1, 0xffff, v77
	v_lshrrev_b32_e32 v33, 16, v77
	v_and_b32_e32 v77, 0xffff, v7
	v_lshrrev_b32_e32 v80, 16, v78
	v_and_b32_e32 v78, 0xffff, v78
	;;#ASMSTART
	v_cvt_f32_f16 v7, v1;
	;;#ASMEND
	;;#ASMSTART
	v_cvt_f32_f16 v1, v33;
	;;#ASMEND
	;; [unrolled: 3-line block ×8, first 2 shown]
	ds_read_b64 v[79:80], v18 offset:8
	v_and_b32_e32 v83, 0xffff, v38
	v_or_b32_e32 v42, v41, v42
	v_fma_mixlo_f16 v39, v30, v39, 0 op_sel:[0,1,0] op_sel_hi:[0,1,0]
	v_fma_mixlo_f16 v41, v30, v41, 0 op_sel:[0,1,0] op_sel_hi:[0,1,0]
	v_fma_mixlo_f16 v40, v30, v40, 0 op_sel_hi:[0,1,0]
	v_or_b32_e32 v44, v43, v44
	v_fma_mixlo_f16 v42, v30, v42, 0 op_sel_hi:[0,1,0]
	v_and_b32_e32 v39, 0xffff, v39
	v_and_b32_e32 v87, 0xffff, v41
	;; [unrolled: 1-line block ×3, first 2 shown]
	v_or_b32_e32 v46, v45, v46
	v_and_b32_e32 v42, 0xffff, v42
	v_fma_mixlo_f16 v43, v30, v43, 0 op_sel:[0,1,0] op_sel_hi:[0,1,0]
	v_fma_mixlo_f16 v45, v30, v45, 0 op_sel:[0,1,0] op_sel_hi:[0,1,0]
	v_fma_mixlo_f16 v44, v30, v44, 0 op_sel_hi:[0,1,0]
	v_fma_mixlo_f16 v46, v30, v46, 0 op_sel_hi:[0,1,0]
	v_or_b32_e32 v48, v47, v48
	v_or_b32_e32 v50, v49, v50
	v_and_b32_e32 v90, 0xffff, v45
	s_waitcnt lgkmcnt(0)
	v_and_b32_e32 v35, 0xffff, v79
	v_lshrrev_b32_e32 v79, 16, v79
	v_lshrrev_b32_e32 v84, 16, v80
	v_and_b32_e32 v38, 0xffff, v80
	;;#ASMSTART
	v_cvt_f32_f16 v36, v35;
	;;#ASMEND
	;;#ASMSTART
	v_cvt_f32_f16 v35, v79;
	;;#ASMEND
	;;#ASMSTART
	v_cvt_f32_f16 v80, v37;
	;;#ASMEND
	;;#ASMSTART
	v_cvt_f32_f16 v37, v81;
	;;#ASMEND
	;;#ASMSTART
	v_cvt_f32_f16 v38, v38;
	;;#ASMEND
	;;#ASMSTART
	v_cvt_f32_f16 v79, v84;
	;;#ASMEND
	;;#ASMSTART
	v_cvt_f32_f16 v81, v83;
	;;#ASMEND
	;;#ASMSTART
	v_cvt_f32_f16 v82, v82;
	;;#ASMEND
	ds_read_b64 v[83:84], v18 offset:16
	v_and_b32_e32 v45, 0xffff, v44
	v_and_b32_e32 v91, 0xffff, v46
	v_fma_mixlo_f16 v47, v30, v47, 0 op_sel:[0,1,0] op_sel_hi:[0,1,0]
	v_fma_mixlo_f16 v49, v30, v49, 0 op_sel:[0,1,0] op_sel_hi:[0,1,0]
	v_fma_mixlo_f16 v48, v30, v48, 0 op_sel_hi:[0,1,0]
	v_fma_mixlo_f16 v50, v30, v50, 0 op_sel_hi:[0,1,0]
	v_or_b32_e32 v52, v51, v52
	v_and_b32_e32 v47, 0xffff, v47
	v_and_b32_e32 v95, 0xffff, v49
	v_and_b32_e32 v48, 0xffff, v48
	v_and_b32_e32 v50, 0xffff, v50
	v_or_b32_e32 v54, v53, v54
	v_fma_mixlo_f16 v51, v30, v51, 0 op_sel:[0,1,0] op_sel_hi:[0,1,0]
	v_fma_mixlo_f16 v53, v30, v53, 0 op_sel:[0,1,0] op_sel_hi:[0,1,0]
	v_fma_mixlo_f16 v52, v30, v52, 0 op_sel_hi:[0,1,0]
	v_or_b32_e32 v56, v55, v56
	v_fma_mixlo_f16 v54, v30, v54, 0 op_sel_hi:[0,1,0]
	v_or_b32_e32 v58, v57, v58
	v_and_b32_e32 v98, 0xffff, v53
	s_waitcnt lgkmcnt(0)
	v_and_b32_e32 v41, 0xffff, v83
	v_lshrrev_b32_e32 v83, 16, v83
	v_lshrrev_b32_e32 v88, 16, v84
	v_and_b32_e32 v89, 0xffff, v84
	;;#ASMSTART
	v_cvt_f32_f16 v84, v41;
	;;#ASMEND
	;;#ASMSTART
	v_cvt_f32_f16 v83, v83;
	;;#ASMEND
	;; [unrolled: 3-line block ×8, first 2 shown]
	ds_read_b64 v[87:88], v18 offset:24
	v_and_b32_e32 v89, 0xffff, v43
	v_and_b32_e32 v53, 0xffff, v52
	v_and_b32_e32 v99, 0xffff, v54
	v_fma_mixlo_f16 v55, v30, v55, 0 op_sel:[0,1,0] op_sel_hi:[0,1,0]
	v_fma_mixlo_f16 v57, v30, v57, 0 op_sel:[0,1,0] op_sel_hi:[0,1,0]
	v_fma_mixlo_f16 v56, v30, v56, 0 op_sel_hi:[0,1,0]
	v_fma_mixlo_f16 v58, v30, v58, 0 op_sel_hi:[0,1,0]
	v_or_b32_e32 v60, v59, v60
	v_and_b32_e32 v55, 0xffff, v55
	v_and_b32_e32 v103, 0xffff, v57
	;; [unrolled: 1-line block ×4, first 2 shown]
	v_or_b32_e32 v62, v61, v62
	v_fma_mixlo_f16 v59, v30, v59, 0 op_sel:[0,1,0] op_sel_hi:[0,1,0]
	v_fma_mixlo_f16 v61, v30, v61, 0 op_sel:[0,1,0] op_sel_hi:[0,1,0]
	v_fma_mixlo_f16 v60, v30, v60, 0 op_sel_hi:[0,1,0]
	v_or_b32_e32 v64, v63, v64
	v_fma_mixlo_f16 v62, v30, v62, 0 op_sel_hi:[0,1,0]
	v_or_b32_e32 v66, v65, v66
	s_waitcnt lgkmcnt(0)
	v_and_b32_e32 v43, 0xffff, v87
	v_lshrrev_b32_e32 v44, 16, v87
	v_lshrrev_b32_e32 v46, 16, v88
	v_and_b32_e32 v92, 0xffff, v88
	;;#ASMSTART
	v_cvt_f32_f16 v43, v43;
	;;#ASMEND
	;;#ASMSTART
	v_cvt_f32_f16 v44, v44;
	;;#ASMEND
	;; [unrolled: 3-line block ×8, first 2 shown]
	ds_read_b64 v[91:92], v18 offset:32
	v_and_b32_e32 v106, 0xffff, v61
	v_and_b32_e32 v61, 0xffff, v60
	;; [unrolled: 1-line block ×3, first 2 shown]
	v_fma_mixlo_f16 v63, v30, v63, 0 op_sel:[0,1,0] op_sel_hi:[0,1,0]
	v_fma_mixlo_f16 v65, v30, v65, 0 op_sel:[0,1,0] op_sel_hi:[0,1,0]
	v_fma_mixlo_f16 v64, v30, v64, 0 op_sel_hi:[0,1,0]
	v_fma_mixlo_f16 v66, v30, v66, 0 op_sel_hi:[0,1,0]
	v_or_b32_e32 v68, v67, v68
	v_and_b32_e32 v63, 0xffff, v63
	v_and_b32_e32 v112, 0xffff, v65
	;; [unrolled: 1-line block ×4, first 2 shown]
	v_mul_f32_e32 v36, v36, v80
	v_or_b32_e32 v70, v69, v70
	v_mul_f32_e32 v35, v35, v37
	v_mul_f32_e32 v37, v38, v81
	v_fma_mixlo_f16 v69, v30, v69, 0 op_sel:[0,1,0] op_sel_hi:[0,1,0]
	v_fma_mixlo_f16 v68, v30, v68, 0 op_sel_hi:[0,1,0]
	v_fmac_f32_e32 v36, v7, v34
	s_waitcnt lgkmcnt(0)
	v_and_b32_e32 v49, 0xffff, v91
	v_lshrrev_b32_e32 v93, 16, v91
	v_lshrrev_b32_e32 v96, 16, v92
	v_and_b32_e32 v97, 0xffff, v92
	;;#ASMSTART
	v_cvt_f32_f16 v91, v49;
	;;#ASMEND
	;;#ASMSTART
	v_cvt_f32_f16 v92, v93;
	;;#ASMEND
	;; [unrolled: 3-line block ×8, first 2 shown]
	ds_read_b64 v[95:96], v18 offset:40
	v_and_b32_e32 v97, 0xffff, v51
	v_fma_mixlo_f16 v67, v30, v67, 0 op_sel:[0,1,0] op_sel_hi:[0,1,0]
	v_fma_mixlo_f16 v70, v30, v70, 0 op_sel_hi:[0,1,0]
	v_mul_f32_e32 v38, v79, v82
	v_fmac_f32_e32 v35, v1, v31
	v_fmac_f32_e32 v37, v32, v77
	v_and_b32_e32 v69, 0xffff, v69
	v_and_b32_e32 v68, 0xffff, v68
	v_fmac_f32_e32 v36, v84, v86
	v_and_b32_e32 v113, 0xffff, v67
	v_and_b32_e32 v70, 0xffff, v70
	v_fmac_f32_e32 v38, v33, v78
	v_fmac_f32_e32 v35, v83, v85
	;; [unrolled: 1-line block ×4, first 2 shown]
	v_or_b32_e32 v72, v71, v72
	v_fmac_f32_e32 v38, v40, v42
	v_fmac_f32_e32 v35, v44, v88
	;; [unrolled: 1-line block ×3, first 2 shown]
	s_waitcnt lgkmcnt(0)
	v_and_b32_e32 v51, 0xffff, v95
	v_lshrrev_b32_e32 v52, 16, v95
	v_lshrrev_b32_e32 v54, 16, v96
	v_and_b32_e32 v100, 0xffff, v96
	;;#ASMSTART
	v_cvt_f32_f16 v51, v51;
	;;#ASMEND
	;;#ASMSTART
	v_cvt_f32_f16 v52, v52;
	;;#ASMEND
	;; [unrolled: 3-line block ×8, first 2 shown]
	ds_read_b64 v[99:100], v18 offset:48
	v_fmac_f32_e32 v36, v91, v93
	v_fmac_f32_e32 v35, v92, v94
	v_fmac_f32_e32 v37, v47, v49
	v_or_b32_e32 v74, v73, v74
	v_fmac_f32_e32 v38, v46, v90
	v_fmac_f32_e32 v36, v51, v95
	;; [unrolled: 1-line block ×4, first 2 shown]
	v_fma_mixlo_f16 v71, v30, v71, 0 op_sel:[0,1,0] op_sel_hi:[0,1,0]
	v_fma_mixlo_f16 v73, v30, v73, 0 op_sel:[0,1,0] op_sel_hi:[0,1,0]
	v_fma_mixlo_f16 v72, v30, v72, 0 op_sel_hi:[0,1,0]
	v_fma_mixlo_f16 v67, v30, v74, 0 op_sel_hi:[0,1,0]
	v_fmac_f32_e32 v38, v48, v50
	v_and_b32_e32 v43, 0xffff, v71
	v_and_b32_e32 v47, 0xffff, v73
	;; [unrolled: 1-line block ×3, first 2 shown]
	v_or_b32_e32 v75, v9, v75
	v_fmac_f32_e32 v38, v54, v98
	v_or_b32_e32 v48, v8, v76
	s_waitcnt lgkmcnt(0)
	v_and_b32_e32 v57, 0xffff, v99
	v_lshrrev_b32_e32 v99, 16, v99
	v_lshrrev_b32_e32 v104, 16, v100
	v_and_b32_e32 v105, 0xffff, v100
	;;#ASMSTART
	v_cvt_f32_f16 v57, v57;
	;;#ASMEND
	;;#ASMSTART
	v_cvt_f32_f16 v58, v99;
	;;#ASMEND
	;; [unrolled: 3-line block ×8, first 2 shown]
	ds_read_b64 v[103:104], v18 offset:56
	v_and_b32_e32 v105, 0xffff, v59
	v_fmac_f32_e32 v36, v57, v100
	v_fmac_f32_e32 v35, v58, v101
	;; [unrolled: 1-line block ×4, first 2 shown]
	v_fma_mixlo_f16 v9, v30, v9, 0 op_sel:[0,1,0] op_sel_hi:[0,1,0]
	v_fma_mixlo_f16 v39, v30, v75, 0 op_sel_hi:[0,1,0]
	v_fma_mixlo_f16 v48, v30, v48, 0 op_sel_hi:[0,1,0]
	s_waitcnt lgkmcnt(0)
	v_and_b32_e32 v59, 0xffff, v103
	v_lshrrev_b32_e32 v60, 16, v103
	v_lshrrev_b32_e32 v108, 16, v104
	v_and_b32_e32 v104, 0xffff, v104
	;;#ASMSTART
	v_cvt_f32_f16 v59, v59;
	;;#ASMEND
	;;#ASMSTART
	v_cvt_f32_f16 v60, v60;
	;;#ASMEND
	;; [unrolled: 3-line block ×8, first 2 shown]
	ds_read_b64 v[105:106], v18 offset:64
	v_fmac_f32_e32 v36, v59, v62
	v_fmac_f32_e32 v35, v60, v103
	v_fmac_f32_e32 v37, v104, v107
	v_fmac_f32_e32 v38, v61, v108
	s_waitcnt lgkmcnt(0)
	v_and_b32_e32 v65, 0xffff, v105
	v_lshrrev_b32_e32 v105, 16, v105
	v_lshrrev_b32_e32 v110, 16, v106
	v_and_b32_e32 v109, 0xffff, v106
	;;#ASMSTART
	v_cvt_f32_f16 v65, v65;
	;;#ASMEND
	;;#ASMSTART
	v_cvt_f32_f16 v66, v105;
	;;#ASMEND
	;; [unrolled: 3-line block ×8, first 2 shown]
	ds_read_b64 v[63:64], v18 offset:72
	v_fmac_f32_e32 v36, v65, v105
	v_fmac_f32_e32 v35, v66, v106
	;; [unrolled: 1-line block ×4, first 2 shown]
	s_waitcnt lgkmcnt(0)
	v_and_b32_e32 v1, 0xffff, v63
	v_lshrrev_b32_e32 v7, 16, v63
	v_lshrrev_b32_e32 v31, 16, v64
	v_and_b32_e32 v32, 0xffff, v64
	;;#ASMSTART
	v_cvt_f32_f16 v1, v1;
	;;#ASMEND
	;;#ASMSTART
	v_cvt_f32_f16 v7, v7;
	;;#ASMEND
	;; [unrolled: 3-line block ×8, first 2 shown]
	ds_read_b64 v[31:32], v18 offset:80
	v_fmac_f32_e32 v36, v1, v33
	v_fmac_f32_e32 v35, v7, v34
	;; [unrolled: 1-line block ×3, first 2 shown]
	v_fma_mixlo_f16 v1, v30, v8, 0 op_sel:[0,1,0] op_sel_hi:[0,1,0]
	v_and_b32_e32 v30, 0xffff, v39
	v_fmac_f32_e32 v38, v64, v69
	v_and_b32_e32 v33, 0xffff, v48
	s_waitcnt lgkmcnt(0)
	v_and_b32_e32 v40, 0xffff, v31
	v_lshrrev_b32_e32 v31, 16, v31
	v_lshrrev_b32_e32 v45, 16, v32
	v_and_b32_e32 v32, 0xffff, v32
	;;#ASMSTART
	v_cvt_f32_f16 v40, v40;
	;;#ASMEND
	;;#ASMSTART
	v_cvt_f32_f16 v41, v31;
	;;#ASMEND
	v_and_b32_e32 v31, 0xffff, v67
	;;#ASMSTART
	v_cvt_f32_f16 v42, v42;
	;;#ASMEND
	;;#ASMSTART
	v_cvt_f32_f16 v43, v43;
	;;#ASMEND
	;; [unrolled: 3-line block ×6, first 2 shown]
	ds_read_b64 v[31:32], v18 offset:88
	v_fmac_f32_e32 v36, v40, v42
	v_fmac_f32_e32 v35, v41, v43
	;; [unrolled: 1-line block ×4, first 2 shown]
	s_waitcnt lgkmcnt(0)
	v_and_b32_e32 v7, 0xffff, v31
	v_lshrrev_b32_e32 v8, 16, v31
	v_and_b32_e32 v31, 0xffff, v9
	;;#ASMSTART
	v_cvt_f32_f16 v7, v7;
	;;#ASMEND
	;;#ASMSTART
	v_cvt_f32_f16 v8, v8;
	;;#ASMEND
	;; [unrolled: 3-line block ×4, first 2 shown]
	v_and_b32_e32 v31, 0xffff, v32
	v_fmac_f32_e32 v36, v7, v9
	;;#ASMSTART
	v_cvt_f32_f16 v7, v31;
	;;#ASMEND
	v_lshrrev_b32_e32 v32, 16, v32
	v_fmac_f32_e32 v35, v8, v30
	;;#ASMSTART
	v_cvt_f32_f16 v8, v32;
	;;#ASMEND
	;;#ASMSTART
	v_cvt_f32_f16 v9, v33;
	;;#ASMEND
	v_fmac_f32_e32 v37, v7, v9
	v_xor_b32_e32 v7, 1, v16
	v_and_b32_e32 v30, 0xffff, v1
	v_add_f32_e32 v1, v36, v35
	;;#ASMSTART
	v_cvt_f32_f16 v9, v30;
	;;#ASMEND
	v_fmac_f32_e32 v38, v8, v9
	v_cmp_gt_i32_e64 s2, 32, v7
	v_add_f32_e32 v1, v1, v37
	v_cndmask_b32_e64 v7, v16, v7, s2
	v_add_f32_e32 v1, v38, v1
	v_lshlrev_b32_e32 v7, 2, v7
	ds_bpermute_b32 v7, v7, v1
	s_and_saveexec_b32 s40, vcc_lo
	s_cbranch_execz .LBB255_10
; %bb.402:                              ;   in Loop: Header=BB255_12 Depth=1
	v_add_nc_u32_e32 v8, v26, v20
	s_waitcnt lgkmcnt(0)
	v_add_f32_e32 v1, v1, v7
	v_cvt_f32_i32_e32 v8, v8
	v_mul_f32_e32 v8, s36, v8
	v_cndmask_b32_e64 v7, 0, v8, s1
	v_max_f32_e32 v8, v19, v19
	v_fmac_f32_e32 v7, s35, v1
	v_add_nc_u32_e32 v1, v17, v20
	v_max_f32_e32 v8, v8, v7
	v_cmp_gt_i32_e64 s2, s33, v1
	v_cndmask_b32_e64 v1, 0, v7, s2
	v_cndmask_b32_e64 v19, v19, v8, s2
	ds_write_b32 v27, v1
	s_branch .LBB255_10
.LBB255_403:
	s_or_b32 exec_lo, exec_lo, s38
.LBB255_404:
	s_or_b32 exec_lo, exec_lo, s37
	v_xor_b32_e32 v1, 16, v16
	v_xor_b32_e32 v3, 8, v16
	v_max_f32_e32 v5, v19, v19
	v_xor_b32_e32 v6, 2, v16
	v_and_b32_e32 v17, 31, v0
	v_cmp_gt_i32_e32 vcc_lo, 32, v1
	v_cndmask_b32_e32 v1, v16, v1, vcc_lo
	v_cmp_gt_i32_e32 vcc_lo, 32, v3
	v_lshlrev_b32_e32 v2, 2, v1
	v_cndmask_b32_e32 v3, v16, v3, vcc_lo
	ds_bpermute_b32 v1, v2, v19
	v_lshlrev_b32_e32 v4, 2, v3
	s_waitcnt lgkmcnt(0)
	v_max_f32_e32 v1, v1, v1
	v_max_f32_e32 v1, v5, v1
	v_xor_b32_e32 v5, 4, v16
	ds_bpermute_b32 v3, v4, v1
	v_cmp_gt_i32_e32 vcc_lo, 32, v5
	v_cndmask_b32_e32 v5, v16, v5, vcc_lo
	v_cmp_gt_i32_e32 vcc_lo, 32, v6
	v_lshlrev_b32_e32 v5, 2, v5
	v_cndmask_b32_e32 v6, v16, v6, vcc_lo
	v_cmp_eq_u32_e32 vcc_lo, 0, v17
	s_waitcnt lgkmcnt(0)
	v_max_f32_e32 v3, v3, v3
	v_max_f32_e32 v1, v1, v3
	ds_bpermute_b32 v3, v5, v1
	s_waitcnt lgkmcnt(0)
	v_max_f32_e32 v3, v3, v3
	v_max_f32_e32 v3, v1, v3
	v_lshlrev_b32_e32 v1, 2, v6
	v_lshlrev_b32_e32 v6, 2, v13
	ds_bpermute_b32 v7, v1, v3
	s_and_saveexec_b32 s1, vcc_lo
	s_cbranch_execz .LBB255_406
; %bb.405:
	s_waitcnt lgkmcnt(0)
	v_max_f32_e32 v7, v7, v7
	v_max_f32_e32 v3, v3, v3
	;; [unrolled: 1-line block ×3, first 2 shown]
	ds_write_b32 v6, v3 offset:192
.LBB255_406:
	s_or_b32 exec_lo, exec_lo, s1
	v_cmp_gt_u32_e64 s1, 4, v17
	v_mov_b32_e32 v3, 0xff7fffff
	s_waitcnt lgkmcnt(0)
	v_lshlrev_b32_e32 v7, 2, v17
	s_barrier
	buffer_gl0_inv
	s_and_saveexec_b32 s2, s1
; %bb.407:
	ds_read_b32 v3, v7 offset:192
; %bb.408:
	s_or_b32 exec_lo, exec_lo, s2
	s_waitcnt lgkmcnt(0)
	ds_bpermute_b32 v8, v1, v3
	v_xor_b32_e32 v9, 1, v16
	v_max_f32_e32 v3, v3, v3
	v_cmp_gt_i32_e64 s2, 32, v9
	v_cndmask_b32_e64 v9, v16, v9, s2
	s_lshl_b32 s2, s20, 4
	s_min_i32 s4, s2, s33
	v_lshlrev_b32_e32 v16, 2, v9
	v_cmp_gt_i32_e64 s2, s4, v0
	s_waitcnt lgkmcnt(0)
	v_max_f32_e32 v8, v8, v8
	v_max_f32_e32 v3, v3, v8
	ds_bpermute_b32 v8, v16, v3
	s_waitcnt lgkmcnt(0)
	v_max_f32_e32 v8, v8, v8
	v_max_f32_e32 v3, v3, v8
	v_mov_b32_e32 v8, 0
	ds_bpermute_b32 v9, v8, v3
	v_lshl_add_u32 v3, v0, 2, 0xe0
	s_and_saveexec_b32 s5, s2
	s_cbranch_execz .LBB255_412
; %bb.409:
	v_lshl_add_u32 v18, v0, 2, 0xe0
	v_mov_b32_e32 v8, 0
	v_mov_b32_e32 v19, v0
	s_mov_b32 s12, 0
	.p2align	6
.LBB255_410:                            ; =>This Inner Loop Header: Depth=1
	ds_read_b32 v20, v18
	v_add_nc_u32_e32 v19, 0x80, v19
	v_cmp_le_i32_e64 s3, s4, v19
	s_or_b32 s12, s3, s12
	s_waitcnt lgkmcnt(0)
	v_sub_f32_e32 v20, v20, v9
	v_mul_f32_e32 v20, 0x3fb8aa3b, v20
	v_exp_f32_e32 v20, v20
	ds_write_b32 v18, v20
	v_add_f32_e32 v8, v8, v20
	v_add_nc_u32_e32 v18, 0x200, v18
	s_andn2_b32 exec_lo, exec_lo, s12
	s_cbranch_execnz .LBB255_410
; %bb.411:
	s_or_b32 exec_lo, exec_lo, s12
.LBB255_412:
	s_or_b32 exec_lo, exec_lo, s5
	ds_bpermute_b32 v2, v2, v8
	s_waitcnt lgkmcnt(0)
	v_add_f32_e32 v2, v8, v2
	ds_bpermute_b32 v4, v4, v2
	s_waitcnt lgkmcnt(0)
	v_add_f32_e32 v2, v2, v4
	;; [unrolled: 3-line block ×5, first 2 shown]
	s_and_saveexec_b32 s3, vcc_lo
; %bb.413:
	ds_write_b32 v6, v2 offset:208
; %bb.414:
	s_or_b32 exec_lo, exec_lo, s3
	s_waitcnt lgkmcnt(0)
	s_barrier
	buffer_gl0_inv
	s_and_saveexec_b32 s3, s1
; %bb.415:
	ds_read_b32 v2, v7 offset:208
; %bb.416:
	s_or_b32 exec_lo, exec_lo, s3
	s_waitcnt lgkmcnt(0)
	ds_bpermute_b32 v1, v1, v2
	s_waitcnt lgkmcnt(0)
	v_add_f32_e32 v1, v2, v1
	ds_bpermute_b32 v2, v16, v1
	s_waitcnt lgkmcnt(0)
	v_add_f32_e32 v1, v1, v2
	v_mov_b32_e32 v2, 0
	ds_bpermute_b32 v1, v2, v1
	s_and_saveexec_b32 s1, s2
	s_cbranch_execz .LBB255_419
; %bb.417:
	s_waitcnt lgkmcnt(0)
	v_add_f32_e32 v1, 0x358637bd, v1
	s_mov_b32 s2, 0
	v_div_scale_f32 v2, null, v1, v1, 1.0
	v_div_scale_f32 v6, vcc_lo, 1.0, v1, 1.0
	v_rcp_f32_e32 v4, v2
	v_fma_f32 v5, -v2, v4, 1.0
	v_fmac_f32_e32 v4, v5, v4
	v_mul_f32_e32 v5, v6, v4
	v_fma_f32 v7, -v2, v5, v6
	v_fmac_f32_e32 v5, v7, v4
	v_fma_f32 v2, -v2, v5, v6
	v_div_fmas_f32 v2, v2, v4, v5
	v_div_fixup_f32 v1, v2, v1, 1.0
	v_mov_b32_e32 v2, v0
.LBB255_418:                            ; =>This Inner Loop Header: Depth=1
	ds_read_b32 v4, v3
	v_add_nc_u32_e32 v2, 0x80, v2
	v_cmp_le_i32_e32 vcc_lo, s4, v2
	s_or_b32 s2, vcc_lo, s2
	s_waitcnt lgkmcnt(0)
	v_mul_f32_e32 v4, v1, v4
	ds_write_b32 v3, v4
	v_add_nc_u32_e32 v3, 0x200, v3
	s_andn2_b32 exec_lo, exec_lo, s2
	s_cbranch_execnz .LBB255_418
.LBB255_419:
	s_or_b32 exec_lo, exec_lo, s1
	v_mov_b32_e32 v23, 0
	v_mov_b32_e32 v22, 0
	;; [unrolled: 1-line block ×6, first 2 shown]
	s_waitcnt lgkmcnt(0)
	s_barrier
	buffer_gl0_inv
	s_and_saveexec_b32 s1, s0
	s_cbranch_execz .LBB255_821
; %bb.420:
	s_sub_i32 s4, s34, s21
	s_ashr_i32 s0, s18, 31
	s_add_u32 s18, s30, s18
	s_addc_u32 s0, s31, s0
	s_abs_i32 s5, s22
	v_and_b32_e32 v3, 0xf8, v10
	v_cvt_f32_u32_e32 v1, s5
	s_sub_i32 s2, 0, s5
	v_lshlrev_b32_e32 v6, 5, v12
	v_and_b32_e32 v5, 0x7c, v15
	s_mov_b32 s12, s17
	v_rcp_iflag_f32_e32 v1, v1
	v_add_co_u32 v3, s17, s18, v3
	s_add_i32 s13, s20, -1
	v_lshl_or_b32 v8, v13, 6, v6
	v_add_co_ci_u32_e64 v4, null, s0, 0, s17
	v_and_b32_e32 v24, 8, v10
	v_mov_b32_e32 v2, 0
	v_mov_b32_e32 v15, 0x80
	v_mul_f32_e32 v1, 0x4f7ffffe, v1
	v_mov_b32_e32 v25, 0x7f
	v_mov_b32_e32 v26, 7
	;; [unrolled: 1-line block ×4, first 2 shown]
	v_cvt_u32_f32_e32 v1, v1
	v_mov_b32_e32 v19, 0
	v_mov_b32_e32 v20, 0
	;; [unrolled: 1-line block ×4, first 2 shown]
	v_mul_lo_u32 v7, s2, v1
	s_lshl_b64 s[2:3], s[28:29], 2
	v_mov_b32_e32 v23, 0
	s_add_u32 s0, s26, s2
	s_addc_u32 s2, s27, s3
	v_add_co_u32 v5, s0, s0, v5
	v_add_co_ci_u32_e64 v6, null, s2, 0, s0
	v_mul_hi_u32 v7, v1, v7
	v_add_nc_u32_e32 v28, 0xe0, v8
	v_mov_b32_e32 v30, v13
	s_mov_b32 s2, -1
	s_mov_b32 s3, 0xffffff
	s_mov_b32 s17, 0
	v_add_nc_u32_e32 v29, v1, v7
	s_branch .LBB255_423
.LBB255_421:                            ;   in Loop: Header=BB255_423 Depth=1
	s_or_b32 exec_lo, exec_lo, s0
	v_add_f32_e32 v9, v9, v10
	;;#ASMSTART
	v_pk_mul_f16 v31, v44, v51;

	;;#ASMEND
	;;#ASMSTART
	v_pk_mul_f16 v8, v43, v8;

	;;#ASMEND
	;; [unrolled: 4-line block ×4, first 2 shown]
	v_add_f32_e32 v19, v19, v9
	;;#ASMSTART
	v_pk_add_f16 v8, v31, v8;

	;;#ASMEND
	;;#ASMSTART
	v_pk_add_f16 v7, v8, v7;

	;;#ASMEND
	;; [unrolled: 4-line block ×3, first 2 shown]
	v_and_b32_e32 v9, 0xffff, v1
	v_lshrrev_b32_e32 v31, 16, v1
	;;#ASMSTART
	v_cvt_f32_f16 v9, v9;
	;;#ASMEND
	v_add_f32_e32 v10, v49, v50
	v_add_f32_e32 v1, v47, v48
	;; [unrolled: 1-line block ×4, first 2 shown]
	;;#ASMSTART
	v_cvt_f32_f16 v31, v31;
	;;#ASMEND
	v_add_f32_e32 v9, v9, v31
	v_add_f32_e32 v20, v20, v10
	;; [unrolled: 1-line block ×6, first 2 shown]
.LBB255_422:                            ;   in Loop: Header=BB255_423 Depth=1
	s_or_b32 exec_lo, exec_lo, s18
	v_add_nc_u32_e32 v30, 4, v30
	v_add_co_u32 v5, s0, v5, 16
	v_add_co_ci_u32_e64 v6, null, 0, v6, s0
	v_cmp_le_i32_e32 vcc_lo, s20, v30
	v_add_nc_u32_e32 v14, 64, v14
	v_add_nc_u32_e32 v28, 0x100, v28
	s_or_b32 s17, vcc_lo, s17
	s_andn2_b32 exec_lo, exec_lo, s17
	s_cbranch_execz .LBB255_820
.LBB255_423:                            ; =>This Inner Loop Header: Depth=1
	v_mul_hi_u32 v1, v14, s19
	v_mul_lo_u32 v7, v1, s16
	v_add_nc_u32_e32 v8, 1, v1
	v_sub_nc_u32_e32 v7, v14, v7
	v_subrev_nc_u32_e32 v9, s16, v7
	v_cmp_le_u32_e32 vcc_lo, s16, v7
	v_cndmask_b32_e32 v1, v1, v8, vcc_lo
	v_cndmask_b32_e32 v7, v7, v9, vcc_lo
	v_add_nc_u32_e32 v8, 1, v1
	v_cmp_le_u32_e32 vcc_lo, s16, v7
	v_cndmask_b32_e32 v1, v1, v8, vcc_lo
	v_xor_b32_e32 v1, s23, v1
	v_subrev_nc_u32_e32 v1, s23, v1
	v_add_nc_u32_e32 v7, s25, v1
	v_cmp_lt_i32_e64 s0, s4, v1
	v_sub_nc_u32_e32 v8, 0, v7
	v_max_i32_e32 v8, v7, v8
	v_ashrrev_i32_e32 v7, 31, v7
	v_mul_hi_u32 v9, v8, v29
	v_mul_lo_u32 v9, v9, s5
	v_sub_nc_u32_e32 v8, v8, v9
	v_subrev_nc_u32_e32 v9, s5, v8
	v_cmp_le_u32_e32 vcc_lo, s5, v8
	v_cndmask_b32_e32 v8, v8, v9, vcc_lo
	v_subrev_nc_u32_e32 v9, s5, v8
	v_cmp_le_u32_e32 vcc_lo, s5, v8
	v_cndmask_b32_e32 v8, v8, v9, vcc_lo
	v_xor_b32_e32 v8, v8, v7
	v_sub_nc_u32_e32 v7, v8, v7
	v_cmp_eq_u32_e32 vcc_lo, 0, v7
	s_or_b32 s0, vcc_lo, s0
	s_and_saveexec_b32 s18, s0
	s_cbranch_execz .LBB255_422
; %bb.424:                              ;   in Loop: Header=BB255_423 Depth=1
	global_load_dword v1, v[5:6], off
	ds_read2_b64 v[31:34], v28 offset1:1
	ds_read2_b64 v[35:38], v28 offset0:2 offset1:3
	s_waitcnt lgkmcnt(1)
	;;#ASMSTART
	v_cvt_f16_f32 v39, v31;

	;;#ASMEND
	;;#ASMSTART
	v_cvt_f16_f32 v40, v32;

	;;#ASMEND
	;; [unrolled: 4-line block ×4, first 2 shown]
	s_waitcnt lgkmcnt(0)
	;;#ASMSTART
	v_cvt_f16_f32 v44, v35;

	;;#ASMEND
	;;#ASMSTART
	v_cvt_f16_f32 v42, v36;

	;;#ASMEND
	;; [unrolled: 4-line block ×4, first 2 shown]
	v_mov_b32_e32 v33, 0
	v_mov_b32_e32 v34, 0
	global_load_dword v32, v33, s[14:15]
	s_waitcnt vmcnt(1)
	v_mad_i64_i32 v[7:8], null, v1, s12, v[3:4]
	global_load_dwordx2 v[9:10], v[7:8], off
	s_waitcnt vmcnt(0)
	v_cmp_ne_u16_sdwa s21, v9, v2 src0_sel:BYTE_0 src1_sel:DWORD
	s_and_saveexec_b32 s0, s21
	s_cbranch_execz .LBB255_432
; %bb.425:                              ;   in Loop: Header=BB255_423 Depth=1
	v_cmp_ne_u16_sdwa s22, v9, v15 src0_sel:BYTE_0 src1_sel:DWORD
	v_mov_b32_e32 v34, 0x8000
	s_and_saveexec_b32 s21, s22
	s_cbranch_execz .LBB255_431
; %bb.426:                              ;   in Loop: Header=BB255_423 Depth=1
	v_and_b32_e32 v35, 0x7f, v9
	v_mov_b32_e32 v34, 0x7c01
	s_mov_b32 s22, exec_lo
	v_cmpx_ne_u32_e32 0x7f, v35
	s_cbranch_execz .LBB255_430
; %bb.427:                              ;   in Loop: Header=BB255_423 Depth=1
	v_and_b32_e32 v1, 7, v9
	v_lshrrev_b32_e32 v31, 3, v35
	s_mov_b32 s26, exec_lo
	v_cmpx_gt_u32_e32 8, v35
; %bb.428:                              ;   in Loop: Header=BB255_423 Depth=1
	v_ffbh_u32_e32 v1, v1
	v_min_u32_e32 v1, 32, v1
	v_subrev_nc_u32_e32 v31, 28, v1
	v_lshlrev_b64 v[34:35], v31, v[9:10]
	v_sub_nc_u32_e32 v31, 29, v1
	v_and_b32_e32 v1, 7, v34
; %bb.429:                              ;   in Loop: Header=BB255_423 Depth=1
	s_or_b32 exec_lo, exec_lo, s26
	v_lshlrev_b32_e32 v34, 8, v9
	v_lshl_add_u32 v31, v31, 10, 0x2000
	v_lshlrev_b32_e32 v1, 7, v1
	v_and_b32_e32 v34, 0x8000, v34
	v_and_b32_e32 v31, 0xfc00, v31
	v_or3_b32 v34, v34, v31, v1
.LBB255_430:                            ;   in Loop: Header=BB255_423 Depth=1
	s_or_b32 exec_lo, exec_lo, s22
.LBB255_431:                            ;   in Loop: Header=BB255_423 Depth=1
	s_or_b32 exec_lo, exec_lo, s21
.LBB255_432:                            ;   in Loop: Header=BB255_423 Depth=1
	s_or_b32 exec_lo, exec_lo, s0
	v_lshrrev_b16 v1, 8, v9
	s_mov_b32 s0, exec_lo
	v_cmpx_ne_u16_e32 0, v1
	s_cbranch_execz .LBB255_440
; %bb.433:                              ;   in Loop: Header=BB255_423 Depth=1
	v_bfrev_b32_e32 v33, 1
	s_mov_b32 s21, exec_lo
	v_cmpx_ne_u16_e32 0x80, v1
	s_cbranch_execz .LBB255_439
; %bb.434:                              ;   in Loop: Header=BB255_423 Depth=1
	v_and_b32_sdwa v35, v1, v25 dst_sel:DWORD dst_unused:UNUSED_PAD src0_sel:WORD_0 src1_sel:DWORD
	v_mov_b32_e32 v33, 0x7c010000
	s_mov_b32 s22, exec_lo
	v_cmpx_ne_u32_e32 0x7f, v35
	s_cbranch_execz .LBB255_438
; %bb.435:                              ;   in Loop: Header=BB255_423 Depth=1
	v_and_b32_sdwa v31, v1, v26 dst_sel:DWORD dst_unused:UNUSED_PAD src0_sel:WORD_0 src1_sel:DWORD
	v_lshrrev_b32_e32 v33, 3, v35
	s_mov_b32 s26, exec_lo
	v_cmpx_gt_u32_e32 8, v35
; %bb.436:                              ;   in Loop: Header=BB255_423 Depth=1
	v_ffbh_u32_e32 v31, v31
	v_min_u32_e32 v31, 32, v31
	v_subrev_nc_u32_e32 v33, 28, v31
	v_lshlrev_b64 v[35:36], v33, v[1:2]
	v_sub_nc_u32_e32 v33, 29, v31
	v_and_b32_e32 v31, 7, v35
; %bb.437:                              ;   in Loop: Header=BB255_423 Depth=1
	s_or_b32 exec_lo, exec_lo, s26
	v_lshlrev_b32_sdwa v1, v27, v1 dst_sel:DWORD dst_unused:UNUSED_PAD src0_sel:DWORD src1_sel:WORD_0
	v_lshl_add_u32 v33, v33, 10, 0x2000
	v_lshlrev_b32_e32 v31, 23, v31
	v_and_or_b32 v1, 0x8000, v1, v33
	v_lshl_or_b32 v33, v1, 16, v31
.LBB255_438:                            ;   in Loop: Header=BB255_423 Depth=1
	s_or_b32 exec_lo, exec_lo, s22
.LBB255_439:                            ;   in Loop: Header=BB255_423 Depth=1
	s_or_b32 exec_lo, exec_lo, s21
.LBB255_440:                            ;   in Loop: Header=BB255_423 Depth=1
	s_or_b32 exec_lo, exec_lo, s0
	v_lshrrev_b32_e32 v1, 16, v9
	v_mov_b32_e32 v35, 0
	v_mov_b32_e32 v31, 0
	v_cmp_ne_u16_sdwa s21, v1, v2 src0_sel:BYTE_0 src1_sel:DWORD
	s_and_saveexec_b32 s0, s21
	s_cbranch_execz .LBB255_448
; %bb.441:                              ;   in Loop: Header=BB255_423 Depth=1
	v_cmp_ne_u16_sdwa s22, v1, v15 src0_sel:BYTE_0 src1_sel:DWORD
	v_mov_b32_e32 v31, 0x8000
	s_and_saveexec_b32 s21, s22
	s_cbranch_execz .LBB255_447
; %bb.442:                              ;   in Loop: Header=BB255_423 Depth=1
	v_bfe_u32 v37, v9, 16, 7
	v_mov_b32_e32 v31, 0x7c01
	s_mov_b32 s22, exec_lo
	v_cmpx_ne_u32_e32 0x7f, v37
	s_cbranch_execz .LBB255_446
; %bb.443:                              ;   in Loop: Header=BB255_423 Depth=1
	v_and_b32_e32 v31, 7, v1
	v_lshrrev_b32_e32 v36, 3, v37
	s_mov_b32 s26, exec_lo
	v_cmpx_gt_u32_e32 8, v37
; %bb.444:                              ;   in Loop: Header=BB255_423 Depth=1
	v_ffbh_u32_e32 v31, v31
	v_min_u32_e32 v31, 32, v31
	v_subrev_nc_u32_e32 v36, 28, v31
	v_lshlrev_b64 v[37:38], v36, v[1:2]
	v_sub_nc_u32_e32 v36, 29, v31
	v_and_b32_e32 v31, 7, v37
; %bb.445:                              ;   in Loop: Header=BB255_423 Depth=1
	s_or_b32 exec_lo, exec_lo, s26
	v_lshlrev_b32_e32 v1, 8, v1
	v_lshl_add_u32 v36, v36, 10, 0x2000
	v_lshlrev_b32_e32 v31, 7, v31
	v_and_b32_e32 v1, 0x8000, v1
	v_and_b32_e32 v36, 0xfc00, v36
	v_or3_b32 v31, v1, v36, v31
.LBB255_446:                            ;   in Loop: Header=BB255_423 Depth=1
	s_or_b32 exec_lo, exec_lo, s22
.LBB255_447:                            ;   in Loop: Header=BB255_423 Depth=1
	s_or_b32 exec_lo, exec_lo, s21
.LBB255_448:                            ;   in Loop: Header=BB255_423 Depth=1
	s_or_b32 exec_lo, exec_lo, s0
	s_mov_b32 s0, exec_lo
	v_cmpx_lt_u32_e32 0xffffff, v9
	s_cbranch_execz .LBB255_456
; %bb.449:                              ;   in Loop: Header=BB255_423 Depth=1
	v_lshrrev_b32_e32 v1, 24, v9
	v_bfrev_b32_e32 v35, 1
	s_mov_b32 s21, exec_lo
	v_cmpx_ne_u32_e32 0x80, v1
	s_cbranch_execz .LBB255_455
; %bb.450:                              ;   in Loop: Header=BB255_423 Depth=1
	v_and_b32_e32 v37, 0x7f, v1
	v_mov_b32_e32 v35, 0x7c010000
	s_mov_b32 s22, exec_lo
	v_cmpx_ne_u32_e32 0x7f, v37
	s_cbranch_execz .LBB255_454
; %bb.451:                              ;   in Loop: Header=BB255_423 Depth=1
	v_and_b32_e32 v35, 7, v1
	v_lshrrev_b32_e32 v36, 3, v37
	s_mov_b32 s26, exec_lo
	v_cmpx_gt_u32_e32 8, v37
; %bb.452:                              ;   in Loop: Header=BB255_423 Depth=1
	v_ffbh_u32_e32 v35, v35
	v_min_u32_e32 v37, 32, v35
	v_subrev_nc_u32_e32 v35, 28, v37
	v_lshlrev_b64 v[35:36], v35, v[1:2]
	v_sub_nc_u32_e32 v36, 29, v37
	v_and_b32_e32 v35, 7, v35
; %bb.453:                              ;   in Loop: Header=BB255_423 Depth=1
	s_or_b32 exec_lo, exec_lo, s26
	v_lshlrev_b32_e32 v1, 8, v1
	v_lshl_add_u32 v36, v36, 10, 0x2000
	v_lshlrev_b32_e32 v35, 23, v35
	v_and_or_b32 v1, 0x8000, v1, v36
	v_lshl_or_b32 v35, v1, 16, v35
.LBB255_454:                            ;   in Loop: Header=BB255_423 Depth=1
	s_or_b32 exec_lo, exec_lo, s22
.LBB255_455:                            ;   in Loop: Header=BB255_423 Depth=1
	s_or_b32 exec_lo, exec_lo, s21
.LBB255_456:                            ;   in Loop: Header=BB255_423 Depth=1
	s_or_b32 exec_lo, exec_lo, s0
	v_mov_b32_e32 v1, v10
	v_cmp_ne_u16_sdwa s21, v10, v2 src0_sel:BYTE_0 src1_sel:DWORD
	v_mov_b32_e32 v36, 0
	v_mov_b32_e32 v37, 0
	s_and_saveexec_b32 s0, s21
	s_cbranch_execz .LBB255_464
; %bb.457:                              ;   in Loop: Header=BB255_423 Depth=1
	v_cmp_ne_u16_sdwa s22, v10, v15 src0_sel:BYTE_0 src1_sel:DWORD
	v_mov_b32_e32 v37, 0x8000
	s_and_saveexec_b32 s21, s22
	s_cbranch_execz .LBB255_463
; %bb.458:                              ;   in Loop: Header=BB255_423 Depth=1
	v_and_b32_e32 v47, 0x7f, v10
	v_mov_b32_e32 v37, 0x7c01
	s_mov_b32 s22, exec_lo
	v_cmpx_ne_u32_e32 0x7f, v47
	s_cbranch_execz .LBB255_462
; %bb.459:                              ;   in Loop: Header=BB255_423 Depth=1
	v_and_b32_e32 v37, 7, v10
	v_lshrrev_b32_e32 v38, 3, v47
	s_mov_b32 s26, exec_lo
	v_cmpx_gt_u32_e32 8, v47
; %bb.460:                              ;   in Loop: Header=BB255_423 Depth=1
	v_ffbh_u32_e32 v37, v37
	v_min_u32_e32 v47, 32, v37
	v_subrev_nc_u32_e32 v37, 28, v47
	v_lshlrev_b64 v[37:38], v37, v[1:2]
	v_sub_nc_u32_e32 v38, 29, v47
	v_and_b32_e32 v37, 7, v37
; %bb.461:                              ;   in Loop: Header=BB255_423 Depth=1
	s_or_b32 exec_lo, exec_lo, s26
	v_lshlrev_b32_e32 v47, 8, v10
	v_lshl_add_u32 v38, v38, 10, 0x2000
	v_lshlrev_b32_e32 v37, 7, v37
	v_and_b32_e32 v47, 0x8000, v47
	v_and_b32_e32 v38, 0xfc00, v38
	v_or3_b32 v37, v47, v38, v37
.LBB255_462:                            ;   in Loop: Header=BB255_423 Depth=1
	s_or_b32 exec_lo, exec_lo, s22
.LBB255_463:                            ;   in Loop: Header=BB255_423 Depth=1
	s_or_b32 exec_lo, exec_lo, s21
.LBB255_464:                            ;   in Loop: Header=BB255_423 Depth=1
	s_or_b32 exec_lo, exec_lo, s0
	v_lshrrev_b16 v1, 8, v1
	v_mov_b32_e32 v38, 0
	s_mov_b32 s0, exec_lo
	v_cmpx_ne_u16_e32 0, v1
	s_cbranch_execz .LBB255_472
; %bb.465:                              ;   in Loop: Header=BB255_423 Depth=1
	v_bfrev_b32_e32 v38, 1
	s_mov_b32 s21, exec_lo
	v_cmpx_ne_u16_e32 0x80, v1
	s_cbranch_execz .LBB255_471
; %bb.466:                              ;   in Loop: Header=BB255_423 Depth=1
	v_and_b32_sdwa v48, v1, v25 dst_sel:DWORD dst_unused:UNUSED_PAD src0_sel:WORD_0 src1_sel:DWORD
	v_mov_b32_e32 v38, 0x7c010000
	s_mov_b32 s22, exec_lo
	v_cmpx_ne_u32_e32 0x7f, v48
	s_cbranch_execz .LBB255_470
; %bb.467:                              ;   in Loop: Header=BB255_423 Depth=1
	v_and_b32_sdwa v38, v1, v26 dst_sel:DWORD dst_unused:UNUSED_PAD src0_sel:WORD_0 src1_sel:DWORD
	v_lshrrev_b32_e32 v47, 3, v48
	s_mov_b32 s26, exec_lo
	v_cmpx_gt_u32_e32 8, v48
; %bb.468:                              ;   in Loop: Header=BB255_423 Depth=1
	v_ffbh_u32_e32 v38, v38
	v_min_u32_e32 v38, 32, v38
	v_subrev_nc_u32_e32 v47, 28, v38
	v_lshlrev_b64 v[48:49], v47, v[1:2]
	v_sub_nc_u32_e32 v47, 29, v38
	v_and_b32_e32 v38, 7, v48
; %bb.469:                              ;   in Loop: Header=BB255_423 Depth=1
	s_or_b32 exec_lo, exec_lo, s26
	v_lshlrev_b32_sdwa v1, v27, v1 dst_sel:DWORD dst_unused:UNUSED_PAD src0_sel:DWORD src1_sel:WORD_0
	v_lshl_add_u32 v47, v47, 10, 0x2000
	v_lshlrev_b32_e32 v38, 23, v38
	v_and_or_b32 v1, 0x8000, v1, v47
	v_lshl_or_b32 v38, v1, 16, v38
.LBB255_470:                            ;   in Loop: Header=BB255_423 Depth=1
	s_or_b32 exec_lo, exec_lo, s22
.LBB255_471:                            ;   in Loop: Header=BB255_423 Depth=1
	s_or_b32 exec_lo, exec_lo, s21
.LBB255_472:                            ;   in Loop: Header=BB255_423 Depth=1
	s_or_b32 exec_lo, exec_lo, s0
	v_lshrrev_b32_e32 v1, 16, v10
	v_cmp_ne_u16_sdwa s21, v1, v2 src0_sel:BYTE_0 src1_sel:DWORD
	s_and_saveexec_b32 s0, s21
	s_cbranch_execz .LBB255_480
; %bb.473:                              ;   in Loop: Header=BB255_423 Depth=1
	v_cmp_ne_u16_sdwa s22, v1, v15 src0_sel:BYTE_0 src1_sel:DWORD
	v_mov_b32_e32 v36, 0x8000
	s_and_saveexec_b32 s21, s22
	s_cbranch_execz .LBB255_479
; %bb.474:                              ;   in Loop: Header=BB255_423 Depth=1
	v_bfe_u32 v48, v10, 16, 7
	v_mov_b32_e32 v36, 0x7c01
	s_mov_b32 s22, exec_lo
	v_cmpx_ne_u32_e32 0x7f, v48
	s_cbranch_execz .LBB255_478
; %bb.475:                              ;   in Loop: Header=BB255_423 Depth=1
	v_and_b32_e32 v36, 7, v1
	v_lshrrev_b32_e32 v47, 3, v48
	s_mov_b32 s26, exec_lo
	v_cmpx_gt_u32_e32 8, v48
; %bb.476:                              ;   in Loop: Header=BB255_423 Depth=1
	v_ffbh_u32_e32 v36, v36
	v_min_u32_e32 v36, 32, v36
	v_subrev_nc_u32_e32 v47, 28, v36
	v_lshlrev_b64 v[48:49], v47, v[1:2]
	v_sub_nc_u32_e32 v47, 29, v36
	v_and_b32_e32 v36, 7, v48
; %bb.477:                              ;   in Loop: Header=BB255_423 Depth=1
	s_or_b32 exec_lo, exec_lo, s26
	v_lshlrev_b32_e32 v1, 8, v1
	v_lshl_add_u32 v47, v47, 10, 0x2000
	v_lshlrev_b32_e32 v36, 7, v36
	v_and_b32_e32 v1, 0x8000, v1
	v_and_b32_e32 v47, 0xfc00, v47
	v_or3_b32 v36, v1, v47, v36
.LBB255_478:                            ;   in Loop: Header=BB255_423 Depth=1
	s_or_b32 exec_lo, exec_lo, s22
.LBB255_479:                            ;   in Loop: Header=BB255_423 Depth=1
	s_or_b32 exec_lo, exec_lo, s21
.LBB255_480:                            ;   in Loop: Header=BB255_423 Depth=1
	s_or_b32 exec_lo, exec_lo, s0
	v_cmp_lt_u64_e32 vcc_lo, s[2:3], v[9:10]
	v_mov_b32_e32 v9, 0
	s_and_saveexec_b32 s0, vcc_lo
	s_cbranch_execz .LBB255_488
; %bb.481:                              ;   in Loop: Header=BB255_423 Depth=1
	v_lshrrev_b32_e32 v1, 24, v10
	v_bfrev_b32_e32 v9, 1
	s_mov_b32 s21, exec_lo
	v_cmpx_ne_u32_e32 0x80, v1
	s_cbranch_execz .LBB255_487
; %bb.482:                              ;   in Loop: Header=BB255_423 Depth=1
	v_and_b32_e32 v47, 0x7f, v1
	v_mov_b32_e32 v9, 0x7c010000
	s_mov_b32 s22, exec_lo
	v_cmpx_ne_u32_e32 0x7f, v47
	s_cbranch_execz .LBB255_486
; %bb.483:                              ;   in Loop: Header=BB255_423 Depth=1
	v_and_b32_e32 v9, 7, v1
	v_lshrrev_b32_e32 v10, 3, v47
	s_mov_b32 s26, exec_lo
	v_cmpx_gt_u32_e32 8, v47
; %bb.484:                              ;   in Loop: Header=BB255_423 Depth=1
	v_ffbh_u32_e32 v9, v9
	v_min_u32_e32 v47, 32, v9
	v_subrev_nc_u32_e32 v9, 28, v47
	v_lshlrev_b64 v[9:10], v9, v[1:2]
	v_sub_nc_u32_e32 v10, 29, v47
	v_and_b32_e32 v9, 7, v9
; %bb.485:                              ;   in Loop: Header=BB255_423 Depth=1
	s_or_b32 exec_lo, exec_lo, s26
	v_lshlrev_b32_e32 v1, 8, v1
	v_lshl_add_u32 v10, v10, 10, 0x2000
	v_lshlrev_b32_e32 v9, 23, v9
	v_and_or_b32 v1, 0x8000, v1, v10
	v_lshl_or_b32 v9, v1, 16, v9
.LBB255_486:                            ;   in Loop: Header=BB255_423 Depth=1
	s_or_b32 exec_lo, exec_lo, s22
.LBB255_487:                            ;   in Loop: Header=BB255_423 Depth=1
	s_or_b32 exec_lo, exec_lo, s21
.LBB255_488:                            ;   in Loop: Header=BB255_423 Depth=1
	s_or_b32 exec_lo, exec_lo, s0
	v_or_b32_e32 v1, v35, v31
	v_fma_mixlo_f16 v10, v32, v35, 0 op_sel:[0,1,0] op_sel_hi:[0,1,0]
	v_or_b32_e32 v34, v33, v34
	v_fma_mixlo_f16 v33, v32, v33, 0 op_sel:[0,1,0] op_sel_hi:[0,1,0]
	v_or_b32_e32 v35, v38, v37
	v_fma_mixlo_f16 v1, v32, v1, 0 op_sel_hi:[0,1,0]
	v_or_b32_e32 v36, v9, v36
	v_fma_mixlo_f16 v9, v32, v9, 0 op_sel:[0,1,0] op_sel_hi:[0,1,0]
	v_lshlrev_b32_e32 v53, 16, v33
	v_fma_mixlo_f16 v33, v32, v38, 0 op_sel:[0,1,0] op_sel_hi:[0,1,0]
	v_and_b32_e32 v50, 0xffff, v1
	v_fma_mixlo_f16 v1, v32, v34, 0 op_sel_hi:[0,1,0]
	v_fma_mixlo_f16 v34, v32, v35, 0 op_sel_hi:[0,1,0]
	;; [unrolled: 1-line block ×3, first 2 shown]
	v_add_nc_u32_e32 v31, v24, v14
	v_lshlrev_b32_e32 v10, 16, v10
	v_and_b32_e32 v55, 0xffff, v1
	v_lshlrev_b32_e32 v51, 16, v33
	v_and_b32_e32 v54, 0xffff, v34
	;; [unrolled: 2-line block ×3, first 2 shown]
	v_cmp_eq_u32_e32 vcc_lo, s13, v30
	v_or_b32_e32 v1, v10, v50
	v_or_b32_e32 v9, v53, v55
	;; [unrolled: 1-line block ×4, first 2 shown]
	v_add_nc_u32_e32 v38, 1, v31
	v_add_nc_u32_e32 v37, 2, v31
	;; [unrolled: 1-line block ×7, first 2 shown]
	s_and_saveexec_b32 s21, vcc_lo
	s_cbranch_execz .LBB255_490
; %bb.489:                              ;   in Loop: Header=BB255_423 Depth=1
	v_cmp_gt_i32_e64 s0, s33, v31
	v_cndmask_b32_e64 v1, 0, v55, s0
	v_cmp_gt_i32_e64 s0, s33, v38
	v_cndmask_b32_e64 v9, 0, v53, s0
	v_cmp_gt_i32_e64 s0, s33, v37
	v_or_b32_e32 v9, v9, v1
	v_cndmask_b32_e64 v47, 0, v50, s0
	v_cmp_gt_i32_e64 s0, s33, v36
	v_cndmask_b32_e64 v10, 0, v10, s0
	v_cmp_gt_i32_e64 s0, s33, v35
	v_or_b32_e32 v1, v10, v47
	;; [unrolled: 5-line block ×3, first 2 shown]
	v_cndmask_b32_e64 v51, 0, v52, s0
	v_cmp_gt_i32_e64 s0, s33, v32
	v_cndmask_b32_e64 v48, 0, v48, s0
	v_or_b32_e32 v49, v48, v51
.LBB255_490:                            ;   in Loop: Header=BB255_423 Depth=1
	s_or_b32 exec_lo, exec_lo, s21
	v_and_b32_e32 v10, 0xffff, v39
	v_and_b32_e32 v39, 0xffff, v43
	;; [unrolled: 1-line block ×4, first 2 shown]
	v_lshl_or_b32 v44, v40, 16, v10
	v_lshl_or_b32 v43, v41, 16, v39
	;;#ASMSTART
	v_pk_mul_f16 v9, v44, v9;

	;;#ASMEND
	;;#ASMSTART
	v_pk_mul_f16 v1, v43, v1;

	;;#ASMEND
	v_lshl_or_b32 v42, v42, 16, v48
	v_lshl_or_b32 v41, v45, 16, v46
	;;#ASMSTART
	v_pk_mul_f16 v10, v42, v47;

	;;#ASMEND
	;;#ASMSTART
	v_pk_mul_f16 v39, v41, v49;

	;;#ASMEND
	;;#ASMSTART
	v_pk_add_f16 v1, v9, v1;

	;;#ASMEND
	;;#ASMSTART
	v_pk_add_f16 v1, v1, v10;
	;; [unrolled: 4-line block ×3, first 2 shown]

	;;#ASMEND
	v_and_b32_e32 v9, 0xffff, v1
	v_lshrrev_b32_e32 v1, 16, v1
	;;#ASMSTART
	v_cvt_f32_f16 v39, v9;
	;;#ASMEND
	;;#ASMSTART
	v_cvt_f32_f16 v40, v1;
	;;#ASMEND
	global_load_dwordx2 v[9:10], v[7:8], off offset:256
	v_mov_b32_e32 v46, 0
	v_mov_b32_e32 v47, 0
	global_load_dword v45, v46, s[14:15]
	s_waitcnt vmcnt(1)
	v_cmp_ne_u16_sdwa s0, v9, v2 src0_sel:BYTE_0 src1_sel:DWORD
	s_and_saveexec_b32 s21, s0
	s_cbranch_execz .LBB255_498
; %bb.491:                              ;   in Loop: Header=BB255_423 Depth=1
	v_cmp_ne_u16_sdwa s0, v9, v15 src0_sel:BYTE_0 src1_sel:DWORD
	v_mov_b32_e32 v47, 0x8000
	s_and_saveexec_b32 s22, s0
	s_cbranch_execz .LBB255_497
; %bb.492:                              ;   in Loop: Header=BB255_423 Depth=1
	v_and_b32_e32 v48, 0x7f, v9
	v_mov_b32_e32 v47, 0x7c01
	s_mov_b32 s26, exec_lo
	v_cmpx_ne_u32_e32 0x7f, v48
	s_cbranch_execz .LBB255_496
; %bb.493:                              ;   in Loop: Header=BB255_423 Depth=1
	v_and_b32_e32 v1, 7, v9
	v_lshrrev_b32_e32 v47, 3, v48
	s_mov_b32 s27, exec_lo
	v_cmpx_gt_u32_e32 8, v48
; %bb.494:                              ;   in Loop: Header=BB255_423 Depth=1
	v_ffbh_u32_e32 v1, v1
	v_min_u32_e32 v1, 32, v1
	v_subrev_nc_u32_e32 v47, 28, v1
	v_lshlrev_b64 v[48:49], v47, v[9:10]
	v_sub_nc_u32_e32 v47, 29, v1
	v_and_b32_e32 v1, 7, v48
; %bb.495:                              ;   in Loop: Header=BB255_423 Depth=1
	s_or_b32 exec_lo, exec_lo, s27
	v_lshlrev_b32_e32 v48, 8, v9
	v_lshl_add_u32 v47, v47, 10, 0x2000
	v_lshlrev_b32_e32 v1, 7, v1
	v_and_b32_e32 v48, 0x8000, v48
	v_and_b32_e32 v47, 0xfc00, v47
	v_or3_b32 v47, v48, v47, v1
.LBB255_496:                            ;   in Loop: Header=BB255_423 Depth=1
	s_or_b32 exec_lo, exec_lo, s26
.LBB255_497:                            ;   in Loop: Header=BB255_423 Depth=1
	s_or_b32 exec_lo, exec_lo, s22
.LBB255_498:                            ;   in Loop: Header=BB255_423 Depth=1
	s_or_b32 exec_lo, exec_lo, s21
	v_lshrrev_b16 v1, 8, v9
	s_mov_b32 s21, exec_lo
	v_cmpx_ne_u16_e32 0, v1
	s_cbranch_execz .LBB255_506
; %bb.499:                              ;   in Loop: Header=BB255_423 Depth=1
	v_bfrev_b32_e32 v46, 1
	s_mov_b32 s22, exec_lo
	v_cmpx_ne_u16_e32 0x80, v1
	s_cbranch_execz .LBB255_505
; %bb.500:                              ;   in Loop: Header=BB255_423 Depth=1
	v_and_b32_sdwa v49, v1, v25 dst_sel:DWORD dst_unused:UNUSED_PAD src0_sel:WORD_0 src1_sel:DWORD
	v_mov_b32_e32 v46, 0x7c010000
	s_mov_b32 s26, exec_lo
	v_cmpx_ne_u32_e32 0x7f, v49
	s_cbranch_execz .LBB255_504
; %bb.501:                              ;   in Loop: Header=BB255_423 Depth=1
	v_and_b32_sdwa v46, v1, v26 dst_sel:DWORD dst_unused:UNUSED_PAD src0_sel:WORD_0 src1_sel:DWORD
	v_lshrrev_b32_e32 v48, 3, v49
	s_mov_b32 s27, exec_lo
	v_cmpx_gt_u32_e32 8, v49
; %bb.502:                              ;   in Loop: Header=BB255_423 Depth=1
	v_ffbh_u32_e32 v46, v46
	v_min_u32_e32 v46, 32, v46
	v_subrev_nc_u32_e32 v48, 28, v46
	v_lshlrev_b64 v[49:50], v48, v[1:2]
	v_sub_nc_u32_e32 v48, 29, v46
	v_and_b32_e32 v46, 7, v49
; %bb.503:                              ;   in Loop: Header=BB255_423 Depth=1
	s_or_b32 exec_lo, exec_lo, s27
	v_lshlrev_b32_sdwa v1, v27, v1 dst_sel:DWORD dst_unused:UNUSED_PAD src0_sel:DWORD src1_sel:WORD_0
	v_lshl_add_u32 v48, v48, 10, 0x2000
	v_lshlrev_b32_e32 v46, 23, v46
	v_and_or_b32 v1, 0x8000, v1, v48
	v_lshl_or_b32 v46, v1, 16, v46
.LBB255_504:                            ;   in Loop: Header=BB255_423 Depth=1
	s_or_b32 exec_lo, exec_lo, s26
.LBB255_505:                            ;   in Loop: Header=BB255_423 Depth=1
	s_or_b32 exec_lo, exec_lo, s22
.LBB255_506:                            ;   in Loop: Header=BB255_423 Depth=1
	s_or_b32 exec_lo, exec_lo, s21
	v_lshrrev_b32_e32 v1, 16, v9
	v_mov_b32_e32 v48, 0
	v_mov_b32_e32 v49, 0
	v_cmp_ne_u16_sdwa s0, v1, v2 src0_sel:BYTE_0 src1_sel:DWORD
	s_and_saveexec_b32 s21, s0
	s_cbranch_execz .LBB255_514
; %bb.507:                              ;   in Loop: Header=BB255_423 Depth=1
	v_cmp_ne_u16_sdwa s0, v1, v15 src0_sel:BYTE_0 src1_sel:DWORD
	v_mov_b32_e32 v49, 0x8000
	s_and_saveexec_b32 s22, s0
	s_cbranch_execz .LBB255_513
; %bb.508:                              ;   in Loop: Header=BB255_423 Depth=1
	v_bfe_u32 v51, v9, 16, 7
	v_mov_b32_e32 v49, 0x7c01
	s_mov_b32 s26, exec_lo
	v_cmpx_ne_u32_e32 0x7f, v51
	s_cbranch_execz .LBB255_512
; %bb.509:                              ;   in Loop: Header=BB255_423 Depth=1
	v_and_b32_e32 v49, 7, v1
	v_lshrrev_b32_e32 v50, 3, v51
	s_mov_b32 s27, exec_lo
	v_cmpx_gt_u32_e32 8, v51
; %bb.510:                              ;   in Loop: Header=BB255_423 Depth=1
	v_ffbh_u32_e32 v49, v49
	v_min_u32_e32 v51, 32, v49
	v_subrev_nc_u32_e32 v49, 28, v51
	v_lshlrev_b64 v[49:50], v49, v[1:2]
	v_sub_nc_u32_e32 v50, 29, v51
	v_and_b32_e32 v49, 7, v49
; %bb.511:                              ;   in Loop: Header=BB255_423 Depth=1
	s_or_b32 exec_lo, exec_lo, s27
	v_lshlrev_b32_e32 v1, 8, v1
	v_lshl_add_u32 v50, v50, 10, 0x2000
	v_lshlrev_b32_e32 v49, 7, v49
	v_and_b32_e32 v1, 0x8000, v1
	v_and_b32_e32 v50, 0xfc00, v50
	v_or3_b32 v49, v1, v50, v49
.LBB255_512:                            ;   in Loop: Header=BB255_423 Depth=1
	s_or_b32 exec_lo, exec_lo, s26
.LBB255_513:                            ;   in Loop: Header=BB255_423 Depth=1
	s_or_b32 exec_lo, exec_lo, s22
.LBB255_514:                            ;   in Loop: Header=BB255_423 Depth=1
	s_or_b32 exec_lo, exec_lo, s21
	s_mov_b32 s21, exec_lo
	v_cmpx_lt_u32_e32 0xffffff, v9
	s_cbranch_execz .LBB255_522
; %bb.515:                              ;   in Loop: Header=BB255_423 Depth=1
	v_lshrrev_b32_e32 v1, 24, v9
	v_bfrev_b32_e32 v48, 1
	s_mov_b32 s22, exec_lo
	v_cmpx_ne_u32_e32 0x80, v1
	s_cbranch_execz .LBB255_521
; %bb.516:                              ;   in Loop: Header=BB255_423 Depth=1
	v_and_b32_e32 v51, 0x7f, v1
	v_mov_b32_e32 v48, 0x7c010000
	s_mov_b32 s26, exec_lo
	v_cmpx_ne_u32_e32 0x7f, v51
	s_cbranch_execz .LBB255_520
; %bb.517:                              ;   in Loop: Header=BB255_423 Depth=1
	v_and_b32_e32 v48, 7, v1
	v_lshrrev_b32_e32 v50, 3, v51
	s_mov_b32 s27, exec_lo
	v_cmpx_gt_u32_e32 8, v51
; %bb.518:                              ;   in Loop: Header=BB255_423 Depth=1
	v_ffbh_u32_e32 v48, v48
	v_min_u32_e32 v48, 32, v48
	v_subrev_nc_u32_e32 v50, 28, v48
	v_lshlrev_b64 v[51:52], v50, v[1:2]
	v_sub_nc_u32_e32 v50, 29, v48
	v_and_b32_e32 v48, 7, v51
; %bb.519:                              ;   in Loop: Header=BB255_423 Depth=1
	s_or_b32 exec_lo, exec_lo, s27
	v_lshlrev_b32_e32 v1, 8, v1
	v_lshl_add_u32 v50, v50, 10, 0x2000
	v_lshlrev_b32_e32 v48, 23, v48
	v_and_or_b32 v1, 0x8000, v1, v50
	v_lshl_or_b32 v48, v1, 16, v48
.LBB255_520:                            ;   in Loop: Header=BB255_423 Depth=1
	s_or_b32 exec_lo, exec_lo, s26
.LBB255_521:                            ;   in Loop: Header=BB255_423 Depth=1
	s_or_b32 exec_lo, exec_lo, s22
.LBB255_522:                            ;   in Loop: Header=BB255_423 Depth=1
	s_or_b32 exec_lo, exec_lo, s21
	v_mov_b32_e32 v1, v10
	v_cmp_ne_u16_sdwa s0, v10, v2 src0_sel:BYTE_0 src1_sel:DWORD
	v_mov_b32_e32 v50, 0
	v_mov_b32_e32 v51, 0
	s_and_saveexec_b32 s21, s0
	s_cbranch_execz .LBB255_530
; %bb.523:                              ;   in Loop: Header=BB255_423 Depth=1
	v_cmp_ne_u16_sdwa s0, v10, v15 src0_sel:BYTE_0 src1_sel:DWORD
	v_mov_b32_e32 v51, 0x8000
	s_and_saveexec_b32 s22, s0
	s_cbranch_execz .LBB255_529
; %bb.524:                              ;   in Loop: Header=BB255_423 Depth=1
	v_and_b32_e32 v53, 0x7f, v10
	v_mov_b32_e32 v51, 0x7c01
	s_mov_b32 s26, exec_lo
	v_cmpx_ne_u32_e32 0x7f, v53
	s_cbranch_execz .LBB255_528
; %bb.525:                              ;   in Loop: Header=BB255_423 Depth=1
	v_and_b32_e32 v51, 7, v10
	v_lshrrev_b32_e32 v52, 3, v53
	s_mov_b32 s27, exec_lo
	v_cmpx_gt_u32_e32 8, v53
; %bb.526:                              ;   in Loop: Header=BB255_423 Depth=1
	v_ffbh_u32_e32 v51, v51
	v_min_u32_e32 v53, 32, v51
	v_subrev_nc_u32_e32 v51, 28, v53
	v_lshlrev_b64 v[51:52], v51, v[1:2]
	v_sub_nc_u32_e32 v52, 29, v53
	v_and_b32_e32 v51, 7, v51
; %bb.527:                              ;   in Loop: Header=BB255_423 Depth=1
	s_or_b32 exec_lo, exec_lo, s27
	v_lshlrev_b32_e32 v53, 8, v10
	v_lshl_add_u32 v52, v52, 10, 0x2000
	v_lshlrev_b32_e32 v51, 7, v51
	v_and_b32_e32 v53, 0x8000, v53
	v_and_b32_e32 v52, 0xfc00, v52
	v_or3_b32 v51, v53, v52, v51
.LBB255_528:                            ;   in Loop: Header=BB255_423 Depth=1
	s_or_b32 exec_lo, exec_lo, s26
.LBB255_529:                            ;   in Loop: Header=BB255_423 Depth=1
	s_or_b32 exec_lo, exec_lo, s22
.LBB255_530:                            ;   in Loop: Header=BB255_423 Depth=1
	s_or_b32 exec_lo, exec_lo, s21
	v_lshrrev_b16 v1, 8, v1
	v_mov_b32_e32 v52, 0
	s_mov_b32 s21, exec_lo
	v_cmpx_ne_u16_e32 0, v1
	s_cbranch_execz .LBB255_538
; %bb.531:                              ;   in Loop: Header=BB255_423 Depth=1
	v_bfrev_b32_e32 v52, 1
	s_mov_b32 s22, exec_lo
	v_cmpx_ne_u16_e32 0x80, v1
	s_cbranch_execz .LBB255_537
; %bb.532:                              ;   in Loop: Header=BB255_423 Depth=1
	v_and_b32_sdwa v54, v1, v25 dst_sel:DWORD dst_unused:UNUSED_PAD src0_sel:WORD_0 src1_sel:DWORD
	v_mov_b32_e32 v52, 0x7c010000
	s_mov_b32 s26, exec_lo
	v_cmpx_ne_u32_e32 0x7f, v54
	s_cbranch_execz .LBB255_536
; %bb.533:                              ;   in Loop: Header=BB255_423 Depth=1
	v_and_b32_sdwa v52, v1, v26 dst_sel:DWORD dst_unused:UNUSED_PAD src0_sel:WORD_0 src1_sel:DWORD
	v_lshrrev_b32_e32 v53, 3, v54
	s_mov_b32 s27, exec_lo
	v_cmpx_gt_u32_e32 8, v54
; %bb.534:                              ;   in Loop: Header=BB255_423 Depth=1
	v_ffbh_u32_e32 v52, v52
	v_min_u32_e32 v54, 32, v52
	v_subrev_nc_u32_e32 v52, 28, v54
	v_lshlrev_b64 v[52:53], v52, v[1:2]
	v_sub_nc_u32_e32 v53, 29, v54
	v_and_b32_e32 v52, 7, v52
; %bb.535:                              ;   in Loop: Header=BB255_423 Depth=1
	s_or_b32 exec_lo, exec_lo, s27
	v_lshlrev_b32_sdwa v1, v27, v1 dst_sel:DWORD dst_unused:UNUSED_PAD src0_sel:DWORD src1_sel:WORD_0
	v_lshl_add_u32 v53, v53, 10, 0x2000
	v_lshlrev_b32_e32 v52, 23, v52
	v_and_or_b32 v1, 0x8000, v1, v53
	v_lshl_or_b32 v52, v1, 16, v52
.LBB255_536:                            ;   in Loop: Header=BB255_423 Depth=1
	s_or_b32 exec_lo, exec_lo, s26
.LBB255_537:                            ;   in Loop: Header=BB255_423 Depth=1
	s_or_b32 exec_lo, exec_lo, s22
.LBB255_538:                            ;   in Loop: Header=BB255_423 Depth=1
	s_or_b32 exec_lo, exec_lo, s21
	v_lshrrev_b32_e32 v1, 16, v10
	v_cmp_ne_u16_sdwa s0, v1, v2 src0_sel:BYTE_0 src1_sel:DWORD
	s_and_saveexec_b32 s21, s0
	s_cbranch_execz .LBB255_546
; %bb.539:                              ;   in Loop: Header=BB255_423 Depth=1
	v_cmp_ne_u16_sdwa s0, v1, v15 src0_sel:BYTE_0 src1_sel:DWORD
	v_mov_b32_e32 v50, 0x8000
	s_and_saveexec_b32 s22, s0
	s_cbranch_execz .LBB255_545
; %bb.540:                              ;   in Loop: Header=BB255_423 Depth=1
	v_bfe_u32 v54, v10, 16, 7
	v_mov_b32_e32 v50, 0x7c01
	s_mov_b32 s26, exec_lo
	v_cmpx_ne_u32_e32 0x7f, v54
	s_cbranch_execz .LBB255_544
; %bb.541:                              ;   in Loop: Header=BB255_423 Depth=1
	v_and_b32_e32 v50, 7, v1
	v_lshrrev_b32_e32 v53, 3, v54
	s_mov_b32 s27, exec_lo
	v_cmpx_gt_u32_e32 8, v54
; %bb.542:                              ;   in Loop: Header=BB255_423 Depth=1
	v_ffbh_u32_e32 v50, v50
	v_min_u32_e32 v50, 32, v50
	v_subrev_nc_u32_e32 v53, 28, v50
	v_lshlrev_b64 v[54:55], v53, v[1:2]
	v_sub_nc_u32_e32 v53, 29, v50
	v_and_b32_e32 v50, 7, v54
; %bb.543:                              ;   in Loop: Header=BB255_423 Depth=1
	s_or_b32 exec_lo, exec_lo, s27
	v_lshlrev_b32_e32 v1, 8, v1
	v_lshl_add_u32 v53, v53, 10, 0x2000
	v_lshlrev_b32_e32 v50, 7, v50
	v_and_b32_e32 v1, 0x8000, v1
	v_and_b32_e32 v53, 0xfc00, v53
	v_or3_b32 v50, v1, v53, v50
.LBB255_544:                            ;   in Loop: Header=BB255_423 Depth=1
	s_or_b32 exec_lo, exec_lo, s26
.LBB255_545:                            ;   in Loop: Header=BB255_423 Depth=1
	s_or_b32 exec_lo, exec_lo, s22
.LBB255_546:                            ;   in Loop: Header=BB255_423 Depth=1
	s_or_b32 exec_lo, exec_lo, s21
	v_cmp_lt_u64_e64 s0, s[2:3], v[9:10]
	v_mov_b32_e32 v9, 0
	s_and_saveexec_b32 s21, s0
	s_cbranch_execz .LBB255_554
; %bb.547:                              ;   in Loop: Header=BB255_423 Depth=1
	v_lshrrev_b32_e32 v1, 24, v10
	v_bfrev_b32_e32 v9, 1
	s_mov_b32 s22, exec_lo
	v_cmpx_ne_u32_e32 0x80, v1
	s_cbranch_execz .LBB255_553
; %bb.548:                              ;   in Loop: Header=BB255_423 Depth=1
	v_and_b32_e32 v53, 0x7f, v1
	v_mov_b32_e32 v9, 0x7c010000
	s_mov_b32 s26, exec_lo
	v_cmpx_ne_u32_e32 0x7f, v53
	s_cbranch_execz .LBB255_552
; %bb.549:                              ;   in Loop: Header=BB255_423 Depth=1
	v_and_b32_e32 v9, 7, v1
	v_lshrrev_b32_e32 v10, 3, v53
	s_mov_b32 s27, exec_lo
	v_cmpx_gt_u32_e32 8, v53
; %bb.550:                              ;   in Loop: Header=BB255_423 Depth=1
	v_ffbh_u32_e32 v9, v9
	v_min_u32_e32 v53, 32, v9
	v_subrev_nc_u32_e32 v9, 28, v53
	v_lshlrev_b64 v[9:10], v9, v[1:2]
	v_sub_nc_u32_e32 v10, 29, v53
	v_and_b32_e32 v9, 7, v9
; %bb.551:                              ;   in Loop: Header=BB255_423 Depth=1
	s_or_b32 exec_lo, exec_lo, s27
	v_lshlrev_b32_e32 v1, 8, v1
	v_lshl_add_u32 v10, v10, 10, 0x2000
	v_lshlrev_b32_e32 v9, 23, v9
	v_and_or_b32 v1, 0x8000, v1, v10
	v_lshl_or_b32 v9, v1, 16, v9
.LBB255_552:                            ;   in Loop: Header=BB255_423 Depth=1
	s_or_b32 exec_lo, exec_lo, s26
.LBB255_553:                            ;   in Loop: Header=BB255_423 Depth=1
	s_or_b32 exec_lo, exec_lo, s22
.LBB255_554:                            ;   in Loop: Header=BB255_423 Depth=1
	s_or_b32 exec_lo, exec_lo, s21
	v_or_b32_e32 v1, v48, v49
	s_waitcnt vmcnt(0)
	v_fma_mixlo_f16 v10, v45, v48, 0 op_sel:[0,1,0] op_sel_hi:[0,1,0]
	v_or_b32_e32 v48, v46, v47
	v_fma_mixlo_f16 v46, v45, v46, 0 op_sel:[0,1,0] op_sel_hi:[0,1,0]
	v_or_b32_e32 v49, v52, v51
	v_or_b32_e32 v50, v9, v50
	v_fma_mixlo_f16 v51, v45, v1, 0 op_sel_hi:[0,1,0]
	v_fma_mixlo_f16 v9, v45, v9, 0 op_sel:[0,1,0] op_sel_hi:[0,1,0]
	v_lshlrev_b32_e32 v47, 16, v46
	v_fma_mixlo_f16 v46, v45, v48, 0 op_sel_hi:[0,1,0]
	v_fma_mixlo_f16 v48, v45, v52, 0 op_sel:[0,1,0] op_sel_hi:[0,1,0]
	v_fma_mixlo_f16 v49, v45, v49, 0 op_sel_hi:[0,1,0]
	v_fma_mixlo_f16 v50, v45, v50, 0 op_sel_hi:[0,1,0]
	v_lshlrev_b32_e32 v1, 16, v10
	v_and_b32_e32 v10, 0xffff, v51
	v_and_b32_e32 v53, 0xffff, v46
	v_lshlrev_b32_e32 v45, 16, v48
	v_and_b32_e32 v49, 0xffff, v49
	v_lshlrev_b32_e32 v9, 16, v9
	v_and_b32_e32 v46, 0xffff, v50
	v_or_b32_e32 v48, v1, v10
	v_or_b32_e32 v52, v47, v53
	;; [unrolled: 1-line block ×4, first 2 shown]
	s_and_saveexec_b32 s21, vcc_lo
	s_cbranch_execz .LBB255_556
; %bb.555:                              ;   in Loop: Header=BB255_423 Depth=1
	v_cmp_gt_i32_e64 s0, s33, v31
	v_cndmask_b32_e64 v48, 0, v53, s0
	v_cmp_gt_i32_e64 s0, s33, v38
	v_cndmask_b32_e64 v47, 0, v47, s0
	v_cmp_gt_i32_e64 s0, s33, v37
	v_or_b32_e32 v52, v47, v48
	v_cndmask_b32_e64 v10, 0, v10, s0
	v_cmp_gt_i32_e64 s0, s33, v36
	v_cndmask_b32_e64 v1, 0, v1, s0
	v_cmp_gt_i32_e64 s0, s33, v35
	v_or_b32_e32 v48, v1, v10
	v_cndmask_b32_e64 v49, 0, v49, s0
	v_cmp_gt_i32_e64 s0, s33, v34
	v_cndmask_b32_e64 v45, 0, v45, s0
	v_cmp_gt_i32_e64 s0, s33, v33
	v_or_b32_e32 v51, v45, v49
	v_cndmask_b32_e64 v46, 0, v46, s0
	v_cmp_gt_i32_e64 s0, s33, v32
	v_cndmask_b32_e64 v9, 0, v9, s0
	v_or_b32_e32 v50, v9, v46
.LBB255_556:                            ;   in Loop: Header=BB255_423 Depth=1
	s_or_b32 exec_lo, exec_lo, s21
	;;#ASMSTART
	v_pk_mul_f16 v1, v44, v52;

	;;#ASMEND
	;;#ASMSTART
	v_pk_mul_f16 v9, v43, v48;

	;;#ASMEND
	;; [unrolled: 4-line block ×4, first 2 shown]
	;;#ASMSTART
	v_pk_add_f16 v1, v1, v9;

	;;#ASMEND
	;;#ASMSTART
	v_pk_add_f16 v1, v1, v10;

	;;#ASMEND
	;; [unrolled: 4-line block ×3, first 2 shown]
	v_and_b32_e32 v9, 0xffff, v1
	v_lshrrev_b32_e32 v1, 16, v1
	;;#ASMSTART
	v_cvt_f32_f16 v45, v9;
	;;#ASMEND
	;;#ASMSTART
	v_cvt_f32_f16 v46, v1;
	;;#ASMEND
	global_load_dwordx2 v[9:10], v[7:8], off offset:512
	v_mov_b32_e32 v48, 0
	v_mov_b32_e32 v49, 0
	global_load_dword v47, v48, s[14:15]
	s_waitcnt vmcnt(1)
	v_cmp_ne_u16_sdwa s0, v9, v2 src0_sel:BYTE_0 src1_sel:DWORD
	s_and_saveexec_b32 s21, s0
	s_cbranch_execz .LBB255_564
; %bb.557:                              ;   in Loop: Header=BB255_423 Depth=1
	v_cmp_ne_u16_sdwa s0, v9, v15 src0_sel:BYTE_0 src1_sel:DWORD
	v_mov_b32_e32 v49, 0x8000
	s_and_saveexec_b32 s22, s0
	s_cbranch_execz .LBB255_563
; %bb.558:                              ;   in Loop: Header=BB255_423 Depth=1
	v_and_b32_e32 v50, 0x7f, v9
	v_mov_b32_e32 v49, 0x7c01
	s_mov_b32 s26, exec_lo
	v_cmpx_ne_u32_e32 0x7f, v50
	s_cbranch_execz .LBB255_562
; %bb.559:                              ;   in Loop: Header=BB255_423 Depth=1
	v_and_b32_e32 v1, 7, v9
	v_lshrrev_b32_e32 v49, 3, v50
	s_mov_b32 s27, exec_lo
	v_cmpx_gt_u32_e32 8, v50
; %bb.560:                              ;   in Loop: Header=BB255_423 Depth=1
	v_ffbh_u32_e32 v1, v1
	v_min_u32_e32 v1, 32, v1
	v_subrev_nc_u32_e32 v49, 28, v1
	v_lshlrev_b64 v[50:51], v49, v[9:10]
	v_sub_nc_u32_e32 v49, 29, v1
	v_and_b32_e32 v1, 7, v50
; %bb.561:                              ;   in Loop: Header=BB255_423 Depth=1
	s_or_b32 exec_lo, exec_lo, s27
	v_lshlrev_b32_e32 v50, 8, v9
	v_lshl_add_u32 v49, v49, 10, 0x2000
	v_lshlrev_b32_e32 v1, 7, v1
	v_and_b32_e32 v50, 0x8000, v50
	v_and_b32_e32 v49, 0xfc00, v49
	v_or3_b32 v49, v50, v49, v1
.LBB255_562:                            ;   in Loop: Header=BB255_423 Depth=1
	s_or_b32 exec_lo, exec_lo, s26
.LBB255_563:                            ;   in Loop: Header=BB255_423 Depth=1
	s_or_b32 exec_lo, exec_lo, s22
.LBB255_564:                            ;   in Loop: Header=BB255_423 Depth=1
	s_or_b32 exec_lo, exec_lo, s21
	v_lshrrev_b16 v1, 8, v9
	s_mov_b32 s21, exec_lo
	v_cmpx_ne_u16_e32 0, v1
	s_cbranch_execz .LBB255_572
; %bb.565:                              ;   in Loop: Header=BB255_423 Depth=1
	v_bfrev_b32_e32 v48, 1
	s_mov_b32 s22, exec_lo
	v_cmpx_ne_u16_e32 0x80, v1
	s_cbranch_execz .LBB255_571
; %bb.566:                              ;   in Loop: Header=BB255_423 Depth=1
	v_and_b32_sdwa v51, v1, v25 dst_sel:DWORD dst_unused:UNUSED_PAD src0_sel:WORD_0 src1_sel:DWORD
	v_mov_b32_e32 v48, 0x7c010000
	s_mov_b32 s26, exec_lo
	v_cmpx_ne_u32_e32 0x7f, v51
	s_cbranch_execz .LBB255_570
; %bb.567:                              ;   in Loop: Header=BB255_423 Depth=1
	v_and_b32_sdwa v48, v1, v26 dst_sel:DWORD dst_unused:UNUSED_PAD src0_sel:WORD_0 src1_sel:DWORD
	v_lshrrev_b32_e32 v50, 3, v51
	s_mov_b32 s27, exec_lo
	v_cmpx_gt_u32_e32 8, v51
; %bb.568:                              ;   in Loop: Header=BB255_423 Depth=1
	v_ffbh_u32_e32 v48, v48
	v_min_u32_e32 v48, 32, v48
	v_subrev_nc_u32_e32 v50, 28, v48
	v_lshlrev_b64 v[51:52], v50, v[1:2]
	v_sub_nc_u32_e32 v50, 29, v48
	v_and_b32_e32 v48, 7, v51
; %bb.569:                              ;   in Loop: Header=BB255_423 Depth=1
	s_or_b32 exec_lo, exec_lo, s27
	v_lshlrev_b32_sdwa v1, v27, v1 dst_sel:DWORD dst_unused:UNUSED_PAD src0_sel:DWORD src1_sel:WORD_0
	v_lshl_add_u32 v50, v50, 10, 0x2000
	v_lshlrev_b32_e32 v48, 23, v48
	v_and_or_b32 v1, 0x8000, v1, v50
	v_lshl_or_b32 v48, v1, 16, v48
.LBB255_570:                            ;   in Loop: Header=BB255_423 Depth=1
	s_or_b32 exec_lo, exec_lo, s26
.LBB255_571:                            ;   in Loop: Header=BB255_423 Depth=1
	s_or_b32 exec_lo, exec_lo, s22
.LBB255_572:                            ;   in Loop: Header=BB255_423 Depth=1
	s_or_b32 exec_lo, exec_lo, s21
	v_lshrrev_b32_e32 v1, 16, v9
	v_mov_b32_e32 v50, 0
	v_mov_b32_e32 v51, 0
	v_cmp_ne_u16_sdwa s0, v1, v2 src0_sel:BYTE_0 src1_sel:DWORD
	s_and_saveexec_b32 s21, s0
	s_cbranch_execz .LBB255_580
; %bb.573:                              ;   in Loop: Header=BB255_423 Depth=1
	v_cmp_ne_u16_sdwa s0, v1, v15 src0_sel:BYTE_0 src1_sel:DWORD
	v_mov_b32_e32 v51, 0x8000
	s_and_saveexec_b32 s22, s0
	s_cbranch_execz .LBB255_579
; %bb.574:                              ;   in Loop: Header=BB255_423 Depth=1
	v_bfe_u32 v53, v9, 16, 7
	v_mov_b32_e32 v51, 0x7c01
	s_mov_b32 s26, exec_lo
	v_cmpx_ne_u32_e32 0x7f, v53
	s_cbranch_execz .LBB255_578
; %bb.575:                              ;   in Loop: Header=BB255_423 Depth=1
	v_and_b32_e32 v51, 7, v1
	v_lshrrev_b32_e32 v52, 3, v53
	s_mov_b32 s27, exec_lo
	v_cmpx_gt_u32_e32 8, v53
; %bb.576:                              ;   in Loop: Header=BB255_423 Depth=1
	v_ffbh_u32_e32 v51, v51
	v_min_u32_e32 v53, 32, v51
	v_subrev_nc_u32_e32 v51, 28, v53
	v_lshlrev_b64 v[51:52], v51, v[1:2]
	v_sub_nc_u32_e32 v52, 29, v53
	v_and_b32_e32 v51, 7, v51
; %bb.577:                              ;   in Loop: Header=BB255_423 Depth=1
	s_or_b32 exec_lo, exec_lo, s27
	v_lshlrev_b32_e32 v1, 8, v1
	v_lshl_add_u32 v52, v52, 10, 0x2000
	v_lshlrev_b32_e32 v51, 7, v51
	v_and_b32_e32 v1, 0x8000, v1
	v_and_b32_e32 v52, 0xfc00, v52
	v_or3_b32 v51, v1, v52, v51
.LBB255_578:                            ;   in Loop: Header=BB255_423 Depth=1
	s_or_b32 exec_lo, exec_lo, s26
.LBB255_579:                            ;   in Loop: Header=BB255_423 Depth=1
	s_or_b32 exec_lo, exec_lo, s22
.LBB255_580:                            ;   in Loop: Header=BB255_423 Depth=1
	s_or_b32 exec_lo, exec_lo, s21
	s_mov_b32 s21, exec_lo
	v_cmpx_lt_u32_e32 0xffffff, v9
	s_cbranch_execz .LBB255_588
; %bb.581:                              ;   in Loop: Header=BB255_423 Depth=1
	v_lshrrev_b32_e32 v1, 24, v9
	v_bfrev_b32_e32 v50, 1
	s_mov_b32 s22, exec_lo
	v_cmpx_ne_u32_e32 0x80, v1
	s_cbranch_execz .LBB255_587
; %bb.582:                              ;   in Loop: Header=BB255_423 Depth=1
	v_and_b32_e32 v53, 0x7f, v1
	v_mov_b32_e32 v50, 0x7c010000
	s_mov_b32 s26, exec_lo
	v_cmpx_ne_u32_e32 0x7f, v53
	s_cbranch_execz .LBB255_586
; %bb.583:                              ;   in Loop: Header=BB255_423 Depth=1
	v_and_b32_e32 v50, 7, v1
	v_lshrrev_b32_e32 v52, 3, v53
	s_mov_b32 s27, exec_lo
	v_cmpx_gt_u32_e32 8, v53
; %bb.584:                              ;   in Loop: Header=BB255_423 Depth=1
	v_ffbh_u32_e32 v50, v50
	v_min_u32_e32 v50, 32, v50
	v_subrev_nc_u32_e32 v52, 28, v50
	v_lshlrev_b64 v[53:54], v52, v[1:2]
	v_sub_nc_u32_e32 v52, 29, v50
	v_and_b32_e32 v50, 7, v53
; %bb.585:                              ;   in Loop: Header=BB255_423 Depth=1
	s_or_b32 exec_lo, exec_lo, s27
	v_lshlrev_b32_e32 v1, 8, v1
	v_lshl_add_u32 v52, v52, 10, 0x2000
	v_lshlrev_b32_e32 v50, 23, v50
	v_and_or_b32 v1, 0x8000, v1, v52
	v_lshl_or_b32 v50, v1, 16, v50
.LBB255_586:                            ;   in Loop: Header=BB255_423 Depth=1
	s_or_b32 exec_lo, exec_lo, s26
.LBB255_587:                            ;   in Loop: Header=BB255_423 Depth=1
	s_or_b32 exec_lo, exec_lo, s22
.LBB255_588:                            ;   in Loop: Header=BB255_423 Depth=1
	s_or_b32 exec_lo, exec_lo, s21
	v_mov_b32_e32 v1, v10
	v_cmp_ne_u16_sdwa s0, v10, v2 src0_sel:BYTE_0 src1_sel:DWORD
	v_mov_b32_e32 v52, 0
	v_mov_b32_e32 v53, 0
	s_and_saveexec_b32 s21, s0
	s_cbranch_execz .LBB255_596
; %bb.589:                              ;   in Loop: Header=BB255_423 Depth=1
	v_cmp_ne_u16_sdwa s0, v10, v15 src0_sel:BYTE_0 src1_sel:DWORD
	v_mov_b32_e32 v53, 0x8000
	s_and_saveexec_b32 s22, s0
	s_cbranch_execz .LBB255_595
; %bb.590:                              ;   in Loop: Header=BB255_423 Depth=1
	v_and_b32_e32 v55, 0x7f, v10
	v_mov_b32_e32 v53, 0x7c01
	s_mov_b32 s26, exec_lo
	v_cmpx_ne_u32_e32 0x7f, v55
	s_cbranch_execz .LBB255_594
; %bb.591:                              ;   in Loop: Header=BB255_423 Depth=1
	v_and_b32_e32 v53, 7, v10
	v_lshrrev_b32_e32 v54, 3, v55
	s_mov_b32 s27, exec_lo
	v_cmpx_gt_u32_e32 8, v55
; %bb.592:                              ;   in Loop: Header=BB255_423 Depth=1
	v_ffbh_u32_e32 v53, v53
	v_min_u32_e32 v55, 32, v53
	v_subrev_nc_u32_e32 v53, 28, v55
	v_lshlrev_b64 v[53:54], v53, v[1:2]
	v_sub_nc_u32_e32 v54, 29, v55
	v_and_b32_e32 v53, 7, v53
; %bb.593:                              ;   in Loop: Header=BB255_423 Depth=1
	s_or_b32 exec_lo, exec_lo, s27
	v_lshlrev_b32_e32 v55, 8, v10
	v_lshl_add_u32 v54, v54, 10, 0x2000
	v_lshlrev_b32_e32 v53, 7, v53
	v_and_b32_e32 v55, 0x8000, v55
	v_and_b32_e32 v54, 0xfc00, v54
	v_or3_b32 v53, v55, v54, v53
.LBB255_594:                            ;   in Loop: Header=BB255_423 Depth=1
	s_or_b32 exec_lo, exec_lo, s26
.LBB255_595:                            ;   in Loop: Header=BB255_423 Depth=1
	s_or_b32 exec_lo, exec_lo, s22
.LBB255_596:                            ;   in Loop: Header=BB255_423 Depth=1
	s_or_b32 exec_lo, exec_lo, s21
	v_lshrrev_b16 v1, 8, v1
	v_mov_b32_e32 v54, 0
	s_mov_b32 s21, exec_lo
	v_cmpx_ne_u16_e32 0, v1
	s_cbranch_execz .LBB255_604
; %bb.597:                              ;   in Loop: Header=BB255_423 Depth=1
	v_bfrev_b32_e32 v54, 1
	s_mov_b32 s22, exec_lo
	v_cmpx_ne_u16_e32 0x80, v1
	s_cbranch_execz .LBB255_603
; %bb.598:                              ;   in Loop: Header=BB255_423 Depth=1
	v_and_b32_sdwa v56, v1, v25 dst_sel:DWORD dst_unused:UNUSED_PAD src0_sel:WORD_0 src1_sel:DWORD
	v_mov_b32_e32 v54, 0x7c010000
	s_mov_b32 s26, exec_lo
	v_cmpx_ne_u32_e32 0x7f, v56
	s_cbranch_execz .LBB255_602
; %bb.599:                              ;   in Loop: Header=BB255_423 Depth=1
	v_and_b32_sdwa v54, v1, v26 dst_sel:DWORD dst_unused:UNUSED_PAD src0_sel:WORD_0 src1_sel:DWORD
	v_lshrrev_b32_e32 v55, 3, v56
	s_mov_b32 s27, exec_lo
	v_cmpx_gt_u32_e32 8, v56
; %bb.600:                              ;   in Loop: Header=BB255_423 Depth=1
	v_ffbh_u32_e32 v54, v54
	v_min_u32_e32 v56, 32, v54
	v_subrev_nc_u32_e32 v54, 28, v56
	v_lshlrev_b64 v[54:55], v54, v[1:2]
	v_sub_nc_u32_e32 v55, 29, v56
	v_and_b32_e32 v54, 7, v54
; %bb.601:                              ;   in Loop: Header=BB255_423 Depth=1
	s_or_b32 exec_lo, exec_lo, s27
	v_lshlrev_b32_sdwa v1, v27, v1 dst_sel:DWORD dst_unused:UNUSED_PAD src0_sel:DWORD src1_sel:WORD_0
	v_lshl_add_u32 v55, v55, 10, 0x2000
	v_lshlrev_b32_e32 v54, 23, v54
	v_and_or_b32 v1, 0x8000, v1, v55
	v_lshl_or_b32 v54, v1, 16, v54
.LBB255_602:                            ;   in Loop: Header=BB255_423 Depth=1
	s_or_b32 exec_lo, exec_lo, s26
.LBB255_603:                            ;   in Loop: Header=BB255_423 Depth=1
	s_or_b32 exec_lo, exec_lo, s22
.LBB255_604:                            ;   in Loop: Header=BB255_423 Depth=1
	s_or_b32 exec_lo, exec_lo, s21
	v_lshrrev_b32_e32 v1, 16, v10
	v_cmp_ne_u16_sdwa s0, v1, v2 src0_sel:BYTE_0 src1_sel:DWORD
	s_and_saveexec_b32 s21, s0
	s_cbranch_execz .LBB255_612
; %bb.605:                              ;   in Loop: Header=BB255_423 Depth=1
	v_cmp_ne_u16_sdwa s0, v1, v15 src0_sel:BYTE_0 src1_sel:DWORD
	v_mov_b32_e32 v52, 0x8000
	s_and_saveexec_b32 s22, s0
	s_cbranch_execz .LBB255_611
; %bb.606:                              ;   in Loop: Header=BB255_423 Depth=1
	v_bfe_u32 v56, v10, 16, 7
	v_mov_b32_e32 v52, 0x7c01
	s_mov_b32 s26, exec_lo
	v_cmpx_ne_u32_e32 0x7f, v56
	s_cbranch_execz .LBB255_610
; %bb.607:                              ;   in Loop: Header=BB255_423 Depth=1
	v_and_b32_e32 v52, 7, v1
	v_lshrrev_b32_e32 v55, 3, v56
	s_mov_b32 s27, exec_lo
	v_cmpx_gt_u32_e32 8, v56
; %bb.608:                              ;   in Loop: Header=BB255_423 Depth=1
	v_ffbh_u32_e32 v52, v52
	v_min_u32_e32 v52, 32, v52
	v_subrev_nc_u32_e32 v55, 28, v52
	v_lshlrev_b64 v[56:57], v55, v[1:2]
	v_sub_nc_u32_e32 v55, 29, v52
	v_and_b32_e32 v52, 7, v56
; %bb.609:                              ;   in Loop: Header=BB255_423 Depth=1
	s_or_b32 exec_lo, exec_lo, s27
	v_lshlrev_b32_e32 v1, 8, v1
	v_lshl_add_u32 v55, v55, 10, 0x2000
	v_lshlrev_b32_e32 v52, 7, v52
	v_and_b32_e32 v1, 0x8000, v1
	v_and_b32_e32 v55, 0xfc00, v55
	v_or3_b32 v52, v1, v55, v52
.LBB255_610:                            ;   in Loop: Header=BB255_423 Depth=1
	s_or_b32 exec_lo, exec_lo, s26
.LBB255_611:                            ;   in Loop: Header=BB255_423 Depth=1
	s_or_b32 exec_lo, exec_lo, s22
.LBB255_612:                            ;   in Loop: Header=BB255_423 Depth=1
	s_or_b32 exec_lo, exec_lo, s21
	v_cmp_lt_u64_e64 s0, s[2:3], v[9:10]
	v_mov_b32_e32 v9, 0
	s_and_saveexec_b32 s21, s0
	s_cbranch_execz .LBB255_620
; %bb.613:                              ;   in Loop: Header=BB255_423 Depth=1
	v_lshrrev_b32_e32 v1, 24, v10
	v_bfrev_b32_e32 v9, 1
	s_mov_b32 s22, exec_lo
	v_cmpx_ne_u32_e32 0x80, v1
	s_cbranch_execz .LBB255_619
; %bb.614:                              ;   in Loop: Header=BB255_423 Depth=1
	v_and_b32_e32 v55, 0x7f, v1
	v_mov_b32_e32 v9, 0x7c010000
	s_mov_b32 s26, exec_lo
	v_cmpx_ne_u32_e32 0x7f, v55
	s_cbranch_execz .LBB255_618
; %bb.615:                              ;   in Loop: Header=BB255_423 Depth=1
	v_and_b32_e32 v9, 7, v1
	v_lshrrev_b32_e32 v10, 3, v55
	s_mov_b32 s27, exec_lo
	v_cmpx_gt_u32_e32 8, v55
; %bb.616:                              ;   in Loop: Header=BB255_423 Depth=1
	v_ffbh_u32_e32 v9, v9
	v_min_u32_e32 v55, 32, v9
	v_subrev_nc_u32_e32 v9, 28, v55
	v_lshlrev_b64 v[9:10], v9, v[1:2]
	v_sub_nc_u32_e32 v10, 29, v55
	v_and_b32_e32 v9, 7, v9
; %bb.617:                              ;   in Loop: Header=BB255_423 Depth=1
	s_or_b32 exec_lo, exec_lo, s27
	v_lshlrev_b32_e32 v1, 8, v1
	v_lshl_add_u32 v10, v10, 10, 0x2000
	v_lshlrev_b32_e32 v9, 23, v9
	v_and_or_b32 v1, 0x8000, v1, v10
	v_lshl_or_b32 v9, v1, 16, v9
.LBB255_618:                            ;   in Loop: Header=BB255_423 Depth=1
	s_or_b32 exec_lo, exec_lo, s26
.LBB255_619:                            ;   in Loop: Header=BB255_423 Depth=1
	s_or_b32 exec_lo, exec_lo, s22
.LBB255_620:                            ;   in Loop: Header=BB255_423 Depth=1
	s_or_b32 exec_lo, exec_lo, s21
	v_or_b32_e32 v1, v50, v51
	s_waitcnt vmcnt(0)
	v_fma_mixlo_f16 v10, v47, v50, 0 op_sel:[0,1,0] op_sel_hi:[0,1,0]
	v_or_b32_e32 v50, v48, v49
	v_fma_mixlo_f16 v48, v47, v48, 0 op_sel:[0,1,0] op_sel_hi:[0,1,0]
	v_or_b32_e32 v51, v54, v53
	v_or_b32_e32 v52, v9, v52
	v_fma_mixlo_f16 v53, v47, v1, 0 op_sel_hi:[0,1,0]
	v_fma_mixlo_f16 v9, v47, v9, 0 op_sel:[0,1,0] op_sel_hi:[0,1,0]
	v_lshlrev_b32_e32 v49, 16, v48
	v_fma_mixlo_f16 v48, v47, v50, 0 op_sel_hi:[0,1,0]
	v_fma_mixlo_f16 v50, v47, v54, 0 op_sel:[0,1,0] op_sel_hi:[0,1,0]
	v_fma_mixlo_f16 v51, v47, v51, 0 op_sel_hi:[0,1,0]
	v_fma_mixlo_f16 v52, v47, v52, 0 op_sel_hi:[0,1,0]
	v_lshlrev_b32_e32 v1, 16, v10
	v_and_b32_e32 v10, 0xffff, v53
	v_and_b32_e32 v55, 0xffff, v48
	v_lshlrev_b32_e32 v47, 16, v50
	v_and_b32_e32 v51, 0xffff, v51
	v_lshlrev_b32_e32 v9, 16, v9
	v_and_b32_e32 v48, 0xffff, v52
	v_or_b32_e32 v50, v1, v10
	v_or_b32_e32 v54, v49, v55
	;; [unrolled: 1-line block ×4, first 2 shown]
	s_and_saveexec_b32 s21, vcc_lo
	s_cbranch_execz .LBB255_622
; %bb.621:                              ;   in Loop: Header=BB255_423 Depth=1
	v_cmp_gt_i32_e64 s0, s33, v31
	v_cndmask_b32_e64 v50, 0, v55, s0
	v_cmp_gt_i32_e64 s0, s33, v38
	v_cndmask_b32_e64 v49, 0, v49, s0
	v_cmp_gt_i32_e64 s0, s33, v37
	v_or_b32_e32 v54, v49, v50
	v_cndmask_b32_e64 v10, 0, v10, s0
	v_cmp_gt_i32_e64 s0, s33, v36
	v_cndmask_b32_e64 v1, 0, v1, s0
	v_cmp_gt_i32_e64 s0, s33, v35
	v_or_b32_e32 v50, v1, v10
	;; [unrolled: 5-line block ×3, first 2 shown]
	v_cndmask_b32_e64 v48, 0, v48, s0
	v_cmp_gt_i32_e64 s0, s33, v32
	v_cndmask_b32_e64 v9, 0, v9, s0
	v_or_b32_e32 v52, v9, v48
.LBB255_622:                            ;   in Loop: Header=BB255_423 Depth=1
	s_or_b32 exec_lo, exec_lo, s21
	;;#ASMSTART
	v_pk_mul_f16 v1, v44, v54;

	;;#ASMEND
	;;#ASMSTART
	v_pk_mul_f16 v9, v43, v50;

	;;#ASMEND
	;; [unrolled: 4-line block ×4, first 2 shown]
	;;#ASMSTART
	v_pk_add_f16 v1, v1, v9;

	;;#ASMEND
	;;#ASMSTART
	v_pk_add_f16 v1, v1, v10;

	;;#ASMEND
	;; [unrolled: 4-line block ×3, first 2 shown]
	v_and_b32_e32 v9, 0xffff, v1
	v_lshrrev_b32_e32 v1, 16, v1
	;;#ASMSTART
	v_cvt_f32_f16 v47, v9;
	;;#ASMEND
	;;#ASMSTART
	v_cvt_f32_f16 v48, v1;
	;;#ASMEND
	global_load_dwordx2 v[9:10], v[7:8], off offset:768
	v_mov_b32_e32 v50, 0
	v_mov_b32_e32 v51, 0
	global_load_dword v49, v50, s[14:15]
	s_waitcnt vmcnt(1)
	v_cmp_ne_u16_sdwa s0, v9, v2 src0_sel:BYTE_0 src1_sel:DWORD
	s_and_saveexec_b32 s21, s0
	s_cbranch_execz .LBB255_630
; %bb.623:                              ;   in Loop: Header=BB255_423 Depth=1
	v_cmp_ne_u16_sdwa s0, v9, v15 src0_sel:BYTE_0 src1_sel:DWORD
	v_mov_b32_e32 v51, 0x8000
	s_and_saveexec_b32 s22, s0
	s_cbranch_execz .LBB255_629
; %bb.624:                              ;   in Loop: Header=BB255_423 Depth=1
	v_and_b32_e32 v52, 0x7f, v9
	v_mov_b32_e32 v51, 0x7c01
	s_mov_b32 s26, exec_lo
	v_cmpx_ne_u32_e32 0x7f, v52
	s_cbranch_execz .LBB255_628
; %bb.625:                              ;   in Loop: Header=BB255_423 Depth=1
	v_and_b32_e32 v1, 7, v9
	v_lshrrev_b32_e32 v51, 3, v52
	s_mov_b32 s27, exec_lo
	v_cmpx_gt_u32_e32 8, v52
; %bb.626:                              ;   in Loop: Header=BB255_423 Depth=1
	v_ffbh_u32_e32 v1, v1
	v_min_u32_e32 v1, 32, v1
	v_subrev_nc_u32_e32 v51, 28, v1
	v_lshlrev_b64 v[52:53], v51, v[9:10]
	v_sub_nc_u32_e32 v51, 29, v1
	v_and_b32_e32 v1, 7, v52
; %bb.627:                              ;   in Loop: Header=BB255_423 Depth=1
	s_or_b32 exec_lo, exec_lo, s27
	v_lshlrev_b32_e32 v52, 8, v9
	v_lshl_add_u32 v51, v51, 10, 0x2000
	v_lshlrev_b32_e32 v1, 7, v1
	v_and_b32_e32 v52, 0x8000, v52
	v_and_b32_e32 v51, 0xfc00, v51
	v_or3_b32 v51, v52, v51, v1
.LBB255_628:                            ;   in Loop: Header=BB255_423 Depth=1
	s_or_b32 exec_lo, exec_lo, s26
.LBB255_629:                            ;   in Loop: Header=BB255_423 Depth=1
	s_or_b32 exec_lo, exec_lo, s22
.LBB255_630:                            ;   in Loop: Header=BB255_423 Depth=1
	s_or_b32 exec_lo, exec_lo, s21
	v_lshrrev_b16 v1, 8, v9
	s_mov_b32 s21, exec_lo
	v_cmpx_ne_u16_e32 0, v1
	s_cbranch_execz .LBB255_638
; %bb.631:                              ;   in Loop: Header=BB255_423 Depth=1
	v_bfrev_b32_e32 v50, 1
	s_mov_b32 s22, exec_lo
	v_cmpx_ne_u16_e32 0x80, v1
	s_cbranch_execz .LBB255_637
; %bb.632:                              ;   in Loop: Header=BB255_423 Depth=1
	v_and_b32_sdwa v53, v1, v25 dst_sel:DWORD dst_unused:UNUSED_PAD src0_sel:WORD_0 src1_sel:DWORD
	v_mov_b32_e32 v50, 0x7c010000
	s_mov_b32 s26, exec_lo
	v_cmpx_ne_u32_e32 0x7f, v53
	s_cbranch_execz .LBB255_636
; %bb.633:                              ;   in Loop: Header=BB255_423 Depth=1
	v_and_b32_sdwa v50, v1, v26 dst_sel:DWORD dst_unused:UNUSED_PAD src0_sel:WORD_0 src1_sel:DWORD
	v_lshrrev_b32_e32 v52, 3, v53
	s_mov_b32 s27, exec_lo
	v_cmpx_gt_u32_e32 8, v53
; %bb.634:                              ;   in Loop: Header=BB255_423 Depth=1
	v_ffbh_u32_e32 v50, v50
	v_min_u32_e32 v50, 32, v50
	v_subrev_nc_u32_e32 v52, 28, v50
	v_lshlrev_b64 v[53:54], v52, v[1:2]
	v_sub_nc_u32_e32 v52, 29, v50
	v_and_b32_e32 v50, 7, v53
; %bb.635:                              ;   in Loop: Header=BB255_423 Depth=1
	s_or_b32 exec_lo, exec_lo, s27
	v_lshlrev_b32_sdwa v1, v27, v1 dst_sel:DWORD dst_unused:UNUSED_PAD src0_sel:DWORD src1_sel:WORD_0
	v_lshl_add_u32 v52, v52, 10, 0x2000
	v_lshlrev_b32_e32 v50, 23, v50
	v_and_or_b32 v1, 0x8000, v1, v52
	v_lshl_or_b32 v50, v1, 16, v50
.LBB255_636:                            ;   in Loop: Header=BB255_423 Depth=1
	s_or_b32 exec_lo, exec_lo, s26
.LBB255_637:                            ;   in Loop: Header=BB255_423 Depth=1
	s_or_b32 exec_lo, exec_lo, s22
.LBB255_638:                            ;   in Loop: Header=BB255_423 Depth=1
	s_or_b32 exec_lo, exec_lo, s21
	v_lshrrev_b32_e32 v1, 16, v9
	v_mov_b32_e32 v52, 0
	v_mov_b32_e32 v53, 0
	v_cmp_ne_u16_sdwa s0, v1, v2 src0_sel:BYTE_0 src1_sel:DWORD
	s_and_saveexec_b32 s21, s0
	s_cbranch_execz .LBB255_646
; %bb.639:                              ;   in Loop: Header=BB255_423 Depth=1
	v_cmp_ne_u16_sdwa s0, v1, v15 src0_sel:BYTE_0 src1_sel:DWORD
	v_mov_b32_e32 v53, 0x8000
	s_and_saveexec_b32 s22, s0
	s_cbranch_execz .LBB255_645
; %bb.640:                              ;   in Loop: Header=BB255_423 Depth=1
	v_bfe_u32 v55, v9, 16, 7
	v_mov_b32_e32 v53, 0x7c01
	s_mov_b32 s26, exec_lo
	v_cmpx_ne_u32_e32 0x7f, v55
	s_cbranch_execz .LBB255_644
; %bb.641:                              ;   in Loop: Header=BB255_423 Depth=1
	v_and_b32_e32 v53, 7, v1
	v_lshrrev_b32_e32 v54, 3, v55
	s_mov_b32 s27, exec_lo
	v_cmpx_gt_u32_e32 8, v55
; %bb.642:                              ;   in Loop: Header=BB255_423 Depth=1
	v_ffbh_u32_e32 v53, v53
	v_min_u32_e32 v55, 32, v53
	v_subrev_nc_u32_e32 v53, 28, v55
	v_lshlrev_b64 v[53:54], v53, v[1:2]
	v_sub_nc_u32_e32 v54, 29, v55
	v_and_b32_e32 v53, 7, v53
; %bb.643:                              ;   in Loop: Header=BB255_423 Depth=1
	s_or_b32 exec_lo, exec_lo, s27
	v_lshlrev_b32_e32 v1, 8, v1
	v_lshl_add_u32 v54, v54, 10, 0x2000
	v_lshlrev_b32_e32 v53, 7, v53
	v_and_b32_e32 v1, 0x8000, v1
	v_and_b32_e32 v54, 0xfc00, v54
	v_or3_b32 v53, v1, v54, v53
.LBB255_644:                            ;   in Loop: Header=BB255_423 Depth=1
	s_or_b32 exec_lo, exec_lo, s26
.LBB255_645:                            ;   in Loop: Header=BB255_423 Depth=1
	s_or_b32 exec_lo, exec_lo, s22
.LBB255_646:                            ;   in Loop: Header=BB255_423 Depth=1
	s_or_b32 exec_lo, exec_lo, s21
	s_mov_b32 s21, exec_lo
	v_cmpx_lt_u32_e32 0xffffff, v9
	s_cbranch_execz .LBB255_654
; %bb.647:                              ;   in Loop: Header=BB255_423 Depth=1
	v_lshrrev_b32_e32 v1, 24, v9
	v_bfrev_b32_e32 v52, 1
	s_mov_b32 s22, exec_lo
	v_cmpx_ne_u32_e32 0x80, v1
	s_cbranch_execz .LBB255_653
; %bb.648:                              ;   in Loop: Header=BB255_423 Depth=1
	v_and_b32_e32 v55, 0x7f, v1
	v_mov_b32_e32 v52, 0x7c010000
	s_mov_b32 s26, exec_lo
	v_cmpx_ne_u32_e32 0x7f, v55
	s_cbranch_execz .LBB255_652
; %bb.649:                              ;   in Loop: Header=BB255_423 Depth=1
	v_and_b32_e32 v52, 7, v1
	v_lshrrev_b32_e32 v54, 3, v55
	s_mov_b32 s27, exec_lo
	v_cmpx_gt_u32_e32 8, v55
; %bb.650:                              ;   in Loop: Header=BB255_423 Depth=1
	v_ffbh_u32_e32 v52, v52
	v_min_u32_e32 v52, 32, v52
	v_subrev_nc_u32_e32 v54, 28, v52
	v_lshlrev_b64 v[55:56], v54, v[1:2]
	v_sub_nc_u32_e32 v54, 29, v52
	v_and_b32_e32 v52, 7, v55
; %bb.651:                              ;   in Loop: Header=BB255_423 Depth=1
	s_or_b32 exec_lo, exec_lo, s27
	v_lshlrev_b32_e32 v1, 8, v1
	v_lshl_add_u32 v54, v54, 10, 0x2000
	v_lshlrev_b32_e32 v52, 23, v52
	v_and_or_b32 v1, 0x8000, v1, v54
	v_lshl_or_b32 v52, v1, 16, v52
.LBB255_652:                            ;   in Loop: Header=BB255_423 Depth=1
	s_or_b32 exec_lo, exec_lo, s26
.LBB255_653:                            ;   in Loop: Header=BB255_423 Depth=1
	s_or_b32 exec_lo, exec_lo, s22
.LBB255_654:                            ;   in Loop: Header=BB255_423 Depth=1
	s_or_b32 exec_lo, exec_lo, s21
	v_mov_b32_e32 v1, v10
	v_cmp_ne_u16_sdwa s0, v10, v2 src0_sel:BYTE_0 src1_sel:DWORD
	v_mov_b32_e32 v54, 0
	v_mov_b32_e32 v55, 0
	s_and_saveexec_b32 s21, s0
	s_cbranch_execz .LBB255_662
; %bb.655:                              ;   in Loop: Header=BB255_423 Depth=1
	v_cmp_ne_u16_sdwa s0, v10, v15 src0_sel:BYTE_0 src1_sel:DWORD
	v_mov_b32_e32 v55, 0x8000
	s_and_saveexec_b32 s22, s0
	s_cbranch_execz .LBB255_661
; %bb.656:                              ;   in Loop: Header=BB255_423 Depth=1
	v_and_b32_e32 v57, 0x7f, v10
	v_mov_b32_e32 v55, 0x7c01
	s_mov_b32 s26, exec_lo
	v_cmpx_ne_u32_e32 0x7f, v57
	s_cbranch_execz .LBB255_660
; %bb.657:                              ;   in Loop: Header=BB255_423 Depth=1
	v_and_b32_e32 v55, 7, v10
	v_lshrrev_b32_e32 v56, 3, v57
	s_mov_b32 s27, exec_lo
	v_cmpx_gt_u32_e32 8, v57
; %bb.658:                              ;   in Loop: Header=BB255_423 Depth=1
	v_ffbh_u32_e32 v55, v55
	v_min_u32_e32 v57, 32, v55
	v_subrev_nc_u32_e32 v55, 28, v57
	v_lshlrev_b64 v[55:56], v55, v[1:2]
	v_sub_nc_u32_e32 v56, 29, v57
	v_and_b32_e32 v55, 7, v55
; %bb.659:                              ;   in Loop: Header=BB255_423 Depth=1
	s_or_b32 exec_lo, exec_lo, s27
	v_lshlrev_b32_e32 v57, 8, v10
	v_lshl_add_u32 v56, v56, 10, 0x2000
	v_lshlrev_b32_e32 v55, 7, v55
	v_and_b32_e32 v57, 0x8000, v57
	v_and_b32_e32 v56, 0xfc00, v56
	v_or3_b32 v55, v57, v56, v55
.LBB255_660:                            ;   in Loop: Header=BB255_423 Depth=1
	s_or_b32 exec_lo, exec_lo, s26
.LBB255_661:                            ;   in Loop: Header=BB255_423 Depth=1
	s_or_b32 exec_lo, exec_lo, s22
.LBB255_662:                            ;   in Loop: Header=BB255_423 Depth=1
	s_or_b32 exec_lo, exec_lo, s21
	v_lshrrev_b16 v1, 8, v1
	v_mov_b32_e32 v56, 0
	s_mov_b32 s21, exec_lo
	v_cmpx_ne_u16_e32 0, v1
	s_cbranch_execz .LBB255_670
; %bb.663:                              ;   in Loop: Header=BB255_423 Depth=1
	v_bfrev_b32_e32 v56, 1
	s_mov_b32 s22, exec_lo
	v_cmpx_ne_u16_e32 0x80, v1
	s_cbranch_execz .LBB255_669
; %bb.664:                              ;   in Loop: Header=BB255_423 Depth=1
	v_and_b32_sdwa v58, v1, v25 dst_sel:DWORD dst_unused:UNUSED_PAD src0_sel:WORD_0 src1_sel:DWORD
	v_mov_b32_e32 v56, 0x7c010000
	s_mov_b32 s26, exec_lo
	v_cmpx_ne_u32_e32 0x7f, v58
	s_cbranch_execz .LBB255_668
; %bb.665:                              ;   in Loop: Header=BB255_423 Depth=1
	v_and_b32_sdwa v56, v1, v26 dst_sel:DWORD dst_unused:UNUSED_PAD src0_sel:WORD_0 src1_sel:DWORD
	v_lshrrev_b32_e32 v57, 3, v58
	s_mov_b32 s27, exec_lo
	v_cmpx_gt_u32_e32 8, v58
; %bb.666:                              ;   in Loop: Header=BB255_423 Depth=1
	v_ffbh_u32_e32 v56, v56
	v_min_u32_e32 v58, 32, v56
	v_subrev_nc_u32_e32 v56, 28, v58
	v_lshlrev_b64 v[56:57], v56, v[1:2]
	v_sub_nc_u32_e32 v57, 29, v58
	v_and_b32_e32 v56, 7, v56
; %bb.667:                              ;   in Loop: Header=BB255_423 Depth=1
	s_or_b32 exec_lo, exec_lo, s27
	v_lshlrev_b32_sdwa v1, v27, v1 dst_sel:DWORD dst_unused:UNUSED_PAD src0_sel:DWORD src1_sel:WORD_0
	v_lshl_add_u32 v57, v57, 10, 0x2000
	v_lshlrev_b32_e32 v56, 23, v56
	v_and_or_b32 v1, 0x8000, v1, v57
	v_lshl_or_b32 v56, v1, 16, v56
.LBB255_668:                            ;   in Loop: Header=BB255_423 Depth=1
	s_or_b32 exec_lo, exec_lo, s26
.LBB255_669:                            ;   in Loop: Header=BB255_423 Depth=1
	s_or_b32 exec_lo, exec_lo, s22
.LBB255_670:                            ;   in Loop: Header=BB255_423 Depth=1
	s_or_b32 exec_lo, exec_lo, s21
	v_lshrrev_b32_e32 v1, 16, v10
	v_cmp_ne_u16_sdwa s0, v1, v2 src0_sel:BYTE_0 src1_sel:DWORD
	s_and_saveexec_b32 s21, s0
	s_cbranch_execz .LBB255_678
; %bb.671:                              ;   in Loop: Header=BB255_423 Depth=1
	v_cmp_ne_u16_sdwa s0, v1, v15 src0_sel:BYTE_0 src1_sel:DWORD
	v_mov_b32_e32 v54, 0x8000
	s_and_saveexec_b32 s22, s0
	s_cbranch_execz .LBB255_677
; %bb.672:                              ;   in Loop: Header=BB255_423 Depth=1
	v_bfe_u32 v58, v10, 16, 7
	v_mov_b32_e32 v54, 0x7c01
	s_mov_b32 s26, exec_lo
	v_cmpx_ne_u32_e32 0x7f, v58
	s_cbranch_execz .LBB255_676
; %bb.673:                              ;   in Loop: Header=BB255_423 Depth=1
	v_and_b32_e32 v54, 7, v1
	v_lshrrev_b32_e32 v57, 3, v58
	s_mov_b32 s27, exec_lo
	v_cmpx_gt_u32_e32 8, v58
; %bb.674:                              ;   in Loop: Header=BB255_423 Depth=1
	v_ffbh_u32_e32 v54, v54
	v_min_u32_e32 v54, 32, v54
	v_subrev_nc_u32_e32 v57, 28, v54
	v_lshlrev_b64 v[58:59], v57, v[1:2]
	v_sub_nc_u32_e32 v57, 29, v54
	v_and_b32_e32 v54, 7, v58
; %bb.675:                              ;   in Loop: Header=BB255_423 Depth=1
	s_or_b32 exec_lo, exec_lo, s27
	v_lshlrev_b32_e32 v1, 8, v1
	v_lshl_add_u32 v57, v57, 10, 0x2000
	v_lshlrev_b32_e32 v54, 7, v54
	v_and_b32_e32 v1, 0x8000, v1
	v_and_b32_e32 v57, 0xfc00, v57
	v_or3_b32 v54, v1, v57, v54
.LBB255_676:                            ;   in Loop: Header=BB255_423 Depth=1
	s_or_b32 exec_lo, exec_lo, s26
.LBB255_677:                            ;   in Loop: Header=BB255_423 Depth=1
	s_or_b32 exec_lo, exec_lo, s22
.LBB255_678:                            ;   in Loop: Header=BB255_423 Depth=1
	s_or_b32 exec_lo, exec_lo, s21
	v_cmp_lt_u64_e64 s0, s[2:3], v[9:10]
	v_mov_b32_e32 v9, 0
	s_and_saveexec_b32 s21, s0
	s_cbranch_execz .LBB255_686
; %bb.679:                              ;   in Loop: Header=BB255_423 Depth=1
	v_lshrrev_b32_e32 v1, 24, v10
	v_bfrev_b32_e32 v9, 1
	s_mov_b32 s22, exec_lo
	v_cmpx_ne_u32_e32 0x80, v1
	s_cbranch_execz .LBB255_685
; %bb.680:                              ;   in Loop: Header=BB255_423 Depth=1
	v_and_b32_e32 v57, 0x7f, v1
	v_mov_b32_e32 v9, 0x7c010000
	s_mov_b32 s26, exec_lo
	v_cmpx_ne_u32_e32 0x7f, v57
	s_cbranch_execz .LBB255_684
; %bb.681:                              ;   in Loop: Header=BB255_423 Depth=1
	v_and_b32_e32 v9, 7, v1
	v_lshrrev_b32_e32 v10, 3, v57
	s_mov_b32 s27, exec_lo
	v_cmpx_gt_u32_e32 8, v57
; %bb.682:                              ;   in Loop: Header=BB255_423 Depth=1
	v_ffbh_u32_e32 v9, v9
	v_min_u32_e32 v57, 32, v9
	v_subrev_nc_u32_e32 v9, 28, v57
	v_lshlrev_b64 v[9:10], v9, v[1:2]
	v_sub_nc_u32_e32 v10, 29, v57
	v_and_b32_e32 v9, 7, v9
; %bb.683:                              ;   in Loop: Header=BB255_423 Depth=1
	s_or_b32 exec_lo, exec_lo, s27
	v_lshlrev_b32_e32 v1, 8, v1
	v_lshl_add_u32 v10, v10, 10, 0x2000
	v_lshlrev_b32_e32 v9, 23, v9
	v_and_or_b32 v1, 0x8000, v1, v10
	v_lshl_or_b32 v9, v1, 16, v9
.LBB255_684:                            ;   in Loop: Header=BB255_423 Depth=1
	s_or_b32 exec_lo, exec_lo, s26
.LBB255_685:                            ;   in Loop: Header=BB255_423 Depth=1
	s_or_b32 exec_lo, exec_lo, s22
.LBB255_686:                            ;   in Loop: Header=BB255_423 Depth=1
	s_or_b32 exec_lo, exec_lo, s21
	v_or_b32_e32 v1, v52, v53
	s_waitcnt vmcnt(0)
	v_fma_mixlo_f16 v10, v49, v52, 0 op_sel:[0,1,0] op_sel_hi:[0,1,0]
	v_or_b32_e32 v52, v50, v51
	v_fma_mixlo_f16 v50, v49, v50, 0 op_sel:[0,1,0] op_sel_hi:[0,1,0]
	v_or_b32_e32 v53, v56, v55
	v_or_b32_e32 v54, v9, v54
	v_fma_mixlo_f16 v55, v49, v1, 0 op_sel_hi:[0,1,0]
	v_fma_mixlo_f16 v9, v49, v9, 0 op_sel:[0,1,0] op_sel_hi:[0,1,0]
	v_lshlrev_b32_e32 v51, 16, v50
	v_fma_mixlo_f16 v50, v49, v52, 0 op_sel_hi:[0,1,0]
	v_fma_mixlo_f16 v52, v49, v56, 0 op_sel:[0,1,0] op_sel_hi:[0,1,0]
	v_fma_mixlo_f16 v53, v49, v53, 0 op_sel_hi:[0,1,0]
	v_fma_mixlo_f16 v54, v49, v54, 0 op_sel_hi:[0,1,0]
	v_lshlrev_b32_e32 v1, 16, v10
	v_and_b32_e32 v10, 0xffff, v55
	v_and_b32_e32 v57, 0xffff, v50
	v_lshlrev_b32_e32 v49, 16, v52
	v_and_b32_e32 v53, 0xffff, v53
	v_lshlrev_b32_e32 v9, 16, v9
	v_and_b32_e32 v50, 0xffff, v54
	v_or_b32_e32 v52, v1, v10
	v_or_b32_e32 v56, v51, v57
	;; [unrolled: 1-line block ×4, first 2 shown]
	s_and_saveexec_b32 s21, vcc_lo
	s_cbranch_execz .LBB255_688
; %bb.687:                              ;   in Loop: Header=BB255_423 Depth=1
	v_cmp_gt_i32_e64 s0, s33, v31
	v_cndmask_b32_e64 v52, 0, v57, s0
	v_cmp_gt_i32_e64 s0, s33, v38
	v_cndmask_b32_e64 v51, 0, v51, s0
	v_cmp_gt_i32_e64 s0, s33, v37
	v_or_b32_e32 v56, v51, v52
	v_cndmask_b32_e64 v10, 0, v10, s0
	v_cmp_gt_i32_e64 s0, s33, v36
	v_cndmask_b32_e64 v1, 0, v1, s0
	v_cmp_gt_i32_e64 s0, s33, v35
	v_or_b32_e32 v52, v1, v10
	;; [unrolled: 5-line block ×3, first 2 shown]
	v_cndmask_b32_e64 v50, 0, v50, s0
	v_cmp_gt_i32_e64 s0, s33, v32
	v_cndmask_b32_e64 v9, 0, v9, s0
	v_or_b32_e32 v54, v9, v50
.LBB255_688:                            ;   in Loop: Header=BB255_423 Depth=1
	s_or_b32 exec_lo, exec_lo, s21
	;;#ASMSTART
	v_pk_mul_f16 v1, v44, v56;

	;;#ASMEND
	;;#ASMSTART
	v_pk_mul_f16 v9, v43, v52;

	;;#ASMEND
	;; [unrolled: 4-line block ×4, first 2 shown]
	;;#ASMSTART
	v_pk_add_f16 v1, v1, v9;

	;;#ASMEND
	;;#ASMSTART
	v_pk_add_f16 v1, v1, v10;

	;;#ASMEND
	;; [unrolled: 4-line block ×3, first 2 shown]
	v_and_b32_e32 v9, 0xffff, v1
	v_lshrrev_b32_e32 v1, 16, v1
	;;#ASMSTART
	v_cvt_f32_f16 v49, v9;
	;;#ASMEND
	;;#ASMSTART
	v_cvt_f32_f16 v50, v1;
	;;#ASMEND
	global_load_dwordx2 v[9:10], v[7:8], off offset:1024
	v_mov_b32_e32 v52, 0
	v_mov_b32_e32 v53, 0
	global_load_dword v51, v52, s[14:15]
	s_waitcnt vmcnt(1)
	v_cmp_ne_u16_sdwa s0, v9, v2 src0_sel:BYTE_0 src1_sel:DWORD
	s_and_saveexec_b32 s21, s0
	s_cbranch_execz .LBB255_696
; %bb.689:                              ;   in Loop: Header=BB255_423 Depth=1
	v_cmp_ne_u16_sdwa s0, v9, v15 src0_sel:BYTE_0 src1_sel:DWORD
	v_mov_b32_e32 v53, 0x8000
	s_and_saveexec_b32 s22, s0
	s_cbranch_execz .LBB255_695
; %bb.690:                              ;   in Loop: Header=BB255_423 Depth=1
	v_and_b32_e32 v54, 0x7f, v9
	v_mov_b32_e32 v53, 0x7c01
	s_mov_b32 s26, exec_lo
	v_cmpx_ne_u32_e32 0x7f, v54
	s_cbranch_execz .LBB255_694
; %bb.691:                              ;   in Loop: Header=BB255_423 Depth=1
	v_and_b32_e32 v1, 7, v9
	v_lshrrev_b32_e32 v53, 3, v54
	s_mov_b32 s27, exec_lo
	v_cmpx_gt_u32_e32 8, v54
; %bb.692:                              ;   in Loop: Header=BB255_423 Depth=1
	v_ffbh_u32_e32 v1, v1
	v_min_u32_e32 v1, 32, v1
	v_subrev_nc_u32_e32 v53, 28, v1
	v_lshlrev_b64 v[54:55], v53, v[9:10]
	v_sub_nc_u32_e32 v53, 29, v1
	v_and_b32_e32 v1, 7, v54
; %bb.693:                              ;   in Loop: Header=BB255_423 Depth=1
	s_or_b32 exec_lo, exec_lo, s27
	v_lshlrev_b32_e32 v54, 8, v9
	v_lshl_add_u32 v53, v53, 10, 0x2000
	v_lshlrev_b32_e32 v1, 7, v1
	v_and_b32_e32 v54, 0x8000, v54
	v_and_b32_e32 v53, 0xfc00, v53
	v_or3_b32 v53, v54, v53, v1
.LBB255_694:                            ;   in Loop: Header=BB255_423 Depth=1
	s_or_b32 exec_lo, exec_lo, s26
.LBB255_695:                            ;   in Loop: Header=BB255_423 Depth=1
	s_or_b32 exec_lo, exec_lo, s22
.LBB255_696:                            ;   in Loop: Header=BB255_423 Depth=1
	s_or_b32 exec_lo, exec_lo, s21
	v_lshrrev_b16 v1, 8, v9
	s_mov_b32 s21, exec_lo
	v_cmpx_ne_u16_e32 0, v1
	s_cbranch_execz .LBB255_704
; %bb.697:                              ;   in Loop: Header=BB255_423 Depth=1
	v_bfrev_b32_e32 v52, 1
	s_mov_b32 s22, exec_lo
	v_cmpx_ne_u16_e32 0x80, v1
	s_cbranch_execz .LBB255_703
; %bb.698:                              ;   in Loop: Header=BB255_423 Depth=1
	v_and_b32_sdwa v55, v1, v25 dst_sel:DWORD dst_unused:UNUSED_PAD src0_sel:WORD_0 src1_sel:DWORD
	v_mov_b32_e32 v52, 0x7c010000
	s_mov_b32 s26, exec_lo
	v_cmpx_ne_u32_e32 0x7f, v55
	s_cbranch_execz .LBB255_702
; %bb.699:                              ;   in Loop: Header=BB255_423 Depth=1
	v_and_b32_sdwa v52, v1, v26 dst_sel:DWORD dst_unused:UNUSED_PAD src0_sel:WORD_0 src1_sel:DWORD
	v_lshrrev_b32_e32 v54, 3, v55
	s_mov_b32 s27, exec_lo
	v_cmpx_gt_u32_e32 8, v55
; %bb.700:                              ;   in Loop: Header=BB255_423 Depth=1
	v_ffbh_u32_e32 v52, v52
	v_min_u32_e32 v52, 32, v52
	v_subrev_nc_u32_e32 v54, 28, v52
	v_lshlrev_b64 v[55:56], v54, v[1:2]
	v_sub_nc_u32_e32 v54, 29, v52
	v_and_b32_e32 v52, 7, v55
; %bb.701:                              ;   in Loop: Header=BB255_423 Depth=1
	s_or_b32 exec_lo, exec_lo, s27
	v_lshlrev_b32_sdwa v1, v27, v1 dst_sel:DWORD dst_unused:UNUSED_PAD src0_sel:DWORD src1_sel:WORD_0
	v_lshl_add_u32 v54, v54, 10, 0x2000
	v_lshlrev_b32_e32 v52, 23, v52
	v_and_or_b32 v1, 0x8000, v1, v54
	v_lshl_or_b32 v52, v1, 16, v52
.LBB255_702:                            ;   in Loop: Header=BB255_423 Depth=1
	s_or_b32 exec_lo, exec_lo, s26
.LBB255_703:                            ;   in Loop: Header=BB255_423 Depth=1
	s_or_b32 exec_lo, exec_lo, s22
.LBB255_704:                            ;   in Loop: Header=BB255_423 Depth=1
	s_or_b32 exec_lo, exec_lo, s21
	v_lshrrev_b32_e32 v1, 16, v9
	v_mov_b32_e32 v54, 0
	v_mov_b32_e32 v55, 0
	v_cmp_ne_u16_sdwa s0, v1, v2 src0_sel:BYTE_0 src1_sel:DWORD
	s_and_saveexec_b32 s21, s0
	s_cbranch_execz .LBB255_712
; %bb.705:                              ;   in Loop: Header=BB255_423 Depth=1
	v_cmp_ne_u16_sdwa s0, v1, v15 src0_sel:BYTE_0 src1_sel:DWORD
	v_mov_b32_e32 v55, 0x8000
	s_and_saveexec_b32 s22, s0
	s_cbranch_execz .LBB255_711
; %bb.706:                              ;   in Loop: Header=BB255_423 Depth=1
	v_bfe_u32 v57, v9, 16, 7
	v_mov_b32_e32 v55, 0x7c01
	s_mov_b32 s26, exec_lo
	v_cmpx_ne_u32_e32 0x7f, v57
	s_cbranch_execz .LBB255_710
; %bb.707:                              ;   in Loop: Header=BB255_423 Depth=1
	v_and_b32_e32 v55, 7, v1
	v_lshrrev_b32_e32 v56, 3, v57
	s_mov_b32 s27, exec_lo
	v_cmpx_gt_u32_e32 8, v57
; %bb.708:                              ;   in Loop: Header=BB255_423 Depth=1
	v_ffbh_u32_e32 v55, v55
	v_min_u32_e32 v57, 32, v55
	v_subrev_nc_u32_e32 v55, 28, v57
	v_lshlrev_b64 v[55:56], v55, v[1:2]
	v_sub_nc_u32_e32 v56, 29, v57
	v_and_b32_e32 v55, 7, v55
; %bb.709:                              ;   in Loop: Header=BB255_423 Depth=1
	s_or_b32 exec_lo, exec_lo, s27
	v_lshlrev_b32_e32 v1, 8, v1
	v_lshl_add_u32 v56, v56, 10, 0x2000
	v_lshlrev_b32_e32 v55, 7, v55
	v_and_b32_e32 v1, 0x8000, v1
	v_and_b32_e32 v56, 0xfc00, v56
	v_or3_b32 v55, v1, v56, v55
.LBB255_710:                            ;   in Loop: Header=BB255_423 Depth=1
	s_or_b32 exec_lo, exec_lo, s26
.LBB255_711:                            ;   in Loop: Header=BB255_423 Depth=1
	s_or_b32 exec_lo, exec_lo, s22
.LBB255_712:                            ;   in Loop: Header=BB255_423 Depth=1
	s_or_b32 exec_lo, exec_lo, s21
	s_mov_b32 s21, exec_lo
	v_cmpx_lt_u32_e32 0xffffff, v9
	s_cbranch_execz .LBB255_720
; %bb.713:                              ;   in Loop: Header=BB255_423 Depth=1
	v_lshrrev_b32_e32 v1, 24, v9
	v_bfrev_b32_e32 v54, 1
	s_mov_b32 s22, exec_lo
	v_cmpx_ne_u32_e32 0x80, v1
	s_cbranch_execz .LBB255_719
; %bb.714:                              ;   in Loop: Header=BB255_423 Depth=1
	v_and_b32_e32 v57, 0x7f, v1
	v_mov_b32_e32 v54, 0x7c010000
	s_mov_b32 s26, exec_lo
	v_cmpx_ne_u32_e32 0x7f, v57
	s_cbranch_execz .LBB255_718
; %bb.715:                              ;   in Loop: Header=BB255_423 Depth=1
	v_and_b32_e32 v54, 7, v1
	v_lshrrev_b32_e32 v56, 3, v57
	s_mov_b32 s27, exec_lo
	v_cmpx_gt_u32_e32 8, v57
; %bb.716:                              ;   in Loop: Header=BB255_423 Depth=1
	v_ffbh_u32_e32 v54, v54
	v_min_u32_e32 v54, 32, v54
	v_subrev_nc_u32_e32 v56, 28, v54
	v_lshlrev_b64 v[57:58], v56, v[1:2]
	v_sub_nc_u32_e32 v56, 29, v54
	v_and_b32_e32 v54, 7, v57
; %bb.717:                              ;   in Loop: Header=BB255_423 Depth=1
	s_or_b32 exec_lo, exec_lo, s27
	v_lshlrev_b32_e32 v1, 8, v1
	v_lshl_add_u32 v56, v56, 10, 0x2000
	v_lshlrev_b32_e32 v54, 23, v54
	v_and_or_b32 v1, 0x8000, v1, v56
	v_lshl_or_b32 v54, v1, 16, v54
.LBB255_718:                            ;   in Loop: Header=BB255_423 Depth=1
	s_or_b32 exec_lo, exec_lo, s26
.LBB255_719:                            ;   in Loop: Header=BB255_423 Depth=1
	s_or_b32 exec_lo, exec_lo, s22
.LBB255_720:                            ;   in Loop: Header=BB255_423 Depth=1
	s_or_b32 exec_lo, exec_lo, s21
	v_mov_b32_e32 v1, v10
	v_cmp_ne_u16_sdwa s0, v10, v2 src0_sel:BYTE_0 src1_sel:DWORD
	v_mov_b32_e32 v56, 0
	v_mov_b32_e32 v57, 0
	s_and_saveexec_b32 s21, s0
	s_cbranch_execz .LBB255_728
; %bb.721:                              ;   in Loop: Header=BB255_423 Depth=1
	v_cmp_ne_u16_sdwa s0, v10, v15 src0_sel:BYTE_0 src1_sel:DWORD
	v_mov_b32_e32 v57, 0x8000
	s_and_saveexec_b32 s22, s0
	s_cbranch_execz .LBB255_727
; %bb.722:                              ;   in Loop: Header=BB255_423 Depth=1
	v_and_b32_e32 v59, 0x7f, v10
	v_mov_b32_e32 v57, 0x7c01
	s_mov_b32 s26, exec_lo
	v_cmpx_ne_u32_e32 0x7f, v59
	s_cbranch_execz .LBB255_726
; %bb.723:                              ;   in Loop: Header=BB255_423 Depth=1
	v_and_b32_e32 v57, 7, v10
	v_lshrrev_b32_e32 v58, 3, v59
	s_mov_b32 s27, exec_lo
	v_cmpx_gt_u32_e32 8, v59
; %bb.724:                              ;   in Loop: Header=BB255_423 Depth=1
	v_ffbh_u32_e32 v57, v57
	v_min_u32_e32 v59, 32, v57
	v_subrev_nc_u32_e32 v57, 28, v59
	v_lshlrev_b64 v[57:58], v57, v[1:2]
	v_sub_nc_u32_e32 v58, 29, v59
	v_and_b32_e32 v57, 7, v57
; %bb.725:                              ;   in Loop: Header=BB255_423 Depth=1
	s_or_b32 exec_lo, exec_lo, s27
	v_lshlrev_b32_e32 v59, 8, v10
	v_lshl_add_u32 v58, v58, 10, 0x2000
	v_lshlrev_b32_e32 v57, 7, v57
	v_and_b32_e32 v59, 0x8000, v59
	v_and_b32_e32 v58, 0xfc00, v58
	v_or3_b32 v57, v59, v58, v57
.LBB255_726:                            ;   in Loop: Header=BB255_423 Depth=1
	s_or_b32 exec_lo, exec_lo, s26
.LBB255_727:                            ;   in Loop: Header=BB255_423 Depth=1
	s_or_b32 exec_lo, exec_lo, s22
.LBB255_728:                            ;   in Loop: Header=BB255_423 Depth=1
	s_or_b32 exec_lo, exec_lo, s21
	v_lshrrev_b16 v1, 8, v1
	v_mov_b32_e32 v58, 0
	s_mov_b32 s21, exec_lo
	v_cmpx_ne_u16_e32 0, v1
	s_cbranch_execz .LBB255_736
; %bb.729:                              ;   in Loop: Header=BB255_423 Depth=1
	v_bfrev_b32_e32 v58, 1
	s_mov_b32 s22, exec_lo
	v_cmpx_ne_u16_e32 0x80, v1
	s_cbranch_execz .LBB255_735
; %bb.730:                              ;   in Loop: Header=BB255_423 Depth=1
	v_and_b32_sdwa v60, v1, v25 dst_sel:DWORD dst_unused:UNUSED_PAD src0_sel:WORD_0 src1_sel:DWORD
	v_mov_b32_e32 v58, 0x7c010000
	s_mov_b32 s26, exec_lo
	v_cmpx_ne_u32_e32 0x7f, v60
	s_cbranch_execz .LBB255_734
; %bb.731:                              ;   in Loop: Header=BB255_423 Depth=1
	v_and_b32_sdwa v58, v1, v26 dst_sel:DWORD dst_unused:UNUSED_PAD src0_sel:WORD_0 src1_sel:DWORD
	v_lshrrev_b32_e32 v59, 3, v60
	s_mov_b32 s27, exec_lo
	v_cmpx_gt_u32_e32 8, v60
; %bb.732:                              ;   in Loop: Header=BB255_423 Depth=1
	v_ffbh_u32_e32 v58, v58
	v_min_u32_e32 v60, 32, v58
	v_subrev_nc_u32_e32 v58, 28, v60
	v_lshlrev_b64 v[58:59], v58, v[1:2]
	v_sub_nc_u32_e32 v59, 29, v60
	v_and_b32_e32 v58, 7, v58
; %bb.733:                              ;   in Loop: Header=BB255_423 Depth=1
	s_or_b32 exec_lo, exec_lo, s27
	v_lshlrev_b32_sdwa v1, v27, v1 dst_sel:DWORD dst_unused:UNUSED_PAD src0_sel:DWORD src1_sel:WORD_0
	v_lshl_add_u32 v59, v59, 10, 0x2000
	v_lshlrev_b32_e32 v58, 23, v58
	v_and_or_b32 v1, 0x8000, v1, v59
	v_lshl_or_b32 v58, v1, 16, v58
.LBB255_734:                            ;   in Loop: Header=BB255_423 Depth=1
	s_or_b32 exec_lo, exec_lo, s26
.LBB255_735:                            ;   in Loop: Header=BB255_423 Depth=1
	s_or_b32 exec_lo, exec_lo, s22
.LBB255_736:                            ;   in Loop: Header=BB255_423 Depth=1
	s_or_b32 exec_lo, exec_lo, s21
	v_lshrrev_b32_e32 v1, 16, v10
	v_cmp_ne_u16_sdwa s0, v1, v2 src0_sel:BYTE_0 src1_sel:DWORD
	s_and_saveexec_b32 s21, s0
	s_cbranch_execz .LBB255_744
; %bb.737:                              ;   in Loop: Header=BB255_423 Depth=1
	v_cmp_ne_u16_sdwa s0, v1, v15 src0_sel:BYTE_0 src1_sel:DWORD
	v_mov_b32_e32 v56, 0x8000
	s_and_saveexec_b32 s22, s0
	s_cbranch_execz .LBB255_743
; %bb.738:                              ;   in Loop: Header=BB255_423 Depth=1
	v_bfe_u32 v60, v10, 16, 7
	v_mov_b32_e32 v56, 0x7c01
	s_mov_b32 s26, exec_lo
	v_cmpx_ne_u32_e32 0x7f, v60
	s_cbranch_execz .LBB255_742
; %bb.739:                              ;   in Loop: Header=BB255_423 Depth=1
	v_and_b32_e32 v56, 7, v1
	v_lshrrev_b32_e32 v59, 3, v60
	s_mov_b32 s27, exec_lo
	v_cmpx_gt_u32_e32 8, v60
; %bb.740:                              ;   in Loop: Header=BB255_423 Depth=1
	v_ffbh_u32_e32 v56, v56
	v_min_u32_e32 v56, 32, v56
	v_subrev_nc_u32_e32 v59, 28, v56
	v_lshlrev_b64 v[60:61], v59, v[1:2]
	v_sub_nc_u32_e32 v59, 29, v56
	v_and_b32_e32 v56, 7, v60
; %bb.741:                              ;   in Loop: Header=BB255_423 Depth=1
	s_or_b32 exec_lo, exec_lo, s27
	v_lshlrev_b32_e32 v1, 8, v1
	v_lshl_add_u32 v59, v59, 10, 0x2000
	v_lshlrev_b32_e32 v56, 7, v56
	v_and_b32_e32 v1, 0x8000, v1
	v_and_b32_e32 v59, 0xfc00, v59
	v_or3_b32 v56, v1, v59, v56
.LBB255_742:                            ;   in Loop: Header=BB255_423 Depth=1
	s_or_b32 exec_lo, exec_lo, s26
.LBB255_743:                            ;   in Loop: Header=BB255_423 Depth=1
	s_or_b32 exec_lo, exec_lo, s22
.LBB255_744:                            ;   in Loop: Header=BB255_423 Depth=1
	s_or_b32 exec_lo, exec_lo, s21
	v_cmp_lt_u64_e64 s0, s[2:3], v[9:10]
	v_mov_b32_e32 v9, 0
	s_and_saveexec_b32 s21, s0
	s_cbranch_execz .LBB255_752
; %bb.745:                              ;   in Loop: Header=BB255_423 Depth=1
	v_lshrrev_b32_e32 v1, 24, v10
	v_bfrev_b32_e32 v9, 1
	s_mov_b32 s22, exec_lo
	v_cmpx_ne_u32_e32 0x80, v1
	s_cbranch_execz .LBB255_751
; %bb.746:                              ;   in Loop: Header=BB255_423 Depth=1
	v_and_b32_e32 v59, 0x7f, v1
	v_mov_b32_e32 v9, 0x7c010000
	s_mov_b32 s26, exec_lo
	v_cmpx_ne_u32_e32 0x7f, v59
	s_cbranch_execz .LBB255_750
; %bb.747:                              ;   in Loop: Header=BB255_423 Depth=1
	v_and_b32_e32 v9, 7, v1
	v_lshrrev_b32_e32 v10, 3, v59
	s_mov_b32 s27, exec_lo
	v_cmpx_gt_u32_e32 8, v59
; %bb.748:                              ;   in Loop: Header=BB255_423 Depth=1
	v_ffbh_u32_e32 v9, v9
	v_min_u32_e32 v59, 32, v9
	v_subrev_nc_u32_e32 v9, 28, v59
	v_lshlrev_b64 v[9:10], v9, v[1:2]
	v_sub_nc_u32_e32 v10, 29, v59
	v_and_b32_e32 v9, 7, v9
; %bb.749:                              ;   in Loop: Header=BB255_423 Depth=1
	s_or_b32 exec_lo, exec_lo, s27
	v_lshlrev_b32_e32 v1, 8, v1
	v_lshl_add_u32 v10, v10, 10, 0x2000
	v_lshlrev_b32_e32 v9, 23, v9
	v_and_or_b32 v1, 0x8000, v1, v10
	v_lshl_or_b32 v9, v1, 16, v9
.LBB255_750:                            ;   in Loop: Header=BB255_423 Depth=1
	s_or_b32 exec_lo, exec_lo, s26
.LBB255_751:                            ;   in Loop: Header=BB255_423 Depth=1
	s_or_b32 exec_lo, exec_lo, s22
.LBB255_752:                            ;   in Loop: Header=BB255_423 Depth=1
	s_or_b32 exec_lo, exec_lo, s21
	v_or_b32_e32 v1, v54, v55
	s_waitcnt vmcnt(0)
	v_fma_mixlo_f16 v10, v51, v54, 0 op_sel:[0,1,0] op_sel_hi:[0,1,0]
	v_or_b32_e32 v54, v52, v53
	v_fma_mixlo_f16 v52, v51, v52, 0 op_sel:[0,1,0] op_sel_hi:[0,1,0]
	v_or_b32_e32 v55, v58, v57
	v_or_b32_e32 v56, v9, v56
	v_fma_mixlo_f16 v57, v51, v1, 0 op_sel_hi:[0,1,0]
	v_fma_mixlo_f16 v9, v51, v9, 0 op_sel:[0,1,0] op_sel_hi:[0,1,0]
	v_lshlrev_b32_e32 v53, 16, v52
	v_fma_mixlo_f16 v52, v51, v54, 0 op_sel_hi:[0,1,0]
	v_fma_mixlo_f16 v54, v51, v58, 0 op_sel:[0,1,0] op_sel_hi:[0,1,0]
	v_fma_mixlo_f16 v55, v51, v55, 0 op_sel_hi:[0,1,0]
	v_fma_mixlo_f16 v56, v51, v56, 0 op_sel_hi:[0,1,0]
	v_lshlrev_b32_e32 v1, 16, v10
	v_and_b32_e32 v10, 0xffff, v57
	v_and_b32_e32 v59, 0xffff, v52
	v_lshlrev_b32_e32 v51, 16, v54
	v_and_b32_e32 v55, 0xffff, v55
	v_lshlrev_b32_e32 v9, 16, v9
	v_and_b32_e32 v52, 0xffff, v56
	v_or_b32_e32 v54, v1, v10
	v_or_b32_e32 v58, v53, v59
	;; [unrolled: 1-line block ×4, first 2 shown]
	s_and_saveexec_b32 s21, vcc_lo
	s_cbranch_execz .LBB255_754
; %bb.753:                              ;   in Loop: Header=BB255_423 Depth=1
	v_cmp_gt_i32_e64 s0, s33, v31
	v_cndmask_b32_e64 v54, 0, v59, s0
	v_cmp_gt_i32_e64 s0, s33, v38
	v_cndmask_b32_e64 v53, 0, v53, s0
	v_cmp_gt_i32_e64 s0, s33, v37
	v_or_b32_e32 v58, v53, v54
	v_cndmask_b32_e64 v10, 0, v10, s0
	v_cmp_gt_i32_e64 s0, s33, v36
	v_cndmask_b32_e64 v1, 0, v1, s0
	v_cmp_gt_i32_e64 s0, s33, v35
	v_or_b32_e32 v54, v1, v10
	;; [unrolled: 5-line block ×3, first 2 shown]
	v_cndmask_b32_e64 v52, 0, v52, s0
	v_cmp_gt_i32_e64 s0, s33, v32
	v_cndmask_b32_e64 v9, 0, v9, s0
	v_or_b32_e32 v56, v9, v52
.LBB255_754:                            ;   in Loop: Header=BB255_423 Depth=1
	s_or_b32 exec_lo, exec_lo, s21
	;;#ASMSTART
	v_pk_mul_f16 v1, v44, v58;

	;;#ASMEND
	;;#ASMSTART
	v_pk_mul_f16 v9, v43, v54;

	;;#ASMEND
	;; [unrolled: 4-line block ×4, first 2 shown]
	;;#ASMSTART
	v_pk_add_f16 v1, v1, v9;

	;;#ASMEND
	;;#ASMSTART
	v_pk_add_f16 v1, v1, v10;

	;;#ASMEND
	;; [unrolled: 4-line block ×3, first 2 shown]
	v_and_b32_e32 v9, 0xffff, v1
	v_lshrrev_b32_e32 v1, 16, v1
	;;#ASMSTART
	v_cvt_f32_f16 v9, v9;
	;;#ASMEND
	;;#ASMSTART
	v_cvt_f32_f16 v10, v1;
	;;#ASMEND
	global_load_dwordx2 v[7:8], v[7:8], off offset:1280
	v_mov_b32_e32 v52, 0
	v_mov_b32_e32 v53, 0
	global_load_dword v51, v52, s[14:15]
	s_waitcnt vmcnt(1)
	v_cmp_ne_u16_sdwa s0, v7, v2 src0_sel:BYTE_0 src1_sel:DWORD
	s_and_saveexec_b32 s21, s0
	s_cbranch_execz .LBB255_762
; %bb.755:                              ;   in Loop: Header=BB255_423 Depth=1
	v_cmp_ne_u16_sdwa s0, v7, v15 src0_sel:BYTE_0 src1_sel:DWORD
	v_mov_b32_e32 v53, 0x8000
	s_and_saveexec_b32 s22, s0
	s_cbranch_execz .LBB255_761
; %bb.756:                              ;   in Loop: Header=BB255_423 Depth=1
	v_and_b32_e32 v54, 0x7f, v7
	v_mov_b32_e32 v53, 0x7c01
	s_mov_b32 s26, exec_lo
	v_cmpx_ne_u32_e32 0x7f, v54
	s_cbranch_execz .LBB255_760
; %bb.757:                              ;   in Loop: Header=BB255_423 Depth=1
	v_and_b32_e32 v1, 7, v7
	v_lshrrev_b32_e32 v53, 3, v54
	s_mov_b32 s27, exec_lo
	v_cmpx_gt_u32_e32 8, v54
; %bb.758:                              ;   in Loop: Header=BB255_423 Depth=1
	v_ffbh_u32_e32 v1, v1
	v_min_u32_e32 v1, 32, v1
	v_subrev_nc_u32_e32 v53, 28, v1
	v_lshlrev_b64 v[54:55], v53, v[7:8]
	v_sub_nc_u32_e32 v53, 29, v1
	v_and_b32_e32 v1, 7, v54
; %bb.759:                              ;   in Loop: Header=BB255_423 Depth=1
	s_or_b32 exec_lo, exec_lo, s27
	v_lshlrev_b32_e32 v54, 8, v7
	v_lshl_add_u32 v53, v53, 10, 0x2000
	v_lshlrev_b32_e32 v1, 7, v1
	v_and_b32_e32 v54, 0x8000, v54
	v_and_b32_e32 v53, 0xfc00, v53
	v_or3_b32 v53, v54, v53, v1
.LBB255_760:                            ;   in Loop: Header=BB255_423 Depth=1
	s_or_b32 exec_lo, exec_lo, s26
.LBB255_761:                            ;   in Loop: Header=BB255_423 Depth=1
	s_or_b32 exec_lo, exec_lo, s22
.LBB255_762:                            ;   in Loop: Header=BB255_423 Depth=1
	s_or_b32 exec_lo, exec_lo, s21
	v_lshrrev_b16 v1, 8, v7
	s_mov_b32 s21, exec_lo
	v_cmpx_ne_u16_e32 0, v1
	s_cbranch_execz .LBB255_770
; %bb.763:                              ;   in Loop: Header=BB255_423 Depth=1
	v_bfrev_b32_e32 v52, 1
	s_mov_b32 s22, exec_lo
	v_cmpx_ne_u16_e32 0x80, v1
	s_cbranch_execz .LBB255_769
; %bb.764:                              ;   in Loop: Header=BB255_423 Depth=1
	v_and_b32_sdwa v55, v1, v25 dst_sel:DWORD dst_unused:UNUSED_PAD src0_sel:WORD_0 src1_sel:DWORD
	v_mov_b32_e32 v52, 0x7c010000
	s_mov_b32 s26, exec_lo
	v_cmpx_ne_u32_e32 0x7f, v55
	s_cbranch_execz .LBB255_768
; %bb.765:                              ;   in Loop: Header=BB255_423 Depth=1
	v_and_b32_sdwa v52, v1, v26 dst_sel:DWORD dst_unused:UNUSED_PAD src0_sel:WORD_0 src1_sel:DWORD
	v_lshrrev_b32_e32 v54, 3, v55
	s_mov_b32 s27, exec_lo
	v_cmpx_gt_u32_e32 8, v55
; %bb.766:                              ;   in Loop: Header=BB255_423 Depth=1
	v_ffbh_u32_e32 v52, v52
	v_min_u32_e32 v52, 32, v52
	v_subrev_nc_u32_e32 v54, 28, v52
	v_lshlrev_b64 v[55:56], v54, v[1:2]
	v_sub_nc_u32_e32 v54, 29, v52
	v_and_b32_e32 v52, 7, v55
; %bb.767:                              ;   in Loop: Header=BB255_423 Depth=1
	s_or_b32 exec_lo, exec_lo, s27
	v_lshlrev_b32_sdwa v1, v27, v1 dst_sel:DWORD dst_unused:UNUSED_PAD src0_sel:DWORD src1_sel:WORD_0
	v_lshl_add_u32 v54, v54, 10, 0x2000
	v_lshlrev_b32_e32 v52, 23, v52
	v_and_or_b32 v1, 0x8000, v1, v54
	v_lshl_or_b32 v52, v1, 16, v52
.LBB255_768:                            ;   in Loop: Header=BB255_423 Depth=1
	s_or_b32 exec_lo, exec_lo, s26
.LBB255_769:                            ;   in Loop: Header=BB255_423 Depth=1
	s_or_b32 exec_lo, exec_lo, s22
.LBB255_770:                            ;   in Loop: Header=BB255_423 Depth=1
	s_or_b32 exec_lo, exec_lo, s21
	v_lshrrev_b32_e32 v1, 16, v7
	v_mov_b32_e32 v54, 0
	v_mov_b32_e32 v55, 0
	v_cmp_ne_u16_sdwa s0, v1, v2 src0_sel:BYTE_0 src1_sel:DWORD
	s_and_saveexec_b32 s21, s0
	s_cbranch_execz .LBB255_778
; %bb.771:                              ;   in Loop: Header=BB255_423 Depth=1
	v_cmp_ne_u16_sdwa s0, v1, v15 src0_sel:BYTE_0 src1_sel:DWORD
	v_mov_b32_e32 v55, 0x8000
	s_and_saveexec_b32 s22, s0
	s_cbranch_execz .LBB255_777
; %bb.772:                              ;   in Loop: Header=BB255_423 Depth=1
	v_bfe_u32 v57, v7, 16, 7
	v_mov_b32_e32 v55, 0x7c01
	s_mov_b32 s26, exec_lo
	v_cmpx_ne_u32_e32 0x7f, v57
	s_cbranch_execz .LBB255_776
; %bb.773:                              ;   in Loop: Header=BB255_423 Depth=1
	v_and_b32_e32 v55, 7, v1
	v_lshrrev_b32_e32 v56, 3, v57
	s_mov_b32 s27, exec_lo
	v_cmpx_gt_u32_e32 8, v57
; %bb.774:                              ;   in Loop: Header=BB255_423 Depth=1
	v_ffbh_u32_e32 v55, v55
	v_min_u32_e32 v57, 32, v55
	v_subrev_nc_u32_e32 v55, 28, v57
	v_lshlrev_b64 v[55:56], v55, v[1:2]
	v_sub_nc_u32_e32 v56, 29, v57
	v_and_b32_e32 v55, 7, v55
; %bb.775:                              ;   in Loop: Header=BB255_423 Depth=1
	s_or_b32 exec_lo, exec_lo, s27
	v_lshlrev_b32_e32 v1, 8, v1
	v_lshl_add_u32 v56, v56, 10, 0x2000
	v_lshlrev_b32_e32 v55, 7, v55
	v_and_b32_e32 v1, 0x8000, v1
	v_and_b32_e32 v56, 0xfc00, v56
	v_or3_b32 v55, v1, v56, v55
.LBB255_776:                            ;   in Loop: Header=BB255_423 Depth=1
	s_or_b32 exec_lo, exec_lo, s26
.LBB255_777:                            ;   in Loop: Header=BB255_423 Depth=1
	s_or_b32 exec_lo, exec_lo, s22
.LBB255_778:                            ;   in Loop: Header=BB255_423 Depth=1
	s_or_b32 exec_lo, exec_lo, s21
	s_mov_b32 s21, exec_lo
	v_cmpx_lt_u32_e32 0xffffff, v7
	s_cbranch_execz .LBB255_786
; %bb.779:                              ;   in Loop: Header=BB255_423 Depth=1
	v_lshrrev_b32_e32 v1, 24, v7
	v_bfrev_b32_e32 v54, 1
	s_mov_b32 s22, exec_lo
	v_cmpx_ne_u32_e32 0x80, v1
	s_cbranch_execz .LBB255_785
; %bb.780:                              ;   in Loop: Header=BB255_423 Depth=1
	v_and_b32_e32 v57, 0x7f, v1
	v_mov_b32_e32 v54, 0x7c010000
	s_mov_b32 s26, exec_lo
	v_cmpx_ne_u32_e32 0x7f, v57
	s_cbranch_execz .LBB255_784
; %bb.781:                              ;   in Loop: Header=BB255_423 Depth=1
	v_and_b32_e32 v54, 7, v1
	v_lshrrev_b32_e32 v56, 3, v57
	s_mov_b32 s27, exec_lo
	v_cmpx_gt_u32_e32 8, v57
; %bb.782:                              ;   in Loop: Header=BB255_423 Depth=1
	v_ffbh_u32_e32 v54, v54
	v_min_u32_e32 v54, 32, v54
	v_subrev_nc_u32_e32 v56, 28, v54
	v_lshlrev_b64 v[57:58], v56, v[1:2]
	v_sub_nc_u32_e32 v56, 29, v54
	v_and_b32_e32 v54, 7, v57
; %bb.783:                              ;   in Loop: Header=BB255_423 Depth=1
	s_or_b32 exec_lo, exec_lo, s27
	v_lshlrev_b32_e32 v1, 8, v1
	v_lshl_add_u32 v56, v56, 10, 0x2000
	v_lshlrev_b32_e32 v54, 23, v54
	v_and_or_b32 v1, 0x8000, v1, v56
	v_lshl_or_b32 v54, v1, 16, v54
.LBB255_784:                            ;   in Loop: Header=BB255_423 Depth=1
	s_or_b32 exec_lo, exec_lo, s26
.LBB255_785:                            ;   in Loop: Header=BB255_423 Depth=1
	s_or_b32 exec_lo, exec_lo, s22
.LBB255_786:                            ;   in Loop: Header=BB255_423 Depth=1
	s_or_b32 exec_lo, exec_lo, s21
	v_mov_b32_e32 v1, v8
	v_cmp_ne_u16_sdwa s0, v8, v2 src0_sel:BYTE_0 src1_sel:DWORD
	v_mov_b32_e32 v56, 0
	v_mov_b32_e32 v57, 0
	s_and_saveexec_b32 s21, s0
	s_cbranch_execz .LBB255_794
; %bb.787:                              ;   in Loop: Header=BB255_423 Depth=1
	v_cmp_ne_u16_sdwa s0, v8, v15 src0_sel:BYTE_0 src1_sel:DWORD
	v_mov_b32_e32 v57, 0x8000
	s_and_saveexec_b32 s22, s0
	s_cbranch_execz .LBB255_793
; %bb.788:                              ;   in Loop: Header=BB255_423 Depth=1
	v_and_b32_e32 v59, 0x7f, v8
	v_mov_b32_e32 v57, 0x7c01
	s_mov_b32 s26, exec_lo
	v_cmpx_ne_u32_e32 0x7f, v59
	s_cbranch_execz .LBB255_792
; %bb.789:                              ;   in Loop: Header=BB255_423 Depth=1
	v_and_b32_e32 v57, 7, v8
	v_lshrrev_b32_e32 v58, 3, v59
	s_mov_b32 s27, exec_lo
	v_cmpx_gt_u32_e32 8, v59
; %bb.790:                              ;   in Loop: Header=BB255_423 Depth=1
	v_ffbh_u32_e32 v57, v57
	v_min_u32_e32 v59, 32, v57
	v_subrev_nc_u32_e32 v57, 28, v59
	v_lshlrev_b64 v[57:58], v57, v[1:2]
	v_sub_nc_u32_e32 v58, 29, v59
	v_and_b32_e32 v57, 7, v57
; %bb.791:                              ;   in Loop: Header=BB255_423 Depth=1
	s_or_b32 exec_lo, exec_lo, s27
	v_lshlrev_b32_e32 v59, 8, v8
	v_lshl_add_u32 v58, v58, 10, 0x2000
	v_lshlrev_b32_e32 v57, 7, v57
	v_and_b32_e32 v59, 0x8000, v59
	v_and_b32_e32 v58, 0xfc00, v58
	v_or3_b32 v57, v59, v58, v57
.LBB255_792:                            ;   in Loop: Header=BB255_423 Depth=1
	s_or_b32 exec_lo, exec_lo, s26
.LBB255_793:                            ;   in Loop: Header=BB255_423 Depth=1
	s_or_b32 exec_lo, exec_lo, s22
.LBB255_794:                            ;   in Loop: Header=BB255_423 Depth=1
	s_or_b32 exec_lo, exec_lo, s21
	v_lshrrev_b16 v1, 8, v1
	v_mov_b32_e32 v58, 0
	s_mov_b32 s21, exec_lo
	v_cmpx_ne_u16_e32 0, v1
	s_cbranch_execz .LBB255_802
; %bb.795:                              ;   in Loop: Header=BB255_423 Depth=1
	v_bfrev_b32_e32 v58, 1
	s_mov_b32 s22, exec_lo
	v_cmpx_ne_u16_e32 0x80, v1
	s_cbranch_execz .LBB255_801
; %bb.796:                              ;   in Loop: Header=BB255_423 Depth=1
	v_and_b32_sdwa v60, v1, v25 dst_sel:DWORD dst_unused:UNUSED_PAD src0_sel:WORD_0 src1_sel:DWORD
	v_mov_b32_e32 v58, 0x7c010000
	s_mov_b32 s26, exec_lo
	v_cmpx_ne_u32_e32 0x7f, v60
	s_cbranch_execz .LBB255_800
; %bb.797:                              ;   in Loop: Header=BB255_423 Depth=1
	v_and_b32_sdwa v58, v1, v26 dst_sel:DWORD dst_unused:UNUSED_PAD src0_sel:WORD_0 src1_sel:DWORD
	v_lshrrev_b32_e32 v59, 3, v60
	s_mov_b32 s27, exec_lo
	v_cmpx_gt_u32_e32 8, v60
; %bb.798:                              ;   in Loop: Header=BB255_423 Depth=1
	v_ffbh_u32_e32 v58, v58
	v_min_u32_e32 v60, 32, v58
	v_subrev_nc_u32_e32 v58, 28, v60
	v_lshlrev_b64 v[58:59], v58, v[1:2]
	v_sub_nc_u32_e32 v59, 29, v60
	v_and_b32_e32 v58, 7, v58
; %bb.799:                              ;   in Loop: Header=BB255_423 Depth=1
	s_or_b32 exec_lo, exec_lo, s27
	v_lshlrev_b32_sdwa v1, v27, v1 dst_sel:DWORD dst_unused:UNUSED_PAD src0_sel:DWORD src1_sel:WORD_0
	v_lshl_add_u32 v59, v59, 10, 0x2000
	v_lshlrev_b32_e32 v58, 23, v58
	v_and_or_b32 v1, 0x8000, v1, v59
	v_lshl_or_b32 v58, v1, 16, v58
.LBB255_800:                            ;   in Loop: Header=BB255_423 Depth=1
	s_or_b32 exec_lo, exec_lo, s26
.LBB255_801:                            ;   in Loop: Header=BB255_423 Depth=1
	s_or_b32 exec_lo, exec_lo, s22
.LBB255_802:                            ;   in Loop: Header=BB255_423 Depth=1
	s_or_b32 exec_lo, exec_lo, s21
	v_lshrrev_b32_e32 v1, 16, v8
	v_cmp_ne_u16_sdwa s0, v1, v2 src0_sel:BYTE_0 src1_sel:DWORD
	s_and_saveexec_b32 s21, s0
	s_cbranch_execz .LBB255_810
; %bb.803:                              ;   in Loop: Header=BB255_423 Depth=1
	v_cmp_ne_u16_sdwa s0, v1, v15 src0_sel:BYTE_0 src1_sel:DWORD
	v_mov_b32_e32 v56, 0x8000
	s_and_saveexec_b32 s22, s0
	s_cbranch_execz .LBB255_809
; %bb.804:                              ;   in Loop: Header=BB255_423 Depth=1
	v_bfe_u32 v60, v8, 16, 7
	v_mov_b32_e32 v56, 0x7c01
	s_mov_b32 s26, exec_lo
	v_cmpx_ne_u32_e32 0x7f, v60
	s_cbranch_execz .LBB255_808
; %bb.805:                              ;   in Loop: Header=BB255_423 Depth=1
	v_and_b32_e32 v56, 7, v1
	v_lshrrev_b32_e32 v59, 3, v60
	s_mov_b32 s27, exec_lo
	v_cmpx_gt_u32_e32 8, v60
; %bb.806:                              ;   in Loop: Header=BB255_423 Depth=1
	v_ffbh_u32_e32 v56, v56
	v_min_u32_e32 v56, 32, v56
	v_subrev_nc_u32_e32 v59, 28, v56
	v_lshlrev_b64 v[60:61], v59, v[1:2]
	v_sub_nc_u32_e32 v59, 29, v56
	v_and_b32_e32 v56, 7, v60
; %bb.807:                              ;   in Loop: Header=BB255_423 Depth=1
	s_or_b32 exec_lo, exec_lo, s27
	v_lshlrev_b32_e32 v1, 8, v1
	v_lshl_add_u32 v59, v59, 10, 0x2000
	v_lshlrev_b32_e32 v56, 7, v56
	v_and_b32_e32 v1, 0x8000, v1
	v_and_b32_e32 v59, 0xfc00, v59
	v_or3_b32 v56, v1, v59, v56
.LBB255_808:                            ;   in Loop: Header=BB255_423 Depth=1
	s_or_b32 exec_lo, exec_lo, s26
.LBB255_809:                            ;   in Loop: Header=BB255_423 Depth=1
	s_or_b32 exec_lo, exec_lo, s22
.LBB255_810:                            ;   in Loop: Header=BB255_423 Depth=1
	s_or_b32 exec_lo, exec_lo, s21
	v_cmp_lt_u64_e64 s0, s[2:3], v[7:8]
	v_mov_b32_e32 v7, 0
	s_and_saveexec_b32 s21, s0
	s_cbranch_execz .LBB255_818
; %bb.811:                              ;   in Loop: Header=BB255_423 Depth=1
	v_lshrrev_b32_e32 v1, 24, v8
	v_bfrev_b32_e32 v7, 1
	s_mov_b32 s22, exec_lo
	v_cmpx_ne_u32_e32 0x80, v1
	s_cbranch_execz .LBB255_817
; %bb.812:                              ;   in Loop: Header=BB255_423 Depth=1
	v_and_b32_e32 v59, 0x7f, v1
	v_mov_b32_e32 v7, 0x7c010000
	s_mov_b32 s26, exec_lo
	v_cmpx_ne_u32_e32 0x7f, v59
	s_cbranch_execz .LBB255_816
; %bb.813:                              ;   in Loop: Header=BB255_423 Depth=1
	v_and_b32_e32 v7, 7, v1
	v_lshrrev_b32_e32 v8, 3, v59
	s_mov_b32 s27, exec_lo
	v_cmpx_gt_u32_e32 8, v59
; %bb.814:                              ;   in Loop: Header=BB255_423 Depth=1
	v_ffbh_u32_e32 v7, v7
	v_min_u32_e32 v59, 32, v7
	v_subrev_nc_u32_e32 v7, 28, v59
	v_lshlrev_b64 v[7:8], v7, v[1:2]
	v_sub_nc_u32_e32 v8, 29, v59
	v_and_b32_e32 v7, 7, v7
; %bb.815:                              ;   in Loop: Header=BB255_423 Depth=1
	s_or_b32 exec_lo, exec_lo, s27
	v_lshlrev_b32_e32 v1, 8, v1
	v_lshl_add_u32 v8, v8, 10, 0x2000
	v_lshlrev_b32_e32 v7, 23, v7
	v_and_or_b32 v1, 0x8000, v1, v8
	v_lshl_or_b32 v7, v1, 16, v7
.LBB255_816:                            ;   in Loop: Header=BB255_423 Depth=1
	s_or_b32 exec_lo, exec_lo, s26
.LBB255_817:                            ;   in Loop: Header=BB255_423 Depth=1
	s_or_b32 exec_lo, exec_lo, s22
.LBB255_818:                            ;   in Loop: Header=BB255_423 Depth=1
	s_or_b32 exec_lo, exec_lo, s21
	v_or_b32_e32 v1, v54, v55
	s_waitcnt vmcnt(0)
	v_fma_mixlo_f16 v8, v51, v54, 0 op_sel:[0,1,0] op_sel_hi:[0,1,0]
	v_or_b32_e32 v53, v52, v53
	v_fma_mixlo_f16 v54, v51, v52, 0 op_sel:[0,1,0] op_sel_hi:[0,1,0]
	v_or_b32_e32 v55, v58, v57
	v_fma_mixlo_f16 v1, v51, v1, 0 op_sel_hi:[0,1,0]
	v_or_b32_e32 v56, v7, v56
	v_lshlrev_b32_e32 v52, 16, v8
	v_lshlrev_b32_e32 v57, 16, v54
	v_fma_mixlo_f16 v8, v51, v53, 0 op_sel_hi:[0,1,0]
	v_and_b32_e32 v54, 0xffff, v1
	v_fma_mixlo_f16 v1, v51, v58, 0 op_sel:[0,1,0] op_sel_hi:[0,1,0]
	v_fma_mixlo_f16 v53, v51, v55, 0 op_sel_hi:[0,1,0]
	v_fma_mixlo_f16 v7, v51, v7, 0 op_sel:[0,1,0] op_sel_hi:[0,1,0]
	v_fma_mixlo_f16 v51, v51, v56, 0 op_sel_hi:[0,1,0]
	v_and_b32_e32 v59, 0xffff, v8
	v_lshlrev_b32_e32 v55, 16, v1
	v_and_b32_e32 v58, 0xffff, v53
	v_lshlrev_b32_e32 v53, 16, v7
	v_and_b32_e32 v56, 0xffff, v51
	v_or_b32_e32 v8, v52, v54
	v_or_b32_e32 v51, v57, v59
	;; [unrolled: 1-line block ×4, first 2 shown]
	s_and_saveexec_b32 s0, vcc_lo
	s_cbranch_execz .LBB255_421
; %bb.819:                              ;   in Loop: Header=BB255_423 Depth=1
	v_cmp_gt_i32_e32 vcc_lo, s33, v31
	v_cndmask_b32_e32 v1, 0, v59, vcc_lo
	v_cmp_gt_i32_e32 vcc_lo, s33, v38
	v_cndmask_b32_e32 v7, 0, v57, vcc_lo
	v_cmp_gt_i32_e32 vcc_lo, s33, v37
	v_or_b32_e32 v51, v7, v1
	v_cndmask_b32_e32 v8, 0, v54, vcc_lo
	v_cmp_gt_i32_e32 vcc_lo, s33, v36
	v_cndmask_b32_e32 v31, 0, v52, vcc_lo
	v_cmp_gt_i32_e32 vcc_lo, s33, v35
	v_or_b32_e32 v8, v31, v8
	v_cndmask_b32_e32 v35, 0, v58, vcc_lo
	v_cmp_gt_i32_e32 vcc_lo, s33, v34
	v_cndmask_b32_e32 v34, 0, v55, vcc_lo
	v_cmp_gt_i32_e32 vcc_lo, s33, v33
	v_or_b32_e32 v7, v34, v35
	v_cndmask_b32_e32 v33, 0, v56, vcc_lo
	v_cmp_gt_i32_e32 vcc_lo, s33, v32
	v_cndmask_b32_e32 v32, 0, v53, vcc_lo
	v_or_b32_e32 v1, v32, v33
	s_branch .LBB255_421
.LBB255_820:
	s_or_b32 exec_lo, exec_lo, s17
.LBB255_821:
	s_or_b32 exec_lo, exec_lo, s1
	ds_bpermute_b32 v1, v16, v23
	ds_bpermute_b32 v2, v16, v22
	;; [unrolled: 1-line block ×6, first 2 shown]
	v_lshrrev_b32_e32 v7, 1, v17
	v_mul_u32_u24_e32 v9, 0x180, v13
	v_and_b32_e32 v13, 0x3c1, v0
	s_mov_b32 s0, exec_lo
	s_waitcnt lgkmcnt(0)
	v_lshl_add_u32 v8, v7, 2, 0xe0
	s_barrier
	buffer_gl0_inv
	v_add_f32_e32 v6, v23, v1
	v_add_f32_e32 v5, v22, v2
	;; [unrolled: 1-line block ×6, first 2 shown]
	v_cmpx_eq_u32_e32 64, v13
	s_cbranch_execz .LBB255_823
; %bb.822:
	v_add_nc_u32_e32 v10, v8, v9
	v_add_nc_u32_e32 v13, 0xfffffd00, v10
	;; [unrolled: 1-line block ×7, first 2 shown]
	ds_write_b32 v13, v6
	ds_write_b32 v14, v5
	;; [unrolled: 1-line block ×6, first 2 shown]
.LBB255_823:
	s_or_b32 exec_lo, exec_lo, s0
	v_lshlrev_b32_e32 v7, 2, v7
	s_mov_b32 s1, exec_lo
	v_cmp_eq_u32_e32 vcc_lo, 0, v12
	s_waitcnt lgkmcnt(0)
	s_barrier
	v_add3_u32 v7, 0xe0, v9, v7
	buffer_gl0_inv
	v_cmpx_gt_u32_e32 64, v0
	s_cbranch_execz .LBB255_832
; %bb.824:
	s_and_saveexec_b32 s0, vcc_lo
	s_cbranch_execnz .LBB255_846
; %bb.825:
	s_or_b32 exec_lo, exec_lo, s0
	s_and_saveexec_b32 s0, vcc_lo
	s_cbranch_execnz .LBB255_847
.LBB255_826:
	s_or_b32 exec_lo, exec_lo, s0
	s_and_saveexec_b32 s0, vcc_lo
	s_cbranch_execnz .LBB255_848
.LBB255_827:
	s_or_b32 exec_lo, exec_lo, s0
	s_and_saveexec_b32 s0, vcc_lo
	s_cbranch_execnz .LBB255_849
.LBB255_828:
	s_or_b32 exec_lo, exec_lo, s0
	s_and_saveexec_b32 s0, vcc_lo
	s_cbranch_execnz .LBB255_850
.LBB255_829:
	s_or_b32 exec_lo, exec_lo, s0
	s_and_saveexec_b32 s0, vcc_lo
	s_cbranch_execz .LBB255_831
.LBB255_830:
	ds_read_b32 v9, v7 offset:320
	s_waitcnt lgkmcnt(0)
	v_add_f32_e32 v1, v1, v9
.LBB255_831:
	s_or_b32 exec_lo, exec_lo, s0
.LBB255_832:
	s_or_b32 exec_lo, exec_lo, s1
	v_and_b32_e32 v9, 0x3e1, v0
	s_mov_b32 s1, exec_lo
	s_barrier
	buffer_gl0_inv
	v_cmpx_eq_u32_e32 32, v9
	s_cbranch_execz .LBB255_834
; %bb.833:
	ds_write2_b32 v8, v6, v5 offset1:16
	ds_write2_b32 v8, v4, v3 offset0:32 offset1:48
	ds_write2_b32 v8, v2, v1 offset0:64 offset1:80
.LBB255_834:
	s_or_b32 exec_lo, exec_lo, s1
	s_mov_b32 s1, exec_lo
	s_waitcnt lgkmcnt(0)
	s_barrier
	buffer_gl0_inv
	v_cmpx_gt_u32_e32 32, v0
	s_cbranch_execz .LBB255_843
; %bb.835:
	s_and_saveexec_b32 s0, vcc_lo
	s_cbranch_execnz .LBB255_851
; %bb.836:
	s_or_b32 exec_lo, exec_lo, s0
	s_and_saveexec_b32 s0, vcc_lo
	s_cbranch_execnz .LBB255_852
.LBB255_837:
	s_or_b32 exec_lo, exec_lo, s0
	s_and_saveexec_b32 s0, vcc_lo
	s_cbranch_execnz .LBB255_853
.LBB255_838:
	s_or_b32 exec_lo, exec_lo, s0
	s_and_saveexec_b32 s0, vcc_lo
	s_cbranch_execnz .LBB255_854
.LBB255_839:
	s_or_b32 exec_lo, exec_lo, s0
	s_and_saveexec_b32 s0, vcc_lo
	s_cbranch_execnz .LBB255_855
.LBB255_840:
	s_or_b32 exec_lo, exec_lo, s0
	s_and_saveexec_b32 s0, vcc_lo
	s_cbranch_execz .LBB255_842
.LBB255_841:
	ds_read_b32 v0, v7 offset:320
	s_waitcnt lgkmcnt(0)
	v_add_f32_e32 v1, v1, v0
.LBB255_842:
	s_or_b32 exec_lo, exec_lo, s0
.LBB255_843:
	s_or_b32 exec_lo, exec_lo, s1
	s_barrier
	buffer_gl0_inv
	s_mov_b32 s0, exec_lo
	v_cmpx_eq_u32_e32 0, v9
	s_cbranch_execz .LBB255_845
; %bb.844:
	s_mul_i32 s0, s10, s11
	s_mul_i32 s2, s11, s24
	;; [unrolled: 1-line block ×3, first 2 shown]
	v_lshlrev_b32_e32 v0, 1, v11
	s_mulk_i32 s0, 0x60
	;;#ASMSTART
	v_cvt_f16_f32 v6, v6;

	;;#ASMEND
	s_ashr_i32 s1, s0, 31
	s_lshl_b64 s[0:1], s[0:1], 1
	s_add_u32 s4, s6, s0
	s_addc_u32 s5, s7, s1
	s_ashr_i32 s3, s2, 31
	s_lshl_b64 s[0:1], s[2:3], 1
	s_mul_i32 s2, s8, 0x60
	s_add_u32 s4, s4, s0
	s_addc_u32 s5, s5, s1
	s_ashr_i32 s3, s2, 31
	s_lshl_b64 s[0:1], s[2:3], 1
	s_add_u32 s0, s4, s0
	s_addc_u32 s1, s5, s1
	global_store_short v0, v6, s[0:1]
	;;#ASMSTART
	v_cvt_f16_f32 v5, v5;

	;;#ASMEND
	global_store_short v0, v5, s[0:1] offset:32
	;;#ASMSTART
	v_cvt_f16_f32 v4, v4;

	;;#ASMEND
	global_store_short v0, v4, s[0:1] offset:64
	;; [unrolled: 5-line block ×5, first 2 shown]
.LBB255_845:
	s_endpgm
.LBB255_846:
	ds_read_b32 v9, v7
	s_waitcnt lgkmcnt(0)
	v_add_f32_e32 v6, v6, v9
	s_or_b32 exec_lo, exec_lo, s0
	s_and_saveexec_b32 s0, vcc_lo
	s_cbranch_execz .LBB255_826
.LBB255_847:
	ds_read_b32 v9, v7 offset:64
	s_waitcnt lgkmcnt(0)
	v_add_f32_e32 v5, v5, v9
	s_or_b32 exec_lo, exec_lo, s0
	s_and_saveexec_b32 s0, vcc_lo
	s_cbranch_execz .LBB255_827
.LBB255_848:
	ds_read_b32 v9, v7 offset:128
	s_waitcnt lgkmcnt(0)
	v_add_f32_e32 v4, v4, v9
	s_or_b32 exec_lo, exec_lo, s0
	s_and_saveexec_b32 s0, vcc_lo
	s_cbranch_execz .LBB255_828
.LBB255_849:
	ds_read_b32 v9, v7 offset:192
	s_waitcnt lgkmcnt(0)
	v_add_f32_e32 v3, v3, v9
	s_or_b32 exec_lo, exec_lo, s0
	s_and_saveexec_b32 s0, vcc_lo
	s_cbranch_execz .LBB255_829
.LBB255_850:
	ds_read_b32 v9, v7 offset:256
	s_waitcnt lgkmcnt(0)
	v_add_f32_e32 v2, v2, v9
	s_or_b32 exec_lo, exec_lo, s0
	s_and_saveexec_b32 s0, vcc_lo
	s_cbranch_execnz .LBB255_830
	s_branch .LBB255_831
.LBB255_851:
	ds_read_b32 v0, v7
	s_waitcnt lgkmcnt(0)
	v_add_f32_e32 v6, v6, v0
	s_or_b32 exec_lo, exec_lo, s0
	s_and_saveexec_b32 s0, vcc_lo
	s_cbranch_execz .LBB255_837
.LBB255_852:
	ds_read_b32 v0, v7 offset:64
	s_waitcnt lgkmcnt(0)
	v_add_f32_e32 v5, v5, v0
	s_or_b32 exec_lo, exec_lo, s0
	s_and_saveexec_b32 s0, vcc_lo
	s_cbranch_execz .LBB255_838
.LBB255_853:
	ds_read_b32 v0, v7 offset:128
	s_waitcnt lgkmcnt(0)
	v_add_f32_e32 v4, v4, v0
	s_or_b32 exec_lo, exec_lo, s0
	s_and_saveexec_b32 s0, vcc_lo
	s_cbranch_execz .LBB255_839
.LBB255_854:
	ds_read_b32 v0, v7 offset:192
	s_waitcnt lgkmcnt(0)
	v_add_f32_e32 v3, v3, v0
	s_or_b32 exec_lo, exec_lo, s0
	s_and_saveexec_b32 s0, vcc_lo
	s_cbranch_execz .LBB255_840
.LBB255_855:
	ds_read_b32 v0, v7 offset:256
	s_waitcnt lgkmcnt(0)
	v_add_f32_e32 v2, v2, v0
	s_or_b32 exec_lo, exec_lo, s0
	s_and_saveexec_b32 s0, vcc_lo
	s_cbranch_execnz .LBB255_841
	s_branch .LBB255_842
	.section	.rodata,"a",@progbits
	.p2align	6, 0x0
	.amdhsa_kernel _ZN4vllm25paged_attention_v1_kernelIthLi96ELi16ELi128ELNS_18Fp8KVCacheDataTypeE1ELb1EEEvPT_PKS2_PKT0_S8_ifPKiSA_iPKfiiiSC_SC_iiiii
		.amdhsa_group_segment_fixed_size 224
		.amdhsa_private_segment_fixed_size 0
		.amdhsa_kernarg_size 384
		.amdhsa_user_sgpr_count 6
		.amdhsa_user_sgpr_private_segment_buffer 1
		.amdhsa_user_sgpr_dispatch_ptr 0
		.amdhsa_user_sgpr_queue_ptr 0
		.amdhsa_user_sgpr_kernarg_segment_ptr 1
		.amdhsa_user_sgpr_dispatch_id 0
		.amdhsa_user_sgpr_flat_scratch_init 0
		.amdhsa_user_sgpr_private_segment_size 0
		.amdhsa_wavefront_size32 1
		.amdhsa_uses_dynamic_stack 0
		.amdhsa_system_sgpr_private_segment_wavefront_offset 0
		.amdhsa_system_sgpr_workgroup_id_x 1
		.amdhsa_system_sgpr_workgroup_id_y 1
		.amdhsa_system_sgpr_workgroup_id_z 1
		.amdhsa_system_sgpr_workgroup_info 0
		.amdhsa_system_vgpr_workitem_id 0
		.amdhsa_next_free_vgpr 114
		.amdhsa_next_free_sgpr 44
		.amdhsa_reserve_vcc 1
		.amdhsa_reserve_flat_scratch 0
		.amdhsa_float_round_mode_32 0
		.amdhsa_float_round_mode_16_64 0
		.amdhsa_float_denorm_mode_32 3
		.amdhsa_float_denorm_mode_16_64 3
		.amdhsa_dx10_clamp 1
		.amdhsa_ieee_mode 1
		.amdhsa_fp16_overflow 0
		.amdhsa_workgroup_processor_mode 1
		.amdhsa_memory_ordered 1
		.amdhsa_forward_progress 1
		.amdhsa_shared_vgpr_count 0
		.amdhsa_exception_fp_ieee_invalid_op 0
		.amdhsa_exception_fp_denorm_src 0
		.amdhsa_exception_fp_ieee_div_zero 0
		.amdhsa_exception_fp_ieee_overflow 0
		.amdhsa_exception_fp_ieee_underflow 0
		.amdhsa_exception_fp_ieee_inexact 0
		.amdhsa_exception_int_div_zero 0
	.end_amdhsa_kernel
	.section	.text._ZN4vllm25paged_attention_v1_kernelIthLi96ELi16ELi128ELNS_18Fp8KVCacheDataTypeE1ELb1EEEvPT_PKS2_PKT0_S8_ifPKiSA_iPKfiiiSC_SC_iiiii,"axG",@progbits,_ZN4vllm25paged_attention_v1_kernelIthLi96ELi16ELi128ELNS_18Fp8KVCacheDataTypeE1ELb1EEEvPT_PKS2_PKT0_S8_ifPKiSA_iPKfiiiSC_SC_iiiii,comdat
.Lfunc_end255:
	.size	_ZN4vllm25paged_attention_v1_kernelIthLi96ELi16ELi128ELNS_18Fp8KVCacheDataTypeE1ELb1EEEvPT_PKS2_PKT0_S8_ifPKiSA_iPKfiiiSC_SC_iiiii, .Lfunc_end255-_ZN4vllm25paged_attention_v1_kernelIthLi96ELi16ELi128ELNS_18Fp8KVCacheDataTypeE1ELb1EEEvPT_PKS2_PKT0_S8_ifPKiSA_iPKfiiiSC_SC_iiiii
                                        ; -- End function
	.set _ZN4vllm25paged_attention_v1_kernelIthLi96ELi16ELi128ELNS_18Fp8KVCacheDataTypeE1ELb1EEEvPT_PKS2_PKT0_S8_ifPKiSA_iPKfiiiSC_SC_iiiii.num_vgpr, 114
	.set _ZN4vllm25paged_attention_v1_kernelIthLi96ELi16ELi128ELNS_18Fp8KVCacheDataTypeE1ELb1EEEvPT_PKS2_PKT0_S8_ifPKiSA_iPKfiiiSC_SC_iiiii.num_agpr, 0
	.set _ZN4vllm25paged_attention_v1_kernelIthLi96ELi16ELi128ELNS_18Fp8KVCacheDataTypeE1ELb1EEEvPT_PKS2_PKT0_S8_ifPKiSA_iPKfiiiSC_SC_iiiii.numbered_sgpr, 44
	.set _ZN4vllm25paged_attention_v1_kernelIthLi96ELi16ELi128ELNS_18Fp8KVCacheDataTypeE1ELb1EEEvPT_PKS2_PKT0_S8_ifPKiSA_iPKfiiiSC_SC_iiiii.num_named_barrier, 0
	.set _ZN4vllm25paged_attention_v1_kernelIthLi96ELi16ELi128ELNS_18Fp8KVCacheDataTypeE1ELb1EEEvPT_PKS2_PKT0_S8_ifPKiSA_iPKfiiiSC_SC_iiiii.private_seg_size, 0
	.set _ZN4vllm25paged_attention_v1_kernelIthLi96ELi16ELi128ELNS_18Fp8KVCacheDataTypeE1ELb1EEEvPT_PKS2_PKT0_S8_ifPKiSA_iPKfiiiSC_SC_iiiii.uses_vcc, 1
	.set _ZN4vllm25paged_attention_v1_kernelIthLi96ELi16ELi128ELNS_18Fp8KVCacheDataTypeE1ELb1EEEvPT_PKS2_PKT0_S8_ifPKiSA_iPKfiiiSC_SC_iiiii.uses_flat_scratch, 0
	.set _ZN4vllm25paged_attention_v1_kernelIthLi96ELi16ELi128ELNS_18Fp8KVCacheDataTypeE1ELb1EEEvPT_PKS2_PKT0_S8_ifPKiSA_iPKfiiiSC_SC_iiiii.has_dyn_sized_stack, 0
	.set _ZN4vllm25paged_attention_v1_kernelIthLi96ELi16ELi128ELNS_18Fp8KVCacheDataTypeE1ELb1EEEvPT_PKS2_PKT0_S8_ifPKiSA_iPKfiiiSC_SC_iiiii.has_recursion, 0
	.set _ZN4vllm25paged_attention_v1_kernelIthLi96ELi16ELi128ELNS_18Fp8KVCacheDataTypeE1ELb1EEEvPT_PKS2_PKT0_S8_ifPKiSA_iPKfiiiSC_SC_iiiii.has_indirect_call, 0
	.section	.AMDGPU.csdata,"",@progbits
; Kernel info:
; codeLenInByte = 28264
; TotalNumSgprs: 46
; NumVgprs: 114
; ScratchSize: 0
; MemoryBound: 0
; FloatMode: 240
; IeeeMode: 1
; LDSByteSize: 224 bytes/workgroup (compile time only)
; SGPRBlocks: 0
; VGPRBlocks: 14
; NumSGPRsForWavesPerEU: 46
; NumVGPRsForWavesPerEU: 114
; Occupancy: 8
; WaveLimiterHint : 1
; COMPUTE_PGM_RSRC2:SCRATCH_EN: 0
; COMPUTE_PGM_RSRC2:USER_SGPR: 6
; COMPUTE_PGM_RSRC2:TRAP_HANDLER: 0
; COMPUTE_PGM_RSRC2:TGID_X_EN: 1
; COMPUTE_PGM_RSRC2:TGID_Y_EN: 1
; COMPUTE_PGM_RSRC2:TGID_Z_EN: 1
; COMPUTE_PGM_RSRC2:TIDIG_COMP_CNT: 0
	.section	.text._ZN4vllm25paged_attention_v1_kernelIthLi112ELi16ELi128ELNS_18Fp8KVCacheDataTypeE1ELb1EEEvPT_PKS2_PKT0_S8_ifPKiSA_iPKfiiiSC_SC_iiiii,"axG",@progbits,_ZN4vllm25paged_attention_v1_kernelIthLi112ELi16ELi128ELNS_18Fp8KVCacheDataTypeE1ELb1EEEvPT_PKS2_PKT0_S8_ifPKiSA_iPKfiiiSC_SC_iiiii,comdat
	.protected	_ZN4vllm25paged_attention_v1_kernelIthLi112ELi16ELi128ELNS_18Fp8KVCacheDataTypeE1ELb1EEEvPT_PKS2_PKT0_S8_ifPKiSA_iPKfiiiSC_SC_iiiii ; -- Begin function _ZN4vllm25paged_attention_v1_kernelIthLi112ELi16ELi128ELNS_18Fp8KVCacheDataTypeE1ELb1EEEvPT_PKS2_PKT0_S8_ifPKiSA_iPKfiiiSC_SC_iiiii
	.globl	_ZN4vllm25paged_attention_v1_kernelIthLi112ELi16ELi128ELNS_18Fp8KVCacheDataTypeE1ELb1EEEvPT_PKS2_PKT0_S8_ifPKiSA_iPKfiiiSC_SC_iiiii
	.p2align	8
	.type	_ZN4vllm25paged_attention_v1_kernelIthLi112ELi16ELi128ELNS_18Fp8KVCacheDataTypeE1ELb1EEEvPT_PKS2_PKT0_S8_ifPKiSA_iPKfiiiSC_SC_iiiii,@function
_ZN4vllm25paged_attention_v1_kernelIthLi112ELi16ELi128ELNS_18Fp8KVCacheDataTypeE1ELb1EEEvPT_PKS2_PKT0_S8_ifPKiSA_iPKfiiiSC_SC_iiiii: ; @_ZN4vllm25paged_attention_v1_kernelIthLi112ELi16ELi128ELNS_18Fp8KVCacheDataTypeE1ELb1EEEvPT_PKS2_PKT0_S8_ifPKiSA_iPKfiiiSC_SC_iiiii
; %bb.0:
	s_clause 0x2
	s_load_dword s9, s[4:5], 0x80
	s_load_dwordx2 s[0:1], s[4:5], 0x30
	s_load_dwordx2 s[34:35], s[4:5], 0x20
	s_mov_b32 s10, s7
	s_ashr_i32 s11, s7, 31
	s_mov_b32 s36, 0
	s_lshl_b64 s[2:3], s[10:11], 2
	s_waitcnt lgkmcnt(0)
	s_add_u32 s0, s0, s2
	s_addc_u32 s1, s1, s3
	s_abs_i32 s2, s34
	s_abs_i32 s11, s9
	v_cvt_f32_u32_e32 v1, s2
	s_sub_i32 s7, 0, s2
	v_rcp_iflag_f32_e32 v1, v1
	v_mul_f32_e32 v1, 0x4f7ffffe, v1
	v_cvt_u32_f32_e32 v1, v1
	v_readfirstlane_b32 s3, v1
	s_mul_i32 s7, s7, s3
	s_mul_hi_u32 s7, s3, s7
	s_add_i32 s3, s3, s7
	s_xor_b32 s7, s9, s34
	s_mul_hi_u32 s3, s11, s3
	s_ashr_i32 s7, s7, 31
	s_mul_i32 s12, s3, s2
	s_sub_i32 s11, s11, s12
	s_add_i32 s12, s3, 1
	s_sub_i32 s13, s11, s2
	s_cmp_ge_u32 s11, s2
	s_cselect_b32 s3, s12, s3
	s_cselect_b32 s11, s13, s11
	s_add_i32 s12, s3, 1
	s_cmp_ge_u32 s11, s2
	s_cselect_b32 s2, s12, s3
	s_xor_b32 s2, s2, s7
	s_sub_i32 s14, s2, s7
	s_load_dwordx2 s[2:3], s[4:5], 0x40
	s_abs_i32 s11, s14
	v_cvt_f32_u32_e32 v1, s11
	s_sub_i32 s12, 0, s11
	v_rcp_iflag_f32_e32 v1, v1
	v_mul_f32_e32 v1, 0x4f7ffffe, v1
	v_cvt_u32_f32_e32 v1, v1
	v_readfirstlane_b32 s7, v1
	s_mul_i32 s12, s12, s7
	s_mul_hi_u32 s13, s7, s12
	s_abs_i32 s12, s6
	s_add_i32 s7, s7, s13
	s_waitcnt lgkmcnt(0)
	s_cmp_eq_u64 s[2:3], 0
	s_mul_hi_u32 s13, s12, s7
	s_cbranch_scc1 .LBB256_2
; %bb.1:
	s_ashr_i32 s7, s6, 31
	s_lshl_b64 s[16:17], s[6:7], 2
	s_add_u32 s2, s2, s16
	s_addc_u32 s3, s3, s17
	s_load_dword s36, s[2:3], 0x0
.LBB256_2:
	s_load_dword s33, s[0:1], 0x0
	s_load_dwordx4 s[16:19], s[4:5], 0x48
	v_lshrrev_b32_e32 v11, 1, v0
	v_and_b32_e32 v12, 1, v0
	v_lshlrev_b32_e32 v10, 3, v0
	s_ashr_i32 s0, s6, 31
	s_ashr_i32 s1, s14, 31
	s_mul_i32 s24, s6, 0x70
	s_mov_b32 s2, exec_lo
	v_cmpx_gt_u32_e32 28, v0
	s_cbranch_execz .LBB256_4
; %bb.3:
	s_load_dwordx2 s[14:15], s[4:5], 0x8
	s_waitcnt lgkmcnt(0)
	s_mul_i32 s20, s16, s10
	v_lshlrev_b32_e32 v3, 3, v11
	s_ashr_i32 s21, s20, 31
	s_lshl_b64 s[20:21], s[20:21], 1
	v_mad_u32_u24 v3, 0x70, v12, v3
	s_add_u32 s3, s14, s20
	s_addc_u32 s7, s15, s21
	s_ashr_i32 s25, s24, 31
	s_lshl_b64 s[14:15], s[24:25], 1
	s_add_u32 s14, s3, s14
	s_addc_u32 s15, s7, s15
	global_load_dwordx2 v[1:2], v10, s[14:15]
	s_waitcnt vmcnt(0)
	ds_write_b64 v3, v[1:2]
.LBB256_4:
	s_or_b32 exec_lo, exec_lo, s2
	s_load_dwordx4 s[20:23], s[4:5], 0x68
	s_mul_i32 s2, s13, s11
	s_xor_b32 s1, s0, s1
	s_sub_i32 s0, s12, s2
	s_add_i32 s2, s13, 1
	s_sub_i32 s3, s0, s11
	s_cmp_ge_u32 s0, s11
	s_mov_b32 s12, -1
	s_cselect_b32 s2, s2, s13
	s_cselect_b32 s0, s3, s0
	s_add_i32 s3, s2, 1
	s_cmp_ge_u32 s0, s11
	s_load_dword s0, s[4:5], 0x78
	s_cselect_b32 s2, s3, s2
	s_waitcnt lgkmcnt(0)
	s_add_i32 s7, s33, -1
	s_xor_b32 s2, s2, s1
	s_abs_i32 s3, s7
	s_sub_i32 s1, s2, s1
	s_barrier
	s_abs_i32 s16, s23
	buffer_gl0_inv
	v_cvt_f32_u32_e32 v1, s16
	s_sub_i32 s2, 0, s16
                                        ; implicit-def: $sgpr25
	v_rcp_iflag_f32_e32 v1, v1
	v_mul_f32_e32 v1, 0x4f7ffffe, v1
	v_cvt_u32_f32_e32 v1, v1
	v_readfirstlane_b32 s19, v1
	s_mul_i32 s2, s2, s19
	s_mul_hi_u32 s2, s19, s2
	s_add_i32 s19, s19, s2
	s_cmp_lt_i32 s0, 0
	s_mul_hi_u32 s2, s3, s19
	s_cbranch_scc0 .LBB256_6
; %bb.5:
	s_mul_i32 s11, s20, s34
	s_mov_b32 s12, 0
	s_add_i32 s11, s1, s11
	s_mul_i32 s11, s11, s0
	s_sub_i32 s25, 1, s11
.LBB256_6:
	s_load_dwordx2 s[26:27], s[4:5], 0x28
	s_ashr_i32 s11, s7, 31
	s_andn2_b32 vcc_lo, exec_lo, s12
	s_ashr_i32 s23, s23, 31
	s_cbranch_vccnz .LBB256_8
; %bb.7:
	s_mul_i32 s7, s9, s20
	s_add_i32 s6, s7, s6
	s_mul_i32 s0, s6, s0
	s_add_i32 s25, s0, 1
.LBB256_8:
	s_clause 0x2
	s_load_dword s0, s[4:5], 0x38
	s_load_dwordx2 s[6:7], s[4:5], 0x0
	s_load_dwordx2 s[30:31], s[4:5], 0x18
	s_xor_b32 s34, s11, s23
	s_mul_i32 s11, s2, s16
	s_add_i32 s20, s2, 1
	s_sub_i32 s3, s3, s11
	s_clause 0x1
	s_load_dword s11, s[4:5], 0x88
	s_load_dwordx4 s[12:15], s[4:5], 0x58
	v_lshrrev_b32_e32 v13, 5, v0
	v_mov_b32_e32 v19, 0xff7fffff
	v_lshrrev_b32_e32 v15, 3, v0
	v_mbcnt_lo_u32_b32 v16, -1, 0
	s_mul_i32 s18, s1, s18
	v_lshlrev_b32_e32 v14, 4, v13
	s_waitcnt lgkmcnt(0)
	s_mul_i32 s28, s0, s10
	s_sub_i32 s0, s3, s16
	s_ashr_i32 s29, s28, 31
	s_cmp_ge_u32 s3, s16
	s_cselect_b32 s2, s20, s2
	s_cselect_b32 s0, s0, s3
	s_add_i32 s3, s2, 1
	s_cmp_ge_u32 s0, s16
	s_cselect_b32 s0, s3, s2
	s_add_i32 s2, s33, 15
	s_ashr_i32 s3, s2, 31
	s_lshr_b32 s3, s3, 28
	s_add_i32 s2, s2, s3
	s_ashr_i32 s20, s2, 4
	s_xor_b32 s2, s0, s34
	v_cmp_gt_i32_e64 s0, s20, v13
	s_sub_i32 s34, s2, s34
	s_and_saveexec_b32 s37, s0
	s_cbranch_execz .LBB256_468
; %bb.9:
	s_load_dwordx2 s[2:3], s[4:5], 0x10
	s_sub_i32 s4, s34, s21
	s_ashr_i32 s1, s18, 31
	v_bfe_u32 v17, v0, 1, 4
	v_and_b32_e32 v3, 0x7c, v15
	v_lshlrev_b32_e32 v5, 2, v12
	v_mov_b32_e32 v2, 0
	v_mul_u32_u24_e32 v18, 0x70, v12
	v_lshlrev_b32_e32 v4, 2, v17
	v_subrev_nc_u32_e32 v6, s33, v17
	v_lshlrev_b32_e32 v7, 4, v17
	v_lshlrev_b32_e32 v20, 4, v13
	v_mov_b32_e32 v21, 0xff7fffff
	v_lshl_or_b32 v4, v13, 6, v4
	v_add_nc_u32_e32 v26, 1, v6
	v_mov_b32_e32 v22, 0x80
	v_mov_b32_e32 v23, 0x7f
	;; [unrolled: 1-line block ×3, first 2 shown]
	v_add_nc_u32_e32 v27, 0x100, v4
	v_mov_b32_e32 v25, 8
	s_waitcnt lgkmcnt(0)
	s_add_u32 s38, s2, s18
	s_addc_u32 s39, s3, s1
	s_abs_i32 s5, s22
	v_add_co_u32 v6, s38, s38, v7
	v_cvt_f32_u32_e32 v1, s5
	s_sub_i32 s2, 0, s5
	v_add_co_ci_u32_e64 v7, null, s39, 0, s38
	v_cmp_neq_f32_e64 s1, s36, 0
	v_rcp_iflag_f32_e32 v1, v1
	v_mov_b32_e32 v19, 0xff7fffff
	v_mov_b32_e32 v29, v13
	s_mov_b32 s38, 0
	s_mov_b32 s39, s17
	v_cmp_eq_u32_e32 vcc_lo, 0, v12
	v_mul_f32_e32 v1, 0x4f7ffffe, v1
	v_cvt_u32_f32_e32 v1, v1
	v_mul_lo_u32 v4, s2, v1
	s_lshl_b64 s[2:3], s[28:29], 2
	s_add_u32 s2, s26, s2
	s_addc_u32 s3, s27, s3
	v_add_co_u32 v3, s2, s2, v3
	v_mul_hi_u32 v8, v1, v4
	v_add_co_ci_u32_e64 v4, null, s3, 0, s2
	v_add_co_u32 v5, s2, v6, v5
	v_add_co_ci_u32_e64 v6, null, 0, v7, s2
	v_add_nc_u32_e32 v28, v1, v8
	s_branch .LBB256_12
.LBB256_10:                             ;   in Loop: Header=BB256_12 Depth=1
	s_or_b32 exec_lo, exec_lo, s40
.LBB256_11:                             ;   in Loop: Header=BB256_12 Depth=1
	s_or_b32 exec_lo, exec_lo, s3
	v_add_nc_u32_e32 v29, 4, v29
	v_add_co_u32 v3, s3, v3, 16
	v_add_co_ci_u32_e64 v4, null, 0, v4, s3
	v_cmp_le_i32_e64 s2, s20, v29
	v_add_nc_u32_e32 v20, 64, v20
	v_add_nc_u32_e32 v27, 0x100, v27
	s_or_b32 s38, s2, s38
	s_andn2_b32 exec_lo, exec_lo, s38
	s_cbranch_execz .LBB256_467
.LBB256_12:                             ; =>This Inner Loop Header: Depth=1
	v_mul_hi_u32 v1, v20, s19
	s_waitcnt lgkmcnt(0)
	v_mul_lo_u32 v7, v1, s16
	v_add_nc_u32_e32 v8, 1, v1
	v_sub_nc_u32_e32 v7, v20, v7
	v_subrev_nc_u32_e32 v9, s16, v7
	v_cmp_le_u32_e64 s2, s16, v7
	v_cndmask_b32_e64 v1, v1, v8, s2
	v_cndmask_b32_e64 v7, v7, v9, s2
	v_add_nc_u32_e32 v8, 1, v1
	v_cmp_le_u32_e64 s2, s16, v7
	v_cndmask_b32_e64 v1, v1, v8, s2
	v_xor_b32_e32 v1, s23, v1
	v_subrev_nc_u32_e32 v1, s23, v1
	v_add_nc_u32_e32 v7, s25, v1
	v_cmp_ge_i32_e64 s3, s4, v1
	v_sub_nc_u32_e32 v8, 0, v7
	v_max_i32_e32 v8, v7, v8
	v_ashrrev_i32_e32 v7, 31, v7
	v_mul_hi_u32 v9, v8, v28
	v_mul_lo_u32 v9, v9, s5
	v_sub_nc_u32_e32 v8, v8, v9
	v_subrev_nc_u32_e32 v9, s5, v8
	v_cmp_le_u32_e64 s2, s5, v8
	v_cndmask_b32_e64 v8, v8, v9, s2
	v_subrev_nc_u32_e32 v9, s5, v8
	v_cmp_le_u32_e64 s2, s5, v8
	v_cndmask_b32_e64 v8, v8, v9, s2
	v_xor_b32_e32 v8, v8, v7
	v_sub_nc_u32_e32 v7, v8, v7
	v_cmp_ne_u32_e64 s2, 0, v7
	s_and_b32 s2, s2, s3
	s_and_saveexec_b32 s3, s2
	s_xor_b32 s2, exec_lo, s3
	s_cbranch_execz .LBB256_16
; %bb.13:                               ;   in Loop: Header=BB256_12 Depth=1
	s_and_saveexec_b32 s3, vcc_lo
; %bb.14:                               ;   in Loop: Header=BB256_12 Depth=1
	ds_write_b32 v27, v21
; %bb.15:                               ;   in Loop: Header=BB256_12 Depth=1
	s_or_b32 exec_lo, exec_lo, s3
.LBB256_16:                             ;   in Loop: Header=BB256_12 Depth=1
	s_andn2_saveexec_b32 s3, s2
	s_cbranch_execz .LBB256_11
; %bb.17:                               ;   in Loop: Header=BB256_12 Depth=1
	global_load_dword v1, v[3:4], off
	v_mov_b32_e32 v31, 0
	v_mov_b32_e32 v32, 0
	global_load_dword v30, v31, s[12:13]
	s_waitcnt vmcnt(1)
	v_mad_i64_i32 v[7:8], null, v1, s39, v[5:6]
	global_load_dword v9, v[7:8], off
	s_waitcnt vmcnt(0)
	v_cmp_ne_u16_sdwa s2, v9, v2 src0_sel:BYTE_0 src1_sel:DWORD
	s_and_saveexec_b32 s40, s2
	s_cbranch_execz .LBB256_25
; %bb.18:                               ;   in Loop: Header=BB256_12 Depth=1
	v_cmp_ne_u16_sdwa s2, v9, v22 src0_sel:BYTE_0 src1_sel:DWORD
	v_mov_b32_e32 v32, 0x8000
	s_and_saveexec_b32 s41, s2
	s_cbranch_execz .LBB256_24
; %bb.19:                               ;   in Loop: Header=BB256_12 Depth=1
	v_and_b32_e32 v33, 0x7f, v9
	v_mov_b32_e32 v32, 0x7c01
	s_mov_b32 s42, exec_lo
	v_cmpx_ne_u32_e32 0x7f, v33
	s_cbranch_execz .LBB256_23
; %bb.20:                               ;   in Loop: Header=BB256_12 Depth=1
	v_and_b32_e32 v1, 7, v9
	v_lshrrev_b32_e32 v32, 3, v33
	s_mov_b32 s43, exec_lo
	v_cmpx_gt_u32_e32 8, v33
; %bb.21:                               ;   in Loop: Header=BB256_12 Depth=1
	v_ffbh_u32_e32 v1, v1
	v_min_u32_e32 v1, 32, v1
	v_subrev_nc_u32_e32 v32, 28, v1
	v_lshlrev_b64 v[33:34], v32, v[9:10]
	v_sub_nc_u32_e32 v32, 29, v1
	v_and_b32_e32 v1, 7, v33
; %bb.22:                               ;   in Loop: Header=BB256_12 Depth=1
	s_or_b32 exec_lo, exec_lo, s43
	v_lshlrev_b32_e32 v33, 8, v9
	v_lshl_add_u32 v32, v32, 10, 0x2000
	v_lshlrev_b32_e32 v1, 7, v1
	v_and_b32_e32 v33, 0x8000, v33
	v_and_b32_e32 v32, 0xfc00, v32
	v_or3_b32 v32, v33, v32, v1
.LBB256_23:                             ;   in Loop: Header=BB256_12 Depth=1
	s_or_b32 exec_lo, exec_lo, s42
.LBB256_24:                             ;   in Loop: Header=BB256_12 Depth=1
	s_or_b32 exec_lo, exec_lo, s41
.LBB256_25:                             ;   in Loop: Header=BB256_12 Depth=1
	s_or_b32 exec_lo, exec_lo, s40
	v_lshrrev_b16 v1, 8, v9
	s_mov_b32 s40, exec_lo
	v_cmpx_ne_u16_e32 0, v1
	s_cbranch_execz .LBB256_33
; %bb.26:                               ;   in Loop: Header=BB256_12 Depth=1
	v_bfrev_b32_e32 v31, 1
	s_mov_b32 s41, exec_lo
	v_cmpx_ne_u16_e32 0x80, v1
	s_cbranch_execz .LBB256_32
; %bb.27:                               ;   in Loop: Header=BB256_12 Depth=1
	v_and_b32_sdwa v34, v1, v23 dst_sel:DWORD dst_unused:UNUSED_PAD src0_sel:WORD_0 src1_sel:DWORD
	v_mov_b32_e32 v31, 0x7c010000
	s_mov_b32 s42, exec_lo
	v_cmpx_ne_u32_e32 0x7f, v34
	s_cbranch_execz .LBB256_31
; %bb.28:                               ;   in Loop: Header=BB256_12 Depth=1
	v_and_b32_sdwa v31, v1, v24 dst_sel:DWORD dst_unused:UNUSED_PAD src0_sel:WORD_0 src1_sel:DWORD
	v_lshrrev_b32_e32 v33, 3, v34
	s_mov_b32 s43, exec_lo
	v_cmpx_gt_u32_e32 8, v34
; %bb.29:                               ;   in Loop: Header=BB256_12 Depth=1
	v_ffbh_u32_e32 v31, v31
	v_min_u32_e32 v31, 32, v31
	v_subrev_nc_u32_e32 v33, 28, v31
	v_lshlrev_b64 v[34:35], v33, v[1:2]
	v_sub_nc_u32_e32 v33, 29, v31
	v_and_b32_e32 v31, 7, v34
; %bb.30:                               ;   in Loop: Header=BB256_12 Depth=1
	s_or_b32 exec_lo, exec_lo, s43
	v_lshlrev_b32_sdwa v1, v25, v1 dst_sel:DWORD dst_unused:UNUSED_PAD src0_sel:DWORD src1_sel:WORD_0
	v_lshl_add_u32 v33, v33, 10, 0x2000
	v_lshlrev_b32_e32 v31, 23, v31
	v_and_or_b32 v1, 0x8000, v1, v33
	v_lshl_or_b32 v31, v1, 16, v31
.LBB256_31:                             ;   in Loop: Header=BB256_12 Depth=1
	s_or_b32 exec_lo, exec_lo, s42
.LBB256_32:                             ;   in Loop: Header=BB256_12 Depth=1
	s_or_b32 exec_lo, exec_lo, s41
.LBB256_33:                             ;   in Loop: Header=BB256_12 Depth=1
	s_or_b32 exec_lo, exec_lo, s40
	v_lshrrev_b32_e32 v1, 16, v9
	v_mov_b32_e32 v33, 0
	v_mov_b32_e32 v34, 0
	v_cmp_ne_u16_sdwa s2, v1, v2 src0_sel:BYTE_0 src1_sel:DWORD
	s_and_saveexec_b32 s40, s2
	s_cbranch_execz .LBB256_41
; %bb.34:                               ;   in Loop: Header=BB256_12 Depth=1
	v_cmp_ne_u16_sdwa s2, v1, v22 src0_sel:BYTE_0 src1_sel:DWORD
	v_mov_b32_e32 v34, 0x8000
	s_and_saveexec_b32 s41, s2
	s_cbranch_execz .LBB256_40
; %bb.35:                               ;   in Loop: Header=BB256_12 Depth=1
	v_bfe_u32 v36, v9, 16, 7
	v_mov_b32_e32 v34, 0x7c01
	s_mov_b32 s42, exec_lo
	v_cmpx_ne_u32_e32 0x7f, v36
	s_cbranch_execz .LBB256_39
; %bb.36:                               ;   in Loop: Header=BB256_12 Depth=1
	v_and_b32_e32 v34, 7, v1
	v_lshrrev_b32_e32 v35, 3, v36
	s_mov_b32 s43, exec_lo
	v_cmpx_gt_u32_e32 8, v36
; %bb.37:                               ;   in Loop: Header=BB256_12 Depth=1
	v_ffbh_u32_e32 v34, v34
	v_min_u32_e32 v36, 32, v34
	v_subrev_nc_u32_e32 v34, 28, v36
	v_lshlrev_b64 v[34:35], v34, v[1:2]
	v_sub_nc_u32_e32 v35, 29, v36
	v_and_b32_e32 v34, 7, v34
; %bb.38:                               ;   in Loop: Header=BB256_12 Depth=1
	s_or_b32 exec_lo, exec_lo, s43
	v_lshlrev_b32_e32 v1, 8, v1
	v_lshl_add_u32 v35, v35, 10, 0x2000
	v_lshlrev_b32_e32 v34, 7, v34
	v_and_b32_e32 v1, 0x8000, v1
	v_and_b32_e32 v35, 0xfc00, v35
	v_or3_b32 v34, v1, v35, v34
.LBB256_39:                             ;   in Loop: Header=BB256_12 Depth=1
	s_or_b32 exec_lo, exec_lo, s42
.LBB256_40:                             ;   in Loop: Header=BB256_12 Depth=1
	s_or_b32 exec_lo, exec_lo, s41
.LBB256_41:                             ;   in Loop: Header=BB256_12 Depth=1
	s_or_b32 exec_lo, exec_lo, s40
	s_mov_b32 s40, exec_lo
	v_cmpx_lt_u32_e32 0xffffff, v9
	s_cbranch_execz .LBB256_49
; %bb.42:                               ;   in Loop: Header=BB256_12 Depth=1
	v_lshrrev_b32_e32 v1, 24, v9
	v_bfrev_b32_e32 v33, 1
	s_mov_b32 s41, exec_lo
	v_cmpx_ne_u32_e32 0x80, v1
	s_cbranch_execz .LBB256_48
; %bb.43:                               ;   in Loop: Header=BB256_12 Depth=1
	v_and_b32_e32 v35, 0x7f, v1
	v_mov_b32_e32 v33, 0x7c010000
	s_mov_b32 s42, exec_lo
	v_cmpx_ne_u32_e32 0x7f, v35
	s_cbranch_execz .LBB256_47
; %bb.44:                               ;   in Loop: Header=BB256_12 Depth=1
	v_and_b32_e32 v9, 7, v1
	v_lshrrev_b32_e32 v33, 3, v35
	s_mov_b32 s43, exec_lo
	v_cmpx_gt_u32_e32 8, v35
; %bb.45:                               ;   in Loop: Header=BB256_12 Depth=1
	v_ffbh_u32_e32 v9, v9
	v_min_u32_e32 v9, 32, v9
	v_subrev_nc_u32_e32 v33, 28, v9
	v_lshlrev_b64 v[35:36], v33, v[1:2]
	v_sub_nc_u32_e32 v33, 29, v9
	v_and_b32_e32 v9, 7, v35
; %bb.46:                               ;   in Loop: Header=BB256_12 Depth=1
	s_or_b32 exec_lo, exec_lo, s43
	v_lshlrev_b32_e32 v1, 8, v1
	v_lshl_add_u32 v33, v33, 10, 0x2000
	v_lshlrev_b32_e32 v9, 23, v9
	v_and_or_b32 v1, 0x8000, v1, v33
	v_lshl_or_b32 v33, v1, 16, v9
.LBB256_47:                             ;   in Loop: Header=BB256_12 Depth=1
	s_or_b32 exec_lo, exec_lo, s42
.LBB256_48:                             ;   in Loop: Header=BB256_12 Depth=1
	s_or_b32 exec_lo, exec_lo, s41
.LBB256_49:                             ;   in Loop: Header=BB256_12 Depth=1
	s_or_b32 exec_lo, exec_lo, s40
	global_load_dword v9, v[7:8], off offset:8
	v_mov_b32_e32 v35, 0
	v_mov_b32_e32 v36, 0
	s_waitcnt vmcnt(0)
	v_cmp_ne_u16_sdwa s2, v9, v2 src0_sel:BYTE_0 src1_sel:DWORD
	s_and_saveexec_b32 s40, s2
	s_cbranch_execz .LBB256_57
; %bb.50:                               ;   in Loop: Header=BB256_12 Depth=1
	v_cmp_ne_u16_sdwa s2, v9, v22 src0_sel:BYTE_0 src1_sel:DWORD
	v_mov_b32_e32 v36, 0x8000
	s_and_saveexec_b32 s41, s2
	s_cbranch_execz .LBB256_56
; %bb.51:                               ;   in Loop: Header=BB256_12 Depth=1
	v_and_b32_e32 v37, 0x7f, v9
	v_mov_b32_e32 v36, 0x7c01
	s_mov_b32 s42, exec_lo
	v_cmpx_ne_u32_e32 0x7f, v37
	s_cbranch_execz .LBB256_55
; %bb.52:                               ;   in Loop: Header=BB256_12 Depth=1
	v_and_b32_e32 v1, 7, v9
	v_lshrrev_b32_e32 v36, 3, v37
	s_mov_b32 s43, exec_lo
	v_cmpx_gt_u32_e32 8, v37
; %bb.53:                               ;   in Loop: Header=BB256_12 Depth=1
	v_ffbh_u32_e32 v1, v1
	v_min_u32_e32 v1, 32, v1
	v_subrev_nc_u32_e32 v36, 28, v1
	v_lshlrev_b64 v[37:38], v36, v[9:10]
	v_sub_nc_u32_e32 v36, 29, v1
	v_and_b32_e32 v1, 7, v37
; %bb.54:                               ;   in Loop: Header=BB256_12 Depth=1
	s_or_b32 exec_lo, exec_lo, s43
	v_lshlrev_b32_e32 v37, 8, v9
	v_lshl_add_u32 v36, v36, 10, 0x2000
	v_lshlrev_b32_e32 v1, 7, v1
	v_and_b32_e32 v37, 0x8000, v37
	v_and_b32_e32 v36, 0xfc00, v36
	v_or3_b32 v36, v37, v36, v1
.LBB256_55:                             ;   in Loop: Header=BB256_12 Depth=1
	s_or_b32 exec_lo, exec_lo, s42
.LBB256_56:                             ;   in Loop: Header=BB256_12 Depth=1
	s_or_b32 exec_lo, exec_lo, s41
.LBB256_57:                             ;   in Loop: Header=BB256_12 Depth=1
	s_or_b32 exec_lo, exec_lo, s40
	v_lshrrev_b16 v1, 8, v9
	s_mov_b32 s40, exec_lo
	v_cmpx_ne_u16_e32 0, v1
	s_cbranch_execz .LBB256_65
; %bb.58:                               ;   in Loop: Header=BB256_12 Depth=1
	v_bfrev_b32_e32 v35, 1
	s_mov_b32 s41, exec_lo
	v_cmpx_ne_u16_e32 0x80, v1
	s_cbranch_execz .LBB256_64
; %bb.59:                               ;   in Loop: Header=BB256_12 Depth=1
	v_and_b32_sdwa v38, v1, v23 dst_sel:DWORD dst_unused:UNUSED_PAD src0_sel:WORD_0 src1_sel:DWORD
	v_mov_b32_e32 v35, 0x7c010000
	s_mov_b32 s42, exec_lo
	v_cmpx_ne_u32_e32 0x7f, v38
	s_cbranch_execz .LBB256_63
; %bb.60:                               ;   in Loop: Header=BB256_12 Depth=1
	v_and_b32_sdwa v35, v1, v24 dst_sel:DWORD dst_unused:UNUSED_PAD src0_sel:WORD_0 src1_sel:DWORD
	v_lshrrev_b32_e32 v37, 3, v38
	s_mov_b32 s43, exec_lo
	v_cmpx_gt_u32_e32 8, v38
; %bb.61:                               ;   in Loop: Header=BB256_12 Depth=1
	v_ffbh_u32_e32 v35, v35
	v_min_u32_e32 v35, 32, v35
	v_subrev_nc_u32_e32 v37, 28, v35
	v_lshlrev_b64 v[38:39], v37, v[1:2]
	v_sub_nc_u32_e32 v37, 29, v35
	v_and_b32_e32 v35, 7, v38
; %bb.62:                               ;   in Loop: Header=BB256_12 Depth=1
	s_or_b32 exec_lo, exec_lo, s43
	v_lshlrev_b32_sdwa v1, v25, v1 dst_sel:DWORD dst_unused:UNUSED_PAD src0_sel:DWORD src1_sel:WORD_0
	v_lshl_add_u32 v37, v37, 10, 0x2000
	v_lshlrev_b32_e32 v35, 23, v35
	v_and_or_b32 v1, 0x8000, v1, v37
	v_lshl_or_b32 v35, v1, 16, v35
.LBB256_63:                             ;   in Loop: Header=BB256_12 Depth=1
	s_or_b32 exec_lo, exec_lo, s42
.LBB256_64:                             ;   in Loop: Header=BB256_12 Depth=1
	s_or_b32 exec_lo, exec_lo, s41
.LBB256_65:                             ;   in Loop: Header=BB256_12 Depth=1
	s_or_b32 exec_lo, exec_lo, s40
	v_lshrrev_b32_e32 v1, 16, v9
	v_mov_b32_e32 v37, 0
	v_mov_b32_e32 v38, 0
	v_cmp_ne_u16_sdwa s2, v1, v2 src0_sel:BYTE_0 src1_sel:DWORD
	s_and_saveexec_b32 s40, s2
	s_cbranch_execz .LBB256_73
; %bb.66:                               ;   in Loop: Header=BB256_12 Depth=1
	v_cmp_ne_u16_sdwa s2, v1, v22 src0_sel:BYTE_0 src1_sel:DWORD
	v_mov_b32_e32 v38, 0x8000
	s_and_saveexec_b32 s41, s2
	s_cbranch_execz .LBB256_72
; %bb.67:                               ;   in Loop: Header=BB256_12 Depth=1
	v_bfe_u32 v40, v9, 16, 7
	v_mov_b32_e32 v38, 0x7c01
	s_mov_b32 s42, exec_lo
	v_cmpx_ne_u32_e32 0x7f, v40
	s_cbranch_execz .LBB256_71
; %bb.68:                               ;   in Loop: Header=BB256_12 Depth=1
	v_and_b32_e32 v38, 7, v1
	v_lshrrev_b32_e32 v39, 3, v40
	s_mov_b32 s43, exec_lo
	v_cmpx_gt_u32_e32 8, v40
; %bb.69:                               ;   in Loop: Header=BB256_12 Depth=1
	v_ffbh_u32_e32 v38, v38
	v_min_u32_e32 v40, 32, v38
	v_subrev_nc_u32_e32 v38, 28, v40
	v_lshlrev_b64 v[38:39], v38, v[1:2]
	v_sub_nc_u32_e32 v39, 29, v40
	v_and_b32_e32 v38, 7, v38
; %bb.70:                               ;   in Loop: Header=BB256_12 Depth=1
	s_or_b32 exec_lo, exec_lo, s43
	v_lshlrev_b32_e32 v1, 8, v1
	v_lshl_add_u32 v39, v39, 10, 0x2000
	v_lshlrev_b32_e32 v38, 7, v38
	v_and_b32_e32 v1, 0x8000, v1
	v_and_b32_e32 v39, 0xfc00, v39
	v_or3_b32 v38, v1, v39, v38
.LBB256_71:                             ;   in Loop: Header=BB256_12 Depth=1
	s_or_b32 exec_lo, exec_lo, s42
.LBB256_72:                             ;   in Loop: Header=BB256_12 Depth=1
	s_or_b32 exec_lo, exec_lo, s41
.LBB256_73:                             ;   in Loop: Header=BB256_12 Depth=1
	s_or_b32 exec_lo, exec_lo, s40
	s_mov_b32 s40, exec_lo
	v_cmpx_lt_u32_e32 0xffffff, v9
	s_cbranch_execz .LBB256_81
; %bb.74:                               ;   in Loop: Header=BB256_12 Depth=1
	v_lshrrev_b32_e32 v1, 24, v9
	v_bfrev_b32_e32 v37, 1
	s_mov_b32 s41, exec_lo
	v_cmpx_ne_u32_e32 0x80, v1
	s_cbranch_execz .LBB256_80
; %bb.75:                               ;   in Loop: Header=BB256_12 Depth=1
	v_and_b32_e32 v39, 0x7f, v1
	v_mov_b32_e32 v37, 0x7c010000
	s_mov_b32 s42, exec_lo
	v_cmpx_ne_u32_e32 0x7f, v39
	s_cbranch_execz .LBB256_79
; %bb.76:                               ;   in Loop: Header=BB256_12 Depth=1
	v_and_b32_e32 v9, 7, v1
	v_lshrrev_b32_e32 v37, 3, v39
	s_mov_b32 s43, exec_lo
	v_cmpx_gt_u32_e32 8, v39
; %bb.77:                               ;   in Loop: Header=BB256_12 Depth=1
	v_ffbh_u32_e32 v9, v9
	v_min_u32_e32 v9, 32, v9
	v_subrev_nc_u32_e32 v37, 28, v9
	v_lshlrev_b64 v[39:40], v37, v[1:2]
	v_sub_nc_u32_e32 v37, 29, v9
	v_and_b32_e32 v9, 7, v39
; %bb.78:                               ;   in Loop: Header=BB256_12 Depth=1
	s_or_b32 exec_lo, exec_lo, s43
	v_lshlrev_b32_e32 v1, 8, v1
	v_lshl_add_u32 v37, v37, 10, 0x2000
	v_lshlrev_b32_e32 v9, 23, v9
	v_and_or_b32 v1, 0x8000, v1, v37
	v_lshl_or_b32 v37, v1, 16, v9
.LBB256_79:                             ;   in Loop: Header=BB256_12 Depth=1
	s_or_b32 exec_lo, exec_lo, s42
.LBB256_80:                             ;   in Loop: Header=BB256_12 Depth=1
	s_or_b32 exec_lo, exec_lo, s41
.LBB256_81:                             ;   in Loop: Header=BB256_12 Depth=1
	s_or_b32 exec_lo, exec_lo, s40
	global_load_dword v9, v[7:8], off offset:256
	v_mov_b32_e32 v39, 0
	v_mov_b32_e32 v40, 0
	s_waitcnt vmcnt(0)
	v_cmp_ne_u16_sdwa s2, v9, v2 src0_sel:BYTE_0 src1_sel:DWORD
	s_and_saveexec_b32 s40, s2
	s_cbranch_execz .LBB256_89
; %bb.82:                               ;   in Loop: Header=BB256_12 Depth=1
	v_cmp_ne_u16_sdwa s2, v9, v22 src0_sel:BYTE_0 src1_sel:DWORD
	v_mov_b32_e32 v40, 0x8000
	s_and_saveexec_b32 s41, s2
	s_cbranch_execz .LBB256_88
; %bb.83:                               ;   in Loop: Header=BB256_12 Depth=1
	v_and_b32_e32 v41, 0x7f, v9
	v_mov_b32_e32 v40, 0x7c01
	s_mov_b32 s42, exec_lo
	v_cmpx_ne_u32_e32 0x7f, v41
	s_cbranch_execz .LBB256_87
; %bb.84:                               ;   in Loop: Header=BB256_12 Depth=1
	v_and_b32_e32 v1, 7, v9
	v_lshrrev_b32_e32 v40, 3, v41
	s_mov_b32 s43, exec_lo
	v_cmpx_gt_u32_e32 8, v41
; %bb.85:                               ;   in Loop: Header=BB256_12 Depth=1
	v_ffbh_u32_e32 v1, v1
	v_min_u32_e32 v1, 32, v1
	v_subrev_nc_u32_e32 v40, 28, v1
	v_lshlrev_b64 v[41:42], v40, v[9:10]
	v_sub_nc_u32_e32 v40, 29, v1
	v_and_b32_e32 v1, 7, v41
; %bb.86:                               ;   in Loop: Header=BB256_12 Depth=1
	s_or_b32 exec_lo, exec_lo, s43
	v_lshlrev_b32_e32 v41, 8, v9
	v_lshl_add_u32 v40, v40, 10, 0x2000
	v_lshlrev_b32_e32 v1, 7, v1
	v_and_b32_e32 v41, 0x8000, v41
	v_and_b32_e32 v40, 0xfc00, v40
	v_or3_b32 v40, v41, v40, v1
.LBB256_87:                             ;   in Loop: Header=BB256_12 Depth=1
	s_or_b32 exec_lo, exec_lo, s42
.LBB256_88:                             ;   in Loop: Header=BB256_12 Depth=1
	s_or_b32 exec_lo, exec_lo, s41
.LBB256_89:                             ;   in Loop: Header=BB256_12 Depth=1
	s_or_b32 exec_lo, exec_lo, s40
	v_lshrrev_b16 v1, 8, v9
	s_mov_b32 s40, exec_lo
	v_cmpx_ne_u16_e32 0, v1
	s_cbranch_execz .LBB256_97
; %bb.90:                               ;   in Loop: Header=BB256_12 Depth=1
	v_bfrev_b32_e32 v39, 1
	s_mov_b32 s41, exec_lo
	v_cmpx_ne_u16_e32 0x80, v1
	s_cbranch_execz .LBB256_96
; %bb.91:                               ;   in Loop: Header=BB256_12 Depth=1
	v_and_b32_sdwa v42, v1, v23 dst_sel:DWORD dst_unused:UNUSED_PAD src0_sel:WORD_0 src1_sel:DWORD
	v_mov_b32_e32 v39, 0x7c010000
	s_mov_b32 s42, exec_lo
	v_cmpx_ne_u32_e32 0x7f, v42
	s_cbranch_execz .LBB256_95
; %bb.92:                               ;   in Loop: Header=BB256_12 Depth=1
	v_and_b32_sdwa v39, v1, v24 dst_sel:DWORD dst_unused:UNUSED_PAD src0_sel:WORD_0 src1_sel:DWORD
	v_lshrrev_b32_e32 v41, 3, v42
	s_mov_b32 s43, exec_lo
	v_cmpx_gt_u32_e32 8, v42
; %bb.93:                               ;   in Loop: Header=BB256_12 Depth=1
	v_ffbh_u32_e32 v39, v39
	v_min_u32_e32 v39, 32, v39
	v_subrev_nc_u32_e32 v41, 28, v39
	v_lshlrev_b64 v[42:43], v41, v[1:2]
	v_sub_nc_u32_e32 v41, 29, v39
	v_and_b32_e32 v39, 7, v42
; %bb.94:                               ;   in Loop: Header=BB256_12 Depth=1
	s_or_b32 exec_lo, exec_lo, s43
	v_lshlrev_b32_sdwa v1, v25, v1 dst_sel:DWORD dst_unused:UNUSED_PAD src0_sel:DWORD src1_sel:WORD_0
	v_lshl_add_u32 v41, v41, 10, 0x2000
	v_lshlrev_b32_e32 v39, 23, v39
	v_and_or_b32 v1, 0x8000, v1, v41
	v_lshl_or_b32 v39, v1, 16, v39
.LBB256_95:                             ;   in Loop: Header=BB256_12 Depth=1
	s_or_b32 exec_lo, exec_lo, s42
.LBB256_96:                             ;   in Loop: Header=BB256_12 Depth=1
	s_or_b32 exec_lo, exec_lo, s41
.LBB256_97:                             ;   in Loop: Header=BB256_12 Depth=1
	s_or_b32 exec_lo, exec_lo, s40
	v_lshrrev_b32_e32 v1, 16, v9
	v_mov_b32_e32 v41, 0
	v_mov_b32_e32 v42, 0
	v_cmp_ne_u16_sdwa s2, v1, v2 src0_sel:BYTE_0 src1_sel:DWORD
	s_and_saveexec_b32 s40, s2
	s_cbranch_execz .LBB256_105
; %bb.98:                               ;   in Loop: Header=BB256_12 Depth=1
	v_cmp_ne_u16_sdwa s2, v1, v22 src0_sel:BYTE_0 src1_sel:DWORD
	v_mov_b32_e32 v42, 0x8000
	s_and_saveexec_b32 s41, s2
	s_cbranch_execz .LBB256_104
; %bb.99:                               ;   in Loop: Header=BB256_12 Depth=1
	v_bfe_u32 v44, v9, 16, 7
	v_mov_b32_e32 v42, 0x7c01
	s_mov_b32 s42, exec_lo
	v_cmpx_ne_u32_e32 0x7f, v44
	s_cbranch_execz .LBB256_103
; %bb.100:                              ;   in Loop: Header=BB256_12 Depth=1
	v_and_b32_e32 v42, 7, v1
	v_lshrrev_b32_e32 v43, 3, v44
	s_mov_b32 s43, exec_lo
	v_cmpx_gt_u32_e32 8, v44
; %bb.101:                              ;   in Loop: Header=BB256_12 Depth=1
	v_ffbh_u32_e32 v42, v42
	v_min_u32_e32 v44, 32, v42
	v_subrev_nc_u32_e32 v42, 28, v44
	v_lshlrev_b64 v[42:43], v42, v[1:2]
	v_sub_nc_u32_e32 v43, 29, v44
	v_and_b32_e32 v42, 7, v42
; %bb.102:                              ;   in Loop: Header=BB256_12 Depth=1
	s_or_b32 exec_lo, exec_lo, s43
	v_lshlrev_b32_e32 v1, 8, v1
	v_lshl_add_u32 v43, v43, 10, 0x2000
	v_lshlrev_b32_e32 v42, 7, v42
	v_and_b32_e32 v1, 0x8000, v1
	v_and_b32_e32 v43, 0xfc00, v43
	v_or3_b32 v42, v1, v43, v42
.LBB256_103:                            ;   in Loop: Header=BB256_12 Depth=1
	s_or_b32 exec_lo, exec_lo, s42
.LBB256_104:                            ;   in Loop: Header=BB256_12 Depth=1
	s_or_b32 exec_lo, exec_lo, s41
.LBB256_105:                            ;   in Loop: Header=BB256_12 Depth=1
	s_or_b32 exec_lo, exec_lo, s40
	s_mov_b32 s40, exec_lo
	v_cmpx_lt_u32_e32 0xffffff, v9
	s_cbranch_execz .LBB256_113
; %bb.106:                              ;   in Loop: Header=BB256_12 Depth=1
	v_lshrrev_b32_e32 v1, 24, v9
	v_bfrev_b32_e32 v41, 1
	s_mov_b32 s41, exec_lo
	v_cmpx_ne_u32_e32 0x80, v1
	s_cbranch_execz .LBB256_112
; %bb.107:                              ;   in Loop: Header=BB256_12 Depth=1
	v_and_b32_e32 v43, 0x7f, v1
	v_mov_b32_e32 v41, 0x7c010000
	s_mov_b32 s42, exec_lo
	v_cmpx_ne_u32_e32 0x7f, v43
	s_cbranch_execz .LBB256_111
; %bb.108:                              ;   in Loop: Header=BB256_12 Depth=1
	v_and_b32_e32 v9, 7, v1
	v_lshrrev_b32_e32 v41, 3, v43
	s_mov_b32 s43, exec_lo
	v_cmpx_gt_u32_e32 8, v43
; %bb.109:                              ;   in Loop: Header=BB256_12 Depth=1
	v_ffbh_u32_e32 v9, v9
	v_min_u32_e32 v9, 32, v9
	v_subrev_nc_u32_e32 v41, 28, v9
	v_lshlrev_b64 v[43:44], v41, v[1:2]
	v_sub_nc_u32_e32 v41, 29, v9
	v_and_b32_e32 v9, 7, v43
; %bb.110:                              ;   in Loop: Header=BB256_12 Depth=1
	s_or_b32 exec_lo, exec_lo, s43
	v_lshlrev_b32_e32 v1, 8, v1
	v_lshl_add_u32 v41, v41, 10, 0x2000
	v_lshlrev_b32_e32 v9, 23, v9
	v_and_or_b32 v1, 0x8000, v1, v41
	v_lshl_or_b32 v41, v1, 16, v9
.LBB256_111:                            ;   in Loop: Header=BB256_12 Depth=1
	s_or_b32 exec_lo, exec_lo, s42
.LBB256_112:                            ;   in Loop: Header=BB256_12 Depth=1
	s_or_b32 exec_lo, exec_lo, s41
.LBB256_113:                            ;   in Loop: Header=BB256_12 Depth=1
	s_or_b32 exec_lo, exec_lo, s40
	global_load_dword v9, v[7:8], off offset:264
	v_mov_b32_e32 v43, 0
	v_mov_b32_e32 v44, 0
	s_waitcnt vmcnt(0)
	v_cmp_ne_u16_sdwa s2, v9, v2 src0_sel:BYTE_0 src1_sel:DWORD
	s_and_saveexec_b32 s40, s2
	s_cbranch_execz .LBB256_121
; %bb.114:                              ;   in Loop: Header=BB256_12 Depth=1
	v_cmp_ne_u16_sdwa s2, v9, v22 src0_sel:BYTE_0 src1_sel:DWORD
	v_mov_b32_e32 v44, 0x8000
	s_and_saveexec_b32 s41, s2
	s_cbranch_execz .LBB256_120
; %bb.115:                              ;   in Loop: Header=BB256_12 Depth=1
	v_and_b32_e32 v45, 0x7f, v9
	v_mov_b32_e32 v44, 0x7c01
	s_mov_b32 s42, exec_lo
	v_cmpx_ne_u32_e32 0x7f, v45
	s_cbranch_execz .LBB256_119
; %bb.116:                              ;   in Loop: Header=BB256_12 Depth=1
	v_and_b32_e32 v1, 7, v9
	v_lshrrev_b32_e32 v44, 3, v45
	s_mov_b32 s43, exec_lo
	v_cmpx_gt_u32_e32 8, v45
; %bb.117:                              ;   in Loop: Header=BB256_12 Depth=1
	v_ffbh_u32_e32 v1, v1
	v_min_u32_e32 v1, 32, v1
	v_subrev_nc_u32_e32 v44, 28, v1
	v_lshlrev_b64 v[45:46], v44, v[9:10]
	v_sub_nc_u32_e32 v44, 29, v1
	v_and_b32_e32 v1, 7, v45
; %bb.118:                              ;   in Loop: Header=BB256_12 Depth=1
	s_or_b32 exec_lo, exec_lo, s43
	v_lshlrev_b32_e32 v45, 8, v9
	v_lshl_add_u32 v44, v44, 10, 0x2000
	v_lshlrev_b32_e32 v1, 7, v1
	v_and_b32_e32 v45, 0x8000, v45
	v_and_b32_e32 v44, 0xfc00, v44
	v_or3_b32 v44, v45, v44, v1
.LBB256_119:                            ;   in Loop: Header=BB256_12 Depth=1
	s_or_b32 exec_lo, exec_lo, s42
.LBB256_120:                            ;   in Loop: Header=BB256_12 Depth=1
	s_or_b32 exec_lo, exec_lo, s41
.LBB256_121:                            ;   in Loop: Header=BB256_12 Depth=1
	s_or_b32 exec_lo, exec_lo, s40
	v_lshrrev_b16 v1, 8, v9
	s_mov_b32 s40, exec_lo
	v_cmpx_ne_u16_e32 0, v1
	s_cbranch_execz .LBB256_129
; %bb.122:                              ;   in Loop: Header=BB256_12 Depth=1
	v_bfrev_b32_e32 v43, 1
	s_mov_b32 s41, exec_lo
	v_cmpx_ne_u16_e32 0x80, v1
	s_cbranch_execz .LBB256_128
; %bb.123:                              ;   in Loop: Header=BB256_12 Depth=1
	v_and_b32_sdwa v46, v1, v23 dst_sel:DWORD dst_unused:UNUSED_PAD src0_sel:WORD_0 src1_sel:DWORD
	v_mov_b32_e32 v43, 0x7c010000
	s_mov_b32 s42, exec_lo
	v_cmpx_ne_u32_e32 0x7f, v46
	s_cbranch_execz .LBB256_127
; %bb.124:                              ;   in Loop: Header=BB256_12 Depth=1
	v_and_b32_sdwa v43, v1, v24 dst_sel:DWORD dst_unused:UNUSED_PAD src0_sel:WORD_0 src1_sel:DWORD
	v_lshrrev_b32_e32 v45, 3, v46
	s_mov_b32 s43, exec_lo
	v_cmpx_gt_u32_e32 8, v46
; %bb.125:                              ;   in Loop: Header=BB256_12 Depth=1
	v_ffbh_u32_e32 v43, v43
	v_min_u32_e32 v43, 32, v43
	v_subrev_nc_u32_e32 v45, 28, v43
	v_lshlrev_b64 v[46:47], v45, v[1:2]
	v_sub_nc_u32_e32 v45, 29, v43
	v_and_b32_e32 v43, 7, v46
; %bb.126:                              ;   in Loop: Header=BB256_12 Depth=1
	s_or_b32 exec_lo, exec_lo, s43
	v_lshlrev_b32_sdwa v1, v25, v1 dst_sel:DWORD dst_unused:UNUSED_PAD src0_sel:DWORD src1_sel:WORD_0
	v_lshl_add_u32 v45, v45, 10, 0x2000
	v_lshlrev_b32_e32 v43, 23, v43
	v_and_or_b32 v1, 0x8000, v1, v45
	v_lshl_or_b32 v43, v1, 16, v43
.LBB256_127:                            ;   in Loop: Header=BB256_12 Depth=1
	s_or_b32 exec_lo, exec_lo, s42
.LBB256_128:                            ;   in Loop: Header=BB256_12 Depth=1
	s_or_b32 exec_lo, exec_lo, s41
.LBB256_129:                            ;   in Loop: Header=BB256_12 Depth=1
	s_or_b32 exec_lo, exec_lo, s40
	v_lshrrev_b32_e32 v1, 16, v9
	v_mov_b32_e32 v45, 0
	v_mov_b32_e32 v46, 0
	v_cmp_ne_u16_sdwa s2, v1, v2 src0_sel:BYTE_0 src1_sel:DWORD
	s_and_saveexec_b32 s40, s2
	s_cbranch_execz .LBB256_137
; %bb.130:                              ;   in Loop: Header=BB256_12 Depth=1
	v_cmp_ne_u16_sdwa s2, v1, v22 src0_sel:BYTE_0 src1_sel:DWORD
	v_mov_b32_e32 v46, 0x8000
	s_and_saveexec_b32 s41, s2
	s_cbranch_execz .LBB256_136
; %bb.131:                              ;   in Loop: Header=BB256_12 Depth=1
	v_bfe_u32 v48, v9, 16, 7
	v_mov_b32_e32 v46, 0x7c01
	s_mov_b32 s42, exec_lo
	v_cmpx_ne_u32_e32 0x7f, v48
	s_cbranch_execz .LBB256_135
; %bb.132:                              ;   in Loop: Header=BB256_12 Depth=1
	v_and_b32_e32 v46, 7, v1
	v_lshrrev_b32_e32 v47, 3, v48
	s_mov_b32 s43, exec_lo
	v_cmpx_gt_u32_e32 8, v48
; %bb.133:                              ;   in Loop: Header=BB256_12 Depth=1
	v_ffbh_u32_e32 v46, v46
	v_min_u32_e32 v48, 32, v46
	v_subrev_nc_u32_e32 v46, 28, v48
	v_lshlrev_b64 v[46:47], v46, v[1:2]
	v_sub_nc_u32_e32 v47, 29, v48
	v_and_b32_e32 v46, 7, v46
; %bb.134:                              ;   in Loop: Header=BB256_12 Depth=1
	s_or_b32 exec_lo, exec_lo, s43
	v_lshlrev_b32_e32 v1, 8, v1
	v_lshl_add_u32 v47, v47, 10, 0x2000
	v_lshlrev_b32_e32 v46, 7, v46
	v_and_b32_e32 v1, 0x8000, v1
	v_and_b32_e32 v47, 0xfc00, v47
	v_or3_b32 v46, v1, v47, v46
.LBB256_135:                            ;   in Loop: Header=BB256_12 Depth=1
	s_or_b32 exec_lo, exec_lo, s42
.LBB256_136:                            ;   in Loop: Header=BB256_12 Depth=1
	s_or_b32 exec_lo, exec_lo, s41
.LBB256_137:                            ;   in Loop: Header=BB256_12 Depth=1
	s_or_b32 exec_lo, exec_lo, s40
	s_mov_b32 s40, exec_lo
	v_cmpx_lt_u32_e32 0xffffff, v9
	s_cbranch_execz .LBB256_145
; %bb.138:                              ;   in Loop: Header=BB256_12 Depth=1
	v_lshrrev_b32_e32 v1, 24, v9
	v_bfrev_b32_e32 v45, 1
	s_mov_b32 s41, exec_lo
	v_cmpx_ne_u32_e32 0x80, v1
	s_cbranch_execz .LBB256_144
; %bb.139:                              ;   in Loop: Header=BB256_12 Depth=1
	v_and_b32_e32 v47, 0x7f, v1
	v_mov_b32_e32 v45, 0x7c010000
	s_mov_b32 s42, exec_lo
	v_cmpx_ne_u32_e32 0x7f, v47
	s_cbranch_execz .LBB256_143
; %bb.140:                              ;   in Loop: Header=BB256_12 Depth=1
	v_and_b32_e32 v9, 7, v1
	v_lshrrev_b32_e32 v45, 3, v47
	s_mov_b32 s43, exec_lo
	v_cmpx_gt_u32_e32 8, v47
; %bb.141:                              ;   in Loop: Header=BB256_12 Depth=1
	v_ffbh_u32_e32 v9, v9
	v_min_u32_e32 v9, 32, v9
	v_subrev_nc_u32_e32 v45, 28, v9
	v_lshlrev_b64 v[47:48], v45, v[1:2]
	v_sub_nc_u32_e32 v45, 29, v9
	v_and_b32_e32 v9, 7, v47
; %bb.142:                              ;   in Loop: Header=BB256_12 Depth=1
	s_or_b32 exec_lo, exec_lo, s43
	v_lshlrev_b32_e32 v1, 8, v1
	v_lshl_add_u32 v45, v45, 10, 0x2000
	v_lshlrev_b32_e32 v9, 23, v9
	v_and_or_b32 v1, 0x8000, v1, v45
	v_lshl_or_b32 v45, v1, 16, v9
.LBB256_143:                            ;   in Loop: Header=BB256_12 Depth=1
	s_or_b32 exec_lo, exec_lo, s42
.LBB256_144:                            ;   in Loop: Header=BB256_12 Depth=1
	s_or_b32 exec_lo, exec_lo, s41
.LBB256_145:                            ;   in Loop: Header=BB256_12 Depth=1
	s_or_b32 exec_lo, exec_lo, s40
	global_load_dword v9, v[7:8], off offset:512
	v_mov_b32_e32 v47, 0
	v_mov_b32_e32 v48, 0
	s_waitcnt vmcnt(0)
	v_cmp_ne_u16_sdwa s2, v9, v2 src0_sel:BYTE_0 src1_sel:DWORD
	s_and_saveexec_b32 s40, s2
	s_cbranch_execz .LBB256_153
; %bb.146:                              ;   in Loop: Header=BB256_12 Depth=1
	v_cmp_ne_u16_sdwa s2, v9, v22 src0_sel:BYTE_0 src1_sel:DWORD
	v_mov_b32_e32 v48, 0x8000
	s_and_saveexec_b32 s41, s2
	s_cbranch_execz .LBB256_152
; %bb.147:                              ;   in Loop: Header=BB256_12 Depth=1
	v_and_b32_e32 v49, 0x7f, v9
	v_mov_b32_e32 v48, 0x7c01
	s_mov_b32 s42, exec_lo
	v_cmpx_ne_u32_e32 0x7f, v49
	s_cbranch_execz .LBB256_151
; %bb.148:                              ;   in Loop: Header=BB256_12 Depth=1
	v_and_b32_e32 v1, 7, v9
	v_lshrrev_b32_e32 v48, 3, v49
	s_mov_b32 s43, exec_lo
	v_cmpx_gt_u32_e32 8, v49
; %bb.149:                              ;   in Loop: Header=BB256_12 Depth=1
	v_ffbh_u32_e32 v1, v1
	v_min_u32_e32 v1, 32, v1
	v_subrev_nc_u32_e32 v48, 28, v1
	v_lshlrev_b64 v[49:50], v48, v[9:10]
	v_sub_nc_u32_e32 v48, 29, v1
	v_and_b32_e32 v1, 7, v49
; %bb.150:                              ;   in Loop: Header=BB256_12 Depth=1
	s_or_b32 exec_lo, exec_lo, s43
	v_lshlrev_b32_e32 v49, 8, v9
	v_lshl_add_u32 v48, v48, 10, 0x2000
	v_lshlrev_b32_e32 v1, 7, v1
	v_and_b32_e32 v49, 0x8000, v49
	v_and_b32_e32 v48, 0xfc00, v48
	v_or3_b32 v48, v49, v48, v1
.LBB256_151:                            ;   in Loop: Header=BB256_12 Depth=1
	s_or_b32 exec_lo, exec_lo, s42
.LBB256_152:                            ;   in Loop: Header=BB256_12 Depth=1
	s_or_b32 exec_lo, exec_lo, s41
.LBB256_153:                            ;   in Loop: Header=BB256_12 Depth=1
	s_or_b32 exec_lo, exec_lo, s40
	v_lshrrev_b16 v1, 8, v9
	s_mov_b32 s40, exec_lo
	v_cmpx_ne_u16_e32 0, v1
	s_cbranch_execz .LBB256_161
; %bb.154:                              ;   in Loop: Header=BB256_12 Depth=1
	v_bfrev_b32_e32 v47, 1
	s_mov_b32 s41, exec_lo
	v_cmpx_ne_u16_e32 0x80, v1
	s_cbranch_execz .LBB256_160
; %bb.155:                              ;   in Loop: Header=BB256_12 Depth=1
	v_and_b32_sdwa v50, v1, v23 dst_sel:DWORD dst_unused:UNUSED_PAD src0_sel:WORD_0 src1_sel:DWORD
	v_mov_b32_e32 v47, 0x7c010000
	s_mov_b32 s42, exec_lo
	v_cmpx_ne_u32_e32 0x7f, v50
	s_cbranch_execz .LBB256_159
; %bb.156:                              ;   in Loop: Header=BB256_12 Depth=1
	v_and_b32_sdwa v47, v1, v24 dst_sel:DWORD dst_unused:UNUSED_PAD src0_sel:WORD_0 src1_sel:DWORD
	v_lshrrev_b32_e32 v49, 3, v50
	s_mov_b32 s43, exec_lo
	v_cmpx_gt_u32_e32 8, v50
; %bb.157:                              ;   in Loop: Header=BB256_12 Depth=1
	v_ffbh_u32_e32 v47, v47
	v_min_u32_e32 v47, 32, v47
	v_subrev_nc_u32_e32 v49, 28, v47
	v_lshlrev_b64 v[50:51], v49, v[1:2]
	v_sub_nc_u32_e32 v49, 29, v47
	v_and_b32_e32 v47, 7, v50
; %bb.158:                              ;   in Loop: Header=BB256_12 Depth=1
	s_or_b32 exec_lo, exec_lo, s43
	v_lshlrev_b32_sdwa v1, v25, v1 dst_sel:DWORD dst_unused:UNUSED_PAD src0_sel:DWORD src1_sel:WORD_0
	v_lshl_add_u32 v49, v49, 10, 0x2000
	v_lshlrev_b32_e32 v47, 23, v47
	v_and_or_b32 v1, 0x8000, v1, v49
	v_lshl_or_b32 v47, v1, 16, v47
.LBB256_159:                            ;   in Loop: Header=BB256_12 Depth=1
	s_or_b32 exec_lo, exec_lo, s42
.LBB256_160:                            ;   in Loop: Header=BB256_12 Depth=1
	s_or_b32 exec_lo, exec_lo, s41
.LBB256_161:                            ;   in Loop: Header=BB256_12 Depth=1
	s_or_b32 exec_lo, exec_lo, s40
	v_lshrrev_b32_e32 v1, 16, v9
	v_mov_b32_e32 v49, 0
	v_mov_b32_e32 v50, 0
	v_cmp_ne_u16_sdwa s2, v1, v2 src0_sel:BYTE_0 src1_sel:DWORD
	s_and_saveexec_b32 s40, s2
	s_cbranch_execz .LBB256_169
; %bb.162:                              ;   in Loop: Header=BB256_12 Depth=1
	v_cmp_ne_u16_sdwa s2, v1, v22 src0_sel:BYTE_0 src1_sel:DWORD
	v_mov_b32_e32 v50, 0x8000
	s_and_saveexec_b32 s41, s2
	s_cbranch_execz .LBB256_168
; %bb.163:                              ;   in Loop: Header=BB256_12 Depth=1
	v_bfe_u32 v52, v9, 16, 7
	v_mov_b32_e32 v50, 0x7c01
	s_mov_b32 s42, exec_lo
	v_cmpx_ne_u32_e32 0x7f, v52
	s_cbranch_execz .LBB256_167
; %bb.164:                              ;   in Loop: Header=BB256_12 Depth=1
	v_and_b32_e32 v50, 7, v1
	v_lshrrev_b32_e32 v51, 3, v52
	s_mov_b32 s43, exec_lo
	v_cmpx_gt_u32_e32 8, v52
; %bb.165:                              ;   in Loop: Header=BB256_12 Depth=1
	v_ffbh_u32_e32 v50, v50
	v_min_u32_e32 v52, 32, v50
	v_subrev_nc_u32_e32 v50, 28, v52
	v_lshlrev_b64 v[50:51], v50, v[1:2]
	v_sub_nc_u32_e32 v51, 29, v52
	v_and_b32_e32 v50, 7, v50
; %bb.166:                              ;   in Loop: Header=BB256_12 Depth=1
	s_or_b32 exec_lo, exec_lo, s43
	v_lshlrev_b32_e32 v1, 8, v1
	v_lshl_add_u32 v51, v51, 10, 0x2000
	v_lshlrev_b32_e32 v50, 7, v50
	v_and_b32_e32 v1, 0x8000, v1
	v_and_b32_e32 v51, 0xfc00, v51
	v_or3_b32 v50, v1, v51, v50
.LBB256_167:                            ;   in Loop: Header=BB256_12 Depth=1
	s_or_b32 exec_lo, exec_lo, s42
.LBB256_168:                            ;   in Loop: Header=BB256_12 Depth=1
	s_or_b32 exec_lo, exec_lo, s41
.LBB256_169:                            ;   in Loop: Header=BB256_12 Depth=1
	s_or_b32 exec_lo, exec_lo, s40
	s_mov_b32 s40, exec_lo
	v_cmpx_lt_u32_e32 0xffffff, v9
	s_cbranch_execz .LBB256_177
; %bb.170:                              ;   in Loop: Header=BB256_12 Depth=1
	v_lshrrev_b32_e32 v1, 24, v9
	v_bfrev_b32_e32 v49, 1
	s_mov_b32 s41, exec_lo
	v_cmpx_ne_u32_e32 0x80, v1
	s_cbranch_execz .LBB256_176
; %bb.171:                              ;   in Loop: Header=BB256_12 Depth=1
	v_and_b32_e32 v51, 0x7f, v1
	v_mov_b32_e32 v49, 0x7c010000
	s_mov_b32 s42, exec_lo
	v_cmpx_ne_u32_e32 0x7f, v51
	s_cbranch_execz .LBB256_175
; %bb.172:                              ;   in Loop: Header=BB256_12 Depth=1
	v_and_b32_e32 v9, 7, v1
	v_lshrrev_b32_e32 v49, 3, v51
	s_mov_b32 s43, exec_lo
	v_cmpx_gt_u32_e32 8, v51
; %bb.173:                              ;   in Loop: Header=BB256_12 Depth=1
	v_ffbh_u32_e32 v9, v9
	v_min_u32_e32 v9, 32, v9
	v_subrev_nc_u32_e32 v49, 28, v9
	v_lshlrev_b64 v[51:52], v49, v[1:2]
	v_sub_nc_u32_e32 v49, 29, v9
	v_and_b32_e32 v9, 7, v51
; %bb.174:                              ;   in Loop: Header=BB256_12 Depth=1
	s_or_b32 exec_lo, exec_lo, s43
	v_lshlrev_b32_e32 v1, 8, v1
	v_lshl_add_u32 v49, v49, 10, 0x2000
	v_lshlrev_b32_e32 v9, 23, v9
	v_and_or_b32 v1, 0x8000, v1, v49
	v_lshl_or_b32 v49, v1, 16, v9
.LBB256_175:                            ;   in Loop: Header=BB256_12 Depth=1
	s_or_b32 exec_lo, exec_lo, s42
.LBB256_176:                            ;   in Loop: Header=BB256_12 Depth=1
	s_or_b32 exec_lo, exec_lo, s41
.LBB256_177:                            ;   in Loop: Header=BB256_12 Depth=1
	s_or_b32 exec_lo, exec_lo, s40
	global_load_dword v9, v[7:8], off offset:520
	v_mov_b32_e32 v51, 0
	v_mov_b32_e32 v52, 0
	s_waitcnt vmcnt(0)
	v_cmp_ne_u16_sdwa s2, v9, v2 src0_sel:BYTE_0 src1_sel:DWORD
	s_and_saveexec_b32 s40, s2
	s_cbranch_execz .LBB256_185
; %bb.178:                              ;   in Loop: Header=BB256_12 Depth=1
	v_cmp_ne_u16_sdwa s2, v9, v22 src0_sel:BYTE_0 src1_sel:DWORD
	v_mov_b32_e32 v52, 0x8000
	s_and_saveexec_b32 s41, s2
	s_cbranch_execz .LBB256_184
; %bb.179:                              ;   in Loop: Header=BB256_12 Depth=1
	v_and_b32_e32 v53, 0x7f, v9
	v_mov_b32_e32 v52, 0x7c01
	s_mov_b32 s42, exec_lo
	v_cmpx_ne_u32_e32 0x7f, v53
	s_cbranch_execz .LBB256_183
; %bb.180:                              ;   in Loop: Header=BB256_12 Depth=1
	v_and_b32_e32 v1, 7, v9
	v_lshrrev_b32_e32 v52, 3, v53
	s_mov_b32 s43, exec_lo
	v_cmpx_gt_u32_e32 8, v53
; %bb.181:                              ;   in Loop: Header=BB256_12 Depth=1
	v_ffbh_u32_e32 v1, v1
	v_min_u32_e32 v1, 32, v1
	v_subrev_nc_u32_e32 v52, 28, v1
	v_lshlrev_b64 v[53:54], v52, v[9:10]
	v_sub_nc_u32_e32 v52, 29, v1
	v_and_b32_e32 v1, 7, v53
; %bb.182:                              ;   in Loop: Header=BB256_12 Depth=1
	s_or_b32 exec_lo, exec_lo, s43
	v_lshlrev_b32_e32 v53, 8, v9
	v_lshl_add_u32 v52, v52, 10, 0x2000
	v_lshlrev_b32_e32 v1, 7, v1
	v_and_b32_e32 v53, 0x8000, v53
	v_and_b32_e32 v52, 0xfc00, v52
	v_or3_b32 v52, v53, v52, v1
.LBB256_183:                            ;   in Loop: Header=BB256_12 Depth=1
	s_or_b32 exec_lo, exec_lo, s42
.LBB256_184:                            ;   in Loop: Header=BB256_12 Depth=1
	s_or_b32 exec_lo, exec_lo, s41
.LBB256_185:                            ;   in Loop: Header=BB256_12 Depth=1
	s_or_b32 exec_lo, exec_lo, s40
	v_lshrrev_b16 v1, 8, v9
	s_mov_b32 s40, exec_lo
	v_cmpx_ne_u16_e32 0, v1
	s_cbranch_execz .LBB256_193
; %bb.186:                              ;   in Loop: Header=BB256_12 Depth=1
	v_bfrev_b32_e32 v51, 1
	s_mov_b32 s41, exec_lo
	v_cmpx_ne_u16_e32 0x80, v1
	s_cbranch_execz .LBB256_192
; %bb.187:                              ;   in Loop: Header=BB256_12 Depth=1
	v_and_b32_sdwa v54, v1, v23 dst_sel:DWORD dst_unused:UNUSED_PAD src0_sel:WORD_0 src1_sel:DWORD
	v_mov_b32_e32 v51, 0x7c010000
	s_mov_b32 s42, exec_lo
	v_cmpx_ne_u32_e32 0x7f, v54
	s_cbranch_execz .LBB256_191
; %bb.188:                              ;   in Loop: Header=BB256_12 Depth=1
	v_and_b32_sdwa v51, v1, v24 dst_sel:DWORD dst_unused:UNUSED_PAD src0_sel:WORD_0 src1_sel:DWORD
	v_lshrrev_b32_e32 v53, 3, v54
	s_mov_b32 s43, exec_lo
	v_cmpx_gt_u32_e32 8, v54
; %bb.189:                              ;   in Loop: Header=BB256_12 Depth=1
	v_ffbh_u32_e32 v51, v51
	v_min_u32_e32 v51, 32, v51
	v_subrev_nc_u32_e32 v53, 28, v51
	v_lshlrev_b64 v[54:55], v53, v[1:2]
	v_sub_nc_u32_e32 v53, 29, v51
	v_and_b32_e32 v51, 7, v54
; %bb.190:                              ;   in Loop: Header=BB256_12 Depth=1
	s_or_b32 exec_lo, exec_lo, s43
	v_lshlrev_b32_sdwa v1, v25, v1 dst_sel:DWORD dst_unused:UNUSED_PAD src0_sel:DWORD src1_sel:WORD_0
	v_lshl_add_u32 v53, v53, 10, 0x2000
	v_lshlrev_b32_e32 v51, 23, v51
	v_and_or_b32 v1, 0x8000, v1, v53
	v_lshl_or_b32 v51, v1, 16, v51
.LBB256_191:                            ;   in Loop: Header=BB256_12 Depth=1
	s_or_b32 exec_lo, exec_lo, s42
.LBB256_192:                            ;   in Loop: Header=BB256_12 Depth=1
	s_or_b32 exec_lo, exec_lo, s41
.LBB256_193:                            ;   in Loop: Header=BB256_12 Depth=1
	s_or_b32 exec_lo, exec_lo, s40
	v_lshrrev_b32_e32 v1, 16, v9
	v_mov_b32_e32 v53, 0
	v_mov_b32_e32 v54, 0
	v_cmp_ne_u16_sdwa s2, v1, v2 src0_sel:BYTE_0 src1_sel:DWORD
	s_and_saveexec_b32 s40, s2
	s_cbranch_execz .LBB256_201
; %bb.194:                              ;   in Loop: Header=BB256_12 Depth=1
	v_cmp_ne_u16_sdwa s2, v1, v22 src0_sel:BYTE_0 src1_sel:DWORD
	v_mov_b32_e32 v54, 0x8000
	s_and_saveexec_b32 s41, s2
	s_cbranch_execz .LBB256_200
; %bb.195:                              ;   in Loop: Header=BB256_12 Depth=1
	v_bfe_u32 v56, v9, 16, 7
	v_mov_b32_e32 v54, 0x7c01
	s_mov_b32 s42, exec_lo
	v_cmpx_ne_u32_e32 0x7f, v56
	s_cbranch_execz .LBB256_199
; %bb.196:                              ;   in Loop: Header=BB256_12 Depth=1
	v_and_b32_e32 v54, 7, v1
	v_lshrrev_b32_e32 v55, 3, v56
	s_mov_b32 s43, exec_lo
	v_cmpx_gt_u32_e32 8, v56
; %bb.197:                              ;   in Loop: Header=BB256_12 Depth=1
	v_ffbh_u32_e32 v54, v54
	v_min_u32_e32 v56, 32, v54
	v_subrev_nc_u32_e32 v54, 28, v56
	v_lshlrev_b64 v[54:55], v54, v[1:2]
	v_sub_nc_u32_e32 v55, 29, v56
	v_and_b32_e32 v54, 7, v54
; %bb.198:                              ;   in Loop: Header=BB256_12 Depth=1
	s_or_b32 exec_lo, exec_lo, s43
	v_lshlrev_b32_e32 v1, 8, v1
	v_lshl_add_u32 v55, v55, 10, 0x2000
	v_lshlrev_b32_e32 v54, 7, v54
	v_and_b32_e32 v1, 0x8000, v1
	v_and_b32_e32 v55, 0xfc00, v55
	v_or3_b32 v54, v1, v55, v54
.LBB256_199:                            ;   in Loop: Header=BB256_12 Depth=1
	s_or_b32 exec_lo, exec_lo, s42
.LBB256_200:                            ;   in Loop: Header=BB256_12 Depth=1
	s_or_b32 exec_lo, exec_lo, s41
.LBB256_201:                            ;   in Loop: Header=BB256_12 Depth=1
	s_or_b32 exec_lo, exec_lo, s40
	s_mov_b32 s40, exec_lo
	v_cmpx_lt_u32_e32 0xffffff, v9
	s_cbranch_execz .LBB256_209
; %bb.202:                              ;   in Loop: Header=BB256_12 Depth=1
	v_lshrrev_b32_e32 v1, 24, v9
	v_bfrev_b32_e32 v53, 1
	s_mov_b32 s41, exec_lo
	v_cmpx_ne_u32_e32 0x80, v1
	s_cbranch_execz .LBB256_208
; %bb.203:                              ;   in Loop: Header=BB256_12 Depth=1
	v_and_b32_e32 v55, 0x7f, v1
	v_mov_b32_e32 v53, 0x7c010000
	s_mov_b32 s42, exec_lo
	v_cmpx_ne_u32_e32 0x7f, v55
	s_cbranch_execz .LBB256_207
; %bb.204:                              ;   in Loop: Header=BB256_12 Depth=1
	v_and_b32_e32 v9, 7, v1
	v_lshrrev_b32_e32 v53, 3, v55
	s_mov_b32 s43, exec_lo
	v_cmpx_gt_u32_e32 8, v55
; %bb.205:                              ;   in Loop: Header=BB256_12 Depth=1
	v_ffbh_u32_e32 v9, v9
	v_min_u32_e32 v9, 32, v9
	v_subrev_nc_u32_e32 v53, 28, v9
	v_lshlrev_b64 v[55:56], v53, v[1:2]
	v_sub_nc_u32_e32 v53, 29, v9
	v_and_b32_e32 v9, 7, v55
; %bb.206:                              ;   in Loop: Header=BB256_12 Depth=1
	s_or_b32 exec_lo, exec_lo, s43
	v_lshlrev_b32_e32 v1, 8, v1
	v_lshl_add_u32 v53, v53, 10, 0x2000
	v_lshlrev_b32_e32 v9, 23, v9
	v_and_or_b32 v1, 0x8000, v1, v53
	v_lshl_or_b32 v53, v1, 16, v9
.LBB256_207:                            ;   in Loop: Header=BB256_12 Depth=1
	s_or_b32 exec_lo, exec_lo, s42
.LBB256_208:                            ;   in Loop: Header=BB256_12 Depth=1
	s_or_b32 exec_lo, exec_lo, s41
.LBB256_209:                            ;   in Loop: Header=BB256_12 Depth=1
	s_or_b32 exec_lo, exec_lo, s40
	global_load_dword v9, v[7:8], off offset:768
	v_mov_b32_e32 v55, 0
	v_mov_b32_e32 v56, 0
	s_waitcnt vmcnt(0)
	v_cmp_ne_u16_sdwa s2, v9, v2 src0_sel:BYTE_0 src1_sel:DWORD
	s_and_saveexec_b32 s40, s2
	s_cbranch_execz .LBB256_217
; %bb.210:                              ;   in Loop: Header=BB256_12 Depth=1
	v_cmp_ne_u16_sdwa s2, v9, v22 src0_sel:BYTE_0 src1_sel:DWORD
	v_mov_b32_e32 v56, 0x8000
	s_and_saveexec_b32 s41, s2
	s_cbranch_execz .LBB256_216
; %bb.211:                              ;   in Loop: Header=BB256_12 Depth=1
	v_and_b32_e32 v57, 0x7f, v9
	v_mov_b32_e32 v56, 0x7c01
	s_mov_b32 s42, exec_lo
	v_cmpx_ne_u32_e32 0x7f, v57
	s_cbranch_execz .LBB256_215
; %bb.212:                              ;   in Loop: Header=BB256_12 Depth=1
	v_and_b32_e32 v1, 7, v9
	v_lshrrev_b32_e32 v56, 3, v57
	s_mov_b32 s43, exec_lo
	v_cmpx_gt_u32_e32 8, v57
; %bb.213:                              ;   in Loop: Header=BB256_12 Depth=1
	v_ffbh_u32_e32 v1, v1
	v_min_u32_e32 v1, 32, v1
	v_subrev_nc_u32_e32 v56, 28, v1
	v_lshlrev_b64 v[57:58], v56, v[9:10]
	v_sub_nc_u32_e32 v56, 29, v1
	v_and_b32_e32 v1, 7, v57
; %bb.214:                              ;   in Loop: Header=BB256_12 Depth=1
	s_or_b32 exec_lo, exec_lo, s43
	v_lshlrev_b32_e32 v57, 8, v9
	v_lshl_add_u32 v56, v56, 10, 0x2000
	v_lshlrev_b32_e32 v1, 7, v1
	v_and_b32_e32 v57, 0x8000, v57
	v_and_b32_e32 v56, 0xfc00, v56
	v_or3_b32 v56, v57, v56, v1
.LBB256_215:                            ;   in Loop: Header=BB256_12 Depth=1
	s_or_b32 exec_lo, exec_lo, s42
.LBB256_216:                            ;   in Loop: Header=BB256_12 Depth=1
	s_or_b32 exec_lo, exec_lo, s41
.LBB256_217:                            ;   in Loop: Header=BB256_12 Depth=1
	s_or_b32 exec_lo, exec_lo, s40
	v_lshrrev_b16 v1, 8, v9
	s_mov_b32 s40, exec_lo
	v_cmpx_ne_u16_e32 0, v1
	s_cbranch_execz .LBB256_225
; %bb.218:                              ;   in Loop: Header=BB256_12 Depth=1
	v_bfrev_b32_e32 v55, 1
	s_mov_b32 s41, exec_lo
	v_cmpx_ne_u16_e32 0x80, v1
	s_cbranch_execz .LBB256_224
; %bb.219:                              ;   in Loop: Header=BB256_12 Depth=1
	v_and_b32_sdwa v58, v1, v23 dst_sel:DWORD dst_unused:UNUSED_PAD src0_sel:WORD_0 src1_sel:DWORD
	v_mov_b32_e32 v55, 0x7c010000
	s_mov_b32 s42, exec_lo
	v_cmpx_ne_u32_e32 0x7f, v58
	s_cbranch_execz .LBB256_223
; %bb.220:                              ;   in Loop: Header=BB256_12 Depth=1
	v_and_b32_sdwa v55, v1, v24 dst_sel:DWORD dst_unused:UNUSED_PAD src0_sel:WORD_0 src1_sel:DWORD
	v_lshrrev_b32_e32 v57, 3, v58
	s_mov_b32 s43, exec_lo
	v_cmpx_gt_u32_e32 8, v58
; %bb.221:                              ;   in Loop: Header=BB256_12 Depth=1
	v_ffbh_u32_e32 v55, v55
	v_min_u32_e32 v55, 32, v55
	v_subrev_nc_u32_e32 v57, 28, v55
	v_lshlrev_b64 v[58:59], v57, v[1:2]
	v_sub_nc_u32_e32 v57, 29, v55
	v_and_b32_e32 v55, 7, v58
; %bb.222:                              ;   in Loop: Header=BB256_12 Depth=1
	s_or_b32 exec_lo, exec_lo, s43
	v_lshlrev_b32_sdwa v1, v25, v1 dst_sel:DWORD dst_unused:UNUSED_PAD src0_sel:DWORD src1_sel:WORD_0
	v_lshl_add_u32 v57, v57, 10, 0x2000
	v_lshlrev_b32_e32 v55, 23, v55
	v_and_or_b32 v1, 0x8000, v1, v57
	v_lshl_or_b32 v55, v1, 16, v55
.LBB256_223:                            ;   in Loop: Header=BB256_12 Depth=1
	s_or_b32 exec_lo, exec_lo, s42
.LBB256_224:                            ;   in Loop: Header=BB256_12 Depth=1
	s_or_b32 exec_lo, exec_lo, s41
.LBB256_225:                            ;   in Loop: Header=BB256_12 Depth=1
	s_or_b32 exec_lo, exec_lo, s40
	v_lshrrev_b32_e32 v1, 16, v9
	v_mov_b32_e32 v57, 0
	v_mov_b32_e32 v58, 0
	v_cmp_ne_u16_sdwa s2, v1, v2 src0_sel:BYTE_0 src1_sel:DWORD
	s_and_saveexec_b32 s40, s2
	s_cbranch_execz .LBB256_233
; %bb.226:                              ;   in Loop: Header=BB256_12 Depth=1
	v_cmp_ne_u16_sdwa s2, v1, v22 src0_sel:BYTE_0 src1_sel:DWORD
	v_mov_b32_e32 v58, 0x8000
	s_and_saveexec_b32 s41, s2
	s_cbranch_execz .LBB256_232
; %bb.227:                              ;   in Loop: Header=BB256_12 Depth=1
	v_bfe_u32 v60, v9, 16, 7
	v_mov_b32_e32 v58, 0x7c01
	s_mov_b32 s42, exec_lo
	v_cmpx_ne_u32_e32 0x7f, v60
	s_cbranch_execz .LBB256_231
; %bb.228:                              ;   in Loop: Header=BB256_12 Depth=1
	v_and_b32_e32 v58, 7, v1
	v_lshrrev_b32_e32 v59, 3, v60
	s_mov_b32 s43, exec_lo
	v_cmpx_gt_u32_e32 8, v60
; %bb.229:                              ;   in Loop: Header=BB256_12 Depth=1
	v_ffbh_u32_e32 v58, v58
	v_min_u32_e32 v60, 32, v58
	v_subrev_nc_u32_e32 v58, 28, v60
	v_lshlrev_b64 v[58:59], v58, v[1:2]
	v_sub_nc_u32_e32 v59, 29, v60
	v_and_b32_e32 v58, 7, v58
; %bb.230:                              ;   in Loop: Header=BB256_12 Depth=1
	s_or_b32 exec_lo, exec_lo, s43
	v_lshlrev_b32_e32 v1, 8, v1
	v_lshl_add_u32 v59, v59, 10, 0x2000
	v_lshlrev_b32_e32 v58, 7, v58
	v_and_b32_e32 v1, 0x8000, v1
	v_and_b32_e32 v59, 0xfc00, v59
	v_or3_b32 v58, v1, v59, v58
.LBB256_231:                            ;   in Loop: Header=BB256_12 Depth=1
	s_or_b32 exec_lo, exec_lo, s42
.LBB256_232:                            ;   in Loop: Header=BB256_12 Depth=1
	s_or_b32 exec_lo, exec_lo, s41
.LBB256_233:                            ;   in Loop: Header=BB256_12 Depth=1
	s_or_b32 exec_lo, exec_lo, s40
	s_mov_b32 s40, exec_lo
	v_cmpx_lt_u32_e32 0xffffff, v9
	s_cbranch_execz .LBB256_241
; %bb.234:                              ;   in Loop: Header=BB256_12 Depth=1
	v_lshrrev_b32_e32 v1, 24, v9
	v_bfrev_b32_e32 v57, 1
	s_mov_b32 s41, exec_lo
	v_cmpx_ne_u32_e32 0x80, v1
	s_cbranch_execz .LBB256_240
; %bb.235:                              ;   in Loop: Header=BB256_12 Depth=1
	v_and_b32_e32 v59, 0x7f, v1
	v_mov_b32_e32 v57, 0x7c010000
	s_mov_b32 s42, exec_lo
	v_cmpx_ne_u32_e32 0x7f, v59
	s_cbranch_execz .LBB256_239
; %bb.236:                              ;   in Loop: Header=BB256_12 Depth=1
	v_and_b32_e32 v9, 7, v1
	v_lshrrev_b32_e32 v57, 3, v59
	s_mov_b32 s43, exec_lo
	v_cmpx_gt_u32_e32 8, v59
; %bb.237:                              ;   in Loop: Header=BB256_12 Depth=1
	v_ffbh_u32_e32 v9, v9
	v_min_u32_e32 v9, 32, v9
	v_subrev_nc_u32_e32 v57, 28, v9
	v_lshlrev_b64 v[59:60], v57, v[1:2]
	v_sub_nc_u32_e32 v57, 29, v9
	v_and_b32_e32 v9, 7, v59
; %bb.238:                              ;   in Loop: Header=BB256_12 Depth=1
	s_or_b32 exec_lo, exec_lo, s43
	v_lshlrev_b32_e32 v1, 8, v1
	v_lshl_add_u32 v57, v57, 10, 0x2000
	v_lshlrev_b32_e32 v9, 23, v9
	v_and_or_b32 v1, 0x8000, v1, v57
	v_lshl_or_b32 v57, v1, 16, v9
.LBB256_239:                            ;   in Loop: Header=BB256_12 Depth=1
	s_or_b32 exec_lo, exec_lo, s42
.LBB256_240:                            ;   in Loop: Header=BB256_12 Depth=1
	s_or_b32 exec_lo, exec_lo, s41
.LBB256_241:                            ;   in Loop: Header=BB256_12 Depth=1
	s_or_b32 exec_lo, exec_lo, s40
	global_load_dword v9, v[7:8], off offset:776
	v_mov_b32_e32 v59, 0
	v_mov_b32_e32 v60, 0
	s_waitcnt vmcnt(0)
	v_cmp_ne_u16_sdwa s2, v9, v2 src0_sel:BYTE_0 src1_sel:DWORD
	s_and_saveexec_b32 s40, s2
	s_cbranch_execz .LBB256_249
; %bb.242:                              ;   in Loop: Header=BB256_12 Depth=1
	v_cmp_ne_u16_sdwa s2, v9, v22 src0_sel:BYTE_0 src1_sel:DWORD
	v_mov_b32_e32 v60, 0x8000
	s_and_saveexec_b32 s41, s2
	s_cbranch_execz .LBB256_248
; %bb.243:                              ;   in Loop: Header=BB256_12 Depth=1
	v_and_b32_e32 v61, 0x7f, v9
	v_mov_b32_e32 v60, 0x7c01
	s_mov_b32 s42, exec_lo
	v_cmpx_ne_u32_e32 0x7f, v61
	s_cbranch_execz .LBB256_247
; %bb.244:                              ;   in Loop: Header=BB256_12 Depth=1
	v_and_b32_e32 v1, 7, v9
	v_lshrrev_b32_e32 v60, 3, v61
	s_mov_b32 s43, exec_lo
	v_cmpx_gt_u32_e32 8, v61
; %bb.245:                              ;   in Loop: Header=BB256_12 Depth=1
	v_ffbh_u32_e32 v1, v1
	v_min_u32_e32 v1, 32, v1
	v_subrev_nc_u32_e32 v60, 28, v1
	v_lshlrev_b64 v[61:62], v60, v[9:10]
	v_sub_nc_u32_e32 v60, 29, v1
	v_and_b32_e32 v1, 7, v61
; %bb.246:                              ;   in Loop: Header=BB256_12 Depth=1
	s_or_b32 exec_lo, exec_lo, s43
	v_lshlrev_b32_e32 v61, 8, v9
	v_lshl_add_u32 v60, v60, 10, 0x2000
	v_lshlrev_b32_e32 v1, 7, v1
	v_and_b32_e32 v61, 0x8000, v61
	v_and_b32_e32 v60, 0xfc00, v60
	v_or3_b32 v60, v61, v60, v1
.LBB256_247:                            ;   in Loop: Header=BB256_12 Depth=1
	s_or_b32 exec_lo, exec_lo, s42
.LBB256_248:                            ;   in Loop: Header=BB256_12 Depth=1
	s_or_b32 exec_lo, exec_lo, s41
.LBB256_249:                            ;   in Loop: Header=BB256_12 Depth=1
	s_or_b32 exec_lo, exec_lo, s40
	v_lshrrev_b16 v1, 8, v9
	s_mov_b32 s40, exec_lo
	v_cmpx_ne_u16_e32 0, v1
	s_cbranch_execz .LBB256_257
; %bb.250:                              ;   in Loop: Header=BB256_12 Depth=1
	v_bfrev_b32_e32 v59, 1
	s_mov_b32 s41, exec_lo
	v_cmpx_ne_u16_e32 0x80, v1
	s_cbranch_execz .LBB256_256
; %bb.251:                              ;   in Loop: Header=BB256_12 Depth=1
	v_and_b32_sdwa v62, v1, v23 dst_sel:DWORD dst_unused:UNUSED_PAD src0_sel:WORD_0 src1_sel:DWORD
	v_mov_b32_e32 v59, 0x7c010000
	s_mov_b32 s42, exec_lo
	v_cmpx_ne_u32_e32 0x7f, v62
	s_cbranch_execz .LBB256_255
; %bb.252:                              ;   in Loop: Header=BB256_12 Depth=1
	v_and_b32_sdwa v59, v1, v24 dst_sel:DWORD dst_unused:UNUSED_PAD src0_sel:WORD_0 src1_sel:DWORD
	v_lshrrev_b32_e32 v61, 3, v62
	s_mov_b32 s43, exec_lo
	v_cmpx_gt_u32_e32 8, v62
; %bb.253:                              ;   in Loop: Header=BB256_12 Depth=1
	v_ffbh_u32_e32 v59, v59
	v_min_u32_e32 v59, 32, v59
	v_subrev_nc_u32_e32 v61, 28, v59
	v_lshlrev_b64 v[62:63], v61, v[1:2]
	v_sub_nc_u32_e32 v61, 29, v59
	v_and_b32_e32 v59, 7, v62
; %bb.254:                              ;   in Loop: Header=BB256_12 Depth=1
	s_or_b32 exec_lo, exec_lo, s43
	v_lshlrev_b32_sdwa v1, v25, v1 dst_sel:DWORD dst_unused:UNUSED_PAD src0_sel:DWORD src1_sel:WORD_0
	v_lshl_add_u32 v61, v61, 10, 0x2000
	v_lshlrev_b32_e32 v59, 23, v59
	v_and_or_b32 v1, 0x8000, v1, v61
	v_lshl_or_b32 v59, v1, 16, v59
.LBB256_255:                            ;   in Loop: Header=BB256_12 Depth=1
	s_or_b32 exec_lo, exec_lo, s42
.LBB256_256:                            ;   in Loop: Header=BB256_12 Depth=1
	s_or_b32 exec_lo, exec_lo, s41
.LBB256_257:                            ;   in Loop: Header=BB256_12 Depth=1
	s_or_b32 exec_lo, exec_lo, s40
	v_lshrrev_b32_e32 v1, 16, v9
	v_mov_b32_e32 v61, 0
	v_mov_b32_e32 v62, 0
	v_cmp_ne_u16_sdwa s2, v1, v2 src0_sel:BYTE_0 src1_sel:DWORD
	s_and_saveexec_b32 s40, s2
	s_cbranch_execz .LBB256_265
; %bb.258:                              ;   in Loop: Header=BB256_12 Depth=1
	v_cmp_ne_u16_sdwa s2, v1, v22 src0_sel:BYTE_0 src1_sel:DWORD
	v_mov_b32_e32 v62, 0x8000
	s_and_saveexec_b32 s41, s2
	s_cbranch_execz .LBB256_264
; %bb.259:                              ;   in Loop: Header=BB256_12 Depth=1
	v_bfe_u32 v64, v9, 16, 7
	v_mov_b32_e32 v62, 0x7c01
	s_mov_b32 s42, exec_lo
	v_cmpx_ne_u32_e32 0x7f, v64
	s_cbranch_execz .LBB256_263
; %bb.260:                              ;   in Loop: Header=BB256_12 Depth=1
	v_and_b32_e32 v62, 7, v1
	v_lshrrev_b32_e32 v63, 3, v64
	s_mov_b32 s43, exec_lo
	v_cmpx_gt_u32_e32 8, v64
; %bb.261:                              ;   in Loop: Header=BB256_12 Depth=1
	v_ffbh_u32_e32 v62, v62
	v_min_u32_e32 v64, 32, v62
	v_subrev_nc_u32_e32 v62, 28, v64
	v_lshlrev_b64 v[62:63], v62, v[1:2]
	v_sub_nc_u32_e32 v63, 29, v64
	v_and_b32_e32 v62, 7, v62
; %bb.262:                              ;   in Loop: Header=BB256_12 Depth=1
	s_or_b32 exec_lo, exec_lo, s43
	v_lshlrev_b32_e32 v1, 8, v1
	v_lshl_add_u32 v63, v63, 10, 0x2000
	v_lshlrev_b32_e32 v62, 7, v62
	v_and_b32_e32 v1, 0x8000, v1
	v_and_b32_e32 v63, 0xfc00, v63
	v_or3_b32 v62, v1, v63, v62
.LBB256_263:                            ;   in Loop: Header=BB256_12 Depth=1
	s_or_b32 exec_lo, exec_lo, s42
.LBB256_264:                            ;   in Loop: Header=BB256_12 Depth=1
	s_or_b32 exec_lo, exec_lo, s41
.LBB256_265:                            ;   in Loop: Header=BB256_12 Depth=1
	s_or_b32 exec_lo, exec_lo, s40
	s_mov_b32 s40, exec_lo
	v_cmpx_lt_u32_e32 0xffffff, v9
	s_cbranch_execz .LBB256_273
; %bb.266:                              ;   in Loop: Header=BB256_12 Depth=1
	v_lshrrev_b32_e32 v1, 24, v9
	v_bfrev_b32_e32 v61, 1
	s_mov_b32 s41, exec_lo
	v_cmpx_ne_u32_e32 0x80, v1
	s_cbranch_execz .LBB256_272
; %bb.267:                              ;   in Loop: Header=BB256_12 Depth=1
	v_and_b32_e32 v63, 0x7f, v1
	v_mov_b32_e32 v61, 0x7c010000
	s_mov_b32 s42, exec_lo
	v_cmpx_ne_u32_e32 0x7f, v63
	s_cbranch_execz .LBB256_271
; %bb.268:                              ;   in Loop: Header=BB256_12 Depth=1
	v_and_b32_e32 v9, 7, v1
	v_lshrrev_b32_e32 v61, 3, v63
	s_mov_b32 s43, exec_lo
	v_cmpx_gt_u32_e32 8, v63
; %bb.269:                              ;   in Loop: Header=BB256_12 Depth=1
	v_ffbh_u32_e32 v9, v9
	v_min_u32_e32 v9, 32, v9
	v_subrev_nc_u32_e32 v61, 28, v9
	v_lshlrev_b64 v[63:64], v61, v[1:2]
	v_sub_nc_u32_e32 v61, 29, v9
	v_and_b32_e32 v9, 7, v63
; %bb.270:                              ;   in Loop: Header=BB256_12 Depth=1
	s_or_b32 exec_lo, exec_lo, s43
	v_lshlrev_b32_e32 v1, 8, v1
	v_lshl_add_u32 v61, v61, 10, 0x2000
	v_lshlrev_b32_e32 v9, 23, v9
	v_and_or_b32 v1, 0x8000, v1, v61
	v_lshl_or_b32 v61, v1, 16, v9
.LBB256_271:                            ;   in Loop: Header=BB256_12 Depth=1
	s_or_b32 exec_lo, exec_lo, s42
.LBB256_272:                            ;   in Loop: Header=BB256_12 Depth=1
	s_or_b32 exec_lo, exec_lo, s41
.LBB256_273:                            ;   in Loop: Header=BB256_12 Depth=1
	s_or_b32 exec_lo, exec_lo, s40
	global_load_dword v9, v[7:8], off offset:1024
	v_mov_b32_e32 v63, 0
	v_mov_b32_e32 v64, 0
	s_waitcnt vmcnt(0)
	v_cmp_ne_u16_sdwa s2, v9, v2 src0_sel:BYTE_0 src1_sel:DWORD
	s_and_saveexec_b32 s40, s2
	s_cbranch_execz .LBB256_281
; %bb.274:                              ;   in Loop: Header=BB256_12 Depth=1
	v_cmp_ne_u16_sdwa s2, v9, v22 src0_sel:BYTE_0 src1_sel:DWORD
	v_mov_b32_e32 v64, 0x8000
	s_and_saveexec_b32 s41, s2
	s_cbranch_execz .LBB256_280
; %bb.275:                              ;   in Loop: Header=BB256_12 Depth=1
	v_and_b32_e32 v65, 0x7f, v9
	v_mov_b32_e32 v64, 0x7c01
	s_mov_b32 s42, exec_lo
	v_cmpx_ne_u32_e32 0x7f, v65
	s_cbranch_execz .LBB256_279
; %bb.276:                              ;   in Loop: Header=BB256_12 Depth=1
	v_and_b32_e32 v1, 7, v9
	v_lshrrev_b32_e32 v64, 3, v65
	s_mov_b32 s43, exec_lo
	v_cmpx_gt_u32_e32 8, v65
; %bb.277:                              ;   in Loop: Header=BB256_12 Depth=1
	v_ffbh_u32_e32 v1, v1
	v_min_u32_e32 v1, 32, v1
	v_subrev_nc_u32_e32 v64, 28, v1
	v_lshlrev_b64 v[65:66], v64, v[9:10]
	v_sub_nc_u32_e32 v64, 29, v1
	v_and_b32_e32 v1, 7, v65
; %bb.278:                              ;   in Loop: Header=BB256_12 Depth=1
	s_or_b32 exec_lo, exec_lo, s43
	v_lshlrev_b32_e32 v65, 8, v9
	v_lshl_add_u32 v64, v64, 10, 0x2000
	v_lshlrev_b32_e32 v1, 7, v1
	v_and_b32_e32 v65, 0x8000, v65
	v_and_b32_e32 v64, 0xfc00, v64
	v_or3_b32 v64, v65, v64, v1
.LBB256_279:                            ;   in Loop: Header=BB256_12 Depth=1
	s_or_b32 exec_lo, exec_lo, s42
.LBB256_280:                            ;   in Loop: Header=BB256_12 Depth=1
	s_or_b32 exec_lo, exec_lo, s41
.LBB256_281:                            ;   in Loop: Header=BB256_12 Depth=1
	s_or_b32 exec_lo, exec_lo, s40
	v_lshrrev_b16 v1, 8, v9
	s_mov_b32 s40, exec_lo
	v_cmpx_ne_u16_e32 0, v1
	s_cbranch_execz .LBB256_289
; %bb.282:                              ;   in Loop: Header=BB256_12 Depth=1
	v_bfrev_b32_e32 v63, 1
	s_mov_b32 s41, exec_lo
	v_cmpx_ne_u16_e32 0x80, v1
	s_cbranch_execz .LBB256_288
; %bb.283:                              ;   in Loop: Header=BB256_12 Depth=1
	v_and_b32_sdwa v66, v1, v23 dst_sel:DWORD dst_unused:UNUSED_PAD src0_sel:WORD_0 src1_sel:DWORD
	v_mov_b32_e32 v63, 0x7c010000
	s_mov_b32 s42, exec_lo
	v_cmpx_ne_u32_e32 0x7f, v66
	s_cbranch_execz .LBB256_287
; %bb.284:                              ;   in Loop: Header=BB256_12 Depth=1
	v_and_b32_sdwa v63, v1, v24 dst_sel:DWORD dst_unused:UNUSED_PAD src0_sel:WORD_0 src1_sel:DWORD
	v_lshrrev_b32_e32 v65, 3, v66
	s_mov_b32 s43, exec_lo
	v_cmpx_gt_u32_e32 8, v66
; %bb.285:                              ;   in Loop: Header=BB256_12 Depth=1
	v_ffbh_u32_e32 v63, v63
	v_min_u32_e32 v63, 32, v63
	v_subrev_nc_u32_e32 v65, 28, v63
	v_lshlrev_b64 v[66:67], v65, v[1:2]
	v_sub_nc_u32_e32 v65, 29, v63
	v_and_b32_e32 v63, 7, v66
; %bb.286:                              ;   in Loop: Header=BB256_12 Depth=1
	s_or_b32 exec_lo, exec_lo, s43
	v_lshlrev_b32_sdwa v1, v25, v1 dst_sel:DWORD dst_unused:UNUSED_PAD src0_sel:DWORD src1_sel:WORD_0
	v_lshl_add_u32 v65, v65, 10, 0x2000
	v_lshlrev_b32_e32 v63, 23, v63
	v_and_or_b32 v1, 0x8000, v1, v65
	v_lshl_or_b32 v63, v1, 16, v63
.LBB256_287:                            ;   in Loop: Header=BB256_12 Depth=1
	s_or_b32 exec_lo, exec_lo, s42
.LBB256_288:                            ;   in Loop: Header=BB256_12 Depth=1
	s_or_b32 exec_lo, exec_lo, s41
.LBB256_289:                            ;   in Loop: Header=BB256_12 Depth=1
	s_or_b32 exec_lo, exec_lo, s40
	v_lshrrev_b32_e32 v1, 16, v9
	v_mov_b32_e32 v65, 0
	v_mov_b32_e32 v66, 0
	v_cmp_ne_u16_sdwa s2, v1, v2 src0_sel:BYTE_0 src1_sel:DWORD
	s_and_saveexec_b32 s40, s2
	s_cbranch_execz .LBB256_297
; %bb.290:                              ;   in Loop: Header=BB256_12 Depth=1
	v_cmp_ne_u16_sdwa s2, v1, v22 src0_sel:BYTE_0 src1_sel:DWORD
	v_mov_b32_e32 v66, 0x8000
	s_and_saveexec_b32 s41, s2
	s_cbranch_execz .LBB256_296
; %bb.291:                              ;   in Loop: Header=BB256_12 Depth=1
	v_bfe_u32 v68, v9, 16, 7
	v_mov_b32_e32 v66, 0x7c01
	s_mov_b32 s42, exec_lo
	v_cmpx_ne_u32_e32 0x7f, v68
	s_cbranch_execz .LBB256_295
; %bb.292:                              ;   in Loop: Header=BB256_12 Depth=1
	v_and_b32_e32 v66, 7, v1
	v_lshrrev_b32_e32 v67, 3, v68
	s_mov_b32 s43, exec_lo
	v_cmpx_gt_u32_e32 8, v68
; %bb.293:                              ;   in Loop: Header=BB256_12 Depth=1
	v_ffbh_u32_e32 v66, v66
	v_min_u32_e32 v68, 32, v66
	v_subrev_nc_u32_e32 v66, 28, v68
	v_lshlrev_b64 v[66:67], v66, v[1:2]
	v_sub_nc_u32_e32 v67, 29, v68
	v_and_b32_e32 v66, 7, v66
; %bb.294:                              ;   in Loop: Header=BB256_12 Depth=1
	s_or_b32 exec_lo, exec_lo, s43
	v_lshlrev_b32_e32 v1, 8, v1
	v_lshl_add_u32 v67, v67, 10, 0x2000
	v_lshlrev_b32_e32 v66, 7, v66
	v_and_b32_e32 v1, 0x8000, v1
	v_and_b32_e32 v67, 0xfc00, v67
	v_or3_b32 v66, v1, v67, v66
.LBB256_295:                            ;   in Loop: Header=BB256_12 Depth=1
	s_or_b32 exec_lo, exec_lo, s42
.LBB256_296:                            ;   in Loop: Header=BB256_12 Depth=1
	s_or_b32 exec_lo, exec_lo, s41
.LBB256_297:                            ;   in Loop: Header=BB256_12 Depth=1
	s_or_b32 exec_lo, exec_lo, s40
	s_mov_b32 s40, exec_lo
	v_cmpx_lt_u32_e32 0xffffff, v9
	s_cbranch_execz .LBB256_305
; %bb.298:                              ;   in Loop: Header=BB256_12 Depth=1
	v_lshrrev_b32_e32 v1, 24, v9
	v_bfrev_b32_e32 v65, 1
	s_mov_b32 s41, exec_lo
	v_cmpx_ne_u32_e32 0x80, v1
	s_cbranch_execz .LBB256_304
; %bb.299:                              ;   in Loop: Header=BB256_12 Depth=1
	v_and_b32_e32 v67, 0x7f, v1
	v_mov_b32_e32 v65, 0x7c010000
	s_mov_b32 s42, exec_lo
	v_cmpx_ne_u32_e32 0x7f, v67
	s_cbranch_execz .LBB256_303
; %bb.300:                              ;   in Loop: Header=BB256_12 Depth=1
	v_and_b32_e32 v9, 7, v1
	v_lshrrev_b32_e32 v65, 3, v67
	s_mov_b32 s43, exec_lo
	v_cmpx_gt_u32_e32 8, v67
; %bb.301:                              ;   in Loop: Header=BB256_12 Depth=1
	v_ffbh_u32_e32 v9, v9
	v_min_u32_e32 v9, 32, v9
	v_subrev_nc_u32_e32 v65, 28, v9
	v_lshlrev_b64 v[67:68], v65, v[1:2]
	v_sub_nc_u32_e32 v65, 29, v9
	v_and_b32_e32 v9, 7, v67
; %bb.302:                              ;   in Loop: Header=BB256_12 Depth=1
	s_or_b32 exec_lo, exec_lo, s43
	v_lshlrev_b32_e32 v1, 8, v1
	v_lshl_add_u32 v65, v65, 10, 0x2000
	v_lshlrev_b32_e32 v9, 23, v9
	v_and_or_b32 v1, 0x8000, v1, v65
	v_lshl_or_b32 v65, v1, 16, v9
.LBB256_303:                            ;   in Loop: Header=BB256_12 Depth=1
	s_or_b32 exec_lo, exec_lo, s42
.LBB256_304:                            ;   in Loop: Header=BB256_12 Depth=1
	s_or_b32 exec_lo, exec_lo, s41
.LBB256_305:                            ;   in Loop: Header=BB256_12 Depth=1
	s_or_b32 exec_lo, exec_lo, s40
	global_load_dword v9, v[7:8], off offset:1032
	v_mov_b32_e32 v67, 0
	v_mov_b32_e32 v68, 0
	s_waitcnt vmcnt(0)
	v_cmp_ne_u16_sdwa s2, v9, v2 src0_sel:BYTE_0 src1_sel:DWORD
	s_and_saveexec_b32 s40, s2
	s_cbranch_execz .LBB256_313
; %bb.306:                              ;   in Loop: Header=BB256_12 Depth=1
	v_cmp_ne_u16_sdwa s2, v9, v22 src0_sel:BYTE_0 src1_sel:DWORD
	v_mov_b32_e32 v68, 0x8000
	s_and_saveexec_b32 s41, s2
	s_cbranch_execz .LBB256_312
; %bb.307:                              ;   in Loop: Header=BB256_12 Depth=1
	v_and_b32_e32 v69, 0x7f, v9
	v_mov_b32_e32 v68, 0x7c01
	s_mov_b32 s42, exec_lo
	v_cmpx_ne_u32_e32 0x7f, v69
	s_cbranch_execz .LBB256_311
; %bb.308:                              ;   in Loop: Header=BB256_12 Depth=1
	v_and_b32_e32 v1, 7, v9
	v_lshrrev_b32_e32 v68, 3, v69
	s_mov_b32 s43, exec_lo
	v_cmpx_gt_u32_e32 8, v69
; %bb.309:                              ;   in Loop: Header=BB256_12 Depth=1
	v_ffbh_u32_e32 v1, v1
	v_min_u32_e32 v1, 32, v1
	v_subrev_nc_u32_e32 v68, 28, v1
	v_lshlrev_b64 v[69:70], v68, v[9:10]
	v_sub_nc_u32_e32 v68, 29, v1
	v_and_b32_e32 v1, 7, v69
; %bb.310:                              ;   in Loop: Header=BB256_12 Depth=1
	s_or_b32 exec_lo, exec_lo, s43
	v_lshlrev_b32_e32 v69, 8, v9
	v_lshl_add_u32 v68, v68, 10, 0x2000
	v_lshlrev_b32_e32 v1, 7, v1
	v_and_b32_e32 v69, 0x8000, v69
	v_and_b32_e32 v68, 0xfc00, v68
	v_or3_b32 v68, v69, v68, v1
.LBB256_311:                            ;   in Loop: Header=BB256_12 Depth=1
	s_or_b32 exec_lo, exec_lo, s42
.LBB256_312:                            ;   in Loop: Header=BB256_12 Depth=1
	s_or_b32 exec_lo, exec_lo, s41
.LBB256_313:                            ;   in Loop: Header=BB256_12 Depth=1
	s_or_b32 exec_lo, exec_lo, s40
	v_lshrrev_b16 v1, 8, v9
	s_mov_b32 s40, exec_lo
	v_cmpx_ne_u16_e32 0, v1
	s_cbranch_execz .LBB256_321
; %bb.314:                              ;   in Loop: Header=BB256_12 Depth=1
	v_bfrev_b32_e32 v67, 1
	s_mov_b32 s41, exec_lo
	v_cmpx_ne_u16_e32 0x80, v1
	s_cbranch_execz .LBB256_320
; %bb.315:                              ;   in Loop: Header=BB256_12 Depth=1
	v_and_b32_sdwa v70, v1, v23 dst_sel:DWORD dst_unused:UNUSED_PAD src0_sel:WORD_0 src1_sel:DWORD
	v_mov_b32_e32 v67, 0x7c010000
	s_mov_b32 s42, exec_lo
	v_cmpx_ne_u32_e32 0x7f, v70
	s_cbranch_execz .LBB256_319
; %bb.316:                              ;   in Loop: Header=BB256_12 Depth=1
	v_and_b32_sdwa v67, v1, v24 dst_sel:DWORD dst_unused:UNUSED_PAD src0_sel:WORD_0 src1_sel:DWORD
	v_lshrrev_b32_e32 v69, 3, v70
	s_mov_b32 s43, exec_lo
	v_cmpx_gt_u32_e32 8, v70
; %bb.317:                              ;   in Loop: Header=BB256_12 Depth=1
	v_ffbh_u32_e32 v67, v67
	v_min_u32_e32 v67, 32, v67
	v_subrev_nc_u32_e32 v69, 28, v67
	v_lshlrev_b64 v[70:71], v69, v[1:2]
	v_sub_nc_u32_e32 v69, 29, v67
	v_and_b32_e32 v67, 7, v70
; %bb.318:                              ;   in Loop: Header=BB256_12 Depth=1
	s_or_b32 exec_lo, exec_lo, s43
	v_lshlrev_b32_sdwa v1, v25, v1 dst_sel:DWORD dst_unused:UNUSED_PAD src0_sel:DWORD src1_sel:WORD_0
	v_lshl_add_u32 v69, v69, 10, 0x2000
	v_lshlrev_b32_e32 v67, 23, v67
	v_and_or_b32 v1, 0x8000, v1, v69
	v_lshl_or_b32 v67, v1, 16, v67
.LBB256_319:                            ;   in Loop: Header=BB256_12 Depth=1
	s_or_b32 exec_lo, exec_lo, s42
.LBB256_320:                            ;   in Loop: Header=BB256_12 Depth=1
	s_or_b32 exec_lo, exec_lo, s41
.LBB256_321:                            ;   in Loop: Header=BB256_12 Depth=1
	s_or_b32 exec_lo, exec_lo, s40
	v_lshrrev_b32_e32 v1, 16, v9
	v_mov_b32_e32 v69, 0
	v_mov_b32_e32 v70, 0
	v_cmp_ne_u16_sdwa s2, v1, v2 src0_sel:BYTE_0 src1_sel:DWORD
	s_and_saveexec_b32 s40, s2
	s_cbranch_execz .LBB256_329
; %bb.322:                              ;   in Loop: Header=BB256_12 Depth=1
	v_cmp_ne_u16_sdwa s2, v1, v22 src0_sel:BYTE_0 src1_sel:DWORD
	v_mov_b32_e32 v70, 0x8000
	s_and_saveexec_b32 s41, s2
	s_cbranch_execz .LBB256_328
; %bb.323:                              ;   in Loop: Header=BB256_12 Depth=1
	v_bfe_u32 v72, v9, 16, 7
	v_mov_b32_e32 v70, 0x7c01
	s_mov_b32 s42, exec_lo
	v_cmpx_ne_u32_e32 0x7f, v72
	s_cbranch_execz .LBB256_327
; %bb.324:                              ;   in Loop: Header=BB256_12 Depth=1
	v_and_b32_e32 v70, 7, v1
	v_lshrrev_b32_e32 v71, 3, v72
	s_mov_b32 s43, exec_lo
	v_cmpx_gt_u32_e32 8, v72
; %bb.325:                              ;   in Loop: Header=BB256_12 Depth=1
	v_ffbh_u32_e32 v70, v70
	v_min_u32_e32 v72, 32, v70
	v_subrev_nc_u32_e32 v70, 28, v72
	v_lshlrev_b64 v[70:71], v70, v[1:2]
	v_sub_nc_u32_e32 v71, 29, v72
	v_and_b32_e32 v70, 7, v70
; %bb.326:                              ;   in Loop: Header=BB256_12 Depth=1
	s_or_b32 exec_lo, exec_lo, s43
	v_lshlrev_b32_e32 v1, 8, v1
	v_lshl_add_u32 v71, v71, 10, 0x2000
	v_lshlrev_b32_e32 v70, 7, v70
	v_and_b32_e32 v1, 0x8000, v1
	v_and_b32_e32 v71, 0xfc00, v71
	v_or3_b32 v70, v1, v71, v70
.LBB256_327:                            ;   in Loop: Header=BB256_12 Depth=1
	s_or_b32 exec_lo, exec_lo, s42
.LBB256_328:                            ;   in Loop: Header=BB256_12 Depth=1
	s_or_b32 exec_lo, exec_lo, s41
.LBB256_329:                            ;   in Loop: Header=BB256_12 Depth=1
	s_or_b32 exec_lo, exec_lo, s40
	s_mov_b32 s40, exec_lo
	v_cmpx_lt_u32_e32 0xffffff, v9
	s_cbranch_execz .LBB256_337
; %bb.330:                              ;   in Loop: Header=BB256_12 Depth=1
	v_lshrrev_b32_e32 v1, 24, v9
	v_bfrev_b32_e32 v69, 1
	s_mov_b32 s41, exec_lo
	v_cmpx_ne_u32_e32 0x80, v1
	s_cbranch_execz .LBB256_336
; %bb.331:                              ;   in Loop: Header=BB256_12 Depth=1
	v_and_b32_e32 v71, 0x7f, v1
	v_mov_b32_e32 v69, 0x7c010000
	s_mov_b32 s42, exec_lo
	v_cmpx_ne_u32_e32 0x7f, v71
	s_cbranch_execz .LBB256_335
; %bb.332:                              ;   in Loop: Header=BB256_12 Depth=1
	v_and_b32_e32 v9, 7, v1
	v_lshrrev_b32_e32 v69, 3, v71
	s_mov_b32 s43, exec_lo
	v_cmpx_gt_u32_e32 8, v71
; %bb.333:                              ;   in Loop: Header=BB256_12 Depth=1
	v_ffbh_u32_e32 v9, v9
	v_min_u32_e32 v9, 32, v9
	v_subrev_nc_u32_e32 v69, 28, v9
	v_lshlrev_b64 v[71:72], v69, v[1:2]
	v_sub_nc_u32_e32 v69, 29, v9
	v_and_b32_e32 v9, 7, v71
; %bb.334:                              ;   in Loop: Header=BB256_12 Depth=1
	s_or_b32 exec_lo, exec_lo, s43
	v_lshlrev_b32_e32 v1, 8, v1
	v_lshl_add_u32 v69, v69, 10, 0x2000
	v_lshlrev_b32_e32 v9, 23, v9
	v_and_or_b32 v1, 0x8000, v1, v69
	v_lshl_or_b32 v69, v1, 16, v9
.LBB256_335:                            ;   in Loop: Header=BB256_12 Depth=1
	s_or_b32 exec_lo, exec_lo, s42
.LBB256_336:                            ;   in Loop: Header=BB256_12 Depth=1
	s_or_b32 exec_lo, exec_lo, s41
.LBB256_337:                            ;   in Loop: Header=BB256_12 Depth=1
	s_or_b32 exec_lo, exec_lo, s40
	global_load_dword v9, v[7:8], off offset:1280
	v_mov_b32_e32 v71, 0
	v_mov_b32_e32 v72, 0
	s_waitcnt vmcnt(0)
	v_cmp_ne_u16_sdwa s2, v9, v2 src0_sel:BYTE_0 src1_sel:DWORD
	s_and_saveexec_b32 s40, s2
	s_cbranch_execz .LBB256_345
; %bb.338:                              ;   in Loop: Header=BB256_12 Depth=1
	v_cmp_ne_u16_sdwa s2, v9, v22 src0_sel:BYTE_0 src1_sel:DWORD
	v_mov_b32_e32 v72, 0x8000
	s_and_saveexec_b32 s41, s2
	s_cbranch_execz .LBB256_344
; %bb.339:                              ;   in Loop: Header=BB256_12 Depth=1
	v_and_b32_e32 v73, 0x7f, v9
	v_mov_b32_e32 v72, 0x7c01
	s_mov_b32 s42, exec_lo
	v_cmpx_ne_u32_e32 0x7f, v73
	s_cbranch_execz .LBB256_343
; %bb.340:                              ;   in Loop: Header=BB256_12 Depth=1
	v_and_b32_e32 v1, 7, v9
	v_lshrrev_b32_e32 v72, 3, v73
	s_mov_b32 s43, exec_lo
	v_cmpx_gt_u32_e32 8, v73
; %bb.341:                              ;   in Loop: Header=BB256_12 Depth=1
	v_ffbh_u32_e32 v1, v1
	v_min_u32_e32 v1, 32, v1
	v_subrev_nc_u32_e32 v72, 28, v1
	v_lshlrev_b64 v[73:74], v72, v[9:10]
	v_sub_nc_u32_e32 v72, 29, v1
	v_and_b32_e32 v1, 7, v73
; %bb.342:                              ;   in Loop: Header=BB256_12 Depth=1
	s_or_b32 exec_lo, exec_lo, s43
	v_lshlrev_b32_e32 v73, 8, v9
	v_lshl_add_u32 v72, v72, 10, 0x2000
	v_lshlrev_b32_e32 v1, 7, v1
	v_and_b32_e32 v73, 0x8000, v73
	v_and_b32_e32 v72, 0xfc00, v72
	v_or3_b32 v72, v73, v72, v1
.LBB256_343:                            ;   in Loop: Header=BB256_12 Depth=1
	s_or_b32 exec_lo, exec_lo, s42
.LBB256_344:                            ;   in Loop: Header=BB256_12 Depth=1
	s_or_b32 exec_lo, exec_lo, s41
.LBB256_345:                            ;   in Loop: Header=BB256_12 Depth=1
	s_or_b32 exec_lo, exec_lo, s40
	v_lshrrev_b16 v1, 8, v9
	s_mov_b32 s40, exec_lo
	v_cmpx_ne_u16_e32 0, v1
	s_cbranch_execz .LBB256_353
; %bb.346:                              ;   in Loop: Header=BB256_12 Depth=1
	v_bfrev_b32_e32 v71, 1
	s_mov_b32 s41, exec_lo
	v_cmpx_ne_u16_e32 0x80, v1
	s_cbranch_execz .LBB256_352
; %bb.347:                              ;   in Loop: Header=BB256_12 Depth=1
	v_and_b32_sdwa v74, v1, v23 dst_sel:DWORD dst_unused:UNUSED_PAD src0_sel:WORD_0 src1_sel:DWORD
	v_mov_b32_e32 v71, 0x7c010000
	s_mov_b32 s42, exec_lo
	v_cmpx_ne_u32_e32 0x7f, v74
	s_cbranch_execz .LBB256_351
; %bb.348:                              ;   in Loop: Header=BB256_12 Depth=1
	v_and_b32_sdwa v71, v1, v24 dst_sel:DWORD dst_unused:UNUSED_PAD src0_sel:WORD_0 src1_sel:DWORD
	v_lshrrev_b32_e32 v73, 3, v74
	s_mov_b32 s43, exec_lo
	v_cmpx_gt_u32_e32 8, v74
; %bb.349:                              ;   in Loop: Header=BB256_12 Depth=1
	v_ffbh_u32_e32 v71, v71
	v_min_u32_e32 v71, 32, v71
	v_subrev_nc_u32_e32 v73, 28, v71
	v_lshlrev_b64 v[74:75], v73, v[1:2]
	v_sub_nc_u32_e32 v73, 29, v71
	v_and_b32_e32 v71, 7, v74
; %bb.350:                              ;   in Loop: Header=BB256_12 Depth=1
	s_or_b32 exec_lo, exec_lo, s43
	v_lshlrev_b32_sdwa v1, v25, v1 dst_sel:DWORD dst_unused:UNUSED_PAD src0_sel:DWORD src1_sel:WORD_0
	v_lshl_add_u32 v73, v73, 10, 0x2000
	v_lshlrev_b32_e32 v71, 23, v71
	v_and_or_b32 v1, 0x8000, v1, v73
	v_lshl_or_b32 v71, v1, 16, v71
.LBB256_351:                            ;   in Loop: Header=BB256_12 Depth=1
	s_or_b32 exec_lo, exec_lo, s42
.LBB256_352:                            ;   in Loop: Header=BB256_12 Depth=1
	s_or_b32 exec_lo, exec_lo, s41
.LBB256_353:                            ;   in Loop: Header=BB256_12 Depth=1
	s_or_b32 exec_lo, exec_lo, s40
	v_lshrrev_b32_e32 v1, 16, v9
	v_mov_b32_e32 v73, 0
	v_mov_b32_e32 v74, 0
	v_cmp_ne_u16_sdwa s2, v1, v2 src0_sel:BYTE_0 src1_sel:DWORD
	s_and_saveexec_b32 s40, s2
	s_cbranch_execz .LBB256_361
; %bb.354:                              ;   in Loop: Header=BB256_12 Depth=1
	v_cmp_ne_u16_sdwa s2, v1, v22 src0_sel:BYTE_0 src1_sel:DWORD
	v_mov_b32_e32 v74, 0x8000
	s_and_saveexec_b32 s41, s2
	s_cbranch_execz .LBB256_360
; %bb.355:                              ;   in Loop: Header=BB256_12 Depth=1
	v_bfe_u32 v76, v9, 16, 7
	v_mov_b32_e32 v74, 0x7c01
	s_mov_b32 s42, exec_lo
	v_cmpx_ne_u32_e32 0x7f, v76
	s_cbranch_execz .LBB256_359
; %bb.356:                              ;   in Loop: Header=BB256_12 Depth=1
	v_and_b32_e32 v74, 7, v1
	v_lshrrev_b32_e32 v75, 3, v76
	s_mov_b32 s43, exec_lo
	v_cmpx_gt_u32_e32 8, v76
; %bb.357:                              ;   in Loop: Header=BB256_12 Depth=1
	v_ffbh_u32_e32 v74, v74
	v_min_u32_e32 v76, 32, v74
	v_subrev_nc_u32_e32 v74, 28, v76
	v_lshlrev_b64 v[74:75], v74, v[1:2]
	v_sub_nc_u32_e32 v75, 29, v76
	v_and_b32_e32 v74, 7, v74
; %bb.358:                              ;   in Loop: Header=BB256_12 Depth=1
	s_or_b32 exec_lo, exec_lo, s43
	v_lshlrev_b32_e32 v1, 8, v1
	v_lshl_add_u32 v75, v75, 10, 0x2000
	v_lshlrev_b32_e32 v74, 7, v74
	v_and_b32_e32 v1, 0x8000, v1
	v_and_b32_e32 v75, 0xfc00, v75
	v_or3_b32 v74, v1, v75, v74
.LBB256_359:                            ;   in Loop: Header=BB256_12 Depth=1
	s_or_b32 exec_lo, exec_lo, s42
.LBB256_360:                            ;   in Loop: Header=BB256_12 Depth=1
	s_or_b32 exec_lo, exec_lo, s41
.LBB256_361:                            ;   in Loop: Header=BB256_12 Depth=1
	s_or_b32 exec_lo, exec_lo, s40
	s_mov_b32 s40, exec_lo
	v_cmpx_lt_u32_e32 0xffffff, v9
	s_cbranch_execz .LBB256_369
; %bb.362:                              ;   in Loop: Header=BB256_12 Depth=1
	v_lshrrev_b32_e32 v1, 24, v9
	v_bfrev_b32_e32 v73, 1
	s_mov_b32 s41, exec_lo
	v_cmpx_ne_u32_e32 0x80, v1
	s_cbranch_execz .LBB256_368
; %bb.363:                              ;   in Loop: Header=BB256_12 Depth=1
	v_and_b32_e32 v75, 0x7f, v1
	v_mov_b32_e32 v73, 0x7c010000
	s_mov_b32 s42, exec_lo
	v_cmpx_ne_u32_e32 0x7f, v75
	s_cbranch_execz .LBB256_367
; %bb.364:                              ;   in Loop: Header=BB256_12 Depth=1
	v_and_b32_e32 v9, 7, v1
	v_lshrrev_b32_e32 v73, 3, v75
	s_mov_b32 s43, exec_lo
	v_cmpx_gt_u32_e32 8, v75
; %bb.365:                              ;   in Loop: Header=BB256_12 Depth=1
	v_ffbh_u32_e32 v9, v9
	v_min_u32_e32 v9, 32, v9
	v_subrev_nc_u32_e32 v73, 28, v9
	v_lshlrev_b64 v[75:76], v73, v[1:2]
	v_sub_nc_u32_e32 v73, 29, v9
	v_and_b32_e32 v9, 7, v75
; %bb.366:                              ;   in Loop: Header=BB256_12 Depth=1
	s_or_b32 exec_lo, exec_lo, s43
	v_lshlrev_b32_e32 v1, 8, v1
	v_lshl_add_u32 v73, v73, 10, 0x2000
	v_lshlrev_b32_e32 v9, 23, v9
	v_and_or_b32 v1, 0x8000, v1, v73
	v_lshl_or_b32 v73, v1, 16, v9
.LBB256_367:                            ;   in Loop: Header=BB256_12 Depth=1
	s_or_b32 exec_lo, exec_lo, s42
.LBB256_368:                            ;   in Loop: Header=BB256_12 Depth=1
	s_or_b32 exec_lo, exec_lo, s41
.LBB256_369:                            ;   in Loop: Header=BB256_12 Depth=1
	s_or_b32 exec_lo, exec_lo, s40
	global_load_dword v9, v[7:8], off offset:1288
	v_mov_b32_e32 v75, 0
	v_mov_b32_e32 v76, 0
	s_waitcnt vmcnt(0)
	v_cmp_ne_u16_sdwa s2, v9, v2 src0_sel:BYTE_0 src1_sel:DWORD
	s_and_saveexec_b32 s40, s2
	s_cbranch_execz .LBB256_377
; %bb.370:                              ;   in Loop: Header=BB256_12 Depth=1
	v_cmp_ne_u16_sdwa s2, v9, v22 src0_sel:BYTE_0 src1_sel:DWORD
	v_mov_b32_e32 v76, 0x8000
	s_and_saveexec_b32 s41, s2
	s_cbranch_execz .LBB256_376
; %bb.371:                              ;   in Loop: Header=BB256_12 Depth=1
	v_and_b32_e32 v77, 0x7f, v9
	v_mov_b32_e32 v76, 0x7c01
	s_mov_b32 s42, exec_lo
	v_cmpx_ne_u32_e32 0x7f, v77
	s_cbranch_execz .LBB256_375
; %bb.372:                              ;   in Loop: Header=BB256_12 Depth=1
	v_and_b32_e32 v1, 7, v9
	v_lshrrev_b32_e32 v76, 3, v77
	s_mov_b32 s43, exec_lo
	v_cmpx_gt_u32_e32 8, v77
; %bb.373:                              ;   in Loop: Header=BB256_12 Depth=1
	v_ffbh_u32_e32 v1, v1
	v_min_u32_e32 v1, 32, v1
	v_subrev_nc_u32_e32 v76, 28, v1
	v_lshlrev_b64 v[77:78], v76, v[9:10]
	v_sub_nc_u32_e32 v76, 29, v1
	v_and_b32_e32 v1, 7, v77
; %bb.374:                              ;   in Loop: Header=BB256_12 Depth=1
	s_or_b32 exec_lo, exec_lo, s43
	v_lshlrev_b32_e32 v77, 8, v9
	v_lshl_add_u32 v76, v76, 10, 0x2000
	v_lshlrev_b32_e32 v1, 7, v1
	v_and_b32_e32 v77, 0x8000, v77
	v_and_b32_e32 v76, 0xfc00, v76
	v_or3_b32 v76, v77, v76, v1
.LBB256_375:                            ;   in Loop: Header=BB256_12 Depth=1
	s_or_b32 exec_lo, exec_lo, s42
.LBB256_376:                            ;   in Loop: Header=BB256_12 Depth=1
	s_or_b32 exec_lo, exec_lo, s41
.LBB256_377:                            ;   in Loop: Header=BB256_12 Depth=1
	s_or_b32 exec_lo, exec_lo, s40
	v_lshrrev_b16 v1, 8, v9
	s_mov_b32 s40, exec_lo
	v_cmpx_ne_u16_e32 0, v1
	s_cbranch_execz .LBB256_385
; %bb.378:                              ;   in Loop: Header=BB256_12 Depth=1
	v_bfrev_b32_e32 v75, 1
	s_mov_b32 s41, exec_lo
	v_cmpx_ne_u16_e32 0x80, v1
	s_cbranch_execz .LBB256_384
; %bb.379:                              ;   in Loop: Header=BB256_12 Depth=1
	v_and_b32_sdwa v78, v1, v23 dst_sel:DWORD dst_unused:UNUSED_PAD src0_sel:WORD_0 src1_sel:DWORD
	v_mov_b32_e32 v75, 0x7c010000
	s_mov_b32 s42, exec_lo
	v_cmpx_ne_u32_e32 0x7f, v78
	s_cbranch_execz .LBB256_383
; %bb.380:                              ;   in Loop: Header=BB256_12 Depth=1
	v_and_b32_sdwa v75, v1, v24 dst_sel:DWORD dst_unused:UNUSED_PAD src0_sel:WORD_0 src1_sel:DWORD
	v_lshrrev_b32_e32 v77, 3, v78
	s_mov_b32 s43, exec_lo
	v_cmpx_gt_u32_e32 8, v78
; %bb.381:                              ;   in Loop: Header=BB256_12 Depth=1
	v_ffbh_u32_e32 v75, v75
	v_min_u32_e32 v75, 32, v75
	v_subrev_nc_u32_e32 v77, 28, v75
	v_lshlrev_b64 v[78:79], v77, v[1:2]
	v_sub_nc_u32_e32 v77, 29, v75
	v_and_b32_e32 v75, 7, v78
; %bb.382:                              ;   in Loop: Header=BB256_12 Depth=1
	s_or_b32 exec_lo, exec_lo, s43
	v_lshlrev_b32_sdwa v1, v25, v1 dst_sel:DWORD dst_unused:UNUSED_PAD src0_sel:DWORD src1_sel:WORD_0
	v_lshl_add_u32 v77, v77, 10, 0x2000
	v_lshlrev_b32_e32 v75, 23, v75
	v_and_or_b32 v1, 0x8000, v1, v77
	v_lshl_or_b32 v75, v1, 16, v75
.LBB256_383:                            ;   in Loop: Header=BB256_12 Depth=1
	s_or_b32 exec_lo, exec_lo, s42
.LBB256_384:                            ;   in Loop: Header=BB256_12 Depth=1
	s_or_b32 exec_lo, exec_lo, s41
.LBB256_385:                            ;   in Loop: Header=BB256_12 Depth=1
	s_or_b32 exec_lo, exec_lo, s40
	v_lshrrev_b32_e32 v1, 16, v9
	v_mov_b32_e32 v77, 0
	v_mov_b32_e32 v78, 0
	v_cmp_ne_u16_sdwa s2, v1, v2 src0_sel:BYTE_0 src1_sel:DWORD
	s_and_saveexec_b32 s40, s2
	s_cbranch_execz .LBB256_393
; %bb.386:                              ;   in Loop: Header=BB256_12 Depth=1
	v_cmp_ne_u16_sdwa s2, v1, v22 src0_sel:BYTE_0 src1_sel:DWORD
	v_mov_b32_e32 v78, 0x8000
	s_and_saveexec_b32 s41, s2
	s_cbranch_execz .LBB256_392
; %bb.387:                              ;   in Loop: Header=BB256_12 Depth=1
	v_bfe_u32 v80, v9, 16, 7
	v_mov_b32_e32 v78, 0x7c01
	s_mov_b32 s42, exec_lo
	v_cmpx_ne_u32_e32 0x7f, v80
	s_cbranch_execz .LBB256_391
; %bb.388:                              ;   in Loop: Header=BB256_12 Depth=1
	v_and_b32_e32 v78, 7, v1
	v_lshrrev_b32_e32 v79, 3, v80
	s_mov_b32 s43, exec_lo
	v_cmpx_gt_u32_e32 8, v80
; %bb.389:                              ;   in Loop: Header=BB256_12 Depth=1
	v_ffbh_u32_e32 v78, v78
	v_min_u32_e32 v80, 32, v78
	v_subrev_nc_u32_e32 v78, 28, v80
	v_lshlrev_b64 v[78:79], v78, v[1:2]
	v_sub_nc_u32_e32 v79, 29, v80
	v_and_b32_e32 v78, 7, v78
; %bb.390:                              ;   in Loop: Header=BB256_12 Depth=1
	s_or_b32 exec_lo, exec_lo, s43
	v_lshlrev_b32_e32 v1, 8, v1
	v_lshl_add_u32 v79, v79, 10, 0x2000
	v_lshlrev_b32_e32 v78, 7, v78
	v_and_b32_e32 v1, 0x8000, v1
	v_and_b32_e32 v79, 0xfc00, v79
	v_or3_b32 v78, v1, v79, v78
.LBB256_391:                            ;   in Loop: Header=BB256_12 Depth=1
	s_or_b32 exec_lo, exec_lo, s42
.LBB256_392:                            ;   in Loop: Header=BB256_12 Depth=1
	s_or_b32 exec_lo, exec_lo, s41
.LBB256_393:                            ;   in Loop: Header=BB256_12 Depth=1
	s_or_b32 exec_lo, exec_lo, s40
	s_mov_b32 s40, exec_lo
	v_cmpx_lt_u32_e32 0xffffff, v9
	s_cbranch_execz .LBB256_401
; %bb.394:                              ;   in Loop: Header=BB256_12 Depth=1
	v_lshrrev_b32_e32 v1, 24, v9
	v_bfrev_b32_e32 v77, 1
	s_mov_b32 s41, exec_lo
	v_cmpx_ne_u32_e32 0x80, v1
	s_cbranch_execz .LBB256_400
; %bb.395:                              ;   in Loop: Header=BB256_12 Depth=1
	v_and_b32_e32 v79, 0x7f, v1
	v_mov_b32_e32 v77, 0x7c010000
	s_mov_b32 s42, exec_lo
	v_cmpx_ne_u32_e32 0x7f, v79
	s_cbranch_execz .LBB256_399
; %bb.396:                              ;   in Loop: Header=BB256_12 Depth=1
	v_and_b32_e32 v9, 7, v1
	v_lshrrev_b32_e32 v77, 3, v79
	s_mov_b32 s43, exec_lo
	v_cmpx_gt_u32_e32 8, v79
; %bb.397:                              ;   in Loop: Header=BB256_12 Depth=1
	v_ffbh_u32_e32 v9, v9
	v_min_u32_e32 v9, 32, v9
	v_subrev_nc_u32_e32 v77, 28, v9
	v_lshlrev_b64 v[79:80], v77, v[1:2]
	v_sub_nc_u32_e32 v77, 29, v9
	v_and_b32_e32 v9, 7, v79
; %bb.398:                              ;   in Loop: Header=BB256_12 Depth=1
	s_or_b32 exec_lo, exec_lo, s43
	v_lshlrev_b32_e32 v1, 8, v1
	v_lshl_add_u32 v77, v77, 10, 0x2000
	v_lshlrev_b32_e32 v9, 23, v9
	v_and_or_b32 v1, 0x8000, v1, v77
	v_lshl_or_b32 v77, v1, 16, v9
.LBB256_399:                            ;   in Loop: Header=BB256_12 Depth=1
	s_or_b32 exec_lo, exec_lo, s42
.LBB256_400:                            ;   in Loop: Header=BB256_12 Depth=1
	s_or_b32 exec_lo, exec_lo, s41
.LBB256_401:                            ;   in Loop: Header=BB256_12 Depth=1
	s_or_b32 exec_lo, exec_lo, s40
	global_load_dword v9, v[7:8], off offset:1536
	v_mov_b32_e32 v79, 0
	v_mov_b32_e32 v80, 0
	s_waitcnt vmcnt(0)
	v_cmp_ne_u16_sdwa s2, v9, v2 src0_sel:BYTE_0 src1_sel:DWORD
	s_and_saveexec_b32 s40, s2
	s_cbranch_execz .LBB256_409
; %bb.402:                              ;   in Loop: Header=BB256_12 Depth=1
	v_cmp_ne_u16_sdwa s2, v9, v22 src0_sel:BYTE_0 src1_sel:DWORD
	v_mov_b32_e32 v80, 0x8000
	s_and_saveexec_b32 s41, s2
	s_cbranch_execz .LBB256_408
; %bb.403:                              ;   in Loop: Header=BB256_12 Depth=1
	v_and_b32_e32 v81, 0x7f, v9
	v_mov_b32_e32 v80, 0x7c01
	s_mov_b32 s42, exec_lo
	v_cmpx_ne_u32_e32 0x7f, v81
	s_cbranch_execz .LBB256_407
; %bb.404:                              ;   in Loop: Header=BB256_12 Depth=1
	v_and_b32_e32 v1, 7, v9
	v_lshrrev_b32_e32 v80, 3, v81
	s_mov_b32 s43, exec_lo
	v_cmpx_gt_u32_e32 8, v81
; %bb.405:                              ;   in Loop: Header=BB256_12 Depth=1
	v_ffbh_u32_e32 v1, v1
	v_min_u32_e32 v1, 32, v1
	v_subrev_nc_u32_e32 v80, 28, v1
	v_lshlrev_b64 v[81:82], v80, v[9:10]
	v_sub_nc_u32_e32 v80, 29, v1
	v_and_b32_e32 v1, 7, v81
; %bb.406:                              ;   in Loop: Header=BB256_12 Depth=1
	s_or_b32 exec_lo, exec_lo, s43
	v_lshlrev_b32_e32 v81, 8, v9
	v_lshl_add_u32 v80, v80, 10, 0x2000
	v_lshlrev_b32_e32 v1, 7, v1
	v_and_b32_e32 v81, 0x8000, v81
	v_and_b32_e32 v80, 0xfc00, v80
	v_or3_b32 v80, v81, v80, v1
.LBB256_407:                            ;   in Loop: Header=BB256_12 Depth=1
	s_or_b32 exec_lo, exec_lo, s42
.LBB256_408:                            ;   in Loop: Header=BB256_12 Depth=1
	s_or_b32 exec_lo, exec_lo, s41
.LBB256_409:                            ;   in Loop: Header=BB256_12 Depth=1
	s_or_b32 exec_lo, exec_lo, s40
	v_lshrrev_b16 v1, 8, v9
	s_mov_b32 s40, exec_lo
	v_cmpx_ne_u16_e32 0, v1
	s_cbranch_execz .LBB256_417
; %bb.410:                              ;   in Loop: Header=BB256_12 Depth=1
	v_bfrev_b32_e32 v79, 1
	s_mov_b32 s41, exec_lo
	v_cmpx_ne_u16_e32 0x80, v1
	s_cbranch_execz .LBB256_416
; %bb.411:                              ;   in Loop: Header=BB256_12 Depth=1
	v_and_b32_sdwa v82, v1, v23 dst_sel:DWORD dst_unused:UNUSED_PAD src0_sel:WORD_0 src1_sel:DWORD
	v_mov_b32_e32 v79, 0x7c010000
	s_mov_b32 s42, exec_lo
	v_cmpx_ne_u32_e32 0x7f, v82
	s_cbranch_execz .LBB256_415
; %bb.412:                              ;   in Loop: Header=BB256_12 Depth=1
	v_and_b32_sdwa v79, v1, v24 dst_sel:DWORD dst_unused:UNUSED_PAD src0_sel:WORD_0 src1_sel:DWORD
	v_lshrrev_b32_e32 v81, 3, v82
	s_mov_b32 s43, exec_lo
	v_cmpx_gt_u32_e32 8, v82
; %bb.413:                              ;   in Loop: Header=BB256_12 Depth=1
	v_ffbh_u32_e32 v79, v79
	v_min_u32_e32 v79, 32, v79
	v_subrev_nc_u32_e32 v81, 28, v79
	v_lshlrev_b64 v[82:83], v81, v[1:2]
	v_sub_nc_u32_e32 v81, 29, v79
	v_and_b32_e32 v79, 7, v82
; %bb.414:                              ;   in Loop: Header=BB256_12 Depth=1
	s_or_b32 exec_lo, exec_lo, s43
	v_lshlrev_b32_sdwa v1, v25, v1 dst_sel:DWORD dst_unused:UNUSED_PAD src0_sel:DWORD src1_sel:WORD_0
	v_lshl_add_u32 v81, v81, 10, 0x2000
	v_lshlrev_b32_e32 v79, 23, v79
	v_and_or_b32 v1, 0x8000, v1, v81
	v_lshl_or_b32 v79, v1, 16, v79
.LBB256_415:                            ;   in Loop: Header=BB256_12 Depth=1
	s_or_b32 exec_lo, exec_lo, s42
.LBB256_416:                            ;   in Loop: Header=BB256_12 Depth=1
	s_or_b32 exec_lo, exec_lo, s41
.LBB256_417:                            ;   in Loop: Header=BB256_12 Depth=1
	s_or_b32 exec_lo, exec_lo, s40
	v_lshrrev_b32_e32 v1, 16, v9
	v_mov_b32_e32 v81, 0
	v_mov_b32_e32 v82, 0
	v_cmp_ne_u16_sdwa s2, v1, v2 src0_sel:BYTE_0 src1_sel:DWORD
	s_and_saveexec_b32 s40, s2
	s_cbranch_execz .LBB256_425
; %bb.418:                              ;   in Loop: Header=BB256_12 Depth=1
	v_cmp_ne_u16_sdwa s2, v1, v22 src0_sel:BYTE_0 src1_sel:DWORD
	v_mov_b32_e32 v82, 0x8000
	s_and_saveexec_b32 s41, s2
	s_cbranch_execz .LBB256_424
; %bb.419:                              ;   in Loop: Header=BB256_12 Depth=1
	v_bfe_u32 v84, v9, 16, 7
	v_mov_b32_e32 v82, 0x7c01
	s_mov_b32 s42, exec_lo
	v_cmpx_ne_u32_e32 0x7f, v84
	s_cbranch_execz .LBB256_423
; %bb.420:                              ;   in Loop: Header=BB256_12 Depth=1
	v_and_b32_e32 v82, 7, v1
	v_lshrrev_b32_e32 v83, 3, v84
	s_mov_b32 s43, exec_lo
	v_cmpx_gt_u32_e32 8, v84
; %bb.421:                              ;   in Loop: Header=BB256_12 Depth=1
	v_ffbh_u32_e32 v82, v82
	v_min_u32_e32 v84, 32, v82
	v_subrev_nc_u32_e32 v82, 28, v84
	v_lshlrev_b64 v[82:83], v82, v[1:2]
	v_sub_nc_u32_e32 v83, 29, v84
	v_and_b32_e32 v82, 7, v82
; %bb.422:                              ;   in Loop: Header=BB256_12 Depth=1
	s_or_b32 exec_lo, exec_lo, s43
	v_lshlrev_b32_e32 v1, 8, v1
	v_lshl_add_u32 v83, v83, 10, 0x2000
	v_lshlrev_b32_e32 v82, 7, v82
	v_and_b32_e32 v1, 0x8000, v1
	v_and_b32_e32 v83, 0xfc00, v83
	v_or3_b32 v82, v1, v83, v82
.LBB256_423:                            ;   in Loop: Header=BB256_12 Depth=1
	s_or_b32 exec_lo, exec_lo, s42
.LBB256_424:                            ;   in Loop: Header=BB256_12 Depth=1
	s_or_b32 exec_lo, exec_lo, s41
.LBB256_425:                            ;   in Loop: Header=BB256_12 Depth=1
	s_or_b32 exec_lo, exec_lo, s40
	s_mov_b32 s40, exec_lo
	v_cmpx_lt_u32_e32 0xffffff, v9
	s_cbranch_execz .LBB256_433
; %bb.426:                              ;   in Loop: Header=BB256_12 Depth=1
	v_lshrrev_b32_e32 v1, 24, v9
	v_bfrev_b32_e32 v81, 1
	s_mov_b32 s41, exec_lo
	v_cmpx_ne_u32_e32 0x80, v1
	s_cbranch_execz .LBB256_432
; %bb.427:                              ;   in Loop: Header=BB256_12 Depth=1
	v_and_b32_e32 v83, 0x7f, v1
	v_mov_b32_e32 v81, 0x7c010000
	s_mov_b32 s42, exec_lo
	v_cmpx_ne_u32_e32 0x7f, v83
	s_cbranch_execz .LBB256_431
; %bb.428:                              ;   in Loop: Header=BB256_12 Depth=1
	v_and_b32_e32 v9, 7, v1
	v_lshrrev_b32_e32 v81, 3, v83
	s_mov_b32 s43, exec_lo
	v_cmpx_gt_u32_e32 8, v83
; %bb.429:                              ;   in Loop: Header=BB256_12 Depth=1
	v_ffbh_u32_e32 v9, v9
	v_min_u32_e32 v9, 32, v9
	v_subrev_nc_u32_e32 v81, 28, v9
	v_lshlrev_b64 v[83:84], v81, v[1:2]
	v_sub_nc_u32_e32 v81, 29, v9
	v_and_b32_e32 v9, 7, v83
; %bb.430:                              ;   in Loop: Header=BB256_12 Depth=1
	s_or_b32 exec_lo, exec_lo, s43
	v_lshlrev_b32_e32 v1, 8, v1
	v_lshl_add_u32 v81, v81, 10, 0x2000
	v_lshlrev_b32_e32 v9, 23, v9
	v_and_or_b32 v1, 0x8000, v1, v81
	v_lshl_or_b32 v81, v1, 16, v9
.LBB256_431:                            ;   in Loop: Header=BB256_12 Depth=1
	s_or_b32 exec_lo, exec_lo, s42
.LBB256_432:                            ;   in Loop: Header=BB256_12 Depth=1
	s_or_b32 exec_lo, exec_lo, s41
.LBB256_433:                            ;   in Loop: Header=BB256_12 Depth=1
	s_or_b32 exec_lo, exec_lo, s40
	global_load_dword v7, v[7:8], off offset:1544
	v_mov_b32_e32 v9, 0
	v_mov_b32_e32 v84, 0
	s_waitcnt vmcnt(0)
	v_cmp_ne_u16_sdwa s2, v7, v2 src0_sel:BYTE_0 src1_sel:DWORD
	s_and_saveexec_b32 s40, s2
	s_cbranch_execz .LBB256_441
; %bb.434:                              ;   in Loop: Header=BB256_12 Depth=1
	v_cmp_ne_u16_sdwa s2, v7, v22 src0_sel:BYTE_0 src1_sel:DWORD
	v_mov_b32_e32 v84, 0x8000
	s_and_saveexec_b32 s41, s2
	s_cbranch_execz .LBB256_440
; %bb.435:                              ;   in Loop: Header=BB256_12 Depth=1
	v_and_b32_e32 v83, 0x7f, v7
	v_mov_b32_e32 v84, 0x7c01
	s_mov_b32 s42, exec_lo
	v_cmpx_ne_u32_e32 0x7f, v83
	s_cbranch_execz .LBB256_439
; %bb.436:                              ;   in Loop: Header=BB256_12 Depth=1
	v_and_b32_e32 v1, 7, v7
	v_lshrrev_b32_e32 v8, 3, v83
	s_mov_b32 s43, exec_lo
	v_cmpx_gt_u32_e32 8, v83
; %bb.437:                              ;   in Loop: Header=BB256_12 Depth=1
	v_ffbh_u32_e32 v1, v1
	v_min_u32_e32 v1, 32, v1
	v_subrev_nc_u32_e32 v8, 28, v1
	v_lshlrev_b64 v[83:84], v8, v[7:8]
	v_sub_nc_u32_e32 v8, 29, v1
	v_and_b32_e32 v1, 7, v83
; %bb.438:                              ;   in Loop: Header=BB256_12 Depth=1
	s_or_b32 exec_lo, exec_lo, s43
	v_lshlrev_b32_e32 v83, 8, v7
	v_lshl_add_u32 v8, v8, 10, 0x2000
	v_lshlrev_b32_e32 v1, 7, v1
	v_and_b32_e32 v83, 0x8000, v83
	v_and_b32_e32 v8, 0xfc00, v8
	v_or3_b32 v84, v83, v8, v1
.LBB256_439:                            ;   in Loop: Header=BB256_12 Depth=1
	s_or_b32 exec_lo, exec_lo, s42
.LBB256_440:                            ;   in Loop: Header=BB256_12 Depth=1
	s_or_b32 exec_lo, exec_lo, s41
.LBB256_441:                            ;   in Loop: Header=BB256_12 Depth=1
	s_or_b32 exec_lo, exec_lo, s40
	v_lshrrev_b16 v1, 8, v7
	s_mov_b32 s40, exec_lo
	v_cmpx_ne_u16_e32 0, v1
	s_cbranch_execz .LBB256_449
; %bb.442:                              ;   in Loop: Header=BB256_12 Depth=1
	v_bfrev_b32_e32 v9, 1
	s_mov_b32 s41, exec_lo
	v_cmpx_ne_u16_e32 0x80, v1
	s_cbranch_execz .LBB256_448
; %bb.443:                              ;   in Loop: Header=BB256_12 Depth=1
	v_and_b32_sdwa v83, v1, v23 dst_sel:DWORD dst_unused:UNUSED_PAD src0_sel:WORD_0 src1_sel:DWORD
	v_mov_b32_e32 v9, 0x7c010000
	s_mov_b32 s42, exec_lo
	v_cmpx_ne_u32_e32 0x7f, v83
	s_cbranch_execz .LBB256_447
; %bb.444:                              ;   in Loop: Header=BB256_12 Depth=1
	v_and_b32_sdwa v8, v1, v24 dst_sel:DWORD dst_unused:UNUSED_PAD src0_sel:WORD_0 src1_sel:DWORD
	v_lshrrev_b32_e32 v9, 3, v83
	s_mov_b32 s43, exec_lo
	v_cmpx_gt_u32_e32 8, v83
; %bb.445:                              ;   in Loop: Header=BB256_12 Depth=1
	v_ffbh_u32_e32 v8, v8
	v_min_u32_e32 v83, 32, v8
	v_subrev_nc_u32_e32 v8, 28, v83
	v_lshlrev_b64 v[8:9], v8, v[1:2]
	v_sub_nc_u32_e32 v9, 29, v83
	v_and_b32_e32 v8, 7, v8
; %bb.446:                              ;   in Loop: Header=BB256_12 Depth=1
	s_or_b32 exec_lo, exec_lo, s43
	v_lshlrev_b32_sdwa v1, v25, v1 dst_sel:DWORD dst_unused:UNUSED_PAD src0_sel:DWORD src1_sel:WORD_0
	v_lshl_add_u32 v9, v9, 10, 0x2000
	v_lshlrev_b32_e32 v8, 23, v8
	v_and_or_b32 v1, 0x8000, v1, v9
	v_lshl_or_b32 v9, v1, 16, v8
.LBB256_447:                            ;   in Loop: Header=BB256_12 Depth=1
	s_or_b32 exec_lo, exec_lo, s42
.LBB256_448:                            ;   in Loop: Header=BB256_12 Depth=1
	s_or_b32 exec_lo, exec_lo, s41
.LBB256_449:                            ;   in Loop: Header=BB256_12 Depth=1
	s_or_b32 exec_lo, exec_lo, s40
	v_lshrrev_b32_e32 v1, 16, v7
	v_mov_b32_e32 v8, 0
	v_mov_b32_e32 v83, 0
	v_cmp_ne_u16_sdwa s2, v1, v2 src0_sel:BYTE_0 src1_sel:DWORD
	s_and_saveexec_b32 s40, s2
	s_cbranch_execz .LBB256_457
; %bb.450:                              ;   in Loop: Header=BB256_12 Depth=1
	v_cmp_ne_u16_sdwa s2, v1, v22 src0_sel:BYTE_0 src1_sel:DWORD
	v_mov_b32_e32 v83, 0x8000
	s_and_saveexec_b32 s41, s2
	s_cbranch_execz .LBB256_456
; %bb.451:                              ;   in Loop: Header=BB256_12 Depth=1
	v_bfe_u32 v86, v7, 16, 7
	v_mov_b32_e32 v83, 0x7c01
	s_mov_b32 s42, exec_lo
	v_cmpx_ne_u32_e32 0x7f, v86
	s_cbranch_execz .LBB256_455
; %bb.452:                              ;   in Loop: Header=BB256_12 Depth=1
	v_and_b32_e32 v83, 7, v1
	v_lshrrev_b32_e32 v85, 3, v86
	s_mov_b32 s43, exec_lo
	v_cmpx_gt_u32_e32 8, v86
; %bb.453:                              ;   in Loop: Header=BB256_12 Depth=1
	v_ffbh_u32_e32 v83, v83
	v_min_u32_e32 v83, 32, v83
	v_subrev_nc_u32_e32 v85, 28, v83
	v_lshlrev_b64 v[86:87], v85, v[1:2]
	v_sub_nc_u32_e32 v85, 29, v83
	v_and_b32_e32 v83, 7, v86
; %bb.454:                              ;   in Loop: Header=BB256_12 Depth=1
	s_or_b32 exec_lo, exec_lo, s43
	v_lshlrev_b32_e32 v1, 8, v1
	v_lshl_add_u32 v85, v85, 10, 0x2000
	v_lshlrev_b32_e32 v83, 7, v83
	v_and_b32_e32 v1, 0x8000, v1
	v_and_b32_e32 v85, 0xfc00, v85
	v_or3_b32 v83, v1, v85, v83
.LBB256_455:                            ;   in Loop: Header=BB256_12 Depth=1
	s_or_b32 exec_lo, exec_lo, s42
.LBB256_456:                            ;   in Loop: Header=BB256_12 Depth=1
	s_or_b32 exec_lo, exec_lo, s41
.LBB256_457:                            ;   in Loop: Header=BB256_12 Depth=1
	s_or_b32 exec_lo, exec_lo, s40
	s_mov_b32 s40, exec_lo
	v_cmpx_lt_u32_e32 0xffffff, v7
	s_cbranch_execz .LBB256_465
; %bb.458:                              ;   in Loop: Header=BB256_12 Depth=1
	v_lshrrev_b32_e32 v1, 24, v7
	v_bfrev_b32_e32 v8, 1
	s_mov_b32 s41, exec_lo
	v_cmpx_ne_u32_e32 0x80, v1
	s_cbranch_execz .LBB256_464
; %bb.459:                              ;   in Loop: Header=BB256_12 Depth=1
	v_and_b32_e32 v85, 0x7f, v1
	v_mov_b32_e32 v8, 0x7c010000
	s_mov_b32 s42, exec_lo
	v_cmpx_ne_u32_e32 0x7f, v85
	s_cbranch_execz .LBB256_463
; %bb.460:                              ;   in Loop: Header=BB256_12 Depth=1
	v_and_b32_e32 v7, 7, v1
	v_lshrrev_b32_e32 v8, 3, v85
	s_mov_b32 s43, exec_lo
	v_cmpx_gt_u32_e32 8, v85
; %bb.461:                              ;   in Loop: Header=BB256_12 Depth=1
	v_ffbh_u32_e32 v7, v7
	v_min_u32_e32 v85, 32, v7
	v_subrev_nc_u32_e32 v7, 28, v85
	v_lshlrev_b64 v[7:8], v7, v[1:2]
	v_sub_nc_u32_e32 v8, 29, v85
	v_and_b32_e32 v7, 7, v7
; %bb.462:                              ;   in Loop: Header=BB256_12 Depth=1
	s_or_b32 exec_lo, exec_lo, s43
	v_lshlrev_b32_e32 v1, 8, v1
	v_lshl_add_u32 v8, v8, 10, 0x2000
	v_lshlrev_b32_e32 v7, 23, v7
	v_and_or_b32 v1, 0x8000, v1, v8
	v_lshl_or_b32 v8, v1, 16, v7
.LBB256_463:                            ;   in Loop: Header=BB256_12 Depth=1
	s_or_b32 exec_lo, exec_lo, s42
.LBB256_464:                            ;   in Loop: Header=BB256_12 Depth=1
	s_or_b32 exec_lo, exec_lo, s41
.LBB256_465:                            ;   in Loop: Header=BB256_12 Depth=1
	s_or_b32 exec_lo, exec_lo, s40
	ds_read_b64 v[85:86], v18
	v_or_b32_e32 v1, v31, v32
	v_or_b32_e32 v7, v33, v34
	v_fma_mixlo_f16 v31, v30, v31, 0 op_sel:[0,1,0] op_sel_hi:[0,1,0]
	v_fma_mixlo_f16 v32, v30, v33, 0 op_sel:[0,1,0] op_sel_hi:[0,1,0]
	v_or_b32_e32 v36, v35, v36
	v_fma_mixlo_f16 v1, v30, v1, 0 op_sel_hi:[0,1,0]
	v_fma_mixlo_f16 v7, v30, v7, 0 op_sel_hi:[0,1,0]
	v_and_b32_e32 v31, 0xffff, v31
	v_and_b32_e32 v87, 0xffff, v32
	v_or_b32_e32 v38, v37, v38
	v_and_b32_e32 v32, 0xffff, v1
	v_fma_mixlo_f16 v35, v30, v35, 0 op_sel:[0,1,0] op_sel_hi:[0,1,0]
	v_fma_mixlo_f16 v36, v30, v36, 0 op_sel_hi:[0,1,0]
	v_fma_mixlo_f16 v37, v30, v37, 0 op_sel:[0,1,0] op_sel_hi:[0,1,0]
	v_fma_mixlo_f16 v38, v30, v38, 0 op_sel_hi:[0,1,0]
	v_or_b32_e32 v44, v43, v44
	v_and_b32_e32 v35, 0xffff, v35
	v_and_b32_e32 v36, 0xffff, v36
	v_and_b32_e32 v37, 0xffff, v37
	s_waitcnt lgkmcnt(0)
	v_and_b32_e32 v1, 0xffff, v85
	v_lshrrev_b32_e32 v33, 16, v85
	v_and_b32_e32 v85, 0xffff, v7
	v_lshrrev_b32_e32 v88, 16, v86
	v_and_b32_e32 v34, 0xffff, v86
	;;#ASMSTART
	v_cvt_f32_f16 v1, v1;
	;;#ASMEND
	;;#ASMSTART
	v_cvt_f32_f16 v7, v33;
	;;#ASMEND
	;; [unrolled: 3-line block ×8, first 2 shown]
	ds_read_b64 v[87:88], v18 offset:8
	v_and_b32_e32 v38, 0xffff, v38
	v_or_b32_e32 v46, v45, v46
	v_fma_mixlo_f16 v43, v30, v43, 0 op_sel:[0,1,0] op_sel_hi:[0,1,0]
	v_fma_mixlo_f16 v45, v30, v45, 0 op_sel:[0,1,0] op_sel_hi:[0,1,0]
	v_fma_mixlo_f16 v44, v30, v44, 0 op_sel_hi:[0,1,0]
	v_or_b32_e32 v48, v47, v48
	v_fma_mixlo_f16 v46, v30, v46, 0 op_sel_hi:[0,1,0]
	v_or_b32_e32 v50, v49, v50
	v_and_b32_e32 v99, 0xffff, v45
	v_and_b32_e32 v45, 0xffff, v44
	v_fma_mixlo_f16 v47, v30, v47, 0 op_sel:[0,1,0] op_sel_hi:[0,1,0]
	v_and_b32_e32 v98, 0xffff, v46
	v_fma_mixlo_f16 v49, v30, v49, 0 op_sel:[0,1,0] op_sel_hi:[0,1,0]
	v_fma_mixlo_f16 v48, v30, v48, 0 op_sel_hi:[0,1,0]
	v_fma_mixlo_f16 v50, v30, v50, 0 op_sel_hi:[0,1,0]
	v_and_b32_e32 v101, 0xffff, v47
	v_or_b32_e32 v52, v51, v52
	v_and_b32_e32 v102, 0xffff, v49
	v_and_b32_e32 v49, 0xffff, v48
	s_waitcnt lgkmcnt(0)
	v_and_b32_e32 v89, 0xffff, v87
	v_lshrrev_b32_e32 v90, 16, v87
	v_lshrrev_b32_e32 v93, 16, v88
	v_and_b32_e32 v92, 0xffff, v88
	;;#ASMSTART
	v_cvt_f32_f16 v87, v89;
	;;#ASMEND
	;;#ASMSTART
	v_cvt_f32_f16 v88, v90;
	;;#ASMEND
	;; [unrolled: 3-line block ×8, first 2 shown]
	ds_read_b64 v[35:36], v18 offset:16
	v_or_b32_e32 v37, v39, v40
	v_or_b32_e32 v38, v41, v42
	v_fma_mixlo_f16 v39, v30, v39, 0 op_sel:[0,1,0] op_sel_hi:[0,1,0]
	v_fma_mixlo_f16 v40, v30, v41, 0 op_sel:[0,1,0] op_sel_hi:[0,1,0]
	v_and_b32_e32 v103, 0xffff, v50
	v_fma_mixlo_f16 v37, v30, v37, 0 op_sel_hi:[0,1,0]
	v_fma_mixlo_f16 v38, v30, v38, 0 op_sel_hi:[0,1,0]
	v_and_b32_e32 v39, 0xffff, v39
	v_and_b32_e32 v42, 0xffff, v40
	v_or_b32_e32 v54, v53, v54
	v_and_b32_e32 v37, 0xffff, v37
	v_and_b32_e32 v95, 0xffff, v38
	v_fma_mixlo_f16 v51, v30, v51, 0 op_sel:[0,1,0] op_sel_hi:[0,1,0]
	v_fma_mixlo_f16 v53, v30, v53, 0 op_sel:[0,1,0] op_sel_hi:[0,1,0]
	v_fma_mixlo_f16 v52, v30, v52, 0 op_sel_hi:[0,1,0]
	v_fma_mixlo_f16 v54, v30, v54, 0 op_sel_hi:[0,1,0]
	v_or_b32_e32 v56, v55, v56
	v_and_b32_e32 v105, 0xffff, v51
	v_and_b32_e32 v106, 0xffff, v53
	s_waitcnt lgkmcnt(0)
	v_and_b32_e32 v40, 0xffff, v35
	v_lshrrev_b32_e32 v41, 16, v35
	v_lshrrev_b32_e32 v96, 16, v36
	v_and_b32_e32 v97, 0xffff, v36
	;;#ASMSTART
	v_cvt_f32_f16 v35, v40;
	;;#ASMEND
	;;#ASMSTART
	v_cvt_f32_f16 v36, v41;
	;;#ASMEND
	;; [unrolled: 3-line block ×8, first 2 shown]
	ds_read_b64 v[95:96], v18 offset:24
	v_and_b32_e32 v97, 0xffff, v43
	v_and_b32_e32 v53, 0xffff, v52
	;; [unrolled: 1-line block ×3, first 2 shown]
	v_or_b32_e32 v58, v57, v58
	v_fma_mixlo_f16 v55, v30, v55, 0 op_sel:[0,1,0] op_sel_hi:[0,1,0]
	v_fma_mixlo_f16 v57, v30, v57, 0 op_sel:[0,1,0] op_sel_hi:[0,1,0]
	v_fma_mixlo_f16 v56, v30, v56, 0 op_sel_hi:[0,1,0]
	v_or_b32_e32 v60, v59, v60
	v_fma_mixlo_f16 v58, v30, v58, 0 op_sel_hi:[0,1,0]
	v_and_b32_e32 v109, 0xffff, v55
	v_and_b32_e32 v110, 0xffff, v57
	;; [unrolled: 1-line block ×3, first 2 shown]
	v_or_b32_e32 v62, v61, v62
	v_and_b32_e32 v111, 0xffff, v58
	v_fma_mixlo_f16 v59, v30, v59, 0 op_sel:[0,1,0] op_sel_hi:[0,1,0]
	v_fma_mixlo_f16 v61, v30, v61, 0 op_sel:[0,1,0] op_sel_hi:[0,1,0]
	v_fma_mixlo_f16 v60, v30, v60, 0 op_sel_hi:[0,1,0]
	v_fma_mixlo_f16 v62, v30, v62, 0 op_sel_hi:[0,1,0]
	v_or_b32_e32 v64, v63, v64
	s_waitcnt lgkmcnt(0)
	v_and_b32_e32 v43, 0xffff, v95
	v_lshrrev_b32_e32 v44, 16, v95
	v_lshrrev_b32_e32 v100, 16, v96
	v_and_b32_e32 v96, 0xffff, v96
	;;#ASMSTART
	v_cvt_f32_f16 v43, v43;
	;;#ASMEND
	;;#ASMSTART
	v_cvt_f32_f16 v44, v44;
	;;#ASMEND
	;; [unrolled: 3-line block ×8, first 2 shown]
	ds_read_b64 v[99:100], v18 offset:32
	v_and_b32_e32 v113, 0xffff, v59
	v_and_b32_e32 v114, 0xffff, v61
	;; [unrolled: 1-line block ×4, first 2 shown]
	v_or_b32_e32 v66, v65, v66
	v_fma_mixlo_f16 v63, v30, v63, 0 op_sel:[0,1,0] op_sel_hi:[0,1,0]
	v_fma_mixlo_f16 v65, v30, v65, 0 op_sel:[0,1,0] op_sel_hi:[0,1,0]
	v_fma_mixlo_f16 v64, v30, v64, 0 op_sel_hi:[0,1,0]
	v_or_b32_e32 v68, v67, v68
	v_fma_mixlo_f16 v66, v30, v66, 0 op_sel_hi:[0,1,0]
	v_and_b32_e32 v63, 0xffff, v63
	v_and_b32_e32 v119, 0xffff, v65
	;; [unrolled: 1-line block ×3, first 2 shown]
	v_or_b32_e32 v70, v69, v70
	v_and_b32_e32 v118, 0xffff, v66
	v_fma_mixlo_f16 v67, v30, v67, 0 op_sel:[0,1,0] op_sel_hi:[0,1,0]
	v_fma_mixlo_f16 v69, v30, v69, 0 op_sel:[0,1,0] op_sel_hi:[0,1,0]
	v_fma_mixlo_f16 v68, v30, v68, 0 op_sel_hi:[0,1,0]
	v_fma_mixlo_f16 v70, v30, v70, 0 op_sel_hi:[0,1,0]
	s_waitcnt lgkmcnt(0)
	v_and_b32_e32 v47, 0xffff, v99
	v_lshrrev_b32_e32 v48, 16, v99
	v_lshrrev_b32_e32 v104, 16, v100
	v_and_b32_e32 v99, 0xffff, v100
	;;#ASMSTART
	v_cvt_f32_f16 v47, v47;
	;;#ASMEND
	;;#ASMSTART
	v_cvt_f32_f16 v48, v48;
	;;#ASMEND
	;; [unrolled: 3-line block ×8, first 2 shown]
	ds_read_b64 v[103:104], v18 offset:40
	v_or_b32_e32 v122, v79, v80
	v_fma_mixlo_f16 v123, v30, v79, 0 op_sel:[0,1,0] op_sel_hi:[0,1,0]
	v_or_b32_e32 v124, v81, v82
	v_and_b32_e32 v79, 0xffff, v67
	v_and_b32_e32 v82, 0xffff, v69
	;; [unrolled: 1-line block ×3, first 2 shown]
	v_or_b32_e32 v72, v71, v72
	v_or_b32_e32 v74, v73, v74
	v_fma_mixlo_f16 v71, v30, v71, 0 op_sel:[0,1,0] op_sel_hi:[0,1,0]
	v_fma_mixlo_f16 v73, v30, v73, 0 op_sel:[0,1,0] op_sel_hi:[0,1,0]
	v_mul_f32_e32 v87, v87, v90
	v_fma_mixlo_f16 v72, v30, v72, 0 op_sel_hi:[0,1,0]
	v_fma_mixlo_f16 v74, v30, v74, 0 op_sel_hi:[0,1,0]
	v_and_b32_e32 v125, 0xffff, v71
	v_and_b32_e32 v73, 0xffff, v73
	v_mul_f32_e32 v88, v88, v91
	v_and_b32_e32 v126, 0xffff, v72
	v_and_b32_e32 v74, 0xffff, v74
	v_mul_f32_e32 v71, v92, v94
	s_waitcnt lgkmcnt(0)
	v_and_b32_e32 v51, 0xffff, v103
	v_lshrrev_b32_e32 v52, 16, v103
	v_lshrrev_b32_e32 v108, 16, v104
	v_and_b32_e32 v103, 0xffff, v104
	;;#ASMSTART
	v_cvt_f32_f16 v51, v51;
	;;#ASMEND
	;;#ASMSTART
	v_cvt_f32_f16 v52, v52;
	;;#ASMEND
	;; [unrolled: 3-line block ×8, first 2 shown]
	ds_read_b64 v[107:108], v18 offset:48
	v_mul_f32_e32 v72, v89, v93
	v_fmac_f32_e32 v87, v1, v32
	v_fmac_f32_e32 v88, v7, v33
	v_or_b32_e32 v76, v75, v76
	v_or_b32_e32 v78, v77, v78
	v_fmac_f32_e32 v71, v34, v85
	v_fmac_f32_e32 v87, v35, v38
	;; [unrolled: 1-line block ×3, first 2 shown]
	v_fma_mixlo_f16 v76, v30, v76, 0 op_sel_hi:[0,1,0]
	v_fma_mixlo_f16 v78, v30, v78, 0 op_sel_hi:[0,1,0]
	v_fmac_f32_e32 v72, v31, v86
	v_fmac_f32_e32 v71, v40, v41
	;; [unrolled: 1-line block ×4, first 2 shown]
	v_fma_mixlo_f16 v75, v30, v75, 0 op_sel:[0,1,0] op_sel_hi:[0,1,0]
	v_fma_mixlo_f16 v77, v30, v77, 0 op_sel:[0,1,0] op_sel_hi:[0,1,0]
	v_and_b32_e32 v32, 0xffff, v76
	v_and_b32_e32 v31, 0xffff, v78
	v_fmac_f32_e32 v72, v37, v42
	s_waitcnt lgkmcnt(0)
	v_and_b32_e32 v55, 0xffff, v107
	v_lshrrev_b32_e32 v56, 16, v107
	v_lshrrev_b32_e32 v112, 16, v108
	v_and_b32_e32 v107, 0xffff, v108
	;;#ASMSTART
	v_cvt_f32_f16 v55, v55;
	;;#ASMEND
	;;#ASMSTART
	v_cvt_f32_f16 v56, v56;
	;;#ASMEND
	;; [unrolled: 3-line block ×8, first 2 shown]
	ds_read_b64 v[111:112], v18 offset:56
	v_fmac_f32_e32 v71, v96, v98
	v_fmac_f32_e32 v87, v47, v49
	;; [unrolled: 1-line block ×3, first 2 shown]
	v_and_b32_e32 v75, 0xffff, v75
	v_and_b32_e32 v77, 0xffff, v77
	v_fmac_f32_e32 v72, v45, v97
	v_fmac_f32_e32 v71, v99, v101
	;; [unrolled: 1-line block ×4, first 2 shown]
	v_fma_mixlo_f16 v81, v30, v81, 0 op_sel:[0,1,0] op_sel_hi:[0,1,0]
	v_fmac_f32_e32 v72, v100, v102
	v_fmac_f32_e32 v71, v103, v105
	;; [unrolled: 1-line block ×4, first 2 shown]
	v_fma_mixlo_f16 v122, v30, v122, 0 op_sel_hi:[0,1,0]
	v_fmac_f32_e32 v72, v104, v106
	v_fmac_f32_e32 v71, v107, v109
	v_fma_mixlo_f16 v39, v30, v124, 0 op_sel_hi:[0,1,0]
	v_and_b32_e32 v47, 0xffff, v81
	s_waitcnt lgkmcnt(0)
	v_and_b32_e32 v59, 0xffff, v111
	v_lshrrev_b32_e32 v60, 16, v111
	v_lshrrev_b32_e32 v116, 16, v112
	v_and_b32_e32 v111, 0xffff, v112
	;;#ASMSTART
	v_cvt_f32_f16 v59, v59;
	;;#ASMEND
	;;#ASMSTART
	v_cvt_f32_f16 v60, v60;
	;;#ASMEND
	;; [unrolled: 3-line block ×8, first 2 shown]
	ds_read_b64 v[115:116], v18 offset:64
	v_fmac_f32_e32 v87, v59, v61
	v_fmac_f32_e32 v88, v60, v62
	;; [unrolled: 1-line block ×4, first 2 shown]
	v_and_b32_e32 v43, 0xffff, v122
	v_and_b32_e32 v46, 0xffff, v39
	v_or_b32_e32 v84, v9, v84
	v_fmac_f32_e32 v72, v112, v114
	v_fma_mixlo_f16 v9, v30, v9, 0 op_sel:[0,1,0] op_sel_hi:[0,1,0]
	v_or_b32_e32 v48, v8, v83
	v_fma_mixlo_f16 v40, v30, v84, 0 op_sel_hi:[0,1,0]
	v_fma_mixlo_f16 v48, v30, v48, 0 op_sel_hi:[0,1,0]
	s_waitcnt lgkmcnt(0)
	v_and_b32_e32 v65, 0xffff, v115
	v_lshrrev_b32_e32 v115, 16, v115
	v_lshrrev_b32_e32 v120, 16, v116
	v_and_b32_e32 v117, 0xffff, v116
	;;#ASMSTART
	v_cvt_f32_f16 v65, v65;
	;;#ASMEND
	;;#ASMSTART
	v_cvt_f32_f16 v66, v115;
	;;#ASMEND
	;; [unrolled: 3-line block ×8, first 2 shown]
	ds_read_b64 v[119:120], v18 offset:72
	v_fmac_f32_e32 v87, v65, v115
	v_fmac_f32_e32 v88, v66, v116
	;; [unrolled: 1-line block ×4, first 2 shown]
	s_waitcnt lgkmcnt(0)
	v_and_b32_e32 v67, 0xffff, v119
	v_lshrrev_b32_e32 v68, 16, v119
	v_and_b32_e32 v119, 0xffff, v70
	v_lshrrev_b32_e32 v121, 16, v120
	v_and_b32_e32 v80, 0xffff, v120
	;;#ASMSTART
	v_cvt_f32_f16 v67, v67;
	;;#ASMEND
	;;#ASMSTART
	v_cvt_f32_f16 v68, v68;
	;;#ASMEND
	;; [unrolled: 3-line block ×8, first 2 shown]
	ds_read_b64 v[120:121], v18 offset:80
	v_fmac_f32_e32 v87, v67, v70
	v_fmac_f32_e32 v88, v68, v79
	;; [unrolled: 1-line block ×4, first 2 shown]
	s_waitcnt lgkmcnt(0)
	v_and_b32_e32 v90, 0xffff, v120
	v_lshrrev_b32_e32 v91, 16, v120
	v_lshrrev_b32_e32 v94, 16, v121
	v_and_b32_e32 v93, 0xffff, v121
	;;#ASMSTART
	v_cvt_f32_f16 v89, v90;
	;;#ASMEND
	;;#ASMSTART
	v_cvt_f32_f16 v90, v91;
	;;#ASMEND
	;; [unrolled: 3-line block ×8, first 2 shown]
	ds_read_b64 v[73:74], v18 offset:88
	v_fmac_f32_e32 v87, v89, v91
	v_fmac_f32_e32 v88, v90, v92
	;; [unrolled: 1-line block ×4, first 2 shown]
	s_waitcnt lgkmcnt(0)
	v_and_b32_e32 v1, 0xffff, v73
	v_lshrrev_b32_e32 v7, 16, v73
	v_lshrrev_b32_e32 v36, 16, v74
	v_and_b32_e32 v35, 0xffff, v74
	;;#ASMSTART
	v_cvt_f32_f16 v1, v1;
	;;#ASMEND
	;;#ASMSTART
	v_cvt_f32_f16 v7, v7;
	;;#ASMEND
	;; [unrolled: 3-line block ×8, first 2 shown]
	ds_read_b64 v[31:32], v18 offset:96
	v_fmac_f32_e32 v87, v1, v33
	v_fmac_f32_e32 v88, v7, v34
	;; [unrolled: 1-line block ×3, first 2 shown]
	v_fma_mixlo_f16 v1, v30, v8, 0 op_sel:[0,1,0] op_sel_hi:[0,1,0]
	v_and_b32_e32 v30, 0xffff, v40
	v_fmac_f32_e32 v72, v36, v38
	v_and_b32_e32 v33, 0xffff, v48
	s_waitcnt lgkmcnt(0)
	v_and_b32_e32 v41, 0xffff, v31
	v_lshrrev_b32_e32 v31, 16, v31
	;;#ASMSTART
	v_cvt_f32_f16 v41, v41;
	;;#ASMEND
	;;#ASMSTART
	v_cvt_f32_f16 v42, v31;
	;;#ASMEND
	v_and_b32_e32 v31, 0xffff, v123
	v_and_b32_e32 v44, 0xffff, v32
	v_lshrrev_b32_e32 v32, 16, v32
	;;#ASMSTART
	v_cvt_f32_f16 v43, v43;
	;;#ASMEND
	;;#ASMSTART
	v_cvt_f32_f16 v39, v31;
	;;#ASMEND
	;; [unrolled: 3-line block ×6, first 2 shown]
	ds_read_b64 v[31:32], v18 offset:104
	v_fmac_f32_e32 v87, v41, v43
	v_fmac_f32_e32 v88, v42, v39
	;; [unrolled: 1-line block ×4, first 2 shown]
	s_waitcnt lgkmcnt(0)
	v_and_b32_e32 v7, 0xffff, v31
	v_lshrrev_b32_e32 v8, 16, v31
	v_and_b32_e32 v31, 0xffff, v9
	;;#ASMSTART
	v_cvt_f32_f16 v7, v7;
	;;#ASMEND
	;;#ASMSTART
	v_cvt_f32_f16 v8, v8;
	;;#ASMEND
	;; [unrolled: 3-line block ×4, first 2 shown]
	v_fmac_f32_e32 v87, v7, v9
	v_fmac_f32_e32 v88, v8, v30
	v_xor_b32_e32 v9, 1, v16
	v_and_b32_e32 v31, 0xffff, v32
	v_lshrrev_b32_e32 v32, 16, v32
	;;#ASMSTART
	v_cvt_f32_f16 v7, v31;
	;;#ASMEND
	;;#ASMSTART
	v_cvt_f32_f16 v8, v32;
	;;#ASMEND
	;; [unrolled: 3-line block ×3, first 2 shown]
	v_and_b32_e32 v31, 0xffff, v1
	v_fmac_f32_e32 v71, v7, v30
	v_add_f32_e32 v1, v87, v88
	v_cmp_gt_i32_e64 s2, 32, v9
	;;#ASMSTART
	v_cvt_f32_f16 v7, v31;
	;;#ASMEND
	v_fmac_f32_e32 v72, v8, v7
	v_add_f32_e32 v1, v1, v71
	v_cndmask_b32_e64 v7, v16, v9, s2
	v_add_f32_e32 v1, v72, v1
	v_lshlrev_b32_e32 v7, 2, v7
	ds_bpermute_b32 v7, v7, v1
	s_and_saveexec_b32 s40, vcc_lo
	s_cbranch_execz .LBB256_10
; %bb.466:                              ;   in Loop: Header=BB256_12 Depth=1
	v_add_nc_u32_e32 v8, v26, v20
	s_waitcnt lgkmcnt(0)
	v_add_f32_e32 v1, v1, v7
	v_cvt_f32_i32_e32 v8, v8
	v_mul_f32_e32 v8, s36, v8
	v_cndmask_b32_e64 v7, 0, v8, s1
	v_max_f32_e32 v8, v19, v19
	v_fmac_f32_e32 v7, s35, v1
	v_add_nc_u32_e32 v1, v17, v20
	v_max_f32_e32 v8, v8, v7
	v_cmp_gt_i32_e64 s2, s33, v1
	v_cndmask_b32_e64 v1, 0, v7, s2
	v_cndmask_b32_e64 v19, v19, v8, s2
	ds_write_b32 v27, v1
	s_branch .LBB256_10
.LBB256_467:
	s_or_b32 exec_lo, exec_lo, s38
.LBB256_468:
	s_or_b32 exec_lo, exec_lo, s37
	v_xor_b32_e32 v1, 16, v16
	v_xor_b32_e32 v3, 8, v16
	v_max_f32_e32 v5, v19, v19
	v_xor_b32_e32 v6, 2, v16
	v_and_b32_e32 v17, 31, v0
	v_cmp_gt_i32_e32 vcc_lo, 32, v1
	v_cndmask_b32_e32 v1, v16, v1, vcc_lo
	v_cmp_gt_i32_e32 vcc_lo, 32, v3
	v_lshlrev_b32_e32 v2, 2, v1
	v_cndmask_b32_e32 v3, v16, v3, vcc_lo
	ds_bpermute_b32 v1, v2, v19
	v_lshlrev_b32_e32 v4, 2, v3
	s_waitcnt lgkmcnt(0)
	v_max_f32_e32 v1, v1, v1
	v_max_f32_e32 v1, v5, v1
	v_xor_b32_e32 v5, 4, v16
	ds_bpermute_b32 v3, v4, v1
	v_cmp_gt_i32_e32 vcc_lo, 32, v5
	v_cndmask_b32_e32 v5, v16, v5, vcc_lo
	v_cmp_gt_i32_e32 vcc_lo, 32, v6
	v_lshlrev_b32_e32 v5, 2, v5
	v_cndmask_b32_e32 v6, v16, v6, vcc_lo
	v_cmp_eq_u32_e32 vcc_lo, 0, v17
	s_waitcnt lgkmcnt(0)
	v_max_f32_e32 v3, v3, v3
	v_max_f32_e32 v1, v1, v3
	ds_bpermute_b32 v3, v5, v1
	s_waitcnt lgkmcnt(0)
	v_max_f32_e32 v3, v3, v3
	v_max_f32_e32 v3, v1, v3
	v_lshlrev_b32_e32 v1, 2, v6
	v_lshlrev_b32_e32 v6, 2, v13
	ds_bpermute_b32 v7, v1, v3
	s_and_saveexec_b32 s1, vcc_lo
	s_cbranch_execz .LBB256_470
; %bb.469:
	s_waitcnt lgkmcnt(0)
	v_max_f32_e32 v7, v7, v7
	v_max_f32_e32 v3, v3, v3
	;; [unrolled: 1-line block ×3, first 2 shown]
	ds_write_b32 v6, v3 offset:224
.LBB256_470:
	s_or_b32 exec_lo, exec_lo, s1
	v_cmp_gt_u32_e64 s1, 4, v17
	v_mov_b32_e32 v3, 0xff7fffff
	s_waitcnt lgkmcnt(0)
	v_lshlrev_b32_e32 v7, 2, v17
	s_barrier
	buffer_gl0_inv
	s_and_saveexec_b32 s2, s1
; %bb.471:
	ds_read_b32 v3, v7 offset:224
; %bb.472:
	s_or_b32 exec_lo, exec_lo, s2
	s_waitcnt lgkmcnt(0)
	ds_bpermute_b32 v8, v1, v3
	v_xor_b32_e32 v9, 1, v16
	v_max_f32_e32 v3, v3, v3
	v_cmp_gt_i32_e64 s2, 32, v9
	v_cndmask_b32_e64 v9, v16, v9, s2
	s_lshl_b32 s2, s20, 4
	s_min_i32 s4, s2, s33
	v_lshlrev_b32_e32 v16, 2, v9
	v_cmp_gt_i32_e64 s2, s4, v0
	s_waitcnt lgkmcnt(0)
	v_max_f32_e32 v8, v8, v8
	v_max_f32_e32 v3, v3, v8
	ds_bpermute_b32 v8, v16, v3
	s_waitcnt lgkmcnt(0)
	v_max_f32_e32 v8, v8, v8
	v_max_f32_e32 v3, v3, v8
	v_mov_b32_e32 v8, 0
	ds_bpermute_b32 v9, v8, v3
	v_lshl_add_u32 v3, v0, 2, 0x100
	s_and_saveexec_b32 s5, s2
	s_cbranch_execz .LBB256_476
; %bb.473:
	v_lshl_add_u32 v18, v0, 2, 0x100
	v_mov_b32_e32 v8, 0
	v_mov_b32_e32 v19, v0
	s_mov_b32 s12, 0
	.p2align	6
.LBB256_474:                            ; =>This Inner Loop Header: Depth=1
	ds_read_b32 v20, v18
	v_add_nc_u32_e32 v19, 0x80, v19
	v_cmp_le_i32_e64 s3, s4, v19
	s_or_b32 s12, s3, s12
	s_waitcnt lgkmcnt(0)
	v_sub_f32_e32 v20, v20, v9
	v_mul_f32_e32 v20, 0x3fb8aa3b, v20
	v_exp_f32_e32 v20, v20
	ds_write_b32 v18, v20
	v_add_f32_e32 v8, v8, v20
	v_add_nc_u32_e32 v18, 0x200, v18
	s_andn2_b32 exec_lo, exec_lo, s12
	s_cbranch_execnz .LBB256_474
; %bb.475:
	s_or_b32 exec_lo, exec_lo, s12
.LBB256_476:
	s_or_b32 exec_lo, exec_lo, s5
	ds_bpermute_b32 v2, v2, v8
	s_waitcnt lgkmcnt(0)
	v_add_f32_e32 v2, v8, v2
	ds_bpermute_b32 v4, v4, v2
	s_waitcnt lgkmcnt(0)
	v_add_f32_e32 v2, v2, v4
	;; [unrolled: 3-line block ×5, first 2 shown]
	s_and_saveexec_b32 s3, vcc_lo
; %bb.477:
	ds_write_b32 v6, v2 offset:240
; %bb.478:
	s_or_b32 exec_lo, exec_lo, s3
	s_waitcnt lgkmcnt(0)
	s_barrier
	buffer_gl0_inv
	s_and_saveexec_b32 s3, s1
; %bb.479:
	ds_read_b32 v2, v7 offset:240
; %bb.480:
	s_or_b32 exec_lo, exec_lo, s3
	s_waitcnt lgkmcnt(0)
	ds_bpermute_b32 v1, v1, v2
	s_waitcnt lgkmcnt(0)
	v_add_f32_e32 v1, v2, v1
	ds_bpermute_b32 v2, v16, v1
	s_waitcnt lgkmcnt(0)
	v_add_f32_e32 v1, v1, v2
	v_mov_b32_e32 v2, 0
	ds_bpermute_b32 v1, v2, v1
	s_and_saveexec_b32 s1, s2
	s_cbranch_execz .LBB256_483
; %bb.481:
	s_waitcnt lgkmcnt(0)
	v_add_f32_e32 v1, 0x358637bd, v1
	s_mov_b32 s2, 0
	v_div_scale_f32 v2, null, v1, v1, 1.0
	v_div_scale_f32 v6, vcc_lo, 1.0, v1, 1.0
	v_rcp_f32_e32 v4, v2
	v_fma_f32 v5, -v2, v4, 1.0
	v_fmac_f32_e32 v4, v5, v4
	v_mul_f32_e32 v5, v6, v4
	v_fma_f32 v7, -v2, v5, v6
	v_fmac_f32_e32 v5, v7, v4
	v_fma_f32 v2, -v2, v5, v6
	v_div_fmas_f32 v2, v2, v4, v5
	v_div_fixup_f32 v1, v2, v1, 1.0
	v_mov_b32_e32 v2, v0
.LBB256_482:                            ; =>This Inner Loop Header: Depth=1
	ds_read_b32 v4, v3
	v_add_nc_u32_e32 v2, 0x80, v2
	v_cmp_le_i32_e32 vcc_lo, s4, v2
	s_or_b32 s2, vcc_lo, s2
	s_waitcnt lgkmcnt(0)
	v_mul_f32_e32 v4, v1, v4
	ds_write_b32 v3, v4
	v_add_nc_u32_e32 v3, 0x200, v3
	s_andn2_b32 exec_lo, exec_lo, s2
	s_cbranch_execnz .LBB256_482
.LBB256_483:
	s_or_b32 exec_lo, exec_lo, s1
	v_mov_b32_e32 v24, 0
	v_mov_b32_e32 v23, 0
	;; [unrolled: 1-line block ×7, first 2 shown]
	s_waitcnt lgkmcnt(0)
	s_barrier
	buffer_gl0_inv
	s_and_saveexec_b32 s1, s0
	s_cbranch_execz .LBB256_951
; %bb.484:
	s_sub_i32 s4, s34, s21
	s_ashr_i32 s0, s18, 31
	s_add_u32 s18, s30, s18
	s_addc_u32 s0, s31, s0
	s_abs_i32 s5, s22
	v_and_b32_e32 v3, 0xf8, v10
	v_cvt_f32_u32_e32 v1, s5
	s_sub_i32 s2, 0, s5
	v_lshlrev_b32_e32 v6, 5, v12
	v_and_b32_e32 v5, 0x7c, v15
	s_mov_b32 s12, s17
	v_rcp_iflag_f32_e32 v1, v1
	v_add_co_u32 v3, s17, s18, v3
	s_add_i32 s13, s20, -1
	v_lshl_or_b32 v8, v13, 6, v6
	v_add_co_ci_u32_e64 v4, null, s0, 0, s17
	v_and_b32_e32 v25, 8, v10
	v_mov_b32_e32 v2, 0
	v_mov_b32_e32 v15, 0x80
	v_mul_f32_e32 v1, 0x4f7ffffe, v1
	v_mov_b32_e32 v26, 0x7f
	v_mov_b32_e32 v27, 7
	;; [unrolled: 1-line block ×4, first 2 shown]
	v_cvt_u32_f32_e32 v1, v1
	v_mov_b32_e32 v19, 0
	v_mov_b32_e32 v20, 0
	;; [unrolled: 1-line block ×4, first 2 shown]
	v_mul_lo_u32 v7, s2, v1
	s_lshl_b64 s[2:3], s[28:29], 2
	v_mov_b32_e32 v23, 0
	s_add_u32 s0, s26, s2
	s_addc_u32 s2, s27, s3
	v_add_co_u32 v5, s0, s0, v5
	v_mov_b32_e32 v24, 0
	v_mul_hi_u32 v7, v1, v7
	v_add_co_ci_u32_e64 v6, null, s2, 0, s0
	v_add_nc_u32_e32 v29, 0x100, v8
	v_mov_b32_e32 v31, v13
	s_mov_b32 s2, -1
	s_mov_b32 s3, 0xffffff
	s_mov_b32 s17, 0
	v_add_nc_u32_e32 v30, v1, v7
	s_branch .LBB256_487
.LBB256_485:                            ;   in Loop: Header=BB256_487 Depth=1
	s_or_b32 exec_lo, exec_lo, s0
	v_add_f32_e32 v9, v9, v10
	v_add_f32_e32 v10, v52, v53
	;;#ASMSTART
	v_pk_mul_f16 v33, v45, v54;

	;;#ASMEND
	;;#ASMSTART
	v_pk_mul_f16 v8, v44, v8;

	;;#ASMEND
	;; [unrolled: 4-line block ×4, first 2 shown]
	v_add_f32_e32 v19, v19, v9
	;;#ASMSTART
	v_pk_add_f16 v8, v33, v8;

	;;#ASMEND
	;;#ASMSTART
	v_pk_add_f16 v7, v8, v7;

	;;#ASMEND
	;; [unrolled: 4-line block ×3, first 2 shown]
	v_and_b32_e32 v9, 0xffff, v1
	v_add_f32_e32 v20, v20, v10
	v_lshrrev_b32_e32 v10, 16, v1
	;;#ASMSTART
	v_cvt_f32_f16 v9, v9;
	;;#ASMEND
	v_add_f32_e32 v32, v50, v51
	v_add_f32_e32 v1, v48, v49
	;; [unrolled: 1-line block ×4, first 2 shown]
	;;#ASMSTART
	v_cvt_f32_f16 v10, v10;
	;;#ASMEND
	v_add_f32_e32 v9, v9, v10
	v_add_f32_e32 v21, v21, v32
	;; [unrolled: 1-line block ×6, first 2 shown]
.LBB256_486:                            ;   in Loop: Header=BB256_487 Depth=1
	s_or_b32 exec_lo, exec_lo, s18
	v_add_nc_u32_e32 v31, 4, v31
	v_add_co_u32 v5, s0, v5, 16
	v_add_co_ci_u32_e64 v6, null, 0, v6, s0
	v_cmp_le_i32_e32 vcc_lo, s20, v31
	v_add_nc_u32_e32 v14, 64, v14
	v_add_nc_u32_e32 v29, 0x100, v29
	s_or_b32 s17, vcc_lo, s17
	s_andn2_b32 exec_lo, exec_lo, s17
	s_cbranch_execz .LBB256_950
.LBB256_487:                            ; =>This Inner Loop Header: Depth=1
	v_mul_hi_u32 v1, v14, s19
	v_mul_lo_u32 v7, v1, s16
	v_add_nc_u32_e32 v8, 1, v1
	v_sub_nc_u32_e32 v7, v14, v7
	v_subrev_nc_u32_e32 v9, s16, v7
	v_cmp_le_u32_e32 vcc_lo, s16, v7
	v_cndmask_b32_e32 v1, v1, v8, vcc_lo
	v_cndmask_b32_e32 v7, v7, v9, vcc_lo
	v_add_nc_u32_e32 v8, 1, v1
	v_cmp_le_u32_e32 vcc_lo, s16, v7
	v_cndmask_b32_e32 v1, v1, v8, vcc_lo
	v_xor_b32_e32 v1, s23, v1
	v_subrev_nc_u32_e32 v1, s23, v1
	v_add_nc_u32_e32 v7, s25, v1
	v_cmp_lt_i32_e64 s0, s4, v1
	v_sub_nc_u32_e32 v8, 0, v7
	v_max_i32_e32 v8, v7, v8
	v_ashrrev_i32_e32 v7, 31, v7
	v_mul_hi_u32 v9, v8, v30
	v_mul_lo_u32 v9, v9, s5
	v_sub_nc_u32_e32 v8, v8, v9
	v_subrev_nc_u32_e32 v9, s5, v8
	v_cmp_le_u32_e32 vcc_lo, s5, v8
	v_cndmask_b32_e32 v8, v8, v9, vcc_lo
	v_subrev_nc_u32_e32 v9, s5, v8
	v_cmp_le_u32_e32 vcc_lo, s5, v8
	v_cndmask_b32_e32 v8, v8, v9, vcc_lo
	v_xor_b32_e32 v8, v8, v7
	v_sub_nc_u32_e32 v7, v8, v7
	v_cmp_eq_u32_e32 vcc_lo, 0, v7
	s_or_b32 s0, vcc_lo, s0
	s_and_saveexec_b32 s18, s0
	s_cbranch_execz .LBB256_486
; %bb.488:                              ;   in Loop: Header=BB256_487 Depth=1
	global_load_dword v1, v[5:6], off
	ds_read2_b64 v[32:35], v29 offset1:1
	ds_read2_b64 v[36:39], v29 offset0:2 offset1:3
	s_waitcnt lgkmcnt(1)
	;;#ASMSTART
	v_cvt_f16_f32 v40, v32;

	;;#ASMEND
	;;#ASMSTART
	v_cvt_f16_f32 v41, v33;

	;;#ASMEND
	;; [unrolled: 4-line block ×4, first 2 shown]
	s_waitcnt lgkmcnt(0)
	;;#ASMSTART
	v_cvt_f16_f32 v45, v36;

	;;#ASMEND
	;;#ASMSTART
	v_cvt_f16_f32 v43, v37;

	;;#ASMEND
	;; [unrolled: 4-line block ×4, first 2 shown]
	v_mov_b32_e32 v34, 0
	v_mov_b32_e32 v35, 0
	global_load_dword v33, v34, s[14:15]
	s_waitcnt vmcnt(1)
	v_mad_i64_i32 v[7:8], null, v1, s12, v[3:4]
	global_load_dwordx2 v[9:10], v[7:8], off
	s_waitcnt vmcnt(0)
	v_cmp_ne_u16_sdwa s21, v9, v2 src0_sel:BYTE_0 src1_sel:DWORD
	s_and_saveexec_b32 s0, s21
	s_cbranch_execz .LBB256_496
; %bb.489:                              ;   in Loop: Header=BB256_487 Depth=1
	v_cmp_ne_u16_sdwa s22, v9, v15 src0_sel:BYTE_0 src1_sel:DWORD
	v_mov_b32_e32 v35, 0x8000
	s_and_saveexec_b32 s21, s22
	s_cbranch_execz .LBB256_495
; %bb.490:                              ;   in Loop: Header=BB256_487 Depth=1
	v_and_b32_e32 v36, 0x7f, v9
	v_mov_b32_e32 v35, 0x7c01
	s_mov_b32 s22, exec_lo
	v_cmpx_ne_u32_e32 0x7f, v36
	s_cbranch_execz .LBB256_494
; %bb.491:                              ;   in Loop: Header=BB256_487 Depth=1
	v_and_b32_e32 v1, 7, v9
	v_lshrrev_b32_e32 v32, 3, v36
	s_mov_b32 s26, exec_lo
	v_cmpx_gt_u32_e32 8, v36
; %bb.492:                              ;   in Loop: Header=BB256_487 Depth=1
	v_ffbh_u32_e32 v1, v1
	v_min_u32_e32 v1, 32, v1
	v_subrev_nc_u32_e32 v32, 28, v1
	v_lshlrev_b64 v[35:36], v32, v[9:10]
	v_sub_nc_u32_e32 v32, 29, v1
	v_and_b32_e32 v1, 7, v35
; %bb.493:                              ;   in Loop: Header=BB256_487 Depth=1
	s_or_b32 exec_lo, exec_lo, s26
	v_lshlrev_b32_e32 v35, 8, v9
	v_lshl_add_u32 v32, v32, 10, 0x2000
	v_lshlrev_b32_e32 v1, 7, v1
	v_and_b32_e32 v35, 0x8000, v35
	v_and_b32_e32 v32, 0xfc00, v32
	v_or3_b32 v35, v35, v32, v1
.LBB256_494:                            ;   in Loop: Header=BB256_487 Depth=1
	s_or_b32 exec_lo, exec_lo, s22
.LBB256_495:                            ;   in Loop: Header=BB256_487 Depth=1
	s_or_b32 exec_lo, exec_lo, s21
.LBB256_496:                            ;   in Loop: Header=BB256_487 Depth=1
	s_or_b32 exec_lo, exec_lo, s0
	v_lshrrev_b16 v1, 8, v9
	s_mov_b32 s0, exec_lo
	v_cmpx_ne_u16_e32 0, v1
	s_cbranch_execz .LBB256_504
; %bb.497:                              ;   in Loop: Header=BB256_487 Depth=1
	v_bfrev_b32_e32 v34, 1
	s_mov_b32 s21, exec_lo
	v_cmpx_ne_u16_e32 0x80, v1
	s_cbranch_execz .LBB256_503
; %bb.498:                              ;   in Loop: Header=BB256_487 Depth=1
	v_and_b32_sdwa v36, v1, v26 dst_sel:DWORD dst_unused:UNUSED_PAD src0_sel:WORD_0 src1_sel:DWORD
	v_mov_b32_e32 v34, 0x7c010000
	s_mov_b32 s22, exec_lo
	v_cmpx_ne_u32_e32 0x7f, v36
	s_cbranch_execz .LBB256_502
; %bb.499:                              ;   in Loop: Header=BB256_487 Depth=1
	v_and_b32_sdwa v32, v1, v27 dst_sel:DWORD dst_unused:UNUSED_PAD src0_sel:WORD_0 src1_sel:DWORD
	v_lshrrev_b32_e32 v34, 3, v36
	s_mov_b32 s26, exec_lo
	v_cmpx_gt_u32_e32 8, v36
; %bb.500:                              ;   in Loop: Header=BB256_487 Depth=1
	v_ffbh_u32_e32 v32, v32
	v_min_u32_e32 v32, 32, v32
	v_subrev_nc_u32_e32 v34, 28, v32
	v_lshlrev_b64 v[36:37], v34, v[1:2]
	v_sub_nc_u32_e32 v34, 29, v32
	v_and_b32_e32 v32, 7, v36
; %bb.501:                              ;   in Loop: Header=BB256_487 Depth=1
	s_or_b32 exec_lo, exec_lo, s26
	v_lshlrev_b32_sdwa v1, v28, v1 dst_sel:DWORD dst_unused:UNUSED_PAD src0_sel:DWORD src1_sel:WORD_0
	v_lshl_add_u32 v34, v34, 10, 0x2000
	v_lshlrev_b32_e32 v32, 23, v32
	v_and_or_b32 v1, 0x8000, v1, v34
	v_lshl_or_b32 v34, v1, 16, v32
.LBB256_502:                            ;   in Loop: Header=BB256_487 Depth=1
	s_or_b32 exec_lo, exec_lo, s22
.LBB256_503:                            ;   in Loop: Header=BB256_487 Depth=1
	s_or_b32 exec_lo, exec_lo, s21
.LBB256_504:                            ;   in Loop: Header=BB256_487 Depth=1
	s_or_b32 exec_lo, exec_lo, s0
	v_lshrrev_b32_e32 v1, 16, v9
	v_mov_b32_e32 v36, 0
	v_mov_b32_e32 v32, 0
	v_cmp_ne_u16_sdwa s21, v1, v2 src0_sel:BYTE_0 src1_sel:DWORD
	s_and_saveexec_b32 s0, s21
	s_cbranch_execz .LBB256_512
; %bb.505:                              ;   in Loop: Header=BB256_487 Depth=1
	v_cmp_ne_u16_sdwa s22, v1, v15 src0_sel:BYTE_0 src1_sel:DWORD
	v_mov_b32_e32 v32, 0x8000
	s_and_saveexec_b32 s21, s22
	s_cbranch_execz .LBB256_511
; %bb.506:                              ;   in Loop: Header=BB256_487 Depth=1
	v_bfe_u32 v38, v9, 16, 7
	v_mov_b32_e32 v32, 0x7c01
	s_mov_b32 s22, exec_lo
	v_cmpx_ne_u32_e32 0x7f, v38
	s_cbranch_execz .LBB256_510
; %bb.507:                              ;   in Loop: Header=BB256_487 Depth=1
	v_and_b32_e32 v32, 7, v1
	v_lshrrev_b32_e32 v37, 3, v38
	s_mov_b32 s26, exec_lo
	v_cmpx_gt_u32_e32 8, v38
; %bb.508:                              ;   in Loop: Header=BB256_487 Depth=1
	v_ffbh_u32_e32 v32, v32
	v_min_u32_e32 v32, 32, v32
	v_subrev_nc_u32_e32 v37, 28, v32
	v_lshlrev_b64 v[38:39], v37, v[1:2]
	v_sub_nc_u32_e32 v37, 29, v32
	v_and_b32_e32 v32, 7, v38
; %bb.509:                              ;   in Loop: Header=BB256_487 Depth=1
	s_or_b32 exec_lo, exec_lo, s26
	v_lshlrev_b32_e32 v1, 8, v1
	v_lshl_add_u32 v37, v37, 10, 0x2000
	v_lshlrev_b32_e32 v32, 7, v32
	v_and_b32_e32 v1, 0x8000, v1
	v_and_b32_e32 v37, 0xfc00, v37
	v_or3_b32 v32, v1, v37, v32
.LBB256_510:                            ;   in Loop: Header=BB256_487 Depth=1
	s_or_b32 exec_lo, exec_lo, s22
.LBB256_511:                            ;   in Loop: Header=BB256_487 Depth=1
	s_or_b32 exec_lo, exec_lo, s21
.LBB256_512:                            ;   in Loop: Header=BB256_487 Depth=1
	s_or_b32 exec_lo, exec_lo, s0
	s_mov_b32 s0, exec_lo
	v_cmpx_lt_u32_e32 0xffffff, v9
	s_cbranch_execz .LBB256_520
; %bb.513:                              ;   in Loop: Header=BB256_487 Depth=1
	v_lshrrev_b32_e32 v1, 24, v9
	v_bfrev_b32_e32 v36, 1
	s_mov_b32 s21, exec_lo
	v_cmpx_ne_u32_e32 0x80, v1
	s_cbranch_execz .LBB256_519
; %bb.514:                              ;   in Loop: Header=BB256_487 Depth=1
	v_and_b32_e32 v38, 0x7f, v1
	v_mov_b32_e32 v36, 0x7c010000
	s_mov_b32 s22, exec_lo
	v_cmpx_ne_u32_e32 0x7f, v38
	s_cbranch_execz .LBB256_518
; %bb.515:                              ;   in Loop: Header=BB256_487 Depth=1
	v_and_b32_e32 v36, 7, v1
	v_lshrrev_b32_e32 v37, 3, v38
	s_mov_b32 s26, exec_lo
	v_cmpx_gt_u32_e32 8, v38
; %bb.516:                              ;   in Loop: Header=BB256_487 Depth=1
	v_ffbh_u32_e32 v36, v36
	v_min_u32_e32 v38, 32, v36
	v_subrev_nc_u32_e32 v36, 28, v38
	v_lshlrev_b64 v[36:37], v36, v[1:2]
	v_sub_nc_u32_e32 v37, 29, v38
	v_and_b32_e32 v36, 7, v36
; %bb.517:                              ;   in Loop: Header=BB256_487 Depth=1
	s_or_b32 exec_lo, exec_lo, s26
	v_lshlrev_b32_e32 v1, 8, v1
	v_lshl_add_u32 v37, v37, 10, 0x2000
	v_lshlrev_b32_e32 v36, 23, v36
	v_and_or_b32 v1, 0x8000, v1, v37
	v_lshl_or_b32 v36, v1, 16, v36
.LBB256_518:                            ;   in Loop: Header=BB256_487 Depth=1
	s_or_b32 exec_lo, exec_lo, s22
.LBB256_519:                            ;   in Loop: Header=BB256_487 Depth=1
	s_or_b32 exec_lo, exec_lo, s21
.LBB256_520:                            ;   in Loop: Header=BB256_487 Depth=1
	s_or_b32 exec_lo, exec_lo, s0
	v_mov_b32_e32 v1, v10
	v_cmp_ne_u16_sdwa s21, v10, v2 src0_sel:BYTE_0 src1_sel:DWORD
	v_mov_b32_e32 v37, 0
	v_mov_b32_e32 v38, 0
	s_and_saveexec_b32 s0, s21
	s_cbranch_execz .LBB256_528
; %bb.521:                              ;   in Loop: Header=BB256_487 Depth=1
	v_cmp_ne_u16_sdwa s22, v10, v15 src0_sel:BYTE_0 src1_sel:DWORD
	v_mov_b32_e32 v38, 0x8000
	s_and_saveexec_b32 s21, s22
	s_cbranch_execz .LBB256_527
; %bb.522:                              ;   in Loop: Header=BB256_487 Depth=1
	v_and_b32_e32 v48, 0x7f, v10
	v_mov_b32_e32 v38, 0x7c01
	s_mov_b32 s22, exec_lo
	v_cmpx_ne_u32_e32 0x7f, v48
	s_cbranch_execz .LBB256_526
; %bb.523:                              ;   in Loop: Header=BB256_487 Depth=1
	v_and_b32_e32 v38, 7, v10
	v_lshrrev_b32_e32 v39, 3, v48
	s_mov_b32 s26, exec_lo
	v_cmpx_gt_u32_e32 8, v48
; %bb.524:                              ;   in Loop: Header=BB256_487 Depth=1
	v_ffbh_u32_e32 v38, v38
	v_min_u32_e32 v48, 32, v38
	v_subrev_nc_u32_e32 v38, 28, v48
	v_lshlrev_b64 v[38:39], v38, v[1:2]
	v_sub_nc_u32_e32 v39, 29, v48
	v_and_b32_e32 v38, 7, v38
; %bb.525:                              ;   in Loop: Header=BB256_487 Depth=1
	s_or_b32 exec_lo, exec_lo, s26
	v_lshlrev_b32_e32 v48, 8, v10
	v_lshl_add_u32 v39, v39, 10, 0x2000
	v_lshlrev_b32_e32 v38, 7, v38
	v_and_b32_e32 v48, 0x8000, v48
	v_and_b32_e32 v39, 0xfc00, v39
	v_or3_b32 v38, v48, v39, v38
.LBB256_526:                            ;   in Loop: Header=BB256_487 Depth=1
	s_or_b32 exec_lo, exec_lo, s22
.LBB256_527:                            ;   in Loop: Header=BB256_487 Depth=1
	s_or_b32 exec_lo, exec_lo, s21
.LBB256_528:                            ;   in Loop: Header=BB256_487 Depth=1
	s_or_b32 exec_lo, exec_lo, s0
	v_lshrrev_b16 v1, 8, v1
	v_mov_b32_e32 v39, 0
	s_mov_b32 s0, exec_lo
	v_cmpx_ne_u16_e32 0, v1
	s_cbranch_execz .LBB256_536
; %bb.529:                              ;   in Loop: Header=BB256_487 Depth=1
	v_bfrev_b32_e32 v39, 1
	s_mov_b32 s21, exec_lo
	v_cmpx_ne_u16_e32 0x80, v1
	s_cbranch_execz .LBB256_535
; %bb.530:                              ;   in Loop: Header=BB256_487 Depth=1
	v_and_b32_sdwa v49, v1, v26 dst_sel:DWORD dst_unused:UNUSED_PAD src0_sel:WORD_0 src1_sel:DWORD
	v_mov_b32_e32 v39, 0x7c010000
	s_mov_b32 s22, exec_lo
	v_cmpx_ne_u32_e32 0x7f, v49
	s_cbranch_execz .LBB256_534
; %bb.531:                              ;   in Loop: Header=BB256_487 Depth=1
	v_and_b32_sdwa v39, v1, v27 dst_sel:DWORD dst_unused:UNUSED_PAD src0_sel:WORD_0 src1_sel:DWORD
	v_lshrrev_b32_e32 v48, 3, v49
	s_mov_b32 s26, exec_lo
	v_cmpx_gt_u32_e32 8, v49
; %bb.532:                              ;   in Loop: Header=BB256_487 Depth=1
	v_ffbh_u32_e32 v39, v39
	v_min_u32_e32 v39, 32, v39
	v_subrev_nc_u32_e32 v48, 28, v39
	v_lshlrev_b64 v[49:50], v48, v[1:2]
	v_sub_nc_u32_e32 v48, 29, v39
	v_and_b32_e32 v39, 7, v49
; %bb.533:                              ;   in Loop: Header=BB256_487 Depth=1
	s_or_b32 exec_lo, exec_lo, s26
	v_lshlrev_b32_sdwa v1, v28, v1 dst_sel:DWORD dst_unused:UNUSED_PAD src0_sel:DWORD src1_sel:WORD_0
	v_lshl_add_u32 v48, v48, 10, 0x2000
	v_lshlrev_b32_e32 v39, 23, v39
	v_and_or_b32 v1, 0x8000, v1, v48
	v_lshl_or_b32 v39, v1, 16, v39
.LBB256_534:                            ;   in Loop: Header=BB256_487 Depth=1
	s_or_b32 exec_lo, exec_lo, s22
.LBB256_535:                            ;   in Loop: Header=BB256_487 Depth=1
	s_or_b32 exec_lo, exec_lo, s21
.LBB256_536:                            ;   in Loop: Header=BB256_487 Depth=1
	s_or_b32 exec_lo, exec_lo, s0
	v_lshrrev_b32_e32 v1, 16, v10
	v_cmp_ne_u16_sdwa s21, v1, v2 src0_sel:BYTE_0 src1_sel:DWORD
	s_and_saveexec_b32 s0, s21
	s_cbranch_execz .LBB256_544
; %bb.537:                              ;   in Loop: Header=BB256_487 Depth=1
	v_cmp_ne_u16_sdwa s22, v1, v15 src0_sel:BYTE_0 src1_sel:DWORD
	v_mov_b32_e32 v37, 0x8000
	s_and_saveexec_b32 s21, s22
	s_cbranch_execz .LBB256_543
; %bb.538:                              ;   in Loop: Header=BB256_487 Depth=1
	v_bfe_u32 v49, v10, 16, 7
	v_mov_b32_e32 v37, 0x7c01
	s_mov_b32 s22, exec_lo
	v_cmpx_ne_u32_e32 0x7f, v49
	s_cbranch_execz .LBB256_542
; %bb.539:                              ;   in Loop: Header=BB256_487 Depth=1
	v_and_b32_e32 v37, 7, v1
	v_lshrrev_b32_e32 v48, 3, v49
	s_mov_b32 s26, exec_lo
	v_cmpx_gt_u32_e32 8, v49
; %bb.540:                              ;   in Loop: Header=BB256_487 Depth=1
	v_ffbh_u32_e32 v37, v37
	v_min_u32_e32 v37, 32, v37
	v_subrev_nc_u32_e32 v48, 28, v37
	v_lshlrev_b64 v[49:50], v48, v[1:2]
	v_sub_nc_u32_e32 v48, 29, v37
	v_and_b32_e32 v37, 7, v49
; %bb.541:                              ;   in Loop: Header=BB256_487 Depth=1
	s_or_b32 exec_lo, exec_lo, s26
	v_lshlrev_b32_e32 v1, 8, v1
	v_lshl_add_u32 v48, v48, 10, 0x2000
	v_lshlrev_b32_e32 v37, 7, v37
	v_and_b32_e32 v1, 0x8000, v1
	v_and_b32_e32 v48, 0xfc00, v48
	v_or3_b32 v37, v1, v48, v37
.LBB256_542:                            ;   in Loop: Header=BB256_487 Depth=1
	s_or_b32 exec_lo, exec_lo, s22
.LBB256_543:                            ;   in Loop: Header=BB256_487 Depth=1
	s_or_b32 exec_lo, exec_lo, s21
.LBB256_544:                            ;   in Loop: Header=BB256_487 Depth=1
	s_or_b32 exec_lo, exec_lo, s0
	v_cmp_lt_u64_e32 vcc_lo, s[2:3], v[9:10]
	v_mov_b32_e32 v9, 0
	s_and_saveexec_b32 s0, vcc_lo
	s_cbranch_execz .LBB256_552
; %bb.545:                              ;   in Loop: Header=BB256_487 Depth=1
	v_lshrrev_b32_e32 v1, 24, v10
	v_bfrev_b32_e32 v9, 1
	s_mov_b32 s21, exec_lo
	v_cmpx_ne_u32_e32 0x80, v1
	s_cbranch_execz .LBB256_551
; %bb.546:                              ;   in Loop: Header=BB256_487 Depth=1
	v_and_b32_e32 v48, 0x7f, v1
	v_mov_b32_e32 v9, 0x7c010000
	s_mov_b32 s22, exec_lo
	v_cmpx_ne_u32_e32 0x7f, v48
	s_cbranch_execz .LBB256_550
; %bb.547:                              ;   in Loop: Header=BB256_487 Depth=1
	v_and_b32_e32 v9, 7, v1
	v_lshrrev_b32_e32 v10, 3, v48
	s_mov_b32 s26, exec_lo
	v_cmpx_gt_u32_e32 8, v48
; %bb.548:                              ;   in Loop: Header=BB256_487 Depth=1
	v_ffbh_u32_e32 v9, v9
	v_min_u32_e32 v48, 32, v9
	v_subrev_nc_u32_e32 v9, 28, v48
	v_lshlrev_b64 v[9:10], v9, v[1:2]
	v_sub_nc_u32_e32 v10, 29, v48
	v_and_b32_e32 v9, 7, v9
; %bb.549:                              ;   in Loop: Header=BB256_487 Depth=1
	s_or_b32 exec_lo, exec_lo, s26
	v_lshlrev_b32_e32 v1, 8, v1
	v_lshl_add_u32 v10, v10, 10, 0x2000
	v_lshlrev_b32_e32 v9, 23, v9
	v_and_or_b32 v1, 0x8000, v1, v10
	v_lshl_or_b32 v9, v1, 16, v9
.LBB256_550:                            ;   in Loop: Header=BB256_487 Depth=1
	s_or_b32 exec_lo, exec_lo, s22
.LBB256_551:                            ;   in Loop: Header=BB256_487 Depth=1
	s_or_b32 exec_lo, exec_lo, s21
.LBB256_552:                            ;   in Loop: Header=BB256_487 Depth=1
	s_or_b32 exec_lo, exec_lo, s0
	v_or_b32_e32 v1, v36, v32
	v_fma_mixlo_f16 v10, v33, v36, 0 op_sel:[0,1,0] op_sel_hi:[0,1,0]
	v_or_b32_e32 v35, v34, v35
	v_fma_mixlo_f16 v34, v33, v34, 0 op_sel:[0,1,0] op_sel_hi:[0,1,0]
	v_or_b32_e32 v36, v39, v38
	v_fma_mixlo_f16 v1, v33, v1, 0 op_sel_hi:[0,1,0]
	v_or_b32_e32 v37, v9, v37
	v_fma_mixlo_f16 v9, v33, v9, 0 op_sel:[0,1,0] op_sel_hi:[0,1,0]
	v_lshlrev_b32_e32 v54, 16, v34
	v_fma_mixlo_f16 v34, v33, v39, 0 op_sel:[0,1,0] op_sel_hi:[0,1,0]
	v_and_b32_e32 v51, 0xffff, v1
	v_fma_mixlo_f16 v1, v33, v35, 0 op_sel_hi:[0,1,0]
	v_fma_mixlo_f16 v35, v33, v36, 0 op_sel_hi:[0,1,0]
	v_fma_mixlo_f16 v33, v33, v37, 0 op_sel_hi:[0,1,0]
	v_add_nc_u32_e32 v32, v25, v14
	v_lshlrev_b32_e32 v10, 16, v10
	v_and_b32_e32 v56, 0xffff, v1
	v_lshlrev_b32_e32 v52, 16, v34
	v_and_b32_e32 v55, 0xffff, v35
	;; [unrolled: 2-line block ×3, first 2 shown]
	v_cmp_eq_u32_e32 vcc_lo, s13, v31
	v_or_b32_e32 v1, v10, v51
	v_or_b32_e32 v9, v54, v56
	;; [unrolled: 1-line block ×4, first 2 shown]
	v_add_nc_u32_e32 v39, 1, v32
	v_add_nc_u32_e32 v38, 2, v32
	v_add_nc_u32_e32 v37, 3, v32
	v_add_nc_u32_e32 v36, 4, v32
	v_add_nc_u32_e32 v35, 5, v32
	v_add_nc_u32_e32 v34, 6, v32
	v_add_nc_u32_e32 v33, 7, v32
	s_and_saveexec_b32 s21, vcc_lo
	s_cbranch_execz .LBB256_554
; %bb.553:                              ;   in Loop: Header=BB256_487 Depth=1
	v_cmp_gt_i32_e64 s0, s33, v32
	v_cndmask_b32_e64 v1, 0, v56, s0
	v_cmp_gt_i32_e64 s0, s33, v39
	v_cndmask_b32_e64 v9, 0, v54, s0
	v_cmp_gt_i32_e64 s0, s33, v38
	v_or_b32_e32 v9, v9, v1
	v_cndmask_b32_e64 v48, 0, v51, s0
	v_cmp_gt_i32_e64 s0, s33, v37
	v_cndmask_b32_e64 v10, 0, v10, s0
	v_cmp_gt_i32_e64 s0, s33, v36
	v_or_b32_e32 v1, v10, v48
	;; [unrolled: 5-line block ×3, first 2 shown]
	v_cndmask_b32_e64 v52, 0, v53, s0
	v_cmp_gt_i32_e64 s0, s33, v33
	v_cndmask_b32_e64 v49, 0, v49, s0
	v_or_b32_e32 v50, v49, v52
.LBB256_554:                            ;   in Loop: Header=BB256_487 Depth=1
	s_or_b32 exec_lo, exec_lo, s21
	v_and_b32_e32 v10, 0xffff, v40
	v_and_b32_e32 v40, 0xffff, v44
	;; [unrolled: 1-line block ×4, first 2 shown]
	v_lshl_or_b32 v45, v41, 16, v10
	v_lshl_or_b32 v44, v42, 16, v40
	;;#ASMSTART
	v_pk_mul_f16 v9, v45, v9;

	;;#ASMEND
	;;#ASMSTART
	v_pk_mul_f16 v1, v44, v1;

	;;#ASMEND
	v_lshl_or_b32 v43, v43, 16, v49
	v_lshl_or_b32 v42, v46, 16, v47
	;;#ASMSTART
	v_pk_mul_f16 v10, v43, v48;

	;;#ASMEND
	;;#ASMSTART
	v_pk_mul_f16 v40, v42, v50;

	;;#ASMEND
	;;#ASMSTART
	v_pk_add_f16 v1, v9, v1;

	;;#ASMEND
	;;#ASMSTART
	v_pk_add_f16 v1, v1, v10;
	;; [unrolled: 4-line block ×3, first 2 shown]

	;;#ASMEND
	v_and_b32_e32 v9, 0xffff, v1
	v_lshrrev_b32_e32 v1, 16, v1
	;;#ASMSTART
	v_cvt_f32_f16 v40, v9;
	;;#ASMEND
	;;#ASMSTART
	v_cvt_f32_f16 v41, v1;
	;;#ASMEND
	global_load_dwordx2 v[9:10], v[7:8], off offset:256
	v_mov_b32_e32 v47, 0
	v_mov_b32_e32 v48, 0
	global_load_dword v46, v47, s[14:15]
	s_waitcnt vmcnt(1)
	v_cmp_ne_u16_sdwa s0, v9, v2 src0_sel:BYTE_0 src1_sel:DWORD
	s_and_saveexec_b32 s21, s0
	s_cbranch_execz .LBB256_562
; %bb.555:                              ;   in Loop: Header=BB256_487 Depth=1
	v_cmp_ne_u16_sdwa s0, v9, v15 src0_sel:BYTE_0 src1_sel:DWORD
	v_mov_b32_e32 v48, 0x8000
	s_and_saveexec_b32 s22, s0
	s_cbranch_execz .LBB256_561
; %bb.556:                              ;   in Loop: Header=BB256_487 Depth=1
	v_and_b32_e32 v49, 0x7f, v9
	v_mov_b32_e32 v48, 0x7c01
	s_mov_b32 s26, exec_lo
	v_cmpx_ne_u32_e32 0x7f, v49
	s_cbranch_execz .LBB256_560
; %bb.557:                              ;   in Loop: Header=BB256_487 Depth=1
	v_and_b32_e32 v1, 7, v9
	v_lshrrev_b32_e32 v48, 3, v49
	s_mov_b32 s27, exec_lo
	v_cmpx_gt_u32_e32 8, v49
; %bb.558:                              ;   in Loop: Header=BB256_487 Depth=1
	v_ffbh_u32_e32 v1, v1
	v_min_u32_e32 v1, 32, v1
	v_subrev_nc_u32_e32 v48, 28, v1
	v_lshlrev_b64 v[49:50], v48, v[9:10]
	v_sub_nc_u32_e32 v48, 29, v1
	v_and_b32_e32 v1, 7, v49
; %bb.559:                              ;   in Loop: Header=BB256_487 Depth=1
	s_or_b32 exec_lo, exec_lo, s27
	v_lshlrev_b32_e32 v49, 8, v9
	v_lshl_add_u32 v48, v48, 10, 0x2000
	v_lshlrev_b32_e32 v1, 7, v1
	v_and_b32_e32 v49, 0x8000, v49
	v_and_b32_e32 v48, 0xfc00, v48
	v_or3_b32 v48, v49, v48, v1
.LBB256_560:                            ;   in Loop: Header=BB256_487 Depth=1
	s_or_b32 exec_lo, exec_lo, s26
.LBB256_561:                            ;   in Loop: Header=BB256_487 Depth=1
	s_or_b32 exec_lo, exec_lo, s22
.LBB256_562:                            ;   in Loop: Header=BB256_487 Depth=1
	s_or_b32 exec_lo, exec_lo, s21
	v_lshrrev_b16 v1, 8, v9
	s_mov_b32 s21, exec_lo
	v_cmpx_ne_u16_e32 0, v1
	s_cbranch_execz .LBB256_570
; %bb.563:                              ;   in Loop: Header=BB256_487 Depth=1
	v_bfrev_b32_e32 v47, 1
	s_mov_b32 s22, exec_lo
	v_cmpx_ne_u16_e32 0x80, v1
	s_cbranch_execz .LBB256_569
; %bb.564:                              ;   in Loop: Header=BB256_487 Depth=1
	v_and_b32_sdwa v50, v1, v26 dst_sel:DWORD dst_unused:UNUSED_PAD src0_sel:WORD_0 src1_sel:DWORD
	v_mov_b32_e32 v47, 0x7c010000
	s_mov_b32 s26, exec_lo
	v_cmpx_ne_u32_e32 0x7f, v50
	s_cbranch_execz .LBB256_568
; %bb.565:                              ;   in Loop: Header=BB256_487 Depth=1
	v_and_b32_sdwa v47, v1, v27 dst_sel:DWORD dst_unused:UNUSED_PAD src0_sel:WORD_0 src1_sel:DWORD
	v_lshrrev_b32_e32 v49, 3, v50
	s_mov_b32 s27, exec_lo
	v_cmpx_gt_u32_e32 8, v50
; %bb.566:                              ;   in Loop: Header=BB256_487 Depth=1
	v_ffbh_u32_e32 v47, v47
	v_min_u32_e32 v47, 32, v47
	v_subrev_nc_u32_e32 v49, 28, v47
	v_lshlrev_b64 v[50:51], v49, v[1:2]
	v_sub_nc_u32_e32 v49, 29, v47
	v_and_b32_e32 v47, 7, v50
; %bb.567:                              ;   in Loop: Header=BB256_487 Depth=1
	s_or_b32 exec_lo, exec_lo, s27
	v_lshlrev_b32_sdwa v1, v28, v1 dst_sel:DWORD dst_unused:UNUSED_PAD src0_sel:DWORD src1_sel:WORD_0
	v_lshl_add_u32 v49, v49, 10, 0x2000
	v_lshlrev_b32_e32 v47, 23, v47
	v_and_or_b32 v1, 0x8000, v1, v49
	v_lshl_or_b32 v47, v1, 16, v47
.LBB256_568:                            ;   in Loop: Header=BB256_487 Depth=1
	s_or_b32 exec_lo, exec_lo, s26
.LBB256_569:                            ;   in Loop: Header=BB256_487 Depth=1
	s_or_b32 exec_lo, exec_lo, s22
.LBB256_570:                            ;   in Loop: Header=BB256_487 Depth=1
	s_or_b32 exec_lo, exec_lo, s21
	v_lshrrev_b32_e32 v1, 16, v9
	v_mov_b32_e32 v49, 0
	v_mov_b32_e32 v50, 0
	v_cmp_ne_u16_sdwa s0, v1, v2 src0_sel:BYTE_0 src1_sel:DWORD
	s_and_saveexec_b32 s21, s0
	s_cbranch_execz .LBB256_578
; %bb.571:                              ;   in Loop: Header=BB256_487 Depth=1
	v_cmp_ne_u16_sdwa s0, v1, v15 src0_sel:BYTE_0 src1_sel:DWORD
	v_mov_b32_e32 v50, 0x8000
	s_and_saveexec_b32 s22, s0
	s_cbranch_execz .LBB256_577
; %bb.572:                              ;   in Loop: Header=BB256_487 Depth=1
	v_bfe_u32 v52, v9, 16, 7
	v_mov_b32_e32 v50, 0x7c01
	s_mov_b32 s26, exec_lo
	v_cmpx_ne_u32_e32 0x7f, v52
	s_cbranch_execz .LBB256_576
; %bb.573:                              ;   in Loop: Header=BB256_487 Depth=1
	v_and_b32_e32 v50, 7, v1
	v_lshrrev_b32_e32 v51, 3, v52
	s_mov_b32 s27, exec_lo
	v_cmpx_gt_u32_e32 8, v52
; %bb.574:                              ;   in Loop: Header=BB256_487 Depth=1
	v_ffbh_u32_e32 v50, v50
	v_min_u32_e32 v52, 32, v50
	v_subrev_nc_u32_e32 v50, 28, v52
	v_lshlrev_b64 v[50:51], v50, v[1:2]
	v_sub_nc_u32_e32 v51, 29, v52
	v_and_b32_e32 v50, 7, v50
; %bb.575:                              ;   in Loop: Header=BB256_487 Depth=1
	s_or_b32 exec_lo, exec_lo, s27
	v_lshlrev_b32_e32 v1, 8, v1
	v_lshl_add_u32 v51, v51, 10, 0x2000
	v_lshlrev_b32_e32 v50, 7, v50
	v_and_b32_e32 v1, 0x8000, v1
	v_and_b32_e32 v51, 0xfc00, v51
	v_or3_b32 v50, v1, v51, v50
.LBB256_576:                            ;   in Loop: Header=BB256_487 Depth=1
	s_or_b32 exec_lo, exec_lo, s26
.LBB256_577:                            ;   in Loop: Header=BB256_487 Depth=1
	s_or_b32 exec_lo, exec_lo, s22
.LBB256_578:                            ;   in Loop: Header=BB256_487 Depth=1
	s_or_b32 exec_lo, exec_lo, s21
	s_mov_b32 s21, exec_lo
	v_cmpx_lt_u32_e32 0xffffff, v9
	s_cbranch_execz .LBB256_586
; %bb.579:                              ;   in Loop: Header=BB256_487 Depth=1
	v_lshrrev_b32_e32 v1, 24, v9
	v_bfrev_b32_e32 v49, 1
	s_mov_b32 s22, exec_lo
	v_cmpx_ne_u32_e32 0x80, v1
	s_cbranch_execz .LBB256_585
; %bb.580:                              ;   in Loop: Header=BB256_487 Depth=1
	v_and_b32_e32 v52, 0x7f, v1
	v_mov_b32_e32 v49, 0x7c010000
	s_mov_b32 s26, exec_lo
	v_cmpx_ne_u32_e32 0x7f, v52
	s_cbranch_execz .LBB256_584
; %bb.581:                              ;   in Loop: Header=BB256_487 Depth=1
	v_and_b32_e32 v49, 7, v1
	v_lshrrev_b32_e32 v51, 3, v52
	s_mov_b32 s27, exec_lo
	v_cmpx_gt_u32_e32 8, v52
; %bb.582:                              ;   in Loop: Header=BB256_487 Depth=1
	v_ffbh_u32_e32 v49, v49
	v_min_u32_e32 v49, 32, v49
	v_subrev_nc_u32_e32 v51, 28, v49
	v_lshlrev_b64 v[52:53], v51, v[1:2]
	v_sub_nc_u32_e32 v51, 29, v49
	v_and_b32_e32 v49, 7, v52
; %bb.583:                              ;   in Loop: Header=BB256_487 Depth=1
	s_or_b32 exec_lo, exec_lo, s27
	v_lshlrev_b32_e32 v1, 8, v1
	v_lshl_add_u32 v51, v51, 10, 0x2000
	v_lshlrev_b32_e32 v49, 23, v49
	v_and_or_b32 v1, 0x8000, v1, v51
	v_lshl_or_b32 v49, v1, 16, v49
.LBB256_584:                            ;   in Loop: Header=BB256_487 Depth=1
	s_or_b32 exec_lo, exec_lo, s26
.LBB256_585:                            ;   in Loop: Header=BB256_487 Depth=1
	s_or_b32 exec_lo, exec_lo, s22
.LBB256_586:                            ;   in Loop: Header=BB256_487 Depth=1
	s_or_b32 exec_lo, exec_lo, s21
	v_mov_b32_e32 v1, v10
	v_cmp_ne_u16_sdwa s0, v10, v2 src0_sel:BYTE_0 src1_sel:DWORD
	v_mov_b32_e32 v51, 0
	v_mov_b32_e32 v52, 0
	s_and_saveexec_b32 s21, s0
	s_cbranch_execz .LBB256_594
; %bb.587:                              ;   in Loop: Header=BB256_487 Depth=1
	v_cmp_ne_u16_sdwa s0, v10, v15 src0_sel:BYTE_0 src1_sel:DWORD
	v_mov_b32_e32 v52, 0x8000
	s_and_saveexec_b32 s22, s0
	s_cbranch_execz .LBB256_593
; %bb.588:                              ;   in Loop: Header=BB256_487 Depth=1
	v_and_b32_e32 v54, 0x7f, v10
	v_mov_b32_e32 v52, 0x7c01
	s_mov_b32 s26, exec_lo
	v_cmpx_ne_u32_e32 0x7f, v54
	s_cbranch_execz .LBB256_592
; %bb.589:                              ;   in Loop: Header=BB256_487 Depth=1
	v_and_b32_e32 v52, 7, v10
	v_lshrrev_b32_e32 v53, 3, v54
	s_mov_b32 s27, exec_lo
	v_cmpx_gt_u32_e32 8, v54
; %bb.590:                              ;   in Loop: Header=BB256_487 Depth=1
	v_ffbh_u32_e32 v52, v52
	v_min_u32_e32 v54, 32, v52
	v_subrev_nc_u32_e32 v52, 28, v54
	v_lshlrev_b64 v[52:53], v52, v[1:2]
	v_sub_nc_u32_e32 v53, 29, v54
	v_and_b32_e32 v52, 7, v52
; %bb.591:                              ;   in Loop: Header=BB256_487 Depth=1
	s_or_b32 exec_lo, exec_lo, s27
	v_lshlrev_b32_e32 v54, 8, v10
	v_lshl_add_u32 v53, v53, 10, 0x2000
	v_lshlrev_b32_e32 v52, 7, v52
	v_and_b32_e32 v54, 0x8000, v54
	v_and_b32_e32 v53, 0xfc00, v53
	v_or3_b32 v52, v54, v53, v52
.LBB256_592:                            ;   in Loop: Header=BB256_487 Depth=1
	s_or_b32 exec_lo, exec_lo, s26
.LBB256_593:                            ;   in Loop: Header=BB256_487 Depth=1
	s_or_b32 exec_lo, exec_lo, s22
.LBB256_594:                            ;   in Loop: Header=BB256_487 Depth=1
	s_or_b32 exec_lo, exec_lo, s21
	v_lshrrev_b16 v1, 8, v1
	v_mov_b32_e32 v53, 0
	s_mov_b32 s21, exec_lo
	v_cmpx_ne_u16_e32 0, v1
	s_cbranch_execz .LBB256_602
; %bb.595:                              ;   in Loop: Header=BB256_487 Depth=1
	v_bfrev_b32_e32 v53, 1
	s_mov_b32 s22, exec_lo
	v_cmpx_ne_u16_e32 0x80, v1
	s_cbranch_execz .LBB256_601
; %bb.596:                              ;   in Loop: Header=BB256_487 Depth=1
	v_and_b32_sdwa v55, v1, v26 dst_sel:DWORD dst_unused:UNUSED_PAD src0_sel:WORD_0 src1_sel:DWORD
	v_mov_b32_e32 v53, 0x7c010000
	s_mov_b32 s26, exec_lo
	v_cmpx_ne_u32_e32 0x7f, v55
	s_cbranch_execz .LBB256_600
; %bb.597:                              ;   in Loop: Header=BB256_487 Depth=1
	v_and_b32_sdwa v53, v1, v27 dst_sel:DWORD dst_unused:UNUSED_PAD src0_sel:WORD_0 src1_sel:DWORD
	v_lshrrev_b32_e32 v54, 3, v55
	s_mov_b32 s27, exec_lo
	v_cmpx_gt_u32_e32 8, v55
; %bb.598:                              ;   in Loop: Header=BB256_487 Depth=1
	v_ffbh_u32_e32 v53, v53
	v_min_u32_e32 v55, 32, v53
	v_subrev_nc_u32_e32 v53, 28, v55
	v_lshlrev_b64 v[53:54], v53, v[1:2]
	v_sub_nc_u32_e32 v54, 29, v55
	v_and_b32_e32 v53, 7, v53
; %bb.599:                              ;   in Loop: Header=BB256_487 Depth=1
	s_or_b32 exec_lo, exec_lo, s27
	v_lshlrev_b32_sdwa v1, v28, v1 dst_sel:DWORD dst_unused:UNUSED_PAD src0_sel:DWORD src1_sel:WORD_0
	v_lshl_add_u32 v54, v54, 10, 0x2000
	v_lshlrev_b32_e32 v53, 23, v53
	v_and_or_b32 v1, 0x8000, v1, v54
	v_lshl_or_b32 v53, v1, 16, v53
.LBB256_600:                            ;   in Loop: Header=BB256_487 Depth=1
	s_or_b32 exec_lo, exec_lo, s26
.LBB256_601:                            ;   in Loop: Header=BB256_487 Depth=1
	s_or_b32 exec_lo, exec_lo, s22
.LBB256_602:                            ;   in Loop: Header=BB256_487 Depth=1
	s_or_b32 exec_lo, exec_lo, s21
	v_lshrrev_b32_e32 v1, 16, v10
	v_cmp_ne_u16_sdwa s0, v1, v2 src0_sel:BYTE_0 src1_sel:DWORD
	s_and_saveexec_b32 s21, s0
	s_cbranch_execz .LBB256_610
; %bb.603:                              ;   in Loop: Header=BB256_487 Depth=1
	v_cmp_ne_u16_sdwa s0, v1, v15 src0_sel:BYTE_0 src1_sel:DWORD
	v_mov_b32_e32 v51, 0x8000
	s_and_saveexec_b32 s22, s0
	s_cbranch_execz .LBB256_609
; %bb.604:                              ;   in Loop: Header=BB256_487 Depth=1
	v_bfe_u32 v55, v10, 16, 7
	v_mov_b32_e32 v51, 0x7c01
	s_mov_b32 s26, exec_lo
	v_cmpx_ne_u32_e32 0x7f, v55
	s_cbranch_execz .LBB256_608
; %bb.605:                              ;   in Loop: Header=BB256_487 Depth=1
	v_and_b32_e32 v51, 7, v1
	v_lshrrev_b32_e32 v54, 3, v55
	s_mov_b32 s27, exec_lo
	v_cmpx_gt_u32_e32 8, v55
; %bb.606:                              ;   in Loop: Header=BB256_487 Depth=1
	v_ffbh_u32_e32 v51, v51
	v_min_u32_e32 v51, 32, v51
	v_subrev_nc_u32_e32 v54, 28, v51
	v_lshlrev_b64 v[55:56], v54, v[1:2]
	v_sub_nc_u32_e32 v54, 29, v51
	v_and_b32_e32 v51, 7, v55
; %bb.607:                              ;   in Loop: Header=BB256_487 Depth=1
	s_or_b32 exec_lo, exec_lo, s27
	v_lshlrev_b32_e32 v1, 8, v1
	v_lshl_add_u32 v54, v54, 10, 0x2000
	v_lshlrev_b32_e32 v51, 7, v51
	v_and_b32_e32 v1, 0x8000, v1
	v_and_b32_e32 v54, 0xfc00, v54
	v_or3_b32 v51, v1, v54, v51
.LBB256_608:                            ;   in Loop: Header=BB256_487 Depth=1
	s_or_b32 exec_lo, exec_lo, s26
.LBB256_609:                            ;   in Loop: Header=BB256_487 Depth=1
	s_or_b32 exec_lo, exec_lo, s22
.LBB256_610:                            ;   in Loop: Header=BB256_487 Depth=1
	s_or_b32 exec_lo, exec_lo, s21
	v_cmp_lt_u64_e64 s0, s[2:3], v[9:10]
	v_mov_b32_e32 v9, 0
	s_and_saveexec_b32 s21, s0
	s_cbranch_execz .LBB256_618
; %bb.611:                              ;   in Loop: Header=BB256_487 Depth=1
	v_lshrrev_b32_e32 v1, 24, v10
	v_bfrev_b32_e32 v9, 1
	s_mov_b32 s22, exec_lo
	v_cmpx_ne_u32_e32 0x80, v1
	s_cbranch_execz .LBB256_617
; %bb.612:                              ;   in Loop: Header=BB256_487 Depth=1
	v_and_b32_e32 v54, 0x7f, v1
	v_mov_b32_e32 v9, 0x7c010000
	s_mov_b32 s26, exec_lo
	v_cmpx_ne_u32_e32 0x7f, v54
	s_cbranch_execz .LBB256_616
; %bb.613:                              ;   in Loop: Header=BB256_487 Depth=1
	v_and_b32_e32 v9, 7, v1
	v_lshrrev_b32_e32 v10, 3, v54
	s_mov_b32 s27, exec_lo
	v_cmpx_gt_u32_e32 8, v54
; %bb.614:                              ;   in Loop: Header=BB256_487 Depth=1
	v_ffbh_u32_e32 v9, v9
	v_min_u32_e32 v54, 32, v9
	v_subrev_nc_u32_e32 v9, 28, v54
	v_lshlrev_b64 v[9:10], v9, v[1:2]
	v_sub_nc_u32_e32 v10, 29, v54
	v_and_b32_e32 v9, 7, v9
; %bb.615:                              ;   in Loop: Header=BB256_487 Depth=1
	s_or_b32 exec_lo, exec_lo, s27
	v_lshlrev_b32_e32 v1, 8, v1
	v_lshl_add_u32 v10, v10, 10, 0x2000
	v_lshlrev_b32_e32 v9, 23, v9
	v_and_or_b32 v1, 0x8000, v1, v10
	v_lshl_or_b32 v9, v1, 16, v9
.LBB256_616:                            ;   in Loop: Header=BB256_487 Depth=1
	s_or_b32 exec_lo, exec_lo, s26
.LBB256_617:                            ;   in Loop: Header=BB256_487 Depth=1
	s_or_b32 exec_lo, exec_lo, s22
.LBB256_618:                            ;   in Loop: Header=BB256_487 Depth=1
	s_or_b32 exec_lo, exec_lo, s21
	v_or_b32_e32 v1, v49, v50
	s_waitcnt vmcnt(0)
	v_fma_mixlo_f16 v10, v46, v49, 0 op_sel:[0,1,0] op_sel_hi:[0,1,0]
	v_or_b32_e32 v49, v47, v48
	v_fma_mixlo_f16 v47, v46, v47, 0 op_sel:[0,1,0] op_sel_hi:[0,1,0]
	v_or_b32_e32 v50, v53, v52
	v_or_b32_e32 v51, v9, v51
	v_fma_mixlo_f16 v52, v46, v1, 0 op_sel_hi:[0,1,0]
	v_fma_mixlo_f16 v9, v46, v9, 0 op_sel:[0,1,0] op_sel_hi:[0,1,0]
	v_lshlrev_b32_e32 v48, 16, v47
	v_fma_mixlo_f16 v47, v46, v49, 0 op_sel_hi:[0,1,0]
	v_fma_mixlo_f16 v49, v46, v53, 0 op_sel:[0,1,0] op_sel_hi:[0,1,0]
	v_fma_mixlo_f16 v50, v46, v50, 0 op_sel_hi:[0,1,0]
	v_fma_mixlo_f16 v51, v46, v51, 0 op_sel_hi:[0,1,0]
	v_lshlrev_b32_e32 v1, 16, v10
	v_and_b32_e32 v10, 0xffff, v52
	v_and_b32_e32 v54, 0xffff, v47
	v_lshlrev_b32_e32 v46, 16, v49
	v_and_b32_e32 v50, 0xffff, v50
	v_lshlrev_b32_e32 v9, 16, v9
	v_and_b32_e32 v47, 0xffff, v51
	v_or_b32_e32 v49, v1, v10
	v_or_b32_e32 v53, v48, v54
	;; [unrolled: 1-line block ×4, first 2 shown]
	s_and_saveexec_b32 s21, vcc_lo
	s_cbranch_execz .LBB256_620
; %bb.619:                              ;   in Loop: Header=BB256_487 Depth=1
	v_cmp_gt_i32_e64 s0, s33, v32
	v_cndmask_b32_e64 v49, 0, v54, s0
	v_cmp_gt_i32_e64 s0, s33, v39
	v_cndmask_b32_e64 v48, 0, v48, s0
	v_cmp_gt_i32_e64 s0, s33, v38
	v_or_b32_e32 v53, v48, v49
	v_cndmask_b32_e64 v10, 0, v10, s0
	v_cmp_gt_i32_e64 s0, s33, v37
	v_cndmask_b32_e64 v1, 0, v1, s0
	v_cmp_gt_i32_e64 s0, s33, v36
	v_or_b32_e32 v49, v1, v10
	;; [unrolled: 5-line block ×3, first 2 shown]
	v_cndmask_b32_e64 v47, 0, v47, s0
	v_cmp_gt_i32_e64 s0, s33, v33
	v_cndmask_b32_e64 v9, 0, v9, s0
	v_or_b32_e32 v51, v9, v47
.LBB256_620:                            ;   in Loop: Header=BB256_487 Depth=1
	s_or_b32 exec_lo, exec_lo, s21
	;;#ASMSTART
	v_pk_mul_f16 v1, v45, v53;

	;;#ASMEND
	;;#ASMSTART
	v_pk_mul_f16 v9, v44, v49;

	;;#ASMEND
	;; [unrolled: 4-line block ×4, first 2 shown]
	;;#ASMSTART
	v_pk_add_f16 v1, v1, v9;

	;;#ASMEND
	;;#ASMSTART
	v_pk_add_f16 v1, v1, v10;

	;;#ASMEND
	;; [unrolled: 4-line block ×3, first 2 shown]
	v_and_b32_e32 v9, 0xffff, v1
	v_lshrrev_b32_e32 v1, 16, v1
	;;#ASMSTART
	v_cvt_f32_f16 v46, v9;
	;;#ASMEND
	;;#ASMSTART
	v_cvt_f32_f16 v47, v1;
	;;#ASMEND
	global_load_dwordx2 v[9:10], v[7:8], off offset:512
	v_mov_b32_e32 v49, 0
	v_mov_b32_e32 v50, 0
	global_load_dword v48, v49, s[14:15]
	s_waitcnt vmcnt(1)
	v_cmp_ne_u16_sdwa s0, v9, v2 src0_sel:BYTE_0 src1_sel:DWORD
	s_and_saveexec_b32 s21, s0
	s_cbranch_execz .LBB256_628
; %bb.621:                              ;   in Loop: Header=BB256_487 Depth=1
	v_cmp_ne_u16_sdwa s0, v9, v15 src0_sel:BYTE_0 src1_sel:DWORD
	v_mov_b32_e32 v50, 0x8000
	s_and_saveexec_b32 s22, s0
	s_cbranch_execz .LBB256_627
; %bb.622:                              ;   in Loop: Header=BB256_487 Depth=1
	v_and_b32_e32 v51, 0x7f, v9
	v_mov_b32_e32 v50, 0x7c01
	s_mov_b32 s26, exec_lo
	v_cmpx_ne_u32_e32 0x7f, v51
	s_cbranch_execz .LBB256_626
; %bb.623:                              ;   in Loop: Header=BB256_487 Depth=1
	v_and_b32_e32 v1, 7, v9
	v_lshrrev_b32_e32 v50, 3, v51
	s_mov_b32 s27, exec_lo
	v_cmpx_gt_u32_e32 8, v51
; %bb.624:                              ;   in Loop: Header=BB256_487 Depth=1
	v_ffbh_u32_e32 v1, v1
	v_min_u32_e32 v1, 32, v1
	v_subrev_nc_u32_e32 v50, 28, v1
	v_lshlrev_b64 v[51:52], v50, v[9:10]
	v_sub_nc_u32_e32 v50, 29, v1
	v_and_b32_e32 v1, 7, v51
; %bb.625:                              ;   in Loop: Header=BB256_487 Depth=1
	s_or_b32 exec_lo, exec_lo, s27
	v_lshlrev_b32_e32 v51, 8, v9
	v_lshl_add_u32 v50, v50, 10, 0x2000
	v_lshlrev_b32_e32 v1, 7, v1
	v_and_b32_e32 v51, 0x8000, v51
	v_and_b32_e32 v50, 0xfc00, v50
	v_or3_b32 v50, v51, v50, v1
.LBB256_626:                            ;   in Loop: Header=BB256_487 Depth=1
	s_or_b32 exec_lo, exec_lo, s26
.LBB256_627:                            ;   in Loop: Header=BB256_487 Depth=1
	s_or_b32 exec_lo, exec_lo, s22
.LBB256_628:                            ;   in Loop: Header=BB256_487 Depth=1
	s_or_b32 exec_lo, exec_lo, s21
	v_lshrrev_b16 v1, 8, v9
	s_mov_b32 s21, exec_lo
	v_cmpx_ne_u16_e32 0, v1
	s_cbranch_execz .LBB256_636
; %bb.629:                              ;   in Loop: Header=BB256_487 Depth=1
	v_bfrev_b32_e32 v49, 1
	s_mov_b32 s22, exec_lo
	v_cmpx_ne_u16_e32 0x80, v1
	s_cbranch_execz .LBB256_635
; %bb.630:                              ;   in Loop: Header=BB256_487 Depth=1
	v_and_b32_sdwa v52, v1, v26 dst_sel:DWORD dst_unused:UNUSED_PAD src0_sel:WORD_0 src1_sel:DWORD
	v_mov_b32_e32 v49, 0x7c010000
	s_mov_b32 s26, exec_lo
	v_cmpx_ne_u32_e32 0x7f, v52
	s_cbranch_execz .LBB256_634
; %bb.631:                              ;   in Loop: Header=BB256_487 Depth=1
	v_and_b32_sdwa v49, v1, v27 dst_sel:DWORD dst_unused:UNUSED_PAD src0_sel:WORD_0 src1_sel:DWORD
	v_lshrrev_b32_e32 v51, 3, v52
	s_mov_b32 s27, exec_lo
	v_cmpx_gt_u32_e32 8, v52
; %bb.632:                              ;   in Loop: Header=BB256_487 Depth=1
	v_ffbh_u32_e32 v49, v49
	v_min_u32_e32 v49, 32, v49
	v_subrev_nc_u32_e32 v51, 28, v49
	v_lshlrev_b64 v[52:53], v51, v[1:2]
	v_sub_nc_u32_e32 v51, 29, v49
	v_and_b32_e32 v49, 7, v52
; %bb.633:                              ;   in Loop: Header=BB256_487 Depth=1
	s_or_b32 exec_lo, exec_lo, s27
	v_lshlrev_b32_sdwa v1, v28, v1 dst_sel:DWORD dst_unused:UNUSED_PAD src0_sel:DWORD src1_sel:WORD_0
	v_lshl_add_u32 v51, v51, 10, 0x2000
	v_lshlrev_b32_e32 v49, 23, v49
	v_and_or_b32 v1, 0x8000, v1, v51
	v_lshl_or_b32 v49, v1, 16, v49
.LBB256_634:                            ;   in Loop: Header=BB256_487 Depth=1
	s_or_b32 exec_lo, exec_lo, s26
.LBB256_635:                            ;   in Loop: Header=BB256_487 Depth=1
	s_or_b32 exec_lo, exec_lo, s22
.LBB256_636:                            ;   in Loop: Header=BB256_487 Depth=1
	s_or_b32 exec_lo, exec_lo, s21
	v_lshrrev_b32_e32 v1, 16, v9
	v_mov_b32_e32 v51, 0
	v_mov_b32_e32 v52, 0
	v_cmp_ne_u16_sdwa s0, v1, v2 src0_sel:BYTE_0 src1_sel:DWORD
	s_and_saveexec_b32 s21, s0
	s_cbranch_execz .LBB256_644
; %bb.637:                              ;   in Loop: Header=BB256_487 Depth=1
	v_cmp_ne_u16_sdwa s0, v1, v15 src0_sel:BYTE_0 src1_sel:DWORD
	v_mov_b32_e32 v52, 0x8000
	s_and_saveexec_b32 s22, s0
	s_cbranch_execz .LBB256_643
; %bb.638:                              ;   in Loop: Header=BB256_487 Depth=1
	v_bfe_u32 v54, v9, 16, 7
	v_mov_b32_e32 v52, 0x7c01
	s_mov_b32 s26, exec_lo
	v_cmpx_ne_u32_e32 0x7f, v54
	s_cbranch_execz .LBB256_642
; %bb.639:                              ;   in Loop: Header=BB256_487 Depth=1
	v_and_b32_e32 v52, 7, v1
	v_lshrrev_b32_e32 v53, 3, v54
	s_mov_b32 s27, exec_lo
	v_cmpx_gt_u32_e32 8, v54
; %bb.640:                              ;   in Loop: Header=BB256_487 Depth=1
	v_ffbh_u32_e32 v52, v52
	v_min_u32_e32 v54, 32, v52
	v_subrev_nc_u32_e32 v52, 28, v54
	v_lshlrev_b64 v[52:53], v52, v[1:2]
	v_sub_nc_u32_e32 v53, 29, v54
	v_and_b32_e32 v52, 7, v52
; %bb.641:                              ;   in Loop: Header=BB256_487 Depth=1
	s_or_b32 exec_lo, exec_lo, s27
	v_lshlrev_b32_e32 v1, 8, v1
	v_lshl_add_u32 v53, v53, 10, 0x2000
	v_lshlrev_b32_e32 v52, 7, v52
	v_and_b32_e32 v1, 0x8000, v1
	v_and_b32_e32 v53, 0xfc00, v53
	v_or3_b32 v52, v1, v53, v52
.LBB256_642:                            ;   in Loop: Header=BB256_487 Depth=1
	s_or_b32 exec_lo, exec_lo, s26
.LBB256_643:                            ;   in Loop: Header=BB256_487 Depth=1
	s_or_b32 exec_lo, exec_lo, s22
.LBB256_644:                            ;   in Loop: Header=BB256_487 Depth=1
	s_or_b32 exec_lo, exec_lo, s21
	s_mov_b32 s21, exec_lo
	v_cmpx_lt_u32_e32 0xffffff, v9
	s_cbranch_execz .LBB256_652
; %bb.645:                              ;   in Loop: Header=BB256_487 Depth=1
	v_lshrrev_b32_e32 v1, 24, v9
	v_bfrev_b32_e32 v51, 1
	s_mov_b32 s22, exec_lo
	v_cmpx_ne_u32_e32 0x80, v1
	s_cbranch_execz .LBB256_651
; %bb.646:                              ;   in Loop: Header=BB256_487 Depth=1
	v_and_b32_e32 v54, 0x7f, v1
	v_mov_b32_e32 v51, 0x7c010000
	s_mov_b32 s26, exec_lo
	v_cmpx_ne_u32_e32 0x7f, v54
	s_cbranch_execz .LBB256_650
; %bb.647:                              ;   in Loop: Header=BB256_487 Depth=1
	v_and_b32_e32 v51, 7, v1
	v_lshrrev_b32_e32 v53, 3, v54
	s_mov_b32 s27, exec_lo
	v_cmpx_gt_u32_e32 8, v54
; %bb.648:                              ;   in Loop: Header=BB256_487 Depth=1
	v_ffbh_u32_e32 v51, v51
	v_min_u32_e32 v51, 32, v51
	v_subrev_nc_u32_e32 v53, 28, v51
	v_lshlrev_b64 v[54:55], v53, v[1:2]
	v_sub_nc_u32_e32 v53, 29, v51
	v_and_b32_e32 v51, 7, v54
; %bb.649:                              ;   in Loop: Header=BB256_487 Depth=1
	s_or_b32 exec_lo, exec_lo, s27
	v_lshlrev_b32_e32 v1, 8, v1
	v_lshl_add_u32 v53, v53, 10, 0x2000
	v_lshlrev_b32_e32 v51, 23, v51
	v_and_or_b32 v1, 0x8000, v1, v53
	v_lshl_or_b32 v51, v1, 16, v51
.LBB256_650:                            ;   in Loop: Header=BB256_487 Depth=1
	s_or_b32 exec_lo, exec_lo, s26
.LBB256_651:                            ;   in Loop: Header=BB256_487 Depth=1
	s_or_b32 exec_lo, exec_lo, s22
.LBB256_652:                            ;   in Loop: Header=BB256_487 Depth=1
	s_or_b32 exec_lo, exec_lo, s21
	v_mov_b32_e32 v1, v10
	v_cmp_ne_u16_sdwa s0, v10, v2 src0_sel:BYTE_0 src1_sel:DWORD
	v_mov_b32_e32 v53, 0
	v_mov_b32_e32 v54, 0
	s_and_saveexec_b32 s21, s0
	s_cbranch_execz .LBB256_660
; %bb.653:                              ;   in Loop: Header=BB256_487 Depth=1
	v_cmp_ne_u16_sdwa s0, v10, v15 src0_sel:BYTE_0 src1_sel:DWORD
	v_mov_b32_e32 v54, 0x8000
	s_and_saveexec_b32 s22, s0
	s_cbranch_execz .LBB256_659
; %bb.654:                              ;   in Loop: Header=BB256_487 Depth=1
	v_and_b32_e32 v56, 0x7f, v10
	v_mov_b32_e32 v54, 0x7c01
	s_mov_b32 s26, exec_lo
	v_cmpx_ne_u32_e32 0x7f, v56
	s_cbranch_execz .LBB256_658
; %bb.655:                              ;   in Loop: Header=BB256_487 Depth=1
	v_and_b32_e32 v54, 7, v10
	v_lshrrev_b32_e32 v55, 3, v56
	s_mov_b32 s27, exec_lo
	v_cmpx_gt_u32_e32 8, v56
; %bb.656:                              ;   in Loop: Header=BB256_487 Depth=1
	v_ffbh_u32_e32 v54, v54
	v_min_u32_e32 v56, 32, v54
	v_subrev_nc_u32_e32 v54, 28, v56
	v_lshlrev_b64 v[54:55], v54, v[1:2]
	v_sub_nc_u32_e32 v55, 29, v56
	v_and_b32_e32 v54, 7, v54
; %bb.657:                              ;   in Loop: Header=BB256_487 Depth=1
	s_or_b32 exec_lo, exec_lo, s27
	v_lshlrev_b32_e32 v56, 8, v10
	v_lshl_add_u32 v55, v55, 10, 0x2000
	v_lshlrev_b32_e32 v54, 7, v54
	v_and_b32_e32 v56, 0x8000, v56
	v_and_b32_e32 v55, 0xfc00, v55
	v_or3_b32 v54, v56, v55, v54
.LBB256_658:                            ;   in Loop: Header=BB256_487 Depth=1
	s_or_b32 exec_lo, exec_lo, s26
.LBB256_659:                            ;   in Loop: Header=BB256_487 Depth=1
	s_or_b32 exec_lo, exec_lo, s22
.LBB256_660:                            ;   in Loop: Header=BB256_487 Depth=1
	s_or_b32 exec_lo, exec_lo, s21
	v_lshrrev_b16 v1, 8, v1
	v_mov_b32_e32 v55, 0
	s_mov_b32 s21, exec_lo
	v_cmpx_ne_u16_e32 0, v1
	s_cbranch_execz .LBB256_668
; %bb.661:                              ;   in Loop: Header=BB256_487 Depth=1
	v_bfrev_b32_e32 v55, 1
	s_mov_b32 s22, exec_lo
	v_cmpx_ne_u16_e32 0x80, v1
	s_cbranch_execz .LBB256_667
; %bb.662:                              ;   in Loop: Header=BB256_487 Depth=1
	v_and_b32_sdwa v57, v1, v26 dst_sel:DWORD dst_unused:UNUSED_PAD src0_sel:WORD_0 src1_sel:DWORD
	v_mov_b32_e32 v55, 0x7c010000
	s_mov_b32 s26, exec_lo
	v_cmpx_ne_u32_e32 0x7f, v57
	s_cbranch_execz .LBB256_666
; %bb.663:                              ;   in Loop: Header=BB256_487 Depth=1
	v_and_b32_sdwa v55, v1, v27 dst_sel:DWORD dst_unused:UNUSED_PAD src0_sel:WORD_0 src1_sel:DWORD
	v_lshrrev_b32_e32 v56, 3, v57
	s_mov_b32 s27, exec_lo
	v_cmpx_gt_u32_e32 8, v57
; %bb.664:                              ;   in Loop: Header=BB256_487 Depth=1
	v_ffbh_u32_e32 v55, v55
	v_min_u32_e32 v57, 32, v55
	v_subrev_nc_u32_e32 v55, 28, v57
	v_lshlrev_b64 v[55:56], v55, v[1:2]
	v_sub_nc_u32_e32 v56, 29, v57
	v_and_b32_e32 v55, 7, v55
; %bb.665:                              ;   in Loop: Header=BB256_487 Depth=1
	s_or_b32 exec_lo, exec_lo, s27
	v_lshlrev_b32_sdwa v1, v28, v1 dst_sel:DWORD dst_unused:UNUSED_PAD src0_sel:DWORD src1_sel:WORD_0
	v_lshl_add_u32 v56, v56, 10, 0x2000
	v_lshlrev_b32_e32 v55, 23, v55
	v_and_or_b32 v1, 0x8000, v1, v56
	v_lshl_or_b32 v55, v1, 16, v55
.LBB256_666:                            ;   in Loop: Header=BB256_487 Depth=1
	s_or_b32 exec_lo, exec_lo, s26
.LBB256_667:                            ;   in Loop: Header=BB256_487 Depth=1
	s_or_b32 exec_lo, exec_lo, s22
.LBB256_668:                            ;   in Loop: Header=BB256_487 Depth=1
	s_or_b32 exec_lo, exec_lo, s21
	v_lshrrev_b32_e32 v1, 16, v10
	v_cmp_ne_u16_sdwa s0, v1, v2 src0_sel:BYTE_0 src1_sel:DWORD
	s_and_saveexec_b32 s21, s0
	s_cbranch_execz .LBB256_676
; %bb.669:                              ;   in Loop: Header=BB256_487 Depth=1
	v_cmp_ne_u16_sdwa s0, v1, v15 src0_sel:BYTE_0 src1_sel:DWORD
	v_mov_b32_e32 v53, 0x8000
	s_and_saveexec_b32 s22, s0
	s_cbranch_execz .LBB256_675
; %bb.670:                              ;   in Loop: Header=BB256_487 Depth=1
	v_bfe_u32 v57, v10, 16, 7
	v_mov_b32_e32 v53, 0x7c01
	s_mov_b32 s26, exec_lo
	v_cmpx_ne_u32_e32 0x7f, v57
	s_cbranch_execz .LBB256_674
; %bb.671:                              ;   in Loop: Header=BB256_487 Depth=1
	v_and_b32_e32 v53, 7, v1
	v_lshrrev_b32_e32 v56, 3, v57
	s_mov_b32 s27, exec_lo
	v_cmpx_gt_u32_e32 8, v57
; %bb.672:                              ;   in Loop: Header=BB256_487 Depth=1
	v_ffbh_u32_e32 v53, v53
	v_min_u32_e32 v53, 32, v53
	v_subrev_nc_u32_e32 v56, 28, v53
	v_lshlrev_b64 v[57:58], v56, v[1:2]
	v_sub_nc_u32_e32 v56, 29, v53
	v_and_b32_e32 v53, 7, v57
; %bb.673:                              ;   in Loop: Header=BB256_487 Depth=1
	s_or_b32 exec_lo, exec_lo, s27
	v_lshlrev_b32_e32 v1, 8, v1
	v_lshl_add_u32 v56, v56, 10, 0x2000
	v_lshlrev_b32_e32 v53, 7, v53
	v_and_b32_e32 v1, 0x8000, v1
	v_and_b32_e32 v56, 0xfc00, v56
	v_or3_b32 v53, v1, v56, v53
.LBB256_674:                            ;   in Loop: Header=BB256_487 Depth=1
	s_or_b32 exec_lo, exec_lo, s26
.LBB256_675:                            ;   in Loop: Header=BB256_487 Depth=1
	s_or_b32 exec_lo, exec_lo, s22
.LBB256_676:                            ;   in Loop: Header=BB256_487 Depth=1
	s_or_b32 exec_lo, exec_lo, s21
	v_cmp_lt_u64_e64 s0, s[2:3], v[9:10]
	v_mov_b32_e32 v9, 0
	s_and_saveexec_b32 s21, s0
	s_cbranch_execz .LBB256_684
; %bb.677:                              ;   in Loop: Header=BB256_487 Depth=1
	v_lshrrev_b32_e32 v1, 24, v10
	v_bfrev_b32_e32 v9, 1
	s_mov_b32 s22, exec_lo
	v_cmpx_ne_u32_e32 0x80, v1
	s_cbranch_execz .LBB256_683
; %bb.678:                              ;   in Loop: Header=BB256_487 Depth=1
	v_and_b32_e32 v56, 0x7f, v1
	v_mov_b32_e32 v9, 0x7c010000
	s_mov_b32 s26, exec_lo
	v_cmpx_ne_u32_e32 0x7f, v56
	s_cbranch_execz .LBB256_682
; %bb.679:                              ;   in Loop: Header=BB256_487 Depth=1
	v_and_b32_e32 v9, 7, v1
	v_lshrrev_b32_e32 v10, 3, v56
	s_mov_b32 s27, exec_lo
	v_cmpx_gt_u32_e32 8, v56
; %bb.680:                              ;   in Loop: Header=BB256_487 Depth=1
	v_ffbh_u32_e32 v9, v9
	v_min_u32_e32 v56, 32, v9
	v_subrev_nc_u32_e32 v9, 28, v56
	v_lshlrev_b64 v[9:10], v9, v[1:2]
	v_sub_nc_u32_e32 v10, 29, v56
	v_and_b32_e32 v9, 7, v9
; %bb.681:                              ;   in Loop: Header=BB256_487 Depth=1
	s_or_b32 exec_lo, exec_lo, s27
	v_lshlrev_b32_e32 v1, 8, v1
	v_lshl_add_u32 v10, v10, 10, 0x2000
	v_lshlrev_b32_e32 v9, 23, v9
	v_and_or_b32 v1, 0x8000, v1, v10
	v_lshl_or_b32 v9, v1, 16, v9
.LBB256_682:                            ;   in Loop: Header=BB256_487 Depth=1
	s_or_b32 exec_lo, exec_lo, s26
.LBB256_683:                            ;   in Loop: Header=BB256_487 Depth=1
	s_or_b32 exec_lo, exec_lo, s22
.LBB256_684:                            ;   in Loop: Header=BB256_487 Depth=1
	s_or_b32 exec_lo, exec_lo, s21
	v_or_b32_e32 v1, v51, v52
	s_waitcnt vmcnt(0)
	v_fma_mixlo_f16 v10, v48, v51, 0 op_sel:[0,1,0] op_sel_hi:[0,1,0]
	v_or_b32_e32 v51, v49, v50
	v_fma_mixlo_f16 v49, v48, v49, 0 op_sel:[0,1,0] op_sel_hi:[0,1,0]
	v_or_b32_e32 v52, v55, v54
	v_or_b32_e32 v53, v9, v53
	v_fma_mixlo_f16 v54, v48, v1, 0 op_sel_hi:[0,1,0]
	v_fma_mixlo_f16 v9, v48, v9, 0 op_sel:[0,1,0] op_sel_hi:[0,1,0]
	v_lshlrev_b32_e32 v50, 16, v49
	v_fma_mixlo_f16 v49, v48, v51, 0 op_sel_hi:[0,1,0]
	v_fma_mixlo_f16 v51, v48, v55, 0 op_sel:[0,1,0] op_sel_hi:[0,1,0]
	v_fma_mixlo_f16 v52, v48, v52, 0 op_sel_hi:[0,1,0]
	v_fma_mixlo_f16 v53, v48, v53, 0 op_sel_hi:[0,1,0]
	v_lshlrev_b32_e32 v1, 16, v10
	v_and_b32_e32 v10, 0xffff, v54
	v_and_b32_e32 v56, 0xffff, v49
	v_lshlrev_b32_e32 v48, 16, v51
	v_and_b32_e32 v52, 0xffff, v52
	v_lshlrev_b32_e32 v9, 16, v9
	v_and_b32_e32 v49, 0xffff, v53
	v_or_b32_e32 v51, v1, v10
	v_or_b32_e32 v55, v50, v56
	;; [unrolled: 1-line block ×4, first 2 shown]
	s_and_saveexec_b32 s21, vcc_lo
	s_cbranch_execz .LBB256_686
; %bb.685:                              ;   in Loop: Header=BB256_487 Depth=1
	v_cmp_gt_i32_e64 s0, s33, v32
	v_cndmask_b32_e64 v51, 0, v56, s0
	v_cmp_gt_i32_e64 s0, s33, v39
	v_cndmask_b32_e64 v50, 0, v50, s0
	v_cmp_gt_i32_e64 s0, s33, v38
	v_or_b32_e32 v55, v50, v51
	v_cndmask_b32_e64 v10, 0, v10, s0
	v_cmp_gt_i32_e64 s0, s33, v37
	v_cndmask_b32_e64 v1, 0, v1, s0
	v_cmp_gt_i32_e64 s0, s33, v36
	v_or_b32_e32 v51, v1, v10
	;; [unrolled: 5-line block ×3, first 2 shown]
	v_cndmask_b32_e64 v49, 0, v49, s0
	v_cmp_gt_i32_e64 s0, s33, v33
	v_cndmask_b32_e64 v9, 0, v9, s0
	v_or_b32_e32 v53, v9, v49
.LBB256_686:                            ;   in Loop: Header=BB256_487 Depth=1
	s_or_b32 exec_lo, exec_lo, s21
	;;#ASMSTART
	v_pk_mul_f16 v1, v45, v55;

	;;#ASMEND
	;;#ASMSTART
	v_pk_mul_f16 v9, v44, v51;

	;;#ASMEND
	;; [unrolled: 4-line block ×4, first 2 shown]
	;;#ASMSTART
	v_pk_add_f16 v1, v1, v9;

	;;#ASMEND
	;;#ASMSTART
	v_pk_add_f16 v1, v1, v10;

	;;#ASMEND
	;; [unrolled: 4-line block ×3, first 2 shown]
	v_and_b32_e32 v9, 0xffff, v1
	v_lshrrev_b32_e32 v1, 16, v1
	;;#ASMSTART
	v_cvt_f32_f16 v48, v9;
	;;#ASMEND
	;;#ASMSTART
	v_cvt_f32_f16 v49, v1;
	;;#ASMEND
	global_load_dwordx2 v[9:10], v[7:8], off offset:768
	v_mov_b32_e32 v51, 0
	v_mov_b32_e32 v52, 0
	global_load_dword v50, v51, s[14:15]
	s_waitcnt vmcnt(1)
	v_cmp_ne_u16_sdwa s0, v9, v2 src0_sel:BYTE_0 src1_sel:DWORD
	s_and_saveexec_b32 s21, s0
	s_cbranch_execz .LBB256_694
; %bb.687:                              ;   in Loop: Header=BB256_487 Depth=1
	v_cmp_ne_u16_sdwa s0, v9, v15 src0_sel:BYTE_0 src1_sel:DWORD
	v_mov_b32_e32 v52, 0x8000
	s_and_saveexec_b32 s22, s0
	s_cbranch_execz .LBB256_693
; %bb.688:                              ;   in Loop: Header=BB256_487 Depth=1
	v_and_b32_e32 v53, 0x7f, v9
	v_mov_b32_e32 v52, 0x7c01
	s_mov_b32 s26, exec_lo
	v_cmpx_ne_u32_e32 0x7f, v53
	s_cbranch_execz .LBB256_692
; %bb.689:                              ;   in Loop: Header=BB256_487 Depth=1
	v_and_b32_e32 v1, 7, v9
	v_lshrrev_b32_e32 v52, 3, v53
	s_mov_b32 s27, exec_lo
	v_cmpx_gt_u32_e32 8, v53
; %bb.690:                              ;   in Loop: Header=BB256_487 Depth=1
	v_ffbh_u32_e32 v1, v1
	v_min_u32_e32 v1, 32, v1
	v_subrev_nc_u32_e32 v52, 28, v1
	v_lshlrev_b64 v[53:54], v52, v[9:10]
	v_sub_nc_u32_e32 v52, 29, v1
	v_and_b32_e32 v1, 7, v53
; %bb.691:                              ;   in Loop: Header=BB256_487 Depth=1
	s_or_b32 exec_lo, exec_lo, s27
	v_lshlrev_b32_e32 v53, 8, v9
	v_lshl_add_u32 v52, v52, 10, 0x2000
	v_lshlrev_b32_e32 v1, 7, v1
	v_and_b32_e32 v53, 0x8000, v53
	v_and_b32_e32 v52, 0xfc00, v52
	v_or3_b32 v52, v53, v52, v1
.LBB256_692:                            ;   in Loop: Header=BB256_487 Depth=1
	s_or_b32 exec_lo, exec_lo, s26
.LBB256_693:                            ;   in Loop: Header=BB256_487 Depth=1
	s_or_b32 exec_lo, exec_lo, s22
.LBB256_694:                            ;   in Loop: Header=BB256_487 Depth=1
	s_or_b32 exec_lo, exec_lo, s21
	v_lshrrev_b16 v1, 8, v9
	s_mov_b32 s21, exec_lo
	v_cmpx_ne_u16_e32 0, v1
	s_cbranch_execz .LBB256_702
; %bb.695:                              ;   in Loop: Header=BB256_487 Depth=1
	v_bfrev_b32_e32 v51, 1
	s_mov_b32 s22, exec_lo
	v_cmpx_ne_u16_e32 0x80, v1
	s_cbranch_execz .LBB256_701
; %bb.696:                              ;   in Loop: Header=BB256_487 Depth=1
	v_and_b32_sdwa v54, v1, v26 dst_sel:DWORD dst_unused:UNUSED_PAD src0_sel:WORD_0 src1_sel:DWORD
	v_mov_b32_e32 v51, 0x7c010000
	s_mov_b32 s26, exec_lo
	v_cmpx_ne_u32_e32 0x7f, v54
	s_cbranch_execz .LBB256_700
; %bb.697:                              ;   in Loop: Header=BB256_487 Depth=1
	v_and_b32_sdwa v51, v1, v27 dst_sel:DWORD dst_unused:UNUSED_PAD src0_sel:WORD_0 src1_sel:DWORD
	v_lshrrev_b32_e32 v53, 3, v54
	s_mov_b32 s27, exec_lo
	v_cmpx_gt_u32_e32 8, v54
; %bb.698:                              ;   in Loop: Header=BB256_487 Depth=1
	v_ffbh_u32_e32 v51, v51
	v_min_u32_e32 v51, 32, v51
	v_subrev_nc_u32_e32 v53, 28, v51
	v_lshlrev_b64 v[54:55], v53, v[1:2]
	v_sub_nc_u32_e32 v53, 29, v51
	v_and_b32_e32 v51, 7, v54
; %bb.699:                              ;   in Loop: Header=BB256_487 Depth=1
	s_or_b32 exec_lo, exec_lo, s27
	v_lshlrev_b32_sdwa v1, v28, v1 dst_sel:DWORD dst_unused:UNUSED_PAD src0_sel:DWORD src1_sel:WORD_0
	v_lshl_add_u32 v53, v53, 10, 0x2000
	v_lshlrev_b32_e32 v51, 23, v51
	v_and_or_b32 v1, 0x8000, v1, v53
	v_lshl_or_b32 v51, v1, 16, v51
.LBB256_700:                            ;   in Loop: Header=BB256_487 Depth=1
	s_or_b32 exec_lo, exec_lo, s26
.LBB256_701:                            ;   in Loop: Header=BB256_487 Depth=1
	s_or_b32 exec_lo, exec_lo, s22
.LBB256_702:                            ;   in Loop: Header=BB256_487 Depth=1
	s_or_b32 exec_lo, exec_lo, s21
	v_lshrrev_b32_e32 v1, 16, v9
	v_mov_b32_e32 v53, 0
	v_mov_b32_e32 v54, 0
	v_cmp_ne_u16_sdwa s0, v1, v2 src0_sel:BYTE_0 src1_sel:DWORD
	s_and_saveexec_b32 s21, s0
	s_cbranch_execz .LBB256_710
; %bb.703:                              ;   in Loop: Header=BB256_487 Depth=1
	v_cmp_ne_u16_sdwa s0, v1, v15 src0_sel:BYTE_0 src1_sel:DWORD
	v_mov_b32_e32 v54, 0x8000
	s_and_saveexec_b32 s22, s0
	s_cbranch_execz .LBB256_709
; %bb.704:                              ;   in Loop: Header=BB256_487 Depth=1
	v_bfe_u32 v56, v9, 16, 7
	v_mov_b32_e32 v54, 0x7c01
	s_mov_b32 s26, exec_lo
	v_cmpx_ne_u32_e32 0x7f, v56
	s_cbranch_execz .LBB256_708
; %bb.705:                              ;   in Loop: Header=BB256_487 Depth=1
	v_and_b32_e32 v54, 7, v1
	v_lshrrev_b32_e32 v55, 3, v56
	s_mov_b32 s27, exec_lo
	v_cmpx_gt_u32_e32 8, v56
; %bb.706:                              ;   in Loop: Header=BB256_487 Depth=1
	v_ffbh_u32_e32 v54, v54
	v_min_u32_e32 v56, 32, v54
	v_subrev_nc_u32_e32 v54, 28, v56
	v_lshlrev_b64 v[54:55], v54, v[1:2]
	v_sub_nc_u32_e32 v55, 29, v56
	v_and_b32_e32 v54, 7, v54
; %bb.707:                              ;   in Loop: Header=BB256_487 Depth=1
	s_or_b32 exec_lo, exec_lo, s27
	v_lshlrev_b32_e32 v1, 8, v1
	v_lshl_add_u32 v55, v55, 10, 0x2000
	v_lshlrev_b32_e32 v54, 7, v54
	v_and_b32_e32 v1, 0x8000, v1
	v_and_b32_e32 v55, 0xfc00, v55
	v_or3_b32 v54, v1, v55, v54
.LBB256_708:                            ;   in Loop: Header=BB256_487 Depth=1
	s_or_b32 exec_lo, exec_lo, s26
.LBB256_709:                            ;   in Loop: Header=BB256_487 Depth=1
	s_or_b32 exec_lo, exec_lo, s22
.LBB256_710:                            ;   in Loop: Header=BB256_487 Depth=1
	s_or_b32 exec_lo, exec_lo, s21
	s_mov_b32 s21, exec_lo
	v_cmpx_lt_u32_e32 0xffffff, v9
	s_cbranch_execz .LBB256_718
; %bb.711:                              ;   in Loop: Header=BB256_487 Depth=1
	v_lshrrev_b32_e32 v1, 24, v9
	v_bfrev_b32_e32 v53, 1
	s_mov_b32 s22, exec_lo
	v_cmpx_ne_u32_e32 0x80, v1
	s_cbranch_execz .LBB256_717
; %bb.712:                              ;   in Loop: Header=BB256_487 Depth=1
	v_and_b32_e32 v56, 0x7f, v1
	v_mov_b32_e32 v53, 0x7c010000
	s_mov_b32 s26, exec_lo
	v_cmpx_ne_u32_e32 0x7f, v56
	s_cbranch_execz .LBB256_716
; %bb.713:                              ;   in Loop: Header=BB256_487 Depth=1
	v_and_b32_e32 v53, 7, v1
	v_lshrrev_b32_e32 v55, 3, v56
	s_mov_b32 s27, exec_lo
	v_cmpx_gt_u32_e32 8, v56
; %bb.714:                              ;   in Loop: Header=BB256_487 Depth=1
	v_ffbh_u32_e32 v53, v53
	v_min_u32_e32 v53, 32, v53
	v_subrev_nc_u32_e32 v55, 28, v53
	v_lshlrev_b64 v[56:57], v55, v[1:2]
	v_sub_nc_u32_e32 v55, 29, v53
	v_and_b32_e32 v53, 7, v56
; %bb.715:                              ;   in Loop: Header=BB256_487 Depth=1
	s_or_b32 exec_lo, exec_lo, s27
	v_lshlrev_b32_e32 v1, 8, v1
	v_lshl_add_u32 v55, v55, 10, 0x2000
	v_lshlrev_b32_e32 v53, 23, v53
	v_and_or_b32 v1, 0x8000, v1, v55
	v_lshl_or_b32 v53, v1, 16, v53
.LBB256_716:                            ;   in Loop: Header=BB256_487 Depth=1
	s_or_b32 exec_lo, exec_lo, s26
.LBB256_717:                            ;   in Loop: Header=BB256_487 Depth=1
	s_or_b32 exec_lo, exec_lo, s22
.LBB256_718:                            ;   in Loop: Header=BB256_487 Depth=1
	s_or_b32 exec_lo, exec_lo, s21
	v_mov_b32_e32 v1, v10
	v_cmp_ne_u16_sdwa s0, v10, v2 src0_sel:BYTE_0 src1_sel:DWORD
	v_mov_b32_e32 v55, 0
	v_mov_b32_e32 v56, 0
	s_and_saveexec_b32 s21, s0
	s_cbranch_execz .LBB256_726
; %bb.719:                              ;   in Loop: Header=BB256_487 Depth=1
	v_cmp_ne_u16_sdwa s0, v10, v15 src0_sel:BYTE_0 src1_sel:DWORD
	v_mov_b32_e32 v56, 0x8000
	s_and_saveexec_b32 s22, s0
	s_cbranch_execz .LBB256_725
; %bb.720:                              ;   in Loop: Header=BB256_487 Depth=1
	v_and_b32_e32 v58, 0x7f, v10
	v_mov_b32_e32 v56, 0x7c01
	s_mov_b32 s26, exec_lo
	v_cmpx_ne_u32_e32 0x7f, v58
	s_cbranch_execz .LBB256_724
; %bb.721:                              ;   in Loop: Header=BB256_487 Depth=1
	v_and_b32_e32 v56, 7, v10
	v_lshrrev_b32_e32 v57, 3, v58
	s_mov_b32 s27, exec_lo
	v_cmpx_gt_u32_e32 8, v58
; %bb.722:                              ;   in Loop: Header=BB256_487 Depth=1
	v_ffbh_u32_e32 v56, v56
	v_min_u32_e32 v58, 32, v56
	v_subrev_nc_u32_e32 v56, 28, v58
	v_lshlrev_b64 v[56:57], v56, v[1:2]
	v_sub_nc_u32_e32 v57, 29, v58
	v_and_b32_e32 v56, 7, v56
; %bb.723:                              ;   in Loop: Header=BB256_487 Depth=1
	s_or_b32 exec_lo, exec_lo, s27
	v_lshlrev_b32_e32 v58, 8, v10
	v_lshl_add_u32 v57, v57, 10, 0x2000
	v_lshlrev_b32_e32 v56, 7, v56
	v_and_b32_e32 v58, 0x8000, v58
	v_and_b32_e32 v57, 0xfc00, v57
	v_or3_b32 v56, v58, v57, v56
.LBB256_724:                            ;   in Loop: Header=BB256_487 Depth=1
	s_or_b32 exec_lo, exec_lo, s26
.LBB256_725:                            ;   in Loop: Header=BB256_487 Depth=1
	s_or_b32 exec_lo, exec_lo, s22
.LBB256_726:                            ;   in Loop: Header=BB256_487 Depth=1
	s_or_b32 exec_lo, exec_lo, s21
	v_lshrrev_b16 v1, 8, v1
	v_mov_b32_e32 v57, 0
	s_mov_b32 s21, exec_lo
	v_cmpx_ne_u16_e32 0, v1
	s_cbranch_execz .LBB256_734
; %bb.727:                              ;   in Loop: Header=BB256_487 Depth=1
	v_bfrev_b32_e32 v57, 1
	s_mov_b32 s22, exec_lo
	v_cmpx_ne_u16_e32 0x80, v1
	s_cbranch_execz .LBB256_733
; %bb.728:                              ;   in Loop: Header=BB256_487 Depth=1
	v_and_b32_sdwa v59, v1, v26 dst_sel:DWORD dst_unused:UNUSED_PAD src0_sel:WORD_0 src1_sel:DWORD
	v_mov_b32_e32 v57, 0x7c010000
	s_mov_b32 s26, exec_lo
	v_cmpx_ne_u32_e32 0x7f, v59
	s_cbranch_execz .LBB256_732
; %bb.729:                              ;   in Loop: Header=BB256_487 Depth=1
	v_and_b32_sdwa v57, v1, v27 dst_sel:DWORD dst_unused:UNUSED_PAD src0_sel:WORD_0 src1_sel:DWORD
	v_lshrrev_b32_e32 v58, 3, v59
	s_mov_b32 s27, exec_lo
	v_cmpx_gt_u32_e32 8, v59
; %bb.730:                              ;   in Loop: Header=BB256_487 Depth=1
	v_ffbh_u32_e32 v57, v57
	v_min_u32_e32 v59, 32, v57
	v_subrev_nc_u32_e32 v57, 28, v59
	v_lshlrev_b64 v[57:58], v57, v[1:2]
	v_sub_nc_u32_e32 v58, 29, v59
	v_and_b32_e32 v57, 7, v57
; %bb.731:                              ;   in Loop: Header=BB256_487 Depth=1
	s_or_b32 exec_lo, exec_lo, s27
	v_lshlrev_b32_sdwa v1, v28, v1 dst_sel:DWORD dst_unused:UNUSED_PAD src0_sel:DWORD src1_sel:WORD_0
	v_lshl_add_u32 v58, v58, 10, 0x2000
	v_lshlrev_b32_e32 v57, 23, v57
	v_and_or_b32 v1, 0x8000, v1, v58
	v_lshl_or_b32 v57, v1, 16, v57
.LBB256_732:                            ;   in Loop: Header=BB256_487 Depth=1
	s_or_b32 exec_lo, exec_lo, s26
.LBB256_733:                            ;   in Loop: Header=BB256_487 Depth=1
	s_or_b32 exec_lo, exec_lo, s22
.LBB256_734:                            ;   in Loop: Header=BB256_487 Depth=1
	s_or_b32 exec_lo, exec_lo, s21
	v_lshrrev_b32_e32 v1, 16, v10
	v_cmp_ne_u16_sdwa s0, v1, v2 src0_sel:BYTE_0 src1_sel:DWORD
	s_and_saveexec_b32 s21, s0
	s_cbranch_execz .LBB256_742
; %bb.735:                              ;   in Loop: Header=BB256_487 Depth=1
	v_cmp_ne_u16_sdwa s0, v1, v15 src0_sel:BYTE_0 src1_sel:DWORD
	v_mov_b32_e32 v55, 0x8000
	s_and_saveexec_b32 s22, s0
	s_cbranch_execz .LBB256_741
; %bb.736:                              ;   in Loop: Header=BB256_487 Depth=1
	v_bfe_u32 v59, v10, 16, 7
	v_mov_b32_e32 v55, 0x7c01
	s_mov_b32 s26, exec_lo
	v_cmpx_ne_u32_e32 0x7f, v59
	s_cbranch_execz .LBB256_740
; %bb.737:                              ;   in Loop: Header=BB256_487 Depth=1
	v_and_b32_e32 v55, 7, v1
	v_lshrrev_b32_e32 v58, 3, v59
	s_mov_b32 s27, exec_lo
	v_cmpx_gt_u32_e32 8, v59
; %bb.738:                              ;   in Loop: Header=BB256_487 Depth=1
	v_ffbh_u32_e32 v55, v55
	v_min_u32_e32 v55, 32, v55
	v_subrev_nc_u32_e32 v58, 28, v55
	v_lshlrev_b64 v[59:60], v58, v[1:2]
	v_sub_nc_u32_e32 v58, 29, v55
	v_and_b32_e32 v55, 7, v59
; %bb.739:                              ;   in Loop: Header=BB256_487 Depth=1
	s_or_b32 exec_lo, exec_lo, s27
	v_lshlrev_b32_e32 v1, 8, v1
	v_lshl_add_u32 v58, v58, 10, 0x2000
	v_lshlrev_b32_e32 v55, 7, v55
	v_and_b32_e32 v1, 0x8000, v1
	v_and_b32_e32 v58, 0xfc00, v58
	v_or3_b32 v55, v1, v58, v55
.LBB256_740:                            ;   in Loop: Header=BB256_487 Depth=1
	s_or_b32 exec_lo, exec_lo, s26
.LBB256_741:                            ;   in Loop: Header=BB256_487 Depth=1
	s_or_b32 exec_lo, exec_lo, s22
.LBB256_742:                            ;   in Loop: Header=BB256_487 Depth=1
	s_or_b32 exec_lo, exec_lo, s21
	v_cmp_lt_u64_e64 s0, s[2:3], v[9:10]
	v_mov_b32_e32 v9, 0
	s_and_saveexec_b32 s21, s0
	s_cbranch_execz .LBB256_750
; %bb.743:                              ;   in Loop: Header=BB256_487 Depth=1
	v_lshrrev_b32_e32 v1, 24, v10
	v_bfrev_b32_e32 v9, 1
	s_mov_b32 s22, exec_lo
	v_cmpx_ne_u32_e32 0x80, v1
	s_cbranch_execz .LBB256_749
; %bb.744:                              ;   in Loop: Header=BB256_487 Depth=1
	v_and_b32_e32 v58, 0x7f, v1
	v_mov_b32_e32 v9, 0x7c010000
	s_mov_b32 s26, exec_lo
	v_cmpx_ne_u32_e32 0x7f, v58
	s_cbranch_execz .LBB256_748
; %bb.745:                              ;   in Loop: Header=BB256_487 Depth=1
	v_and_b32_e32 v9, 7, v1
	v_lshrrev_b32_e32 v10, 3, v58
	s_mov_b32 s27, exec_lo
	v_cmpx_gt_u32_e32 8, v58
; %bb.746:                              ;   in Loop: Header=BB256_487 Depth=1
	v_ffbh_u32_e32 v9, v9
	v_min_u32_e32 v58, 32, v9
	v_subrev_nc_u32_e32 v9, 28, v58
	v_lshlrev_b64 v[9:10], v9, v[1:2]
	v_sub_nc_u32_e32 v10, 29, v58
	v_and_b32_e32 v9, 7, v9
; %bb.747:                              ;   in Loop: Header=BB256_487 Depth=1
	s_or_b32 exec_lo, exec_lo, s27
	v_lshlrev_b32_e32 v1, 8, v1
	v_lshl_add_u32 v10, v10, 10, 0x2000
	v_lshlrev_b32_e32 v9, 23, v9
	v_and_or_b32 v1, 0x8000, v1, v10
	v_lshl_or_b32 v9, v1, 16, v9
.LBB256_748:                            ;   in Loop: Header=BB256_487 Depth=1
	s_or_b32 exec_lo, exec_lo, s26
.LBB256_749:                            ;   in Loop: Header=BB256_487 Depth=1
	s_or_b32 exec_lo, exec_lo, s22
.LBB256_750:                            ;   in Loop: Header=BB256_487 Depth=1
	s_or_b32 exec_lo, exec_lo, s21
	v_or_b32_e32 v1, v53, v54
	s_waitcnt vmcnt(0)
	v_fma_mixlo_f16 v10, v50, v53, 0 op_sel:[0,1,0] op_sel_hi:[0,1,0]
	v_or_b32_e32 v53, v51, v52
	v_fma_mixlo_f16 v51, v50, v51, 0 op_sel:[0,1,0] op_sel_hi:[0,1,0]
	v_or_b32_e32 v54, v57, v56
	v_or_b32_e32 v55, v9, v55
	v_fma_mixlo_f16 v56, v50, v1, 0 op_sel_hi:[0,1,0]
	v_fma_mixlo_f16 v9, v50, v9, 0 op_sel:[0,1,0] op_sel_hi:[0,1,0]
	v_lshlrev_b32_e32 v52, 16, v51
	v_fma_mixlo_f16 v51, v50, v53, 0 op_sel_hi:[0,1,0]
	v_fma_mixlo_f16 v53, v50, v57, 0 op_sel:[0,1,0] op_sel_hi:[0,1,0]
	v_fma_mixlo_f16 v54, v50, v54, 0 op_sel_hi:[0,1,0]
	v_fma_mixlo_f16 v55, v50, v55, 0 op_sel_hi:[0,1,0]
	v_lshlrev_b32_e32 v1, 16, v10
	v_and_b32_e32 v10, 0xffff, v56
	v_and_b32_e32 v58, 0xffff, v51
	v_lshlrev_b32_e32 v50, 16, v53
	v_and_b32_e32 v54, 0xffff, v54
	v_lshlrev_b32_e32 v9, 16, v9
	v_and_b32_e32 v51, 0xffff, v55
	v_or_b32_e32 v53, v1, v10
	v_or_b32_e32 v57, v52, v58
	;; [unrolled: 1-line block ×4, first 2 shown]
	s_and_saveexec_b32 s21, vcc_lo
	s_cbranch_execz .LBB256_752
; %bb.751:                              ;   in Loop: Header=BB256_487 Depth=1
	v_cmp_gt_i32_e64 s0, s33, v32
	v_cndmask_b32_e64 v53, 0, v58, s0
	v_cmp_gt_i32_e64 s0, s33, v39
	v_cndmask_b32_e64 v52, 0, v52, s0
	v_cmp_gt_i32_e64 s0, s33, v38
	v_or_b32_e32 v57, v52, v53
	v_cndmask_b32_e64 v10, 0, v10, s0
	v_cmp_gt_i32_e64 s0, s33, v37
	v_cndmask_b32_e64 v1, 0, v1, s0
	v_cmp_gt_i32_e64 s0, s33, v36
	v_or_b32_e32 v53, v1, v10
	;; [unrolled: 5-line block ×3, first 2 shown]
	v_cndmask_b32_e64 v51, 0, v51, s0
	v_cmp_gt_i32_e64 s0, s33, v33
	v_cndmask_b32_e64 v9, 0, v9, s0
	v_or_b32_e32 v55, v9, v51
.LBB256_752:                            ;   in Loop: Header=BB256_487 Depth=1
	s_or_b32 exec_lo, exec_lo, s21
	;;#ASMSTART
	v_pk_mul_f16 v1, v45, v57;

	;;#ASMEND
	;;#ASMSTART
	v_pk_mul_f16 v9, v44, v53;

	;;#ASMEND
	;;#ASMSTART
	v_pk_mul_f16 v10, v43, v56;

	;;#ASMEND
	;;#ASMSTART
	v_pk_mul_f16 v50, v42, v55;

	;;#ASMEND
	;;#ASMSTART
	v_pk_add_f16 v1, v1, v9;

	;;#ASMEND
	;;#ASMSTART
	v_pk_add_f16 v1, v1, v10;

	;;#ASMEND
	;; [unrolled: 4-line block ×3, first 2 shown]
	v_and_b32_e32 v9, 0xffff, v1
	v_lshrrev_b32_e32 v1, 16, v1
	;;#ASMSTART
	v_cvt_f32_f16 v50, v9;
	;;#ASMEND
	;;#ASMSTART
	v_cvt_f32_f16 v51, v1;
	;;#ASMEND
	global_load_dwordx2 v[9:10], v[7:8], off offset:1024
	v_mov_b32_e32 v53, 0
	v_mov_b32_e32 v54, 0
	global_load_dword v52, v53, s[14:15]
	s_waitcnt vmcnt(1)
	v_cmp_ne_u16_sdwa s0, v9, v2 src0_sel:BYTE_0 src1_sel:DWORD
	s_and_saveexec_b32 s21, s0
	s_cbranch_execz .LBB256_760
; %bb.753:                              ;   in Loop: Header=BB256_487 Depth=1
	v_cmp_ne_u16_sdwa s0, v9, v15 src0_sel:BYTE_0 src1_sel:DWORD
	v_mov_b32_e32 v54, 0x8000
	s_and_saveexec_b32 s22, s0
	s_cbranch_execz .LBB256_759
; %bb.754:                              ;   in Loop: Header=BB256_487 Depth=1
	v_and_b32_e32 v55, 0x7f, v9
	v_mov_b32_e32 v54, 0x7c01
	s_mov_b32 s26, exec_lo
	v_cmpx_ne_u32_e32 0x7f, v55
	s_cbranch_execz .LBB256_758
; %bb.755:                              ;   in Loop: Header=BB256_487 Depth=1
	v_and_b32_e32 v1, 7, v9
	v_lshrrev_b32_e32 v54, 3, v55
	s_mov_b32 s27, exec_lo
	v_cmpx_gt_u32_e32 8, v55
; %bb.756:                              ;   in Loop: Header=BB256_487 Depth=1
	v_ffbh_u32_e32 v1, v1
	v_min_u32_e32 v1, 32, v1
	v_subrev_nc_u32_e32 v54, 28, v1
	v_lshlrev_b64 v[55:56], v54, v[9:10]
	v_sub_nc_u32_e32 v54, 29, v1
	v_and_b32_e32 v1, 7, v55
; %bb.757:                              ;   in Loop: Header=BB256_487 Depth=1
	s_or_b32 exec_lo, exec_lo, s27
	v_lshlrev_b32_e32 v55, 8, v9
	v_lshl_add_u32 v54, v54, 10, 0x2000
	v_lshlrev_b32_e32 v1, 7, v1
	v_and_b32_e32 v55, 0x8000, v55
	v_and_b32_e32 v54, 0xfc00, v54
	v_or3_b32 v54, v55, v54, v1
.LBB256_758:                            ;   in Loop: Header=BB256_487 Depth=1
	s_or_b32 exec_lo, exec_lo, s26
.LBB256_759:                            ;   in Loop: Header=BB256_487 Depth=1
	s_or_b32 exec_lo, exec_lo, s22
.LBB256_760:                            ;   in Loop: Header=BB256_487 Depth=1
	s_or_b32 exec_lo, exec_lo, s21
	v_lshrrev_b16 v1, 8, v9
	s_mov_b32 s21, exec_lo
	v_cmpx_ne_u16_e32 0, v1
	s_cbranch_execz .LBB256_768
; %bb.761:                              ;   in Loop: Header=BB256_487 Depth=1
	v_bfrev_b32_e32 v53, 1
	s_mov_b32 s22, exec_lo
	v_cmpx_ne_u16_e32 0x80, v1
	s_cbranch_execz .LBB256_767
; %bb.762:                              ;   in Loop: Header=BB256_487 Depth=1
	v_and_b32_sdwa v56, v1, v26 dst_sel:DWORD dst_unused:UNUSED_PAD src0_sel:WORD_0 src1_sel:DWORD
	v_mov_b32_e32 v53, 0x7c010000
	s_mov_b32 s26, exec_lo
	v_cmpx_ne_u32_e32 0x7f, v56
	s_cbranch_execz .LBB256_766
; %bb.763:                              ;   in Loop: Header=BB256_487 Depth=1
	v_and_b32_sdwa v53, v1, v27 dst_sel:DWORD dst_unused:UNUSED_PAD src0_sel:WORD_0 src1_sel:DWORD
	v_lshrrev_b32_e32 v55, 3, v56
	s_mov_b32 s27, exec_lo
	v_cmpx_gt_u32_e32 8, v56
; %bb.764:                              ;   in Loop: Header=BB256_487 Depth=1
	v_ffbh_u32_e32 v53, v53
	v_min_u32_e32 v53, 32, v53
	v_subrev_nc_u32_e32 v55, 28, v53
	v_lshlrev_b64 v[56:57], v55, v[1:2]
	v_sub_nc_u32_e32 v55, 29, v53
	v_and_b32_e32 v53, 7, v56
; %bb.765:                              ;   in Loop: Header=BB256_487 Depth=1
	s_or_b32 exec_lo, exec_lo, s27
	v_lshlrev_b32_sdwa v1, v28, v1 dst_sel:DWORD dst_unused:UNUSED_PAD src0_sel:DWORD src1_sel:WORD_0
	v_lshl_add_u32 v55, v55, 10, 0x2000
	v_lshlrev_b32_e32 v53, 23, v53
	v_and_or_b32 v1, 0x8000, v1, v55
	v_lshl_or_b32 v53, v1, 16, v53
.LBB256_766:                            ;   in Loop: Header=BB256_487 Depth=1
	s_or_b32 exec_lo, exec_lo, s26
.LBB256_767:                            ;   in Loop: Header=BB256_487 Depth=1
	s_or_b32 exec_lo, exec_lo, s22
.LBB256_768:                            ;   in Loop: Header=BB256_487 Depth=1
	s_or_b32 exec_lo, exec_lo, s21
	v_lshrrev_b32_e32 v1, 16, v9
	v_mov_b32_e32 v55, 0
	v_mov_b32_e32 v56, 0
	v_cmp_ne_u16_sdwa s0, v1, v2 src0_sel:BYTE_0 src1_sel:DWORD
	s_and_saveexec_b32 s21, s0
	s_cbranch_execz .LBB256_776
; %bb.769:                              ;   in Loop: Header=BB256_487 Depth=1
	v_cmp_ne_u16_sdwa s0, v1, v15 src0_sel:BYTE_0 src1_sel:DWORD
	v_mov_b32_e32 v56, 0x8000
	s_and_saveexec_b32 s22, s0
	s_cbranch_execz .LBB256_775
; %bb.770:                              ;   in Loop: Header=BB256_487 Depth=1
	v_bfe_u32 v58, v9, 16, 7
	v_mov_b32_e32 v56, 0x7c01
	s_mov_b32 s26, exec_lo
	v_cmpx_ne_u32_e32 0x7f, v58
	s_cbranch_execz .LBB256_774
; %bb.771:                              ;   in Loop: Header=BB256_487 Depth=1
	v_and_b32_e32 v56, 7, v1
	v_lshrrev_b32_e32 v57, 3, v58
	s_mov_b32 s27, exec_lo
	v_cmpx_gt_u32_e32 8, v58
; %bb.772:                              ;   in Loop: Header=BB256_487 Depth=1
	v_ffbh_u32_e32 v56, v56
	v_min_u32_e32 v58, 32, v56
	v_subrev_nc_u32_e32 v56, 28, v58
	v_lshlrev_b64 v[56:57], v56, v[1:2]
	v_sub_nc_u32_e32 v57, 29, v58
	v_and_b32_e32 v56, 7, v56
; %bb.773:                              ;   in Loop: Header=BB256_487 Depth=1
	s_or_b32 exec_lo, exec_lo, s27
	v_lshlrev_b32_e32 v1, 8, v1
	v_lshl_add_u32 v57, v57, 10, 0x2000
	v_lshlrev_b32_e32 v56, 7, v56
	v_and_b32_e32 v1, 0x8000, v1
	v_and_b32_e32 v57, 0xfc00, v57
	v_or3_b32 v56, v1, v57, v56
.LBB256_774:                            ;   in Loop: Header=BB256_487 Depth=1
	s_or_b32 exec_lo, exec_lo, s26
.LBB256_775:                            ;   in Loop: Header=BB256_487 Depth=1
	s_or_b32 exec_lo, exec_lo, s22
.LBB256_776:                            ;   in Loop: Header=BB256_487 Depth=1
	s_or_b32 exec_lo, exec_lo, s21
	s_mov_b32 s21, exec_lo
	v_cmpx_lt_u32_e32 0xffffff, v9
	s_cbranch_execz .LBB256_784
; %bb.777:                              ;   in Loop: Header=BB256_487 Depth=1
	v_lshrrev_b32_e32 v1, 24, v9
	v_bfrev_b32_e32 v55, 1
	s_mov_b32 s22, exec_lo
	v_cmpx_ne_u32_e32 0x80, v1
	s_cbranch_execz .LBB256_783
; %bb.778:                              ;   in Loop: Header=BB256_487 Depth=1
	v_and_b32_e32 v58, 0x7f, v1
	v_mov_b32_e32 v55, 0x7c010000
	s_mov_b32 s26, exec_lo
	v_cmpx_ne_u32_e32 0x7f, v58
	s_cbranch_execz .LBB256_782
; %bb.779:                              ;   in Loop: Header=BB256_487 Depth=1
	v_and_b32_e32 v55, 7, v1
	v_lshrrev_b32_e32 v57, 3, v58
	s_mov_b32 s27, exec_lo
	v_cmpx_gt_u32_e32 8, v58
; %bb.780:                              ;   in Loop: Header=BB256_487 Depth=1
	v_ffbh_u32_e32 v55, v55
	v_min_u32_e32 v55, 32, v55
	v_subrev_nc_u32_e32 v57, 28, v55
	v_lshlrev_b64 v[58:59], v57, v[1:2]
	v_sub_nc_u32_e32 v57, 29, v55
	v_and_b32_e32 v55, 7, v58
; %bb.781:                              ;   in Loop: Header=BB256_487 Depth=1
	s_or_b32 exec_lo, exec_lo, s27
	v_lshlrev_b32_e32 v1, 8, v1
	v_lshl_add_u32 v57, v57, 10, 0x2000
	v_lshlrev_b32_e32 v55, 23, v55
	v_and_or_b32 v1, 0x8000, v1, v57
	v_lshl_or_b32 v55, v1, 16, v55
.LBB256_782:                            ;   in Loop: Header=BB256_487 Depth=1
	s_or_b32 exec_lo, exec_lo, s26
.LBB256_783:                            ;   in Loop: Header=BB256_487 Depth=1
	s_or_b32 exec_lo, exec_lo, s22
.LBB256_784:                            ;   in Loop: Header=BB256_487 Depth=1
	s_or_b32 exec_lo, exec_lo, s21
	v_mov_b32_e32 v1, v10
	v_cmp_ne_u16_sdwa s0, v10, v2 src0_sel:BYTE_0 src1_sel:DWORD
	v_mov_b32_e32 v57, 0
	v_mov_b32_e32 v58, 0
	s_and_saveexec_b32 s21, s0
	s_cbranch_execz .LBB256_792
; %bb.785:                              ;   in Loop: Header=BB256_487 Depth=1
	v_cmp_ne_u16_sdwa s0, v10, v15 src0_sel:BYTE_0 src1_sel:DWORD
	v_mov_b32_e32 v58, 0x8000
	s_and_saveexec_b32 s22, s0
	s_cbranch_execz .LBB256_791
; %bb.786:                              ;   in Loop: Header=BB256_487 Depth=1
	v_and_b32_e32 v60, 0x7f, v10
	v_mov_b32_e32 v58, 0x7c01
	s_mov_b32 s26, exec_lo
	v_cmpx_ne_u32_e32 0x7f, v60
	s_cbranch_execz .LBB256_790
; %bb.787:                              ;   in Loop: Header=BB256_487 Depth=1
	v_and_b32_e32 v58, 7, v10
	v_lshrrev_b32_e32 v59, 3, v60
	s_mov_b32 s27, exec_lo
	v_cmpx_gt_u32_e32 8, v60
; %bb.788:                              ;   in Loop: Header=BB256_487 Depth=1
	v_ffbh_u32_e32 v58, v58
	v_min_u32_e32 v60, 32, v58
	v_subrev_nc_u32_e32 v58, 28, v60
	v_lshlrev_b64 v[58:59], v58, v[1:2]
	v_sub_nc_u32_e32 v59, 29, v60
	v_and_b32_e32 v58, 7, v58
; %bb.789:                              ;   in Loop: Header=BB256_487 Depth=1
	s_or_b32 exec_lo, exec_lo, s27
	v_lshlrev_b32_e32 v60, 8, v10
	v_lshl_add_u32 v59, v59, 10, 0x2000
	v_lshlrev_b32_e32 v58, 7, v58
	v_and_b32_e32 v60, 0x8000, v60
	v_and_b32_e32 v59, 0xfc00, v59
	v_or3_b32 v58, v60, v59, v58
.LBB256_790:                            ;   in Loop: Header=BB256_487 Depth=1
	s_or_b32 exec_lo, exec_lo, s26
.LBB256_791:                            ;   in Loop: Header=BB256_487 Depth=1
	s_or_b32 exec_lo, exec_lo, s22
.LBB256_792:                            ;   in Loop: Header=BB256_487 Depth=1
	s_or_b32 exec_lo, exec_lo, s21
	v_lshrrev_b16 v1, 8, v1
	v_mov_b32_e32 v59, 0
	s_mov_b32 s21, exec_lo
	v_cmpx_ne_u16_e32 0, v1
	s_cbranch_execz .LBB256_800
; %bb.793:                              ;   in Loop: Header=BB256_487 Depth=1
	v_bfrev_b32_e32 v59, 1
	s_mov_b32 s22, exec_lo
	v_cmpx_ne_u16_e32 0x80, v1
	s_cbranch_execz .LBB256_799
; %bb.794:                              ;   in Loop: Header=BB256_487 Depth=1
	v_and_b32_sdwa v61, v1, v26 dst_sel:DWORD dst_unused:UNUSED_PAD src0_sel:WORD_0 src1_sel:DWORD
	v_mov_b32_e32 v59, 0x7c010000
	s_mov_b32 s26, exec_lo
	v_cmpx_ne_u32_e32 0x7f, v61
	s_cbranch_execz .LBB256_798
; %bb.795:                              ;   in Loop: Header=BB256_487 Depth=1
	v_and_b32_sdwa v59, v1, v27 dst_sel:DWORD dst_unused:UNUSED_PAD src0_sel:WORD_0 src1_sel:DWORD
	v_lshrrev_b32_e32 v60, 3, v61
	s_mov_b32 s27, exec_lo
	v_cmpx_gt_u32_e32 8, v61
; %bb.796:                              ;   in Loop: Header=BB256_487 Depth=1
	v_ffbh_u32_e32 v59, v59
	v_min_u32_e32 v61, 32, v59
	v_subrev_nc_u32_e32 v59, 28, v61
	v_lshlrev_b64 v[59:60], v59, v[1:2]
	v_sub_nc_u32_e32 v60, 29, v61
	v_and_b32_e32 v59, 7, v59
; %bb.797:                              ;   in Loop: Header=BB256_487 Depth=1
	s_or_b32 exec_lo, exec_lo, s27
	v_lshlrev_b32_sdwa v1, v28, v1 dst_sel:DWORD dst_unused:UNUSED_PAD src0_sel:DWORD src1_sel:WORD_0
	v_lshl_add_u32 v60, v60, 10, 0x2000
	v_lshlrev_b32_e32 v59, 23, v59
	v_and_or_b32 v1, 0x8000, v1, v60
	v_lshl_or_b32 v59, v1, 16, v59
.LBB256_798:                            ;   in Loop: Header=BB256_487 Depth=1
	s_or_b32 exec_lo, exec_lo, s26
.LBB256_799:                            ;   in Loop: Header=BB256_487 Depth=1
	s_or_b32 exec_lo, exec_lo, s22
.LBB256_800:                            ;   in Loop: Header=BB256_487 Depth=1
	s_or_b32 exec_lo, exec_lo, s21
	v_lshrrev_b32_e32 v1, 16, v10
	v_cmp_ne_u16_sdwa s0, v1, v2 src0_sel:BYTE_0 src1_sel:DWORD
	s_and_saveexec_b32 s21, s0
	s_cbranch_execz .LBB256_808
; %bb.801:                              ;   in Loop: Header=BB256_487 Depth=1
	v_cmp_ne_u16_sdwa s0, v1, v15 src0_sel:BYTE_0 src1_sel:DWORD
	v_mov_b32_e32 v57, 0x8000
	s_and_saveexec_b32 s22, s0
	s_cbranch_execz .LBB256_807
; %bb.802:                              ;   in Loop: Header=BB256_487 Depth=1
	v_bfe_u32 v61, v10, 16, 7
	v_mov_b32_e32 v57, 0x7c01
	s_mov_b32 s26, exec_lo
	v_cmpx_ne_u32_e32 0x7f, v61
	s_cbranch_execz .LBB256_806
; %bb.803:                              ;   in Loop: Header=BB256_487 Depth=1
	v_and_b32_e32 v57, 7, v1
	v_lshrrev_b32_e32 v60, 3, v61
	s_mov_b32 s27, exec_lo
	v_cmpx_gt_u32_e32 8, v61
; %bb.804:                              ;   in Loop: Header=BB256_487 Depth=1
	v_ffbh_u32_e32 v57, v57
	v_min_u32_e32 v57, 32, v57
	v_subrev_nc_u32_e32 v60, 28, v57
	v_lshlrev_b64 v[61:62], v60, v[1:2]
	v_sub_nc_u32_e32 v60, 29, v57
	v_and_b32_e32 v57, 7, v61
; %bb.805:                              ;   in Loop: Header=BB256_487 Depth=1
	s_or_b32 exec_lo, exec_lo, s27
	v_lshlrev_b32_e32 v1, 8, v1
	v_lshl_add_u32 v60, v60, 10, 0x2000
	v_lshlrev_b32_e32 v57, 7, v57
	v_and_b32_e32 v1, 0x8000, v1
	v_and_b32_e32 v60, 0xfc00, v60
	v_or3_b32 v57, v1, v60, v57
.LBB256_806:                            ;   in Loop: Header=BB256_487 Depth=1
	s_or_b32 exec_lo, exec_lo, s26
.LBB256_807:                            ;   in Loop: Header=BB256_487 Depth=1
	s_or_b32 exec_lo, exec_lo, s22
.LBB256_808:                            ;   in Loop: Header=BB256_487 Depth=1
	s_or_b32 exec_lo, exec_lo, s21
	v_cmp_lt_u64_e64 s0, s[2:3], v[9:10]
	v_mov_b32_e32 v9, 0
	s_and_saveexec_b32 s21, s0
	s_cbranch_execz .LBB256_816
; %bb.809:                              ;   in Loop: Header=BB256_487 Depth=1
	v_lshrrev_b32_e32 v1, 24, v10
	v_bfrev_b32_e32 v9, 1
	s_mov_b32 s22, exec_lo
	v_cmpx_ne_u32_e32 0x80, v1
	s_cbranch_execz .LBB256_815
; %bb.810:                              ;   in Loop: Header=BB256_487 Depth=1
	v_and_b32_e32 v60, 0x7f, v1
	v_mov_b32_e32 v9, 0x7c010000
	s_mov_b32 s26, exec_lo
	v_cmpx_ne_u32_e32 0x7f, v60
	s_cbranch_execz .LBB256_814
; %bb.811:                              ;   in Loop: Header=BB256_487 Depth=1
	v_and_b32_e32 v9, 7, v1
	v_lshrrev_b32_e32 v10, 3, v60
	s_mov_b32 s27, exec_lo
	v_cmpx_gt_u32_e32 8, v60
; %bb.812:                              ;   in Loop: Header=BB256_487 Depth=1
	v_ffbh_u32_e32 v9, v9
	v_min_u32_e32 v60, 32, v9
	v_subrev_nc_u32_e32 v9, 28, v60
	v_lshlrev_b64 v[9:10], v9, v[1:2]
	v_sub_nc_u32_e32 v10, 29, v60
	v_and_b32_e32 v9, 7, v9
; %bb.813:                              ;   in Loop: Header=BB256_487 Depth=1
	s_or_b32 exec_lo, exec_lo, s27
	v_lshlrev_b32_e32 v1, 8, v1
	v_lshl_add_u32 v10, v10, 10, 0x2000
	v_lshlrev_b32_e32 v9, 23, v9
	v_and_or_b32 v1, 0x8000, v1, v10
	v_lshl_or_b32 v9, v1, 16, v9
.LBB256_814:                            ;   in Loop: Header=BB256_487 Depth=1
	s_or_b32 exec_lo, exec_lo, s26
.LBB256_815:                            ;   in Loop: Header=BB256_487 Depth=1
	s_or_b32 exec_lo, exec_lo, s22
.LBB256_816:                            ;   in Loop: Header=BB256_487 Depth=1
	s_or_b32 exec_lo, exec_lo, s21
	v_or_b32_e32 v1, v55, v56
	s_waitcnt vmcnt(0)
	v_fma_mixlo_f16 v10, v52, v55, 0 op_sel:[0,1,0] op_sel_hi:[0,1,0]
	v_or_b32_e32 v55, v53, v54
	v_fma_mixlo_f16 v53, v52, v53, 0 op_sel:[0,1,0] op_sel_hi:[0,1,0]
	v_or_b32_e32 v56, v59, v58
	v_or_b32_e32 v57, v9, v57
	v_fma_mixlo_f16 v58, v52, v1, 0 op_sel_hi:[0,1,0]
	v_fma_mixlo_f16 v9, v52, v9, 0 op_sel:[0,1,0] op_sel_hi:[0,1,0]
	v_lshlrev_b32_e32 v54, 16, v53
	v_fma_mixlo_f16 v53, v52, v55, 0 op_sel_hi:[0,1,0]
	v_fma_mixlo_f16 v55, v52, v59, 0 op_sel:[0,1,0] op_sel_hi:[0,1,0]
	v_fma_mixlo_f16 v56, v52, v56, 0 op_sel_hi:[0,1,0]
	v_fma_mixlo_f16 v57, v52, v57, 0 op_sel_hi:[0,1,0]
	v_lshlrev_b32_e32 v1, 16, v10
	v_and_b32_e32 v10, 0xffff, v58
	v_and_b32_e32 v60, 0xffff, v53
	v_lshlrev_b32_e32 v52, 16, v55
	v_and_b32_e32 v56, 0xffff, v56
	v_lshlrev_b32_e32 v9, 16, v9
	v_and_b32_e32 v53, 0xffff, v57
	v_or_b32_e32 v55, v1, v10
	v_or_b32_e32 v59, v54, v60
	;; [unrolled: 1-line block ×4, first 2 shown]
	s_and_saveexec_b32 s21, vcc_lo
	s_cbranch_execz .LBB256_818
; %bb.817:                              ;   in Loop: Header=BB256_487 Depth=1
	v_cmp_gt_i32_e64 s0, s33, v32
	v_cndmask_b32_e64 v55, 0, v60, s0
	v_cmp_gt_i32_e64 s0, s33, v39
	v_cndmask_b32_e64 v54, 0, v54, s0
	v_cmp_gt_i32_e64 s0, s33, v38
	v_or_b32_e32 v59, v54, v55
	v_cndmask_b32_e64 v10, 0, v10, s0
	v_cmp_gt_i32_e64 s0, s33, v37
	v_cndmask_b32_e64 v1, 0, v1, s0
	v_cmp_gt_i32_e64 s0, s33, v36
	v_or_b32_e32 v55, v1, v10
	;; [unrolled: 5-line block ×3, first 2 shown]
	v_cndmask_b32_e64 v53, 0, v53, s0
	v_cmp_gt_i32_e64 s0, s33, v33
	v_cndmask_b32_e64 v9, 0, v9, s0
	v_or_b32_e32 v57, v9, v53
.LBB256_818:                            ;   in Loop: Header=BB256_487 Depth=1
	s_or_b32 exec_lo, exec_lo, s21
	;;#ASMSTART
	v_pk_mul_f16 v1, v45, v59;

	;;#ASMEND
	;;#ASMSTART
	v_pk_mul_f16 v9, v44, v55;

	;;#ASMEND
	;;#ASMSTART
	v_pk_mul_f16 v10, v43, v58;

	;;#ASMEND
	;;#ASMSTART
	v_pk_mul_f16 v52, v42, v57;

	;;#ASMEND
	;;#ASMSTART
	v_pk_add_f16 v1, v1, v9;

	;;#ASMEND
	;;#ASMSTART
	v_pk_add_f16 v1, v1, v10;

	;;#ASMEND
	;; [unrolled: 4-line block ×3, first 2 shown]
	v_and_b32_e32 v9, 0xffff, v1
	v_lshrrev_b32_e32 v1, 16, v1
	;;#ASMSTART
	v_cvt_f32_f16 v52, v9;
	;;#ASMEND
	;;#ASMSTART
	v_cvt_f32_f16 v53, v1;
	;;#ASMEND
	global_load_dwordx2 v[9:10], v[7:8], off offset:1280
	v_mov_b32_e32 v55, 0
	v_mov_b32_e32 v56, 0
	global_load_dword v54, v55, s[14:15]
	s_waitcnt vmcnt(1)
	v_cmp_ne_u16_sdwa s0, v9, v2 src0_sel:BYTE_0 src1_sel:DWORD
	s_and_saveexec_b32 s21, s0
	s_cbranch_execz .LBB256_826
; %bb.819:                              ;   in Loop: Header=BB256_487 Depth=1
	v_cmp_ne_u16_sdwa s0, v9, v15 src0_sel:BYTE_0 src1_sel:DWORD
	v_mov_b32_e32 v56, 0x8000
	s_and_saveexec_b32 s22, s0
	s_cbranch_execz .LBB256_825
; %bb.820:                              ;   in Loop: Header=BB256_487 Depth=1
	v_and_b32_e32 v57, 0x7f, v9
	v_mov_b32_e32 v56, 0x7c01
	s_mov_b32 s26, exec_lo
	v_cmpx_ne_u32_e32 0x7f, v57
	s_cbranch_execz .LBB256_824
; %bb.821:                              ;   in Loop: Header=BB256_487 Depth=1
	v_and_b32_e32 v1, 7, v9
	v_lshrrev_b32_e32 v56, 3, v57
	s_mov_b32 s27, exec_lo
	v_cmpx_gt_u32_e32 8, v57
; %bb.822:                              ;   in Loop: Header=BB256_487 Depth=1
	v_ffbh_u32_e32 v1, v1
	v_min_u32_e32 v1, 32, v1
	v_subrev_nc_u32_e32 v56, 28, v1
	v_lshlrev_b64 v[57:58], v56, v[9:10]
	v_sub_nc_u32_e32 v56, 29, v1
	v_and_b32_e32 v1, 7, v57
; %bb.823:                              ;   in Loop: Header=BB256_487 Depth=1
	s_or_b32 exec_lo, exec_lo, s27
	v_lshlrev_b32_e32 v57, 8, v9
	v_lshl_add_u32 v56, v56, 10, 0x2000
	v_lshlrev_b32_e32 v1, 7, v1
	v_and_b32_e32 v57, 0x8000, v57
	v_and_b32_e32 v56, 0xfc00, v56
	v_or3_b32 v56, v57, v56, v1
.LBB256_824:                            ;   in Loop: Header=BB256_487 Depth=1
	s_or_b32 exec_lo, exec_lo, s26
.LBB256_825:                            ;   in Loop: Header=BB256_487 Depth=1
	s_or_b32 exec_lo, exec_lo, s22
.LBB256_826:                            ;   in Loop: Header=BB256_487 Depth=1
	s_or_b32 exec_lo, exec_lo, s21
	v_lshrrev_b16 v1, 8, v9
	s_mov_b32 s21, exec_lo
	v_cmpx_ne_u16_e32 0, v1
	s_cbranch_execz .LBB256_834
; %bb.827:                              ;   in Loop: Header=BB256_487 Depth=1
	v_bfrev_b32_e32 v55, 1
	s_mov_b32 s22, exec_lo
	v_cmpx_ne_u16_e32 0x80, v1
	s_cbranch_execz .LBB256_833
; %bb.828:                              ;   in Loop: Header=BB256_487 Depth=1
	v_and_b32_sdwa v58, v1, v26 dst_sel:DWORD dst_unused:UNUSED_PAD src0_sel:WORD_0 src1_sel:DWORD
	v_mov_b32_e32 v55, 0x7c010000
	s_mov_b32 s26, exec_lo
	v_cmpx_ne_u32_e32 0x7f, v58
	s_cbranch_execz .LBB256_832
; %bb.829:                              ;   in Loop: Header=BB256_487 Depth=1
	v_and_b32_sdwa v55, v1, v27 dst_sel:DWORD dst_unused:UNUSED_PAD src0_sel:WORD_0 src1_sel:DWORD
	v_lshrrev_b32_e32 v57, 3, v58
	s_mov_b32 s27, exec_lo
	v_cmpx_gt_u32_e32 8, v58
; %bb.830:                              ;   in Loop: Header=BB256_487 Depth=1
	v_ffbh_u32_e32 v55, v55
	v_min_u32_e32 v55, 32, v55
	v_subrev_nc_u32_e32 v57, 28, v55
	v_lshlrev_b64 v[58:59], v57, v[1:2]
	v_sub_nc_u32_e32 v57, 29, v55
	v_and_b32_e32 v55, 7, v58
; %bb.831:                              ;   in Loop: Header=BB256_487 Depth=1
	s_or_b32 exec_lo, exec_lo, s27
	v_lshlrev_b32_sdwa v1, v28, v1 dst_sel:DWORD dst_unused:UNUSED_PAD src0_sel:DWORD src1_sel:WORD_0
	v_lshl_add_u32 v57, v57, 10, 0x2000
	v_lshlrev_b32_e32 v55, 23, v55
	v_and_or_b32 v1, 0x8000, v1, v57
	v_lshl_or_b32 v55, v1, 16, v55
.LBB256_832:                            ;   in Loop: Header=BB256_487 Depth=1
	s_or_b32 exec_lo, exec_lo, s26
.LBB256_833:                            ;   in Loop: Header=BB256_487 Depth=1
	s_or_b32 exec_lo, exec_lo, s22
.LBB256_834:                            ;   in Loop: Header=BB256_487 Depth=1
	s_or_b32 exec_lo, exec_lo, s21
	v_lshrrev_b32_e32 v1, 16, v9
	v_mov_b32_e32 v57, 0
	v_mov_b32_e32 v58, 0
	v_cmp_ne_u16_sdwa s0, v1, v2 src0_sel:BYTE_0 src1_sel:DWORD
	s_and_saveexec_b32 s21, s0
	s_cbranch_execz .LBB256_842
; %bb.835:                              ;   in Loop: Header=BB256_487 Depth=1
	v_cmp_ne_u16_sdwa s0, v1, v15 src0_sel:BYTE_0 src1_sel:DWORD
	v_mov_b32_e32 v58, 0x8000
	s_and_saveexec_b32 s22, s0
	s_cbranch_execz .LBB256_841
; %bb.836:                              ;   in Loop: Header=BB256_487 Depth=1
	v_bfe_u32 v60, v9, 16, 7
	v_mov_b32_e32 v58, 0x7c01
	s_mov_b32 s26, exec_lo
	v_cmpx_ne_u32_e32 0x7f, v60
	s_cbranch_execz .LBB256_840
; %bb.837:                              ;   in Loop: Header=BB256_487 Depth=1
	v_and_b32_e32 v58, 7, v1
	v_lshrrev_b32_e32 v59, 3, v60
	s_mov_b32 s27, exec_lo
	v_cmpx_gt_u32_e32 8, v60
; %bb.838:                              ;   in Loop: Header=BB256_487 Depth=1
	v_ffbh_u32_e32 v58, v58
	v_min_u32_e32 v60, 32, v58
	v_subrev_nc_u32_e32 v58, 28, v60
	v_lshlrev_b64 v[58:59], v58, v[1:2]
	v_sub_nc_u32_e32 v59, 29, v60
	v_and_b32_e32 v58, 7, v58
; %bb.839:                              ;   in Loop: Header=BB256_487 Depth=1
	s_or_b32 exec_lo, exec_lo, s27
	v_lshlrev_b32_e32 v1, 8, v1
	v_lshl_add_u32 v59, v59, 10, 0x2000
	v_lshlrev_b32_e32 v58, 7, v58
	v_and_b32_e32 v1, 0x8000, v1
	v_and_b32_e32 v59, 0xfc00, v59
	v_or3_b32 v58, v1, v59, v58
.LBB256_840:                            ;   in Loop: Header=BB256_487 Depth=1
	s_or_b32 exec_lo, exec_lo, s26
.LBB256_841:                            ;   in Loop: Header=BB256_487 Depth=1
	s_or_b32 exec_lo, exec_lo, s22
.LBB256_842:                            ;   in Loop: Header=BB256_487 Depth=1
	s_or_b32 exec_lo, exec_lo, s21
	s_mov_b32 s21, exec_lo
	v_cmpx_lt_u32_e32 0xffffff, v9
	s_cbranch_execz .LBB256_850
; %bb.843:                              ;   in Loop: Header=BB256_487 Depth=1
	v_lshrrev_b32_e32 v1, 24, v9
	v_bfrev_b32_e32 v57, 1
	s_mov_b32 s22, exec_lo
	v_cmpx_ne_u32_e32 0x80, v1
	s_cbranch_execz .LBB256_849
; %bb.844:                              ;   in Loop: Header=BB256_487 Depth=1
	v_and_b32_e32 v60, 0x7f, v1
	v_mov_b32_e32 v57, 0x7c010000
	s_mov_b32 s26, exec_lo
	v_cmpx_ne_u32_e32 0x7f, v60
	s_cbranch_execz .LBB256_848
; %bb.845:                              ;   in Loop: Header=BB256_487 Depth=1
	v_and_b32_e32 v57, 7, v1
	v_lshrrev_b32_e32 v59, 3, v60
	s_mov_b32 s27, exec_lo
	v_cmpx_gt_u32_e32 8, v60
; %bb.846:                              ;   in Loop: Header=BB256_487 Depth=1
	v_ffbh_u32_e32 v57, v57
	v_min_u32_e32 v57, 32, v57
	v_subrev_nc_u32_e32 v59, 28, v57
	v_lshlrev_b64 v[60:61], v59, v[1:2]
	v_sub_nc_u32_e32 v59, 29, v57
	v_and_b32_e32 v57, 7, v60
; %bb.847:                              ;   in Loop: Header=BB256_487 Depth=1
	s_or_b32 exec_lo, exec_lo, s27
	v_lshlrev_b32_e32 v1, 8, v1
	v_lshl_add_u32 v59, v59, 10, 0x2000
	v_lshlrev_b32_e32 v57, 23, v57
	v_and_or_b32 v1, 0x8000, v1, v59
	v_lshl_or_b32 v57, v1, 16, v57
.LBB256_848:                            ;   in Loop: Header=BB256_487 Depth=1
	s_or_b32 exec_lo, exec_lo, s26
.LBB256_849:                            ;   in Loop: Header=BB256_487 Depth=1
	s_or_b32 exec_lo, exec_lo, s22
.LBB256_850:                            ;   in Loop: Header=BB256_487 Depth=1
	s_or_b32 exec_lo, exec_lo, s21
	v_mov_b32_e32 v1, v10
	v_cmp_ne_u16_sdwa s0, v10, v2 src0_sel:BYTE_0 src1_sel:DWORD
	v_mov_b32_e32 v59, 0
	v_mov_b32_e32 v60, 0
	s_and_saveexec_b32 s21, s0
	s_cbranch_execz .LBB256_858
; %bb.851:                              ;   in Loop: Header=BB256_487 Depth=1
	v_cmp_ne_u16_sdwa s0, v10, v15 src0_sel:BYTE_0 src1_sel:DWORD
	v_mov_b32_e32 v60, 0x8000
	s_and_saveexec_b32 s22, s0
	s_cbranch_execz .LBB256_857
; %bb.852:                              ;   in Loop: Header=BB256_487 Depth=1
	v_and_b32_e32 v62, 0x7f, v10
	v_mov_b32_e32 v60, 0x7c01
	s_mov_b32 s26, exec_lo
	v_cmpx_ne_u32_e32 0x7f, v62
	s_cbranch_execz .LBB256_856
; %bb.853:                              ;   in Loop: Header=BB256_487 Depth=1
	v_and_b32_e32 v60, 7, v10
	v_lshrrev_b32_e32 v61, 3, v62
	s_mov_b32 s27, exec_lo
	v_cmpx_gt_u32_e32 8, v62
; %bb.854:                              ;   in Loop: Header=BB256_487 Depth=1
	v_ffbh_u32_e32 v60, v60
	v_min_u32_e32 v62, 32, v60
	v_subrev_nc_u32_e32 v60, 28, v62
	v_lshlrev_b64 v[60:61], v60, v[1:2]
	v_sub_nc_u32_e32 v61, 29, v62
	v_and_b32_e32 v60, 7, v60
; %bb.855:                              ;   in Loop: Header=BB256_487 Depth=1
	s_or_b32 exec_lo, exec_lo, s27
	v_lshlrev_b32_e32 v62, 8, v10
	v_lshl_add_u32 v61, v61, 10, 0x2000
	v_lshlrev_b32_e32 v60, 7, v60
	v_and_b32_e32 v62, 0x8000, v62
	v_and_b32_e32 v61, 0xfc00, v61
	v_or3_b32 v60, v62, v61, v60
.LBB256_856:                            ;   in Loop: Header=BB256_487 Depth=1
	s_or_b32 exec_lo, exec_lo, s26
.LBB256_857:                            ;   in Loop: Header=BB256_487 Depth=1
	s_or_b32 exec_lo, exec_lo, s22
.LBB256_858:                            ;   in Loop: Header=BB256_487 Depth=1
	s_or_b32 exec_lo, exec_lo, s21
	v_lshrrev_b16 v1, 8, v1
	v_mov_b32_e32 v61, 0
	s_mov_b32 s21, exec_lo
	v_cmpx_ne_u16_e32 0, v1
	s_cbranch_execz .LBB256_866
; %bb.859:                              ;   in Loop: Header=BB256_487 Depth=1
	v_bfrev_b32_e32 v61, 1
	s_mov_b32 s22, exec_lo
	v_cmpx_ne_u16_e32 0x80, v1
	s_cbranch_execz .LBB256_865
; %bb.860:                              ;   in Loop: Header=BB256_487 Depth=1
	v_and_b32_sdwa v63, v1, v26 dst_sel:DWORD dst_unused:UNUSED_PAD src0_sel:WORD_0 src1_sel:DWORD
	v_mov_b32_e32 v61, 0x7c010000
	s_mov_b32 s26, exec_lo
	v_cmpx_ne_u32_e32 0x7f, v63
	s_cbranch_execz .LBB256_864
; %bb.861:                              ;   in Loop: Header=BB256_487 Depth=1
	v_and_b32_sdwa v61, v1, v27 dst_sel:DWORD dst_unused:UNUSED_PAD src0_sel:WORD_0 src1_sel:DWORD
	v_lshrrev_b32_e32 v62, 3, v63
	s_mov_b32 s27, exec_lo
	v_cmpx_gt_u32_e32 8, v63
; %bb.862:                              ;   in Loop: Header=BB256_487 Depth=1
	v_ffbh_u32_e32 v61, v61
	v_min_u32_e32 v63, 32, v61
	v_subrev_nc_u32_e32 v61, 28, v63
	v_lshlrev_b64 v[61:62], v61, v[1:2]
	v_sub_nc_u32_e32 v62, 29, v63
	v_and_b32_e32 v61, 7, v61
; %bb.863:                              ;   in Loop: Header=BB256_487 Depth=1
	s_or_b32 exec_lo, exec_lo, s27
	v_lshlrev_b32_sdwa v1, v28, v1 dst_sel:DWORD dst_unused:UNUSED_PAD src0_sel:DWORD src1_sel:WORD_0
	v_lshl_add_u32 v62, v62, 10, 0x2000
	v_lshlrev_b32_e32 v61, 23, v61
	v_and_or_b32 v1, 0x8000, v1, v62
	v_lshl_or_b32 v61, v1, 16, v61
.LBB256_864:                            ;   in Loop: Header=BB256_487 Depth=1
	s_or_b32 exec_lo, exec_lo, s26
.LBB256_865:                            ;   in Loop: Header=BB256_487 Depth=1
	s_or_b32 exec_lo, exec_lo, s22
.LBB256_866:                            ;   in Loop: Header=BB256_487 Depth=1
	s_or_b32 exec_lo, exec_lo, s21
	v_lshrrev_b32_e32 v1, 16, v10
	v_cmp_ne_u16_sdwa s0, v1, v2 src0_sel:BYTE_0 src1_sel:DWORD
	s_and_saveexec_b32 s21, s0
	s_cbranch_execz .LBB256_874
; %bb.867:                              ;   in Loop: Header=BB256_487 Depth=1
	v_cmp_ne_u16_sdwa s0, v1, v15 src0_sel:BYTE_0 src1_sel:DWORD
	v_mov_b32_e32 v59, 0x8000
	s_and_saveexec_b32 s22, s0
	s_cbranch_execz .LBB256_873
; %bb.868:                              ;   in Loop: Header=BB256_487 Depth=1
	v_bfe_u32 v63, v10, 16, 7
	v_mov_b32_e32 v59, 0x7c01
	s_mov_b32 s26, exec_lo
	v_cmpx_ne_u32_e32 0x7f, v63
	s_cbranch_execz .LBB256_872
; %bb.869:                              ;   in Loop: Header=BB256_487 Depth=1
	v_and_b32_e32 v59, 7, v1
	v_lshrrev_b32_e32 v62, 3, v63
	s_mov_b32 s27, exec_lo
	v_cmpx_gt_u32_e32 8, v63
; %bb.870:                              ;   in Loop: Header=BB256_487 Depth=1
	v_ffbh_u32_e32 v59, v59
	v_min_u32_e32 v59, 32, v59
	v_subrev_nc_u32_e32 v62, 28, v59
	v_lshlrev_b64 v[63:64], v62, v[1:2]
	v_sub_nc_u32_e32 v62, 29, v59
	v_and_b32_e32 v59, 7, v63
; %bb.871:                              ;   in Loop: Header=BB256_487 Depth=1
	s_or_b32 exec_lo, exec_lo, s27
	v_lshlrev_b32_e32 v1, 8, v1
	v_lshl_add_u32 v62, v62, 10, 0x2000
	v_lshlrev_b32_e32 v59, 7, v59
	v_and_b32_e32 v1, 0x8000, v1
	v_and_b32_e32 v62, 0xfc00, v62
	v_or3_b32 v59, v1, v62, v59
.LBB256_872:                            ;   in Loop: Header=BB256_487 Depth=1
	s_or_b32 exec_lo, exec_lo, s26
.LBB256_873:                            ;   in Loop: Header=BB256_487 Depth=1
	s_or_b32 exec_lo, exec_lo, s22
.LBB256_874:                            ;   in Loop: Header=BB256_487 Depth=1
	s_or_b32 exec_lo, exec_lo, s21
	v_cmp_lt_u64_e64 s0, s[2:3], v[9:10]
	v_mov_b32_e32 v9, 0
	s_and_saveexec_b32 s21, s0
	s_cbranch_execz .LBB256_882
; %bb.875:                              ;   in Loop: Header=BB256_487 Depth=1
	v_lshrrev_b32_e32 v1, 24, v10
	v_bfrev_b32_e32 v9, 1
	s_mov_b32 s22, exec_lo
	v_cmpx_ne_u32_e32 0x80, v1
	s_cbranch_execz .LBB256_881
; %bb.876:                              ;   in Loop: Header=BB256_487 Depth=1
	v_and_b32_e32 v62, 0x7f, v1
	v_mov_b32_e32 v9, 0x7c010000
	s_mov_b32 s26, exec_lo
	v_cmpx_ne_u32_e32 0x7f, v62
	s_cbranch_execz .LBB256_880
; %bb.877:                              ;   in Loop: Header=BB256_487 Depth=1
	v_and_b32_e32 v9, 7, v1
	v_lshrrev_b32_e32 v10, 3, v62
	s_mov_b32 s27, exec_lo
	v_cmpx_gt_u32_e32 8, v62
; %bb.878:                              ;   in Loop: Header=BB256_487 Depth=1
	v_ffbh_u32_e32 v9, v9
	v_min_u32_e32 v62, 32, v9
	v_subrev_nc_u32_e32 v9, 28, v62
	v_lshlrev_b64 v[9:10], v9, v[1:2]
	v_sub_nc_u32_e32 v10, 29, v62
	v_and_b32_e32 v9, 7, v9
; %bb.879:                              ;   in Loop: Header=BB256_487 Depth=1
	s_or_b32 exec_lo, exec_lo, s27
	v_lshlrev_b32_e32 v1, 8, v1
	v_lshl_add_u32 v10, v10, 10, 0x2000
	v_lshlrev_b32_e32 v9, 23, v9
	v_and_or_b32 v1, 0x8000, v1, v10
	v_lshl_or_b32 v9, v1, 16, v9
.LBB256_880:                            ;   in Loop: Header=BB256_487 Depth=1
	s_or_b32 exec_lo, exec_lo, s26
.LBB256_881:                            ;   in Loop: Header=BB256_487 Depth=1
	s_or_b32 exec_lo, exec_lo, s22
.LBB256_882:                            ;   in Loop: Header=BB256_487 Depth=1
	s_or_b32 exec_lo, exec_lo, s21
	v_or_b32_e32 v1, v57, v58
	s_waitcnt vmcnt(0)
	v_fma_mixlo_f16 v10, v54, v57, 0 op_sel:[0,1,0] op_sel_hi:[0,1,0]
	v_or_b32_e32 v57, v55, v56
	v_fma_mixlo_f16 v55, v54, v55, 0 op_sel:[0,1,0] op_sel_hi:[0,1,0]
	v_or_b32_e32 v58, v61, v60
	v_or_b32_e32 v59, v9, v59
	v_fma_mixlo_f16 v60, v54, v1, 0 op_sel_hi:[0,1,0]
	v_fma_mixlo_f16 v9, v54, v9, 0 op_sel:[0,1,0] op_sel_hi:[0,1,0]
	v_lshlrev_b32_e32 v56, 16, v55
	v_fma_mixlo_f16 v55, v54, v57, 0 op_sel_hi:[0,1,0]
	v_fma_mixlo_f16 v57, v54, v61, 0 op_sel:[0,1,0] op_sel_hi:[0,1,0]
	v_fma_mixlo_f16 v58, v54, v58, 0 op_sel_hi:[0,1,0]
	v_fma_mixlo_f16 v59, v54, v59, 0 op_sel_hi:[0,1,0]
	v_lshlrev_b32_e32 v1, 16, v10
	v_and_b32_e32 v10, 0xffff, v60
	v_and_b32_e32 v62, 0xffff, v55
	v_lshlrev_b32_e32 v54, 16, v57
	v_and_b32_e32 v58, 0xffff, v58
	v_lshlrev_b32_e32 v9, 16, v9
	v_and_b32_e32 v55, 0xffff, v59
	v_or_b32_e32 v57, v1, v10
	v_or_b32_e32 v61, v56, v62
	;; [unrolled: 1-line block ×4, first 2 shown]
	s_and_saveexec_b32 s21, vcc_lo
	s_cbranch_execz .LBB256_884
; %bb.883:                              ;   in Loop: Header=BB256_487 Depth=1
	v_cmp_gt_i32_e64 s0, s33, v32
	v_cndmask_b32_e64 v57, 0, v62, s0
	v_cmp_gt_i32_e64 s0, s33, v39
	v_cndmask_b32_e64 v56, 0, v56, s0
	v_cmp_gt_i32_e64 s0, s33, v38
	v_or_b32_e32 v61, v56, v57
	v_cndmask_b32_e64 v10, 0, v10, s0
	v_cmp_gt_i32_e64 s0, s33, v37
	v_cndmask_b32_e64 v1, 0, v1, s0
	v_cmp_gt_i32_e64 s0, s33, v36
	v_or_b32_e32 v57, v1, v10
	;; [unrolled: 5-line block ×3, first 2 shown]
	v_cndmask_b32_e64 v55, 0, v55, s0
	v_cmp_gt_i32_e64 s0, s33, v33
	v_cndmask_b32_e64 v9, 0, v9, s0
	v_or_b32_e32 v59, v9, v55
.LBB256_884:                            ;   in Loop: Header=BB256_487 Depth=1
	s_or_b32 exec_lo, exec_lo, s21
	;;#ASMSTART
	v_pk_mul_f16 v1, v45, v61;

	;;#ASMEND
	;;#ASMSTART
	v_pk_mul_f16 v9, v44, v57;

	;;#ASMEND
	;; [unrolled: 4-line block ×4, first 2 shown]
	;;#ASMSTART
	v_pk_add_f16 v1, v1, v9;

	;;#ASMEND
	;;#ASMSTART
	v_pk_add_f16 v1, v1, v10;

	;;#ASMEND
	;; [unrolled: 4-line block ×3, first 2 shown]
	v_and_b32_e32 v9, 0xffff, v1
	v_lshrrev_b32_e32 v1, 16, v1
	;;#ASMSTART
	v_cvt_f32_f16 v9, v9;
	;;#ASMEND
	;;#ASMSTART
	v_cvt_f32_f16 v10, v1;
	;;#ASMEND
	global_load_dwordx2 v[7:8], v[7:8], off offset:1536
	v_mov_b32_e32 v55, 0
	v_mov_b32_e32 v56, 0
	global_load_dword v54, v55, s[14:15]
	s_waitcnt vmcnt(1)
	v_cmp_ne_u16_sdwa s0, v7, v2 src0_sel:BYTE_0 src1_sel:DWORD
	s_and_saveexec_b32 s21, s0
	s_cbranch_execz .LBB256_892
; %bb.885:                              ;   in Loop: Header=BB256_487 Depth=1
	v_cmp_ne_u16_sdwa s0, v7, v15 src0_sel:BYTE_0 src1_sel:DWORD
	v_mov_b32_e32 v56, 0x8000
	s_and_saveexec_b32 s22, s0
	s_cbranch_execz .LBB256_891
; %bb.886:                              ;   in Loop: Header=BB256_487 Depth=1
	v_and_b32_e32 v57, 0x7f, v7
	v_mov_b32_e32 v56, 0x7c01
	s_mov_b32 s26, exec_lo
	v_cmpx_ne_u32_e32 0x7f, v57
	s_cbranch_execz .LBB256_890
; %bb.887:                              ;   in Loop: Header=BB256_487 Depth=1
	v_and_b32_e32 v1, 7, v7
	v_lshrrev_b32_e32 v56, 3, v57
	s_mov_b32 s27, exec_lo
	v_cmpx_gt_u32_e32 8, v57
; %bb.888:                              ;   in Loop: Header=BB256_487 Depth=1
	v_ffbh_u32_e32 v1, v1
	v_min_u32_e32 v1, 32, v1
	v_subrev_nc_u32_e32 v56, 28, v1
	v_lshlrev_b64 v[57:58], v56, v[7:8]
	v_sub_nc_u32_e32 v56, 29, v1
	v_and_b32_e32 v1, 7, v57
; %bb.889:                              ;   in Loop: Header=BB256_487 Depth=1
	s_or_b32 exec_lo, exec_lo, s27
	v_lshlrev_b32_e32 v57, 8, v7
	v_lshl_add_u32 v56, v56, 10, 0x2000
	v_lshlrev_b32_e32 v1, 7, v1
	v_and_b32_e32 v57, 0x8000, v57
	v_and_b32_e32 v56, 0xfc00, v56
	v_or3_b32 v56, v57, v56, v1
.LBB256_890:                            ;   in Loop: Header=BB256_487 Depth=1
	s_or_b32 exec_lo, exec_lo, s26
.LBB256_891:                            ;   in Loop: Header=BB256_487 Depth=1
	s_or_b32 exec_lo, exec_lo, s22
.LBB256_892:                            ;   in Loop: Header=BB256_487 Depth=1
	s_or_b32 exec_lo, exec_lo, s21
	v_lshrrev_b16 v1, 8, v7
	s_mov_b32 s21, exec_lo
	v_cmpx_ne_u16_e32 0, v1
	s_cbranch_execz .LBB256_900
; %bb.893:                              ;   in Loop: Header=BB256_487 Depth=1
	v_bfrev_b32_e32 v55, 1
	s_mov_b32 s22, exec_lo
	v_cmpx_ne_u16_e32 0x80, v1
	s_cbranch_execz .LBB256_899
; %bb.894:                              ;   in Loop: Header=BB256_487 Depth=1
	v_and_b32_sdwa v58, v1, v26 dst_sel:DWORD dst_unused:UNUSED_PAD src0_sel:WORD_0 src1_sel:DWORD
	v_mov_b32_e32 v55, 0x7c010000
	s_mov_b32 s26, exec_lo
	v_cmpx_ne_u32_e32 0x7f, v58
	s_cbranch_execz .LBB256_898
; %bb.895:                              ;   in Loop: Header=BB256_487 Depth=1
	v_and_b32_sdwa v55, v1, v27 dst_sel:DWORD dst_unused:UNUSED_PAD src0_sel:WORD_0 src1_sel:DWORD
	v_lshrrev_b32_e32 v57, 3, v58
	s_mov_b32 s27, exec_lo
	v_cmpx_gt_u32_e32 8, v58
; %bb.896:                              ;   in Loop: Header=BB256_487 Depth=1
	v_ffbh_u32_e32 v55, v55
	v_min_u32_e32 v55, 32, v55
	v_subrev_nc_u32_e32 v57, 28, v55
	v_lshlrev_b64 v[58:59], v57, v[1:2]
	v_sub_nc_u32_e32 v57, 29, v55
	v_and_b32_e32 v55, 7, v58
; %bb.897:                              ;   in Loop: Header=BB256_487 Depth=1
	s_or_b32 exec_lo, exec_lo, s27
	v_lshlrev_b32_sdwa v1, v28, v1 dst_sel:DWORD dst_unused:UNUSED_PAD src0_sel:DWORD src1_sel:WORD_0
	v_lshl_add_u32 v57, v57, 10, 0x2000
	v_lshlrev_b32_e32 v55, 23, v55
	v_and_or_b32 v1, 0x8000, v1, v57
	v_lshl_or_b32 v55, v1, 16, v55
.LBB256_898:                            ;   in Loop: Header=BB256_487 Depth=1
	s_or_b32 exec_lo, exec_lo, s26
.LBB256_899:                            ;   in Loop: Header=BB256_487 Depth=1
	s_or_b32 exec_lo, exec_lo, s22
.LBB256_900:                            ;   in Loop: Header=BB256_487 Depth=1
	s_or_b32 exec_lo, exec_lo, s21
	v_lshrrev_b32_e32 v1, 16, v7
	v_mov_b32_e32 v57, 0
	v_mov_b32_e32 v58, 0
	v_cmp_ne_u16_sdwa s0, v1, v2 src0_sel:BYTE_0 src1_sel:DWORD
	s_and_saveexec_b32 s21, s0
	s_cbranch_execz .LBB256_908
; %bb.901:                              ;   in Loop: Header=BB256_487 Depth=1
	v_cmp_ne_u16_sdwa s0, v1, v15 src0_sel:BYTE_0 src1_sel:DWORD
	v_mov_b32_e32 v58, 0x8000
	s_and_saveexec_b32 s22, s0
	s_cbranch_execz .LBB256_907
; %bb.902:                              ;   in Loop: Header=BB256_487 Depth=1
	v_bfe_u32 v60, v7, 16, 7
	v_mov_b32_e32 v58, 0x7c01
	s_mov_b32 s26, exec_lo
	v_cmpx_ne_u32_e32 0x7f, v60
	s_cbranch_execz .LBB256_906
; %bb.903:                              ;   in Loop: Header=BB256_487 Depth=1
	v_and_b32_e32 v58, 7, v1
	v_lshrrev_b32_e32 v59, 3, v60
	s_mov_b32 s27, exec_lo
	v_cmpx_gt_u32_e32 8, v60
; %bb.904:                              ;   in Loop: Header=BB256_487 Depth=1
	v_ffbh_u32_e32 v58, v58
	v_min_u32_e32 v60, 32, v58
	v_subrev_nc_u32_e32 v58, 28, v60
	v_lshlrev_b64 v[58:59], v58, v[1:2]
	v_sub_nc_u32_e32 v59, 29, v60
	v_and_b32_e32 v58, 7, v58
; %bb.905:                              ;   in Loop: Header=BB256_487 Depth=1
	s_or_b32 exec_lo, exec_lo, s27
	v_lshlrev_b32_e32 v1, 8, v1
	v_lshl_add_u32 v59, v59, 10, 0x2000
	v_lshlrev_b32_e32 v58, 7, v58
	v_and_b32_e32 v1, 0x8000, v1
	v_and_b32_e32 v59, 0xfc00, v59
	v_or3_b32 v58, v1, v59, v58
.LBB256_906:                            ;   in Loop: Header=BB256_487 Depth=1
	s_or_b32 exec_lo, exec_lo, s26
.LBB256_907:                            ;   in Loop: Header=BB256_487 Depth=1
	s_or_b32 exec_lo, exec_lo, s22
.LBB256_908:                            ;   in Loop: Header=BB256_487 Depth=1
	s_or_b32 exec_lo, exec_lo, s21
	s_mov_b32 s21, exec_lo
	v_cmpx_lt_u32_e32 0xffffff, v7
	s_cbranch_execz .LBB256_916
; %bb.909:                              ;   in Loop: Header=BB256_487 Depth=1
	v_lshrrev_b32_e32 v1, 24, v7
	v_bfrev_b32_e32 v57, 1
	s_mov_b32 s22, exec_lo
	v_cmpx_ne_u32_e32 0x80, v1
	s_cbranch_execz .LBB256_915
; %bb.910:                              ;   in Loop: Header=BB256_487 Depth=1
	v_and_b32_e32 v60, 0x7f, v1
	v_mov_b32_e32 v57, 0x7c010000
	s_mov_b32 s26, exec_lo
	v_cmpx_ne_u32_e32 0x7f, v60
	s_cbranch_execz .LBB256_914
; %bb.911:                              ;   in Loop: Header=BB256_487 Depth=1
	v_and_b32_e32 v57, 7, v1
	v_lshrrev_b32_e32 v59, 3, v60
	s_mov_b32 s27, exec_lo
	v_cmpx_gt_u32_e32 8, v60
; %bb.912:                              ;   in Loop: Header=BB256_487 Depth=1
	v_ffbh_u32_e32 v57, v57
	v_min_u32_e32 v57, 32, v57
	v_subrev_nc_u32_e32 v59, 28, v57
	v_lshlrev_b64 v[60:61], v59, v[1:2]
	v_sub_nc_u32_e32 v59, 29, v57
	v_and_b32_e32 v57, 7, v60
; %bb.913:                              ;   in Loop: Header=BB256_487 Depth=1
	s_or_b32 exec_lo, exec_lo, s27
	v_lshlrev_b32_e32 v1, 8, v1
	v_lshl_add_u32 v59, v59, 10, 0x2000
	v_lshlrev_b32_e32 v57, 23, v57
	v_and_or_b32 v1, 0x8000, v1, v59
	v_lshl_or_b32 v57, v1, 16, v57
.LBB256_914:                            ;   in Loop: Header=BB256_487 Depth=1
	s_or_b32 exec_lo, exec_lo, s26
.LBB256_915:                            ;   in Loop: Header=BB256_487 Depth=1
	s_or_b32 exec_lo, exec_lo, s22
.LBB256_916:                            ;   in Loop: Header=BB256_487 Depth=1
	s_or_b32 exec_lo, exec_lo, s21
	v_mov_b32_e32 v1, v8
	v_cmp_ne_u16_sdwa s0, v8, v2 src0_sel:BYTE_0 src1_sel:DWORD
	v_mov_b32_e32 v59, 0
	v_mov_b32_e32 v60, 0
	s_and_saveexec_b32 s21, s0
	s_cbranch_execz .LBB256_924
; %bb.917:                              ;   in Loop: Header=BB256_487 Depth=1
	v_cmp_ne_u16_sdwa s0, v8, v15 src0_sel:BYTE_0 src1_sel:DWORD
	v_mov_b32_e32 v60, 0x8000
	s_and_saveexec_b32 s22, s0
	s_cbranch_execz .LBB256_923
; %bb.918:                              ;   in Loop: Header=BB256_487 Depth=1
	v_and_b32_e32 v62, 0x7f, v8
	v_mov_b32_e32 v60, 0x7c01
	s_mov_b32 s26, exec_lo
	v_cmpx_ne_u32_e32 0x7f, v62
	s_cbranch_execz .LBB256_922
; %bb.919:                              ;   in Loop: Header=BB256_487 Depth=1
	v_and_b32_e32 v60, 7, v8
	v_lshrrev_b32_e32 v61, 3, v62
	s_mov_b32 s27, exec_lo
	v_cmpx_gt_u32_e32 8, v62
; %bb.920:                              ;   in Loop: Header=BB256_487 Depth=1
	v_ffbh_u32_e32 v60, v60
	v_min_u32_e32 v62, 32, v60
	v_subrev_nc_u32_e32 v60, 28, v62
	v_lshlrev_b64 v[60:61], v60, v[1:2]
	v_sub_nc_u32_e32 v61, 29, v62
	v_and_b32_e32 v60, 7, v60
; %bb.921:                              ;   in Loop: Header=BB256_487 Depth=1
	s_or_b32 exec_lo, exec_lo, s27
	v_lshlrev_b32_e32 v62, 8, v8
	v_lshl_add_u32 v61, v61, 10, 0x2000
	v_lshlrev_b32_e32 v60, 7, v60
	v_and_b32_e32 v62, 0x8000, v62
	v_and_b32_e32 v61, 0xfc00, v61
	v_or3_b32 v60, v62, v61, v60
.LBB256_922:                            ;   in Loop: Header=BB256_487 Depth=1
	s_or_b32 exec_lo, exec_lo, s26
.LBB256_923:                            ;   in Loop: Header=BB256_487 Depth=1
	s_or_b32 exec_lo, exec_lo, s22
.LBB256_924:                            ;   in Loop: Header=BB256_487 Depth=1
	s_or_b32 exec_lo, exec_lo, s21
	v_lshrrev_b16 v1, 8, v1
	v_mov_b32_e32 v61, 0
	s_mov_b32 s21, exec_lo
	v_cmpx_ne_u16_e32 0, v1
	s_cbranch_execz .LBB256_932
; %bb.925:                              ;   in Loop: Header=BB256_487 Depth=1
	v_bfrev_b32_e32 v61, 1
	s_mov_b32 s22, exec_lo
	v_cmpx_ne_u16_e32 0x80, v1
	s_cbranch_execz .LBB256_931
; %bb.926:                              ;   in Loop: Header=BB256_487 Depth=1
	v_and_b32_sdwa v63, v1, v26 dst_sel:DWORD dst_unused:UNUSED_PAD src0_sel:WORD_0 src1_sel:DWORD
	v_mov_b32_e32 v61, 0x7c010000
	s_mov_b32 s26, exec_lo
	v_cmpx_ne_u32_e32 0x7f, v63
	s_cbranch_execz .LBB256_930
; %bb.927:                              ;   in Loop: Header=BB256_487 Depth=1
	v_and_b32_sdwa v61, v1, v27 dst_sel:DWORD dst_unused:UNUSED_PAD src0_sel:WORD_0 src1_sel:DWORD
	v_lshrrev_b32_e32 v62, 3, v63
	s_mov_b32 s27, exec_lo
	v_cmpx_gt_u32_e32 8, v63
; %bb.928:                              ;   in Loop: Header=BB256_487 Depth=1
	v_ffbh_u32_e32 v61, v61
	v_min_u32_e32 v63, 32, v61
	v_subrev_nc_u32_e32 v61, 28, v63
	v_lshlrev_b64 v[61:62], v61, v[1:2]
	v_sub_nc_u32_e32 v62, 29, v63
	v_and_b32_e32 v61, 7, v61
; %bb.929:                              ;   in Loop: Header=BB256_487 Depth=1
	s_or_b32 exec_lo, exec_lo, s27
	v_lshlrev_b32_sdwa v1, v28, v1 dst_sel:DWORD dst_unused:UNUSED_PAD src0_sel:DWORD src1_sel:WORD_0
	v_lshl_add_u32 v62, v62, 10, 0x2000
	v_lshlrev_b32_e32 v61, 23, v61
	v_and_or_b32 v1, 0x8000, v1, v62
	v_lshl_or_b32 v61, v1, 16, v61
.LBB256_930:                            ;   in Loop: Header=BB256_487 Depth=1
	s_or_b32 exec_lo, exec_lo, s26
.LBB256_931:                            ;   in Loop: Header=BB256_487 Depth=1
	s_or_b32 exec_lo, exec_lo, s22
.LBB256_932:                            ;   in Loop: Header=BB256_487 Depth=1
	s_or_b32 exec_lo, exec_lo, s21
	v_lshrrev_b32_e32 v1, 16, v8
	v_cmp_ne_u16_sdwa s0, v1, v2 src0_sel:BYTE_0 src1_sel:DWORD
	s_and_saveexec_b32 s21, s0
	s_cbranch_execz .LBB256_940
; %bb.933:                              ;   in Loop: Header=BB256_487 Depth=1
	v_cmp_ne_u16_sdwa s0, v1, v15 src0_sel:BYTE_0 src1_sel:DWORD
	v_mov_b32_e32 v59, 0x8000
	s_and_saveexec_b32 s22, s0
	s_cbranch_execz .LBB256_939
; %bb.934:                              ;   in Loop: Header=BB256_487 Depth=1
	v_bfe_u32 v63, v8, 16, 7
	v_mov_b32_e32 v59, 0x7c01
	s_mov_b32 s26, exec_lo
	v_cmpx_ne_u32_e32 0x7f, v63
	s_cbranch_execz .LBB256_938
; %bb.935:                              ;   in Loop: Header=BB256_487 Depth=1
	v_and_b32_e32 v59, 7, v1
	v_lshrrev_b32_e32 v62, 3, v63
	s_mov_b32 s27, exec_lo
	v_cmpx_gt_u32_e32 8, v63
; %bb.936:                              ;   in Loop: Header=BB256_487 Depth=1
	v_ffbh_u32_e32 v59, v59
	v_min_u32_e32 v59, 32, v59
	v_subrev_nc_u32_e32 v62, 28, v59
	v_lshlrev_b64 v[63:64], v62, v[1:2]
	v_sub_nc_u32_e32 v62, 29, v59
	v_and_b32_e32 v59, 7, v63
; %bb.937:                              ;   in Loop: Header=BB256_487 Depth=1
	s_or_b32 exec_lo, exec_lo, s27
	v_lshlrev_b32_e32 v1, 8, v1
	v_lshl_add_u32 v62, v62, 10, 0x2000
	v_lshlrev_b32_e32 v59, 7, v59
	v_and_b32_e32 v1, 0x8000, v1
	v_and_b32_e32 v62, 0xfc00, v62
	v_or3_b32 v59, v1, v62, v59
.LBB256_938:                            ;   in Loop: Header=BB256_487 Depth=1
	s_or_b32 exec_lo, exec_lo, s26
.LBB256_939:                            ;   in Loop: Header=BB256_487 Depth=1
	s_or_b32 exec_lo, exec_lo, s22
.LBB256_940:                            ;   in Loop: Header=BB256_487 Depth=1
	s_or_b32 exec_lo, exec_lo, s21
	v_cmp_lt_u64_e64 s0, s[2:3], v[7:8]
	v_mov_b32_e32 v7, 0
	s_and_saveexec_b32 s21, s0
	s_cbranch_execz .LBB256_948
; %bb.941:                              ;   in Loop: Header=BB256_487 Depth=1
	v_lshrrev_b32_e32 v1, 24, v8
	v_bfrev_b32_e32 v7, 1
	s_mov_b32 s22, exec_lo
	v_cmpx_ne_u32_e32 0x80, v1
	s_cbranch_execz .LBB256_947
; %bb.942:                              ;   in Loop: Header=BB256_487 Depth=1
	v_and_b32_e32 v62, 0x7f, v1
	v_mov_b32_e32 v7, 0x7c010000
	s_mov_b32 s26, exec_lo
	v_cmpx_ne_u32_e32 0x7f, v62
	s_cbranch_execz .LBB256_946
; %bb.943:                              ;   in Loop: Header=BB256_487 Depth=1
	v_and_b32_e32 v7, 7, v1
	v_lshrrev_b32_e32 v8, 3, v62
	s_mov_b32 s27, exec_lo
	v_cmpx_gt_u32_e32 8, v62
; %bb.944:                              ;   in Loop: Header=BB256_487 Depth=1
	v_ffbh_u32_e32 v7, v7
	v_min_u32_e32 v62, 32, v7
	v_subrev_nc_u32_e32 v7, 28, v62
	v_lshlrev_b64 v[7:8], v7, v[1:2]
	v_sub_nc_u32_e32 v8, 29, v62
	v_and_b32_e32 v7, 7, v7
; %bb.945:                              ;   in Loop: Header=BB256_487 Depth=1
	s_or_b32 exec_lo, exec_lo, s27
	v_lshlrev_b32_e32 v1, 8, v1
	v_lshl_add_u32 v8, v8, 10, 0x2000
	v_lshlrev_b32_e32 v7, 23, v7
	v_and_or_b32 v1, 0x8000, v1, v8
	v_lshl_or_b32 v7, v1, 16, v7
.LBB256_946:                            ;   in Loop: Header=BB256_487 Depth=1
	s_or_b32 exec_lo, exec_lo, s26
.LBB256_947:                            ;   in Loop: Header=BB256_487 Depth=1
	s_or_b32 exec_lo, exec_lo, s22
.LBB256_948:                            ;   in Loop: Header=BB256_487 Depth=1
	s_or_b32 exec_lo, exec_lo, s21
	v_or_b32_e32 v1, v57, v58
	s_waitcnt vmcnt(0)
	v_fma_mixlo_f16 v8, v54, v57, 0 op_sel:[0,1,0] op_sel_hi:[0,1,0]
	v_or_b32_e32 v56, v55, v56
	v_fma_mixlo_f16 v57, v54, v55, 0 op_sel:[0,1,0] op_sel_hi:[0,1,0]
	v_or_b32_e32 v58, v61, v60
	v_fma_mixlo_f16 v1, v54, v1, 0 op_sel_hi:[0,1,0]
	v_or_b32_e32 v59, v7, v59
	v_lshlrev_b32_e32 v55, 16, v8
	v_lshlrev_b32_e32 v60, 16, v57
	v_fma_mixlo_f16 v8, v54, v56, 0 op_sel_hi:[0,1,0]
	v_and_b32_e32 v57, 0xffff, v1
	v_fma_mixlo_f16 v1, v54, v61, 0 op_sel:[0,1,0] op_sel_hi:[0,1,0]
	v_fma_mixlo_f16 v56, v54, v58, 0 op_sel_hi:[0,1,0]
	v_fma_mixlo_f16 v7, v54, v7, 0 op_sel:[0,1,0] op_sel_hi:[0,1,0]
	v_fma_mixlo_f16 v54, v54, v59, 0 op_sel_hi:[0,1,0]
	v_and_b32_e32 v62, 0xffff, v8
	v_lshlrev_b32_e32 v58, 16, v1
	v_and_b32_e32 v61, 0xffff, v56
	v_lshlrev_b32_e32 v56, 16, v7
	v_and_b32_e32 v59, 0xffff, v54
	v_or_b32_e32 v8, v55, v57
	v_or_b32_e32 v54, v60, v62
	;; [unrolled: 1-line block ×4, first 2 shown]
	s_and_saveexec_b32 s0, vcc_lo
	s_cbranch_execz .LBB256_485
; %bb.949:                              ;   in Loop: Header=BB256_487 Depth=1
	v_cmp_gt_i32_e32 vcc_lo, s33, v32
	v_cndmask_b32_e32 v1, 0, v62, vcc_lo
	v_cmp_gt_i32_e32 vcc_lo, s33, v39
	v_cndmask_b32_e32 v7, 0, v60, vcc_lo
	v_cmp_gt_i32_e32 vcc_lo, s33, v38
	v_or_b32_e32 v54, v7, v1
	v_cndmask_b32_e32 v8, 0, v57, vcc_lo
	v_cmp_gt_i32_e32 vcc_lo, s33, v37
	v_cndmask_b32_e32 v32, 0, v55, vcc_lo
	v_cmp_gt_i32_e32 vcc_lo, s33, v36
	v_or_b32_e32 v8, v32, v8
	;; [unrolled: 5-line block ×3, first 2 shown]
	v_cndmask_b32_e32 v34, 0, v59, vcc_lo
	v_cmp_gt_i32_e32 vcc_lo, s33, v33
	v_cndmask_b32_e32 v33, 0, v56, vcc_lo
	v_or_b32_e32 v1, v33, v34
	s_branch .LBB256_485
.LBB256_950:
	s_or_b32 exec_lo, exec_lo, s17
.LBB256_951:
	s_or_b32 exec_lo, exec_lo, s1
	ds_bpermute_b32 v1, v16, v24
	ds_bpermute_b32 v2, v16, v23
	;; [unrolled: 1-line block ×7, first 2 shown]
	v_lshrrev_b32_e32 v8, 1, v17
	v_mul_u32_u24_e32 v10, 0x1c0, v13
	v_and_b32_e32 v13, 0x3c1, v0
	s_mov_b32 s0, exec_lo
	s_waitcnt lgkmcnt(0)
	v_lshl_add_u32 v9, v8, 2, 0x100
	s_barrier
	buffer_gl0_inv
	v_add_f32_e32 v7, v24, v1
	v_add_f32_e32 v6, v23, v2
	;; [unrolled: 1-line block ×7, first 2 shown]
	v_cmpx_eq_u32_e32 64, v13
	s_cbranch_execz .LBB256_953
; %bb.952:
	v_add_nc_u32_e32 v13, v9, v10
	v_add_nc_u32_e32 v14, 0xfffffc80, v13
	;; [unrolled: 1-line block ×8, first 2 shown]
	ds_write_b32 v14, v7
	ds_write_b32 v15, v6
	;; [unrolled: 1-line block ×7, first 2 shown]
.LBB256_953:
	s_or_b32 exec_lo, exec_lo, s0
	v_lshlrev_b32_e32 v8, 2, v8
	s_mov_b32 s1, exec_lo
	v_cmp_eq_u32_e32 vcc_lo, 0, v12
	s_waitcnt lgkmcnt(0)
	s_barrier
	v_add3_u32 v8, 0x100, v10, v8
	buffer_gl0_inv
	v_cmpx_gt_u32_e32 64, v0
	s_cbranch_execz .LBB256_963
; %bb.954:
	s_and_saveexec_b32 s0, vcc_lo
	s_cbranch_execnz .LBB256_978
; %bb.955:
	s_or_b32 exec_lo, exec_lo, s0
	s_and_saveexec_b32 s0, vcc_lo
	s_cbranch_execnz .LBB256_979
.LBB256_956:
	s_or_b32 exec_lo, exec_lo, s0
	s_and_saveexec_b32 s0, vcc_lo
	s_cbranch_execnz .LBB256_980
.LBB256_957:
	s_or_b32 exec_lo, exec_lo, s0
	s_and_saveexec_b32 s0, vcc_lo
	s_cbranch_execnz .LBB256_981
.LBB256_958:
	s_or_b32 exec_lo, exec_lo, s0
	s_and_saveexec_b32 s0, vcc_lo
	s_cbranch_execnz .LBB256_982
.LBB256_959:
	s_or_b32 exec_lo, exec_lo, s0
	s_and_saveexec_b32 s0, vcc_lo
	s_cbranch_execnz .LBB256_983
.LBB256_960:
	s_or_b32 exec_lo, exec_lo, s0
	s_and_saveexec_b32 s0, vcc_lo
	s_cbranch_execz .LBB256_962
.LBB256_961:
	ds_read_b32 v10, v8 offset:384
	s_waitcnt lgkmcnt(0)
	v_add_f32_e32 v1, v1, v10
.LBB256_962:
	s_or_b32 exec_lo, exec_lo, s0
.LBB256_963:
	s_or_b32 exec_lo, exec_lo, s1
	v_and_b32_e32 v10, 0x3e1, v0
	s_mov_b32 s1, exec_lo
	s_barrier
	buffer_gl0_inv
	v_cmpx_eq_u32_e32 32, v10
	s_cbranch_execz .LBB256_965
; %bb.964:
	ds_write2_b32 v9, v7, v6 offset1:16
	ds_write2_b32 v9, v5, v4 offset0:32 offset1:48
	ds_write2_b32 v9, v3, v2 offset0:64 offset1:80
	ds_write_b32 v9, v1 offset:384
.LBB256_965:
	s_or_b32 exec_lo, exec_lo, s1
	s_mov_b32 s1, exec_lo
	s_waitcnt lgkmcnt(0)
	s_barrier
	buffer_gl0_inv
	v_cmpx_gt_u32_e32 32, v0
	s_cbranch_execz .LBB256_975
; %bb.966:
	s_and_saveexec_b32 s0, vcc_lo
	s_cbranch_execnz .LBB256_984
; %bb.967:
	s_or_b32 exec_lo, exec_lo, s0
	s_and_saveexec_b32 s0, vcc_lo
	s_cbranch_execnz .LBB256_985
.LBB256_968:
	s_or_b32 exec_lo, exec_lo, s0
	s_and_saveexec_b32 s0, vcc_lo
	s_cbranch_execnz .LBB256_986
.LBB256_969:
	s_or_b32 exec_lo, exec_lo, s0
	s_and_saveexec_b32 s0, vcc_lo
	s_cbranch_execnz .LBB256_987
.LBB256_970:
	s_or_b32 exec_lo, exec_lo, s0
	s_and_saveexec_b32 s0, vcc_lo
	s_cbranch_execnz .LBB256_988
.LBB256_971:
	s_or_b32 exec_lo, exec_lo, s0
	s_and_saveexec_b32 s0, vcc_lo
	s_cbranch_execnz .LBB256_989
.LBB256_972:
	s_or_b32 exec_lo, exec_lo, s0
	s_and_saveexec_b32 s0, vcc_lo
	s_cbranch_execz .LBB256_974
.LBB256_973:
	ds_read_b32 v0, v8 offset:384
	s_waitcnt lgkmcnt(0)
	v_add_f32_e32 v1, v1, v0
.LBB256_974:
	s_or_b32 exec_lo, exec_lo, s0
.LBB256_975:
	s_or_b32 exec_lo, exec_lo, s1
	s_barrier
	buffer_gl0_inv
	s_mov_b32 s0, exec_lo
	v_cmpx_eq_u32_e32 0, v10
	s_cbranch_execz .LBB256_977
; %bb.976:
	s_mul_i32 s0, s10, s11
	s_mul_i32 s2, s11, s24
	;; [unrolled: 1-line block ×3, first 2 shown]
	v_lshlrev_b32_e32 v0, 1, v11
	s_mulk_i32 s0, 0x70
	;;#ASMSTART
	v_cvt_f16_f32 v7, v7;

	;;#ASMEND
	s_ashr_i32 s1, s0, 31
	s_lshl_b64 s[0:1], s[0:1], 1
	s_add_u32 s4, s6, s0
	s_addc_u32 s5, s7, s1
	s_ashr_i32 s3, s2, 31
	s_lshl_b64 s[0:1], s[2:3], 1
	s_mul_i32 s2, s8, 0x70
	s_add_u32 s4, s4, s0
	s_addc_u32 s5, s5, s1
	s_ashr_i32 s3, s2, 31
	s_lshl_b64 s[0:1], s[2:3], 1
	s_add_u32 s0, s4, s0
	s_addc_u32 s1, s5, s1
	global_store_short v0, v7, s[0:1]
	;;#ASMSTART
	v_cvt_f16_f32 v6, v6;

	;;#ASMEND
	global_store_short v0, v6, s[0:1] offset:32
	;;#ASMSTART
	v_cvt_f16_f32 v5, v5;

	;;#ASMEND
	global_store_short v0, v5, s[0:1] offset:64
	;; [unrolled: 5-line block ×6, first 2 shown]
.LBB256_977:
	s_endpgm
.LBB256_978:
	ds_read_b32 v10, v8
	s_waitcnt lgkmcnt(0)
	v_add_f32_e32 v7, v7, v10
	s_or_b32 exec_lo, exec_lo, s0
	s_and_saveexec_b32 s0, vcc_lo
	s_cbranch_execz .LBB256_956
.LBB256_979:
	ds_read_b32 v10, v8 offset:64
	s_waitcnt lgkmcnt(0)
	v_add_f32_e32 v6, v6, v10
	s_or_b32 exec_lo, exec_lo, s0
	s_and_saveexec_b32 s0, vcc_lo
	s_cbranch_execz .LBB256_957
.LBB256_980:
	ds_read_b32 v10, v8 offset:128
	s_waitcnt lgkmcnt(0)
	v_add_f32_e32 v5, v5, v10
	s_or_b32 exec_lo, exec_lo, s0
	s_and_saveexec_b32 s0, vcc_lo
	s_cbranch_execz .LBB256_958
.LBB256_981:
	ds_read_b32 v10, v8 offset:192
	s_waitcnt lgkmcnt(0)
	v_add_f32_e32 v4, v4, v10
	s_or_b32 exec_lo, exec_lo, s0
	s_and_saveexec_b32 s0, vcc_lo
	s_cbranch_execz .LBB256_959
.LBB256_982:
	ds_read_b32 v10, v8 offset:256
	s_waitcnt lgkmcnt(0)
	v_add_f32_e32 v3, v3, v10
	s_or_b32 exec_lo, exec_lo, s0
	s_and_saveexec_b32 s0, vcc_lo
	s_cbranch_execz .LBB256_960
.LBB256_983:
	ds_read_b32 v10, v8 offset:320
	s_waitcnt lgkmcnt(0)
	v_add_f32_e32 v2, v2, v10
	s_or_b32 exec_lo, exec_lo, s0
	s_and_saveexec_b32 s0, vcc_lo
	s_cbranch_execnz .LBB256_961
	s_branch .LBB256_962
.LBB256_984:
	ds_read_b32 v0, v8
	s_waitcnt lgkmcnt(0)
	v_add_f32_e32 v7, v7, v0
	s_or_b32 exec_lo, exec_lo, s0
	s_and_saveexec_b32 s0, vcc_lo
	s_cbranch_execz .LBB256_968
.LBB256_985:
	ds_read_b32 v0, v8 offset:64
	s_waitcnt lgkmcnt(0)
	v_add_f32_e32 v6, v6, v0
	s_or_b32 exec_lo, exec_lo, s0
	s_and_saveexec_b32 s0, vcc_lo
	s_cbranch_execz .LBB256_969
.LBB256_986:
	ds_read_b32 v0, v8 offset:128
	s_waitcnt lgkmcnt(0)
	v_add_f32_e32 v5, v5, v0
	s_or_b32 exec_lo, exec_lo, s0
	s_and_saveexec_b32 s0, vcc_lo
	s_cbranch_execz .LBB256_970
.LBB256_987:
	ds_read_b32 v0, v8 offset:192
	s_waitcnt lgkmcnt(0)
	v_add_f32_e32 v4, v4, v0
	s_or_b32 exec_lo, exec_lo, s0
	s_and_saveexec_b32 s0, vcc_lo
	s_cbranch_execz .LBB256_971
.LBB256_988:
	ds_read_b32 v0, v8 offset:256
	s_waitcnt lgkmcnt(0)
	v_add_f32_e32 v3, v3, v0
	s_or_b32 exec_lo, exec_lo, s0
	s_and_saveexec_b32 s0, vcc_lo
	s_cbranch_execz .LBB256_972
.LBB256_989:
	ds_read_b32 v0, v8 offset:320
	s_waitcnt lgkmcnt(0)
	v_add_f32_e32 v2, v2, v0
	s_or_b32 exec_lo, exec_lo, s0
	s_and_saveexec_b32 s0, vcc_lo
	s_cbranch_execnz .LBB256_973
	s_branch .LBB256_974
	.section	.rodata,"a",@progbits
	.p2align	6, 0x0
	.amdhsa_kernel _ZN4vllm25paged_attention_v1_kernelIthLi112ELi16ELi128ELNS_18Fp8KVCacheDataTypeE1ELb1EEEvPT_PKS2_PKT0_S8_ifPKiSA_iPKfiiiSC_SC_iiiii
		.amdhsa_group_segment_fixed_size 256
		.amdhsa_private_segment_fixed_size 0
		.amdhsa_kernarg_size 384
		.amdhsa_user_sgpr_count 6
		.amdhsa_user_sgpr_private_segment_buffer 1
		.amdhsa_user_sgpr_dispatch_ptr 0
		.amdhsa_user_sgpr_queue_ptr 0
		.amdhsa_user_sgpr_kernarg_segment_ptr 1
		.amdhsa_user_sgpr_dispatch_id 0
		.amdhsa_user_sgpr_flat_scratch_init 0
		.amdhsa_user_sgpr_private_segment_size 0
		.amdhsa_wavefront_size32 1
		.amdhsa_uses_dynamic_stack 0
		.amdhsa_system_sgpr_private_segment_wavefront_offset 0
		.amdhsa_system_sgpr_workgroup_id_x 1
		.amdhsa_system_sgpr_workgroup_id_y 1
		.amdhsa_system_sgpr_workgroup_id_z 1
		.amdhsa_system_sgpr_workgroup_info 0
		.amdhsa_system_vgpr_workitem_id 0
		.amdhsa_next_free_vgpr 127
		.amdhsa_next_free_sgpr 44
		.amdhsa_reserve_vcc 1
		.amdhsa_reserve_flat_scratch 0
		.amdhsa_float_round_mode_32 0
		.amdhsa_float_round_mode_16_64 0
		.amdhsa_float_denorm_mode_32 3
		.amdhsa_float_denorm_mode_16_64 3
		.amdhsa_dx10_clamp 1
		.amdhsa_ieee_mode 1
		.amdhsa_fp16_overflow 0
		.amdhsa_workgroup_processor_mode 1
		.amdhsa_memory_ordered 1
		.amdhsa_forward_progress 1
		.amdhsa_shared_vgpr_count 0
		.amdhsa_exception_fp_ieee_invalid_op 0
		.amdhsa_exception_fp_denorm_src 0
		.amdhsa_exception_fp_ieee_div_zero 0
		.amdhsa_exception_fp_ieee_overflow 0
		.amdhsa_exception_fp_ieee_underflow 0
		.amdhsa_exception_fp_ieee_inexact 0
		.amdhsa_exception_int_div_zero 0
	.end_amdhsa_kernel
	.section	.text._ZN4vllm25paged_attention_v1_kernelIthLi112ELi16ELi128ELNS_18Fp8KVCacheDataTypeE1ELb1EEEvPT_PKS2_PKT0_S8_ifPKiSA_iPKfiiiSC_SC_iiiii,"axG",@progbits,_ZN4vllm25paged_attention_v1_kernelIthLi112ELi16ELi128ELNS_18Fp8KVCacheDataTypeE1ELb1EEEvPT_PKS2_PKT0_S8_ifPKiSA_iPKfiiiSC_SC_iiiii,comdat
.Lfunc_end256:
	.size	_ZN4vllm25paged_attention_v1_kernelIthLi112ELi16ELi128ELNS_18Fp8KVCacheDataTypeE1ELb1EEEvPT_PKS2_PKT0_S8_ifPKiSA_iPKfiiiSC_SC_iiiii, .Lfunc_end256-_ZN4vllm25paged_attention_v1_kernelIthLi112ELi16ELi128ELNS_18Fp8KVCacheDataTypeE1ELb1EEEvPT_PKS2_PKT0_S8_ifPKiSA_iPKfiiiSC_SC_iiiii
                                        ; -- End function
	.set _ZN4vllm25paged_attention_v1_kernelIthLi112ELi16ELi128ELNS_18Fp8KVCacheDataTypeE1ELb1EEEvPT_PKS2_PKT0_S8_ifPKiSA_iPKfiiiSC_SC_iiiii.num_vgpr, 127
	.set _ZN4vllm25paged_attention_v1_kernelIthLi112ELi16ELi128ELNS_18Fp8KVCacheDataTypeE1ELb1EEEvPT_PKS2_PKT0_S8_ifPKiSA_iPKfiiiSC_SC_iiiii.num_agpr, 0
	.set _ZN4vllm25paged_attention_v1_kernelIthLi112ELi16ELi128ELNS_18Fp8KVCacheDataTypeE1ELb1EEEvPT_PKS2_PKT0_S8_ifPKiSA_iPKfiiiSC_SC_iiiii.numbered_sgpr, 44
	.set _ZN4vllm25paged_attention_v1_kernelIthLi112ELi16ELi128ELNS_18Fp8KVCacheDataTypeE1ELb1EEEvPT_PKS2_PKT0_S8_ifPKiSA_iPKfiiiSC_SC_iiiii.num_named_barrier, 0
	.set _ZN4vllm25paged_attention_v1_kernelIthLi112ELi16ELi128ELNS_18Fp8KVCacheDataTypeE1ELb1EEEvPT_PKS2_PKT0_S8_ifPKiSA_iPKfiiiSC_SC_iiiii.private_seg_size, 0
	.set _ZN4vllm25paged_attention_v1_kernelIthLi112ELi16ELi128ELNS_18Fp8KVCacheDataTypeE1ELb1EEEvPT_PKS2_PKT0_S8_ifPKiSA_iPKfiiiSC_SC_iiiii.uses_vcc, 1
	.set _ZN4vllm25paged_attention_v1_kernelIthLi112ELi16ELi128ELNS_18Fp8KVCacheDataTypeE1ELb1EEEvPT_PKS2_PKT0_S8_ifPKiSA_iPKfiiiSC_SC_iiiii.uses_flat_scratch, 0
	.set _ZN4vllm25paged_attention_v1_kernelIthLi112ELi16ELi128ELNS_18Fp8KVCacheDataTypeE1ELb1EEEvPT_PKS2_PKT0_S8_ifPKiSA_iPKfiiiSC_SC_iiiii.has_dyn_sized_stack, 0
	.set _ZN4vllm25paged_attention_v1_kernelIthLi112ELi16ELi128ELNS_18Fp8KVCacheDataTypeE1ELb1EEEvPT_PKS2_PKT0_S8_ifPKiSA_iPKfiiiSC_SC_iiiii.has_recursion, 0
	.set _ZN4vllm25paged_attention_v1_kernelIthLi112ELi16ELi128ELNS_18Fp8KVCacheDataTypeE1ELb1EEEvPT_PKS2_PKT0_S8_ifPKiSA_iPKfiiiSC_SC_iiiii.has_indirect_call, 0
	.section	.AMDGPU.csdata,"",@progbits
; Kernel info:
; codeLenInByte = 32440
; TotalNumSgprs: 46
; NumVgprs: 127
; ScratchSize: 0
; MemoryBound: 0
; FloatMode: 240
; IeeeMode: 1
; LDSByteSize: 256 bytes/workgroup (compile time only)
; SGPRBlocks: 0
; VGPRBlocks: 15
; NumSGPRsForWavesPerEU: 46
; NumVGPRsForWavesPerEU: 127
; Occupancy: 8
; WaveLimiterHint : 1
; COMPUTE_PGM_RSRC2:SCRATCH_EN: 0
; COMPUTE_PGM_RSRC2:USER_SGPR: 6
; COMPUTE_PGM_RSRC2:TRAP_HANDLER: 0
; COMPUTE_PGM_RSRC2:TGID_X_EN: 1
; COMPUTE_PGM_RSRC2:TGID_Y_EN: 1
; COMPUTE_PGM_RSRC2:TGID_Z_EN: 1
; COMPUTE_PGM_RSRC2:TIDIG_COMP_CNT: 0
	.section	.text._ZN4vllm25paged_attention_v1_kernelIthLi120ELi16ELi128ELNS_18Fp8KVCacheDataTypeE1ELb1EEEvPT_PKS2_PKT0_S8_ifPKiSA_iPKfiiiSC_SC_iiiii,"axG",@progbits,_ZN4vllm25paged_attention_v1_kernelIthLi120ELi16ELi128ELNS_18Fp8KVCacheDataTypeE1ELb1EEEvPT_PKS2_PKT0_S8_ifPKiSA_iPKfiiiSC_SC_iiiii,comdat
	.protected	_ZN4vllm25paged_attention_v1_kernelIthLi120ELi16ELi128ELNS_18Fp8KVCacheDataTypeE1ELb1EEEvPT_PKS2_PKT0_S8_ifPKiSA_iPKfiiiSC_SC_iiiii ; -- Begin function _ZN4vllm25paged_attention_v1_kernelIthLi120ELi16ELi128ELNS_18Fp8KVCacheDataTypeE1ELb1EEEvPT_PKS2_PKT0_S8_ifPKiSA_iPKfiiiSC_SC_iiiii
	.globl	_ZN4vllm25paged_attention_v1_kernelIthLi120ELi16ELi128ELNS_18Fp8KVCacheDataTypeE1ELb1EEEvPT_PKS2_PKT0_S8_ifPKiSA_iPKfiiiSC_SC_iiiii
	.p2align	8
	.type	_ZN4vllm25paged_attention_v1_kernelIthLi120ELi16ELi128ELNS_18Fp8KVCacheDataTypeE1ELb1EEEvPT_PKS2_PKT0_S8_ifPKiSA_iPKfiiiSC_SC_iiiii,@function
_ZN4vllm25paged_attention_v1_kernelIthLi120ELi16ELi128ELNS_18Fp8KVCacheDataTypeE1ELb1EEEvPT_PKS2_PKT0_S8_ifPKiSA_iPKfiiiSC_SC_iiiii: ; @_ZN4vllm25paged_attention_v1_kernelIthLi120ELi16ELi128ELNS_18Fp8KVCacheDataTypeE1ELb1EEEvPT_PKS2_PKT0_S8_ifPKiSA_iPKfiiiSC_SC_iiiii
; %bb.0:
	s_clause 0x2
	s_load_dword s9, s[4:5], 0x80
	s_load_dwordx2 s[0:1], s[4:5], 0x30
	s_load_dwordx2 s[34:35], s[4:5], 0x20
	s_mov_b32 s10, s7
	s_ashr_i32 s11, s7, 31
	s_mov_b32 s36, 0
	s_lshl_b64 s[2:3], s[10:11], 2
	s_waitcnt lgkmcnt(0)
	s_add_u32 s0, s0, s2
	s_addc_u32 s1, s1, s3
	s_abs_i32 s2, s34
	s_abs_i32 s11, s9
	v_cvt_f32_u32_e32 v1, s2
	s_sub_i32 s7, 0, s2
	v_rcp_iflag_f32_e32 v1, v1
	v_mul_f32_e32 v1, 0x4f7ffffe, v1
	v_cvt_u32_f32_e32 v1, v1
	v_readfirstlane_b32 s3, v1
	s_mul_i32 s7, s7, s3
	s_mul_hi_u32 s7, s3, s7
	s_add_i32 s3, s3, s7
	s_xor_b32 s7, s9, s34
	s_mul_hi_u32 s3, s11, s3
	s_ashr_i32 s7, s7, 31
	s_mul_i32 s12, s3, s2
	s_sub_i32 s11, s11, s12
	s_add_i32 s12, s3, 1
	s_sub_i32 s13, s11, s2
	s_cmp_ge_u32 s11, s2
	s_cselect_b32 s3, s12, s3
	s_cselect_b32 s11, s13, s11
	s_add_i32 s12, s3, 1
	s_cmp_ge_u32 s11, s2
	s_cselect_b32 s2, s12, s3
	s_xor_b32 s2, s2, s7
	s_sub_i32 s14, s2, s7
	s_load_dwordx2 s[2:3], s[4:5], 0x40
	s_abs_i32 s11, s14
	v_cvt_f32_u32_e32 v1, s11
	s_sub_i32 s12, 0, s11
	v_rcp_iflag_f32_e32 v1, v1
	v_mul_f32_e32 v1, 0x4f7ffffe, v1
	v_cvt_u32_f32_e32 v1, v1
	v_readfirstlane_b32 s7, v1
	s_mul_i32 s12, s12, s7
	s_mul_hi_u32 s13, s7, s12
	s_abs_i32 s12, s6
	s_add_i32 s7, s7, s13
	s_waitcnt lgkmcnt(0)
	s_cmp_eq_u64 s[2:3], 0
	s_mul_hi_u32 s13, s12, s7
	s_cbranch_scc1 .LBB257_2
; %bb.1:
	s_ashr_i32 s7, s6, 31
	s_lshl_b64 s[16:17], s[6:7], 2
	s_add_u32 s2, s2, s16
	s_addc_u32 s3, s3, s17
	s_load_dword s36, s[2:3], 0x0
.LBB257_2:
	s_load_dword s33, s[0:1], 0x0
	s_load_dwordx4 s[16:19], s[4:5], 0x48
	v_lshrrev_b32_e32 v11, 1, v0
	v_and_b32_e32 v27, 1, v0
	v_lshlrev_b32_e32 v10, 3, v0
	s_ashr_i32 s0, s6, 31
	s_ashr_i32 s1, s14, 31
	s_mul_i32 s24, s6, 0x78
	s_mov_b32 s2, exec_lo
	v_cmpx_gt_u32_e32 30, v0
	s_cbranch_execz .LBB257_4
; %bb.3:
	s_load_dwordx2 s[14:15], s[4:5], 0x8
	s_waitcnt lgkmcnt(0)
	s_mul_i32 s20, s16, s10
	v_lshlrev_b32_e32 v3, 3, v11
	s_ashr_i32 s21, s20, 31
	s_lshl_b64 s[20:21], s[20:21], 1
	v_mad_u32_u24 v3, 0x78, v27, v3
	s_add_u32 s3, s14, s20
	s_addc_u32 s7, s15, s21
	s_ashr_i32 s25, s24, 31
	s_lshl_b64 s[14:15], s[24:25], 1
	s_add_u32 s14, s3, s14
	s_addc_u32 s15, s7, s15
	global_load_dwordx2 v[1:2], v10, s[14:15]
	s_waitcnt vmcnt(0)
	ds_write_b64 v3, v[1:2]
.LBB257_4:
	s_or_b32 exec_lo, exec_lo, s2
	s_load_dwordx4 s[20:23], s[4:5], 0x68
	s_mul_i32 s2, s13, s11
	s_xor_b32 s1, s0, s1
	s_sub_i32 s0, s12, s2
	s_add_i32 s2, s13, 1
	s_sub_i32 s3, s0, s11
	s_cmp_ge_u32 s0, s11
	s_mov_b32 s12, -1
	s_cselect_b32 s2, s2, s13
	s_cselect_b32 s0, s3, s0
	s_add_i32 s3, s2, 1
	s_cmp_ge_u32 s0, s11
	s_load_dword s0, s[4:5], 0x78
	s_cselect_b32 s2, s3, s2
	s_waitcnt lgkmcnt(0)
	s_add_i32 s7, s33, -1
	s_xor_b32 s2, s2, s1
	s_abs_i32 s3, s7
	s_sub_i32 s1, s2, s1
	s_barrier
	s_abs_i32 s16, s23
	buffer_gl0_inv
	v_cvt_f32_u32_e32 v1, s16
	s_sub_i32 s2, 0, s16
                                        ; implicit-def: $sgpr25
	v_rcp_iflag_f32_e32 v1, v1
	v_mul_f32_e32 v1, 0x4f7ffffe, v1
	v_cvt_u32_f32_e32 v1, v1
	v_readfirstlane_b32 s19, v1
	s_mul_i32 s2, s2, s19
	s_mul_hi_u32 s2, s19, s2
	s_add_i32 s19, s19, s2
	s_cmp_lt_i32 s0, 0
	s_mul_hi_u32 s2, s3, s19
	s_cbranch_scc0 .LBB257_6
; %bb.5:
	s_mul_i32 s11, s20, s34
	s_mov_b32 s12, 0
	s_add_i32 s11, s1, s11
	s_mul_i32 s11, s11, s0
	s_sub_i32 s25, 1, s11
.LBB257_6:
	s_load_dwordx2 s[26:27], s[4:5], 0x28
	s_ashr_i32 s11, s7, 31
	s_andn2_b32 vcc_lo, exec_lo, s12
	s_ashr_i32 s23, s23, 31
	s_cbranch_vccnz .LBB257_8
; %bb.7:
	s_mul_i32 s7, s9, s20
	s_add_i32 s6, s7, s6
	s_mul_i32 s0, s6, s0
	s_add_i32 s25, s0, 1
.LBB257_8:
	s_clause 0x2
	s_load_dword s0, s[4:5], 0x38
	s_load_dwordx2 s[6:7], s[4:5], 0x0
	s_load_dwordx2 s[30:31], s[4:5], 0x18
	s_xor_b32 s34, s11, s23
	s_mul_i32 s11, s2, s16
	s_add_i32 s20, s2, 1
	s_sub_i32 s3, s3, s11
	s_clause 0x1
	s_load_dword s11, s[4:5], 0x88
	s_load_dwordx4 s[12:15], s[4:5], 0x58
	v_lshrrev_b32_e32 v127, 5, v0
	v_mov_b32_e32 v18, 0xff7fffff
	v_lshrrev_b32_e32 v17, 3, v0
	v_mbcnt_lo_u32_b32 v15, -1, 0
	s_mul_i32 s18, s1, s18
	v_lshlrev_b32_e32 v14, 4, v127
	s_mov_b32 s37, exec_lo
	s_waitcnt lgkmcnt(0)
	s_mul_i32 s28, s0, s10
	s_sub_i32 s0, s3, s16
	s_ashr_i32 s29, s28, 31
	s_cmp_ge_u32 s3, s16
	s_cselect_b32 s2, s20, s2
	s_cselect_b32 s0, s0, s3
	s_add_i32 s3, s2, 1
	s_cmp_ge_u32 s0, s16
	s_cselect_b32 s0, s3, s2
	s_add_i32 s2, s33, 15
	s_ashr_i32 s3, s2, 31
	s_lshr_b32 s3, s3, 28
	s_add_i32 s2, s2, s3
	s_ashr_i32 s20, s2, 4
	s_xor_b32 s2, s0, s34
	v_cmp_le_i32_e64 s0, s20, v127
	s_sub_i32 s34, s2, s34
	v_cmpx_gt_i32_e64 s20, v127
	s_cbranch_execz .LBB257_500
; %bb.9:
	s_load_dwordx2 s[2:3], s[4:5], 0x10
	s_sub_i32 s4, s34, s21
	s_ashr_i32 s1, s18, 31
	v_bfe_u32 v16, v0, 1, 4
	v_cmp_eq_u32_e32 vcc_lo, 0, v27
	v_lshlrev_b32_e32 v5, 2, v27
	v_mul_u32_u24_e32 v19, 0x78, v27
	v_and_b32_e32 v3, 0x7c, v17
	v_lshlrev_b32_e32 v4, 2, v16
	v_subrev_nc_u32_e32 v6, s33, v16
	v_lshlrev_b32_e32 v7, 4, v16
	v_mov_b32_e32 v2, 0
	v_lshlrev_b32_e32 v20, 4, v127
	v_lshl_or_b32 v4, v127, 6, v4
	v_add_nc_u32_e32 v26, 1, v6
	v_mov_b32_e32 v21, 0xff7fffff
	v_mov_b32_e32 v22, 0x80
	;; [unrolled: 1-line block ×3, first 2 shown]
	v_add_nc_u32_e32 v27, 0x110, v4
	v_mov_b32_e32 v24, 7
	s_waitcnt lgkmcnt(0)
	s_add_u32 s38, s2, s18
	s_addc_u32 s39, s3, s1
	s_abs_i32 s5, s22
	v_add_co_u32 v6, s38, s38, v7
	v_cvt_f32_u32_e32 v1, s5
	s_sub_i32 s2, 0, s5
	v_add_co_ci_u32_e64 v7, null, s39, 0, s38
	v_cmp_neq_f32_e64 s1, s36, 0
	v_rcp_iflag_f32_e32 v1, v1
	v_mov_b32_e32 v25, 8
	v_mov_b32_e32 v18, 0xff7fffff
	;; [unrolled: 1-line block ×3, first 2 shown]
	s_mov_b32 s38, 0
	s_mov_b32 s39, s17
	v_mul_f32_e32 v1, 0x4f7ffffe, v1
	v_cvt_u32_f32_e32 v1, v1
	v_mul_lo_u32 v4, s2, v1
	s_lshl_b64 s[2:3], s[28:29], 2
	s_add_u32 s2, s26, s2
	s_addc_u32 s3, s27, s3
	v_add_co_u32 v3, s2, s2, v3
	v_mul_hi_u32 v8, v1, v4
	v_add_co_ci_u32_e64 v4, null, s3, 0, s2
	v_add_co_u32 v5, s2, v6, v5
	v_add_co_ci_u32_e64 v6, null, 0, v7, s2
	v_add_nc_u32_e32 v28, v1, v8
	s_branch .LBB257_12
.LBB257_10:                             ;   in Loop: Header=BB257_12 Depth=1
	s_or_b32 exec_lo, exec_lo, s40
.LBB257_11:                             ;   in Loop: Header=BB257_12 Depth=1
	s_or_b32 exec_lo, exec_lo, s3
	v_add_nc_u32_e32 v29, 4, v29
	v_add_co_u32 v3, s3, v3, 16
	v_add_co_ci_u32_e64 v4, null, 0, v4, s3
	v_cmp_le_i32_e64 s2, s20, v29
	v_add_nc_u32_e32 v20, 64, v20
	v_add_nc_u32_e32 v27, 0x100, v27
	s_or_b32 s38, s2, s38
	s_andn2_b32 exec_lo, exec_lo, s38
	s_cbranch_execz .LBB257_499
.LBB257_12:                             ; =>This Inner Loop Header: Depth=1
	v_mul_hi_u32 v1, v20, s19
	s_waitcnt lgkmcnt(0)
	v_mul_lo_u32 v7, v1, s16
	v_add_nc_u32_e32 v8, 1, v1
	v_sub_nc_u32_e32 v7, v20, v7
	v_subrev_nc_u32_e32 v9, s16, v7
	v_cmp_le_u32_e64 s2, s16, v7
	v_cndmask_b32_e64 v1, v1, v8, s2
	v_cndmask_b32_e64 v7, v7, v9, s2
	v_add_nc_u32_e32 v8, 1, v1
	v_cmp_le_u32_e64 s2, s16, v7
	v_cndmask_b32_e64 v1, v1, v8, s2
	v_xor_b32_e32 v1, s23, v1
	v_subrev_nc_u32_e32 v1, s23, v1
	v_add_nc_u32_e32 v7, s25, v1
	v_cmp_ge_i32_e64 s3, s4, v1
	v_sub_nc_u32_e32 v8, 0, v7
	v_max_i32_e32 v8, v7, v8
	v_ashrrev_i32_e32 v7, 31, v7
	v_mul_hi_u32 v9, v8, v28
	v_mul_lo_u32 v9, v9, s5
	v_sub_nc_u32_e32 v8, v8, v9
	v_subrev_nc_u32_e32 v9, s5, v8
	v_cmp_le_u32_e64 s2, s5, v8
	v_cndmask_b32_e64 v8, v8, v9, s2
	v_subrev_nc_u32_e32 v9, s5, v8
	v_cmp_le_u32_e64 s2, s5, v8
	v_cndmask_b32_e64 v8, v8, v9, s2
	v_xor_b32_e32 v8, v8, v7
	v_sub_nc_u32_e32 v7, v8, v7
	v_cmp_ne_u32_e64 s2, 0, v7
	s_and_b32 s2, s2, s3
	s_and_saveexec_b32 s3, s2
	s_xor_b32 s2, exec_lo, s3
	s_cbranch_execz .LBB257_16
; %bb.13:                               ;   in Loop: Header=BB257_12 Depth=1
	s_and_saveexec_b32 s3, vcc_lo
; %bb.14:                               ;   in Loop: Header=BB257_12 Depth=1
	ds_write_b32 v27, v21
; %bb.15:                               ;   in Loop: Header=BB257_12 Depth=1
	s_or_b32 exec_lo, exec_lo, s3
.LBB257_16:                             ;   in Loop: Header=BB257_12 Depth=1
	s_andn2_saveexec_b32 s3, s2
	s_cbranch_execz .LBB257_11
; %bb.17:                               ;   in Loop: Header=BB257_12 Depth=1
	global_load_dword v1, v[3:4], off
	v_mov_b32_e32 v31, 0
	v_mov_b32_e32 v32, 0
	global_load_dword v30, v31, s[12:13]
	s_waitcnt vmcnt(1)
	v_mad_i64_i32 v[7:8], null, v1, s39, v[5:6]
	global_load_dword v9, v[7:8], off
	s_waitcnt vmcnt(0)
	v_cmp_ne_u16_sdwa s2, v9, v2 src0_sel:BYTE_0 src1_sel:DWORD
	s_and_saveexec_b32 s40, s2
	s_cbranch_execz .LBB257_25
; %bb.18:                               ;   in Loop: Header=BB257_12 Depth=1
	v_cmp_ne_u16_sdwa s2, v9, v22 src0_sel:BYTE_0 src1_sel:DWORD
	v_mov_b32_e32 v32, 0x8000
	s_and_saveexec_b32 s41, s2
	s_cbranch_execz .LBB257_24
; %bb.19:                               ;   in Loop: Header=BB257_12 Depth=1
	v_and_b32_e32 v33, 0x7f, v9
	v_mov_b32_e32 v32, 0x7c01
	s_mov_b32 s42, exec_lo
	v_cmpx_ne_u32_e32 0x7f, v33
	s_cbranch_execz .LBB257_23
; %bb.20:                               ;   in Loop: Header=BB257_12 Depth=1
	v_and_b32_e32 v1, 7, v9
	v_lshrrev_b32_e32 v32, 3, v33
	s_mov_b32 s43, exec_lo
	v_cmpx_gt_u32_e32 8, v33
; %bb.21:                               ;   in Loop: Header=BB257_12 Depth=1
	v_ffbh_u32_e32 v1, v1
	v_min_u32_e32 v1, 32, v1
	v_subrev_nc_u32_e32 v12, 28, v1
	v_sub_nc_u32_e32 v32, 29, v1
	v_lshlrev_b64 v[33:34], v12, v[9:10]
	v_and_b32_e32 v1, 7, v33
; %bb.22:                               ;   in Loop: Header=BB257_12 Depth=1
	s_or_b32 exec_lo, exec_lo, s43
	v_lshlrev_b32_e32 v12, 8, v9
	v_lshl_add_u32 v13, v32, 10, 0x2000
	v_lshlrev_b32_e32 v1, 7, v1
	v_and_b32_e32 v12, 0x8000, v12
	v_and_b32_e32 v13, 0xfc00, v13
	v_or3_b32 v32, v12, v13, v1
.LBB257_23:                             ;   in Loop: Header=BB257_12 Depth=1
	s_or_b32 exec_lo, exec_lo, s42
.LBB257_24:                             ;   in Loop: Header=BB257_12 Depth=1
	s_or_b32 exec_lo, exec_lo, s41
.LBB257_25:                             ;   in Loop: Header=BB257_12 Depth=1
	s_or_b32 exec_lo, exec_lo, s40
	v_lshrrev_b16 v1, 8, v9
	s_mov_b32 s40, exec_lo
	v_cmpx_ne_u16_e32 0, v1
	s_cbranch_execz .LBB257_33
; %bb.26:                               ;   in Loop: Header=BB257_12 Depth=1
	v_bfrev_b32_e32 v31, 1
	s_mov_b32 s41, exec_lo
	v_cmpx_ne_u16_e32 0x80, v1
	s_cbranch_execz .LBB257_32
; %bb.27:                               ;   in Loop: Header=BB257_12 Depth=1
	v_and_b32_sdwa v34, v1, v23 dst_sel:DWORD dst_unused:UNUSED_PAD src0_sel:WORD_0 src1_sel:DWORD
	v_mov_b32_e32 v31, 0x7c010000
	s_mov_b32 s42, exec_lo
	v_cmpx_ne_u32_e32 0x7f, v34
	s_cbranch_execz .LBB257_31
; %bb.28:                               ;   in Loop: Header=BB257_12 Depth=1
	v_and_b32_sdwa v31, v1, v24 dst_sel:DWORD dst_unused:UNUSED_PAD src0_sel:WORD_0 src1_sel:DWORD
	v_lshrrev_b32_e32 v33, 3, v34
	s_mov_b32 s43, exec_lo
	v_cmpx_gt_u32_e32 8, v34
; %bb.29:                               ;   in Loop: Header=BB257_12 Depth=1
	v_ffbh_u32_e32 v12, v31
	v_min_u32_e32 v12, 32, v12
	v_subrev_nc_u32_e32 v13, 28, v12
	v_sub_nc_u32_e32 v33, 29, v12
	v_lshlrev_b64 v[34:35], v13, v[1:2]
	v_and_b32_e32 v31, 7, v34
; %bb.30:                               ;   in Loop: Header=BB257_12 Depth=1
	s_or_b32 exec_lo, exec_lo, s43
	v_lshlrev_b32_sdwa v1, v25, v1 dst_sel:DWORD dst_unused:UNUSED_PAD src0_sel:DWORD src1_sel:WORD_0
	v_lshl_add_u32 v12, v33, 10, 0x2000
	v_and_or_b32 v1, 0x8000, v1, v12
	v_lshlrev_b32_e32 v12, 23, v31
	v_lshl_or_b32 v31, v1, 16, v12
.LBB257_31:                             ;   in Loop: Header=BB257_12 Depth=1
	s_or_b32 exec_lo, exec_lo, s42
.LBB257_32:                             ;   in Loop: Header=BB257_12 Depth=1
	s_or_b32 exec_lo, exec_lo, s41
.LBB257_33:                             ;   in Loop: Header=BB257_12 Depth=1
	s_or_b32 exec_lo, exec_lo, s40
	v_lshrrev_b32_e32 v1, 16, v9
	v_mov_b32_e32 v33, 0
	v_mov_b32_e32 v34, 0
	v_cmp_ne_u16_sdwa s2, v1, v2 src0_sel:BYTE_0 src1_sel:DWORD
	s_and_saveexec_b32 s40, s2
	s_cbranch_execz .LBB257_41
; %bb.34:                               ;   in Loop: Header=BB257_12 Depth=1
	v_cmp_ne_u16_sdwa s2, v1, v22 src0_sel:BYTE_0 src1_sel:DWORD
	v_mov_b32_e32 v34, 0x8000
	s_and_saveexec_b32 s41, s2
	s_cbranch_execz .LBB257_40
; %bb.35:                               ;   in Loop: Header=BB257_12 Depth=1
	v_bfe_u32 v36, v9, 16, 7
	v_mov_b32_e32 v34, 0x7c01
	s_mov_b32 s42, exec_lo
	v_cmpx_ne_u32_e32 0x7f, v36
	s_cbranch_execz .LBB257_39
; %bb.36:                               ;   in Loop: Header=BB257_12 Depth=1
	v_and_b32_e32 v34, 7, v1
	v_lshrrev_b32_e32 v35, 3, v36
	s_mov_b32 s43, exec_lo
	v_cmpx_gt_u32_e32 8, v36
; %bb.37:                               ;   in Loop: Header=BB257_12 Depth=1
	v_ffbh_u32_e32 v12, v34
	v_min_u32_e32 v12, 32, v12
	v_subrev_nc_u32_e32 v13, 28, v12
	v_lshlrev_b64 v[34:35], v13, v[1:2]
	v_sub_nc_u32_e32 v35, 29, v12
	v_and_b32_e32 v34, 7, v34
; %bb.38:                               ;   in Loop: Header=BB257_12 Depth=1
	s_or_b32 exec_lo, exec_lo, s43
	v_lshlrev_b32_e32 v1, 8, v1
	v_lshl_add_u32 v12, v35, 10, 0x2000
	v_lshlrev_b32_e32 v13, 7, v34
	v_and_b32_e32 v1, 0x8000, v1
	v_and_b32_e32 v12, 0xfc00, v12
	v_or3_b32 v34, v1, v12, v13
.LBB257_39:                             ;   in Loop: Header=BB257_12 Depth=1
	s_or_b32 exec_lo, exec_lo, s42
.LBB257_40:                             ;   in Loop: Header=BB257_12 Depth=1
	s_or_b32 exec_lo, exec_lo, s41
.LBB257_41:                             ;   in Loop: Header=BB257_12 Depth=1
	s_or_b32 exec_lo, exec_lo, s40
	s_mov_b32 s40, exec_lo
	v_cmpx_lt_u32_e32 0xffffff, v9
	s_cbranch_execz .LBB257_49
; %bb.42:                               ;   in Loop: Header=BB257_12 Depth=1
	v_lshrrev_b32_e32 v1, 24, v9
	v_bfrev_b32_e32 v33, 1
	s_mov_b32 s41, exec_lo
	v_cmpx_ne_u32_e32 0x80, v1
	s_cbranch_execz .LBB257_48
; %bb.43:                               ;   in Loop: Header=BB257_12 Depth=1
	v_and_b32_e32 v35, 0x7f, v1
	v_mov_b32_e32 v33, 0x7c010000
	s_mov_b32 s42, exec_lo
	v_cmpx_ne_u32_e32 0x7f, v35
	s_cbranch_execz .LBB257_47
; %bb.44:                               ;   in Loop: Header=BB257_12 Depth=1
	v_and_b32_e32 v9, 7, v1
	v_lshrrev_b32_e32 v33, 3, v35
	s_mov_b32 s43, exec_lo
	v_cmpx_gt_u32_e32 8, v35
; %bb.45:                               ;   in Loop: Header=BB257_12 Depth=1
	v_ffbh_u32_e32 v9, v9
	v_min_u32_e32 v9, 32, v9
	v_subrev_nc_u32_e32 v12, 28, v9
	v_sub_nc_u32_e32 v33, 29, v9
	v_lshlrev_b64 v[35:36], v12, v[1:2]
	v_and_b32_e32 v9, 7, v35
; %bb.46:                               ;   in Loop: Header=BB257_12 Depth=1
	s_or_b32 exec_lo, exec_lo, s43
	v_lshlrev_b32_e32 v1, 8, v1
	v_lshl_add_u32 v12, v33, 10, 0x2000
	v_lshlrev_b32_e32 v9, 23, v9
	v_and_or_b32 v1, 0x8000, v1, v12
	v_lshl_or_b32 v33, v1, 16, v9
.LBB257_47:                             ;   in Loop: Header=BB257_12 Depth=1
	s_or_b32 exec_lo, exec_lo, s42
.LBB257_48:                             ;   in Loop: Header=BB257_12 Depth=1
	s_or_b32 exec_lo, exec_lo, s41
.LBB257_49:                             ;   in Loop: Header=BB257_12 Depth=1
	s_or_b32 exec_lo, exec_lo, s40
	global_load_dword v9, v[7:8], off offset:8
	v_mov_b32_e32 v35, 0
	v_mov_b32_e32 v36, 0
	s_waitcnt vmcnt(0)
	v_cmp_ne_u16_sdwa s2, v9, v2 src0_sel:BYTE_0 src1_sel:DWORD
	s_and_saveexec_b32 s40, s2
	s_cbranch_execz .LBB257_57
; %bb.50:                               ;   in Loop: Header=BB257_12 Depth=1
	v_cmp_ne_u16_sdwa s2, v9, v22 src0_sel:BYTE_0 src1_sel:DWORD
	v_mov_b32_e32 v36, 0x8000
	s_and_saveexec_b32 s41, s2
	s_cbranch_execz .LBB257_56
; %bb.51:                               ;   in Loop: Header=BB257_12 Depth=1
	v_and_b32_e32 v37, 0x7f, v9
	v_mov_b32_e32 v36, 0x7c01
	s_mov_b32 s42, exec_lo
	v_cmpx_ne_u32_e32 0x7f, v37
	s_cbranch_execz .LBB257_55
; %bb.52:                               ;   in Loop: Header=BB257_12 Depth=1
	v_and_b32_e32 v1, 7, v9
	v_lshrrev_b32_e32 v36, 3, v37
	s_mov_b32 s43, exec_lo
	v_cmpx_gt_u32_e32 8, v37
; %bb.53:                               ;   in Loop: Header=BB257_12 Depth=1
	v_ffbh_u32_e32 v1, v1
	v_min_u32_e32 v1, 32, v1
	v_subrev_nc_u32_e32 v12, 28, v1
	v_sub_nc_u32_e32 v36, 29, v1
	v_lshlrev_b64 v[37:38], v12, v[9:10]
	v_and_b32_e32 v1, 7, v37
; %bb.54:                               ;   in Loop: Header=BB257_12 Depth=1
	s_or_b32 exec_lo, exec_lo, s43
	v_lshlrev_b32_e32 v12, 8, v9
	v_lshl_add_u32 v13, v36, 10, 0x2000
	v_lshlrev_b32_e32 v1, 7, v1
	v_and_b32_e32 v12, 0x8000, v12
	v_and_b32_e32 v13, 0xfc00, v13
	v_or3_b32 v36, v12, v13, v1
.LBB257_55:                             ;   in Loop: Header=BB257_12 Depth=1
	s_or_b32 exec_lo, exec_lo, s42
.LBB257_56:                             ;   in Loop: Header=BB257_12 Depth=1
	s_or_b32 exec_lo, exec_lo, s41
.LBB257_57:                             ;   in Loop: Header=BB257_12 Depth=1
	s_or_b32 exec_lo, exec_lo, s40
	v_lshrrev_b16 v1, 8, v9
	s_mov_b32 s40, exec_lo
	v_cmpx_ne_u16_e32 0, v1
	s_cbranch_execz .LBB257_65
; %bb.58:                               ;   in Loop: Header=BB257_12 Depth=1
	v_bfrev_b32_e32 v35, 1
	s_mov_b32 s41, exec_lo
	v_cmpx_ne_u16_e32 0x80, v1
	s_cbranch_execz .LBB257_64
; %bb.59:                               ;   in Loop: Header=BB257_12 Depth=1
	v_and_b32_sdwa v38, v1, v23 dst_sel:DWORD dst_unused:UNUSED_PAD src0_sel:WORD_0 src1_sel:DWORD
	v_mov_b32_e32 v35, 0x7c010000
	s_mov_b32 s42, exec_lo
	v_cmpx_ne_u32_e32 0x7f, v38
	s_cbranch_execz .LBB257_63
; %bb.60:                               ;   in Loop: Header=BB257_12 Depth=1
	v_and_b32_sdwa v35, v1, v24 dst_sel:DWORD dst_unused:UNUSED_PAD src0_sel:WORD_0 src1_sel:DWORD
	v_lshrrev_b32_e32 v37, 3, v38
	s_mov_b32 s43, exec_lo
	v_cmpx_gt_u32_e32 8, v38
; %bb.61:                               ;   in Loop: Header=BB257_12 Depth=1
	v_ffbh_u32_e32 v12, v35
	v_min_u32_e32 v12, 32, v12
	v_subrev_nc_u32_e32 v13, 28, v12
	v_sub_nc_u32_e32 v37, 29, v12
	v_lshlrev_b64 v[38:39], v13, v[1:2]
	v_and_b32_e32 v35, 7, v38
; %bb.62:                               ;   in Loop: Header=BB257_12 Depth=1
	s_or_b32 exec_lo, exec_lo, s43
	v_lshlrev_b32_sdwa v1, v25, v1 dst_sel:DWORD dst_unused:UNUSED_PAD src0_sel:DWORD src1_sel:WORD_0
	v_lshl_add_u32 v12, v37, 10, 0x2000
	v_and_or_b32 v1, 0x8000, v1, v12
	v_lshlrev_b32_e32 v12, 23, v35
	v_lshl_or_b32 v35, v1, 16, v12
.LBB257_63:                             ;   in Loop: Header=BB257_12 Depth=1
	s_or_b32 exec_lo, exec_lo, s42
.LBB257_64:                             ;   in Loop: Header=BB257_12 Depth=1
	s_or_b32 exec_lo, exec_lo, s41
.LBB257_65:                             ;   in Loop: Header=BB257_12 Depth=1
	s_or_b32 exec_lo, exec_lo, s40
	v_lshrrev_b32_e32 v1, 16, v9
	v_mov_b32_e32 v37, 0
	v_mov_b32_e32 v38, 0
	v_cmp_ne_u16_sdwa s2, v1, v2 src0_sel:BYTE_0 src1_sel:DWORD
	s_and_saveexec_b32 s40, s2
	s_cbranch_execz .LBB257_73
; %bb.66:                               ;   in Loop: Header=BB257_12 Depth=1
	v_cmp_ne_u16_sdwa s2, v1, v22 src0_sel:BYTE_0 src1_sel:DWORD
	v_mov_b32_e32 v38, 0x8000
	s_and_saveexec_b32 s41, s2
	s_cbranch_execz .LBB257_72
; %bb.67:                               ;   in Loop: Header=BB257_12 Depth=1
	v_bfe_u32 v40, v9, 16, 7
	v_mov_b32_e32 v38, 0x7c01
	s_mov_b32 s42, exec_lo
	v_cmpx_ne_u32_e32 0x7f, v40
	s_cbranch_execz .LBB257_71
; %bb.68:                               ;   in Loop: Header=BB257_12 Depth=1
	v_and_b32_e32 v38, 7, v1
	v_lshrrev_b32_e32 v39, 3, v40
	s_mov_b32 s43, exec_lo
	v_cmpx_gt_u32_e32 8, v40
; %bb.69:                               ;   in Loop: Header=BB257_12 Depth=1
	v_ffbh_u32_e32 v12, v38
	v_min_u32_e32 v12, 32, v12
	v_subrev_nc_u32_e32 v13, 28, v12
	v_lshlrev_b64 v[38:39], v13, v[1:2]
	v_sub_nc_u32_e32 v39, 29, v12
	v_and_b32_e32 v38, 7, v38
; %bb.70:                               ;   in Loop: Header=BB257_12 Depth=1
	s_or_b32 exec_lo, exec_lo, s43
	v_lshlrev_b32_e32 v1, 8, v1
	v_lshl_add_u32 v12, v39, 10, 0x2000
	v_lshlrev_b32_e32 v13, 7, v38
	v_and_b32_e32 v1, 0x8000, v1
	v_and_b32_e32 v12, 0xfc00, v12
	v_or3_b32 v38, v1, v12, v13
.LBB257_71:                             ;   in Loop: Header=BB257_12 Depth=1
	s_or_b32 exec_lo, exec_lo, s42
.LBB257_72:                             ;   in Loop: Header=BB257_12 Depth=1
	s_or_b32 exec_lo, exec_lo, s41
.LBB257_73:                             ;   in Loop: Header=BB257_12 Depth=1
	s_or_b32 exec_lo, exec_lo, s40
	s_mov_b32 s40, exec_lo
	v_cmpx_lt_u32_e32 0xffffff, v9
	s_cbranch_execz .LBB257_81
; %bb.74:                               ;   in Loop: Header=BB257_12 Depth=1
	v_lshrrev_b32_e32 v1, 24, v9
	v_bfrev_b32_e32 v37, 1
	s_mov_b32 s41, exec_lo
	v_cmpx_ne_u32_e32 0x80, v1
	s_cbranch_execz .LBB257_80
; %bb.75:                               ;   in Loop: Header=BB257_12 Depth=1
	v_and_b32_e32 v39, 0x7f, v1
	v_mov_b32_e32 v37, 0x7c010000
	s_mov_b32 s42, exec_lo
	v_cmpx_ne_u32_e32 0x7f, v39
	s_cbranch_execz .LBB257_79
; %bb.76:                               ;   in Loop: Header=BB257_12 Depth=1
	v_and_b32_e32 v9, 7, v1
	v_lshrrev_b32_e32 v37, 3, v39
	s_mov_b32 s43, exec_lo
	v_cmpx_gt_u32_e32 8, v39
; %bb.77:                               ;   in Loop: Header=BB257_12 Depth=1
	v_ffbh_u32_e32 v9, v9
	v_min_u32_e32 v9, 32, v9
	v_subrev_nc_u32_e32 v12, 28, v9
	v_sub_nc_u32_e32 v37, 29, v9
	v_lshlrev_b64 v[39:40], v12, v[1:2]
	v_and_b32_e32 v9, 7, v39
; %bb.78:                               ;   in Loop: Header=BB257_12 Depth=1
	s_or_b32 exec_lo, exec_lo, s43
	v_lshlrev_b32_e32 v1, 8, v1
	v_lshl_add_u32 v12, v37, 10, 0x2000
	v_lshlrev_b32_e32 v9, 23, v9
	v_and_or_b32 v1, 0x8000, v1, v12
	v_lshl_or_b32 v37, v1, 16, v9
.LBB257_79:                             ;   in Loop: Header=BB257_12 Depth=1
	s_or_b32 exec_lo, exec_lo, s42
.LBB257_80:                             ;   in Loop: Header=BB257_12 Depth=1
	s_or_b32 exec_lo, exec_lo, s41
.LBB257_81:                             ;   in Loop: Header=BB257_12 Depth=1
	s_or_b32 exec_lo, exec_lo, s40
	global_load_dword v9, v[7:8], off offset:256
	v_mov_b32_e32 v39, 0
	v_mov_b32_e32 v40, 0
	s_waitcnt vmcnt(0)
	v_cmp_ne_u16_sdwa s2, v9, v2 src0_sel:BYTE_0 src1_sel:DWORD
	s_and_saveexec_b32 s40, s2
	s_cbranch_execz .LBB257_89
; %bb.82:                               ;   in Loop: Header=BB257_12 Depth=1
	v_cmp_ne_u16_sdwa s2, v9, v22 src0_sel:BYTE_0 src1_sel:DWORD
	v_mov_b32_e32 v40, 0x8000
	s_and_saveexec_b32 s41, s2
	s_cbranch_execz .LBB257_88
; %bb.83:                               ;   in Loop: Header=BB257_12 Depth=1
	v_and_b32_e32 v41, 0x7f, v9
	v_mov_b32_e32 v40, 0x7c01
	s_mov_b32 s42, exec_lo
	v_cmpx_ne_u32_e32 0x7f, v41
	s_cbranch_execz .LBB257_87
; %bb.84:                               ;   in Loop: Header=BB257_12 Depth=1
	v_and_b32_e32 v1, 7, v9
	v_lshrrev_b32_e32 v40, 3, v41
	s_mov_b32 s43, exec_lo
	v_cmpx_gt_u32_e32 8, v41
; %bb.85:                               ;   in Loop: Header=BB257_12 Depth=1
	v_ffbh_u32_e32 v1, v1
	v_min_u32_e32 v1, 32, v1
	v_subrev_nc_u32_e32 v12, 28, v1
	v_sub_nc_u32_e32 v40, 29, v1
	v_lshlrev_b64 v[41:42], v12, v[9:10]
	v_and_b32_e32 v1, 7, v41
; %bb.86:                               ;   in Loop: Header=BB257_12 Depth=1
	s_or_b32 exec_lo, exec_lo, s43
	v_lshlrev_b32_e32 v12, 8, v9
	v_lshl_add_u32 v13, v40, 10, 0x2000
	v_lshlrev_b32_e32 v1, 7, v1
	v_and_b32_e32 v12, 0x8000, v12
	v_and_b32_e32 v13, 0xfc00, v13
	v_or3_b32 v40, v12, v13, v1
.LBB257_87:                             ;   in Loop: Header=BB257_12 Depth=1
	s_or_b32 exec_lo, exec_lo, s42
.LBB257_88:                             ;   in Loop: Header=BB257_12 Depth=1
	s_or_b32 exec_lo, exec_lo, s41
.LBB257_89:                             ;   in Loop: Header=BB257_12 Depth=1
	s_or_b32 exec_lo, exec_lo, s40
	v_lshrrev_b16 v1, 8, v9
	s_mov_b32 s40, exec_lo
	v_cmpx_ne_u16_e32 0, v1
	s_cbranch_execz .LBB257_97
; %bb.90:                               ;   in Loop: Header=BB257_12 Depth=1
	v_bfrev_b32_e32 v39, 1
	s_mov_b32 s41, exec_lo
	v_cmpx_ne_u16_e32 0x80, v1
	s_cbranch_execz .LBB257_96
; %bb.91:                               ;   in Loop: Header=BB257_12 Depth=1
	v_and_b32_sdwa v42, v1, v23 dst_sel:DWORD dst_unused:UNUSED_PAD src0_sel:WORD_0 src1_sel:DWORD
	v_mov_b32_e32 v39, 0x7c010000
	s_mov_b32 s42, exec_lo
	v_cmpx_ne_u32_e32 0x7f, v42
	s_cbranch_execz .LBB257_95
; %bb.92:                               ;   in Loop: Header=BB257_12 Depth=1
	v_and_b32_sdwa v39, v1, v24 dst_sel:DWORD dst_unused:UNUSED_PAD src0_sel:WORD_0 src1_sel:DWORD
	v_lshrrev_b32_e32 v41, 3, v42
	s_mov_b32 s43, exec_lo
	v_cmpx_gt_u32_e32 8, v42
; %bb.93:                               ;   in Loop: Header=BB257_12 Depth=1
	v_ffbh_u32_e32 v12, v39
	v_min_u32_e32 v12, 32, v12
	v_subrev_nc_u32_e32 v13, 28, v12
	v_sub_nc_u32_e32 v41, 29, v12
	v_lshlrev_b64 v[42:43], v13, v[1:2]
	v_and_b32_e32 v39, 7, v42
; %bb.94:                               ;   in Loop: Header=BB257_12 Depth=1
	s_or_b32 exec_lo, exec_lo, s43
	v_lshlrev_b32_sdwa v1, v25, v1 dst_sel:DWORD dst_unused:UNUSED_PAD src0_sel:DWORD src1_sel:WORD_0
	v_lshl_add_u32 v12, v41, 10, 0x2000
	v_and_or_b32 v1, 0x8000, v1, v12
	v_lshlrev_b32_e32 v12, 23, v39
	v_lshl_or_b32 v39, v1, 16, v12
.LBB257_95:                             ;   in Loop: Header=BB257_12 Depth=1
	s_or_b32 exec_lo, exec_lo, s42
.LBB257_96:                             ;   in Loop: Header=BB257_12 Depth=1
	s_or_b32 exec_lo, exec_lo, s41
.LBB257_97:                             ;   in Loop: Header=BB257_12 Depth=1
	s_or_b32 exec_lo, exec_lo, s40
	v_lshrrev_b32_e32 v1, 16, v9
	v_mov_b32_e32 v41, 0
	v_mov_b32_e32 v42, 0
	v_cmp_ne_u16_sdwa s2, v1, v2 src0_sel:BYTE_0 src1_sel:DWORD
	s_and_saveexec_b32 s40, s2
	s_cbranch_execz .LBB257_105
; %bb.98:                               ;   in Loop: Header=BB257_12 Depth=1
	v_cmp_ne_u16_sdwa s2, v1, v22 src0_sel:BYTE_0 src1_sel:DWORD
	v_mov_b32_e32 v42, 0x8000
	s_and_saveexec_b32 s41, s2
	s_cbranch_execz .LBB257_104
; %bb.99:                               ;   in Loop: Header=BB257_12 Depth=1
	v_bfe_u32 v44, v9, 16, 7
	v_mov_b32_e32 v42, 0x7c01
	s_mov_b32 s42, exec_lo
	v_cmpx_ne_u32_e32 0x7f, v44
	s_cbranch_execz .LBB257_103
; %bb.100:                              ;   in Loop: Header=BB257_12 Depth=1
	v_and_b32_e32 v42, 7, v1
	v_lshrrev_b32_e32 v43, 3, v44
	s_mov_b32 s43, exec_lo
	v_cmpx_gt_u32_e32 8, v44
; %bb.101:                              ;   in Loop: Header=BB257_12 Depth=1
	v_ffbh_u32_e32 v12, v42
	v_min_u32_e32 v12, 32, v12
	v_subrev_nc_u32_e32 v13, 28, v12
	v_lshlrev_b64 v[42:43], v13, v[1:2]
	v_sub_nc_u32_e32 v43, 29, v12
	v_and_b32_e32 v42, 7, v42
; %bb.102:                              ;   in Loop: Header=BB257_12 Depth=1
	s_or_b32 exec_lo, exec_lo, s43
	v_lshlrev_b32_e32 v1, 8, v1
	v_lshl_add_u32 v12, v43, 10, 0x2000
	v_lshlrev_b32_e32 v13, 7, v42
	v_and_b32_e32 v1, 0x8000, v1
	v_and_b32_e32 v12, 0xfc00, v12
	v_or3_b32 v42, v1, v12, v13
.LBB257_103:                            ;   in Loop: Header=BB257_12 Depth=1
	s_or_b32 exec_lo, exec_lo, s42
.LBB257_104:                            ;   in Loop: Header=BB257_12 Depth=1
	s_or_b32 exec_lo, exec_lo, s41
.LBB257_105:                            ;   in Loop: Header=BB257_12 Depth=1
	s_or_b32 exec_lo, exec_lo, s40
	s_mov_b32 s40, exec_lo
	v_cmpx_lt_u32_e32 0xffffff, v9
	s_cbranch_execz .LBB257_113
; %bb.106:                              ;   in Loop: Header=BB257_12 Depth=1
	v_lshrrev_b32_e32 v1, 24, v9
	v_bfrev_b32_e32 v41, 1
	s_mov_b32 s41, exec_lo
	v_cmpx_ne_u32_e32 0x80, v1
	s_cbranch_execz .LBB257_112
; %bb.107:                              ;   in Loop: Header=BB257_12 Depth=1
	v_and_b32_e32 v43, 0x7f, v1
	v_mov_b32_e32 v41, 0x7c010000
	s_mov_b32 s42, exec_lo
	v_cmpx_ne_u32_e32 0x7f, v43
	s_cbranch_execz .LBB257_111
; %bb.108:                              ;   in Loop: Header=BB257_12 Depth=1
	v_and_b32_e32 v9, 7, v1
	v_lshrrev_b32_e32 v41, 3, v43
	s_mov_b32 s43, exec_lo
	v_cmpx_gt_u32_e32 8, v43
; %bb.109:                              ;   in Loop: Header=BB257_12 Depth=1
	v_ffbh_u32_e32 v9, v9
	v_min_u32_e32 v9, 32, v9
	v_subrev_nc_u32_e32 v12, 28, v9
	v_sub_nc_u32_e32 v41, 29, v9
	v_lshlrev_b64 v[43:44], v12, v[1:2]
	v_and_b32_e32 v9, 7, v43
; %bb.110:                              ;   in Loop: Header=BB257_12 Depth=1
	s_or_b32 exec_lo, exec_lo, s43
	v_lshlrev_b32_e32 v1, 8, v1
	v_lshl_add_u32 v12, v41, 10, 0x2000
	v_lshlrev_b32_e32 v9, 23, v9
	v_and_or_b32 v1, 0x8000, v1, v12
	v_lshl_or_b32 v41, v1, 16, v9
.LBB257_111:                            ;   in Loop: Header=BB257_12 Depth=1
	s_or_b32 exec_lo, exec_lo, s42
.LBB257_112:                            ;   in Loop: Header=BB257_12 Depth=1
	s_or_b32 exec_lo, exec_lo, s41
.LBB257_113:                            ;   in Loop: Header=BB257_12 Depth=1
	s_or_b32 exec_lo, exec_lo, s40
	global_load_dword v9, v[7:8], off offset:264
	v_mov_b32_e32 v43, 0
	v_mov_b32_e32 v44, 0
	s_waitcnt vmcnt(0)
	v_cmp_ne_u16_sdwa s2, v9, v2 src0_sel:BYTE_0 src1_sel:DWORD
	s_and_saveexec_b32 s40, s2
	s_cbranch_execz .LBB257_121
; %bb.114:                              ;   in Loop: Header=BB257_12 Depth=1
	v_cmp_ne_u16_sdwa s2, v9, v22 src0_sel:BYTE_0 src1_sel:DWORD
	v_mov_b32_e32 v44, 0x8000
	s_and_saveexec_b32 s41, s2
	s_cbranch_execz .LBB257_120
; %bb.115:                              ;   in Loop: Header=BB257_12 Depth=1
	v_and_b32_e32 v45, 0x7f, v9
	v_mov_b32_e32 v44, 0x7c01
	s_mov_b32 s42, exec_lo
	v_cmpx_ne_u32_e32 0x7f, v45
	s_cbranch_execz .LBB257_119
; %bb.116:                              ;   in Loop: Header=BB257_12 Depth=1
	v_and_b32_e32 v1, 7, v9
	v_lshrrev_b32_e32 v44, 3, v45
	s_mov_b32 s43, exec_lo
	v_cmpx_gt_u32_e32 8, v45
; %bb.117:                              ;   in Loop: Header=BB257_12 Depth=1
	v_ffbh_u32_e32 v1, v1
	v_min_u32_e32 v1, 32, v1
	v_subrev_nc_u32_e32 v12, 28, v1
	v_sub_nc_u32_e32 v44, 29, v1
	v_lshlrev_b64 v[45:46], v12, v[9:10]
	v_and_b32_e32 v1, 7, v45
; %bb.118:                              ;   in Loop: Header=BB257_12 Depth=1
	s_or_b32 exec_lo, exec_lo, s43
	v_lshlrev_b32_e32 v12, 8, v9
	v_lshl_add_u32 v13, v44, 10, 0x2000
	v_lshlrev_b32_e32 v1, 7, v1
	v_and_b32_e32 v12, 0x8000, v12
	v_and_b32_e32 v13, 0xfc00, v13
	v_or3_b32 v44, v12, v13, v1
.LBB257_119:                            ;   in Loop: Header=BB257_12 Depth=1
	s_or_b32 exec_lo, exec_lo, s42
.LBB257_120:                            ;   in Loop: Header=BB257_12 Depth=1
	s_or_b32 exec_lo, exec_lo, s41
.LBB257_121:                            ;   in Loop: Header=BB257_12 Depth=1
	s_or_b32 exec_lo, exec_lo, s40
	v_lshrrev_b16 v1, 8, v9
	s_mov_b32 s40, exec_lo
	v_cmpx_ne_u16_e32 0, v1
	s_cbranch_execz .LBB257_129
; %bb.122:                              ;   in Loop: Header=BB257_12 Depth=1
	v_bfrev_b32_e32 v43, 1
	s_mov_b32 s41, exec_lo
	v_cmpx_ne_u16_e32 0x80, v1
	s_cbranch_execz .LBB257_128
; %bb.123:                              ;   in Loop: Header=BB257_12 Depth=1
	v_and_b32_sdwa v46, v1, v23 dst_sel:DWORD dst_unused:UNUSED_PAD src0_sel:WORD_0 src1_sel:DWORD
	v_mov_b32_e32 v43, 0x7c010000
	s_mov_b32 s42, exec_lo
	v_cmpx_ne_u32_e32 0x7f, v46
	s_cbranch_execz .LBB257_127
; %bb.124:                              ;   in Loop: Header=BB257_12 Depth=1
	v_and_b32_sdwa v43, v1, v24 dst_sel:DWORD dst_unused:UNUSED_PAD src0_sel:WORD_0 src1_sel:DWORD
	v_lshrrev_b32_e32 v45, 3, v46
	s_mov_b32 s43, exec_lo
	v_cmpx_gt_u32_e32 8, v46
; %bb.125:                              ;   in Loop: Header=BB257_12 Depth=1
	v_ffbh_u32_e32 v12, v43
	v_min_u32_e32 v12, 32, v12
	v_subrev_nc_u32_e32 v13, 28, v12
	v_sub_nc_u32_e32 v45, 29, v12
	v_lshlrev_b64 v[46:47], v13, v[1:2]
	v_and_b32_e32 v43, 7, v46
; %bb.126:                              ;   in Loop: Header=BB257_12 Depth=1
	s_or_b32 exec_lo, exec_lo, s43
	v_lshlrev_b32_sdwa v1, v25, v1 dst_sel:DWORD dst_unused:UNUSED_PAD src0_sel:DWORD src1_sel:WORD_0
	v_lshl_add_u32 v12, v45, 10, 0x2000
	v_and_or_b32 v1, 0x8000, v1, v12
	v_lshlrev_b32_e32 v12, 23, v43
	v_lshl_or_b32 v43, v1, 16, v12
.LBB257_127:                            ;   in Loop: Header=BB257_12 Depth=1
	s_or_b32 exec_lo, exec_lo, s42
.LBB257_128:                            ;   in Loop: Header=BB257_12 Depth=1
	s_or_b32 exec_lo, exec_lo, s41
.LBB257_129:                            ;   in Loop: Header=BB257_12 Depth=1
	s_or_b32 exec_lo, exec_lo, s40
	v_lshrrev_b32_e32 v1, 16, v9
	v_mov_b32_e32 v45, 0
	v_mov_b32_e32 v46, 0
	v_cmp_ne_u16_sdwa s2, v1, v2 src0_sel:BYTE_0 src1_sel:DWORD
	s_and_saveexec_b32 s40, s2
	s_cbranch_execz .LBB257_137
; %bb.130:                              ;   in Loop: Header=BB257_12 Depth=1
	v_cmp_ne_u16_sdwa s2, v1, v22 src0_sel:BYTE_0 src1_sel:DWORD
	v_mov_b32_e32 v46, 0x8000
	s_and_saveexec_b32 s41, s2
	s_cbranch_execz .LBB257_136
; %bb.131:                              ;   in Loop: Header=BB257_12 Depth=1
	v_bfe_u32 v48, v9, 16, 7
	v_mov_b32_e32 v46, 0x7c01
	s_mov_b32 s42, exec_lo
	v_cmpx_ne_u32_e32 0x7f, v48
	s_cbranch_execz .LBB257_135
; %bb.132:                              ;   in Loop: Header=BB257_12 Depth=1
	v_and_b32_e32 v46, 7, v1
	v_lshrrev_b32_e32 v47, 3, v48
	s_mov_b32 s43, exec_lo
	v_cmpx_gt_u32_e32 8, v48
; %bb.133:                              ;   in Loop: Header=BB257_12 Depth=1
	v_ffbh_u32_e32 v12, v46
	v_min_u32_e32 v12, 32, v12
	v_subrev_nc_u32_e32 v13, 28, v12
	v_lshlrev_b64 v[46:47], v13, v[1:2]
	v_sub_nc_u32_e32 v47, 29, v12
	v_and_b32_e32 v46, 7, v46
; %bb.134:                              ;   in Loop: Header=BB257_12 Depth=1
	s_or_b32 exec_lo, exec_lo, s43
	v_lshlrev_b32_e32 v1, 8, v1
	v_lshl_add_u32 v12, v47, 10, 0x2000
	v_lshlrev_b32_e32 v13, 7, v46
	v_and_b32_e32 v1, 0x8000, v1
	v_and_b32_e32 v12, 0xfc00, v12
	v_or3_b32 v46, v1, v12, v13
.LBB257_135:                            ;   in Loop: Header=BB257_12 Depth=1
	s_or_b32 exec_lo, exec_lo, s42
.LBB257_136:                            ;   in Loop: Header=BB257_12 Depth=1
	s_or_b32 exec_lo, exec_lo, s41
.LBB257_137:                            ;   in Loop: Header=BB257_12 Depth=1
	s_or_b32 exec_lo, exec_lo, s40
	s_mov_b32 s40, exec_lo
	v_cmpx_lt_u32_e32 0xffffff, v9
	s_cbranch_execz .LBB257_145
; %bb.138:                              ;   in Loop: Header=BB257_12 Depth=1
	v_lshrrev_b32_e32 v1, 24, v9
	v_bfrev_b32_e32 v45, 1
	s_mov_b32 s41, exec_lo
	v_cmpx_ne_u32_e32 0x80, v1
	s_cbranch_execz .LBB257_144
; %bb.139:                              ;   in Loop: Header=BB257_12 Depth=1
	v_and_b32_e32 v47, 0x7f, v1
	v_mov_b32_e32 v45, 0x7c010000
	s_mov_b32 s42, exec_lo
	v_cmpx_ne_u32_e32 0x7f, v47
	s_cbranch_execz .LBB257_143
; %bb.140:                              ;   in Loop: Header=BB257_12 Depth=1
	v_and_b32_e32 v9, 7, v1
	v_lshrrev_b32_e32 v45, 3, v47
	s_mov_b32 s43, exec_lo
	v_cmpx_gt_u32_e32 8, v47
; %bb.141:                              ;   in Loop: Header=BB257_12 Depth=1
	v_ffbh_u32_e32 v9, v9
	v_min_u32_e32 v9, 32, v9
	v_subrev_nc_u32_e32 v12, 28, v9
	v_sub_nc_u32_e32 v45, 29, v9
	v_lshlrev_b64 v[47:48], v12, v[1:2]
	v_and_b32_e32 v9, 7, v47
; %bb.142:                              ;   in Loop: Header=BB257_12 Depth=1
	s_or_b32 exec_lo, exec_lo, s43
	v_lshlrev_b32_e32 v1, 8, v1
	v_lshl_add_u32 v12, v45, 10, 0x2000
	v_lshlrev_b32_e32 v9, 23, v9
	v_and_or_b32 v1, 0x8000, v1, v12
	v_lshl_or_b32 v45, v1, 16, v9
.LBB257_143:                            ;   in Loop: Header=BB257_12 Depth=1
	s_or_b32 exec_lo, exec_lo, s42
.LBB257_144:                            ;   in Loop: Header=BB257_12 Depth=1
	s_or_b32 exec_lo, exec_lo, s41
.LBB257_145:                            ;   in Loop: Header=BB257_12 Depth=1
	s_or_b32 exec_lo, exec_lo, s40
	global_load_dword v9, v[7:8], off offset:512
	v_mov_b32_e32 v47, 0
	v_mov_b32_e32 v48, 0
	s_waitcnt vmcnt(0)
	v_cmp_ne_u16_sdwa s2, v9, v2 src0_sel:BYTE_0 src1_sel:DWORD
	s_and_saveexec_b32 s40, s2
	s_cbranch_execz .LBB257_153
; %bb.146:                              ;   in Loop: Header=BB257_12 Depth=1
	v_cmp_ne_u16_sdwa s2, v9, v22 src0_sel:BYTE_0 src1_sel:DWORD
	v_mov_b32_e32 v48, 0x8000
	s_and_saveexec_b32 s41, s2
	s_cbranch_execz .LBB257_152
; %bb.147:                              ;   in Loop: Header=BB257_12 Depth=1
	v_and_b32_e32 v49, 0x7f, v9
	v_mov_b32_e32 v48, 0x7c01
	s_mov_b32 s42, exec_lo
	v_cmpx_ne_u32_e32 0x7f, v49
	s_cbranch_execz .LBB257_151
; %bb.148:                              ;   in Loop: Header=BB257_12 Depth=1
	v_and_b32_e32 v1, 7, v9
	v_lshrrev_b32_e32 v48, 3, v49
	s_mov_b32 s43, exec_lo
	v_cmpx_gt_u32_e32 8, v49
; %bb.149:                              ;   in Loop: Header=BB257_12 Depth=1
	v_ffbh_u32_e32 v1, v1
	v_min_u32_e32 v1, 32, v1
	v_subrev_nc_u32_e32 v12, 28, v1
	v_sub_nc_u32_e32 v48, 29, v1
	v_lshlrev_b64 v[49:50], v12, v[9:10]
	v_and_b32_e32 v1, 7, v49
; %bb.150:                              ;   in Loop: Header=BB257_12 Depth=1
	s_or_b32 exec_lo, exec_lo, s43
	v_lshlrev_b32_e32 v12, 8, v9
	v_lshl_add_u32 v13, v48, 10, 0x2000
	v_lshlrev_b32_e32 v1, 7, v1
	v_and_b32_e32 v12, 0x8000, v12
	v_and_b32_e32 v13, 0xfc00, v13
	v_or3_b32 v48, v12, v13, v1
.LBB257_151:                            ;   in Loop: Header=BB257_12 Depth=1
	s_or_b32 exec_lo, exec_lo, s42
.LBB257_152:                            ;   in Loop: Header=BB257_12 Depth=1
	s_or_b32 exec_lo, exec_lo, s41
.LBB257_153:                            ;   in Loop: Header=BB257_12 Depth=1
	s_or_b32 exec_lo, exec_lo, s40
	v_lshrrev_b16 v1, 8, v9
	s_mov_b32 s40, exec_lo
	v_cmpx_ne_u16_e32 0, v1
	s_cbranch_execz .LBB257_161
; %bb.154:                              ;   in Loop: Header=BB257_12 Depth=1
	v_bfrev_b32_e32 v47, 1
	s_mov_b32 s41, exec_lo
	v_cmpx_ne_u16_e32 0x80, v1
	s_cbranch_execz .LBB257_160
; %bb.155:                              ;   in Loop: Header=BB257_12 Depth=1
	v_and_b32_sdwa v50, v1, v23 dst_sel:DWORD dst_unused:UNUSED_PAD src0_sel:WORD_0 src1_sel:DWORD
	v_mov_b32_e32 v47, 0x7c010000
	s_mov_b32 s42, exec_lo
	v_cmpx_ne_u32_e32 0x7f, v50
	s_cbranch_execz .LBB257_159
; %bb.156:                              ;   in Loop: Header=BB257_12 Depth=1
	v_and_b32_sdwa v47, v1, v24 dst_sel:DWORD dst_unused:UNUSED_PAD src0_sel:WORD_0 src1_sel:DWORD
	v_lshrrev_b32_e32 v49, 3, v50
	s_mov_b32 s43, exec_lo
	v_cmpx_gt_u32_e32 8, v50
; %bb.157:                              ;   in Loop: Header=BB257_12 Depth=1
	v_ffbh_u32_e32 v12, v47
	v_min_u32_e32 v12, 32, v12
	v_subrev_nc_u32_e32 v13, 28, v12
	v_sub_nc_u32_e32 v49, 29, v12
	v_lshlrev_b64 v[50:51], v13, v[1:2]
	v_and_b32_e32 v47, 7, v50
; %bb.158:                              ;   in Loop: Header=BB257_12 Depth=1
	s_or_b32 exec_lo, exec_lo, s43
	v_lshlrev_b32_sdwa v1, v25, v1 dst_sel:DWORD dst_unused:UNUSED_PAD src0_sel:DWORD src1_sel:WORD_0
	v_lshl_add_u32 v12, v49, 10, 0x2000
	v_and_or_b32 v1, 0x8000, v1, v12
	v_lshlrev_b32_e32 v12, 23, v47
	v_lshl_or_b32 v47, v1, 16, v12
.LBB257_159:                            ;   in Loop: Header=BB257_12 Depth=1
	s_or_b32 exec_lo, exec_lo, s42
.LBB257_160:                            ;   in Loop: Header=BB257_12 Depth=1
	s_or_b32 exec_lo, exec_lo, s41
.LBB257_161:                            ;   in Loop: Header=BB257_12 Depth=1
	s_or_b32 exec_lo, exec_lo, s40
	v_lshrrev_b32_e32 v1, 16, v9
	v_mov_b32_e32 v49, 0
	v_mov_b32_e32 v50, 0
	v_cmp_ne_u16_sdwa s2, v1, v2 src0_sel:BYTE_0 src1_sel:DWORD
	s_and_saveexec_b32 s40, s2
	s_cbranch_execz .LBB257_169
; %bb.162:                              ;   in Loop: Header=BB257_12 Depth=1
	v_cmp_ne_u16_sdwa s2, v1, v22 src0_sel:BYTE_0 src1_sel:DWORD
	v_mov_b32_e32 v50, 0x8000
	s_and_saveexec_b32 s41, s2
	s_cbranch_execz .LBB257_168
; %bb.163:                              ;   in Loop: Header=BB257_12 Depth=1
	v_bfe_u32 v52, v9, 16, 7
	v_mov_b32_e32 v50, 0x7c01
	s_mov_b32 s42, exec_lo
	v_cmpx_ne_u32_e32 0x7f, v52
	s_cbranch_execz .LBB257_167
; %bb.164:                              ;   in Loop: Header=BB257_12 Depth=1
	v_and_b32_e32 v50, 7, v1
	v_lshrrev_b32_e32 v51, 3, v52
	s_mov_b32 s43, exec_lo
	v_cmpx_gt_u32_e32 8, v52
; %bb.165:                              ;   in Loop: Header=BB257_12 Depth=1
	v_ffbh_u32_e32 v12, v50
	v_min_u32_e32 v12, 32, v12
	v_subrev_nc_u32_e32 v13, 28, v12
	v_lshlrev_b64 v[50:51], v13, v[1:2]
	v_sub_nc_u32_e32 v51, 29, v12
	v_and_b32_e32 v50, 7, v50
; %bb.166:                              ;   in Loop: Header=BB257_12 Depth=1
	s_or_b32 exec_lo, exec_lo, s43
	v_lshlrev_b32_e32 v1, 8, v1
	v_lshl_add_u32 v12, v51, 10, 0x2000
	v_lshlrev_b32_e32 v13, 7, v50
	v_and_b32_e32 v1, 0x8000, v1
	v_and_b32_e32 v12, 0xfc00, v12
	v_or3_b32 v50, v1, v12, v13
.LBB257_167:                            ;   in Loop: Header=BB257_12 Depth=1
	s_or_b32 exec_lo, exec_lo, s42
.LBB257_168:                            ;   in Loop: Header=BB257_12 Depth=1
	s_or_b32 exec_lo, exec_lo, s41
.LBB257_169:                            ;   in Loop: Header=BB257_12 Depth=1
	s_or_b32 exec_lo, exec_lo, s40
	s_mov_b32 s40, exec_lo
	v_cmpx_lt_u32_e32 0xffffff, v9
	s_cbranch_execz .LBB257_177
; %bb.170:                              ;   in Loop: Header=BB257_12 Depth=1
	v_lshrrev_b32_e32 v1, 24, v9
	v_bfrev_b32_e32 v49, 1
	s_mov_b32 s41, exec_lo
	v_cmpx_ne_u32_e32 0x80, v1
	s_cbranch_execz .LBB257_176
; %bb.171:                              ;   in Loop: Header=BB257_12 Depth=1
	v_and_b32_e32 v51, 0x7f, v1
	v_mov_b32_e32 v49, 0x7c010000
	s_mov_b32 s42, exec_lo
	v_cmpx_ne_u32_e32 0x7f, v51
	s_cbranch_execz .LBB257_175
; %bb.172:                              ;   in Loop: Header=BB257_12 Depth=1
	v_and_b32_e32 v9, 7, v1
	v_lshrrev_b32_e32 v49, 3, v51
	s_mov_b32 s43, exec_lo
	v_cmpx_gt_u32_e32 8, v51
; %bb.173:                              ;   in Loop: Header=BB257_12 Depth=1
	v_ffbh_u32_e32 v9, v9
	v_min_u32_e32 v9, 32, v9
	v_subrev_nc_u32_e32 v12, 28, v9
	v_sub_nc_u32_e32 v49, 29, v9
	v_lshlrev_b64 v[51:52], v12, v[1:2]
	v_and_b32_e32 v9, 7, v51
; %bb.174:                              ;   in Loop: Header=BB257_12 Depth=1
	s_or_b32 exec_lo, exec_lo, s43
	v_lshlrev_b32_e32 v1, 8, v1
	v_lshl_add_u32 v12, v49, 10, 0x2000
	v_lshlrev_b32_e32 v9, 23, v9
	v_and_or_b32 v1, 0x8000, v1, v12
	v_lshl_or_b32 v49, v1, 16, v9
.LBB257_175:                            ;   in Loop: Header=BB257_12 Depth=1
	s_or_b32 exec_lo, exec_lo, s42
.LBB257_176:                            ;   in Loop: Header=BB257_12 Depth=1
	s_or_b32 exec_lo, exec_lo, s41
.LBB257_177:                            ;   in Loop: Header=BB257_12 Depth=1
	s_or_b32 exec_lo, exec_lo, s40
	global_load_dword v9, v[7:8], off offset:520
	v_mov_b32_e32 v51, 0
	v_mov_b32_e32 v52, 0
	s_waitcnt vmcnt(0)
	v_cmp_ne_u16_sdwa s2, v9, v2 src0_sel:BYTE_0 src1_sel:DWORD
	s_and_saveexec_b32 s40, s2
	s_cbranch_execz .LBB257_185
; %bb.178:                              ;   in Loop: Header=BB257_12 Depth=1
	v_cmp_ne_u16_sdwa s2, v9, v22 src0_sel:BYTE_0 src1_sel:DWORD
	v_mov_b32_e32 v52, 0x8000
	s_and_saveexec_b32 s41, s2
	s_cbranch_execz .LBB257_184
; %bb.179:                              ;   in Loop: Header=BB257_12 Depth=1
	v_and_b32_e32 v53, 0x7f, v9
	v_mov_b32_e32 v52, 0x7c01
	s_mov_b32 s42, exec_lo
	v_cmpx_ne_u32_e32 0x7f, v53
	s_cbranch_execz .LBB257_183
; %bb.180:                              ;   in Loop: Header=BB257_12 Depth=1
	v_and_b32_e32 v1, 7, v9
	v_lshrrev_b32_e32 v52, 3, v53
	s_mov_b32 s43, exec_lo
	v_cmpx_gt_u32_e32 8, v53
; %bb.181:                              ;   in Loop: Header=BB257_12 Depth=1
	v_ffbh_u32_e32 v1, v1
	v_min_u32_e32 v1, 32, v1
	v_subrev_nc_u32_e32 v12, 28, v1
	v_sub_nc_u32_e32 v52, 29, v1
	v_lshlrev_b64 v[53:54], v12, v[9:10]
	v_and_b32_e32 v1, 7, v53
; %bb.182:                              ;   in Loop: Header=BB257_12 Depth=1
	s_or_b32 exec_lo, exec_lo, s43
	v_lshlrev_b32_e32 v12, 8, v9
	v_lshl_add_u32 v13, v52, 10, 0x2000
	v_lshlrev_b32_e32 v1, 7, v1
	v_and_b32_e32 v12, 0x8000, v12
	v_and_b32_e32 v13, 0xfc00, v13
	v_or3_b32 v52, v12, v13, v1
.LBB257_183:                            ;   in Loop: Header=BB257_12 Depth=1
	s_or_b32 exec_lo, exec_lo, s42
.LBB257_184:                            ;   in Loop: Header=BB257_12 Depth=1
	s_or_b32 exec_lo, exec_lo, s41
.LBB257_185:                            ;   in Loop: Header=BB257_12 Depth=1
	s_or_b32 exec_lo, exec_lo, s40
	v_lshrrev_b16 v1, 8, v9
	s_mov_b32 s40, exec_lo
	v_cmpx_ne_u16_e32 0, v1
	s_cbranch_execz .LBB257_193
; %bb.186:                              ;   in Loop: Header=BB257_12 Depth=1
	v_bfrev_b32_e32 v51, 1
	s_mov_b32 s41, exec_lo
	v_cmpx_ne_u16_e32 0x80, v1
	s_cbranch_execz .LBB257_192
; %bb.187:                              ;   in Loop: Header=BB257_12 Depth=1
	v_and_b32_sdwa v54, v1, v23 dst_sel:DWORD dst_unused:UNUSED_PAD src0_sel:WORD_0 src1_sel:DWORD
	v_mov_b32_e32 v51, 0x7c010000
	s_mov_b32 s42, exec_lo
	v_cmpx_ne_u32_e32 0x7f, v54
	s_cbranch_execz .LBB257_191
; %bb.188:                              ;   in Loop: Header=BB257_12 Depth=1
	v_and_b32_sdwa v51, v1, v24 dst_sel:DWORD dst_unused:UNUSED_PAD src0_sel:WORD_0 src1_sel:DWORD
	v_lshrrev_b32_e32 v53, 3, v54
	s_mov_b32 s43, exec_lo
	v_cmpx_gt_u32_e32 8, v54
; %bb.189:                              ;   in Loop: Header=BB257_12 Depth=1
	v_ffbh_u32_e32 v12, v51
	v_min_u32_e32 v12, 32, v12
	v_subrev_nc_u32_e32 v13, 28, v12
	v_sub_nc_u32_e32 v53, 29, v12
	v_lshlrev_b64 v[54:55], v13, v[1:2]
	v_and_b32_e32 v51, 7, v54
; %bb.190:                              ;   in Loop: Header=BB257_12 Depth=1
	s_or_b32 exec_lo, exec_lo, s43
	v_lshlrev_b32_sdwa v1, v25, v1 dst_sel:DWORD dst_unused:UNUSED_PAD src0_sel:DWORD src1_sel:WORD_0
	v_lshl_add_u32 v12, v53, 10, 0x2000
	v_and_or_b32 v1, 0x8000, v1, v12
	v_lshlrev_b32_e32 v12, 23, v51
	v_lshl_or_b32 v51, v1, 16, v12
.LBB257_191:                            ;   in Loop: Header=BB257_12 Depth=1
	s_or_b32 exec_lo, exec_lo, s42
.LBB257_192:                            ;   in Loop: Header=BB257_12 Depth=1
	s_or_b32 exec_lo, exec_lo, s41
.LBB257_193:                            ;   in Loop: Header=BB257_12 Depth=1
	s_or_b32 exec_lo, exec_lo, s40
	v_lshrrev_b32_e32 v1, 16, v9
	v_mov_b32_e32 v53, 0
	v_mov_b32_e32 v54, 0
	v_cmp_ne_u16_sdwa s2, v1, v2 src0_sel:BYTE_0 src1_sel:DWORD
	s_and_saveexec_b32 s40, s2
	s_cbranch_execz .LBB257_201
; %bb.194:                              ;   in Loop: Header=BB257_12 Depth=1
	v_cmp_ne_u16_sdwa s2, v1, v22 src0_sel:BYTE_0 src1_sel:DWORD
	v_mov_b32_e32 v54, 0x8000
	s_and_saveexec_b32 s41, s2
	s_cbranch_execz .LBB257_200
; %bb.195:                              ;   in Loop: Header=BB257_12 Depth=1
	v_bfe_u32 v56, v9, 16, 7
	v_mov_b32_e32 v54, 0x7c01
	s_mov_b32 s42, exec_lo
	v_cmpx_ne_u32_e32 0x7f, v56
	s_cbranch_execz .LBB257_199
; %bb.196:                              ;   in Loop: Header=BB257_12 Depth=1
	v_and_b32_e32 v54, 7, v1
	v_lshrrev_b32_e32 v55, 3, v56
	s_mov_b32 s43, exec_lo
	v_cmpx_gt_u32_e32 8, v56
; %bb.197:                              ;   in Loop: Header=BB257_12 Depth=1
	v_ffbh_u32_e32 v12, v54
	v_min_u32_e32 v12, 32, v12
	v_subrev_nc_u32_e32 v13, 28, v12
	v_lshlrev_b64 v[54:55], v13, v[1:2]
	v_sub_nc_u32_e32 v55, 29, v12
	v_and_b32_e32 v54, 7, v54
; %bb.198:                              ;   in Loop: Header=BB257_12 Depth=1
	s_or_b32 exec_lo, exec_lo, s43
	v_lshlrev_b32_e32 v1, 8, v1
	v_lshl_add_u32 v12, v55, 10, 0x2000
	v_lshlrev_b32_e32 v13, 7, v54
	v_and_b32_e32 v1, 0x8000, v1
	v_and_b32_e32 v12, 0xfc00, v12
	v_or3_b32 v54, v1, v12, v13
.LBB257_199:                            ;   in Loop: Header=BB257_12 Depth=1
	s_or_b32 exec_lo, exec_lo, s42
.LBB257_200:                            ;   in Loop: Header=BB257_12 Depth=1
	s_or_b32 exec_lo, exec_lo, s41
.LBB257_201:                            ;   in Loop: Header=BB257_12 Depth=1
	s_or_b32 exec_lo, exec_lo, s40
	s_mov_b32 s40, exec_lo
	v_cmpx_lt_u32_e32 0xffffff, v9
	s_cbranch_execz .LBB257_209
; %bb.202:                              ;   in Loop: Header=BB257_12 Depth=1
	v_lshrrev_b32_e32 v1, 24, v9
	v_bfrev_b32_e32 v53, 1
	s_mov_b32 s41, exec_lo
	v_cmpx_ne_u32_e32 0x80, v1
	s_cbranch_execz .LBB257_208
; %bb.203:                              ;   in Loop: Header=BB257_12 Depth=1
	v_and_b32_e32 v55, 0x7f, v1
	v_mov_b32_e32 v53, 0x7c010000
	s_mov_b32 s42, exec_lo
	v_cmpx_ne_u32_e32 0x7f, v55
	s_cbranch_execz .LBB257_207
; %bb.204:                              ;   in Loop: Header=BB257_12 Depth=1
	v_and_b32_e32 v9, 7, v1
	v_lshrrev_b32_e32 v53, 3, v55
	s_mov_b32 s43, exec_lo
	v_cmpx_gt_u32_e32 8, v55
; %bb.205:                              ;   in Loop: Header=BB257_12 Depth=1
	v_ffbh_u32_e32 v9, v9
	v_min_u32_e32 v9, 32, v9
	v_subrev_nc_u32_e32 v12, 28, v9
	v_sub_nc_u32_e32 v53, 29, v9
	v_lshlrev_b64 v[55:56], v12, v[1:2]
	v_and_b32_e32 v9, 7, v55
; %bb.206:                              ;   in Loop: Header=BB257_12 Depth=1
	s_or_b32 exec_lo, exec_lo, s43
	v_lshlrev_b32_e32 v1, 8, v1
	v_lshl_add_u32 v12, v53, 10, 0x2000
	v_lshlrev_b32_e32 v9, 23, v9
	v_and_or_b32 v1, 0x8000, v1, v12
	v_lshl_or_b32 v53, v1, 16, v9
.LBB257_207:                            ;   in Loop: Header=BB257_12 Depth=1
	s_or_b32 exec_lo, exec_lo, s42
.LBB257_208:                            ;   in Loop: Header=BB257_12 Depth=1
	s_or_b32 exec_lo, exec_lo, s41
.LBB257_209:                            ;   in Loop: Header=BB257_12 Depth=1
	s_or_b32 exec_lo, exec_lo, s40
	global_load_dword v9, v[7:8], off offset:768
	v_mov_b32_e32 v55, 0
	v_mov_b32_e32 v56, 0
	s_waitcnt vmcnt(0)
	v_cmp_ne_u16_sdwa s2, v9, v2 src0_sel:BYTE_0 src1_sel:DWORD
	s_and_saveexec_b32 s40, s2
	s_cbranch_execz .LBB257_217
; %bb.210:                              ;   in Loop: Header=BB257_12 Depth=1
	v_cmp_ne_u16_sdwa s2, v9, v22 src0_sel:BYTE_0 src1_sel:DWORD
	v_mov_b32_e32 v56, 0x8000
	s_and_saveexec_b32 s41, s2
	s_cbranch_execz .LBB257_216
; %bb.211:                              ;   in Loop: Header=BB257_12 Depth=1
	v_and_b32_e32 v57, 0x7f, v9
	v_mov_b32_e32 v56, 0x7c01
	s_mov_b32 s42, exec_lo
	v_cmpx_ne_u32_e32 0x7f, v57
	s_cbranch_execz .LBB257_215
; %bb.212:                              ;   in Loop: Header=BB257_12 Depth=1
	v_and_b32_e32 v1, 7, v9
	v_lshrrev_b32_e32 v56, 3, v57
	s_mov_b32 s43, exec_lo
	v_cmpx_gt_u32_e32 8, v57
; %bb.213:                              ;   in Loop: Header=BB257_12 Depth=1
	v_ffbh_u32_e32 v1, v1
	v_min_u32_e32 v1, 32, v1
	v_subrev_nc_u32_e32 v12, 28, v1
	v_sub_nc_u32_e32 v56, 29, v1
	v_lshlrev_b64 v[57:58], v12, v[9:10]
	v_and_b32_e32 v1, 7, v57
; %bb.214:                              ;   in Loop: Header=BB257_12 Depth=1
	s_or_b32 exec_lo, exec_lo, s43
	v_lshlrev_b32_e32 v12, 8, v9
	v_lshl_add_u32 v13, v56, 10, 0x2000
	v_lshlrev_b32_e32 v1, 7, v1
	v_and_b32_e32 v12, 0x8000, v12
	v_and_b32_e32 v13, 0xfc00, v13
	v_or3_b32 v56, v12, v13, v1
.LBB257_215:                            ;   in Loop: Header=BB257_12 Depth=1
	s_or_b32 exec_lo, exec_lo, s42
.LBB257_216:                            ;   in Loop: Header=BB257_12 Depth=1
	s_or_b32 exec_lo, exec_lo, s41
.LBB257_217:                            ;   in Loop: Header=BB257_12 Depth=1
	s_or_b32 exec_lo, exec_lo, s40
	v_lshrrev_b16 v1, 8, v9
	s_mov_b32 s40, exec_lo
	v_cmpx_ne_u16_e32 0, v1
	s_cbranch_execz .LBB257_225
; %bb.218:                              ;   in Loop: Header=BB257_12 Depth=1
	v_bfrev_b32_e32 v55, 1
	s_mov_b32 s41, exec_lo
	v_cmpx_ne_u16_e32 0x80, v1
	s_cbranch_execz .LBB257_224
; %bb.219:                              ;   in Loop: Header=BB257_12 Depth=1
	v_and_b32_sdwa v58, v1, v23 dst_sel:DWORD dst_unused:UNUSED_PAD src0_sel:WORD_0 src1_sel:DWORD
	v_mov_b32_e32 v55, 0x7c010000
	s_mov_b32 s42, exec_lo
	v_cmpx_ne_u32_e32 0x7f, v58
	s_cbranch_execz .LBB257_223
; %bb.220:                              ;   in Loop: Header=BB257_12 Depth=1
	v_and_b32_sdwa v55, v1, v24 dst_sel:DWORD dst_unused:UNUSED_PAD src0_sel:WORD_0 src1_sel:DWORD
	v_lshrrev_b32_e32 v57, 3, v58
	s_mov_b32 s43, exec_lo
	v_cmpx_gt_u32_e32 8, v58
; %bb.221:                              ;   in Loop: Header=BB257_12 Depth=1
	v_ffbh_u32_e32 v12, v55
	v_min_u32_e32 v12, 32, v12
	v_subrev_nc_u32_e32 v13, 28, v12
	v_sub_nc_u32_e32 v57, 29, v12
	v_lshlrev_b64 v[58:59], v13, v[1:2]
	v_and_b32_e32 v55, 7, v58
; %bb.222:                              ;   in Loop: Header=BB257_12 Depth=1
	s_or_b32 exec_lo, exec_lo, s43
	v_lshlrev_b32_sdwa v1, v25, v1 dst_sel:DWORD dst_unused:UNUSED_PAD src0_sel:DWORD src1_sel:WORD_0
	v_lshl_add_u32 v12, v57, 10, 0x2000
	v_and_or_b32 v1, 0x8000, v1, v12
	v_lshlrev_b32_e32 v12, 23, v55
	v_lshl_or_b32 v55, v1, 16, v12
.LBB257_223:                            ;   in Loop: Header=BB257_12 Depth=1
	s_or_b32 exec_lo, exec_lo, s42
.LBB257_224:                            ;   in Loop: Header=BB257_12 Depth=1
	s_or_b32 exec_lo, exec_lo, s41
.LBB257_225:                            ;   in Loop: Header=BB257_12 Depth=1
	s_or_b32 exec_lo, exec_lo, s40
	v_lshrrev_b32_e32 v1, 16, v9
	v_mov_b32_e32 v57, 0
	v_mov_b32_e32 v58, 0
	v_cmp_ne_u16_sdwa s2, v1, v2 src0_sel:BYTE_0 src1_sel:DWORD
	s_and_saveexec_b32 s40, s2
	s_cbranch_execz .LBB257_233
; %bb.226:                              ;   in Loop: Header=BB257_12 Depth=1
	v_cmp_ne_u16_sdwa s2, v1, v22 src0_sel:BYTE_0 src1_sel:DWORD
	v_mov_b32_e32 v58, 0x8000
	s_and_saveexec_b32 s41, s2
	s_cbranch_execz .LBB257_232
; %bb.227:                              ;   in Loop: Header=BB257_12 Depth=1
	v_bfe_u32 v60, v9, 16, 7
	v_mov_b32_e32 v58, 0x7c01
	s_mov_b32 s42, exec_lo
	v_cmpx_ne_u32_e32 0x7f, v60
	s_cbranch_execz .LBB257_231
; %bb.228:                              ;   in Loop: Header=BB257_12 Depth=1
	v_and_b32_e32 v58, 7, v1
	v_lshrrev_b32_e32 v59, 3, v60
	s_mov_b32 s43, exec_lo
	v_cmpx_gt_u32_e32 8, v60
; %bb.229:                              ;   in Loop: Header=BB257_12 Depth=1
	v_ffbh_u32_e32 v12, v58
	v_min_u32_e32 v12, 32, v12
	v_subrev_nc_u32_e32 v13, 28, v12
	v_lshlrev_b64 v[58:59], v13, v[1:2]
	v_sub_nc_u32_e32 v59, 29, v12
	v_and_b32_e32 v58, 7, v58
; %bb.230:                              ;   in Loop: Header=BB257_12 Depth=1
	s_or_b32 exec_lo, exec_lo, s43
	v_lshlrev_b32_e32 v1, 8, v1
	v_lshl_add_u32 v12, v59, 10, 0x2000
	v_lshlrev_b32_e32 v13, 7, v58
	v_and_b32_e32 v1, 0x8000, v1
	v_and_b32_e32 v12, 0xfc00, v12
	v_or3_b32 v58, v1, v12, v13
.LBB257_231:                            ;   in Loop: Header=BB257_12 Depth=1
	s_or_b32 exec_lo, exec_lo, s42
.LBB257_232:                            ;   in Loop: Header=BB257_12 Depth=1
	s_or_b32 exec_lo, exec_lo, s41
.LBB257_233:                            ;   in Loop: Header=BB257_12 Depth=1
	s_or_b32 exec_lo, exec_lo, s40
	s_mov_b32 s40, exec_lo
	v_cmpx_lt_u32_e32 0xffffff, v9
	s_cbranch_execz .LBB257_241
; %bb.234:                              ;   in Loop: Header=BB257_12 Depth=1
	v_lshrrev_b32_e32 v1, 24, v9
	v_bfrev_b32_e32 v57, 1
	s_mov_b32 s41, exec_lo
	v_cmpx_ne_u32_e32 0x80, v1
	s_cbranch_execz .LBB257_240
; %bb.235:                              ;   in Loop: Header=BB257_12 Depth=1
	v_and_b32_e32 v59, 0x7f, v1
	v_mov_b32_e32 v57, 0x7c010000
	s_mov_b32 s42, exec_lo
	v_cmpx_ne_u32_e32 0x7f, v59
	s_cbranch_execz .LBB257_239
; %bb.236:                              ;   in Loop: Header=BB257_12 Depth=1
	v_and_b32_e32 v9, 7, v1
	v_lshrrev_b32_e32 v57, 3, v59
	s_mov_b32 s43, exec_lo
	v_cmpx_gt_u32_e32 8, v59
; %bb.237:                              ;   in Loop: Header=BB257_12 Depth=1
	v_ffbh_u32_e32 v9, v9
	v_min_u32_e32 v9, 32, v9
	v_subrev_nc_u32_e32 v12, 28, v9
	v_sub_nc_u32_e32 v57, 29, v9
	v_lshlrev_b64 v[59:60], v12, v[1:2]
	v_and_b32_e32 v9, 7, v59
; %bb.238:                              ;   in Loop: Header=BB257_12 Depth=1
	s_or_b32 exec_lo, exec_lo, s43
	v_lshlrev_b32_e32 v1, 8, v1
	v_lshl_add_u32 v12, v57, 10, 0x2000
	v_lshlrev_b32_e32 v9, 23, v9
	v_and_or_b32 v1, 0x8000, v1, v12
	v_lshl_or_b32 v57, v1, 16, v9
.LBB257_239:                            ;   in Loop: Header=BB257_12 Depth=1
	s_or_b32 exec_lo, exec_lo, s42
.LBB257_240:                            ;   in Loop: Header=BB257_12 Depth=1
	s_or_b32 exec_lo, exec_lo, s41
.LBB257_241:                            ;   in Loop: Header=BB257_12 Depth=1
	s_or_b32 exec_lo, exec_lo, s40
	global_load_dword v9, v[7:8], off offset:776
	v_mov_b32_e32 v59, 0
	v_mov_b32_e32 v60, 0
	s_waitcnt vmcnt(0)
	v_cmp_ne_u16_sdwa s2, v9, v2 src0_sel:BYTE_0 src1_sel:DWORD
	s_and_saveexec_b32 s40, s2
	s_cbranch_execz .LBB257_249
; %bb.242:                              ;   in Loop: Header=BB257_12 Depth=1
	v_cmp_ne_u16_sdwa s2, v9, v22 src0_sel:BYTE_0 src1_sel:DWORD
	v_mov_b32_e32 v60, 0x8000
	s_and_saveexec_b32 s41, s2
	s_cbranch_execz .LBB257_248
; %bb.243:                              ;   in Loop: Header=BB257_12 Depth=1
	v_and_b32_e32 v61, 0x7f, v9
	v_mov_b32_e32 v60, 0x7c01
	s_mov_b32 s42, exec_lo
	v_cmpx_ne_u32_e32 0x7f, v61
	s_cbranch_execz .LBB257_247
; %bb.244:                              ;   in Loop: Header=BB257_12 Depth=1
	v_and_b32_e32 v1, 7, v9
	v_lshrrev_b32_e32 v60, 3, v61
	s_mov_b32 s43, exec_lo
	v_cmpx_gt_u32_e32 8, v61
; %bb.245:                              ;   in Loop: Header=BB257_12 Depth=1
	v_ffbh_u32_e32 v1, v1
	v_min_u32_e32 v1, 32, v1
	v_subrev_nc_u32_e32 v12, 28, v1
	v_sub_nc_u32_e32 v60, 29, v1
	v_lshlrev_b64 v[61:62], v12, v[9:10]
	v_and_b32_e32 v1, 7, v61
; %bb.246:                              ;   in Loop: Header=BB257_12 Depth=1
	s_or_b32 exec_lo, exec_lo, s43
	v_lshlrev_b32_e32 v12, 8, v9
	v_lshl_add_u32 v13, v60, 10, 0x2000
	v_lshlrev_b32_e32 v1, 7, v1
	v_and_b32_e32 v12, 0x8000, v12
	v_and_b32_e32 v13, 0xfc00, v13
	v_or3_b32 v60, v12, v13, v1
.LBB257_247:                            ;   in Loop: Header=BB257_12 Depth=1
	s_or_b32 exec_lo, exec_lo, s42
.LBB257_248:                            ;   in Loop: Header=BB257_12 Depth=1
	s_or_b32 exec_lo, exec_lo, s41
.LBB257_249:                            ;   in Loop: Header=BB257_12 Depth=1
	s_or_b32 exec_lo, exec_lo, s40
	v_lshrrev_b16 v1, 8, v9
	s_mov_b32 s40, exec_lo
	v_cmpx_ne_u16_e32 0, v1
	s_cbranch_execz .LBB257_257
; %bb.250:                              ;   in Loop: Header=BB257_12 Depth=1
	v_bfrev_b32_e32 v59, 1
	s_mov_b32 s41, exec_lo
	v_cmpx_ne_u16_e32 0x80, v1
	s_cbranch_execz .LBB257_256
; %bb.251:                              ;   in Loop: Header=BB257_12 Depth=1
	v_and_b32_sdwa v62, v1, v23 dst_sel:DWORD dst_unused:UNUSED_PAD src0_sel:WORD_0 src1_sel:DWORD
	v_mov_b32_e32 v59, 0x7c010000
	s_mov_b32 s42, exec_lo
	v_cmpx_ne_u32_e32 0x7f, v62
	s_cbranch_execz .LBB257_255
; %bb.252:                              ;   in Loop: Header=BB257_12 Depth=1
	v_and_b32_sdwa v59, v1, v24 dst_sel:DWORD dst_unused:UNUSED_PAD src0_sel:WORD_0 src1_sel:DWORD
	v_lshrrev_b32_e32 v61, 3, v62
	s_mov_b32 s43, exec_lo
	v_cmpx_gt_u32_e32 8, v62
; %bb.253:                              ;   in Loop: Header=BB257_12 Depth=1
	v_ffbh_u32_e32 v12, v59
	v_min_u32_e32 v12, 32, v12
	v_subrev_nc_u32_e32 v13, 28, v12
	v_sub_nc_u32_e32 v61, 29, v12
	v_lshlrev_b64 v[62:63], v13, v[1:2]
	v_and_b32_e32 v59, 7, v62
; %bb.254:                              ;   in Loop: Header=BB257_12 Depth=1
	s_or_b32 exec_lo, exec_lo, s43
	v_lshlrev_b32_sdwa v1, v25, v1 dst_sel:DWORD dst_unused:UNUSED_PAD src0_sel:DWORD src1_sel:WORD_0
	v_lshl_add_u32 v12, v61, 10, 0x2000
	v_and_or_b32 v1, 0x8000, v1, v12
	v_lshlrev_b32_e32 v12, 23, v59
	v_lshl_or_b32 v59, v1, 16, v12
.LBB257_255:                            ;   in Loop: Header=BB257_12 Depth=1
	s_or_b32 exec_lo, exec_lo, s42
.LBB257_256:                            ;   in Loop: Header=BB257_12 Depth=1
	s_or_b32 exec_lo, exec_lo, s41
.LBB257_257:                            ;   in Loop: Header=BB257_12 Depth=1
	s_or_b32 exec_lo, exec_lo, s40
	v_lshrrev_b32_e32 v1, 16, v9
	v_mov_b32_e32 v61, 0
	v_mov_b32_e32 v62, 0
	v_cmp_ne_u16_sdwa s2, v1, v2 src0_sel:BYTE_0 src1_sel:DWORD
	s_and_saveexec_b32 s40, s2
	s_cbranch_execz .LBB257_265
; %bb.258:                              ;   in Loop: Header=BB257_12 Depth=1
	v_cmp_ne_u16_sdwa s2, v1, v22 src0_sel:BYTE_0 src1_sel:DWORD
	v_mov_b32_e32 v62, 0x8000
	s_and_saveexec_b32 s41, s2
	s_cbranch_execz .LBB257_264
; %bb.259:                              ;   in Loop: Header=BB257_12 Depth=1
	v_bfe_u32 v64, v9, 16, 7
	v_mov_b32_e32 v62, 0x7c01
	s_mov_b32 s42, exec_lo
	v_cmpx_ne_u32_e32 0x7f, v64
	s_cbranch_execz .LBB257_263
; %bb.260:                              ;   in Loop: Header=BB257_12 Depth=1
	v_and_b32_e32 v62, 7, v1
	v_lshrrev_b32_e32 v63, 3, v64
	s_mov_b32 s43, exec_lo
	v_cmpx_gt_u32_e32 8, v64
; %bb.261:                              ;   in Loop: Header=BB257_12 Depth=1
	v_ffbh_u32_e32 v12, v62
	v_min_u32_e32 v12, 32, v12
	v_subrev_nc_u32_e32 v13, 28, v12
	v_lshlrev_b64 v[62:63], v13, v[1:2]
	v_sub_nc_u32_e32 v63, 29, v12
	v_and_b32_e32 v62, 7, v62
; %bb.262:                              ;   in Loop: Header=BB257_12 Depth=1
	s_or_b32 exec_lo, exec_lo, s43
	v_lshlrev_b32_e32 v1, 8, v1
	v_lshl_add_u32 v12, v63, 10, 0x2000
	v_lshlrev_b32_e32 v13, 7, v62
	v_and_b32_e32 v1, 0x8000, v1
	v_and_b32_e32 v12, 0xfc00, v12
	v_or3_b32 v62, v1, v12, v13
.LBB257_263:                            ;   in Loop: Header=BB257_12 Depth=1
	s_or_b32 exec_lo, exec_lo, s42
.LBB257_264:                            ;   in Loop: Header=BB257_12 Depth=1
	s_or_b32 exec_lo, exec_lo, s41
.LBB257_265:                            ;   in Loop: Header=BB257_12 Depth=1
	s_or_b32 exec_lo, exec_lo, s40
	s_mov_b32 s40, exec_lo
	v_cmpx_lt_u32_e32 0xffffff, v9
	s_cbranch_execz .LBB257_273
; %bb.266:                              ;   in Loop: Header=BB257_12 Depth=1
	v_lshrrev_b32_e32 v1, 24, v9
	v_bfrev_b32_e32 v61, 1
	s_mov_b32 s41, exec_lo
	v_cmpx_ne_u32_e32 0x80, v1
	s_cbranch_execz .LBB257_272
; %bb.267:                              ;   in Loop: Header=BB257_12 Depth=1
	v_and_b32_e32 v63, 0x7f, v1
	v_mov_b32_e32 v61, 0x7c010000
	s_mov_b32 s42, exec_lo
	v_cmpx_ne_u32_e32 0x7f, v63
	s_cbranch_execz .LBB257_271
; %bb.268:                              ;   in Loop: Header=BB257_12 Depth=1
	v_and_b32_e32 v9, 7, v1
	v_lshrrev_b32_e32 v61, 3, v63
	s_mov_b32 s43, exec_lo
	v_cmpx_gt_u32_e32 8, v63
; %bb.269:                              ;   in Loop: Header=BB257_12 Depth=1
	v_ffbh_u32_e32 v9, v9
	v_min_u32_e32 v9, 32, v9
	v_subrev_nc_u32_e32 v12, 28, v9
	v_sub_nc_u32_e32 v61, 29, v9
	v_lshlrev_b64 v[63:64], v12, v[1:2]
	v_and_b32_e32 v9, 7, v63
; %bb.270:                              ;   in Loop: Header=BB257_12 Depth=1
	s_or_b32 exec_lo, exec_lo, s43
	v_lshlrev_b32_e32 v1, 8, v1
	v_lshl_add_u32 v12, v61, 10, 0x2000
	v_lshlrev_b32_e32 v9, 23, v9
	v_and_or_b32 v1, 0x8000, v1, v12
	v_lshl_or_b32 v61, v1, 16, v9
.LBB257_271:                            ;   in Loop: Header=BB257_12 Depth=1
	s_or_b32 exec_lo, exec_lo, s42
.LBB257_272:                            ;   in Loop: Header=BB257_12 Depth=1
	s_or_b32 exec_lo, exec_lo, s41
.LBB257_273:                            ;   in Loop: Header=BB257_12 Depth=1
	s_or_b32 exec_lo, exec_lo, s40
	global_load_dword v9, v[7:8], off offset:1024
	v_mov_b32_e32 v63, 0
	v_mov_b32_e32 v64, 0
	s_waitcnt vmcnt(0)
	v_cmp_ne_u16_sdwa s2, v9, v2 src0_sel:BYTE_0 src1_sel:DWORD
	s_and_saveexec_b32 s40, s2
	s_cbranch_execz .LBB257_281
; %bb.274:                              ;   in Loop: Header=BB257_12 Depth=1
	v_cmp_ne_u16_sdwa s2, v9, v22 src0_sel:BYTE_0 src1_sel:DWORD
	v_mov_b32_e32 v64, 0x8000
	s_and_saveexec_b32 s41, s2
	s_cbranch_execz .LBB257_280
; %bb.275:                              ;   in Loop: Header=BB257_12 Depth=1
	v_and_b32_e32 v65, 0x7f, v9
	v_mov_b32_e32 v64, 0x7c01
	s_mov_b32 s42, exec_lo
	v_cmpx_ne_u32_e32 0x7f, v65
	s_cbranch_execz .LBB257_279
; %bb.276:                              ;   in Loop: Header=BB257_12 Depth=1
	v_and_b32_e32 v1, 7, v9
	v_lshrrev_b32_e32 v64, 3, v65
	s_mov_b32 s43, exec_lo
	v_cmpx_gt_u32_e32 8, v65
; %bb.277:                              ;   in Loop: Header=BB257_12 Depth=1
	v_ffbh_u32_e32 v1, v1
	v_min_u32_e32 v1, 32, v1
	v_subrev_nc_u32_e32 v12, 28, v1
	v_sub_nc_u32_e32 v64, 29, v1
	v_lshlrev_b64 v[65:66], v12, v[9:10]
	v_and_b32_e32 v1, 7, v65
; %bb.278:                              ;   in Loop: Header=BB257_12 Depth=1
	s_or_b32 exec_lo, exec_lo, s43
	v_lshlrev_b32_e32 v12, 8, v9
	v_lshl_add_u32 v13, v64, 10, 0x2000
	v_lshlrev_b32_e32 v1, 7, v1
	v_and_b32_e32 v12, 0x8000, v12
	v_and_b32_e32 v13, 0xfc00, v13
	v_or3_b32 v64, v12, v13, v1
.LBB257_279:                            ;   in Loop: Header=BB257_12 Depth=1
	s_or_b32 exec_lo, exec_lo, s42
.LBB257_280:                            ;   in Loop: Header=BB257_12 Depth=1
	s_or_b32 exec_lo, exec_lo, s41
.LBB257_281:                            ;   in Loop: Header=BB257_12 Depth=1
	s_or_b32 exec_lo, exec_lo, s40
	v_lshrrev_b16 v1, 8, v9
	s_mov_b32 s40, exec_lo
	v_cmpx_ne_u16_e32 0, v1
	s_cbranch_execz .LBB257_289
; %bb.282:                              ;   in Loop: Header=BB257_12 Depth=1
	v_bfrev_b32_e32 v63, 1
	s_mov_b32 s41, exec_lo
	v_cmpx_ne_u16_e32 0x80, v1
	s_cbranch_execz .LBB257_288
; %bb.283:                              ;   in Loop: Header=BB257_12 Depth=1
	v_and_b32_sdwa v66, v1, v23 dst_sel:DWORD dst_unused:UNUSED_PAD src0_sel:WORD_0 src1_sel:DWORD
	v_mov_b32_e32 v63, 0x7c010000
	s_mov_b32 s42, exec_lo
	v_cmpx_ne_u32_e32 0x7f, v66
	s_cbranch_execz .LBB257_287
; %bb.284:                              ;   in Loop: Header=BB257_12 Depth=1
	v_and_b32_sdwa v63, v1, v24 dst_sel:DWORD dst_unused:UNUSED_PAD src0_sel:WORD_0 src1_sel:DWORD
	v_lshrrev_b32_e32 v65, 3, v66
	s_mov_b32 s43, exec_lo
	v_cmpx_gt_u32_e32 8, v66
; %bb.285:                              ;   in Loop: Header=BB257_12 Depth=1
	v_ffbh_u32_e32 v12, v63
	v_min_u32_e32 v12, 32, v12
	v_subrev_nc_u32_e32 v13, 28, v12
	v_sub_nc_u32_e32 v65, 29, v12
	v_lshlrev_b64 v[66:67], v13, v[1:2]
	v_and_b32_e32 v63, 7, v66
; %bb.286:                              ;   in Loop: Header=BB257_12 Depth=1
	s_or_b32 exec_lo, exec_lo, s43
	v_lshlrev_b32_sdwa v1, v25, v1 dst_sel:DWORD dst_unused:UNUSED_PAD src0_sel:DWORD src1_sel:WORD_0
	v_lshl_add_u32 v12, v65, 10, 0x2000
	v_and_or_b32 v1, 0x8000, v1, v12
	v_lshlrev_b32_e32 v12, 23, v63
	v_lshl_or_b32 v63, v1, 16, v12
.LBB257_287:                            ;   in Loop: Header=BB257_12 Depth=1
	s_or_b32 exec_lo, exec_lo, s42
.LBB257_288:                            ;   in Loop: Header=BB257_12 Depth=1
	s_or_b32 exec_lo, exec_lo, s41
.LBB257_289:                            ;   in Loop: Header=BB257_12 Depth=1
	s_or_b32 exec_lo, exec_lo, s40
	v_lshrrev_b32_e32 v1, 16, v9
	v_mov_b32_e32 v65, 0
	v_mov_b32_e32 v66, 0
	v_cmp_ne_u16_sdwa s2, v1, v2 src0_sel:BYTE_0 src1_sel:DWORD
	s_and_saveexec_b32 s40, s2
	s_cbranch_execz .LBB257_297
; %bb.290:                              ;   in Loop: Header=BB257_12 Depth=1
	v_cmp_ne_u16_sdwa s2, v1, v22 src0_sel:BYTE_0 src1_sel:DWORD
	v_mov_b32_e32 v66, 0x8000
	s_and_saveexec_b32 s41, s2
	s_cbranch_execz .LBB257_296
; %bb.291:                              ;   in Loop: Header=BB257_12 Depth=1
	v_bfe_u32 v68, v9, 16, 7
	v_mov_b32_e32 v66, 0x7c01
	s_mov_b32 s42, exec_lo
	v_cmpx_ne_u32_e32 0x7f, v68
	s_cbranch_execz .LBB257_295
; %bb.292:                              ;   in Loop: Header=BB257_12 Depth=1
	v_and_b32_e32 v66, 7, v1
	v_lshrrev_b32_e32 v67, 3, v68
	s_mov_b32 s43, exec_lo
	v_cmpx_gt_u32_e32 8, v68
; %bb.293:                              ;   in Loop: Header=BB257_12 Depth=1
	v_ffbh_u32_e32 v12, v66
	v_min_u32_e32 v12, 32, v12
	v_subrev_nc_u32_e32 v13, 28, v12
	v_lshlrev_b64 v[66:67], v13, v[1:2]
	v_sub_nc_u32_e32 v67, 29, v12
	v_and_b32_e32 v66, 7, v66
; %bb.294:                              ;   in Loop: Header=BB257_12 Depth=1
	s_or_b32 exec_lo, exec_lo, s43
	v_lshlrev_b32_e32 v1, 8, v1
	v_lshl_add_u32 v12, v67, 10, 0x2000
	v_lshlrev_b32_e32 v13, 7, v66
	v_and_b32_e32 v1, 0x8000, v1
	v_and_b32_e32 v12, 0xfc00, v12
	v_or3_b32 v66, v1, v12, v13
.LBB257_295:                            ;   in Loop: Header=BB257_12 Depth=1
	s_or_b32 exec_lo, exec_lo, s42
.LBB257_296:                            ;   in Loop: Header=BB257_12 Depth=1
	s_or_b32 exec_lo, exec_lo, s41
.LBB257_297:                            ;   in Loop: Header=BB257_12 Depth=1
	s_or_b32 exec_lo, exec_lo, s40
	s_mov_b32 s40, exec_lo
	v_cmpx_lt_u32_e32 0xffffff, v9
	s_cbranch_execz .LBB257_305
; %bb.298:                              ;   in Loop: Header=BB257_12 Depth=1
	v_lshrrev_b32_e32 v1, 24, v9
	v_bfrev_b32_e32 v65, 1
	s_mov_b32 s41, exec_lo
	v_cmpx_ne_u32_e32 0x80, v1
	s_cbranch_execz .LBB257_304
; %bb.299:                              ;   in Loop: Header=BB257_12 Depth=1
	v_and_b32_e32 v67, 0x7f, v1
	v_mov_b32_e32 v65, 0x7c010000
	s_mov_b32 s42, exec_lo
	v_cmpx_ne_u32_e32 0x7f, v67
	s_cbranch_execz .LBB257_303
; %bb.300:                              ;   in Loop: Header=BB257_12 Depth=1
	v_and_b32_e32 v9, 7, v1
	v_lshrrev_b32_e32 v65, 3, v67
	s_mov_b32 s43, exec_lo
	v_cmpx_gt_u32_e32 8, v67
; %bb.301:                              ;   in Loop: Header=BB257_12 Depth=1
	v_ffbh_u32_e32 v9, v9
	v_min_u32_e32 v9, 32, v9
	v_subrev_nc_u32_e32 v12, 28, v9
	v_sub_nc_u32_e32 v65, 29, v9
	v_lshlrev_b64 v[67:68], v12, v[1:2]
	v_and_b32_e32 v9, 7, v67
; %bb.302:                              ;   in Loop: Header=BB257_12 Depth=1
	s_or_b32 exec_lo, exec_lo, s43
	v_lshlrev_b32_e32 v1, 8, v1
	v_lshl_add_u32 v12, v65, 10, 0x2000
	v_lshlrev_b32_e32 v9, 23, v9
	v_and_or_b32 v1, 0x8000, v1, v12
	v_lshl_or_b32 v65, v1, 16, v9
.LBB257_303:                            ;   in Loop: Header=BB257_12 Depth=1
	s_or_b32 exec_lo, exec_lo, s42
.LBB257_304:                            ;   in Loop: Header=BB257_12 Depth=1
	s_or_b32 exec_lo, exec_lo, s41
.LBB257_305:                            ;   in Loop: Header=BB257_12 Depth=1
	s_or_b32 exec_lo, exec_lo, s40
	global_load_dword v9, v[7:8], off offset:1032
	v_mov_b32_e32 v67, 0
	v_mov_b32_e32 v68, 0
	s_waitcnt vmcnt(0)
	v_cmp_ne_u16_sdwa s2, v9, v2 src0_sel:BYTE_0 src1_sel:DWORD
	s_and_saveexec_b32 s40, s2
	s_cbranch_execz .LBB257_313
; %bb.306:                              ;   in Loop: Header=BB257_12 Depth=1
	v_cmp_ne_u16_sdwa s2, v9, v22 src0_sel:BYTE_0 src1_sel:DWORD
	v_mov_b32_e32 v68, 0x8000
	s_and_saveexec_b32 s41, s2
	s_cbranch_execz .LBB257_312
; %bb.307:                              ;   in Loop: Header=BB257_12 Depth=1
	v_and_b32_e32 v69, 0x7f, v9
	v_mov_b32_e32 v68, 0x7c01
	s_mov_b32 s42, exec_lo
	v_cmpx_ne_u32_e32 0x7f, v69
	s_cbranch_execz .LBB257_311
; %bb.308:                              ;   in Loop: Header=BB257_12 Depth=1
	v_and_b32_e32 v1, 7, v9
	v_lshrrev_b32_e32 v68, 3, v69
	s_mov_b32 s43, exec_lo
	v_cmpx_gt_u32_e32 8, v69
; %bb.309:                              ;   in Loop: Header=BB257_12 Depth=1
	v_ffbh_u32_e32 v1, v1
	v_min_u32_e32 v1, 32, v1
	v_subrev_nc_u32_e32 v12, 28, v1
	v_sub_nc_u32_e32 v68, 29, v1
	v_lshlrev_b64 v[69:70], v12, v[9:10]
	v_and_b32_e32 v1, 7, v69
; %bb.310:                              ;   in Loop: Header=BB257_12 Depth=1
	s_or_b32 exec_lo, exec_lo, s43
	v_lshlrev_b32_e32 v12, 8, v9
	v_lshl_add_u32 v13, v68, 10, 0x2000
	v_lshlrev_b32_e32 v1, 7, v1
	v_and_b32_e32 v12, 0x8000, v12
	v_and_b32_e32 v13, 0xfc00, v13
	v_or3_b32 v68, v12, v13, v1
.LBB257_311:                            ;   in Loop: Header=BB257_12 Depth=1
	s_or_b32 exec_lo, exec_lo, s42
.LBB257_312:                            ;   in Loop: Header=BB257_12 Depth=1
	s_or_b32 exec_lo, exec_lo, s41
.LBB257_313:                            ;   in Loop: Header=BB257_12 Depth=1
	s_or_b32 exec_lo, exec_lo, s40
	v_lshrrev_b16 v1, 8, v9
	s_mov_b32 s40, exec_lo
	v_cmpx_ne_u16_e32 0, v1
	s_cbranch_execz .LBB257_321
; %bb.314:                              ;   in Loop: Header=BB257_12 Depth=1
	v_bfrev_b32_e32 v67, 1
	s_mov_b32 s41, exec_lo
	v_cmpx_ne_u16_e32 0x80, v1
	s_cbranch_execz .LBB257_320
; %bb.315:                              ;   in Loop: Header=BB257_12 Depth=1
	v_and_b32_sdwa v70, v1, v23 dst_sel:DWORD dst_unused:UNUSED_PAD src0_sel:WORD_0 src1_sel:DWORD
	v_mov_b32_e32 v67, 0x7c010000
	s_mov_b32 s42, exec_lo
	v_cmpx_ne_u32_e32 0x7f, v70
	s_cbranch_execz .LBB257_319
; %bb.316:                              ;   in Loop: Header=BB257_12 Depth=1
	v_and_b32_sdwa v67, v1, v24 dst_sel:DWORD dst_unused:UNUSED_PAD src0_sel:WORD_0 src1_sel:DWORD
	v_lshrrev_b32_e32 v69, 3, v70
	s_mov_b32 s43, exec_lo
	v_cmpx_gt_u32_e32 8, v70
; %bb.317:                              ;   in Loop: Header=BB257_12 Depth=1
	v_ffbh_u32_e32 v12, v67
	v_min_u32_e32 v12, 32, v12
	v_subrev_nc_u32_e32 v13, 28, v12
	v_sub_nc_u32_e32 v69, 29, v12
	v_lshlrev_b64 v[70:71], v13, v[1:2]
	v_and_b32_e32 v67, 7, v70
; %bb.318:                              ;   in Loop: Header=BB257_12 Depth=1
	s_or_b32 exec_lo, exec_lo, s43
	v_lshlrev_b32_sdwa v1, v25, v1 dst_sel:DWORD dst_unused:UNUSED_PAD src0_sel:DWORD src1_sel:WORD_0
	v_lshl_add_u32 v12, v69, 10, 0x2000
	v_and_or_b32 v1, 0x8000, v1, v12
	v_lshlrev_b32_e32 v12, 23, v67
	v_lshl_or_b32 v67, v1, 16, v12
.LBB257_319:                            ;   in Loop: Header=BB257_12 Depth=1
	s_or_b32 exec_lo, exec_lo, s42
.LBB257_320:                            ;   in Loop: Header=BB257_12 Depth=1
	s_or_b32 exec_lo, exec_lo, s41
.LBB257_321:                            ;   in Loop: Header=BB257_12 Depth=1
	s_or_b32 exec_lo, exec_lo, s40
	v_lshrrev_b32_e32 v1, 16, v9
	v_mov_b32_e32 v69, 0
	v_mov_b32_e32 v70, 0
	v_cmp_ne_u16_sdwa s2, v1, v2 src0_sel:BYTE_0 src1_sel:DWORD
	s_and_saveexec_b32 s40, s2
	s_cbranch_execz .LBB257_329
; %bb.322:                              ;   in Loop: Header=BB257_12 Depth=1
	v_cmp_ne_u16_sdwa s2, v1, v22 src0_sel:BYTE_0 src1_sel:DWORD
	v_mov_b32_e32 v70, 0x8000
	s_and_saveexec_b32 s41, s2
	s_cbranch_execz .LBB257_328
; %bb.323:                              ;   in Loop: Header=BB257_12 Depth=1
	v_bfe_u32 v72, v9, 16, 7
	v_mov_b32_e32 v70, 0x7c01
	s_mov_b32 s42, exec_lo
	v_cmpx_ne_u32_e32 0x7f, v72
	s_cbranch_execz .LBB257_327
; %bb.324:                              ;   in Loop: Header=BB257_12 Depth=1
	v_and_b32_e32 v70, 7, v1
	v_lshrrev_b32_e32 v71, 3, v72
	s_mov_b32 s43, exec_lo
	v_cmpx_gt_u32_e32 8, v72
; %bb.325:                              ;   in Loop: Header=BB257_12 Depth=1
	v_ffbh_u32_e32 v12, v70
	v_min_u32_e32 v12, 32, v12
	v_subrev_nc_u32_e32 v13, 28, v12
	v_lshlrev_b64 v[70:71], v13, v[1:2]
	v_sub_nc_u32_e32 v71, 29, v12
	v_and_b32_e32 v70, 7, v70
; %bb.326:                              ;   in Loop: Header=BB257_12 Depth=1
	s_or_b32 exec_lo, exec_lo, s43
	v_lshlrev_b32_e32 v1, 8, v1
	v_lshl_add_u32 v12, v71, 10, 0x2000
	v_lshlrev_b32_e32 v13, 7, v70
	v_and_b32_e32 v1, 0x8000, v1
	v_and_b32_e32 v12, 0xfc00, v12
	v_or3_b32 v70, v1, v12, v13
.LBB257_327:                            ;   in Loop: Header=BB257_12 Depth=1
	s_or_b32 exec_lo, exec_lo, s42
.LBB257_328:                            ;   in Loop: Header=BB257_12 Depth=1
	s_or_b32 exec_lo, exec_lo, s41
.LBB257_329:                            ;   in Loop: Header=BB257_12 Depth=1
	s_or_b32 exec_lo, exec_lo, s40
	s_mov_b32 s40, exec_lo
	v_cmpx_lt_u32_e32 0xffffff, v9
	s_cbranch_execz .LBB257_337
; %bb.330:                              ;   in Loop: Header=BB257_12 Depth=1
	v_lshrrev_b32_e32 v1, 24, v9
	v_bfrev_b32_e32 v69, 1
	s_mov_b32 s41, exec_lo
	v_cmpx_ne_u32_e32 0x80, v1
	s_cbranch_execz .LBB257_336
; %bb.331:                              ;   in Loop: Header=BB257_12 Depth=1
	v_and_b32_e32 v71, 0x7f, v1
	v_mov_b32_e32 v69, 0x7c010000
	s_mov_b32 s42, exec_lo
	v_cmpx_ne_u32_e32 0x7f, v71
	s_cbranch_execz .LBB257_335
; %bb.332:                              ;   in Loop: Header=BB257_12 Depth=1
	v_and_b32_e32 v9, 7, v1
	v_lshrrev_b32_e32 v69, 3, v71
	s_mov_b32 s43, exec_lo
	v_cmpx_gt_u32_e32 8, v71
; %bb.333:                              ;   in Loop: Header=BB257_12 Depth=1
	v_ffbh_u32_e32 v9, v9
	v_min_u32_e32 v9, 32, v9
	v_subrev_nc_u32_e32 v12, 28, v9
	v_sub_nc_u32_e32 v69, 29, v9
	v_lshlrev_b64 v[71:72], v12, v[1:2]
	v_and_b32_e32 v9, 7, v71
; %bb.334:                              ;   in Loop: Header=BB257_12 Depth=1
	s_or_b32 exec_lo, exec_lo, s43
	v_lshlrev_b32_e32 v1, 8, v1
	v_lshl_add_u32 v12, v69, 10, 0x2000
	v_lshlrev_b32_e32 v9, 23, v9
	v_and_or_b32 v1, 0x8000, v1, v12
	v_lshl_or_b32 v69, v1, 16, v9
.LBB257_335:                            ;   in Loop: Header=BB257_12 Depth=1
	s_or_b32 exec_lo, exec_lo, s42
.LBB257_336:                            ;   in Loop: Header=BB257_12 Depth=1
	s_or_b32 exec_lo, exec_lo, s41
.LBB257_337:                            ;   in Loop: Header=BB257_12 Depth=1
	s_or_b32 exec_lo, exec_lo, s40
	global_load_dword v9, v[7:8], off offset:1280
	v_mov_b32_e32 v71, 0
	v_mov_b32_e32 v72, 0
	s_waitcnt vmcnt(0)
	v_cmp_ne_u16_sdwa s2, v9, v2 src0_sel:BYTE_0 src1_sel:DWORD
	s_and_saveexec_b32 s40, s2
	s_cbranch_execz .LBB257_345
; %bb.338:                              ;   in Loop: Header=BB257_12 Depth=1
	v_cmp_ne_u16_sdwa s2, v9, v22 src0_sel:BYTE_0 src1_sel:DWORD
	v_mov_b32_e32 v72, 0x8000
	s_and_saveexec_b32 s41, s2
	s_cbranch_execz .LBB257_344
; %bb.339:                              ;   in Loop: Header=BB257_12 Depth=1
	v_and_b32_e32 v73, 0x7f, v9
	v_mov_b32_e32 v72, 0x7c01
	s_mov_b32 s42, exec_lo
	v_cmpx_ne_u32_e32 0x7f, v73
	s_cbranch_execz .LBB257_343
; %bb.340:                              ;   in Loop: Header=BB257_12 Depth=1
	v_and_b32_e32 v1, 7, v9
	v_lshrrev_b32_e32 v72, 3, v73
	s_mov_b32 s43, exec_lo
	v_cmpx_gt_u32_e32 8, v73
; %bb.341:                              ;   in Loop: Header=BB257_12 Depth=1
	v_ffbh_u32_e32 v1, v1
	v_min_u32_e32 v1, 32, v1
	v_subrev_nc_u32_e32 v12, 28, v1
	v_sub_nc_u32_e32 v72, 29, v1
	v_lshlrev_b64 v[73:74], v12, v[9:10]
	v_and_b32_e32 v1, 7, v73
; %bb.342:                              ;   in Loop: Header=BB257_12 Depth=1
	s_or_b32 exec_lo, exec_lo, s43
	v_lshlrev_b32_e32 v12, 8, v9
	v_lshl_add_u32 v13, v72, 10, 0x2000
	v_lshlrev_b32_e32 v1, 7, v1
	v_and_b32_e32 v12, 0x8000, v12
	v_and_b32_e32 v13, 0xfc00, v13
	v_or3_b32 v72, v12, v13, v1
.LBB257_343:                            ;   in Loop: Header=BB257_12 Depth=1
	s_or_b32 exec_lo, exec_lo, s42
.LBB257_344:                            ;   in Loop: Header=BB257_12 Depth=1
	s_or_b32 exec_lo, exec_lo, s41
.LBB257_345:                            ;   in Loop: Header=BB257_12 Depth=1
	s_or_b32 exec_lo, exec_lo, s40
	v_lshrrev_b16 v1, 8, v9
	s_mov_b32 s40, exec_lo
	v_cmpx_ne_u16_e32 0, v1
	s_cbranch_execz .LBB257_353
; %bb.346:                              ;   in Loop: Header=BB257_12 Depth=1
	v_bfrev_b32_e32 v71, 1
	s_mov_b32 s41, exec_lo
	v_cmpx_ne_u16_e32 0x80, v1
	s_cbranch_execz .LBB257_352
; %bb.347:                              ;   in Loop: Header=BB257_12 Depth=1
	v_and_b32_sdwa v74, v1, v23 dst_sel:DWORD dst_unused:UNUSED_PAD src0_sel:WORD_0 src1_sel:DWORD
	v_mov_b32_e32 v71, 0x7c010000
	s_mov_b32 s42, exec_lo
	v_cmpx_ne_u32_e32 0x7f, v74
	s_cbranch_execz .LBB257_351
; %bb.348:                              ;   in Loop: Header=BB257_12 Depth=1
	v_and_b32_sdwa v71, v1, v24 dst_sel:DWORD dst_unused:UNUSED_PAD src0_sel:WORD_0 src1_sel:DWORD
	v_lshrrev_b32_e32 v73, 3, v74
	s_mov_b32 s43, exec_lo
	v_cmpx_gt_u32_e32 8, v74
; %bb.349:                              ;   in Loop: Header=BB257_12 Depth=1
	v_ffbh_u32_e32 v12, v71
	v_min_u32_e32 v12, 32, v12
	v_subrev_nc_u32_e32 v13, 28, v12
	v_sub_nc_u32_e32 v73, 29, v12
	v_lshlrev_b64 v[74:75], v13, v[1:2]
	v_and_b32_e32 v71, 7, v74
; %bb.350:                              ;   in Loop: Header=BB257_12 Depth=1
	s_or_b32 exec_lo, exec_lo, s43
	v_lshlrev_b32_sdwa v1, v25, v1 dst_sel:DWORD dst_unused:UNUSED_PAD src0_sel:DWORD src1_sel:WORD_0
	v_lshl_add_u32 v12, v73, 10, 0x2000
	v_and_or_b32 v1, 0x8000, v1, v12
	v_lshlrev_b32_e32 v12, 23, v71
	v_lshl_or_b32 v71, v1, 16, v12
.LBB257_351:                            ;   in Loop: Header=BB257_12 Depth=1
	s_or_b32 exec_lo, exec_lo, s42
.LBB257_352:                            ;   in Loop: Header=BB257_12 Depth=1
	s_or_b32 exec_lo, exec_lo, s41
.LBB257_353:                            ;   in Loop: Header=BB257_12 Depth=1
	s_or_b32 exec_lo, exec_lo, s40
	v_lshrrev_b32_e32 v1, 16, v9
	v_mov_b32_e32 v73, 0
	v_mov_b32_e32 v74, 0
	v_cmp_ne_u16_sdwa s2, v1, v2 src0_sel:BYTE_0 src1_sel:DWORD
	s_and_saveexec_b32 s40, s2
	s_cbranch_execz .LBB257_361
; %bb.354:                              ;   in Loop: Header=BB257_12 Depth=1
	v_cmp_ne_u16_sdwa s2, v1, v22 src0_sel:BYTE_0 src1_sel:DWORD
	v_mov_b32_e32 v74, 0x8000
	s_and_saveexec_b32 s41, s2
	s_cbranch_execz .LBB257_360
; %bb.355:                              ;   in Loop: Header=BB257_12 Depth=1
	v_bfe_u32 v76, v9, 16, 7
	v_mov_b32_e32 v74, 0x7c01
	s_mov_b32 s42, exec_lo
	v_cmpx_ne_u32_e32 0x7f, v76
	s_cbranch_execz .LBB257_359
; %bb.356:                              ;   in Loop: Header=BB257_12 Depth=1
	v_and_b32_e32 v74, 7, v1
	v_lshrrev_b32_e32 v75, 3, v76
	s_mov_b32 s43, exec_lo
	v_cmpx_gt_u32_e32 8, v76
; %bb.357:                              ;   in Loop: Header=BB257_12 Depth=1
	v_ffbh_u32_e32 v12, v74
	v_min_u32_e32 v12, 32, v12
	v_subrev_nc_u32_e32 v13, 28, v12
	v_lshlrev_b64 v[74:75], v13, v[1:2]
	v_sub_nc_u32_e32 v75, 29, v12
	v_and_b32_e32 v74, 7, v74
; %bb.358:                              ;   in Loop: Header=BB257_12 Depth=1
	s_or_b32 exec_lo, exec_lo, s43
	v_lshlrev_b32_e32 v1, 8, v1
	v_lshl_add_u32 v12, v75, 10, 0x2000
	v_lshlrev_b32_e32 v13, 7, v74
	v_and_b32_e32 v1, 0x8000, v1
	v_and_b32_e32 v12, 0xfc00, v12
	v_or3_b32 v74, v1, v12, v13
.LBB257_359:                            ;   in Loop: Header=BB257_12 Depth=1
	s_or_b32 exec_lo, exec_lo, s42
.LBB257_360:                            ;   in Loop: Header=BB257_12 Depth=1
	s_or_b32 exec_lo, exec_lo, s41
.LBB257_361:                            ;   in Loop: Header=BB257_12 Depth=1
	s_or_b32 exec_lo, exec_lo, s40
	s_mov_b32 s40, exec_lo
	v_cmpx_lt_u32_e32 0xffffff, v9
	s_cbranch_execz .LBB257_369
; %bb.362:                              ;   in Loop: Header=BB257_12 Depth=1
	v_lshrrev_b32_e32 v1, 24, v9
	v_bfrev_b32_e32 v73, 1
	s_mov_b32 s41, exec_lo
	v_cmpx_ne_u32_e32 0x80, v1
	s_cbranch_execz .LBB257_368
; %bb.363:                              ;   in Loop: Header=BB257_12 Depth=1
	v_and_b32_e32 v75, 0x7f, v1
	v_mov_b32_e32 v73, 0x7c010000
	s_mov_b32 s42, exec_lo
	v_cmpx_ne_u32_e32 0x7f, v75
	s_cbranch_execz .LBB257_367
; %bb.364:                              ;   in Loop: Header=BB257_12 Depth=1
	v_and_b32_e32 v9, 7, v1
	v_lshrrev_b32_e32 v73, 3, v75
	s_mov_b32 s43, exec_lo
	v_cmpx_gt_u32_e32 8, v75
; %bb.365:                              ;   in Loop: Header=BB257_12 Depth=1
	v_ffbh_u32_e32 v9, v9
	v_min_u32_e32 v9, 32, v9
	v_subrev_nc_u32_e32 v12, 28, v9
	v_sub_nc_u32_e32 v73, 29, v9
	v_lshlrev_b64 v[75:76], v12, v[1:2]
	v_and_b32_e32 v9, 7, v75
; %bb.366:                              ;   in Loop: Header=BB257_12 Depth=1
	s_or_b32 exec_lo, exec_lo, s43
	v_lshlrev_b32_e32 v1, 8, v1
	v_lshl_add_u32 v12, v73, 10, 0x2000
	v_lshlrev_b32_e32 v9, 23, v9
	v_and_or_b32 v1, 0x8000, v1, v12
	v_lshl_or_b32 v73, v1, 16, v9
.LBB257_367:                            ;   in Loop: Header=BB257_12 Depth=1
	s_or_b32 exec_lo, exec_lo, s42
.LBB257_368:                            ;   in Loop: Header=BB257_12 Depth=1
	s_or_b32 exec_lo, exec_lo, s41
.LBB257_369:                            ;   in Loop: Header=BB257_12 Depth=1
	s_or_b32 exec_lo, exec_lo, s40
	global_load_dword v9, v[7:8], off offset:1288
	v_mov_b32_e32 v75, 0
	v_mov_b32_e32 v76, 0
	s_waitcnt vmcnt(0)
	v_cmp_ne_u16_sdwa s2, v9, v2 src0_sel:BYTE_0 src1_sel:DWORD
	s_and_saveexec_b32 s40, s2
	s_cbranch_execz .LBB257_377
; %bb.370:                              ;   in Loop: Header=BB257_12 Depth=1
	v_cmp_ne_u16_sdwa s2, v9, v22 src0_sel:BYTE_0 src1_sel:DWORD
	v_mov_b32_e32 v76, 0x8000
	s_and_saveexec_b32 s41, s2
	s_cbranch_execz .LBB257_376
; %bb.371:                              ;   in Loop: Header=BB257_12 Depth=1
	v_and_b32_e32 v77, 0x7f, v9
	v_mov_b32_e32 v76, 0x7c01
	s_mov_b32 s42, exec_lo
	v_cmpx_ne_u32_e32 0x7f, v77
	s_cbranch_execz .LBB257_375
; %bb.372:                              ;   in Loop: Header=BB257_12 Depth=1
	v_and_b32_e32 v1, 7, v9
	v_lshrrev_b32_e32 v76, 3, v77
	s_mov_b32 s43, exec_lo
	v_cmpx_gt_u32_e32 8, v77
; %bb.373:                              ;   in Loop: Header=BB257_12 Depth=1
	v_ffbh_u32_e32 v1, v1
	v_min_u32_e32 v1, 32, v1
	v_subrev_nc_u32_e32 v12, 28, v1
	v_sub_nc_u32_e32 v76, 29, v1
	v_lshlrev_b64 v[77:78], v12, v[9:10]
	v_and_b32_e32 v1, 7, v77
; %bb.374:                              ;   in Loop: Header=BB257_12 Depth=1
	s_or_b32 exec_lo, exec_lo, s43
	v_lshlrev_b32_e32 v12, 8, v9
	v_lshl_add_u32 v13, v76, 10, 0x2000
	v_lshlrev_b32_e32 v1, 7, v1
	v_and_b32_e32 v12, 0x8000, v12
	v_and_b32_e32 v13, 0xfc00, v13
	v_or3_b32 v76, v12, v13, v1
.LBB257_375:                            ;   in Loop: Header=BB257_12 Depth=1
	s_or_b32 exec_lo, exec_lo, s42
.LBB257_376:                            ;   in Loop: Header=BB257_12 Depth=1
	s_or_b32 exec_lo, exec_lo, s41
.LBB257_377:                            ;   in Loop: Header=BB257_12 Depth=1
	s_or_b32 exec_lo, exec_lo, s40
	v_lshrrev_b16 v1, 8, v9
	s_mov_b32 s40, exec_lo
	v_cmpx_ne_u16_e32 0, v1
	s_cbranch_execz .LBB257_385
; %bb.378:                              ;   in Loop: Header=BB257_12 Depth=1
	v_bfrev_b32_e32 v75, 1
	s_mov_b32 s41, exec_lo
	v_cmpx_ne_u16_e32 0x80, v1
	s_cbranch_execz .LBB257_384
; %bb.379:                              ;   in Loop: Header=BB257_12 Depth=1
	v_and_b32_sdwa v78, v1, v23 dst_sel:DWORD dst_unused:UNUSED_PAD src0_sel:WORD_0 src1_sel:DWORD
	v_mov_b32_e32 v75, 0x7c010000
	s_mov_b32 s42, exec_lo
	v_cmpx_ne_u32_e32 0x7f, v78
	s_cbranch_execz .LBB257_383
; %bb.380:                              ;   in Loop: Header=BB257_12 Depth=1
	v_and_b32_sdwa v75, v1, v24 dst_sel:DWORD dst_unused:UNUSED_PAD src0_sel:WORD_0 src1_sel:DWORD
	v_lshrrev_b32_e32 v77, 3, v78
	s_mov_b32 s43, exec_lo
	v_cmpx_gt_u32_e32 8, v78
; %bb.381:                              ;   in Loop: Header=BB257_12 Depth=1
	v_ffbh_u32_e32 v12, v75
	v_min_u32_e32 v12, 32, v12
	v_subrev_nc_u32_e32 v13, 28, v12
	v_sub_nc_u32_e32 v77, 29, v12
	v_lshlrev_b64 v[78:79], v13, v[1:2]
	v_and_b32_e32 v75, 7, v78
; %bb.382:                              ;   in Loop: Header=BB257_12 Depth=1
	s_or_b32 exec_lo, exec_lo, s43
	v_lshlrev_b32_sdwa v1, v25, v1 dst_sel:DWORD dst_unused:UNUSED_PAD src0_sel:DWORD src1_sel:WORD_0
	v_lshl_add_u32 v12, v77, 10, 0x2000
	v_and_or_b32 v1, 0x8000, v1, v12
	v_lshlrev_b32_e32 v12, 23, v75
	v_lshl_or_b32 v75, v1, 16, v12
.LBB257_383:                            ;   in Loop: Header=BB257_12 Depth=1
	s_or_b32 exec_lo, exec_lo, s42
.LBB257_384:                            ;   in Loop: Header=BB257_12 Depth=1
	s_or_b32 exec_lo, exec_lo, s41
.LBB257_385:                            ;   in Loop: Header=BB257_12 Depth=1
	s_or_b32 exec_lo, exec_lo, s40
	v_lshrrev_b32_e32 v1, 16, v9
	v_mov_b32_e32 v77, 0
	v_mov_b32_e32 v78, 0
	v_cmp_ne_u16_sdwa s2, v1, v2 src0_sel:BYTE_0 src1_sel:DWORD
	s_and_saveexec_b32 s40, s2
	s_cbranch_execz .LBB257_393
; %bb.386:                              ;   in Loop: Header=BB257_12 Depth=1
	v_cmp_ne_u16_sdwa s2, v1, v22 src0_sel:BYTE_0 src1_sel:DWORD
	v_mov_b32_e32 v78, 0x8000
	s_and_saveexec_b32 s41, s2
	s_cbranch_execz .LBB257_392
; %bb.387:                              ;   in Loop: Header=BB257_12 Depth=1
	v_bfe_u32 v80, v9, 16, 7
	v_mov_b32_e32 v78, 0x7c01
	s_mov_b32 s42, exec_lo
	v_cmpx_ne_u32_e32 0x7f, v80
	s_cbranch_execz .LBB257_391
; %bb.388:                              ;   in Loop: Header=BB257_12 Depth=1
	v_and_b32_e32 v78, 7, v1
	v_lshrrev_b32_e32 v79, 3, v80
	s_mov_b32 s43, exec_lo
	v_cmpx_gt_u32_e32 8, v80
; %bb.389:                              ;   in Loop: Header=BB257_12 Depth=1
	v_ffbh_u32_e32 v12, v78
	v_min_u32_e32 v12, 32, v12
	v_subrev_nc_u32_e32 v13, 28, v12
	v_lshlrev_b64 v[78:79], v13, v[1:2]
	v_sub_nc_u32_e32 v79, 29, v12
	v_and_b32_e32 v78, 7, v78
; %bb.390:                              ;   in Loop: Header=BB257_12 Depth=1
	s_or_b32 exec_lo, exec_lo, s43
	v_lshlrev_b32_e32 v1, 8, v1
	v_lshl_add_u32 v12, v79, 10, 0x2000
	v_lshlrev_b32_e32 v13, 7, v78
	v_and_b32_e32 v1, 0x8000, v1
	v_and_b32_e32 v12, 0xfc00, v12
	v_or3_b32 v78, v1, v12, v13
.LBB257_391:                            ;   in Loop: Header=BB257_12 Depth=1
	s_or_b32 exec_lo, exec_lo, s42
.LBB257_392:                            ;   in Loop: Header=BB257_12 Depth=1
	s_or_b32 exec_lo, exec_lo, s41
.LBB257_393:                            ;   in Loop: Header=BB257_12 Depth=1
	s_or_b32 exec_lo, exec_lo, s40
	s_mov_b32 s40, exec_lo
	v_cmpx_lt_u32_e32 0xffffff, v9
	s_cbranch_execz .LBB257_401
; %bb.394:                              ;   in Loop: Header=BB257_12 Depth=1
	v_lshrrev_b32_e32 v1, 24, v9
	v_bfrev_b32_e32 v77, 1
	s_mov_b32 s41, exec_lo
	v_cmpx_ne_u32_e32 0x80, v1
	s_cbranch_execz .LBB257_400
; %bb.395:                              ;   in Loop: Header=BB257_12 Depth=1
	v_and_b32_e32 v79, 0x7f, v1
	v_mov_b32_e32 v77, 0x7c010000
	s_mov_b32 s42, exec_lo
	v_cmpx_ne_u32_e32 0x7f, v79
	s_cbranch_execz .LBB257_399
; %bb.396:                              ;   in Loop: Header=BB257_12 Depth=1
	v_and_b32_e32 v9, 7, v1
	v_lshrrev_b32_e32 v77, 3, v79
	s_mov_b32 s43, exec_lo
	v_cmpx_gt_u32_e32 8, v79
; %bb.397:                              ;   in Loop: Header=BB257_12 Depth=1
	v_ffbh_u32_e32 v9, v9
	v_min_u32_e32 v9, 32, v9
	v_subrev_nc_u32_e32 v12, 28, v9
	v_sub_nc_u32_e32 v77, 29, v9
	v_lshlrev_b64 v[79:80], v12, v[1:2]
	v_and_b32_e32 v9, 7, v79
; %bb.398:                              ;   in Loop: Header=BB257_12 Depth=1
	s_or_b32 exec_lo, exec_lo, s43
	v_lshlrev_b32_e32 v1, 8, v1
	v_lshl_add_u32 v12, v77, 10, 0x2000
	v_lshlrev_b32_e32 v9, 23, v9
	v_and_or_b32 v1, 0x8000, v1, v12
	v_lshl_or_b32 v77, v1, 16, v9
.LBB257_399:                            ;   in Loop: Header=BB257_12 Depth=1
	s_or_b32 exec_lo, exec_lo, s42
.LBB257_400:                            ;   in Loop: Header=BB257_12 Depth=1
	s_or_b32 exec_lo, exec_lo, s41
.LBB257_401:                            ;   in Loop: Header=BB257_12 Depth=1
	s_or_b32 exec_lo, exec_lo, s40
	global_load_dword v9, v[7:8], off offset:1536
	v_mov_b32_e32 v79, 0
	v_mov_b32_e32 v80, 0
	s_waitcnt vmcnt(0)
	v_cmp_ne_u16_sdwa s2, v9, v2 src0_sel:BYTE_0 src1_sel:DWORD
	s_and_saveexec_b32 s40, s2
	s_cbranch_execz .LBB257_409
; %bb.402:                              ;   in Loop: Header=BB257_12 Depth=1
	v_cmp_ne_u16_sdwa s2, v9, v22 src0_sel:BYTE_0 src1_sel:DWORD
	v_mov_b32_e32 v80, 0x8000
	s_and_saveexec_b32 s41, s2
	s_cbranch_execz .LBB257_408
; %bb.403:                              ;   in Loop: Header=BB257_12 Depth=1
	v_and_b32_e32 v81, 0x7f, v9
	v_mov_b32_e32 v80, 0x7c01
	s_mov_b32 s42, exec_lo
	v_cmpx_ne_u32_e32 0x7f, v81
	s_cbranch_execz .LBB257_407
; %bb.404:                              ;   in Loop: Header=BB257_12 Depth=1
	v_and_b32_e32 v1, 7, v9
	v_lshrrev_b32_e32 v80, 3, v81
	s_mov_b32 s43, exec_lo
	v_cmpx_gt_u32_e32 8, v81
; %bb.405:                              ;   in Loop: Header=BB257_12 Depth=1
	v_ffbh_u32_e32 v1, v1
	v_min_u32_e32 v1, 32, v1
	v_subrev_nc_u32_e32 v12, 28, v1
	v_sub_nc_u32_e32 v80, 29, v1
	v_lshlrev_b64 v[81:82], v12, v[9:10]
	v_and_b32_e32 v1, 7, v81
; %bb.406:                              ;   in Loop: Header=BB257_12 Depth=1
	s_or_b32 exec_lo, exec_lo, s43
	v_lshlrev_b32_e32 v12, 8, v9
	v_lshl_add_u32 v13, v80, 10, 0x2000
	v_lshlrev_b32_e32 v1, 7, v1
	v_and_b32_e32 v12, 0x8000, v12
	v_and_b32_e32 v13, 0xfc00, v13
	v_or3_b32 v80, v12, v13, v1
.LBB257_407:                            ;   in Loop: Header=BB257_12 Depth=1
	s_or_b32 exec_lo, exec_lo, s42
.LBB257_408:                            ;   in Loop: Header=BB257_12 Depth=1
	s_or_b32 exec_lo, exec_lo, s41
.LBB257_409:                            ;   in Loop: Header=BB257_12 Depth=1
	s_or_b32 exec_lo, exec_lo, s40
	v_lshrrev_b16 v1, 8, v9
	s_mov_b32 s40, exec_lo
	v_cmpx_ne_u16_e32 0, v1
	s_cbranch_execz .LBB257_417
; %bb.410:                              ;   in Loop: Header=BB257_12 Depth=1
	v_bfrev_b32_e32 v79, 1
	s_mov_b32 s41, exec_lo
	v_cmpx_ne_u16_e32 0x80, v1
	s_cbranch_execz .LBB257_416
; %bb.411:                              ;   in Loop: Header=BB257_12 Depth=1
	v_and_b32_sdwa v82, v1, v23 dst_sel:DWORD dst_unused:UNUSED_PAD src0_sel:WORD_0 src1_sel:DWORD
	v_mov_b32_e32 v79, 0x7c010000
	s_mov_b32 s42, exec_lo
	v_cmpx_ne_u32_e32 0x7f, v82
	s_cbranch_execz .LBB257_415
; %bb.412:                              ;   in Loop: Header=BB257_12 Depth=1
	v_and_b32_sdwa v79, v1, v24 dst_sel:DWORD dst_unused:UNUSED_PAD src0_sel:WORD_0 src1_sel:DWORD
	v_lshrrev_b32_e32 v81, 3, v82
	s_mov_b32 s43, exec_lo
	v_cmpx_gt_u32_e32 8, v82
; %bb.413:                              ;   in Loop: Header=BB257_12 Depth=1
	v_ffbh_u32_e32 v12, v79
	v_min_u32_e32 v12, 32, v12
	v_subrev_nc_u32_e32 v13, 28, v12
	v_sub_nc_u32_e32 v81, 29, v12
	v_lshlrev_b64 v[82:83], v13, v[1:2]
	v_and_b32_e32 v79, 7, v82
; %bb.414:                              ;   in Loop: Header=BB257_12 Depth=1
	s_or_b32 exec_lo, exec_lo, s43
	v_lshlrev_b32_sdwa v1, v25, v1 dst_sel:DWORD dst_unused:UNUSED_PAD src0_sel:DWORD src1_sel:WORD_0
	v_lshl_add_u32 v12, v81, 10, 0x2000
	v_and_or_b32 v1, 0x8000, v1, v12
	v_lshlrev_b32_e32 v12, 23, v79
	v_lshl_or_b32 v79, v1, 16, v12
.LBB257_415:                            ;   in Loop: Header=BB257_12 Depth=1
	s_or_b32 exec_lo, exec_lo, s42
.LBB257_416:                            ;   in Loop: Header=BB257_12 Depth=1
	s_or_b32 exec_lo, exec_lo, s41
.LBB257_417:                            ;   in Loop: Header=BB257_12 Depth=1
	s_or_b32 exec_lo, exec_lo, s40
	v_lshrrev_b32_e32 v1, 16, v9
	v_mov_b32_e32 v81, 0
	v_mov_b32_e32 v82, 0
	v_cmp_ne_u16_sdwa s2, v1, v2 src0_sel:BYTE_0 src1_sel:DWORD
	s_and_saveexec_b32 s40, s2
	s_cbranch_execz .LBB257_425
; %bb.418:                              ;   in Loop: Header=BB257_12 Depth=1
	v_cmp_ne_u16_sdwa s2, v1, v22 src0_sel:BYTE_0 src1_sel:DWORD
	v_mov_b32_e32 v82, 0x8000
	s_and_saveexec_b32 s41, s2
	s_cbranch_execz .LBB257_424
; %bb.419:                              ;   in Loop: Header=BB257_12 Depth=1
	v_bfe_u32 v84, v9, 16, 7
	v_mov_b32_e32 v82, 0x7c01
	s_mov_b32 s42, exec_lo
	v_cmpx_ne_u32_e32 0x7f, v84
	s_cbranch_execz .LBB257_423
; %bb.420:                              ;   in Loop: Header=BB257_12 Depth=1
	v_and_b32_e32 v82, 7, v1
	v_lshrrev_b32_e32 v83, 3, v84
	s_mov_b32 s43, exec_lo
	v_cmpx_gt_u32_e32 8, v84
; %bb.421:                              ;   in Loop: Header=BB257_12 Depth=1
	v_ffbh_u32_e32 v12, v82
	v_min_u32_e32 v12, 32, v12
	v_subrev_nc_u32_e32 v13, 28, v12
	v_lshlrev_b64 v[82:83], v13, v[1:2]
	v_sub_nc_u32_e32 v83, 29, v12
	v_and_b32_e32 v82, 7, v82
; %bb.422:                              ;   in Loop: Header=BB257_12 Depth=1
	s_or_b32 exec_lo, exec_lo, s43
	v_lshlrev_b32_e32 v1, 8, v1
	v_lshl_add_u32 v12, v83, 10, 0x2000
	v_lshlrev_b32_e32 v13, 7, v82
	v_and_b32_e32 v1, 0x8000, v1
	v_and_b32_e32 v12, 0xfc00, v12
	v_or3_b32 v82, v1, v12, v13
.LBB257_423:                            ;   in Loop: Header=BB257_12 Depth=1
	s_or_b32 exec_lo, exec_lo, s42
.LBB257_424:                            ;   in Loop: Header=BB257_12 Depth=1
	s_or_b32 exec_lo, exec_lo, s41
.LBB257_425:                            ;   in Loop: Header=BB257_12 Depth=1
	s_or_b32 exec_lo, exec_lo, s40
	s_mov_b32 s40, exec_lo
	v_cmpx_lt_u32_e32 0xffffff, v9
	s_cbranch_execz .LBB257_433
; %bb.426:                              ;   in Loop: Header=BB257_12 Depth=1
	v_lshrrev_b32_e32 v1, 24, v9
	v_bfrev_b32_e32 v81, 1
	s_mov_b32 s41, exec_lo
	v_cmpx_ne_u32_e32 0x80, v1
	s_cbranch_execz .LBB257_432
; %bb.427:                              ;   in Loop: Header=BB257_12 Depth=1
	v_and_b32_e32 v83, 0x7f, v1
	v_mov_b32_e32 v81, 0x7c010000
	s_mov_b32 s42, exec_lo
	v_cmpx_ne_u32_e32 0x7f, v83
	s_cbranch_execz .LBB257_431
; %bb.428:                              ;   in Loop: Header=BB257_12 Depth=1
	v_and_b32_e32 v9, 7, v1
	v_lshrrev_b32_e32 v81, 3, v83
	s_mov_b32 s43, exec_lo
	v_cmpx_gt_u32_e32 8, v83
; %bb.429:                              ;   in Loop: Header=BB257_12 Depth=1
	v_ffbh_u32_e32 v9, v9
	v_min_u32_e32 v9, 32, v9
	v_subrev_nc_u32_e32 v12, 28, v9
	v_sub_nc_u32_e32 v81, 29, v9
	v_lshlrev_b64 v[83:84], v12, v[1:2]
	v_and_b32_e32 v9, 7, v83
; %bb.430:                              ;   in Loop: Header=BB257_12 Depth=1
	s_or_b32 exec_lo, exec_lo, s43
	v_lshlrev_b32_e32 v1, 8, v1
	v_lshl_add_u32 v12, v81, 10, 0x2000
	v_lshlrev_b32_e32 v9, 23, v9
	v_and_or_b32 v1, 0x8000, v1, v12
	v_lshl_or_b32 v81, v1, 16, v9
.LBB257_431:                            ;   in Loop: Header=BB257_12 Depth=1
	s_or_b32 exec_lo, exec_lo, s42
.LBB257_432:                            ;   in Loop: Header=BB257_12 Depth=1
	s_or_b32 exec_lo, exec_lo, s41
.LBB257_433:                            ;   in Loop: Header=BB257_12 Depth=1
	s_or_b32 exec_lo, exec_lo, s40
	global_load_dword v9, v[7:8], off offset:1544
	v_mov_b32_e32 v83, 0
	v_mov_b32_e32 v84, 0
	s_waitcnt vmcnt(0)
	v_cmp_ne_u16_sdwa s2, v9, v2 src0_sel:BYTE_0 src1_sel:DWORD
	s_and_saveexec_b32 s40, s2
	s_cbranch_execz .LBB257_441
; %bb.434:                              ;   in Loop: Header=BB257_12 Depth=1
	v_cmp_ne_u16_sdwa s2, v9, v22 src0_sel:BYTE_0 src1_sel:DWORD
	v_mov_b32_e32 v84, 0x8000
	s_and_saveexec_b32 s41, s2
	s_cbranch_execz .LBB257_440
; %bb.435:                              ;   in Loop: Header=BB257_12 Depth=1
	v_and_b32_e32 v85, 0x7f, v9
	v_mov_b32_e32 v84, 0x7c01
	s_mov_b32 s42, exec_lo
	v_cmpx_ne_u32_e32 0x7f, v85
	s_cbranch_execz .LBB257_439
; %bb.436:                              ;   in Loop: Header=BB257_12 Depth=1
	v_and_b32_e32 v1, 7, v9
	v_lshrrev_b32_e32 v84, 3, v85
	s_mov_b32 s43, exec_lo
	v_cmpx_gt_u32_e32 8, v85
; %bb.437:                              ;   in Loop: Header=BB257_12 Depth=1
	v_ffbh_u32_e32 v1, v1
	v_min_u32_e32 v1, 32, v1
	v_subrev_nc_u32_e32 v12, 28, v1
	v_sub_nc_u32_e32 v84, 29, v1
	v_lshlrev_b64 v[85:86], v12, v[9:10]
	v_and_b32_e32 v1, 7, v85
; %bb.438:                              ;   in Loop: Header=BB257_12 Depth=1
	s_or_b32 exec_lo, exec_lo, s43
	v_lshlrev_b32_e32 v12, 8, v9
	v_lshl_add_u32 v13, v84, 10, 0x2000
	v_lshlrev_b32_e32 v1, 7, v1
	v_and_b32_e32 v12, 0x8000, v12
	v_and_b32_e32 v13, 0xfc00, v13
	v_or3_b32 v84, v12, v13, v1
.LBB257_439:                            ;   in Loop: Header=BB257_12 Depth=1
	s_or_b32 exec_lo, exec_lo, s42
.LBB257_440:                            ;   in Loop: Header=BB257_12 Depth=1
	s_or_b32 exec_lo, exec_lo, s41
.LBB257_441:                            ;   in Loop: Header=BB257_12 Depth=1
	s_or_b32 exec_lo, exec_lo, s40
	v_lshrrev_b16 v1, 8, v9
	s_mov_b32 s40, exec_lo
	v_cmpx_ne_u16_e32 0, v1
	s_cbranch_execz .LBB257_449
; %bb.442:                              ;   in Loop: Header=BB257_12 Depth=1
	v_bfrev_b32_e32 v83, 1
	s_mov_b32 s41, exec_lo
	v_cmpx_ne_u16_e32 0x80, v1
	s_cbranch_execz .LBB257_448
; %bb.443:                              ;   in Loop: Header=BB257_12 Depth=1
	v_and_b32_sdwa v86, v1, v23 dst_sel:DWORD dst_unused:UNUSED_PAD src0_sel:WORD_0 src1_sel:DWORD
	v_mov_b32_e32 v83, 0x7c010000
	s_mov_b32 s42, exec_lo
	v_cmpx_ne_u32_e32 0x7f, v86
	s_cbranch_execz .LBB257_447
; %bb.444:                              ;   in Loop: Header=BB257_12 Depth=1
	v_and_b32_sdwa v83, v1, v24 dst_sel:DWORD dst_unused:UNUSED_PAD src0_sel:WORD_0 src1_sel:DWORD
	v_lshrrev_b32_e32 v85, 3, v86
	s_mov_b32 s43, exec_lo
	v_cmpx_gt_u32_e32 8, v86
; %bb.445:                              ;   in Loop: Header=BB257_12 Depth=1
	v_ffbh_u32_e32 v12, v83
	v_min_u32_e32 v12, 32, v12
	v_subrev_nc_u32_e32 v13, 28, v12
	v_sub_nc_u32_e32 v85, 29, v12
	v_lshlrev_b64 v[86:87], v13, v[1:2]
	v_and_b32_e32 v83, 7, v86
; %bb.446:                              ;   in Loop: Header=BB257_12 Depth=1
	s_or_b32 exec_lo, exec_lo, s43
	v_lshlrev_b32_sdwa v1, v25, v1 dst_sel:DWORD dst_unused:UNUSED_PAD src0_sel:DWORD src1_sel:WORD_0
	v_lshl_add_u32 v12, v85, 10, 0x2000
	v_and_or_b32 v1, 0x8000, v1, v12
	v_lshlrev_b32_e32 v12, 23, v83
	v_lshl_or_b32 v83, v1, 16, v12
.LBB257_447:                            ;   in Loop: Header=BB257_12 Depth=1
	s_or_b32 exec_lo, exec_lo, s42
.LBB257_448:                            ;   in Loop: Header=BB257_12 Depth=1
	s_or_b32 exec_lo, exec_lo, s41
.LBB257_449:                            ;   in Loop: Header=BB257_12 Depth=1
	s_or_b32 exec_lo, exec_lo, s40
	v_lshrrev_b32_e32 v1, 16, v9
	v_mov_b32_e32 v85, 0
	v_mov_b32_e32 v86, 0
	v_cmp_ne_u16_sdwa s2, v1, v2 src0_sel:BYTE_0 src1_sel:DWORD
	s_and_saveexec_b32 s40, s2
	s_cbranch_execz .LBB257_457
; %bb.450:                              ;   in Loop: Header=BB257_12 Depth=1
	v_cmp_ne_u16_sdwa s2, v1, v22 src0_sel:BYTE_0 src1_sel:DWORD
	v_mov_b32_e32 v86, 0x8000
	s_and_saveexec_b32 s41, s2
	s_cbranch_execz .LBB257_456
; %bb.451:                              ;   in Loop: Header=BB257_12 Depth=1
	v_bfe_u32 v88, v9, 16, 7
	v_mov_b32_e32 v86, 0x7c01
	s_mov_b32 s42, exec_lo
	v_cmpx_ne_u32_e32 0x7f, v88
	s_cbranch_execz .LBB257_455
; %bb.452:                              ;   in Loop: Header=BB257_12 Depth=1
	v_and_b32_e32 v86, 7, v1
	v_lshrrev_b32_e32 v87, 3, v88
	s_mov_b32 s43, exec_lo
	v_cmpx_gt_u32_e32 8, v88
; %bb.453:                              ;   in Loop: Header=BB257_12 Depth=1
	v_ffbh_u32_e32 v12, v86
	v_min_u32_e32 v12, 32, v12
	v_subrev_nc_u32_e32 v13, 28, v12
	v_lshlrev_b64 v[86:87], v13, v[1:2]
	v_sub_nc_u32_e32 v87, 29, v12
	v_and_b32_e32 v86, 7, v86
; %bb.454:                              ;   in Loop: Header=BB257_12 Depth=1
	s_or_b32 exec_lo, exec_lo, s43
	v_lshlrev_b32_e32 v1, 8, v1
	v_lshl_add_u32 v12, v87, 10, 0x2000
	v_lshlrev_b32_e32 v13, 7, v86
	v_and_b32_e32 v1, 0x8000, v1
	v_and_b32_e32 v12, 0xfc00, v12
	v_or3_b32 v86, v1, v12, v13
.LBB257_455:                            ;   in Loop: Header=BB257_12 Depth=1
	s_or_b32 exec_lo, exec_lo, s42
.LBB257_456:                            ;   in Loop: Header=BB257_12 Depth=1
	s_or_b32 exec_lo, exec_lo, s41
.LBB257_457:                            ;   in Loop: Header=BB257_12 Depth=1
	s_or_b32 exec_lo, exec_lo, s40
	s_mov_b32 s40, exec_lo
	v_cmpx_lt_u32_e32 0xffffff, v9
	s_cbranch_execz .LBB257_465
; %bb.458:                              ;   in Loop: Header=BB257_12 Depth=1
	v_lshrrev_b32_e32 v1, 24, v9
	v_bfrev_b32_e32 v85, 1
	s_mov_b32 s41, exec_lo
	v_cmpx_ne_u32_e32 0x80, v1
	s_cbranch_execz .LBB257_464
; %bb.459:                              ;   in Loop: Header=BB257_12 Depth=1
	v_and_b32_e32 v87, 0x7f, v1
	v_mov_b32_e32 v85, 0x7c010000
	s_mov_b32 s42, exec_lo
	v_cmpx_ne_u32_e32 0x7f, v87
	s_cbranch_execz .LBB257_463
; %bb.460:                              ;   in Loop: Header=BB257_12 Depth=1
	v_and_b32_e32 v9, 7, v1
	v_lshrrev_b32_e32 v85, 3, v87
	s_mov_b32 s43, exec_lo
	v_cmpx_gt_u32_e32 8, v87
; %bb.461:                              ;   in Loop: Header=BB257_12 Depth=1
	v_ffbh_u32_e32 v9, v9
	v_min_u32_e32 v9, 32, v9
	v_subrev_nc_u32_e32 v12, 28, v9
	v_sub_nc_u32_e32 v85, 29, v9
	v_lshlrev_b64 v[87:88], v12, v[1:2]
	v_and_b32_e32 v9, 7, v87
; %bb.462:                              ;   in Loop: Header=BB257_12 Depth=1
	s_or_b32 exec_lo, exec_lo, s43
	v_lshlrev_b32_e32 v1, 8, v1
	v_lshl_add_u32 v12, v85, 10, 0x2000
	v_lshlrev_b32_e32 v9, 23, v9
	v_and_or_b32 v1, 0x8000, v1, v12
	v_lshl_or_b32 v85, v1, 16, v9
.LBB257_463:                            ;   in Loop: Header=BB257_12 Depth=1
	s_or_b32 exec_lo, exec_lo, s42
.LBB257_464:                            ;   in Loop: Header=BB257_12 Depth=1
	s_or_b32 exec_lo, exec_lo, s41
.LBB257_465:                            ;   in Loop: Header=BB257_12 Depth=1
	s_or_b32 exec_lo, exec_lo, s40
	global_load_dword v7, v[7:8], off offset:1792
	v_mov_b32_e32 v8, 0
	v_mov_b32_e32 v9, 0
	s_waitcnt vmcnt(0)
	v_cmp_ne_u16_sdwa s2, v7, v2 src0_sel:BYTE_0 src1_sel:DWORD
	s_and_saveexec_b32 s40, s2
	s_cbranch_execz .LBB257_473
; %bb.466:                              ;   in Loop: Header=BB257_12 Depth=1
	v_cmp_ne_u16_sdwa s2, v7, v22 src0_sel:BYTE_0 src1_sel:DWORD
	v_mov_b32_e32 v9, 0x8000
	s_and_saveexec_b32 s41, s2
	s_cbranch_execz .LBB257_472
; %bb.467:                              ;   in Loop: Header=BB257_12 Depth=1
	v_and_b32_e32 v87, 0x7f, v7
	v_mov_b32_e32 v9, 0x7c01
	s_mov_b32 s42, exec_lo
	v_cmpx_ne_u32_e32 0x7f, v87
	s_cbranch_execz .LBB257_471
; %bb.468:                              ;   in Loop: Header=BB257_12 Depth=1
	v_and_b32_e32 v1, 7, v7
	v_lshrrev_b32_e32 v9, 3, v87
	s_mov_b32 s43, exec_lo
	v_cmpx_gt_u32_e32 8, v87
; %bb.469:                              ;   in Loop: Header=BB257_12 Depth=1
	v_ffbh_u32_e32 v1, v1
	v_min_u32_e32 v1, 32, v1
	v_subrev_nc_u32_e32 v9, 28, v1
	v_lshlrev_b64 v[87:88], v9, v[7:8]
	v_sub_nc_u32_e32 v9, 29, v1
	v_and_b32_e32 v1, 7, v87
; %bb.470:                              ;   in Loop: Header=BB257_12 Depth=1
	s_or_b32 exec_lo, exec_lo, s43
	v_lshlrev_b32_e32 v12, 8, v7
	v_lshl_add_u32 v9, v9, 10, 0x2000
	v_lshlrev_b32_e32 v1, 7, v1
	v_and_b32_e32 v12, 0x8000, v12
	v_and_b32_e32 v9, 0xfc00, v9
	v_or3_b32 v9, v12, v9, v1
.LBB257_471:                            ;   in Loop: Header=BB257_12 Depth=1
	s_or_b32 exec_lo, exec_lo, s42
.LBB257_472:                            ;   in Loop: Header=BB257_12 Depth=1
	s_or_b32 exec_lo, exec_lo, s41
.LBB257_473:                            ;   in Loop: Header=BB257_12 Depth=1
	s_or_b32 exec_lo, exec_lo, s40
	v_lshrrev_b16 v1, 8, v7
	s_mov_b32 s40, exec_lo
	v_cmpx_ne_u16_e32 0, v1
	s_cbranch_execz .LBB257_481
; %bb.474:                              ;   in Loop: Header=BB257_12 Depth=1
	v_bfrev_b32_e32 v8, 1
	s_mov_b32 s41, exec_lo
	v_cmpx_ne_u16_e32 0x80, v1
	s_cbranch_execz .LBB257_480
; %bb.475:                              ;   in Loop: Header=BB257_12 Depth=1
	v_and_b32_sdwa v88, v1, v23 dst_sel:DWORD dst_unused:UNUSED_PAD src0_sel:WORD_0 src1_sel:DWORD
	v_mov_b32_e32 v8, 0x7c010000
	s_mov_b32 s42, exec_lo
	v_cmpx_ne_u32_e32 0x7f, v88
	s_cbranch_execz .LBB257_479
; %bb.476:                              ;   in Loop: Header=BB257_12 Depth=1
	v_and_b32_sdwa v8, v1, v24 dst_sel:DWORD dst_unused:UNUSED_PAD src0_sel:WORD_0 src1_sel:DWORD
	v_lshrrev_b32_e32 v87, 3, v88
	s_mov_b32 s43, exec_lo
	v_cmpx_gt_u32_e32 8, v88
; %bb.477:                              ;   in Loop: Header=BB257_12 Depth=1
	v_ffbh_u32_e32 v8, v8
	v_min_u32_e32 v8, 32, v8
	v_subrev_nc_u32_e32 v12, 28, v8
	v_sub_nc_u32_e32 v87, 29, v8
	v_lshlrev_b64 v[88:89], v12, v[1:2]
	v_and_b32_e32 v8, 7, v88
; %bb.478:                              ;   in Loop: Header=BB257_12 Depth=1
	s_or_b32 exec_lo, exec_lo, s43
	v_lshlrev_b32_sdwa v1, v25, v1 dst_sel:DWORD dst_unused:UNUSED_PAD src0_sel:DWORD src1_sel:WORD_0
	v_lshl_add_u32 v12, v87, 10, 0x2000
	v_lshlrev_b32_e32 v8, 23, v8
	v_and_or_b32 v1, 0x8000, v1, v12
	v_lshl_or_b32 v8, v1, 16, v8
.LBB257_479:                            ;   in Loop: Header=BB257_12 Depth=1
	s_or_b32 exec_lo, exec_lo, s42
.LBB257_480:                            ;   in Loop: Header=BB257_12 Depth=1
	s_or_b32 exec_lo, exec_lo, s41
.LBB257_481:                            ;   in Loop: Header=BB257_12 Depth=1
	s_or_b32 exec_lo, exec_lo, s40
	v_lshrrev_b32_e32 v1, 16, v7
	v_mov_b32_e32 v87, 0
	v_mov_b32_e32 v88, 0
	v_cmp_ne_u16_sdwa s2, v1, v2 src0_sel:BYTE_0 src1_sel:DWORD
	s_and_saveexec_b32 s40, s2
	s_cbranch_execz .LBB257_489
; %bb.482:                              ;   in Loop: Header=BB257_12 Depth=1
	v_cmp_ne_u16_sdwa s2, v1, v22 src0_sel:BYTE_0 src1_sel:DWORD
	v_mov_b32_e32 v88, 0x8000
	s_and_saveexec_b32 s41, s2
	s_cbranch_execz .LBB257_488
; %bb.483:                              ;   in Loop: Header=BB257_12 Depth=1
	v_bfe_u32 v90, v7, 16, 7
	v_mov_b32_e32 v88, 0x7c01
	s_mov_b32 s42, exec_lo
	v_cmpx_ne_u32_e32 0x7f, v90
	s_cbranch_execz .LBB257_487
; %bb.484:                              ;   in Loop: Header=BB257_12 Depth=1
	v_and_b32_e32 v88, 7, v1
	v_lshrrev_b32_e32 v89, 3, v90
	s_mov_b32 s43, exec_lo
	v_cmpx_gt_u32_e32 8, v90
; %bb.485:                              ;   in Loop: Header=BB257_12 Depth=1
	v_ffbh_u32_e32 v12, v88
	v_min_u32_e32 v12, 32, v12
	v_subrev_nc_u32_e32 v13, 28, v12
	v_lshlrev_b64 v[88:89], v13, v[1:2]
	v_sub_nc_u32_e32 v89, 29, v12
	v_and_b32_e32 v88, 7, v88
; %bb.486:                              ;   in Loop: Header=BB257_12 Depth=1
	s_or_b32 exec_lo, exec_lo, s43
	v_lshlrev_b32_e32 v1, 8, v1
	v_lshl_add_u32 v12, v89, 10, 0x2000
	v_lshlrev_b32_e32 v13, 7, v88
	v_and_b32_e32 v1, 0x8000, v1
	v_and_b32_e32 v12, 0xfc00, v12
	v_or3_b32 v88, v1, v12, v13
.LBB257_487:                            ;   in Loop: Header=BB257_12 Depth=1
	s_or_b32 exec_lo, exec_lo, s42
.LBB257_488:                            ;   in Loop: Header=BB257_12 Depth=1
	s_or_b32 exec_lo, exec_lo, s41
.LBB257_489:                            ;   in Loop: Header=BB257_12 Depth=1
	s_or_b32 exec_lo, exec_lo, s40
	s_mov_b32 s40, exec_lo
	v_cmpx_lt_u32_e32 0xffffff, v7
	s_cbranch_execz .LBB257_497
; %bb.490:                              ;   in Loop: Header=BB257_12 Depth=1
	v_lshrrev_b32_e32 v1, 24, v7
	v_bfrev_b32_e32 v87, 1
	s_mov_b32 s41, exec_lo
	v_cmpx_ne_u32_e32 0x80, v1
	s_cbranch_execz .LBB257_496
; %bb.491:                              ;   in Loop: Header=BB257_12 Depth=1
	v_and_b32_e32 v89, 0x7f, v1
	v_mov_b32_e32 v87, 0x7c010000
	s_mov_b32 s42, exec_lo
	v_cmpx_ne_u32_e32 0x7f, v89
	s_cbranch_execz .LBB257_495
; %bb.492:                              ;   in Loop: Header=BB257_12 Depth=1
	v_and_b32_e32 v7, 7, v1
	v_lshrrev_b32_e32 v87, 3, v89
	s_mov_b32 s43, exec_lo
	v_cmpx_gt_u32_e32 8, v89
; %bb.493:                              ;   in Loop: Header=BB257_12 Depth=1
	v_ffbh_u32_e32 v7, v7
	v_min_u32_e32 v7, 32, v7
	v_subrev_nc_u32_e32 v12, 28, v7
	v_sub_nc_u32_e32 v87, 29, v7
	v_lshlrev_b64 v[89:90], v12, v[1:2]
	v_and_b32_e32 v7, 7, v89
; %bb.494:                              ;   in Loop: Header=BB257_12 Depth=1
	s_or_b32 exec_lo, exec_lo, s43
	v_lshlrev_b32_e32 v1, 8, v1
	v_lshl_add_u32 v12, v87, 10, 0x2000
	v_lshlrev_b32_e32 v7, 23, v7
	v_and_or_b32 v1, 0x8000, v1, v12
	v_lshl_or_b32 v87, v1, 16, v7
.LBB257_495:                            ;   in Loop: Header=BB257_12 Depth=1
	s_or_b32 exec_lo, exec_lo, s42
.LBB257_496:                            ;   in Loop: Header=BB257_12 Depth=1
	s_or_b32 exec_lo, exec_lo, s41
.LBB257_497:                            ;   in Loop: Header=BB257_12 Depth=1
	s_or_b32 exec_lo, exec_lo, s40
	ds_read_b64 v[89:90], v19
	v_or_b32_e32 v1, v31, v32
	v_or_b32_e32 v7, v33, v34
	v_fma_mixlo_f16 v12, v30, v31, 0 op_sel:[0,1,0] op_sel_hi:[0,1,0]
	v_fma_mixlo_f16 v13, v30, v33, 0 op_sel:[0,1,0] op_sel_hi:[0,1,0]
	v_or_b32_e32 v72, v71, v72
	v_fma_mixlo_f16 v1, v30, v1, 0 op_sel_hi:[0,1,0]
	v_fma_mixlo_f16 v7, v30, v7, 0 op_sel_hi:[0,1,0]
	v_and_b32_e32 v12, 0xffff, v12
	v_and_b32_e32 v13, 0xffff, v13
	v_or_b32_e32 v74, v73, v74
	v_and_b32_e32 v1, 0xffff, v1
	v_and_b32_e32 v33, 0xffff, v7
	v_fma_mixlo_f16 v71, v30, v71, 0 op_sel:[0,1,0] op_sel_hi:[0,1,0]
	v_fma_mixlo_f16 v73, v30, v73, 0 op_sel:[0,1,0] op_sel_hi:[0,1,0]
	v_fma_mixlo_f16 v72, v30, v72, 0 op_sel_hi:[0,1,0]
	v_fma_mixlo_f16 v74, v30, v74, 0 op_sel_hi:[0,1,0]
	v_or_b32_e32 v76, v75, v76
	v_or_b32_e32 v78, v77, v78
	v_fma_mixlo_f16 v75, v30, v75, 0 op_sel:[0,1,0] op_sel_hi:[0,1,0]
	s_waitcnt lgkmcnt(0)
	v_and_b32_e32 v31, 0xffff, v89
	v_lshrrev_b32_e32 v32, 16, v89
	v_lshrrev_b32_e32 v34, 16, v90
	v_and_b32_e32 v7, 0xffff, v90
	;;#ASMSTART
	v_cvt_f32_f16 v96, v31;
	;;#ASMEND
	;;#ASMSTART
	v_cvt_f32_f16 v94, v32;
	;;#ASMEND
	;; [unrolled: 3-line block ×8, first 2 shown]
	ds_read_b64 v[33:34], v19 offset:8
	v_or_b32_e32 v12, v35, v36
	v_or_b32_e32 v13, v37, v38
	v_fma_mixlo_f16 v35, v30, v35, 0 op_sel:[0,1,0] op_sel_hi:[0,1,0]
	v_fma_mixlo_f16 v36, v30, v37, 0 op_sel:[0,1,0] op_sel_hi:[0,1,0]
	v_fma_mixlo_f16 v76, v30, v76, 0 op_sel_hi:[0,1,0]
	v_fma_mixlo_f16 v12, v30, v12, 0 op_sel_hi:[0,1,0]
	v_fma_mixlo_f16 v13, v30, v13, 0 op_sel_hi:[0,1,0]
	v_and_b32_e32 v35, 0xffff, v35
	v_and_b32_e32 v36, 0xffff, v36
	v_fma_mixlo_f16 v78, v30, v78, 0 op_sel_hi:[0,1,0]
	v_and_b32_e32 v12, 0xffff, v12
	v_and_b32_e32 v13, 0xffff, v13
	v_fma_mixlo_f16 v77, v30, v77, 0 op_sel:[0,1,0] op_sel_hi:[0,1,0]
	v_and_b32_e32 v76, 0xffff, v76
	v_or_b32_e32 v82, v81, v82
	v_or_b32_e32 v80, v79, v80
	v_fma_mixlo_f16 v79, v30, v79, 0 op_sel:[0,1,0] op_sel_hi:[0,1,0]
	v_fma_mixlo_f16 v81, v30, v81, 0 op_sel:[0,1,0] op_sel_hi:[0,1,0]
	v_or_b32_e32 v86, v85, v86
	s_waitcnt lgkmcnt(0)
	v_and_b32_e32 v37, 0xffff, v33
	v_lshrrev_b32_e32 v33, 16, v33
	v_lshrrev_b32_e32 v38, 16, v34
	v_and_b32_e32 v34, 0xffff, v34
	;;#ASMSTART
	v_cvt_f32_f16 v117, v37;
	;;#ASMEND
	;;#ASMSTART
	v_cvt_f32_f16 v118, v33;
	;;#ASMEND
	;; [unrolled: 3-line block ×8, first 2 shown]
	ds_read_b64 v[33:34], v19 offset:16
	v_or_b32_e32 v12, v39, v40
	v_or_b32_e32 v13, v41, v42
	v_fma_mixlo_f16 v35, v30, v39, 0 op_sel:[0,1,0] op_sel_hi:[0,1,0]
	v_fma_mixlo_f16 v36, v30, v41, 0 op_sel:[0,1,0] op_sel_hi:[0,1,0]
	v_fma_mixlo_f16 v82, v30, v82, 0 op_sel_hi:[0,1,0]
	v_fma_mixlo_f16 v12, v30, v12, 0 op_sel_hi:[0,1,0]
	;; [unrolled: 1-line block ×3, first 2 shown]
	v_and_b32_e32 v37, 0xffff, v35
	v_and_b32_e32 v40, 0xffff, v36
	v_fma_mixlo_f16 v85, v30, v85, 0 op_sel:[0,1,0] op_sel_hi:[0,1,0]
	v_and_b32_e32 v12, 0xffff, v12
	v_and_b32_e32 v13, 0xffff, v13
	s_waitcnt lgkmcnt(0)
	v_and_b32_e32 v35, 0xffff, v33
	v_lshrrev_b32_e32 v36, 16, v33
	v_lshrrev_b32_e32 v38, 16, v34
	v_and_b32_e32 v39, 0xffff, v34
	;;#ASMSTART
	v_cvt_f32_f16 v33, v35;
	;;#ASMEND
	;;#ASMSTART
	v_cvt_f32_f16 v34, v36;
	;;#ASMEND
	;;#ASMSTART
	v_cvt_f32_f16 v35, v12;
	;;#ASMEND
	;;#ASMSTART
	v_cvt_f32_f16 v36, v37;
	;;#ASMEND
	;;#ASMSTART
	v_cvt_f32_f16 v37, v39;
	;;#ASMEND
	;;#ASMSTART
	v_cvt_f32_f16 v38, v38;
	;;#ASMEND
	;;#ASMSTART
	v_cvt_f32_f16 v39, v13;
	;;#ASMEND
	;;#ASMSTART
	v_cvt_f32_f16 v40, v40;
	;;#ASMEND
	ds_read_b64 v[41:42], v19 offset:24
	v_or_b32_e32 v12, v43, v44
	v_or_b32_e32 v13, v45, v46
	v_fma_mixlo_f16 v43, v30, v43, 0 op_sel:[0,1,0] op_sel_hi:[0,1,0]
	v_fma_mixlo_f16 v44, v30, v45, 0 op_sel:[0,1,0] op_sel_hi:[0,1,0]
	v_fma_mixlo_f16 v12, v30, v12, 0 op_sel_hi:[0,1,0]
	v_fma_mixlo_f16 v13, v30, v13, 0 op_sel_hi:[0,1,0]
	v_and_b32_e32 v45, 0xffff, v43
	v_and_b32_e32 v90, 0xffff, v44
	v_and_b32_e32 v12, 0xffff, v12
	v_and_b32_e32 v13, 0xffff, v13
	s_waitcnt lgkmcnt(0)
	v_and_b32_e32 v43, 0xffff, v41
	v_lshrrev_b32_e32 v44, 16, v41
	v_lshrrev_b32_e32 v46, 16, v42
	v_and_b32_e32 v89, 0xffff, v42
	;;#ASMSTART
	v_cvt_f32_f16 v41, v43;
	;;#ASMEND
	;;#ASMSTART
	v_cvt_f32_f16 v42, v44;
	;;#ASMEND
	;;#ASMSTART
	v_cvt_f32_f16 v43, v12;
	;;#ASMEND
	;;#ASMSTART
	v_cvt_f32_f16 v44, v45;
	;;#ASMEND
	;;#ASMSTART
	v_cvt_f32_f16 v45, v89;
	;;#ASMEND
	;;#ASMSTART
	v_cvt_f32_f16 v46, v46;
	;;#ASMEND
	;;#ASMSTART
	v_cvt_f32_f16 v89, v13;
	;;#ASMEND
	;;#ASMSTART
	v_cvt_f32_f16 v90, v90;
	;;#ASMEND
	ds_read_b64 v[91:92], v19 offset:32
	v_or_b32_e32 v12, v47, v48
	v_or_b32_e32 v13, v49, v50
	v_fma_mixlo_f16 v47, v30, v47, 0 op_sel:[0,1,0] op_sel_hi:[0,1,0]
	v_fma_mixlo_f16 v48, v30, v49, 0 op_sel:[0,1,0] op_sel_hi:[0,1,0]
	v_fma_mixlo_f16 v12, v30, v12, 0 op_sel_hi:[0,1,0]
	v_fma_mixlo_f16 v13, v30, v13, 0 op_sel_hi:[0,1,0]
	v_and_b32_e32 v50, 0xffff, v47
	v_and_b32_e32 v95, 0xffff, v48
	;; [unrolled: 40-line block ×5, first 2 shown]
	v_and_b32_e32 v12, 0xffff, v12
	v_and_b32_e32 v13, 0xffff, v13
	s_waitcnt lgkmcnt(0)
	v_lshrrev_b32_e32 v111, 16, v108
	v_and_b32_e32 v110, 0xffff, v108
	v_and_b32_e32 v61, 0xffff, v107
	v_lshrrev_b32_e32 v62, 16, v107
	;;#ASMSTART
	v_cvt_f32_f16 v108, v61;
	;;#ASMEND
	;;#ASMSTART
	v_cvt_f32_f16 v107, v62;
	;;#ASMEND
	;; [unrolled: 3-line block ×8, first 2 shown]
	ds_read_b64 v[59:60], v19 offset:64
	v_or_b32_e32 v12, v63, v64
	v_or_b32_e32 v13, v65, v66
	v_fma_mixlo_f16 v61, v30, v63, 0 op_sel:[0,1,0] op_sel_hi:[0,1,0]
	v_fma_mixlo_f16 v62, v30, v65, 0 op_sel:[0,1,0] op_sel_hi:[0,1,0]
	v_fma_mixlo_f16 v12, v30, v12, 0 op_sel_hi:[0,1,0]
	v_fma_mixlo_f16 v13, v30, v13, 0 op_sel_hi:[0,1,0]
	v_and_b32_e32 v61, 0xffff, v61
	v_and_b32_e32 v62, 0xffff, v62
	;; [unrolled: 1-line block ×4, first 2 shown]
	s_waitcnt lgkmcnt(0)
	v_and_b32_e32 v63, 0xffff, v59
	v_lshrrev_b32_e32 v123, 16, v60
	v_lshrrev_b32_e32 v59, 16, v59
	v_and_b32_e32 v60, 0xffff, v60
	;;#ASMSTART
	v_cvt_f32_f16 v64, v63;
	;;#ASMEND
	;;#ASMSTART
	v_cvt_f32_f16 v63, v59;
	;;#ASMEND
	;; [unrolled: 3-line block ×8, first 2 shown]
	ds_read_b64 v[12:13], v19 offset:72
	v_or_b32_e32 v59, v67, v68
	v_or_b32_e32 v60, v69, v70
	v_fma_mixlo_f16 v61, v30, v67, 0 op_sel:[0,1,0] op_sel_hi:[0,1,0]
	v_fma_mixlo_f16 v62, v30, v69, 0 op_sel:[0,1,0] op_sel_hi:[0,1,0]
	v_fma_mixlo_f16 v59, v30, v59, 0 op_sel_hi:[0,1,0]
	v_fma_mixlo_f16 v60, v30, v60, 0 op_sel_hi:[0,1,0]
	v_and_b32_e32 v67, 0xffff, v61
	v_and_b32_e32 v68, 0xffff, v62
	v_mul_f32_e32 v61, v117, v119
	v_and_b32_e32 v70, 0xffff, v59
	v_and_b32_e32 v10, 0xffff, v60
	v_mul_f32_e32 v60, v115, v116
	v_mul_f32_e32 v62, v118, v120
	v_and_b32_e32 v120, 0xffff, v73
	v_and_b32_e32 v73, 0xffff, v72
	v_fmac_f32_e32 v61, v96, v98
	v_mul_f32_e32 v59, v121, v122
	v_or_b32_e32 v119, v83, v84
	s_waitcnt lgkmcnt(0)
	v_and_b32_e32 v69, 0xffff, v12
	v_lshrrev_b32_e32 v12, 16, v12
	v_lshrrev_b32_e32 v116, 16, v13
	v_and_b32_e32 v13, 0xffff, v13
	;;#ASMSTART
	v_cvt_f32_f16 v117, v69;
	;;#ASMEND
	;;#ASMSTART
	v_cvt_f32_f16 v69, v12;
	;;#ASMEND
	;; [unrolled: 3-line block ×8, first 2 shown]
	ds_read_b64 v[12:13], v19 offset:80
	v_and_b32_e32 v10, 0xffff, v71
	v_and_b32_e32 v121, 0xffff, v74
	v_fmac_f32_e32 v62, v94, v97
	v_and_b32_e32 v98, 0xffff, v78
	v_fmac_f32_e32 v59, v7, v32
	v_fmac_f32_e32 v60, v1, v31
	v_fmac_f32_e32 v61, v33, v35
	v_fmac_f32_e32 v62, v34, v36
	v_fma_mixlo_f16 v83, v30, v83, 0 op_sel:[0,1,0] op_sel_hi:[0,1,0]
	v_fmac_f32_e32 v59, v37, v39
	v_fmac_f32_e32 v60, v38, v40
	;; [unrolled: 1-line block ×4, first 2 shown]
	v_and_b32_e32 v39, 0xffff, v82
	v_fmac_f32_e32 v59, v45, v89
	v_fmac_f32_e32 v60, v46, v90
	;; [unrolled: 1-line block ×4, first 2 shown]
	v_and_b32_e32 v47, 0xffff, v85
	s_waitcnt lgkmcnt(0)
	v_and_b32_e32 v71, 0xffff, v12
	v_lshrrev_b32_e32 v12, 16, v12
	v_lshrrev_b32_e32 v96, 16, v13
	v_and_b32_e32 v13, 0xffff, v13
	;;#ASMSTART
	v_cvt_f32_f16 v71, v71;
	;;#ASMEND
	;;#ASMSTART
	v_cvt_f32_f16 v72, v12;
	;;#ASMEND
	;; [unrolled: 3-line block ×8, first 2 shown]
	ds_read_b64 v[12:13], v19 offset:88
	v_and_b32_e32 v10, 0xffff, v75
	v_and_b32_e32 v120, 0xffff, v77
	v_fma_mixlo_f16 v75, v30, v119, 0 op_sel_hi:[0,1,0]
	v_fmac_f32_e32 v59, v91, v93
	v_fmac_f32_e32 v61, v101, v102
	;; [unrolled: 1-line block ×4, first 2 shown]
	v_or_b32_e32 v48, v87, v88
	v_fmac_f32_e32 v59, v53, v99
	v_fmac_f32_e32 v61, v56, v104
	;; [unrolled: 1-line block ×9, first 2 shown]
	s_waitcnt lgkmcnt(0)
	v_and_b32_e32 v7, 0xffff, v12
	v_lshrrev_b32_e32 v12, 16, v12
	v_lshrrev_b32_e32 v78, 16, v13
	v_and_b32_e32 v13, 0xffff, v13
	;;#ASMSTART
	v_cvt_f32_f16 v1, v7;
	;;#ASMEND
	;;#ASMSTART
	v_cvt_f32_f16 v31, v12;
	;;#ASMEND
	;; [unrolled: 3-line block ×8, first 2 shown]
	ds_read_b64 v[12:13], v19 offset:96
	v_fma_mixlo_f16 v7, v30, v80, 0 op_sel_hi:[0,1,0]
	v_and_b32_e32 v10, 0xffff, v79
	v_and_b32_e32 v79, 0xffff, v81
	v_fmac_f32_e32 v61, v64, v124
	v_fmac_f32_e32 v62, v63, v65
	v_and_b32_e32 v7, 0xffff, v7
	v_fma_mixlo_f16 v80, v30, v86, 0 op_sel_hi:[0,1,0]
	v_fmac_f32_e32 v60, v111, v114
	v_fmac_f32_e32 v59, v66, v125
	;; [unrolled: 1-line block ×4, first 2 shown]
	v_and_b32_e32 v46, 0xffff, v80
	v_fmac_f32_e32 v60, v123, v126
	v_fmac_f32_e32 v59, v115, v116
	;; [unrolled: 1-line block ×6, first 2 shown]
	s_waitcnt lgkmcnt(0)
	v_and_b32_e32 v33, 0xffff, v12
	v_lshrrev_b32_e32 v12, 16, v12
	v_lshrrev_b32_e32 v38, 16, v13
	v_and_b32_e32 v13, 0xffff, v13
	;;#ASMSTART
	v_cvt_f32_f16 v33, v33;
	;;#ASMEND
	;;#ASMSTART
	v_cvt_f32_f16 v34, v12;
	;;#ASMEND
	;; [unrolled: 3-line block ×8, first 2 shown]
	ds_read_b64 v[12:13], v19 offset:104
	v_or_b32_e32 v7, v8, v9
	v_fma_mixlo_f16 v9, v30, v8, 0 op_sel:[0,1,0] op_sel_hi:[0,1,0]
	v_and_b32_e32 v10, 0xffff, v75
	v_fmac_f32_e32 v61, v1, v32
	v_fmac_f32_e32 v62, v31, v76
	v_fma_mixlo_f16 v41, v30, v7, 0 op_sel_hi:[0,1,0]
	v_fmac_f32_e32 v60, v73, v96
	v_fmac_f32_e32 v59, v77, v98
	;; [unrolled: 1-line block ×4, first 2 shown]
	v_fma_mixlo_f16 v1, v30, v48, 0 op_sel_hi:[0,1,0]
	v_fmac_f32_e32 v60, v78, v119
	v_fmac_f32_e32 v59, v37, v39
	v_and_b32_e32 v31, 0xffff, v9
	v_fma_mixlo_f16 v30, v30, v87, 0 op_sel:[0,1,0] op_sel_hi:[0,1,0]
	v_fmac_f32_e32 v60, v38, v40
	s_waitcnt lgkmcnt(0)
	v_and_b32_e32 v7, 0xffff, v12
	v_lshrrev_b32_e32 v8, 16, v12
	;;#ASMSTART
	v_cvt_f32_f16 v12, v7;
	;;#ASMEND
	;;#ASMSTART
	v_cvt_f32_f16 v42, v8;
	;;#ASMEND
	v_and_b32_e32 v7, 0xffff, v83
	v_and_b32_e32 v8, 0xffff, v13
	;;#ASMSTART
	v_cvt_f32_f16 v43, v10;
	;;#ASMEND
	v_lshrrev_b32_e32 v10, 16, v13
	;;#ASMSTART
	v_cvt_f32_f16 v13, v7;
	;;#ASMEND
	;;#ASMSTART
	v_cvt_f32_f16 v44, v8;
	;;#ASMEND
	;; [unrolled: 3-line block ×5, first 2 shown]
	ds_read_b64 v[7:8], v19 offset:112
	v_fmac_f32_e32 v61, v12, v43
	v_fmac_f32_e32 v62, v42, v13
	v_and_b32_e32 v13, 0xffff, v41
	v_fmac_f32_e32 v59, v44, v46
	v_fmac_f32_e32 v60, v45, v47
	s_waitcnt lgkmcnt(0)
	v_and_b32_e32 v10, 0xffff, v7
	v_lshrrev_b32_e32 v12, 16, v7
	;;#ASMSTART
	v_cvt_f32_f16 v7, v10;
	;;#ASMEND
	v_and_b32_e32 v10, 0xffff, v8
	v_lshrrev_b32_e32 v8, 16, v8
	;;#ASMSTART
	v_cvt_f32_f16 v9, v12;
	;;#ASMEND
	;;#ASMSTART
	v_cvt_f32_f16 v12, v13;
	;;#ASMEND
	;; [unrolled: 3-line block ×3, first 2 shown]
	v_and_b32_e32 v31, 0xffff, v1
	v_fmac_f32_e32 v61, v7, v12
	v_fmac_f32_e32 v62, v9, v13
	;;#ASMSTART
	v_cvt_f32_f16 v1, v10;
	;;#ASMEND
	;;#ASMSTART
	v_cvt_f32_f16 v7, v8;
	;;#ASMEND
	v_xor_b32_e32 v8, 1, v15
	;;#ASMSTART
	v_cvt_f32_f16 v9, v31;
	;;#ASMEND
	v_fmac_f32_e32 v59, v1, v9
	v_add_f32_e32 v1, v61, v62
	v_and_b32_e32 v10, 0xffff, v30
	v_cmp_gt_i32_e64 s2, 32, v8
	;;#ASMSTART
	v_cvt_f32_f16 v9, v10;
	;;#ASMEND
	v_fmac_f32_e32 v60, v7, v9
	v_add_f32_e32 v1, v1, v59
	v_cndmask_b32_e64 v7, v15, v8, s2
	v_add_f32_e32 v1, v60, v1
	v_lshlrev_b32_e32 v7, 2, v7
	ds_bpermute_b32 v7, v7, v1
	s_and_saveexec_b32 s40, vcc_lo
	s_cbranch_execz .LBB257_10
; %bb.498:                              ;   in Loop: Header=BB257_12 Depth=1
	v_add_nc_u32_e32 v8, v26, v20
	s_waitcnt lgkmcnt(0)
	v_add_f32_e32 v1, v1, v7
	v_cvt_f32_i32_e32 v8, v8
	v_mul_f32_e32 v8, s36, v8
	v_cndmask_b32_e64 v7, 0, v8, s1
	v_max_f32_e32 v8, v18, v18
	v_fmac_f32_e32 v7, s35, v1
	v_add_nc_u32_e32 v1, v16, v20
	v_max_f32_e32 v8, v8, v7
	v_cmp_gt_i32_e64 s2, s33, v1
	v_cndmask_b32_e64 v1, 0, v7, s2
	v_cndmask_b32_e64 v18, v18, v8, s2
	ds_write_b32 v27, v1
	s_branch .LBB257_10
.LBB257_499:
	s_or_b32 exec_lo, exec_lo, s38
	v_and_b32_e32 v27, 1, v0
	v_lshlrev_b32_e32 v10, 3, v0
.LBB257_500:
	s_or_b32 exec_lo, exec_lo, s37
	v_xor_b32_e32 v1, 16, v15
	v_xor_b32_e32 v2, 8, v15
	v_max_f32_e32 v4, v18, v18
	v_cmp_gt_i32_e32 vcc_lo, 32, v1
	v_cndmask_b32_e32 v1, v15, v1, vcc_lo
	v_cmp_gt_i32_e32 vcc_lo, 32, v2
	v_lshlrev_b32_e32 v3, 2, v1
	v_cndmask_b32_e32 v2, v15, v2, vcc_lo
	ds_bpermute_b32 v1, v3, v18
	v_lshlrev_b32_e32 v5, 2, v2
	s_waitcnt lgkmcnt(0)
	v_max_f32_e32 v1, v1, v1
	v_max_f32_e32 v1, v4, v1
	v_xor_b32_e32 v4, 4, v15
	ds_bpermute_b32 v2, v5, v1
	v_cmp_gt_i32_e32 vcc_lo, 32, v4
	v_cndmask_b32_e32 v4, v15, v4, vcc_lo
	v_lshlrev_b32_e32 v6, 2, v4
	v_xor_b32_e32 v4, 2, v15
	v_cmp_gt_i32_e32 vcc_lo, 32, v4
	s_waitcnt lgkmcnt(0)
	v_max_f32_e32 v2, v2, v2
	v_cndmask_b32_e32 v7, v15, v4, vcc_lo
	v_max_f32_e32 v1, v1, v2
	ds_bpermute_b32 v2, v6, v1
	s_waitcnt lgkmcnt(0)
	v_max_f32_e32 v2, v2, v2
	v_max_f32_e32 v4, v1, v2
	v_lshlrev_b32_e32 v2, 2, v7
	v_and_b32_e32 v1, 31, v0
	v_lshlrev_b32_e32 v7, 2, v127
	ds_bpermute_b32 v8, v2, v4
	v_cmp_eq_u32_e32 vcc_lo, 0, v1
	s_and_saveexec_b32 s1, vcc_lo
	s_cbranch_execz .LBB257_502
; %bb.501:
	s_waitcnt lgkmcnt(0)
	v_max_f32_e32 v8, v8, v8
	v_max_f32_e32 v4, v4, v4
	v_max_f32_e32 v4, v4, v8
	ds_write_b32 v7, v4 offset:240
.LBB257_502:
	s_or_b32 exec_lo, exec_lo, s1
	v_cmp_gt_u32_e64 s1, 4, v1
	v_mov_b32_e32 v4, 0xff7fffff
	s_waitcnt lgkmcnt(0)
	v_lshlrev_b32_e32 v8, 2, v1
	s_barrier
	buffer_gl0_inv
	s_and_saveexec_b32 s2, s1
; %bb.503:
	ds_read_b32 v4, v8 offset:240
; %bb.504:
	s_or_b32 exec_lo, exec_lo, s2
	s_waitcnt lgkmcnt(0)
	ds_bpermute_b32 v9, v2, v4
	v_xor_b32_e32 v12, 1, v15
	v_max_f32_e32 v4, v4, v4
	v_cmp_gt_i32_e64 s2, 32, v12
	v_cndmask_b32_e64 v12, v15, v12, s2
	s_lshl_b32 s2, s20, 4
	s_min_i32 s4, s2, s33
	v_lshlrev_b32_e32 v16, 2, v12
	v_cmp_gt_i32_e64 s2, s4, v0
	s_waitcnt lgkmcnt(0)
	v_max_f32_e32 v9, v9, v9
	v_max_f32_e32 v4, v4, v9
	ds_bpermute_b32 v9, v16, v4
	s_waitcnt lgkmcnt(0)
	v_max_f32_e32 v9, v9, v9
	v_max_f32_e32 v4, v4, v9
	v_mov_b32_e32 v9, 0
	ds_bpermute_b32 v15, v9, v4
	v_lshl_add_u32 v4, v0, 2, 0x110
	s_and_saveexec_b32 s5, s2
	s_cbranch_execz .LBB257_508
; %bb.505:
	v_lshl_add_u32 v18, v0, 2, 0x110
	v_mov_b32_e32 v9, 0
	v_mov_b32_e32 v19, v0
	s_mov_b32 s12, 0
	.p2align	6
.LBB257_506:                            ; =>This Inner Loop Header: Depth=1
	ds_read_b32 v12, v18
	v_add_nc_u32_e32 v19, 0x80, v19
	v_cmp_le_i32_e64 s3, s4, v19
	s_or_b32 s12, s3, s12
	s_waitcnt lgkmcnt(0)
	v_sub_f32_e32 v12, v12, v15
	v_mul_f32_e32 v12, 0x3fb8aa3b, v12
	v_exp_f32_e32 v12, v12
	ds_write_b32 v18, v12
	v_add_f32_e32 v9, v9, v12
	v_add_nc_u32_e32 v18, 0x200, v18
	s_andn2_b32 exec_lo, exec_lo, s12
	s_cbranch_execnz .LBB257_506
; %bb.507:
	s_or_b32 exec_lo, exec_lo, s12
.LBB257_508:
	s_or_b32 exec_lo, exec_lo, s5
	ds_bpermute_b32 v3, v3, v9
	s_waitcnt lgkmcnt(0)
	v_add_f32_e32 v3, v9, v3
	ds_bpermute_b32 v5, v5, v3
	s_waitcnt lgkmcnt(0)
	v_add_f32_e32 v3, v3, v5
	;; [unrolled: 3-line block ×5, first 2 shown]
	s_and_saveexec_b32 s3, vcc_lo
; %bb.509:
	ds_write_b32 v7, v3 offset:256
; %bb.510:
	s_or_b32 exec_lo, exec_lo, s3
	s_waitcnt lgkmcnt(0)
	s_barrier
	buffer_gl0_inv
	s_and_saveexec_b32 s3, s1
; %bb.511:
	ds_read_b32 v3, v8 offset:256
; %bb.512:
	s_or_b32 exec_lo, exec_lo, s3
	s_waitcnt lgkmcnt(0)
	ds_bpermute_b32 v2, v2, v3
	s_waitcnt lgkmcnt(0)
	v_add_f32_e32 v2, v3, v2
	ds_bpermute_b32 v3, v16, v2
	s_waitcnt lgkmcnt(0)
	v_add_f32_e32 v2, v2, v3
	v_mov_b32_e32 v3, 0
	ds_bpermute_b32 v2, v3, v2
	s_and_saveexec_b32 s1, s2
	s_cbranch_execz .LBB257_515
; %bb.513:
	s_waitcnt lgkmcnt(0)
	v_add_f32_e32 v2, 0x358637bd, v2
	s_mov_b32 s2, 0
	v_div_scale_f32 v3, null, v2, v2, 1.0
	v_div_scale_f32 v7, vcc_lo, 1.0, v2, 1.0
	v_rcp_f32_e32 v5, v3
	v_fma_f32 v6, -v3, v5, 1.0
	v_fmac_f32_e32 v5, v6, v5
	v_mul_f32_e32 v6, v7, v5
	v_fma_f32 v8, -v3, v6, v7
	v_fmac_f32_e32 v6, v8, v5
	v_fma_f32 v3, -v3, v6, v7
	v_div_fmas_f32 v3, v3, v5, v6
	v_div_fixup_f32 v2, v3, v2, 1.0
	v_mov_b32_e32 v3, v0
.LBB257_514:                            ; =>This Inner Loop Header: Depth=1
	ds_read_b32 v5, v4
	v_add_nc_u32_e32 v3, 0x80, v3
	v_cmp_le_i32_e32 vcc_lo, s4, v3
	s_or_b32 s2, vcc_lo, s2
	s_waitcnt lgkmcnt(0)
	v_mul_f32_e32 v5, v2, v5
	ds_write_b32 v4, v5
	v_add_nc_u32_e32 v4, 0x200, v4
	s_andn2_b32 exec_lo, exec_lo, s2
	s_cbranch_execnz .LBB257_514
.LBB257_515:
	s_or_b32 exec_lo, exec_lo, s1
	v_lshrrev_b32_e32 v15, 1, v1
	s_waitcnt lgkmcnt(0)
	s_barrier
	buffer_gl0_inv
	s_and_saveexec_b32 s1, s0
	s_xor_b32 s0, exec_lo, s1
; %bb.516:
	v_lshrrev_b32_e32 v15, 1, v1
                                        ; implicit-def: $vgpr14
                                        ; implicit-def: $vgpr10
                                        ; implicit-def: $vgpr17
; %bb.517:
	s_or_saveexec_b32 s12, s0
	v_mov_b32_e32 v25, 0
	v_mov_b32_e32 v24, 0
	;; [unrolled: 1-line block ×8, first 2 shown]
	s_xor_b32 exec_lo, exec_lo, s12
	s_cbranch_execz .LBB257_1053
; %bb.518:
	s_sub_i32 s13, s34, s21
	s_ashr_i32 s0, s18, 31
	s_add_u32 s2, s30, s18
	s_addc_u32 s3, s31, s0
	s_abs_i32 s18, s22
	v_lshlrev_b32_e32 v5, 5, v27
	v_cvt_f32_u32_e32 v1, s18
	s_sub_i32 s0, 0, s18
	v_and_b32_e32 v26, 8, v10
	v_or_b32_e32 v3, 0x70, v15
	v_and_b32_e32 v4, 0x7c, v17
	v_rcp_iflag_f32_e32 v1, v1
	s_add_i32 s21, s20, -1
	v_lshl_or_b32 v5, v127, 6, v5
	v_cmp_gt_u32_e32 vcc_lo, 0x78, v3
	v_lshl_or_b32 v31, v3, 4, v26
	v_mov_b32_e32 v2, 0
	v_mov_b32_e32 v60, v27
	;; [unrolled: 1-line block ×5, first 2 shown]
	v_mul_f32_e32 v1, 0x4f7ffffe, v1
	v_mov_b32_e32 v29, 8
	v_mov_b32_e32 v18, 0
	;; [unrolled: 1-line block ×4, first 2 shown]
	v_cvt_u32_f32_e32 v1, v1
	v_mov_b32_e32 v21, 0
	v_mov_b32_e32 v22, 0
	v_mov_b32_e32 v23, 0
	v_mov_b32_e32 v24, 0
	v_mul_lo_u32 v6, s0, v1
	s_lshl_b64 s[0:1], s[28:29], 2
	v_mov_b32_e32 v25, 0
	s_add_u32 s0, s26, s0
	s_addc_u32 s1, s27, s1
	v_add_co_u32 v3, s0, s0, v4
	v_lshl_or_b32 v30, v15, 4, v26
	v_mul_hi_u32 v6, v1, v6
	v_add_co_ci_u32_e64 v4, null, s1, 0, s0
	v_add_nc_u32_e32 v32, 0x110, v5
	v_mov_b32_e32 v34, v127
	s_mov_b32 s4, -1
	s_mov_b32 s5, 0xffffff
	s_mov_b32 s22, 0
	v_add_nc_u32_e32 v33, v1, v6
	s_branch .LBB257_522
.LBB257_519:                            ;   in Loop: Header=BB257_522 Depth=1
	s_or_b32 exec_lo, exec_lo, s1
	;;#ASMSTART
	v_pk_mul_f16 v1, v41, v57;

	;;#ASMEND
	;;#ASMSTART
	v_pk_mul_f16 v5, v40, v56;

	;;#ASMEND
	;; [unrolled: 4-line block ×4, first 2 shown]
	;;#ASMSTART
	v_pk_add_f16 v1, v1, v5;

	;;#ASMEND
	;;#ASMSTART
	v_pk_add_f16 v1, v1, v6;

	;;#ASMEND
	;; [unrolled: 4-line block ×3, first 2 shown]
	v_and_b32_e32 v5, 0xffff, v1
	v_lshrrev_b32_e32 v6, 16, v1
	;;#ASMSTART
	v_cvt_f32_f16 v1, v5;
	;;#ASMEND
	;;#ASMSTART
	v_cvt_f32_f16 v5, v6;
	;;#ASMEND
	v_add_f32_e32 v1, v1, v5
	v_add_f32_e32 v18, v18, v1
.LBB257_520:                            ;   in Loop: Header=BB257_522 Depth=1
	s_or_b32 exec_lo, exec_lo, s27
	v_add_f32_e32 v1, v9, v10
	v_add_f32_e32 v5, v48, v49
	;; [unrolled: 1-line block ×14, first 2 shown]
.LBB257_521:                            ;   in Loop: Header=BB257_522 Depth=1
	s_or_b32 exec_lo, exec_lo, s26
	v_add_nc_u32_e32 v34, 4, v34
	v_add_co_u32 v3, s1, v3, 16
	v_add_co_ci_u32_e64 v4, null, 0, v4, s1
	v_cmp_le_i32_e64 s0, s20, v34
	v_add_nc_u32_e32 v14, 64, v14
	v_add_nc_u32_e32 v32, 0x100, v32
	s_or_b32 s22, s0, s22
	s_andn2_b32 exec_lo, exec_lo, s22
	s_cbranch_execz .LBB257_1052
.LBB257_522:                            ; =>This Inner Loop Header: Depth=1
	v_mul_hi_u32 v1, v14, s19
	v_mul_lo_u32 v5, v1, s16
	v_add_nc_u32_e32 v6, 1, v1
	v_sub_nc_u32_e32 v5, v14, v5
	v_subrev_nc_u32_e32 v7, s16, v5
	v_cmp_le_u32_e64 s0, s16, v5
	v_cndmask_b32_e64 v1, v1, v6, s0
	v_cndmask_b32_e64 v5, v5, v7, s0
	v_add_nc_u32_e32 v6, 1, v1
	v_cmp_le_u32_e64 s0, s16, v5
	v_cndmask_b32_e64 v1, v1, v6, s0
	v_xor_b32_e32 v1, s23, v1
	v_subrev_nc_u32_e32 v1, s23, v1
	v_add_nc_u32_e32 v5, s25, v1
	v_cmp_lt_i32_e64 s1, s13, v1
	v_sub_nc_u32_e32 v6, 0, v5
	v_max_i32_e32 v6, v5, v6
	v_ashrrev_i32_e32 v5, 31, v5
	v_mul_hi_u32 v7, v6, v33
	v_mul_lo_u32 v7, v7, s18
	v_sub_nc_u32_e32 v6, v6, v7
	v_subrev_nc_u32_e32 v7, s18, v6
	v_cmp_le_u32_e64 s0, s18, v6
	v_cndmask_b32_e64 v6, v6, v7, s0
	v_subrev_nc_u32_e32 v7, s18, v6
	v_cmp_le_u32_e64 s0, s18, v6
	v_cndmask_b32_e64 v6, v6, v7, s0
	v_xor_b32_e32 v6, v6, v5
	v_sub_nc_u32_e32 v5, v6, v5
	v_cmp_eq_u32_e64 s0, 0, v5
	s_or_b32 s0, s0, s1
	s_and_saveexec_b32 s26, s0
	s_cbranch_execz .LBB257_521
; %bb.523:                              ;   in Loop: Header=BB257_522 Depth=1
	global_load_dword v1, v[3:4], off
	ds_read2_b64 v[7:10], v32 offset1:1
	ds_read2_b64 v[41:44], v32 offset0:2 offset1:3
	v_mov_b32_e32 v45, 0
	v_mov_b32_e32 v46, 0
	s_waitcnt lgkmcnt(1)
	;;#ASMSTART
	v_cvt_f16_f32 v39, v7;

	;;#ASMEND
	;;#ASMSTART
	v_cvt_f16_f32 v36, v8;

	;;#ASMEND
	;; [unrolled: 4-line block ×4, first 2 shown]
	s_waitcnt lgkmcnt(0)
	;;#ASMSTART
	v_cvt_f16_f32 v41, v41;

	;;#ASMEND
	;;#ASMSTART
	v_cvt_f16_f32 v38, v42;

	;;#ASMEND
	;; [unrolled: 4-line block ×4, first 2 shown]
	global_load_dword v44, v45, s[14:15]
	s_waitcnt vmcnt(1)
	v_mad_i64_i32 v[5:6], null, v1, s17, s[2:3]
	v_add_co_u32 v7, s0, v5, v30
	v_add_co_ci_u32_e64 v8, null, 0, v6, s0
	global_load_dwordx2 v[9:10], v[7:8], off
	s_waitcnt vmcnt(0)
	v_cmp_ne_u16_sdwa s0, v9, v2 src0_sel:BYTE_0 src1_sel:DWORD
	s_and_saveexec_b32 s1, s0
	s_cbranch_execz .LBB257_531
; %bb.524:                              ;   in Loop: Header=BB257_522 Depth=1
	v_cmp_ne_u16_sdwa s0, v9, v17 src0_sel:BYTE_0 src1_sel:DWORD
	v_mov_b32_e32 v46, 0x8000
	s_and_saveexec_b32 s27, s0
	s_cbranch_execz .LBB257_530
; %bb.525:                              ;   in Loop: Header=BB257_522 Depth=1
	v_and_b32_e32 v47, 0x7f, v9
	v_mov_b32_e32 v46, 0x7c01
	s_mov_b32 s28, exec_lo
	v_cmpx_ne_u32_e32 0x7f, v47
	s_cbranch_execz .LBB257_529
; %bb.526:                              ;   in Loop: Header=BB257_522 Depth=1
	v_and_b32_e32 v1, 7, v9
	v_lshrrev_b32_e32 v35, 3, v47
	s_mov_b32 s29, exec_lo
	v_cmpx_gt_u32_e32 8, v47
; %bb.527:                              ;   in Loop: Header=BB257_522 Depth=1
	v_ffbh_u32_e32 v1, v1
	v_min_u32_e32 v1, 32, v1
	v_subrev_nc_u32_e32 v12, 28, v1
	v_sub_nc_u32_e32 v35, 29, v1
	v_lshlrev_b64 v[12:13], v12, v[9:10]
	v_and_b32_e32 v1, 7, v12
; %bb.528:                              ;   in Loop: Header=BB257_522 Depth=1
	s_or_b32 exec_lo, exec_lo, s29
	v_lshlrev_b32_e32 v12, 8, v9
	v_lshl_add_u32 v13, v35, 10, 0x2000
	v_lshlrev_b32_e32 v1, 7, v1
	v_and_b32_e32 v12, 0x8000, v12
	v_and_b32_e32 v13, 0xfc00, v13
	v_or3_b32 v46, v12, v13, v1
.LBB257_529:                            ;   in Loop: Header=BB257_522 Depth=1
	s_or_b32 exec_lo, exec_lo, s28
.LBB257_530:                            ;   in Loop: Header=BB257_522 Depth=1
	s_or_b32 exec_lo, exec_lo, s27
.LBB257_531:                            ;   in Loop: Header=BB257_522 Depth=1
	s_or_b32 exec_lo, exec_lo, s1
	v_lshrrev_b16 v1, 8, v9
	s_mov_b32 s1, exec_lo
	v_cmpx_ne_u16_e32 0, v1
	s_cbranch_execz .LBB257_539
; %bb.532:                              ;   in Loop: Header=BB257_522 Depth=1
	v_bfrev_b32_e32 v45, 1
	s_mov_b32 s27, exec_lo
	v_cmpx_ne_u16_e32 0x80, v1
	s_cbranch_execz .LBB257_538
; %bb.533:                              ;   in Loop: Header=BB257_522 Depth=1
	v_and_b32_sdwa v47, v1, v27 dst_sel:DWORD dst_unused:UNUSED_PAD src0_sel:WORD_0 src1_sel:DWORD
	v_mov_b32_e32 v45, 0x7c010000
	s_mov_b32 s28, exec_lo
	v_cmpx_ne_u32_e32 0x7f, v47
	s_cbranch_execz .LBB257_537
; %bb.534:                              ;   in Loop: Header=BB257_522 Depth=1
	v_and_b32_sdwa v35, v1, v28 dst_sel:DWORD dst_unused:UNUSED_PAD src0_sel:WORD_0 src1_sel:DWORD
	v_lshrrev_b32_e32 v45, 3, v47
	s_mov_b32 s29, exec_lo
	v_cmpx_gt_u32_e32 8, v47
; %bb.535:                              ;   in Loop: Header=BB257_522 Depth=1
	v_ffbh_u32_e32 v12, v35
	v_min_u32_e32 v35, 32, v12
	v_subrev_nc_u32_e32 v12, 28, v35
	v_sub_nc_u32_e32 v45, 29, v35
	v_lshlrev_b64 v[12:13], v12, v[1:2]
	v_and_b32_e32 v35, 7, v12
; %bb.536:                              ;   in Loop: Header=BB257_522 Depth=1
	s_or_b32 exec_lo, exec_lo, s29
	v_lshlrev_b32_sdwa v1, v29, v1 dst_sel:DWORD dst_unused:UNUSED_PAD src0_sel:DWORD src1_sel:WORD_0
	v_lshl_add_u32 v12, v45, 10, 0x2000
	v_and_or_b32 v1, 0x8000, v1, v12
	v_lshlrev_b32_e32 v12, 23, v35
	v_lshl_or_b32 v45, v1, 16, v12
.LBB257_537:                            ;   in Loop: Header=BB257_522 Depth=1
	s_or_b32 exec_lo, exec_lo, s28
.LBB257_538:                            ;   in Loop: Header=BB257_522 Depth=1
	s_or_b32 exec_lo, exec_lo, s27
.LBB257_539:                            ;   in Loop: Header=BB257_522 Depth=1
	s_or_b32 exec_lo, exec_lo, s1
	v_lshrrev_b32_e32 v1, 16, v9
	v_mov_b32_e32 v47, 0
	v_mov_b32_e32 v35, 0
	v_cmp_ne_u16_sdwa s0, v1, v2 src0_sel:BYTE_0 src1_sel:DWORD
	s_and_saveexec_b32 s1, s0
	s_cbranch_execz .LBB257_547
; %bb.540:                              ;   in Loop: Header=BB257_522 Depth=1
	v_cmp_ne_u16_sdwa s0, v1, v17 src0_sel:BYTE_0 src1_sel:DWORD
	v_mov_b32_e32 v35, 0x8000
	s_and_saveexec_b32 s27, s0
	s_cbranch_execz .LBB257_546
; %bb.541:                              ;   in Loop: Header=BB257_522 Depth=1
	v_bfe_u32 v49, v9, 16, 7
	v_mov_b32_e32 v35, 0x7c01
	s_mov_b32 s28, exec_lo
	v_cmpx_ne_u32_e32 0x7f, v49
	s_cbranch_execz .LBB257_545
; %bb.542:                              ;   in Loop: Header=BB257_522 Depth=1
	v_and_b32_e32 v35, 7, v1
	v_lshrrev_b32_e32 v48, 3, v49
	s_mov_b32 s29, exec_lo
	v_cmpx_gt_u32_e32 8, v49
; %bb.543:                              ;   in Loop: Header=BB257_522 Depth=1
	v_ffbh_u32_e32 v12, v35
	v_min_u32_e32 v35, 32, v12
	v_subrev_nc_u32_e32 v12, 28, v35
	v_sub_nc_u32_e32 v48, 29, v35
	v_lshlrev_b64 v[12:13], v12, v[1:2]
	v_and_b32_e32 v35, 7, v12
; %bb.544:                              ;   in Loop: Header=BB257_522 Depth=1
	s_or_b32 exec_lo, exec_lo, s29
	v_lshlrev_b32_e32 v1, 8, v1
	v_lshl_add_u32 v12, v48, 10, 0x2000
	v_lshlrev_b32_e32 v13, 7, v35
	v_and_b32_e32 v1, 0x8000, v1
	v_and_b32_e32 v12, 0xfc00, v12
	v_or3_b32 v35, v1, v12, v13
.LBB257_545:                            ;   in Loop: Header=BB257_522 Depth=1
	s_or_b32 exec_lo, exec_lo, s28
.LBB257_546:                            ;   in Loop: Header=BB257_522 Depth=1
	s_or_b32 exec_lo, exec_lo, s27
.LBB257_547:                            ;   in Loop: Header=BB257_522 Depth=1
	s_or_b32 exec_lo, exec_lo, s1
	s_mov_b32 s1, exec_lo
	v_cmpx_lt_u32_e32 0xffffff, v9
	s_cbranch_execz .LBB257_555
; %bb.548:                              ;   in Loop: Header=BB257_522 Depth=1
	v_lshrrev_b32_e32 v1, 24, v9
	v_bfrev_b32_e32 v47, 1
	s_mov_b32 s27, exec_lo
	v_cmpx_ne_u32_e32 0x80, v1
	s_cbranch_execz .LBB257_554
; %bb.549:                              ;   in Loop: Header=BB257_522 Depth=1
	v_and_b32_e32 v49, 0x7f, v1
	v_mov_b32_e32 v47, 0x7c010000
	s_mov_b32 s28, exec_lo
	v_cmpx_ne_u32_e32 0x7f, v49
	s_cbranch_execz .LBB257_553
; %bb.550:                              ;   in Loop: Header=BB257_522 Depth=1
	v_and_b32_e32 v47, 7, v1
	v_lshrrev_b32_e32 v48, 3, v49
	s_mov_b32 s29, exec_lo
	v_cmpx_gt_u32_e32 8, v49
; %bb.551:                              ;   in Loop: Header=BB257_522 Depth=1
	v_ffbh_u32_e32 v12, v47
	v_min_u32_e32 v47, 32, v12
	v_subrev_nc_u32_e32 v12, 28, v47
	v_sub_nc_u32_e32 v48, 29, v47
	v_lshlrev_b64 v[12:13], v12, v[1:2]
	v_and_b32_e32 v47, 7, v12
; %bb.552:                              ;   in Loop: Header=BB257_522 Depth=1
	s_or_b32 exec_lo, exec_lo, s29
	v_lshlrev_b32_e32 v1, 8, v1
	v_lshl_add_u32 v12, v48, 10, 0x2000
	v_and_or_b32 v1, 0x8000, v1, v12
	v_lshlrev_b32_e32 v12, 23, v47
	v_lshl_or_b32 v47, v1, 16, v12
.LBB257_553:                            ;   in Loop: Header=BB257_522 Depth=1
	s_or_b32 exec_lo, exec_lo, s28
.LBB257_554:                            ;   in Loop: Header=BB257_522 Depth=1
	s_or_b32 exec_lo, exec_lo, s27
.LBB257_555:                            ;   in Loop: Header=BB257_522 Depth=1
	s_or_b32 exec_lo, exec_lo, s1
	v_mov_b32_e32 v1, v10
	v_cmp_ne_u16_sdwa s0, v10, v2 src0_sel:BYTE_0 src1_sel:DWORD
	v_mov_b32_e32 v48, 0
	v_mov_b32_e32 v49, 0
	s_and_saveexec_b32 s1, s0
	s_cbranch_execz .LBB257_563
; %bb.556:                              ;   in Loop: Header=BB257_522 Depth=1
	v_cmp_ne_u16_sdwa s0, v10, v17 src0_sel:BYTE_0 src1_sel:DWORD
	v_mov_b32_e32 v49, 0x8000
	s_and_saveexec_b32 s27, s0
	s_cbranch_execz .LBB257_562
; %bb.557:                              ;   in Loop: Header=BB257_522 Depth=1
	v_and_b32_e32 v51, 0x7f, v10
	v_mov_b32_e32 v49, 0x7c01
	s_mov_b32 s28, exec_lo
	v_cmpx_ne_u32_e32 0x7f, v51
	s_cbranch_execz .LBB257_561
; %bb.558:                              ;   in Loop: Header=BB257_522 Depth=1
	v_and_b32_e32 v49, 7, v10
	v_lshrrev_b32_e32 v50, 3, v51
	s_mov_b32 s29, exec_lo
	v_cmpx_gt_u32_e32 8, v51
; %bb.559:                              ;   in Loop: Header=BB257_522 Depth=1
	v_ffbh_u32_e32 v12, v49
	v_min_u32_e32 v49, 32, v12
	v_subrev_nc_u32_e32 v12, 28, v49
	v_sub_nc_u32_e32 v50, 29, v49
	v_lshlrev_b64 v[12:13], v12, v[1:2]
	v_and_b32_e32 v49, 7, v12
; %bb.560:                              ;   in Loop: Header=BB257_522 Depth=1
	s_or_b32 exec_lo, exec_lo, s29
	v_lshlrev_b32_e32 v12, 8, v10
	v_lshl_add_u32 v13, v50, 10, 0x2000
	v_lshlrev_b32_e32 v49, 7, v49
	v_and_b32_e32 v12, 0x8000, v12
	v_and_b32_e32 v13, 0xfc00, v13
	v_or3_b32 v49, v12, v13, v49
.LBB257_561:                            ;   in Loop: Header=BB257_522 Depth=1
	s_or_b32 exec_lo, exec_lo, s28
.LBB257_562:                            ;   in Loop: Header=BB257_522 Depth=1
	s_or_b32 exec_lo, exec_lo, s27
.LBB257_563:                            ;   in Loop: Header=BB257_522 Depth=1
	s_or_b32 exec_lo, exec_lo, s1
	v_lshrrev_b16 v1, 8, v1
	v_mov_b32_e32 v50, 0
	s_mov_b32 s1, exec_lo
	v_cmpx_ne_u16_e32 0, v1
	s_cbranch_execz .LBB257_571
; %bb.564:                              ;   in Loop: Header=BB257_522 Depth=1
	v_bfrev_b32_e32 v50, 1
	s_mov_b32 s27, exec_lo
	v_cmpx_ne_u16_e32 0x80, v1
	s_cbranch_execz .LBB257_570
; %bb.565:                              ;   in Loop: Header=BB257_522 Depth=1
	v_and_b32_sdwa v52, v1, v27 dst_sel:DWORD dst_unused:UNUSED_PAD src0_sel:WORD_0 src1_sel:DWORD
	v_mov_b32_e32 v50, 0x7c010000
	s_mov_b32 s28, exec_lo
	v_cmpx_ne_u32_e32 0x7f, v52
	s_cbranch_execz .LBB257_569
; %bb.566:                              ;   in Loop: Header=BB257_522 Depth=1
	v_and_b32_sdwa v50, v1, v28 dst_sel:DWORD dst_unused:UNUSED_PAD src0_sel:WORD_0 src1_sel:DWORD
	v_lshrrev_b32_e32 v51, 3, v52
	s_mov_b32 s29, exec_lo
	v_cmpx_gt_u32_e32 8, v52
; %bb.567:                              ;   in Loop: Header=BB257_522 Depth=1
	v_ffbh_u32_e32 v12, v50
	v_min_u32_e32 v50, 32, v12
	v_subrev_nc_u32_e32 v12, 28, v50
	v_sub_nc_u32_e32 v51, 29, v50
	v_lshlrev_b64 v[12:13], v12, v[1:2]
	v_and_b32_e32 v50, 7, v12
; %bb.568:                              ;   in Loop: Header=BB257_522 Depth=1
	s_or_b32 exec_lo, exec_lo, s29
	v_lshlrev_b32_sdwa v1, v29, v1 dst_sel:DWORD dst_unused:UNUSED_PAD src0_sel:DWORD src1_sel:WORD_0
	v_lshl_add_u32 v12, v51, 10, 0x2000
	v_and_or_b32 v1, 0x8000, v1, v12
	v_lshlrev_b32_e32 v12, 23, v50
	v_lshl_or_b32 v50, v1, 16, v12
.LBB257_569:                            ;   in Loop: Header=BB257_522 Depth=1
	s_or_b32 exec_lo, exec_lo, s28
.LBB257_570:                            ;   in Loop: Header=BB257_522 Depth=1
	s_or_b32 exec_lo, exec_lo, s27
.LBB257_571:                            ;   in Loop: Header=BB257_522 Depth=1
	s_or_b32 exec_lo, exec_lo, s1
	v_lshrrev_b32_e32 v1, 16, v10
	v_cmp_ne_u16_sdwa s0, v1, v2 src0_sel:BYTE_0 src1_sel:DWORD
	s_and_saveexec_b32 s1, s0
	s_cbranch_execz .LBB257_579
; %bb.572:                              ;   in Loop: Header=BB257_522 Depth=1
	v_cmp_ne_u16_sdwa s0, v1, v17 src0_sel:BYTE_0 src1_sel:DWORD
	v_mov_b32_e32 v48, 0x8000
	s_and_saveexec_b32 s27, s0
	s_cbranch_execz .LBB257_578
; %bb.573:                              ;   in Loop: Header=BB257_522 Depth=1
	v_bfe_u32 v52, v10, 16, 7
	v_mov_b32_e32 v48, 0x7c01
	s_mov_b32 s28, exec_lo
	v_cmpx_ne_u32_e32 0x7f, v52
	s_cbranch_execz .LBB257_577
; %bb.574:                              ;   in Loop: Header=BB257_522 Depth=1
	v_and_b32_e32 v48, 7, v1
	v_lshrrev_b32_e32 v51, 3, v52
	s_mov_b32 s29, exec_lo
	v_cmpx_gt_u32_e32 8, v52
; %bb.575:                              ;   in Loop: Header=BB257_522 Depth=1
	v_ffbh_u32_e32 v12, v48
	v_min_u32_e32 v48, 32, v12
	v_subrev_nc_u32_e32 v12, 28, v48
	v_sub_nc_u32_e32 v51, 29, v48
	v_lshlrev_b64 v[12:13], v12, v[1:2]
	v_and_b32_e32 v48, 7, v12
; %bb.576:                              ;   in Loop: Header=BB257_522 Depth=1
	s_or_b32 exec_lo, exec_lo, s29
	v_lshlrev_b32_e32 v1, 8, v1
	v_lshl_add_u32 v12, v51, 10, 0x2000
	v_lshlrev_b32_e32 v13, 7, v48
	v_and_b32_e32 v1, 0x8000, v1
	v_and_b32_e32 v12, 0xfc00, v12
	v_or3_b32 v48, v1, v12, v13
.LBB257_577:                            ;   in Loop: Header=BB257_522 Depth=1
	s_or_b32 exec_lo, exec_lo, s28
.LBB257_578:                            ;   in Loop: Header=BB257_522 Depth=1
	s_or_b32 exec_lo, exec_lo, s27
.LBB257_579:                            ;   in Loop: Header=BB257_522 Depth=1
	s_or_b32 exec_lo, exec_lo, s1
	v_cmp_lt_u64_e64 s0, s[4:5], v[9:10]
	v_mov_b32_e32 v9, 0
	s_and_saveexec_b32 s1, s0
	s_cbranch_execz .LBB257_587
; %bb.580:                              ;   in Loop: Header=BB257_522 Depth=1
	v_lshrrev_b32_e32 v1, 24, v10
	v_bfrev_b32_e32 v9, 1
	s_mov_b32 s27, exec_lo
	v_cmpx_ne_u32_e32 0x80, v1
	s_cbranch_execz .LBB257_586
; %bb.581:                              ;   in Loop: Header=BB257_522 Depth=1
	v_and_b32_e32 v51, 0x7f, v1
	v_mov_b32_e32 v9, 0x7c010000
	s_mov_b32 s28, exec_lo
	v_cmpx_ne_u32_e32 0x7f, v51
	s_cbranch_execz .LBB257_585
; %bb.582:                              ;   in Loop: Header=BB257_522 Depth=1
	v_and_b32_e32 v9, 7, v1
	v_lshrrev_b32_e32 v10, 3, v51
	s_mov_b32 s29, exec_lo
	v_cmpx_gt_u32_e32 8, v51
; %bb.583:                              ;   in Loop: Header=BB257_522 Depth=1
	v_ffbh_u32_e32 v9, v9
	v_min_u32_e32 v12, 32, v9
	v_subrev_nc_u32_e32 v9, 28, v12
	v_lshlrev_b64 v[9:10], v9, v[1:2]
	v_sub_nc_u32_e32 v10, 29, v12
	v_and_b32_e32 v9, 7, v9
; %bb.584:                              ;   in Loop: Header=BB257_522 Depth=1
	s_or_b32 exec_lo, exec_lo, s29
	v_lshlrev_b32_e32 v1, 8, v1
	v_lshl_add_u32 v10, v10, 10, 0x2000
	v_lshlrev_b32_e32 v9, 23, v9
	v_and_or_b32 v1, 0x8000, v1, v10
	v_lshl_or_b32 v9, v1, 16, v9
.LBB257_585:                            ;   in Loop: Header=BB257_522 Depth=1
	s_or_b32 exec_lo, exec_lo, s28
.LBB257_586:                            ;   in Loop: Header=BB257_522 Depth=1
	s_or_b32 exec_lo, exec_lo, s27
.LBB257_587:                            ;   in Loop: Header=BB257_522 Depth=1
	s_or_b32 exec_lo, exec_lo, s1
	v_or_b32_e32 v1, v47, v35
	v_fma_mixlo_f16 v10, v44, v47, 0 op_sel:[0,1,0] op_sel_hi:[0,1,0]
	v_or_b32_e32 v12, v45, v46
	v_fma_mixlo_f16 v13, v44, v45, 0 op_sel:[0,1,0] op_sel_hi:[0,1,0]
	v_or_b32_e32 v49, v50, v49
	v_fma_mixlo_f16 v1, v44, v1, 0 op_sel_hi:[0,1,0]
	v_or_b32_e32 v48, v9, v48
	v_lshlrev_b32_e32 v45, 16, v10
	v_lshlrev_b32_e32 v47, 16, v13
	v_fma_mixlo_f16 v10, v44, v50, 0 op_sel:[0,1,0] op_sel_hi:[0,1,0]
	v_and_b32_e32 v46, 0xffff, v1
	v_fma_mixlo_f16 v1, v44, v12, 0 op_sel_hi:[0,1,0]
	v_fma_mixlo_f16 v12, v44, v49, 0 op_sel_hi:[0,1,0]
	v_fma_mixlo_f16 v13, v44, v9, 0 op_sel:[0,1,0] op_sel_hi:[0,1,0]
	v_fma_mixlo_f16 v48, v44, v48, 0 op_sel_hi:[0,1,0]
	v_lshlrev_b32_e32 v9, 16, v10
	v_and_b32_e32 v52, 0xffff, v1
	v_and_b32_e32 v44, 0xffff, v12
	v_lshlrev_b32_e32 v1, 16, v13
	v_and_b32_e32 v10, 0xffff, v48
	v_add_nc_u32_e32 v35, v26, v14
	v_cmp_eq_u32_e64 s0, s21, v34
	v_or_b32_e32 v48, v45, v46
	v_or_b32_e32 v49, v47, v52
	;; [unrolled: 1-line block ×4, first 2 shown]
	s_and_saveexec_b32 s27, s0
	s_cbranch_execz .LBB257_589
; %bb.588:                              ;   in Loop: Header=BB257_522 Depth=1
	v_add_nc_u32_e32 v12, 1, v35
	v_cmp_gt_i32_e64 s1, s33, v35
	v_add_nc_u32_e32 v13, 2, v35
	v_add_nc_u32_e32 v49, 3, v35
	v_cndmask_b32_e64 v48, 0, v52, s1
	v_cmp_gt_i32_e64 s1, s33, v12
	v_cndmask_b32_e64 v12, 0, v47, s1
	v_cmp_gt_i32_e64 s1, s33, v13
	v_add_nc_u32_e32 v47, 5, v35
	v_cndmask_b32_e64 v13, 0, v46, s1
	v_add_nc_u32_e32 v46, 4, v35
	v_cmp_gt_i32_e64 s1, s33, v49
	v_add_nc_u32_e32 v49, 6, v35
	v_cndmask_b32_e64 v45, 0, v45, s1
	v_cmp_gt_i32_e64 s1, s33, v46
	v_add_nc_u32_e32 v46, 7, v35
	v_cndmask_b32_e64 v44, 0, v44, s1
	v_cmp_gt_i32_e64 s1, s33, v47
	v_cndmask_b32_e64 v9, 0, v9, s1
	v_cmp_gt_i32_e64 s1, s33, v49
	v_or_b32_e32 v49, v12, v48
	v_or_b32_e32 v48, v45, v13
	;; [unrolled: 1-line block ×3, first 2 shown]
	v_cndmask_b32_e64 v10, 0, v10, s1
	v_cmp_gt_i32_e64 s1, s33, v46
	v_cndmask_b32_e64 v1, 0, v1, s1
	v_or_b32_e32 v51, v1, v10
.LBB257_589:                            ;   in Loop: Header=BB257_522 Depth=1
	s_or_b32 exec_lo, exec_lo, s27
	v_and_b32_e32 v1, 0xffff, v39
	v_and_b32_e32 v9, 0xffff, v40
	;; [unrolled: 1-line block ×4, first 2 shown]
	v_mov_b32_e32 v43, 0
	v_lshl_or_b32 v41, v36, 16, v1
	;;#ASMSTART
	v_pk_mul_f16 v1, v41, v49;

	;;#ASMEND
	v_lshl_or_b32 v40, v37, 16, v9
	v_lshl_or_b32 v39, v38, 16, v10
	;; [unrolled: 1-line block ×3, first 2 shown]
	;;#ASMSTART
	v_pk_mul_f16 v9, v40, v48;

	;;#ASMEND
	;;#ASMSTART
	v_pk_mul_f16 v10, v39, v50;

	;;#ASMEND
	;;#ASMSTART
	v_pk_mul_f16 v12, v38, v51;

	;;#ASMEND
	;;#ASMSTART
	v_pk_add_f16 v1, v1, v9;

	;;#ASMEND
	;;#ASMSTART
	v_pk_add_f16 v1, v1, v10;

	;;#ASMEND
	;; [unrolled: 4-line block ×3, first 2 shown]
	v_and_b32_e32 v9, 0xffff, v1
	v_lshrrev_b32_e32 v1, 16, v1
	;;#ASMSTART
	v_cvt_f32_f16 v36, v9;
	;;#ASMEND
	;;#ASMSTART
	v_cvt_f32_f16 v37, v1;
	;;#ASMEND
	global_load_dwordx2 v[9:10], v[7:8], off offset:256
	global_load_dword v42, v43, s[14:15]
	v_mov_b32_e32 v44, 0
	s_waitcnt vmcnt(1)
	v_cmp_ne_u16_sdwa s1, v9, v2 src0_sel:BYTE_0 src1_sel:DWORD
	s_and_saveexec_b32 s27, s1
	s_cbranch_execz .LBB257_597
; %bb.590:                              ;   in Loop: Header=BB257_522 Depth=1
	v_cmp_ne_u16_sdwa s1, v9, v17 src0_sel:BYTE_0 src1_sel:DWORD
	v_mov_b32_e32 v44, 0x8000
	s_and_saveexec_b32 s28, s1
	s_cbranch_execz .LBB257_596
; %bb.591:                              ;   in Loop: Header=BB257_522 Depth=1
	v_and_b32_e32 v45, 0x7f, v9
	v_mov_b32_e32 v44, 0x7c01
	s_mov_b32 s29, exec_lo
	v_cmpx_ne_u32_e32 0x7f, v45
	s_cbranch_execz .LBB257_595
; %bb.592:                              ;   in Loop: Header=BB257_522 Depth=1
	v_and_b32_e32 v1, 7, v9
	v_lshrrev_b32_e32 v44, 3, v45
	s_mov_b32 s30, exec_lo
	v_cmpx_gt_u32_e32 8, v45
; %bb.593:                              ;   in Loop: Header=BB257_522 Depth=1
	v_ffbh_u32_e32 v1, v1
	v_min_u32_e32 v1, 32, v1
	v_subrev_nc_u32_e32 v12, 28, v1
	v_sub_nc_u32_e32 v44, 29, v1
	v_lshlrev_b64 v[12:13], v12, v[9:10]
	v_and_b32_e32 v1, 7, v12
; %bb.594:                              ;   in Loop: Header=BB257_522 Depth=1
	s_or_b32 exec_lo, exec_lo, s30
	v_lshlrev_b32_e32 v12, 8, v9
	v_lshl_add_u32 v13, v44, 10, 0x2000
	v_lshlrev_b32_e32 v1, 7, v1
	v_and_b32_e32 v12, 0x8000, v12
	v_and_b32_e32 v13, 0xfc00, v13
	v_or3_b32 v44, v12, v13, v1
.LBB257_595:                            ;   in Loop: Header=BB257_522 Depth=1
	s_or_b32 exec_lo, exec_lo, s29
.LBB257_596:                            ;   in Loop: Header=BB257_522 Depth=1
	s_or_b32 exec_lo, exec_lo, s28
.LBB257_597:                            ;   in Loop: Header=BB257_522 Depth=1
	s_or_b32 exec_lo, exec_lo, s27
	v_lshrrev_b16 v1, 8, v9
	s_mov_b32 s27, exec_lo
	v_cmpx_ne_u16_e32 0, v1
	s_cbranch_execz .LBB257_605
; %bb.598:                              ;   in Loop: Header=BB257_522 Depth=1
	v_bfrev_b32_e32 v43, 1
	s_mov_b32 s28, exec_lo
	v_cmpx_ne_u16_e32 0x80, v1
	s_cbranch_execz .LBB257_604
; %bb.599:                              ;   in Loop: Header=BB257_522 Depth=1
	v_and_b32_sdwa v46, v1, v27 dst_sel:DWORD dst_unused:UNUSED_PAD src0_sel:WORD_0 src1_sel:DWORD
	v_mov_b32_e32 v43, 0x7c010000
	s_mov_b32 s29, exec_lo
	v_cmpx_ne_u32_e32 0x7f, v46
	s_cbranch_execz .LBB257_603
; %bb.600:                              ;   in Loop: Header=BB257_522 Depth=1
	v_and_b32_sdwa v43, v1, v28 dst_sel:DWORD dst_unused:UNUSED_PAD src0_sel:WORD_0 src1_sel:DWORD
	v_lshrrev_b32_e32 v45, 3, v46
	s_mov_b32 s30, exec_lo
	v_cmpx_gt_u32_e32 8, v46
; %bb.601:                              ;   in Loop: Header=BB257_522 Depth=1
	v_ffbh_u32_e32 v12, v43
	v_min_u32_e32 v43, 32, v12
	v_subrev_nc_u32_e32 v12, 28, v43
	v_sub_nc_u32_e32 v45, 29, v43
	v_lshlrev_b64 v[12:13], v12, v[1:2]
	v_and_b32_e32 v43, 7, v12
; %bb.602:                              ;   in Loop: Header=BB257_522 Depth=1
	s_or_b32 exec_lo, exec_lo, s30
	v_lshlrev_b32_sdwa v1, v29, v1 dst_sel:DWORD dst_unused:UNUSED_PAD src0_sel:DWORD src1_sel:WORD_0
	v_lshl_add_u32 v12, v45, 10, 0x2000
	v_and_or_b32 v1, 0x8000, v1, v12
	v_lshlrev_b32_e32 v12, 23, v43
	v_lshl_or_b32 v43, v1, 16, v12
.LBB257_603:                            ;   in Loop: Header=BB257_522 Depth=1
	s_or_b32 exec_lo, exec_lo, s29
.LBB257_604:                            ;   in Loop: Header=BB257_522 Depth=1
	s_or_b32 exec_lo, exec_lo, s28
.LBB257_605:                            ;   in Loop: Header=BB257_522 Depth=1
	s_or_b32 exec_lo, exec_lo, s27
	v_lshrrev_b32_e32 v1, 16, v9
	v_mov_b32_e32 v45, 0
	v_mov_b32_e32 v46, 0
	v_cmp_ne_u16_sdwa s1, v1, v2 src0_sel:BYTE_0 src1_sel:DWORD
	s_and_saveexec_b32 s27, s1
	s_cbranch_execz .LBB257_613
; %bb.606:                              ;   in Loop: Header=BB257_522 Depth=1
	v_cmp_ne_u16_sdwa s1, v1, v17 src0_sel:BYTE_0 src1_sel:DWORD
	v_mov_b32_e32 v46, 0x8000
	s_and_saveexec_b32 s28, s1
	s_cbranch_execz .LBB257_612
; %bb.607:                              ;   in Loop: Header=BB257_522 Depth=1
	v_bfe_u32 v48, v9, 16, 7
	v_mov_b32_e32 v46, 0x7c01
	s_mov_b32 s29, exec_lo
	v_cmpx_ne_u32_e32 0x7f, v48
	s_cbranch_execz .LBB257_611
; %bb.608:                              ;   in Loop: Header=BB257_522 Depth=1
	v_and_b32_e32 v46, 7, v1
	v_lshrrev_b32_e32 v47, 3, v48
	s_mov_b32 s30, exec_lo
	v_cmpx_gt_u32_e32 8, v48
; %bb.609:                              ;   in Loop: Header=BB257_522 Depth=1
	v_ffbh_u32_e32 v12, v46
	v_min_u32_e32 v46, 32, v12
	v_subrev_nc_u32_e32 v12, 28, v46
	v_sub_nc_u32_e32 v47, 29, v46
	v_lshlrev_b64 v[12:13], v12, v[1:2]
	v_and_b32_e32 v46, 7, v12
; %bb.610:                              ;   in Loop: Header=BB257_522 Depth=1
	s_or_b32 exec_lo, exec_lo, s30
	v_lshlrev_b32_e32 v1, 8, v1
	v_lshl_add_u32 v12, v47, 10, 0x2000
	v_lshlrev_b32_e32 v13, 7, v46
	v_and_b32_e32 v1, 0x8000, v1
	v_and_b32_e32 v12, 0xfc00, v12
	v_or3_b32 v46, v1, v12, v13
.LBB257_611:                            ;   in Loop: Header=BB257_522 Depth=1
	s_or_b32 exec_lo, exec_lo, s29
.LBB257_612:                            ;   in Loop: Header=BB257_522 Depth=1
	s_or_b32 exec_lo, exec_lo, s28
.LBB257_613:                            ;   in Loop: Header=BB257_522 Depth=1
	s_or_b32 exec_lo, exec_lo, s27
	s_mov_b32 s27, exec_lo
	v_cmpx_lt_u32_e32 0xffffff, v9
	s_cbranch_execz .LBB257_621
; %bb.614:                              ;   in Loop: Header=BB257_522 Depth=1
	v_lshrrev_b32_e32 v1, 24, v9
	v_bfrev_b32_e32 v45, 1
	s_mov_b32 s28, exec_lo
	v_cmpx_ne_u32_e32 0x80, v1
	s_cbranch_execz .LBB257_620
; %bb.615:                              ;   in Loop: Header=BB257_522 Depth=1
	v_and_b32_e32 v48, 0x7f, v1
	v_mov_b32_e32 v45, 0x7c010000
	s_mov_b32 s29, exec_lo
	v_cmpx_ne_u32_e32 0x7f, v48
	s_cbranch_execz .LBB257_619
; %bb.616:                              ;   in Loop: Header=BB257_522 Depth=1
	v_and_b32_e32 v45, 7, v1
	v_lshrrev_b32_e32 v47, 3, v48
	s_mov_b32 s30, exec_lo
	v_cmpx_gt_u32_e32 8, v48
; %bb.617:                              ;   in Loop: Header=BB257_522 Depth=1
	v_ffbh_u32_e32 v12, v45
	v_min_u32_e32 v45, 32, v12
	v_subrev_nc_u32_e32 v12, 28, v45
	v_sub_nc_u32_e32 v47, 29, v45
	v_lshlrev_b64 v[12:13], v12, v[1:2]
	v_and_b32_e32 v45, 7, v12
; %bb.618:                              ;   in Loop: Header=BB257_522 Depth=1
	s_or_b32 exec_lo, exec_lo, s30
	v_lshlrev_b32_e32 v1, 8, v1
	v_lshl_add_u32 v12, v47, 10, 0x2000
	v_and_or_b32 v1, 0x8000, v1, v12
	v_lshlrev_b32_e32 v12, 23, v45
	v_lshl_or_b32 v45, v1, 16, v12
.LBB257_619:                            ;   in Loop: Header=BB257_522 Depth=1
	s_or_b32 exec_lo, exec_lo, s29
.LBB257_620:                            ;   in Loop: Header=BB257_522 Depth=1
	s_or_b32 exec_lo, exec_lo, s28
.LBB257_621:                            ;   in Loop: Header=BB257_522 Depth=1
	s_or_b32 exec_lo, exec_lo, s27
	v_mov_b32_e32 v1, v10
	v_cmp_ne_u16_sdwa s1, v10, v2 src0_sel:BYTE_0 src1_sel:DWORD
	v_mov_b32_e32 v47, 0
	v_mov_b32_e32 v48, 0
	s_and_saveexec_b32 s27, s1
	s_cbranch_execz .LBB257_629
; %bb.622:                              ;   in Loop: Header=BB257_522 Depth=1
	v_cmp_ne_u16_sdwa s1, v10, v17 src0_sel:BYTE_0 src1_sel:DWORD
	v_mov_b32_e32 v48, 0x8000
	s_and_saveexec_b32 s28, s1
	s_cbranch_execz .LBB257_628
; %bb.623:                              ;   in Loop: Header=BB257_522 Depth=1
	v_and_b32_e32 v50, 0x7f, v10
	v_mov_b32_e32 v48, 0x7c01
	s_mov_b32 s29, exec_lo
	v_cmpx_ne_u32_e32 0x7f, v50
	s_cbranch_execz .LBB257_627
; %bb.624:                              ;   in Loop: Header=BB257_522 Depth=1
	v_and_b32_e32 v48, 7, v10
	v_lshrrev_b32_e32 v49, 3, v50
	s_mov_b32 s30, exec_lo
	v_cmpx_gt_u32_e32 8, v50
; %bb.625:                              ;   in Loop: Header=BB257_522 Depth=1
	v_ffbh_u32_e32 v12, v48
	v_min_u32_e32 v48, 32, v12
	v_subrev_nc_u32_e32 v12, 28, v48
	v_sub_nc_u32_e32 v49, 29, v48
	v_lshlrev_b64 v[12:13], v12, v[1:2]
	v_and_b32_e32 v48, 7, v12
; %bb.626:                              ;   in Loop: Header=BB257_522 Depth=1
	s_or_b32 exec_lo, exec_lo, s30
	v_lshlrev_b32_e32 v12, 8, v10
	v_lshl_add_u32 v13, v49, 10, 0x2000
	v_lshlrev_b32_e32 v48, 7, v48
	v_and_b32_e32 v12, 0x8000, v12
	v_and_b32_e32 v13, 0xfc00, v13
	v_or3_b32 v48, v12, v13, v48
.LBB257_627:                            ;   in Loop: Header=BB257_522 Depth=1
	s_or_b32 exec_lo, exec_lo, s29
.LBB257_628:                            ;   in Loop: Header=BB257_522 Depth=1
	s_or_b32 exec_lo, exec_lo, s28
.LBB257_629:                            ;   in Loop: Header=BB257_522 Depth=1
	s_or_b32 exec_lo, exec_lo, s27
	v_lshrrev_b16 v1, 8, v1
	v_mov_b32_e32 v49, 0
	s_mov_b32 s27, exec_lo
	v_cmpx_ne_u16_e32 0, v1
	s_cbranch_execz .LBB257_637
; %bb.630:                              ;   in Loop: Header=BB257_522 Depth=1
	v_bfrev_b32_e32 v49, 1
	s_mov_b32 s28, exec_lo
	v_cmpx_ne_u16_e32 0x80, v1
	s_cbranch_execz .LBB257_636
; %bb.631:                              ;   in Loop: Header=BB257_522 Depth=1
	v_and_b32_sdwa v51, v1, v27 dst_sel:DWORD dst_unused:UNUSED_PAD src0_sel:WORD_0 src1_sel:DWORD
	v_mov_b32_e32 v49, 0x7c010000
	s_mov_b32 s29, exec_lo
	v_cmpx_ne_u32_e32 0x7f, v51
	s_cbranch_execz .LBB257_635
; %bb.632:                              ;   in Loop: Header=BB257_522 Depth=1
	v_and_b32_sdwa v49, v1, v28 dst_sel:DWORD dst_unused:UNUSED_PAD src0_sel:WORD_0 src1_sel:DWORD
	v_lshrrev_b32_e32 v50, 3, v51
	s_mov_b32 s30, exec_lo
	v_cmpx_gt_u32_e32 8, v51
; %bb.633:                              ;   in Loop: Header=BB257_522 Depth=1
	v_ffbh_u32_e32 v12, v49
	v_min_u32_e32 v49, 32, v12
	v_subrev_nc_u32_e32 v12, 28, v49
	v_sub_nc_u32_e32 v50, 29, v49
	v_lshlrev_b64 v[12:13], v12, v[1:2]
	v_and_b32_e32 v49, 7, v12
; %bb.634:                              ;   in Loop: Header=BB257_522 Depth=1
	s_or_b32 exec_lo, exec_lo, s30
	v_lshlrev_b32_sdwa v1, v29, v1 dst_sel:DWORD dst_unused:UNUSED_PAD src0_sel:DWORD src1_sel:WORD_0
	v_lshl_add_u32 v12, v50, 10, 0x2000
	v_and_or_b32 v1, 0x8000, v1, v12
	v_lshlrev_b32_e32 v12, 23, v49
	v_lshl_or_b32 v49, v1, 16, v12
.LBB257_635:                            ;   in Loop: Header=BB257_522 Depth=1
	s_or_b32 exec_lo, exec_lo, s29
.LBB257_636:                            ;   in Loop: Header=BB257_522 Depth=1
	s_or_b32 exec_lo, exec_lo, s28
.LBB257_637:                            ;   in Loop: Header=BB257_522 Depth=1
	s_or_b32 exec_lo, exec_lo, s27
	v_lshrrev_b32_e32 v1, 16, v10
	v_cmp_ne_u16_sdwa s1, v1, v2 src0_sel:BYTE_0 src1_sel:DWORD
	s_and_saveexec_b32 s27, s1
	s_cbranch_execz .LBB257_645
; %bb.638:                              ;   in Loop: Header=BB257_522 Depth=1
	v_cmp_ne_u16_sdwa s1, v1, v17 src0_sel:BYTE_0 src1_sel:DWORD
	v_mov_b32_e32 v47, 0x8000
	s_and_saveexec_b32 s28, s1
	s_cbranch_execz .LBB257_644
; %bb.639:                              ;   in Loop: Header=BB257_522 Depth=1
	v_bfe_u32 v51, v10, 16, 7
	v_mov_b32_e32 v47, 0x7c01
	s_mov_b32 s29, exec_lo
	v_cmpx_ne_u32_e32 0x7f, v51
	s_cbranch_execz .LBB257_643
; %bb.640:                              ;   in Loop: Header=BB257_522 Depth=1
	v_and_b32_e32 v47, 7, v1
	v_lshrrev_b32_e32 v50, 3, v51
	s_mov_b32 s30, exec_lo
	v_cmpx_gt_u32_e32 8, v51
; %bb.641:                              ;   in Loop: Header=BB257_522 Depth=1
	v_ffbh_u32_e32 v12, v47
	v_min_u32_e32 v47, 32, v12
	v_subrev_nc_u32_e32 v12, 28, v47
	v_sub_nc_u32_e32 v50, 29, v47
	v_lshlrev_b64 v[12:13], v12, v[1:2]
	v_and_b32_e32 v47, 7, v12
; %bb.642:                              ;   in Loop: Header=BB257_522 Depth=1
	s_or_b32 exec_lo, exec_lo, s30
	v_lshlrev_b32_e32 v1, 8, v1
	v_lshl_add_u32 v12, v50, 10, 0x2000
	v_lshlrev_b32_e32 v13, 7, v47
	v_and_b32_e32 v1, 0x8000, v1
	v_and_b32_e32 v12, 0xfc00, v12
	v_or3_b32 v47, v1, v12, v13
.LBB257_643:                            ;   in Loop: Header=BB257_522 Depth=1
	s_or_b32 exec_lo, exec_lo, s29
.LBB257_644:                            ;   in Loop: Header=BB257_522 Depth=1
	s_or_b32 exec_lo, exec_lo, s28
.LBB257_645:                            ;   in Loop: Header=BB257_522 Depth=1
	s_or_b32 exec_lo, exec_lo, s27
	v_cmp_lt_u64_e64 s1, s[4:5], v[9:10]
	v_mov_b32_e32 v9, 0
	s_and_saveexec_b32 s27, s1
	s_cbranch_execz .LBB257_653
; %bb.646:                              ;   in Loop: Header=BB257_522 Depth=1
	v_lshrrev_b32_e32 v1, 24, v10
	v_bfrev_b32_e32 v9, 1
	s_mov_b32 s28, exec_lo
	v_cmpx_ne_u32_e32 0x80, v1
	s_cbranch_execz .LBB257_652
; %bb.647:                              ;   in Loop: Header=BB257_522 Depth=1
	v_and_b32_e32 v50, 0x7f, v1
	v_mov_b32_e32 v9, 0x7c010000
	s_mov_b32 s29, exec_lo
	v_cmpx_ne_u32_e32 0x7f, v50
	s_cbranch_execz .LBB257_651
; %bb.648:                              ;   in Loop: Header=BB257_522 Depth=1
	v_and_b32_e32 v9, 7, v1
	v_lshrrev_b32_e32 v10, 3, v50
	s_mov_b32 s30, exec_lo
	v_cmpx_gt_u32_e32 8, v50
; %bb.649:                              ;   in Loop: Header=BB257_522 Depth=1
	v_ffbh_u32_e32 v9, v9
	v_min_u32_e32 v12, 32, v9
	v_subrev_nc_u32_e32 v9, 28, v12
	v_lshlrev_b64 v[9:10], v9, v[1:2]
	v_sub_nc_u32_e32 v10, 29, v12
	v_and_b32_e32 v9, 7, v9
; %bb.650:                              ;   in Loop: Header=BB257_522 Depth=1
	s_or_b32 exec_lo, exec_lo, s30
	v_lshlrev_b32_e32 v1, 8, v1
	v_lshl_add_u32 v10, v10, 10, 0x2000
	v_lshlrev_b32_e32 v9, 23, v9
	v_and_or_b32 v1, 0x8000, v1, v10
	v_lshl_or_b32 v9, v1, 16, v9
.LBB257_651:                            ;   in Loop: Header=BB257_522 Depth=1
	s_or_b32 exec_lo, exec_lo, s29
.LBB257_652:                            ;   in Loop: Header=BB257_522 Depth=1
	s_or_b32 exec_lo, exec_lo, s28
.LBB257_653:                            ;   in Loop: Header=BB257_522 Depth=1
	s_or_b32 exec_lo, exec_lo, s27
	v_or_b32_e32 v1, v45, v46
	s_waitcnt vmcnt(0)
	v_fma_mixlo_f16 v10, v42, v45, 0 op_sel:[0,1,0] op_sel_hi:[0,1,0]
	v_or_b32_e32 v12, v43, v44
	v_fma_mixlo_f16 v13, v42, v43, 0 op_sel:[0,1,0] op_sel_hi:[0,1,0]
	v_or_b32_e32 v46, v49, v48
	v_fma_mixlo_f16 v1, v42, v1, 0 op_sel_hi:[0,1,0]
	v_or_b32_e32 v47, v9, v47
	v_lshlrev_b32_e32 v43, 16, v10
	v_lshlrev_b32_e32 v45, 16, v13
	v_fma_mixlo_f16 v10, v42, v12, 0 op_sel_hi:[0,1,0]
	v_and_b32_e32 v44, 0xffff, v1
	v_fma_mixlo_f16 v1, v42, v49, 0 op_sel:[0,1,0] op_sel_hi:[0,1,0]
	v_fma_mixlo_f16 v12, v42, v46, 0 op_sel_hi:[0,1,0]
	v_fma_mixlo_f16 v13, v42, v9, 0 op_sel:[0,1,0] op_sel_hi:[0,1,0]
	v_fma_mixlo_f16 v46, v42, v47, 0 op_sel_hi:[0,1,0]
	v_and_b32_e32 v49, 0xffff, v10
	v_lshlrev_b32_e32 v9, 16, v1
	v_and_b32_e32 v42, 0xffff, v12
	v_lshlrev_b32_e32 v1, 16, v13
	v_and_b32_e32 v10, 0xffff, v46
	v_or_b32_e32 v46, v43, v44
	v_or_b32_e32 v50, v45, v49
	;; [unrolled: 1-line block ×4, first 2 shown]
	s_and_saveexec_b32 s27, s0
	s_cbranch_execz .LBB257_655
; %bb.654:                              ;   in Loop: Header=BB257_522 Depth=1
	v_add_nc_u32_e32 v12, 1, v35
	v_cmp_gt_i32_e64 s1, s33, v35
	v_add_nc_u32_e32 v13, 2, v35
	v_add_nc_u32_e32 v47, 3, v35
	v_cndmask_b32_e64 v46, 0, v49, s1
	v_cmp_gt_i32_e64 s1, s33, v12
	v_cndmask_b32_e64 v12, 0, v45, s1
	v_cmp_gt_i32_e64 s1, s33, v13
	v_add_nc_u32_e32 v45, 5, v35
	v_or_b32_e32 v50, v12, v46
	v_cndmask_b32_e64 v13, 0, v44, s1
	v_add_nc_u32_e32 v44, 4, v35
	v_cmp_gt_i32_e64 s1, s33, v47
	v_add_nc_u32_e32 v47, 6, v35
	v_cndmask_b32_e64 v43, 0, v43, s1
	v_cmp_gt_i32_e64 s1, s33, v44
	v_add_nc_u32_e32 v44, 7, v35
	v_or_b32_e32 v46, v43, v13
	v_cndmask_b32_e64 v42, 0, v42, s1
	v_cmp_gt_i32_e64 s1, s33, v45
	v_cndmask_b32_e64 v9, 0, v9, s1
	v_cmp_gt_i32_e64 s1, s33, v47
	v_or_b32_e32 v48, v9, v42
	v_cndmask_b32_e64 v10, 0, v10, s1
	v_cmp_gt_i32_e64 s1, s33, v44
	v_cndmask_b32_e64 v1, 0, v1, s1
	v_or_b32_e32 v47, v1, v10
.LBB257_655:                            ;   in Loop: Header=BB257_522 Depth=1
	s_or_b32 exec_lo, exec_lo, s27
	;;#ASMSTART
	v_pk_mul_f16 v1, v41, v50;

	;;#ASMEND
	;;#ASMSTART
	v_pk_mul_f16 v9, v40, v46;

	;;#ASMEND
	;; [unrolled: 4-line block ×4, first 2 shown]
	;;#ASMSTART
	v_pk_add_f16 v1, v1, v9;

	;;#ASMEND
	;;#ASMSTART
	v_pk_add_f16 v1, v1, v10;

	;;#ASMEND
	;; [unrolled: 4-line block ×3, first 2 shown]
	v_and_b32_e32 v9, 0xffff, v1
	v_lshrrev_b32_e32 v1, 16, v1
	;;#ASMSTART
	v_cvt_f32_f16 v42, v9;
	;;#ASMEND
	;;#ASMSTART
	v_cvt_f32_f16 v43, v1;
	;;#ASMEND
	global_load_dwordx2 v[9:10], v[7:8], off offset:512
	v_mov_b32_e32 v45, 0
	v_mov_b32_e32 v46, 0
	global_load_dword v44, v45, s[14:15]
	s_waitcnt vmcnt(1)
	v_cmp_ne_u16_sdwa s1, v9, v2 src0_sel:BYTE_0 src1_sel:DWORD
	s_and_saveexec_b32 s27, s1
	s_cbranch_execz .LBB257_663
; %bb.656:                              ;   in Loop: Header=BB257_522 Depth=1
	v_cmp_ne_u16_sdwa s1, v9, v17 src0_sel:BYTE_0 src1_sel:DWORD
	v_mov_b32_e32 v46, 0x8000
	s_and_saveexec_b32 s28, s1
	s_cbranch_execz .LBB257_662
; %bb.657:                              ;   in Loop: Header=BB257_522 Depth=1
	v_and_b32_e32 v47, 0x7f, v9
	v_mov_b32_e32 v46, 0x7c01
	s_mov_b32 s29, exec_lo
	v_cmpx_ne_u32_e32 0x7f, v47
	s_cbranch_execz .LBB257_661
; %bb.658:                              ;   in Loop: Header=BB257_522 Depth=1
	v_and_b32_e32 v1, 7, v9
	v_lshrrev_b32_e32 v46, 3, v47
	s_mov_b32 s30, exec_lo
	v_cmpx_gt_u32_e32 8, v47
; %bb.659:                              ;   in Loop: Header=BB257_522 Depth=1
	v_ffbh_u32_e32 v1, v1
	v_min_u32_e32 v1, 32, v1
	v_subrev_nc_u32_e32 v12, 28, v1
	v_sub_nc_u32_e32 v46, 29, v1
	v_lshlrev_b64 v[12:13], v12, v[9:10]
	v_and_b32_e32 v1, 7, v12
; %bb.660:                              ;   in Loop: Header=BB257_522 Depth=1
	s_or_b32 exec_lo, exec_lo, s30
	v_lshlrev_b32_e32 v12, 8, v9
	v_lshl_add_u32 v13, v46, 10, 0x2000
	v_lshlrev_b32_e32 v1, 7, v1
	v_and_b32_e32 v12, 0x8000, v12
	v_and_b32_e32 v13, 0xfc00, v13
	v_or3_b32 v46, v12, v13, v1
.LBB257_661:                            ;   in Loop: Header=BB257_522 Depth=1
	s_or_b32 exec_lo, exec_lo, s29
.LBB257_662:                            ;   in Loop: Header=BB257_522 Depth=1
	s_or_b32 exec_lo, exec_lo, s28
.LBB257_663:                            ;   in Loop: Header=BB257_522 Depth=1
	s_or_b32 exec_lo, exec_lo, s27
	v_lshrrev_b16 v1, 8, v9
	s_mov_b32 s27, exec_lo
	v_cmpx_ne_u16_e32 0, v1
	s_cbranch_execz .LBB257_671
; %bb.664:                              ;   in Loop: Header=BB257_522 Depth=1
	v_bfrev_b32_e32 v45, 1
	s_mov_b32 s28, exec_lo
	v_cmpx_ne_u16_e32 0x80, v1
	s_cbranch_execz .LBB257_670
; %bb.665:                              ;   in Loop: Header=BB257_522 Depth=1
	v_and_b32_sdwa v48, v1, v27 dst_sel:DWORD dst_unused:UNUSED_PAD src0_sel:WORD_0 src1_sel:DWORD
	v_mov_b32_e32 v45, 0x7c010000
	s_mov_b32 s29, exec_lo
	v_cmpx_ne_u32_e32 0x7f, v48
	s_cbranch_execz .LBB257_669
; %bb.666:                              ;   in Loop: Header=BB257_522 Depth=1
	v_and_b32_sdwa v45, v1, v28 dst_sel:DWORD dst_unused:UNUSED_PAD src0_sel:WORD_0 src1_sel:DWORD
	v_lshrrev_b32_e32 v47, 3, v48
	s_mov_b32 s30, exec_lo
	v_cmpx_gt_u32_e32 8, v48
; %bb.667:                              ;   in Loop: Header=BB257_522 Depth=1
	v_ffbh_u32_e32 v12, v45
	v_min_u32_e32 v45, 32, v12
	v_subrev_nc_u32_e32 v12, 28, v45
	v_sub_nc_u32_e32 v47, 29, v45
	v_lshlrev_b64 v[12:13], v12, v[1:2]
	v_and_b32_e32 v45, 7, v12
; %bb.668:                              ;   in Loop: Header=BB257_522 Depth=1
	s_or_b32 exec_lo, exec_lo, s30
	v_lshlrev_b32_sdwa v1, v29, v1 dst_sel:DWORD dst_unused:UNUSED_PAD src0_sel:DWORD src1_sel:WORD_0
	v_lshl_add_u32 v12, v47, 10, 0x2000
	v_and_or_b32 v1, 0x8000, v1, v12
	v_lshlrev_b32_e32 v12, 23, v45
	v_lshl_or_b32 v45, v1, 16, v12
.LBB257_669:                            ;   in Loop: Header=BB257_522 Depth=1
	s_or_b32 exec_lo, exec_lo, s29
.LBB257_670:                            ;   in Loop: Header=BB257_522 Depth=1
	s_or_b32 exec_lo, exec_lo, s28
.LBB257_671:                            ;   in Loop: Header=BB257_522 Depth=1
	s_or_b32 exec_lo, exec_lo, s27
	v_lshrrev_b32_e32 v1, 16, v9
	v_mov_b32_e32 v47, 0
	v_mov_b32_e32 v48, 0
	v_cmp_ne_u16_sdwa s1, v1, v2 src0_sel:BYTE_0 src1_sel:DWORD
	s_and_saveexec_b32 s27, s1
	s_cbranch_execz .LBB257_679
; %bb.672:                              ;   in Loop: Header=BB257_522 Depth=1
	v_cmp_ne_u16_sdwa s1, v1, v17 src0_sel:BYTE_0 src1_sel:DWORD
	v_mov_b32_e32 v48, 0x8000
	s_and_saveexec_b32 s28, s1
	s_cbranch_execz .LBB257_678
; %bb.673:                              ;   in Loop: Header=BB257_522 Depth=1
	v_bfe_u32 v50, v9, 16, 7
	v_mov_b32_e32 v48, 0x7c01
	s_mov_b32 s29, exec_lo
	v_cmpx_ne_u32_e32 0x7f, v50
	s_cbranch_execz .LBB257_677
; %bb.674:                              ;   in Loop: Header=BB257_522 Depth=1
	v_and_b32_e32 v48, 7, v1
	v_lshrrev_b32_e32 v49, 3, v50
	s_mov_b32 s30, exec_lo
	v_cmpx_gt_u32_e32 8, v50
; %bb.675:                              ;   in Loop: Header=BB257_522 Depth=1
	v_ffbh_u32_e32 v12, v48
	v_min_u32_e32 v48, 32, v12
	v_subrev_nc_u32_e32 v12, 28, v48
	v_sub_nc_u32_e32 v49, 29, v48
	v_lshlrev_b64 v[12:13], v12, v[1:2]
	v_and_b32_e32 v48, 7, v12
; %bb.676:                              ;   in Loop: Header=BB257_522 Depth=1
	s_or_b32 exec_lo, exec_lo, s30
	v_lshlrev_b32_e32 v1, 8, v1
	v_lshl_add_u32 v12, v49, 10, 0x2000
	v_lshlrev_b32_e32 v13, 7, v48
	v_and_b32_e32 v1, 0x8000, v1
	v_and_b32_e32 v12, 0xfc00, v12
	v_or3_b32 v48, v1, v12, v13
.LBB257_677:                            ;   in Loop: Header=BB257_522 Depth=1
	s_or_b32 exec_lo, exec_lo, s29
.LBB257_678:                            ;   in Loop: Header=BB257_522 Depth=1
	s_or_b32 exec_lo, exec_lo, s28
.LBB257_679:                            ;   in Loop: Header=BB257_522 Depth=1
	s_or_b32 exec_lo, exec_lo, s27
	s_mov_b32 s27, exec_lo
	v_cmpx_lt_u32_e32 0xffffff, v9
	s_cbranch_execz .LBB257_687
; %bb.680:                              ;   in Loop: Header=BB257_522 Depth=1
	v_lshrrev_b32_e32 v1, 24, v9
	v_bfrev_b32_e32 v47, 1
	s_mov_b32 s28, exec_lo
	v_cmpx_ne_u32_e32 0x80, v1
	s_cbranch_execz .LBB257_686
; %bb.681:                              ;   in Loop: Header=BB257_522 Depth=1
	v_and_b32_e32 v50, 0x7f, v1
	v_mov_b32_e32 v47, 0x7c010000
	s_mov_b32 s29, exec_lo
	v_cmpx_ne_u32_e32 0x7f, v50
	s_cbranch_execz .LBB257_685
; %bb.682:                              ;   in Loop: Header=BB257_522 Depth=1
	v_and_b32_e32 v47, 7, v1
	v_lshrrev_b32_e32 v49, 3, v50
	s_mov_b32 s30, exec_lo
	v_cmpx_gt_u32_e32 8, v50
; %bb.683:                              ;   in Loop: Header=BB257_522 Depth=1
	v_ffbh_u32_e32 v12, v47
	v_min_u32_e32 v47, 32, v12
	v_subrev_nc_u32_e32 v12, 28, v47
	v_sub_nc_u32_e32 v49, 29, v47
	v_lshlrev_b64 v[12:13], v12, v[1:2]
	v_and_b32_e32 v47, 7, v12
; %bb.684:                              ;   in Loop: Header=BB257_522 Depth=1
	s_or_b32 exec_lo, exec_lo, s30
	v_lshlrev_b32_e32 v1, 8, v1
	v_lshl_add_u32 v12, v49, 10, 0x2000
	v_and_or_b32 v1, 0x8000, v1, v12
	v_lshlrev_b32_e32 v12, 23, v47
	v_lshl_or_b32 v47, v1, 16, v12
.LBB257_685:                            ;   in Loop: Header=BB257_522 Depth=1
	s_or_b32 exec_lo, exec_lo, s29
.LBB257_686:                            ;   in Loop: Header=BB257_522 Depth=1
	s_or_b32 exec_lo, exec_lo, s28
.LBB257_687:                            ;   in Loop: Header=BB257_522 Depth=1
	s_or_b32 exec_lo, exec_lo, s27
	v_mov_b32_e32 v1, v10
	v_cmp_ne_u16_sdwa s1, v10, v2 src0_sel:BYTE_0 src1_sel:DWORD
	v_mov_b32_e32 v49, 0
	v_mov_b32_e32 v50, 0
	s_and_saveexec_b32 s27, s1
	s_cbranch_execz .LBB257_695
; %bb.688:                              ;   in Loop: Header=BB257_522 Depth=1
	v_cmp_ne_u16_sdwa s1, v10, v17 src0_sel:BYTE_0 src1_sel:DWORD
	v_mov_b32_e32 v50, 0x8000
	s_and_saveexec_b32 s28, s1
	s_cbranch_execz .LBB257_694
; %bb.689:                              ;   in Loop: Header=BB257_522 Depth=1
	v_and_b32_e32 v52, 0x7f, v10
	v_mov_b32_e32 v50, 0x7c01
	s_mov_b32 s29, exec_lo
	v_cmpx_ne_u32_e32 0x7f, v52
	s_cbranch_execz .LBB257_693
; %bb.690:                              ;   in Loop: Header=BB257_522 Depth=1
	v_and_b32_e32 v50, 7, v10
	v_lshrrev_b32_e32 v51, 3, v52
	s_mov_b32 s30, exec_lo
	v_cmpx_gt_u32_e32 8, v52
; %bb.691:                              ;   in Loop: Header=BB257_522 Depth=1
	v_ffbh_u32_e32 v12, v50
	v_min_u32_e32 v50, 32, v12
	v_subrev_nc_u32_e32 v12, 28, v50
	v_sub_nc_u32_e32 v51, 29, v50
	v_lshlrev_b64 v[12:13], v12, v[1:2]
	v_and_b32_e32 v50, 7, v12
; %bb.692:                              ;   in Loop: Header=BB257_522 Depth=1
	s_or_b32 exec_lo, exec_lo, s30
	v_lshlrev_b32_e32 v12, 8, v10
	v_lshl_add_u32 v13, v51, 10, 0x2000
	v_lshlrev_b32_e32 v50, 7, v50
	v_and_b32_e32 v12, 0x8000, v12
	v_and_b32_e32 v13, 0xfc00, v13
	v_or3_b32 v50, v12, v13, v50
.LBB257_693:                            ;   in Loop: Header=BB257_522 Depth=1
	s_or_b32 exec_lo, exec_lo, s29
.LBB257_694:                            ;   in Loop: Header=BB257_522 Depth=1
	s_or_b32 exec_lo, exec_lo, s28
.LBB257_695:                            ;   in Loop: Header=BB257_522 Depth=1
	s_or_b32 exec_lo, exec_lo, s27
	v_lshrrev_b16 v1, 8, v1
	v_mov_b32_e32 v51, 0
	s_mov_b32 s27, exec_lo
	v_cmpx_ne_u16_e32 0, v1
	s_cbranch_execz .LBB257_703
; %bb.696:                              ;   in Loop: Header=BB257_522 Depth=1
	v_bfrev_b32_e32 v51, 1
	s_mov_b32 s28, exec_lo
	v_cmpx_ne_u16_e32 0x80, v1
	s_cbranch_execz .LBB257_702
; %bb.697:                              ;   in Loop: Header=BB257_522 Depth=1
	v_and_b32_sdwa v53, v1, v27 dst_sel:DWORD dst_unused:UNUSED_PAD src0_sel:WORD_0 src1_sel:DWORD
	v_mov_b32_e32 v51, 0x7c010000
	s_mov_b32 s29, exec_lo
	v_cmpx_ne_u32_e32 0x7f, v53
	s_cbranch_execz .LBB257_701
; %bb.698:                              ;   in Loop: Header=BB257_522 Depth=1
	v_and_b32_sdwa v51, v1, v28 dst_sel:DWORD dst_unused:UNUSED_PAD src0_sel:WORD_0 src1_sel:DWORD
	v_lshrrev_b32_e32 v52, 3, v53
	s_mov_b32 s30, exec_lo
	v_cmpx_gt_u32_e32 8, v53
; %bb.699:                              ;   in Loop: Header=BB257_522 Depth=1
	v_ffbh_u32_e32 v12, v51
	v_min_u32_e32 v51, 32, v12
	v_subrev_nc_u32_e32 v12, 28, v51
	v_sub_nc_u32_e32 v52, 29, v51
	v_lshlrev_b64 v[12:13], v12, v[1:2]
	v_and_b32_e32 v51, 7, v12
; %bb.700:                              ;   in Loop: Header=BB257_522 Depth=1
	s_or_b32 exec_lo, exec_lo, s30
	v_lshlrev_b32_sdwa v1, v29, v1 dst_sel:DWORD dst_unused:UNUSED_PAD src0_sel:DWORD src1_sel:WORD_0
	v_lshl_add_u32 v12, v52, 10, 0x2000
	v_and_or_b32 v1, 0x8000, v1, v12
	v_lshlrev_b32_e32 v12, 23, v51
	v_lshl_or_b32 v51, v1, 16, v12
.LBB257_701:                            ;   in Loop: Header=BB257_522 Depth=1
	s_or_b32 exec_lo, exec_lo, s29
.LBB257_702:                            ;   in Loop: Header=BB257_522 Depth=1
	s_or_b32 exec_lo, exec_lo, s28
.LBB257_703:                            ;   in Loop: Header=BB257_522 Depth=1
	s_or_b32 exec_lo, exec_lo, s27
	v_lshrrev_b32_e32 v1, 16, v10
	v_cmp_ne_u16_sdwa s1, v1, v2 src0_sel:BYTE_0 src1_sel:DWORD
	s_and_saveexec_b32 s27, s1
	s_cbranch_execz .LBB257_711
; %bb.704:                              ;   in Loop: Header=BB257_522 Depth=1
	v_cmp_ne_u16_sdwa s1, v1, v17 src0_sel:BYTE_0 src1_sel:DWORD
	v_mov_b32_e32 v49, 0x8000
	s_and_saveexec_b32 s28, s1
	s_cbranch_execz .LBB257_710
; %bb.705:                              ;   in Loop: Header=BB257_522 Depth=1
	v_bfe_u32 v53, v10, 16, 7
	v_mov_b32_e32 v49, 0x7c01
	s_mov_b32 s29, exec_lo
	v_cmpx_ne_u32_e32 0x7f, v53
	s_cbranch_execz .LBB257_709
; %bb.706:                              ;   in Loop: Header=BB257_522 Depth=1
	v_and_b32_e32 v49, 7, v1
	v_lshrrev_b32_e32 v52, 3, v53
	s_mov_b32 s30, exec_lo
	v_cmpx_gt_u32_e32 8, v53
; %bb.707:                              ;   in Loop: Header=BB257_522 Depth=1
	v_ffbh_u32_e32 v12, v49
	v_min_u32_e32 v49, 32, v12
	v_subrev_nc_u32_e32 v12, 28, v49
	v_sub_nc_u32_e32 v52, 29, v49
	v_lshlrev_b64 v[12:13], v12, v[1:2]
	v_and_b32_e32 v49, 7, v12
; %bb.708:                              ;   in Loop: Header=BB257_522 Depth=1
	s_or_b32 exec_lo, exec_lo, s30
	v_lshlrev_b32_e32 v1, 8, v1
	v_lshl_add_u32 v12, v52, 10, 0x2000
	v_lshlrev_b32_e32 v13, 7, v49
	v_and_b32_e32 v1, 0x8000, v1
	v_and_b32_e32 v12, 0xfc00, v12
	v_or3_b32 v49, v1, v12, v13
.LBB257_709:                            ;   in Loop: Header=BB257_522 Depth=1
	s_or_b32 exec_lo, exec_lo, s29
.LBB257_710:                            ;   in Loop: Header=BB257_522 Depth=1
	s_or_b32 exec_lo, exec_lo, s28
.LBB257_711:                            ;   in Loop: Header=BB257_522 Depth=1
	s_or_b32 exec_lo, exec_lo, s27
	v_cmp_lt_u64_e64 s1, s[4:5], v[9:10]
	v_mov_b32_e32 v9, 0
	s_and_saveexec_b32 s27, s1
	s_cbranch_execz .LBB257_719
; %bb.712:                              ;   in Loop: Header=BB257_522 Depth=1
	v_lshrrev_b32_e32 v1, 24, v10
	v_bfrev_b32_e32 v9, 1
	s_mov_b32 s28, exec_lo
	v_cmpx_ne_u32_e32 0x80, v1
	s_cbranch_execz .LBB257_718
; %bb.713:                              ;   in Loop: Header=BB257_522 Depth=1
	v_and_b32_e32 v52, 0x7f, v1
	v_mov_b32_e32 v9, 0x7c010000
	s_mov_b32 s29, exec_lo
	v_cmpx_ne_u32_e32 0x7f, v52
	s_cbranch_execz .LBB257_717
; %bb.714:                              ;   in Loop: Header=BB257_522 Depth=1
	v_and_b32_e32 v9, 7, v1
	v_lshrrev_b32_e32 v10, 3, v52
	s_mov_b32 s30, exec_lo
	v_cmpx_gt_u32_e32 8, v52
; %bb.715:                              ;   in Loop: Header=BB257_522 Depth=1
	v_ffbh_u32_e32 v9, v9
	v_min_u32_e32 v12, 32, v9
	v_subrev_nc_u32_e32 v9, 28, v12
	v_lshlrev_b64 v[9:10], v9, v[1:2]
	v_sub_nc_u32_e32 v10, 29, v12
	v_and_b32_e32 v9, 7, v9
; %bb.716:                              ;   in Loop: Header=BB257_522 Depth=1
	s_or_b32 exec_lo, exec_lo, s30
	v_lshlrev_b32_e32 v1, 8, v1
	v_lshl_add_u32 v10, v10, 10, 0x2000
	v_lshlrev_b32_e32 v9, 23, v9
	v_and_or_b32 v1, 0x8000, v1, v10
	v_lshl_or_b32 v9, v1, 16, v9
.LBB257_717:                            ;   in Loop: Header=BB257_522 Depth=1
	s_or_b32 exec_lo, exec_lo, s29
.LBB257_718:                            ;   in Loop: Header=BB257_522 Depth=1
	s_or_b32 exec_lo, exec_lo, s28
.LBB257_719:                            ;   in Loop: Header=BB257_522 Depth=1
	s_or_b32 exec_lo, exec_lo, s27
	v_or_b32_e32 v1, v47, v48
	s_waitcnt vmcnt(0)
	v_fma_mixlo_f16 v10, v44, v47, 0 op_sel:[0,1,0] op_sel_hi:[0,1,0]
	v_or_b32_e32 v12, v45, v46
	v_fma_mixlo_f16 v13, v44, v45, 0 op_sel:[0,1,0] op_sel_hi:[0,1,0]
	v_or_b32_e32 v48, v51, v50
	v_fma_mixlo_f16 v1, v44, v1, 0 op_sel_hi:[0,1,0]
	v_or_b32_e32 v49, v9, v49
	v_lshlrev_b32_e32 v45, 16, v10
	v_lshlrev_b32_e32 v47, 16, v13
	v_fma_mixlo_f16 v10, v44, v12, 0 op_sel_hi:[0,1,0]
	v_and_b32_e32 v46, 0xffff, v1
	v_fma_mixlo_f16 v1, v44, v51, 0 op_sel:[0,1,0] op_sel_hi:[0,1,0]
	v_fma_mixlo_f16 v12, v44, v48, 0 op_sel_hi:[0,1,0]
	v_fma_mixlo_f16 v13, v44, v9, 0 op_sel:[0,1,0] op_sel_hi:[0,1,0]
	v_fma_mixlo_f16 v48, v44, v49, 0 op_sel_hi:[0,1,0]
	v_and_b32_e32 v51, 0xffff, v10
	v_lshlrev_b32_e32 v9, 16, v1
	v_and_b32_e32 v44, 0xffff, v12
	v_lshlrev_b32_e32 v1, 16, v13
	v_and_b32_e32 v10, 0xffff, v48
	v_or_b32_e32 v48, v45, v46
	v_or_b32_e32 v52, v47, v51
	;; [unrolled: 1-line block ×4, first 2 shown]
	s_and_saveexec_b32 s27, s0
	s_cbranch_execz .LBB257_721
; %bb.720:                              ;   in Loop: Header=BB257_522 Depth=1
	v_add_nc_u32_e32 v12, 1, v35
	v_cmp_gt_i32_e64 s1, s33, v35
	v_add_nc_u32_e32 v13, 2, v35
	v_add_nc_u32_e32 v49, 3, v35
	v_cndmask_b32_e64 v48, 0, v51, s1
	v_cmp_gt_i32_e64 s1, s33, v12
	v_cndmask_b32_e64 v12, 0, v47, s1
	v_cmp_gt_i32_e64 s1, s33, v13
	v_add_nc_u32_e32 v47, 5, v35
	v_or_b32_e32 v52, v12, v48
	v_cndmask_b32_e64 v13, 0, v46, s1
	v_add_nc_u32_e32 v46, 4, v35
	v_cmp_gt_i32_e64 s1, s33, v49
	v_add_nc_u32_e32 v49, 6, v35
	v_cndmask_b32_e64 v45, 0, v45, s1
	v_cmp_gt_i32_e64 s1, s33, v46
	v_add_nc_u32_e32 v46, 7, v35
	v_or_b32_e32 v48, v45, v13
	v_cndmask_b32_e64 v44, 0, v44, s1
	v_cmp_gt_i32_e64 s1, s33, v47
	v_cndmask_b32_e64 v9, 0, v9, s1
	v_cmp_gt_i32_e64 s1, s33, v49
	v_or_b32_e32 v50, v9, v44
	v_cndmask_b32_e64 v10, 0, v10, s1
	v_cmp_gt_i32_e64 s1, s33, v46
	v_cndmask_b32_e64 v1, 0, v1, s1
	v_or_b32_e32 v49, v1, v10
.LBB257_721:                            ;   in Loop: Header=BB257_522 Depth=1
	s_or_b32 exec_lo, exec_lo, s27
	;;#ASMSTART
	v_pk_mul_f16 v1, v41, v52;

	;;#ASMEND
	;;#ASMSTART
	v_pk_mul_f16 v9, v40, v48;

	;;#ASMEND
	;;#ASMSTART
	v_pk_mul_f16 v10, v39, v50;

	;;#ASMEND
	;;#ASMSTART
	v_pk_mul_f16 v12, v38, v49;

	;;#ASMEND
	;;#ASMSTART
	v_pk_add_f16 v1, v1, v9;

	;;#ASMEND
	;;#ASMSTART
	v_pk_add_f16 v1, v1, v10;

	;;#ASMEND
	;; [unrolled: 4-line block ×3, first 2 shown]
	v_and_b32_e32 v9, 0xffff, v1
	v_lshrrev_b32_e32 v1, 16, v1
	;;#ASMSTART
	v_cvt_f32_f16 v44, v9;
	;;#ASMEND
	;;#ASMSTART
	v_cvt_f32_f16 v45, v1;
	;;#ASMEND
	global_load_dwordx2 v[9:10], v[7:8], off offset:768
	v_mov_b32_e32 v47, 0
	v_mov_b32_e32 v48, 0
	global_load_dword v46, v47, s[14:15]
	s_waitcnt vmcnt(1)
	v_cmp_ne_u16_sdwa s1, v9, v2 src0_sel:BYTE_0 src1_sel:DWORD
	s_and_saveexec_b32 s27, s1
	s_cbranch_execz .LBB257_729
; %bb.722:                              ;   in Loop: Header=BB257_522 Depth=1
	v_cmp_ne_u16_sdwa s1, v9, v17 src0_sel:BYTE_0 src1_sel:DWORD
	v_mov_b32_e32 v48, 0x8000
	s_and_saveexec_b32 s28, s1
	s_cbranch_execz .LBB257_728
; %bb.723:                              ;   in Loop: Header=BB257_522 Depth=1
	v_and_b32_e32 v49, 0x7f, v9
	v_mov_b32_e32 v48, 0x7c01
	s_mov_b32 s29, exec_lo
	v_cmpx_ne_u32_e32 0x7f, v49
	s_cbranch_execz .LBB257_727
; %bb.724:                              ;   in Loop: Header=BB257_522 Depth=1
	v_and_b32_e32 v1, 7, v9
	v_lshrrev_b32_e32 v48, 3, v49
	s_mov_b32 s30, exec_lo
	v_cmpx_gt_u32_e32 8, v49
; %bb.725:                              ;   in Loop: Header=BB257_522 Depth=1
	v_ffbh_u32_e32 v1, v1
	v_min_u32_e32 v1, 32, v1
	v_subrev_nc_u32_e32 v12, 28, v1
	v_sub_nc_u32_e32 v48, 29, v1
	v_lshlrev_b64 v[12:13], v12, v[9:10]
	v_and_b32_e32 v1, 7, v12
; %bb.726:                              ;   in Loop: Header=BB257_522 Depth=1
	s_or_b32 exec_lo, exec_lo, s30
	v_lshlrev_b32_e32 v12, 8, v9
	v_lshl_add_u32 v13, v48, 10, 0x2000
	v_lshlrev_b32_e32 v1, 7, v1
	v_and_b32_e32 v12, 0x8000, v12
	v_and_b32_e32 v13, 0xfc00, v13
	v_or3_b32 v48, v12, v13, v1
.LBB257_727:                            ;   in Loop: Header=BB257_522 Depth=1
	s_or_b32 exec_lo, exec_lo, s29
.LBB257_728:                            ;   in Loop: Header=BB257_522 Depth=1
	s_or_b32 exec_lo, exec_lo, s28
.LBB257_729:                            ;   in Loop: Header=BB257_522 Depth=1
	s_or_b32 exec_lo, exec_lo, s27
	v_lshrrev_b16 v1, 8, v9
	s_mov_b32 s27, exec_lo
	v_cmpx_ne_u16_e32 0, v1
	s_cbranch_execz .LBB257_737
; %bb.730:                              ;   in Loop: Header=BB257_522 Depth=1
	v_bfrev_b32_e32 v47, 1
	s_mov_b32 s28, exec_lo
	v_cmpx_ne_u16_e32 0x80, v1
	s_cbranch_execz .LBB257_736
; %bb.731:                              ;   in Loop: Header=BB257_522 Depth=1
	v_and_b32_sdwa v50, v1, v27 dst_sel:DWORD dst_unused:UNUSED_PAD src0_sel:WORD_0 src1_sel:DWORD
	v_mov_b32_e32 v47, 0x7c010000
	s_mov_b32 s29, exec_lo
	v_cmpx_ne_u32_e32 0x7f, v50
	s_cbranch_execz .LBB257_735
; %bb.732:                              ;   in Loop: Header=BB257_522 Depth=1
	v_and_b32_sdwa v47, v1, v28 dst_sel:DWORD dst_unused:UNUSED_PAD src0_sel:WORD_0 src1_sel:DWORD
	v_lshrrev_b32_e32 v49, 3, v50
	s_mov_b32 s30, exec_lo
	v_cmpx_gt_u32_e32 8, v50
; %bb.733:                              ;   in Loop: Header=BB257_522 Depth=1
	v_ffbh_u32_e32 v12, v47
	v_min_u32_e32 v47, 32, v12
	v_subrev_nc_u32_e32 v12, 28, v47
	v_sub_nc_u32_e32 v49, 29, v47
	v_lshlrev_b64 v[12:13], v12, v[1:2]
	v_and_b32_e32 v47, 7, v12
; %bb.734:                              ;   in Loop: Header=BB257_522 Depth=1
	s_or_b32 exec_lo, exec_lo, s30
	v_lshlrev_b32_sdwa v1, v29, v1 dst_sel:DWORD dst_unused:UNUSED_PAD src0_sel:DWORD src1_sel:WORD_0
	v_lshl_add_u32 v12, v49, 10, 0x2000
	v_and_or_b32 v1, 0x8000, v1, v12
	v_lshlrev_b32_e32 v12, 23, v47
	v_lshl_or_b32 v47, v1, 16, v12
.LBB257_735:                            ;   in Loop: Header=BB257_522 Depth=1
	s_or_b32 exec_lo, exec_lo, s29
.LBB257_736:                            ;   in Loop: Header=BB257_522 Depth=1
	s_or_b32 exec_lo, exec_lo, s28
.LBB257_737:                            ;   in Loop: Header=BB257_522 Depth=1
	s_or_b32 exec_lo, exec_lo, s27
	v_lshrrev_b32_e32 v1, 16, v9
	v_mov_b32_e32 v49, 0
	v_mov_b32_e32 v50, 0
	v_cmp_ne_u16_sdwa s1, v1, v2 src0_sel:BYTE_0 src1_sel:DWORD
	s_and_saveexec_b32 s27, s1
	s_cbranch_execz .LBB257_745
; %bb.738:                              ;   in Loop: Header=BB257_522 Depth=1
	v_cmp_ne_u16_sdwa s1, v1, v17 src0_sel:BYTE_0 src1_sel:DWORD
	v_mov_b32_e32 v50, 0x8000
	s_and_saveexec_b32 s28, s1
	s_cbranch_execz .LBB257_744
; %bb.739:                              ;   in Loop: Header=BB257_522 Depth=1
	v_bfe_u32 v52, v9, 16, 7
	v_mov_b32_e32 v50, 0x7c01
	s_mov_b32 s29, exec_lo
	v_cmpx_ne_u32_e32 0x7f, v52
	s_cbranch_execz .LBB257_743
; %bb.740:                              ;   in Loop: Header=BB257_522 Depth=1
	v_and_b32_e32 v50, 7, v1
	v_lshrrev_b32_e32 v51, 3, v52
	s_mov_b32 s30, exec_lo
	v_cmpx_gt_u32_e32 8, v52
; %bb.741:                              ;   in Loop: Header=BB257_522 Depth=1
	v_ffbh_u32_e32 v12, v50
	v_min_u32_e32 v50, 32, v12
	v_subrev_nc_u32_e32 v12, 28, v50
	v_sub_nc_u32_e32 v51, 29, v50
	v_lshlrev_b64 v[12:13], v12, v[1:2]
	v_and_b32_e32 v50, 7, v12
; %bb.742:                              ;   in Loop: Header=BB257_522 Depth=1
	s_or_b32 exec_lo, exec_lo, s30
	v_lshlrev_b32_e32 v1, 8, v1
	v_lshl_add_u32 v12, v51, 10, 0x2000
	v_lshlrev_b32_e32 v13, 7, v50
	v_and_b32_e32 v1, 0x8000, v1
	v_and_b32_e32 v12, 0xfc00, v12
	v_or3_b32 v50, v1, v12, v13
.LBB257_743:                            ;   in Loop: Header=BB257_522 Depth=1
	s_or_b32 exec_lo, exec_lo, s29
.LBB257_744:                            ;   in Loop: Header=BB257_522 Depth=1
	s_or_b32 exec_lo, exec_lo, s28
.LBB257_745:                            ;   in Loop: Header=BB257_522 Depth=1
	s_or_b32 exec_lo, exec_lo, s27
	s_mov_b32 s27, exec_lo
	v_cmpx_lt_u32_e32 0xffffff, v9
	s_cbranch_execz .LBB257_753
; %bb.746:                              ;   in Loop: Header=BB257_522 Depth=1
	v_lshrrev_b32_e32 v1, 24, v9
	v_bfrev_b32_e32 v49, 1
	s_mov_b32 s28, exec_lo
	v_cmpx_ne_u32_e32 0x80, v1
	s_cbranch_execz .LBB257_752
; %bb.747:                              ;   in Loop: Header=BB257_522 Depth=1
	v_and_b32_e32 v52, 0x7f, v1
	v_mov_b32_e32 v49, 0x7c010000
	s_mov_b32 s29, exec_lo
	v_cmpx_ne_u32_e32 0x7f, v52
	s_cbranch_execz .LBB257_751
; %bb.748:                              ;   in Loop: Header=BB257_522 Depth=1
	v_and_b32_e32 v49, 7, v1
	v_lshrrev_b32_e32 v51, 3, v52
	s_mov_b32 s30, exec_lo
	v_cmpx_gt_u32_e32 8, v52
; %bb.749:                              ;   in Loop: Header=BB257_522 Depth=1
	v_ffbh_u32_e32 v12, v49
	v_min_u32_e32 v49, 32, v12
	v_subrev_nc_u32_e32 v12, 28, v49
	v_sub_nc_u32_e32 v51, 29, v49
	v_lshlrev_b64 v[12:13], v12, v[1:2]
	v_and_b32_e32 v49, 7, v12
; %bb.750:                              ;   in Loop: Header=BB257_522 Depth=1
	s_or_b32 exec_lo, exec_lo, s30
	v_lshlrev_b32_e32 v1, 8, v1
	v_lshl_add_u32 v12, v51, 10, 0x2000
	v_and_or_b32 v1, 0x8000, v1, v12
	v_lshlrev_b32_e32 v12, 23, v49
	v_lshl_or_b32 v49, v1, 16, v12
.LBB257_751:                            ;   in Loop: Header=BB257_522 Depth=1
	s_or_b32 exec_lo, exec_lo, s29
.LBB257_752:                            ;   in Loop: Header=BB257_522 Depth=1
	s_or_b32 exec_lo, exec_lo, s28
.LBB257_753:                            ;   in Loop: Header=BB257_522 Depth=1
	s_or_b32 exec_lo, exec_lo, s27
	v_mov_b32_e32 v1, v10
	v_cmp_ne_u16_sdwa s1, v10, v2 src0_sel:BYTE_0 src1_sel:DWORD
	v_mov_b32_e32 v51, 0
	v_mov_b32_e32 v52, 0
	s_and_saveexec_b32 s27, s1
	s_cbranch_execz .LBB257_761
; %bb.754:                              ;   in Loop: Header=BB257_522 Depth=1
	v_cmp_ne_u16_sdwa s1, v10, v17 src0_sel:BYTE_0 src1_sel:DWORD
	v_mov_b32_e32 v52, 0x8000
	s_and_saveexec_b32 s28, s1
	s_cbranch_execz .LBB257_760
; %bb.755:                              ;   in Loop: Header=BB257_522 Depth=1
	v_and_b32_e32 v54, 0x7f, v10
	v_mov_b32_e32 v52, 0x7c01
	s_mov_b32 s29, exec_lo
	v_cmpx_ne_u32_e32 0x7f, v54
	s_cbranch_execz .LBB257_759
; %bb.756:                              ;   in Loop: Header=BB257_522 Depth=1
	v_and_b32_e32 v52, 7, v10
	v_lshrrev_b32_e32 v53, 3, v54
	s_mov_b32 s30, exec_lo
	v_cmpx_gt_u32_e32 8, v54
; %bb.757:                              ;   in Loop: Header=BB257_522 Depth=1
	v_ffbh_u32_e32 v12, v52
	v_min_u32_e32 v52, 32, v12
	v_subrev_nc_u32_e32 v12, 28, v52
	v_sub_nc_u32_e32 v53, 29, v52
	v_lshlrev_b64 v[12:13], v12, v[1:2]
	v_and_b32_e32 v52, 7, v12
; %bb.758:                              ;   in Loop: Header=BB257_522 Depth=1
	s_or_b32 exec_lo, exec_lo, s30
	v_lshlrev_b32_e32 v12, 8, v10
	v_lshl_add_u32 v13, v53, 10, 0x2000
	v_lshlrev_b32_e32 v52, 7, v52
	v_and_b32_e32 v12, 0x8000, v12
	v_and_b32_e32 v13, 0xfc00, v13
	v_or3_b32 v52, v12, v13, v52
.LBB257_759:                            ;   in Loop: Header=BB257_522 Depth=1
	s_or_b32 exec_lo, exec_lo, s29
.LBB257_760:                            ;   in Loop: Header=BB257_522 Depth=1
	s_or_b32 exec_lo, exec_lo, s28
.LBB257_761:                            ;   in Loop: Header=BB257_522 Depth=1
	s_or_b32 exec_lo, exec_lo, s27
	v_lshrrev_b16 v1, 8, v1
	v_mov_b32_e32 v53, 0
	s_mov_b32 s27, exec_lo
	v_cmpx_ne_u16_e32 0, v1
	s_cbranch_execz .LBB257_769
; %bb.762:                              ;   in Loop: Header=BB257_522 Depth=1
	v_bfrev_b32_e32 v53, 1
	s_mov_b32 s28, exec_lo
	v_cmpx_ne_u16_e32 0x80, v1
	s_cbranch_execz .LBB257_768
; %bb.763:                              ;   in Loop: Header=BB257_522 Depth=1
	v_and_b32_sdwa v55, v1, v27 dst_sel:DWORD dst_unused:UNUSED_PAD src0_sel:WORD_0 src1_sel:DWORD
	v_mov_b32_e32 v53, 0x7c010000
	s_mov_b32 s29, exec_lo
	v_cmpx_ne_u32_e32 0x7f, v55
	s_cbranch_execz .LBB257_767
; %bb.764:                              ;   in Loop: Header=BB257_522 Depth=1
	v_and_b32_sdwa v53, v1, v28 dst_sel:DWORD dst_unused:UNUSED_PAD src0_sel:WORD_0 src1_sel:DWORD
	v_lshrrev_b32_e32 v54, 3, v55
	s_mov_b32 s30, exec_lo
	v_cmpx_gt_u32_e32 8, v55
; %bb.765:                              ;   in Loop: Header=BB257_522 Depth=1
	v_ffbh_u32_e32 v12, v53
	v_min_u32_e32 v53, 32, v12
	v_subrev_nc_u32_e32 v12, 28, v53
	v_sub_nc_u32_e32 v54, 29, v53
	v_lshlrev_b64 v[12:13], v12, v[1:2]
	v_and_b32_e32 v53, 7, v12
; %bb.766:                              ;   in Loop: Header=BB257_522 Depth=1
	s_or_b32 exec_lo, exec_lo, s30
	v_lshlrev_b32_sdwa v1, v29, v1 dst_sel:DWORD dst_unused:UNUSED_PAD src0_sel:DWORD src1_sel:WORD_0
	v_lshl_add_u32 v12, v54, 10, 0x2000
	v_and_or_b32 v1, 0x8000, v1, v12
	v_lshlrev_b32_e32 v12, 23, v53
	v_lshl_or_b32 v53, v1, 16, v12
.LBB257_767:                            ;   in Loop: Header=BB257_522 Depth=1
	s_or_b32 exec_lo, exec_lo, s29
.LBB257_768:                            ;   in Loop: Header=BB257_522 Depth=1
	s_or_b32 exec_lo, exec_lo, s28
.LBB257_769:                            ;   in Loop: Header=BB257_522 Depth=1
	s_or_b32 exec_lo, exec_lo, s27
	v_lshrrev_b32_e32 v1, 16, v10
	v_cmp_ne_u16_sdwa s1, v1, v2 src0_sel:BYTE_0 src1_sel:DWORD
	s_and_saveexec_b32 s27, s1
	s_cbranch_execz .LBB257_777
; %bb.770:                              ;   in Loop: Header=BB257_522 Depth=1
	v_cmp_ne_u16_sdwa s1, v1, v17 src0_sel:BYTE_0 src1_sel:DWORD
	v_mov_b32_e32 v51, 0x8000
	s_and_saveexec_b32 s28, s1
	s_cbranch_execz .LBB257_776
; %bb.771:                              ;   in Loop: Header=BB257_522 Depth=1
	v_bfe_u32 v55, v10, 16, 7
	v_mov_b32_e32 v51, 0x7c01
	s_mov_b32 s29, exec_lo
	v_cmpx_ne_u32_e32 0x7f, v55
	s_cbranch_execz .LBB257_775
; %bb.772:                              ;   in Loop: Header=BB257_522 Depth=1
	v_and_b32_e32 v51, 7, v1
	v_lshrrev_b32_e32 v54, 3, v55
	s_mov_b32 s30, exec_lo
	v_cmpx_gt_u32_e32 8, v55
; %bb.773:                              ;   in Loop: Header=BB257_522 Depth=1
	v_ffbh_u32_e32 v12, v51
	v_min_u32_e32 v51, 32, v12
	v_subrev_nc_u32_e32 v12, 28, v51
	v_sub_nc_u32_e32 v54, 29, v51
	v_lshlrev_b64 v[12:13], v12, v[1:2]
	v_and_b32_e32 v51, 7, v12
; %bb.774:                              ;   in Loop: Header=BB257_522 Depth=1
	s_or_b32 exec_lo, exec_lo, s30
	v_lshlrev_b32_e32 v1, 8, v1
	v_lshl_add_u32 v12, v54, 10, 0x2000
	v_lshlrev_b32_e32 v13, 7, v51
	v_and_b32_e32 v1, 0x8000, v1
	v_and_b32_e32 v12, 0xfc00, v12
	v_or3_b32 v51, v1, v12, v13
.LBB257_775:                            ;   in Loop: Header=BB257_522 Depth=1
	s_or_b32 exec_lo, exec_lo, s29
.LBB257_776:                            ;   in Loop: Header=BB257_522 Depth=1
	s_or_b32 exec_lo, exec_lo, s28
.LBB257_777:                            ;   in Loop: Header=BB257_522 Depth=1
	s_or_b32 exec_lo, exec_lo, s27
	v_cmp_lt_u64_e64 s1, s[4:5], v[9:10]
	v_mov_b32_e32 v9, 0
	s_and_saveexec_b32 s27, s1
	s_cbranch_execz .LBB257_785
; %bb.778:                              ;   in Loop: Header=BB257_522 Depth=1
	v_lshrrev_b32_e32 v1, 24, v10
	v_bfrev_b32_e32 v9, 1
	s_mov_b32 s28, exec_lo
	v_cmpx_ne_u32_e32 0x80, v1
	s_cbranch_execz .LBB257_784
; %bb.779:                              ;   in Loop: Header=BB257_522 Depth=1
	v_and_b32_e32 v54, 0x7f, v1
	v_mov_b32_e32 v9, 0x7c010000
	s_mov_b32 s29, exec_lo
	v_cmpx_ne_u32_e32 0x7f, v54
	s_cbranch_execz .LBB257_783
; %bb.780:                              ;   in Loop: Header=BB257_522 Depth=1
	v_and_b32_e32 v9, 7, v1
	v_lshrrev_b32_e32 v10, 3, v54
	s_mov_b32 s30, exec_lo
	v_cmpx_gt_u32_e32 8, v54
; %bb.781:                              ;   in Loop: Header=BB257_522 Depth=1
	v_ffbh_u32_e32 v9, v9
	v_min_u32_e32 v12, 32, v9
	v_subrev_nc_u32_e32 v9, 28, v12
	v_lshlrev_b64 v[9:10], v9, v[1:2]
	v_sub_nc_u32_e32 v10, 29, v12
	v_and_b32_e32 v9, 7, v9
; %bb.782:                              ;   in Loop: Header=BB257_522 Depth=1
	s_or_b32 exec_lo, exec_lo, s30
	v_lshlrev_b32_e32 v1, 8, v1
	v_lshl_add_u32 v10, v10, 10, 0x2000
	v_lshlrev_b32_e32 v9, 23, v9
	v_and_or_b32 v1, 0x8000, v1, v10
	v_lshl_or_b32 v9, v1, 16, v9
.LBB257_783:                            ;   in Loop: Header=BB257_522 Depth=1
	s_or_b32 exec_lo, exec_lo, s29
.LBB257_784:                            ;   in Loop: Header=BB257_522 Depth=1
	s_or_b32 exec_lo, exec_lo, s28
.LBB257_785:                            ;   in Loop: Header=BB257_522 Depth=1
	s_or_b32 exec_lo, exec_lo, s27
	v_or_b32_e32 v1, v49, v50
	s_waitcnt vmcnt(0)
	v_fma_mixlo_f16 v10, v46, v49, 0 op_sel:[0,1,0] op_sel_hi:[0,1,0]
	v_or_b32_e32 v12, v47, v48
	v_fma_mixlo_f16 v13, v46, v47, 0 op_sel:[0,1,0] op_sel_hi:[0,1,0]
	v_or_b32_e32 v50, v53, v52
	v_fma_mixlo_f16 v1, v46, v1, 0 op_sel_hi:[0,1,0]
	v_or_b32_e32 v51, v9, v51
	v_lshlrev_b32_e32 v47, 16, v10
	v_lshlrev_b32_e32 v49, 16, v13
	v_fma_mixlo_f16 v10, v46, v12, 0 op_sel_hi:[0,1,0]
	v_and_b32_e32 v48, 0xffff, v1
	v_fma_mixlo_f16 v1, v46, v53, 0 op_sel:[0,1,0] op_sel_hi:[0,1,0]
	v_fma_mixlo_f16 v12, v46, v50, 0 op_sel_hi:[0,1,0]
	v_fma_mixlo_f16 v13, v46, v9, 0 op_sel:[0,1,0] op_sel_hi:[0,1,0]
	v_fma_mixlo_f16 v50, v46, v51, 0 op_sel_hi:[0,1,0]
	v_and_b32_e32 v53, 0xffff, v10
	v_lshlrev_b32_e32 v9, 16, v1
	v_and_b32_e32 v46, 0xffff, v12
	v_lshlrev_b32_e32 v1, 16, v13
	v_and_b32_e32 v10, 0xffff, v50
	v_or_b32_e32 v50, v47, v48
	v_or_b32_e32 v54, v49, v53
	;; [unrolled: 1-line block ×4, first 2 shown]
	s_and_saveexec_b32 s27, s0
	s_cbranch_execz .LBB257_787
; %bb.786:                              ;   in Loop: Header=BB257_522 Depth=1
	v_add_nc_u32_e32 v12, 1, v35
	v_cmp_gt_i32_e64 s1, s33, v35
	v_add_nc_u32_e32 v13, 2, v35
	v_add_nc_u32_e32 v51, 3, v35
	v_cndmask_b32_e64 v50, 0, v53, s1
	v_cmp_gt_i32_e64 s1, s33, v12
	v_cndmask_b32_e64 v12, 0, v49, s1
	v_cmp_gt_i32_e64 s1, s33, v13
	v_add_nc_u32_e32 v49, 5, v35
	v_or_b32_e32 v54, v12, v50
	v_cndmask_b32_e64 v13, 0, v48, s1
	v_add_nc_u32_e32 v48, 4, v35
	v_cmp_gt_i32_e64 s1, s33, v51
	v_add_nc_u32_e32 v51, 6, v35
	v_cndmask_b32_e64 v47, 0, v47, s1
	v_cmp_gt_i32_e64 s1, s33, v48
	v_add_nc_u32_e32 v48, 7, v35
	v_or_b32_e32 v50, v47, v13
	v_cndmask_b32_e64 v46, 0, v46, s1
	v_cmp_gt_i32_e64 s1, s33, v49
	v_cndmask_b32_e64 v9, 0, v9, s1
	v_cmp_gt_i32_e64 s1, s33, v51
	v_or_b32_e32 v52, v9, v46
	v_cndmask_b32_e64 v10, 0, v10, s1
	v_cmp_gt_i32_e64 s1, s33, v48
	v_cndmask_b32_e64 v1, 0, v1, s1
	v_or_b32_e32 v51, v1, v10
.LBB257_787:                            ;   in Loop: Header=BB257_522 Depth=1
	s_or_b32 exec_lo, exec_lo, s27
	;;#ASMSTART
	v_pk_mul_f16 v1, v41, v54;

	;;#ASMEND
	;;#ASMSTART
	v_pk_mul_f16 v9, v40, v50;

	;;#ASMEND
	;; [unrolled: 4-line block ×4, first 2 shown]
	;;#ASMSTART
	v_pk_add_f16 v1, v1, v9;

	;;#ASMEND
	;;#ASMSTART
	v_pk_add_f16 v1, v1, v10;

	;;#ASMEND
	;;#ASMSTART
	v_pk_add_f16 v1, v1, v12;

	;;#ASMEND
	v_and_b32_e32 v9, 0xffff, v1
	v_lshrrev_b32_e32 v1, 16, v1
	;;#ASMSTART
	v_cvt_f32_f16 v46, v9;
	;;#ASMEND
	;;#ASMSTART
	v_cvt_f32_f16 v47, v1;
	;;#ASMEND
	global_load_dwordx2 v[9:10], v[7:8], off offset:1024
	v_mov_b32_e32 v49, 0
	v_mov_b32_e32 v50, 0
	global_load_dword v48, v49, s[14:15]
	s_waitcnt vmcnt(1)
	v_cmp_ne_u16_sdwa s1, v9, v2 src0_sel:BYTE_0 src1_sel:DWORD
	s_and_saveexec_b32 s27, s1
	s_cbranch_execz .LBB257_795
; %bb.788:                              ;   in Loop: Header=BB257_522 Depth=1
	v_cmp_ne_u16_sdwa s1, v9, v17 src0_sel:BYTE_0 src1_sel:DWORD
	v_mov_b32_e32 v50, 0x8000
	s_and_saveexec_b32 s28, s1
	s_cbranch_execz .LBB257_794
; %bb.789:                              ;   in Loop: Header=BB257_522 Depth=1
	v_and_b32_e32 v51, 0x7f, v9
	v_mov_b32_e32 v50, 0x7c01
	s_mov_b32 s29, exec_lo
	v_cmpx_ne_u32_e32 0x7f, v51
	s_cbranch_execz .LBB257_793
; %bb.790:                              ;   in Loop: Header=BB257_522 Depth=1
	v_and_b32_e32 v1, 7, v9
	v_lshrrev_b32_e32 v50, 3, v51
	s_mov_b32 s30, exec_lo
	v_cmpx_gt_u32_e32 8, v51
; %bb.791:                              ;   in Loop: Header=BB257_522 Depth=1
	v_ffbh_u32_e32 v1, v1
	v_min_u32_e32 v1, 32, v1
	v_subrev_nc_u32_e32 v12, 28, v1
	v_sub_nc_u32_e32 v50, 29, v1
	v_lshlrev_b64 v[12:13], v12, v[9:10]
	v_and_b32_e32 v1, 7, v12
; %bb.792:                              ;   in Loop: Header=BB257_522 Depth=1
	s_or_b32 exec_lo, exec_lo, s30
	v_lshlrev_b32_e32 v12, 8, v9
	v_lshl_add_u32 v13, v50, 10, 0x2000
	v_lshlrev_b32_e32 v1, 7, v1
	v_and_b32_e32 v12, 0x8000, v12
	v_and_b32_e32 v13, 0xfc00, v13
	v_or3_b32 v50, v12, v13, v1
.LBB257_793:                            ;   in Loop: Header=BB257_522 Depth=1
	s_or_b32 exec_lo, exec_lo, s29
.LBB257_794:                            ;   in Loop: Header=BB257_522 Depth=1
	s_or_b32 exec_lo, exec_lo, s28
.LBB257_795:                            ;   in Loop: Header=BB257_522 Depth=1
	s_or_b32 exec_lo, exec_lo, s27
	v_lshrrev_b16 v1, 8, v9
	s_mov_b32 s27, exec_lo
	v_cmpx_ne_u16_e32 0, v1
	s_cbranch_execz .LBB257_803
; %bb.796:                              ;   in Loop: Header=BB257_522 Depth=1
	v_bfrev_b32_e32 v49, 1
	s_mov_b32 s28, exec_lo
	v_cmpx_ne_u16_e32 0x80, v1
	s_cbranch_execz .LBB257_802
; %bb.797:                              ;   in Loop: Header=BB257_522 Depth=1
	v_and_b32_sdwa v52, v1, v27 dst_sel:DWORD dst_unused:UNUSED_PAD src0_sel:WORD_0 src1_sel:DWORD
	v_mov_b32_e32 v49, 0x7c010000
	s_mov_b32 s29, exec_lo
	v_cmpx_ne_u32_e32 0x7f, v52
	s_cbranch_execz .LBB257_801
; %bb.798:                              ;   in Loop: Header=BB257_522 Depth=1
	v_and_b32_sdwa v49, v1, v28 dst_sel:DWORD dst_unused:UNUSED_PAD src0_sel:WORD_0 src1_sel:DWORD
	v_lshrrev_b32_e32 v51, 3, v52
	s_mov_b32 s30, exec_lo
	v_cmpx_gt_u32_e32 8, v52
; %bb.799:                              ;   in Loop: Header=BB257_522 Depth=1
	v_ffbh_u32_e32 v12, v49
	v_min_u32_e32 v49, 32, v12
	v_subrev_nc_u32_e32 v12, 28, v49
	v_sub_nc_u32_e32 v51, 29, v49
	v_lshlrev_b64 v[12:13], v12, v[1:2]
	v_and_b32_e32 v49, 7, v12
; %bb.800:                              ;   in Loop: Header=BB257_522 Depth=1
	s_or_b32 exec_lo, exec_lo, s30
	v_lshlrev_b32_sdwa v1, v29, v1 dst_sel:DWORD dst_unused:UNUSED_PAD src0_sel:DWORD src1_sel:WORD_0
	v_lshl_add_u32 v12, v51, 10, 0x2000
	v_and_or_b32 v1, 0x8000, v1, v12
	v_lshlrev_b32_e32 v12, 23, v49
	v_lshl_or_b32 v49, v1, 16, v12
.LBB257_801:                            ;   in Loop: Header=BB257_522 Depth=1
	s_or_b32 exec_lo, exec_lo, s29
.LBB257_802:                            ;   in Loop: Header=BB257_522 Depth=1
	s_or_b32 exec_lo, exec_lo, s28
.LBB257_803:                            ;   in Loop: Header=BB257_522 Depth=1
	s_or_b32 exec_lo, exec_lo, s27
	v_lshrrev_b32_e32 v1, 16, v9
	v_mov_b32_e32 v51, 0
	v_mov_b32_e32 v52, 0
	v_cmp_ne_u16_sdwa s1, v1, v2 src0_sel:BYTE_0 src1_sel:DWORD
	s_and_saveexec_b32 s27, s1
	s_cbranch_execz .LBB257_811
; %bb.804:                              ;   in Loop: Header=BB257_522 Depth=1
	v_cmp_ne_u16_sdwa s1, v1, v17 src0_sel:BYTE_0 src1_sel:DWORD
	v_mov_b32_e32 v52, 0x8000
	s_and_saveexec_b32 s28, s1
	s_cbranch_execz .LBB257_810
; %bb.805:                              ;   in Loop: Header=BB257_522 Depth=1
	v_bfe_u32 v54, v9, 16, 7
	v_mov_b32_e32 v52, 0x7c01
	s_mov_b32 s29, exec_lo
	v_cmpx_ne_u32_e32 0x7f, v54
	s_cbranch_execz .LBB257_809
; %bb.806:                              ;   in Loop: Header=BB257_522 Depth=1
	v_and_b32_e32 v52, 7, v1
	v_lshrrev_b32_e32 v53, 3, v54
	s_mov_b32 s30, exec_lo
	v_cmpx_gt_u32_e32 8, v54
; %bb.807:                              ;   in Loop: Header=BB257_522 Depth=1
	v_ffbh_u32_e32 v12, v52
	v_min_u32_e32 v52, 32, v12
	v_subrev_nc_u32_e32 v12, 28, v52
	v_sub_nc_u32_e32 v53, 29, v52
	v_lshlrev_b64 v[12:13], v12, v[1:2]
	v_and_b32_e32 v52, 7, v12
; %bb.808:                              ;   in Loop: Header=BB257_522 Depth=1
	s_or_b32 exec_lo, exec_lo, s30
	v_lshlrev_b32_e32 v1, 8, v1
	v_lshl_add_u32 v12, v53, 10, 0x2000
	v_lshlrev_b32_e32 v13, 7, v52
	v_and_b32_e32 v1, 0x8000, v1
	v_and_b32_e32 v12, 0xfc00, v12
	v_or3_b32 v52, v1, v12, v13
.LBB257_809:                            ;   in Loop: Header=BB257_522 Depth=1
	s_or_b32 exec_lo, exec_lo, s29
.LBB257_810:                            ;   in Loop: Header=BB257_522 Depth=1
	s_or_b32 exec_lo, exec_lo, s28
.LBB257_811:                            ;   in Loop: Header=BB257_522 Depth=1
	s_or_b32 exec_lo, exec_lo, s27
	s_mov_b32 s27, exec_lo
	v_cmpx_lt_u32_e32 0xffffff, v9
	s_cbranch_execz .LBB257_819
; %bb.812:                              ;   in Loop: Header=BB257_522 Depth=1
	v_lshrrev_b32_e32 v1, 24, v9
	v_bfrev_b32_e32 v51, 1
	s_mov_b32 s28, exec_lo
	v_cmpx_ne_u32_e32 0x80, v1
	s_cbranch_execz .LBB257_818
; %bb.813:                              ;   in Loop: Header=BB257_522 Depth=1
	v_and_b32_e32 v54, 0x7f, v1
	v_mov_b32_e32 v51, 0x7c010000
	s_mov_b32 s29, exec_lo
	v_cmpx_ne_u32_e32 0x7f, v54
	s_cbranch_execz .LBB257_817
; %bb.814:                              ;   in Loop: Header=BB257_522 Depth=1
	v_and_b32_e32 v51, 7, v1
	v_lshrrev_b32_e32 v53, 3, v54
	s_mov_b32 s30, exec_lo
	v_cmpx_gt_u32_e32 8, v54
; %bb.815:                              ;   in Loop: Header=BB257_522 Depth=1
	v_ffbh_u32_e32 v12, v51
	v_min_u32_e32 v51, 32, v12
	v_subrev_nc_u32_e32 v12, 28, v51
	v_sub_nc_u32_e32 v53, 29, v51
	v_lshlrev_b64 v[12:13], v12, v[1:2]
	v_and_b32_e32 v51, 7, v12
; %bb.816:                              ;   in Loop: Header=BB257_522 Depth=1
	s_or_b32 exec_lo, exec_lo, s30
	v_lshlrev_b32_e32 v1, 8, v1
	v_lshl_add_u32 v12, v53, 10, 0x2000
	v_and_or_b32 v1, 0x8000, v1, v12
	v_lshlrev_b32_e32 v12, 23, v51
	v_lshl_or_b32 v51, v1, 16, v12
.LBB257_817:                            ;   in Loop: Header=BB257_522 Depth=1
	s_or_b32 exec_lo, exec_lo, s29
.LBB257_818:                            ;   in Loop: Header=BB257_522 Depth=1
	s_or_b32 exec_lo, exec_lo, s28
.LBB257_819:                            ;   in Loop: Header=BB257_522 Depth=1
	s_or_b32 exec_lo, exec_lo, s27
	v_mov_b32_e32 v1, v10
	v_cmp_ne_u16_sdwa s1, v10, v2 src0_sel:BYTE_0 src1_sel:DWORD
	v_mov_b32_e32 v53, 0
	v_mov_b32_e32 v54, 0
	s_and_saveexec_b32 s27, s1
	s_cbranch_execz .LBB257_827
; %bb.820:                              ;   in Loop: Header=BB257_522 Depth=1
	v_cmp_ne_u16_sdwa s1, v10, v17 src0_sel:BYTE_0 src1_sel:DWORD
	v_mov_b32_e32 v54, 0x8000
	s_and_saveexec_b32 s28, s1
	s_cbranch_execz .LBB257_826
; %bb.821:                              ;   in Loop: Header=BB257_522 Depth=1
	v_and_b32_e32 v56, 0x7f, v10
	v_mov_b32_e32 v54, 0x7c01
	s_mov_b32 s29, exec_lo
	v_cmpx_ne_u32_e32 0x7f, v56
	s_cbranch_execz .LBB257_825
; %bb.822:                              ;   in Loop: Header=BB257_522 Depth=1
	v_and_b32_e32 v54, 7, v10
	v_lshrrev_b32_e32 v55, 3, v56
	s_mov_b32 s30, exec_lo
	v_cmpx_gt_u32_e32 8, v56
; %bb.823:                              ;   in Loop: Header=BB257_522 Depth=1
	v_ffbh_u32_e32 v12, v54
	v_min_u32_e32 v54, 32, v12
	v_subrev_nc_u32_e32 v12, 28, v54
	v_sub_nc_u32_e32 v55, 29, v54
	v_lshlrev_b64 v[12:13], v12, v[1:2]
	v_and_b32_e32 v54, 7, v12
; %bb.824:                              ;   in Loop: Header=BB257_522 Depth=1
	s_or_b32 exec_lo, exec_lo, s30
	v_lshlrev_b32_e32 v12, 8, v10
	v_lshl_add_u32 v13, v55, 10, 0x2000
	v_lshlrev_b32_e32 v54, 7, v54
	v_and_b32_e32 v12, 0x8000, v12
	v_and_b32_e32 v13, 0xfc00, v13
	v_or3_b32 v54, v12, v13, v54
.LBB257_825:                            ;   in Loop: Header=BB257_522 Depth=1
	s_or_b32 exec_lo, exec_lo, s29
.LBB257_826:                            ;   in Loop: Header=BB257_522 Depth=1
	s_or_b32 exec_lo, exec_lo, s28
.LBB257_827:                            ;   in Loop: Header=BB257_522 Depth=1
	s_or_b32 exec_lo, exec_lo, s27
	v_lshrrev_b16 v1, 8, v1
	v_mov_b32_e32 v55, 0
	s_mov_b32 s27, exec_lo
	v_cmpx_ne_u16_e32 0, v1
	s_cbranch_execz .LBB257_835
; %bb.828:                              ;   in Loop: Header=BB257_522 Depth=1
	v_bfrev_b32_e32 v55, 1
	s_mov_b32 s28, exec_lo
	v_cmpx_ne_u16_e32 0x80, v1
	s_cbranch_execz .LBB257_834
; %bb.829:                              ;   in Loop: Header=BB257_522 Depth=1
	v_and_b32_sdwa v57, v1, v27 dst_sel:DWORD dst_unused:UNUSED_PAD src0_sel:WORD_0 src1_sel:DWORD
	v_mov_b32_e32 v55, 0x7c010000
	s_mov_b32 s29, exec_lo
	v_cmpx_ne_u32_e32 0x7f, v57
	s_cbranch_execz .LBB257_833
; %bb.830:                              ;   in Loop: Header=BB257_522 Depth=1
	v_and_b32_sdwa v55, v1, v28 dst_sel:DWORD dst_unused:UNUSED_PAD src0_sel:WORD_0 src1_sel:DWORD
	v_lshrrev_b32_e32 v56, 3, v57
	s_mov_b32 s30, exec_lo
	v_cmpx_gt_u32_e32 8, v57
; %bb.831:                              ;   in Loop: Header=BB257_522 Depth=1
	v_ffbh_u32_e32 v12, v55
	v_min_u32_e32 v55, 32, v12
	v_subrev_nc_u32_e32 v12, 28, v55
	v_sub_nc_u32_e32 v56, 29, v55
	v_lshlrev_b64 v[12:13], v12, v[1:2]
	v_and_b32_e32 v55, 7, v12
; %bb.832:                              ;   in Loop: Header=BB257_522 Depth=1
	s_or_b32 exec_lo, exec_lo, s30
	v_lshlrev_b32_sdwa v1, v29, v1 dst_sel:DWORD dst_unused:UNUSED_PAD src0_sel:DWORD src1_sel:WORD_0
	v_lshl_add_u32 v12, v56, 10, 0x2000
	v_and_or_b32 v1, 0x8000, v1, v12
	v_lshlrev_b32_e32 v12, 23, v55
	v_lshl_or_b32 v55, v1, 16, v12
.LBB257_833:                            ;   in Loop: Header=BB257_522 Depth=1
	s_or_b32 exec_lo, exec_lo, s29
.LBB257_834:                            ;   in Loop: Header=BB257_522 Depth=1
	s_or_b32 exec_lo, exec_lo, s28
.LBB257_835:                            ;   in Loop: Header=BB257_522 Depth=1
	s_or_b32 exec_lo, exec_lo, s27
	v_lshrrev_b32_e32 v1, 16, v10
	v_cmp_ne_u16_sdwa s1, v1, v2 src0_sel:BYTE_0 src1_sel:DWORD
	s_and_saveexec_b32 s27, s1
	s_cbranch_execz .LBB257_843
; %bb.836:                              ;   in Loop: Header=BB257_522 Depth=1
	v_cmp_ne_u16_sdwa s1, v1, v17 src0_sel:BYTE_0 src1_sel:DWORD
	v_mov_b32_e32 v53, 0x8000
	s_and_saveexec_b32 s28, s1
	s_cbranch_execz .LBB257_842
; %bb.837:                              ;   in Loop: Header=BB257_522 Depth=1
	v_bfe_u32 v57, v10, 16, 7
	v_mov_b32_e32 v53, 0x7c01
	s_mov_b32 s29, exec_lo
	v_cmpx_ne_u32_e32 0x7f, v57
	s_cbranch_execz .LBB257_841
; %bb.838:                              ;   in Loop: Header=BB257_522 Depth=1
	v_and_b32_e32 v53, 7, v1
	v_lshrrev_b32_e32 v56, 3, v57
	s_mov_b32 s30, exec_lo
	v_cmpx_gt_u32_e32 8, v57
; %bb.839:                              ;   in Loop: Header=BB257_522 Depth=1
	v_ffbh_u32_e32 v12, v53
	v_min_u32_e32 v53, 32, v12
	v_subrev_nc_u32_e32 v12, 28, v53
	v_sub_nc_u32_e32 v56, 29, v53
	v_lshlrev_b64 v[12:13], v12, v[1:2]
	v_and_b32_e32 v53, 7, v12
; %bb.840:                              ;   in Loop: Header=BB257_522 Depth=1
	s_or_b32 exec_lo, exec_lo, s30
	v_lshlrev_b32_e32 v1, 8, v1
	v_lshl_add_u32 v12, v56, 10, 0x2000
	v_lshlrev_b32_e32 v13, 7, v53
	v_and_b32_e32 v1, 0x8000, v1
	v_and_b32_e32 v12, 0xfc00, v12
	v_or3_b32 v53, v1, v12, v13
.LBB257_841:                            ;   in Loop: Header=BB257_522 Depth=1
	s_or_b32 exec_lo, exec_lo, s29
.LBB257_842:                            ;   in Loop: Header=BB257_522 Depth=1
	s_or_b32 exec_lo, exec_lo, s28
.LBB257_843:                            ;   in Loop: Header=BB257_522 Depth=1
	s_or_b32 exec_lo, exec_lo, s27
	v_cmp_lt_u64_e64 s1, s[4:5], v[9:10]
	v_mov_b32_e32 v9, 0
	s_and_saveexec_b32 s27, s1
	s_cbranch_execz .LBB257_851
; %bb.844:                              ;   in Loop: Header=BB257_522 Depth=1
	v_lshrrev_b32_e32 v1, 24, v10
	v_bfrev_b32_e32 v9, 1
	s_mov_b32 s28, exec_lo
	v_cmpx_ne_u32_e32 0x80, v1
	s_cbranch_execz .LBB257_850
; %bb.845:                              ;   in Loop: Header=BB257_522 Depth=1
	v_and_b32_e32 v56, 0x7f, v1
	v_mov_b32_e32 v9, 0x7c010000
	s_mov_b32 s29, exec_lo
	v_cmpx_ne_u32_e32 0x7f, v56
	s_cbranch_execz .LBB257_849
; %bb.846:                              ;   in Loop: Header=BB257_522 Depth=1
	v_and_b32_e32 v9, 7, v1
	v_lshrrev_b32_e32 v10, 3, v56
	s_mov_b32 s30, exec_lo
	v_cmpx_gt_u32_e32 8, v56
; %bb.847:                              ;   in Loop: Header=BB257_522 Depth=1
	v_ffbh_u32_e32 v9, v9
	v_min_u32_e32 v12, 32, v9
	v_subrev_nc_u32_e32 v9, 28, v12
	v_lshlrev_b64 v[9:10], v9, v[1:2]
	v_sub_nc_u32_e32 v10, 29, v12
	v_and_b32_e32 v9, 7, v9
; %bb.848:                              ;   in Loop: Header=BB257_522 Depth=1
	s_or_b32 exec_lo, exec_lo, s30
	v_lshlrev_b32_e32 v1, 8, v1
	v_lshl_add_u32 v10, v10, 10, 0x2000
	v_lshlrev_b32_e32 v9, 23, v9
	v_and_or_b32 v1, 0x8000, v1, v10
	v_lshl_or_b32 v9, v1, 16, v9
.LBB257_849:                            ;   in Loop: Header=BB257_522 Depth=1
	s_or_b32 exec_lo, exec_lo, s29
.LBB257_850:                            ;   in Loop: Header=BB257_522 Depth=1
	s_or_b32 exec_lo, exec_lo, s28
.LBB257_851:                            ;   in Loop: Header=BB257_522 Depth=1
	s_or_b32 exec_lo, exec_lo, s27
	v_or_b32_e32 v1, v51, v52
	s_waitcnt vmcnt(0)
	v_fma_mixlo_f16 v10, v48, v51, 0 op_sel:[0,1,0] op_sel_hi:[0,1,0]
	v_or_b32_e32 v12, v49, v50
	v_fma_mixlo_f16 v13, v48, v49, 0 op_sel:[0,1,0] op_sel_hi:[0,1,0]
	v_or_b32_e32 v52, v55, v54
	v_fma_mixlo_f16 v1, v48, v1, 0 op_sel_hi:[0,1,0]
	v_or_b32_e32 v53, v9, v53
	v_lshlrev_b32_e32 v49, 16, v10
	v_lshlrev_b32_e32 v51, 16, v13
	v_fma_mixlo_f16 v10, v48, v12, 0 op_sel_hi:[0,1,0]
	v_and_b32_e32 v50, 0xffff, v1
	v_fma_mixlo_f16 v1, v48, v55, 0 op_sel:[0,1,0] op_sel_hi:[0,1,0]
	v_fma_mixlo_f16 v12, v48, v52, 0 op_sel_hi:[0,1,0]
	v_fma_mixlo_f16 v13, v48, v9, 0 op_sel:[0,1,0] op_sel_hi:[0,1,0]
	v_fma_mixlo_f16 v52, v48, v53, 0 op_sel_hi:[0,1,0]
	v_and_b32_e32 v55, 0xffff, v10
	v_lshlrev_b32_e32 v9, 16, v1
	v_and_b32_e32 v48, 0xffff, v12
	v_lshlrev_b32_e32 v1, 16, v13
	v_and_b32_e32 v10, 0xffff, v52
	v_or_b32_e32 v52, v49, v50
	v_or_b32_e32 v56, v51, v55
	;; [unrolled: 1-line block ×4, first 2 shown]
	s_and_saveexec_b32 s27, s0
	s_cbranch_execz .LBB257_853
; %bb.852:                              ;   in Loop: Header=BB257_522 Depth=1
	v_add_nc_u32_e32 v12, 1, v35
	v_cmp_gt_i32_e64 s1, s33, v35
	v_add_nc_u32_e32 v13, 2, v35
	v_add_nc_u32_e32 v53, 3, v35
	v_cndmask_b32_e64 v52, 0, v55, s1
	v_cmp_gt_i32_e64 s1, s33, v12
	v_cndmask_b32_e64 v12, 0, v51, s1
	v_cmp_gt_i32_e64 s1, s33, v13
	v_add_nc_u32_e32 v51, 5, v35
	v_or_b32_e32 v56, v12, v52
	v_cndmask_b32_e64 v13, 0, v50, s1
	v_add_nc_u32_e32 v50, 4, v35
	v_cmp_gt_i32_e64 s1, s33, v53
	v_add_nc_u32_e32 v53, 6, v35
	v_cndmask_b32_e64 v49, 0, v49, s1
	v_cmp_gt_i32_e64 s1, s33, v50
	v_add_nc_u32_e32 v50, 7, v35
	v_or_b32_e32 v52, v49, v13
	v_cndmask_b32_e64 v48, 0, v48, s1
	v_cmp_gt_i32_e64 s1, s33, v51
	v_cndmask_b32_e64 v9, 0, v9, s1
	v_cmp_gt_i32_e64 s1, s33, v53
	v_or_b32_e32 v54, v9, v48
	v_cndmask_b32_e64 v10, 0, v10, s1
	v_cmp_gt_i32_e64 s1, s33, v50
	v_cndmask_b32_e64 v1, 0, v1, s1
	v_or_b32_e32 v53, v1, v10
.LBB257_853:                            ;   in Loop: Header=BB257_522 Depth=1
	s_or_b32 exec_lo, exec_lo, s27
	;;#ASMSTART
	v_pk_mul_f16 v1, v41, v56;

	;;#ASMEND
	;;#ASMSTART
	v_pk_mul_f16 v9, v40, v52;

	;;#ASMEND
	;; [unrolled: 4-line block ×4, first 2 shown]
	;;#ASMSTART
	v_pk_add_f16 v1, v1, v9;

	;;#ASMEND
	;;#ASMSTART
	v_pk_add_f16 v1, v1, v10;

	;;#ASMEND
	;; [unrolled: 4-line block ×3, first 2 shown]
	v_and_b32_e32 v9, 0xffff, v1
	v_lshrrev_b32_e32 v1, 16, v1
	;;#ASMSTART
	v_cvt_f32_f16 v48, v9;
	;;#ASMEND
	;;#ASMSTART
	v_cvt_f32_f16 v49, v1;
	;;#ASMEND
	global_load_dwordx2 v[9:10], v[7:8], off offset:1280
	v_mov_b32_e32 v51, 0
	v_mov_b32_e32 v52, 0
	global_load_dword v50, v51, s[14:15]
	s_waitcnt vmcnt(1)
	v_cmp_ne_u16_sdwa s1, v9, v2 src0_sel:BYTE_0 src1_sel:DWORD
	s_and_saveexec_b32 s27, s1
	s_cbranch_execz .LBB257_861
; %bb.854:                              ;   in Loop: Header=BB257_522 Depth=1
	v_cmp_ne_u16_sdwa s1, v9, v17 src0_sel:BYTE_0 src1_sel:DWORD
	v_mov_b32_e32 v52, 0x8000
	s_and_saveexec_b32 s28, s1
	s_cbranch_execz .LBB257_860
; %bb.855:                              ;   in Loop: Header=BB257_522 Depth=1
	v_and_b32_e32 v53, 0x7f, v9
	v_mov_b32_e32 v52, 0x7c01
	s_mov_b32 s29, exec_lo
	v_cmpx_ne_u32_e32 0x7f, v53
	s_cbranch_execz .LBB257_859
; %bb.856:                              ;   in Loop: Header=BB257_522 Depth=1
	v_and_b32_e32 v1, 7, v9
	v_lshrrev_b32_e32 v52, 3, v53
	s_mov_b32 s30, exec_lo
	v_cmpx_gt_u32_e32 8, v53
; %bb.857:                              ;   in Loop: Header=BB257_522 Depth=1
	v_ffbh_u32_e32 v1, v1
	v_min_u32_e32 v1, 32, v1
	v_subrev_nc_u32_e32 v12, 28, v1
	v_sub_nc_u32_e32 v52, 29, v1
	v_lshlrev_b64 v[12:13], v12, v[9:10]
	v_and_b32_e32 v1, 7, v12
; %bb.858:                              ;   in Loop: Header=BB257_522 Depth=1
	s_or_b32 exec_lo, exec_lo, s30
	v_lshlrev_b32_e32 v12, 8, v9
	v_lshl_add_u32 v13, v52, 10, 0x2000
	v_lshlrev_b32_e32 v1, 7, v1
	v_and_b32_e32 v12, 0x8000, v12
	v_and_b32_e32 v13, 0xfc00, v13
	v_or3_b32 v52, v12, v13, v1
.LBB257_859:                            ;   in Loop: Header=BB257_522 Depth=1
	s_or_b32 exec_lo, exec_lo, s29
.LBB257_860:                            ;   in Loop: Header=BB257_522 Depth=1
	s_or_b32 exec_lo, exec_lo, s28
.LBB257_861:                            ;   in Loop: Header=BB257_522 Depth=1
	s_or_b32 exec_lo, exec_lo, s27
	v_lshrrev_b16 v1, 8, v9
	s_mov_b32 s27, exec_lo
	v_cmpx_ne_u16_e32 0, v1
	s_cbranch_execz .LBB257_869
; %bb.862:                              ;   in Loop: Header=BB257_522 Depth=1
	v_bfrev_b32_e32 v51, 1
	s_mov_b32 s28, exec_lo
	v_cmpx_ne_u16_e32 0x80, v1
	s_cbranch_execz .LBB257_868
; %bb.863:                              ;   in Loop: Header=BB257_522 Depth=1
	v_and_b32_sdwa v54, v1, v27 dst_sel:DWORD dst_unused:UNUSED_PAD src0_sel:WORD_0 src1_sel:DWORD
	v_mov_b32_e32 v51, 0x7c010000
	s_mov_b32 s29, exec_lo
	v_cmpx_ne_u32_e32 0x7f, v54
	s_cbranch_execz .LBB257_867
; %bb.864:                              ;   in Loop: Header=BB257_522 Depth=1
	v_and_b32_sdwa v51, v1, v28 dst_sel:DWORD dst_unused:UNUSED_PAD src0_sel:WORD_0 src1_sel:DWORD
	v_lshrrev_b32_e32 v53, 3, v54
	s_mov_b32 s30, exec_lo
	v_cmpx_gt_u32_e32 8, v54
; %bb.865:                              ;   in Loop: Header=BB257_522 Depth=1
	v_ffbh_u32_e32 v12, v51
	v_min_u32_e32 v51, 32, v12
	v_subrev_nc_u32_e32 v12, 28, v51
	v_sub_nc_u32_e32 v53, 29, v51
	v_lshlrev_b64 v[12:13], v12, v[1:2]
	v_and_b32_e32 v51, 7, v12
; %bb.866:                              ;   in Loop: Header=BB257_522 Depth=1
	s_or_b32 exec_lo, exec_lo, s30
	v_lshlrev_b32_sdwa v1, v29, v1 dst_sel:DWORD dst_unused:UNUSED_PAD src0_sel:DWORD src1_sel:WORD_0
	v_lshl_add_u32 v12, v53, 10, 0x2000
	v_and_or_b32 v1, 0x8000, v1, v12
	v_lshlrev_b32_e32 v12, 23, v51
	v_lshl_or_b32 v51, v1, 16, v12
.LBB257_867:                            ;   in Loop: Header=BB257_522 Depth=1
	s_or_b32 exec_lo, exec_lo, s29
.LBB257_868:                            ;   in Loop: Header=BB257_522 Depth=1
	s_or_b32 exec_lo, exec_lo, s28
.LBB257_869:                            ;   in Loop: Header=BB257_522 Depth=1
	s_or_b32 exec_lo, exec_lo, s27
	v_lshrrev_b32_e32 v1, 16, v9
	v_mov_b32_e32 v53, 0
	v_mov_b32_e32 v54, 0
	v_cmp_ne_u16_sdwa s1, v1, v2 src0_sel:BYTE_0 src1_sel:DWORD
	s_and_saveexec_b32 s27, s1
	s_cbranch_execz .LBB257_877
; %bb.870:                              ;   in Loop: Header=BB257_522 Depth=1
	v_cmp_ne_u16_sdwa s1, v1, v17 src0_sel:BYTE_0 src1_sel:DWORD
	v_mov_b32_e32 v54, 0x8000
	s_and_saveexec_b32 s28, s1
	s_cbranch_execz .LBB257_876
; %bb.871:                              ;   in Loop: Header=BB257_522 Depth=1
	v_bfe_u32 v56, v9, 16, 7
	v_mov_b32_e32 v54, 0x7c01
	s_mov_b32 s29, exec_lo
	v_cmpx_ne_u32_e32 0x7f, v56
	s_cbranch_execz .LBB257_875
; %bb.872:                              ;   in Loop: Header=BB257_522 Depth=1
	v_and_b32_e32 v54, 7, v1
	v_lshrrev_b32_e32 v55, 3, v56
	s_mov_b32 s30, exec_lo
	v_cmpx_gt_u32_e32 8, v56
; %bb.873:                              ;   in Loop: Header=BB257_522 Depth=1
	v_ffbh_u32_e32 v12, v54
	v_min_u32_e32 v54, 32, v12
	v_subrev_nc_u32_e32 v12, 28, v54
	v_sub_nc_u32_e32 v55, 29, v54
	v_lshlrev_b64 v[12:13], v12, v[1:2]
	v_and_b32_e32 v54, 7, v12
; %bb.874:                              ;   in Loop: Header=BB257_522 Depth=1
	s_or_b32 exec_lo, exec_lo, s30
	v_lshlrev_b32_e32 v1, 8, v1
	v_lshl_add_u32 v12, v55, 10, 0x2000
	v_lshlrev_b32_e32 v13, 7, v54
	v_and_b32_e32 v1, 0x8000, v1
	v_and_b32_e32 v12, 0xfc00, v12
	v_or3_b32 v54, v1, v12, v13
.LBB257_875:                            ;   in Loop: Header=BB257_522 Depth=1
	s_or_b32 exec_lo, exec_lo, s29
.LBB257_876:                            ;   in Loop: Header=BB257_522 Depth=1
	s_or_b32 exec_lo, exec_lo, s28
.LBB257_877:                            ;   in Loop: Header=BB257_522 Depth=1
	s_or_b32 exec_lo, exec_lo, s27
	s_mov_b32 s27, exec_lo
	v_cmpx_lt_u32_e32 0xffffff, v9
	s_cbranch_execz .LBB257_885
; %bb.878:                              ;   in Loop: Header=BB257_522 Depth=1
	v_lshrrev_b32_e32 v1, 24, v9
	v_bfrev_b32_e32 v53, 1
	s_mov_b32 s28, exec_lo
	v_cmpx_ne_u32_e32 0x80, v1
	s_cbranch_execz .LBB257_884
; %bb.879:                              ;   in Loop: Header=BB257_522 Depth=1
	v_and_b32_e32 v56, 0x7f, v1
	v_mov_b32_e32 v53, 0x7c010000
	s_mov_b32 s29, exec_lo
	v_cmpx_ne_u32_e32 0x7f, v56
	s_cbranch_execz .LBB257_883
; %bb.880:                              ;   in Loop: Header=BB257_522 Depth=1
	v_and_b32_e32 v53, 7, v1
	v_lshrrev_b32_e32 v55, 3, v56
	s_mov_b32 s30, exec_lo
	v_cmpx_gt_u32_e32 8, v56
; %bb.881:                              ;   in Loop: Header=BB257_522 Depth=1
	v_ffbh_u32_e32 v12, v53
	v_min_u32_e32 v53, 32, v12
	v_subrev_nc_u32_e32 v12, 28, v53
	v_sub_nc_u32_e32 v55, 29, v53
	v_lshlrev_b64 v[12:13], v12, v[1:2]
	v_and_b32_e32 v53, 7, v12
; %bb.882:                              ;   in Loop: Header=BB257_522 Depth=1
	s_or_b32 exec_lo, exec_lo, s30
	v_lshlrev_b32_e32 v1, 8, v1
	v_lshl_add_u32 v12, v55, 10, 0x2000
	v_and_or_b32 v1, 0x8000, v1, v12
	v_lshlrev_b32_e32 v12, 23, v53
	v_lshl_or_b32 v53, v1, 16, v12
.LBB257_883:                            ;   in Loop: Header=BB257_522 Depth=1
	s_or_b32 exec_lo, exec_lo, s29
.LBB257_884:                            ;   in Loop: Header=BB257_522 Depth=1
	s_or_b32 exec_lo, exec_lo, s28
.LBB257_885:                            ;   in Loop: Header=BB257_522 Depth=1
	s_or_b32 exec_lo, exec_lo, s27
	v_mov_b32_e32 v1, v10
	v_cmp_ne_u16_sdwa s1, v10, v2 src0_sel:BYTE_0 src1_sel:DWORD
	v_mov_b32_e32 v55, 0
	v_mov_b32_e32 v56, 0
	s_and_saveexec_b32 s27, s1
	s_cbranch_execz .LBB257_893
; %bb.886:                              ;   in Loop: Header=BB257_522 Depth=1
	v_cmp_ne_u16_sdwa s1, v10, v17 src0_sel:BYTE_0 src1_sel:DWORD
	v_mov_b32_e32 v56, 0x8000
	s_and_saveexec_b32 s28, s1
	s_cbranch_execz .LBB257_892
; %bb.887:                              ;   in Loop: Header=BB257_522 Depth=1
	v_and_b32_e32 v58, 0x7f, v10
	v_mov_b32_e32 v56, 0x7c01
	s_mov_b32 s29, exec_lo
	v_cmpx_ne_u32_e32 0x7f, v58
	s_cbranch_execz .LBB257_891
; %bb.888:                              ;   in Loop: Header=BB257_522 Depth=1
	v_and_b32_e32 v56, 7, v10
	v_lshrrev_b32_e32 v57, 3, v58
	s_mov_b32 s30, exec_lo
	v_cmpx_gt_u32_e32 8, v58
; %bb.889:                              ;   in Loop: Header=BB257_522 Depth=1
	v_ffbh_u32_e32 v12, v56
	v_min_u32_e32 v56, 32, v12
	v_subrev_nc_u32_e32 v12, 28, v56
	v_sub_nc_u32_e32 v57, 29, v56
	v_lshlrev_b64 v[12:13], v12, v[1:2]
	v_and_b32_e32 v56, 7, v12
; %bb.890:                              ;   in Loop: Header=BB257_522 Depth=1
	s_or_b32 exec_lo, exec_lo, s30
	v_lshlrev_b32_e32 v12, 8, v10
	v_lshl_add_u32 v13, v57, 10, 0x2000
	v_lshlrev_b32_e32 v56, 7, v56
	v_and_b32_e32 v12, 0x8000, v12
	v_and_b32_e32 v13, 0xfc00, v13
	v_or3_b32 v56, v12, v13, v56
.LBB257_891:                            ;   in Loop: Header=BB257_522 Depth=1
	s_or_b32 exec_lo, exec_lo, s29
.LBB257_892:                            ;   in Loop: Header=BB257_522 Depth=1
	s_or_b32 exec_lo, exec_lo, s28
.LBB257_893:                            ;   in Loop: Header=BB257_522 Depth=1
	s_or_b32 exec_lo, exec_lo, s27
	v_lshrrev_b16 v1, 8, v1
	v_mov_b32_e32 v57, 0
	s_mov_b32 s27, exec_lo
	v_cmpx_ne_u16_e32 0, v1
	s_cbranch_execz .LBB257_901
; %bb.894:                              ;   in Loop: Header=BB257_522 Depth=1
	v_bfrev_b32_e32 v57, 1
	s_mov_b32 s28, exec_lo
	v_cmpx_ne_u16_e32 0x80, v1
	s_cbranch_execz .LBB257_900
; %bb.895:                              ;   in Loop: Header=BB257_522 Depth=1
	v_and_b32_sdwa v59, v1, v27 dst_sel:DWORD dst_unused:UNUSED_PAD src0_sel:WORD_0 src1_sel:DWORD
	v_mov_b32_e32 v57, 0x7c010000
	s_mov_b32 s29, exec_lo
	v_cmpx_ne_u32_e32 0x7f, v59
	s_cbranch_execz .LBB257_899
; %bb.896:                              ;   in Loop: Header=BB257_522 Depth=1
	v_and_b32_sdwa v57, v1, v28 dst_sel:DWORD dst_unused:UNUSED_PAD src0_sel:WORD_0 src1_sel:DWORD
	v_lshrrev_b32_e32 v58, 3, v59
	s_mov_b32 s30, exec_lo
	v_cmpx_gt_u32_e32 8, v59
; %bb.897:                              ;   in Loop: Header=BB257_522 Depth=1
	v_ffbh_u32_e32 v12, v57
	v_min_u32_e32 v57, 32, v12
	v_subrev_nc_u32_e32 v12, 28, v57
	v_sub_nc_u32_e32 v58, 29, v57
	v_lshlrev_b64 v[12:13], v12, v[1:2]
	v_and_b32_e32 v57, 7, v12
; %bb.898:                              ;   in Loop: Header=BB257_522 Depth=1
	s_or_b32 exec_lo, exec_lo, s30
	v_lshlrev_b32_sdwa v1, v29, v1 dst_sel:DWORD dst_unused:UNUSED_PAD src0_sel:DWORD src1_sel:WORD_0
	v_lshl_add_u32 v12, v58, 10, 0x2000
	v_and_or_b32 v1, 0x8000, v1, v12
	v_lshlrev_b32_e32 v12, 23, v57
	v_lshl_or_b32 v57, v1, 16, v12
.LBB257_899:                            ;   in Loop: Header=BB257_522 Depth=1
	s_or_b32 exec_lo, exec_lo, s29
.LBB257_900:                            ;   in Loop: Header=BB257_522 Depth=1
	s_or_b32 exec_lo, exec_lo, s28
.LBB257_901:                            ;   in Loop: Header=BB257_522 Depth=1
	s_or_b32 exec_lo, exec_lo, s27
	v_lshrrev_b32_e32 v1, 16, v10
	v_cmp_ne_u16_sdwa s1, v1, v2 src0_sel:BYTE_0 src1_sel:DWORD
	s_and_saveexec_b32 s27, s1
	s_cbranch_execz .LBB257_909
; %bb.902:                              ;   in Loop: Header=BB257_522 Depth=1
	v_cmp_ne_u16_sdwa s1, v1, v17 src0_sel:BYTE_0 src1_sel:DWORD
	v_mov_b32_e32 v55, 0x8000
	s_and_saveexec_b32 s28, s1
	s_cbranch_execz .LBB257_908
; %bb.903:                              ;   in Loop: Header=BB257_522 Depth=1
	v_bfe_u32 v59, v10, 16, 7
	v_mov_b32_e32 v55, 0x7c01
	s_mov_b32 s29, exec_lo
	v_cmpx_ne_u32_e32 0x7f, v59
	s_cbranch_execz .LBB257_907
; %bb.904:                              ;   in Loop: Header=BB257_522 Depth=1
	v_and_b32_e32 v55, 7, v1
	v_lshrrev_b32_e32 v58, 3, v59
	s_mov_b32 s30, exec_lo
	v_cmpx_gt_u32_e32 8, v59
; %bb.905:                              ;   in Loop: Header=BB257_522 Depth=1
	v_ffbh_u32_e32 v12, v55
	v_min_u32_e32 v55, 32, v12
	v_subrev_nc_u32_e32 v12, 28, v55
	v_sub_nc_u32_e32 v58, 29, v55
	v_lshlrev_b64 v[12:13], v12, v[1:2]
	v_and_b32_e32 v55, 7, v12
; %bb.906:                              ;   in Loop: Header=BB257_522 Depth=1
	s_or_b32 exec_lo, exec_lo, s30
	v_lshlrev_b32_e32 v1, 8, v1
	v_lshl_add_u32 v12, v58, 10, 0x2000
	v_lshlrev_b32_e32 v13, 7, v55
	v_and_b32_e32 v1, 0x8000, v1
	v_and_b32_e32 v12, 0xfc00, v12
	v_or3_b32 v55, v1, v12, v13
.LBB257_907:                            ;   in Loop: Header=BB257_522 Depth=1
	s_or_b32 exec_lo, exec_lo, s29
.LBB257_908:                            ;   in Loop: Header=BB257_522 Depth=1
	s_or_b32 exec_lo, exec_lo, s28
.LBB257_909:                            ;   in Loop: Header=BB257_522 Depth=1
	s_or_b32 exec_lo, exec_lo, s27
	v_cmp_lt_u64_e64 s1, s[4:5], v[9:10]
	v_mov_b32_e32 v9, 0
	s_and_saveexec_b32 s27, s1
	s_cbranch_execz .LBB257_917
; %bb.910:                              ;   in Loop: Header=BB257_522 Depth=1
	v_lshrrev_b32_e32 v1, 24, v10
	v_bfrev_b32_e32 v9, 1
	s_mov_b32 s28, exec_lo
	v_cmpx_ne_u32_e32 0x80, v1
	s_cbranch_execz .LBB257_916
; %bb.911:                              ;   in Loop: Header=BB257_522 Depth=1
	v_and_b32_e32 v58, 0x7f, v1
	v_mov_b32_e32 v9, 0x7c010000
	s_mov_b32 s29, exec_lo
	v_cmpx_ne_u32_e32 0x7f, v58
	s_cbranch_execz .LBB257_915
; %bb.912:                              ;   in Loop: Header=BB257_522 Depth=1
	v_and_b32_e32 v9, 7, v1
	v_lshrrev_b32_e32 v10, 3, v58
	s_mov_b32 s30, exec_lo
	v_cmpx_gt_u32_e32 8, v58
; %bb.913:                              ;   in Loop: Header=BB257_522 Depth=1
	v_ffbh_u32_e32 v9, v9
	v_min_u32_e32 v12, 32, v9
	v_subrev_nc_u32_e32 v9, 28, v12
	v_lshlrev_b64 v[9:10], v9, v[1:2]
	v_sub_nc_u32_e32 v10, 29, v12
	v_and_b32_e32 v9, 7, v9
; %bb.914:                              ;   in Loop: Header=BB257_522 Depth=1
	s_or_b32 exec_lo, exec_lo, s30
	v_lshlrev_b32_e32 v1, 8, v1
	v_lshl_add_u32 v10, v10, 10, 0x2000
	v_lshlrev_b32_e32 v9, 23, v9
	v_and_or_b32 v1, 0x8000, v1, v10
	v_lshl_or_b32 v9, v1, 16, v9
.LBB257_915:                            ;   in Loop: Header=BB257_522 Depth=1
	s_or_b32 exec_lo, exec_lo, s29
.LBB257_916:                            ;   in Loop: Header=BB257_522 Depth=1
	s_or_b32 exec_lo, exec_lo, s28
.LBB257_917:                            ;   in Loop: Header=BB257_522 Depth=1
	s_or_b32 exec_lo, exec_lo, s27
	v_or_b32_e32 v1, v53, v54
	s_waitcnt vmcnt(0)
	v_fma_mixlo_f16 v10, v50, v53, 0 op_sel:[0,1,0] op_sel_hi:[0,1,0]
	v_or_b32_e32 v12, v51, v52
	v_fma_mixlo_f16 v13, v50, v51, 0 op_sel:[0,1,0] op_sel_hi:[0,1,0]
	v_or_b32_e32 v54, v57, v56
	v_fma_mixlo_f16 v1, v50, v1, 0 op_sel_hi:[0,1,0]
	v_or_b32_e32 v55, v9, v55
	v_lshlrev_b32_e32 v51, 16, v10
	v_lshlrev_b32_e32 v53, 16, v13
	v_fma_mixlo_f16 v10, v50, v12, 0 op_sel_hi:[0,1,0]
	v_and_b32_e32 v52, 0xffff, v1
	v_fma_mixlo_f16 v1, v50, v57, 0 op_sel:[0,1,0] op_sel_hi:[0,1,0]
	v_fma_mixlo_f16 v12, v50, v54, 0 op_sel_hi:[0,1,0]
	v_fma_mixlo_f16 v13, v50, v9, 0 op_sel:[0,1,0] op_sel_hi:[0,1,0]
	v_fma_mixlo_f16 v54, v50, v55, 0 op_sel_hi:[0,1,0]
	v_and_b32_e32 v57, 0xffff, v10
	v_lshlrev_b32_e32 v9, 16, v1
	v_and_b32_e32 v50, 0xffff, v12
	v_lshlrev_b32_e32 v1, 16, v13
	v_and_b32_e32 v10, 0xffff, v54
	v_or_b32_e32 v54, v51, v52
	v_or_b32_e32 v58, v53, v57
	;; [unrolled: 1-line block ×4, first 2 shown]
	s_and_saveexec_b32 s27, s0
	s_cbranch_execz .LBB257_919
; %bb.918:                              ;   in Loop: Header=BB257_522 Depth=1
	v_add_nc_u32_e32 v12, 1, v35
	v_cmp_gt_i32_e64 s1, s33, v35
	v_add_nc_u32_e32 v13, 2, v35
	v_add_nc_u32_e32 v55, 3, v35
	v_cndmask_b32_e64 v54, 0, v57, s1
	v_cmp_gt_i32_e64 s1, s33, v12
	v_cndmask_b32_e64 v12, 0, v53, s1
	v_cmp_gt_i32_e64 s1, s33, v13
	v_add_nc_u32_e32 v53, 5, v35
	v_or_b32_e32 v58, v12, v54
	v_cndmask_b32_e64 v13, 0, v52, s1
	v_add_nc_u32_e32 v52, 4, v35
	v_cmp_gt_i32_e64 s1, s33, v55
	v_add_nc_u32_e32 v55, 6, v35
	v_cndmask_b32_e64 v51, 0, v51, s1
	v_cmp_gt_i32_e64 s1, s33, v52
	v_add_nc_u32_e32 v52, 7, v35
	v_or_b32_e32 v54, v51, v13
	v_cndmask_b32_e64 v50, 0, v50, s1
	v_cmp_gt_i32_e64 s1, s33, v53
	v_cndmask_b32_e64 v9, 0, v9, s1
	v_cmp_gt_i32_e64 s1, s33, v55
	v_or_b32_e32 v56, v9, v50
	v_cndmask_b32_e64 v10, 0, v10, s1
	v_cmp_gt_i32_e64 s1, s33, v52
	v_cndmask_b32_e64 v1, 0, v1, s1
	v_or_b32_e32 v55, v1, v10
.LBB257_919:                            ;   in Loop: Header=BB257_522 Depth=1
	s_or_b32 exec_lo, exec_lo, s27
	;;#ASMSTART
	v_pk_mul_f16 v1, v41, v58;

	;;#ASMEND
	;;#ASMSTART
	v_pk_mul_f16 v9, v40, v54;

	;;#ASMEND
	;; [unrolled: 4-line block ×4, first 2 shown]
	;;#ASMSTART
	v_pk_add_f16 v1, v1, v9;

	;;#ASMEND
	;;#ASMSTART
	v_pk_add_f16 v1, v1, v10;

	;;#ASMEND
	;;#ASMSTART
	v_pk_add_f16 v1, v1, v12;

	;;#ASMEND
	v_and_b32_e32 v9, 0xffff, v1
	v_lshrrev_b32_e32 v1, 16, v1
	;;#ASMSTART
	v_cvt_f32_f16 v9, v9;
	;;#ASMEND
	;;#ASMSTART
	v_cvt_f32_f16 v10, v1;
	;;#ASMEND
	global_load_dwordx2 v[7:8], v[7:8], off offset:1536
	v_mov_b32_e32 v51, 0
	v_mov_b32_e32 v52, 0
	global_load_dword v50, v51, s[14:15]
	s_waitcnt vmcnt(1)
	v_cmp_ne_u16_sdwa s1, v7, v2 src0_sel:BYTE_0 src1_sel:DWORD
	s_and_saveexec_b32 s27, s1
	s_cbranch_execz .LBB257_927
; %bb.920:                              ;   in Loop: Header=BB257_522 Depth=1
	v_cmp_ne_u16_sdwa s1, v7, v17 src0_sel:BYTE_0 src1_sel:DWORD
	v_mov_b32_e32 v52, 0x8000
	s_and_saveexec_b32 s28, s1
	s_cbranch_execz .LBB257_926
; %bb.921:                              ;   in Loop: Header=BB257_522 Depth=1
	v_and_b32_e32 v53, 0x7f, v7
	v_mov_b32_e32 v52, 0x7c01
	s_mov_b32 s29, exec_lo
	v_cmpx_ne_u32_e32 0x7f, v53
	s_cbranch_execz .LBB257_925
; %bb.922:                              ;   in Loop: Header=BB257_522 Depth=1
	v_and_b32_e32 v1, 7, v7
	v_lshrrev_b32_e32 v52, 3, v53
	s_mov_b32 s30, exec_lo
	v_cmpx_gt_u32_e32 8, v53
; %bb.923:                              ;   in Loop: Header=BB257_522 Depth=1
	v_ffbh_u32_e32 v1, v1
	v_min_u32_e32 v1, 32, v1
	v_subrev_nc_u32_e32 v12, 28, v1
	v_sub_nc_u32_e32 v52, 29, v1
	v_lshlrev_b64 v[12:13], v12, v[7:8]
	v_and_b32_e32 v1, 7, v12
; %bb.924:                              ;   in Loop: Header=BB257_522 Depth=1
	s_or_b32 exec_lo, exec_lo, s30
	v_lshlrev_b32_e32 v12, 8, v7
	v_lshl_add_u32 v13, v52, 10, 0x2000
	v_lshlrev_b32_e32 v1, 7, v1
	v_and_b32_e32 v12, 0x8000, v12
	v_and_b32_e32 v13, 0xfc00, v13
	v_or3_b32 v52, v12, v13, v1
.LBB257_925:                            ;   in Loop: Header=BB257_522 Depth=1
	s_or_b32 exec_lo, exec_lo, s29
.LBB257_926:                            ;   in Loop: Header=BB257_522 Depth=1
	s_or_b32 exec_lo, exec_lo, s28
.LBB257_927:                            ;   in Loop: Header=BB257_522 Depth=1
	s_or_b32 exec_lo, exec_lo, s27
	v_lshrrev_b16 v1, 8, v7
	s_mov_b32 s27, exec_lo
	v_cmpx_ne_u16_e32 0, v1
	s_cbranch_execz .LBB257_935
; %bb.928:                              ;   in Loop: Header=BB257_522 Depth=1
	v_bfrev_b32_e32 v51, 1
	s_mov_b32 s28, exec_lo
	v_cmpx_ne_u16_e32 0x80, v1
	s_cbranch_execz .LBB257_934
; %bb.929:                              ;   in Loop: Header=BB257_522 Depth=1
	v_and_b32_sdwa v54, v1, v27 dst_sel:DWORD dst_unused:UNUSED_PAD src0_sel:WORD_0 src1_sel:DWORD
	v_mov_b32_e32 v51, 0x7c010000
	s_mov_b32 s29, exec_lo
	v_cmpx_ne_u32_e32 0x7f, v54
	s_cbranch_execz .LBB257_933
; %bb.930:                              ;   in Loop: Header=BB257_522 Depth=1
	v_and_b32_sdwa v51, v1, v28 dst_sel:DWORD dst_unused:UNUSED_PAD src0_sel:WORD_0 src1_sel:DWORD
	v_lshrrev_b32_e32 v53, 3, v54
	s_mov_b32 s30, exec_lo
	v_cmpx_gt_u32_e32 8, v54
; %bb.931:                              ;   in Loop: Header=BB257_522 Depth=1
	v_ffbh_u32_e32 v12, v51
	v_min_u32_e32 v51, 32, v12
	v_subrev_nc_u32_e32 v12, 28, v51
	v_sub_nc_u32_e32 v53, 29, v51
	v_lshlrev_b64 v[12:13], v12, v[1:2]
	v_and_b32_e32 v51, 7, v12
; %bb.932:                              ;   in Loop: Header=BB257_522 Depth=1
	s_or_b32 exec_lo, exec_lo, s30
	v_lshlrev_b32_sdwa v1, v29, v1 dst_sel:DWORD dst_unused:UNUSED_PAD src0_sel:DWORD src1_sel:WORD_0
	v_lshl_add_u32 v12, v53, 10, 0x2000
	v_and_or_b32 v1, 0x8000, v1, v12
	v_lshlrev_b32_e32 v12, 23, v51
	v_lshl_or_b32 v51, v1, 16, v12
.LBB257_933:                            ;   in Loop: Header=BB257_522 Depth=1
	s_or_b32 exec_lo, exec_lo, s29
.LBB257_934:                            ;   in Loop: Header=BB257_522 Depth=1
	s_or_b32 exec_lo, exec_lo, s28
.LBB257_935:                            ;   in Loop: Header=BB257_522 Depth=1
	s_or_b32 exec_lo, exec_lo, s27
	v_lshrrev_b32_e32 v1, 16, v7
	v_mov_b32_e32 v53, 0
	v_mov_b32_e32 v54, 0
	v_cmp_ne_u16_sdwa s1, v1, v2 src0_sel:BYTE_0 src1_sel:DWORD
	s_and_saveexec_b32 s27, s1
	s_cbranch_execz .LBB257_943
; %bb.936:                              ;   in Loop: Header=BB257_522 Depth=1
	v_cmp_ne_u16_sdwa s1, v1, v17 src0_sel:BYTE_0 src1_sel:DWORD
	v_mov_b32_e32 v54, 0x8000
	s_and_saveexec_b32 s28, s1
	s_cbranch_execz .LBB257_942
; %bb.937:                              ;   in Loop: Header=BB257_522 Depth=1
	v_bfe_u32 v56, v7, 16, 7
	v_mov_b32_e32 v54, 0x7c01
	s_mov_b32 s29, exec_lo
	v_cmpx_ne_u32_e32 0x7f, v56
	s_cbranch_execz .LBB257_941
; %bb.938:                              ;   in Loop: Header=BB257_522 Depth=1
	v_and_b32_e32 v54, 7, v1
	v_lshrrev_b32_e32 v55, 3, v56
	s_mov_b32 s30, exec_lo
	v_cmpx_gt_u32_e32 8, v56
; %bb.939:                              ;   in Loop: Header=BB257_522 Depth=1
	v_ffbh_u32_e32 v12, v54
	v_min_u32_e32 v54, 32, v12
	v_subrev_nc_u32_e32 v12, 28, v54
	v_sub_nc_u32_e32 v55, 29, v54
	v_lshlrev_b64 v[12:13], v12, v[1:2]
	v_and_b32_e32 v54, 7, v12
; %bb.940:                              ;   in Loop: Header=BB257_522 Depth=1
	s_or_b32 exec_lo, exec_lo, s30
	v_lshlrev_b32_e32 v1, 8, v1
	v_lshl_add_u32 v12, v55, 10, 0x2000
	v_lshlrev_b32_e32 v13, 7, v54
	v_and_b32_e32 v1, 0x8000, v1
	v_and_b32_e32 v12, 0xfc00, v12
	v_or3_b32 v54, v1, v12, v13
.LBB257_941:                            ;   in Loop: Header=BB257_522 Depth=1
	s_or_b32 exec_lo, exec_lo, s29
.LBB257_942:                            ;   in Loop: Header=BB257_522 Depth=1
	s_or_b32 exec_lo, exec_lo, s28
.LBB257_943:                            ;   in Loop: Header=BB257_522 Depth=1
	s_or_b32 exec_lo, exec_lo, s27
	s_mov_b32 s27, exec_lo
	v_cmpx_lt_u32_e32 0xffffff, v7
	s_cbranch_execz .LBB257_951
; %bb.944:                              ;   in Loop: Header=BB257_522 Depth=1
	v_lshrrev_b32_e32 v1, 24, v7
	v_bfrev_b32_e32 v53, 1
	s_mov_b32 s28, exec_lo
	v_cmpx_ne_u32_e32 0x80, v1
	s_cbranch_execz .LBB257_950
; %bb.945:                              ;   in Loop: Header=BB257_522 Depth=1
	v_and_b32_e32 v56, 0x7f, v1
	v_mov_b32_e32 v53, 0x7c010000
	s_mov_b32 s29, exec_lo
	v_cmpx_ne_u32_e32 0x7f, v56
	s_cbranch_execz .LBB257_949
; %bb.946:                              ;   in Loop: Header=BB257_522 Depth=1
	v_and_b32_e32 v53, 7, v1
	v_lshrrev_b32_e32 v55, 3, v56
	s_mov_b32 s30, exec_lo
	v_cmpx_gt_u32_e32 8, v56
; %bb.947:                              ;   in Loop: Header=BB257_522 Depth=1
	v_ffbh_u32_e32 v12, v53
	v_min_u32_e32 v53, 32, v12
	v_subrev_nc_u32_e32 v12, 28, v53
	v_sub_nc_u32_e32 v55, 29, v53
	v_lshlrev_b64 v[12:13], v12, v[1:2]
	v_and_b32_e32 v53, 7, v12
; %bb.948:                              ;   in Loop: Header=BB257_522 Depth=1
	s_or_b32 exec_lo, exec_lo, s30
	v_lshlrev_b32_e32 v1, 8, v1
	v_lshl_add_u32 v12, v55, 10, 0x2000
	v_and_or_b32 v1, 0x8000, v1, v12
	v_lshlrev_b32_e32 v12, 23, v53
	v_lshl_or_b32 v53, v1, 16, v12
.LBB257_949:                            ;   in Loop: Header=BB257_522 Depth=1
	s_or_b32 exec_lo, exec_lo, s29
.LBB257_950:                            ;   in Loop: Header=BB257_522 Depth=1
	s_or_b32 exec_lo, exec_lo, s28
.LBB257_951:                            ;   in Loop: Header=BB257_522 Depth=1
	s_or_b32 exec_lo, exec_lo, s27
	v_mov_b32_e32 v1, v8
	v_cmp_ne_u16_sdwa s1, v8, v2 src0_sel:BYTE_0 src1_sel:DWORD
	v_mov_b32_e32 v55, 0
	v_mov_b32_e32 v56, 0
	s_and_saveexec_b32 s27, s1
	s_cbranch_execz .LBB257_959
; %bb.952:                              ;   in Loop: Header=BB257_522 Depth=1
	v_cmp_ne_u16_sdwa s1, v8, v17 src0_sel:BYTE_0 src1_sel:DWORD
	v_mov_b32_e32 v56, 0x8000
	s_and_saveexec_b32 s28, s1
	s_cbranch_execz .LBB257_958
; %bb.953:                              ;   in Loop: Header=BB257_522 Depth=1
	v_and_b32_e32 v58, 0x7f, v8
	v_mov_b32_e32 v56, 0x7c01
	s_mov_b32 s29, exec_lo
	v_cmpx_ne_u32_e32 0x7f, v58
	s_cbranch_execz .LBB257_957
; %bb.954:                              ;   in Loop: Header=BB257_522 Depth=1
	v_and_b32_e32 v56, 7, v8
	v_lshrrev_b32_e32 v57, 3, v58
	s_mov_b32 s30, exec_lo
	v_cmpx_gt_u32_e32 8, v58
; %bb.955:                              ;   in Loop: Header=BB257_522 Depth=1
	v_ffbh_u32_e32 v12, v56
	v_min_u32_e32 v56, 32, v12
	v_subrev_nc_u32_e32 v12, 28, v56
	v_sub_nc_u32_e32 v57, 29, v56
	v_lshlrev_b64 v[12:13], v12, v[1:2]
	v_and_b32_e32 v56, 7, v12
; %bb.956:                              ;   in Loop: Header=BB257_522 Depth=1
	s_or_b32 exec_lo, exec_lo, s30
	v_lshlrev_b32_e32 v12, 8, v8
	v_lshl_add_u32 v13, v57, 10, 0x2000
	v_lshlrev_b32_e32 v56, 7, v56
	v_and_b32_e32 v12, 0x8000, v12
	v_and_b32_e32 v13, 0xfc00, v13
	v_or3_b32 v56, v12, v13, v56
.LBB257_957:                            ;   in Loop: Header=BB257_522 Depth=1
	s_or_b32 exec_lo, exec_lo, s29
.LBB257_958:                            ;   in Loop: Header=BB257_522 Depth=1
	s_or_b32 exec_lo, exec_lo, s28
.LBB257_959:                            ;   in Loop: Header=BB257_522 Depth=1
	s_or_b32 exec_lo, exec_lo, s27
	v_lshrrev_b16 v1, 8, v1
	v_mov_b32_e32 v57, 0
	s_mov_b32 s27, exec_lo
	v_cmpx_ne_u16_e32 0, v1
	s_cbranch_execz .LBB257_967
; %bb.960:                              ;   in Loop: Header=BB257_522 Depth=1
	v_bfrev_b32_e32 v57, 1
	s_mov_b32 s28, exec_lo
	v_cmpx_ne_u16_e32 0x80, v1
	s_cbranch_execz .LBB257_966
; %bb.961:                              ;   in Loop: Header=BB257_522 Depth=1
	v_and_b32_sdwa v59, v1, v27 dst_sel:DWORD dst_unused:UNUSED_PAD src0_sel:WORD_0 src1_sel:DWORD
	v_mov_b32_e32 v57, 0x7c010000
	s_mov_b32 s29, exec_lo
	v_cmpx_ne_u32_e32 0x7f, v59
	s_cbranch_execz .LBB257_965
; %bb.962:                              ;   in Loop: Header=BB257_522 Depth=1
	v_and_b32_sdwa v57, v1, v28 dst_sel:DWORD dst_unused:UNUSED_PAD src0_sel:WORD_0 src1_sel:DWORD
	v_lshrrev_b32_e32 v58, 3, v59
	s_mov_b32 s30, exec_lo
	v_cmpx_gt_u32_e32 8, v59
; %bb.963:                              ;   in Loop: Header=BB257_522 Depth=1
	v_ffbh_u32_e32 v12, v57
	v_min_u32_e32 v57, 32, v12
	v_subrev_nc_u32_e32 v12, 28, v57
	v_sub_nc_u32_e32 v58, 29, v57
	v_lshlrev_b64 v[12:13], v12, v[1:2]
	v_and_b32_e32 v57, 7, v12
; %bb.964:                              ;   in Loop: Header=BB257_522 Depth=1
	s_or_b32 exec_lo, exec_lo, s30
	v_lshlrev_b32_sdwa v1, v29, v1 dst_sel:DWORD dst_unused:UNUSED_PAD src0_sel:DWORD src1_sel:WORD_0
	v_lshl_add_u32 v12, v58, 10, 0x2000
	v_and_or_b32 v1, 0x8000, v1, v12
	v_lshlrev_b32_e32 v12, 23, v57
	v_lshl_or_b32 v57, v1, 16, v12
.LBB257_965:                            ;   in Loop: Header=BB257_522 Depth=1
	s_or_b32 exec_lo, exec_lo, s29
.LBB257_966:                            ;   in Loop: Header=BB257_522 Depth=1
	s_or_b32 exec_lo, exec_lo, s28
.LBB257_967:                            ;   in Loop: Header=BB257_522 Depth=1
	s_or_b32 exec_lo, exec_lo, s27
	v_lshrrev_b32_e32 v1, 16, v8
	v_cmp_ne_u16_sdwa s1, v1, v2 src0_sel:BYTE_0 src1_sel:DWORD
	s_and_saveexec_b32 s27, s1
	s_cbranch_execz .LBB257_975
; %bb.968:                              ;   in Loop: Header=BB257_522 Depth=1
	v_cmp_ne_u16_sdwa s1, v1, v17 src0_sel:BYTE_0 src1_sel:DWORD
	v_mov_b32_e32 v55, 0x8000
	s_and_saveexec_b32 s28, s1
	s_cbranch_execz .LBB257_974
; %bb.969:                              ;   in Loop: Header=BB257_522 Depth=1
	v_bfe_u32 v59, v8, 16, 7
	v_mov_b32_e32 v55, 0x7c01
	s_mov_b32 s29, exec_lo
	v_cmpx_ne_u32_e32 0x7f, v59
	s_cbranch_execz .LBB257_973
; %bb.970:                              ;   in Loop: Header=BB257_522 Depth=1
	v_and_b32_e32 v55, 7, v1
	v_lshrrev_b32_e32 v58, 3, v59
	s_mov_b32 s30, exec_lo
	v_cmpx_gt_u32_e32 8, v59
; %bb.971:                              ;   in Loop: Header=BB257_522 Depth=1
	v_ffbh_u32_e32 v12, v55
	v_min_u32_e32 v55, 32, v12
	v_subrev_nc_u32_e32 v12, 28, v55
	v_sub_nc_u32_e32 v58, 29, v55
	v_lshlrev_b64 v[12:13], v12, v[1:2]
	v_and_b32_e32 v55, 7, v12
; %bb.972:                              ;   in Loop: Header=BB257_522 Depth=1
	s_or_b32 exec_lo, exec_lo, s30
	v_lshlrev_b32_e32 v1, 8, v1
	v_lshl_add_u32 v12, v58, 10, 0x2000
	v_lshlrev_b32_e32 v13, 7, v55
	v_and_b32_e32 v1, 0x8000, v1
	v_and_b32_e32 v12, 0xfc00, v12
	v_or3_b32 v55, v1, v12, v13
.LBB257_973:                            ;   in Loop: Header=BB257_522 Depth=1
	s_or_b32 exec_lo, exec_lo, s29
.LBB257_974:                            ;   in Loop: Header=BB257_522 Depth=1
	s_or_b32 exec_lo, exec_lo, s28
.LBB257_975:                            ;   in Loop: Header=BB257_522 Depth=1
	s_or_b32 exec_lo, exec_lo, s27
	v_cmp_lt_u64_e64 s1, s[4:5], v[7:8]
	v_mov_b32_e32 v7, 0
	s_and_saveexec_b32 s27, s1
	s_cbranch_execz .LBB257_983
; %bb.976:                              ;   in Loop: Header=BB257_522 Depth=1
	v_lshrrev_b32_e32 v1, 24, v8
	v_bfrev_b32_e32 v7, 1
	s_mov_b32 s28, exec_lo
	v_cmpx_ne_u32_e32 0x80, v1
	s_cbranch_execz .LBB257_982
; %bb.977:                              ;   in Loop: Header=BB257_522 Depth=1
	v_and_b32_e32 v58, 0x7f, v1
	v_mov_b32_e32 v7, 0x7c010000
	s_mov_b32 s29, exec_lo
	v_cmpx_ne_u32_e32 0x7f, v58
	s_cbranch_execz .LBB257_981
; %bb.978:                              ;   in Loop: Header=BB257_522 Depth=1
	v_and_b32_e32 v7, 7, v1
	v_lshrrev_b32_e32 v8, 3, v58
	s_mov_b32 s30, exec_lo
	v_cmpx_gt_u32_e32 8, v58
; %bb.979:                              ;   in Loop: Header=BB257_522 Depth=1
	v_ffbh_u32_e32 v7, v7
	v_min_u32_e32 v12, 32, v7
	v_subrev_nc_u32_e32 v7, 28, v12
	v_lshlrev_b64 v[7:8], v7, v[1:2]
	v_sub_nc_u32_e32 v8, 29, v12
	v_and_b32_e32 v7, 7, v7
; %bb.980:                              ;   in Loop: Header=BB257_522 Depth=1
	s_or_b32 exec_lo, exec_lo, s30
	v_lshlrev_b32_e32 v1, 8, v1
	v_lshl_add_u32 v8, v8, 10, 0x2000
	v_lshlrev_b32_e32 v7, 23, v7
	v_and_or_b32 v1, 0x8000, v1, v8
	v_lshl_or_b32 v7, v1, 16, v7
.LBB257_981:                            ;   in Loop: Header=BB257_522 Depth=1
	s_or_b32 exec_lo, exec_lo, s29
.LBB257_982:                            ;   in Loop: Header=BB257_522 Depth=1
	s_or_b32 exec_lo, exec_lo, s28
.LBB257_983:                            ;   in Loop: Header=BB257_522 Depth=1
	s_or_b32 exec_lo, exec_lo, s27
	v_or_b32_e32 v1, v53, v54
	s_waitcnt vmcnt(0)
	v_fma_mixlo_f16 v8, v50, v53, 0 op_sel:[0,1,0] op_sel_hi:[0,1,0]
	v_or_b32_e32 v12, v51, v52
	v_fma_mixlo_f16 v13, v50, v51, 0 op_sel:[0,1,0] op_sel_hi:[0,1,0]
	v_or_b32_e32 v54, v57, v56
	v_fma_mixlo_f16 v1, v50, v1, 0 op_sel_hi:[0,1,0]
	v_or_b32_e32 v55, v7, v55
	v_lshlrev_b32_e32 v51, 16, v8
	v_lshlrev_b32_e32 v53, 16, v13
	v_fma_mixlo_f16 v8, v50, v12, 0 op_sel_hi:[0,1,0]
	v_and_b32_e32 v52, 0xffff, v1
	v_fma_mixlo_f16 v1, v50, v57, 0 op_sel:[0,1,0] op_sel_hi:[0,1,0]
	v_fma_mixlo_f16 v12, v50, v54, 0 op_sel_hi:[0,1,0]
	v_fma_mixlo_f16 v13, v50, v7, 0 op_sel:[0,1,0] op_sel_hi:[0,1,0]
	v_fma_mixlo_f16 v54, v50, v55, 0 op_sel_hi:[0,1,0]
	v_and_b32_e32 v57, 0xffff, v8
	v_lshlrev_b32_e32 v7, 16, v1
	v_and_b32_e32 v50, 0xffff, v12
	v_lshlrev_b32_e32 v1, 16, v13
	v_and_b32_e32 v8, 0xffff, v54
	v_or_b32_e32 v54, v51, v52
	v_or_b32_e32 v58, v53, v57
	;; [unrolled: 1-line block ×4, first 2 shown]
	s_and_saveexec_b32 s27, s0
	s_cbranch_execz .LBB257_985
; %bb.984:                              ;   in Loop: Header=BB257_522 Depth=1
	v_add_nc_u32_e32 v12, 1, v35
	v_cmp_gt_i32_e64 s1, s33, v35
	v_add_nc_u32_e32 v13, 2, v35
	v_add_nc_u32_e32 v55, 3, v35
	v_cndmask_b32_e64 v54, 0, v57, s1
	v_cmp_gt_i32_e64 s1, s33, v12
	v_cndmask_b32_e64 v12, 0, v53, s1
	v_cmp_gt_i32_e64 s1, s33, v13
	v_add_nc_u32_e32 v53, 5, v35
	v_or_b32_e32 v58, v12, v54
	v_cndmask_b32_e64 v13, 0, v52, s1
	v_add_nc_u32_e32 v52, 4, v35
	v_cmp_gt_i32_e64 s1, s33, v55
	v_add_nc_u32_e32 v55, 6, v35
	v_cndmask_b32_e64 v51, 0, v51, s1
	v_cmp_gt_i32_e64 s1, s33, v52
	v_add_nc_u32_e32 v52, 7, v35
	v_or_b32_e32 v54, v51, v13
	v_cndmask_b32_e64 v50, 0, v50, s1
	v_cmp_gt_i32_e64 s1, s33, v53
	v_cndmask_b32_e64 v7, 0, v7, s1
	v_cmp_gt_i32_e64 s1, s33, v55
	v_or_b32_e32 v56, v7, v50
	v_cndmask_b32_e64 v8, 0, v8, s1
	v_cmp_gt_i32_e64 s1, s33, v52
	v_cndmask_b32_e64 v1, 0, v1, s1
	v_or_b32_e32 v55, v1, v8
.LBB257_985:                            ;   in Loop: Header=BB257_522 Depth=1
	s_or_b32 exec_lo, exec_lo, s27
	;;#ASMSTART
	v_pk_mul_f16 v1, v41, v58;

	;;#ASMEND
	;;#ASMSTART
	v_pk_mul_f16 v7, v40, v54;

	;;#ASMEND
	;; [unrolled: 4-line block ×4, first 2 shown]
	;;#ASMSTART
	v_pk_add_f16 v1, v1, v7;

	;;#ASMEND
	;;#ASMSTART
	v_pk_add_f16 v1, v1, v8;

	;;#ASMEND
	;;#ASMSTART
	v_pk_add_f16 v1, v1, v12;

	;;#ASMEND
	v_and_b32_e32 v7, 0xffff, v1
	v_lshrrev_b32_e32 v1, 16, v1
	;;#ASMSTART
	v_cvt_f32_f16 v7, v7;
	;;#ASMEND
	;;#ASMSTART
	v_cvt_f32_f16 v8, v1;
	;;#ASMEND
	s_and_saveexec_b32 s27, vcc_lo
	s_cbranch_execz .LBB257_520
; %bb.986:                              ;   in Loop: Header=BB257_522 Depth=1
	v_add_co_u32 v5, s1, v5, v31
	v_add_co_ci_u32_e64 v6, null, 0, v6, s1
	v_mov_b32_e32 v51, 0
	v_mov_b32_e32 v52, 0
	global_load_dwordx2 v[5:6], v[5:6], off
	global_load_dword v50, v51, s[14:15]
	s_waitcnt vmcnt(1)
	v_cmp_ne_u16_sdwa s1, v5, v2 src0_sel:BYTE_0 src1_sel:DWORD
	s_and_saveexec_b32 s28, s1
	s_cbranch_execz .LBB257_994
; %bb.987:                              ;   in Loop: Header=BB257_522 Depth=1
	v_cmp_ne_u16_sdwa s1, v5, v17 src0_sel:BYTE_0 src1_sel:DWORD
	v_mov_b32_e32 v52, 0x8000
	s_and_saveexec_b32 s29, s1
	s_cbranch_execz .LBB257_993
; %bb.988:                              ;   in Loop: Header=BB257_522 Depth=1
	v_and_b32_e32 v53, 0x7f, v5
	v_mov_b32_e32 v52, 0x7c01
	s_mov_b32 s30, exec_lo
	v_cmpx_ne_u32_e32 0x7f, v53
	s_cbranch_execz .LBB257_992
; %bb.989:                              ;   in Loop: Header=BB257_522 Depth=1
	v_and_b32_e32 v1, 7, v5
	v_lshrrev_b32_e32 v52, 3, v53
	s_mov_b32 s31, exec_lo
	v_cmpx_gt_u32_e32 8, v53
; %bb.990:                              ;   in Loop: Header=BB257_522 Depth=1
	v_ffbh_u32_e32 v1, v1
	v_min_u32_e32 v1, 32, v1
	v_subrev_nc_u32_e32 v12, 28, v1
	v_sub_nc_u32_e32 v52, 29, v1
	v_lshlrev_b64 v[12:13], v12, v[5:6]
	v_and_b32_e32 v1, 7, v12
; %bb.991:                              ;   in Loop: Header=BB257_522 Depth=1
	s_or_b32 exec_lo, exec_lo, s31
	v_lshlrev_b32_e32 v12, 8, v5
	v_lshl_add_u32 v13, v52, 10, 0x2000
	v_lshlrev_b32_e32 v1, 7, v1
	v_and_b32_e32 v12, 0x8000, v12
	v_and_b32_e32 v13, 0xfc00, v13
	v_or3_b32 v52, v12, v13, v1
.LBB257_992:                            ;   in Loop: Header=BB257_522 Depth=1
	s_or_b32 exec_lo, exec_lo, s30
.LBB257_993:                            ;   in Loop: Header=BB257_522 Depth=1
	s_or_b32 exec_lo, exec_lo, s29
.LBB257_994:                            ;   in Loop: Header=BB257_522 Depth=1
	s_or_b32 exec_lo, exec_lo, s28
	v_lshrrev_b16 v1, 8, v5
	s_mov_b32 s28, exec_lo
	v_cmpx_ne_u16_e32 0, v1
	s_cbranch_execz .LBB257_1002
; %bb.995:                              ;   in Loop: Header=BB257_522 Depth=1
	v_bfrev_b32_e32 v51, 1
	s_mov_b32 s29, exec_lo
	v_cmpx_ne_u16_e32 0x80, v1
	s_cbranch_execz .LBB257_1001
; %bb.996:                              ;   in Loop: Header=BB257_522 Depth=1
	v_and_b32_sdwa v54, v1, v27 dst_sel:DWORD dst_unused:UNUSED_PAD src0_sel:WORD_0 src1_sel:DWORD
	v_mov_b32_e32 v51, 0x7c010000
	s_mov_b32 s30, exec_lo
	v_cmpx_ne_u32_e32 0x7f, v54
	s_cbranch_execz .LBB257_1000
; %bb.997:                              ;   in Loop: Header=BB257_522 Depth=1
	v_and_b32_sdwa v51, v1, v28 dst_sel:DWORD dst_unused:UNUSED_PAD src0_sel:WORD_0 src1_sel:DWORD
	v_lshrrev_b32_e32 v53, 3, v54
	s_mov_b32 s31, exec_lo
	v_cmpx_gt_u32_e32 8, v54
; %bb.998:                              ;   in Loop: Header=BB257_522 Depth=1
	v_ffbh_u32_e32 v12, v51
	v_min_u32_e32 v51, 32, v12
	v_subrev_nc_u32_e32 v12, 28, v51
	v_sub_nc_u32_e32 v53, 29, v51
	v_lshlrev_b64 v[12:13], v12, v[1:2]
	v_and_b32_e32 v51, 7, v12
; %bb.999:                              ;   in Loop: Header=BB257_522 Depth=1
	s_or_b32 exec_lo, exec_lo, s31
	v_lshlrev_b32_sdwa v1, v29, v1 dst_sel:DWORD dst_unused:UNUSED_PAD src0_sel:DWORD src1_sel:WORD_0
	v_lshl_add_u32 v12, v53, 10, 0x2000
	v_and_or_b32 v1, 0x8000, v1, v12
	v_lshlrev_b32_e32 v12, 23, v51
	v_lshl_or_b32 v51, v1, 16, v12
.LBB257_1000:                           ;   in Loop: Header=BB257_522 Depth=1
	s_or_b32 exec_lo, exec_lo, s30
.LBB257_1001:                           ;   in Loop: Header=BB257_522 Depth=1
	s_or_b32 exec_lo, exec_lo, s29
.LBB257_1002:                           ;   in Loop: Header=BB257_522 Depth=1
	s_or_b32 exec_lo, exec_lo, s28
	v_lshrrev_b32_e32 v1, 16, v5
	v_mov_b32_e32 v53, 0
	v_mov_b32_e32 v54, 0
	v_cmp_ne_u16_sdwa s1, v1, v2 src0_sel:BYTE_0 src1_sel:DWORD
	s_and_saveexec_b32 s28, s1
	s_cbranch_execz .LBB257_1010
; %bb.1003:                             ;   in Loop: Header=BB257_522 Depth=1
	v_cmp_ne_u16_sdwa s1, v1, v17 src0_sel:BYTE_0 src1_sel:DWORD
	v_mov_b32_e32 v54, 0x8000
	s_and_saveexec_b32 s29, s1
	s_cbranch_execz .LBB257_1009
; %bb.1004:                             ;   in Loop: Header=BB257_522 Depth=1
	v_bfe_u32 v56, v5, 16, 7
	v_mov_b32_e32 v54, 0x7c01
	s_mov_b32 s30, exec_lo
	v_cmpx_ne_u32_e32 0x7f, v56
	s_cbranch_execz .LBB257_1008
; %bb.1005:                             ;   in Loop: Header=BB257_522 Depth=1
	v_and_b32_e32 v54, 7, v1
	v_lshrrev_b32_e32 v55, 3, v56
	s_mov_b32 s31, exec_lo
	v_cmpx_gt_u32_e32 8, v56
; %bb.1006:                             ;   in Loop: Header=BB257_522 Depth=1
	v_ffbh_u32_e32 v12, v54
	v_min_u32_e32 v54, 32, v12
	v_subrev_nc_u32_e32 v12, 28, v54
	v_sub_nc_u32_e32 v55, 29, v54
	v_lshlrev_b64 v[12:13], v12, v[1:2]
	v_and_b32_e32 v54, 7, v12
; %bb.1007:                             ;   in Loop: Header=BB257_522 Depth=1
	s_or_b32 exec_lo, exec_lo, s31
	v_lshlrev_b32_e32 v1, 8, v1
	v_lshl_add_u32 v12, v55, 10, 0x2000
	v_lshlrev_b32_e32 v13, 7, v54
	v_and_b32_e32 v1, 0x8000, v1
	v_and_b32_e32 v12, 0xfc00, v12
	v_or3_b32 v54, v1, v12, v13
.LBB257_1008:                           ;   in Loop: Header=BB257_522 Depth=1
	s_or_b32 exec_lo, exec_lo, s30
.LBB257_1009:                           ;   in Loop: Header=BB257_522 Depth=1
	s_or_b32 exec_lo, exec_lo, s29
.LBB257_1010:                           ;   in Loop: Header=BB257_522 Depth=1
	s_or_b32 exec_lo, exec_lo, s28
	s_mov_b32 s28, exec_lo
	v_cmpx_lt_u32_e32 0xffffff, v5
	s_cbranch_execz .LBB257_1018
; %bb.1011:                             ;   in Loop: Header=BB257_522 Depth=1
	v_lshrrev_b32_e32 v1, 24, v5
	v_bfrev_b32_e32 v53, 1
	s_mov_b32 s29, exec_lo
	v_cmpx_ne_u32_e32 0x80, v1
	s_cbranch_execz .LBB257_1017
; %bb.1012:                             ;   in Loop: Header=BB257_522 Depth=1
	v_and_b32_e32 v56, 0x7f, v1
	v_mov_b32_e32 v53, 0x7c010000
	s_mov_b32 s30, exec_lo
	v_cmpx_ne_u32_e32 0x7f, v56
	s_cbranch_execz .LBB257_1016
; %bb.1013:                             ;   in Loop: Header=BB257_522 Depth=1
	v_and_b32_e32 v53, 7, v1
	v_lshrrev_b32_e32 v55, 3, v56
	s_mov_b32 s31, exec_lo
	v_cmpx_gt_u32_e32 8, v56
; %bb.1014:                             ;   in Loop: Header=BB257_522 Depth=1
	v_ffbh_u32_e32 v12, v53
	v_min_u32_e32 v53, 32, v12
	v_subrev_nc_u32_e32 v12, 28, v53
	v_sub_nc_u32_e32 v55, 29, v53
	v_lshlrev_b64 v[12:13], v12, v[1:2]
	v_and_b32_e32 v53, 7, v12
; %bb.1015:                             ;   in Loop: Header=BB257_522 Depth=1
	s_or_b32 exec_lo, exec_lo, s31
	v_lshlrev_b32_e32 v1, 8, v1
	v_lshl_add_u32 v12, v55, 10, 0x2000
	v_and_or_b32 v1, 0x8000, v1, v12
	v_lshlrev_b32_e32 v12, 23, v53
	v_lshl_or_b32 v53, v1, 16, v12
.LBB257_1016:                           ;   in Loop: Header=BB257_522 Depth=1
	s_or_b32 exec_lo, exec_lo, s30
.LBB257_1017:                           ;   in Loop: Header=BB257_522 Depth=1
	s_or_b32 exec_lo, exec_lo, s29
.LBB257_1018:                           ;   in Loop: Header=BB257_522 Depth=1
	s_or_b32 exec_lo, exec_lo, s28
	v_mov_b32_e32 v1, v6
	v_cmp_ne_u16_sdwa s1, v6, v2 src0_sel:BYTE_0 src1_sel:DWORD
	v_mov_b32_e32 v55, 0
	v_mov_b32_e32 v56, 0
	s_and_saveexec_b32 s28, s1
	s_cbranch_execz .LBB257_1026
; %bb.1019:                             ;   in Loop: Header=BB257_522 Depth=1
	v_cmp_ne_u16_sdwa s1, v6, v17 src0_sel:BYTE_0 src1_sel:DWORD
	v_mov_b32_e32 v56, 0x8000
	s_and_saveexec_b32 s29, s1
	s_cbranch_execz .LBB257_1025
; %bb.1020:                             ;   in Loop: Header=BB257_522 Depth=1
	v_and_b32_e32 v58, 0x7f, v6
	v_mov_b32_e32 v56, 0x7c01
	s_mov_b32 s30, exec_lo
	v_cmpx_ne_u32_e32 0x7f, v58
	s_cbranch_execz .LBB257_1024
; %bb.1021:                             ;   in Loop: Header=BB257_522 Depth=1
	v_and_b32_e32 v56, 7, v6
	v_lshrrev_b32_e32 v57, 3, v58
	s_mov_b32 s31, exec_lo
	v_cmpx_gt_u32_e32 8, v58
; %bb.1022:                             ;   in Loop: Header=BB257_522 Depth=1
	v_ffbh_u32_e32 v12, v56
	v_min_u32_e32 v56, 32, v12
	v_subrev_nc_u32_e32 v12, 28, v56
	v_sub_nc_u32_e32 v57, 29, v56
	v_lshlrev_b64 v[12:13], v12, v[1:2]
	v_and_b32_e32 v56, 7, v12
; %bb.1023:                             ;   in Loop: Header=BB257_522 Depth=1
	s_or_b32 exec_lo, exec_lo, s31
	v_lshlrev_b32_e32 v12, 8, v6
	v_lshl_add_u32 v13, v57, 10, 0x2000
	v_lshlrev_b32_e32 v56, 7, v56
	v_and_b32_e32 v12, 0x8000, v12
	v_and_b32_e32 v13, 0xfc00, v13
	v_or3_b32 v56, v12, v13, v56
.LBB257_1024:                           ;   in Loop: Header=BB257_522 Depth=1
	s_or_b32 exec_lo, exec_lo, s30
.LBB257_1025:                           ;   in Loop: Header=BB257_522 Depth=1
	s_or_b32 exec_lo, exec_lo, s29
.LBB257_1026:                           ;   in Loop: Header=BB257_522 Depth=1
	s_or_b32 exec_lo, exec_lo, s28
	v_lshrrev_b16 v1, 8, v1
	v_mov_b32_e32 v57, 0
	s_mov_b32 s28, exec_lo
	v_cmpx_ne_u16_e32 0, v1
	s_cbranch_execz .LBB257_1034
; %bb.1027:                             ;   in Loop: Header=BB257_522 Depth=1
	v_bfrev_b32_e32 v57, 1
	s_mov_b32 s29, exec_lo
	v_cmpx_ne_u16_e32 0x80, v1
	s_cbranch_execz .LBB257_1033
; %bb.1028:                             ;   in Loop: Header=BB257_522 Depth=1
	v_and_b32_sdwa v59, v1, v27 dst_sel:DWORD dst_unused:UNUSED_PAD src0_sel:WORD_0 src1_sel:DWORD
	v_mov_b32_e32 v57, 0x7c010000
	s_mov_b32 s30, exec_lo
	v_cmpx_ne_u32_e32 0x7f, v59
	s_cbranch_execz .LBB257_1032
; %bb.1029:                             ;   in Loop: Header=BB257_522 Depth=1
	v_and_b32_sdwa v57, v1, v28 dst_sel:DWORD dst_unused:UNUSED_PAD src0_sel:WORD_0 src1_sel:DWORD
	v_lshrrev_b32_e32 v58, 3, v59
	s_mov_b32 s31, exec_lo
	v_cmpx_gt_u32_e32 8, v59
; %bb.1030:                             ;   in Loop: Header=BB257_522 Depth=1
	v_ffbh_u32_e32 v12, v57
	v_min_u32_e32 v57, 32, v12
	v_subrev_nc_u32_e32 v12, 28, v57
	v_sub_nc_u32_e32 v58, 29, v57
	v_lshlrev_b64 v[12:13], v12, v[1:2]
	v_and_b32_e32 v57, 7, v12
; %bb.1031:                             ;   in Loop: Header=BB257_522 Depth=1
	s_or_b32 exec_lo, exec_lo, s31
	v_lshlrev_b32_sdwa v1, v29, v1 dst_sel:DWORD dst_unused:UNUSED_PAD src0_sel:DWORD src1_sel:WORD_0
	v_lshl_add_u32 v12, v58, 10, 0x2000
	v_and_or_b32 v1, 0x8000, v1, v12
	v_lshlrev_b32_e32 v12, 23, v57
	v_lshl_or_b32 v57, v1, 16, v12
.LBB257_1032:                           ;   in Loop: Header=BB257_522 Depth=1
	s_or_b32 exec_lo, exec_lo, s30
.LBB257_1033:                           ;   in Loop: Header=BB257_522 Depth=1
	s_or_b32 exec_lo, exec_lo, s29
.LBB257_1034:                           ;   in Loop: Header=BB257_522 Depth=1
	s_or_b32 exec_lo, exec_lo, s28
	v_lshrrev_b32_e32 v1, 16, v6
	v_cmp_ne_u16_sdwa s1, v1, v2 src0_sel:BYTE_0 src1_sel:DWORD
	s_and_saveexec_b32 s28, s1
	s_cbranch_execz .LBB257_1042
; %bb.1035:                             ;   in Loop: Header=BB257_522 Depth=1
	v_cmp_ne_u16_sdwa s1, v1, v17 src0_sel:BYTE_0 src1_sel:DWORD
	v_mov_b32_e32 v55, 0x8000
	s_and_saveexec_b32 s29, s1
	s_cbranch_execz .LBB257_1041
; %bb.1036:                             ;   in Loop: Header=BB257_522 Depth=1
	v_bfe_u32 v59, v6, 16, 7
	v_mov_b32_e32 v55, 0x7c01
	s_mov_b32 s30, exec_lo
	v_cmpx_ne_u32_e32 0x7f, v59
	s_cbranch_execz .LBB257_1040
; %bb.1037:                             ;   in Loop: Header=BB257_522 Depth=1
	v_and_b32_e32 v55, 7, v1
	v_lshrrev_b32_e32 v58, 3, v59
	s_mov_b32 s31, exec_lo
	v_cmpx_gt_u32_e32 8, v59
; %bb.1038:                             ;   in Loop: Header=BB257_522 Depth=1
	v_ffbh_u32_e32 v12, v55
	v_min_u32_e32 v55, 32, v12
	v_subrev_nc_u32_e32 v12, 28, v55
	v_sub_nc_u32_e32 v58, 29, v55
	v_lshlrev_b64 v[12:13], v12, v[1:2]
	v_and_b32_e32 v55, 7, v12
; %bb.1039:                             ;   in Loop: Header=BB257_522 Depth=1
	s_or_b32 exec_lo, exec_lo, s31
	v_lshlrev_b32_e32 v1, 8, v1
	v_lshl_add_u32 v12, v58, 10, 0x2000
	v_lshlrev_b32_e32 v13, 7, v55
	v_and_b32_e32 v1, 0x8000, v1
	v_and_b32_e32 v12, 0xfc00, v12
	v_or3_b32 v55, v1, v12, v13
.LBB257_1040:                           ;   in Loop: Header=BB257_522 Depth=1
	s_or_b32 exec_lo, exec_lo, s30
.LBB257_1041:                           ;   in Loop: Header=BB257_522 Depth=1
	s_or_b32 exec_lo, exec_lo, s29
.LBB257_1042:                           ;   in Loop: Header=BB257_522 Depth=1
	s_or_b32 exec_lo, exec_lo, s28
	v_cmp_lt_u64_e64 s1, s[4:5], v[5:6]
	v_mov_b32_e32 v5, 0
	s_and_saveexec_b32 s28, s1
	s_cbranch_execz .LBB257_1050
; %bb.1043:                             ;   in Loop: Header=BB257_522 Depth=1
	v_lshrrev_b32_e32 v1, 24, v6
	v_bfrev_b32_e32 v5, 1
	s_mov_b32 s29, exec_lo
	v_cmpx_ne_u32_e32 0x80, v1
	s_cbranch_execz .LBB257_1049
; %bb.1044:                             ;   in Loop: Header=BB257_522 Depth=1
	v_and_b32_e32 v58, 0x7f, v1
	v_mov_b32_e32 v5, 0x7c010000
	s_mov_b32 s30, exec_lo
	v_cmpx_ne_u32_e32 0x7f, v58
	s_cbranch_execz .LBB257_1048
; %bb.1045:                             ;   in Loop: Header=BB257_522 Depth=1
	v_and_b32_e32 v5, 7, v1
	v_lshrrev_b32_e32 v6, 3, v58
	s_mov_b32 s31, exec_lo
	v_cmpx_gt_u32_e32 8, v58
; %bb.1046:                             ;   in Loop: Header=BB257_522 Depth=1
	v_ffbh_u32_e32 v5, v5
	v_min_u32_e32 v12, 32, v5
	v_subrev_nc_u32_e32 v5, 28, v12
	v_lshlrev_b64 v[5:6], v5, v[1:2]
	v_sub_nc_u32_e32 v6, 29, v12
	v_and_b32_e32 v5, 7, v5
; %bb.1047:                             ;   in Loop: Header=BB257_522 Depth=1
	s_or_b32 exec_lo, exec_lo, s31
	v_lshlrev_b32_e32 v1, 8, v1
	v_lshl_add_u32 v6, v6, 10, 0x2000
	v_lshlrev_b32_e32 v5, 23, v5
	v_and_or_b32 v1, 0x8000, v1, v6
	v_lshl_or_b32 v5, v1, 16, v5
.LBB257_1048:                           ;   in Loop: Header=BB257_522 Depth=1
	s_or_b32 exec_lo, exec_lo, s30
.LBB257_1049:                           ;   in Loop: Header=BB257_522 Depth=1
	s_or_b32 exec_lo, exec_lo, s29
.LBB257_1050:                           ;   in Loop: Header=BB257_522 Depth=1
	s_or_b32 exec_lo, exec_lo, s28
	v_or_b32_e32 v1, v53, v54
	s_waitcnt vmcnt(0)
	v_fma_mixlo_f16 v6, v50, v53, 0 op_sel:[0,1,0] op_sel_hi:[0,1,0]
	v_or_b32_e32 v12, v51, v52
	v_fma_mixlo_f16 v13, v50, v51, 0 op_sel:[0,1,0] op_sel_hi:[0,1,0]
	v_or_b32_e32 v54, v57, v56
	v_fma_mixlo_f16 v1, v50, v1, 0 op_sel_hi:[0,1,0]
	v_or_b32_e32 v55, v5, v55
	v_lshlrev_b32_e32 v51, 16, v6
	v_lshlrev_b32_e32 v53, 16, v13
	v_fma_mixlo_f16 v6, v50, v12, 0 op_sel_hi:[0,1,0]
	v_and_b32_e32 v52, 0xffff, v1
	v_fma_mixlo_f16 v1, v50, v57, 0 op_sel:[0,1,0] op_sel_hi:[0,1,0]
	v_fma_mixlo_f16 v12, v50, v54, 0 op_sel_hi:[0,1,0]
	v_fma_mixlo_f16 v13, v50, v5, 0 op_sel:[0,1,0] op_sel_hi:[0,1,0]
	v_fma_mixlo_f16 v54, v50, v55, 0 op_sel_hi:[0,1,0]
	v_and_b32_e32 v58, 0xffff, v6
	v_lshlrev_b32_e32 v5, 16, v1
	v_and_b32_e32 v50, 0xffff, v12
	v_lshlrev_b32_e32 v1, 16, v13
	v_and_b32_e32 v6, 0xffff, v54
	v_or_b32_e32 v56, v51, v52
	v_or_b32_e32 v57, v53, v58
	;; [unrolled: 1-line block ×4, first 2 shown]
	s_and_saveexec_b32 s1, s0
	s_cbranch_execz .LBB257_519
; %bb.1051:                             ;   in Loop: Header=BB257_522 Depth=1
	v_add_nc_u32_e32 v12, 1, v35
	v_cmp_gt_i32_e64 s0, s33, v35
	v_add_nc_u32_e32 v13, 2, v35
	v_add_nc_u32_e32 v55, 3, v35
	v_cndmask_b32_e64 v54, 0, v58, s0
	v_cmp_gt_i32_e64 s0, s33, v12
	v_cndmask_b32_e64 v12, 0, v53, s0
	v_cmp_gt_i32_e64 s0, s33, v13
	v_add_nc_u32_e32 v53, 5, v35
	v_or_b32_e32 v57, v12, v54
	v_cndmask_b32_e64 v13, 0, v52, s0
	v_add_nc_u32_e32 v52, 4, v35
	v_cmp_gt_i32_e64 s0, s33, v55
	v_add_nc_u32_e32 v55, 6, v35
	v_add_nc_u32_e32 v35, 7, v35
	v_cndmask_b32_e64 v51, 0, v51, s0
	v_cmp_gt_i32_e64 s0, s33, v52
	v_or_b32_e32 v56, v51, v13
	v_cndmask_b32_e64 v50, 0, v50, s0
	v_cmp_gt_i32_e64 s0, s33, v53
	v_cndmask_b32_e64 v5, 0, v5, s0
	v_cmp_gt_i32_e64 s0, s33, v55
	v_or_b32_e32 v55, v5, v50
	v_cndmask_b32_e64 v6, 0, v6, s0
	v_cmp_gt_i32_e64 s0, s33, v35
	v_cndmask_b32_e64 v1, 0, v1, s0
	v_or_b32_e32 v54, v1, v6
	s_branch .LBB257_519
.LBB257_1052:
	s_or_b32 exec_lo, exec_lo, s22
	v_mov_b32_e32 v27, v60
.LBB257_1053:
	s_or_b32 exec_lo, exec_lo, s12
	ds_bpermute_b32 v1, v16, v25
	ds_bpermute_b32 v2, v16, v24
	;; [unrolled: 1-line block ×8, first 2 shown]
	s_movk_i32 s0, 0x1e0
	v_and_b32_e32 v16, 0x3c0, v0
	v_mad_u32_u24 v9, v127, s0, 0x110
	s_mov_b32 s1, exec_lo
	v_cmp_eq_u32_e32 vcc_lo, 0, v27
	s_waitcnt lgkmcnt(0)
	s_barrier
	buffer_gl0_inv
	v_add_f32_e32 v8, v25, v1
	v_add_f32_e32 v7, v24, v2
	;; [unrolled: 1-line block ×8, first 2 shown]
	v_cmpx_eq_u32_e32 64, v16
	s_cbranch_execz .LBB257_1058
; %bb.1054:
	v_add_nc_u32_e32 v10, 0xfffffc40, v9
	s_and_saveexec_b32 s0, vcc_lo
	s_cbranch_execz .LBB257_1056
; %bb.1055:
	v_lshl_add_u32 v12, v15, 2, v10
	ds_write2_b32 v12, v8, v7 offset1:16
	ds_write2_b32 v12, v6, v5 offset0:32 offset1:48
	ds_write2_b32 v12, v4, v3 offset0:64 offset1:80
	ds_write_b32 v12, v2 offset:384
.LBB257_1056:
	s_or_b32 exec_lo, exec_lo, s0
	v_or_b32_e32 v12, 0x70, v15
	v_cmp_gt_u32_e64 s0, 0x78, v12
	s_and_b32 s0, vcc_lo, s0
	s_and_b32 exec_lo, exec_lo, s0
; %bb.1057:
	v_lshl_add_u32 v10, v12, 2, v10
	ds_write_b32 v10, v1
.LBB257_1058:
	s_or_b32 exec_lo, exec_lo, s1
	s_mov_b32 s1, exec_lo
	s_waitcnt lgkmcnt(0)
	s_barrier
	buffer_gl0_inv
	v_cmpx_gt_u32_e32 64, v0
	s_cbranch_execz .LBB257_1070
; %bb.1059:
	s_and_saveexec_b32 s0, vcc_lo
	s_cbranch_execnz .LBB257_1105
; %bb.1060:
	s_or_b32 exec_lo, exec_lo, s0
	s_and_saveexec_b32 s0, vcc_lo
	s_cbranch_execnz .LBB257_1106
.LBB257_1061:
	s_or_b32 exec_lo, exec_lo, s0
	s_and_saveexec_b32 s0, vcc_lo
	s_cbranch_execnz .LBB257_1107
.LBB257_1062:
	s_or_b32 exec_lo, exec_lo, s0
	s_and_saveexec_b32 s0, vcc_lo
	s_cbranch_execnz .LBB257_1108
.LBB257_1063:
	s_or_b32 exec_lo, exec_lo, s0
	s_and_saveexec_b32 s0, vcc_lo
	s_cbranch_execnz .LBB257_1109
.LBB257_1064:
	s_or_b32 exec_lo, exec_lo, s0
	s_and_saveexec_b32 s0, vcc_lo
	s_cbranch_execnz .LBB257_1110
.LBB257_1065:
	s_or_b32 exec_lo, exec_lo, s0
	s_and_saveexec_b32 s0, vcc_lo
	s_cbranch_execz .LBB257_1067
.LBB257_1066:
	v_lshl_add_u32 v10, v15, 2, v9
	ds_read_b32 v10, v10 offset:384
	s_waitcnt lgkmcnt(0)
	v_add_f32_e32 v2, v2, v10
.LBB257_1067:
	s_or_b32 exec_lo, exec_lo, s0
	v_or_b32_e32 v10, 0x70, v15
	v_cmp_gt_u32_e64 s0, 0x78, v10
	s_and_b32 s2, vcc_lo, s0
	s_and_saveexec_b32 s0, s2
	s_cbranch_execz .LBB257_1069
; %bb.1068:
	v_lshl_add_u32 v10, v15, 2, v9
	ds_read_b32 v10, v10 offset:448
	s_waitcnt lgkmcnt(0)
	v_add_f32_e32 v1, v1, v10
.LBB257_1069:
	s_or_b32 exec_lo, exec_lo, s0
.LBB257_1070:
	s_or_b32 exec_lo, exec_lo, s1
	v_and_b32_e32 v10, 0x3e0, v0
	s_mov_b32 s1, exec_lo
	s_barrier
	buffer_gl0_inv
	v_cmpx_eq_u32_e32 32, v10
	s_cbranch_execz .LBB257_1075
; %bb.1071:
	v_lshl_add_u32 v10, v15, 2, 0x110
	s_and_saveexec_b32 s0, vcc_lo
	s_cbranch_execz .LBB257_1073
; %bb.1072:
	ds_write2_b32 v10, v8, v7 offset1:16
	ds_write2_b32 v10, v6, v5 offset0:32 offset1:48
	ds_write2_b32 v10, v4, v3 offset0:64 offset1:80
	ds_write_b32 v10, v2 offset:384
.LBB257_1073:
	s_or_b32 exec_lo, exec_lo, s0
	v_or_b32_e32 v12, 0x70, v15
	v_cmp_gt_u32_e64 s0, 0x78, v12
	s_and_b32 s0, vcc_lo, s0
	s_and_b32 exec_lo, exec_lo, s0
; %bb.1074:
	ds_write_b32 v10, v1 offset:448
.LBB257_1075:
	s_or_b32 exec_lo, exec_lo, s1
	v_cmp_gt_u32_e64 s0, 32, v0
	s_waitcnt lgkmcnt(0)
	s_barrier
	buffer_gl0_inv
	s_and_saveexec_b32 s2, s0
	s_cbranch_execz .LBB257_1087
; %bb.1076:
	v_lshl_add_u32 v0, v15, 2, v9
	s_and_saveexec_b32 s1, vcc_lo
	s_cbranch_execnz .LBB257_1111
; %bb.1077:
	s_or_b32 exec_lo, exec_lo, s1
	s_and_saveexec_b32 s1, vcc_lo
	s_cbranch_execnz .LBB257_1112
.LBB257_1078:
	s_or_b32 exec_lo, exec_lo, s1
	s_and_saveexec_b32 s1, vcc_lo
	s_cbranch_execnz .LBB257_1113
.LBB257_1079:
	s_or_b32 exec_lo, exec_lo, s1
	s_and_saveexec_b32 s1, vcc_lo
	s_cbranch_execnz .LBB257_1114
.LBB257_1080:
	s_or_b32 exec_lo, exec_lo, s1
	s_and_saveexec_b32 s1, vcc_lo
	s_cbranch_execnz .LBB257_1115
.LBB257_1081:
	s_or_b32 exec_lo, exec_lo, s1
	s_and_saveexec_b32 s1, vcc_lo
	s_cbranch_execnz .LBB257_1116
.LBB257_1082:
	s_or_b32 exec_lo, exec_lo, s1
	s_and_saveexec_b32 s1, vcc_lo
	s_cbranch_execz .LBB257_1084
.LBB257_1083:
	ds_read_b32 v9, v0 offset:384
	s_waitcnt lgkmcnt(0)
	v_add_f32_e32 v2, v2, v9
.LBB257_1084:
	s_or_b32 exec_lo, exec_lo, s1
	v_or_b32_e32 v9, 0x70, v15
	v_cmp_gt_u32_e64 s1, 0x78, v9
	s_and_b32 s3, vcc_lo, s1
	s_and_saveexec_b32 s1, s3
	s_cbranch_execz .LBB257_1086
; %bb.1085:
	ds_read_b32 v0, v0 offset:448
	s_waitcnt lgkmcnt(0)
	v_add_f32_e32 v1, v1, v0
.LBB257_1086:
	s_or_b32 exec_lo, exec_lo, s1
.LBB257_1087:
	s_or_b32 exec_lo, exec_lo, s2
	s_barrier
	buffer_gl0_inv
	s_and_saveexec_b32 s1, s0
	s_cbranch_execz .LBB257_1104
; %bb.1088:
	s_mul_i32 s0, s10, s11
	s_mul_i32 s2, s11, s24
	;; [unrolled: 1-line block ×3, first 2 shown]
	v_lshlrev_b32_e32 v0, 1, v11
	s_mulk_i32 s0, 0x78
	s_ashr_i32 s1, s0, 31
	s_lshl_b64 s[0:1], s[0:1], 1
	s_add_u32 s4, s6, s0
	s_addc_u32 s5, s7, s1
	s_ashr_i32 s3, s2, 31
	s_lshl_b64 s[0:1], s[2:3], 1
	s_mul_i32 s2, s8, 0x78
	s_add_u32 s4, s4, s0
	s_addc_u32 s5, s5, s1
	s_ashr_i32 s3, s2, 31
	s_lshl_b64 s[0:1], s[2:3], 1
	s_add_u32 s2, s4, s0
	s_addc_u32 s3, s5, s1
	s_and_saveexec_b32 s0, vcc_lo
	s_cbranch_execz .LBB257_1090
; %bb.1089:
	;;#ASMSTART
	v_cvt_f16_f32 v8, v8;

	;;#ASMEND
	global_store_short v0, v8, s[2:3]
.LBB257_1090:
	s_or_b32 exec_lo, exec_lo, s0
	v_or_b32_e32 v8, 16, v11
	v_cmp_gt_u32_e64 s0, 0x78, v8
	s_and_b32 s1, vcc_lo, s0
	s_and_saveexec_b32 s0, s1
	s_cbranch_execz .LBB257_1092
; %bb.1091:
	;;#ASMSTART
	v_cvt_f16_f32 v7, v7;

	;;#ASMEND
	global_store_short v0, v7, s[2:3] offset:32
.LBB257_1092:
	s_or_b32 exec_lo, exec_lo, s0
	v_or_b32_e32 v7, 32, v11
	v_cmp_gt_u32_e64 s0, 0x78, v7
	s_and_b32 s1, vcc_lo, s0
	s_and_saveexec_b32 s0, s1
	s_cbranch_execz .LBB257_1094
; %bb.1093:
	;;#ASMSTART
	v_cvt_f16_f32 v6, v6;

	;;#ASMEND
	global_store_short v0, v6, s[2:3] offset:64
.LBB257_1094:
	;; [unrolled: 13-line block ×6, first 2 shown]
	s_or_b32 exec_lo, exec_lo, s0
	v_or_b32_e32 v2, 0x70, v11
	v_cmp_gt_u32_e64 s0, 0x78, v2
	s_and_b32 s0, vcc_lo, s0
	s_and_b32 exec_lo, exec_lo, s0
	s_cbranch_execz .LBB257_1104
; %bb.1103:
	;;#ASMSTART
	v_cvt_f16_f32 v1, v1;

	;;#ASMEND
	global_store_short v0, v1, s[2:3] offset:224
.LBB257_1104:
	s_endpgm
.LBB257_1105:
	v_lshl_add_u32 v10, v15, 2, v9
	ds_read_b32 v10, v10
	s_waitcnt lgkmcnt(0)
	v_add_f32_e32 v8, v8, v10
	s_or_b32 exec_lo, exec_lo, s0
	s_and_saveexec_b32 s0, vcc_lo
	s_cbranch_execz .LBB257_1061
.LBB257_1106:
	v_lshl_add_u32 v10, v15, 2, v9
	ds_read_b32 v10, v10 offset:64
	s_waitcnt lgkmcnt(0)
	v_add_f32_e32 v7, v7, v10
	s_or_b32 exec_lo, exec_lo, s0
	s_and_saveexec_b32 s0, vcc_lo
	s_cbranch_execz .LBB257_1062
.LBB257_1107:
	v_lshl_add_u32 v10, v15, 2, v9
	ds_read_b32 v10, v10 offset:128
	s_waitcnt lgkmcnt(0)
	v_add_f32_e32 v6, v6, v10
	s_or_b32 exec_lo, exec_lo, s0
	s_and_saveexec_b32 s0, vcc_lo
	s_cbranch_execz .LBB257_1063
.LBB257_1108:
	v_lshl_add_u32 v10, v15, 2, v9
	ds_read_b32 v10, v10 offset:192
	s_waitcnt lgkmcnt(0)
	v_add_f32_e32 v5, v5, v10
	s_or_b32 exec_lo, exec_lo, s0
	s_and_saveexec_b32 s0, vcc_lo
	s_cbranch_execz .LBB257_1064
.LBB257_1109:
	v_lshl_add_u32 v10, v15, 2, v9
	ds_read_b32 v10, v10 offset:256
	s_waitcnt lgkmcnt(0)
	v_add_f32_e32 v4, v4, v10
	s_or_b32 exec_lo, exec_lo, s0
	s_and_saveexec_b32 s0, vcc_lo
	s_cbranch_execz .LBB257_1065
.LBB257_1110:
	v_lshl_add_u32 v10, v15, 2, v9
	ds_read_b32 v10, v10 offset:320
	s_waitcnt lgkmcnt(0)
	v_add_f32_e32 v3, v3, v10
	s_or_b32 exec_lo, exec_lo, s0
	s_and_saveexec_b32 s0, vcc_lo
	s_cbranch_execnz .LBB257_1066
	s_branch .LBB257_1067
.LBB257_1111:
	ds_read_b32 v9, v0
	s_waitcnt lgkmcnt(0)
	v_add_f32_e32 v8, v8, v9
	s_or_b32 exec_lo, exec_lo, s1
	s_and_saveexec_b32 s1, vcc_lo
	s_cbranch_execz .LBB257_1078
.LBB257_1112:
	ds_read_b32 v9, v0 offset:64
	s_waitcnt lgkmcnt(0)
	v_add_f32_e32 v7, v7, v9
	s_or_b32 exec_lo, exec_lo, s1
	s_and_saveexec_b32 s1, vcc_lo
	s_cbranch_execz .LBB257_1079
.LBB257_1113:
	ds_read_b32 v9, v0 offset:128
	s_waitcnt lgkmcnt(0)
	v_add_f32_e32 v6, v6, v9
	s_or_b32 exec_lo, exec_lo, s1
	s_and_saveexec_b32 s1, vcc_lo
	s_cbranch_execz .LBB257_1080
.LBB257_1114:
	ds_read_b32 v9, v0 offset:192
	s_waitcnt lgkmcnt(0)
	v_add_f32_e32 v5, v5, v9
	s_or_b32 exec_lo, exec_lo, s1
	s_and_saveexec_b32 s1, vcc_lo
	s_cbranch_execz .LBB257_1081
.LBB257_1115:
	ds_read_b32 v9, v0 offset:256
	s_waitcnt lgkmcnt(0)
	v_add_f32_e32 v4, v4, v9
	s_or_b32 exec_lo, exec_lo, s1
	s_and_saveexec_b32 s1, vcc_lo
	s_cbranch_execz .LBB257_1082
.LBB257_1116:
	ds_read_b32 v9, v0 offset:320
	s_waitcnt lgkmcnt(0)
	v_add_f32_e32 v3, v3, v9
	s_or_b32 exec_lo, exec_lo, s1
	s_and_saveexec_b32 s1, vcc_lo
	s_cbranch_execnz .LBB257_1083
	s_branch .LBB257_1084
	.section	.rodata,"a",@progbits
	.p2align	6, 0x0
	.amdhsa_kernel _ZN4vllm25paged_attention_v1_kernelIthLi120ELi16ELi128ELNS_18Fp8KVCacheDataTypeE1ELb1EEEvPT_PKS2_PKT0_S8_ifPKiSA_iPKfiiiSC_SC_iiiii
		.amdhsa_group_segment_fixed_size 272
		.amdhsa_private_segment_fixed_size 0
		.amdhsa_kernarg_size 384
		.amdhsa_user_sgpr_count 6
		.amdhsa_user_sgpr_private_segment_buffer 1
		.amdhsa_user_sgpr_dispatch_ptr 0
		.amdhsa_user_sgpr_queue_ptr 0
		.amdhsa_user_sgpr_kernarg_segment_ptr 1
		.amdhsa_user_sgpr_dispatch_id 0
		.amdhsa_user_sgpr_flat_scratch_init 0
		.amdhsa_user_sgpr_private_segment_size 0
		.amdhsa_wavefront_size32 1
		.amdhsa_uses_dynamic_stack 0
		.amdhsa_system_sgpr_private_segment_wavefront_offset 0
		.amdhsa_system_sgpr_workgroup_id_x 1
		.amdhsa_system_sgpr_workgroup_id_y 1
		.amdhsa_system_sgpr_workgroup_id_z 1
		.amdhsa_system_sgpr_workgroup_info 0
		.amdhsa_system_vgpr_workitem_id 0
		.amdhsa_next_free_vgpr 128
		.amdhsa_next_free_sgpr 44
		.amdhsa_reserve_vcc 1
		.amdhsa_reserve_flat_scratch 0
		.amdhsa_float_round_mode_32 0
		.amdhsa_float_round_mode_16_64 0
		.amdhsa_float_denorm_mode_32 3
		.amdhsa_float_denorm_mode_16_64 3
		.amdhsa_dx10_clamp 1
		.amdhsa_ieee_mode 1
		.amdhsa_fp16_overflow 0
		.amdhsa_workgroup_processor_mode 1
		.amdhsa_memory_ordered 1
		.amdhsa_forward_progress 1
		.amdhsa_shared_vgpr_count 0
		.amdhsa_exception_fp_ieee_invalid_op 0
		.amdhsa_exception_fp_denorm_src 0
		.amdhsa_exception_fp_ieee_div_zero 0
		.amdhsa_exception_fp_ieee_overflow 0
		.amdhsa_exception_fp_ieee_underflow 0
		.amdhsa_exception_fp_ieee_inexact 0
		.amdhsa_exception_int_div_zero 0
	.end_amdhsa_kernel
	.section	.text._ZN4vllm25paged_attention_v1_kernelIthLi120ELi16ELi128ELNS_18Fp8KVCacheDataTypeE1ELb1EEEvPT_PKS2_PKT0_S8_ifPKiSA_iPKfiiiSC_SC_iiiii,"axG",@progbits,_ZN4vllm25paged_attention_v1_kernelIthLi120ELi16ELi128ELNS_18Fp8KVCacheDataTypeE1ELb1EEEvPT_PKS2_PKT0_S8_ifPKiSA_iPKfiiiSC_SC_iiiii,comdat
.Lfunc_end257:
	.size	_ZN4vllm25paged_attention_v1_kernelIthLi120ELi16ELi128ELNS_18Fp8KVCacheDataTypeE1ELb1EEEvPT_PKS2_PKT0_S8_ifPKiSA_iPKfiiiSC_SC_iiiii, .Lfunc_end257-_ZN4vllm25paged_attention_v1_kernelIthLi120ELi16ELi128ELNS_18Fp8KVCacheDataTypeE1ELb1EEEvPT_PKS2_PKT0_S8_ifPKiSA_iPKfiiiSC_SC_iiiii
                                        ; -- End function
	.set _ZN4vllm25paged_attention_v1_kernelIthLi120ELi16ELi128ELNS_18Fp8KVCacheDataTypeE1ELb1EEEvPT_PKS2_PKT0_S8_ifPKiSA_iPKfiiiSC_SC_iiiii.num_vgpr, 128
	.set _ZN4vllm25paged_attention_v1_kernelIthLi120ELi16ELi128ELNS_18Fp8KVCacheDataTypeE1ELb1EEEvPT_PKS2_PKT0_S8_ifPKiSA_iPKfiiiSC_SC_iiiii.num_agpr, 0
	.set _ZN4vllm25paged_attention_v1_kernelIthLi120ELi16ELi128ELNS_18Fp8KVCacheDataTypeE1ELb1EEEvPT_PKS2_PKT0_S8_ifPKiSA_iPKfiiiSC_SC_iiiii.numbered_sgpr, 44
	.set _ZN4vllm25paged_attention_v1_kernelIthLi120ELi16ELi128ELNS_18Fp8KVCacheDataTypeE1ELb1EEEvPT_PKS2_PKT0_S8_ifPKiSA_iPKfiiiSC_SC_iiiii.num_named_barrier, 0
	.set _ZN4vllm25paged_attention_v1_kernelIthLi120ELi16ELi128ELNS_18Fp8KVCacheDataTypeE1ELb1EEEvPT_PKS2_PKT0_S8_ifPKiSA_iPKfiiiSC_SC_iiiii.private_seg_size, 0
	.set _ZN4vllm25paged_attention_v1_kernelIthLi120ELi16ELi128ELNS_18Fp8KVCacheDataTypeE1ELb1EEEvPT_PKS2_PKT0_S8_ifPKiSA_iPKfiiiSC_SC_iiiii.uses_vcc, 1
	.set _ZN4vllm25paged_attention_v1_kernelIthLi120ELi16ELi128ELNS_18Fp8KVCacheDataTypeE1ELb1EEEvPT_PKS2_PKT0_S8_ifPKiSA_iPKfiiiSC_SC_iiiii.uses_flat_scratch, 0
	.set _ZN4vllm25paged_attention_v1_kernelIthLi120ELi16ELi128ELNS_18Fp8KVCacheDataTypeE1ELb1EEEvPT_PKS2_PKT0_S8_ifPKiSA_iPKfiiiSC_SC_iiiii.has_dyn_sized_stack, 0
	.set _ZN4vllm25paged_attention_v1_kernelIthLi120ELi16ELi128ELNS_18Fp8KVCacheDataTypeE1ELb1EEEvPT_PKS2_PKT0_S8_ifPKiSA_iPKfiiiSC_SC_iiiii.has_recursion, 0
	.set _ZN4vllm25paged_attention_v1_kernelIthLi120ELi16ELi128ELNS_18Fp8KVCacheDataTypeE1ELb1EEEvPT_PKS2_PKT0_S8_ifPKiSA_iPKfiiiSC_SC_iiiii.has_indirect_call, 0
	.section	.AMDGPU.csdata,"",@progbits
; Kernel info:
; codeLenInByte = 36320
; TotalNumSgprs: 46
; NumVgprs: 128
; ScratchSize: 0
; MemoryBound: 0
; FloatMode: 240
; IeeeMode: 1
; LDSByteSize: 272 bytes/workgroup (compile time only)
; SGPRBlocks: 0
; VGPRBlocks: 15
; NumSGPRsForWavesPerEU: 46
; NumVGPRsForWavesPerEU: 128
; Occupancy: 8
; WaveLimiterHint : 1
; COMPUTE_PGM_RSRC2:SCRATCH_EN: 0
; COMPUTE_PGM_RSRC2:USER_SGPR: 6
; COMPUTE_PGM_RSRC2:TRAP_HANDLER: 0
; COMPUTE_PGM_RSRC2:TGID_X_EN: 1
; COMPUTE_PGM_RSRC2:TGID_Y_EN: 1
; COMPUTE_PGM_RSRC2:TGID_Z_EN: 1
; COMPUTE_PGM_RSRC2:TIDIG_COMP_CNT: 0
	.section	.text._ZN4vllm25paged_attention_v1_kernelIthLi128ELi16ELi128ELNS_18Fp8KVCacheDataTypeE1ELb1EEEvPT_PKS2_PKT0_S8_ifPKiSA_iPKfiiiSC_SC_iiiii,"axG",@progbits,_ZN4vllm25paged_attention_v1_kernelIthLi128ELi16ELi128ELNS_18Fp8KVCacheDataTypeE1ELb1EEEvPT_PKS2_PKT0_S8_ifPKiSA_iPKfiiiSC_SC_iiiii,comdat
	.protected	_ZN4vllm25paged_attention_v1_kernelIthLi128ELi16ELi128ELNS_18Fp8KVCacheDataTypeE1ELb1EEEvPT_PKS2_PKT0_S8_ifPKiSA_iPKfiiiSC_SC_iiiii ; -- Begin function _ZN4vllm25paged_attention_v1_kernelIthLi128ELi16ELi128ELNS_18Fp8KVCacheDataTypeE1ELb1EEEvPT_PKS2_PKT0_S8_ifPKiSA_iPKfiiiSC_SC_iiiii
	.globl	_ZN4vllm25paged_attention_v1_kernelIthLi128ELi16ELi128ELNS_18Fp8KVCacheDataTypeE1ELb1EEEvPT_PKS2_PKT0_S8_ifPKiSA_iPKfiiiSC_SC_iiiii
	.p2align	8
	.type	_ZN4vllm25paged_attention_v1_kernelIthLi128ELi16ELi128ELNS_18Fp8KVCacheDataTypeE1ELb1EEEvPT_PKS2_PKT0_S8_ifPKiSA_iPKfiiiSC_SC_iiiii,@function
_ZN4vllm25paged_attention_v1_kernelIthLi128ELi16ELi128ELNS_18Fp8KVCacheDataTypeE1ELb1EEEvPT_PKS2_PKT0_S8_ifPKiSA_iPKfiiiSC_SC_iiiii: ; @_ZN4vllm25paged_attention_v1_kernelIthLi128ELi16ELi128ELNS_18Fp8KVCacheDataTypeE1ELb1EEEvPT_PKS2_PKT0_S8_ifPKiSA_iPKfiiiSC_SC_iiiii
; %bb.0:
	s_mov_b64 s[50:51], s[2:3]
	s_mov_b64 s[48:49], s[0:1]
	s_mov_b32 s10, s7
	s_add_u32 s48, s48, s9
	s_clause 0x2
	s_load_dword s9, s[4:5], 0x80
	s_load_dwordx2 s[0:1], s[4:5], 0x30
	s_load_dwordx2 s[34:35], s[4:5], 0x20
	s_addc_u32 s49, s49, 0
	s_ashr_i32 s11, s7, 31
	s_mov_b32 s36, 0
	s_lshl_b64 s[2:3], s[10:11], 2
	s_waitcnt lgkmcnt(0)
	s_add_u32 s0, s0, s2
	s_addc_u32 s1, s1, s3
	s_abs_i32 s2, s34
	s_abs_i32 s11, s9
	v_cvt_f32_u32_e32 v1, s2
	s_sub_i32 s7, 0, s2
	v_rcp_iflag_f32_e32 v1, v1
	v_mul_f32_e32 v1, 0x4f7ffffe, v1
	v_cvt_u32_f32_e32 v1, v1
	v_readfirstlane_b32 s3, v1
	s_mul_i32 s7, s7, s3
	s_mul_hi_u32 s7, s3, s7
	s_add_i32 s3, s3, s7
	s_xor_b32 s7, s9, s34
	s_mul_hi_u32 s3, s11, s3
	s_ashr_i32 s7, s7, 31
	s_mul_i32 s12, s3, s2
	s_sub_i32 s11, s11, s12
	s_add_i32 s12, s3, 1
	s_sub_i32 s13, s11, s2
	s_cmp_ge_u32 s11, s2
	s_cselect_b32 s3, s12, s3
	s_cselect_b32 s11, s13, s11
	s_add_i32 s12, s3, 1
	s_cmp_ge_u32 s11, s2
	s_cselect_b32 s2, s12, s3
	s_xor_b32 s2, s2, s7
	s_sub_i32 s14, s2, s7
	s_load_dwordx2 s[2:3], s[4:5], 0x40
	s_abs_i32 s11, s14
	v_cvt_f32_u32_e32 v1, s11
	s_sub_i32 s12, 0, s11
	v_rcp_iflag_f32_e32 v1, v1
	v_mul_f32_e32 v1, 0x4f7ffffe, v1
	v_cvt_u32_f32_e32 v1, v1
	v_readfirstlane_b32 s7, v1
	s_mul_i32 s12, s12, s7
	s_mul_hi_u32 s13, s7, s12
	s_abs_i32 s12, s6
	s_add_i32 s7, s7, s13
	s_waitcnt lgkmcnt(0)
	s_cmp_eq_u64 s[2:3], 0
	s_mul_hi_u32 s13, s12, s7
	s_cbranch_scc1 .LBB258_2
; %bb.1:
	s_ashr_i32 s7, s6, 31
	s_lshl_b64 s[16:17], s[6:7], 2
	s_add_u32 s2, s2, s16
	s_addc_u32 s3, s3, s17
	s_load_dword s36, s[2:3], 0x0
.LBB258_2:
	s_load_dword s33, s[0:1], 0x0
	s_load_dwordx4 s[16:19], s[4:5], 0x48
	v_lshrrev_b32_e32 v4, 1, v0
	v_and_b32_e32 v27, 1, v0
	v_cmp_gt_u32_e64 s0, 32, v0
	v_lshlrev_b32_e32 v10, 3, v0
	s_ashr_i32 s1, s6, 31
	s_ashr_i32 s2, s14, 31
	s_lshl_b32 s24, s6, 7
	s_and_saveexec_b32 s3, s0
	s_cbranch_execz .LBB258_4
; %bb.3:
	s_load_dwordx2 s[14:15], s[4:5], 0x8
	s_waitcnt lgkmcnt(0)
	s_mul_i32 s20, s16, s10
	v_lshlrev_b32_e32 v3, 3, v4
	s_ashr_i32 s21, s20, 31
	s_lshl_b64 s[20:21], s[20:21], 1
	v_lshl_add_u32 v3, v27, 7, v3
	s_add_u32 s7, s14, s20
	s_addc_u32 s16, s15, s21
	s_ashr_i32 s25, s24, 31
	s_lshl_b64 s[14:15], s[24:25], 1
	s_add_u32 s14, s7, s14
	s_addc_u32 s15, s16, s15
	global_load_dwordx2 v[1:2], v10, s[14:15]
	s_waitcnt vmcnt(0)
	ds_write_b64 v3, v[1:2]
.LBB258_4:
	s_or_b32 exec_lo, exec_lo, s3
	s_load_dwordx4 s[20:23], s[4:5], 0x68
	s_mul_i32 s3, s13, s11
	s_xor_b32 s2, s1, s2
	s_sub_i32 s1, s12, s3
	s_add_i32 s3, s13, 1
	s_sub_i32 s7, s1, s11
	s_cmp_ge_u32 s1, s11
	s_waitcnt lgkmcnt(0)
	s_cselect_b32 s3, s3, s13
	s_cselect_b32 s1, s7, s1
	s_add_i32 s7, s3, 1
	s_cmp_ge_u32 s1, s11
	s_load_dword s1, s[4:5], 0x78
	s_cselect_b32 s3, s7, s3
	s_add_i32 s7, s33, -1
	s_xor_b32 s3, s3, s2
	s_abs_i32 s11, s7
	s_sub_i32 s2, s3, s2
	s_mov_b32 s13, -1
	s_barrier
	s_abs_i32 s16, s23
	s_waitcnt lgkmcnt(0)
	buffer_gl0_inv
	v_cvt_f32_u32_e32 v1, s16
	s_sub_i32 s3, 0, s16
                                        ; implicit-def: $sgpr25
	v_rcp_iflag_f32_e32 v1, v1
	v_mul_f32_e32 v1, 0x4f7ffffe, v1
	v_cvt_u32_f32_e32 v1, v1
	v_readfirstlane_b32 s19, v1
	s_mul_i32 s3, s3, s19
	s_mul_hi_u32 s3, s19, s3
	s_add_i32 s19, s19, s3
	s_cmp_lt_i32 s1, 0
	s_mul_hi_u32 s3, s11, s19
	s_cbranch_scc0 .LBB258_6
; %bb.5:
	s_mul_i32 s12, s20, s34
	s_mov_b32 s13, 0
	s_add_i32 s12, s2, s12
	s_mul_i32 s12, s12, s1
	s_sub_i32 s25, 1, s12
.LBB258_6:
	s_load_dwordx2 s[26:27], s[4:5], 0x28
	s_ashr_i32 s12, s7, 31
	s_andn2_b32 vcc_lo, exec_lo, s13
	s_ashr_i32 s23, s23, 31
	s_cbranch_vccnz .LBB258_8
; %bb.7:
	s_mul_i32 s7, s9, s20
	s_add_i32 s6, s7, s6
	s_mul_i32 s1, s6, s1
	s_add_i32 s25, s1, 1
.LBB258_8:
	buffer_store_dword v4, off, s[48:51], 0 ; 4-byte Folded Spill
	s_clause 0x2
	s_load_dword s1, s[4:5], 0x38
	s_load_dwordx2 s[6:7], s[4:5], 0x0
	s_load_dwordx2 s[30:31], s[4:5], 0x18
	s_xor_b32 s34, s12, s23
	s_mul_i32 s12, s3, s16
	s_add_i32 s20, s3, 1
	s_sub_i32 s37, s11, s12
	s_clause 0x1
	s_load_dword s11, s[4:5], 0x88
	s_load_dwordx4 s[12:15], s[4:5], 0x58
	v_lshrrev_b32_e32 v13, 5, v0
	v_mov_b32_e32 v19, 0xff7fffff
	v_lshrrev_b32_e32 v12, 3, v0
	v_mbcnt_lo_u32_b32 v16, -1, 0
	s_mul_i32 s18, s2, s18
	v_lshlrev_b32_e32 v14, 4, v13
	s_waitcnt lgkmcnt(0)
	s_mul_i32 s28, s1, s10
	s_sub_i32 s1, s37, s16
	s_ashr_i32 s29, s28, 31
	s_cmp_ge_u32 s37, s16
	s_cselect_b32 s3, s20, s3
	s_cselect_b32 s1, s1, s37
	s_add_i32 s20, s3, 1
	s_cmp_ge_u32 s1, s16
	s_cselect_b32 s1, s20, s3
	s_add_i32 s3, s33, 15
	s_ashr_i32 s20, s3, 31
	s_lshr_b32 s20, s20, 28
	s_add_i32 s3, s3, s20
	s_ashr_i32 s20, s3, 4
	s_xor_b32 s3, s1, s34
	v_cmp_gt_i32_e64 s1, s20, v13
	s_sub_i32 s34, s3, s34
	s_and_saveexec_b32 s37, s1
	s_cbranch_execz .LBB258_532
; %bb.9:
	s_load_dwordx2 s[2:3], s[4:5], 0x10
	s_sub_i32 s5, s34, s21
	s_ashr_i32 s4, s18, 31
	v_bfe_u32 v17, v0, 1, 4
	v_cmp_eq_u32_e32 vcc_lo, 0, v27
	v_lshlrev_b32_e32 v5, 2, v27
	v_lshlrev_b32_e32 v18, 7, v27
	v_and_b32_e32 v3, 0x7c, v12
	v_lshlrev_b32_e32 v4, 2, v17
	v_subrev_nc_u32_e32 v6, s33, v17
	v_lshlrev_b32_e32 v7, 4, v17
	v_mov_b32_e32 v2, 0
	v_lshlrev_b32_e32 v20, 4, v13
	v_lshl_or_b32 v4, v13, 6, v4
	v_add_nc_u32_e32 v26, 1, v6
	v_mov_b32_e32 v21, 0xff7fffff
	v_mov_b32_e32 v22, 0x80
	;; [unrolled: 1-line block ×3, first 2 shown]
	v_add_nc_u32_e32 v27, 0x120, v4
	v_mov_b32_e32 v24, 7
	s_waitcnt lgkmcnt(0)
	s_add_u32 s39, s2, s18
	s_addc_u32 s3, s3, s4
	s_abs_i32 s38, s22
	s_lshl_b64 s[40:41], s[28:29], 2
	v_cvt_f32_u32_e32 v1, s38
	s_sub_i32 s4, 0, s38
	v_cmp_neq_f32_e64 s2, s36, 0
	v_mov_b32_e32 v25, 8
	v_mov_b32_e32 v19, 0xff7fffff
	v_rcp_iflag_f32_e32 v1, v1
	v_mov_b32_e32 v29, v13
	v_mul_f32_e32 v1, 0x4f7ffffe, v1
	v_cvt_u32_f32_e32 v1, v1
	v_mul_lo_u32 v4, s4, v1
	v_add_co_u32 v6, s4, s39, v7
	v_add_co_ci_u32_e64 v7, null, s3, 0, s4
	s_add_u32 s3, s26, s40
	s_addc_u32 s4, s27, s41
	v_add_co_u32 v3, s3, s3, v3
	v_mul_hi_u32 v8, v1, v4
	v_add_co_ci_u32_e64 v4, null, s4, 0, s3
	v_add_co_u32 v5, s3, v6, v5
	v_add_co_ci_u32_e64 v6, null, 0, v7, s3
	s_mov_b32 s39, 0
	v_add_nc_u32_e32 v28, v1, v8
	s_mov_b32 s40, s17
	s_branch .LBB258_12
.LBB258_10:                             ;   in Loop: Header=BB258_12 Depth=1
	s_or_b32 exec_lo, exec_lo, s41
.LBB258_11:                             ;   in Loop: Header=BB258_12 Depth=1
	s_or_b32 exec_lo, exec_lo, s4
	v_add_nc_u32_e32 v29, 4, v29
	v_add_co_u32 v3, s4, v3, 16
	v_add_co_ci_u32_e64 v4, null, 0, v4, s4
	v_cmp_le_i32_e64 s3, s20, v29
	v_add_nc_u32_e32 v20, 64, v20
	v_add_nc_u32_e32 v27, 0x100, v27
	s_or_b32 s39, s3, s39
	s_andn2_b32 exec_lo, exec_lo, s39
	s_cbranch_execz .LBB258_531
.LBB258_12:                             ; =>This Inner Loop Header: Depth=1
	v_mul_hi_u32 v1, v20, s19
	s_waitcnt lgkmcnt(0)
	v_mul_lo_u32 v7, v1, s16
	v_add_nc_u32_e32 v8, 1, v1
	v_sub_nc_u32_e32 v7, v20, v7
	v_subrev_nc_u32_e32 v9, s16, v7
	v_cmp_le_u32_e64 s3, s16, v7
	v_cndmask_b32_e64 v1, v1, v8, s3
	v_cndmask_b32_e64 v7, v7, v9, s3
	v_add_nc_u32_e32 v8, 1, v1
	v_cmp_le_u32_e64 s3, s16, v7
	v_cndmask_b32_e64 v1, v1, v8, s3
	v_xor_b32_e32 v1, s23, v1
	v_subrev_nc_u32_e32 v1, s23, v1
	v_add_nc_u32_e32 v7, s25, v1
	v_cmp_ge_i32_e64 s4, s5, v1
	v_sub_nc_u32_e32 v8, 0, v7
	v_max_i32_e32 v8, v7, v8
	v_ashrrev_i32_e32 v7, 31, v7
	v_mul_hi_u32 v9, v8, v28
	v_mul_lo_u32 v9, v9, s38
	v_sub_nc_u32_e32 v8, v8, v9
	v_subrev_nc_u32_e32 v9, s38, v8
	v_cmp_le_u32_e64 s3, s38, v8
	v_cndmask_b32_e64 v8, v8, v9, s3
	v_subrev_nc_u32_e32 v9, s38, v8
	v_cmp_le_u32_e64 s3, s38, v8
	v_cndmask_b32_e64 v8, v8, v9, s3
	v_xor_b32_e32 v8, v8, v7
	v_sub_nc_u32_e32 v7, v8, v7
	v_cmp_ne_u32_e64 s3, 0, v7
	s_and_b32 s3, s3, s4
	s_and_saveexec_b32 s4, s3
	s_xor_b32 s3, exec_lo, s4
	s_cbranch_execz .LBB258_16
; %bb.13:                               ;   in Loop: Header=BB258_12 Depth=1
	s_and_saveexec_b32 s4, vcc_lo
; %bb.14:                               ;   in Loop: Header=BB258_12 Depth=1
	ds_write_b32 v27, v21
; %bb.15:                               ;   in Loop: Header=BB258_12 Depth=1
	s_or_b32 exec_lo, exec_lo, s4
.LBB258_16:                             ;   in Loop: Header=BB258_12 Depth=1
	s_andn2_saveexec_b32 s4, s3
	s_cbranch_execz .LBB258_11
; %bb.17:                               ;   in Loop: Header=BB258_12 Depth=1
	global_load_dword v1, v[3:4], off
	v_mov_b32_e32 v31, 0
	v_mov_b32_e32 v32, 0
	global_load_dword v30, v31, s[12:13]
	s_waitcnt vmcnt(1)
	v_mad_i64_i32 v[7:8], null, v1, s40, v[5:6]
	global_load_dword v9, v[7:8], off
	s_waitcnt vmcnt(0)
	v_cmp_ne_u16_sdwa s3, v9, v2 src0_sel:BYTE_0 src1_sel:DWORD
	s_and_saveexec_b32 s41, s3
	s_cbranch_execz .LBB258_25
; %bb.18:                               ;   in Loop: Header=BB258_12 Depth=1
	v_cmp_ne_u16_sdwa s3, v9, v22 src0_sel:BYTE_0 src1_sel:DWORD
	v_mov_b32_e32 v32, 0x8000
	s_and_saveexec_b32 s42, s3
	s_cbranch_execz .LBB258_24
; %bb.19:                               ;   in Loop: Header=BB258_12 Depth=1
	v_and_b32_e32 v33, 0x7f, v9
	v_mov_b32_e32 v32, 0x7c01
	s_mov_b32 s43, exec_lo
	v_cmpx_ne_u32_e32 0x7f, v33
	s_cbranch_execz .LBB258_23
; %bb.20:                               ;   in Loop: Header=BB258_12 Depth=1
	v_and_b32_e32 v1, 7, v9
	v_lshrrev_b32_e32 v32, 3, v33
	s_mov_b32 s44, exec_lo
	v_cmpx_gt_u32_e32 8, v33
; %bb.21:                               ;   in Loop: Header=BB258_12 Depth=1
	v_ffbh_u32_e32 v1, v1
	v_min_u32_e32 v1, 32, v1
	v_subrev_nc_u32_e32 v11, 28, v1
	v_sub_nc_u32_e32 v32, 29, v1
	v_lshlrev_b64 v[33:34], v11, v[9:10]
	v_and_b32_e32 v1, 7, v33
; %bb.22:                               ;   in Loop: Header=BB258_12 Depth=1
	s_or_b32 exec_lo, exec_lo, s44
	v_lshlrev_b32_e32 v11, 8, v9
	v_lshl_add_u32 v12, v32, 10, 0x2000
	v_lshlrev_b32_e32 v1, 7, v1
	v_and_b32_e32 v11, 0x8000, v11
	v_and_b32_e32 v12, 0xfc00, v12
	v_or3_b32 v32, v11, v12, v1
.LBB258_23:                             ;   in Loop: Header=BB258_12 Depth=1
	s_or_b32 exec_lo, exec_lo, s43
.LBB258_24:                             ;   in Loop: Header=BB258_12 Depth=1
	s_or_b32 exec_lo, exec_lo, s42
.LBB258_25:                             ;   in Loop: Header=BB258_12 Depth=1
	s_or_b32 exec_lo, exec_lo, s41
	v_lshrrev_b16 v1, 8, v9
	s_mov_b32 s41, exec_lo
	v_cmpx_ne_u16_e32 0, v1
	s_cbranch_execz .LBB258_33
; %bb.26:                               ;   in Loop: Header=BB258_12 Depth=1
	v_bfrev_b32_e32 v31, 1
	s_mov_b32 s42, exec_lo
	v_cmpx_ne_u16_e32 0x80, v1
	s_cbranch_execz .LBB258_32
; %bb.27:                               ;   in Loop: Header=BB258_12 Depth=1
	v_and_b32_sdwa v34, v1, v23 dst_sel:DWORD dst_unused:UNUSED_PAD src0_sel:WORD_0 src1_sel:DWORD
	v_mov_b32_e32 v31, 0x7c010000
	s_mov_b32 s43, exec_lo
	v_cmpx_ne_u32_e32 0x7f, v34
	s_cbranch_execz .LBB258_31
; %bb.28:                               ;   in Loop: Header=BB258_12 Depth=1
	v_and_b32_sdwa v31, v1, v24 dst_sel:DWORD dst_unused:UNUSED_PAD src0_sel:WORD_0 src1_sel:DWORD
	v_lshrrev_b32_e32 v33, 3, v34
	s_mov_b32 s44, exec_lo
	v_cmpx_gt_u32_e32 8, v34
; %bb.29:                               ;   in Loop: Header=BB258_12 Depth=1
	v_ffbh_u32_e32 v11, v31
	v_min_u32_e32 v11, 32, v11
	v_subrev_nc_u32_e32 v12, 28, v11
	v_sub_nc_u32_e32 v33, 29, v11
	v_lshlrev_b64 v[34:35], v12, v[1:2]
	v_and_b32_e32 v31, 7, v34
; %bb.30:                               ;   in Loop: Header=BB258_12 Depth=1
	s_or_b32 exec_lo, exec_lo, s44
	v_lshlrev_b32_sdwa v1, v25, v1 dst_sel:DWORD dst_unused:UNUSED_PAD src0_sel:DWORD src1_sel:WORD_0
	v_lshl_add_u32 v11, v33, 10, 0x2000
	v_and_or_b32 v1, 0x8000, v1, v11
	v_lshlrev_b32_e32 v11, 23, v31
	v_lshl_or_b32 v31, v1, 16, v11
.LBB258_31:                             ;   in Loop: Header=BB258_12 Depth=1
	s_or_b32 exec_lo, exec_lo, s43
.LBB258_32:                             ;   in Loop: Header=BB258_12 Depth=1
	s_or_b32 exec_lo, exec_lo, s42
.LBB258_33:                             ;   in Loop: Header=BB258_12 Depth=1
	s_or_b32 exec_lo, exec_lo, s41
	v_lshrrev_b32_e32 v1, 16, v9
	v_mov_b32_e32 v33, 0
	v_mov_b32_e32 v34, 0
	v_cmp_ne_u16_sdwa s3, v1, v2 src0_sel:BYTE_0 src1_sel:DWORD
	s_and_saveexec_b32 s41, s3
	s_cbranch_execz .LBB258_41
; %bb.34:                               ;   in Loop: Header=BB258_12 Depth=1
	v_cmp_ne_u16_sdwa s3, v1, v22 src0_sel:BYTE_0 src1_sel:DWORD
	v_mov_b32_e32 v34, 0x8000
	s_and_saveexec_b32 s42, s3
	s_cbranch_execz .LBB258_40
; %bb.35:                               ;   in Loop: Header=BB258_12 Depth=1
	v_bfe_u32 v36, v9, 16, 7
	v_mov_b32_e32 v34, 0x7c01
	s_mov_b32 s43, exec_lo
	v_cmpx_ne_u32_e32 0x7f, v36
	s_cbranch_execz .LBB258_39
; %bb.36:                               ;   in Loop: Header=BB258_12 Depth=1
	v_and_b32_e32 v34, 7, v1
	v_lshrrev_b32_e32 v35, 3, v36
	s_mov_b32 s44, exec_lo
	v_cmpx_gt_u32_e32 8, v36
; %bb.37:                               ;   in Loop: Header=BB258_12 Depth=1
	v_ffbh_u32_e32 v11, v34
	v_min_u32_e32 v11, 32, v11
	v_subrev_nc_u32_e32 v12, 28, v11
	v_lshlrev_b64 v[34:35], v12, v[1:2]
	v_sub_nc_u32_e32 v35, 29, v11
	v_and_b32_e32 v34, 7, v34
; %bb.38:                               ;   in Loop: Header=BB258_12 Depth=1
	s_or_b32 exec_lo, exec_lo, s44
	v_lshlrev_b32_e32 v1, 8, v1
	v_lshl_add_u32 v11, v35, 10, 0x2000
	v_lshlrev_b32_e32 v12, 7, v34
	v_and_b32_e32 v1, 0x8000, v1
	v_and_b32_e32 v11, 0xfc00, v11
	v_or3_b32 v34, v1, v11, v12
.LBB258_39:                             ;   in Loop: Header=BB258_12 Depth=1
	s_or_b32 exec_lo, exec_lo, s43
.LBB258_40:                             ;   in Loop: Header=BB258_12 Depth=1
	s_or_b32 exec_lo, exec_lo, s42
.LBB258_41:                             ;   in Loop: Header=BB258_12 Depth=1
	s_or_b32 exec_lo, exec_lo, s41
	s_mov_b32 s41, exec_lo
	v_cmpx_lt_u32_e32 0xffffff, v9
	s_cbranch_execz .LBB258_49
; %bb.42:                               ;   in Loop: Header=BB258_12 Depth=1
	v_lshrrev_b32_e32 v1, 24, v9
	v_bfrev_b32_e32 v33, 1
	s_mov_b32 s42, exec_lo
	v_cmpx_ne_u32_e32 0x80, v1
	s_cbranch_execz .LBB258_48
; %bb.43:                               ;   in Loop: Header=BB258_12 Depth=1
	v_and_b32_e32 v35, 0x7f, v1
	v_mov_b32_e32 v33, 0x7c010000
	s_mov_b32 s43, exec_lo
	v_cmpx_ne_u32_e32 0x7f, v35
	s_cbranch_execz .LBB258_47
; %bb.44:                               ;   in Loop: Header=BB258_12 Depth=1
	v_and_b32_e32 v9, 7, v1
	v_lshrrev_b32_e32 v33, 3, v35
	s_mov_b32 s44, exec_lo
	v_cmpx_gt_u32_e32 8, v35
; %bb.45:                               ;   in Loop: Header=BB258_12 Depth=1
	v_ffbh_u32_e32 v9, v9
	v_min_u32_e32 v9, 32, v9
	v_subrev_nc_u32_e32 v11, 28, v9
	v_sub_nc_u32_e32 v33, 29, v9
	v_lshlrev_b64 v[35:36], v11, v[1:2]
	v_and_b32_e32 v9, 7, v35
; %bb.46:                               ;   in Loop: Header=BB258_12 Depth=1
	s_or_b32 exec_lo, exec_lo, s44
	v_lshlrev_b32_e32 v1, 8, v1
	v_lshl_add_u32 v11, v33, 10, 0x2000
	v_lshlrev_b32_e32 v9, 23, v9
	v_and_or_b32 v1, 0x8000, v1, v11
	v_lshl_or_b32 v33, v1, 16, v9
.LBB258_47:                             ;   in Loop: Header=BB258_12 Depth=1
	s_or_b32 exec_lo, exec_lo, s43
.LBB258_48:                             ;   in Loop: Header=BB258_12 Depth=1
	s_or_b32 exec_lo, exec_lo, s42
.LBB258_49:                             ;   in Loop: Header=BB258_12 Depth=1
	s_or_b32 exec_lo, exec_lo, s41
	global_load_dword v9, v[7:8], off offset:8
	v_mov_b32_e32 v35, 0
	v_mov_b32_e32 v36, 0
	s_waitcnt vmcnt(0)
	v_cmp_ne_u16_sdwa s3, v9, v2 src0_sel:BYTE_0 src1_sel:DWORD
	s_and_saveexec_b32 s41, s3
	s_cbranch_execz .LBB258_57
; %bb.50:                               ;   in Loop: Header=BB258_12 Depth=1
	v_cmp_ne_u16_sdwa s3, v9, v22 src0_sel:BYTE_0 src1_sel:DWORD
	v_mov_b32_e32 v36, 0x8000
	s_and_saveexec_b32 s42, s3
	s_cbranch_execz .LBB258_56
; %bb.51:                               ;   in Loop: Header=BB258_12 Depth=1
	v_and_b32_e32 v37, 0x7f, v9
	v_mov_b32_e32 v36, 0x7c01
	s_mov_b32 s43, exec_lo
	v_cmpx_ne_u32_e32 0x7f, v37
	s_cbranch_execz .LBB258_55
; %bb.52:                               ;   in Loop: Header=BB258_12 Depth=1
	v_and_b32_e32 v1, 7, v9
	v_lshrrev_b32_e32 v36, 3, v37
	s_mov_b32 s44, exec_lo
	v_cmpx_gt_u32_e32 8, v37
; %bb.53:                               ;   in Loop: Header=BB258_12 Depth=1
	v_ffbh_u32_e32 v1, v1
	v_min_u32_e32 v1, 32, v1
	v_subrev_nc_u32_e32 v11, 28, v1
	v_sub_nc_u32_e32 v36, 29, v1
	v_lshlrev_b64 v[37:38], v11, v[9:10]
	v_and_b32_e32 v1, 7, v37
; %bb.54:                               ;   in Loop: Header=BB258_12 Depth=1
	s_or_b32 exec_lo, exec_lo, s44
	v_lshlrev_b32_e32 v11, 8, v9
	v_lshl_add_u32 v12, v36, 10, 0x2000
	v_lshlrev_b32_e32 v1, 7, v1
	v_and_b32_e32 v11, 0x8000, v11
	v_and_b32_e32 v12, 0xfc00, v12
	v_or3_b32 v36, v11, v12, v1
.LBB258_55:                             ;   in Loop: Header=BB258_12 Depth=1
	s_or_b32 exec_lo, exec_lo, s43
.LBB258_56:                             ;   in Loop: Header=BB258_12 Depth=1
	s_or_b32 exec_lo, exec_lo, s42
.LBB258_57:                             ;   in Loop: Header=BB258_12 Depth=1
	s_or_b32 exec_lo, exec_lo, s41
	v_lshrrev_b16 v1, 8, v9
	s_mov_b32 s41, exec_lo
	v_cmpx_ne_u16_e32 0, v1
	s_cbranch_execz .LBB258_65
; %bb.58:                               ;   in Loop: Header=BB258_12 Depth=1
	v_bfrev_b32_e32 v35, 1
	s_mov_b32 s42, exec_lo
	v_cmpx_ne_u16_e32 0x80, v1
	s_cbranch_execz .LBB258_64
; %bb.59:                               ;   in Loop: Header=BB258_12 Depth=1
	v_and_b32_sdwa v38, v1, v23 dst_sel:DWORD dst_unused:UNUSED_PAD src0_sel:WORD_0 src1_sel:DWORD
	v_mov_b32_e32 v35, 0x7c010000
	s_mov_b32 s43, exec_lo
	v_cmpx_ne_u32_e32 0x7f, v38
	s_cbranch_execz .LBB258_63
; %bb.60:                               ;   in Loop: Header=BB258_12 Depth=1
	v_and_b32_sdwa v35, v1, v24 dst_sel:DWORD dst_unused:UNUSED_PAD src0_sel:WORD_0 src1_sel:DWORD
	v_lshrrev_b32_e32 v37, 3, v38
	s_mov_b32 s44, exec_lo
	v_cmpx_gt_u32_e32 8, v38
; %bb.61:                               ;   in Loop: Header=BB258_12 Depth=1
	v_ffbh_u32_e32 v11, v35
	v_min_u32_e32 v11, 32, v11
	v_subrev_nc_u32_e32 v12, 28, v11
	v_sub_nc_u32_e32 v37, 29, v11
	v_lshlrev_b64 v[38:39], v12, v[1:2]
	v_and_b32_e32 v35, 7, v38
; %bb.62:                               ;   in Loop: Header=BB258_12 Depth=1
	s_or_b32 exec_lo, exec_lo, s44
	v_lshlrev_b32_sdwa v1, v25, v1 dst_sel:DWORD dst_unused:UNUSED_PAD src0_sel:DWORD src1_sel:WORD_0
	v_lshl_add_u32 v11, v37, 10, 0x2000
	v_and_or_b32 v1, 0x8000, v1, v11
	v_lshlrev_b32_e32 v11, 23, v35
	v_lshl_or_b32 v35, v1, 16, v11
.LBB258_63:                             ;   in Loop: Header=BB258_12 Depth=1
	s_or_b32 exec_lo, exec_lo, s43
.LBB258_64:                             ;   in Loop: Header=BB258_12 Depth=1
	s_or_b32 exec_lo, exec_lo, s42
.LBB258_65:                             ;   in Loop: Header=BB258_12 Depth=1
	s_or_b32 exec_lo, exec_lo, s41
	v_lshrrev_b32_e32 v1, 16, v9
	v_mov_b32_e32 v37, 0
	v_mov_b32_e32 v38, 0
	v_cmp_ne_u16_sdwa s3, v1, v2 src0_sel:BYTE_0 src1_sel:DWORD
	s_and_saveexec_b32 s41, s3
	s_cbranch_execz .LBB258_73
; %bb.66:                               ;   in Loop: Header=BB258_12 Depth=1
	v_cmp_ne_u16_sdwa s3, v1, v22 src0_sel:BYTE_0 src1_sel:DWORD
	v_mov_b32_e32 v38, 0x8000
	s_and_saveexec_b32 s42, s3
	s_cbranch_execz .LBB258_72
; %bb.67:                               ;   in Loop: Header=BB258_12 Depth=1
	v_bfe_u32 v40, v9, 16, 7
	v_mov_b32_e32 v38, 0x7c01
	s_mov_b32 s43, exec_lo
	v_cmpx_ne_u32_e32 0x7f, v40
	s_cbranch_execz .LBB258_71
; %bb.68:                               ;   in Loop: Header=BB258_12 Depth=1
	v_and_b32_e32 v38, 7, v1
	v_lshrrev_b32_e32 v39, 3, v40
	s_mov_b32 s44, exec_lo
	v_cmpx_gt_u32_e32 8, v40
; %bb.69:                               ;   in Loop: Header=BB258_12 Depth=1
	v_ffbh_u32_e32 v11, v38
	v_min_u32_e32 v11, 32, v11
	v_subrev_nc_u32_e32 v12, 28, v11
	v_lshlrev_b64 v[38:39], v12, v[1:2]
	v_sub_nc_u32_e32 v39, 29, v11
	v_and_b32_e32 v38, 7, v38
; %bb.70:                               ;   in Loop: Header=BB258_12 Depth=1
	s_or_b32 exec_lo, exec_lo, s44
	v_lshlrev_b32_e32 v1, 8, v1
	v_lshl_add_u32 v11, v39, 10, 0x2000
	v_lshlrev_b32_e32 v12, 7, v38
	v_and_b32_e32 v1, 0x8000, v1
	v_and_b32_e32 v11, 0xfc00, v11
	v_or3_b32 v38, v1, v11, v12
.LBB258_71:                             ;   in Loop: Header=BB258_12 Depth=1
	s_or_b32 exec_lo, exec_lo, s43
.LBB258_72:                             ;   in Loop: Header=BB258_12 Depth=1
	s_or_b32 exec_lo, exec_lo, s42
.LBB258_73:                             ;   in Loop: Header=BB258_12 Depth=1
	s_or_b32 exec_lo, exec_lo, s41
	s_mov_b32 s41, exec_lo
	v_cmpx_lt_u32_e32 0xffffff, v9
	s_cbranch_execz .LBB258_81
; %bb.74:                               ;   in Loop: Header=BB258_12 Depth=1
	v_lshrrev_b32_e32 v1, 24, v9
	v_bfrev_b32_e32 v37, 1
	s_mov_b32 s42, exec_lo
	v_cmpx_ne_u32_e32 0x80, v1
	s_cbranch_execz .LBB258_80
; %bb.75:                               ;   in Loop: Header=BB258_12 Depth=1
	v_and_b32_e32 v39, 0x7f, v1
	v_mov_b32_e32 v37, 0x7c010000
	s_mov_b32 s43, exec_lo
	v_cmpx_ne_u32_e32 0x7f, v39
	s_cbranch_execz .LBB258_79
; %bb.76:                               ;   in Loop: Header=BB258_12 Depth=1
	v_and_b32_e32 v9, 7, v1
	v_lshrrev_b32_e32 v37, 3, v39
	s_mov_b32 s44, exec_lo
	v_cmpx_gt_u32_e32 8, v39
; %bb.77:                               ;   in Loop: Header=BB258_12 Depth=1
	v_ffbh_u32_e32 v9, v9
	v_min_u32_e32 v9, 32, v9
	v_subrev_nc_u32_e32 v11, 28, v9
	v_sub_nc_u32_e32 v37, 29, v9
	v_lshlrev_b64 v[39:40], v11, v[1:2]
	v_and_b32_e32 v9, 7, v39
; %bb.78:                               ;   in Loop: Header=BB258_12 Depth=1
	s_or_b32 exec_lo, exec_lo, s44
	v_lshlrev_b32_e32 v1, 8, v1
	v_lshl_add_u32 v11, v37, 10, 0x2000
	v_lshlrev_b32_e32 v9, 23, v9
	v_and_or_b32 v1, 0x8000, v1, v11
	v_lshl_or_b32 v37, v1, 16, v9
.LBB258_79:                             ;   in Loop: Header=BB258_12 Depth=1
	s_or_b32 exec_lo, exec_lo, s43
.LBB258_80:                             ;   in Loop: Header=BB258_12 Depth=1
	s_or_b32 exec_lo, exec_lo, s42
.LBB258_81:                             ;   in Loop: Header=BB258_12 Depth=1
	s_or_b32 exec_lo, exec_lo, s41
	global_load_dword v9, v[7:8], off offset:256
	v_mov_b32_e32 v39, 0
	v_mov_b32_e32 v40, 0
	s_waitcnt vmcnt(0)
	v_cmp_ne_u16_sdwa s3, v9, v2 src0_sel:BYTE_0 src1_sel:DWORD
	s_and_saveexec_b32 s41, s3
	s_cbranch_execz .LBB258_89
; %bb.82:                               ;   in Loop: Header=BB258_12 Depth=1
	v_cmp_ne_u16_sdwa s3, v9, v22 src0_sel:BYTE_0 src1_sel:DWORD
	v_mov_b32_e32 v40, 0x8000
	s_and_saveexec_b32 s42, s3
	s_cbranch_execz .LBB258_88
; %bb.83:                               ;   in Loop: Header=BB258_12 Depth=1
	v_and_b32_e32 v41, 0x7f, v9
	v_mov_b32_e32 v40, 0x7c01
	s_mov_b32 s43, exec_lo
	v_cmpx_ne_u32_e32 0x7f, v41
	s_cbranch_execz .LBB258_87
; %bb.84:                               ;   in Loop: Header=BB258_12 Depth=1
	v_and_b32_e32 v1, 7, v9
	v_lshrrev_b32_e32 v40, 3, v41
	s_mov_b32 s44, exec_lo
	v_cmpx_gt_u32_e32 8, v41
; %bb.85:                               ;   in Loop: Header=BB258_12 Depth=1
	v_ffbh_u32_e32 v1, v1
	v_min_u32_e32 v1, 32, v1
	v_subrev_nc_u32_e32 v11, 28, v1
	v_sub_nc_u32_e32 v40, 29, v1
	v_lshlrev_b64 v[41:42], v11, v[9:10]
	v_and_b32_e32 v1, 7, v41
; %bb.86:                               ;   in Loop: Header=BB258_12 Depth=1
	s_or_b32 exec_lo, exec_lo, s44
	v_lshlrev_b32_e32 v11, 8, v9
	v_lshl_add_u32 v12, v40, 10, 0x2000
	v_lshlrev_b32_e32 v1, 7, v1
	v_and_b32_e32 v11, 0x8000, v11
	v_and_b32_e32 v12, 0xfc00, v12
	v_or3_b32 v40, v11, v12, v1
.LBB258_87:                             ;   in Loop: Header=BB258_12 Depth=1
	s_or_b32 exec_lo, exec_lo, s43
.LBB258_88:                             ;   in Loop: Header=BB258_12 Depth=1
	s_or_b32 exec_lo, exec_lo, s42
.LBB258_89:                             ;   in Loop: Header=BB258_12 Depth=1
	s_or_b32 exec_lo, exec_lo, s41
	v_lshrrev_b16 v1, 8, v9
	s_mov_b32 s41, exec_lo
	v_cmpx_ne_u16_e32 0, v1
	s_cbranch_execz .LBB258_97
; %bb.90:                               ;   in Loop: Header=BB258_12 Depth=1
	v_bfrev_b32_e32 v39, 1
	s_mov_b32 s42, exec_lo
	v_cmpx_ne_u16_e32 0x80, v1
	s_cbranch_execz .LBB258_96
; %bb.91:                               ;   in Loop: Header=BB258_12 Depth=1
	v_and_b32_sdwa v42, v1, v23 dst_sel:DWORD dst_unused:UNUSED_PAD src0_sel:WORD_0 src1_sel:DWORD
	v_mov_b32_e32 v39, 0x7c010000
	s_mov_b32 s43, exec_lo
	v_cmpx_ne_u32_e32 0x7f, v42
	s_cbranch_execz .LBB258_95
; %bb.92:                               ;   in Loop: Header=BB258_12 Depth=1
	v_and_b32_sdwa v39, v1, v24 dst_sel:DWORD dst_unused:UNUSED_PAD src0_sel:WORD_0 src1_sel:DWORD
	v_lshrrev_b32_e32 v41, 3, v42
	s_mov_b32 s44, exec_lo
	v_cmpx_gt_u32_e32 8, v42
; %bb.93:                               ;   in Loop: Header=BB258_12 Depth=1
	v_ffbh_u32_e32 v11, v39
	v_min_u32_e32 v11, 32, v11
	v_subrev_nc_u32_e32 v12, 28, v11
	v_sub_nc_u32_e32 v41, 29, v11
	v_lshlrev_b64 v[42:43], v12, v[1:2]
	v_and_b32_e32 v39, 7, v42
; %bb.94:                               ;   in Loop: Header=BB258_12 Depth=1
	s_or_b32 exec_lo, exec_lo, s44
	v_lshlrev_b32_sdwa v1, v25, v1 dst_sel:DWORD dst_unused:UNUSED_PAD src0_sel:DWORD src1_sel:WORD_0
	v_lshl_add_u32 v11, v41, 10, 0x2000
	v_and_or_b32 v1, 0x8000, v1, v11
	v_lshlrev_b32_e32 v11, 23, v39
	v_lshl_or_b32 v39, v1, 16, v11
.LBB258_95:                             ;   in Loop: Header=BB258_12 Depth=1
	s_or_b32 exec_lo, exec_lo, s43
.LBB258_96:                             ;   in Loop: Header=BB258_12 Depth=1
	s_or_b32 exec_lo, exec_lo, s42
.LBB258_97:                             ;   in Loop: Header=BB258_12 Depth=1
	s_or_b32 exec_lo, exec_lo, s41
	v_lshrrev_b32_e32 v1, 16, v9
	v_mov_b32_e32 v41, 0
	v_mov_b32_e32 v42, 0
	v_cmp_ne_u16_sdwa s3, v1, v2 src0_sel:BYTE_0 src1_sel:DWORD
	s_and_saveexec_b32 s41, s3
	s_cbranch_execz .LBB258_105
; %bb.98:                               ;   in Loop: Header=BB258_12 Depth=1
	v_cmp_ne_u16_sdwa s3, v1, v22 src0_sel:BYTE_0 src1_sel:DWORD
	v_mov_b32_e32 v42, 0x8000
	s_and_saveexec_b32 s42, s3
	s_cbranch_execz .LBB258_104
; %bb.99:                               ;   in Loop: Header=BB258_12 Depth=1
	v_bfe_u32 v44, v9, 16, 7
	v_mov_b32_e32 v42, 0x7c01
	s_mov_b32 s43, exec_lo
	v_cmpx_ne_u32_e32 0x7f, v44
	s_cbranch_execz .LBB258_103
; %bb.100:                              ;   in Loop: Header=BB258_12 Depth=1
	v_and_b32_e32 v42, 7, v1
	v_lshrrev_b32_e32 v43, 3, v44
	s_mov_b32 s44, exec_lo
	v_cmpx_gt_u32_e32 8, v44
; %bb.101:                              ;   in Loop: Header=BB258_12 Depth=1
	v_ffbh_u32_e32 v11, v42
	v_min_u32_e32 v11, 32, v11
	v_subrev_nc_u32_e32 v12, 28, v11
	v_lshlrev_b64 v[42:43], v12, v[1:2]
	v_sub_nc_u32_e32 v43, 29, v11
	v_and_b32_e32 v42, 7, v42
; %bb.102:                              ;   in Loop: Header=BB258_12 Depth=1
	s_or_b32 exec_lo, exec_lo, s44
	v_lshlrev_b32_e32 v1, 8, v1
	v_lshl_add_u32 v11, v43, 10, 0x2000
	v_lshlrev_b32_e32 v12, 7, v42
	v_and_b32_e32 v1, 0x8000, v1
	v_and_b32_e32 v11, 0xfc00, v11
	v_or3_b32 v42, v1, v11, v12
.LBB258_103:                            ;   in Loop: Header=BB258_12 Depth=1
	s_or_b32 exec_lo, exec_lo, s43
.LBB258_104:                            ;   in Loop: Header=BB258_12 Depth=1
	s_or_b32 exec_lo, exec_lo, s42
.LBB258_105:                            ;   in Loop: Header=BB258_12 Depth=1
	s_or_b32 exec_lo, exec_lo, s41
	s_mov_b32 s41, exec_lo
	v_cmpx_lt_u32_e32 0xffffff, v9
	s_cbranch_execz .LBB258_113
; %bb.106:                              ;   in Loop: Header=BB258_12 Depth=1
	v_lshrrev_b32_e32 v1, 24, v9
	v_bfrev_b32_e32 v41, 1
	s_mov_b32 s42, exec_lo
	v_cmpx_ne_u32_e32 0x80, v1
	s_cbranch_execz .LBB258_112
; %bb.107:                              ;   in Loop: Header=BB258_12 Depth=1
	v_and_b32_e32 v43, 0x7f, v1
	v_mov_b32_e32 v41, 0x7c010000
	s_mov_b32 s43, exec_lo
	v_cmpx_ne_u32_e32 0x7f, v43
	s_cbranch_execz .LBB258_111
; %bb.108:                              ;   in Loop: Header=BB258_12 Depth=1
	v_and_b32_e32 v9, 7, v1
	v_lshrrev_b32_e32 v41, 3, v43
	s_mov_b32 s44, exec_lo
	v_cmpx_gt_u32_e32 8, v43
; %bb.109:                              ;   in Loop: Header=BB258_12 Depth=1
	v_ffbh_u32_e32 v9, v9
	v_min_u32_e32 v9, 32, v9
	v_subrev_nc_u32_e32 v11, 28, v9
	v_sub_nc_u32_e32 v41, 29, v9
	v_lshlrev_b64 v[43:44], v11, v[1:2]
	v_and_b32_e32 v9, 7, v43
; %bb.110:                              ;   in Loop: Header=BB258_12 Depth=1
	s_or_b32 exec_lo, exec_lo, s44
	v_lshlrev_b32_e32 v1, 8, v1
	v_lshl_add_u32 v11, v41, 10, 0x2000
	v_lshlrev_b32_e32 v9, 23, v9
	v_and_or_b32 v1, 0x8000, v1, v11
	v_lshl_or_b32 v41, v1, 16, v9
.LBB258_111:                            ;   in Loop: Header=BB258_12 Depth=1
	s_or_b32 exec_lo, exec_lo, s43
.LBB258_112:                            ;   in Loop: Header=BB258_12 Depth=1
	s_or_b32 exec_lo, exec_lo, s42
.LBB258_113:                            ;   in Loop: Header=BB258_12 Depth=1
	s_or_b32 exec_lo, exec_lo, s41
	global_load_dword v9, v[7:8], off offset:264
	v_mov_b32_e32 v43, 0
	v_mov_b32_e32 v44, 0
	s_waitcnt vmcnt(0)
	v_cmp_ne_u16_sdwa s3, v9, v2 src0_sel:BYTE_0 src1_sel:DWORD
	s_and_saveexec_b32 s41, s3
	s_cbranch_execz .LBB258_121
; %bb.114:                              ;   in Loop: Header=BB258_12 Depth=1
	v_cmp_ne_u16_sdwa s3, v9, v22 src0_sel:BYTE_0 src1_sel:DWORD
	v_mov_b32_e32 v44, 0x8000
	s_and_saveexec_b32 s42, s3
	s_cbranch_execz .LBB258_120
; %bb.115:                              ;   in Loop: Header=BB258_12 Depth=1
	v_and_b32_e32 v45, 0x7f, v9
	v_mov_b32_e32 v44, 0x7c01
	s_mov_b32 s43, exec_lo
	v_cmpx_ne_u32_e32 0x7f, v45
	s_cbranch_execz .LBB258_119
; %bb.116:                              ;   in Loop: Header=BB258_12 Depth=1
	v_and_b32_e32 v1, 7, v9
	v_lshrrev_b32_e32 v44, 3, v45
	s_mov_b32 s44, exec_lo
	v_cmpx_gt_u32_e32 8, v45
; %bb.117:                              ;   in Loop: Header=BB258_12 Depth=1
	v_ffbh_u32_e32 v1, v1
	v_min_u32_e32 v1, 32, v1
	v_subrev_nc_u32_e32 v11, 28, v1
	v_sub_nc_u32_e32 v44, 29, v1
	v_lshlrev_b64 v[45:46], v11, v[9:10]
	v_and_b32_e32 v1, 7, v45
; %bb.118:                              ;   in Loop: Header=BB258_12 Depth=1
	s_or_b32 exec_lo, exec_lo, s44
	v_lshlrev_b32_e32 v11, 8, v9
	v_lshl_add_u32 v12, v44, 10, 0x2000
	v_lshlrev_b32_e32 v1, 7, v1
	v_and_b32_e32 v11, 0x8000, v11
	v_and_b32_e32 v12, 0xfc00, v12
	v_or3_b32 v44, v11, v12, v1
.LBB258_119:                            ;   in Loop: Header=BB258_12 Depth=1
	s_or_b32 exec_lo, exec_lo, s43
.LBB258_120:                            ;   in Loop: Header=BB258_12 Depth=1
	s_or_b32 exec_lo, exec_lo, s42
.LBB258_121:                            ;   in Loop: Header=BB258_12 Depth=1
	s_or_b32 exec_lo, exec_lo, s41
	v_lshrrev_b16 v1, 8, v9
	s_mov_b32 s41, exec_lo
	v_cmpx_ne_u16_e32 0, v1
	s_cbranch_execz .LBB258_129
; %bb.122:                              ;   in Loop: Header=BB258_12 Depth=1
	v_bfrev_b32_e32 v43, 1
	s_mov_b32 s42, exec_lo
	v_cmpx_ne_u16_e32 0x80, v1
	s_cbranch_execz .LBB258_128
; %bb.123:                              ;   in Loop: Header=BB258_12 Depth=1
	v_and_b32_sdwa v46, v1, v23 dst_sel:DWORD dst_unused:UNUSED_PAD src0_sel:WORD_0 src1_sel:DWORD
	v_mov_b32_e32 v43, 0x7c010000
	s_mov_b32 s43, exec_lo
	v_cmpx_ne_u32_e32 0x7f, v46
	s_cbranch_execz .LBB258_127
; %bb.124:                              ;   in Loop: Header=BB258_12 Depth=1
	v_and_b32_sdwa v43, v1, v24 dst_sel:DWORD dst_unused:UNUSED_PAD src0_sel:WORD_0 src1_sel:DWORD
	v_lshrrev_b32_e32 v45, 3, v46
	s_mov_b32 s44, exec_lo
	v_cmpx_gt_u32_e32 8, v46
; %bb.125:                              ;   in Loop: Header=BB258_12 Depth=1
	v_ffbh_u32_e32 v11, v43
	v_min_u32_e32 v11, 32, v11
	v_subrev_nc_u32_e32 v12, 28, v11
	v_sub_nc_u32_e32 v45, 29, v11
	v_lshlrev_b64 v[46:47], v12, v[1:2]
	v_and_b32_e32 v43, 7, v46
; %bb.126:                              ;   in Loop: Header=BB258_12 Depth=1
	s_or_b32 exec_lo, exec_lo, s44
	v_lshlrev_b32_sdwa v1, v25, v1 dst_sel:DWORD dst_unused:UNUSED_PAD src0_sel:DWORD src1_sel:WORD_0
	v_lshl_add_u32 v11, v45, 10, 0x2000
	v_and_or_b32 v1, 0x8000, v1, v11
	v_lshlrev_b32_e32 v11, 23, v43
	v_lshl_or_b32 v43, v1, 16, v11
.LBB258_127:                            ;   in Loop: Header=BB258_12 Depth=1
	s_or_b32 exec_lo, exec_lo, s43
.LBB258_128:                            ;   in Loop: Header=BB258_12 Depth=1
	s_or_b32 exec_lo, exec_lo, s42
.LBB258_129:                            ;   in Loop: Header=BB258_12 Depth=1
	s_or_b32 exec_lo, exec_lo, s41
	v_lshrrev_b32_e32 v1, 16, v9
	v_mov_b32_e32 v45, 0
	v_mov_b32_e32 v46, 0
	v_cmp_ne_u16_sdwa s3, v1, v2 src0_sel:BYTE_0 src1_sel:DWORD
	s_and_saveexec_b32 s41, s3
	s_cbranch_execz .LBB258_137
; %bb.130:                              ;   in Loop: Header=BB258_12 Depth=1
	v_cmp_ne_u16_sdwa s3, v1, v22 src0_sel:BYTE_0 src1_sel:DWORD
	v_mov_b32_e32 v46, 0x8000
	s_and_saveexec_b32 s42, s3
	s_cbranch_execz .LBB258_136
; %bb.131:                              ;   in Loop: Header=BB258_12 Depth=1
	v_bfe_u32 v48, v9, 16, 7
	v_mov_b32_e32 v46, 0x7c01
	s_mov_b32 s43, exec_lo
	v_cmpx_ne_u32_e32 0x7f, v48
	s_cbranch_execz .LBB258_135
; %bb.132:                              ;   in Loop: Header=BB258_12 Depth=1
	v_and_b32_e32 v46, 7, v1
	v_lshrrev_b32_e32 v47, 3, v48
	s_mov_b32 s44, exec_lo
	v_cmpx_gt_u32_e32 8, v48
; %bb.133:                              ;   in Loop: Header=BB258_12 Depth=1
	v_ffbh_u32_e32 v11, v46
	v_min_u32_e32 v11, 32, v11
	v_subrev_nc_u32_e32 v12, 28, v11
	v_lshlrev_b64 v[46:47], v12, v[1:2]
	v_sub_nc_u32_e32 v47, 29, v11
	v_and_b32_e32 v46, 7, v46
; %bb.134:                              ;   in Loop: Header=BB258_12 Depth=1
	s_or_b32 exec_lo, exec_lo, s44
	v_lshlrev_b32_e32 v1, 8, v1
	v_lshl_add_u32 v11, v47, 10, 0x2000
	v_lshlrev_b32_e32 v12, 7, v46
	v_and_b32_e32 v1, 0x8000, v1
	v_and_b32_e32 v11, 0xfc00, v11
	v_or3_b32 v46, v1, v11, v12
.LBB258_135:                            ;   in Loop: Header=BB258_12 Depth=1
	s_or_b32 exec_lo, exec_lo, s43
.LBB258_136:                            ;   in Loop: Header=BB258_12 Depth=1
	s_or_b32 exec_lo, exec_lo, s42
.LBB258_137:                            ;   in Loop: Header=BB258_12 Depth=1
	s_or_b32 exec_lo, exec_lo, s41
	s_mov_b32 s41, exec_lo
	v_cmpx_lt_u32_e32 0xffffff, v9
	s_cbranch_execz .LBB258_145
; %bb.138:                              ;   in Loop: Header=BB258_12 Depth=1
	v_lshrrev_b32_e32 v1, 24, v9
	v_bfrev_b32_e32 v45, 1
	s_mov_b32 s42, exec_lo
	v_cmpx_ne_u32_e32 0x80, v1
	s_cbranch_execz .LBB258_144
; %bb.139:                              ;   in Loop: Header=BB258_12 Depth=1
	v_and_b32_e32 v47, 0x7f, v1
	v_mov_b32_e32 v45, 0x7c010000
	s_mov_b32 s43, exec_lo
	v_cmpx_ne_u32_e32 0x7f, v47
	s_cbranch_execz .LBB258_143
; %bb.140:                              ;   in Loop: Header=BB258_12 Depth=1
	v_and_b32_e32 v9, 7, v1
	v_lshrrev_b32_e32 v45, 3, v47
	s_mov_b32 s44, exec_lo
	v_cmpx_gt_u32_e32 8, v47
; %bb.141:                              ;   in Loop: Header=BB258_12 Depth=1
	v_ffbh_u32_e32 v9, v9
	v_min_u32_e32 v9, 32, v9
	v_subrev_nc_u32_e32 v11, 28, v9
	v_sub_nc_u32_e32 v45, 29, v9
	v_lshlrev_b64 v[47:48], v11, v[1:2]
	v_and_b32_e32 v9, 7, v47
; %bb.142:                              ;   in Loop: Header=BB258_12 Depth=1
	s_or_b32 exec_lo, exec_lo, s44
	v_lshlrev_b32_e32 v1, 8, v1
	v_lshl_add_u32 v11, v45, 10, 0x2000
	v_lshlrev_b32_e32 v9, 23, v9
	v_and_or_b32 v1, 0x8000, v1, v11
	v_lshl_or_b32 v45, v1, 16, v9
.LBB258_143:                            ;   in Loop: Header=BB258_12 Depth=1
	s_or_b32 exec_lo, exec_lo, s43
.LBB258_144:                            ;   in Loop: Header=BB258_12 Depth=1
	s_or_b32 exec_lo, exec_lo, s42
.LBB258_145:                            ;   in Loop: Header=BB258_12 Depth=1
	s_or_b32 exec_lo, exec_lo, s41
	global_load_dword v9, v[7:8], off offset:512
	v_mov_b32_e32 v47, 0
	v_mov_b32_e32 v48, 0
	s_waitcnt vmcnt(0)
	v_cmp_ne_u16_sdwa s3, v9, v2 src0_sel:BYTE_0 src1_sel:DWORD
	s_and_saveexec_b32 s41, s3
	s_cbranch_execz .LBB258_153
; %bb.146:                              ;   in Loop: Header=BB258_12 Depth=1
	v_cmp_ne_u16_sdwa s3, v9, v22 src0_sel:BYTE_0 src1_sel:DWORD
	v_mov_b32_e32 v48, 0x8000
	s_and_saveexec_b32 s42, s3
	s_cbranch_execz .LBB258_152
; %bb.147:                              ;   in Loop: Header=BB258_12 Depth=1
	v_and_b32_e32 v49, 0x7f, v9
	v_mov_b32_e32 v48, 0x7c01
	s_mov_b32 s43, exec_lo
	v_cmpx_ne_u32_e32 0x7f, v49
	s_cbranch_execz .LBB258_151
; %bb.148:                              ;   in Loop: Header=BB258_12 Depth=1
	v_and_b32_e32 v1, 7, v9
	v_lshrrev_b32_e32 v48, 3, v49
	s_mov_b32 s44, exec_lo
	v_cmpx_gt_u32_e32 8, v49
; %bb.149:                              ;   in Loop: Header=BB258_12 Depth=1
	v_ffbh_u32_e32 v1, v1
	v_min_u32_e32 v1, 32, v1
	v_subrev_nc_u32_e32 v11, 28, v1
	v_sub_nc_u32_e32 v48, 29, v1
	v_lshlrev_b64 v[49:50], v11, v[9:10]
	v_and_b32_e32 v1, 7, v49
; %bb.150:                              ;   in Loop: Header=BB258_12 Depth=1
	s_or_b32 exec_lo, exec_lo, s44
	v_lshlrev_b32_e32 v11, 8, v9
	v_lshl_add_u32 v12, v48, 10, 0x2000
	v_lshlrev_b32_e32 v1, 7, v1
	v_and_b32_e32 v11, 0x8000, v11
	v_and_b32_e32 v12, 0xfc00, v12
	v_or3_b32 v48, v11, v12, v1
.LBB258_151:                            ;   in Loop: Header=BB258_12 Depth=1
	s_or_b32 exec_lo, exec_lo, s43
.LBB258_152:                            ;   in Loop: Header=BB258_12 Depth=1
	s_or_b32 exec_lo, exec_lo, s42
.LBB258_153:                            ;   in Loop: Header=BB258_12 Depth=1
	s_or_b32 exec_lo, exec_lo, s41
	v_lshrrev_b16 v1, 8, v9
	s_mov_b32 s41, exec_lo
	v_cmpx_ne_u16_e32 0, v1
	s_cbranch_execz .LBB258_161
; %bb.154:                              ;   in Loop: Header=BB258_12 Depth=1
	v_bfrev_b32_e32 v47, 1
	s_mov_b32 s42, exec_lo
	v_cmpx_ne_u16_e32 0x80, v1
	s_cbranch_execz .LBB258_160
; %bb.155:                              ;   in Loop: Header=BB258_12 Depth=1
	v_and_b32_sdwa v50, v1, v23 dst_sel:DWORD dst_unused:UNUSED_PAD src0_sel:WORD_0 src1_sel:DWORD
	v_mov_b32_e32 v47, 0x7c010000
	s_mov_b32 s43, exec_lo
	v_cmpx_ne_u32_e32 0x7f, v50
	s_cbranch_execz .LBB258_159
; %bb.156:                              ;   in Loop: Header=BB258_12 Depth=1
	v_and_b32_sdwa v47, v1, v24 dst_sel:DWORD dst_unused:UNUSED_PAD src0_sel:WORD_0 src1_sel:DWORD
	v_lshrrev_b32_e32 v49, 3, v50
	s_mov_b32 s44, exec_lo
	v_cmpx_gt_u32_e32 8, v50
; %bb.157:                              ;   in Loop: Header=BB258_12 Depth=1
	v_ffbh_u32_e32 v11, v47
	v_min_u32_e32 v11, 32, v11
	v_subrev_nc_u32_e32 v12, 28, v11
	v_sub_nc_u32_e32 v49, 29, v11
	v_lshlrev_b64 v[50:51], v12, v[1:2]
	v_and_b32_e32 v47, 7, v50
; %bb.158:                              ;   in Loop: Header=BB258_12 Depth=1
	s_or_b32 exec_lo, exec_lo, s44
	v_lshlrev_b32_sdwa v1, v25, v1 dst_sel:DWORD dst_unused:UNUSED_PAD src0_sel:DWORD src1_sel:WORD_0
	v_lshl_add_u32 v11, v49, 10, 0x2000
	v_and_or_b32 v1, 0x8000, v1, v11
	v_lshlrev_b32_e32 v11, 23, v47
	v_lshl_or_b32 v47, v1, 16, v11
.LBB258_159:                            ;   in Loop: Header=BB258_12 Depth=1
	s_or_b32 exec_lo, exec_lo, s43
.LBB258_160:                            ;   in Loop: Header=BB258_12 Depth=1
	s_or_b32 exec_lo, exec_lo, s42
.LBB258_161:                            ;   in Loop: Header=BB258_12 Depth=1
	s_or_b32 exec_lo, exec_lo, s41
	v_lshrrev_b32_e32 v1, 16, v9
	v_mov_b32_e32 v49, 0
	v_mov_b32_e32 v50, 0
	v_cmp_ne_u16_sdwa s3, v1, v2 src0_sel:BYTE_0 src1_sel:DWORD
	s_and_saveexec_b32 s41, s3
	s_cbranch_execz .LBB258_169
; %bb.162:                              ;   in Loop: Header=BB258_12 Depth=1
	v_cmp_ne_u16_sdwa s3, v1, v22 src0_sel:BYTE_0 src1_sel:DWORD
	v_mov_b32_e32 v50, 0x8000
	s_and_saveexec_b32 s42, s3
	s_cbranch_execz .LBB258_168
; %bb.163:                              ;   in Loop: Header=BB258_12 Depth=1
	v_bfe_u32 v52, v9, 16, 7
	v_mov_b32_e32 v50, 0x7c01
	s_mov_b32 s43, exec_lo
	v_cmpx_ne_u32_e32 0x7f, v52
	s_cbranch_execz .LBB258_167
; %bb.164:                              ;   in Loop: Header=BB258_12 Depth=1
	v_and_b32_e32 v50, 7, v1
	v_lshrrev_b32_e32 v51, 3, v52
	s_mov_b32 s44, exec_lo
	v_cmpx_gt_u32_e32 8, v52
; %bb.165:                              ;   in Loop: Header=BB258_12 Depth=1
	v_ffbh_u32_e32 v11, v50
	v_min_u32_e32 v11, 32, v11
	v_subrev_nc_u32_e32 v12, 28, v11
	v_lshlrev_b64 v[50:51], v12, v[1:2]
	v_sub_nc_u32_e32 v51, 29, v11
	v_and_b32_e32 v50, 7, v50
; %bb.166:                              ;   in Loop: Header=BB258_12 Depth=1
	s_or_b32 exec_lo, exec_lo, s44
	v_lshlrev_b32_e32 v1, 8, v1
	v_lshl_add_u32 v11, v51, 10, 0x2000
	v_lshlrev_b32_e32 v12, 7, v50
	v_and_b32_e32 v1, 0x8000, v1
	v_and_b32_e32 v11, 0xfc00, v11
	v_or3_b32 v50, v1, v11, v12
.LBB258_167:                            ;   in Loop: Header=BB258_12 Depth=1
	s_or_b32 exec_lo, exec_lo, s43
.LBB258_168:                            ;   in Loop: Header=BB258_12 Depth=1
	s_or_b32 exec_lo, exec_lo, s42
.LBB258_169:                            ;   in Loop: Header=BB258_12 Depth=1
	s_or_b32 exec_lo, exec_lo, s41
	s_mov_b32 s41, exec_lo
	v_cmpx_lt_u32_e32 0xffffff, v9
	s_cbranch_execz .LBB258_177
; %bb.170:                              ;   in Loop: Header=BB258_12 Depth=1
	v_lshrrev_b32_e32 v1, 24, v9
	v_bfrev_b32_e32 v49, 1
	s_mov_b32 s42, exec_lo
	v_cmpx_ne_u32_e32 0x80, v1
	s_cbranch_execz .LBB258_176
; %bb.171:                              ;   in Loop: Header=BB258_12 Depth=1
	v_and_b32_e32 v51, 0x7f, v1
	v_mov_b32_e32 v49, 0x7c010000
	s_mov_b32 s43, exec_lo
	v_cmpx_ne_u32_e32 0x7f, v51
	s_cbranch_execz .LBB258_175
; %bb.172:                              ;   in Loop: Header=BB258_12 Depth=1
	v_and_b32_e32 v9, 7, v1
	v_lshrrev_b32_e32 v49, 3, v51
	s_mov_b32 s44, exec_lo
	v_cmpx_gt_u32_e32 8, v51
; %bb.173:                              ;   in Loop: Header=BB258_12 Depth=1
	v_ffbh_u32_e32 v9, v9
	v_min_u32_e32 v9, 32, v9
	v_subrev_nc_u32_e32 v11, 28, v9
	v_sub_nc_u32_e32 v49, 29, v9
	v_lshlrev_b64 v[51:52], v11, v[1:2]
	v_and_b32_e32 v9, 7, v51
; %bb.174:                              ;   in Loop: Header=BB258_12 Depth=1
	s_or_b32 exec_lo, exec_lo, s44
	v_lshlrev_b32_e32 v1, 8, v1
	v_lshl_add_u32 v11, v49, 10, 0x2000
	v_lshlrev_b32_e32 v9, 23, v9
	v_and_or_b32 v1, 0x8000, v1, v11
	v_lshl_or_b32 v49, v1, 16, v9
.LBB258_175:                            ;   in Loop: Header=BB258_12 Depth=1
	s_or_b32 exec_lo, exec_lo, s43
.LBB258_176:                            ;   in Loop: Header=BB258_12 Depth=1
	s_or_b32 exec_lo, exec_lo, s42
.LBB258_177:                            ;   in Loop: Header=BB258_12 Depth=1
	s_or_b32 exec_lo, exec_lo, s41
	global_load_dword v9, v[7:8], off offset:520
	v_mov_b32_e32 v51, 0
	v_mov_b32_e32 v52, 0
	s_waitcnt vmcnt(0)
	v_cmp_ne_u16_sdwa s3, v9, v2 src0_sel:BYTE_0 src1_sel:DWORD
	s_and_saveexec_b32 s41, s3
	s_cbranch_execz .LBB258_185
; %bb.178:                              ;   in Loop: Header=BB258_12 Depth=1
	v_cmp_ne_u16_sdwa s3, v9, v22 src0_sel:BYTE_0 src1_sel:DWORD
	v_mov_b32_e32 v52, 0x8000
	s_and_saveexec_b32 s42, s3
	s_cbranch_execz .LBB258_184
; %bb.179:                              ;   in Loop: Header=BB258_12 Depth=1
	v_and_b32_e32 v53, 0x7f, v9
	v_mov_b32_e32 v52, 0x7c01
	s_mov_b32 s43, exec_lo
	v_cmpx_ne_u32_e32 0x7f, v53
	s_cbranch_execz .LBB258_183
; %bb.180:                              ;   in Loop: Header=BB258_12 Depth=1
	v_and_b32_e32 v1, 7, v9
	v_lshrrev_b32_e32 v52, 3, v53
	s_mov_b32 s44, exec_lo
	v_cmpx_gt_u32_e32 8, v53
; %bb.181:                              ;   in Loop: Header=BB258_12 Depth=1
	v_ffbh_u32_e32 v1, v1
	v_min_u32_e32 v1, 32, v1
	v_subrev_nc_u32_e32 v11, 28, v1
	v_sub_nc_u32_e32 v52, 29, v1
	v_lshlrev_b64 v[53:54], v11, v[9:10]
	v_and_b32_e32 v1, 7, v53
; %bb.182:                              ;   in Loop: Header=BB258_12 Depth=1
	s_or_b32 exec_lo, exec_lo, s44
	v_lshlrev_b32_e32 v11, 8, v9
	v_lshl_add_u32 v12, v52, 10, 0x2000
	v_lshlrev_b32_e32 v1, 7, v1
	v_and_b32_e32 v11, 0x8000, v11
	v_and_b32_e32 v12, 0xfc00, v12
	v_or3_b32 v52, v11, v12, v1
.LBB258_183:                            ;   in Loop: Header=BB258_12 Depth=1
	s_or_b32 exec_lo, exec_lo, s43
.LBB258_184:                            ;   in Loop: Header=BB258_12 Depth=1
	s_or_b32 exec_lo, exec_lo, s42
.LBB258_185:                            ;   in Loop: Header=BB258_12 Depth=1
	s_or_b32 exec_lo, exec_lo, s41
	v_lshrrev_b16 v1, 8, v9
	s_mov_b32 s41, exec_lo
	v_cmpx_ne_u16_e32 0, v1
	s_cbranch_execz .LBB258_193
; %bb.186:                              ;   in Loop: Header=BB258_12 Depth=1
	v_bfrev_b32_e32 v51, 1
	s_mov_b32 s42, exec_lo
	v_cmpx_ne_u16_e32 0x80, v1
	s_cbranch_execz .LBB258_192
; %bb.187:                              ;   in Loop: Header=BB258_12 Depth=1
	v_and_b32_sdwa v54, v1, v23 dst_sel:DWORD dst_unused:UNUSED_PAD src0_sel:WORD_0 src1_sel:DWORD
	v_mov_b32_e32 v51, 0x7c010000
	s_mov_b32 s43, exec_lo
	v_cmpx_ne_u32_e32 0x7f, v54
	s_cbranch_execz .LBB258_191
; %bb.188:                              ;   in Loop: Header=BB258_12 Depth=1
	v_and_b32_sdwa v51, v1, v24 dst_sel:DWORD dst_unused:UNUSED_PAD src0_sel:WORD_0 src1_sel:DWORD
	v_lshrrev_b32_e32 v53, 3, v54
	s_mov_b32 s44, exec_lo
	v_cmpx_gt_u32_e32 8, v54
; %bb.189:                              ;   in Loop: Header=BB258_12 Depth=1
	v_ffbh_u32_e32 v11, v51
	v_min_u32_e32 v11, 32, v11
	v_subrev_nc_u32_e32 v12, 28, v11
	v_sub_nc_u32_e32 v53, 29, v11
	v_lshlrev_b64 v[54:55], v12, v[1:2]
	v_and_b32_e32 v51, 7, v54
; %bb.190:                              ;   in Loop: Header=BB258_12 Depth=1
	s_or_b32 exec_lo, exec_lo, s44
	v_lshlrev_b32_sdwa v1, v25, v1 dst_sel:DWORD dst_unused:UNUSED_PAD src0_sel:DWORD src1_sel:WORD_0
	v_lshl_add_u32 v11, v53, 10, 0x2000
	v_and_or_b32 v1, 0x8000, v1, v11
	v_lshlrev_b32_e32 v11, 23, v51
	v_lshl_or_b32 v51, v1, 16, v11
.LBB258_191:                            ;   in Loop: Header=BB258_12 Depth=1
	s_or_b32 exec_lo, exec_lo, s43
.LBB258_192:                            ;   in Loop: Header=BB258_12 Depth=1
	s_or_b32 exec_lo, exec_lo, s42
.LBB258_193:                            ;   in Loop: Header=BB258_12 Depth=1
	s_or_b32 exec_lo, exec_lo, s41
	v_lshrrev_b32_e32 v1, 16, v9
	v_mov_b32_e32 v53, 0
	v_mov_b32_e32 v54, 0
	v_cmp_ne_u16_sdwa s3, v1, v2 src0_sel:BYTE_0 src1_sel:DWORD
	s_and_saveexec_b32 s41, s3
	s_cbranch_execz .LBB258_201
; %bb.194:                              ;   in Loop: Header=BB258_12 Depth=1
	v_cmp_ne_u16_sdwa s3, v1, v22 src0_sel:BYTE_0 src1_sel:DWORD
	v_mov_b32_e32 v54, 0x8000
	s_and_saveexec_b32 s42, s3
	s_cbranch_execz .LBB258_200
; %bb.195:                              ;   in Loop: Header=BB258_12 Depth=1
	v_bfe_u32 v56, v9, 16, 7
	v_mov_b32_e32 v54, 0x7c01
	s_mov_b32 s43, exec_lo
	v_cmpx_ne_u32_e32 0x7f, v56
	s_cbranch_execz .LBB258_199
; %bb.196:                              ;   in Loop: Header=BB258_12 Depth=1
	v_and_b32_e32 v54, 7, v1
	v_lshrrev_b32_e32 v55, 3, v56
	s_mov_b32 s44, exec_lo
	v_cmpx_gt_u32_e32 8, v56
; %bb.197:                              ;   in Loop: Header=BB258_12 Depth=1
	v_ffbh_u32_e32 v11, v54
	v_min_u32_e32 v11, 32, v11
	v_subrev_nc_u32_e32 v12, 28, v11
	v_lshlrev_b64 v[54:55], v12, v[1:2]
	v_sub_nc_u32_e32 v55, 29, v11
	v_and_b32_e32 v54, 7, v54
; %bb.198:                              ;   in Loop: Header=BB258_12 Depth=1
	s_or_b32 exec_lo, exec_lo, s44
	v_lshlrev_b32_e32 v1, 8, v1
	v_lshl_add_u32 v11, v55, 10, 0x2000
	v_lshlrev_b32_e32 v12, 7, v54
	v_and_b32_e32 v1, 0x8000, v1
	v_and_b32_e32 v11, 0xfc00, v11
	v_or3_b32 v54, v1, v11, v12
.LBB258_199:                            ;   in Loop: Header=BB258_12 Depth=1
	s_or_b32 exec_lo, exec_lo, s43
.LBB258_200:                            ;   in Loop: Header=BB258_12 Depth=1
	s_or_b32 exec_lo, exec_lo, s42
.LBB258_201:                            ;   in Loop: Header=BB258_12 Depth=1
	s_or_b32 exec_lo, exec_lo, s41
	s_mov_b32 s41, exec_lo
	v_cmpx_lt_u32_e32 0xffffff, v9
	s_cbranch_execz .LBB258_209
; %bb.202:                              ;   in Loop: Header=BB258_12 Depth=1
	v_lshrrev_b32_e32 v1, 24, v9
	v_bfrev_b32_e32 v53, 1
	s_mov_b32 s42, exec_lo
	v_cmpx_ne_u32_e32 0x80, v1
	s_cbranch_execz .LBB258_208
; %bb.203:                              ;   in Loop: Header=BB258_12 Depth=1
	v_and_b32_e32 v55, 0x7f, v1
	v_mov_b32_e32 v53, 0x7c010000
	s_mov_b32 s43, exec_lo
	v_cmpx_ne_u32_e32 0x7f, v55
	s_cbranch_execz .LBB258_207
; %bb.204:                              ;   in Loop: Header=BB258_12 Depth=1
	v_and_b32_e32 v9, 7, v1
	v_lshrrev_b32_e32 v53, 3, v55
	s_mov_b32 s44, exec_lo
	v_cmpx_gt_u32_e32 8, v55
; %bb.205:                              ;   in Loop: Header=BB258_12 Depth=1
	v_ffbh_u32_e32 v9, v9
	v_min_u32_e32 v9, 32, v9
	v_subrev_nc_u32_e32 v11, 28, v9
	v_sub_nc_u32_e32 v53, 29, v9
	v_lshlrev_b64 v[55:56], v11, v[1:2]
	v_and_b32_e32 v9, 7, v55
; %bb.206:                              ;   in Loop: Header=BB258_12 Depth=1
	s_or_b32 exec_lo, exec_lo, s44
	v_lshlrev_b32_e32 v1, 8, v1
	v_lshl_add_u32 v11, v53, 10, 0x2000
	v_lshlrev_b32_e32 v9, 23, v9
	v_and_or_b32 v1, 0x8000, v1, v11
	v_lshl_or_b32 v53, v1, 16, v9
.LBB258_207:                            ;   in Loop: Header=BB258_12 Depth=1
	s_or_b32 exec_lo, exec_lo, s43
.LBB258_208:                            ;   in Loop: Header=BB258_12 Depth=1
	s_or_b32 exec_lo, exec_lo, s42
.LBB258_209:                            ;   in Loop: Header=BB258_12 Depth=1
	s_or_b32 exec_lo, exec_lo, s41
	global_load_dword v9, v[7:8], off offset:768
	v_mov_b32_e32 v55, 0
	v_mov_b32_e32 v56, 0
	s_waitcnt vmcnt(0)
	v_cmp_ne_u16_sdwa s3, v9, v2 src0_sel:BYTE_0 src1_sel:DWORD
	s_and_saveexec_b32 s41, s3
	s_cbranch_execz .LBB258_217
; %bb.210:                              ;   in Loop: Header=BB258_12 Depth=1
	v_cmp_ne_u16_sdwa s3, v9, v22 src0_sel:BYTE_0 src1_sel:DWORD
	v_mov_b32_e32 v56, 0x8000
	s_and_saveexec_b32 s42, s3
	s_cbranch_execz .LBB258_216
; %bb.211:                              ;   in Loop: Header=BB258_12 Depth=1
	v_and_b32_e32 v57, 0x7f, v9
	v_mov_b32_e32 v56, 0x7c01
	s_mov_b32 s43, exec_lo
	v_cmpx_ne_u32_e32 0x7f, v57
	s_cbranch_execz .LBB258_215
; %bb.212:                              ;   in Loop: Header=BB258_12 Depth=1
	v_and_b32_e32 v1, 7, v9
	v_lshrrev_b32_e32 v56, 3, v57
	s_mov_b32 s44, exec_lo
	v_cmpx_gt_u32_e32 8, v57
; %bb.213:                              ;   in Loop: Header=BB258_12 Depth=1
	v_ffbh_u32_e32 v1, v1
	v_min_u32_e32 v1, 32, v1
	v_subrev_nc_u32_e32 v11, 28, v1
	v_sub_nc_u32_e32 v56, 29, v1
	v_lshlrev_b64 v[57:58], v11, v[9:10]
	v_and_b32_e32 v1, 7, v57
; %bb.214:                              ;   in Loop: Header=BB258_12 Depth=1
	s_or_b32 exec_lo, exec_lo, s44
	v_lshlrev_b32_e32 v11, 8, v9
	v_lshl_add_u32 v12, v56, 10, 0x2000
	v_lshlrev_b32_e32 v1, 7, v1
	v_and_b32_e32 v11, 0x8000, v11
	v_and_b32_e32 v12, 0xfc00, v12
	v_or3_b32 v56, v11, v12, v1
.LBB258_215:                            ;   in Loop: Header=BB258_12 Depth=1
	s_or_b32 exec_lo, exec_lo, s43
.LBB258_216:                            ;   in Loop: Header=BB258_12 Depth=1
	s_or_b32 exec_lo, exec_lo, s42
.LBB258_217:                            ;   in Loop: Header=BB258_12 Depth=1
	s_or_b32 exec_lo, exec_lo, s41
	v_lshrrev_b16 v1, 8, v9
	s_mov_b32 s41, exec_lo
	v_cmpx_ne_u16_e32 0, v1
	s_cbranch_execz .LBB258_225
; %bb.218:                              ;   in Loop: Header=BB258_12 Depth=1
	v_bfrev_b32_e32 v55, 1
	s_mov_b32 s42, exec_lo
	v_cmpx_ne_u16_e32 0x80, v1
	s_cbranch_execz .LBB258_224
; %bb.219:                              ;   in Loop: Header=BB258_12 Depth=1
	v_and_b32_sdwa v58, v1, v23 dst_sel:DWORD dst_unused:UNUSED_PAD src0_sel:WORD_0 src1_sel:DWORD
	v_mov_b32_e32 v55, 0x7c010000
	s_mov_b32 s43, exec_lo
	v_cmpx_ne_u32_e32 0x7f, v58
	s_cbranch_execz .LBB258_223
; %bb.220:                              ;   in Loop: Header=BB258_12 Depth=1
	v_and_b32_sdwa v55, v1, v24 dst_sel:DWORD dst_unused:UNUSED_PAD src0_sel:WORD_0 src1_sel:DWORD
	v_lshrrev_b32_e32 v57, 3, v58
	s_mov_b32 s44, exec_lo
	v_cmpx_gt_u32_e32 8, v58
; %bb.221:                              ;   in Loop: Header=BB258_12 Depth=1
	v_ffbh_u32_e32 v11, v55
	v_min_u32_e32 v11, 32, v11
	v_subrev_nc_u32_e32 v12, 28, v11
	v_sub_nc_u32_e32 v57, 29, v11
	v_lshlrev_b64 v[58:59], v12, v[1:2]
	v_and_b32_e32 v55, 7, v58
; %bb.222:                              ;   in Loop: Header=BB258_12 Depth=1
	s_or_b32 exec_lo, exec_lo, s44
	v_lshlrev_b32_sdwa v1, v25, v1 dst_sel:DWORD dst_unused:UNUSED_PAD src0_sel:DWORD src1_sel:WORD_0
	v_lshl_add_u32 v11, v57, 10, 0x2000
	v_and_or_b32 v1, 0x8000, v1, v11
	v_lshlrev_b32_e32 v11, 23, v55
	v_lshl_or_b32 v55, v1, 16, v11
.LBB258_223:                            ;   in Loop: Header=BB258_12 Depth=1
	s_or_b32 exec_lo, exec_lo, s43
.LBB258_224:                            ;   in Loop: Header=BB258_12 Depth=1
	s_or_b32 exec_lo, exec_lo, s42
.LBB258_225:                            ;   in Loop: Header=BB258_12 Depth=1
	s_or_b32 exec_lo, exec_lo, s41
	v_lshrrev_b32_e32 v1, 16, v9
	v_mov_b32_e32 v57, 0
	v_mov_b32_e32 v58, 0
	v_cmp_ne_u16_sdwa s3, v1, v2 src0_sel:BYTE_0 src1_sel:DWORD
	s_and_saveexec_b32 s41, s3
	s_cbranch_execz .LBB258_233
; %bb.226:                              ;   in Loop: Header=BB258_12 Depth=1
	v_cmp_ne_u16_sdwa s3, v1, v22 src0_sel:BYTE_0 src1_sel:DWORD
	v_mov_b32_e32 v58, 0x8000
	s_and_saveexec_b32 s42, s3
	s_cbranch_execz .LBB258_232
; %bb.227:                              ;   in Loop: Header=BB258_12 Depth=1
	v_bfe_u32 v60, v9, 16, 7
	v_mov_b32_e32 v58, 0x7c01
	s_mov_b32 s43, exec_lo
	v_cmpx_ne_u32_e32 0x7f, v60
	s_cbranch_execz .LBB258_231
; %bb.228:                              ;   in Loop: Header=BB258_12 Depth=1
	v_and_b32_e32 v58, 7, v1
	v_lshrrev_b32_e32 v59, 3, v60
	s_mov_b32 s44, exec_lo
	v_cmpx_gt_u32_e32 8, v60
; %bb.229:                              ;   in Loop: Header=BB258_12 Depth=1
	v_ffbh_u32_e32 v11, v58
	v_min_u32_e32 v11, 32, v11
	v_subrev_nc_u32_e32 v12, 28, v11
	v_lshlrev_b64 v[58:59], v12, v[1:2]
	v_sub_nc_u32_e32 v59, 29, v11
	v_and_b32_e32 v58, 7, v58
; %bb.230:                              ;   in Loop: Header=BB258_12 Depth=1
	s_or_b32 exec_lo, exec_lo, s44
	v_lshlrev_b32_e32 v1, 8, v1
	v_lshl_add_u32 v11, v59, 10, 0x2000
	v_lshlrev_b32_e32 v12, 7, v58
	v_and_b32_e32 v1, 0x8000, v1
	v_and_b32_e32 v11, 0xfc00, v11
	v_or3_b32 v58, v1, v11, v12
.LBB258_231:                            ;   in Loop: Header=BB258_12 Depth=1
	s_or_b32 exec_lo, exec_lo, s43
.LBB258_232:                            ;   in Loop: Header=BB258_12 Depth=1
	s_or_b32 exec_lo, exec_lo, s42
.LBB258_233:                            ;   in Loop: Header=BB258_12 Depth=1
	s_or_b32 exec_lo, exec_lo, s41
	s_mov_b32 s41, exec_lo
	v_cmpx_lt_u32_e32 0xffffff, v9
	s_cbranch_execz .LBB258_241
; %bb.234:                              ;   in Loop: Header=BB258_12 Depth=1
	v_lshrrev_b32_e32 v1, 24, v9
	v_bfrev_b32_e32 v57, 1
	s_mov_b32 s42, exec_lo
	v_cmpx_ne_u32_e32 0x80, v1
	s_cbranch_execz .LBB258_240
; %bb.235:                              ;   in Loop: Header=BB258_12 Depth=1
	v_and_b32_e32 v59, 0x7f, v1
	v_mov_b32_e32 v57, 0x7c010000
	s_mov_b32 s43, exec_lo
	v_cmpx_ne_u32_e32 0x7f, v59
	s_cbranch_execz .LBB258_239
; %bb.236:                              ;   in Loop: Header=BB258_12 Depth=1
	v_and_b32_e32 v9, 7, v1
	v_lshrrev_b32_e32 v57, 3, v59
	s_mov_b32 s44, exec_lo
	v_cmpx_gt_u32_e32 8, v59
; %bb.237:                              ;   in Loop: Header=BB258_12 Depth=1
	v_ffbh_u32_e32 v9, v9
	v_min_u32_e32 v9, 32, v9
	v_subrev_nc_u32_e32 v11, 28, v9
	v_sub_nc_u32_e32 v57, 29, v9
	v_lshlrev_b64 v[59:60], v11, v[1:2]
	v_and_b32_e32 v9, 7, v59
; %bb.238:                              ;   in Loop: Header=BB258_12 Depth=1
	s_or_b32 exec_lo, exec_lo, s44
	v_lshlrev_b32_e32 v1, 8, v1
	v_lshl_add_u32 v11, v57, 10, 0x2000
	v_lshlrev_b32_e32 v9, 23, v9
	v_and_or_b32 v1, 0x8000, v1, v11
	v_lshl_or_b32 v57, v1, 16, v9
.LBB258_239:                            ;   in Loop: Header=BB258_12 Depth=1
	s_or_b32 exec_lo, exec_lo, s43
.LBB258_240:                            ;   in Loop: Header=BB258_12 Depth=1
	s_or_b32 exec_lo, exec_lo, s42
.LBB258_241:                            ;   in Loop: Header=BB258_12 Depth=1
	s_or_b32 exec_lo, exec_lo, s41
	global_load_dword v9, v[7:8], off offset:776
	v_mov_b32_e32 v59, 0
	v_mov_b32_e32 v60, 0
	s_waitcnt vmcnt(0)
	v_cmp_ne_u16_sdwa s3, v9, v2 src0_sel:BYTE_0 src1_sel:DWORD
	s_and_saveexec_b32 s41, s3
	s_cbranch_execz .LBB258_249
; %bb.242:                              ;   in Loop: Header=BB258_12 Depth=1
	v_cmp_ne_u16_sdwa s3, v9, v22 src0_sel:BYTE_0 src1_sel:DWORD
	v_mov_b32_e32 v60, 0x8000
	s_and_saveexec_b32 s42, s3
	s_cbranch_execz .LBB258_248
; %bb.243:                              ;   in Loop: Header=BB258_12 Depth=1
	v_and_b32_e32 v61, 0x7f, v9
	v_mov_b32_e32 v60, 0x7c01
	s_mov_b32 s43, exec_lo
	v_cmpx_ne_u32_e32 0x7f, v61
	s_cbranch_execz .LBB258_247
; %bb.244:                              ;   in Loop: Header=BB258_12 Depth=1
	v_and_b32_e32 v1, 7, v9
	v_lshrrev_b32_e32 v60, 3, v61
	s_mov_b32 s44, exec_lo
	v_cmpx_gt_u32_e32 8, v61
; %bb.245:                              ;   in Loop: Header=BB258_12 Depth=1
	v_ffbh_u32_e32 v1, v1
	v_min_u32_e32 v1, 32, v1
	v_subrev_nc_u32_e32 v11, 28, v1
	v_sub_nc_u32_e32 v60, 29, v1
	v_lshlrev_b64 v[61:62], v11, v[9:10]
	v_and_b32_e32 v1, 7, v61
; %bb.246:                              ;   in Loop: Header=BB258_12 Depth=1
	s_or_b32 exec_lo, exec_lo, s44
	v_lshlrev_b32_e32 v11, 8, v9
	v_lshl_add_u32 v12, v60, 10, 0x2000
	v_lshlrev_b32_e32 v1, 7, v1
	v_and_b32_e32 v11, 0x8000, v11
	v_and_b32_e32 v12, 0xfc00, v12
	v_or3_b32 v60, v11, v12, v1
.LBB258_247:                            ;   in Loop: Header=BB258_12 Depth=1
	s_or_b32 exec_lo, exec_lo, s43
.LBB258_248:                            ;   in Loop: Header=BB258_12 Depth=1
	s_or_b32 exec_lo, exec_lo, s42
.LBB258_249:                            ;   in Loop: Header=BB258_12 Depth=1
	s_or_b32 exec_lo, exec_lo, s41
	v_lshrrev_b16 v1, 8, v9
	s_mov_b32 s41, exec_lo
	v_cmpx_ne_u16_e32 0, v1
	s_cbranch_execz .LBB258_257
; %bb.250:                              ;   in Loop: Header=BB258_12 Depth=1
	v_bfrev_b32_e32 v59, 1
	s_mov_b32 s42, exec_lo
	v_cmpx_ne_u16_e32 0x80, v1
	s_cbranch_execz .LBB258_256
; %bb.251:                              ;   in Loop: Header=BB258_12 Depth=1
	v_and_b32_sdwa v62, v1, v23 dst_sel:DWORD dst_unused:UNUSED_PAD src0_sel:WORD_0 src1_sel:DWORD
	v_mov_b32_e32 v59, 0x7c010000
	s_mov_b32 s43, exec_lo
	v_cmpx_ne_u32_e32 0x7f, v62
	s_cbranch_execz .LBB258_255
; %bb.252:                              ;   in Loop: Header=BB258_12 Depth=1
	v_and_b32_sdwa v59, v1, v24 dst_sel:DWORD dst_unused:UNUSED_PAD src0_sel:WORD_0 src1_sel:DWORD
	v_lshrrev_b32_e32 v61, 3, v62
	s_mov_b32 s44, exec_lo
	v_cmpx_gt_u32_e32 8, v62
; %bb.253:                              ;   in Loop: Header=BB258_12 Depth=1
	v_ffbh_u32_e32 v11, v59
	v_min_u32_e32 v11, 32, v11
	v_subrev_nc_u32_e32 v12, 28, v11
	v_sub_nc_u32_e32 v61, 29, v11
	v_lshlrev_b64 v[62:63], v12, v[1:2]
	v_and_b32_e32 v59, 7, v62
; %bb.254:                              ;   in Loop: Header=BB258_12 Depth=1
	s_or_b32 exec_lo, exec_lo, s44
	v_lshlrev_b32_sdwa v1, v25, v1 dst_sel:DWORD dst_unused:UNUSED_PAD src0_sel:DWORD src1_sel:WORD_0
	v_lshl_add_u32 v11, v61, 10, 0x2000
	v_and_or_b32 v1, 0x8000, v1, v11
	v_lshlrev_b32_e32 v11, 23, v59
	v_lshl_or_b32 v59, v1, 16, v11
.LBB258_255:                            ;   in Loop: Header=BB258_12 Depth=1
	s_or_b32 exec_lo, exec_lo, s43
.LBB258_256:                            ;   in Loop: Header=BB258_12 Depth=1
	s_or_b32 exec_lo, exec_lo, s42
.LBB258_257:                            ;   in Loop: Header=BB258_12 Depth=1
	s_or_b32 exec_lo, exec_lo, s41
	v_lshrrev_b32_e32 v1, 16, v9
	v_mov_b32_e32 v61, 0
	v_mov_b32_e32 v62, 0
	v_cmp_ne_u16_sdwa s3, v1, v2 src0_sel:BYTE_0 src1_sel:DWORD
	s_and_saveexec_b32 s41, s3
	s_cbranch_execz .LBB258_265
; %bb.258:                              ;   in Loop: Header=BB258_12 Depth=1
	v_cmp_ne_u16_sdwa s3, v1, v22 src0_sel:BYTE_0 src1_sel:DWORD
	v_mov_b32_e32 v62, 0x8000
	s_and_saveexec_b32 s42, s3
	s_cbranch_execz .LBB258_264
; %bb.259:                              ;   in Loop: Header=BB258_12 Depth=1
	v_bfe_u32 v64, v9, 16, 7
	v_mov_b32_e32 v62, 0x7c01
	s_mov_b32 s43, exec_lo
	v_cmpx_ne_u32_e32 0x7f, v64
	s_cbranch_execz .LBB258_263
; %bb.260:                              ;   in Loop: Header=BB258_12 Depth=1
	v_and_b32_e32 v62, 7, v1
	v_lshrrev_b32_e32 v63, 3, v64
	s_mov_b32 s44, exec_lo
	v_cmpx_gt_u32_e32 8, v64
; %bb.261:                              ;   in Loop: Header=BB258_12 Depth=1
	v_ffbh_u32_e32 v11, v62
	v_min_u32_e32 v11, 32, v11
	v_subrev_nc_u32_e32 v12, 28, v11
	v_lshlrev_b64 v[62:63], v12, v[1:2]
	v_sub_nc_u32_e32 v63, 29, v11
	v_and_b32_e32 v62, 7, v62
; %bb.262:                              ;   in Loop: Header=BB258_12 Depth=1
	s_or_b32 exec_lo, exec_lo, s44
	v_lshlrev_b32_e32 v1, 8, v1
	v_lshl_add_u32 v11, v63, 10, 0x2000
	v_lshlrev_b32_e32 v12, 7, v62
	v_and_b32_e32 v1, 0x8000, v1
	v_and_b32_e32 v11, 0xfc00, v11
	v_or3_b32 v62, v1, v11, v12
.LBB258_263:                            ;   in Loop: Header=BB258_12 Depth=1
	s_or_b32 exec_lo, exec_lo, s43
.LBB258_264:                            ;   in Loop: Header=BB258_12 Depth=1
	s_or_b32 exec_lo, exec_lo, s42
.LBB258_265:                            ;   in Loop: Header=BB258_12 Depth=1
	s_or_b32 exec_lo, exec_lo, s41
	s_mov_b32 s41, exec_lo
	v_cmpx_lt_u32_e32 0xffffff, v9
	s_cbranch_execz .LBB258_273
; %bb.266:                              ;   in Loop: Header=BB258_12 Depth=1
	v_lshrrev_b32_e32 v1, 24, v9
	v_bfrev_b32_e32 v61, 1
	s_mov_b32 s42, exec_lo
	v_cmpx_ne_u32_e32 0x80, v1
	s_cbranch_execz .LBB258_272
; %bb.267:                              ;   in Loop: Header=BB258_12 Depth=1
	v_and_b32_e32 v63, 0x7f, v1
	v_mov_b32_e32 v61, 0x7c010000
	s_mov_b32 s43, exec_lo
	v_cmpx_ne_u32_e32 0x7f, v63
	s_cbranch_execz .LBB258_271
; %bb.268:                              ;   in Loop: Header=BB258_12 Depth=1
	v_and_b32_e32 v9, 7, v1
	v_lshrrev_b32_e32 v61, 3, v63
	s_mov_b32 s44, exec_lo
	v_cmpx_gt_u32_e32 8, v63
; %bb.269:                              ;   in Loop: Header=BB258_12 Depth=1
	v_ffbh_u32_e32 v9, v9
	v_min_u32_e32 v9, 32, v9
	v_subrev_nc_u32_e32 v11, 28, v9
	v_sub_nc_u32_e32 v61, 29, v9
	v_lshlrev_b64 v[63:64], v11, v[1:2]
	v_and_b32_e32 v9, 7, v63
; %bb.270:                              ;   in Loop: Header=BB258_12 Depth=1
	s_or_b32 exec_lo, exec_lo, s44
	v_lshlrev_b32_e32 v1, 8, v1
	v_lshl_add_u32 v11, v61, 10, 0x2000
	v_lshlrev_b32_e32 v9, 23, v9
	v_and_or_b32 v1, 0x8000, v1, v11
	v_lshl_or_b32 v61, v1, 16, v9
.LBB258_271:                            ;   in Loop: Header=BB258_12 Depth=1
	s_or_b32 exec_lo, exec_lo, s43
.LBB258_272:                            ;   in Loop: Header=BB258_12 Depth=1
	s_or_b32 exec_lo, exec_lo, s42
.LBB258_273:                            ;   in Loop: Header=BB258_12 Depth=1
	s_or_b32 exec_lo, exec_lo, s41
	global_load_dword v9, v[7:8], off offset:1024
	v_mov_b32_e32 v63, 0
	v_mov_b32_e32 v64, 0
	s_waitcnt vmcnt(0)
	v_cmp_ne_u16_sdwa s3, v9, v2 src0_sel:BYTE_0 src1_sel:DWORD
	s_and_saveexec_b32 s41, s3
	s_cbranch_execz .LBB258_281
; %bb.274:                              ;   in Loop: Header=BB258_12 Depth=1
	v_cmp_ne_u16_sdwa s3, v9, v22 src0_sel:BYTE_0 src1_sel:DWORD
	v_mov_b32_e32 v64, 0x8000
	s_and_saveexec_b32 s42, s3
	s_cbranch_execz .LBB258_280
; %bb.275:                              ;   in Loop: Header=BB258_12 Depth=1
	v_and_b32_e32 v65, 0x7f, v9
	v_mov_b32_e32 v64, 0x7c01
	s_mov_b32 s43, exec_lo
	v_cmpx_ne_u32_e32 0x7f, v65
	s_cbranch_execz .LBB258_279
; %bb.276:                              ;   in Loop: Header=BB258_12 Depth=1
	v_and_b32_e32 v1, 7, v9
	v_lshrrev_b32_e32 v64, 3, v65
	s_mov_b32 s44, exec_lo
	v_cmpx_gt_u32_e32 8, v65
; %bb.277:                              ;   in Loop: Header=BB258_12 Depth=1
	v_ffbh_u32_e32 v1, v1
	v_min_u32_e32 v1, 32, v1
	v_subrev_nc_u32_e32 v11, 28, v1
	v_sub_nc_u32_e32 v64, 29, v1
	v_lshlrev_b64 v[65:66], v11, v[9:10]
	v_and_b32_e32 v1, 7, v65
; %bb.278:                              ;   in Loop: Header=BB258_12 Depth=1
	s_or_b32 exec_lo, exec_lo, s44
	v_lshlrev_b32_e32 v11, 8, v9
	v_lshl_add_u32 v12, v64, 10, 0x2000
	v_lshlrev_b32_e32 v1, 7, v1
	v_and_b32_e32 v11, 0x8000, v11
	v_and_b32_e32 v12, 0xfc00, v12
	v_or3_b32 v64, v11, v12, v1
.LBB258_279:                            ;   in Loop: Header=BB258_12 Depth=1
	s_or_b32 exec_lo, exec_lo, s43
.LBB258_280:                            ;   in Loop: Header=BB258_12 Depth=1
	s_or_b32 exec_lo, exec_lo, s42
.LBB258_281:                            ;   in Loop: Header=BB258_12 Depth=1
	s_or_b32 exec_lo, exec_lo, s41
	v_lshrrev_b16 v1, 8, v9
	s_mov_b32 s41, exec_lo
	v_cmpx_ne_u16_e32 0, v1
	s_cbranch_execz .LBB258_289
; %bb.282:                              ;   in Loop: Header=BB258_12 Depth=1
	v_bfrev_b32_e32 v63, 1
	s_mov_b32 s42, exec_lo
	v_cmpx_ne_u16_e32 0x80, v1
	s_cbranch_execz .LBB258_288
; %bb.283:                              ;   in Loop: Header=BB258_12 Depth=1
	v_and_b32_sdwa v66, v1, v23 dst_sel:DWORD dst_unused:UNUSED_PAD src0_sel:WORD_0 src1_sel:DWORD
	v_mov_b32_e32 v63, 0x7c010000
	s_mov_b32 s43, exec_lo
	v_cmpx_ne_u32_e32 0x7f, v66
	s_cbranch_execz .LBB258_287
; %bb.284:                              ;   in Loop: Header=BB258_12 Depth=1
	v_and_b32_sdwa v63, v1, v24 dst_sel:DWORD dst_unused:UNUSED_PAD src0_sel:WORD_0 src1_sel:DWORD
	v_lshrrev_b32_e32 v65, 3, v66
	s_mov_b32 s44, exec_lo
	v_cmpx_gt_u32_e32 8, v66
; %bb.285:                              ;   in Loop: Header=BB258_12 Depth=1
	v_ffbh_u32_e32 v11, v63
	v_min_u32_e32 v11, 32, v11
	v_subrev_nc_u32_e32 v12, 28, v11
	v_sub_nc_u32_e32 v65, 29, v11
	v_lshlrev_b64 v[66:67], v12, v[1:2]
	v_and_b32_e32 v63, 7, v66
; %bb.286:                              ;   in Loop: Header=BB258_12 Depth=1
	s_or_b32 exec_lo, exec_lo, s44
	v_lshlrev_b32_sdwa v1, v25, v1 dst_sel:DWORD dst_unused:UNUSED_PAD src0_sel:DWORD src1_sel:WORD_0
	v_lshl_add_u32 v11, v65, 10, 0x2000
	v_and_or_b32 v1, 0x8000, v1, v11
	v_lshlrev_b32_e32 v11, 23, v63
	v_lshl_or_b32 v63, v1, 16, v11
.LBB258_287:                            ;   in Loop: Header=BB258_12 Depth=1
	s_or_b32 exec_lo, exec_lo, s43
.LBB258_288:                            ;   in Loop: Header=BB258_12 Depth=1
	s_or_b32 exec_lo, exec_lo, s42
.LBB258_289:                            ;   in Loop: Header=BB258_12 Depth=1
	s_or_b32 exec_lo, exec_lo, s41
	v_lshrrev_b32_e32 v1, 16, v9
	v_mov_b32_e32 v65, 0
	v_mov_b32_e32 v66, 0
	v_cmp_ne_u16_sdwa s3, v1, v2 src0_sel:BYTE_0 src1_sel:DWORD
	s_and_saveexec_b32 s41, s3
	s_cbranch_execz .LBB258_297
; %bb.290:                              ;   in Loop: Header=BB258_12 Depth=1
	v_cmp_ne_u16_sdwa s3, v1, v22 src0_sel:BYTE_0 src1_sel:DWORD
	v_mov_b32_e32 v66, 0x8000
	s_and_saveexec_b32 s42, s3
	s_cbranch_execz .LBB258_296
; %bb.291:                              ;   in Loop: Header=BB258_12 Depth=1
	v_bfe_u32 v68, v9, 16, 7
	v_mov_b32_e32 v66, 0x7c01
	s_mov_b32 s43, exec_lo
	v_cmpx_ne_u32_e32 0x7f, v68
	s_cbranch_execz .LBB258_295
; %bb.292:                              ;   in Loop: Header=BB258_12 Depth=1
	v_and_b32_e32 v66, 7, v1
	v_lshrrev_b32_e32 v67, 3, v68
	s_mov_b32 s44, exec_lo
	v_cmpx_gt_u32_e32 8, v68
; %bb.293:                              ;   in Loop: Header=BB258_12 Depth=1
	v_ffbh_u32_e32 v11, v66
	v_min_u32_e32 v11, 32, v11
	v_subrev_nc_u32_e32 v12, 28, v11
	v_lshlrev_b64 v[66:67], v12, v[1:2]
	v_sub_nc_u32_e32 v67, 29, v11
	v_and_b32_e32 v66, 7, v66
; %bb.294:                              ;   in Loop: Header=BB258_12 Depth=1
	s_or_b32 exec_lo, exec_lo, s44
	v_lshlrev_b32_e32 v1, 8, v1
	v_lshl_add_u32 v11, v67, 10, 0x2000
	v_lshlrev_b32_e32 v12, 7, v66
	v_and_b32_e32 v1, 0x8000, v1
	v_and_b32_e32 v11, 0xfc00, v11
	v_or3_b32 v66, v1, v11, v12
.LBB258_295:                            ;   in Loop: Header=BB258_12 Depth=1
	s_or_b32 exec_lo, exec_lo, s43
.LBB258_296:                            ;   in Loop: Header=BB258_12 Depth=1
	s_or_b32 exec_lo, exec_lo, s42
.LBB258_297:                            ;   in Loop: Header=BB258_12 Depth=1
	s_or_b32 exec_lo, exec_lo, s41
	s_mov_b32 s41, exec_lo
	v_cmpx_lt_u32_e32 0xffffff, v9
	s_cbranch_execz .LBB258_305
; %bb.298:                              ;   in Loop: Header=BB258_12 Depth=1
	v_lshrrev_b32_e32 v1, 24, v9
	v_bfrev_b32_e32 v65, 1
	s_mov_b32 s42, exec_lo
	v_cmpx_ne_u32_e32 0x80, v1
	s_cbranch_execz .LBB258_304
; %bb.299:                              ;   in Loop: Header=BB258_12 Depth=1
	v_and_b32_e32 v67, 0x7f, v1
	v_mov_b32_e32 v65, 0x7c010000
	s_mov_b32 s43, exec_lo
	v_cmpx_ne_u32_e32 0x7f, v67
	s_cbranch_execz .LBB258_303
; %bb.300:                              ;   in Loop: Header=BB258_12 Depth=1
	v_and_b32_e32 v9, 7, v1
	v_lshrrev_b32_e32 v65, 3, v67
	s_mov_b32 s44, exec_lo
	v_cmpx_gt_u32_e32 8, v67
; %bb.301:                              ;   in Loop: Header=BB258_12 Depth=1
	v_ffbh_u32_e32 v9, v9
	v_min_u32_e32 v9, 32, v9
	v_subrev_nc_u32_e32 v11, 28, v9
	v_sub_nc_u32_e32 v65, 29, v9
	v_lshlrev_b64 v[67:68], v11, v[1:2]
	v_and_b32_e32 v9, 7, v67
; %bb.302:                              ;   in Loop: Header=BB258_12 Depth=1
	s_or_b32 exec_lo, exec_lo, s44
	v_lshlrev_b32_e32 v1, 8, v1
	v_lshl_add_u32 v11, v65, 10, 0x2000
	v_lshlrev_b32_e32 v9, 23, v9
	v_and_or_b32 v1, 0x8000, v1, v11
	v_lshl_or_b32 v65, v1, 16, v9
.LBB258_303:                            ;   in Loop: Header=BB258_12 Depth=1
	s_or_b32 exec_lo, exec_lo, s43
.LBB258_304:                            ;   in Loop: Header=BB258_12 Depth=1
	s_or_b32 exec_lo, exec_lo, s42
.LBB258_305:                            ;   in Loop: Header=BB258_12 Depth=1
	s_or_b32 exec_lo, exec_lo, s41
	global_load_dword v9, v[7:8], off offset:1032
	v_mov_b32_e32 v67, 0
	v_mov_b32_e32 v68, 0
	s_waitcnt vmcnt(0)
	v_cmp_ne_u16_sdwa s3, v9, v2 src0_sel:BYTE_0 src1_sel:DWORD
	s_and_saveexec_b32 s41, s3
	s_cbranch_execz .LBB258_313
; %bb.306:                              ;   in Loop: Header=BB258_12 Depth=1
	v_cmp_ne_u16_sdwa s3, v9, v22 src0_sel:BYTE_0 src1_sel:DWORD
	v_mov_b32_e32 v68, 0x8000
	s_and_saveexec_b32 s42, s3
	s_cbranch_execz .LBB258_312
; %bb.307:                              ;   in Loop: Header=BB258_12 Depth=1
	v_and_b32_e32 v69, 0x7f, v9
	v_mov_b32_e32 v68, 0x7c01
	s_mov_b32 s43, exec_lo
	v_cmpx_ne_u32_e32 0x7f, v69
	s_cbranch_execz .LBB258_311
; %bb.308:                              ;   in Loop: Header=BB258_12 Depth=1
	v_and_b32_e32 v1, 7, v9
	v_lshrrev_b32_e32 v68, 3, v69
	s_mov_b32 s44, exec_lo
	v_cmpx_gt_u32_e32 8, v69
; %bb.309:                              ;   in Loop: Header=BB258_12 Depth=1
	v_ffbh_u32_e32 v1, v1
	v_min_u32_e32 v1, 32, v1
	v_subrev_nc_u32_e32 v11, 28, v1
	v_sub_nc_u32_e32 v68, 29, v1
	v_lshlrev_b64 v[69:70], v11, v[9:10]
	v_and_b32_e32 v1, 7, v69
; %bb.310:                              ;   in Loop: Header=BB258_12 Depth=1
	s_or_b32 exec_lo, exec_lo, s44
	v_lshlrev_b32_e32 v11, 8, v9
	v_lshl_add_u32 v12, v68, 10, 0x2000
	v_lshlrev_b32_e32 v1, 7, v1
	v_and_b32_e32 v11, 0x8000, v11
	v_and_b32_e32 v12, 0xfc00, v12
	v_or3_b32 v68, v11, v12, v1
.LBB258_311:                            ;   in Loop: Header=BB258_12 Depth=1
	s_or_b32 exec_lo, exec_lo, s43
.LBB258_312:                            ;   in Loop: Header=BB258_12 Depth=1
	s_or_b32 exec_lo, exec_lo, s42
.LBB258_313:                            ;   in Loop: Header=BB258_12 Depth=1
	s_or_b32 exec_lo, exec_lo, s41
	v_lshrrev_b16 v1, 8, v9
	s_mov_b32 s41, exec_lo
	v_cmpx_ne_u16_e32 0, v1
	s_cbranch_execz .LBB258_321
; %bb.314:                              ;   in Loop: Header=BB258_12 Depth=1
	v_bfrev_b32_e32 v67, 1
	s_mov_b32 s42, exec_lo
	v_cmpx_ne_u16_e32 0x80, v1
	s_cbranch_execz .LBB258_320
; %bb.315:                              ;   in Loop: Header=BB258_12 Depth=1
	v_and_b32_sdwa v70, v1, v23 dst_sel:DWORD dst_unused:UNUSED_PAD src0_sel:WORD_0 src1_sel:DWORD
	v_mov_b32_e32 v67, 0x7c010000
	s_mov_b32 s43, exec_lo
	v_cmpx_ne_u32_e32 0x7f, v70
	s_cbranch_execz .LBB258_319
; %bb.316:                              ;   in Loop: Header=BB258_12 Depth=1
	v_and_b32_sdwa v67, v1, v24 dst_sel:DWORD dst_unused:UNUSED_PAD src0_sel:WORD_0 src1_sel:DWORD
	v_lshrrev_b32_e32 v69, 3, v70
	s_mov_b32 s44, exec_lo
	v_cmpx_gt_u32_e32 8, v70
; %bb.317:                              ;   in Loop: Header=BB258_12 Depth=1
	v_ffbh_u32_e32 v11, v67
	v_min_u32_e32 v11, 32, v11
	v_subrev_nc_u32_e32 v12, 28, v11
	v_sub_nc_u32_e32 v69, 29, v11
	v_lshlrev_b64 v[70:71], v12, v[1:2]
	v_and_b32_e32 v67, 7, v70
; %bb.318:                              ;   in Loop: Header=BB258_12 Depth=1
	s_or_b32 exec_lo, exec_lo, s44
	v_lshlrev_b32_sdwa v1, v25, v1 dst_sel:DWORD dst_unused:UNUSED_PAD src0_sel:DWORD src1_sel:WORD_0
	v_lshl_add_u32 v11, v69, 10, 0x2000
	v_and_or_b32 v1, 0x8000, v1, v11
	v_lshlrev_b32_e32 v11, 23, v67
	v_lshl_or_b32 v67, v1, 16, v11
.LBB258_319:                            ;   in Loop: Header=BB258_12 Depth=1
	s_or_b32 exec_lo, exec_lo, s43
.LBB258_320:                            ;   in Loop: Header=BB258_12 Depth=1
	s_or_b32 exec_lo, exec_lo, s42
.LBB258_321:                            ;   in Loop: Header=BB258_12 Depth=1
	s_or_b32 exec_lo, exec_lo, s41
	v_lshrrev_b32_e32 v1, 16, v9
	v_mov_b32_e32 v69, 0
	v_mov_b32_e32 v70, 0
	v_cmp_ne_u16_sdwa s3, v1, v2 src0_sel:BYTE_0 src1_sel:DWORD
	s_and_saveexec_b32 s41, s3
	s_cbranch_execz .LBB258_329
; %bb.322:                              ;   in Loop: Header=BB258_12 Depth=1
	v_cmp_ne_u16_sdwa s3, v1, v22 src0_sel:BYTE_0 src1_sel:DWORD
	v_mov_b32_e32 v70, 0x8000
	s_and_saveexec_b32 s42, s3
	s_cbranch_execz .LBB258_328
; %bb.323:                              ;   in Loop: Header=BB258_12 Depth=1
	v_bfe_u32 v72, v9, 16, 7
	v_mov_b32_e32 v70, 0x7c01
	s_mov_b32 s43, exec_lo
	v_cmpx_ne_u32_e32 0x7f, v72
	s_cbranch_execz .LBB258_327
; %bb.324:                              ;   in Loop: Header=BB258_12 Depth=1
	v_and_b32_e32 v70, 7, v1
	v_lshrrev_b32_e32 v71, 3, v72
	s_mov_b32 s44, exec_lo
	v_cmpx_gt_u32_e32 8, v72
; %bb.325:                              ;   in Loop: Header=BB258_12 Depth=1
	v_ffbh_u32_e32 v11, v70
	v_min_u32_e32 v11, 32, v11
	v_subrev_nc_u32_e32 v12, 28, v11
	v_lshlrev_b64 v[70:71], v12, v[1:2]
	v_sub_nc_u32_e32 v71, 29, v11
	v_and_b32_e32 v70, 7, v70
; %bb.326:                              ;   in Loop: Header=BB258_12 Depth=1
	s_or_b32 exec_lo, exec_lo, s44
	v_lshlrev_b32_e32 v1, 8, v1
	v_lshl_add_u32 v11, v71, 10, 0x2000
	v_lshlrev_b32_e32 v12, 7, v70
	v_and_b32_e32 v1, 0x8000, v1
	v_and_b32_e32 v11, 0xfc00, v11
	v_or3_b32 v70, v1, v11, v12
.LBB258_327:                            ;   in Loop: Header=BB258_12 Depth=1
	s_or_b32 exec_lo, exec_lo, s43
.LBB258_328:                            ;   in Loop: Header=BB258_12 Depth=1
	s_or_b32 exec_lo, exec_lo, s42
.LBB258_329:                            ;   in Loop: Header=BB258_12 Depth=1
	s_or_b32 exec_lo, exec_lo, s41
	s_mov_b32 s41, exec_lo
	v_cmpx_lt_u32_e32 0xffffff, v9
	s_cbranch_execz .LBB258_337
; %bb.330:                              ;   in Loop: Header=BB258_12 Depth=1
	v_lshrrev_b32_e32 v1, 24, v9
	v_bfrev_b32_e32 v69, 1
	s_mov_b32 s42, exec_lo
	v_cmpx_ne_u32_e32 0x80, v1
	s_cbranch_execz .LBB258_336
; %bb.331:                              ;   in Loop: Header=BB258_12 Depth=1
	v_and_b32_e32 v71, 0x7f, v1
	v_mov_b32_e32 v69, 0x7c010000
	s_mov_b32 s43, exec_lo
	v_cmpx_ne_u32_e32 0x7f, v71
	s_cbranch_execz .LBB258_335
; %bb.332:                              ;   in Loop: Header=BB258_12 Depth=1
	v_and_b32_e32 v9, 7, v1
	v_lshrrev_b32_e32 v69, 3, v71
	s_mov_b32 s44, exec_lo
	v_cmpx_gt_u32_e32 8, v71
; %bb.333:                              ;   in Loop: Header=BB258_12 Depth=1
	v_ffbh_u32_e32 v9, v9
	v_min_u32_e32 v9, 32, v9
	v_subrev_nc_u32_e32 v11, 28, v9
	v_sub_nc_u32_e32 v69, 29, v9
	v_lshlrev_b64 v[71:72], v11, v[1:2]
	v_and_b32_e32 v9, 7, v71
; %bb.334:                              ;   in Loop: Header=BB258_12 Depth=1
	s_or_b32 exec_lo, exec_lo, s44
	v_lshlrev_b32_e32 v1, 8, v1
	v_lshl_add_u32 v11, v69, 10, 0x2000
	v_lshlrev_b32_e32 v9, 23, v9
	v_and_or_b32 v1, 0x8000, v1, v11
	v_lshl_or_b32 v69, v1, 16, v9
.LBB258_335:                            ;   in Loop: Header=BB258_12 Depth=1
	s_or_b32 exec_lo, exec_lo, s43
.LBB258_336:                            ;   in Loop: Header=BB258_12 Depth=1
	s_or_b32 exec_lo, exec_lo, s42
.LBB258_337:                            ;   in Loop: Header=BB258_12 Depth=1
	s_or_b32 exec_lo, exec_lo, s41
	global_load_dword v9, v[7:8], off offset:1280
	v_mov_b32_e32 v71, 0
	v_mov_b32_e32 v72, 0
	s_waitcnt vmcnt(0)
	v_cmp_ne_u16_sdwa s3, v9, v2 src0_sel:BYTE_0 src1_sel:DWORD
	s_and_saveexec_b32 s41, s3
	s_cbranch_execz .LBB258_345
; %bb.338:                              ;   in Loop: Header=BB258_12 Depth=1
	v_cmp_ne_u16_sdwa s3, v9, v22 src0_sel:BYTE_0 src1_sel:DWORD
	v_mov_b32_e32 v72, 0x8000
	s_and_saveexec_b32 s42, s3
	s_cbranch_execz .LBB258_344
; %bb.339:                              ;   in Loop: Header=BB258_12 Depth=1
	v_and_b32_e32 v73, 0x7f, v9
	v_mov_b32_e32 v72, 0x7c01
	s_mov_b32 s43, exec_lo
	v_cmpx_ne_u32_e32 0x7f, v73
	s_cbranch_execz .LBB258_343
; %bb.340:                              ;   in Loop: Header=BB258_12 Depth=1
	v_and_b32_e32 v1, 7, v9
	v_lshrrev_b32_e32 v72, 3, v73
	s_mov_b32 s44, exec_lo
	v_cmpx_gt_u32_e32 8, v73
; %bb.341:                              ;   in Loop: Header=BB258_12 Depth=1
	v_ffbh_u32_e32 v1, v1
	v_min_u32_e32 v1, 32, v1
	v_subrev_nc_u32_e32 v11, 28, v1
	v_sub_nc_u32_e32 v72, 29, v1
	v_lshlrev_b64 v[73:74], v11, v[9:10]
	v_and_b32_e32 v1, 7, v73
; %bb.342:                              ;   in Loop: Header=BB258_12 Depth=1
	s_or_b32 exec_lo, exec_lo, s44
	v_lshlrev_b32_e32 v11, 8, v9
	v_lshl_add_u32 v12, v72, 10, 0x2000
	v_lshlrev_b32_e32 v1, 7, v1
	v_and_b32_e32 v11, 0x8000, v11
	v_and_b32_e32 v12, 0xfc00, v12
	v_or3_b32 v72, v11, v12, v1
.LBB258_343:                            ;   in Loop: Header=BB258_12 Depth=1
	s_or_b32 exec_lo, exec_lo, s43
.LBB258_344:                            ;   in Loop: Header=BB258_12 Depth=1
	s_or_b32 exec_lo, exec_lo, s42
.LBB258_345:                            ;   in Loop: Header=BB258_12 Depth=1
	s_or_b32 exec_lo, exec_lo, s41
	v_lshrrev_b16 v1, 8, v9
	s_mov_b32 s41, exec_lo
	v_cmpx_ne_u16_e32 0, v1
	s_cbranch_execz .LBB258_353
; %bb.346:                              ;   in Loop: Header=BB258_12 Depth=1
	v_bfrev_b32_e32 v71, 1
	s_mov_b32 s42, exec_lo
	v_cmpx_ne_u16_e32 0x80, v1
	s_cbranch_execz .LBB258_352
; %bb.347:                              ;   in Loop: Header=BB258_12 Depth=1
	v_and_b32_sdwa v74, v1, v23 dst_sel:DWORD dst_unused:UNUSED_PAD src0_sel:WORD_0 src1_sel:DWORD
	v_mov_b32_e32 v71, 0x7c010000
	s_mov_b32 s43, exec_lo
	v_cmpx_ne_u32_e32 0x7f, v74
	s_cbranch_execz .LBB258_351
; %bb.348:                              ;   in Loop: Header=BB258_12 Depth=1
	v_and_b32_sdwa v71, v1, v24 dst_sel:DWORD dst_unused:UNUSED_PAD src0_sel:WORD_0 src1_sel:DWORD
	v_lshrrev_b32_e32 v73, 3, v74
	s_mov_b32 s44, exec_lo
	v_cmpx_gt_u32_e32 8, v74
; %bb.349:                              ;   in Loop: Header=BB258_12 Depth=1
	v_ffbh_u32_e32 v11, v71
	v_min_u32_e32 v11, 32, v11
	v_subrev_nc_u32_e32 v12, 28, v11
	v_sub_nc_u32_e32 v73, 29, v11
	v_lshlrev_b64 v[74:75], v12, v[1:2]
	v_and_b32_e32 v71, 7, v74
; %bb.350:                              ;   in Loop: Header=BB258_12 Depth=1
	s_or_b32 exec_lo, exec_lo, s44
	v_lshlrev_b32_sdwa v1, v25, v1 dst_sel:DWORD dst_unused:UNUSED_PAD src0_sel:DWORD src1_sel:WORD_0
	v_lshl_add_u32 v11, v73, 10, 0x2000
	v_and_or_b32 v1, 0x8000, v1, v11
	v_lshlrev_b32_e32 v11, 23, v71
	v_lshl_or_b32 v71, v1, 16, v11
.LBB258_351:                            ;   in Loop: Header=BB258_12 Depth=1
	s_or_b32 exec_lo, exec_lo, s43
.LBB258_352:                            ;   in Loop: Header=BB258_12 Depth=1
	s_or_b32 exec_lo, exec_lo, s42
.LBB258_353:                            ;   in Loop: Header=BB258_12 Depth=1
	s_or_b32 exec_lo, exec_lo, s41
	v_lshrrev_b32_e32 v1, 16, v9
	v_mov_b32_e32 v73, 0
	v_mov_b32_e32 v74, 0
	v_cmp_ne_u16_sdwa s3, v1, v2 src0_sel:BYTE_0 src1_sel:DWORD
	s_and_saveexec_b32 s41, s3
	s_cbranch_execz .LBB258_361
; %bb.354:                              ;   in Loop: Header=BB258_12 Depth=1
	v_cmp_ne_u16_sdwa s3, v1, v22 src0_sel:BYTE_0 src1_sel:DWORD
	v_mov_b32_e32 v74, 0x8000
	s_and_saveexec_b32 s42, s3
	s_cbranch_execz .LBB258_360
; %bb.355:                              ;   in Loop: Header=BB258_12 Depth=1
	v_bfe_u32 v76, v9, 16, 7
	v_mov_b32_e32 v74, 0x7c01
	s_mov_b32 s43, exec_lo
	v_cmpx_ne_u32_e32 0x7f, v76
	s_cbranch_execz .LBB258_359
; %bb.356:                              ;   in Loop: Header=BB258_12 Depth=1
	v_and_b32_e32 v74, 7, v1
	v_lshrrev_b32_e32 v75, 3, v76
	s_mov_b32 s44, exec_lo
	v_cmpx_gt_u32_e32 8, v76
; %bb.357:                              ;   in Loop: Header=BB258_12 Depth=1
	v_ffbh_u32_e32 v11, v74
	v_min_u32_e32 v11, 32, v11
	v_subrev_nc_u32_e32 v12, 28, v11
	v_lshlrev_b64 v[74:75], v12, v[1:2]
	v_sub_nc_u32_e32 v75, 29, v11
	v_and_b32_e32 v74, 7, v74
; %bb.358:                              ;   in Loop: Header=BB258_12 Depth=1
	s_or_b32 exec_lo, exec_lo, s44
	v_lshlrev_b32_e32 v1, 8, v1
	v_lshl_add_u32 v11, v75, 10, 0x2000
	v_lshlrev_b32_e32 v12, 7, v74
	v_and_b32_e32 v1, 0x8000, v1
	v_and_b32_e32 v11, 0xfc00, v11
	v_or3_b32 v74, v1, v11, v12
.LBB258_359:                            ;   in Loop: Header=BB258_12 Depth=1
	s_or_b32 exec_lo, exec_lo, s43
.LBB258_360:                            ;   in Loop: Header=BB258_12 Depth=1
	s_or_b32 exec_lo, exec_lo, s42
.LBB258_361:                            ;   in Loop: Header=BB258_12 Depth=1
	s_or_b32 exec_lo, exec_lo, s41
	s_mov_b32 s41, exec_lo
	v_cmpx_lt_u32_e32 0xffffff, v9
	s_cbranch_execz .LBB258_369
; %bb.362:                              ;   in Loop: Header=BB258_12 Depth=1
	v_lshrrev_b32_e32 v1, 24, v9
	v_bfrev_b32_e32 v73, 1
	s_mov_b32 s42, exec_lo
	v_cmpx_ne_u32_e32 0x80, v1
	s_cbranch_execz .LBB258_368
; %bb.363:                              ;   in Loop: Header=BB258_12 Depth=1
	v_and_b32_e32 v75, 0x7f, v1
	v_mov_b32_e32 v73, 0x7c010000
	s_mov_b32 s43, exec_lo
	v_cmpx_ne_u32_e32 0x7f, v75
	s_cbranch_execz .LBB258_367
; %bb.364:                              ;   in Loop: Header=BB258_12 Depth=1
	v_and_b32_e32 v9, 7, v1
	v_lshrrev_b32_e32 v73, 3, v75
	s_mov_b32 s44, exec_lo
	v_cmpx_gt_u32_e32 8, v75
; %bb.365:                              ;   in Loop: Header=BB258_12 Depth=1
	v_ffbh_u32_e32 v9, v9
	v_min_u32_e32 v9, 32, v9
	v_subrev_nc_u32_e32 v11, 28, v9
	v_sub_nc_u32_e32 v73, 29, v9
	v_lshlrev_b64 v[75:76], v11, v[1:2]
	v_and_b32_e32 v9, 7, v75
; %bb.366:                              ;   in Loop: Header=BB258_12 Depth=1
	s_or_b32 exec_lo, exec_lo, s44
	v_lshlrev_b32_e32 v1, 8, v1
	v_lshl_add_u32 v11, v73, 10, 0x2000
	v_lshlrev_b32_e32 v9, 23, v9
	v_and_or_b32 v1, 0x8000, v1, v11
	v_lshl_or_b32 v73, v1, 16, v9
.LBB258_367:                            ;   in Loop: Header=BB258_12 Depth=1
	s_or_b32 exec_lo, exec_lo, s43
.LBB258_368:                            ;   in Loop: Header=BB258_12 Depth=1
	s_or_b32 exec_lo, exec_lo, s42
.LBB258_369:                            ;   in Loop: Header=BB258_12 Depth=1
	s_or_b32 exec_lo, exec_lo, s41
	global_load_dword v9, v[7:8], off offset:1288
	v_mov_b32_e32 v75, 0
	v_mov_b32_e32 v76, 0
	s_waitcnt vmcnt(0)
	v_cmp_ne_u16_sdwa s3, v9, v2 src0_sel:BYTE_0 src1_sel:DWORD
	s_and_saveexec_b32 s41, s3
	s_cbranch_execz .LBB258_377
; %bb.370:                              ;   in Loop: Header=BB258_12 Depth=1
	v_cmp_ne_u16_sdwa s3, v9, v22 src0_sel:BYTE_0 src1_sel:DWORD
	v_mov_b32_e32 v76, 0x8000
	s_and_saveexec_b32 s42, s3
	s_cbranch_execz .LBB258_376
; %bb.371:                              ;   in Loop: Header=BB258_12 Depth=1
	v_and_b32_e32 v77, 0x7f, v9
	v_mov_b32_e32 v76, 0x7c01
	s_mov_b32 s43, exec_lo
	v_cmpx_ne_u32_e32 0x7f, v77
	s_cbranch_execz .LBB258_375
; %bb.372:                              ;   in Loop: Header=BB258_12 Depth=1
	v_and_b32_e32 v1, 7, v9
	v_lshrrev_b32_e32 v76, 3, v77
	s_mov_b32 s44, exec_lo
	v_cmpx_gt_u32_e32 8, v77
; %bb.373:                              ;   in Loop: Header=BB258_12 Depth=1
	v_ffbh_u32_e32 v1, v1
	v_min_u32_e32 v1, 32, v1
	v_subrev_nc_u32_e32 v11, 28, v1
	v_sub_nc_u32_e32 v76, 29, v1
	v_lshlrev_b64 v[77:78], v11, v[9:10]
	v_and_b32_e32 v1, 7, v77
; %bb.374:                              ;   in Loop: Header=BB258_12 Depth=1
	s_or_b32 exec_lo, exec_lo, s44
	v_lshlrev_b32_e32 v11, 8, v9
	v_lshl_add_u32 v12, v76, 10, 0x2000
	v_lshlrev_b32_e32 v1, 7, v1
	v_and_b32_e32 v11, 0x8000, v11
	v_and_b32_e32 v12, 0xfc00, v12
	v_or3_b32 v76, v11, v12, v1
.LBB258_375:                            ;   in Loop: Header=BB258_12 Depth=1
	s_or_b32 exec_lo, exec_lo, s43
.LBB258_376:                            ;   in Loop: Header=BB258_12 Depth=1
	s_or_b32 exec_lo, exec_lo, s42
.LBB258_377:                            ;   in Loop: Header=BB258_12 Depth=1
	s_or_b32 exec_lo, exec_lo, s41
	v_lshrrev_b16 v1, 8, v9
	s_mov_b32 s41, exec_lo
	v_cmpx_ne_u16_e32 0, v1
	s_cbranch_execz .LBB258_385
; %bb.378:                              ;   in Loop: Header=BB258_12 Depth=1
	v_bfrev_b32_e32 v75, 1
	s_mov_b32 s42, exec_lo
	v_cmpx_ne_u16_e32 0x80, v1
	s_cbranch_execz .LBB258_384
; %bb.379:                              ;   in Loop: Header=BB258_12 Depth=1
	v_and_b32_sdwa v78, v1, v23 dst_sel:DWORD dst_unused:UNUSED_PAD src0_sel:WORD_0 src1_sel:DWORD
	v_mov_b32_e32 v75, 0x7c010000
	s_mov_b32 s43, exec_lo
	v_cmpx_ne_u32_e32 0x7f, v78
	s_cbranch_execz .LBB258_383
; %bb.380:                              ;   in Loop: Header=BB258_12 Depth=1
	v_and_b32_sdwa v75, v1, v24 dst_sel:DWORD dst_unused:UNUSED_PAD src0_sel:WORD_0 src1_sel:DWORD
	v_lshrrev_b32_e32 v77, 3, v78
	s_mov_b32 s44, exec_lo
	v_cmpx_gt_u32_e32 8, v78
; %bb.381:                              ;   in Loop: Header=BB258_12 Depth=1
	v_ffbh_u32_e32 v11, v75
	v_min_u32_e32 v11, 32, v11
	v_subrev_nc_u32_e32 v12, 28, v11
	v_sub_nc_u32_e32 v77, 29, v11
	v_lshlrev_b64 v[78:79], v12, v[1:2]
	v_and_b32_e32 v75, 7, v78
; %bb.382:                              ;   in Loop: Header=BB258_12 Depth=1
	s_or_b32 exec_lo, exec_lo, s44
	v_lshlrev_b32_sdwa v1, v25, v1 dst_sel:DWORD dst_unused:UNUSED_PAD src0_sel:DWORD src1_sel:WORD_0
	v_lshl_add_u32 v11, v77, 10, 0x2000
	v_and_or_b32 v1, 0x8000, v1, v11
	v_lshlrev_b32_e32 v11, 23, v75
	v_lshl_or_b32 v75, v1, 16, v11
.LBB258_383:                            ;   in Loop: Header=BB258_12 Depth=1
	s_or_b32 exec_lo, exec_lo, s43
.LBB258_384:                            ;   in Loop: Header=BB258_12 Depth=1
	s_or_b32 exec_lo, exec_lo, s42
.LBB258_385:                            ;   in Loop: Header=BB258_12 Depth=1
	s_or_b32 exec_lo, exec_lo, s41
	v_lshrrev_b32_e32 v1, 16, v9
	v_mov_b32_e32 v77, 0
	v_mov_b32_e32 v78, 0
	v_cmp_ne_u16_sdwa s3, v1, v2 src0_sel:BYTE_0 src1_sel:DWORD
	s_and_saveexec_b32 s41, s3
	s_cbranch_execz .LBB258_393
; %bb.386:                              ;   in Loop: Header=BB258_12 Depth=1
	v_cmp_ne_u16_sdwa s3, v1, v22 src0_sel:BYTE_0 src1_sel:DWORD
	v_mov_b32_e32 v78, 0x8000
	s_and_saveexec_b32 s42, s3
	s_cbranch_execz .LBB258_392
; %bb.387:                              ;   in Loop: Header=BB258_12 Depth=1
	v_bfe_u32 v80, v9, 16, 7
	v_mov_b32_e32 v78, 0x7c01
	s_mov_b32 s43, exec_lo
	v_cmpx_ne_u32_e32 0x7f, v80
	s_cbranch_execz .LBB258_391
; %bb.388:                              ;   in Loop: Header=BB258_12 Depth=1
	v_and_b32_e32 v78, 7, v1
	v_lshrrev_b32_e32 v79, 3, v80
	s_mov_b32 s44, exec_lo
	v_cmpx_gt_u32_e32 8, v80
; %bb.389:                              ;   in Loop: Header=BB258_12 Depth=1
	v_ffbh_u32_e32 v11, v78
	v_min_u32_e32 v11, 32, v11
	v_subrev_nc_u32_e32 v12, 28, v11
	v_lshlrev_b64 v[78:79], v12, v[1:2]
	v_sub_nc_u32_e32 v79, 29, v11
	v_and_b32_e32 v78, 7, v78
; %bb.390:                              ;   in Loop: Header=BB258_12 Depth=1
	s_or_b32 exec_lo, exec_lo, s44
	v_lshlrev_b32_e32 v1, 8, v1
	v_lshl_add_u32 v11, v79, 10, 0x2000
	v_lshlrev_b32_e32 v12, 7, v78
	v_and_b32_e32 v1, 0x8000, v1
	v_and_b32_e32 v11, 0xfc00, v11
	v_or3_b32 v78, v1, v11, v12
.LBB258_391:                            ;   in Loop: Header=BB258_12 Depth=1
	s_or_b32 exec_lo, exec_lo, s43
.LBB258_392:                            ;   in Loop: Header=BB258_12 Depth=1
	s_or_b32 exec_lo, exec_lo, s42
.LBB258_393:                            ;   in Loop: Header=BB258_12 Depth=1
	s_or_b32 exec_lo, exec_lo, s41
	s_mov_b32 s41, exec_lo
	v_cmpx_lt_u32_e32 0xffffff, v9
	s_cbranch_execz .LBB258_401
; %bb.394:                              ;   in Loop: Header=BB258_12 Depth=1
	v_lshrrev_b32_e32 v1, 24, v9
	v_bfrev_b32_e32 v77, 1
	s_mov_b32 s42, exec_lo
	v_cmpx_ne_u32_e32 0x80, v1
	s_cbranch_execz .LBB258_400
; %bb.395:                              ;   in Loop: Header=BB258_12 Depth=1
	v_and_b32_e32 v79, 0x7f, v1
	v_mov_b32_e32 v77, 0x7c010000
	s_mov_b32 s43, exec_lo
	v_cmpx_ne_u32_e32 0x7f, v79
	s_cbranch_execz .LBB258_399
; %bb.396:                              ;   in Loop: Header=BB258_12 Depth=1
	v_and_b32_e32 v9, 7, v1
	v_lshrrev_b32_e32 v77, 3, v79
	s_mov_b32 s44, exec_lo
	v_cmpx_gt_u32_e32 8, v79
; %bb.397:                              ;   in Loop: Header=BB258_12 Depth=1
	v_ffbh_u32_e32 v9, v9
	v_min_u32_e32 v9, 32, v9
	v_subrev_nc_u32_e32 v11, 28, v9
	v_sub_nc_u32_e32 v77, 29, v9
	v_lshlrev_b64 v[79:80], v11, v[1:2]
	v_and_b32_e32 v9, 7, v79
; %bb.398:                              ;   in Loop: Header=BB258_12 Depth=1
	s_or_b32 exec_lo, exec_lo, s44
	v_lshlrev_b32_e32 v1, 8, v1
	v_lshl_add_u32 v11, v77, 10, 0x2000
	v_lshlrev_b32_e32 v9, 23, v9
	v_and_or_b32 v1, 0x8000, v1, v11
	v_lshl_or_b32 v77, v1, 16, v9
.LBB258_399:                            ;   in Loop: Header=BB258_12 Depth=1
	s_or_b32 exec_lo, exec_lo, s43
.LBB258_400:                            ;   in Loop: Header=BB258_12 Depth=1
	s_or_b32 exec_lo, exec_lo, s42
.LBB258_401:                            ;   in Loop: Header=BB258_12 Depth=1
	s_or_b32 exec_lo, exec_lo, s41
	global_load_dword v9, v[7:8], off offset:1536
	v_mov_b32_e32 v79, 0
	v_mov_b32_e32 v80, 0
	s_waitcnt vmcnt(0)
	v_cmp_ne_u16_sdwa s3, v9, v2 src0_sel:BYTE_0 src1_sel:DWORD
	s_and_saveexec_b32 s41, s3
	s_cbranch_execz .LBB258_409
; %bb.402:                              ;   in Loop: Header=BB258_12 Depth=1
	v_cmp_ne_u16_sdwa s3, v9, v22 src0_sel:BYTE_0 src1_sel:DWORD
	v_mov_b32_e32 v80, 0x8000
	s_and_saveexec_b32 s42, s3
	s_cbranch_execz .LBB258_408
; %bb.403:                              ;   in Loop: Header=BB258_12 Depth=1
	v_and_b32_e32 v81, 0x7f, v9
	v_mov_b32_e32 v80, 0x7c01
	s_mov_b32 s43, exec_lo
	v_cmpx_ne_u32_e32 0x7f, v81
	s_cbranch_execz .LBB258_407
; %bb.404:                              ;   in Loop: Header=BB258_12 Depth=1
	v_and_b32_e32 v1, 7, v9
	v_lshrrev_b32_e32 v80, 3, v81
	s_mov_b32 s44, exec_lo
	v_cmpx_gt_u32_e32 8, v81
; %bb.405:                              ;   in Loop: Header=BB258_12 Depth=1
	v_ffbh_u32_e32 v1, v1
	v_min_u32_e32 v1, 32, v1
	v_subrev_nc_u32_e32 v11, 28, v1
	v_sub_nc_u32_e32 v80, 29, v1
	v_lshlrev_b64 v[81:82], v11, v[9:10]
	v_and_b32_e32 v1, 7, v81
; %bb.406:                              ;   in Loop: Header=BB258_12 Depth=1
	s_or_b32 exec_lo, exec_lo, s44
	v_lshlrev_b32_e32 v11, 8, v9
	v_lshl_add_u32 v12, v80, 10, 0x2000
	v_lshlrev_b32_e32 v1, 7, v1
	v_and_b32_e32 v11, 0x8000, v11
	v_and_b32_e32 v12, 0xfc00, v12
	v_or3_b32 v80, v11, v12, v1
.LBB258_407:                            ;   in Loop: Header=BB258_12 Depth=1
	s_or_b32 exec_lo, exec_lo, s43
.LBB258_408:                            ;   in Loop: Header=BB258_12 Depth=1
	s_or_b32 exec_lo, exec_lo, s42
.LBB258_409:                            ;   in Loop: Header=BB258_12 Depth=1
	s_or_b32 exec_lo, exec_lo, s41
	v_lshrrev_b16 v1, 8, v9
	s_mov_b32 s41, exec_lo
	v_cmpx_ne_u16_e32 0, v1
	s_cbranch_execz .LBB258_417
; %bb.410:                              ;   in Loop: Header=BB258_12 Depth=1
	v_bfrev_b32_e32 v79, 1
	s_mov_b32 s42, exec_lo
	v_cmpx_ne_u16_e32 0x80, v1
	s_cbranch_execz .LBB258_416
; %bb.411:                              ;   in Loop: Header=BB258_12 Depth=1
	v_and_b32_sdwa v82, v1, v23 dst_sel:DWORD dst_unused:UNUSED_PAD src0_sel:WORD_0 src1_sel:DWORD
	v_mov_b32_e32 v79, 0x7c010000
	s_mov_b32 s43, exec_lo
	v_cmpx_ne_u32_e32 0x7f, v82
	s_cbranch_execz .LBB258_415
; %bb.412:                              ;   in Loop: Header=BB258_12 Depth=1
	v_and_b32_sdwa v79, v1, v24 dst_sel:DWORD dst_unused:UNUSED_PAD src0_sel:WORD_0 src1_sel:DWORD
	v_lshrrev_b32_e32 v81, 3, v82
	s_mov_b32 s44, exec_lo
	v_cmpx_gt_u32_e32 8, v82
; %bb.413:                              ;   in Loop: Header=BB258_12 Depth=1
	v_ffbh_u32_e32 v11, v79
	v_min_u32_e32 v11, 32, v11
	v_subrev_nc_u32_e32 v12, 28, v11
	v_sub_nc_u32_e32 v81, 29, v11
	v_lshlrev_b64 v[82:83], v12, v[1:2]
	v_and_b32_e32 v79, 7, v82
; %bb.414:                              ;   in Loop: Header=BB258_12 Depth=1
	s_or_b32 exec_lo, exec_lo, s44
	v_lshlrev_b32_sdwa v1, v25, v1 dst_sel:DWORD dst_unused:UNUSED_PAD src0_sel:DWORD src1_sel:WORD_0
	v_lshl_add_u32 v11, v81, 10, 0x2000
	v_and_or_b32 v1, 0x8000, v1, v11
	v_lshlrev_b32_e32 v11, 23, v79
	v_lshl_or_b32 v79, v1, 16, v11
.LBB258_415:                            ;   in Loop: Header=BB258_12 Depth=1
	s_or_b32 exec_lo, exec_lo, s43
.LBB258_416:                            ;   in Loop: Header=BB258_12 Depth=1
	s_or_b32 exec_lo, exec_lo, s42
.LBB258_417:                            ;   in Loop: Header=BB258_12 Depth=1
	s_or_b32 exec_lo, exec_lo, s41
	v_lshrrev_b32_e32 v1, 16, v9
	v_mov_b32_e32 v81, 0
	v_mov_b32_e32 v82, 0
	v_cmp_ne_u16_sdwa s3, v1, v2 src0_sel:BYTE_0 src1_sel:DWORD
	s_and_saveexec_b32 s41, s3
	s_cbranch_execz .LBB258_425
; %bb.418:                              ;   in Loop: Header=BB258_12 Depth=1
	v_cmp_ne_u16_sdwa s3, v1, v22 src0_sel:BYTE_0 src1_sel:DWORD
	v_mov_b32_e32 v82, 0x8000
	s_and_saveexec_b32 s42, s3
	s_cbranch_execz .LBB258_424
; %bb.419:                              ;   in Loop: Header=BB258_12 Depth=1
	v_bfe_u32 v84, v9, 16, 7
	v_mov_b32_e32 v82, 0x7c01
	s_mov_b32 s43, exec_lo
	v_cmpx_ne_u32_e32 0x7f, v84
	s_cbranch_execz .LBB258_423
; %bb.420:                              ;   in Loop: Header=BB258_12 Depth=1
	v_and_b32_e32 v82, 7, v1
	v_lshrrev_b32_e32 v83, 3, v84
	s_mov_b32 s44, exec_lo
	v_cmpx_gt_u32_e32 8, v84
; %bb.421:                              ;   in Loop: Header=BB258_12 Depth=1
	v_ffbh_u32_e32 v11, v82
	v_min_u32_e32 v11, 32, v11
	v_subrev_nc_u32_e32 v12, 28, v11
	v_lshlrev_b64 v[82:83], v12, v[1:2]
	v_sub_nc_u32_e32 v83, 29, v11
	v_and_b32_e32 v82, 7, v82
; %bb.422:                              ;   in Loop: Header=BB258_12 Depth=1
	s_or_b32 exec_lo, exec_lo, s44
	v_lshlrev_b32_e32 v1, 8, v1
	v_lshl_add_u32 v11, v83, 10, 0x2000
	v_lshlrev_b32_e32 v12, 7, v82
	v_and_b32_e32 v1, 0x8000, v1
	v_and_b32_e32 v11, 0xfc00, v11
	v_or3_b32 v82, v1, v11, v12
.LBB258_423:                            ;   in Loop: Header=BB258_12 Depth=1
	s_or_b32 exec_lo, exec_lo, s43
.LBB258_424:                            ;   in Loop: Header=BB258_12 Depth=1
	s_or_b32 exec_lo, exec_lo, s42
.LBB258_425:                            ;   in Loop: Header=BB258_12 Depth=1
	s_or_b32 exec_lo, exec_lo, s41
	s_mov_b32 s41, exec_lo
	v_cmpx_lt_u32_e32 0xffffff, v9
	s_cbranch_execz .LBB258_433
; %bb.426:                              ;   in Loop: Header=BB258_12 Depth=1
	v_lshrrev_b32_e32 v1, 24, v9
	v_bfrev_b32_e32 v81, 1
	s_mov_b32 s42, exec_lo
	v_cmpx_ne_u32_e32 0x80, v1
	s_cbranch_execz .LBB258_432
; %bb.427:                              ;   in Loop: Header=BB258_12 Depth=1
	v_and_b32_e32 v83, 0x7f, v1
	v_mov_b32_e32 v81, 0x7c010000
	s_mov_b32 s43, exec_lo
	v_cmpx_ne_u32_e32 0x7f, v83
	s_cbranch_execz .LBB258_431
; %bb.428:                              ;   in Loop: Header=BB258_12 Depth=1
	v_and_b32_e32 v9, 7, v1
	v_lshrrev_b32_e32 v81, 3, v83
	s_mov_b32 s44, exec_lo
	v_cmpx_gt_u32_e32 8, v83
; %bb.429:                              ;   in Loop: Header=BB258_12 Depth=1
	v_ffbh_u32_e32 v9, v9
	v_min_u32_e32 v9, 32, v9
	v_subrev_nc_u32_e32 v11, 28, v9
	v_sub_nc_u32_e32 v81, 29, v9
	v_lshlrev_b64 v[83:84], v11, v[1:2]
	v_and_b32_e32 v9, 7, v83
; %bb.430:                              ;   in Loop: Header=BB258_12 Depth=1
	s_or_b32 exec_lo, exec_lo, s44
	v_lshlrev_b32_e32 v1, 8, v1
	v_lshl_add_u32 v11, v81, 10, 0x2000
	v_lshlrev_b32_e32 v9, 23, v9
	v_and_or_b32 v1, 0x8000, v1, v11
	v_lshl_or_b32 v81, v1, 16, v9
.LBB258_431:                            ;   in Loop: Header=BB258_12 Depth=1
	s_or_b32 exec_lo, exec_lo, s43
.LBB258_432:                            ;   in Loop: Header=BB258_12 Depth=1
	s_or_b32 exec_lo, exec_lo, s42
.LBB258_433:                            ;   in Loop: Header=BB258_12 Depth=1
	s_or_b32 exec_lo, exec_lo, s41
	global_load_dword v9, v[7:8], off offset:1544
	v_mov_b32_e32 v83, 0
	v_mov_b32_e32 v84, 0
	s_waitcnt vmcnt(0)
	v_cmp_ne_u16_sdwa s3, v9, v2 src0_sel:BYTE_0 src1_sel:DWORD
	s_and_saveexec_b32 s41, s3
	s_cbranch_execz .LBB258_441
; %bb.434:                              ;   in Loop: Header=BB258_12 Depth=1
	v_cmp_ne_u16_sdwa s3, v9, v22 src0_sel:BYTE_0 src1_sel:DWORD
	v_mov_b32_e32 v84, 0x8000
	s_and_saveexec_b32 s42, s3
	s_cbranch_execz .LBB258_440
; %bb.435:                              ;   in Loop: Header=BB258_12 Depth=1
	v_and_b32_e32 v85, 0x7f, v9
	v_mov_b32_e32 v84, 0x7c01
	s_mov_b32 s43, exec_lo
	v_cmpx_ne_u32_e32 0x7f, v85
	s_cbranch_execz .LBB258_439
; %bb.436:                              ;   in Loop: Header=BB258_12 Depth=1
	v_and_b32_e32 v1, 7, v9
	v_lshrrev_b32_e32 v84, 3, v85
	s_mov_b32 s44, exec_lo
	v_cmpx_gt_u32_e32 8, v85
; %bb.437:                              ;   in Loop: Header=BB258_12 Depth=1
	v_ffbh_u32_e32 v1, v1
	v_min_u32_e32 v1, 32, v1
	v_subrev_nc_u32_e32 v11, 28, v1
	v_sub_nc_u32_e32 v84, 29, v1
	v_lshlrev_b64 v[85:86], v11, v[9:10]
	v_and_b32_e32 v1, 7, v85
; %bb.438:                              ;   in Loop: Header=BB258_12 Depth=1
	s_or_b32 exec_lo, exec_lo, s44
	v_lshlrev_b32_e32 v11, 8, v9
	v_lshl_add_u32 v12, v84, 10, 0x2000
	v_lshlrev_b32_e32 v1, 7, v1
	v_and_b32_e32 v11, 0x8000, v11
	v_and_b32_e32 v12, 0xfc00, v12
	v_or3_b32 v84, v11, v12, v1
.LBB258_439:                            ;   in Loop: Header=BB258_12 Depth=1
	s_or_b32 exec_lo, exec_lo, s43
.LBB258_440:                            ;   in Loop: Header=BB258_12 Depth=1
	s_or_b32 exec_lo, exec_lo, s42
.LBB258_441:                            ;   in Loop: Header=BB258_12 Depth=1
	s_or_b32 exec_lo, exec_lo, s41
	v_lshrrev_b16 v1, 8, v9
	s_mov_b32 s41, exec_lo
	v_cmpx_ne_u16_e32 0, v1
	s_cbranch_execz .LBB258_449
; %bb.442:                              ;   in Loop: Header=BB258_12 Depth=1
	v_bfrev_b32_e32 v83, 1
	s_mov_b32 s42, exec_lo
	v_cmpx_ne_u16_e32 0x80, v1
	s_cbranch_execz .LBB258_448
; %bb.443:                              ;   in Loop: Header=BB258_12 Depth=1
	v_and_b32_sdwa v86, v1, v23 dst_sel:DWORD dst_unused:UNUSED_PAD src0_sel:WORD_0 src1_sel:DWORD
	v_mov_b32_e32 v83, 0x7c010000
	s_mov_b32 s43, exec_lo
	v_cmpx_ne_u32_e32 0x7f, v86
	s_cbranch_execz .LBB258_447
; %bb.444:                              ;   in Loop: Header=BB258_12 Depth=1
	v_and_b32_sdwa v83, v1, v24 dst_sel:DWORD dst_unused:UNUSED_PAD src0_sel:WORD_0 src1_sel:DWORD
	v_lshrrev_b32_e32 v85, 3, v86
	s_mov_b32 s44, exec_lo
	v_cmpx_gt_u32_e32 8, v86
; %bb.445:                              ;   in Loop: Header=BB258_12 Depth=1
	v_ffbh_u32_e32 v11, v83
	v_min_u32_e32 v11, 32, v11
	v_subrev_nc_u32_e32 v12, 28, v11
	v_sub_nc_u32_e32 v85, 29, v11
	v_lshlrev_b64 v[86:87], v12, v[1:2]
	v_and_b32_e32 v83, 7, v86
; %bb.446:                              ;   in Loop: Header=BB258_12 Depth=1
	s_or_b32 exec_lo, exec_lo, s44
	v_lshlrev_b32_sdwa v1, v25, v1 dst_sel:DWORD dst_unused:UNUSED_PAD src0_sel:DWORD src1_sel:WORD_0
	v_lshl_add_u32 v11, v85, 10, 0x2000
	v_and_or_b32 v1, 0x8000, v1, v11
	v_lshlrev_b32_e32 v11, 23, v83
	v_lshl_or_b32 v83, v1, 16, v11
.LBB258_447:                            ;   in Loop: Header=BB258_12 Depth=1
	s_or_b32 exec_lo, exec_lo, s43
.LBB258_448:                            ;   in Loop: Header=BB258_12 Depth=1
	s_or_b32 exec_lo, exec_lo, s42
.LBB258_449:                            ;   in Loop: Header=BB258_12 Depth=1
	s_or_b32 exec_lo, exec_lo, s41
	v_lshrrev_b32_e32 v1, 16, v9
	v_mov_b32_e32 v85, 0
	v_mov_b32_e32 v86, 0
	v_cmp_ne_u16_sdwa s3, v1, v2 src0_sel:BYTE_0 src1_sel:DWORD
	s_and_saveexec_b32 s41, s3
	s_cbranch_execz .LBB258_457
; %bb.450:                              ;   in Loop: Header=BB258_12 Depth=1
	v_cmp_ne_u16_sdwa s3, v1, v22 src0_sel:BYTE_0 src1_sel:DWORD
	v_mov_b32_e32 v86, 0x8000
	s_and_saveexec_b32 s42, s3
	s_cbranch_execz .LBB258_456
; %bb.451:                              ;   in Loop: Header=BB258_12 Depth=1
	v_bfe_u32 v88, v9, 16, 7
	v_mov_b32_e32 v86, 0x7c01
	s_mov_b32 s43, exec_lo
	v_cmpx_ne_u32_e32 0x7f, v88
	s_cbranch_execz .LBB258_455
; %bb.452:                              ;   in Loop: Header=BB258_12 Depth=1
	v_and_b32_e32 v86, 7, v1
	v_lshrrev_b32_e32 v87, 3, v88
	s_mov_b32 s44, exec_lo
	v_cmpx_gt_u32_e32 8, v88
; %bb.453:                              ;   in Loop: Header=BB258_12 Depth=1
	v_ffbh_u32_e32 v11, v86
	v_min_u32_e32 v11, 32, v11
	v_subrev_nc_u32_e32 v12, 28, v11
	v_lshlrev_b64 v[86:87], v12, v[1:2]
	v_sub_nc_u32_e32 v87, 29, v11
	v_and_b32_e32 v86, 7, v86
; %bb.454:                              ;   in Loop: Header=BB258_12 Depth=1
	s_or_b32 exec_lo, exec_lo, s44
	v_lshlrev_b32_e32 v1, 8, v1
	v_lshl_add_u32 v11, v87, 10, 0x2000
	v_lshlrev_b32_e32 v12, 7, v86
	v_and_b32_e32 v1, 0x8000, v1
	v_and_b32_e32 v11, 0xfc00, v11
	v_or3_b32 v86, v1, v11, v12
.LBB258_455:                            ;   in Loop: Header=BB258_12 Depth=1
	s_or_b32 exec_lo, exec_lo, s43
.LBB258_456:                            ;   in Loop: Header=BB258_12 Depth=1
	s_or_b32 exec_lo, exec_lo, s42
.LBB258_457:                            ;   in Loop: Header=BB258_12 Depth=1
	s_or_b32 exec_lo, exec_lo, s41
	s_mov_b32 s41, exec_lo
	v_cmpx_lt_u32_e32 0xffffff, v9
	s_cbranch_execz .LBB258_465
; %bb.458:                              ;   in Loop: Header=BB258_12 Depth=1
	v_lshrrev_b32_e32 v1, 24, v9
	v_bfrev_b32_e32 v85, 1
	s_mov_b32 s42, exec_lo
	v_cmpx_ne_u32_e32 0x80, v1
	s_cbranch_execz .LBB258_464
; %bb.459:                              ;   in Loop: Header=BB258_12 Depth=1
	v_and_b32_e32 v87, 0x7f, v1
	v_mov_b32_e32 v85, 0x7c010000
	s_mov_b32 s43, exec_lo
	v_cmpx_ne_u32_e32 0x7f, v87
	s_cbranch_execz .LBB258_463
; %bb.460:                              ;   in Loop: Header=BB258_12 Depth=1
	v_and_b32_e32 v9, 7, v1
	v_lshrrev_b32_e32 v85, 3, v87
	s_mov_b32 s44, exec_lo
	v_cmpx_gt_u32_e32 8, v87
; %bb.461:                              ;   in Loop: Header=BB258_12 Depth=1
	v_ffbh_u32_e32 v9, v9
	v_min_u32_e32 v9, 32, v9
	v_subrev_nc_u32_e32 v11, 28, v9
	v_sub_nc_u32_e32 v85, 29, v9
	v_lshlrev_b64 v[87:88], v11, v[1:2]
	v_and_b32_e32 v9, 7, v87
; %bb.462:                              ;   in Loop: Header=BB258_12 Depth=1
	s_or_b32 exec_lo, exec_lo, s44
	v_lshlrev_b32_e32 v1, 8, v1
	v_lshl_add_u32 v11, v85, 10, 0x2000
	v_lshlrev_b32_e32 v9, 23, v9
	v_and_or_b32 v1, 0x8000, v1, v11
	v_lshl_or_b32 v85, v1, 16, v9
.LBB258_463:                            ;   in Loop: Header=BB258_12 Depth=1
	s_or_b32 exec_lo, exec_lo, s43
.LBB258_464:                            ;   in Loop: Header=BB258_12 Depth=1
	s_or_b32 exec_lo, exec_lo, s42
.LBB258_465:                            ;   in Loop: Header=BB258_12 Depth=1
	s_or_b32 exec_lo, exec_lo, s41
	global_load_dword v9, v[7:8], off offset:1792
	v_mov_b32_e32 v87, 0
	v_mov_b32_e32 v88, 0
	s_waitcnt vmcnt(0)
	v_cmp_ne_u16_sdwa s3, v9, v2 src0_sel:BYTE_0 src1_sel:DWORD
	s_and_saveexec_b32 s41, s3
	s_cbranch_execz .LBB258_473
; %bb.466:                              ;   in Loop: Header=BB258_12 Depth=1
	v_cmp_ne_u16_sdwa s3, v9, v22 src0_sel:BYTE_0 src1_sel:DWORD
	v_mov_b32_e32 v88, 0x8000
	s_and_saveexec_b32 s42, s3
	s_cbranch_execz .LBB258_472
; %bb.467:                              ;   in Loop: Header=BB258_12 Depth=1
	v_and_b32_e32 v89, 0x7f, v9
	v_mov_b32_e32 v88, 0x7c01
	s_mov_b32 s43, exec_lo
	v_cmpx_ne_u32_e32 0x7f, v89
	s_cbranch_execz .LBB258_471
; %bb.468:                              ;   in Loop: Header=BB258_12 Depth=1
	v_and_b32_e32 v1, 7, v9
	v_lshrrev_b32_e32 v88, 3, v89
	s_mov_b32 s44, exec_lo
	v_cmpx_gt_u32_e32 8, v89
; %bb.469:                              ;   in Loop: Header=BB258_12 Depth=1
	v_ffbh_u32_e32 v1, v1
	v_min_u32_e32 v1, 32, v1
	v_subrev_nc_u32_e32 v11, 28, v1
	v_sub_nc_u32_e32 v88, 29, v1
	v_lshlrev_b64 v[89:90], v11, v[9:10]
	v_and_b32_e32 v1, 7, v89
; %bb.470:                              ;   in Loop: Header=BB258_12 Depth=1
	s_or_b32 exec_lo, exec_lo, s44
	v_lshlrev_b32_e32 v11, 8, v9
	v_lshl_add_u32 v12, v88, 10, 0x2000
	v_lshlrev_b32_e32 v1, 7, v1
	v_and_b32_e32 v11, 0x8000, v11
	v_and_b32_e32 v12, 0xfc00, v12
	v_or3_b32 v88, v11, v12, v1
.LBB258_471:                            ;   in Loop: Header=BB258_12 Depth=1
	s_or_b32 exec_lo, exec_lo, s43
.LBB258_472:                            ;   in Loop: Header=BB258_12 Depth=1
	s_or_b32 exec_lo, exec_lo, s42
.LBB258_473:                            ;   in Loop: Header=BB258_12 Depth=1
	s_or_b32 exec_lo, exec_lo, s41
	v_lshrrev_b16 v1, 8, v9
	s_mov_b32 s41, exec_lo
	v_cmpx_ne_u16_e32 0, v1
	s_cbranch_execz .LBB258_481
; %bb.474:                              ;   in Loop: Header=BB258_12 Depth=1
	v_bfrev_b32_e32 v87, 1
	s_mov_b32 s42, exec_lo
	v_cmpx_ne_u16_e32 0x80, v1
	s_cbranch_execz .LBB258_480
; %bb.475:                              ;   in Loop: Header=BB258_12 Depth=1
	v_and_b32_sdwa v90, v1, v23 dst_sel:DWORD dst_unused:UNUSED_PAD src0_sel:WORD_0 src1_sel:DWORD
	v_mov_b32_e32 v87, 0x7c010000
	s_mov_b32 s43, exec_lo
	v_cmpx_ne_u32_e32 0x7f, v90
	s_cbranch_execz .LBB258_479
; %bb.476:                              ;   in Loop: Header=BB258_12 Depth=1
	v_and_b32_sdwa v87, v1, v24 dst_sel:DWORD dst_unused:UNUSED_PAD src0_sel:WORD_0 src1_sel:DWORD
	v_lshrrev_b32_e32 v89, 3, v90
	s_mov_b32 s44, exec_lo
	v_cmpx_gt_u32_e32 8, v90
; %bb.477:                              ;   in Loop: Header=BB258_12 Depth=1
	v_ffbh_u32_e32 v11, v87
	v_min_u32_e32 v11, 32, v11
	v_subrev_nc_u32_e32 v12, 28, v11
	v_sub_nc_u32_e32 v89, 29, v11
	v_lshlrev_b64 v[90:91], v12, v[1:2]
	v_and_b32_e32 v87, 7, v90
; %bb.478:                              ;   in Loop: Header=BB258_12 Depth=1
	s_or_b32 exec_lo, exec_lo, s44
	v_lshlrev_b32_sdwa v1, v25, v1 dst_sel:DWORD dst_unused:UNUSED_PAD src0_sel:DWORD src1_sel:WORD_0
	v_lshl_add_u32 v11, v89, 10, 0x2000
	v_and_or_b32 v1, 0x8000, v1, v11
	v_lshlrev_b32_e32 v11, 23, v87
	v_lshl_or_b32 v87, v1, 16, v11
.LBB258_479:                            ;   in Loop: Header=BB258_12 Depth=1
	s_or_b32 exec_lo, exec_lo, s43
.LBB258_480:                            ;   in Loop: Header=BB258_12 Depth=1
	s_or_b32 exec_lo, exec_lo, s42
.LBB258_481:                            ;   in Loop: Header=BB258_12 Depth=1
	s_or_b32 exec_lo, exec_lo, s41
	v_lshrrev_b32_e32 v1, 16, v9
	v_mov_b32_e32 v89, 0
	v_mov_b32_e32 v90, 0
	v_cmp_ne_u16_sdwa s3, v1, v2 src0_sel:BYTE_0 src1_sel:DWORD
	s_and_saveexec_b32 s41, s3
	s_cbranch_execz .LBB258_489
; %bb.482:                              ;   in Loop: Header=BB258_12 Depth=1
	v_cmp_ne_u16_sdwa s3, v1, v22 src0_sel:BYTE_0 src1_sel:DWORD
	v_mov_b32_e32 v90, 0x8000
	s_and_saveexec_b32 s42, s3
	s_cbranch_execz .LBB258_488
; %bb.483:                              ;   in Loop: Header=BB258_12 Depth=1
	v_bfe_u32 v92, v9, 16, 7
	v_mov_b32_e32 v90, 0x7c01
	s_mov_b32 s43, exec_lo
	v_cmpx_ne_u32_e32 0x7f, v92
	s_cbranch_execz .LBB258_487
; %bb.484:                              ;   in Loop: Header=BB258_12 Depth=1
	v_and_b32_e32 v90, 7, v1
	v_lshrrev_b32_e32 v91, 3, v92
	s_mov_b32 s44, exec_lo
	v_cmpx_gt_u32_e32 8, v92
; %bb.485:                              ;   in Loop: Header=BB258_12 Depth=1
	v_ffbh_u32_e32 v11, v90
	v_min_u32_e32 v11, 32, v11
	v_subrev_nc_u32_e32 v12, 28, v11
	v_lshlrev_b64 v[90:91], v12, v[1:2]
	v_sub_nc_u32_e32 v91, 29, v11
	v_and_b32_e32 v90, 7, v90
; %bb.486:                              ;   in Loop: Header=BB258_12 Depth=1
	s_or_b32 exec_lo, exec_lo, s44
	v_lshlrev_b32_e32 v1, 8, v1
	v_lshl_add_u32 v11, v91, 10, 0x2000
	v_lshlrev_b32_e32 v12, 7, v90
	v_and_b32_e32 v1, 0x8000, v1
	v_and_b32_e32 v11, 0xfc00, v11
	v_or3_b32 v90, v1, v11, v12
.LBB258_487:                            ;   in Loop: Header=BB258_12 Depth=1
	s_or_b32 exec_lo, exec_lo, s43
.LBB258_488:                            ;   in Loop: Header=BB258_12 Depth=1
	s_or_b32 exec_lo, exec_lo, s42
.LBB258_489:                            ;   in Loop: Header=BB258_12 Depth=1
	s_or_b32 exec_lo, exec_lo, s41
	s_mov_b32 s41, exec_lo
	v_cmpx_lt_u32_e32 0xffffff, v9
	s_cbranch_execz .LBB258_497
; %bb.490:                              ;   in Loop: Header=BB258_12 Depth=1
	v_lshrrev_b32_e32 v1, 24, v9
	v_bfrev_b32_e32 v89, 1
	s_mov_b32 s42, exec_lo
	v_cmpx_ne_u32_e32 0x80, v1
	s_cbranch_execz .LBB258_496
; %bb.491:                              ;   in Loop: Header=BB258_12 Depth=1
	v_and_b32_e32 v91, 0x7f, v1
	v_mov_b32_e32 v89, 0x7c010000
	s_mov_b32 s43, exec_lo
	v_cmpx_ne_u32_e32 0x7f, v91
	s_cbranch_execz .LBB258_495
; %bb.492:                              ;   in Loop: Header=BB258_12 Depth=1
	v_and_b32_e32 v9, 7, v1
	v_lshrrev_b32_e32 v89, 3, v91
	s_mov_b32 s44, exec_lo
	v_cmpx_gt_u32_e32 8, v91
; %bb.493:                              ;   in Loop: Header=BB258_12 Depth=1
	v_ffbh_u32_e32 v9, v9
	v_min_u32_e32 v9, 32, v9
	v_subrev_nc_u32_e32 v11, 28, v9
	v_sub_nc_u32_e32 v89, 29, v9
	v_lshlrev_b64 v[91:92], v11, v[1:2]
	v_and_b32_e32 v9, 7, v91
; %bb.494:                              ;   in Loop: Header=BB258_12 Depth=1
	s_or_b32 exec_lo, exec_lo, s44
	v_lshlrev_b32_e32 v1, 8, v1
	v_lshl_add_u32 v11, v89, 10, 0x2000
	v_lshlrev_b32_e32 v9, 23, v9
	v_and_or_b32 v1, 0x8000, v1, v11
	v_lshl_or_b32 v89, v1, 16, v9
.LBB258_495:                            ;   in Loop: Header=BB258_12 Depth=1
	s_or_b32 exec_lo, exec_lo, s43
.LBB258_496:                            ;   in Loop: Header=BB258_12 Depth=1
	s_or_b32 exec_lo, exec_lo, s42
.LBB258_497:                            ;   in Loop: Header=BB258_12 Depth=1
	s_or_b32 exec_lo, exec_lo, s41
	global_load_dword v7, v[7:8], off offset:1800
	v_mov_b32_e32 v8, 0
	v_mov_b32_e32 v9, 0
	s_waitcnt vmcnt(0)
	v_cmp_ne_u16_sdwa s3, v7, v2 src0_sel:BYTE_0 src1_sel:DWORD
	s_and_saveexec_b32 s41, s3
	s_cbranch_execz .LBB258_505
; %bb.498:                              ;   in Loop: Header=BB258_12 Depth=1
	v_cmp_ne_u16_sdwa s3, v7, v22 src0_sel:BYTE_0 src1_sel:DWORD
	v_mov_b32_e32 v9, 0x8000
	s_and_saveexec_b32 s42, s3
	s_cbranch_execz .LBB258_504
; %bb.499:                              ;   in Loop: Header=BB258_12 Depth=1
	v_and_b32_e32 v91, 0x7f, v7
	v_mov_b32_e32 v9, 0x7c01
	s_mov_b32 s43, exec_lo
	v_cmpx_ne_u32_e32 0x7f, v91
	s_cbranch_execz .LBB258_503
; %bb.500:                              ;   in Loop: Header=BB258_12 Depth=1
	v_and_b32_e32 v1, 7, v7
	v_lshrrev_b32_e32 v9, 3, v91
	s_mov_b32 s44, exec_lo
	v_cmpx_gt_u32_e32 8, v91
; %bb.501:                              ;   in Loop: Header=BB258_12 Depth=1
	v_ffbh_u32_e32 v1, v1
	v_min_u32_e32 v1, 32, v1
	v_subrev_nc_u32_e32 v9, 28, v1
	v_lshlrev_b64 v[91:92], v9, v[7:8]
	v_sub_nc_u32_e32 v9, 29, v1
	v_and_b32_e32 v1, 7, v91
; %bb.502:                              ;   in Loop: Header=BB258_12 Depth=1
	s_or_b32 exec_lo, exec_lo, s44
	v_lshlrev_b32_e32 v11, 8, v7
	v_lshl_add_u32 v9, v9, 10, 0x2000
	v_lshlrev_b32_e32 v1, 7, v1
	v_and_b32_e32 v11, 0x8000, v11
	v_and_b32_e32 v9, 0xfc00, v9
	v_or3_b32 v9, v11, v9, v1
.LBB258_503:                            ;   in Loop: Header=BB258_12 Depth=1
	s_or_b32 exec_lo, exec_lo, s43
.LBB258_504:                            ;   in Loop: Header=BB258_12 Depth=1
	s_or_b32 exec_lo, exec_lo, s42
.LBB258_505:                            ;   in Loop: Header=BB258_12 Depth=1
	s_or_b32 exec_lo, exec_lo, s41
	v_lshrrev_b16 v1, 8, v7
	s_mov_b32 s41, exec_lo
	v_cmpx_ne_u16_e32 0, v1
	s_cbranch_execz .LBB258_513
; %bb.506:                              ;   in Loop: Header=BB258_12 Depth=1
	v_bfrev_b32_e32 v8, 1
	s_mov_b32 s42, exec_lo
	v_cmpx_ne_u16_e32 0x80, v1
	s_cbranch_execz .LBB258_512
; %bb.507:                              ;   in Loop: Header=BB258_12 Depth=1
	v_and_b32_sdwa v92, v1, v23 dst_sel:DWORD dst_unused:UNUSED_PAD src0_sel:WORD_0 src1_sel:DWORD
	v_mov_b32_e32 v8, 0x7c010000
	s_mov_b32 s43, exec_lo
	v_cmpx_ne_u32_e32 0x7f, v92
	s_cbranch_execz .LBB258_511
; %bb.508:                              ;   in Loop: Header=BB258_12 Depth=1
	v_and_b32_sdwa v8, v1, v24 dst_sel:DWORD dst_unused:UNUSED_PAD src0_sel:WORD_0 src1_sel:DWORD
	v_lshrrev_b32_e32 v91, 3, v92
	s_mov_b32 s44, exec_lo
	v_cmpx_gt_u32_e32 8, v92
; %bb.509:                              ;   in Loop: Header=BB258_12 Depth=1
	v_ffbh_u32_e32 v8, v8
	v_min_u32_e32 v8, 32, v8
	v_subrev_nc_u32_e32 v11, 28, v8
	v_sub_nc_u32_e32 v91, 29, v8
	v_lshlrev_b64 v[92:93], v11, v[1:2]
	v_and_b32_e32 v8, 7, v92
; %bb.510:                              ;   in Loop: Header=BB258_12 Depth=1
	s_or_b32 exec_lo, exec_lo, s44
	v_lshlrev_b32_sdwa v1, v25, v1 dst_sel:DWORD dst_unused:UNUSED_PAD src0_sel:DWORD src1_sel:WORD_0
	v_lshl_add_u32 v11, v91, 10, 0x2000
	v_lshlrev_b32_e32 v8, 23, v8
	v_and_or_b32 v1, 0x8000, v1, v11
	v_lshl_or_b32 v8, v1, 16, v8
.LBB258_511:                            ;   in Loop: Header=BB258_12 Depth=1
	s_or_b32 exec_lo, exec_lo, s43
.LBB258_512:                            ;   in Loop: Header=BB258_12 Depth=1
	s_or_b32 exec_lo, exec_lo, s42
.LBB258_513:                            ;   in Loop: Header=BB258_12 Depth=1
	s_or_b32 exec_lo, exec_lo, s41
	v_lshrrev_b32_e32 v1, 16, v7
	v_mov_b32_e32 v91, 0
	v_mov_b32_e32 v92, 0
	v_cmp_ne_u16_sdwa s3, v1, v2 src0_sel:BYTE_0 src1_sel:DWORD
	s_and_saveexec_b32 s41, s3
	s_cbranch_execz .LBB258_521
; %bb.514:                              ;   in Loop: Header=BB258_12 Depth=1
	v_cmp_ne_u16_sdwa s3, v1, v22 src0_sel:BYTE_0 src1_sel:DWORD
	v_mov_b32_e32 v92, 0x8000
	s_and_saveexec_b32 s42, s3
	s_cbranch_execz .LBB258_520
; %bb.515:                              ;   in Loop: Header=BB258_12 Depth=1
	v_bfe_u32 v94, v7, 16, 7
	v_mov_b32_e32 v92, 0x7c01
	s_mov_b32 s43, exec_lo
	v_cmpx_ne_u32_e32 0x7f, v94
	s_cbranch_execz .LBB258_519
; %bb.516:                              ;   in Loop: Header=BB258_12 Depth=1
	v_and_b32_e32 v92, 7, v1
	v_lshrrev_b32_e32 v93, 3, v94
	s_mov_b32 s44, exec_lo
	v_cmpx_gt_u32_e32 8, v94
; %bb.517:                              ;   in Loop: Header=BB258_12 Depth=1
	v_ffbh_u32_e32 v11, v92
	v_min_u32_e32 v11, 32, v11
	v_subrev_nc_u32_e32 v12, 28, v11
	v_lshlrev_b64 v[92:93], v12, v[1:2]
	v_sub_nc_u32_e32 v93, 29, v11
	v_and_b32_e32 v92, 7, v92
; %bb.518:                              ;   in Loop: Header=BB258_12 Depth=1
	s_or_b32 exec_lo, exec_lo, s44
	v_lshlrev_b32_e32 v1, 8, v1
	v_lshl_add_u32 v11, v93, 10, 0x2000
	v_lshlrev_b32_e32 v12, 7, v92
	v_and_b32_e32 v1, 0x8000, v1
	v_and_b32_e32 v11, 0xfc00, v11
	v_or3_b32 v92, v1, v11, v12
.LBB258_519:                            ;   in Loop: Header=BB258_12 Depth=1
	s_or_b32 exec_lo, exec_lo, s43
.LBB258_520:                            ;   in Loop: Header=BB258_12 Depth=1
	s_or_b32 exec_lo, exec_lo, s42
.LBB258_521:                            ;   in Loop: Header=BB258_12 Depth=1
	s_or_b32 exec_lo, exec_lo, s41
	s_mov_b32 s41, exec_lo
	v_cmpx_lt_u32_e32 0xffffff, v7
	s_cbranch_execz .LBB258_529
; %bb.522:                              ;   in Loop: Header=BB258_12 Depth=1
	v_lshrrev_b32_e32 v1, 24, v7
	v_bfrev_b32_e32 v91, 1
	s_mov_b32 s42, exec_lo
	v_cmpx_ne_u32_e32 0x80, v1
	s_cbranch_execz .LBB258_528
; %bb.523:                              ;   in Loop: Header=BB258_12 Depth=1
	v_and_b32_e32 v93, 0x7f, v1
	v_mov_b32_e32 v91, 0x7c010000
	s_mov_b32 s43, exec_lo
	v_cmpx_ne_u32_e32 0x7f, v93
	s_cbranch_execz .LBB258_527
; %bb.524:                              ;   in Loop: Header=BB258_12 Depth=1
	v_and_b32_e32 v7, 7, v1
	v_lshrrev_b32_e32 v91, 3, v93
	s_mov_b32 s44, exec_lo
	v_cmpx_gt_u32_e32 8, v93
; %bb.525:                              ;   in Loop: Header=BB258_12 Depth=1
	v_ffbh_u32_e32 v7, v7
	v_min_u32_e32 v7, 32, v7
	v_subrev_nc_u32_e32 v11, 28, v7
	v_sub_nc_u32_e32 v91, 29, v7
	v_lshlrev_b64 v[93:94], v11, v[1:2]
	v_and_b32_e32 v7, 7, v93
; %bb.526:                              ;   in Loop: Header=BB258_12 Depth=1
	s_or_b32 exec_lo, exec_lo, s44
	v_lshlrev_b32_e32 v1, 8, v1
	v_lshl_add_u32 v11, v91, 10, 0x2000
	v_lshlrev_b32_e32 v7, 23, v7
	v_and_or_b32 v1, 0x8000, v1, v11
	v_lshl_or_b32 v91, v1, 16, v7
.LBB258_527:                            ;   in Loop: Header=BB258_12 Depth=1
	s_or_b32 exec_lo, exec_lo, s43
.LBB258_528:                            ;   in Loop: Header=BB258_12 Depth=1
	s_or_b32 exec_lo, exec_lo, s42
.LBB258_529:                            ;   in Loop: Header=BB258_12 Depth=1
	s_or_b32 exec_lo, exec_lo, s41
	ds_read_b64 v[93:94], v18
	v_or_b32_e32 v1, v31, v32
	v_or_b32_e32 v7, v33, v34
	v_fma_mixlo_f16 v11, v30, v31, 0 op_sel:[0,1,0] op_sel_hi:[0,1,0]
	v_fma_mixlo_f16 v12, v30, v33, 0 op_sel:[0,1,0] op_sel_hi:[0,1,0]
	v_or_b32_e32 v70, v69, v70
	v_fma_mixlo_f16 v1, v30, v1, 0 op_sel_hi:[0,1,0]
	v_fma_mixlo_f16 v7, v30, v7, 0 op_sel_hi:[0,1,0]
	v_and_b32_e32 v11, 0xffff, v11
	v_and_b32_e32 v12, 0xffff, v12
	v_or_b32_e32 v68, v67, v68
	v_and_b32_e32 v1, 0xffff, v1
	v_and_b32_e32 v7, 0xffff, v7
	v_fma_mixlo_f16 v67, v30, v67, 0 op_sel:[0,1,0] op_sel_hi:[0,1,0]
	v_fma_mixlo_f16 v69, v30, v69, 0 op_sel:[0,1,0] op_sel_hi:[0,1,0]
	v_fma_mixlo_f16 v70, v30, v70, 0 op_sel_hi:[0,1,0]
	v_fma_mixlo_f16 v68, v30, v68, 0 op_sel_hi:[0,1,0]
	v_or_b32_e32 v76, v75, v76
	v_or_b32_e32 v78, v77, v78
	v_fma_mixlo_f16 v75, v30, v75, 0 op_sel:[0,1,0] op_sel_hi:[0,1,0]
	s_waitcnt lgkmcnt(0)
	v_and_b32_e32 v31, 0xffff, v93
	v_lshrrev_b32_e32 v32, 16, v93
	v_lshrrev_b32_e32 v33, 16, v94
	v_and_b32_e32 v34, 0xffff, v94
	;;#ASMSTART
	v_cvt_f32_f16 v117, v31;
	;;#ASMEND
	;;#ASMSTART
	v_cvt_f32_f16 v115, v32;
	;;#ASMEND
	;;#ASMSTART
	v_cvt_f32_f16 v118, v1;
	;;#ASMEND
	;;#ASMSTART
	v_cvt_f32_f16 v116, v11;
	;;#ASMEND
	;;#ASMSTART
	v_cvt_f32_f16 v112, v34;
	;;#ASMEND
	;;#ASMSTART
	v_cvt_f32_f16 v111, v33;
	;;#ASMEND
	;;#ASMSTART
	v_cvt_f32_f16 v114, v7;
	;;#ASMEND
	;;#ASMSTART
	v_cvt_f32_f16 v113, v12;
	;;#ASMEND
	ds_read_b64 v[31:32], v18 offset:8
	v_or_b32_e32 v1, v35, v36
	v_or_b32_e32 v7, v37, v38
	v_fma_mixlo_f16 v11, v30, v35, 0 op_sel:[0,1,0] op_sel_hi:[0,1,0]
	v_fma_mixlo_f16 v12, v30, v37, 0 op_sel:[0,1,0] op_sel_hi:[0,1,0]
	v_and_b32_e32 v68, 0xffff, v68
	v_fma_mixlo_f16 v1, v30, v1, 0 op_sel_hi:[0,1,0]
	v_fma_mixlo_f16 v7, v30, v7, 0 op_sel_hi:[0,1,0]
	v_and_b32_e32 v11, 0xffff, v11
	v_and_b32_e32 v12, 0xffff, v12
	v_fma_mixlo_f16 v77, v30, v77, 0 op_sel:[0,1,0] op_sel_hi:[0,1,0]
	v_and_b32_e32 v1, 0xffff, v1
	v_and_b32_e32 v7, 0xffff, v7
	v_fma_mixlo_f16 v76, v30, v76, 0 op_sel_hi:[0,1,0]
	v_fma_mixlo_f16 v78, v30, v78, 0 op_sel_hi:[0,1,0]
	v_or_b32_e32 v80, v79, v80
	v_or_b32_e32 v82, v81, v82
	v_fma_mixlo_f16 v81, v30, v81, 0 op_sel:[0,1,0] op_sel_hi:[0,1,0]
	v_fma_mixlo_f16 v79, v30, v79, 0 op_sel:[0,1,0] op_sel_hi:[0,1,0]
	v_or_b32_e32 v86, v85, v86
	s_waitcnt lgkmcnt(0)
	v_and_b32_e32 v33, 0xffff, v31
	v_lshrrev_b32_e32 v31, 16, v31
	v_lshrrev_b32_e32 v34, 16, v32
	v_and_b32_e32 v32, 0xffff, v32
	;;#ASMSTART
	v_cvt_f32_f16 v121, v33;
	;;#ASMEND
	;;#ASMSTART
	v_cvt_f32_f16 v122, v31;
	;;#ASMEND
	;; [unrolled: 3-line block ×8, first 2 shown]
	ds_read_b64 v[31:32], v18 offset:16
	v_or_b32_e32 v1, v39, v40
	v_or_b32_e32 v7, v41, v42
	v_fma_mixlo_f16 v11, v30, v39, 0 op_sel:[0,1,0] op_sel_hi:[0,1,0]
	v_fma_mixlo_f16 v12, v30, v41, 0 op_sel:[0,1,0] op_sel_hi:[0,1,0]
	v_fma_mixlo_f16 v80, v30, v80, 0 op_sel_hi:[0,1,0]
	v_fma_mixlo_f16 v1, v30, v1, 0 op_sel_hi:[0,1,0]
	;; [unrolled: 1-line block ×3, first 2 shown]
	v_and_b32_e32 v11, 0xffff, v11
	v_and_b32_e32 v12, 0xffff, v12
	v_fma_mixlo_f16 v82, v30, v82, 0 op_sel_hi:[0,1,0]
	v_and_b32_e32 v1, 0xffff, v1
	v_and_b32_e32 v7, 0xffff, v7
	;; [unrolled: 1-line block ×3, first 2 shown]
	v_or_b32_e32 v84, v83, v84
	v_and_b32_e32 v82, 0xffff, v82
	v_fma_mixlo_f16 v86, v30, v86, 0 op_sel_hi:[0,1,0]
	v_fma_mixlo_f16 v83, v30, v83, 0 op_sel:[0,1,0] op_sel_hi:[0,1,0]
	v_fma_mixlo_f16 v85, v30, v85, 0 op_sel:[0,1,0] op_sel_hi:[0,1,0]
	v_fma_mixlo_f16 v84, v30, v84, 0 op_sel_hi:[0,1,0]
	s_waitcnt lgkmcnt(0)
	v_and_b32_e32 v33, 0xffff, v31
	v_lshrrev_b32_e32 v31, 16, v31
	v_lshrrev_b32_e32 v34, 16, v32
	v_and_b32_e32 v32, 0xffff, v32
	;;#ASMSTART
	v_cvt_f32_f16 v104, v33;
	;;#ASMEND
	;;#ASMSTART
	v_cvt_f32_f16 v103, v31;
	;;#ASMEND
	;; [unrolled: 3-line block ×8, first 2 shown]
	ds_read_b64 v[31:32], v18 offset:24
	v_or_b32_e32 v1, v43, v44
	v_or_b32_e32 v7, v45, v46
	v_fma_mixlo_f16 v11, v30, v43, 0 op_sel:[0,1,0] op_sel_hi:[0,1,0]
	v_fma_mixlo_f16 v12, v30, v45, 0 op_sel:[0,1,0] op_sel_hi:[0,1,0]
	v_fma_mixlo_f16 v43, v30, v47, 0 op_sel:[0,1,0] op_sel_hi:[0,1,0]
	v_fma_mixlo_f16 v1, v30, v1, 0 op_sel_hi:[0,1,0]
	v_fma_mixlo_f16 v7, v30, v7, 0 op_sel_hi:[0,1,0]
	v_and_b32_e32 v11, 0xffff, v11
	v_and_b32_e32 v12, 0xffff, v12
	v_fma_mixlo_f16 v44, v30, v49, 0 op_sel:[0,1,0] op_sel_hi:[0,1,0]
	v_and_b32_e32 v33, 0xffff, v1
	v_and_b32_e32 v35, 0xffff, v7
	;; [unrolled: 1-line block ×3, first 2 shown]
	v_or_b32_e32 v90, v89, v90
	v_fma_mixlo_f16 v89, v30, v89, 0 op_sel:[0,1,0] op_sel_hi:[0,1,0]
	v_fma_mixlo_f16 v90, v30, v90, 0 op_sel_hi:[0,1,0]
	s_waitcnt lgkmcnt(0)
	v_and_b32_e32 v1, 0xffff, v31
	v_lshrrev_b32_e32 v31, 16, v31
	v_lshrrev_b32_e32 v34, 16, v32
	v_and_b32_e32 v36, 0xffff, v32
	;;#ASMSTART
	v_cvt_f32_f16 v1, v1;
	;;#ASMEND
	;;#ASMSTART
	v_cvt_f32_f16 v7, v31;
	;;#ASMEND
	;; [unrolled: 3-line block ×8, first 2 shown]
	ds_read_b64 v[41:42], v18 offset:32
	v_or_b32_e32 v11, v47, v48
	v_or_b32_e32 v12, v49, v50
	v_and_b32_e32 v48, 0xffff, v44
	v_fma_mixlo_f16 v11, v30, v11, 0 op_sel_hi:[0,1,0]
	v_fma_mixlo_f16 v12, v30, v12, 0 op_sel_hi:[0,1,0]
	v_and_b32_e32 v11, 0xffff, v11
	v_and_b32_e32 v12, 0xffff, v12
	s_waitcnt lgkmcnt(0)
	v_and_b32_e32 v43, 0xffff, v41
	v_lshrrev_b32_e32 v44, 16, v41
	v_lshrrev_b32_e32 v46, 16, v42
	v_and_b32_e32 v47, 0xffff, v42
	;;#ASMSTART
	v_cvt_f32_f16 v41, v43;
	;;#ASMEND
	;;#ASMSTART
	v_cvt_f32_f16 v42, v44;
	;;#ASMEND
	;;#ASMSTART
	v_cvt_f32_f16 v43, v11;
	;;#ASMEND
	;;#ASMSTART
	v_cvt_f32_f16 v44, v45;
	;;#ASMEND
	;;#ASMSTART
	v_cvt_f32_f16 v45, v47;
	;;#ASMEND
	;;#ASMSTART
	v_cvt_f32_f16 v46, v46;
	;;#ASMEND
	;;#ASMSTART
	v_cvt_f32_f16 v47, v12;
	;;#ASMEND
	;;#ASMSTART
	v_cvt_f32_f16 v48, v48;
	;;#ASMEND
	ds_read_b64 v[49:50], v18 offset:40
	v_or_b32_e32 v11, v51, v52
	v_or_b32_e32 v12, v53, v54
	v_fma_mixlo_f16 v51, v30, v51, 0 op_sel:[0,1,0] op_sel_hi:[0,1,0]
	v_fma_mixlo_f16 v52, v30, v53, 0 op_sel:[0,1,0] op_sel_hi:[0,1,0]
	v_fma_mixlo_f16 v11, v30, v11, 0 op_sel_hi:[0,1,0]
	v_fma_mixlo_f16 v12, v30, v12, 0 op_sel_hi:[0,1,0]
	v_and_b32_e32 v53, 0xffff, v51
	v_and_b32_e32 v95, 0xffff, v52
	;; [unrolled: 1-line block ×4, first 2 shown]
	s_waitcnt lgkmcnt(0)
	v_and_b32_e32 v51, 0xffff, v49
	v_lshrrev_b32_e32 v93, 16, v50
	v_and_b32_e32 v54, 0xffff, v50
	v_lshrrev_b32_e32 v49, 16, v49
	;;#ASMSTART
	v_cvt_f32_f16 v50, v51;
	;;#ASMEND
	;;#ASMSTART
	v_cvt_f32_f16 v51, v49;
	;;#ASMEND
	;; [unrolled: 3-line block ×8, first 2 shown]
	ds_read_b64 v[96:97], v18 offset:48
	v_or_b32_e32 v11, v55, v56
	v_or_b32_e32 v12, v57, v58
	v_fma_mixlo_f16 v49, v30, v55, 0 op_sel:[0,1,0] op_sel_hi:[0,1,0]
	v_fma_mixlo_f16 v55, v30, v57, 0 op_sel:[0,1,0] op_sel_hi:[0,1,0]
	v_fma_mixlo_f16 v11, v30, v11, 0 op_sel_hi:[0,1,0]
	v_fma_mixlo_f16 v12, v30, v12, 0 op_sel_hi:[0,1,0]
	v_and_b32_e32 v49, 0xffff, v49
	v_and_b32_e32 v55, 0xffff, v55
	;; [unrolled: 1-line block ×4, first 2 shown]
	s_waitcnt lgkmcnt(0)
	v_and_b32_e32 v56, 0xffff, v96
	v_lshrrev_b32_e32 v98, 16, v97
	v_and_b32_e32 v97, 0xffff, v97
	v_lshrrev_b32_e32 v57, 16, v96
	;;#ASMSTART
	v_cvt_f32_f16 v101, v56;
	;;#ASMEND
	;;#ASMSTART
	v_cvt_f32_f16 v58, v57;
	;;#ASMEND
	;; [unrolled: 3-line block ×8, first 2 shown]
	ds_read_b64 v[55:56], v18 offset:56
	v_or_b32_e32 v11, v59, v60
	v_or_b32_e32 v12, v61, v62
	v_fma_mixlo_f16 v49, v30, v59, 0 op_sel:[0,1,0] op_sel_hi:[0,1,0]
	v_fma_mixlo_f16 v57, v30, v61, 0 op_sel:[0,1,0] op_sel_hi:[0,1,0]
	v_fma_mixlo_f16 v11, v30, v11, 0 op_sel_hi:[0,1,0]
	v_fma_mixlo_f16 v12, v30, v12, 0 op_sel_hi:[0,1,0]
	v_and_b32_e32 v49, 0xffff, v49
	v_and_b32_e32 v57, 0xffff, v57
	;; [unrolled: 1-line block ×4, first 2 shown]
	s_waitcnt lgkmcnt(0)
	v_and_b32_e32 v59, 0xffff, v55
	v_lshrrev_b32_e32 v107, 16, v56
	v_lshrrev_b32_e32 v55, 16, v55
	v_and_b32_e32 v56, 0xffff, v56
	;;#ASMSTART
	v_cvt_f32_f16 v60, v59;
	;;#ASMEND
	;;#ASMSTART
	v_cvt_f32_f16 v59, v55;
	;;#ASMEND
	;;#ASMSTART
	v_cvt_f32_f16 v108, v11;
	;;#ASMEND
	;;#ASMSTART
	v_cvt_f32_f16 v61, v49;
	;;#ASMEND
	;;#ASMSTART
	v_cvt_f32_f16 v62, v56;
	;;#ASMEND
	;;#ASMSTART
	v_cvt_f32_f16 v107, v107;
	;;#ASMEND
	;;#ASMSTART
	v_cvt_f32_f16 v109, v12;
	;;#ASMEND
	;;#ASMSTART
	v_cvt_f32_f16 v110, v57;
	;;#ASMEND
	ds_read_b64 v[11:12], v18 offset:64
	v_or_b32_e32 v49, v63, v64
	v_or_b32_e32 v55, v65, v66
	v_fma_mixlo_f16 v56, v30, v63, 0 op_sel:[0,1,0] op_sel_hi:[0,1,0]
	v_fma_mixlo_f16 v57, v30, v65, 0 op_sel:[0,1,0] op_sel_hi:[0,1,0]
	v_fma_mixlo_f16 v49, v30, v49, 0 op_sel_hi:[0,1,0]
	v_fma_mixlo_f16 v55, v30, v55, 0 op_sel_hi:[0,1,0]
	v_and_b32_e32 v65, 0xffff, v56
	v_and_b32_e32 v15, 0xffff, v57
	v_mul_f32_e32 v56, v121, v123
	v_and_b32_e32 v66, 0xffff, v49
	v_and_b32_e32 v127, 0xffff, v55
	v_mul_f32_e32 v55, v119, v120
	v_mul_f32_e32 v57, v122, v124
	v_and_b32_e32 v123, 0xffff, v70
	v_fmac_f32_e32 v56, v117, v118
	v_mul_f32_e32 v49, v125, v126
	v_fmac_f32_e32 v55, v111, v113
	v_fmac_f32_e32 v57, v115, v116
	s_waitcnt lgkmcnt(0)
	v_and_b32_e32 v63, 0xffff, v11
	v_lshrrev_b32_e32 v11, 16, v11
	v_lshrrev_b32_e32 v119, 16, v12
	v_and_b32_e32 v12, 0xffff, v12
	;;#ASMSTART
	v_cvt_f32_f16 v64, v63;
	;;#ASMEND
	;;#ASMSTART
	v_cvt_f32_f16 v63, v11;
	;;#ASMEND
	;; [unrolled: 3-line block ×8, first 2 shown]
	ds_read_b64 v[11:12], v18 offset:72
	v_and_b32_e32 v15, 0xffff, v67
	v_and_b32_e32 v67, 0xffff, v69
	v_fmac_f32_e32 v49, v112, v114
	v_and_b32_e32 v114, 0xffff, v77
	v_and_b32_e32 v77, 0xffff, v76
	v_fmac_f32_e32 v56, v104, v106
	v_or_b32_e32 v113, v87, v88
	v_fmac_f32_e32 v57, v103, v105
	v_and_b32_e32 v106, 0xffff, v81
	v_fmac_f32_e32 v49, v38, v40
	v_fmac_f32_e32 v55, v37, v39
	;; [unrolled: 1-line block ×4, first 2 shown]
	v_and_b32_e32 v7, 0xffff, v84
	v_fmac_f32_e32 v49, v33, v35
	v_fmac_f32_e32 v55, v34, v36
	;; [unrolled: 1-line block ×4, first 2 shown]
	v_and_b32_e32 v36, 0xffff, v86
	s_waitcnt lgkmcnt(0)
	v_and_b32_e32 v69, 0xffff, v11
	v_lshrrev_b32_e32 v11, 16, v11
	v_lshrrev_b32_e32 v117, 16, v12
	v_and_b32_e32 v12, 0xffff, v12
	;;#ASMSTART
	v_cvt_f32_f16 v70, v69;
	;;#ASMEND
	;;#ASMSTART
	v_cvt_f32_f16 v69, v11;
	;;#ASMEND
	;; [unrolled: 3-line block ×8, first 2 shown]
	ds_read_b64 v[11:12], v18 offset:80
	v_or_b32_e32 v67, v71, v72
	v_or_b32_e32 v68, v73, v74
	v_fma_mixlo_f16 v71, v30, v71, 0 op_sel:[0,1,0] op_sel_hi:[0,1,0]
	v_fma_mixlo_f16 v72, v30, v73, 0 op_sel:[0,1,0] op_sel_hi:[0,1,0]
	v_fmac_f32_e32 v49, v45, v47
	v_fma_mixlo_f16 v67, v30, v67, 0 op_sel_hi:[0,1,0]
	v_fma_mixlo_f16 v68, v30, v68, 0 op_sel_hi:[0,1,0]
	v_and_b32_e32 v15, 0xffff, v71
	v_and_b32_e32 v125, 0xffff, v72
	v_fmac_f32_e32 v56, v50, v52
	v_and_b32_e32 v67, 0xffff, v67
	v_and_b32_e32 v68, 0xffff, v68
	v_fmac_f32_e32 v57, v51, v53
	v_fmac_f32_e32 v55, v46, v48
	;; [unrolled: 1-line block ×4, first 2 shown]
	v_fma_mixlo_f16 v87, v30, v87, 0 op_sel:[0,1,0] op_sel_hi:[0,1,0]
	v_fmac_f32_e32 v57, v58, v96
	v_fmac_f32_e32 v55, v93, v95
	s_waitcnt lgkmcnt(0)
	v_and_b32_e32 v71, 0xffff, v11
	v_lshrrev_b32_e32 v11, 16, v11
	v_lshrrev_b32_e32 v74, 16, v12
	v_and_b32_e32 v12, 0xffff, v12
	;;#ASMSTART
	v_cvt_f32_f16 v111, v71;
	;;#ASMEND
	;;#ASMSTART
	v_cvt_f32_f16 v71, v11;
	;;#ASMEND
	;; [unrolled: 3-line block ×8, first 2 shown]
	ds_read_b64 v[11:12], v18 offset:88
	v_and_b32_e32 v15, 0xffff, v75
	v_and_b32_e32 v125, 0xffff, v78
	v_fmac_f32_e32 v49, v97, v99
	v_fmac_f32_e32 v56, v60, v108
	v_fmac_f32_e32 v57, v59, v61
	v_fmac_f32_e32 v55, v98, v100
	v_and_b32_e32 v47, 0xffff, v90
	v_fmac_f32_e32 v49, v62, v109
	v_fmac_f32_e32 v56, v64, v120
	v_fmac_f32_e32 v57, v63, v65
	v_fmac_f32_e32 v55, v107, v110
	v_and_b32_e32 v48, 0xffff, v89
	v_fmac_f32_e32 v49, v66, v121
	v_fmac_f32_e32 v56, v70, v118
	v_fmac_f32_e32 v57, v69, v115
	v_fmac_f32_e32 v55, v119, v122
	v_or_b32_e32 v50, v91, v92
	v_fmac_f32_e32 v49, v116, v123
	v_fmac_f32_e32 v56, v111, v112
	s_waitcnt lgkmcnt(0)
	v_and_b32_e32 v75, 0xffff, v11
	v_lshrrev_b32_e32 v11, 16, v11
	v_lshrrev_b32_e32 v104, 16, v12
	v_and_b32_e32 v12, 0xffff, v12
	;;#ASMSTART
	v_cvt_f32_f16 v75, v75;
	;;#ASMEND
	;;#ASMSTART
	v_cvt_f32_f16 v76, v11;
	;;#ASMEND
	;; [unrolled: 3-line block ×8, first 2 shown]
	ds_read_b64 v[11:12], v18 offset:96
	v_and_b32_e32 v15, 0xffff, v79
	v_fma_mixlo_f16 v79, v30, v113, 0 op_sel_hi:[0,1,0]
	v_fmac_f32_e32 v57, v71, v72
	v_fmac_f32_e32 v55, v117, v124
	;; [unrolled: 1-line block ×8, first 2 shown]
	s_waitcnt lgkmcnt(0)
	v_and_b32_e32 v38, 0xffff, v11
	v_lshrrev_b32_e32 v11, 16, v11
	v_lshrrev_b32_e32 v81, 16, v12
	v_and_b32_e32 v12, 0xffff, v12
	;;#ASMSTART
	v_cvt_f32_f16 v37, v38;
	;;#ASMEND
	;;#ASMSTART
	v_cvt_f32_f16 v38, v11;
	;;#ASMEND
	;;#ASMSTART
	v_cvt_f32_f16 v39, v80;
	;;#ASMEND
	;;#ASMSTART
	v_cvt_f32_f16 v40, v15;
	;;#ASMEND
	;;#ASMSTART
	v_cvt_f32_f16 v80, v12;
	;;#ASMEND
	;;#ASMSTART
	v_cvt_f32_f16 v81, v81;
	;;#ASMEND
	;;#ASMSTART
	v_cvt_f32_f16 v82, v82;
	;;#ASMEND
	;;#ASMSTART
	v_cvt_f32_f16 v106, v106;
	;;#ASMEND
	ds_read_b64 v[11:12], v18 offset:104
	v_and_b32_e32 v15, 0xffff, v83
	v_and_b32_e32 v83, 0xffff, v85
	v_fmac_f32_e32 v56, v37, v39
	v_fmac_f32_e32 v57, v38, v40
	v_fmac_f32_e32 v49, v80, v82
	v_fmac_f32_e32 v55, v81, v106
	v_fma_mixlo_f16 v37, v30, v50, 0 op_sel_hi:[0,1,0]
	s_waitcnt lgkmcnt(0)
	v_and_b32_e32 v1, 0xffff, v11
	v_lshrrev_b32_e32 v11, 16, v11
	v_lshrrev_b32_e32 v35, 16, v12
	v_and_b32_e32 v12, 0xffff, v12
	;;#ASMSTART
	v_cvt_f32_f16 v1, v1;
	;;#ASMEND
	;;#ASMSTART
	v_cvt_f32_f16 v31, v11;
	;;#ASMEND
	;; [unrolled: 3-line block ×8, first 2 shown]
	ds_read_b64 v[11:12], v18 offset:112
	v_or_b32_e32 v7, v8, v9
	v_fma_mixlo_f16 v9, v30, v8, 0 op_sel:[0,1,0] op_sel_hi:[0,1,0]
	v_and_b32_e32 v15, 0xffff, v79
	v_fmac_f32_e32 v56, v1, v32
	v_fmac_f32_e32 v57, v31, v33
	v_fma_mixlo_f16 v42, v30, v7, 0 op_sel_hi:[0,1,0]
	v_fmac_f32_e32 v49, v34, v36
	v_fma_mixlo_f16 v1, v30, v91, 0 op_sel:[0,1,0] op_sel_hi:[0,1,0]
	v_and_b32_e32 v30, 0xffff, v9
	v_fmac_f32_e32 v55, v35, v41
	s_waitcnt lgkmcnt(0)
	v_and_b32_e32 v7, 0xffff, v11
	v_lshrrev_b32_e32 v8, 16, v11
	;;#ASMSTART
	v_cvt_f32_f16 v11, v7;
	;;#ASMEND
	;;#ASMSTART
	v_cvt_f32_f16 v43, v8;
	;;#ASMEND
	v_and_b32_e32 v7, 0xffff, v87
	v_and_b32_e32 v8, 0xffff, v12
	;;#ASMSTART
	v_cvt_f32_f16 v44, v15;
	;;#ASMEND
	v_lshrrev_b32_e32 v15, 16, v12
	;;#ASMSTART
	v_cvt_f32_f16 v12, v7;
	;;#ASMEND
	;;#ASMSTART
	v_cvt_f32_f16 v45, v8;
	;;#ASMEND
	;; [unrolled: 3-line block ×5, first 2 shown]
	ds_read_b64 v[7:8], v18 offset:120
	v_fmac_f32_e32 v56, v11, v44
	v_fmac_f32_e32 v57, v43, v12
	;; [unrolled: 1-line block ×3, first 2 shown]
	v_and_b32_e32 v15, 0xffff, v42
	v_fmac_f32_e32 v55, v46, v48
	s_waitcnt lgkmcnt(0)
	v_and_b32_e32 v11, 0xffff, v7
	v_lshrrev_b32_e32 v12, 16, v7
	;;#ASMSTART
	v_cvt_f32_f16 v7, v11;
	;;#ASMEND
	;;#ASMSTART
	v_cvt_f32_f16 v9, v12;
	;;#ASMEND
	;; [unrolled: 3-line block ×4, first 2 shown]
	v_fmac_f32_e32 v56, v7, v11
	v_fmac_f32_e32 v57, v9, v12
	v_xor_b32_e32 v9, 1, v16
	v_and_b32_e32 v15, 0xffff, v8
	v_lshrrev_b32_e32 v8, 16, v8
	v_and_b32_e32 v30, 0xffff, v37
	;;#ASMSTART
	v_cvt_f32_f16 v7, v15;
	;;#ASMEND
	;;#ASMSTART
	v_cvt_f32_f16 v8, v8;
	;;#ASMEND
	;; [unrolled: 3-line block ×3, first 2 shown]
	v_and_b32_e32 v12, 0xffff, v1
	v_fmac_f32_e32 v49, v7, v11
	v_add_f32_e32 v1, v56, v57
	v_cmp_gt_i32_e64 s3, 32, v9
	;;#ASMSTART
	v_cvt_f32_f16 v7, v12;
	;;#ASMEND
	v_fmac_f32_e32 v55, v8, v7
	v_add_f32_e32 v1, v1, v49
	v_cndmask_b32_e64 v7, v16, v9, s3
	v_add_f32_e32 v1, v55, v1
	v_lshlrev_b32_e32 v7, 2, v7
	ds_bpermute_b32 v7, v7, v1
	s_and_saveexec_b32 s41, vcc_lo
	s_cbranch_execz .LBB258_10
; %bb.530:                              ;   in Loop: Header=BB258_12 Depth=1
	v_add_nc_u32_e32 v8, v26, v20
	s_waitcnt lgkmcnt(0)
	v_add_f32_e32 v1, v1, v7
	v_cvt_f32_i32_e32 v8, v8
	v_mul_f32_e32 v8, s36, v8
	v_cndmask_b32_e64 v7, 0, v8, s2
	v_max_f32_e32 v8, v19, v19
	v_fmac_f32_e32 v7, s35, v1
	v_add_nc_u32_e32 v1, v17, v20
	v_max_f32_e32 v8, v8, v7
	v_cmp_gt_i32_e64 s3, s33, v1
	v_cndmask_b32_e64 v1, 0, v7, s3
	v_cndmask_b32_e64 v19, v19, v8, s3
	ds_write_b32 v27, v1
	s_branch .LBB258_10
.LBB258_531:
	s_or_b32 exec_lo, exec_lo, s39
	v_and_b32_e32 v27, 1, v0
	v_lshrrev_b32_e32 v12, 3, v0
.LBB258_532:
	s_or_b32 exec_lo, exec_lo, s37
	v_xor_b32_e32 v1, 16, v16
	v_xor_b32_e32 v3, 8, v16
	v_max_f32_e32 v5, v19, v19
	v_xor_b32_e32 v6, 2, v16
	v_and_b32_e32 v17, 31, v0
	v_cmp_gt_i32_e32 vcc_lo, 32, v1
	v_cndmask_b32_e32 v1, v16, v1, vcc_lo
	v_cmp_gt_i32_e32 vcc_lo, 32, v3
	v_lshlrev_b32_e32 v2, 2, v1
	v_cndmask_b32_e32 v3, v16, v3, vcc_lo
	ds_bpermute_b32 v1, v2, v19
	v_lshlrev_b32_e32 v4, 2, v3
	s_waitcnt lgkmcnt(0)
	v_max_f32_e32 v1, v1, v1
	v_max_f32_e32 v1, v5, v1
	v_xor_b32_e32 v5, 4, v16
	ds_bpermute_b32 v3, v4, v1
	v_cmp_gt_i32_e32 vcc_lo, 32, v5
	v_cndmask_b32_e32 v5, v16, v5, vcc_lo
	v_cmp_gt_i32_e32 vcc_lo, 32, v6
	v_lshlrev_b32_e32 v5, 2, v5
	v_cndmask_b32_e32 v6, v16, v6, vcc_lo
	v_cmp_eq_u32_e32 vcc_lo, 0, v17
	s_waitcnt lgkmcnt(0)
	v_max_f32_e32 v3, v3, v3
	v_max_f32_e32 v1, v1, v3
	ds_bpermute_b32 v3, v5, v1
	s_waitcnt lgkmcnt(0)
	v_max_f32_e32 v3, v3, v3
	v_max_f32_e32 v3, v1, v3
	v_lshlrev_b32_e32 v1, 2, v6
	v_lshlrev_b32_e32 v6, 2, v13
	ds_bpermute_b32 v7, v1, v3
	s_and_saveexec_b32 s2, vcc_lo
	s_cbranch_execz .LBB258_534
; %bb.533:
	s_waitcnt lgkmcnt(0)
	v_max_f32_e32 v7, v7, v7
	v_max_f32_e32 v3, v3, v3
	;; [unrolled: 1-line block ×3, first 2 shown]
	ds_write_b32 v6, v3 offset:256
.LBB258_534:
	s_or_b32 exec_lo, exec_lo, s2
	v_cmp_gt_u32_e64 s2, 4, v17
	v_mov_b32_e32 v3, 0xff7fffff
	s_waitcnt lgkmcnt(0)
	v_lshlrev_b32_e32 v7, 2, v17
	s_waitcnt_vscnt null, 0x0
	s_barrier
	buffer_gl0_inv
	s_and_saveexec_b32 s3, s2
; %bb.535:
	ds_read_b32 v3, v7 offset:256
; %bb.536:
	s_or_b32 exec_lo, exec_lo, s3
	s_waitcnt lgkmcnt(0)
	ds_bpermute_b32 v8, v1, v3
	v_xor_b32_e32 v9, 1, v16
	v_max_f32_e32 v3, v3, v3
	v_cmp_gt_i32_e64 s3, 32, v9
	v_cndmask_b32_e64 v9, v16, v9, s3
	s_lshl_b32 s3, s20, 4
	s_min_i32 s5, s3, s33
	v_lshlrev_b32_e32 v16, 2, v9
	v_cmp_gt_i32_e64 s3, s5, v0
	s_waitcnt lgkmcnt(0)
	v_max_f32_e32 v8, v8, v8
	v_max_f32_e32 v3, v3, v8
	ds_bpermute_b32 v8, v16, v3
	s_waitcnt lgkmcnt(0)
	v_max_f32_e32 v8, v8, v8
	v_max_f32_e32 v3, v3, v8
	v_mov_b32_e32 v8, 0
	ds_bpermute_b32 v9, v8, v3
	v_lshl_add_u32 v3, v0, 2, 0x120
	s_and_saveexec_b32 s12, s3
	s_cbranch_execz .LBB258_540
; %bb.537:
	v_lshl_add_u32 v18, v0, 2, 0x120
	v_mov_b32_e32 v8, 0
	v_mov_b32_e32 v19, v0
	s_mov_b32 s13, 0
	.p2align	6
.LBB258_538:                            ; =>This Inner Loop Header: Depth=1
	ds_read_b32 v11, v18
	v_add_nc_u32_e32 v19, 0x80, v19
	v_cmp_le_i32_e64 s4, s5, v19
	s_or_b32 s13, s4, s13
	s_waitcnt lgkmcnt(0)
	v_sub_f32_e32 v11, v11, v9
	v_mul_f32_e32 v11, 0x3fb8aa3b, v11
	v_exp_f32_e32 v11, v11
	ds_write_b32 v18, v11
	v_add_f32_e32 v8, v8, v11
	v_add_nc_u32_e32 v18, 0x200, v18
	s_andn2_b32 exec_lo, exec_lo, s13
	s_cbranch_execnz .LBB258_538
; %bb.539:
	s_or_b32 exec_lo, exec_lo, s13
.LBB258_540:
	s_or_b32 exec_lo, exec_lo, s12
	ds_bpermute_b32 v2, v2, v8
	s_waitcnt lgkmcnt(0)
	v_add_f32_e32 v2, v8, v2
	ds_bpermute_b32 v4, v4, v2
	s_waitcnt lgkmcnt(0)
	v_add_f32_e32 v2, v2, v4
	;; [unrolled: 3-line block ×5, first 2 shown]
	s_and_saveexec_b32 s4, vcc_lo
; %bb.541:
	ds_write_b32 v6, v2 offset:272
; %bb.542:
	s_or_b32 exec_lo, exec_lo, s4
	s_waitcnt lgkmcnt(0)
	s_barrier
	buffer_gl0_inv
	s_and_saveexec_b32 s4, s2
; %bb.543:
	ds_read_b32 v2, v7 offset:272
; %bb.544:
	s_or_b32 exec_lo, exec_lo, s4
	s_waitcnt lgkmcnt(0)
	ds_bpermute_b32 v1, v1, v2
	s_waitcnt lgkmcnt(0)
	v_add_f32_e32 v1, v2, v1
	ds_bpermute_b32 v2, v16, v1
	s_waitcnt lgkmcnt(0)
	v_add_f32_e32 v1, v1, v2
	v_mov_b32_e32 v2, 0
	ds_bpermute_b32 v1, v2, v1
	s_and_saveexec_b32 s2, s3
	s_cbranch_execz .LBB258_547
; %bb.545:
	s_waitcnt lgkmcnt(0)
	v_add_f32_e32 v1, 0x358637bd, v1
	s_mov_b32 s3, 0
	v_div_scale_f32 v2, null, v1, v1, 1.0
	v_div_scale_f32 v6, vcc_lo, 1.0, v1, 1.0
	v_rcp_f32_e32 v4, v2
	v_fma_f32 v5, -v2, v4, 1.0
	v_fmac_f32_e32 v4, v5, v4
	v_mul_f32_e32 v5, v6, v4
	v_fma_f32 v7, -v2, v5, v6
	v_fmac_f32_e32 v5, v7, v4
	v_fma_f32 v2, -v2, v5, v6
	v_div_fmas_f32 v2, v2, v4, v5
	v_div_fixup_f32 v1, v2, v1, 1.0
	v_mov_b32_e32 v2, v0
.LBB258_546:                            ; =>This Inner Loop Header: Depth=1
	ds_read_b32 v4, v3
	v_add_nc_u32_e32 v2, 0x80, v2
	v_cmp_le_i32_e32 vcc_lo, s5, v2
	s_or_b32 s3, vcc_lo, s3
	s_waitcnt lgkmcnt(0)
	v_mul_f32_e32 v4, v1, v4
	ds_write_b32 v3, v4
	v_add_nc_u32_e32 v3, 0x200, v3
	s_andn2_b32 exec_lo, exec_lo, s3
	s_cbranch_execnz .LBB258_546
.LBB258_547:
	s_or_b32 exec_lo, exec_lo, s2
	v_mov_b32_e32 v25, 0
	v_mov_b32_e32 v24, 0
	;; [unrolled: 1-line block ×8, first 2 shown]
	s_waitcnt lgkmcnt(0)
	s_barrier
	buffer_gl0_inv
	s_and_saveexec_b32 s4, s1
	s_cbranch_execz .LBB258_1081
; %bb.548:
	s_sub_i32 s5, s34, s21
	s_ashr_i32 s1, s18, 31
	s_add_u32 s18, s30, s18
	s_addc_u32 s1, s31, s1
	s_abs_i32 s12, s22
	v_and_b32_e32 v3, 0xf8, v10
	v_cvt_f32_u32_e32 v1, s12
	s_sub_i32 s2, 0, s12
	v_lshlrev_b32_e32 v6, 5, v27
	v_and_b32_e32 v5, 0x7c, v12
	v_add_co_u32 v3, s18, s18, v3
	v_rcp_iflag_f32_e32 v1, v1
	s_mov_b32 s13, s17
	s_add_i32 s17, s20, -1
	v_lshl_or_b32 v8, v13, 6, v6
	v_add_co_ci_u32_e64 v4, null, s1, 0, s18
	v_and_b32_e32 v26, 8, v10
	v_mov_b32_e32 v2, 0
	v_mov_b32_e32 v67, v27
	;; [unrolled: 1-line block ×3, first 2 shown]
	v_mul_f32_e32 v1, 0x4f7ffffe, v1
	v_mov_b32_e32 v27, 0x7f
	v_mov_b32_e32 v28, 7
	;; [unrolled: 1-line block ×4, first 2 shown]
	v_cvt_u32_f32_e32 v1, v1
	v_mov_b32_e32 v19, 0
	v_mov_b32_e32 v20, 0
	;; [unrolled: 1-line block ×4, first 2 shown]
	v_mul_lo_u32 v7, s2, v1
	s_lshl_b64 s[2:3], s[28:29], 2
	v_mov_b32_e32 v23, 0
	s_add_u32 s1, s26, s2
	s_addc_u32 s2, s27, s3
	v_add_co_u32 v5, s1, s1, v5
	v_mov_b32_e32 v24, 0
	v_mul_hi_u32 v7, v1, v7
	v_mov_b32_e32 v25, 0
	v_add_co_ci_u32_e64 v6, null, s2, 0, s1
	v_add_nc_u32_e32 v30, 0x120, v8
	v_mov_b32_e32 v32, v13
	s_mov_b32 s2, -1
	s_mov_b32 s3, 0xffffff
	v_add_nc_u32_e32 v31, v1, v7
	s_mov_b32 s18, 0
	s_branch .LBB258_551
.LBB258_549:                            ;   in Loop: Header=BB258_551 Depth=1
	s_or_b32 exec_lo, exec_lo, s1
	v_add_f32_e32 v9, v9, v10
	v_add_f32_e32 v10, v55, v56
	;; [unrolled: 1-line block ×5, first 2 shown]
	;;#ASMSTART
	v_pk_mul_f16 v10, v46, v57;

	;;#ASMEND
	;;#ASMSTART
	v_pk_mul_f16 v8, v45, v8;

	;;#ASMEND
	;; [unrolled: 4-line block ×4, first 2 shown]
	;;#ASMSTART
	v_pk_add_f16 v8, v10, v8;

	;;#ASMEND
	;;#ASMSTART
	v_pk_add_f16 v7, v8, v7;

	;;#ASMEND
	;; [unrolled: 4-line block ×3, first 2 shown]
	v_and_b32_e32 v10, 0xffff, v1
	v_add_f32_e32 v21, v21, v11
	v_lshrrev_b32_e32 v11, 16, v1
	;;#ASMSTART
	v_cvt_f32_f16 v10, v10;
	;;#ASMEND
	v_add_f32_e32 v9, v51, v52
	v_add_f32_e32 v1, v49, v50
	;; [unrolled: 1-line block ×4, first 2 shown]
	;;#ASMSTART
	v_cvt_f32_f16 v11, v11;
	;;#ASMEND
	v_add_f32_e32 v10, v10, v11
	v_add_f32_e32 v22, v22, v9
	;; [unrolled: 1-line block ×6, first 2 shown]
.LBB258_550:                            ;   in Loop: Header=BB258_551 Depth=1
	s_or_b32 exec_lo, exec_lo, s21
	v_add_nc_u32_e32 v32, 4, v32
	v_add_co_u32 v5, s1, v5, 16
	v_add_co_ci_u32_e64 v6, null, 0, v6, s1
	v_cmp_le_i32_e32 vcc_lo, s20, v32
	v_add_nc_u32_e32 v14, 64, v14
	v_add_nc_u32_e32 v30, 0x100, v30
	s_or_b32 s18, vcc_lo, s18
	s_andn2_b32 exec_lo, exec_lo, s18
	s_cbranch_execz .LBB258_1080
.LBB258_551:                            ; =>This Inner Loop Header: Depth=1
	v_mul_hi_u32 v1, v14, s19
	v_mul_lo_u32 v7, v1, s16
	v_add_nc_u32_e32 v8, 1, v1
	v_sub_nc_u32_e32 v7, v14, v7
	v_subrev_nc_u32_e32 v9, s16, v7
	v_cmp_le_u32_e32 vcc_lo, s16, v7
	v_cndmask_b32_e32 v1, v1, v8, vcc_lo
	v_cndmask_b32_e32 v7, v7, v9, vcc_lo
	v_add_nc_u32_e32 v8, 1, v1
	v_cmp_le_u32_e32 vcc_lo, s16, v7
	v_cndmask_b32_e32 v1, v1, v8, vcc_lo
	v_xor_b32_e32 v1, s23, v1
	v_subrev_nc_u32_e32 v1, s23, v1
	v_add_nc_u32_e32 v7, s25, v1
	v_cmp_lt_i32_e64 s1, s5, v1
	v_sub_nc_u32_e32 v8, 0, v7
	v_max_i32_e32 v8, v7, v8
	v_ashrrev_i32_e32 v7, 31, v7
	v_mul_hi_u32 v9, v8, v31
	v_mul_lo_u32 v9, v9, s12
	v_sub_nc_u32_e32 v8, v8, v9
	v_subrev_nc_u32_e32 v9, s12, v8
	v_cmp_le_u32_e32 vcc_lo, s12, v8
	v_cndmask_b32_e32 v8, v8, v9, vcc_lo
	v_subrev_nc_u32_e32 v9, s12, v8
	v_cmp_le_u32_e32 vcc_lo, s12, v8
	v_cndmask_b32_e32 v8, v8, v9, vcc_lo
	v_xor_b32_e32 v8, v8, v7
	v_sub_nc_u32_e32 v7, v8, v7
	v_cmp_eq_u32_e32 vcc_lo, 0, v7
	s_or_b32 s1, vcc_lo, s1
	s_and_saveexec_b32 s21, s1
	s_cbranch_execz .LBB258_550
; %bb.552:                              ;   in Loop: Header=BB258_551 Depth=1
	global_load_dword v1, v[5:6], off
	ds_read2_b64 v[33:36], v30 offset1:1
	ds_read2_b64 v[46:49], v30 offset0:2 offset1:3
	s_waitcnt lgkmcnt(1)
	;;#ASMSTART
	v_cvt_f16_f32 v40, v33;

	;;#ASMEND
	;;#ASMSTART
	v_cvt_f16_f32 v42, v34;

	;;#ASMEND
	;; [unrolled: 4-line block ×4, first 2 shown]
	s_waitcnt lgkmcnt(0)
	;;#ASMSTART
	v_cvt_f16_f32 v46, v46;

	;;#ASMEND
	;;#ASMSTART
	v_cvt_f16_f32 v44, v47;

	;;#ASMEND
	;; [unrolled: 4-line block ×4, first 2 shown]
	v_mov_b32_e32 v35, 0
	v_mov_b32_e32 v36, 0
	global_load_dword v34, v35, s[14:15]
	s_waitcnt vmcnt(1)
	v_mad_i64_i32 v[7:8], null, v1, s13, v[3:4]
	global_load_dwordx2 v[9:10], v[7:8], off
	s_waitcnt vmcnt(0)
	v_cmp_ne_u16_sdwa s22, v9, v2 src0_sel:BYTE_0 src1_sel:DWORD
	s_and_saveexec_b32 s1, s22
	s_cbranch_execz .LBB258_560
; %bb.553:                              ;   in Loop: Header=BB258_551 Depth=1
	v_cmp_ne_u16_sdwa s26, v9, v15 src0_sel:BYTE_0 src1_sel:DWORD
	v_mov_b32_e32 v36, 0x8000
	s_and_saveexec_b32 s22, s26
	s_cbranch_execz .LBB258_559
; %bb.554:                              ;   in Loop: Header=BB258_551 Depth=1
	v_and_b32_e32 v37, 0x7f, v9
	v_mov_b32_e32 v36, 0x7c01
	s_mov_b32 s26, exec_lo
	v_cmpx_ne_u32_e32 0x7f, v37
	s_cbranch_execz .LBB258_558
; %bb.555:                              ;   in Loop: Header=BB258_551 Depth=1
	v_and_b32_e32 v1, 7, v9
	v_lshrrev_b32_e32 v33, 3, v37
	s_mov_b32 s27, exec_lo
	v_cmpx_gt_u32_e32 8, v37
; %bb.556:                              ;   in Loop: Header=BB258_551 Depth=1
	v_ffbh_u32_e32 v1, v1
	v_min_u32_e32 v1, 32, v1
	v_subrev_nc_u32_e32 v11, 28, v1
	v_sub_nc_u32_e32 v33, 29, v1
	v_lshlrev_b64 v[11:12], v11, v[9:10]
	v_and_b32_e32 v1, 7, v11
; %bb.557:                              ;   in Loop: Header=BB258_551 Depth=1
	s_or_b32 exec_lo, exec_lo, s27
	v_lshlrev_b32_e32 v11, 8, v9
	v_lshl_add_u32 v12, v33, 10, 0x2000
	v_lshlrev_b32_e32 v1, 7, v1
	v_and_b32_e32 v11, 0x8000, v11
	v_and_b32_e32 v12, 0xfc00, v12
	v_or3_b32 v36, v11, v12, v1
.LBB258_558:                            ;   in Loop: Header=BB258_551 Depth=1
	s_or_b32 exec_lo, exec_lo, s26
.LBB258_559:                            ;   in Loop: Header=BB258_551 Depth=1
	s_or_b32 exec_lo, exec_lo, s22
.LBB258_560:                            ;   in Loop: Header=BB258_551 Depth=1
	s_or_b32 exec_lo, exec_lo, s1
	v_lshrrev_b16 v1, 8, v9
	s_mov_b32 s1, exec_lo
	v_cmpx_ne_u16_e32 0, v1
	s_cbranch_execz .LBB258_568
; %bb.561:                              ;   in Loop: Header=BB258_551 Depth=1
	v_bfrev_b32_e32 v35, 1
	s_mov_b32 s22, exec_lo
	v_cmpx_ne_u16_e32 0x80, v1
	s_cbranch_execz .LBB258_567
; %bb.562:                              ;   in Loop: Header=BB258_551 Depth=1
	v_and_b32_sdwa v37, v1, v27 dst_sel:DWORD dst_unused:UNUSED_PAD src0_sel:WORD_0 src1_sel:DWORD
	v_mov_b32_e32 v35, 0x7c010000
	s_mov_b32 s26, exec_lo
	v_cmpx_ne_u32_e32 0x7f, v37
	s_cbranch_execz .LBB258_566
; %bb.563:                              ;   in Loop: Header=BB258_551 Depth=1
	v_and_b32_sdwa v33, v1, v28 dst_sel:DWORD dst_unused:UNUSED_PAD src0_sel:WORD_0 src1_sel:DWORD
	v_lshrrev_b32_e32 v35, 3, v37
	s_mov_b32 s27, exec_lo
	v_cmpx_gt_u32_e32 8, v37
; %bb.564:                              ;   in Loop: Header=BB258_551 Depth=1
	v_ffbh_u32_e32 v11, v33
	v_min_u32_e32 v33, 32, v11
	v_subrev_nc_u32_e32 v11, 28, v33
	v_sub_nc_u32_e32 v35, 29, v33
	v_lshlrev_b64 v[11:12], v11, v[1:2]
	v_and_b32_e32 v33, 7, v11
; %bb.565:                              ;   in Loop: Header=BB258_551 Depth=1
	s_or_b32 exec_lo, exec_lo, s27
	v_lshlrev_b32_sdwa v1, v29, v1 dst_sel:DWORD dst_unused:UNUSED_PAD src0_sel:DWORD src1_sel:WORD_0
	v_lshl_add_u32 v11, v35, 10, 0x2000
	v_and_or_b32 v1, 0x8000, v1, v11
	v_lshlrev_b32_e32 v11, 23, v33
	v_lshl_or_b32 v35, v1, 16, v11
.LBB258_566:                            ;   in Loop: Header=BB258_551 Depth=1
	s_or_b32 exec_lo, exec_lo, s26
.LBB258_567:                            ;   in Loop: Header=BB258_551 Depth=1
	s_or_b32 exec_lo, exec_lo, s22
.LBB258_568:                            ;   in Loop: Header=BB258_551 Depth=1
	s_or_b32 exec_lo, exec_lo, s1
	v_lshrrev_b32_e32 v1, 16, v9
	v_mov_b32_e32 v37, 0
	v_mov_b32_e32 v33, 0
	v_cmp_ne_u16_sdwa s22, v1, v2 src0_sel:BYTE_0 src1_sel:DWORD
	s_and_saveexec_b32 s1, s22
	s_cbranch_execz .LBB258_576
; %bb.569:                              ;   in Loop: Header=BB258_551 Depth=1
	v_cmp_ne_u16_sdwa s26, v1, v15 src0_sel:BYTE_0 src1_sel:DWORD
	v_mov_b32_e32 v33, 0x8000
	s_and_saveexec_b32 s22, s26
	s_cbranch_execz .LBB258_575
; %bb.570:                              ;   in Loop: Header=BB258_551 Depth=1
	v_bfe_u32 v39, v9, 16, 7
	v_mov_b32_e32 v33, 0x7c01
	s_mov_b32 s26, exec_lo
	v_cmpx_ne_u32_e32 0x7f, v39
	s_cbranch_execz .LBB258_574
; %bb.571:                              ;   in Loop: Header=BB258_551 Depth=1
	v_and_b32_e32 v33, 7, v1
	v_lshrrev_b32_e32 v38, 3, v39
	s_mov_b32 s27, exec_lo
	v_cmpx_gt_u32_e32 8, v39
; %bb.572:                              ;   in Loop: Header=BB258_551 Depth=1
	v_ffbh_u32_e32 v11, v33
	v_min_u32_e32 v33, 32, v11
	v_subrev_nc_u32_e32 v11, 28, v33
	v_sub_nc_u32_e32 v38, 29, v33
	v_lshlrev_b64 v[11:12], v11, v[1:2]
	v_and_b32_e32 v33, 7, v11
; %bb.573:                              ;   in Loop: Header=BB258_551 Depth=1
	s_or_b32 exec_lo, exec_lo, s27
	v_lshlrev_b32_e32 v1, 8, v1
	v_lshl_add_u32 v11, v38, 10, 0x2000
	v_lshlrev_b32_e32 v12, 7, v33
	v_and_b32_e32 v1, 0x8000, v1
	v_and_b32_e32 v11, 0xfc00, v11
	v_or3_b32 v33, v1, v11, v12
.LBB258_574:                            ;   in Loop: Header=BB258_551 Depth=1
	s_or_b32 exec_lo, exec_lo, s26
.LBB258_575:                            ;   in Loop: Header=BB258_551 Depth=1
	s_or_b32 exec_lo, exec_lo, s22
.LBB258_576:                            ;   in Loop: Header=BB258_551 Depth=1
	s_or_b32 exec_lo, exec_lo, s1
	s_mov_b32 s1, exec_lo
	v_cmpx_lt_u32_e32 0xffffff, v9
	s_cbranch_execz .LBB258_584
; %bb.577:                              ;   in Loop: Header=BB258_551 Depth=1
	v_lshrrev_b32_e32 v1, 24, v9
	v_bfrev_b32_e32 v37, 1
	s_mov_b32 s22, exec_lo
	v_cmpx_ne_u32_e32 0x80, v1
	s_cbranch_execz .LBB258_583
; %bb.578:                              ;   in Loop: Header=BB258_551 Depth=1
	v_and_b32_e32 v39, 0x7f, v1
	v_mov_b32_e32 v37, 0x7c010000
	s_mov_b32 s26, exec_lo
	v_cmpx_ne_u32_e32 0x7f, v39
	s_cbranch_execz .LBB258_582
; %bb.579:                              ;   in Loop: Header=BB258_551 Depth=1
	v_and_b32_e32 v37, 7, v1
	v_lshrrev_b32_e32 v38, 3, v39
	s_mov_b32 s27, exec_lo
	v_cmpx_gt_u32_e32 8, v39
; %bb.580:                              ;   in Loop: Header=BB258_551 Depth=1
	v_ffbh_u32_e32 v11, v37
	v_min_u32_e32 v37, 32, v11
	v_subrev_nc_u32_e32 v11, 28, v37
	v_sub_nc_u32_e32 v38, 29, v37
	v_lshlrev_b64 v[11:12], v11, v[1:2]
	v_and_b32_e32 v37, 7, v11
; %bb.581:                              ;   in Loop: Header=BB258_551 Depth=1
	s_or_b32 exec_lo, exec_lo, s27
	v_lshlrev_b32_e32 v1, 8, v1
	v_lshl_add_u32 v11, v38, 10, 0x2000
	v_and_or_b32 v1, 0x8000, v1, v11
	v_lshlrev_b32_e32 v11, 23, v37
	v_lshl_or_b32 v37, v1, 16, v11
.LBB258_582:                            ;   in Loop: Header=BB258_551 Depth=1
	s_or_b32 exec_lo, exec_lo, s26
.LBB258_583:                            ;   in Loop: Header=BB258_551 Depth=1
	s_or_b32 exec_lo, exec_lo, s22
.LBB258_584:                            ;   in Loop: Header=BB258_551 Depth=1
	s_or_b32 exec_lo, exec_lo, s1
	v_mov_b32_e32 v1, v10
	v_cmp_ne_u16_sdwa s22, v10, v2 src0_sel:BYTE_0 src1_sel:DWORD
	v_mov_b32_e32 v38, 0
	v_mov_b32_e32 v39, 0
	s_and_saveexec_b32 s1, s22
	s_cbranch_execz .LBB258_592
; %bb.585:                              ;   in Loop: Header=BB258_551 Depth=1
	v_cmp_ne_u16_sdwa s26, v10, v15 src0_sel:BYTE_0 src1_sel:DWORD
	v_mov_b32_e32 v39, 0x8000
	s_and_saveexec_b32 s22, s26
	s_cbranch_execz .LBB258_591
; %bb.586:                              ;   in Loop: Header=BB258_551 Depth=1
	v_and_b32_e32 v49, 0x7f, v10
	v_mov_b32_e32 v39, 0x7c01
	s_mov_b32 s26, exec_lo
	v_cmpx_ne_u32_e32 0x7f, v49
	s_cbranch_execz .LBB258_590
; %bb.587:                              ;   in Loop: Header=BB258_551 Depth=1
	v_and_b32_e32 v39, 7, v10
	v_lshrrev_b32_e32 v41, 3, v49
	s_mov_b32 s27, exec_lo
	v_cmpx_gt_u32_e32 8, v49
; %bb.588:                              ;   in Loop: Header=BB258_551 Depth=1
	v_ffbh_u32_e32 v11, v39
	v_min_u32_e32 v39, 32, v11
	v_subrev_nc_u32_e32 v11, 28, v39
	v_sub_nc_u32_e32 v41, 29, v39
	v_lshlrev_b64 v[11:12], v11, v[1:2]
	v_and_b32_e32 v39, 7, v11
; %bb.589:                              ;   in Loop: Header=BB258_551 Depth=1
	s_or_b32 exec_lo, exec_lo, s27
	v_lshlrev_b32_e32 v11, 8, v10
	v_lshl_add_u32 v12, v41, 10, 0x2000
	v_lshlrev_b32_e32 v39, 7, v39
	v_and_b32_e32 v11, 0x8000, v11
	v_and_b32_e32 v12, 0xfc00, v12
	v_or3_b32 v39, v11, v12, v39
.LBB258_590:                            ;   in Loop: Header=BB258_551 Depth=1
	s_or_b32 exec_lo, exec_lo, s26
.LBB258_591:                            ;   in Loop: Header=BB258_551 Depth=1
	s_or_b32 exec_lo, exec_lo, s22
.LBB258_592:                            ;   in Loop: Header=BB258_551 Depth=1
	s_or_b32 exec_lo, exec_lo, s1
	v_lshrrev_b16 v1, 8, v1
	v_mov_b32_e32 v41, 0
	s_mov_b32 s1, exec_lo
	v_cmpx_ne_u16_e32 0, v1
	s_cbranch_execz .LBB258_600
; %bb.593:                              ;   in Loop: Header=BB258_551 Depth=1
	v_bfrev_b32_e32 v41, 1
	s_mov_b32 s22, exec_lo
	v_cmpx_ne_u16_e32 0x80, v1
	s_cbranch_execz .LBB258_599
; %bb.594:                              ;   in Loop: Header=BB258_551 Depth=1
	v_and_b32_sdwa v50, v1, v27 dst_sel:DWORD dst_unused:UNUSED_PAD src0_sel:WORD_0 src1_sel:DWORD
	v_mov_b32_e32 v41, 0x7c010000
	s_mov_b32 s26, exec_lo
	v_cmpx_ne_u32_e32 0x7f, v50
	s_cbranch_execz .LBB258_598
; %bb.595:                              ;   in Loop: Header=BB258_551 Depth=1
	v_and_b32_sdwa v41, v1, v28 dst_sel:DWORD dst_unused:UNUSED_PAD src0_sel:WORD_0 src1_sel:DWORD
	v_lshrrev_b32_e32 v49, 3, v50
	s_mov_b32 s27, exec_lo
	v_cmpx_gt_u32_e32 8, v50
; %bb.596:                              ;   in Loop: Header=BB258_551 Depth=1
	v_ffbh_u32_e32 v11, v41
	v_min_u32_e32 v41, 32, v11
	v_subrev_nc_u32_e32 v11, 28, v41
	v_sub_nc_u32_e32 v49, 29, v41
	v_lshlrev_b64 v[11:12], v11, v[1:2]
	v_and_b32_e32 v41, 7, v11
; %bb.597:                              ;   in Loop: Header=BB258_551 Depth=1
	s_or_b32 exec_lo, exec_lo, s27
	v_lshlrev_b32_sdwa v1, v29, v1 dst_sel:DWORD dst_unused:UNUSED_PAD src0_sel:DWORD src1_sel:WORD_0
	v_lshl_add_u32 v11, v49, 10, 0x2000
	v_and_or_b32 v1, 0x8000, v1, v11
	v_lshlrev_b32_e32 v11, 23, v41
	v_lshl_or_b32 v41, v1, 16, v11
.LBB258_598:                            ;   in Loop: Header=BB258_551 Depth=1
	s_or_b32 exec_lo, exec_lo, s26
.LBB258_599:                            ;   in Loop: Header=BB258_551 Depth=1
	s_or_b32 exec_lo, exec_lo, s22
.LBB258_600:                            ;   in Loop: Header=BB258_551 Depth=1
	s_or_b32 exec_lo, exec_lo, s1
	v_lshrrev_b32_e32 v1, 16, v10
	v_cmp_ne_u16_sdwa s22, v1, v2 src0_sel:BYTE_0 src1_sel:DWORD
	s_and_saveexec_b32 s1, s22
	s_cbranch_execz .LBB258_608
; %bb.601:                              ;   in Loop: Header=BB258_551 Depth=1
	v_cmp_ne_u16_sdwa s26, v1, v15 src0_sel:BYTE_0 src1_sel:DWORD
	v_mov_b32_e32 v38, 0x8000
	s_and_saveexec_b32 s22, s26
	s_cbranch_execz .LBB258_607
; %bb.602:                              ;   in Loop: Header=BB258_551 Depth=1
	v_bfe_u32 v50, v10, 16, 7
	v_mov_b32_e32 v38, 0x7c01
	s_mov_b32 s26, exec_lo
	v_cmpx_ne_u32_e32 0x7f, v50
	s_cbranch_execz .LBB258_606
; %bb.603:                              ;   in Loop: Header=BB258_551 Depth=1
	v_and_b32_e32 v38, 7, v1
	v_lshrrev_b32_e32 v49, 3, v50
	s_mov_b32 s27, exec_lo
	v_cmpx_gt_u32_e32 8, v50
; %bb.604:                              ;   in Loop: Header=BB258_551 Depth=1
	v_ffbh_u32_e32 v11, v38
	v_min_u32_e32 v38, 32, v11
	v_subrev_nc_u32_e32 v11, 28, v38
	v_sub_nc_u32_e32 v49, 29, v38
	v_lshlrev_b64 v[11:12], v11, v[1:2]
	v_and_b32_e32 v38, 7, v11
; %bb.605:                              ;   in Loop: Header=BB258_551 Depth=1
	s_or_b32 exec_lo, exec_lo, s27
	v_lshlrev_b32_e32 v1, 8, v1
	v_lshl_add_u32 v11, v49, 10, 0x2000
	v_lshlrev_b32_e32 v12, 7, v38
	v_and_b32_e32 v1, 0x8000, v1
	v_and_b32_e32 v11, 0xfc00, v11
	v_or3_b32 v38, v1, v11, v12
.LBB258_606:                            ;   in Loop: Header=BB258_551 Depth=1
	s_or_b32 exec_lo, exec_lo, s26
.LBB258_607:                            ;   in Loop: Header=BB258_551 Depth=1
	s_or_b32 exec_lo, exec_lo, s22
.LBB258_608:                            ;   in Loop: Header=BB258_551 Depth=1
	s_or_b32 exec_lo, exec_lo, s1
	v_cmp_lt_u64_e32 vcc_lo, s[2:3], v[9:10]
	v_mov_b32_e32 v9, 0
	s_and_saveexec_b32 s1, vcc_lo
	s_cbranch_execz .LBB258_616
; %bb.609:                              ;   in Loop: Header=BB258_551 Depth=1
	v_lshrrev_b32_e32 v1, 24, v10
	v_bfrev_b32_e32 v9, 1
	s_mov_b32 s22, exec_lo
	v_cmpx_ne_u32_e32 0x80, v1
	s_cbranch_execz .LBB258_615
; %bb.610:                              ;   in Loop: Header=BB258_551 Depth=1
	v_and_b32_e32 v49, 0x7f, v1
	v_mov_b32_e32 v9, 0x7c010000
	s_mov_b32 s26, exec_lo
	v_cmpx_ne_u32_e32 0x7f, v49
	s_cbranch_execz .LBB258_614
; %bb.611:                              ;   in Loop: Header=BB258_551 Depth=1
	v_and_b32_e32 v9, 7, v1
	v_lshrrev_b32_e32 v10, 3, v49
	s_mov_b32 s27, exec_lo
	v_cmpx_gt_u32_e32 8, v49
; %bb.612:                              ;   in Loop: Header=BB258_551 Depth=1
	v_ffbh_u32_e32 v9, v9
	v_min_u32_e32 v11, 32, v9
	v_subrev_nc_u32_e32 v9, 28, v11
	v_lshlrev_b64 v[9:10], v9, v[1:2]
	v_sub_nc_u32_e32 v10, 29, v11
	v_and_b32_e32 v9, 7, v9
; %bb.613:                              ;   in Loop: Header=BB258_551 Depth=1
	s_or_b32 exec_lo, exec_lo, s27
	v_lshlrev_b32_e32 v1, 8, v1
	v_lshl_add_u32 v10, v10, 10, 0x2000
	v_lshlrev_b32_e32 v9, 23, v9
	v_and_or_b32 v1, 0x8000, v1, v10
	v_lshl_or_b32 v9, v1, 16, v9
.LBB258_614:                            ;   in Loop: Header=BB258_551 Depth=1
	s_or_b32 exec_lo, exec_lo, s26
.LBB258_615:                            ;   in Loop: Header=BB258_551 Depth=1
	s_or_b32 exec_lo, exec_lo, s22
.LBB258_616:                            ;   in Loop: Header=BB258_551 Depth=1
	s_or_b32 exec_lo, exec_lo, s1
	v_or_b32_e32 v1, v37, v33
	v_or_b32_e32 v11, v35, v36
	v_fma_mixlo_f16 v12, v34, v35, 0 op_sel:[0,1,0] op_sel_hi:[0,1,0]
	v_or_b32_e32 v35, v41, v39
	v_or_b32_e32 v36, v9, v38
	v_fma_mixlo_f16 v1, v34, v1, 0 op_sel_hi:[0,1,0]
	v_fma_mixlo_f16 v10, v34, v37, 0 op_sel:[0,1,0] op_sel_hi:[0,1,0]
	v_lshlrev_b32_e32 v55, 16, v12
	v_fma_mixlo_f16 v12, v34, v35, 0 op_sel_hi:[0,1,0]
	v_fma_mixlo_f16 v9, v34, v9, 0 op_sel:[0,1,0] op_sel_hi:[0,1,0]
	v_and_b32_e32 v52, 0xffff, v1
	v_fma_mixlo_f16 v1, v34, v11, 0 op_sel_hi:[0,1,0]
	v_fma_mixlo_f16 v11, v34, v41, 0 op_sel:[0,1,0] op_sel_hi:[0,1,0]
	v_fma_mixlo_f16 v34, v34, v36, 0 op_sel_hi:[0,1,0]
	v_add_nc_u32_e32 v33, v26, v14
	v_lshlrev_b32_e32 v10, 16, v10
	v_and_b32_e32 v57, 0xffff, v1
	v_lshlrev_b32_e32 v53, 16, v11
	v_and_b32_e32 v56, 0xffff, v12
	;; [unrolled: 2-line block ×3, first 2 shown]
	v_cmp_eq_u32_e32 vcc_lo, s17, v32
	v_or_b32_e32 v1, v10, v52
	v_or_b32_e32 v9, v55, v57
	;; [unrolled: 1-line block ×4, first 2 shown]
	v_add_nc_u32_e32 v41, 1, v33
	v_add_nc_u32_e32 v39, 2, v33
	;; [unrolled: 1-line block ×7, first 2 shown]
	s_and_saveexec_b32 s22, vcc_lo
	s_cbranch_execz .LBB258_618
; %bb.617:                              ;   in Loop: Header=BB258_551 Depth=1
	v_cmp_gt_i32_e64 s1, s33, v33
	v_cndmask_b32_e64 v1, 0, v57, s1
	v_cmp_gt_i32_e64 s1, s33, v41
	v_cndmask_b32_e64 v9, 0, v55, s1
	v_cmp_gt_i32_e64 s1, s33, v39
	v_or_b32_e32 v9, v9, v1
	v_cndmask_b32_e64 v11, 0, v52, s1
	v_cmp_gt_i32_e64 s1, s33, v38
	v_cndmask_b32_e64 v10, 0, v10, s1
	v_cmp_gt_i32_e64 s1, s33, v37
	v_or_b32_e32 v1, v10, v11
	;; [unrolled: 5-line block ×3, first 2 shown]
	v_cndmask_b32_e64 v51, 0, v54, s1
	v_cmp_gt_i32_e64 s1, s33, v34
	v_cndmask_b32_e64 v50, 0, v50, s1
	v_or_b32_e32 v51, v50, v51
.LBB258_618:                            ;   in Loop: Header=BB258_551 Depth=1
	s_or_b32 exec_lo, exec_lo, s22
	v_and_b32_e32 v10, 0xffff, v40
	v_and_b32_e32 v11, 0xffff, v45
	;; [unrolled: 1-line block ×4, first 2 shown]
	v_mov_b32_e32 v48, 0
	v_lshl_or_b32 v46, v42, 16, v10
	v_lshl_or_b32 v45, v43, 16, v11
	;;#ASMSTART
	v_pk_mul_f16 v9, v46, v9;

	;;#ASMEND
	;;#ASMSTART
	v_pk_mul_f16 v1, v45, v1;

	;;#ASMEND
	v_lshl_or_b32 v44, v44, 16, v12
	v_lshl_or_b32 v43, v47, 16, v40
	;;#ASMSTART
	v_pk_mul_f16 v10, v44, v49;

	;;#ASMEND
	;;#ASMSTART
	v_pk_mul_f16 v11, v43, v51;

	;;#ASMEND
	;;#ASMSTART
	v_pk_add_f16 v1, v9, v1;

	;;#ASMEND
	;;#ASMSTART
	v_pk_add_f16 v1, v1, v10;
	;; [unrolled: 4-line block ×3, first 2 shown]

	;;#ASMEND
	v_and_b32_e32 v9, 0xffff, v1
	v_lshrrev_b32_e32 v1, 16, v1
	;;#ASMSTART
	v_cvt_f32_f16 v40, v9;
	;;#ASMEND
	;;#ASMSTART
	v_cvt_f32_f16 v42, v1;
	;;#ASMEND
	global_load_dwordx2 v[9:10], v[7:8], off offset:256
	global_load_dword v47, v48, s[14:15]
	v_mov_b32_e32 v49, 0
	s_waitcnt vmcnt(1)
	v_cmp_ne_u16_sdwa s1, v9, v2 src0_sel:BYTE_0 src1_sel:DWORD
	s_and_saveexec_b32 s22, s1
	s_cbranch_execz .LBB258_626
; %bb.619:                              ;   in Loop: Header=BB258_551 Depth=1
	v_cmp_ne_u16_sdwa s1, v9, v15 src0_sel:BYTE_0 src1_sel:DWORD
	v_mov_b32_e32 v49, 0x8000
	s_and_saveexec_b32 s26, s1
	s_cbranch_execz .LBB258_625
; %bb.620:                              ;   in Loop: Header=BB258_551 Depth=1
	v_and_b32_e32 v50, 0x7f, v9
	v_mov_b32_e32 v49, 0x7c01
	s_mov_b32 s27, exec_lo
	v_cmpx_ne_u32_e32 0x7f, v50
	s_cbranch_execz .LBB258_624
; %bb.621:                              ;   in Loop: Header=BB258_551 Depth=1
	v_and_b32_e32 v1, 7, v9
	v_lshrrev_b32_e32 v49, 3, v50
	s_mov_b32 s28, exec_lo
	v_cmpx_gt_u32_e32 8, v50
; %bb.622:                              ;   in Loop: Header=BB258_551 Depth=1
	v_ffbh_u32_e32 v1, v1
	v_min_u32_e32 v1, 32, v1
	v_subrev_nc_u32_e32 v11, 28, v1
	v_sub_nc_u32_e32 v49, 29, v1
	v_lshlrev_b64 v[11:12], v11, v[9:10]
	v_and_b32_e32 v1, 7, v11
; %bb.623:                              ;   in Loop: Header=BB258_551 Depth=1
	s_or_b32 exec_lo, exec_lo, s28
	v_lshlrev_b32_e32 v11, 8, v9
	v_lshl_add_u32 v12, v49, 10, 0x2000
	v_lshlrev_b32_e32 v1, 7, v1
	v_and_b32_e32 v11, 0x8000, v11
	v_and_b32_e32 v12, 0xfc00, v12
	v_or3_b32 v49, v11, v12, v1
.LBB258_624:                            ;   in Loop: Header=BB258_551 Depth=1
	s_or_b32 exec_lo, exec_lo, s27
.LBB258_625:                            ;   in Loop: Header=BB258_551 Depth=1
	s_or_b32 exec_lo, exec_lo, s26
.LBB258_626:                            ;   in Loop: Header=BB258_551 Depth=1
	s_or_b32 exec_lo, exec_lo, s22
	v_lshrrev_b16 v1, 8, v9
	s_mov_b32 s22, exec_lo
	v_cmpx_ne_u16_e32 0, v1
	s_cbranch_execz .LBB258_634
; %bb.627:                              ;   in Loop: Header=BB258_551 Depth=1
	v_bfrev_b32_e32 v48, 1
	s_mov_b32 s26, exec_lo
	v_cmpx_ne_u16_e32 0x80, v1
	s_cbranch_execz .LBB258_633
; %bb.628:                              ;   in Loop: Header=BB258_551 Depth=1
	v_and_b32_sdwa v51, v1, v27 dst_sel:DWORD dst_unused:UNUSED_PAD src0_sel:WORD_0 src1_sel:DWORD
	v_mov_b32_e32 v48, 0x7c010000
	s_mov_b32 s27, exec_lo
	v_cmpx_ne_u32_e32 0x7f, v51
	s_cbranch_execz .LBB258_632
; %bb.629:                              ;   in Loop: Header=BB258_551 Depth=1
	v_and_b32_sdwa v48, v1, v28 dst_sel:DWORD dst_unused:UNUSED_PAD src0_sel:WORD_0 src1_sel:DWORD
	v_lshrrev_b32_e32 v50, 3, v51
	s_mov_b32 s28, exec_lo
	v_cmpx_gt_u32_e32 8, v51
; %bb.630:                              ;   in Loop: Header=BB258_551 Depth=1
	v_ffbh_u32_e32 v11, v48
	v_min_u32_e32 v48, 32, v11
	v_subrev_nc_u32_e32 v11, 28, v48
	v_sub_nc_u32_e32 v50, 29, v48
	v_lshlrev_b64 v[11:12], v11, v[1:2]
	v_and_b32_e32 v48, 7, v11
; %bb.631:                              ;   in Loop: Header=BB258_551 Depth=1
	s_or_b32 exec_lo, exec_lo, s28
	v_lshlrev_b32_sdwa v1, v29, v1 dst_sel:DWORD dst_unused:UNUSED_PAD src0_sel:DWORD src1_sel:WORD_0
	v_lshl_add_u32 v11, v50, 10, 0x2000
	v_and_or_b32 v1, 0x8000, v1, v11
	v_lshlrev_b32_e32 v11, 23, v48
	v_lshl_or_b32 v48, v1, 16, v11
.LBB258_632:                            ;   in Loop: Header=BB258_551 Depth=1
	s_or_b32 exec_lo, exec_lo, s27
.LBB258_633:                            ;   in Loop: Header=BB258_551 Depth=1
	s_or_b32 exec_lo, exec_lo, s26
.LBB258_634:                            ;   in Loop: Header=BB258_551 Depth=1
	s_or_b32 exec_lo, exec_lo, s22
	v_lshrrev_b32_e32 v1, 16, v9
	v_mov_b32_e32 v50, 0
	v_mov_b32_e32 v51, 0
	v_cmp_ne_u16_sdwa s1, v1, v2 src0_sel:BYTE_0 src1_sel:DWORD
	s_and_saveexec_b32 s22, s1
	s_cbranch_execz .LBB258_642
; %bb.635:                              ;   in Loop: Header=BB258_551 Depth=1
	v_cmp_ne_u16_sdwa s1, v1, v15 src0_sel:BYTE_0 src1_sel:DWORD
	v_mov_b32_e32 v51, 0x8000
	s_and_saveexec_b32 s26, s1
	s_cbranch_execz .LBB258_641
; %bb.636:                              ;   in Loop: Header=BB258_551 Depth=1
	v_bfe_u32 v53, v9, 16, 7
	v_mov_b32_e32 v51, 0x7c01
	s_mov_b32 s27, exec_lo
	v_cmpx_ne_u32_e32 0x7f, v53
	s_cbranch_execz .LBB258_640
; %bb.637:                              ;   in Loop: Header=BB258_551 Depth=1
	v_and_b32_e32 v51, 7, v1
	v_lshrrev_b32_e32 v52, 3, v53
	s_mov_b32 s28, exec_lo
	v_cmpx_gt_u32_e32 8, v53
; %bb.638:                              ;   in Loop: Header=BB258_551 Depth=1
	v_ffbh_u32_e32 v11, v51
	v_min_u32_e32 v51, 32, v11
	v_subrev_nc_u32_e32 v11, 28, v51
	v_sub_nc_u32_e32 v52, 29, v51
	v_lshlrev_b64 v[11:12], v11, v[1:2]
	v_and_b32_e32 v51, 7, v11
; %bb.639:                              ;   in Loop: Header=BB258_551 Depth=1
	s_or_b32 exec_lo, exec_lo, s28
	v_lshlrev_b32_e32 v1, 8, v1
	v_lshl_add_u32 v11, v52, 10, 0x2000
	v_lshlrev_b32_e32 v12, 7, v51
	v_and_b32_e32 v1, 0x8000, v1
	v_and_b32_e32 v11, 0xfc00, v11
	v_or3_b32 v51, v1, v11, v12
.LBB258_640:                            ;   in Loop: Header=BB258_551 Depth=1
	s_or_b32 exec_lo, exec_lo, s27
.LBB258_641:                            ;   in Loop: Header=BB258_551 Depth=1
	s_or_b32 exec_lo, exec_lo, s26
.LBB258_642:                            ;   in Loop: Header=BB258_551 Depth=1
	s_or_b32 exec_lo, exec_lo, s22
	s_mov_b32 s22, exec_lo
	v_cmpx_lt_u32_e32 0xffffff, v9
	s_cbranch_execz .LBB258_650
; %bb.643:                              ;   in Loop: Header=BB258_551 Depth=1
	v_lshrrev_b32_e32 v1, 24, v9
	v_bfrev_b32_e32 v50, 1
	s_mov_b32 s26, exec_lo
	v_cmpx_ne_u32_e32 0x80, v1
	s_cbranch_execz .LBB258_649
; %bb.644:                              ;   in Loop: Header=BB258_551 Depth=1
	v_and_b32_e32 v53, 0x7f, v1
	v_mov_b32_e32 v50, 0x7c010000
	s_mov_b32 s27, exec_lo
	v_cmpx_ne_u32_e32 0x7f, v53
	s_cbranch_execz .LBB258_648
; %bb.645:                              ;   in Loop: Header=BB258_551 Depth=1
	v_and_b32_e32 v50, 7, v1
	v_lshrrev_b32_e32 v52, 3, v53
	s_mov_b32 s28, exec_lo
	v_cmpx_gt_u32_e32 8, v53
; %bb.646:                              ;   in Loop: Header=BB258_551 Depth=1
	v_ffbh_u32_e32 v11, v50
	v_min_u32_e32 v50, 32, v11
	v_subrev_nc_u32_e32 v11, 28, v50
	v_sub_nc_u32_e32 v52, 29, v50
	v_lshlrev_b64 v[11:12], v11, v[1:2]
	v_and_b32_e32 v50, 7, v11
; %bb.647:                              ;   in Loop: Header=BB258_551 Depth=1
	s_or_b32 exec_lo, exec_lo, s28
	v_lshlrev_b32_e32 v1, 8, v1
	v_lshl_add_u32 v11, v52, 10, 0x2000
	v_and_or_b32 v1, 0x8000, v1, v11
	v_lshlrev_b32_e32 v11, 23, v50
	v_lshl_or_b32 v50, v1, 16, v11
.LBB258_648:                            ;   in Loop: Header=BB258_551 Depth=1
	s_or_b32 exec_lo, exec_lo, s27
.LBB258_649:                            ;   in Loop: Header=BB258_551 Depth=1
	s_or_b32 exec_lo, exec_lo, s26
.LBB258_650:                            ;   in Loop: Header=BB258_551 Depth=1
	s_or_b32 exec_lo, exec_lo, s22
	v_mov_b32_e32 v1, v10
	v_cmp_ne_u16_sdwa s1, v10, v2 src0_sel:BYTE_0 src1_sel:DWORD
	v_mov_b32_e32 v52, 0
	v_mov_b32_e32 v53, 0
	s_and_saveexec_b32 s22, s1
	s_cbranch_execz .LBB258_658
; %bb.651:                              ;   in Loop: Header=BB258_551 Depth=1
	v_cmp_ne_u16_sdwa s1, v10, v15 src0_sel:BYTE_0 src1_sel:DWORD
	v_mov_b32_e32 v53, 0x8000
	s_and_saveexec_b32 s26, s1
	s_cbranch_execz .LBB258_657
; %bb.652:                              ;   in Loop: Header=BB258_551 Depth=1
	v_and_b32_e32 v55, 0x7f, v10
	v_mov_b32_e32 v53, 0x7c01
	s_mov_b32 s27, exec_lo
	v_cmpx_ne_u32_e32 0x7f, v55
	s_cbranch_execz .LBB258_656
; %bb.653:                              ;   in Loop: Header=BB258_551 Depth=1
	v_and_b32_e32 v53, 7, v10
	v_lshrrev_b32_e32 v54, 3, v55
	s_mov_b32 s28, exec_lo
	v_cmpx_gt_u32_e32 8, v55
; %bb.654:                              ;   in Loop: Header=BB258_551 Depth=1
	v_ffbh_u32_e32 v11, v53
	v_min_u32_e32 v53, 32, v11
	v_subrev_nc_u32_e32 v11, 28, v53
	v_sub_nc_u32_e32 v54, 29, v53
	v_lshlrev_b64 v[11:12], v11, v[1:2]
	v_and_b32_e32 v53, 7, v11
; %bb.655:                              ;   in Loop: Header=BB258_551 Depth=1
	s_or_b32 exec_lo, exec_lo, s28
	v_lshlrev_b32_e32 v11, 8, v10
	v_lshl_add_u32 v12, v54, 10, 0x2000
	v_lshlrev_b32_e32 v53, 7, v53
	v_and_b32_e32 v11, 0x8000, v11
	v_and_b32_e32 v12, 0xfc00, v12
	v_or3_b32 v53, v11, v12, v53
.LBB258_656:                            ;   in Loop: Header=BB258_551 Depth=1
	s_or_b32 exec_lo, exec_lo, s27
.LBB258_657:                            ;   in Loop: Header=BB258_551 Depth=1
	s_or_b32 exec_lo, exec_lo, s26
.LBB258_658:                            ;   in Loop: Header=BB258_551 Depth=1
	s_or_b32 exec_lo, exec_lo, s22
	v_lshrrev_b16 v1, 8, v1
	v_mov_b32_e32 v54, 0
	s_mov_b32 s22, exec_lo
	v_cmpx_ne_u16_e32 0, v1
	s_cbranch_execz .LBB258_666
; %bb.659:                              ;   in Loop: Header=BB258_551 Depth=1
	v_bfrev_b32_e32 v54, 1
	s_mov_b32 s26, exec_lo
	v_cmpx_ne_u16_e32 0x80, v1
	s_cbranch_execz .LBB258_665
; %bb.660:                              ;   in Loop: Header=BB258_551 Depth=1
	v_and_b32_sdwa v56, v1, v27 dst_sel:DWORD dst_unused:UNUSED_PAD src0_sel:WORD_0 src1_sel:DWORD
	v_mov_b32_e32 v54, 0x7c010000
	s_mov_b32 s27, exec_lo
	v_cmpx_ne_u32_e32 0x7f, v56
	s_cbranch_execz .LBB258_664
; %bb.661:                              ;   in Loop: Header=BB258_551 Depth=1
	v_and_b32_sdwa v54, v1, v28 dst_sel:DWORD dst_unused:UNUSED_PAD src0_sel:WORD_0 src1_sel:DWORD
	v_lshrrev_b32_e32 v55, 3, v56
	s_mov_b32 s28, exec_lo
	v_cmpx_gt_u32_e32 8, v56
; %bb.662:                              ;   in Loop: Header=BB258_551 Depth=1
	v_ffbh_u32_e32 v11, v54
	v_min_u32_e32 v54, 32, v11
	v_subrev_nc_u32_e32 v11, 28, v54
	v_sub_nc_u32_e32 v55, 29, v54
	v_lshlrev_b64 v[11:12], v11, v[1:2]
	v_and_b32_e32 v54, 7, v11
; %bb.663:                              ;   in Loop: Header=BB258_551 Depth=1
	s_or_b32 exec_lo, exec_lo, s28
	v_lshlrev_b32_sdwa v1, v29, v1 dst_sel:DWORD dst_unused:UNUSED_PAD src0_sel:DWORD src1_sel:WORD_0
	v_lshl_add_u32 v11, v55, 10, 0x2000
	v_and_or_b32 v1, 0x8000, v1, v11
	v_lshlrev_b32_e32 v11, 23, v54
	v_lshl_or_b32 v54, v1, 16, v11
.LBB258_664:                            ;   in Loop: Header=BB258_551 Depth=1
	s_or_b32 exec_lo, exec_lo, s27
.LBB258_665:                            ;   in Loop: Header=BB258_551 Depth=1
	s_or_b32 exec_lo, exec_lo, s26
.LBB258_666:                            ;   in Loop: Header=BB258_551 Depth=1
	s_or_b32 exec_lo, exec_lo, s22
	v_lshrrev_b32_e32 v1, 16, v10
	v_cmp_ne_u16_sdwa s1, v1, v2 src0_sel:BYTE_0 src1_sel:DWORD
	s_and_saveexec_b32 s22, s1
	s_cbranch_execz .LBB258_674
; %bb.667:                              ;   in Loop: Header=BB258_551 Depth=1
	v_cmp_ne_u16_sdwa s1, v1, v15 src0_sel:BYTE_0 src1_sel:DWORD
	v_mov_b32_e32 v52, 0x8000
	s_and_saveexec_b32 s26, s1
	s_cbranch_execz .LBB258_673
; %bb.668:                              ;   in Loop: Header=BB258_551 Depth=1
	v_bfe_u32 v56, v10, 16, 7
	v_mov_b32_e32 v52, 0x7c01
	s_mov_b32 s27, exec_lo
	v_cmpx_ne_u32_e32 0x7f, v56
	s_cbranch_execz .LBB258_672
; %bb.669:                              ;   in Loop: Header=BB258_551 Depth=1
	v_and_b32_e32 v52, 7, v1
	v_lshrrev_b32_e32 v55, 3, v56
	s_mov_b32 s28, exec_lo
	v_cmpx_gt_u32_e32 8, v56
; %bb.670:                              ;   in Loop: Header=BB258_551 Depth=1
	v_ffbh_u32_e32 v11, v52
	v_min_u32_e32 v52, 32, v11
	v_subrev_nc_u32_e32 v11, 28, v52
	v_sub_nc_u32_e32 v55, 29, v52
	v_lshlrev_b64 v[11:12], v11, v[1:2]
	v_and_b32_e32 v52, 7, v11
; %bb.671:                              ;   in Loop: Header=BB258_551 Depth=1
	s_or_b32 exec_lo, exec_lo, s28
	v_lshlrev_b32_e32 v1, 8, v1
	v_lshl_add_u32 v11, v55, 10, 0x2000
	v_lshlrev_b32_e32 v12, 7, v52
	v_and_b32_e32 v1, 0x8000, v1
	v_and_b32_e32 v11, 0xfc00, v11
	v_or3_b32 v52, v1, v11, v12
.LBB258_672:                            ;   in Loop: Header=BB258_551 Depth=1
	s_or_b32 exec_lo, exec_lo, s27
.LBB258_673:                            ;   in Loop: Header=BB258_551 Depth=1
	s_or_b32 exec_lo, exec_lo, s26
.LBB258_674:                            ;   in Loop: Header=BB258_551 Depth=1
	s_or_b32 exec_lo, exec_lo, s22
	v_cmp_lt_u64_e64 s1, s[2:3], v[9:10]
	v_mov_b32_e32 v9, 0
	s_and_saveexec_b32 s22, s1
	s_cbranch_execz .LBB258_682
; %bb.675:                              ;   in Loop: Header=BB258_551 Depth=1
	v_lshrrev_b32_e32 v1, 24, v10
	v_bfrev_b32_e32 v9, 1
	s_mov_b32 s26, exec_lo
	v_cmpx_ne_u32_e32 0x80, v1
	s_cbranch_execz .LBB258_681
; %bb.676:                              ;   in Loop: Header=BB258_551 Depth=1
	v_and_b32_e32 v55, 0x7f, v1
	v_mov_b32_e32 v9, 0x7c010000
	s_mov_b32 s27, exec_lo
	v_cmpx_ne_u32_e32 0x7f, v55
	s_cbranch_execz .LBB258_680
; %bb.677:                              ;   in Loop: Header=BB258_551 Depth=1
	v_and_b32_e32 v9, 7, v1
	v_lshrrev_b32_e32 v10, 3, v55
	s_mov_b32 s28, exec_lo
	v_cmpx_gt_u32_e32 8, v55
; %bb.678:                              ;   in Loop: Header=BB258_551 Depth=1
	v_ffbh_u32_e32 v9, v9
	v_min_u32_e32 v11, 32, v9
	v_subrev_nc_u32_e32 v9, 28, v11
	v_lshlrev_b64 v[9:10], v9, v[1:2]
	v_sub_nc_u32_e32 v10, 29, v11
	v_and_b32_e32 v9, 7, v9
; %bb.679:                              ;   in Loop: Header=BB258_551 Depth=1
	s_or_b32 exec_lo, exec_lo, s28
	v_lshlrev_b32_e32 v1, 8, v1
	v_lshl_add_u32 v10, v10, 10, 0x2000
	v_lshlrev_b32_e32 v9, 23, v9
	v_and_or_b32 v1, 0x8000, v1, v10
	v_lshl_or_b32 v9, v1, 16, v9
.LBB258_680:                            ;   in Loop: Header=BB258_551 Depth=1
	s_or_b32 exec_lo, exec_lo, s27
.LBB258_681:                            ;   in Loop: Header=BB258_551 Depth=1
	s_or_b32 exec_lo, exec_lo, s26
.LBB258_682:                            ;   in Loop: Header=BB258_551 Depth=1
	s_or_b32 exec_lo, exec_lo, s22
	v_or_b32_e32 v1, v50, v51
	s_waitcnt vmcnt(0)
	v_fma_mixlo_f16 v10, v47, v50, 0 op_sel:[0,1,0] op_sel_hi:[0,1,0]
	v_or_b32_e32 v11, v48, v49
	v_fma_mixlo_f16 v12, v47, v48, 0 op_sel:[0,1,0] op_sel_hi:[0,1,0]
	v_or_b32_e32 v48, v54, v53
	v_fma_mixlo_f16 v50, v47, v1, 0 op_sel_hi:[0,1,0]
	v_or_b32_e32 v51, v9, v52
	v_lshlrev_b32_e32 v1, 16, v10
	v_lshlrev_b32_e32 v49, 16, v12
	v_fma_mixlo_f16 v11, v47, v11, 0 op_sel_hi:[0,1,0]
	v_and_b32_e32 v10, 0xffff, v50
	v_fma_mixlo_f16 v12, v47, v54, 0 op_sel:[0,1,0] op_sel_hi:[0,1,0]
	v_fma_mixlo_f16 v48, v47, v48, 0 op_sel_hi:[0,1,0]
	v_fma_mixlo_f16 v9, v47, v9, 0 op_sel:[0,1,0] op_sel_hi:[0,1,0]
	v_fma_mixlo_f16 v50, v47, v51, 0 op_sel_hi:[0,1,0]
	v_and_b32_e32 v55, 0xffff, v11
	v_lshlrev_b32_e32 v47, 16, v12
	v_and_b32_e32 v51, 0xffff, v48
	v_lshlrev_b32_e32 v9, 16, v9
	v_and_b32_e32 v48, 0xffff, v50
	v_or_b32_e32 v50, v1, v10
	v_or_b32_e32 v54, v49, v55
	;; [unrolled: 1-line block ×4, first 2 shown]
	s_and_saveexec_b32 s22, vcc_lo
	s_cbranch_execz .LBB258_684
; %bb.683:                              ;   in Loop: Header=BB258_551 Depth=1
	v_cmp_gt_i32_e64 s1, s33, v33
	v_cndmask_b32_e64 v11, 0, v55, s1
	v_cmp_gt_i32_e64 s1, s33, v41
	v_cndmask_b32_e64 v12, 0, v49, s1
	v_cmp_gt_i32_e64 s1, s33, v39
	v_or_b32_e32 v54, v12, v11
	v_cndmask_b32_e64 v10, 0, v10, s1
	v_cmp_gt_i32_e64 s1, s33, v38
	v_cndmask_b32_e64 v1, 0, v1, s1
	v_cmp_gt_i32_e64 s1, s33, v37
	v_or_b32_e32 v50, v1, v10
	;; [unrolled: 5-line block ×3, first 2 shown]
	v_cndmask_b32_e64 v48, 0, v48, s1
	v_cmp_gt_i32_e64 s1, s33, v34
	v_cndmask_b32_e64 v9, 0, v9, s1
	v_or_b32_e32 v52, v9, v48
.LBB258_684:                            ;   in Loop: Header=BB258_551 Depth=1
	s_or_b32 exec_lo, exec_lo, s22
	;;#ASMSTART
	v_pk_mul_f16 v1, v46, v54;

	;;#ASMEND
	;;#ASMSTART
	v_pk_mul_f16 v9, v45, v50;

	;;#ASMEND
	;; [unrolled: 4-line block ×4, first 2 shown]
	;;#ASMSTART
	v_pk_add_f16 v1, v1, v9;

	;;#ASMEND
	;;#ASMSTART
	v_pk_add_f16 v1, v1, v10;

	;;#ASMEND
	;;#ASMSTART
	v_pk_add_f16 v1, v1, v11;

	;;#ASMEND
	v_and_b32_e32 v9, 0xffff, v1
	v_lshrrev_b32_e32 v1, 16, v1
	;;#ASMSTART
	v_cvt_f32_f16 v47, v9;
	;;#ASMEND
	;;#ASMSTART
	v_cvt_f32_f16 v48, v1;
	;;#ASMEND
	global_load_dwordx2 v[9:10], v[7:8], off offset:512
	v_mov_b32_e32 v50, 0
	v_mov_b32_e32 v51, 0
	global_load_dword v49, v50, s[14:15]
	s_waitcnt vmcnt(1)
	v_cmp_ne_u16_sdwa s1, v9, v2 src0_sel:BYTE_0 src1_sel:DWORD
	s_and_saveexec_b32 s22, s1
	s_cbranch_execz .LBB258_692
; %bb.685:                              ;   in Loop: Header=BB258_551 Depth=1
	v_cmp_ne_u16_sdwa s1, v9, v15 src0_sel:BYTE_0 src1_sel:DWORD
	v_mov_b32_e32 v51, 0x8000
	s_and_saveexec_b32 s26, s1
	s_cbranch_execz .LBB258_691
; %bb.686:                              ;   in Loop: Header=BB258_551 Depth=1
	v_and_b32_e32 v52, 0x7f, v9
	v_mov_b32_e32 v51, 0x7c01
	s_mov_b32 s27, exec_lo
	v_cmpx_ne_u32_e32 0x7f, v52
	s_cbranch_execz .LBB258_690
; %bb.687:                              ;   in Loop: Header=BB258_551 Depth=1
	v_and_b32_e32 v1, 7, v9
	v_lshrrev_b32_e32 v51, 3, v52
	s_mov_b32 s28, exec_lo
	v_cmpx_gt_u32_e32 8, v52
; %bb.688:                              ;   in Loop: Header=BB258_551 Depth=1
	v_ffbh_u32_e32 v1, v1
	v_min_u32_e32 v1, 32, v1
	v_subrev_nc_u32_e32 v11, 28, v1
	v_sub_nc_u32_e32 v51, 29, v1
	v_lshlrev_b64 v[11:12], v11, v[9:10]
	v_and_b32_e32 v1, 7, v11
; %bb.689:                              ;   in Loop: Header=BB258_551 Depth=1
	s_or_b32 exec_lo, exec_lo, s28
	v_lshlrev_b32_e32 v11, 8, v9
	v_lshl_add_u32 v12, v51, 10, 0x2000
	v_lshlrev_b32_e32 v1, 7, v1
	v_and_b32_e32 v11, 0x8000, v11
	v_and_b32_e32 v12, 0xfc00, v12
	v_or3_b32 v51, v11, v12, v1
.LBB258_690:                            ;   in Loop: Header=BB258_551 Depth=1
	s_or_b32 exec_lo, exec_lo, s27
.LBB258_691:                            ;   in Loop: Header=BB258_551 Depth=1
	s_or_b32 exec_lo, exec_lo, s26
.LBB258_692:                            ;   in Loop: Header=BB258_551 Depth=1
	s_or_b32 exec_lo, exec_lo, s22
	v_lshrrev_b16 v1, 8, v9
	s_mov_b32 s22, exec_lo
	v_cmpx_ne_u16_e32 0, v1
	s_cbranch_execz .LBB258_700
; %bb.693:                              ;   in Loop: Header=BB258_551 Depth=1
	v_bfrev_b32_e32 v50, 1
	s_mov_b32 s26, exec_lo
	v_cmpx_ne_u16_e32 0x80, v1
	s_cbranch_execz .LBB258_699
; %bb.694:                              ;   in Loop: Header=BB258_551 Depth=1
	v_and_b32_sdwa v53, v1, v27 dst_sel:DWORD dst_unused:UNUSED_PAD src0_sel:WORD_0 src1_sel:DWORD
	v_mov_b32_e32 v50, 0x7c010000
	s_mov_b32 s27, exec_lo
	v_cmpx_ne_u32_e32 0x7f, v53
	s_cbranch_execz .LBB258_698
; %bb.695:                              ;   in Loop: Header=BB258_551 Depth=1
	v_and_b32_sdwa v50, v1, v28 dst_sel:DWORD dst_unused:UNUSED_PAD src0_sel:WORD_0 src1_sel:DWORD
	v_lshrrev_b32_e32 v52, 3, v53
	s_mov_b32 s28, exec_lo
	v_cmpx_gt_u32_e32 8, v53
; %bb.696:                              ;   in Loop: Header=BB258_551 Depth=1
	v_ffbh_u32_e32 v11, v50
	v_min_u32_e32 v50, 32, v11
	v_subrev_nc_u32_e32 v11, 28, v50
	v_sub_nc_u32_e32 v52, 29, v50
	v_lshlrev_b64 v[11:12], v11, v[1:2]
	v_and_b32_e32 v50, 7, v11
; %bb.697:                              ;   in Loop: Header=BB258_551 Depth=1
	s_or_b32 exec_lo, exec_lo, s28
	v_lshlrev_b32_sdwa v1, v29, v1 dst_sel:DWORD dst_unused:UNUSED_PAD src0_sel:DWORD src1_sel:WORD_0
	v_lshl_add_u32 v11, v52, 10, 0x2000
	v_and_or_b32 v1, 0x8000, v1, v11
	v_lshlrev_b32_e32 v11, 23, v50
	v_lshl_or_b32 v50, v1, 16, v11
.LBB258_698:                            ;   in Loop: Header=BB258_551 Depth=1
	s_or_b32 exec_lo, exec_lo, s27
.LBB258_699:                            ;   in Loop: Header=BB258_551 Depth=1
	s_or_b32 exec_lo, exec_lo, s26
.LBB258_700:                            ;   in Loop: Header=BB258_551 Depth=1
	s_or_b32 exec_lo, exec_lo, s22
	v_lshrrev_b32_e32 v1, 16, v9
	v_mov_b32_e32 v52, 0
	v_mov_b32_e32 v53, 0
	v_cmp_ne_u16_sdwa s1, v1, v2 src0_sel:BYTE_0 src1_sel:DWORD
	s_and_saveexec_b32 s22, s1
	s_cbranch_execz .LBB258_708
; %bb.701:                              ;   in Loop: Header=BB258_551 Depth=1
	v_cmp_ne_u16_sdwa s1, v1, v15 src0_sel:BYTE_0 src1_sel:DWORD
	v_mov_b32_e32 v53, 0x8000
	s_and_saveexec_b32 s26, s1
	s_cbranch_execz .LBB258_707
; %bb.702:                              ;   in Loop: Header=BB258_551 Depth=1
	v_bfe_u32 v55, v9, 16, 7
	v_mov_b32_e32 v53, 0x7c01
	s_mov_b32 s27, exec_lo
	v_cmpx_ne_u32_e32 0x7f, v55
	s_cbranch_execz .LBB258_706
; %bb.703:                              ;   in Loop: Header=BB258_551 Depth=1
	v_and_b32_e32 v53, 7, v1
	v_lshrrev_b32_e32 v54, 3, v55
	s_mov_b32 s28, exec_lo
	v_cmpx_gt_u32_e32 8, v55
; %bb.704:                              ;   in Loop: Header=BB258_551 Depth=1
	v_ffbh_u32_e32 v11, v53
	v_min_u32_e32 v53, 32, v11
	v_subrev_nc_u32_e32 v11, 28, v53
	v_sub_nc_u32_e32 v54, 29, v53
	v_lshlrev_b64 v[11:12], v11, v[1:2]
	v_and_b32_e32 v53, 7, v11
; %bb.705:                              ;   in Loop: Header=BB258_551 Depth=1
	s_or_b32 exec_lo, exec_lo, s28
	v_lshlrev_b32_e32 v1, 8, v1
	v_lshl_add_u32 v11, v54, 10, 0x2000
	v_lshlrev_b32_e32 v12, 7, v53
	v_and_b32_e32 v1, 0x8000, v1
	v_and_b32_e32 v11, 0xfc00, v11
	v_or3_b32 v53, v1, v11, v12
.LBB258_706:                            ;   in Loop: Header=BB258_551 Depth=1
	s_or_b32 exec_lo, exec_lo, s27
.LBB258_707:                            ;   in Loop: Header=BB258_551 Depth=1
	s_or_b32 exec_lo, exec_lo, s26
.LBB258_708:                            ;   in Loop: Header=BB258_551 Depth=1
	s_or_b32 exec_lo, exec_lo, s22
	s_mov_b32 s22, exec_lo
	v_cmpx_lt_u32_e32 0xffffff, v9
	s_cbranch_execz .LBB258_716
; %bb.709:                              ;   in Loop: Header=BB258_551 Depth=1
	v_lshrrev_b32_e32 v1, 24, v9
	v_bfrev_b32_e32 v52, 1
	s_mov_b32 s26, exec_lo
	v_cmpx_ne_u32_e32 0x80, v1
	s_cbranch_execz .LBB258_715
; %bb.710:                              ;   in Loop: Header=BB258_551 Depth=1
	v_and_b32_e32 v55, 0x7f, v1
	v_mov_b32_e32 v52, 0x7c010000
	s_mov_b32 s27, exec_lo
	v_cmpx_ne_u32_e32 0x7f, v55
	s_cbranch_execz .LBB258_714
; %bb.711:                              ;   in Loop: Header=BB258_551 Depth=1
	v_and_b32_e32 v52, 7, v1
	v_lshrrev_b32_e32 v54, 3, v55
	s_mov_b32 s28, exec_lo
	v_cmpx_gt_u32_e32 8, v55
; %bb.712:                              ;   in Loop: Header=BB258_551 Depth=1
	v_ffbh_u32_e32 v11, v52
	v_min_u32_e32 v52, 32, v11
	v_subrev_nc_u32_e32 v11, 28, v52
	v_sub_nc_u32_e32 v54, 29, v52
	v_lshlrev_b64 v[11:12], v11, v[1:2]
	v_and_b32_e32 v52, 7, v11
; %bb.713:                              ;   in Loop: Header=BB258_551 Depth=1
	s_or_b32 exec_lo, exec_lo, s28
	v_lshlrev_b32_e32 v1, 8, v1
	v_lshl_add_u32 v11, v54, 10, 0x2000
	v_and_or_b32 v1, 0x8000, v1, v11
	v_lshlrev_b32_e32 v11, 23, v52
	v_lshl_or_b32 v52, v1, 16, v11
.LBB258_714:                            ;   in Loop: Header=BB258_551 Depth=1
	s_or_b32 exec_lo, exec_lo, s27
.LBB258_715:                            ;   in Loop: Header=BB258_551 Depth=1
	s_or_b32 exec_lo, exec_lo, s26
.LBB258_716:                            ;   in Loop: Header=BB258_551 Depth=1
	s_or_b32 exec_lo, exec_lo, s22
	v_mov_b32_e32 v1, v10
	v_cmp_ne_u16_sdwa s1, v10, v2 src0_sel:BYTE_0 src1_sel:DWORD
	v_mov_b32_e32 v54, 0
	v_mov_b32_e32 v55, 0
	s_and_saveexec_b32 s22, s1
	s_cbranch_execz .LBB258_724
; %bb.717:                              ;   in Loop: Header=BB258_551 Depth=1
	v_cmp_ne_u16_sdwa s1, v10, v15 src0_sel:BYTE_0 src1_sel:DWORD
	v_mov_b32_e32 v55, 0x8000
	s_and_saveexec_b32 s26, s1
	s_cbranch_execz .LBB258_723
; %bb.718:                              ;   in Loop: Header=BB258_551 Depth=1
	v_and_b32_e32 v57, 0x7f, v10
	v_mov_b32_e32 v55, 0x7c01
	s_mov_b32 s27, exec_lo
	v_cmpx_ne_u32_e32 0x7f, v57
	s_cbranch_execz .LBB258_722
; %bb.719:                              ;   in Loop: Header=BB258_551 Depth=1
	v_and_b32_e32 v55, 7, v10
	v_lshrrev_b32_e32 v56, 3, v57
	s_mov_b32 s28, exec_lo
	v_cmpx_gt_u32_e32 8, v57
; %bb.720:                              ;   in Loop: Header=BB258_551 Depth=1
	v_ffbh_u32_e32 v11, v55
	v_min_u32_e32 v55, 32, v11
	v_subrev_nc_u32_e32 v11, 28, v55
	v_sub_nc_u32_e32 v56, 29, v55
	v_lshlrev_b64 v[11:12], v11, v[1:2]
	v_and_b32_e32 v55, 7, v11
; %bb.721:                              ;   in Loop: Header=BB258_551 Depth=1
	s_or_b32 exec_lo, exec_lo, s28
	v_lshlrev_b32_e32 v11, 8, v10
	v_lshl_add_u32 v12, v56, 10, 0x2000
	v_lshlrev_b32_e32 v55, 7, v55
	v_and_b32_e32 v11, 0x8000, v11
	v_and_b32_e32 v12, 0xfc00, v12
	v_or3_b32 v55, v11, v12, v55
.LBB258_722:                            ;   in Loop: Header=BB258_551 Depth=1
	s_or_b32 exec_lo, exec_lo, s27
.LBB258_723:                            ;   in Loop: Header=BB258_551 Depth=1
	s_or_b32 exec_lo, exec_lo, s26
.LBB258_724:                            ;   in Loop: Header=BB258_551 Depth=1
	s_or_b32 exec_lo, exec_lo, s22
	v_lshrrev_b16 v1, 8, v1
	v_mov_b32_e32 v56, 0
	s_mov_b32 s22, exec_lo
	v_cmpx_ne_u16_e32 0, v1
	s_cbranch_execz .LBB258_732
; %bb.725:                              ;   in Loop: Header=BB258_551 Depth=1
	v_bfrev_b32_e32 v56, 1
	s_mov_b32 s26, exec_lo
	v_cmpx_ne_u16_e32 0x80, v1
	s_cbranch_execz .LBB258_731
; %bb.726:                              ;   in Loop: Header=BB258_551 Depth=1
	v_and_b32_sdwa v58, v1, v27 dst_sel:DWORD dst_unused:UNUSED_PAD src0_sel:WORD_0 src1_sel:DWORD
	v_mov_b32_e32 v56, 0x7c010000
	s_mov_b32 s27, exec_lo
	v_cmpx_ne_u32_e32 0x7f, v58
	s_cbranch_execz .LBB258_730
; %bb.727:                              ;   in Loop: Header=BB258_551 Depth=1
	v_and_b32_sdwa v56, v1, v28 dst_sel:DWORD dst_unused:UNUSED_PAD src0_sel:WORD_0 src1_sel:DWORD
	v_lshrrev_b32_e32 v57, 3, v58
	s_mov_b32 s28, exec_lo
	v_cmpx_gt_u32_e32 8, v58
; %bb.728:                              ;   in Loop: Header=BB258_551 Depth=1
	v_ffbh_u32_e32 v11, v56
	v_min_u32_e32 v56, 32, v11
	v_subrev_nc_u32_e32 v11, 28, v56
	v_sub_nc_u32_e32 v57, 29, v56
	v_lshlrev_b64 v[11:12], v11, v[1:2]
	v_and_b32_e32 v56, 7, v11
; %bb.729:                              ;   in Loop: Header=BB258_551 Depth=1
	s_or_b32 exec_lo, exec_lo, s28
	v_lshlrev_b32_sdwa v1, v29, v1 dst_sel:DWORD dst_unused:UNUSED_PAD src0_sel:DWORD src1_sel:WORD_0
	v_lshl_add_u32 v11, v57, 10, 0x2000
	v_and_or_b32 v1, 0x8000, v1, v11
	v_lshlrev_b32_e32 v11, 23, v56
	v_lshl_or_b32 v56, v1, 16, v11
.LBB258_730:                            ;   in Loop: Header=BB258_551 Depth=1
	s_or_b32 exec_lo, exec_lo, s27
.LBB258_731:                            ;   in Loop: Header=BB258_551 Depth=1
	s_or_b32 exec_lo, exec_lo, s26
.LBB258_732:                            ;   in Loop: Header=BB258_551 Depth=1
	s_or_b32 exec_lo, exec_lo, s22
	v_lshrrev_b32_e32 v1, 16, v10
	v_cmp_ne_u16_sdwa s1, v1, v2 src0_sel:BYTE_0 src1_sel:DWORD
	s_and_saveexec_b32 s22, s1
	s_cbranch_execz .LBB258_740
; %bb.733:                              ;   in Loop: Header=BB258_551 Depth=1
	v_cmp_ne_u16_sdwa s1, v1, v15 src0_sel:BYTE_0 src1_sel:DWORD
	v_mov_b32_e32 v54, 0x8000
	s_and_saveexec_b32 s26, s1
	s_cbranch_execz .LBB258_739
; %bb.734:                              ;   in Loop: Header=BB258_551 Depth=1
	v_bfe_u32 v58, v10, 16, 7
	v_mov_b32_e32 v54, 0x7c01
	s_mov_b32 s27, exec_lo
	v_cmpx_ne_u32_e32 0x7f, v58
	s_cbranch_execz .LBB258_738
; %bb.735:                              ;   in Loop: Header=BB258_551 Depth=1
	v_and_b32_e32 v54, 7, v1
	v_lshrrev_b32_e32 v57, 3, v58
	s_mov_b32 s28, exec_lo
	v_cmpx_gt_u32_e32 8, v58
; %bb.736:                              ;   in Loop: Header=BB258_551 Depth=1
	v_ffbh_u32_e32 v11, v54
	v_min_u32_e32 v54, 32, v11
	v_subrev_nc_u32_e32 v11, 28, v54
	v_sub_nc_u32_e32 v57, 29, v54
	v_lshlrev_b64 v[11:12], v11, v[1:2]
	v_and_b32_e32 v54, 7, v11
; %bb.737:                              ;   in Loop: Header=BB258_551 Depth=1
	s_or_b32 exec_lo, exec_lo, s28
	v_lshlrev_b32_e32 v1, 8, v1
	v_lshl_add_u32 v11, v57, 10, 0x2000
	v_lshlrev_b32_e32 v12, 7, v54
	v_and_b32_e32 v1, 0x8000, v1
	v_and_b32_e32 v11, 0xfc00, v11
	v_or3_b32 v54, v1, v11, v12
.LBB258_738:                            ;   in Loop: Header=BB258_551 Depth=1
	s_or_b32 exec_lo, exec_lo, s27
.LBB258_739:                            ;   in Loop: Header=BB258_551 Depth=1
	s_or_b32 exec_lo, exec_lo, s26
.LBB258_740:                            ;   in Loop: Header=BB258_551 Depth=1
	s_or_b32 exec_lo, exec_lo, s22
	v_cmp_lt_u64_e64 s1, s[2:3], v[9:10]
	v_mov_b32_e32 v9, 0
	s_and_saveexec_b32 s22, s1
	s_cbranch_execz .LBB258_748
; %bb.741:                              ;   in Loop: Header=BB258_551 Depth=1
	v_lshrrev_b32_e32 v1, 24, v10
	v_bfrev_b32_e32 v9, 1
	s_mov_b32 s26, exec_lo
	v_cmpx_ne_u32_e32 0x80, v1
	s_cbranch_execz .LBB258_747
; %bb.742:                              ;   in Loop: Header=BB258_551 Depth=1
	v_and_b32_e32 v57, 0x7f, v1
	v_mov_b32_e32 v9, 0x7c010000
	s_mov_b32 s27, exec_lo
	v_cmpx_ne_u32_e32 0x7f, v57
	s_cbranch_execz .LBB258_746
; %bb.743:                              ;   in Loop: Header=BB258_551 Depth=1
	v_and_b32_e32 v9, 7, v1
	v_lshrrev_b32_e32 v10, 3, v57
	s_mov_b32 s28, exec_lo
	v_cmpx_gt_u32_e32 8, v57
; %bb.744:                              ;   in Loop: Header=BB258_551 Depth=1
	v_ffbh_u32_e32 v9, v9
	v_min_u32_e32 v11, 32, v9
	v_subrev_nc_u32_e32 v9, 28, v11
	v_lshlrev_b64 v[9:10], v9, v[1:2]
	v_sub_nc_u32_e32 v10, 29, v11
	v_and_b32_e32 v9, 7, v9
; %bb.745:                              ;   in Loop: Header=BB258_551 Depth=1
	s_or_b32 exec_lo, exec_lo, s28
	v_lshlrev_b32_e32 v1, 8, v1
	v_lshl_add_u32 v10, v10, 10, 0x2000
	v_lshlrev_b32_e32 v9, 23, v9
	v_and_or_b32 v1, 0x8000, v1, v10
	v_lshl_or_b32 v9, v1, 16, v9
.LBB258_746:                            ;   in Loop: Header=BB258_551 Depth=1
	s_or_b32 exec_lo, exec_lo, s27
.LBB258_747:                            ;   in Loop: Header=BB258_551 Depth=1
	s_or_b32 exec_lo, exec_lo, s26
.LBB258_748:                            ;   in Loop: Header=BB258_551 Depth=1
	s_or_b32 exec_lo, exec_lo, s22
	v_or_b32_e32 v1, v52, v53
	s_waitcnt vmcnt(0)
	v_fma_mixlo_f16 v10, v49, v52, 0 op_sel:[0,1,0] op_sel_hi:[0,1,0]
	v_or_b32_e32 v11, v50, v51
	v_fma_mixlo_f16 v12, v49, v50, 0 op_sel:[0,1,0] op_sel_hi:[0,1,0]
	v_or_b32_e32 v50, v56, v55
	v_fma_mixlo_f16 v52, v49, v1, 0 op_sel_hi:[0,1,0]
	v_or_b32_e32 v53, v9, v54
	v_lshlrev_b32_e32 v1, 16, v10
	v_lshlrev_b32_e32 v51, 16, v12
	v_fma_mixlo_f16 v11, v49, v11, 0 op_sel_hi:[0,1,0]
	v_and_b32_e32 v10, 0xffff, v52
	v_fma_mixlo_f16 v12, v49, v56, 0 op_sel:[0,1,0] op_sel_hi:[0,1,0]
	v_fma_mixlo_f16 v50, v49, v50, 0 op_sel_hi:[0,1,0]
	v_fma_mixlo_f16 v9, v49, v9, 0 op_sel:[0,1,0] op_sel_hi:[0,1,0]
	v_fma_mixlo_f16 v52, v49, v53, 0 op_sel_hi:[0,1,0]
	v_and_b32_e32 v57, 0xffff, v11
	v_lshlrev_b32_e32 v49, 16, v12
	v_and_b32_e32 v53, 0xffff, v50
	v_lshlrev_b32_e32 v9, 16, v9
	v_and_b32_e32 v50, 0xffff, v52
	v_or_b32_e32 v52, v1, v10
	v_or_b32_e32 v56, v51, v57
	;; [unrolled: 1-line block ×4, first 2 shown]
	s_and_saveexec_b32 s22, vcc_lo
	s_cbranch_execz .LBB258_750
; %bb.749:                              ;   in Loop: Header=BB258_551 Depth=1
	v_cmp_gt_i32_e64 s1, s33, v33
	v_cndmask_b32_e64 v11, 0, v57, s1
	v_cmp_gt_i32_e64 s1, s33, v41
	v_cndmask_b32_e64 v12, 0, v51, s1
	v_cmp_gt_i32_e64 s1, s33, v39
	v_or_b32_e32 v56, v12, v11
	v_cndmask_b32_e64 v10, 0, v10, s1
	v_cmp_gt_i32_e64 s1, s33, v38
	v_cndmask_b32_e64 v1, 0, v1, s1
	v_cmp_gt_i32_e64 s1, s33, v37
	v_or_b32_e32 v52, v1, v10
	;; [unrolled: 5-line block ×3, first 2 shown]
	v_cndmask_b32_e64 v50, 0, v50, s1
	v_cmp_gt_i32_e64 s1, s33, v34
	v_cndmask_b32_e64 v9, 0, v9, s1
	v_or_b32_e32 v54, v9, v50
.LBB258_750:                            ;   in Loop: Header=BB258_551 Depth=1
	s_or_b32 exec_lo, exec_lo, s22
	;;#ASMSTART
	v_pk_mul_f16 v1, v46, v56;

	;;#ASMEND
	;;#ASMSTART
	v_pk_mul_f16 v9, v45, v52;

	;;#ASMEND
	;; [unrolled: 4-line block ×4, first 2 shown]
	;;#ASMSTART
	v_pk_add_f16 v1, v1, v9;

	;;#ASMEND
	;;#ASMSTART
	v_pk_add_f16 v1, v1, v10;

	;;#ASMEND
	;; [unrolled: 4-line block ×3, first 2 shown]
	v_and_b32_e32 v9, 0xffff, v1
	v_lshrrev_b32_e32 v1, 16, v1
	;;#ASMSTART
	v_cvt_f32_f16 v49, v9;
	;;#ASMEND
	;;#ASMSTART
	v_cvt_f32_f16 v50, v1;
	;;#ASMEND
	global_load_dwordx2 v[9:10], v[7:8], off offset:768
	v_mov_b32_e32 v52, 0
	v_mov_b32_e32 v53, 0
	global_load_dword v51, v52, s[14:15]
	s_waitcnt vmcnt(1)
	v_cmp_ne_u16_sdwa s1, v9, v2 src0_sel:BYTE_0 src1_sel:DWORD
	s_and_saveexec_b32 s22, s1
	s_cbranch_execz .LBB258_758
; %bb.751:                              ;   in Loop: Header=BB258_551 Depth=1
	v_cmp_ne_u16_sdwa s1, v9, v15 src0_sel:BYTE_0 src1_sel:DWORD
	v_mov_b32_e32 v53, 0x8000
	s_and_saveexec_b32 s26, s1
	s_cbranch_execz .LBB258_757
; %bb.752:                              ;   in Loop: Header=BB258_551 Depth=1
	v_and_b32_e32 v54, 0x7f, v9
	v_mov_b32_e32 v53, 0x7c01
	s_mov_b32 s27, exec_lo
	v_cmpx_ne_u32_e32 0x7f, v54
	s_cbranch_execz .LBB258_756
; %bb.753:                              ;   in Loop: Header=BB258_551 Depth=1
	v_and_b32_e32 v1, 7, v9
	v_lshrrev_b32_e32 v53, 3, v54
	s_mov_b32 s28, exec_lo
	v_cmpx_gt_u32_e32 8, v54
; %bb.754:                              ;   in Loop: Header=BB258_551 Depth=1
	v_ffbh_u32_e32 v1, v1
	v_min_u32_e32 v1, 32, v1
	v_subrev_nc_u32_e32 v11, 28, v1
	v_sub_nc_u32_e32 v53, 29, v1
	v_lshlrev_b64 v[11:12], v11, v[9:10]
	v_and_b32_e32 v1, 7, v11
; %bb.755:                              ;   in Loop: Header=BB258_551 Depth=1
	s_or_b32 exec_lo, exec_lo, s28
	v_lshlrev_b32_e32 v11, 8, v9
	v_lshl_add_u32 v12, v53, 10, 0x2000
	v_lshlrev_b32_e32 v1, 7, v1
	v_and_b32_e32 v11, 0x8000, v11
	v_and_b32_e32 v12, 0xfc00, v12
	v_or3_b32 v53, v11, v12, v1
.LBB258_756:                            ;   in Loop: Header=BB258_551 Depth=1
	s_or_b32 exec_lo, exec_lo, s27
.LBB258_757:                            ;   in Loop: Header=BB258_551 Depth=1
	s_or_b32 exec_lo, exec_lo, s26
.LBB258_758:                            ;   in Loop: Header=BB258_551 Depth=1
	s_or_b32 exec_lo, exec_lo, s22
	v_lshrrev_b16 v1, 8, v9
	s_mov_b32 s22, exec_lo
	v_cmpx_ne_u16_e32 0, v1
	s_cbranch_execz .LBB258_766
; %bb.759:                              ;   in Loop: Header=BB258_551 Depth=1
	v_bfrev_b32_e32 v52, 1
	s_mov_b32 s26, exec_lo
	v_cmpx_ne_u16_e32 0x80, v1
	s_cbranch_execz .LBB258_765
; %bb.760:                              ;   in Loop: Header=BB258_551 Depth=1
	v_and_b32_sdwa v55, v1, v27 dst_sel:DWORD dst_unused:UNUSED_PAD src0_sel:WORD_0 src1_sel:DWORD
	v_mov_b32_e32 v52, 0x7c010000
	s_mov_b32 s27, exec_lo
	v_cmpx_ne_u32_e32 0x7f, v55
	s_cbranch_execz .LBB258_764
; %bb.761:                              ;   in Loop: Header=BB258_551 Depth=1
	v_and_b32_sdwa v52, v1, v28 dst_sel:DWORD dst_unused:UNUSED_PAD src0_sel:WORD_0 src1_sel:DWORD
	v_lshrrev_b32_e32 v54, 3, v55
	s_mov_b32 s28, exec_lo
	v_cmpx_gt_u32_e32 8, v55
; %bb.762:                              ;   in Loop: Header=BB258_551 Depth=1
	v_ffbh_u32_e32 v11, v52
	v_min_u32_e32 v52, 32, v11
	v_subrev_nc_u32_e32 v11, 28, v52
	v_sub_nc_u32_e32 v54, 29, v52
	v_lshlrev_b64 v[11:12], v11, v[1:2]
	v_and_b32_e32 v52, 7, v11
; %bb.763:                              ;   in Loop: Header=BB258_551 Depth=1
	s_or_b32 exec_lo, exec_lo, s28
	v_lshlrev_b32_sdwa v1, v29, v1 dst_sel:DWORD dst_unused:UNUSED_PAD src0_sel:DWORD src1_sel:WORD_0
	v_lshl_add_u32 v11, v54, 10, 0x2000
	v_and_or_b32 v1, 0x8000, v1, v11
	v_lshlrev_b32_e32 v11, 23, v52
	v_lshl_or_b32 v52, v1, 16, v11
.LBB258_764:                            ;   in Loop: Header=BB258_551 Depth=1
	s_or_b32 exec_lo, exec_lo, s27
.LBB258_765:                            ;   in Loop: Header=BB258_551 Depth=1
	s_or_b32 exec_lo, exec_lo, s26
.LBB258_766:                            ;   in Loop: Header=BB258_551 Depth=1
	s_or_b32 exec_lo, exec_lo, s22
	v_lshrrev_b32_e32 v1, 16, v9
	v_mov_b32_e32 v54, 0
	v_mov_b32_e32 v55, 0
	v_cmp_ne_u16_sdwa s1, v1, v2 src0_sel:BYTE_0 src1_sel:DWORD
	s_and_saveexec_b32 s22, s1
	s_cbranch_execz .LBB258_774
; %bb.767:                              ;   in Loop: Header=BB258_551 Depth=1
	v_cmp_ne_u16_sdwa s1, v1, v15 src0_sel:BYTE_0 src1_sel:DWORD
	v_mov_b32_e32 v55, 0x8000
	s_and_saveexec_b32 s26, s1
	s_cbranch_execz .LBB258_773
; %bb.768:                              ;   in Loop: Header=BB258_551 Depth=1
	v_bfe_u32 v57, v9, 16, 7
	v_mov_b32_e32 v55, 0x7c01
	s_mov_b32 s27, exec_lo
	v_cmpx_ne_u32_e32 0x7f, v57
	s_cbranch_execz .LBB258_772
; %bb.769:                              ;   in Loop: Header=BB258_551 Depth=1
	v_and_b32_e32 v55, 7, v1
	v_lshrrev_b32_e32 v56, 3, v57
	s_mov_b32 s28, exec_lo
	v_cmpx_gt_u32_e32 8, v57
; %bb.770:                              ;   in Loop: Header=BB258_551 Depth=1
	v_ffbh_u32_e32 v11, v55
	v_min_u32_e32 v55, 32, v11
	v_subrev_nc_u32_e32 v11, 28, v55
	v_sub_nc_u32_e32 v56, 29, v55
	v_lshlrev_b64 v[11:12], v11, v[1:2]
	v_and_b32_e32 v55, 7, v11
; %bb.771:                              ;   in Loop: Header=BB258_551 Depth=1
	s_or_b32 exec_lo, exec_lo, s28
	v_lshlrev_b32_e32 v1, 8, v1
	v_lshl_add_u32 v11, v56, 10, 0x2000
	v_lshlrev_b32_e32 v12, 7, v55
	v_and_b32_e32 v1, 0x8000, v1
	v_and_b32_e32 v11, 0xfc00, v11
	v_or3_b32 v55, v1, v11, v12
.LBB258_772:                            ;   in Loop: Header=BB258_551 Depth=1
	s_or_b32 exec_lo, exec_lo, s27
.LBB258_773:                            ;   in Loop: Header=BB258_551 Depth=1
	s_or_b32 exec_lo, exec_lo, s26
.LBB258_774:                            ;   in Loop: Header=BB258_551 Depth=1
	s_or_b32 exec_lo, exec_lo, s22
	s_mov_b32 s22, exec_lo
	v_cmpx_lt_u32_e32 0xffffff, v9
	s_cbranch_execz .LBB258_782
; %bb.775:                              ;   in Loop: Header=BB258_551 Depth=1
	v_lshrrev_b32_e32 v1, 24, v9
	v_bfrev_b32_e32 v54, 1
	s_mov_b32 s26, exec_lo
	v_cmpx_ne_u32_e32 0x80, v1
	s_cbranch_execz .LBB258_781
; %bb.776:                              ;   in Loop: Header=BB258_551 Depth=1
	v_and_b32_e32 v57, 0x7f, v1
	v_mov_b32_e32 v54, 0x7c010000
	s_mov_b32 s27, exec_lo
	v_cmpx_ne_u32_e32 0x7f, v57
	s_cbranch_execz .LBB258_780
; %bb.777:                              ;   in Loop: Header=BB258_551 Depth=1
	v_and_b32_e32 v54, 7, v1
	v_lshrrev_b32_e32 v56, 3, v57
	s_mov_b32 s28, exec_lo
	v_cmpx_gt_u32_e32 8, v57
; %bb.778:                              ;   in Loop: Header=BB258_551 Depth=1
	v_ffbh_u32_e32 v11, v54
	v_min_u32_e32 v54, 32, v11
	v_subrev_nc_u32_e32 v11, 28, v54
	v_sub_nc_u32_e32 v56, 29, v54
	v_lshlrev_b64 v[11:12], v11, v[1:2]
	v_and_b32_e32 v54, 7, v11
; %bb.779:                              ;   in Loop: Header=BB258_551 Depth=1
	s_or_b32 exec_lo, exec_lo, s28
	v_lshlrev_b32_e32 v1, 8, v1
	v_lshl_add_u32 v11, v56, 10, 0x2000
	v_and_or_b32 v1, 0x8000, v1, v11
	v_lshlrev_b32_e32 v11, 23, v54
	v_lshl_or_b32 v54, v1, 16, v11
.LBB258_780:                            ;   in Loop: Header=BB258_551 Depth=1
	s_or_b32 exec_lo, exec_lo, s27
.LBB258_781:                            ;   in Loop: Header=BB258_551 Depth=1
	s_or_b32 exec_lo, exec_lo, s26
.LBB258_782:                            ;   in Loop: Header=BB258_551 Depth=1
	s_or_b32 exec_lo, exec_lo, s22
	v_mov_b32_e32 v1, v10
	v_cmp_ne_u16_sdwa s1, v10, v2 src0_sel:BYTE_0 src1_sel:DWORD
	v_mov_b32_e32 v56, 0
	v_mov_b32_e32 v57, 0
	s_and_saveexec_b32 s22, s1
	s_cbranch_execz .LBB258_790
; %bb.783:                              ;   in Loop: Header=BB258_551 Depth=1
	v_cmp_ne_u16_sdwa s1, v10, v15 src0_sel:BYTE_0 src1_sel:DWORD
	v_mov_b32_e32 v57, 0x8000
	s_and_saveexec_b32 s26, s1
	s_cbranch_execz .LBB258_789
; %bb.784:                              ;   in Loop: Header=BB258_551 Depth=1
	v_and_b32_e32 v59, 0x7f, v10
	v_mov_b32_e32 v57, 0x7c01
	s_mov_b32 s27, exec_lo
	v_cmpx_ne_u32_e32 0x7f, v59
	s_cbranch_execz .LBB258_788
; %bb.785:                              ;   in Loop: Header=BB258_551 Depth=1
	v_and_b32_e32 v57, 7, v10
	v_lshrrev_b32_e32 v58, 3, v59
	s_mov_b32 s28, exec_lo
	v_cmpx_gt_u32_e32 8, v59
; %bb.786:                              ;   in Loop: Header=BB258_551 Depth=1
	v_ffbh_u32_e32 v11, v57
	v_min_u32_e32 v57, 32, v11
	v_subrev_nc_u32_e32 v11, 28, v57
	v_sub_nc_u32_e32 v58, 29, v57
	v_lshlrev_b64 v[11:12], v11, v[1:2]
	v_and_b32_e32 v57, 7, v11
; %bb.787:                              ;   in Loop: Header=BB258_551 Depth=1
	s_or_b32 exec_lo, exec_lo, s28
	v_lshlrev_b32_e32 v11, 8, v10
	v_lshl_add_u32 v12, v58, 10, 0x2000
	v_lshlrev_b32_e32 v57, 7, v57
	v_and_b32_e32 v11, 0x8000, v11
	v_and_b32_e32 v12, 0xfc00, v12
	v_or3_b32 v57, v11, v12, v57
.LBB258_788:                            ;   in Loop: Header=BB258_551 Depth=1
	s_or_b32 exec_lo, exec_lo, s27
.LBB258_789:                            ;   in Loop: Header=BB258_551 Depth=1
	s_or_b32 exec_lo, exec_lo, s26
.LBB258_790:                            ;   in Loop: Header=BB258_551 Depth=1
	s_or_b32 exec_lo, exec_lo, s22
	v_lshrrev_b16 v1, 8, v1
	v_mov_b32_e32 v58, 0
	s_mov_b32 s22, exec_lo
	v_cmpx_ne_u16_e32 0, v1
	s_cbranch_execz .LBB258_798
; %bb.791:                              ;   in Loop: Header=BB258_551 Depth=1
	v_bfrev_b32_e32 v58, 1
	s_mov_b32 s26, exec_lo
	v_cmpx_ne_u16_e32 0x80, v1
	s_cbranch_execz .LBB258_797
; %bb.792:                              ;   in Loop: Header=BB258_551 Depth=1
	v_and_b32_sdwa v60, v1, v27 dst_sel:DWORD dst_unused:UNUSED_PAD src0_sel:WORD_0 src1_sel:DWORD
	v_mov_b32_e32 v58, 0x7c010000
	s_mov_b32 s27, exec_lo
	v_cmpx_ne_u32_e32 0x7f, v60
	s_cbranch_execz .LBB258_796
; %bb.793:                              ;   in Loop: Header=BB258_551 Depth=1
	v_and_b32_sdwa v58, v1, v28 dst_sel:DWORD dst_unused:UNUSED_PAD src0_sel:WORD_0 src1_sel:DWORD
	v_lshrrev_b32_e32 v59, 3, v60
	s_mov_b32 s28, exec_lo
	v_cmpx_gt_u32_e32 8, v60
; %bb.794:                              ;   in Loop: Header=BB258_551 Depth=1
	v_ffbh_u32_e32 v11, v58
	v_min_u32_e32 v58, 32, v11
	v_subrev_nc_u32_e32 v11, 28, v58
	v_sub_nc_u32_e32 v59, 29, v58
	v_lshlrev_b64 v[11:12], v11, v[1:2]
	v_and_b32_e32 v58, 7, v11
; %bb.795:                              ;   in Loop: Header=BB258_551 Depth=1
	s_or_b32 exec_lo, exec_lo, s28
	v_lshlrev_b32_sdwa v1, v29, v1 dst_sel:DWORD dst_unused:UNUSED_PAD src0_sel:DWORD src1_sel:WORD_0
	v_lshl_add_u32 v11, v59, 10, 0x2000
	v_and_or_b32 v1, 0x8000, v1, v11
	v_lshlrev_b32_e32 v11, 23, v58
	v_lshl_or_b32 v58, v1, 16, v11
.LBB258_796:                            ;   in Loop: Header=BB258_551 Depth=1
	s_or_b32 exec_lo, exec_lo, s27
.LBB258_797:                            ;   in Loop: Header=BB258_551 Depth=1
	s_or_b32 exec_lo, exec_lo, s26
.LBB258_798:                            ;   in Loop: Header=BB258_551 Depth=1
	s_or_b32 exec_lo, exec_lo, s22
	v_lshrrev_b32_e32 v1, 16, v10
	v_cmp_ne_u16_sdwa s1, v1, v2 src0_sel:BYTE_0 src1_sel:DWORD
	s_and_saveexec_b32 s22, s1
	s_cbranch_execz .LBB258_806
; %bb.799:                              ;   in Loop: Header=BB258_551 Depth=1
	v_cmp_ne_u16_sdwa s1, v1, v15 src0_sel:BYTE_0 src1_sel:DWORD
	v_mov_b32_e32 v56, 0x8000
	s_and_saveexec_b32 s26, s1
	s_cbranch_execz .LBB258_805
; %bb.800:                              ;   in Loop: Header=BB258_551 Depth=1
	v_bfe_u32 v60, v10, 16, 7
	v_mov_b32_e32 v56, 0x7c01
	s_mov_b32 s27, exec_lo
	v_cmpx_ne_u32_e32 0x7f, v60
	s_cbranch_execz .LBB258_804
; %bb.801:                              ;   in Loop: Header=BB258_551 Depth=1
	v_and_b32_e32 v56, 7, v1
	v_lshrrev_b32_e32 v59, 3, v60
	s_mov_b32 s28, exec_lo
	v_cmpx_gt_u32_e32 8, v60
; %bb.802:                              ;   in Loop: Header=BB258_551 Depth=1
	v_ffbh_u32_e32 v11, v56
	v_min_u32_e32 v56, 32, v11
	v_subrev_nc_u32_e32 v11, 28, v56
	v_sub_nc_u32_e32 v59, 29, v56
	v_lshlrev_b64 v[11:12], v11, v[1:2]
	v_and_b32_e32 v56, 7, v11
; %bb.803:                              ;   in Loop: Header=BB258_551 Depth=1
	s_or_b32 exec_lo, exec_lo, s28
	v_lshlrev_b32_e32 v1, 8, v1
	v_lshl_add_u32 v11, v59, 10, 0x2000
	v_lshlrev_b32_e32 v12, 7, v56
	v_and_b32_e32 v1, 0x8000, v1
	v_and_b32_e32 v11, 0xfc00, v11
	v_or3_b32 v56, v1, v11, v12
.LBB258_804:                            ;   in Loop: Header=BB258_551 Depth=1
	s_or_b32 exec_lo, exec_lo, s27
.LBB258_805:                            ;   in Loop: Header=BB258_551 Depth=1
	s_or_b32 exec_lo, exec_lo, s26
.LBB258_806:                            ;   in Loop: Header=BB258_551 Depth=1
	s_or_b32 exec_lo, exec_lo, s22
	v_cmp_lt_u64_e64 s1, s[2:3], v[9:10]
	v_mov_b32_e32 v9, 0
	s_and_saveexec_b32 s22, s1
	s_cbranch_execz .LBB258_814
; %bb.807:                              ;   in Loop: Header=BB258_551 Depth=1
	v_lshrrev_b32_e32 v1, 24, v10
	v_bfrev_b32_e32 v9, 1
	s_mov_b32 s26, exec_lo
	v_cmpx_ne_u32_e32 0x80, v1
	s_cbranch_execz .LBB258_813
; %bb.808:                              ;   in Loop: Header=BB258_551 Depth=1
	v_and_b32_e32 v59, 0x7f, v1
	v_mov_b32_e32 v9, 0x7c010000
	s_mov_b32 s27, exec_lo
	v_cmpx_ne_u32_e32 0x7f, v59
	s_cbranch_execz .LBB258_812
; %bb.809:                              ;   in Loop: Header=BB258_551 Depth=1
	v_and_b32_e32 v9, 7, v1
	v_lshrrev_b32_e32 v10, 3, v59
	s_mov_b32 s28, exec_lo
	v_cmpx_gt_u32_e32 8, v59
; %bb.810:                              ;   in Loop: Header=BB258_551 Depth=1
	v_ffbh_u32_e32 v9, v9
	v_min_u32_e32 v11, 32, v9
	v_subrev_nc_u32_e32 v9, 28, v11
	v_lshlrev_b64 v[9:10], v9, v[1:2]
	v_sub_nc_u32_e32 v10, 29, v11
	v_and_b32_e32 v9, 7, v9
; %bb.811:                              ;   in Loop: Header=BB258_551 Depth=1
	s_or_b32 exec_lo, exec_lo, s28
	v_lshlrev_b32_e32 v1, 8, v1
	v_lshl_add_u32 v10, v10, 10, 0x2000
	v_lshlrev_b32_e32 v9, 23, v9
	v_and_or_b32 v1, 0x8000, v1, v10
	v_lshl_or_b32 v9, v1, 16, v9
.LBB258_812:                            ;   in Loop: Header=BB258_551 Depth=1
	s_or_b32 exec_lo, exec_lo, s27
.LBB258_813:                            ;   in Loop: Header=BB258_551 Depth=1
	s_or_b32 exec_lo, exec_lo, s26
.LBB258_814:                            ;   in Loop: Header=BB258_551 Depth=1
	s_or_b32 exec_lo, exec_lo, s22
	v_or_b32_e32 v1, v54, v55
	s_waitcnt vmcnt(0)
	v_fma_mixlo_f16 v10, v51, v54, 0 op_sel:[0,1,0] op_sel_hi:[0,1,0]
	v_or_b32_e32 v11, v52, v53
	v_fma_mixlo_f16 v12, v51, v52, 0 op_sel:[0,1,0] op_sel_hi:[0,1,0]
	v_or_b32_e32 v52, v58, v57
	v_fma_mixlo_f16 v54, v51, v1, 0 op_sel_hi:[0,1,0]
	v_or_b32_e32 v55, v9, v56
	v_lshlrev_b32_e32 v1, 16, v10
	v_lshlrev_b32_e32 v53, 16, v12
	v_fma_mixlo_f16 v11, v51, v11, 0 op_sel_hi:[0,1,0]
	v_and_b32_e32 v10, 0xffff, v54
	v_fma_mixlo_f16 v12, v51, v58, 0 op_sel:[0,1,0] op_sel_hi:[0,1,0]
	v_fma_mixlo_f16 v52, v51, v52, 0 op_sel_hi:[0,1,0]
	v_fma_mixlo_f16 v9, v51, v9, 0 op_sel:[0,1,0] op_sel_hi:[0,1,0]
	v_fma_mixlo_f16 v54, v51, v55, 0 op_sel_hi:[0,1,0]
	v_and_b32_e32 v59, 0xffff, v11
	v_lshlrev_b32_e32 v51, 16, v12
	v_and_b32_e32 v55, 0xffff, v52
	v_lshlrev_b32_e32 v9, 16, v9
	v_and_b32_e32 v52, 0xffff, v54
	v_or_b32_e32 v54, v1, v10
	v_or_b32_e32 v58, v53, v59
	;; [unrolled: 1-line block ×4, first 2 shown]
	s_and_saveexec_b32 s22, vcc_lo
	s_cbranch_execz .LBB258_816
; %bb.815:                              ;   in Loop: Header=BB258_551 Depth=1
	v_cmp_gt_i32_e64 s1, s33, v33
	v_cndmask_b32_e64 v11, 0, v59, s1
	v_cmp_gt_i32_e64 s1, s33, v41
	v_cndmask_b32_e64 v12, 0, v53, s1
	v_cmp_gt_i32_e64 s1, s33, v39
	v_or_b32_e32 v58, v12, v11
	v_cndmask_b32_e64 v10, 0, v10, s1
	v_cmp_gt_i32_e64 s1, s33, v38
	v_cndmask_b32_e64 v1, 0, v1, s1
	v_cmp_gt_i32_e64 s1, s33, v37
	v_or_b32_e32 v54, v1, v10
	;; [unrolled: 5-line block ×3, first 2 shown]
	v_cndmask_b32_e64 v52, 0, v52, s1
	v_cmp_gt_i32_e64 s1, s33, v34
	v_cndmask_b32_e64 v9, 0, v9, s1
	v_or_b32_e32 v56, v9, v52
.LBB258_816:                            ;   in Loop: Header=BB258_551 Depth=1
	s_or_b32 exec_lo, exec_lo, s22
	;;#ASMSTART
	v_pk_mul_f16 v1, v46, v58;

	;;#ASMEND
	;;#ASMSTART
	v_pk_mul_f16 v9, v45, v54;

	;;#ASMEND
	;; [unrolled: 4-line block ×4, first 2 shown]
	;;#ASMSTART
	v_pk_add_f16 v1, v1, v9;

	;;#ASMEND
	;;#ASMSTART
	v_pk_add_f16 v1, v1, v10;

	;;#ASMEND
	;;#ASMSTART
	v_pk_add_f16 v1, v1, v11;

	;;#ASMEND
	v_and_b32_e32 v9, 0xffff, v1
	v_lshrrev_b32_e32 v1, 16, v1
	;;#ASMSTART
	v_cvt_f32_f16 v51, v9;
	;;#ASMEND
	;;#ASMSTART
	v_cvt_f32_f16 v52, v1;
	;;#ASMEND
	global_load_dwordx2 v[9:10], v[7:8], off offset:1024
	v_mov_b32_e32 v54, 0
	v_mov_b32_e32 v55, 0
	global_load_dword v53, v54, s[14:15]
	s_waitcnt vmcnt(1)
	v_cmp_ne_u16_sdwa s1, v9, v2 src0_sel:BYTE_0 src1_sel:DWORD
	s_and_saveexec_b32 s22, s1
	s_cbranch_execz .LBB258_824
; %bb.817:                              ;   in Loop: Header=BB258_551 Depth=1
	v_cmp_ne_u16_sdwa s1, v9, v15 src0_sel:BYTE_0 src1_sel:DWORD
	v_mov_b32_e32 v55, 0x8000
	s_and_saveexec_b32 s26, s1
	s_cbranch_execz .LBB258_823
; %bb.818:                              ;   in Loop: Header=BB258_551 Depth=1
	v_and_b32_e32 v56, 0x7f, v9
	v_mov_b32_e32 v55, 0x7c01
	s_mov_b32 s27, exec_lo
	v_cmpx_ne_u32_e32 0x7f, v56
	s_cbranch_execz .LBB258_822
; %bb.819:                              ;   in Loop: Header=BB258_551 Depth=1
	v_and_b32_e32 v1, 7, v9
	v_lshrrev_b32_e32 v55, 3, v56
	s_mov_b32 s28, exec_lo
	v_cmpx_gt_u32_e32 8, v56
; %bb.820:                              ;   in Loop: Header=BB258_551 Depth=1
	v_ffbh_u32_e32 v1, v1
	v_min_u32_e32 v1, 32, v1
	v_subrev_nc_u32_e32 v11, 28, v1
	v_sub_nc_u32_e32 v55, 29, v1
	v_lshlrev_b64 v[11:12], v11, v[9:10]
	v_and_b32_e32 v1, 7, v11
; %bb.821:                              ;   in Loop: Header=BB258_551 Depth=1
	s_or_b32 exec_lo, exec_lo, s28
	v_lshlrev_b32_e32 v11, 8, v9
	v_lshl_add_u32 v12, v55, 10, 0x2000
	v_lshlrev_b32_e32 v1, 7, v1
	v_and_b32_e32 v11, 0x8000, v11
	v_and_b32_e32 v12, 0xfc00, v12
	v_or3_b32 v55, v11, v12, v1
.LBB258_822:                            ;   in Loop: Header=BB258_551 Depth=1
	s_or_b32 exec_lo, exec_lo, s27
.LBB258_823:                            ;   in Loop: Header=BB258_551 Depth=1
	s_or_b32 exec_lo, exec_lo, s26
.LBB258_824:                            ;   in Loop: Header=BB258_551 Depth=1
	s_or_b32 exec_lo, exec_lo, s22
	v_lshrrev_b16 v1, 8, v9
	s_mov_b32 s22, exec_lo
	v_cmpx_ne_u16_e32 0, v1
	s_cbranch_execz .LBB258_832
; %bb.825:                              ;   in Loop: Header=BB258_551 Depth=1
	v_bfrev_b32_e32 v54, 1
	s_mov_b32 s26, exec_lo
	v_cmpx_ne_u16_e32 0x80, v1
	s_cbranch_execz .LBB258_831
; %bb.826:                              ;   in Loop: Header=BB258_551 Depth=1
	v_and_b32_sdwa v57, v1, v27 dst_sel:DWORD dst_unused:UNUSED_PAD src0_sel:WORD_0 src1_sel:DWORD
	v_mov_b32_e32 v54, 0x7c010000
	s_mov_b32 s27, exec_lo
	v_cmpx_ne_u32_e32 0x7f, v57
	s_cbranch_execz .LBB258_830
; %bb.827:                              ;   in Loop: Header=BB258_551 Depth=1
	v_and_b32_sdwa v54, v1, v28 dst_sel:DWORD dst_unused:UNUSED_PAD src0_sel:WORD_0 src1_sel:DWORD
	v_lshrrev_b32_e32 v56, 3, v57
	s_mov_b32 s28, exec_lo
	v_cmpx_gt_u32_e32 8, v57
; %bb.828:                              ;   in Loop: Header=BB258_551 Depth=1
	v_ffbh_u32_e32 v11, v54
	v_min_u32_e32 v54, 32, v11
	v_subrev_nc_u32_e32 v11, 28, v54
	v_sub_nc_u32_e32 v56, 29, v54
	v_lshlrev_b64 v[11:12], v11, v[1:2]
	v_and_b32_e32 v54, 7, v11
; %bb.829:                              ;   in Loop: Header=BB258_551 Depth=1
	s_or_b32 exec_lo, exec_lo, s28
	v_lshlrev_b32_sdwa v1, v29, v1 dst_sel:DWORD dst_unused:UNUSED_PAD src0_sel:DWORD src1_sel:WORD_0
	v_lshl_add_u32 v11, v56, 10, 0x2000
	v_and_or_b32 v1, 0x8000, v1, v11
	v_lshlrev_b32_e32 v11, 23, v54
	v_lshl_or_b32 v54, v1, 16, v11
.LBB258_830:                            ;   in Loop: Header=BB258_551 Depth=1
	s_or_b32 exec_lo, exec_lo, s27
.LBB258_831:                            ;   in Loop: Header=BB258_551 Depth=1
	s_or_b32 exec_lo, exec_lo, s26
.LBB258_832:                            ;   in Loop: Header=BB258_551 Depth=1
	s_or_b32 exec_lo, exec_lo, s22
	v_lshrrev_b32_e32 v1, 16, v9
	v_mov_b32_e32 v56, 0
	v_mov_b32_e32 v57, 0
	v_cmp_ne_u16_sdwa s1, v1, v2 src0_sel:BYTE_0 src1_sel:DWORD
	s_and_saveexec_b32 s22, s1
	s_cbranch_execz .LBB258_840
; %bb.833:                              ;   in Loop: Header=BB258_551 Depth=1
	v_cmp_ne_u16_sdwa s1, v1, v15 src0_sel:BYTE_0 src1_sel:DWORD
	v_mov_b32_e32 v57, 0x8000
	s_and_saveexec_b32 s26, s1
	s_cbranch_execz .LBB258_839
; %bb.834:                              ;   in Loop: Header=BB258_551 Depth=1
	v_bfe_u32 v59, v9, 16, 7
	v_mov_b32_e32 v57, 0x7c01
	s_mov_b32 s27, exec_lo
	v_cmpx_ne_u32_e32 0x7f, v59
	s_cbranch_execz .LBB258_838
; %bb.835:                              ;   in Loop: Header=BB258_551 Depth=1
	v_and_b32_e32 v57, 7, v1
	v_lshrrev_b32_e32 v58, 3, v59
	s_mov_b32 s28, exec_lo
	v_cmpx_gt_u32_e32 8, v59
; %bb.836:                              ;   in Loop: Header=BB258_551 Depth=1
	v_ffbh_u32_e32 v11, v57
	v_min_u32_e32 v57, 32, v11
	v_subrev_nc_u32_e32 v11, 28, v57
	v_sub_nc_u32_e32 v58, 29, v57
	v_lshlrev_b64 v[11:12], v11, v[1:2]
	v_and_b32_e32 v57, 7, v11
; %bb.837:                              ;   in Loop: Header=BB258_551 Depth=1
	s_or_b32 exec_lo, exec_lo, s28
	v_lshlrev_b32_e32 v1, 8, v1
	v_lshl_add_u32 v11, v58, 10, 0x2000
	v_lshlrev_b32_e32 v12, 7, v57
	v_and_b32_e32 v1, 0x8000, v1
	v_and_b32_e32 v11, 0xfc00, v11
	v_or3_b32 v57, v1, v11, v12
.LBB258_838:                            ;   in Loop: Header=BB258_551 Depth=1
	s_or_b32 exec_lo, exec_lo, s27
.LBB258_839:                            ;   in Loop: Header=BB258_551 Depth=1
	s_or_b32 exec_lo, exec_lo, s26
.LBB258_840:                            ;   in Loop: Header=BB258_551 Depth=1
	s_or_b32 exec_lo, exec_lo, s22
	s_mov_b32 s22, exec_lo
	v_cmpx_lt_u32_e32 0xffffff, v9
	s_cbranch_execz .LBB258_848
; %bb.841:                              ;   in Loop: Header=BB258_551 Depth=1
	v_lshrrev_b32_e32 v1, 24, v9
	v_bfrev_b32_e32 v56, 1
	s_mov_b32 s26, exec_lo
	v_cmpx_ne_u32_e32 0x80, v1
	s_cbranch_execz .LBB258_847
; %bb.842:                              ;   in Loop: Header=BB258_551 Depth=1
	v_and_b32_e32 v59, 0x7f, v1
	v_mov_b32_e32 v56, 0x7c010000
	s_mov_b32 s27, exec_lo
	v_cmpx_ne_u32_e32 0x7f, v59
	s_cbranch_execz .LBB258_846
; %bb.843:                              ;   in Loop: Header=BB258_551 Depth=1
	v_and_b32_e32 v56, 7, v1
	v_lshrrev_b32_e32 v58, 3, v59
	s_mov_b32 s28, exec_lo
	v_cmpx_gt_u32_e32 8, v59
; %bb.844:                              ;   in Loop: Header=BB258_551 Depth=1
	v_ffbh_u32_e32 v11, v56
	v_min_u32_e32 v56, 32, v11
	v_subrev_nc_u32_e32 v11, 28, v56
	v_sub_nc_u32_e32 v58, 29, v56
	v_lshlrev_b64 v[11:12], v11, v[1:2]
	v_and_b32_e32 v56, 7, v11
; %bb.845:                              ;   in Loop: Header=BB258_551 Depth=1
	s_or_b32 exec_lo, exec_lo, s28
	v_lshlrev_b32_e32 v1, 8, v1
	v_lshl_add_u32 v11, v58, 10, 0x2000
	v_and_or_b32 v1, 0x8000, v1, v11
	v_lshlrev_b32_e32 v11, 23, v56
	v_lshl_or_b32 v56, v1, 16, v11
.LBB258_846:                            ;   in Loop: Header=BB258_551 Depth=1
	s_or_b32 exec_lo, exec_lo, s27
.LBB258_847:                            ;   in Loop: Header=BB258_551 Depth=1
	s_or_b32 exec_lo, exec_lo, s26
.LBB258_848:                            ;   in Loop: Header=BB258_551 Depth=1
	s_or_b32 exec_lo, exec_lo, s22
	v_mov_b32_e32 v1, v10
	v_cmp_ne_u16_sdwa s1, v10, v2 src0_sel:BYTE_0 src1_sel:DWORD
	v_mov_b32_e32 v58, 0
	v_mov_b32_e32 v59, 0
	s_and_saveexec_b32 s22, s1
	s_cbranch_execz .LBB258_856
; %bb.849:                              ;   in Loop: Header=BB258_551 Depth=1
	v_cmp_ne_u16_sdwa s1, v10, v15 src0_sel:BYTE_0 src1_sel:DWORD
	v_mov_b32_e32 v59, 0x8000
	s_and_saveexec_b32 s26, s1
	s_cbranch_execz .LBB258_855
; %bb.850:                              ;   in Loop: Header=BB258_551 Depth=1
	v_and_b32_e32 v61, 0x7f, v10
	v_mov_b32_e32 v59, 0x7c01
	s_mov_b32 s27, exec_lo
	v_cmpx_ne_u32_e32 0x7f, v61
	s_cbranch_execz .LBB258_854
; %bb.851:                              ;   in Loop: Header=BB258_551 Depth=1
	v_and_b32_e32 v59, 7, v10
	v_lshrrev_b32_e32 v60, 3, v61
	s_mov_b32 s28, exec_lo
	v_cmpx_gt_u32_e32 8, v61
; %bb.852:                              ;   in Loop: Header=BB258_551 Depth=1
	v_ffbh_u32_e32 v11, v59
	v_min_u32_e32 v59, 32, v11
	v_subrev_nc_u32_e32 v11, 28, v59
	v_sub_nc_u32_e32 v60, 29, v59
	v_lshlrev_b64 v[11:12], v11, v[1:2]
	v_and_b32_e32 v59, 7, v11
; %bb.853:                              ;   in Loop: Header=BB258_551 Depth=1
	s_or_b32 exec_lo, exec_lo, s28
	v_lshlrev_b32_e32 v11, 8, v10
	v_lshl_add_u32 v12, v60, 10, 0x2000
	v_lshlrev_b32_e32 v59, 7, v59
	v_and_b32_e32 v11, 0x8000, v11
	v_and_b32_e32 v12, 0xfc00, v12
	v_or3_b32 v59, v11, v12, v59
.LBB258_854:                            ;   in Loop: Header=BB258_551 Depth=1
	s_or_b32 exec_lo, exec_lo, s27
.LBB258_855:                            ;   in Loop: Header=BB258_551 Depth=1
	s_or_b32 exec_lo, exec_lo, s26
.LBB258_856:                            ;   in Loop: Header=BB258_551 Depth=1
	s_or_b32 exec_lo, exec_lo, s22
	v_lshrrev_b16 v1, 8, v1
	v_mov_b32_e32 v60, 0
	s_mov_b32 s22, exec_lo
	v_cmpx_ne_u16_e32 0, v1
	s_cbranch_execz .LBB258_864
; %bb.857:                              ;   in Loop: Header=BB258_551 Depth=1
	v_bfrev_b32_e32 v60, 1
	s_mov_b32 s26, exec_lo
	v_cmpx_ne_u16_e32 0x80, v1
	s_cbranch_execz .LBB258_863
; %bb.858:                              ;   in Loop: Header=BB258_551 Depth=1
	v_and_b32_sdwa v62, v1, v27 dst_sel:DWORD dst_unused:UNUSED_PAD src0_sel:WORD_0 src1_sel:DWORD
	v_mov_b32_e32 v60, 0x7c010000
	s_mov_b32 s27, exec_lo
	v_cmpx_ne_u32_e32 0x7f, v62
	s_cbranch_execz .LBB258_862
; %bb.859:                              ;   in Loop: Header=BB258_551 Depth=1
	v_and_b32_sdwa v60, v1, v28 dst_sel:DWORD dst_unused:UNUSED_PAD src0_sel:WORD_0 src1_sel:DWORD
	v_lshrrev_b32_e32 v61, 3, v62
	s_mov_b32 s28, exec_lo
	v_cmpx_gt_u32_e32 8, v62
; %bb.860:                              ;   in Loop: Header=BB258_551 Depth=1
	v_ffbh_u32_e32 v11, v60
	v_min_u32_e32 v60, 32, v11
	v_subrev_nc_u32_e32 v11, 28, v60
	v_sub_nc_u32_e32 v61, 29, v60
	v_lshlrev_b64 v[11:12], v11, v[1:2]
	v_and_b32_e32 v60, 7, v11
; %bb.861:                              ;   in Loop: Header=BB258_551 Depth=1
	s_or_b32 exec_lo, exec_lo, s28
	v_lshlrev_b32_sdwa v1, v29, v1 dst_sel:DWORD dst_unused:UNUSED_PAD src0_sel:DWORD src1_sel:WORD_0
	v_lshl_add_u32 v11, v61, 10, 0x2000
	v_and_or_b32 v1, 0x8000, v1, v11
	v_lshlrev_b32_e32 v11, 23, v60
	v_lshl_or_b32 v60, v1, 16, v11
.LBB258_862:                            ;   in Loop: Header=BB258_551 Depth=1
	s_or_b32 exec_lo, exec_lo, s27
.LBB258_863:                            ;   in Loop: Header=BB258_551 Depth=1
	s_or_b32 exec_lo, exec_lo, s26
.LBB258_864:                            ;   in Loop: Header=BB258_551 Depth=1
	s_or_b32 exec_lo, exec_lo, s22
	v_lshrrev_b32_e32 v1, 16, v10
	v_cmp_ne_u16_sdwa s1, v1, v2 src0_sel:BYTE_0 src1_sel:DWORD
	s_and_saveexec_b32 s22, s1
	s_cbranch_execz .LBB258_872
; %bb.865:                              ;   in Loop: Header=BB258_551 Depth=1
	v_cmp_ne_u16_sdwa s1, v1, v15 src0_sel:BYTE_0 src1_sel:DWORD
	v_mov_b32_e32 v58, 0x8000
	s_and_saveexec_b32 s26, s1
	s_cbranch_execz .LBB258_871
; %bb.866:                              ;   in Loop: Header=BB258_551 Depth=1
	v_bfe_u32 v62, v10, 16, 7
	v_mov_b32_e32 v58, 0x7c01
	s_mov_b32 s27, exec_lo
	v_cmpx_ne_u32_e32 0x7f, v62
	s_cbranch_execz .LBB258_870
; %bb.867:                              ;   in Loop: Header=BB258_551 Depth=1
	v_and_b32_e32 v58, 7, v1
	v_lshrrev_b32_e32 v61, 3, v62
	s_mov_b32 s28, exec_lo
	v_cmpx_gt_u32_e32 8, v62
; %bb.868:                              ;   in Loop: Header=BB258_551 Depth=1
	v_ffbh_u32_e32 v11, v58
	v_min_u32_e32 v58, 32, v11
	v_subrev_nc_u32_e32 v11, 28, v58
	v_sub_nc_u32_e32 v61, 29, v58
	v_lshlrev_b64 v[11:12], v11, v[1:2]
	v_and_b32_e32 v58, 7, v11
; %bb.869:                              ;   in Loop: Header=BB258_551 Depth=1
	s_or_b32 exec_lo, exec_lo, s28
	v_lshlrev_b32_e32 v1, 8, v1
	v_lshl_add_u32 v11, v61, 10, 0x2000
	v_lshlrev_b32_e32 v12, 7, v58
	v_and_b32_e32 v1, 0x8000, v1
	v_and_b32_e32 v11, 0xfc00, v11
	v_or3_b32 v58, v1, v11, v12
.LBB258_870:                            ;   in Loop: Header=BB258_551 Depth=1
	s_or_b32 exec_lo, exec_lo, s27
.LBB258_871:                            ;   in Loop: Header=BB258_551 Depth=1
	s_or_b32 exec_lo, exec_lo, s26
.LBB258_872:                            ;   in Loop: Header=BB258_551 Depth=1
	s_or_b32 exec_lo, exec_lo, s22
	v_cmp_lt_u64_e64 s1, s[2:3], v[9:10]
	v_mov_b32_e32 v9, 0
	s_and_saveexec_b32 s22, s1
	s_cbranch_execz .LBB258_880
; %bb.873:                              ;   in Loop: Header=BB258_551 Depth=1
	v_lshrrev_b32_e32 v1, 24, v10
	v_bfrev_b32_e32 v9, 1
	s_mov_b32 s26, exec_lo
	v_cmpx_ne_u32_e32 0x80, v1
	s_cbranch_execz .LBB258_879
; %bb.874:                              ;   in Loop: Header=BB258_551 Depth=1
	v_and_b32_e32 v61, 0x7f, v1
	v_mov_b32_e32 v9, 0x7c010000
	s_mov_b32 s27, exec_lo
	v_cmpx_ne_u32_e32 0x7f, v61
	s_cbranch_execz .LBB258_878
; %bb.875:                              ;   in Loop: Header=BB258_551 Depth=1
	v_and_b32_e32 v9, 7, v1
	v_lshrrev_b32_e32 v10, 3, v61
	s_mov_b32 s28, exec_lo
	v_cmpx_gt_u32_e32 8, v61
; %bb.876:                              ;   in Loop: Header=BB258_551 Depth=1
	v_ffbh_u32_e32 v9, v9
	v_min_u32_e32 v11, 32, v9
	v_subrev_nc_u32_e32 v9, 28, v11
	v_lshlrev_b64 v[9:10], v9, v[1:2]
	v_sub_nc_u32_e32 v10, 29, v11
	v_and_b32_e32 v9, 7, v9
; %bb.877:                              ;   in Loop: Header=BB258_551 Depth=1
	s_or_b32 exec_lo, exec_lo, s28
	v_lshlrev_b32_e32 v1, 8, v1
	v_lshl_add_u32 v10, v10, 10, 0x2000
	v_lshlrev_b32_e32 v9, 23, v9
	v_and_or_b32 v1, 0x8000, v1, v10
	v_lshl_or_b32 v9, v1, 16, v9
.LBB258_878:                            ;   in Loop: Header=BB258_551 Depth=1
	s_or_b32 exec_lo, exec_lo, s27
.LBB258_879:                            ;   in Loop: Header=BB258_551 Depth=1
	s_or_b32 exec_lo, exec_lo, s26
.LBB258_880:                            ;   in Loop: Header=BB258_551 Depth=1
	s_or_b32 exec_lo, exec_lo, s22
	v_or_b32_e32 v1, v56, v57
	s_waitcnt vmcnt(0)
	v_fma_mixlo_f16 v10, v53, v56, 0 op_sel:[0,1,0] op_sel_hi:[0,1,0]
	v_or_b32_e32 v11, v54, v55
	v_fma_mixlo_f16 v12, v53, v54, 0 op_sel:[0,1,0] op_sel_hi:[0,1,0]
	v_or_b32_e32 v54, v60, v59
	v_fma_mixlo_f16 v56, v53, v1, 0 op_sel_hi:[0,1,0]
	v_or_b32_e32 v57, v9, v58
	v_lshlrev_b32_e32 v1, 16, v10
	v_lshlrev_b32_e32 v55, 16, v12
	v_fma_mixlo_f16 v11, v53, v11, 0 op_sel_hi:[0,1,0]
	v_and_b32_e32 v10, 0xffff, v56
	v_fma_mixlo_f16 v12, v53, v60, 0 op_sel:[0,1,0] op_sel_hi:[0,1,0]
	v_fma_mixlo_f16 v54, v53, v54, 0 op_sel_hi:[0,1,0]
	v_fma_mixlo_f16 v9, v53, v9, 0 op_sel:[0,1,0] op_sel_hi:[0,1,0]
	v_fma_mixlo_f16 v56, v53, v57, 0 op_sel_hi:[0,1,0]
	v_and_b32_e32 v61, 0xffff, v11
	v_lshlrev_b32_e32 v53, 16, v12
	v_and_b32_e32 v57, 0xffff, v54
	v_lshlrev_b32_e32 v9, 16, v9
	v_and_b32_e32 v54, 0xffff, v56
	v_or_b32_e32 v56, v1, v10
	v_or_b32_e32 v60, v55, v61
	;; [unrolled: 1-line block ×4, first 2 shown]
	s_and_saveexec_b32 s22, vcc_lo
	s_cbranch_execz .LBB258_882
; %bb.881:                              ;   in Loop: Header=BB258_551 Depth=1
	v_cmp_gt_i32_e64 s1, s33, v33
	v_cndmask_b32_e64 v11, 0, v61, s1
	v_cmp_gt_i32_e64 s1, s33, v41
	v_cndmask_b32_e64 v12, 0, v55, s1
	v_cmp_gt_i32_e64 s1, s33, v39
	v_or_b32_e32 v60, v12, v11
	v_cndmask_b32_e64 v10, 0, v10, s1
	v_cmp_gt_i32_e64 s1, s33, v38
	v_cndmask_b32_e64 v1, 0, v1, s1
	v_cmp_gt_i32_e64 s1, s33, v37
	v_or_b32_e32 v56, v1, v10
	;; [unrolled: 5-line block ×3, first 2 shown]
	v_cndmask_b32_e64 v54, 0, v54, s1
	v_cmp_gt_i32_e64 s1, s33, v34
	v_cndmask_b32_e64 v9, 0, v9, s1
	v_or_b32_e32 v58, v9, v54
.LBB258_882:                            ;   in Loop: Header=BB258_551 Depth=1
	s_or_b32 exec_lo, exec_lo, s22
	;;#ASMSTART
	v_pk_mul_f16 v1, v46, v60;

	;;#ASMEND
	;;#ASMSTART
	v_pk_mul_f16 v9, v45, v56;

	;;#ASMEND
	;; [unrolled: 4-line block ×4, first 2 shown]
	;;#ASMSTART
	v_pk_add_f16 v1, v1, v9;

	;;#ASMEND
	;;#ASMSTART
	v_pk_add_f16 v1, v1, v10;

	;;#ASMEND
	;; [unrolled: 4-line block ×3, first 2 shown]
	v_and_b32_e32 v9, 0xffff, v1
	v_lshrrev_b32_e32 v1, 16, v1
	;;#ASMSTART
	v_cvt_f32_f16 v53, v9;
	;;#ASMEND
	;;#ASMSTART
	v_cvt_f32_f16 v54, v1;
	;;#ASMEND
	global_load_dwordx2 v[9:10], v[7:8], off offset:1280
	v_mov_b32_e32 v56, 0
	v_mov_b32_e32 v57, 0
	global_load_dword v55, v56, s[14:15]
	s_waitcnt vmcnt(1)
	v_cmp_ne_u16_sdwa s1, v9, v2 src0_sel:BYTE_0 src1_sel:DWORD
	s_and_saveexec_b32 s22, s1
	s_cbranch_execz .LBB258_890
; %bb.883:                              ;   in Loop: Header=BB258_551 Depth=1
	v_cmp_ne_u16_sdwa s1, v9, v15 src0_sel:BYTE_0 src1_sel:DWORD
	v_mov_b32_e32 v57, 0x8000
	s_and_saveexec_b32 s26, s1
	s_cbranch_execz .LBB258_889
; %bb.884:                              ;   in Loop: Header=BB258_551 Depth=1
	v_and_b32_e32 v58, 0x7f, v9
	v_mov_b32_e32 v57, 0x7c01
	s_mov_b32 s27, exec_lo
	v_cmpx_ne_u32_e32 0x7f, v58
	s_cbranch_execz .LBB258_888
; %bb.885:                              ;   in Loop: Header=BB258_551 Depth=1
	v_and_b32_e32 v1, 7, v9
	v_lshrrev_b32_e32 v57, 3, v58
	s_mov_b32 s28, exec_lo
	v_cmpx_gt_u32_e32 8, v58
; %bb.886:                              ;   in Loop: Header=BB258_551 Depth=1
	v_ffbh_u32_e32 v1, v1
	v_min_u32_e32 v1, 32, v1
	v_subrev_nc_u32_e32 v11, 28, v1
	v_sub_nc_u32_e32 v57, 29, v1
	v_lshlrev_b64 v[11:12], v11, v[9:10]
	v_and_b32_e32 v1, 7, v11
; %bb.887:                              ;   in Loop: Header=BB258_551 Depth=1
	s_or_b32 exec_lo, exec_lo, s28
	v_lshlrev_b32_e32 v11, 8, v9
	v_lshl_add_u32 v12, v57, 10, 0x2000
	v_lshlrev_b32_e32 v1, 7, v1
	v_and_b32_e32 v11, 0x8000, v11
	v_and_b32_e32 v12, 0xfc00, v12
	v_or3_b32 v57, v11, v12, v1
.LBB258_888:                            ;   in Loop: Header=BB258_551 Depth=1
	s_or_b32 exec_lo, exec_lo, s27
.LBB258_889:                            ;   in Loop: Header=BB258_551 Depth=1
	s_or_b32 exec_lo, exec_lo, s26
.LBB258_890:                            ;   in Loop: Header=BB258_551 Depth=1
	s_or_b32 exec_lo, exec_lo, s22
	v_lshrrev_b16 v1, 8, v9
	s_mov_b32 s22, exec_lo
	v_cmpx_ne_u16_e32 0, v1
	s_cbranch_execz .LBB258_898
; %bb.891:                              ;   in Loop: Header=BB258_551 Depth=1
	v_bfrev_b32_e32 v56, 1
	s_mov_b32 s26, exec_lo
	v_cmpx_ne_u16_e32 0x80, v1
	s_cbranch_execz .LBB258_897
; %bb.892:                              ;   in Loop: Header=BB258_551 Depth=1
	v_and_b32_sdwa v59, v1, v27 dst_sel:DWORD dst_unused:UNUSED_PAD src0_sel:WORD_0 src1_sel:DWORD
	v_mov_b32_e32 v56, 0x7c010000
	s_mov_b32 s27, exec_lo
	v_cmpx_ne_u32_e32 0x7f, v59
	s_cbranch_execz .LBB258_896
; %bb.893:                              ;   in Loop: Header=BB258_551 Depth=1
	v_and_b32_sdwa v56, v1, v28 dst_sel:DWORD dst_unused:UNUSED_PAD src0_sel:WORD_0 src1_sel:DWORD
	v_lshrrev_b32_e32 v58, 3, v59
	s_mov_b32 s28, exec_lo
	v_cmpx_gt_u32_e32 8, v59
; %bb.894:                              ;   in Loop: Header=BB258_551 Depth=1
	v_ffbh_u32_e32 v11, v56
	v_min_u32_e32 v56, 32, v11
	v_subrev_nc_u32_e32 v11, 28, v56
	v_sub_nc_u32_e32 v58, 29, v56
	v_lshlrev_b64 v[11:12], v11, v[1:2]
	v_and_b32_e32 v56, 7, v11
; %bb.895:                              ;   in Loop: Header=BB258_551 Depth=1
	s_or_b32 exec_lo, exec_lo, s28
	v_lshlrev_b32_sdwa v1, v29, v1 dst_sel:DWORD dst_unused:UNUSED_PAD src0_sel:DWORD src1_sel:WORD_0
	v_lshl_add_u32 v11, v58, 10, 0x2000
	v_and_or_b32 v1, 0x8000, v1, v11
	v_lshlrev_b32_e32 v11, 23, v56
	v_lshl_or_b32 v56, v1, 16, v11
.LBB258_896:                            ;   in Loop: Header=BB258_551 Depth=1
	s_or_b32 exec_lo, exec_lo, s27
.LBB258_897:                            ;   in Loop: Header=BB258_551 Depth=1
	s_or_b32 exec_lo, exec_lo, s26
.LBB258_898:                            ;   in Loop: Header=BB258_551 Depth=1
	s_or_b32 exec_lo, exec_lo, s22
	v_lshrrev_b32_e32 v1, 16, v9
	v_mov_b32_e32 v58, 0
	v_mov_b32_e32 v59, 0
	v_cmp_ne_u16_sdwa s1, v1, v2 src0_sel:BYTE_0 src1_sel:DWORD
	s_and_saveexec_b32 s22, s1
	s_cbranch_execz .LBB258_906
; %bb.899:                              ;   in Loop: Header=BB258_551 Depth=1
	v_cmp_ne_u16_sdwa s1, v1, v15 src0_sel:BYTE_0 src1_sel:DWORD
	v_mov_b32_e32 v59, 0x8000
	s_and_saveexec_b32 s26, s1
	s_cbranch_execz .LBB258_905
; %bb.900:                              ;   in Loop: Header=BB258_551 Depth=1
	v_bfe_u32 v61, v9, 16, 7
	v_mov_b32_e32 v59, 0x7c01
	s_mov_b32 s27, exec_lo
	v_cmpx_ne_u32_e32 0x7f, v61
	s_cbranch_execz .LBB258_904
; %bb.901:                              ;   in Loop: Header=BB258_551 Depth=1
	v_and_b32_e32 v59, 7, v1
	v_lshrrev_b32_e32 v60, 3, v61
	s_mov_b32 s28, exec_lo
	v_cmpx_gt_u32_e32 8, v61
; %bb.902:                              ;   in Loop: Header=BB258_551 Depth=1
	v_ffbh_u32_e32 v11, v59
	v_min_u32_e32 v59, 32, v11
	v_subrev_nc_u32_e32 v11, 28, v59
	v_sub_nc_u32_e32 v60, 29, v59
	v_lshlrev_b64 v[11:12], v11, v[1:2]
	v_and_b32_e32 v59, 7, v11
; %bb.903:                              ;   in Loop: Header=BB258_551 Depth=1
	s_or_b32 exec_lo, exec_lo, s28
	v_lshlrev_b32_e32 v1, 8, v1
	v_lshl_add_u32 v11, v60, 10, 0x2000
	v_lshlrev_b32_e32 v12, 7, v59
	v_and_b32_e32 v1, 0x8000, v1
	v_and_b32_e32 v11, 0xfc00, v11
	v_or3_b32 v59, v1, v11, v12
.LBB258_904:                            ;   in Loop: Header=BB258_551 Depth=1
	s_or_b32 exec_lo, exec_lo, s27
.LBB258_905:                            ;   in Loop: Header=BB258_551 Depth=1
	s_or_b32 exec_lo, exec_lo, s26
.LBB258_906:                            ;   in Loop: Header=BB258_551 Depth=1
	s_or_b32 exec_lo, exec_lo, s22
	s_mov_b32 s22, exec_lo
	v_cmpx_lt_u32_e32 0xffffff, v9
	s_cbranch_execz .LBB258_914
; %bb.907:                              ;   in Loop: Header=BB258_551 Depth=1
	v_lshrrev_b32_e32 v1, 24, v9
	v_bfrev_b32_e32 v58, 1
	s_mov_b32 s26, exec_lo
	v_cmpx_ne_u32_e32 0x80, v1
	s_cbranch_execz .LBB258_913
; %bb.908:                              ;   in Loop: Header=BB258_551 Depth=1
	v_and_b32_e32 v61, 0x7f, v1
	v_mov_b32_e32 v58, 0x7c010000
	s_mov_b32 s27, exec_lo
	v_cmpx_ne_u32_e32 0x7f, v61
	s_cbranch_execz .LBB258_912
; %bb.909:                              ;   in Loop: Header=BB258_551 Depth=1
	v_and_b32_e32 v58, 7, v1
	v_lshrrev_b32_e32 v60, 3, v61
	s_mov_b32 s28, exec_lo
	v_cmpx_gt_u32_e32 8, v61
; %bb.910:                              ;   in Loop: Header=BB258_551 Depth=1
	v_ffbh_u32_e32 v11, v58
	v_min_u32_e32 v58, 32, v11
	v_subrev_nc_u32_e32 v11, 28, v58
	v_sub_nc_u32_e32 v60, 29, v58
	v_lshlrev_b64 v[11:12], v11, v[1:2]
	v_and_b32_e32 v58, 7, v11
; %bb.911:                              ;   in Loop: Header=BB258_551 Depth=1
	s_or_b32 exec_lo, exec_lo, s28
	v_lshlrev_b32_e32 v1, 8, v1
	v_lshl_add_u32 v11, v60, 10, 0x2000
	v_and_or_b32 v1, 0x8000, v1, v11
	v_lshlrev_b32_e32 v11, 23, v58
	v_lshl_or_b32 v58, v1, 16, v11
.LBB258_912:                            ;   in Loop: Header=BB258_551 Depth=1
	s_or_b32 exec_lo, exec_lo, s27
.LBB258_913:                            ;   in Loop: Header=BB258_551 Depth=1
	s_or_b32 exec_lo, exec_lo, s26
.LBB258_914:                            ;   in Loop: Header=BB258_551 Depth=1
	s_or_b32 exec_lo, exec_lo, s22
	v_mov_b32_e32 v1, v10
	v_cmp_ne_u16_sdwa s1, v10, v2 src0_sel:BYTE_0 src1_sel:DWORD
	v_mov_b32_e32 v60, 0
	v_mov_b32_e32 v61, 0
	s_and_saveexec_b32 s22, s1
	s_cbranch_execz .LBB258_922
; %bb.915:                              ;   in Loop: Header=BB258_551 Depth=1
	v_cmp_ne_u16_sdwa s1, v10, v15 src0_sel:BYTE_0 src1_sel:DWORD
	v_mov_b32_e32 v61, 0x8000
	s_and_saveexec_b32 s26, s1
	s_cbranch_execz .LBB258_921
; %bb.916:                              ;   in Loop: Header=BB258_551 Depth=1
	v_and_b32_e32 v63, 0x7f, v10
	v_mov_b32_e32 v61, 0x7c01
	s_mov_b32 s27, exec_lo
	v_cmpx_ne_u32_e32 0x7f, v63
	s_cbranch_execz .LBB258_920
; %bb.917:                              ;   in Loop: Header=BB258_551 Depth=1
	v_and_b32_e32 v61, 7, v10
	v_lshrrev_b32_e32 v62, 3, v63
	s_mov_b32 s28, exec_lo
	v_cmpx_gt_u32_e32 8, v63
; %bb.918:                              ;   in Loop: Header=BB258_551 Depth=1
	v_ffbh_u32_e32 v11, v61
	v_min_u32_e32 v61, 32, v11
	v_subrev_nc_u32_e32 v11, 28, v61
	v_sub_nc_u32_e32 v62, 29, v61
	v_lshlrev_b64 v[11:12], v11, v[1:2]
	v_and_b32_e32 v61, 7, v11
; %bb.919:                              ;   in Loop: Header=BB258_551 Depth=1
	s_or_b32 exec_lo, exec_lo, s28
	v_lshlrev_b32_e32 v11, 8, v10
	v_lshl_add_u32 v12, v62, 10, 0x2000
	v_lshlrev_b32_e32 v61, 7, v61
	v_and_b32_e32 v11, 0x8000, v11
	v_and_b32_e32 v12, 0xfc00, v12
	v_or3_b32 v61, v11, v12, v61
.LBB258_920:                            ;   in Loop: Header=BB258_551 Depth=1
	s_or_b32 exec_lo, exec_lo, s27
.LBB258_921:                            ;   in Loop: Header=BB258_551 Depth=1
	s_or_b32 exec_lo, exec_lo, s26
.LBB258_922:                            ;   in Loop: Header=BB258_551 Depth=1
	s_or_b32 exec_lo, exec_lo, s22
	v_lshrrev_b16 v1, 8, v1
	v_mov_b32_e32 v62, 0
	s_mov_b32 s22, exec_lo
	v_cmpx_ne_u16_e32 0, v1
	s_cbranch_execz .LBB258_930
; %bb.923:                              ;   in Loop: Header=BB258_551 Depth=1
	v_bfrev_b32_e32 v62, 1
	s_mov_b32 s26, exec_lo
	v_cmpx_ne_u16_e32 0x80, v1
	s_cbranch_execz .LBB258_929
; %bb.924:                              ;   in Loop: Header=BB258_551 Depth=1
	v_and_b32_sdwa v64, v1, v27 dst_sel:DWORD dst_unused:UNUSED_PAD src0_sel:WORD_0 src1_sel:DWORD
	v_mov_b32_e32 v62, 0x7c010000
	s_mov_b32 s27, exec_lo
	v_cmpx_ne_u32_e32 0x7f, v64
	s_cbranch_execz .LBB258_928
; %bb.925:                              ;   in Loop: Header=BB258_551 Depth=1
	v_and_b32_sdwa v62, v1, v28 dst_sel:DWORD dst_unused:UNUSED_PAD src0_sel:WORD_0 src1_sel:DWORD
	v_lshrrev_b32_e32 v63, 3, v64
	s_mov_b32 s28, exec_lo
	v_cmpx_gt_u32_e32 8, v64
; %bb.926:                              ;   in Loop: Header=BB258_551 Depth=1
	v_ffbh_u32_e32 v11, v62
	v_min_u32_e32 v62, 32, v11
	v_subrev_nc_u32_e32 v11, 28, v62
	v_sub_nc_u32_e32 v63, 29, v62
	v_lshlrev_b64 v[11:12], v11, v[1:2]
	v_and_b32_e32 v62, 7, v11
; %bb.927:                              ;   in Loop: Header=BB258_551 Depth=1
	s_or_b32 exec_lo, exec_lo, s28
	v_lshlrev_b32_sdwa v1, v29, v1 dst_sel:DWORD dst_unused:UNUSED_PAD src0_sel:DWORD src1_sel:WORD_0
	v_lshl_add_u32 v11, v63, 10, 0x2000
	v_and_or_b32 v1, 0x8000, v1, v11
	v_lshlrev_b32_e32 v11, 23, v62
	v_lshl_or_b32 v62, v1, 16, v11
.LBB258_928:                            ;   in Loop: Header=BB258_551 Depth=1
	s_or_b32 exec_lo, exec_lo, s27
.LBB258_929:                            ;   in Loop: Header=BB258_551 Depth=1
	s_or_b32 exec_lo, exec_lo, s26
.LBB258_930:                            ;   in Loop: Header=BB258_551 Depth=1
	s_or_b32 exec_lo, exec_lo, s22
	v_lshrrev_b32_e32 v1, 16, v10
	v_cmp_ne_u16_sdwa s1, v1, v2 src0_sel:BYTE_0 src1_sel:DWORD
	s_and_saveexec_b32 s22, s1
	s_cbranch_execz .LBB258_938
; %bb.931:                              ;   in Loop: Header=BB258_551 Depth=1
	v_cmp_ne_u16_sdwa s1, v1, v15 src0_sel:BYTE_0 src1_sel:DWORD
	v_mov_b32_e32 v60, 0x8000
	s_and_saveexec_b32 s26, s1
	s_cbranch_execz .LBB258_937
; %bb.932:                              ;   in Loop: Header=BB258_551 Depth=1
	v_bfe_u32 v64, v10, 16, 7
	v_mov_b32_e32 v60, 0x7c01
	s_mov_b32 s27, exec_lo
	v_cmpx_ne_u32_e32 0x7f, v64
	s_cbranch_execz .LBB258_936
; %bb.933:                              ;   in Loop: Header=BB258_551 Depth=1
	v_and_b32_e32 v60, 7, v1
	v_lshrrev_b32_e32 v63, 3, v64
	s_mov_b32 s28, exec_lo
	v_cmpx_gt_u32_e32 8, v64
; %bb.934:                              ;   in Loop: Header=BB258_551 Depth=1
	v_ffbh_u32_e32 v11, v60
	v_min_u32_e32 v60, 32, v11
	v_subrev_nc_u32_e32 v11, 28, v60
	v_sub_nc_u32_e32 v63, 29, v60
	v_lshlrev_b64 v[11:12], v11, v[1:2]
	v_and_b32_e32 v60, 7, v11
; %bb.935:                              ;   in Loop: Header=BB258_551 Depth=1
	s_or_b32 exec_lo, exec_lo, s28
	v_lshlrev_b32_e32 v1, 8, v1
	v_lshl_add_u32 v11, v63, 10, 0x2000
	v_lshlrev_b32_e32 v12, 7, v60
	v_and_b32_e32 v1, 0x8000, v1
	v_and_b32_e32 v11, 0xfc00, v11
	v_or3_b32 v60, v1, v11, v12
.LBB258_936:                            ;   in Loop: Header=BB258_551 Depth=1
	s_or_b32 exec_lo, exec_lo, s27
.LBB258_937:                            ;   in Loop: Header=BB258_551 Depth=1
	s_or_b32 exec_lo, exec_lo, s26
.LBB258_938:                            ;   in Loop: Header=BB258_551 Depth=1
	s_or_b32 exec_lo, exec_lo, s22
	v_cmp_lt_u64_e64 s1, s[2:3], v[9:10]
	v_mov_b32_e32 v9, 0
	s_and_saveexec_b32 s22, s1
	s_cbranch_execz .LBB258_946
; %bb.939:                              ;   in Loop: Header=BB258_551 Depth=1
	v_lshrrev_b32_e32 v1, 24, v10
	v_bfrev_b32_e32 v9, 1
	s_mov_b32 s26, exec_lo
	v_cmpx_ne_u32_e32 0x80, v1
	s_cbranch_execz .LBB258_945
; %bb.940:                              ;   in Loop: Header=BB258_551 Depth=1
	v_and_b32_e32 v63, 0x7f, v1
	v_mov_b32_e32 v9, 0x7c010000
	s_mov_b32 s27, exec_lo
	v_cmpx_ne_u32_e32 0x7f, v63
	s_cbranch_execz .LBB258_944
; %bb.941:                              ;   in Loop: Header=BB258_551 Depth=1
	v_and_b32_e32 v9, 7, v1
	v_lshrrev_b32_e32 v10, 3, v63
	s_mov_b32 s28, exec_lo
	v_cmpx_gt_u32_e32 8, v63
; %bb.942:                              ;   in Loop: Header=BB258_551 Depth=1
	v_ffbh_u32_e32 v9, v9
	v_min_u32_e32 v11, 32, v9
	v_subrev_nc_u32_e32 v9, 28, v11
	v_lshlrev_b64 v[9:10], v9, v[1:2]
	v_sub_nc_u32_e32 v10, 29, v11
	v_and_b32_e32 v9, 7, v9
; %bb.943:                              ;   in Loop: Header=BB258_551 Depth=1
	s_or_b32 exec_lo, exec_lo, s28
	v_lshlrev_b32_e32 v1, 8, v1
	v_lshl_add_u32 v10, v10, 10, 0x2000
	v_lshlrev_b32_e32 v9, 23, v9
	v_and_or_b32 v1, 0x8000, v1, v10
	v_lshl_or_b32 v9, v1, 16, v9
.LBB258_944:                            ;   in Loop: Header=BB258_551 Depth=1
	s_or_b32 exec_lo, exec_lo, s27
.LBB258_945:                            ;   in Loop: Header=BB258_551 Depth=1
	s_or_b32 exec_lo, exec_lo, s26
.LBB258_946:                            ;   in Loop: Header=BB258_551 Depth=1
	s_or_b32 exec_lo, exec_lo, s22
	v_or_b32_e32 v1, v58, v59
	s_waitcnt vmcnt(0)
	v_fma_mixlo_f16 v10, v55, v58, 0 op_sel:[0,1,0] op_sel_hi:[0,1,0]
	v_or_b32_e32 v11, v56, v57
	v_fma_mixlo_f16 v12, v55, v56, 0 op_sel:[0,1,0] op_sel_hi:[0,1,0]
	v_or_b32_e32 v56, v62, v61
	v_fma_mixlo_f16 v58, v55, v1, 0 op_sel_hi:[0,1,0]
	v_or_b32_e32 v59, v9, v60
	v_lshlrev_b32_e32 v1, 16, v10
	v_lshlrev_b32_e32 v57, 16, v12
	v_fma_mixlo_f16 v11, v55, v11, 0 op_sel_hi:[0,1,0]
	v_and_b32_e32 v10, 0xffff, v58
	v_fma_mixlo_f16 v12, v55, v62, 0 op_sel:[0,1,0] op_sel_hi:[0,1,0]
	v_fma_mixlo_f16 v56, v55, v56, 0 op_sel_hi:[0,1,0]
	v_fma_mixlo_f16 v9, v55, v9, 0 op_sel:[0,1,0] op_sel_hi:[0,1,0]
	v_fma_mixlo_f16 v58, v55, v59, 0 op_sel_hi:[0,1,0]
	v_and_b32_e32 v63, 0xffff, v11
	v_lshlrev_b32_e32 v55, 16, v12
	v_and_b32_e32 v59, 0xffff, v56
	v_lshlrev_b32_e32 v9, 16, v9
	v_and_b32_e32 v56, 0xffff, v58
	v_or_b32_e32 v58, v1, v10
	v_or_b32_e32 v62, v57, v63
	;; [unrolled: 1-line block ×4, first 2 shown]
	s_and_saveexec_b32 s22, vcc_lo
	s_cbranch_execz .LBB258_948
; %bb.947:                              ;   in Loop: Header=BB258_551 Depth=1
	v_cmp_gt_i32_e64 s1, s33, v33
	v_cndmask_b32_e64 v11, 0, v63, s1
	v_cmp_gt_i32_e64 s1, s33, v41
	v_cndmask_b32_e64 v12, 0, v57, s1
	v_cmp_gt_i32_e64 s1, s33, v39
	v_or_b32_e32 v62, v12, v11
	v_cndmask_b32_e64 v10, 0, v10, s1
	v_cmp_gt_i32_e64 s1, s33, v38
	v_cndmask_b32_e64 v1, 0, v1, s1
	v_cmp_gt_i32_e64 s1, s33, v37
	v_or_b32_e32 v58, v1, v10
	;; [unrolled: 5-line block ×3, first 2 shown]
	v_cndmask_b32_e64 v56, 0, v56, s1
	v_cmp_gt_i32_e64 s1, s33, v34
	v_cndmask_b32_e64 v9, 0, v9, s1
	v_or_b32_e32 v60, v9, v56
.LBB258_948:                            ;   in Loop: Header=BB258_551 Depth=1
	s_or_b32 exec_lo, exec_lo, s22
	;;#ASMSTART
	v_pk_mul_f16 v1, v46, v62;

	;;#ASMEND
	;;#ASMSTART
	v_pk_mul_f16 v9, v45, v58;

	;;#ASMEND
	;; [unrolled: 4-line block ×4, first 2 shown]
	;;#ASMSTART
	v_pk_add_f16 v1, v1, v9;

	;;#ASMEND
	;;#ASMSTART
	v_pk_add_f16 v1, v1, v10;

	;;#ASMEND
	;; [unrolled: 4-line block ×3, first 2 shown]
	v_and_b32_e32 v9, 0xffff, v1
	v_lshrrev_b32_e32 v1, 16, v1
	;;#ASMSTART
	v_cvt_f32_f16 v55, v9;
	;;#ASMEND
	;;#ASMSTART
	v_cvt_f32_f16 v56, v1;
	;;#ASMEND
	global_load_dwordx2 v[9:10], v[7:8], off offset:1536
	v_mov_b32_e32 v58, 0
	v_mov_b32_e32 v59, 0
	global_load_dword v57, v58, s[14:15]
	s_waitcnt vmcnt(1)
	v_cmp_ne_u16_sdwa s1, v9, v2 src0_sel:BYTE_0 src1_sel:DWORD
	s_and_saveexec_b32 s22, s1
	s_cbranch_execz .LBB258_956
; %bb.949:                              ;   in Loop: Header=BB258_551 Depth=1
	v_cmp_ne_u16_sdwa s1, v9, v15 src0_sel:BYTE_0 src1_sel:DWORD
	v_mov_b32_e32 v59, 0x8000
	s_and_saveexec_b32 s26, s1
	s_cbranch_execz .LBB258_955
; %bb.950:                              ;   in Loop: Header=BB258_551 Depth=1
	v_and_b32_e32 v60, 0x7f, v9
	v_mov_b32_e32 v59, 0x7c01
	s_mov_b32 s27, exec_lo
	v_cmpx_ne_u32_e32 0x7f, v60
	s_cbranch_execz .LBB258_954
; %bb.951:                              ;   in Loop: Header=BB258_551 Depth=1
	v_and_b32_e32 v1, 7, v9
	v_lshrrev_b32_e32 v59, 3, v60
	s_mov_b32 s28, exec_lo
	v_cmpx_gt_u32_e32 8, v60
; %bb.952:                              ;   in Loop: Header=BB258_551 Depth=1
	v_ffbh_u32_e32 v1, v1
	v_min_u32_e32 v1, 32, v1
	v_subrev_nc_u32_e32 v11, 28, v1
	v_sub_nc_u32_e32 v59, 29, v1
	v_lshlrev_b64 v[11:12], v11, v[9:10]
	v_and_b32_e32 v1, 7, v11
; %bb.953:                              ;   in Loop: Header=BB258_551 Depth=1
	s_or_b32 exec_lo, exec_lo, s28
	v_lshlrev_b32_e32 v11, 8, v9
	v_lshl_add_u32 v12, v59, 10, 0x2000
	v_lshlrev_b32_e32 v1, 7, v1
	v_and_b32_e32 v11, 0x8000, v11
	v_and_b32_e32 v12, 0xfc00, v12
	v_or3_b32 v59, v11, v12, v1
.LBB258_954:                            ;   in Loop: Header=BB258_551 Depth=1
	s_or_b32 exec_lo, exec_lo, s27
.LBB258_955:                            ;   in Loop: Header=BB258_551 Depth=1
	s_or_b32 exec_lo, exec_lo, s26
.LBB258_956:                            ;   in Loop: Header=BB258_551 Depth=1
	s_or_b32 exec_lo, exec_lo, s22
	v_lshrrev_b16 v1, 8, v9
	s_mov_b32 s22, exec_lo
	v_cmpx_ne_u16_e32 0, v1
	s_cbranch_execz .LBB258_964
; %bb.957:                              ;   in Loop: Header=BB258_551 Depth=1
	v_bfrev_b32_e32 v58, 1
	s_mov_b32 s26, exec_lo
	v_cmpx_ne_u16_e32 0x80, v1
	s_cbranch_execz .LBB258_963
; %bb.958:                              ;   in Loop: Header=BB258_551 Depth=1
	v_and_b32_sdwa v61, v1, v27 dst_sel:DWORD dst_unused:UNUSED_PAD src0_sel:WORD_0 src1_sel:DWORD
	v_mov_b32_e32 v58, 0x7c010000
	s_mov_b32 s27, exec_lo
	v_cmpx_ne_u32_e32 0x7f, v61
	s_cbranch_execz .LBB258_962
; %bb.959:                              ;   in Loop: Header=BB258_551 Depth=1
	v_and_b32_sdwa v58, v1, v28 dst_sel:DWORD dst_unused:UNUSED_PAD src0_sel:WORD_0 src1_sel:DWORD
	v_lshrrev_b32_e32 v60, 3, v61
	s_mov_b32 s28, exec_lo
	v_cmpx_gt_u32_e32 8, v61
; %bb.960:                              ;   in Loop: Header=BB258_551 Depth=1
	v_ffbh_u32_e32 v11, v58
	v_min_u32_e32 v58, 32, v11
	v_subrev_nc_u32_e32 v11, 28, v58
	v_sub_nc_u32_e32 v60, 29, v58
	v_lshlrev_b64 v[11:12], v11, v[1:2]
	v_and_b32_e32 v58, 7, v11
; %bb.961:                              ;   in Loop: Header=BB258_551 Depth=1
	s_or_b32 exec_lo, exec_lo, s28
	v_lshlrev_b32_sdwa v1, v29, v1 dst_sel:DWORD dst_unused:UNUSED_PAD src0_sel:DWORD src1_sel:WORD_0
	v_lshl_add_u32 v11, v60, 10, 0x2000
	v_and_or_b32 v1, 0x8000, v1, v11
	v_lshlrev_b32_e32 v11, 23, v58
	v_lshl_or_b32 v58, v1, 16, v11
.LBB258_962:                            ;   in Loop: Header=BB258_551 Depth=1
	s_or_b32 exec_lo, exec_lo, s27
.LBB258_963:                            ;   in Loop: Header=BB258_551 Depth=1
	s_or_b32 exec_lo, exec_lo, s26
.LBB258_964:                            ;   in Loop: Header=BB258_551 Depth=1
	s_or_b32 exec_lo, exec_lo, s22
	v_lshrrev_b32_e32 v1, 16, v9
	v_mov_b32_e32 v60, 0
	v_mov_b32_e32 v61, 0
	v_cmp_ne_u16_sdwa s1, v1, v2 src0_sel:BYTE_0 src1_sel:DWORD
	s_and_saveexec_b32 s22, s1
	s_cbranch_execz .LBB258_972
; %bb.965:                              ;   in Loop: Header=BB258_551 Depth=1
	v_cmp_ne_u16_sdwa s1, v1, v15 src0_sel:BYTE_0 src1_sel:DWORD
	v_mov_b32_e32 v61, 0x8000
	s_and_saveexec_b32 s26, s1
	s_cbranch_execz .LBB258_971
; %bb.966:                              ;   in Loop: Header=BB258_551 Depth=1
	v_bfe_u32 v63, v9, 16, 7
	v_mov_b32_e32 v61, 0x7c01
	s_mov_b32 s27, exec_lo
	v_cmpx_ne_u32_e32 0x7f, v63
	s_cbranch_execz .LBB258_970
; %bb.967:                              ;   in Loop: Header=BB258_551 Depth=1
	v_and_b32_e32 v61, 7, v1
	v_lshrrev_b32_e32 v62, 3, v63
	s_mov_b32 s28, exec_lo
	v_cmpx_gt_u32_e32 8, v63
; %bb.968:                              ;   in Loop: Header=BB258_551 Depth=1
	v_ffbh_u32_e32 v11, v61
	v_min_u32_e32 v61, 32, v11
	v_subrev_nc_u32_e32 v11, 28, v61
	v_sub_nc_u32_e32 v62, 29, v61
	v_lshlrev_b64 v[11:12], v11, v[1:2]
	v_and_b32_e32 v61, 7, v11
; %bb.969:                              ;   in Loop: Header=BB258_551 Depth=1
	s_or_b32 exec_lo, exec_lo, s28
	v_lshlrev_b32_e32 v1, 8, v1
	v_lshl_add_u32 v11, v62, 10, 0x2000
	v_lshlrev_b32_e32 v12, 7, v61
	v_and_b32_e32 v1, 0x8000, v1
	v_and_b32_e32 v11, 0xfc00, v11
	v_or3_b32 v61, v1, v11, v12
.LBB258_970:                            ;   in Loop: Header=BB258_551 Depth=1
	s_or_b32 exec_lo, exec_lo, s27
.LBB258_971:                            ;   in Loop: Header=BB258_551 Depth=1
	s_or_b32 exec_lo, exec_lo, s26
.LBB258_972:                            ;   in Loop: Header=BB258_551 Depth=1
	s_or_b32 exec_lo, exec_lo, s22
	s_mov_b32 s22, exec_lo
	v_cmpx_lt_u32_e32 0xffffff, v9
	s_cbranch_execz .LBB258_980
; %bb.973:                              ;   in Loop: Header=BB258_551 Depth=1
	v_lshrrev_b32_e32 v1, 24, v9
	v_bfrev_b32_e32 v60, 1
	s_mov_b32 s26, exec_lo
	v_cmpx_ne_u32_e32 0x80, v1
	s_cbranch_execz .LBB258_979
; %bb.974:                              ;   in Loop: Header=BB258_551 Depth=1
	v_and_b32_e32 v63, 0x7f, v1
	v_mov_b32_e32 v60, 0x7c010000
	s_mov_b32 s27, exec_lo
	v_cmpx_ne_u32_e32 0x7f, v63
	s_cbranch_execz .LBB258_978
; %bb.975:                              ;   in Loop: Header=BB258_551 Depth=1
	v_and_b32_e32 v60, 7, v1
	v_lshrrev_b32_e32 v62, 3, v63
	s_mov_b32 s28, exec_lo
	v_cmpx_gt_u32_e32 8, v63
; %bb.976:                              ;   in Loop: Header=BB258_551 Depth=1
	v_ffbh_u32_e32 v11, v60
	v_min_u32_e32 v60, 32, v11
	v_subrev_nc_u32_e32 v11, 28, v60
	v_sub_nc_u32_e32 v62, 29, v60
	v_lshlrev_b64 v[11:12], v11, v[1:2]
	v_and_b32_e32 v60, 7, v11
; %bb.977:                              ;   in Loop: Header=BB258_551 Depth=1
	s_or_b32 exec_lo, exec_lo, s28
	v_lshlrev_b32_e32 v1, 8, v1
	v_lshl_add_u32 v11, v62, 10, 0x2000
	v_and_or_b32 v1, 0x8000, v1, v11
	v_lshlrev_b32_e32 v11, 23, v60
	v_lshl_or_b32 v60, v1, 16, v11
.LBB258_978:                            ;   in Loop: Header=BB258_551 Depth=1
	s_or_b32 exec_lo, exec_lo, s27
.LBB258_979:                            ;   in Loop: Header=BB258_551 Depth=1
	s_or_b32 exec_lo, exec_lo, s26
.LBB258_980:                            ;   in Loop: Header=BB258_551 Depth=1
	s_or_b32 exec_lo, exec_lo, s22
	v_mov_b32_e32 v1, v10
	v_cmp_ne_u16_sdwa s1, v10, v2 src0_sel:BYTE_0 src1_sel:DWORD
	v_mov_b32_e32 v62, 0
	v_mov_b32_e32 v63, 0
	s_and_saveexec_b32 s22, s1
	s_cbranch_execz .LBB258_988
; %bb.981:                              ;   in Loop: Header=BB258_551 Depth=1
	v_cmp_ne_u16_sdwa s1, v10, v15 src0_sel:BYTE_0 src1_sel:DWORD
	v_mov_b32_e32 v63, 0x8000
	s_and_saveexec_b32 s26, s1
	s_cbranch_execz .LBB258_987
; %bb.982:                              ;   in Loop: Header=BB258_551 Depth=1
	v_and_b32_e32 v65, 0x7f, v10
	v_mov_b32_e32 v63, 0x7c01
	s_mov_b32 s27, exec_lo
	v_cmpx_ne_u32_e32 0x7f, v65
	s_cbranch_execz .LBB258_986
; %bb.983:                              ;   in Loop: Header=BB258_551 Depth=1
	v_and_b32_e32 v63, 7, v10
	v_lshrrev_b32_e32 v64, 3, v65
	s_mov_b32 s28, exec_lo
	v_cmpx_gt_u32_e32 8, v65
; %bb.984:                              ;   in Loop: Header=BB258_551 Depth=1
	v_ffbh_u32_e32 v11, v63
	v_min_u32_e32 v63, 32, v11
	v_subrev_nc_u32_e32 v11, 28, v63
	v_sub_nc_u32_e32 v64, 29, v63
	v_lshlrev_b64 v[11:12], v11, v[1:2]
	v_and_b32_e32 v63, 7, v11
; %bb.985:                              ;   in Loop: Header=BB258_551 Depth=1
	s_or_b32 exec_lo, exec_lo, s28
	v_lshlrev_b32_e32 v11, 8, v10
	v_lshl_add_u32 v12, v64, 10, 0x2000
	v_lshlrev_b32_e32 v63, 7, v63
	v_and_b32_e32 v11, 0x8000, v11
	v_and_b32_e32 v12, 0xfc00, v12
	v_or3_b32 v63, v11, v12, v63
.LBB258_986:                            ;   in Loop: Header=BB258_551 Depth=1
	s_or_b32 exec_lo, exec_lo, s27
.LBB258_987:                            ;   in Loop: Header=BB258_551 Depth=1
	s_or_b32 exec_lo, exec_lo, s26
.LBB258_988:                            ;   in Loop: Header=BB258_551 Depth=1
	s_or_b32 exec_lo, exec_lo, s22
	v_lshrrev_b16 v1, 8, v1
	v_mov_b32_e32 v64, 0
	s_mov_b32 s22, exec_lo
	v_cmpx_ne_u16_e32 0, v1
	s_cbranch_execz .LBB258_996
; %bb.989:                              ;   in Loop: Header=BB258_551 Depth=1
	v_bfrev_b32_e32 v64, 1
	s_mov_b32 s26, exec_lo
	v_cmpx_ne_u16_e32 0x80, v1
	s_cbranch_execz .LBB258_995
; %bb.990:                              ;   in Loop: Header=BB258_551 Depth=1
	v_and_b32_sdwa v66, v1, v27 dst_sel:DWORD dst_unused:UNUSED_PAD src0_sel:WORD_0 src1_sel:DWORD
	v_mov_b32_e32 v64, 0x7c010000
	s_mov_b32 s27, exec_lo
	v_cmpx_ne_u32_e32 0x7f, v66
	s_cbranch_execz .LBB258_994
; %bb.991:                              ;   in Loop: Header=BB258_551 Depth=1
	v_and_b32_sdwa v64, v1, v28 dst_sel:DWORD dst_unused:UNUSED_PAD src0_sel:WORD_0 src1_sel:DWORD
	v_lshrrev_b32_e32 v65, 3, v66
	s_mov_b32 s28, exec_lo
	v_cmpx_gt_u32_e32 8, v66
; %bb.992:                              ;   in Loop: Header=BB258_551 Depth=1
	v_ffbh_u32_e32 v11, v64
	v_min_u32_e32 v64, 32, v11
	v_subrev_nc_u32_e32 v11, 28, v64
	v_sub_nc_u32_e32 v65, 29, v64
	v_lshlrev_b64 v[11:12], v11, v[1:2]
	v_and_b32_e32 v64, 7, v11
; %bb.993:                              ;   in Loop: Header=BB258_551 Depth=1
	s_or_b32 exec_lo, exec_lo, s28
	v_lshlrev_b32_sdwa v1, v29, v1 dst_sel:DWORD dst_unused:UNUSED_PAD src0_sel:DWORD src1_sel:WORD_0
	v_lshl_add_u32 v11, v65, 10, 0x2000
	v_and_or_b32 v1, 0x8000, v1, v11
	v_lshlrev_b32_e32 v11, 23, v64
	v_lshl_or_b32 v64, v1, 16, v11
.LBB258_994:                            ;   in Loop: Header=BB258_551 Depth=1
	s_or_b32 exec_lo, exec_lo, s27
.LBB258_995:                            ;   in Loop: Header=BB258_551 Depth=1
	s_or_b32 exec_lo, exec_lo, s26
.LBB258_996:                            ;   in Loop: Header=BB258_551 Depth=1
	s_or_b32 exec_lo, exec_lo, s22
	v_lshrrev_b32_e32 v1, 16, v10
	v_cmp_ne_u16_sdwa s1, v1, v2 src0_sel:BYTE_0 src1_sel:DWORD
	s_and_saveexec_b32 s22, s1
	s_cbranch_execz .LBB258_1004
; %bb.997:                              ;   in Loop: Header=BB258_551 Depth=1
	v_cmp_ne_u16_sdwa s1, v1, v15 src0_sel:BYTE_0 src1_sel:DWORD
	v_mov_b32_e32 v62, 0x8000
	s_and_saveexec_b32 s26, s1
	s_cbranch_execz .LBB258_1003
; %bb.998:                              ;   in Loop: Header=BB258_551 Depth=1
	v_bfe_u32 v66, v10, 16, 7
	v_mov_b32_e32 v62, 0x7c01
	s_mov_b32 s27, exec_lo
	v_cmpx_ne_u32_e32 0x7f, v66
	s_cbranch_execz .LBB258_1002
; %bb.999:                              ;   in Loop: Header=BB258_551 Depth=1
	v_and_b32_e32 v62, 7, v1
	v_lshrrev_b32_e32 v65, 3, v66
	s_mov_b32 s28, exec_lo
	v_cmpx_gt_u32_e32 8, v66
; %bb.1000:                             ;   in Loop: Header=BB258_551 Depth=1
	v_ffbh_u32_e32 v11, v62
	v_min_u32_e32 v62, 32, v11
	v_subrev_nc_u32_e32 v11, 28, v62
	v_sub_nc_u32_e32 v65, 29, v62
	v_lshlrev_b64 v[11:12], v11, v[1:2]
	v_and_b32_e32 v62, 7, v11
; %bb.1001:                             ;   in Loop: Header=BB258_551 Depth=1
	s_or_b32 exec_lo, exec_lo, s28
	v_lshlrev_b32_e32 v1, 8, v1
	v_lshl_add_u32 v11, v65, 10, 0x2000
	v_lshlrev_b32_e32 v12, 7, v62
	v_and_b32_e32 v1, 0x8000, v1
	v_and_b32_e32 v11, 0xfc00, v11
	v_or3_b32 v62, v1, v11, v12
.LBB258_1002:                           ;   in Loop: Header=BB258_551 Depth=1
	s_or_b32 exec_lo, exec_lo, s27
.LBB258_1003:                           ;   in Loop: Header=BB258_551 Depth=1
	s_or_b32 exec_lo, exec_lo, s26
.LBB258_1004:                           ;   in Loop: Header=BB258_551 Depth=1
	s_or_b32 exec_lo, exec_lo, s22
	v_cmp_lt_u64_e64 s1, s[2:3], v[9:10]
	v_mov_b32_e32 v9, 0
	s_and_saveexec_b32 s22, s1
	s_cbranch_execz .LBB258_1012
; %bb.1005:                             ;   in Loop: Header=BB258_551 Depth=1
	v_lshrrev_b32_e32 v1, 24, v10
	v_bfrev_b32_e32 v9, 1
	s_mov_b32 s26, exec_lo
	v_cmpx_ne_u32_e32 0x80, v1
	s_cbranch_execz .LBB258_1011
; %bb.1006:                             ;   in Loop: Header=BB258_551 Depth=1
	v_and_b32_e32 v65, 0x7f, v1
	v_mov_b32_e32 v9, 0x7c010000
	s_mov_b32 s27, exec_lo
	v_cmpx_ne_u32_e32 0x7f, v65
	s_cbranch_execz .LBB258_1010
; %bb.1007:                             ;   in Loop: Header=BB258_551 Depth=1
	v_and_b32_e32 v9, 7, v1
	v_lshrrev_b32_e32 v10, 3, v65
	s_mov_b32 s28, exec_lo
	v_cmpx_gt_u32_e32 8, v65
; %bb.1008:                             ;   in Loop: Header=BB258_551 Depth=1
	v_ffbh_u32_e32 v9, v9
	v_min_u32_e32 v11, 32, v9
	v_subrev_nc_u32_e32 v9, 28, v11
	v_lshlrev_b64 v[9:10], v9, v[1:2]
	v_sub_nc_u32_e32 v10, 29, v11
	v_and_b32_e32 v9, 7, v9
; %bb.1009:                             ;   in Loop: Header=BB258_551 Depth=1
	s_or_b32 exec_lo, exec_lo, s28
	v_lshlrev_b32_e32 v1, 8, v1
	v_lshl_add_u32 v10, v10, 10, 0x2000
	v_lshlrev_b32_e32 v9, 23, v9
	v_and_or_b32 v1, 0x8000, v1, v10
	v_lshl_or_b32 v9, v1, 16, v9
.LBB258_1010:                           ;   in Loop: Header=BB258_551 Depth=1
	s_or_b32 exec_lo, exec_lo, s27
.LBB258_1011:                           ;   in Loop: Header=BB258_551 Depth=1
	s_or_b32 exec_lo, exec_lo, s26
.LBB258_1012:                           ;   in Loop: Header=BB258_551 Depth=1
	s_or_b32 exec_lo, exec_lo, s22
	v_or_b32_e32 v1, v60, v61
	s_waitcnt vmcnt(0)
	v_fma_mixlo_f16 v10, v57, v60, 0 op_sel:[0,1,0] op_sel_hi:[0,1,0]
	v_or_b32_e32 v11, v58, v59
	v_fma_mixlo_f16 v12, v57, v58, 0 op_sel:[0,1,0] op_sel_hi:[0,1,0]
	v_or_b32_e32 v58, v64, v63
	v_fma_mixlo_f16 v60, v57, v1, 0 op_sel_hi:[0,1,0]
	v_or_b32_e32 v61, v9, v62
	v_lshlrev_b32_e32 v1, 16, v10
	v_lshlrev_b32_e32 v59, 16, v12
	v_fma_mixlo_f16 v11, v57, v11, 0 op_sel_hi:[0,1,0]
	v_and_b32_e32 v10, 0xffff, v60
	v_fma_mixlo_f16 v12, v57, v64, 0 op_sel:[0,1,0] op_sel_hi:[0,1,0]
	v_fma_mixlo_f16 v58, v57, v58, 0 op_sel_hi:[0,1,0]
	v_fma_mixlo_f16 v9, v57, v9, 0 op_sel:[0,1,0] op_sel_hi:[0,1,0]
	v_fma_mixlo_f16 v60, v57, v61, 0 op_sel_hi:[0,1,0]
	v_and_b32_e32 v65, 0xffff, v11
	v_lshlrev_b32_e32 v57, 16, v12
	v_and_b32_e32 v61, 0xffff, v58
	v_lshlrev_b32_e32 v9, 16, v9
	v_and_b32_e32 v58, 0xffff, v60
	v_or_b32_e32 v60, v1, v10
	v_or_b32_e32 v64, v59, v65
	v_or_b32_e32 v63, v57, v61
	v_or_b32_e32 v62, v9, v58
	s_and_saveexec_b32 s22, vcc_lo
	s_cbranch_execz .LBB258_1014
; %bb.1013:                             ;   in Loop: Header=BB258_551 Depth=1
	v_cmp_gt_i32_e64 s1, s33, v33
	v_cndmask_b32_e64 v11, 0, v65, s1
	v_cmp_gt_i32_e64 s1, s33, v41
	v_cndmask_b32_e64 v12, 0, v59, s1
	v_cmp_gt_i32_e64 s1, s33, v39
	v_or_b32_e32 v64, v12, v11
	v_cndmask_b32_e64 v10, 0, v10, s1
	v_cmp_gt_i32_e64 s1, s33, v38
	v_cndmask_b32_e64 v1, 0, v1, s1
	v_cmp_gt_i32_e64 s1, s33, v37
	v_or_b32_e32 v60, v1, v10
	;; [unrolled: 5-line block ×3, first 2 shown]
	v_cndmask_b32_e64 v58, 0, v58, s1
	v_cmp_gt_i32_e64 s1, s33, v34
	v_cndmask_b32_e64 v9, 0, v9, s1
	v_or_b32_e32 v62, v9, v58
.LBB258_1014:                           ;   in Loop: Header=BB258_551 Depth=1
	s_or_b32 exec_lo, exec_lo, s22
	;;#ASMSTART
	v_pk_mul_f16 v1, v46, v64;

	;;#ASMEND
	;;#ASMSTART
	v_pk_mul_f16 v9, v45, v60;

	;;#ASMEND
	;; [unrolled: 4-line block ×4, first 2 shown]
	;;#ASMSTART
	v_pk_add_f16 v1, v1, v9;

	;;#ASMEND
	;;#ASMSTART
	v_pk_add_f16 v1, v1, v10;

	;;#ASMEND
	;; [unrolled: 4-line block ×3, first 2 shown]
	v_and_b32_e32 v9, 0xffff, v1
	v_lshrrev_b32_e32 v1, 16, v1
	;;#ASMSTART
	v_cvt_f32_f16 v9, v9;
	;;#ASMEND
	;;#ASMSTART
	v_cvt_f32_f16 v10, v1;
	;;#ASMEND
	global_load_dwordx2 v[7:8], v[7:8], off offset:1792
	v_mov_b32_e32 v58, 0
	v_mov_b32_e32 v59, 0
	global_load_dword v57, v58, s[14:15]
	s_waitcnt vmcnt(1)
	v_cmp_ne_u16_sdwa s1, v7, v2 src0_sel:BYTE_0 src1_sel:DWORD
	s_and_saveexec_b32 s22, s1
	s_cbranch_execz .LBB258_1022
; %bb.1015:                             ;   in Loop: Header=BB258_551 Depth=1
	v_cmp_ne_u16_sdwa s1, v7, v15 src0_sel:BYTE_0 src1_sel:DWORD
	v_mov_b32_e32 v59, 0x8000
	s_and_saveexec_b32 s26, s1
	s_cbranch_execz .LBB258_1021
; %bb.1016:                             ;   in Loop: Header=BB258_551 Depth=1
	v_and_b32_e32 v60, 0x7f, v7
	v_mov_b32_e32 v59, 0x7c01
	s_mov_b32 s27, exec_lo
	v_cmpx_ne_u32_e32 0x7f, v60
	s_cbranch_execz .LBB258_1020
; %bb.1017:                             ;   in Loop: Header=BB258_551 Depth=1
	v_and_b32_e32 v1, 7, v7
	v_lshrrev_b32_e32 v59, 3, v60
	s_mov_b32 s28, exec_lo
	v_cmpx_gt_u32_e32 8, v60
; %bb.1018:                             ;   in Loop: Header=BB258_551 Depth=1
	v_ffbh_u32_e32 v1, v1
	v_min_u32_e32 v1, 32, v1
	v_subrev_nc_u32_e32 v11, 28, v1
	v_sub_nc_u32_e32 v59, 29, v1
	v_lshlrev_b64 v[11:12], v11, v[7:8]
	v_and_b32_e32 v1, 7, v11
; %bb.1019:                             ;   in Loop: Header=BB258_551 Depth=1
	s_or_b32 exec_lo, exec_lo, s28
	v_lshlrev_b32_e32 v11, 8, v7
	v_lshl_add_u32 v12, v59, 10, 0x2000
	v_lshlrev_b32_e32 v1, 7, v1
	v_and_b32_e32 v11, 0x8000, v11
	v_and_b32_e32 v12, 0xfc00, v12
	v_or3_b32 v59, v11, v12, v1
.LBB258_1020:                           ;   in Loop: Header=BB258_551 Depth=1
	s_or_b32 exec_lo, exec_lo, s27
.LBB258_1021:                           ;   in Loop: Header=BB258_551 Depth=1
	s_or_b32 exec_lo, exec_lo, s26
.LBB258_1022:                           ;   in Loop: Header=BB258_551 Depth=1
	s_or_b32 exec_lo, exec_lo, s22
	v_lshrrev_b16 v1, 8, v7
	s_mov_b32 s22, exec_lo
	v_cmpx_ne_u16_e32 0, v1
	s_cbranch_execz .LBB258_1030
; %bb.1023:                             ;   in Loop: Header=BB258_551 Depth=1
	v_bfrev_b32_e32 v58, 1
	s_mov_b32 s26, exec_lo
	v_cmpx_ne_u16_e32 0x80, v1
	s_cbranch_execz .LBB258_1029
; %bb.1024:                             ;   in Loop: Header=BB258_551 Depth=1
	v_and_b32_sdwa v61, v1, v27 dst_sel:DWORD dst_unused:UNUSED_PAD src0_sel:WORD_0 src1_sel:DWORD
	v_mov_b32_e32 v58, 0x7c010000
	s_mov_b32 s27, exec_lo
	v_cmpx_ne_u32_e32 0x7f, v61
	s_cbranch_execz .LBB258_1028
; %bb.1025:                             ;   in Loop: Header=BB258_551 Depth=1
	v_and_b32_sdwa v58, v1, v28 dst_sel:DWORD dst_unused:UNUSED_PAD src0_sel:WORD_0 src1_sel:DWORD
	v_lshrrev_b32_e32 v60, 3, v61
	s_mov_b32 s28, exec_lo
	v_cmpx_gt_u32_e32 8, v61
; %bb.1026:                             ;   in Loop: Header=BB258_551 Depth=1
	v_ffbh_u32_e32 v11, v58
	v_min_u32_e32 v58, 32, v11
	v_subrev_nc_u32_e32 v11, 28, v58
	v_sub_nc_u32_e32 v60, 29, v58
	v_lshlrev_b64 v[11:12], v11, v[1:2]
	v_and_b32_e32 v58, 7, v11
; %bb.1027:                             ;   in Loop: Header=BB258_551 Depth=1
	s_or_b32 exec_lo, exec_lo, s28
	v_lshlrev_b32_sdwa v1, v29, v1 dst_sel:DWORD dst_unused:UNUSED_PAD src0_sel:DWORD src1_sel:WORD_0
	v_lshl_add_u32 v11, v60, 10, 0x2000
	v_and_or_b32 v1, 0x8000, v1, v11
	v_lshlrev_b32_e32 v11, 23, v58
	v_lshl_or_b32 v58, v1, 16, v11
.LBB258_1028:                           ;   in Loop: Header=BB258_551 Depth=1
	s_or_b32 exec_lo, exec_lo, s27
.LBB258_1029:                           ;   in Loop: Header=BB258_551 Depth=1
	s_or_b32 exec_lo, exec_lo, s26
.LBB258_1030:                           ;   in Loop: Header=BB258_551 Depth=1
	s_or_b32 exec_lo, exec_lo, s22
	v_lshrrev_b32_e32 v1, 16, v7
	v_mov_b32_e32 v60, 0
	v_mov_b32_e32 v61, 0
	v_cmp_ne_u16_sdwa s1, v1, v2 src0_sel:BYTE_0 src1_sel:DWORD
	s_and_saveexec_b32 s22, s1
	s_cbranch_execz .LBB258_1038
; %bb.1031:                             ;   in Loop: Header=BB258_551 Depth=1
	v_cmp_ne_u16_sdwa s1, v1, v15 src0_sel:BYTE_0 src1_sel:DWORD
	v_mov_b32_e32 v61, 0x8000
	s_and_saveexec_b32 s26, s1
	s_cbranch_execz .LBB258_1037
; %bb.1032:                             ;   in Loop: Header=BB258_551 Depth=1
	v_bfe_u32 v63, v7, 16, 7
	v_mov_b32_e32 v61, 0x7c01
	s_mov_b32 s27, exec_lo
	v_cmpx_ne_u32_e32 0x7f, v63
	s_cbranch_execz .LBB258_1036
; %bb.1033:                             ;   in Loop: Header=BB258_551 Depth=1
	v_and_b32_e32 v61, 7, v1
	v_lshrrev_b32_e32 v62, 3, v63
	s_mov_b32 s28, exec_lo
	v_cmpx_gt_u32_e32 8, v63
; %bb.1034:                             ;   in Loop: Header=BB258_551 Depth=1
	v_ffbh_u32_e32 v11, v61
	v_min_u32_e32 v61, 32, v11
	v_subrev_nc_u32_e32 v11, 28, v61
	v_sub_nc_u32_e32 v62, 29, v61
	v_lshlrev_b64 v[11:12], v11, v[1:2]
	v_and_b32_e32 v61, 7, v11
; %bb.1035:                             ;   in Loop: Header=BB258_551 Depth=1
	s_or_b32 exec_lo, exec_lo, s28
	v_lshlrev_b32_e32 v1, 8, v1
	v_lshl_add_u32 v11, v62, 10, 0x2000
	v_lshlrev_b32_e32 v12, 7, v61
	v_and_b32_e32 v1, 0x8000, v1
	v_and_b32_e32 v11, 0xfc00, v11
	v_or3_b32 v61, v1, v11, v12
.LBB258_1036:                           ;   in Loop: Header=BB258_551 Depth=1
	s_or_b32 exec_lo, exec_lo, s27
.LBB258_1037:                           ;   in Loop: Header=BB258_551 Depth=1
	s_or_b32 exec_lo, exec_lo, s26
.LBB258_1038:                           ;   in Loop: Header=BB258_551 Depth=1
	s_or_b32 exec_lo, exec_lo, s22
	s_mov_b32 s22, exec_lo
	v_cmpx_lt_u32_e32 0xffffff, v7
	s_cbranch_execz .LBB258_1046
; %bb.1039:                             ;   in Loop: Header=BB258_551 Depth=1
	v_lshrrev_b32_e32 v1, 24, v7
	v_bfrev_b32_e32 v60, 1
	s_mov_b32 s26, exec_lo
	v_cmpx_ne_u32_e32 0x80, v1
	s_cbranch_execz .LBB258_1045
; %bb.1040:                             ;   in Loop: Header=BB258_551 Depth=1
	v_and_b32_e32 v63, 0x7f, v1
	v_mov_b32_e32 v60, 0x7c010000
	s_mov_b32 s27, exec_lo
	v_cmpx_ne_u32_e32 0x7f, v63
	s_cbranch_execz .LBB258_1044
; %bb.1041:                             ;   in Loop: Header=BB258_551 Depth=1
	v_and_b32_e32 v60, 7, v1
	v_lshrrev_b32_e32 v62, 3, v63
	s_mov_b32 s28, exec_lo
	v_cmpx_gt_u32_e32 8, v63
; %bb.1042:                             ;   in Loop: Header=BB258_551 Depth=1
	v_ffbh_u32_e32 v11, v60
	v_min_u32_e32 v60, 32, v11
	v_subrev_nc_u32_e32 v11, 28, v60
	v_sub_nc_u32_e32 v62, 29, v60
	v_lshlrev_b64 v[11:12], v11, v[1:2]
	v_and_b32_e32 v60, 7, v11
; %bb.1043:                             ;   in Loop: Header=BB258_551 Depth=1
	s_or_b32 exec_lo, exec_lo, s28
	v_lshlrev_b32_e32 v1, 8, v1
	v_lshl_add_u32 v11, v62, 10, 0x2000
	v_and_or_b32 v1, 0x8000, v1, v11
	v_lshlrev_b32_e32 v11, 23, v60
	v_lshl_or_b32 v60, v1, 16, v11
.LBB258_1044:                           ;   in Loop: Header=BB258_551 Depth=1
	s_or_b32 exec_lo, exec_lo, s27
.LBB258_1045:                           ;   in Loop: Header=BB258_551 Depth=1
	s_or_b32 exec_lo, exec_lo, s26
.LBB258_1046:                           ;   in Loop: Header=BB258_551 Depth=1
	s_or_b32 exec_lo, exec_lo, s22
	v_mov_b32_e32 v1, v8
	v_cmp_ne_u16_sdwa s1, v8, v2 src0_sel:BYTE_0 src1_sel:DWORD
	v_mov_b32_e32 v62, 0
	v_mov_b32_e32 v63, 0
	s_and_saveexec_b32 s22, s1
	s_cbranch_execz .LBB258_1054
; %bb.1047:                             ;   in Loop: Header=BB258_551 Depth=1
	v_cmp_ne_u16_sdwa s1, v8, v15 src0_sel:BYTE_0 src1_sel:DWORD
	v_mov_b32_e32 v63, 0x8000
	s_and_saveexec_b32 s26, s1
	s_cbranch_execz .LBB258_1053
; %bb.1048:                             ;   in Loop: Header=BB258_551 Depth=1
	v_and_b32_e32 v65, 0x7f, v8
	v_mov_b32_e32 v63, 0x7c01
	s_mov_b32 s27, exec_lo
	v_cmpx_ne_u32_e32 0x7f, v65
	s_cbranch_execz .LBB258_1052
; %bb.1049:                             ;   in Loop: Header=BB258_551 Depth=1
	v_and_b32_e32 v63, 7, v8
	v_lshrrev_b32_e32 v64, 3, v65
	s_mov_b32 s28, exec_lo
	v_cmpx_gt_u32_e32 8, v65
; %bb.1050:                             ;   in Loop: Header=BB258_551 Depth=1
	v_ffbh_u32_e32 v11, v63
	v_min_u32_e32 v63, 32, v11
	v_subrev_nc_u32_e32 v11, 28, v63
	v_sub_nc_u32_e32 v64, 29, v63
	v_lshlrev_b64 v[11:12], v11, v[1:2]
	v_and_b32_e32 v63, 7, v11
; %bb.1051:                             ;   in Loop: Header=BB258_551 Depth=1
	s_or_b32 exec_lo, exec_lo, s28
	v_lshlrev_b32_e32 v11, 8, v8
	v_lshl_add_u32 v12, v64, 10, 0x2000
	v_lshlrev_b32_e32 v63, 7, v63
	v_and_b32_e32 v11, 0x8000, v11
	v_and_b32_e32 v12, 0xfc00, v12
	v_or3_b32 v63, v11, v12, v63
.LBB258_1052:                           ;   in Loop: Header=BB258_551 Depth=1
	s_or_b32 exec_lo, exec_lo, s27
.LBB258_1053:                           ;   in Loop: Header=BB258_551 Depth=1
	s_or_b32 exec_lo, exec_lo, s26
.LBB258_1054:                           ;   in Loop: Header=BB258_551 Depth=1
	s_or_b32 exec_lo, exec_lo, s22
	v_lshrrev_b16 v1, 8, v1
	v_mov_b32_e32 v64, 0
	s_mov_b32 s22, exec_lo
	v_cmpx_ne_u16_e32 0, v1
	s_cbranch_execz .LBB258_1062
; %bb.1055:                             ;   in Loop: Header=BB258_551 Depth=1
	v_bfrev_b32_e32 v64, 1
	s_mov_b32 s26, exec_lo
	v_cmpx_ne_u16_e32 0x80, v1
	s_cbranch_execz .LBB258_1061
; %bb.1056:                             ;   in Loop: Header=BB258_551 Depth=1
	v_and_b32_sdwa v66, v1, v27 dst_sel:DWORD dst_unused:UNUSED_PAD src0_sel:WORD_0 src1_sel:DWORD
	v_mov_b32_e32 v64, 0x7c010000
	s_mov_b32 s27, exec_lo
	v_cmpx_ne_u32_e32 0x7f, v66
	s_cbranch_execz .LBB258_1060
; %bb.1057:                             ;   in Loop: Header=BB258_551 Depth=1
	v_and_b32_sdwa v64, v1, v28 dst_sel:DWORD dst_unused:UNUSED_PAD src0_sel:WORD_0 src1_sel:DWORD
	v_lshrrev_b32_e32 v65, 3, v66
	s_mov_b32 s28, exec_lo
	v_cmpx_gt_u32_e32 8, v66
; %bb.1058:                             ;   in Loop: Header=BB258_551 Depth=1
	v_ffbh_u32_e32 v11, v64
	v_min_u32_e32 v64, 32, v11
	v_subrev_nc_u32_e32 v11, 28, v64
	v_sub_nc_u32_e32 v65, 29, v64
	v_lshlrev_b64 v[11:12], v11, v[1:2]
	v_and_b32_e32 v64, 7, v11
; %bb.1059:                             ;   in Loop: Header=BB258_551 Depth=1
	s_or_b32 exec_lo, exec_lo, s28
	v_lshlrev_b32_sdwa v1, v29, v1 dst_sel:DWORD dst_unused:UNUSED_PAD src0_sel:DWORD src1_sel:WORD_0
	v_lshl_add_u32 v11, v65, 10, 0x2000
	v_and_or_b32 v1, 0x8000, v1, v11
	v_lshlrev_b32_e32 v11, 23, v64
	v_lshl_or_b32 v64, v1, 16, v11
.LBB258_1060:                           ;   in Loop: Header=BB258_551 Depth=1
	s_or_b32 exec_lo, exec_lo, s27
.LBB258_1061:                           ;   in Loop: Header=BB258_551 Depth=1
	s_or_b32 exec_lo, exec_lo, s26
.LBB258_1062:                           ;   in Loop: Header=BB258_551 Depth=1
	s_or_b32 exec_lo, exec_lo, s22
	v_lshrrev_b32_e32 v1, 16, v8
	v_cmp_ne_u16_sdwa s1, v1, v2 src0_sel:BYTE_0 src1_sel:DWORD
	s_and_saveexec_b32 s22, s1
	s_cbranch_execz .LBB258_1070
; %bb.1063:                             ;   in Loop: Header=BB258_551 Depth=1
	v_cmp_ne_u16_sdwa s1, v1, v15 src0_sel:BYTE_0 src1_sel:DWORD
	v_mov_b32_e32 v62, 0x8000
	s_and_saveexec_b32 s26, s1
	s_cbranch_execz .LBB258_1069
; %bb.1064:                             ;   in Loop: Header=BB258_551 Depth=1
	v_bfe_u32 v66, v8, 16, 7
	v_mov_b32_e32 v62, 0x7c01
	s_mov_b32 s27, exec_lo
	v_cmpx_ne_u32_e32 0x7f, v66
	s_cbranch_execz .LBB258_1068
; %bb.1065:                             ;   in Loop: Header=BB258_551 Depth=1
	v_and_b32_e32 v62, 7, v1
	v_lshrrev_b32_e32 v65, 3, v66
	s_mov_b32 s28, exec_lo
	v_cmpx_gt_u32_e32 8, v66
; %bb.1066:                             ;   in Loop: Header=BB258_551 Depth=1
	v_ffbh_u32_e32 v11, v62
	v_min_u32_e32 v62, 32, v11
	v_subrev_nc_u32_e32 v11, 28, v62
	v_sub_nc_u32_e32 v65, 29, v62
	v_lshlrev_b64 v[11:12], v11, v[1:2]
	v_and_b32_e32 v62, 7, v11
; %bb.1067:                             ;   in Loop: Header=BB258_551 Depth=1
	s_or_b32 exec_lo, exec_lo, s28
	v_lshlrev_b32_e32 v1, 8, v1
	v_lshl_add_u32 v11, v65, 10, 0x2000
	v_lshlrev_b32_e32 v12, 7, v62
	v_and_b32_e32 v1, 0x8000, v1
	v_and_b32_e32 v11, 0xfc00, v11
	v_or3_b32 v62, v1, v11, v12
.LBB258_1068:                           ;   in Loop: Header=BB258_551 Depth=1
	s_or_b32 exec_lo, exec_lo, s27
.LBB258_1069:                           ;   in Loop: Header=BB258_551 Depth=1
	s_or_b32 exec_lo, exec_lo, s26
.LBB258_1070:                           ;   in Loop: Header=BB258_551 Depth=1
	s_or_b32 exec_lo, exec_lo, s22
	v_cmp_lt_u64_e64 s1, s[2:3], v[7:8]
	v_mov_b32_e32 v7, 0
	s_and_saveexec_b32 s22, s1
	s_cbranch_execz .LBB258_1078
; %bb.1071:                             ;   in Loop: Header=BB258_551 Depth=1
	v_lshrrev_b32_e32 v1, 24, v8
	v_bfrev_b32_e32 v7, 1
	s_mov_b32 s26, exec_lo
	v_cmpx_ne_u32_e32 0x80, v1
	s_cbranch_execz .LBB258_1077
; %bb.1072:                             ;   in Loop: Header=BB258_551 Depth=1
	v_and_b32_e32 v65, 0x7f, v1
	v_mov_b32_e32 v7, 0x7c010000
	s_mov_b32 s27, exec_lo
	v_cmpx_ne_u32_e32 0x7f, v65
	s_cbranch_execz .LBB258_1076
; %bb.1073:                             ;   in Loop: Header=BB258_551 Depth=1
	v_and_b32_e32 v7, 7, v1
	v_lshrrev_b32_e32 v8, 3, v65
	s_mov_b32 s28, exec_lo
	v_cmpx_gt_u32_e32 8, v65
; %bb.1074:                             ;   in Loop: Header=BB258_551 Depth=1
	v_ffbh_u32_e32 v7, v7
	v_min_u32_e32 v11, 32, v7
	v_subrev_nc_u32_e32 v7, 28, v11
	v_lshlrev_b64 v[7:8], v7, v[1:2]
	v_sub_nc_u32_e32 v8, 29, v11
	v_and_b32_e32 v7, 7, v7
; %bb.1075:                             ;   in Loop: Header=BB258_551 Depth=1
	s_or_b32 exec_lo, exec_lo, s28
	v_lshlrev_b32_e32 v1, 8, v1
	v_lshl_add_u32 v8, v8, 10, 0x2000
	v_lshlrev_b32_e32 v7, 23, v7
	v_and_or_b32 v1, 0x8000, v1, v8
	v_lshl_or_b32 v7, v1, 16, v7
.LBB258_1076:                           ;   in Loop: Header=BB258_551 Depth=1
	s_or_b32 exec_lo, exec_lo, s27
.LBB258_1077:                           ;   in Loop: Header=BB258_551 Depth=1
	s_or_b32 exec_lo, exec_lo, s26
.LBB258_1078:                           ;   in Loop: Header=BB258_551 Depth=1
	s_or_b32 exec_lo, exec_lo, s22
	v_or_b32_e32 v1, v60, v61
	s_waitcnt vmcnt(0)
	v_fma_mixlo_f16 v8, v57, v60, 0 op_sel:[0,1,0] op_sel_hi:[0,1,0]
	v_or_b32_e32 v11, v58, v59
	v_fma_mixlo_f16 v12, v57, v58, 0 op_sel:[0,1,0] op_sel_hi:[0,1,0]
	v_or_b32_e32 v59, v64, v63
	v_fma_mixlo_f16 v1, v57, v1, 0 op_sel_hi:[0,1,0]
	v_or_b32_e32 v61, v7, v62
	v_lshlrev_b32_e32 v58, 16, v8
	v_lshlrev_b32_e32 v63, 16, v12
	v_fma_mixlo_f16 v8, v57, v11, 0 op_sel_hi:[0,1,0]
	v_and_b32_e32 v60, 0xffff, v1
	v_fma_mixlo_f16 v1, v57, v64, 0 op_sel:[0,1,0] op_sel_hi:[0,1,0]
	v_fma_mixlo_f16 v11, v57, v59, 0 op_sel_hi:[0,1,0]
	v_fma_mixlo_f16 v7, v57, v7, 0 op_sel:[0,1,0] op_sel_hi:[0,1,0]
	v_fma_mixlo_f16 v12, v57, v61, 0 op_sel_hi:[0,1,0]
	v_and_b32_e32 v65, 0xffff, v8
	v_lshlrev_b32_e32 v61, 16, v1
	v_and_b32_e32 v64, 0xffff, v11
	v_lshlrev_b32_e32 v59, 16, v7
	v_and_b32_e32 v62, 0xffff, v12
	v_or_b32_e32 v8, v58, v60
	v_or_b32_e32 v57, v63, v65
	;; [unrolled: 1-line block ×4, first 2 shown]
	s_and_saveexec_b32 s1, vcc_lo
	s_cbranch_execz .LBB258_549
; %bb.1079:                             ;   in Loop: Header=BB258_551 Depth=1
	v_cmp_gt_i32_e32 vcc_lo, s33, v33
	v_cndmask_b32_e32 v1, 0, v65, vcc_lo
	v_cmp_gt_i32_e32 vcc_lo, s33, v41
	v_cndmask_b32_e32 v7, 0, v63, vcc_lo
	v_cmp_gt_i32_e32 vcc_lo, s33, v39
	v_or_b32_e32 v57, v7, v1
	v_cndmask_b32_e32 v8, 0, v60, vcc_lo
	v_cmp_gt_i32_e32 vcc_lo, s33, v38
	v_cndmask_b32_e32 v11, 0, v58, vcc_lo
	v_cmp_gt_i32_e32 vcc_lo, s33, v37
	v_or_b32_e32 v8, v11, v8
	;; [unrolled: 5-line block ×3, first 2 shown]
	v_cndmask_b32_e32 v35, 0, v62, vcc_lo
	v_cmp_gt_i32_e32 vcc_lo, s33, v34
	v_cndmask_b32_e32 v34, 0, v59, vcc_lo
	v_or_b32_e32 v1, v34, v35
	s_branch .LBB258_549
.LBB258_1080:
	s_or_b32 exec_lo, exec_lo, s18
	v_mov_b32_e32 v27, v67
.LBB258_1081:
	s_or_b32 exec_lo, exec_lo, s4
	ds_bpermute_b32 v1, v16, v25
	ds_bpermute_b32 v2, v16, v24
	;; [unrolled: 1-line block ×8, first 2 shown]
	v_lshrrev_b32_e32 v9, 1, v17
	v_lshlrev_b32_e32 v13, 9, v13
	v_and_b32_e32 v16, 0x3c1, v0
	s_mov_b32 s1, exec_lo
	s_waitcnt lgkmcnt(0)
	v_lshl_add_u32 v10, v9, 2, 0x120
	s_barrier
	buffer_gl0_inv
	v_add_f32_e32 v8, v25, v1
	v_add_f32_e32 v7, v24, v2
	;; [unrolled: 1-line block ×8, first 2 shown]
	v_cmpx_eq_u32_e32 64, v16
	s_cbranch_execz .LBB258_1083
; %bb.1082:
	v_add_nc_u32_e32 v11, v10, v13
	v_add_nc_u32_e32 v12, 0xfffffc00, v11
	;; [unrolled: 1-line block ×9, first 2 shown]
	ds_write_b32 v12, v8
	ds_write_b32 v14, v7
	;; [unrolled: 1-line block ×8, first 2 shown]
.LBB258_1083:
	s_or_b32 exec_lo, exec_lo, s1
	v_lshlrev_b32_e32 v9, 2, v9
	s_mov_b32 s2, exec_lo
	v_cmp_eq_u32_e32 vcc_lo, 0, v27
	s_waitcnt lgkmcnt(0)
	s_barrier
	v_add3_u32 v9, 0x120, v13, v9
	buffer_gl0_inv
	v_cmpx_gt_u32_e32 64, v0
	s_cbranch_execz .LBB258_1094
; %bb.1084:
	s_and_saveexec_b32 s1, vcc_lo
	s_cbranch_execnz .LBB258_1110
; %bb.1085:
	s_or_b32 exec_lo, exec_lo, s1
	s_and_saveexec_b32 s1, vcc_lo
	s_cbranch_execnz .LBB258_1111
.LBB258_1086:
	s_or_b32 exec_lo, exec_lo, s1
	s_and_saveexec_b32 s1, vcc_lo
	s_cbranch_execnz .LBB258_1112
.LBB258_1087:
	s_or_b32 exec_lo, exec_lo, s1
	s_and_saveexec_b32 s1, vcc_lo
	s_cbranch_execnz .LBB258_1113
.LBB258_1088:
	s_or_b32 exec_lo, exec_lo, s1
	s_and_saveexec_b32 s1, vcc_lo
	s_cbranch_execnz .LBB258_1114
.LBB258_1089:
	s_or_b32 exec_lo, exec_lo, s1
	s_and_saveexec_b32 s1, vcc_lo
	s_cbranch_execnz .LBB258_1115
.LBB258_1090:
	s_or_b32 exec_lo, exec_lo, s1
	s_and_saveexec_b32 s1, vcc_lo
	s_cbranch_execnz .LBB258_1116
.LBB258_1091:
	s_or_b32 exec_lo, exec_lo, s1
	s_and_saveexec_b32 s1, vcc_lo
	s_cbranch_execz .LBB258_1093
.LBB258_1092:
	ds_read_b32 v11, v9 offset:448
	s_waitcnt lgkmcnt(0)
	v_add_f32_e32 v1, v1, v11
.LBB258_1093:
	s_or_b32 exec_lo, exec_lo, s1
.LBB258_1094:
	s_or_b32 exec_lo, exec_lo, s2
	v_and_b32_e32 v0, 0x3e1, v0
	s_mov_b32 s2, exec_lo
	s_barrier
	buffer_gl0_inv
	v_cmpx_eq_u32_e32 32, v0
	s_cbranch_execz .LBB258_1096
; %bb.1095:
	ds_write2_b32 v10, v8, v7 offset1:16
	ds_write2_b32 v10, v6, v5 offset0:32 offset1:48
	ds_write2_b32 v10, v4, v3 offset0:64 offset1:80
	;; [unrolled: 1-line block ×3, first 2 shown]
.LBB258_1096:
	s_or_b32 exec_lo, exec_lo, s2
	s_waitcnt lgkmcnt(0)
	s_barrier
	buffer_gl0_inv
	s_and_saveexec_b32 s1, s0
	s_cbranch_execz .LBB258_1107
; %bb.1097:
	s_and_saveexec_b32 s0, vcc_lo
	s_cbranch_execnz .LBB258_1117
; %bb.1098:
	s_or_b32 exec_lo, exec_lo, s0
	s_and_saveexec_b32 s0, vcc_lo
	s_cbranch_execnz .LBB258_1118
.LBB258_1099:
	s_or_b32 exec_lo, exec_lo, s0
	s_and_saveexec_b32 s0, vcc_lo
	s_cbranch_execnz .LBB258_1119
.LBB258_1100:
	s_or_b32 exec_lo, exec_lo, s0
	s_and_saveexec_b32 s0, vcc_lo
	s_cbranch_execnz .LBB258_1120
.LBB258_1101:
	s_or_b32 exec_lo, exec_lo, s0
	s_and_saveexec_b32 s0, vcc_lo
	s_cbranch_execnz .LBB258_1121
.LBB258_1102:
	s_or_b32 exec_lo, exec_lo, s0
	s_and_saveexec_b32 s0, vcc_lo
	s_cbranch_execnz .LBB258_1122
.LBB258_1103:
	s_or_b32 exec_lo, exec_lo, s0
	s_and_saveexec_b32 s0, vcc_lo
	s_cbranch_execnz .LBB258_1123
.LBB258_1104:
	s_or_b32 exec_lo, exec_lo, s0
	s_and_saveexec_b32 s0, vcc_lo
	s_cbranch_execz .LBB258_1106
.LBB258_1105:
	ds_read_b32 v9, v9 offset:448
	s_waitcnt lgkmcnt(0)
	v_add_f32_e32 v1, v1, v9
.LBB258_1106:
	s_or_b32 exec_lo, exec_lo, s0
.LBB258_1107:
	s_or_b32 exec_lo, exec_lo, s1
	s_barrier
	buffer_gl0_inv
	s_mov_b32 s0, exec_lo
	v_cmpx_eq_u32_e32 0, v0
	s_cbranch_execz .LBB258_1109
; %bb.1108:
	buffer_load_dword v0, off, s[48:51], 0  ; 4-byte Folded Reload
	s_mul_i32 s0, s10, s11
	s_mul_i32 s2, s11, s24
	;; [unrolled: 1-line block ×3, first 2 shown]
	;;#ASMSTART
	v_cvt_f16_f32 v8, v8;

	;;#ASMEND
	s_lshl_b32 s0, s0, 7
	s_ashr_i32 s1, s0, 31
	s_lshl_b64 s[0:1], s[0:1], 1
	s_add_u32 s4, s6, s0
	s_addc_u32 s5, s7, s1
	s_ashr_i32 s3, s2, 31
	s_lshl_b64 s[0:1], s[2:3], 1
	s_add_u32 s2, s4, s0
	s_addc_u32 s3, s5, s1
	s_lshl_b32 s0, s8, 7
	s_ashr_i32 s1, s0, 31
	s_lshl_b64 s[0:1], s[0:1], 1
	s_add_u32 s0, s2, s0
	s_addc_u32 s1, s3, s1
	s_waitcnt vmcnt(0)
	v_lshlrev_b32_e32 v0, 1, v0
	global_store_short v0, v8, s[0:1]
	;;#ASMSTART
	v_cvt_f16_f32 v7, v7;

	;;#ASMEND
	global_store_short v0, v7, s[0:1] offset:32
	;;#ASMSTART
	v_cvt_f16_f32 v6, v6;

	;;#ASMEND
	global_store_short v0, v6, s[0:1] offset:64
	;; [unrolled: 5-line block ×7, first 2 shown]
.LBB258_1109:
	s_endpgm
.LBB258_1110:
	ds_read_b32 v11, v9
	s_waitcnt lgkmcnt(0)
	v_add_f32_e32 v8, v8, v11
	s_or_b32 exec_lo, exec_lo, s1
	s_and_saveexec_b32 s1, vcc_lo
	s_cbranch_execz .LBB258_1086
.LBB258_1111:
	ds_read_b32 v11, v9 offset:64
	s_waitcnt lgkmcnt(0)
	v_add_f32_e32 v7, v7, v11
	s_or_b32 exec_lo, exec_lo, s1
	s_and_saveexec_b32 s1, vcc_lo
	s_cbranch_execz .LBB258_1087
.LBB258_1112:
	ds_read_b32 v11, v9 offset:128
	s_waitcnt lgkmcnt(0)
	v_add_f32_e32 v6, v6, v11
	s_or_b32 exec_lo, exec_lo, s1
	s_and_saveexec_b32 s1, vcc_lo
	s_cbranch_execz .LBB258_1088
.LBB258_1113:
	ds_read_b32 v11, v9 offset:192
	s_waitcnt lgkmcnt(0)
	v_add_f32_e32 v5, v5, v11
	s_or_b32 exec_lo, exec_lo, s1
	s_and_saveexec_b32 s1, vcc_lo
	s_cbranch_execz .LBB258_1089
.LBB258_1114:
	ds_read_b32 v11, v9 offset:256
	s_waitcnt lgkmcnt(0)
	v_add_f32_e32 v4, v4, v11
	s_or_b32 exec_lo, exec_lo, s1
	s_and_saveexec_b32 s1, vcc_lo
	s_cbranch_execz .LBB258_1090
.LBB258_1115:
	ds_read_b32 v11, v9 offset:320
	s_waitcnt lgkmcnt(0)
	v_add_f32_e32 v3, v3, v11
	s_or_b32 exec_lo, exec_lo, s1
	s_and_saveexec_b32 s1, vcc_lo
	s_cbranch_execz .LBB258_1091
.LBB258_1116:
	ds_read_b32 v11, v9 offset:384
	s_waitcnt lgkmcnt(0)
	v_add_f32_e32 v2, v2, v11
	s_or_b32 exec_lo, exec_lo, s1
	s_and_saveexec_b32 s1, vcc_lo
	s_cbranch_execnz .LBB258_1092
	s_branch .LBB258_1093
.LBB258_1117:
	ds_read_b32 v10, v9
	s_waitcnt lgkmcnt(0)
	v_add_f32_e32 v8, v8, v10
	s_or_b32 exec_lo, exec_lo, s0
	s_and_saveexec_b32 s0, vcc_lo
	s_cbranch_execz .LBB258_1099
.LBB258_1118:
	ds_read_b32 v10, v9 offset:64
	s_waitcnt lgkmcnt(0)
	v_add_f32_e32 v7, v7, v10
	s_or_b32 exec_lo, exec_lo, s0
	s_and_saveexec_b32 s0, vcc_lo
	s_cbranch_execz .LBB258_1100
.LBB258_1119:
	ds_read_b32 v10, v9 offset:128
	s_waitcnt lgkmcnt(0)
	v_add_f32_e32 v6, v6, v10
	s_or_b32 exec_lo, exec_lo, s0
	s_and_saveexec_b32 s0, vcc_lo
	s_cbranch_execz .LBB258_1101
.LBB258_1120:
	ds_read_b32 v10, v9 offset:192
	s_waitcnt lgkmcnt(0)
	v_add_f32_e32 v5, v5, v10
	s_or_b32 exec_lo, exec_lo, s0
	s_and_saveexec_b32 s0, vcc_lo
	s_cbranch_execz .LBB258_1102
.LBB258_1121:
	ds_read_b32 v10, v9 offset:256
	s_waitcnt lgkmcnt(0)
	v_add_f32_e32 v4, v4, v10
	s_or_b32 exec_lo, exec_lo, s0
	s_and_saveexec_b32 s0, vcc_lo
	s_cbranch_execz .LBB258_1103
.LBB258_1122:
	ds_read_b32 v10, v9 offset:320
	s_waitcnt lgkmcnt(0)
	v_add_f32_e32 v3, v3, v10
	s_or_b32 exec_lo, exec_lo, s0
	s_and_saveexec_b32 s0, vcc_lo
	s_cbranch_execz .LBB258_1104
.LBB258_1123:
	ds_read_b32 v10, v9 offset:384
	s_waitcnt lgkmcnt(0)
	v_add_f32_e32 v2, v2, v10
	s_or_b32 exec_lo, exec_lo, s0
	s_and_saveexec_b32 s0, vcc_lo
	s_cbranch_execnz .LBB258_1105
	s_branch .LBB258_1106
	.section	.rodata,"a",@progbits
	.p2align	6, 0x0
	.amdhsa_kernel _ZN4vllm25paged_attention_v1_kernelIthLi128ELi16ELi128ELNS_18Fp8KVCacheDataTypeE1ELb1EEEvPT_PKS2_PKT0_S8_ifPKiSA_iPKfiiiSC_SC_iiiii
		.amdhsa_group_segment_fixed_size 288
		.amdhsa_private_segment_fixed_size 8
		.amdhsa_kernarg_size 384
		.amdhsa_user_sgpr_count 6
		.amdhsa_user_sgpr_private_segment_buffer 1
		.amdhsa_user_sgpr_dispatch_ptr 0
		.amdhsa_user_sgpr_queue_ptr 0
		.amdhsa_user_sgpr_kernarg_segment_ptr 1
		.amdhsa_user_sgpr_dispatch_id 0
		.amdhsa_user_sgpr_flat_scratch_init 0
		.amdhsa_user_sgpr_private_segment_size 0
		.amdhsa_wavefront_size32 1
		.amdhsa_uses_dynamic_stack 0
		.amdhsa_system_sgpr_private_segment_wavefront_offset 1
		.amdhsa_system_sgpr_workgroup_id_x 1
		.amdhsa_system_sgpr_workgroup_id_y 1
		.amdhsa_system_sgpr_workgroup_id_z 1
		.amdhsa_system_sgpr_workgroup_info 0
		.amdhsa_system_vgpr_workitem_id 0
		.amdhsa_next_free_vgpr 128
		.amdhsa_next_free_sgpr 52
		.amdhsa_reserve_vcc 1
		.amdhsa_reserve_flat_scratch 0
		.amdhsa_float_round_mode_32 0
		.amdhsa_float_round_mode_16_64 0
		.amdhsa_float_denorm_mode_32 3
		.amdhsa_float_denorm_mode_16_64 3
		.amdhsa_dx10_clamp 1
		.amdhsa_ieee_mode 1
		.amdhsa_fp16_overflow 0
		.amdhsa_workgroup_processor_mode 1
		.amdhsa_memory_ordered 1
		.amdhsa_forward_progress 1
		.amdhsa_shared_vgpr_count 0
		.amdhsa_exception_fp_ieee_invalid_op 0
		.amdhsa_exception_fp_denorm_src 0
		.amdhsa_exception_fp_ieee_div_zero 0
		.amdhsa_exception_fp_ieee_overflow 0
		.amdhsa_exception_fp_ieee_underflow 0
		.amdhsa_exception_fp_ieee_inexact 0
		.amdhsa_exception_int_div_zero 0
	.end_amdhsa_kernel
	.section	.text._ZN4vllm25paged_attention_v1_kernelIthLi128ELi16ELi128ELNS_18Fp8KVCacheDataTypeE1ELb1EEEvPT_PKS2_PKT0_S8_ifPKiSA_iPKfiiiSC_SC_iiiii,"axG",@progbits,_ZN4vllm25paged_attention_v1_kernelIthLi128ELi16ELi128ELNS_18Fp8KVCacheDataTypeE1ELb1EEEvPT_PKS2_PKT0_S8_ifPKiSA_iPKfiiiSC_SC_iiiii,comdat
.Lfunc_end258:
	.size	_ZN4vllm25paged_attention_v1_kernelIthLi128ELi16ELi128ELNS_18Fp8KVCacheDataTypeE1ELb1EEEvPT_PKS2_PKT0_S8_ifPKiSA_iPKfiiiSC_SC_iiiii, .Lfunc_end258-_ZN4vllm25paged_attention_v1_kernelIthLi128ELi16ELi128ELNS_18Fp8KVCacheDataTypeE1ELb1EEEvPT_PKS2_PKT0_S8_ifPKiSA_iPKfiiiSC_SC_iiiii
                                        ; -- End function
	.set _ZN4vllm25paged_attention_v1_kernelIthLi128ELi16ELi128ELNS_18Fp8KVCacheDataTypeE1ELb1EEEvPT_PKS2_PKT0_S8_ifPKiSA_iPKfiiiSC_SC_iiiii.num_vgpr, 128
	.set _ZN4vllm25paged_attention_v1_kernelIthLi128ELi16ELi128ELNS_18Fp8KVCacheDataTypeE1ELb1EEEvPT_PKS2_PKT0_S8_ifPKiSA_iPKfiiiSC_SC_iiiii.num_agpr, 0
	.set _ZN4vllm25paged_attention_v1_kernelIthLi128ELi16ELi128ELNS_18Fp8KVCacheDataTypeE1ELb1EEEvPT_PKS2_PKT0_S8_ifPKiSA_iPKfiiiSC_SC_iiiii.numbered_sgpr, 52
	.set _ZN4vllm25paged_attention_v1_kernelIthLi128ELi16ELi128ELNS_18Fp8KVCacheDataTypeE1ELb1EEEvPT_PKS2_PKT0_S8_ifPKiSA_iPKfiiiSC_SC_iiiii.num_named_barrier, 0
	.set _ZN4vllm25paged_attention_v1_kernelIthLi128ELi16ELi128ELNS_18Fp8KVCacheDataTypeE1ELb1EEEvPT_PKS2_PKT0_S8_ifPKiSA_iPKfiiiSC_SC_iiiii.private_seg_size, 8
	.set _ZN4vllm25paged_attention_v1_kernelIthLi128ELi16ELi128ELNS_18Fp8KVCacheDataTypeE1ELb1EEEvPT_PKS2_PKT0_S8_ifPKiSA_iPKfiiiSC_SC_iiiii.uses_vcc, 1
	.set _ZN4vllm25paged_attention_v1_kernelIthLi128ELi16ELi128ELNS_18Fp8KVCacheDataTypeE1ELb1EEEvPT_PKS2_PKT0_S8_ifPKiSA_iPKfiiiSC_SC_iiiii.uses_flat_scratch, 0
	.set _ZN4vllm25paged_attention_v1_kernelIthLi128ELi16ELi128ELNS_18Fp8KVCacheDataTypeE1ELb1EEEvPT_PKS2_PKT0_S8_ifPKiSA_iPKfiiiSC_SC_iiiii.has_dyn_sized_stack, 0
	.set _ZN4vllm25paged_attention_v1_kernelIthLi128ELi16ELi128ELNS_18Fp8KVCacheDataTypeE1ELb1EEEvPT_PKS2_PKT0_S8_ifPKiSA_iPKfiiiSC_SC_iiiii.has_recursion, 0
	.set _ZN4vllm25paged_attention_v1_kernelIthLi128ELi16ELi128ELNS_18Fp8KVCacheDataTypeE1ELb1EEEvPT_PKS2_PKT0_S8_ifPKiSA_iPKfiiiSC_SC_iiiii.has_indirect_call, 0
	.section	.AMDGPU.csdata,"",@progbits
; Kernel info:
; codeLenInByte = 36680
; TotalNumSgprs: 54
; NumVgprs: 128
; ScratchSize: 8
; MemoryBound: 0
; FloatMode: 240
; IeeeMode: 1
; LDSByteSize: 288 bytes/workgroup (compile time only)
; SGPRBlocks: 0
; VGPRBlocks: 15
; NumSGPRsForWavesPerEU: 54
; NumVGPRsForWavesPerEU: 128
; Occupancy: 8
; WaveLimiterHint : 1
; COMPUTE_PGM_RSRC2:SCRATCH_EN: 1
; COMPUTE_PGM_RSRC2:USER_SGPR: 6
; COMPUTE_PGM_RSRC2:TRAP_HANDLER: 0
; COMPUTE_PGM_RSRC2:TGID_X_EN: 1
; COMPUTE_PGM_RSRC2:TGID_Y_EN: 1
; COMPUTE_PGM_RSRC2:TGID_Z_EN: 1
; COMPUTE_PGM_RSRC2:TIDIG_COMP_CNT: 0
	.text
	.p2align	2                               ; -- Begin function _ZN4vllm22paged_attention_kernelIthLi192ELi16ELi128ELNS_18Fp8KVCacheDataTypeE1ELb1ELi0EEEvPfS2_PT_PKS3_PKT0_S9_ifPKiSB_iPKfiiiSD_SD_iiiii
	.type	_ZN4vllm22paged_attention_kernelIthLi192ELi16ELi128ELNS_18Fp8KVCacheDataTypeE1ELb1ELi0EEEvPfS2_PT_PKS3_PKT0_S9_ifPKiSB_iPKfiiiSD_SD_iiiii,@function
_ZN4vllm22paged_attention_kernelIthLi192ELi16ELi128ELNS_18Fp8KVCacheDataTypeE1ELb1ELi0EEEvPfS2_PT_PKS3_PKT0_S9_ifPKiSB_iPKfiiiSD_SD_iiiii: ; @_ZN4vllm22paged_attention_kernelIthLi192ELi16ELi128ELNS_18Fp8KVCacheDataTypeE1ELb1ELi0EEEvPfS2_PT_PKS3_PKT0_S9_ifPKiSB_iPKfiiiSD_SD_iiiii
; %bb.0:
	s_waitcnt vmcnt(0) expcnt(0) lgkmcnt(0)
	buffer_store_dword v40, off, s[0:3], s32 offset:188 ; 4-byte Folded Spill
	buffer_store_dword v41, off, s[0:3], s32 offset:184 ; 4-byte Folded Spill
	;; [unrolled: 1-line block ×47, first 2 shown]
	buffer_store_dword v127, off, s[0:3], s32 ; 4-byte Folded Spill
	s_mov_b32 s10, s13
	s_ashr_i32 s11, s13, 31
	buffer_store_dword v20, off, s[0:3], s32 offset:204 ; 4-byte Folded Spill
	buffer_store_dword v21, off, s[0:3], s32 offset:208 ; 4-byte Folded Spill
	;; [unrolled: 1-line block ×4, first 2 shown]
	s_lshl_b64 s[4:5], s[10:11], 2
	buffer_store_dword v1, off, s[0:3], s32 offset:244 ; 4-byte Folded Spill
	buffer_store_dword v0, off, s[0:3], s32 offset:248 ; 4-byte Folded Spill
	v_add_co_u32 v0, vcc_lo, v12, s4
	v_add_co_ci_u32_e64 v1, null, s5, v13, vcc_lo
	s_clause 0x1
	s_load_dword s4, s[8:9], 0x10
	s_load_dword s5, s[8:9], 0x0
	v_mov_b32_e32 v29, v6
	flat_load_dword v32, v[0:1]
	v_sub_nc_u32_e32 v0, 0, v8
	v_mov_b32_e32 v18, v7
	s_mov_b32 s18, s15
	v_max_i32_e32 v0, v8, v0
	v_cvt_f32_u32_e32 v1, v0
	v_sub_nc_u32_e32 v6, 0, v0
	v_rcp_iflag_f32_e32 v1, v1
	s_waitcnt lgkmcnt(0)
	s_lshr_b32 s4, s4, 16
	s_cmp_lg_u32 s4, 0
	s_cselect_b32 s4, -1, 0
	s_cmp_lg_u32 s4, 0
	s_addc_u32 s11, s5, 0
	v_mul_f32_e32 v1, 0x4f7ffffe, v1
	s_abs_i32 s4, s11
	s_mov_b32 s5, exec_lo
	v_cvt_u32_f32_e32 v1, v1
	v_mul_lo_u32 v6, v6, v1
	v_mul_hi_u32 v6, v1, v6
	v_add_nc_u32_e32 v1, v1, v6
	v_mul_hi_u32 v1, s4, v1
	v_mul_lo_u32 v6, v1, v0
	v_add_nc_u32_e32 v7, 1, v1
	v_sub_nc_u32_e32 v6, s4, v6
	s_abs_i32 s4, s12
	v_sub_nc_u32_e32 v9, v6, v0
	v_cmp_ge_u32_e32 vcc_lo, v6, v0
	v_cndmask_b32_e32 v1, v1, v7, vcc_lo
	v_cndmask_b32_e32 v6, v6, v9, vcc_lo
	v_xor_b32_e32 v7, s11, v8
	v_add_nc_u32_e32 v9, 1, v1
	v_cmp_ge_u32_e32 vcc_lo, v6, v0
	v_ashrrev_i32_e32 v7, 31, v7
	v_cndmask_b32_e32 v0, v1, v9, vcc_lo
	v_xor_b32_e32 v0, v0, v7
	v_sub_nc_u32_e32 v1, v0, v7
	v_sub_nc_u32_e32 v0, 0, v1
	v_max_i32_e32 v0, v1, v0
	v_cvt_f32_u32_e32 v6, v0
	v_sub_nc_u32_e32 v7, 0, v0
	v_rcp_iflag_f32_e32 v6, v6
	v_mul_f32_e32 v6, 0x4f7ffffe, v6
	v_cvt_u32_f32_e32 v6, v6
	v_mul_lo_u32 v7, v7, v6
	v_mul_hi_u32 v7, v6, v7
	v_add_nc_u32_e32 v6, v6, v7
	v_mad_u64_u32 v[12:13], null, s4, v6, 0
	v_mov_b32_e32 v6, 0
	buffer_store_dword v6, off, s[0:3], s32 offset:224 ; 4-byte Folded Spill
	v_cmpx_ne_u64_e32 0, v[15:16]
	s_cbranch_execz .LBB259_2
; %bb.1:
	s_ashr_i32 s13, s12, 31
	s_lshl_b64 s[6:7], s[12:13], 2
	v_add_co_u32 v6, vcc_lo, v15, s6
	v_add_co_ci_u32_e64 v7, null, s7, v16, vcc_lo
	flat_load_dword v6, v[6:7]
	s_waitcnt vmcnt(0) lgkmcnt(0)
	buffer_store_dword v6, off, s[0:3], s32 offset:224 ; 4-byte Folded Spill
.LBB259_2:
	s_or_b32 exec_lo, exec_lo, s5
	v_and_b32_e32 v30, 0x3ff, v31
	v_ashrrev_i32_e32 v1, 31, v1
	v_bfe_u32 v6, v31, 1, 9
	v_and_b32_e32 v56, 1, v31
	s_ashr_i32 s5, s12, 31
	v_lshlrev_b32_e32 v31, 3, v30
	s_mul_i32 s16, s12, 0xc0
	s_mov_b32 s6, exec_lo
	buffer_store_dword v6, off, s[0:3], s32 offset:240 ; 4-byte Folded Spill
	v_cmpx_gt_u32_e32 48, v30
	s_cbranch_execz .LBB259_4
; %bb.3:
	v_mul_lo_u32 v6, v17, s10
	s_ashr_i32 s17, s16, 31
	s_lshl_b64 s[20:21], s[16:17], 1
	v_ashrrev_i32_e32 v7, 31, v6
	v_lshlrev_b64 v[6:7], 1, v[6:7]
	v_add_co_u32 v2, vcc_lo, v2, v6
	v_add_co_ci_u32_e64 v3, null, v3, v7, vcc_lo
	buffer_load_dword v6, off, s[0:3], s32 offset:240 ; 4-byte Folded Reload
	v_add_co_u32 v2, vcc_lo, v2, s20
	v_add_co_ci_u32_e64 v3, null, s21, v3, vcc_lo
	v_add_co_u32 v2, vcc_lo, v2, v31
	v_add_co_ci_u32_e64 v3, null, 0, v3, vcc_lo
	flat_load_dwordx2 v[2:3], v[2:3]
	s_waitcnt vmcnt(1)
	v_lshlrev_b32_e32 v6, 3, v6
	v_mad_u32_u24 v6, 0xc0, v56, v6
	s_waitcnt vmcnt(0) lgkmcnt(0)
	ds_write_b64 v6, v[2:3]
.LBB259_4:
	s_or_b32 exec_lo, exec_lo, s6
	v_sub_nc_u32_e32 v2, 0, v27
	v_mul_lo_u32 v3, v13, v0
	v_add_nc_u32_e32 v7, 1, v13
	v_xor_b32_e32 v1, s5, v1
	s_waitcnt vmcnt(0) lgkmcnt(0)
	s_waitcnt_vscnt null, 0x0
	v_max_i32_e32 v33, v27, v2
	s_barrier
	buffer_gl0_inv
	v_sub_nc_u32_e32 v6, s4, v3
	v_cvt_f32_u32_e32 v2, v33
	v_sub_nc_u32_e32 v3, 0, v33
	s_mov_b32 s4, exec_lo
	v_sub_nc_u32_e32 v9, v6, v0
	v_rcp_iflag_f32_e32 v2, v2
	v_cmp_ge_u32_e32 vcc_lo, v6, v0
	v_cndmask_b32_e32 v7, v13, v7, vcc_lo
	v_cndmask_b32_e32 v6, v6, v9, vcc_lo
	v_mul_f32_e32 v2, 0x4f7ffffe, v2
	v_add_nc_u32_e32 v9, 1, v7
	v_cmp_ge_u32_e32 vcc_lo, v6, v0
	v_cvt_u32_f32_e32 v2, v2
	v_cndmask_b32_e32 v6, v7, v9, vcc_lo
	v_mul_lo_u32 v12, v3, v2
	v_add_nc_u32_e32 v3, -1, v32
	v_mul_hi_u32 v13, v2, v12
	v_sub_nc_u32_e32 v12, 0, v3
	v_max_i32_e32 v0, v3, v12
	v_add_nc_u32_e32 v35, v2, v13
	v_xor_b32_e32 v2, v6, v1
	v_mad_u64_u32 v[12:13], null, v0, v35, 0
	v_sub_nc_u32_e32 v12, v2, v1
                                        ; implicit-def: $vgpr1
	buffer_store_dword v1, off, s[0:3], s32 offset:192 ; 4-byte Folded Spill
	buffer_store_dword v2, off, s[0:3], s32 offset:196 ; 4-byte Folded Spill
	v_cmpx_gt_i32_e32 0, v28
	s_xor_b32 s4, exec_lo, s4
	s_cbranch_execz .LBB259_6
; %bb.5:
	v_mad_u64_u32 v[1:2], null, v24, v8, v[12:13]
                                        ; implicit-def: $vgpr24
	v_mul_lo_u32 v1, v1, v28
                                        ; implicit-def: $vgpr28
	v_sub_nc_u32_e32 v1, 1, v1
	buffer_store_dword v1, off, s[0:3], s32 offset:192 ; 4-byte Folded Spill
	buffer_store_dword v2, off, s[0:3], s32 offset:196 ; 4-byte Folded Spill
.LBB259_6:
	s_or_saveexec_b32 s4, s4
	v_ashrrev_i32_e32 v1, 31, v3
	v_ashrrev_i32_e32 v36, 31, v27
	s_xor_b32 exec_lo, exec_lo, s4
	s_cbranch_execz .LBB259_8
; %bb.7:
	v_mad_u64_u32 v[2:3], null, s11, v24, s[12:13]
	v_mad_u64_u32 v[2:3], null, v2, v28, 1
	buffer_store_dword v2, off, s[0:3], s32 offset:192 ; 4-byte Folded Spill
	buffer_store_dword v3, off, s[0:3], s32 offset:196 ; 4-byte Folded Spill
.LBB259_8:
	s_or_b32 exec_lo, exec_lo, s4
	v_mul_lo_u32 v2, v13, v33
	v_add_nc_u32_e32 v3, 15, v32
	s_clause 0x1
	s_load_dword s13, s[8:9], 0x14
	s_load_dword s12, s[8:9], 0x8
	v_xor_b32_e32 v9, v1, v36
	v_mul_lo_u32 v34, v12, v19
	v_lshrrev_b32_e32 v83, 5, v30
	v_ashrrev_i32_e32 v8, 31, v3
	v_sub_nc_u32_e32 v39, 0, v26
	v_sub_nc_u32_e32 v2, v0, v2
	v_add_nc_u32_e32 v0, 1, v13
	v_lshrrev_b32_e32 v19, 3, v30
	v_lshrrev_b32_e32 v1, 28, v8
	v_mov_b32_e32 v8, 0xff7fffff
	v_cmp_ge_u32_e32 vcc_lo, v2, v33
	v_sub_nc_u32_e32 v7, v2, v33
	v_lshlrev_b32_e32 v37, 4, v83
	v_add_nc_u32_e32 v3, v3, v1
	v_ashrrev_i32_e32 v48, 31, v34
	v_cndmask_b32_e32 v6, v13, v0, vcc_lo
	v_cndmask_b32_e32 v2, v2, v7, vcc_lo
	v_mul_lo_u32 v0, v14, s10
	s_mov_b32 s15, exec_lo
	v_add_nc_u32_e32 v7, 1, v6
	v_cmp_ge_u32_e32 vcc_lo, v2, v33
	v_ashrrev_i32_e32 v1, 31, v0
	v_cndmask_b32_e32 v2, v6, v7, vcc_lo
	v_lshlrev_b64 v[70:71], 2, v[0:1]
	v_xor_b32_e32 v6, v2, v9
	v_ashrrev_i32_e32 v2, 4, v3
	v_sub_nc_u32_e32 v3, v6, v9
	v_cmp_ge_i32_e64 s4, v83, v2
	v_sub_nc_u32_e32 v38, v3, v25
	v_cmpx_lt_i32_e64 v83, v2
	s_cbranch_execz .LBB259_788
; %bb.9:
	v_add_co_u32 v1, s5, v4, v34
	buffer_store_dword v31, off, s[0:3], s32 offset:284 ; 4-byte Folded Spill
	buffer_store_dword v29, off, s[0:3], s32 offset:280 ; 4-byte Folded Spill
	;; [unrolled: 1-line block ×5, first 2 shown]
	v_add_co_ci_u32_e64 v3, null, v5, v48, s5
	buffer_load_dword v5, off, s[0:3], s32 offset:224 ; 4-byte Folded Reload
	v_bfe_u32 v9, v30, 1, 4
	s_ashr_i32 s19, s18, 31
	s_getpc_b64 s[6:7]
	s_add_u32 s6, s6, llvm.amdgcn.dynlds.offset.table@rel32@lo+4
	s_addc_u32 s7, s7, llvm.amdgcn.dynlds.offset.table@rel32@hi+12
	s_lshl_b64 s[8:9], s[18:19], 2
	buffer_store_dword v30, off, s[0:3], s32 offset:252 ; 4-byte Folded Spill
	buffer_store_dword v34, off, s[0:3], s32 offset:300 ; 4-byte Folded Spill
	;; [unrolled: 1-line block ×5, first 2 shown]
	s_add_u32 s8, s6, s8
	buffer_store_dword v9, off, s[0:3], s32 offset:232 ; 4-byte Folded Spill
	v_max_i32_e32 v53, v26, v39
	s_addc_u32 s9, s7, s9
	v_lshlrev_b32_e32 v7, 4, v9
	v_lshlrev_b32_e32 v55, 2, v56
	;; [unrolled: 1-line block ×3, first 2 shown]
	v_cvt_f32_u32_e32 v0, v53
	v_sub_nc_u32_e32 v6, 0, v53
	v_sub_nc_u32_e32 v9, v9, v32
	v_mov_b32_e32 v4, 0
	v_mul_u32_u24_e32 v64, 0xc0, v56
	v_rcp_iflag_f32_e32 v0, v0
	v_lshlrev_b32_e32 v65, 4, v83
	v_mov_b32_e32 v66, 0x80
	v_mov_b32_e32 v68, 0x7f
	v_or_b32_e32 v69, 8, v55
	s_mov_b32 s19, 0
	v_cmp_eq_u32_e32 vcc_lo, 0, v56
	v_mul_f32_e32 v0, 0x4f7ffffe, v0
	v_cvt_u32_f32_e32 v0, v0
	v_mul_lo_u32 v6, v6, v0
	v_mul_hi_u32 v6, v0, v6
	v_add_nc_u32_e32 v80, v0, v6
	v_mov_b32_e32 v0, 0xff7fffff
	s_waitcnt vmcnt(0)
	v_cmp_neq_f32_e64 s5, 0, v5
	v_and_b32_e32 v5, 0x7c, v19
	v_add_co_u32 v5, s6, v5, v70
	buffer_store_dword v70, off, s[0:3], s32 offset:288 ; 4-byte Folded Spill
	buffer_store_dword v71, off, s[0:3], s32 offset:292 ; 4-byte Folded Spill
	s_load_dword s17, s[8:9], 0x0
	v_lshl_or_b32 v70, v83, 6, v8
	v_add_co_ci_u32_e64 v12, null, 0, v71, s6
	v_add_co_u32 v13, s6, v1, v7
	v_add_co_ci_u32_e64 v14, null, 0, v3, s6
	v_add_co_u32 v16, s6, v10, v5
	v_add_nc_u32_e32 v1, 1, v9
	v_add_co_ci_u32_e64 v17, null, v11, v12, s6
	buffer_store_dword v13, off, s[0:3], s32 offset:216 ; 4-byte Folded Spill
	buffer_store_dword v14, off, s[0:3], s32 offset:220 ; 4-byte Folded Spill
	;; [unrolled: 1-line block ×7, first 2 shown]
	s_branch .LBB259_12
.LBB259_10:                             ;   in Loop: Header=BB259_12 Depth=1
	s_or_b32 exec_lo, exec_lo, s20
.LBB259_11:                             ;   in Loop: Header=BB259_12 Depth=1
	s_or_b32 exec_lo, exec_lo, s7
	v_add_nc_u32_e32 v83, 4, v83
	v_add_co_u32 v16, s7, v16, 16
	v_add_nc_u32_e32 v65, 64, v65
	v_add_nc_u32_e32 v70, 0x100, v70
	v_cmp_ge_i32_e64 s6, v83, v2
	v_add_co_ci_u32_e64 v17, null, 0, v17, s7
	s_or_b32 s19, s6, s19
	s_andn2_b32 exec_lo, exec_lo, s19
	s_cbranch_execz .LBB259_787
.LBB259_12:                             ; =>This Inner Loop Header: Depth=1
	v_mul_hi_u32 v0, v65, v35
	s_waitcnt lgkmcnt(0)
	v_mul_lo_u32 v1, v0, v33
	v_add_nc_u32_e32 v3, 1, v0
	v_sub_nc_u32_e32 v1, v65, v1
	v_sub_nc_u32_e32 v5, v1, v33
	v_cmp_ge_u32_e64 s6, v1, v33
	v_cndmask_b32_e64 v1, v1, v5, s6
	s_clause 0x1
	buffer_load_dword v5, off, s[0:3], s32 offset:192
	buffer_load_dword v6, off, s[0:3], s32 offset:196
	v_cndmask_b32_e64 v0, v0, v3, s6
	v_cmp_ge_u32_e64 s6, v1, v33
	v_add_nc_u32_e32 v3, 1, v0
	v_cndmask_b32_e64 v0, v0, v3, s6
	v_xor_b32_e32 v0, v0, v36
	v_sub_nc_u32_e32 v0, v0, v36
	v_cmp_le_i32_e64 s7, v0, v38
	s_waitcnt vmcnt(1)
	v_add_nc_u32_e32 v1, v0, v5
	v_sub_nc_u32_e32 v3, 0, v1
	v_max_i32_e32 v3, v1, v3
	v_ashrrev_i32_e32 v1, 31, v1
	v_mul_hi_u32 v5, v3, v80
	v_mul_lo_u32 v5, v5, v53
	v_sub_nc_u32_e32 v3, v3, v5
	v_sub_nc_u32_e32 v5, v3, v53
	v_cmp_ge_u32_e64 s6, v3, v53
	v_cndmask_b32_e64 v3, v3, v5, s6
	v_sub_nc_u32_e32 v5, v3, v53
	v_cmp_ge_u32_e64 s6, v3, v53
	v_cndmask_b32_e64 v3, v3, v5, s6
	v_xor_b32_e32 v3, v3, v1
	v_sub_nc_u32_e32 v1, v3, v1
	v_cmp_ne_u32_e64 s6, 0, v1
	s_and_b32 s6, s6, s7
	s_and_saveexec_b32 s7, s6
	s_xor_b32 s6, exec_lo, s7
	s_cbranch_execz .LBB259_16
; %bb.13:                               ;   in Loop: Header=BB259_12 Depth=1
	s_and_saveexec_b32 s7, vcc_lo
	s_cbranch_execz .LBB259_15
; %bb.14:                               ;   in Loop: Header=BB259_12 Depth=1
	s_waitcnt lgkmcnt(0)
	v_add_nc_u32_e32 v0, s17, v70
	v_mov_b32_e32 v1, 0xff7fffff
	ds_write_b32 v0, v1
.LBB259_15:                             ;   in Loop: Header=BB259_12 Depth=1
	s_or_b32 exec_lo, exec_lo, s7
.LBB259_16:                             ;   in Loop: Header=BB259_12 Depth=1
	s_andn2_saveexec_b32 s7, s6
	s_cbranch_execz .LBB259_11
; %bb.17:                               ;   in Loop: Header=BB259_12 Depth=1
	flat_load_dword v0, v[16:17]
	s_clause 0x2
	buffer_load_dword v1, off, s[0:3], s32 offset:200
	buffer_load_dword v5, off, s[0:3], s32 offset:216
	buffer_load_dword v6, off, s[0:3], s32 offset:220
	v_mov_b32_e32 v85, 0
	v_mov_b32_e32 v86, 0
	s_waitcnt vmcnt(0) lgkmcnt(0)
	v_mad_i64_i32 v[24:25], null, v0, v1, v[5:6]
	v_add_co_u32 v27, s6, v24, v55
	v_add_co_ci_u32_e64 v28, null, 0, v25, s6
	flat_load_dword v5, v[27:28]
	s_clause 0x1
	buffer_load_dword v0, off, s[0:3], s32 offset:204
	buffer_load_dword v1, off, s[0:3], s32 offset:208
	s_waitcnt vmcnt(2) lgkmcnt(0)
	v_cmp_ne_u16_sdwa s6, v5, v4 src0_sel:BYTE_0 src1_sel:DWORD
	s_waitcnt vmcnt(0)
	flat_load_dword v84, v[0:1]
	s_and_saveexec_b32 s20, s6
	s_cbranch_execz .LBB259_25
; %bb.18:                               ;   in Loop: Header=BB259_12 Depth=1
	v_cmp_ne_u16_sdwa s6, v5, v66 src0_sel:BYTE_0 src1_sel:DWORD
	v_mov_b32_e32 v86, 0x8000
	s_and_saveexec_b32 s21, s6
	s_cbranch_execz .LBB259_24
; %bb.19:                               ;   in Loop: Header=BB259_12 Depth=1
	v_and_b32_e32 v3, 0x7f, v5
	v_mov_b32_e32 v86, 0x7c01
	s_mov_b32 s22, exec_lo
	v_cmpx_ne_u32_e32 0x7f, v3
	s_cbranch_execz .LBB259_23
; %bb.20:                               ;   in Loop: Header=BB259_12 Depth=1
	v_and_b32_e32 v0, 7, v5
	v_lshrrev_b32_e32 v1, 3, v3
	s_mov_b32 s23, exec_lo
	v_cmpx_gt_u32_e32 8, v3
; %bb.21:                               ;   in Loop: Header=BB259_12 Depth=1
	v_ffbh_u32_e32 v0, v0
	v_min_u32_e32 v3, 32, v0
	v_subrev_nc_u32_e32 v0, 28, v3
	v_lshlrev_b64 v[0:1], v0, v[5:6]
	v_sub_nc_u32_e32 v1, 29, v3
	v_and_b32_e32 v0, 7, v0
; %bb.22:                               ;   in Loop: Header=BB259_12 Depth=1
	s_or_b32 exec_lo, exec_lo, s23
	v_lshlrev_b32_e32 v3, 8, v5
	v_lshl_add_u32 v1, v1, 10, 0x2000
	v_lshlrev_b32_e32 v0, 7, v0
	v_and_b32_e32 v3, 0x8000, v3
	v_and_b32_e32 v1, 0xfc00, v1
	v_or3_b32 v86, v3, v1, v0
.LBB259_23:                             ;   in Loop: Header=BB259_12 Depth=1
	s_or_b32 exec_lo, exec_lo, s22
.LBB259_24:                             ;   in Loop: Header=BB259_12 Depth=1
	s_or_b32 exec_lo, exec_lo, s21
.LBB259_25:                             ;   in Loop: Header=BB259_12 Depth=1
	s_or_b32 exec_lo, exec_lo, s20
	v_lshrrev_b16 v3, 8, v5
	s_mov_b32 s20, exec_lo
	v_cmpx_ne_u16_e32 0, v3
	s_cbranch_execz .LBB259_33
; %bb.26:                               ;   in Loop: Header=BB259_12 Depth=1
	v_bfrev_b32_e32 v85, 1
	s_mov_b32 s21, exec_lo
	v_cmpx_ne_u16_e32 0x80, v3
	s_cbranch_execz .LBB259_32
; %bb.27:                               ;   in Loop: Header=BB259_12 Depth=1
	v_and_b32_sdwa v6, v3, v68 dst_sel:DWORD dst_unused:UNUSED_PAD src0_sel:WORD_0 src1_sel:DWORD
	v_mov_b32_e32 v85, 0x7c010000
	s_mov_b32 s22, exec_lo
	v_cmpx_ne_u32_e32 0x7f, v6
	s_cbranch_execz .LBB259_31
; %bb.28:                               ;   in Loop: Header=BB259_12 Depth=1
	v_mov_b32_e32 v0, 7
	v_lshrrev_b32_e32 v1, 3, v6
	s_mov_b32 s23, exec_lo
	v_and_b32_sdwa v0, v3, v0 dst_sel:DWORD dst_unused:UNUSED_PAD src0_sel:WORD_0 src1_sel:DWORD
	v_cmpx_gt_u32_e32 8, v6
; %bb.29:                               ;   in Loop: Header=BB259_12 Depth=1
	v_ffbh_u32_e32 v0, v0
	v_min_u32_e32 v6, 32, v0
	v_subrev_nc_u32_e32 v0, 28, v6
	v_lshlrev_b64 v[0:1], v0, v[3:4]
	v_sub_nc_u32_e32 v1, 29, v6
	v_and_b32_e32 v0, 7, v0
; %bb.30:                               ;   in Loop: Header=BB259_12 Depth=1
	s_or_b32 exec_lo, exec_lo, s23
	v_mov_b32_e32 v6, 8
	v_lshl_add_u32 v1, v1, 10, 0x2000
	v_lshlrev_b32_e32 v0, 23, v0
	v_lshlrev_b32_sdwa v3, v6, v3 dst_sel:DWORD dst_unused:UNUSED_PAD src0_sel:DWORD src1_sel:WORD_0
	v_and_or_b32 v1, 0x8000, v3, v1
	v_lshl_or_b32 v85, v1, 16, v0
.LBB259_31:                             ;   in Loop: Header=BB259_12 Depth=1
	s_or_b32 exec_lo, exec_lo, s22
.LBB259_32:                             ;   in Loop: Header=BB259_12 Depth=1
	s_or_b32 exec_lo, exec_lo, s21
.LBB259_33:                             ;   in Loop: Header=BB259_12 Depth=1
	s_or_b32 exec_lo, exec_lo, s20
	v_lshrrev_b32_e32 v3, 16, v5
	v_mov_b32_e32 v87, 0
	v_mov_b32_e32 v96, 0
	v_cmp_ne_u16_sdwa s6, v3, v4 src0_sel:BYTE_0 src1_sel:DWORD
	s_and_saveexec_b32 s20, s6
	s_cbranch_execz .LBB259_41
; %bb.34:                               ;   in Loop: Header=BB259_12 Depth=1
	v_cmp_ne_u16_sdwa s6, v3, v66 src0_sel:BYTE_0 src1_sel:DWORD
	v_mov_b32_e32 v96, 0x8000
	s_and_saveexec_b32 s21, s6
	s_cbranch_execz .LBB259_40
; %bb.35:                               ;   in Loop: Header=BB259_12 Depth=1
	v_bfe_u32 v6, v5, 16, 7
	v_mov_b32_e32 v96, 0x7c01
	s_mov_b32 s22, exec_lo
	v_cmpx_ne_u32_e32 0x7f, v6
	s_cbranch_execz .LBB259_39
; %bb.36:                               ;   in Loop: Header=BB259_12 Depth=1
	v_and_b32_e32 v0, 7, v3
	v_lshrrev_b32_e32 v1, 3, v6
	s_mov_b32 s23, exec_lo
	v_cmpx_gt_u32_e32 8, v6
; %bb.37:                               ;   in Loop: Header=BB259_12 Depth=1
	v_ffbh_u32_e32 v0, v0
	v_min_u32_e32 v6, 32, v0
	v_subrev_nc_u32_e32 v0, 28, v6
	v_lshlrev_b64 v[0:1], v0, v[3:4]
	v_sub_nc_u32_e32 v1, 29, v6
	v_and_b32_e32 v0, 7, v0
; %bb.38:                               ;   in Loop: Header=BB259_12 Depth=1
	s_or_b32 exec_lo, exec_lo, s23
	v_lshlrev_b32_e32 v3, 8, v3
	v_lshl_add_u32 v1, v1, 10, 0x2000
	v_lshlrev_b32_e32 v0, 7, v0
	v_and_b32_e32 v3, 0x8000, v3
	v_and_b32_e32 v1, 0xfc00, v1
	v_or3_b32 v96, v3, v1, v0
.LBB259_39:                             ;   in Loop: Header=BB259_12 Depth=1
	s_or_b32 exec_lo, exec_lo, s22
.LBB259_40:                             ;   in Loop: Header=BB259_12 Depth=1
	s_or_b32 exec_lo, exec_lo, s21
.LBB259_41:                             ;   in Loop: Header=BB259_12 Depth=1
	s_or_b32 exec_lo, exec_lo, s20
	s_mov_b32 s20, exec_lo
	v_cmpx_lt_u32_e32 0xffffff, v5
	s_cbranch_execz .LBB259_49
; %bb.42:                               ;   in Loop: Header=BB259_12 Depth=1
	v_lshrrev_b32_e32 v3, 24, v5
	v_bfrev_b32_e32 v87, 1
	s_mov_b32 s21, exec_lo
	v_cmpx_ne_u32_e32 0x80, v3
	s_cbranch_execz .LBB259_48
; %bb.43:                               ;   in Loop: Header=BB259_12 Depth=1
	v_and_b32_e32 v5, 0x7f, v3
	v_mov_b32_e32 v87, 0x7c010000
	s_mov_b32 s22, exec_lo
	v_cmpx_ne_u32_e32 0x7f, v5
	s_cbranch_execz .LBB259_47
; %bb.44:                               ;   in Loop: Header=BB259_12 Depth=1
	v_and_b32_e32 v0, 7, v3
	v_lshrrev_b32_e32 v1, 3, v5
	s_mov_b32 s23, exec_lo
	v_cmpx_gt_u32_e32 8, v5
; %bb.45:                               ;   in Loop: Header=BB259_12 Depth=1
	v_ffbh_u32_e32 v0, v0
	v_min_u32_e32 v5, 32, v0
	v_subrev_nc_u32_e32 v0, 28, v5
	v_lshlrev_b64 v[0:1], v0, v[3:4]
	v_sub_nc_u32_e32 v1, 29, v5
	v_and_b32_e32 v0, 7, v0
; %bb.46:                               ;   in Loop: Header=BB259_12 Depth=1
	s_or_b32 exec_lo, exec_lo, s23
	v_lshlrev_b32_e32 v3, 8, v3
	v_lshl_add_u32 v1, v1, 10, 0x2000
	v_lshlrev_b32_e32 v0, 23, v0
	v_and_or_b32 v1, 0x8000, v3, v1
	v_lshl_or_b32 v87, v1, 16, v0
.LBB259_47:                             ;   in Loop: Header=BB259_12 Depth=1
	s_or_b32 exec_lo, exec_lo, s22
.LBB259_48:                             ;   in Loop: Header=BB259_12 Depth=1
	s_or_b32 exec_lo, exec_lo, s21
.LBB259_49:                             ;   in Loop: Header=BB259_12 Depth=1
	s_or_b32 exec_lo, exec_lo, s20
	flat_load_dword v5, v[27:28] offset:8
	v_mov_b32_e32 v97, 0
	v_mov_b32_e32 v98, 0
	s_waitcnt vmcnt(0) lgkmcnt(0)
	v_cmp_ne_u16_sdwa s6, v5, v4 src0_sel:BYTE_0 src1_sel:DWORD
	s_and_saveexec_b32 s20, s6
	s_cbranch_execz .LBB259_57
; %bb.50:                               ;   in Loop: Header=BB259_12 Depth=1
	v_cmp_ne_u16_sdwa s6, v5, v66 src0_sel:BYTE_0 src1_sel:DWORD
	v_mov_b32_e32 v98, 0x8000
	s_and_saveexec_b32 s21, s6
	s_cbranch_execz .LBB259_56
; %bb.51:                               ;   in Loop: Header=BB259_12 Depth=1
	v_and_b32_e32 v3, 0x7f, v5
	v_mov_b32_e32 v98, 0x7c01
	s_mov_b32 s22, exec_lo
	v_cmpx_ne_u32_e32 0x7f, v3
	s_cbranch_execz .LBB259_55
; %bb.52:                               ;   in Loop: Header=BB259_12 Depth=1
	v_and_b32_e32 v0, 7, v5
	v_lshrrev_b32_e32 v1, 3, v3
	s_mov_b32 s23, exec_lo
	v_cmpx_gt_u32_e32 8, v3
; %bb.53:                               ;   in Loop: Header=BB259_12 Depth=1
	v_ffbh_u32_e32 v0, v0
	v_min_u32_e32 v3, 32, v0
	v_subrev_nc_u32_e32 v0, 28, v3
	v_lshlrev_b64 v[0:1], v0, v[5:6]
	v_sub_nc_u32_e32 v1, 29, v3
	v_and_b32_e32 v0, 7, v0
; %bb.54:                               ;   in Loop: Header=BB259_12 Depth=1
	s_or_b32 exec_lo, exec_lo, s23
	v_lshlrev_b32_e32 v3, 8, v5
	v_lshl_add_u32 v1, v1, 10, 0x2000
	v_lshlrev_b32_e32 v0, 7, v0
	v_and_b32_e32 v3, 0x8000, v3
	v_and_b32_e32 v1, 0xfc00, v1
	v_or3_b32 v98, v3, v1, v0
.LBB259_55:                             ;   in Loop: Header=BB259_12 Depth=1
	s_or_b32 exec_lo, exec_lo, s22
.LBB259_56:                             ;   in Loop: Header=BB259_12 Depth=1
	s_or_b32 exec_lo, exec_lo, s21
.LBB259_57:                             ;   in Loop: Header=BB259_12 Depth=1
	s_or_b32 exec_lo, exec_lo, s20
	v_lshrrev_b16 v3, 8, v5
	s_mov_b32 s20, exec_lo
	v_cmpx_ne_u16_e32 0, v3
	s_cbranch_execz .LBB259_65
; %bb.58:                               ;   in Loop: Header=BB259_12 Depth=1
	v_bfrev_b32_e32 v97, 1
	s_mov_b32 s21, exec_lo
	v_cmpx_ne_u16_e32 0x80, v3
	s_cbranch_execz .LBB259_64
; %bb.59:                               ;   in Loop: Header=BB259_12 Depth=1
	v_and_b32_sdwa v6, v3, v68 dst_sel:DWORD dst_unused:UNUSED_PAD src0_sel:WORD_0 src1_sel:DWORD
	v_mov_b32_e32 v97, 0x7c010000
	s_mov_b32 s22, exec_lo
	v_cmpx_ne_u32_e32 0x7f, v6
	s_cbranch_execz .LBB259_63
; %bb.60:                               ;   in Loop: Header=BB259_12 Depth=1
	v_mov_b32_e32 v0, 7
	v_lshrrev_b32_e32 v1, 3, v6
	s_mov_b32 s23, exec_lo
	v_and_b32_sdwa v0, v3, v0 dst_sel:DWORD dst_unused:UNUSED_PAD src0_sel:WORD_0 src1_sel:DWORD
	v_cmpx_gt_u32_e32 8, v6
; %bb.61:                               ;   in Loop: Header=BB259_12 Depth=1
	v_ffbh_u32_e32 v0, v0
	v_min_u32_e32 v6, 32, v0
	v_subrev_nc_u32_e32 v0, 28, v6
	v_lshlrev_b64 v[0:1], v0, v[3:4]
	v_sub_nc_u32_e32 v1, 29, v6
	v_and_b32_e32 v0, 7, v0
; %bb.62:                               ;   in Loop: Header=BB259_12 Depth=1
	s_or_b32 exec_lo, exec_lo, s23
	v_mov_b32_e32 v6, 8
	v_lshl_add_u32 v1, v1, 10, 0x2000
	v_lshlrev_b32_e32 v0, 23, v0
	v_lshlrev_b32_sdwa v3, v6, v3 dst_sel:DWORD dst_unused:UNUSED_PAD src0_sel:DWORD src1_sel:WORD_0
	v_and_or_b32 v1, 0x8000, v3, v1
	v_lshl_or_b32 v97, v1, 16, v0
.LBB259_63:                             ;   in Loop: Header=BB259_12 Depth=1
	s_or_b32 exec_lo, exec_lo, s22
.LBB259_64:                             ;   in Loop: Header=BB259_12 Depth=1
	s_or_b32 exec_lo, exec_lo, s21
.LBB259_65:                             ;   in Loop: Header=BB259_12 Depth=1
	s_or_b32 exec_lo, exec_lo, s20
	v_lshrrev_b32_e32 v3, 16, v5
	v_mov_b32_e32 v99, 0
	v_mov_b32_e32 v100, 0
	v_cmp_ne_u16_sdwa s6, v3, v4 src0_sel:BYTE_0 src1_sel:DWORD
	s_and_saveexec_b32 s20, s6
	s_cbranch_execz .LBB259_73
; %bb.66:                               ;   in Loop: Header=BB259_12 Depth=1
	v_cmp_ne_u16_sdwa s6, v3, v66 src0_sel:BYTE_0 src1_sel:DWORD
	v_mov_b32_e32 v100, 0x8000
	s_and_saveexec_b32 s21, s6
	s_cbranch_execz .LBB259_72
; %bb.67:                               ;   in Loop: Header=BB259_12 Depth=1
	v_bfe_u32 v6, v5, 16, 7
	v_mov_b32_e32 v100, 0x7c01
	s_mov_b32 s22, exec_lo
	v_cmpx_ne_u32_e32 0x7f, v6
	s_cbranch_execz .LBB259_71
; %bb.68:                               ;   in Loop: Header=BB259_12 Depth=1
	v_and_b32_e32 v0, 7, v3
	v_lshrrev_b32_e32 v1, 3, v6
	s_mov_b32 s23, exec_lo
	v_cmpx_gt_u32_e32 8, v6
; %bb.69:                               ;   in Loop: Header=BB259_12 Depth=1
	v_ffbh_u32_e32 v0, v0
	v_min_u32_e32 v6, 32, v0
	v_subrev_nc_u32_e32 v0, 28, v6
	v_lshlrev_b64 v[0:1], v0, v[3:4]
	v_sub_nc_u32_e32 v1, 29, v6
	v_and_b32_e32 v0, 7, v0
; %bb.70:                               ;   in Loop: Header=BB259_12 Depth=1
	s_or_b32 exec_lo, exec_lo, s23
	v_lshlrev_b32_e32 v3, 8, v3
	v_lshl_add_u32 v1, v1, 10, 0x2000
	v_lshlrev_b32_e32 v0, 7, v0
	v_and_b32_e32 v3, 0x8000, v3
	v_and_b32_e32 v1, 0xfc00, v1
	v_or3_b32 v100, v3, v1, v0
.LBB259_71:                             ;   in Loop: Header=BB259_12 Depth=1
	s_or_b32 exec_lo, exec_lo, s22
.LBB259_72:                             ;   in Loop: Header=BB259_12 Depth=1
	s_or_b32 exec_lo, exec_lo, s21
.LBB259_73:                             ;   in Loop: Header=BB259_12 Depth=1
	s_or_b32 exec_lo, exec_lo, s20
	s_mov_b32 s20, exec_lo
	v_cmpx_lt_u32_e32 0xffffff, v5
	s_cbranch_execz .LBB259_81
; %bb.74:                               ;   in Loop: Header=BB259_12 Depth=1
	v_lshrrev_b32_e32 v3, 24, v5
	v_bfrev_b32_e32 v99, 1
	s_mov_b32 s21, exec_lo
	v_cmpx_ne_u32_e32 0x80, v3
	s_cbranch_execz .LBB259_80
; %bb.75:                               ;   in Loop: Header=BB259_12 Depth=1
	v_and_b32_e32 v5, 0x7f, v3
	v_mov_b32_e32 v99, 0x7c010000
	s_mov_b32 s22, exec_lo
	v_cmpx_ne_u32_e32 0x7f, v5
	s_cbranch_execz .LBB259_79
; %bb.76:                               ;   in Loop: Header=BB259_12 Depth=1
	v_and_b32_e32 v0, 7, v3
	v_lshrrev_b32_e32 v1, 3, v5
	s_mov_b32 s23, exec_lo
	v_cmpx_gt_u32_e32 8, v5
; %bb.77:                               ;   in Loop: Header=BB259_12 Depth=1
	v_ffbh_u32_e32 v0, v0
	v_min_u32_e32 v5, 32, v0
	v_subrev_nc_u32_e32 v0, 28, v5
	v_lshlrev_b64 v[0:1], v0, v[3:4]
	v_sub_nc_u32_e32 v1, 29, v5
	v_and_b32_e32 v0, 7, v0
; %bb.78:                               ;   in Loop: Header=BB259_12 Depth=1
	s_or_b32 exec_lo, exec_lo, s23
	v_lshlrev_b32_e32 v3, 8, v3
	v_lshl_add_u32 v1, v1, 10, 0x2000
	v_lshlrev_b32_e32 v0, 23, v0
	v_and_or_b32 v1, 0x8000, v3, v1
	v_lshl_or_b32 v99, v1, 16, v0
.LBB259_79:                             ;   in Loop: Header=BB259_12 Depth=1
	s_or_b32 exec_lo, exec_lo, s22
.LBB259_80:                             ;   in Loop: Header=BB259_12 Depth=1
	s_or_b32 exec_lo, exec_lo, s21
.LBB259_81:                             ;   in Loop: Header=BB259_12 Depth=1
	s_or_b32 exec_lo, exec_lo, s20
	flat_load_dword v5, v[27:28] offset:256
	v_mov_b32_e32 v101, 0
	v_mov_b32_e32 v102, 0
	s_waitcnt vmcnt(0) lgkmcnt(0)
	v_cmp_ne_u16_sdwa s6, v5, v4 src0_sel:BYTE_0 src1_sel:DWORD
	s_and_saveexec_b32 s20, s6
	s_cbranch_execz .LBB259_89
; %bb.82:                               ;   in Loop: Header=BB259_12 Depth=1
	v_cmp_ne_u16_sdwa s6, v5, v66 src0_sel:BYTE_0 src1_sel:DWORD
	v_mov_b32_e32 v102, 0x8000
	s_and_saveexec_b32 s21, s6
	s_cbranch_execz .LBB259_88
; %bb.83:                               ;   in Loop: Header=BB259_12 Depth=1
	v_and_b32_e32 v3, 0x7f, v5
	v_mov_b32_e32 v102, 0x7c01
	s_mov_b32 s22, exec_lo
	v_cmpx_ne_u32_e32 0x7f, v3
	s_cbranch_execz .LBB259_87
; %bb.84:                               ;   in Loop: Header=BB259_12 Depth=1
	v_and_b32_e32 v0, 7, v5
	v_lshrrev_b32_e32 v1, 3, v3
	s_mov_b32 s23, exec_lo
	v_cmpx_gt_u32_e32 8, v3
; %bb.85:                               ;   in Loop: Header=BB259_12 Depth=1
	v_ffbh_u32_e32 v0, v0
	v_min_u32_e32 v3, 32, v0
	v_subrev_nc_u32_e32 v0, 28, v3
	v_lshlrev_b64 v[0:1], v0, v[5:6]
	v_sub_nc_u32_e32 v1, 29, v3
	v_and_b32_e32 v0, 7, v0
; %bb.86:                               ;   in Loop: Header=BB259_12 Depth=1
	s_or_b32 exec_lo, exec_lo, s23
	v_lshlrev_b32_e32 v3, 8, v5
	v_lshl_add_u32 v1, v1, 10, 0x2000
	v_lshlrev_b32_e32 v0, 7, v0
	v_and_b32_e32 v3, 0x8000, v3
	v_and_b32_e32 v1, 0xfc00, v1
	v_or3_b32 v102, v3, v1, v0
.LBB259_87:                             ;   in Loop: Header=BB259_12 Depth=1
	s_or_b32 exec_lo, exec_lo, s22
.LBB259_88:                             ;   in Loop: Header=BB259_12 Depth=1
	s_or_b32 exec_lo, exec_lo, s21
.LBB259_89:                             ;   in Loop: Header=BB259_12 Depth=1
	s_or_b32 exec_lo, exec_lo, s20
	v_lshrrev_b16 v3, 8, v5
	s_mov_b32 s20, exec_lo
	v_cmpx_ne_u16_e32 0, v3
	s_cbranch_execz .LBB259_97
; %bb.90:                               ;   in Loop: Header=BB259_12 Depth=1
	v_bfrev_b32_e32 v101, 1
	s_mov_b32 s21, exec_lo
	v_cmpx_ne_u16_e32 0x80, v3
	s_cbranch_execz .LBB259_96
; %bb.91:                               ;   in Loop: Header=BB259_12 Depth=1
	v_and_b32_sdwa v6, v3, v68 dst_sel:DWORD dst_unused:UNUSED_PAD src0_sel:WORD_0 src1_sel:DWORD
	v_mov_b32_e32 v101, 0x7c010000
	s_mov_b32 s22, exec_lo
	v_cmpx_ne_u32_e32 0x7f, v6
	s_cbranch_execz .LBB259_95
; %bb.92:                               ;   in Loop: Header=BB259_12 Depth=1
	v_mov_b32_e32 v0, 7
	v_lshrrev_b32_e32 v1, 3, v6
	s_mov_b32 s23, exec_lo
	v_and_b32_sdwa v0, v3, v0 dst_sel:DWORD dst_unused:UNUSED_PAD src0_sel:WORD_0 src1_sel:DWORD
	v_cmpx_gt_u32_e32 8, v6
; %bb.93:                               ;   in Loop: Header=BB259_12 Depth=1
	v_ffbh_u32_e32 v0, v0
	v_min_u32_e32 v6, 32, v0
	v_subrev_nc_u32_e32 v0, 28, v6
	v_lshlrev_b64 v[0:1], v0, v[3:4]
	v_sub_nc_u32_e32 v1, 29, v6
	v_and_b32_e32 v0, 7, v0
; %bb.94:                               ;   in Loop: Header=BB259_12 Depth=1
	s_or_b32 exec_lo, exec_lo, s23
	v_mov_b32_e32 v6, 8
	v_lshl_add_u32 v1, v1, 10, 0x2000
	v_lshlrev_b32_e32 v0, 23, v0
	v_lshlrev_b32_sdwa v3, v6, v3 dst_sel:DWORD dst_unused:UNUSED_PAD src0_sel:DWORD src1_sel:WORD_0
	v_and_or_b32 v1, 0x8000, v3, v1
	v_lshl_or_b32 v101, v1, 16, v0
.LBB259_95:                             ;   in Loop: Header=BB259_12 Depth=1
	s_or_b32 exec_lo, exec_lo, s22
.LBB259_96:                             ;   in Loop: Header=BB259_12 Depth=1
	s_or_b32 exec_lo, exec_lo, s21
.LBB259_97:                             ;   in Loop: Header=BB259_12 Depth=1
	s_or_b32 exec_lo, exec_lo, s20
	v_lshrrev_b32_e32 v3, 16, v5
	v_mov_b32_e32 v103, 0
	v_mov_b32_e32 v112, 0
	v_cmp_ne_u16_sdwa s6, v3, v4 src0_sel:BYTE_0 src1_sel:DWORD
	s_and_saveexec_b32 s20, s6
	s_cbranch_execz .LBB259_105
; %bb.98:                               ;   in Loop: Header=BB259_12 Depth=1
	v_cmp_ne_u16_sdwa s6, v3, v66 src0_sel:BYTE_0 src1_sel:DWORD
	v_mov_b32_e32 v112, 0x8000
	s_and_saveexec_b32 s21, s6
	s_cbranch_execz .LBB259_104
; %bb.99:                               ;   in Loop: Header=BB259_12 Depth=1
	v_bfe_u32 v6, v5, 16, 7
	v_mov_b32_e32 v112, 0x7c01
	s_mov_b32 s22, exec_lo
	v_cmpx_ne_u32_e32 0x7f, v6
	s_cbranch_execz .LBB259_103
; %bb.100:                              ;   in Loop: Header=BB259_12 Depth=1
	v_and_b32_e32 v0, 7, v3
	v_lshrrev_b32_e32 v1, 3, v6
	s_mov_b32 s23, exec_lo
	v_cmpx_gt_u32_e32 8, v6
; %bb.101:                              ;   in Loop: Header=BB259_12 Depth=1
	v_ffbh_u32_e32 v0, v0
	v_min_u32_e32 v6, 32, v0
	v_subrev_nc_u32_e32 v0, 28, v6
	v_lshlrev_b64 v[0:1], v0, v[3:4]
	v_sub_nc_u32_e32 v1, 29, v6
	v_and_b32_e32 v0, 7, v0
; %bb.102:                              ;   in Loop: Header=BB259_12 Depth=1
	s_or_b32 exec_lo, exec_lo, s23
	v_lshlrev_b32_e32 v3, 8, v3
	v_lshl_add_u32 v1, v1, 10, 0x2000
	v_lshlrev_b32_e32 v0, 7, v0
	v_and_b32_e32 v3, 0x8000, v3
	v_and_b32_e32 v1, 0xfc00, v1
	v_or3_b32 v112, v3, v1, v0
.LBB259_103:                            ;   in Loop: Header=BB259_12 Depth=1
	s_or_b32 exec_lo, exec_lo, s22
.LBB259_104:                            ;   in Loop: Header=BB259_12 Depth=1
	s_or_b32 exec_lo, exec_lo, s21
.LBB259_105:                            ;   in Loop: Header=BB259_12 Depth=1
	s_or_b32 exec_lo, exec_lo, s20
	s_mov_b32 s20, exec_lo
	v_cmpx_lt_u32_e32 0xffffff, v5
	s_cbranch_execz .LBB259_113
; %bb.106:                              ;   in Loop: Header=BB259_12 Depth=1
	v_lshrrev_b32_e32 v3, 24, v5
	v_bfrev_b32_e32 v103, 1
	s_mov_b32 s21, exec_lo
	v_cmpx_ne_u32_e32 0x80, v3
	s_cbranch_execz .LBB259_112
; %bb.107:                              ;   in Loop: Header=BB259_12 Depth=1
	v_and_b32_e32 v5, 0x7f, v3
	v_mov_b32_e32 v103, 0x7c010000
	s_mov_b32 s22, exec_lo
	v_cmpx_ne_u32_e32 0x7f, v5
	s_cbranch_execz .LBB259_111
; %bb.108:                              ;   in Loop: Header=BB259_12 Depth=1
	v_and_b32_e32 v0, 7, v3
	v_lshrrev_b32_e32 v1, 3, v5
	s_mov_b32 s23, exec_lo
	v_cmpx_gt_u32_e32 8, v5
; %bb.109:                              ;   in Loop: Header=BB259_12 Depth=1
	v_ffbh_u32_e32 v0, v0
	v_min_u32_e32 v5, 32, v0
	v_subrev_nc_u32_e32 v0, 28, v5
	v_lshlrev_b64 v[0:1], v0, v[3:4]
	v_sub_nc_u32_e32 v1, 29, v5
	v_and_b32_e32 v0, 7, v0
; %bb.110:                              ;   in Loop: Header=BB259_12 Depth=1
	s_or_b32 exec_lo, exec_lo, s23
	v_lshlrev_b32_e32 v3, 8, v3
	v_lshl_add_u32 v1, v1, 10, 0x2000
	v_lshlrev_b32_e32 v0, 23, v0
	v_and_or_b32 v1, 0x8000, v3, v1
	v_lshl_or_b32 v103, v1, 16, v0
.LBB259_111:                            ;   in Loop: Header=BB259_12 Depth=1
	s_or_b32 exec_lo, exec_lo, s22
.LBB259_112:                            ;   in Loop: Header=BB259_12 Depth=1
	s_or_b32 exec_lo, exec_lo, s21
.LBB259_113:                            ;   in Loop: Header=BB259_12 Depth=1
	s_or_b32 exec_lo, exec_lo, s20
	flat_load_dword v5, v[27:28] offset:264
	v_mov_b32_e32 v113, 0
	v_mov_b32_e32 v114, 0
	s_waitcnt vmcnt(0) lgkmcnt(0)
	v_cmp_ne_u16_sdwa s6, v5, v4 src0_sel:BYTE_0 src1_sel:DWORD
	s_and_saveexec_b32 s20, s6
	s_cbranch_execz .LBB259_121
; %bb.114:                              ;   in Loop: Header=BB259_12 Depth=1
	v_cmp_ne_u16_sdwa s6, v5, v66 src0_sel:BYTE_0 src1_sel:DWORD
	v_mov_b32_e32 v114, 0x8000
	s_and_saveexec_b32 s21, s6
	s_cbranch_execz .LBB259_120
; %bb.115:                              ;   in Loop: Header=BB259_12 Depth=1
	v_and_b32_e32 v3, 0x7f, v5
	v_mov_b32_e32 v114, 0x7c01
	s_mov_b32 s22, exec_lo
	v_cmpx_ne_u32_e32 0x7f, v3
	s_cbranch_execz .LBB259_119
; %bb.116:                              ;   in Loop: Header=BB259_12 Depth=1
	v_and_b32_e32 v0, 7, v5
	v_lshrrev_b32_e32 v1, 3, v3
	s_mov_b32 s23, exec_lo
	v_cmpx_gt_u32_e32 8, v3
; %bb.117:                              ;   in Loop: Header=BB259_12 Depth=1
	v_ffbh_u32_e32 v0, v0
	v_min_u32_e32 v3, 32, v0
	v_subrev_nc_u32_e32 v0, 28, v3
	v_lshlrev_b64 v[0:1], v0, v[5:6]
	v_sub_nc_u32_e32 v1, 29, v3
	v_and_b32_e32 v0, 7, v0
; %bb.118:                              ;   in Loop: Header=BB259_12 Depth=1
	s_or_b32 exec_lo, exec_lo, s23
	v_lshlrev_b32_e32 v3, 8, v5
	v_lshl_add_u32 v1, v1, 10, 0x2000
	v_lshlrev_b32_e32 v0, 7, v0
	v_and_b32_e32 v3, 0x8000, v3
	v_and_b32_e32 v1, 0xfc00, v1
	v_or3_b32 v114, v3, v1, v0
.LBB259_119:                            ;   in Loop: Header=BB259_12 Depth=1
	s_or_b32 exec_lo, exec_lo, s22
.LBB259_120:                            ;   in Loop: Header=BB259_12 Depth=1
	s_or_b32 exec_lo, exec_lo, s21
.LBB259_121:                            ;   in Loop: Header=BB259_12 Depth=1
	s_or_b32 exec_lo, exec_lo, s20
	v_lshrrev_b16 v3, 8, v5
	s_mov_b32 s20, exec_lo
	v_cmpx_ne_u16_e32 0, v3
	s_cbranch_execz .LBB259_129
; %bb.122:                              ;   in Loop: Header=BB259_12 Depth=1
	v_bfrev_b32_e32 v113, 1
	s_mov_b32 s21, exec_lo
	v_cmpx_ne_u16_e32 0x80, v3
	s_cbranch_execz .LBB259_128
; %bb.123:                              ;   in Loop: Header=BB259_12 Depth=1
	v_and_b32_sdwa v6, v3, v68 dst_sel:DWORD dst_unused:UNUSED_PAD src0_sel:WORD_0 src1_sel:DWORD
	v_mov_b32_e32 v113, 0x7c010000
	s_mov_b32 s22, exec_lo
	v_cmpx_ne_u32_e32 0x7f, v6
	s_cbranch_execz .LBB259_127
; %bb.124:                              ;   in Loop: Header=BB259_12 Depth=1
	v_mov_b32_e32 v0, 7
	v_lshrrev_b32_e32 v1, 3, v6
	s_mov_b32 s23, exec_lo
	v_and_b32_sdwa v0, v3, v0 dst_sel:DWORD dst_unused:UNUSED_PAD src0_sel:WORD_0 src1_sel:DWORD
	v_cmpx_gt_u32_e32 8, v6
; %bb.125:                              ;   in Loop: Header=BB259_12 Depth=1
	v_ffbh_u32_e32 v0, v0
	v_min_u32_e32 v6, 32, v0
	v_subrev_nc_u32_e32 v0, 28, v6
	v_lshlrev_b64 v[0:1], v0, v[3:4]
	v_sub_nc_u32_e32 v1, 29, v6
	v_and_b32_e32 v0, 7, v0
; %bb.126:                              ;   in Loop: Header=BB259_12 Depth=1
	s_or_b32 exec_lo, exec_lo, s23
	v_mov_b32_e32 v6, 8
	v_lshl_add_u32 v1, v1, 10, 0x2000
	v_lshlrev_b32_e32 v0, 23, v0
	v_lshlrev_b32_sdwa v3, v6, v3 dst_sel:DWORD dst_unused:UNUSED_PAD src0_sel:DWORD src1_sel:WORD_0
	v_and_or_b32 v1, 0x8000, v3, v1
	v_lshl_or_b32 v113, v1, 16, v0
.LBB259_127:                            ;   in Loop: Header=BB259_12 Depth=1
	s_or_b32 exec_lo, exec_lo, s22
.LBB259_128:                            ;   in Loop: Header=BB259_12 Depth=1
	s_or_b32 exec_lo, exec_lo, s21
.LBB259_129:                            ;   in Loop: Header=BB259_12 Depth=1
	s_or_b32 exec_lo, exec_lo, s20
	v_lshrrev_b32_e32 v3, 16, v5
	v_mov_b32_e32 v115, 0
	v_mov_b32_e32 v116, 0
	v_cmp_ne_u16_sdwa s6, v3, v4 src0_sel:BYTE_0 src1_sel:DWORD
	s_and_saveexec_b32 s20, s6
	s_cbranch_execz .LBB259_137
; %bb.130:                              ;   in Loop: Header=BB259_12 Depth=1
	v_cmp_ne_u16_sdwa s6, v3, v66 src0_sel:BYTE_0 src1_sel:DWORD
	v_mov_b32_e32 v116, 0x8000
	s_and_saveexec_b32 s21, s6
	s_cbranch_execz .LBB259_136
; %bb.131:                              ;   in Loop: Header=BB259_12 Depth=1
	v_bfe_u32 v6, v5, 16, 7
	v_mov_b32_e32 v116, 0x7c01
	s_mov_b32 s22, exec_lo
	v_cmpx_ne_u32_e32 0x7f, v6
	s_cbranch_execz .LBB259_135
; %bb.132:                              ;   in Loop: Header=BB259_12 Depth=1
	v_and_b32_e32 v0, 7, v3
	v_lshrrev_b32_e32 v1, 3, v6
	s_mov_b32 s23, exec_lo
	v_cmpx_gt_u32_e32 8, v6
; %bb.133:                              ;   in Loop: Header=BB259_12 Depth=1
	v_ffbh_u32_e32 v0, v0
	v_min_u32_e32 v6, 32, v0
	v_subrev_nc_u32_e32 v0, 28, v6
	v_lshlrev_b64 v[0:1], v0, v[3:4]
	v_sub_nc_u32_e32 v1, 29, v6
	v_and_b32_e32 v0, 7, v0
; %bb.134:                              ;   in Loop: Header=BB259_12 Depth=1
	s_or_b32 exec_lo, exec_lo, s23
	v_lshlrev_b32_e32 v3, 8, v3
	v_lshl_add_u32 v1, v1, 10, 0x2000
	v_lshlrev_b32_e32 v0, 7, v0
	v_and_b32_e32 v3, 0x8000, v3
	v_and_b32_e32 v1, 0xfc00, v1
	v_or3_b32 v116, v3, v1, v0
.LBB259_135:                            ;   in Loop: Header=BB259_12 Depth=1
	s_or_b32 exec_lo, exec_lo, s22
.LBB259_136:                            ;   in Loop: Header=BB259_12 Depth=1
	s_or_b32 exec_lo, exec_lo, s21
.LBB259_137:                            ;   in Loop: Header=BB259_12 Depth=1
	s_or_b32 exec_lo, exec_lo, s20
	s_mov_b32 s20, exec_lo
	v_cmpx_lt_u32_e32 0xffffff, v5
	s_cbranch_execz .LBB259_145
; %bb.138:                              ;   in Loop: Header=BB259_12 Depth=1
	v_lshrrev_b32_e32 v3, 24, v5
	v_bfrev_b32_e32 v115, 1
	s_mov_b32 s21, exec_lo
	v_cmpx_ne_u32_e32 0x80, v3
	s_cbranch_execz .LBB259_144
; %bb.139:                              ;   in Loop: Header=BB259_12 Depth=1
	v_and_b32_e32 v5, 0x7f, v3
	v_mov_b32_e32 v115, 0x7c010000
	s_mov_b32 s22, exec_lo
	v_cmpx_ne_u32_e32 0x7f, v5
	s_cbranch_execz .LBB259_143
; %bb.140:                              ;   in Loop: Header=BB259_12 Depth=1
	v_and_b32_e32 v0, 7, v3
	v_lshrrev_b32_e32 v1, 3, v5
	s_mov_b32 s23, exec_lo
	v_cmpx_gt_u32_e32 8, v5
; %bb.141:                              ;   in Loop: Header=BB259_12 Depth=1
	v_ffbh_u32_e32 v0, v0
	v_min_u32_e32 v5, 32, v0
	v_subrev_nc_u32_e32 v0, 28, v5
	v_lshlrev_b64 v[0:1], v0, v[3:4]
	v_sub_nc_u32_e32 v1, 29, v5
	v_and_b32_e32 v0, 7, v0
; %bb.142:                              ;   in Loop: Header=BB259_12 Depth=1
	s_or_b32 exec_lo, exec_lo, s23
	v_lshlrev_b32_e32 v3, 8, v3
	v_lshl_add_u32 v1, v1, 10, 0x2000
	v_lshlrev_b32_e32 v0, 23, v0
	v_and_or_b32 v1, 0x8000, v3, v1
	v_lshl_or_b32 v115, v1, 16, v0
.LBB259_143:                            ;   in Loop: Header=BB259_12 Depth=1
	s_or_b32 exec_lo, exec_lo, s22
.LBB259_144:                            ;   in Loop: Header=BB259_12 Depth=1
	s_or_b32 exec_lo, exec_lo, s21
.LBB259_145:                            ;   in Loop: Header=BB259_12 Depth=1
	s_or_b32 exec_lo, exec_lo, s20
	flat_load_dword v5, v[27:28] offset:512
	v_mov_b32_e32 v117, 0
	v_mov_b32_e32 v118, 0
	s_waitcnt vmcnt(0) lgkmcnt(0)
	v_cmp_ne_u16_sdwa s6, v5, v4 src0_sel:BYTE_0 src1_sel:DWORD
	s_and_saveexec_b32 s20, s6
	s_cbranch_execz .LBB259_153
; %bb.146:                              ;   in Loop: Header=BB259_12 Depth=1
	v_cmp_ne_u16_sdwa s6, v5, v66 src0_sel:BYTE_0 src1_sel:DWORD
	v_mov_b32_e32 v118, 0x8000
	s_and_saveexec_b32 s21, s6
	s_cbranch_execz .LBB259_152
; %bb.147:                              ;   in Loop: Header=BB259_12 Depth=1
	v_and_b32_e32 v3, 0x7f, v5
	v_mov_b32_e32 v118, 0x7c01
	s_mov_b32 s22, exec_lo
	v_cmpx_ne_u32_e32 0x7f, v3
	s_cbranch_execz .LBB259_151
; %bb.148:                              ;   in Loop: Header=BB259_12 Depth=1
	v_and_b32_e32 v0, 7, v5
	v_lshrrev_b32_e32 v1, 3, v3
	s_mov_b32 s23, exec_lo
	v_cmpx_gt_u32_e32 8, v3
; %bb.149:                              ;   in Loop: Header=BB259_12 Depth=1
	v_ffbh_u32_e32 v0, v0
	v_min_u32_e32 v3, 32, v0
	v_subrev_nc_u32_e32 v0, 28, v3
	v_lshlrev_b64 v[0:1], v0, v[5:6]
	v_sub_nc_u32_e32 v1, 29, v3
	v_and_b32_e32 v0, 7, v0
; %bb.150:                              ;   in Loop: Header=BB259_12 Depth=1
	s_or_b32 exec_lo, exec_lo, s23
	v_lshlrev_b32_e32 v3, 8, v5
	v_lshl_add_u32 v1, v1, 10, 0x2000
	v_lshlrev_b32_e32 v0, 7, v0
	v_and_b32_e32 v3, 0x8000, v3
	v_and_b32_e32 v1, 0xfc00, v1
	v_or3_b32 v118, v3, v1, v0
.LBB259_151:                            ;   in Loop: Header=BB259_12 Depth=1
	s_or_b32 exec_lo, exec_lo, s22
.LBB259_152:                            ;   in Loop: Header=BB259_12 Depth=1
	s_or_b32 exec_lo, exec_lo, s21
.LBB259_153:                            ;   in Loop: Header=BB259_12 Depth=1
	s_or_b32 exec_lo, exec_lo, s20
	v_lshrrev_b16 v3, 8, v5
	s_mov_b32 s20, exec_lo
	v_cmpx_ne_u16_e32 0, v3
	s_cbranch_execz .LBB259_161
; %bb.154:                              ;   in Loop: Header=BB259_12 Depth=1
	v_bfrev_b32_e32 v117, 1
	s_mov_b32 s21, exec_lo
	v_cmpx_ne_u16_e32 0x80, v3
	s_cbranch_execz .LBB259_160
; %bb.155:                              ;   in Loop: Header=BB259_12 Depth=1
	v_and_b32_sdwa v6, v3, v68 dst_sel:DWORD dst_unused:UNUSED_PAD src0_sel:WORD_0 src1_sel:DWORD
	v_mov_b32_e32 v117, 0x7c010000
	s_mov_b32 s22, exec_lo
	v_cmpx_ne_u32_e32 0x7f, v6
	s_cbranch_execz .LBB259_159
; %bb.156:                              ;   in Loop: Header=BB259_12 Depth=1
	v_mov_b32_e32 v0, 7
	v_lshrrev_b32_e32 v1, 3, v6
	s_mov_b32 s23, exec_lo
	v_and_b32_sdwa v0, v3, v0 dst_sel:DWORD dst_unused:UNUSED_PAD src0_sel:WORD_0 src1_sel:DWORD
	v_cmpx_gt_u32_e32 8, v6
; %bb.157:                              ;   in Loop: Header=BB259_12 Depth=1
	v_ffbh_u32_e32 v0, v0
	v_min_u32_e32 v6, 32, v0
	v_subrev_nc_u32_e32 v0, 28, v6
	v_lshlrev_b64 v[0:1], v0, v[3:4]
	v_sub_nc_u32_e32 v1, 29, v6
	v_and_b32_e32 v0, 7, v0
; %bb.158:                              ;   in Loop: Header=BB259_12 Depth=1
	s_or_b32 exec_lo, exec_lo, s23
	v_mov_b32_e32 v6, 8
	v_lshl_add_u32 v1, v1, 10, 0x2000
	v_lshlrev_b32_e32 v0, 23, v0
	v_lshlrev_b32_sdwa v3, v6, v3 dst_sel:DWORD dst_unused:UNUSED_PAD src0_sel:DWORD src1_sel:WORD_0
	v_and_or_b32 v1, 0x8000, v3, v1
	v_lshl_or_b32 v117, v1, 16, v0
.LBB259_159:                            ;   in Loop: Header=BB259_12 Depth=1
	s_or_b32 exec_lo, exec_lo, s22
.LBB259_160:                            ;   in Loop: Header=BB259_12 Depth=1
	s_or_b32 exec_lo, exec_lo, s21
.LBB259_161:                            ;   in Loop: Header=BB259_12 Depth=1
	s_or_b32 exec_lo, exec_lo, s20
	v_lshrrev_b32_e32 v3, 16, v5
	v_mov_b32_e32 v119, 0
	v_mov_b32_e32 v40, 0
	v_cmp_ne_u16_sdwa s6, v3, v4 src0_sel:BYTE_0 src1_sel:DWORD
	s_and_saveexec_b32 s20, s6
	s_cbranch_execz .LBB259_169
; %bb.162:                              ;   in Loop: Header=BB259_12 Depth=1
	v_cmp_ne_u16_sdwa s6, v3, v66 src0_sel:BYTE_0 src1_sel:DWORD
	v_mov_b32_e32 v40, 0x8000
	s_and_saveexec_b32 s21, s6
	s_cbranch_execz .LBB259_168
; %bb.163:                              ;   in Loop: Header=BB259_12 Depth=1
	v_bfe_u32 v6, v5, 16, 7
	v_mov_b32_e32 v40, 0x7c01
	s_mov_b32 s22, exec_lo
	v_cmpx_ne_u32_e32 0x7f, v6
	s_cbranch_execz .LBB259_167
; %bb.164:                              ;   in Loop: Header=BB259_12 Depth=1
	v_and_b32_e32 v0, 7, v3
	v_lshrrev_b32_e32 v1, 3, v6
	s_mov_b32 s23, exec_lo
	v_cmpx_gt_u32_e32 8, v6
; %bb.165:                              ;   in Loop: Header=BB259_12 Depth=1
	v_ffbh_u32_e32 v0, v0
	v_min_u32_e32 v6, 32, v0
	v_subrev_nc_u32_e32 v0, 28, v6
	v_lshlrev_b64 v[0:1], v0, v[3:4]
	v_sub_nc_u32_e32 v1, 29, v6
	v_and_b32_e32 v0, 7, v0
; %bb.166:                              ;   in Loop: Header=BB259_12 Depth=1
	s_or_b32 exec_lo, exec_lo, s23
	v_lshlrev_b32_e32 v3, 8, v3
	v_lshl_add_u32 v1, v1, 10, 0x2000
	v_lshlrev_b32_e32 v0, 7, v0
	v_and_b32_e32 v3, 0x8000, v3
	v_and_b32_e32 v1, 0xfc00, v1
	v_or3_b32 v40, v3, v1, v0
.LBB259_167:                            ;   in Loop: Header=BB259_12 Depth=1
	s_or_b32 exec_lo, exec_lo, s22
.LBB259_168:                            ;   in Loop: Header=BB259_12 Depth=1
	s_or_b32 exec_lo, exec_lo, s21
.LBB259_169:                            ;   in Loop: Header=BB259_12 Depth=1
	s_or_b32 exec_lo, exec_lo, s20
	s_mov_b32 s20, exec_lo
	v_cmpx_lt_u32_e32 0xffffff, v5
	s_cbranch_execz .LBB259_177
; %bb.170:                              ;   in Loop: Header=BB259_12 Depth=1
	v_lshrrev_b32_e32 v3, 24, v5
	v_bfrev_b32_e32 v119, 1
	s_mov_b32 s21, exec_lo
	v_cmpx_ne_u32_e32 0x80, v3
	s_cbranch_execz .LBB259_176
; %bb.171:                              ;   in Loop: Header=BB259_12 Depth=1
	v_and_b32_e32 v5, 0x7f, v3
	v_mov_b32_e32 v119, 0x7c010000
	s_mov_b32 s22, exec_lo
	v_cmpx_ne_u32_e32 0x7f, v5
	s_cbranch_execz .LBB259_175
; %bb.172:                              ;   in Loop: Header=BB259_12 Depth=1
	v_and_b32_e32 v0, 7, v3
	v_lshrrev_b32_e32 v1, 3, v5
	s_mov_b32 s23, exec_lo
	v_cmpx_gt_u32_e32 8, v5
; %bb.173:                              ;   in Loop: Header=BB259_12 Depth=1
	v_ffbh_u32_e32 v0, v0
	v_min_u32_e32 v5, 32, v0
	v_subrev_nc_u32_e32 v0, 28, v5
	v_lshlrev_b64 v[0:1], v0, v[3:4]
	v_sub_nc_u32_e32 v1, 29, v5
	v_and_b32_e32 v0, 7, v0
; %bb.174:                              ;   in Loop: Header=BB259_12 Depth=1
	s_or_b32 exec_lo, exec_lo, s23
	v_lshlrev_b32_e32 v3, 8, v3
	v_lshl_add_u32 v1, v1, 10, 0x2000
	v_lshlrev_b32_e32 v0, 23, v0
	v_and_or_b32 v1, 0x8000, v3, v1
	v_lshl_or_b32 v119, v1, 16, v0
.LBB259_175:                            ;   in Loop: Header=BB259_12 Depth=1
	s_or_b32 exec_lo, exec_lo, s22
.LBB259_176:                            ;   in Loop: Header=BB259_12 Depth=1
	s_or_b32 exec_lo, exec_lo, s21
.LBB259_177:                            ;   in Loop: Header=BB259_12 Depth=1
	s_or_b32 exec_lo, exec_lo, s20
	flat_load_dword v5, v[27:28] offset:520
	v_mov_b32_e32 v41, 0
	v_mov_b32_e32 v42, 0
	s_waitcnt vmcnt(0) lgkmcnt(0)
	v_cmp_ne_u16_sdwa s6, v5, v4 src0_sel:BYTE_0 src1_sel:DWORD
	s_and_saveexec_b32 s20, s6
	s_cbranch_execz .LBB259_185
; %bb.178:                              ;   in Loop: Header=BB259_12 Depth=1
	v_cmp_ne_u16_sdwa s6, v5, v66 src0_sel:BYTE_0 src1_sel:DWORD
	v_mov_b32_e32 v42, 0x8000
	s_and_saveexec_b32 s21, s6
	s_cbranch_execz .LBB259_184
; %bb.179:                              ;   in Loop: Header=BB259_12 Depth=1
	v_and_b32_e32 v3, 0x7f, v5
	v_mov_b32_e32 v42, 0x7c01
	s_mov_b32 s22, exec_lo
	v_cmpx_ne_u32_e32 0x7f, v3
	s_cbranch_execz .LBB259_183
; %bb.180:                              ;   in Loop: Header=BB259_12 Depth=1
	v_and_b32_e32 v0, 7, v5
	v_lshrrev_b32_e32 v1, 3, v3
	s_mov_b32 s23, exec_lo
	v_cmpx_gt_u32_e32 8, v3
; %bb.181:                              ;   in Loop: Header=BB259_12 Depth=1
	v_ffbh_u32_e32 v0, v0
	v_min_u32_e32 v3, 32, v0
	v_subrev_nc_u32_e32 v0, 28, v3
	v_lshlrev_b64 v[0:1], v0, v[5:6]
	v_sub_nc_u32_e32 v1, 29, v3
	v_and_b32_e32 v0, 7, v0
; %bb.182:                              ;   in Loop: Header=BB259_12 Depth=1
	s_or_b32 exec_lo, exec_lo, s23
	v_lshlrev_b32_e32 v3, 8, v5
	v_lshl_add_u32 v1, v1, 10, 0x2000
	v_lshlrev_b32_e32 v0, 7, v0
	v_and_b32_e32 v3, 0x8000, v3
	v_and_b32_e32 v1, 0xfc00, v1
	v_or3_b32 v42, v3, v1, v0
.LBB259_183:                            ;   in Loop: Header=BB259_12 Depth=1
	s_or_b32 exec_lo, exec_lo, s22
.LBB259_184:                            ;   in Loop: Header=BB259_12 Depth=1
	s_or_b32 exec_lo, exec_lo, s21
.LBB259_185:                            ;   in Loop: Header=BB259_12 Depth=1
	s_or_b32 exec_lo, exec_lo, s20
	v_lshrrev_b16 v3, 8, v5
	s_mov_b32 s20, exec_lo
	v_cmpx_ne_u16_e32 0, v3
	s_cbranch_execz .LBB259_193
; %bb.186:                              ;   in Loop: Header=BB259_12 Depth=1
	v_bfrev_b32_e32 v41, 1
	s_mov_b32 s21, exec_lo
	v_cmpx_ne_u16_e32 0x80, v3
	s_cbranch_execz .LBB259_192
; %bb.187:                              ;   in Loop: Header=BB259_12 Depth=1
	v_and_b32_sdwa v6, v3, v68 dst_sel:DWORD dst_unused:UNUSED_PAD src0_sel:WORD_0 src1_sel:DWORD
	v_mov_b32_e32 v41, 0x7c010000
	s_mov_b32 s22, exec_lo
	v_cmpx_ne_u32_e32 0x7f, v6
	s_cbranch_execz .LBB259_191
; %bb.188:                              ;   in Loop: Header=BB259_12 Depth=1
	v_mov_b32_e32 v0, 7
	v_lshrrev_b32_e32 v1, 3, v6
	s_mov_b32 s23, exec_lo
	v_and_b32_sdwa v0, v3, v0 dst_sel:DWORD dst_unused:UNUSED_PAD src0_sel:WORD_0 src1_sel:DWORD
	v_cmpx_gt_u32_e32 8, v6
; %bb.189:                              ;   in Loop: Header=BB259_12 Depth=1
	v_ffbh_u32_e32 v0, v0
	v_min_u32_e32 v6, 32, v0
	v_subrev_nc_u32_e32 v0, 28, v6
	v_lshlrev_b64 v[0:1], v0, v[3:4]
	v_sub_nc_u32_e32 v1, 29, v6
	v_and_b32_e32 v0, 7, v0
; %bb.190:                              ;   in Loop: Header=BB259_12 Depth=1
	s_or_b32 exec_lo, exec_lo, s23
	v_mov_b32_e32 v6, 8
	v_lshl_add_u32 v1, v1, 10, 0x2000
	v_lshlrev_b32_e32 v0, 23, v0
	v_lshlrev_b32_sdwa v3, v6, v3 dst_sel:DWORD dst_unused:UNUSED_PAD src0_sel:DWORD src1_sel:WORD_0
	v_and_or_b32 v1, 0x8000, v3, v1
	v_lshl_or_b32 v41, v1, 16, v0
.LBB259_191:                            ;   in Loop: Header=BB259_12 Depth=1
	s_or_b32 exec_lo, exec_lo, s22
.LBB259_192:                            ;   in Loop: Header=BB259_12 Depth=1
	s_or_b32 exec_lo, exec_lo, s21
.LBB259_193:                            ;   in Loop: Header=BB259_12 Depth=1
	s_or_b32 exec_lo, exec_lo, s20
	v_lshrrev_b32_e32 v3, 16, v5
	v_mov_b32_e32 v43, 0
	v_mov_b32_e32 v44, 0
	v_cmp_ne_u16_sdwa s6, v3, v4 src0_sel:BYTE_0 src1_sel:DWORD
	s_and_saveexec_b32 s20, s6
	s_cbranch_execz .LBB259_201
; %bb.194:                              ;   in Loop: Header=BB259_12 Depth=1
	v_cmp_ne_u16_sdwa s6, v3, v66 src0_sel:BYTE_0 src1_sel:DWORD
	v_mov_b32_e32 v44, 0x8000
	s_and_saveexec_b32 s21, s6
	s_cbranch_execz .LBB259_200
; %bb.195:                              ;   in Loop: Header=BB259_12 Depth=1
	v_bfe_u32 v6, v5, 16, 7
	v_mov_b32_e32 v44, 0x7c01
	s_mov_b32 s22, exec_lo
	v_cmpx_ne_u32_e32 0x7f, v6
	s_cbranch_execz .LBB259_199
; %bb.196:                              ;   in Loop: Header=BB259_12 Depth=1
	v_and_b32_e32 v0, 7, v3
	v_lshrrev_b32_e32 v1, 3, v6
	s_mov_b32 s23, exec_lo
	v_cmpx_gt_u32_e32 8, v6
; %bb.197:                              ;   in Loop: Header=BB259_12 Depth=1
	v_ffbh_u32_e32 v0, v0
	v_min_u32_e32 v6, 32, v0
	v_subrev_nc_u32_e32 v0, 28, v6
	v_lshlrev_b64 v[0:1], v0, v[3:4]
	v_sub_nc_u32_e32 v1, 29, v6
	v_and_b32_e32 v0, 7, v0
; %bb.198:                              ;   in Loop: Header=BB259_12 Depth=1
	s_or_b32 exec_lo, exec_lo, s23
	v_lshlrev_b32_e32 v3, 8, v3
	v_lshl_add_u32 v1, v1, 10, 0x2000
	v_lshlrev_b32_e32 v0, 7, v0
	v_and_b32_e32 v3, 0x8000, v3
	v_and_b32_e32 v1, 0xfc00, v1
	v_or3_b32 v44, v3, v1, v0
.LBB259_199:                            ;   in Loop: Header=BB259_12 Depth=1
	s_or_b32 exec_lo, exec_lo, s22
.LBB259_200:                            ;   in Loop: Header=BB259_12 Depth=1
	s_or_b32 exec_lo, exec_lo, s21
.LBB259_201:                            ;   in Loop: Header=BB259_12 Depth=1
	s_or_b32 exec_lo, exec_lo, s20
	s_mov_b32 s20, exec_lo
	v_cmpx_lt_u32_e32 0xffffff, v5
	s_cbranch_execz .LBB259_209
; %bb.202:                              ;   in Loop: Header=BB259_12 Depth=1
	v_lshrrev_b32_e32 v3, 24, v5
	v_bfrev_b32_e32 v43, 1
	s_mov_b32 s21, exec_lo
	v_cmpx_ne_u32_e32 0x80, v3
	s_cbranch_execz .LBB259_208
; %bb.203:                              ;   in Loop: Header=BB259_12 Depth=1
	v_and_b32_e32 v5, 0x7f, v3
	v_mov_b32_e32 v43, 0x7c010000
	s_mov_b32 s22, exec_lo
	v_cmpx_ne_u32_e32 0x7f, v5
	s_cbranch_execz .LBB259_207
; %bb.204:                              ;   in Loop: Header=BB259_12 Depth=1
	v_and_b32_e32 v0, 7, v3
	v_lshrrev_b32_e32 v1, 3, v5
	s_mov_b32 s23, exec_lo
	v_cmpx_gt_u32_e32 8, v5
; %bb.205:                              ;   in Loop: Header=BB259_12 Depth=1
	v_ffbh_u32_e32 v0, v0
	v_min_u32_e32 v5, 32, v0
	v_subrev_nc_u32_e32 v0, 28, v5
	v_lshlrev_b64 v[0:1], v0, v[3:4]
	v_sub_nc_u32_e32 v1, 29, v5
	v_and_b32_e32 v0, 7, v0
; %bb.206:                              ;   in Loop: Header=BB259_12 Depth=1
	s_or_b32 exec_lo, exec_lo, s23
	v_lshlrev_b32_e32 v3, 8, v3
	v_lshl_add_u32 v1, v1, 10, 0x2000
	v_lshlrev_b32_e32 v0, 23, v0
	v_and_or_b32 v1, 0x8000, v3, v1
	v_lshl_or_b32 v43, v1, 16, v0
.LBB259_207:                            ;   in Loop: Header=BB259_12 Depth=1
	s_or_b32 exec_lo, exec_lo, s22
.LBB259_208:                            ;   in Loop: Header=BB259_12 Depth=1
	s_or_b32 exec_lo, exec_lo, s21
.LBB259_209:                            ;   in Loop: Header=BB259_12 Depth=1
	s_or_b32 exec_lo, exec_lo, s20
	flat_load_dword v5, v[27:28] offset:768
	v_mov_b32_e32 v45, 0
	v_mov_b32_e32 v46, 0
	s_waitcnt vmcnt(0) lgkmcnt(0)
	v_cmp_ne_u16_sdwa s6, v5, v4 src0_sel:BYTE_0 src1_sel:DWORD
	s_and_saveexec_b32 s20, s6
	s_cbranch_execz .LBB259_217
; %bb.210:                              ;   in Loop: Header=BB259_12 Depth=1
	v_cmp_ne_u16_sdwa s6, v5, v66 src0_sel:BYTE_0 src1_sel:DWORD
	v_mov_b32_e32 v46, 0x8000
	s_and_saveexec_b32 s21, s6
	s_cbranch_execz .LBB259_216
; %bb.211:                              ;   in Loop: Header=BB259_12 Depth=1
	v_and_b32_e32 v3, 0x7f, v5
	v_mov_b32_e32 v46, 0x7c01
	s_mov_b32 s22, exec_lo
	v_cmpx_ne_u32_e32 0x7f, v3
	s_cbranch_execz .LBB259_215
; %bb.212:                              ;   in Loop: Header=BB259_12 Depth=1
	v_and_b32_e32 v0, 7, v5
	v_lshrrev_b32_e32 v1, 3, v3
	s_mov_b32 s23, exec_lo
	v_cmpx_gt_u32_e32 8, v3
; %bb.213:                              ;   in Loop: Header=BB259_12 Depth=1
	v_ffbh_u32_e32 v0, v0
	v_min_u32_e32 v3, 32, v0
	v_subrev_nc_u32_e32 v0, 28, v3
	v_lshlrev_b64 v[0:1], v0, v[5:6]
	v_sub_nc_u32_e32 v1, 29, v3
	v_and_b32_e32 v0, 7, v0
; %bb.214:                              ;   in Loop: Header=BB259_12 Depth=1
	s_or_b32 exec_lo, exec_lo, s23
	v_lshlrev_b32_e32 v3, 8, v5
	v_lshl_add_u32 v1, v1, 10, 0x2000
	v_lshlrev_b32_e32 v0, 7, v0
	v_and_b32_e32 v3, 0x8000, v3
	v_and_b32_e32 v1, 0xfc00, v1
	v_or3_b32 v46, v3, v1, v0
.LBB259_215:                            ;   in Loop: Header=BB259_12 Depth=1
	s_or_b32 exec_lo, exec_lo, s22
.LBB259_216:                            ;   in Loop: Header=BB259_12 Depth=1
	s_or_b32 exec_lo, exec_lo, s21
.LBB259_217:                            ;   in Loop: Header=BB259_12 Depth=1
	s_or_b32 exec_lo, exec_lo, s20
	v_lshrrev_b16 v3, 8, v5
	s_mov_b32 s20, exec_lo
	v_cmpx_ne_u16_e32 0, v3
	s_cbranch_execz .LBB259_225
; %bb.218:                              ;   in Loop: Header=BB259_12 Depth=1
	v_bfrev_b32_e32 v45, 1
	s_mov_b32 s21, exec_lo
	v_cmpx_ne_u16_e32 0x80, v3
	s_cbranch_execz .LBB259_224
; %bb.219:                              ;   in Loop: Header=BB259_12 Depth=1
	v_and_b32_sdwa v6, v3, v68 dst_sel:DWORD dst_unused:UNUSED_PAD src0_sel:WORD_0 src1_sel:DWORD
	v_mov_b32_e32 v45, 0x7c010000
	s_mov_b32 s22, exec_lo
	v_cmpx_ne_u32_e32 0x7f, v6
	s_cbranch_execz .LBB259_223
; %bb.220:                              ;   in Loop: Header=BB259_12 Depth=1
	v_mov_b32_e32 v0, 7
	v_lshrrev_b32_e32 v1, 3, v6
	s_mov_b32 s23, exec_lo
	v_and_b32_sdwa v0, v3, v0 dst_sel:DWORD dst_unused:UNUSED_PAD src0_sel:WORD_0 src1_sel:DWORD
	v_cmpx_gt_u32_e32 8, v6
; %bb.221:                              ;   in Loop: Header=BB259_12 Depth=1
	v_ffbh_u32_e32 v0, v0
	v_min_u32_e32 v6, 32, v0
	v_subrev_nc_u32_e32 v0, 28, v6
	v_lshlrev_b64 v[0:1], v0, v[3:4]
	v_sub_nc_u32_e32 v1, 29, v6
	v_and_b32_e32 v0, 7, v0
; %bb.222:                              ;   in Loop: Header=BB259_12 Depth=1
	s_or_b32 exec_lo, exec_lo, s23
	v_mov_b32_e32 v6, 8
	v_lshl_add_u32 v1, v1, 10, 0x2000
	v_lshlrev_b32_e32 v0, 23, v0
	v_lshlrev_b32_sdwa v3, v6, v3 dst_sel:DWORD dst_unused:UNUSED_PAD src0_sel:DWORD src1_sel:WORD_0
	v_and_or_b32 v1, 0x8000, v3, v1
	v_lshl_or_b32 v45, v1, 16, v0
.LBB259_223:                            ;   in Loop: Header=BB259_12 Depth=1
	s_or_b32 exec_lo, exec_lo, s22
.LBB259_224:                            ;   in Loop: Header=BB259_12 Depth=1
	s_or_b32 exec_lo, exec_lo, s21
.LBB259_225:                            ;   in Loop: Header=BB259_12 Depth=1
	s_or_b32 exec_lo, exec_lo, s20
	v_lshrrev_b32_e32 v3, 16, v5
	v_mov_b32_e32 v47, 0
	v_mov_b32_e32 v56, 0
	v_cmp_ne_u16_sdwa s6, v3, v4 src0_sel:BYTE_0 src1_sel:DWORD
	s_and_saveexec_b32 s20, s6
	s_cbranch_execz .LBB259_233
; %bb.226:                              ;   in Loop: Header=BB259_12 Depth=1
	v_cmp_ne_u16_sdwa s6, v3, v66 src0_sel:BYTE_0 src1_sel:DWORD
	v_mov_b32_e32 v56, 0x8000
	s_and_saveexec_b32 s21, s6
	s_cbranch_execz .LBB259_232
; %bb.227:                              ;   in Loop: Header=BB259_12 Depth=1
	v_bfe_u32 v6, v5, 16, 7
	v_mov_b32_e32 v56, 0x7c01
	s_mov_b32 s22, exec_lo
	v_cmpx_ne_u32_e32 0x7f, v6
	s_cbranch_execz .LBB259_231
; %bb.228:                              ;   in Loop: Header=BB259_12 Depth=1
	v_and_b32_e32 v0, 7, v3
	v_lshrrev_b32_e32 v1, 3, v6
	s_mov_b32 s23, exec_lo
	v_cmpx_gt_u32_e32 8, v6
; %bb.229:                              ;   in Loop: Header=BB259_12 Depth=1
	v_ffbh_u32_e32 v0, v0
	v_min_u32_e32 v6, 32, v0
	v_subrev_nc_u32_e32 v0, 28, v6
	v_lshlrev_b64 v[0:1], v0, v[3:4]
	v_sub_nc_u32_e32 v1, 29, v6
	v_and_b32_e32 v0, 7, v0
; %bb.230:                              ;   in Loop: Header=BB259_12 Depth=1
	s_or_b32 exec_lo, exec_lo, s23
	v_lshlrev_b32_e32 v3, 8, v3
	v_lshl_add_u32 v1, v1, 10, 0x2000
	v_lshlrev_b32_e32 v0, 7, v0
	v_and_b32_e32 v3, 0x8000, v3
	v_and_b32_e32 v1, 0xfc00, v1
	v_or3_b32 v56, v3, v1, v0
.LBB259_231:                            ;   in Loop: Header=BB259_12 Depth=1
	s_or_b32 exec_lo, exec_lo, s22
.LBB259_232:                            ;   in Loop: Header=BB259_12 Depth=1
	s_or_b32 exec_lo, exec_lo, s21
.LBB259_233:                            ;   in Loop: Header=BB259_12 Depth=1
	s_or_b32 exec_lo, exec_lo, s20
	s_mov_b32 s20, exec_lo
	v_cmpx_lt_u32_e32 0xffffff, v5
	s_cbranch_execz .LBB259_241
; %bb.234:                              ;   in Loop: Header=BB259_12 Depth=1
	v_lshrrev_b32_e32 v3, 24, v5
	v_bfrev_b32_e32 v47, 1
	s_mov_b32 s21, exec_lo
	v_cmpx_ne_u32_e32 0x80, v3
	s_cbranch_execz .LBB259_240
; %bb.235:                              ;   in Loop: Header=BB259_12 Depth=1
	v_and_b32_e32 v5, 0x7f, v3
	v_mov_b32_e32 v47, 0x7c010000
	s_mov_b32 s22, exec_lo
	v_cmpx_ne_u32_e32 0x7f, v5
	s_cbranch_execz .LBB259_239
; %bb.236:                              ;   in Loop: Header=BB259_12 Depth=1
	v_and_b32_e32 v0, 7, v3
	v_lshrrev_b32_e32 v1, 3, v5
	s_mov_b32 s23, exec_lo
	v_cmpx_gt_u32_e32 8, v5
; %bb.237:                              ;   in Loop: Header=BB259_12 Depth=1
	v_ffbh_u32_e32 v0, v0
	v_min_u32_e32 v5, 32, v0
	v_subrev_nc_u32_e32 v0, 28, v5
	v_lshlrev_b64 v[0:1], v0, v[3:4]
	v_sub_nc_u32_e32 v1, 29, v5
	v_and_b32_e32 v0, 7, v0
; %bb.238:                              ;   in Loop: Header=BB259_12 Depth=1
	s_or_b32 exec_lo, exec_lo, s23
	v_lshlrev_b32_e32 v3, 8, v3
	v_lshl_add_u32 v1, v1, 10, 0x2000
	v_lshlrev_b32_e32 v0, 23, v0
	v_and_or_b32 v1, 0x8000, v3, v1
	v_lshl_or_b32 v47, v1, 16, v0
.LBB259_239:                            ;   in Loop: Header=BB259_12 Depth=1
	s_or_b32 exec_lo, exec_lo, s22
.LBB259_240:                            ;   in Loop: Header=BB259_12 Depth=1
	s_or_b32 exec_lo, exec_lo, s21
.LBB259_241:                            ;   in Loop: Header=BB259_12 Depth=1
	s_or_b32 exec_lo, exec_lo, s20
	flat_load_dword v5, v[27:28] offset:776
	v_mov_b32_e32 v57, 0
	v_mov_b32_e32 v58, 0
	s_waitcnt vmcnt(0) lgkmcnt(0)
	v_cmp_ne_u16_sdwa s6, v5, v4 src0_sel:BYTE_0 src1_sel:DWORD
	s_and_saveexec_b32 s20, s6
	s_cbranch_execz .LBB259_249
; %bb.242:                              ;   in Loop: Header=BB259_12 Depth=1
	v_cmp_ne_u16_sdwa s6, v5, v66 src0_sel:BYTE_0 src1_sel:DWORD
	v_mov_b32_e32 v58, 0x8000
	s_and_saveexec_b32 s21, s6
	s_cbranch_execz .LBB259_248
; %bb.243:                              ;   in Loop: Header=BB259_12 Depth=1
	v_and_b32_e32 v3, 0x7f, v5
	v_mov_b32_e32 v58, 0x7c01
	s_mov_b32 s22, exec_lo
	v_cmpx_ne_u32_e32 0x7f, v3
	s_cbranch_execz .LBB259_247
; %bb.244:                              ;   in Loop: Header=BB259_12 Depth=1
	v_and_b32_e32 v0, 7, v5
	v_lshrrev_b32_e32 v1, 3, v3
	s_mov_b32 s23, exec_lo
	v_cmpx_gt_u32_e32 8, v3
; %bb.245:                              ;   in Loop: Header=BB259_12 Depth=1
	v_ffbh_u32_e32 v0, v0
	v_min_u32_e32 v3, 32, v0
	v_subrev_nc_u32_e32 v0, 28, v3
	v_lshlrev_b64 v[0:1], v0, v[5:6]
	v_sub_nc_u32_e32 v1, 29, v3
	v_and_b32_e32 v0, 7, v0
; %bb.246:                              ;   in Loop: Header=BB259_12 Depth=1
	s_or_b32 exec_lo, exec_lo, s23
	v_lshlrev_b32_e32 v3, 8, v5
	v_lshl_add_u32 v1, v1, 10, 0x2000
	v_lshlrev_b32_e32 v0, 7, v0
	v_and_b32_e32 v3, 0x8000, v3
	v_and_b32_e32 v1, 0xfc00, v1
	v_or3_b32 v58, v3, v1, v0
.LBB259_247:                            ;   in Loop: Header=BB259_12 Depth=1
	s_or_b32 exec_lo, exec_lo, s22
.LBB259_248:                            ;   in Loop: Header=BB259_12 Depth=1
	s_or_b32 exec_lo, exec_lo, s21
.LBB259_249:                            ;   in Loop: Header=BB259_12 Depth=1
	s_or_b32 exec_lo, exec_lo, s20
	v_lshrrev_b16 v3, 8, v5
	s_mov_b32 s20, exec_lo
	v_cmpx_ne_u16_e32 0, v3
	s_cbranch_execz .LBB259_257
; %bb.250:                              ;   in Loop: Header=BB259_12 Depth=1
	v_bfrev_b32_e32 v57, 1
	s_mov_b32 s21, exec_lo
	v_cmpx_ne_u16_e32 0x80, v3
	s_cbranch_execz .LBB259_256
; %bb.251:                              ;   in Loop: Header=BB259_12 Depth=1
	v_and_b32_sdwa v6, v3, v68 dst_sel:DWORD dst_unused:UNUSED_PAD src0_sel:WORD_0 src1_sel:DWORD
	v_mov_b32_e32 v57, 0x7c010000
	s_mov_b32 s22, exec_lo
	v_cmpx_ne_u32_e32 0x7f, v6
	s_cbranch_execz .LBB259_255
; %bb.252:                              ;   in Loop: Header=BB259_12 Depth=1
	v_mov_b32_e32 v0, 7
	v_lshrrev_b32_e32 v1, 3, v6
	s_mov_b32 s23, exec_lo
	v_and_b32_sdwa v0, v3, v0 dst_sel:DWORD dst_unused:UNUSED_PAD src0_sel:WORD_0 src1_sel:DWORD
	v_cmpx_gt_u32_e32 8, v6
; %bb.253:                              ;   in Loop: Header=BB259_12 Depth=1
	v_ffbh_u32_e32 v0, v0
	v_min_u32_e32 v6, 32, v0
	v_subrev_nc_u32_e32 v0, 28, v6
	v_lshlrev_b64 v[0:1], v0, v[3:4]
	v_sub_nc_u32_e32 v1, 29, v6
	v_and_b32_e32 v0, 7, v0
; %bb.254:                              ;   in Loop: Header=BB259_12 Depth=1
	s_or_b32 exec_lo, exec_lo, s23
	v_mov_b32_e32 v6, 8
	v_lshl_add_u32 v1, v1, 10, 0x2000
	v_lshlrev_b32_e32 v0, 23, v0
	v_lshlrev_b32_sdwa v3, v6, v3 dst_sel:DWORD dst_unused:UNUSED_PAD src0_sel:DWORD src1_sel:WORD_0
	v_and_or_b32 v1, 0x8000, v3, v1
	v_lshl_or_b32 v57, v1, 16, v0
.LBB259_255:                            ;   in Loop: Header=BB259_12 Depth=1
	s_or_b32 exec_lo, exec_lo, s22
.LBB259_256:                            ;   in Loop: Header=BB259_12 Depth=1
	s_or_b32 exec_lo, exec_lo, s21
.LBB259_257:                            ;   in Loop: Header=BB259_12 Depth=1
	s_or_b32 exec_lo, exec_lo, s20
	v_lshrrev_b32_e32 v3, 16, v5
	v_mov_b32_e32 v59, 0
	v_mov_b32_e32 v60, 0
	v_cmp_ne_u16_sdwa s6, v3, v4 src0_sel:BYTE_0 src1_sel:DWORD
	s_and_saveexec_b32 s20, s6
	s_cbranch_execz .LBB259_265
; %bb.258:                              ;   in Loop: Header=BB259_12 Depth=1
	v_cmp_ne_u16_sdwa s6, v3, v66 src0_sel:BYTE_0 src1_sel:DWORD
	v_mov_b32_e32 v60, 0x8000
	s_and_saveexec_b32 s21, s6
	s_cbranch_execz .LBB259_264
; %bb.259:                              ;   in Loop: Header=BB259_12 Depth=1
	v_bfe_u32 v6, v5, 16, 7
	v_mov_b32_e32 v60, 0x7c01
	s_mov_b32 s22, exec_lo
	v_cmpx_ne_u32_e32 0x7f, v6
	s_cbranch_execz .LBB259_263
; %bb.260:                              ;   in Loop: Header=BB259_12 Depth=1
	v_and_b32_e32 v0, 7, v3
	v_lshrrev_b32_e32 v1, 3, v6
	s_mov_b32 s23, exec_lo
	v_cmpx_gt_u32_e32 8, v6
; %bb.261:                              ;   in Loop: Header=BB259_12 Depth=1
	v_ffbh_u32_e32 v0, v0
	v_min_u32_e32 v6, 32, v0
	v_subrev_nc_u32_e32 v0, 28, v6
	v_lshlrev_b64 v[0:1], v0, v[3:4]
	v_sub_nc_u32_e32 v1, 29, v6
	v_and_b32_e32 v0, 7, v0
; %bb.262:                              ;   in Loop: Header=BB259_12 Depth=1
	s_or_b32 exec_lo, exec_lo, s23
	v_lshlrev_b32_e32 v3, 8, v3
	v_lshl_add_u32 v1, v1, 10, 0x2000
	v_lshlrev_b32_e32 v0, 7, v0
	v_and_b32_e32 v3, 0x8000, v3
	v_and_b32_e32 v1, 0xfc00, v1
	v_or3_b32 v60, v3, v1, v0
.LBB259_263:                            ;   in Loop: Header=BB259_12 Depth=1
	s_or_b32 exec_lo, exec_lo, s22
.LBB259_264:                            ;   in Loop: Header=BB259_12 Depth=1
	s_or_b32 exec_lo, exec_lo, s21
.LBB259_265:                            ;   in Loop: Header=BB259_12 Depth=1
	s_or_b32 exec_lo, exec_lo, s20
	s_mov_b32 s20, exec_lo
	v_cmpx_lt_u32_e32 0xffffff, v5
	s_cbranch_execz .LBB259_273
; %bb.266:                              ;   in Loop: Header=BB259_12 Depth=1
	v_lshrrev_b32_e32 v3, 24, v5
	v_bfrev_b32_e32 v59, 1
	s_mov_b32 s21, exec_lo
	v_cmpx_ne_u32_e32 0x80, v3
	s_cbranch_execz .LBB259_272
; %bb.267:                              ;   in Loop: Header=BB259_12 Depth=1
	v_and_b32_e32 v5, 0x7f, v3
	v_mov_b32_e32 v59, 0x7c010000
	s_mov_b32 s22, exec_lo
	v_cmpx_ne_u32_e32 0x7f, v5
	s_cbranch_execz .LBB259_271
; %bb.268:                              ;   in Loop: Header=BB259_12 Depth=1
	v_and_b32_e32 v0, 7, v3
	v_lshrrev_b32_e32 v1, 3, v5
	s_mov_b32 s23, exec_lo
	v_cmpx_gt_u32_e32 8, v5
; %bb.269:                              ;   in Loop: Header=BB259_12 Depth=1
	v_ffbh_u32_e32 v0, v0
	v_min_u32_e32 v5, 32, v0
	v_subrev_nc_u32_e32 v0, 28, v5
	v_lshlrev_b64 v[0:1], v0, v[3:4]
	v_sub_nc_u32_e32 v1, 29, v5
	v_and_b32_e32 v0, 7, v0
; %bb.270:                              ;   in Loop: Header=BB259_12 Depth=1
	s_or_b32 exec_lo, exec_lo, s23
	v_lshlrev_b32_e32 v3, 8, v3
	v_lshl_add_u32 v1, v1, 10, 0x2000
	v_lshlrev_b32_e32 v0, 23, v0
	v_and_or_b32 v1, 0x8000, v3, v1
	v_lshl_or_b32 v59, v1, 16, v0
.LBB259_271:                            ;   in Loop: Header=BB259_12 Depth=1
	s_or_b32 exec_lo, exec_lo, s22
.LBB259_272:                            ;   in Loop: Header=BB259_12 Depth=1
	s_or_b32 exec_lo, exec_lo, s21
.LBB259_273:                            ;   in Loop: Header=BB259_12 Depth=1
	s_or_b32 exec_lo, exec_lo, s20
	flat_load_dword v5, v[27:28] offset:1024
	v_mov_b32_e32 v61, 0
	v_mov_b32_e32 v62, 0
	s_waitcnt vmcnt(0) lgkmcnt(0)
	v_cmp_ne_u16_sdwa s6, v5, v4 src0_sel:BYTE_0 src1_sel:DWORD
	s_and_saveexec_b32 s20, s6
	s_cbranch_execz .LBB259_281
; %bb.274:                              ;   in Loop: Header=BB259_12 Depth=1
	v_cmp_ne_u16_sdwa s6, v5, v66 src0_sel:BYTE_0 src1_sel:DWORD
	v_mov_b32_e32 v62, 0x8000
	s_and_saveexec_b32 s21, s6
	s_cbranch_execz .LBB259_280
; %bb.275:                              ;   in Loop: Header=BB259_12 Depth=1
	v_and_b32_e32 v3, 0x7f, v5
	v_mov_b32_e32 v62, 0x7c01
	s_mov_b32 s22, exec_lo
	v_cmpx_ne_u32_e32 0x7f, v3
	s_cbranch_execz .LBB259_279
; %bb.276:                              ;   in Loop: Header=BB259_12 Depth=1
	v_and_b32_e32 v0, 7, v5
	v_lshrrev_b32_e32 v1, 3, v3
	s_mov_b32 s23, exec_lo
	v_cmpx_gt_u32_e32 8, v3
; %bb.277:                              ;   in Loop: Header=BB259_12 Depth=1
	v_ffbh_u32_e32 v0, v0
	v_min_u32_e32 v3, 32, v0
	v_subrev_nc_u32_e32 v0, 28, v3
	v_lshlrev_b64 v[0:1], v0, v[5:6]
	v_sub_nc_u32_e32 v1, 29, v3
	v_and_b32_e32 v0, 7, v0
; %bb.278:                              ;   in Loop: Header=BB259_12 Depth=1
	s_or_b32 exec_lo, exec_lo, s23
	v_lshlrev_b32_e32 v3, 8, v5
	v_lshl_add_u32 v1, v1, 10, 0x2000
	v_lshlrev_b32_e32 v0, 7, v0
	v_and_b32_e32 v3, 0x8000, v3
	v_and_b32_e32 v1, 0xfc00, v1
	v_or3_b32 v62, v3, v1, v0
.LBB259_279:                            ;   in Loop: Header=BB259_12 Depth=1
	s_or_b32 exec_lo, exec_lo, s22
.LBB259_280:                            ;   in Loop: Header=BB259_12 Depth=1
	s_or_b32 exec_lo, exec_lo, s21
.LBB259_281:                            ;   in Loop: Header=BB259_12 Depth=1
	s_or_b32 exec_lo, exec_lo, s20
	v_lshrrev_b16 v3, 8, v5
	s_mov_b32 s20, exec_lo
	v_cmpx_ne_u16_e32 0, v3
	s_cbranch_execz .LBB259_289
; %bb.282:                              ;   in Loop: Header=BB259_12 Depth=1
	v_bfrev_b32_e32 v61, 1
	s_mov_b32 s21, exec_lo
	v_cmpx_ne_u16_e32 0x80, v3
	s_cbranch_execz .LBB259_288
; %bb.283:                              ;   in Loop: Header=BB259_12 Depth=1
	v_and_b32_sdwa v6, v3, v68 dst_sel:DWORD dst_unused:UNUSED_PAD src0_sel:WORD_0 src1_sel:DWORD
	v_mov_b32_e32 v61, 0x7c010000
	s_mov_b32 s22, exec_lo
	v_cmpx_ne_u32_e32 0x7f, v6
	s_cbranch_execz .LBB259_287
; %bb.284:                              ;   in Loop: Header=BB259_12 Depth=1
	v_mov_b32_e32 v0, 7
	v_lshrrev_b32_e32 v1, 3, v6
	s_mov_b32 s23, exec_lo
	v_and_b32_sdwa v0, v3, v0 dst_sel:DWORD dst_unused:UNUSED_PAD src0_sel:WORD_0 src1_sel:DWORD
	v_cmpx_gt_u32_e32 8, v6
; %bb.285:                              ;   in Loop: Header=BB259_12 Depth=1
	v_ffbh_u32_e32 v0, v0
	v_min_u32_e32 v6, 32, v0
	v_subrev_nc_u32_e32 v0, 28, v6
	v_lshlrev_b64 v[0:1], v0, v[3:4]
	v_sub_nc_u32_e32 v1, 29, v6
	v_and_b32_e32 v0, 7, v0
; %bb.286:                              ;   in Loop: Header=BB259_12 Depth=1
	s_or_b32 exec_lo, exec_lo, s23
	v_mov_b32_e32 v6, 8
	v_lshl_add_u32 v1, v1, 10, 0x2000
	v_lshlrev_b32_e32 v0, 23, v0
	v_lshlrev_b32_sdwa v3, v6, v3 dst_sel:DWORD dst_unused:UNUSED_PAD src0_sel:DWORD src1_sel:WORD_0
	v_and_or_b32 v1, 0x8000, v3, v1
	v_lshl_or_b32 v61, v1, 16, v0
.LBB259_287:                            ;   in Loop: Header=BB259_12 Depth=1
	s_or_b32 exec_lo, exec_lo, s22
.LBB259_288:                            ;   in Loop: Header=BB259_12 Depth=1
	s_or_b32 exec_lo, exec_lo, s21
.LBB259_289:                            ;   in Loop: Header=BB259_12 Depth=1
	s_or_b32 exec_lo, exec_lo, s20
	v_lshrrev_b32_e32 v3, 16, v5
	v_mov_b32_e32 v63, 0
	v_mov_b32_e32 v72, 0
	v_cmp_ne_u16_sdwa s6, v3, v4 src0_sel:BYTE_0 src1_sel:DWORD
	s_and_saveexec_b32 s20, s6
	s_cbranch_execz .LBB259_297
; %bb.290:                              ;   in Loop: Header=BB259_12 Depth=1
	v_cmp_ne_u16_sdwa s6, v3, v66 src0_sel:BYTE_0 src1_sel:DWORD
	v_mov_b32_e32 v72, 0x8000
	s_and_saveexec_b32 s21, s6
	s_cbranch_execz .LBB259_296
; %bb.291:                              ;   in Loop: Header=BB259_12 Depth=1
	v_bfe_u32 v6, v5, 16, 7
	v_mov_b32_e32 v72, 0x7c01
	s_mov_b32 s22, exec_lo
	v_cmpx_ne_u32_e32 0x7f, v6
	s_cbranch_execz .LBB259_295
; %bb.292:                              ;   in Loop: Header=BB259_12 Depth=1
	v_and_b32_e32 v0, 7, v3
	v_lshrrev_b32_e32 v1, 3, v6
	s_mov_b32 s23, exec_lo
	v_cmpx_gt_u32_e32 8, v6
; %bb.293:                              ;   in Loop: Header=BB259_12 Depth=1
	v_ffbh_u32_e32 v0, v0
	v_min_u32_e32 v6, 32, v0
	v_subrev_nc_u32_e32 v0, 28, v6
	v_lshlrev_b64 v[0:1], v0, v[3:4]
	v_sub_nc_u32_e32 v1, 29, v6
	v_and_b32_e32 v0, 7, v0
; %bb.294:                              ;   in Loop: Header=BB259_12 Depth=1
	s_or_b32 exec_lo, exec_lo, s23
	v_lshlrev_b32_e32 v3, 8, v3
	v_lshl_add_u32 v1, v1, 10, 0x2000
	v_lshlrev_b32_e32 v0, 7, v0
	v_and_b32_e32 v3, 0x8000, v3
	v_and_b32_e32 v1, 0xfc00, v1
	v_or3_b32 v72, v3, v1, v0
.LBB259_295:                            ;   in Loop: Header=BB259_12 Depth=1
	s_or_b32 exec_lo, exec_lo, s22
.LBB259_296:                            ;   in Loop: Header=BB259_12 Depth=1
	s_or_b32 exec_lo, exec_lo, s21
.LBB259_297:                            ;   in Loop: Header=BB259_12 Depth=1
	s_or_b32 exec_lo, exec_lo, s20
	s_mov_b32 s20, exec_lo
	v_cmpx_lt_u32_e32 0xffffff, v5
	s_cbranch_execz .LBB259_305
; %bb.298:                              ;   in Loop: Header=BB259_12 Depth=1
	v_lshrrev_b32_e32 v3, 24, v5
	v_bfrev_b32_e32 v63, 1
	s_mov_b32 s21, exec_lo
	v_cmpx_ne_u32_e32 0x80, v3
	s_cbranch_execz .LBB259_304
; %bb.299:                              ;   in Loop: Header=BB259_12 Depth=1
	v_and_b32_e32 v5, 0x7f, v3
	v_mov_b32_e32 v63, 0x7c010000
	s_mov_b32 s22, exec_lo
	v_cmpx_ne_u32_e32 0x7f, v5
	s_cbranch_execz .LBB259_303
; %bb.300:                              ;   in Loop: Header=BB259_12 Depth=1
	v_and_b32_e32 v0, 7, v3
	v_lshrrev_b32_e32 v1, 3, v5
	s_mov_b32 s23, exec_lo
	v_cmpx_gt_u32_e32 8, v5
; %bb.301:                              ;   in Loop: Header=BB259_12 Depth=1
	v_ffbh_u32_e32 v0, v0
	v_min_u32_e32 v5, 32, v0
	v_subrev_nc_u32_e32 v0, 28, v5
	v_lshlrev_b64 v[0:1], v0, v[3:4]
	v_sub_nc_u32_e32 v1, 29, v5
	v_and_b32_e32 v0, 7, v0
; %bb.302:                              ;   in Loop: Header=BB259_12 Depth=1
	s_or_b32 exec_lo, exec_lo, s23
	v_lshlrev_b32_e32 v3, 8, v3
	v_lshl_add_u32 v1, v1, 10, 0x2000
	v_lshlrev_b32_e32 v0, 23, v0
	v_and_or_b32 v1, 0x8000, v3, v1
	v_lshl_or_b32 v63, v1, 16, v0
.LBB259_303:                            ;   in Loop: Header=BB259_12 Depth=1
	s_or_b32 exec_lo, exec_lo, s22
.LBB259_304:                            ;   in Loop: Header=BB259_12 Depth=1
	s_or_b32 exec_lo, exec_lo, s21
.LBB259_305:                            ;   in Loop: Header=BB259_12 Depth=1
	s_or_b32 exec_lo, exec_lo, s20
	flat_load_dword v5, v[27:28] offset:1032
	v_mov_b32_e32 v73, 0
	v_mov_b32_e32 v74, 0
	s_waitcnt vmcnt(0) lgkmcnt(0)
	v_cmp_ne_u16_sdwa s6, v5, v4 src0_sel:BYTE_0 src1_sel:DWORD
	s_and_saveexec_b32 s20, s6
	s_cbranch_execz .LBB259_313
; %bb.306:                              ;   in Loop: Header=BB259_12 Depth=1
	v_cmp_ne_u16_sdwa s6, v5, v66 src0_sel:BYTE_0 src1_sel:DWORD
	v_mov_b32_e32 v74, 0x8000
	s_and_saveexec_b32 s21, s6
	s_cbranch_execz .LBB259_312
; %bb.307:                              ;   in Loop: Header=BB259_12 Depth=1
	v_and_b32_e32 v3, 0x7f, v5
	v_mov_b32_e32 v74, 0x7c01
	s_mov_b32 s22, exec_lo
	v_cmpx_ne_u32_e32 0x7f, v3
	s_cbranch_execz .LBB259_311
; %bb.308:                              ;   in Loop: Header=BB259_12 Depth=1
	v_and_b32_e32 v0, 7, v5
	v_lshrrev_b32_e32 v1, 3, v3
	s_mov_b32 s23, exec_lo
	v_cmpx_gt_u32_e32 8, v3
; %bb.309:                              ;   in Loop: Header=BB259_12 Depth=1
	v_ffbh_u32_e32 v0, v0
	v_min_u32_e32 v3, 32, v0
	v_subrev_nc_u32_e32 v0, 28, v3
	v_lshlrev_b64 v[0:1], v0, v[5:6]
	v_sub_nc_u32_e32 v1, 29, v3
	v_and_b32_e32 v0, 7, v0
; %bb.310:                              ;   in Loop: Header=BB259_12 Depth=1
	s_or_b32 exec_lo, exec_lo, s23
	v_lshlrev_b32_e32 v3, 8, v5
	v_lshl_add_u32 v1, v1, 10, 0x2000
	v_lshlrev_b32_e32 v0, 7, v0
	v_and_b32_e32 v3, 0x8000, v3
	v_and_b32_e32 v1, 0xfc00, v1
	v_or3_b32 v74, v3, v1, v0
.LBB259_311:                            ;   in Loop: Header=BB259_12 Depth=1
	s_or_b32 exec_lo, exec_lo, s22
.LBB259_312:                            ;   in Loop: Header=BB259_12 Depth=1
	s_or_b32 exec_lo, exec_lo, s21
.LBB259_313:                            ;   in Loop: Header=BB259_12 Depth=1
	s_or_b32 exec_lo, exec_lo, s20
	v_lshrrev_b16 v3, 8, v5
	s_mov_b32 s20, exec_lo
	v_cmpx_ne_u16_e32 0, v3
	s_cbranch_execz .LBB259_321
; %bb.314:                              ;   in Loop: Header=BB259_12 Depth=1
	v_bfrev_b32_e32 v73, 1
	s_mov_b32 s21, exec_lo
	v_cmpx_ne_u16_e32 0x80, v3
	s_cbranch_execz .LBB259_320
; %bb.315:                              ;   in Loop: Header=BB259_12 Depth=1
	v_and_b32_sdwa v6, v3, v68 dst_sel:DWORD dst_unused:UNUSED_PAD src0_sel:WORD_0 src1_sel:DWORD
	v_mov_b32_e32 v73, 0x7c010000
	s_mov_b32 s22, exec_lo
	v_cmpx_ne_u32_e32 0x7f, v6
	s_cbranch_execz .LBB259_319
; %bb.316:                              ;   in Loop: Header=BB259_12 Depth=1
	v_mov_b32_e32 v0, 7
	v_lshrrev_b32_e32 v1, 3, v6
	s_mov_b32 s23, exec_lo
	v_and_b32_sdwa v0, v3, v0 dst_sel:DWORD dst_unused:UNUSED_PAD src0_sel:WORD_0 src1_sel:DWORD
	v_cmpx_gt_u32_e32 8, v6
; %bb.317:                              ;   in Loop: Header=BB259_12 Depth=1
	v_ffbh_u32_e32 v0, v0
	v_min_u32_e32 v6, 32, v0
	v_subrev_nc_u32_e32 v0, 28, v6
	v_lshlrev_b64 v[0:1], v0, v[3:4]
	v_sub_nc_u32_e32 v1, 29, v6
	v_and_b32_e32 v0, 7, v0
; %bb.318:                              ;   in Loop: Header=BB259_12 Depth=1
	s_or_b32 exec_lo, exec_lo, s23
	v_mov_b32_e32 v6, 8
	v_lshl_add_u32 v1, v1, 10, 0x2000
	v_lshlrev_b32_e32 v0, 23, v0
	v_lshlrev_b32_sdwa v3, v6, v3 dst_sel:DWORD dst_unused:UNUSED_PAD src0_sel:DWORD src1_sel:WORD_0
	v_and_or_b32 v1, 0x8000, v3, v1
	v_lshl_or_b32 v73, v1, 16, v0
.LBB259_319:                            ;   in Loop: Header=BB259_12 Depth=1
	s_or_b32 exec_lo, exec_lo, s22
.LBB259_320:                            ;   in Loop: Header=BB259_12 Depth=1
	s_or_b32 exec_lo, exec_lo, s21
.LBB259_321:                            ;   in Loop: Header=BB259_12 Depth=1
	s_or_b32 exec_lo, exec_lo, s20
	v_lshrrev_b32_e32 v3, 16, v5
	v_mov_b32_e32 v75, 0
	v_mov_b32_e32 v76, 0
	v_cmp_ne_u16_sdwa s6, v3, v4 src0_sel:BYTE_0 src1_sel:DWORD
	s_and_saveexec_b32 s20, s6
	s_cbranch_execz .LBB259_329
; %bb.322:                              ;   in Loop: Header=BB259_12 Depth=1
	v_cmp_ne_u16_sdwa s6, v3, v66 src0_sel:BYTE_0 src1_sel:DWORD
	v_mov_b32_e32 v76, 0x8000
	s_and_saveexec_b32 s21, s6
	s_cbranch_execz .LBB259_328
; %bb.323:                              ;   in Loop: Header=BB259_12 Depth=1
	v_bfe_u32 v6, v5, 16, 7
	v_mov_b32_e32 v76, 0x7c01
	s_mov_b32 s22, exec_lo
	v_cmpx_ne_u32_e32 0x7f, v6
	s_cbranch_execz .LBB259_327
; %bb.324:                              ;   in Loop: Header=BB259_12 Depth=1
	v_and_b32_e32 v0, 7, v3
	v_lshrrev_b32_e32 v1, 3, v6
	s_mov_b32 s23, exec_lo
	v_cmpx_gt_u32_e32 8, v6
; %bb.325:                              ;   in Loop: Header=BB259_12 Depth=1
	v_ffbh_u32_e32 v0, v0
	v_min_u32_e32 v6, 32, v0
	v_subrev_nc_u32_e32 v0, 28, v6
	v_lshlrev_b64 v[0:1], v0, v[3:4]
	v_sub_nc_u32_e32 v1, 29, v6
	v_and_b32_e32 v0, 7, v0
; %bb.326:                              ;   in Loop: Header=BB259_12 Depth=1
	s_or_b32 exec_lo, exec_lo, s23
	v_lshlrev_b32_e32 v3, 8, v3
	v_lshl_add_u32 v1, v1, 10, 0x2000
	v_lshlrev_b32_e32 v0, 7, v0
	v_and_b32_e32 v3, 0x8000, v3
	v_and_b32_e32 v1, 0xfc00, v1
	v_or3_b32 v76, v3, v1, v0
.LBB259_327:                            ;   in Loop: Header=BB259_12 Depth=1
	s_or_b32 exec_lo, exec_lo, s22
.LBB259_328:                            ;   in Loop: Header=BB259_12 Depth=1
	s_or_b32 exec_lo, exec_lo, s21
.LBB259_329:                            ;   in Loop: Header=BB259_12 Depth=1
	s_or_b32 exec_lo, exec_lo, s20
	s_mov_b32 s20, exec_lo
	v_cmpx_lt_u32_e32 0xffffff, v5
	s_cbranch_execz .LBB259_337
; %bb.330:                              ;   in Loop: Header=BB259_12 Depth=1
	v_lshrrev_b32_e32 v3, 24, v5
	v_bfrev_b32_e32 v75, 1
	s_mov_b32 s21, exec_lo
	v_cmpx_ne_u32_e32 0x80, v3
	s_cbranch_execz .LBB259_336
; %bb.331:                              ;   in Loop: Header=BB259_12 Depth=1
	v_and_b32_e32 v5, 0x7f, v3
	v_mov_b32_e32 v75, 0x7c010000
	s_mov_b32 s22, exec_lo
	v_cmpx_ne_u32_e32 0x7f, v5
	s_cbranch_execz .LBB259_335
; %bb.332:                              ;   in Loop: Header=BB259_12 Depth=1
	v_and_b32_e32 v0, 7, v3
	v_lshrrev_b32_e32 v1, 3, v5
	s_mov_b32 s23, exec_lo
	v_cmpx_gt_u32_e32 8, v5
; %bb.333:                              ;   in Loop: Header=BB259_12 Depth=1
	v_ffbh_u32_e32 v0, v0
	v_min_u32_e32 v5, 32, v0
	v_subrev_nc_u32_e32 v0, 28, v5
	v_lshlrev_b64 v[0:1], v0, v[3:4]
	v_sub_nc_u32_e32 v1, 29, v5
	v_and_b32_e32 v0, 7, v0
; %bb.334:                              ;   in Loop: Header=BB259_12 Depth=1
	s_or_b32 exec_lo, exec_lo, s23
	v_lshlrev_b32_e32 v3, 8, v3
	v_lshl_add_u32 v1, v1, 10, 0x2000
	v_lshlrev_b32_e32 v0, 23, v0
	v_and_or_b32 v1, 0x8000, v3, v1
	v_lshl_or_b32 v75, v1, 16, v0
.LBB259_335:                            ;   in Loop: Header=BB259_12 Depth=1
	s_or_b32 exec_lo, exec_lo, s22
.LBB259_336:                            ;   in Loop: Header=BB259_12 Depth=1
	s_or_b32 exec_lo, exec_lo, s21
.LBB259_337:                            ;   in Loop: Header=BB259_12 Depth=1
	s_or_b32 exec_lo, exec_lo, s20
	flat_load_dword v5, v[27:28] offset:1280
	v_mov_b32_e32 v77, 0
	v_mov_b32_e32 v78, 0
	s_waitcnt vmcnt(0) lgkmcnt(0)
	v_cmp_ne_u16_sdwa s6, v5, v4 src0_sel:BYTE_0 src1_sel:DWORD
	s_and_saveexec_b32 s20, s6
	s_cbranch_execz .LBB259_345
; %bb.338:                              ;   in Loop: Header=BB259_12 Depth=1
	v_cmp_ne_u16_sdwa s6, v5, v66 src0_sel:BYTE_0 src1_sel:DWORD
	v_mov_b32_e32 v78, 0x8000
	s_and_saveexec_b32 s21, s6
	s_cbranch_execz .LBB259_344
; %bb.339:                              ;   in Loop: Header=BB259_12 Depth=1
	v_and_b32_e32 v3, 0x7f, v5
	v_mov_b32_e32 v78, 0x7c01
	s_mov_b32 s22, exec_lo
	v_cmpx_ne_u32_e32 0x7f, v3
	s_cbranch_execz .LBB259_343
; %bb.340:                              ;   in Loop: Header=BB259_12 Depth=1
	v_and_b32_e32 v0, 7, v5
	v_lshrrev_b32_e32 v1, 3, v3
	s_mov_b32 s23, exec_lo
	v_cmpx_gt_u32_e32 8, v3
; %bb.341:                              ;   in Loop: Header=BB259_12 Depth=1
	v_ffbh_u32_e32 v0, v0
	v_min_u32_e32 v3, 32, v0
	v_subrev_nc_u32_e32 v0, 28, v3
	v_lshlrev_b64 v[0:1], v0, v[5:6]
	v_sub_nc_u32_e32 v1, 29, v3
	v_and_b32_e32 v0, 7, v0
; %bb.342:                              ;   in Loop: Header=BB259_12 Depth=1
	s_or_b32 exec_lo, exec_lo, s23
	v_lshlrev_b32_e32 v3, 8, v5
	v_lshl_add_u32 v1, v1, 10, 0x2000
	v_lshlrev_b32_e32 v0, 7, v0
	v_and_b32_e32 v3, 0x8000, v3
	v_and_b32_e32 v1, 0xfc00, v1
	v_or3_b32 v78, v3, v1, v0
.LBB259_343:                            ;   in Loop: Header=BB259_12 Depth=1
	s_or_b32 exec_lo, exec_lo, s22
.LBB259_344:                            ;   in Loop: Header=BB259_12 Depth=1
	s_or_b32 exec_lo, exec_lo, s21
.LBB259_345:                            ;   in Loop: Header=BB259_12 Depth=1
	s_or_b32 exec_lo, exec_lo, s20
	v_lshrrev_b16 v3, 8, v5
	s_mov_b32 s20, exec_lo
	v_cmpx_ne_u16_e32 0, v3
	s_cbranch_execz .LBB259_353
; %bb.346:                              ;   in Loop: Header=BB259_12 Depth=1
	v_bfrev_b32_e32 v77, 1
	s_mov_b32 s21, exec_lo
	v_cmpx_ne_u16_e32 0x80, v3
	s_cbranch_execz .LBB259_352
; %bb.347:                              ;   in Loop: Header=BB259_12 Depth=1
	v_and_b32_sdwa v6, v3, v68 dst_sel:DWORD dst_unused:UNUSED_PAD src0_sel:WORD_0 src1_sel:DWORD
	v_mov_b32_e32 v77, 0x7c010000
	s_mov_b32 s22, exec_lo
	v_cmpx_ne_u32_e32 0x7f, v6
	s_cbranch_execz .LBB259_351
; %bb.348:                              ;   in Loop: Header=BB259_12 Depth=1
	v_mov_b32_e32 v0, 7
	v_lshrrev_b32_e32 v1, 3, v6
	s_mov_b32 s23, exec_lo
	v_and_b32_sdwa v0, v3, v0 dst_sel:DWORD dst_unused:UNUSED_PAD src0_sel:WORD_0 src1_sel:DWORD
	v_cmpx_gt_u32_e32 8, v6
; %bb.349:                              ;   in Loop: Header=BB259_12 Depth=1
	v_ffbh_u32_e32 v0, v0
	v_min_u32_e32 v6, 32, v0
	v_subrev_nc_u32_e32 v0, 28, v6
	v_lshlrev_b64 v[0:1], v0, v[3:4]
	v_sub_nc_u32_e32 v1, 29, v6
	v_and_b32_e32 v0, 7, v0
; %bb.350:                              ;   in Loop: Header=BB259_12 Depth=1
	s_or_b32 exec_lo, exec_lo, s23
	v_mov_b32_e32 v6, 8
	v_lshl_add_u32 v1, v1, 10, 0x2000
	v_lshlrev_b32_e32 v0, 23, v0
	v_lshlrev_b32_sdwa v3, v6, v3 dst_sel:DWORD dst_unused:UNUSED_PAD src0_sel:DWORD src1_sel:WORD_0
	v_and_or_b32 v1, 0x8000, v3, v1
	v_lshl_or_b32 v77, v1, 16, v0
.LBB259_351:                            ;   in Loop: Header=BB259_12 Depth=1
	s_or_b32 exec_lo, exec_lo, s22
.LBB259_352:                            ;   in Loop: Header=BB259_12 Depth=1
	s_or_b32 exec_lo, exec_lo, s21
.LBB259_353:                            ;   in Loop: Header=BB259_12 Depth=1
	s_or_b32 exec_lo, exec_lo, s20
	v_lshrrev_b32_e32 v3, 16, v5
	v_mov_b32_e32 v79, 0
	v_mov_b32_e32 v88, 0
	v_cmp_ne_u16_sdwa s6, v3, v4 src0_sel:BYTE_0 src1_sel:DWORD
	s_and_saveexec_b32 s20, s6
	s_cbranch_execz .LBB259_361
; %bb.354:                              ;   in Loop: Header=BB259_12 Depth=1
	v_cmp_ne_u16_sdwa s6, v3, v66 src0_sel:BYTE_0 src1_sel:DWORD
	v_mov_b32_e32 v88, 0x8000
	s_and_saveexec_b32 s21, s6
	s_cbranch_execz .LBB259_360
; %bb.355:                              ;   in Loop: Header=BB259_12 Depth=1
	v_bfe_u32 v6, v5, 16, 7
	v_mov_b32_e32 v88, 0x7c01
	s_mov_b32 s22, exec_lo
	v_cmpx_ne_u32_e32 0x7f, v6
	s_cbranch_execz .LBB259_359
; %bb.356:                              ;   in Loop: Header=BB259_12 Depth=1
	v_and_b32_e32 v0, 7, v3
	v_lshrrev_b32_e32 v1, 3, v6
	s_mov_b32 s23, exec_lo
	v_cmpx_gt_u32_e32 8, v6
; %bb.357:                              ;   in Loop: Header=BB259_12 Depth=1
	v_ffbh_u32_e32 v0, v0
	v_min_u32_e32 v6, 32, v0
	v_subrev_nc_u32_e32 v0, 28, v6
	v_lshlrev_b64 v[0:1], v0, v[3:4]
	v_sub_nc_u32_e32 v1, 29, v6
	v_and_b32_e32 v0, 7, v0
; %bb.358:                              ;   in Loop: Header=BB259_12 Depth=1
	s_or_b32 exec_lo, exec_lo, s23
	v_lshlrev_b32_e32 v3, 8, v3
	v_lshl_add_u32 v1, v1, 10, 0x2000
	v_lshlrev_b32_e32 v0, 7, v0
	v_and_b32_e32 v3, 0x8000, v3
	v_and_b32_e32 v1, 0xfc00, v1
	v_or3_b32 v88, v3, v1, v0
.LBB259_359:                            ;   in Loop: Header=BB259_12 Depth=1
	s_or_b32 exec_lo, exec_lo, s22
.LBB259_360:                            ;   in Loop: Header=BB259_12 Depth=1
	s_or_b32 exec_lo, exec_lo, s21
.LBB259_361:                            ;   in Loop: Header=BB259_12 Depth=1
	s_or_b32 exec_lo, exec_lo, s20
	s_mov_b32 s20, exec_lo
	v_cmpx_lt_u32_e32 0xffffff, v5
	s_cbranch_execz .LBB259_369
; %bb.362:                              ;   in Loop: Header=BB259_12 Depth=1
	v_lshrrev_b32_e32 v3, 24, v5
	v_bfrev_b32_e32 v79, 1
	s_mov_b32 s21, exec_lo
	v_cmpx_ne_u32_e32 0x80, v3
	s_cbranch_execz .LBB259_368
; %bb.363:                              ;   in Loop: Header=BB259_12 Depth=1
	v_and_b32_e32 v5, 0x7f, v3
	v_mov_b32_e32 v79, 0x7c010000
	s_mov_b32 s22, exec_lo
	v_cmpx_ne_u32_e32 0x7f, v5
	s_cbranch_execz .LBB259_367
; %bb.364:                              ;   in Loop: Header=BB259_12 Depth=1
	v_and_b32_e32 v0, 7, v3
	v_lshrrev_b32_e32 v1, 3, v5
	s_mov_b32 s23, exec_lo
	v_cmpx_gt_u32_e32 8, v5
; %bb.365:                              ;   in Loop: Header=BB259_12 Depth=1
	v_ffbh_u32_e32 v0, v0
	v_min_u32_e32 v5, 32, v0
	v_subrev_nc_u32_e32 v0, 28, v5
	v_lshlrev_b64 v[0:1], v0, v[3:4]
	v_sub_nc_u32_e32 v1, 29, v5
	v_and_b32_e32 v0, 7, v0
; %bb.366:                              ;   in Loop: Header=BB259_12 Depth=1
	s_or_b32 exec_lo, exec_lo, s23
	v_lshlrev_b32_e32 v3, 8, v3
	v_lshl_add_u32 v1, v1, 10, 0x2000
	v_lshlrev_b32_e32 v0, 23, v0
	v_and_or_b32 v1, 0x8000, v3, v1
	v_lshl_or_b32 v79, v1, 16, v0
.LBB259_367:                            ;   in Loop: Header=BB259_12 Depth=1
	s_or_b32 exec_lo, exec_lo, s22
.LBB259_368:                            ;   in Loop: Header=BB259_12 Depth=1
	s_or_b32 exec_lo, exec_lo, s21
.LBB259_369:                            ;   in Loop: Header=BB259_12 Depth=1
	s_or_b32 exec_lo, exec_lo, s20
	flat_load_dword v5, v[27:28] offset:1288
	v_mov_b32_e32 v91, 0
	v_mov_b32_e32 v92, 0
	s_waitcnt vmcnt(0) lgkmcnt(0)
	v_cmp_ne_u16_sdwa s6, v5, v4 src0_sel:BYTE_0 src1_sel:DWORD
	s_and_saveexec_b32 s20, s6
	s_cbranch_execz .LBB259_377
; %bb.370:                              ;   in Loop: Header=BB259_12 Depth=1
	v_cmp_ne_u16_sdwa s6, v5, v66 src0_sel:BYTE_0 src1_sel:DWORD
	v_mov_b32_e32 v92, 0x8000
	s_and_saveexec_b32 s21, s6
	s_cbranch_execz .LBB259_376
; %bb.371:                              ;   in Loop: Header=BB259_12 Depth=1
	v_and_b32_e32 v3, 0x7f, v5
	v_mov_b32_e32 v92, 0x7c01
	s_mov_b32 s22, exec_lo
	v_cmpx_ne_u32_e32 0x7f, v3
	s_cbranch_execz .LBB259_375
; %bb.372:                              ;   in Loop: Header=BB259_12 Depth=1
	v_and_b32_e32 v0, 7, v5
	v_lshrrev_b32_e32 v1, 3, v3
	s_mov_b32 s23, exec_lo
	v_cmpx_gt_u32_e32 8, v3
; %bb.373:                              ;   in Loop: Header=BB259_12 Depth=1
	v_ffbh_u32_e32 v0, v0
	v_min_u32_e32 v3, 32, v0
	v_subrev_nc_u32_e32 v0, 28, v3
	v_lshlrev_b64 v[0:1], v0, v[5:6]
	v_sub_nc_u32_e32 v1, 29, v3
	v_and_b32_e32 v0, 7, v0
; %bb.374:                              ;   in Loop: Header=BB259_12 Depth=1
	s_or_b32 exec_lo, exec_lo, s23
	v_lshlrev_b32_e32 v3, 8, v5
	v_lshl_add_u32 v1, v1, 10, 0x2000
	v_lshlrev_b32_e32 v0, 7, v0
	v_and_b32_e32 v3, 0x8000, v3
	v_and_b32_e32 v1, 0xfc00, v1
	v_or3_b32 v92, v3, v1, v0
.LBB259_375:                            ;   in Loop: Header=BB259_12 Depth=1
	s_or_b32 exec_lo, exec_lo, s22
.LBB259_376:                            ;   in Loop: Header=BB259_12 Depth=1
	s_or_b32 exec_lo, exec_lo, s21
.LBB259_377:                            ;   in Loop: Header=BB259_12 Depth=1
	s_or_b32 exec_lo, exec_lo, s20
	v_lshrrev_b16 v3, 8, v5
	s_mov_b32 s20, exec_lo
	v_cmpx_ne_u16_e32 0, v3
	s_cbranch_execz .LBB259_385
; %bb.378:                              ;   in Loop: Header=BB259_12 Depth=1
	v_bfrev_b32_e32 v91, 1
	s_mov_b32 s21, exec_lo
	v_cmpx_ne_u16_e32 0x80, v3
	s_cbranch_execz .LBB259_384
; %bb.379:                              ;   in Loop: Header=BB259_12 Depth=1
	v_and_b32_sdwa v6, v3, v68 dst_sel:DWORD dst_unused:UNUSED_PAD src0_sel:WORD_0 src1_sel:DWORD
	v_mov_b32_e32 v91, 0x7c010000
	s_mov_b32 s22, exec_lo
	v_cmpx_ne_u32_e32 0x7f, v6
	s_cbranch_execz .LBB259_383
; %bb.380:                              ;   in Loop: Header=BB259_12 Depth=1
	v_mov_b32_e32 v0, 7
	v_lshrrev_b32_e32 v1, 3, v6
	s_mov_b32 s23, exec_lo
	v_and_b32_sdwa v0, v3, v0 dst_sel:DWORD dst_unused:UNUSED_PAD src0_sel:WORD_0 src1_sel:DWORD
	v_cmpx_gt_u32_e32 8, v6
; %bb.381:                              ;   in Loop: Header=BB259_12 Depth=1
	v_ffbh_u32_e32 v0, v0
	v_min_u32_e32 v6, 32, v0
	v_subrev_nc_u32_e32 v0, 28, v6
	v_lshlrev_b64 v[0:1], v0, v[3:4]
	v_sub_nc_u32_e32 v1, 29, v6
	v_and_b32_e32 v0, 7, v0
; %bb.382:                              ;   in Loop: Header=BB259_12 Depth=1
	s_or_b32 exec_lo, exec_lo, s23
	v_mov_b32_e32 v6, 8
	v_lshl_add_u32 v1, v1, 10, 0x2000
	v_lshlrev_b32_e32 v0, 23, v0
	v_lshlrev_b32_sdwa v3, v6, v3 dst_sel:DWORD dst_unused:UNUSED_PAD src0_sel:DWORD src1_sel:WORD_0
	v_and_or_b32 v1, 0x8000, v3, v1
	v_lshl_or_b32 v91, v1, 16, v0
.LBB259_383:                            ;   in Loop: Header=BB259_12 Depth=1
	s_or_b32 exec_lo, exec_lo, s22
.LBB259_384:                            ;   in Loop: Header=BB259_12 Depth=1
	s_or_b32 exec_lo, exec_lo, s21
.LBB259_385:                            ;   in Loop: Header=BB259_12 Depth=1
	s_or_b32 exec_lo, exec_lo, s20
	v_lshrrev_b32_e32 v3, 16, v5
	v_mov_b32_e32 v105, 0
	v_mov_b32_e32 v106, 0
	v_cmp_ne_u16_sdwa s6, v3, v4 src0_sel:BYTE_0 src1_sel:DWORD
	s_and_saveexec_b32 s20, s6
	s_cbranch_execz .LBB259_393
; %bb.386:                              ;   in Loop: Header=BB259_12 Depth=1
	v_cmp_ne_u16_sdwa s6, v3, v66 src0_sel:BYTE_0 src1_sel:DWORD
	v_mov_b32_e32 v106, 0x8000
	s_and_saveexec_b32 s21, s6
	s_cbranch_execz .LBB259_392
; %bb.387:                              ;   in Loop: Header=BB259_12 Depth=1
	v_bfe_u32 v6, v5, 16, 7
	v_mov_b32_e32 v106, 0x7c01
	s_mov_b32 s22, exec_lo
	v_cmpx_ne_u32_e32 0x7f, v6
	s_cbranch_execz .LBB259_391
; %bb.388:                              ;   in Loop: Header=BB259_12 Depth=1
	v_and_b32_e32 v0, 7, v3
	v_lshrrev_b32_e32 v1, 3, v6
	s_mov_b32 s23, exec_lo
	v_cmpx_gt_u32_e32 8, v6
; %bb.389:                              ;   in Loop: Header=BB259_12 Depth=1
	v_ffbh_u32_e32 v0, v0
	v_min_u32_e32 v6, 32, v0
	v_subrev_nc_u32_e32 v0, 28, v6
	v_lshlrev_b64 v[0:1], v0, v[3:4]
	v_sub_nc_u32_e32 v1, 29, v6
	v_and_b32_e32 v0, 7, v0
; %bb.390:                              ;   in Loop: Header=BB259_12 Depth=1
	s_or_b32 exec_lo, exec_lo, s23
	v_lshlrev_b32_e32 v3, 8, v3
	v_lshl_add_u32 v1, v1, 10, 0x2000
	v_lshlrev_b32_e32 v0, 7, v0
	v_and_b32_e32 v3, 0x8000, v3
	v_and_b32_e32 v1, 0xfc00, v1
	v_or3_b32 v106, v3, v1, v0
.LBB259_391:                            ;   in Loop: Header=BB259_12 Depth=1
	s_or_b32 exec_lo, exec_lo, s22
.LBB259_392:                            ;   in Loop: Header=BB259_12 Depth=1
	s_or_b32 exec_lo, exec_lo, s21
.LBB259_393:                            ;   in Loop: Header=BB259_12 Depth=1
	s_or_b32 exec_lo, exec_lo, s20
	s_mov_b32 s20, exec_lo
	v_cmpx_lt_u32_e32 0xffffff, v5
	s_cbranch_execz .LBB259_401
; %bb.394:                              ;   in Loop: Header=BB259_12 Depth=1
	v_lshrrev_b32_e32 v3, 24, v5
	v_bfrev_b32_e32 v105, 1
	s_mov_b32 s21, exec_lo
	v_cmpx_ne_u32_e32 0x80, v3
	s_cbranch_execz .LBB259_400
; %bb.395:                              ;   in Loop: Header=BB259_12 Depth=1
	v_and_b32_e32 v5, 0x7f, v3
	v_mov_b32_e32 v105, 0x7c010000
	s_mov_b32 s22, exec_lo
	v_cmpx_ne_u32_e32 0x7f, v5
	s_cbranch_execz .LBB259_399
; %bb.396:                              ;   in Loop: Header=BB259_12 Depth=1
	v_and_b32_e32 v0, 7, v3
	v_lshrrev_b32_e32 v1, 3, v5
	s_mov_b32 s23, exec_lo
	v_cmpx_gt_u32_e32 8, v5
; %bb.397:                              ;   in Loop: Header=BB259_12 Depth=1
	v_ffbh_u32_e32 v0, v0
	v_min_u32_e32 v5, 32, v0
	v_subrev_nc_u32_e32 v0, 28, v5
	v_lshlrev_b64 v[0:1], v0, v[3:4]
	v_sub_nc_u32_e32 v1, 29, v5
	v_and_b32_e32 v0, 7, v0
; %bb.398:                              ;   in Loop: Header=BB259_12 Depth=1
	s_or_b32 exec_lo, exec_lo, s23
	v_lshlrev_b32_e32 v3, 8, v3
	v_lshl_add_u32 v1, v1, 10, 0x2000
	v_lshlrev_b32_e32 v0, 23, v0
	v_and_or_b32 v1, 0x8000, v3, v1
	v_lshl_or_b32 v105, v1, 16, v0
.LBB259_399:                            ;   in Loop: Header=BB259_12 Depth=1
	s_or_b32 exec_lo, exec_lo, s22
.LBB259_400:                            ;   in Loop: Header=BB259_12 Depth=1
	s_or_b32 exec_lo, exec_lo, s21
.LBB259_401:                            ;   in Loop: Header=BB259_12 Depth=1
	s_or_b32 exec_lo, exec_lo, s20
	flat_load_dword v5, v[27:28] offset:1536
	v_mov_b32_e32 v111, 0
	v_mov_b32_e32 v120, 0
	s_waitcnt vmcnt(0) lgkmcnt(0)
	v_cmp_ne_u16_sdwa s6, v5, v4 src0_sel:BYTE_0 src1_sel:DWORD
	s_and_saveexec_b32 s20, s6
	s_cbranch_execz .LBB259_409
; %bb.402:                              ;   in Loop: Header=BB259_12 Depth=1
	v_cmp_ne_u16_sdwa s6, v5, v66 src0_sel:BYTE_0 src1_sel:DWORD
	v_mov_b32_e32 v120, 0x8000
	s_and_saveexec_b32 s21, s6
	s_cbranch_execz .LBB259_408
; %bb.403:                              ;   in Loop: Header=BB259_12 Depth=1
	v_and_b32_e32 v3, 0x7f, v5
	v_mov_b32_e32 v120, 0x7c01
	s_mov_b32 s22, exec_lo
	v_cmpx_ne_u32_e32 0x7f, v3
	s_cbranch_execz .LBB259_407
; %bb.404:                              ;   in Loop: Header=BB259_12 Depth=1
	v_and_b32_e32 v0, 7, v5
	v_lshrrev_b32_e32 v1, 3, v3
	s_mov_b32 s23, exec_lo
	v_cmpx_gt_u32_e32 8, v3
; %bb.405:                              ;   in Loop: Header=BB259_12 Depth=1
	v_ffbh_u32_e32 v0, v0
	v_min_u32_e32 v3, 32, v0
	v_subrev_nc_u32_e32 v0, 28, v3
	v_lshlrev_b64 v[0:1], v0, v[5:6]
	v_sub_nc_u32_e32 v1, 29, v3
	v_and_b32_e32 v0, 7, v0
; %bb.406:                              ;   in Loop: Header=BB259_12 Depth=1
	s_or_b32 exec_lo, exec_lo, s23
	v_lshlrev_b32_e32 v3, 8, v5
	v_lshl_add_u32 v1, v1, 10, 0x2000
	v_lshlrev_b32_e32 v0, 7, v0
	v_and_b32_e32 v3, 0x8000, v3
	v_and_b32_e32 v1, 0xfc00, v1
	v_or3_b32 v120, v3, v1, v0
.LBB259_407:                            ;   in Loop: Header=BB259_12 Depth=1
	s_or_b32 exec_lo, exec_lo, s22
.LBB259_408:                            ;   in Loop: Header=BB259_12 Depth=1
	s_or_b32 exec_lo, exec_lo, s21
.LBB259_409:                            ;   in Loop: Header=BB259_12 Depth=1
	s_or_b32 exec_lo, exec_lo, s20
	v_lshrrev_b16 v3, 8, v5
	s_mov_b32 s20, exec_lo
	v_cmpx_ne_u16_e32 0, v3
	s_cbranch_execz .LBB259_417
; %bb.410:                              ;   in Loop: Header=BB259_12 Depth=1
	v_bfrev_b32_e32 v111, 1
	s_mov_b32 s21, exec_lo
	v_cmpx_ne_u16_e32 0x80, v3
	s_cbranch_execz .LBB259_416
; %bb.411:                              ;   in Loop: Header=BB259_12 Depth=1
	v_and_b32_sdwa v6, v3, v68 dst_sel:DWORD dst_unused:UNUSED_PAD src0_sel:WORD_0 src1_sel:DWORD
	v_mov_b32_e32 v111, 0x7c010000
	s_mov_b32 s22, exec_lo
	v_cmpx_ne_u32_e32 0x7f, v6
	s_cbranch_execz .LBB259_415
; %bb.412:                              ;   in Loop: Header=BB259_12 Depth=1
	v_mov_b32_e32 v0, 7
	v_lshrrev_b32_e32 v1, 3, v6
	s_mov_b32 s23, exec_lo
	v_and_b32_sdwa v0, v3, v0 dst_sel:DWORD dst_unused:UNUSED_PAD src0_sel:WORD_0 src1_sel:DWORD
	v_cmpx_gt_u32_e32 8, v6
; %bb.413:                              ;   in Loop: Header=BB259_12 Depth=1
	v_ffbh_u32_e32 v0, v0
	v_min_u32_e32 v6, 32, v0
	v_subrev_nc_u32_e32 v0, 28, v6
	v_lshlrev_b64 v[0:1], v0, v[3:4]
	v_sub_nc_u32_e32 v1, 29, v6
	v_and_b32_e32 v0, 7, v0
; %bb.414:                              ;   in Loop: Header=BB259_12 Depth=1
	s_or_b32 exec_lo, exec_lo, s23
	v_mov_b32_e32 v6, 8
	v_lshl_add_u32 v1, v1, 10, 0x2000
	v_lshlrev_b32_e32 v0, 23, v0
	v_lshlrev_b32_sdwa v3, v6, v3 dst_sel:DWORD dst_unused:UNUSED_PAD src0_sel:DWORD src1_sel:WORD_0
	v_and_or_b32 v1, 0x8000, v3, v1
	v_lshl_or_b32 v111, v1, 16, v0
.LBB259_415:                            ;   in Loop: Header=BB259_12 Depth=1
	s_or_b32 exec_lo, exec_lo, s22
.LBB259_416:                            ;   in Loop: Header=BB259_12 Depth=1
	s_or_b32 exec_lo, exec_lo, s21
.LBB259_417:                            ;   in Loop: Header=BB259_12 Depth=1
	s_or_b32 exec_lo, exec_lo, s20
	v_lshrrev_b32_e32 v3, 16, v5
	v_mov_b32_e32 v125, 0
	v_mov_b32_e32 v126, 0
	v_cmp_ne_u16_sdwa s6, v3, v4 src0_sel:BYTE_0 src1_sel:DWORD
	s_and_saveexec_b32 s20, s6
	s_cbranch_execz .LBB259_425
; %bb.418:                              ;   in Loop: Header=BB259_12 Depth=1
	v_cmp_ne_u16_sdwa s6, v3, v66 src0_sel:BYTE_0 src1_sel:DWORD
	v_mov_b32_e32 v126, 0x8000
	s_and_saveexec_b32 s21, s6
	s_cbranch_execz .LBB259_424
; %bb.419:                              ;   in Loop: Header=BB259_12 Depth=1
	v_bfe_u32 v6, v5, 16, 7
	v_mov_b32_e32 v126, 0x7c01
	s_mov_b32 s22, exec_lo
	v_cmpx_ne_u32_e32 0x7f, v6
	s_cbranch_execz .LBB259_423
; %bb.420:                              ;   in Loop: Header=BB259_12 Depth=1
	v_and_b32_e32 v0, 7, v3
	v_lshrrev_b32_e32 v1, 3, v6
	s_mov_b32 s23, exec_lo
	v_cmpx_gt_u32_e32 8, v6
; %bb.421:                              ;   in Loop: Header=BB259_12 Depth=1
	v_ffbh_u32_e32 v0, v0
	v_min_u32_e32 v6, 32, v0
	v_subrev_nc_u32_e32 v0, 28, v6
	v_lshlrev_b64 v[0:1], v0, v[3:4]
	v_sub_nc_u32_e32 v1, 29, v6
	v_and_b32_e32 v0, 7, v0
; %bb.422:                              ;   in Loop: Header=BB259_12 Depth=1
	s_or_b32 exec_lo, exec_lo, s23
	v_lshlrev_b32_e32 v3, 8, v3
	v_lshl_add_u32 v1, v1, 10, 0x2000
	v_lshlrev_b32_e32 v0, 7, v0
	v_and_b32_e32 v3, 0x8000, v3
	v_and_b32_e32 v1, 0xfc00, v1
	v_or3_b32 v126, v3, v1, v0
.LBB259_423:                            ;   in Loop: Header=BB259_12 Depth=1
	s_or_b32 exec_lo, exec_lo, s22
.LBB259_424:                            ;   in Loop: Header=BB259_12 Depth=1
	s_or_b32 exec_lo, exec_lo, s21
.LBB259_425:                            ;   in Loop: Header=BB259_12 Depth=1
	s_or_b32 exec_lo, exec_lo, s20
	s_mov_b32 s20, exec_lo
	v_cmpx_lt_u32_e32 0xffffff, v5
	s_cbranch_execz .LBB259_433
; %bb.426:                              ;   in Loop: Header=BB259_12 Depth=1
	v_lshrrev_b32_e32 v3, 24, v5
	v_bfrev_b32_e32 v125, 1
	s_mov_b32 s21, exec_lo
	v_cmpx_ne_u32_e32 0x80, v3
	s_cbranch_execz .LBB259_432
; %bb.427:                              ;   in Loop: Header=BB259_12 Depth=1
	v_and_b32_e32 v5, 0x7f, v3
	v_mov_b32_e32 v125, 0x7c010000
	s_mov_b32 s22, exec_lo
	v_cmpx_ne_u32_e32 0x7f, v5
	s_cbranch_execz .LBB259_431
; %bb.428:                              ;   in Loop: Header=BB259_12 Depth=1
	v_and_b32_e32 v0, 7, v3
	v_lshrrev_b32_e32 v1, 3, v5
	s_mov_b32 s23, exec_lo
	v_cmpx_gt_u32_e32 8, v5
; %bb.429:                              ;   in Loop: Header=BB259_12 Depth=1
	v_ffbh_u32_e32 v0, v0
	v_min_u32_e32 v5, 32, v0
	v_subrev_nc_u32_e32 v0, 28, v5
	v_lshlrev_b64 v[0:1], v0, v[3:4]
	v_sub_nc_u32_e32 v1, 29, v5
	v_and_b32_e32 v0, 7, v0
; %bb.430:                              ;   in Loop: Header=BB259_12 Depth=1
	s_or_b32 exec_lo, exec_lo, s23
	v_lshlrev_b32_e32 v3, 8, v3
	v_lshl_add_u32 v1, v1, 10, 0x2000
	v_lshlrev_b32_e32 v0, 23, v0
	v_and_or_b32 v1, 0x8000, v3, v1
	v_lshl_or_b32 v125, v1, 16, v0
.LBB259_431:                            ;   in Loop: Header=BB259_12 Depth=1
	s_or_b32 exec_lo, exec_lo, s22
.LBB259_432:                            ;   in Loop: Header=BB259_12 Depth=1
	s_or_b32 exec_lo, exec_lo, s21
.LBB259_433:                            ;   in Loop: Header=BB259_12 Depth=1
	s_or_b32 exec_lo, exec_lo, s20
	flat_load_dword v5, v[27:28] offset:1544
	v_mov_b32_e32 v8, 0
	v_mov_b32_e32 v7, 0
	s_waitcnt vmcnt(0) lgkmcnt(0)
	v_cmp_ne_u16_sdwa s6, v5, v4 src0_sel:BYTE_0 src1_sel:DWORD
	s_and_saveexec_b32 s20, s6
	s_cbranch_execz .LBB259_441
; %bb.434:                              ;   in Loop: Header=BB259_12 Depth=1
	v_cmp_ne_u16_sdwa s6, v5, v66 src0_sel:BYTE_0 src1_sel:DWORD
	v_mov_b32_e32 v7, 0x8000
	s_and_saveexec_b32 s21, s6
	s_cbranch_execz .LBB259_440
; %bb.435:                              ;   in Loop: Header=BB259_12 Depth=1
	v_and_b32_e32 v3, 0x7f, v5
	v_mov_b32_e32 v7, 0x7c01
	s_mov_b32 s22, exec_lo
	v_cmpx_ne_u32_e32 0x7f, v3
	s_cbranch_execz .LBB259_439
; %bb.436:                              ;   in Loop: Header=BB259_12 Depth=1
	v_and_b32_e32 v0, 7, v5
	v_lshrrev_b32_e32 v1, 3, v3
	s_mov_b32 s23, exec_lo
	v_cmpx_gt_u32_e32 8, v3
; %bb.437:                              ;   in Loop: Header=BB259_12 Depth=1
	v_ffbh_u32_e32 v0, v0
	v_min_u32_e32 v3, 32, v0
	v_subrev_nc_u32_e32 v0, 28, v3
	v_lshlrev_b64 v[0:1], v0, v[5:6]
	v_sub_nc_u32_e32 v1, 29, v3
	v_and_b32_e32 v0, 7, v0
; %bb.438:                              ;   in Loop: Header=BB259_12 Depth=1
	s_or_b32 exec_lo, exec_lo, s23
	v_lshlrev_b32_e32 v3, 8, v5
	v_lshl_add_u32 v1, v1, 10, 0x2000
	v_lshlrev_b32_e32 v0, 7, v0
	v_and_b32_e32 v3, 0x8000, v3
	v_and_b32_e32 v1, 0xfc00, v1
	v_or3_b32 v7, v3, v1, v0
.LBB259_439:                            ;   in Loop: Header=BB259_12 Depth=1
	s_or_b32 exec_lo, exec_lo, s22
.LBB259_440:                            ;   in Loop: Header=BB259_12 Depth=1
	s_or_b32 exec_lo, exec_lo, s21
.LBB259_441:                            ;   in Loop: Header=BB259_12 Depth=1
	s_or_b32 exec_lo, exec_lo, s20
	v_lshrrev_b16 v3, 8, v5
	s_mov_b32 s20, exec_lo
	v_cmpx_ne_u16_e32 0, v3
	s_cbranch_execz .LBB259_449
; %bb.442:                              ;   in Loop: Header=BB259_12 Depth=1
	v_bfrev_b32_e32 v8, 1
	s_mov_b32 s21, exec_lo
	v_cmpx_ne_u16_e32 0x80, v3
	s_cbranch_execz .LBB259_448
; %bb.443:                              ;   in Loop: Header=BB259_12 Depth=1
	v_and_b32_sdwa v6, v3, v68 dst_sel:DWORD dst_unused:UNUSED_PAD src0_sel:WORD_0 src1_sel:DWORD
	v_mov_b32_e32 v8, 0x7c010000
	s_mov_b32 s22, exec_lo
	v_cmpx_ne_u32_e32 0x7f, v6
	s_cbranch_execz .LBB259_447
; %bb.444:                              ;   in Loop: Header=BB259_12 Depth=1
	v_mov_b32_e32 v0, 7
	v_lshrrev_b32_e32 v1, 3, v6
	s_mov_b32 s23, exec_lo
	v_and_b32_sdwa v0, v3, v0 dst_sel:DWORD dst_unused:UNUSED_PAD src0_sel:WORD_0 src1_sel:DWORD
	v_cmpx_gt_u32_e32 8, v6
; %bb.445:                              ;   in Loop: Header=BB259_12 Depth=1
	v_ffbh_u32_e32 v0, v0
	v_min_u32_e32 v6, 32, v0
	v_subrev_nc_u32_e32 v0, 28, v6
	v_lshlrev_b64 v[0:1], v0, v[3:4]
	v_sub_nc_u32_e32 v1, 29, v6
	v_and_b32_e32 v0, 7, v0
; %bb.446:                              ;   in Loop: Header=BB259_12 Depth=1
	s_or_b32 exec_lo, exec_lo, s23
	v_mov_b32_e32 v6, 8
	v_lshl_add_u32 v1, v1, 10, 0x2000
	v_lshlrev_b32_e32 v0, 23, v0
	v_lshlrev_b32_sdwa v3, v6, v3 dst_sel:DWORD dst_unused:UNUSED_PAD src0_sel:DWORD src1_sel:WORD_0
	v_and_or_b32 v1, 0x8000, v3, v1
	v_lshl_or_b32 v8, v1, 16, v0
.LBB259_447:                            ;   in Loop: Header=BB259_12 Depth=1
	s_or_b32 exec_lo, exec_lo, s22
.LBB259_448:                            ;   in Loop: Header=BB259_12 Depth=1
	s_or_b32 exec_lo, exec_lo, s21
.LBB259_449:                            ;   in Loop: Header=BB259_12 Depth=1
	s_or_b32 exec_lo, exec_lo, s20
	v_lshrrev_b32_e32 v3, 16, v5
	v_mov_b32_e32 v50, 0
	v_mov_b32_e32 v31, 0
	v_cmp_ne_u16_sdwa s6, v3, v4 src0_sel:BYTE_0 src1_sel:DWORD
	s_and_saveexec_b32 s20, s6
	s_cbranch_execz .LBB259_457
; %bb.450:                              ;   in Loop: Header=BB259_12 Depth=1
	v_cmp_ne_u16_sdwa s6, v3, v66 src0_sel:BYTE_0 src1_sel:DWORD
	v_mov_b32_e32 v31, 0x8000
	s_and_saveexec_b32 s21, s6
	s_cbranch_execz .LBB259_456
; %bb.451:                              ;   in Loop: Header=BB259_12 Depth=1
	v_bfe_u32 v6, v5, 16, 7
	v_mov_b32_e32 v31, 0x7c01
	s_mov_b32 s22, exec_lo
	v_cmpx_ne_u32_e32 0x7f, v6
	s_cbranch_execz .LBB259_455
; %bb.452:                              ;   in Loop: Header=BB259_12 Depth=1
	v_and_b32_e32 v0, 7, v3
	v_lshrrev_b32_e32 v1, 3, v6
	s_mov_b32 s23, exec_lo
	v_cmpx_gt_u32_e32 8, v6
; %bb.453:                              ;   in Loop: Header=BB259_12 Depth=1
	v_ffbh_u32_e32 v0, v0
	v_min_u32_e32 v6, 32, v0
	v_subrev_nc_u32_e32 v0, 28, v6
	v_lshlrev_b64 v[0:1], v0, v[3:4]
	v_sub_nc_u32_e32 v1, 29, v6
	v_and_b32_e32 v0, 7, v0
; %bb.454:                              ;   in Loop: Header=BB259_12 Depth=1
	s_or_b32 exec_lo, exec_lo, s23
	v_lshlrev_b32_e32 v3, 8, v3
	v_lshl_add_u32 v1, v1, 10, 0x2000
	v_lshlrev_b32_e32 v0, 7, v0
	v_and_b32_e32 v3, 0x8000, v3
	v_and_b32_e32 v1, 0xfc00, v1
	v_or3_b32 v31, v3, v1, v0
.LBB259_455:                            ;   in Loop: Header=BB259_12 Depth=1
	s_or_b32 exec_lo, exec_lo, s22
.LBB259_456:                            ;   in Loop: Header=BB259_12 Depth=1
	s_or_b32 exec_lo, exec_lo, s21
.LBB259_457:                            ;   in Loop: Header=BB259_12 Depth=1
	s_or_b32 exec_lo, exec_lo, s20
	s_mov_b32 s20, exec_lo
	v_cmpx_lt_u32_e32 0xffffff, v5
	s_cbranch_execz .LBB259_465
; %bb.458:                              ;   in Loop: Header=BB259_12 Depth=1
	v_lshrrev_b32_e32 v3, 24, v5
	v_bfrev_b32_e32 v50, 1
	s_mov_b32 s21, exec_lo
	v_cmpx_ne_u32_e32 0x80, v3
	s_cbranch_execz .LBB259_464
; %bb.459:                              ;   in Loop: Header=BB259_12 Depth=1
	v_and_b32_e32 v5, 0x7f, v3
	v_mov_b32_e32 v50, 0x7c010000
	s_mov_b32 s22, exec_lo
	v_cmpx_ne_u32_e32 0x7f, v5
	s_cbranch_execz .LBB259_463
; %bb.460:                              ;   in Loop: Header=BB259_12 Depth=1
	v_and_b32_e32 v0, 7, v3
	v_lshrrev_b32_e32 v1, 3, v5
	s_mov_b32 s23, exec_lo
	v_cmpx_gt_u32_e32 8, v5
; %bb.461:                              ;   in Loop: Header=BB259_12 Depth=1
	v_ffbh_u32_e32 v0, v0
	v_min_u32_e32 v5, 32, v0
	v_subrev_nc_u32_e32 v0, 28, v5
	v_lshlrev_b64 v[0:1], v0, v[3:4]
	v_sub_nc_u32_e32 v1, 29, v5
	v_and_b32_e32 v0, 7, v0
; %bb.462:                              ;   in Loop: Header=BB259_12 Depth=1
	s_or_b32 exec_lo, exec_lo, s23
	v_lshlrev_b32_e32 v3, 8, v3
	v_lshl_add_u32 v1, v1, 10, 0x2000
	v_lshlrev_b32_e32 v0, 23, v0
	v_and_or_b32 v1, 0x8000, v3, v1
	v_lshl_or_b32 v50, v1, 16, v0
.LBB259_463:                            ;   in Loop: Header=BB259_12 Depth=1
	s_or_b32 exec_lo, exec_lo, s22
.LBB259_464:                            ;   in Loop: Header=BB259_12 Depth=1
	s_or_b32 exec_lo, exec_lo, s21
.LBB259_465:                            ;   in Loop: Header=BB259_12 Depth=1
	s_or_b32 exec_lo, exec_lo, s20
	flat_load_dword v5, v[27:28] offset:1792
	v_mov_b32_e32 v48, 0
	v_mov_b32_e32 v54, 0
	s_waitcnt vmcnt(0) lgkmcnt(0)
	v_cmp_ne_u16_sdwa s6, v5, v4 src0_sel:BYTE_0 src1_sel:DWORD
	s_and_saveexec_b32 s20, s6
	s_cbranch_execz .LBB259_473
; %bb.466:                              ;   in Loop: Header=BB259_12 Depth=1
	v_cmp_ne_u16_sdwa s6, v5, v66 src0_sel:BYTE_0 src1_sel:DWORD
	v_mov_b32_e32 v54, 0x8000
	s_and_saveexec_b32 s21, s6
	s_cbranch_execz .LBB259_472
; %bb.467:                              ;   in Loop: Header=BB259_12 Depth=1
	v_and_b32_e32 v3, 0x7f, v5
	v_mov_b32_e32 v54, 0x7c01
	s_mov_b32 s22, exec_lo
	v_cmpx_ne_u32_e32 0x7f, v3
	s_cbranch_execz .LBB259_471
; %bb.468:                              ;   in Loop: Header=BB259_12 Depth=1
	v_and_b32_e32 v0, 7, v5
	v_lshrrev_b32_e32 v1, 3, v3
	s_mov_b32 s23, exec_lo
	v_cmpx_gt_u32_e32 8, v3
; %bb.469:                              ;   in Loop: Header=BB259_12 Depth=1
	v_ffbh_u32_e32 v0, v0
	v_min_u32_e32 v3, 32, v0
	v_subrev_nc_u32_e32 v0, 28, v3
	v_lshlrev_b64 v[0:1], v0, v[5:6]
	v_sub_nc_u32_e32 v1, 29, v3
	v_and_b32_e32 v0, 7, v0
; %bb.470:                              ;   in Loop: Header=BB259_12 Depth=1
	s_or_b32 exec_lo, exec_lo, s23
	v_lshlrev_b32_e32 v3, 8, v5
	v_lshl_add_u32 v1, v1, 10, 0x2000
	v_lshlrev_b32_e32 v0, 7, v0
	v_and_b32_e32 v3, 0x8000, v3
	v_and_b32_e32 v1, 0xfc00, v1
	v_or3_b32 v54, v3, v1, v0
.LBB259_471:                            ;   in Loop: Header=BB259_12 Depth=1
	s_or_b32 exec_lo, exec_lo, s22
.LBB259_472:                            ;   in Loop: Header=BB259_12 Depth=1
	s_or_b32 exec_lo, exec_lo, s21
.LBB259_473:                            ;   in Loop: Header=BB259_12 Depth=1
	s_or_b32 exec_lo, exec_lo, s20
	v_lshrrev_b16 v3, 8, v5
	s_mov_b32 s20, exec_lo
	v_cmpx_ne_u16_e32 0, v3
	s_cbranch_execz .LBB259_481
; %bb.474:                              ;   in Loop: Header=BB259_12 Depth=1
	v_bfrev_b32_e32 v48, 1
	s_mov_b32 s21, exec_lo
	v_cmpx_ne_u16_e32 0x80, v3
	s_cbranch_execz .LBB259_480
; %bb.475:                              ;   in Loop: Header=BB259_12 Depth=1
	v_and_b32_sdwa v6, v3, v68 dst_sel:DWORD dst_unused:UNUSED_PAD src0_sel:WORD_0 src1_sel:DWORD
	v_mov_b32_e32 v48, 0x7c010000
	s_mov_b32 s22, exec_lo
	v_cmpx_ne_u32_e32 0x7f, v6
	s_cbranch_execz .LBB259_479
; %bb.476:                              ;   in Loop: Header=BB259_12 Depth=1
	v_mov_b32_e32 v0, 7
	v_lshrrev_b32_e32 v1, 3, v6
	s_mov_b32 s23, exec_lo
	v_and_b32_sdwa v0, v3, v0 dst_sel:DWORD dst_unused:UNUSED_PAD src0_sel:WORD_0 src1_sel:DWORD
	v_cmpx_gt_u32_e32 8, v6
; %bb.477:                              ;   in Loop: Header=BB259_12 Depth=1
	v_ffbh_u32_e32 v0, v0
	v_min_u32_e32 v6, 32, v0
	v_subrev_nc_u32_e32 v0, 28, v6
	v_lshlrev_b64 v[0:1], v0, v[3:4]
	v_sub_nc_u32_e32 v1, 29, v6
	v_and_b32_e32 v0, 7, v0
; %bb.478:                              ;   in Loop: Header=BB259_12 Depth=1
	s_or_b32 exec_lo, exec_lo, s23
	v_mov_b32_e32 v6, 8
	v_lshl_add_u32 v1, v1, 10, 0x2000
	v_lshlrev_b32_e32 v0, 23, v0
	v_lshlrev_b32_sdwa v3, v6, v3 dst_sel:DWORD dst_unused:UNUSED_PAD src0_sel:DWORD src1_sel:WORD_0
	v_and_or_b32 v1, 0x8000, v3, v1
	v_lshl_or_b32 v48, v1, 16, v0
.LBB259_479:                            ;   in Loop: Header=BB259_12 Depth=1
	s_or_b32 exec_lo, exec_lo, s22
.LBB259_480:                            ;   in Loop: Header=BB259_12 Depth=1
	s_or_b32 exec_lo, exec_lo, s21
.LBB259_481:                            ;   in Loop: Header=BB259_12 Depth=1
	s_or_b32 exec_lo, exec_lo, s20
	v_lshrrev_b32_e32 v3, 16, v5
	v_mov_b32_e32 v30, 0
	v_mov_b32_e32 v14, 0
	v_cmp_ne_u16_sdwa s6, v3, v4 src0_sel:BYTE_0 src1_sel:DWORD
	s_and_saveexec_b32 s20, s6
	s_cbranch_execz .LBB259_489
; %bb.482:                              ;   in Loop: Header=BB259_12 Depth=1
	v_cmp_ne_u16_sdwa s6, v3, v66 src0_sel:BYTE_0 src1_sel:DWORD
	v_mov_b32_e32 v14, 0x8000
	s_and_saveexec_b32 s21, s6
	s_cbranch_execz .LBB259_488
; %bb.483:                              ;   in Loop: Header=BB259_12 Depth=1
	v_bfe_u32 v6, v5, 16, 7
	v_mov_b32_e32 v14, 0x7c01
	s_mov_b32 s22, exec_lo
	v_cmpx_ne_u32_e32 0x7f, v6
	s_cbranch_execz .LBB259_487
; %bb.484:                              ;   in Loop: Header=BB259_12 Depth=1
	v_and_b32_e32 v0, 7, v3
	v_lshrrev_b32_e32 v1, 3, v6
	s_mov_b32 s23, exec_lo
	v_cmpx_gt_u32_e32 8, v6
; %bb.485:                              ;   in Loop: Header=BB259_12 Depth=1
	v_ffbh_u32_e32 v0, v0
	v_min_u32_e32 v6, 32, v0
	v_subrev_nc_u32_e32 v0, 28, v6
	v_lshlrev_b64 v[0:1], v0, v[3:4]
	v_sub_nc_u32_e32 v1, 29, v6
	v_and_b32_e32 v0, 7, v0
; %bb.486:                              ;   in Loop: Header=BB259_12 Depth=1
	s_or_b32 exec_lo, exec_lo, s23
	v_lshlrev_b32_e32 v3, 8, v3
	v_lshl_add_u32 v1, v1, 10, 0x2000
	v_lshlrev_b32_e32 v0, 7, v0
	v_and_b32_e32 v3, 0x8000, v3
	v_and_b32_e32 v1, 0xfc00, v1
	v_or3_b32 v14, v3, v1, v0
.LBB259_487:                            ;   in Loop: Header=BB259_12 Depth=1
	s_or_b32 exec_lo, exec_lo, s22
.LBB259_488:                            ;   in Loop: Header=BB259_12 Depth=1
	s_or_b32 exec_lo, exec_lo, s21
.LBB259_489:                            ;   in Loop: Header=BB259_12 Depth=1
	s_or_b32 exec_lo, exec_lo, s20
	s_mov_b32 s20, exec_lo
	v_cmpx_lt_u32_e32 0xffffff, v5
	s_cbranch_execz .LBB259_497
; %bb.490:                              ;   in Loop: Header=BB259_12 Depth=1
	v_lshrrev_b32_e32 v3, 24, v5
	v_bfrev_b32_e32 v30, 1
	s_mov_b32 s21, exec_lo
	v_cmpx_ne_u32_e32 0x80, v3
	s_cbranch_execz .LBB259_496
; %bb.491:                              ;   in Loop: Header=BB259_12 Depth=1
	v_and_b32_e32 v5, 0x7f, v3
	v_mov_b32_e32 v30, 0x7c010000
	s_mov_b32 s22, exec_lo
	v_cmpx_ne_u32_e32 0x7f, v5
	s_cbranch_execz .LBB259_495
; %bb.492:                              ;   in Loop: Header=BB259_12 Depth=1
	v_and_b32_e32 v0, 7, v3
	v_lshrrev_b32_e32 v1, 3, v5
	s_mov_b32 s23, exec_lo
	v_cmpx_gt_u32_e32 8, v5
; %bb.493:                              ;   in Loop: Header=BB259_12 Depth=1
	v_ffbh_u32_e32 v0, v0
	v_min_u32_e32 v5, 32, v0
	v_subrev_nc_u32_e32 v0, 28, v5
	v_lshlrev_b64 v[0:1], v0, v[3:4]
	v_sub_nc_u32_e32 v1, 29, v5
	v_and_b32_e32 v0, 7, v0
; %bb.494:                              ;   in Loop: Header=BB259_12 Depth=1
	s_or_b32 exec_lo, exec_lo, s23
	v_lshlrev_b32_e32 v3, 8, v3
	v_lshl_add_u32 v1, v1, 10, 0x2000
	v_lshlrev_b32_e32 v0, 23, v0
	v_and_or_b32 v1, 0x8000, v3, v1
	v_lshl_or_b32 v30, v1, 16, v0
.LBB259_495:                            ;   in Loop: Header=BB259_12 Depth=1
	s_or_b32 exec_lo, exec_lo, s22
.LBB259_496:                            ;   in Loop: Header=BB259_12 Depth=1
	s_or_b32 exec_lo, exec_lo, s21
.LBB259_497:                            ;   in Loop: Header=BB259_12 Depth=1
	s_or_b32 exec_lo, exec_lo, s20
	flat_load_dword v5, v[27:28] offset:1800
	v_mov_b32_e32 v9, 0
	v_mov_b32_e32 v15, 0
	s_waitcnt vmcnt(0) lgkmcnt(0)
	v_cmp_ne_u16_sdwa s6, v5, v4 src0_sel:BYTE_0 src1_sel:DWORD
	s_and_saveexec_b32 s20, s6
	s_cbranch_execz .LBB259_505
; %bb.498:                              ;   in Loop: Header=BB259_12 Depth=1
	v_cmp_ne_u16_sdwa s6, v5, v66 src0_sel:BYTE_0 src1_sel:DWORD
	v_mov_b32_e32 v15, 0x8000
	s_and_saveexec_b32 s21, s6
	s_cbranch_execz .LBB259_504
; %bb.499:                              ;   in Loop: Header=BB259_12 Depth=1
	v_and_b32_e32 v3, 0x7f, v5
	v_mov_b32_e32 v15, 0x7c01
	s_mov_b32 s22, exec_lo
	v_cmpx_ne_u32_e32 0x7f, v3
	s_cbranch_execz .LBB259_503
; %bb.500:                              ;   in Loop: Header=BB259_12 Depth=1
	v_and_b32_e32 v0, 7, v5
	v_lshrrev_b32_e32 v1, 3, v3
	s_mov_b32 s23, exec_lo
	v_cmpx_gt_u32_e32 8, v3
; %bb.501:                              ;   in Loop: Header=BB259_12 Depth=1
	v_ffbh_u32_e32 v0, v0
	v_min_u32_e32 v3, 32, v0
	v_subrev_nc_u32_e32 v0, 28, v3
	v_lshlrev_b64 v[0:1], v0, v[5:6]
	v_sub_nc_u32_e32 v1, 29, v3
	v_and_b32_e32 v0, 7, v0
; %bb.502:                              ;   in Loop: Header=BB259_12 Depth=1
	s_or_b32 exec_lo, exec_lo, s23
	v_lshlrev_b32_e32 v3, 8, v5
	v_lshl_add_u32 v1, v1, 10, 0x2000
	v_lshlrev_b32_e32 v0, 7, v0
	v_and_b32_e32 v3, 0x8000, v3
	v_and_b32_e32 v1, 0xfc00, v1
	v_or3_b32 v15, v3, v1, v0
.LBB259_503:                            ;   in Loop: Header=BB259_12 Depth=1
	s_or_b32 exec_lo, exec_lo, s22
.LBB259_504:                            ;   in Loop: Header=BB259_12 Depth=1
	s_or_b32 exec_lo, exec_lo, s21
.LBB259_505:                            ;   in Loop: Header=BB259_12 Depth=1
	s_or_b32 exec_lo, exec_lo, s20
	v_lshrrev_b16 v3, 8, v5
	s_mov_b32 s20, exec_lo
	v_cmpx_ne_u16_e32 0, v3
	s_cbranch_execz .LBB259_513
; %bb.506:                              ;   in Loop: Header=BB259_12 Depth=1
	v_bfrev_b32_e32 v9, 1
	s_mov_b32 s21, exec_lo
	v_cmpx_ne_u16_e32 0x80, v3
	s_cbranch_execz .LBB259_512
; %bb.507:                              ;   in Loop: Header=BB259_12 Depth=1
	v_and_b32_sdwa v6, v3, v68 dst_sel:DWORD dst_unused:UNUSED_PAD src0_sel:WORD_0 src1_sel:DWORD
	v_mov_b32_e32 v9, 0x7c010000
	s_mov_b32 s22, exec_lo
	v_cmpx_ne_u32_e32 0x7f, v6
	s_cbranch_execz .LBB259_511
; %bb.508:                              ;   in Loop: Header=BB259_12 Depth=1
	v_mov_b32_e32 v0, 7
	v_lshrrev_b32_e32 v1, 3, v6
	s_mov_b32 s23, exec_lo
	v_and_b32_sdwa v0, v3, v0 dst_sel:DWORD dst_unused:UNUSED_PAD src0_sel:WORD_0 src1_sel:DWORD
	v_cmpx_gt_u32_e32 8, v6
; %bb.509:                              ;   in Loop: Header=BB259_12 Depth=1
	v_ffbh_u32_e32 v0, v0
	v_min_u32_e32 v6, 32, v0
	v_subrev_nc_u32_e32 v0, 28, v6
	v_lshlrev_b64 v[0:1], v0, v[3:4]
	v_sub_nc_u32_e32 v1, 29, v6
	v_and_b32_e32 v0, 7, v0
; %bb.510:                              ;   in Loop: Header=BB259_12 Depth=1
	s_or_b32 exec_lo, exec_lo, s23
	v_mov_b32_e32 v6, 8
	v_lshl_add_u32 v1, v1, 10, 0x2000
	v_lshlrev_b32_e32 v0, 23, v0
	v_lshlrev_b32_sdwa v3, v6, v3 dst_sel:DWORD dst_unused:UNUSED_PAD src0_sel:DWORD src1_sel:WORD_0
	v_and_or_b32 v1, 0x8000, v3, v1
	v_lshl_or_b32 v9, v1, 16, v0
.LBB259_511:                            ;   in Loop: Header=BB259_12 Depth=1
	s_or_b32 exec_lo, exec_lo, s22
.LBB259_512:                            ;   in Loop: Header=BB259_12 Depth=1
	s_or_b32 exec_lo, exec_lo, s21
.LBB259_513:                            ;   in Loop: Header=BB259_12 Depth=1
	s_or_b32 exec_lo, exec_lo, s20
	v_lshrrev_b32_e32 v3, 16, v5
	v_mov_b32_e32 v18, 0
	v_mov_b32_e32 v21, 0
	v_cmp_ne_u16_sdwa s6, v3, v4 src0_sel:BYTE_0 src1_sel:DWORD
	s_and_saveexec_b32 s20, s6
	s_cbranch_execz .LBB259_521
; %bb.514:                              ;   in Loop: Header=BB259_12 Depth=1
	v_cmp_ne_u16_sdwa s6, v3, v66 src0_sel:BYTE_0 src1_sel:DWORD
	v_mov_b32_e32 v21, 0x8000
	s_and_saveexec_b32 s21, s6
	s_cbranch_execz .LBB259_520
; %bb.515:                              ;   in Loop: Header=BB259_12 Depth=1
	v_bfe_u32 v6, v5, 16, 7
	v_mov_b32_e32 v21, 0x7c01
	s_mov_b32 s22, exec_lo
	v_cmpx_ne_u32_e32 0x7f, v6
	s_cbranch_execz .LBB259_519
; %bb.516:                              ;   in Loop: Header=BB259_12 Depth=1
	v_and_b32_e32 v0, 7, v3
	v_lshrrev_b32_e32 v1, 3, v6
	s_mov_b32 s23, exec_lo
	v_cmpx_gt_u32_e32 8, v6
; %bb.517:                              ;   in Loop: Header=BB259_12 Depth=1
	v_ffbh_u32_e32 v0, v0
	v_min_u32_e32 v6, 32, v0
	v_subrev_nc_u32_e32 v0, 28, v6
	v_lshlrev_b64 v[0:1], v0, v[3:4]
	v_sub_nc_u32_e32 v1, 29, v6
	v_and_b32_e32 v0, 7, v0
; %bb.518:                              ;   in Loop: Header=BB259_12 Depth=1
	s_or_b32 exec_lo, exec_lo, s23
	v_lshlrev_b32_e32 v3, 8, v3
	v_lshl_add_u32 v1, v1, 10, 0x2000
	v_lshlrev_b32_e32 v0, 7, v0
	v_and_b32_e32 v3, 0x8000, v3
	v_and_b32_e32 v1, 0xfc00, v1
	v_or3_b32 v21, v3, v1, v0
.LBB259_519:                            ;   in Loop: Header=BB259_12 Depth=1
	s_or_b32 exec_lo, exec_lo, s22
.LBB259_520:                            ;   in Loop: Header=BB259_12 Depth=1
	s_or_b32 exec_lo, exec_lo, s21
.LBB259_521:                            ;   in Loop: Header=BB259_12 Depth=1
	s_or_b32 exec_lo, exec_lo, s20
	s_mov_b32 s20, exec_lo
	v_cmpx_lt_u32_e32 0xffffff, v5
	s_cbranch_execz .LBB259_529
; %bb.522:                              ;   in Loop: Header=BB259_12 Depth=1
	v_lshrrev_b32_e32 v3, 24, v5
	v_bfrev_b32_e32 v18, 1
	s_mov_b32 s21, exec_lo
	v_cmpx_ne_u32_e32 0x80, v3
	s_cbranch_execz .LBB259_528
; %bb.523:                              ;   in Loop: Header=BB259_12 Depth=1
	v_and_b32_e32 v5, 0x7f, v3
	v_mov_b32_e32 v18, 0x7c010000
	s_mov_b32 s22, exec_lo
	v_cmpx_ne_u32_e32 0x7f, v5
	s_cbranch_execz .LBB259_527
; %bb.524:                              ;   in Loop: Header=BB259_12 Depth=1
	v_and_b32_e32 v0, 7, v3
	v_lshrrev_b32_e32 v1, 3, v5
	s_mov_b32 s23, exec_lo
	v_cmpx_gt_u32_e32 8, v5
; %bb.525:                              ;   in Loop: Header=BB259_12 Depth=1
	v_ffbh_u32_e32 v0, v0
	v_min_u32_e32 v5, 32, v0
	v_subrev_nc_u32_e32 v0, 28, v5
	v_lshlrev_b64 v[0:1], v0, v[3:4]
	v_sub_nc_u32_e32 v1, 29, v5
	v_and_b32_e32 v0, 7, v0
; %bb.526:                              ;   in Loop: Header=BB259_12 Depth=1
	s_or_b32 exec_lo, exec_lo, s23
	v_lshlrev_b32_e32 v3, 8, v3
	v_lshl_add_u32 v1, v1, 10, 0x2000
	v_lshlrev_b32_e32 v0, 23, v0
	v_and_or_b32 v1, 0x8000, v3, v1
	v_lshl_or_b32 v18, v1, 16, v0
.LBB259_527:                            ;   in Loop: Header=BB259_12 Depth=1
	s_or_b32 exec_lo, exec_lo, s22
.LBB259_528:                            ;   in Loop: Header=BB259_12 Depth=1
	s_or_b32 exec_lo, exec_lo, s21
.LBB259_529:                            ;   in Loop: Header=BB259_12 Depth=1
	s_or_b32 exec_lo, exec_lo, s20
	v_add_co_u32 v0, s6, 0x800, v24
	v_add_co_ci_u32_e64 v1, null, 0, v25, s6
	v_mov_b32_e32 v12, 0
	v_add_co_u32 v5, s6, v0, v55
	v_add_co_ci_u32_e64 v6, null, 0, v1, s6
	v_mov_b32_e32 v13, 0
	flat_load_dword v5, v[5:6]
	s_waitcnt vmcnt(0) lgkmcnt(0)
	v_cmp_ne_u16_sdwa s6, v5, v4 src0_sel:BYTE_0 src1_sel:DWORD
	s_and_saveexec_b32 s20, s6
	s_cbranch_execz .LBB259_537
; %bb.530:                              ;   in Loop: Header=BB259_12 Depth=1
	v_cmp_ne_u16_sdwa s6, v5, v66 src0_sel:BYTE_0 src1_sel:DWORD
	v_mov_b32_e32 v13, 0x8000
	s_and_saveexec_b32 s21, s6
	s_cbranch_execz .LBB259_536
; %bb.531:                              ;   in Loop: Header=BB259_12 Depth=1
	v_and_b32_e32 v10, 0x7f, v5
	v_mov_b32_e32 v13, 0x7c01
	s_mov_b32 s22, exec_lo
	v_cmpx_ne_u32_e32 0x7f, v10
	s_cbranch_execz .LBB259_535
; %bb.532:                              ;   in Loop: Header=BB259_12 Depth=1
	v_and_b32_e32 v3, 7, v5
	v_lshrrev_b32_e32 v6, 3, v10
	s_mov_b32 s23, exec_lo
	v_cmpx_gt_u32_e32 8, v10
; %bb.533:                              ;   in Loop: Header=BB259_12 Depth=1
	v_ffbh_u32_e32 v3, v3
	v_min_u32_e32 v3, 32, v3
	v_subrev_nc_u32_e32 v6, 28, v3
	v_lshlrev_b64 v[10:11], v6, v[5:6]
	v_sub_nc_u32_e32 v6, 29, v3
	v_and_b32_e32 v3, 7, v10
; %bb.534:                              ;   in Loop: Header=BB259_12 Depth=1
	s_or_b32 exec_lo, exec_lo, s23
	v_lshlrev_b32_e32 v10, 8, v5
	v_lshl_add_u32 v6, v6, 10, 0x2000
	v_lshlrev_b32_e32 v3, 7, v3
	v_and_b32_e32 v10, 0x8000, v10
	v_and_b32_e32 v6, 0xfc00, v6
	v_or3_b32 v13, v10, v6, v3
.LBB259_535:                            ;   in Loop: Header=BB259_12 Depth=1
	s_or_b32 exec_lo, exec_lo, s22
.LBB259_536:                            ;   in Loop: Header=BB259_12 Depth=1
	s_or_b32 exec_lo, exec_lo, s21
.LBB259_537:                            ;   in Loop: Header=BB259_12 Depth=1
	s_or_b32 exec_lo, exec_lo, s20
	v_lshrrev_b16 v3, 8, v5
	s_mov_b32 s20, exec_lo
	v_cmpx_ne_u16_e32 0, v3
	s_cbranch_execz .LBB259_545
; %bb.538:                              ;   in Loop: Header=BB259_12 Depth=1
	v_bfrev_b32_e32 v12, 1
	s_mov_b32 s21, exec_lo
	v_cmpx_ne_u16_e32 0x80, v3
	s_cbranch_execz .LBB259_544
; %bb.539:                              ;   in Loop: Header=BB259_12 Depth=1
	v_and_b32_sdwa v11, v3, v68 dst_sel:DWORD dst_unused:UNUSED_PAD src0_sel:WORD_0 src1_sel:DWORD
	v_mov_b32_e32 v12, 0x7c010000
	s_mov_b32 s22, exec_lo
	v_cmpx_ne_u32_e32 0x7f, v11
	s_cbranch_execz .LBB259_543
; %bb.540:                              ;   in Loop: Header=BB259_12 Depth=1
	v_mov_b32_e32 v6, 7
	v_lshrrev_b32_e32 v10, 3, v11
	s_mov_b32 s23, exec_lo
	v_and_b32_sdwa v6, v3, v6 dst_sel:DWORD dst_unused:UNUSED_PAD src0_sel:WORD_0 src1_sel:DWORD
	v_cmpx_gt_u32_e32 8, v11
; %bb.541:                              ;   in Loop: Header=BB259_12 Depth=1
	v_ffbh_u32_e32 v6, v6
	v_min_u32_e32 v6, 32, v6
	v_subrev_nc_u32_e32 v10, 28, v6
	v_lshlrev_b64 v[11:12], v10, v[3:4]
	v_sub_nc_u32_e32 v10, 29, v6
	v_and_b32_e32 v6, 7, v11
; %bb.542:                              ;   in Loop: Header=BB259_12 Depth=1
	s_or_b32 exec_lo, exec_lo, s23
	v_mov_b32_e32 v11, 8
	v_lshl_add_u32 v10, v10, 10, 0x2000
	v_lshlrev_b32_e32 v6, 23, v6
	v_lshlrev_b32_sdwa v3, v11, v3 dst_sel:DWORD dst_unused:UNUSED_PAD src0_sel:DWORD src1_sel:WORD_0
	v_and_or_b32 v3, 0x8000, v3, v10
	v_lshl_or_b32 v12, v3, 16, v6
.LBB259_543:                            ;   in Loop: Header=BB259_12 Depth=1
	s_or_b32 exec_lo, exec_lo, s22
.LBB259_544:                            ;   in Loop: Header=BB259_12 Depth=1
	s_or_b32 exec_lo, exec_lo, s21
.LBB259_545:                            ;   in Loop: Header=BB259_12 Depth=1
	s_or_b32 exec_lo, exec_lo, s20
	v_lshrrev_b32_e32 v3, 16, v5
	v_mov_b32_e32 v26, 0
	v_mov_b32_e32 v27, 0
	v_cmp_ne_u16_sdwa s6, v3, v4 src0_sel:BYTE_0 src1_sel:DWORD
	s_and_saveexec_b32 s20, s6
	s_cbranch_execz .LBB259_553
; %bb.546:                              ;   in Loop: Header=BB259_12 Depth=1
	v_cmp_ne_u16_sdwa s6, v3, v66 src0_sel:BYTE_0 src1_sel:DWORD
	v_mov_b32_e32 v27, 0x8000
	s_and_saveexec_b32 s21, s6
	s_cbranch_execz .LBB259_552
; %bb.547:                              ;   in Loop: Header=BB259_12 Depth=1
	v_bfe_u32 v11, v5, 16, 7
	v_mov_b32_e32 v27, 0x7c01
	s_mov_b32 s22, exec_lo
	v_cmpx_ne_u32_e32 0x7f, v11
	s_cbranch_execz .LBB259_551
; %bb.548:                              ;   in Loop: Header=BB259_12 Depth=1
	v_and_b32_e32 v6, 7, v3
	v_lshrrev_b32_e32 v10, 3, v11
	s_mov_b32 s23, exec_lo
	v_cmpx_gt_u32_e32 8, v11
; %bb.549:                              ;   in Loop: Header=BB259_12 Depth=1
	v_ffbh_u32_e32 v6, v6
	v_min_u32_e32 v6, 32, v6
	v_subrev_nc_u32_e32 v10, 28, v6
	v_lshlrev_b64 v[27:28], v10, v[3:4]
	v_sub_nc_u32_e32 v10, 29, v6
	v_and_b32_e32 v6, 7, v27
; %bb.550:                              ;   in Loop: Header=BB259_12 Depth=1
	s_or_b32 exec_lo, exec_lo, s23
	v_lshlrev_b32_e32 v3, 8, v3
	v_lshl_add_u32 v10, v10, 10, 0x2000
	v_lshlrev_b32_e32 v6, 7, v6
	v_and_b32_e32 v3, 0x8000, v3
	v_and_b32_e32 v10, 0xfc00, v10
	v_or3_b32 v27, v3, v10, v6
.LBB259_551:                            ;   in Loop: Header=BB259_12 Depth=1
	s_or_b32 exec_lo, exec_lo, s22
.LBB259_552:                            ;   in Loop: Header=BB259_12 Depth=1
	s_or_b32 exec_lo, exec_lo, s21
.LBB259_553:                            ;   in Loop: Header=BB259_12 Depth=1
	s_or_b32 exec_lo, exec_lo, s20
	s_mov_b32 s20, exec_lo
	v_cmpx_lt_u32_e32 0xffffff, v5
	s_cbranch_execz .LBB259_561
; %bb.554:                              ;   in Loop: Header=BB259_12 Depth=1
	v_lshrrev_b32_e32 v3, 24, v5
	v_bfrev_b32_e32 v26, 1
	s_mov_b32 s21, exec_lo
	v_cmpx_ne_u32_e32 0x80, v3
	s_cbranch_execz .LBB259_560
; %bb.555:                              ;   in Loop: Header=BB259_12 Depth=1
	v_and_b32_e32 v10, 0x7f, v3
	v_mov_b32_e32 v26, 0x7c010000
	s_mov_b32 s22, exec_lo
	v_cmpx_ne_u32_e32 0x7f, v10
	s_cbranch_execz .LBB259_559
; %bb.556:                              ;   in Loop: Header=BB259_12 Depth=1
	v_and_b32_e32 v5, 7, v3
	v_lshrrev_b32_e32 v6, 3, v10
	s_mov_b32 s23, exec_lo
	v_cmpx_gt_u32_e32 8, v10
; %bb.557:                              ;   in Loop: Header=BB259_12 Depth=1
	v_ffbh_u32_e32 v5, v5
	v_min_u32_e32 v10, 32, v5
	v_subrev_nc_u32_e32 v5, 28, v10
	v_lshlrev_b64 v[5:6], v5, v[3:4]
	v_sub_nc_u32_e32 v6, 29, v10
	v_and_b32_e32 v5, 7, v5
; %bb.558:                              ;   in Loop: Header=BB259_12 Depth=1
	s_or_b32 exec_lo, exec_lo, s23
	v_lshlrev_b32_e32 v3, 8, v3
	v_lshl_add_u32 v6, v6, 10, 0x2000
	v_lshlrev_b32_e32 v5, 23, v5
	v_and_or_b32 v3, 0x8000, v3, v6
	v_lshl_or_b32 v26, v3, 16, v5
.LBB259_559:                            ;   in Loop: Header=BB259_12 Depth=1
	s_or_b32 exec_lo, exec_lo, s22
.LBB259_560:                            ;   in Loop: Header=BB259_12 Depth=1
	s_or_b32 exec_lo, exec_lo, s21
.LBB259_561:                            ;   in Loop: Header=BB259_12 Depth=1
	s_or_b32 exec_lo, exec_lo, s20
	v_add_co_u32 v0, s6, v0, v69
	v_add_co_ci_u32_e64 v1, null, 0, v1, s6
	v_mov_b32_e32 v6, 0
	v_mov_b32_e32 v10, 0
	flat_load_dword v5, v[0:1]
	s_waitcnt vmcnt(0) lgkmcnt(0)
	v_cmp_ne_u16_sdwa s6, v5, v4 src0_sel:BYTE_0 src1_sel:DWORD
	s_and_saveexec_b32 s20, s6
	s_cbranch_execz .LBB259_569
; %bb.562:                              ;   in Loop: Header=BB259_12 Depth=1
	v_cmp_ne_u16_sdwa s6, v5, v66 src0_sel:BYTE_0 src1_sel:DWORD
	v_mov_b32_e32 v10, 0x8000
	s_and_saveexec_b32 s21, s6
	s_cbranch_execz .LBB259_568
; %bb.563:                              ;   in Loop: Header=BB259_12 Depth=1
	v_and_b32_e32 v3, 0x7f, v5
	v_mov_b32_e32 v10, 0x7c01
	s_mov_b32 s22, exec_lo
	v_cmpx_ne_u32_e32 0x7f, v3
	s_cbranch_execz .LBB259_567
; %bb.564:                              ;   in Loop: Header=BB259_12 Depth=1
	v_and_b32_e32 v0, 7, v5
	v_lshrrev_b32_e32 v1, 3, v3
	s_mov_b32 s23, exec_lo
	v_cmpx_gt_u32_e32 8, v3
; %bb.565:                              ;   in Loop: Header=BB259_12 Depth=1
	v_ffbh_u32_e32 v0, v0
	v_min_u32_e32 v3, 32, v0
	v_subrev_nc_u32_e32 v0, 28, v3
	v_lshlrev_b64 v[0:1], v0, v[5:6]
	v_sub_nc_u32_e32 v1, 29, v3
	v_and_b32_e32 v0, 7, v0
; %bb.566:                              ;   in Loop: Header=BB259_12 Depth=1
	s_or_b32 exec_lo, exec_lo, s23
	v_lshlrev_b32_e32 v3, 8, v5
	v_lshl_add_u32 v1, v1, 10, 0x2000
	v_lshlrev_b32_e32 v0, 7, v0
	v_and_b32_e32 v3, 0x8000, v3
	v_and_b32_e32 v1, 0xfc00, v1
	v_or3_b32 v10, v3, v1, v0
.LBB259_567:                            ;   in Loop: Header=BB259_12 Depth=1
	s_or_b32 exec_lo, exec_lo, s22
.LBB259_568:                            ;   in Loop: Header=BB259_12 Depth=1
	s_or_b32 exec_lo, exec_lo, s21
.LBB259_569:                            ;   in Loop: Header=BB259_12 Depth=1
	s_or_b32 exec_lo, exec_lo, s20
	v_lshrrev_b16 v3, 8, v5
	s_mov_b32 s20, exec_lo
	v_cmpx_ne_u16_e32 0, v3
	s_cbranch_execz .LBB259_577
; %bb.570:                              ;   in Loop: Header=BB259_12 Depth=1
	v_bfrev_b32_e32 v6, 1
	s_mov_b32 s21, exec_lo
	v_cmpx_ne_u16_e32 0x80, v3
	s_cbranch_execz .LBB259_576
; %bb.571:                              ;   in Loop: Header=BB259_12 Depth=1
	v_and_b32_sdwa v11, v3, v68 dst_sel:DWORD dst_unused:UNUSED_PAD src0_sel:WORD_0 src1_sel:DWORD
	v_mov_b32_e32 v6, 0x7c010000
	s_mov_b32 s22, exec_lo
	v_cmpx_ne_u32_e32 0x7f, v11
	s_cbranch_execz .LBB259_575
; %bb.572:                              ;   in Loop: Header=BB259_12 Depth=1
	v_mov_b32_e32 v0, 7
	v_lshrrev_b32_e32 v1, 3, v11
	s_mov_b32 s23, exec_lo
	v_and_b32_sdwa v0, v3, v0 dst_sel:DWORD dst_unused:UNUSED_PAD src0_sel:WORD_0 src1_sel:DWORD
	v_cmpx_gt_u32_e32 8, v11
; %bb.573:                              ;   in Loop: Header=BB259_12 Depth=1
	v_ffbh_u32_e32 v0, v0
	v_min_u32_e32 v6, 32, v0
	v_subrev_nc_u32_e32 v0, 28, v6
	v_lshlrev_b64 v[0:1], v0, v[3:4]
	v_sub_nc_u32_e32 v1, 29, v6
	v_and_b32_e32 v0, 7, v0
; %bb.574:                              ;   in Loop: Header=BB259_12 Depth=1
	s_or_b32 exec_lo, exec_lo, s23
	v_mov_b32_e32 v6, 8
	v_lshl_add_u32 v1, v1, 10, 0x2000
	v_lshlrev_b32_e32 v0, 23, v0
	v_lshlrev_b32_sdwa v3, v6, v3 dst_sel:DWORD dst_unused:UNUSED_PAD src0_sel:DWORD src1_sel:WORD_0
	v_and_or_b32 v1, 0x8000, v3, v1
	v_lshl_or_b32 v6, v1, 16, v0
.LBB259_575:                            ;   in Loop: Header=BB259_12 Depth=1
	s_or_b32 exec_lo, exec_lo, s22
.LBB259_576:                            ;   in Loop: Header=BB259_12 Depth=1
	s_or_b32 exec_lo, exec_lo, s21
.LBB259_577:                            ;   in Loop: Header=BB259_12 Depth=1
	s_or_b32 exec_lo, exec_lo, s20
	v_lshrrev_b32_e32 v3, 16, v5
	v_mov_b32_e32 v28, 0
	v_mov_b32_e32 v11, 0
	v_cmp_ne_u16_sdwa s6, v3, v4 src0_sel:BYTE_0 src1_sel:DWORD
	s_and_saveexec_b32 s20, s6
	s_cbranch_execz .LBB259_585
; %bb.578:                              ;   in Loop: Header=BB259_12 Depth=1
	v_cmp_ne_u16_sdwa s6, v3, v66 src0_sel:BYTE_0 src1_sel:DWORD
	v_mov_b32_e32 v11, 0x8000
	s_and_saveexec_b32 s21, s6
	s_cbranch_execz .LBB259_584
; %bb.579:                              ;   in Loop: Header=BB259_12 Depth=1
	v_bfe_u32 v20, v5, 16, 7
	v_mov_b32_e32 v11, 0x7c01
	s_mov_b32 s22, exec_lo
	v_cmpx_ne_u32_e32 0x7f, v20
	s_cbranch_execz .LBB259_583
; %bb.580:                              ;   in Loop: Header=BB259_12 Depth=1
	v_and_b32_e32 v0, 7, v3
	v_lshrrev_b32_e32 v1, 3, v20
	s_mov_b32 s23, exec_lo
	v_cmpx_gt_u32_e32 8, v20
; %bb.581:                              ;   in Loop: Header=BB259_12 Depth=1
	v_ffbh_u32_e32 v0, v0
	v_min_u32_e32 v11, 32, v0
	v_subrev_nc_u32_e32 v0, 28, v11
	v_lshlrev_b64 v[0:1], v0, v[3:4]
	v_sub_nc_u32_e32 v1, 29, v11
	v_and_b32_e32 v0, 7, v0
; %bb.582:                              ;   in Loop: Header=BB259_12 Depth=1
	s_or_b32 exec_lo, exec_lo, s23
	v_lshlrev_b32_e32 v3, 8, v3
	v_lshl_add_u32 v1, v1, 10, 0x2000
	v_lshlrev_b32_e32 v0, 7, v0
	v_and_b32_e32 v3, 0x8000, v3
	v_and_b32_e32 v1, 0xfc00, v1
	v_or3_b32 v11, v3, v1, v0
.LBB259_583:                            ;   in Loop: Header=BB259_12 Depth=1
	s_or_b32 exec_lo, exec_lo, s22
.LBB259_584:                            ;   in Loop: Header=BB259_12 Depth=1
	s_or_b32 exec_lo, exec_lo, s21
.LBB259_585:                            ;   in Loop: Header=BB259_12 Depth=1
	s_or_b32 exec_lo, exec_lo, s20
	s_mov_b32 s20, exec_lo
	v_cmpx_lt_u32_e32 0xffffff, v5
	s_cbranch_execz .LBB259_593
; %bb.586:                              ;   in Loop: Header=BB259_12 Depth=1
	v_lshrrev_b32_e32 v3, 24, v5
	v_bfrev_b32_e32 v28, 1
	s_mov_b32 s21, exec_lo
	v_cmpx_ne_u32_e32 0x80, v3
	s_cbranch_execz .LBB259_592
; %bb.587:                              ;   in Loop: Header=BB259_12 Depth=1
	v_and_b32_e32 v5, 0x7f, v3
	v_mov_b32_e32 v28, 0x7c010000
	s_mov_b32 s22, exec_lo
	v_cmpx_ne_u32_e32 0x7f, v5
	s_cbranch_execz .LBB259_591
; %bb.588:                              ;   in Loop: Header=BB259_12 Depth=1
	v_and_b32_e32 v0, 7, v3
	v_lshrrev_b32_e32 v1, 3, v5
	s_mov_b32 s23, exec_lo
	v_cmpx_gt_u32_e32 8, v5
; %bb.589:                              ;   in Loop: Header=BB259_12 Depth=1
	v_ffbh_u32_e32 v0, v0
	v_min_u32_e32 v5, 32, v0
	v_subrev_nc_u32_e32 v0, 28, v5
	v_lshlrev_b64 v[0:1], v0, v[3:4]
	v_sub_nc_u32_e32 v1, 29, v5
	v_and_b32_e32 v0, 7, v0
; %bb.590:                              ;   in Loop: Header=BB259_12 Depth=1
	s_or_b32 exec_lo, exec_lo, s23
	v_lshlrev_b32_e32 v3, 8, v3
	v_lshl_add_u32 v1, v1, 10, 0x2000
	v_lshlrev_b32_e32 v0, 23, v0
	v_and_or_b32 v1, 0x8000, v3, v1
	v_lshl_or_b32 v28, v1, 16, v0
.LBB259_591:                            ;   in Loop: Header=BB259_12 Depth=1
	s_or_b32 exec_lo, exec_lo, s22
.LBB259_592:                            ;   in Loop: Header=BB259_12 Depth=1
	s_or_b32 exec_lo, exec_lo, s21
.LBB259_593:                            ;   in Loop: Header=BB259_12 Depth=1
	s_or_b32 exec_lo, exec_lo, s20
	v_add_co_u32 v20, s6, 0x900, v24
	v_add_co_ci_u32_e64 v39, null, 0, v25, s6
	v_add_co_u32 v0, s6, v20, v55
	v_add_co_ci_u32_e64 v1, null, 0, v39, s6
	flat_load_dword v5, v[0:1]
	v_mov_b32_e32 v0, 0
	v_mov_b32_e32 v1, 0
	s_waitcnt vmcnt(0) lgkmcnt(0)
	v_cmp_ne_u16_sdwa s6, v5, v4 src0_sel:BYTE_0 src1_sel:DWORD
	s_and_saveexec_b32 s20, s6
	s_cbranch_execz .LBB259_601
; %bb.594:                              ;   in Loop: Header=BB259_12 Depth=1
	v_cmp_ne_u16_sdwa s6, v5, v66 src0_sel:BYTE_0 src1_sel:DWORD
	v_mov_b32_e32 v1, 0x8000
	s_and_saveexec_b32 s21, s6
	s_cbranch_execz .LBB259_600
; %bb.595:                              ;   in Loop: Header=BB259_12 Depth=1
	v_and_b32_e32 v29, 0x7f, v5
	v_mov_b32_e32 v1, 0x7c01
	s_mov_b32 s22, exec_lo
	v_cmpx_ne_u32_e32 0x7f, v29
	s_cbranch_execz .LBB259_599
; %bb.596:                              ;   in Loop: Header=BB259_12 Depth=1
	v_and_b32_e32 v1, 7, v5
	v_lshrrev_b32_e32 v3, 3, v29
	s_mov_b32 s23, exec_lo
	v_cmpx_gt_u32_e32 8, v29
; %bb.597:                              ;   in Loop: Header=BB259_12 Depth=1
	v_ffbh_u32_e32 v1, v1
	v_min_u32_e32 v1, 32, v1
	v_subrev_nc_u32_e32 v3, 28, v1
	v_lshlrev_b64 v[51:52], v3, v[5:6]
	v_sub_nc_u32_e32 v3, 29, v1
	v_and_b32_e32 v1, 7, v51
; %bb.598:                              ;   in Loop: Header=BB259_12 Depth=1
	s_or_b32 exec_lo, exec_lo, s23
	v_lshlrev_b32_e32 v19, 8, v5
	v_lshl_add_u32 v3, v3, 10, 0x2000
	v_lshlrev_b32_e32 v1, 7, v1
	v_and_b32_e32 v19, 0x8000, v19
	v_and_b32_e32 v3, 0xfc00, v3
	v_or3_b32 v1, v19, v3, v1
.LBB259_599:                            ;   in Loop: Header=BB259_12 Depth=1
	s_or_b32 exec_lo, exec_lo, s22
.LBB259_600:                            ;   in Loop: Header=BB259_12 Depth=1
	s_or_b32 exec_lo, exec_lo, s21
.LBB259_601:                            ;   in Loop: Header=BB259_12 Depth=1
	s_or_b32 exec_lo, exec_lo, s20
	v_lshrrev_b16 v3, 8, v5
	s_mov_b32 s20, exec_lo
	v_cmpx_ne_u16_e32 0, v3
	s_cbranch_execz .LBB259_609
; %bb.602:                              ;   in Loop: Header=BB259_12 Depth=1
	v_bfrev_b32_e32 v0, 1
	s_mov_b32 s21, exec_lo
	v_cmpx_ne_u16_e32 0x80, v3
	s_cbranch_execz .LBB259_608
; %bb.603:                              ;   in Loop: Header=BB259_12 Depth=1
	v_and_b32_sdwa v34, v3, v68 dst_sel:DWORD dst_unused:UNUSED_PAD src0_sel:WORD_0 src1_sel:DWORD
	v_mov_b32_e32 v0, 0x7c010000
	s_mov_b32 s22, exec_lo
	v_cmpx_ne_u32_e32 0x7f, v34
	s_cbranch_execz .LBB259_607
; %bb.604:                              ;   in Loop: Header=BB259_12 Depth=1
	v_mov_b32_e32 v0, 7
	v_lshrrev_b32_e32 v29, 3, v34
	s_mov_b32 s23, exec_lo
	v_and_b32_sdwa v0, v3, v0 dst_sel:DWORD dst_unused:UNUSED_PAD src0_sel:WORD_0 src1_sel:DWORD
	v_cmpx_gt_u32_e32 8, v34
; %bb.605:                              ;   in Loop: Header=BB259_12 Depth=1
	v_ffbh_u32_e32 v0, v0
	v_min_u32_e32 v0, 32, v0
	v_subrev_nc_u32_e32 v19, 28, v0
	v_sub_nc_u32_e32 v29, 29, v0
	v_lshlrev_b64 v[51:52], v19, v[3:4]
	v_and_b32_e32 v0, 7, v51
; %bb.606:                              ;   in Loop: Header=BB259_12 Depth=1
	s_or_b32 exec_lo, exec_lo, s23
	v_mov_b32_e32 v19, 8
	v_lshlrev_b32_e32 v0, 23, v0
	v_lshlrev_b32_sdwa v3, v19, v3 dst_sel:DWORD dst_unused:UNUSED_PAD src0_sel:DWORD src1_sel:WORD_0
	v_lshl_add_u32 v19, v29, 10, 0x2000
	v_and_or_b32 v3, 0x8000, v3, v19
	v_lshl_or_b32 v0, v3, 16, v0
.LBB259_607:                            ;   in Loop: Header=BB259_12 Depth=1
	s_or_b32 exec_lo, exec_lo, s22
.LBB259_608:                            ;   in Loop: Header=BB259_12 Depth=1
	s_or_b32 exec_lo, exec_lo, s21
.LBB259_609:                            ;   in Loop: Header=BB259_12 Depth=1
	s_or_b32 exec_lo, exec_lo, s20
	v_lshrrev_b32_e32 v3, 16, v5
	v_mov_b32_e32 v34, 0
	v_mov_b32_e32 v29, 0
	v_cmp_ne_u16_sdwa s6, v3, v4 src0_sel:BYTE_0 src1_sel:DWORD
	s_and_saveexec_b32 s20, s6
	s_cbranch_execz .LBB259_617
; %bb.610:                              ;   in Loop: Header=BB259_12 Depth=1
	v_cmp_ne_u16_sdwa s6, v3, v66 src0_sel:BYTE_0 src1_sel:DWORD
	v_mov_b32_e32 v29, 0x8000
	s_and_saveexec_b32 s21, s6
	s_cbranch_execz .LBB259_616
; %bb.611:                              ;   in Loop: Header=BB259_12 Depth=1
	v_bfe_u32 v51, v5, 16, 7
	v_mov_b32_e32 v29, 0x7c01
	s_mov_b32 s22, exec_lo
	v_cmpx_ne_u32_e32 0x7f, v51
	s_cbranch_execz .LBB259_615
; %bb.612:                              ;   in Loop: Header=BB259_12 Depth=1
	v_and_b32_e32 v29, 7, v3
	v_lshrrev_b32_e32 v49, 3, v51
	s_mov_b32 s23, exec_lo
	v_cmpx_gt_u32_e32 8, v51
; %bb.613:                              ;   in Loop: Header=BB259_12 Depth=1
	v_ffbh_u32_e32 v19, v29
	v_min_u32_e32 v19, 32, v19
	v_subrev_nc_u32_e32 v29, 28, v19
	v_sub_nc_u32_e32 v49, 29, v19
	v_lshlrev_b64 v[51:52], v29, v[3:4]
	v_and_b32_e32 v29, 7, v51
; %bb.614:                              ;   in Loop: Header=BB259_12 Depth=1
	s_or_b32 exec_lo, exec_lo, s23
	v_lshlrev_b32_e32 v3, 8, v3
	v_lshl_add_u32 v19, v49, 10, 0x2000
	v_lshlrev_b32_e32 v29, 7, v29
	v_and_b32_e32 v3, 0x8000, v3
	v_and_b32_e32 v19, 0xfc00, v19
	v_or3_b32 v29, v3, v19, v29
.LBB259_615:                            ;   in Loop: Header=BB259_12 Depth=1
	s_or_b32 exec_lo, exec_lo, s22
.LBB259_616:                            ;   in Loop: Header=BB259_12 Depth=1
	s_or_b32 exec_lo, exec_lo, s21
.LBB259_617:                            ;   in Loop: Header=BB259_12 Depth=1
	s_or_b32 exec_lo, exec_lo, s20
	s_mov_b32 s20, exec_lo
	v_cmpx_lt_u32_e32 0xffffff, v5
	s_cbranch_execz .LBB259_625
; %bb.618:                              ;   in Loop: Header=BB259_12 Depth=1
	v_lshrrev_b32_e32 v3, 24, v5
	v_bfrev_b32_e32 v34, 1
	s_mov_b32 s21, exec_lo
	v_cmpx_ne_u32_e32 0x80, v3
	s_cbranch_execz .LBB259_624
; %bb.619:                              ;   in Loop: Header=BB259_12 Depth=1
	v_and_b32_e32 v49, 0x7f, v3
	v_mov_b32_e32 v34, 0x7c010000
	s_mov_b32 s22, exec_lo
	v_cmpx_ne_u32_e32 0x7f, v49
	s_cbranch_execz .LBB259_623
; %bb.620:                              ;   in Loop: Header=BB259_12 Depth=1
	v_and_b32_e32 v5, 7, v3
	v_lshrrev_b32_e32 v34, 3, v49
	s_mov_b32 s23, exec_lo
	v_cmpx_gt_u32_e32 8, v49
; %bb.621:                              ;   in Loop: Header=BB259_12 Depth=1
	v_ffbh_u32_e32 v5, v5
	v_min_u32_e32 v5, 32, v5
	v_subrev_nc_u32_e32 v19, 28, v5
	v_sub_nc_u32_e32 v34, 29, v5
	v_lshlrev_b64 v[51:52], v19, v[3:4]
	v_and_b32_e32 v5, 7, v51
; %bb.622:                              ;   in Loop: Header=BB259_12 Depth=1
	s_or_b32 exec_lo, exec_lo, s23
	v_lshlrev_b32_e32 v3, 8, v3
	v_lshl_add_u32 v19, v34, 10, 0x2000
	v_lshlrev_b32_e32 v5, 23, v5
	v_and_or_b32 v3, 0x8000, v3, v19
	v_lshl_or_b32 v34, v3, 16, v5
.LBB259_623:                            ;   in Loop: Header=BB259_12 Depth=1
	s_or_b32 exec_lo, exec_lo, s22
.LBB259_624:                            ;   in Loop: Header=BB259_12 Depth=1
	s_or_b32 exec_lo, exec_lo, s21
.LBB259_625:                            ;   in Loop: Header=BB259_12 Depth=1
	s_or_b32 exec_lo, exec_lo, s20
	v_add_co_u32 v51, s6, v20, v69
	v_add_co_ci_u32_e64 v52, null, 0, v39, s6
	v_mov_b32_e32 v39, 0
	v_mov_b32_e32 v49, 0
	flat_load_dword v5, v[51:52]
	s_waitcnt vmcnt(0) lgkmcnt(0)
	v_cmp_ne_u16_sdwa s6, v5, v4 src0_sel:BYTE_0 src1_sel:DWORD
	s_and_saveexec_b32 s20, s6
	s_cbranch_execz .LBB259_633
; %bb.626:                              ;   in Loop: Header=BB259_12 Depth=1
	v_cmp_ne_u16_sdwa s6, v5, v66 src0_sel:BYTE_0 src1_sel:DWORD
	v_mov_b32_e32 v49, 0x8000
	s_and_saveexec_b32 s21, s6
	s_cbranch_execz .LBB259_632
; %bb.627:                              ;   in Loop: Header=BB259_12 Depth=1
	v_and_b32_e32 v51, 0x7f, v5
	v_mov_b32_e32 v49, 0x7c01
	s_mov_b32 s22, exec_lo
	v_cmpx_ne_u32_e32 0x7f, v51
	s_cbranch_execz .LBB259_631
; %bb.628:                              ;   in Loop: Header=BB259_12 Depth=1
	v_and_b32_e32 v3, 7, v5
	v_lshrrev_b32_e32 v20, 3, v51
	s_mov_b32 s23, exec_lo
	v_cmpx_gt_u32_e32 8, v51
; %bb.629:                              ;   in Loop: Header=BB259_12 Depth=1
	v_ffbh_u32_e32 v3, v3
	v_min_u32_e32 v3, 32, v3
	v_subrev_nc_u32_e32 v19, 28, v3
	v_sub_nc_u32_e32 v20, 29, v3
	v_lshlrev_b64 v[51:52], v19, v[5:6]
	v_and_b32_e32 v3, 7, v51
; %bb.630:                              ;   in Loop: Header=BB259_12 Depth=1
	s_or_b32 exec_lo, exec_lo, s23
	v_lshlrev_b32_e32 v19, 8, v5
	v_lshl_add_u32 v20, v20, 10, 0x2000
	v_lshlrev_b32_e32 v3, 7, v3
	v_and_b32_e32 v19, 0x8000, v19
	v_and_b32_e32 v20, 0xfc00, v20
	v_or3_b32 v49, v19, v20, v3
.LBB259_631:                            ;   in Loop: Header=BB259_12 Depth=1
	s_or_b32 exec_lo, exec_lo, s22
.LBB259_632:                            ;   in Loop: Header=BB259_12 Depth=1
	s_or_b32 exec_lo, exec_lo, s21
.LBB259_633:                            ;   in Loop: Header=BB259_12 Depth=1
	s_or_b32 exec_lo, exec_lo, s20
	v_lshrrev_b16 v3, 8, v5
	s_mov_b32 s20, exec_lo
	v_cmpx_ne_u16_e32 0, v3
	s_cbranch_execz .LBB259_641
; %bb.634:                              ;   in Loop: Header=BB259_12 Depth=1
	v_bfrev_b32_e32 v39, 1
	s_mov_b32 s21, exec_lo
	v_cmpx_ne_u16_e32 0x80, v3
	s_cbranch_execz .LBB259_640
; %bb.635:                              ;   in Loop: Header=BB259_12 Depth=1
	v_and_b32_sdwa v51, v3, v68 dst_sel:DWORD dst_unused:UNUSED_PAD src0_sel:WORD_0 src1_sel:DWORD
	v_mov_b32_e32 v39, 0x7c010000
	s_mov_b32 s22, exec_lo
	v_cmpx_ne_u32_e32 0x7f, v51
	s_cbranch_execz .LBB259_639
; %bb.636:                              ;   in Loop: Header=BB259_12 Depth=1
	v_mov_b32_e32 v19, 7
	v_lshrrev_b32_e32 v39, 3, v51
	s_mov_b32 s23, exec_lo
	v_and_b32_sdwa v20, v3, v19 dst_sel:DWORD dst_unused:UNUSED_PAD src0_sel:WORD_0 src1_sel:DWORD
	v_cmpx_gt_u32_e32 8, v51
; %bb.637:                              ;   in Loop: Header=BB259_12 Depth=1
	v_ffbh_u32_e32 v19, v20
	v_min_u32_e32 v19, 32, v19
	v_subrev_nc_u32_e32 v20, 28, v19
	v_sub_nc_u32_e32 v39, 29, v19
	v_lshlrev_b64 v[51:52], v20, v[3:4]
	v_and_b32_e32 v20, 7, v51
; %bb.638:                              ;   in Loop: Header=BB259_12 Depth=1
	s_or_b32 exec_lo, exec_lo, s23
	v_mov_b32_e32 v19, 8
	v_lshlrev_b32_sdwa v3, v19, v3 dst_sel:DWORD dst_unused:UNUSED_PAD src0_sel:DWORD src1_sel:WORD_0
	v_lshl_add_u32 v19, v39, 10, 0x2000
	v_and_or_b32 v3, 0x8000, v3, v19
	v_lshlrev_b32_e32 v19, 23, v20
	v_lshl_or_b32 v39, v3, 16, v19
.LBB259_639:                            ;   in Loop: Header=BB259_12 Depth=1
	s_or_b32 exec_lo, exec_lo, s22
.LBB259_640:                            ;   in Loop: Header=BB259_12 Depth=1
	s_or_b32 exec_lo, exec_lo, s21
.LBB259_641:                            ;   in Loop: Header=BB259_12 Depth=1
	s_or_b32 exec_lo, exec_lo, s20
	v_lshrrev_b32_e32 v3, 16, v5
	v_mov_b32_e32 v51, 0
	v_mov_b32_e32 v71, 0
	v_cmp_ne_u16_sdwa s6, v3, v4 src0_sel:BYTE_0 src1_sel:DWORD
	s_and_saveexec_b32 s20, s6
	s_cbranch_execz .LBB259_649
; %bb.642:                              ;   in Loop: Header=BB259_12 Depth=1
	v_cmp_ne_u16_sdwa s6, v3, v66 src0_sel:BYTE_0 src1_sel:DWORD
	v_mov_b32_e32 v71, 0x8000
	s_and_saveexec_b32 s21, s6
	s_cbranch_execz .LBB259_648
; %bb.643:                              ;   in Loop: Header=BB259_12 Depth=1
	v_bfe_u32 v67, v5, 16, 7
	v_mov_b32_e32 v71, 0x7c01
	s_mov_b32 s22, exec_lo
	v_cmpx_ne_u32_e32 0x7f, v67
	s_cbranch_execz .LBB259_647
; %bb.644:                              ;   in Loop: Header=BB259_12 Depth=1
	v_and_b32_e32 v20, 7, v3
	v_lshrrev_b32_e32 v52, 3, v67
	s_mov_b32 s23, exec_lo
	v_cmpx_gt_u32_e32 8, v67
; %bb.645:                              ;   in Loop: Header=BB259_12 Depth=1
	v_ffbh_u32_e32 v19, v20
	v_min_u32_e32 v19, 32, v19
	v_subrev_nc_u32_e32 v20, 28, v19
	v_sub_nc_u32_e32 v52, 29, v19
	v_lshlrev_b64 v[81:82], v20, v[3:4]
	v_and_b32_e32 v20, 7, v81
; %bb.646:                              ;   in Loop: Header=BB259_12 Depth=1
	s_or_b32 exec_lo, exec_lo, s23
	v_lshlrev_b32_e32 v3, 8, v3
	v_lshl_add_u32 v19, v52, 10, 0x2000
	v_lshlrev_b32_e32 v20, 7, v20
	v_and_b32_e32 v3, 0x8000, v3
	v_and_b32_e32 v19, 0xfc00, v19
	v_or3_b32 v71, v3, v19, v20
.LBB259_647:                            ;   in Loop: Header=BB259_12 Depth=1
	s_or_b32 exec_lo, exec_lo, s22
.LBB259_648:                            ;   in Loop: Header=BB259_12 Depth=1
	s_or_b32 exec_lo, exec_lo, s21
.LBB259_649:                            ;   in Loop: Header=BB259_12 Depth=1
	s_or_b32 exec_lo, exec_lo, s20
	s_mov_b32 s20, exec_lo
	v_cmpx_lt_u32_e32 0xffffff, v5
	s_cbranch_execz .LBB259_657
; %bb.650:                              ;   in Loop: Header=BB259_12 Depth=1
	v_lshrrev_b32_e32 v3, 24, v5
	v_bfrev_b32_e32 v51, 1
	s_mov_b32 s21, exec_lo
	v_cmpx_ne_u32_e32 0x80, v3
	s_cbranch_execz .LBB259_656
; %bb.651:                              ;   in Loop: Header=BB259_12 Depth=1
	v_and_b32_e32 v52, 0x7f, v3
	v_mov_b32_e32 v51, 0x7c010000
	s_mov_b32 s22, exec_lo
	v_cmpx_ne_u32_e32 0x7f, v52
	s_cbranch_execz .LBB259_655
; %bb.652:                              ;   in Loop: Header=BB259_12 Depth=1
	v_and_b32_e32 v5, 7, v3
	v_lshrrev_b32_e32 v20, 3, v52
	s_mov_b32 s23, exec_lo
	v_cmpx_gt_u32_e32 8, v52
; %bb.653:                              ;   in Loop: Header=BB259_12 Depth=1
	v_ffbh_u32_e32 v5, v5
	v_min_u32_e32 v5, 32, v5
	v_subrev_nc_u32_e32 v19, 28, v5
	v_sub_nc_u32_e32 v20, 29, v5
	v_lshlrev_b64 v[51:52], v19, v[3:4]
	v_and_b32_e32 v5, 7, v51
; %bb.654:                              ;   in Loop: Header=BB259_12 Depth=1
	s_or_b32 exec_lo, exec_lo, s23
	v_lshlrev_b32_e32 v3, 8, v3
	v_lshl_add_u32 v19, v20, 10, 0x2000
	v_lshlrev_b32_e32 v5, 23, v5
	v_and_or_b32 v3, 0x8000, v3, v19
	v_lshl_or_b32 v51, v3, 16, v5
.LBB259_655:                            ;   in Loop: Header=BB259_12 Depth=1
	s_or_b32 exec_lo, exec_lo, s22
.LBB259_656:                            ;   in Loop: Header=BB259_12 Depth=1
	s_or_b32 exec_lo, exec_lo, s21
.LBB259_657:                            ;   in Loop: Header=BB259_12 Depth=1
	s_or_b32 exec_lo, exec_lo, s20
	v_add_co_u32 v20, s6, 0xa00, v24
	v_add_co_ci_u32_e64 v82, null, 0, v25, s6
	v_mov_b32_e32 v81, 0
	v_add_co_u32 v89, s6, v20, v55
	v_add_co_ci_u32_e64 v90, null, 0, v82, s6
	v_mov_b32_e32 v107, 0
	flat_load_dword v5, v[89:90]
	s_waitcnt vmcnt(0) lgkmcnt(0)
	v_cmp_ne_u16_sdwa s6, v5, v4 src0_sel:BYTE_0 src1_sel:DWORD
	s_and_saveexec_b32 s20, s6
	s_cbranch_execz .LBB259_665
; %bb.658:                              ;   in Loop: Header=BB259_12 Depth=1
	v_cmp_ne_u16_sdwa s6, v5, v66 src0_sel:BYTE_0 src1_sel:DWORD
	v_mov_b32_e32 v107, 0x8000
	s_and_saveexec_b32 s21, s6
	s_cbranch_execz .LBB259_664
; %bb.659:                              ;   in Loop: Header=BB259_12 Depth=1
	v_and_b32_e32 v67, 0x7f, v5
	v_mov_b32_e32 v107, 0x7c01
	s_mov_b32 s22, exec_lo
	v_cmpx_ne_u32_e32 0x7f, v67
	s_cbranch_execz .LBB259_663
; %bb.660:                              ;   in Loop: Header=BB259_12 Depth=1
	v_and_b32_e32 v3, 7, v5
	v_lshrrev_b32_e32 v52, 3, v67
	s_mov_b32 s23, exec_lo
	v_cmpx_gt_u32_e32 8, v67
; %bb.661:                              ;   in Loop: Header=BB259_12 Depth=1
	v_ffbh_u32_e32 v3, v3
	v_min_u32_e32 v3, 32, v3
	v_subrev_nc_u32_e32 v19, 28, v3
	v_sub_nc_u32_e32 v52, 29, v3
	v_lshlrev_b64 v[89:90], v19, v[5:6]
	v_and_b32_e32 v3, 7, v89
; %bb.662:                              ;   in Loop: Header=BB259_12 Depth=1
	s_or_b32 exec_lo, exec_lo, s23
	v_lshlrev_b32_e32 v19, 8, v5
	v_lshl_add_u32 v52, v52, 10, 0x2000
	v_lshlrev_b32_e32 v3, 7, v3
	v_and_b32_e32 v19, 0x8000, v19
	v_and_b32_e32 v52, 0xfc00, v52
	v_or3_b32 v107, v19, v52, v3
.LBB259_663:                            ;   in Loop: Header=BB259_12 Depth=1
	s_or_b32 exec_lo, exec_lo, s22
.LBB259_664:                            ;   in Loop: Header=BB259_12 Depth=1
	s_or_b32 exec_lo, exec_lo, s21
.LBB259_665:                            ;   in Loop: Header=BB259_12 Depth=1
	s_or_b32 exec_lo, exec_lo, s20
	v_lshrrev_b16 v3, 8, v5
	s_mov_b32 s20, exec_lo
	v_cmpx_ne_u16_e32 0, v3
	s_cbranch_execz .LBB259_673
; %bb.666:                              ;   in Loop: Header=BB259_12 Depth=1
	v_bfrev_b32_e32 v81, 1
	s_mov_b32 s21, exec_lo
	v_cmpx_ne_u16_e32 0x80, v3
	s_cbranch_execz .LBB259_672
; %bb.667:                              ;   in Loop: Header=BB259_12 Depth=1
	v_and_b32_sdwa v89, v3, v68 dst_sel:DWORD dst_unused:UNUSED_PAD src0_sel:WORD_0 src1_sel:DWORD
	v_mov_b32_e32 v81, 0x7c010000
	s_mov_b32 s22, exec_lo
	v_cmpx_ne_u32_e32 0x7f, v89
	s_cbranch_execz .LBB259_671
; %bb.668:                              ;   in Loop: Header=BB259_12 Depth=1
	v_mov_b32_e32 v19, 7
	v_lshrrev_b32_e32 v67, 3, v89
	s_mov_b32 s23, exec_lo
	v_and_b32_sdwa v52, v3, v19 dst_sel:DWORD dst_unused:UNUSED_PAD src0_sel:WORD_0 src1_sel:DWORD
	v_cmpx_gt_u32_e32 8, v89
; %bb.669:                              ;   in Loop: Header=BB259_12 Depth=1
	v_ffbh_u32_e32 v19, v52
	v_min_u32_e32 v19, 32, v19
	v_subrev_nc_u32_e32 v52, 28, v19
	v_sub_nc_u32_e32 v67, 29, v19
	v_lshlrev_b64 v[89:90], v52, v[3:4]
	v_and_b32_e32 v52, 7, v89
; %bb.670:                              ;   in Loop: Header=BB259_12 Depth=1
	s_or_b32 exec_lo, exec_lo, s23
	v_mov_b32_e32 v19, 8
	v_lshlrev_b32_sdwa v3, v19, v3 dst_sel:DWORD dst_unused:UNUSED_PAD src0_sel:DWORD src1_sel:WORD_0
	v_lshl_add_u32 v19, v67, 10, 0x2000
	v_and_or_b32 v3, 0x8000, v3, v19
	v_lshlrev_b32_e32 v19, 23, v52
	v_lshl_or_b32 v81, v3, 16, v19
.LBB259_671:                            ;   in Loop: Header=BB259_12 Depth=1
	s_or_b32 exec_lo, exec_lo, s22
.LBB259_672:                            ;   in Loop: Header=BB259_12 Depth=1
	s_or_b32 exec_lo, exec_lo, s21
.LBB259_673:                            ;   in Loop: Header=BB259_12 Depth=1
	s_or_b32 exec_lo, exec_lo, s20
	v_lshrrev_b32_e32 v3, 16, v5
	v_mov_b32_e32 v121, 0
	v_mov_b32_e32 v108, 0
	v_cmp_ne_u16_sdwa s6, v3, v4 src0_sel:BYTE_0 src1_sel:DWORD
	s_and_saveexec_b32 s20, s6
	s_cbranch_execz .LBB259_681
; %bb.674:                              ;   in Loop: Header=BB259_12 Depth=1
	v_cmp_ne_u16_sdwa s6, v3, v66 src0_sel:BYTE_0 src1_sel:DWORD
	v_mov_b32_e32 v108, 0x8000
	s_and_saveexec_b32 s21, s6
	s_cbranch_execz .LBB259_680
; %bb.675:                              ;   in Loop: Header=BB259_12 Depth=1
	v_bfe_u32 v89, v5, 16, 7
	v_mov_b32_e32 v108, 0x7c01
	s_mov_b32 s22, exec_lo
	v_cmpx_ne_u32_e32 0x7f, v89
	s_cbranch_execz .LBB259_679
; %bb.676:                              ;   in Loop: Header=BB259_12 Depth=1
	v_and_b32_e32 v52, 7, v3
	v_lshrrev_b32_e32 v67, 3, v89
	s_mov_b32 s23, exec_lo
	v_cmpx_gt_u32_e32 8, v89
; %bb.677:                              ;   in Loop: Header=BB259_12 Depth=1
	v_ffbh_u32_e32 v19, v52
	v_min_u32_e32 v19, 32, v19
	v_subrev_nc_u32_e32 v52, 28, v19
	v_sub_nc_u32_e32 v67, 29, v19
	v_lshlrev_b64 v[89:90], v52, v[3:4]
	v_and_b32_e32 v52, 7, v89
; %bb.678:                              ;   in Loop: Header=BB259_12 Depth=1
	s_or_b32 exec_lo, exec_lo, s23
	v_lshlrev_b32_e32 v3, 8, v3
	v_lshl_add_u32 v19, v67, 10, 0x2000
	v_lshlrev_b32_e32 v52, 7, v52
	v_and_b32_e32 v3, 0x8000, v3
	v_and_b32_e32 v19, 0xfc00, v19
	v_or3_b32 v108, v3, v19, v52
.LBB259_679:                            ;   in Loop: Header=BB259_12 Depth=1
	s_or_b32 exec_lo, exec_lo, s22
.LBB259_680:                            ;   in Loop: Header=BB259_12 Depth=1
	s_or_b32 exec_lo, exec_lo, s21
.LBB259_681:                            ;   in Loop: Header=BB259_12 Depth=1
	s_or_b32 exec_lo, exec_lo, s20
	s_mov_b32 s20, exec_lo
	v_cmpx_lt_u32_e32 0xffffff, v5
	s_cbranch_execz .LBB259_689
; %bb.682:                              ;   in Loop: Header=BB259_12 Depth=1
	v_lshrrev_b32_e32 v3, 24, v5
	v_bfrev_b32_e32 v121, 1
	s_mov_b32 s21, exec_lo
	v_cmpx_ne_u32_e32 0x80, v3
	s_cbranch_execz .LBB259_688
; %bb.683:                              ;   in Loop: Header=BB259_12 Depth=1
	v_and_b32_e32 v67, 0x7f, v3
	v_mov_b32_e32 v121, 0x7c010000
	s_mov_b32 s22, exec_lo
	v_cmpx_ne_u32_e32 0x7f, v67
	s_cbranch_execz .LBB259_687
; %bb.684:                              ;   in Loop: Header=BB259_12 Depth=1
	v_and_b32_e32 v5, 7, v3
	v_lshrrev_b32_e32 v52, 3, v67
	s_mov_b32 s23, exec_lo
	v_cmpx_gt_u32_e32 8, v67
; %bb.685:                              ;   in Loop: Header=BB259_12 Depth=1
	v_ffbh_u32_e32 v5, v5
	v_min_u32_e32 v5, 32, v5
	v_subrev_nc_u32_e32 v19, 28, v5
	v_sub_nc_u32_e32 v52, 29, v5
	v_lshlrev_b64 v[89:90], v19, v[3:4]
	v_and_b32_e32 v5, 7, v89
; %bb.686:                              ;   in Loop: Header=BB259_12 Depth=1
	s_or_b32 exec_lo, exec_lo, s23
	v_lshlrev_b32_e32 v3, 8, v3
	v_lshl_add_u32 v19, v52, 10, 0x2000
	v_lshlrev_b32_e32 v5, 23, v5
	v_and_or_b32 v3, 0x8000, v3, v19
	v_lshl_or_b32 v121, v3, 16, v5
.LBB259_687:                            ;   in Loop: Header=BB259_12 Depth=1
	s_or_b32 exec_lo, exec_lo, s22
.LBB259_688:                            ;   in Loop: Header=BB259_12 Depth=1
	s_or_b32 exec_lo, exec_lo, s21
.LBB259_689:                            ;   in Loop: Header=BB259_12 Depth=1
	s_or_b32 exec_lo, exec_lo, s20
	v_add_co_u32 v89, s6, v20, v69
	v_add_co_ci_u32_e64 v90, null, 0, v82, s6
	v_mov_b32_e32 v93, 0
	v_mov_b32_e32 v94, 0
	flat_load_dword v5, v[89:90]
	s_waitcnt vmcnt(0) lgkmcnt(0)
	v_cmp_ne_u16_sdwa s6, v5, v4 src0_sel:BYTE_0 src1_sel:DWORD
	s_and_saveexec_b32 s20, s6
	s_cbranch_execz .LBB259_697
; %bb.690:                              ;   in Loop: Header=BB259_12 Depth=1
	v_cmp_ne_u16_sdwa s6, v5, v66 src0_sel:BYTE_0 src1_sel:DWORD
	v_mov_b32_e32 v94, 0x8000
	s_and_saveexec_b32 s21, s6
	s_cbranch_execz .LBB259_696
; %bb.691:                              ;   in Loop: Header=BB259_12 Depth=1
	v_and_b32_e32 v52, 0x7f, v5
	v_mov_b32_e32 v94, 0x7c01
	s_mov_b32 s22, exec_lo
	v_cmpx_ne_u32_e32 0x7f, v52
	s_cbranch_execz .LBB259_695
; %bb.692:                              ;   in Loop: Header=BB259_12 Depth=1
	v_and_b32_e32 v3, 7, v5
	v_lshrrev_b32_e32 v20, 3, v52
	s_mov_b32 s23, exec_lo
	v_cmpx_gt_u32_e32 8, v52
; %bb.693:                              ;   in Loop: Header=BB259_12 Depth=1
	v_ffbh_u32_e32 v3, v3
	v_min_u32_e32 v3, 32, v3
	v_subrev_nc_u32_e32 v19, 28, v3
	v_sub_nc_u32_e32 v20, 29, v3
	v_lshlrev_b64 v[89:90], v19, v[5:6]
	v_and_b32_e32 v3, 7, v89
; %bb.694:                              ;   in Loop: Header=BB259_12 Depth=1
	s_or_b32 exec_lo, exec_lo, s23
	v_lshlrev_b32_e32 v19, 8, v5
	v_lshl_add_u32 v20, v20, 10, 0x2000
	v_lshlrev_b32_e32 v3, 7, v3
	v_and_b32_e32 v19, 0x8000, v19
	v_and_b32_e32 v20, 0xfc00, v20
	v_or3_b32 v94, v19, v20, v3
.LBB259_695:                            ;   in Loop: Header=BB259_12 Depth=1
	s_or_b32 exec_lo, exec_lo, s22
.LBB259_696:                            ;   in Loop: Header=BB259_12 Depth=1
	s_or_b32 exec_lo, exec_lo, s21
.LBB259_697:                            ;   in Loop: Header=BB259_12 Depth=1
	s_or_b32 exec_lo, exec_lo, s20
	v_lshrrev_b16 v3, 8, v5
	s_mov_b32 s20, exec_lo
	v_cmpx_ne_u16_e32 0, v3
	s_cbranch_execz .LBB259_705
; %bb.698:                              ;   in Loop: Header=BB259_12 Depth=1
	v_bfrev_b32_e32 v93, 1
	s_mov_b32 s21, exec_lo
	v_cmpx_ne_u16_e32 0x80, v3
	s_cbranch_execz .LBB259_704
; %bb.699:                              ;   in Loop: Header=BB259_12 Depth=1
	v_and_b32_sdwa v67, v3, v68 dst_sel:DWORD dst_unused:UNUSED_PAD src0_sel:WORD_0 src1_sel:DWORD
	v_mov_b32_e32 v93, 0x7c010000
	s_mov_b32 s22, exec_lo
	v_cmpx_ne_u32_e32 0x7f, v67
	s_cbranch_execz .LBB259_703
; %bb.700:                              ;   in Loop: Header=BB259_12 Depth=1
	v_mov_b32_e32 v19, 7
	v_lshrrev_b32_e32 v52, 3, v67
	s_mov_b32 s23, exec_lo
	v_and_b32_sdwa v20, v3, v19 dst_sel:DWORD dst_unused:UNUSED_PAD src0_sel:WORD_0 src1_sel:DWORD
	v_cmpx_gt_u32_e32 8, v67
; %bb.701:                              ;   in Loop: Header=BB259_12 Depth=1
	v_ffbh_u32_e32 v19, v20
	v_min_u32_e32 v19, 32, v19
	v_subrev_nc_u32_e32 v20, 28, v19
	v_sub_nc_u32_e32 v52, 29, v19
	v_lshlrev_b64 v[89:90], v20, v[3:4]
	v_and_b32_e32 v20, 7, v89
; %bb.702:                              ;   in Loop: Header=BB259_12 Depth=1
	s_or_b32 exec_lo, exec_lo, s23
	v_mov_b32_e32 v19, 8
	v_lshlrev_b32_sdwa v3, v19, v3 dst_sel:DWORD dst_unused:UNUSED_PAD src0_sel:DWORD src1_sel:WORD_0
	v_lshl_add_u32 v19, v52, 10, 0x2000
	v_and_or_b32 v3, 0x8000, v3, v19
	v_lshlrev_b32_e32 v19, 23, v20
	v_lshl_or_b32 v93, v3, 16, v19
.LBB259_703:                            ;   in Loop: Header=BB259_12 Depth=1
	s_or_b32 exec_lo, exec_lo, s22
.LBB259_704:                            ;   in Loop: Header=BB259_12 Depth=1
	s_or_b32 exec_lo, exec_lo, s21
.LBB259_705:                            ;   in Loop: Header=BB259_12 Depth=1
	s_or_b32 exec_lo, exec_lo, s20
	v_lshrrev_b32_e32 v3, 16, v5
	v_mov_b32_e32 v109, 0
	v_mov_b32_e32 v110, 0
	v_cmp_ne_u16_sdwa s6, v3, v4 src0_sel:BYTE_0 src1_sel:DWORD
	s_and_saveexec_b32 s20, s6
	s_cbranch_execz .LBB259_713
; %bb.706:                              ;   in Loop: Header=BB259_12 Depth=1
	v_cmp_ne_u16_sdwa s6, v3, v66 src0_sel:BYTE_0 src1_sel:DWORD
	v_mov_b32_e32 v110, 0x8000
	s_and_saveexec_b32 s21, s6
	s_cbranch_execz .LBB259_712
; %bb.707:                              ;   in Loop: Header=BB259_12 Depth=1
	v_bfe_u32 v67, v5, 16, 7
	v_mov_b32_e32 v110, 0x7c01
	s_mov_b32 s22, exec_lo
	v_cmpx_ne_u32_e32 0x7f, v67
	s_cbranch_execz .LBB259_711
; %bb.708:                              ;   in Loop: Header=BB259_12 Depth=1
	v_and_b32_e32 v20, 7, v3
	v_lshrrev_b32_e32 v52, 3, v67
	s_mov_b32 s23, exec_lo
	v_cmpx_gt_u32_e32 8, v67
; %bb.709:                              ;   in Loop: Header=BB259_12 Depth=1
	v_ffbh_u32_e32 v19, v20
	v_min_u32_e32 v19, 32, v19
	v_subrev_nc_u32_e32 v20, 28, v19
	v_sub_nc_u32_e32 v52, 29, v19
	v_lshlrev_b64 v[89:90], v20, v[3:4]
	v_and_b32_e32 v20, 7, v89
; %bb.710:                              ;   in Loop: Header=BB259_12 Depth=1
	s_or_b32 exec_lo, exec_lo, s23
	v_lshlrev_b32_e32 v3, 8, v3
	v_lshl_add_u32 v19, v52, 10, 0x2000
	v_lshlrev_b32_e32 v20, 7, v20
	v_and_b32_e32 v3, 0x8000, v3
	v_and_b32_e32 v19, 0xfc00, v19
	v_or3_b32 v110, v3, v19, v20
.LBB259_711:                            ;   in Loop: Header=BB259_12 Depth=1
	s_or_b32 exec_lo, exec_lo, s22
.LBB259_712:                            ;   in Loop: Header=BB259_12 Depth=1
	s_or_b32 exec_lo, exec_lo, s21
.LBB259_713:                            ;   in Loop: Header=BB259_12 Depth=1
	s_or_b32 exec_lo, exec_lo, s20
	s_mov_b32 s20, exec_lo
	v_cmpx_lt_u32_e32 0xffffff, v5
	s_cbranch_execz .LBB259_721
; %bb.714:                              ;   in Loop: Header=BB259_12 Depth=1
	v_lshrrev_b32_e32 v3, 24, v5
	v_bfrev_b32_e32 v109, 1
	s_mov_b32 s21, exec_lo
	v_cmpx_ne_u32_e32 0x80, v3
	s_cbranch_execz .LBB259_720
; %bb.715:                              ;   in Loop: Header=BB259_12 Depth=1
	v_and_b32_e32 v52, 0x7f, v3
	v_mov_b32_e32 v109, 0x7c010000
	s_mov_b32 s22, exec_lo
	v_cmpx_ne_u32_e32 0x7f, v52
	s_cbranch_execz .LBB259_719
; %bb.716:                              ;   in Loop: Header=BB259_12 Depth=1
	v_and_b32_e32 v5, 7, v3
	v_lshrrev_b32_e32 v20, 3, v52
	s_mov_b32 s23, exec_lo
	v_cmpx_gt_u32_e32 8, v52
; %bb.717:                              ;   in Loop: Header=BB259_12 Depth=1
	v_ffbh_u32_e32 v5, v5
	v_min_u32_e32 v5, 32, v5
	v_subrev_nc_u32_e32 v19, 28, v5
	v_sub_nc_u32_e32 v20, 29, v5
	v_lshlrev_b64 v[89:90], v19, v[3:4]
	v_and_b32_e32 v5, 7, v89
; %bb.718:                              ;   in Loop: Header=BB259_12 Depth=1
	s_or_b32 exec_lo, exec_lo, s23
	v_lshlrev_b32_e32 v3, 8, v3
	v_lshl_add_u32 v19, v20, 10, 0x2000
	v_lshlrev_b32_e32 v5, 23, v5
	v_and_or_b32 v3, 0x8000, v3, v19
	v_lshl_or_b32 v109, v3, 16, v5
.LBB259_719:                            ;   in Loop: Header=BB259_12 Depth=1
	s_or_b32 exec_lo, exec_lo, s22
.LBB259_720:                            ;   in Loop: Header=BB259_12 Depth=1
	s_or_b32 exec_lo, exec_lo, s21
.LBB259_721:                            ;   in Loop: Header=BB259_12 Depth=1
	s_or_b32 exec_lo, exec_lo, s20
	v_add_co_u32 v20, s6, 0xb00, v24
	v_add_co_ci_u32_e64 v82, null, 0, v25, s6
	v_add_co_u32 v24, s6, v20, v55
	v_add_co_ci_u32_e64 v25, null, 0, v82, s6
	flat_load_dword v5, v[24:25]
	v_mov_b32_e32 v24, 0
	v_mov_b32_e32 v25, 0
	s_waitcnt vmcnt(0) lgkmcnt(0)
	v_cmp_ne_u16_sdwa s6, v5, v4 src0_sel:BYTE_0 src1_sel:DWORD
	s_and_saveexec_b32 s20, s6
	s_cbranch_execz .LBB259_729
; %bb.722:                              ;   in Loop: Header=BB259_12 Depth=1
	v_cmp_ne_u16_sdwa s6, v5, v66 src0_sel:BYTE_0 src1_sel:DWORD
	v_mov_b32_e32 v25, 0x8000
	s_and_saveexec_b32 s21, s6
	s_cbranch_execz .LBB259_728
; %bb.723:                              ;   in Loop: Header=BB259_12 Depth=1
	v_and_b32_e32 v52, 0x7f, v5
	v_mov_b32_e32 v25, 0x7c01
	s_mov_b32 s22, exec_lo
	v_cmpx_ne_u32_e32 0x7f, v52
	s_cbranch_execz .LBB259_727
; %bb.724:                              ;   in Loop: Header=BB259_12 Depth=1
	v_and_b32_e32 v3, 7, v5
	v_lshrrev_b32_e32 v25, 3, v52
	s_mov_b32 s23, exec_lo
	v_cmpx_gt_u32_e32 8, v52
; %bb.725:                              ;   in Loop: Header=BB259_12 Depth=1
	v_ffbh_u32_e32 v3, v3
	v_min_u32_e32 v3, 32, v3
	v_subrev_nc_u32_e32 v19, 28, v3
	v_sub_nc_u32_e32 v25, 29, v3
	v_lshlrev_b64 v[89:90], v19, v[5:6]
	v_and_b32_e32 v3, 7, v89
; %bb.726:                              ;   in Loop: Header=BB259_12 Depth=1
	s_or_b32 exec_lo, exec_lo, s23
	v_lshlrev_b32_e32 v19, 8, v5
	v_lshl_add_u32 v25, v25, 10, 0x2000
	v_lshlrev_b32_e32 v3, 7, v3
	v_and_b32_e32 v19, 0x8000, v19
	v_and_b32_e32 v25, 0xfc00, v25
	v_or3_b32 v25, v19, v25, v3
.LBB259_727:                            ;   in Loop: Header=BB259_12 Depth=1
	s_or_b32 exec_lo, exec_lo, s22
.LBB259_728:                            ;   in Loop: Header=BB259_12 Depth=1
	s_or_b32 exec_lo, exec_lo, s21
.LBB259_729:                            ;   in Loop: Header=BB259_12 Depth=1
	s_or_b32 exec_lo, exec_lo, s20
	v_lshrrev_b16 v3, 8, v5
	s_mov_b32 s20, exec_lo
	v_cmpx_ne_u16_e32 0, v3
	s_cbranch_execz .LBB259_737
; %bb.730:                              ;   in Loop: Header=BB259_12 Depth=1
	v_bfrev_b32_e32 v24, 1
	s_mov_b32 s21, exec_lo
	v_cmpx_ne_u16_e32 0x80, v3
	s_cbranch_execz .LBB259_736
; %bb.731:                              ;   in Loop: Header=BB259_12 Depth=1
	v_and_b32_sdwa v67, v3, v68 dst_sel:DWORD dst_unused:UNUSED_PAD src0_sel:WORD_0 src1_sel:DWORD
	v_mov_b32_e32 v24, 0x7c010000
	s_mov_b32 s22, exec_lo
	v_cmpx_ne_u32_e32 0x7f, v67
	s_cbranch_execz .LBB259_735
; %bb.732:                              ;   in Loop: Header=BB259_12 Depth=1
	v_mov_b32_e32 v19, 7
	v_lshrrev_b32_e32 v52, 3, v67
	s_mov_b32 s23, exec_lo
	v_and_b32_sdwa v24, v3, v19 dst_sel:DWORD dst_unused:UNUSED_PAD src0_sel:WORD_0 src1_sel:DWORD
	v_cmpx_gt_u32_e32 8, v67
; %bb.733:                              ;   in Loop: Header=BB259_12 Depth=1
	v_ffbh_u32_e32 v19, v24
	v_min_u32_e32 v19, 32, v19
	v_subrev_nc_u32_e32 v24, 28, v19
	v_sub_nc_u32_e32 v52, 29, v19
	v_lshlrev_b64 v[89:90], v24, v[3:4]
	v_and_b32_e32 v24, 7, v89
; %bb.734:                              ;   in Loop: Header=BB259_12 Depth=1
	s_or_b32 exec_lo, exec_lo, s23
	v_mov_b32_e32 v19, 8
	v_lshlrev_b32_sdwa v3, v19, v3 dst_sel:DWORD dst_unused:UNUSED_PAD src0_sel:DWORD src1_sel:WORD_0
	v_lshl_add_u32 v19, v52, 10, 0x2000
	v_and_or_b32 v3, 0x8000, v3, v19
	v_lshlrev_b32_e32 v19, 23, v24
	v_lshl_or_b32 v24, v3, 16, v19
.LBB259_735:                            ;   in Loop: Header=BB259_12 Depth=1
	s_or_b32 exec_lo, exec_lo, s22
.LBB259_736:                            ;   in Loop: Header=BB259_12 Depth=1
	s_or_b32 exec_lo, exec_lo, s21
.LBB259_737:                            ;   in Loop: Header=BB259_12 Depth=1
	s_or_b32 exec_lo, exec_lo, s20
	v_lshrrev_b32_e32 v3, 16, v5
	v_mov_b32_e32 v95, 0
	v_mov_b32_e32 v104, 0
	v_cmp_ne_u16_sdwa s6, v3, v4 src0_sel:BYTE_0 src1_sel:DWORD
	s_and_saveexec_b32 s20, s6
	s_cbranch_execz .LBB259_745
; %bb.738:                              ;   in Loop: Header=BB259_12 Depth=1
	v_cmp_ne_u16_sdwa s6, v3, v66 src0_sel:BYTE_0 src1_sel:DWORD
	v_mov_b32_e32 v104, 0x8000
	s_and_saveexec_b32 s21, s6
	s_cbranch_execz .LBB259_744
; %bb.739:                              ;   in Loop: Header=BB259_12 Depth=1
	v_bfe_u32 v89, v5, 16, 7
	v_mov_b32_e32 v104, 0x7c01
	s_mov_b32 s22, exec_lo
	v_cmpx_ne_u32_e32 0x7f, v89
	s_cbranch_execz .LBB259_743
; %bb.740:                              ;   in Loop: Header=BB259_12 Depth=1
	v_and_b32_e32 v52, 7, v3
	v_lshrrev_b32_e32 v67, 3, v89
	s_mov_b32 s23, exec_lo
	v_cmpx_gt_u32_e32 8, v89
; %bb.741:                              ;   in Loop: Header=BB259_12 Depth=1
	v_ffbh_u32_e32 v19, v52
	v_min_u32_e32 v19, 32, v19
	v_subrev_nc_u32_e32 v52, 28, v19
	v_sub_nc_u32_e32 v67, 29, v19
	v_lshlrev_b64 v[89:90], v52, v[3:4]
	v_and_b32_e32 v52, 7, v89
; %bb.742:                              ;   in Loop: Header=BB259_12 Depth=1
	s_or_b32 exec_lo, exec_lo, s23
	v_lshlrev_b32_e32 v3, 8, v3
	v_lshl_add_u32 v19, v67, 10, 0x2000
	v_lshlrev_b32_e32 v52, 7, v52
	v_and_b32_e32 v3, 0x8000, v3
	v_and_b32_e32 v19, 0xfc00, v19
	v_or3_b32 v104, v3, v19, v52
.LBB259_743:                            ;   in Loop: Header=BB259_12 Depth=1
	s_or_b32 exec_lo, exec_lo, s22
.LBB259_744:                            ;   in Loop: Header=BB259_12 Depth=1
	s_or_b32 exec_lo, exec_lo, s21
.LBB259_745:                            ;   in Loop: Header=BB259_12 Depth=1
	s_or_b32 exec_lo, exec_lo, s20
	s_mov_b32 s20, exec_lo
	v_cmpx_lt_u32_e32 0xffffff, v5
	s_cbranch_execz .LBB259_753
; %bb.746:                              ;   in Loop: Header=BB259_12 Depth=1
	v_lshrrev_b32_e32 v3, 24, v5
	v_bfrev_b32_e32 v95, 1
	s_mov_b32 s21, exec_lo
	v_cmpx_ne_u32_e32 0x80, v3
	s_cbranch_execz .LBB259_752
; %bb.747:                              ;   in Loop: Header=BB259_12 Depth=1
	v_and_b32_e32 v67, 0x7f, v3
	v_mov_b32_e32 v95, 0x7c010000
	s_mov_b32 s22, exec_lo
	v_cmpx_ne_u32_e32 0x7f, v67
	s_cbranch_execz .LBB259_751
; %bb.748:                              ;   in Loop: Header=BB259_12 Depth=1
	v_and_b32_e32 v5, 7, v3
	v_lshrrev_b32_e32 v52, 3, v67
	s_mov_b32 s23, exec_lo
	v_cmpx_gt_u32_e32 8, v67
; %bb.749:                              ;   in Loop: Header=BB259_12 Depth=1
	v_ffbh_u32_e32 v5, v5
	v_min_u32_e32 v5, 32, v5
	v_subrev_nc_u32_e32 v19, 28, v5
	v_sub_nc_u32_e32 v52, 29, v5
	v_lshlrev_b64 v[89:90], v19, v[3:4]
	v_and_b32_e32 v5, 7, v89
; %bb.750:                              ;   in Loop: Header=BB259_12 Depth=1
	s_or_b32 exec_lo, exec_lo, s23
	v_lshlrev_b32_e32 v3, 8, v3
	v_lshl_add_u32 v19, v52, 10, 0x2000
	v_lshlrev_b32_e32 v5, 23, v5
	v_and_or_b32 v3, 0x8000, v3, v19
	v_lshl_or_b32 v95, v3, 16, v5
.LBB259_751:                            ;   in Loop: Header=BB259_12 Depth=1
	s_or_b32 exec_lo, exec_lo, s22
.LBB259_752:                            ;   in Loop: Header=BB259_12 Depth=1
	s_or_b32 exec_lo, exec_lo, s21
.LBB259_753:                            ;   in Loop: Header=BB259_12 Depth=1
	s_or_b32 exec_lo, exec_lo, s20
	v_add_co_u32 v89, s6, v20, v69
	v_add_co_ci_u32_e64 v90, null, 0, v82, s6
	v_mov_b32_e32 v20, 0
	v_mov_b32_e32 v82, 0
	flat_load_dword v5, v[89:90]
	s_waitcnt vmcnt(0) lgkmcnt(0)
	v_cmp_ne_u16_sdwa s6, v5, v4 src0_sel:BYTE_0 src1_sel:DWORD
	s_and_saveexec_b32 s20, s6
	s_cbranch_execz .LBB259_761
; %bb.754:                              ;   in Loop: Header=BB259_12 Depth=1
	v_cmp_ne_u16_sdwa s6, v5, v66 src0_sel:BYTE_0 src1_sel:DWORD
	v_mov_b32_e32 v82, 0x8000
	s_and_saveexec_b32 s21, s6
	s_cbranch_execz .LBB259_760
; %bb.755:                              ;   in Loop: Header=BB259_12 Depth=1
	v_and_b32_e32 v67, 0x7f, v5
	v_mov_b32_e32 v82, 0x7c01
	s_mov_b32 s22, exec_lo
	v_cmpx_ne_u32_e32 0x7f, v67
	s_cbranch_execz .LBB259_759
; %bb.756:                              ;   in Loop: Header=BB259_12 Depth=1
	v_and_b32_e32 v3, 7, v5
	v_lshrrev_b32_e32 v52, 3, v67
	s_mov_b32 s23, exec_lo
	v_cmpx_gt_u32_e32 8, v67
; %bb.757:                              ;   in Loop: Header=BB259_12 Depth=1
	v_ffbh_u32_e32 v3, v3
	v_min_u32_e32 v3, 32, v3
	v_subrev_nc_u32_e32 v19, 28, v3
	v_sub_nc_u32_e32 v52, 29, v3
	v_lshlrev_b64 v[89:90], v19, v[5:6]
	v_and_b32_e32 v3, 7, v89
; %bb.758:                              ;   in Loop: Header=BB259_12 Depth=1
	s_or_b32 exec_lo, exec_lo, s23
	v_lshlrev_b32_e32 v19, 8, v5
	v_lshl_add_u32 v52, v52, 10, 0x2000
	v_lshlrev_b32_e32 v3, 7, v3
	v_and_b32_e32 v19, 0x8000, v19
	v_and_b32_e32 v52, 0xfc00, v52
	v_or3_b32 v82, v19, v52, v3
.LBB259_759:                            ;   in Loop: Header=BB259_12 Depth=1
	s_or_b32 exec_lo, exec_lo, s22
.LBB259_760:                            ;   in Loop: Header=BB259_12 Depth=1
	s_or_b32 exec_lo, exec_lo, s21
.LBB259_761:                            ;   in Loop: Header=BB259_12 Depth=1
	s_or_b32 exec_lo, exec_lo, s20
	v_lshrrev_b16 v3, 8, v5
	s_mov_b32 s20, exec_lo
	v_cmpx_ne_u16_e32 0, v3
	s_cbranch_execz .LBB259_769
; %bb.762:                              ;   in Loop: Header=BB259_12 Depth=1
	v_bfrev_b32_e32 v20, 1
	s_mov_b32 s21, exec_lo
	v_cmpx_ne_u16_e32 0x80, v3
	s_cbranch_execz .LBB259_768
; %bb.763:                              ;   in Loop: Header=BB259_12 Depth=1
	v_and_b32_sdwa v67, v3, v68 dst_sel:DWORD dst_unused:UNUSED_PAD src0_sel:WORD_0 src1_sel:DWORD
	v_mov_b32_e32 v20, 0x7c010000
	s_mov_b32 s22, exec_lo
	v_cmpx_ne_u32_e32 0x7f, v67
	s_cbranch_execz .LBB259_767
; %bb.764:                              ;   in Loop: Header=BB259_12 Depth=1
	v_mov_b32_e32 v19, 7
	v_lshrrev_b32_e32 v52, 3, v67
	s_mov_b32 s23, exec_lo
	v_and_b32_sdwa v20, v3, v19 dst_sel:DWORD dst_unused:UNUSED_PAD src0_sel:WORD_0 src1_sel:DWORD
	v_cmpx_gt_u32_e32 8, v67
; %bb.765:                              ;   in Loop: Header=BB259_12 Depth=1
	v_ffbh_u32_e32 v19, v20
	v_min_u32_e32 v19, 32, v19
	v_subrev_nc_u32_e32 v20, 28, v19
	v_sub_nc_u32_e32 v52, 29, v19
	v_lshlrev_b64 v[89:90], v20, v[3:4]
	v_and_b32_e32 v20, 7, v89
; %bb.766:                              ;   in Loop: Header=BB259_12 Depth=1
	s_or_b32 exec_lo, exec_lo, s23
	v_mov_b32_e32 v19, 8
	v_lshlrev_b32_sdwa v3, v19, v3 dst_sel:DWORD dst_unused:UNUSED_PAD src0_sel:DWORD src1_sel:WORD_0
	v_lshl_add_u32 v19, v52, 10, 0x2000
	v_and_or_b32 v3, 0x8000, v3, v19
	v_lshlrev_b32_e32 v19, 23, v20
	v_lshl_or_b32 v20, v3, 16, v19
.LBB259_767:                            ;   in Loop: Header=BB259_12 Depth=1
	s_or_b32 exec_lo, exec_lo, s22
.LBB259_768:                            ;   in Loop: Header=BB259_12 Depth=1
	s_or_b32 exec_lo, exec_lo, s21
.LBB259_769:                            ;   in Loop: Header=BB259_12 Depth=1
	s_or_b32 exec_lo, exec_lo, s20
	v_lshrrev_b32_e32 v3, 16, v5
	v_mov_b32_e32 v52, 0
	v_mov_b32_e32 v67, 0
	v_cmp_ne_u16_sdwa s6, v3, v4 src0_sel:BYTE_0 src1_sel:DWORD
	s_and_saveexec_b32 s20, s6
	s_cbranch_execz .LBB259_777
; %bb.770:                              ;   in Loop: Header=BB259_12 Depth=1
	v_cmp_ne_u16_sdwa s6, v3, v66 src0_sel:BYTE_0 src1_sel:DWORD
	v_mov_b32_e32 v67, 0x8000
	s_and_saveexec_b32 s21, s6
	s_cbranch_execz .LBB259_776
; %bb.771:                              ;   in Loop: Header=BB259_12 Depth=1
	v_bfe_u32 v90, v5, 16, 7
	v_mov_b32_e32 v67, 0x7c01
	s_mov_b32 s22, exec_lo
	v_cmpx_ne_u32_e32 0x7f, v90
	s_cbranch_execz .LBB259_775
; %bb.772:                              ;   in Loop: Header=BB259_12 Depth=1
	v_and_b32_e32 v67, 7, v3
	v_lshrrev_b32_e32 v89, 3, v90
	s_mov_b32 s23, exec_lo
	v_cmpx_gt_u32_e32 8, v90
; %bb.773:                              ;   in Loop: Header=BB259_12 Depth=1
	v_ffbh_u32_e32 v19, v67
	v_min_u32_e32 v19, 32, v19
	v_subrev_nc_u32_e32 v67, 28, v19
	v_sub_nc_u32_e32 v89, 29, v19
	v_lshlrev_b64 v[122:123], v67, v[3:4]
	v_and_b32_e32 v67, 7, v122
; %bb.774:                              ;   in Loop: Header=BB259_12 Depth=1
	s_or_b32 exec_lo, exec_lo, s23
	v_lshlrev_b32_e32 v3, 8, v3
	v_lshl_add_u32 v19, v89, 10, 0x2000
	v_lshlrev_b32_e32 v67, 7, v67
	v_and_b32_e32 v3, 0x8000, v3
	v_and_b32_e32 v19, 0xfc00, v19
	v_or3_b32 v67, v3, v19, v67
.LBB259_775:                            ;   in Loop: Header=BB259_12 Depth=1
	s_or_b32 exec_lo, exec_lo, s22
.LBB259_776:                            ;   in Loop: Header=BB259_12 Depth=1
	s_or_b32 exec_lo, exec_lo, s21
.LBB259_777:                            ;   in Loop: Header=BB259_12 Depth=1
	s_or_b32 exec_lo, exec_lo, s20
	s_mov_b32 s20, exec_lo
	v_cmpx_lt_u32_e32 0xffffff, v5
	s_cbranch_execz .LBB259_785
; %bb.778:                              ;   in Loop: Header=BB259_12 Depth=1
	v_lshrrev_b32_e32 v3, 24, v5
	v_bfrev_b32_e32 v52, 1
	s_mov_b32 s21, exec_lo
	v_cmpx_ne_u32_e32 0x80, v3
	s_cbranch_execz .LBB259_784
; %bb.779:                              ;   in Loop: Header=BB259_12 Depth=1
	v_and_b32_e32 v89, 0x7f, v3
	v_mov_b32_e32 v52, 0x7c010000
	s_mov_b32 s22, exec_lo
	v_cmpx_ne_u32_e32 0x7f, v89
	s_cbranch_execz .LBB259_783
; %bb.780:                              ;   in Loop: Header=BB259_12 Depth=1
	v_and_b32_e32 v5, 7, v3
	v_lshrrev_b32_e32 v52, 3, v89
	s_mov_b32 s23, exec_lo
	v_cmpx_gt_u32_e32 8, v89
; %bb.781:                              ;   in Loop: Header=BB259_12 Depth=1
	v_ffbh_u32_e32 v5, v5
	v_min_u32_e32 v5, 32, v5
	v_subrev_nc_u32_e32 v19, 28, v5
	v_sub_nc_u32_e32 v52, 29, v5
	v_lshlrev_b64 v[89:90], v19, v[3:4]
	v_and_b32_e32 v5, 7, v89
; %bb.782:                              ;   in Loop: Header=BB259_12 Depth=1
	s_or_b32 exec_lo, exec_lo, s23
	v_lshlrev_b32_e32 v3, 8, v3
	v_lshl_add_u32 v19, v52, 10, 0x2000
	v_lshlrev_b32_e32 v5, 23, v5
	v_and_or_b32 v3, 0x8000, v3, v19
	v_lshl_or_b32 v52, v3, 16, v5
.LBB259_783:                            ;   in Loop: Header=BB259_12 Depth=1
	s_or_b32 exec_lo, exec_lo, s22
.LBB259_784:                            ;   in Loop: Header=BB259_12 Depth=1
	s_or_b32 exec_lo, exec_lo, s21
.LBB259_785:                            ;   in Loop: Header=BB259_12 Depth=1
	s_or_b32 exec_lo, exec_lo, s20
	v_or_b32_e32 v3, v24, v25
	v_fma_mixlo_f16 v127, v84, v34, 0 op_sel:[0,1,0] op_sel_hi:[0,1,0]
	v_fma_mixlo_f16 v123, v84, v39, 0 op_sel:[0,1,0] op_sel_hi:[0,1,0]
	;; [unrolled: 1-line block ×4, first 2 shown]
	v_fma_mixlo_f16 v90, v84, v3, 0 op_sel_hi:[0,1,0]
	v_or_b32_e32 v3, v95, v104
	v_fma_mixlo_f16 v95, v84, v93, 0 op_sel:[0,1,0] op_sel_hi:[0,1,0]
	v_fma_mixlo_f16 v25, v84, v3, 0 op_sel_hi:[0,1,0]
	v_or_b32_e32 v3, v93, v94
	v_fma_mixlo_f16 v93, v84, v109, 0 op_sel:[0,1,0] op_sel_hi:[0,1,0]
	;; [unrolled: 3-line block ×4, first 2 shown]
	v_fma_mixlo_f16 v81, v84, v8, 0 op_sel:[0,1,0] op_sel_hi:[0,1,0]
	v_fma_mixlo_f16 v110, v84, v3, 0 op_sel_hi:[0,1,0]
	v_or_b32_e32 v3, v121, v108
	v_fma_mixlo_f16 v121, v84, v51, 0 op_sel:[0,1,0] op_sel_hi:[0,1,0]
	v_fma_mixlo_f16 v108, v84, v3, 0 op_sel_hi:[0,1,0]
	v_or_b32_e32 v3, v39, v49
	;; [unrolled: 3-line block ×5, first 2 shown]
	v_and_b32_e32 v1, 0xffff, v1
	v_and_b32_e32 v0, 0xffff, v0
	v_fma_mixlo_f16 v29, v84, v3, 0 op_sel_hi:[0,1,0]
	v_or_b32_e32 v3, v6, v10
	v_fma_mixlo_f16 v10, v84, v6, 0 op_sel:[0,1,0] op_sel_hi:[0,1,0]
	v_fma_mixlo_f16 v6, v84, v28, 0 op_sel:[0,1,0] op_sel_hi:[0,1,0]
	v_fma_mixlo_f16 v49, v84, v3, 0 op_sel_hi:[0,1,0]
	v_or_b32_e32 v3, v28, v11
	v_and_b32_e32 v10, 0xffff, v10
	v_and_b32_e32 v6, 0xffff, v6
	v_fma_mixlo_f16 v11, v84, v3, 0 op_sel_hi:[0,1,0]
	v_or_b32_e32 v3, v12, v13
	v_fma_mixlo_f16 v12, v84, v12, 0 op_sel:[0,1,0] op_sel_hi:[0,1,0]
	v_and_b32_e32 v11, 0xffff, v11
	v_fma_mixlo_f16 v13, v84, v3, 0 op_sel_hi:[0,1,0]
	v_or_b32_e32 v3, v26, v27
	v_fma_mixlo_f16 v26, v84, v18, 0 op_sel:[0,1,0] op_sel_hi:[0,1,0]
	v_fma_mixlo_f16 v27, v84, v20, 0 op_sel:[0,1,0] op_sel_hi:[0,1,0]
	v_and_b32_e32 v12, 0xffff, v12
	v_and_b32_e32 v13, 0xffff, v13
	v_fma_mixlo_f16 v34, v84, v3, 0 op_sel_hi:[0,1,0]
	v_or_b32_e32 v3, v9, v15
	v_fma_mixlo_f16 v9, v84, v3, 0 op_sel_hi:[0,1,0]
	v_or_b32_e32 v3, v18, v21
	v_fma_mixlo_f16 v21, v84, v125, 0 op_sel:[0,1,0] op_sel_hi:[0,1,0]
	v_and_b32_e32 v9, 0xffff, v9
	v_fma_mixlo_f16 v71, v84, v3, 0 op_sel_hi:[0,1,0]
	v_or_b32_e32 v3, v48, v54
	v_fma_mixlo_f16 v48, v84, v48, 0 op_sel:[0,1,0] op_sel_hi:[0,1,0]
	v_and_b32_e32 v21, 0xffff, v21
	v_fma_mixlo_f16 v54, v84, v3, 0 op_sel_hi:[0,1,0]
	v_or_b32_e32 v3, v30, v14
	v_fma_mixlo_f16 v14, v84, v30, 0 op_sel:[0,1,0] op_sel_hi:[0,1,0]
	v_fma_mixlo_f16 v30, v84, v50, 0 op_sel:[0,1,0] op_sel_hi:[0,1,0]
	v_fma_mixlo_f16 v15, v84, v3, 0 op_sel_hi:[0,1,0]
	v_or_b32_e32 v3, v8, v7
	v_fma_mixlo_f16 v7, v84, v99, 0 op_sel:[0,1,0] op_sel_hi:[0,1,0]
	v_and_b32_e32 v14, 0xffff, v14
	v_and_b32_e32 v15, 0xffff, v15
	v_fma_mixlo_f16 v18, v84, v3, 0 op_sel_hi:[0,1,0]
	v_or_b32_e32 v3, v50, v31
	v_and_b32_e32 v7, 0xffff, v7
	v_and_b32_e32 v18, 0xffff, v18
	v_fma_mixlo_f16 v31, v84, v3, 0 op_sel_hi:[0,1,0]
	v_or_b32_e32 v3, v111, v120
	v_fma_mixlo_f16 v111, v84, v111, 0 op_sel:[0,1,0] op_sel_hi:[0,1,0]
	v_fma_mixlo_f16 v120, v84, v3, 0 op_sel_hi:[0,1,0]
	v_or_b32_e32 v3, v125, v126
	v_fma_mixlo_f16 v125, v84, v91, 0 op_sel:[0,1,0] op_sel_hi:[0,1,0]
	;; [unrolled: 3-line block ×3, first 2 shown]
	v_and_b32_e32 v50, 0xffff, v50
	v_fma_mixlo_f16 v126, v84, v3, 0 op_sel_hi:[0,1,0]
	v_or_b32_e32 v3, v105, v106
	v_fma_mixlo_f16 v105, v84, v77, 0 op_sel:[0,1,0] op_sel_hi:[0,1,0]
	v_fma_mixlo_f16 v92, v84, v3, 0 op_sel_hi:[0,1,0]
	v_or_b32_e32 v3, v77, v78
	v_fma_mixlo_f16 v77, v84, v79, 0 op_sel:[0,1,0] op_sel_hi:[0,1,0]
	;; [unrolled: 3-line block ×18, first 2 shown]
	v_fma_mixlo_f16 v116, v84, v3, 0 op_sel_hi:[0,1,0]
	v_or_b32_e32 v3, v103, v112
	v_fma_mixlo_f16 v102, v84, v3, 0 op_sel_hi:[0,1,0]
	v_or_b32_e32 v3, v97, v98
	v_fma_mixlo_f16 v97, v84, v97, 0 op_sel:[0,1,0] op_sel_hi:[0,1,0]
	v_fma_mixlo_f16 v98, v84, v3, 0 op_sel_hi:[0,1,0]
	v_or_b32_e32 v3, v99, v100
	v_fma_mixlo_f16 v99, v84, v85, 0 op_sel:[0,1,0] op_sel_hi:[0,1,0]
	v_and_b32_e32 v97, 0xffff, v97
	v_fma_mixlo_f16 v8, v84, v3, 0 op_sel_hi:[0,1,0]
	v_or_b32_e32 v3, v85, v86
	v_fma_mixlo_f16 v85, v84, v87, 0 op_sel:[0,1,0] op_sel_hi:[0,1,0]
	v_and_b32_e32 v8, 0xffff, v8
	v_fma_mixlo_f16 v100, v84, v3, 0 op_sel_hi:[0,1,0]
	v_or_b32_e32 v3, v87, v96
	v_fma_mixlo_f16 v86, v84, v3, 0 op_sel_hi:[0,1,0]
	v_or_b32_e32 v3, v20, v82
	ds_read_b64 v[19:20], v64
	v_fma_mixlo_f16 v28, v84, v3, 0 op_sel_hi:[0,1,0]
	v_or_b32_e32 v3, v52, v67
	v_fma_mixlo_f16 v5, v84, v3, 0 op_sel_hi:[0,1,0]
	v_fma_mixlo_f16 v3, v84, v52, 0 op_sel:[0,1,0] op_sel_hi:[0,1,0]
	v_and_b32_e32 v5, 0xffff, v5
	v_and_b32_e32 v3, 0xffff, v3
	s_waitcnt lgkmcnt(0)
	v_lshrrev_b32_e32 v67, 16, v19
	v_and_b32_e32 v19, 0xffff, v19
	;;#ASMSTART
	v_cvt_f32_f16 v52, v19;
	;;#ASMEND
	v_and_b32_e32 v19, 0xffff, v100
	;;#ASMSTART
	v_cvt_f32_f16 v67, v67;
	;;#ASMEND
	;;#ASMSTART
	v_cvt_f32_f16 v82, v19;
	;;#ASMEND
	v_and_b32_e32 v19, 0xffff, v99
	;;#ASMSTART
	v_cvt_f32_f16 v87, v19;
	;;#ASMEND
	v_lshrrev_b32_e32 v19, 16, v20
	v_and_b32_e32 v20, 0xffff, v20
	;;#ASMSTART
	v_cvt_f32_f16 v96, v20;
	;;#ASMEND
	;;#ASMSTART
	v_cvt_f32_f16 v99, v19;
	;;#ASMEND
	v_and_b32_e32 v19, 0xffff, v86
	;;#ASMSTART
	v_cvt_f32_f16 v86, v19;
	;;#ASMEND
	v_and_b32_e32 v19, 0xffff, v85
	;;#ASMSTART
	v_cvt_f32_f16 v100, v19;
	;;#ASMEND
	ds_read_b64 v[19:20], v64 offset:8
	s_waitcnt lgkmcnt(0)
	v_lshrrev_b32_e32 v84, 16, v19
	v_and_b32_e32 v19, 0xffff, v19
	;;#ASMSTART
	v_cvt_f32_f16 v19, v19;
	;;#ASMEND
	;;#ASMSTART
	v_cvt_f32_f16 v85, v84;
	;;#ASMEND
	v_and_b32_e32 v84, 0xffff, v98
	;;#ASMSTART
	v_cvt_f32_f16 v84, v84;
	;;#ASMEND
	v_mul_f32_e32 v84, v19, v84
	v_and_b32_e32 v19, 0xffff, v20
	;;#ASMSTART
	v_cvt_f32_f16 v97, v97;
	;;#ASMEND
	;;#ASMSTART
	v_cvt_f32_f16 v19, v19;
	;;#ASMEND
	v_mul_f32_e32 v85, v85, v97
	v_fmac_f32_e32 v84, v52, v82
	v_lshrrev_b32_e32 v52, 16, v20
	;;#ASMSTART
	v_cvt_f32_f16 v20, v52;
	;;#ASMEND
	;;#ASMSTART
	v_cvt_f32_f16 v8, v8;
	;;#ASMEND
	;; [unrolled: 3-line block ×3, first 2 shown]
	v_mul_f32_e32 v7, v19, v8
	v_mul_f32_e32 v8, v20, v52
	ds_read_b64 v[19:20], v64 offset:16
	v_fmac_f32_e32 v85, v67, v87
	v_and_b32_e32 v67, 0xffff, v116
	v_fmac_f32_e32 v7, v96, v86
	v_fmac_f32_e32 v8, v99, v100
	v_and_b32_e32 v82, 0xffff, v115
	s_waitcnt lgkmcnt(0)
	v_lshrrev_b32_e32 v52, 16, v19
	v_and_b32_e32 v19, 0xffff, v19
	;;#ASMSTART
	v_cvt_f32_f16 v19, v19;
	;;#ASMEND
	;;#ASMSTART
	v_cvt_f32_f16 v52, v52;
	;;#ASMEND
	;;#ASMSTART
	v_cvt_f32_f16 v67, v67;
	;;#ASMEND
	;;#ASMSTART
	v_cvt_f32_f16 v82, v82;
	;;#ASMEND
	v_fmac_f32_e32 v84, v19, v67
	v_fmac_f32_e32 v85, v52, v82
	v_lshrrev_b32_e32 v52, 16, v20
	v_and_b32_e32 v19, 0xffff, v20
	;;#ASMSTART
	v_cvt_f32_f16 v19, v19;
	;;#ASMEND
	;;#ASMSTART
	v_cvt_f32_f16 v20, v52;
	;;#ASMEND
	v_and_b32_e32 v52, 0xffff, v102
	v_and_b32_e32 v67, 0xffff, v101
	;;#ASMSTART
	v_cvt_f32_f16 v52, v52;
	;;#ASMEND
	;;#ASMSTART
	v_cvt_f32_f16 v67, v67;
	;;#ASMEND
	v_fmac_f32_e32 v7, v19, v52
	v_fmac_f32_e32 v8, v20, v67
	ds_read_b64 v[19:20], v64 offset:24
	v_and_b32_e32 v67, 0xffff, v40
	v_and_b32_e32 v82, 0xffff, v119
	s_waitcnt lgkmcnt(0)
	v_lshrrev_b32_e32 v52, 16, v19
	v_and_b32_e32 v19, 0xffff, v19
	;;#ASMSTART
	v_cvt_f32_f16 v19, v19;
	;;#ASMEND
	;;#ASMSTART
	v_cvt_f32_f16 v52, v52;
	;;#ASMEND
	;;#ASMSTART
	v_cvt_f32_f16 v67, v67;
	;;#ASMEND
	;;#ASMSTART
	v_cvt_f32_f16 v82, v82;
	;;#ASMEND
	v_fmac_f32_e32 v84, v19, v67
	v_fmac_f32_e32 v85, v52, v82
	v_lshrrev_b32_e32 v52, 16, v20
	v_and_b32_e32 v19, 0xffff, v20
	;;#ASMSTART
	v_cvt_f32_f16 v19, v19;
	;;#ASMEND
	;;#ASMSTART
	v_cvt_f32_f16 v20, v52;
	;;#ASMEND
	v_and_b32_e32 v52, 0xffff, v114
	v_and_b32_e32 v67, 0xffff, v113
	;;#ASMSTART
	v_cvt_f32_f16 v52, v52;
	;;#ASMEND
	;;#ASMSTART
	v_cvt_f32_f16 v67, v67;
	;;#ASMEND
	v_fmac_f32_e32 v7, v19, v52
	v_fmac_f32_e32 v8, v20, v67
	ds_read_b64 v[19:20], v64 offset:32
	v_and_b32_e32 v67, 0xffff, v44
	;; [unrolled: 38-line block ×10, first 2 shown]
	v_and_b32_e32 v82, 0xffff, v111
	s_waitcnt lgkmcnt(0)
	v_lshrrev_b32_e32 v52, 16, v19
	v_and_b32_e32 v19, 0xffff, v19
	;;#ASMSTART
	v_cvt_f32_f16 v19, v19;
	;;#ASMEND
	;;#ASMSTART
	v_cvt_f32_f16 v52, v52;
	;;#ASMEND
	;; [unrolled: 3-line block ×3, first 2 shown]
	v_fmac_f32_e32 v84, v19, v67
	v_and_b32_e32 v19, 0xffff, v20
	;;#ASMSTART
	v_cvt_f32_f16 v82, v82;
	;;#ASMEND
	v_fmac_f32_e32 v85, v52, v82
	v_lshrrev_b32_e32 v52, 16, v20
	;;#ASMSTART
	v_cvt_f32_f16 v19, v19;
	;;#ASMEND
	;;#ASMSTART
	v_cvt_f32_f16 v20, v52;
	;;#ASMEND
	;; [unrolled: 3-line block ×4, first 2 shown]
	v_fmac_f32_e32 v7, v19, v50
	v_fmac_f32_e32 v8, v20, v21
	ds_read_b64 v[19:20], v64 offset:104
	v_and_b32_e32 v50, 0xffff, v81
	s_waitcnt lgkmcnt(0)
	v_lshrrev_b32_e32 v21, 16, v19
	v_and_b32_e32 v19, 0xffff, v19
	;;#ASMSTART
	v_cvt_f32_f16 v19, v19;
	;;#ASMEND
	;;#ASMSTART
	v_cvt_f32_f16 v21, v21;
	;;#ASMEND
	;; [unrolled: 3-line block ×3, first 2 shown]
	v_fmac_f32_e32 v84, v19, v18
	v_lshrrev_b32_e32 v19, 16, v20
	v_and_b32_e32 v18, 0xffff, v20
	;;#ASMSTART
	v_cvt_f32_f16 v50, v50;
	;;#ASMEND
	v_fmac_f32_e32 v85, v21, v50
	;;#ASMSTART
	v_cvt_f32_f16 v18, v18;
	;;#ASMEND
	;;#ASMSTART
	v_cvt_f32_f16 v19, v19;
	;;#ASMEND
	v_and_b32_e32 v20, 0xffff, v31
	v_and_b32_e32 v21, 0xffff, v30
	;;#ASMSTART
	v_cvt_f32_f16 v20, v20;
	;;#ASMEND
	;;#ASMSTART
	v_cvt_f32_f16 v21, v21;
	;;#ASMEND
	v_fmac_f32_e32 v7, v18, v20
	v_fmac_f32_e32 v8, v19, v21
	ds_read_b64 v[18:19], v64 offset:112
	v_and_b32_e32 v21, 0xffff, v54
	v_and_b32_e32 v30, 0xffff, v48
	s_waitcnt lgkmcnt(0)
	v_lshrrev_b32_e32 v20, 16, v18
	v_and_b32_e32 v18, 0xffff, v18
	;;#ASMSTART
	v_cvt_f32_f16 v18, v18;
	;;#ASMEND
	;;#ASMSTART
	v_cvt_f32_f16 v20, v20;
	;;#ASMEND
	;; [unrolled: 3-line block ×3, first 2 shown]
	v_fmac_f32_e32 v84, v18, v21
	v_and_b32_e32 v18, 0xffff, v19
	;;#ASMSTART
	v_cvt_f32_f16 v30, v30;
	;;#ASMEND
	v_fmac_f32_e32 v85, v20, v30
	v_lshrrev_b32_e32 v20, 16, v19
	;;#ASMSTART
	v_cvt_f32_f16 v18, v18;
	;;#ASMEND
	;;#ASMSTART
	v_cvt_f32_f16 v19, v20;
	;;#ASMEND
	;; [unrolled: 3-line block ×4, first 2 shown]
	v_fmac_f32_e32 v7, v18, v15
	v_fmac_f32_e32 v8, v19, v14
	ds_read_b64 v[14:15], v64 offset:120
	v_and_b32_e32 v19, 0xffff, v51
	s_waitcnt lgkmcnt(0)
	v_lshrrev_b32_e32 v18, 16, v14
	v_and_b32_e32 v14, 0xffff, v14
	;;#ASMSTART
	v_cvt_f32_f16 v14, v14;
	;;#ASMEND
	;;#ASMSTART
	v_cvt_f32_f16 v18, v18;
	;;#ASMEND
	;; [unrolled: 3-line block ×3, first 2 shown]
	v_fmac_f32_e32 v84, v14, v9
	v_lshrrev_b32_e32 v14, 16, v15
	v_and_b32_e32 v9, 0xffff, v15
	v_and_b32_e32 v15, 0xffff, v71
	;;#ASMSTART
	v_cvt_f32_f16 v19, v19;
	;;#ASMEND
	v_fmac_f32_e32 v85, v18, v19
	;;#ASMSTART
	v_cvt_f32_f16 v9, v9;
	;;#ASMEND
	;;#ASMSTART
	v_cvt_f32_f16 v14, v14;
	;;#ASMEND
	;; [unrolled: 3-line block ×3, first 2 shown]
	v_and_b32_e32 v18, 0xffff, v26
	;;#ASMSTART
	v_cvt_f32_f16 v18, v18;
	;;#ASMEND
	v_fmac_f32_e32 v7, v9, v15
	v_fmac_f32_e32 v8, v14, v18
	ds_read_b64 v[14:15], v64 offset:128
	s_waitcnt lgkmcnt(0)
	v_and_b32_e32 v9, 0xffff, v14
	v_lshrrev_b32_e32 v18, 16, v14
	;;#ASMSTART
	v_cvt_f32_f16 v9, v9;
	;;#ASMEND
	;;#ASMSTART
	v_cvt_f32_f16 v14, v18;
	;;#ASMEND
	;; [unrolled: 3-line block ×4, first 2 shown]
	v_fmac_f32_e32 v84, v9, v13
	v_fmac_f32_e32 v85, v14, v12
	v_lshrrev_b32_e32 v12, 16, v15
	v_and_b32_e32 v9, 0xffff, v15
	v_and_b32_e32 v13, 0xffff, v34
	;;#ASMSTART
	v_cvt_f32_f16 v9, v9;
	;;#ASMEND
	;;#ASMSTART
	v_cvt_f32_f16 v12, v12;
	;;#ASMEND
	;; [unrolled: 3-line block ×3, first 2 shown]
	v_and_b32_e32 v14, 0xffff, v39
	;;#ASMSTART
	v_cvt_f32_f16 v14, v14;
	;;#ASMEND
	v_fmac_f32_e32 v7, v9, v13
	v_fmac_f32_e32 v8, v12, v14
	ds_read_b64 v[12:13], v64 offset:136
	s_waitcnt lgkmcnt(0)
	v_lshrrev_b32_e32 v14, 16, v12
	v_and_b32_e32 v9, 0xffff, v12
	;;#ASMSTART
	v_cvt_f32_f16 v9, v9;
	;;#ASMEND
	;;#ASMSTART
	v_cvt_f32_f16 v12, v14;
	;;#ASMEND
	v_and_b32_e32 v14, 0xffff, v49
	;;#ASMSTART
	v_cvt_f32_f16 v14, v14;
	;;#ASMEND
	;;#ASMSTART
	v_cvt_f32_f16 v10, v10;
	;;#ASMEND
	v_fmac_f32_e32 v84, v9, v14
	v_fmac_f32_e32 v85, v12, v10
	v_lshrrev_b32_e32 v10, 16, v13
	v_and_b32_e32 v9, 0xffff, v13
	;;#ASMSTART
	v_cvt_f32_f16 v9, v9;
	;;#ASMEND
	;;#ASMSTART
	v_cvt_f32_f16 v10, v10;
	;;#ASMEND
	;; [unrolled: 3-line block ×4, first 2 shown]
	v_fmac_f32_e32 v7, v9, v11
	v_fmac_f32_e32 v8, v10, v6
	ds_read_b64 v[9:10], v64 offset:144
	s_waitcnt lgkmcnt(0)
	v_and_b32_e32 v6, 0xffff, v9
	v_lshrrev_b32_e32 v11, 16, v9
	;;#ASMSTART
	v_cvt_f32_f16 v6, v6;
	;;#ASMEND
	;;#ASMSTART
	v_cvt_f32_f16 v9, v11;
	;;#ASMEND
	;;#ASMSTART
	v_cvt_f32_f16 v0, v0;
	;;#ASMEND
	;;#ASMSTART
	v_cvt_f32_f16 v1, v1;
	;;#ASMEND
	v_fmac_f32_e32 v84, v6, v0
	v_fmac_f32_e32 v85, v9, v1
	v_lshrrev_b32_e32 v1, 16, v10
	v_and_b32_e32 v0, 0xffff, v10
	;;#ASMSTART
	v_cvt_f32_f16 v0, v0;
	;;#ASMEND
	;;#ASMSTART
	v_cvt_f32_f16 v1, v1;
	;;#ASMEND
	v_and_b32_e32 v6, 0xffff, v29
	v_and_b32_e32 v9, 0xffff, v127
	;;#ASMSTART
	v_cvt_f32_f16 v6, v6;
	;;#ASMEND
	;;#ASMSTART
	v_cvt_f32_f16 v9, v9;
	;;#ASMEND
	v_fmac_f32_e32 v7, v0, v6
	v_fmac_f32_e32 v8, v1, v9
	ds_read_b64 v[0:1], v64 offset:152
	v_and_b32_e32 v9, 0xffff, v124
	v_and_b32_e32 v10, 0xffff, v123
	s_waitcnt lgkmcnt(0)
	v_lshrrev_b32_e32 v6, 16, v0
	v_and_b32_e32 v0, 0xffff, v0
	;;#ASMSTART
	v_cvt_f32_f16 v0, v0;
	;;#ASMEND
	;;#ASMSTART
	v_cvt_f32_f16 v6, v6;
	;;#ASMEND
	;;#ASMSTART
	v_cvt_f32_f16 v9, v9;
	;;#ASMEND
	;;#ASMSTART
	v_cvt_f32_f16 v10, v10;
	;;#ASMEND
	v_fmac_f32_e32 v84, v0, v9
	v_fmac_f32_e32 v85, v6, v10
	v_lshrrev_b32_e32 v6, 16, v1
	v_and_b32_e32 v0, 0xffff, v1
	;;#ASMSTART
	v_cvt_f32_f16 v0, v0;
	;;#ASMEND
	;;#ASMSTART
	v_cvt_f32_f16 v1, v6;
	;;#ASMEND
	v_and_b32_e32 v6, 0xffff, v122
	v_and_b32_e32 v9, 0xffff, v121
	;;#ASMSTART
	v_cvt_f32_f16 v6, v6;
	;;#ASMEND
	;;#ASMSTART
	v_cvt_f32_f16 v9, v9;
	;;#ASMEND
	v_fmac_f32_e32 v7, v0, v6
	v_fmac_f32_e32 v8, v1, v9
	ds_read_b64 v[0:1], v64 offset:160
	v_and_b32_e32 v9, 0xffff, v110
	v_and_b32_e32 v10, 0xffff, v109
	s_waitcnt lgkmcnt(0)
	v_lshrrev_b32_e32 v6, 16, v0
	v_and_b32_e32 v0, 0xffff, v0
	;; [unrolled: 38-line block ×5, first 2 shown]
	;;#ASMSTART
	v_cvt_f32_f16 v0, v0;
	;;#ASMEND
	;;#ASMSTART
	v_cvt_f32_f16 v6, v6;
	;;#ASMEND
	;;#ASMSTART
	v_cvt_f32_f16 v9, v9;
	;;#ASMEND
	v_fmac_f32_e32 v84, v0, v9
	v_and_b32_e32 v0, 0xffff, v1
	;;#ASMSTART
	v_cvt_f32_f16 v10, v10;
	;;#ASMEND
	v_fmac_f32_e32 v85, v6, v10
	v_lshrrev_b32_e32 v6, 16, v1
	;;#ASMSTART
	v_cvt_f32_f16 v0, v0;
	;;#ASMEND
	;;#ASMSTART
	v_cvt_f32_f16 v1, v6;
	;;#ASMEND
	;; [unrolled: 3-line block ×4, first 2 shown]
	v_fmac_f32_e32 v8, v1, v3
	v_mbcnt_lo_u32_b32 v3, -1, 0
	v_fmac_f32_e32 v7, v0, v5
	v_add_f32_e32 v0, v84, v85
	v_xor_b32_e32 v1, 1, v3
	v_add_f32_e32 v0, v0, v7
	v_cmp_gt_i32_e64 s6, 32, v1
	v_add_f32_e32 v0, v8, v0
	v_cndmask_b32_e64 v1, v3, v1, s6
	v_lshlrev_b32_e32 v1, 2, v1
	ds_bpermute_b32 v1, v1, v0
	s_and_saveexec_b32 s20, vcc_lo
	s_cbranch_execz .LBB259_10
; %bb.786:                              ;   in Loop: Header=BB259_12 Depth=1
	s_clause 0x1
	buffer_load_dword v3, off, s[0:3], s32 offset:236
	buffer_load_dword v5, off, s[0:3], s32 offset:224
	s_waitcnt lgkmcnt(0)
	v_add_f32_e32 v0, v0, v1
	s_load_dword s21, s[8:9], 0x0
	s_waitcnt vmcnt(1)
	v_add_nc_u32_e32 v3, v3, v65
	v_cvt_f32_i32_e32 v3, v3
	s_waitcnt vmcnt(0)
	v_mul_f32_e32 v3, v5, v3
	buffer_load_dword v5, off, s[0:3], s32 offset:228 ; 4-byte Folded Reload
	v_cndmask_b32_e64 v1, 0, v3, s5
	buffer_load_dword v3, off, s[0:3], s32 offset:232 ; 4-byte Folded Reload
	s_waitcnt vmcnt(1)
	v_fmac_f32_e32 v1, v5, v0
	buffer_load_dword v5, off, s[0:3], s32 offset:212 ; 4-byte Folded Reload
	s_waitcnt vmcnt(1)
	v_add_nc_u32_e32 v3, v3, v65
	v_cmp_lt_i32_e64 s6, v3, v32
	s_waitcnt lgkmcnt(0)
	v_add_nc_u32_e32 v3, s21, v70
	s_waitcnt vmcnt(0)
	v_max_f32_e32 v0, v5, v5
	v_max_f32_e32 v0, v0, v1
	v_cndmask_b32_e64 v1, 0, v1, s6
	v_cndmask_b32_e64 v5, v5, v0, s6
	ds_write_b32 v3, v1
	buffer_store_dword v5, off, s[0:3], s32 offset:212 ; 4-byte Folded Spill
	s_branch .LBB259_10
.LBB259_787:
	s_or_b32 exec_lo, exec_lo, s19
	s_clause 0xf
	buffer_load_dword v30, off, s[0:3], s32 offset:252
	buffer_load_dword v56, off, s[0:3], s32 offset:256
	;; [unrolled: 1-line block ×16, first 2 shown]
.LBB259_788:
	s_or_b32 exec_lo, exec_lo, s15
	v_mbcnt_lo_u32_b32 v7, -1, 0
	s_waitcnt vmcnt(0)
	v_max_f32_e32 v5, v8, v8
	v_and_b32_e32 v14, 31, v30
	s_waitcnt lgkmcnt(0)
	s_lshr_b32 s13, s13, 16
	v_xor_b32_e32 v0, 16, v7
	v_xor_b32_e32 v1, 8, v7
	;; [unrolled: 1-line block ×3, first 2 shown]
	v_cmp_gt_i32_e32 vcc_lo, 32, v0
	v_cndmask_b32_e32 v0, v7, v0, vcc_lo
	v_cmp_gt_i32_e32 vcc_lo, 32, v1
	v_lshlrev_b32_e32 v3, 2, v0
	v_cndmask_b32_e32 v1, v7, v1, vcc_lo
	ds_bpermute_b32 v0, v3, v8
	v_lshlrev_b32_e32 v4, 2, v1
	s_waitcnt lgkmcnt(0)
	v_max_f32_e32 v0, v0, v0
	v_max_f32_e32 v0, v5, v0
	v_xor_b32_e32 v5, 4, v7
	ds_bpermute_b32 v1, v4, v0
	v_cmp_gt_i32_e32 vcc_lo, 32, v5
	v_cndmask_b32_e32 v5, v7, v5, vcc_lo
	v_cmp_gt_i32_e32 vcc_lo, 32, v6
	v_lshlrev_b32_e32 v5, 2, v5
	v_cndmask_b32_e32 v6, v7, v6, vcc_lo
	v_cmp_eq_u32_e32 vcc_lo, 0, v14
	s_waitcnt lgkmcnt(0)
	v_max_f32_e32 v1, v1, v1
	v_max_f32_e32 v0, v0, v1
	ds_bpermute_b32 v1, v5, v0
	s_waitcnt lgkmcnt(0)
	v_max_f32_e32 v1, v1, v1
	v_max_f32_e32 v0, v0, v1
	v_lshlrev_b32_e32 v1, 2, v6
	v_lshlrev_b32_e32 v6, 2, v83
	ds_bpermute_b32 v7, v1, v0
	s_and_saveexec_b32 s5, vcc_lo
	s_cbranch_execz .LBB259_790
; %bb.789:
	s_waitcnt lgkmcnt(0)
	v_max_f32_e32 v7, v7, v7
	v_max_f32_e32 v0, v0, v0
	;; [unrolled: 1-line block ×3, first 2 shown]
	ds_write_b32 v6, v0 offset:384
.LBB259_790:
	s_or_b32 exec_lo, exec_lo, s5
	v_cmp_gt_u32_e64 s5, 4, v14
	v_mov_b32_e32 v0, 0xff7fffff
	s_waitcnt lgkmcnt(0)
	v_lshlrev_b32_e32 v7, 2, v14
	s_waitcnt_vscnt null, 0x0
	s_barrier
	buffer_gl0_inv
	s_and_saveexec_b32 s6, s5
; %bb.791:
	ds_read_b32 v0, v7 offset:384
; %bb.792:
	s_or_b32 exec_lo, exec_lo, s6
	s_waitcnt lgkmcnt(0)
	ds_bpermute_b32 v8, v1, v0
	v_mbcnt_lo_u32_b32 v12, -1, 0
	v_max_f32_e32 v0, v0, v0
	v_xor_b32_e32 v9, 1, v12
	v_cmp_gt_i32_e64 s6, 32, v9
	v_cndmask_b32_e64 v9, v12, v9, s6
	s_waitcnt lgkmcnt(0)
	v_max_f32_e32 v8, v8, v8
	v_lshlrev_b32_e32 v15, 2, v9
	v_mov_b32_e32 v9, 0
	v_max_f32_e32 v0, v0, v8
	ds_bpermute_b32 v8, v15, v0
	s_waitcnt lgkmcnt(0)
	v_max_f32_e32 v8, v8, v8
	v_max_f32_e32 v0, v0, v8
	ds_bpermute_b32 v8, v9, v0
	v_lshlrev_b32_e32 v0, 4, v2
	v_min_i32_e32 v0, v0, v32
	v_cmp_lt_i32_e64 s6, v30, v0
	s_and_saveexec_b32 s8, s6
	s_cbranch_execz .LBB259_796
; %bb.793:
	s_getpc_b64 s[20:21]
	s_add_u32 s20, s20, llvm.amdgcn.dynlds.offset.table@rel32@lo+4
	s_addc_u32 s21, s21, llvm.amdgcn.dynlds.offset.table@rel32@hi+12
	s_ashr_i32 s19, s18, 31
	v_mov_b32_e32 v9, 0
	s_lshl_b64 s[22:23], s[18:19], 2
	v_mov_b32_e32 v13, v30
	s_add_u32 s20, s20, s22
	s_addc_u32 s21, s21, s23
	s_mov_b32 s9, 0
	s_load_dword s7, s[20:21], 0x0
	s_waitcnt lgkmcnt(0)
	v_lshl_add_u32 v16, v30, 2, s7
	.p2align	6
.LBB259_794:                            ; =>This Inner Loop Header: Depth=1
	ds_read_b32 v12, v16
	v_add_nc_u32_e32 v13, 0x80, v13
	v_cmp_ge_i32_e64 s7, v13, v0
	s_or_b32 s9, s7, s9
	s_waitcnt lgkmcnt(0)
	v_sub_f32_e32 v12, v12, v8
	v_mul_f32_e32 v12, 0x3fb8aa3b, v12
	v_exp_f32_e32 v12, v12
	ds_write_b32 v16, v12
	v_add_f32_e32 v9, v9, v12
	v_add_nc_u32_e32 v16, 0x200, v16
	s_andn2_b32 exec_lo, exec_lo, s9
	s_cbranch_execnz .LBB259_794
; %bb.795:
	s_or_b32 exec_lo, exec_lo, s9
.LBB259_796:
	s_or_b32 exec_lo, exec_lo, s8
	ds_bpermute_b32 v3, v3, v9
	s_waitcnt lgkmcnt(0)
	v_add_f32_e32 v3, v9, v3
	ds_bpermute_b32 v4, v4, v3
	s_waitcnt lgkmcnt(0)
	v_add_f32_e32 v3, v3, v4
	;; [unrolled: 3-line block ×5, first 2 shown]
	s_and_saveexec_b32 s7, vcc_lo
; %bb.797:
	ds_write_b32 v6, v3 offset:400
; %bb.798:
	s_or_b32 exec_lo, exec_lo, s7
	s_waitcnt lgkmcnt(0)
	s_barrier
	buffer_gl0_inv
	s_and_saveexec_b32 s7, s5
; %bb.799:
	ds_read_b32 v3, v7 offset:400
; %bb.800:
	s_or_b32 exec_lo, exec_lo, s7
	s_waitcnt lgkmcnt(0)
	ds_bpermute_b32 v1, v1, v3
	s_waitcnt lgkmcnt(0)
	v_add_f32_e32 v1, v3, v1
	ds_bpermute_b32 v3, v15, v1
	s_waitcnt lgkmcnt(0)
	v_add_f32_e32 v1, v1, v3
	v_mov_b32_e32 v3, 0
	ds_bpermute_b32 v1, v3, v1
	s_and_saveexec_b32 s5, s6
	s_cbranch_execz .LBB259_803
; %bb.801:
	s_waitcnt lgkmcnt(0)
	v_add_f32_e32 v3, 0x358637bd, v1
	s_getpc_b64 s[6:7]
	s_add_u32 s6, s6, llvm.amdgcn.dynlds.offset.table@rel32@lo+4
	s_addc_u32 s7, s7, llvm.amdgcn.dynlds.offset.table@rel32@hi+12
	s_ashr_i32 s19, s18, 31
	s_lshl_b64 s[8:9], s[18:19], 2
	v_div_scale_f32 v1, null, v3, v3, 1.0
	v_div_scale_f32 v6, vcc_lo, 1.0, v3, 1.0
	s_add_u32 s6, s6, s8
	v_rcp_f32_e32 v4, v1
	s_addc_u32 s7, s7, s9
	s_load_dword s6, s[6:7], 0x0
	v_fma_f32 v5, -v1, v4, 1.0
	v_fmac_f32_e32 v4, v5, v4
	v_mul_f32_e32 v5, v6, v4
	v_fma_f32 v7, -v1, v5, v6
	v_fmac_f32_e32 v5, v7, v4
	v_fma_f32 v1, -v1, v5, v6
	v_div_fmas_f32 v4, v1, v4, v5
	s_waitcnt lgkmcnt(0)
	v_lshl_add_u32 v1, v30, 2, s6
	s_mov_b32 s6, 0
	v_div_fixup_f32 v3, v4, v3, 1.0
	v_mov_b32_e32 v4, v30
.LBB259_802:                            ; =>This Inner Loop Header: Depth=1
	ds_read_b32 v5, v1
	v_add_nc_u32_e32 v4, 0x80, v4
	v_cmp_ge_i32_e32 vcc_lo, v4, v0
	s_or_b32 s6, vcc_lo, s6
	s_waitcnt lgkmcnt(0)
	v_mul_f32_e32 v5, v3, v5
	ds_write_b32 v1, v5
	v_add_nc_u32_e32 v1, 0x200, v1
	s_andn2_b32 exec_lo, exec_lo, s6
	s_cbranch_execnz .LBB259_802
.LBB259_803:
	s_or_b32 exec_lo, exec_lo, s5
	s_waitcnt lgkmcnt(0)
	s_barrier
	buffer_gl0_inv
	s_and_saveexec_b32 s5, s4
	s_xor_b32 s4, exec_lo, s5
	s_cbranch_execz .LBB259_805
; %bb.804:
	s_ashr_i32 s19, s18, 31
                                        ; implicit-def: $vgpr0
	buffer_store_dword v0, off, s[0:3], s32 offset:192 ; 4-byte Folded Spill
	buffer_store_dword v1, off, s[0:3], s32 offset:196 ; 4-byte Folded Spill
                                        ; implicit-def: $vgpr32
                                        ; implicit-def: $vgpr36
                                        ; implicit-def: $vgpr33
                                        ; implicit-def: $vgpr2
                                        ; implicit-def: $vgpr29
                                        ; implicit-def: $vgpr18
                                        ; implicit-def: $vgpr10
                                        ; implicit-def: $vgpr11
                                        ; implicit-def: $vgpr0
                                        ; kill: killed $vgpr0
                                        ; implicit-def: $vgpr26
                                        ; implicit-def: $vgpr35
                                        ; implicit-def: $vgpr22_vgpr23
                                        ; implicit-def: $vgpr38
                                        ; implicit-def: $vgpr34
                                        ; implicit-def: $vgpr48
                                        ; implicit-def: $vgpr39
                                        ; implicit-def: $vgpr37
                                        ; implicit-def: $vgpr19
                                        ; implicit-def: $vgpr70_vgpr71
                                        ; implicit-def: $vgpr31
.LBB259_805:
	s_or_saveexec_b32 s5, s4
	v_mov_b32_e32 v3, s18
	v_mov_b32_e32 v53, 0
	;; [unrolled: 1-line block ×14, first 2 shown]
	s_xor_b32 exec_lo, exec_lo, s5
	s_cbranch_execz .LBB259_1603
; %bb.806:
	v_max_i32_e32 v26, v26, v39
	v_add_co_u32 v1, vcc_lo, v29, v34
	v_and_b32_e32 v5, 0xf8, v31
	v_add_co_ci_u32_e64 v3, null, v18, v48, vcc_lo
	v_cvt_f32_u32_e32 v0, v26
	v_sub_nc_u32_e32 v6, 0, v26
	v_and_b32_e32 v7, 1, v30
	v_and_b32_e32 v8, 0x7c, v19
	v_add_co_u32 v5, vcc_lo, v1, v5
	v_rcp_iflag_f32_e32 v0, v0
	v_lshlrev_b32_e32 v1, 5, v7
	s_ashr_i32 s19, s18, 31
	s_getpc_b64 s[8:9]
	s_add_u32 s8, s8, llvm.amdgcn.dynlds.offset.table@rel32@lo+4
	s_addc_u32 s9, s9, llvm.amdgcn.dynlds.offset.table@rel32@hi+12
	v_and_b32_e32 v49, 8, v31
	v_add_nc_u32_e32 v39, -1, v2
	v_mov_b32_e32 v4, 0
	v_mov_b32_e32 v47, v30
	;; [unrolled: 1-line block ×4, first 2 shown]
	v_mul_f32_e32 v0, 0x4f7ffffe, v0
	v_mov_b32_e32 v55, 7
	v_mov_b32_e32 v64, 8
	;; [unrolled: 1-line block ×4, first 2 shown]
	v_cvt_u32_f32_e32 v0, v0
	v_mov_b32_e32 v20, 0
	v_mov_b32_e32 v21, 0
	;; [unrolled: 1-line block ×3, first 2 shown]
	s_lshl_b64 s[20:21], s[18:19], 2
	v_mul_lo_u32 v9, v6, v0
	v_add_co_ci_u32_e64 v6, null, 0, v3, vcc_lo
	v_add_co_u32 v7, vcc_lo, v8, v70
	v_add_co_ci_u32_e64 v8, null, 0, v71, vcc_lo
	v_lshl_or_b32 v13, v83, 6, v1
	v_mul_hi_u32 v3, v0, v9
	v_add_co_u32 v7, vcc_lo, v10, v7
	v_add_co_ci_u32_e64 v8, null, v11, v8, vcc_lo
	v_mov_b32_e32 v25, 0
	v_mov_b32_e32 v27, 0
	;; [unrolled: 1-line block ×3, first 2 shown]
	v_add_nc_u32_e32 v65, v0, v3
	v_mov_b32_e32 v51, 0
	v_mov_b32_e32 v52, 0
	;; [unrolled: 1-line block ×6, first 2 shown]
	s_mov_b32 s6, -1
	s_add_u32 s8, s8, s20
	s_mov_b32 s7, 0xffffff
	s_mov_b32 s15, 0
	s_addc_u32 s9, s9, s21
	s_branch .LBB259_809
.LBB259_807:                            ;   in Loop: Header=BB259_809 Depth=1
	s_or_b32 exec_lo, exec_lo, s4
	v_add_f32_e32 v11, v11, v12
	v_add_f32_e32 v0, v0, v1
	;; [unrolled: 1-line block ×8, first 2 shown]
	;;#ASMSTART
	v_pk_mul_f16 v1, v85, v34;

	;;#ASMEND
	;;#ASMSTART
	v_pk_mul_f16 v10, v82, v10;

	;;#ASMEND
	;; [unrolled: 4-line block ×4, first 2 shown]
	;;#ASMSTART
	v_pk_add_f16 v1, v1, v10;

	;;#ASMEND
	;;#ASMSTART
	v_pk_add_f16 v1, v1, v9;

	;;#ASMEND
	;; [unrolled: 4-line block ×3, first 2 shown]
	v_and_b32_e32 v10, 0xffff, v1
	v_add_f32_e32 v27, v27, v11
	v_lshrrev_b32_e32 v11, 16, v1
	;;#ASMSTART
	v_cvt_f32_f16 v10, v10;
	;;#ASMEND
	v_add_f32_e32 v20, v20, v12
	v_add_f32_e32 v12, v103, v112
	;; [unrolled: 1-line block ×7, first 2 shown]
	;;#ASMSTART
	v_cvt_f32_f16 v11, v11;
	;;#ASMEND
	v_add_f32_e32 v10, v10, v11
	v_add_f32_e32 v21, v21, v18
	;; [unrolled: 1-line block ×8, first 2 shown]
.LBB259_808:                            ;   in Loop: Header=BB259_809 Depth=1
	s_or_b32 exec_lo, exec_lo, s17
	v_add_nc_u32_e32 v66, 4, v66
	v_add_co_u32 v7, s4, v7, 16
	v_add_nc_u32_e32 v37, 64, v37
	v_add_nc_u32_e32 v13, 0x100, v13
	v_cmp_ge_i32_e32 vcc_lo, v66, v2
	v_add_co_ci_u32_e64 v8, null, 0, v8, s4
	s_or_b32 s15, vcc_lo, s15
	s_andn2_b32 exec_lo, exec_lo, s15
	s_cbranch_execz .LBB259_1602
.LBB259_809:                            ; =>This Inner Loop Header: Depth=1
	v_mul_hi_u32 v0, v37, v35
	v_mul_lo_u32 v1, v0, v33
	v_add_nc_u32_e32 v3, 1, v0
	v_sub_nc_u32_e32 v1, v37, v1
	v_sub_nc_u32_e32 v9, v1, v33
	v_cmp_ge_u32_e32 vcc_lo, v1, v33
	v_cndmask_b32_e32 v1, v1, v9, vcc_lo
	s_clause 0x1
	buffer_load_dword v9, off, s[0:3], s32 offset:192
	buffer_load_dword v10, off, s[0:3], s32 offset:196
	v_cndmask_b32_e32 v0, v0, v3, vcc_lo
	v_cmp_ge_u32_e32 vcc_lo, v1, v33
	v_add_nc_u32_e32 v3, 1, v0
	v_cndmask_b32_e32 v0, v0, v3, vcc_lo
	v_xor_b32_e32 v0, v0, v36
	v_sub_nc_u32_e32 v0, v0, v36
	v_cmp_gt_i32_e64 s4, v0, v38
	s_waitcnt vmcnt(1)
	v_add_nc_u32_e32 v1, v0, v9
	v_sub_nc_u32_e32 v3, 0, v1
	v_max_i32_e32 v3, v1, v3
	v_ashrrev_i32_e32 v1, 31, v1
	v_mul_hi_u32 v9, v3, v65
	v_mul_lo_u32 v9, v9, v26
	v_sub_nc_u32_e32 v3, v3, v9
	v_sub_nc_u32_e32 v9, v3, v26
	v_cmp_ge_u32_e32 vcc_lo, v3, v26
	v_cndmask_b32_e32 v3, v3, v9, vcc_lo
	v_sub_nc_u32_e32 v9, v3, v26
	v_cmp_ge_u32_e32 vcc_lo, v3, v26
	v_cndmask_b32_e32 v3, v3, v9, vcc_lo
	v_xor_b32_e32 v3, v3, v1
	v_sub_nc_u32_e32 v1, v3, v1
	v_cmp_eq_u32_e32 vcc_lo, 0, v1
	s_or_b32 s4, vcc_lo, s4
	s_and_saveexec_b32 s17, s4
	s_cbranch_execz .LBB259_808
; %bb.810:                              ;   in Loop: Header=BB259_809 Depth=1
	s_load_dword s4, s[8:9], 0x0
	flat_load_dword v1, v[7:8]
	v_mov_b32_e32 v71, 0
	s_waitcnt lgkmcnt(0)
	v_add_nc_u32_e32 v0, s4, v13
	ds_read2_b64 v[67:70], v0 offset1:1
	ds_read2_b64 v[80:83], v0 offset0:2 offset1:3
	s_waitcnt lgkmcnt(1)
	;;#ASMSTART
	v_cvt_f16_f32 v0, v67;

	;;#ASMEND
	buffer_load_dword v3, off, s[0:3], s32 offset:200 ; 4-byte Folded Reload
	s_waitcnt vmcnt(0)
	v_mad_i64_i32 v[9:10], null, v1, v3, v[5:6]
	;;#ASMSTART
	v_cvt_f16_f32 v1, v68;

	;;#ASMEND
	;;#ASMSTART
	v_cvt_f16_f32 v31, v69;

	;;#ASMEND
	;; [unrolled: 4-line block ×3, first 2 shown]
	s_waitcnt lgkmcnt(0)
	;;#ASMSTART
	v_cvt_f16_f32 v34, v80;

	;;#ASMEND
	;;#ASMSTART
	v_cvt_f16_f32 v29, v81;

	;;#ASMEND
	;; [unrolled: 4-line block ×4, first 2 shown]
	flat_load_dwordx2 v[11:12], v[9:10]
	flat_load_dword v69, v[22:23]
	v_mov_b32_e32 v70, 0
	s_waitcnt vmcnt(1) lgkmcnt(1)
	v_cmp_ne_u16_sdwa s20, v11, v4 src0_sel:BYTE_0 src1_sel:DWORD
	s_and_saveexec_b32 s4, s20
	s_cbranch_execz .LBB259_818
; %bb.811:                              ;   in Loop: Header=BB259_809 Depth=1
	v_cmp_ne_u16_sdwa s21, v11, v48 src0_sel:BYTE_0 src1_sel:DWORD
	v_mov_b32_e32 v71, 0x8000
	s_and_saveexec_b32 s20, s21
	s_cbranch_execz .LBB259_817
; %bb.812:                              ;   in Loop: Header=BB259_809 Depth=1
	v_and_b32_e32 v80, 0x7f, v11
	v_mov_b32_e32 v71, 0x7c01
	s_mov_b32 s21, exec_lo
	v_cmpx_ne_u32_e32 0x7f, v80
	s_cbranch_execz .LBB259_816
; %bb.813:                              ;   in Loop: Header=BB259_809 Depth=1
	v_and_b32_e32 v3, 7, v11
	v_lshrrev_b32_e32 v67, 3, v80
	s_mov_b32 s22, exec_lo
	v_cmpx_gt_u32_e32 8, v80
; %bb.814:                              ;   in Loop: Header=BB259_809 Depth=1
	v_ffbh_u32_e32 v3, v3
	v_min_u32_e32 v3, 32, v3
	v_subrev_nc_u32_e32 v19, 28, v3
	v_sub_nc_u32_e32 v67, 29, v3
	v_lshlrev_b64 v[80:81], v19, v[11:12]
	v_and_b32_e32 v3, 7, v80
; %bb.815:                              ;   in Loop: Header=BB259_809 Depth=1
	s_or_b32 exec_lo, exec_lo, s22
	v_lshlrev_b32_e32 v19, 8, v11
	v_lshl_add_u32 v67, v67, 10, 0x2000
	v_lshlrev_b32_e32 v3, 7, v3
	v_and_b32_e32 v19, 0x8000, v19
	v_and_b32_e32 v67, 0xfc00, v67
	v_or3_b32 v71, v19, v67, v3
.LBB259_816:                            ;   in Loop: Header=BB259_809 Depth=1
	s_or_b32 exec_lo, exec_lo, s21
.LBB259_817:                            ;   in Loop: Header=BB259_809 Depth=1
	s_or_b32 exec_lo, exec_lo, s20
.LBB259_818:                            ;   in Loop: Header=BB259_809 Depth=1
	s_or_b32 exec_lo, exec_lo, s4
	v_lshrrev_b16 v3, 8, v11
	s_mov_b32 s4, exec_lo
	v_cmpx_ne_u16_e32 0, v3
	s_cbranch_execz .LBB259_826
; %bb.819:                              ;   in Loop: Header=BB259_809 Depth=1
	v_bfrev_b32_e32 v70, 1
	s_mov_b32 s20, exec_lo
	v_cmpx_ne_u16_e32 0x80, v3
	s_cbranch_execz .LBB259_825
; %bb.820:                              ;   in Loop: Header=BB259_809 Depth=1
	v_and_b32_sdwa v80, v3, v50 dst_sel:DWORD dst_unused:UNUSED_PAD src0_sel:WORD_0 src1_sel:DWORD
	v_mov_b32_e32 v70, 0x7c010000
	s_mov_b32 s21, exec_lo
	v_cmpx_ne_u32_e32 0x7f, v80
	s_cbranch_execz .LBB259_824
; %bb.821:                              ;   in Loop: Header=BB259_809 Depth=1
	v_and_b32_sdwa v67, v3, v55 dst_sel:DWORD dst_unused:UNUSED_PAD src0_sel:WORD_0 src1_sel:DWORD
	v_lshrrev_b32_e32 v70, 3, v80
	s_mov_b32 s22, exec_lo
	v_cmpx_gt_u32_e32 8, v80
; %bb.822:                              ;   in Loop: Header=BB259_809 Depth=1
	v_ffbh_u32_e32 v19, v67
	v_min_u32_e32 v19, 32, v19
	v_subrev_nc_u32_e32 v67, 28, v19
	v_sub_nc_u32_e32 v70, 29, v19
	v_lshlrev_b64 v[80:81], v67, v[3:4]
	v_and_b32_e32 v67, 7, v80
; %bb.823:                              ;   in Loop: Header=BB259_809 Depth=1
	s_or_b32 exec_lo, exec_lo, s22
	v_lshlrev_b32_sdwa v3, v64, v3 dst_sel:DWORD dst_unused:UNUSED_PAD src0_sel:DWORD src1_sel:WORD_0
	v_lshl_add_u32 v19, v70, 10, 0x2000
	v_and_or_b32 v3, 0x8000, v3, v19
	v_lshlrev_b32_e32 v19, 23, v67
	v_lshl_or_b32 v70, v3, 16, v19
.LBB259_824:                            ;   in Loop: Header=BB259_809 Depth=1
	s_or_b32 exec_lo, exec_lo, s21
.LBB259_825:                            ;   in Loop: Header=BB259_809 Depth=1
	s_or_b32 exec_lo, exec_lo, s20
.LBB259_826:                            ;   in Loop: Header=BB259_809 Depth=1
	s_or_b32 exec_lo, exec_lo, s4
	v_lshrrev_b32_e32 v3, 16, v11
	v_mov_b32_e32 v80, 0
	v_mov_b32_e32 v67, 0
	v_cmp_ne_u16_sdwa s20, v3, v4 src0_sel:BYTE_0 src1_sel:DWORD
	s_and_saveexec_b32 s4, s20
	s_cbranch_execz .LBB259_834
; %bb.827:                              ;   in Loop: Header=BB259_809 Depth=1
	v_cmp_ne_u16_sdwa s21, v3, v48 src0_sel:BYTE_0 src1_sel:DWORD
	v_mov_b32_e32 v67, 0x8000
	s_and_saveexec_b32 s20, s21
	s_cbranch_execz .LBB259_833
; %bb.828:                              ;   in Loop: Header=BB259_809 Depth=1
	v_bfe_u32 v82, v11, 16, 7
	v_mov_b32_e32 v67, 0x7c01
	s_mov_b32 s21, exec_lo
	v_cmpx_ne_u32_e32 0x7f, v82
	s_cbranch_execz .LBB259_832
; %bb.829:                              ;   in Loop: Header=BB259_809 Depth=1
	v_and_b32_e32 v67, 7, v3
	v_lshrrev_b32_e32 v81, 3, v82
	s_mov_b32 s22, exec_lo
	v_cmpx_gt_u32_e32 8, v82
; %bb.830:                              ;   in Loop: Header=BB259_809 Depth=1
	v_ffbh_u32_e32 v19, v67
	v_min_u32_e32 v19, 32, v19
	v_subrev_nc_u32_e32 v67, 28, v19
	v_sub_nc_u32_e32 v81, 29, v19
	v_lshlrev_b64 v[82:83], v67, v[3:4]
	v_and_b32_e32 v67, 7, v82
; %bb.831:                              ;   in Loop: Header=BB259_809 Depth=1
	s_or_b32 exec_lo, exec_lo, s22
	v_lshlrev_b32_e32 v3, 8, v3
	v_lshl_add_u32 v19, v81, 10, 0x2000
	v_lshlrev_b32_e32 v67, 7, v67
	v_and_b32_e32 v3, 0x8000, v3
	v_and_b32_e32 v19, 0xfc00, v19
	v_or3_b32 v67, v3, v19, v67
.LBB259_832:                            ;   in Loop: Header=BB259_809 Depth=1
	s_or_b32 exec_lo, exec_lo, s21
.LBB259_833:                            ;   in Loop: Header=BB259_809 Depth=1
	s_or_b32 exec_lo, exec_lo, s20
.LBB259_834:                            ;   in Loop: Header=BB259_809 Depth=1
	s_or_b32 exec_lo, exec_lo, s4
	s_mov_b32 s4, exec_lo
	v_cmpx_lt_u32_e32 0xffffff, v11
	s_cbranch_execz .LBB259_842
; %bb.835:                              ;   in Loop: Header=BB259_809 Depth=1
	v_lshrrev_b32_e32 v3, 24, v11
	v_bfrev_b32_e32 v80, 1
	s_mov_b32 s20, exec_lo
	v_cmpx_ne_u32_e32 0x80, v3
	s_cbranch_execz .LBB259_841
; %bb.836:                              ;   in Loop: Header=BB259_809 Depth=1
	v_and_b32_e32 v82, 0x7f, v3
	v_mov_b32_e32 v80, 0x7c010000
	s_mov_b32 s21, exec_lo
	v_cmpx_ne_u32_e32 0x7f, v82
	s_cbranch_execz .LBB259_840
; %bb.837:                              ;   in Loop: Header=BB259_809 Depth=1
	v_and_b32_e32 v80, 7, v3
	v_lshrrev_b32_e32 v81, 3, v82
	s_mov_b32 s22, exec_lo
	v_cmpx_gt_u32_e32 8, v82
; %bb.838:                              ;   in Loop: Header=BB259_809 Depth=1
	v_ffbh_u32_e32 v19, v80
	v_min_u32_e32 v19, 32, v19
	v_subrev_nc_u32_e32 v80, 28, v19
	v_lshlrev_b64 v[80:81], v80, v[3:4]
	v_sub_nc_u32_e32 v81, 29, v19
	v_and_b32_e32 v80, 7, v80
; %bb.839:                              ;   in Loop: Header=BB259_809 Depth=1
	s_or_b32 exec_lo, exec_lo, s22
	v_lshlrev_b32_e32 v3, 8, v3
	v_lshl_add_u32 v19, v81, 10, 0x2000
	v_and_or_b32 v3, 0x8000, v3, v19
	v_lshlrev_b32_e32 v19, 23, v80
	v_lshl_or_b32 v80, v3, 16, v19
.LBB259_840:                            ;   in Loop: Header=BB259_809 Depth=1
	s_or_b32 exec_lo, exec_lo, s21
.LBB259_841:                            ;   in Loop: Header=BB259_809 Depth=1
	s_or_b32 exec_lo, exec_lo, s20
.LBB259_842:                            ;   in Loop: Header=BB259_809 Depth=1
	s_or_b32 exec_lo, exec_lo, s4
	v_mov_b32_e32 v3, v12
	v_cmp_ne_u16_sdwa s20, v12, v4 src0_sel:BYTE_0 src1_sel:DWORD
	v_mov_b32_e32 v81, 0
	v_mov_b32_e32 v82, 0
	s_and_saveexec_b32 s4, s20
	s_cbranch_execz .LBB259_850
; %bb.843:                              ;   in Loop: Header=BB259_809 Depth=1
	v_cmp_ne_u16_sdwa s21, v12, v48 src0_sel:BYTE_0 src1_sel:DWORD
	v_mov_b32_e32 v82, 0x8000
	s_and_saveexec_b32 s20, s21
	s_cbranch_execz .LBB259_849
; %bb.844:                              ;   in Loop: Header=BB259_809 Depth=1
	v_and_b32_e32 v84, 0x7f, v12
	v_mov_b32_e32 v82, 0x7c01
	s_mov_b32 s21, exec_lo
	v_cmpx_ne_u32_e32 0x7f, v84
	s_cbranch_execz .LBB259_848
; %bb.845:                              ;   in Loop: Header=BB259_809 Depth=1
	v_and_b32_e32 v82, 7, v12
	v_lshrrev_b32_e32 v83, 3, v84
	s_mov_b32 s22, exec_lo
	v_cmpx_gt_u32_e32 8, v84
; %bb.846:                              ;   in Loop: Header=BB259_809 Depth=1
	v_ffbh_u32_e32 v19, v82
	v_min_u32_e32 v19, 32, v19
	v_subrev_nc_u32_e32 v82, 28, v19
	v_lshlrev_b64 v[82:83], v82, v[3:4]
	v_sub_nc_u32_e32 v83, 29, v19
	v_and_b32_e32 v82, 7, v82
; %bb.847:                              ;   in Loop: Header=BB259_809 Depth=1
	s_or_b32 exec_lo, exec_lo, s22
	v_lshlrev_b32_e32 v19, 8, v12
	v_lshl_add_u32 v83, v83, 10, 0x2000
	v_lshlrev_b32_e32 v82, 7, v82
	v_and_b32_e32 v19, 0x8000, v19
	v_and_b32_e32 v83, 0xfc00, v83
	v_or3_b32 v82, v19, v83, v82
.LBB259_848:                            ;   in Loop: Header=BB259_809 Depth=1
	s_or_b32 exec_lo, exec_lo, s21
.LBB259_849:                            ;   in Loop: Header=BB259_809 Depth=1
	s_or_b32 exec_lo, exec_lo, s20
.LBB259_850:                            ;   in Loop: Header=BB259_809 Depth=1
	s_or_b32 exec_lo, exec_lo, s4
	v_lshrrev_b16 v3, 8, v3
	v_mov_b32_e32 v83, 0
	s_mov_b32 s4, exec_lo
	v_cmpx_ne_u16_e32 0, v3
	s_cbranch_execz .LBB259_858
; %bb.851:                              ;   in Loop: Header=BB259_809 Depth=1
	v_bfrev_b32_e32 v83, 1
	s_mov_b32 s20, exec_lo
	v_cmpx_ne_u16_e32 0x80, v3
	s_cbranch_execz .LBB259_857
; %bb.852:                              ;   in Loop: Header=BB259_809 Depth=1
	v_and_b32_sdwa v85, v3, v50 dst_sel:DWORD dst_unused:UNUSED_PAD src0_sel:WORD_0 src1_sel:DWORD
	v_mov_b32_e32 v83, 0x7c010000
	s_mov_b32 s21, exec_lo
	v_cmpx_ne_u32_e32 0x7f, v85
	s_cbranch_execz .LBB259_856
; %bb.853:                              ;   in Loop: Header=BB259_809 Depth=1
	v_and_b32_sdwa v83, v3, v55 dst_sel:DWORD dst_unused:UNUSED_PAD src0_sel:WORD_0 src1_sel:DWORD
	v_lshrrev_b32_e32 v84, 3, v85
	s_mov_b32 s22, exec_lo
	v_cmpx_gt_u32_e32 8, v85
; %bb.854:                              ;   in Loop: Header=BB259_809 Depth=1
	v_ffbh_u32_e32 v19, v83
	v_min_u32_e32 v19, 32, v19
	v_subrev_nc_u32_e32 v83, 28, v19
	v_lshlrev_b64 v[83:84], v83, v[3:4]
	v_sub_nc_u32_e32 v84, 29, v19
	v_and_b32_e32 v83, 7, v83
; %bb.855:                              ;   in Loop: Header=BB259_809 Depth=1
	s_or_b32 exec_lo, exec_lo, s22
	v_lshlrev_b32_sdwa v3, v64, v3 dst_sel:DWORD dst_unused:UNUSED_PAD src0_sel:DWORD src1_sel:WORD_0
	v_lshl_add_u32 v19, v84, 10, 0x2000
	v_and_or_b32 v3, 0x8000, v3, v19
	v_lshlrev_b32_e32 v19, 23, v83
	v_lshl_or_b32 v83, v3, 16, v19
.LBB259_856:                            ;   in Loop: Header=BB259_809 Depth=1
	s_or_b32 exec_lo, exec_lo, s21
.LBB259_857:                            ;   in Loop: Header=BB259_809 Depth=1
	s_or_b32 exec_lo, exec_lo, s20
.LBB259_858:                            ;   in Loop: Header=BB259_809 Depth=1
	s_or_b32 exec_lo, exec_lo, s4
	v_lshrrev_b32_e32 v3, 16, v12
	v_cmp_ne_u16_sdwa s20, v3, v4 src0_sel:BYTE_0 src1_sel:DWORD
	s_and_saveexec_b32 s4, s20
	s_cbranch_execz .LBB259_866
; %bb.859:                              ;   in Loop: Header=BB259_809 Depth=1
	v_cmp_ne_u16_sdwa s21, v3, v48 src0_sel:BYTE_0 src1_sel:DWORD
	v_mov_b32_e32 v81, 0x8000
	s_and_saveexec_b32 s20, s21
	s_cbranch_execz .LBB259_865
; %bb.860:                              ;   in Loop: Header=BB259_809 Depth=1
	v_bfe_u32 v85, v12, 16, 7
	v_mov_b32_e32 v81, 0x7c01
	s_mov_b32 s21, exec_lo
	v_cmpx_ne_u32_e32 0x7f, v85
	s_cbranch_execz .LBB259_864
; %bb.861:                              ;   in Loop: Header=BB259_809 Depth=1
	v_and_b32_e32 v81, 7, v3
	v_lshrrev_b32_e32 v84, 3, v85
	s_mov_b32 s22, exec_lo
	v_cmpx_gt_u32_e32 8, v85
; %bb.862:                              ;   in Loop: Header=BB259_809 Depth=1
	v_ffbh_u32_e32 v19, v81
	v_min_u32_e32 v19, 32, v19
	v_subrev_nc_u32_e32 v81, 28, v19
	v_sub_nc_u32_e32 v84, 29, v19
	v_lshlrev_b64 v[85:86], v81, v[3:4]
	v_and_b32_e32 v81, 7, v85
; %bb.863:                              ;   in Loop: Header=BB259_809 Depth=1
	s_or_b32 exec_lo, exec_lo, s22
	v_lshlrev_b32_e32 v3, 8, v3
	v_lshl_add_u32 v19, v84, 10, 0x2000
	v_lshlrev_b32_e32 v81, 7, v81
	v_and_b32_e32 v3, 0x8000, v3
	v_and_b32_e32 v19, 0xfc00, v19
	v_or3_b32 v81, v3, v19, v81
.LBB259_864:                            ;   in Loop: Header=BB259_809 Depth=1
	s_or_b32 exec_lo, exec_lo, s21
.LBB259_865:                            ;   in Loop: Header=BB259_809 Depth=1
	s_or_b32 exec_lo, exec_lo, s20
.LBB259_866:                            ;   in Loop: Header=BB259_809 Depth=1
	s_or_b32 exec_lo, exec_lo, s4
	v_cmp_lt_u64_e32 vcc_lo, s[6:7], v[11:12]
	v_mov_b32_e32 v11, 0
	s_and_saveexec_b32 s4, vcc_lo
	s_cbranch_execz .LBB259_874
; %bb.867:                              ;   in Loop: Header=BB259_809 Depth=1
	v_lshrrev_b32_e32 v3, 24, v12
	v_bfrev_b32_e32 v11, 1
	s_mov_b32 s20, exec_lo
	v_cmpx_ne_u32_e32 0x80, v3
	s_cbranch_execz .LBB259_873
; %bb.868:                              ;   in Loop: Header=BB259_809 Depth=1
	v_and_b32_e32 v84, 0x7f, v3
	v_mov_b32_e32 v11, 0x7c010000
	s_mov_b32 s21, exec_lo
	v_cmpx_ne_u32_e32 0x7f, v84
	s_cbranch_execz .LBB259_872
; %bb.869:                              ;   in Loop: Header=BB259_809 Depth=1
	v_and_b32_e32 v11, 7, v3
	v_lshrrev_b32_e32 v12, 3, v84
	s_mov_b32 s22, exec_lo
	v_cmpx_gt_u32_e32 8, v84
; %bb.870:                              ;   in Loop: Header=BB259_809 Depth=1
	v_ffbh_u32_e32 v11, v11
	v_min_u32_e32 v19, 32, v11
	v_subrev_nc_u32_e32 v11, 28, v19
	v_lshlrev_b64 v[11:12], v11, v[3:4]
	v_sub_nc_u32_e32 v12, 29, v19
	v_and_b32_e32 v11, 7, v11
; %bb.871:                              ;   in Loop: Header=BB259_809 Depth=1
	s_or_b32 exec_lo, exec_lo, s22
	v_lshlrev_b32_e32 v3, 8, v3
	v_lshl_add_u32 v12, v12, 10, 0x2000
	v_lshlrev_b32_e32 v11, 23, v11
	v_and_or_b32 v3, 0x8000, v3, v12
	v_lshl_or_b32 v11, v3, 16, v11
.LBB259_872:                            ;   in Loop: Header=BB259_809 Depth=1
	s_or_b32 exec_lo, exec_lo, s21
.LBB259_873:                            ;   in Loop: Header=BB259_809 Depth=1
	s_or_b32 exec_lo, exec_lo, s20
.LBB259_874:                            ;   in Loop: Header=BB259_809 Depth=1
	s_or_b32 exec_lo, exec_lo, s4
	v_or_b32_e32 v3, v80, v67
	v_or_b32_e32 v19, v70, v71
	s_waitcnt vmcnt(0) lgkmcnt(0)
	v_fma_mixlo_f16 v70, v69, v70, 0 op_sel:[0,1,0] op_sel_hi:[0,1,0]
	v_or_b32_e32 v71, v83, v82
	v_or_b32_e32 v81, v11, v81
	v_fma_mixlo_f16 v3, v69, v3, 0 op_sel_hi:[0,1,0]
	v_fma_mixlo_f16 v12, v69, v80, 0 op_sel:[0,1,0] op_sel_hi:[0,1,0]
	v_lshlrev_b32_e32 v98, 16, v70
	v_fma_mixlo_f16 v70, v69, v71, 0 op_sel_hi:[0,1,0]
	v_fma_mixlo_f16 v11, v69, v11, 0 op_sel:[0,1,0] op_sel_hi:[0,1,0]
	v_and_b32_e32 v80, 0xffff, v3
	v_fma_mixlo_f16 v3, v69, v19, 0 op_sel_hi:[0,1,0]
	v_fma_mixlo_f16 v19, v69, v83, 0 op_sel:[0,1,0] op_sel_hi:[0,1,0]
	v_fma_mixlo_f16 v69, v69, v81, 0 op_sel_hi:[0,1,0]
	v_add_nc_u32_e32 v67, v49, v37
	v_lshlrev_b32_e32 v12, 16, v12
	v_and_b32_e32 v100, 0xffff, v3
	v_lshlrev_b32_e32 v82, 16, v19
	v_and_b32_e32 v99, 0xffff, v70
	;; [unrolled: 2-line block ×3, first 2 shown]
	v_cmp_eq_u32_e32 vcc_lo, v39, v66
	v_or_b32_e32 v3, v12, v80
	v_or_b32_e32 v11, v98, v100
	;; [unrolled: 1-line block ×4, first 2 shown]
	v_add_nc_u32_e32 v96, 1, v67
	v_add_nc_u32_e32 v87, 2, v67
	;; [unrolled: 1-line block ×7, first 2 shown]
	s_and_saveexec_b32 s20, vcc_lo
	s_cbranch_execz .LBB259_876
; %bb.875:                              ;   in Loop: Header=BB259_809 Depth=1
	v_cmp_lt_i32_e64 s4, v67, v32
	v_cndmask_b32_e64 v3, 0, v100, s4
	v_cmp_lt_i32_e64 s4, v96, v32
	v_cndmask_b32_e64 v11, 0, v98, s4
	v_cmp_lt_i32_e64 s4, v87, v32
	v_or_b32_e32 v11, v3, v11
	v_cndmask_b32_e64 v19, 0, v80, s4
	v_cmp_lt_i32_e64 s4, v86, v32
	v_cndmask_b32_e64 v12, 0, v12, s4
	v_cmp_lt_i32_e64 s4, v84, v32
	v_or_b32_e32 v3, v19, v12
	;; [unrolled: 5-line block ×3, first 2 shown]
	v_cndmask_b32_e64 v82, 0, v85, s4
	v_cmp_lt_i32_e64 s4, v71, v32
	v_cndmask_b32_e64 v70, 0, v70, s4
	v_or_b32_e32 v97, v82, v70
.LBB259_876:                            ;   in Loop: Header=BB259_809 Depth=1
	s_or_b32 exec_lo, exec_lo, s20
	v_and_b32_e32 v0, 0xffff, v0
	v_and_b32_e32 v12, 0xffff, v31
	;; [unrolled: 1-line block ×4, first 2 shown]
	v_lshl_or_b32 v85, v1, 16, v0
	;;#ASMSTART
	v_pk_mul_f16 v0, v85, v11;

	;;#ASMEND
	v_lshl_or_b32 v82, v18, 16, v12
	v_lshl_or_b32 v80, v29, 16, v19
	;; [unrolled: 1-line block ×3, first 2 shown]
	;;#ASMSTART
	v_pk_mul_f16 v1, v82, v3;

	;;#ASMEND
	;;#ASMSTART
	v_pk_mul_f16 v3, v80, v69;

	;;#ASMEND
	;; [unrolled: 4-line block ×3, first 2 shown]
	;;#ASMSTART
	v_pk_add_f16 v0, v0, v1;

	;;#ASMEND
	;;#ASMSTART
	v_pk_add_f16 v0, v0, v3;

	;;#ASMEND
	;; [unrolled: 4-line block ×3, first 2 shown]
	v_and_b32_e32 v1, 0xffff, v0
	v_lshrrev_b32_e32 v0, 16, v0
	;;#ASMSTART
	v_cvt_f32_f16 v68, v1;
	;;#ASMEND
	;;#ASMSTART
	v_cvt_f32_f16 v69, v0;
	;;#ASMEND
	flat_load_dwordx2 v[11:12], v[9:10] offset:256
	flat_load_dword v0, v[22:23]
	v_mov_b32_e32 v1, 0
	v_mov_b32_e32 v18, 0
	s_waitcnt vmcnt(1) lgkmcnt(1)
	v_cmp_ne_u16_sdwa s4, v11, v4 src0_sel:BYTE_0 src1_sel:DWORD
	s_and_saveexec_b32 s20, s4
	s_cbranch_execz .LBB259_884
; %bb.877:                              ;   in Loop: Header=BB259_809 Depth=1
	v_cmp_ne_u16_sdwa s4, v11, v48 src0_sel:BYTE_0 src1_sel:DWORD
	v_mov_b32_e32 v18, 0x8000
	s_and_saveexec_b32 s21, s4
	s_cbranch_execz .LBB259_883
; %bb.878:                              ;   in Loop: Header=BB259_809 Depth=1
	v_and_b32_e32 v29, 0x7f, v11
	v_mov_b32_e32 v18, 0x7c01
	s_mov_b32 s22, exec_lo
	v_cmpx_ne_u32_e32 0x7f, v29
	s_cbranch_execz .LBB259_882
; %bb.879:                              ;   in Loop: Header=BB259_809 Depth=1
	v_and_b32_e32 v3, 7, v11
	v_lshrrev_b32_e32 v18, 3, v29
	s_mov_b32 s23, exec_lo
	v_cmpx_gt_u32_e32 8, v29
; %bb.880:                              ;   in Loop: Header=BB259_809 Depth=1
	v_ffbh_u32_e32 v3, v3
	v_min_u32_e32 v3, 32, v3
	v_subrev_nc_u32_e32 v18, 28, v3
	v_lshlrev_b64 v[29:30], v18, v[11:12]
	v_sub_nc_u32_e32 v18, 29, v3
	v_and_b32_e32 v3, 7, v29
; %bb.881:                              ;   in Loop: Header=BB259_809 Depth=1
	s_or_b32 exec_lo, exec_lo, s23
	v_lshlrev_b32_e32 v19, 8, v11
	v_lshl_add_u32 v18, v18, 10, 0x2000
	v_lshlrev_b32_e32 v3, 7, v3
	v_and_b32_e32 v19, 0x8000, v19
	v_and_b32_e32 v18, 0xfc00, v18
	v_or3_b32 v18, v19, v18, v3
.LBB259_882:                            ;   in Loop: Header=BB259_809 Depth=1
	s_or_b32 exec_lo, exec_lo, s22
.LBB259_883:                            ;   in Loop: Header=BB259_809 Depth=1
	s_or_b32 exec_lo, exec_lo, s21
.LBB259_884:                            ;   in Loop: Header=BB259_809 Depth=1
	s_or_b32 exec_lo, exec_lo, s20
	v_lshrrev_b16 v3, 8, v11
	s_mov_b32 s20, exec_lo
	v_cmpx_ne_u16_e32 0, v3
	s_cbranch_execz .LBB259_892
; %bb.885:                              ;   in Loop: Header=BB259_809 Depth=1
	v_bfrev_b32_e32 v1, 1
	s_mov_b32 s21, exec_lo
	v_cmpx_ne_u16_e32 0x80, v3
	s_cbranch_execz .LBB259_891
; %bb.886:                              ;   in Loop: Header=BB259_809 Depth=1
	v_and_b32_sdwa v30, v3, v50 dst_sel:DWORD dst_unused:UNUSED_PAD src0_sel:WORD_0 src1_sel:DWORD
	v_mov_b32_e32 v1, 0x7c010000
	s_mov_b32 s22, exec_lo
	v_cmpx_ne_u32_e32 0x7f, v30
	s_cbranch_execz .LBB259_890
; %bb.887:                              ;   in Loop: Header=BB259_809 Depth=1
	v_and_b32_sdwa v1, v3, v55 dst_sel:DWORD dst_unused:UNUSED_PAD src0_sel:WORD_0 src1_sel:DWORD
	v_lshrrev_b32_e32 v29, 3, v30
	s_mov_b32 s23, exec_lo
	v_cmpx_gt_u32_e32 8, v30
; %bb.888:                              ;   in Loop: Header=BB259_809 Depth=1
	v_ffbh_u32_e32 v1, v1
	v_min_u32_e32 v1, 32, v1
	v_subrev_nc_u32_e32 v19, 28, v1
	v_sub_nc_u32_e32 v29, 29, v1
	v_lshlrev_b64 v[30:31], v19, v[3:4]
	v_and_b32_e32 v1, 7, v30
; %bb.889:                              ;   in Loop: Header=BB259_809 Depth=1
	s_or_b32 exec_lo, exec_lo, s23
	v_lshlrev_b32_sdwa v3, v64, v3 dst_sel:DWORD dst_unused:UNUSED_PAD src0_sel:DWORD src1_sel:WORD_0
	v_lshl_add_u32 v19, v29, 10, 0x2000
	v_lshlrev_b32_e32 v1, 23, v1
	v_and_or_b32 v3, 0x8000, v3, v19
	v_lshl_or_b32 v1, v3, 16, v1
.LBB259_890:                            ;   in Loop: Header=BB259_809 Depth=1
	s_or_b32 exec_lo, exec_lo, s22
.LBB259_891:                            ;   in Loop: Header=BB259_809 Depth=1
	s_or_b32 exec_lo, exec_lo, s21
.LBB259_892:                            ;   in Loop: Header=BB259_809 Depth=1
	s_or_b32 exec_lo, exec_lo, s20
	v_lshrrev_b32_e32 v3, 16, v11
	v_mov_b32_e32 v29, 0
	v_mov_b32_e32 v30, 0
	v_cmp_ne_u16_sdwa s4, v3, v4 src0_sel:BYTE_0 src1_sel:DWORD
	s_and_saveexec_b32 s20, s4
	s_cbranch_execz .LBB259_900
; %bb.893:                              ;   in Loop: Header=BB259_809 Depth=1
	v_cmp_ne_u16_sdwa s4, v3, v48 src0_sel:BYTE_0 src1_sel:DWORD
	v_mov_b32_e32 v30, 0x8000
	s_and_saveexec_b32 s21, s4
	s_cbranch_execz .LBB259_899
; %bb.894:                              ;   in Loop: Header=BB259_809 Depth=1
	v_bfe_u32 v34, v11, 16, 7
	v_mov_b32_e32 v30, 0x7c01
	s_mov_b32 s22, exec_lo
	v_cmpx_ne_u32_e32 0x7f, v34
	s_cbranch_execz .LBB259_898
; %bb.895:                              ;   in Loop: Header=BB259_809 Depth=1
	v_and_b32_e32 v30, 7, v3
	v_lshrrev_b32_e32 v31, 3, v34
	s_mov_b32 s23, exec_lo
	v_cmpx_gt_u32_e32 8, v34
; %bb.896:                              ;   in Loop: Header=BB259_809 Depth=1
	v_ffbh_u32_e32 v19, v30
	v_min_u32_e32 v19, 32, v19
	v_subrev_nc_u32_e32 v30, 28, v19
	v_lshlrev_b64 v[30:31], v30, v[3:4]
	v_sub_nc_u32_e32 v31, 29, v19
	v_and_b32_e32 v30, 7, v30
; %bb.897:                              ;   in Loop: Header=BB259_809 Depth=1
	s_or_b32 exec_lo, exec_lo, s23
	v_lshlrev_b32_e32 v3, 8, v3
	v_lshl_add_u32 v19, v31, 10, 0x2000
	v_lshlrev_b32_e32 v30, 7, v30
	v_and_b32_e32 v3, 0x8000, v3
	v_and_b32_e32 v19, 0xfc00, v19
	v_or3_b32 v30, v3, v19, v30
.LBB259_898:                            ;   in Loop: Header=BB259_809 Depth=1
	s_or_b32 exec_lo, exec_lo, s22
.LBB259_899:                            ;   in Loop: Header=BB259_809 Depth=1
	s_or_b32 exec_lo, exec_lo, s21
.LBB259_900:                            ;   in Loop: Header=BB259_809 Depth=1
	s_or_b32 exec_lo, exec_lo, s20
	s_mov_b32 s20, exec_lo
	v_cmpx_lt_u32_e32 0xffffff, v11
	s_cbranch_execz .LBB259_908
; %bb.901:                              ;   in Loop: Header=BB259_809 Depth=1
	v_lshrrev_b32_e32 v3, 24, v11
	v_bfrev_b32_e32 v29, 1
	s_mov_b32 s21, exec_lo
	v_cmpx_ne_u32_e32 0x80, v3
	s_cbranch_execz .LBB259_907
; %bb.902:                              ;   in Loop: Header=BB259_809 Depth=1
	v_and_b32_e32 v34, 0x7f, v3
	v_mov_b32_e32 v29, 0x7c010000
	s_mov_b32 s22, exec_lo
	v_cmpx_ne_u32_e32 0x7f, v34
	s_cbranch_execz .LBB259_906
; %bb.903:                              ;   in Loop: Header=BB259_809 Depth=1
	v_and_b32_e32 v29, 7, v3
	v_lshrrev_b32_e32 v31, 3, v34
	s_mov_b32 s23, exec_lo
	v_cmpx_gt_u32_e32 8, v34
; %bb.904:                              ;   in Loop: Header=BB259_809 Depth=1
	v_ffbh_u32_e32 v19, v29
	v_min_u32_e32 v19, 32, v19
	v_subrev_nc_u32_e32 v29, 28, v19
	v_sub_nc_u32_e32 v31, 29, v19
	v_lshlrev_b64 v[97:98], v29, v[3:4]
	v_and_b32_e32 v29, 7, v97
; %bb.905:                              ;   in Loop: Header=BB259_809 Depth=1
	s_or_b32 exec_lo, exec_lo, s23
	v_lshlrev_b32_e32 v3, 8, v3
	v_lshl_add_u32 v19, v31, 10, 0x2000
	v_and_or_b32 v3, 0x8000, v3, v19
	v_lshlrev_b32_e32 v19, 23, v29
	v_lshl_or_b32 v29, v3, 16, v19
.LBB259_906:                            ;   in Loop: Header=BB259_809 Depth=1
	s_or_b32 exec_lo, exec_lo, s22
.LBB259_907:                            ;   in Loop: Header=BB259_809 Depth=1
	s_or_b32 exec_lo, exec_lo, s21
.LBB259_908:                            ;   in Loop: Header=BB259_809 Depth=1
	s_or_b32 exec_lo, exec_lo, s20
	v_mov_b32_e32 v3, v12
	v_cmp_ne_u16_sdwa s4, v12, v4 src0_sel:BYTE_0 src1_sel:DWORD
	v_mov_b32_e32 v31, 0
	v_mov_b32_e32 v34, 0
	s_and_saveexec_b32 s20, s4
	s_cbranch_execz .LBB259_916
; %bb.909:                              ;   in Loop: Header=BB259_809 Depth=1
	v_cmp_ne_u16_sdwa s4, v12, v48 src0_sel:BYTE_0 src1_sel:DWORD
	v_mov_b32_e32 v34, 0x8000
	s_and_saveexec_b32 s21, s4
	s_cbranch_execz .LBB259_915
; %bb.910:                              ;   in Loop: Header=BB259_809 Depth=1
	v_and_b32_e32 v98, 0x7f, v12
	v_mov_b32_e32 v34, 0x7c01
	s_mov_b32 s22, exec_lo
	v_cmpx_ne_u32_e32 0x7f, v98
	s_cbranch_execz .LBB259_914
; %bb.911:                              ;   in Loop: Header=BB259_809 Depth=1
	v_and_b32_e32 v34, 7, v12
	v_lshrrev_b32_e32 v97, 3, v98
	s_mov_b32 s23, exec_lo
	v_cmpx_gt_u32_e32 8, v98
; %bb.912:                              ;   in Loop: Header=BB259_809 Depth=1
	v_ffbh_u32_e32 v19, v34
	v_min_u32_e32 v19, 32, v19
	v_subrev_nc_u32_e32 v34, 28, v19
	v_sub_nc_u32_e32 v97, 29, v19
	v_lshlrev_b64 v[98:99], v34, v[3:4]
	v_and_b32_e32 v34, 7, v98
; %bb.913:                              ;   in Loop: Header=BB259_809 Depth=1
	s_or_b32 exec_lo, exec_lo, s23
	v_lshlrev_b32_e32 v19, 8, v12
	v_lshl_add_u32 v97, v97, 10, 0x2000
	v_lshlrev_b32_e32 v34, 7, v34
	v_and_b32_e32 v19, 0x8000, v19
	v_and_b32_e32 v97, 0xfc00, v97
	v_or3_b32 v34, v19, v97, v34
.LBB259_914:                            ;   in Loop: Header=BB259_809 Depth=1
	s_or_b32 exec_lo, exec_lo, s22
.LBB259_915:                            ;   in Loop: Header=BB259_809 Depth=1
	s_or_b32 exec_lo, exec_lo, s21
.LBB259_916:                            ;   in Loop: Header=BB259_809 Depth=1
	s_or_b32 exec_lo, exec_lo, s20
	v_lshrrev_b16 v3, 8, v3
	v_mov_b32_e32 v97, 0
	s_mov_b32 s20, exec_lo
	v_cmpx_ne_u16_e32 0, v3
	s_cbranch_execz .LBB259_924
; %bb.917:                              ;   in Loop: Header=BB259_809 Depth=1
	v_bfrev_b32_e32 v97, 1
	s_mov_b32 s21, exec_lo
	v_cmpx_ne_u16_e32 0x80, v3
	s_cbranch_execz .LBB259_923
; %bb.918:                              ;   in Loop: Header=BB259_809 Depth=1
	v_and_b32_sdwa v99, v3, v50 dst_sel:DWORD dst_unused:UNUSED_PAD src0_sel:WORD_0 src1_sel:DWORD
	v_mov_b32_e32 v97, 0x7c010000
	s_mov_b32 s22, exec_lo
	v_cmpx_ne_u32_e32 0x7f, v99
	s_cbranch_execz .LBB259_922
; %bb.919:                              ;   in Loop: Header=BB259_809 Depth=1
	v_and_b32_sdwa v97, v3, v55 dst_sel:DWORD dst_unused:UNUSED_PAD src0_sel:WORD_0 src1_sel:DWORD
	v_lshrrev_b32_e32 v98, 3, v99
	s_mov_b32 s23, exec_lo
	v_cmpx_gt_u32_e32 8, v99
; %bb.920:                              ;   in Loop: Header=BB259_809 Depth=1
	v_ffbh_u32_e32 v19, v97
	v_min_u32_e32 v19, 32, v19
	v_subrev_nc_u32_e32 v97, 28, v19
	v_lshlrev_b64 v[97:98], v97, v[3:4]
	v_sub_nc_u32_e32 v98, 29, v19
	v_and_b32_e32 v97, 7, v97
; %bb.921:                              ;   in Loop: Header=BB259_809 Depth=1
	s_or_b32 exec_lo, exec_lo, s23
	v_lshlrev_b32_sdwa v3, v64, v3 dst_sel:DWORD dst_unused:UNUSED_PAD src0_sel:DWORD src1_sel:WORD_0
	v_lshl_add_u32 v19, v98, 10, 0x2000
	v_and_or_b32 v3, 0x8000, v3, v19
	v_lshlrev_b32_e32 v19, 23, v97
	v_lshl_or_b32 v97, v3, 16, v19
.LBB259_922:                            ;   in Loop: Header=BB259_809 Depth=1
	s_or_b32 exec_lo, exec_lo, s22
.LBB259_923:                            ;   in Loop: Header=BB259_809 Depth=1
	s_or_b32 exec_lo, exec_lo, s21
.LBB259_924:                            ;   in Loop: Header=BB259_809 Depth=1
	s_or_b32 exec_lo, exec_lo, s20
	v_lshrrev_b32_e32 v3, 16, v12
	v_cmp_ne_u16_sdwa s4, v3, v4 src0_sel:BYTE_0 src1_sel:DWORD
	s_and_saveexec_b32 s20, s4
	s_cbranch_execz .LBB259_932
; %bb.925:                              ;   in Loop: Header=BB259_809 Depth=1
	v_cmp_ne_u16_sdwa s4, v3, v48 src0_sel:BYTE_0 src1_sel:DWORD
	v_mov_b32_e32 v31, 0x8000
	s_and_saveexec_b32 s21, s4
	s_cbranch_execz .LBB259_931
; %bb.926:                              ;   in Loop: Header=BB259_809 Depth=1
	v_bfe_u32 v99, v12, 16, 7
	v_mov_b32_e32 v31, 0x7c01
	s_mov_b32 s22, exec_lo
	v_cmpx_ne_u32_e32 0x7f, v99
	s_cbranch_execz .LBB259_930
; %bb.927:                              ;   in Loop: Header=BB259_809 Depth=1
	v_and_b32_e32 v31, 7, v3
	v_lshrrev_b32_e32 v98, 3, v99
	s_mov_b32 s23, exec_lo
	v_cmpx_gt_u32_e32 8, v99
; %bb.928:                              ;   in Loop: Header=BB259_809 Depth=1
	v_ffbh_u32_e32 v19, v31
	v_min_u32_e32 v19, 32, v19
	v_subrev_nc_u32_e32 v31, 28, v19
	v_sub_nc_u32_e32 v98, 29, v19
	v_lshlrev_b64 v[99:100], v31, v[3:4]
	v_and_b32_e32 v31, 7, v99
; %bb.929:                              ;   in Loop: Header=BB259_809 Depth=1
	s_or_b32 exec_lo, exec_lo, s23
	v_lshlrev_b32_e32 v3, 8, v3
	v_lshl_add_u32 v19, v98, 10, 0x2000
	v_lshlrev_b32_e32 v31, 7, v31
	v_and_b32_e32 v3, 0x8000, v3
	v_and_b32_e32 v19, 0xfc00, v19
	v_or3_b32 v31, v3, v19, v31
.LBB259_930:                            ;   in Loop: Header=BB259_809 Depth=1
	s_or_b32 exec_lo, exec_lo, s22
.LBB259_931:                            ;   in Loop: Header=BB259_809 Depth=1
	s_or_b32 exec_lo, exec_lo, s21
.LBB259_932:                            ;   in Loop: Header=BB259_809 Depth=1
	s_or_b32 exec_lo, exec_lo, s20
	v_cmp_lt_u64_e64 s4, s[6:7], v[11:12]
	v_mov_b32_e32 v11, 0
	s_and_saveexec_b32 s20, s4
	s_cbranch_execz .LBB259_940
; %bb.933:                              ;   in Loop: Header=BB259_809 Depth=1
	v_lshrrev_b32_e32 v3, 24, v12
	v_bfrev_b32_e32 v11, 1
	s_mov_b32 s21, exec_lo
	v_cmpx_ne_u32_e32 0x80, v3
	s_cbranch_execz .LBB259_939
; %bb.934:                              ;   in Loop: Header=BB259_809 Depth=1
	v_and_b32_e32 v98, 0x7f, v3
	v_mov_b32_e32 v11, 0x7c010000
	s_mov_b32 s22, exec_lo
	v_cmpx_ne_u32_e32 0x7f, v98
	s_cbranch_execz .LBB259_938
; %bb.935:                              ;   in Loop: Header=BB259_809 Depth=1
	v_and_b32_e32 v11, 7, v3
	v_lshrrev_b32_e32 v12, 3, v98
	s_mov_b32 s23, exec_lo
	v_cmpx_gt_u32_e32 8, v98
; %bb.936:                              ;   in Loop: Header=BB259_809 Depth=1
	v_ffbh_u32_e32 v11, v11
	v_min_u32_e32 v19, 32, v11
	v_subrev_nc_u32_e32 v11, 28, v19
	v_lshlrev_b64 v[11:12], v11, v[3:4]
	v_sub_nc_u32_e32 v12, 29, v19
	v_and_b32_e32 v11, 7, v11
; %bb.937:                              ;   in Loop: Header=BB259_809 Depth=1
	s_or_b32 exec_lo, exec_lo, s23
	v_lshlrev_b32_e32 v3, 8, v3
	v_lshl_add_u32 v12, v12, 10, 0x2000
	v_lshlrev_b32_e32 v11, 23, v11
	v_and_or_b32 v3, 0x8000, v3, v12
	v_lshl_or_b32 v11, v3, 16, v11
.LBB259_938:                            ;   in Loop: Header=BB259_809 Depth=1
	s_or_b32 exec_lo, exec_lo, s22
.LBB259_939:                            ;   in Loop: Header=BB259_809 Depth=1
	s_or_b32 exec_lo, exec_lo, s21
.LBB259_940:                            ;   in Loop: Header=BB259_809 Depth=1
	s_or_b32 exec_lo, exec_lo, s20
	v_or_b32_e32 v3, v29, v30
	s_waitcnt vmcnt(0) lgkmcnt(0)
	v_fma_mixlo_f16 v12, v0, v29, 0 op_sel:[0,1,0] op_sel_hi:[0,1,0]
	v_or_b32_e32 v19, v1, v18
	v_or_b32_e32 v29, v97, v34
	;; [unrolled: 1-line block ×3, first 2 shown]
	v_fma_mixlo_f16 v18, v0, v1, 0 op_sel:[0,1,0] op_sel_hi:[0,1,0]
	v_fma_mixlo_f16 v3, v0, v3, 0 op_sel_hi:[0,1,0]
	v_lshlrev_b32_e32 v1, 16, v12
	v_fma_mixlo_f16 v12, v0, v19, 0 op_sel_hi:[0,1,0]
	v_fma_mixlo_f16 v19, v0, v97, 0 op_sel:[0,1,0] op_sel_hi:[0,1,0]
	v_fma_mixlo_f16 v29, v0, v29, 0 op_sel_hi:[0,1,0]
	v_fma_mixlo_f16 v31, v0, v11, 0 op_sel:[0,1,0] op_sel_hi:[0,1,0]
	v_fma_mixlo_f16 v34, v0, v30, 0 op_sel_hi:[0,1,0]
	v_lshlrev_b32_e32 v18, 16, v18
	v_and_b32_e32 v3, 0xffff, v3
	v_and_b32_e32 v98, 0xffff, v12
	v_lshlrev_b32_e32 v11, 16, v19
	v_and_b32_e32 v30, 0xffff, v29
	v_lshlrev_b32_e32 v0, 16, v31
	v_and_b32_e32 v12, 0xffff, v34
	v_or_b32_e32 v29, v1, v3
	v_or_b32_e32 v97, v18, v98
	;; [unrolled: 1-line block ×4, first 2 shown]
	s_and_saveexec_b32 s20, vcc_lo
	s_cbranch_execz .LBB259_942
; %bb.941:                              ;   in Loop: Header=BB259_809 Depth=1
	v_cmp_lt_i32_e64 s4, v67, v32
	v_cndmask_b32_e64 v19, 0, v98, s4
	v_cmp_lt_i32_e64 s4, v96, v32
	v_cndmask_b32_e64 v18, 0, v18, s4
	v_cmp_lt_i32_e64 s4, v87, v32
	v_or_b32_e32 v97, v19, v18
	v_cndmask_b32_e64 v3, 0, v3, s4
	v_cmp_lt_i32_e64 s4, v86, v32
	v_cndmask_b32_e64 v1, 0, v1, s4
	v_cmp_lt_i32_e64 s4, v84, v32
	v_or_b32_e32 v29, v3, v1
	;; [unrolled: 5-line block ×3, first 2 shown]
	v_cndmask_b32_e64 v12, 0, v12, s4
	v_cmp_lt_i32_e64 s4, v71, v32
	v_cndmask_b32_e64 v0, 0, v0, s4
	v_or_b32_e32 v31, v12, v0
.LBB259_942:                            ;   in Loop: Header=BB259_809 Depth=1
	s_or_b32 exec_lo, exec_lo, s20
	;;#ASMSTART
	v_pk_mul_f16 v0, v85, v97;

	;;#ASMEND
	;;#ASMSTART
	v_pk_mul_f16 v1, v82, v29;

	;;#ASMEND
	;; [unrolled: 4-line block ×4, first 2 shown]
	;;#ASMSTART
	v_pk_add_f16 v0, v0, v1;

	;;#ASMEND
	;;#ASMSTART
	v_pk_add_f16 v0, v0, v3;

	;;#ASMEND
	;; [unrolled: 4-line block ×3, first 2 shown]
	v_and_b32_e32 v1, 0xffff, v0
	v_lshrrev_b32_e32 v0, 16, v0
	;;#ASMSTART
	v_cvt_f32_f16 v97, v1;
	;;#ASMEND
	;;#ASMSTART
	v_cvt_f32_f16 v98, v0;
	;;#ASMEND
	flat_load_dwordx2 v[11:12], v[9:10] offset:512
	flat_load_dword v0, v[22:23]
	v_mov_b32_e32 v1, 0
	v_mov_b32_e32 v18, 0
	s_waitcnt vmcnt(1) lgkmcnt(1)
	v_cmp_ne_u16_sdwa s4, v11, v4 src0_sel:BYTE_0 src1_sel:DWORD
	s_and_saveexec_b32 s20, s4
	s_cbranch_execz .LBB259_950
; %bb.943:                              ;   in Loop: Header=BB259_809 Depth=1
	v_cmp_ne_u16_sdwa s4, v11, v48 src0_sel:BYTE_0 src1_sel:DWORD
	v_mov_b32_e32 v18, 0x8000
	s_and_saveexec_b32 s21, s4
	s_cbranch_execz .LBB259_949
; %bb.944:                              ;   in Loop: Header=BB259_809 Depth=1
	v_and_b32_e32 v29, 0x7f, v11
	v_mov_b32_e32 v18, 0x7c01
	s_mov_b32 s22, exec_lo
	v_cmpx_ne_u32_e32 0x7f, v29
	s_cbranch_execz .LBB259_948
; %bb.945:                              ;   in Loop: Header=BB259_809 Depth=1
	v_and_b32_e32 v3, 7, v11
	v_lshrrev_b32_e32 v18, 3, v29
	s_mov_b32 s23, exec_lo
	v_cmpx_gt_u32_e32 8, v29
; %bb.946:                              ;   in Loop: Header=BB259_809 Depth=1
	v_ffbh_u32_e32 v3, v3
	v_min_u32_e32 v3, 32, v3
	v_subrev_nc_u32_e32 v18, 28, v3
	v_lshlrev_b64 v[29:30], v18, v[11:12]
	v_sub_nc_u32_e32 v18, 29, v3
	v_and_b32_e32 v3, 7, v29
; %bb.947:                              ;   in Loop: Header=BB259_809 Depth=1
	s_or_b32 exec_lo, exec_lo, s23
	v_lshlrev_b32_e32 v19, 8, v11
	v_lshl_add_u32 v18, v18, 10, 0x2000
	v_lshlrev_b32_e32 v3, 7, v3
	v_and_b32_e32 v19, 0x8000, v19
	v_and_b32_e32 v18, 0xfc00, v18
	v_or3_b32 v18, v19, v18, v3
.LBB259_948:                            ;   in Loop: Header=BB259_809 Depth=1
	s_or_b32 exec_lo, exec_lo, s22
.LBB259_949:                            ;   in Loop: Header=BB259_809 Depth=1
	s_or_b32 exec_lo, exec_lo, s21
.LBB259_950:                            ;   in Loop: Header=BB259_809 Depth=1
	s_or_b32 exec_lo, exec_lo, s20
	v_lshrrev_b16 v3, 8, v11
	s_mov_b32 s20, exec_lo
	v_cmpx_ne_u16_e32 0, v3
	s_cbranch_execz .LBB259_958
; %bb.951:                              ;   in Loop: Header=BB259_809 Depth=1
	v_bfrev_b32_e32 v1, 1
	s_mov_b32 s21, exec_lo
	v_cmpx_ne_u16_e32 0x80, v3
	s_cbranch_execz .LBB259_957
; %bb.952:                              ;   in Loop: Header=BB259_809 Depth=1
	v_and_b32_sdwa v30, v3, v50 dst_sel:DWORD dst_unused:UNUSED_PAD src0_sel:WORD_0 src1_sel:DWORD
	v_mov_b32_e32 v1, 0x7c010000
	s_mov_b32 s22, exec_lo
	v_cmpx_ne_u32_e32 0x7f, v30
	s_cbranch_execz .LBB259_956
; %bb.953:                              ;   in Loop: Header=BB259_809 Depth=1
	v_and_b32_sdwa v1, v3, v55 dst_sel:DWORD dst_unused:UNUSED_PAD src0_sel:WORD_0 src1_sel:DWORD
	v_lshrrev_b32_e32 v29, 3, v30
	s_mov_b32 s23, exec_lo
	v_cmpx_gt_u32_e32 8, v30
; %bb.954:                              ;   in Loop: Header=BB259_809 Depth=1
	v_ffbh_u32_e32 v1, v1
	v_min_u32_e32 v1, 32, v1
	v_subrev_nc_u32_e32 v19, 28, v1
	v_sub_nc_u32_e32 v29, 29, v1
	v_lshlrev_b64 v[30:31], v19, v[3:4]
	v_and_b32_e32 v1, 7, v30
; %bb.955:                              ;   in Loop: Header=BB259_809 Depth=1
	s_or_b32 exec_lo, exec_lo, s23
	v_lshlrev_b32_sdwa v3, v64, v3 dst_sel:DWORD dst_unused:UNUSED_PAD src0_sel:DWORD src1_sel:WORD_0
	v_lshl_add_u32 v19, v29, 10, 0x2000
	v_lshlrev_b32_e32 v1, 23, v1
	v_and_or_b32 v3, 0x8000, v3, v19
	v_lshl_or_b32 v1, v3, 16, v1
.LBB259_956:                            ;   in Loop: Header=BB259_809 Depth=1
	s_or_b32 exec_lo, exec_lo, s22
.LBB259_957:                            ;   in Loop: Header=BB259_809 Depth=1
	s_or_b32 exec_lo, exec_lo, s21
.LBB259_958:                            ;   in Loop: Header=BB259_809 Depth=1
	s_or_b32 exec_lo, exec_lo, s20
	v_lshrrev_b32_e32 v3, 16, v11
	v_mov_b32_e32 v29, 0
	v_mov_b32_e32 v30, 0
	v_cmp_ne_u16_sdwa s4, v3, v4 src0_sel:BYTE_0 src1_sel:DWORD
	s_and_saveexec_b32 s20, s4
	s_cbranch_execz .LBB259_966
; %bb.959:                              ;   in Loop: Header=BB259_809 Depth=1
	v_cmp_ne_u16_sdwa s4, v3, v48 src0_sel:BYTE_0 src1_sel:DWORD
	v_mov_b32_e32 v30, 0x8000
	s_and_saveexec_b32 s21, s4
	s_cbranch_execz .LBB259_965
; %bb.960:                              ;   in Loop: Header=BB259_809 Depth=1
	v_bfe_u32 v34, v11, 16, 7
	v_mov_b32_e32 v30, 0x7c01
	s_mov_b32 s22, exec_lo
	v_cmpx_ne_u32_e32 0x7f, v34
	s_cbranch_execz .LBB259_964
; %bb.961:                              ;   in Loop: Header=BB259_809 Depth=1
	v_and_b32_e32 v30, 7, v3
	v_lshrrev_b32_e32 v31, 3, v34
	s_mov_b32 s23, exec_lo
	v_cmpx_gt_u32_e32 8, v34
; %bb.962:                              ;   in Loop: Header=BB259_809 Depth=1
	v_ffbh_u32_e32 v19, v30
	v_min_u32_e32 v19, 32, v19
	v_subrev_nc_u32_e32 v30, 28, v19
	v_lshlrev_b64 v[30:31], v30, v[3:4]
	v_sub_nc_u32_e32 v31, 29, v19
	v_and_b32_e32 v30, 7, v30
; %bb.963:                              ;   in Loop: Header=BB259_809 Depth=1
	s_or_b32 exec_lo, exec_lo, s23
	v_lshlrev_b32_e32 v3, 8, v3
	v_lshl_add_u32 v19, v31, 10, 0x2000
	v_lshlrev_b32_e32 v30, 7, v30
	v_and_b32_e32 v3, 0x8000, v3
	v_and_b32_e32 v19, 0xfc00, v19
	v_or3_b32 v30, v3, v19, v30
.LBB259_964:                            ;   in Loop: Header=BB259_809 Depth=1
	s_or_b32 exec_lo, exec_lo, s22
.LBB259_965:                            ;   in Loop: Header=BB259_809 Depth=1
	s_or_b32 exec_lo, exec_lo, s21
.LBB259_966:                            ;   in Loop: Header=BB259_809 Depth=1
	s_or_b32 exec_lo, exec_lo, s20
	s_mov_b32 s20, exec_lo
	v_cmpx_lt_u32_e32 0xffffff, v11
	s_cbranch_execz .LBB259_974
; %bb.967:                              ;   in Loop: Header=BB259_809 Depth=1
	v_lshrrev_b32_e32 v3, 24, v11
	v_bfrev_b32_e32 v29, 1
	s_mov_b32 s21, exec_lo
	v_cmpx_ne_u32_e32 0x80, v3
	s_cbranch_execz .LBB259_973
; %bb.968:                              ;   in Loop: Header=BB259_809 Depth=1
	v_and_b32_e32 v34, 0x7f, v3
	v_mov_b32_e32 v29, 0x7c010000
	s_mov_b32 s22, exec_lo
	v_cmpx_ne_u32_e32 0x7f, v34
	s_cbranch_execz .LBB259_972
; %bb.969:                              ;   in Loop: Header=BB259_809 Depth=1
	v_and_b32_e32 v29, 7, v3
	v_lshrrev_b32_e32 v31, 3, v34
	s_mov_b32 s23, exec_lo
	v_cmpx_gt_u32_e32 8, v34
; %bb.970:                              ;   in Loop: Header=BB259_809 Depth=1
	v_ffbh_u32_e32 v19, v29
	v_min_u32_e32 v19, 32, v19
	v_subrev_nc_u32_e32 v29, 28, v19
	v_sub_nc_u32_e32 v31, 29, v19
	v_lshlrev_b64 v[99:100], v29, v[3:4]
	v_and_b32_e32 v29, 7, v99
; %bb.971:                              ;   in Loop: Header=BB259_809 Depth=1
	s_or_b32 exec_lo, exec_lo, s23
	v_lshlrev_b32_e32 v3, 8, v3
	v_lshl_add_u32 v19, v31, 10, 0x2000
	v_and_or_b32 v3, 0x8000, v3, v19
	v_lshlrev_b32_e32 v19, 23, v29
	v_lshl_or_b32 v29, v3, 16, v19
.LBB259_972:                            ;   in Loop: Header=BB259_809 Depth=1
	s_or_b32 exec_lo, exec_lo, s22
.LBB259_973:                            ;   in Loop: Header=BB259_809 Depth=1
	s_or_b32 exec_lo, exec_lo, s21
.LBB259_974:                            ;   in Loop: Header=BB259_809 Depth=1
	s_or_b32 exec_lo, exec_lo, s20
	v_mov_b32_e32 v3, v12
	v_cmp_ne_u16_sdwa s4, v12, v4 src0_sel:BYTE_0 src1_sel:DWORD
	v_mov_b32_e32 v31, 0
	v_mov_b32_e32 v34, 0
	s_and_saveexec_b32 s20, s4
	s_cbranch_execz .LBB259_982
; %bb.975:                              ;   in Loop: Header=BB259_809 Depth=1
	v_cmp_ne_u16_sdwa s4, v12, v48 src0_sel:BYTE_0 src1_sel:DWORD
	v_mov_b32_e32 v34, 0x8000
	s_and_saveexec_b32 s21, s4
	s_cbranch_execz .LBB259_981
; %bb.976:                              ;   in Loop: Header=BB259_809 Depth=1
	v_and_b32_e32 v100, 0x7f, v12
	v_mov_b32_e32 v34, 0x7c01
	s_mov_b32 s22, exec_lo
	v_cmpx_ne_u32_e32 0x7f, v100
	s_cbranch_execz .LBB259_980
; %bb.977:                              ;   in Loop: Header=BB259_809 Depth=1
	v_and_b32_e32 v34, 7, v12
	v_lshrrev_b32_e32 v99, 3, v100
	s_mov_b32 s23, exec_lo
	v_cmpx_gt_u32_e32 8, v100
; %bb.978:                              ;   in Loop: Header=BB259_809 Depth=1
	v_ffbh_u32_e32 v19, v34
	v_min_u32_e32 v19, 32, v19
	v_subrev_nc_u32_e32 v34, 28, v19
	v_sub_nc_u32_e32 v99, 29, v19
	v_lshlrev_b64 v[100:101], v34, v[3:4]
	v_and_b32_e32 v34, 7, v100
; %bb.979:                              ;   in Loop: Header=BB259_809 Depth=1
	s_or_b32 exec_lo, exec_lo, s23
	v_lshlrev_b32_e32 v19, 8, v12
	v_lshl_add_u32 v99, v99, 10, 0x2000
	v_lshlrev_b32_e32 v34, 7, v34
	v_and_b32_e32 v19, 0x8000, v19
	v_and_b32_e32 v99, 0xfc00, v99
	v_or3_b32 v34, v19, v99, v34
.LBB259_980:                            ;   in Loop: Header=BB259_809 Depth=1
	s_or_b32 exec_lo, exec_lo, s22
.LBB259_981:                            ;   in Loop: Header=BB259_809 Depth=1
	s_or_b32 exec_lo, exec_lo, s21
.LBB259_982:                            ;   in Loop: Header=BB259_809 Depth=1
	s_or_b32 exec_lo, exec_lo, s20
	v_lshrrev_b16 v3, 8, v3
	v_mov_b32_e32 v99, 0
	s_mov_b32 s20, exec_lo
	v_cmpx_ne_u16_e32 0, v3
	s_cbranch_execz .LBB259_990
; %bb.983:                              ;   in Loop: Header=BB259_809 Depth=1
	v_bfrev_b32_e32 v99, 1
	s_mov_b32 s21, exec_lo
	v_cmpx_ne_u16_e32 0x80, v3
	s_cbranch_execz .LBB259_989
; %bb.984:                              ;   in Loop: Header=BB259_809 Depth=1
	v_and_b32_sdwa v101, v3, v50 dst_sel:DWORD dst_unused:UNUSED_PAD src0_sel:WORD_0 src1_sel:DWORD
	v_mov_b32_e32 v99, 0x7c010000
	s_mov_b32 s22, exec_lo
	v_cmpx_ne_u32_e32 0x7f, v101
	s_cbranch_execz .LBB259_988
; %bb.985:                              ;   in Loop: Header=BB259_809 Depth=1
	v_and_b32_sdwa v99, v3, v55 dst_sel:DWORD dst_unused:UNUSED_PAD src0_sel:WORD_0 src1_sel:DWORD
	v_lshrrev_b32_e32 v100, 3, v101
	s_mov_b32 s23, exec_lo
	v_cmpx_gt_u32_e32 8, v101
; %bb.986:                              ;   in Loop: Header=BB259_809 Depth=1
	v_ffbh_u32_e32 v19, v99
	v_min_u32_e32 v19, 32, v19
	v_subrev_nc_u32_e32 v99, 28, v19
	v_lshlrev_b64 v[99:100], v99, v[3:4]
	v_sub_nc_u32_e32 v100, 29, v19
	v_and_b32_e32 v99, 7, v99
; %bb.987:                              ;   in Loop: Header=BB259_809 Depth=1
	s_or_b32 exec_lo, exec_lo, s23
	v_lshlrev_b32_sdwa v3, v64, v3 dst_sel:DWORD dst_unused:UNUSED_PAD src0_sel:DWORD src1_sel:WORD_0
	v_lshl_add_u32 v19, v100, 10, 0x2000
	v_and_or_b32 v3, 0x8000, v3, v19
	v_lshlrev_b32_e32 v19, 23, v99
	v_lshl_or_b32 v99, v3, 16, v19
.LBB259_988:                            ;   in Loop: Header=BB259_809 Depth=1
	s_or_b32 exec_lo, exec_lo, s22
.LBB259_989:                            ;   in Loop: Header=BB259_809 Depth=1
	s_or_b32 exec_lo, exec_lo, s21
.LBB259_990:                            ;   in Loop: Header=BB259_809 Depth=1
	s_or_b32 exec_lo, exec_lo, s20
	v_lshrrev_b32_e32 v3, 16, v12
	v_cmp_ne_u16_sdwa s4, v3, v4 src0_sel:BYTE_0 src1_sel:DWORD
	s_and_saveexec_b32 s20, s4
	s_cbranch_execz .LBB259_998
; %bb.991:                              ;   in Loop: Header=BB259_809 Depth=1
	v_cmp_ne_u16_sdwa s4, v3, v48 src0_sel:BYTE_0 src1_sel:DWORD
	v_mov_b32_e32 v31, 0x8000
	s_and_saveexec_b32 s21, s4
	s_cbranch_execz .LBB259_997
; %bb.992:                              ;   in Loop: Header=BB259_809 Depth=1
	v_bfe_u32 v101, v12, 16, 7
	v_mov_b32_e32 v31, 0x7c01
	s_mov_b32 s22, exec_lo
	v_cmpx_ne_u32_e32 0x7f, v101
	s_cbranch_execz .LBB259_996
; %bb.993:                              ;   in Loop: Header=BB259_809 Depth=1
	v_and_b32_e32 v31, 7, v3
	v_lshrrev_b32_e32 v100, 3, v101
	s_mov_b32 s23, exec_lo
	v_cmpx_gt_u32_e32 8, v101
; %bb.994:                              ;   in Loop: Header=BB259_809 Depth=1
	v_ffbh_u32_e32 v19, v31
	v_min_u32_e32 v19, 32, v19
	v_subrev_nc_u32_e32 v31, 28, v19
	v_sub_nc_u32_e32 v100, 29, v19
	v_lshlrev_b64 v[101:102], v31, v[3:4]
	v_and_b32_e32 v31, 7, v101
; %bb.995:                              ;   in Loop: Header=BB259_809 Depth=1
	s_or_b32 exec_lo, exec_lo, s23
	v_lshlrev_b32_e32 v3, 8, v3
	v_lshl_add_u32 v19, v100, 10, 0x2000
	v_lshlrev_b32_e32 v31, 7, v31
	v_and_b32_e32 v3, 0x8000, v3
	v_and_b32_e32 v19, 0xfc00, v19
	v_or3_b32 v31, v3, v19, v31
.LBB259_996:                            ;   in Loop: Header=BB259_809 Depth=1
	s_or_b32 exec_lo, exec_lo, s22
.LBB259_997:                            ;   in Loop: Header=BB259_809 Depth=1
	s_or_b32 exec_lo, exec_lo, s21
.LBB259_998:                            ;   in Loop: Header=BB259_809 Depth=1
	s_or_b32 exec_lo, exec_lo, s20
	v_cmp_lt_u64_e64 s4, s[6:7], v[11:12]
	v_mov_b32_e32 v11, 0
	s_and_saveexec_b32 s20, s4
	s_cbranch_execz .LBB259_1006
; %bb.999:                              ;   in Loop: Header=BB259_809 Depth=1
	v_lshrrev_b32_e32 v3, 24, v12
	v_bfrev_b32_e32 v11, 1
	s_mov_b32 s21, exec_lo
	v_cmpx_ne_u32_e32 0x80, v3
	s_cbranch_execz .LBB259_1005
; %bb.1000:                             ;   in Loop: Header=BB259_809 Depth=1
	v_and_b32_e32 v100, 0x7f, v3
	v_mov_b32_e32 v11, 0x7c010000
	s_mov_b32 s22, exec_lo
	v_cmpx_ne_u32_e32 0x7f, v100
	s_cbranch_execz .LBB259_1004
; %bb.1001:                             ;   in Loop: Header=BB259_809 Depth=1
	v_and_b32_e32 v11, 7, v3
	v_lshrrev_b32_e32 v12, 3, v100
	s_mov_b32 s23, exec_lo
	v_cmpx_gt_u32_e32 8, v100
; %bb.1002:                             ;   in Loop: Header=BB259_809 Depth=1
	v_ffbh_u32_e32 v11, v11
	v_min_u32_e32 v19, 32, v11
	v_subrev_nc_u32_e32 v11, 28, v19
	v_lshlrev_b64 v[11:12], v11, v[3:4]
	v_sub_nc_u32_e32 v12, 29, v19
	v_and_b32_e32 v11, 7, v11
; %bb.1003:                             ;   in Loop: Header=BB259_809 Depth=1
	s_or_b32 exec_lo, exec_lo, s23
	v_lshlrev_b32_e32 v3, 8, v3
	v_lshl_add_u32 v12, v12, 10, 0x2000
	v_lshlrev_b32_e32 v11, 23, v11
	v_and_or_b32 v3, 0x8000, v3, v12
	v_lshl_or_b32 v11, v3, 16, v11
.LBB259_1004:                           ;   in Loop: Header=BB259_809 Depth=1
	s_or_b32 exec_lo, exec_lo, s22
.LBB259_1005:                           ;   in Loop: Header=BB259_809 Depth=1
	s_or_b32 exec_lo, exec_lo, s21
.LBB259_1006:                           ;   in Loop: Header=BB259_809 Depth=1
	s_or_b32 exec_lo, exec_lo, s20
	v_or_b32_e32 v3, v29, v30
	s_waitcnt vmcnt(0) lgkmcnt(0)
	v_fma_mixlo_f16 v12, v0, v29, 0 op_sel:[0,1,0] op_sel_hi:[0,1,0]
	v_or_b32_e32 v19, v1, v18
	v_or_b32_e32 v29, v99, v34
	;; [unrolled: 1-line block ×3, first 2 shown]
	v_fma_mixlo_f16 v18, v0, v1, 0 op_sel:[0,1,0] op_sel_hi:[0,1,0]
	v_fma_mixlo_f16 v3, v0, v3, 0 op_sel_hi:[0,1,0]
	v_lshlrev_b32_e32 v1, 16, v12
	v_fma_mixlo_f16 v12, v0, v19, 0 op_sel_hi:[0,1,0]
	v_fma_mixlo_f16 v19, v0, v99, 0 op_sel:[0,1,0] op_sel_hi:[0,1,0]
	v_fma_mixlo_f16 v29, v0, v29, 0 op_sel_hi:[0,1,0]
	v_fma_mixlo_f16 v31, v0, v11, 0 op_sel:[0,1,0] op_sel_hi:[0,1,0]
	v_fma_mixlo_f16 v34, v0, v30, 0 op_sel_hi:[0,1,0]
	v_lshlrev_b32_e32 v18, 16, v18
	v_and_b32_e32 v3, 0xffff, v3
	v_and_b32_e32 v100, 0xffff, v12
	v_lshlrev_b32_e32 v11, 16, v19
	v_and_b32_e32 v30, 0xffff, v29
	v_lshlrev_b32_e32 v0, 16, v31
	v_and_b32_e32 v12, 0xffff, v34
	v_or_b32_e32 v29, v1, v3
	v_or_b32_e32 v99, v18, v100
	;; [unrolled: 1-line block ×4, first 2 shown]
	s_and_saveexec_b32 s20, vcc_lo
	s_cbranch_execz .LBB259_1008
; %bb.1007:                             ;   in Loop: Header=BB259_809 Depth=1
	v_cmp_lt_i32_e64 s4, v67, v32
	v_cndmask_b32_e64 v19, 0, v100, s4
	v_cmp_lt_i32_e64 s4, v96, v32
	v_cndmask_b32_e64 v18, 0, v18, s4
	v_cmp_lt_i32_e64 s4, v87, v32
	v_or_b32_e32 v99, v19, v18
	v_cndmask_b32_e64 v3, 0, v3, s4
	v_cmp_lt_i32_e64 s4, v86, v32
	v_cndmask_b32_e64 v1, 0, v1, s4
	v_cmp_lt_i32_e64 s4, v84, v32
	v_or_b32_e32 v29, v3, v1
	;; [unrolled: 5-line block ×3, first 2 shown]
	v_cndmask_b32_e64 v12, 0, v12, s4
	v_cmp_lt_i32_e64 s4, v71, v32
	v_cndmask_b32_e64 v0, 0, v0, s4
	v_or_b32_e32 v31, v12, v0
.LBB259_1008:                           ;   in Loop: Header=BB259_809 Depth=1
	s_or_b32 exec_lo, exec_lo, s20
	;;#ASMSTART
	v_pk_mul_f16 v0, v85, v99;

	;;#ASMEND
	;;#ASMSTART
	v_pk_mul_f16 v1, v82, v29;

	;;#ASMEND
	;; [unrolled: 4-line block ×4, first 2 shown]
	;;#ASMSTART
	v_pk_add_f16 v0, v0, v1;

	;;#ASMEND
	;;#ASMSTART
	v_pk_add_f16 v0, v0, v3;

	;;#ASMEND
	;; [unrolled: 4-line block ×3, first 2 shown]
	v_and_b32_e32 v1, 0xffff, v0
	v_lshrrev_b32_e32 v0, 16, v0
	;;#ASMSTART
	v_cvt_f32_f16 v99, v1;
	;;#ASMEND
	;;#ASMSTART
	v_cvt_f32_f16 v100, v0;
	;;#ASMEND
	flat_load_dwordx2 v[11:12], v[9:10] offset:768
	flat_load_dword v0, v[22:23]
	v_mov_b32_e32 v1, 0
	v_mov_b32_e32 v18, 0
	s_waitcnt vmcnt(1) lgkmcnt(1)
	v_cmp_ne_u16_sdwa s4, v11, v4 src0_sel:BYTE_0 src1_sel:DWORD
	s_and_saveexec_b32 s20, s4
	s_cbranch_execz .LBB259_1016
; %bb.1009:                             ;   in Loop: Header=BB259_809 Depth=1
	v_cmp_ne_u16_sdwa s4, v11, v48 src0_sel:BYTE_0 src1_sel:DWORD
	v_mov_b32_e32 v18, 0x8000
	s_and_saveexec_b32 s21, s4
	s_cbranch_execz .LBB259_1015
; %bb.1010:                             ;   in Loop: Header=BB259_809 Depth=1
	v_and_b32_e32 v29, 0x7f, v11
	v_mov_b32_e32 v18, 0x7c01
	s_mov_b32 s22, exec_lo
	v_cmpx_ne_u32_e32 0x7f, v29
	s_cbranch_execz .LBB259_1014
; %bb.1011:                             ;   in Loop: Header=BB259_809 Depth=1
	v_and_b32_e32 v3, 7, v11
	v_lshrrev_b32_e32 v18, 3, v29
	s_mov_b32 s23, exec_lo
	v_cmpx_gt_u32_e32 8, v29
; %bb.1012:                             ;   in Loop: Header=BB259_809 Depth=1
	v_ffbh_u32_e32 v3, v3
	v_min_u32_e32 v3, 32, v3
	v_subrev_nc_u32_e32 v18, 28, v3
	v_lshlrev_b64 v[29:30], v18, v[11:12]
	v_sub_nc_u32_e32 v18, 29, v3
	v_and_b32_e32 v3, 7, v29
; %bb.1013:                             ;   in Loop: Header=BB259_809 Depth=1
	s_or_b32 exec_lo, exec_lo, s23
	v_lshlrev_b32_e32 v19, 8, v11
	v_lshl_add_u32 v18, v18, 10, 0x2000
	v_lshlrev_b32_e32 v3, 7, v3
	v_and_b32_e32 v19, 0x8000, v19
	v_and_b32_e32 v18, 0xfc00, v18
	v_or3_b32 v18, v19, v18, v3
.LBB259_1014:                           ;   in Loop: Header=BB259_809 Depth=1
	s_or_b32 exec_lo, exec_lo, s22
.LBB259_1015:                           ;   in Loop: Header=BB259_809 Depth=1
	s_or_b32 exec_lo, exec_lo, s21
.LBB259_1016:                           ;   in Loop: Header=BB259_809 Depth=1
	s_or_b32 exec_lo, exec_lo, s20
	v_lshrrev_b16 v3, 8, v11
	s_mov_b32 s20, exec_lo
	v_cmpx_ne_u16_e32 0, v3
	s_cbranch_execz .LBB259_1024
; %bb.1017:                             ;   in Loop: Header=BB259_809 Depth=1
	v_bfrev_b32_e32 v1, 1
	s_mov_b32 s21, exec_lo
	v_cmpx_ne_u16_e32 0x80, v3
	s_cbranch_execz .LBB259_1023
; %bb.1018:                             ;   in Loop: Header=BB259_809 Depth=1
	v_and_b32_sdwa v30, v3, v50 dst_sel:DWORD dst_unused:UNUSED_PAD src0_sel:WORD_0 src1_sel:DWORD
	v_mov_b32_e32 v1, 0x7c010000
	s_mov_b32 s22, exec_lo
	v_cmpx_ne_u32_e32 0x7f, v30
	s_cbranch_execz .LBB259_1022
; %bb.1019:                             ;   in Loop: Header=BB259_809 Depth=1
	v_and_b32_sdwa v1, v3, v55 dst_sel:DWORD dst_unused:UNUSED_PAD src0_sel:WORD_0 src1_sel:DWORD
	v_lshrrev_b32_e32 v29, 3, v30
	s_mov_b32 s23, exec_lo
	v_cmpx_gt_u32_e32 8, v30
; %bb.1020:                             ;   in Loop: Header=BB259_809 Depth=1
	v_ffbh_u32_e32 v1, v1
	v_min_u32_e32 v1, 32, v1
	v_subrev_nc_u32_e32 v19, 28, v1
	v_sub_nc_u32_e32 v29, 29, v1
	v_lshlrev_b64 v[30:31], v19, v[3:4]
	v_and_b32_e32 v1, 7, v30
; %bb.1021:                             ;   in Loop: Header=BB259_809 Depth=1
	s_or_b32 exec_lo, exec_lo, s23
	v_lshlrev_b32_sdwa v3, v64, v3 dst_sel:DWORD dst_unused:UNUSED_PAD src0_sel:DWORD src1_sel:WORD_0
	v_lshl_add_u32 v19, v29, 10, 0x2000
	v_lshlrev_b32_e32 v1, 23, v1
	v_and_or_b32 v3, 0x8000, v3, v19
	v_lshl_or_b32 v1, v3, 16, v1
.LBB259_1022:                           ;   in Loop: Header=BB259_809 Depth=1
	s_or_b32 exec_lo, exec_lo, s22
.LBB259_1023:                           ;   in Loop: Header=BB259_809 Depth=1
	s_or_b32 exec_lo, exec_lo, s21
.LBB259_1024:                           ;   in Loop: Header=BB259_809 Depth=1
	s_or_b32 exec_lo, exec_lo, s20
	v_lshrrev_b32_e32 v3, 16, v11
	v_mov_b32_e32 v29, 0
	v_mov_b32_e32 v30, 0
	v_cmp_ne_u16_sdwa s4, v3, v4 src0_sel:BYTE_0 src1_sel:DWORD
	s_and_saveexec_b32 s20, s4
	s_cbranch_execz .LBB259_1032
; %bb.1025:                             ;   in Loop: Header=BB259_809 Depth=1
	v_cmp_ne_u16_sdwa s4, v3, v48 src0_sel:BYTE_0 src1_sel:DWORD
	v_mov_b32_e32 v30, 0x8000
	s_and_saveexec_b32 s21, s4
	s_cbranch_execz .LBB259_1031
; %bb.1026:                             ;   in Loop: Header=BB259_809 Depth=1
	v_bfe_u32 v34, v11, 16, 7
	v_mov_b32_e32 v30, 0x7c01
	s_mov_b32 s22, exec_lo
	v_cmpx_ne_u32_e32 0x7f, v34
	s_cbranch_execz .LBB259_1030
; %bb.1027:                             ;   in Loop: Header=BB259_809 Depth=1
	v_and_b32_e32 v30, 7, v3
	v_lshrrev_b32_e32 v31, 3, v34
	s_mov_b32 s23, exec_lo
	v_cmpx_gt_u32_e32 8, v34
; %bb.1028:                             ;   in Loop: Header=BB259_809 Depth=1
	v_ffbh_u32_e32 v19, v30
	v_min_u32_e32 v19, 32, v19
	v_subrev_nc_u32_e32 v30, 28, v19
	v_lshlrev_b64 v[30:31], v30, v[3:4]
	v_sub_nc_u32_e32 v31, 29, v19
	v_and_b32_e32 v30, 7, v30
; %bb.1029:                             ;   in Loop: Header=BB259_809 Depth=1
	s_or_b32 exec_lo, exec_lo, s23
	v_lshlrev_b32_e32 v3, 8, v3
	v_lshl_add_u32 v19, v31, 10, 0x2000
	v_lshlrev_b32_e32 v30, 7, v30
	v_and_b32_e32 v3, 0x8000, v3
	v_and_b32_e32 v19, 0xfc00, v19
	v_or3_b32 v30, v3, v19, v30
.LBB259_1030:                           ;   in Loop: Header=BB259_809 Depth=1
	s_or_b32 exec_lo, exec_lo, s22
.LBB259_1031:                           ;   in Loop: Header=BB259_809 Depth=1
	s_or_b32 exec_lo, exec_lo, s21
.LBB259_1032:                           ;   in Loop: Header=BB259_809 Depth=1
	s_or_b32 exec_lo, exec_lo, s20
	s_mov_b32 s20, exec_lo
	v_cmpx_lt_u32_e32 0xffffff, v11
	s_cbranch_execz .LBB259_1040
; %bb.1033:                             ;   in Loop: Header=BB259_809 Depth=1
	v_lshrrev_b32_e32 v3, 24, v11
	v_bfrev_b32_e32 v29, 1
	s_mov_b32 s21, exec_lo
	v_cmpx_ne_u32_e32 0x80, v3
	s_cbranch_execz .LBB259_1039
; %bb.1034:                             ;   in Loop: Header=BB259_809 Depth=1
	v_and_b32_e32 v34, 0x7f, v3
	v_mov_b32_e32 v29, 0x7c010000
	s_mov_b32 s22, exec_lo
	v_cmpx_ne_u32_e32 0x7f, v34
	s_cbranch_execz .LBB259_1038
; %bb.1035:                             ;   in Loop: Header=BB259_809 Depth=1
	v_and_b32_e32 v29, 7, v3
	v_lshrrev_b32_e32 v31, 3, v34
	s_mov_b32 s23, exec_lo
	v_cmpx_gt_u32_e32 8, v34
; %bb.1036:                             ;   in Loop: Header=BB259_809 Depth=1
	v_ffbh_u32_e32 v19, v29
	v_min_u32_e32 v19, 32, v19
	v_subrev_nc_u32_e32 v29, 28, v19
	v_sub_nc_u32_e32 v31, 29, v19
	v_lshlrev_b64 v[101:102], v29, v[3:4]
	v_and_b32_e32 v29, 7, v101
; %bb.1037:                             ;   in Loop: Header=BB259_809 Depth=1
	s_or_b32 exec_lo, exec_lo, s23
	v_lshlrev_b32_e32 v3, 8, v3
	v_lshl_add_u32 v19, v31, 10, 0x2000
	v_and_or_b32 v3, 0x8000, v3, v19
	v_lshlrev_b32_e32 v19, 23, v29
	v_lshl_or_b32 v29, v3, 16, v19
.LBB259_1038:                           ;   in Loop: Header=BB259_809 Depth=1
	s_or_b32 exec_lo, exec_lo, s22
.LBB259_1039:                           ;   in Loop: Header=BB259_809 Depth=1
	s_or_b32 exec_lo, exec_lo, s21
.LBB259_1040:                           ;   in Loop: Header=BB259_809 Depth=1
	s_or_b32 exec_lo, exec_lo, s20
	v_mov_b32_e32 v3, v12
	v_cmp_ne_u16_sdwa s4, v12, v4 src0_sel:BYTE_0 src1_sel:DWORD
	v_mov_b32_e32 v31, 0
	v_mov_b32_e32 v34, 0
	s_and_saveexec_b32 s20, s4
	s_cbranch_execz .LBB259_1048
; %bb.1041:                             ;   in Loop: Header=BB259_809 Depth=1
	v_cmp_ne_u16_sdwa s4, v12, v48 src0_sel:BYTE_0 src1_sel:DWORD
	v_mov_b32_e32 v34, 0x8000
	s_and_saveexec_b32 s21, s4
	s_cbranch_execz .LBB259_1047
; %bb.1042:                             ;   in Loop: Header=BB259_809 Depth=1
	v_and_b32_e32 v102, 0x7f, v12
	v_mov_b32_e32 v34, 0x7c01
	s_mov_b32 s22, exec_lo
	v_cmpx_ne_u32_e32 0x7f, v102
	s_cbranch_execz .LBB259_1046
; %bb.1043:                             ;   in Loop: Header=BB259_809 Depth=1
	v_and_b32_e32 v34, 7, v12
	v_lshrrev_b32_e32 v101, 3, v102
	s_mov_b32 s23, exec_lo
	v_cmpx_gt_u32_e32 8, v102
; %bb.1044:                             ;   in Loop: Header=BB259_809 Depth=1
	v_ffbh_u32_e32 v19, v34
	v_min_u32_e32 v19, 32, v19
	v_subrev_nc_u32_e32 v34, 28, v19
	v_sub_nc_u32_e32 v101, 29, v19
	v_lshlrev_b64 v[102:103], v34, v[3:4]
	v_and_b32_e32 v34, 7, v102
; %bb.1045:                             ;   in Loop: Header=BB259_809 Depth=1
	s_or_b32 exec_lo, exec_lo, s23
	v_lshlrev_b32_e32 v19, 8, v12
	v_lshl_add_u32 v101, v101, 10, 0x2000
	v_lshlrev_b32_e32 v34, 7, v34
	v_and_b32_e32 v19, 0x8000, v19
	v_and_b32_e32 v101, 0xfc00, v101
	v_or3_b32 v34, v19, v101, v34
.LBB259_1046:                           ;   in Loop: Header=BB259_809 Depth=1
	s_or_b32 exec_lo, exec_lo, s22
.LBB259_1047:                           ;   in Loop: Header=BB259_809 Depth=1
	s_or_b32 exec_lo, exec_lo, s21
.LBB259_1048:                           ;   in Loop: Header=BB259_809 Depth=1
	s_or_b32 exec_lo, exec_lo, s20
	v_lshrrev_b16 v3, 8, v3
	v_mov_b32_e32 v101, 0
	s_mov_b32 s20, exec_lo
	v_cmpx_ne_u16_e32 0, v3
	s_cbranch_execz .LBB259_1056
; %bb.1049:                             ;   in Loop: Header=BB259_809 Depth=1
	v_bfrev_b32_e32 v101, 1
	s_mov_b32 s21, exec_lo
	v_cmpx_ne_u16_e32 0x80, v3
	s_cbranch_execz .LBB259_1055
; %bb.1050:                             ;   in Loop: Header=BB259_809 Depth=1
	v_and_b32_sdwa v103, v3, v50 dst_sel:DWORD dst_unused:UNUSED_PAD src0_sel:WORD_0 src1_sel:DWORD
	v_mov_b32_e32 v101, 0x7c010000
	s_mov_b32 s22, exec_lo
	v_cmpx_ne_u32_e32 0x7f, v103
	s_cbranch_execz .LBB259_1054
; %bb.1051:                             ;   in Loop: Header=BB259_809 Depth=1
	v_and_b32_sdwa v101, v3, v55 dst_sel:DWORD dst_unused:UNUSED_PAD src0_sel:WORD_0 src1_sel:DWORD
	v_lshrrev_b32_e32 v102, 3, v103
	s_mov_b32 s23, exec_lo
	v_cmpx_gt_u32_e32 8, v103
; %bb.1052:                             ;   in Loop: Header=BB259_809 Depth=1
	v_ffbh_u32_e32 v19, v101
	v_min_u32_e32 v19, 32, v19
	v_subrev_nc_u32_e32 v101, 28, v19
	v_lshlrev_b64 v[101:102], v101, v[3:4]
	v_sub_nc_u32_e32 v102, 29, v19
	v_and_b32_e32 v101, 7, v101
; %bb.1053:                             ;   in Loop: Header=BB259_809 Depth=1
	s_or_b32 exec_lo, exec_lo, s23
	v_lshlrev_b32_sdwa v3, v64, v3 dst_sel:DWORD dst_unused:UNUSED_PAD src0_sel:DWORD src1_sel:WORD_0
	v_lshl_add_u32 v19, v102, 10, 0x2000
	v_and_or_b32 v3, 0x8000, v3, v19
	v_lshlrev_b32_e32 v19, 23, v101
	v_lshl_or_b32 v101, v3, 16, v19
.LBB259_1054:                           ;   in Loop: Header=BB259_809 Depth=1
	s_or_b32 exec_lo, exec_lo, s22
.LBB259_1055:                           ;   in Loop: Header=BB259_809 Depth=1
	s_or_b32 exec_lo, exec_lo, s21
.LBB259_1056:                           ;   in Loop: Header=BB259_809 Depth=1
	s_or_b32 exec_lo, exec_lo, s20
	v_lshrrev_b32_e32 v3, 16, v12
	v_cmp_ne_u16_sdwa s4, v3, v4 src0_sel:BYTE_0 src1_sel:DWORD
	s_and_saveexec_b32 s20, s4
	s_cbranch_execz .LBB259_1064
; %bb.1057:                             ;   in Loop: Header=BB259_809 Depth=1
	v_cmp_ne_u16_sdwa s4, v3, v48 src0_sel:BYTE_0 src1_sel:DWORD
	v_mov_b32_e32 v31, 0x8000
	s_and_saveexec_b32 s21, s4
	s_cbranch_execz .LBB259_1063
; %bb.1058:                             ;   in Loop: Header=BB259_809 Depth=1
	v_bfe_u32 v103, v12, 16, 7
	v_mov_b32_e32 v31, 0x7c01
	s_mov_b32 s22, exec_lo
	v_cmpx_ne_u32_e32 0x7f, v103
	s_cbranch_execz .LBB259_1062
; %bb.1059:                             ;   in Loop: Header=BB259_809 Depth=1
	v_and_b32_e32 v31, 7, v3
	v_lshrrev_b32_e32 v102, 3, v103
	s_mov_b32 s23, exec_lo
	v_cmpx_gt_u32_e32 8, v103
; %bb.1060:                             ;   in Loop: Header=BB259_809 Depth=1
	v_ffbh_u32_e32 v19, v31
	v_min_u32_e32 v19, 32, v19
	v_subrev_nc_u32_e32 v31, 28, v19
	v_sub_nc_u32_e32 v102, 29, v19
	v_lshlrev_b64 v[112:113], v31, v[3:4]
	v_and_b32_e32 v31, 7, v112
; %bb.1061:                             ;   in Loop: Header=BB259_809 Depth=1
	s_or_b32 exec_lo, exec_lo, s23
	v_lshlrev_b32_e32 v3, 8, v3
	v_lshl_add_u32 v19, v102, 10, 0x2000
	v_lshlrev_b32_e32 v31, 7, v31
	v_and_b32_e32 v3, 0x8000, v3
	v_and_b32_e32 v19, 0xfc00, v19
	v_or3_b32 v31, v3, v19, v31
.LBB259_1062:                           ;   in Loop: Header=BB259_809 Depth=1
	s_or_b32 exec_lo, exec_lo, s22
.LBB259_1063:                           ;   in Loop: Header=BB259_809 Depth=1
	s_or_b32 exec_lo, exec_lo, s21
.LBB259_1064:                           ;   in Loop: Header=BB259_809 Depth=1
	s_or_b32 exec_lo, exec_lo, s20
	v_cmp_lt_u64_e64 s4, s[6:7], v[11:12]
	v_mov_b32_e32 v11, 0
	s_and_saveexec_b32 s20, s4
	s_cbranch_execz .LBB259_1072
; %bb.1065:                             ;   in Loop: Header=BB259_809 Depth=1
	v_lshrrev_b32_e32 v3, 24, v12
	v_bfrev_b32_e32 v11, 1
	s_mov_b32 s21, exec_lo
	v_cmpx_ne_u32_e32 0x80, v3
	s_cbranch_execz .LBB259_1071
; %bb.1066:                             ;   in Loop: Header=BB259_809 Depth=1
	v_and_b32_e32 v102, 0x7f, v3
	v_mov_b32_e32 v11, 0x7c010000
	s_mov_b32 s22, exec_lo
	v_cmpx_ne_u32_e32 0x7f, v102
	s_cbranch_execz .LBB259_1070
; %bb.1067:                             ;   in Loop: Header=BB259_809 Depth=1
	v_and_b32_e32 v11, 7, v3
	v_lshrrev_b32_e32 v12, 3, v102
	s_mov_b32 s23, exec_lo
	v_cmpx_gt_u32_e32 8, v102
; %bb.1068:                             ;   in Loop: Header=BB259_809 Depth=1
	v_ffbh_u32_e32 v11, v11
	v_min_u32_e32 v19, 32, v11
	v_subrev_nc_u32_e32 v11, 28, v19
	v_lshlrev_b64 v[11:12], v11, v[3:4]
	v_sub_nc_u32_e32 v12, 29, v19
	v_and_b32_e32 v11, 7, v11
; %bb.1069:                             ;   in Loop: Header=BB259_809 Depth=1
	s_or_b32 exec_lo, exec_lo, s23
	v_lshlrev_b32_e32 v3, 8, v3
	v_lshl_add_u32 v12, v12, 10, 0x2000
	v_lshlrev_b32_e32 v11, 23, v11
	v_and_or_b32 v3, 0x8000, v3, v12
	v_lshl_or_b32 v11, v3, 16, v11
.LBB259_1070:                           ;   in Loop: Header=BB259_809 Depth=1
	s_or_b32 exec_lo, exec_lo, s22
.LBB259_1071:                           ;   in Loop: Header=BB259_809 Depth=1
	s_or_b32 exec_lo, exec_lo, s21
.LBB259_1072:                           ;   in Loop: Header=BB259_809 Depth=1
	s_or_b32 exec_lo, exec_lo, s20
	v_or_b32_e32 v3, v29, v30
	s_waitcnt vmcnt(0) lgkmcnt(0)
	v_fma_mixlo_f16 v12, v0, v29, 0 op_sel:[0,1,0] op_sel_hi:[0,1,0]
	v_or_b32_e32 v19, v1, v18
	v_or_b32_e32 v29, v101, v34
	;; [unrolled: 1-line block ×3, first 2 shown]
	v_fma_mixlo_f16 v18, v0, v1, 0 op_sel:[0,1,0] op_sel_hi:[0,1,0]
	v_fma_mixlo_f16 v3, v0, v3, 0 op_sel_hi:[0,1,0]
	v_lshlrev_b32_e32 v1, 16, v12
	v_fma_mixlo_f16 v12, v0, v19, 0 op_sel_hi:[0,1,0]
	v_fma_mixlo_f16 v19, v0, v101, 0 op_sel:[0,1,0] op_sel_hi:[0,1,0]
	v_fma_mixlo_f16 v29, v0, v29, 0 op_sel_hi:[0,1,0]
	v_fma_mixlo_f16 v31, v0, v11, 0 op_sel:[0,1,0] op_sel_hi:[0,1,0]
	v_fma_mixlo_f16 v34, v0, v30, 0 op_sel_hi:[0,1,0]
	v_lshlrev_b32_e32 v18, 16, v18
	v_and_b32_e32 v3, 0xffff, v3
	v_and_b32_e32 v102, 0xffff, v12
	v_lshlrev_b32_e32 v11, 16, v19
	v_and_b32_e32 v30, 0xffff, v29
	v_lshlrev_b32_e32 v0, 16, v31
	v_and_b32_e32 v12, 0xffff, v34
	v_or_b32_e32 v29, v1, v3
	v_or_b32_e32 v101, v18, v102
	;; [unrolled: 1-line block ×4, first 2 shown]
	s_and_saveexec_b32 s20, vcc_lo
	s_cbranch_execz .LBB259_1074
; %bb.1073:                             ;   in Loop: Header=BB259_809 Depth=1
	v_cmp_lt_i32_e64 s4, v67, v32
	v_cndmask_b32_e64 v19, 0, v102, s4
	v_cmp_lt_i32_e64 s4, v96, v32
	v_cndmask_b32_e64 v18, 0, v18, s4
	v_cmp_lt_i32_e64 s4, v87, v32
	v_or_b32_e32 v101, v19, v18
	v_cndmask_b32_e64 v3, 0, v3, s4
	v_cmp_lt_i32_e64 s4, v86, v32
	v_cndmask_b32_e64 v1, 0, v1, s4
	v_cmp_lt_i32_e64 s4, v84, v32
	v_or_b32_e32 v29, v3, v1
	v_cndmask_b32_e64 v30, 0, v30, s4
	v_cmp_lt_i32_e64 s4, v83, v32
	v_cndmask_b32_e64 v11, 0, v11, s4
	v_cmp_lt_i32_e64 s4, v81, v32
	v_or_b32_e32 v34, v30, v11
	v_cndmask_b32_e64 v12, 0, v12, s4
	v_cmp_lt_i32_e64 s4, v71, v32
	v_cndmask_b32_e64 v0, 0, v0, s4
	v_or_b32_e32 v31, v12, v0
.LBB259_1074:                           ;   in Loop: Header=BB259_809 Depth=1
	s_or_b32 exec_lo, exec_lo, s20
	;;#ASMSTART
	v_pk_mul_f16 v0, v85, v101;

	;;#ASMEND
	;;#ASMSTART
	v_pk_mul_f16 v1, v82, v29;

	;;#ASMEND
	;; [unrolled: 4-line block ×4, first 2 shown]
	;;#ASMSTART
	v_pk_add_f16 v0, v0, v1;

	;;#ASMEND
	;;#ASMSTART
	v_pk_add_f16 v0, v0, v3;

	;;#ASMEND
	;; [unrolled: 4-line block ×3, first 2 shown]
	v_and_b32_e32 v1, 0xffff, v0
	v_lshrrev_b32_e32 v0, 16, v0
	;;#ASMSTART
	v_cvt_f32_f16 v101, v1;
	;;#ASMEND
	;;#ASMSTART
	v_cvt_f32_f16 v102, v0;
	;;#ASMEND
	flat_load_dwordx2 v[11:12], v[9:10] offset:1024
	flat_load_dword v0, v[22:23]
	v_mov_b32_e32 v1, 0
	v_mov_b32_e32 v18, 0
	s_waitcnt vmcnt(1) lgkmcnt(1)
	v_cmp_ne_u16_sdwa s4, v11, v4 src0_sel:BYTE_0 src1_sel:DWORD
	s_and_saveexec_b32 s20, s4
	s_cbranch_execz .LBB259_1082
; %bb.1075:                             ;   in Loop: Header=BB259_809 Depth=1
	v_cmp_ne_u16_sdwa s4, v11, v48 src0_sel:BYTE_0 src1_sel:DWORD
	v_mov_b32_e32 v18, 0x8000
	s_and_saveexec_b32 s21, s4
	s_cbranch_execz .LBB259_1081
; %bb.1076:                             ;   in Loop: Header=BB259_809 Depth=1
	v_and_b32_e32 v29, 0x7f, v11
	v_mov_b32_e32 v18, 0x7c01
	s_mov_b32 s22, exec_lo
	v_cmpx_ne_u32_e32 0x7f, v29
	s_cbranch_execz .LBB259_1080
; %bb.1077:                             ;   in Loop: Header=BB259_809 Depth=1
	v_and_b32_e32 v3, 7, v11
	v_lshrrev_b32_e32 v18, 3, v29
	s_mov_b32 s23, exec_lo
	v_cmpx_gt_u32_e32 8, v29
; %bb.1078:                             ;   in Loop: Header=BB259_809 Depth=1
	v_ffbh_u32_e32 v3, v3
	v_min_u32_e32 v3, 32, v3
	v_subrev_nc_u32_e32 v18, 28, v3
	v_lshlrev_b64 v[29:30], v18, v[11:12]
	v_sub_nc_u32_e32 v18, 29, v3
	v_and_b32_e32 v3, 7, v29
; %bb.1079:                             ;   in Loop: Header=BB259_809 Depth=1
	s_or_b32 exec_lo, exec_lo, s23
	v_lshlrev_b32_e32 v19, 8, v11
	v_lshl_add_u32 v18, v18, 10, 0x2000
	v_lshlrev_b32_e32 v3, 7, v3
	v_and_b32_e32 v19, 0x8000, v19
	v_and_b32_e32 v18, 0xfc00, v18
	v_or3_b32 v18, v19, v18, v3
.LBB259_1080:                           ;   in Loop: Header=BB259_809 Depth=1
	s_or_b32 exec_lo, exec_lo, s22
.LBB259_1081:                           ;   in Loop: Header=BB259_809 Depth=1
	s_or_b32 exec_lo, exec_lo, s21
.LBB259_1082:                           ;   in Loop: Header=BB259_809 Depth=1
	s_or_b32 exec_lo, exec_lo, s20
	v_lshrrev_b16 v3, 8, v11
	s_mov_b32 s20, exec_lo
	v_cmpx_ne_u16_e32 0, v3
	s_cbranch_execz .LBB259_1090
; %bb.1083:                             ;   in Loop: Header=BB259_809 Depth=1
	v_bfrev_b32_e32 v1, 1
	s_mov_b32 s21, exec_lo
	v_cmpx_ne_u16_e32 0x80, v3
	s_cbranch_execz .LBB259_1089
; %bb.1084:                             ;   in Loop: Header=BB259_809 Depth=1
	v_and_b32_sdwa v30, v3, v50 dst_sel:DWORD dst_unused:UNUSED_PAD src0_sel:WORD_0 src1_sel:DWORD
	v_mov_b32_e32 v1, 0x7c010000
	s_mov_b32 s22, exec_lo
	v_cmpx_ne_u32_e32 0x7f, v30
	s_cbranch_execz .LBB259_1088
; %bb.1085:                             ;   in Loop: Header=BB259_809 Depth=1
	v_and_b32_sdwa v1, v3, v55 dst_sel:DWORD dst_unused:UNUSED_PAD src0_sel:WORD_0 src1_sel:DWORD
	v_lshrrev_b32_e32 v29, 3, v30
	s_mov_b32 s23, exec_lo
	v_cmpx_gt_u32_e32 8, v30
; %bb.1086:                             ;   in Loop: Header=BB259_809 Depth=1
	v_ffbh_u32_e32 v1, v1
	v_min_u32_e32 v1, 32, v1
	v_subrev_nc_u32_e32 v19, 28, v1
	v_sub_nc_u32_e32 v29, 29, v1
	v_lshlrev_b64 v[30:31], v19, v[3:4]
	v_and_b32_e32 v1, 7, v30
; %bb.1087:                             ;   in Loop: Header=BB259_809 Depth=1
	s_or_b32 exec_lo, exec_lo, s23
	v_lshlrev_b32_sdwa v3, v64, v3 dst_sel:DWORD dst_unused:UNUSED_PAD src0_sel:DWORD src1_sel:WORD_0
	v_lshl_add_u32 v19, v29, 10, 0x2000
	v_lshlrev_b32_e32 v1, 23, v1
	v_and_or_b32 v3, 0x8000, v3, v19
	v_lshl_or_b32 v1, v3, 16, v1
.LBB259_1088:                           ;   in Loop: Header=BB259_809 Depth=1
	s_or_b32 exec_lo, exec_lo, s22
.LBB259_1089:                           ;   in Loop: Header=BB259_809 Depth=1
	s_or_b32 exec_lo, exec_lo, s21
.LBB259_1090:                           ;   in Loop: Header=BB259_809 Depth=1
	s_or_b32 exec_lo, exec_lo, s20
	v_lshrrev_b32_e32 v3, 16, v11
	v_mov_b32_e32 v29, 0
	v_mov_b32_e32 v30, 0
	v_cmp_ne_u16_sdwa s4, v3, v4 src0_sel:BYTE_0 src1_sel:DWORD
	s_and_saveexec_b32 s20, s4
	s_cbranch_execz .LBB259_1098
; %bb.1091:                             ;   in Loop: Header=BB259_809 Depth=1
	v_cmp_ne_u16_sdwa s4, v3, v48 src0_sel:BYTE_0 src1_sel:DWORD
	v_mov_b32_e32 v30, 0x8000
	s_and_saveexec_b32 s21, s4
	s_cbranch_execz .LBB259_1097
; %bb.1092:                             ;   in Loop: Header=BB259_809 Depth=1
	v_bfe_u32 v34, v11, 16, 7
	v_mov_b32_e32 v30, 0x7c01
	s_mov_b32 s22, exec_lo
	v_cmpx_ne_u32_e32 0x7f, v34
	s_cbranch_execz .LBB259_1096
; %bb.1093:                             ;   in Loop: Header=BB259_809 Depth=1
	v_and_b32_e32 v30, 7, v3
	v_lshrrev_b32_e32 v31, 3, v34
	s_mov_b32 s23, exec_lo
	v_cmpx_gt_u32_e32 8, v34
; %bb.1094:                             ;   in Loop: Header=BB259_809 Depth=1
	v_ffbh_u32_e32 v19, v30
	v_min_u32_e32 v19, 32, v19
	v_subrev_nc_u32_e32 v30, 28, v19
	v_lshlrev_b64 v[30:31], v30, v[3:4]
	v_sub_nc_u32_e32 v31, 29, v19
	v_and_b32_e32 v30, 7, v30
; %bb.1095:                             ;   in Loop: Header=BB259_809 Depth=1
	s_or_b32 exec_lo, exec_lo, s23
	v_lshlrev_b32_e32 v3, 8, v3
	v_lshl_add_u32 v19, v31, 10, 0x2000
	v_lshlrev_b32_e32 v30, 7, v30
	v_and_b32_e32 v3, 0x8000, v3
	v_and_b32_e32 v19, 0xfc00, v19
	v_or3_b32 v30, v3, v19, v30
.LBB259_1096:                           ;   in Loop: Header=BB259_809 Depth=1
	s_or_b32 exec_lo, exec_lo, s22
.LBB259_1097:                           ;   in Loop: Header=BB259_809 Depth=1
	s_or_b32 exec_lo, exec_lo, s21
.LBB259_1098:                           ;   in Loop: Header=BB259_809 Depth=1
	s_or_b32 exec_lo, exec_lo, s20
	s_mov_b32 s20, exec_lo
	v_cmpx_lt_u32_e32 0xffffff, v11
	s_cbranch_execz .LBB259_1106
; %bb.1099:                             ;   in Loop: Header=BB259_809 Depth=1
	v_lshrrev_b32_e32 v3, 24, v11
	v_bfrev_b32_e32 v29, 1
	s_mov_b32 s21, exec_lo
	v_cmpx_ne_u32_e32 0x80, v3
	s_cbranch_execz .LBB259_1105
; %bb.1100:                             ;   in Loop: Header=BB259_809 Depth=1
	v_and_b32_e32 v34, 0x7f, v3
	v_mov_b32_e32 v29, 0x7c010000
	s_mov_b32 s22, exec_lo
	v_cmpx_ne_u32_e32 0x7f, v34
	s_cbranch_execz .LBB259_1104
; %bb.1101:                             ;   in Loop: Header=BB259_809 Depth=1
	v_and_b32_e32 v29, 7, v3
	v_lshrrev_b32_e32 v31, 3, v34
	s_mov_b32 s23, exec_lo
	v_cmpx_gt_u32_e32 8, v34
; %bb.1102:                             ;   in Loop: Header=BB259_809 Depth=1
	v_ffbh_u32_e32 v19, v29
	v_min_u32_e32 v19, 32, v19
	v_subrev_nc_u32_e32 v29, 28, v19
	v_sub_nc_u32_e32 v31, 29, v19
	v_lshlrev_b64 v[112:113], v29, v[3:4]
	v_and_b32_e32 v29, 7, v112
; %bb.1103:                             ;   in Loop: Header=BB259_809 Depth=1
	s_or_b32 exec_lo, exec_lo, s23
	v_lshlrev_b32_e32 v3, 8, v3
	v_lshl_add_u32 v19, v31, 10, 0x2000
	v_and_or_b32 v3, 0x8000, v3, v19
	v_lshlrev_b32_e32 v19, 23, v29
	v_lshl_or_b32 v29, v3, 16, v19
.LBB259_1104:                           ;   in Loop: Header=BB259_809 Depth=1
	s_or_b32 exec_lo, exec_lo, s22
.LBB259_1105:                           ;   in Loop: Header=BB259_809 Depth=1
	s_or_b32 exec_lo, exec_lo, s21
.LBB259_1106:                           ;   in Loop: Header=BB259_809 Depth=1
	s_or_b32 exec_lo, exec_lo, s20
	v_mov_b32_e32 v3, v12
	v_cmp_ne_u16_sdwa s4, v12, v4 src0_sel:BYTE_0 src1_sel:DWORD
	v_mov_b32_e32 v31, 0
	v_mov_b32_e32 v34, 0
	s_and_saveexec_b32 s20, s4
	s_cbranch_execz .LBB259_1114
; %bb.1107:                             ;   in Loop: Header=BB259_809 Depth=1
	v_cmp_ne_u16_sdwa s4, v12, v48 src0_sel:BYTE_0 src1_sel:DWORD
	v_mov_b32_e32 v34, 0x8000
	s_and_saveexec_b32 s21, s4
	s_cbranch_execz .LBB259_1113
; %bb.1108:                             ;   in Loop: Header=BB259_809 Depth=1
	v_and_b32_e32 v112, 0x7f, v12
	v_mov_b32_e32 v34, 0x7c01
	s_mov_b32 s22, exec_lo
	v_cmpx_ne_u32_e32 0x7f, v112
	s_cbranch_execz .LBB259_1112
; %bb.1109:                             ;   in Loop: Header=BB259_809 Depth=1
	v_and_b32_e32 v34, 7, v12
	v_lshrrev_b32_e32 v103, 3, v112
	s_mov_b32 s23, exec_lo
	v_cmpx_gt_u32_e32 8, v112
; %bb.1110:                             ;   in Loop: Header=BB259_809 Depth=1
	v_ffbh_u32_e32 v19, v34
	v_min_u32_e32 v19, 32, v19
	v_subrev_nc_u32_e32 v34, 28, v19
	v_sub_nc_u32_e32 v103, 29, v19
	v_lshlrev_b64 v[112:113], v34, v[3:4]
	v_and_b32_e32 v34, 7, v112
; %bb.1111:                             ;   in Loop: Header=BB259_809 Depth=1
	s_or_b32 exec_lo, exec_lo, s23
	v_lshlrev_b32_e32 v19, 8, v12
	v_lshl_add_u32 v103, v103, 10, 0x2000
	v_lshlrev_b32_e32 v34, 7, v34
	v_and_b32_e32 v19, 0x8000, v19
	v_and_b32_e32 v103, 0xfc00, v103
	v_or3_b32 v34, v19, v103, v34
.LBB259_1112:                           ;   in Loop: Header=BB259_809 Depth=1
	s_or_b32 exec_lo, exec_lo, s22
.LBB259_1113:                           ;   in Loop: Header=BB259_809 Depth=1
	s_or_b32 exec_lo, exec_lo, s21
.LBB259_1114:                           ;   in Loop: Header=BB259_809 Depth=1
	s_or_b32 exec_lo, exec_lo, s20
	v_lshrrev_b16 v3, 8, v3
	v_mov_b32_e32 v103, 0
	s_mov_b32 s20, exec_lo
	v_cmpx_ne_u16_e32 0, v3
	s_cbranch_execz .LBB259_1122
; %bb.1115:                             ;   in Loop: Header=BB259_809 Depth=1
	v_bfrev_b32_e32 v103, 1
	s_mov_b32 s21, exec_lo
	v_cmpx_ne_u16_e32 0x80, v3
	s_cbranch_execz .LBB259_1121
; %bb.1116:                             ;   in Loop: Header=BB259_809 Depth=1
	v_and_b32_sdwa v113, v3, v50 dst_sel:DWORD dst_unused:UNUSED_PAD src0_sel:WORD_0 src1_sel:DWORD
	v_mov_b32_e32 v103, 0x7c010000
	s_mov_b32 s22, exec_lo
	v_cmpx_ne_u32_e32 0x7f, v113
	s_cbranch_execz .LBB259_1120
; %bb.1117:                             ;   in Loop: Header=BB259_809 Depth=1
	v_and_b32_sdwa v103, v3, v55 dst_sel:DWORD dst_unused:UNUSED_PAD src0_sel:WORD_0 src1_sel:DWORD
	v_lshrrev_b32_e32 v112, 3, v113
	s_mov_b32 s23, exec_lo
	v_cmpx_gt_u32_e32 8, v113
; %bb.1118:                             ;   in Loop: Header=BB259_809 Depth=1
	v_ffbh_u32_e32 v19, v103
	v_min_u32_e32 v19, 32, v19
	v_subrev_nc_u32_e32 v103, 28, v19
	v_sub_nc_u32_e32 v112, 29, v19
	v_lshlrev_b64 v[113:114], v103, v[3:4]
	v_and_b32_e32 v103, 7, v113
; %bb.1119:                             ;   in Loop: Header=BB259_809 Depth=1
	s_or_b32 exec_lo, exec_lo, s23
	v_lshlrev_b32_sdwa v3, v64, v3 dst_sel:DWORD dst_unused:UNUSED_PAD src0_sel:DWORD src1_sel:WORD_0
	v_lshl_add_u32 v19, v112, 10, 0x2000
	v_and_or_b32 v3, 0x8000, v3, v19
	v_lshlrev_b32_e32 v19, 23, v103
	v_lshl_or_b32 v103, v3, 16, v19
.LBB259_1120:                           ;   in Loop: Header=BB259_809 Depth=1
	s_or_b32 exec_lo, exec_lo, s22
.LBB259_1121:                           ;   in Loop: Header=BB259_809 Depth=1
	s_or_b32 exec_lo, exec_lo, s21
.LBB259_1122:                           ;   in Loop: Header=BB259_809 Depth=1
	s_or_b32 exec_lo, exec_lo, s20
	v_lshrrev_b32_e32 v3, 16, v12
	v_cmp_ne_u16_sdwa s4, v3, v4 src0_sel:BYTE_0 src1_sel:DWORD
	s_and_saveexec_b32 s20, s4
	s_cbranch_execz .LBB259_1130
; %bb.1123:                             ;   in Loop: Header=BB259_809 Depth=1
	v_cmp_ne_u16_sdwa s4, v3, v48 src0_sel:BYTE_0 src1_sel:DWORD
	v_mov_b32_e32 v31, 0x8000
	s_and_saveexec_b32 s21, s4
	s_cbranch_execz .LBB259_1129
; %bb.1124:                             ;   in Loop: Header=BB259_809 Depth=1
	v_bfe_u32 v113, v12, 16, 7
	v_mov_b32_e32 v31, 0x7c01
	s_mov_b32 s22, exec_lo
	v_cmpx_ne_u32_e32 0x7f, v113
	s_cbranch_execz .LBB259_1128
; %bb.1125:                             ;   in Loop: Header=BB259_809 Depth=1
	v_and_b32_e32 v31, 7, v3
	v_lshrrev_b32_e32 v112, 3, v113
	s_mov_b32 s23, exec_lo
	v_cmpx_gt_u32_e32 8, v113
; %bb.1126:                             ;   in Loop: Header=BB259_809 Depth=1
	v_ffbh_u32_e32 v19, v31
	v_min_u32_e32 v19, 32, v19
	v_subrev_nc_u32_e32 v31, 28, v19
	v_sub_nc_u32_e32 v112, 29, v19
	v_lshlrev_b64 v[113:114], v31, v[3:4]
	v_and_b32_e32 v31, 7, v113
; %bb.1127:                             ;   in Loop: Header=BB259_809 Depth=1
	s_or_b32 exec_lo, exec_lo, s23
	v_lshlrev_b32_e32 v3, 8, v3
	v_lshl_add_u32 v19, v112, 10, 0x2000
	v_lshlrev_b32_e32 v31, 7, v31
	v_and_b32_e32 v3, 0x8000, v3
	v_and_b32_e32 v19, 0xfc00, v19
	v_or3_b32 v31, v3, v19, v31
.LBB259_1128:                           ;   in Loop: Header=BB259_809 Depth=1
	s_or_b32 exec_lo, exec_lo, s22
.LBB259_1129:                           ;   in Loop: Header=BB259_809 Depth=1
	s_or_b32 exec_lo, exec_lo, s21
.LBB259_1130:                           ;   in Loop: Header=BB259_809 Depth=1
	s_or_b32 exec_lo, exec_lo, s20
	v_cmp_lt_u64_e64 s4, s[6:7], v[11:12]
	v_mov_b32_e32 v11, 0
	s_and_saveexec_b32 s20, s4
	s_cbranch_execz .LBB259_1138
; %bb.1131:                             ;   in Loop: Header=BB259_809 Depth=1
	v_lshrrev_b32_e32 v3, 24, v12
	v_bfrev_b32_e32 v11, 1
	s_mov_b32 s21, exec_lo
	v_cmpx_ne_u32_e32 0x80, v3
	s_cbranch_execz .LBB259_1137
; %bb.1132:                             ;   in Loop: Header=BB259_809 Depth=1
	v_and_b32_e32 v112, 0x7f, v3
	v_mov_b32_e32 v11, 0x7c010000
	s_mov_b32 s22, exec_lo
	v_cmpx_ne_u32_e32 0x7f, v112
	s_cbranch_execz .LBB259_1136
; %bb.1133:                             ;   in Loop: Header=BB259_809 Depth=1
	v_and_b32_e32 v11, 7, v3
	v_lshrrev_b32_e32 v12, 3, v112
	s_mov_b32 s23, exec_lo
	v_cmpx_gt_u32_e32 8, v112
; %bb.1134:                             ;   in Loop: Header=BB259_809 Depth=1
	v_ffbh_u32_e32 v11, v11
	v_min_u32_e32 v19, 32, v11
	v_subrev_nc_u32_e32 v11, 28, v19
	v_lshlrev_b64 v[11:12], v11, v[3:4]
	v_sub_nc_u32_e32 v12, 29, v19
	v_and_b32_e32 v11, 7, v11
; %bb.1135:                             ;   in Loop: Header=BB259_809 Depth=1
	s_or_b32 exec_lo, exec_lo, s23
	v_lshlrev_b32_e32 v3, 8, v3
	v_lshl_add_u32 v12, v12, 10, 0x2000
	v_lshlrev_b32_e32 v11, 23, v11
	v_and_or_b32 v3, 0x8000, v3, v12
	v_lshl_or_b32 v11, v3, 16, v11
.LBB259_1136:                           ;   in Loop: Header=BB259_809 Depth=1
	s_or_b32 exec_lo, exec_lo, s22
.LBB259_1137:                           ;   in Loop: Header=BB259_809 Depth=1
	s_or_b32 exec_lo, exec_lo, s21
.LBB259_1138:                           ;   in Loop: Header=BB259_809 Depth=1
	s_or_b32 exec_lo, exec_lo, s20
	v_or_b32_e32 v3, v29, v30
	s_waitcnt vmcnt(0) lgkmcnt(0)
	v_fma_mixlo_f16 v12, v0, v29, 0 op_sel:[0,1,0] op_sel_hi:[0,1,0]
	v_or_b32_e32 v19, v1, v18
	v_or_b32_e32 v29, v103, v34
	;; [unrolled: 1-line block ×3, first 2 shown]
	v_fma_mixlo_f16 v18, v0, v1, 0 op_sel:[0,1,0] op_sel_hi:[0,1,0]
	v_fma_mixlo_f16 v3, v0, v3, 0 op_sel_hi:[0,1,0]
	v_lshlrev_b32_e32 v1, 16, v12
	v_fma_mixlo_f16 v12, v0, v19, 0 op_sel_hi:[0,1,0]
	v_fma_mixlo_f16 v19, v0, v103, 0 op_sel:[0,1,0] op_sel_hi:[0,1,0]
	v_fma_mixlo_f16 v29, v0, v29, 0 op_sel_hi:[0,1,0]
	v_fma_mixlo_f16 v31, v0, v11, 0 op_sel:[0,1,0] op_sel_hi:[0,1,0]
	v_fma_mixlo_f16 v34, v0, v30, 0 op_sel_hi:[0,1,0]
	v_lshlrev_b32_e32 v18, 16, v18
	v_and_b32_e32 v3, 0xffff, v3
	v_and_b32_e32 v112, 0xffff, v12
	v_lshlrev_b32_e32 v11, 16, v19
	v_and_b32_e32 v30, 0xffff, v29
	v_lshlrev_b32_e32 v0, 16, v31
	v_and_b32_e32 v12, 0xffff, v34
	v_or_b32_e32 v29, v1, v3
	v_or_b32_e32 v103, v18, v112
	;; [unrolled: 1-line block ×4, first 2 shown]
	s_and_saveexec_b32 s20, vcc_lo
	s_cbranch_execz .LBB259_1140
; %bb.1139:                             ;   in Loop: Header=BB259_809 Depth=1
	v_cmp_lt_i32_e64 s4, v67, v32
	v_cndmask_b32_e64 v19, 0, v112, s4
	v_cmp_lt_i32_e64 s4, v96, v32
	v_cndmask_b32_e64 v18, 0, v18, s4
	v_cmp_lt_i32_e64 s4, v87, v32
	v_or_b32_e32 v103, v19, v18
	v_cndmask_b32_e64 v3, 0, v3, s4
	v_cmp_lt_i32_e64 s4, v86, v32
	v_cndmask_b32_e64 v1, 0, v1, s4
	v_cmp_lt_i32_e64 s4, v84, v32
	v_or_b32_e32 v29, v3, v1
	;; [unrolled: 5-line block ×3, first 2 shown]
	v_cndmask_b32_e64 v12, 0, v12, s4
	v_cmp_lt_i32_e64 s4, v71, v32
	v_cndmask_b32_e64 v0, 0, v0, s4
	v_or_b32_e32 v31, v12, v0
.LBB259_1140:                           ;   in Loop: Header=BB259_809 Depth=1
	s_or_b32 exec_lo, exec_lo, s20
	;;#ASMSTART
	v_pk_mul_f16 v0, v85, v103;

	;;#ASMEND
	;;#ASMSTART
	v_pk_mul_f16 v1, v82, v29;

	;;#ASMEND
	;; [unrolled: 4-line block ×4, first 2 shown]
	;;#ASMSTART
	v_pk_add_f16 v0, v0, v1;

	;;#ASMEND
	;;#ASMSTART
	v_pk_add_f16 v0, v0, v3;

	;;#ASMEND
	;; [unrolled: 4-line block ×3, first 2 shown]
	v_and_b32_e32 v1, 0xffff, v0
	v_lshrrev_b32_e32 v0, 16, v0
	;;#ASMSTART
	v_cvt_f32_f16 v103, v1;
	;;#ASMEND
	;;#ASMSTART
	v_cvt_f32_f16 v112, v0;
	;;#ASMEND
	flat_load_dwordx2 v[11:12], v[9:10] offset:1280
	flat_load_dword v0, v[22:23]
	v_mov_b32_e32 v1, 0
	v_mov_b32_e32 v18, 0
	s_waitcnt vmcnt(1) lgkmcnt(1)
	v_cmp_ne_u16_sdwa s4, v11, v4 src0_sel:BYTE_0 src1_sel:DWORD
	s_and_saveexec_b32 s20, s4
	s_cbranch_execz .LBB259_1148
; %bb.1141:                             ;   in Loop: Header=BB259_809 Depth=1
	v_cmp_ne_u16_sdwa s4, v11, v48 src0_sel:BYTE_0 src1_sel:DWORD
	v_mov_b32_e32 v18, 0x8000
	s_and_saveexec_b32 s21, s4
	s_cbranch_execz .LBB259_1147
; %bb.1142:                             ;   in Loop: Header=BB259_809 Depth=1
	v_and_b32_e32 v29, 0x7f, v11
	v_mov_b32_e32 v18, 0x7c01
	s_mov_b32 s22, exec_lo
	v_cmpx_ne_u32_e32 0x7f, v29
	s_cbranch_execz .LBB259_1146
; %bb.1143:                             ;   in Loop: Header=BB259_809 Depth=1
	v_and_b32_e32 v3, 7, v11
	v_lshrrev_b32_e32 v18, 3, v29
	s_mov_b32 s23, exec_lo
	v_cmpx_gt_u32_e32 8, v29
; %bb.1144:                             ;   in Loop: Header=BB259_809 Depth=1
	v_ffbh_u32_e32 v3, v3
	v_min_u32_e32 v3, 32, v3
	v_subrev_nc_u32_e32 v18, 28, v3
	v_lshlrev_b64 v[29:30], v18, v[11:12]
	v_sub_nc_u32_e32 v18, 29, v3
	v_and_b32_e32 v3, 7, v29
; %bb.1145:                             ;   in Loop: Header=BB259_809 Depth=1
	s_or_b32 exec_lo, exec_lo, s23
	v_lshlrev_b32_e32 v19, 8, v11
	v_lshl_add_u32 v18, v18, 10, 0x2000
	v_lshlrev_b32_e32 v3, 7, v3
	v_and_b32_e32 v19, 0x8000, v19
	v_and_b32_e32 v18, 0xfc00, v18
	v_or3_b32 v18, v19, v18, v3
.LBB259_1146:                           ;   in Loop: Header=BB259_809 Depth=1
	s_or_b32 exec_lo, exec_lo, s22
.LBB259_1147:                           ;   in Loop: Header=BB259_809 Depth=1
	s_or_b32 exec_lo, exec_lo, s21
.LBB259_1148:                           ;   in Loop: Header=BB259_809 Depth=1
	s_or_b32 exec_lo, exec_lo, s20
	v_lshrrev_b16 v3, 8, v11
	s_mov_b32 s20, exec_lo
	v_cmpx_ne_u16_e32 0, v3
	s_cbranch_execz .LBB259_1156
; %bb.1149:                             ;   in Loop: Header=BB259_809 Depth=1
	v_bfrev_b32_e32 v1, 1
	s_mov_b32 s21, exec_lo
	v_cmpx_ne_u16_e32 0x80, v3
	s_cbranch_execz .LBB259_1155
; %bb.1150:                             ;   in Loop: Header=BB259_809 Depth=1
	v_and_b32_sdwa v30, v3, v50 dst_sel:DWORD dst_unused:UNUSED_PAD src0_sel:WORD_0 src1_sel:DWORD
	v_mov_b32_e32 v1, 0x7c010000
	s_mov_b32 s22, exec_lo
	v_cmpx_ne_u32_e32 0x7f, v30
	s_cbranch_execz .LBB259_1154
; %bb.1151:                             ;   in Loop: Header=BB259_809 Depth=1
	v_and_b32_sdwa v1, v3, v55 dst_sel:DWORD dst_unused:UNUSED_PAD src0_sel:WORD_0 src1_sel:DWORD
	v_lshrrev_b32_e32 v29, 3, v30
	s_mov_b32 s23, exec_lo
	v_cmpx_gt_u32_e32 8, v30
; %bb.1152:                             ;   in Loop: Header=BB259_809 Depth=1
	v_ffbh_u32_e32 v1, v1
	v_min_u32_e32 v1, 32, v1
	v_subrev_nc_u32_e32 v19, 28, v1
	v_sub_nc_u32_e32 v29, 29, v1
	v_lshlrev_b64 v[30:31], v19, v[3:4]
	v_and_b32_e32 v1, 7, v30
; %bb.1153:                             ;   in Loop: Header=BB259_809 Depth=1
	s_or_b32 exec_lo, exec_lo, s23
	v_lshlrev_b32_sdwa v3, v64, v3 dst_sel:DWORD dst_unused:UNUSED_PAD src0_sel:DWORD src1_sel:WORD_0
	v_lshl_add_u32 v19, v29, 10, 0x2000
	v_lshlrev_b32_e32 v1, 23, v1
	v_and_or_b32 v3, 0x8000, v3, v19
	v_lshl_or_b32 v1, v3, 16, v1
.LBB259_1154:                           ;   in Loop: Header=BB259_809 Depth=1
	s_or_b32 exec_lo, exec_lo, s22
.LBB259_1155:                           ;   in Loop: Header=BB259_809 Depth=1
	s_or_b32 exec_lo, exec_lo, s21
.LBB259_1156:                           ;   in Loop: Header=BB259_809 Depth=1
	s_or_b32 exec_lo, exec_lo, s20
	v_lshrrev_b32_e32 v3, 16, v11
	v_mov_b32_e32 v29, 0
	v_mov_b32_e32 v30, 0
	v_cmp_ne_u16_sdwa s4, v3, v4 src0_sel:BYTE_0 src1_sel:DWORD
	s_and_saveexec_b32 s20, s4
	s_cbranch_execz .LBB259_1164
; %bb.1157:                             ;   in Loop: Header=BB259_809 Depth=1
	v_cmp_ne_u16_sdwa s4, v3, v48 src0_sel:BYTE_0 src1_sel:DWORD
	v_mov_b32_e32 v30, 0x8000
	s_and_saveexec_b32 s21, s4
	s_cbranch_execz .LBB259_1163
; %bb.1158:                             ;   in Loop: Header=BB259_809 Depth=1
	v_bfe_u32 v34, v11, 16, 7
	v_mov_b32_e32 v30, 0x7c01
	s_mov_b32 s22, exec_lo
	v_cmpx_ne_u32_e32 0x7f, v34
	s_cbranch_execz .LBB259_1162
; %bb.1159:                             ;   in Loop: Header=BB259_809 Depth=1
	v_and_b32_e32 v30, 7, v3
	v_lshrrev_b32_e32 v31, 3, v34
	s_mov_b32 s23, exec_lo
	v_cmpx_gt_u32_e32 8, v34
; %bb.1160:                             ;   in Loop: Header=BB259_809 Depth=1
	v_ffbh_u32_e32 v19, v30
	v_min_u32_e32 v19, 32, v19
	v_subrev_nc_u32_e32 v30, 28, v19
	v_lshlrev_b64 v[30:31], v30, v[3:4]
	v_sub_nc_u32_e32 v31, 29, v19
	v_and_b32_e32 v30, 7, v30
; %bb.1161:                             ;   in Loop: Header=BB259_809 Depth=1
	s_or_b32 exec_lo, exec_lo, s23
	v_lshlrev_b32_e32 v3, 8, v3
	v_lshl_add_u32 v19, v31, 10, 0x2000
	v_lshlrev_b32_e32 v30, 7, v30
	v_and_b32_e32 v3, 0x8000, v3
	v_and_b32_e32 v19, 0xfc00, v19
	v_or3_b32 v30, v3, v19, v30
.LBB259_1162:                           ;   in Loop: Header=BB259_809 Depth=1
	s_or_b32 exec_lo, exec_lo, s22
.LBB259_1163:                           ;   in Loop: Header=BB259_809 Depth=1
	s_or_b32 exec_lo, exec_lo, s21
.LBB259_1164:                           ;   in Loop: Header=BB259_809 Depth=1
	s_or_b32 exec_lo, exec_lo, s20
	s_mov_b32 s20, exec_lo
	v_cmpx_lt_u32_e32 0xffffff, v11
	s_cbranch_execz .LBB259_1172
; %bb.1165:                             ;   in Loop: Header=BB259_809 Depth=1
	v_lshrrev_b32_e32 v3, 24, v11
	v_bfrev_b32_e32 v29, 1
	s_mov_b32 s21, exec_lo
	v_cmpx_ne_u32_e32 0x80, v3
	s_cbranch_execz .LBB259_1171
; %bb.1166:                             ;   in Loop: Header=BB259_809 Depth=1
	v_and_b32_e32 v34, 0x7f, v3
	v_mov_b32_e32 v29, 0x7c010000
	s_mov_b32 s22, exec_lo
	v_cmpx_ne_u32_e32 0x7f, v34
	s_cbranch_execz .LBB259_1170
; %bb.1167:                             ;   in Loop: Header=BB259_809 Depth=1
	v_and_b32_e32 v29, 7, v3
	v_lshrrev_b32_e32 v31, 3, v34
	s_mov_b32 s23, exec_lo
	v_cmpx_gt_u32_e32 8, v34
; %bb.1168:                             ;   in Loop: Header=BB259_809 Depth=1
	v_ffbh_u32_e32 v19, v29
	v_min_u32_e32 v19, 32, v19
	v_subrev_nc_u32_e32 v29, 28, v19
	v_sub_nc_u32_e32 v31, 29, v19
	v_lshlrev_b64 v[113:114], v29, v[3:4]
	v_and_b32_e32 v29, 7, v113
; %bb.1169:                             ;   in Loop: Header=BB259_809 Depth=1
	s_or_b32 exec_lo, exec_lo, s23
	v_lshlrev_b32_e32 v3, 8, v3
	v_lshl_add_u32 v19, v31, 10, 0x2000
	v_and_or_b32 v3, 0x8000, v3, v19
	v_lshlrev_b32_e32 v19, 23, v29
	v_lshl_or_b32 v29, v3, 16, v19
.LBB259_1170:                           ;   in Loop: Header=BB259_809 Depth=1
	s_or_b32 exec_lo, exec_lo, s22
.LBB259_1171:                           ;   in Loop: Header=BB259_809 Depth=1
	s_or_b32 exec_lo, exec_lo, s21
.LBB259_1172:                           ;   in Loop: Header=BB259_809 Depth=1
	s_or_b32 exec_lo, exec_lo, s20
	v_mov_b32_e32 v3, v12
	v_cmp_ne_u16_sdwa s4, v12, v4 src0_sel:BYTE_0 src1_sel:DWORD
	v_mov_b32_e32 v31, 0
	v_mov_b32_e32 v34, 0
	s_and_saveexec_b32 s20, s4
	s_cbranch_execz .LBB259_1180
; %bb.1173:                             ;   in Loop: Header=BB259_809 Depth=1
	v_cmp_ne_u16_sdwa s4, v12, v48 src0_sel:BYTE_0 src1_sel:DWORD
	v_mov_b32_e32 v34, 0x8000
	s_and_saveexec_b32 s21, s4
	s_cbranch_execz .LBB259_1179
; %bb.1174:                             ;   in Loop: Header=BB259_809 Depth=1
	v_and_b32_e32 v114, 0x7f, v12
	v_mov_b32_e32 v34, 0x7c01
	s_mov_b32 s22, exec_lo
	v_cmpx_ne_u32_e32 0x7f, v114
	s_cbranch_execz .LBB259_1178
; %bb.1175:                             ;   in Loop: Header=BB259_809 Depth=1
	v_and_b32_e32 v34, 7, v12
	v_lshrrev_b32_e32 v113, 3, v114
	s_mov_b32 s23, exec_lo
	v_cmpx_gt_u32_e32 8, v114
; %bb.1176:                             ;   in Loop: Header=BB259_809 Depth=1
	v_ffbh_u32_e32 v19, v34
	v_min_u32_e32 v19, 32, v19
	v_subrev_nc_u32_e32 v34, 28, v19
	v_sub_nc_u32_e32 v113, 29, v19
	v_lshlrev_b64 v[114:115], v34, v[3:4]
	v_and_b32_e32 v34, 7, v114
; %bb.1177:                             ;   in Loop: Header=BB259_809 Depth=1
	s_or_b32 exec_lo, exec_lo, s23
	v_lshlrev_b32_e32 v19, 8, v12
	v_lshl_add_u32 v113, v113, 10, 0x2000
	v_lshlrev_b32_e32 v34, 7, v34
	v_and_b32_e32 v19, 0x8000, v19
	v_and_b32_e32 v113, 0xfc00, v113
	v_or3_b32 v34, v19, v113, v34
.LBB259_1178:                           ;   in Loop: Header=BB259_809 Depth=1
	s_or_b32 exec_lo, exec_lo, s22
.LBB259_1179:                           ;   in Loop: Header=BB259_809 Depth=1
	s_or_b32 exec_lo, exec_lo, s21
.LBB259_1180:                           ;   in Loop: Header=BB259_809 Depth=1
	s_or_b32 exec_lo, exec_lo, s20
	v_lshrrev_b16 v3, 8, v3
	v_mov_b32_e32 v113, 0
	s_mov_b32 s20, exec_lo
	v_cmpx_ne_u16_e32 0, v3
	s_cbranch_execz .LBB259_1188
; %bb.1181:                             ;   in Loop: Header=BB259_809 Depth=1
	v_bfrev_b32_e32 v113, 1
	s_mov_b32 s21, exec_lo
	v_cmpx_ne_u16_e32 0x80, v3
	s_cbranch_execz .LBB259_1187
; %bb.1182:                             ;   in Loop: Header=BB259_809 Depth=1
	v_and_b32_sdwa v115, v3, v50 dst_sel:DWORD dst_unused:UNUSED_PAD src0_sel:WORD_0 src1_sel:DWORD
	v_mov_b32_e32 v113, 0x7c010000
	s_mov_b32 s22, exec_lo
	v_cmpx_ne_u32_e32 0x7f, v115
	s_cbranch_execz .LBB259_1186
; %bb.1183:                             ;   in Loop: Header=BB259_809 Depth=1
	v_and_b32_sdwa v113, v3, v55 dst_sel:DWORD dst_unused:UNUSED_PAD src0_sel:WORD_0 src1_sel:DWORD
	v_lshrrev_b32_e32 v114, 3, v115
	s_mov_b32 s23, exec_lo
	v_cmpx_gt_u32_e32 8, v115
; %bb.1184:                             ;   in Loop: Header=BB259_809 Depth=1
	v_ffbh_u32_e32 v19, v113
	v_min_u32_e32 v19, 32, v19
	v_subrev_nc_u32_e32 v113, 28, v19
	v_lshlrev_b64 v[113:114], v113, v[3:4]
	v_sub_nc_u32_e32 v114, 29, v19
	v_and_b32_e32 v113, 7, v113
; %bb.1185:                             ;   in Loop: Header=BB259_809 Depth=1
	s_or_b32 exec_lo, exec_lo, s23
	v_lshlrev_b32_sdwa v3, v64, v3 dst_sel:DWORD dst_unused:UNUSED_PAD src0_sel:DWORD src1_sel:WORD_0
	v_lshl_add_u32 v19, v114, 10, 0x2000
	v_and_or_b32 v3, 0x8000, v3, v19
	v_lshlrev_b32_e32 v19, 23, v113
	v_lshl_or_b32 v113, v3, 16, v19
.LBB259_1186:                           ;   in Loop: Header=BB259_809 Depth=1
	s_or_b32 exec_lo, exec_lo, s22
.LBB259_1187:                           ;   in Loop: Header=BB259_809 Depth=1
	s_or_b32 exec_lo, exec_lo, s21
.LBB259_1188:                           ;   in Loop: Header=BB259_809 Depth=1
	s_or_b32 exec_lo, exec_lo, s20
	v_lshrrev_b32_e32 v3, 16, v12
	v_cmp_ne_u16_sdwa s4, v3, v4 src0_sel:BYTE_0 src1_sel:DWORD
	s_and_saveexec_b32 s20, s4
	s_cbranch_execz .LBB259_1196
; %bb.1189:                             ;   in Loop: Header=BB259_809 Depth=1
	v_cmp_ne_u16_sdwa s4, v3, v48 src0_sel:BYTE_0 src1_sel:DWORD
	v_mov_b32_e32 v31, 0x8000
	s_and_saveexec_b32 s21, s4
	s_cbranch_execz .LBB259_1195
; %bb.1190:                             ;   in Loop: Header=BB259_809 Depth=1
	v_bfe_u32 v115, v12, 16, 7
	v_mov_b32_e32 v31, 0x7c01
	s_mov_b32 s22, exec_lo
	v_cmpx_ne_u32_e32 0x7f, v115
	s_cbranch_execz .LBB259_1194
; %bb.1191:                             ;   in Loop: Header=BB259_809 Depth=1
	v_and_b32_e32 v31, 7, v3
	v_lshrrev_b32_e32 v114, 3, v115
	s_mov_b32 s23, exec_lo
	v_cmpx_gt_u32_e32 8, v115
; %bb.1192:                             ;   in Loop: Header=BB259_809 Depth=1
	v_ffbh_u32_e32 v19, v31
	v_min_u32_e32 v19, 32, v19
	v_subrev_nc_u32_e32 v31, 28, v19
	v_sub_nc_u32_e32 v114, 29, v19
	v_lshlrev_b64 v[115:116], v31, v[3:4]
	v_and_b32_e32 v31, 7, v115
; %bb.1193:                             ;   in Loop: Header=BB259_809 Depth=1
	s_or_b32 exec_lo, exec_lo, s23
	v_lshlrev_b32_e32 v3, 8, v3
	v_lshl_add_u32 v19, v114, 10, 0x2000
	v_lshlrev_b32_e32 v31, 7, v31
	v_and_b32_e32 v3, 0x8000, v3
	v_and_b32_e32 v19, 0xfc00, v19
	v_or3_b32 v31, v3, v19, v31
.LBB259_1194:                           ;   in Loop: Header=BB259_809 Depth=1
	s_or_b32 exec_lo, exec_lo, s22
.LBB259_1195:                           ;   in Loop: Header=BB259_809 Depth=1
	s_or_b32 exec_lo, exec_lo, s21
.LBB259_1196:                           ;   in Loop: Header=BB259_809 Depth=1
	s_or_b32 exec_lo, exec_lo, s20
	v_cmp_lt_u64_e64 s4, s[6:7], v[11:12]
	v_mov_b32_e32 v11, 0
	s_and_saveexec_b32 s20, s4
	s_cbranch_execz .LBB259_1204
; %bb.1197:                             ;   in Loop: Header=BB259_809 Depth=1
	v_lshrrev_b32_e32 v3, 24, v12
	v_bfrev_b32_e32 v11, 1
	s_mov_b32 s21, exec_lo
	v_cmpx_ne_u32_e32 0x80, v3
	s_cbranch_execz .LBB259_1203
; %bb.1198:                             ;   in Loop: Header=BB259_809 Depth=1
	v_and_b32_e32 v114, 0x7f, v3
	v_mov_b32_e32 v11, 0x7c010000
	s_mov_b32 s22, exec_lo
	v_cmpx_ne_u32_e32 0x7f, v114
	s_cbranch_execz .LBB259_1202
; %bb.1199:                             ;   in Loop: Header=BB259_809 Depth=1
	v_and_b32_e32 v11, 7, v3
	v_lshrrev_b32_e32 v12, 3, v114
	s_mov_b32 s23, exec_lo
	v_cmpx_gt_u32_e32 8, v114
; %bb.1200:                             ;   in Loop: Header=BB259_809 Depth=1
	v_ffbh_u32_e32 v11, v11
	v_min_u32_e32 v19, 32, v11
	v_subrev_nc_u32_e32 v11, 28, v19
	v_lshlrev_b64 v[11:12], v11, v[3:4]
	v_sub_nc_u32_e32 v12, 29, v19
	v_and_b32_e32 v11, 7, v11
; %bb.1201:                             ;   in Loop: Header=BB259_809 Depth=1
	s_or_b32 exec_lo, exec_lo, s23
	v_lshlrev_b32_e32 v3, 8, v3
	v_lshl_add_u32 v12, v12, 10, 0x2000
	v_lshlrev_b32_e32 v11, 23, v11
	v_and_or_b32 v3, 0x8000, v3, v12
	v_lshl_or_b32 v11, v3, 16, v11
.LBB259_1202:                           ;   in Loop: Header=BB259_809 Depth=1
	s_or_b32 exec_lo, exec_lo, s22
.LBB259_1203:                           ;   in Loop: Header=BB259_809 Depth=1
	s_or_b32 exec_lo, exec_lo, s21
.LBB259_1204:                           ;   in Loop: Header=BB259_809 Depth=1
	s_or_b32 exec_lo, exec_lo, s20
	v_or_b32_e32 v3, v29, v30
	s_waitcnt vmcnt(0) lgkmcnt(0)
	v_fma_mixlo_f16 v12, v0, v29, 0 op_sel:[0,1,0] op_sel_hi:[0,1,0]
	v_or_b32_e32 v19, v1, v18
	v_or_b32_e32 v29, v113, v34
	;; [unrolled: 1-line block ×3, first 2 shown]
	v_fma_mixlo_f16 v18, v0, v1, 0 op_sel:[0,1,0] op_sel_hi:[0,1,0]
	v_fma_mixlo_f16 v3, v0, v3, 0 op_sel_hi:[0,1,0]
	v_lshlrev_b32_e32 v1, 16, v12
	v_fma_mixlo_f16 v12, v0, v19, 0 op_sel_hi:[0,1,0]
	v_fma_mixlo_f16 v19, v0, v113, 0 op_sel:[0,1,0] op_sel_hi:[0,1,0]
	v_fma_mixlo_f16 v29, v0, v29, 0 op_sel_hi:[0,1,0]
	v_fma_mixlo_f16 v31, v0, v11, 0 op_sel:[0,1,0] op_sel_hi:[0,1,0]
	v_fma_mixlo_f16 v34, v0, v30, 0 op_sel_hi:[0,1,0]
	v_lshlrev_b32_e32 v18, 16, v18
	v_and_b32_e32 v3, 0xffff, v3
	v_and_b32_e32 v114, 0xffff, v12
	v_lshlrev_b32_e32 v11, 16, v19
	v_and_b32_e32 v30, 0xffff, v29
	v_lshlrev_b32_e32 v0, 16, v31
	v_and_b32_e32 v12, 0xffff, v34
	v_or_b32_e32 v29, v1, v3
	v_or_b32_e32 v113, v18, v114
	;; [unrolled: 1-line block ×4, first 2 shown]
	s_and_saveexec_b32 s20, vcc_lo
	s_cbranch_execz .LBB259_1206
; %bb.1205:                             ;   in Loop: Header=BB259_809 Depth=1
	v_cmp_lt_i32_e64 s4, v67, v32
	v_cndmask_b32_e64 v19, 0, v114, s4
	v_cmp_lt_i32_e64 s4, v96, v32
	v_cndmask_b32_e64 v18, 0, v18, s4
	v_cmp_lt_i32_e64 s4, v87, v32
	v_or_b32_e32 v113, v19, v18
	v_cndmask_b32_e64 v3, 0, v3, s4
	v_cmp_lt_i32_e64 s4, v86, v32
	v_cndmask_b32_e64 v1, 0, v1, s4
	v_cmp_lt_i32_e64 s4, v84, v32
	v_or_b32_e32 v29, v3, v1
	v_cndmask_b32_e64 v30, 0, v30, s4
	v_cmp_lt_i32_e64 s4, v83, v32
	v_cndmask_b32_e64 v11, 0, v11, s4
	v_cmp_lt_i32_e64 s4, v81, v32
	v_or_b32_e32 v34, v30, v11
	v_cndmask_b32_e64 v12, 0, v12, s4
	v_cmp_lt_i32_e64 s4, v71, v32
	v_cndmask_b32_e64 v0, 0, v0, s4
	v_or_b32_e32 v31, v12, v0
.LBB259_1206:                           ;   in Loop: Header=BB259_809 Depth=1
	s_or_b32 exec_lo, exec_lo, s20
	;;#ASMSTART
	v_pk_mul_f16 v0, v85, v113;

	;;#ASMEND
	;;#ASMSTART
	v_pk_mul_f16 v1, v82, v29;

	;;#ASMEND
	;; [unrolled: 4-line block ×4, first 2 shown]
	;;#ASMSTART
	v_pk_add_f16 v0, v0, v1;

	;;#ASMEND
	;;#ASMSTART
	v_pk_add_f16 v0, v0, v3;

	;;#ASMEND
	;;#ASMSTART
	v_pk_add_f16 v0, v0, v11;

	;;#ASMEND
	v_and_b32_e32 v1, 0xffff, v0
	v_lshrrev_b32_e32 v0, 16, v0
	;;#ASMSTART
	v_cvt_f32_f16 v113, v1;
	;;#ASMEND
	;;#ASMSTART
	v_cvt_f32_f16 v114, v0;
	;;#ASMEND
	flat_load_dwordx2 v[11:12], v[9:10] offset:1536
	flat_load_dword v0, v[22:23]
	v_mov_b32_e32 v1, 0
	v_mov_b32_e32 v18, 0
	s_waitcnt vmcnt(1) lgkmcnt(1)
	v_cmp_ne_u16_sdwa s4, v11, v4 src0_sel:BYTE_0 src1_sel:DWORD
	s_and_saveexec_b32 s20, s4
	s_cbranch_execz .LBB259_1214
; %bb.1207:                             ;   in Loop: Header=BB259_809 Depth=1
	v_cmp_ne_u16_sdwa s4, v11, v48 src0_sel:BYTE_0 src1_sel:DWORD
	v_mov_b32_e32 v18, 0x8000
	s_and_saveexec_b32 s21, s4
	s_cbranch_execz .LBB259_1213
; %bb.1208:                             ;   in Loop: Header=BB259_809 Depth=1
	v_and_b32_e32 v29, 0x7f, v11
	v_mov_b32_e32 v18, 0x7c01
	s_mov_b32 s22, exec_lo
	v_cmpx_ne_u32_e32 0x7f, v29
	s_cbranch_execz .LBB259_1212
; %bb.1209:                             ;   in Loop: Header=BB259_809 Depth=1
	v_and_b32_e32 v3, 7, v11
	v_lshrrev_b32_e32 v18, 3, v29
	s_mov_b32 s23, exec_lo
	v_cmpx_gt_u32_e32 8, v29
; %bb.1210:                             ;   in Loop: Header=BB259_809 Depth=1
	v_ffbh_u32_e32 v3, v3
	v_min_u32_e32 v3, 32, v3
	v_subrev_nc_u32_e32 v18, 28, v3
	v_lshlrev_b64 v[29:30], v18, v[11:12]
	v_sub_nc_u32_e32 v18, 29, v3
	v_and_b32_e32 v3, 7, v29
; %bb.1211:                             ;   in Loop: Header=BB259_809 Depth=1
	s_or_b32 exec_lo, exec_lo, s23
	v_lshlrev_b32_e32 v19, 8, v11
	v_lshl_add_u32 v18, v18, 10, 0x2000
	v_lshlrev_b32_e32 v3, 7, v3
	v_and_b32_e32 v19, 0x8000, v19
	v_and_b32_e32 v18, 0xfc00, v18
	v_or3_b32 v18, v19, v18, v3
.LBB259_1212:                           ;   in Loop: Header=BB259_809 Depth=1
	s_or_b32 exec_lo, exec_lo, s22
.LBB259_1213:                           ;   in Loop: Header=BB259_809 Depth=1
	s_or_b32 exec_lo, exec_lo, s21
.LBB259_1214:                           ;   in Loop: Header=BB259_809 Depth=1
	s_or_b32 exec_lo, exec_lo, s20
	v_lshrrev_b16 v3, 8, v11
	s_mov_b32 s20, exec_lo
	v_cmpx_ne_u16_e32 0, v3
	s_cbranch_execz .LBB259_1222
; %bb.1215:                             ;   in Loop: Header=BB259_809 Depth=1
	v_bfrev_b32_e32 v1, 1
	s_mov_b32 s21, exec_lo
	v_cmpx_ne_u16_e32 0x80, v3
	s_cbranch_execz .LBB259_1221
; %bb.1216:                             ;   in Loop: Header=BB259_809 Depth=1
	v_and_b32_sdwa v30, v3, v50 dst_sel:DWORD dst_unused:UNUSED_PAD src0_sel:WORD_0 src1_sel:DWORD
	v_mov_b32_e32 v1, 0x7c010000
	s_mov_b32 s22, exec_lo
	v_cmpx_ne_u32_e32 0x7f, v30
	s_cbranch_execz .LBB259_1220
; %bb.1217:                             ;   in Loop: Header=BB259_809 Depth=1
	v_and_b32_sdwa v1, v3, v55 dst_sel:DWORD dst_unused:UNUSED_PAD src0_sel:WORD_0 src1_sel:DWORD
	v_lshrrev_b32_e32 v29, 3, v30
	s_mov_b32 s23, exec_lo
	v_cmpx_gt_u32_e32 8, v30
; %bb.1218:                             ;   in Loop: Header=BB259_809 Depth=1
	v_ffbh_u32_e32 v1, v1
	v_min_u32_e32 v1, 32, v1
	v_subrev_nc_u32_e32 v19, 28, v1
	v_sub_nc_u32_e32 v29, 29, v1
	v_lshlrev_b64 v[30:31], v19, v[3:4]
	v_and_b32_e32 v1, 7, v30
; %bb.1219:                             ;   in Loop: Header=BB259_809 Depth=1
	s_or_b32 exec_lo, exec_lo, s23
	v_lshlrev_b32_sdwa v3, v64, v3 dst_sel:DWORD dst_unused:UNUSED_PAD src0_sel:DWORD src1_sel:WORD_0
	v_lshl_add_u32 v19, v29, 10, 0x2000
	v_lshlrev_b32_e32 v1, 23, v1
	v_and_or_b32 v3, 0x8000, v3, v19
	v_lshl_or_b32 v1, v3, 16, v1
.LBB259_1220:                           ;   in Loop: Header=BB259_809 Depth=1
	s_or_b32 exec_lo, exec_lo, s22
.LBB259_1221:                           ;   in Loop: Header=BB259_809 Depth=1
	s_or_b32 exec_lo, exec_lo, s21
.LBB259_1222:                           ;   in Loop: Header=BB259_809 Depth=1
	s_or_b32 exec_lo, exec_lo, s20
	v_lshrrev_b32_e32 v3, 16, v11
	v_mov_b32_e32 v29, 0
	v_mov_b32_e32 v30, 0
	v_cmp_ne_u16_sdwa s4, v3, v4 src0_sel:BYTE_0 src1_sel:DWORD
	s_and_saveexec_b32 s20, s4
	s_cbranch_execz .LBB259_1230
; %bb.1223:                             ;   in Loop: Header=BB259_809 Depth=1
	v_cmp_ne_u16_sdwa s4, v3, v48 src0_sel:BYTE_0 src1_sel:DWORD
	v_mov_b32_e32 v30, 0x8000
	s_and_saveexec_b32 s21, s4
	s_cbranch_execz .LBB259_1229
; %bb.1224:                             ;   in Loop: Header=BB259_809 Depth=1
	v_bfe_u32 v34, v11, 16, 7
	v_mov_b32_e32 v30, 0x7c01
	s_mov_b32 s22, exec_lo
	v_cmpx_ne_u32_e32 0x7f, v34
	s_cbranch_execz .LBB259_1228
; %bb.1225:                             ;   in Loop: Header=BB259_809 Depth=1
	v_and_b32_e32 v30, 7, v3
	v_lshrrev_b32_e32 v31, 3, v34
	s_mov_b32 s23, exec_lo
	v_cmpx_gt_u32_e32 8, v34
; %bb.1226:                             ;   in Loop: Header=BB259_809 Depth=1
	v_ffbh_u32_e32 v19, v30
	v_min_u32_e32 v19, 32, v19
	v_subrev_nc_u32_e32 v30, 28, v19
	v_lshlrev_b64 v[30:31], v30, v[3:4]
	v_sub_nc_u32_e32 v31, 29, v19
	v_and_b32_e32 v30, 7, v30
; %bb.1227:                             ;   in Loop: Header=BB259_809 Depth=1
	s_or_b32 exec_lo, exec_lo, s23
	v_lshlrev_b32_e32 v3, 8, v3
	v_lshl_add_u32 v19, v31, 10, 0x2000
	v_lshlrev_b32_e32 v30, 7, v30
	v_and_b32_e32 v3, 0x8000, v3
	v_and_b32_e32 v19, 0xfc00, v19
	v_or3_b32 v30, v3, v19, v30
.LBB259_1228:                           ;   in Loop: Header=BB259_809 Depth=1
	s_or_b32 exec_lo, exec_lo, s22
.LBB259_1229:                           ;   in Loop: Header=BB259_809 Depth=1
	s_or_b32 exec_lo, exec_lo, s21
.LBB259_1230:                           ;   in Loop: Header=BB259_809 Depth=1
	s_or_b32 exec_lo, exec_lo, s20
	s_mov_b32 s20, exec_lo
	v_cmpx_lt_u32_e32 0xffffff, v11
	s_cbranch_execz .LBB259_1238
; %bb.1231:                             ;   in Loop: Header=BB259_809 Depth=1
	v_lshrrev_b32_e32 v3, 24, v11
	v_bfrev_b32_e32 v29, 1
	s_mov_b32 s21, exec_lo
	v_cmpx_ne_u32_e32 0x80, v3
	s_cbranch_execz .LBB259_1237
; %bb.1232:                             ;   in Loop: Header=BB259_809 Depth=1
	v_and_b32_e32 v34, 0x7f, v3
	v_mov_b32_e32 v29, 0x7c010000
	s_mov_b32 s22, exec_lo
	v_cmpx_ne_u32_e32 0x7f, v34
	s_cbranch_execz .LBB259_1236
; %bb.1233:                             ;   in Loop: Header=BB259_809 Depth=1
	v_and_b32_e32 v29, 7, v3
	v_lshrrev_b32_e32 v31, 3, v34
	s_mov_b32 s23, exec_lo
	v_cmpx_gt_u32_e32 8, v34
; %bb.1234:                             ;   in Loop: Header=BB259_809 Depth=1
	v_ffbh_u32_e32 v19, v29
	v_min_u32_e32 v19, 32, v19
	v_subrev_nc_u32_e32 v29, 28, v19
	v_sub_nc_u32_e32 v31, 29, v19
	v_lshlrev_b64 v[115:116], v29, v[3:4]
	v_and_b32_e32 v29, 7, v115
; %bb.1235:                             ;   in Loop: Header=BB259_809 Depth=1
	s_or_b32 exec_lo, exec_lo, s23
	v_lshlrev_b32_e32 v3, 8, v3
	v_lshl_add_u32 v19, v31, 10, 0x2000
	v_and_or_b32 v3, 0x8000, v3, v19
	v_lshlrev_b32_e32 v19, 23, v29
	v_lshl_or_b32 v29, v3, 16, v19
.LBB259_1236:                           ;   in Loop: Header=BB259_809 Depth=1
	s_or_b32 exec_lo, exec_lo, s22
.LBB259_1237:                           ;   in Loop: Header=BB259_809 Depth=1
	s_or_b32 exec_lo, exec_lo, s21
.LBB259_1238:                           ;   in Loop: Header=BB259_809 Depth=1
	s_or_b32 exec_lo, exec_lo, s20
	v_mov_b32_e32 v3, v12
	v_cmp_ne_u16_sdwa s4, v12, v4 src0_sel:BYTE_0 src1_sel:DWORD
	v_mov_b32_e32 v31, 0
	v_mov_b32_e32 v34, 0
	s_and_saveexec_b32 s20, s4
	s_cbranch_execz .LBB259_1246
; %bb.1239:                             ;   in Loop: Header=BB259_809 Depth=1
	v_cmp_ne_u16_sdwa s4, v12, v48 src0_sel:BYTE_0 src1_sel:DWORD
	v_mov_b32_e32 v34, 0x8000
	s_and_saveexec_b32 s21, s4
	s_cbranch_execz .LBB259_1245
; %bb.1240:                             ;   in Loop: Header=BB259_809 Depth=1
	v_and_b32_e32 v116, 0x7f, v12
	v_mov_b32_e32 v34, 0x7c01
	s_mov_b32 s22, exec_lo
	v_cmpx_ne_u32_e32 0x7f, v116
	s_cbranch_execz .LBB259_1244
; %bb.1241:                             ;   in Loop: Header=BB259_809 Depth=1
	v_and_b32_e32 v34, 7, v12
	v_lshrrev_b32_e32 v115, 3, v116
	s_mov_b32 s23, exec_lo
	v_cmpx_gt_u32_e32 8, v116
; %bb.1242:                             ;   in Loop: Header=BB259_809 Depth=1
	v_ffbh_u32_e32 v19, v34
	v_min_u32_e32 v19, 32, v19
	v_subrev_nc_u32_e32 v34, 28, v19
	v_sub_nc_u32_e32 v115, 29, v19
	v_lshlrev_b64 v[116:117], v34, v[3:4]
	v_and_b32_e32 v34, 7, v116
; %bb.1243:                             ;   in Loop: Header=BB259_809 Depth=1
	s_or_b32 exec_lo, exec_lo, s23
	v_lshlrev_b32_e32 v19, 8, v12
	v_lshl_add_u32 v115, v115, 10, 0x2000
	v_lshlrev_b32_e32 v34, 7, v34
	v_and_b32_e32 v19, 0x8000, v19
	v_and_b32_e32 v115, 0xfc00, v115
	v_or3_b32 v34, v19, v115, v34
.LBB259_1244:                           ;   in Loop: Header=BB259_809 Depth=1
	s_or_b32 exec_lo, exec_lo, s22
.LBB259_1245:                           ;   in Loop: Header=BB259_809 Depth=1
	s_or_b32 exec_lo, exec_lo, s21
.LBB259_1246:                           ;   in Loop: Header=BB259_809 Depth=1
	s_or_b32 exec_lo, exec_lo, s20
	v_lshrrev_b16 v3, 8, v3
	v_mov_b32_e32 v115, 0
	s_mov_b32 s20, exec_lo
	v_cmpx_ne_u16_e32 0, v3
	s_cbranch_execz .LBB259_1254
; %bb.1247:                             ;   in Loop: Header=BB259_809 Depth=1
	v_bfrev_b32_e32 v115, 1
	s_mov_b32 s21, exec_lo
	v_cmpx_ne_u16_e32 0x80, v3
	s_cbranch_execz .LBB259_1253
; %bb.1248:                             ;   in Loop: Header=BB259_809 Depth=1
	v_and_b32_sdwa v117, v3, v50 dst_sel:DWORD dst_unused:UNUSED_PAD src0_sel:WORD_0 src1_sel:DWORD
	v_mov_b32_e32 v115, 0x7c010000
	s_mov_b32 s22, exec_lo
	v_cmpx_ne_u32_e32 0x7f, v117
	s_cbranch_execz .LBB259_1252
; %bb.1249:                             ;   in Loop: Header=BB259_809 Depth=1
	v_and_b32_sdwa v115, v3, v55 dst_sel:DWORD dst_unused:UNUSED_PAD src0_sel:WORD_0 src1_sel:DWORD
	v_lshrrev_b32_e32 v116, 3, v117
	s_mov_b32 s23, exec_lo
	v_cmpx_gt_u32_e32 8, v117
; %bb.1250:                             ;   in Loop: Header=BB259_809 Depth=1
	v_ffbh_u32_e32 v19, v115
	v_min_u32_e32 v19, 32, v19
	v_subrev_nc_u32_e32 v115, 28, v19
	v_lshlrev_b64 v[115:116], v115, v[3:4]
	v_sub_nc_u32_e32 v116, 29, v19
	v_and_b32_e32 v115, 7, v115
; %bb.1251:                             ;   in Loop: Header=BB259_809 Depth=1
	s_or_b32 exec_lo, exec_lo, s23
	v_lshlrev_b32_sdwa v3, v64, v3 dst_sel:DWORD dst_unused:UNUSED_PAD src0_sel:DWORD src1_sel:WORD_0
	v_lshl_add_u32 v19, v116, 10, 0x2000
	v_and_or_b32 v3, 0x8000, v3, v19
	v_lshlrev_b32_e32 v19, 23, v115
	v_lshl_or_b32 v115, v3, 16, v19
.LBB259_1252:                           ;   in Loop: Header=BB259_809 Depth=1
	s_or_b32 exec_lo, exec_lo, s22
.LBB259_1253:                           ;   in Loop: Header=BB259_809 Depth=1
	s_or_b32 exec_lo, exec_lo, s21
.LBB259_1254:                           ;   in Loop: Header=BB259_809 Depth=1
	s_or_b32 exec_lo, exec_lo, s20
	v_lshrrev_b32_e32 v3, 16, v12
	v_cmp_ne_u16_sdwa s4, v3, v4 src0_sel:BYTE_0 src1_sel:DWORD
	s_and_saveexec_b32 s20, s4
	s_cbranch_execz .LBB259_1262
; %bb.1255:                             ;   in Loop: Header=BB259_809 Depth=1
	v_cmp_ne_u16_sdwa s4, v3, v48 src0_sel:BYTE_0 src1_sel:DWORD
	v_mov_b32_e32 v31, 0x8000
	s_and_saveexec_b32 s21, s4
	s_cbranch_execz .LBB259_1261
; %bb.1256:                             ;   in Loop: Header=BB259_809 Depth=1
	v_bfe_u32 v117, v12, 16, 7
	v_mov_b32_e32 v31, 0x7c01
	s_mov_b32 s22, exec_lo
	v_cmpx_ne_u32_e32 0x7f, v117
	s_cbranch_execz .LBB259_1260
; %bb.1257:                             ;   in Loop: Header=BB259_809 Depth=1
	v_and_b32_e32 v31, 7, v3
	v_lshrrev_b32_e32 v116, 3, v117
	s_mov_b32 s23, exec_lo
	v_cmpx_gt_u32_e32 8, v117
; %bb.1258:                             ;   in Loop: Header=BB259_809 Depth=1
	v_ffbh_u32_e32 v19, v31
	v_min_u32_e32 v19, 32, v19
	v_subrev_nc_u32_e32 v31, 28, v19
	v_sub_nc_u32_e32 v116, 29, v19
	v_lshlrev_b64 v[117:118], v31, v[3:4]
	v_and_b32_e32 v31, 7, v117
; %bb.1259:                             ;   in Loop: Header=BB259_809 Depth=1
	s_or_b32 exec_lo, exec_lo, s23
	v_lshlrev_b32_e32 v3, 8, v3
	v_lshl_add_u32 v19, v116, 10, 0x2000
	v_lshlrev_b32_e32 v31, 7, v31
	v_and_b32_e32 v3, 0x8000, v3
	v_and_b32_e32 v19, 0xfc00, v19
	v_or3_b32 v31, v3, v19, v31
.LBB259_1260:                           ;   in Loop: Header=BB259_809 Depth=1
	s_or_b32 exec_lo, exec_lo, s22
.LBB259_1261:                           ;   in Loop: Header=BB259_809 Depth=1
	s_or_b32 exec_lo, exec_lo, s21
.LBB259_1262:                           ;   in Loop: Header=BB259_809 Depth=1
	s_or_b32 exec_lo, exec_lo, s20
	v_cmp_lt_u64_e64 s4, s[6:7], v[11:12]
	v_mov_b32_e32 v11, 0
	s_and_saveexec_b32 s20, s4
	s_cbranch_execz .LBB259_1270
; %bb.1263:                             ;   in Loop: Header=BB259_809 Depth=1
	v_lshrrev_b32_e32 v3, 24, v12
	v_bfrev_b32_e32 v11, 1
	s_mov_b32 s21, exec_lo
	v_cmpx_ne_u32_e32 0x80, v3
	s_cbranch_execz .LBB259_1269
; %bb.1264:                             ;   in Loop: Header=BB259_809 Depth=1
	v_and_b32_e32 v116, 0x7f, v3
	v_mov_b32_e32 v11, 0x7c010000
	s_mov_b32 s22, exec_lo
	v_cmpx_ne_u32_e32 0x7f, v116
	s_cbranch_execz .LBB259_1268
; %bb.1265:                             ;   in Loop: Header=BB259_809 Depth=1
	v_and_b32_e32 v11, 7, v3
	v_lshrrev_b32_e32 v12, 3, v116
	s_mov_b32 s23, exec_lo
	v_cmpx_gt_u32_e32 8, v116
; %bb.1266:                             ;   in Loop: Header=BB259_809 Depth=1
	v_ffbh_u32_e32 v11, v11
	v_min_u32_e32 v19, 32, v11
	v_subrev_nc_u32_e32 v11, 28, v19
	v_lshlrev_b64 v[11:12], v11, v[3:4]
	v_sub_nc_u32_e32 v12, 29, v19
	v_and_b32_e32 v11, 7, v11
; %bb.1267:                             ;   in Loop: Header=BB259_809 Depth=1
	s_or_b32 exec_lo, exec_lo, s23
	v_lshlrev_b32_e32 v3, 8, v3
	v_lshl_add_u32 v12, v12, 10, 0x2000
	v_lshlrev_b32_e32 v11, 23, v11
	v_and_or_b32 v3, 0x8000, v3, v12
	v_lshl_or_b32 v11, v3, 16, v11
.LBB259_1268:                           ;   in Loop: Header=BB259_809 Depth=1
	s_or_b32 exec_lo, exec_lo, s22
.LBB259_1269:                           ;   in Loop: Header=BB259_809 Depth=1
	s_or_b32 exec_lo, exec_lo, s21
.LBB259_1270:                           ;   in Loop: Header=BB259_809 Depth=1
	s_or_b32 exec_lo, exec_lo, s20
	v_or_b32_e32 v3, v29, v30
	s_waitcnt vmcnt(0) lgkmcnt(0)
	v_fma_mixlo_f16 v12, v0, v29, 0 op_sel:[0,1,0] op_sel_hi:[0,1,0]
	v_or_b32_e32 v19, v1, v18
	v_or_b32_e32 v29, v115, v34
	;; [unrolled: 1-line block ×3, first 2 shown]
	v_fma_mixlo_f16 v18, v0, v1, 0 op_sel:[0,1,0] op_sel_hi:[0,1,0]
	v_fma_mixlo_f16 v3, v0, v3, 0 op_sel_hi:[0,1,0]
	v_lshlrev_b32_e32 v1, 16, v12
	v_fma_mixlo_f16 v12, v0, v19, 0 op_sel_hi:[0,1,0]
	v_fma_mixlo_f16 v19, v0, v115, 0 op_sel:[0,1,0] op_sel_hi:[0,1,0]
	v_fma_mixlo_f16 v29, v0, v29, 0 op_sel_hi:[0,1,0]
	v_fma_mixlo_f16 v31, v0, v11, 0 op_sel:[0,1,0] op_sel_hi:[0,1,0]
	v_fma_mixlo_f16 v34, v0, v30, 0 op_sel_hi:[0,1,0]
	v_lshlrev_b32_e32 v18, 16, v18
	v_and_b32_e32 v3, 0xffff, v3
	v_and_b32_e32 v116, 0xffff, v12
	v_lshlrev_b32_e32 v11, 16, v19
	v_and_b32_e32 v30, 0xffff, v29
	v_lshlrev_b32_e32 v0, 16, v31
	v_and_b32_e32 v12, 0xffff, v34
	v_or_b32_e32 v29, v1, v3
	v_or_b32_e32 v115, v18, v116
	;; [unrolled: 1-line block ×4, first 2 shown]
	s_and_saveexec_b32 s20, vcc_lo
	s_cbranch_execz .LBB259_1272
; %bb.1271:                             ;   in Loop: Header=BB259_809 Depth=1
	v_cmp_lt_i32_e64 s4, v67, v32
	v_cndmask_b32_e64 v19, 0, v116, s4
	v_cmp_lt_i32_e64 s4, v96, v32
	v_cndmask_b32_e64 v18, 0, v18, s4
	v_cmp_lt_i32_e64 s4, v87, v32
	v_or_b32_e32 v115, v19, v18
	v_cndmask_b32_e64 v3, 0, v3, s4
	v_cmp_lt_i32_e64 s4, v86, v32
	v_cndmask_b32_e64 v1, 0, v1, s4
	v_cmp_lt_i32_e64 s4, v84, v32
	v_or_b32_e32 v29, v3, v1
	;; [unrolled: 5-line block ×3, first 2 shown]
	v_cndmask_b32_e64 v12, 0, v12, s4
	v_cmp_lt_i32_e64 s4, v71, v32
	v_cndmask_b32_e64 v0, 0, v0, s4
	v_or_b32_e32 v31, v12, v0
.LBB259_1272:                           ;   in Loop: Header=BB259_809 Depth=1
	s_or_b32 exec_lo, exec_lo, s20
	;;#ASMSTART
	v_pk_mul_f16 v0, v85, v115;

	;;#ASMEND
	;;#ASMSTART
	v_pk_mul_f16 v1, v82, v29;

	;;#ASMEND
	;; [unrolled: 4-line block ×4, first 2 shown]
	;;#ASMSTART
	v_pk_add_f16 v0, v0, v1;

	;;#ASMEND
	;;#ASMSTART
	v_pk_add_f16 v0, v0, v3;

	;;#ASMEND
	;; [unrolled: 4-line block ×3, first 2 shown]
	v_and_b32_e32 v1, 0xffff, v0
	v_lshrrev_b32_e32 v0, 16, v0
	;;#ASMSTART
	v_cvt_f32_f16 v115, v1;
	;;#ASMEND
	;;#ASMSTART
	v_cvt_f32_f16 v116, v0;
	;;#ASMEND
	flat_load_dwordx2 v[11:12], v[9:10] offset:1792
	flat_load_dword v0, v[22:23]
	v_mov_b32_e32 v1, 0
	v_mov_b32_e32 v18, 0
	s_waitcnt vmcnt(1) lgkmcnt(1)
	v_cmp_ne_u16_sdwa s4, v11, v4 src0_sel:BYTE_0 src1_sel:DWORD
	s_and_saveexec_b32 s20, s4
	s_cbranch_execz .LBB259_1280
; %bb.1273:                             ;   in Loop: Header=BB259_809 Depth=1
	v_cmp_ne_u16_sdwa s4, v11, v48 src0_sel:BYTE_0 src1_sel:DWORD
	v_mov_b32_e32 v18, 0x8000
	s_and_saveexec_b32 s21, s4
	s_cbranch_execz .LBB259_1279
; %bb.1274:                             ;   in Loop: Header=BB259_809 Depth=1
	v_and_b32_e32 v29, 0x7f, v11
	v_mov_b32_e32 v18, 0x7c01
	s_mov_b32 s22, exec_lo
	v_cmpx_ne_u32_e32 0x7f, v29
	s_cbranch_execz .LBB259_1278
; %bb.1275:                             ;   in Loop: Header=BB259_809 Depth=1
	v_and_b32_e32 v3, 7, v11
	v_lshrrev_b32_e32 v18, 3, v29
	s_mov_b32 s23, exec_lo
	v_cmpx_gt_u32_e32 8, v29
; %bb.1276:                             ;   in Loop: Header=BB259_809 Depth=1
	v_ffbh_u32_e32 v3, v3
	v_min_u32_e32 v3, 32, v3
	v_subrev_nc_u32_e32 v18, 28, v3
	v_lshlrev_b64 v[29:30], v18, v[11:12]
	v_sub_nc_u32_e32 v18, 29, v3
	v_and_b32_e32 v3, 7, v29
; %bb.1277:                             ;   in Loop: Header=BB259_809 Depth=1
	s_or_b32 exec_lo, exec_lo, s23
	v_lshlrev_b32_e32 v19, 8, v11
	v_lshl_add_u32 v18, v18, 10, 0x2000
	v_lshlrev_b32_e32 v3, 7, v3
	v_and_b32_e32 v19, 0x8000, v19
	v_and_b32_e32 v18, 0xfc00, v18
	v_or3_b32 v18, v19, v18, v3
.LBB259_1278:                           ;   in Loop: Header=BB259_809 Depth=1
	s_or_b32 exec_lo, exec_lo, s22
.LBB259_1279:                           ;   in Loop: Header=BB259_809 Depth=1
	s_or_b32 exec_lo, exec_lo, s21
.LBB259_1280:                           ;   in Loop: Header=BB259_809 Depth=1
	s_or_b32 exec_lo, exec_lo, s20
	v_lshrrev_b16 v3, 8, v11
	s_mov_b32 s20, exec_lo
	v_cmpx_ne_u16_e32 0, v3
	s_cbranch_execz .LBB259_1288
; %bb.1281:                             ;   in Loop: Header=BB259_809 Depth=1
	v_bfrev_b32_e32 v1, 1
	s_mov_b32 s21, exec_lo
	v_cmpx_ne_u16_e32 0x80, v3
	s_cbranch_execz .LBB259_1287
; %bb.1282:                             ;   in Loop: Header=BB259_809 Depth=1
	v_and_b32_sdwa v30, v3, v50 dst_sel:DWORD dst_unused:UNUSED_PAD src0_sel:WORD_0 src1_sel:DWORD
	v_mov_b32_e32 v1, 0x7c010000
	s_mov_b32 s22, exec_lo
	v_cmpx_ne_u32_e32 0x7f, v30
	s_cbranch_execz .LBB259_1286
; %bb.1283:                             ;   in Loop: Header=BB259_809 Depth=1
	v_and_b32_sdwa v1, v3, v55 dst_sel:DWORD dst_unused:UNUSED_PAD src0_sel:WORD_0 src1_sel:DWORD
	v_lshrrev_b32_e32 v29, 3, v30
	s_mov_b32 s23, exec_lo
	v_cmpx_gt_u32_e32 8, v30
; %bb.1284:                             ;   in Loop: Header=BB259_809 Depth=1
	v_ffbh_u32_e32 v1, v1
	v_min_u32_e32 v1, 32, v1
	v_subrev_nc_u32_e32 v19, 28, v1
	v_sub_nc_u32_e32 v29, 29, v1
	v_lshlrev_b64 v[30:31], v19, v[3:4]
	v_and_b32_e32 v1, 7, v30
; %bb.1285:                             ;   in Loop: Header=BB259_809 Depth=1
	s_or_b32 exec_lo, exec_lo, s23
	v_lshlrev_b32_sdwa v3, v64, v3 dst_sel:DWORD dst_unused:UNUSED_PAD src0_sel:DWORD src1_sel:WORD_0
	v_lshl_add_u32 v19, v29, 10, 0x2000
	v_lshlrev_b32_e32 v1, 23, v1
	v_and_or_b32 v3, 0x8000, v3, v19
	v_lshl_or_b32 v1, v3, 16, v1
.LBB259_1286:                           ;   in Loop: Header=BB259_809 Depth=1
	s_or_b32 exec_lo, exec_lo, s22
.LBB259_1287:                           ;   in Loop: Header=BB259_809 Depth=1
	s_or_b32 exec_lo, exec_lo, s21
.LBB259_1288:                           ;   in Loop: Header=BB259_809 Depth=1
	s_or_b32 exec_lo, exec_lo, s20
	v_lshrrev_b32_e32 v3, 16, v11
	v_mov_b32_e32 v29, 0
	v_mov_b32_e32 v30, 0
	v_cmp_ne_u16_sdwa s4, v3, v4 src0_sel:BYTE_0 src1_sel:DWORD
	s_and_saveexec_b32 s20, s4
	s_cbranch_execz .LBB259_1296
; %bb.1289:                             ;   in Loop: Header=BB259_809 Depth=1
	v_cmp_ne_u16_sdwa s4, v3, v48 src0_sel:BYTE_0 src1_sel:DWORD
	v_mov_b32_e32 v30, 0x8000
	s_and_saveexec_b32 s21, s4
	s_cbranch_execz .LBB259_1295
; %bb.1290:                             ;   in Loop: Header=BB259_809 Depth=1
	v_bfe_u32 v34, v11, 16, 7
	v_mov_b32_e32 v30, 0x7c01
	s_mov_b32 s22, exec_lo
	v_cmpx_ne_u32_e32 0x7f, v34
	s_cbranch_execz .LBB259_1294
; %bb.1291:                             ;   in Loop: Header=BB259_809 Depth=1
	v_and_b32_e32 v30, 7, v3
	v_lshrrev_b32_e32 v31, 3, v34
	s_mov_b32 s23, exec_lo
	v_cmpx_gt_u32_e32 8, v34
; %bb.1292:                             ;   in Loop: Header=BB259_809 Depth=1
	v_ffbh_u32_e32 v19, v30
	v_min_u32_e32 v19, 32, v19
	v_subrev_nc_u32_e32 v30, 28, v19
	v_lshlrev_b64 v[30:31], v30, v[3:4]
	v_sub_nc_u32_e32 v31, 29, v19
	v_and_b32_e32 v30, 7, v30
; %bb.1293:                             ;   in Loop: Header=BB259_809 Depth=1
	s_or_b32 exec_lo, exec_lo, s23
	v_lshlrev_b32_e32 v3, 8, v3
	v_lshl_add_u32 v19, v31, 10, 0x2000
	v_lshlrev_b32_e32 v30, 7, v30
	v_and_b32_e32 v3, 0x8000, v3
	v_and_b32_e32 v19, 0xfc00, v19
	v_or3_b32 v30, v3, v19, v30
.LBB259_1294:                           ;   in Loop: Header=BB259_809 Depth=1
	s_or_b32 exec_lo, exec_lo, s22
.LBB259_1295:                           ;   in Loop: Header=BB259_809 Depth=1
	s_or_b32 exec_lo, exec_lo, s21
.LBB259_1296:                           ;   in Loop: Header=BB259_809 Depth=1
	s_or_b32 exec_lo, exec_lo, s20
	s_mov_b32 s20, exec_lo
	v_cmpx_lt_u32_e32 0xffffff, v11
	s_cbranch_execz .LBB259_1304
; %bb.1297:                             ;   in Loop: Header=BB259_809 Depth=1
	v_lshrrev_b32_e32 v3, 24, v11
	v_bfrev_b32_e32 v29, 1
	s_mov_b32 s21, exec_lo
	v_cmpx_ne_u32_e32 0x80, v3
	s_cbranch_execz .LBB259_1303
; %bb.1298:                             ;   in Loop: Header=BB259_809 Depth=1
	v_and_b32_e32 v34, 0x7f, v3
	v_mov_b32_e32 v29, 0x7c010000
	s_mov_b32 s22, exec_lo
	v_cmpx_ne_u32_e32 0x7f, v34
	s_cbranch_execz .LBB259_1302
; %bb.1299:                             ;   in Loop: Header=BB259_809 Depth=1
	v_and_b32_e32 v29, 7, v3
	v_lshrrev_b32_e32 v31, 3, v34
	s_mov_b32 s23, exec_lo
	v_cmpx_gt_u32_e32 8, v34
; %bb.1300:                             ;   in Loop: Header=BB259_809 Depth=1
	v_ffbh_u32_e32 v19, v29
	v_min_u32_e32 v19, 32, v19
	v_subrev_nc_u32_e32 v29, 28, v19
	v_sub_nc_u32_e32 v31, 29, v19
	v_lshlrev_b64 v[117:118], v29, v[3:4]
	v_and_b32_e32 v29, 7, v117
; %bb.1301:                             ;   in Loop: Header=BB259_809 Depth=1
	s_or_b32 exec_lo, exec_lo, s23
	v_lshlrev_b32_e32 v3, 8, v3
	v_lshl_add_u32 v19, v31, 10, 0x2000
	v_and_or_b32 v3, 0x8000, v3, v19
	v_lshlrev_b32_e32 v19, 23, v29
	v_lshl_or_b32 v29, v3, 16, v19
.LBB259_1302:                           ;   in Loop: Header=BB259_809 Depth=1
	s_or_b32 exec_lo, exec_lo, s22
.LBB259_1303:                           ;   in Loop: Header=BB259_809 Depth=1
	s_or_b32 exec_lo, exec_lo, s21
.LBB259_1304:                           ;   in Loop: Header=BB259_809 Depth=1
	s_or_b32 exec_lo, exec_lo, s20
	v_mov_b32_e32 v3, v12
	v_cmp_ne_u16_sdwa s4, v12, v4 src0_sel:BYTE_0 src1_sel:DWORD
	v_mov_b32_e32 v31, 0
	v_mov_b32_e32 v34, 0
	s_and_saveexec_b32 s20, s4
	s_cbranch_execz .LBB259_1312
; %bb.1305:                             ;   in Loop: Header=BB259_809 Depth=1
	v_cmp_ne_u16_sdwa s4, v12, v48 src0_sel:BYTE_0 src1_sel:DWORD
	v_mov_b32_e32 v34, 0x8000
	s_and_saveexec_b32 s21, s4
	s_cbranch_execz .LBB259_1311
; %bb.1306:                             ;   in Loop: Header=BB259_809 Depth=1
	v_and_b32_e32 v118, 0x7f, v12
	v_mov_b32_e32 v34, 0x7c01
	s_mov_b32 s22, exec_lo
	v_cmpx_ne_u32_e32 0x7f, v118
	s_cbranch_execz .LBB259_1310
; %bb.1307:                             ;   in Loop: Header=BB259_809 Depth=1
	v_and_b32_e32 v34, 7, v12
	v_lshrrev_b32_e32 v117, 3, v118
	s_mov_b32 s23, exec_lo
	v_cmpx_gt_u32_e32 8, v118
; %bb.1308:                             ;   in Loop: Header=BB259_809 Depth=1
	v_ffbh_u32_e32 v19, v34
	v_min_u32_e32 v19, 32, v19
	v_subrev_nc_u32_e32 v34, 28, v19
	v_sub_nc_u32_e32 v117, 29, v19
	v_lshlrev_b64 v[118:119], v34, v[3:4]
	v_and_b32_e32 v34, 7, v118
; %bb.1309:                             ;   in Loop: Header=BB259_809 Depth=1
	s_or_b32 exec_lo, exec_lo, s23
	v_lshlrev_b32_e32 v19, 8, v12
	v_lshl_add_u32 v117, v117, 10, 0x2000
	v_lshlrev_b32_e32 v34, 7, v34
	v_and_b32_e32 v19, 0x8000, v19
	v_and_b32_e32 v117, 0xfc00, v117
	v_or3_b32 v34, v19, v117, v34
.LBB259_1310:                           ;   in Loop: Header=BB259_809 Depth=1
	s_or_b32 exec_lo, exec_lo, s22
.LBB259_1311:                           ;   in Loop: Header=BB259_809 Depth=1
	s_or_b32 exec_lo, exec_lo, s21
.LBB259_1312:                           ;   in Loop: Header=BB259_809 Depth=1
	s_or_b32 exec_lo, exec_lo, s20
	v_lshrrev_b16 v3, 8, v3
	v_mov_b32_e32 v117, 0
	s_mov_b32 s20, exec_lo
	v_cmpx_ne_u16_e32 0, v3
	s_cbranch_execz .LBB259_1320
; %bb.1313:                             ;   in Loop: Header=BB259_809 Depth=1
	v_bfrev_b32_e32 v117, 1
	s_mov_b32 s21, exec_lo
	v_cmpx_ne_u16_e32 0x80, v3
	s_cbranch_execz .LBB259_1319
; %bb.1314:                             ;   in Loop: Header=BB259_809 Depth=1
	v_and_b32_sdwa v119, v3, v50 dst_sel:DWORD dst_unused:UNUSED_PAD src0_sel:WORD_0 src1_sel:DWORD
	v_mov_b32_e32 v117, 0x7c010000
	s_mov_b32 s22, exec_lo
	v_cmpx_ne_u32_e32 0x7f, v119
	s_cbranch_execz .LBB259_1318
; %bb.1315:                             ;   in Loop: Header=BB259_809 Depth=1
	v_and_b32_sdwa v117, v3, v55 dst_sel:DWORD dst_unused:UNUSED_PAD src0_sel:WORD_0 src1_sel:DWORD
	v_lshrrev_b32_e32 v118, 3, v119
	s_mov_b32 s23, exec_lo
	v_cmpx_gt_u32_e32 8, v119
; %bb.1316:                             ;   in Loop: Header=BB259_809 Depth=1
	v_ffbh_u32_e32 v19, v117
	v_min_u32_e32 v19, 32, v19
	v_subrev_nc_u32_e32 v117, 28, v19
	v_lshlrev_b64 v[117:118], v117, v[3:4]
	v_sub_nc_u32_e32 v118, 29, v19
	v_and_b32_e32 v117, 7, v117
; %bb.1317:                             ;   in Loop: Header=BB259_809 Depth=1
	s_or_b32 exec_lo, exec_lo, s23
	v_lshlrev_b32_sdwa v3, v64, v3 dst_sel:DWORD dst_unused:UNUSED_PAD src0_sel:DWORD src1_sel:WORD_0
	v_lshl_add_u32 v19, v118, 10, 0x2000
	v_and_or_b32 v3, 0x8000, v3, v19
	v_lshlrev_b32_e32 v19, 23, v117
	v_lshl_or_b32 v117, v3, 16, v19
.LBB259_1318:                           ;   in Loop: Header=BB259_809 Depth=1
	s_or_b32 exec_lo, exec_lo, s22
.LBB259_1319:                           ;   in Loop: Header=BB259_809 Depth=1
	s_or_b32 exec_lo, exec_lo, s21
.LBB259_1320:                           ;   in Loop: Header=BB259_809 Depth=1
	s_or_b32 exec_lo, exec_lo, s20
	v_lshrrev_b32_e32 v3, 16, v12
	v_cmp_ne_u16_sdwa s4, v3, v4 src0_sel:BYTE_0 src1_sel:DWORD
	s_and_saveexec_b32 s20, s4
	s_cbranch_execz .LBB259_1328
; %bb.1321:                             ;   in Loop: Header=BB259_809 Depth=1
	v_cmp_ne_u16_sdwa s4, v3, v48 src0_sel:BYTE_0 src1_sel:DWORD
	v_mov_b32_e32 v31, 0x8000
	s_and_saveexec_b32 s21, s4
	s_cbranch_execz .LBB259_1327
; %bb.1322:                             ;   in Loop: Header=BB259_809 Depth=1
	v_bfe_u32 v119, v12, 16, 7
	v_mov_b32_e32 v31, 0x7c01
	s_mov_b32 s22, exec_lo
	v_cmpx_ne_u32_e32 0x7f, v119
	s_cbranch_execz .LBB259_1326
; %bb.1323:                             ;   in Loop: Header=BB259_809 Depth=1
	v_and_b32_e32 v31, 7, v3
	v_lshrrev_b32_e32 v118, 3, v119
	s_mov_b32 s23, exec_lo
	v_cmpx_gt_u32_e32 8, v119
; %bb.1324:                             ;   in Loop: Header=BB259_809 Depth=1
	v_ffbh_u32_e32 v19, v31
	v_min_u32_e32 v19, 32, v19
	v_subrev_nc_u32_e32 v31, 28, v19
	v_sub_nc_u32_e32 v118, 29, v19
	v_lshlrev_b64 v[40:41], v31, v[3:4]
	v_and_b32_e32 v31, 7, v40
; %bb.1325:                             ;   in Loop: Header=BB259_809 Depth=1
	s_or_b32 exec_lo, exec_lo, s23
	v_lshlrev_b32_e32 v3, 8, v3
	v_lshl_add_u32 v19, v118, 10, 0x2000
	v_lshlrev_b32_e32 v31, 7, v31
	v_and_b32_e32 v3, 0x8000, v3
	v_and_b32_e32 v19, 0xfc00, v19
	v_or3_b32 v31, v3, v19, v31
.LBB259_1326:                           ;   in Loop: Header=BB259_809 Depth=1
	s_or_b32 exec_lo, exec_lo, s22
.LBB259_1327:                           ;   in Loop: Header=BB259_809 Depth=1
	s_or_b32 exec_lo, exec_lo, s21
.LBB259_1328:                           ;   in Loop: Header=BB259_809 Depth=1
	s_or_b32 exec_lo, exec_lo, s20
	v_cmp_lt_u64_e64 s4, s[6:7], v[11:12]
	v_mov_b32_e32 v11, 0
	s_and_saveexec_b32 s20, s4
	s_cbranch_execz .LBB259_1336
; %bb.1329:                             ;   in Loop: Header=BB259_809 Depth=1
	v_lshrrev_b32_e32 v3, 24, v12
	v_bfrev_b32_e32 v11, 1
	s_mov_b32 s21, exec_lo
	v_cmpx_ne_u32_e32 0x80, v3
	s_cbranch_execz .LBB259_1335
; %bb.1330:                             ;   in Loop: Header=BB259_809 Depth=1
	v_and_b32_e32 v118, 0x7f, v3
	v_mov_b32_e32 v11, 0x7c010000
	s_mov_b32 s22, exec_lo
	v_cmpx_ne_u32_e32 0x7f, v118
	s_cbranch_execz .LBB259_1334
; %bb.1331:                             ;   in Loop: Header=BB259_809 Depth=1
	v_and_b32_e32 v11, 7, v3
	v_lshrrev_b32_e32 v12, 3, v118
	s_mov_b32 s23, exec_lo
	v_cmpx_gt_u32_e32 8, v118
; %bb.1332:                             ;   in Loop: Header=BB259_809 Depth=1
	v_ffbh_u32_e32 v11, v11
	v_min_u32_e32 v19, 32, v11
	v_subrev_nc_u32_e32 v11, 28, v19
	v_lshlrev_b64 v[11:12], v11, v[3:4]
	v_sub_nc_u32_e32 v12, 29, v19
	v_and_b32_e32 v11, 7, v11
; %bb.1333:                             ;   in Loop: Header=BB259_809 Depth=1
	s_or_b32 exec_lo, exec_lo, s23
	v_lshlrev_b32_e32 v3, 8, v3
	v_lshl_add_u32 v12, v12, 10, 0x2000
	v_lshlrev_b32_e32 v11, 23, v11
	v_and_or_b32 v3, 0x8000, v3, v12
	v_lshl_or_b32 v11, v3, 16, v11
.LBB259_1334:                           ;   in Loop: Header=BB259_809 Depth=1
	s_or_b32 exec_lo, exec_lo, s22
.LBB259_1335:                           ;   in Loop: Header=BB259_809 Depth=1
	s_or_b32 exec_lo, exec_lo, s21
.LBB259_1336:                           ;   in Loop: Header=BB259_809 Depth=1
	s_or_b32 exec_lo, exec_lo, s20
	v_or_b32_e32 v3, v29, v30
	s_waitcnt vmcnt(0) lgkmcnt(0)
	v_fma_mixlo_f16 v12, v0, v29, 0 op_sel:[0,1,0] op_sel_hi:[0,1,0]
	v_or_b32_e32 v19, v1, v18
	v_or_b32_e32 v29, v117, v34
	;; [unrolled: 1-line block ×3, first 2 shown]
	v_fma_mixlo_f16 v18, v0, v1, 0 op_sel:[0,1,0] op_sel_hi:[0,1,0]
	v_fma_mixlo_f16 v3, v0, v3, 0 op_sel_hi:[0,1,0]
	v_lshlrev_b32_e32 v1, 16, v12
	v_fma_mixlo_f16 v12, v0, v19, 0 op_sel_hi:[0,1,0]
	v_fma_mixlo_f16 v19, v0, v117, 0 op_sel:[0,1,0] op_sel_hi:[0,1,0]
	v_fma_mixlo_f16 v29, v0, v29, 0 op_sel_hi:[0,1,0]
	v_fma_mixlo_f16 v31, v0, v11, 0 op_sel:[0,1,0] op_sel_hi:[0,1,0]
	v_fma_mixlo_f16 v34, v0, v30, 0 op_sel_hi:[0,1,0]
	v_lshlrev_b32_e32 v18, 16, v18
	v_and_b32_e32 v3, 0xffff, v3
	v_and_b32_e32 v118, 0xffff, v12
	v_lshlrev_b32_e32 v11, 16, v19
	v_and_b32_e32 v30, 0xffff, v29
	v_lshlrev_b32_e32 v0, 16, v31
	v_and_b32_e32 v12, 0xffff, v34
	v_or_b32_e32 v29, v1, v3
	v_or_b32_e32 v117, v18, v118
	;; [unrolled: 1-line block ×4, first 2 shown]
	s_and_saveexec_b32 s20, vcc_lo
	s_cbranch_execz .LBB259_1338
; %bb.1337:                             ;   in Loop: Header=BB259_809 Depth=1
	v_cmp_lt_i32_e64 s4, v67, v32
	v_cndmask_b32_e64 v19, 0, v118, s4
	v_cmp_lt_i32_e64 s4, v96, v32
	v_cndmask_b32_e64 v18, 0, v18, s4
	v_cmp_lt_i32_e64 s4, v87, v32
	v_or_b32_e32 v117, v19, v18
	v_cndmask_b32_e64 v3, 0, v3, s4
	v_cmp_lt_i32_e64 s4, v86, v32
	v_cndmask_b32_e64 v1, 0, v1, s4
	v_cmp_lt_i32_e64 s4, v84, v32
	v_or_b32_e32 v29, v3, v1
	;; [unrolled: 5-line block ×3, first 2 shown]
	v_cndmask_b32_e64 v12, 0, v12, s4
	v_cmp_lt_i32_e64 s4, v71, v32
	v_cndmask_b32_e64 v0, 0, v0, s4
	v_or_b32_e32 v31, v12, v0
.LBB259_1338:                           ;   in Loop: Header=BB259_809 Depth=1
	s_or_b32 exec_lo, exec_lo, s20
	v_add_co_u32 v9, s4, 0x800, v9
	;;#ASMSTART
	v_pk_mul_f16 v0, v85, v117;

	;;#ASMEND
	v_add_co_ci_u32_e64 v10, null, 0, v10, s4
	;;#ASMSTART
	v_pk_mul_f16 v1, v82, v29;

	;;#ASMEND
	;;#ASMSTART
	v_pk_mul_f16 v3, v80, v34;

	;;#ASMEND
	;; [unrolled: 4-line block ×3, first 2 shown]
	;;#ASMSTART
	v_pk_add_f16 v0, v0, v1;

	;;#ASMEND
	;;#ASMSTART
	v_pk_add_f16 v0, v0, v3;

	;;#ASMEND
	;; [unrolled: 4-line block ×3, first 2 shown]
	v_lshrrev_b32_e32 v1, 16, v0
	v_and_b32_e32 v0, 0xffff, v0
	;;#ASMSTART
	v_cvt_f32_f16 v0, v0;
	;;#ASMEND
	;;#ASMSTART
	v_cvt_f32_f16 v1, v1;
	;;#ASMEND
	flat_load_dwordx2 v[11:12], v[9:10]
	flat_load_dword v18, v[22:23]
	v_mov_b32_e32 v29, 0
	v_mov_b32_e32 v30, 0
	s_waitcnt vmcnt(1) lgkmcnt(1)
	v_cmp_ne_u16_sdwa s4, v11, v4 src0_sel:BYTE_0 src1_sel:DWORD
	s_and_saveexec_b32 s20, s4
	s_cbranch_execz .LBB259_1346
; %bb.1339:                             ;   in Loop: Header=BB259_809 Depth=1
	v_cmp_ne_u16_sdwa s4, v11, v48 src0_sel:BYTE_0 src1_sel:DWORD
	v_mov_b32_e32 v30, 0x8000
	s_and_saveexec_b32 s21, s4
	s_cbranch_execz .LBB259_1345
; %bb.1340:                             ;   in Loop: Header=BB259_809 Depth=1
	v_and_b32_e32 v31, 0x7f, v11
	v_mov_b32_e32 v30, 0x7c01
	s_mov_b32 s22, exec_lo
	v_cmpx_ne_u32_e32 0x7f, v31
	s_cbranch_execz .LBB259_1344
; %bb.1341:                             ;   in Loop: Header=BB259_809 Depth=1
	v_and_b32_e32 v3, 7, v11
	v_lshrrev_b32_e32 v30, 3, v31
	s_mov_b32 s23, exec_lo
	v_cmpx_gt_u32_e32 8, v31
; %bb.1342:                             ;   in Loop: Header=BB259_809 Depth=1
	v_ffbh_u32_e32 v3, v3
	v_min_u32_e32 v3, 32, v3
	v_subrev_nc_u32_e32 v19, 28, v3
	v_sub_nc_u32_e32 v30, 29, v3
	v_lshlrev_b64 v[117:118], v19, v[11:12]
	v_and_b32_e32 v3, 7, v117
; %bb.1343:                             ;   in Loop: Header=BB259_809 Depth=1
	s_or_b32 exec_lo, exec_lo, s23
	v_lshlrev_b32_e32 v19, 8, v11
	v_lshl_add_u32 v30, v30, 10, 0x2000
	v_lshlrev_b32_e32 v3, 7, v3
	v_and_b32_e32 v19, 0x8000, v19
	v_and_b32_e32 v30, 0xfc00, v30
	v_or3_b32 v30, v19, v30, v3
.LBB259_1344:                           ;   in Loop: Header=BB259_809 Depth=1
	s_or_b32 exec_lo, exec_lo, s22
.LBB259_1345:                           ;   in Loop: Header=BB259_809 Depth=1
	s_or_b32 exec_lo, exec_lo, s21
.LBB259_1346:                           ;   in Loop: Header=BB259_809 Depth=1
	s_or_b32 exec_lo, exec_lo, s20
	v_lshrrev_b16 v3, 8, v11
	s_mov_b32 s20, exec_lo
	v_cmpx_ne_u16_e32 0, v3
	s_cbranch_execz .LBB259_1354
; %bb.1347:                             ;   in Loop: Header=BB259_809 Depth=1
	v_bfrev_b32_e32 v29, 1
	s_mov_b32 s21, exec_lo
	v_cmpx_ne_u16_e32 0x80, v3
	s_cbranch_execz .LBB259_1353
; %bb.1348:                             ;   in Loop: Header=BB259_809 Depth=1
	v_and_b32_sdwa v34, v3, v50 dst_sel:DWORD dst_unused:UNUSED_PAD src0_sel:WORD_0 src1_sel:DWORD
	v_mov_b32_e32 v29, 0x7c010000
	s_mov_b32 s22, exec_lo
	v_cmpx_ne_u32_e32 0x7f, v34
	s_cbranch_execz .LBB259_1352
; %bb.1349:                             ;   in Loop: Header=BB259_809 Depth=1
	v_and_b32_sdwa v29, v3, v55 dst_sel:DWORD dst_unused:UNUSED_PAD src0_sel:WORD_0 src1_sel:DWORD
	v_lshrrev_b32_e32 v31, 3, v34
	s_mov_b32 s23, exec_lo
	v_cmpx_gt_u32_e32 8, v34
; %bb.1350:                             ;   in Loop: Header=BB259_809 Depth=1
	v_ffbh_u32_e32 v19, v29
	v_min_u32_e32 v19, 32, v19
	v_subrev_nc_u32_e32 v29, 28, v19
	v_sub_nc_u32_e32 v31, 29, v19
	v_lshlrev_b64 v[117:118], v29, v[3:4]
	v_and_b32_e32 v29, 7, v117
; %bb.1351:                             ;   in Loop: Header=BB259_809 Depth=1
	s_or_b32 exec_lo, exec_lo, s23
	v_lshlrev_b32_sdwa v3, v64, v3 dst_sel:DWORD dst_unused:UNUSED_PAD src0_sel:DWORD src1_sel:WORD_0
	v_lshl_add_u32 v19, v31, 10, 0x2000
	v_and_or_b32 v3, 0x8000, v3, v19
	v_lshlrev_b32_e32 v19, 23, v29
	v_lshl_or_b32 v29, v3, 16, v19
.LBB259_1352:                           ;   in Loop: Header=BB259_809 Depth=1
	s_or_b32 exec_lo, exec_lo, s22
.LBB259_1353:                           ;   in Loop: Header=BB259_809 Depth=1
	s_or_b32 exec_lo, exec_lo, s21
.LBB259_1354:                           ;   in Loop: Header=BB259_809 Depth=1
	s_or_b32 exec_lo, exec_lo, s20
	v_lshrrev_b32_e32 v3, 16, v11
	v_mov_b32_e32 v31, 0
	v_mov_b32_e32 v34, 0
	v_cmp_ne_u16_sdwa s4, v3, v4 src0_sel:BYTE_0 src1_sel:DWORD
	s_and_saveexec_b32 s20, s4
	s_cbranch_execz .LBB259_1362
; %bb.1355:                             ;   in Loop: Header=BB259_809 Depth=1
	v_cmp_ne_u16_sdwa s4, v3, v48 src0_sel:BYTE_0 src1_sel:DWORD
	v_mov_b32_e32 v34, 0x8000
	s_and_saveexec_b32 s21, s4
	s_cbranch_execz .LBB259_1361
; %bb.1356:                             ;   in Loop: Header=BB259_809 Depth=1
	v_bfe_u32 v118, v11, 16, 7
	v_mov_b32_e32 v34, 0x7c01
	s_mov_b32 s22, exec_lo
	v_cmpx_ne_u32_e32 0x7f, v118
	s_cbranch_execz .LBB259_1360
; %bb.1357:                             ;   in Loop: Header=BB259_809 Depth=1
	v_and_b32_e32 v34, 7, v3
	v_lshrrev_b32_e32 v117, 3, v118
	s_mov_b32 s23, exec_lo
	v_cmpx_gt_u32_e32 8, v118
; %bb.1358:                             ;   in Loop: Header=BB259_809 Depth=1
	v_ffbh_u32_e32 v19, v34
	v_min_u32_e32 v19, 32, v19
	v_subrev_nc_u32_e32 v34, 28, v19
	v_sub_nc_u32_e32 v117, 29, v19
	v_lshlrev_b64 v[118:119], v34, v[3:4]
	v_and_b32_e32 v34, 7, v118
; %bb.1359:                             ;   in Loop: Header=BB259_809 Depth=1
	s_or_b32 exec_lo, exec_lo, s23
	v_lshlrev_b32_e32 v3, 8, v3
	v_lshl_add_u32 v19, v117, 10, 0x2000
	v_lshlrev_b32_e32 v34, 7, v34
	v_and_b32_e32 v3, 0x8000, v3
	v_and_b32_e32 v19, 0xfc00, v19
	v_or3_b32 v34, v3, v19, v34
.LBB259_1360:                           ;   in Loop: Header=BB259_809 Depth=1
	s_or_b32 exec_lo, exec_lo, s22
.LBB259_1361:                           ;   in Loop: Header=BB259_809 Depth=1
	s_or_b32 exec_lo, exec_lo, s21
.LBB259_1362:                           ;   in Loop: Header=BB259_809 Depth=1
	s_or_b32 exec_lo, exec_lo, s20
	s_mov_b32 s20, exec_lo
	v_cmpx_lt_u32_e32 0xffffff, v11
	s_cbranch_execz .LBB259_1370
; %bb.1363:                             ;   in Loop: Header=BB259_809 Depth=1
	v_lshrrev_b32_e32 v3, 24, v11
	v_bfrev_b32_e32 v31, 1
	s_mov_b32 s21, exec_lo
	v_cmpx_ne_u32_e32 0x80, v3
	s_cbranch_execz .LBB259_1369
; %bb.1364:                             ;   in Loop: Header=BB259_809 Depth=1
	v_and_b32_e32 v118, 0x7f, v3
	v_mov_b32_e32 v31, 0x7c010000
	s_mov_b32 s22, exec_lo
	v_cmpx_ne_u32_e32 0x7f, v118
	s_cbranch_execz .LBB259_1368
; %bb.1365:                             ;   in Loop: Header=BB259_809 Depth=1
	v_and_b32_e32 v31, 7, v3
	v_lshrrev_b32_e32 v117, 3, v118
	s_mov_b32 s23, exec_lo
	v_cmpx_gt_u32_e32 8, v118
; %bb.1366:                             ;   in Loop: Header=BB259_809 Depth=1
	v_ffbh_u32_e32 v19, v31
	v_min_u32_e32 v19, 32, v19
	v_subrev_nc_u32_e32 v31, 28, v19
	v_sub_nc_u32_e32 v117, 29, v19
	v_lshlrev_b64 v[118:119], v31, v[3:4]
	v_and_b32_e32 v31, 7, v118
; %bb.1367:                             ;   in Loop: Header=BB259_809 Depth=1
	s_or_b32 exec_lo, exec_lo, s23
	v_lshlrev_b32_e32 v3, 8, v3
	v_lshl_add_u32 v19, v117, 10, 0x2000
	v_and_or_b32 v3, 0x8000, v3, v19
	v_lshlrev_b32_e32 v19, 23, v31
	v_lshl_or_b32 v31, v3, 16, v19
.LBB259_1368:                           ;   in Loop: Header=BB259_809 Depth=1
	s_or_b32 exec_lo, exec_lo, s22
.LBB259_1369:                           ;   in Loop: Header=BB259_809 Depth=1
	s_or_b32 exec_lo, exec_lo, s21
.LBB259_1370:                           ;   in Loop: Header=BB259_809 Depth=1
	s_or_b32 exec_lo, exec_lo, s20
	v_mov_b32_e32 v3, v12
	v_cmp_ne_u16_sdwa s4, v12, v4 src0_sel:BYTE_0 src1_sel:DWORD
	v_mov_b32_e32 v117, 0
	v_mov_b32_e32 v118, 0
	s_and_saveexec_b32 s20, s4
	s_cbranch_execz .LBB259_1378
; %bb.1371:                             ;   in Loop: Header=BB259_809 Depth=1
	v_cmp_ne_u16_sdwa s4, v12, v48 src0_sel:BYTE_0 src1_sel:DWORD
	v_mov_b32_e32 v118, 0x8000
	s_and_saveexec_b32 s21, s4
	s_cbranch_execz .LBB259_1377
; %bb.1372:                             ;   in Loop: Header=BB259_809 Depth=1
	v_and_b32_e32 v40, 0x7f, v12
	v_mov_b32_e32 v118, 0x7c01
	s_mov_b32 s22, exec_lo
	v_cmpx_ne_u32_e32 0x7f, v40
	s_cbranch_execz .LBB259_1376
; %bb.1373:                             ;   in Loop: Header=BB259_809 Depth=1
	v_and_b32_e32 v118, 7, v12
	v_lshrrev_b32_e32 v119, 3, v40
	s_mov_b32 s23, exec_lo
	v_cmpx_gt_u32_e32 8, v40
; %bb.1374:                             ;   in Loop: Header=BB259_809 Depth=1
	v_ffbh_u32_e32 v19, v118
	v_min_u32_e32 v19, 32, v19
	v_subrev_nc_u32_e32 v118, 28, v19
	v_lshlrev_b64 v[118:119], v118, v[3:4]
	v_sub_nc_u32_e32 v119, 29, v19
	v_and_b32_e32 v118, 7, v118
; %bb.1375:                             ;   in Loop: Header=BB259_809 Depth=1
	s_or_b32 exec_lo, exec_lo, s23
	v_lshlrev_b32_e32 v19, 8, v12
	v_lshl_add_u32 v119, v119, 10, 0x2000
	v_lshlrev_b32_e32 v118, 7, v118
	v_and_b32_e32 v19, 0x8000, v19
	v_and_b32_e32 v119, 0xfc00, v119
	v_or3_b32 v118, v19, v119, v118
.LBB259_1376:                           ;   in Loop: Header=BB259_809 Depth=1
	s_or_b32 exec_lo, exec_lo, s22
.LBB259_1377:                           ;   in Loop: Header=BB259_809 Depth=1
	s_or_b32 exec_lo, exec_lo, s21
.LBB259_1378:                           ;   in Loop: Header=BB259_809 Depth=1
	s_or_b32 exec_lo, exec_lo, s20
	v_lshrrev_b16 v3, 8, v3
	v_mov_b32_e32 v119, 0
	s_mov_b32 s20, exec_lo
	v_cmpx_ne_u16_e32 0, v3
	s_cbranch_execz .LBB259_1386
; %bb.1379:                             ;   in Loop: Header=BB259_809 Depth=1
	v_bfrev_b32_e32 v119, 1
	s_mov_b32 s21, exec_lo
	v_cmpx_ne_u16_e32 0x80, v3
	s_cbranch_execz .LBB259_1385
; %bb.1380:                             ;   in Loop: Header=BB259_809 Depth=1
	v_and_b32_sdwa v41, v3, v50 dst_sel:DWORD dst_unused:UNUSED_PAD src0_sel:WORD_0 src1_sel:DWORD
	v_mov_b32_e32 v119, 0x7c010000
	s_mov_b32 s22, exec_lo
	v_cmpx_ne_u32_e32 0x7f, v41
	s_cbranch_execz .LBB259_1384
; %bb.1381:                             ;   in Loop: Header=BB259_809 Depth=1
	v_and_b32_sdwa v119, v3, v55 dst_sel:DWORD dst_unused:UNUSED_PAD src0_sel:WORD_0 src1_sel:DWORD
	v_lshrrev_b32_e32 v40, 3, v41
	s_mov_b32 s23, exec_lo
	v_cmpx_gt_u32_e32 8, v41
; %bb.1382:                             ;   in Loop: Header=BB259_809 Depth=1
	v_ffbh_u32_e32 v19, v119
	v_min_u32_e32 v19, 32, v19
	v_subrev_nc_u32_e32 v119, 28, v19
	v_sub_nc_u32_e32 v40, 29, v19
	v_lshlrev_b64 v[41:42], v119, v[3:4]
	v_and_b32_e32 v119, 7, v41
; %bb.1383:                             ;   in Loop: Header=BB259_809 Depth=1
	s_or_b32 exec_lo, exec_lo, s23
	v_lshlrev_b32_sdwa v3, v64, v3 dst_sel:DWORD dst_unused:UNUSED_PAD src0_sel:DWORD src1_sel:WORD_0
	v_lshl_add_u32 v19, v40, 10, 0x2000
	v_and_or_b32 v3, 0x8000, v3, v19
	v_lshlrev_b32_e32 v19, 23, v119
	v_lshl_or_b32 v119, v3, 16, v19
.LBB259_1384:                           ;   in Loop: Header=BB259_809 Depth=1
	s_or_b32 exec_lo, exec_lo, s22
.LBB259_1385:                           ;   in Loop: Header=BB259_809 Depth=1
	s_or_b32 exec_lo, exec_lo, s21
.LBB259_1386:                           ;   in Loop: Header=BB259_809 Depth=1
	s_or_b32 exec_lo, exec_lo, s20
	v_lshrrev_b32_e32 v3, 16, v12
	v_cmp_ne_u16_sdwa s4, v3, v4 src0_sel:BYTE_0 src1_sel:DWORD
	s_and_saveexec_b32 s20, s4
	s_cbranch_execz .LBB259_1394
; %bb.1387:                             ;   in Loop: Header=BB259_809 Depth=1
	v_cmp_ne_u16_sdwa s4, v3, v48 src0_sel:BYTE_0 src1_sel:DWORD
	v_mov_b32_e32 v117, 0x8000
	s_and_saveexec_b32 s21, s4
	s_cbranch_execz .LBB259_1393
; %bb.1388:                             ;   in Loop: Header=BB259_809 Depth=1
	v_bfe_u32 v41, v12, 16, 7
	v_mov_b32_e32 v117, 0x7c01
	s_mov_b32 s22, exec_lo
	v_cmpx_ne_u32_e32 0x7f, v41
	s_cbranch_execz .LBB259_1392
; %bb.1389:                             ;   in Loop: Header=BB259_809 Depth=1
	v_and_b32_e32 v117, 7, v3
	v_lshrrev_b32_e32 v40, 3, v41
	s_mov_b32 s23, exec_lo
	v_cmpx_gt_u32_e32 8, v41
; %bb.1390:                             ;   in Loop: Header=BB259_809 Depth=1
	v_ffbh_u32_e32 v19, v117
	v_min_u32_e32 v19, 32, v19
	v_subrev_nc_u32_e32 v117, 28, v19
	v_sub_nc_u32_e32 v40, 29, v19
	v_lshlrev_b64 v[41:42], v117, v[3:4]
	v_and_b32_e32 v117, 7, v41
; %bb.1391:                             ;   in Loop: Header=BB259_809 Depth=1
	s_or_b32 exec_lo, exec_lo, s23
	v_lshlrev_b32_e32 v3, 8, v3
	v_lshl_add_u32 v19, v40, 10, 0x2000
	v_lshlrev_b32_e32 v117, 7, v117
	v_and_b32_e32 v3, 0x8000, v3
	v_and_b32_e32 v19, 0xfc00, v19
	v_or3_b32 v117, v3, v19, v117
.LBB259_1392:                           ;   in Loop: Header=BB259_809 Depth=1
	s_or_b32 exec_lo, exec_lo, s22
.LBB259_1393:                           ;   in Loop: Header=BB259_809 Depth=1
	s_or_b32 exec_lo, exec_lo, s21
.LBB259_1394:                           ;   in Loop: Header=BB259_809 Depth=1
	s_or_b32 exec_lo, exec_lo, s20
	v_cmp_lt_u64_e64 s4, s[6:7], v[11:12]
	v_mov_b32_e32 v11, 0
	s_and_saveexec_b32 s20, s4
	s_cbranch_execz .LBB259_1402
; %bb.1395:                             ;   in Loop: Header=BB259_809 Depth=1
	v_lshrrev_b32_e32 v3, 24, v12
	v_bfrev_b32_e32 v11, 1
	s_mov_b32 s21, exec_lo
	v_cmpx_ne_u32_e32 0x80, v3
	s_cbranch_execz .LBB259_1401
; %bb.1396:                             ;   in Loop: Header=BB259_809 Depth=1
	v_and_b32_e32 v40, 0x7f, v3
	v_mov_b32_e32 v11, 0x7c010000
	s_mov_b32 s22, exec_lo
	v_cmpx_ne_u32_e32 0x7f, v40
	s_cbranch_execz .LBB259_1400
; %bb.1397:                             ;   in Loop: Header=BB259_809 Depth=1
	v_and_b32_e32 v11, 7, v3
	v_lshrrev_b32_e32 v12, 3, v40
	s_mov_b32 s23, exec_lo
	v_cmpx_gt_u32_e32 8, v40
; %bb.1398:                             ;   in Loop: Header=BB259_809 Depth=1
	v_ffbh_u32_e32 v11, v11
	v_min_u32_e32 v19, 32, v11
	v_subrev_nc_u32_e32 v11, 28, v19
	v_lshlrev_b64 v[11:12], v11, v[3:4]
	v_sub_nc_u32_e32 v12, 29, v19
	v_and_b32_e32 v11, 7, v11
; %bb.1399:                             ;   in Loop: Header=BB259_809 Depth=1
	s_or_b32 exec_lo, exec_lo, s23
	v_lshlrev_b32_e32 v3, 8, v3
	v_lshl_add_u32 v12, v12, 10, 0x2000
	v_lshlrev_b32_e32 v11, 23, v11
	v_and_or_b32 v3, 0x8000, v3, v12
	v_lshl_or_b32 v11, v3, 16, v11
.LBB259_1400:                           ;   in Loop: Header=BB259_809 Depth=1
	s_or_b32 exec_lo, exec_lo, s22
.LBB259_1401:                           ;   in Loop: Header=BB259_809 Depth=1
	s_or_b32 exec_lo, exec_lo, s21
.LBB259_1402:                           ;   in Loop: Header=BB259_809 Depth=1
	s_or_b32 exec_lo, exec_lo, s20
	v_or_b32_e32 v3, v31, v34
	s_waitcnt vmcnt(0) lgkmcnt(0)
	v_fma_mixlo_f16 v12, v18, v31, 0 op_sel:[0,1,0] op_sel_hi:[0,1,0]
	v_or_b32_e32 v19, v29, v30
	v_fma_mixlo_f16 v29, v18, v29, 0 op_sel:[0,1,0] op_sel_hi:[0,1,0]
	v_or_b32_e32 v31, v119, v118
	v_or_b32_e32 v117, v11, v117
	v_fma_mixlo_f16 v34, v18, v3, 0 op_sel_hi:[0,1,0]
	v_fma_mixlo_f16 v19, v18, v19, 0 op_sel_hi:[0,1,0]
	v_lshlrev_b32_e32 v30, 16, v29
	v_fma_mixlo_f16 v29, v18, v119, 0 op_sel:[0,1,0] op_sel_hi:[0,1,0]
	v_fma_mixlo_f16 v31, v18, v31, 0 op_sel_hi:[0,1,0]
	v_fma_mixlo_f16 v11, v18, v11, 0 op_sel:[0,1,0] op_sel_hi:[0,1,0]
	v_fma_mixlo_f16 v117, v18, v117, 0 op_sel_hi:[0,1,0]
	v_lshlrev_b32_e32 v3, 16, v12
	v_and_b32_e32 v12, 0xffff, v34
	v_and_b32_e32 v40, 0xffff, v19
	v_lshlrev_b32_e32 v18, 16, v29
	v_and_b32_e32 v34, 0xffff, v31
	v_lshlrev_b32_e32 v11, 16, v11
	v_and_b32_e32 v29, 0xffff, v117
	v_or_b32_e32 v31, v3, v12
	v_or_b32_e32 v119, v30, v40
	;; [unrolled: 1-line block ×4, first 2 shown]
	s_and_saveexec_b32 s20, vcc_lo
	s_cbranch_execz .LBB259_1404
; %bb.1403:                             ;   in Loop: Header=BB259_809 Depth=1
	v_cmp_lt_i32_e64 s4, v67, v32
	v_cndmask_b32_e64 v19, 0, v40, s4
	v_cmp_lt_i32_e64 s4, v96, v32
	v_cndmask_b32_e64 v30, 0, v30, s4
	v_cmp_lt_i32_e64 s4, v87, v32
	v_or_b32_e32 v119, v19, v30
	v_cndmask_b32_e64 v12, 0, v12, s4
	v_cmp_lt_i32_e64 s4, v86, v32
	v_cndmask_b32_e64 v3, 0, v3, s4
	v_cmp_lt_i32_e64 s4, v84, v32
	v_or_b32_e32 v31, v12, v3
	;; [unrolled: 5-line block ×3, first 2 shown]
	v_cndmask_b32_e64 v29, 0, v29, s4
	v_cmp_lt_i32_e64 s4, v71, v32
	v_cndmask_b32_e64 v11, 0, v11, s4
	v_or_b32_e32 v117, v29, v11
.LBB259_1404:                           ;   in Loop: Header=BB259_809 Depth=1
	s_or_b32 exec_lo, exec_lo, s20
	;;#ASMSTART
	v_pk_mul_f16 v3, v85, v119;

	;;#ASMEND
	;;#ASMSTART
	v_pk_mul_f16 v11, v82, v31;

	;;#ASMEND
	;; [unrolled: 4-line block ×4, first 2 shown]
	;;#ASMSTART
	v_pk_add_f16 v3, v3, v11;

	;;#ASMEND
	;;#ASMSTART
	v_pk_add_f16 v3, v3, v12;

	;;#ASMEND
	;; [unrolled: 4-line block ×3, first 2 shown]
	v_and_b32_e32 v11, 0xffff, v3
	v_lshrrev_b32_e32 v3, 16, v3
	;;#ASMSTART
	v_cvt_f32_f16 v18, v11;
	;;#ASMEND
	;;#ASMSTART
	v_cvt_f32_f16 v29, v3;
	;;#ASMEND
	flat_load_dwordx2 v[11:12], v[9:10] offset:256
	flat_load_dword v30, v[22:23]
	v_mov_b32_e32 v31, 0
	v_mov_b32_e32 v34, 0
	s_waitcnt vmcnt(1) lgkmcnt(1)
	v_cmp_ne_u16_sdwa s4, v11, v4 src0_sel:BYTE_0 src1_sel:DWORD
	s_and_saveexec_b32 s20, s4
	s_cbranch_execz .LBB259_1412
; %bb.1405:                             ;   in Loop: Header=BB259_809 Depth=1
	v_cmp_ne_u16_sdwa s4, v11, v48 src0_sel:BYTE_0 src1_sel:DWORD
	v_mov_b32_e32 v34, 0x8000
	s_and_saveexec_b32 s21, s4
	s_cbranch_execz .LBB259_1411
; %bb.1406:                             ;   in Loop: Header=BB259_809 Depth=1
	v_and_b32_e32 v117, 0x7f, v11
	v_mov_b32_e32 v34, 0x7c01
	s_mov_b32 s22, exec_lo
	v_cmpx_ne_u32_e32 0x7f, v117
	s_cbranch_execz .LBB259_1410
; %bb.1407:                             ;   in Loop: Header=BB259_809 Depth=1
	v_and_b32_e32 v3, 7, v11
	v_lshrrev_b32_e32 v34, 3, v117
	s_mov_b32 s23, exec_lo
	v_cmpx_gt_u32_e32 8, v117
; %bb.1408:                             ;   in Loop: Header=BB259_809 Depth=1
	v_ffbh_u32_e32 v3, v3
	v_min_u32_e32 v3, 32, v3
	v_subrev_nc_u32_e32 v19, 28, v3
	v_sub_nc_u32_e32 v34, 29, v3
	v_lshlrev_b64 v[117:118], v19, v[11:12]
	v_and_b32_e32 v3, 7, v117
; %bb.1409:                             ;   in Loop: Header=BB259_809 Depth=1
	s_or_b32 exec_lo, exec_lo, s23
	v_lshlrev_b32_e32 v19, 8, v11
	v_lshl_add_u32 v34, v34, 10, 0x2000
	v_lshlrev_b32_e32 v3, 7, v3
	v_and_b32_e32 v19, 0x8000, v19
	v_and_b32_e32 v34, 0xfc00, v34
	v_or3_b32 v34, v19, v34, v3
.LBB259_1410:                           ;   in Loop: Header=BB259_809 Depth=1
	s_or_b32 exec_lo, exec_lo, s22
.LBB259_1411:                           ;   in Loop: Header=BB259_809 Depth=1
	s_or_b32 exec_lo, exec_lo, s21
.LBB259_1412:                           ;   in Loop: Header=BB259_809 Depth=1
	s_or_b32 exec_lo, exec_lo, s20
	v_lshrrev_b16 v3, 8, v11
	s_mov_b32 s20, exec_lo
	v_cmpx_ne_u16_e32 0, v3
	s_cbranch_execz .LBB259_1420
; %bb.1413:                             ;   in Loop: Header=BB259_809 Depth=1
	v_bfrev_b32_e32 v31, 1
	s_mov_b32 s21, exec_lo
	v_cmpx_ne_u16_e32 0x80, v3
	s_cbranch_execz .LBB259_1419
; %bb.1414:                             ;   in Loop: Header=BB259_809 Depth=1
	v_and_b32_sdwa v118, v3, v50 dst_sel:DWORD dst_unused:UNUSED_PAD src0_sel:WORD_0 src1_sel:DWORD
	v_mov_b32_e32 v31, 0x7c010000
	s_mov_b32 s22, exec_lo
	v_cmpx_ne_u32_e32 0x7f, v118
	s_cbranch_execz .LBB259_1418
; %bb.1415:                             ;   in Loop: Header=BB259_809 Depth=1
	v_and_b32_sdwa v31, v3, v55 dst_sel:DWORD dst_unused:UNUSED_PAD src0_sel:WORD_0 src1_sel:DWORD
	v_lshrrev_b32_e32 v117, 3, v118
	s_mov_b32 s23, exec_lo
	v_cmpx_gt_u32_e32 8, v118
; %bb.1416:                             ;   in Loop: Header=BB259_809 Depth=1
	v_ffbh_u32_e32 v19, v31
	v_min_u32_e32 v19, 32, v19
	v_subrev_nc_u32_e32 v31, 28, v19
	v_sub_nc_u32_e32 v117, 29, v19
	v_lshlrev_b64 v[118:119], v31, v[3:4]
	v_and_b32_e32 v31, 7, v118
; %bb.1417:                             ;   in Loop: Header=BB259_809 Depth=1
	s_or_b32 exec_lo, exec_lo, s23
	v_lshlrev_b32_sdwa v3, v64, v3 dst_sel:DWORD dst_unused:UNUSED_PAD src0_sel:DWORD src1_sel:WORD_0
	v_lshl_add_u32 v19, v117, 10, 0x2000
	v_and_or_b32 v3, 0x8000, v3, v19
	v_lshlrev_b32_e32 v19, 23, v31
	v_lshl_or_b32 v31, v3, 16, v19
.LBB259_1418:                           ;   in Loop: Header=BB259_809 Depth=1
	s_or_b32 exec_lo, exec_lo, s22
.LBB259_1419:                           ;   in Loop: Header=BB259_809 Depth=1
	s_or_b32 exec_lo, exec_lo, s21
.LBB259_1420:                           ;   in Loop: Header=BB259_809 Depth=1
	s_or_b32 exec_lo, exec_lo, s20
	v_lshrrev_b32_e32 v3, 16, v11
	v_mov_b32_e32 v117, 0
	v_mov_b32_e32 v118, 0
	v_cmp_ne_u16_sdwa s4, v3, v4 src0_sel:BYTE_0 src1_sel:DWORD
	s_and_saveexec_b32 s20, s4
	s_cbranch_execz .LBB259_1428
; %bb.1421:                             ;   in Loop: Header=BB259_809 Depth=1
	v_cmp_ne_u16_sdwa s4, v3, v48 src0_sel:BYTE_0 src1_sel:DWORD
	v_mov_b32_e32 v118, 0x8000
	s_and_saveexec_b32 s21, s4
	s_cbranch_execz .LBB259_1427
; %bb.1422:                             ;   in Loop: Header=BB259_809 Depth=1
	v_bfe_u32 v40, v11, 16, 7
	v_mov_b32_e32 v118, 0x7c01
	s_mov_b32 s22, exec_lo
	v_cmpx_ne_u32_e32 0x7f, v40
	s_cbranch_execz .LBB259_1426
; %bb.1423:                             ;   in Loop: Header=BB259_809 Depth=1
	v_and_b32_e32 v118, 7, v3
	v_lshrrev_b32_e32 v119, 3, v40
	s_mov_b32 s23, exec_lo
	v_cmpx_gt_u32_e32 8, v40
; %bb.1424:                             ;   in Loop: Header=BB259_809 Depth=1
	v_ffbh_u32_e32 v19, v118
	v_min_u32_e32 v19, 32, v19
	v_subrev_nc_u32_e32 v118, 28, v19
	v_lshlrev_b64 v[118:119], v118, v[3:4]
	v_sub_nc_u32_e32 v119, 29, v19
	v_and_b32_e32 v118, 7, v118
; %bb.1425:                             ;   in Loop: Header=BB259_809 Depth=1
	s_or_b32 exec_lo, exec_lo, s23
	v_lshlrev_b32_e32 v3, 8, v3
	v_lshl_add_u32 v19, v119, 10, 0x2000
	v_lshlrev_b32_e32 v118, 7, v118
	v_and_b32_e32 v3, 0x8000, v3
	v_and_b32_e32 v19, 0xfc00, v19
	v_or3_b32 v118, v3, v19, v118
.LBB259_1426:                           ;   in Loop: Header=BB259_809 Depth=1
	s_or_b32 exec_lo, exec_lo, s22
.LBB259_1427:                           ;   in Loop: Header=BB259_809 Depth=1
	s_or_b32 exec_lo, exec_lo, s21
.LBB259_1428:                           ;   in Loop: Header=BB259_809 Depth=1
	s_or_b32 exec_lo, exec_lo, s20
	s_mov_b32 s20, exec_lo
	v_cmpx_lt_u32_e32 0xffffff, v11
	s_cbranch_execz .LBB259_1436
; %bb.1429:                             ;   in Loop: Header=BB259_809 Depth=1
	v_lshrrev_b32_e32 v3, 24, v11
	v_bfrev_b32_e32 v117, 1
	s_mov_b32 s21, exec_lo
	v_cmpx_ne_u32_e32 0x80, v3
	s_cbranch_execz .LBB259_1435
; %bb.1430:                             ;   in Loop: Header=BB259_809 Depth=1
	v_and_b32_e32 v40, 0x7f, v3
	v_mov_b32_e32 v117, 0x7c010000
	s_mov_b32 s22, exec_lo
	v_cmpx_ne_u32_e32 0x7f, v40
	s_cbranch_execz .LBB259_1434
; %bb.1431:                             ;   in Loop: Header=BB259_809 Depth=1
	v_and_b32_e32 v117, 7, v3
	v_lshrrev_b32_e32 v119, 3, v40
	s_mov_b32 s23, exec_lo
	v_cmpx_gt_u32_e32 8, v40
; %bb.1432:                             ;   in Loop: Header=BB259_809 Depth=1
	v_ffbh_u32_e32 v19, v117
	v_min_u32_e32 v19, 32, v19
	v_subrev_nc_u32_e32 v117, 28, v19
	v_sub_nc_u32_e32 v119, 29, v19
	v_lshlrev_b64 v[40:41], v117, v[3:4]
	v_and_b32_e32 v117, 7, v40
; %bb.1433:                             ;   in Loop: Header=BB259_809 Depth=1
	s_or_b32 exec_lo, exec_lo, s23
	v_lshlrev_b32_e32 v3, 8, v3
	v_lshl_add_u32 v19, v119, 10, 0x2000
	v_and_or_b32 v3, 0x8000, v3, v19
	v_lshlrev_b32_e32 v19, 23, v117
	v_lshl_or_b32 v117, v3, 16, v19
.LBB259_1434:                           ;   in Loop: Header=BB259_809 Depth=1
	s_or_b32 exec_lo, exec_lo, s22
.LBB259_1435:                           ;   in Loop: Header=BB259_809 Depth=1
	s_or_b32 exec_lo, exec_lo, s21
.LBB259_1436:                           ;   in Loop: Header=BB259_809 Depth=1
	s_or_b32 exec_lo, exec_lo, s20
	v_mov_b32_e32 v3, v12
	v_cmp_ne_u16_sdwa s4, v12, v4 src0_sel:BYTE_0 src1_sel:DWORD
	v_mov_b32_e32 v119, 0
	v_mov_b32_e32 v40, 0
	s_and_saveexec_b32 s20, s4
	s_cbranch_execz .LBB259_1444
; %bb.1437:                             ;   in Loop: Header=BB259_809 Depth=1
	v_cmp_ne_u16_sdwa s4, v12, v48 src0_sel:BYTE_0 src1_sel:DWORD
	v_mov_b32_e32 v40, 0x8000
	s_and_saveexec_b32 s21, s4
	s_cbranch_execz .LBB259_1443
; %bb.1438:                             ;   in Loop: Header=BB259_809 Depth=1
	v_and_b32_e32 v42, 0x7f, v12
	v_mov_b32_e32 v40, 0x7c01
	s_mov_b32 s22, exec_lo
	v_cmpx_ne_u32_e32 0x7f, v42
	s_cbranch_execz .LBB259_1442
; %bb.1439:                             ;   in Loop: Header=BB259_809 Depth=1
	v_and_b32_e32 v40, 7, v12
	v_lshrrev_b32_e32 v41, 3, v42
	s_mov_b32 s23, exec_lo
	v_cmpx_gt_u32_e32 8, v42
; %bb.1440:                             ;   in Loop: Header=BB259_809 Depth=1
	v_ffbh_u32_e32 v19, v40
	v_min_u32_e32 v19, 32, v19
	v_subrev_nc_u32_e32 v40, 28, v19
	v_lshlrev_b64 v[40:41], v40, v[3:4]
	v_sub_nc_u32_e32 v41, 29, v19
	v_and_b32_e32 v40, 7, v40
; %bb.1441:                             ;   in Loop: Header=BB259_809 Depth=1
	s_or_b32 exec_lo, exec_lo, s23
	v_lshlrev_b32_e32 v19, 8, v12
	v_lshl_add_u32 v41, v41, 10, 0x2000
	v_lshlrev_b32_e32 v40, 7, v40
	v_and_b32_e32 v19, 0x8000, v19
	v_and_b32_e32 v41, 0xfc00, v41
	v_or3_b32 v40, v19, v41, v40
.LBB259_1442:                           ;   in Loop: Header=BB259_809 Depth=1
	s_or_b32 exec_lo, exec_lo, s22
.LBB259_1443:                           ;   in Loop: Header=BB259_809 Depth=1
	s_or_b32 exec_lo, exec_lo, s21
.LBB259_1444:                           ;   in Loop: Header=BB259_809 Depth=1
	s_or_b32 exec_lo, exec_lo, s20
	v_lshrrev_b16 v3, 8, v3
	v_mov_b32_e32 v41, 0
	s_mov_b32 s20, exec_lo
	v_cmpx_ne_u16_e32 0, v3
	s_cbranch_execz .LBB259_1452
; %bb.1445:                             ;   in Loop: Header=BB259_809 Depth=1
	v_bfrev_b32_e32 v41, 1
	s_mov_b32 s21, exec_lo
	v_cmpx_ne_u16_e32 0x80, v3
	s_cbranch_execz .LBB259_1451
; %bb.1446:                             ;   in Loop: Header=BB259_809 Depth=1
	v_and_b32_sdwa v43, v3, v50 dst_sel:DWORD dst_unused:UNUSED_PAD src0_sel:WORD_0 src1_sel:DWORD
	v_mov_b32_e32 v41, 0x7c010000
	s_mov_b32 s22, exec_lo
	v_cmpx_ne_u32_e32 0x7f, v43
	s_cbranch_execz .LBB259_1450
; %bb.1447:                             ;   in Loop: Header=BB259_809 Depth=1
	v_and_b32_sdwa v41, v3, v55 dst_sel:DWORD dst_unused:UNUSED_PAD src0_sel:WORD_0 src1_sel:DWORD
	v_lshrrev_b32_e32 v42, 3, v43
	s_mov_b32 s23, exec_lo
	v_cmpx_gt_u32_e32 8, v43
; %bb.1448:                             ;   in Loop: Header=BB259_809 Depth=1
	v_ffbh_u32_e32 v19, v41
	v_min_u32_e32 v19, 32, v19
	v_subrev_nc_u32_e32 v41, 28, v19
	v_lshlrev_b64 v[41:42], v41, v[3:4]
	v_sub_nc_u32_e32 v42, 29, v19
	v_and_b32_e32 v41, 7, v41
; %bb.1449:                             ;   in Loop: Header=BB259_809 Depth=1
	s_or_b32 exec_lo, exec_lo, s23
	v_lshlrev_b32_sdwa v3, v64, v3 dst_sel:DWORD dst_unused:UNUSED_PAD src0_sel:DWORD src1_sel:WORD_0
	v_lshl_add_u32 v19, v42, 10, 0x2000
	v_and_or_b32 v3, 0x8000, v3, v19
	v_lshlrev_b32_e32 v19, 23, v41
	v_lshl_or_b32 v41, v3, 16, v19
.LBB259_1450:                           ;   in Loop: Header=BB259_809 Depth=1
	s_or_b32 exec_lo, exec_lo, s22
.LBB259_1451:                           ;   in Loop: Header=BB259_809 Depth=1
	s_or_b32 exec_lo, exec_lo, s21
.LBB259_1452:                           ;   in Loop: Header=BB259_809 Depth=1
	s_or_b32 exec_lo, exec_lo, s20
	v_lshrrev_b32_e32 v3, 16, v12
	v_cmp_ne_u16_sdwa s4, v3, v4 src0_sel:BYTE_0 src1_sel:DWORD
	s_and_saveexec_b32 s20, s4
	s_cbranch_execz .LBB259_1460
; %bb.1453:                             ;   in Loop: Header=BB259_809 Depth=1
	v_cmp_ne_u16_sdwa s4, v3, v48 src0_sel:BYTE_0 src1_sel:DWORD
	v_mov_b32_e32 v119, 0x8000
	s_and_saveexec_b32 s21, s4
	s_cbranch_execz .LBB259_1459
; %bb.1454:                             ;   in Loop: Header=BB259_809 Depth=1
	v_bfe_u32 v43, v12, 16, 7
	v_mov_b32_e32 v119, 0x7c01
	s_mov_b32 s22, exec_lo
	v_cmpx_ne_u32_e32 0x7f, v43
	s_cbranch_execz .LBB259_1458
; %bb.1455:                             ;   in Loop: Header=BB259_809 Depth=1
	v_and_b32_e32 v119, 7, v3
	v_lshrrev_b32_e32 v42, 3, v43
	s_mov_b32 s23, exec_lo
	v_cmpx_gt_u32_e32 8, v43
; %bb.1456:                             ;   in Loop: Header=BB259_809 Depth=1
	v_ffbh_u32_e32 v19, v119
	v_min_u32_e32 v19, 32, v19
	v_subrev_nc_u32_e32 v119, 28, v19
	v_sub_nc_u32_e32 v42, 29, v19
	v_lshlrev_b64 v[43:44], v119, v[3:4]
	v_and_b32_e32 v119, 7, v43
; %bb.1457:                             ;   in Loop: Header=BB259_809 Depth=1
	s_or_b32 exec_lo, exec_lo, s23
	v_lshlrev_b32_e32 v3, 8, v3
	v_lshl_add_u32 v19, v42, 10, 0x2000
	v_lshlrev_b32_e32 v119, 7, v119
	v_and_b32_e32 v3, 0x8000, v3
	v_and_b32_e32 v19, 0xfc00, v19
	v_or3_b32 v119, v3, v19, v119
.LBB259_1458:                           ;   in Loop: Header=BB259_809 Depth=1
	s_or_b32 exec_lo, exec_lo, s22
.LBB259_1459:                           ;   in Loop: Header=BB259_809 Depth=1
	s_or_b32 exec_lo, exec_lo, s21
.LBB259_1460:                           ;   in Loop: Header=BB259_809 Depth=1
	s_or_b32 exec_lo, exec_lo, s20
	v_cmp_lt_u64_e64 s4, s[6:7], v[11:12]
	v_mov_b32_e32 v11, 0
	s_and_saveexec_b32 s20, s4
	s_cbranch_execz .LBB259_1468
; %bb.1461:                             ;   in Loop: Header=BB259_809 Depth=1
	v_lshrrev_b32_e32 v3, 24, v12
	v_bfrev_b32_e32 v11, 1
	s_mov_b32 s21, exec_lo
	v_cmpx_ne_u32_e32 0x80, v3
	s_cbranch_execz .LBB259_1467
; %bb.1462:                             ;   in Loop: Header=BB259_809 Depth=1
	v_and_b32_e32 v42, 0x7f, v3
	v_mov_b32_e32 v11, 0x7c010000
	s_mov_b32 s22, exec_lo
	v_cmpx_ne_u32_e32 0x7f, v42
	s_cbranch_execz .LBB259_1466
; %bb.1463:                             ;   in Loop: Header=BB259_809 Depth=1
	v_and_b32_e32 v11, 7, v3
	v_lshrrev_b32_e32 v12, 3, v42
	s_mov_b32 s23, exec_lo
	v_cmpx_gt_u32_e32 8, v42
; %bb.1464:                             ;   in Loop: Header=BB259_809 Depth=1
	v_ffbh_u32_e32 v11, v11
	v_min_u32_e32 v19, 32, v11
	v_subrev_nc_u32_e32 v11, 28, v19
	v_lshlrev_b64 v[11:12], v11, v[3:4]
	v_sub_nc_u32_e32 v12, 29, v19
	v_and_b32_e32 v11, 7, v11
; %bb.1465:                             ;   in Loop: Header=BB259_809 Depth=1
	s_or_b32 exec_lo, exec_lo, s23
	v_lshlrev_b32_e32 v3, 8, v3
	v_lshl_add_u32 v12, v12, 10, 0x2000
	v_lshlrev_b32_e32 v11, 23, v11
	v_and_or_b32 v3, 0x8000, v3, v12
	v_lshl_or_b32 v11, v3, 16, v11
.LBB259_1466:                           ;   in Loop: Header=BB259_809 Depth=1
	s_or_b32 exec_lo, exec_lo, s22
.LBB259_1467:                           ;   in Loop: Header=BB259_809 Depth=1
	s_or_b32 exec_lo, exec_lo, s21
.LBB259_1468:                           ;   in Loop: Header=BB259_809 Depth=1
	s_or_b32 exec_lo, exec_lo, s20
	v_or_b32_e32 v3, v117, v118
	s_waitcnt vmcnt(0) lgkmcnt(0)
	v_fma_mixlo_f16 v12, v30, v117, 0 op_sel:[0,1,0] op_sel_hi:[0,1,0]
	v_or_b32_e32 v19, v31, v34
	v_fma_mixlo_f16 v31, v30, v31, 0 op_sel:[0,1,0] op_sel_hi:[0,1,0]
	v_or_b32_e32 v117, v41, v40
	v_or_b32_e32 v119, v11, v119
	v_fma_mixlo_f16 v118, v30, v3, 0 op_sel_hi:[0,1,0]
	v_fma_mixlo_f16 v19, v30, v19, 0 op_sel_hi:[0,1,0]
	v_lshlrev_b32_e32 v34, 16, v31
	v_fma_mixlo_f16 v31, v30, v41, 0 op_sel:[0,1,0] op_sel_hi:[0,1,0]
	v_fma_mixlo_f16 v117, v30, v117, 0 op_sel_hi:[0,1,0]
	v_fma_mixlo_f16 v11, v30, v11, 0 op_sel:[0,1,0] op_sel_hi:[0,1,0]
	v_fma_mixlo_f16 v119, v30, v119, 0 op_sel_hi:[0,1,0]
	v_lshlrev_b32_e32 v3, 16, v12
	v_and_b32_e32 v12, 0xffff, v118
	v_and_b32_e32 v42, 0xffff, v19
	v_lshlrev_b32_e32 v30, 16, v31
	v_and_b32_e32 v118, 0xffff, v117
	v_lshlrev_b32_e32 v11, 16, v11
	v_and_b32_e32 v31, 0xffff, v119
	v_or_b32_e32 v117, v3, v12
	v_or_b32_e32 v41, v34, v42
	;; [unrolled: 1-line block ×4, first 2 shown]
	s_and_saveexec_b32 s20, vcc_lo
	s_cbranch_execz .LBB259_1470
; %bb.1469:                             ;   in Loop: Header=BB259_809 Depth=1
	v_cmp_lt_i32_e64 s4, v67, v32
	v_cndmask_b32_e64 v19, 0, v42, s4
	v_cmp_lt_i32_e64 s4, v96, v32
	v_cndmask_b32_e64 v34, 0, v34, s4
	v_cmp_lt_i32_e64 s4, v87, v32
	v_or_b32_e32 v41, v19, v34
	v_cndmask_b32_e64 v12, 0, v12, s4
	v_cmp_lt_i32_e64 s4, v86, v32
	v_cndmask_b32_e64 v3, 0, v3, s4
	v_cmp_lt_i32_e64 s4, v84, v32
	v_or_b32_e32 v117, v12, v3
	;; [unrolled: 5-line block ×3, first 2 shown]
	v_cndmask_b32_e64 v31, 0, v31, s4
	v_cmp_lt_i32_e64 s4, v71, v32
	v_cndmask_b32_e64 v11, 0, v11, s4
	v_or_b32_e32 v119, v31, v11
.LBB259_1470:                           ;   in Loop: Header=BB259_809 Depth=1
	s_or_b32 exec_lo, exec_lo, s20
	;;#ASMSTART
	v_pk_mul_f16 v3, v85, v41;

	;;#ASMEND
	;;#ASMSTART
	v_pk_mul_f16 v11, v82, v117;

	;;#ASMEND
	;; [unrolled: 4-line block ×4, first 2 shown]
	;;#ASMSTART
	v_pk_add_f16 v3, v3, v11;

	;;#ASMEND
	;;#ASMSTART
	v_pk_add_f16 v3, v3, v12;

	;;#ASMEND
	;; [unrolled: 4-line block ×3, first 2 shown]
	v_and_b32_e32 v11, 0xffff, v3
	v_lshrrev_b32_e32 v3, 16, v3
	;;#ASMSTART
	v_cvt_f32_f16 v30, v11;
	;;#ASMEND
	;;#ASMSTART
	v_cvt_f32_f16 v31, v3;
	;;#ASMEND
	flat_load_dwordx2 v[11:12], v[9:10] offset:512
	flat_load_dword v34, v[22:23]
	v_mov_b32_e32 v117, 0
	v_mov_b32_e32 v118, 0
	s_waitcnt vmcnt(1) lgkmcnt(1)
	v_cmp_ne_u16_sdwa s4, v11, v4 src0_sel:BYTE_0 src1_sel:DWORD
	s_and_saveexec_b32 s20, s4
	s_cbranch_execz .LBB259_1478
; %bb.1471:                             ;   in Loop: Header=BB259_809 Depth=1
	v_cmp_ne_u16_sdwa s4, v11, v48 src0_sel:BYTE_0 src1_sel:DWORD
	v_mov_b32_e32 v118, 0x8000
	s_and_saveexec_b32 s21, s4
	s_cbranch_execz .LBB259_1477
; %bb.1472:                             ;   in Loop: Header=BB259_809 Depth=1
	v_and_b32_e32 v119, 0x7f, v11
	v_mov_b32_e32 v118, 0x7c01
	s_mov_b32 s22, exec_lo
	v_cmpx_ne_u32_e32 0x7f, v119
	s_cbranch_execz .LBB259_1476
; %bb.1473:                             ;   in Loop: Header=BB259_809 Depth=1
	v_and_b32_e32 v3, 7, v11
	v_lshrrev_b32_e32 v118, 3, v119
	s_mov_b32 s23, exec_lo
	v_cmpx_gt_u32_e32 8, v119
; %bb.1474:                             ;   in Loop: Header=BB259_809 Depth=1
	v_ffbh_u32_e32 v3, v3
	v_min_u32_e32 v3, 32, v3
	v_subrev_nc_u32_e32 v19, 28, v3
	v_sub_nc_u32_e32 v118, 29, v3
	v_lshlrev_b64 v[40:41], v19, v[11:12]
	v_and_b32_e32 v3, 7, v40
; %bb.1475:                             ;   in Loop: Header=BB259_809 Depth=1
	s_or_b32 exec_lo, exec_lo, s23
	v_lshlrev_b32_e32 v19, 8, v11
	v_lshl_add_u32 v118, v118, 10, 0x2000
	v_lshlrev_b32_e32 v3, 7, v3
	v_and_b32_e32 v19, 0x8000, v19
	v_and_b32_e32 v118, 0xfc00, v118
	v_or3_b32 v118, v19, v118, v3
.LBB259_1476:                           ;   in Loop: Header=BB259_809 Depth=1
	s_or_b32 exec_lo, exec_lo, s22
.LBB259_1477:                           ;   in Loop: Header=BB259_809 Depth=1
	s_or_b32 exec_lo, exec_lo, s21
.LBB259_1478:                           ;   in Loop: Header=BB259_809 Depth=1
	s_or_b32 exec_lo, exec_lo, s20
	v_lshrrev_b16 v3, 8, v11
	s_mov_b32 s20, exec_lo
	v_cmpx_ne_u16_e32 0, v3
	s_cbranch_execz .LBB259_1486
; %bb.1479:                             ;   in Loop: Header=BB259_809 Depth=1
	v_bfrev_b32_e32 v117, 1
	s_mov_b32 s21, exec_lo
	v_cmpx_ne_u16_e32 0x80, v3
	s_cbranch_execz .LBB259_1485
; %bb.1480:                             ;   in Loop: Header=BB259_809 Depth=1
	v_and_b32_sdwa v40, v3, v50 dst_sel:DWORD dst_unused:UNUSED_PAD src0_sel:WORD_0 src1_sel:DWORD
	v_mov_b32_e32 v117, 0x7c010000
	s_mov_b32 s22, exec_lo
	v_cmpx_ne_u32_e32 0x7f, v40
	s_cbranch_execz .LBB259_1484
; %bb.1481:                             ;   in Loop: Header=BB259_809 Depth=1
	v_and_b32_sdwa v117, v3, v55 dst_sel:DWORD dst_unused:UNUSED_PAD src0_sel:WORD_0 src1_sel:DWORD
	v_lshrrev_b32_e32 v119, 3, v40
	s_mov_b32 s23, exec_lo
	v_cmpx_gt_u32_e32 8, v40
; %bb.1482:                             ;   in Loop: Header=BB259_809 Depth=1
	v_ffbh_u32_e32 v19, v117
	v_min_u32_e32 v19, 32, v19
	v_subrev_nc_u32_e32 v117, 28, v19
	v_sub_nc_u32_e32 v119, 29, v19
	v_lshlrev_b64 v[40:41], v117, v[3:4]
	v_and_b32_e32 v117, 7, v40
; %bb.1483:                             ;   in Loop: Header=BB259_809 Depth=1
	s_or_b32 exec_lo, exec_lo, s23
	v_lshlrev_b32_sdwa v3, v64, v3 dst_sel:DWORD dst_unused:UNUSED_PAD src0_sel:DWORD src1_sel:WORD_0
	v_lshl_add_u32 v19, v119, 10, 0x2000
	v_and_or_b32 v3, 0x8000, v3, v19
	v_lshlrev_b32_e32 v19, 23, v117
	v_lshl_or_b32 v117, v3, 16, v19
.LBB259_1484:                           ;   in Loop: Header=BB259_809 Depth=1
	s_or_b32 exec_lo, exec_lo, s22
.LBB259_1485:                           ;   in Loop: Header=BB259_809 Depth=1
	s_or_b32 exec_lo, exec_lo, s21
.LBB259_1486:                           ;   in Loop: Header=BB259_809 Depth=1
	s_or_b32 exec_lo, exec_lo, s20
	v_lshrrev_b32_e32 v3, 16, v11
	v_mov_b32_e32 v119, 0
	v_mov_b32_e32 v40, 0
	v_cmp_ne_u16_sdwa s4, v3, v4 src0_sel:BYTE_0 src1_sel:DWORD
	s_and_saveexec_b32 s20, s4
	s_cbranch_execz .LBB259_1494
; %bb.1487:                             ;   in Loop: Header=BB259_809 Depth=1
	v_cmp_ne_u16_sdwa s4, v3, v48 src0_sel:BYTE_0 src1_sel:DWORD
	v_mov_b32_e32 v40, 0x8000
	s_and_saveexec_b32 s21, s4
	s_cbranch_execz .LBB259_1493
; %bb.1488:                             ;   in Loop: Header=BB259_809 Depth=1
	v_bfe_u32 v42, v11, 16, 7
	v_mov_b32_e32 v40, 0x7c01
	s_mov_b32 s22, exec_lo
	v_cmpx_ne_u32_e32 0x7f, v42
	s_cbranch_execz .LBB259_1492
; %bb.1489:                             ;   in Loop: Header=BB259_809 Depth=1
	v_and_b32_e32 v40, 7, v3
	v_lshrrev_b32_e32 v41, 3, v42
	s_mov_b32 s23, exec_lo
	v_cmpx_gt_u32_e32 8, v42
; %bb.1490:                             ;   in Loop: Header=BB259_809 Depth=1
	v_ffbh_u32_e32 v19, v40
	v_min_u32_e32 v19, 32, v19
	v_subrev_nc_u32_e32 v40, 28, v19
	v_lshlrev_b64 v[40:41], v40, v[3:4]
	v_sub_nc_u32_e32 v41, 29, v19
	v_and_b32_e32 v40, 7, v40
; %bb.1491:                             ;   in Loop: Header=BB259_809 Depth=1
	s_or_b32 exec_lo, exec_lo, s23
	v_lshlrev_b32_e32 v3, 8, v3
	v_lshl_add_u32 v19, v41, 10, 0x2000
	v_lshlrev_b32_e32 v40, 7, v40
	v_and_b32_e32 v3, 0x8000, v3
	v_and_b32_e32 v19, 0xfc00, v19
	v_or3_b32 v40, v3, v19, v40
.LBB259_1492:                           ;   in Loop: Header=BB259_809 Depth=1
	s_or_b32 exec_lo, exec_lo, s22
.LBB259_1493:                           ;   in Loop: Header=BB259_809 Depth=1
	s_or_b32 exec_lo, exec_lo, s21
.LBB259_1494:                           ;   in Loop: Header=BB259_809 Depth=1
	s_or_b32 exec_lo, exec_lo, s20
	s_mov_b32 s20, exec_lo
	v_cmpx_lt_u32_e32 0xffffff, v11
	s_cbranch_execz .LBB259_1502
; %bb.1495:                             ;   in Loop: Header=BB259_809 Depth=1
	v_lshrrev_b32_e32 v3, 24, v11
	v_bfrev_b32_e32 v119, 1
	s_mov_b32 s21, exec_lo
	v_cmpx_ne_u32_e32 0x80, v3
	s_cbranch_execz .LBB259_1501
; %bb.1496:                             ;   in Loop: Header=BB259_809 Depth=1
	v_and_b32_e32 v42, 0x7f, v3
	v_mov_b32_e32 v119, 0x7c010000
	s_mov_b32 s22, exec_lo
	v_cmpx_ne_u32_e32 0x7f, v42
	s_cbranch_execz .LBB259_1500
; %bb.1497:                             ;   in Loop: Header=BB259_809 Depth=1
	v_and_b32_e32 v119, 7, v3
	v_lshrrev_b32_e32 v41, 3, v42
	s_mov_b32 s23, exec_lo
	v_cmpx_gt_u32_e32 8, v42
; %bb.1498:                             ;   in Loop: Header=BB259_809 Depth=1
	v_ffbh_u32_e32 v19, v119
	v_min_u32_e32 v19, 32, v19
	v_subrev_nc_u32_e32 v119, 28, v19
	v_sub_nc_u32_e32 v41, 29, v19
	v_lshlrev_b64 v[42:43], v119, v[3:4]
	v_and_b32_e32 v119, 7, v42
; %bb.1499:                             ;   in Loop: Header=BB259_809 Depth=1
	s_or_b32 exec_lo, exec_lo, s23
	v_lshlrev_b32_e32 v3, 8, v3
	v_lshl_add_u32 v19, v41, 10, 0x2000
	v_and_or_b32 v3, 0x8000, v3, v19
	v_lshlrev_b32_e32 v19, 23, v119
	v_lshl_or_b32 v119, v3, 16, v19
.LBB259_1500:                           ;   in Loop: Header=BB259_809 Depth=1
	s_or_b32 exec_lo, exec_lo, s22
.LBB259_1501:                           ;   in Loop: Header=BB259_809 Depth=1
	s_or_b32 exec_lo, exec_lo, s21
.LBB259_1502:                           ;   in Loop: Header=BB259_809 Depth=1
	s_or_b32 exec_lo, exec_lo, s20
	v_mov_b32_e32 v3, v12
	v_cmp_ne_u16_sdwa s4, v12, v4 src0_sel:BYTE_0 src1_sel:DWORD
	v_mov_b32_e32 v41, 0
	v_mov_b32_e32 v42, 0
	s_and_saveexec_b32 s20, s4
	s_cbranch_execz .LBB259_1510
; %bb.1503:                             ;   in Loop: Header=BB259_809 Depth=1
	v_cmp_ne_u16_sdwa s4, v12, v48 src0_sel:BYTE_0 src1_sel:DWORD
	v_mov_b32_e32 v42, 0x8000
	s_and_saveexec_b32 s21, s4
	s_cbranch_execz .LBB259_1509
; %bb.1504:                             ;   in Loop: Header=BB259_809 Depth=1
	v_and_b32_e32 v44, 0x7f, v12
	v_mov_b32_e32 v42, 0x7c01
	s_mov_b32 s22, exec_lo
	v_cmpx_ne_u32_e32 0x7f, v44
	s_cbranch_execz .LBB259_1508
; %bb.1505:                             ;   in Loop: Header=BB259_809 Depth=1
	v_and_b32_e32 v42, 7, v12
	v_lshrrev_b32_e32 v43, 3, v44
	s_mov_b32 s23, exec_lo
	v_cmpx_gt_u32_e32 8, v44
; %bb.1506:                             ;   in Loop: Header=BB259_809 Depth=1
	v_ffbh_u32_e32 v19, v42
	v_min_u32_e32 v19, 32, v19
	v_subrev_nc_u32_e32 v42, 28, v19
	v_lshlrev_b64 v[42:43], v42, v[3:4]
	v_sub_nc_u32_e32 v43, 29, v19
	v_and_b32_e32 v42, 7, v42
; %bb.1507:                             ;   in Loop: Header=BB259_809 Depth=1
	s_or_b32 exec_lo, exec_lo, s23
	v_lshlrev_b32_e32 v19, 8, v12
	v_lshl_add_u32 v43, v43, 10, 0x2000
	v_lshlrev_b32_e32 v42, 7, v42
	v_and_b32_e32 v19, 0x8000, v19
	v_and_b32_e32 v43, 0xfc00, v43
	v_or3_b32 v42, v19, v43, v42
.LBB259_1508:                           ;   in Loop: Header=BB259_809 Depth=1
	s_or_b32 exec_lo, exec_lo, s22
.LBB259_1509:                           ;   in Loop: Header=BB259_809 Depth=1
	s_or_b32 exec_lo, exec_lo, s21
.LBB259_1510:                           ;   in Loop: Header=BB259_809 Depth=1
	s_or_b32 exec_lo, exec_lo, s20
	v_lshrrev_b16 v3, 8, v3
	v_mov_b32_e32 v43, 0
	s_mov_b32 s20, exec_lo
	v_cmpx_ne_u16_e32 0, v3
	s_cbranch_execz .LBB259_1518
; %bb.1511:                             ;   in Loop: Header=BB259_809 Depth=1
	v_bfrev_b32_e32 v43, 1
	s_mov_b32 s21, exec_lo
	v_cmpx_ne_u16_e32 0x80, v3
	s_cbranch_execz .LBB259_1517
; %bb.1512:                             ;   in Loop: Header=BB259_809 Depth=1
	v_and_b32_sdwa v45, v3, v50 dst_sel:DWORD dst_unused:UNUSED_PAD src0_sel:WORD_0 src1_sel:DWORD
	v_mov_b32_e32 v43, 0x7c010000
	s_mov_b32 s22, exec_lo
	v_cmpx_ne_u32_e32 0x7f, v45
	s_cbranch_execz .LBB259_1516
; %bb.1513:                             ;   in Loop: Header=BB259_809 Depth=1
	v_and_b32_sdwa v43, v3, v55 dst_sel:DWORD dst_unused:UNUSED_PAD src0_sel:WORD_0 src1_sel:DWORD
	v_lshrrev_b32_e32 v44, 3, v45
	s_mov_b32 s23, exec_lo
	v_cmpx_gt_u32_e32 8, v45
; %bb.1514:                             ;   in Loop: Header=BB259_809 Depth=1
	v_ffbh_u32_e32 v19, v43
	v_min_u32_e32 v19, 32, v19
	v_subrev_nc_u32_e32 v43, 28, v19
	v_lshlrev_b64 v[43:44], v43, v[3:4]
	v_sub_nc_u32_e32 v44, 29, v19
	v_and_b32_e32 v43, 7, v43
; %bb.1515:                             ;   in Loop: Header=BB259_809 Depth=1
	s_or_b32 exec_lo, exec_lo, s23
	v_lshlrev_b32_sdwa v3, v64, v3 dst_sel:DWORD dst_unused:UNUSED_PAD src0_sel:DWORD src1_sel:WORD_0
	v_lshl_add_u32 v19, v44, 10, 0x2000
	v_and_or_b32 v3, 0x8000, v3, v19
	v_lshlrev_b32_e32 v19, 23, v43
	v_lshl_or_b32 v43, v3, 16, v19
.LBB259_1516:                           ;   in Loop: Header=BB259_809 Depth=1
	s_or_b32 exec_lo, exec_lo, s22
.LBB259_1517:                           ;   in Loop: Header=BB259_809 Depth=1
	s_or_b32 exec_lo, exec_lo, s21
.LBB259_1518:                           ;   in Loop: Header=BB259_809 Depth=1
	s_or_b32 exec_lo, exec_lo, s20
	v_lshrrev_b32_e32 v3, 16, v12
	v_cmp_ne_u16_sdwa s4, v3, v4 src0_sel:BYTE_0 src1_sel:DWORD
	s_and_saveexec_b32 s20, s4
	s_cbranch_execz .LBB259_1526
; %bb.1519:                             ;   in Loop: Header=BB259_809 Depth=1
	v_cmp_ne_u16_sdwa s4, v3, v48 src0_sel:BYTE_0 src1_sel:DWORD
	v_mov_b32_e32 v41, 0x8000
	s_and_saveexec_b32 s21, s4
	s_cbranch_execz .LBB259_1525
; %bb.1520:                             ;   in Loop: Header=BB259_809 Depth=1
	v_bfe_u32 v45, v12, 16, 7
	v_mov_b32_e32 v41, 0x7c01
	s_mov_b32 s22, exec_lo
	v_cmpx_ne_u32_e32 0x7f, v45
	s_cbranch_execz .LBB259_1524
; %bb.1521:                             ;   in Loop: Header=BB259_809 Depth=1
	v_and_b32_e32 v41, 7, v3
	v_lshrrev_b32_e32 v44, 3, v45
	s_mov_b32 s23, exec_lo
	v_cmpx_gt_u32_e32 8, v45
; %bb.1522:                             ;   in Loop: Header=BB259_809 Depth=1
	v_ffbh_u32_e32 v19, v41
	v_min_u32_e32 v19, 32, v19
	v_subrev_nc_u32_e32 v41, 28, v19
	v_sub_nc_u32_e32 v44, 29, v19
	v_lshlrev_b64 v[45:46], v41, v[3:4]
	v_and_b32_e32 v41, 7, v45
; %bb.1523:                             ;   in Loop: Header=BB259_809 Depth=1
	s_or_b32 exec_lo, exec_lo, s23
	v_lshlrev_b32_e32 v3, 8, v3
	v_lshl_add_u32 v19, v44, 10, 0x2000
	v_lshlrev_b32_e32 v41, 7, v41
	v_and_b32_e32 v3, 0x8000, v3
	v_and_b32_e32 v19, 0xfc00, v19
	v_or3_b32 v41, v3, v19, v41
.LBB259_1524:                           ;   in Loop: Header=BB259_809 Depth=1
	s_or_b32 exec_lo, exec_lo, s22
.LBB259_1525:                           ;   in Loop: Header=BB259_809 Depth=1
	s_or_b32 exec_lo, exec_lo, s21
.LBB259_1526:                           ;   in Loop: Header=BB259_809 Depth=1
	s_or_b32 exec_lo, exec_lo, s20
	v_cmp_lt_u64_e64 s4, s[6:7], v[11:12]
	v_mov_b32_e32 v11, 0
	s_and_saveexec_b32 s20, s4
	s_cbranch_execz .LBB259_1534
; %bb.1527:                             ;   in Loop: Header=BB259_809 Depth=1
	v_lshrrev_b32_e32 v3, 24, v12
	v_bfrev_b32_e32 v11, 1
	s_mov_b32 s21, exec_lo
	v_cmpx_ne_u32_e32 0x80, v3
	s_cbranch_execz .LBB259_1533
; %bb.1528:                             ;   in Loop: Header=BB259_809 Depth=1
	v_and_b32_e32 v44, 0x7f, v3
	v_mov_b32_e32 v11, 0x7c010000
	s_mov_b32 s22, exec_lo
	v_cmpx_ne_u32_e32 0x7f, v44
	s_cbranch_execz .LBB259_1532
; %bb.1529:                             ;   in Loop: Header=BB259_809 Depth=1
	v_and_b32_e32 v11, 7, v3
	v_lshrrev_b32_e32 v12, 3, v44
	s_mov_b32 s23, exec_lo
	v_cmpx_gt_u32_e32 8, v44
; %bb.1530:                             ;   in Loop: Header=BB259_809 Depth=1
	v_ffbh_u32_e32 v11, v11
	v_min_u32_e32 v19, 32, v11
	v_subrev_nc_u32_e32 v11, 28, v19
	v_lshlrev_b64 v[11:12], v11, v[3:4]
	v_sub_nc_u32_e32 v12, 29, v19
	v_and_b32_e32 v11, 7, v11
; %bb.1531:                             ;   in Loop: Header=BB259_809 Depth=1
	s_or_b32 exec_lo, exec_lo, s23
	v_lshlrev_b32_e32 v3, 8, v3
	v_lshl_add_u32 v12, v12, 10, 0x2000
	v_lshlrev_b32_e32 v11, 23, v11
	v_and_or_b32 v3, 0x8000, v3, v12
	v_lshl_or_b32 v11, v3, 16, v11
.LBB259_1532:                           ;   in Loop: Header=BB259_809 Depth=1
	s_or_b32 exec_lo, exec_lo, s22
.LBB259_1533:                           ;   in Loop: Header=BB259_809 Depth=1
	s_or_b32 exec_lo, exec_lo, s21
.LBB259_1534:                           ;   in Loop: Header=BB259_809 Depth=1
	s_or_b32 exec_lo, exec_lo, s20
	v_or_b32_e32 v3, v119, v40
	s_waitcnt vmcnt(0) lgkmcnt(0)
	v_fma_mixlo_f16 v12, v34, v119, 0 op_sel:[0,1,0] op_sel_hi:[0,1,0]
	v_or_b32_e32 v19, v117, v118
	v_fma_mixlo_f16 v117, v34, v117, 0 op_sel:[0,1,0] op_sel_hi:[0,1,0]
	v_or_b32_e32 v119, v43, v42
	v_or_b32_e32 v41, v11, v41
	v_fma_mixlo_f16 v40, v34, v3, 0 op_sel_hi:[0,1,0]
	v_fma_mixlo_f16 v19, v34, v19, 0 op_sel_hi:[0,1,0]
	v_lshlrev_b32_e32 v118, 16, v117
	v_fma_mixlo_f16 v117, v34, v43, 0 op_sel:[0,1,0] op_sel_hi:[0,1,0]
	v_fma_mixlo_f16 v119, v34, v119, 0 op_sel_hi:[0,1,0]
	v_fma_mixlo_f16 v11, v34, v11, 0 op_sel:[0,1,0] op_sel_hi:[0,1,0]
	v_fma_mixlo_f16 v41, v34, v41, 0 op_sel_hi:[0,1,0]
	v_lshlrev_b32_e32 v3, 16, v12
	v_and_b32_e32 v12, 0xffff, v40
	v_and_b32_e32 v44, 0xffff, v19
	v_lshlrev_b32_e32 v34, 16, v117
	v_and_b32_e32 v40, 0xffff, v119
	v_lshlrev_b32_e32 v11, 16, v11
	v_and_b32_e32 v117, 0xffff, v41
	v_or_b32_e32 v119, v3, v12
	v_or_b32_e32 v43, v118, v44
	;; [unrolled: 1-line block ×4, first 2 shown]
	s_and_saveexec_b32 s20, vcc_lo
	s_cbranch_execz .LBB259_1536
; %bb.1535:                             ;   in Loop: Header=BB259_809 Depth=1
	v_cmp_lt_i32_e64 s4, v67, v32
	v_cndmask_b32_e64 v19, 0, v44, s4
	v_cmp_lt_i32_e64 s4, v96, v32
	v_cndmask_b32_e64 v118, 0, v118, s4
	v_cmp_lt_i32_e64 s4, v87, v32
	v_or_b32_e32 v43, v19, v118
	v_cndmask_b32_e64 v12, 0, v12, s4
	v_cmp_lt_i32_e64 s4, v86, v32
	v_cndmask_b32_e64 v3, 0, v3, s4
	v_cmp_lt_i32_e64 s4, v84, v32
	v_or_b32_e32 v119, v12, v3
	;; [unrolled: 5-line block ×3, first 2 shown]
	v_cndmask_b32_e64 v117, 0, v117, s4
	v_cmp_lt_i32_e64 s4, v71, v32
	v_cndmask_b32_e64 v11, 0, v11, s4
	v_or_b32_e32 v41, v117, v11
.LBB259_1536:                           ;   in Loop: Header=BB259_809 Depth=1
	s_or_b32 exec_lo, exec_lo, s20
	;;#ASMSTART
	v_pk_mul_f16 v3, v85, v43;

	;;#ASMEND
	;;#ASMSTART
	v_pk_mul_f16 v11, v82, v119;

	;;#ASMEND
	;; [unrolled: 4-line block ×4, first 2 shown]
	;;#ASMSTART
	v_pk_add_f16 v3, v3, v11;

	;;#ASMEND
	;;#ASMSTART
	v_pk_add_f16 v3, v3, v12;

	;;#ASMEND
	;; [unrolled: 4-line block ×3, first 2 shown]
	v_and_b32_e32 v11, 0xffff, v3
	v_lshrrev_b32_e32 v3, 16, v3
	;;#ASMSTART
	v_cvt_f32_f16 v11, v11;
	;;#ASMEND
	;;#ASMSTART
	v_cvt_f32_f16 v12, v3;
	;;#ASMEND
	flat_load_dwordx2 v[9:10], v[9:10] offset:768
	flat_load_dword v34, v[22:23]
	v_mov_b32_e32 v117, 0
	v_mov_b32_e32 v118, 0
	s_waitcnt vmcnt(1) lgkmcnt(1)
	v_cmp_ne_u16_sdwa s4, v9, v4 src0_sel:BYTE_0 src1_sel:DWORD
	s_and_saveexec_b32 s20, s4
	s_cbranch_execz .LBB259_1544
; %bb.1537:                             ;   in Loop: Header=BB259_809 Depth=1
	v_cmp_ne_u16_sdwa s4, v9, v48 src0_sel:BYTE_0 src1_sel:DWORD
	v_mov_b32_e32 v118, 0x8000
	s_and_saveexec_b32 s21, s4
	s_cbranch_execz .LBB259_1543
; %bb.1538:                             ;   in Loop: Header=BB259_809 Depth=1
	v_and_b32_e32 v119, 0x7f, v9
	v_mov_b32_e32 v118, 0x7c01
	s_mov_b32 s22, exec_lo
	v_cmpx_ne_u32_e32 0x7f, v119
	s_cbranch_execz .LBB259_1542
; %bb.1539:                             ;   in Loop: Header=BB259_809 Depth=1
	v_and_b32_e32 v3, 7, v9
	v_lshrrev_b32_e32 v118, 3, v119
	s_mov_b32 s23, exec_lo
	v_cmpx_gt_u32_e32 8, v119
; %bb.1540:                             ;   in Loop: Header=BB259_809 Depth=1
	v_ffbh_u32_e32 v3, v3
	v_min_u32_e32 v3, 32, v3
	v_subrev_nc_u32_e32 v19, 28, v3
	v_sub_nc_u32_e32 v118, 29, v3
	v_lshlrev_b64 v[40:41], v19, v[9:10]
	v_and_b32_e32 v3, 7, v40
; %bb.1541:                             ;   in Loop: Header=BB259_809 Depth=1
	s_or_b32 exec_lo, exec_lo, s23
	v_lshlrev_b32_e32 v19, 8, v9
	v_lshl_add_u32 v118, v118, 10, 0x2000
	v_lshlrev_b32_e32 v3, 7, v3
	v_and_b32_e32 v19, 0x8000, v19
	v_and_b32_e32 v118, 0xfc00, v118
	v_or3_b32 v118, v19, v118, v3
.LBB259_1542:                           ;   in Loop: Header=BB259_809 Depth=1
	s_or_b32 exec_lo, exec_lo, s22
.LBB259_1543:                           ;   in Loop: Header=BB259_809 Depth=1
	s_or_b32 exec_lo, exec_lo, s21
.LBB259_1544:                           ;   in Loop: Header=BB259_809 Depth=1
	s_or_b32 exec_lo, exec_lo, s20
	v_lshrrev_b16 v3, 8, v9
	s_mov_b32 s20, exec_lo
	v_cmpx_ne_u16_e32 0, v3
	s_cbranch_execz .LBB259_1552
; %bb.1545:                             ;   in Loop: Header=BB259_809 Depth=1
	v_bfrev_b32_e32 v117, 1
	s_mov_b32 s21, exec_lo
	v_cmpx_ne_u16_e32 0x80, v3
	s_cbranch_execz .LBB259_1551
; %bb.1546:                             ;   in Loop: Header=BB259_809 Depth=1
	v_and_b32_sdwa v40, v3, v50 dst_sel:DWORD dst_unused:UNUSED_PAD src0_sel:WORD_0 src1_sel:DWORD
	v_mov_b32_e32 v117, 0x7c010000
	s_mov_b32 s22, exec_lo
	v_cmpx_ne_u32_e32 0x7f, v40
	s_cbranch_execz .LBB259_1550
; %bb.1547:                             ;   in Loop: Header=BB259_809 Depth=1
	v_and_b32_sdwa v117, v3, v55 dst_sel:DWORD dst_unused:UNUSED_PAD src0_sel:WORD_0 src1_sel:DWORD
	v_lshrrev_b32_e32 v119, 3, v40
	s_mov_b32 s23, exec_lo
	v_cmpx_gt_u32_e32 8, v40
; %bb.1548:                             ;   in Loop: Header=BB259_809 Depth=1
	v_ffbh_u32_e32 v19, v117
	v_min_u32_e32 v19, 32, v19
	v_subrev_nc_u32_e32 v117, 28, v19
	v_sub_nc_u32_e32 v119, 29, v19
	v_lshlrev_b64 v[40:41], v117, v[3:4]
	v_and_b32_e32 v117, 7, v40
; %bb.1549:                             ;   in Loop: Header=BB259_809 Depth=1
	s_or_b32 exec_lo, exec_lo, s23
	v_lshlrev_b32_sdwa v3, v64, v3 dst_sel:DWORD dst_unused:UNUSED_PAD src0_sel:DWORD src1_sel:WORD_0
	v_lshl_add_u32 v19, v119, 10, 0x2000
	v_and_or_b32 v3, 0x8000, v3, v19
	v_lshlrev_b32_e32 v19, 23, v117
	v_lshl_or_b32 v117, v3, 16, v19
.LBB259_1550:                           ;   in Loop: Header=BB259_809 Depth=1
	s_or_b32 exec_lo, exec_lo, s22
.LBB259_1551:                           ;   in Loop: Header=BB259_809 Depth=1
	s_or_b32 exec_lo, exec_lo, s21
.LBB259_1552:                           ;   in Loop: Header=BB259_809 Depth=1
	s_or_b32 exec_lo, exec_lo, s20
	v_lshrrev_b32_e32 v3, 16, v9
	v_mov_b32_e32 v119, 0
	v_mov_b32_e32 v40, 0
	v_cmp_ne_u16_sdwa s4, v3, v4 src0_sel:BYTE_0 src1_sel:DWORD
	s_and_saveexec_b32 s20, s4
	s_cbranch_execz .LBB259_1560
; %bb.1553:                             ;   in Loop: Header=BB259_809 Depth=1
	v_cmp_ne_u16_sdwa s4, v3, v48 src0_sel:BYTE_0 src1_sel:DWORD
	v_mov_b32_e32 v40, 0x8000
	s_and_saveexec_b32 s21, s4
	s_cbranch_execz .LBB259_1559
; %bb.1554:                             ;   in Loop: Header=BB259_809 Depth=1
	v_bfe_u32 v42, v9, 16, 7
	v_mov_b32_e32 v40, 0x7c01
	s_mov_b32 s22, exec_lo
	v_cmpx_ne_u32_e32 0x7f, v42
	s_cbranch_execz .LBB259_1558
; %bb.1555:                             ;   in Loop: Header=BB259_809 Depth=1
	v_and_b32_e32 v40, 7, v3
	v_lshrrev_b32_e32 v41, 3, v42
	s_mov_b32 s23, exec_lo
	v_cmpx_gt_u32_e32 8, v42
; %bb.1556:                             ;   in Loop: Header=BB259_809 Depth=1
	v_ffbh_u32_e32 v19, v40
	v_min_u32_e32 v19, 32, v19
	v_subrev_nc_u32_e32 v40, 28, v19
	v_lshlrev_b64 v[40:41], v40, v[3:4]
	v_sub_nc_u32_e32 v41, 29, v19
	v_and_b32_e32 v40, 7, v40
; %bb.1557:                             ;   in Loop: Header=BB259_809 Depth=1
	s_or_b32 exec_lo, exec_lo, s23
	v_lshlrev_b32_e32 v3, 8, v3
	v_lshl_add_u32 v19, v41, 10, 0x2000
	v_lshlrev_b32_e32 v40, 7, v40
	v_and_b32_e32 v3, 0x8000, v3
	v_and_b32_e32 v19, 0xfc00, v19
	v_or3_b32 v40, v3, v19, v40
.LBB259_1558:                           ;   in Loop: Header=BB259_809 Depth=1
	s_or_b32 exec_lo, exec_lo, s22
.LBB259_1559:                           ;   in Loop: Header=BB259_809 Depth=1
	s_or_b32 exec_lo, exec_lo, s21
.LBB259_1560:                           ;   in Loop: Header=BB259_809 Depth=1
	s_or_b32 exec_lo, exec_lo, s20
	s_mov_b32 s20, exec_lo
	v_cmpx_lt_u32_e32 0xffffff, v9
	s_cbranch_execz .LBB259_1568
; %bb.1561:                             ;   in Loop: Header=BB259_809 Depth=1
	v_lshrrev_b32_e32 v3, 24, v9
	v_bfrev_b32_e32 v119, 1
	s_mov_b32 s21, exec_lo
	v_cmpx_ne_u32_e32 0x80, v3
	s_cbranch_execz .LBB259_1567
; %bb.1562:                             ;   in Loop: Header=BB259_809 Depth=1
	v_and_b32_e32 v42, 0x7f, v3
	v_mov_b32_e32 v119, 0x7c010000
	s_mov_b32 s22, exec_lo
	v_cmpx_ne_u32_e32 0x7f, v42
	s_cbranch_execz .LBB259_1566
; %bb.1563:                             ;   in Loop: Header=BB259_809 Depth=1
	v_and_b32_e32 v119, 7, v3
	v_lshrrev_b32_e32 v41, 3, v42
	s_mov_b32 s23, exec_lo
	v_cmpx_gt_u32_e32 8, v42
; %bb.1564:                             ;   in Loop: Header=BB259_809 Depth=1
	v_ffbh_u32_e32 v19, v119
	v_min_u32_e32 v19, 32, v19
	v_subrev_nc_u32_e32 v119, 28, v19
	v_sub_nc_u32_e32 v41, 29, v19
	v_lshlrev_b64 v[42:43], v119, v[3:4]
	v_and_b32_e32 v119, 7, v42
; %bb.1565:                             ;   in Loop: Header=BB259_809 Depth=1
	s_or_b32 exec_lo, exec_lo, s23
	v_lshlrev_b32_e32 v3, 8, v3
	v_lshl_add_u32 v19, v41, 10, 0x2000
	v_and_or_b32 v3, 0x8000, v3, v19
	v_lshlrev_b32_e32 v19, 23, v119
	v_lshl_or_b32 v119, v3, 16, v19
.LBB259_1566:                           ;   in Loop: Header=BB259_809 Depth=1
	s_or_b32 exec_lo, exec_lo, s22
.LBB259_1567:                           ;   in Loop: Header=BB259_809 Depth=1
	s_or_b32 exec_lo, exec_lo, s21
.LBB259_1568:                           ;   in Loop: Header=BB259_809 Depth=1
	s_or_b32 exec_lo, exec_lo, s20
	v_mov_b32_e32 v3, v10
	v_cmp_ne_u16_sdwa s4, v10, v4 src0_sel:BYTE_0 src1_sel:DWORD
	v_mov_b32_e32 v41, 0
	v_mov_b32_e32 v42, 0
	s_and_saveexec_b32 s20, s4
	s_cbranch_execz .LBB259_1576
; %bb.1569:                             ;   in Loop: Header=BB259_809 Depth=1
	v_cmp_ne_u16_sdwa s4, v10, v48 src0_sel:BYTE_0 src1_sel:DWORD
	v_mov_b32_e32 v42, 0x8000
	s_and_saveexec_b32 s21, s4
	s_cbranch_execz .LBB259_1575
; %bb.1570:                             ;   in Loop: Header=BB259_809 Depth=1
	v_and_b32_e32 v44, 0x7f, v10
	v_mov_b32_e32 v42, 0x7c01
	s_mov_b32 s22, exec_lo
	v_cmpx_ne_u32_e32 0x7f, v44
	s_cbranch_execz .LBB259_1574
; %bb.1571:                             ;   in Loop: Header=BB259_809 Depth=1
	v_and_b32_e32 v42, 7, v10
	v_lshrrev_b32_e32 v43, 3, v44
	s_mov_b32 s23, exec_lo
	v_cmpx_gt_u32_e32 8, v44
; %bb.1572:                             ;   in Loop: Header=BB259_809 Depth=1
	v_ffbh_u32_e32 v19, v42
	v_min_u32_e32 v19, 32, v19
	v_subrev_nc_u32_e32 v42, 28, v19
	v_lshlrev_b64 v[42:43], v42, v[3:4]
	v_sub_nc_u32_e32 v43, 29, v19
	v_and_b32_e32 v42, 7, v42
; %bb.1573:                             ;   in Loop: Header=BB259_809 Depth=1
	s_or_b32 exec_lo, exec_lo, s23
	v_lshlrev_b32_e32 v19, 8, v10
	v_lshl_add_u32 v43, v43, 10, 0x2000
	v_lshlrev_b32_e32 v42, 7, v42
	v_and_b32_e32 v19, 0x8000, v19
	v_and_b32_e32 v43, 0xfc00, v43
	v_or3_b32 v42, v19, v43, v42
.LBB259_1574:                           ;   in Loop: Header=BB259_809 Depth=1
	s_or_b32 exec_lo, exec_lo, s22
.LBB259_1575:                           ;   in Loop: Header=BB259_809 Depth=1
	s_or_b32 exec_lo, exec_lo, s21
.LBB259_1576:                           ;   in Loop: Header=BB259_809 Depth=1
	s_or_b32 exec_lo, exec_lo, s20
	v_lshrrev_b16 v3, 8, v3
	v_mov_b32_e32 v43, 0
	s_mov_b32 s20, exec_lo
	v_cmpx_ne_u16_e32 0, v3
	s_cbranch_execz .LBB259_1584
; %bb.1577:                             ;   in Loop: Header=BB259_809 Depth=1
	v_bfrev_b32_e32 v43, 1
	s_mov_b32 s21, exec_lo
	v_cmpx_ne_u16_e32 0x80, v3
	s_cbranch_execz .LBB259_1583
; %bb.1578:                             ;   in Loop: Header=BB259_809 Depth=1
	v_and_b32_sdwa v45, v3, v50 dst_sel:DWORD dst_unused:UNUSED_PAD src0_sel:WORD_0 src1_sel:DWORD
	v_mov_b32_e32 v43, 0x7c010000
	s_mov_b32 s22, exec_lo
	v_cmpx_ne_u32_e32 0x7f, v45
	s_cbranch_execz .LBB259_1582
; %bb.1579:                             ;   in Loop: Header=BB259_809 Depth=1
	v_and_b32_sdwa v43, v3, v55 dst_sel:DWORD dst_unused:UNUSED_PAD src0_sel:WORD_0 src1_sel:DWORD
	v_lshrrev_b32_e32 v44, 3, v45
	s_mov_b32 s23, exec_lo
	v_cmpx_gt_u32_e32 8, v45
; %bb.1580:                             ;   in Loop: Header=BB259_809 Depth=1
	v_ffbh_u32_e32 v19, v43
	v_min_u32_e32 v19, 32, v19
	v_subrev_nc_u32_e32 v43, 28, v19
	v_lshlrev_b64 v[43:44], v43, v[3:4]
	v_sub_nc_u32_e32 v44, 29, v19
	v_and_b32_e32 v43, 7, v43
; %bb.1581:                             ;   in Loop: Header=BB259_809 Depth=1
	s_or_b32 exec_lo, exec_lo, s23
	v_lshlrev_b32_sdwa v3, v64, v3 dst_sel:DWORD dst_unused:UNUSED_PAD src0_sel:DWORD src1_sel:WORD_0
	v_lshl_add_u32 v19, v44, 10, 0x2000
	v_and_or_b32 v3, 0x8000, v3, v19
	v_lshlrev_b32_e32 v19, 23, v43
	v_lshl_or_b32 v43, v3, 16, v19
.LBB259_1582:                           ;   in Loop: Header=BB259_809 Depth=1
	s_or_b32 exec_lo, exec_lo, s22
.LBB259_1583:                           ;   in Loop: Header=BB259_809 Depth=1
	s_or_b32 exec_lo, exec_lo, s21
.LBB259_1584:                           ;   in Loop: Header=BB259_809 Depth=1
	s_or_b32 exec_lo, exec_lo, s20
	v_lshrrev_b32_e32 v3, 16, v10
	v_cmp_ne_u16_sdwa s4, v3, v4 src0_sel:BYTE_0 src1_sel:DWORD
	s_and_saveexec_b32 s20, s4
	s_cbranch_execz .LBB259_1592
; %bb.1585:                             ;   in Loop: Header=BB259_809 Depth=1
	v_cmp_ne_u16_sdwa s4, v3, v48 src0_sel:BYTE_0 src1_sel:DWORD
	v_mov_b32_e32 v41, 0x8000
	s_and_saveexec_b32 s21, s4
	s_cbranch_execz .LBB259_1591
; %bb.1586:                             ;   in Loop: Header=BB259_809 Depth=1
	v_bfe_u32 v45, v10, 16, 7
	v_mov_b32_e32 v41, 0x7c01
	s_mov_b32 s22, exec_lo
	v_cmpx_ne_u32_e32 0x7f, v45
	s_cbranch_execz .LBB259_1590
; %bb.1587:                             ;   in Loop: Header=BB259_809 Depth=1
	v_and_b32_e32 v41, 7, v3
	v_lshrrev_b32_e32 v44, 3, v45
	s_mov_b32 s23, exec_lo
	v_cmpx_gt_u32_e32 8, v45
; %bb.1588:                             ;   in Loop: Header=BB259_809 Depth=1
	v_ffbh_u32_e32 v19, v41
	v_min_u32_e32 v19, 32, v19
	v_subrev_nc_u32_e32 v41, 28, v19
	v_sub_nc_u32_e32 v44, 29, v19
	v_lshlrev_b64 v[45:46], v41, v[3:4]
	v_and_b32_e32 v41, 7, v45
; %bb.1589:                             ;   in Loop: Header=BB259_809 Depth=1
	s_or_b32 exec_lo, exec_lo, s23
	v_lshlrev_b32_e32 v3, 8, v3
	v_lshl_add_u32 v19, v44, 10, 0x2000
	v_lshlrev_b32_e32 v41, 7, v41
	v_and_b32_e32 v3, 0x8000, v3
	v_and_b32_e32 v19, 0xfc00, v19
	v_or3_b32 v41, v3, v19, v41
.LBB259_1590:                           ;   in Loop: Header=BB259_809 Depth=1
	s_or_b32 exec_lo, exec_lo, s22
.LBB259_1591:                           ;   in Loop: Header=BB259_809 Depth=1
	s_or_b32 exec_lo, exec_lo, s21
.LBB259_1592:                           ;   in Loop: Header=BB259_809 Depth=1
	s_or_b32 exec_lo, exec_lo, s20
	v_cmp_lt_u64_e64 s4, s[6:7], v[9:10]
	v_mov_b32_e32 v9, 0
	s_and_saveexec_b32 s20, s4
	s_cbranch_execz .LBB259_1600
; %bb.1593:                             ;   in Loop: Header=BB259_809 Depth=1
	v_lshrrev_b32_e32 v3, 24, v10
	v_bfrev_b32_e32 v9, 1
	s_mov_b32 s21, exec_lo
	v_cmpx_ne_u32_e32 0x80, v3
	s_cbranch_execz .LBB259_1599
; %bb.1594:                             ;   in Loop: Header=BB259_809 Depth=1
	v_and_b32_e32 v44, 0x7f, v3
	v_mov_b32_e32 v9, 0x7c010000
	s_mov_b32 s22, exec_lo
	v_cmpx_ne_u32_e32 0x7f, v44
	s_cbranch_execz .LBB259_1598
; %bb.1595:                             ;   in Loop: Header=BB259_809 Depth=1
	v_and_b32_e32 v9, 7, v3
	v_lshrrev_b32_e32 v10, 3, v44
	s_mov_b32 s23, exec_lo
	v_cmpx_gt_u32_e32 8, v44
; %bb.1596:                             ;   in Loop: Header=BB259_809 Depth=1
	v_ffbh_u32_e32 v9, v9
	v_min_u32_e32 v19, 32, v9
	v_subrev_nc_u32_e32 v9, 28, v19
	v_lshlrev_b64 v[9:10], v9, v[3:4]
	v_sub_nc_u32_e32 v10, 29, v19
	v_and_b32_e32 v9, 7, v9
; %bb.1597:                             ;   in Loop: Header=BB259_809 Depth=1
	s_or_b32 exec_lo, exec_lo, s23
	v_lshlrev_b32_e32 v3, 8, v3
	v_lshl_add_u32 v10, v10, 10, 0x2000
	v_lshlrev_b32_e32 v9, 23, v9
	v_and_or_b32 v3, 0x8000, v3, v10
	v_lshl_or_b32 v9, v3, 16, v9
.LBB259_1598:                           ;   in Loop: Header=BB259_809 Depth=1
	s_or_b32 exec_lo, exec_lo, s22
.LBB259_1599:                           ;   in Loop: Header=BB259_809 Depth=1
	s_or_b32 exec_lo, exec_lo, s21
.LBB259_1600:                           ;   in Loop: Header=BB259_809 Depth=1
	s_or_b32 exec_lo, exec_lo, s20
	v_or_b32_e32 v3, v119, v40
	s_waitcnt vmcnt(0) lgkmcnt(0)
	v_fma_mixlo_f16 v10, v34, v119, 0 op_sel:[0,1,0] op_sel_hi:[0,1,0]
	v_or_b32_e32 v19, v117, v118
	v_or_b32_e32 v40, v43, v42
	;; [unrolled: 1-line block ×3, first 2 shown]
	v_fma_mixlo_f16 v3, v34, v3, 0 op_sel_hi:[0,1,0]
	v_fma_mixlo_f16 v118, v34, v117, 0 op_sel:[0,1,0] op_sel_hi:[0,1,0]
	v_lshlrev_b32_e32 v117, 16, v10
	v_fma_mixlo_f16 v10, v34, v19, 0 op_sel_hi:[0,1,0]
	v_fma_mixlo_f16 v19, v34, v40, 0 op_sel_hi:[0,1,0]
	v_and_b32_e32 v119, 0xffff, v3
	v_fma_mixlo_f16 v3, v34, v43, 0 op_sel:[0,1,0] op_sel_hi:[0,1,0]
	v_fma_mixlo_f16 v9, v34, v9, 0 op_sel:[0,1,0] op_sel_hi:[0,1,0]
	v_fma_mixlo_f16 v34, v34, v41, 0 op_sel_hi:[0,1,0]
	v_lshlrev_b32_e32 v42, 16, v118
	v_and_b32_e32 v44, 0xffff, v10
	v_lshlrev_b32_e32 v40, 16, v3
	v_and_b32_e32 v43, 0xffff, v19
	;; [unrolled: 2-line block ×3, first 2 shown]
	v_or_b32_e32 v10, v117, v119
	v_or_b32_e32 v34, v42, v44
	;; [unrolled: 1-line block ×4, first 2 shown]
	s_and_saveexec_b32 s4, vcc_lo
	s_cbranch_execz .LBB259_807
; %bb.1601:                             ;   in Loop: Header=BB259_809 Depth=1
	v_cmp_lt_i32_e32 vcc_lo, v67, v32
	v_cndmask_b32_e32 v3, 0, v44, vcc_lo
	v_cmp_lt_i32_e32 vcc_lo, v96, v32
	v_cndmask_b32_e32 v9, 0, v42, vcc_lo
	v_cmp_lt_i32_e32 vcc_lo, v87, v32
	v_or_b32_e32 v34, v3, v9
	v_cndmask_b32_e32 v10, 0, v119, vcc_lo
	v_cmp_lt_i32_e32 vcc_lo, v86, v32
	v_cndmask_b32_e32 v19, 0, v117, vcc_lo
	v_cmp_lt_i32_e32 vcc_lo, v84, v32
	v_or_b32_e32 v10, v10, v19
	;; [unrolled: 5-line block ×3, first 2 shown]
	v_cndmask_b32_e32 v81, 0, v41, vcc_lo
	v_cmp_lt_i32_e32 vcc_lo, v71, v32
	v_cndmask_b32_e32 v71, 0, v118, vcc_lo
	v_or_b32_e32 v3, v81, v71
	s_branch .LBB259_807
.LBB259_1602:
	s_or_b32 exec_lo, exec_lo, s15
	v_mov_b32_e32 v3, s18
	v_mov_b32_e32 v4, s19
	;; [unrolled: 1-line block ×4, first 2 shown]
.LBB259_1603:
	s_or_b32 exec_lo, exec_lo, s5
	v_lshlrev_b64 v[0:1], 2, v[3:4]
	s_getpc_b64 s[4:5]
	s_add_u32 s4, s4, llvm.amdgcn.dynlds.offset.table@rel32@lo+4
	s_addc_u32 s5, s5, llvm.amdgcn.dynlds.offset.table@rel32@hi+12
	s_waitcnt vmcnt(0)
	s_waitcnt_vscnt null, 0x0
	s_barrier
	buffer_gl0_inv
	ds_bpermute_b32 v2, v15, v52
	v_add_co_u32 v0, vcc_lo, s4, v0
	v_add_co_ci_u32_e64 v1, null, s5, v1, vcc_lo
	ds_bpermute_b32 v3, v15, v51
	ds_bpermute_b32 v4, v15, v28
	;; [unrolled: 1-line block ×3, first 2 shown]
	global_load_dword v12, v[0:1], off
	ds_bpermute_b32 v0, v15, v53
	ds_bpermute_b32 v1, v15, v54
	;; [unrolled: 1-line block ×8, first 2 shown]
	v_lshrrev_b32_e32 v14, 1, v14
	v_mul_u32_u24_e32 v15, 0x300, v83
	v_and_b32_e32 v29, 0x3c1, v30
	s_waitcnt lgkmcnt(11)
	v_add_f32_e32 v9, v52, v2
	s_mov_b32 s4, exec_lo
	s_waitcnt lgkmcnt(10)
	v_add_f32_e32 v8, v51, v3
	s_waitcnt lgkmcnt(9)
	v_add_f32_e32 v7, v28, v4
	;; [unrolled: 2-line block ×11, first 2 shown]
	s_waitcnt vmcnt(0)
	v_lshl_add_u32 v13, v14, 2, v12
	v_cmpx_eq_u32_e32 64, v29
	s_cbranch_execz .LBB259_1605
; %bb.1604:
	v_add_nc_u32_e32 v16, v13, v15
	v_add_nc_u32_e32 v17, 0xfffffa00, v16
	;; [unrolled: 1-line block ×8, first 2 shown]
	ds_write_b32 v17, v11
	ds_write_b32 v18, v10
	;; [unrolled: 1-line block ×7, first 2 shown]
	v_add_nc_u32_e32 v17, 0xfffffbc0, v16
	v_add_nc_u32_e32 v18, 0xfffffc00, v16
	v_add_nc_u32_e32 v19, 0xfffffc40, v16
	v_add_nc_u32_e32 v20, 0xfffffc80, v16
	v_add_nc_u32_e32 v16, 0xfffffcc0, v16
	ds_write_b32 v17, v4
	ds_write_b32 v18, v3
	;; [unrolled: 1-line block ×5, first 2 shown]
.LBB259_1605:
	s_or_b32 exec_lo, exec_lo, s4
	v_lshlrev_b32_e32 v14, 2, v14
	s_mov_b32 s5, exec_lo
	v_cmp_eq_u32_e32 vcc_lo, 0, v56
	s_waitcnt lgkmcnt(0)
	s_barrier
	v_add3_u32 v12, v12, v15, v14
	buffer_gl0_inv
	v_cmpx_gt_u32_e32 64, v30
	s_cbranch_execz .LBB259_1620
; %bb.1606:
	s_and_saveexec_b32 s4, vcc_lo
	s_cbranch_execnz .LBB259_1640
; %bb.1607:
	s_or_b32 exec_lo, exec_lo, s4
	s_and_saveexec_b32 s4, vcc_lo
	s_cbranch_execnz .LBB259_1641
.LBB259_1608:
	s_or_b32 exec_lo, exec_lo, s4
	s_and_saveexec_b32 s4, vcc_lo
	s_cbranch_execnz .LBB259_1642
.LBB259_1609:
	s_or_b32 exec_lo, exec_lo, s4
	s_and_saveexec_b32 s4, vcc_lo
	s_cbranch_execnz .LBB259_1643
.LBB259_1610:
	s_or_b32 exec_lo, exec_lo, s4
	s_and_saveexec_b32 s4, vcc_lo
	s_cbranch_execnz .LBB259_1644
.LBB259_1611:
	s_or_b32 exec_lo, exec_lo, s4
	s_and_saveexec_b32 s4, vcc_lo
	s_cbranch_execnz .LBB259_1645
.LBB259_1612:
	s_or_b32 exec_lo, exec_lo, s4
	s_and_saveexec_b32 s4, vcc_lo
	s_cbranch_execnz .LBB259_1646
.LBB259_1613:
	s_or_b32 exec_lo, exec_lo, s4
	s_and_saveexec_b32 s4, vcc_lo
	s_cbranch_execnz .LBB259_1647
.LBB259_1614:
	s_or_b32 exec_lo, exec_lo, s4
	s_and_saveexec_b32 s4, vcc_lo
	s_cbranch_execnz .LBB259_1648
.LBB259_1615:
	s_or_b32 exec_lo, exec_lo, s4
	s_and_saveexec_b32 s4, vcc_lo
	s_cbranch_execnz .LBB259_1649
.LBB259_1616:
	s_or_b32 exec_lo, exec_lo, s4
	s_and_saveexec_b32 s4, vcc_lo
	s_cbranch_execnz .LBB259_1650
.LBB259_1617:
	s_or_b32 exec_lo, exec_lo, s4
	s_and_saveexec_b32 s4, vcc_lo
	s_cbranch_execz .LBB259_1619
.LBB259_1618:
	ds_read_b32 v14, v12 offset:704
	s_waitcnt lgkmcnt(0)
	v_add_f32_e32 v0, v14, v0
.LBB259_1619:
	s_or_b32 exec_lo, exec_lo, s4
.LBB259_1620:
	s_or_b32 exec_lo, exec_lo, s5
	v_and_b32_e32 v14, 0x3e1, v30
	s_mov_b32 s5, exec_lo
	s_barrier
	buffer_gl0_inv
	v_cmpx_eq_u32_e32 32, v14
	s_cbranch_execz .LBB259_1622
; %bb.1621:
	ds_write2_b32 v13, v11, v10 offset1:16
	ds_write2_b32 v13, v9, v8 offset0:32 offset1:48
	ds_write2_b32 v13, v7, v6 offset0:64 offset1:80
	;; [unrolled: 1-line block ×5, first 2 shown]
.LBB259_1622:
	s_or_b32 exec_lo, exec_lo, s5
	s_mov_b32 s5, exec_lo
	s_waitcnt lgkmcnt(0)
	s_barrier
	buffer_gl0_inv
	v_cmpx_gt_u32_e32 32, v30
	s_cbranch_execz .LBB259_1637
; %bb.1623:
	s_and_saveexec_b32 s4, vcc_lo
	s_cbranch_execnz .LBB259_1651
; %bb.1624:
	s_or_b32 exec_lo, exec_lo, s4
	s_and_saveexec_b32 s4, vcc_lo
	s_cbranch_execnz .LBB259_1652
.LBB259_1625:
	s_or_b32 exec_lo, exec_lo, s4
	s_and_saveexec_b32 s4, vcc_lo
	s_cbranch_execnz .LBB259_1653
.LBB259_1626:
	s_or_b32 exec_lo, exec_lo, s4
	s_and_saveexec_b32 s4, vcc_lo
	s_cbranch_execnz .LBB259_1654
.LBB259_1627:
	s_or_b32 exec_lo, exec_lo, s4
	s_and_saveexec_b32 s4, vcc_lo
	s_cbranch_execnz .LBB259_1655
.LBB259_1628:
	s_or_b32 exec_lo, exec_lo, s4
	s_and_saveexec_b32 s4, vcc_lo
	s_cbranch_execnz .LBB259_1656
.LBB259_1629:
	s_or_b32 exec_lo, exec_lo, s4
	s_and_saveexec_b32 s4, vcc_lo
	s_cbranch_execnz .LBB259_1657
.LBB259_1630:
	s_or_b32 exec_lo, exec_lo, s4
	s_and_saveexec_b32 s4, vcc_lo
	s_cbranch_execnz .LBB259_1658
.LBB259_1631:
	s_or_b32 exec_lo, exec_lo, s4
	s_and_saveexec_b32 s4, vcc_lo
	s_cbranch_execnz .LBB259_1659
.LBB259_1632:
	s_or_b32 exec_lo, exec_lo, s4
	s_and_saveexec_b32 s4, vcc_lo
	s_cbranch_execnz .LBB259_1660
.LBB259_1633:
	s_or_b32 exec_lo, exec_lo, s4
	s_and_saveexec_b32 s4, vcc_lo
	s_cbranch_execnz .LBB259_1661
.LBB259_1634:
	s_or_b32 exec_lo, exec_lo, s4
	s_and_saveexec_b32 s4, vcc_lo
	s_cbranch_execz .LBB259_1636
.LBB259_1635:
	ds_read_b32 v12, v12 offset:704
	s_waitcnt lgkmcnt(0)
	v_add_f32_e32 v0, v12, v0
.LBB259_1636:
	s_or_b32 exec_lo, exec_lo, s4
.LBB259_1637:
	s_or_b32 exec_lo, exec_lo, s5
	s_mov_b32 s4, exec_lo
	s_barrier
	buffer_gl0_inv
	v_cmpx_eq_u32_e32 0, v14
	s_cbranch_execz .LBB259_1639
; %bb.1638:
	s_clause 0x2
	buffer_load_dword v13, off, s[0:3], s32 offset:248
	buffer_load_dword v12, off, s[0:3], s32 offset:240
	;; [unrolled: 1-line block ×3, first 2 shown]
	s_and_b32 s5, 0xffff, s13
	s_mul_i32 s6, s14, 0xc0
	s_cmp_lg_u32 s5, 0
	;;#ASMSTART
	v_cvt_f16_f32 v11, v11;

	;;#ASMEND
	s_cselect_b32 s5, -1, 0
	s_cmp_lg_u32 s5, 0
	s_addc_u32 s5, s12, 0
	s_mul_i32 s7, s5, s10
	s_mul_i32 s10, s16, s5
	;; [unrolled: 1-line block ×3, first 2 shown]
	s_ashr_i32 s11, s10, 31
	s_mulk_i32 s8, 0xc0
	s_ashr_i32 s7, s6, 31
	s_ashr_i32 s9, s8, 31
	s_lshl_b64 s[6:7], s[6:7], 1
	s_lshl_b64 s[8:9], s[8:9], 1
	s_waitcnt vmcnt(2)
	v_add_co_u32 v13, vcc_lo, v13, s8
	s_waitcnt vmcnt(0)
	v_add_co_ci_u32_e64 v14, null, s9, v14, vcc_lo
	s_lshl_b64 s[8:9], s[10:11], 1
	v_lshlrev_b32_e32 v12, 1, v12
	v_add_co_u32 v13, vcc_lo, v13, s8
	v_add_co_ci_u32_e64 v14, null, s9, v14, vcc_lo
	v_add_co_u32 v13, vcc_lo, v13, s6
	v_add_co_ci_u32_e64 v14, null, s7, v14, vcc_lo
	;; [unrolled: 2-line block ×3, first 2 shown]
	flat_store_short v[12:13], v11
	;;#ASMSTART
	v_cvt_f16_f32 v10, v10;

	;;#ASMEND
	flat_store_short v[12:13], v10 offset:32
	;;#ASMSTART
	v_cvt_f16_f32 v9, v9;

	;;#ASMEND
	flat_store_short v[12:13], v9 offset:64
	;; [unrolled: 5-line block ×11, first 2 shown]
.LBB259_1639:
	s_or_b32 exec_lo, exec_lo, s4
	s_clause 0x2f
	buffer_load_dword v127, off, s[0:3], s32
	buffer_load_dword v126, off, s[0:3], s32 offset:4
	buffer_load_dword v125, off, s[0:3], s32 offset:8
	;; [unrolled: 1-line block ×47, first 2 shown]
	s_waitcnt vmcnt(0) lgkmcnt(0)
	s_setpc_b64 s[30:31]
.LBB259_1640:
	ds_read_b32 v14, v12
	s_waitcnt lgkmcnt(0)
	v_add_f32_e32 v11, v14, v11
	s_or_b32 exec_lo, exec_lo, s4
	s_and_saveexec_b32 s4, vcc_lo
	s_cbranch_execz .LBB259_1608
.LBB259_1641:
	ds_read_b32 v14, v12 offset:64
	s_waitcnt lgkmcnt(0)
	v_add_f32_e32 v10, v14, v10
	s_or_b32 exec_lo, exec_lo, s4
	s_and_saveexec_b32 s4, vcc_lo
	s_cbranch_execz .LBB259_1609
.LBB259_1642:
	ds_read_b32 v14, v12 offset:128
	s_waitcnt lgkmcnt(0)
	v_add_f32_e32 v9, v14, v9
	s_or_b32 exec_lo, exec_lo, s4
	s_and_saveexec_b32 s4, vcc_lo
	s_cbranch_execz .LBB259_1610
.LBB259_1643:
	ds_read_b32 v14, v12 offset:192
	s_waitcnt lgkmcnt(0)
	v_add_f32_e32 v8, v14, v8
	s_or_b32 exec_lo, exec_lo, s4
	s_and_saveexec_b32 s4, vcc_lo
	s_cbranch_execz .LBB259_1611
.LBB259_1644:
	ds_read_b32 v14, v12 offset:256
	s_waitcnt lgkmcnt(0)
	v_add_f32_e32 v7, v14, v7
	s_or_b32 exec_lo, exec_lo, s4
	s_and_saveexec_b32 s4, vcc_lo
	s_cbranch_execz .LBB259_1612
.LBB259_1645:
	ds_read_b32 v14, v12 offset:320
	s_waitcnt lgkmcnt(0)
	v_add_f32_e32 v6, v14, v6
	s_or_b32 exec_lo, exec_lo, s4
	s_and_saveexec_b32 s4, vcc_lo
	s_cbranch_execz .LBB259_1613
.LBB259_1646:
	ds_read_b32 v14, v12 offset:384
	s_waitcnt lgkmcnt(0)
	v_add_f32_e32 v5, v14, v5
	s_or_b32 exec_lo, exec_lo, s4
	s_and_saveexec_b32 s4, vcc_lo
	s_cbranch_execz .LBB259_1614
.LBB259_1647:
	ds_read_b32 v14, v12 offset:448
	s_waitcnt lgkmcnt(0)
	v_add_f32_e32 v4, v14, v4
	s_or_b32 exec_lo, exec_lo, s4
	s_and_saveexec_b32 s4, vcc_lo
	s_cbranch_execz .LBB259_1615
.LBB259_1648:
	ds_read_b32 v14, v12 offset:512
	s_waitcnt lgkmcnt(0)
	v_add_f32_e32 v3, v14, v3
	s_or_b32 exec_lo, exec_lo, s4
	s_and_saveexec_b32 s4, vcc_lo
	s_cbranch_execz .LBB259_1616
.LBB259_1649:
	ds_read_b32 v14, v12 offset:576
	s_waitcnt lgkmcnt(0)
	v_add_f32_e32 v2, v14, v2
	s_or_b32 exec_lo, exec_lo, s4
	s_and_saveexec_b32 s4, vcc_lo
	s_cbranch_execz .LBB259_1617
.LBB259_1650:
	ds_read_b32 v14, v12 offset:640
	s_waitcnt lgkmcnt(0)
	v_add_f32_e32 v1, v14, v1
	s_or_b32 exec_lo, exec_lo, s4
	s_and_saveexec_b32 s4, vcc_lo
	s_cbranch_execnz .LBB259_1618
	s_branch .LBB259_1619
.LBB259_1651:
	ds_read_b32 v13, v12
	s_waitcnt lgkmcnt(0)
	v_add_f32_e32 v11, v13, v11
	s_or_b32 exec_lo, exec_lo, s4
	s_and_saveexec_b32 s4, vcc_lo
	s_cbranch_execz .LBB259_1625
.LBB259_1652:
	ds_read_b32 v13, v12 offset:64
	s_waitcnt lgkmcnt(0)
	v_add_f32_e32 v10, v13, v10
	s_or_b32 exec_lo, exec_lo, s4
	s_and_saveexec_b32 s4, vcc_lo
	s_cbranch_execz .LBB259_1626
.LBB259_1653:
	ds_read_b32 v13, v12 offset:128
	s_waitcnt lgkmcnt(0)
	v_add_f32_e32 v9, v13, v9
	s_or_b32 exec_lo, exec_lo, s4
	s_and_saveexec_b32 s4, vcc_lo
	s_cbranch_execz .LBB259_1627
.LBB259_1654:
	ds_read_b32 v13, v12 offset:192
	s_waitcnt lgkmcnt(0)
	v_add_f32_e32 v8, v13, v8
	s_or_b32 exec_lo, exec_lo, s4
	s_and_saveexec_b32 s4, vcc_lo
	s_cbranch_execz .LBB259_1628
.LBB259_1655:
	ds_read_b32 v13, v12 offset:256
	s_waitcnt lgkmcnt(0)
	v_add_f32_e32 v7, v13, v7
	s_or_b32 exec_lo, exec_lo, s4
	s_and_saveexec_b32 s4, vcc_lo
	s_cbranch_execz .LBB259_1629
.LBB259_1656:
	ds_read_b32 v13, v12 offset:320
	s_waitcnt lgkmcnt(0)
	v_add_f32_e32 v6, v13, v6
	s_or_b32 exec_lo, exec_lo, s4
	s_and_saveexec_b32 s4, vcc_lo
	s_cbranch_execz .LBB259_1630
.LBB259_1657:
	ds_read_b32 v13, v12 offset:384
	s_waitcnt lgkmcnt(0)
	v_add_f32_e32 v5, v13, v5
	s_or_b32 exec_lo, exec_lo, s4
	s_and_saveexec_b32 s4, vcc_lo
	s_cbranch_execz .LBB259_1631
.LBB259_1658:
	ds_read_b32 v13, v12 offset:448
	s_waitcnt lgkmcnt(0)
	v_add_f32_e32 v4, v13, v4
	s_or_b32 exec_lo, exec_lo, s4
	s_and_saveexec_b32 s4, vcc_lo
	s_cbranch_execz .LBB259_1632
.LBB259_1659:
	ds_read_b32 v13, v12 offset:512
	s_waitcnt lgkmcnt(0)
	v_add_f32_e32 v3, v13, v3
	s_or_b32 exec_lo, exec_lo, s4
	s_and_saveexec_b32 s4, vcc_lo
	s_cbranch_execz .LBB259_1633
.LBB259_1660:
	ds_read_b32 v13, v12 offset:576
	s_waitcnt lgkmcnt(0)
	v_add_f32_e32 v2, v13, v2
	s_or_b32 exec_lo, exec_lo, s4
	s_and_saveexec_b32 s4, vcc_lo
	s_cbranch_execz .LBB259_1634
.LBB259_1661:
	ds_read_b32 v13, v12 offset:640
	s_waitcnt lgkmcnt(0)
	v_add_f32_e32 v1, v13, v1
	s_or_b32 exec_lo, exec_lo, s4
	s_and_saveexec_b32 s4, vcc_lo
	s_cbranch_execnz .LBB259_1635
	s_branch .LBB259_1636
.Lfunc_end259:
	.size	_ZN4vllm22paged_attention_kernelIthLi192ELi16ELi128ELNS_18Fp8KVCacheDataTypeE1ELb1ELi0EEEvPfS2_PT_PKS3_PKT0_S9_ifPKiSB_iPKfiiiSD_SD_iiiii, .Lfunc_end259-_ZN4vllm22paged_attention_kernelIthLi192ELi16ELi128ELNS_18Fp8KVCacheDataTypeE1ELb1ELi0EEEvPfS2_PT_PKS3_PKT0_S9_ifPKiSB_iPKfiiiSD_SD_iiiii
                                        ; -- End function
	.set .L_ZN4vllm22paged_attention_kernelIthLi192ELi16ELi128ELNS_18Fp8KVCacheDataTypeE1ELb1ELi0EEEvPfS2_PT_PKS3_PKT0_S9_ifPKiSB_iPKfiiiSD_SD_iiiii.num_vgpr, 128
	.set .L_ZN4vllm22paged_attention_kernelIthLi192ELi16ELi128ELNS_18Fp8KVCacheDataTypeE1ELb1ELi0EEEvPfS2_PT_PKS3_PKT0_S9_ifPKiSB_iPKfiiiSD_SD_iiiii.num_agpr, 0
	.set .L_ZN4vllm22paged_attention_kernelIthLi192ELi16ELi128ELNS_18Fp8KVCacheDataTypeE1ELb1ELi0EEEvPfS2_PT_PKS3_PKT0_S9_ifPKiSB_iPKfiiiSD_SD_iiiii.numbered_sgpr, 33
	.set .L_ZN4vllm22paged_attention_kernelIthLi192ELi16ELi128ELNS_18Fp8KVCacheDataTypeE1ELb1ELi0EEEvPfS2_PT_PKS3_PKT0_S9_ifPKiSB_iPKfiiiSD_SD_iiiii.num_named_barrier, 0
	.set .L_ZN4vllm22paged_attention_kernelIthLi192ELi16ELi128ELNS_18Fp8KVCacheDataTypeE1ELb1ELi0EEEvPfS2_PT_PKS3_PKT0_S9_ifPKiSB_iPKfiiiSD_SD_iiiii.private_seg_size, 316
	.set .L_ZN4vllm22paged_attention_kernelIthLi192ELi16ELi128ELNS_18Fp8KVCacheDataTypeE1ELb1ELi0EEEvPfS2_PT_PKS3_PKT0_S9_ifPKiSB_iPKfiiiSD_SD_iiiii.uses_vcc, 1
	.set .L_ZN4vllm22paged_attention_kernelIthLi192ELi16ELi128ELNS_18Fp8KVCacheDataTypeE1ELb1ELi0EEEvPfS2_PT_PKS3_PKT0_S9_ifPKiSB_iPKfiiiSD_SD_iiiii.uses_flat_scratch, 0
	.set .L_ZN4vllm22paged_attention_kernelIthLi192ELi16ELi128ELNS_18Fp8KVCacheDataTypeE1ELb1ELi0EEEvPfS2_PT_PKS3_PKT0_S9_ifPKiSB_iPKfiiiSD_SD_iiiii.has_dyn_sized_stack, 0
	.set .L_ZN4vllm22paged_attention_kernelIthLi192ELi16ELi128ELNS_18Fp8KVCacheDataTypeE1ELb1ELi0EEEvPfS2_PT_PKS3_PKT0_S9_ifPKiSB_iPKfiiiSD_SD_iiiii.has_recursion, 0
	.set .L_ZN4vllm22paged_attention_kernelIthLi192ELi16ELi128ELNS_18Fp8KVCacheDataTypeE1ELb1ELi0EEEvPfS2_PT_PKS3_PKT0_S9_ifPKiSB_iPKfiiiSD_SD_iiiii.has_indirect_call, 0
	.section	.AMDGPU.csdata,"",@progbits
; Function info:
; codeLenInByte = 55720
; TotalNumSgprs: 35
; NumVgprs: 128
; ScratchSize: 316
; MemoryBound: 0
	.section	.text._ZN4vllm25paged_attention_v1_kernelIthLi192ELi16ELi128ELNS_18Fp8KVCacheDataTypeE1ELb1EEEvPT_PKS2_PKT0_S8_ifPKiSA_iPKfiiiSC_SC_iiiii,"axG",@progbits,_ZN4vllm25paged_attention_v1_kernelIthLi192ELi16ELi128ELNS_18Fp8KVCacheDataTypeE1ELb1EEEvPT_PKS2_PKT0_S8_ifPKiSA_iPKfiiiSC_SC_iiiii,comdat
	.protected	_ZN4vllm25paged_attention_v1_kernelIthLi192ELi16ELi128ELNS_18Fp8KVCacheDataTypeE1ELb1EEEvPT_PKS2_PKT0_S8_ifPKiSA_iPKfiiiSC_SC_iiiii ; -- Begin function _ZN4vllm25paged_attention_v1_kernelIthLi192ELi16ELi128ELNS_18Fp8KVCacheDataTypeE1ELb1EEEvPT_PKS2_PKT0_S8_ifPKiSA_iPKfiiiSC_SC_iiiii
	.globl	_ZN4vllm25paged_attention_v1_kernelIthLi192ELi16ELi128ELNS_18Fp8KVCacheDataTypeE1ELb1EEEvPT_PKS2_PKT0_S8_ifPKiSA_iPKfiiiSC_SC_iiiii
	.p2align	8
	.type	_ZN4vllm25paged_attention_v1_kernelIthLi192ELi16ELi128ELNS_18Fp8KVCacheDataTypeE1ELb1EEEvPT_PKS2_PKT0_S8_ifPKiSA_iPKfiiiSC_SC_iiiii,@function
_ZN4vllm25paged_attention_v1_kernelIthLi192ELi16ELi128ELNS_18Fp8KVCacheDataTypeE1ELb1EEEvPT_PKS2_PKT0_S8_ifPKiSA_iPKfiiiSC_SC_iiiii: ; @_ZN4vllm25paged_attention_v1_kernelIthLi192ELi16ELi128ELNS_18Fp8KVCacheDataTypeE1ELb1EEEvPT_PKS2_PKT0_S8_ifPKiSA_iPKfiiiSC_SC_iiiii
; %bb.0:
	s_clause 0x7
	s_load_dwordx8 s[16:23], s[4:5], 0x0
	s_load_dwordx4 s[36:39], s[4:5], 0x20
	s_load_dwordx2 s[10:11], s[4:5], 0x30
	s_load_dword s13, s[4:5], 0x38
	s_load_dwordx2 s[34:35], s[4:5], 0x40
	s_load_dwordx8 s[24:31], s[4:5], 0x48
	s_load_dword s15, s[4:5], 0x78
	s_load_dwordx4 s[40:43], s[4:5], 0x68
	s_add_u32 s0, s0, s9
	s_addc_u32 s1, s1, 0
	v_mov_b32_e32 v31, v0
	s_mov_b32 s14, s8
	s_add_u32 s8, s4, 0x80
	s_addc_u32 s9, s5, 0
	s_getpc_b64 s[4:5]
	s_add_u32 s4, s4, _ZN4vllm22paged_attention_kernelIthLi192ELi16ELi128ELNS_18Fp8KVCacheDataTypeE1ELb1ELi0EEEvPfS2_PT_PKS3_PKT0_S9_ifPKiSB_iPKfiiiSD_SD_iiiii@rel32@lo+4
	s_addc_u32 s5, s5, _ZN4vllm22paged_attention_kernelIthLi192ELi16ELi128ELNS_18Fp8KVCacheDataTypeE1ELb1ELi0EEEvPfS2_PT_PKS3_PKT0_S9_ifPKiSB_iPKfiiiSD_SD_iiiii@rel32@hi+12
	s_mov_b32 s12, s6
	s_mov_b32 s32, 0
	s_waitcnt lgkmcnt(0)
	v_mov_b32_e32 v0, s16
	v_mov_b32_e32 v1, s17
	;; [unrolled: 1-line block ×29, first 2 shown]
	s_mov_b32 s13, s7
	s_mov_b32 s15, 41
	s_swappc_b64 s[30:31], s[4:5]
	s_endpgm
	.section	.rodata,"a",@progbits
	.p2align	6, 0x0
	.amdhsa_kernel _ZN4vllm25paged_attention_v1_kernelIthLi192ELi16ELi128ELNS_18Fp8KVCacheDataTypeE1ELb1EEEvPT_PKS2_PKT0_S8_ifPKiSA_iPKfiiiSC_SC_iiiii
		.amdhsa_group_segment_fixed_size 416
		.amdhsa_private_segment_fixed_size 316
		.amdhsa_kernarg_size 384
		.amdhsa_user_sgpr_count 6
		.amdhsa_user_sgpr_private_segment_buffer 1
		.amdhsa_user_sgpr_dispatch_ptr 0
		.amdhsa_user_sgpr_queue_ptr 0
		.amdhsa_user_sgpr_kernarg_segment_ptr 1
		.amdhsa_user_sgpr_dispatch_id 0
		.amdhsa_user_sgpr_flat_scratch_init 0
		.amdhsa_user_sgpr_private_segment_size 0
		.amdhsa_wavefront_size32 1
		.amdhsa_uses_dynamic_stack 0
		.amdhsa_system_sgpr_private_segment_wavefront_offset 1
		.amdhsa_system_sgpr_workgroup_id_x 1
		.amdhsa_system_sgpr_workgroup_id_y 1
		.amdhsa_system_sgpr_workgroup_id_z 1
		.amdhsa_system_sgpr_workgroup_info 0
		.amdhsa_system_vgpr_workitem_id 0
		.amdhsa_next_free_vgpr 128
		.amdhsa_next_free_sgpr 44
		.amdhsa_reserve_vcc 1
		.amdhsa_reserve_flat_scratch 0
		.amdhsa_float_round_mode_32 0
		.amdhsa_float_round_mode_16_64 0
		.amdhsa_float_denorm_mode_32 3
		.amdhsa_float_denorm_mode_16_64 3
		.amdhsa_dx10_clamp 1
		.amdhsa_ieee_mode 1
		.amdhsa_fp16_overflow 0
		.amdhsa_workgroup_processor_mode 1
		.amdhsa_memory_ordered 1
		.amdhsa_forward_progress 1
		.amdhsa_shared_vgpr_count 0
		.amdhsa_exception_fp_ieee_invalid_op 0
		.amdhsa_exception_fp_denorm_src 0
		.amdhsa_exception_fp_ieee_div_zero 0
		.amdhsa_exception_fp_ieee_overflow 0
		.amdhsa_exception_fp_ieee_underflow 0
		.amdhsa_exception_fp_ieee_inexact 0
		.amdhsa_exception_int_div_zero 0
	.end_amdhsa_kernel
	.section	.text._ZN4vllm25paged_attention_v1_kernelIthLi192ELi16ELi128ELNS_18Fp8KVCacheDataTypeE1ELb1EEEvPT_PKS2_PKT0_S8_ifPKiSA_iPKfiiiSC_SC_iiiii,"axG",@progbits,_ZN4vllm25paged_attention_v1_kernelIthLi192ELi16ELi128ELNS_18Fp8KVCacheDataTypeE1ELb1EEEvPT_PKS2_PKT0_S8_ifPKiSA_iPKfiiiSC_SC_iiiii,comdat
.Lfunc_end260:
	.size	_ZN4vllm25paged_attention_v1_kernelIthLi192ELi16ELi128ELNS_18Fp8KVCacheDataTypeE1ELb1EEEvPT_PKS2_PKT0_S8_ifPKiSA_iPKfiiiSC_SC_iiiii, .Lfunc_end260-_ZN4vllm25paged_attention_v1_kernelIthLi192ELi16ELi128ELNS_18Fp8KVCacheDataTypeE1ELb1EEEvPT_PKS2_PKT0_S8_ifPKiSA_iPKfiiiSC_SC_iiiii
                                        ; -- End function
	.set _ZN4vllm25paged_attention_v1_kernelIthLi192ELi16ELi128ELNS_18Fp8KVCacheDataTypeE1ELb1EEEvPT_PKS2_PKT0_S8_ifPKiSA_iPKfiiiSC_SC_iiiii.num_vgpr, max(32, .L_ZN4vllm22paged_attention_kernelIthLi192ELi16ELi128ELNS_18Fp8KVCacheDataTypeE1ELb1ELi0EEEvPfS2_PT_PKS3_PKT0_S9_ifPKiSB_iPKfiiiSD_SD_iiiii.num_vgpr)
	.set _ZN4vllm25paged_attention_v1_kernelIthLi192ELi16ELi128ELNS_18Fp8KVCacheDataTypeE1ELb1EEEvPT_PKS2_PKT0_S8_ifPKiSA_iPKfiiiSC_SC_iiiii.num_agpr, max(0, .L_ZN4vllm22paged_attention_kernelIthLi192ELi16ELi128ELNS_18Fp8KVCacheDataTypeE1ELb1ELi0EEEvPfS2_PT_PKS3_PKT0_S9_ifPKiSB_iPKfiiiSD_SD_iiiii.num_agpr)
	.set _ZN4vllm25paged_attention_v1_kernelIthLi192ELi16ELi128ELNS_18Fp8KVCacheDataTypeE1ELb1EEEvPT_PKS2_PKT0_S8_ifPKiSA_iPKfiiiSC_SC_iiiii.numbered_sgpr, max(44, .L_ZN4vllm22paged_attention_kernelIthLi192ELi16ELi128ELNS_18Fp8KVCacheDataTypeE1ELb1ELi0EEEvPfS2_PT_PKS3_PKT0_S9_ifPKiSB_iPKfiiiSD_SD_iiiii.numbered_sgpr)
	.set _ZN4vllm25paged_attention_v1_kernelIthLi192ELi16ELi128ELNS_18Fp8KVCacheDataTypeE1ELb1EEEvPT_PKS2_PKT0_S8_ifPKiSA_iPKfiiiSC_SC_iiiii.num_named_barrier, max(0, .L_ZN4vllm22paged_attention_kernelIthLi192ELi16ELi128ELNS_18Fp8KVCacheDataTypeE1ELb1ELi0EEEvPfS2_PT_PKS3_PKT0_S9_ifPKiSB_iPKfiiiSD_SD_iiiii.num_named_barrier)
	.set _ZN4vllm25paged_attention_v1_kernelIthLi192ELi16ELi128ELNS_18Fp8KVCacheDataTypeE1ELb1EEEvPT_PKS2_PKT0_S8_ifPKiSA_iPKfiiiSC_SC_iiiii.private_seg_size, 0+max(.L_ZN4vllm22paged_attention_kernelIthLi192ELi16ELi128ELNS_18Fp8KVCacheDataTypeE1ELb1ELi0EEEvPfS2_PT_PKS3_PKT0_S9_ifPKiSB_iPKfiiiSD_SD_iiiii.private_seg_size)
	.set _ZN4vllm25paged_attention_v1_kernelIthLi192ELi16ELi128ELNS_18Fp8KVCacheDataTypeE1ELb1EEEvPT_PKS2_PKT0_S8_ifPKiSA_iPKfiiiSC_SC_iiiii.uses_vcc, or(1, .L_ZN4vllm22paged_attention_kernelIthLi192ELi16ELi128ELNS_18Fp8KVCacheDataTypeE1ELb1ELi0EEEvPfS2_PT_PKS3_PKT0_S9_ifPKiSB_iPKfiiiSD_SD_iiiii.uses_vcc)
	.set _ZN4vllm25paged_attention_v1_kernelIthLi192ELi16ELi128ELNS_18Fp8KVCacheDataTypeE1ELb1EEEvPT_PKS2_PKT0_S8_ifPKiSA_iPKfiiiSC_SC_iiiii.uses_flat_scratch, or(0, .L_ZN4vllm22paged_attention_kernelIthLi192ELi16ELi128ELNS_18Fp8KVCacheDataTypeE1ELb1ELi0EEEvPfS2_PT_PKS3_PKT0_S9_ifPKiSB_iPKfiiiSD_SD_iiiii.uses_flat_scratch)
	.set _ZN4vllm25paged_attention_v1_kernelIthLi192ELi16ELi128ELNS_18Fp8KVCacheDataTypeE1ELb1EEEvPT_PKS2_PKT0_S8_ifPKiSA_iPKfiiiSC_SC_iiiii.has_dyn_sized_stack, or(0, .L_ZN4vllm22paged_attention_kernelIthLi192ELi16ELi128ELNS_18Fp8KVCacheDataTypeE1ELb1ELi0EEEvPfS2_PT_PKS3_PKT0_S9_ifPKiSB_iPKfiiiSD_SD_iiiii.has_dyn_sized_stack)
	.set _ZN4vllm25paged_attention_v1_kernelIthLi192ELi16ELi128ELNS_18Fp8KVCacheDataTypeE1ELb1EEEvPT_PKS2_PKT0_S8_ifPKiSA_iPKfiiiSC_SC_iiiii.has_recursion, or(0, .L_ZN4vllm22paged_attention_kernelIthLi192ELi16ELi128ELNS_18Fp8KVCacheDataTypeE1ELb1ELi0EEEvPfS2_PT_PKS3_PKT0_S9_ifPKiSB_iPKfiiiSD_SD_iiiii.has_recursion)
	.set _ZN4vllm25paged_attention_v1_kernelIthLi192ELi16ELi128ELNS_18Fp8KVCacheDataTypeE1ELb1EEEvPT_PKS2_PKT0_S8_ifPKiSA_iPKfiiiSC_SC_iiiii.has_indirect_call, or(0, .L_ZN4vllm22paged_attention_kernelIthLi192ELi16ELi128ELNS_18Fp8KVCacheDataTypeE1ELb1ELi0EEEvPfS2_PT_PKS3_PKT0_S9_ifPKiSB_iPKfiiiSD_SD_iiiii.has_indirect_call)
	.section	.AMDGPU.csdata,"",@progbits
; Kernel info:
; codeLenInByte = 260
; TotalNumSgprs: 46
; NumVgprs: 128
; ScratchSize: 316
; MemoryBound: 0
; FloatMode: 240
; IeeeMode: 1
; LDSByteSize: 416 bytes/workgroup (compile time only)
; SGPRBlocks: 0
; VGPRBlocks: 15
; NumSGPRsForWavesPerEU: 46
; NumVGPRsForWavesPerEU: 128
; Occupancy: 8
; WaveLimiterHint : 1
; COMPUTE_PGM_RSRC2:SCRATCH_EN: 1
; COMPUTE_PGM_RSRC2:USER_SGPR: 6
; COMPUTE_PGM_RSRC2:TRAP_HANDLER: 0
; COMPUTE_PGM_RSRC2:TGID_X_EN: 1
; COMPUTE_PGM_RSRC2:TGID_Y_EN: 1
; COMPUTE_PGM_RSRC2:TGID_Z_EN: 1
; COMPUTE_PGM_RSRC2:TIDIG_COMP_CNT: 0
	.text
	.p2align	2                               ; -- Begin function _ZN4vllm22paged_attention_kernelIthLi256ELi16ELi128ELNS_18Fp8KVCacheDataTypeE1ELb1ELi0EEEvPfS2_PT_PKS3_PKT0_S9_ifPKiSB_iPKfiiiSD_SD_iiiii
	.type	_ZN4vllm22paged_attention_kernelIthLi256ELi16ELi128ELNS_18Fp8KVCacheDataTypeE1ELb1ELi0EEEvPfS2_PT_PKS3_PKT0_S9_ifPKiSB_iPKfiiiSD_SD_iiiii,@function
_ZN4vllm22paged_attention_kernelIthLi256ELi16ELi128ELNS_18Fp8KVCacheDataTypeE1ELb1ELi0EEEvPfS2_PT_PKS3_PKT0_S9_ifPKiSB_iPKfiiiSD_SD_iiiii: ; @_ZN4vllm22paged_attention_kernelIthLi256ELi16ELi128ELNS_18Fp8KVCacheDataTypeE1ELb1ELi0EEEvPfS2_PT_PKS3_PKT0_S9_ifPKiSB_iPKfiiiSD_SD_iiiii
; %bb.0:
	s_waitcnt vmcnt(0) expcnt(0) lgkmcnt(0)
	buffer_store_dword v40, off, s[0:3], s32 offset:188 ; 4-byte Folded Spill
	buffer_store_dword v41, off, s[0:3], s32 offset:184 ; 4-byte Folded Spill
	;; [unrolled: 1-line block ×47, first 2 shown]
	buffer_store_dword v127, off, s[0:3], s32 ; 4-byte Folded Spill
	s_mov_b32 s10, s13
	s_ashr_i32 s11, s13, 31
	v_mov_b32_e32 v60, v0
	s_lshl_b64 s[4:5], s[10:11], 2
	v_mov_b32_e32 v59, v1
	v_add_co_u32 v0, vcc_lo, v12, s4
	v_add_co_ci_u32_e64 v1, null, s5, v13, vcc_lo
	buffer_store_dword v20, off, s[0:3], s32 offset:372 ; 4-byte Folded Spill
	buffer_store_dword v21, off, s[0:3], s32 offset:376 ; 4-byte Folded Spill
	;; [unrolled: 1-line block ×6, first 2 shown]
	s_clause 0x1
	s_load_dword s4, s[8:9], 0x10
	s_load_dword s5, s[8:9], 0x0
	flat_load_dword v32, v[0:1]
	v_sub_nc_u32_e32 v0, 0, v8
	v_mov_b32_e32 v72, v22
	v_mov_b32_e32 v22, v6
	;; [unrolled: 1-line block ×4, first 2 shown]
	v_max_i32_e32 v0, v8, v0
	s_mov_b32 s18, s15
	v_cvt_f32_u32_e32 v1, v0
	v_sub_nc_u32_e32 v6, 0, v0
	v_rcp_iflag_f32_e32 v1, v1
	s_waitcnt lgkmcnt(0)
	s_lshr_b32 s4, s4, 16
	s_cmp_lg_u32 s4, 0
	s_cselect_b32 s4, -1, 0
	s_cmp_lg_u32 s4, 0
	v_mul_f32_e32 v1, 0x4f7ffffe, v1
	s_addc_u32 s11, s5, 0
	s_abs_i32 s5, s12
	s_abs_i32 s4, s11
	v_cvt_u32_f32_e32 v1, v1
	v_mul_lo_u32 v6, v6, v1
	v_mul_hi_u32 v6, v1, v6
	v_add_nc_u32_e32 v1, v1, v6
	v_mul_hi_u32 v1, s4, v1
	v_mul_lo_u32 v6, v1, v0
	v_add_nc_u32_e32 v7, 1, v1
	v_sub_nc_u32_e32 v6, s4, v6
	s_mov_b32 s4, exec_lo
	v_sub_nc_u32_e32 v9, v6, v0
	v_cmp_ge_u32_e32 vcc_lo, v6, v0
	v_cndmask_b32_e32 v1, v1, v7, vcc_lo
	v_cndmask_b32_e32 v6, v6, v9, vcc_lo
	v_xor_b32_e32 v7, s11, v8
	v_add_nc_u32_e32 v9, 1, v1
	v_cmp_ge_u32_e32 vcc_lo, v6, v0
	v_ashrrev_i32_e32 v7, 31, v7
	v_cndmask_b32_e32 v0, v1, v9, vcc_lo
	v_xor_b32_e32 v0, v0, v7
	v_sub_nc_u32_e32 v1, v0, v7
	v_sub_nc_u32_e32 v0, 0, v1
	v_max_i32_e32 v0, v1, v0
	v_cvt_f32_u32_e32 v6, v0
	v_sub_nc_u32_e32 v7, 0, v0
	v_rcp_iflag_f32_e32 v6, v6
	v_mul_f32_e32 v6, 0x4f7ffffe, v6
	v_cvt_u32_f32_e32 v6, v6
	v_mul_lo_u32 v7, v7, v6
	v_mul_hi_u32 v7, v6, v7
	v_add_nc_u32_e32 v6, v6, v7
	v_mad_u64_u32 v[12:13], null, s5, v6, 0
	v_mov_b32_e32 v6, 0
	buffer_store_dword v6, off, s[0:3], s32 offset:392 ; 4-byte Folded Spill
	v_cmpx_ne_u64_e32 0, v[15:16]
	s_cbranch_execz .LBB261_2
; %bb.1:
	s_ashr_i32 s13, s12, 31
	s_lshl_b64 s[6:7], s[12:13], 2
	v_add_co_u32 v6, vcc_lo, v15, s6
	v_add_co_ci_u32_e64 v7, null, s7, v16, vcc_lo
	flat_load_dword v6, v[6:7]
	s_waitcnt vmcnt(0) lgkmcnt(0)
	buffer_store_dword v6, off, s[0:3], s32 offset:392 ; 4-byte Folded Spill
.LBB261_2:
	s_or_b32 exec_lo, exec_lo, s4
	v_and_b32_e32 v62, 0x3ff, v31
	v_ashrrev_i32_e32 v1, 31, v1
	v_bfe_u32 v61, v31, 1, 9
	v_and_b32_e32 v63, 1, v31
	s_ashr_i32 s6, s12, 31
	v_cmp_gt_u32_e64 s4, 64, v62
	v_lshlrev_b32_e32 v23, 3, v62
	s_lshl_b32 s16, s12, 8
	s_and_saveexec_b32 s7, s4
	s_cbranch_execz .LBB261_4
; %bb.3:
	v_mul_lo_u32 v6, v17, s10
	s_ashr_i32 s17, s16, 31
	s_lshl_b64 s[20:21], s[16:17], 1
	v_ashrrev_i32_e32 v7, 31, v6
	v_lshlrev_b64 v[6:7], 1, v[6:7]
	v_add_co_u32 v2, vcc_lo, v2, v6
	v_add_co_ci_u32_e64 v3, null, v3, v7, vcc_lo
	v_lshlrev_b32_e32 v6, 3, v61
	v_add_co_u32 v2, vcc_lo, v2, s20
	v_add_co_ci_u32_e64 v3, null, s21, v3, vcc_lo
	v_lshl_add_u32 v6, v63, 8, v6
	v_add_co_u32 v2, vcc_lo, v2, v23
	v_add_co_ci_u32_e64 v3, null, 0, v3, vcc_lo
	flat_load_dwordx2 v[2:3], v[2:3]
	s_waitcnt vmcnt(0) lgkmcnt(0)
	ds_write_b64 v6, v[2:3]
.LBB261_4:
	s_or_b32 exec_lo, exec_lo, s7
	v_sub_nc_u32_e32 v2, 0, v27
	v_mul_lo_u32 v3, v13, v0
	v_add_nc_u32_e32 v7, 1, v13
	v_xor_b32_e32 v1, s6, v1
	v_max_i32_e32 v75, v27, v2
	v_sub_nc_u32_e32 v3, s5, v3
	v_cvt_f32_u32_e32 v2, v75
	s_mov_b32 s5, exec_lo
	v_sub_nc_u32_e32 v9, v3, v0
	v_rcp_iflag_f32_e32 v2, v2
	v_cmp_ge_u32_e32 vcc_lo, v3, v0
	v_cndmask_b32_e32 v7, v13, v7, vcc_lo
	v_cndmask_b32_e32 v3, v3, v9, vcc_lo
	v_mul_f32_e32 v2, 0x4f7ffffe, v2
	v_add_nc_u32_e32 v9, 1, v7
	v_cmp_ge_u32_e32 vcc_lo, v3, v0
	v_cvt_u32_f32_e32 v6, v2
	v_sub_nc_u32_e32 v2, 0, v75
	v_cndmask_b32_e32 v3, v7, v9, vcc_lo
	v_mul_lo_u32 v10, v2, v6
	s_waitcnt vmcnt(0)
	v_add_nc_u32_e32 v2, -1, v32
	v_xor_b32_e32 v3, v3, v1
	v_sub_nc_u32_e32 v11, 0, v2
	v_mul_hi_u32 v10, v6, v10
	v_max_i32_e32 v0, v2, v11
	v_add_nc_u32_e32 v6, v6, v10
	v_mad_u64_u32 v[12:13], null, v0, v6, 0
	v_sub_nc_u32_e32 v12, v3, v1
                                        ; implicit-def: $vgpr1
	buffer_store_dword v6, off, s[0:3], s32 offset:208 ; 4-byte Folded Spill
	s_waitcnt lgkmcnt(0)
	s_waitcnt_vscnt null, 0x0
	s_barrier
	buffer_gl0_inv
	buffer_store_dword v1, off, s[0:3], s32 offset:200 ; 4-byte Folded Spill
	buffer_store_dword v2, off, s[0:3], s32 offset:204 ; 4-byte Folded Spill
	v_cmpx_gt_i32_e32 0, v28
	s_xor_b32 s5, exec_lo, s5
	s_cbranch_execz .LBB261_6
; %bb.5:
	v_mad_u64_u32 v[6:7], null, v24, v8, v[12:13]
                                        ; implicit-def: $vgpr24
	v_mul_lo_u32 v1, v6, v28
                                        ; implicit-def: $vgpr28
	v_sub_nc_u32_e32 v1, 1, v1
	buffer_store_dword v1, off, s[0:3], s32 offset:200 ; 4-byte Folded Spill
	buffer_store_dword v2, off, s[0:3], s32 offset:204 ; 4-byte Folded Spill
.LBB261_6:
	s_or_saveexec_b32 s5, s5
	v_ashrrev_i32_e32 v1, 31, v2
	v_ashrrev_i32_e32 v76, 31, v27
	s_xor_b32 exec_lo, exec_lo, s5
	s_cbranch_execz .LBB261_8
; %bb.7:
	v_mad_u64_u32 v[2:3], null, s11, v24, s[12:13]
	v_mad_u64_u32 v[2:3], null, v2, v28, 1
	buffer_store_dword v2, off, s[0:3], s32 offset:200 ; 4-byte Folded Spill
	buffer_store_dword v3, off, s[0:3], s32 offset:204 ; 4-byte Folded Spill
.LBB261_8:
	s_or_b32 exec_lo, exec_lo, s5
	v_mul_lo_u32 v2, v13, v75
	v_add_nc_u32_e32 v3, 15, v32
	s_clause 0x1
	s_load_dword s17, s[8:9], 0x14
	s_load_dword s15, s[8:9], 0x8
	v_xor_b32_e32 v9, v1, v76
	v_mul_lo_u32 v29, v12, v19
	v_lshrrev_b32_e32 v74, 5, v62
	v_ashrrev_i32_e32 v8, 31, v3
	v_sub_nc_u32_e32 v30, 0, v26
	v_sub_nc_u32_e32 v2, v0, v2
	v_add_nc_u32_e32 v0, 1, v13
	v_lshrrev_b32_e32 v19, 3, v62
	v_lshrrev_b32_e32 v1, 28, v8
	v_lshlrev_b32_e32 v78, 4, v74
	v_cmp_ge_u32_e32 vcc_lo, v2, v75
	v_sub_nc_u32_e32 v7, v2, v75
	v_ashrrev_i32_e32 v31, 31, v29
	v_add_nc_u32_e32 v3, v3, v1
	s_mov_b32 s9, exec_lo
	v_cndmask_b32_e32 v6, v13, v0, vcc_lo
	v_cndmask_b32_e32 v2, v2, v7, vcc_lo
	v_mul_lo_u32 v0, v14, s10
	v_ashrrev_i32_e32 v77, 4, v3
	v_add_nc_u32_e32 v7, 1, v6
	v_cmp_ge_u32_e32 vcc_lo, v2, v75
	v_cmp_ge_i32_e64 s5, v74, v77
	v_ashrrev_i32_e32 v1, 31, v0
	v_cndmask_b32_e32 v2, v6, v7, vcc_lo
	v_mov_b32_e32 v7, 0xff7fffff
	v_lshlrev_b64 v[12:13], 2, v[0:1]
	v_xor_b32_e32 v2, v2, v9
	v_sub_nc_u32_e32 v2, v2, v9
	v_sub_nc_u32_e32 v0, v2, v25
	buffer_store_dword v0, off, s[0:3], s32 offset:212 ; 4-byte Folded Spill
	v_cmpx_lt_i32_e64 v74, v77
	s_cbranch_execz .LBB261_1044
; %bb.9:
	buffer_store_dword v23, off, s[0:3], s32 offset:464 ; 4-byte Folded Spill
	buffer_store_dword v22, off, s[0:3], s32 offset:460 ; 4-byte Folded Spill
	;; [unrolled: 1-line block ×14, first 2 shown]
	buffer_load_dword v3, off, s[0:3], s32 offset:392 ; 4-byte Folded Reload
	v_lshlrev_b32_e32 v7, 2, v63
	v_add_co_u32 v1, s6, v4, v29
	v_max_i32_e32 v6, v26, v30
	v_bfe_u32 v8, v62, 1, 4
	v_add_co_ci_u32_e64 v2, null, v5, v31, s6
	buffer_store_dword v7, off, s[0:3], s32 offset:192 ; 4-byte Folded Spill
	v_or_b32_e32 v7, 8, v7
	buffer_store_dword v62, off, s[0:3], s32 offset:428 ; 4-byte Folded Spill
	buffer_store_dword v29, off, s[0:3], s32 offset:480 ; 4-byte Folded Spill
	buffer_store_dword v31, off, s[0:3], s32 offset:488 ; 4-byte Folded Spill
	buffer_store_dword v63, off, s[0:3], s32 offset:432 ; 4-byte Folded Spill
	buffer_store_dword v19, off, s[0:3], s32 offset:476 ; 4-byte Folded Spill
	buffer_store_dword v6, off, s[0:3], s32 offset:292 ; 4-byte Folded Spill
	buffer_store_dword v7, off, s[0:3], s32 offset:196 ; 4-byte Folded Spill
	buffer_store_dword v8, off, s[0:3], s32 offset:400 ; 4-byte Folded Spill
	v_cvt_f32_u32_e32 v0, v6
	v_sub_nc_u32_e32 v5, 0, v6
	v_lshlrev_b32_e32 v6, 4, v8
	s_ashr_i32 s19, s18, 31
	s_getpc_b64 s[12:13]
	s_add_u32 s12, s12, llvm.amdgcn.dynlds.offset.table@rel32@lo+4
	s_addc_u32 s13, s13, llvm.amdgcn.dynlds.offset.table@rel32@hi+12
	s_lshl_b64 s[20:21], s[18:19], 2
	v_lshlrev_b32_e32 v7, 2, v8
	v_sub_nc_u32_e32 v8, v8, v32
	s_add_u32 s12, s12, s20
	s_addc_u32 s13, s13, s21
	v_rcp_iflag_f32_e32 v0, v0
	v_mov_b32_e32 v37, v74
	v_mov_b32_e32 v4, 0
	v_lshlrev_b32_e32 v64, 8, v63
	v_lshlrev_b32_e32 v65, 4, v74
	v_mov_b32_e32 v66, 0x80
	v_lshl_or_b32 v110, v37, 6, v7
	s_mov_b32 s20, 0
	v_cmp_eq_u32_e32 vcc_lo, 0, v63
	v_mul_f32_e32 v0, 0x4f7ffffe, v0
	v_cvt_u32_f32_e32 v0, v0
	v_mul_lo_u32 v5, v5, v0
	v_mul_hi_u32 v5, v0, v5
	v_add_nc_u32_e32 v0, v0, v5
	s_waitcnt vmcnt(0)
	v_cmp_neq_f32_e64 s6, 0, v3
	v_and_b32_e32 v3, 0x7c, v19
	v_add_co_u32 v3, s7, v3, v12
	buffer_store_dword v12, off, s[0:3], s32 offset:468 ; 4-byte Folded Spill
	buffer_store_dword v13, off, s[0:3], s32 offset:472 ; 4-byte Folded Spill
	s_load_dword s19, s[12:13], 0x0
	v_add_co_ci_u32_e64 v9, null, 0, v13, s7
	v_add_co_u32 v1, s7, v1, v6
	v_add_co_ci_u32_e64 v2, null, 0, v2, s7
	buffer_store_dword v1, off, s[0:3], s32 offset:384 ; 4-byte Folded Spill
	buffer_store_dword v2, off, s[0:3], s32 offset:388 ; 4-byte Folded Spill
	v_add_nc_u32_e32 v1, 1, v8
	buffer_store_dword v0, off, s[0:3], s32 offset:296 ; 4-byte Folded Spill
	v_mov_b32_e32 v0, 0xff7fffff
	buffer_store_dword v1, off, s[0:3], s32 offset:404 ; 4-byte Folded Spill
	buffer_load_dword v1, off, s[0:3], s32 offset:412 ; 4-byte Folded Reload
	s_waitcnt vmcnt(0)
	v_add_co_u32 v16, s7, v1, v3
	buffer_load_dword v1, off, s[0:3], s32 offset:408 ; 4-byte Folded Reload
	buffer_store_dword v0, off, s[0:3], s32 offset:380 ; 4-byte Folded Spill
	buffer_store_dword v37, off, s[0:3], s32 offset:444 ; 4-byte Folded Spill
	s_waitcnt vmcnt(0)
	v_add_co_ci_u32_e64 v17, null, v1, v9, s7
	s_branch .LBB261_12
.LBB261_10:                             ;   in Loop: Header=BB261_12 Depth=1
	s_or_b32 exec_lo, exec_lo, s21
.LBB261_11:                             ;   in Loop: Header=BB261_12 Depth=1
	s_or_b32 exec_lo, exec_lo, s8
	buffer_load_dword v0, off, s[0:3], s32 offset:288 ; 4-byte Folded Reload
	v_add_nc_u32_e32 v37, 4, v37
	v_add_co_u32 v16, s8, v16, 16
	v_add_nc_u32_e32 v65, 64, v65
	v_add_nc_u32_e32 v110, 0x100, v110
	v_add_co_ci_u32_e64 v17, null, 0, v17, s8
	s_waitcnt vmcnt(0)
	v_cmp_ge_i32_e64 s7, v37, v0
	s_or_b32 s20, s7, s20
	s_andn2_b32 exec_lo, exec_lo, s20
	s_cbranch_execz .LBB261_1043
.LBB261_12:                             ; =>This Inner Loop Header: Depth=1
	s_clause 0x1
	buffer_load_dword v0, off, s[0:3], s32 offset:208
	buffer_load_dword v5, off, s[0:3], s32 offset:280
	s_waitcnt vmcnt(1)
	v_mul_hi_u32 v0, v65, v0
	s_waitcnt vmcnt(0) lgkmcnt(0)
	v_mul_lo_u32 v1, v0, v5
	v_add_nc_u32_e32 v2, 1, v0
	v_sub_nc_u32_e32 v1, v65, v1
	v_sub_nc_u32_e32 v3, v1, v5
	v_cmp_ge_u32_e64 s7, v1, v5
	v_cndmask_b32_e64 v1, v1, v3, s7
	v_cndmask_b32_e64 v0, v0, v2, s7
	v_cmp_ge_u32_e64 s7, v1, v5
	buffer_load_dword v1, off, s[0:3], s32 offset:284 ; 4-byte Folded Reload
	v_add_nc_u32_e32 v2, 1, v0
	v_cndmask_b32_e64 v0, v0, v2, s7
	s_waitcnt vmcnt(0)
	v_xor_b32_e32 v0, v0, v1
	v_sub_nc_u32_e32 v0, v0, v1
	s_clause 0x3
	buffer_load_dword v1, off, s[0:3], s32 offset:200
	buffer_load_dword v2, off, s[0:3], s32 offset:204
	;; [unrolled: 1-line block ×4, first 2 shown]
	s_waitcnt vmcnt(3)
	v_add_nc_u32_e32 v1, v0, v1
	s_waitcnt vmcnt(2)
	v_sub_nc_u32_e32 v2, 0, v1
	v_max_i32_e32 v2, v1, v2
	v_ashrrev_i32_e32 v1, 31, v1
	s_waitcnt vmcnt(1)
	v_mul_hi_u32 v3, v2, v3
	s_waitcnt vmcnt(0)
	v_mul_lo_u32 v3, v3, v5
	v_sub_nc_u32_e32 v2, v2, v3
	v_sub_nc_u32_e32 v3, v2, v5
	v_cmp_ge_u32_e64 s7, v2, v5
	v_cndmask_b32_e64 v2, v2, v3, s7
	v_sub_nc_u32_e32 v3, v2, v5
	v_cmp_ge_u32_e64 s7, v2, v5
	v_cndmask_b32_e64 v2, v2, v3, s7
	v_xor_b32_e32 v2, v2, v1
	v_sub_nc_u32_e32 v1, v2, v1
	v_cmp_ne_u32_e64 s7, 0, v1
	buffer_load_dword v1, off, s[0:3], s32 offset:212 ; 4-byte Folded Reload
	s_waitcnt vmcnt(0)
	v_cmp_le_i32_e64 s8, v0, v1
	s_and_b32 s7, s7, s8
	s_and_saveexec_b32 s8, s7
	s_xor_b32 s7, exec_lo, s8
	s_cbranch_execz .LBB261_16
; %bb.13:                               ;   in Loop: Header=BB261_12 Depth=1
	s_and_saveexec_b32 s8, vcc_lo
	s_cbranch_execz .LBB261_15
; %bb.14:                               ;   in Loop: Header=BB261_12 Depth=1
	s_waitcnt lgkmcnt(0)
	v_add_nc_u32_e32 v0, s19, v110
	v_mov_b32_e32 v1, 0xff7fffff
	ds_write_b32 v0, v1
.LBB261_15:                             ;   in Loop: Header=BB261_12 Depth=1
	s_or_b32 exec_lo, exec_lo, s8
.LBB261_16:                             ;   in Loop: Header=BB261_12 Depth=1
	s_andn2_saveexec_b32 s8, s7
	s_cbranch_execz .LBB261_11
; %bb.17:                               ;   in Loop: Header=BB261_12 Depth=1
	flat_load_dword v0, v[16:17]
	s_clause 0x2
	buffer_load_dword v1, off, s[0:3], s32 offset:276
	buffer_load_dword v2, off, s[0:3], s32 offset:384
	;; [unrolled: 1-line block ×3, first 2 shown]
	v_mov_b32_e32 v126, 0
	v_mov_b32_e32 v127, 0
	s_waitcnt vmcnt(0) lgkmcnt(0)
	v_mad_i64_i32 v[24:25], null, v0, v1, v[2:3]
	buffer_load_dword v0, off, s[0:3], s32 offset:192 ; 4-byte Folded Reload
	s_waitcnt vmcnt(0)
	v_add_co_u32 v27, s7, v24, v0
	v_add_co_ci_u32_e64 v28, null, 0, v25, s7
	flat_load_dword v5, v[27:28]
	s_clause 0x1
	buffer_load_dword v0, off, s[0:3], s32 offset:372
	buffer_load_dword v1, off, s[0:3], s32 offset:376
	s_waitcnt vmcnt(2) lgkmcnt(0)
	v_cmp_ne_u16_sdwa s7, v5, v4 src0_sel:BYTE_0 src1_sel:DWORD
	s_waitcnt vmcnt(0)
	flat_load_dword v84, v[0:1]
	s_and_saveexec_b32 s21, s7
	s_cbranch_execz .LBB261_25
; %bb.18:                               ;   in Loop: Header=BB261_12 Depth=1
	v_cmp_ne_u16_sdwa s7, v5, v66 src0_sel:BYTE_0 src1_sel:DWORD
	v_mov_b32_e32 v127, 0x8000
	s_and_saveexec_b32 s22, s7
	s_cbranch_execz .LBB261_24
; %bb.19:                               ;   in Loop: Header=BB261_12 Depth=1
	v_and_b32_e32 v2, 0x7f, v5
	v_mov_b32_e32 v127, 0x7c01
	s_mov_b32 s23, exec_lo
	v_cmpx_ne_u32_e32 0x7f, v2
	s_cbranch_execz .LBB261_23
; %bb.20:                               ;   in Loop: Header=BB261_12 Depth=1
	v_and_b32_e32 v0, 7, v5
	v_lshrrev_b32_e32 v1, 3, v2
	s_mov_b32 s24, exec_lo
	v_cmpx_gt_u32_e32 8, v2
; %bb.21:                               ;   in Loop: Header=BB261_12 Depth=1
	v_ffbh_u32_e32 v0, v0
	v_min_u32_e32 v2, 32, v0
	v_subrev_nc_u32_e32 v0, 28, v2
	v_lshlrev_b64 v[0:1], v0, v[5:6]
	v_sub_nc_u32_e32 v1, 29, v2
	v_and_b32_e32 v0, 7, v0
; %bb.22:                               ;   in Loop: Header=BB261_12 Depth=1
	s_or_b32 exec_lo, exec_lo, s24
	v_lshlrev_b32_e32 v2, 8, v5
	v_lshl_add_u32 v1, v1, 10, 0x2000
	v_lshlrev_b32_e32 v0, 7, v0
	v_and_b32_e32 v2, 0x8000, v2
	v_and_b32_e32 v1, 0xfc00, v1
	v_or3_b32 v127, v2, v1, v0
.LBB261_23:                             ;   in Loop: Header=BB261_12 Depth=1
	s_or_b32 exec_lo, exec_lo, s23
.LBB261_24:                             ;   in Loop: Header=BB261_12 Depth=1
	s_or_b32 exec_lo, exec_lo, s22
.LBB261_25:                             ;   in Loop: Header=BB261_12 Depth=1
	s_or_b32 exec_lo, exec_lo, s21
	v_lshrrev_b16 v3, 8, v5
	s_mov_b32 s21, exec_lo
	v_cmpx_ne_u16_e32 0, v3
	s_cbranch_execz .LBB261_33
; %bb.26:                               ;   in Loop: Header=BB261_12 Depth=1
	v_bfrev_b32_e32 v126, 1
	s_mov_b32 s22, exec_lo
	v_cmpx_ne_u16_e32 0x80, v3
	s_cbranch_execz .LBB261_32
; %bb.27:                               ;   in Loop: Header=BB261_12 Depth=1
	v_mov_b32_e32 v0, 0x7f
	v_mov_b32_e32 v126, 0x7c010000
	s_mov_b32 s23, exec_lo
	v_and_b32_sdwa v2, v3, v0 dst_sel:DWORD dst_unused:UNUSED_PAD src0_sel:WORD_0 src1_sel:DWORD
	v_cmpx_ne_u32_e32 0x7f, v2
	s_cbranch_execz .LBB261_31
; %bb.28:                               ;   in Loop: Header=BB261_12 Depth=1
	v_mov_b32_e32 v0, 7
	v_lshrrev_b32_e32 v1, 3, v2
	s_mov_b32 s24, exec_lo
	v_and_b32_sdwa v0, v3, v0 dst_sel:DWORD dst_unused:UNUSED_PAD src0_sel:WORD_0 src1_sel:DWORD
	v_cmpx_gt_u32_e32 8, v2
; %bb.29:                               ;   in Loop: Header=BB261_12 Depth=1
	v_ffbh_u32_e32 v0, v0
	v_min_u32_e32 v2, 32, v0
	v_subrev_nc_u32_e32 v0, 28, v2
	v_lshlrev_b64 v[0:1], v0, v[3:4]
	v_sub_nc_u32_e32 v1, 29, v2
	v_and_b32_e32 v0, 7, v0
; %bb.30:                               ;   in Loop: Header=BB261_12 Depth=1
	s_or_b32 exec_lo, exec_lo, s24
	v_mov_b32_e32 v2, 8
	v_lshl_add_u32 v1, v1, 10, 0x2000
	v_lshlrev_b32_e32 v0, 23, v0
	v_lshlrev_b32_sdwa v2, v2, v3 dst_sel:DWORD dst_unused:UNUSED_PAD src0_sel:DWORD src1_sel:WORD_0
	v_and_or_b32 v1, 0x8000, v2, v1
	v_lshl_or_b32 v126, v1, 16, v0
.LBB261_31:                             ;   in Loop: Header=BB261_12 Depth=1
	s_or_b32 exec_lo, exec_lo, s23
.LBB261_32:                             ;   in Loop: Header=BB261_12 Depth=1
	s_or_b32 exec_lo, exec_lo, s22
.LBB261_33:                             ;   in Loop: Header=BB261_12 Depth=1
	s_or_b32 exec_lo, exec_lo, s21
	v_lshrrev_b32_e32 v3, 16, v5
	v_mov_b32_e32 v124, 0
	v_mov_b32_e32 v0, 0
	v_cmp_ne_u16_sdwa s7, v3, v4 src0_sel:BYTE_0 src1_sel:DWORD
	buffer_store_dword v0, off, s[0:3], s32 offset:216 ; 4-byte Folded Spill
	s_and_saveexec_b32 s21, s7
	s_cbranch_execz .LBB261_41
; %bb.34:                               ;   in Loop: Header=BB261_12 Depth=1
	v_cmp_ne_u16_sdwa s7, v3, v66 src0_sel:BYTE_0 src1_sel:DWORD
	v_mov_b32_e32 v0, 0x8000
	buffer_store_dword v0, off, s[0:3], s32 offset:216 ; 4-byte Folded Spill
	s_and_saveexec_b32 s22, s7
	s_cbranch_execz .LBB261_40
; %bb.35:                               ;   in Loop: Header=BB261_12 Depth=1
	v_bfe_u32 v2, v5, 16, 7
	v_mov_b32_e32 v0, 0x7c01
	s_mov_b32 s23, exec_lo
	buffer_store_dword v0, off, s[0:3], s32 offset:216 ; 4-byte Folded Spill
	v_cmpx_ne_u32_e32 0x7f, v2
	s_cbranch_execz .LBB261_39
; %bb.36:                               ;   in Loop: Header=BB261_12 Depth=1
	v_and_b32_e32 v0, 7, v3
	v_lshrrev_b32_e32 v1, 3, v2
	s_mov_b32 s24, exec_lo
	v_cmpx_gt_u32_e32 8, v2
; %bb.37:                               ;   in Loop: Header=BB261_12 Depth=1
	v_ffbh_u32_e32 v0, v0
	v_min_u32_e32 v2, 32, v0
	v_subrev_nc_u32_e32 v0, 28, v2
	v_lshlrev_b64 v[0:1], v0, v[3:4]
	v_sub_nc_u32_e32 v1, 29, v2
	v_and_b32_e32 v0, 7, v0
; %bb.38:                               ;   in Loop: Header=BB261_12 Depth=1
	s_or_b32 exec_lo, exec_lo, s24
	v_lshlrev_b32_e32 v2, 8, v3
	v_lshl_add_u32 v1, v1, 10, 0x2000
	v_lshlrev_b32_e32 v0, 7, v0
	v_and_b32_e32 v2, 0x8000, v2
	v_and_b32_e32 v1, 0xfc00, v1
	v_or3_b32 v0, v2, v1, v0
	buffer_store_dword v0, off, s[0:3], s32 offset:216 ; 4-byte Folded Spill
.LBB261_39:                             ;   in Loop: Header=BB261_12 Depth=1
	s_or_b32 exec_lo, exec_lo, s23
.LBB261_40:                             ;   in Loop: Header=BB261_12 Depth=1
	s_or_b32 exec_lo, exec_lo, s22
.LBB261_41:                             ;   in Loop: Header=BB261_12 Depth=1
	s_or_b32 exec_lo, exec_lo, s21
	s_mov_b32 s21, exec_lo
	v_cmpx_lt_u32_e32 0xffffff, v5
	s_cbranch_execz .LBB261_49
; %bb.42:                               ;   in Loop: Header=BB261_12 Depth=1
	v_lshrrev_b32_e32 v3, 24, v5
	v_bfrev_b32_e32 v124, 1
	s_mov_b32 s22, exec_lo
	v_cmpx_ne_u32_e32 0x80, v3
	s_cbranch_execz .LBB261_48
; %bb.43:                               ;   in Loop: Header=BB261_12 Depth=1
	v_and_b32_e32 v2, 0x7f, v3
	v_mov_b32_e32 v124, 0x7c010000
	s_mov_b32 s23, exec_lo
	v_cmpx_ne_u32_e32 0x7f, v2
	s_cbranch_execz .LBB261_47
; %bb.44:                               ;   in Loop: Header=BB261_12 Depth=1
	v_and_b32_e32 v0, 7, v3
	v_lshrrev_b32_e32 v1, 3, v2
	s_mov_b32 s24, exec_lo
	v_cmpx_gt_u32_e32 8, v2
; %bb.45:                               ;   in Loop: Header=BB261_12 Depth=1
	v_ffbh_u32_e32 v0, v0
	v_min_u32_e32 v2, 32, v0
	v_subrev_nc_u32_e32 v0, 28, v2
	v_lshlrev_b64 v[0:1], v0, v[3:4]
	v_sub_nc_u32_e32 v1, 29, v2
	v_and_b32_e32 v0, 7, v0
; %bb.46:                               ;   in Loop: Header=BB261_12 Depth=1
	s_or_b32 exec_lo, exec_lo, s24
	v_lshlrev_b32_e32 v2, 8, v3
	v_lshl_add_u32 v1, v1, 10, 0x2000
	v_lshlrev_b32_e32 v0, 23, v0
	v_and_or_b32 v1, 0x8000, v2, v1
	v_lshl_or_b32 v124, v1, 16, v0
.LBB261_47:                             ;   in Loop: Header=BB261_12 Depth=1
	s_or_b32 exec_lo, exec_lo, s23
.LBB261_48:                             ;   in Loop: Header=BB261_12 Depth=1
	s_or_b32 exec_lo, exec_lo, s22
.LBB261_49:                             ;   in Loop: Header=BB261_12 Depth=1
	s_or_b32 exec_lo, exec_lo, s21
	flat_load_dword v5, v[27:28] offset:8
	v_mov_b32_e32 v0, 0
	buffer_store_dword v0, off, s[0:3], s32 offset:220 ; 4-byte Folded Spill
	v_mov_b32_e32 v0, 0
	buffer_store_dword v0, off, s[0:3], s32 offset:224 ; 4-byte Folded Spill
	s_waitcnt vmcnt(0) lgkmcnt(0)
	v_cmp_ne_u16_sdwa s7, v5, v4 src0_sel:BYTE_0 src1_sel:DWORD
	s_and_saveexec_b32 s21, s7
	s_cbranch_execz .LBB261_57
; %bb.50:                               ;   in Loop: Header=BB261_12 Depth=1
	v_cmp_ne_u16_sdwa s7, v5, v66 src0_sel:BYTE_0 src1_sel:DWORD
	v_mov_b32_e32 v0, 0x8000
	buffer_store_dword v0, off, s[0:3], s32 offset:224 ; 4-byte Folded Spill
	s_and_saveexec_b32 s22, s7
	s_cbranch_execz .LBB261_56
; %bb.51:                               ;   in Loop: Header=BB261_12 Depth=1
	v_and_b32_e32 v2, 0x7f, v5
	v_mov_b32_e32 v0, 0x7c01
	s_mov_b32 s23, exec_lo
	buffer_store_dword v0, off, s[0:3], s32 offset:224 ; 4-byte Folded Spill
	v_cmpx_ne_u32_e32 0x7f, v2
	s_cbranch_execz .LBB261_55
; %bb.52:                               ;   in Loop: Header=BB261_12 Depth=1
	v_and_b32_e32 v0, 7, v5
	v_lshrrev_b32_e32 v1, 3, v2
	s_mov_b32 s24, exec_lo
	v_cmpx_gt_u32_e32 8, v2
; %bb.53:                               ;   in Loop: Header=BB261_12 Depth=1
	v_ffbh_u32_e32 v0, v0
	v_min_u32_e32 v2, 32, v0
	v_subrev_nc_u32_e32 v0, 28, v2
	v_lshlrev_b64 v[0:1], v0, v[5:6]
	v_sub_nc_u32_e32 v1, 29, v2
	v_and_b32_e32 v0, 7, v0
; %bb.54:                               ;   in Loop: Header=BB261_12 Depth=1
	s_or_b32 exec_lo, exec_lo, s24
	v_lshlrev_b32_e32 v2, 8, v5
	v_lshl_add_u32 v1, v1, 10, 0x2000
	v_lshlrev_b32_e32 v0, 7, v0
	v_and_b32_e32 v2, 0x8000, v2
	v_and_b32_e32 v1, 0xfc00, v1
	v_or3_b32 v0, v2, v1, v0
	buffer_store_dword v0, off, s[0:3], s32 offset:224 ; 4-byte Folded Spill
.LBB261_55:                             ;   in Loop: Header=BB261_12 Depth=1
	s_or_b32 exec_lo, exec_lo, s23
.LBB261_56:                             ;   in Loop: Header=BB261_12 Depth=1
	s_or_b32 exec_lo, exec_lo, s22
.LBB261_57:                             ;   in Loop: Header=BB261_12 Depth=1
	s_or_b32 exec_lo, exec_lo, s21
	v_lshrrev_b16 v3, 8, v5
	s_mov_b32 s21, exec_lo
	v_cmpx_ne_u16_e32 0, v3
	s_cbranch_execz .LBB261_65
; %bb.58:                               ;   in Loop: Header=BB261_12 Depth=1
	v_bfrev_b32_e32 v0, 1
	s_mov_b32 s22, exec_lo
	buffer_store_dword v0, off, s[0:3], s32 offset:220 ; 4-byte Folded Spill
	v_cmpx_ne_u16_e32 0x80, v3
	s_cbranch_execz .LBB261_64
; %bb.59:                               ;   in Loop: Header=BB261_12 Depth=1
	v_mov_b32_e32 v0, 0x7f
	s_mov_b32 s23, exec_lo
	v_and_b32_sdwa v2, v3, v0 dst_sel:DWORD dst_unused:UNUSED_PAD src0_sel:WORD_0 src1_sel:DWORD
	v_mov_b32_e32 v0, 0x7c010000
	buffer_store_dword v0, off, s[0:3], s32 offset:220 ; 4-byte Folded Spill
	v_cmpx_ne_u32_e32 0x7f, v2
	s_cbranch_execz .LBB261_63
; %bb.60:                               ;   in Loop: Header=BB261_12 Depth=1
	v_mov_b32_e32 v0, 7
	v_lshrrev_b32_e32 v1, 3, v2
	s_mov_b32 s24, exec_lo
	v_and_b32_sdwa v0, v3, v0 dst_sel:DWORD dst_unused:UNUSED_PAD src0_sel:WORD_0 src1_sel:DWORD
	v_cmpx_gt_u32_e32 8, v2
; %bb.61:                               ;   in Loop: Header=BB261_12 Depth=1
	v_ffbh_u32_e32 v0, v0
	v_min_u32_e32 v2, 32, v0
	v_subrev_nc_u32_e32 v0, 28, v2
	v_lshlrev_b64 v[0:1], v0, v[3:4]
	v_sub_nc_u32_e32 v1, 29, v2
	v_and_b32_e32 v0, 7, v0
; %bb.62:                               ;   in Loop: Header=BB261_12 Depth=1
	s_or_b32 exec_lo, exec_lo, s24
	v_mov_b32_e32 v2, 8
	v_lshl_add_u32 v1, v1, 10, 0x2000
	v_lshlrev_b32_e32 v0, 23, v0
	v_lshlrev_b32_sdwa v2, v2, v3 dst_sel:DWORD dst_unused:UNUSED_PAD src0_sel:DWORD src1_sel:WORD_0
	v_and_or_b32 v1, 0x8000, v2, v1
	v_lshl_or_b32 v0, v1, 16, v0
	buffer_store_dword v0, off, s[0:3], s32 offset:220 ; 4-byte Folded Spill
.LBB261_63:                             ;   in Loop: Header=BB261_12 Depth=1
	s_or_b32 exec_lo, exec_lo, s23
.LBB261_64:                             ;   in Loop: Header=BB261_12 Depth=1
	s_or_b32 exec_lo, exec_lo, s22
.LBB261_65:                             ;   in Loop: Header=BB261_12 Depth=1
	s_or_b32 exec_lo, exec_lo, s21
	v_lshrrev_b32_e32 v3, 16, v5
	v_mov_b32_e32 v103, 0
	v_mov_b32_e32 v0, 0
	v_cmp_ne_u16_sdwa s7, v3, v4 src0_sel:BYTE_0 src1_sel:DWORD
	buffer_store_dword v0, off, s[0:3], s32 offset:228 ; 4-byte Folded Spill
	s_and_saveexec_b32 s21, s7
	s_cbranch_execz .LBB261_73
; %bb.66:                               ;   in Loop: Header=BB261_12 Depth=1
	v_cmp_ne_u16_sdwa s7, v3, v66 src0_sel:BYTE_0 src1_sel:DWORD
	v_mov_b32_e32 v0, 0x8000
	buffer_store_dword v0, off, s[0:3], s32 offset:228 ; 4-byte Folded Spill
	s_and_saveexec_b32 s22, s7
	s_cbranch_execz .LBB261_72
; %bb.67:                               ;   in Loop: Header=BB261_12 Depth=1
	v_bfe_u32 v2, v5, 16, 7
	v_mov_b32_e32 v0, 0x7c01
	s_mov_b32 s23, exec_lo
	buffer_store_dword v0, off, s[0:3], s32 offset:228 ; 4-byte Folded Spill
	v_cmpx_ne_u32_e32 0x7f, v2
	s_cbranch_execz .LBB261_71
; %bb.68:                               ;   in Loop: Header=BB261_12 Depth=1
	v_and_b32_e32 v0, 7, v3
	v_lshrrev_b32_e32 v1, 3, v2
	s_mov_b32 s24, exec_lo
	v_cmpx_gt_u32_e32 8, v2
; %bb.69:                               ;   in Loop: Header=BB261_12 Depth=1
	v_ffbh_u32_e32 v0, v0
	v_min_u32_e32 v2, 32, v0
	v_subrev_nc_u32_e32 v0, 28, v2
	v_lshlrev_b64 v[0:1], v0, v[3:4]
	v_sub_nc_u32_e32 v1, 29, v2
	v_and_b32_e32 v0, 7, v0
; %bb.70:                               ;   in Loop: Header=BB261_12 Depth=1
	s_or_b32 exec_lo, exec_lo, s24
	v_lshlrev_b32_e32 v2, 8, v3
	v_lshl_add_u32 v1, v1, 10, 0x2000
	v_lshlrev_b32_e32 v0, 7, v0
	v_and_b32_e32 v2, 0x8000, v2
	v_and_b32_e32 v1, 0xfc00, v1
	v_or3_b32 v0, v2, v1, v0
	buffer_store_dword v0, off, s[0:3], s32 offset:228 ; 4-byte Folded Spill
.LBB261_71:                             ;   in Loop: Header=BB261_12 Depth=1
	s_or_b32 exec_lo, exec_lo, s23
.LBB261_72:                             ;   in Loop: Header=BB261_12 Depth=1
	s_or_b32 exec_lo, exec_lo, s22
.LBB261_73:                             ;   in Loop: Header=BB261_12 Depth=1
	s_or_b32 exec_lo, exec_lo, s21
	s_mov_b32 s21, exec_lo
	v_cmpx_lt_u32_e32 0xffffff, v5
	s_cbranch_execz .LBB261_81
; %bb.74:                               ;   in Loop: Header=BB261_12 Depth=1
	v_lshrrev_b32_e32 v3, 24, v5
	v_bfrev_b32_e32 v103, 1
	s_mov_b32 s22, exec_lo
	v_cmpx_ne_u32_e32 0x80, v3
	s_cbranch_execz .LBB261_80
; %bb.75:                               ;   in Loop: Header=BB261_12 Depth=1
	v_and_b32_e32 v2, 0x7f, v3
	v_mov_b32_e32 v103, 0x7c010000
	s_mov_b32 s23, exec_lo
	v_cmpx_ne_u32_e32 0x7f, v2
	s_cbranch_execz .LBB261_79
; %bb.76:                               ;   in Loop: Header=BB261_12 Depth=1
	v_and_b32_e32 v0, 7, v3
	v_lshrrev_b32_e32 v1, 3, v2
	s_mov_b32 s24, exec_lo
	v_cmpx_gt_u32_e32 8, v2
; %bb.77:                               ;   in Loop: Header=BB261_12 Depth=1
	v_ffbh_u32_e32 v0, v0
	v_min_u32_e32 v2, 32, v0
	v_subrev_nc_u32_e32 v0, 28, v2
	v_lshlrev_b64 v[0:1], v0, v[3:4]
	v_sub_nc_u32_e32 v1, 29, v2
	v_and_b32_e32 v0, 7, v0
; %bb.78:                               ;   in Loop: Header=BB261_12 Depth=1
	s_or_b32 exec_lo, exec_lo, s24
	v_lshlrev_b32_e32 v2, 8, v3
	v_lshl_add_u32 v1, v1, 10, 0x2000
	v_lshlrev_b32_e32 v0, 23, v0
	v_and_or_b32 v1, 0x8000, v2, v1
	v_lshl_or_b32 v103, v1, 16, v0
.LBB261_79:                             ;   in Loop: Header=BB261_12 Depth=1
	s_or_b32 exec_lo, exec_lo, s23
.LBB261_80:                             ;   in Loop: Header=BB261_12 Depth=1
	s_or_b32 exec_lo, exec_lo, s22
.LBB261_81:                             ;   in Loop: Header=BB261_12 Depth=1
	s_or_b32 exec_lo, exec_lo, s21
	flat_load_dword v5, v[27:28] offset:256
	v_mov_b32_e32 v101, 0
	v_mov_b32_e32 v0, 0
	buffer_store_dword v0, off, s[0:3], s32 offset:232 ; 4-byte Folded Spill
	s_waitcnt vmcnt(0) lgkmcnt(0)
	v_cmp_ne_u16_sdwa s7, v5, v4 src0_sel:BYTE_0 src1_sel:DWORD
	s_and_saveexec_b32 s21, s7
	s_cbranch_execz .LBB261_89
; %bb.82:                               ;   in Loop: Header=BB261_12 Depth=1
	v_cmp_ne_u16_sdwa s7, v5, v66 src0_sel:BYTE_0 src1_sel:DWORD
	v_mov_b32_e32 v0, 0x8000
	buffer_store_dword v0, off, s[0:3], s32 offset:232 ; 4-byte Folded Spill
	s_and_saveexec_b32 s22, s7
	s_cbranch_execz .LBB261_88
; %bb.83:                               ;   in Loop: Header=BB261_12 Depth=1
	v_and_b32_e32 v2, 0x7f, v5
	v_mov_b32_e32 v0, 0x7c01
	s_mov_b32 s23, exec_lo
	buffer_store_dword v0, off, s[0:3], s32 offset:232 ; 4-byte Folded Spill
	v_cmpx_ne_u32_e32 0x7f, v2
	s_cbranch_execz .LBB261_87
; %bb.84:                               ;   in Loop: Header=BB261_12 Depth=1
	v_and_b32_e32 v0, 7, v5
	v_lshrrev_b32_e32 v1, 3, v2
	s_mov_b32 s24, exec_lo
	v_cmpx_gt_u32_e32 8, v2
; %bb.85:                               ;   in Loop: Header=BB261_12 Depth=1
	v_ffbh_u32_e32 v0, v0
	v_min_u32_e32 v2, 32, v0
	v_subrev_nc_u32_e32 v0, 28, v2
	v_lshlrev_b64 v[0:1], v0, v[5:6]
	v_sub_nc_u32_e32 v1, 29, v2
	v_and_b32_e32 v0, 7, v0
; %bb.86:                               ;   in Loop: Header=BB261_12 Depth=1
	s_or_b32 exec_lo, exec_lo, s24
	v_lshlrev_b32_e32 v2, 8, v5
	v_lshl_add_u32 v1, v1, 10, 0x2000
	v_lshlrev_b32_e32 v0, 7, v0
	v_and_b32_e32 v2, 0x8000, v2
	v_and_b32_e32 v1, 0xfc00, v1
	v_or3_b32 v0, v2, v1, v0
	buffer_store_dword v0, off, s[0:3], s32 offset:232 ; 4-byte Folded Spill
.LBB261_87:                             ;   in Loop: Header=BB261_12 Depth=1
	s_or_b32 exec_lo, exec_lo, s23
.LBB261_88:                             ;   in Loop: Header=BB261_12 Depth=1
	s_or_b32 exec_lo, exec_lo, s22
.LBB261_89:                             ;   in Loop: Header=BB261_12 Depth=1
	s_or_b32 exec_lo, exec_lo, s21
	v_lshrrev_b16 v3, 8, v5
	s_mov_b32 s21, exec_lo
	v_cmpx_ne_u16_e32 0, v3
	s_cbranch_execz .LBB261_97
; %bb.90:                               ;   in Loop: Header=BB261_12 Depth=1
	v_bfrev_b32_e32 v101, 1
	s_mov_b32 s22, exec_lo
	v_cmpx_ne_u16_e32 0x80, v3
	s_cbranch_execz .LBB261_96
; %bb.91:                               ;   in Loop: Header=BB261_12 Depth=1
	v_mov_b32_e32 v0, 0x7f
	v_mov_b32_e32 v101, 0x7c010000
	s_mov_b32 s23, exec_lo
	v_and_b32_sdwa v2, v3, v0 dst_sel:DWORD dst_unused:UNUSED_PAD src0_sel:WORD_0 src1_sel:DWORD
	v_cmpx_ne_u32_e32 0x7f, v2
	s_cbranch_execz .LBB261_95
; %bb.92:                               ;   in Loop: Header=BB261_12 Depth=1
	v_mov_b32_e32 v0, 7
	v_lshrrev_b32_e32 v1, 3, v2
	s_mov_b32 s24, exec_lo
	v_and_b32_sdwa v0, v3, v0 dst_sel:DWORD dst_unused:UNUSED_PAD src0_sel:WORD_0 src1_sel:DWORD
	v_cmpx_gt_u32_e32 8, v2
; %bb.93:                               ;   in Loop: Header=BB261_12 Depth=1
	v_ffbh_u32_e32 v0, v0
	v_min_u32_e32 v2, 32, v0
	v_subrev_nc_u32_e32 v0, 28, v2
	v_lshlrev_b64 v[0:1], v0, v[3:4]
	v_sub_nc_u32_e32 v1, 29, v2
	v_and_b32_e32 v0, 7, v0
; %bb.94:                               ;   in Loop: Header=BB261_12 Depth=1
	s_or_b32 exec_lo, exec_lo, s24
	v_mov_b32_e32 v2, 8
	v_lshl_add_u32 v1, v1, 10, 0x2000
	v_lshlrev_b32_e32 v0, 23, v0
	v_lshlrev_b32_sdwa v2, v2, v3 dst_sel:DWORD dst_unused:UNUSED_PAD src0_sel:DWORD src1_sel:WORD_0
	v_and_or_b32 v1, 0x8000, v2, v1
	v_lshl_or_b32 v101, v1, 16, v0
.LBB261_95:                             ;   in Loop: Header=BB261_12 Depth=1
	s_or_b32 exec_lo, exec_lo, s23
.LBB261_96:                             ;   in Loop: Header=BB261_12 Depth=1
	s_or_b32 exec_lo, exec_lo, s22
.LBB261_97:                             ;   in Loop: Header=BB261_12 Depth=1
	s_or_b32 exec_lo, exec_lo, s21
	v_lshrrev_b32_e32 v3, 16, v5
	v_mov_b32_e32 v50, 0
	v_mov_b32_e32 v0, 0
	v_cmp_ne_u16_sdwa s7, v3, v4 src0_sel:BYTE_0 src1_sel:DWORD
	buffer_store_dword v0, off, s[0:3], s32 offset:236 ; 4-byte Folded Spill
	s_and_saveexec_b32 s21, s7
	s_cbranch_execz .LBB261_105
; %bb.98:                               ;   in Loop: Header=BB261_12 Depth=1
	v_cmp_ne_u16_sdwa s7, v3, v66 src0_sel:BYTE_0 src1_sel:DWORD
	v_mov_b32_e32 v0, 0x8000
	buffer_store_dword v0, off, s[0:3], s32 offset:236 ; 4-byte Folded Spill
	s_and_saveexec_b32 s22, s7
	s_cbranch_execz .LBB261_104
; %bb.99:                               ;   in Loop: Header=BB261_12 Depth=1
	v_bfe_u32 v2, v5, 16, 7
	v_mov_b32_e32 v0, 0x7c01
	s_mov_b32 s23, exec_lo
	buffer_store_dword v0, off, s[0:3], s32 offset:236 ; 4-byte Folded Spill
	v_cmpx_ne_u32_e32 0x7f, v2
	s_cbranch_execz .LBB261_103
; %bb.100:                              ;   in Loop: Header=BB261_12 Depth=1
	v_and_b32_e32 v0, 7, v3
	v_lshrrev_b32_e32 v1, 3, v2
	s_mov_b32 s24, exec_lo
	v_cmpx_gt_u32_e32 8, v2
; %bb.101:                              ;   in Loop: Header=BB261_12 Depth=1
	v_ffbh_u32_e32 v0, v0
	v_min_u32_e32 v2, 32, v0
	v_subrev_nc_u32_e32 v0, 28, v2
	v_lshlrev_b64 v[0:1], v0, v[3:4]
	v_sub_nc_u32_e32 v1, 29, v2
	v_and_b32_e32 v0, 7, v0
; %bb.102:                              ;   in Loop: Header=BB261_12 Depth=1
	s_or_b32 exec_lo, exec_lo, s24
	v_lshlrev_b32_e32 v2, 8, v3
	v_lshl_add_u32 v1, v1, 10, 0x2000
	v_lshlrev_b32_e32 v0, 7, v0
	v_and_b32_e32 v2, 0x8000, v2
	v_and_b32_e32 v1, 0xfc00, v1
	v_or3_b32 v0, v2, v1, v0
	buffer_store_dword v0, off, s[0:3], s32 offset:236 ; 4-byte Folded Spill
.LBB261_103:                            ;   in Loop: Header=BB261_12 Depth=1
	s_or_b32 exec_lo, exec_lo, s23
.LBB261_104:                            ;   in Loop: Header=BB261_12 Depth=1
	s_or_b32 exec_lo, exec_lo, s22
.LBB261_105:                            ;   in Loop: Header=BB261_12 Depth=1
	s_or_b32 exec_lo, exec_lo, s21
	s_mov_b32 s21, exec_lo
	v_cmpx_lt_u32_e32 0xffffff, v5
	s_cbranch_execz .LBB261_113
; %bb.106:                              ;   in Loop: Header=BB261_12 Depth=1
	v_lshrrev_b32_e32 v3, 24, v5
	v_bfrev_b32_e32 v50, 1
	s_mov_b32 s22, exec_lo
	v_cmpx_ne_u32_e32 0x80, v3
	s_cbranch_execz .LBB261_112
; %bb.107:                              ;   in Loop: Header=BB261_12 Depth=1
	v_and_b32_e32 v2, 0x7f, v3
	v_mov_b32_e32 v50, 0x7c010000
	s_mov_b32 s23, exec_lo
	v_cmpx_ne_u32_e32 0x7f, v2
	s_cbranch_execz .LBB261_111
; %bb.108:                              ;   in Loop: Header=BB261_12 Depth=1
	v_and_b32_e32 v0, 7, v3
	v_lshrrev_b32_e32 v1, 3, v2
	s_mov_b32 s24, exec_lo
	v_cmpx_gt_u32_e32 8, v2
; %bb.109:                              ;   in Loop: Header=BB261_12 Depth=1
	v_ffbh_u32_e32 v0, v0
	v_min_u32_e32 v2, 32, v0
	v_subrev_nc_u32_e32 v0, 28, v2
	v_lshlrev_b64 v[0:1], v0, v[3:4]
	v_sub_nc_u32_e32 v1, 29, v2
	v_and_b32_e32 v0, 7, v0
; %bb.110:                              ;   in Loop: Header=BB261_12 Depth=1
	s_or_b32 exec_lo, exec_lo, s24
	v_lshlrev_b32_e32 v2, 8, v3
	v_lshl_add_u32 v1, v1, 10, 0x2000
	v_lshlrev_b32_e32 v0, 23, v0
	v_and_or_b32 v1, 0x8000, v2, v1
	v_lshl_or_b32 v50, v1, 16, v0
.LBB261_111:                            ;   in Loop: Header=BB261_12 Depth=1
	s_or_b32 exec_lo, exec_lo, s23
.LBB261_112:                            ;   in Loop: Header=BB261_12 Depth=1
	s_or_b32 exec_lo, exec_lo, s22
.LBB261_113:                            ;   in Loop: Header=BB261_12 Depth=1
	s_or_b32 exec_lo, exec_lo, s21
	flat_load_dword v5, v[27:28] offset:264
	v_mov_b32_e32 v113, 0
	v_mov_b32_e32 v0, 0
	buffer_store_dword v0, off, s[0:3], s32 offset:240 ; 4-byte Folded Spill
	s_waitcnt vmcnt(0) lgkmcnt(0)
	v_cmp_ne_u16_sdwa s7, v5, v4 src0_sel:BYTE_0 src1_sel:DWORD
	s_and_saveexec_b32 s21, s7
	s_cbranch_execz .LBB261_121
; %bb.114:                              ;   in Loop: Header=BB261_12 Depth=1
	v_cmp_ne_u16_sdwa s7, v5, v66 src0_sel:BYTE_0 src1_sel:DWORD
	v_mov_b32_e32 v0, 0x8000
	buffer_store_dword v0, off, s[0:3], s32 offset:240 ; 4-byte Folded Spill
	s_and_saveexec_b32 s22, s7
	s_cbranch_execz .LBB261_120
; %bb.115:                              ;   in Loop: Header=BB261_12 Depth=1
	v_and_b32_e32 v2, 0x7f, v5
	v_mov_b32_e32 v0, 0x7c01
	s_mov_b32 s23, exec_lo
	buffer_store_dword v0, off, s[0:3], s32 offset:240 ; 4-byte Folded Spill
	v_cmpx_ne_u32_e32 0x7f, v2
	s_cbranch_execz .LBB261_119
; %bb.116:                              ;   in Loop: Header=BB261_12 Depth=1
	v_and_b32_e32 v0, 7, v5
	v_lshrrev_b32_e32 v1, 3, v2
	s_mov_b32 s24, exec_lo
	v_cmpx_gt_u32_e32 8, v2
; %bb.117:                              ;   in Loop: Header=BB261_12 Depth=1
	v_ffbh_u32_e32 v0, v0
	v_min_u32_e32 v2, 32, v0
	v_subrev_nc_u32_e32 v0, 28, v2
	v_lshlrev_b64 v[0:1], v0, v[5:6]
	v_sub_nc_u32_e32 v1, 29, v2
	v_and_b32_e32 v0, 7, v0
; %bb.118:                              ;   in Loop: Header=BB261_12 Depth=1
	s_or_b32 exec_lo, exec_lo, s24
	v_lshlrev_b32_e32 v2, 8, v5
	v_lshl_add_u32 v1, v1, 10, 0x2000
	v_lshlrev_b32_e32 v0, 7, v0
	v_and_b32_e32 v2, 0x8000, v2
	v_and_b32_e32 v1, 0xfc00, v1
	v_or3_b32 v0, v2, v1, v0
	buffer_store_dword v0, off, s[0:3], s32 offset:240 ; 4-byte Folded Spill
.LBB261_119:                            ;   in Loop: Header=BB261_12 Depth=1
	s_or_b32 exec_lo, exec_lo, s23
.LBB261_120:                            ;   in Loop: Header=BB261_12 Depth=1
	s_or_b32 exec_lo, exec_lo, s22
.LBB261_121:                            ;   in Loop: Header=BB261_12 Depth=1
	s_or_b32 exec_lo, exec_lo, s21
	v_lshrrev_b16 v3, 8, v5
	s_mov_b32 s21, exec_lo
	v_cmpx_ne_u16_e32 0, v3
	s_cbranch_execz .LBB261_129
; %bb.122:                              ;   in Loop: Header=BB261_12 Depth=1
	v_bfrev_b32_e32 v113, 1
	s_mov_b32 s22, exec_lo
	v_cmpx_ne_u16_e32 0x80, v3
	s_cbranch_execz .LBB261_128
; %bb.123:                              ;   in Loop: Header=BB261_12 Depth=1
	v_mov_b32_e32 v0, 0x7f
	v_mov_b32_e32 v113, 0x7c010000
	s_mov_b32 s23, exec_lo
	v_and_b32_sdwa v2, v3, v0 dst_sel:DWORD dst_unused:UNUSED_PAD src0_sel:WORD_0 src1_sel:DWORD
	v_cmpx_ne_u32_e32 0x7f, v2
	s_cbranch_execz .LBB261_127
; %bb.124:                              ;   in Loop: Header=BB261_12 Depth=1
	v_mov_b32_e32 v0, 7
	v_lshrrev_b32_e32 v1, 3, v2
	s_mov_b32 s24, exec_lo
	v_and_b32_sdwa v0, v3, v0 dst_sel:DWORD dst_unused:UNUSED_PAD src0_sel:WORD_0 src1_sel:DWORD
	v_cmpx_gt_u32_e32 8, v2
; %bb.125:                              ;   in Loop: Header=BB261_12 Depth=1
	v_ffbh_u32_e32 v0, v0
	v_min_u32_e32 v2, 32, v0
	v_subrev_nc_u32_e32 v0, 28, v2
	v_lshlrev_b64 v[0:1], v0, v[3:4]
	v_sub_nc_u32_e32 v1, 29, v2
	v_and_b32_e32 v0, 7, v0
; %bb.126:                              ;   in Loop: Header=BB261_12 Depth=1
	s_or_b32 exec_lo, exec_lo, s24
	v_mov_b32_e32 v2, 8
	v_lshl_add_u32 v1, v1, 10, 0x2000
	v_lshlrev_b32_e32 v0, 23, v0
	v_lshlrev_b32_sdwa v2, v2, v3 dst_sel:DWORD dst_unused:UNUSED_PAD src0_sel:DWORD src1_sel:WORD_0
	v_and_or_b32 v1, 0x8000, v2, v1
	v_lshl_or_b32 v113, v1, 16, v0
.LBB261_127:                            ;   in Loop: Header=BB261_12 Depth=1
	s_or_b32 exec_lo, exec_lo, s23
.LBB261_128:                            ;   in Loop: Header=BB261_12 Depth=1
	s_or_b32 exec_lo, exec_lo, s22
.LBB261_129:                            ;   in Loop: Header=BB261_12 Depth=1
	s_or_b32 exec_lo, exec_lo, s21
	v_lshrrev_b32_e32 v3, 16, v5
	v_mov_b32_e32 v115, 0
	v_mov_b32_e32 v0, 0
	v_cmp_ne_u16_sdwa s7, v3, v4 src0_sel:BYTE_0 src1_sel:DWORD
	buffer_store_dword v0, off, s[0:3], s32 offset:244 ; 4-byte Folded Spill
	s_and_saveexec_b32 s21, s7
	s_cbranch_execz .LBB261_137
; %bb.130:                              ;   in Loop: Header=BB261_12 Depth=1
	v_cmp_ne_u16_sdwa s7, v3, v66 src0_sel:BYTE_0 src1_sel:DWORD
	v_mov_b32_e32 v0, 0x8000
	buffer_store_dword v0, off, s[0:3], s32 offset:244 ; 4-byte Folded Spill
	s_and_saveexec_b32 s22, s7
	s_cbranch_execz .LBB261_136
; %bb.131:                              ;   in Loop: Header=BB261_12 Depth=1
	v_bfe_u32 v2, v5, 16, 7
	v_mov_b32_e32 v0, 0x7c01
	s_mov_b32 s23, exec_lo
	buffer_store_dword v0, off, s[0:3], s32 offset:244 ; 4-byte Folded Spill
	v_cmpx_ne_u32_e32 0x7f, v2
	s_cbranch_execz .LBB261_135
; %bb.132:                              ;   in Loop: Header=BB261_12 Depth=1
	v_and_b32_e32 v0, 7, v3
	v_lshrrev_b32_e32 v1, 3, v2
	s_mov_b32 s24, exec_lo
	v_cmpx_gt_u32_e32 8, v2
; %bb.133:                              ;   in Loop: Header=BB261_12 Depth=1
	v_ffbh_u32_e32 v0, v0
	v_min_u32_e32 v2, 32, v0
	v_subrev_nc_u32_e32 v0, 28, v2
	v_lshlrev_b64 v[0:1], v0, v[3:4]
	v_sub_nc_u32_e32 v1, 29, v2
	v_and_b32_e32 v0, 7, v0
; %bb.134:                              ;   in Loop: Header=BB261_12 Depth=1
	s_or_b32 exec_lo, exec_lo, s24
	v_lshlrev_b32_e32 v2, 8, v3
	v_lshl_add_u32 v1, v1, 10, 0x2000
	v_lshlrev_b32_e32 v0, 7, v0
	v_and_b32_e32 v2, 0x8000, v2
	v_and_b32_e32 v1, 0xfc00, v1
	v_or3_b32 v0, v2, v1, v0
	buffer_store_dword v0, off, s[0:3], s32 offset:244 ; 4-byte Folded Spill
.LBB261_135:                            ;   in Loop: Header=BB261_12 Depth=1
	s_or_b32 exec_lo, exec_lo, s23
.LBB261_136:                            ;   in Loop: Header=BB261_12 Depth=1
	s_or_b32 exec_lo, exec_lo, s22
.LBB261_137:                            ;   in Loop: Header=BB261_12 Depth=1
	s_or_b32 exec_lo, exec_lo, s21
	s_mov_b32 s21, exec_lo
	v_cmpx_lt_u32_e32 0xffffff, v5
	s_cbranch_execz .LBB261_145
; %bb.138:                              ;   in Loop: Header=BB261_12 Depth=1
	v_lshrrev_b32_e32 v3, 24, v5
	v_bfrev_b32_e32 v115, 1
	s_mov_b32 s22, exec_lo
	v_cmpx_ne_u32_e32 0x80, v3
	s_cbranch_execz .LBB261_144
; %bb.139:                              ;   in Loop: Header=BB261_12 Depth=1
	v_and_b32_e32 v2, 0x7f, v3
	v_mov_b32_e32 v115, 0x7c010000
	s_mov_b32 s23, exec_lo
	v_cmpx_ne_u32_e32 0x7f, v2
	s_cbranch_execz .LBB261_143
; %bb.140:                              ;   in Loop: Header=BB261_12 Depth=1
	v_and_b32_e32 v0, 7, v3
	v_lshrrev_b32_e32 v1, 3, v2
	s_mov_b32 s24, exec_lo
	v_cmpx_gt_u32_e32 8, v2
; %bb.141:                              ;   in Loop: Header=BB261_12 Depth=1
	v_ffbh_u32_e32 v0, v0
	v_min_u32_e32 v2, 32, v0
	v_subrev_nc_u32_e32 v0, 28, v2
	v_lshlrev_b64 v[0:1], v0, v[3:4]
	v_sub_nc_u32_e32 v1, 29, v2
	v_and_b32_e32 v0, 7, v0
; %bb.142:                              ;   in Loop: Header=BB261_12 Depth=1
	s_or_b32 exec_lo, exec_lo, s24
	v_lshlrev_b32_e32 v2, 8, v3
	v_lshl_add_u32 v1, v1, 10, 0x2000
	v_lshlrev_b32_e32 v0, 23, v0
	v_and_or_b32 v1, 0x8000, v2, v1
	v_lshl_or_b32 v115, v1, 16, v0
.LBB261_143:                            ;   in Loop: Header=BB261_12 Depth=1
	s_or_b32 exec_lo, exec_lo, s23
.LBB261_144:                            ;   in Loop: Header=BB261_12 Depth=1
	s_or_b32 exec_lo, exec_lo, s22
.LBB261_145:                            ;   in Loop: Header=BB261_12 Depth=1
	s_or_b32 exec_lo, exec_lo, s21
	flat_load_dword v5, v[27:28] offset:512
	v_mov_b32_e32 v117, 0
	v_mov_b32_e32 v0, 0
	buffer_store_dword v0, off, s[0:3], s32 offset:248 ; 4-byte Folded Spill
	s_waitcnt vmcnt(0) lgkmcnt(0)
	v_cmp_ne_u16_sdwa s7, v5, v4 src0_sel:BYTE_0 src1_sel:DWORD
	s_and_saveexec_b32 s21, s7
	s_cbranch_execz .LBB261_153
; %bb.146:                              ;   in Loop: Header=BB261_12 Depth=1
	v_cmp_ne_u16_sdwa s7, v5, v66 src0_sel:BYTE_0 src1_sel:DWORD
	v_mov_b32_e32 v0, 0x8000
	buffer_store_dword v0, off, s[0:3], s32 offset:248 ; 4-byte Folded Spill
	s_and_saveexec_b32 s22, s7
	s_cbranch_execz .LBB261_152
; %bb.147:                              ;   in Loop: Header=BB261_12 Depth=1
	v_and_b32_e32 v2, 0x7f, v5
	v_mov_b32_e32 v0, 0x7c01
	s_mov_b32 s23, exec_lo
	buffer_store_dword v0, off, s[0:3], s32 offset:248 ; 4-byte Folded Spill
	v_cmpx_ne_u32_e32 0x7f, v2
	s_cbranch_execz .LBB261_151
; %bb.148:                              ;   in Loop: Header=BB261_12 Depth=1
	v_and_b32_e32 v0, 7, v5
	v_lshrrev_b32_e32 v1, 3, v2
	s_mov_b32 s24, exec_lo
	v_cmpx_gt_u32_e32 8, v2
; %bb.149:                              ;   in Loop: Header=BB261_12 Depth=1
	v_ffbh_u32_e32 v0, v0
	v_min_u32_e32 v2, 32, v0
	v_subrev_nc_u32_e32 v0, 28, v2
	v_lshlrev_b64 v[0:1], v0, v[5:6]
	v_sub_nc_u32_e32 v1, 29, v2
	v_and_b32_e32 v0, 7, v0
; %bb.150:                              ;   in Loop: Header=BB261_12 Depth=1
	s_or_b32 exec_lo, exec_lo, s24
	v_lshlrev_b32_e32 v2, 8, v5
	v_lshl_add_u32 v1, v1, 10, 0x2000
	v_lshlrev_b32_e32 v0, 7, v0
	v_and_b32_e32 v2, 0x8000, v2
	v_and_b32_e32 v1, 0xfc00, v1
	v_or3_b32 v0, v2, v1, v0
	buffer_store_dword v0, off, s[0:3], s32 offset:248 ; 4-byte Folded Spill
.LBB261_151:                            ;   in Loop: Header=BB261_12 Depth=1
	s_or_b32 exec_lo, exec_lo, s23
.LBB261_152:                            ;   in Loop: Header=BB261_12 Depth=1
	s_or_b32 exec_lo, exec_lo, s22
.LBB261_153:                            ;   in Loop: Header=BB261_12 Depth=1
	s_or_b32 exec_lo, exec_lo, s21
	v_lshrrev_b16 v3, 8, v5
	s_mov_b32 s21, exec_lo
	v_cmpx_ne_u16_e32 0, v3
	s_cbranch_execz .LBB261_161
; %bb.154:                              ;   in Loop: Header=BB261_12 Depth=1
	v_bfrev_b32_e32 v117, 1
	s_mov_b32 s22, exec_lo
	v_cmpx_ne_u16_e32 0x80, v3
	s_cbranch_execz .LBB261_160
; %bb.155:                              ;   in Loop: Header=BB261_12 Depth=1
	v_mov_b32_e32 v0, 0x7f
	v_mov_b32_e32 v117, 0x7c010000
	s_mov_b32 s23, exec_lo
	v_and_b32_sdwa v2, v3, v0 dst_sel:DWORD dst_unused:UNUSED_PAD src0_sel:WORD_0 src1_sel:DWORD
	v_cmpx_ne_u32_e32 0x7f, v2
	s_cbranch_execz .LBB261_159
; %bb.156:                              ;   in Loop: Header=BB261_12 Depth=1
	v_mov_b32_e32 v0, 7
	v_lshrrev_b32_e32 v1, 3, v2
	s_mov_b32 s24, exec_lo
	v_and_b32_sdwa v0, v3, v0 dst_sel:DWORD dst_unused:UNUSED_PAD src0_sel:WORD_0 src1_sel:DWORD
	v_cmpx_gt_u32_e32 8, v2
; %bb.157:                              ;   in Loop: Header=BB261_12 Depth=1
	v_ffbh_u32_e32 v0, v0
	v_min_u32_e32 v2, 32, v0
	v_subrev_nc_u32_e32 v0, 28, v2
	v_lshlrev_b64 v[0:1], v0, v[3:4]
	v_sub_nc_u32_e32 v1, 29, v2
	v_and_b32_e32 v0, 7, v0
; %bb.158:                              ;   in Loop: Header=BB261_12 Depth=1
	s_or_b32 exec_lo, exec_lo, s24
	v_mov_b32_e32 v2, 8
	v_lshl_add_u32 v1, v1, 10, 0x2000
	v_lshlrev_b32_e32 v0, 23, v0
	v_lshlrev_b32_sdwa v2, v2, v3 dst_sel:DWORD dst_unused:UNUSED_PAD src0_sel:DWORD src1_sel:WORD_0
	v_and_or_b32 v1, 0x8000, v2, v1
	v_lshl_or_b32 v117, v1, 16, v0
.LBB261_159:                            ;   in Loop: Header=BB261_12 Depth=1
	s_or_b32 exec_lo, exec_lo, s23
.LBB261_160:                            ;   in Loop: Header=BB261_12 Depth=1
	s_or_b32 exec_lo, exec_lo, s22
.LBB261_161:                            ;   in Loop: Header=BB261_12 Depth=1
	s_or_b32 exec_lo, exec_lo, s21
	v_lshrrev_b32_e32 v3, 16, v5
	v_mov_b32_e32 v119, 0
	v_mov_b32_e32 v0, 0
	v_cmp_ne_u16_sdwa s7, v3, v4 src0_sel:BYTE_0 src1_sel:DWORD
	buffer_store_dword v0, off, s[0:3], s32 offset:252 ; 4-byte Folded Spill
	s_and_saveexec_b32 s21, s7
	s_cbranch_execz .LBB261_169
; %bb.162:                              ;   in Loop: Header=BB261_12 Depth=1
	v_cmp_ne_u16_sdwa s7, v3, v66 src0_sel:BYTE_0 src1_sel:DWORD
	v_mov_b32_e32 v0, 0x8000
	buffer_store_dword v0, off, s[0:3], s32 offset:252 ; 4-byte Folded Spill
	s_and_saveexec_b32 s22, s7
	s_cbranch_execz .LBB261_168
; %bb.163:                              ;   in Loop: Header=BB261_12 Depth=1
	v_bfe_u32 v2, v5, 16, 7
	v_mov_b32_e32 v0, 0x7c01
	s_mov_b32 s23, exec_lo
	buffer_store_dword v0, off, s[0:3], s32 offset:252 ; 4-byte Folded Spill
	v_cmpx_ne_u32_e32 0x7f, v2
	s_cbranch_execz .LBB261_167
; %bb.164:                              ;   in Loop: Header=BB261_12 Depth=1
	v_and_b32_e32 v0, 7, v3
	v_lshrrev_b32_e32 v1, 3, v2
	s_mov_b32 s24, exec_lo
	v_cmpx_gt_u32_e32 8, v2
; %bb.165:                              ;   in Loop: Header=BB261_12 Depth=1
	v_ffbh_u32_e32 v0, v0
	v_min_u32_e32 v2, 32, v0
	v_subrev_nc_u32_e32 v0, 28, v2
	v_lshlrev_b64 v[0:1], v0, v[3:4]
	v_sub_nc_u32_e32 v1, 29, v2
	v_and_b32_e32 v0, 7, v0
; %bb.166:                              ;   in Loop: Header=BB261_12 Depth=1
	s_or_b32 exec_lo, exec_lo, s24
	v_lshlrev_b32_e32 v2, 8, v3
	v_lshl_add_u32 v1, v1, 10, 0x2000
	v_lshlrev_b32_e32 v0, 7, v0
	v_and_b32_e32 v2, 0x8000, v2
	v_and_b32_e32 v1, 0xfc00, v1
	v_or3_b32 v0, v2, v1, v0
	buffer_store_dword v0, off, s[0:3], s32 offset:252 ; 4-byte Folded Spill
.LBB261_167:                            ;   in Loop: Header=BB261_12 Depth=1
	s_or_b32 exec_lo, exec_lo, s23
.LBB261_168:                            ;   in Loop: Header=BB261_12 Depth=1
	s_or_b32 exec_lo, exec_lo, s22
.LBB261_169:                            ;   in Loop: Header=BB261_12 Depth=1
	s_or_b32 exec_lo, exec_lo, s21
	s_mov_b32 s21, exec_lo
	v_cmpx_lt_u32_e32 0xffffff, v5
	s_cbranch_execz .LBB261_177
; %bb.170:                              ;   in Loop: Header=BB261_12 Depth=1
	v_lshrrev_b32_e32 v3, 24, v5
	v_bfrev_b32_e32 v119, 1
	s_mov_b32 s22, exec_lo
	v_cmpx_ne_u32_e32 0x80, v3
	s_cbranch_execz .LBB261_176
; %bb.171:                              ;   in Loop: Header=BB261_12 Depth=1
	v_and_b32_e32 v2, 0x7f, v3
	v_mov_b32_e32 v119, 0x7c010000
	s_mov_b32 s23, exec_lo
	v_cmpx_ne_u32_e32 0x7f, v2
	s_cbranch_execz .LBB261_175
; %bb.172:                              ;   in Loop: Header=BB261_12 Depth=1
	v_and_b32_e32 v0, 7, v3
	v_lshrrev_b32_e32 v1, 3, v2
	s_mov_b32 s24, exec_lo
	v_cmpx_gt_u32_e32 8, v2
; %bb.173:                              ;   in Loop: Header=BB261_12 Depth=1
	v_ffbh_u32_e32 v0, v0
	v_min_u32_e32 v2, 32, v0
	v_subrev_nc_u32_e32 v0, 28, v2
	v_lshlrev_b64 v[0:1], v0, v[3:4]
	v_sub_nc_u32_e32 v1, 29, v2
	v_and_b32_e32 v0, 7, v0
; %bb.174:                              ;   in Loop: Header=BB261_12 Depth=1
	s_or_b32 exec_lo, exec_lo, s24
	v_lshlrev_b32_e32 v2, 8, v3
	v_lshl_add_u32 v1, v1, 10, 0x2000
	v_lshlrev_b32_e32 v0, 23, v0
	v_and_or_b32 v1, 0x8000, v2, v1
	v_lshl_or_b32 v119, v1, 16, v0
.LBB261_175:                            ;   in Loop: Header=BB261_12 Depth=1
	s_or_b32 exec_lo, exec_lo, s23
.LBB261_176:                            ;   in Loop: Header=BB261_12 Depth=1
	s_or_b32 exec_lo, exec_lo, s22
.LBB261_177:                            ;   in Loop: Header=BB261_12 Depth=1
	s_or_b32 exec_lo, exec_lo, s21
	flat_load_dword v5, v[27:28] offset:520
	v_mov_b32_e32 v41, 0
	v_mov_b32_e32 v0, 0
	buffer_store_dword v0, off, s[0:3], s32 offset:256 ; 4-byte Folded Spill
	s_waitcnt vmcnt(0) lgkmcnt(0)
	v_cmp_ne_u16_sdwa s7, v5, v4 src0_sel:BYTE_0 src1_sel:DWORD
	s_and_saveexec_b32 s21, s7
	s_cbranch_execz .LBB261_185
; %bb.178:                              ;   in Loop: Header=BB261_12 Depth=1
	v_cmp_ne_u16_sdwa s7, v5, v66 src0_sel:BYTE_0 src1_sel:DWORD
	v_mov_b32_e32 v0, 0x8000
	buffer_store_dword v0, off, s[0:3], s32 offset:256 ; 4-byte Folded Spill
	s_and_saveexec_b32 s22, s7
	s_cbranch_execz .LBB261_184
; %bb.179:                              ;   in Loop: Header=BB261_12 Depth=1
	v_and_b32_e32 v2, 0x7f, v5
	v_mov_b32_e32 v0, 0x7c01
	s_mov_b32 s23, exec_lo
	buffer_store_dword v0, off, s[0:3], s32 offset:256 ; 4-byte Folded Spill
	v_cmpx_ne_u32_e32 0x7f, v2
	s_cbranch_execz .LBB261_183
; %bb.180:                              ;   in Loop: Header=BB261_12 Depth=1
	v_and_b32_e32 v0, 7, v5
	v_lshrrev_b32_e32 v1, 3, v2
	s_mov_b32 s24, exec_lo
	v_cmpx_gt_u32_e32 8, v2
; %bb.181:                              ;   in Loop: Header=BB261_12 Depth=1
	v_ffbh_u32_e32 v0, v0
	v_min_u32_e32 v2, 32, v0
	v_subrev_nc_u32_e32 v0, 28, v2
	v_lshlrev_b64 v[0:1], v0, v[5:6]
	v_sub_nc_u32_e32 v1, 29, v2
	v_and_b32_e32 v0, 7, v0
; %bb.182:                              ;   in Loop: Header=BB261_12 Depth=1
	s_or_b32 exec_lo, exec_lo, s24
	v_lshlrev_b32_e32 v2, 8, v5
	v_lshl_add_u32 v1, v1, 10, 0x2000
	v_lshlrev_b32_e32 v0, 7, v0
	v_and_b32_e32 v2, 0x8000, v2
	v_and_b32_e32 v1, 0xfc00, v1
	v_or3_b32 v0, v2, v1, v0
	buffer_store_dword v0, off, s[0:3], s32 offset:256 ; 4-byte Folded Spill
.LBB261_183:                            ;   in Loop: Header=BB261_12 Depth=1
	s_or_b32 exec_lo, exec_lo, s23
.LBB261_184:                            ;   in Loop: Header=BB261_12 Depth=1
	s_or_b32 exec_lo, exec_lo, s22
.LBB261_185:                            ;   in Loop: Header=BB261_12 Depth=1
	s_or_b32 exec_lo, exec_lo, s21
	v_lshrrev_b16 v3, 8, v5
	s_mov_b32 s21, exec_lo
	v_cmpx_ne_u16_e32 0, v3
	s_cbranch_execz .LBB261_193
; %bb.186:                              ;   in Loop: Header=BB261_12 Depth=1
	v_bfrev_b32_e32 v41, 1
	s_mov_b32 s22, exec_lo
	v_cmpx_ne_u16_e32 0x80, v3
	s_cbranch_execz .LBB261_192
; %bb.187:                              ;   in Loop: Header=BB261_12 Depth=1
	v_mov_b32_e32 v0, 0x7f
	v_mov_b32_e32 v41, 0x7c010000
	s_mov_b32 s23, exec_lo
	v_and_b32_sdwa v2, v3, v0 dst_sel:DWORD dst_unused:UNUSED_PAD src0_sel:WORD_0 src1_sel:DWORD
	v_cmpx_ne_u32_e32 0x7f, v2
	s_cbranch_execz .LBB261_191
; %bb.188:                              ;   in Loop: Header=BB261_12 Depth=1
	v_mov_b32_e32 v0, 7
	v_lshrrev_b32_e32 v1, 3, v2
	s_mov_b32 s24, exec_lo
	v_and_b32_sdwa v0, v3, v0 dst_sel:DWORD dst_unused:UNUSED_PAD src0_sel:WORD_0 src1_sel:DWORD
	v_cmpx_gt_u32_e32 8, v2
; %bb.189:                              ;   in Loop: Header=BB261_12 Depth=1
	v_ffbh_u32_e32 v0, v0
	v_min_u32_e32 v2, 32, v0
	v_subrev_nc_u32_e32 v0, 28, v2
	v_lshlrev_b64 v[0:1], v0, v[3:4]
	v_sub_nc_u32_e32 v1, 29, v2
	v_and_b32_e32 v0, 7, v0
; %bb.190:                              ;   in Loop: Header=BB261_12 Depth=1
	s_or_b32 exec_lo, exec_lo, s24
	v_mov_b32_e32 v2, 8
	v_lshl_add_u32 v1, v1, 10, 0x2000
	v_lshlrev_b32_e32 v0, 23, v0
	v_lshlrev_b32_sdwa v2, v2, v3 dst_sel:DWORD dst_unused:UNUSED_PAD src0_sel:DWORD src1_sel:WORD_0
	v_and_or_b32 v1, 0x8000, v2, v1
	v_lshl_or_b32 v41, v1, 16, v0
.LBB261_191:                            ;   in Loop: Header=BB261_12 Depth=1
	s_or_b32 exec_lo, exec_lo, s23
.LBB261_192:                            ;   in Loop: Header=BB261_12 Depth=1
	s_or_b32 exec_lo, exec_lo, s22
.LBB261_193:                            ;   in Loop: Header=BB261_12 Depth=1
	s_or_b32 exec_lo, exec_lo, s21
	v_lshrrev_b32_e32 v3, 16, v5
	v_mov_b32_e32 v43, 0
	v_mov_b32_e32 v0, 0
	v_cmp_ne_u16_sdwa s7, v3, v4 src0_sel:BYTE_0 src1_sel:DWORD
	buffer_store_dword v0, off, s[0:3], s32 offset:260 ; 4-byte Folded Spill
	s_and_saveexec_b32 s21, s7
	s_cbranch_execz .LBB261_201
; %bb.194:                              ;   in Loop: Header=BB261_12 Depth=1
	v_cmp_ne_u16_sdwa s7, v3, v66 src0_sel:BYTE_0 src1_sel:DWORD
	v_mov_b32_e32 v0, 0x8000
	buffer_store_dword v0, off, s[0:3], s32 offset:260 ; 4-byte Folded Spill
	s_and_saveexec_b32 s22, s7
	s_cbranch_execz .LBB261_200
; %bb.195:                              ;   in Loop: Header=BB261_12 Depth=1
	v_bfe_u32 v2, v5, 16, 7
	v_mov_b32_e32 v0, 0x7c01
	s_mov_b32 s23, exec_lo
	buffer_store_dword v0, off, s[0:3], s32 offset:260 ; 4-byte Folded Spill
	v_cmpx_ne_u32_e32 0x7f, v2
	s_cbranch_execz .LBB261_199
; %bb.196:                              ;   in Loop: Header=BB261_12 Depth=1
	v_and_b32_e32 v0, 7, v3
	v_lshrrev_b32_e32 v1, 3, v2
	s_mov_b32 s24, exec_lo
	v_cmpx_gt_u32_e32 8, v2
; %bb.197:                              ;   in Loop: Header=BB261_12 Depth=1
	v_ffbh_u32_e32 v0, v0
	v_min_u32_e32 v2, 32, v0
	v_subrev_nc_u32_e32 v0, 28, v2
	v_lshlrev_b64 v[0:1], v0, v[3:4]
	v_sub_nc_u32_e32 v1, 29, v2
	v_and_b32_e32 v0, 7, v0
; %bb.198:                              ;   in Loop: Header=BB261_12 Depth=1
	s_or_b32 exec_lo, exec_lo, s24
	v_lshlrev_b32_e32 v2, 8, v3
	v_lshl_add_u32 v1, v1, 10, 0x2000
	v_lshlrev_b32_e32 v0, 7, v0
	v_and_b32_e32 v2, 0x8000, v2
	v_and_b32_e32 v1, 0xfc00, v1
	v_or3_b32 v0, v2, v1, v0
	buffer_store_dword v0, off, s[0:3], s32 offset:260 ; 4-byte Folded Spill
.LBB261_199:                            ;   in Loop: Header=BB261_12 Depth=1
	s_or_b32 exec_lo, exec_lo, s23
.LBB261_200:                            ;   in Loop: Header=BB261_12 Depth=1
	s_or_b32 exec_lo, exec_lo, s22
.LBB261_201:                            ;   in Loop: Header=BB261_12 Depth=1
	s_or_b32 exec_lo, exec_lo, s21
	s_mov_b32 s21, exec_lo
	v_cmpx_lt_u32_e32 0xffffff, v5
	s_cbranch_execz .LBB261_209
; %bb.202:                              ;   in Loop: Header=BB261_12 Depth=1
	v_lshrrev_b32_e32 v3, 24, v5
	v_bfrev_b32_e32 v43, 1
	s_mov_b32 s22, exec_lo
	v_cmpx_ne_u32_e32 0x80, v3
	s_cbranch_execz .LBB261_208
; %bb.203:                              ;   in Loop: Header=BB261_12 Depth=1
	v_and_b32_e32 v2, 0x7f, v3
	v_mov_b32_e32 v43, 0x7c010000
	s_mov_b32 s23, exec_lo
	v_cmpx_ne_u32_e32 0x7f, v2
	s_cbranch_execz .LBB261_207
; %bb.204:                              ;   in Loop: Header=BB261_12 Depth=1
	v_and_b32_e32 v0, 7, v3
	v_lshrrev_b32_e32 v1, 3, v2
	s_mov_b32 s24, exec_lo
	v_cmpx_gt_u32_e32 8, v2
; %bb.205:                              ;   in Loop: Header=BB261_12 Depth=1
	v_ffbh_u32_e32 v0, v0
	v_min_u32_e32 v2, 32, v0
	v_subrev_nc_u32_e32 v0, 28, v2
	v_lshlrev_b64 v[0:1], v0, v[3:4]
	v_sub_nc_u32_e32 v1, 29, v2
	v_and_b32_e32 v0, 7, v0
; %bb.206:                              ;   in Loop: Header=BB261_12 Depth=1
	s_or_b32 exec_lo, exec_lo, s24
	v_lshlrev_b32_e32 v2, 8, v3
	v_lshl_add_u32 v1, v1, 10, 0x2000
	v_lshlrev_b32_e32 v0, 23, v0
	v_and_or_b32 v1, 0x8000, v2, v1
	v_lshl_or_b32 v43, v1, 16, v0
.LBB261_207:                            ;   in Loop: Header=BB261_12 Depth=1
	s_or_b32 exec_lo, exec_lo, s23
.LBB261_208:                            ;   in Loop: Header=BB261_12 Depth=1
	s_or_b32 exec_lo, exec_lo, s22
.LBB261_209:                            ;   in Loop: Header=BB261_12 Depth=1
	s_or_b32 exec_lo, exec_lo, s21
	flat_load_dword v5, v[27:28] offset:768
	v_mov_b32_e32 v45, 0
	v_mov_b32_e32 v0, 0
	buffer_store_dword v0, off, s[0:3], s32 offset:264 ; 4-byte Folded Spill
	s_waitcnt vmcnt(0) lgkmcnt(0)
	v_cmp_ne_u16_sdwa s7, v5, v4 src0_sel:BYTE_0 src1_sel:DWORD
	s_and_saveexec_b32 s21, s7
	s_cbranch_execz .LBB261_217
; %bb.210:                              ;   in Loop: Header=BB261_12 Depth=1
	v_cmp_ne_u16_sdwa s7, v5, v66 src0_sel:BYTE_0 src1_sel:DWORD
	v_mov_b32_e32 v0, 0x8000
	buffer_store_dword v0, off, s[0:3], s32 offset:264 ; 4-byte Folded Spill
	s_and_saveexec_b32 s22, s7
	s_cbranch_execz .LBB261_216
; %bb.211:                              ;   in Loop: Header=BB261_12 Depth=1
	v_and_b32_e32 v2, 0x7f, v5
	v_mov_b32_e32 v0, 0x7c01
	s_mov_b32 s23, exec_lo
	buffer_store_dword v0, off, s[0:3], s32 offset:264 ; 4-byte Folded Spill
	v_cmpx_ne_u32_e32 0x7f, v2
	s_cbranch_execz .LBB261_215
; %bb.212:                              ;   in Loop: Header=BB261_12 Depth=1
	v_and_b32_e32 v0, 7, v5
	v_lshrrev_b32_e32 v1, 3, v2
	s_mov_b32 s24, exec_lo
	v_cmpx_gt_u32_e32 8, v2
; %bb.213:                              ;   in Loop: Header=BB261_12 Depth=1
	v_ffbh_u32_e32 v0, v0
	v_min_u32_e32 v2, 32, v0
	v_subrev_nc_u32_e32 v0, 28, v2
	v_lshlrev_b64 v[0:1], v0, v[5:6]
	v_sub_nc_u32_e32 v1, 29, v2
	v_and_b32_e32 v0, 7, v0
; %bb.214:                              ;   in Loop: Header=BB261_12 Depth=1
	s_or_b32 exec_lo, exec_lo, s24
	v_lshlrev_b32_e32 v2, 8, v5
	v_lshl_add_u32 v1, v1, 10, 0x2000
	v_lshlrev_b32_e32 v0, 7, v0
	v_and_b32_e32 v2, 0x8000, v2
	v_and_b32_e32 v1, 0xfc00, v1
	v_or3_b32 v0, v2, v1, v0
	buffer_store_dword v0, off, s[0:3], s32 offset:264 ; 4-byte Folded Spill
.LBB261_215:                            ;   in Loop: Header=BB261_12 Depth=1
	s_or_b32 exec_lo, exec_lo, s23
.LBB261_216:                            ;   in Loop: Header=BB261_12 Depth=1
	s_or_b32 exec_lo, exec_lo, s22
.LBB261_217:                            ;   in Loop: Header=BB261_12 Depth=1
	s_or_b32 exec_lo, exec_lo, s21
	v_lshrrev_b16 v3, 8, v5
	s_mov_b32 s21, exec_lo
	v_cmpx_ne_u16_e32 0, v3
	s_cbranch_execz .LBB261_225
; %bb.218:                              ;   in Loop: Header=BB261_12 Depth=1
	v_bfrev_b32_e32 v45, 1
	s_mov_b32 s22, exec_lo
	v_cmpx_ne_u16_e32 0x80, v3
	s_cbranch_execz .LBB261_224
; %bb.219:                              ;   in Loop: Header=BB261_12 Depth=1
	v_mov_b32_e32 v0, 0x7f
	v_mov_b32_e32 v45, 0x7c010000
	s_mov_b32 s23, exec_lo
	v_and_b32_sdwa v2, v3, v0 dst_sel:DWORD dst_unused:UNUSED_PAD src0_sel:WORD_0 src1_sel:DWORD
	v_cmpx_ne_u32_e32 0x7f, v2
	s_cbranch_execz .LBB261_223
; %bb.220:                              ;   in Loop: Header=BB261_12 Depth=1
	v_mov_b32_e32 v0, 7
	v_lshrrev_b32_e32 v1, 3, v2
	s_mov_b32 s24, exec_lo
	v_and_b32_sdwa v0, v3, v0 dst_sel:DWORD dst_unused:UNUSED_PAD src0_sel:WORD_0 src1_sel:DWORD
	v_cmpx_gt_u32_e32 8, v2
; %bb.221:                              ;   in Loop: Header=BB261_12 Depth=1
	v_ffbh_u32_e32 v0, v0
	v_min_u32_e32 v2, 32, v0
	v_subrev_nc_u32_e32 v0, 28, v2
	v_lshlrev_b64 v[0:1], v0, v[3:4]
	v_sub_nc_u32_e32 v1, 29, v2
	v_and_b32_e32 v0, 7, v0
; %bb.222:                              ;   in Loop: Header=BB261_12 Depth=1
	s_or_b32 exec_lo, exec_lo, s24
	v_mov_b32_e32 v2, 8
	v_lshl_add_u32 v1, v1, 10, 0x2000
	v_lshlrev_b32_e32 v0, 23, v0
	v_lshlrev_b32_sdwa v2, v2, v3 dst_sel:DWORD dst_unused:UNUSED_PAD src0_sel:DWORD src1_sel:WORD_0
	v_and_or_b32 v1, 0x8000, v2, v1
	v_lshl_or_b32 v45, v1, 16, v0
.LBB261_223:                            ;   in Loop: Header=BB261_12 Depth=1
	s_or_b32 exec_lo, exec_lo, s23
.LBB261_224:                            ;   in Loop: Header=BB261_12 Depth=1
	s_or_b32 exec_lo, exec_lo, s22
.LBB261_225:                            ;   in Loop: Header=BB261_12 Depth=1
	s_or_b32 exec_lo, exec_lo, s21
	v_lshrrev_b32_e32 v3, 16, v5
	v_mov_b32_e32 v47, 0
	v_mov_b32_e32 v0, 0
	v_cmp_ne_u16_sdwa s7, v3, v4 src0_sel:BYTE_0 src1_sel:DWORD
	buffer_store_dword v0, off, s[0:3], s32 offset:268 ; 4-byte Folded Spill
	s_and_saveexec_b32 s21, s7
	s_cbranch_execz .LBB261_233
; %bb.226:                              ;   in Loop: Header=BB261_12 Depth=1
	v_cmp_ne_u16_sdwa s7, v3, v66 src0_sel:BYTE_0 src1_sel:DWORD
	v_mov_b32_e32 v0, 0x8000
	buffer_store_dword v0, off, s[0:3], s32 offset:268 ; 4-byte Folded Spill
	s_and_saveexec_b32 s22, s7
	s_cbranch_execz .LBB261_232
; %bb.227:                              ;   in Loop: Header=BB261_12 Depth=1
	v_bfe_u32 v2, v5, 16, 7
	v_mov_b32_e32 v0, 0x7c01
	s_mov_b32 s23, exec_lo
	buffer_store_dword v0, off, s[0:3], s32 offset:268 ; 4-byte Folded Spill
	v_cmpx_ne_u32_e32 0x7f, v2
	s_cbranch_execz .LBB261_231
; %bb.228:                              ;   in Loop: Header=BB261_12 Depth=1
	v_and_b32_e32 v0, 7, v3
	v_lshrrev_b32_e32 v1, 3, v2
	s_mov_b32 s24, exec_lo
	v_cmpx_gt_u32_e32 8, v2
; %bb.229:                              ;   in Loop: Header=BB261_12 Depth=1
	v_ffbh_u32_e32 v0, v0
	v_min_u32_e32 v2, 32, v0
	v_subrev_nc_u32_e32 v0, 28, v2
	v_lshlrev_b64 v[0:1], v0, v[3:4]
	v_sub_nc_u32_e32 v1, 29, v2
	v_and_b32_e32 v0, 7, v0
; %bb.230:                              ;   in Loop: Header=BB261_12 Depth=1
	s_or_b32 exec_lo, exec_lo, s24
	v_lshlrev_b32_e32 v2, 8, v3
	v_lshl_add_u32 v1, v1, 10, 0x2000
	v_lshlrev_b32_e32 v0, 7, v0
	v_and_b32_e32 v2, 0x8000, v2
	v_and_b32_e32 v1, 0xfc00, v1
	v_or3_b32 v0, v2, v1, v0
	buffer_store_dword v0, off, s[0:3], s32 offset:268 ; 4-byte Folded Spill
.LBB261_231:                            ;   in Loop: Header=BB261_12 Depth=1
	s_or_b32 exec_lo, exec_lo, s23
.LBB261_232:                            ;   in Loop: Header=BB261_12 Depth=1
	s_or_b32 exec_lo, exec_lo, s22
.LBB261_233:                            ;   in Loop: Header=BB261_12 Depth=1
	s_or_b32 exec_lo, exec_lo, s21
	s_mov_b32 s21, exec_lo
	v_cmpx_lt_u32_e32 0xffffff, v5
	s_cbranch_execz .LBB261_241
; %bb.234:                              ;   in Loop: Header=BB261_12 Depth=1
	v_lshrrev_b32_e32 v3, 24, v5
	v_bfrev_b32_e32 v47, 1
	s_mov_b32 s22, exec_lo
	v_cmpx_ne_u32_e32 0x80, v3
	s_cbranch_execz .LBB261_240
; %bb.235:                              ;   in Loop: Header=BB261_12 Depth=1
	v_and_b32_e32 v2, 0x7f, v3
	v_mov_b32_e32 v47, 0x7c010000
	s_mov_b32 s23, exec_lo
	v_cmpx_ne_u32_e32 0x7f, v2
	s_cbranch_execz .LBB261_239
; %bb.236:                              ;   in Loop: Header=BB261_12 Depth=1
	v_and_b32_e32 v0, 7, v3
	v_lshrrev_b32_e32 v1, 3, v2
	s_mov_b32 s24, exec_lo
	v_cmpx_gt_u32_e32 8, v2
; %bb.237:                              ;   in Loop: Header=BB261_12 Depth=1
	v_ffbh_u32_e32 v0, v0
	v_min_u32_e32 v2, 32, v0
	v_subrev_nc_u32_e32 v0, 28, v2
	v_lshlrev_b64 v[0:1], v0, v[3:4]
	v_sub_nc_u32_e32 v1, 29, v2
	v_and_b32_e32 v0, 7, v0
; %bb.238:                              ;   in Loop: Header=BB261_12 Depth=1
	s_or_b32 exec_lo, exec_lo, s24
	v_lshlrev_b32_e32 v2, 8, v3
	v_lshl_add_u32 v1, v1, 10, 0x2000
	v_lshlrev_b32_e32 v0, 23, v0
	v_and_or_b32 v1, 0x8000, v2, v1
	v_lshl_or_b32 v47, v1, 16, v0
.LBB261_239:                            ;   in Loop: Header=BB261_12 Depth=1
	s_or_b32 exec_lo, exec_lo, s23
.LBB261_240:                            ;   in Loop: Header=BB261_12 Depth=1
	s_or_b32 exec_lo, exec_lo, s22
.LBB261_241:                            ;   in Loop: Header=BB261_12 Depth=1
	s_or_b32 exec_lo, exec_lo, s21
	flat_load_dword v5, v[27:28] offset:776
	v_mov_b32_e32 v57, 0
	v_mov_b32_e32 v0, 0
	buffer_store_dword v0, off, s[0:3], s32 offset:272 ; 4-byte Folded Spill
	s_waitcnt vmcnt(0) lgkmcnt(0)
	v_cmp_ne_u16_sdwa s7, v5, v4 src0_sel:BYTE_0 src1_sel:DWORD
	s_and_saveexec_b32 s21, s7
	s_cbranch_execz .LBB261_249
; %bb.242:                              ;   in Loop: Header=BB261_12 Depth=1
	v_cmp_ne_u16_sdwa s7, v5, v66 src0_sel:BYTE_0 src1_sel:DWORD
	v_mov_b32_e32 v0, 0x8000
	buffer_store_dword v0, off, s[0:3], s32 offset:272 ; 4-byte Folded Spill
	s_and_saveexec_b32 s22, s7
	s_cbranch_execz .LBB261_248
; %bb.243:                              ;   in Loop: Header=BB261_12 Depth=1
	v_and_b32_e32 v2, 0x7f, v5
	v_mov_b32_e32 v0, 0x7c01
	s_mov_b32 s23, exec_lo
	buffer_store_dword v0, off, s[0:3], s32 offset:272 ; 4-byte Folded Spill
	v_cmpx_ne_u32_e32 0x7f, v2
	s_cbranch_execz .LBB261_247
; %bb.244:                              ;   in Loop: Header=BB261_12 Depth=1
	v_and_b32_e32 v0, 7, v5
	v_lshrrev_b32_e32 v1, 3, v2
	s_mov_b32 s24, exec_lo
	v_cmpx_gt_u32_e32 8, v2
; %bb.245:                              ;   in Loop: Header=BB261_12 Depth=1
	v_ffbh_u32_e32 v0, v0
	v_min_u32_e32 v2, 32, v0
	v_subrev_nc_u32_e32 v0, 28, v2
	v_lshlrev_b64 v[0:1], v0, v[5:6]
	v_sub_nc_u32_e32 v1, 29, v2
	v_and_b32_e32 v0, 7, v0
; %bb.246:                              ;   in Loop: Header=BB261_12 Depth=1
	s_or_b32 exec_lo, exec_lo, s24
	v_lshlrev_b32_e32 v2, 8, v5
	v_lshl_add_u32 v1, v1, 10, 0x2000
	v_lshlrev_b32_e32 v0, 7, v0
	v_and_b32_e32 v2, 0x8000, v2
	v_and_b32_e32 v1, 0xfc00, v1
	v_or3_b32 v0, v2, v1, v0
	buffer_store_dword v0, off, s[0:3], s32 offset:272 ; 4-byte Folded Spill
.LBB261_247:                            ;   in Loop: Header=BB261_12 Depth=1
	s_or_b32 exec_lo, exec_lo, s23
.LBB261_248:                            ;   in Loop: Header=BB261_12 Depth=1
	s_or_b32 exec_lo, exec_lo, s22
.LBB261_249:                            ;   in Loop: Header=BB261_12 Depth=1
	s_or_b32 exec_lo, exec_lo, s21
	v_lshrrev_b16 v3, 8, v5
	s_mov_b32 s21, exec_lo
	v_cmpx_ne_u16_e32 0, v3
	s_cbranch_execz .LBB261_257
; %bb.250:                              ;   in Loop: Header=BB261_12 Depth=1
	v_bfrev_b32_e32 v57, 1
	s_mov_b32 s22, exec_lo
	v_cmpx_ne_u16_e32 0x80, v3
	s_cbranch_execz .LBB261_256
; %bb.251:                              ;   in Loop: Header=BB261_12 Depth=1
	v_mov_b32_e32 v0, 0x7f
	v_mov_b32_e32 v57, 0x7c010000
	s_mov_b32 s23, exec_lo
	v_and_b32_sdwa v2, v3, v0 dst_sel:DWORD dst_unused:UNUSED_PAD src0_sel:WORD_0 src1_sel:DWORD
	v_cmpx_ne_u32_e32 0x7f, v2
	s_cbranch_execz .LBB261_255
; %bb.252:                              ;   in Loop: Header=BB261_12 Depth=1
	v_mov_b32_e32 v0, 7
	v_lshrrev_b32_e32 v1, 3, v2
	s_mov_b32 s24, exec_lo
	v_and_b32_sdwa v0, v3, v0 dst_sel:DWORD dst_unused:UNUSED_PAD src0_sel:WORD_0 src1_sel:DWORD
	v_cmpx_gt_u32_e32 8, v2
; %bb.253:                              ;   in Loop: Header=BB261_12 Depth=1
	v_ffbh_u32_e32 v0, v0
	v_min_u32_e32 v2, 32, v0
	v_subrev_nc_u32_e32 v0, 28, v2
	v_lshlrev_b64 v[0:1], v0, v[3:4]
	v_sub_nc_u32_e32 v1, 29, v2
	v_and_b32_e32 v0, 7, v0
; %bb.254:                              ;   in Loop: Header=BB261_12 Depth=1
	s_or_b32 exec_lo, exec_lo, s24
	v_mov_b32_e32 v2, 8
	v_lshl_add_u32 v1, v1, 10, 0x2000
	v_lshlrev_b32_e32 v0, 23, v0
	v_lshlrev_b32_sdwa v2, v2, v3 dst_sel:DWORD dst_unused:UNUSED_PAD src0_sel:DWORD src1_sel:WORD_0
	v_and_or_b32 v1, 0x8000, v2, v1
	v_lshl_or_b32 v57, v1, 16, v0
.LBB261_255:                            ;   in Loop: Header=BB261_12 Depth=1
	s_or_b32 exec_lo, exec_lo, s23
.LBB261_256:                            ;   in Loop: Header=BB261_12 Depth=1
	s_or_b32 exec_lo, exec_lo, s22
.LBB261_257:                            ;   in Loop: Header=BB261_12 Depth=1
	s_or_b32 exec_lo, exec_lo, s21
	v_lshrrev_b32_e32 v3, 16, v5
	v_mov_b32_e32 v59, 0
	v_mov_b32_e32 v60, 0
	v_cmp_ne_u16_sdwa s7, v3, v4 src0_sel:BYTE_0 src1_sel:DWORD
	s_and_saveexec_b32 s21, s7
	s_cbranch_execz .LBB261_265
; %bb.258:                              ;   in Loop: Header=BB261_12 Depth=1
	v_cmp_ne_u16_sdwa s7, v3, v66 src0_sel:BYTE_0 src1_sel:DWORD
	v_mov_b32_e32 v60, 0x8000
	s_and_saveexec_b32 s22, s7
	s_cbranch_execz .LBB261_264
; %bb.259:                              ;   in Loop: Header=BB261_12 Depth=1
	v_bfe_u32 v2, v5, 16, 7
	v_mov_b32_e32 v60, 0x7c01
	s_mov_b32 s23, exec_lo
	v_cmpx_ne_u32_e32 0x7f, v2
	s_cbranch_execz .LBB261_263
; %bb.260:                              ;   in Loop: Header=BB261_12 Depth=1
	v_and_b32_e32 v0, 7, v3
	v_lshrrev_b32_e32 v1, 3, v2
	s_mov_b32 s24, exec_lo
	v_cmpx_gt_u32_e32 8, v2
; %bb.261:                              ;   in Loop: Header=BB261_12 Depth=1
	v_ffbh_u32_e32 v0, v0
	v_min_u32_e32 v2, 32, v0
	v_subrev_nc_u32_e32 v0, 28, v2
	v_lshlrev_b64 v[0:1], v0, v[3:4]
	v_sub_nc_u32_e32 v1, 29, v2
	v_and_b32_e32 v0, 7, v0
; %bb.262:                              ;   in Loop: Header=BB261_12 Depth=1
	s_or_b32 exec_lo, exec_lo, s24
	v_lshlrev_b32_e32 v2, 8, v3
	v_lshl_add_u32 v1, v1, 10, 0x2000
	v_lshlrev_b32_e32 v0, 7, v0
	v_and_b32_e32 v2, 0x8000, v2
	v_and_b32_e32 v1, 0xfc00, v1
	v_or3_b32 v60, v2, v1, v0
.LBB261_263:                            ;   in Loop: Header=BB261_12 Depth=1
	s_or_b32 exec_lo, exec_lo, s23
.LBB261_264:                            ;   in Loop: Header=BB261_12 Depth=1
	s_or_b32 exec_lo, exec_lo, s22
.LBB261_265:                            ;   in Loop: Header=BB261_12 Depth=1
	s_or_b32 exec_lo, exec_lo, s21
	s_mov_b32 s21, exec_lo
	v_cmpx_lt_u32_e32 0xffffff, v5
	s_cbranch_execz .LBB261_273
; %bb.266:                              ;   in Loop: Header=BB261_12 Depth=1
	v_lshrrev_b32_e32 v3, 24, v5
	v_bfrev_b32_e32 v59, 1
	s_mov_b32 s22, exec_lo
	v_cmpx_ne_u32_e32 0x80, v3
	s_cbranch_execz .LBB261_272
; %bb.267:                              ;   in Loop: Header=BB261_12 Depth=1
	v_and_b32_e32 v2, 0x7f, v3
	v_mov_b32_e32 v59, 0x7c010000
	s_mov_b32 s23, exec_lo
	v_cmpx_ne_u32_e32 0x7f, v2
	s_cbranch_execz .LBB261_271
; %bb.268:                              ;   in Loop: Header=BB261_12 Depth=1
	v_and_b32_e32 v0, 7, v3
	v_lshrrev_b32_e32 v1, 3, v2
	s_mov_b32 s24, exec_lo
	v_cmpx_gt_u32_e32 8, v2
; %bb.269:                              ;   in Loop: Header=BB261_12 Depth=1
	v_ffbh_u32_e32 v0, v0
	v_min_u32_e32 v2, 32, v0
	v_subrev_nc_u32_e32 v0, 28, v2
	v_lshlrev_b64 v[0:1], v0, v[3:4]
	v_sub_nc_u32_e32 v1, 29, v2
	v_and_b32_e32 v0, 7, v0
; %bb.270:                              ;   in Loop: Header=BB261_12 Depth=1
	s_or_b32 exec_lo, exec_lo, s24
	v_lshlrev_b32_e32 v2, 8, v3
	v_lshl_add_u32 v1, v1, 10, 0x2000
	v_lshlrev_b32_e32 v0, 23, v0
	v_and_or_b32 v1, 0x8000, v2, v1
	v_lshl_or_b32 v59, v1, 16, v0
.LBB261_271:                            ;   in Loop: Header=BB261_12 Depth=1
	s_or_b32 exec_lo, exec_lo, s23
.LBB261_272:                            ;   in Loop: Header=BB261_12 Depth=1
	s_or_b32 exec_lo, exec_lo, s22
.LBB261_273:                            ;   in Loop: Header=BB261_12 Depth=1
	s_or_b32 exec_lo, exec_lo, s21
	flat_load_dword v5, v[27:28] offset:1024
	v_mov_b32_e32 v61, 0
	v_mov_b32_e32 v62, 0
	s_waitcnt vmcnt(0) lgkmcnt(0)
	v_cmp_ne_u16_sdwa s7, v5, v4 src0_sel:BYTE_0 src1_sel:DWORD
	s_and_saveexec_b32 s21, s7
	s_cbranch_execz .LBB261_281
; %bb.274:                              ;   in Loop: Header=BB261_12 Depth=1
	v_cmp_ne_u16_sdwa s7, v5, v66 src0_sel:BYTE_0 src1_sel:DWORD
	v_mov_b32_e32 v62, 0x8000
	s_and_saveexec_b32 s22, s7
	s_cbranch_execz .LBB261_280
; %bb.275:                              ;   in Loop: Header=BB261_12 Depth=1
	v_and_b32_e32 v2, 0x7f, v5
	v_mov_b32_e32 v62, 0x7c01
	s_mov_b32 s23, exec_lo
	v_cmpx_ne_u32_e32 0x7f, v2
	s_cbranch_execz .LBB261_279
; %bb.276:                              ;   in Loop: Header=BB261_12 Depth=1
	v_and_b32_e32 v0, 7, v5
	v_lshrrev_b32_e32 v1, 3, v2
	s_mov_b32 s24, exec_lo
	v_cmpx_gt_u32_e32 8, v2
; %bb.277:                              ;   in Loop: Header=BB261_12 Depth=1
	v_ffbh_u32_e32 v0, v0
	v_min_u32_e32 v2, 32, v0
	v_subrev_nc_u32_e32 v0, 28, v2
	v_lshlrev_b64 v[0:1], v0, v[5:6]
	v_sub_nc_u32_e32 v1, 29, v2
	v_and_b32_e32 v0, 7, v0
; %bb.278:                              ;   in Loop: Header=BB261_12 Depth=1
	s_or_b32 exec_lo, exec_lo, s24
	v_lshlrev_b32_e32 v2, 8, v5
	v_lshl_add_u32 v1, v1, 10, 0x2000
	v_lshlrev_b32_e32 v0, 7, v0
	v_and_b32_e32 v2, 0x8000, v2
	v_and_b32_e32 v1, 0xfc00, v1
	v_or3_b32 v62, v2, v1, v0
.LBB261_279:                            ;   in Loop: Header=BB261_12 Depth=1
	s_or_b32 exec_lo, exec_lo, s23
.LBB261_280:                            ;   in Loop: Header=BB261_12 Depth=1
	s_or_b32 exec_lo, exec_lo, s22
.LBB261_281:                            ;   in Loop: Header=BB261_12 Depth=1
	s_or_b32 exec_lo, exec_lo, s21
	v_lshrrev_b16 v3, 8, v5
	s_mov_b32 s21, exec_lo
	v_cmpx_ne_u16_e32 0, v3
	s_cbranch_execz .LBB261_289
; %bb.282:                              ;   in Loop: Header=BB261_12 Depth=1
	v_bfrev_b32_e32 v61, 1
	s_mov_b32 s22, exec_lo
	v_cmpx_ne_u16_e32 0x80, v3
	s_cbranch_execz .LBB261_288
; %bb.283:                              ;   in Loop: Header=BB261_12 Depth=1
	v_mov_b32_e32 v0, 0x7f
	v_mov_b32_e32 v61, 0x7c010000
	s_mov_b32 s23, exec_lo
	v_and_b32_sdwa v2, v3, v0 dst_sel:DWORD dst_unused:UNUSED_PAD src0_sel:WORD_0 src1_sel:DWORD
	v_cmpx_ne_u32_e32 0x7f, v2
	s_cbranch_execz .LBB261_287
; %bb.284:                              ;   in Loop: Header=BB261_12 Depth=1
	v_mov_b32_e32 v0, 7
	v_lshrrev_b32_e32 v1, 3, v2
	s_mov_b32 s24, exec_lo
	v_and_b32_sdwa v0, v3, v0 dst_sel:DWORD dst_unused:UNUSED_PAD src0_sel:WORD_0 src1_sel:DWORD
	v_cmpx_gt_u32_e32 8, v2
; %bb.285:                              ;   in Loop: Header=BB261_12 Depth=1
	v_ffbh_u32_e32 v0, v0
	v_min_u32_e32 v2, 32, v0
	v_subrev_nc_u32_e32 v0, 28, v2
	v_lshlrev_b64 v[0:1], v0, v[3:4]
	v_sub_nc_u32_e32 v1, 29, v2
	v_and_b32_e32 v0, 7, v0
; %bb.286:                              ;   in Loop: Header=BB261_12 Depth=1
	s_or_b32 exec_lo, exec_lo, s24
	v_mov_b32_e32 v2, 8
	v_lshl_add_u32 v1, v1, 10, 0x2000
	v_lshlrev_b32_e32 v0, 23, v0
	v_lshlrev_b32_sdwa v2, v2, v3 dst_sel:DWORD dst_unused:UNUSED_PAD src0_sel:DWORD src1_sel:WORD_0
	v_and_or_b32 v1, 0x8000, v2, v1
	v_lshl_or_b32 v61, v1, 16, v0
.LBB261_287:                            ;   in Loop: Header=BB261_12 Depth=1
	s_or_b32 exec_lo, exec_lo, s23
.LBB261_288:                            ;   in Loop: Header=BB261_12 Depth=1
	s_or_b32 exec_lo, exec_lo, s22
.LBB261_289:                            ;   in Loop: Header=BB261_12 Depth=1
	s_or_b32 exec_lo, exec_lo, s21
	v_lshrrev_b32_e32 v3, 16, v5
	v_mov_b32_e32 v63, 0
	v_mov_b32_e32 v72, 0
	v_cmp_ne_u16_sdwa s7, v3, v4 src0_sel:BYTE_0 src1_sel:DWORD
	s_and_saveexec_b32 s21, s7
	s_cbranch_execz .LBB261_297
; %bb.290:                              ;   in Loop: Header=BB261_12 Depth=1
	v_cmp_ne_u16_sdwa s7, v3, v66 src0_sel:BYTE_0 src1_sel:DWORD
	v_mov_b32_e32 v72, 0x8000
	s_and_saveexec_b32 s22, s7
	s_cbranch_execz .LBB261_296
; %bb.291:                              ;   in Loop: Header=BB261_12 Depth=1
	v_bfe_u32 v2, v5, 16, 7
	v_mov_b32_e32 v72, 0x7c01
	s_mov_b32 s23, exec_lo
	v_cmpx_ne_u32_e32 0x7f, v2
	s_cbranch_execz .LBB261_295
; %bb.292:                              ;   in Loop: Header=BB261_12 Depth=1
	v_and_b32_e32 v0, 7, v3
	v_lshrrev_b32_e32 v1, 3, v2
	s_mov_b32 s24, exec_lo
	v_cmpx_gt_u32_e32 8, v2
; %bb.293:                              ;   in Loop: Header=BB261_12 Depth=1
	v_ffbh_u32_e32 v0, v0
	v_min_u32_e32 v2, 32, v0
	v_subrev_nc_u32_e32 v0, 28, v2
	v_lshlrev_b64 v[0:1], v0, v[3:4]
	v_sub_nc_u32_e32 v1, 29, v2
	v_and_b32_e32 v0, 7, v0
; %bb.294:                              ;   in Loop: Header=BB261_12 Depth=1
	s_or_b32 exec_lo, exec_lo, s24
	v_lshlrev_b32_e32 v2, 8, v3
	v_lshl_add_u32 v1, v1, 10, 0x2000
	v_lshlrev_b32_e32 v0, 7, v0
	v_and_b32_e32 v2, 0x8000, v2
	v_and_b32_e32 v1, 0xfc00, v1
	v_or3_b32 v72, v2, v1, v0
.LBB261_295:                            ;   in Loop: Header=BB261_12 Depth=1
	s_or_b32 exec_lo, exec_lo, s23
.LBB261_296:                            ;   in Loop: Header=BB261_12 Depth=1
	s_or_b32 exec_lo, exec_lo, s22
.LBB261_297:                            ;   in Loop: Header=BB261_12 Depth=1
	s_or_b32 exec_lo, exec_lo, s21
	s_mov_b32 s21, exec_lo
	v_cmpx_lt_u32_e32 0xffffff, v5
	s_cbranch_execz .LBB261_305
; %bb.298:                              ;   in Loop: Header=BB261_12 Depth=1
	v_lshrrev_b32_e32 v3, 24, v5
	v_bfrev_b32_e32 v63, 1
	s_mov_b32 s22, exec_lo
	v_cmpx_ne_u32_e32 0x80, v3
	s_cbranch_execz .LBB261_304
; %bb.299:                              ;   in Loop: Header=BB261_12 Depth=1
	v_and_b32_e32 v2, 0x7f, v3
	v_mov_b32_e32 v63, 0x7c010000
	s_mov_b32 s23, exec_lo
	v_cmpx_ne_u32_e32 0x7f, v2
	s_cbranch_execz .LBB261_303
; %bb.300:                              ;   in Loop: Header=BB261_12 Depth=1
	v_and_b32_e32 v0, 7, v3
	v_lshrrev_b32_e32 v1, 3, v2
	s_mov_b32 s24, exec_lo
	v_cmpx_gt_u32_e32 8, v2
; %bb.301:                              ;   in Loop: Header=BB261_12 Depth=1
	v_ffbh_u32_e32 v0, v0
	v_min_u32_e32 v2, 32, v0
	v_subrev_nc_u32_e32 v0, 28, v2
	v_lshlrev_b64 v[0:1], v0, v[3:4]
	v_sub_nc_u32_e32 v1, 29, v2
	v_and_b32_e32 v0, 7, v0
; %bb.302:                              ;   in Loop: Header=BB261_12 Depth=1
	s_or_b32 exec_lo, exec_lo, s24
	v_lshlrev_b32_e32 v2, 8, v3
	v_lshl_add_u32 v1, v1, 10, 0x2000
	v_lshlrev_b32_e32 v0, 23, v0
	v_and_or_b32 v1, 0x8000, v2, v1
	v_lshl_or_b32 v63, v1, 16, v0
.LBB261_303:                            ;   in Loop: Header=BB261_12 Depth=1
	s_or_b32 exec_lo, exec_lo, s23
.LBB261_304:                            ;   in Loop: Header=BB261_12 Depth=1
	s_or_b32 exec_lo, exec_lo, s22
.LBB261_305:                            ;   in Loop: Header=BB261_12 Depth=1
	s_or_b32 exec_lo, exec_lo, s21
	flat_load_dword v5, v[27:28] offset:1032
	v_mov_b32_e32 v73, 0
	v_mov_b32_e32 v74, 0
	s_waitcnt vmcnt(0) lgkmcnt(0)
	v_cmp_ne_u16_sdwa s7, v5, v4 src0_sel:BYTE_0 src1_sel:DWORD
	s_and_saveexec_b32 s21, s7
	s_cbranch_execz .LBB261_313
; %bb.306:                              ;   in Loop: Header=BB261_12 Depth=1
	v_cmp_ne_u16_sdwa s7, v5, v66 src0_sel:BYTE_0 src1_sel:DWORD
	v_mov_b32_e32 v74, 0x8000
	s_and_saveexec_b32 s22, s7
	s_cbranch_execz .LBB261_312
; %bb.307:                              ;   in Loop: Header=BB261_12 Depth=1
	v_and_b32_e32 v2, 0x7f, v5
	v_mov_b32_e32 v74, 0x7c01
	s_mov_b32 s23, exec_lo
	v_cmpx_ne_u32_e32 0x7f, v2
	s_cbranch_execz .LBB261_311
; %bb.308:                              ;   in Loop: Header=BB261_12 Depth=1
	v_and_b32_e32 v0, 7, v5
	v_lshrrev_b32_e32 v1, 3, v2
	s_mov_b32 s24, exec_lo
	v_cmpx_gt_u32_e32 8, v2
; %bb.309:                              ;   in Loop: Header=BB261_12 Depth=1
	v_ffbh_u32_e32 v0, v0
	v_min_u32_e32 v2, 32, v0
	v_subrev_nc_u32_e32 v0, 28, v2
	v_lshlrev_b64 v[0:1], v0, v[5:6]
	v_sub_nc_u32_e32 v1, 29, v2
	v_and_b32_e32 v0, 7, v0
; %bb.310:                              ;   in Loop: Header=BB261_12 Depth=1
	s_or_b32 exec_lo, exec_lo, s24
	v_lshlrev_b32_e32 v2, 8, v5
	v_lshl_add_u32 v1, v1, 10, 0x2000
	v_lshlrev_b32_e32 v0, 7, v0
	v_and_b32_e32 v2, 0x8000, v2
	v_and_b32_e32 v1, 0xfc00, v1
	v_or3_b32 v74, v2, v1, v0
.LBB261_311:                            ;   in Loop: Header=BB261_12 Depth=1
	s_or_b32 exec_lo, exec_lo, s23
.LBB261_312:                            ;   in Loop: Header=BB261_12 Depth=1
	s_or_b32 exec_lo, exec_lo, s22
.LBB261_313:                            ;   in Loop: Header=BB261_12 Depth=1
	s_or_b32 exec_lo, exec_lo, s21
	v_lshrrev_b16 v3, 8, v5
	s_mov_b32 s21, exec_lo
	v_cmpx_ne_u16_e32 0, v3
	s_cbranch_execz .LBB261_321
; %bb.314:                              ;   in Loop: Header=BB261_12 Depth=1
	v_bfrev_b32_e32 v73, 1
	s_mov_b32 s22, exec_lo
	v_cmpx_ne_u16_e32 0x80, v3
	s_cbranch_execz .LBB261_320
; %bb.315:                              ;   in Loop: Header=BB261_12 Depth=1
	v_mov_b32_e32 v0, 0x7f
	v_mov_b32_e32 v73, 0x7c010000
	s_mov_b32 s23, exec_lo
	v_and_b32_sdwa v2, v3, v0 dst_sel:DWORD dst_unused:UNUSED_PAD src0_sel:WORD_0 src1_sel:DWORD
	v_cmpx_ne_u32_e32 0x7f, v2
	s_cbranch_execz .LBB261_319
; %bb.316:                              ;   in Loop: Header=BB261_12 Depth=1
	v_mov_b32_e32 v0, 7
	v_lshrrev_b32_e32 v1, 3, v2
	s_mov_b32 s24, exec_lo
	v_and_b32_sdwa v0, v3, v0 dst_sel:DWORD dst_unused:UNUSED_PAD src0_sel:WORD_0 src1_sel:DWORD
	v_cmpx_gt_u32_e32 8, v2
; %bb.317:                              ;   in Loop: Header=BB261_12 Depth=1
	v_ffbh_u32_e32 v0, v0
	v_min_u32_e32 v2, 32, v0
	v_subrev_nc_u32_e32 v0, 28, v2
	v_lshlrev_b64 v[0:1], v0, v[3:4]
	v_sub_nc_u32_e32 v1, 29, v2
	v_and_b32_e32 v0, 7, v0
; %bb.318:                              ;   in Loop: Header=BB261_12 Depth=1
	s_or_b32 exec_lo, exec_lo, s24
	v_mov_b32_e32 v2, 8
	v_lshl_add_u32 v1, v1, 10, 0x2000
	v_lshlrev_b32_e32 v0, 23, v0
	v_lshlrev_b32_sdwa v2, v2, v3 dst_sel:DWORD dst_unused:UNUSED_PAD src0_sel:DWORD src1_sel:WORD_0
	v_and_or_b32 v1, 0x8000, v2, v1
	v_lshl_or_b32 v73, v1, 16, v0
.LBB261_319:                            ;   in Loop: Header=BB261_12 Depth=1
	s_or_b32 exec_lo, exec_lo, s23
.LBB261_320:                            ;   in Loop: Header=BB261_12 Depth=1
	s_or_b32 exec_lo, exec_lo, s22
.LBB261_321:                            ;   in Loop: Header=BB261_12 Depth=1
	s_or_b32 exec_lo, exec_lo, s21
	v_lshrrev_b32_e32 v3, 16, v5
	v_mov_b32_e32 v75, 0
	v_mov_b32_e32 v76, 0
	v_cmp_ne_u16_sdwa s7, v3, v4 src0_sel:BYTE_0 src1_sel:DWORD
	s_and_saveexec_b32 s21, s7
	s_cbranch_execz .LBB261_329
; %bb.322:                              ;   in Loop: Header=BB261_12 Depth=1
	v_cmp_ne_u16_sdwa s7, v3, v66 src0_sel:BYTE_0 src1_sel:DWORD
	v_mov_b32_e32 v76, 0x8000
	s_and_saveexec_b32 s22, s7
	s_cbranch_execz .LBB261_328
; %bb.323:                              ;   in Loop: Header=BB261_12 Depth=1
	v_bfe_u32 v2, v5, 16, 7
	v_mov_b32_e32 v76, 0x7c01
	s_mov_b32 s23, exec_lo
	v_cmpx_ne_u32_e32 0x7f, v2
	s_cbranch_execz .LBB261_327
; %bb.324:                              ;   in Loop: Header=BB261_12 Depth=1
	v_and_b32_e32 v0, 7, v3
	v_lshrrev_b32_e32 v1, 3, v2
	s_mov_b32 s24, exec_lo
	v_cmpx_gt_u32_e32 8, v2
; %bb.325:                              ;   in Loop: Header=BB261_12 Depth=1
	v_ffbh_u32_e32 v0, v0
	v_min_u32_e32 v2, 32, v0
	v_subrev_nc_u32_e32 v0, 28, v2
	v_lshlrev_b64 v[0:1], v0, v[3:4]
	v_sub_nc_u32_e32 v1, 29, v2
	v_and_b32_e32 v0, 7, v0
; %bb.326:                              ;   in Loop: Header=BB261_12 Depth=1
	s_or_b32 exec_lo, exec_lo, s24
	v_lshlrev_b32_e32 v2, 8, v3
	v_lshl_add_u32 v1, v1, 10, 0x2000
	v_lshlrev_b32_e32 v0, 7, v0
	v_and_b32_e32 v2, 0x8000, v2
	v_and_b32_e32 v1, 0xfc00, v1
	v_or3_b32 v76, v2, v1, v0
.LBB261_327:                            ;   in Loop: Header=BB261_12 Depth=1
	s_or_b32 exec_lo, exec_lo, s23
.LBB261_328:                            ;   in Loop: Header=BB261_12 Depth=1
	s_or_b32 exec_lo, exec_lo, s22
.LBB261_329:                            ;   in Loop: Header=BB261_12 Depth=1
	s_or_b32 exec_lo, exec_lo, s21
	s_mov_b32 s21, exec_lo
	v_cmpx_lt_u32_e32 0xffffff, v5
	s_cbranch_execz .LBB261_337
; %bb.330:                              ;   in Loop: Header=BB261_12 Depth=1
	v_lshrrev_b32_e32 v3, 24, v5
	v_bfrev_b32_e32 v75, 1
	s_mov_b32 s22, exec_lo
	v_cmpx_ne_u32_e32 0x80, v3
	s_cbranch_execz .LBB261_336
; %bb.331:                              ;   in Loop: Header=BB261_12 Depth=1
	v_and_b32_e32 v2, 0x7f, v3
	v_mov_b32_e32 v75, 0x7c010000
	s_mov_b32 s23, exec_lo
	v_cmpx_ne_u32_e32 0x7f, v2
	s_cbranch_execz .LBB261_335
; %bb.332:                              ;   in Loop: Header=BB261_12 Depth=1
	v_and_b32_e32 v0, 7, v3
	v_lshrrev_b32_e32 v1, 3, v2
	s_mov_b32 s24, exec_lo
	v_cmpx_gt_u32_e32 8, v2
; %bb.333:                              ;   in Loop: Header=BB261_12 Depth=1
	v_ffbh_u32_e32 v0, v0
	v_min_u32_e32 v2, 32, v0
	v_subrev_nc_u32_e32 v0, 28, v2
	v_lshlrev_b64 v[0:1], v0, v[3:4]
	v_sub_nc_u32_e32 v1, 29, v2
	v_and_b32_e32 v0, 7, v0
; %bb.334:                              ;   in Loop: Header=BB261_12 Depth=1
	s_or_b32 exec_lo, exec_lo, s24
	v_lshlrev_b32_e32 v2, 8, v3
	v_lshl_add_u32 v1, v1, 10, 0x2000
	v_lshlrev_b32_e32 v0, 23, v0
	v_and_or_b32 v1, 0x8000, v2, v1
	v_lshl_or_b32 v75, v1, 16, v0
.LBB261_335:                            ;   in Loop: Header=BB261_12 Depth=1
	s_or_b32 exec_lo, exec_lo, s23
.LBB261_336:                            ;   in Loop: Header=BB261_12 Depth=1
	s_or_b32 exec_lo, exec_lo, s22
.LBB261_337:                            ;   in Loop: Header=BB261_12 Depth=1
	s_or_b32 exec_lo, exec_lo, s21
	flat_load_dword v5, v[27:28] offset:1280
	v_mov_b32_e32 v77, 0
	v_mov_b32_e32 v78, 0
	s_waitcnt vmcnt(0) lgkmcnt(0)
	v_cmp_ne_u16_sdwa s7, v5, v4 src0_sel:BYTE_0 src1_sel:DWORD
	s_and_saveexec_b32 s21, s7
	s_cbranch_execz .LBB261_345
; %bb.338:                              ;   in Loop: Header=BB261_12 Depth=1
	v_cmp_ne_u16_sdwa s7, v5, v66 src0_sel:BYTE_0 src1_sel:DWORD
	v_mov_b32_e32 v78, 0x8000
	s_and_saveexec_b32 s22, s7
	s_cbranch_execz .LBB261_344
; %bb.339:                              ;   in Loop: Header=BB261_12 Depth=1
	v_and_b32_e32 v2, 0x7f, v5
	v_mov_b32_e32 v78, 0x7c01
	s_mov_b32 s23, exec_lo
	v_cmpx_ne_u32_e32 0x7f, v2
	s_cbranch_execz .LBB261_343
; %bb.340:                              ;   in Loop: Header=BB261_12 Depth=1
	v_and_b32_e32 v0, 7, v5
	v_lshrrev_b32_e32 v1, 3, v2
	s_mov_b32 s24, exec_lo
	v_cmpx_gt_u32_e32 8, v2
; %bb.341:                              ;   in Loop: Header=BB261_12 Depth=1
	v_ffbh_u32_e32 v0, v0
	v_min_u32_e32 v2, 32, v0
	v_subrev_nc_u32_e32 v0, 28, v2
	v_lshlrev_b64 v[0:1], v0, v[5:6]
	v_sub_nc_u32_e32 v1, 29, v2
	v_and_b32_e32 v0, 7, v0
; %bb.342:                              ;   in Loop: Header=BB261_12 Depth=1
	s_or_b32 exec_lo, exec_lo, s24
	v_lshlrev_b32_e32 v2, 8, v5
	v_lshl_add_u32 v1, v1, 10, 0x2000
	v_lshlrev_b32_e32 v0, 7, v0
	v_and_b32_e32 v2, 0x8000, v2
	v_and_b32_e32 v1, 0xfc00, v1
	v_or3_b32 v78, v2, v1, v0
.LBB261_343:                            ;   in Loop: Header=BB261_12 Depth=1
	s_or_b32 exec_lo, exec_lo, s23
.LBB261_344:                            ;   in Loop: Header=BB261_12 Depth=1
	s_or_b32 exec_lo, exec_lo, s22
.LBB261_345:                            ;   in Loop: Header=BB261_12 Depth=1
	s_or_b32 exec_lo, exec_lo, s21
	v_lshrrev_b16 v3, 8, v5
	s_mov_b32 s21, exec_lo
	v_cmpx_ne_u16_e32 0, v3
	s_cbranch_execz .LBB261_353
; %bb.346:                              ;   in Loop: Header=BB261_12 Depth=1
	v_bfrev_b32_e32 v77, 1
	s_mov_b32 s22, exec_lo
	v_cmpx_ne_u16_e32 0x80, v3
	s_cbranch_execz .LBB261_352
; %bb.347:                              ;   in Loop: Header=BB261_12 Depth=1
	v_mov_b32_e32 v0, 0x7f
	v_mov_b32_e32 v77, 0x7c010000
	s_mov_b32 s23, exec_lo
	v_and_b32_sdwa v2, v3, v0 dst_sel:DWORD dst_unused:UNUSED_PAD src0_sel:WORD_0 src1_sel:DWORD
	v_cmpx_ne_u32_e32 0x7f, v2
	s_cbranch_execz .LBB261_351
; %bb.348:                              ;   in Loop: Header=BB261_12 Depth=1
	v_mov_b32_e32 v0, 7
	v_lshrrev_b32_e32 v1, 3, v2
	s_mov_b32 s24, exec_lo
	v_and_b32_sdwa v0, v3, v0 dst_sel:DWORD dst_unused:UNUSED_PAD src0_sel:WORD_0 src1_sel:DWORD
	v_cmpx_gt_u32_e32 8, v2
; %bb.349:                              ;   in Loop: Header=BB261_12 Depth=1
	v_ffbh_u32_e32 v0, v0
	v_min_u32_e32 v2, 32, v0
	v_subrev_nc_u32_e32 v0, 28, v2
	v_lshlrev_b64 v[0:1], v0, v[3:4]
	v_sub_nc_u32_e32 v1, 29, v2
	v_and_b32_e32 v0, 7, v0
; %bb.350:                              ;   in Loop: Header=BB261_12 Depth=1
	s_or_b32 exec_lo, exec_lo, s24
	v_mov_b32_e32 v2, 8
	v_lshl_add_u32 v1, v1, 10, 0x2000
	v_lshlrev_b32_e32 v0, 23, v0
	v_lshlrev_b32_sdwa v2, v2, v3 dst_sel:DWORD dst_unused:UNUSED_PAD src0_sel:DWORD src1_sel:WORD_0
	v_and_or_b32 v1, 0x8000, v2, v1
	v_lshl_or_b32 v77, v1, 16, v0
.LBB261_351:                            ;   in Loop: Header=BB261_12 Depth=1
	s_or_b32 exec_lo, exec_lo, s23
.LBB261_352:                            ;   in Loop: Header=BB261_12 Depth=1
	s_or_b32 exec_lo, exec_lo, s22
.LBB261_353:                            ;   in Loop: Header=BB261_12 Depth=1
	s_or_b32 exec_lo, exec_lo, s21
	v_lshrrev_b32_e32 v3, 16, v5
	v_mov_b32_e32 v79, 0
	v_mov_b32_e32 v88, 0
	v_cmp_ne_u16_sdwa s7, v3, v4 src0_sel:BYTE_0 src1_sel:DWORD
	s_and_saveexec_b32 s21, s7
	s_cbranch_execz .LBB261_361
; %bb.354:                              ;   in Loop: Header=BB261_12 Depth=1
	v_cmp_ne_u16_sdwa s7, v3, v66 src0_sel:BYTE_0 src1_sel:DWORD
	v_mov_b32_e32 v88, 0x8000
	s_and_saveexec_b32 s22, s7
	s_cbranch_execz .LBB261_360
; %bb.355:                              ;   in Loop: Header=BB261_12 Depth=1
	v_bfe_u32 v2, v5, 16, 7
	v_mov_b32_e32 v88, 0x7c01
	s_mov_b32 s23, exec_lo
	v_cmpx_ne_u32_e32 0x7f, v2
	s_cbranch_execz .LBB261_359
; %bb.356:                              ;   in Loop: Header=BB261_12 Depth=1
	v_and_b32_e32 v0, 7, v3
	v_lshrrev_b32_e32 v1, 3, v2
	s_mov_b32 s24, exec_lo
	v_cmpx_gt_u32_e32 8, v2
; %bb.357:                              ;   in Loop: Header=BB261_12 Depth=1
	v_ffbh_u32_e32 v0, v0
	v_min_u32_e32 v2, 32, v0
	v_subrev_nc_u32_e32 v0, 28, v2
	v_lshlrev_b64 v[0:1], v0, v[3:4]
	v_sub_nc_u32_e32 v1, 29, v2
	v_and_b32_e32 v0, 7, v0
; %bb.358:                              ;   in Loop: Header=BB261_12 Depth=1
	s_or_b32 exec_lo, exec_lo, s24
	v_lshlrev_b32_e32 v2, 8, v3
	v_lshl_add_u32 v1, v1, 10, 0x2000
	v_lshlrev_b32_e32 v0, 7, v0
	v_and_b32_e32 v2, 0x8000, v2
	v_and_b32_e32 v1, 0xfc00, v1
	v_or3_b32 v88, v2, v1, v0
.LBB261_359:                            ;   in Loop: Header=BB261_12 Depth=1
	s_or_b32 exec_lo, exec_lo, s23
.LBB261_360:                            ;   in Loop: Header=BB261_12 Depth=1
	s_or_b32 exec_lo, exec_lo, s22
.LBB261_361:                            ;   in Loop: Header=BB261_12 Depth=1
	s_or_b32 exec_lo, exec_lo, s21
	s_mov_b32 s21, exec_lo
	v_cmpx_lt_u32_e32 0xffffff, v5
	s_cbranch_execz .LBB261_369
; %bb.362:                              ;   in Loop: Header=BB261_12 Depth=1
	v_lshrrev_b32_e32 v3, 24, v5
	v_bfrev_b32_e32 v79, 1
	s_mov_b32 s22, exec_lo
	v_cmpx_ne_u32_e32 0x80, v3
	s_cbranch_execz .LBB261_368
; %bb.363:                              ;   in Loop: Header=BB261_12 Depth=1
	v_and_b32_e32 v2, 0x7f, v3
	v_mov_b32_e32 v79, 0x7c010000
	s_mov_b32 s23, exec_lo
	v_cmpx_ne_u32_e32 0x7f, v2
	s_cbranch_execz .LBB261_367
; %bb.364:                              ;   in Loop: Header=BB261_12 Depth=1
	v_and_b32_e32 v0, 7, v3
	v_lshrrev_b32_e32 v1, 3, v2
	s_mov_b32 s24, exec_lo
	v_cmpx_gt_u32_e32 8, v2
; %bb.365:                              ;   in Loop: Header=BB261_12 Depth=1
	v_ffbh_u32_e32 v0, v0
	v_min_u32_e32 v2, 32, v0
	v_subrev_nc_u32_e32 v0, 28, v2
	v_lshlrev_b64 v[0:1], v0, v[3:4]
	v_sub_nc_u32_e32 v1, 29, v2
	v_and_b32_e32 v0, 7, v0
; %bb.366:                              ;   in Loop: Header=BB261_12 Depth=1
	s_or_b32 exec_lo, exec_lo, s24
	v_lshlrev_b32_e32 v2, 8, v3
	v_lshl_add_u32 v1, v1, 10, 0x2000
	v_lshlrev_b32_e32 v0, 23, v0
	v_and_or_b32 v1, 0x8000, v2, v1
	v_lshl_or_b32 v79, v1, 16, v0
.LBB261_367:                            ;   in Loop: Header=BB261_12 Depth=1
	s_or_b32 exec_lo, exec_lo, s23
.LBB261_368:                            ;   in Loop: Header=BB261_12 Depth=1
	s_or_b32 exec_lo, exec_lo, s22
.LBB261_369:                            ;   in Loop: Header=BB261_12 Depth=1
	s_or_b32 exec_lo, exec_lo, s21
	flat_load_dword v5, v[27:28] offset:1288
	v_mov_b32_e32 v89, 0
	v_mov_b32_e32 v90, 0
	s_waitcnt vmcnt(0) lgkmcnt(0)
	v_cmp_ne_u16_sdwa s7, v5, v4 src0_sel:BYTE_0 src1_sel:DWORD
	s_and_saveexec_b32 s21, s7
	s_cbranch_execz .LBB261_377
; %bb.370:                              ;   in Loop: Header=BB261_12 Depth=1
	v_cmp_ne_u16_sdwa s7, v5, v66 src0_sel:BYTE_0 src1_sel:DWORD
	v_mov_b32_e32 v90, 0x8000
	s_and_saveexec_b32 s22, s7
	s_cbranch_execz .LBB261_376
; %bb.371:                              ;   in Loop: Header=BB261_12 Depth=1
	v_and_b32_e32 v2, 0x7f, v5
	v_mov_b32_e32 v90, 0x7c01
	s_mov_b32 s23, exec_lo
	v_cmpx_ne_u32_e32 0x7f, v2
	s_cbranch_execz .LBB261_375
; %bb.372:                              ;   in Loop: Header=BB261_12 Depth=1
	v_and_b32_e32 v0, 7, v5
	v_lshrrev_b32_e32 v1, 3, v2
	s_mov_b32 s24, exec_lo
	v_cmpx_gt_u32_e32 8, v2
; %bb.373:                              ;   in Loop: Header=BB261_12 Depth=1
	v_ffbh_u32_e32 v0, v0
	v_min_u32_e32 v2, 32, v0
	v_subrev_nc_u32_e32 v0, 28, v2
	v_lshlrev_b64 v[0:1], v0, v[5:6]
	v_sub_nc_u32_e32 v1, 29, v2
	v_and_b32_e32 v0, 7, v0
; %bb.374:                              ;   in Loop: Header=BB261_12 Depth=1
	s_or_b32 exec_lo, exec_lo, s24
	v_lshlrev_b32_e32 v2, 8, v5
	v_lshl_add_u32 v1, v1, 10, 0x2000
	v_lshlrev_b32_e32 v0, 7, v0
	v_and_b32_e32 v2, 0x8000, v2
	v_and_b32_e32 v1, 0xfc00, v1
	v_or3_b32 v90, v2, v1, v0
.LBB261_375:                            ;   in Loop: Header=BB261_12 Depth=1
	s_or_b32 exec_lo, exec_lo, s23
.LBB261_376:                            ;   in Loop: Header=BB261_12 Depth=1
	s_or_b32 exec_lo, exec_lo, s22
.LBB261_377:                            ;   in Loop: Header=BB261_12 Depth=1
	s_or_b32 exec_lo, exec_lo, s21
	v_lshrrev_b16 v3, 8, v5
	s_mov_b32 s21, exec_lo
	v_cmpx_ne_u16_e32 0, v3
	s_cbranch_execz .LBB261_385
; %bb.378:                              ;   in Loop: Header=BB261_12 Depth=1
	v_bfrev_b32_e32 v89, 1
	s_mov_b32 s22, exec_lo
	v_cmpx_ne_u16_e32 0x80, v3
	s_cbranch_execz .LBB261_384
; %bb.379:                              ;   in Loop: Header=BB261_12 Depth=1
	v_mov_b32_e32 v0, 0x7f
	v_mov_b32_e32 v89, 0x7c010000
	s_mov_b32 s23, exec_lo
	v_and_b32_sdwa v2, v3, v0 dst_sel:DWORD dst_unused:UNUSED_PAD src0_sel:WORD_0 src1_sel:DWORD
	v_cmpx_ne_u32_e32 0x7f, v2
	s_cbranch_execz .LBB261_383
; %bb.380:                              ;   in Loop: Header=BB261_12 Depth=1
	v_mov_b32_e32 v0, 7
	v_lshrrev_b32_e32 v1, 3, v2
	s_mov_b32 s24, exec_lo
	v_and_b32_sdwa v0, v3, v0 dst_sel:DWORD dst_unused:UNUSED_PAD src0_sel:WORD_0 src1_sel:DWORD
	v_cmpx_gt_u32_e32 8, v2
; %bb.381:                              ;   in Loop: Header=BB261_12 Depth=1
	v_ffbh_u32_e32 v0, v0
	v_min_u32_e32 v2, 32, v0
	v_subrev_nc_u32_e32 v0, 28, v2
	v_lshlrev_b64 v[0:1], v0, v[3:4]
	v_sub_nc_u32_e32 v1, 29, v2
	v_and_b32_e32 v0, 7, v0
; %bb.382:                              ;   in Loop: Header=BB261_12 Depth=1
	s_or_b32 exec_lo, exec_lo, s24
	v_mov_b32_e32 v2, 8
	v_lshl_add_u32 v1, v1, 10, 0x2000
	v_lshlrev_b32_e32 v0, 23, v0
	v_lshlrev_b32_sdwa v2, v2, v3 dst_sel:DWORD dst_unused:UNUSED_PAD src0_sel:DWORD src1_sel:WORD_0
	v_and_or_b32 v1, 0x8000, v2, v1
	v_lshl_or_b32 v89, v1, 16, v0
.LBB261_383:                            ;   in Loop: Header=BB261_12 Depth=1
	s_or_b32 exec_lo, exec_lo, s23
.LBB261_384:                            ;   in Loop: Header=BB261_12 Depth=1
	s_or_b32 exec_lo, exec_lo, s22
.LBB261_385:                            ;   in Loop: Header=BB261_12 Depth=1
	s_or_b32 exec_lo, exec_lo, s21
	v_lshrrev_b32_e32 v3, 16, v5
	v_mov_b32_e32 v91, 0
	v_mov_b32_e32 v92, 0
	v_cmp_ne_u16_sdwa s7, v3, v4 src0_sel:BYTE_0 src1_sel:DWORD
	s_and_saveexec_b32 s21, s7
	s_cbranch_execz .LBB261_393
; %bb.386:                              ;   in Loop: Header=BB261_12 Depth=1
	v_cmp_ne_u16_sdwa s7, v3, v66 src0_sel:BYTE_0 src1_sel:DWORD
	v_mov_b32_e32 v92, 0x8000
	s_and_saveexec_b32 s22, s7
	s_cbranch_execz .LBB261_392
; %bb.387:                              ;   in Loop: Header=BB261_12 Depth=1
	v_bfe_u32 v2, v5, 16, 7
	v_mov_b32_e32 v92, 0x7c01
	s_mov_b32 s23, exec_lo
	v_cmpx_ne_u32_e32 0x7f, v2
	s_cbranch_execz .LBB261_391
; %bb.388:                              ;   in Loop: Header=BB261_12 Depth=1
	v_and_b32_e32 v0, 7, v3
	v_lshrrev_b32_e32 v1, 3, v2
	s_mov_b32 s24, exec_lo
	v_cmpx_gt_u32_e32 8, v2
; %bb.389:                              ;   in Loop: Header=BB261_12 Depth=1
	v_ffbh_u32_e32 v0, v0
	v_min_u32_e32 v2, 32, v0
	v_subrev_nc_u32_e32 v0, 28, v2
	v_lshlrev_b64 v[0:1], v0, v[3:4]
	v_sub_nc_u32_e32 v1, 29, v2
	v_and_b32_e32 v0, 7, v0
; %bb.390:                              ;   in Loop: Header=BB261_12 Depth=1
	s_or_b32 exec_lo, exec_lo, s24
	v_lshlrev_b32_e32 v2, 8, v3
	v_lshl_add_u32 v1, v1, 10, 0x2000
	v_lshlrev_b32_e32 v0, 7, v0
	v_and_b32_e32 v2, 0x8000, v2
	v_and_b32_e32 v1, 0xfc00, v1
	v_or3_b32 v92, v2, v1, v0
.LBB261_391:                            ;   in Loop: Header=BB261_12 Depth=1
	s_or_b32 exec_lo, exec_lo, s23
.LBB261_392:                            ;   in Loop: Header=BB261_12 Depth=1
	s_or_b32 exec_lo, exec_lo, s22
.LBB261_393:                            ;   in Loop: Header=BB261_12 Depth=1
	s_or_b32 exec_lo, exec_lo, s21
	s_mov_b32 s21, exec_lo
	v_cmpx_lt_u32_e32 0xffffff, v5
	s_cbranch_execz .LBB261_401
; %bb.394:                              ;   in Loop: Header=BB261_12 Depth=1
	v_lshrrev_b32_e32 v3, 24, v5
	v_bfrev_b32_e32 v91, 1
	s_mov_b32 s22, exec_lo
	v_cmpx_ne_u32_e32 0x80, v3
	s_cbranch_execz .LBB261_400
; %bb.395:                              ;   in Loop: Header=BB261_12 Depth=1
	v_and_b32_e32 v2, 0x7f, v3
	v_mov_b32_e32 v91, 0x7c010000
	s_mov_b32 s23, exec_lo
	v_cmpx_ne_u32_e32 0x7f, v2
	s_cbranch_execz .LBB261_399
; %bb.396:                              ;   in Loop: Header=BB261_12 Depth=1
	v_and_b32_e32 v0, 7, v3
	v_lshrrev_b32_e32 v1, 3, v2
	s_mov_b32 s24, exec_lo
	v_cmpx_gt_u32_e32 8, v2
; %bb.397:                              ;   in Loop: Header=BB261_12 Depth=1
	v_ffbh_u32_e32 v0, v0
	v_min_u32_e32 v2, 32, v0
	v_subrev_nc_u32_e32 v0, 28, v2
	v_lshlrev_b64 v[0:1], v0, v[3:4]
	v_sub_nc_u32_e32 v1, 29, v2
	v_and_b32_e32 v0, 7, v0
; %bb.398:                              ;   in Loop: Header=BB261_12 Depth=1
	s_or_b32 exec_lo, exec_lo, s24
	v_lshlrev_b32_e32 v2, 8, v3
	v_lshl_add_u32 v1, v1, 10, 0x2000
	v_lshlrev_b32_e32 v0, 23, v0
	v_and_or_b32 v1, 0x8000, v2, v1
	v_lshl_or_b32 v91, v1, 16, v0
.LBB261_399:                            ;   in Loop: Header=BB261_12 Depth=1
	s_or_b32 exec_lo, exec_lo, s23
.LBB261_400:                            ;   in Loop: Header=BB261_12 Depth=1
	s_or_b32 exec_lo, exec_lo, s22
.LBB261_401:                            ;   in Loop: Header=BB261_12 Depth=1
	s_or_b32 exec_lo, exec_lo, s21
	flat_load_dword v5, v[27:28] offset:1536
	v_mov_b32_e32 v93, 0
	v_mov_b32_e32 v94, 0
	s_waitcnt vmcnt(0) lgkmcnt(0)
	v_cmp_ne_u16_sdwa s7, v5, v4 src0_sel:BYTE_0 src1_sel:DWORD
	s_and_saveexec_b32 s21, s7
	s_cbranch_execz .LBB261_409
; %bb.402:                              ;   in Loop: Header=BB261_12 Depth=1
	v_cmp_ne_u16_sdwa s7, v5, v66 src0_sel:BYTE_0 src1_sel:DWORD
	v_mov_b32_e32 v94, 0x8000
	s_and_saveexec_b32 s22, s7
	s_cbranch_execz .LBB261_408
; %bb.403:                              ;   in Loop: Header=BB261_12 Depth=1
	v_and_b32_e32 v2, 0x7f, v5
	v_mov_b32_e32 v94, 0x7c01
	s_mov_b32 s23, exec_lo
	v_cmpx_ne_u32_e32 0x7f, v2
	s_cbranch_execz .LBB261_407
; %bb.404:                              ;   in Loop: Header=BB261_12 Depth=1
	v_and_b32_e32 v0, 7, v5
	v_lshrrev_b32_e32 v1, 3, v2
	s_mov_b32 s24, exec_lo
	v_cmpx_gt_u32_e32 8, v2
; %bb.405:                              ;   in Loop: Header=BB261_12 Depth=1
	v_ffbh_u32_e32 v0, v0
	v_min_u32_e32 v2, 32, v0
	v_subrev_nc_u32_e32 v0, 28, v2
	v_lshlrev_b64 v[0:1], v0, v[5:6]
	v_sub_nc_u32_e32 v1, 29, v2
	v_and_b32_e32 v0, 7, v0
; %bb.406:                              ;   in Loop: Header=BB261_12 Depth=1
	s_or_b32 exec_lo, exec_lo, s24
	v_lshlrev_b32_e32 v2, 8, v5
	v_lshl_add_u32 v1, v1, 10, 0x2000
	v_lshlrev_b32_e32 v0, 7, v0
	v_and_b32_e32 v2, 0x8000, v2
	v_and_b32_e32 v1, 0xfc00, v1
	v_or3_b32 v94, v2, v1, v0
.LBB261_407:                            ;   in Loop: Header=BB261_12 Depth=1
	s_or_b32 exec_lo, exec_lo, s23
.LBB261_408:                            ;   in Loop: Header=BB261_12 Depth=1
	s_or_b32 exec_lo, exec_lo, s22
.LBB261_409:                            ;   in Loop: Header=BB261_12 Depth=1
	s_or_b32 exec_lo, exec_lo, s21
	v_lshrrev_b16 v3, 8, v5
	s_mov_b32 s21, exec_lo
	v_cmpx_ne_u16_e32 0, v3
	s_cbranch_execz .LBB261_417
; %bb.410:                              ;   in Loop: Header=BB261_12 Depth=1
	v_bfrev_b32_e32 v93, 1
	s_mov_b32 s22, exec_lo
	v_cmpx_ne_u16_e32 0x80, v3
	s_cbranch_execz .LBB261_416
; %bb.411:                              ;   in Loop: Header=BB261_12 Depth=1
	v_mov_b32_e32 v0, 0x7f
	v_mov_b32_e32 v93, 0x7c010000
	s_mov_b32 s23, exec_lo
	v_and_b32_sdwa v2, v3, v0 dst_sel:DWORD dst_unused:UNUSED_PAD src0_sel:WORD_0 src1_sel:DWORD
	v_cmpx_ne_u32_e32 0x7f, v2
	s_cbranch_execz .LBB261_415
; %bb.412:                              ;   in Loop: Header=BB261_12 Depth=1
	v_mov_b32_e32 v0, 7
	v_lshrrev_b32_e32 v1, 3, v2
	s_mov_b32 s24, exec_lo
	v_and_b32_sdwa v0, v3, v0 dst_sel:DWORD dst_unused:UNUSED_PAD src0_sel:WORD_0 src1_sel:DWORD
	v_cmpx_gt_u32_e32 8, v2
; %bb.413:                              ;   in Loop: Header=BB261_12 Depth=1
	v_ffbh_u32_e32 v0, v0
	v_min_u32_e32 v2, 32, v0
	v_subrev_nc_u32_e32 v0, 28, v2
	v_lshlrev_b64 v[0:1], v0, v[3:4]
	v_sub_nc_u32_e32 v1, 29, v2
	v_and_b32_e32 v0, 7, v0
; %bb.414:                              ;   in Loop: Header=BB261_12 Depth=1
	s_or_b32 exec_lo, exec_lo, s24
	v_mov_b32_e32 v2, 8
	v_lshl_add_u32 v1, v1, 10, 0x2000
	v_lshlrev_b32_e32 v0, 23, v0
	v_lshlrev_b32_sdwa v2, v2, v3 dst_sel:DWORD dst_unused:UNUSED_PAD src0_sel:DWORD src1_sel:WORD_0
	v_and_or_b32 v1, 0x8000, v2, v1
	v_lshl_or_b32 v93, v1, 16, v0
.LBB261_415:                            ;   in Loop: Header=BB261_12 Depth=1
	s_or_b32 exec_lo, exec_lo, s23
.LBB261_416:                            ;   in Loop: Header=BB261_12 Depth=1
	s_or_b32 exec_lo, exec_lo, s22
.LBB261_417:                            ;   in Loop: Header=BB261_12 Depth=1
	s_or_b32 exec_lo, exec_lo, s21
	v_lshrrev_b32_e32 v3, 16, v5
	v_mov_b32_e32 v95, 0
	v_mov_b32_e32 v104, 0
	v_cmp_ne_u16_sdwa s7, v3, v4 src0_sel:BYTE_0 src1_sel:DWORD
	s_and_saveexec_b32 s21, s7
	s_cbranch_execz .LBB261_425
; %bb.418:                              ;   in Loop: Header=BB261_12 Depth=1
	v_cmp_ne_u16_sdwa s7, v3, v66 src0_sel:BYTE_0 src1_sel:DWORD
	v_mov_b32_e32 v104, 0x8000
	s_and_saveexec_b32 s22, s7
	s_cbranch_execz .LBB261_424
; %bb.419:                              ;   in Loop: Header=BB261_12 Depth=1
	v_bfe_u32 v2, v5, 16, 7
	v_mov_b32_e32 v104, 0x7c01
	s_mov_b32 s23, exec_lo
	v_cmpx_ne_u32_e32 0x7f, v2
	s_cbranch_execz .LBB261_423
; %bb.420:                              ;   in Loop: Header=BB261_12 Depth=1
	v_and_b32_e32 v0, 7, v3
	v_lshrrev_b32_e32 v1, 3, v2
	s_mov_b32 s24, exec_lo
	v_cmpx_gt_u32_e32 8, v2
; %bb.421:                              ;   in Loop: Header=BB261_12 Depth=1
	v_ffbh_u32_e32 v0, v0
	v_min_u32_e32 v2, 32, v0
	v_subrev_nc_u32_e32 v0, 28, v2
	v_lshlrev_b64 v[0:1], v0, v[3:4]
	v_sub_nc_u32_e32 v1, 29, v2
	v_and_b32_e32 v0, 7, v0
; %bb.422:                              ;   in Loop: Header=BB261_12 Depth=1
	s_or_b32 exec_lo, exec_lo, s24
	v_lshlrev_b32_e32 v2, 8, v3
	v_lshl_add_u32 v1, v1, 10, 0x2000
	v_lshlrev_b32_e32 v0, 7, v0
	v_and_b32_e32 v2, 0x8000, v2
	v_and_b32_e32 v1, 0xfc00, v1
	v_or3_b32 v104, v2, v1, v0
.LBB261_423:                            ;   in Loop: Header=BB261_12 Depth=1
	s_or_b32 exec_lo, exec_lo, s23
.LBB261_424:                            ;   in Loop: Header=BB261_12 Depth=1
	s_or_b32 exec_lo, exec_lo, s22
.LBB261_425:                            ;   in Loop: Header=BB261_12 Depth=1
	s_or_b32 exec_lo, exec_lo, s21
	s_mov_b32 s21, exec_lo
	v_cmpx_lt_u32_e32 0xffffff, v5
	s_cbranch_execz .LBB261_433
; %bb.426:                              ;   in Loop: Header=BB261_12 Depth=1
	v_lshrrev_b32_e32 v3, 24, v5
	v_bfrev_b32_e32 v95, 1
	s_mov_b32 s22, exec_lo
	v_cmpx_ne_u32_e32 0x80, v3
	s_cbranch_execz .LBB261_432
; %bb.427:                              ;   in Loop: Header=BB261_12 Depth=1
	v_and_b32_e32 v2, 0x7f, v3
	v_mov_b32_e32 v95, 0x7c010000
	s_mov_b32 s23, exec_lo
	v_cmpx_ne_u32_e32 0x7f, v2
	s_cbranch_execz .LBB261_431
; %bb.428:                              ;   in Loop: Header=BB261_12 Depth=1
	v_and_b32_e32 v0, 7, v3
	v_lshrrev_b32_e32 v1, 3, v2
	s_mov_b32 s24, exec_lo
	v_cmpx_gt_u32_e32 8, v2
; %bb.429:                              ;   in Loop: Header=BB261_12 Depth=1
	v_ffbh_u32_e32 v0, v0
	v_min_u32_e32 v2, 32, v0
	v_subrev_nc_u32_e32 v0, 28, v2
	v_lshlrev_b64 v[0:1], v0, v[3:4]
	v_sub_nc_u32_e32 v1, 29, v2
	v_and_b32_e32 v0, 7, v0
; %bb.430:                              ;   in Loop: Header=BB261_12 Depth=1
	s_or_b32 exec_lo, exec_lo, s24
	v_lshlrev_b32_e32 v2, 8, v3
	v_lshl_add_u32 v1, v1, 10, 0x2000
	v_lshlrev_b32_e32 v0, 23, v0
	v_and_or_b32 v1, 0x8000, v2, v1
	v_lshl_or_b32 v95, v1, 16, v0
.LBB261_431:                            ;   in Loop: Header=BB261_12 Depth=1
	s_or_b32 exec_lo, exec_lo, s23
.LBB261_432:                            ;   in Loop: Header=BB261_12 Depth=1
	s_or_b32 exec_lo, exec_lo, s22
.LBB261_433:                            ;   in Loop: Header=BB261_12 Depth=1
	s_or_b32 exec_lo, exec_lo, s21
	flat_load_dword v5, v[27:28] offset:1544
	v_mov_b32_e32 v105, 0
	v_mov_b32_e32 v106, 0
	s_waitcnt vmcnt(0) lgkmcnt(0)
	v_cmp_ne_u16_sdwa s7, v5, v4 src0_sel:BYTE_0 src1_sel:DWORD
	s_and_saveexec_b32 s21, s7
	s_cbranch_execz .LBB261_441
; %bb.434:                              ;   in Loop: Header=BB261_12 Depth=1
	v_cmp_ne_u16_sdwa s7, v5, v66 src0_sel:BYTE_0 src1_sel:DWORD
	v_mov_b32_e32 v106, 0x8000
	s_and_saveexec_b32 s22, s7
	s_cbranch_execz .LBB261_440
; %bb.435:                              ;   in Loop: Header=BB261_12 Depth=1
	v_and_b32_e32 v2, 0x7f, v5
	v_mov_b32_e32 v106, 0x7c01
	s_mov_b32 s23, exec_lo
	v_cmpx_ne_u32_e32 0x7f, v2
	s_cbranch_execz .LBB261_439
; %bb.436:                              ;   in Loop: Header=BB261_12 Depth=1
	v_and_b32_e32 v0, 7, v5
	v_lshrrev_b32_e32 v1, 3, v2
	s_mov_b32 s24, exec_lo
	v_cmpx_gt_u32_e32 8, v2
; %bb.437:                              ;   in Loop: Header=BB261_12 Depth=1
	v_ffbh_u32_e32 v0, v0
	v_min_u32_e32 v2, 32, v0
	v_subrev_nc_u32_e32 v0, 28, v2
	v_lshlrev_b64 v[0:1], v0, v[5:6]
	v_sub_nc_u32_e32 v1, 29, v2
	v_and_b32_e32 v0, 7, v0
; %bb.438:                              ;   in Loop: Header=BB261_12 Depth=1
	s_or_b32 exec_lo, exec_lo, s24
	v_lshlrev_b32_e32 v2, 8, v5
	v_lshl_add_u32 v1, v1, 10, 0x2000
	v_lshlrev_b32_e32 v0, 7, v0
	v_and_b32_e32 v2, 0x8000, v2
	v_and_b32_e32 v1, 0xfc00, v1
	v_or3_b32 v106, v2, v1, v0
.LBB261_439:                            ;   in Loop: Header=BB261_12 Depth=1
	s_or_b32 exec_lo, exec_lo, s23
.LBB261_440:                            ;   in Loop: Header=BB261_12 Depth=1
	s_or_b32 exec_lo, exec_lo, s22
.LBB261_441:                            ;   in Loop: Header=BB261_12 Depth=1
	s_or_b32 exec_lo, exec_lo, s21
	v_lshrrev_b16 v3, 8, v5
	s_mov_b32 s21, exec_lo
	v_cmpx_ne_u16_e32 0, v3
	s_cbranch_execz .LBB261_449
; %bb.442:                              ;   in Loop: Header=BB261_12 Depth=1
	v_bfrev_b32_e32 v105, 1
	s_mov_b32 s22, exec_lo
	v_cmpx_ne_u16_e32 0x80, v3
	s_cbranch_execz .LBB261_448
; %bb.443:                              ;   in Loop: Header=BB261_12 Depth=1
	v_mov_b32_e32 v0, 0x7f
	v_mov_b32_e32 v105, 0x7c010000
	s_mov_b32 s23, exec_lo
	v_and_b32_sdwa v2, v3, v0 dst_sel:DWORD dst_unused:UNUSED_PAD src0_sel:WORD_0 src1_sel:DWORD
	v_cmpx_ne_u32_e32 0x7f, v2
	s_cbranch_execz .LBB261_447
; %bb.444:                              ;   in Loop: Header=BB261_12 Depth=1
	v_mov_b32_e32 v0, 7
	v_lshrrev_b32_e32 v1, 3, v2
	s_mov_b32 s24, exec_lo
	v_and_b32_sdwa v0, v3, v0 dst_sel:DWORD dst_unused:UNUSED_PAD src0_sel:WORD_0 src1_sel:DWORD
	v_cmpx_gt_u32_e32 8, v2
; %bb.445:                              ;   in Loop: Header=BB261_12 Depth=1
	v_ffbh_u32_e32 v0, v0
	v_min_u32_e32 v2, 32, v0
	v_subrev_nc_u32_e32 v0, 28, v2
	v_lshlrev_b64 v[0:1], v0, v[3:4]
	v_sub_nc_u32_e32 v1, 29, v2
	v_and_b32_e32 v0, 7, v0
; %bb.446:                              ;   in Loop: Header=BB261_12 Depth=1
	s_or_b32 exec_lo, exec_lo, s24
	v_mov_b32_e32 v2, 8
	v_lshl_add_u32 v1, v1, 10, 0x2000
	v_lshlrev_b32_e32 v0, 23, v0
	v_lshlrev_b32_sdwa v2, v2, v3 dst_sel:DWORD dst_unused:UNUSED_PAD src0_sel:DWORD src1_sel:WORD_0
	v_and_or_b32 v1, 0x8000, v2, v1
	v_lshl_or_b32 v105, v1, 16, v0
.LBB261_447:                            ;   in Loop: Header=BB261_12 Depth=1
	s_or_b32 exec_lo, exec_lo, s23
.LBB261_448:                            ;   in Loop: Header=BB261_12 Depth=1
	s_or_b32 exec_lo, exec_lo, s22
.LBB261_449:                            ;   in Loop: Header=BB261_12 Depth=1
	s_or_b32 exec_lo, exec_lo, s21
	v_lshrrev_b32_e32 v3, 16, v5
	v_mov_b32_e32 v107, 0
	v_mov_b32_e32 v108, 0
	v_cmp_ne_u16_sdwa s7, v3, v4 src0_sel:BYTE_0 src1_sel:DWORD
	s_and_saveexec_b32 s21, s7
	s_cbranch_execz .LBB261_457
; %bb.450:                              ;   in Loop: Header=BB261_12 Depth=1
	v_cmp_ne_u16_sdwa s7, v3, v66 src0_sel:BYTE_0 src1_sel:DWORD
	v_mov_b32_e32 v108, 0x8000
	s_and_saveexec_b32 s22, s7
	s_cbranch_execz .LBB261_456
; %bb.451:                              ;   in Loop: Header=BB261_12 Depth=1
	v_bfe_u32 v2, v5, 16, 7
	v_mov_b32_e32 v108, 0x7c01
	s_mov_b32 s23, exec_lo
	v_cmpx_ne_u32_e32 0x7f, v2
	s_cbranch_execz .LBB261_455
; %bb.452:                              ;   in Loop: Header=BB261_12 Depth=1
	v_and_b32_e32 v0, 7, v3
	v_lshrrev_b32_e32 v1, 3, v2
	s_mov_b32 s24, exec_lo
	v_cmpx_gt_u32_e32 8, v2
; %bb.453:                              ;   in Loop: Header=BB261_12 Depth=1
	v_ffbh_u32_e32 v0, v0
	v_min_u32_e32 v2, 32, v0
	v_subrev_nc_u32_e32 v0, 28, v2
	v_lshlrev_b64 v[0:1], v0, v[3:4]
	v_sub_nc_u32_e32 v1, 29, v2
	v_and_b32_e32 v0, 7, v0
; %bb.454:                              ;   in Loop: Header=BB261_12 Depth=1
	s_or_b32 exec_lo, exec_lo, s24
	v_lshlrev_b32_e32 v2, 8, v3
	v_lshl_add_u32 v1, v1, 10, 0x2000
	v_lshlrev_b32_e32 v0, 7, v0
	v_and_b32_e32 v2, 0x8000, v2
	v_and_b32_e32 v1, 0xfc00, v1
	v_or3_b32 v108, v2, v1, v0
.LBB261_455:                            ;   in Loop: Header=BB261_12 Depth=1
	s_or_b32 exec_lo, exec_lo, s23
.LBB261_456:                            ;   in Loop: Header=BB261_12 Depth=1
	s_or_b32 exec_lo, exec_lo, s22
.LBB261_457:                            ;   in Loop: Header=BB261_12 Depth=1
	s_or_b32 exec_lo, exec_lo, s21
	s_mov_b32 s21, exec_lo
	v_cmpx_lt_u32_e32 0xffffff, v5
	s_cbranch_execz .LBB261_465
; %bb.458:                              ;   in Loop: Header=BB261_12 Depth=1
	v_lshrrev_b32_e32 v3, 24, v5
	v_bfrev_b32_e32 v107, 1
	s_mov_b32 s22, exec_lo
	v_cmpx_ne_u32_e32 0x80, v3
	s_cbranch_execz .LBB261_464
; %bb.459:                              ;   in Loop: Header=BB261_12 Depth=1
	v_and_b32_e32 v2, 0x7f, v3
	v_mov_b32_e32 v107, 0x7c010000
	s_mov_b32 s23, exec_lo
	v_cmpx_ne_u32_e32 0x7f, v2
	s_cbranch_execz .LBB261_463
; %bb.460:                              ;   in Loop: Header=BB261_12 Depth=1
	v_and_b32_e32 v0, 7, v3
	v_lshrrev_b32_e32 v1, 3, v2
	s_mov_b32 s24, exec_lo
	v_cmpx_gt_u32_e32 8, v2
; %bb.461:                              ;   in Loop: Header=BB261_12 Depth=1
	v_ffbh_u32_e32 v0, v0
	v_min_u32_e32 v2, 32, v0
	v_subrev_nc_u32_e32 v0, 28, v2
	v_lshlrev_b64 v[0:1], v0, v[3:4]
	v_sub_nc_u32_e32 v1, 29, v2
	v_and_b32_e32 v0, 7, v0
; %bb.462:                              ;   in Loop: Header=BB261_12 Depth=1
	s_or_b32 exec_lo, exec_lo, s24
	v_lshlrev_b32_e32 v2, 8, v3
	v_lshl_add_u32 v1, v1, 10, 0x2000
	v_lshlrev_b32_e32 v0, 23, v0
	v_and_or_b32 v1, 0x8000, v2, v1
	v_lshl_or_b32 v107, v1, 16, v0
.LBB261_463:                            ;   in Loop: Header=BB261_12 Depth=1
	s_or_b32 exec_lo, exec_lo, s23
.LBB261_464:                            ;   in Loop: Header=BB261_12 Depth=1
	s_or_b32 exec_lo, exec_lo, s22
.LBB261_465:                            ;   in Loop: Header=BB261_12 Depth=1
	s_or_b32 exec_lo, exec_lo, s21
	flat_load_dword v5, v[27:28] offset:1792
	v_mov_b32_e32 v109, 0
	v_mov_b32_e32 v18, 0
	s_waitcnt vmcnt(0) lgkmcnt(0)
	v_cmp_ne_u16_sdwa s7, v5, v4 src0_sel:BYTE_0 src1_sel:DWORD
	s_and_saveexec_b32 s21, s7
	s_cbranch_execz .LBB261_473
; %bb.466:                              ;   in Loop: Header=BB261_12 Depth=1
	v_cmp_ne_u16_sdwa s7, v5, v66 src0_sel:BYTE_0 src1_sel:DWORD
	v_mov_b32_e32 v18, 0x8000
	s_and_saveexec_b32 s22, s7
	s_cbranch_execz .LBB261_472
; %bb.467:                              ;   in Loop: Header=BB261_12 Depth=1
	v_and_b32_e32 v2, 0x7f, v5
	v_mov_b32_e32 v18, 0x7c01
	s_mov_b32 s23, exec_lo
	v_cmpx_ne_u32_e32 0x7f, v2
	s_cbranch_execz .LBB261_471
; %bb.468:                              ;   in Loop: Header=BB261_12 Depth=1
	v_and_b32_e32 v0, 7, v5
	v_lshrrev_b32_e32 v1, 3, v2
	s_mov_b32 s24, exec_lo
	v_cmpx_gt_u32_e32 8, v2
; %bb.469:                              ;   in Loop: Header=BB261_12 Depth=1
	v_ffbh_u32_e32 v0, v0
	v_min_u32_e32 v2, 32, v0
	v_subrev_nc_u32_e32 v0, 28, v2
	v_lshlrev_b64 v[0:1], v0, v[5:6]
	v_sub_nc_u32_e32 v1, 29, v2
	v_and_b32_e32 v0, 7, v0
; %bb.470:                              ;   in Loop: Header=BB261_12 Depth=1
	s_or_b32 exec_lo, exec_lo, s24
	v_lshlrev_b32_e32 v2, 8, v5
	v_lshl_add_u32 v1, v1, 10, 0x2000
	v_lshlrev_b32_e32 v0, 7, v0
	v_and_b32_e32 v2, 0x8000, v2
	v_and_b32_e32 v1, 0xfc00, v1
	v_or3_b32 v18, v2, v1, v0
.LBB261_471:                            ;   in Loop: Header=BB261_12 Depth=1
	s_or_b32 exec_lo, exec_lo, s23
.LBB261_472:                            ;   in Loop: Header=BB261_12 Depth=1
	s_or_b32 exec_lo, exec_lo, s22
.LBB261_473:                            ;   in Loop: Header=BB261_12 Depth=1
	s_or_b32 exec_lo, exec_lo, s21
	v_lshrrev_b16 v3, 8, v5
	s_mov_b32 s21, exec_lo
	v_cmpx_ne_u16_e32 0, v3
	s_cbranch_execz .LBB261_481
; %bb.474:                              ;   in Loop: Header=BB261_12 Depth=1
	v_bfrev_b32_e32 v109, 1
	s_mov_b32 s22, exec_lo
	v_cmpx_ne_u16_e32 0x80, v3
	s_cbranch_execz .LBB261_480
; %bb.475:                              ;   in Loop: Header=BB261_12 Depth=1
	v_mov_b32_e32 v0, 0x7f
	v_mov_b32_e32 v109, 0x7c010000
	s_mov_b32 s23, exec_lo
	v_and_b32_sdwa v2, v3, v0 dst_sel:DWORD dst_unused:UNUSED_PAD src0_sel:WORD_0 src1_sel:DWORD
	v_cmpx_ne_u32_e32 0x7f, v2
	s_cbranch_execz .LBB261_479
; %bb.476:                              ;   in Loop: Header=BB261_12 Depth=1
	v_mov_b32_e32 v0, 7
	v_lshrrev_b32_e32 v1, 3, v2
	s_mov_b32 s24, exec_lo
	v_and_b32_sdwa v0, v3, v0 dst_sel:DWORD dst_unused:UNUSED_PAD src0_sel:WORD_0 src1_sel:DWORD
	v_cmpx_gt_u32_e32 8, v2
; %bb.477:                              ;   in Loop: Header=BB261_12 Depth=1
	v_ffbh_u32_e32 v0, v0
	v_min_u32_e32 v2, 32, v0
	v_subrev_nc_u32_e32 v0, 28, v2
	v_lshlrev_b64 v[0:1], v0, v[3:4]
	v_sub_nc_u32_e32 v1, 29, v2
	v_and_b32_e32 v0, 7, v0
; %bb.478:                              ;   in Loop: Header=BB261_12 Depth=1
	s_or_b32 exec_lo, exec_lo, s24
	v_mov_b32_e32 v2, 8
	v_lshl_add_u32 v1, v1, 10, 0x2000
	v_lshlrev_b32_e32 v0, 23, v0
	v_lshlrev_b32_sdwa v2, v2, v3 dst_sel:DWORD dst_unused:UNUSED_PAD src0_sel:DWORD src1_sel:WORD_0
	v_and_or_b32 v1, 0x8000, v2, v1
	v_lshl_or_b32 v109, v1, 16, v0
.LBB261_479:                            ;   in Loop: Header=BB261_12 Depth=1
	s_or_b32 exec_lo, exec_lo, s23
.LBB261_480:                            ;   in Loop: Header=BB261_12 Depth=1
	s_or_b32 exec_lo, exec_lo, s22
.LBB261_481:                            ;   in Loop: Header=BB261_12 Depth=1
	s_or_b32 exec_lo, exec_lo, s21
	v_lshrrev_b32_e32 v3, 16, v5
	v_mov_b32_e32 v111, 0
	v_mov_b32_e32 v120, 0
	v_cmp_ne_u16_sdwa s7, v3, v4 src0_sel:BYTE_0 src1_sel:DWORD
	s_and_saveexec_b32 s21, s7
	s_cbranch_execz .LBB261_489
; %bb.482:                              ;   in Loop: Header=BB261_12 Depth=1
	v_cmp_ne_u16_sdwa s7, v3, v66 src0_sel:BYTE_0 src1_sel:DWORD
	v_mov_b32_e32 v120, 0x8000
	s_and_saveexec_b32 s22, s7
	s_cbranch_execz .LBB261_488
; %bb.483:                              ;   in Loop: Header=BB261_12 Depth=1
	v_bfe_u32 v2, v5, 16, 7
	v_mov_b32_e32 v120, 0x7c01
	s_mov_b32 s23, exec_lo
	v_cmpx_ne_u32_e32 0x7f, v2
	s_cbranch_execz .LBB261_487
; %bb.484:                              ;   in Loop: Header=BB261_12 Depth=1
	v_and_b32_e32 v0, 7, v3
	v_lshrrev_b32_e32 v1, 3, v2
	s_mov_b32 s24, exec_lo
	v_cmpx_gt_u32_e32 8, v2
; %bb.485:                              ;   in Loop: Header=BB261_12 Depth=1
	v_ffbh_u32_e32 v0, v0
	v_min_u32_e32 v2, 32, v0
	v_subrev_nc_u32_e32 v0, 28, v2
	v_lshlrev_b64 v[0:1], v0, v[3:4]
	v_sub_nc_u32_e32 v1, 29, v2
	v_and_b32_e32 v0, 7, v0
; %bb.486:                              ;   in Loop: Header=BB261_12 Depth=1
	s_or_b32 exec_lo, exec_lo, s24
	v_lshlrev_b32_e32 v2, 8, v3
	v_lshl_add_u32 v1, v1, 10, 0x2000
	v_lshlrev_b32_e32 v0, 7, v0
	v_and_b32_e32 v2, 0x8000, v2
	v_and_b32_e32 v1, 0xfc00, v1
	v_or3_b32 v120, v2, v1, v0
.LBB261_487:                            ;   in Loop: Header=BB261_12 Depth=1
	s_or_b32 exec_lo, exec_lo, s23
.LBB261_488:                            ;   in Loop: Header=BB261_12 Depth=1
	s_or_b32 exec_lo, exec_lo, s22
.LBB261_489:                            ;   in Loop: Header=BB261_12 Depth=1
	s_or_b32 exec_lo, exec_lo, s21
	s_mov_b32 s21, exec_lo
	v_cmpx_lt_u32_e32 0xffffff, v5
	s_cbranch_execz .LBB261_497
; %bb.490:                              ;   in Loop: Header=BB261_12 Depth=1
	v_lshrrev_b32_e32 v3, 24, v5
	v_bfrev_b32_e32 v111, 1
	s_mov_b32 s22, exec_lo
	v_cmpx_ne_u32_e32 0x80, v3
	s_cbranch_execz .LBB261_496
; %bb.491:                              ;   in Loop: Header=BB261_12 Depth=1
	v_and_b32_e32 v2, 0x7f, v3
	v_mov_b32_e32 v111, 0x7c010000
	s_mov_b32 s23, exec_lo
	v_cmpx_ne_u32_e32 0x7f, v2
	s_cbranch_execz .LBB261_495
; %bb.492:                              ;   in Loop: Header=BB261_12 Depth=1
	v_and_b32_e32 v0, 7, v3
	v_lshrrev_b32_e32 v1, 3, v2
	s_mov_b32 s24, exec_lo
	v_cmpx_gt_u32_e32 8, v2
; %bb.493:                              ;   in Loop: Header=BB261_12 Depth=1
	v_ffbh_u32_e32 v0, v0
	v_min_u32_e32 v2, 32, v0
	v_subrev_nc_u32_e32 v0, 28, v2
	v_lshlrev_b64 v[0:1], v0, v[3:4]
	v_sub_nc_u32_e32 v1, 29, v2
	v_and_b32_e32 v0, 7, v0
; %bb.494:                              ;   in Loop: Header=BB261_12 Depth=1
	s_or_b32 exec_lo, exec_lo, s24
	v_lshlrev_b32_e32 v2, 8, v3
	v_lshl_add_u32 v1, v1, 10, 0x2000
	v_lshlrev_b32_e32 v0, 23, v0
	v_and_or_b32 v1, 0x8000, v2, v1
	v_lshl_or_b32 v111, v1, 16, v0
.LBB261_495:                            ;   in Loop: Header=BB261_12 Depth=1
	s_or_b32 exec_lo, exec_lo, s23
.LBB261_496:                            ;   in Loop: Header=BB261_12 Depth=1
	s_or_b32 exec_lo, exec_lo, s22
.LBB261_497:                            ;   in Loop: Header=BB261_12 Depth=1
	s_or_b32 exec_lo, exec_lo, s21
	flat_load_dword v5, v[27:28] offset:1800
	v_mov_b32_e32 v28, 0
	v_mov_b32_e32 v70, 0
	s_waitcnt vmcnt(0) lgkmcnt(0)
	v_cmp_ne_u16_sdwa s7, v5, v4 src0_sel:BYTE_0 src1_sel:DWORD
	s_and_saveexec_b32 s21, s7
	s_cbranch_execz .LBB261_505
; %bb.498:                              ;   in Loop: Header=BB261_12 Depth=1
	v_cmp_ne_u16_sdwa s7, v5, v66 src0_sel:BYTE_0 src1_sel:DWORD
	v_mov_b32_e32 v70, 0x8000
	s_and_saveexec_b32 s22, s7
	s_cbranch_execz .LBB261_504
; %bb.499:                              ;   in Loop: Header=BB261_12 Depth=1
	v_and_b32_e32 v2, 0x7f, v5
	v_mov_b32_e32 v70, 0x7c01
	s_mov_b32 s23, exec_lo
	v_cmpx_ne_u32_e32 0x7f, v2
	s_cbranch_execz .LBB261_503
; %bb.500:                              ;   in Loop: Header=BB261_12 Depth=1
	v_and_b32_e32 v0, 7, v5
	v_lshrrev_b32_e32 v1, 3, v2
	s_mov_b32 s24, exec_lo
	v_cmpx_gt_u32_e32 8, v2
; %bb.501:                              ;   in Loop: Header=BB261_12 Depth=1
	v_ffbh_u32_e32 v0, v0
	v_min_u32_e32 v2, 32, v0
	v_subrev_nc_u32_e32 v0, 28, v2
	v_lshlrev_b64 v[0:1], v0, v[5:6]
	v_sub_nc_u32_e32 v1, 29, v2
	v_and_b32_e32 v0, 7, v0
; %bb.502:                              ;   in Loop: Header=BB261_12 Depth=1
	s_or_b32 exec_lo, exec_lo, s24
	v_lshlrev_b32_e32 v2, 8, v5
	v_lshl_add_u32 v1, v1, 10, 0x2000
	v_lshlrev_b32_e32 v0, 7, v0
	v_and_b32_e32 v2, 0x8000, v2
	v_and_b32_e32 v1, 0xfc00, v1
	v_or3_b32 v70, v2, v1, v0
.LBB261_503:                            ;   in Loop: Header=BB261_12 Depth=1
	s_or_b32 exec_lo, exec_lo, s23
.LBB261_504:                            ;   in Loop: Header=BB261_12 Depth=1
	s_or_b32 exec_lo, exec_lo, s22
.LBB261_505:                            ;   in Loop: Header=BB261_12 Depth=1
	s_or_b32 exec_lo, exec_lo, s21
	v_lshrrev_b16 v3, 8, v5
	s_mov_b32 s21, exec_lo
	v_cmpx_ne_u16_e32 0, v3
	s_cbranch_execz .LBB261_513
; %bb.506:                              ;   in Loop: Header=BB261_12 Depth=1
	v_bfrev_b32_e32 v28, 1
	s_mov_b32 s22, exec_lo
	v_cmpx_ne_u16_e32 0x80, v3
	s_cbranch_execz .LBB261_512
; %bb.507:                              ;   in Loop: Header=BB261_12 Depth=1
	v_mov_b32_e32 v0, 0x7f
	v_mov_b32_e32 v28, 0x7c010000
	s_mov_b32 s23, exec_lo
	v_and_b32_sdwa v2, v3, v0 dst_sel:DWORD dst_unused:UNUSED_PAD src0_sel:WORD_0 src1_sel:DWORD
	v_cmpx_ne_u32_e32 0x7f, v2
	s_cbranch_execz .LBB261_511
; %bb.508:                              ;   in Loop: Header=BB261_12 Depth=1
	v_mov_b32_e32 v0, 7
	v_lshrrev_b32_e32 v1, 3, v2
	s_mov_b32 s24, exec_lo
	v_and_b32_sdwa v0, v3, v0 dst_sel:DWORD dst_unused:UNUSED_PAD src0_sel:WORD_0 src1_sel:DWORD
	v_cmpx_gt_u32_e32 8, v2
; %bb.509:                              ;   in Loop: Header=BB261_12 Depth=1
	v_ffbh_u32_e32 v0, v0
	v_min_u32_e32 v2, 32, v0
	v_subrev_nc_u32_e32 v0, 28, v2
	v_lshlrev_b64 v[0:1], v0, v[3:4]
	v_sub_nc_u32_e32 v1, 29, v2
	v_and_b32_e32 v0, 7, v0
; %bb.510:                              ;   in Loop: Header=BB261_12 Depth=1
	s_or_b32 exec_lo, exec_lo, s24
	v_mov_b32_e32 v2, 8
	v_lshl_add_u32 v1, v1, 10, 0x2000
	v_lshlrev_b32_e32 v0, 23, v0
	v_lshlrev_b32_sdwa v2, v2, v3 dst_sel:DWORD dst_unused:UNUSED_PAD src0_sel:DWORD src1_sel:WORD_0
	v_and_or_b32 v1, 0x8000, v2, v1
	v_lshl_or_b32 v28, v1, 16, v0
.LBB261_511:                            ;   in Loop: Header=BB261_12 Depth=1
	s_or_b32 exec_lo, exec_lo, s23
.LBB261_512:                            ;   in Loop: Header=BB261_12 Depth=1
	s_or_b32 exec_lo, exec_lo, s22
.LBB261_513:                            ;   in Loop: Header=BB261_12 Depth=1
	s_or_b32 exec_lo, exec_lo, s21
	v_lshrrev_b32_e32 v3, 16, v5
	v_mov_b32_e32 v1, 0
	v_mov_b32_e32 v0, 0
	v_cmp_ne_u16_sdwa s7, v3, v4 src0_sel:BYTE_0 src1_sel:DWORD
	s_and_saveexec_b32 s21, s7
	s_cbranch_execz .LBB261_521
; %bb.514:                              ;   in Loop: Header=BB261_12 Depth=1
	v_cmp_ne_u16_sdwa s7, v3, v66 src0_sel:BYTE_0 src1_sel:DWORD
	v_mov_b32_e32 v0, 0x8000
	s_and_saveexec_b32 s22, s7
	s_cbranch_execz .LBB261_520
; %bb.515:                              ;   in Loop: Header=BB261_12 Depth=1
	v_bfe_u32 v6, v5, 16, 7
	v_mov_b32_e32 v0, 0x7c01
	s_mov_b32 s23, exec_lo
	v_cmpx_ne_u32_e32 0x7f, v6
	s_cbranch_execz .LBB261_519
; %bb.516:                              ;   in Loop: Header=BB261_12 Depth=1
	v_and_b32_e32 v0, 7, v3
	v_lshrrev_b32_e32 v2, 3, v6
	s_mov_b32 s24, exec_lo
	v_cmpx_gt_u32_e32 8, v6
; %bb.517:                              ;   in Loop: Header=BB261_12 Depth=1
	v_ffbh_u32_e32 v0, v0
	v_min_u32_e32 v0, 32, v0
	v_subrev_nc_u32_e32 v2, 28, v0
	v_lshlrev_b64 v[6:7], v2, v[3:4]
	v_sub_nc_u32_e32 v2, 29, v0
	v_and_b32_e32 v0, 7, v6
; %bb.518:                              ;   in Loop: Header=BB261_12 Depth=1
	s_or_b32 exec_lo, exec_lo, s24
	v_lshlrev_b32_e32 v3, 8, v3
	v_lshl_add_u32 v2, v2, 10, 0x2000
	v_lshlrev_b32_e32 v0, 7, v0
	v_and_b32_e32 v3, 0x8000, v3
	v_and_b32_e32 v2, 0xfc00, v2
	v_or3_b32 v0, v3, v2, v0
.LBB261_519:                            ;   in Loop: Header=BB261_12 Depth=1
	s_or_b32 exec_lo, exec_lo, s23
.LBB261_520:                            ;   in Loop: Header=BB261_12 Depth=1
	s_or_b32 exec_lo, exec_lo, s22
.LBB261_521:                            ;   in Loop: Header=BB261_12 Depth=1
	s_or_b32 exec_lo, exec_lo, s21
	s_mov_b32 s21, exec_lo
	v_cmpx_lt_u32_e32 0xffffff, v5
	s_cbranch_execz .LBB261_529
; %bb.522:                              ;   in Loop: Header=BB261_12 Depth=1
	v_lshrrev_b32_e32 v3, 24, v5
	v_bfrev_b32_e32 v1, 1
	s_mov_b32 s22, exec_lo
	v_cmpx_ne_u32_e32 0x80, v3
	s_cbranch_execz .LBB261_528
; %bb.523:                              ;   in Loop: Header=BB261_12 Depth=1
	v_and_b32_e32 v5, 0x7f, v3
	v_mov_b32_e32 v1, 0x7c010000
	s_mov_b32 s23, exec_lo
	v_cmpx_ne_u32_e32 0x7f, v5
	s_cbranch_execz .LBB261_527
; %bb.524:                              ;   in Loop: Header=BB261_12 Depth=1
	v_and_b32_e32 v1, 7, v3
	v_lshrrev_b32_e32 v2, 3, v5
	s_mov_b32 s24, exec_lo
	v_cmpx_gt_u32_e32 8, v5
; %bb.525:                              ;   in Loop: Header=BB261_12 Depth=1
	v_ffbh_u32_e32 v1, v1
	v_min_u32_e32 v5, 32, v1
	v_subrev_nc_u32_e32 v1, 28, v5
	v_lshlrev_b64 v[1:2], v1, v[3:4]
	v_sub_nc_u32_e32 v2, 29, v5
	v_and_b32_e32 v1, 7, v1
; %bb.526:                              ;   in Loop: Header=BB261_12 Depth=1
	s_or_b32 exec_lo, exec_lo, s24
	v_lshlrev_b32_e32 v3, 8, v3
	v_lshl_add_u32 v2, v2, 10, 0x2000
	v_lshlrev_b32_e32 v1, 23, v1
	v_and_or_b32 v2, 0x8000, v3, v2
	v_lshl_or_b32 v1, v2, 16, v1
.LBB261_527:                            ;   in Loop: Header=BB261_12 Depth=1
	s_or_b32 exec_lo, exec_lo, s23
.LBB261_528:                            ;   in Loop: Header=BB261_12 Depth=1
	s_or_b32 exec_lo, exec_lo, s22
.LBB261_529:                            ;   in Loop: Header=BB261_12 Depth=1
	s_or_b32 exec_lo, exec_lo, s21
	buffer_load_dword v3, off, s[0:3], s32 offset:192 ; 4-byte Folded Reload
	v_add_co_u32 v2, s7, 0x800, v24
	v_add_co_ci_u32_e64 v6, null, 0, v25, s7
	v_mov_b32_e32 v10, 0
	v_mov_b32_e32 v87, 0
	s_waitcnt vmcnt(0)
	v_add_co_u32 v7, s7, v2, v3
	v_add_co_ci_u32_e64 v8, null, 0, v6, s7
	flat_load_dword v5, v[7:8]
	s_waitcnt vmcnt(0) lgkmcnt(0)
	v_cmp_ne_u16_sdwa s7, v5, v4 src0_sel:BYTE_0 src1_sel:DWORD
	s_and_saveexec_b32 s21, s7
	s_cbranch_execz .LBB261_537
; %bb.530:                              ;   in Loop: Header=BB261_12 Depth=1
	v_cmp_ne_u16_sdwa s7, v5, v66 src0_sel:BYTE_0 src1_sel:DWORD
	v_mov_b32_e32 v87, 0x8000
	s_and_saveexec_b32 s22, s7
	s_cbranch_execz .LBB261_536
; %bb.531:                              ;   in Loop: Header=BB261_12 Depth=1
	v_and_b32_e32 v8, 0x7f, v5
	v_mov_b32_e32 v87, 0x7c01
	s_mov_b32 s23, exec_lo
	v_cmpx_ne_u32_e32 0x7f, v8
	s_cbranch_execz .LBB261_535
; %bb.532:                              ;   in Loop: Header=BB261_12 Depth=1
	v_and_b32_e32 v3, 7, v5
	v_lshrrev_b32_e32 v7, 3, v8
	s_mov_b32 s24, exec_lo
	v_cmpx_gt_u32_e32 8, v8
; %bb.533:                              ;   in Loop: Header=BB261_12 Depth=1
	v_ffbh_u32_e32 v3, v3
	v_min_u32_e32 v3, 32, v3
	v_subrev_nc_u32_e32 v7, 28, v3
	v_lshlrev_b64 v[8:9], v7, v[5:6]
	v_sub_nc_u32_e32 v7, 29, v3
	v_and_b32_e32 v3, 7, v8
; %bb.534:                              ;   in Loop: Header=BB261_12 Depth=1
	s_or_b32 exec_lo, exec_lo, s24
	v_lshlrev_b32_e32 v8, 8, v5
	v_lshl_add_u32 v7, v7, 10, 0x2000
	v_lshlrev_b32_e32 v3, 7, v3
	v_and_b32_e32 v8, 0x8000, v8
	v_and_b32_e32 v7, 0xfc00, v7
	v_or3_b32 v87, v8, v7, v3
.LBB261_535:                            ;   in Loop: Header=BB261_12 Depth=1
	s_or_b32 exec_lo, exec_lo, s23
.LBB261_536:                            ;   in Loop: Header=BB261_12 Depth=1
	s_or_b32 exec_lo, exec_lo, s22
.LBB261_537:                            ;   in Loop: Header=BB261_12 Depth=1
	s_or_b32 exec_lo, exec_lo, s21
	v_lshrrev_b16 v3, 8, v5
	s_mov_b32 s21, exec_lo
	v_cmpx_ne_u16_e32 0, v3
	s_cbranch_execz .LBB261_545
; %bb.538:                              ;   in Loop: Header=BB261_12 Depth=1
	v_bfrev_b32_e32 v10, 1
	s_mov_b32 s22, exec_lo
	v_cmpx_ne_u16_e32 0x80, v3
	s_cbranch_execz .LBB261_544
; %bb.539:                              ;   in Loop: Header=BB261_12 Depth=1
	v_mov_b32_e32 v7, 0x7f
	v_mov_b32_e32 v10, 0x7c010000
	s_mov_b32 s23, exec_lo
	v_and_b32_sdwa v9, v3, v7 dst_sel:DWORD dst_unused:UNUSED_PAD src0_sel:WORD_0 src1_sel:DWORD
	v_cmpx_ne_u32_e32 0x7f, v9
	s_cbranch_execz .LBB261_543
; %bb.540:                              ;   in Loop: Header=BB261_12 Depth=1
	v_mov_b32_e32 v7, 7
	v_lshrrev_b32_e32 v8, 3, v9
	s_mov_b32 s24, exec_lo
	v_and_b32_sdwa v7, v3, v7 dst_sel:DWORD dst_unused:UNUSED_PAD src0_sel:WORD_0 src1_sel:DWORD
	v_cmpx_gt_u32_e32 8, v9
; %bb.541:                              ;   in Loop: Header=BB261_12 Depth=1
	v_ffbh_u32_e32 v7, v7
	v_min_u32_e32 v9, 32, v7
	v_subrev_nc_u32_e32 v7, 28, v9
	v_lshlrev_b64 v[7:8], v7, v[3:4]
	v_sub_nc_u32_e32 v8, 29, v9
	v_and_b32_e32 v7, 7, v7
; %bb.542:                              ;   in Loop: Header=BB261_12 Depth=1
	s_or_b32 exec_lo, exec_lo, s24
	v_mov_b32_e32 v9, 8
	v_lshl_add_u32 v8, v8, 10, 0x2000
	v_lshlrev_b32_e32 v7, 23, v7
	v_lshlrev_b32_sdwa v3, v9, v3 dst_sel:DWORD dst_unused:UNUSED_PAD src0_sel:DWORD src1_sel:WORD_0
	v_and_or_b32 v3, 0x8000, v3, v8
	v_lshl_or_b32 v10, v3, 16, v7
.LBB261_543:                            ;   in Loop: Header=BB261_12 Depth=1
	s_or_b32 exec_lo, exec_lo, s23
.LBB261_544:                            ;   in Loop: Header=BB261_12 Depth=1
	s_or_b32 exec_lo, exec_lo, s22
.LBB261_545:                            ;   in Loop: Header=BB261_12 Depth=1
	s_or_b32 exec_lo, exec_lo, s21
	v_lshrrev_b32_e32 v3, 16, v5
	v_mov_b32_e32 v33, 0
	v_mov_b32_e32 v121, 0
	v_cmp_ne_u16_sdwa s7, v3, v4 src0_sel:BYTE_0 src1_sel:DWORD
	s_and_saveexec_b32 s21, s7
	s_cbranch_execz .LBB261_553
; %bb.546:                              ;   in Loop: Header=BB261_12 Depth=1
	v_cmp_ne_u16_sdwa s7, v3, v66 src0_sel:BYTE_0 src1_sel:DWORD
	v_mov_b32_e32 v121, 0x8000
	s_and_saveexec_b32 s22, s7
	s_cbranch_execz .LBB261_552
; %bb.547:                              ;   in Loop: Header=BB261_12 Depth=1
	v_bfe_u32 v9, v5, 16, 7
	v_mov_b32_e32 v121, 0x7c01
	s_mov_b32 s23, exec_lo
	v_cmpx_ne_u32_e32 0x7f, v9
	s_cbranch_execz .LBB261_551
; %bb.548:                              ;   in Loop: Header=BB261_12 Depth=1
	v_and_b32_e32 v7, 7, v3
	v_lshrrev_b32_e32 v8, 3, v9
	s_mov_b32 s24, exec_lo
	v_cmpx_gt_u32_e32 8, v9
; %bb.549:                              ;   in Loop: Header=BB261_12 Depth=1
	v_ffbh_u32_e32 v7, v7
	v_min_u32_e32 v9, 32, v7
	v_subrev_nc_u32_e32 v7, 28, v9
	v_lshlrev_b64 v[7:8], v7, v[3:4]
	v_sub_nc_u32_e32 v8, 29, v9
	v_and_b32_e32 v7, 7, v7
; %bb.550:                              ;   in Loop: Header=BB261_12 Depth=1
	s_or_b32 exec_lo, exec_lo, s24
	v_lshlrev_b32_e32 v3, 8, v3
	v_lshl_add_u32 v8, v8, 10, 0x2000
	v_lshlrev_b32_e32 v7, 7, v7
	v_and_b32_e32 v3, 0x8000, v3
	v_and_b32_e32 v8, 0xfc00, v8
	v_or3_b32 v121, v3, v8, v7
.LBB261_551:                            ;   in Loop: Header=BB261_12 Depth=1
	s_or_b32 exec_lo, exec_lo, s23
.LBB261_552:                            ;   in Loop: Header=BB261_12 Depth=1
	s_or_b32 exec_lo, exec_lo, s22
.LBB261_553:                            ;   in Loop: Header=BB261_12 Depth=1
	s_or_b32 exec_lo, exec_lo, s21
	s_mov_b32 s21, exec_lo
	v_cmpx_lt_u32_e32 0xffffff, v5
	s_cbranch_execz .LBB261_561
; %bb.554:                              ;   in Loop: Header=BB261_12 Depth=1
	v_lshrrev_b32_e32 v3, 24, v5
	v_bfrev_b32_e32 v33, 1
	s_mov_b32 s22, exec_lo
	v_cmpx_ne_u32_e32 0x80, v3
	s_cbranch_execz .LBB261_560
; %bb.555:                              ;   in Loop: Header=BB261_12 Depth=1
	v_and_b32_e32 v8, 0x7f, v3
	v_mov_b32_e32 v33, 0x7c010000
	s_mov_b32 s23, exec_lo
	v_cmpx_ne_u32_e32 0x7f, v8
	s_cbranch_execz .LBB261_559
; %bb.556:                              ;   in Loop: Header=BB261_12 Depth=1
	v_and_b32_e32 v5, 7, v3
	v_lshrrev_b32_e32 v7, 3, v8
	s_mov_b32 s24, exec_lo
	v_cmpx_gt_u32_e32 8, v8
; %bb.557:                              ;   in Loop: Header=BB261_12 Depth=1
	v_ffbh_u32_e32 v5, v5
	v_min_u32_e32 v5, 32, v5
	v_subrev_nc_u32_e32 v7, 28, v5
	v_lshlrev_b64 v[8:9], v7, v[3:4]
	v_sub_nc_u32_e32 v7, 29, v5
	v_and_b32_e32 v5, 7, v8
; %bb.558:                              ;   in Loop: Header=BB261_12 Depth=1
	s_or_b32 exec_lo, exec_lo, s24
	v_lshlrev_b32_e32 v3, 8, v3
	v_lshl_add_u32 v7, v7, 10, 0x2000
	v_lshlrev_b32_e32 v5, 23, v5
	v_and_or_b32 v3, 0x8000, v3, v7
	v_lshl_or_b32 v33, v3, 16, v5
.LBB261_559:                            ;   in Loop: Header=BB261_12 Depth=1
	s_or_b32 exec_lo, exec_lo, s23
.LBB261_560:                            ;   in Loop: Header=BB261_12 Depth=1
	s_or_b32 exec_lo, exec_lo, s22
.LBB261_561:                            ;   in Loop: Header=BB261_12 Depth=1
	s_or_b32 exec_lo, exec_lo, s21
	buffer_load_dword v3, off, s[0:3], s32 offset:196 ; 4-byte Folded Reload
	v_mov_b32_e32 v51, 0
	v_mov_b32_e32 v9, 0
	s_waitcnt vmcnt(0)
	v_add_co_u32 v2, s7, v2, v3
	v_add_co_ci_u32_e64 v3, null, 0, v6, s7
	flat_load_dword v5, v[2:3]
	s_waitcnt vmcnt(0) lgkmcnt(0)
	v_cmp_ne_u16_sdwa s7, v5, v4 src0_sel:BYTE_0 src1_sel:DWORD
	s_and_saveexec_b32 s21, s7
	s_cbranch_execz .LBB261_569
; %bb.562:                              ;   in Loop: Header=BB261_12 Depth=1
	v_cmp_ne_u16_sdwa s7, v5, v66 src0_sel:BYTE_0 src1_sel:DWORD
	v_mov_b32_e32 v9, 0x8000
	s_and_saveexec_b32 s22, s7
	s_cbranch_execz .LBB261_568
; %bb.563:                              ;   in Loop: Header=BB261_12 Depth=1
	v_and_b32_e32 v6, 0x7f, v5
	v_mov_b32_e32 v9, 0x7c01
	s_mov_b32 s23, exec_lo
	v_cmpx_ne_u32_e32 0x7f, v6
	s_cbranch_execz .LBB261_567
; %bb.564:                              ;   in Loop: Header=BB261_12 Depth=1
	v_and_b32_e32 v2, 7, v5
	v_lshrrev_b32_e32 v3, 3, v6
	s_mov_b32 s24, exec_lo
	v_cmpx_gt_u32_e32 8, v6
; %bb.565:                              ;   in Loop: Header=BB261_12 Depth=1
	v_ffbh_u32_e32 v2, v2
	v_min_u32_e32 v6, 32, v2
	v_subrev_nc_u32_e32 v2, 28, v6
	v_lshlrev_b64 v[2:3], v2, v[5:6]
	v_sub_nc_u32_e32 v3, 29, v6
	v_and_b32_e32 v2, 7, v2
; %bb.566:                              ;   in Loop: Header=BB261_12 Depth=1
	s_or_b32 exec_lo, exec_lo, s24
	v_lshlrev_b32_e32 v6, 8, v5
	v_lshl_add_u32 v3, v3, 10, 0x2000
	v_lshlrev_b32_e32 v2, 7, v2
	v_and_b32_e32 v6, 0x8000, v6
	v_and_b32_e32 v3, 0xfc00, v3
	v_or3_b32 v9, v6, v3, v2
.LBB261_567:                            ;   in Loop: Header=BB261_12 Depth=1
	s_or_b32 exec_lo, exec_lo, s23
.LBB261_568:                            ;   in Loop: Header=BB261_12 Depth=1
	s_or_b32 exec_lo, exec_lo, s22
.LBB261_569:                            ;   in Loop: Header=BB261_12 Depth=1
	s_or_b32 exec_lo, exec_lo, s21
	v_lshrrev_b16 v3, 8, v5
	s_mov_b32 s21, exec_lo
	v_cmpx_ne_u16_e32 0, v3
	s_cbranch_execz .LBB261_577
; %bb.570:                              ;   in Loop: Header=BB261_12 Depth=1
	v_bfrev_b32_e32 v51, 1
	s_mov_b32 s22, exec_lo
	v_cmpx_ne_u16_e32 0x80, v3
	s_cbranch_execz .LBB261_576
; %bb.571:                              ;   in Loop: Header=BB261_12 Depth=1
	v_mov_b32_e32 v2, 0x7f
	v_mov_b32_e32 v51, 0x7c010000
	s_mov_b32 s23, exec_lo
	v_and_b32_sdwa v7, v3, v2 dst_sel:DWORD dst_unused:UNUSED_PAD src0_sel:WORD_0 src1_sel:DWORD
	v_cmpx_ne_u32_e32 0x7f, v7
	s_cbranch_execz .LBB261_575
; %bb.572:                              ;   in Loop: Header=BB261_12 Depth=1
	v_mov_b32_e32 v2, 7
	v_lshrrev_b32_e32 v6, 3, v7
	s_mov_b32 s24, exec_lo
	v_and_b32_sdwa v2, v3, v2 dst_sel:DWORD dst_unused:UNUSED_PAD src0_sel:WORD_0 src1_sel:DWORD
	v_cmpx_gt_u32_e32 8, v7
; %bb.573:                              ;   in Loop: Header=BB261_12 Depth=1
	v_ffbh_u32_e32 v2, v2
	v_min_u32_e32 v2, 32, v2
	v_subrev_nc_u32_e32 v6, 28, v2
	v_lshlrev_b64 v[7:8], v6, v[3:4]
	v_sub_nc_u32_e32 v6, 29, v2
	v_and_b32_e32 v2, 7, v7
; %bb.574:                              ;   in Loop: Header=BB261_12 Depth=1
	s_or_b32 exec_lo, exec_lo, s24
	v_mov_b32_e32 v7, 8
	v_lshl_add_u32 v6, v6, 10, 0x2000
	v_lshlrev_b32_e32 v2, 23, v2
	v_lshlrev_b32_sdwa v3, v7, v3 dst_sel:DWORD dst_unused:UNUSED_PAD src0_sel:DWORD src1_sel:WORD_0
	v_and_or_b32 v3, 0x8000, v3, v6
	v_lshl_or_b32 v51, v3, 16, v2
.LBB261_575:                            ;   in Loop: Header=BB261_12 Depth=1
	s_or_b32 exec_lo, exec_lo, s23
.LBB261_576:                            ;   in Loop: Header=BB261_12 Depth=1
	s_or_b32 exec_lo, exec_lo, s22
.LBB261_577:                            ;   in Loop: Header=BB261_12 Depth=1
	s_or_b32 exec_lo, exec_lo, s21
	v_lshrrev_b32_e32 v3, 16, v5
	v_mov_b32_e32 v15, 0
	v_mov_b32_e32 v125, 0
	v_cmp_ne_u16_sdwa s7, v3, v4 src0_sel:BYTE_0 src1_sel:DWORD
	s_and_saveexec_b32 s21, s7
	s_cbranch_execz .LBB261_585
; %bb.578:                              ;   in Loop: Header=BB261_12 Depth=1
	v_cmp_ne_u16_sdwa s7, v3, v66 src0_sel:BYTE_0 src1_sel:DWORD
	v_mov_b32_e32 v125, 0x8000
	s_and_saveexec_b32 s22, s7
	s_cbranch_execz .LBB261_584
; %bb.579:                              ;   in Loop: Header=BB261_12 Depth=1
	v_bfe_u32 v7, v5, 16, 7
	v_mov_b32_e32 v125, 0x7c01
	s_mov_b32 s23, exec_lo
	v_cmpx_ne_u32_e32 0x7f, v7
	s_cbranch_execz .LBB261_583
; %bb.580:                              ;   in Loop: Header=BB261_12 Depth=1
	v_and_b32_e32 v2, 7, v3
	v_lshrrev_b32_e32 v6, 3, v7
	s_mov_b32 s24, exec_lo
	v_cmpx_gt_u32_e32 8, v7
; %bb.581:                              ;   in Loop: Header=BB261_12 Depth=1
	v_ffbh_u32_e32 v2, v2
	v_min_u32_e32 v2, 32, v2
	v_subrev_nc_u32_e32 v6, 28, v2
	v_lshlrev_b64 v[7:8], v6, v[3:4]
	v_sub_nc_u32_e32 v6, 29, v2
	v_and_b32_e32 v2, 7, v7
; %bb.582:                              ;   in Loop: Header=BB261_12 Depth=1
	s_or_b32 exec_lo, exec_lo, s24
	v_lshlrev_b32_e32 v3, 8, v3
	v_lshl_add_u32 v6, v6, 10, 0x2000
	v_lshlrev_b32_e32 v2, 7, v2
	v_and_b32_e32 v3, 0x8000, v3
	v_and_b32_e32 v6, 0xfc00, v6
	v_or3_b32 v125, v3, v6, v2
.LBB261_583:                            ;   in Loop: Header=BB261_12 Depth=1
	s_or_b32 exec_lo, exec_lo, s23
.LBB261_584:                            ;   in Loop: Header=BB261_12 Depth=1
	s_or_b32 exec_lo, exec_lo, s22
.LBB261_585:                            ;   in Loop: Header=BB261_12 Depth=1
	s_or_b32 exec_lo, exec_lo, s21
	s_mov_b32 s21, exec_lo
	v_cmpx_lt_u32_e32 0xffffff, v5
	s_cbranch_execz .LBB261_593
; %bb.586:                              ;   in Loop: Header=BB261_12 Depth=1
	v_lshrrev_b32_e32 v3, 24, v5
	v_bfrev_b32_e32 v15, 1
	s_mov_b32 s22, exec_lo
	v_cmpx_ne_u32_e32 0x80, v3
	s_cbranch_execz .LBB261_592
; %bb.587:                              ;   in Loop: Header=BB261_12 Depth=1
	v_and_b32_e32 v6, 0x7f, v3
	v_mov_b32_e32 v15, 0x7c010000
	s_mov_b32 s23, exec_lo
	v_cmpx_ne_u32_e32 0x7f, v6
	s_cbranch_execz .LBB261_591
; %bb.588:                              ;   in Loop: Header=BB261_12 Depth=1
	v_and_b32_e32 v2, 7, v3
	v_lshrrev_b32_e32 v5, 3, v6
	s_mov_b32 s24, exec_lo
	v_cmpx_gt_u32_e32 8, v6
; %bb.589:                              ;   in Loop: Header=BB261_12 Depth=1
	v_ffbh_u32_e32 v2, v2
	v_min_u32_e32 v2, 32, v2
	v_subrev_nc_u32_e32 v5, 28, v2
	v_lshlrev_b64 v[6:7], v5, v[3:4]
	v_sub_nc_u32_e32 v5, 29, v2
	v_and_b32_e32 v2, 7, v6
; %bb.590:                              ;   in Loop: Header=BB261_12 Depth=1
	s_or_b32 exec_lo, exec_lo, s24
	v_lshlrev_b32_e32 v3, 8, v3
	v_lshl_add_u32 v5, v5, 10, 0x2000
	v_lshlrev_b32_e32 v2, 23, v2
	v_and_or_b32 v3, 0x8000, v3, v5
	v_lshl_or_b32 v15, v3, 16, v2
.LBB261_591:                            ;   in Loop: Header=BB261_12 Depth=1
	s_or_b32 exec_lo, exec_lo, s23
.LBB261_592:                            ;   in Loop: Header=BB261_12 Depth=1
	s_or_b32 exec_lo, exec_lo, s22
.LBB261_593:                            ;   in Loop: Header=BB261_12 Depth=1
	s_or_b32 exec_lo, exec_lo, s21
	buffer_load_dword v2, off, s[0:3], s32 offset:192 ; 4-byte Folded Reload
	v_add_co_u32 v6, s7, 0x900, v24
	v_add_co_ci_u32_e64 v7, null, 0, v25, s7
	v_mov_b32_e32 v80, 0
	s_waitcnt vmcnt(0)
	v_add_co_u32 v2, s7, v6, v2
	v_add_co_ci_u32_e64 v3, null, 0, v7, s7
	flat_load_dword v5, v[2:3]
	v_mov_b32_e32 v2, 0
	s_waitcnt vmcnt(0) lgkmcnt(0)
	v_cmp_ne_u16_sdwa s7, v5, v4 src0_sel:BYTE_0 src1_sel:DWORD
	s_and_saveexec_b32 s21, s7
	s_cbranch_execz .LBB261_601
; %bb.594:                              ;   in Loop: Header=BB261_12 Depth=1
	v_cmp_ne_u16_sdwa s7, v5, v66 src0_sel:BYTE_0 src1_sel:DWORD
	v_mov_b32_e32 v2, 0x8000
	s_and_saveexec_b32 s22, s7
	s_cbranch_execz .LBB261_600
; %bb.595:                              ;   in Loop: Header=BB261_12 Depth=1
	v_and_b32_e32 v8, 0x7f, v5
	v_mov_b32_e32 v2, 0x7c01
	s_mov_b32 s23, exec_lo
	v_cmpx_ne_u32_e32 0x7f, v8
	s_cbranch_execz .LBB261_599
; %bb.596:                              ;   in Loop: Header=BB261_12 Depth=1
	v_and_b32_e32 v2, 7, v5
	v_lshrrev_b32_e32 v3, 3, v8
	s_mov_b32 s24, exec_lo
	v_cmpx_gt_u32_e32 8, v8
; %bb.597:                              ;   in Loop: Header=BB261_12 Depth=1
	v_ffbh_u32_e32 v2, v2
	v_min_u32_e32 v8, 32, v2
	v_subrev_nc_u32_e32 v2, 28, v8
	v_lshlrev_b64 v[2:3], v2, v[5:6]
	v_sub_nc_u32_e32 v3, 29, v8
	v_and_b32_e32 v2, 7, v2
; %bb.598:                              ;   in Loop: Header=BB261_12 Depth=1
	s_or_b32 exec_lo, exec_lo, s24
	v_lshlrev_b32_e32 v8, 8, v5
	v_lshl_add_u32 v3, v3, 10, 0x2000
	v_lshlrev_b32_e32 v2, 7, v2
	v_and_b32_e32 v8, 0x8000, v8
	v_and_b32_e32 v3, 0xfc00, v3
	v_or3_b32 v2, v8, v3, v2
.LBB261_599:                            ;   in Loop: Header=BB261_12 Depth=1
	s_or_b32 exec_lo, exec_lo, s23
.LBB261_600:                            ;   in Loop: Header=BB261_12 Depth=1
	s_or_b32 exec_lo, exec_lo, s22
.LBB261_601:                            ;   in Loop: Header=BB261_12 Depth=1
	s_or_b32 exec_lo, exec_lo, s21
	v_lshrrev_b16 v3, 8, v5
	s_mov_b32 s21, exec_lo
	v_cmpx_ne_u16_e32 0, v3
	s_cbranch_execz .LBB261_609
; %bb.602:                              ;   in Loop: Header=BB261_12 Depth=1
	v_bfrev_b32_e32 v80, 1
	s_mov_b32 s22, exec_lo
	v_cmpx_ne_u16_e32 0x80, v3
	s_cbranch_execz .LBB261_608
; %bb.603:                              ;   in Loop: Header=BB261_12 Depth=1
	v_mov_b32_e32 v8, 0x7f
	v_mov_b32_e32 v80, 0x7c010000
	s_mov_b32 s23, exec_lo
	v_and_b32_sdwa v12, v3, v8 dst_sel:DWORD dst_unused:UNUSED_PAD src0_sel:WORD_0 src1_sel:DWORD
	v_cmpx_ne_u32_e32 0x7f, v12
	s_cbranch_execz .LBB261_607
; %bb.604:                              ;   in Loop: Header=BB261_12 Depth=1
	v_mov_b32_e32 v8, 7
	v_lshrrev_b32_e32 v11, 3, v12
	s_mov_b32 s24, exec_lo
	v_and_b32_sdwa v8, v3, v8 dst_sel:DWORD dst_unused:UNUSED_PAD src0_sel:WORD_0 src1_sel:DWORD
	v_cmpx_gt_u32_e32 8, v12
; %bb.605:                              ;   in Loop: Header=BB261_12 Depth=1
	v_ffbh_u32_e32 v8, v8
	v_min_u32_e32 v8, 32, v8
	v_subrev_nc_u32_e32 v11, 28, v8
	v_lshlrev_b64 v[12:13], v11, v[3:4]
	v_sub_nc_u32_e32 v11, 29, v8
	v_and_b32_e32 v8, 7, v12
; %bb.606:                              ;   in Loop: Header=BB261_12 Depth=1
	s_or_b32 exec_lo, exec_lo, s24
	v_mov_b32_e32 v12, 8
	v_lshl_add_u32 v11, v11, 10, 0x2000
	v_lshlrev_b32_e32 v8, 23, v8
	v_lshlrev_b32_sdwa v3, v12, v3 dst_sel:DWORD dst_unused:UNUSED_PAD src0_sel:DWORD src1_sel:WORD_0
	v_and_or_b32 v3, 0x8000, v3, v11
	v_lshl_or_b32 v80, v3, 16, v8
.LBB261_607:                            ;   in Loop: Header=BB261_12 Depth=1
	s_or_b32 exec_lo, exec_lo, s23
.LBB261_608:                            ;   in Loop: Header=BB261_12 Depth=1
	s_or_b32 exec_lo, exec_lo, s22
.LBB261_609:                            ;   in Loop: Header=BB261_12 Depth=1
	s_or_b32 exec_lo, exec_lo, s21
	v_lshrrev_b32_e32 v3, 16, v5
	v_mov_b32_e32 v69, 0
	v_mov_b32_e32 v55, 0
	v_cmp_ne_u16_sdwa s7, v3, v4 src0_sel:BYTE_0 src1_sel:DWORD
	s_and_saveexec_b32 s21, s7
	s_cbranch_execz .LBB261_617
; %bb.610:                              ;   in Loop: Header=BB261_12 Depth=1
	v_cmp_ne_u16_sdwa s7, v3, v66 src0_sel:BYTE_0 src1_sel:DWORD
	v_mov_b32_e32 v55, 0x8000
	s_and_saveexec_b32 s22, s7
	s_cbranch_execz .LBB261_616
; %bb.611:                              ;   in Loop: Header=BB261_12 Depth=1
	v_bfe_u32 v12, v5, 16, 7
	v_mov_b32_e32 v55, 0x7c01
	s_mov_b32 s23, exec_lo
	v_cmpx_ne_u32_e32 0x7f, v12
	s_cbranch_execz .LBB261_615
; %bb.612:                              ;   in Loop: Header=BB261_12 Depth=1
	v_and_b32_e32 v8, 7, v3
	v_lshrrev_b32_e32 v11, 3, v12
	s_mov_b32 s24, exec_lo
	v_cmpx_gt_u32_e32 8, v12
; %bb.613:                              ;   in Loop: Header=BB261_12 Depth=1
	v_ffbh_u32_e32 v8, v8
	v_min_u32_e32 v8, 32, v8
	v_subrev_nc_u32_e32 v11, 28, v8
	v_lshlrev_b64 v[12:13], v11, v[3:4]
	v_sub_nc_u32_e32 v11, 29, v8
	v_and_b32_e32 v8, 7, v12
; %bb.614:                              ;   in Loop: Header=BB261_12 Depth=1
	s_or_b32 exec_lo, exec_lo, s24
	v_lshlrev_b32_e32 v3, 8, v3
	v_lshl_add_u32 v11, v11, 10, 0x2000
	v_lshlrev_b32_e32 v8, 7, v8
	v_and_b32_e32 v3, 0x8000, v3
	v_and_b32_e32 v11, 0xfc00, v11
	v_or3_b32 v55, v3, v11, v8
.LBB261_615:                            ;   in Loop: Header=BB261_12 Depth=1
	s_or_b32 exec_lo, exec_lo, s23
.LBB261_616:                            ;   in Loop: Header=BB261_12 Depth=1
	s_or_b32 exec_lo, exec_lo, s22
.LBB261_617:                            ;   in Loop: Header=BB261_12 Depth=1
	s_or_b32 exec_lo, exec_lo, s21
	s_mov_b32 s21, exec_lo
	v_cmpx_lt_u32_e32 0xffffff, v5
	s_cbranch_execz .LBB261_625
; %bb.618:                              ;   in Loop: Header=BB261_12 Depth=1
	v_lshrrev_b32_e32 v3, 24, v5
	v_bfrev_b32_e32 v69, 1
	s_mov_b32 s22, exec_lo
	v_cmpx_ne_u32_e32 0x80, v3
	s_cbranch_execz .LBB261_624
; %bb.619:                              ;   in Loop: Header=BB261_12 Depth=1
	v_and_b32_e32 v11, 0x7f, v3
	v_mov_b32_e32 v69, 0x7c010000
	s_mov_b32 s23, exec_lo
	v_cmpx_ne_u32_e32 0x7f, v11
	s_cbranch_execz .LBB261_623
; %bb.620:                              ;   in Loop: Header=BB261_12 Depth=1
	v_and_b32_e32 v5, 7, v3
	v_lshrrev_b32_e32 v8, 3, v11
	s_mov_b32 s24, exec_lo
	v_cmpx_gt_u32_e32 8, v11
; %bb.621:                              ;   in Loop: Header=BB261_12 Depth=1
	v_ffbh_u32_e32 v5, v5
	v_min_u32_e32 v5, 32, v5
	v_subrev_nc_u32_e32 v8, 28, v5
	v_lshlrev_b64 v[11:12], v8, v[3:4]
	v_sub_nc_u32_e32 v8, 29, v5
	v_and_b32_e32 v5, 7, v11
; %bb.622:                              ;   in Loop: Header=BB261_12 Depth=1
	s_or_b32 exec_lo, exec_lo, s24
	v_lshlrev_b32_e32 v3, 8, v3
	v_lshl_add_u32 v8, v8, 10, 0x2000
	v_lshlrev_b32_e32 v5, 23, v5
	v_and_or_b32 v3, 0x8000, v3, v8
	v_lshl_or_b32 v69, v3, 16, v5
.LBB261_623:                            ;   in Loop: Header=BB261_12 Depth=1
	s_or_b32 exec_lo, exec_lo, s23
.LBB261_624:                            ;   in Loop: Header=BB261_12 Depth=1
	s_or_b32 exec_lo, exec_lo, s22
.LBB261_625:                            ;   in Loop: Header=BB261_12 Depth=1
	s_or_b32 exec_lo, exec_lo, s21
	buffer_load_dword v3, off, s[0:3], s32 offset:196 ; 4-byte Folded Reload
	v_mov_b32_e32 v100, 0
	v_mov_b32_e32 v102, 0
	s_waitcnt vmcnt(0)
	v_add_co_u32 v5, s7, v6, v3
	v_add_co_ci_u32_e64 v6, null, 0, v7, s7
	flat_load_dword v5, v[5:6]
	s_waitcnt vmcnt(0) lgkmcnt(0)
	v_cmp_ne_u16_sdwa s7, v5, v4 src0_sel:BYTE_0 src1_sel:DWORD
	s_and_saveexec_b32 s21, s7
	s_cbranch_execz .LBB261_633
; %bb.626:                              ;   in Loop: Header=BB261_12 Depth=1
	v_cmp_ne_u16_sdwa s7, v5, v66 src0_sel:BYTE_0 src1_sel:DWORD
	v_mov_b32_e32 v102, 0x8000
	s_and_saveexec_b32 s22, s7
	s_cbranch_execz .LBB261_632
; %bb.627:                              ;   in Loop: Header=BB261_12 Depth=1
	v_and_b32_e32 v7, 0x7f, v5
	v_mov_b32_e32 v102, 0x7c01
	s_mov_b32 s23, exec_lo
	v_cmpx_ne_u32_e32 0x7f, v7
	s_cbranch_execz .LBB261_631
; %bb.628:                              ;   in Loop: Header=BB261_12 Depth=1
	v_and_b32_e32 v3, 7, v5
	v_lshrrev_b32_e32 v6, 3, v7
	s_mov_b32 s24, exec_lo
	v_cmpx_gt_u32_e32 8, v7
; %bb.629:                              ;   in Loop: Header=BB261_12 Depth=1
	v_ffbh_u32_e32 v3, v3
	v_min_u32_e32 v3, 32, v3
	v_subrev_nc_u32_e32 v6, 28, v3
	v_lshlrev_b64 v[7:8], v6, v[5:6]
	v_sub_nc_u32_e32 v6, 29, v3
	v_and_b32_e32 v3, 7, v7
; %bb.630:                              ;   in Loop: Header=BB261_12 Depth=1
	s_or_b32 exec_lo, exec_lo, s24
	v_lshlrev_b32_e32 v7, 8, v5
	v_lshl_add_u32 v6, v6, 10, 0x2000
	v_lshlrev_b32_e32 v3, 7, v3
	v_and_b32_e32 v7, 0x8000, v7
	v_and_b32_e32 v6, 0xfc00, v6
	v_or3_b32 v102, v7, v6, v3
.LBB261_631:                            ;   in Loop: Header=BB261_12 Depth=1
	s_or_b32 exec_lo, exec_lo, s23
.LBB261_632:                            ;   in Loop: Header=BB261_12 Depth=1
	s_or_b32 exec_lo, exec_lo, s22
.LBB261_633:                            ;   in Loop: Header=BB261_12 Depth=1
	s_or_b32 exec_lo, exec_lo, s21
	v_lshrrev_b16 v3, 8, v5
	s_mov_b32 s21, exec_lo
	v_cmpx_ne_u16_e32 0, v3
	s_cbranch_execz .LBB261_641
; %bb.634:                              ;   in Loop: Header=BB261_12 Depth=1
	v_bfrev_b32_e32 v100, 1
	s_mov_b32 s22, exec_lo
	v_cmpx_ne_u16_e32 0x80, v3
	s_cbranch_execz .LBB261_640
; %bb.635:                              ;   in Loop: Header=BB261_12 Depth=1
	v_mov_b32_e32 v6, 0x7f
	v_mov_b32_e32 v100, 0x7c010000
	s_mov_b32 s23, exec_lo
	v_and_b32_sdwa v8, v3, v6 dst_sel:DWORD dst_unused:UNUSED_PAD src0_sel:WORD_0 src1_sel:DWORD
	v_cmpx_ne_u32_e32 0x7f, v8
	s_cbranch_execz .LBB261_639
; %bb.636:                              ;   in Loop: Header=BB261_12 Depth=1
	v_mov_b32_e32 v6, 7
	v_lshrrev_b32_e32 v7, 3, v8
	s_mov_b32 s24, exec_lo
	v_and_b32_sdwa v6, v3, v6 dst_sel:DWORD dst_unused:UNUSED_PAD src0_sel:WORD_0 src1_sel:DWORD
	v_cmpx_gt_u32_e32 8, v8
; %bb.637:                              ;   in Loop: Header=BB261_12 Depth=1
	v_ffbh_u32_e32 v6, v6
	v_min_u32_e32 v8, 32, v6
	v_subrev_nc_u32_e32 v6, 28, v8
	v_lshlrev_b64 v[6:7], v6, v[3:4]
	v_sub_nc_u32_e32 v7, 29, v8
	v_and_b32_e32 v6, 7, v6
; %bb.638:                              ;   in Loop: Header=BB261_12 Depth=1
	s_or_b32 exec_lo, exec_lo, s24
	v_mov_b32_e32 v8, 8
	v_lshl_add_u32 v7, v7, 10, 0x2000
	v_lshlrev_b32_e32 v6, 23, v6
	v_lshlrev_b32_sdwa v3, v8, v3 dst_sel:DWORD dst_unused:UNUSED_PAD src0_sel:DWORD src1_sel:WORD_0
	v_and_or_b32 v3, 0x8000, v3, v7
	v_lshl_or_b32 v100, v3, 16, v6
.LBB261_639:                            ;   in Loop: Header=BB261_12 Depth=1
	s_or_b32 exec_lo, exec_lo, s23
.LBB261_640:                            ;   in Loop: Header=BB261_12 Depth=1
	s_or_b32 exec_lo, exec_lo, s22
.LBB261_641:                            ;   in Loop: Header=BB261_12 Depth=1
	s_or_b32 exec_lo, exec_lo, s21
	v_lshrrev_b32_e32 v3, 16, v5
	v_mov_b32_e32 v118, 0
	v_mov_b32_e32 v40, 0
	v_cmp_ne_u16_sdwa s7, v3, v4 src0_sel:BYTE_0 src1_sel:DWORD
	s_and_saveexec_b32 s21, s7
	s_cbranch_execz .LBB261_649
; %bb.642:                              ;   in Loop: Header=BB261_12 Depth=1
	v_cmp_ne_u16_sdwa s7, v3, v66 src0_sel:BYTE_0 src1_sel:DWORD
	v_mov_b32_e32 v40, 0x8000
	s_and_saveexec_b32 s22, s7
	s_cbranch_execz .LBB261_648
; %bb.643:                              ;   in Loop: Header=BB261_12 Depth=1
	v_bfe_u32 v8, v5, 16, 7
	v_mov_b32_e32 v40, 0x7c01
	s_mov_b32 s23, exec_lo
	v_cmpx_ne_u32_e32 0x7f, v8
	s_cbranch_execz .LBB261_647
; %bb.644:                              ;   in Loop: Header=BB261_12 Depth=1
	v_and_b32_e32 v6, 7, v3
	v_lshrrev_b32_e32 v7, 3, v8
	s_mov_b32 s24, exec_lo
	v_cmpx_gt_u32_e32 8, v8
; %bb.645:                              ;   in Loop: Header=BB261_12 Depth=1
	v_ffbh_u32_e32 v6, v6
	v_min_u32_e32 v8, 32, v6
	v_subrev_nc_u32_e32 v6, 28, v8
	v_lshlrev_b64 v[6:7], v6, v[3:4]
	v_sub_nc_u32_e32 v7, 29, v8
	v_and_b32_e32 v6, 7, v6
; %bb.646:                              ;   in Loop: Header=BB261_12 Depth=1
	s_or_b32 exec_lo, exec_lo, s24
	v_lshlrev_b32_e32 v3, 8, v3
	v_lshl_add_u32 v7, v7, 10, 0x2000
	v_lshlrev_b32_e32 v6, 7, v6
	v_and_b32_e32 v3, 0x8000, v3
	v_and_b32_e32 v7, 0xfc00, v7
	v_or3_b32 v40, v3, v7, v6
.LBB261_647:                            ;   in Loop: Header=BB261_12 Depth=1
	s_or_b32 exec_lo, exec_lo, s23
.LBB261_648:                            ;   in Loop: Header=BB261_12 Depth=1
	s_or_b32 exec_lo, exec_lo, s22
.LBB261_649:                            ;   in Loop: Header=BB261_12 Depth=1
	s_or_b32 exec_lo, exec_lo, s21
	s_mov_b32 s21, exec_lo
	v_cmpx_lt_u32_e32 0xffffff, v5
	s_cbranch_execz .LBB261_657
; %bb.650:                              ;   in Loop: Header=BB261_12 Depth=1
	v_lshrrev_b32_e32 v3, 24, v5
	v_bfrev_b32_e32 v118, 1
	s_mov_b32 s22, exec_lo
	v_cmpx_ne_u32_e32 0x80, v3
	s_cbranch_execz .LBB261_656
; %bb.651:                              ;   in Loop: Header=BB261_12 Depth=1
	v_and_b32_e32 v7, 0x7f, v3
	v_mov_b32_e32 v118, 0x7c010000
	s_mov_b32 s23, exec_lo
	v_cmpx_ne_u32_e32 0x7f, v7
	s_cbranch_execz .LBB261_655
; %bb.652:                              ;   in Loop: Header=BB261_12 Depth=1
	v_and_b32_e32 v5, 7, v3
	v_lshrrev_b32_e32 v6, 3, v7
	s_mov_b32 s24, exec_lo
	v_cmpx_gt_u32_e32 8, v7
; %bb.653:                              ;   in Loop: Header=BB261_12 Depth=1
	v_ffbh_u32_e32 v5, v5
	v_min_u32_e32 v7, 32, v5
	v_subrev_nc_u32_e32 v5, 28, v7
	v_lshlrev_b64 v[5:6], v5, v[3:4]
	v_sub_nc_u32_e32 v6, 29, v7
	v_and_b32_e32 v5, 7, v5
; %bb.654:                              ;   in Loop: Header=BB261_12 Depth=1
	s_or_b32 exec_lo, exec_lo, s24
	v_lshlrev_b32_e32 v3, 8, v3
	v_lshl_add_u32 v6, v6, 10, 0x2000
	v_lshlrev_b32_e32 v5, 23, v5
	v_and_or_b32 v3, 0x8000, v3, v6
	v_lshl_or_b32 v118, v3, 16, v5
.LBB261_655:                            ;   in Loop: Header=BB261_12 Depth=1
	s_or_b32 exec_lo, exec_lo, s23
.LBB261_656:                            ;   in Loop: Header=BB261_12 Depth=1
	s_or_b32 exec_lo, exec_lo, s22
.LBB261_657:                            ;   in Loop: Header=BB261_12 Depth=1
	s_or_b32 exec_lo, exec_lo, s21
	buffer_load_dword v3, off, s[0:3], s32 offset:192 ; 4-byte Folded Reload
	v_add_co_u32 v6, s7, 0xa00, v24
	v_add_co_ci_u32_e64 v7, null, 0, v25, s7
	v_mov_b32_e32 v53, 0
	v_mov_b32_e32 v116, 0
	s_waitcnt vmcnt(0)
	v_add_co_u32 v11, s7, v6, v3
	v_add_co_ci_u32_e64 v12, null, 0, v7, s7
	flat_load_dword v5, v[11:12]
	s_waitcnt vmcnt(0) lgkmcnt(0)
	v_cmp_ne_u16_sdwa s7, v5, v4 src0_sel:BYTE_0 src1_sel:DWORD
	s_and_saveexec_b32 s21, s7
	s_cbranch_execz .LBB261_665
; %bb.658:                              ;   in Loop: Header=BB261_12 Depth=1
	v_cmp_ne_u16_sdwa s7, v5, v66 src0_sel:BYTE_0 src1_sel:DWORD
	v_mov_b32_e32 v116, 0x8000
	s_and_saveexec_b32 s22, s7
	s_cbranch_execz .LBB261_664
; %bb.659:                              ;   in Loop: Header=BB261_12 Depth=1
	v_and_b32_e32 v11, 0x7f, v5
	v_mov_b32_e32 v116, 0x7c01
	s_mov_b32 s23, exec_lo
	v_cmpx_ne_u32_e32 0x7f, v11
	s_cbranch_execz .LBB261_663
; %bb.660:                              ;   in Loop: Header=BB261_12 Depth=1
	v_and_b32_e32 v3, 7, v5
	v_lshrrev_b32_e32 v8, 3, v11
	s_mov_b32 s24, exec_lo
	v_cmpx_gt_u32_e32 8, v11
; %bb.661:                              ;   in Loop: Header=BB261_12 Depth=1
	v_ffbh_u32_e32 v3, v3
	v_min_u32_e32 v3, 32, v3
	v_subrev_nc_u32_e32 v8, 28, v3
	v_lshlrev_b64 v[11:12], v8, v[5:6]
	v_sub_nc_u32_e32 v8, 29, v3
	v_and_b32_e32 v3, 7, v11
; %bb.662:                              ;   in Loop: Header=BB261_12 Depth=1
	s_or_b32 exec_lo, exec_lo, s24
	v_lshlrev_b32_e32 v11, 8, v5
	v_lshl_add_u32 v8, v8, 10, 0x2000
	v_lshlrev_b32_e32 v3, 7, v3
	v_and_b32_e32 v11, 0x8000, v11
	v_and_b32_e32 v8, 0xfc00, v8
	v_or3_b32 v116, v11, v8, v3
.LBB261_663:                            ;   in Loop: Header=BB261_12 Depth=1
	s_or_b32 exec_lo, exec_lo, s23
.LBB261_664:                            ;   in Loop: Header=BB261_12 Depth=1
	s_or_b32 exec_lo, exec_lo, s22
.LBB261_665:                            ;   in Loop: Header=BB261_12 Depth=1
	s_or_b32 exec_lo, exec_lo, s21
	v_lshrrev_b16 v3, 8, v5
	s_mov_b32 s21, exec_lo
	v_cmpx_ne_u16_e32 0, v3
	s_cbranch_execz .LBB261_673
; %bb.666:                              ;   in Loop: Header=BB261_12 Depth=1
	v_bfrev_b32_e32 v53, 1
	s_mov_b32 s22, exec_lo
	v_cmpx_ne_u16_e32 0x80, v3
	s_cbranch_execz .LBB261_672
; %bb.667:                              ;   in Loop: Header=BB261_12 Depth=1
	v_mov_b32_e32 v8, 0x7f
	v_mov_b32_e32 v53, 0x7c010000
	s_mov_b32 s23, exec_lo
	v_and_b32_sdwa v12, v3, v8 dst_sel:DWORD dst_unused:UNUSED_PAD src0_sel:WORD_0 src1_sel:DWORD
	v_cmpx_ne_u32_e32 0x7f, v12
	s_cbranch_execz .LBB261_671
; %bb.668:                              ;   in Loop: Header=BB261_12 Depth=1
	v_mov_b32_e32 v8, 7
	v_lshrrev_b32_e32 v11, 3, v12
	s_mov_b32 s24, exec_lo
	v_and_b32_sdwa v8, v3, v8 dst_sel:DWORD dst_unused:UNUSED_PAD src0_sel:WORD_0 src1_sel:DWORD
	v_cmpx_gt_u32_e32 8, v12
; %bb.669:                              ;   in Loop: Header=BB261_12 Depth=1
	v_ffbh_u32_e32 v8, v8
	v_min_u32_e32 v8, 32, v8
	v_subrev_nc_u32_e32 v11, 28, v8
	v_lshlrev_b64 v[12:13], v11, v[3:4]
	v_sub_nc_u32_e32 v11, 29, v8
	v_and_b32_e32 v8, 7, v12
; %bb.670:                              ;   in Loop: Header=BB261_12 Depth=1
	s_or_b32 exec_lo, exec_lo, s24
	v_mov_b32_e32 v12, 8
	v_lshl_add_u32 v11, v11, 10, 0x2000
	v_lshlrev_b32_e32 v8, 23, v8
	v_lshlrev_b32_sdwa v3, v12, v3 dst_sel:DWORD dst_unused:UNUSED_PAD src0_sel:DWORD src1_sel:WORD_0
	v_and_or_b32 v3, 0x8000, v3, v11
	v_lshl_or_b32 v53, v3, 16, v8
.LBB261_671:                            ;   in Loop: Header=BB261_12 Depth=1
	s_or_b32 exec_lo, exec_lo, s23
.LBB261_672:                            ;   in Loop: Header=BB261_12 Depth=1
	s_or_b32 exec_lo, exec_lo, s22
.LBB261_673:                            ;   in Loop: Header=BB261_12 Depth=1
	s_or_b32 exec_lo, exec_lo, s21
	v_lshrrev_b32_e32 v3, 16, v5
	v_mov_b32_e32 v46, 0
	v_mov_b32_e32 v56, 0
	v_cmp_ne_u16_sdwa s7, v3, v4 src0_sel:BYTE_0 src1_sel:DWORD
	s_and_saveexec_b32 s21, s7
	s_cbranch_execz .LBB261_681
; %bb.674:                              ;   in Loop: Header=BB261_12 Depth=1
	v_cmp_ne_u16_sdwa s7, v3, v66 src0_sel:BYTE_0 src1_sel:DWORD
	v_mov_b32_e32 v56, 0x8000
	s_and_saveexec_b32 s22, s7
	s_cbranch_execz .LBB261_680
; %bb.675:                              ;   in Loop: Header=BB261_12 Depth=1
	v_bfe_u32 v12, v5, 16, 7
	v_mov_b32_e32 v56, 0x7c01
	s_mov_b32 s23, exec_lo
	v_cmpx_ne_u32_e32 0x7f, v12
	s_cbranch_execz .LBB261_679
; %bb.676:                              ;   in Loop: Header=BB261_12 Depth=1
	v_and_b32_e32 v8, 7, v3
	v_lshrrev_b32_e32 v11, 3, v12
	s_mov_b32 s24, exec_lo
	v_cmpx_gt_u32_e32 8, v12
; %bb.677:                              ;   in Loop: Header=BB261_12 Depth=1
	v_ffbh_u32_e32 v8, v8
	v_min_u32_e32 v8, 32, v8
	v_subrev_nc_u32_e32 v11, 28, v8
	v_lshlrev_b64 v[12:13], v11, v[3:4]
	v_sub_nc_u32_e32 v11, 29, v8
	v_and_b32_e32 v8, 7, v12
; %bb.678:                              ;   in Loop: Header=BB261_12 Depth=1
	s_or_b32 exec_lo, exec_lo, s24
	v_lshlrev_b32_e32 v3, 8, v3
	v_lshl_add_u32 v11, v11, 10, 0x2000
	v_lshlrev_b32_e32 v8, 7, v8
	v_and_b32_e32 v3, 0x8000, v3
	v_and_b32_e32 v11, 0xfc00, v11
	v_or3_b32 v56, v3, v11, v8
.LBB261_679:                            ;   in Loop: Header=BB261_12 Depth=1
	s_or_b32 exec_lo, exec_lo, s23
.LBB261_680:                            ;   in Loop: Header=BB261_12 Depth=1
	s_or_b32 exec_lo, exec_lo, s22
.LBB261_681:                            ;   in Loop: Header=BB261_12 Depth=1
	s_or_b32 exec_lo, exec_lo, s21
	s_mov_b32 s21, exec_lo
	v_cmpx_lt_u32_e32 0xffffff, v5
	s_cbranch_execz .LBB261_689
; %bb.682:                              ;   in Loop: Header=BB261_12 Depth=1
	v_lshrrev_b32_e32 v3, 24, v5
	v_bfrev_b32_e32 v46, 1
	s_mov_b32 s22, exec_lo
	v_cmpx_ne_u32_e32 0x80, v3
	s_cbranch_execz .LBB261_688
; %bb.683:                              ;   in Loop: Header=BB261_12 Depth=1
	v_and_b32_e32 v11, 0x7f, v3
	v_mov_b32_e32 v46, 0x7c010000
	s_mov_b32 s23, exec_lo
	v_cmpx_ne_u32_e32 0x7f, v11
	s_cbranch_execz .LBB261_687
; %bb.684:                              ;   in Loop: Header=BB261_12 Depth=1
	v_and_b32_e32 v5, 7, v3
	v_lshrrev_b32_e32 v8, 3, v11
	s_mov_b32 s24, exec_lo
	v_cmpx_gt_u32_e32 8, v11
; %bb.685:                              ;   in Loop: Header=BB261_12 Depth=1
	v_ffbh_u32_e32 v5, v5
	v_min_u32_e32 v5, 32, v5
	v_subrev_nc_u32_e32 v8, 28, v5
	v_lshlrev_b64 v[11:12], v8, v[3:4]
	v_sub_nc_u32_e32 v8, 29, v5
	v_and_b32_e32 v5, 7, v11
; %bb.686:                              ;   in Loop: Header=BB261_12 Depth=1
	s_or_b32 exec_lo, exec_lo, s24
	v_lshlrev_b32_e32 v3, 8, v3
	v_lshl_add_u32 v8, v8, 10, 0x2000
	v_lshlrev_b32_e32 v5, 23, v5
	v_and_or_b32 v3, 0x8000, v3, v8
	v_lshl_or_b32 v46, v3, 16, v5
.LBB261_687:                            ;   in Loop: Header=BB261_12 Depth=1
	s_or_b32 exec_lo, exec_lo, s23
.LBB261_688:                            ;   in Loop: Header=BB261_12 Depth=1
	s_or_b32 exec_lo, exec_lo, s22
.LBB261_689:                            ;   in Loop: Header=BB261_12 Depth=1
	s_or_b32 exec_lo, exec_lo, s21
	buffer_load_dword v3, off, s[0:3], s32 offset:196 ; 4-byte Folded Reload
	v_mov_b32_e32 v36, 0
	v_mov_b32_e32 v98, 0
	s_waitcnt vmcnt(0)
	v_add_co_u32 v5, s7, v6, v3
	v_add_co_ci_u32_e64 v6, null, 0, v7, s7
	flat_load_dword v5, v[5:6]
	s_waitcnt vmcnt(0) lgkmcnt(0)
	v_cmp_ne_u16_sdwa s7, v5, v4 src0_sel:BYTE_0 src1_sel:DWORD
	s_and_saveexec_b32 s21, s7
	s_cbranch_execz .LBB261_697
; %bb.690:                              ;   in Loop: Header=BB261_12 Depth=1
	v_cmp_ne_u16_sdwa s7, v5, v66 src0_sel:BYTE_0 src1_sel:DWORD
	v_mov_b32_e32 v98, 0x8000
	s_and_saveexec_b32 s22, s7
	s_cbranch_execz .LBB261_696
; %bb.691:                              ;   in Loop: Header=BB261_12 Depth=1
	v_and_b32_e32 v7, 0x7f, v5
	v_mov_b32_e32 v98, 0x7c01
	s_mov_b32 s23, exec_lo
	v_cmpx_ne_u32_e32 0x7f, v7
	s_cbranch_execz .LBB261_695
; %bb.692:                              ;   in Loop: Header=BB261_12 Depth=1
	v_and_b32_e32 v3, 7, v5
	v_lshrrev_b32_e32 v6, 3, v7
	s_mov_b32 s24, exec_lo
	v_cmpx_gt_u32_e32 8, v7
; %bb.693:                              ;   in Loop: Header=BB261_12 Depth=1
	v_ffbh_u32_e32 v3, v3
	v_min_u32_e32 v3, 32, v3
	v_subrev_nc_u32_e32 v6, 28, v3
	v_lshlrev_b64 v[7:8], v6, v[5:6]
	v_sub_nc_u32_e32 v6, 29, v3
	v_and_b32_e32 v3, 7, v7
; %bb.694:                              ;   in Loop: Header=BB261_12 Depth=1
	s_or_b32 exec_lo, exec_lo, s24
	v_lshlrev_b32_e32 v7, 8, v5
	v_lshl_add_u32 v6, v6, 10, 0x2000
	v_lshlrev_b32_e32 v3, 7, v3
	v_and_b32_e32 v7, 0x8000, v7
	v_and_b32_e32 v6, 0xfc00, v6
	v_or3_b32 v98, v7, v6, v3
.LBB261_695:                            ;   in Loop: Header=BB261_12 Depth=1
	s_or_b32 exec_lo, exec_lo, s23
.LBB261_696:                            ;   in Loop: Header=BB261_12 Depth=1
	s_or_b32 exec_lo, exec_lo, s22
.LBB261_697:                            ;   in Loop: Header=BB261_12 Depth=1
	s_or_b32 exec_lo, exec_lo, s21
	v_lshrrev_b16 v3, 8, v5
	s_mov_b32 s21, exec_lo
	v_cmpx_ne_u16_e32 0, v3
	s_cbranch_execz .LBB261_705
; %bb.698:                              ;   in Loop: Header=BB261_12 Depth=1
	v_bfrev_b32_e32 v36, 1
	s_mov_b32 s22, exec_lo
	v_cmpx_ne_u16_e32 0x80, v3
	s_cbranch_execz .LBB261_704
; %bb.699:                              ;   in Loop: Header=BB261_12 Depth=1
	v_mov_b32_e32 v6, 0x7f
	v_mov_b32_e32 v36, 0x7c010000
	s_mov_b32 s23, exec_lo
	v_and_b32_sdwa v8, v3, v6 dst_sel:DWORD dst_unused:UNUSED_PAD src0_sel:WORD_0 src1_sel:DWORD
	v_cmpx_ne_u32_e32 0x7f, v8
	s_cbranch_execz .LBB261_703
; %bb.700:                              ;   in Loop: Header=BB261_12 Depth=1
	v_mov_b32_e32 v6, 7
	v_lshrrev_b32_e32 v7, 3, v8
	s_mov_b32 s24, exec_lo
	v_and_b32_sdwa v6, v3, v6 dst_sel:DWORD dst_unused:UNUSED_PAD src0_sel:WORD_0 src1_sel:DWORD
	v_cmpx_gt_u32_e32 8, v8
; %bb.701:                              ;   in Loop: Header=BB261_12 Depth=1
	v_ffbh_u32_e32 v6, v6
	v_min_u32_e32 v8, 32, v6
	v_subrev_nc_u32_e32 v6, 28, v8
	v_lshlrev_b64 v[6:7], v6, v[3:4]
	v_sub_nc_u32_e32 v7, 29, v8
	v_and_b32_e32 v6, 7, v6
; %bb.702:                              ;   in Loop: Header=BB261_12 Depth=1
	s_or_b32 exec_lo, exec_lo, s24
	v_mov_b32_e32 v8, 8
	v_lshl_add_u32 v7, v7, 10, 0x2000
	v_lshlrev_b32_e32 v6, 23, v6
	v_lshlrev_b32_sdwa v3, v8, v3 dst_sel:DWORD dst_unused:UNUSED_PAD src0_sel:DWORD src1_sel:WORD_0
	v_and_or_b32 v3, 0x8000, v3, v7
	v_lshl_or_b32 v36, v3, 16, v6
.LBB261_703:                            ;   in Loop: Header=BB261_12 Depth=1
	s_or_b32 exec_lo, exec_lo, s23
.LBB261_704:                            ;   in Loop: Header=BB261_12 Depth=1
	s_or_b32 exec_lo, exec_lo, s22
.LBB261_705:                            ;   in Loop: Header=BB261_12 Depth=1
	s_or_b32 exec_lo, exec_lo, s21
	v_lshrrev_b32_e32 v3, 16, v5
	v_mov_b32_e32 v42, 0
	v_mov_b32_e32 v44, 0
	v_cmp_ne_u16_sdwa s7, v3, v4 src0_sel:BYTE_0 src1_sel:DWORD
	s_and_saveexec_b32 s21, s7
	s_cbranch_execz .LBB261_713
; %bb.706:                              ;   in Loop: Header=BB261_12 Depth=1
	v_cmp_ne_u16_sdwa s7, v3, v66 src0_sel:BYTE_0 src1_sel:DWORD
	v_mov_b32_e32 v44, 0x8000
	s_and_saveexec_b32 s22, s7
	s_cbranch_execz .LBB261_712
; %bb.707:                              ;   in Loop: Header=BB261_12 Depth=1
	v_bfe_u32 v8, v5, 16, 7
	v_mov_b32_e32 v44, 0x7c01
	s_mov_b32 s23, exec_lo
	v_cmpx_ne_u32_e32 0x7f, v8
	s_cbranch_execz .LBB261_711
; %bb.708:                              ;   in Loop: Header=BB261_12 Depth=1
	v_and_b32_e32 v6, 7, v3
	v_lshrrev_b32_e32 v7, 3, v8
	s_mov_b32 s24, exec_lo
	v_cmpx_gt_u32_e32 8, v8
; %bb.709:                              ;   in Loop: Header=BB261_12 Depth=1
	v_ffbh_u32_e32 v6, v6
	v_min_u32_e32 v8, 32, v6
	v_subrev_nc_u32_e32 v6, 28, v8
	v_lshlrev_b64 v[6:7], v6, v[3:4]
	v_sub_nc_u32_e32 v7, 29, v8
	v_and_b32_e32 v6, 7, v6
; %bb.710:                              ;   in Loop: Header=BB261_12 Depth=1
	s_or_b32 exec_lo, exec_lo, s24
	v_lshlrev_b32_e32 v3, 8, v3
	v_lshl_add_u32 v7, v7, 10, 0x2000
	v_lshlrev_b32_e32 v6, 7, v6
	v_and_b32_e32 v3, 0x8000, v3
	v_and_b32_e32 v7, 0xfc00, v7
	v_or3_b32 v44, v3, v7, v6
.LBB261_711:                            ;   in Loop: Header=BB261_12 Depth=1
	s_or_b32 exec_lo, exec_lo, s23
.LBB261_712:                            ;   in Loop: Header=BB261_12 Depth=1
	s_or_b32 exec_lo, exec_lo, s22
.LBB261_713:                            ;   in Loop: Header=BB261_12 Depth=1
	s_or_b32 exec_lo, exec_lo, s21
	s_mov_b32 s21, exec_lo
	v_cmpx_lt_u32_e32 0xffffff, v5
	s_cbranch_execz .LBB261_721
; %bb.714:                              ;   in Loop: Header=BB261_12 Depth=1
	v_lshrrev_b32_e32 v3, 24, v5
	v_bfrev_b32_e32 v42, 1
	s_mov_b32 s22, exec_lo
	v_cmpx_ne_u32_e32 0x80, v3
	s_cbranch_execz .LBB261_720
; %bb.715:                              ;   in Loop: Header=BB261_12 Depth=1
	v_and_b32_e32 v7, 0x7f, v3
	v_mov_b32_e32 v42, 0x7c010000
	s_mov_b32 s23, exec_lo
	v_cmpx_ne_u32_e32 0x7f, v7
	s_cbranch_execz .LBB261_719
; %bb.716:                              ;   in Loop: Header=BB261_12 Depth=1
	v_and_b32_e32 v5, 7, v3
	v_lshrrev_b32_e32 v6, 3, v7
	s_mov_b32 s24, exec_lo
	v_cmpx_gt_u32_e32 8, v7
; %bb.717:                              ;   in Loop: Header=BB261_12 Depth=1
	v_ffbh_u32_e32 v5, v5
	v_min_u32_e32 v7, 32, v5
	v_subrev_nc_u32_e32 v5, 28, v7
	v_lshlrev_b64 v[5:6], v5, v[3:4]
	v_sub_nc_u32_e32 v6, 29, v7
	v_and_b32_e32 v5, 7, v5
; %bb.718:                              ;   in Loop: Header=BB261_12 Depth=1
	s_or_b32 exec_lo, exec_lo, s24
	v_lshlrev_b32_e32 v3, 8, v3
	v_lshl_add_u32 v6, v6, 10, 0x2000
	v_lshlrev_b32_e32 v5, 23, v5
	v_and_or_b32 v3, 0x8000, v3, v6
	v_lshl_or_b32 v42, v3, 16, v5
.LBB261_719:                            ;   in Loop: Header=BB261_12 Depth=1
	s_or_b32 exec_lo, exec_lo, s23
.LBB261_720:                            ;   in Loop: Header=BB261_12 Depth=1
	s_or_b32 exec_lo, exec_lo, s22
.LBB261_721:                            ;   in Loop: Header=BB261_12 Depth=1
	s_or_b32 exec_lo, exec_lo, s21
	buffer_load_dword v3, off, s[0:3], s32 offset:192 ; 4-byte Folded Reload
	v_add_co_u32 v6, s7, 0xb00, v24
	v_add_co_ci_u32_e64 v7, null, 0, v25, s7
	v_mov_b32_e32 v19, 0
	v_mov_b32_e32 v68, 0
	s_waitcnt vmcnt(0)
	v_add_co_u32 v11, s7, v6, v3
	v_add_co_ci_u32_e64 v12, null, 0, v7, s7
	flat_load_dword v5, v[11:12]
	s_waitcnt vmcnt(0) lgkmcnt(0)
	v_cmp_ne_u16_sdwa s7, v5, v4 src0_sel:BYTE_0 src1_sel:DWORD
	s_and_saveexec_b32 s21, s7
	s_cbranch_execz .LBB261_729
; %bb.722:                              ;   in Loop: Header=BB261_12 Depth=1
	v_cmp_ne_u16_sdwa s7, v5, v66 src0_sel:BYTE_0 src1_sel:DWORD
	v_mov_b32_e32 v68, 0x8000
	s_and_saveexec_b32 s22, s7
	s_cbranch_execz .LBB261_728
; %bb.723:                              ;   in Loop: Header=BB261_12 Depth=1
	v_and_b32_e32 v11, 0x7f, v5
	v_mov_b32_e32 v68, 0x7c01
	s_mov_b32 s23, exec_lo
	v_cmpx_ne_u32_e32 0x7f, v11
	s_cbranch_execz .LBB261_727
; %bb.724:                              ;   in Loop: Header=BB261_12 Depth=1
	v_and_b32_e32 v3, 7, v5
	v_lshrrev_b32_e32 v8, 3, v11
	s_mov_b32 s24, exec_lo
	v_cmpx_gt_u32_e32 8, v11
; %bb.725:                              ;   in Loop: Header=BB261_12 Depth=1
	v_ffbh_u32_e32 v3, v3
	v_min_u32_e32 v3, 32, v3
	v_subrev_nc_u32_e32 v8, 28, v3
	v_lshlrev_b64 v[11:12], v8, v[5:6]
	v_sub_nc_u32_e32 v8, 29, v3
	v_and_b32_e32 v3, 7, v11
; %bb.726:                              ;   in Loop: Header=BB261_12 Depth=1
	s_or_b32 exec_lo, exec_lo, s24
	v_lshlrev_b32_e32 v11, 8, v5
	v_lshl_add_u32 v8, v8, 10, 0x2000
	v_lshlrev_b32_e32 v3, 7, v3
	v_and_b32_e32 v11, 0x8000, v11
	v_and_b32_e32 v8, 0xfc00, v8
	v_or3_b32 v68, v11, v8, v3
.LBB261_727:                            ;   in Loop: Header=BB261_12 Depth=1
	s_or_b32 exec_lo, exec_lo, s23
.LBB261_728:                            ;   in Loop: Header=BB261_12 Depth=1
	s_or_b32 exec_lo, exec_lo, s22
.LBB261_729:                            ;   in Loop: Header=BB261_12 Depth=1
	s_or_b32 exec_lo, exec_lo, s21
	v_lshrrev_b16 v3, 8, v5
	s_mov_b32 s21, exec_lo
	v_cmpx_ne_u16_e32 0, v3
	s_cbranch_execz .LBB261_737
; %bb.730:                              ;   in Loop: Header=BB261_12 Depth=1
	v_bfrev_b32_e32 v19, 1
	s_mov_b32 s22, exec_lo
	v_cmpx_ne_u16_e32 0x80, v3
	s_cbranch_execz .LBB261_736
; %bb.731:                              ;   in Loop: Header=BB261_12 Depth=1
	v_mov_b32_e32 v8, 0x7f
	v_mov_b32_e32 v19, 0x7c010000
	s_mov_b32 s23, exec_lo
	v_and_b32_sdwa v12, v3, v8 dst_sel:DWORD dst_unused:UNUSED_PAD src0_sel:WORD_0 src1_sel:DWORD
	v_cmpx_ne_u32_e32 0x7f, v12
	s_cbranch_execz .LBB261_735
; %bb.732:                              ;   in Loop: Header=BB261_12 Depth=1
	v_mov_b32_e32 v8, 7
	v_lshrrev_b32_e32 v11, 3, v12
	s_mov_b32 s24, exec_lo
	v_and_b32_sdwa v8, v3, v8 dst_sel:DWORD dst_unused:UNUSED_PAD src0_sel:WORD_0 src1_sel:DWORD
	v_cmpx_gt_u32_e32 8, v12
; %bb.733:                              ;   in Loop: Header=BB261_12 Depth=1
	v_ffbh_u32_e32 v8, v8
	v_min_u32_e32 v8, 32, v8
	v_subrev_nc_u32_e32 v11, 28, v8
	v_lshlrev_b64 v[12:13], v11, v[3:4]
	v_sub_nc_u32_e32 v11, 29, v8
	v_and_b32_e32 v8, 7, v12
; %bb.734:                              ;   in Loop: Header=BB261_12 Depth=1
	s_or_b32 exec_lo, exec_lo, s24
	v_mov_b32_e32 v12, 8
	v_lshl_add_u32 v11, v11, 10, 0x2000
	v_lshlrev_b32_e32 v8, 23, v8
	v_lshlrev_b32_sdwa v3, v12, v3 dst_sel:DWORD dst_unused:UNUSED_PAD src0_sel:DWORD src1_sel:WORD_0
	v_and_or_b32 v3, 0x8000, v3, v11
	v_lshl_or_b32 v19, v3, 16, v8
.LBB261_735:                            ;   in Loop: Header=BB261_12 Depth=1
	s_or_b32 exec_lo, exec_lo, s23
.LBB261_736:                            ;   in Loop: Header=BB261_12 Depth=1
	s_or_b32 exec_lo, exec_lo, s22
.LBB261_737:                            ;   in Loop: Header=BB261_12 Depth=1
	s_or_b32 exec_lo, exec_lo, s21
	v_lshrrev_b32_e32 v3, 16, v5
	v_mov_b32_e32 v112, 0
	v_mov_b32_e32 v114, 0
	v_cmp_ne_u16_sdwa s7, v3, v4 src0_sel:BYTE_0 src1_sel:DWORD
	s_and_saveexec_b32 s21, s7
	s_cbranch_execz .LBB261_745
; %bb.738:                              ;   in Loop: Header=BB261_12 Depth=1
	v_cmp_ne_u16_sdwa s7, v3, v66 src0_sel:BYTE_0 src1_sel:DWORD
	v_mov_b32_e32 v114, 0x8000
	s_and_saveexec_b32 s22, s7
	s_cbranch_execz .LBB261_744
; %bb.739:                              ;   in Loop: Header=BB261_12 Depth=1
	v_bfe_u32 v12, v5, 16, 7
	v_mov_b32_e32 v114, 0x7c01
	s_mov_b32 s23, exec_lo
	v_cmpx_ne_u32_e32 0x7f, v12
	s_cbranch_execz .LBB261_743
; %bb.740:                              ;   in Loop: Header=BB261_12 Depth=1
	v_and_b32_e32 v8, 7, v3
	v_lshrrev_b32_e32 v11, 3, v12
	s_mov_b32 s24, exec_lo
	v_cmpx_gt_u32_e32 8, v12
; %bb.741:                              ;   in Loop: Header=BB261_12 Depth=1
	v_ffbh_u32_e32 v8, v8
	v_min_u32_e32 v8, 32, v8
	v_subrev_nc_u32_e32 v11, 28, v8
	v_lshlrev_b64 v[12:13], v11, v[3:4]
	v_sub_nc_u32_e32 v11, 29, v8
	v_and_b32_e32 v8, 7, v12
; %bb.742:                              ;   in Loop: Header=BB261_12 Depth=1
	s_or_b32 exec_lo, exec_lo, s24
	v_lshlrev_b32_e32 v3, 8, v3
	v_lshl_add_u32 v11, v11, 10, 0x2000
	v_lshlrev_b32_e32 v8, 7, v8
	v_and_b32_e32 v3, 0x8000, v3
	v_and_b32_e32 v11, 0xfc00, v11
	v_or3_b32 v114, v3, v11, v8
.LBB261_743:                            ;   in Loop: Header=BB261_12 Depth=1
	s_or_b32 exec_lo, exec_lo, s23
.LBB261_744:                            ;   in Loop: Header=BB261_12 Depth=1
	s_or_b32 exec_lo, exec_lo, s22
.LBB261_745:                            ;   in Loop: Header=BB261_12 Depth=1
	s_or_b32 exec_lo, exec_lo, s21
	s_mov_b32 s21, exec_lo
	v_cmpx_lt_u32_e32 0xffffff, v5
	s_cbranch_execz .LBB261_753
; %bb.746:                              ;   in Loop: Header=BB261_12 Depth=1
	v_lshrrev_b32_e32 v3, 24, v5
	v_bfrev_b32_e32 v112, 1
	s_mov_b32 s22, exec_lo
	v_cmpx_ne_u32_e32 0x80, v3
	s_cbranch_execz .LBB261_752
; %bb.747:                              ;   in Loop: Header=BB261_12 Depth=1
	v_and_b32_e32 v11, 0x7f, v3
	v_mov_b32_e32 v112, 0x7c010000
	s_mov_b32 s23, exec_lo
	v_cmpx_ne_u32_e32 0x7f, v11
	s_cbranch_execz .LBB261_751
; %bb.748:                              ;   in Loop: Header=BB261_12 Depth=1
	v_and_b32_e32 v5, 7, v3
	v_lshrrev_b32_e32 v8, 3, v11
	s_mov_b32 s24, exec_lo
	v_cmpx_gt_u32_e32 8, v11
; %bb.749:                              ;   in Loop: Header=BB261_12 Depth=1
	v_ffbh_u32_e32 v5, v5
	v_min_u32_e32 v5, 32, v5
	v_subrev_nc_u32_e32 v8, 28, v5
	v_lshlrev_b64 v[11:12], v8, v[3:4]
	v_sub_nc_u32_e32 v8, 29, v5
	v_and_b32_e32 v5, 7, v11
; %bb.750:                              ;   in Loop: Header=BB261_12 Depth=1
	s_or_b32 exec_lo, exec_lo, s24
	v_lshlrev_b32_e32 v3, 8, v3
	v_lshl_add_u32 v8, v8, 10, 0x2000
	v_lshlrev_b32_e32 v5, 23, v5
	v_and_or_b32 v3, 0x8000, v3, v8
	v_lshl_or_b32 v112, v3, 16, v5
.LBB261_751:                            ;   in Loop: Header=BB261_12 Depth=1
	s_or_b32 exec_lo, exec_lo, s23
.LBB261_752:                            ;   in Loop: Header=BB261_12 Depth=1
	s_or_b32 exec_lo, exec_lo, s22
.LBB261_753:                            ;   in Loop: Header=BB261_12 Depth=1
	s_or_b32 exec_lo, exec_lo, s21
	buffer_load_dword v3, off, s[0:3], s32 offset:196 ; 4-byte Folded Reload
	v_mov_b32_e32 v35, 0
	v_mov_b32_e32 v38, 0
	s_waitcnt vmcnt(0)
	v_add_co_u32 v5, s7, v6, v3
	v_add_co_ci_u32_e64 v6, null, 0, v7, s7
	flat_load_dword v5, v[5:6]
	s_waitcnt vmcnt(0) lgkmcnt(0)
	v_cmp_ne_u16_sdwa s7, v5, v4 src0_sel:BYTE_0 src1_sel:DWORD
	s_and_saveexec_b32 s21, s7
	s_cbranch_execz .LBB261_761
; %bb.754:                              ;   in Loop: Header=BB261_12 Depth=1
	v_cmp_ne_u16_sdwa s7, v5, v66 src0_sel:BYTE_0 src1_sel:DWORD
	v_mov_b32_e32 v38, 0x8000
	s_and_saveexec_b32 s22, s7
	s_cbranch_execz .LBB261_760
; %bb.755:                              ;   in Loop: Header=BB261_12 Depth=1
	v_and_b32_e32 v7, 0x7f, v5
	v_mov_b32_e32 v38, 0x7c01
	s_mov_b32 s23, exec_lo
	v_cmpx_ne_u32_e32 0x7f, v7
	s_cbranch_execz .LBB261_759
; %bb.756:                              ;   in Loop: Header=BB261_12 Depth=1
	v_and_b32_e32 v3, 7, v5
	v_lshrrev_b32_e32 v6, 3, v7
	s_mov_b32 s24, exec_lo
	v_cmpx_gt_u32_e32 8, v7
; %bb.757:                              ;   in Loop: Header=BB261_12 Depth=1
	v_ffbh_u32_e32 v3, v3
	v_min_u32_e32 v3, 32, v3
	v_subrev_nc_u32_e32 v6, 28, v3
	v_lshlrev_b64 v[7:8], v6, v[5:6]
	v_sub_nc_u32_e32 v6, 29, v3
	v_and_b32_e32 v3, 7, v7
; %bb.758:                              ;   in Loop: Header=BB261_12 Depth=1
	s_or_b32 exec_lo, exec_lo, s24
	v_lshlrev_b32_e32 v7, 8, v5
	v_lshl_add_u32 v6, v6, 10, 0x2000
	v_lshlrev_b32_e32 v3, 7, v3
	v_and_b32_e32 v7, 0x8000, v7
	v_and_b32_e32 v6, 0xfc00, v6
	v_or3_b32 v38, v7, v6, v3
.LBB261_759:                            ;   in Loop: Header=BB261_12 Depth=1
	s_or_b32 exec_lo, exec_lo, s23
.LBB261_760:                            ;   in Loop: Header=BB261_12 Depth=1
	s_or_b32 exec_lo, exec_lo, s22
.LBB261_761:                            ;   in Loop: Header=BB261_12 Depth=1
	s_or_b32 exec_lo, exec_lo, s21
	v_lshrrev_b16 v3, 8, v5
	s_mov_b32 s21, exec_lo
	v_cmpx_ne_u16_e32 0, v3
	s_cbranch_execz .LBB261_769
; %bb.762:                              ;   in Loop: Header=BB261_12 Depth=1
	v_bfrev_b32_e32 v35, 1
	s_mov_b32 s22, exec_lo
	v_cmpx_ne_u16_e32 0x80, v3
	s_cbranch_execz .LBB261_768
; %bb.763:                              ;   in Loop: Header=BB261_12 Depth=1
	v_mov_b32_e32 v6, 0x7f
	v_mov_b32_e32 v35, 0x7c010000
	s_mov_b32 s23, exec_lo
	v_and_b32_sdwa v8, v3, v6 dst_sel:DWORD dst_unused:UNUSED_PAD src0_sel:WORD_0 src1_sel:DWORD
	v_cmpx_ne_u32_e32 0x7f, v8
	s_cbranch_execz .LBB261_767
; %bb.764:                              ;   in Loop: Header=BB261_12 Depth=1
	v_mov_b32_e32 v6, 7
	v_lshrrev_b32_e32 v7, 3, v8
	s_mov_b32 s24, exec_lo
	v_and_b32_sdwa v6, v3, v6 dst_sel:DWORD dst_unused:UNUSED_PAD src0_sel:WORD_0 src1_sel:DWORD
	v_cmpx_gt_u32_e32 8, v8
; %bb.765:                              ;   in Loop: Header=BB261_12 Depth=1
	v_ffbh_u32_e32 v6, v6
	v_min_u32_e32 v8, 32, v6
	v_subrev_nc_u32_e32 v6, 28, v8
	v_lshlrev_b64 v[6:7], v6, v[3:4]
	v_sub_nc_u32_e32 v7, 29, v8
	v_and_b32_e32 v6, 7, v6
; %bb.766:                              ;   in Loop: Header=BB261_12 Depth=1
	s_or_b32 exec_lo, exec_lo, s24
	v_mov_b32_e32 v8, 8
	v_lshl_add_u32 v7, v7, 10, 0x2000
	v_lshlrev_b32_e32 v6, 23, v6
	v_lshlrev_b32_sdwa v3, v8, v3 dst_sel:DWORD dst_unused:UNUSED_PAD src0_sel:DWORD src1_sel:WORD_0
	v_and_or_b32 v3, 0x8000, v3, v7
	v_lshl_or_b32 v35, v3, 16, v6
.LBB261_767:                            ;   in Loop: Header=BB261_12 Depth=1
	s_or_b32 exec_lo, exec_lo, s23
.LBB261_768:                            ;   in Loop: Header=BB261_12 Depth=1
	s_or_b32 exec_lo, exec_lo, s22
.LBB261_769:                            ;   in Loop: Header=BB261_12 Depth=1
	s_or_b32 exec_lo, exec_lo, s21
	v_lshrrev_b32_e32 v3, 16, v5
	v_mov_b32_e32 v81, 0
	v_mov_b32_e32 v82, 0
	v_cmp_ne_u16_sdwa s7, v3, v4 src0_sel:BYTE_0 src1_sel:DWORD
	s_and_saveexec_b32 s21, s7
	s_cbranch_execz .LBB261_777
; %bb.770:                              ;   in Loop: Header=BB261_12 Depth=1
	v_cmp_ne_u16_sdwa s7, v3, v66 src0_sel:BYTE_0 src1_sel:DWORD
	v_mov_b32_e32 v82, 0x8000
	s_and_saveexec_b32 s22, s7
	s_cbranch_execz .LBB261_776
; %bb.771:                              ;   in Loop: Header=BB261_12 Depth=1
	v_bfe_u32 v8, v5, 16, 7
	v_mov_b32_e32 v82, 0x7c01
	s_mov_b32 s23, exec_lo
	v_cmpx_ne_u32_e32 0x7f, v8
	s_cbranch_execz .LBB261_775
; %bb.772:                              ;   in Loop: Header=BB261_12 Depth=1
	v_and_b32_e32 v6, 7, v3
	v_lshrrev_b32_e32 v7, 3, v8
	s_mov_b32 s24, exec_lo
	v_cmpx_gt_u32_e32 8, v8
; %bb.773:                              ;   in Loop: Header=BB261_12 Depth=1
	v_ffbh_u32_e32 v6, v6
	v_min_u32_e32 v8, 32, v6
	v_subrev_nc_u32_e32 v6, 28, v8
	v_lshlrev_b64 v[6:7], v6, v[3:4]
	v_sub_nc_u32_e32 v7, 29, v8
	v_and_b32_e32 v6, 7, v6
; %bb.774:                              ;   in Loop: Header=BB261_12 Depth=1
	s_or_b32 exec_lo, exec_lo, s24
	v_lshlrev_b32_e32 v3, 8, v3
	v_lshl_add_u32 v7, v7, 10, 0x2000
	v_lshlrev_b32_e32 v6, 7, v6
	v_and_b32_e32 v3, 0x8000, v3
	v_and_b32_e32 v7, 0xfc00, v7
	v_or3_b32 v82, v3, v7, v6
.LBB261_775:                            ;   in Loop: Header=BB261_12 Depth=1
	s_or_b32 exec_lo, exec_lo, s23
.LBB261_776:                            ;   in Loop: Header=BB261_12 Depth=1
	s_or_b32 exec_lo, exec_lo, s22
.LBB261_777:                            ;   in Loop: Header=BB261_12 Depth=1
	s_or_b32 exec_lo, exec_lo, s21
	s_mov_b32 s21, exec_lo
	v_cmpx_lt_u32_e32 0xffffff, v5
	s_cbranch_execz .LBB261_785
; %bb.778:                              ;   in Loop: Header=BB261_12 Depth=1
	v_lshrrev_b32_e32 v3, 24, v5
	v_bfrev_b32_e32 v81, 1
	s_mov_b32 s22, exec_lo
	v_cmpx_ne_u32_e32 0x80, v3
	s_cbranch_execz .LBB261_784
; %bb.779:                              ;   in Loop: Header=BB261_12 Depth=1
	v_and_b32_e32 v7, 0x7f, v3
	v_mov_b32_e32 v81, 0x7c010000
	s_mov_b32 s23, exec_lo
	v_cmpx_ne_u32_e32 0x7f, v7
	s_cbranch_execz .LBB261_783
; %bb.780:                              ;   in Loop: Header=BB261_12 Depth=1
	v_and_b32_e32 v5, 7, v3
	v_lshrrev_b32_e32 v6, 3, v7
	s_mov_b32 s24, exec_lo
	v_cmpx_gt_u32_e32 8, v7
; %bb.781:                              ;   in Loop: Header=BB261_12 Depth=1
	v_ffbh_u32_e32 v5, v5
	v_min_u32_e32 v7, 32, v5
	v_subrev_nc_u32_e32 v5, 28, v7
	v_lshlrev_b64 v[5:6], v5, v[3:4]
	v_sub_nc_u32_e32 v6, 29, v7
	v_and_b32_e32 v5, 7, v5
; %bb.782:                              ;   in Loop: Header=BB261_12 Depth=1
	s_or_b32 exec_lo, exec_lo, s24
	v_lshlrev_b32_e32 v3, 8, v3
	v_lshl_add_u32 v6, v6, 10, 0x2000
	v_lshlrev_b32_e32 v5, 23, v5
	v_and_or_b32 v3, 0x8000, v3, v6
	v_lshl_or_b32 v81, v3, 16, v5
.LBB261_783:                            ;   in Loop: Header=BB261_12 Depth=1
	s_or_b32 exec_lo, exec_lo, s23
.LBB261_784:                            ;   in Loop: Header=BB261_12 Depth=1
	s_or_b32 exec_lo, exec_lo, s22
.LBB261_785:                            ;   in Loop: Header=BB261_12 Depth=1
	s_or_b32 exec_lo, exec_lo, s21
	buffer_load_dword v3, off, s[0:3], s32 offset:192 ; 4-byte Folded Reload
	v_add_co_u32 v6, s7, 0xc00, v24
	v_add_co_ci_u32_e64 v7, null, 0, v25, s7
	v_mov_b32_e32 v20, 0
	v_mov_b32_e32 v21, 0
	s_waitcnt vmcnt(0)
	v_add_co_u32 v11, s7, v6, v3
	v_add_co_ci_u32_e64 v12, null, 0, v7, s7
	flat_load_dword v5, v[11:12]
	s_waitcnt vmcnt(0) lgkmcnt(0)
	v_cmp_ne_u16_sdwa s7, v5, v4 src0_sel:BYTE_0 src1_sel:DWORD
	s_and_saveexec_b32 s21, s7
	s_cbranch_execz .LBB261_793
; %bb.786:                              ;   in Loop: Header=BB261_12 Depth=1
	v_cmp_ne_u16_sdwa s7, v5, v66 src0_sel:BYTE_0 src1_sel:DWORD
	v_mov_b32_e32 v21, 0x8000
	s_and_saveexec_b32 s22, s7
	s_cbranch_execz .LBB261_792
; %bb.787:                              ;   in Loop: Header=BB261_12 Depth=1
	v_and_b32_e32 v11, 0x7f, v5
	v_mov_b32_e32 v21, 0x7c01
	s_mov_b32 s23, exec_lo
	v_cmpx_ne_u32_e32 0x7f, v11
	s_cbranch_execz .LBB261_791
; %bb.788:                              ;   in Loop: Header=BB261_12 Depth=1
	v_and_b32_e32 v3, 7, v5
	v_lshrrev_b32_e32 v8, 3, v11
	s_mov_b32 s24, exec_lo
	v_cmpx_gt_u32_e32 8, v11
; %bb.789:                              ;   in Loop: Header=BB261_12 Depth=1
	v_ffbh_u32_e32 v3, v3
	v_min_u32_e32 v3, 32, v3
	v_subrev_nc_u32_e32 v8, 28, v3
	v_lshlrev_b64 v[11:12], v8, v[5:6]
	v_sub_nc_u32_e32 v8, 29, v3
	v_and_b32_e32 v3, 7, v11
; %bb.790:                              ;   in Loop: Header=BB261_12 Depth=1
	s_or_b32 exec_lo, exec_lo, s24
	v_lshlrev_b32_e32 v11, 8, v5
	v_lshl_add_u32 v8, v8, 10, 0x2000
	v_lshlrev_b32_e32 v3, 7, v3
	v_and_b32_e32 v11, 0x8000, v11
	v_and_b32_e32 v8, 0xfc00, v8
	v_or3_b32 v21, v11, v8, v3
.LBB261_791:                            ;   in Loop: Header=BB261_12 Depth=1
	s_or_b32 exec_lo, exec_lo, s23
.LBB261_792:                            ;   in Loop: Header=BB261_12 Depth=1
	s_or_b32 exec_lo, exec_lo, s22
.LBB261_793:                            ;   in Loop: Header=BB261_12 Depth=1
	s_or_b32 exec_lo, exec_lo, s21
	v_lshrrev_b16 v3, 8, v5
	s_mov_b32 s21, exec_lo
	v_cmpx_ne_u16_e32 0, v3
	s_cbranch_execz .LBB261_801
; %bb.794:                              ;   in Loop: Header=BB261_12 Depth=1
	v_bfrev_b32_e32 v20, 1
	s_mov_b32 s22, exec_lo
	v_cmpx_ne_u16_e32 0x80, v3
	s_cbranch_execz .LBB261_800
; %bb.795:                              ;   in Loop: Header=BB261_12 Depth=1
	v_mov_b32_e32 v8, 0x7f
	v_mov_b32_e32 v20, 0x7c010000
	s_mov_b32 s23, exec_lo
	v_and_b32_sdwa v12, v3, v8 dst_sel:DWORD dst_unused:UNUSED_PAD src0_sel:WORD_0 src1_sel:DWORD
	v_cmpx_ne_u32_e32 0x7f, v12
	s_cbranch_execz .LBB261_799
; %bb.796:                              ;   in Loop: Header=BB261_12 Depth=1
	v_mov_b32_e32 v8, 7
	v_lshrrev_b32_e32 v11, 3, v12
	s_mov_b32 s24, exec_lo
	v_and_b32_sdwa v8, v3, v8 dst_sel:DWORD dst_unused:UNUSED_PAD src0_sel:WORD_0 src1_sel:DWORD
	v_cmpx_gt_u32_e32 8, v12
; %bb.797:                              ;   in Loop: Header=BB261_12 Depth=1
	v_ffbh_u32_e32 v8, v8
	v_min_u32_e32 v8, 32, v8
	v_subrev_nc_u32_e32 v11, 28, v8
	v_lshlrev_b64 v[12:13], v11, v[3:4]
	v_sub_nc_u32_e32 v11, 29, v8
	v_and_b32_e32 v8, 7, v12
; %bb.798:                              ;   in Loop: Header=BB261_12 Depth=1
	s_or_b32 exec_lo, exec_lo, s24
	v_mov_b32_e32 v12, 8
	v_lshl_add_u32 v11, v11, 10, 0x2000
	v_lshlrev_b32_e32 v8, 23, v8
	v_lshlrev_b32_sdwa v3, v12, v3 dst_sel:DWORD dst_unused:UNUSED_PAD src0_sel:DWORD src1_sel:WORD_0
	v_and_or_b32 v3, 0x8000, v3, v11
	v_lshl_or_b32 v20, v3, 16, v8
.LBB261_799:                            ;   in Loop: Header=BB261_12 Depth=1
	s_or_b32 exec_lo, exec_lo, s23
.LBB261_800:                            ;   in Loop: Header=BB261_12 Depth=1
	s_or_b32 exec_lo, exec_lo, s22
.LBB261_801:                            ;   in Loop: Header=BB261_12 Depth=1
	s_or_b32 exec_lo, exec_lo, s21
	v_lshrrev_b32_e32 v3, 16, v5
	v_mov_b32_e32 v52, 0
	v_mov_b32_e32 v86, 0
	v_cmp_ne_u16_sdwa s7, v3, v4 src0_sel:BYTE_0 src1_sel:DWORD
	s_and_saveexec_b32 s21, s7
	s_cbranch_execz .LBB261_809
; %bb.802:                              ;   in Loop: Header=BB261_12 Depth=1
	v_cmp_ne_u16_sdwa s7, v3, v66 src0_sel:BYTE_0 src1_sel:DWORD
	v_mov_b32_e32 v86, 0x8000
	s_and_saveexec_b32 s22, s7
	s_cbranch_execz .LBB261_808
; %bb.803:                              ;   in Loop: Header=BB261_12 Depth=1
	v_bfe_u32 v12, v5, 16, 7
	v_mov_b32_e32 v86, 0x7c01
	s_mov_b32 s23, exec_lo
	v_cmpx_ne_u32_e32 0x7f, v12
	s_cbranch_execz .LBB261_807
; %bb.804:                              ;   in Loop: Header=BB261_12 Depth=1
	v_and_b32_e32 v8, 7, v3
	v_lshrrev_b32_e32 v11, 3, v12
	s_mov_b32 s24, exec_lo
	v_cmpx_gt_u32_e32 8, v12
; %bb.805:                              ;   in Loop: Header=BB261_12 Depth=1
	v_ffbh_u32_e32 v8, v8
	v_min_u32_e32 v8, 32, v8
	v_subrev_nc_u32_e32 v11, 28, v8
	v_lshlrev_b64 v[12:13], v11, v[3:4]
	v_sub_nc_u32_e32 v11, 29, v8
	v_and_b32_e32 v8, 7, v12
; %bb.806:                              ;   in Loop: Header=BB261_12 Depth=1
	s_or_b32 exec_lo, exec_lo, s24
	v_lshlrev_b32_e32 v3, 8, v3
	v_lshl_add_u32 v11, v11, 10, 0x2000
	v_lshlrev_b32_e32 v8, 7, v8
	v_and_b32_e32 v3, 0x8000, v3
	v_and_b32_e32 v11, 0xfc00, v11
	v_or3_b32 v86, v3, v11, v8
.LBB261_807:                            ;   in Loop: Header=BB261_12 Depth=1
	s_or_b32 exec_lo, exec_lo, s23
.LBB261_808:                            ;   in Loop: Header=BB261_12 Depth=1
	s_or_b32 exec_lo, exec_lo, s22
.LBB261_809:                            ;   in Loop: Header=BB261_12 Depth=1
	s_or_b32 exec_lo, exec_lo, s21
	s_mov_b32 s21, exec_lo
	v_cmpx_lt_u32_e32 0xffffff, v5
	s_cbranch_execz .LBB261_817
; %bb.810:                              ;   in Loop: Header=BB261_12 Depth=1
	v_lshrrev_b32_e32 v3, 24, v5
	v_bfrev_b32_e32 v52, 1
	s_mov_b32 s22, exec_lo
	v_cmpx_ne_u32_e32 0x80, v3
	s_cbranch_execz .LBB261_816
; %bb.811:                              ;   in Loop: Header=BB261_12 Depth=1
	v_and_b32_e32 v11, 0x7f, v3
	v_mov_b32_e32 v52, 0x7c010000
	s_mov_b32 s23, exec_lo
	v_cmpx_ne_u32_e32 0x7f, v11
	s_cbranch_execz .LBB261_815
; %bb.812:                              ;   in Loop: Header=BB261_12 Depth=1
	v_and_b32_e32 v5, 7, v3
	v_lshrrev_b32_e32 v8, 3, v11
	s_mov_b32 s24, exec_lo
	v_cmpx_gt_u32_e32 8, v11
; %bb.813:                              ;   in Loop: Header=BB261_12 Depth=1
	v_ffbh_u32_e32 v5, v5
	v_min_u32_e32 v5, 32, v5
	v_subrev_nc_u32_e32 v8, 28, v5
	v_lshlrev_b64 v[11:12], v8, v[3:4]
	v_sub_nc_u32_e32 v8, 29, v5
	v_and_b32_e32 v5, 7, v11
; %bb.814:                              ;   in Loop: Header=BB261_12 Depth=1
	s_or_b32 exec_lo, exec_lo, s24
	v_lshlrev_b32_e32 v3, 8, v3
	v_lshl_add_u32 v8, v8, 10, 0x2000
	v_lshlrev_b32_e32 v5, 23, v5
	v_and_or_b32 v3, 0x8000, v3, v8
	v_lshl_or_b32 v52, v3, 16, v5
.LBB261_815:                            ;   in Loop: Header=BB261_12 Depth=1
	s_or_b32 exec_lo, exec_lo, s23
.LBB261_816:                            ;   in Loop: Header=BB261_12 Depth=1
	s_or_b32 exec_lo, exec_lo, s22
.LBB261_817:                            ;   in Loop: Header=BB261_12 Depth=1
	s_or_b32 exec_lo, exec_lo, s21
	buffer_load_dword v3, off, s[0:3], s32 offset:196 ; 4-byte Folded Reload
	v_mov_b32_e32 v14, 0
	v_mov_b32_e32 v26, 0
	s_waitcnt vmcnt(0)
	v_add_co_u32 v5, s7, v6, v3
	v_add_co_ci_u32_e64 v6, null, 0, v7, s7
	flat_load_dword v5, v[5:6]
	s_waitcnt vmcnt(0) lgkmcnt(0)
	v_cmp_ne_u16_sdwa s7, v5, v4 src0_sel:BYTE_0 src1_sel:DWORD
	s_and_saveexec_b32 s21, s7
	s_cbranch_execz .LBB261_825
; %bb.818:                              ;   in Loop: Header=BB261_12 Depth=1
	v_cmp_ne_u16_sdwa s7, v5, v66 src0_sel:BYTE_0 src1_sel:DWORD
	v_mov_b32_e32 v26, 0x8000
	s_and_saveexec_b32 s22, s7
	s_cbranch_execz .LBB261_824
; %bb.819:                              ;   in Loop: Header=BB261_12 Depth=1
	v_and_b32_e32 v7, 0x7f, v5
	v_mov_b32_e32 v26, 0x7c01
	s_mov_b32 s23, exec_lo
	v_cmpx_ne_u32_e32 0x7f, v7
	s_cbranch_execz .LBB261_823
; %bb.820:                              ;   in Loop: Header=BB261_12 Depth=1
	v_and_b32_e32 v3, 7, v5
	v_lshrrev_b32_e32 v6, 3, v7
	s_mov_b32 s24, exec_lo
	v_cmpx_gt_u32_e32 8, v7
; %bb.821:                              ;   in Loop: Header=BB261_12 Depth=1
	v_ffbh_u32_e32 v3, v3
	v_min_u32_e32 v3, 32, v3
	v_subrev_nc_u32_e32 v6, 28, v3
	v_lshlrev_b64 v[7:8], v6, v[5:6]
	v_sub_nc_u32_e32 v6, 29, v3
	v_and_b32_e32 v3, 7, v7
; %bb.822:                              ;   in Loop: Header=BB261_12 Depth=1
	s_or_b32 exec_lo, exec_lo, s24
	v_lshlrev_b32_e32 v7, 8, v5
	v_lshl_add_u32 v6, v6, 10, 0x2000
	v_lshlrev_b32_e32 v3, 7, v3
	v_and_b32_e32 v7, 0x8000, v7
	v_and_b32_e32 v6, 0xfc00, v6
	v_or3_b32 v26, v7, v6, v3
.LBB261_823:                            ;   in Loop: Header=BB261_12 Depth=1
	s_or_b32 exec_lo, exec_lo, s23
.LBB261_824:                            ;   in Loop: Header=BB261_12 Depth=1
	s_or_b32 exec_lo, exec_lo, s22
.LBB261_825:                            ;   in Loop: Header=BB261_12 Depth=1
	s_or_b32 exec_lo, exec_lo, s21
	v_lshrrev_b16 v3, 8, v5
	s_mov_b32 s21, exec_lo
	v_cmpx_ne_u16_e32 0, v3
	s_cbranch_execz .LBB261_833
; %bb.826:                              ;   in Loop: Header=BB261_12 Depth=1
	v_bfrev_b32_e32 v14, 1
	s_mov_b32 s22, exec_lo
	v_cmpx_ne_u16_e32 0x80, v3
	s_cbranch_execz .LBB261_832
; %bb.827:                              ;   in Loop: Header=BB261_12 Depth=1
	v_mov_b32_e32 v6, 0x7f
	v_mov_b32_e32 v14, 0x7c010000
	s_mov_b32 s23, exec_lo
	v_and_b32_sdwa v8, v3, v6 dst_sel:DWORD dst_unused:UNUSED_PAD src0_sel:WORD_0 src1_sel:DWORD
	v_cmpx_ne_u32_e32 0x7f, v8
	s_cbranch_execz .LBB261_831
; %bb.828:                              ;   in Loop: Header=BB261_12 Depth=1
	v_mov_b32_e32 v6, 7
	v_lshrrev_b32_e32 v7, 3, v8
	s_mov_b32 s24, exec_lo
	v_and_b32_sdwa v6, v3, v6 dst_sel:DWORD dst_unused:UNUSED_PAD src0_sel:WORD_0 src1_sel:DWORD
	v_cmpx_gt_u32_e32 8, v8
; %bb.829:                              ;   in Loop: Header=BB261_12 Depth=1
	v_ffbh_u32_e32 v6, v6
	v_min_u32_e32 v8, 32, v6
	v_subrev_nc_u32_e32 v6, 28, v8
	v_lshlrev_b64 v[6:7], v6, v[3:4]
	v_sub_nc_u32_e32 v7, 29, v8
	v_and_b32_e32 v6, 7, v6
; %bb.830:                              ;   in Loop: Header=BB261_12 Depth=1
	s_or_b32 exec_lo, exec_lo, s24
	v_mov_b32_e32 v8, 8
	v_lshl_add_u32 v7, v7, 10, 0x2000
	v_lshlrev_b32_e32 v6, 23, v6
	v_lshlrev_b32_sdwa v3, v8, v3 dst_sel:DWORD dst_unused:UNUSED_PAD src0_sel:DWORD src1_sel:WORD_0
	v_and_or_b32 v3, 0x8000, v3, v7
	v_lshl_or_b32 v14, v3, 16, v6
.LBB261_831:                            ;   in Loop: Header=BB261_12 Depth=1
	s_or_b32 exec_lo, exec_lo, s23
.LBB261_832:                            ;   in Loop: Header=BB261_12 Depth=1
	s_or_b32 exec_lo, exec_lo, s22
.LBB261_833:                            ;   in Loop: Header=BB261_12 Depth=1
	s_or_b32 exec_lo, exec_lo, s21
	v_lshrrev_b32_e32 v3, 16, v5
	v_mov_b32_e32 v67, 0
	v_mov_b32_e32 v71, 0
	v_cmp_ne_u16_sdwa s7, v3, v4 src0_sel:BYTE_0 src1_sel:DWORD
	s_and_saveexec_b32 s21, s7
	s_cbranch_execz .LBB261_841
; %bb.834:                              ;   in Loop: Header=BB261_12 Depth=1
	v_cmp_ne_u16_sdwa s7, v3, v66 src0_sel:BYTE_0 src1_sel:DWORD
	v_mov_b32_e32 v71, 0x8000
	s_and_saveexec_b32 s22, s7
	s_cbranch_execz .LBB261_840
; %bb.835:                              ;   in Loop: Header=BB261_12 Depth=1
	v_bfe_u32 v8, v5, 16, 7
	v_mov_b32_e32 v71, 0x7c01
	s_mov_b32 s23, exec_lo
	v_cmpx_ne_u32_e32 0x7f, v8
	s_cbranch_execz .LBB261_839
; %bb.836:                              ;   in Loop: Header=BB261_12 Depth=1
	v_and_b32_e32 v6, 7, v3
	v_lshrrev_b32_e32 v7, 3, v8
	s_mov_b32 s24, exec_lo
	v_cmpx_gt_u32_e32 8, v8
; %bb.837:                              ;   in Loop: Header=BB261_12 Depth=1
	v_ffbh_u32_e32 v6, v6
	v_min_u32_e32 v8, 32, v6
	v_subrev_nc_u32_e32 v6, 28, v8
	v_lshlrev_b64 v[6:7], v6, v[3:4]
	v_sub_nc_u32_e32 v7, 29, v8
	v_and_b32_e32 v6, 7, v6
; %bb.838:                              ;   in Loop: Header=BB261_12 Depth=1
	s_or_b32 exec_lo, exec_lo, s24
	v_lshlrev_b32_e32 v3, 8, v3
	v_lshl_add_u32 v7, v7, 10, 0x2000
	v_lshlrev_b32_e32 v6, 7, v6
	v_and_b32_e32 v3, 0x8000, v3
	v_and_b32_e32 v7, 0xfc00, v7
	v_or3_b32 v71, v3, v7, v6
.LBB261_839:                            ;   in Loop: Header=BB261_12 Depth=1
	s_or_b32 exec_lo, exec_lo, s23
.LBB261_840:                            ;   in Loop: Header=BB261_12 Depth=1
	s_or_b32 exec_lo, exec_lo, s22
.LBB261_841:                            ;   in Loop: Header=BB261_12 Depth=1
	s_or_b32 exec_lo, exec_lo, s21
	s_mov_b32 s21, exec_lo
	v_cmpx_lt_u32_e32 0xffffff, v5
	s_cbranch_execz .LBB261_849
; %bb.842:                              ;   in Loop: Header=BB261_12 Depth=1
	v_lshrrev_b32_e32 v3, 24, v5
	v_bfrev_b32_e32 v67, 1
	s_mov_b32 s22, exec_lo
	v_cmpx_ne_u32_e32 0x80, v3
	s_cbranch_execz .LBB261_848
; %bb.843:                              ;   in Loop: Header=BB261_12 Depth=1
	v_and_b32_e32 v7, 0x7f, v3
	v_mov_b32_e32 v67, 0x7c010000
	s_mov_b32 s23, exec_lo
	v_cmpx_ne_u32_e32 0x7f, v7
	s_cbranch_execz .LBB261_847
; %bb.844:                              ;   in Loop: Header=BB261_12 Depth=1
	v_and_b32_e32 v5, 7, v3
	v_lshrrev_b32_e32 v6, 3, v7
	s_mov_b32 s24, exec_lo
	v_cmpx_gt_u32_e32 8, v7
; %bb.845:                              ;   in Loop: Header=BB261_12 Depth=1
	v_ffbh_u32_e32 v5, v5
	v_min_u32_e32 v7, 32, v5
	v_subrev_nc_u32_e32 v5, 28, v7
	v_lshlrev_b64 v[5:6], v5, v[3:4]
	v_sub_nc_u32_e32 v6, 29, v7
	v_and_b32_e32 v5, 7, v5
; %bb.846:                              ;   in Loop: Header=BB261_12 Depth=1
	s_or_b32 exec_lo, exec_lo, s24
	v_lshlrev_b32_e32 v3, 8, v3
	v_lshl_add_u32 v6, v6, 10, 0x2000
	v_lshlrev_b32_e32 v5, 23, v5
	v_and_or_b32 v3, 0x8000, v3, v6
	v_lshl_or_b32 v67, v3, 16, v5
.LBB261_847:                            ;   in Loop: Header=BB261_12 Depth=1
	s_or_b32 exec_lo, exec_lo, s23
.LBB261_848:                            ;   in Loop: Header=BB261_12 Depth=1
	s_or_b32 exec_lo, exec_lo, s22
.LBB261_849:                            ;   in Loop: Header=BB261_12 Depth=1
	s_or_b32 exec_lo, exec_lo, s21
	buffer_load_dword v3, off, s[0:3], s32 offset:192 ; 4-byte Folded Reload
	v_add_co_u32 v6, s7, 0xd00, v24
	v_add_co_ci_u32_e64 v7, null, 0, v25, s7
	v_mov_b32_e32 v30, 0
	s_waitcnt vmcnt(0)
	v_add_co_u32 v11, s7, v6, v3
	v_add_co_ci_u32_e64 v12, null, 0, v7, s7
	flat_load_dword v5, v[11:12]
	v_mov_b32_e32 v12, 0
	s_waitcnt vmcnt(0) lgkmcnt(0)
	v_cmp_ne_u16_sdwa s7, v5, v4 src0_sel:BYTE_0 src1_sel:DWORD
	s_and_saveexec_b32 s21, s7
	s_cbranch_execz .LBB261_857
; %bb.850:                              ;   in Loop: Header=BB261_12 Depth=1
	v_cmp_ne_u16_sdwa s7, v5, v66 src0_sel:BYTE_0 src1_sel:DWORD
	v_mov_b32_e32 v30, 0x8000
	s_and_saveexec_b32 s22, s7
	s_cbranch_execz .LBB261_856
; %bb.851:                              ;   in Loop: Header=BB261_12 Depth=1
	v_and_b32_e32 v11, 0x7f, v5
	v_mov_b32_e32 v30, 0x7c01
	s_mov_b32 s23, exec_lo
	v_cmpx_ne_u32_e32 0x7f, v11
	s_cbranch_execz .LBB261_855
; %bb.852:                              ;   in Loop: Header=BB261_12 Depth=1
	v_and_b32_e32 v3, 7, v5
	v_lshrrev_b32_e32 v8, 3, v11
	s_mov_b32 s24, exec_lo
	v_cmpx_gt_u32_e32 8, v11
; %bb.853:                              ;   in Loop: Header=BB261_12 Depth=1
	v_ffbh_u32_e32 v3, v3
	v_min_u32_e32 v3, 32, v3
	v_subrev_nc_u32_e32 v8, 28, v3
	v_lshlrev_b64 v[22:23], v8, v[5:6]
	v_sub_nc_u32_e32 v8, 29, v3
	v_and_b32_e32 v3, 7, v22
; %bb.854:                              ;   in Loop: Header=BB261_12 Depth=1
	s_or_b32 exec_lo, exec_lo, s24
	v_lshlrev_b32_e32 v11, 8, v5
	v_lshl_add_u32 v8, v8, 10, 0x2000
	v_lshlrev_b32_e32 v3, 7, v3
	v_and_b32_e32 v11, 0x8000, v11
	v_and_b32_e32 v8, 0xfc00, v8
	v_or3_b32 v30, v11, v8, v3
.LBB261_855:                            ;   in Loop: Header=BB261_12 Depth=1
	s_or_b32 exec_lo, exec_lo, s23
.LBB261_856:                            ;   in Loop: Header=BB261_12 Depth=1
	s_or_b32 exec_lo, exec_lo, s22
.LBB261_857:                            ;   in Loop: Header=BB261_12 Depth=1
	s_or_b32 exec_lo, exec_lo, s21
	v_lshrrev_b16 v3, 8, v5
	s_mov_b32 s21, exec_lo
	v_cmpx_ne_u16_e32 0, v3
	s_cbranch_execz .LBB261_865
; %bb.858:                              ;   in Loop: Header=BB261_12 Depth=1
	v_bfrev_b32_e32 v12, 1
	s_mov_b32 s22, exec_lo
	v_cmpx_ne_u16_e32 0x80, v3
	s_cbranch_execz .LBB261_864
; %bb.859:                              ;   in Loop: Header=BB261_12 Depth=1
	v_mov_b32_e32 v8, 0x7f
	v_mov_b32_e32 v12, 0x7c010000
	s_mov_b32 s23, exec_lo
	v_and_b32_sdwa v13, v3, v8 dst_sel:DWORD dst_unused:UNUSED_PAD src0_sel:WORD_0 src1_sel:DWORD
	v_cmpx_ne_u32_e32 0x7f, v13
	s_cbranch_execz .LBB261_863
; %bb.860:                              ;   in Loop: Header=BB261_12 Depth=1
	v_mov_b32_e32 v8, 7
	v_lshrrev_b32_e32 v11, 3, v13
	s_mov_b32 s24, exec_lo
	v_and_b32_sdwa v8, v3, v8 dst_sel:DWORD dst_unused:UNUSED_PAD src0_sel:WORD_0 src1_sel:DWORD
	v_cmpx_gt_u32_e32 8, v13
; %bb.861:                              ;   in Loop: Header=BB261_12 Depth=1
	v_ffbh_u32_e32 v8, v8
	v_min_u32_e32 v8, 32, v8
	v_subrev_nc_u32_e32 v11, 28, v8
	v_lshlrev_b64 v[12:13], v11, v[3:4]
	v_sub_nc_u32_e32 v11, 29, v8
	v_and_b32_e32 v8, 7, v12
; %bb.862:                              ;   in Loop: Header=BB261_12 Depth=1
	s_or_b32 exec_lo, exec_lo, s24
	v_mov_b32_e32 v12, 8
	v_lshl_add_u32 v11, v11, 10, 0x2000
	v_lshlrev_b32_e32 v8, 23, v8
	v_lshlrev_b32_sdwa v3, v12, v3 dst_sel:DWORD dst_unused:UNUSED_PAD src0_sel:DWORD src1_sel:WORD_0
	v_and_or_b32 v3, 0x8000, v3, v11
	v_lshl_or_b32 v12, v3, 16, v8
.LBB261_863:                            ;   in Loop: Header=BB261_12 Depth=1
	s_or_b32 exec_lo, exec_lo, s23
.LBB261_864:                            ;   in Loop: Header=BB261_12 Depth=1
	s_or_b32 exec_lo, exec_lo, s22
.LBB261_865:                            ;   in Loop: Header=BB261_12 Depth=1
	s_or_b32 exec_lo, exec_lo, s21
	v_lshrrev_b32_e32 v3, 16, v5
	v_mov_b32_e32 v39, 0
	v_mov_b32_e32 v85, 0
	v_cmp_ne_u16_sdwa s7, v3, v4 src0_sel:BYTE_0 src1_sel:DWORD
	s_and_saveexec_b32 s21, s7
	s_cbranch_execz .LBB261_873
; %bb.866:                              ;   in Loop: Header=BB261_12 Depth=1
	v_cmp_ne_u16_sdwa s7, v3, v66 src0_sel:BYTE_0 src1_sel:DWORD
	v_mov_b32_e32 v85, 0x8000
	s_and_saveexec_b32 s22, s7
	s_cbranch_execz .LBB261_872
; %bb.867:                              ;   in Loop: Header=BB261_12 Depth=1
	v_bfe_u32 v13, v5, 16, 7
	v_mov_b32_e32 v85, 0x7c01
	s_mov_b32 s23, exec_lo
	v_cmpx_ne_u32_e32 0x7f, v13
	s_cbranch_execz .LBB261_871
; %bb.868:                              ;   in Loop: Header=BB261_12 Depth=1
	v_and_b32_e32 v8, 7, v3
	v_lshrrev_b32_e32 v11, 3, v13
	s_mov_b32 s24, exec_lo
	v_cmpx_gt_u32_e32 8, v13
; %bb.869:                              ;   in Loop: Header=BB261_12 Depth=1
	v_ffbh_u32_e32 v8, v8
	v_min_u32_e32 v8, 32, v8
	v_subrev_nc_u32_e32 v11, 28, v8
	v_lshlrev_b64 v[22:23], v11, v[3:4]
	v_sub_nc_u32_e32 v11, 29, v8
	v_and_b32_e32 v8, 7, v22
; %bb.870:                              ;   in Loop: Header=BB261_12 Depth=1
	s_or_b32 exec_lo, exec_lo, s24
	v_lshlrev_b32_e32 v3, 8, v3
	v_lshl_add_u32 v11, v11, 10, 0x2000
	v_lshlrev_b32_e32 v8, 7, v8
	v_and_b32_e32 v3, 0x8000, v3
	v_and_b32_e32 v11, 0xfc00, v11
	v_or3_b32 v85, v3, v11, v8
.LBB261_871:                            ;   in Loop: Header=BB261_12 Depth=1
	s_or_b32 exec_lo, exec_lo, s23
.LBB261_872:                            ;   in Loop: Header=BB261_12 Depth=1
	s_or_b32 exec_lo, exec_lo, s22
.LBB261_873:                            ;   in Loop: Header=BB261_12 Depth=1
	s_or_b32 exec_lo, exec_lo, s21
	s_mov_b32 s21, exec_lo
	v_cmpx_lt_u32_e32 0xffffff, v5
	s_cbranch_execz .LBB261_881
; %bb.874:                              ;   in Loop: Header=BB261_12 Depth=1
	v_lshrrev_b32_e32 v3, 24, v5
	v_bfrev_b32_e32 v39, 1
	s_mov_b32 s22, exec_lo
	v_cmpx_ne_u32_e32 0x80, v3
	s_cbranch_execz .LBB261_880
; %bb.875:                              ;   in Loop: Header=BB261_12 Depth=1
	v_and_b32_e32 v11, 0x7f, v3
	v_mov_b32_e32 v39, 0x7c010000
	s_mov_b32 s23, exec_lo
	v_cmpx_ne_u32_e32 0x7f, v11
	s_cbranch_execz .LBB261_879
; %bb.876:                              ;   in Loop: Header=BB261_12 Depth=1
	v_and_b32_e32 v5, 7, v3
	v_lshrrev_b32_e32 v8, 3, v11
	s_mov_b32 s24, exec_lo
	v_cmpx_gt_u32_e32 8, v11
; %bb.877:                              ;   in Loop: Header=BB261_12 Depth=1
	v_ffbh_u32_e32 v5, v5
	v_min_u32_e32 v5, 32, v5
	v_subrev_nc_u32_e32 v8, 28, v5
	v_lshlrev_b64 v[22:23], v8, v[3:4]
	v_sub_nc_u32_e32 v8, 29, v5
	v_and_b32_e32 v5, 7, v22
; %bb.878:                              ;   in Loop: Header=BB261_12 Depth=1
	s_or_b32 exec_lo, exec_lo, s24
	v_lshlrev_b32_e32 v3, 8, v3
	v_lshl_add_u32 v8, v8, 10, 0x2000
	v_lshlrev_b32_e32 v5, 23, v5
	v_and_or_b32 v3, 0x8000, v3, v8
	v_lshl_or_b32 v39, v3, 16, v5
.LBB261_879:                            ;   in Loop: Header=BB261_12 Depth=1
	s_or_b32 exec_lo, exec_lo, s23
.LBB261_880:                            ;   in Loop: Header=BB261_12 Depth=1
	s_or_b32 exec_lo, exec_lo, s22
.LBB261_881:                            ;   in Loop: Header=BB261_12 Depth=1
	s_or_b32 exec_lo, exec_lo, s21
	buffer_load_dword v3, off, s[0:3], s32 offset:196 ; 4-byte Folded Reload
	v_mov_b32_e32 v11, 0
	s_waitcnt vmcnt(0)
	v_add_co_u32 v5, s7, v6, v3
	v_add_co_ci_u32_e64 v6, null, 0, v7, s7
	flat_load_dword v5, v[5:6]
	v_mov_b32_e32 v6, 0
	s_waitcnt vmcnt(0) lgkmcnt(0)
	v_cmp_ne_u16_sdwa s7, v5, v4 src0_sel:BYTE_0 src1_sel:DWORD
	s_and_saveexec_b32 s21, s7
	s_cbranch_execz .LBB261_889
; %bb.882:                              ;   in Loop: Header=BB261_12 Depth=1
	v_cmp_ne_u16_sdwa s7, v5, v66 src0_sel:BYTE_0 src1_sel:DWORD
	v_mov_b32_e32 v11, 0x8000
	s_and_saveexec_b32 s22, s7
	s_cbranch_execz .LBB261_888
; %bb.883:                              ;   in Loop: Header=BB261_12 Depth=1
	v_and_b32_e32 v8, 0x7f, v5
	v_mov_b32_e32 v11, 0x7c01
	s_mov_b32 s23, exec_lo
	v_cmpx_ne_u32_e32 0x7f, v8
	s_cbranch_execz .LBB261_887
; %bb.884:                              ;   in Loop: Header=BB261_12 Depth=1
	v_and_b32_e32 v3, 7, v5
	v_lshrrev_b32_e32 v7, 3, v8
	s_mov_b32 s24, exec_lo
	v_cmpx_gt_u32_e32 8, v8
; %bb.885:                              ;   in Loop: Header=BB261_12 Depth=1
	v_ffbh_u32_e32 v3, v3
	v_min_u32_e32 v3, 32, v3
	v_subrev_nc_u32_e32 v7, 28, v3
	v_lshlrev_b64 v[22:23], v7, v[5:6]
	v_sub_nc_u32_e32 v7, 29, v3
	v_and_b32_e32 v3, 7, v22
; %bb.886:                              ;   in Loop: Header=BB261_12 Depth=1
	s_or_b32 exec_lo, exec_lo, s24
	v_lshlrev_b32_e32 v8, 8, v5
	v_lshl_add_u32 v7, v7, 10, 0x2000
	v_lshlrev_b32_e32 v3, 7, v3
	v_and_b32_e32 v8, 0x8000, v8
	v_and_b32_e32 v7, 0xfc00, v7
	v_or3_b32 v11, v8, v7, v3
.LBB261_887:                            ;   in Loop: Header=BB261_12 Depth=1
	s_or_b32 exec_lo, exec_lo, s23
.LBB261_888:                            ;   in Loop: Header=BB261_12 Depth=1
	s_or_b32 exec_lo, exec_lo, s22
.LBB261_889:                            ;   in Loop: Header=BB261_12 Depth=1
	s_or_b32 exec_lo, exec_lo, s21
	v_lshrrev_b16 v3, 8, v5
	s_mov_b32 s21, exec_lo
	v_cmpx_ne_u16_e32 0, v3
	s_cbranch_execz .LBB261_897
; %bb.890:                              ;   in Loop: Header=BB261_12 Depth=1
	v_bfrev_b32_e32 v6, 1
	s_mov_b32 s22, exec_lo
	v_cmpx_ne_u16_e32 0x80, v3
	s_cbranch_execz .LBB261_896
; %bb.891:                              ;   in Loop: Header=BB261_12 Depth=1
	v_mov_b32_e32 v6, 0x7f
	s_mov_b32 s23, exec_lo
	v_and_b32_sdwa v8, v3, v6 dst_sel:DWORD dst_unused:UNUSED_PAD src0_sel:WORD_0 src1_sel:DWORD
	v_mov_b32_e32 v6, 0x7c010000
	v_cmpx_ne_u32_e32 0x7f, v8
	s_cbranch_execz .LBB261_895
; %bb.892:                              ;   in Loop: Header=BB261_12 Depth=1
	v_mov_b32_e32 v6, 7
	v_lshrrev_b32_e32 v7, 3, v8
	s_mov_b32 s24, exec_lo
	v_and_b32_sdwa v6, v3, v6 dst_sel:DWORD dst_unused:UNUSED_PAD src0_sel:WORD_0 src1_sel:DWORD
	v_cmpx_gt_u32_e32 8, v8
; %bb.893:                              ;   in Loop: Header=BB261_12 Depth=1
	v_ffbh_u32_e32 v6, v6
	v_min_u32_e32 v8, 32, v6
	v_subrev_nc_u32_e32 v6, 28, v8
	v_lshlrev_b64 v[6:7], v6, v[3:4]
	v_sub_nc_u32_e32 v7, 29, v8
	v_and_b32_e32 v6, 7, v6
; %bb.894:                              ;   in Loop: Header=BB261_12 Depth=1
	s_or_b32 exec_lo, exec_lo, s24
	v_mov_b32_e32 v8, 8
	v_lshl_add_u32 v7, v7, 10, 0x2000
	v_lshlrev_b32_e32 v6, 23, v6
	v_lshlrev_b32_sdwa v3, v8, v3 dst_sel:DWORD dst_unused:UNUSED_PAD src0_sel:DWORD src1_sel:WORD_0
	v_and_or_b32 v3, 0x8000, v3, v7
	v_lshl_or_b32 v6, v3, 16, v6
.LBB261_895:                            ;   in Loop: Header=BB261_12 Depth=1
	s_or_b32 exec_lo, exec_lo, s23
.LBB261_896:                            ;   in Loop: Header=BB261_12 Depth=1
	s_or_b32 exec_lo, exec_lo, s22
.LBB261_897:                            ;   in Loop: Header=BB261_12 Depth=1
	s_or_b32 exec_lo, exec_lo, s21
	v_lshrrev_b32_e32 v3, 16, v5
	v_mov_b32_e32 v48, 0
	v_mov_b32_e32 v54, 0
	v_cmp_ne_u16_sdwa s7, v3, v4 src0_sel:BYTE_0 src1_sel:DWORD
	s_and_saveexec_b32 s21, s7
	s_cbranch_execz .LBB261_905
; %bb.898:                              ;   in Loop: Header=BB261_12 Depth=1
	v_cmp_ne_u16_sdwa s7, v3, v66 src0_sel:BYTE_0 src1_sel:DWORD
	v_mov_b32_e32 v54, 0x8000
	s_and_saveexec_b32 s22, s7
	s_cbranch_execz .LBB261_904
; %bb.899:                              ;   in Loop: Header=BB261_12 Depth=1
	v_bfe_u32 v13, v5, 16, 7
	v_mov_b32_e32 v54, 0x7c01
	s_mov_b32 s23, exec_lo
	v_cmpx_ne_u32_e32 0x7f, v13
	s_cbranch_execz .LBB261_903
; %bb.900:                              ;   in Loop: Header=BB261_12 Depth=1
	v_and_b32_e32 v7, 7, v3
	v_lshrrev_b32_e32 v8, 3, v13
	s_mov_b32 s24, exec_lo
	v_cmpx_gt_u32_e32 8, v13
; %bb.901:                              ;   in Loop: Header=BB261_12 Depth=1
	v_ffbh_u32_e32 v7, v7
	v_min_u32_e32 v13, 32, v7
	v_subrev_nc_u32_e32 v7, 28, v13
	v_lshlrev_b64 v[7:8], v7, v[3:4]
	v_sub_nc_u32_e32 v8, 29, v13
	v_and_b32_e32 v7, 7, v7
; %bb.902:                              ;   in Loop: Header=BB261_12 Depth=1
	s_or_b32 exec_lo, exec_lo, s24
	v_lshlrev_b32_e32 v3, 8, v3
	v_lshl_add_u32 v8, v8, 10, 0x2000
	v_lshlrev_b32_e32 v7, 7, v7
	v_and_b32_e32 v3, 0x8000, v3
	v_and_b32_e32 v8, 0xfc00, v8
	v_or3_b32 v54, v3, v8, v7
.LBB261_903:                            ;   in Loop: Header=BB261_12 Depth=1
	s_or_b32 exec_lo, exec_lo, s23
.LBB261_904:                            ;   in Loop: Header=BB261_12 Depth=1
	s_or_b32 exec_lo, exec_lo, s22
.LBB261_905:                            ;   in Loop: Header=BB261_12 Depth=1
	s_or_b32 exec_lo, exec_lo, s21
	s_mov_b32 s21, exec_lo
	v_cmpx_lt_u32_e32 0xffffff, v5
	s_cbranch_execz .LBB261_913
; %bb.906:                              ;   in Loop: Header=BB261_12 Depth=1
	v_lshrrev_b32_e32 v3, 24, v5
	v_bfrev_b32_e32 v48, 1
	s_mov_b32 s22, exec_lo
	v_cmpx_ne_u32_e32 0x80, v3
	s_cbranch_execz .LBB261_912
; %bb.907:                              ;   in Loop: Header=BB261_12 Depth=1
	v_and_b32_e32 v8, 0x7f, v3
	v_mov_b32_e32 v48, 0x7c010000
	s_mov_b32 s23, exec_lo
	v_cmpx_ne_u32_e32 0x7f, v8
	s_cbranch_execz .LBB261_911
; %bb.908:                              ;   in Loop: Header=BB261_12 Depth=1
	v_and_b32_e32 v5, 7, v3
	v_lshrrev_b32_e32 v7, 3, v8
	s_mov_b32 s24, exec_lo
	v_cmpx_gt_u32_e32 8, v8
; %bb.909:                              ;   in Loop: Header=BB261_12 Depth=1
	v_ffbh_u32_e32 v5, v5
	v_min_u32_e32 v5, 32, v5
	v_subrev_nc_u32_e32 v7, 28, v5
	v_lshlrev_b64 v[22:23], v7, v[3:4]
	v_sub_nc_u32_e32 v7, 29, v5
	v_and_b32_e32 v5, 7, v22
; %bb.910:                              ;   in Loop: Header=BB261_12 Depth=1
	s_or_b32 exec_lo, exec_lo, s24
	v_lshlrev_b32_e32 v3, 8, v3
	v_lshl_add_u32 v7, v7, 10, 0x2000
	v_lshlrev_b32_e32 v5, 23, v5
	v_and_or_b32 v3, 0x8000, v3, v7
	v_lshl_or_b32 v48, v3, 16, v5
.LBB261_911:                            ;   in Loop: Header=BB261_12 Depth=1
	s_or_b32 exec_lo, exec_lo, s23
.LBB261_912:                            ;   in Loop: Header=BB261_12 Depth=1
	s_or_b32 exec_lo, exec_lo, s22
.LBB261_913:                            ;   in Loop: Header=BB261_12 Depth=1
	s_or_b32 exec_lo, exec_lo, s21
	buffer_load_dword v3, off, s[0:3], s32 offset:192 ; 4-byte Folded Reload
	v_add_co_u32 v23, s7, 0xe00, v24
	v_add_co_ci_u32_e64 v31, null, 0, v25, s7
	s_waitcnt vmcnt(0)
	v_add_co_u32 v7, s7, v23, v3
	v_add_co_ci_u32_e64 v8, null, 0, v31, s7
	flat_load_dword v5, v[7:8]
	v_mov_b32_e32 v7, 0
	v_mov_b32_e32 v8, 0
	s_waitcnt vmcnt(0) lgkmcnt(0)
	v_cmp_ne_u16_sdwa s7, v5, v4 src0_sel:BYTE_0 src1_sel:DWORD
	s_and_saveexec_b32 s21, s7
	s_cbranch_execz .LBB261_921
; %bb.914:                              ;   in Loop: Header=BB261_12 Depth=1
	v_cmp_ne_u16_sdwa s7, v5, v66 src0_sel:BYTE_0 src1_sel:DWORD
	v_mov_b32_e32 v8, 0x8000
	s_and_saveexec_b32 s22, s7
	s_cbranch_execz .LBB261_920
; %bb.915:                              ;   in Loop: Header=BB261_12 Depth=1
	v_and_b32_e32 v13, 0x7f, v5
	v_mov_b32_e32 v8, 0x7c01
	s_mov_b32 s23, exec_lo
	v_cmpx_ne_u32_e32 0x7f, v13
	s_cbranch_execz .LBB261_919
; %bb.916:                              ;   in Loop: Header=BB261_12 Depth=1
	v_and_b32_e32 v3, 7, v5
	v_lshrrev_b32_e32 v8, 3, v13
	s_mov_b32 s24, exec_lo
	v_cmpx_gt_u32_e32 8, v13
; %bb.917:                              ;   in Loop: Header=BB261_12 Depth=1
	v_ffbh_u32_e32 v3, v3
	v_min_u32_e32 v3, 32, v3
	v_subrev_nc_u32_e32 v8, 28, v3
	v_lshlrev_b64 v[96:97], v8, v[5:6]
	v_sub_nc_u32_e32 v8, 29, v3
	v_and_b32_e32 v3, 7, v96
; %bb.918:                              ;   in Loop: Header=BB261_12 Depth=1
	s_or_b32 exec_lo, exec_lo, s24
	v_lshlrev_b32_e32 v13, 8, v5
	v_lshl_add_u32 v8, v8, 10, 0x2000
	v_lshlrev_b32_e32 v3, 7, v3
	v_and_b32_e32 v13, 0x8000, v13
	v_and_b32_e32 v8, 0xfc00, v8
	v_or3_b32 v8, v13, v8, v3
.LBB261_919:                            ;   in Loop: Header=BB261_12 Depth=1
	s_or_b32 exec_lo, exec_lo, s23
.LBB261_920:                            ;   in Loop: Header=BB261_12 Depth=1
	s_or_b32 exec_lo, exec_lo, s22
.LBB261_921:                            ;   in Loop: Header=BB261_12 Depth=1
	s_or_b32 exec_lo, exec_lo, s21
	v_lshrrev_b16 v3, 8, v5
	s_mov_b32 s21, exec_lo
	v_cmpx_ne_u16_e32 0, v3
	s_cbranch_execz .LBB261_929
; %bb.922:                              ;   in Loop: Header=BB261_12 Depth=1
	v_bfrev_b32_e32 v7, 1
	s_mov_b32 s22, exec_lo
	v_cmpx_ne_u16_e32 0x80, v3
	s_cbranch_execz .LBB261_928
; %bb.923:                              ;   in Loop: Header=BB261_12 Depth=1
	v_mov_b32_e32 v7, 0x7f
	s_mov_b32 s23, exec_lo
	v_and_b32_sdwa v22, v3, v7 dst_sel:DWORD dst_unused:UNUSED_PAD src0_sel:WORD_0 src1_sel:DWORD
	v_mov_b32_e32 v7, 0x7c010000
	v_cmpx_ne_u32_e32 0x7f, v22
	s_cbranch_execz .LBB261_927
; %bb.924:                              ;   in Loop: Header=BB261_12 Depth=1
	v_mov_b32_e32 v7, 7
	v_lshrrev_b32_e32 v13, 3, v22
	s_mov_b32 s24, exec_lo
	v_and_b32_sdwa v7, v3, v7 dst_sel:DWORD dst_unused:UNUSED_PAD src0_sel:WORD_0 src1_sel:DWORD
	v_cmpx_gt_u32_e32 8, v22
; %bb.925:                              ;   in Loop: Header=BB261_12 Depth=1
	v_ffbh_u32_e32 v7, v7
	v_min_u32_e32 v7, 32, v7
	v_subrev_nc_u32_e32 v13, 28, v7
	v_lshlrev_b64 v[96:97], v13, v[3:4]
	v_sub_nc_u32_e32 v13, 29, v7
	v_and_b32_e32 v7, 7, v96
; %bb.926:                              ;   in Loop: Header=BB261_12 Depth=1
	s_or_b32 exec_lo, exec_lo, s24
	v_mov_b32_e32 v22, 8
	v_lshl_add_u32 v13, v13, 10, 0x2000
	v_lshlrev_b32_e32 v7, 23, v7
	v_lshlrev_b32_sdwa v3, v22, v3 dst_sel:DWORD dst_unused:UNUSED_PAD src0_sel:DWORD src1_sel:WORD_0
	v_and_or_b32 v3, 0x8000, v3, v13
	v_lshl_or_b32 v7, v3, 16, v7
.LBB261_927:                            ;   in Loop: Header=BB261_12 Depth=1
	s_or_b32 exec_lo, exec_lo, s23
.LBB261_928:                            ;   in Loop: Header=BB261_12 Depth=1
	s_or_b32 exec_lo, exec_lo, s22
.LBB261_929:                            ;   in Loop: Header=BB261_12 Depth=1
	s_or_b32 exec_lo, exec_lo, s21
	v_lshrrev_b32_e32 v3, 16, v5
	v_mov_b32_e32 v29, 0
	v_mov_b32_e32 v27, 0
	v_cmp_ne_u16_sdwa s7, v3, v4 src0_sel:BYTE_0 src1_sel:DWORD
	s_and_saveexec_b32 s21, s7
	s_cbranch_execz .LBB261_937
; %bb.930:                              ;   in Loop: Header=BB261_12 Depth=1
	v_cmp_ne_u16_sdwa s7, v3, v66 src0_sel:BYTE_0 src1_sel:DWORD
	v_mov_b32_e32 v27, 0x8000
	s_and_saveexec_b32 s22, s7
	s_cbranch_execz .LBB261_936
; %bb.931:                              ;   in Loop: Header=BB261_12 Depth=1
	v_bfe_u32 v34, v5, 16, 7
	v_mov_b32_e32 v27, 0x7c01
	s_mov_b32 s23, exec_lo
	v_cmpx_ne_u32_e32 0x7f, v34
	s_cbranch_execz .LBB261_935
; %bb.932:                              ;   in Loop: Header=BB261_12 Depth=1
	v_and_b32_e32 v13, 7, v3
	v_lshrrev_b32_e32 v22, 3, v34
	s_mov_b32 s24, exec_lo
	v_cmpx_gt_u32_e32 8, v34
; %bb.933:                              ;   in Loop: Header=BB261_12 Depth=1
	v_ffbh_u32_e32 v13, v13
	v_min_u32_e32 v13, 32, v13
	v_subrev_nc_u32_e32 v22, 28, v13
	v_lshlrev_b64 v[96:97], v22, v[3:4]
	v_sub_nc_u32_e32 v22, 29, v13
	v_and_b32_e32 v13, 7, v96
; %bb.934:                              ;   in Loop: Header=BB261_12 Depth=1
	s_or_b32 exec_lo, exec_lo, s24
	v_lshlrev_b32_e32 v3, 8, v3
	v_lshl_add_u32 v22, v22, 10, 0x2000
	v_lshlrev_b32_e32 v13, 7, v13
	v_and_b32_e32 v3, 0x8000, v3
	v_and_b32_e32 v22, 0xfc00, v22
	v_or3_b32 v27, v3, v22, v13
.LBB261_935:                            ;   in Loop: Header=BB261_12 Depth=1
	s_or_b32 exec_lo, exec_lo, s23
.LBB261_936:                            ;   in Loop: Header=BB261_12 Depth=1
	s_or_b32 exec_lo, exec_lo, s22
.LBB261_937:                            ;   in Loop: Header=BB261_12 Depth=1
	s_or_b32 exec_lo, exec_lo, s21
	s_mov_b32 s21, exec_lo
	v_cmpx_lt_u32_e32 0xffffff, v5
	s_cbranch_execz .LBB261_945
; %bb.938:                              ;   in Loop: Header=BB261_12 Depth=1
	v_lshrrev_b32_e32 v3, 24, v5
	v_bfrev_b32_e32 v29, 1
	s_mov_b32 s22, exec_lo
	v_cmpx_ne_u32_e32 0x80, v3
	s_cbranch_execz .LBB261_944
; %bb.939:                              ;   in Loop: Header=BB261_12 Depth=1
	v_and_b32_e32 v22, 0x7f, v3
	v_mov_b32_e32 v29, 0x7c010000
	s_mov_b32 s23, exec_lo
	v_cmpx_ne_u32_e32 0x7f, v22
	s_cbranch_execz .LBB261_943
; %bb.940:                              ;   in Loop: Header=BB261_12 Depth=1
	v_and_b32_e32 v5, 7, v3
	v_lshrrev_b32_e32 v13, 3, v22
	s_mov_b32 s24, exec_lo
	v_cmpx_gt_u32_e32 8, v22
; %bb.941:                              ;   in Loop: Header=BB261_12 Depth=1
	v_ffbh_u32_e32 v5, v5
	v_min_u32_e32 v5, 32, v5
	v_subrev_nc_u32_e32 v13, 28, v5
	v_lshlrev_b64 v[96:97], v13, v[3:4]
	v_sub_nc_u32_e32 v13, 29, v5
	v_and_b32_e32 v5, 7, v96
; %bb.942:                              ;   in Loop: Header=BB261_12 Depth=1
	s_or_b32 exec_lo, exec_lo, s24
	v_lshlrev_b32_e32 v3, 8, v3
	v_lshl_add_u32 v13, v13, 10, 0x2000
	v_lshlrev_b32_e32 v5, 23, v5
	v_and_or_b32 v3, 0x8000, v3, v13
	v_lshl_or_b32 v29, v3, 16, v5
.LBB261_943:                            ;   in Loop: Header=BB261_12 Depth=1
	s_or_b32 exec_lo, exec_lo, s23
.LBB261_944:                            ;   in Loop: Header=BB261_12 Depth=1
	s_or_b32 exec_lo, exec_lo, s22
.LBB261_945:                            ;   in Loop: Header=BB261_12 Depth=1
	s_or_b32 exec_lo, exec_lo, s21
	buffer_load_dword v3, off, s[0:3], s32 offset:196 ; 4-byte Folded Reload
	v_mov_b32_e32 v34, 0
	s_waitcnt vmcnt(0)
	v_add_co_u32 v22, s7, v23, v3
	v_add_co_ci_u32_e64 v23, null, 0, v31, s7
	v_mov_b32_e32 v31, 0
	flat_load_dword v5, v[22:23]
	s_waitcnt vmcnt(0) lgkmcnt(0)
	v_cmp_ne_u16_sdwa s7, v5, v4 src0_sel:BYTE_0 src1_sel:DWORD
	s_and_saveexec_b32 s21, s7
	s_cbranch_execz .LBB261_953
; %bb.946:                              ;   in Loop: Header=BB261_12 Depth=1
	v_cmp_ne_u16_sdwa s7, v5, v66 src0_sel:BYTE_0 src1_sel:DWORD
	v_mov_b32_e32 v34, 0x8000
	s_and_saveexec_b32 s22, s7
	s_cbranch_execz .LBB261_952
; %bb.947:                              ;   in Loop: Header=BB261_12 Depth=1
	v_and_b32_e32 v22, 0x7f, v5
	v_mov_b32_e32 v34, 0x7c01
	s_mov_b32 s23, exec_lo
	v_cmpx_ne_u32_e32 0x7f, v22
	s_cbranch_execz .LBB261_951
; %bb.948:                              ;   in Loop: Header=BB261_12 Depth=1
	v_and_b32_e32 v3, 7, v5
	v_lshrrev_b32_e32 v13, 3, v22
	s_mov_b32 s24, exec_lo
	v_cmpx_gt_u32_e32 8, v22
; %bb.949:                              ;   in Loop: Header=BB261_12 Depth=1
	v_ffbh_u32_e32 v3, v3
	v_min_u32_e32 v3, 32, v3
	v_subrev_nc_u32_e32 v13, 28, v3
	v_lshlrev_b64 v[22:23], v13, v[5:6]
	v_sub_nc_u32_e32 v13, 29, v3
	v_and_b32_e32 v3, 7, v22
; %bb.950:                              ;   in Loop: Header=BB261_12 Depth=1
	s_or_b32 exec_lo, exec_lo, s24
	v_lshlrev_b32_e32 v22, 8, v5
	v_lshl_add_u32 v13, v13, 10, 0x2000
	v_lshlrev_b32_e32 v3, 7, v3
	v_and_b32_e32 v22, 0x8000, v22
	v_and_b32_e32 v13, 0xfc00, v13
	v_or3_b32 v34, v22, v13, v3
.LBB261_951:                            ;   in Loop: Header=BB261_12 Depth=1
	s_or_b32 exec_lo, exec_lo, s23
.LBB261_952:                            ;   in Loop: Header=BB261_12 Depth=1
	s_or_b32 exec_lo, exec_lo, s22
.LBB261_953:                            ;   in Loop: Header=BB261_12 Depth=1
	s_or_b32 exec_lo, exec_lo, s21
	v_lshrrev_b16 v3, 8, v5
	s_mov_b32 s21, exec_lo
	v_cmpx_ne_u16_e32 0, v3
	s_cbranch_execz .LBB261_961
; %bb.954:                              ;   in Loop: Header=BB261_12 Depth=1
	v_bfrev_b32_e32 v31, 1
	s_mov_b32 s22, exec_lo
	v_cmpx_ne_u16_e32 0x80, v3
	s_cbranch_execz .LBB261_960
; %bb.955:                              ;   in Loop: Header=BB261_12 Depth=1
	v_mov_b32_e32 v13, 0x7f
	v_mov_b32_e32 v31, 0x7c010000
	s_mov_b32 s23, exec_lo
	v_and_b32_sdwa v23, v3, v13 dst_sel:DWORD dst_unused:UNUSED_PAD src0_sel:WORD_0 src1_sel:DWORD
	v_cmpx_ne_u32_e32 0x7f, v23
	s_cbranch_execz .LBB261_959
; %bb.956:                              ;   in Loop: Header=BB261_12 Depth=1
	v_mov_b32_e32 v13, 7
	v_lshrrev_b32_e32 v22, 3, v23
	s_mov_b32 s24, exec_lo
	v_and_b32_sdwa v13, v3, v13 dst_sel:DWORD dst_unused:UNUSED_PAD src0_sel:WORD_0 src1_sel:DWORD
	v_cmpx_gt_u32_e32 8, v23
; %bb.957:                              ;   in Loop: Header=BB261_12 Depth=1
	v_ffbh_u32_e32 v13, v13
	v_min_u32_e32 v13, 32, v13
	v_subrev_nc_u32_e32 v22, 28, v13
	v_lshlrev_b64 v[96:97], v22, v[3:4]
	v_sub_nc_u32_e32 v22, 29, v13
	v_and_b32_e32 v13, 7, v96
; %bb.958:                              ;   in Loop: Header=BB261_12 Depth=1
	s_or_b32 exec_lo, exec_lo, s24
	v_mov_b32_e32 v23, 8
	v_lshl_add_u32 v22, v22, 10, 0x2000
	v_lshlrev_b32_e32 v13, 23, v13
	v_lshlrev_b32_sdwa v3, v23, v3 dst_sel:DWORD dst_unused:UNUSED_PAD src0_sel:DWORD src1_sel:WORD_0
	v_and_or_b32 v3, 0x8000, v3, v22
	v_lshl_or_b32 v31, v3, 16, v13
.LBB261_959:                            ;   in Loop: Header=BB261_12 Depth=1
	s_or_b32 exec_lo, exec_lo, s23
.LBB261_960:                            ;   in Loop: Header=BB261_12 Depth=1
	s_or_b32 exec_lo, exec_lo, s22
.LBB261_961:                            ;   in Loop: Header=BB261_12 Depth=1
	s_or_b32 exec_lo, exec_lo, s21
	v_lshrrev_b32_e32 v3, 16, v5
	v_mov_b32_e32 v23, 0
	v_mov_b32_e32 v49, 0
	v_cmp_ne_u16_sdwa s7, v3, v4 src0_sel:BYTE_0 src1_sel:DWORD
	s_and_saveexec_b32 s21, s7
	s_cbranch_execz .LBB261_969
; %bb.962:                              ;   in Loop: Header=BB261_12 Depth=1
	v_cmp_ne_u16_sdwa s7, v3, v66 src0_sel:BYTE_0 src1_sel:DWORD
	v_mov_b32_e32 v49, 0x8000
	s_and_saveexec_b32 s22, s7
	s_cbranch_execz .LBB261_968
; %bb.963:                              ;   in Loop: Header=BB261_12 Depth=1
	v_bfe_u32 v96, v5, 16, 7
	v_mov_b32_e32 v49, 0x7c01
	s_mov_b32 s23, exec_lo
	v_cmpx_ne_u32_e32 0x7f, v96
	s_cbranch_execz .LBB261_967
; %bb.964:                              ;   in Loop: Header=BB261_12 Depth=1
	v_and_b32_e32 v13, 7, v3
	v_lshrrev_b32_e32 v22, 3, v96
	s_mov_b32 s24, exec_lo
	v_cmpx_gt_u32_e32 8, v96
; %bb.965:                              ;   in Loop: Header=BB261_12 Depth=1
	v_ffbh_u32_e32 v13, v13
	v_min_u32_e32 v13, 32, v13
	v_subrev_nc_u32_e32 v22, 28, v13
	v_lshlrev_b64 v[96:97], v22, v[3:4]
	v_sub_nc_u32_e32 v22, 29, v13
	v_and_b32_e32 v13, 7, v96
; %bb.966:                              ;   in Loop: Header=BB261_12 Depth=1
	s_or_b32 exec_lo, exec_lo, s24
	v_lshlrev_b32_e32 v3, 8, v3
	v_lshl_add_u32 v22, v22, 10, 0x2000
	v_lshlrev_b32_e32 v13, 7, v13
	v_and_b32_e32 v3, 0x8000, v3
	v_and_b32_e32 v22, 0xfc00, v22
	v_or3_b32 v49, v3, v22, v13
.LBB261_967:                            ;   in Loop: Header=BB261_12 Depth=1
	s_or_b32 exec_lo, exec_lo, s23
.LBB261_968:                            ;   in Loop: Header=BB261_12 Depth=1
	s_or_b32 exec_lo, exec_lo, s22
.LBB261_969:                            ;   in Loop: Header=BB261_12 Depth=1
	s_or_b32 exec_lo, exec_lo, s21
	s_mov_b32 s21, exec_lo
	v_cmpx_lt_u32_e32 0xffffff, v5
	s_cbranch_execz .LBB261_977
; %bb.970:                              ;   in Loop: Header=BB261_12 Depth=1
	v_lshrrev_b32_e32 v3, 24, v5
	v_bfrev_b32_e32 v23, 1
	s_mov_b32 s22, exec_lo
	v_cmpx_ne_u32_e32 0x80, v3
	s_cbranch_execz .LBB261_976
; %bb.971:                              ;   in Loop: Header=BB261_12 Depth=1
	v_and_b32_e32 v22, 0x7f, v3
	v_mov_b32_e32 v23, 0x7c010000
	s_mov_b32 s23, exec_lo
	v_cmpx_ne_u32_e32 0x7f, v22
	s_cbranch_execz .LBB261_975
; %bb.972:                              ;   in Loop: Header=BB261_12 Depth=1
	v_and_b32_e32 v5, 7, v3
	v_lshrrev_b32_e32 v13, 3, v22
	s_mov_b32 s24, exec_lo
	v_cmpx_gt_u32_e32 8, v22
; %bb.973:                              ;   in Loop: Header=BB261_12 Depth=1
	v_ffbh_u32_e32 v5, v5
	v_min_u32_e32 v5, 32, v5
	v_subrev_nc_u32_e32 v13, 28, v5
	v_lshlrev_b64 v[22:23], v13, v[3:4]
	v_sub_nc_u32_e32 v13, 29, v5
	v_and_b32_e32 v5, 7, v22
; %bb.974:                              ;   in Loop: Header=BB261_12 Depth=1
	s_or_b32 exec_lo, exec_lo, s24
	v_lshlrev_b32_e32 v3, 8, v3
	v_lshl_add_u32 v13, v13, 10, 0x2000
	v_lshlrev_b32_e32 v5, 23, v5
	v_and_or_b32 v3, 0x8000, v3, v13
	v_lshl_or_b32 v23, v3, 16, v5
.LBB261_975:                            ;   in Loop: Header=BB261_12 Depth=1
	s_or_b32 exec_lo, exec_lo, s23
.LBB261_976:                            ;   in Loop: Header=BB261_12 Depth=1
	s_or_b32 exec_lo, exec_lo, s22
.LBB261_977:                            ;   in Loop: Header=BB261_12 Depth=1
	s_or_b32 exec_lo, exec_lo, s21
	buffer_load_dword v3, off, s[0:3], s32 offset:192 ; 4-byte Folded Reload
	v_add_co_u32 v97, s7, 0xf00, v24
	v_add_co_ci_u32_e64 v99, null, 0, v25, s7
	s_waitcnt vmcnt(0)
	v_add_co_u32 v24, s7, v97, v3
	v_add_co_ci_u32_e64 v25, null, 0, v99, s7
	flat_load_dword v5, v[24:25]
	v_mov_b32_e32 v24, 0
	v_mov_b32_e32 v25, 0
	s_waitcnt vmcnt(0) lgkmcnt(0)
	v_cmp_ne_u16_sdwa s7, v5, v4 src0_sel:BYTE_0 src1_sel:DWORD
	s_and_saveexec_b32 s21, s7
	s_cbranch_execz .LBB261_985
; %bb.978:                              ;   in Loop: Header=BB261_12 Depth=1
	v_cmp_ne_u16_sdwa s7, v5, v66 src0_sel:BYTE_0 src1_sel:DWORD
	v_mov_b32_e32 v25, 0x8000
	s_and_saveexec_b32 s22, s7
	s_cbranch_execz .LBB261_984
; %bb.979:                              ;   in Loop: Header=BB261_12 Depth=1
	v_and_b32_e32 v22, 0x7f, v5
	v_mov_b32_e32 v25, 0x7c01
	s_mov_b32 s23, exec_lo
	v_cmpx_ne_u32_e32 0x7f, v22
	s_cbranch_execz .LBB261_983
; %bb.980:                              ;   in Loop: Header=BB261_12 Depth=1
	v_and_b32_e32 v3, 7, v5
	v_lshrrev_b32_e32 v13, 3, v22
	s_mov_b32 s24, exec_lo
	v_cmpx_gt_u32_e32 8, v22
; %bb.981:                              ;   in Loop: Header=BB261_12 Depth=1
	v_ffbh_u32_e32 v3, v3
	v_min_u32_e32 v3, 32, v3
	v_subrev_nc_u32_e32 v13, 28, v3
	v_lshlrev_b64 v[122:123], v13, v[5:6]
	v_sub_nc_u32_e32 v13, 29, v3
	v_and_b32_e32 v3, 7, v122
; %bb.982:                              ;   in Loop: Header=BB261_12 Depth=1
	s_or_b32 exec_lo, exec_lo, s24
	v_lshlrev_b32_e32 v22, 8, v5
	v_lshl_add_u32 v13, v13, 10, 0x2000
	v_lshlrev_b32_e32 v3, 7, v3
	v_and_b32_e32 v22, 0x8000, v22
	v_and_b32_e32 v13, 0xfc00, v13
	v_or3_b32 v25, v22, v13, v3
.LBB261_983:                            ;   in Loop: Header=BB261_12 Depth=1
	s_or_b32 exec_lo, exec_lo, s23
.LBB261_984:                            ;   in Loop: Header=BB261_12 Depth=1
	s_or_b32 exec_lo, exec_lo, s22
.LBB261_985:                            ;   in Loop: Header=BB261_12 Depth=1
	s_or_b32 exec_lo, exec_lo, s21
	v_lshrrev_b16 v3, 8, v5
	s_mov_b32 s21, exec_lo
	v_cmpx_ne_u16_e32 0, v3
	s_cbranch_execz .LBB261_993
; %bb.986:                              ;   in Loop: Header=BB261_12 Depth=1
	v_bfrev_b32_e32 v24, 1
	s_mov_b32 s22, exec_lo
	v_cmpx_ne_u16_e32 0x80, v3
	s_cbranch_execz .LBB261_992
; %bb.987:                              ;   in Loop: Header=BB261_12 Depth=1
	v_mov_b32_e32 v13, 0x7f
	v_mov_b32_e32 v24, 0x7c010000
	s_mov_b32 s23, exec_lo
	v_and_b32_sdwa v96, v3, v13 dst_sel:DWORD dst_unused:UNUSED_PAD src0_sel:WORD_0 src1_sel:DWORD
	v_cmpx_ne_u32_e32 0x7f, v96
	s_cbranch_execz .LBB261_991
; %bb.988:                              ;   in Loop: Header=BB261_12 Depth=1
	v_mov_b32_e32 v13, 7
	v_lshrrev_b32_e32 v22, 3, v96
	s_mov_b32 s24, exec_lo
	v_and_b32_sdwa v13, v3, v13 dst_sel:DWORD dst_unused:UNUSED_PAD src0_sel:WORD_0 src1_sel:DWORD
	v_cmpx_gt_u32_e32 8, v96
; %bb.989:                              ;   in Loop: Header=BB261_12 Depth=1
	v_ffbh_u32_e32 v13, v13
	v_min_u32_e32 v13, 32, v13
	v_subrev_nc_u32_e32 v22, 28, v13
	v_lshlrev_b64 v[122:123], v22, v[3:4]
	v_sub_nc_u32_e32 v22, 29, v13
	v_and_b32_e32 v13, 7, v122
; %bb.990:                              ;   in Loop: Header=BB261_12 Depth=1
	s_or_b32 exec_lo, exec_lo, s24
	v_mov_b32_e32 v24, 8
	v_lshl_add_u32 v22, v22, 10, 0x2000
	v_lshlrev_b32_e32 v13, 23, v13
	v_lshlrev_b32_sdwa v3, v24, v3 dst_sel:DWORD dst_unused:UNUSED_PAD src0_sel:DWORD src1_sel:WORD_0
	v_and_or_b32 v3, 0x8000, v3, v22
	v_lshl_or_b32 v24, v3, 16, v13
.LBB261_991:                            ;   in Loop: Header=BB261_12 Depth=1
	s_or_b32 exec_lo, exec_lo, s23
.LBB261_992:                            ;   in Loop: Header=BB261_12 Depth=1
	s_or_b32 exec_lo, exec_lo, s22
.LBB261_993:                            ;   in Loop: Header=BB261_12 Depth=1
	s_or_b32 exec_lo, exec_lo, s21
	v_lshrrev_b32_e32 v3, 16, v5
	v_mov_b32_e32 v96, 0
	v_mov_b32_e32 v58, 0
	v_cmp_ne_u16_sdwa s7, v3, v4 src0_sel:BYTE_0 src1_sel:DWORD
	s_and_saveexec_b32 s21, s7
	s_cbranch_execz .LBB261_1001
; %bb.994:                              ;   in Loop: Header=BB261_12 Depth=1
	v_cmp_ne_u16_sdwa s7, v3, v66 src0_sel:BYTE_0 src1_sel:DWORD
	v_mov_b32_e32 v58, 0x8000
	s_and_saveexec_b32 s22, s7
	s_cbranch_execz .LBB261_1000
; %bb.995:                              ;   in Loop: Header=BB261_12 Depth=1
	v_bfe_u32 v122, v5, 16, 7
	v_mov_b32_e32 v58, 0x7c01
	s_mov_b32 s23, exec_lo
	v_cmpx_ne_u32_e32 0x7f, v122
	s_cbranch_execz .LBB261_999
; %bb.996:                              ;   in Loop: Header=BB261_12 Depth=1
	v_and_b32_e32 v13, 7, v3
	v_lshrrev_b32_e32 v22, 3, v122
	s_mov_b32 s24, exec_lo
	v_cmpx_gt_u32_e32 8, v122
; %bb.997:                              ;   in Loop: Header=BB261_12 Depth=1
	v_ffbh_u32_e32 v13, v13
	v_min_u32_e32 v13, 32, v13
	v_subrev_nc_u32_e32 v22, 28, v13
	v_lshlrev_b64 v[122:123], v22, v[3:4]
	v_sub_nc_u32_e32 v22, 29, v13
	v_and_b32_e32 v13, 7, v122
; %bb.998:                              ;   in Loop: Header=BB261_12 Depth=1
	s_or_b32 exec_lo, exec_lo, s24
	v_lshlrev_b32_e32 v3, 8, v3
	v_lshl_add_u32 v22, v22, 10, 0x2000
	v_lshlrev_b32_e32 v13, 7, v13
	v_and_b32_e32 v3, 0x8000, v3
	v_and_b32_e32 v22, 0xfc00, v22
	v_or3_b32 v58, v3, v22, v13
.LBB261_999:                            ;   in Loop: Header=BB261_12 Depth=1
	s_or_b32 exec_lo, exec_lo, s23
.LBB261_1000:                           ;   in Loop: Header=BB261_12 Depth=1
	s_or_b32 exec_lo, exec_lo, s22
.LBB261_1001:                           ;   in Loop: Header=BB261_12 Depth=1
	s_or_b32 exec_lo, exec_lo, s21
	s_mov_b32 s21, exec_lo
	v_cmpx_lt_u32_e32 0xffffff, v5
	s_cbranch_execz .LBB261_1009
; %bb.1002:                             ;   in Loop: Header=BB261_12 Depth=1
	v_lshrrev_b32_e32 v3, 24, v5
	v_bfrev_b32_e32 v96, 1
	s_mov_b32 s22, exec_lo
	v_cmpx_ne_u32_e32 0x80, v3
	s_cbranch_execz .LBB261_1008
; %bb.1003:                             ;   in Loop: Header=BB261_12 Depth=1
	v_and_b32_e32 v22, 0x7f, v3
	v_mov_b32_e32 v96, 0x7c010000
	s_mov_b32 s23, exec_lo
	v_cmpx_ne_u32_e32 0x7f, v22
	s_cbranch_execz .LBB261_1007
; %bb.1004:                             ;   in Loop: Header=BB261_12 Depth=1
	v_and_b32_e32 v5, 7, v3
	v_lshrrev_b32_e32 v13, 3, v22
	s_mov_b32 s24, exec_lo
	v_cmpx_gt_u32_e32 8, v22
; %bb.1005:                             ;   in Loop: Header=BB261_12 Depth=1
	v_ffbh_u32_e32 v5, v5
	v_min_u32_e32 v5, 32, v5
	v_subrev_nc_u32_e32 v13, 28, v5
	v_lshlrev_b64 v[122:123], v13, v[3:4]
	v_sub_nc_u32_e32 v13, 29, v5
	v_and_b32_e32 v5, 7, v122
; %bb.1006:                             ;   in Loop: Header=BB261_12 Depth=1
	s_or_b32 exec_lo, exec_lo, s24
	v_lshlrev_b32_e32 v3, 8, v3
	v_lshl_add_u32 v13, v13, 10, 0x2000
	v_lshlrev_b32_e32 v5, 23, v5
	v_and_or_b32 v3, 0x8000, v3, v13
	v_lshl_or_b32 v96, v3, 16, v5
.LBB261_1007:                           ;   in Loop: Header=BB261_12 Depth=1
	s_or_b32 exec_lo, exec_lo, s23
.LBB261_1008:                           ;   in Loop: Header=BB261_12 Depth=1
	s_or_b32 exec_lo, exec_lo, s22
.LBB261_1009:                           ;   in Loop: Header=BB261_12 Depth=1
	s_or_b32 exec_lo, exec_lo, s21
	buffer_load_dword v3, off, s[0:3], s32 offset:196 ; 4-byte Folded Reload
	s_waitcnt vmcnt(0)
	v_add_co_u32 v122, s7, v97, v3
	v_add_co_ci_u32_e64 v123, null, 0, v99, s7
	v_mov_b32_e32 v97, 0
	v_mov_b32_e32 v99, 0
	flat_load_dword v5, v[122:123]
	s_waitcnt vmcnt(0) lgkmcnt(0)
	v_cmp_ne_u16_sdwa s7, v5, v4 src0_sel:BYTE_0 src1_sel:DWORD
	s_and_saveexec_b32 s21, s7
	s_cbranch_execz .LBB261_1017
; %bb.1010:                             ;   in Loop: Header=BB261_12 Depth=1
	v_cmp_ne_u16_sdwa s7, v5, v66 src0_sel:BYTE_0 src1_sel:DWORD
	v_mov_b32_e32 v99, 0x8000
	s_and_saveexec_b32 s22, s7
	s_cbranch_execz .LBB261_1016
; %bb.1011:                             ;   in Loop: Header=BB261_12 Depth=1
	v_and_b32_e32 v22, 0x7f, v5
	v_mov_b32_e32 v99, 0x7c01
	s_mov_b32 s23, exec_lo
	v_cmpx_ne_u32_e32 0x7f, v22
	s_cbranch_execz .LBB261_1015
; %bb.1012:                             ;   in Loop: Header=BB261_12 Depth=1
	v_and_b32_e32 v3, 7, v5
	v_lshrrev_b32_e32 v13, 3, v22
	s_mov_b32 s24, exec_lo
	v_cmpx_gt_u32_e32 8, v22
; %bb.1013:                             ;   in Loop: Header=BB261_12 Depth=1
	v_ffbh_u32_e32 v3, v3
	v_min_u32_e32 v3, 32, v3
	v_subrev_nc_u32_e32 v13, 28, v3
	v_lshlrev_b64 v[122:123], v13, v[5:6]
	v_sub_nc_u32_e32 v13, 29, v3
	v_and_b32_e32 v3, 7, v122
; %bb.1014:                             ;   in Loop: Header=BB261_12 Depth=1
	s_or_b32 exec_lo, exec_lo, s24
	v_lshlrev_b32_e32 v22, 8, v5
	v_lshl_add_u32 v13, v13, 10, 0x2000
	v_lshlrev_b32_e32 v3, 7, v3
	v_and_b32_e32 v22, 0x8000, v22
	v_and_b32_e32 v13, 0xfc00, v13
	v_or3_b32 v99, v22, v13, v3
.LBB261_1015:                           ;   in Loop: Header=BB261_12 Depth=1
	s_or_b32 exec_lo, exec_lo, s23
.LBB261_1016:                           ;   in Loop: Header=BB261_12 Depth=1
	s_or_b32 exec_lo, exec_lo, s22
.LBB261_1017:                           ;   in Loop: Header=BB261_12 Depth=1
	s_or_b32 exec_lo, exec_lo, s21
	v_lshrrev_b16 v3, 8, v5
	s_mov_b32 s21, exec_lo
	v_cmpx_ne_u16_e32 0, v3
	s_cbranch_execz .LBB261_1025
; %bb.1018:                             ;   in Loop: Header=BB261_12 Depth=1
	v_bfrev_b32_e32 v97, 1
	s_mov_b32 s22, exec_lo
	v_cmpx_ne_u16_e32 0x80, v3
	s_cbranch_execz .LBB261_1024
; %bb.1019:                             ;   in Loop: Header=BB261_12 Depth=1
	v_mov_b32_e32 v13, 0x7f
	v_mov_b32_e32 v97, 0x7c010000
	s_mov_b32 s23, exec_lo
	v_and_b32_sdwa v122, v3, v13 dst_sel:DWORD dst_unused:UNUSED_PAD src0_sel:WORD_0 src1_sel:DWORD
	v_cmpx_ne_u32_e32 0x7f, v122
	s_cbranch_execz .LBB261_1023
; %bb.1020:                             ;   in Loop: Header=BB261_12 Depth=1
	v_mov_b32_e32 v13, 7
	v_lshrrev_b32_e32 v22, 3, v122
	s_mov_b32 s24, exec_lo
	v_and_b32_sdwa v13, v3, v13 dst_sel:DWORD dst_unused:UNUSED_PAD src0_sel:WORD_0 src1_sel:DWORD
	v_cmpx_gt_u32_e32 8, v122
; %bb.1021:                             ;   in Loop: Header=BB261_12 Depth=1
	v_ffbh_u32_e32 v13, v13
	v_min_u32_e32 v13, 32, v13
	v_subrev_nc_u32_e32 v22, 28, v13
	v_lshlrev_b64 v[122:123], v22, v[3:4]
	v_sub_nc_u32_e32 v22, 29, v13
	v_and_b32_e32 v13, 7, v122
; %bb.1022:                             ;   in Loop: Header=BB261_12 Depth=1
	s_or_b32 exec_lo, exec_lo, s24
	v_mov_b32_e32 v83, 8
	v_lshl_add_u32 v22, v22, 10, 0x2000
	v_lshlrev_b32_e32 v13, 23, v13
	v_lshlrev_b32_sdwa v3, v83, v3 dst_sel:DWORD dst_unused:UNUSED_PAD src0_sel:DWORD src1_sel:WORD_0
	v_and_or_b32 v3, 0x8000, v3, v22
	v_lshl_or_b32 v97, v3, 16, v13
.LBB261_1023:                           ;   in Loop: Header=BB261_12 Depth=1
	s_or_b32 exec_lo, exec_lo, s23
.LBB261_1024:                           ;   in Loop: Header=BB261_12 Depth=1
	s_or_b32 exec_lo, exec_lo, s22
.LBB261_1025:                           ;   in Loop: Header=BB261_12 Depth=1
	s_or_b32 exec_lo, exec_lo, s21
	v_lshrrev_b32_e32 v3, 16, v5
	v_mov_b32_e32 v13, 0
	v_mov_b32_e32 v22, 0
	v_cmp_ne_u16_sdwa s7, v3, v4 src0_sel:BYTE_0 src1_sel:DWORD
	s_and_saveexec_b32 s21, s7
	s_cbranch_execz .LBB261_1033
; %bb.1026:                             ;   in Loop: Header=BB261_12 Depth=1
	v_cmp_ne_u16_sdwa s7, v3, v66 src0_sel:BYTE_0 src1_sel:DWORD
	v_mov_b32_e32 v22, 0x8000
	s_and_saveexec_b32 s22, s7
	s_cbranch_execz .LBB261_1032
; %bb.1027:                             ;   in Loop: Header=BB261_12 Depth=1
	v_bfe_u32 v123, v5, 16, 7
	v_mov_b32_e32 v22, 0x7c01
	s_mov_b32 s23, exec_lo
	v_cmpx_ne_u32_e32 0x7f, v123
	s_cbranch_execz .LBB261_1031
; %bb.1028:                             ;   in Loop: Header=BB261_12 Depth=1
	v_and_b32_e32 v22, 7, v3
	v_lshrrev_b32_e32 v122, 3, v123
	s_mov_b32 s24, exec_lo
	v_cmpx_gt_u32_e32 8, v123
	s_cbranch_execz .LBB261_1030
; %bb.1029:                             ;   in Loop: Header=BB261_12 Depth=1
	v_ffbh_u32_e32 v22, v22
	v_mov_b32_e32 v122, v124
	v_min_u32_e32 v22, 32, v22
	v_subrev_nc_u32_e32 v83, 28, v22
	v_lshlrev_b64 v[123:124], v83, v[3:4]
	v_mov_b32_e32 v124, v122
	v_sub_nc_u32_e32 v122, 29, v22
	v_and_b32_e32 v22, 7, v123
.LBB261_1030:                           ;   in Loop: Header=BB261_12 Depth=1
	s_or_b32 exec_lo, exec_lo, s24
	v_lshlrev_b32_e32 v3, 8, v3
	v_lshl_add_u32 v83, v122, 10, 0x2000
	v_lshlrev_b32_e32 v22, 7, v22
	v_and_b32_e32 v3, 0x8000, v3
	v_and_b32_e32 v83, 0xfc00, v83
	v_or3_b32 v22, v3, v83, v22
.LBB261_1031:                           ;   in Loop: Header=BB261_12 Depth=1
	s_or_b32 exec_lo, exec_lo, s23
.LBB261_1032:                           ;   in Loop: Header=BB261_12 Depth=1
	s_or_b32 exec_lo, exec_lo, s22
.LBB261_1033:                           ;   in Loop: Header=BB261_12 Depth=1
	s_or_b32 exec_lo, exec_lo, s21
	v_mov_b32_e32 v83, v126
	s_mov_b32 s21, exec_lo
	v_cmpx_lt_u32_e32 0xffffff, v5
	s_cbranch_execz .LBB261_1041
; %bb.1034:                             ;   in Loop: Header=BB261_12 Depth=1
	v_lshrrev_b32_e32 v3, 24, v5
	v_bfrev_b32_e32 v13, 1
	s_mov_b32 s22, exec_lo
	v_cmpx_ne_u32_e32 0x80, v3
	s_cbranch_execz .LBB261_1040
; %bb.1035:                             ;   in Loop: Header=BB261_12 Depth=1
	v_and_b32_e32 v122, 0x7f, v3
	v_mov_b32_e32 v13, 0x7c010000
	s_mov_b32 s23, exec_lo
	v_cmpx_ne_u32_e32 0x7f, v122
	s_cbranch_execz .LBB261_1039
; %bb.1036:                             ;   in Loop: Header=BB261_12 Depth=1
	v_and_b32_e32 v5, 7, v3
	v_lshrrev_b32_e32 v13, 3, v122
	s_mov_b32 s24, exec_lo
	v_cmpx_gt_u32_e32 8, v122
; %bb.1037:                             ;   in Loop: Header=BB261_12 Depth=1
	v_ffbh_u32_e32 v5, v5
	v_min_u32_e32 v5, 32, v5
	v_subrev_nc_u32_e32 v13, 28, v5
	v_lshlrev_b64 v[122:123], v13, v[3:4]
	v_sub_nc_u32_e32 v13, 29, v5
	v_and_b32_e32 v5, 7, v122
; %bb.1038:                             ;   in Loop: Header=BB261_12 Depth=1
	s_or_b32 exec_lo, exec_lo, s24
	v_lshlrev_b32_e32 v3, 8, v3
	v_lshl_add_u32 v13, v13, 10, 0x2000
	v_lshlrev_b32_e32 v5, 23, v5
	v_and_or_b32 v3, 0x8000, v3, v13
	v_lshl_or_b32 v13, v3, 16, v5
.LBB261_1039:                           ;   in Loop: Header=BB261_12 Depth=1
	s_or_b32 exec_lo, exec_lo, s23
.LBB261_1040:                           ;   in Loop: Header=BB261_12 Depth=1
	s_or_b32 exec_lo, exec_lo, s22
.LBB261_1041:                           ;   in Loop: Header=BB261_12 Depth=1
	s_or_b32 exec_lo, exec_lo, s21
	v_or_b32_e32 v3, v24, v25
	v_fma_mixlo_f16 v5, v84, v24, 0 op_sel:[0,1,0] op_sel_hi:[0,1,0]
	v_or_b32_e32 v0, v1, v0
	v_fma_mixlo_f16 v123, v84, v41, 0 op_sel:[0,1,0] op_sel_hi:[0,1,0]
	v_fma_mixlo_f16 v126, v84, v117, 0 op_sel:[0,1,0] op_sel_hi:[0,1,0]
	v_fma_mixlo_f16 v3, v84, v3, 0 op_sel_hi:[0,1,0]
	buffer_store_dword v5, off, s[0:3], s32 offset:308 ; 4-byte Folded Spill
	v_fma_mixlo_f16 v5, v84, v31, 0 op_sel:[0,1,0] op_sel_hi:[0,1,0]
	v_or_b32_e32 v2, v80, v2
	v_fma_mixlo_f16 v25, v84, v112, 0 op_sel:[0,1,0] op_sel_hi:[0,1,0]
	buffer_store_dword v3, off, s[0:3], s32 offset:312 ; 4-byte Folded Spill
	v_or_b32_e32 v3, v96, v58
	buffer_store_dword v5, off, s[0:3], s32 offset:324 ; 4-byte Folded Spill
	v_fma_mixlo_f16 v5, v84, v7, 0 op_sel:[0,1,0] op_sel_hi:[0,1,0]
	v_fma_mixlo_f16 v58, v84, v109, 0 op_sel:[0,1,0] op_sel_hi:[0,1,0]
	v_or_b32_e32 v22, v13, v22
	v_fma_mixlo_f16 v3, v84, v3, 0 op_sel_hi:[0,1,0]
	v_fma_mixlo_f16 v13, v84, v13, 0 op_sel:[0,1,0] op_sel_hi:[0,1,0]
	buffer_store_dword v5, off, s[0:3], s32 offset:340 ; 4-byte Folded Spill
	v_fma_mixlo_f16 v5, v84, v6, 0 op_sel:[0,1,0] op_sel_hi:[0,1,0]
	buffer_store_dword v3, off, s[0:3], s32 offset:304 ; 4-byte Folded Spill
	;; [unrolled: 2-line block ×3, first 2 shown]
	buffer_store_dword v3, off, s[0:3], s32 offset:300 ; 4-byte Folded Spill
	v_or_b32_e32 v3, v31, v34
	v_fma_mixlo_f16 v31, v84, v14, 0 op_sel:[0,1,0] op_sel_hi:[0,1,0]
	v_fma_mixlo_f16 v3, v84, v3, 0 op_sel_hi:[0,1,0]
	buffer_store_dword v3, off, s[0:3], s32 offset:328 ; 4-byte Folded Spill
	v_or_b32_e32 v3, v23, v49
	v_fma_mixlo_f16 v49, v84, v83, 0 op_sel:[0,1,0] op_sel_hi:[0,1,0]
	v_fma_mixlo_f16 v3, v84, v3, 0 op_sel_hi:[0,1,0]
	buffer_store_dword v3, off, s[0:3], s32 offset:320 ; 4-byte Folded Spill
	v_fma_mixlo_f16 v3, v84, v23, 0 op_sel:[0,1,0] op_sel_hi:[0,1,0]
	v_or_b32_e32 v23, v83, v127
	v_or_b32_e32 v83, v97, v99
	v_fma_mixlo_f16 v97, v84, v97, 0 op_sel:[0,1,0] op_sel_hi:[0,1,0]
	buffer_store_dword v3, off, s[0:3], s32 offset:316 ; 4-byte Folded Spill
	v_or_b32_e32 v3, v7, v8
	v_or_b32_e32 v8, v28, v70
	v_fma_mixlo_f16 v23, v84, v23, 0 op_sel_hi:[0,1,0]
	v_fma_mixlo_f16 v99, v84, v83, 0 op_sel_hi:[0,1,0]
	;; [unrolled: 1-line block ×3, first 2 shown]
	buffer_store_dword v3, off, s[0:3], s32 offset:344 ; 4-byte Folded Spill
	v_or_b32_e32 v3, v29, v27
	v_fma_mixlo_f16 v3, v84, v3, 0 op_sel_hi:[0,1,0]
	buffer_store_dword v3, off, s[0:3], s32 offset:336 ; 4-byte Folded Spill
	v_fma_mixlo_f16 v3, v84, v29, 0 op_sel:[0,1,0] op_sel_hi:[0,1,0]
	v_fma_mixlo_f16 v29, v84, v113, 0 op_sel:[0,1,0] op_sel_hi:[0,1,0]
	buffer_store_dword v3, off, s[0:3], s32 offset:332 ; 4-byte Folded Spill
	v_or_b32_e32 v3, v6, v11
	v_fma_mixlo_f16 v11, v84, v28, 0 op_sel:[0,1,0] op_sel_hi:[0,1,0]
	v_fma_mixlo_f16 v28, v84, v8, 0 op_sel_hi:[0,1,0]
	v_fma_mixlo_f16 v3, v84, v3, 0 op_sel_hi:[0,1,0]
	buffer_store_dword v3, off, s[0:3], s32 offset:360 ; 4-byte Folded Spill
	v_or_b32_e32 v3, v48, v54
	v_fma_mixlo_f16 v3, v84, v3, 0 op_sel_hi:[0,1,0]
	buffer_store_dword v3, off, s[0:3], s32 offset:352 ; 4-byte Folded Spill
	v_fma_mixlo_f16 v3, v84, v48, 0 op_sel:[0,1,0] op_sel_hi:[0,1,0]
	v_fma_mixlo_f16 v48, v84, v12, 0 op_sel:[0,1,0] op_sel_hi:[0,1,0]
	buffer_store_dword v3, off, s[0:3], s32 offset:348 ; 4-byte Folded Spill
	v_or_b32_e32 v3, v12, v30
	v_fma_mixlo_f16 v12, v84, v1, 0 op_sel:[0,1,0] op_sel_hi:[0,1,0]
	v_fma_mixlo_f16 v54, v84, v3, 0 op_sel_hi:[0,1,0]
	v_or_b32_e32 v3, v39, v85
	v_fma_mixlo_f16 v85, v84, v45, 0 op_sel:[0,1,0] op_sel_hi:[0,1,0]
	v_fma_mixlo_f16 v3, v84, v3, 0 op_sel_hi:[0,1,0]
	buffer_store_dword v3, off, s[0:3], s32 offset:368 ; 4-byte Folded Spill
	v_fma_mixlo_f16 v3, v84, v39, 0 op_sel:[0,1,0] op_sel_hi:[0,1,0]
	v_fma_mixlo_f16 v39, v84, v67, 0 op_sel:[0,1,0] op_sel_hi:[0,1,0]
	buffer_store_dword v3, off, s[0:3], s32 offset:364 ; 4-byte Folded Spill
	v_or_b32_e32 v3, v14, v26
	v_fma_mixlo_f16 v26, v84, v20, 0 op_sel:[0,1,0] op_sel_hi:[0,1,0]
	v_fma_mixlo_f16 v30, v84, v3, 0 op_sel_hi:[0,1,0]
	v_or_b32_e32 v3, v67, v71
	v_fma_mixlo_f16 v71, v84, v3, 0 op_sel_hi:[0,1,0]
	v_or_b32_e32 v3, v20, v21
	v_fma_mixlo_f16 v21, v84, v15, 0 op_sel:[0,1,0] op_sel_hi:[0,1,0]
	v_fma_mixlo_f16 v67, v84, v3, 0 op_sel_hi:[0,1,0]
	v_or_b32_e32 v3, v52, v86
	v_fma_mixlo_f16 v86, v84, v19, 0 op_sel:[0,1,0] op_sel_hi:[0,1,0]
	v_fma_mixlo_f16 v52, v84, v52, 0 op_sel:[0,1,0] op_sel_hi:[0,1,0]
	v_fma_mixlo_f16 v27, v84, v3, 0 op_sel_hi:[0,1,0]
	v_or_b32_e32 v3, v35, v38
	v_fma_mixlo_f16 v38, v84, v35, 0 op_sel:[0,1,0] op_sel_hi:[0,1,0]
	v_fma_mixlo_f16 v35, v84, v3, 0 op_sel_hi:[0,1,0]
	v_or_b32_e32 v3, v81, v82
	v_fma_mixlo_f16 v81, v84, v81, 0 op_sel:[0,1,0] op_sel_hi:[0,1,0]
	v_fma_mixlo_f16 v82, v84, v3, 0 op_sel_hi:[0,1,0]
	v_or_b32_e32 v3, v19, v68
	v_fma_mixlo_f16 v19, v84, v33, 0 op_sel:[0,1,0] op_sel_hi:[0,1,0]
	v_fma_mixlo_f16 v96, v84, v3, 0 op_sel_hi:[0,1,0]
	v_or_b32_e32 v3, v112, v114
	v_fma_mixlo_f16 v112, v84, v36, 0 op_sel:[0,1,0] op_sel_hi:[0,1,0]
	v_fma_mixlo_f16 v68, v84, v3, 0 op_sel_hi:[0,1,0]
	v_or_b32_e32 v3, v36, v98
	v_fma_mixlo_f16 v36, v84, v42, 0 op_sel:[0,1,0] op_sel_hi:[0,1,0]
	v_fma_mixlo_f16 v114, v84, v3, 0 op_sel_hi:[0,1,0]
	v_or_b32_e32 v3, v42, v44
	v_fma_mixlo_f16 v42, v84, v53, 0 op_sel:[0,1,0] op_sel_hi:[0,1,0]
	v_fma_mixlo_f16 v98, v84, v3, 0 op_sel_hi:[0,1,0]
	v_or_b32_e32 v3, v53, v116
	v_fma_mixlo_f16 v53, v84, v46, 0 op_sel:[0,1,0] op_sel_hi:[0,1,0]
	v_fma_mixlo_f16 v44, v84, v3, 0 op_sel_hi:[0,1,0]
	v_or_b32_e32 v3, v46, v56
	v_fma_mixlo_f16 v46, v84, v100, 0 op_sel:[0,1,0] op_sel_hi:[0,1,0]
	v_fma_mixlo_f16 v56, v84, v10, 0 op_sel:[0,1,0] op_sel_hi:[0,1,0]
	v_fma_mixlo_f16 v116, v84, v3, 0 op_sel_hi:[0,1,0]
	v_or_b32_e32 v3, v100, v102
	v_fma_mixlo_f16 v100, v84, v118, 0 op_sel:[0,1,0] op_sel_hi:[0,1,0]
	v_fma_mixlo_f16 v24, v84, v3, 0 op_sel_hi:[0,1,0]
	v_or_b32_e32 v3, v118, v40
	v_fma_mixlo_f16 v40, v84, v2, 0 op_sel_hi:[0,1,0]
	v_or_b32_e32 v2, v69, v55
	v_fma_mixlo_f16 v118, v84, v80, 0 op_sel:[0,1,0] op_sel_hi:[0,1,0]
	v_fma_mixlo_f16 v55, v84, v69, 0 op_sel:[0,1,0] op_sel_hi:[0,1,0]
	v_fma_mixlo_f16 v102, v84, v3, 0 op_sel_hi:[0,1,0]
	v_or_b32_e32 v3, v33, v121
	v_fma_mixlo_f16 v33, v84, v0, 0 op_sel_hi:[0,1,0]
	v_or_b32_e32 v0, v109, v18
	v_fma_mixlo_f16 v109, v84, v111, 0 op_sel:[0,1,0] op_sel_hi:[0,1,0]
	v_fma_mixlo_f16 v80, v84, v2, 0 op_sel_hi:[0,1,0]
	v_or_b32_e32 v2, v51, v9
	v_fma_mixlo_f16 v51, v84, v51, 0 op_sel:[0,1,0] op_sel_hi:[0,1,0]
	;; [unrolled: 3-line block ×3, first 2 shown]
	v_fma_mixlo_f16 v69, v84, v2, 0 op_sel_hi:[0,1,0]
	v_or_b32_e32 v2, v15, v125
	v_fma_mixlo_f16 v15, v84, v3, 0 op_sel_hi:[0,1,0]
	v_fma_mixlo_f16 v7, v84, v0, 0 op_sel_hi:[0,1,0]
	v_or_b32_e32 v0, v105, v106
	v_fma_mixlo_f16 v105, v84, v107, 0 op_sel:[0,1,0] op_sel_hi:[0,1,0]
	v_fma_mixlo_f16 v20, v84, v2, 0 op_sel_hi:[0,1,0]
	v_or_b32_e32 v2, v10, v87
	v_fma_mixlo_f16 v87, v84, v101, 0 op_sel:[0,1,0] op_sel_hi:[0,1,0]
	;; [unrolled: 3-line block ×3, first 2 shown]
	v_fma_mixlo_f16 v14, v84, v2, 0 op_sel_hi:[0,1,0]
	v_fma_mixlo_f16 v106, v84, v0, 0 op_sel_hi:[0,1,0]
	v_or_b32_e32 v0, v93, v94
	v_fma_mixlo_f16 v93, v84, v95, 0 op_sel:[0,1,0] op_sel_hi:[0,1,0]
	v_fma_mixlo_f16 v108, v84, v0, 0 op_sel_hi:[0,1,0]
	v_or_b32_e32 v0, v95, v104
	v_fma_mixlo_f16 v95, v84, v89, 0 op_sel:[0,1,0] op_sel_hi:[0,1,0]
	;; [unrolled: 3-line block ×10, first 2 shown]
	v_fma_mixlo_f16 v62, v84, v0, 0 op_sel_hi:[0,1,0]
	buffer_load_dword v0, off, s[0:3], s32 offset:272 ; 4-byte Folded Reload
	s_waitcnt vmcnt(0)
	v_or_b32_e32 v0, v57, v0
	v_fma_mixlo_f16 v57, v84, v59, 0 op_sel:[0,1,0] op_sel_hi:[0,1,0]
	v_fma_mixlo_f16 v72, v84, v0, 0 op_sel_hi:[0,1,0]
	v_or_b32_e32 v0, v59, v60
	v_fma_mixlo_f16 v60, v84, v0, 0 op_sel_hi:[0,1,0]
	buffer_load_dword v0, off, s[0:3], s32 offset:264 ; 4-byte Folded Reload
	s_waitcnt vmcnt(0)
	v_or_b32_e32 v0, v45, v0
	v_fma_mixlo_f16 v45, v84, v47, 0 op_sel:[0,1,0] op_sel_hi:[0,1,0]
	v_fma_mixlo_f16 v122, v84, v0, 0 op_sel_hi:[0,1,0]
	buffer_load_dword v0, off, s[0:3], s32 offset:268 ; 4-byte Folded Reload
	s_waitcnt vmcnt(0)
	v_or_b32_e32 v0, v47, v0
	v_fma_mixlo_f16 v59, v84, v0, 0 op_sel_hi:[0,1,0]
	buffer_load_dword v0, off, s[0:3], s32 offset:256 ; 4-byte Folded Reload
	s_waitcnt vmcnt(0)
	v_or_b32_e32 v0, v41, v0
	v_fma_mixlo_f16 v41, v84, v43, 0 op_sel:[0,1,0] op_sel_hi:[0,1,0]
	v_fma_mixlo_f16 v6, v84, v0, 0 op_sel_hi:[0,1,0]
	buffer_load_dword v0, off, s[0:3], s32 offset:260 ; 4-byte Folded Reload
	s_waitcnt vmcnt(0)
	;; [unrolled: 9-line block ×3, first 2 shown]
	v_or_b32_e32 v0, v119, v0
	v_fma_mixlo_f16 v43, v84, v0, 0 op_sel_hi:[0,1,0]
	buffer_load_dword v0, off, s[0:3], s32 offset:240 ; 4-byte Folded Reload
	s_waitcnt vmcnt(0)
	v_or_b32_e32 v0, v113, v0
	v_fma_mixlo_f16 v113, v84, v115, 0 op_sel:[0,1,0] op_sel_hi:[0,1,0]
	v_fma_mixlo_f16 v8, v84, v0, 0 op_sel_hi:[0,1,0]
	buffer_load_dword v0, off, s[0:3], s32 offset:244 ; 4-byte Folded Reload
	v_and_b32_e32 v8, 0xffff, v8
	s_waitcnt vmcnt(0)
	v_or_b32_e32 v0, v115, v0
	v_fma_mixlo_f16 v119, v84, v0, 0 op_sel_hi:[0,1,0]
	buffer_load_dword v0, off, s[0:3], s32 offset:232 ; 4-byte Folded Reload
	s_waitcnt vmcnt(0)
	v_or_b32_e32 v0, v101, v0
	v_fma_mixlo_f16 v101, v84, v50, 0 op_sel:[0,1,0] op_sel_hi:[0,1,0]
	v_fma_mixlo_f16 v34, v84, v0, 0 op_sel_hi:[0,1,0]
	buffer_load_dword v0, off, s[0:3], s32 offset:236 ; 4-byte Folded Reload
	s_waitcnt vmcnt(0)
	v_or_b32_e32 v0, v50, v0
	v_fma_mixlo_f16 v115, v84, v0, 0 op_sel_hi:[0,1,0]
	s_clause 0x2
	buffer_load_dword v0, off, s[0:3], s32 offset:220
	buffer_load_dword v1, off, s[0:3], s32 offset:224
	;; [unrolled: 1-line block ×3, first 2 shown]
	s_waitcnt vmcnt(1)
	v_or_b32_e32 v1, v0, v1
	s_waitcnt vmcnt(0)
	v_or_b32_e32 v9, v103, v2
	buffer_load_dword v2, off, s[0:3], s32 offset:216 ; 4-byte Folded Reload
	v_fma_mixlo_f16 v0, v84, v0, 0 op_sel:[0,1,0] op_sel_hi:[0,1,0]
	v_fma_mixlo_f16 v1, v84, v1, 0 op_sel_hi:[0,1,0]
	v_fma_mixlo_f16 v10, v84, v9, 0 op_sel_hi:[0,1,0]
	v_fma_mixlo_f16 v9, v84, v103, 0 op_sel:[0,1,0] op_sel_hi:[0,1,0]
	v_and_b32_e32 v0, 0xffff, v0
	v_and_b32_e32 v1, 0xffff, v1
	;; [unrolled: 1-line block ×4, first 2 shown]
	s_waitcnt vmcnt(0)
	v_or_b32_e32 v50, v124, v2
	v_fma_mixlo_f16 v103, v84, v50, 0 op_sel_hi:[0,1,0]
	v_fma_mixlo_f16 v50, v84, v124, 0 op_sel:[0,1,0] op_sel_hi:[0,1,0]
	v_fma_mixlo_f16 v124, v84, v22, 0 op_sel_hi:[0,1,0]
	ds_read_b64 v[83:84], v64
	s_waitcnt lgkmcnt(0)
	v_and_b32_e32 v3, 0xffff, v83
	v_lshrrev_b32_e32 v2, 16, v83
	;;#ASMSTART
	v_cvt_f32_f16 v83, v3;
	;;#ASMEND
	v_and_b32_e32 v3, 0xffff, v23
	;;#ASMSTART
	v_cvt_f32_f16 v2, v2;
	;;#ASMEND
	;;#ASMSTART
	v_cvt_f32_f16 v70, v3;
	;;#ASMEND
	v_and_b32_e32 v3, 0xffff, v49
	v_and_b32_e32 v18, 0xffff, v84
	;;#ASMSTART
	v_cvt_f32_f16 v49, v3;
	;;#ASMEND
	v_lshrrev_b32_e32 v3, 16, v84
	;;#ASMSTART
	v_cvt_f32_f16 v84, v18;
	;;#ASMEND
	v_and_b32_e32 v18, 0xffff, v103
	;;#ASMSTART
	v_cvt_f32_f16 v3, v3;
	;;#ASMEND
	;;#ASMSTART
	v_cvt_f32_f16 v103, v18;
	;;#ASMEND
	v_and_b32_e32 v18, 0xffff, v50
	;;#ASMSTART
	v_cvt_f32_f16 v50, v18;
	;;#ASMEND
	ds_read_b64 v[22:23], v64 offset:8
	s_waitcnt lgkmcnt(0)
	v_lshrrev_b32_e32 v18, 16, v22
	v_and_b32_e32 v22, 0xffff, v22
	;;#ASMSTART
	v_cvt_f32_f16 v22, v22;
	;;#ASMEND
	;;#ASMSTART
	v_cvt_f32_f16 v125, v18;
	;;#ASMEND
	;; [unrolled: 3-line block ×4, first 2 shown]
	v_mul_f32_e32 v0, v22, v1
	v_mul_f32_e32 v1, v125, v18
	v_lshrrev_b32_e32 v18, 16, v23
	v_fmac_f32_e32 v0, v83, v70
	v_fmac_f32_e32 v1, v2, v49
	v_and_b32_e32 v2, 0xffff, v23
	;;#ASMSTART
	v_cvt_f32_f16 v2, v2;
	;;#ASMEND
	;;#ASMSTART
	v_cvt_f32_f16 v18, v18;
	;;#ASMEND
	;; [unrolled: 3-line block ×4, first 2 shown]
	v_mul_f32_e32 v9, v2, v10
	v_mul_f32_e32 v10, v18, v22
	ds_read_b64 v[22:23], v64 offset:16
	v_and_b32_e32 v18, 0xffff, v34
	v_fmac_f32_e32 v9, v84, v103
	v_fmac_f32_e32 v10, v3, v50
	s_waitcnt lgkmcnt(0)
	v_lshrrev_b32_e32 v3, 16, v22
	v_and_b32_e32 v2, 0xffff, v22
	v_and_b32_e32 v22, 0xffff, v87
	;;#ASMSTART
	v_cvt_f32_f16 v2, v2;
	;;#ASMEND
	;;#ASMSTART
	v_cvt_f32_f16 v3, v3;
	;;#ASMEND
	;; [unrolled: 3-line block ×4, first 2 shown]
	v_fmac_f32_e32 v0, v2, v18
	v_fmac_f32_e32 v1, v3, v22
	v_lshrrev_b32_e32 v3, 16, v23
	v_and_b32_e32 v2, 0xffff, v23
	v_and_b32_e32 v18, 0xffff, v115
	v_and_b32_e32 v22, 0xffff, v101
	;;#ASMSTART
	v_cvt_f32_f16 v2, v2;
	;;#ASMEND
	;;#ASMSTART
	v_cvt_f32_f16 v3, v3;
	;;#ASMEND
	;; [unrolled: 3-line block ×4, first 2 shown]
	v_fmac_f32_e32 v10, v3, v22
	ds_read_b64 v[22:23], v64 offset:24
	v_fmac_f32_e32 v9, v2, v18
	v_and_b32_e32 v18, 0xffff, v29
	s_waitcnt lgkmcnt(0)
	v_lshrrev_b32_e32 v3, 16, v22
	v_and_b32_e32 v2, 0xffff, v22
	;;#ASMSTART
	v_cvt_f32_f16 v2, v2;
	;;#ASMEND
	;;#ASMSTART
	v_cvt_f32_f16 v3, v3;
	;;#ASMEND
	;; [unrolled: 3-line block ×4, first 2 shown]
	v_fmac_f32_e32 v0, v2, v8
	v_fmac_f32_e32 v1, v3, v18
	v_lshrrev_b32_e32 v3, 16, v23
	v_and_b32_e32 v2, 0xffff, v23
	v_and_b32_e32 v8, 0xffff, v119
	;; [unrolled: 1-line block ×3, first 2 shown]
	;;#ASMSTART
	v_cvt_f32_f16 v2, v2;
	;;#ASMEND
	;;#ASMSTART
	v_cvt_f32_f16 v3, v3;
	;;#ASMEND
	;; [unrolled: 3-line block ×4, first 2 shown]
	ds_read_b64 v[22:23], v64 offset:32
	v_fmac_f32_e32 v9, v2, v8
	v_fmac_f32_e32 v10, v3, v18
	v_and_b32_e32 v8, 0xffff, v5
	v_and_b32_e32 v18, 0xffff, v126
	;; [unrolled: 1-line block ×4, first 2 shown]
	s_waitcnt lgkmcnt(0)
	v_lshrrev_b32_e32 v3, 16, v22
	v_and_b32_e32 v2, 0xffff, v22
	;;#ASMSTART
	v_cvt_f32_f16 v2, v2;
	;;#ASMEND
	;;#ASMSTART
	v_cvt_f32_f16 v3, v3;
	;;#ASMEND
	;; [unrolled: 3-line block ×4, first 2 shown]
	v_fmac_f32_e32 v0, v2, v8
	v_fmac_f32_e32 v1, v3, v18
	v_lshrrev_b32_e32 v3, 16, v23
	v_and_b32_e32 v2, 0xffff, v23
	v_and_b32_e32 v8, 0xffff, v43
	;; [unrolled: 1-line block ×3, first 2 shown]
	;;#ASMSTART
	v_cvt_f32_f16 v2, v2;
	;;#ASMEND
	;;#ASMSTART
	v_cvt_f32_f16 v3, v3;
	;;#ASMEND
	;; [unrolled: 3-line block ×4, first 2 shown]
	ds_read_b64 v[22:23], v64 offset:40
	v_fmac_f32_e32 v9, v2, v8
	v_fmac_f32_e32 v10, v3, v18
	v_and_b32_e32 v8, 0xffff, v6
	v_and_b32_e32 v18, 0xffff, v123
	;; [unrolled: 1-line block ×3, first 2 shown]
	s_waitcnt lgkmcnt(0)
	v_lshrrev_b32_e32 v3, 16, v22
	v_and_b32_e32 v2, 0xffff, v22
	;;#ASMSTART
	v_cvt_f32_f16 v2, v2;
	;;#ASMEND
	;;#ASMSTART
	v_cvt_f32_f16 v3, v3;
	;;#ASMEND
	;;#ASMSTART
	v_cvt_f32_f16 v8, v8;
	;;#ASMEND
	;;#ASMSTART
	v_cvt_f32_f16 v18, v18;
	;;#ASMEND
	v_fmac_f32_e32 v0, v2, v8
	v_fmac_f32_e32 v1, v3, v18
	v_lshrrev_b32_e32 v3, 16, v23
	v_and_b32_e32 v2, 0xffff, v23
	v_and_b32_e32 v8, 0xffff, v47
	v_and_b32_e32 v18, 0xffff, v41
	;;#ASMSTART
	v_cvt_f32_f16 v2, v2;
	;;#ASMEND
	;;#ASMSTART
	v_cvt_f32_f16 v3, v3;
	;;#ASMEND
	;;#ASMSTART
	v_cvt_f32_f16 v8, v8;
	;;#ASMEND
	;;#ASMSTART
	v_cvt_f32_f16 v18, v18;
	;;#ASMEND
	ds_read_b64 v[22:23], v64 offset:48
	v_fmac_f32_e32 v9, v2, v8
	v_fmac_f32_e32 v10, v3, v18
	v_and_b32_e32 v8, 0xffff, v122
	v_and_b32_e32 v18, 0xffff, v85
	s_waitcnt lgkmcnt(0)
	v_lshrrev_b32_e32 v3, 16, v22
	v_and_b32_e32 v2, 0xffff, v22
	;;#ASMSTART
	v_cvt_f32_f16 v2, v2;
	;;#ASMEND
	;;#ASMSTART
	v_cvt_f32_f16 v3, v3;
	;;#ASMEND
	;;#ASMSTART
	v_cvt_f32_f16 v8, v8;
	;;#ASMEND
	;;#ASMSTART
	v_cvt_f32_f16 v18, v18;
	;;#ASMEND
	v_fmac_f32_e32 v0, v2, v8
	v_fmac_f32_e32 v1, v3, v18
	v_lshrrev_b32_e32 v3, 16, v23
	v_and_b32_e32 v2, 0xffff, v23
	v_and_b32_e32 v8, 0xffff, v59
	v_and_b32_e32 v18, 0xffff, v45
	;;#ASMSTART
	v_cvt_f32_f16 v2, v2;
	;;#ASMEND
	;;#ASMSTART
	v_cvt_f32_f16 v3, v3;
	;;#ASMEND
	;;#ASMSTART
	v_cvt_f32_f16 v8, v8;
	;;#ASMEND
	;;#ASMSTART
	v_cvt_f32_f16 v18, v18;
	;;#ASMEND
	ds_read_b64 v[22:23], v64 offset:56
	v_fmac_f32_e32 v9, v2, v8
	v_fmac_f32_e32 v10, v3, v18
	v_and_b32_e32 v8, 0xffff, v72
	v_and_b32_e32 v18, 0xffff, v63
	;; [unrolled: 38-line block ×9, first 2 shown]
	s_waitcnt lgkmcnt(0)
	v_lshrrev_b32_e32 v3, 16, v22
	v_and_b32_e32 v2, 0xffff, v22
	;;#ASMSTART
	v_cvt_f32_f16 v2, v2;
	;;#ASMEND
	;;#ASMSTART
	v_cvt_f32_f16 v3, v3;
	;;#ASMEND
	;; [unrolled: 3-line block ×4, first 2 shown]
	v_fmac_f32_e32 v0, v2, v8
	v_fmac_f32_e32 v1, v3, v18
	v_lshrrev_b32_e32 v3, 16, v23
	v_and_b32_e32 v2, 0xffff, v23
	v_and_b32_e32 v8, 0xffff, v109
	;;#ASMSTART
	v_cvt_f32_f16 v2, v2;
	;;#ASMEND
	;;#ASMSTART
	v_cvt_f32_f16 v3, v3;
	;;#ASMEND
	;; [unrolled: 3-line block ×4, first 2 shown]
	ds_read_b64 v[22:23], v64 offset:120
	v_fmac_f32_e32 v9, v2, v5
	v_fmac_f32_e32 v10, v3, v8
	v_and_b32_e32 v5, 0xffff, v28
	s_waitcnt lgkmcnt(0)
	v_lshrrev_b32_e32 v3, 16, v22
	v_and_b32_e32 v2, 0xffff, v22
	;;#ASMSTART
	v_cvt_f32_f16 v2, v2;
	;;#ASMEND
	;;#ASMSTART
	v_cvt_f32_f16 v3, v3;
	;;#ASMEND
	;;#ASMSTART
	v_cvt_f32_f16 v5, v5;
	;;#ASMEND
	;;#ASMSTART
	v_cvt_f32_f16 v6, v6;
	;;#ASMEND
	v_fmac_f32_e32 v0, v2, v5
	v_fmac_f32_e32 v1, v3, v6
	v_lshrrev_b32_e32 v3, 16, v23
	v_and_b32_e32 v2, 0xffff, v23
	v_and_b32_e32 v5, 0xffff, v33
	;; [unrolled: 1-line block ×3, first 2 shown]
	;;#ASMSTART
	v_cvt_f32_f16 v2, v2;
	;;#ASMEND
	;;#ASMSTART
	v_cvt_f32_f16 v3, v3;
	;;#ASMEND
	;; [unrolled: 3-line block ×4, first 2 shown]
	ds_read_b64 v[22:23], v64 offset:128
	v_fmac_f32_e32 v9, v2, v5
	v_fmac_f32_e32 v10, v3, v6
	v_and_b32_e32 v5, 0xffff, v14
	v_and_b32_e32 v6, 0xffff, v56
	s_waitcnt lgkmcnt(0)
	v_lshrrev_b32_e32 v3, 16, v22
	v_and_b32_e32 v2, 0xffff, v22
	;;#ASMSTART
	v_cvt_f32_f16 v2, v2;
	;;#ASMEND
	;;#ASMSTART
	v_cvt_f32_f16 v3, v3;
	;;#ASMEND
	;; [unrolled: 3-line block ×4, first 2 shown]
	v_fmac_f32_e32 v0, v2, v5
	v_fmac_f32_e32 v1, v3, v6
	v_lshrrev_b32_e32 v3, 16, v23
	v_and_b32_e32 v2, 0xffff, v23
	;;#ASMSTART
	v_cvt_f32_f16 v2, v2;
	;;#ASMEND
	;;#ASMSTART
	v_cvt_f32_f16 v3, v3;
	;;#ASMEND
	v_and_b32_e32 v5, 0xffff, v15
	v_and_b32_e32 v6, 0xffff, v19
	;;#ASMSTART
	v_cvt_f32_f16 v5, v5;
	;;#ASMEND
	;;#ASMSTART
	v_cvt_f32_f16 v6, v6;
	;;#ASMEND
	v_fmac_f32_e32 v9, v2, v5
	v_fmac_f32_e32 v10, v3, v6
	ds_read_b64 v[2:3], v64 offset:136
	v_and_b32_e32 v6, 0xffff, v69
	s_waitcnt lgkmcnt(0)
	v_lshrrev_b32_e32 v5, 16, v2
	v_and_b32_e32 v2, 0xffff, v2
	;;#ASMSTART
	v_cvt_f32_f16 v2, v2;
	;;#ASMEND
	;;#ASMSTART
	v_cvt_f32_f16 v5, v5;
	;;#ASMEND
	;;#ASMSTART
	v_cvt_f32_f16 v6, v6;
	;;#ASMEND
	;;#ASMSTART
	v_cvt_f32_f16 v7, v7;
	;;#ASMEND
	v_fmac_f32_e32 v0, v2, v6
	v_fmac_f32_e32 v1, v5, v7
	v_lshrrev_b32_e32 v5, 16, v3
	v_and_b32_e32 v2, 0xffff, v3
	;;#ASMSTART
	v_cvt_f32_f16 v2, v2;
	;;#ASMEND
	;;#ASMSTART
	v_cvt_f32_f16 v3, v5;
	;;#ASMEND
	v_and_b32_e32 v5, 0xffff, v20
	v_and_b32_e32 v6, 0xffff, v21
	;;#ASMSTART
	v_cvt_f32_f16 v5, v5;
	;;#ASMEND
	;;#ASMSTART
	v_cvt_f32_f16 v6, v6;
	;;#ASMEND
	v_fmac_f32_e32 v9, v2, v5
	v_fmac_f32_e32 v10, v3, v6
	ds_read_b64 v[2:3], v64 offset:144
	v_and_b32_e32 v6, 0xffff, v40
	v_and_b32_e32 v7, 0xffff, v118
	s_waitcnt lgkmcnt(0)
	v_lshrrev_b32_e32 v5, 16, v2
	v_and_b32_e32 v2, 0xffff, v2
	;;#ASMSTART
	v_cvt_f32_f16 v2, v2;
	;;#ASMEND
	;;#ASMSTART
	v_cvt_f32_f16 v5, v5;
	;;#ASMEND
	;;#ASMSTART
	v_cvt_f32_f16 v6, v6;
	;;#ASMEND
	;;#ASMSTART
	v_cvt_f32_f16 v7, v7;
	;;#ASMEND
	v_fmac_f32_e32 v0, v2, v6
	v_fmac_f32_e32 v1, v5, v7
	v_lshrrev_b32_e32 v5, 16, v3
	v_and_b32_e32 v2, 0xffff, v3
	;;#ASMSTART
	v_cvt_f32_f16 v2, v2;
	;;#ASMEND
	;;#ASMSTART
	v_cvt_f32_f16 v3, v5;
	;;#ASMEND
	v_and_b32_e32 v5, 0xffff, v80
	v_and_b32_e32 v6, 0xffff, v55
	;;#ASMSTART
	v_cvt_f32_f16 v5, v5;
	;;#ASMEND
	;;#ASMSTART
	v_cvt_f32_f16 v6, v6;
	;;#ASMEND
	v_fmac_f32_e32 v9, v2, v5
	v_fmac_f32_e32 v10, v3, v6
	ds_read_b64 v[2:3], v64 offset:152
	v_and_b32_e32 v6, 0xffff, v24
	;; [unrolled: 38-line block ×9, first 2 shown]
	v_and_b32_e32 v7, 0xffff, v48
	s_waitcnt lgkmcnt(0)
	v_lshrrev_b32_e32 v5, 16, v2
	v_and_b32_e32 v2, 0xffff, v2
	;;#ASMSTART
	v_cvt_f32_f16 v2, v2;
	;;#ASMEND
	;;#ASMSTART
	v_cvt_f32_f16 v5, v5;
	;;#ASMEND
	;; [unrolled: 3-line block ×4, first 2 shown]
	v_fmac_f32_e32 v0, v2, v6
	v_fmac_f32_e32 v1, v5, v7
	v_lshrrev_b32_e32 v5, 16, v3
	v_and_b32_e32 v2, 0xffff, v3
	;;#ASMSTART
	v_cvt_f32_f16 v2, v2;
	;;#ASMEND
	;;#ASMSTART
	v_cvt_f32_f16 v3, v5;
	;;#ASMEND
	buffer_load_dword v5, off, s[0:3], s32 offset:368 ; 4-byte Folded Reload
	s_waitcnt vmcnt(0)
	v_and_b32_e32 v5, 0xffff, v5
	;;#ASMSTART
	v_cvt_f32_f16 v5, v5;
	;;#ASMEND
	buffer_load_dword v6, off, s[0:3], s32 offset:364 ; 4-byte Folded Reload
	v_fmac_f32_e32 v9, v2, v5
	s_waitcnt vmcnt(0)
	v_and_b32_e32 v6, 0xffff, v6
	;;#ASMSTART
	v_cvt_f32_f16 v6, v6;
	;;#ASMEND
	v_fmac_f32_e32 v10, v3, v6
	ds_read_b64 v[2:3], v64 offset:216
	s_waitcnt lgkmcnt(0)
	v_lshrrev_b32_e32 v5, 16, v2
	v_and_b32_e32 v2, 0xffff, v2
	;;#ASMSTART
	v_cvt_f32_f16 v2, v2;
	;;#ASMEND
	;;#ASMSTART
	v_cvt_f32_f16 v5, v5;
	;;#ASMEND
	buffer_load_dword v6, off, s[0:3], s32 offset:360 ; 4-byte Folded Reload
	s_waitcnt vmcnt(0)
	v_and_b32_e32 v6, 0xffff, v6
	;;#ASMSTART
	v_cvt_f32_f16 v6, v6;
	;;#ASMEND
	buffer_load_dword v7, off, s[0:3], s32 offset:356 ; 4-byte Folded Reload
	v_fmac_f32_e32 v0, v2, v6
	v_and_b32_e32 v2, 0xffff, v3
	s_waitcnt vmcnt(0)
	v_and_b32_e32 v7, 0xffff, v7
	;;#ASMSTART
	v_cvt_f32_f16 v7, v7;
	;;#ASMEND
	v_fmac_f32_e32 v1, v5, v7
	v_lshrrev_b32_e32 v5, 16, v3
	;;#ASMSTART
	v_cvt_f32_f16 v2, v2;
	;;#ASMEND
	;;#ASMSTART
	v_cvt_f32_f16 v3, v5;
	;;#ASMEND
	buffer_load_dword v5, off, s[0:3], s32 offset:352 ; 4-byte Folded Reload
	s_waitcnt vmcnt(0)
	v_and_b32_e32 v5, 0xffff, v5
	;;#ASMSTART
	v_cvt_f32_f16 v5, v5;
	;;#ASMEND
	buffer_load_dword v6, off, s[0:3], s32 offset:348 ; 4-byte Folded Reload
	v_fmac_f32_e32 v9, v2, v5
	s_waitcnt vmcnt(0)
	v_and_b32_e32 v6, 0xffff, v6
	;;#ASMSTART
	v_cvt_f32_f16 v6, v6;
	;;#ASMEND
	v_fmac_f32_e32 v10, v3, v6
	ds_read_b64 v[2:3], v64 offset:224
	s_waitcnt lgkmcnt(0)
	v_lshrrev_b32_e32 v5, 16, v2
	v_and_b32_e32 v2, 0xffff, v2
	;;#ASMSTART
	v_cvt_f32_f16 v2, v2;
	;;#ASMEND
	;;#ASMSTART
	v_cvt_f32_f16 v5, v5;
	;;#ASMEND
	buffer_load_dword v6, off, s[0:3], s32 offset:344 ; 4-byte Folded Reload
	s_waitcnt vmcnt(0)
	v_and_b32_e32 v6, 0xffff, v6
	;;#ASMSTART
	v_cvt_f32_f16 v6, v6;
	;;#ASMEND
	buffer_load_dword v7, off, s[0:3], s32 offset:340 ; 4-byte Folded Reload
	v_fmac_f32_e32 v0, v2, v6
	v_and_b32_e32 v2, 0xffff, v3
	s_waitcnt vmcnt(0)
	v_and_b32_e32 v7, 0xffff, v7
	;;#ASMSTART
	v_cvt_f32_f16 v7, v7;
	;;#ASMEND
	v_fmac_f32_e32 v1, v5, v7
	v_lshrrev_b32_e32 v5, 16, v3
	;; [unrolled: 46-line block ×4, first 2 shown]
	;;#ASMSTART
	v_cvt_f32_f16 v2, v2;
	;;#ASMEND
	;;#ASMSTART
	v_cvt_f32_f16 v3, v5;
	;;#ASMEND
	buffer_load_dword v5, off, s[0:3], s32 offset:304 ; 4-byte Folded Reload
	v_and_b32_e32 v7, 0xffff, v97
	s_waitcnt vmcnt(0)
	v_and_b32_e32 v5, 0xffff, v5
	;;#ASMSTART
	v_cvt_f32_f16 v5, v5;
	;;#ASMEND
	buffer_load_dword v6, off, s[0:3], s32 offset:300 ; 4-byte Folded Reload
	v_fmac_f32_e32 v9, v2, v5
	s_waitcnt vmcnt(0)
	v_and_b32_e32 v6, 0xffff, v6
	;;#ASMSTART
	v_cvt_f32_f16 v6, v6;
	;;#ASMEND
	v_fmac_f32_e32 v10, v3, v6
	ds_read_b64 v[2:3], v64 offset:248
	v_and_b32_e32 v6, 0xffff, v99
	s_waitcnt lgkmcnt(0)
	v_lshrrev_b32_e32 v5, 16, v2
	v_and_b32_e32 v2, 0xffff, v2
	;;#ASMSTART
	v_cvt_f32_f16 v2, v2;
	;;#ASMEND
	;;#ASMSTART
	v_cvt_f32_f16 v5, v5;
	;;#ASMEND
	;; [unrolled: 3-line block ×4, first 2 shown]
	v_fmac_f32_e32 v0, v2, v6
	v_fmac_f32_e32 v1, v5, v7
	v_lshrrev_b32_e32 v5, 16, v3
	v_and_b32_e32 v2, 0xffff, v3
	;;#ASMSTART
	v_cvt_f32_f16 v2, v2;
	;;#ASMEND
	;;#ASMSTART
	v_cvt_f32_f16 v3, v5;
	;;#ASMEND
	v_and_b32_e32 v5, 0xffff, v124
	;;#ASMSTART
	v_cvt_f32_f16 v5, v5;
	;;#ASMEND
	v_fmac_f32_e32 v9, v2, v5
	v_mbcnt_lo_u32_b32 v2, -1, 0
	v_add_f32_e32 v0, v0, v1
	v_and_b32_e32 v6, 0xffff, v13
	;;#ASMSTART
	v_cvt_f32_f16 v6, v6;
	;;#ASMEND
	v_fmac_f32_e32 v10, v3, v6
	v_xor_b32_e32 v1, 1, v2
	v_add_f32_e32 v0, v0, v9
	v_cmp_gt_i32_e64 s7, 32, v1
	v_add_f32_e32 v0, v10, v0
	v_cndmask_b32_e64 v1, v2, v1, s7
	v_lshlrev_b32_e32 v1, 2, v1
	ds_bpermute_b32 v1, v1, v0
	s_and_saveexec_b32 s21, vcc_lo
	s_cbranch_execz .LBB261_10
; %bb.1042:                             ;   in Loop: Header=BB261_12 Depth=1
	s_clause 0x1
	buffer_load_dword v2, off, s[0:3], s32 offset:404
	buffer_load_dword v3, off, s[0:3], s32 offset:392
	s_waitcnt lgkmcnt(0)
	v_add_f32_e32 v0, v0, v1
	s_load_dword s22, s[12:13], 0x0
	s_waitcnt vmcnt(1)
	v_add_nc_u32_e32 v2, v2, v65
	v_cvt_f32_i32_e32 v2, v2
	s_waitcnt vmcnt(0)
	v_mul_f32_e32 v2, v3, v2
	buffer_load_dword v3, off, s[0:3], s32 offset:396 ; 4-byte Folded Reload
	v_cndmask_b32_e64 v1, 0, v2, s6
	buffer_load_dword v2, off, s[0:3], s32 offset:400 ; 4-byte Folded Reload
	s_waitcnt vmcnt(1)
	v_fmac_f32_e32 v1, v3, v0
	buffer_load_dword v3, off, s[0:3], s32 offset:380 ; 4-byte Folded Reload
	s_waitcnt vmcnt(1)
	v_add_nc_u32_e32 v2, v2, v65
	v_cmp_lt_i32_e64 s7, v2, v32
	s_waitcnt lgkmcnt(0)
	v_add_nc_u32_e32 v2, s22, v110
	s_waitcnt vmcnt(0)
	v_max_f32_e32 v0, v3, v3
	v_max_f32_e32 v0, v0, v1
	v_cndmask_b32_e64 v1, 0, v1, s7
	v_cndmask_b32_e64 v3, v3, v0, s7
	ds_write_b32 v2, v1
	buffer_store_dword v3, off, s[0:3], s32 offset:380 ; 4-byte Folded Spill
	s_branch .LBB261_10
.LBB261_1043:
	s_or_b32 exec_lo, exec_lo, s20
	s_clause 0x16
	buffer_load_dword v59, off, s[0:3], s32 offset:416
	buffer_load_dword v60, off, s[0:3], s32 offset:420
	;; [unrolled: 1-line block ×23, first 2 shown]
.LBB261_1044:
	s_or_b32 exec_lo, exec_lo, s9
	v_mbcnt_lo_u32_b32 v6, -1, 0
	s_waitcnt vmcnt(0)
	v_max_f32_e32 v4, v7, v7
	v_and_b32_e32 v14, 31, v62
	s_waitcnt lgkmcnt(0)
	s_lshr_b32 s12, s17, 16
	v_xor_b32_e32 v0, 16, v6
	v_xor_b32_e32 v1, 8, v6
	;; [unrolled: 1-line block ×3, first 2 shown]
	v_cmp_gt_i32_e32 vcc_lo, 32, v0
	v_cndmask_b32_e32 v0, v6, v0, vcc_lo
	v_cmp_gt_i32_e32 vcc_lo, 32, v1
	v_lshlrev_b32_e32 v2, 2, v0
	v_cndmask_b32_e32 v1, v6, v1, vcc_lo
	ds_bpermute_b32 v0, v2, v7
	v_lshlrev_b32_e32 v3, 2, v1
	s_waitcnt lgkmcnt(0)
	v_max_f32_e32 v0, v0, v0
	v_max_f32_e32 v0, v4, v0
	v_xor_b32_e32 v4, 4, v6
	ds_bpermute_b32 v1, v3, v0
	v_cmp_gt_i32_e32 vcc_lo, 32, v4
	v_cndmask_b32_e32 v4, v6, v4, vcc_lo
	v_cmp_gt_i32_e32 vcc_lo, 32, v5
	v_lshlrev_b32_e32 v4, 2, v4
	v_cndmask_b32_e32 v5, v6, v5, vcc_lo
	v_cmp_eq_u32_e32 vcc_lo, 0, v14
	s_waitcnt lgkmcnt(0)
	v_max_f32_e32 v1, v1, v1
	v_max_f32_e32 v0, v0, v1
	ds_bpermute_b32 v1, v4, v0
	s_waitcnt lgkmcnt(0)
	v_max_f32_e32 v1, v1, v1
	v_max_f32_e32 v0, v0, v1
	v_lshlrev_b32_e32 v1, 2, v5
	v_lshlrev_b32_e32 v5, 2, v74
	ds_bpermute_b32 v6, v1, v0
	s_and_saveexec_b32 s6, vcc_lo
	s_cbranch_execz .LBB261_1046
; %bb.1045:
	s_waitcnt lgkmcnt(0)
	v_max_f32_e32 v6, v6, v6
	v_max_f32_e32 v0, v0, v0
	;; [unrolled: 1-line block ×3, first 2 shown]
	ds_write_b32 v5, v0 offset:512
.LBB261_1046:
	s_or_b32 exec_lo, exec_lo, s6
	v_cmp_gt_u32_e64 s6, 4, v14
	v_mov_b32_e32 v0, 0xff7fffff
	s_waitcnt lgkmcnt(0)
	v_lshlrev_b32_e32 v6, 2, v14
	s_waitcnt_vscnt null, 0x0
	s_barrier
	buffer_gl0_inv
	s_and_saveexec_b32 s7, s6
; %bb.1047:
	ds_read_b32 v0, v6 offset:512
; %bb.1048:
	s_or_b32 exec_lo, exec_lo, s7
	s_waitcnt lgkmcnt(0)
	ds_bpermute_b32 v7, v1, v0
	v_mbcnt_lo_u32_b32 v9, -1, 0
	v_max_f32_e32 v0, v0, v0
	v_xor_b32_e32 v8, 1, v9
	v_cmp_gt_i32_e64 s7, 32, v8
	v_cndmask_b32_e64 v8, v9, v8, s7
	s_waitcnt lgkmcnt(0)
	v_max_f32_e32 v7, v7, v7
	v_lshlrev_b32_e32 v15, 2, v8
	v_mov_b32_e32 v8, 0
	v_max_f32_e32 v0, v0, v7
	ds_bpermute_b32 v7, v15, v0
	s_waitcnt lgkmcnt(0)
	v_max_f32_e32 v7, v7, v7
	v_max_f32_e32 v0, v0, v7
	ds_bpermute_b32 v7, v8, v0
	v_lshlrev_b32_e32 v0, 4, v77
	v_min_i32_e32 v0, v0, v32
	v_cmp_lt_i32_e64 s7, v62, v0
	s_and_saveexec_b32 s9, s7
	s_cbranch_execz .LBB261_1052
; %bb.1049:
	s_getpc_b64 s[20:21]
	s_add_u32 s20, s20, llvm.amdgcn.dynlds.offset.table@rel32@lo+4
	s_addc_u32 s21, s21, llvm.amdgcn.dynlds.offset.table@rel32@hi+12
	s_ashr_i32 s19, s18, 31
	v_mov_b32_e32 v8, 0
	s_lshl_b64 s[22:23], s[18:19], 2
	v_mov_b32_e32 v10, v62
	s_add_u32 s20, s20, s22
	s_addc_u32 s21, s21, s23
	s_mov_b32 s13, 0
	s_load_dword s8, s[20:21], 0x0
	s_waitcnt lgkmcnt(0)
	v_lshl_add_u32 v9, v62, 2, s8
	.p2align	6
.LBB261_1050:                           ; =>This Inner Loop Header: Depth=1
	ds_read_b32 v11, v9
	v_add_nc_u32_e32 v10, 0x80, v10
	v_cmp_ge_i32_e64 s8, v10, v0
	s_or_b32 s13, s8, s13
	s_waitcnt lgkmcnt(0)
	v_sub_f32_e32 v11, v11, v7
	v_mul_f32_e32 v11, 0x3fb8aa3b, v11
	v_exp_f32_e32 v11, v11
	ds_write_b32 v9, v11
	v_add_f32_e32 v8, v8, v11
	v_add_nc_u32_e32 v9, 0x200, v9
	s_andn2_b32 exec_lo, exec_lo, s13
	s_cbranch_execnz .LBB261_1050
; %bb.1051:
	s_or_b32 exec_lo, exec_lo, s13
.LBB261_1052:
	s_or_b32 exec_lo, exec_lo, s9
	ds_bpermute_b32 v2, v2, v8
	s_waitcnt lgkmcnt(0)
	v_add_f32_e32 v2, v8, v2
	ds_bpermute_b32 v3, v3, v2
	s_waitcnt lgkmcnt(0)
	v_add_f32_e32 v2, v2, v3
	;; [unrolled: 3-line block ×5, first 2 shown]
	s_and_saveexec_b32 s8, vcc_lo
; %bb.1053:
	ds_write_b32 v5, v2 offset:528
; %bb.1054:
	s_or_b32 exec_lo, exec_lo, s8
	s_waitcnt lgkmcnt(0)
	s_barrier
	buffer_gl0_inv
	s_and_saveexec_b32 s8, s6
; %bb.1055:
	ds_read_b32 v2, v6 offset:528
; %bb.1056:
	s_or_b32 exec_lo, exec_lo, s8
	s_waitcnt lgkmcnt(0)
	ds_bpermute_b32 v1, v1, v2
	s_waitcnt lgkmcnt(0)
	v_add_f32_e32 v1, v2, v1
	ds_bpermute_b32 v2, v15, v1
	s_waitcnt lgkmcnt(0)
	v_add_f32_e32 v1, v1, v2
	v_mov_b32_e32 v2, 0
	ds_bpermute_b32 v1, v2, v1
	s_and_saveexec_b32 s6, s7
	s_cbranch_execz .LBB261_1059
; %bb.1057:
	s_waitcnt lgkmcnt(0)
	v_add_f32_e32 v2, 0x358637bd, v1
	s_getpc_b64 s[8:9]
	s_add_u32 s8, s8, llvm.amdgcn.dynlds.offset.table@rel32@lo+4
	s_addc_u32 s9, s9, llvm.amdgcn.dynlds.offset.table@rel32@hi+12
	s_ashr_i32 s19, s18, 31
	s_lshl_b64 s[20:21], s[18:19], 2
	v_div_scale_f32 v1, null, v2, v2, 1.0
	v_div_scale_f32 v5, vcc_lo, 1.0, v2, 1.0
	s_add_u32 s8, s8, s20
	v_rcp_f32_e32 v3, v1
	s_addc_u32 s9, s9, s21
	s_load_dword s7, s[8:9], 0x0
	v_fma_f32 v4, -v1, v3, 1.0
	v_fmac_f32_e32 v3, v4, v3
	v_mul_f32_e32 v4, v5, v3
	v_fma_f32 v6, -v1, v4, v5
	v_fmac_f32_e32 v4, v6, v3
	v_fma_f32 v1, -v1, v4, v5
	v_div_fmas_f32 v3, v1, v3, v4
	s_waitcnt lgkmcnt(0)
	v_lshl_add_u32 v1, v62, 2, s7
	s_mov_b32 s7, 0
	v_div_fixup_f32 v2, v3, v2, 1.0
	v_mov_b32_e32 v3, v62
.LBB261_1058:                           ; =>This Inner Loop Header: Depth=1
	ds_read_b32 v4, v1
	v_add_nc_u32_e32 v3, 0x80, v3
	v_cmp_ge_i32_e32 vcc_lo, v3, v0
	s_or_b32 s7, vcc_lo, s7
	s_waitcnt lgkmcnt(0)
	v_mul_f32_e32 v4, v2, v4
	ds_write_b32 v1, v4
	v_add_nc_u32_e32 v1, 0x200, v1
	s_andn2_b32 exec_lo, exec_lo, s7
	s_cbranch_execnz .LBB261_1058
.LBB261_1059:
	s_or_b32 exec_lo, exec_lo, s6
	s_waitcnt lgkmcnt(0)
	s_barrier
	buffer_gl0_inv
	s_and_saveexec_b32 s6, s5
	s_xor_b32 s5, exec_lo, s6
	s_cbranch_execz .LBB261_1061
; %bb.1060:
                                        ; implicit-def: $vgpr0
	s_ashr_i32 s19, s18, 31
	buffer_store_dword v0, off, s[0:3], s32 offset:200 ; 4-byte Folded Spill
	buffer_store_dword v1, off, s[0:3], s32 offset:204 ; 4-byte Folded Spill
                                        ; implicit-def: $vgpr0
                                        ; kill: killed $vgpr0
                                        ; implicit-def: $vgpr32
                                        ; implicit-def: $vgpr76
                                        ; implicit-def: $vgpr75
                                        ; implicit-def: $vgpr77
                                        ; implicit-def: $vgpr22
                                        ; implicit-def: $vgpr18
                                        ; implicit-def: $vgpr26
                                        ; implicit-def: $vgpr72_vgpr73
                                        ; implicit-def: $vgpr29
                                        ; implicit-def: $vgpr31
                                        ; implicit-def: $vgpr30
                                        ; implicit-def: $vgpr78
                                        ; implicit-def: $vgpr19
                                        ; implicit-def: $vgpr12_vgpr13
                                        ; implicit-def: $vgpr23
                                        ; implicit-def: $vgpr0
                                        ; kill: killed $vgpr0
                                        ; implicit-def: $vgpr0
                                        ; kill: killed $vgpr0
                                        ; implicit-def: $vgpr0
                                        ; kill: killed $vgpr0
                                        ; implicit-def: $vgpr0
                                        ; kill: killed $vgpr0
.LBB261_1061:
	s_or_saveexec_b32 s13, s5
	v_mov_b32_e32 v3, s18
	v_mov_b32_e32 v65, 0
	v_mov_b32_e32 v4, s19
	v_mov_b32_e32 v66, 0
	v_mov_b32_e32 v64, 0
	v_mov_b32_e32 v55, 0
	v_mov_b32_e32 v54, 0
	v_mov_b32_e32 v53, 0
	v_mov_b32_e32 v52, 0
	v_mov_b32_e32 v51, 0
	v_mov_b32_e32 v28, 0
	v_mov_b32_e32 v27, 0
	v_mov_b32_e32 v25, 0
	v_mov_b32_e32 v24, 0
	v_mov_b32_e32 v21, 0
	v_mov_b32_e32 v20, 0
	v_mov_b32_e32 v17, 0
	v_mov_b32_e32 v16, 0
	s_xor_b32 exec_lo, exec_lo, s13
	s_cbranch_execz .LBB261_2123
; %bb.1062:
	v_max_i32_e32 v26, v26, v30
	v_add_co_u32 v1, vcc_lo, v22, v29
	v_and_b32_e32 v3, 0xf8, v23
	v_and_b32_e32 v7, 1, v62
	v_cvt_f32_u32_e32 v0, v26
	v_sub_nc_u32_e32 v5, 0, v26
	v_add_co_ci_u32_e64 v2, null, v18, v31, vcc_lo
	v_and_b32_e32 v8, 0x7c, v19
	v_rcp_iflag_f32_e32 v0, v0
	s_ashr_i32 s19, s18, 31
	s_getpc_b64 s[8:9]
	s_add_u32 s8, s8, llvm.amdgcn.dynlds.offset.table@rel32@lo+4
	s_addc_u32 s9, s9, llvm.amdgcn.dynlds.offset.table@rel32@hi+12
	v_and_b32_e32 v103, 8, v23
	v_add_nc_u32_e32 v39, -1, v77
	v_mov_b32_e32 v4, 0
	v_mov_b32_e32 v48, 0x80
	;; [unrolled: 1-line block ×5, first 2 shown]
	v_mul_f32_e32 v0, 0x4f7ffffe, v0
	v_mov_b32_e32 v16, 0
	v_mov_b32_e32 v17, 0
	;; [unrolled: 1-line block ×4, first 2 shown]
	v_cvt_u32_f32_e32 v0, v0
	v_mov_b32_e32 v24, 0
	s_lshl_b64 s[20:21], s[18:19], 2
	v_mov_b32_e32 v25, 0
	v_mov_b32_e32 v27, 0
	v_mul_lo_u32 v9, v5, v0
	v_add_co_u32 v5, vcc_lo, v1, v3
	v_lshlrev_b32_e32 v1, 5, v7
	v_add_co_ci_u32_e64 v6, null, 0, v2, vcc_lo
	v_add_co_u32 v3, vcc_lo, v8, v12
	v_add_co_ci_u32_e64 v8, null, 0, v13, vcc_lo
	v_lshl_or_b32 v13, v74, 6, v1
	buffer_load_dword v1, off, s[0:3], s32 offset:412 ; 4-byte Folded Reload
	v_mul_hi_u32 v2, v0, v9
	v_mov_b32_e32 v28, 0
	v_mov_b32_e32 v51, 0
	;; [unrolled: 1-line block ×7, first 2 shown]
	v_add_nc_u32_e32 v69, v0, v2
	v_mov_b32_e32 v66, 0
	v_mov_b32_e32 v65, 0
	;; [unrolled: 1-line block ×3, first 2 shown]
	s_mov_b32 s6, -1
	s_add_u32 s8, s8, s20
	s_mov_b32 s7, 0xffffff
	s_mov_b32 s17, 0
	s_addc_u32 s9, s9, s21
	s_waitcnt vmcnt(0)
	v_add_co_u32 v7, vcc_lo, v1, v3
	buffer_load_dword v1, off, s[0:3], s32 offset:408 ; 4-byte Folded Reload
	s_waitcnt vmcnt(0)
	v_add_co_ci_u32_e64 v8, null, v1, v8, vcc_lo
	s_branch .LBB261_1065
.LBB261_1063:                           ;   in Loop: Header=BB261_1065 Depth=1
	s_or_b32 exec_lo, exec_lo, s5
	v_add_f32_e32 v2, v2, v18
	v_add_f32_e32 v0, v0, v1
	;; [unrolled: 1-line block ×8, first 2 shown]
	;;#ASMSTART
	v_pk_mul_f16 v1, v85, v22;

	;;#ASMEND
	v_add_f32_e32 v23, v33, v35
	v_add_f32_e32 v30, v30, v31
	;; [unrolled: 1-line block ×3, first 2 shown]
	;;#ASMSTART
	v_pk_mul_f16 v2, v84, v10;

	;;#ASMEND
	;;#ASMSTART
	v_pk_mul_f16 v9, v83, v9;

	;;#ASMEND
	;; [unrolled: 4-line block ×3, first 2 shown]
	;;#ASMSTART
	v_pk_add_f16 v1, v1, v2;

	;;#ASMEND
	;;#ASMSTART
	v_pk_add_f16 v1, v1, v9;

	;;#ASMEND
	;; [unrolled: 4-line block ×3, first 2 shown]
	v_and_b32_e32 v9, 0xffff, v1
	v_lshrrev_b32_e32 v10, 16, v1
	;;#ASMSTART
	v_cvt_f32_f16 v9, v9;
	;;#ASMEND
	v_add_f32_e32 v19, v19, v29
	v_add_f32_e32 v17, v17, v11
	;; [unrolled: 1-line block ×10, first 2 shown]
	;;#ASMSTART
	v_cvt_f32_f16 v10, v10;
	;;#ASMEND
	v_add_f32_e32 v9, v9, v10
	v_add_f32_e32 v21, v21, v23
	v_add_f32_e32 v24, v24, v30
	v_add_f32_e32 v25, v25, v19
	v_add_f32_e32 v53, v53, v11
	v_add_f32_e32 v54, v54, v12
	v_add_f32_e32 v55, v55, v0
	v_add_f32_e32 v64, v64, v1
	v_add_f32_e32 v66, v66, v2
	v_add_f32_e32 v65, v65, v3
	v_add_f32_e32 v16, v16, v9
.LBB261_1064:                           ;   in Loop: Header=BB261_1065 Depth=1
	s_or_b32 exec_lo, exec_lo, s20
	v_add_nc_u32_e32 v70, 4, v70
	v_add_co_u32 v7, s5, v7, 16
	v_add_nc_u32_e32 v78, 64, v78
	v_add_nc_u32_e32 v13, 0x100, v13
	v_cmp_ge_i32_e32 vcc_lo, v70, v77
	v_add_co_ci_u32_e64 v8, null, 0, v8, s5
	s_or_b32 s17, vcc_lo, s17
	s_andn2_b32 exec_lo, exec_lo, s17
	s_cbranch_execz .LBB261_2122
.LBB261_1065:                           ; =>This Inner Loop Header: Depth=1
	buffer_load_dword v0, off, s[0:3], s32 offset:208 ; 4-byte Folded Reload
	s_waitcnt vmcnt(0)
	v_mul_hi_u32 v0, v78, v0
	v_mul_lo_u32 v1, v0, v75
	v_add_nc_u32_e32 v2, 1, v0
	v_sub_nc_u32_e32 v1, v78, v1
	v_sub_nc_u32_e32 v3, v1, v75
	v_cmp_ge_u32_e32 vcc_lo, v1, v75
	v_cndmask_b32_e32 v0, v0, v2, vcc_lo
	v_cndmask_b32_e32 v1, v1, v3, vcc_lo
	v_add_nc_u32_e32 v2, 1, v0
	v_cmp_ge_u32_e32 vcc_lo, v1, v75
	v_cndmask_b32_e32 v0, v0, v2, vcc_lo
	s_clause 0x1
	buffer_load_dword v1, off, s[0:3], s32 offset:200
	buffer_load_dword v2, off, s[0:3], s32 offset:204
	v_xor_b32_e32 v0, v0, v76
	v_sub_nc_u32_e32 v0, v0, v76
	s_waitcnt vmcnt(1)
	v_add_nc_u32_e32 v1, v0, v1
	s_waitcnt vmcnt(0)
	v_sub_nc_u32_e32 v2, 0, v1
	v_max_i32_e32 v2, v1, v2
	v_ashrrev_i32_e32 v1, 31, v1
	v_mul_hi_u32 v3, v2, v69
	v_mul_lo_u32 v3, v3, v26
	v_sub_nc_u32_e32 v2, v2, v3
	v_sub_nc_u32_e32 v3, v2, v26
	v_cmp_ge_u32_e32 vcc_lo, v2, v26
	v_cndmask_b32_e32 v2, v2, v3, vcc_lo
	v_sub_nc_u32_e32 v3, v2, v26
	v_cmp_ge_u32_e32 vcc_lo, v2, v26
	v_cndmask_b32_e32 v2, v2, v3, vcc_lo
	v_xor_b32_e32 v2, v2, v1
	v_sub_nc_u32_e32 v1, v2, v1
	v_cmp_eq_u32_e32 vcc_lo, 0, v1
	buffer_load_dword v1, off, s[0:3], s32 offset:212 ; 4-byte Folded Reload
	s_waitcnt vmcnt(0)
	v_cmp_gt_i32_e64 s5, v0, v1
	s_or_b32 s5, vcc_lo, s5
	s_and_saveexec_b32 s20, s5
	s_cbranch_execz .LBB261_1064
; %bb.1066:                             ;   in Loop: Header=BB261_1065 Depth=1
	s_load_dword s5, s[8:9], 0x0
	flat_load_dword v9, v[7:8]
	v_mov_b32_e32 v33, 0
	v_mov_b32_e32 v35, 0
	s_waitcnt lgkmcnt(0)
	v_add_nc_u32_e32 v10, s5, v13
	ds_read2_b64 v[0:3], v10 offset1:1
	ds_read2_b64 v[80:83], v10 offset0:2 offset1:3
	s_waitcnt lgkmcnt(1)
	;;#ASMSTART
	v_cvt_f16_f32 v0, v0;

	;;#ASMEND
	buffer_load_dword v10, off, s[0:3], s32 offset:276 ; 4-byte Folded Reload
	;;#ASMSTART
	v_cvt_f16_f32 v1, v1;

	;;#ASMEND
	;;#ASMSTART
	v_cvt_f16_f32 v23, v2;

	;;#ASMEND
	;; [unrolled: 4-line block ×3, first 2 shown]
	s_waitcnt lgkmcnt(0)
	;;#ASMSTART
	v_cvt_f16_f32 v29, v80;

	;;#ASMEND
	;;#ASMSTART
	v_cvt_f16_f32 v18, v81;

	;;#ASMEND
	;; [unrolled: 4-line block ×4, first 2 shown]
	s_waitcnt vmcnt(0)
	v_mad_i64_i32 v[9:10], null, v9, v10, v[5:6]
	flat_load_dwordx2 v[11:12], v[9:10]
	flat_load_dword v31, v[72:73]
	s_waitcnt vmcnt(1) lgkmcnt(1)
	v_cmp_ne_u16_sdwa s21, v11, v4 src0_sel:BYTE_0 src1_sel:DWORD
	s_and_saveexec_b32 s5, s21
	s_cbranch_execz .LBB261_1074
; %bb.1067:                             ;   in Loop: Header=BB261_1065 Depth=1
	v_cmp_ne_u16_sdwa s22, v11, v48 src0_sel:BYTE_0 src1_sel:DWORD
	v_mov_b32_e32 v35, 0x8000
	s_and_saveexec_b32 s21, s22
	s_cbranch_execz .LBB261_1073
; %bb.1068:                             ;   in Loop: Header=BB261_1065 Depth=1
	v_and_b32_e32 v36, 0x7f, v11
	v_mov_b32_e32 v35, 0x7c01
	s_mov_b32 s22, exec_lo
	v_cmpx_ne_u32_e32 0x7f, v36
	s_cbranch_execz .LBB261_1072
; %bb.1069:                             ;   in Loop: Header=BB261_1065 Depth=1
	v_and_b32_e32 v3, 7, v11
	v_lshrrev_b32_e32 v22, 3, v36
	s_mov_b32 s23, exec_lo
	v_cmpx_gt_u32_e32 8, v36
; %bb.1070:                             ;   in Loop: Header=BB261_1065 Depth=1
	v_ffbh_u32_e32 v3, v3
	v_min_u32_e32 v3, 32, v3
	v_subrev_nc_u32_e32 v22, 28, v3
	v_lshlrev_b64 v[35:36], v22, v[11:12]
	v_sub_nc_u32_e32 v22, 29, v3
	v_and_b32_e32 v3, 7, v35
; %bb.1071:                             ;   in Loop: Header=BB261_1065 Depth=1
	s_or_b32 exec_lo, exec_lo, s23
	v_lshlrev_b32_e32 v35, 8, v11
	v_lshl_add_u32 v22, v22, 10, 0x2000
	v_lshlrev_b32_e32 v3, 7, v3
	v_and_b32_e32 v35, 0x8000, v35
	v_and_b32_e32 v22, 0xfc00, v22
	v_or3_b32 v35, v35, v22, v3
.LBB261_1072:                           ;   in Loop: Header=BB261_1065 Depth=1
	s_or_b32 exec_lo, exec_lo, s22
.LBB261_1073:                           ;   in Loop: Header=BB261_1065 Depth=1
	s_or_b32 exec_lo, exec_lo, s21
.LBB261_1074:                           ;   in Loop: Header=BB261_1065 Depth=1
	s_or_b32 exec_lo, exec_lo, s5
	v_lshrrev_b16 v3, 8, v11
	s_mov_b32 s5, exec_lo
	v_cmpx_ne_u16_e32 0, v3
	s_cbranch_execz .LBB261_1082
; %bb.1075:                             ;   in Loop: Header=BB261_1065 Depth=1
	v_bfrev_b32_e32 v33, 1
	s_mov_b32 s21, exec_lo
	v_cmpx_ne_u16_e32 0x80, v3
	s_cbranch_execz .LBB261_1081
; %bb.1076:                             ;   in Loop: Header=BB261_1065 Depth=1
	v_and_b32_sdwa v36, v3, v34 dst_sel:DWORD dst_unused:UNUSED_PAD src0_sel:WORD_0 src1_sel:DWORD
	v_mov_b32_e32 v33, 0x7c010000
	s_mov_b32 s22, exec_lo
	v_cmpx_ne_u32_e32 0x7f, v36
	s_cbranch_execz .LBB261_1080
; %bb.1077:                             ;   in Loop: Header=BB261_1065 Depth=1
	v_and_b32_sdwa v22, v3, v67 dst_sel:DWORD dst_unused:UNUSED_PAD src0_sel:WORD_0 src1_sel:DWORD
	v_lshrrev_b32_e32 v33, 3, v36
	s_mov_b32 s23, exec_lo
	v_cmpx_gt_u32_e32 8, v36
; %bb.1078:                             ;   in Loop: Header=BB261_1065 Depth=1
	v_ffbh_u32_e32 v22, v22
	v_min_u32_e32 v22, 32, v22
	v_subrev_nc_u32_e32 v33, 28, v22
	v_lshlrev_b64 v[36:37], v33, v[3:4]
	v_sub_nc_u32_e32 v33, 29, v22
	v_and_b32_e32 v22, 7, v36
; %bb.1079:                             ;   in Loop: Header=BB261_1065 Depth=1
	s_or_b32 exec_lo, exec_lo, s23
	v_lshlrev_b32_sdwa v3, v68, v3 dst_sel:DWORD dst_unused:UNUSED_PAD src0_sel:DWORD src1_sel:WORD_0
	v_lshl_add_u32 v33, v33, 10, 0x2000
	v_lshlrev_b32_e32 v22, 23, v22
	v_and_or_b32 v3, 0x8000, v3, v33
	v_lshl_or_b32 v33, v3, 16, v22
.LBB261_1080:                           ;   in Loop: Header=BB261_1065 Depth=1
	s_or_b32 exec_lo, exec_lo, s22
.LBB261_1081:                           ;   in Loop: Header=BB261_1065 Depth=1
	s_or_b32 exec_lo, exec_lo, s21
.LBB261_1082:                           ;   in Loop: Header=BB261_1065 Depth=1
	s_or_b32 exec_lo, exec_lo, s5
	v_lshrrev_b32_e32 v3, 16, v11
	v_mov_b32_e32 v36, 0
	v_mov_b32_e32 v38, 0
	v_cmp_ne_u16_sdwa s21, v3, v4 src0_sel:BYTE_0 src1_sel:DWORD
	s_and_saveexec_b32 s5, s21
	s_cbranch_execz .LBB261_1090
; %bb.1083:                             ;   in Loop: Header=BB261_1065 Depth=1
	v_cmp_ne_u16_sdwa s22, v3, v48 src0_sel:BYTE_0 src1_sel:DWORD
	v_mov_b32_e32 v38, 0x8000
	s_and_saveexec_b32 s21, s22
	s_cbranch_execz .LBB261_1089
; %bb.1084:                             ;   in Loop: Header=BB261_1065 Depth=1
	v_bfe_u32 v49, v11, 16, 7
	v_mov_b32_e32 v38, 0x7c01
	s_mov_b32 s22, exec_lo
	v_cmpx_ne_u32_e32 0x7f, v49
	s_cbranch_execz .LBB261_1088
; %bb.1085:                             ;   in Loop: Header=BB261_1065 Depth=1
	v_and_b32_e32 v22, 7, v3
	v_lshrrev_b32_e32 v38, 3, v49
	s_mov_b32 s23, exec_lo
	v_cmpx_gt_u32_e32 8, v49
; %bb.1086:                             ;   in Loop: Header=BB261_1065 Depth=1
	v_ffbh_u32_e32 v22, v22
	v_min_u32_e32 v22, 32, v22
	v_subrev_nc_u32_e32 v37, 28, v22
	v_lshlrev_b64 v[37:38], v37, v[3:4]
	v_sub_nc_u32_e32 v38, 29, v22
	v_and_b32_e32 v22, 7, v37
; %bb.1087:                             ;   in Loop: Header=BB261_1065 Depth=1
	s_or_b32 exec_lo, exec_lo, s23
	v_lshlrev_b32_e32 v3, 8, v3
	v_lshl_add_u32 v37, v38, 10, 0x2000
	v_lshlrev_b32_e32 v22, 7, v22
	v_and_b32_e32 v3, 0x8000, v3
	v_and_b32_e32 v37, 0xfc00, v37
	v_or3_b32 v38, v3, v37, v22
.LBB261_1088:                           ;   in Loop: Header=BB261_1065 Depth=1
	s_or_b32 exec_lo, exec_lo, s22
.LBB261_1089:                           ;   in Loop: Header=BB261_1065 Depth=1
	s_or_b32 exec_lo, exec_lo, s21
.LBB261_1090:                           ;   in Loop: Header=BB261_1065 Depth=1
	s_or_b32 exec_lo, exec_lo, s5
	s_mov_b32 s5, exec_lo
	v_cmpx_lt_u32_e32 0xffffff, v11
	s_cbranch_execz .LBB261_1098
; %bb.1091:                             ;   in Loop: Header=BB261_1065 Depth=1
	v_lshrrev_b32_e32 v3, 24, v11
	v_bfrev_b32_e32 v36, 1
	s_mov_b32 s21, exec_lo
	v_cmpx_ne_u32_e32 0x80, v3
	s_cbranch_execz .LBB261_1097
; %bb.1092:                             ;   in Loop: Header=BB261_1065 Depth=1
	v_and_b32_e32 v49, 0x7f, v3
	v_mov_b32_e32 v36, 0x7c010000
	s_mov_b32 s22, exec_lo
	v_cmpx_ne_u32_e32 0x7f, v49
	s_cbranch_execz .LBB261_1096
; %bb.1093:                             ;   in Loop: Header=BB261_1065 Depth=1
	v_and_b32_e32 v22, 7, v3
	v_lshrrev_b32_e32 v36, 3, v49
	s_mov_b32 s23, exec_lo
	v_cmpx_gt_u32_e32 8, v49
; %bb.1094:                             ;   in Loop: Header=BB261_1065 Depth=1
	v_ffbh_u32_e32 v22, v22
	v_min_u32_e32 v22, 32, v22
	v_subrev_nc_u32_e32 v36, 28, v22
	v_lshlrev_b64 v[49:50], v36, v[3:4]
	v_sub_nc_u32_e32 v36, 29, v22
	v_and_b32_e32 v22, 7, v49
; %bb.1095:                             ;   in Loop: Header=BB261_1065 Depth=1
	s_or_b32 exec_lo, exec_lo, s23
	v_lshlrev_b32_e32 v3, 8, v3
	v_lshl_add_u32 v36, v36, 10, 0x2000
	v_lshlrev_b32_e32 v22, 23, v22
	v_and_or_b32 v3, 0x8000, v3, v36
	v_lshl_or_b32 v36, v3, 16, v22
.LBB261_1096:                           ;   in Loop: Header=BB261_1065 Depth=1
	s_or_b32 exec_lo, exec_lo, s22
.LBB261_1097:                           ;   in Loop: Header=BB261_1065 Depth=1
	s_or_b32 exec_lo, exec_lo, s21
.LBB261_1098:                           ;   in Loop: Header=BB261_1065 Depth=1
	s_or_b32 exec_lo, exec_lo, s5
	v_mov_b32_e32 v3, v12
	v_cmp_ne_u16_sdwa s21, v12, v4 src0_sel:BYTE_0 src1_sel:DWORD
	v_mov_b32_e32 v22, 0
	v_mov_b32_e32 v49, 0
	s_and_saveexec_b32 s5, s21
	s_cbranch_execz .LBB261_1106
; %bb.1099:                             ;   in Loop: Header=BB261_1065 Depth=1
	v_cmp_ne_u16_sdwa s22, v12, v48 src0_sel:BYTE_0 src1_sel:DWORD
	v_mov_b32_e32 v49, 0x8000
	s_and_saveexec_b32 s21, s22
	s_cbranch_execz .LBB261_1105
; %bb.1100:                             ;   in Loop: Header=BB261_1065 Depth=1
	v_and_b32_e32 v71, 0x7f, v12
	v_mov_b32_e32 v49, 0x7c01
	s_mov_b32 s22, exec_lo
	v_cmpx_ne_u32_e32 0x7f, v71
	s_cbranch_execz .LBB261_1104
; %bb.1101:                             ;   in Loop: Header=BB261_1065 Depth=1
	v_and_b32_e32 v49, 7, v12
	v_lshrrev_b32_e32 v50, 3, v71
	s_mov_b32 s23, exec_lo
	v_cmpx_gt_u32_e32 8, v71
; %bb.1102:                             ;   in Loop: Header=BB261_1065 Depth=1
	v_ffbh_u32_e32 v37, v49
	v_min_u32_e32 v37, 32, v37
	v_subrev_nc_u32_e32 v49, 28, v37
	v_lshlrev_b64 v[49:50], v49, v[3:4]
	v_sub_nc_u32_e32 v50, 29, v37
	v_and_b32_e32 v49, 7, v49
; %bb.1103:                             ;   in Loop: Header=BB261_1065 Depth=1
	s_or_b32 exec_lo, exec_lo, s23
	v_lshlrev_b32_e32 v37, 8, v12
	v_lshl_add_u32 v50, v50, 10, 0x2000
	v_lshlrev_b32_e32 v49, 7, v49
	v_and_b32_e32 v37, 0x8000, v37
	v_and_b32_e32 v50, 0xfc00, v50
	v_or3_b32 v49, v37, v50, v49
.LBB261_1104:                           ;   in Loop: Header=BB261_1065 Depth=1
	s_or_b32 exec_lo, exec_lo, s22
.LBB261_1105:                           ;   in Loop: Header=BB261_1065 Depth=1
	s_or_b32 exec_lo, exec_lo, s21
.LBB261_1106:                           ;   in Loop: Header=BB261_1065 Depth=1
	s_or_b32 exec_lo, exec_lo, s5
	v_lshrrev_b16 v3, 8, v3
	v_mov_b32_e32 v50, 0
	s_mov_b32 s5, exec_lo
	v_cmpx_ne_u16_e32 0, v3
	s_cbranch_execz .LBB261_1114
; %bb.1107:                             ;   in Loop: Header=BB261_1065 Depth=1
	v_bfrev_b32_e32 v50, 1
	s_mov_b32 s21, exec_lo
	v_cmpx_ne_u16_e32 0x80, v3
	s_cbranch_execz .LBB261_1113
; %bb.1108:                             ;   in Loop: Header=BB261_1065 Depth=1
	v_and_b32_sdwa v80, v3, v34 dst_sel:DWORD dst_unused:UNUSED_PAD src0_sel:WORD_0 src1_sel:DWORD
	v_mov_b32_e32 v50, 0x7c010000
	s_mov_b32 s22, exec_lo
	v_cmpx_ne_u32_e32 0x7f, v80
	s_cbranch_execz .LBB261_1112
; %bb.1109:                             ;   in Loop: Header=BB261_1065 Depth=1
	v_and_b32_sdwa v50, v3, v67 dst_sel:DWORD dst_unused:UNUSED_PAD src0_sel:WORD_0 src1_sel:DWORD
	v_lshrrev_b32_e32 v71, 3, v80
	s_mov_b32 s23, exec_lo
	v_cmpx_gt_u32_e32 8, v80
; %bb.1110:                             ;   in Loop: Header=BB261_1065 Depth=1
	v_ffbh_u32_e32 v37, v50
	v_min_u32_e32 v37, 32, v37
	v_subrev_nc_u32_e32 v50, 28, v37
	v_sub_nc_u32_e32 v71, 29, v37
	v_lshlrev_b64 v[80:81], v50, v[3:4]
	v_and_b32_e32 v50, 7, v80
; %bb.1111:                             ;   in Loop: Header=BB261_1065 Depth=1
	s_or_b32 exec_lo, exec_lo, s23
	v_lshlrev_b32_sdwa v3, v68, v3 dst_sel:DWORD dst_unused:UNUSED_PAD src0_sel:DWORD src1_sel:WORD_0
	v_lshl_add_u32 v37, v71, 10, 0x2000
	v_and_or_b32 v3, 0x8000, v3, v37
	v_lshlrev_b32_e32 v37, 23, v50
	v_lshl_or_b32 v50, v3, 16, v37
.LBB261_1112:                           ;   in Loop: Header=BB261_1065 Depth=1
	s_or_b32 exec_lo, exec_lo, s22
.LBB261_1113:                           ;   in Loop: Header=BB261_1065 Depth=1
	s_or_b32 exec_lo, exec_lo, s21
.LBB261_1114:                           ;   in Loop: Header=BB261_1065 Depth=1
	s_or_b32 exec_lo, exec_lo, s5
	v_lshrrev_b32_e32 v3, 16, v12
	v_cmp_ne_u16_sdwa s21, v3, v4 src0_sel:BYTE_0 src1_sel:DWORD
	s_and_saveexec_b32 s5, s21
	s_cbranch_execz .LBB261_1122
; %bb.1115:                             ;   in Loop: Header=BB261_1065 Depth=1
	v_cmp_ne_u16_sdwa s22, v3, v48 src0_sel:BYTE_0 src1_sel:DWORD
	v_mov_b32_e32 v22, 0x8000
	s_and_saveexec_b32 s21, s22
	s_cbranch_execz .LBB261_1121
; %bb.1116:                             ;   in Loop: Header=BB261_1065 Depth=1
	v_bfe_u32 v80, v12, 16, 7
	v_mov_b32_e32 v22, 0x7c01
	s_mov_b32 s22, exec_lo
	v_cmpx_ne_u32_e32 0x7f, v80
	s_cbranch_execz .LBB261_1120
; %bb.1117:                             ;   in Loop: Header=BB261_1065 Depth=1
	v_and_b32_e32 v22, 7, v3
	v_lshrrev_b32_e32 v71, 3, v80
	s_mov_b32 s23, exec_lo
	v_cmpx_gt_u32_e32 8, v80
; %bb.1118:                             ;   in Loop: Header=BB261_1065 Depth=1
	v_ffbh_u32_e32 v22, v22
	v_min_u32_e32 v22, 32, v22
	v_subrev_nc_u32_e32 v37, 28, v22
	v_sub_nc_u32_e32 v71, 29, v22
	v_lshlrev_b64 v[80:81], v37, v[3:4]
	v_and_b32_e32 v22, 7, v80
; %bb.1119:                             ;   in Loop: Header=BB261_1065 Depth=1
	s_or_b32 exec_lo, exec_lo, s23
	v_lshlrev_b32_e32 v3, 8, v3
	v_lshl_add_u32 v37, v71, 10, 0x2000
	v_lshlrev_b32_e32 v22, 7, v22
	v_and_b32_e32 v3, 0x8000, v3
	v_and_b32_e32 v37, 0xfc00, v37
	v_or3_b32 v22, v3, v37, v22
.LBB261_1120:                           ;   in Loop: Header=BB261_1065 Depth=1
	s_or_b32 exec_lo, exec_lo, s22
.LBB261_1121:                           ;   in Loop: Header=BB261_1065 Depth=1
	s_or_b32 exec_lo, exec_lo, s21
.LBB261_1122:                           ;   in Loop: Header=BB261_1065 Depth=1
	s_or_b32 exec_lo, exec_lo, s5
	v_cmp_lt_u64_e32 vcc_lo, s[6:7], v[11:12]
	v_mov_b32_e32 v11, 0
	s_and_saveexec_b32 s5, vcc_lo
	s_cbranch_execz .LBB261_1130
; %bb.1123:                             ;   in Loop: Header=BB261_1065 Depth=1
	v_lshrrev_b32_e32 v3, 24, v12
	v_bfrev_b32_e32 v11, 1
	s_mov_b32 s21, exec_lo
	v_cmpx_ne_u32_e32 0x80, v3
	s_cbranch_execz .LBB261_1129
; %bb.1124:                             ;   in Loop: Header=BB261_1065 Depth=1
	v_and_b32_e32 v71, 0x7f, v3
	v_mov_b32_e32 v11, 0x7c010000
	s_mov_b32 s22, exec_lo
	v_cmpx_ne_u32_e32 0x7f, v71
	s_cbranch_execz .LBB261_1128
; %bb.1125:                             ;   in Loop: Header=BB261_1065 Depth=1
	v_and_b32_e32 v11, 7, v3
	v_lshrrev_b32_e32 v12, 3, v71
	s_mov_b32 s23, exec_lo
	v_cmpx_gt_u32_e32 8, v71
; %bb.1126:                             ;   in Loop: Header=BB261_1065 Depth=1
	v_ffbh_u32_e32 v11, v11
	v_min_u32_e32 v37, 32, v11
	v_subrev_nc_u32_e32 v11, 28, v37
	v_lshlrev_b64 v[11:12], v11, v[3:4]
	v_sub_nc_u32_e32 v12, 29, v37
	v_and_b32_e32 v11, 7, v11
; %bb.1127:                             ;   in Loop: Header=BB261_1065 Depth=1
	s_or_b32 exec_lo, exec_lo, s23
	v_lshlrev_b32_e32 v3, 8, v3
	v_lshl_add_u32 v12, v12, 10, 0x2000
	v_lshlrev_b32_e32 v11, 23, v11
	v_and_or_b32 v3, 0x8000, v3, v12
	v_lshl_or_b32 v11, v3, 16, v11
.LBB261_1128:                           ;   in Loop: Header=BB261_1065 Depth=1
	s_or_b32 exec_lo, exec_lo, s22
.LBB261_1129:                           ;   in Loop: Header=BB261_1065 Depth=1
	s_or_b32 exec_lo, exec_lo, s21
.LBB261_1130:                           ;   in Loop: Header=BB261_1065 Depth=1
	s_or_b32 exec_lo, exec_lo, s5
	v_or_b32_e32 v3, v36, v38
	s_waitcnt vmcnt(0) lgkmcnt(0)
	v_fma_mixlo_f16 v12, v31, v36, 0 op_sel:[0,1,0] op_sel_hi:[0,1,0]
	v_or_b32_e32 v36, v33, v35
	v_fma_mixlo_f16 v33, v31, v33, 0 op_sel:[0,1,0] op_sel_hi:[0,1,0]
	v_or_b32_e32 v37, v50, v49
	v_fma_mixlo_f16 v3, v31, v3, 0 op_sel_hi:[0,1,0]
	v_or_b32_e32 v22, v11, v22
	v_fma_mixlo_f16 v11, v31, v11, 0 op_sel:[0,1,0] op_sel_hi:[0,1,0]
	v_lshlrev_b32_e32 v49, 16, v33
	v_fma_mixlo_f16 v33, v31, v50, 0 op_sel:[0,1,0] op_sel_hi:[0,1,0]
	v_and_b32_e32 v35, 0xffff, v3
	v_fma_mixlo_f16 v3, v31, v36, 0 op_sel_hi:[0,1,0]
	v_fma_mixlo_f16 v37, v31, v37, 0 op_sel_hi:[0,1,0]
	;; [unrolled: 1-line block ×3, first 2 shown]
	v_add_nc_u32_e32 v71, v103, v78
	v_lshlrev_b32_e32 v12, 16, v12
	v_and_b32_e32 v80, 0xffff, v3
	v_lshlrev_b32_e32 v36, 16, v33
	v_and_b32_e32 v50, 0xffff, v37
	;; [unrolled: 2-line block ×3, first 2 shown]
	v_cmp_eq_u32_e32 vcc_lo, v39, v70
	v_or_b32_e32 v3, v12, v35
	v_or_b32_e32 v11, v49, v80
	;; [unrolled: 1-line block ×4, first 2 shown]
	v_add_nc_u32_e32 v100, 1, v71
	v_add_nc_u32_e32 v99, 2, v71
	;; [unrolled: 1-line block ×7, first 2 shown]
	s_and_saveexec_b32 s21, vcc_lo
	s_cbranch_execz .LBB261_1132
; %bb.1131:                             ;   in Loop: Header=BB261_1065 Depth=1
	v_cmp_lt_i32_e64 s5, v71, v32
	v_cndmask_b32_e64 v3, 0, v80, s5
	v_cmp_lt_i32_e64 s5, v100, v32
	v_cndmask_b32_e64 v11, 0, v49, s5
	v_cmp_lt_i32_e64 s5, v99, v32
	v_or_b32_e32 v11, v3, v11
	v_cndmask_b32_e64 v22, 0, v35, s5
	v_cmp_lt_i32_e64 s5, v98, v32
	v_cndmask_b32_e64 v12, 0, v12, s5
	v_cmp_lt_i32_e64 s5, v97, v32
	v_or_b32_e32 v3, v22, v12
	;; [unrolled: 5-line block ×3, first 2 shown]
	v_cndmask_b32_e64 v36, 0, v38, s5
	v_cmp_lt_i32_e64 s5, v86, v32
	v_cndmask_b32_e64 v31, 0, v31, s5
	v_or_b32_e32 v33, v36, v31
.LBB261_1132:                           ;   in Loop: Header=BB261_1065 Depth=1
	s_or_b32 exec_lo, exec_lo, s21
	v_and_b32_e32 v0, 0xffff, v0
	v_and_b32_e32 v12, 0xffff, v23
	;; [unrolled: 1-line block ×4, first 2 shown]
	v_lshl_or_b32 v85, v1, 16, v0
	;;#ASMSTART
	v_pk_mul_f16 v0, v85, v11;

	;;#ASMEND
	v_lshl_or_b32 v84, v2, 16, v12
	v_lshl_or_b32 v83, v18, 16, v23
	;; [unrolled: 1-line block ×3, first 2 shown]
	;;#ASMSTART
	v_pk_mul_f16 v1, v84, v3;

	;;#ASMEND
	;;#ASMSTART
	v_pk_mul_f16 v2, v83, v22;

	;;#ASMEND
	;; [unrolled: 4-line block ×3, first 2 shown]
	;;#ASMSTART
	v_pk_add_f16 v0, v0, v1;

	;;#ASMEND
	;;#ASMSTART
	v_pk_add_f16 v0, v0, v2;

	;;#ASMEND
	;; [unrolled: 4-line block ×3, first 2 shown]
	v_and_b32_e32 v1, 0xffff, v0
	v_lshrrev_b32_e32 v0, 16, v0
	;;#ASMSTART
	v_cvt_f32_f16 v80, v1;
	;;#ASMEND
	;;#ASMSTART
	v_cvt_f32_f16 v81, v0;
	;;#ASMEND
	flat_load_dwordx2 v[11:12], v[9:10] offset:256
	flat_load_dword v0, v[72:73]
	v_mov_b32_e32 v1, 0
	v_mov_b32_e32 v2, 0
	s_waitcnt vmcnt(1) lgkmcnt(1)
	v_cmp_ne_u16_sdwa s5, v11, v4 src0_sel:BYTE_0 src1_sel:DWORD
	s_and_saveexec_b32 s21, s5
	s_cbranch_execz .LBB261_1140
; %bb.1133:                             ;   in Loop: Header=BB261_1065 Depth=1
	v_cmp_ne_u16_sdwa s5, v11, v48 src0_sel:BYTE_0 src1_sel:DWORD
	v_mov_b32_e32 v2, 0x8000
	s_and_saveexec_b32 s22, s5
	s_cbranch_execz .LBB261_1139
; %bb.1134:                             ;   in Loop: Header=BB261_1065 Depth=1
	v_and_b32_e32 v18, 0x7f, v11
	v_mov_b32_e32 v2, 0x7c01
	s_mov_b32 s23, exec_lo
	v_cmpx_ne_u32_e32 0x7f, v18
	s_cbranch_execz .LBB261_1138
; %bb.1135:                             ;   in Loop: Header=BB261_1065 Depth=1
	v_and_b32_e32 v2, 7, v11
	v_lshrrev_b32_e32 v3, 3, v18
	s_mov_b32 s24, exec_lo
	v_cmpx_gt_u32_e32 8, v18
; %bb.1136:                             ;   in Loop: Header=BB261_1065 Depth=1
	v_ffbh_u32_e32 v2, v2
	v_min_u32_e32 v18, 32, v2
	v_subrev_nc_u32_e32 v2, 28, v18
	v_lshlrev_b64 v[2:3], v2, v[11:12]
	v_sub_nc_u32_e32 v3, 29, v18
	v_and_b32_e32 v2, 7, v2
; %bb.1137:                             ;   in Loop: Header=BB261_1065 Depth=1
	s_or_b32 exec_lo, exec_lo, s24
	v_lshlrev_b32_e32 v18, 8, v11
	v_lshl_add_u32 v3, v3, 10, 0x2000
	v_lshlrev_b32_e32 v2, 7, v2
	v_and_b32_e32 v18, 0x8000, v18
	v_and_b32_e32 v3, 0xfc00, v3
	v_or3_b32 v2, v18, v3, v2
.LBB261_1138:                           ;   in Loop: Header=BB261_1065 Depth=1
	s_or_b32 exec_lo, exec_lo, s23
.LBB261_1139:                           ;   in Loop: Header=BB261_1065 Depth=1
	s_or_b32 exec_lo, exec_lo, s22
.LBB261_1140:                           ;   in Loop: Header=BB261_1065 Depth=1
	s_or_b32 exec_lo, exec_lo, s21
	v_lshrrev_b16 v3, 8, v11
	s_mov_b32 s21, exec_lo
	v_cmpx_ne_u16_e32 0, v3
	s_cbranch_execz .LBB261_1148
; %bb.1141:                             ;   in Loop: Header=BB261_1065 Depth=1
	v_bfrev_b32_e32 v1, 1
	s_mov_b32 s22, exec_lo
	v_cmpx_ne_u16_e32 0x80, v3
	s_cbranch_execz .LBB261_1147
; %bb.1142:                             ;   in Loop: Header=BB261_1065 Depth=1
	v_and_b32_sdwa v19, v3, v34 dst_sel:DWORD dst_unused:UNUSED_PAD src0_sel:WORD_0 src1_sel:DWORD
	v_mov_b32_e32 v1, 0x7c010000
	s_mov_b32 s23, exec_lo
	v_cmpx_ne_u32_e32 0x7f, v19
	s_cbranch_execz .LBB261_1146
; %bb.1143:                             ;   in Loop: Header=BB261_1065 Depth=1
	v_and_b32_sdwa v1, v3, v67 dst_sel:DWORD dst_unused:UNUSED_PAD src0_sel:WORD_0 src1_sel:DWORD
	v_lshrrev_b32_e32 v18, 3, v19
	s_mov_b32 s24, exec_lo
	v_cmpx_gt_u32_e32 8, v19
; %bb.1144:                             ;   in Loop: Header=BB261_1065 Depth=1
	v_ffbh_u32_e32 v1, v1
	v_min_u32_e32 v1, 32, v1
	v_subrev_nc_u32_e32 v18, 28, v1
	v_lshlrev_b64 v[22:23], v18, v[3:4]
	v_sub_nc_u32_e32 v18, 29, v1
	v_and_b32_e32 v1, 7, v22
; %bb.1145:                             ;   in Loop: Header=BB261_1065 Depth=1
	s_or_b32 exec_lo, exec_lo, s24
	v_lshlrev_b32_sdwa v3, v68, v3 dst_sel:DWORD dst_unused:UNUSED_PAD src0_sel:DWORD src1_sel:WORD_0
	v_lshl_add_u32 v18, v18, 10, 0x2000
	v_lshlrev_b32_e32 v1, 23, v1
	v_and_or_b32 v3, 0x8000, v3, v18
	v_lshl_or_b32 v1, v3, 16, v1
.LBB261_1146:                           ;   in Loop: Header=BB261_1065 Depth=1
	s_or_b32 exec_lo, exec_lo, s23
.LBB261_1147:                           ;   in Loop: Header=BB261_1065 Depth=1
	s_or_b32 exec_lo, exec_lo, s22
.LBB261_1148:                           ;   in Loop: Header=BB261_1065 Depth=1
	s_or_b32 exec_lo, exec_lo, s21
	v_lshrrev_b32_e32 v3, 16, v11
	v_mov_b32_e32 v18, 0
	v_mov_b32_e32 v19, 0
	v_cmp_ne_u16_sdwa s5, v3, v4 src0_sel:BYTE_0 src1_sel:DWORD
	s_and_saveexec_b32 s21, s5
	s_cbranch_execz .LBB261_1156
; %bb.1149:                             ;   in Loop: Header=BB261_1065 Depth=1
	v_cmp_ne_u16_sdwa s5, v3, v48 src0_sel:BYTE_0 src1_sel:DWORD
	v_mov_b32_e32 v19, 0x8000
	s_and_saveexec_b32 s22, s5
	s_cbranch_execz .LBB261_1155
; %bb.1150:                             ;   in Loop: Header=BB261_1065 Depth=1
	v_bfe_u32 v23, v11, 16, 7
	v_mov_b32_e32 v19, 0x7c01
	s_mov_b32 s23, exec_lo
	v_cmpx_ne_u32_e32 0x7f, v23
	s_cbranch_execz .LBB261_1154
; %bb.1151:                             ;   in Loop: Header=BB261_1065 Depth=1
	v_and_b32_e32 v19, 7, v3
	v_lshrrev_b32_e32 v22, 3, v23
	s_mov_b32 s24, exec_lo
	v_cmpx_gt_u32_e32 8, v23
; %bb.1152:                             ;   in Loop: Header=BB261_1065 Depth=1
	v_ffbh_u32_e32 v19, v19
	v_min_u32_e32 v19, 32, v19
	v_subrev_nc_u32_e32 v22, 28, v19
	v_lshlrev_b64 v[29:30], v22, v[3:4]
	v_sub_nc_u32_e32 v22, 29, v19
	v_and_b32_e32 v19, 7, v29
; %bb.1153:                             ;   in Loop: Header=BB261_1065 Depth=1
	s_or_b32 exec_lo, exec_lo, s24
	v_lshlrev_b32_e32 v3, 8, v3
	v_lshl_add_u32 v22, v22, 10, 0x2000
	v_lshlrev_b32_e32 v19, 7, v19
	v_and_b32_e32 v3, 0x8000, v3
	v_and_b32_e32 v22, 0xfc00, v22
	v_or3_b32 v19, v3, v22, v19
.LBB261_1154:                           ;   in Loop: Header=BB261_1065 Depth=1
	s_or_b32 exec_lo, exec_lo, s23
.LBB261_1155:                           ;   in Loop: Header=BB261_1065 Depth=1
	s_or_b32 exec_lo, exec_lo, s22
.LBB261_1156:                           ;   in Loop: Header=BB261_1065 Depth=1
	s_or_b32 exec_lo, exec_lo, s21
	s_mov_b32 s21, exec_lo
	v_cmpx_lt_u32_e32 0xffffff, v11
	s_cbranch_execz .LBB261_1164
; %bb.1157:                             ;   in Loop: Header=BB261_1065 Depth=1
	v_lshrrev_b32_e32 v3, 24, v11
	v_bfrev_b32_e32 v18, 1
	s_mov_b32 s22, exec_lo
	v_cmpx_ne_u32_e32 0x80, v3
	s_cbranch_execz .LBB261_1163
; %bb.1158:                             ;   in Loop: Header=BB261_1065 Depth=1
	v_and_b32_e32 v23, 0x7f, v3
	v_mov_b32_e32 v18, 0x7c010000
	s_mov_b32 s23, exec_lo
	v_cmpx_ne_u32_e32 0x7f, v23
	s_cbranch_execz .LBB261_1162
; %bb.1159:                             ;   in Loop: Header=BB261_1065 Depth=1
	v_and_b32_e32 v18, 7, v3
	v_lshrrev_b32_e32 v22, 3, v23
	s_mov_b32 s24, exec_lo
	v_cmpx_gt_u32_e32 8, v23
; %bb.1160:                             ;   in Loop: Header=BB261_1065 Depth=1
	v_ffbh_u32_e32 v18, v18
	v_min_u32_e32 v18, 32, v18
	v_subrev_nc_u32_e32 v22, 28, v18
	v_lshlrev_b64 v[29:30], v22, v[3:4]
	v_sub_nc_u32_e32 v22, 29, v18
	v_and_b32_e32 v18, 7, v29
; %bb.1161:                             ;   in Loop: Header=BB261_1065 Depth=1
	s_or_b32 exec_lo, exec_lo, s24
	v_lshlrev_b32_e32 v3, 8, v3
	v_lshl_add_u32 v22, v22, 10, 0x2000
	v_lshlrev_b32_e32 v18, 23, v18
	v_and_or_b32 v3, 0x8000, v3, v22
	v_lshl_or_b32 v18, v3, 16, v18
.LBB261_1162:                           ;   in Loop: Header=BB261_1065 Depth=1
	s_or_b32 exec_lo, exec_lo, s23
.LBB261_1163:                           ;   in Loop: Header=BB261_1065 Depth=1
	s_or_b32 exec_lo, exec_lo, s22
.LBB261_1164:                           ;   in Loop: Header=BB261_1065 Depth=1
	s_or_b32 exec_lo, exec_lo, s21
	v_mov_b32_e32 v3, v12
	v_cmp_ne_u16_sdwa s5, v12, v4 src0_sel:BYTE_0 src1_sel:DWORD
	v_mov_b32_e32 v22, 0
	v_mov_b32_e32 v23, 0
	s_and_saveexec_b32 s21, s5
	s_cbranch_execz .LBB261_1172
; %bb.1165:                             ;   in Loop: Header=BB261_1065 Depth=1
	v_cmp_ne_u16_sdwa s5, v12, v48 src0_sel:BYTE_0 src1_sel:DWORD
	v_mov_b32_e32 v23, 0x8000
	s_and_saveexec_b32 s22, s5
	s_cbranch_execz .LBB261_1171
; %bb.1166:                             ;   in Loop: Header=BB261_1065 Depth=1
	v_and_b32_e32 v30, 0x7f, v12
	v_mov_b32_e32 v23, 0x7c01
	s_mov_b32 s23, exec_lo
	v_cmpx_ne_u32_e32 0x7f, v30
	s_cbranch_execz .LBB261_1170
; %bb.1167:                             ;   in Loop: Header=BB261_1065 Depth=1
	v_and_b32_e32 v23, 7, v12
	v_lshrrev_b32_e32 v29, 3, v30
	s_mov_b32 s24, exec_lo
	v_cmpx_gt_u32_e32 8, v30
; %bb.1168:                             ;   in Loop: Header=BB261_1065 Depth=1
	v_ffbh_u32_e32 v23, v23
	v_min_u32_e32 v23, 32, v23
	v_subrev_nc_u32_e32 v29, 28, v23
	v_lshlrev_b64 v[30:31], v29, v[3:4]
	v_sub_nc_u32_e32 v29, 29, v23
	v_and_b32_e32 v23, 7, v30
; %bb.1169:                             ;   in Loop: Header=BB261_1065 Depth=1
	s_or_b32 exec_lo, exec_lo, s24
	v_lshlrev_b32_e32 v30, 8, v12
	v_lshl_add_u32 v29, v29, 10, 0x2000
	v_lshlrev_b32_e32 v23, 7, v23
	v_and_b32_e32 v30, 0x8000, v30
	v_and_b32_e32 v29, 0xfc00, v29
	v_or3_b32 v23, v30, v29, v23
.LBB261_1170:                           ;   in Loop: Header=BB261_1065 Depth=1
	s_or_b32 exec_lo, exec_lo, s23
.LBB261_1171:                           ;   in Loop: Header=BB261_1065 Depth=1
	s_or_b32 exec_lo, exec_lo, s22
.LBB261_1172:                           ;   in Loop: Header=BB261_1065 Depth=1
	s_or_b32 exec_lo, exec_lo, s21
	v_lshrrev_b16 v3, 8, v3
	v_mov_b32_e32 v29, 0
	s_mov_b32 s21, exec_lo
	v_cmpx_ne_u16_e32 0, v3
	s_cbranch_execz .LBB261_1180
; %bb.1173:                             ;   in Loop: Header=BB261_1065 Depth=1
	v_bfrev_b32_e32 v29, 1
	s_mov_b32 s22, exec_lo
	v_cmpx_ne_u16_e32 0x80, v3
	s_cbranch_execz .LBB261_1179
; %bb.1174:                             ;   in Loop: Header=BB261_1065 Depth=1
	v_and_b32_sdwa v31, v3, v34 dst_sel:DWORD dst_unused:UNUSED_PAD src0_sel:WORD_0 src1_sel:DWORD
	v_mov_b32_e32 v29, 0x7c010000
	s_mov_b32 s23, exec_lo
	v_cmpx_ne_u32_e32 0x7f, v31
	s_cbranch_execz .LBB261_1178
; %bb.1175:                             ;   in Loop: Header=BB261_1065 Depth=1
	v_and_b32_sdwa v29, v3, v67 dst_sel:DWORD dst_unused:UNUSED_PAD src0_sel:WORD_0 src1_sel:DWORD
	v_lshrrev_b32_e32 v30, 3, v31
	s_mov_b32 s24, exec_lo
	v_cmpx_gt_u32_e32 8, v31
; %bb.1176:                             ;   in Loop: Header=BB261_1065 Depth=1
	v_ffbh_u32_e32 v29, v29
	v_min_u32_e32 v31, 32, v29
	v_subrev_nc_u32_e32 v29, 28, v31
	v_lshlrev_b64 v[29:30], v29, v[3:4]
	v_sub_nc_u32_e32 v30, 29, v31
	v_and_b32_e32 v29, 7, v29
; %bb.1177:                             ;   in Loop: Header=BB261_1065 Depth=1
	s_or_b32 exec_lo, exec_lo, s24
	v_lshlrev_b32_sdwa v3, v68, v3 dst_sel:DWORD dst_unused:UNUSED_PAD src0_sel:DWORD src1_sel:WORD_0
	v_lshl_add_u32 v30, v30, 10, 0x2000
	v_lshlrev_b32_e32 v29, 23, v29
	v_and_or_b32 v3, 0x8000, v3, v30
	v_lshl_or_b32 v29, v3, 16, v29
.LBB261_1178:                           ;   in Loop: Header=BB261_1065 Depth=1
	s_or_b32 exec_lo, exec_lo, s23
.LBB261_1179:                           ;   in Loop: Header=BB261_1065 Depth=1
	s_or_b32 exec_lo, exec_lo, s22
.LBB261_1180:                           ;   in Loop: Header=BB261_1065 Depth=1
	s_or_b32 exec_lo, exec_lo, s21
	v_lshrrev_b32_e32 v3, 16, v12
	v_cmp_ne_u16_sdwa s5, v3, v4 src0_sel:BYTE_0 src1_sel:DWORD
	s_and_saveexec_b32 s21, s5
	s_cbranch_execz .LBB261_1188
; %bb.1181:                             ;   in Loop: Header=BB261_1065 Depth=1
	v_cmp_ne_u16_sdwa s5, v3, v48 src0_sel:BYTE_0 src1_sel:DWORD
	v_mov_b32_e32 v22, 0x8000
	s_and_saveexec_b32 s22, s5
	s_cbranch_execz .LBB261_1187
; %bb.1182:                             ;   in Loop: Header=BB261_1065 Depth=1
	v_bfe_u32 v31, v12, 16, 7
	v_mov_b32_e32 v22, 0x7c01
	s_mov_b32 s23, exec_lo
	v_cmpx_ne_u32_e32 0x7f, v31
	s_cbranch_execz .LBB261_1186
; %bb.1183:                             ;   in Loop: Header=BB261_1065 Depth=1
	v_and_b32_e32 v22, 7, v3
	v_lshrrev_b32_e32 v30, 3, v31
	s_mov_b32 s24, exec_lo
	v_cmpx_gt_u32_e32 8, v31
; %bb.1184:                             ;   in Loop: Header=BB261_1065 Depth=1
	v_ffbh_u32_e32 v22, v22
	v_min_u32_e32 v22, 32, v22
	v_subrev_nc_u32_e32 v30, 28, v22
	v_lshlrev_b64 v[35:36], v30, v[3:4]
	v_sub_nc_u32_e32 v30, 29, v22
	v_and_b32_e32 v22, 7, v35
; %bb.1185:                             ;   in Loop: Header=BB261_1065 Depth=1
	s_or_b32 exec_lo, exec_lo, s24
	v_lshlrev_b32_e32 v3, 8, v3
	v_lshl_add_u32 v30, v30, 10, 0x2000
	v_lshlrev_b32_e32 v22, 7, v22
	v_and_b32_e32 v3, 0x8000, v3
	v_and_b32_e32 v30, 0xfc00, v30
	v_or3_b32 v22, v3, v30, v22
.LBB261_1186:                           ;   in Loop: Header=BB261_1065 Depth=1
	s_or_b32 exec_lo, exec_lo, s23
.LBB261_1187:                           ;   in Loop: Header=BB261_1065 Depth=1
	s_or_b32 exec_lo, exec_lo, s22
.LBB261_1188:                           ;   in Loop: Header=BB261_1065 Depth=1
	s_or_b32 exec_lo, exec_lo, s21
	v_cmp_lt_u64_e64 s5, s[6:7], v[11:12]
	v_mov_b32_e32 v11, 0
	s_and_saveexec_b32 s21, s5
	s_cbranch_execz .LBB261_1196
; %bb.1189:                             ;   in Loop: Header=BB261_1065 Depth=1
	v_lshrrev_b32_e32 v3, 24, v12
	v_bfrev_b32_e32 v11, 1
	s_mov_b32 s22, exec_lo
	v_cmpx_ne_u32_e32 0x80, v3
	s_cbranch_execz .LBB261_1195
; %bb.1190:                             ;   in Loop: Header=BB261_1065 Depth=1
	v_and_b32_e32 v30, 0x7f, v3
	v_mov_b32_e32 v11, 0x7c010000
	s_mov_b32 s23, exec_lo
	v_cmpx_ne_u32_e32 0x7f, v30
	s_cbranch_execz .LBB261_1194
; %bb.1191:                             ;   in Loop: Header=BB261_1065 Depth=1
	v_and_b32_e32 v11, 7, v3
	v_lshrrev_b32_e32 v12, 3, v30
	s_mov_b32 s24, exec_lo
	v_cmpx_gt_u32_e32 8, v30
; %bb.1192:                             ;   in Loop: Header=BB261_1065 Depth=1
	v_ffbh_u32_e32 v11, v11
	v_min_u32_e32 v30, 32, v11
	v_subrev_nc_u32_e32 v11, 28, v30
	v_lshlrev_b64 v[11:12], v11, v[3:4]
	v_sub_nc_u32_e32 v12, 29, v30
	v_and_b32_e32 v11, 7, v11
; %bb.1193:                             ;   in Loop: Header=BB261_1065 Depth=1
	s_or_b32 exec_lo, exec_lo, s24
	v_lshlrev_b32_e32 v3, 8, v3
	v_lshl_add_u32 v12, v12, 10, 0x2000
	v_lshlrev_b32_e32 v11, 23, v11
	v_and_or_b32 v3, 0x8000, v3, v12
	v_lshl_or_b32 v11, v3, 16, v11
.LBB261_1194:                           ;   in Loop: Header=BB261_1065 Depth=1
	s_or_b32 exec_lo, exec_lo, s23
.LBB261_1195:                           ;   in Loop: Header=BB261_1065 Depth=1
	s_or_b32 exec_lo, exec_lo, s22
.LBB261_1196:                           ;   in Loop: Header=BB261_1065 Depth=1
	s_or_b32 exec_lo, exec_lo, s21
	v_or_b32_e32 v3, v18, v19
	s_waitcnt vmcnt(0) lgkmcnt(0)
	v_fma_mixlo_f16 v12, v0, v18, 0 op_sel:[0,1,0] op_sel_hi:[0,1,0]
	v_or_b32_e32 v2, v1, v2
	v_fma_mixlo_f16 v18, v0, v1, 0 op_sel:[0,1,0] op_sel_hi:[0,1,0]
	v_or_b32_e32 v19, v29, v23
	v_fma_mixlo_f16 v3, v0, v3, 0 op_sel_hi:[0,1,0]
	v_or_b32_e32 v22, v11, v22
	v_lshlrev_b32_e32 v1, 16, v12
	v_lshlrev_b32_e32 v12, 16, v18
	v_fma_mixlo_f16 v18, v0, v2, 0 op_sel_hi:[0,1,0]
	v_and_b32_e32 v2, 0xffff, v3
	v_fma_mixlo_f16 v3, v0, v29, 0 op_sel:[0,1,0] op_sel_hi:[0,1,0]
	v_fma_mixlo_f16 v19, v0, v19, 0 op_sel_hi:[0,1,0]
	v_fma_mixlo_f16 v11, v0, v11, 0 op_sel:[0,1,0] op_sel_hi:[0,1,0]
	v_fma_mixlo_f16 v22, v0, v22, 0 op_sel_hi:[0,1,0]
	v_and_b32_e32 v30, 0xffff, v18
	v_lshlrev_b32_e32 v3, 16, v3
	v_and_b32_e32 v19, 0xffff, v19
	v_lshlrev_b32_e32 v0, 16, v11
	v_and_b32_e32 v11, 0xffff, v22
	v_or_b32_e32 v18, v1, v2
	v_or_b32_e32 v29, v12, v30
	;; [unrolled: 1-line block ×4, first 2 shown]
	s_and_saveexec_b32 s21, vcc_lo
	s_cbranch_execz .LBB261_1198
; %bb.1197:                             ;   in Loop: Header=BB261_1065 Depth=1
	v_cmp_lt_i32_e64 s5, v71, v32
	v_cndmask_b32_e64 v18, 0, v30, s5
	v_cmp_lt_i32_e64 s5, v100, v32
	v_cndmask_b32_e64 v12, 0, v12, s5
	v_cmp_lt_i32_e64 s5, v99, v32
	v_or_b32_e32 v29, v18, v12
	v_cndmask_b32_e64 v2, 0, v2, s5
	v_cmp_lt_i32_e64 s5, v98, v32
	v_cndmask_b32_e64 v1, 0, v1, s5
	v_cmp_lt_i32_e64 s5, v97, v32
	v_or_b32_e32 v18, v2, v1
	;; [unrolled: 5-line block ×3, first 2 shown]
	v_cndmask_b32_e64 v11, 0, v11, s5
	v_cmp_lt_i32_e64 s5, v86, v32
	v_cndmask_b32_e64 v0, 0, v0, s5
	v_or_b32_e32 v22, v11, v0
.LBB261_1198:                           ;   in Loop: Header=BB261_1065 Depth=1
	s_or_b32 exec_lo, exec_lo, s21
	;;#ASMSTART
	v_pk_mul_f16 v0, v85, v29;

	;;#ASMEND
	;;#ASMSTART
	v_pk_mul_f16 v1, v84, v18;

	;;#ASMEND
	;;#ASMSTART
	v_pk_mul_f16 v2, v83, v23;

	;;#ASMEND
	;;#ASMSTART
	v_pk_mul_f16 v3, v82, v22;

	;;#ASMEND
	;;#ASMSTART
	v_pk_add_f16 v0, v0, v1;

	;;#ASMEND
	;;#ASMSTART
	v_pk_add_f16 v0, v0, v2;

	;;#ASMEND
	;; [unrolled: 4-line block ×3, first 2 shown]
	v_and_b32_e32 v1, 0xffff, v0
	v_lshrrev_b32_e32 v0, 16, v0
	;;#ASMSTART
	v_cvt_f32_f16 v101, v1;
	;;#ASMEND
	;;#ASMSTART
	v_cvt_f32_f16 v102, v0;
	;;#ASMEND
	flat_load_dwordx2 v[11:12], v[9:10] offset:512
	flat_load_dword v0, v[72:73]
	v_mov_b32_e32 v1, 0
	v_mov_b32_e32 v2, 0
	s_waitcnt vmcnt(1) lgkmcnt(1)
	v_cmp_ne_u16_sdwa s5, v11, v4 src0_sel:BYTE_0 src1_sel:DWORD
	s_and_saveexec_b32 s21, s5
	s_cbranch_execz .LBB261_1206
; %bb.1199:                             ;   in Loop: Header=BB261_1065 Depth=1
	v_cmp_ne_u16_sdwa s5, v11, v48 src0_sel:BYTE_0 src1_sel:DWORD
	v_mov_b32_e32 v2, 0x8000
	s_and_saveexec_b32 s22, s5
	s_cbranch_execz .LBB261_1205
; %bb.1200:                             ;   in Loop: Header=BB261_1065 Depth=1
	v_and_b32_e32 v18, 0x7f, v11
	v_mov_b32_e32 v2, 0x7c01
	s_mov_b32 s23, exec_lo
	v_cmpx_ne_u32_e32 0x7f, v18
	s_cbranch_execz .LBB261_1204
; %bb.1201:                             ;   in Loop: Header=BB261_1065 Depth=1
	v_and_b32_e32 v2, 7, v11
	v_lshrrev_b32_e32 v3, 3, v18
	s_mov_b32 s24, exec_lo
	v_cmpx_gt_u32_e32 8, v18
; %bb.1202:                             ;   in Loop: Header=BB261_1065 Depth=1
	v_ffbh_u32_e32 v2, v2
	v_min_u32_e32 v18, 32, v2
	v_subrev_nc_u32_e32 v2, 28, v18
	v_lshlrev_b64 v[2:3], v2, v[11:12]
	v_sub_nc_u32_e32 v3, 29, v18
	v_and_b32_e32 v2, 7, v2
; %bb.1203:                             ;   in Loop: Header=BB261_1065 Depth=1
	s_or_b32 exec_lo, exec_lo, s24
	v_lshlrev_b32_e32 v18, 8, v11
	v_lshl_add_u32 v3, v3, 10, 0x2000
	v_lshlrev_b32_e32 v2, 7, v2
	v_and_b32_e32 v18, 0x8000, v18
	v_and_b32_e32 v3, 0xfc00, v3
	v_or3_b32 v2, v18, v3, v2
.LBB261_1204:                           ;   in Loop: Header=BB261_1065 Depth=1
	s_or_b32 exec_lo, exec_lo, s23
.LBB261_1205:                           ;   in Loop: Header=BB261_1065 Depth=1
	s_or_b32 exec_lo, exec_lo, s22
.LBB261_1206:                           ;   in Loop: Header=BB261_1065 Depth=1
	s_or_b32 exec_lo, exec_lo, s21
	v_lshrrev_b16 v3, 8, v11
	s_mov_b32 s21, exec_lo
	v_cmpx_ne_u16_e32 0, v3
	s_cbranch_execz .LBB261_1214
; %bb.1207:                             ;   in Loop: Header=BB261_1065 Depth=1
	v_bfrev_b32_e32 v1, 1
	s_mov_b32 s22, exec_lo
	v_cmpx_ne_u16_e32 0x80, v3
	s_cbranch_execz .LBB261_1213
; %bb.1208:                             ;   in Loop: Header=BB261_1065 Depth=1
	v_and_b32_sdwa v19, v3, v34 dst_sel:DWORD dst_unused:UNUSED_PAD src0_sel:WORD_0 src1_sel:DWORD
	v_mov_b32_e32 v1, 0x7c010000
	s_mov_b32 s23, exec_lo
	v_cmpx_ne_u32_e32 0x7f, v19
	s_cbranch_execz .LBB261_1212
; %bb.1209:                             ;   in Loop: Header=BB261_1065 Depth=1
	v_and_b32_sdwa v1, v3, v67 dst_sel:DWORD dst_unused:UNUSED_PAD src0_sel:WORD_0 src1_sel:DWORD
	v_lshrrev_b32_e32 v18, 3, v19
	s_mov_b32 s24, exec_lo
	v_cmpx_gt_u32_e32 8, v19
; %bb.1210:                             ;   in Loop: Header=BB261_1065 Depth=1
	v_ffbh_u32_e32 v1, v1
	v_min_u32_e32 v1, 32, v1
	v_subrev_nc_u32_e32 v18, 28, v1
	v_lshlrev_b64 v[22:23], v18, v[3:4]
	v_sub_nc_u32_e32 v18, 29, v1
	v_and_b32_e32 v1, 7, v22
; %bb.1211:                             ;   in Loop: Header=BB261_1065 Depth=1
	s_or_b32 exec_lo, exec_lo, s24
	v_lshlrev_b32_sdwa v3, v68, v3 dst_sel:DWORD dst_unused:UNUSED_PAD src0_sel:DWORD src1_sel:WORD_0
	v_lshl_add_u32 v18, v18, 10, 0x2000
	v_lshlrev_b32_e32 v1, 23, v1
	v_and_or_b32 v3, 0x8000, v3, v18
	v_lshl_or_b32 v1, v3, 16, v1
.LBB261_1212:                           ;   in Loop: Header=BB261_1065 Depth=1
	s_or_b32 exec_lo, exec_lo, s23
.LBB261_1213:                           ;   in Loop: Header=BB261_1065 Depth=1
	s_or_b32 exec_lo, exec_lo, s22
.LBB261_1214:                           ;   in Loop: Header=BB261_1065 Depth=1
	s_or_b32 exec_lo, exec_lo, s21
	v_lshrrev_b32_e32 v3, 16, v11
	v_mov_b32_e32 v18, 0
	v_mov_b32_e32 v19, 0
	v_cmp_ne_u16_sdwa s5, v3, v4 src0_sel:BYTE_0 src1_sel:DWORD
	s_and_saveexec_b32 s21, s5
	s_cbranch_execz .LBB261_1222
; %bb.1215:                             ;   in Loop: Header=BB261_1065 Depth=1
	v_cmp_ne_u16_sdwa s5, v3, v48 src0_sel:BYTE_0 src1_sel:DWORD
	v_mov_b32_e32 v19, 0x8000
	s_and_saveexec_b32 s22, s5
	s_cbranch_execz .LBB261_1221
; %bb.1216:                             ;   in Loop: Header=BB261_1065 Depth=1
	v_bfe_u32 v23, v11, 16, 7
	v_mov_b32_e32 v19, 0x7c01
	s_mov_b32 s23, exec_lo
	v_cmpx_ne_u32_e32 0x7f, v23
	s_cbranch_execz .LBB261_1220
; %bb.1217:                             ;   in Loop: Header=BB261_1065 Depth=1
	v_and_b32_e32 v19, 7, v3
	v_lshrrev_b32_e32 v22, 3, v23
	s_mov_b32 s24, exec_lo
	v_cmpx_gt_u32_e32 8, v23
; %bb.1218:                             ;   in Loop: Header=BB261_1065 Depth=1
	v_ffbh_u32_e32 v19, v19
	v_min_u32_e32 v19, 32, v19
	v_subrev_nc_u32_e32 v22, 28, v19
	v_lshlrev_b64 v[29:30], v22, v[3:4]
	v_sub_nc_u32_e32 v22, 29, v19
	v_and_b32_e32 v19, 7, v29
; %bb.1219:                             ;   in Loop: Header=BB261_1065 Depth=1
	s_or_b32 exec_lo, exec_lo, s24
	v_lshlrev_b32_e32 v3, 8, v3
	v_lshl_add_u32 v22, v22, 10, 0x2000
	v_lshlrev_b32_e32 v19, 7, v19
	v_and_b32_e32 v3, 0x8000, v3
	v_and_b32_e32 v22, 0xfc00, v22
	v_or3_b32 v19, v3, v22, v19
.LBB261_1220:                           ;   in Loop: Header=BB261_1065 Depth=1
	s_or_b32 exec_lo, exec_lo, s23
.LBB261_1221:                           ;   in Loop: Header=BB261_1065 Depth=1
	s_or_b32 exec_lo, exec_lo, s22
.LBB261_1222:                           ;   in Loop: Header=BB261_1065 Depth=1
	s_or_b32 exec_lo, exec_lo, s21
	s_mov_b32 s21, exec_lo
	v_cmpx_lt_u32_e32 0xffffff, v11
	s_cbranch_execz .LBB261_1230
; %bb.1223:                             ;   in Loop: Header=BB261_1065 Depth=1
	v_lshrrev_b32_e32 v3, 24, v11
	v_bfrev_b32_e32 v18, 1
	s_mov_b32 s22, exec_lo
	v_cmpx_ne_u32_e32 0x80, v3
	s_cbranch_execz .LBB261_1229
; %bb.1224:                             ;   in Loop: Header=BB261_1065 Depth=1
	v_and_b32_e32 v23, 0x7f, v3
	v_mov_b32_e32 v18, 0x7c010000
	s_mov_b32 s23, exec_lo
	v_cmpx_ne_u32_e32 0x7f, v23
	s_cbranch_execz .LBB261_1228
; %bb.1225:                             ;   in Loop: Header=BB261_1065 Depth=1
	v_and_b32_e32 v18, 7, v3
	v_lshrrev_b32_e32 v22, 3, v23
	s_mov_b32 s24, exec_lo
	v_cmpx_gt_u32_e32 8, v23
; %bb.1226:                             ;   in Loop: Header=BB261_1065 Depth=1
	v_ffbh_u32_e32 v18, v18
	v_min_u32_e32 v18, 32, v18
	v_subrev_nc_u32_e32 v22, 28, v18
	v_lshlrev_b64 v[29:30], v22, v[3:4]
	v_sub_nc_u32_e32 v22, 29, v18
	v_and_b32_e32 v18, 7, v29
; %bb.1227:                             ;   in Loop: Header=BB261_1065 Depth=1
	s_or_b32 exec_lo, exec_lo, s24
	v_lshlrev_b32_e32 v3, 8, v3
	v_lshl_add_u32 v22, v22, 10, 0x2000
	v_lshlrev_b32_e32 v18, 23, v18
	v_and_or_b32 v3, 0x8000, v3, v22
	v_lshl_or_b32 v18, v3, 16, v18
.LBB261_1228:                           ;   in Loop: Header=BB261_1065 Depth=1
	s_or_b32 exec_lo, exec_lo, s23
.LBB261_1229:                           ;   in Loop: Header=BB261_1065 Depth=1
	s_or_b32 exec_lo, exec_lo, s22
.LBB261_1230:                           ;   in Loop: Header=BB261_1065 Depth=1
	s_or_b32 exec_lo, exec_lo, s21
	v_mov_b32_e32 v3, v12
	v_cmp_ne_u16_sdwa s5, v12, v4 src0_sel:BYTE_0 src1_sel:DWORD
	v_mov_b32_e32 v22, 0
	v_mov_b32_e32 v23, 0
	s_and_saveexec_b32 s21, s5
	s_cbranch_execz .LBB261_1238
; %bb.1231:                             ;   in Loop: Header=BB261_1065 Depth=1
	v_cmp_ne_u16_sdwa s5, v12, v48 src0_sel:BYTE_0 src1_sel:DWORD
	v_mov_b32_e32 v23, 0x8000
	s_and_saveexec_b32 s22, s5
	s_cbranch_execz .LBB261_1237
; %bb.1232:                             ;   in Loop: Header=BB261_1065 Depth=1
	v_and_b32_e32 v30, 0x7f, v12
	v_mov_b32_e32 v23, 0x7c01
	s_mov_b32 s23, exec_lo
	v_cmpx_ne_u32_e32 0x7f, v30
	s_cbranch_execz .LBB261_1236
; %bb.1233:                             ;   in Loop: Header=BB261_1065 Depth=1
	v_and_b32_e32 v23, 7, v12
	v_lshrrev_b32_e32 v29, 3, v30
	s_mov_b32 s24, exec_lo
	v_cmpx_gt_u32_e32 8, v30
; %bb.1234:                             ;   in Loop: Header=BB261_1065 Depth=1
	v_ffbh_u32_e32 v23, v23
	v_min_u32_e32 v23, 32, v23
	v_subrev_nc_u32_e32 v29, 28, v23
	v_lshlrev_b64 v[30:31], v29, v[3:4]
	v_sub_nc_u32_e32 v29, 29, v23
	v_and_b32_e32 v23, 7, v30
; %bb.1235:                             ;   in Loop: Header=BB261_1065 Depth=1
	s_or_b32 exec_lo, exec_lo, s24
	v_lshlrev_b32_e32 v30, 8, v12
	v_lshl_add_u32 v29, v29, 10, 0x2000
	v_lshlrev_b32_e32 v23, 7, v23
	v_and_b32_e32 v30, 0x8000, v30
	v_and_b32_e32 v29, 0xfc00, v29
	v_or3_b32 v23, v30, v29, v23
.LBB261_1236:                           ;   in Loop: Header=BB261_1065 Depth=1
	s_or_b32 exec_lo, exec_lo, s23
.LBB261_1237:                           ;   in Loop: Header=BB261_1065 Depth=1
	s_or_b32 exec_lo, exec_lo, s22
.LBB261_1238:                           ;   in Loop: Header=BB261_1065 Depth=1
	s_or_b32 exec_lo, exec_lo, s21
	v_lshrrev_b16 v3, 8, v3
	v_mov_b32_e32 v29, 0
	s_mov_b32 s21, exec_lo
	v_cmpx_ne_u16_e32 0, v3
	s_cbranch_execz .LBB261_1246
; %bb.1239:                             ;   in Loop: Header=BB261_1065 Depth=1
	v_bfrev_b32_e32 v29, 1
	s_mov_b32 s22, exec_lo
	v_cmpx_ne_u16_e32 0x80, v3
	s_cbranch_execz .LBB261_1245
; %bb.1240:                             ;   in Loop: Header=BB261_1065 Depth=1
	v_and_b32_sdwa v31, v3, v34 dst_sel:DWORD dst_unused:UNUSED_PAD src0_sel:WORD_0 src1_sel:DWORD
	v_mov_b32_e32 v29, 0x7c010000
	s_mov_b32 s23, exec_lo
	v_cmpx_ne_u32_e32 0x7f, v31
	s_cbranch_execz .LBB261_1244
; %bb.1241:                             ;   in Loop: Header=BB261_1065 Depth=1
	v_and_b32_sdwa v29, v3, v67 dst_sel:DWORD dst_unused:UNUSED_PAD src0_sel:WORD_0 src1_sel:DWORD
	v_lshrrev_b32_e32 v30, 3, v31
	s_mov_b32 s24, exec_lo
	v_cmpx_gt_u32_e32 8, v31
; %bb.1242:                             ;   in Loop: Header=BB261_1065 Depth=1
	v_ffbh_u32_e32 v29, v29
	v_min_u32_e32 v31, 32, v29
	v_subrev_nc_u32_e32 v29, 28, v31
	v_lshlrev_b64 v[29:30], v29, v[3:4]
	v_sub_nc_u32_e32 v30, 29, v31
	v_and_b32_e32 v29, 7, v29
; %bb.1243:                             ;   in Loop: Header=BB261_1065 Depth=1
	s_or_b32 exec_lo, exec_lo, s24
	v_lshlrev_b32_sdwa v3, v68, v3 dst_sel:DWORD dst_unused:UNUSED_PAD src0_sel:DWORD src1_sel:WORD_0
	v_lshl_add_u32 v30, v30, 10, 0x2000
	v_lshlrev_b32_e32 v29, 23, v29
	v_and_or_b32 v3, 0x8000, v3, v30
	v_lshl_or_b32 v29, v3, 16, v29
.LBB261_1244:                           ;   in Loop: Header=BB261_1065 Depth=1
	s_or_b32 exec_lo, exec_lo, s23
.LBB261_1245:                           ;   in Loop: Header=BB261_1065 Depth=1
	s_or_b32 exec_lo, exec_lo, s22
.LBB261_1246:                           ;   in Loop: Header=BB261_1065 Depth=1
	s_or_b32 exec_lo, exec_lo, s21
	v_lshrrev_b32_e32 v3, 16, v12
	v_cmp_ne_u16_sdwa s5, v3, v4 src0_sel:BYTE_0 src1_sel:DWORD
	s_and_saveexec_b32 s21, s5
	s_cbranch_execz .LBB261_1254
; %bb.1247:                             ;   in Loop: Header=BB261_1065 Depth=1
	v_cmp_ne_u16_sdwa s5, v3, v48 src0_sel:BYTE_0 src1_sel:DWORD
	v_mov_b32_e32 v22, 0x8000
	s_and_saveexec_b32 s22, s5
	s_cbranch_execz .LBB261_1253
; %bb.1248:                             ;   in Loop: Header=BB261_1065 Depth=1
	v_bfe_u32 v31, v12, 16, 7
	v_mov_b32_e32 v22, 0x7c01
	s_mov_b32 s23, exec_lo
	v_cmpx_ne_u32_e32 0x7f, v31
	s_cbranch_execz .LBB261_1252
; %bb.1249:                             ;   in Loop: Header=BB261_1065 Depth=1
	v_and_b32_e32 v22, 7, v3
	v_lshrrev_b32_e32 v30, 3, v31
	s_mov_b32 s24, exec_lo
	v_cmpx_gt_u32_e32 8, v31
; %bb.1250:                             ;   in Loop: Header=BB261_1065 Depth=1
	v_ffbh_u32_e32 v22, v22
	v_min_u32_e32 v22, 32, v22
	v_subrev_nc_u32_e32 v30, 28, v22
	v_lshlrev_b64 v[35:36], v30, v[3:4]
	v_sub_nc_u32_e32 v30, 29, v22
	v_and_b32_e32 v22, 7, v35
; %bb.1251:                             ;   in Loop: Header=BB261_1065 Depth=1
	s_or_b32 exec_lo, exec_lo, s24
	v_lshlrev_b32_e32 v3, 8, v3
	v_lshl_add_u32 v30, v30, 10, 0x2000
	v_lshlrev_b32_e32 v22, 7, v22
	v_and_b32_e32 v3, 0x8000, v3
	v_and_b32_e32 v30, 0xfc00, v30
	v_or3_b32 v22, v3, v30, v22
.LBB261_1252:                           ;   in Loop: Header=BB261_1065 Depth=1
	s_or_b32 exec_lo, exec_lo, s23
.LBB261_1253:                           ;   in Loop: Header=BB261_1065 Depth=1
	s_or_b32 exec_lo, exec_lo, s22
.LBB261_1254:                           ;   in Loop: Header=BB261_1065 Depth=1
	s_or_b32 exec_lo, exec_lo, s21
	v_cmp_lt_u64_e64 s5, s[6:7], v[11:12]
	v_mov_b32_e32 v11, 0
	s_and_saveexec_b32 s21, s5
	s_cbranch_execz .LBB261_1262
; %bb.1255:                             ;   in Loop: Header=BB261_1065 Depth=1
	v_lshrrev_b32_e32 v3, 24, v12
	v_bfrev_b32_e32 v11, 1
	s_mov_b32 s22, exec_lo
	v_cmpx_ne_u32_e32 0x80, v3
	s_cbranch_execz .LBB261_1261
; %bb.1256:                             ;   in Loop: Header=BB261_1065 Depth=1
	v_and_b32_e32 v30, 0x7f, v3
	v_mov_b32_e32 v11, 0x7c010000
	s_mov_b32 s23, exec_lo
	v_cmpx_ne_u32_e32 0x7f, v30
	s_cbranch_execz .LBB261_1260
; %bb.1257:                             ;   in Loop: Header=BB261_1065 Depth=1
	v_and_b32_e32 v11, 7, v3
	v_lshrrev_b32_e32 v12, 3, v30
	s_mov_b32 s24, exec_lo
	v_cmpx_gt_u32_e32 8, v30
; %bb.1258:                             ;   in Loop: Header=BB261_1065 Depth=1
	v_ffbh_u32_e32 v11, v11
	v_min_u32_e32 v30, 32, v11
	v_subrev_nc_u32_e32 v11, 28, v30
	v_lshlrev_b64 v[11:12], v11, v[3:4]
	v_sub_nc_u32_e32 v12, 29, v30
	v_and_b32_e32 v11, 7, v11
; %bb.1259:                             ;   in Loop: Header=BB261_1065 Depth=1
	s_or_b32 exec_lo, exec_lo, s24
	v_lshlrev_b32_e32 v3, 8, v3
	v_lshl_add_u32 v12, v12, 10, 0x2000
	v_lshlrev_b32_e32 v11, 23, v11
	v_and_or_b32 v3, 0x8000, v3, v12
	v_lshl_or_b32 v11, v3, 16, v11
.LBB261_1260:                           ;   in Loop: Header=BB261_1065 Depth=1
	s_or_b32 exec_lo, exec_lo, s23
.LBB261_1261:                           ;   in Loop: Header=BB261_1065 Depth=1
	s_or_b32 exec_lo, exec_lo, s22
.LBB261_1262:                           ;   in Loop: Header=BB261_1065 Depth=1
	s_or_b32 exec_lo, exec_lo, s21
	v_or_b32_e32 v3, v18, v19
	s_waitcnt vmcnt(0) lgkmcnt(0)
	v_fma_mixlo_f16 v12, v0, v18, 0 op_sel:[0,1,0] op_sel_hi:[0,1,0]
	v_or_b32_e32 v2, v1, v2
	v_fma_mixlo_f16 v18, v0, v1, 0 op_sel:[0,1,0] op_sel_hi:[0,1,0]
	v_or_b32_e32 v19, v29, v23
	v_fma_mixlo_f16 v3, v0, v3, 0 op_sel_hi:[0,1,0]
	v_or_b32_e32 v22, v11, v22
	v_lshlrev_b32_e32 v1, 16, v12
	v_lshlrev_b32_e32 v12, 16, v18
	v_fma_mixlo_f16 v18, v0, v2, 0 op_sel_hi:[0,1,0]
	v_and_b32_e32 v2, 0xffff, v3
	v_fma_mixlo_f16 v3, v0, v29, 0 op_sel:[0,1,0] op_sel_hi:[0,1,0]
	v_fma_mixlo_f16 v19, v0, v19, 0 op_sel_hi:[0,1,0]
	v_fma_mixlo_f16 v11, v0, v11, 0 op_sel:[0,1,0] op_sel_hi:[0,1,0]
	v_fma_mixlo_f16 v22, v0, v22, 0 op_sel_hi:[0,1,0]
	v_and_b32_e32 v30, 0xffff, v18
	v_lshlrev_b32_e32 v3, 16, v3
	v_and_b32_e32 v19, 0xffff, v19
	v_lshlrev_b32_e32 v0, 16, v11
	v_and_b32_e32 v11, 0xffff, v22
	v_or_b32_e32 v18, v1, v2
	v_or_b32_e32 v29, v12, v30
	;; [unrolled: 1-line block ×4, first 2 shown]
	s_and_saveexec_b32 s21, vcc_lo
	s_cbranch_execz .LBB261_1264
; %bb.1263:                             ;   in Loop: Header=BB261_1065 Depth=1
	v_cmp_lt_i32_e64 s5, v71, v32
	v_cndmask_b32_e64 v18, 0, v30, s5
	v_cmp_lt_i32_e64 s5, v100, v32
	v_cndmask_b32_e64 v12, 0, v12, s5
	v_cmp_lt_i32_e64 s5, v99, v32
	v_or_b32_e32 v29, v18, v12
	v_cndmask_b32_e64 v2, 0, v2, s5
	v_cmp_lt_i32_e64 s5, v98, v32
	v_cndmask_b32_e64 v1, 0, v1, s5
	v_cmp_lt_i32_e64 s5, v97, v32
	v_or_b32_e32 v18, v2, v1
	;; [unrolled: 5-line block ×3, first 2 shown]
	v_cndmask_b32_e64 v11, 0, v11, s5
	v_cmp_lt_i32_e64 s5, v86, v32
	v_cndmask_b32_e64 v0, 0, v0, s5
	v_or_b32_e32 v22, v11, v0
.LBB261_1264:                           ;   in Loop: Header=BB261_1065 Depth=1
	s_or_b32 exec_lo, exec_lo, s21
	;;#ASMSTART
	v_pk_mul_f16 v0, v85, v29;

	;;#ASMEND
	;;#ASMSTART
	v_pk_mul_f16 v1, v84, v18;

	;;#ASMEND
	;; [unrolled: 4-line block ×4, first 2 shown]
	;;#ASMSTART
	v_pk_add_f16 v0, v0, v1;

	;;#ASMEND
	;;#ASMSTART
	v_pk_add_f16 v0, v0, v2;

	;;#ASMEND
	;; [unrolled: 4-line block ×3, first 2 shown]
	v_and_b32_e32 v1, 0xffff, v0
	v_lshrrev_b32_e32 v0, 16, v0
	;;#ASMSTART
	v_cvt_f32_f16 v50, v1;
	;;#ASMEND
	;;#ASMSTART
	v_cvt_f32_f16 v112, v0;
	;;#ASMEND
	flat_load_dwordx2 v[11:12], v[9:10] offset:768
	flat_load_dword v0, v[72:73]
	v_mov_b32_e32 v1, 0
	v_mov_b32_e32 v2, 0
	s_waitcnt vmcnt(1) lgkmcnt(1)
	v_cmp_ne_u16_sdwa s5, v11, v4 src0_sel:BYTE_0 src1_sel:DWORD
	s_and_saveexec_b32 s21, s5
	s_cbranch_execz .LBB261_1272
; %bb.1265:                             ;   in Loop: Header=BB261_1065 Depth=1
	v_cmp_ne_u16_sdwa s5, v11, v48 src0_sel:BYTE_0 src1_sel:DWORD
	v_mov_b32_e32 v2, 0x8000
	s_and_saveexec_b32 s22, s5
	s_cbranch_execz .LBB261_1271
; %bb.1266:                             ;   in Loop: Header=BB261_1065 Depth=1
	v_and_b32_e32 v18, 0x7f, v11
	v_mov_b32_e32 v2, 0x7c01
	s_mov_b32 s23, exec_lo
	v_cmpx_ne_u32_e32 0x7f, v18
	s_cbranch_execz .LBB261_1270
; %bb.1267:                             ;   in Loop: Header=BB261_1065 Depth=1
	v_and_b32_e32 v2, 7, v11
	v_lshrrev_b32_e32 v3, 3, v18
	s_mov_b32 s24, exec_lo
	v_cmpx_gt_u32_e32 8, v18
; %bb.1268:                             ;   in Loop: Header=BB261_1065 Depth=1
	v_ffbh_u32_e32 v2, v2
	v_min_u32_e32 v18, 32, v2
	v_subrev_nc_u32_e32 v2, 28, v18
	v_lshlrev_b64 v[2:3], v2, v[11:12]
	v_sub_nc_u32_e32 v3, 29, v18
	v_and_b32_e32 v2, 7, v2
; %bb.1269:                             ;   in Loop: Header=BB261_1065 Depth=1
	s_or_b32 exec_lo, exec_lo, s24
	v_lshlrev_b32_e32 v18, 8, v11
	v_lshl_add_u32 v3, v3, 10, 0x2000
	v_lshlrev_b32_e32 v2, 7, v2
	v_and_b32_e32 v18, 0x8000, v18
	v_and_b32_e32 v3, 0xfc00, v3
	v_or3_b32 v2, v18, v3, v2
.LBB261_1270:                           ;   in Loop: Header=BB261_1065 Depth=1
	s_or_b32 exec_lo, exec_lo, s23
.LBB261_1271:                           ;   in Loop: Header=BB261_1065 Depth=1
	s_or_b32 exec_lo, exec_lo, s22
.LBB261_1272:                           ;   in Loop: Header=BB261_1065 Depth=1
	s_or_b32 exec_lo, exec_lo, s21
	v_lshrrev_b16 v3, 8, v11
	s_mov_b32 s21, exec_lo
	v_cmpx_ne_u16_e32 0, v3
	s_cbranch_execz .LBB261_1280
; %bb.1273:                             ;   in Loop: Header=BB261_1065 Depth=1
	v_bfrev_b32_e32 v1, 1
	s_mov_b32 s22, exec_lo
	v_cmpx_ne_u16_e32 0x80, v3
	s_cbranch_execz .LBB261_1279
; %bb.1274:                             ;   in Loop: Header=BB261_1065 Depth=1
	v_and_b32_sdwa v19, v3, v34 dst_sel:DWORD dst_unused:UNUSED_PAD src0_sel:WORD_0 src1_sel:DWORD
	v_mov_b32_e32 v1, 0x7c010000
	s_mov_b32 s23, exec_lo
	v_cmpx_ne_u32_e32 0x7f, v19
	s_cbranch_execz .LBB261_1278
; %bb.1275:                             ;   in Loop: Header=BB261_1065 Depth=1
	v_and_b32_sdwa v1, v3, v67 dst_sel:DWORD dst_unused:UNUSED_PAD src0_sel:WORD_0 src1_sel:DWORD
	v_lshrrev_b32_e32 v18, 3, v19
	s_mov_b32 s24, exec_lo
	v_cmpx_gt_u32_e32 8, v19
; %bb.1276:                             ;   in Loop: Header=BB261_1065 Depth=1
	v_ffbh_u32_e32 v1, v1
	v_min_u32_e32 v1, 32, v1
	v_subrev_nc_u32_e32 v18, 28, v1
	v_lshlrev_b64 v[22:23], v18, v[3:4]
	v_sub_nc_u32_e32 v18, 29, v1
	v_and_b32_e32 v1, 7, v22
; %bb.1277:                             ;   in Loop: Header=BB261_1065 Depth=1
	s_or_b32 exec_lo, exec_lo, s24
	v_lshlrev_b32_sdwa v3, v68, v3 dst_sel:DWORD dst_unused:UNUSED_PAD src0_sel:DWORD src1_sel:WORD_0
	v_lshl_add_u32 v18, v18, 10, 0x2000
	v_lshlrev_b32_e32 v1, 23, v1
	v_and_or_b32 v3, 0x8000, v3, v18
	v_lshl_or_b32 v1, v3, 16, v1
.LBB261_1278:                           ;   in Loop: Header=BB261_1065 Depth=1
	s_or_b32 exec_lo, exec_lo, s23
.LBB261_1279:                           ;   in Loop: Header=BB261_1065 Depth=1
	s_or_b32 exec_lo, exec_lo, s22
.LBB261_1280:                           ;   in Loop: Header=BB261_1065 Depth=1
	s_or_b32 exec_lo, exec_lo, s21
	v_lshrrev_b32_e32 v3, 16, v11
	v_mov_b32_e32 v18, 0
	v_mov_b32_e32 v19, 0
	v_cmp_ne_u16_sdwa s5, v3, v4 src0_sel:BYTE_0 src1_sel:DWORD
	s_and_saveexec_b32 s21, s5
	s_cbranch_execz .LBB261_1288
; %bb.1281:                             ;   in Loop: Header=BB261_1065 Depth=1
	v_cmp_ne_u16_sdwa s5, v3, v48 src0_sel:BYTE_0 src1_sel:DWORD
	v_mov_b32_e32 v19, 0x8000
	s_and_saveexec_b32 s22, s5
	s_cbranch_execz .LBB261_1287
; %bb.1282:                             ;   in Loop: Header=BB261_1065 Depth=1
	v_bfe_u32 v23, v11, 16, 7
	v_mov_b32_e32 v19, 0x7c01
	s_mov_b32 s23, exec_lo
	v_cmpx_ne_u32_e32 0x7f, v23
	s_cbranch_execz .LBB261_1286
; %bb.1283:                             ;   in Loop: Header=BB261_1065 Depth=1
	v_and_b32_e32 v19, 7, v3
	v_lshrrev_b32_e32 v22, 3, v23
	s_mov_b32 s24, exec_lo
	v_cmpx_gt_u32_e32 8, v23
; %bb.1284:                             ;   in Loop: Header=BB261_1065 Depth=1
	v_ffbh_u32_e32 v19, v19
	v_min_u32_e32 v19, 32, v19
	v_subrev_nc_u32_e32 v22, 28, v19
	v_lshlrev_b64 v[29:30], v22, v[3:4]
	v_sub_nc_u32_e32 v22, 29, v19
	v_and_b32_e32 v19, 7, v29
; %bb.1285:                             ;   in Loop: Header=BB261_1065 Depth=1
	s_or_b32 exec_lo, exec_lo, s24
	v_lshlrev_b32_e32 v3, 8, v3
	v_lshl_add_u32 v22, v22, 10, 0x2000
	v_lshlrev_b32_e32 v19, 7, v19
	v_and_b32_e32 v3, 0x8000, v3
	v_and_b32_e32 v22, 0xfc00, v22
	v_or3_b32 v19, v3, v22, v19
.LBB261_1286:                           ;   in Loop: Header=BB261_1065 Depth=1
	s_or_b32 exec_lo, exec_lo, s23
.LBB261_1287:                           ;   in Loop: Header=BB261_1065 Depth=1
	s_or_b32 exec_lo, exec_lo, s22
.LBB261_1288:                           ;   in Loop: Header=BB261_1065 Depth=1
	s_or_b32 exec_lo, exec_lo, s21
	s_mov_b32 s21, exec_lo
	v_cmpx_lt_u32_e32 0xffffff, v11
	s_cbranch_execz .LBB261_1296
; %bb.1289:                             ;   in Loop: Header=BB261_1065 Depth=1
	v_lshrrev_b32_e32 v3, 24, v11
	v_bfrev_b32_e32 v18, 1
	s_mov_b32 s22, exec_lo
	v_cmpx_ne_u32_e32 0x80, v3
	s_cbranch_execz .LBB261_1295
; %bb.1290:                             ;   in Loop: Header=BB261_1065 Depth=1
	v_and_b32_e32 v23, 0x7f, v3
	v_mov_b32_e32 v18, 0x7c010000
	s_mov_b32 s23, exec_lo
	v_cmpx_ne_u32_e32 0x7f, v23
	s_cbranch_execz .LBB261_1294
; %bb.1291:                             ;   in Loop: Header=BB261_1065 Depth=1
	v_and_b32_e32 v18, 7, v3
	v_lshrrev_b32_e32 v22, 3, v23
	s_mov_b32 s24, exec_lo
	v_cmpx_gt_u32_e32 8, v23
; %bb.1292:                             ;   in Loop: Header=BB261_1065 Depth=1
	v_ffbh_u32_e32 v18, v18
	v_min_u32_e32 v18, 32, v18
	v_subrev_nc_u32_e32 v22, 28, v18
	v_lshlrev_b64 v[29:30], v22, v[3:4]
	v_sub_nc_u32_e32 v22, 29, v18
	v_and_b32_e32 v18, 7, v29
; %bb.1293:                             ;   in Loop: Header=BB261_1065 Depth=1
	s_or_b32 exec_lo, exec_lo, s24
	v_lshlrev_b32_e32 v3, 8, v3
	v_lshl_add_u32 v22, v22, 10, 0x2000
	v_lshlrev_b32_e32 v18, 23, v18
	v_and_or_b32 v3, 0x8000, v3, v22
	v_lshl_or_b32 v18, v3, 16, v18
.LBB261_1294:                           ;   in Loop: Header=BB261_1065 Depth=1
	s_or_b32 exec_lo, exec_lo, s23
.LBB261_1295:                           ;   in Loop: Header=BB261_1065 Depth=1
	s_or_b32 exec_lo, exec_lo, s22
.LBB261_1296:                           ;   in Loop: Header=BB261_1065 Depth=1
	s_or_b32 exec_lo, exec_lo, s21
	v_mov_b32_e32 v3, v12
	v_cmp_ne_u16_sdwa s5, v12, v4 src0_sel:BYTE_0 src1_sel:DWORD
	v_mov_b32_e32 v22, 0
	v_mov_b32_e32 v23, 0
	s_and_saveexec_b32 s21, s5
	s_cbranch_execz .LBB261_1304
; %bb.1297:                             ;   in Loop: Header=BB261_1065 Depth=1
	v_cmp_ne_u16_sdwa s5, v12, v48 src0_sel:BYTE_0 src1_sel:DWORD
	v_mov_b32_e32 v23, 0x8000
	s_and_saveexec_b32 s22, s5
	s_cbranch_execz .LBB261_1303
; %bb.1298:                             ;   in Loop: Header=BB261_1065 Depth=1
	v_and_b32_e32 v30, 0x7f, v12
	v_mov_b32_e32 v23, 0x7c01
	s_mov_b32 s23, exec_lo
	v_cmpx_ne_u32_e32 0x7f, v30
	s_cbranch_execz .LBB261_1302
; %bb.1299:                             ;   in Loop: Header=BB261_1065 Depth=1
	v_and_b32_e32 v23, 7, v12
	v_lshrrev_b32_e32 v29, 3, v30
	s_mov_b32 s24, exec_lo
	v_cmpx_gt_u32_e32 8, v30
; %bb.1300:                             ;   in Loop: Header=BB261_1065 Depth=1
	v_ffbh_u32_e32 v23, v23
	v_min_u32_e32 v23, 32, v23
	v_subrev_nc_u32_e32 v29, 28, v23
	v_lshlrev_b64 v[30:31], v29, v[3:4]
	v_sub_nc_u32_e32 v29, 29, v23
	v_and_b32_e32 v23, 7, v30
; %bb.1301:                             ;   in Loop: Header=BB261_1065 Depth=1
	s_or_b32 exec_lo, exec_lo, s24
	v_lshlrev_b32_e32 v30, 8, v12
	v_lshl_add_u32 v29, v29, 10, 0x2000
	v_lshlrev_b32_e32 v23, 7, v23
	v_and_b32_e32 v30, 0x8000, v30
	v_and_b32_e32 v29, 0xfc00, v29
	v_or3_b32 v23, v30, v29, v23
.LBB261_1302:                           ;   in Loop: Header=BB261_1065 Depth=1
	s_or_b32 exec_lo, exec_lo, s23
.LBB261_1303:                           ;   in Loop: Header=BB261_1065 Depth=1
	s_or_b32 exec_lo, exec_lo, s22
.LBB261_1304:                           ;   in Loop: Header=BB261_1065 Depth=1
	s_or_b32 exec_lo, exec_lo, s21
	v_lshrrev_b16 v3, 8, v3
	v_mov_b32_e32 v29, 0
	s_mov_b32 s21, exec_lo
	v_cmpx_ne_u16_e32 0, v3
	s_cbranch_execz .LBB261_1312
; %bb.1305:                             ;   in Loop: Header=BB261_1065 Depth=1
	v_bfrev_b32_e32 v29, 1
	s_mov_b32 s22, exec_lo
	v_cmpx_ne_u16_e32 0x80, v3
	s_cbranch_execz .LBB261_1311
; %bb.1306:                             ;   in Loop: Header=BB261_1065 Depth=1
	v_and_b32_sdwa v31, v3, v34 dst_sel:DWORD dst_unused:UNUSED_PAD src0_sel:WORD_0 src1_sel:DWORD
	v_mov_b32_e32 v29, 0x7c010000
	s_mov_b32 s23, exec_lo
	v_cmpx_ne_u32_e32 0x7f, v31
	s_cbranch_execz .LBB261_1310
; %bb.1307:                             ;   in Loop: Header=BB261_1065 Depth=1
	v_and_b32_sdwa v29, v3, v67 dst_sel:DWORD dst_unused:UNUSED_PAD src0_sel:WORD_0 src1_sel:DWORD
	v_lshrrev_b32_e32 v30, 3, v31
	s_mov_b32 s24, exec_lo
	v_cmpx_gt_u32_e32 8, v31
; %bb.1308:                             ;   in Loop: Header=BB261_1065 Depth=1
	v_ffbh_u32_e32 v29, v29
	v_min_u32_e32 v31, 32, v29
	v_subrev_nc_u32_e32 v29, 28, v31
	v_lshlrev_b64 v[29:30], v29, v[3:4]
	v_sub_nc_u32_e32 v30, 29, v31
	v_and_b32_e32 v29, 7, v29
; %bb.1309:                             ;   in Loop: Header=BB261_1065 Depth=1
	s_or_b32 exec_lo, exec_lo, s24
	v_lshlrev_b32_sdwa v3, v68, v3 dst_sel:DWORD dst_unused:UNUSED_PAD src0_sel:DWORD src1_sel:WORD_0
	v_lshl_add_u32 v30, v30, 10, 0x2000
	v_lshlrev_b32_e32 v29, 23, v29
	v_and_or_b32 v3, 0x8000, v3, v30
	v_lshl_or_b32 v29, v3, 16, v29
.LBB261_1310:                           ;   in Loop: Header=BB261_1065 Depth=1
	s_or_b32 exec_lo, exec_lo, s23
.LBB261_1311:                           ;   in Loop: Header=BB261_1065 Depth=1
	s_or_b32 exec_lo, exec_lo, s22
.LBB261_1312:                           ;   in Loop: Header=BB261_1065 Depth=1
	s_or_b32 exec_lo, exec_lo, s21
	v_lshrrev_b32_e32 v3, 16, v12
	v_cmp_ne_u16_sdwa s5, v3, v4 src0_sel:BYTE_0 src1_sel:DWORD
	s_and_saveexec_b32 s21, s5
	s_cbranch_execz .LBB261_1320
; %bb.1313:                             ;   in Loop: Header=BB261_1065 Depth=1
	v_cmp_ne_u16_sdwa s5, v3, v48 src0_sel:BYTE_0 src1_sel:DWORD
	v_mov_b32_e32 v22, 0x8000
	s_and_saveexec_b32 s22, s5
	s_cbranch_execz .LBB261_1319
; %bb.1314:                             ;   in Loop: Header=BB261_1065 Depth=1
	v_bfe_u32 v31, v12, 16, 7
	v_mov_b32_e32 v22, 0x7c01
	s_mov_b32 s23, exec_lo
	v_cmpx_ne_u32_e32 0x7f, v31
	s_cbranch_execz .LBB261_1318
; %bb.1315:                             ;   in Loop: Header=BB261_1065 Depth=1
	v_and_b32_e32 v22, 7, v3
	v_lshrrev_b32_e32 v30, 3, v31
	s_mov_b32 s24, exec_lo
	v_cmpx_gt_u32_e32 8, v31
; %bb.1316:                             ;   in Loop: Header=BB261_1065 Depth=1
	v_ffbh_u32_e32 v22, v22
	v_min_u32_e32 v22, 32, v22
	v_subrev_nc_u32_e32 v30, 28, v22
	v_lshlrev_b64 v[35:36], v30, v[3:4]
	v_sub_nc_u32_e32 v30, 29, v22
	v_and_b32_e32 v22, 7, v35
; %bb.1317:                             ;   in Loop: Header=BB261_1065 Depth=1
	s_or_b32 exec_lo, exec_lo, s24
	v_lshlrev_b32_e32 v3, 8, v3
	v_lshl_add_u32 v30, v30, 10, 0x2000
	v_lshlrev_b32_e32 v22, 7, v22
	v_and_b32_e32 v3, 0x8000, v3
	v_and_b32_e32 v30, 0xfc00, v30
	v_or3_b32 v22, v3, v30, v22
.LBB261_1318:                           ;   in Loop: Header=BB261_1065 Depth=1
	s_or_b32 exec_lo, exec_lo, s23
.LBB261_1319:                           ;   in Loop: Header=BB261_1065 Depth=1
	s_or_b32 exec_lo, exec_lo, s22
.LBB261_1320:                           ;   in Loop: Header=BB261_1065 Depth=1
	s_or_b32 exec_lo, exec_lo, s21
	v_cmp_lt_u64_e64 s5, s[6:7], v[11:12]
	v_mov_b32_e32 v11, 0
	s_and_saveexec_b32 s21, s5
	s_cbranch_execz .LBB261_1328
; %bb.1321:                             ;   in Loop: Header=BB261_1065 Depth=1
	v_lshrrev_b32_e32 v3, 24, v12
	v_bfrev_b32_e32 v11, 1
	s_mov_b32 s22, exec_lo
	v_cmpx_ne_u32_e32 0x80, v3
	s_cbranch_execz .LBB261_1327
; %bb.1322:                             ;   in Loop: Header=BB261_1065 Depth=1
	v_and_b32_e32 v30, 0x7f, v3
	v_mov_b32_e32 v11, 0x7c010000
	s_mov_b32 s23, exec_lo
	v_cmpx_ne_u32_e32 0x7f, v30
	s_cbranch_execz .LBB261_1326
; %bb.1323:                             ;   in Loop: Header=BB261_1065 Depth=1
	v_and_b32_e32 v11, 7, v3
	v_lshrrev_b32_e32 v12, 3, v30
	s_mov_b32 s24, exec_lo
	v_cmpx_gt_u32_e32 8, v30
; %bb.1324:                             ;   in Loop: Header=BB261_1065 Depth=1
	v_ffbh_u32_e32 v11, v11
	v_min_u32_e32 v30, 32, v11
	v_subrev_nc_u32_e32 v11, 28, v30
	v_lshlrev_b64 v[11:12], v11, v[3:4]
	v_sub_nc_u32_e32 v12, 29, v30
	v_and_b32_e32 v11, 7, v11
; %bb.1325:                             ;   in Loop: Header=BB261_1065 Depth=1
	s_or_b32 exec_lo, exec_lo, s24
	v_lshlrev_b32_e32 v3, 8, v3
	v_lshl_add_u32 v12, v12, 10, 0x2000
	v_lshlrev_b32_e32 v11, 23, v11
	v_and_or_b32 v3, 0x8000, v3, v12
	v_lshl_or_b32 v11, v3, 16, v11
.LBB261_1326:                           ;   in Loop: Header=BB261_1065 Depth=1
	s_or_b32 exec_lo, exec_lo, s23
.LBB261_1327:                           ;   in Loop: Header=BB261_1065 Depth=1
	s_or_b32 exec_lo, exec_lo, s22
.LBB261_1328:                           ;   in Loop: Header=BB261_1065 Depth=1
	s_or_b32 exec_lo, exec_lo, s21
	v_or_b32_e32 v3, v18, v19
	s_waitcnt vmcnt(0) lgkmcnt(0)
	v_fma_mixlo_f16 v12, v0, v18, 0 op_sel:[0,1,0] op_sel_hi:[0,1,0]
	v_or_b32_e32 v2, v1, v2
	v_fma_mixlo_f16 v18, v0, v1, 0 op_sel:[0,1,0] op_sel_hi:[0,1,0]
	v_or_b32_e32 v19, v29, v23
	v_fma_mixlo_f16 v3, v0, v3, 0 op_sel_hi:[0,1,0]
	v_or_b32_e32 v22, v11, v22
	v_lshlrev_b32_e32 v1, 16, v12
	v_lshlrev_b32_e32 v12, 16, v18
	v_fma_mixlo_f16 v18, v0, v2, 0 op_sel_hi:[0,1,0]
	v_and_b32_e32 v2, 0xffff, v3
	v_fma_mixlo_f16 v3, v0, v29, 0 op_sel:[0,1,0] op_sel_hi:[0,1,0]
	v_fma_mixlo_f16 v19, v0, v19, 0 op_sel_hi:[0,1,0]
	v_fma_mixlo_f16 v11, v0, v11, 0 op_sel:[0,1,0] op_sel_hi:[0,1,0]
	v_fma_mixlo_f16 v22, v0, v22, 0 op_sel_hi:[0,1,0]
	v_and_b32_e32 v30, 0xffff, v18
	v_lshlrev_b32_e32 v3, 16, v3
	v_and_b32_e32 v19, 0xffff, v19
	v_lshlrev_b32_e32 v0, 16, v11
	v_and_b32_e32 v11, 0xffff, v22
	v_or_b32_e32 v18, v1, v2
	v_or_b32_e32 v29, v12, v30
	;; [unrolled: 1-line block ×4, first 2 shown]
	s_and_saveexec_b32 s21, vcc_lo
	s_cbranch_execz .LBB261_1330
; %bb.1329:                             ;   in Loop: Header=BB261_1065 Depth=1
	v_cmp_lt_i32_e64 s5, v71, v32
	v_cndmask_b32_e64 v18, 0, v30, s5
	v_cmp_lt_i32_e64 s5, v100, v32
	v_cndmask_b32_e64 v12, 0, v12, s5
	v_cmp_lt_i32_e64 s5, v99, v32
	v_or_b32_e32 v29, v18, v12
	v_cndmask_b32_e64 v2, 0, v2, s5
	v_cmp_lt_i32_e64 s5, v98, v32
	v_cndmask_b32_e64 v1, 0, v1, s5
	v_cmp_lt_i32_e64 s5, v97, v32
	v_or_b32_e32 v18, v2, v1
	;; [unrolled: 5-line block ×3, first 2 shown]
	v_cndmask_b32_e64 v11, 0, v11, s5
	v_cmp_lt_i32_e64 s5, v86, v32
	v_cndmask_b32_e64 v0, 0, v0, s5
	v_or_b32_e32 v22, v11, v0
.LBB261_1330:                           ;   in Loop: Header=BB261_1065 Depth=1
	s_or_b32 exec_lo, exec_lo, s21
	;;#ASMSTART
	v_pk_mul_f16 v0, v85, v29;

	;;#ASMEND
	;;#ASMSTART
	v_pk_mul_f16 v1, v84, v18;

	;;#ASMEND
	;; [unrolled: 4-line block ×4, first 2 shown]
	;;#ASMSTART
	v_pk_add_f16 v0, v0, v1;

	;;#ASMEND
	;;#ASMSTART
	v_pk_add_f16 v0, v0, v2;

	;;#ASMEND
	;; [unrolled: 4-line block ×3, first 2 shown]
	v_and_b32_e32 v1, 0xffff, v0
	v_lshrrev_b32_e32 v0, 16, v0
	;;#ASMSTART
	v_cvt_f32_f16 v113, v1;
	;;#ASMEND
	;;#ASMSTART
	v_cvt_f32_f16 v114, v0;
	;;#ASMEND
	flat_load_dwordx2 v[11:12], v[9:10] offset:1024
	flat_load_dword v0, v[72:73]
	v_mov_b32_e32 v1, 0
	v_mov_b32_e32 v2, 0
	s_waitcnt vmcnt(1) lgkmcnt(1)
	v_cmp_ne_u16_sdwa s5, v11, v4 src0_sel:BYTE_0 src1_sel:DWORD
	s_and_saveexec_b32 s21, s5
	s_cbranch_execz .LBB261_1338
; %bb.1331:                             ;   in Loop: Header=BB261_1065 Depth=1
	v_cmp_ne_u16_sdwa s5, v11, v48 src0_sel:BYTE_0 src1_sel:DWORD
	v_mov_b32_e32 v2, 0x8000
	s_and_saveexec_b32 s22, s5
	s_cbranch_execz .LBB261_1337
; %bb.1332:                             ;   in Loop: Header=BB261_1065 Depth=1
	v_and_b32_e32 v18, 0x7f, v11
	v_mov_b32_e32 v2, 0x7c01
	s_mov_b32 s23, exec_lo
	v_cmpx_ne_u32_e32 0x7f, v18
	s_cbranch_execz .LBB261_1336
; %bb.1333:                             ;   in Loop: Header=BB261_1065 Depth=1
	v_and_b32_e32 v2, 7, v11
	v_lshrrev_b32_e32 v3, 3, v18
	s_mov_b32 s24, exec_lo
	v_cmpx_gt_u32_e32 8, v18
; %bb.1334:                             ;   in Loop: Header=BB261_1065 Depth=1
	v_ffbh_u32_e32 v2, v2
	v_min_u32_e32 v18, 32, v2
	v_subrev_nc_u32_e32 v2, 28, v18
	v_lshlrev_b64 v[2:3], v2, v[11:12]
	v_sub_nc_u32_e32 v3, 29, v18
	v_and_b32_e32 v2, 7, v2
; %bb.1335:                             ;   in Loop: Header=BB261_1065 Depth=1
	s_or_b32 exec_lo, exec_lo, s24
	v_lshlrev_b32_e32 v18, 8, v11
	v_lshl_add_u32 v3, v3, 10, 0x2000
	v_lshlrev_b32_e32 v2, 7, v2
	v_and_b32_e32 v18, 0x8000, v18
	v_and_b32_e32 v3, 0xfc00, v3
	v_or3_b32 v2, v18, v3, v2
.LBB261_1336:                           ;   in Loop: Header=BB261_1065 Depth=1
	s_or_b32 exec_lo, exec_lo, s23
.LBB261_1337:                           ;   in Loop: Header=BB261_1065 Depth=1
	s_or_b32 exec_lo, exec_lo, s22
.LBB261_1338:                           ;   in Loop: Header=BB261_1065 Depth=1
	s_or_b32 exec_lo, exec_lo, s21
	v_lshrrev_b16 v3, 8, v11
	s_mov_b32 s21, exec_lo
	v_cmpx_ne_u16_e32 0, v3
	s_cbranch_execz .LBB261_1346
; %bb.1339:                             ;   in Loop: Header=BB261_1065 Depth=1
	v_bfrev_b32_e32 v1, 1
	s_mov_b32 s22, exec_lo
	v_cmpx_ne_u16_e32 0x80, v3
	s_cbranch_execz .LBB261_1345
; %bb.1340:                             ;   in Loop: Header=BB261_1065 Depth=1
	v_and_b32_sdwa v19, v3, v34 dst_sel:DWORD dst_unused:UNUSED_PAD src0_sel:WORD_0 src1_sel:DWORD
	v_mov_b32_e32 v1, 0x7c010000
	s_mov_b32 s23, exec_lo
	v_cmpx_ne_u32_e32 0x7f, v19
	s_cbranch_execz .LBB261_1344
; %bb.1341:                             ;   in Loop: Header=BB261_1065 Depth=1
	v_and_b32_sdwa v1, v3, v67 dst_sel:DWORD dst_unused:UNUSED_PAD src0_sel:WORD_0 src1_sel:DWORD
	v_lshrrev_b32_e32 v18, 3, v19
	s_mov_b32 s24, exec_lo
	v_cmpx_gt_u32_e32 8, v19
; %bb.1342:                             ;   in Loop: Header=BB261_1065 Depth=1
	v_ffbh_u32_e32 v1, v1
	v_min_u32_e32 v1, 32, v1
	v_subrev_nc_u32_e32 v18, 28, v1
	v_lshlrev_b64 v[22:23], v18, v[3:4]
	v_sub_nc_u32_e32 v18, 29, v1
	v_and_b32_e32 v1, 7, v22
; %bb.1343:                             ;   in Loop: Header=BB261_1065 Depth=1
	s_or_b32 exec_lo, exec_lo, s24
	v_lshlrev_b32_sdwa v3, v68, v3 dst_sel:DWORD dst_unused:UNUSED_PAD src0_sel:DWORD src1_sel:WORD_0
	v_lshl_add_u32 v18, v18, 10, 0x2000
	v_lshlrev_b32_e32 v1, 23, v1
	v_and_or_b32 v3, 0x8000, v3, v18
	v_lshl_or_b32 v1, v3, 16, v1
.LBB261_1344:                           ;   in Loop: Header=BB261_1065 Depth=1
	s_or_b32 exec_lo, exec_lo, s23
.LBB261_1345:                           ;   in Loop: Header=BB261_1065 Depth=1
	s_or_b32 exec_lo, exec_lo, s22
.LBB261_1346:                           ;   in Loop: Header=BB261_1065 Depth=1
	s_or_b32 exec_lo, exec_lo, s21
	v_lshrrev_b32_e32 v3, 16, v11
	v_mov_b32_e32 v18, 0
	v_mov_b32_e32 v19, 0
	v_cmp_ne_u16_sdwa s5, v3, v4 src0_sel:BYTE_0 src1_sel:DWORD
	s_and_saveexec_b32 s21, s5
	s_cbranch_execz .LBB261_1354
; %bb.1347:                             ;   in Loop: Header=BB261_1065 Depth=1
	v_cmp_ne_u16_sdwa s5, v3, v48 src0_sel:BYTE_0 src1_sel:DWORD
	v_mov_b32_e32 v19, 0x8000
	s_and_saveexec_b32 s22, s5
	s_cbranch_execz .LBB261_1353
; %bb.1348:                             ;   in Loop: Header=BB261_1065 Depth=1
	v_bfe_u32 v23, v11, 16, 7
	v_mov_b32_e32 v19, 0x7c01
	s_mov_b32 s23, exec_lo
	v_cmpx_ne_u32_e32 0x7f, v23
	s_cbranch_execz .LBB261_1352
; %bb.1349:                             ;   in Loop: Header=BB261_1065 Depth=1
	v_and_b32_e32 v19, 7, v3
	v_lshrrev_b32_e32 v22, 3, v23
	s_mov_b32 s24, exec_lo
	v_cmpx_gt_u32_e32 8, v23
; %bb.1350:                             ;   in Loop: Header=BB261_1065 Depth=1
	v_ffbh_u32_e32 v19, v19
	v_min_u32_e32 v19, 32, v19
	v_subrev_nc_u32_e32 v22, 28, v19
	v_lshlrev_b64 v[29:30], v22, v[3:4]
	v_sub_nc_u32_e32 v22, 29, v19
	v_and_b32_e32 v19, 7, v29
; %bb.1351:                             ;   in Loop: Header=BB261_1065 Depth=1
	s_or_b32 exec_lo, exec_lo, s24
	v_lshlrev_b32_e32 v3, 8, v3
	v_lshl_add_u32 v22, v22, 10, 0x2000
	v_lshlrev_b32_e32 v19, 7, v19
	v_and_b32_e32 v3, 0x8000, v3
	v_and_b32_e32 v22, 0xfc00, v22
	v_or3_b32 v19, v3, v22, v19
.LBB261_1352:                           ;   in Loop: Header=BB261_1065 Depth=1
	s_or_b32 exec_lo, exec_lo, s23
.LBB261_1353:                           ;   in Loop: Header=BB261_1065 Depth=1
	s_or_b32 exec_lo, exec_lo, s22
.LBB261_1354:                           ;   in Loop: Header=BB261_1065 Depth=1
	s_or_b32 exec_lo, exec_lo, s21
	s_mov_b32 s21, exec_lo
	v_cmpx_lt_u32_e32 0xffffff, v11
	s_cbranch_execz .LBB261_1362
; %bb.1355:                             ;   in Loop: Header=BB261_1065 Depth=1
	v_lshrrev_b32_e32 v3, 24, v11
	v_bfrev_b32_e32 v18, 1
	s_mov_b32 s22, exec_lo
	v_cmpx_ne_u32_e32 0x80, v3
	s_cbranch_execz .LBB261_1361
; %bb.1356:                             ;   in Loop: Header=BB261_1065 Depth=1
	v_and_b32_e32 v23, 0x7f, v3
	v_mov_b32_e32 v18, 0x7c010000
	s_mov_b32 s23, exec_lo
	v_cmpx_ne_u32_e32 0x7f, v23
	s_cbranch_execz .LBB261_1360
; %bb.1357:                             ;   in Loop: Header=BB261_1065 Depth=1
	v_and_b32_e32 v18, 7, v3
	v_lshrrev_b32_e32 v22, 3, v23
	s_mov_b32 s24, exec_lo
	v_cmpx_gt_u32_e32 8, v23
; %bb.1358:                             ;   in Loop: Header=BB261_1065 Depth=1
	v_ffbh_u32_e32 v18, v18
	v_min_u32_e32 v18, 32, v18
	v_subrev_nc_u32_e32 v22, 28, v18
	v_lshlrev_b64 v[29:30], v22, v[3:4]
	v_sub_nc_u32_e32 v22, 29, v18
	v_and_b32_e32 v18, 7, v29
; %bb.1359:                             ;   in Loop: Header=BB261_1065 Depth=1
	s_or_b32 exec_lo, exec_lo, s24
	v_lshlrev_b32_e32 v3, 8, v3
	v_lshl_add_u32 v22, v22, 10, 0x2000
	v_lshlrev_b32_e32 v18, 23, v18
	v_and_or_b32 v3, 0x8000, v3, v22
	v_lshl_or_b32 v18, v3, 16, v18
.LBB261_1360:                           ;   in Loop: Header=BB261_1065 Depth=1
	s_or_b32 exec_lo, exec_lo, s23
.LBB261_1361:                           ;   in Loop: Header=BB261_1065 Depth=1
	s_or_b32 exec_lo, exec_lo, s22
.LBB261_1362:                           ;   in Loop: Header=BB261_1065 Depth=1
	s_or_b32 exec_lo, exec_lo, s21
	v_mov_b32_e32 v3, v12
	v_cmp_ne_u16_sdwa s5, v12, v4 src0_sel:BYTE_0 src1_sel:DWORD
	v_mov_b32_e32 v22, 0
	v_mov_b32_e32 v23, 0
	s_and_saveexec_b32 s21, s5
	s_cbranch_execz .LBB261_1370
; %bb.1363:                             ;   in Loop: Header=BB261_1065 Depth=1
	v_cmp_ne_u16_sdwa s5, v12, v48 src0_sel:BYTE_0 src1_sel:DWORD
	v_mov_b32_e32 v23, 0x8000
	s_and_saveexec_b32 s22, s5
	s_cbranch_execz .LBB261_1369
; %bb.1364:                             ;   in Loop: Header=BB261_1065 Depth=1
	v_and_b32_e32 v30, 0x7f, v12
	v_mov_b32_e32 v23, 0x7c01
	s_mov_b32 s23, exec_lo
	v_cmpx_ne_u32_e32 0x7f, v30
	s_cbranch_execz .LBB261_1368
; %bb.1365:                             ;   in Loop: Header=BB261_1065 Depth=1
	v_and_b32_e32 v23, 7, v12
	v_lshrrev_b32_e32 v29, 3, v30
	s_mov_b32 s24, exec_lo
	v_cmpx_gt_u32_e32 8, v30
; %bb.1366:                             ;   in Loop: Header=BB261_1065 Depth=1
	v_ffbh_u32_e32 v23, v23
	v_min_u32_e32 v23, 32, v23
	v_subrev_nc_u32_e32 v29, 28, v23
	v_lshlrev_b64 v[30:31], v29, v[3:4]
	v_sub_nc_u32_e32 v29, 29, v23
	v_and_b32_e32 v23, 7, v30
; %bb.1367:                             ;   in Loop: Header=BB261_1065 Depth=1
	s_or_b32 exec_lo, exec_lo, s24
	v_lshlrev_b32_e32 v30, 8, v12
	v_lshl_add_u32 v29, v29, 10, 0x2000
	v_lshlrev_b32_e32 v23, 7, v23
	v_and_b32_e32 v30, 0x8000, v30
	v_and_b32_e32 v29, 0xfc00, v29
	v_or3_b32 v23, v30, v29, v23
.LBB261_1368:                           ;   in Loop: Header=BB261_1065 Depth=1
	s_or_b32 exec_lo, exec_lo, s23
.LBB261_1369:                           ;   in Loop: Header=BB261_1065 Depth=1
	s_or_b32 exec_lo, exec_lo, s22
.LBB261_1370:                           ;   in Loop: Header=BB261_1065 Depth=1
	s_or_b32 exec_lo, exec_lo, s21
	v_lshrrev_b16 v3, 8, v3
	v_mov_b32_e32 v29, 0
	s_mov_b32 s21, exec_lo
	v_cmpx_ne_u16_e32 0, v3
	s_cbranch_execz .LBB261_1378
; %bb.1371:                             ;   in Loop: Header=BB261_1065 Depth=1
	v_bfrev_b32_e32 v29, 1
	s_mov_b32 s22, exec_lo
	v_cmpx_ne_u16_e32 0x80, v3
	s_cbranch_execz .LBB261_1377
; %bb.1372:                             ;   in Loop: Header=BB261_1065 Depth=1
	v_and_b32_sdwa v31, v3, v34 dst_sel:DWORD dst_unused:UNUSED_PAD src0_sel:WORD_0 src1_sel:DWORD
	v_mov_b32_e32 v29, 0x7c010000
	s_mov_b32 s23, exec_lo
	v_cmpx_ne_u32_e32 0x7f, v31
	s_cbranch_execz .LBB261_1376
; %bb.1373:                             ;   in Loop: Header=BB261_1065 Depth=1
	v_and_b32_sdwa v29, v3, v67 dst_sel:DWORD dst_unused:UNUSED_PAD src0_sel:WORD_0 src1_sel:DWORD
	v_lshrrev_b32_e32 v30, 3, v31
	s_mov_b32 s24, exec_lo
	v_cmpx_gt_u32_e32 8, v31
; %bb.1374:                             ;   in Loop: Header=BB261_1065 Depth=1
	v_ffbh_u32_e32 v29, v29
	v_min_u32_e32 v31, 32, v29
	v_subrev_nc_u32_e32 v29, 28, v31
	v_lshlrev_b64 v[29:30], v29, v[3:4]
	v_sub_nc_u32_e32 v30, 29, v31
	v_and_b32_e32 v29, 7, v29
; %bb.1375:                             ;   in Loop: Header=BB261_1065 Depth=1
	s_or_b32 exec_lo, exec_lo, s24
	v_lshlrev_b32_sdwa v3, v68, v3 dst_sel:DWORD dst_unused:UNUSED_PAD src0_sel:DWORD src1_sel:WORD_0
	v_lshl_add_u32 v30, v30, 10, 0x2000
	v_lshlrev_b32_e32 v29, 23, v29
	v_and_or_b32 v3, 0x8000, v3, v30
	v_lshl_or_b32 v29, v3, 16, v29
.LBB261_1376:                           ;   in Loop: Header=BB261_1065 Depth=1
	s_or_b32 exec_lo, exec_lo, s23
.LBB261_1377:                           ;   in Loop: Header=BB261_1065 Depth=1
	s_or_b32 exec_lo, exec_lo, s22
.LBB261_1378:                           ;   in Loop: Header=BB261_1065 Depth=1
	s_or_b32 exec_lo, exec_lo, s21
	v_lshrrev_b32_e32 v3, 16, v12
	v_cmp_ne_u16_sdwa s5, v3, v4 src0_sel:BYTE_0 src1_sel:DWORD
	s_and_saveexec_b32 s21, s5
	s_cbranch_execz .LBB261_1386
; %bb.1379:                             ;   in Loop: Header=BB261_1065 Depth=1
	v_cmp_ne_u16_sdwa s5, v3, v48 src0_sel:BYTE_0 src1_sel:DWORD
	v_mov_b32_e32 v22, 0x8000
	s_and_saveexec_b32 s22, s5
	s_cbranch_execz .LBB261_1385
; %bb.1380:                             ;   in Loop: Header=BB261_1065 Depth=1
	v_bfe_u32 v31, v12, 16, 7
	v_mov_b32_e32 v22, 0x7c01
	s_mov_b32 s23, exec_lo
	v_cmpx_ne_u32_e32 0x7f, v31
	s_cbranch_execz .LBB261_1384
; %bb.1381:                             ;   in Loop: Header=BB261_1065 Depth=1
	v_and_b32_e32 v22, 7, v3
	v_lshrrev_b32_e32 v30, 3, v31
	s_mov_b32 s24, exec_lo
	v_cmpx_gt_u32_e32 8, v31
; %bb.1382:                             ;   in Loop: Header=BB261_1065 Depth=1
	v_ffbh_u32_e32 v22, v22
	v_min_u32_e32 v22, 32, v22
	v_subrev_nc_u32_e32 v30, 28, v22
	v_lshlrev_b64 v[35:36], v30, v[3:4]
	v_sub_nc_u32_e32 v30, 29, v22
	v_and_b32_e32 v22, 7, v35
; %bb.1383:                             ;   in Loop: Header=BB261_1065 Depth=1
	s_or_b32 exec_lo, exec_lo, s24
	v_lshlrev_b32_e32 v3, 8, v3
	v_lshl_add_u32 v30, v30, 10, 0x2000
	v_lshlrev_b32_e32 v22, 7, v22
	v_and_b32_e32 v3, 0x8000, v3
	v_and_b32_e32 v30, 0xfc00, v30
	v_or3_b32 v22, v3, v30, v22
.LBB261_1384:                           ;   in Loop: Header=BB261_1065 Depth=1
	s_or_b32 exec_lo, exec_lo, s23
.LBB261_1385:                           ;   in Loop: Header=BB261_1065 Depth=1
	s_or_b32 exec_lo, exec_lo, s22
.LBB261_1386:                           ;   in Loop: Header=BB261_1065 Depth=1
	s_or_b32 exec_lo, exec_lo, s21
	v_cmp_lt_u64_e64 s5, s[6:7], v[11:12]
	v_mov_b32_e32 v11, 0
	s_and_saveexec_b32 s21, s5
	s_cbranch_execz .LBB261_1394
; %bb.1387:                             ;   in Loop: Header=BB261_1065 Depth=1
	v_lshrrev_b32_e32 v3, 24, v12
	v_bfrev_b32_e32 v11, 1
	s_mov_b32 s22, exec_lo
	v_cmpx_ne_u32_e32 0x80, v3
	s_cbranch_execz .LBB261_1393
; %bb.1388:                             ;   in Loop: Header=BB261_1065 Depth=1
	v_and_b32_e32 v30, 0x7f, v3
	v_mov_b32_e32 v11, 0x7c010000
	s_mov_b32 s23, exec_lo
	v_cmpx_ne_u32_e32 0x7f, v30
	s_cbranch_execz .LBB261_1392
; %bb.1389:                             ;   in Loop: Header=BB261_1065 Depth=1
	v_and_b32_e32 v11, 7, v3
	v_lshrrev_b32_e32 v12, 3, v30
	s_mov_b32 s24, exec_lo
	v_cmpx_gt_u32_e32 8, v30
; %bb.1390:                             ;   in Loop: Header=BB261_1065 Depth=1
	v_ffbh_u32_e32 v11, v11
	v_min_u32_e32 v30, 32, v11
	v_subrev_nc_u32_e32 v11, 28, v30
	v_lshlrev_b64 v[11:12], v11, v[3:4]
	v_sub_nc_u32_e32 v12, 29, v30
	v_and_b32_e32 v11, 7, v11
; %bb.1391:                             ;   in Loop: Header=BB261_1065 Depth=1
	s_or_b32 exec_lo, exec_lo, s24
	v_lshlrev_b32_e32 v3, 8, v3
	v_lshl_add_u32 v12, v12, 10, 0x2000
	v_lshlrev_b32_e32 v11, 23, v11
	v_and_or_b32 v3, 0x8000, v3, v12
	v_lshl_or_b32 v11, v3, 16, v11
.LBB261_1392:                           ;   in Loop: Header=BB261_1065 Depth=1
	s_or_b32 exec_lo, exec_lo, s23
.LBB261_1393:                           ;   in Loop: Header=BB261_1065 Depth=1
	s_or_b32 exec_lo, exec_lo, s22
.LBB261_1394:                           ;   in Loop: Header=BB261_1065 Depth=1
	s_or_b32 exec_lo, exec_lo, s21
	v_or_b32_e32 v3, v18, v19
	s_waitcnt vmcnt(0) lgkmcnt(0)
	v_fma_mixlo_f16 v12, v0, v18, 0 op_sel:[0,1,0] op_sel_hi:[0,1,0]
	v_or_b32_e32 v2, v1, v2
	v_fma_mixlo_f16 v18, v0, v1, 0 op_sel:[0,1,0] op_sel_hi:[0,1,0]
	v_or_b32_e32 v19, v29, v23
	v_fma_mixlo_f16 v3, v0, v3, 0 op_sel_hi:[0,1,0]
	v_or_b32_e32 v22, v11, v22
	v_lshlrev_b32_e32 v1, 16, v12
	v_lshlrev_b32_e32 v12, 16, v18
	v_fma_mixlo_f16 v18, v0, v2, 0 op_sel_hi:[0,1,0]
	v_and_b32_e32 v2, 0xffff, v3
	v_fma_mixlo_f16 v3, v0, v29, 0 op_sel:[0,1,0] op_sel_hi:[0,1,0]
	v_fma_mixlo_f16 v19, v0, v19, 0 op_sel_hi:[0,1,0]
	v_fma_mixlo_f16 v11, v0, v11, 0 op_sel:[0,1,0] op_sel_hi:[0,1,0]
	v_fma_mixlo_f16 v22, v0, v22, 0 op_sel_hi:[0,1,0]
	v_and_b32_e32 v30, 0xffff, v18
	v_lshlrev_b32_e32 v3, 16, v3
	v_and_b32_e32 v19, 0xffff, v19
	v_lshlrev_b32_e32 v0, 16, v11
	v_and_b32_e32 v11, 0xffff, v22
	v_or_b32_e32 v18, v1, v2
	v_or_b32_e32 v29, v12, v30
	;; [unrolled: 1-line block ×4, first 2 shown]
	s_and_saveexec_b32 s21, vcc_lo
	s_cbranch_execz .LBB261_1396
; %bb.1395:                             ;   in Loop: Header=BB261_1065 Depth=1
	v_cmp_lt_i32_e64 s5, v71, v32
	v_cndmask_b32_e64 v18, 0, v30, s5
	v_cmp_lt_i32_e64 s5, v100, v32
	v_cndmask_b32_e64 v12, 0, v12, s5
	v_cmp_lt_i32_e64 s5, v99, v32
	v_or_b32_e32 v29, v18, v12
	v_cndmask_b32_e64 v2, 0, v2, s5
	v_cmp_lt_i32_e64 s5, v98, v32
	v_cndmask_b32_e64 v1, 0, v1, s5
	v_cmp_lt_i32_e64 s5, v97, v32
	v_or_b32_e32 v18, v2, v1
	;; [unrolled: 5-line block ×3, first 2 shown]
	v_cndmask_b32_e64 v11, 0, v11, s5
	v_cmp_lt_i32_e64 s5, v86, v32
	v_cndmask_b32_e64 v0, 0, v0, s5
	v_or_b32_e32 v22, v11, v0
.LBB261_1396:                           ;   in Loop: Header=BB261_1065 Depth=1
	s_or_b32 exec_lo, exec_lo, s21
	;;#ASMSTART
	v_pk_mul_f16 v0, v85, v29;

	;;#ASMEND
	;;#ASMSTART
	v_pk_mul_f16 v1, v84, v18;

	;;#ASMEND
	;; [unrolled: 4-line block ×4, first 2 shown]
	;;#ASMSTART
	v_pk_add_f16 v0, v0, v1;

	;;#ASMEND
	;;#ASMSTART
	v_pk_add_f16 v0, v0, v2;

	;;#ASMEND
	;; [unrolled: 4-line block ×3, first 2 shown]
	v_and_b32_e32 v1, 0xffff, v0
	v_lshrrev_b32_e32 v0, 16, v0
	;;#ASMSTART
	v_cvt_f32_f16 v115, v1;
	;;#ASMEND
	;;#ASMSTART
	v_cvt_f32_f16 v116, v0;
	;;#ASMEND
	flat_load_dwordx2 v[11:12], v[9:10] offset:1280
	flat_load_dword v0, v[72:73]
	v_mov_b32_e32 v1, 0
	v_mov_b32_e32 v2, 0
	s_waitcnt vmcnt(1) lgkmcnt(1)
	v_cmp_ne_u16_sdwa s5, v11, v4 src0_sel:BYTE_0 src1_sel:DWORD
	s_and_saveexec_b32 s21, s5
	s_cbranch_execz .LBB261_1404
; %bb.1397:                             ;   in Loop: Header=BB261_1065 Depth=1
	v_cmp_ne_u16_sdwa s5, v11, v48 src0_sel:BYTE_0 src1_sel:DWORD
	v_mov_b32_e32 v2, 0x8000
	s_and_saveexec_b32 s22, s5
	s_cbranch_execz .LBB261_1403
; %bb.1398:                             ;   in Loop: Header=BB261_1065 Depth=1
	v_and_b32_e32 v18, 0x7f, v11
	v_mov_b32_e32 v2, 0x7c01
	s_mov_b32 s23, exec_lo
	v_cmpx_ne_u32_e32 0x7f, v18
	s_cbranch_execz .LBB261_1402
; %bb.1399:                             ;   in Loop: Header=BB261_1065 Depth=1
	v_and_b32_e32 v2, 7, v11
	v_lshrrev_b32_e32 v3, 3, v18
	s_mov_b32 s24, exec_lo
	v_cmpx_gt_u32_e32 8, v18
; %bb.1400:                             ;   in Loop: Header=BB261_1065 Depth=1
	v_ffbh_u32_e32 v2, v2
	v_min_u32_e32 v18, 32, v2
	v_subrev_nc_u32_e32 v2, 28, v18
	v_lshlrev_b64 v[2:3], v2, v[11:12]
	v_sub_nc_u32_e32 v3, 29, v18
	v_and_b32_e32 v2, 7, v2
; %bb.1401:                             ;   in Loop: Header=BB261_1065 Depth=1
	s_or_b32 exec_lo, exec_lo, s24
	v_lshlrev_b32_e32 v18, 8, v11
	v_lshl_add_u32 v3, v3, 10, 0x2000
	v_lshlrev_b32_e32 v2, 7, v2
	v_and_b32_e32 v18, 0x8000, v18
	v_and_b32_e32 v3, 0xfc00, v3
	v_or3_b32 v2, v18, v3, v2
.LBB261_1402:                           ;   in Loop: Header=BB261_1065 Depth=1
	s_or_b32 exec_lo, exec_lo, s23
.LBB261_1403:                           ;   in Loop: Header=BB261_1065 Depth=1
	s_or_b32 exec_lo, exec_lo, s22
.LBB261_1404:                           ;   in Loop: Header=BB261_1065 Depth=1
	s_or_b32 exec_lo, exec_lo, s21
	v_lshrrev_b16 v3, 8, v11
	s_mov_b32 s21, exec_lo
	v_cmpx_ne_u16_e32 0, v3
	s_cbranch_execz .LBB261_1412
; %bb.1405:                             ;   in Loop: Header=BB261_1065 Depth=1
	v_bfrev_b32_e32 v1, 1
	s_mov_b32 s22, exec_lo
	v_cmpx_ne_u16_e32 0x80, v3
	s_cbranch_execz .LBB261_1411
; %bb.1406:                             ;   in Loop: Header=BB261_1065 Depth=1
	v_and_b32_sdwa v19, v3, v34 dst_sel:DWORD dst_unused:UNUSED_PAD src0_sel:WORD_0 src1_sel:DWORD
	v_mov_b32_e32 v1, 0x7c010000
	s_mov_b32 s23, exec_lo
	v_cmpx_ne_u32_e32 0x7f, v19
	s_cbranch_execz .LBB261_1410
; %bb.1407:                             ;   in Loop: Header=BB261_1065 Depth=1
	v_and_b32_sdwa v1, v3, v67 dst_sel:DWORD dst_unused:UNUSED_PAD src0_sel:WORD_0 src1_sel:DWORD
	v_lshrrev_b32_e32 v18, 3, v19
	s_mov_b32 s24, exec_lo
	v_cmpx_gt_u32_e32 8, v19
; %bb.1408:                             ;   in Loop: Header=BB261_1065 Depth=1
	v_ffbh_u32_e32 v1, v1
	v_min_u32_e32 v1, 32, v1
	v_subrev_nc_u32_e32 v18, 28, v1
	v_lshlrev_b64 v[22:23], v18, v[3:4]
	v_sub_nc_u32_e32 v18, 29, v1
	v_and_b32_e32 v1, 7, v22
; %bb.1409:                             ;   in Loop: Header=BB261_1065 Depth=1
	s_or_b32 exec_lo, exec_lo, s24
	v_lshlrev_b32_sdwa v3, v68, v3 dst_sel:DWORD dst_unused:UNUSED_PAD src0_sel:DWORD src1_sel:WORD_0
	v_lshl_add_u32 v18, v18, 10, 0x2000
	v_lshlrev_b32_e32 v1, 23, v1
	v_and_or_b32 v3, 0x8000, v3, v18
	v_lshl_or_b32 v1, v3, 16, v1
.LBB261_1410:                           ;   in Loop: Header=BB261_1065 Depth=1
	s_or_b32 exec_lo, exec_lo, s23
.LBB261_1411:                           ;   in Loop: Header=BB261_1065 Depth=1
	s_or_b32 exec_lo, exec_lo, s22
.LBB261_1412:                           ;   in Loop: Header=BB261_1065 Depth=1
	s_or_b32 exec_lo, exec_lo, s21
	v_lshrrev_b32_e32 v3, 16, v11
	v_mov_b32_e32 v18, 0
	v_mov_b32_e32 v19, 0
	v_cmp_ne_u16_sdwa s5, v3, v4 src0_sel:BYTE_0 src1_sel:DWORD
	s_and_saveexec_b32 s21, s5
	s_cbranch_execz .LBB261_1420
; %bb.1413:                             ;   in Loop: Header=BB261_1065 Depth=1
	v_cmp_ne_u16_sdwa s5, v3, v48 src0_sel:BYTE_0 src1_sel:DWORD
	v_mov_b32_e32 v19, 0x8000
	s_and_saveexec_b32 s22, s5
	s_cbranch_execz .LBB261_1419
; %bb.1414:                             ;   in Loop: Header=BB261_1065 Depth=1
	v_bfe_u32 v23, v11, 16, 7
	v_mov_b32_e32 v19, 0x7c01
	s_mov_b32 s23, exec_lo
	v_cmpx_ne_u32_e32 0x7f, v23
	s_cbranch_execz .LBB261_1418
; %bb.1415:                             ;   in Loop: Header=BB261_1065 Depth=1
	v_and_b32_e32 v19, 7, v3
	v_lshrrev_b32_e32 v22, 3, v23
	s_mov_b32 s24, exec_lo
	v_cmpx_gt_u32_e32 8, v23
; %bb.1416:                             ;   in Loop: Header=BB261_1065 Depth=1
	v_ffbh_u32_e32 v19, v19
	v_min_u32_e32 v19, 32, v19
	v_subrev_nc_u32_e32 v22, 28, v19
	v_lshlrev_b64 v[29:30], v22, v[3:4]
	v_sub_nc_u32_e32 v22, 29, v19
	v_and_b32_e32 v19, 7, v29
; %bb.1417:                             ;   in Loop: Header=BB261_1065 Depth=1
	s_or_b32 exec_lo, exec_lo, s24
	v_lshlrev_b32_e32 v3, 8, v3
	v_lshl_add_u32 v22, v22, 10, 0x2000
	v_lshlrev_b32_e32 v19, 7, v19
	v_and_b32_e32 v3, 0x8000, v3
	v_and_b32_e32 v22, 0xfc00, v22
	v_or3_b32 v19, v3, v22, v19
.LBB261_1418:                           ;   in Loop: Header=BB261_1065 Depth=1
	s_or_b32 exec_lo, exec_lo, s23
.LBB261_1419:                           ;   in Loop: Header=BB261_1065 Depth=1
	s_or_b32 exec_lo, exec_lo, s22
.LBB261_1420:                           ;   in Loop: Header=BB261_1065 Depth=1
	s_or_b32 exec_lo, exec_lo, s21
	s_mov_b32 s21, exec_lo
	v_cmpx_lt_u32_e32 0xffffff, v11
	s_cbranch_execz .LBB261_1428
; %bb.1421:                             ;   in Loop: Header=BB261_1065 Depth=1
	v_lshrrev_b32_e32 v3, 24, v11
	v_bfrev_b32_e32 v18, 1
	s_mov_b32 s22, exec_lo
	v_cmpx_ne_u32_e32 0x80, v3
	s_cbranch_execz .LBB261_1427
; %bb.1422:                             ;   in Loop: Header=BB261_1065 Depth=1
	v_and_b32_e32 v23, 0x7f, v3
	v_mov_b32_e32 v18, 0x7c010000
	s_mov_b32 s23, exec_lo
	v_cmpx_ne_u32_e32 0x7f, v23
	s_cbranch_execz .LBB261_1426
; %bb.1423:                             ;   in Loop: Header=BB261_1065 Depth=1
	v_and_b32_e32 v18, 7, v3
	v_lshrrev_b32_e32 v22, 3, v23
	s_mov_b32 s24, exec_lo
	v_cmpx_gt_u32_e32 8, v23
; %bb.1424:                             ;   in Loop: Header=BB261_1065 Depth=1
	v_ffbh_u32_e32 v18, v18
	v_min_u32_e32 v18, 32, v18
	v_subrev_nc_u32_e32 v22, 28, v18
	v_lshlrev_b64 v[29:30], v22, v[3:4]
	v_sub_nc_u32_e32 v22, 29, v18
	v_and_b32_e32 v18, 7, v29
; %bb.1425:                             ;   in Loop: Header=BB261_1065 Depth=1
	s_or_b32 exec_lo, exec_lo, s24
	v_lshlrev_b32_e32 v3, 8, v3
	v_lshl_add_u32 v22, v22, 10, 0x2000
	v_lshlrev_b32_e32 v18, 23, v18
	v_and_or_b32 v3, 0x8000, v3, v22
	v_lshl_or_b32 v18, v3, 16, v18
.LBB261_1426:                           ;   in Loop: Header=BB261_1065 Depth=1
	s_or_b32 exec_lo, exec_lo, s23
.LBB261_1427:                           ;   in Loop: Header=BB261_1065 Depth=1
	s_or_b32 exec_lo, exec_lo, s22
.LBB261_1428:                           ;   in Loop: Header=BB261_1065 Depth=1
	s_or_b32 exec_lo, exec_lo, s21
	v_mov_b32_e32 v3, v12
	v_cmp_ne_u16_sdwa s5, v12, v4 src0_sel:BYTE_0 src1_sel:DWORD
	v_mov_b32_e32 v22, 0
	v_mov_b32_e32 v23, 0
	s_and_saveexec_b32 s21, s5
	s_cbranch_execz .LBB261_1436
; %bb.1429:                             ;   in Loop: Header=BB261_1065 Depth=1
	v_cmp_ne_u16_sdwa s5, v12, v48 src0_sel:BYTE_0 src1_sel:DWORD
	v_mov_b32_e32 v23, 0x8000
	s_and_saveexec_b32 s22, s5
	s_cbranch_execz .LBB261_1435
; %bb.1430:                             ;   in Loop: Header=BB261_1065 Depth=1
	v_and_b32_e32 v30, 0x7f, v12
	v_mov_b32_e32 v23, 0x7c01
	s_mov_b32 s23, exec_lo
	v_cmpx_ne_u32_e32 0x7f, v30
	s_cbranch_execz .LBB261_1434
; %bb.1431:                             ;   in Loop: Header=BB261_1065 Depth=1
	v_and_b32_e32 v23, 7, v12
	v_lshrrev_b32_e32 v29, 3, v30
	s_mov_b32 s24, exec_lo
	v_cmpx_gt_u32_e32 8, v30
; %bb.1432:                             ;   in Loop: Header=BB261_1065 Depth=1
	v_ffbh_u32_e32 v23, v23
	v_min_u32_e32 v23, 32, v23
	v_subrev_nc_u32_e32 v29, 28, v23
	v_lshlrev_b64 v[30:31], v29, v[3:4]
	v_sub_nc_u32_e32 v29, 29, v23
	v_and_b32_e32 v23, 7, v30
; %bb.1433:                             ;   in Loop: Header=BB261_1065 Depth=1
	s_or_b32 exec_lo, exec_lo, s24
	v_lshlrev_b32_e32 v30, 8, v12
	v_lshl_add_u32 v29, v29, 10, 0x2000
	v_lshlrev_b32_e32 v23, 7, v23
	v_and_b32_e32 v30, 0x8000, v30
	v_and_b32_e32 v29, 0xfc00, v29
	v_or3_b32 v23, v30, v29, v23
.LBB261_1434:                           ;   in Loop: Header=BB261_1065 Depth=1
	s_or_b32 exec_lo, exec_lo, s23
.LBB261_1435:                           ;   in Loop: Header=BB261_1065 Depth=1
	s_or_b32 exec_lo, exec_lo, s22
.LBB261_1436:                           ;   in Loop: Header=BB261_1065 Depth=1
	s_or_b32 exec_lo, exec_lo, s21
	v_lshrrev_b16 v3, 8, v3
	v_mov_b32_e32 v29, 0
	s_mov_b32 s21, exec_lo
	v_cmpx_ne_u16_e32 0, v3
	s_cbranch_execz .LBB261_1444
; %bb.1437:                             ;   in Loop: Header=BB261_1065 Depth=1
	v_bfrev_b32_e32 v29, 1
	s_mov_b32 s22, exec_lo
	v_cmpx_ne_u16_e32 0x80, v3
	s_cbranch_execz .LBB261_1443
; %bb.1438:                             ;   in Loop: Header=BB261_1065 Depth=1
	v_and_b32_sdwa v31, v3, v34 dst_sel:DWORD dst_unused:UNUSED_PAD src0_sel:WORD_0 src1_sel:DWORD
	v_mov_b32_e32 v29, 0x7c010000
	s_mov_b32 s23, exec_lo
	v_cmpx_ne_u32_e32 0x7f, v31
	s_cbranch_execz .LBB261_1442
; %bb.1439:                             ;   in Loop: Header=BB261_1065 Depth=1
	v_and_b32_sdwa v29, v3, v67 dst_sel:DWORD dst_unused:UNUSED_PAD src0_sel:WORD_0 src1_sel:DWORD
	v_lshrrev_b32_e32 v30, 3, v31
	s_mov_b32 s24, exec_lo
	v_cmpx_gt_u32_e32 8, v31
; %bb.1440:                             ;   in Loop: Header=BB261_1065 Depth=1
	v_ffbh_u32_e32 v29, v29
	v_min_u32_e32 v31, 32, v29
	v_subrev_nc_u32_e32 v29, 28, v31
	v_lshlrev_b64 v[29:30], v29, v[3:4]
	v_sub_nc_u32_e32 v30, 29, v31
	v_and_b32_e32 v29, 7, v29
; %bb.1441:                             ;   in Loop: Header=BB261_1065 Depth=1
	s_or_b32 exec_lo, exec_lo, s24
	v_lshlrev_b32_sdwa v3, v68, v3 dst_sel:DWORD dst_unused:UNUSED_PAD src0_sel:DWORD src1_sel:WORD_0
	v_lshl_add_u32 v30, v30, 10, 0x2000
	v_lshlrev_b32_e32 v29, 23, v29
	v_and_or_b32 v3, 0x8000, v3, v30
	v_lshl_or_b32 v29, v3, 16, v29
.LBB261_1442:                           ;   in Loop: Header=BB261_1065 Depth=1
	s_or_b32 exec_lo, exec_lo, s23
.LBB261_1443:                           ;   in Loop: Header=BB261_1065 Depth=1
	s_or_b32 exec_lo, exec_lo, s22
.LBB261_1444:                           ;   in Loop: Header=BB261_1065 Depth=1
	s_or_b32 exec_lo, exec_lo, s21
	v_lshrrev_b32_e32 v3, 16, v12
	v_cmp_ne_u16_sdwa s5, v3, v4 src0_sel:BYTE_0 src1_sel:DWORD
	s_and_saveexec_b32 s21, s5
	s_cbranch_execz .LBB261_1452
; %bb.1445:                             ;   in Loop: Header=BB261_1065 Depth=1
	v_cmp_ne_u16_sdwa s5, v3, v48 src0_sel:BYTE_0 src1_sel:DWORD
	v_mov_b32_e32 v22, 0x8000
	s_and_saveexec_b32 s22, s5
	s_cbranch_execz .LBB261_1451
; %bb.1446:                             ;   in Loop: Header=BB261_1065 Depth=1
	v_bfe_u32 v31, v12, 16, 7
	v_mov_b32_e32 v22, 0x7c01
	s_mov_b32 s23, exec_lo
	v_cmpx_ne_u32_e32 0x7f, v31
	s_cbranch_execz .LBB261_1450
; %bb.1447:                             ;   in Loop: Header=BB261_1065 Depth=1
	v_and_b32_e32 v22, 7, v3
	v_lshrrev_b32_e32 v30, 3, v31
	s_mov_b32 s24, exec_lo
	v_cmpx_gt_u32_e32 8, v31
; %bb.1448:                             ;   in Loop: Header=BB261_1065 Depth=1
	v_ffbh_u32_e32 v22, v22
	v_min_u32_e32 v22, 32, v22
	v_subrev_nc_u32_e32 v30, 28, v22
	v_lshlrev_b64 v[35:36], v30, v[3:4]
	v_sub_nc_u32_e32 v30, 29, v22
	v_and_b32_e32 v22, 7, v35
; %bb.1449:                             ;   in Loop: Header=BB261_1065 Depth=1
	s_or_b32 exec_lo, exec_lo, s24
	v_lshlrev_b32_e32 v3, 8, v3
	v_lshl_add_u32 v30, v30, 10, 0x2000
	v_lshlrev_b32_e32 v22, 7, v22
	v_and_b32_e32 v3, 0x8000, v3
	v_and_b32_e32 v30, 0xfc00, v30
	v_or3_b32 v22, v3, v30, v22
.LBB261_1450:                           ;   in Loop: Header=BB261_1065 Depth=1
	s_or_b32 exec_lo, exec_lo, s23
.LBB261_1451:                           ;   in Loop: Header=BB261_1065 Depth=1
	s_or_b32 exec_lo, exec_lo, s22
.LBB261_1452:                           ;   in Loop: Header=BB261_1065 Depth=1
	s_or_b32 exec_lo, exec_lo, s21
	v_cmp_lt_u64_e64 s5, s[6:7], v[11:12]
	v_mov_b32_e32 v11, 0
	s_and_saveexec_b32 s21, s5
	s_cbranch_execz .LBB261_1460
; %bb.1453:                             ;   in Loop: Header=BB261_1065 Depth=1
	v_lshrrev_b32_e32 v3, 24, v12
	v_bfrev_b32_e32 v11, 1
	s_mov_b32 s22, exec_lo
	v_cmpx_ne_u32_e32 0x80, v3
	s_cbranch_execz .LBB261_1459
; %bb.1454:                             ;   in Loop: Header=BB261_1065 Depth=1
	v_and_b32_e32 v30, 0x7f, v3
	v_mov_b32_e32 v11, 0x7c010000
	s_mov_b32 s23, exec_lo
	v_cmpx_ne_u32_e32 0x7f, v30
	s_cbranch_execz .LBB261_1458
; %bb.1455:                             ;   in Loop: Header=BB261_1065 Depth=1
	v_and_b32_e32 v11, 7, v3
	v_lshrrev_b32_e32 v12, 3, v30
	s_mov_b32 s24, exec_lo
	v_cmpx_gt_u32_e32 8, v30
; %bb.1456:                             ;   in Loop: Header=BB261_1065 Depth=1
	v_ffbh_u32_e32 v11, v11
	v_min_u32_e32 v30, 32, v11
	v_subrev_nc_u32_e32 v11, 28, v30
	v_lshlrev_b64 v[11:12], v11, v[3:4]
	v_sub_nc_u32_e32 v12, 29, v30
	v_and_b32_e32 v11, 7, v11
; %bb.1457:                             ;   in Loop: Header=BB261_1065 Depth=1
	s_or_b32 exec_lo, exec_lo, s24
	v_lshlrev_b32_e32 v3, 8, v3
	v_lshl_add_u32 v12, v12, 10, 0x2000
	v_lshlrev_b32_e32 v11, 23, v11
	v_and_or_b32 v3, 0x8000, v3, v12
	v_lshl_or_b32 v11, v3, 16, v11
.LBB261_1458:                           ;   in Loop: Header=BB261_1065 Depth=1
	s_or_b32 exec_lo, exec_lo, s23
.LBB261_1459:                           ;   in Loop: Header=BB261_1065 Depth=1
	s_or_b32 exec_lo, exec_lo, s22
.LBB261_1460:                           ;   in Loop: Header=BB261_1065 Depth=1
	s_or_b32 exec_lo, exec_lo, s21
	v_or_b32_e32 v3, v18, v19
	s_waitcnt vmcnt(0) lgkmcnt(0)
	v_fma_mixlo_f16 v12, v0, v18, 0 op_sel:[0,1,0] op_sel_hi:[0,1,0]
	v_or_b32_e32 v2, v1, v2
	v_fma_mixlo_f16 v18, v0, v1, 0 op_sel:[0,1,0] op_sel_hi:[0,1,0]
	v_or_b32_e32 v19, v29, v23
	v_fma_mixlo_f16 v3, v0, v3, 0 op_sel_hi:[0,1,0]
	v_or_b32_e32 v22, v11, v22
	v_lshlrev_b32_e32 v1, 16, v12
	v_lshlrev_b32_e32 v12, 16, v18
	v_fma_mixlo_f16 v18, v0, v2, 0 op_sel_hi:[0,1,0]
	v_and_b32_e32 v2, 0xffff, v3
	v_fma_mixlo_f16 v3, v0, v29, 0 op_sel:[0,1,0] op_sel_hi:[0,1,0]
	v_fma_mixlo_f16 v19, v0, v19, 0 op_sel_hi:[0,1,0]
	v_fma_mixlo_f16 v11, v0, v11, 0 op_sel:[0,1,0] op_sel_hi:[0,1,0]
	v_fma_mixlo_f16 v22, v0, v22, 0 op_sel_hi:[0,1,0]
	v_and_b32_e32 v30, 0xffff, v18
	v_lshlrev_b32_e32 v3, 16, v3
	v_and_b32_e32 v19, 0xffff, v19
	v_lshlrev_b32_e32 v0, 16, v11
	v_and_b32_e32 v11, 0xffff, v22
	v_or_b32_e32 v18, v1, v2
	v_or_b32_e32 v29, v12, v30
	;; [unrolled: 1-line block ×4, first 2 shown]
	s_and_saveexec_b32 s21, vcc_lo
	s_cbranch_execz .LBB261_1462
; %bb.1461:                             ;   in Loop: Header=BB261_1065 Depth=1
	v_cmp_lt_i32_e64 s5, v71, v32
	v_cndmask_b32_e64 v18, 0, v30, s5
	v_cmp_lt_i32_e64 s5, v100, v32
	v_cndmask_b32_e64 v12, 0, v12, s5
	v_cmp_lt_i32_e64 s5, v99, v32
	v_or_b32_e32 v29, v18, v12
	v_cndmask_b32_e64 v2, 0, v2, s5
	v_cmp_lt_i32_e64 s5, v98, v32
	v_cndmask_b32_e64 v1, 0, v1, s5
	v_cmp_lt_i32_e64 s5, v97, v32
	v_or_b32_e32 v18, v2, v1
	;; [unrolled: 5-line block ×3, first 2 shown]
	v_cndmask_b32_e64 v11, 0, v11, s5
	v_cmp_lt_i32_e64 s5, v86, v32
	v_cndmask_b32_e64 v0, 0, v0, s5
	v_or_b32_e32 v22, v11, v0
.LBB261_1462:                           ;   in Loop: Header=BB261_1065 Depth=1
	s_or_b32 exec_lo, exec_lo, s21
	;;#ASMSTART
	v_pk_mul_f16 v0, v85, v29;

	;;#ASMEND
	;;#ASMSTART
	v_pk_mul_f16 v1, v84, v18;

	;;#ASMEND
	;; [unrolled: 4-line block ×4, first 2 shown]
	;;#ASMSTART
	v_pk_add_f16 v0, v0, v1;

	;;#ASMEND
	;;#ASMSTART
	v_pk_add_f16 v0, v0, v2;

	;;#ASMEND
	;; [unrolled: 4-line block ×3, first 2 shown]
	v_and_b32_e32 v1, 0xffff, v0
	v_lshrrev_b32_e32 v0, 16, v0
	;;#ASMSTART
	v_cvt_f32_f16 v117, v1;
	;;#ASMEND
	;;#ASMSTART
	v_cvt_f32_f16 v118, v0;
	;;#ASMEND
	flat_load_dwordx2 v[11:12], v[9:10] offset:1536
	flat_load_dword v0, v[72:73]
	v_mov_b32_e32 v1, 0
	v_mov_b32_e32 v2, 0
	s_waitcnt vmcnt(1) lgkmcnt(1)
	v_cmp_ne_u16_sdwa s5, v11, v4 src0_sel:BYTE_0 src1_sel:DWORD
	s_and_saveexec_b32 s21, s5
	s_cbranch_execz .LBB261_1470
; %bb.1463:                             ;   in Loop: Header=BB261_1065 Depth=1
	v_cmp_ne_u16_sdwa s5, v11, v48 src0_sel:BYTE_0 src1_sel:DWORD
	v_mov_b32_e32 v2, 0x8000
	s_and_saveexec_b32 s22, s5
	s_cbranch_execz .LBB261_1469
; %bb.1464:                             ;   in Loop: Header=BB261_1065 Depth=1
	v_and_b32_e32 v18, 0x7f, v11
	v_mov_b32_e32 v2, 0x7c01
	s_mov_b32 s23, exec_lo
	v_cmpx_ne_u32_e32 0x7f, v18
	s_cbranch_execz .LBB261_1468
; %bb.1465:                             ;   in Loop: Header=BB261_1065 Depth=1
	v_and_b32_e32 v2, 7, v11
	v_lshrrev_b32_e32 v3, 3, v18
	s_mov_b32 s24, exec_lo
	v_cmpx_gt_u32_e32 8, v18
; %bb.1466:                             ;   in Loop: Header=BB261_1065 Depth=1
	v_ffbh_u32_e32 v2, v2
	v_min_u32_e32 v18, 32, v2
	v_subrev_nc_u32_e32 v2, 28, v18
	v_lshlrev_b64 v[2:3], v2, v[11:12]
	v_sub_nc_u32_e32 v3, 29, v18
	v_and_b32_e32 v2, 7, v2
; %bb.1467:                             ;   in Loop: Header=BB261_1065 Depth=1
	s_or_b32 exec_lo, exec_lo, s24
	v_lshlrev_b32_e32 v18, 8, v11
	v_lshl_add_u32 v3, v3, 10, 0x2000
	v_lshlrev_b32_e32 v2, 7, v2
	v_and_b32_e32 v18, 0x8000, v18
	v_and_b32_e32 v3, 0xfc00, v3
	v_or3_b32 v2, v18, v3, v2
.LBB261_1468:                           ;   in Loop: Header=BB261_1065 Depth=1
	s_or_b32 exec_lo, exec_lo, s23
.LBB261_1469:                           ;   in Loop: Header=BB261_1065 Depth=1
	s_or_b32 exec_lo, exec_lo, s22
.LBB261_1470:                           ;   in Loop: Header=BB261_1065 Depth=1
	s_or_b32 exec_lo, exec_lo, s21
	v_lshrrev_b16 v3, 8, v11
	s_mov_b32 s21, exec_lo
	v_cmpx_ne_u16_e32 0, v3
	s_cbranch_execz .LBB261_1478
; %bb.1471:                             ;   in Loop: Header=BB261_1065 Depth=1
	v_bfrev_b32_e32 v1, 1
	s_mov_b32 s22, exec_lo
	v_cmpx_ne_u16_e32 0x80, v3
	s_cbranch_execz .LBB261_1477
; %bb.1472:                             ;   in Loop: Header=BB261_1065 Depth=1
	v_and_b32_sdwa v19, v3, v34 dst_sel:DWORD dst_unused:UNUSED_PAD src0_sel:WORD_0 src1_sel:DWORD
	v_mov_b32_e32 v1, 0x7c010000
	s_mov_b32 s23, exec_lo
	v_cmpx_ne_u32_e32 0x7f, v19
	s_cbranch_execz .LBB261_1476
; %bb.1473:                             ;   in Loop: Header=BB261_1065 Depth=1
	v_and_b32_sdwa v1, v3, v67 dst_sel:DWORD dst_unused:UNUSED_PAD src0_sel:WORD_0 src1_sel:DWORD
	v_lshrrev_b32_e32 v18, 3, v19
	s_mov_b32 s24, exec_lo
	v_cmpx_gt_u32_e32 8, v19
; %bb.1474:                             ;   in Loop: Header=BB261_1065 Depth=1
	v_ffbh_u32_e32 v1, v1
	v_min_u32_e32 v1, 32, v1
	v_subrev_nc_u32_e32 v18, 28, v1
	v_lshlrev_b64 v[22:23], v18, v[3:4]
	v_sub_nc_u32_e32 v18, 29, v1
	v_and_b32_e32 v1, 7, v22
; %bb.1475:                             ;   in Loop: Header=BB261_1065 Depth=1
	s_or_b32 exec_lo, exec_lo, s24
	v_lshlrev_b32_sdwa v3, v68, v3 dst_sel:DWORD dst_unused:UNUSED_PAD src0_sel:DWORD src1_sel:WORD_0
	v_lshl_add_u32 v18, v18, 10, 0x2000
	v_lshlrev_b32_e32 v1, 23, v1
	v_and_or_b32 v3, 0x8000, v3, v18
	v_lshl_or_b32 v1, v3, 16, v1
.LBB261_1476:                           ;   in Loop: Header=BB261_1065 Depth=1
	s_or_b32 exec_lo, exec_lo, s23
.LBB261_1477:                           ;   in Loop: Header=BB261_1065 Depth=1
	s_or_b32 exec_lo, exec_lo, s22
.LBB261_1478:                           ;   in Loop: Header=BB261_1065 Depth=1
	s_or_b32 exec_lo, exec_lo, s21
	v_lshrrev_b32_e32 v3, 16, v11
	v_mov_b32_e32 v18, 0
	v_mov_b32_e32 v19, 0
	v_cmp_ne_u16_sdwa s5, v3, v4 src0_sel:BYTE_0 src1_sel:DWORD
	s_and_saveexec_b32 s21, s5
	s_cbranch_execz .LBB261_1486
; %bb.1479:                             ;   in Loop: Header=BB261_1065 Depth=1
	v_cmp_ne_u16_sdwa s5, v3, v48 src0_sel:BYTE_0 src1_sel:DWORD
	v_mov_b32_e32 v19, 0x8000
	s_and_saveexec_b32 s22, s5
	s_cbranch_execz .LBB261_1485
; %bb.1480:                             ;   in Loop: Header=BB261_1065 Depth=1
	v_bfe_u32 v23, v11, 16, 7
	v_mov_b32_e32 v19, 0x7c01
	s_mov_b32 s23, exec_lo
	v_cmpx_ne_u32_e32 0x7f, v23
	s_cbranch_execz .LBB261_1484
; %bb.1481:                             ;   in Loop: Header=BB261_1065 Depth=1
	v_and_b32_e32 v19, 7, v3
	v_lshrrev_b32_e32 v22, 3, v23
	s_mov_b32 s24, exec_lo
	v_cmpx_gt_u32_e32 8, v23
; %bb.1482:                             ;   in Loop: Header=BB261_1065 Depth=1
	v_ffbh_u32_e32 v19, v19
	v_min_u32_e32 v19, 32, v19
	v_subrev_nc_u32_e32 v22, 28, v19
	v_lshlrev_b64 v[29:30], v22, v[3:4]
	v_sub_nc_u32_e32 v22, 29, v19
	v_and_b32_e32 v19, 7, v29
; %bb.1483:                             ;   in Loop: Header=BB261_1065 Depth=1
	s_or_b32 exec_lo, exec_lo, s24
	v_lshlrev_b32_e32 v3, 8, v3
	v_lshl_add_u32 v22, v22, 10, 0x2000
	v_lshlrev_b32_e32 v19, 7, v19
	v_and_b32_e32 v3, 0x8000, v3
	v_and_b32_e32 v22, 0xfc00, v22
	v_or3_b32 v19, v3, v22, v19
.LBB261_1484:                           ;   in Loop: Header=BB261_1065 Depth=1
	s_or_b32 exec_lo, exec_lo, s23
.LBB261_1485:                           ;   in Loop: Header=BB261_1065 Depth=1
	s_or_b32 exec_lo, exec_lo, s22
.LBB261_1486:                           ;   in Loop: Header=BB261_1065 Depth=1
	s_or_b32 exec_lo, exec_lo, s21
	s_mov_b32 s21, exec_lo
	v_cmpx_lt_u32_e32 0xffffff, v11
	s_cbranch_execz .LBB261_1494
; %bb.1487:                             ;   in Loop: Header=BB261_1065 Depth=1
	v_lshrrev_b32_e32 v3, 24, v11
	v_bfrev_b32_e32 v18, 1
	s_mov_b32 s22, exec_lo
	v_cmpx_ne_u32_e32 0x80, v3
	s_cbranch_execz .LBB261_1493
; %bb.1488:                             ;   in Loop: Header=BB261_1065 Depth=1
	v_and_b32_e32 v23, 0x7f, v3
	v_mov_b32_e32 v18, 0x7c010000
	s_mov_b32 s23, exec_lo
	v_cmpx_ne_u32_e32 0x7f, v23
	s_cbranch_execz .LBB261_1492
; %bb.1489:                             ;   in Loop: Header=BB261_1065 Depth=1
	v_and_b32_e32 v18, 7, v3
	v_lshrrev_b32_e32 v22, 3, v23
	s_mov_b32 s24, exec_lo
	v_cmpx_gt_u32_e32 8, v23
; %bb.1490:                             ;   in Loop: Header=BB261_1065 Depth=1
	v_ffbh_u32_e32 v18, v18
	v_min_u32_e32 v18, 32, v18
	v_subrev_nc_u32_e32 v22, 28, v18
	v_lshlrev_b64 v[29:30], v22, v[3:4]
	v_sub_nc_u32_e32 v22, 29, v18
	v_and_b32_e32 v18, 7, v29
; %bb.1491:                             ;   in Loop: Header=BB261_1065 Depth=1
	s_or_b32 exec_lo, exec_lo, s24
	v_lshlrev_b32_e32 v3, 8, v3
	v_lshl_add_u32 v22, v22, 10, 0x2000
	v_lshlrev_b32_e32 v18, 23, v18
	v_and_or_b32 v3, 0x8000, v3, v22
	v_lshl_or_b32 v18, v3, 16, v18
.LBB261_1492:                           ;   in Loop: Header=BB261_1065 Depth=1
	s_or_b32 exec_lo, exec_lo, s23
.LBB261_1493:                           ;   in Loop: Header=BB261_1065 Depth=1
	s_or_b32 exec_lo, exec_lo, s22
.LBB261_1494:                           ;   in Loop: Header=BB261_1065 Depth=1
	s_or_b32 exec_lo, exec_lo, s21
	v_mov_b32_e32 v3, v12
	v_cmp_ne_u16_sdwa s5, v12, v4 src0_sel:BYTE_0 src1_sel:DWORD
	v_mov_b32_e32 v22, 0
	v_mov_b32_e32 v23, 0
	s_and_saveexec_b32 s21, s5
	s_cbranch_execz .LBB261_1502
; %bb.1495:                             ;   in Loop: Header=BB261_1065 Depth=1
	v_cmp_ne_u16_sdwa s5, v12, v48 src0_sel:BYTE_0 src1_sel:DWORD
	v_mov_b32_e32 v23, 0x8000
	s_and_saveexec_b32 s22, s5
	s_cbranch_execz .LBB261_1501
; %bb.1496:                             ;   in Loop: Header=BB261_1065 Depth=1
	v_and_b32_e32 v30, 0x7f, v12
	v_mov_b32_e32 v23, 0x7c01
	s_mov_b32 s23, exec_lo
	v_cmpx_ne_u32_e32 0x7f, v30
	s_cbranch_execz .LBB261_1500
; %bb.1497:                             ;   in Loop: Header=BB261_1065 Depth=1
	v_and_b32_e32 v23, 7, v12
	v_lshrrev_b32_e32 v29, 3, v30
	s_mov_b32 s24, exec_lo
	v_cmpx_gt_u32_e32 8, v30
; %bb.1498:                             ;   in Loop: Header=BB261_1065 Depth=1
	v_ffbh_u32_e32 v23, v23
	v_min_u32_e32 v23, 32, v23
	v_subrev_nc_u32_e32 v29, 28, v23
	v_lshlrev_b64 v[30:31], v29, v[3:4]
	v_sub_nc_u32_e32 v29, 29, v23
	v_and_b32_e32 v23, 7, v30
; %bb.1499:                             ;   in Loop: Header=BB261_1065 Depth=1
	s_or_b32 exec_lo, exec_lo, s24
	v_lshlrev_b32_e32 v30, 8, v12
	v_lshl_add_u32 v29, v29, 10, 0x2000
	v_lshlrev_b32_e32 v23, 7, v23
	v_and_b32_e32 v30, 0x8000, v30
	v_and_b32_e32 v29, 0xfc00, v29
	v_or3_b32 v23, v30, v29, v23
.LBB261_1500:                           ;   in Loop: Header=BB261_1065 Depth=1
	s_or_b32 exec_lo, exec_lo, s23
.LBB261_1501:                           ;   in Loop: Header=BB261_1065 Depth=1
	s_or_b32 exec_lo, exec_lo, s22
.LBB261_1502:                           ;   in Loop: Header=BB261_1065 Depth=1
	s_or_b32 exec_lo, exec_lo, s21
	v_lshrrev_b16 v3, 8, v3
	v_mov_b32_e32 v29, 0
	s_mov_b32 s21, exec_lo
	v_cmpx_ne_u16_e32 0, v3
	s_cbranch_execz .LBB261_1510
; %bb.1503:                             ;   in Loop: Header=BB261_1065 Depth=1
	v_bfrev_b32_e32 v29, 1
	s_mov_b32 s22, exec_lo
	v_cmpx_ne_u16_e32 0x80, v3
	s_cbranch_execz .LBB261_1509
; %bb.1504:                             ;   in Loop: Header=BB261_1065 Depth=1
	v_and_b32_sdwa v31, v3, v34 dst_sel:DWORD dst_unused:UNUSED_PAD src0_sel:WORD_0 src1_sel:DWORD
	v_mov_b32_e32 v29, 0x7c010000
	s_mov_b32 s23, exec_lo
	v_cmpx_ne_u32_e32 0x7f, v31
	s_cbranch_execz .LBB261_1508
; %bb.1505:                             ;   in Loop: Header=BB261_1065 Depth=1
	v_and_b32_sdwa v29, v3, v67 dst_sel:DWORD dst_unused:UNUSED_PAD src0_sel:WORD_0 src1_sel:DWORD
	v_lshrrev_b32_e32 v30, 3, v31
	s_mov_b32 s24, exec_lo
	v_cmpx_gt_u32_e32 8, v31
; %bb.1506:                             ;   in Loop: Header=BB261_1065 Depth=1
	v_ffbh_u32_e32 v29, v29
	v_min_u32_e32 v31, 32, v29
	v_subrev_nc_u32_e32 v29, 28, v31
	v_lshlrev_b64 v[29:30], v29, v[3:4]
	v_sub_nc_u32_e32 v30, 29, v31
	v_and_b32_e32 v29, 7, v29
; %bb.1507:                             ;   in Loop: Header=BB261_1065 Depth=1
	s_or_b32 exec_lo, exec_lo, s24
	v_lshlrev_b32_sdwa v3, v68, v3 dst_sel:DWORD dst_unused:UNUSED_PAD src0_sel:DWORD src1_sel:WORD_0
	v_lshl_add_u32 v30, v30, 10, 0x2000
	v_lshlrev_b32_e32 v29, 23, v29
	v_and_or_b32 v3, 0x8000, v3, v30
	v_lshl_or_b32 v29, v3, 16, v29
.LBB261_1508:                           ;   in Loop: Header=BB261_1065 Depth=1
	s_or_b32 exec_lo, exec_lo, s23
.LBB261_1509:                           ;   in Loop: Header=BB261_1065 Depth=1
	s_or_b32 exec_lo, exec_lo, s22
.LBB261_1510:                           ;   in Loop: Header=BB261_1065 Depth=1
	s_or_b32 exec_lo, exec_lo, s21
	v_lshrrev_b32_e32 v3, 16, v12
	v_cmp_ne_u16_sdwa s5, v3, v4 src0_sel:BYTE_0 src1_sel:DWORD
	s_and_saveexec_b32 s21, s5
	s_cbranch_execz .LBB261_1518
; %bb.1511:                             ;   in Loop: Header=BB261_1065 Depth=1
	v_cmp_ne_u16_sdwa s5, v3, v48 src0_sel:BYTE_0 src1_sel:DWORD
	v_mov_b32_e32 v22, 0x8000
	s_and_saveexec_b32 s22, s5
	s_cbranch_execz .LBB261_1517
; %bb.1512:                             ;   in Loop: Header=BB261_1065 Depth=1
	v_bfe_u32 v31, v12, 16, 7
	v_mov_b32_e32 v22, 0x7c01
	s_mov_b32 s23, exec_lo
	v_cmpx_ne_u32_e32 0x7f, v31
	s_cbranch_execz .LBB261_1516
; %bb.1513:                             ;   in Loop: Header=BB261_1065 Depth=1
	v_and_b32_e32 v22, 7, v3
	v_lshrrev_b32_e32 v30, 3, v31
	s_mov_b32 s24, exec_lo
	v_cmpx_gt_u32_e32 8, v31
; %bb.1514:                             ;   in Loop: Header=BB261_1065 Depth=1
	v_ffbh_u32_e32 v22, v22
	v_min_u32_e32 v22, 32, v22
	v_subrev_nc_u32_e32 v30, 28, v22
	v_lshlrev_b64 v[35:36], v30, v[3:4]
	v_sub_nc_u32_e32 v30, 29, v22
	v_and_b32_e32 v22, 7, v35
; %bb.1515:                             ;   in Loop: Header=BB261_1065 Depth=1
	s_or_b32 exec_lo, exec_lo, s24
	v_lshlrev_b32_e32 v3, 8, v3
	v_lshl_add_u32 v30, v30, 10, 0x2000
	v_lshlrev_b32_e32 v22, 7, v22
	v_and_b32_e32 v3, 0x8000, v3
	v_and_b32_e32 v30, 0xfc00, v30
	v_or3_b32 v22, v3, v30, v22
.LBB261_1516:                           ;   in Loop: Header=BB261_1065 Depth=1
	s_or_b32 exec_lo, exec_lo, s23
.LBB261_1517:                           ;   in Loop: Header=BB261_1065 Depth=1
	s_or_b32 exec_lo, exec_lo, s22
.LBB261_1518:                           ;   in Loop: Header=BB261_1065 Depth=1
	s_or_b32 exec_lo, exec_lo, s21
	v_cmp_lt_u64_e64 s5, s[6:7], v[11:12]
	v_mov_b32_e32 v11, 0
	s_and_saveexec_b32 s21, s5
	s_cbranch_execz .LBB261_1526
; %bb.1519:                             ;   in Loop: Header=BB261_1065 Depth=1
	v_lshrrev_b32_e32 v3, 24, v12
	v_bfrev_b32_e32 v11, 1
	s_mov_b32 s22, exec_lo
	v_cmpx_ne_u32_e32 0x80, v3
	s_cbranch_execz .LBB261_1525
; %bb.1520:                             ;   in Loop: Header=BB261_1065 Depth=1
	v_and_b32_e32 v30, 0x7f, v3
	v_mov_b32_e32 v11, 0x7c010000
	s_mov_b32 s23, exec_lo
	v_cmpx_ne_u32_e32 0x7f, v30
	s_cbranch_execz .LBB261_1524
; %bb.1521:                             ;   in Loop: Header=BB261_1065 Depth=1
	v_and_b32_e32 v11, 7, v3
	v_lshrrev_b32_e32 v12, 3, v30
	s_mov_b32 s24, exec_lo
	v_cmpx_gt_u32_e32 8, v30
; %bb.1522:                             ;   in Loop: Header=BB261_1065 Depth=1
	v_ffbh_u32_e32 v11, v11
	v_min_u32_e32 v30, 32, v11
	v_subrev_nc_u32_e32 v11, 28, v30
	v_lshlrev_b64 v[11:12], v11, v[3:4]
	v_sub_nc_u32_e32 v12, 29, v30
	v_and_b32_e32 v11, 7, v11
; %bb.1523:                             ;   in Loop: Header=BB261_1065 Depth=1
	s_or_b32 exec_lo, exec_lo, s24
	v_lshlrev_b32_e32 v3, 8, v3
	v_lshl_add_u32 v12, v12, 10, 0x2000
	v_lshlrev_b32_e32 v11, 23, v11
	v_and_or_b32 v3, 0x8000, v3, v12
	v_lshl_or_b32 v11, v3, 16, v11
.LBB261_1524:                           ;   in Loop: Header=BB261_1065 Depth=1
	s_or_b32 exec_lo, exec_lo, s23
.LBB261_1525:                           ;   in Loop: Header=BB261_1065 Depth=1
	s_or_b32 exec_lo, exec_lo, s22
.LBB261_1526:                           ;   in Loop: Header=BB261_1065 Depth=1
	s_or_b32 exec_lo, exec_lo, s21
	v_or_b32_e32 v3, v18, v19
	s_waitcnt vmcnt(0) lgkmcnt(0)
	v_fma_mixlo_f16 v12, v0, v18, 0 op_sel:[0,1,0] op_sel_hi:[0,1,0]
	v_or_b32_e32 v2, v1, v2
	v_fma_mixlo_f16 v18, v0, v1, 0 op_sel:[0,1,0] op_sel_hi:[0,1,0]
	v_or_b32_e32 v19, v29, v23
	v_fma_mixlo_f16 v3, v0, v3, 0 op_sel_hi:[0,1,0]
	v_or_b32_e32 v22, v11, v22
	v_lshlrev_b32_e32 v1, 16, v12
	v_lshlrev_b32_e32 v12, 16, v18
	v_fma_mixlo_f16 v18, v0, v2, 0 op_sel_hi:[0,1,0]
	v_and_b32_e32 v2, 0xffff, v3
	v_fma_mixlo_f16 v3, v0, v29, 0 op_sel:[0,1,0] op_sel_hi:[0,1,0]
	v_fma_mixlo_f16 v19, v0, v19, 0 op_sel_hi:[0,1,0]
	v_fma_mixlo_f16 v11, v0, v11, 0 op_sel:[0,1,0] op_sel_hi:[0,1,0]
	v_fma_mixlo_f16 v22, v0, v22, 0 op_sel_hi:[0,1,0]
	v_and_b32_e32 v30, 0xffff, v18
	v_lshlrev_b32_e32 v3, 16, v3
	v_and_b32_e32 v19, 0xffff, v19
	v_lshlrev_b32_e32 v0, 16, v11
	v_and_b32_e32 v11, 0xffff, v22
	v_or_b32_e32 v18, v1, v2
	v_or_b32_e32 v29, v12, v30
	;; [unrolled: 1-line block ×4, first 2 shown]
	s_and_saveexec_b32 s21, vcc_lo
	s_cbranch_execz .LBB261_1528
; %bb.1527:                             ;   in Loop: Header=BB261_1065 Depth=1
	v_cmp_lt_i32_e64 s5, v71, v32
	v_cndmask_b32_e64 v18, 0, v30, s5
	v_cmp_lt_i32_e64 s5, v100, v32
	v_cndmask_b32_e64 v12, 0, v12, s5
	v_cmp_lt_i32_e64 s5, v99, v32
	v_or_b32_e32 v29, v18, v12
	v_cndmask_b32_e64 v2, 0, v2, s5
	v_cmp_lt_i32_e64 s5, v98, v32
	v_cndmask_b32_e64 v1, 0, v1, s5
	v_cmp_lt_i32_e64 s5, v97, v32
	v_or_b32_e32 v18, v2, v1
	;; [unrolled: 5-line block ×3, first 2 shown]
	v_cndmask_b32_e64 v11, 0, v11, s5
	v_cmp_lt_i32_e64 s5, v86, v32
	v_cndmask_b32_e64 v0, 0, v0, s5
	v_or_b32_e32 v22, v11, v0
.LBB261_1528:                           ;   in Loop: Header=BB261_1065 Depth=1
	s_or_b32 exec_lo, exec_lo, s21
	;;#ASMSTART
	v_pk_mul_f16 v0, v85, v29;

	;;#ASMEND
	;;#ASMSTART
	v_pk_mul_f16 v1, v84, v18;

	;;#ASMEND
	;; [unrolled: 4-line block ×4, first 2 shown]
	;;#ASMSTART
	v_pk_add_f16 v0, v0, v1;

	;;#ASMEND
	;;#ASMSTART
	v_pk_add_f16 v0, v0, v2;

	;;#ASMEND
	;; [unrolled: 4-line block ×3, first 2 shown]
	v_and_b32_e32 v1, 0xffff, v0
	v_lshrrev_b32_e32 v0, 16, v0
	;;#ASMSTART
	v_cvt_f32_f16 v119, v1;
	;;#ASMEND
	;;#ASMSTART
	v_cvt_f32_f16 v40, v0;
	;;#ASMEND
	flat_load_dwordx2 v[11:12], v[9:10] offset:1792
	flat_load_dword v0, v[72:73]
	v_mov_b32_e32 v1, 0
	v_mov_b32_e32 v2, 0
	s_waitcnt vmcnt(1) lgkmcnt(1)
	v_cmp_ne_u16_sdwa s5, v11, v4 src0_sel:BYTE_0 src1_sel:DWORD
	s_and_saveexec_b32 s21, s5
	s_cbranch_execz .LBB261_1536
; %bb.1529:                             ;   in Loop: Header=BB261_1065 Depth=1
	v_cmp_ne_u16_sdwa s5, v11, v48 src0_sel:BYTE_0 src1_sel:DWORD
	v_mov_b32_e32 v2, 0x8000
	s_and_saveexec_b32 s22, s5
	s_cbranch_execz .LBB261_1535
; %bb.1530:                             ;   in Loop: Header=BB261_1065 Depth=1
	v_and_b32_e32 v18, 0x7f, v11
	v_mov_b32_e32 v2, 0x7c01
	s_mov_b32 s23, exec_lo
	v_cmpx_ne_u32_e32 0x7f, v18
	s_cbranch_execz .LBB261_1534
; %bb.1531:                             ;   in Loop: Header=BB261_1065 Depth=1
	v_and_b32_e32 v2, 7, v11
	v_lshrrev_b32_e32 v3, 3, v18
	s_mov_b32 s24, exec_lo
	v_cmpx_gt_u32_e32 8, v18
; %bb.1532:                             ;   in Loop: Header=BB261_1065 Depth=1
	v_ffbh_u32_e32 v2, v2
	v_min_u32_e32 v18, 32, v2
	v_subrev_nc_u32_e32 v2, 28, v18
	v_lshlrev_b64 v[2:3], v2, v[11:12]
	v_sub_nc_u32_e32 v3, 29, v18
	v_and_b32_e32 v2, 7, v2
; %bb.1533:                             ;   in Loop: Header=BB261_1065 Depth=1
	s_or_b32 exec_lo, exec_lo, s24
	v_lshlrev_b32_e32 v18, 8, v11
	v_lshl_add_u32 v3, v3, 10, 0x2000
	v_lshlrev_b32_e32 v2, 7, v2
	v_and_b32_e32 v18, 0x8000, v18
	v_and_b32_e32 v3, 0xfc00, v3
	v_or3_b32 v2, v18, v3, v2
.LBB261_1534:                           ;   in Loop: Header=BB261_1065 Depth=1
	s_or_b32 exec_lo, exec_lo, s23
.LBB261_1535:                           ;   in Loop: Header=BB261_1065 Depth=1
	s_or_b32 exec_lo, exec_lo, s22
.LBB261_1536:                           ;   in Loop: Header=BB261_1065 Depth=1
	s_or_b32 exec_lo, exec_lo, s21
	v_lshrrev_b16 v3, 8, v11
	s_mov_b32 s21, exec_lo
	v_cmpx_ne_u16_e32 0, v3
	s_cbranch_execz .LBB261_1544
; %bb.1537:                             ;   in Loop: Header=BB261_1065 Depth=1
	v_bfrev_b32_e32 v1, 1
	s_mov_b32 s22, exec_lo
	v_cmpx_ne_u16_e32 0x80, v3
	s_cbranch_execz .LBB261_1543
; %bb.1538:                             ;   in Loop: Header=BB261_1065 Depth=1
	v_and_b32_sdwa v19, v3, v34 dst_sel:DWORD dst_unused:UNUSED_PAD src0_sel:WORD_0 src1_sel:DWORD
	v_mov_b32_e32 v1, 0x7c010000
	s_mov_b32 s23, exec_lo
	v_cmpx_ne_u32_e32 0x7f, v19
	s_cbranch_execz .LBB261_1542
; %bb.1539:                             ;   in Loop: Header=BB261_1065 Depth=1
	v_and_b32_sdwa v1, v3, v67 dst_sel:DWORD dst_unused:UNUSED_PAD src0_sel:WORD_0 src1_sel:DWORD
	v_lshrrev_b32_e32 v18, 3, v19
	s_mov_b32 s24, exec_lo
	v_cmpx_gt_u32_e32 8, v19
; %bb.1540:                             ;   in Loop: Header=BB261_1065 Depth=1
	v_ffbh_u32_e32 v1, v1
	v_min_u32_e32 v1, 32, v1
	v_subrev_nc_u32_e32 v18, 28, v1
	v_lshlrev_b64 v[22:23], v18, v[3:4]
	v_sub_nc_u32_e32 v18, 29, v1
	v_and_b32_e32 v1, 7, v22
; %bb.1541:                             ;   in Loop: Header=BB261_1065 Depth=1
	s_or_b32 exec_lo, exec_lo, s24
	v_lshlrev_b32_sdwa v3, v68, v3 dst_sel:DWORD dst_unused:UNUSED_PAD src0_sel:DWORD src1_sel:WORD_0
	v_lshl_add_u32 v18, v18, 10, 0x2000
	v_lshlrev_b32_e32 v1, 23, v1
	v_and_or_b32 v3, 0x8000, v3, v18
	v_lshl_or_b32 v1, v3, 16, v1
.LBB261_1542:                           ;   in Loop: Header=BB261_1065 Depth=1
	s_or_b32 exec_lo, exec_lo, s23
.LBB261_1543:                           ;   in Loop: Header=BB261_1065 Depth=1
	s_or_b32 exec_lo, exec_lo, s22
.LBB261_1544:                           ;   in Loop: Header=BB261_1065 Depth=1
	s_or_b32 exec_lo, exec_lo, s21
	v_lshrrev_b32_e32 v3, 16, v11
	v_mov_b32_e32 v18, 0
	v_mov_b32_e32 v19, 0
	v_cmp_ne_u16_sdwa s5, v3, v4 src0_sel:BYTE_0 src1_sel:DWORD
	s_and_saveexec_b32 s21, s5
	s_cbranch_execz .LBB261_1552
; %bb.1545:                             ;   in Loop: Header=BB261_1065 Depth=1
	v_cmp_ne_u16_sdwa s5, v3, v48 src0_sel:BYTE_0 src1_sel:DWORD
	v_mov_b32_e32 v19, 0x8000
	s_and_saveexec_b32 s22, s5
	s_cbranch_execz .LBB261_1551
; %bb.1546:                             ;   in Loop: Header=BB261_1065 Depth=1
	v_bfe_u32 v23, v11, 16, 7
	v_mov_b32_e32 v19, 0x7c01
	s_mov_b32 s23, exec_lo
	v_cmpx_ne_u32_e32 0x7f, v23
	s_cbranch_execz .LBB261_1550
; %bb.1547:                             ;   in Loop: Header=BB261_1065 Depth=1
	v_and_b32_e32 v19, 7, v3
	v_lshrrev_b32_e32 v22, 3, v23
	s_mov_b32 s24, exec_lo
	v_cmpx_gt_u32_e32 8, v23
; %bb.1548:                             ;   in Loop: Header=BB261_1065 Depth=1
	v_ffbh_u32_e32 v19, v19
	v_min_u32_e32 v19, 32, v19
	v_subrev_nc_u32_e32 v22, 28, v19
	v_lshlrev_b64 v[29:30], v22, v[3:4]
	v_sub_nc_u32_e32 v22, 29, v19
	v_and_b32_e32 v19, 7, v29
; %bb.1549:                             ;   in Loop: Header=BB261_1065 Depth=1
	s_or_b32 exec_lo, exec_lo, s24
	v_lshlrev_b32_e32 v3, 8, v3
	v_lshl_add_u32 v22, v22, 10, 0x2000
	v_lshlrev_b32_e32 v19, 7, v19
	v_and_b32_e32 v3, 0x8000, v3
	v_and_b32_e32 v22, 0xfc00, v22
	v_or3_b32 v19, v3, v22, v19
.LBB261_1550:                           ;   in Loop: Header=BB261_1065 Depth=1
	s_or_b32 exec_lo, exec_lo, s23
.LBB261_1551:                           ;   in Loop: Header=BB261_1065 Depth=1
	s_or_b32 exec_lo, exec_lo, s22
.LBB261_1552:                           ;   in Loop: Header=BB261_1065 Depth=1
	s_or_b32 exec_lo, exec_lo, s21
	s_mov_b32 s21, exec_lo
	v_cmpx_lt_u32_e32 0xffffff, v11
	s_cbranch_execz .LBB261_1560
; %bb.1553:                             ;   in Loop: Header=BB261_1065 Depth=1
	v_lshrrev_b32_e32 v3, 24, v11
	v_bfrev_b32_e32 v18, 1
	s_mov_b32 s22, exec_lo
	v_cmpx_ne_u32_e32 0x80, v3
	s_cbranch_execz .LBB261_1559
; %bb.1554:                             ;   in Loop: Header=BB261_1065 Depth=1
	v_and_b32_e32 v23, 0x7f, v3
	v_mov_b32_e32 v18, 0x7c010000
	s_mov_b32 s23, exec_lo
	v_cmpx_ne_u32_e32 0x7f, v23
	s_cbranch_execz .LBB261_1558
; %bb.1555:                             ;   in Loop: Header=BB261_1065 Depth=1
	v_and_b32_e32 v18, 7, v3
	v_lshrrev_b32_e32 v22, 3, v23
	s_mov_b32 s24, exec_lo
	v_cmpx_gt_u32_e32 8, v23
; %bb.1556:                             ;   in Loop: Header=BB261_1065 Depth=1
	v_ffbh_u32_e32 v18, v18
	v_min_u32_e32 v18, 32, v18
	v_subrev_nc_u32_e32 v22, 28, v18
	v_lshlrev_b64 v[29:30], v22, v[3:4]
	v_sub_nc_u32_e32 v22, 29, v18
	v_and_b32_e32 v18, 7, v29
; %bb.1557:                             ;   in Loop: Header=BB261_1065 Depth=1
	s_or_b32 exec_lo, exec_lo, s24
	v_lshlrev_b32_e32 v3, 8, v3
	v_lshl_add_u32 v22, v22, 10, 0x2000
	v_lshlrev_b32_e32 v18, 23, v18
	v_and_or_b32 v3, 0x8000, v3, v22
	v_lshl_or_b32 v18, v3, 16, v18
.LBB261_1558:                           ;   in Loop: Header=BB261_1065 Depth=1
	s_or_b32 exec_lo, exec_lo, s23
.LBB261_1559:                           ;   in Loop: Header=BB261_1065 Depth=1
	s_or_b32 exec_lo, exec_lo, s22
.LBB261_1560:                           ;   in Loop: Header=BB261_1065 Depth=1
	s_or_b32 exec_lo, exec_lo, s21
	v_mov_b32_e32 v3, v12
	v_cmp_ne_u16_sdwa s5, v12, v4 src0_sel:BYTE_0 src1_sel:DWORD
	v_mov_b32_e32 v22, 0
	v_mov_b32_e32 v23, 0
	s_and_saveexec_b32 s21, s5
	s_cbranch_execz .LBB261_1568
; %bb.1561:                             ;   in Loop: Header=BB261_1065 Depth=1
	v_cmp_ne_u16_sdwa s5, v12, v48 src0_sel:BYTE_0 src1_sel:DWORD
	v_mov_b32_e32 v23, 0x8000
	s_and_saveexec_b32 s22, s5
	s_cbranch_execz .LBB261_1567
; %bb.1562:                             ;   in Loop: Header=BB261_1065 Depth=1
	v_and_b32_e32 v30, 0x7f, v12
	v_mov_b32_e32 v23, 0x7c01
	s_mov_b32 s23, exec_lo
	v_cmpx_ne_u32_e32 0x7f, v30
	s_cbranch_execz .LBB261_1566
; %bb.1563:                             ;   in Loop: Header=BB261_1065 Depth=1
	v_and_b32_e32 v23, 7, v12
	v_lshrrev_b32_e32 v29, 3, v30
	s_mov_b32 s24, exec_lo
	v_cmpx_gt_u32_e32 8, v30
; %bb.1564:                             ;   in Loop: Header=BB261_1065 Depth=1
	v_ffbh_u32_e32 v23, v23
	v_min_u32_e32 v23, 32, v23
	v_subrev_nc_u32_e32 v29, 28, v23
	v_lshlrev_b64 v[30:31], v29, v[3:4]
	v_sub_nc_u32_e32 v29, 29, v23
	v_and_b32_e32 v23, 7, v30
; %bb.1565:                             ;   in Loop: Header=BB261_1065 Depth=1
	s_or_b32 exec_lo, exec_lo, s24
	v_lshlrev_b32_e32 v30, 8, v12
	v_lshl_add_u32 v29, v29, 10, 0x2000
	v_lshlrev_b32_e32 v23, 7, v23
	v_and_b32_e32 v30, 0x8000, v30
	v_and_b32_e32 v29, 0xfc00, v29
	v_or3_b32 v23, v30, v29, v23
.LBB261_1566:                           ;   in Loop: Header=BB261_1065 Depth=1
	s_or_b32 exec_lo, exec_lo, s23
.LBB261_1567:                           ;   in Loop: Header=BB261_1065 Depth=1
	s_or_b32 exec_lo, exec_lo, s22
.LBB261_1568:                           ;   in Loop: Header=BB261_1065 Depth=1
	s_or_b32 exec_lo, exec_lo, s21
	v_lshrrev_b16 v3, 8, v3
	v_mov_b32_e32 v29, 0
	s_mov_b32 s21, exec_lo
	v_cmpx_ne_u16_e32 0, v3
	s_cbranch_execz .LBB261_1576
; %bb.1569:                             ;   in Loop: Header=BB261_1065 Depth=1
	v_bfrev_b32_e32 v29, 1
	s_mov_b32 s22, exec_lo
	v_cmpx_ne_u16_e32 0x80, v3
	s_cbranch_execz .LBB261_1575
; %bb.1570:                             ;   in Loop: Header=BB261_1065 Depth=1
	v_and_b32_sdwa v31, v3, v34 dst_sel:DWORD dst_unused:UNUSED_PAD src0_sel:WORD_0 src1_sel:DWORD
	v_mov_b32_e32 v29, 0x7c010000
	s_mov_b32 s23, exec_lo
	v_cmpx_ne_u32_e32 0x7f, v31
	s_cbranch_execz .LBB261_1574
; %bb.1571:                             ;   in Loop: Header=BB261_1065 Depth=1
	v_and_b32_sdwa v29, v3, v67 dst_sel:DWORD dst_unused:UNUSED_PAD src0_sel:WORD_0 src1_sel:DWORD
	v_lshrrev_b32_e32 v30, 3, v31
	s_mov_b32 s24, exec_lo
	v_cmpx_gt_u32_e32 8, v31
; %bb.1572:                             ;   in Loop: Header=BB261_1065 Depth=1
	v_ffbh_u32_e32 v29, v29
	v_min_u32_e32 v31, 32, v29
	v_subrev_nc_u32_e32 v29, 28, v31
	v_lshlrev_b64 v[29:30], v29, v[3:4]
	v_sub_nc_u32_e32 v30, 29, v31
	v_and_b32_e32 v29, 7, v29
; %bb.1573:                             ;   in Loop: Header=BB261_1065 Depth=1
	s_or_b32 exec_lo, exec_lo, s24
	v_lshlrev_b32_sdwa v3, v68, v3 dst_sel:DWORD dst_unused:UNUSED_PAD src0_sel:DWORD src1_sel:WORD_0
	v_lshl_add_u32 v30, v30, 10, 0x2000
	v_lshlrev_b32_e32 v29, 23, v29
	v_and_or_b32 v3, 0x8000, v3, v30
	v_lshl_or_b32 v29, v3, 16, v29
.LBB261_1574:                           ;   in Loop: Header=BB261_1065 Depth=1
	s_or_b32 exec_lo, exec_lo, s23
.LBB261_1575:                           ;   in Loop: Header=BB261_1065 Depth=1
	s_or_b32 exec_lo, exec_lo, s22
.LBB261_1576:                           ;   in Loop: Header=BB261_1065 Depth=1
	s_or_b32 exec_lo, exec_lo, s21
	v_lshrrev_b32_e32 v3, 16, v12
	v_cmp_ne_u16_sdwa s5, v3, v4 src0_sel:BYTE_0 src1_sel:DWORD
	s_and_saveexec_b32 s21, s5
	s_cbranch_execz .LBB261_1584
; %bb.1577:                             ;   in Loop: Header=BB261_1065 Depth=1
	v_cmp_ne_u16_sdwa s5, v3, v48 src0_sel:BYTE_0 src1_sel:DWORD
	v_mov_b32_e32 v22, 0x8000
	s_and_saveexec_b32 s22, s5
	s_cbranch_execz .LBB261_1583
; %bb.1578:                             ;   in Loop: Header=BB261_1065 Depth=1
	v_bfe_u32 v31, v12, 16, 7
	v_mov_b32_e32 v22, 0x7c01
	s_mov_b32 s23, exec_lo
	v_cmpx_ne_u32_e32 0x7f, v31
	s_cbranch_execz .LBB261_1582
; %bb.1579:                             ;   in Loop: Header=BB261_1065 Depth=1
	v_and_b32_e32 v22, 7, v3
	v_lshrrev_b32_e32 v30, 3, v31
	s_mov_b32 s24, exec_lo
	v_cmpx_gt_u32_e32 8, v31
; %bb.1580:                             ;   in Loop: Header=BB261_1065 Depth=1
	v_ffbh_u32_e32 v22, v22
	v_min_u32_e32 v22, 32, v22
	v_subrev_nc_u32_e32 v30, 28, v22
	v_lshlrev_b64 v[35:36], v30, v[3:4]
	v_sub_nc_u32_e32 v30, 29, v22
	v_and_b32_e32 v22, 7, v35
; %bb.1581:                             ;   in Loop: Header=BB261_1065 Depth=1
	s_or_b32 exec_lo, exec_lo, s24
	v_lshlrev_b32_e32 v3, 8, v3
	v_lshl_add_u32 v30, v30, 10, 0x2000
	v_lshlrev_b32_e32 v22, 7, v22
	v_and_b32_e32 v3, 0x8000, v3
	v_and_b32_e32 v30, 0xfc00, v30
	v_or3_b32 v22, v3, v30, v22
.LBB261_1582:                           ;   in Loop: Header=BB261_1065 Depth=1
	s_or_b32 exec_lo, exec_lo, s23
.LBB261_1583:                           ;   in Loop: Header=BB261_1065 Depth=1
	s_or_b32 exec_lo, exec_lo, s22
.LBB261_1584:                           ;   in Loop: Header=BB261_1065 Depth=1
	s_or_b32 exec_lo, exec_lo, s21
	v_cmp_lt_u64_e64 s5, s[6:7], v[11:12]
	v_mov_b32_e32 v11, 0
	s_and_saveexec_b32 s21, s5
	s_cbranch_execz .LBB261_1592
; %bb.1585:                             ;   in Loop: Header=BB261_1065 Depth=1
	v_lshrrev_b32_e32 v3, 24, v12
	v_bfrev_b32_e32 v11, 1
	s_mov_b32 s22, exec_lo
	v_cmpx_ne_u32_e32 0x80, v3
	s_cbranch_execz .LBB261_1591
; %bb.1586:                             ;   in Loop: Header=BB261_1065 Depth=1
	v_and_b32_e32 v30, 0x7f, v3
	v_mov_b32_e32 v11, 0x7c010000
	s_mov_b32 s23, exec_lo
	v_cmpx_ne_u32_e32 0x7f, v30
	s_cbranch_execz .LBB261_1590
; %bb.1587:                             ;   in Loop: Header=BB261_1065 Depth=1
	v_and_b32_e32 v11, 7, v3
	v_lshrrev_b32_e32 v12, 3, v30
	s_mov_b32 s24, exec_lo
	v_cmpx_gt_u32_e32 8, v30
; %bb.1588:                             ;   in Loop: Header=BB261_1065 Depth=1
	v_ffbh_u32_e32 v11, v11
	v_min_u32_e32 v30, 32, v11
	v_subrev_nc_u32_e32 v11, 28, v30
	v_lshlrev_b64 v[11:12], v11, v[3:4]
	v_sub_nc_u32_e32 v12, 29, v30
	v_and_b32_e32 v11, 7, v11
; %bb.1589:                             ;   in Loop: Header=BB261_1065 Depth=1
	s_or_b32 exec_lo, exec_lo, s24
	v_lshlrev_b32_e32 v3, 8, v3
	v_lshl_add_u32 v12, v12, 10, 0x2000
	v_lshlrev_b32_e32 v11, 23, v11
	v_and_or_b32 v3, 0x8000, v3, v12
	v_lshl_or_b32 v11, v3, 16, v11
.LBB261_1590:                           ;   in Loop: Header=BB261_1065 Depth=1
	s_or_b32 exec_lo, exec_lo, s23
.LBB261_1591:                           ;   in Loop: Header=BB261_1065 Depth=1
	s_or_b32 exec_lo, exec_lo, s22
.LBB261_1592:                           ;   in Loop: Header=BB261_1065 Depth=1
	s_or_b32 exec_lo, exec_lo, s21
	v_or_b32_e32 v3, v18, v19
	s_waitcnt vmcnt(0) lgkmcnt(0)
	v_fma_mixlo_f16 v12, v0, v18, 0 op_sel:[0,1,0] op_sel_hi:[0,1,0]
	v_or_b32_e32 v2, v1, v2
	v_fma_mixlo_f16 v18, v0, v1, 0 op_sel:[0,1,0] op_sel_hi:[0,1,0]
	v_or_b32_e32 v19, v29, v23
	v_fma_mixlo_f16 v3, v0, v3, 0 op_sel_hi:[0,1,0]
	v_or_b32_e32 v22, v11, v22
	v_lshlrev_b32_e32 v1, 16, v12
	v_lshlrev_b32_e32 v12, 16, v18
	v_fma_mixlo_f16 v18, v0, v2, 0 op_sel_hi:[0,1,0]
	v_and_b32_e32 v2, 0xffff, v3
	v_fma_mixlo_f16 v3, v0, v29, 0 op_sel:[0,1,0] op_sel_hi:[0,1,0]
	v_fma_mixlo_f16 v19, v0, v19, 0 op_sel_hi:[0,1,0]
	v_fma_mixlo_f16 v11, v0, v11, 0 op_sel:[0,1,0] op_sel_hi:[0,1,0]
	v_fma_mixlo_f16 v22, v0, v22, 0 op_sel_hi:[0,1,0]
	v_and_b32_e32 v30, 0xffff, v18
	v_lshlrev_b32_e32 v3, 16, v3
	v_and_b32_e32 v19, 0xffff, v19
	v_lshlrev_b32_e32 v0, 16, v11
	v_and_b32_e32 v11, 0xffff, v22
	v_or_b32_e32 v18, v1, v2
	v_or_b32_e32 v29, v12, v30
	;; [unrolled: 1-line block ×4, first 2 shown]
	s_and_saveexec_b32 s21, vcc_lo
	s_cbranch_execz .LBB261_1594
; %bb.1593:                             ;   in Loop: Header=BB261_1065 Depth=1
	v_cmp_lt_i32_e64 s5, v71, v32
	v_cndmask_b32_e64 v18, 0, v30, s5
	v_cmp_lt_i32_e64 s5, v100, v32
	v_cndmask_b32_e64 v12, 0, v12, s5
	v_cmp_lt_i32_e64 s5, v99, v32
	v_or_b32_e32 v29, v18, v12
	v_cndmask_b32_e64 v2, 0, v2, s5
	v_cmp_lt_i32_e64 s5, v98, v32
	v_cndmask_b32_e64 v1, 0, v1, s5
	v_cmp_lt_i32_e64 s5, v97, v32
	v_or_b32_e32 v18, v2, v1
	;; [unrolled: 5-line block ×3, first 2 shown]
	v_cndmask_b32_e64 v11, 0, v11, s5
	v_cmp_lt_i32_e64 s5, v86, v32
	v_cndmask_b32_e64 v0, 0, v0, s5
	v_or_b32_e32 v22, v11, v0
.LBB261_1594:                           ;   in Loop: Header=BB261_1065 Depth=1
	s_or_b32 exec_lo, exec_lo, s21
	v_add_co_u32 v9, s5, 0x800, v9
	;;#ASMSTART
	v_pk_mul_f16 v0, v85, v29;

	;;#ASMEND
	v_add_co_ci_u32_e64 v10, null, 0, v10, s5
	;;#ASMSTART
	v_pk_mul_f16 v1, v84, v18;

	;;#ASMEND
	;;#ASMSTART
	v_pk_mul_f16 v2, v83, v23;

	;;#ASMEND
	;; [unrolled: 4-line block ×3, first 2 shown]
	;;#ASMSTART
	v_pk_add_f16 v0, v0, v1;

	;;#ASMEND
	;;#ASMSTART
	v_pk_add_f16 v0, v0, v2;

	;;#ASMEND
	;; [unrolled: 4-line block ×3, first 2 shown]
	v_lshrrev_b32_e32 v1, 16, v0
	v_and_b32_e32 v0, 0xffff, v0
	;;#ASMSTART
	v_cvt_f32_f16 v41, v0;
	;;#ASMEND
	;;#ASMSTART
	v_cvt_f32_f16 v42, v1;
	;;#ASMEND
	flat_load_dwordx2 v[11:12], v[9:10]
	flat_load_dword v0, v[72:73]
	v_mov_b32_e32 v1, 0
	v_mov_b32_e32 v2, 0
	s_waitcnt vmcnt(1) lgkmcnt(1)
	v_cmp_ne_u16_sdwa s5, v11, v4 src0_sel:BYTE_0 src1_sel:DWORD
	s_and_saveexec_b32 s21, s5
	s_cbranch_execz .LBB261_1602
; %bb.1595:                             ;   in Loop: Header=BB261_1065 Depth=1
	v_cmp_ne_u16_sdwa s5, v11, v48 src0_sel:BYTE_0 src1_sel:DWORD
	v_mov_b32_e32 v2, 0x8000
	s_and_saveexec_b32 s22, s5
	s_cbranch_execz .LBB261_1601
; %bb.1596:                             ;   in Loop: Header=BB261_1065 Depth=1
	v_and_b32_e32 v18, 0x7f, v11
	v_mov_b32_e32 v2, 0x7c01
	s_mov_b32 s23, exec_lo
	v_cmpx_ne_u32_e32 0x7f, v18
	s_cbranch_execz .LBB261_1600
; %bb.1597:                             ;   in Loop: Header=BB261_1065 Depth=1
	v_and_b32_e32 v2, 7, v11
	v_lshrrev_b32_e32 v3, 3, v18
	s_mov_b32 s24, exec_lo
	v_cmpx_gt_u32_e32 8, v18
; %bb.1598:                             ;   in Loop: Header=BB261_1065 Depth=1
	v_ffbh_u32_e32 v2, v2
	v_min_u32_e32 v18, 32, v2
	v_subrev_nc_u32_e32 v2, 28, v18
	v_lshlrev_b64 v[2:3], v2, v[11:12]
	v_sub_nc_u32_e32 v3, 29, v18
	v_and_b32_e32 v2, 7, v2
; %bb.1599:                             ;   in Loop: Header=BB261_1065 Depth=1
	s_or_b32 exec_lo, exec_lo, s24
	v_lshlrev_b32_e32 v18, 8, v11
	v_lshl_add_u32 v3, v3, 10, 0x2000
	v_lshlrev_b32_e32 v2, 7, v2
	v_and_b32_e32 v18, 0x8000, v18
	v_and_b32_e32 v3, 0xfc00, v3
	v_or3_b32 v2, v18, v3, v2
.LBB261_1600:                           ;   in Loop: Header=BB261_1065 Depth=1
	s_or_b32 exec_lo, exec_lo, s23
.LBB261_1601:                           ;   in Loop: Header=BB261_1065 Depth=1
	s_or_b32 exec_lo, exec_lo, s22
.LBB261_1602:                           ;   in Loop: Header=BB261_1065 Depth=1
	s_or_b32 exec_lo, exec_lo, s21
	v_lshrrev_b16 v3, 8, v11
	s_mov_b32 s21, exec_lo
	v_cmpx_ne_u16_e32 0, v3
	s_cbranch_execz .LBB261_1610
; %bb.1603:                             ;   in Loop: Header=BB261_1065 Depth=1
	v_bfrev_b32_e32 v1, 1
	s_mov_b32 s22, exec_lo
	v_cmpx_ne_u16_e32 0x80, v3
	s_cbranch_execz .LBB261_1609
; %bb.1604:                             ;   in Loop: Header=BB261_1065 Depth=1
	v_and_b32_sdwa v19, v3, v34 dst_sel:DWORD dst_unused:UNUSED_PAD src0_sel:WORD_0 src1_sel:DWORD
	v_mov_b32_e32 v1, 0x7c010000
	s_mov_b32 s23, exec_lo
	v_cmpx_ne_u32_e32 0x7f, v19
	s_cbranch_execz .LBB261_1608
; %bb.1605:                             ;   in Loop: Header=BB261_1065 Depth=1
	v_and_b32_sdwa v1, v3, v67 dst_sel:DWORD dst_unused:UNUSED_PAD src0_sel:WORD_0 src1_sel:DWORD
	v_lshrrev_b32_e32 v18, 3, v19
	s_mov_b32 s24, exec_lo
	v_cmpx_gt_u32_e32 8, v19
; %bb.1606:                             ;   in Loop: Header=BB261_1065 Depth=1
	v_ffbh_u32_e32 v1, v1
	v_min_u32_e32 v1, 32, v1
	v_subrev_nc_u32_e32 v18, 28, v1
	v_lshlrev_b64 v[22:23], v18, v[3:4]
	v_sub_nc_u32_e32 v18, 29, v1
	v_and_b32_e32 v1, 7, v22
; %bb.1607:                             ;   in Loop: Header=BB261_1065 Depth=1
	s_or_b32 exec_lo, exec_lo, s24
	v_lshlrev_b32_sdwa v3, v68, v3 dst_sel:DWORD dst_unused:UNUSED_PAD src0_sel:DWORD src1_sel:WORD_0
	v_lshl_add_u32 v18, v18, 10, 0x2000
	v_lshlrev_b32_e32 v1, 23, v1
	v_and_or_b32 v3, 0x8000, v3, v18
	v_lshl_or_b32 v1, v3, 16, v1
.LBB261_1608:                           ;   in Loop: Header=BB261_1065 Depth=1
	s_or_b32 exec_lo, exec_lo, s23
.LBB261_1609:                           ;   in Loop: Header=BB261_1065 Depth=1
	s_or_b32 exec_lo, exec_lo, s22
.LBB261_1610:                           ;   in Loop: Header=BB261_1065 Depth=1
	s_or_b32 exec_lo, exec_lo, s21
	v_lshrrev_b32_e32 v3, 16, v11
	v_mov_b32_e32 v18, 0
	v_mov_b32_e32 v19, 0
	v_cmp_ne_u16_sdwa s5, v3, v4 src0_sel:BYTE_0 src1_sel:DWORD
	s_and_saveexec_b32 s21, s5
	s_cbranch_execz .LBB261_1618
; %bb.1611:                             ;   in Loop: Header=BB261_1065 Depth=1
	v_cmp_ne_u16_sdwa s5, v3, v48 src0_sel:BYTE_0 src1_sel:DWORD
	v_mov_b32_e32 v19, 0x8000
	s_and_saveexec_b32 s22, s5
	s_cbranch_execz .LBB261_1617
; %bb.1612:                             ;   in Loop: Header=BB261_1065 Depth=1
	v_bfe_u32 v23, v11, 16, 7
	v_mov_b32_e32 v19, 0x7c01
	s_mov_b32 s23, exec_lo
	v_cmpx_ne_u32_e32 0x7f, v23
	s_cbranch_execz .LBB261_1616
; %bb.1613:                             ;   in Loop: Header=BB261_1065 Depth=1
	v_and_b32_e32 v19, 7, v3
	v_lshrrev_b32_e32 v22, 3, v23
	s_mov_b32 s24, exec_lo
	v_cmpx_gt_u32_e32 8, v23
; %bb.1614:                             ;   in Loop: Header=BB261_1065 Depth=1
	v_ffbh_u32_e32 v19, v19
	v_min_u32_e32 v19, 32, v19
	v_subrev_nc_u32_e32 v22, 28, v19
	v_lshlrev_b64 v[29:30], v22, v[3:4]
	v_sub_nc_u32_e32 v22, 29, v19
	v_and_b32_e32 v19, 7, v29
; %bb.1615:                             ;   in Loop: Header=BB261_1065 Depth=1
	s_or_b32 exec_lo, exec_lo, s24
	v_lshlrev_b32_e32 v3, 8, v3
	v_lshl_add_u32 v22, v22, 10, 0x2000
	v_lshlrev_b32_e32 v19, 7, v19
	v_and_b32_e32 v3, 0x8000, v3
	v_and_b32_e32 v22, 0xfc00, v22
	v_or3_b32 v19, v3, v22, v19
.LBB261_1616:                           ;   in Loop: Header=BB261_1065 Depth=1
	s_or_b32 exec_lo, exec_lo, s23
.LBB261_1617:                           ;   in Loop: Header=BB261_1065 Depth=1
	s_or_b32 exec_lo, exec_lo, s22
.LBB261_1618:                           ;   in Loop: Header=BB261_1065 Depth=1
	s_or_b32 exec_lo, exec_lo, s21
	s_mov_b32 s21, exec_lo
	v_cmpx_lt_u32_e32 0xffffff, v11
	s_cbranch_execz .LBB261_1626
; %bb.1619:                             ;   in Loop: Header=BB261_1065 Depth=1
	v_lshrrev_b32_e32 v3, 24, v11
	v_bfrev_b32_e32 v18, 1
	s_mov_b32 s22, exec_lo
	v_cmpx_ne_u32_e32 0x80, v3
	s_cbranch_execz .LBB261_1625
; %bb.1620:                             ;   in Loop: Header=BB261_1065 Depth=1
	v_and_b32_e32 v23, 0x7f, v3
	v_mov_b32_e32 v18, 0x7c010000
	s_mov_b32 s23, exec_lo
	v_cmpx_ne_u32_e32 0x7f, v23
	s_cbranch_execz .LBB261_1624
; %bb.1621:                             ;   in Loop: Header=BB261_1065 Depth=1
	v_and_b32_e32 v18, 7, v3
	v_lshrrev_b32_e32 v22, 3, v23
	s_mov_b32 s24, exec_lo
	v_cmpx_gt_u32_e32 8, v23
; %bb.1622:                             ;   in Loop: Header=BB261_1065 Depth=1
	v_ffbh_u32_e32 v18, v18
	v_min_u32_e32 v18, 32, v18
	v_subrev_nc_u32_e32 v22, 28, v18
	v_lshlrev_b64 v[29:30], v22, v[3:4]
	v_sub_nc_u32_e32 v22, 29, v18
	v_and_b32_e32 v18, 7, v29
; %bb.1623:                             ;   in Loop: Header=BB261_1065 Depth=1
	s_or_b32 exec_lo, exec_lo, s24
	v_lshlrev_b32_e32 v3, 8, v3
	v_lshl_add_u32 v22, v22, 10, 0x2000
	v_lshlrev_b32_e32 v18, 23, v18
	v_and_or_b32 v3, 0x8000, v3, v22
	v_lshl_or_b32 v18, v3, 16, v18
.LBB261_1624:                           ;   in Loop: Header=BB261_1065 Depth=1
	s_or_b32 exec_lo, exec_lo, s23
.LBB261_1625:                           ;   in Loop: Header=BB261_1065 Depth=1
	s_or_b32 exec_lo, exec_lo, s22
.LBB261_1626:                           ;   in Loop: Header=BB261_1065 Depth=1
	s_or_b32 exec_lo, exec_lo, s21
	v_mov_b32_e32 v3, v12
	v_cmp_ne_u16_sdwa s5, v12, v4 src0_sel:BYTE_0 src1_sel:DWORD
	v_mov_b32_e32 v22, 0
	v_mov_b32_e32 v23, 0
	s_and_saveexec_b32 s21, s5
	s_cbranch_execz .LBB261_1634
; %bb.1627:                             ;   in Loop: Header=BB261_1065 Depth=1
	v_cmp_ne_u16_sdwa s5, v12, v48 src0_sel:BYTE_0 src1_sel:DWORD
	v_mov_b32_e32 v23, 0x8000
	s_and_saveexec_b32 s22, s5
	s_cbranch_execz .LBB261_1633
; %bb.1628:                             ;   in Loop: Header=BB261_1065 Depth=1
	v_and_b32_e32 v30, 0x7f, v12
	v_mov_b32_e32 v23, 0x7c01
	s_mov_b32 s23, exec_lo
	v_cmpx_ne_u32_e32 0x7f, v30
	s_cbranch_execz .LBB261_1632
; %bb.1629:                             ;   in Loop: Header=BB261_1065 Depth=1
	v_and_b32_e32 v23, 7, v12
	v_lshrrev_b32_e32 v29, 3, v30
	s_mov_b32 s24, exec_lo
	v_cmpx_gt_u32_e32 8, v30
; %bb.1630:                             ;   in Loop: Header=BB261_1065 Depth=1
	v_ffbh_u32_e32 v23, v23
	v_min_u32_e32 v23, 32, v23
	v_subrev_nc_u32_e32 v29, 28, v23
	v_lshlrev_b64 v[30:31], v29, v[3:4]
	v_sub_nc_u32_e32 v29, 29, v23
	v_and_b32_e32 v23, 7, v30
; %bb.1631:                             ;   in Loop: Header=BB261_1065 Depth=1
	s_or_b32 exec_lo, exec_lo, s24
	v_lshlrev_b32_e32 v30, 8, v12
	v_lshl_add_u32 v29, v29, 10, 0x2000
	v_lshlrev_b32_e32 v23, 7, v23
	v_and_b32_e32 v30, 0x8000, v30
	v_and_b32_e32 v29, 0xfc00, v29
	v_or3_b32 v23, v30, v29, v23
.LBB261_1632:                           ;   in Loop: Header=BB261_1065 Depth=1
	s_or_b32 exec_lo, exec_lo, s23
.LBB261_1633:                           ;   in Loop: Header=BB261_1065 Depth=1
	s_or_b32 exec_lo, exec_lo, s22
.LBB261_1634:                           ;   in Loop: Header=BB261_1065 Depth=1
	s_or_b32 exec_lo, exec_lo, s21
	v_lshrrev_b16 v3, 8, v3
	v_mov_b32_e32 v29, 0
	s_mov_b32 s21, exec_lo
	v_cmpx_ne_u16_e32 0, v3
	s_cbranch_execz .LBB261_1642
; %bb.1635:                             ;   in Loop: Header=BB261_1065 Depth=1
	v_bfrev_b32_e32 v29, 1
	s_mov_b32 s22, exec_lo
	v_cmpx_ne_u16_e32 0x80, v3
	s_cbranch_execz .LBB261_1641
; %bb.1636:                             ;   in Loop: Header=BB261_1065 Depth=1
	v_and_b32_sdwa v31, v3, v34 dst_sel:DWORD dst_unused:UNUSED_PAD src0_sel:WORD_0 src1_sel:DWORD
	v_mov_b32_e32 v29, 0x7c010000
	s_mov_b32 s23, exec_lo
	v_cmpx_ne_u32_e32 0x7f, v31
	s_cbranch_execz .LBB261_1640
; %bb.1637:                             ;   in Loop: Header=BB261_1065 Depth=1
	v_and_b32_sdwa v29, v3, v67 dst_sel:DWORD dst_unused:UNUSED_PAD src0_sel:WORD_0 src1_sel:DWORD
	v_lshrrev_b32_e32 v30, 3, v31
	s_mov_b32 s24, exec_lo
	v_cmpx_gt_u32_e32 8, v31
; %bb.1638:                             ;   in Loop: Header=BB261_1065 Depth=1
	v_ffbh_u32_e32 v29, v29
	v_min_u32_e32 v31, 32, v29
	v_subrev_nc_u32_e32 v29, 28, v31
	v_lshlrev_b64 v[29:30], v29, v[3:4]
	v_sub_nc_u32_e32 v30, 29, v31
	v_and_b32_e32 v29, 7, v29
; %bb.1639:                             ;   in Loop: Header=BB261_1065 Depth=1
	s_or_b32 exec_lo, exec_lo, s24
	v_lshlrev_b32_sdwa v3, v68, v3 dst_sel:DWORD dst_unused:UNUSED_PAD src0_sel:DWORD src1_sel:WORD_0
	v_lshl_add_u32 v30, v30, 10, 0x2000
	v_lshlrev_b32_e32 v29, 23, v29
	v_and_or_b32 v3, 0x8000, v3, v30
	v_lshl_or_b32 v29, v3, 16, v29
.LBB261_1640:                           ;   in Loop: Header=BB261_1065 Depth=1
	s_or_b32 exec_lo, exec_lo, s23
.LBB261_1641:                           ;   in Loop: Header=BB261_1065 Depth=1
	s_or_b32 exec_lo, exec_lo, s22
.LBB261_1642:                           ;   in Loop: Header=BB261_1065 Depth=1
	s_or_b32 exec_lo, exec_lo, s21
	v_lshrrev_b32_e32 v3, 16, v12
	v_cmp_ne_u16_sdwa s5, v3, v4 src0_sel:BYTE_0 src1_sel:DWORD
	s_and_saveexec_b32 s21, s5
	s_cbranch_execz .LBB261_1650
; %bb.1643:                             ;   in Loop: Header=BB261_1065 Depth=1
	v_cmp_ne_u16_sdwa s5, v3, v48 src0_sel:BYTE_0 src1_sel:DWORD
	v_mov_b32_e32 v22, 0x8000
	s_and_saveexec_b32 s22, s5
	s_cbranch_execz .LBB261_1649
; %bb.1644:                             ;   in Loop: Header=BB261_1065 Depth=1
	v_bfe_u32 v31, v12, 16, 7
	v_mov_b32_e32 v22, 0x7c01
	s_mov_b32 s23, exec_lo
	v_cmpx_ne_u32_e32 0x7f, v31
	s_cbranch_execz .LBB261_1648
; %bb.1645:                             ;   in Loop: Header=BB261_1065 Depth=1
	v_and_b32_e32 v22, 7, v3
	v_lshrrev_b32_e32 v30, 3, v31
	s_mov_b32 s24, exec_lo
	v_cmpx_gt_u32_e32 8, v31
; %bb.1646:                             ;   in Loop: Header=BB261_1065 Depth=1
	v_ffbh_u32_e32 v22, v22
	v_min_u32_e32 v22, 32, v22
	v_subrev_nc_u32_e32 v30, 28, v22
	v_lshlrev_b64 v[35:36], v30, v[3:4]
	v_sub_nc_u32_e32 v30, 29, v22
	v_and_b32_e32 v22, 7, v35
; %bb.1647:                             ;   in Loop: Header=BB261_1065 Depth=1
	s_or_b32 exec_lo, exec_lo, s24
	v_lshlrev_b32_e32 v3, 8, v3
	v_lshl_add_u32 v30, v30, 10, 0x2000
	v_lshlrev_b32_e32 v22, 7, v22
	v_and_b32_e32 v3, 0x8000, v3
	v_and_b32_e32 v30, 0xfc00, v30
	v_or3_b32 v22, v3, v30, v22
.LBB261_1648:                           ;   in Loop: Header=BB261_1065 Depth=1
	s_or_b32 exec_lo, exec_lo, s23
.LBB261_1649:                           ;   in Loop: Header=BB261_1065 Depth=1
	s_or_b32 exec_lo, exec_lo, s22
.LBB261_1650:                           ;   in Loop: Header=BB261_1065 Depth=1
	s_or_b32 exec_lo, exec_lo, s21
	v_cmp_lt_u64_e64 s5, s[6:7], v[11:12]
	v_mov_b32_e32 v11, 0
	s_and_saveexec_b32 s21, s5
	s_cbranch_execz .LBB261_1658
; %bb.1651:                             ;   in Loop: Header=BB261_1065 Depth=1
	v_lshrrev_b32_e32 v3, 24, v12
	v_bfrev_b32_e32 v11, 1
	s_mov_b32 s22, exec_lo
	v_cmpx_ne_u32_e32 0x80, v3
	s_cbranch_execz .LBB261_1657
; %bb.1652:                             ;   in Loop: Header=BB261_1065 Depth=1
	v_and_b32_e32 v30, 0x7f, v3
	v_mov_b32_e32 v11, 0x7c010000
	s_mov_b32 s23, exec_lo
	v_cmpx_ne_u32_e32 0x7f, v30
	s_cbranch_execz .LBB261_1656
; %bb.1653:                             ;   in Loop: Header=BB261_1065 Depth=1
	v_and_b32_e32 v11, 7, v3
	v_lshrrev_b32_e32 v12, 3, v30
	s_mov_b32 s24, exec_lo
	v_cmpx_gt_u32_e32 8, v30
; %bb.1654:                             ;   in Loop: Header=BB261_1065 Depth=1
	v_ffbh_u32_e32 v11, v11
	v_min_u32_e32 v30, 32, v11
	v_subrev_nc_u32_e32 v11, 28, v30
	v_lshlrev_b64 v[11:12], v11, v[3:4]
	v_sub_nc_u32_e32 v12, 29, v30
	v_and_b32_e32 v11, 7, v11
; %bb.1655:                             ;   in Loop: Header=BB261_1065 Depth=1
	s_or_b32 exec_lo, exec_lo, s24
	v_lshlrev_b32_e32 v3, 8, v3
	v_lshl_add_u32 v12, v12, 10, 0x2000
	v_lshlrev_b32_e32 v11, 23, v11
	v_and_or_b32 v3, 0x8000, v3, v12
	v_lshl_or_b32 v11, v3, 16, v11
.LBB261_1656:                           ;   in Loop: Header=BB261_1065 Depth=1
	s_or_b32 exec_lo, exec_lo, s23
.LBB261_1657:                           ;   in Loop: Header=BB261_1065 Depth=1
	s_or_b32 exec_lo, exec_lo, s22
.LBB261_1658:                           ;   in Loop: Header=BB261_1065 Depth=1
	s_or_b32 exec_lo, exec_lo, s21
	v_or_b32_e32 v3, v18, v19
	s_waitcnt vmcnt(0) lgkmcnt(0)
	v_fma_mixlo_f16 v12, v0, v18, 0 op_sel:[0,1,0] op_sel_hi:[0,1,0]
	v_or_b32_e32 v2, v1, v2
	v_fma_mixlo_f16 v18, v0, v1, 0 op_sel:[0,1,0] op_sel_hi:[0,1,0]
	v_or_b32_e32 v19, v29, v23
	v_fma_mixlo_f16 v3, v0, v3, 0 op_sel_hi:[0,1,0]
	v_or_b32_e32 v22, v11, v22
	v_lshlrev_b32_e32 v1, 16, v12
	v_lshlrev_b32_e32 v12, 16, v18
	v_fma_mixlo_f16 v18, v0, v2, 0 op_sel_hi:[0,1,0]
	v_and_b32_e32 v2, 0xffff, v3
	v_fma_mixlo_f16 v3, v0, v29, 0 op_sel:[0,1,0] op_sel_hi:[0,1,0]
	v_fma_mixlo_f16 v19, v0, v19, 0 op_sel_hi:[0,1,0]
	v_fma_mixlo_f16 v11, v0, v11, 0 op_sel:[0,1,0] op_sel_hi:[0,1,0]
	v_fma_mixlo_f16 v22, v0, v22, 0 op_sel_hi:[0,1,0]
	v_and_b32_e32 v30, 0xffff, v18
	v_lshlrev_b32_e32 v3, 16, v3
	v_and_b32_e32 v19, 0xffff, v19
	v_lshlrev_b32_e32 v0, 16, v11
	v_and_b32_e32 v11, 0xffff, v22
	v_or_b32_e32 v18, v1, v2
	v_or_b32_e32 v29, v12, v30
	v_or_b32_e32 v23, v3, v19
	v_or_b32_e32 v22, v0, v11
	s_and_saveexec_b32 s21, vcc_lo
	s_cbranch_execz .LBB261_1660
; %bb.1659:                             ;   in Loop: Header=BB261_1065 Depth=1
	v_cmp_lt_i32_e64 s5, v71, v32
	v_cndmask_b32_e64 v18, 0, v30, s5
	v_cmp_lt_i32_e64 s5, v100, v32
	v_cndmask_b32_e64 v12, 0, v12, s5
	v_cmp_lt_i32_e64 s5, v99, v32
	v_or_b32_e32 v29, v18, v12
	v_cndmask_b32_e64 v2, 0, v2, s5
	v_cmp_lt_i32_e64 s5, v98, v32
	v_cndmask_b32_e64 v1, 0, v1, s5
	v_cmp_lt_i32_e64 s5, v97, v32
	v_or_b32_e32 v18, v2, v1
	v_cndmask_b32_e64 v19, 0, v19, s5
	v_cmp_lt_i32_e64 s5, v96, v32
	v_cndmask_b32_e64 v3, 0, v3, s5
	v_cmp_lt_i32_e64 s5, v87, v32
	v_or_b32_e32 v23, v19, v3
	v_cndmask_b32_e64 v11, 0, v11, s5
	v_cmp_lt_i32_e64 s5, v86, v32
	v_cndmask_b32_e64 v0, 0, v0, s5
	v_or_b32_e32 v22, v11, v0
.LBB261_1660:                           ;   in Loop: Header=BB261_1065 Depth=1
	s_or_b32 exec_lo, exec_lo, s21
	;;#ASMSTART
	v_pk_mul_f16 v0, v85, v29;

	;;#ASMEND
	;;#ASMSTART
	v_pk_mul_f16 v1, v84, v18;

	;;#ASMEND
	;; [unrolled: 4-line block ×4, first 2 shown]
	;;#ASMSTART
	v_pk_add_f16 v0, v0, v1;

	;;#ASMEND
	;;#ASMSTART
	v_pk_add_f16 v0, v0, v2;

	;;#ASMEND
	;; [unrolled: 4-line block ×3, first 2 shown]
	v_and_b32_e32 v1, 0xffff, v0
	v_lshrrev_b32_e32 v2, 16, v0
	;;#ASMSTART
	v_cvt_f32_f16 v0, v1;
	;;#ASMEND
	;;#ASMSTART
	v_cvt_f32_f16 v1, v2;
	;;#ASMEND
	flat_load_dwordx2 v[11:12], v[9:10] offset:256
	flat_load_dword v2, v[72:73]
	v_mov_b32_e32 v18, 0
	v_mov_b32_e32 v19, 0
	s_waitcnt vmcnt(1) lgkmcnt(1)
	v_cmp_ne_u16_sdwa s5, v11, v4 src0_sel:BYTE_0 src1_sel:DWORD
	s_and_saveexec_b32 s21, s5
	s_cbranch_execz .LBB261_1668
; %bb.1661:                             ;   in Loop: Header=BB261_1065 Depth=1
	v_cmp_ne_u16_sdwa s5, v11, v48 src0_sel:BYTE_0 src1_sel:DWORD
	v_mov_b32_e32 v19, 0x8000
	s_and_saveexec_b32 s22, s5
	s_cbranch_execz .LBB261_1667
; %bb.1662:                             ;   in Loop: Header=BB261_1065 Depth=1
	v_and_b32_e32 v22, 0x7f, v11
	v_mov_b32_e32 v19, 0x7c01
	s_mov_b32 s23, exec_lo
	v_cmpx_ne_u32_e32 0x7f, v22
	s_cbranch_execz .LBB261_1666
; %bb.1663:                             ;   in Loop: Header=BB261_1065 Depth=1
	v_and_b32_e32 v3, 7, v11
	v_lshrrev_b32_e32 v19, 3, v22
	s_mov_b32 s24, exec_lo
	v_cmpx_gt_u32_e32 8, v22
; %bb.1664:                             ;   in Loop: Header=BB261_1065 Depth=1
	v_ffbh_u32_e32 v3, v3
	v_min_u32_e32 v3, 32, v3
	v_subrev_nc_u32_e32 v19, 28, v3
	v_lshlrev_b64 v[22:23], v19, v[11:12]
	v_sub_nc_u32_e32 v19, 29, v3
	v_and_b32_e32 v3, 7, v22
; %bb.1665:                             ;   in Loop: Header=BB261_1065 Depth=1
	s_or_b32 exec_lo, exec_lo, s24
	v_lshlrev_b32_e32 v22, 8, v11
	v_lshl_add_u32 v19, v19, 10, 0x2000
	v_lshlrev_b32_e32 v3, 7, v3
	v_and_b32_e32 v22, 0x8000, v22
	v_and_b32_e32 v19, 0xfc00, v19
	v_or3_b32 v19, v22, v19, v3
.LBB261_1666:                           ;   in Loop: Header=BB261_1065 Depth=1
	s_or_b32 exec_lo, exec_lo, s23
.LBB261_1667:                           ;   in Loop: Header=BB261_1065 Depth=1
	s_or_b32 exec_lo, exec_lo, s22
.LBB261_1668:                           ;   in Loop: Header=BB261_1065 Depth=1
	s_or_b32 exec_lo, exec_lo, s21
	v_lshrrev_b16 v3, 8, v11
	s_mov_b32 s21, exec_lo
	v_cmpx_ne_u16_e32 0, v3
	s_cbranch_execz .LBB261_1676
; %bb.1669:                             ;   in Loop: Header=BB261_1065 Depth=1
	v_bfrev_b32_e32 v18, 1
	s_mov_b32 s22, exec_lo
	v_cmpx_ne_u16_e32 0x80, v3
	s_cbranch_execz .LBB261_1675
; %bb.1670:                             ;   in Loop: Header=BB261_1065 Depth=1
	v_and_b32_sdwa v23, v3, v34 dst_sel:DWORD dst_unused:UNUSED_PAD src0_sel:WORD_0 src1_sel:DWORD
	v_mov_b32_e32 v18, 0x7c010000
	s_mov_b32 s23, exec_lo
	v_cmpx_ne_u32_e32 0x7f, v23
	s_cbranch_execz .LBB261_1674
; %bb.1671:                             ;   in Loop: Header=BB261_1065 Depth=1
	v_and_b32_sdwa v18, v3, v67 dst_sel:DWORD dst_unused:UNUSED_PAD src0_sel:WORD_0 src1_sel:DWORD
	v_lshrrev_b32_e32 v22, 3, v23
	s_mov_b32 s24, exec_lo
	v_cmpx_gt_u32_e32 8, v23
; %bb.1672:                             ;   in Loop: Header=BB261_1065 Depth=1
	v_ffbh_u32_e32 v18, v18
	v_min_u32_e32 v18, 32, v18
	v_subrev_nc_u32_e32 v22, 28, v18
	v_lshlrev_b64 v[29:30], v22, v[3:4]
	v_sub_nc_u32_e32 v22, 29, v18
	v_and_b32_e32 v18, 7, v29
; %bb.1673:                             ;   in Loop: Header=BB261_1065 Depth=1
	s_or_b32 exec_lo, exec_lo, s24
	v_lshlrev_b32_sdwa v3, v68, v3 dst_sel:DWORD dst_unused:UNUSED_PAD src0_sel:DWORD src1_sel:WORD_0
	v_lshl_add_u32 v22, v22, 10, 0x2000
	v_lshlrev_b32_e32 v18, 23, v18
	v_and_or_b32 v3, 0x8000, v3, v22
	v_lshl_or_b32 v18, v3, 16, v18
.LBB261_1674:                           ;   in Loop: Header=BB261_1065 Depth=1
	s_or_b32 exec_lo, exec_lo, s23
.LBB261_1675:                           ;   in Loop: Header=BB261_1065 Depth=1
	s_or_b32 exec_lo, exec_lo, s22
.LBB261_1676:                           ;   in Loop: Header=BB261_1065 Depth=1
	s_or_b32 exec_lo, exec_lo, s21
	v_lshrrev_b32_e32 v3, 16, v11
	v_mov_b32_e32 v23, 0
	v_mov_b32_e32 v29, 0
	v_cmp_ne_u16_sdwa s5, v3, v4 src0_sel:BYTE_0 src1_sel:DWORD
	s_and_saveexec_b32 s21, s5
	s_cbranch_execz .LBB261_1684
; %bb.1677:                             ;   in Loop: Header=BB261_1065 Depth=1
	v_cmp_ne_u16_sdwa s5, v3, v48 src0_sel:BYTE_0 src1_sel:DWORD
	v_mov_b32_e32 v29, 0x8000
	s_and_saveexec_b32 s22, s5
	s_cbranch_execz .LBB261_1683
; %bb.1678:                             ;   in Loop: Header=BB261_1065 Depth=1
	v_bfe_u32 v30, v11, 16, 7
	v_mov_b32_e32 v29, 0x7c01
	s_mov_b32 s23, exec_lo
	v_cmpx_ne_u32_e32 0x7f, v30
	s_cbranch_execz .LBB261_1682
; %bb.1679:                             ;   in Loop: Header=BB261_1065 Depth=1
	v_and_b32_e32 v22, 7, v3
	v_lshrrev_b32_e32 v29, 3, v30
	s_mov_b32 s24, exec_lo
	v_cmpx_gt_u32_e32 8, v30
; %bb.1680:                             ;   in Loop: Header=BB261_1065 Depth=1
	v_ffbh_u32_e32 v22, v22
	v_min_u32_e32 v22, 32, v22
	v_subrev_nc_u32_e32 v29, 28, v22
	v_lshlrev_b64 v[30:31], v29, v[3:4]
	v_sub_nc_u32_e32 v29, 29, v22
	v_and_b32_e32 v22, 7, v30
; %bb.1681:                             ;   in Loop: Header=BB261_1065 Depth=1
	s_or_b32 exec_lo, exec_lo, s24
	v_lshlrev_b32_e32 v3, 8, v3
	v_lshl_add_u32 v29, v29, 10, 0x2000
	v_lshlrev_b32_e32 v22, 7, v22
	v_and_b32_e32 v3, 0x8000, v3
	v_and_b32_e32 v29, 0xfc00, v29
	v_or3_b32 v29, v3, v29, v22
.LBB261_1682:                           ;   in Loop: Header=BB261_1065 Depth=1
	s_or_b32 exec_lo, exec_lo, s23
.LBB261_1683:                           ;   in Loop: Header=BB261_1065 Depth=1
	s_or_b32 exec_lo, exec_lo, s22
.LBB261_1684:                           ;   in Loop: Header=BB261_1065 Depth=1
	s_or_b32 exec_lo, exec_lo, s21
	s_mov_b32 s21, exec_lo
	v_cmpx_lt_u32_e32 0xffffff, v11
	s_cbranch_execz .LBB261_1692
; %bb.1685:                             ;   in Loop: Header=BB261_1065 Depth=1
	v_lshrrev_b32_e32 v3, 24, v11
	v_bfrev_b32_e32 v23, 1
	s_mov_b32 s22, exec_lo
	v_cmpx_ne_u32_e32 0x80, v3
	s_cbranch_execz .LBB261_1691
; %bb.1686:                             ;   in Loop: Header=BB261_1065 Depth=1
	v_and_b32_e32 v30, 0x7f, v3
	v_mov_b32_e32 v23, 0x7c010000
	s_mov_b32 s23, exec_lo
	v_cmpx_ne_u32_e32 0x7f, v30
	s_cbranch_execz .LBB261_1690
; %bb.1687:                             ;   in Loop: Header=BB261_1065 Depth=1
	v_and_b32_e32 v22, 7, v3
	v_lshrrev_b32_e32 v23, 3, v30
	s_mov_b32 s24, exec_lo
	v_cmpx_gt_u32_e32 8, v30
; %bb.1688:                             ;   in Loop: Header=BB261_1065 Depth=1
	v_ffbh_u32_e32 v22, v22
	v_min_u32_e32 v30, 32, v22
	v_subrev_nc_u32_e32 v22, 28, v30
	v_lshlrev_b64 v[22:23], v22, v[3:4]
	v_sub_nc_u32_e32 v23, 29, v30
	v_and_b32_e32 v22, 7, v22
; %bb.1689:                             ;   in Loop: Header=BB261_1065 Depth=1
	s_or_b32 exec_lo, exec_lo, s24
	v_lshlrev_b32_e32 v3, 8, v3
	v_lshl_add_u32 v23, v23, 10, 0x2000
	v_lshlrev_b32_e32 v22, 23, v22
	v_and_or_b32 v3, 0x8000, v3, v23
	v_lshl_or_b32 v23, v3, 16, v22
.LBB261_1690:                           ;   in Loop: Header=BB261_1065 Depth=1
	s_or_b32 exec_lo, exec_lo, s23
.LBB261_1691:                           ;   in Loop: Header=BB261_1065 Depth=1
	s_or_b32 exec_lo, exec_lo, s22
.LBB261_1692:                           ;   in Loop: Header=BB261_1065 Depth=1
	s_or_b32 exec_lo, exec_lo, s21
	v_mov_b32_e32 v3, v12
	v_cmp_ne_u16_sdwa s5, v12, v4 src0_sel:BYTE_0 src1_sel:DWORD
	v_mov_b32_e32 v22, 0
	v_mov_b32_e32 v30, 0
	s_and_saveexec_b32 s21, s5
	s_cbranch_execz .LBB261_1700
; %bb.1693:                             ;   in Loop: Header=BB261_1065 Depth=1
	v_cmp_ne_u16_sdwa s5, v12, v48 src0_sel:BYTE_0 src1_sel:DWORD
	v_mov_b32_e32 v30, 0x8000
	s_and_saveexec_b32 s22, s5
	s_cbranch_execz .LBB261_1699
; %bb.1694:                             ;   in Loop: Header=BB261_1065 Depth=1
	v_and_b32_e32 v33, 0x7f, v12
	v_mov_b32_e32 v30, 0x7c01
	s_mov_b32 s23, exec_lo
	v_cmpx_ne_u32_e32 0x7f, v33
	s_cbranch_execz .LBB261_1698
; %bb.1695:                             ;   in Loop: Header=BB261_1065 Depth=1
	v_and_b32_e32 v30, 7, v12
	v_lshrrev_b32_e32 v31, 3, v33
	s_mov_b32 s24, exec_lo
	v_cmpx_gt_u32_e32 8, v33
; %bb.1696:                             ;   in Loop: Header=BB261_1065 Depth=1
	v_ffbh_u32_e32 v30, v30
	v_min_u32_e32 v33, 32, v30
	v_subrev_nc_u32_e32 v30, 28, v33
	v_lshlrev_b64 v[30:31], v30, v[3:4]
	v_sub_nc_u32_e32 v31, 29, v33
	v_and_b32_e32 v30, 7, v30
; %bb.1697:                             ;   in Loop: Header=BB261_1065 Depth=1
	s_or_b32 exec_lo, exec_lo, s24
	v_lshlrev_b32_e32 v33, 8, v12
	v_lshl_add_u32 v31, v31, 10, 0x2000
	v_lshlrev_b32_e32 v30, 7, v30
	v_and_b32_e32 v33, 0x8000, v33
	v_and_b32_e32 v31, 0xfc00, v31
	v_or3_b32 v30, v33, v31, v30
.LBB261_1698:                           ;   in Loop: Header=BB261_1065 Depth=1
	s_or_b32 exec_lo, exec_lo, s23
.LBB261_1699:                           ;   in Loop: Header=BB261_1065 Depth=1
	s_or_b32 exec_lo, exec_lo, s22
.LBB261_1700:                           ;   in Loop: Header=BB261_1065 Depth=1
	s_or_b32 exec_lo, exec_lo, s21
	v_lshrrev_b16 v3, 8, v3
	v_mov_b32_e32 v31, 0
	s_mov_b32 s21, exec_lo
	v_cmpx_ne_u16_e32 0, v3
	s_cbranch_execz .LBB261_1708
; %bb.1701:                             ;   in Loop: Header=BB261_1065 Depth=1
	v_bfrev_b32_e32 v31, 1
	s_mov_b32 s22, exec_lo
	v_cmpx_ne_u16_e32 0x80, v3
	s_cbranch_execz .LBB261_1707
; %bb.1702:                             ;   in Loop: Header=BB261_1065 Depth=1
	v_and_b32_sdwa v35, v3, v34 dst_sel:DWORD dst_unused:UNUSED_PAD src0_sel:WORD_0 src1_sel:DWORD
	v_mov_b32_e32 v31, 0x7c010000
	s_mov_b32 s23, exec_lo
	v_cmpx_ne_u32_e32 0x7f, v35
	s_cbranch_execz .LBB261_1706
; %bb.1703:                             ;   in Loop: Header=BB261_1065 Depth=1
	v_and_b32_sdwa v31, v3, v67 dst_sel:DWORD dst_unused:UNUSED_PAD src0_sel:WORD_0 src1_sel:DWORD
	v_lshrrev_b32_e32 v33, 3, v35
	s_mov_b32 s24, exec_lo
	v_cmpx_gt_u32_e32 8, v35
; %bb.1704:                             ;   in Loop: Header=BB261_1065 Depth=1
	v_ffbh_u32_e32 v31, v31
	v_min_u32_e32 v31, 32, v31
	v_subrev_nc_u32_e32 v33, 28, v31
	v_lshlrev_b64 v[35:36], v33, v[3:4]
	v_sub_nc_u32_e32 v33, 29, v31
	v_and_b32_e32 v31, 7, v35
; %bb.1705:                             ;   in Loop: Header=BB261_1065 Depth=1
	s_or_b32 exec_lo, exec_lo, s24
	v_lshlrev_b32_sdwa v3, v68, v3 dst_sel:DWORD dst_unused:UNUSED_PAD src0_sel:DWORD src1_sel:WORD_0
	v_lshl_add_u32 v33, v33, 10, 0x2000
	v_lshlrev_b32_e32 v31, 23, v31
	v_and_or_b32 v3, 0x8000, v3, v33
	v_lshl_or_b32 v31, v3, 16, v31
.LBB261_1706:                           ;   in Loop: Header=BB261_1065 Depth=1
	s_or_b32 exec_lo, exec_lo, s23
.LBB261_1707:                           ;   in Loop: Header=BB261_1065 Depth=1
	s_or_b32 exec_lo, exec_lo, s22
.LBB261_1708:                           ;   in Loop: Header=BB261_1065 Depth=1
	s_or_b32 exec_lo, exec_lo, s21
	v_lshrrev_b32_e32 v3, 16, v12
	v_cmp_ne_u16_sdwa s5, v3, v4 src0_sel:BYTE_0 src1_sel:DWORD
	s_and_saveexec_b32 s21, s5
	s_cbranch_execz .LBB261_1716
; %bb.1709:                             ;   in Loop: Header=BB261_1065 Depth=1
	v_cmp_ne_u16_sdwa s5, v3, v48 src0_sel:BYTE_0 src1_sel:DWORD
	v_mov_b32_e32 v22, 0x8000
	s_and_saveexec_b32 s22, s5
	s_cbranch_execz .LBB261_1715
; %bb.1710:                             ;   in Loop: Header=BB261_1065 Depth=1
	v_bfe_u32 v35, v12, 16, 7
	v_mov_b32_e32 v22, 0x7c01
	s_mov_b32 s23, exec_lo
	v_cmpx_ne_u32_e32 0x7f, v35
	s_cbranch_execz .LBB261_1714
; %bb.1711:                             ;   in Loop: Header=BB261_1065 Depth=1
	v_and_b32_e32 v22, 7, v3
	v_lshrrev_b32_e32 v33, 3, v35
	s_mov_b32 s24, exec_lo
	v_cmpx_gt_u32_e32 8, v35
; %bb.1712:                             ;   in Loop: Header=BB261_1065 Depth=1
	v_ffbh_u32_e32 v22, v22
	v_min_u32_e32 v22, 32, v22
	v_subrev_nc_u32_e32 v33, 28, v22
	v_lshlrev_b64 v[35:36], v33, v[3:4]
	v_sub_nc_u32_e32 v33, 29, v22
	v_and_b32_e32 v22, 7, v35
; %bb.1713:                             ;   in Loop: Header=BB261_1065 Depth=1
	s_or_b32 exec_lo, exec_lo, s24
	v_lshlrev_b32_e32 v3, 8, v3
	v_lshl_add_u32 v33, v33, 10, 0x2000
	v_lshlrev_b32_e32 v22, 7, v22
	v_and_b32_e32 v3, 0x8000, v3
	v_and_b32_e32 v33, 0xfc00, v33
	v_or3_b32 v22, v3, v33, v22
.LBB261_1714:                           ;   in Loop: Header=BB261_1065 Depth=1
	s_or_b32 exec_lo, exec_lo, s23
.LBB261_1715:                           ;   in Loop: Header=BB261_1065 Depth=1
	s_or_b32 exec_lo, exec_lo, s22
.LBB261_1716:                           ;   in Loop: Header=BB261_1065 Depth=1
	s_or_b32 exec_lo, exec_lo, s21
	v_cmp_lt_u64_e64 s5, s[6:7], v[11:12]
	v_mov_b32_e32 v11, 0
	s_and_saveexec_b32 s21, s5
	s_cbranch_execz .LBB261_1724
; %bb.1717:                             ;   in Loop: Header=BB261_1065 Depth=1
	v_lshrrev_b32_e32 v3, 24, v12
	v_bfrev_b32_e32 v11, 1
	s_mov_b32 s22, exec_lo
	v_cmpx_ne_u32_e32 0x80, v3
	s_cbranch_execz .LBB261_1723
; %bb.1718:                             ;   in Loop: Header=BB261_1065 Depth=1
	v_and_b32_e32 v33, 0x7f, v3
	v_mov_b32_e32 v11, 0x7c010000
	s_mov_b32 s23, exec_lo
	v_cmpx_ne_u32_e32 0x7f, v33
	s_cbranch_execz .LBB261_1722
; %bb.1719:                             ;   in Loop: Header=BB261_1065 Depth=1
	v_and_b32_e32 v11, 7, v3
	v_lshrrev_b32_e32 v12, 3, v33
	s_mov_b32 s24, exec_lo
	v_cmpx_gt_u32_e32 8, v33
; %bb.1720:                             ;   in Loop: Header=BB261_1065 Depth=1
	v_ffbh_u32_e32 v11, v11
	v_min_u32_e32 v33, 32, v11
	v_subrev_nc_u32_e32 v11, 28, v33
	v_lshlrev_b64 v[11:12], v11, v[3:4]
	v_sub_nc_u32_e32 v12, 29, v33
	v_and_b32_e32 v11, 7, v11
; %bb.1721:                             ;   in Loop: Header=BB261_1065 Depth=1
	s_or_b32 exec_lo, exec_lo, s24
	v_lshlrev_b32_e32 v3, 8, v3
	v_lshl_add_u32 v12, v12, 10, 0x2000
	v_lshlrev_b32_e32 v11, 23, v11
	v_and_or_b32 v3, 0x8000, v3, v12
	v_lshl_or_b32 v11, v3, 16, v11
.LBB261_1722:                           ;   in Loop: Header=BB261_1065 Depth=1
	s_or_b32 exec_lo, exec_lo, s23
.LBB261_1723:                           ;   in Loop: Header=BB261_1065 Depth=1
	s_or_b32 exec_lo, exec_lo, s22
.LBB261_1724:                           ;   in Loop: Header=BB261_1065 Depth=1
	s_or_b32 exec_lo, exec_lo, s21
	v_or_b32_e32 v3, v23, v29
	s_waitcnt vmcnt(0) lgkmcnt(0)
	v_fma_mixlo_f16 v12, v2, v23, 0 op_sel:[0,1,0] op_sel_hi:[0,1,0]
	v_or_b32_e32 v23, v18, v19
	v_fma_mixlo_f16 v18, v2, v18, 0 op_sel:[0,1,0] op_sel_hi:[0,1,0]
	v_or_b32_e32 v29, v31, v30
	v_fma_mixlo_f16 v30, v2, v3, 0 op_sel_hi:[0,1,0]
	v_or_b32_e32 v22, v11, v22
	v_lshlrev_b32_e32 v3, 16, v12
	v_lshlrev_b32_e32 v19, 16, v18
	v_fma_mixlo_f16 v18, v2, v23, 0 op_sel_hi:[0,1,0]
	v_and_b32_e32 v12, 0xffff, v30
	v_fma_mixlo_f16 v23, v2, v31, 0 op_sel:[0,1,0] op_sel_hi:[0,1,0]
	v_fma_mixlo_f16 v29, v2, v29, 0 op_sel_hi:[0,1,0]
	v_fma_mixlo_f16 v30, v2, v11, 0 op_sel:[0,1,0] op_sel_hi:[0,1,0]
	v_fma_mixlo_f16 v22, v2, v22, 0 op_sel_hi:[0,1,0]
	v_and_b32_e32 v33, 0xffff, v18
	v_lshlrev_b32_e32 v11, 16, v23
	v_and_b32_e32 v23, 0xffff, v29
	v_lshlrev_b32_e32 v2, 16, v30
	v_and_b32_e32 v18, 0xffff, v22
	v_or_b32_e32 v22, v3, v12
	v_or_b32_e32 v31, v19, v33
	;; [unrolled: 1-line block ×4, first 2 shown]
	s_and_saveexec_b32 s21, vcc_lo
	s_cbranch_execz .LBB261_1726
; %bb.1725:                             ;   in Loop: Header=BB261_1065 Depth=1
	v_cmp_lt_i32_e64 s5, v71, v32
	v_cndmask_b32_e64 v22, 0, v33, s5
	v_cmp_lt_i32_e64 s5, v100, v32
	v_cndmask_b32_e64 v19, 0, v19, s5
	v_cmp_lt_i32_e64 s5, v99, v32
	v_or_b32_e32 v31, v22, v19
	v_cndmask_b32_e64 v12, 0, v12, s5
	v_cmp_lt_i32_e64 s5, v98, v32
	v_cndmask_b32_e64 v3, 0, v3, s5
	v_cmp_lt_i32_e64 s5, v97, v32
	v_or_b32_e32 v22, v12, v3
	;; [unrolled: 5-line block ×3, first 2 shown]
	v_cndmask_b32_e64 v18, 0, v18, s5
	v_cmp_lt_i32_e64 s5, v86, v32
	v_cndmask_b32_e64 v2, 0, v2, s5
	v_or_b32_e32 v29, v18, v2
.LBB261_1726:                           ;   in Loop: Header=BB261_1065 Depth=1
	s_or_b32 exec_lo, exec_lo, s21
	;;#ASMSTART
	v_pk_mul_f16 v2, v85, v31;

	;;#ASMEND
	;;#ASMSTART
	v_pk_mul_f16 v3, v84, v22;

	;;#ASMEND
	;; [unrolled: 4-line block ×4, first 2 shown]
	;;#ASMSTART
	v_pk_add_f16 v2, v2, v3;

	;;#ASMEND
	;;#ASMSTART
	v_pk_add_f16 v2, v2, v11;

	;;#ASMEND
	;; [unrolled: 4-line block ×3, first 2 shown]
	v_lshrrev_b32_e32 v11, 16, v2
	v_and_b32_e32 v3, 0xffff, v2
	;;#ASMSTART
	v_cvt_f32_f16 v2, v3;
	;;#ASMEND
	;;#ASMSTART
	v_cvt_f32_f16 v18, v11;
	;;#ASMEND
	flat_load_dwordx2 v[11:12], v[9:10] offset:512
	flat_load_dword v19, v[72:73]
	v_mov_b32_e32 v23, 0
	v_mov_b32_e32 v29, 0
	s_waitcnt vmcnt(1) lgkmcnt(1)
	v_cmp_ne_u16_sdwa s5, v11, v4 src0_sel:BYTE_0 src1_sel:DWORD
	s_and_saveexec_b32 s21, s5
	s_cbranch_execz .LBB261_1734
; %bb.1727:                             ;   in Loop: Header=BB261_1065 Depth=1
	v_cmp_ne_u16_sdwa s5, v11, v48 src0_sel:BYTE_0 src1_sel:DWORD
	v_mov_b32_e32 v29, 0x8000
	s_and_saveexec_b32 s22, s5
	s_cbranch_execz .LBB261_1733
; %bb.1728:                             ;   in Loop: Header=BB261_1065 Depth=1
	v_and_b32_e32 v30, 0x7f, v11
	v_mov_b32_e32 v29, 0x7c01
	s_mov_b32 s23, exec_lo
	v_cmpx_ne_u32_e32 0x7f, v30
	s_cbranch_execz .LBB261_1732
; %bb.1729:                             ;   in Loop: Header=BB261_1065 Depth=1
	v_and_b32_e32 v3, 7, v11
	v_lshrrev_b32_e32 v22, 3, v30
	s_mov_b32 s24, exec_lo
	v_cmpx_gt_u32_e32 8, v30
; %bb.1730:                             ;   in Loop: Header=BB261_1065 Depth=1
	v_ffbh_u32_e32 v3, v3
	v_min_u32_e32 v3, 32, v3
	v_subrev_nc_u32_e32 v22, 28, v3
	v_lshlrev_b64 v[29:30], v22, v[11:12]
	v_sub_nc_u32_e32 v22, 29, v3
	v_and_b32_e32 v3, 7, v29
; %bb.1731:                             ;   in Loop: Header=BB261_1065 Depth=1
	s_or_b32 exec_lo, exec_lo, s24
	v_lshlrev_b32_e32 v29, 8, v11
	v_lshl_add_u32 v22, v22, 10, 0x2000
	v_lshlrev_b32_e32 v3, 7, v3
	v_and_b32_e32 v29, 0x8000, v29
	v_and_b32_e32 v22, 0xfc00, v22
	v_or3_b32 v29, v29, v22, v3
.LBB261_1732:                           ;   in Loop: Header=BB261_1065 Depth=1
	s_or_b32 exec_lo, exec_lo, s23
.LBB261_1733:                           ;   in Loop: Header=BB261_1065 Depth=1
	s_or_b32 exec_lo, exec_lo, s22
.LBB261_1734:                           ;   in Loop: Header=BB261_1065 Depth=1
	s_or_b32 exec_lo, exec_lo, s21
	v_lshrrev_b16 v3, 8, v11
	s_mov_b32 s21, exec_lo
	v_cmpx_ne_u16_e32 0, v3
	s_cbranch_execz .LBB261_1742
; %bb.1735:                             ;   in Loop: Header=BB261_1065 Depth=1
	v_bfrev_b32_e32 v23, 1
	s_mov_b32 s22, exec_lo
	v_cmpx_ne_u16_e32 0x80, v3
	s_cbranch_execz .LBB261_1741
; %bb.1736:                             ;   in Loop: Header=BB261_1065 Depth=1
	v_and_b32_sdwa v30, v3, v34 dst_sel:DWORD dst_unused:UNUSED_PAD src0_sel:WORD_0 src1_sel:DWORD
	v_mov_b32_e32 v23, 0x7c010000
	s_mov_b32 s23, exec_lo
	v_cmpx_ne_u32_e32 0x7f, v30
	s_cbranch_execz .LBB261_1740
; %bb.1737:                             ;   in Loop: Header=BB261_1065 Depth=1
	v_and_b32_sdwa v22, v3, v67 dst_sel:DWORD dst_unused:UNUSED_PAD src0_sel:WORD_0 src1_sel:DWORD
	v_lshrrev_b32_e32 v23, 3, v30
	s_mov_b32 s24, exec_lo
	v_cmpx_gt_u32_e32 8, v30
; %bb.1738:                             ;   in Loop: Header=BB261_1065 Depth=1
	v_ffbh_u32_e32 v22, v22
	v_min_u32_e32 v30, 32, v22
	v_subrev_nc_u32_e32 v22, 28, v30
	v_lshlrev_b64 v[22:23], v22, v[3:4]
	v_sub_nc_u32_e32 v23, 29, v30
	v_and_b32_e32 v22, 7, v22
; %bb.1739:                             ;   in Loop: Header=BB261_1065 Depth=1
	s_or_b32 exec_lo, exec_lo, s24
	v_lshlrev_b32_sdwa v3, v68, v3 dst_sel:DWORD dst_unused:UNUSED_PAD src0_sel:DWORD src1_sel:WORD_0
	v_lshl_add_u32 v23, v23, 10, 0x2000
	v_lshlrev_b32_e32 v22, 23, v22
	v_and_or_b32 v3, 0x8000, v3, v23
	v_lshl_or_b32 v23, v3, 16, v22
.LBB261_1740:                           ;   in Loop: Header=BB261_1065 Depth=1
	s_or_b32 exec_lo, exec_lo, s23
.LBB261_1741:                           ;   in Loop: Header=BB261_1065 Depth=1
	s_or_b32 exec_lo, exec_lo, s22
.LBB261_1742:                           ;   in Loop: Header=BB261_1065 Depth=1
	s_or_b32 exec_lo, exec_lo, s21
	v_lshrrev_b32_e32 v3, 16, v11
	v_mov_b32_e32 v30, 0
	v_mov_b32_e32 v31, 0
	v_cmp_ne_u16_sdwa s5, v3, v4 src0_sel:BYTE_0 src1_sel:DWORD
	s_and_saveexec_b32 s21, s5
	s_cbranch_execz .LBB261_1750
; %bb.1743:                             ;   in Loop: Header=BB261_1065 Depth=1
	v_cmp_ne_u16_sdwa s5, v3, v48 src0_sel:BYTE_0 src1_sel:DWORD
	v_mov_b32_e32 v31, 0x8000
	s_and_saveexec_b32 s22, s5
	s_cbranch_execz .LBB261_1749
; %bb.1744:                             ;   in Loop: Header=BB261_1065 Depth=1
	v_bfe_u32 v33, v11, 16, 7
	v_mov_b32_e32 v31, 0x7c01
	s_mov_b32 s23, exec_lo
	v_cmpx_ne_u32_e32 0x7f, v33
	s_cbranch_execz .LBB261_1748
; %bb.1745:                             ;   in Loop: Header=BB261_1065 Depth=1
	v_and_b32_e32 v22, 7, v3
	v_lshrrev_b32_e32 v31, 3, v33
	s_mov_b32 s24, exec_lo
	v_cmpx_gt_u32_e32 8, v33
; %bb.1746:                             ;   in Loop: Header=BB261_1065 Depth=1
	v_ffbh_u32_e32 v22, v22
	v_min_u32_e32 v22, 32, v22
	v_subrev_nc_u32_e32 v31, 28, v22
	v_lshlrev_b64 v[35:36], v31, v[3:4]
	v_sub_nc_u32_e32 v31, 29, v22
	v_and_b32_e32 v22, 7, v35
; %bb.1747:                             ;   in Loop: Header=BB261_1065 Depth=1
	s_or_b32 exec_lo, exec_lo, s24
	v_lshlrev_b32_e32 v3, 8, v3
	v_lshl_add_u32 v31, v31, 10, 0x2000
	v_lshlrev_b32_e32 v22, 7, v22
	v_and_b32_e32 v3, 0x8000, v3
	v_and_b32_e32 v31, 0xfc00, v31
	v_or3_b32 v31, v3, v31, v22
.LBB261_1748:                           ;   in Loop: Header=BB261_1065 Depth=1
	s_or_b32 exec_lo, exec_lo, s23
.LBB261_1749:                           ;   in Loop: Header=BB261_1065 Depth=1
	s_or_b32 exec_lo, exec_lo, s22
.LBB261_1750:                           ;   in Loop: Header=BB261_1065 Depth=1
	s_or_b32 exec_lo, exec_lo, s21
	s_mov_b32 s21, exec_lo
	v_cmpx_lt_u32_e32 0xffffff, v11
	s_cbranch_execz .LBB261_1758
; %bb.1751:                             ;   in Loop: Header=BB261_1065 Depth=1
	v_lshrrev_b32_e32 v3, 24, v11
	v_bfrev_b32_e32 v30, 1
	s_mov_b32 s22, exec_lo
	v_cmpx_ne_u32_e32 0x80, v3
	s_cbranch_execz .LBB261_1757
; %bb.1752:                             ;   in Loop: Header=BB261_1065 Depth=1
	v_and_b32_e32 v33, 0x7f, v3
	v_mov_b32_e32 v30, 0x7c010000
	s_mov_b32 s23, exec_lo
	v_cmpx_ne_u32_e32 0x7f, v33
	s_cbranch_execz .LBB261_1756
; %bb.1753:                             ;   in Loop: Header=BB261_1065 Depth=1
	v_and_b32_e32 v22, 7, v3
	v_lshrrev_b32_e32 v30, 3, v33
	s_mov_b32 s24, exec_lo
	v_cmpx_gt_u32_e32 8, v33
; %bb.1754:                             ;   in Loop: Header=BB261_1065 Depth=1
	v_ffbh_u32_e32 v22, v22
	v_min_u32_e32 v22, 32, v22
	v_subrev_nc_u32_e32 v30, 28, v22
	v_lshlrev_b64 v[35:36], v30, v[3:4]
	v_sub_nc_u32_e32 v30, 29, v22
	v_and_b32_e32 v22, 7, v35
; %bb.1755:                             ;   in Loop: Header=BB261_1065 Depth=1
	s_or_b32 exec_lo, exec_lo, s24
	v_lshlrev_b32_e32 v3, 8, v3
	v_lshl_add_u32 v30, v30, 10, 0x2000
	v_lshlrev_b32_e32 v22, 23, v22
	v_and_or_b32 v3, 0x8000, v3, v30
	v_lshl_or_b32 v30, v3, 16, v22
.LBB261_1756:                           ;   in Loop: Header=BB261_1065 Depth=1
	s_or_b32 exec_lo, exec_lo, s23
.LBB261_1757:                           ;   in Loop: Header=BB261_1065 Depth=1
	s_or_b32 exec_lo, exec_lo, s22
.LBB261_1758:                           ;   in Loop: Header=BB261_1065 Depth=1
	s_or_b32 exec_lo, exec_lo, s21
	v_mov_b32_e32 v3, v12
	v_cmp_ne_u16_sdwa s5, v12, v4 src0_sel:BYTE_0 src1_sel:DWORD
	v_mov_b32_e32 v22, 0
	v_mov_b32_e32 v33, 0
	s_and_saveexec_b32 s21, s5
	s_cbranch_execz .LBB261_1766
; %bb.1759:                             ;   in Loop: Header=BB261_1065 Depth=1
	v_cmp_ne_u16_sdwa s5, v12, v48 src0_sel:BYTE_0 src1_sel:DWORD
	v_mov_b32_e32 v33, 0x8000
	s_and_saveexec_b32 s22, s5
	s_cbranch_execz .LBB261_1765
; %bb.1760:                             ;   in Loop: Header=BB261_1065 Depth=1
	v_and_b32_e32 v36, 0x7f, v12
	v_mov_b32_e32 v33, 0x7c01
	s_mov_b32 s23, exec_lo
	v_cmpx_ne_u32_e32 0x7f, v36
	s_cbranch_execz .LBB261_1764
; %bb.1761:                             ;   in Loop: Header=BB261_1065 Depth=1
	v_and_b32_e32 v33, 7, v12
	v_lshrrev_b32_e32 v35, 3, v36
	s_mov_b32 s24, exec_lo
	v_cmpx_gt_u32_e32 8, v36
; %bb.1762:                             ;   in Loop: Header=BB261_1065 Depth=1
	v_ffbh_u32_e32 v33, v33
	v_min_u32_e32 v33, 32, v33
	v_subrev_nc_u32_e32 v35, 28, v33
	v_lshlrev_b64 v[36:37], v35, v[3:4]
	v_sub_nc_u32_e32 v35, 29, v33
	v_and_b32_e32 v33, 7, v36
; %bb.1763:                             ;   in Loop: Header=BB261_1065 Depth=1
	s_or_b32 exec_lo, exec_lo, s24
	v_lshlrev_b32_e32 v36, 8, v12
	v_lshl_add_u32 v35, v35, 10, 0x2000
	v_lshlrev_b32_e32 v33, 7, v33
	v_and_b32_e32 v36, 0x8000, v36
	v_and_b32_e32 v35, 0xfc00, v35
	v_or3_b32 v33, v36, v35, v33
.LBB261_1764:                           ;   in Loop: Header=BB261_1065 Depth=1
	s_or_b32 exec_lo, exec_lo, s23
.LBB261_1765:                           ;   in Loop: Header=BB261_1065 Depth=1
	s_or_b32 exec_lo, exec_lo, s22
.LBB261_1766:                           ;   in Loop: Header=BB261_1065 Depth=1
	s_or_b32 exec_lo, exec_lo, s21
	v_lshrrev_b16 v3, 8, v3
	v_mov_b32_e32 v35, 0
	s_mov_b32 s21, exec_lo
	v_cmpx_ne_u16_e32 0, v3
	s_cbranch_execz .LBB261_1774
; %bb.1767:                             ;   in Loop: Header=BB261_1065 Depth=1
	v_bfrev_b32_e32 v35, 1
	s_mov_b32 s22, exec_lo
	v_cmpx_ne_u16_e32 0x80, v3
	s_cbranch_execz .LBB261_1773
; %bb.1768:                             ;   in Loop: Header=BB261_1065 Depth=1
	v_and_b32_sdwa v38, v3, v34 dst_sel:DWORD dst_unused:UNUSED_PAD src0_sel:WORD_0 src1_sel:DWORD
	v_mov_b32_e32 v35, 0x7c010000
	s_mov_b32 s23, exec_lo
	v_cmpx_ne_u32_e32 0x7f, v38
	s_cbranch_execz .LBB261_1772
; %bb.1769:                             ;   in Loop: Header=BB261_1065 Depth=1
	v_and_b32_sdwa v35, v3, v67 dst_sel:DWORD dst_unused:UNUSED_PAD src0_sel:WORD_0 src1_sel:DWORD
	v_lshrrev_b32_e32 v36, 3, v38
	s_mov_b32 s24, exec_lo
	v_cmpx_gt_u32_e32 8, v38
; %bb.1770:                             ;   in Loop: Header=BB261_1065 Depth=1
	v_ffbh_u32_e32 v35, v35
	v_min_u32_e32 v37, 32, v35
	v_subrev_nc_u32_e32 v35, 28, v37
	v_lshlrev_b64 v[35:36], v35, v[3:4]
	v_sub_nc_u32_e32 v36, 29, v37
	v_and_b32_e32 v35, 7, v35
; %bb.1771:                             ;   in Loop: Header=BB261_1065 Depth=1
	s_or_b32 exec_lo, exec_lo, s24
	v_lshlrev_b32_sdwa v3, v68, v3 dst_sel:DWORD dst_unused:UNUSED_PAD src0_sel:DWORD src1_sel:WORD_0
	v_lshl_add_u32 v36, v36, 10, 0x2000
	v_lshlrev_b32_e32 v35, 23, v35
	v_and_or_b32 v3, 0x8000, v3, v36
	v_lshl_or_b32 v35, v3, 16, v35
.LBB261_1772:                           ;   in Loop: Header=BB261_1065 Depth=1
	s_or_b32 exec_lo, exec_lo, s23
.LBB261_1773:                           ;   in Loop: Header=BB261_1065 Depth=1
	s_or_b32 exec_lo, exec_lo, s22
.LBB261_1774:                           ;   in Loop: Header=BB261_1065 Depth=1
	s_or_b32 exec_lo, exec_lo, s21
	v_lshrrev_b32_e32 v3, 16, v12
	v_cmp_ne_u16_sdwa s5, v3, v4 src0_sel:BYTE_0 src1_sel:DWORD
	s_and_saveexec_b32 s21, s5
	s_cbranch_execz .LBB261_1782
; %bb.1775:                             ;   in Loop: Header=BB261_1065 Depth=1
	v_cmp_ne_u16_sdwa s5, v3, v48 src0_sel:BYTE_0 src1_sel:DWORD
	v_mov_b32_e32 v22, 0x8000
	s_and_saveexec_b32 s22, s5
	s_cbranch_execz .LBB261_1781
; %bb.1776:                             ;   in Loop: Header=BB261_1065 Depth=1
	v_bfe_u32 v38, v12, 16, 7
	v_mov_b32_e32 v22, 0x7c01
	s_mov_b32 s23, exec_lo
	v_cmpx_ne_u32_e32 0x7f, v38
	s_cbranch_execz .LBB261_1780
; %bb.1777:                             ;   in Loop: Header=BB261_1065 Depth=1
	v_and_b32_e32 v22, 7, v3
	v_lshrrev_b32_e32 v36, 3, v38
	s_mov_b32 s24, exec_lo
	v_cmpx_gt_u32_e32 8, v38
; %bb.1778:                             ;   in Loop: Header=BB261_1065 Depth=1
	v_ffbh_u32_e32 v22, v22
	v_min_u32_e32 v22, 32, v22
	v_subrev_nc_u32_e32 v36, 28, v22
	v_lshlrev_b64 v[37:38], v36, v[3:4]
	v_sub_nc_u32_e32 v36, 29, v22
	v_and_b32_e32 v22, 7, v37
; %bb.1779:                             ;   in Loop: Header=BB261_1065 Depth=1
	s_or_b32 exec_lo, exec_lo, s24
	v_lshlrev_b32_e32 v3, 8, v3
	v_lshl_add_u32 v36, v36, 10, 0x2000
	v_lshlrev_b32_e32 v22, 7, v22
	v_and_b32_e32 v3, 0x8000, v3
	v_and_b32_e32 v36, 0xfc00, v36
	v_or3_b32 v22, v3, v36, v22
.LBB261_1780:                           ;   in Loop: Header=BB261_1065 Depth=1
	s_or_b32 exec_lo, exec_lo, s23
.LBB261_1781:                           ;   in Loop: Header=BB261_1065 Depth=1
	s_or_b32 exec_lo, exec_lo, s22
.LBB261_1782:                           ;   in Loop: Header=BB261_1065 Depth=1
	s_or_b32 exec_lo, exec_lo, s21
	v_cmp_lt_u64_e64 s5, s[6:7], v[11:12]
	v_mov_b32_e32 v11, 0
	s_and_saveexec_b32 s21, s5
	s_cbranch_execz .LBB261_1790
; %bb.1783:                             ;   in Loop: Header=BB261_1065 Depth=1
	v_lshrrev_b32_e32 v3, 24, v12
	v_bfrev_b32_e32 v11, 1
	s_mov_b32 s22, exec_lo
	v_cmpx_ne_u32_e32 0x80, v3
	s_cbranch_execz .LBB261_1789
; %bb.1784:                             ;   in Loop: Header=BB261_1065 Depth=1
	v_and_b32_e32 v36, 0x7f, v3
	v_mov_b32_e32 v11, 0x7c010000
	s_mov_b32 s23, exec_lo
	v_cmpx_ne_u32_e32 0x7f, v36
	s_cbranch_execz .LBB261_1788
; %bb.1785:                             ;   in Loop: Header=BB261_1065 Depth=1
	v_and_b32_e32 v11, 7, v3
	v_lshrrev_b32_e32 v12, 3, v36
	s_mov_b32 s24, exec_lo
	v_cmpx_gt_u32_e32 8, v36
; %bb.1786:                             ;   in Loop: Header=BB261_1065 Depth=1
	v_ffbh_u32_e32 v11, v11
	v_min_u32_e32 v36, 32, v11
	v_subrev_nc_u32_e32 v11, 28, v36
	v_lshlrev_b64 v[11:12], v11, v[3:4]
	v_sub_nc_u32_e32 v12, 29, v36
	v_and_b32_e32 v11, 7, v11
; %bb.1787:                             ;   in Loop: Header=BB261_1065 Depth=1
	s_or_b32 exec_lo, exec_lo, s24
	v_lshlrev_b32_e32 v3, 8, v3
	v_lshl_add_u32 v12, v12, 10, 0x2000
	v_lshlrev_b32_e32 v11, 23, v11
	v_and_or_b32 v3, 0x8000, v3, v12
	v_lshl_or_b32 v11, v3, 16, v11
.LBB261_1788:                           ;   in Loop: Header=BB261_1065 Depth=1
	s_or_b32 exec_lo, exec_lo, s23
.LBB261_1789:                           ;   in Loop: Header=BB261_1065 Depth=1
	s_or_b32 exec_lo, exec_lo, s22
.LBB261_1790:                           ;   in Loop: Header=BB261_1065 Depth=1
	s_or_b32 exec_lo, exec_lo, s21
	v_or_b32_e32 v3, v30, v31
	s_waitcnt vmcnt(0) lgkmcnt(0)
	v_fma_mixlo_f16 v12, v19, v30, 0 op_sel:[0,1,0] op_sel_hi:[0,1,0]
	v_or_b32_e32 v29, v23, v29
	v_or_b32_e32 v30, v35, v33
	v_or_b32_e32 v22, v11, v22
	v_fma_mixlo_f16 v31, v19, v3, 0 op_sel_hi:[0,1,0]
	v_fma_mixlo_f16 v23, v19, v23, 0 op_sel:[0,1,0] op_sel_hi:[0,1,0]
	v_lshlrev_b32_e32 v3, 16, v12
	v_fma_mixlo_f16 v29, v19, v29, 0 op_sel_hi:[0,1,0]
	v_fma_mixlo_f16 v30, v19, v30, 0 op_sel_hi:[0,1,0]
	v_and_b32_e32 v12, 0xffff, v31
	v_fma_mixlo_f16 v31, v19, v35, 0 op_sel:[0,1,0] op_sel_hi:[0,1,0]
	v_fma_mixlo_f16 v11, v19, v11, 0 op_sel:[0,1,0] op_sel_hi:[0,1,0]
	v_fma_mixlo_f16 v22, v19, v22, 0 op_sel_hi:[0,1,0]
	v_lshlrev_b32_e32 v23, 16, v23
	v_and_b32_e32 v36, 0xffff, v29
	v_lshlrev_b32_e32 v19, 16, v31
	v_and_b32_e32 v30, 0xffff, v30
	;; [unrolled: 2-line block ×3, first 2 shown]
	v_or_b32_e32 v29, v3, v12
	v_or_b32_e32 v35, v23, v36
	;; [unrolled: 1-line block ×4, first 2 shown]
	s_and_saveexec_b32 s21, vcc_lo
	s_cbranch_execz .LBB261_1792
; %bb.1791:                             ;   in Loop: Header=BB261_1065 Depth=1
	v_cmp_lt_i32_e64 s5, v71, v32
	v_cndmask_b32_e64 v29, 0, v36, s5
	v_cmp_lt_i32_e64 s5, v100, v32
	v_cndmask_b32_e64 v23, 0, v23, s5
	v_cmp_lt_i32_e64 s5, v99, v32
	v_or_b32_e32 v35, v29, v23
	v_cndmask_b32_e64 v12, 0, v12, s5
	v_cmp_lt_i32_e64 s5, v98, v32
	v_cndmask_b32_e64 v3, 0, v3, s5
	v_cmp_lt_i32_e64 s5, v97, v32
	v_or_b32_e32 v29, v12, v3
	;; [unrolled: 5-line block ×3, first 2 shown]
	v_cndmask_b32_e64 v22, 0, v22, s5
	v_cmp_lt_i32_e64 s5, v86, v32
	v_cndmask_b32_e64 v11, 0, v11, s5
	v_or_b32_e32 v31, v22, v11
.LBB261_1792:                           ;   in Loop: Header=BB261_1065 Depth=1
	s_or_b32 exec_lo, exec_lo, s21
	;;#ASMSTART
	v_pk_mul_f16 v3, v85, v35;

	;;#ASMEND
	;;#ASMSTART
	v_pk_mul_f16 v11, v84, v29;

	;;#ASMEND
	;; [unrolled: 4-line block ×4, first 2 shown]
	;;#ASMSTART
	v_pk_add_f16 v3, v3, v11;

	;;#ASMEND
	;;#ASMSTART
	v_pk_add_f16 v3, v3, v12;

	;;#ASMEND
	;; [unrolled: 4-line block ×3, first 2 shown]
	v_and_b32_e32 v11, 0xffff, v3
	v_lshrrev_b32_e32 v3, 16, v3
	;;#ASMSTART
	v_cvt_f32_f16 v19, v11;
	;;#ASMEND
	;;#ASMSTART
	v_cvt_f32_f16 v29, v3;
	;;#ASMEND
	flat_load_dwordx2 v[11:12], v[9:10] offset:768
	flat_load_dword v23, v[72:73]
	v_mov_b32_e32 v30, 0
	v_mov_b32_e32 v31, 0
	s_waitcnt vmcnt(1) lgkmcnt(1)
	v_cmp_ne_u16_sdwa s5, v11, v4 src0_sel:BYTE_0 src1_sel:DWORD
	s_and_saveexec_b32 s21, s5
	s_cbranch_execz .LBB261_1800
; %bb.1793:                             ;   in Loop: Header=BB261_1065 Depth=1
	v_cmp_ne_u16_sdwa s5, v11, v48 src0_sel:BYTE_0 src1_sel:DWORD
	v_mov_b32_e32 v31, 0x8000
	s_and_saveexec_b32 s22, s5
	s_cbranch_execz .LBB261_1799
; %bb.1794:                             ;   in Loop: Header=BB261_1065 Depth=1
	v_and_b32_e32 v33, 0x7f, v11
	v_mov_b32_e32 v31, 0x7c01
	s_mov_b32 s23, exec_lo
	v_cmpx_ne_u32_e32 0x7f, v33
	s_cbranch_execz .LBB261_1798
; %bb.1795:                             ;   in Loop: Header=BB261_1065 Depth=1
	v_and_b32_e32 v3, 7, v11
	v_lshrrev_b32_e32 v22, 3, v33
	s_mov_b32 s24, exec_lo
	v_cmpx_gt_u32_e32 8, v33
; %bb.1796:                             ;   in Loop: Header=BB261_1065 Depth=1
	v_ffbh_u32_e32 v3, v3
	v_min_u32_e32 v3, 32, v3
	v_subrev_nc_u32_e32 v22, 28, v3
	v_lshlrev_b64 v[35:36], v22, v[11:12]
	v_sub_nc_u32_e32 v22, 29, v3
	v_and_b32_e32 v3, 7, v35
; %bb.1797:                             ;   in Loop: Header=BB261_1065 Depth=1
	s_or_b32 exec_lo, exec_lo, s24
	v_lshlrev_b32_e32 v31, 8, v11
	v_lshl_add_u32 v22, v22, 10, 0x2000
	v_lshlrev_b32_e32 v3, 7, v3
	v_and_b32_e32 v31, 0x8000, v31
	v_and_b32_e32 v22, 0xfc00, v22
	v_or3_b32 v31, v31, v22, v3
.LBB261_1798:                           ;   in Loop: Header=BB261_1065 Depth=1
	s_or_b32 exec_lo, exec_lo, s23
.LBB261_1799:                           ;   in Loop: Header=BB261_1065 Depth=1
	s_or_b32 exec_lo, exec_lo, s22
.LBB261_1800:                           ;   in Loop: Header=BB261_1065 Depth=1
	s_or_b32 exec_lo, exec_lo, s21
	v_lshrrev_b16 v3, 8, v11
	s_mov_b32 s21, exec_lo
	v_cmpx_ne_u16_e32 0, v3
	s_cbranch_execz .LBB261_1808
; %bb.1801:                             ;   in Loop: Header=BB261_1065 Depth=1
	v_bfrev_b32_e32 v30, 1
	s_mov_b32 s22, exec_lo
	v_cmpx_ne_u16_e32 0x80, v3
	s_cbranch_execz .LBB261_1807
; %bb.1802:                             ;   in Loop: Header=BB261_1065 Depth=1
	v_and_b32_sdwa v33, v3, v34 dst_sel:DWORD dst_unused:UNUSED_PAD src0_sel:WORD_0 src1_sel:DWORD
	v_mov_b32_e32 v30, 0x7c010000
	s_mov_b32 s23, exec_lo
	v_cmpx_ne_u32_e32 0x7f, v33
	s_cbranch_execz .LBB261_1806
; %bb.1803:                             ;   in Loop: Header=BB261_1065 Depth=1
	v_and_b32_sdwa v22, v3, v67 dst_sel:DWORD dst_unused:UNUSED_PAD src0_sel:WORD_0 src1_sel:DWORD
	v_lshrrev_b32_e32 v30, 3, v33
	s_mov_b32 s24, exec_lo
	v_cmpx_gt_u32_e32 8, v33
; %bb.1804:                             ;   in Loop: Header=BB261_1065 Depth=1
	v_ffbh_u32_e32 v22, v22
	v_min_u32_e32 v22, 32, v22
	v_subrev_nc_u32_e32 v30, 28, v22
	v_lshlrev_b64 v[35:36], v30, v[3:4]
	v_sub_nc_u32_e32 v30, 29, v22
	v_and_b32_e32 v22, 7, v35
; %bb.1805:                             ;   in Loop: Header=BB261_1065 Depth=1
	s_or_b32 exec_lo, exec_lo, s24
	v_lshlrev_b32_sdwa v3, v68, v3 dst_sel:DWORD dst_unused:UNUSED_PAD src0_sel:DWORD src1_sel:WORD_0
	v_lshl_add_u32 v30, v30, 10, 0x2000
	v_lshlrev_b32_e32 v22, 23, v22
	v_and_or_b32 v3, 0x8000, v3, v30
	v_lshl_or_b32 v30, v3, 16, v22
.LBB261_1806:                           ;   in Loop: Header=BB261_1065 Depth=1
	s_or_b32 exec_lo, exec_lo, s23
.LBB261_1807:                           ;   in Loop: Header=BB261_1065 Depth=1
	s_or_b32 exec_lo, exec_lo, s22
.LBB261_1808:                           ;   in Loop: Header=BB261_1065 Depth=1
	s_or_b32 exec_lo, exec_lo, s21
	v_lshrrev_b32_e32 v3, 16, v11
	v_mov_b32_e32 v33, 0
	v_mov_b32_e32 v35, 0
	v_cmp_ne_u16_sdwa s5, v3, v4 src0_sel:BYTE_0 src1_sel:DWORD
	s_and_saveexec_b32 s21, s5
	s_cbranch_execz .LBB261_1816
; %bb.1809:                             ;   in Loop: Header=BB261_1065 Depth=1
	v_cmp_ne_u16_sdwa s5, v3, v48 src0_sel:BYTE_0 src1_sel:DWORD
	v_mov_b32_e32 v35, 0x8000
	s_and_saveexec_b32 s22, s5
	s_cbranch_execz .LBB261_1815
; %bb.1810:                             ;   in Loop: Header=BB261_1065 Depth=1
	v_bfe_u32 v36, v11, 16, 7
	v_mov_b32_e32 v35, 0x7c01
	s_mov_b32 s23, exec_lo
	v_cmpx_ne_u32_e32 0x7f, v36
	s_cbranch_execz .LBB261_1814
; %bb.1811:                             ;   in Loop: Header=BB261_1065 Depth=1
	v_and_b32_e32 v22, 7, v3
	v_lshrrev_b32_e32 v35, 3, v36
	s_mov_b32 s24, exec_lo
	v_cmpx_gt_u32_e32 8, v36
; %bb.1812:                             ;   in Loop: Header=BB261_1065 Depth=1
	v_ffbh_u32_e32 v22, v22
	v_min_u32_e32 v22, 32, v22
	v_subrev_nc_u32_e32 v35, 28, v22
	v_lshlrev_b64 v[36:37], v35, v[3:4]
	v_sub_nc_u32_e32 v35, 29, v22
	v_and_b32_e32 v22, 7, v36
; %bb.1813:                             ;   in Loop: Header=BB261_1065 Depth=1
	s_or_b32 exec_lo, exec_lo, s24
	v_lshlrev_b32_e32 v3, 8, v3
	v_lshl_add_u32 v35, v35, 10, 0x2000
	v_lshlrev_b32_e32 v22, 7, v22
	v_and_b32_e32 v3, 0x8000, v3
	v_and_b32_e32 v35, 0xfc00, v35
	v_or3_b32 v35, v3, v35, v22
.LBB261_1814:                           ;   in Loop: Header=BB261_1065 Depth=1
	s_or_b32 exec_lo, exec_lo, s23
.LBB261_1815:                           ;   in Loop: Header=BB261_1065 Depth=1
	s_or_b32 exec_lo, exec_lo, s22
.LBB261_1816:                           ;   in Loop: Header=BB261_1065 Depth=1
	s_or_b32 exec_lo, exec_lo, s21
	s_mov_b32 s21, exec_lo
	v_cmpx_lt_u32_e32 0xffffff, v11
	s_cbranch_execz .LBB261_1824
; %bb.1817:                             ;   in Loop: Header=BB261_1065 Depth=1
	v_lshrrev_b32_e32 v3, 24, v11
	v_bfrev_b32_e32 v33, 1
	s_mov_b32 s22, exec_lo
	v_cmpx_ne_u32_e32 0x80, v3
	s_cbranch_execz .LBB261_1823
; %bb.1818:                             ;   in Loop: Header=BB261_1065 Depth=1
	v_and_b32_e32 v36, 0x7f, v3
	v_mov_b32_e32 v33, 0x7c010000
	s_mov_b32 s23, exec_lo
	v_cmpx_ne_u32_e32 0x7f, v36
	s_cbranch_execz .LBB261_1822
; %bb.1819:                             ;   in Loop: Header=BB261_1065 Depth=1
	v_and_b32_e32 v22, 7, v3
	v_lshrrev_b32_e32 v33, 3, v36
	s_mov_b32 s24, exec_lo
	v_cmpx_gt_u32_e32 8, v36
; %bb.1820:                             ;   in Loop: Header=BB261_1065 Depth=1
	v_ffbh_u32_e32 v22, v22
	v_min_u32_e32 v22, 32, v22
	v_subrev_nc_u32_e32 v33, 28, v22
	v_lshlrev_b64 v[36:37], v33, v[3:4]
	v_sub_nc_u32_e32 v33, 29, v22
	v_and_b32_e32 v22, 7, v36
; %bb.1821:                             ;   in Loop: Header=BB261_1065 Depth=1
	s_or_b32 exec_lo, exec_lo, s24
	v_lshlrev_b32_e32 v3, 8, v3
	v_lshl_add_u32 v33, v33, 10, 0x2000
	v_lshlrev_b32_e32 v22, 23, v22
	v_and_or_b32 v3, 0x8000, v3, v33
	v_lshl_or_b32 v33, v3, 16, v22
.LBB261_1822:                           ;   in Loop: Header=BB261_1065 Depth=1
	s_or_b32 exec_lo, exec_lo, s23
.LBB261_1823:                           ;   in Loop: Header=BB261_1065 Depth=1
	s_or_b32 exec_lo, exec_lo, s22
.LBB261_1824:                           ;   in Loop: Header=BB261_1065 Depth=1
	s_or_b32 exec_lo, exec_lo, s21
	v_mov_b32_e32 v3, v12
	v_cmp_ne_u16_sdwa s5, v12, v4 src0_sel:BYTE_0 src1_sel:DWORD
	v_mov_b32_e32 v22, 0
	v_mov_b32_e32 v36, 0
	s_and_saveexec_b32 s21, s5
	s_cbranch_execz .LBB261_1832
; %bb.1825:                             ;   in Loop: Header=BB261_1065 Depth=1
	v_cmp_ne_u16_sdwa s5, v12, v48 src0_sel:BYTE_0 src1_sel:DWORD
	v_mov_b32_e32 v36, 0x8000
	s_and_saveexec_b32 s22, s5
	s_cbranch_execz .LBB261_1831
; %bb.1826:                             ;   in Loop: Header=BB261_1065 Depth=1
	v_and_b32_e32 v49, 0x7f, v12
	v_mov_b32_e32 v36, 0x7c01
	s_mov_b32 s23, exec_lo
	v_cmpx_ne_u32_e32 0x7f, v49
	s_cbranch_execz .LBB261_1830
; %bb.1827:                             ;   in Loop: Header=BB261_1065 Depth=1
	v_and_b32_e32 v36, 7, v12
	v_lshrrev_b32_e32 v38, 3, v49
	s_mov_b32 s24, exec_lo
	v_cmpx_gt_u32_e32 8, v49
; %bb.1828:                             ;   in Loop: Header=BB261_1065 Depth=1
	v_ffbh_u32_e32 v36, v36
	v_min_u32_e32 v38, 32, v36
	v_subrev_nc_u32_e32 v36, 28, v38
	v_sub_nc_u32_e32 v38, 29, v38
	v_lshlrev_b64 v[36:37], v36, v[3:4]
	v_and_b32_e32 v36, 7, v36
; %bb.1829:                             ;   in Loop: Header=BB261_1065 Depth=1
	s_or_b32 exec_lo, exec_lo, s24
	v_lshlrev_b32_e32 v37, 8, v12
	v_lshl_add_u32 v38, v38, 10, 0x2000
	v_lshlrev_b32_e32 v36, 7, v36
	v_and_b32_e32 v37, 0x8000, v37
	v_and_b32_e32 v38, 0xfc00, v38
	v_or3_b32 v36, v37, v38, v36
.LBB261_1830:                           ;   in Loop: Header=BB261_1065 Depth=1
	s_or_b32 exec_lo, exec_lo, s23
.LBB261_1831:                           ;   in Loop: Header=BB261_1065 Depth=1
	s_or_b32 exec_lo, exec_lo, s22
.LBB261_1832:                           ;   in Loop: Header=BB261_1065 Depth=1
	s_or_b32 exec_lo, exec_lo, s21
	v_lshrrev_b16 v3, 8, v3
	v_mov_b32_e32 v38, 0
	s_mov_b32 s21, exec_lo
	v_cmpx_ne_u16_e32 0, v3
	s_cbranch_execz .LBB261_1840
; %bb.1833:                             ;   in Loop: Header=BB261_1065 Depth=1
	v_bfrev_b32_e32 v38, 1
	s_mov_b32 s22, exec_lo
	v_cmpx_ne_u16_e32 0x80, v3
	s_cbranch_execz .LBB261_1839
; %bb.1834:                             ;   in Loop: Header=BB261_1065 Depth=1
	v_and_b32_sdwa v43, v3, v34 dst_sel:DWORD dst_unused:UNUSED_PAD src0_sel:WORD_0 src1_sel:DWORD
	v_mov_b32_e32 v38, 0x7c010000
	s_mov_b32 s23, exec_lo
	v_cmpx_ne_u32_e32 0x7f, v43
	s_cbranch_execz .LBB261_1838
; %bb.1835:                             ;   in Loop: Header=BB261_1065 Depth=1
	v_and_b32_sdwa v38, v3, v67 dst_sel:DWORD dst_unused:UNUSED_PAD src0_sel:WORD_0 src1_sel:DWORD
	v_lshrrev_b32_e32 v49, 3, v43
	s_mov_b32 s24, exec_lo
	v_cmpx_gt_u32_e32 8, v43
; %bb.1836:                             ;   in Loop: Header=BB261_1065 Depth=1
	v_ffbh_u32_e32 v37, v38
	v_min_u32_e32 v49, 32, v37
	v_subrev_nc_u32_e32 v37, 28, v49
	v_sub_nc_u32_e32 v49, 29, v49
	v_lshlrev_b64 v[37:38], v37, v[3:4]
	v_and_b32_e32 v38, 7, v37
; %bb.1837:                             ;   in Loop: Header=BB261_1065 Depth=1
	s_or_b32 exec_lo, exec_lo, s24
	v_lshlrev_b32_sdwa v3, v68, v3 dst_sel:DWORD dst_unused:UNUSED_PAD src0_sel:DWORD src1_sel:WORD_0
	v_lshl_add_u32 v37, v49, 10, 0x2000
	v_and_or_b32 v3, 0x8000, v3, v37
	v_lshlrev_b32_e32 v37, 23, v38
	v_lshl_or_b32 v38, v3, 16, v37
.LBB261_1838:                           ;   in Loop: Header=BB261_1065 Depth=1
	s_or_b32 exec_lo, exec_lo, s23
.LBB261_1839:                           ;   in Loop: Header=BB261_1065 Depth=1
	s_or_b32 exec_lo, exec_lo, s22
.LBB261_1840:                           ;   in Loop: Header=BB261_1065 Depth=1
	s_or_b32 exec_lo, exec_lo, s21
	v_lshrrev_b32_e32 v3, 16, v12
	v_cmp_ne_u16_sdwa s5, v3, v4 src0_sel:BYTE_0 src1_sel:DWORD
	s_and_saveexec_b32 s21, s5
	s_cbranch_execz .LBB261_1848
; %bb.1841:                             ;   in Loop: Header=BB261_1065 Depth=1
	v_cmp_ne_u16_sdwa s5, v3, v48 src0_sel:BYTE_0 src1_sel:DWORD
	v_mov_b32_e32 v22, 0x8000
	s_and_saveexec_b32 s22, s5
	s_cbranch_execz .LBB261_1847
; %bb.1842:                             ;   in Loop: Header=BB261_1065 Depth=1
	v_bfe_u32 v43, v12, 16, 7
	v_mov_b32_e32 v22, 0x7c01
	s_mov_b32 s23, exec_lo
	v_cmpx_ne_u32_e32 0x7f, v43
	s_cbranch_execz .LBB261_1846
; %bb.1843:                             ;   in Loop: Header=BB261_1065 Depth=1
	v_and_b32_e32 v22, 7, v3
	v_lshrrev_b32_e32 v49, 3, v43
	s_mov_b32 s24, exec_lo
	v_cmpx_gt_u32_e32 8, v43
; %bb.1844:                             ;   in Loop: Header=BB261_1065 Depth=1
	v_ffbh_u32_e32 v22, v22
	v_min_u32_e32 v22, 32, v22
	v_subrev_nc_u32_e32 v37, 28, v22
	v_sub_nc_u32_e32 v49, 29, v22
	v_lshlrev_b64 v[43:44], v37, v[3:4]
	v_and_b32_e32 v22, 7, v43
; %bb.1845:                             ;   in Loop: Header=BB261_1065 Depth=1
	s_or_b32 exec_lo, exec_lo, s24
	v_lshlrev_b32_e32 v3, 8, v3
	v_lshl_add_u32 v37, v49, 10, 0x2000
	v_lshlrev_b32_e32 v22, 7, v22
	v_and_b32_e32 v3, 0x8000, v3
	v_and_b32_e32 v37, 0xfc00, v37
	v_or3_b32 v22, v3, v37, v22
.LBB261_1846:                           ;   in Loop: Header=BB261_1065 Depth=1
	s_or_b32 exec_lo, exec_lo, s23
.LBB261_1847:                           ;   in Loop: Header=BB261_1065 Depth=1
	s_or_b32 exec_lo, exec_lo, s22
.LBB261_1848:                           ;   in Loop: Header=BB261_1065 Depth=1
	s_or_b32 exec_lo, exec_lo, s21
	v_cmp_lt_u64_e64 s5, s[6:7], v[11:12]
	v_mov_b32_e32 v11, 0
	s_and_saveexec_b32 s21, s5
	s_cbranch_execz .LBB261_1856
; %bb.1849:                             ;   in Loop: Header=BB261_1065 Depth=1
	v_lshrrev_b32_e32 v3, 24, v12
	v_bfrev_b32_e32 v11, 1
	s_mov_b32 s22, exec_lo
	v_cmpx_ne_u32_e32 0x80, v3
	s_cbranch_execz .LBB261_1855
; %bb.1850:                             ;   in Loop: Header=BB261_1065 Depth=1
	v_and_b32_e32 v49, 0x7f, v3
	v_mov_b32_e32 v11, 0x7c010000
	s_mov_b32 s23, exec_lo
	v_cmpx_ne_u32_e32 0x7f, v49
	s_cbranch_execz .LBB261_1854
; %bb.1851:                             ;   in Loop: Header=BB261_1065 Depth=1
	v_and_b32_e32 v11, 7, v3
	v_lshrrev_b32_e32 v12, 3, v49
	s_mov_b32 s24, exec_lo
	v_cmpx_gt_u32_e32 8, v49
; %bb.1852:                             ;   in Loop: Header=BB261_1065 Depth=1
	v_ffbh_u32_e32 v11, v11
	v_min_u32_e32 v37, 32, v11
	v_subrev_nc_u32_e32 v11, 28, v37
	v_lshlrev_b64 v[11:12], v11, v[3:4]
	v_sub_nc_u32_e32 v12, 29, v37
	v_and_b32_e32 v11, 7, v11
; %bb.1853:                             ;   in Loop: Header=BB261_1065 Depth=1
	s_or_b32 exec_lo, exec_lo, s24
	v_lshlrev_b32_e32 v3, 8, v3
	v_lshl_add_u32 v12, v12, 10, 0x2000
	v_lshlrev_b32_e32 v11, 23, v11
	v_and_or_b32 v3, 0x8000, v3, v12
	v_lshl_or_b32 v11, v3, 16, v11
.LBB261_1854:                           ;   in Loop: Header=BB261_1065 Depth=1
	s_or_b32 exec_lo, exec_lo, s23
.LBB261_1855:                           ;   in Loop: Header=BB261_1065 Depth=1
	s_or_b32 exec_lo, exec_lo, s22
.LBB261_1856:                           ;   in Loop: Header=BB261_1065 Depth=1
	s_or_b32 exec_lo, exec_lo, s21
	v_or_b32_e32 v3, v33, v35
	s_waitcnt vmcnt(0) lgkmcnt(0)
	v_fma_mixlo_f16 v12, v23, v33, 0 op_sel:[0,1,0] op_sel_hi:[0,1,0]
	v_or_b32_e32 v31, v30, v31
	v_or_b32_e32 v33, v38, v36
	v_or_b32_e32 v22, v11, v22
	v_fma_mixlo_f16 v35, v23, v3, 0 op_sel_hi:[0,1,0]
	v_fma_mixlo_f16 v30, v23, v30, 0 op_sel:[0,1,0] op_sel_hi:[0,1,0]
	v_lshlrev_b32_e32 v3, 16, v12
	v_fma_mixlo_f16 v31, v23, v31, 0 op_sel_hi:[0,1,0]
	v_fma_mixlo_f16 v33, v23, v33, 0 op_sel_hi:[0,1,0]
	v_and_b32_e32 v12, 0xffff, v35
	v_fma_mixlo_f16 v35, v23, v38, 0 op_sel:[0,1,0] op_sel_hi:[0,1,0]
	v_fma_mixlo_f16 v11, v23, v11, 0 op_sel:[0,1,0] op_sel_hi:[0,1,0]
	v_fma_mixlo_f16 v23, v23, v22, 0 op_sel_hi:[0,1,0]
	v_lshlrev_b32_e32 v30, 16, v30
	v_and_b32_e32 v49, 0xffff, v31
	v_lshlrev_b32_e32 v22, 16, v35
	v_and_b32_e32 v33, 0xffff, v33
	;; [unrolled: 2-line block ×3, first 2 shown]
	v_or_b32_e32 v31, v3, v12
	v_or_b32_e32 v38, v30, v49
	;; [unrolled: 1-line block ×4, first 2 shown]
	s_and_saveexec_b32 s21, vcc_lo
	s_cbranch_execz .LBB261_1858
; %bb.1857:                             ;   in Loop: Header=BB261_1065 Depth=1
	v_cmp_lt_i32_e64 s5, v71, v32
	v_cndmask_b32_e64 v31, 0, v49, s5
	v_cmp_lt_i32_e64 s5, v100, v32
	v_cndmask_b32_e64 v30, 0, v30, s5
	v_cmp_lt_i32_e64 s5, v99, v32
	v_or_b32_e32 v38, v31, v30
	v_cndmask_b32_e64 v12, 0, v12, s5
	v_cmp_lt_i32_e64 s5, v98, v32
	v_cndmask_b32_e64 v3, 0, v3, s5
	v_cmp_lt_i32_e64 s5, v97, v32
	v_or_b32_e32 v31, v12, v3
	;; [unrolled: 5-line block ×3, first 2 shown]
	v_cndmask_b32_e64 v23, 0, v23, s5
	v_cmp_lt_i32_e64 s5, v86, v32
	v_cndmask_b32_e64 v11, 0, v11, s5
	v_or_b32_e32 v35, v23, v11
.LBB261_1858:                           ;   in Loop: Header=BB261_1065 Depth=1
	s_or_b32 exec_lo, exec_lo, s21
	;;#ASMSTART
	v_pk_mul_f16 v3, v85, v38;

	;;#ASMEND
	;;#ASMSTART
	v_pk_mul_f16 v11, v84, v31;

	;;#ASMEND
	;; [unrolled: 4-line block ×4, first 2 shown]
	;;#ASMSTART
	v_pk_add_f16 v3, v3, v11;

	;;#ASMEND
	;;#ASMSTART
	v_pk_add_f16 v3, v3, v12;

	;;#ASMEND
	;;#ASMSTART
	v_pk_add_f16 v3, v3, v22;

	;;#ASMEND
	v_and_b32_e32 v11, 0xffff, v3
	v_lshrrev_b32_e32 v3, 16, v3
	;;#ASMSTART
	v_cvt_f32_f16 v30, v11;
	;;#ASMEND
	;;#ASMSTART
	v_cvt_f32_f16 v31, v3;
	;;#ASMEND
	flat_load_dwordx2 v[11:12], v[9:10] offset:1024
	flat_load_dword v23, v[72:73]
	v_mov_b32_e32 v33, 0
	v_mov_b32_e32 v35, 0
	s_waitcnt vmcnt(1) lgkmcnt(1)
	v_cmp_ne_u16_sdwa s5, v11, v4 src0_sel:BYTE_0 src1_sel:DWORD
	s_and_saveexec_b32 s21, s5
	s_cbranch_execz .LBB261_1866
; %bb.1859:                             ;   in Loop: Header=BB261_1065 Depth=1
	v_cmp_ne_u16_sdwa s5, v11, v48 src0_sel:BYTE_0 src1_sel:DWORD
	v_mov_b32_e32 v35, 0x8000
	s_and_saveexec_b32 s22, s5
	s_cbranch_execz .LBB261_1865
; %bb.1860:                             ;   in Loop: Header=BB261_1065 Depth=1
	v_and_b32_e32 v36, 0x7f, v11
	v_mov_b32_e32 v35, 0x7c01
	s_mov_b32 s23, exec_lo
	v_cmpx_ne_u32_e32 0x7f, v36
	s_cbranch_execz .LBB261_1864
; %bb.1861:                             ;   in Loop: Header=BB261_1065 Depth=1
	v_and_b32_e32 v3, 7, v11
	v_lshrrev_b32_e32 v22, 3, v36
	s_mov_b32 s24, exec_lo
	v_cmpx_gt_u32_e32 8, v36
; %bb.1862:                             ;   in Loop: Header=BB261_1065 Depth=1
	v_ffbh_u32_e32 v3, v3
	v_min_u32_e32 v3, 32, v3
	v_subrev_nc_u32_e32 v22, 28, v3
	v_lshlrev_b64 v[35:36], v22, v[11:12]
	v_sub_nc_u32_e32 v22, 29, v3
	v_and_b32_e32 v3, 7, v35
; %bb.1863:                             ;   in Loop: Header=BB261_1065 Depth=1
	s_or_b32 exec_lo, exec_lo, s24
	v_lshlrev_b32_e32 v35, 8, v11
	v_lshl_add_u32 v22, v22, 10, 0x2000
	v_lshlrev_b32_e32 v3, 7, v3
	v_and_b32_e32 v35, 0x8000, v35
	v_and_b32_e32 v22, 0xfc00, v22
	v_or3_b32 v35, v35, v22, v3
.LBB261_1864:                           ;   in Loop: Header=BB261_1065 Depth=1
	s_or_b32 exec_lo, exec_lo, s23
.LBB261_1865:                           ;   in Loop: Header=BB261_1065 Depth=1
	s_or_b32 exec_lo, exec_lo, s22
.LBB261_1866:                           ;   in Loop: Header=BB261_1065 Depth=1
	s_or_b32 exec_lo, exec_lo, s21
	v_lshrrev_b16 v3, 8, v11
	s_mov_b32 s21, exec_lo
	v_cmpx_ne_u16_e32 0, v3
	s_cbranch_execz .LBB261_1874
; %bb.1867:                             ;   in Loop: Header=BB261_1065 Depth=1
	v_bfrev_b32_e32 v33, 1
	s_mov_b32 s22, exec_lo
	v_cmpx_ne_u16_e32 0x80, v3
	s_cbranch_execz .LBB261_1873
; %bb.1868:                             ;   in Loop: Header=BB261_1065 Depth=1
	v_and_b32_sdwa v36, v3, v34 dst_sel:DWORD dst_unused:UNUSED_PAD src0_sel:WORD_0 src1_sel:DWORD
	v_mov_b32_e32 v33, 0x7c010000
	s_mov_b32 s23, exec_lo
	v_cmpx_ne_u32_e32 0x7f, v36
	s_cbranch_execz .LBB261_1872
; %bb.1869:                             ;   in Loop: Header=BB261_1065 Depth=1
	v_and_b32_sdwa v22, v3, v67 dst_sel:DWORD dst_unused:UNUSED_PAD src0_sel:WORD_0 src1_sel:DWORD
	v_lshrrev_b32_e32 v33, 3, v36
	s_mov_b32 s24, exec_lo
	v_cmpx_gt_u32_e32 8, v36
; %bb.1870:                             ;   in Loop: Header=BB261_1065 Depth=1
	v_ffbh_u32_e32 v22, v22
	v_min_u32_e32 v22, 32, v22
	v_subrev_nc_u32_e32 v33, 28, v22
	v_lshlrev_b64 v[36:37], v33, v[3:4]
	v_sub_nc_u32_e32 v33, 29, v22
	v_and_b32_e32 v22, 7, v36
; %bb.1871:                             ;   in Loop: Header=BB261_1065 Depth=1
	s_or_b32 exec_lo, exec_lo, s24
	v_lshlrev_b32_sdwa v3, v68, v3 dst_sel:DWORD dst_unused:UNUSED_PAD src0_sel:DWORD src1_sel:WORD_0
	v_lshl_add_u32 v33, v33, 10, 0x2000
	v_lshlrev_b32_e32 v22, 23, v22
	v_and_or_b32 v3, 0x8000, v3, v33
	v_lshl_or_b32 v33, v3, 16, v22
.LBB261_1872:                           ;   in Loop: Header=BB261_1065 Depth=1
	s_or_b32 exec_lo, exec_lo, s23
.LBB261_1873:                           ;   in Loop: Header=BB261_1065 Depth=1
	s_or_b32 exec_lo, exec_lo, s22
.LBB261_1874:                           ;   in Loop: Header=BB261_1065 Depth=1
	s_or_b32 exec_lo, exec_lo, s21
	v_lshrrev_b32_e32 v3, 16, v11
	v_mov_b32_e32 v36, 0
	v_mov_b32_e32 v38, 0
	v_cmp_ne_u16_sdwa s5, v3, v4 src0_sel:BYTE_0 src1_sel:DWORD
	s_and_saveexec_b32 s21, s5
	s_cbranch_execz .LBB261_1882
; %bb.1875:                             ;   in Loop: Header=BB261_1065 Depth=1
	v_cmp_ne_u16_sdwa s5, v3, v48 src0_sel:BYTE_0 src1_sel:DWORD
	v_mov_b32_e32 v38, 0x8000
	s_and_saveexec_b32 s22, s5
	s_cbranch_execz .LBB261_1881
; %bb.1876:                             ;   in Loop: Header=BB261_1065 Depth=1
	v_bfe_u32 v49, v11, 16, 7
	v_mov_b32_e32 v38, 0x7c01
	s_mov_b32 s23, exec_lo
	v_cmpx_ne_u32_e32 0x7f, v49
	s_cbranch_execz .LBB261_1880
; %bb.1877:                             ;   in Loop: Header=BB261_1065 Depth=1
	v_and_b32_e32 v22, 7, v3
	v_lshrrev_b32_e32 v38, 3, v49
	s_mov_b32 s24, exec_lo
	v_cmpx_gt_u32_e32 8, v49
; %bb.1878:                             ;   in Loop: Header=BB261_1065 Depth=1
	v_ffbh_u32_e32 v22, v22
	v_min_u32_e32 v22, 32, v22
	v_subrev_nc_u32_e32 v37, 28, v22
	v_lshlrev_b64 v[37:38], v37, v[3:4]
	v_sub_nc_u32_e32 v38, 29, v22
	v_and_b32_e32 v22, 7, v37
; %bb.1879:                             ;   in Loop: Header=BB261_1065 Depth=1
	s_or_b32 exec_lo, exec_lo, s24
	v_lshlrev_b32_e32 v3, 8, v3
	v_lshl_add_u32 v37, v38, 10, 0x2000
	v_lshlrev_b32_e32 v22, 7, v22
	v_and_b32_e32 v3, 0x8000, v3
	v_and_b32_e32 v37, 0xfc00, v37
	v_or3_b32 v38, v3, v37, v22
.LBB261_1880:                           ;   in Loop: Header=BB261_1065 Depth=1
	s_or_b32 exec_lo, exec_lo, s23
.LBB261_1881:                           ;   in Loop: Header=BB261_1065 Depth=1
	s_or_b32 exec_lo, exec_lo, s22
.LBB261_1882:                           ;   in Loop: Header=BB261_1065 Depth=1
	s_or_b32 exec_lo, exec_lo, s21
	s_mov_b32 s21, exec_lo
	v_cmpx_lt_u32_e32 0xffffff, v11
	s_cbranch_execz .LBB261_1890
; %bb.1883:                             ;   in Loop: Header=BB261_1065 Depth=1
	v_lshrrev_b32_e32 v3, 24, v11
	v_bfrev_b32_e32 v36, 1
	s_mov_b32 s22, exec_lo
	v_cmpx_ne_u32_e32 0x80, v3
	s_cbranch_execz .LBB261_1889
; %bb.1884:                             ;   in Loop: Header=BB261_1065 Depth=1
	v_and_b32_e32 v49, 0x7f, v3
	v_mov_b32_e32 v36, 0x7c010000
	s_mov_b32 s23, exec_lo
	v_cmpx_ne_u32_e32 0x7f, v49
	s_cbranch_execz .LBB261_1888
; %bb.1885:                             ;   in Loop: Header=BB261_1065 Depth=1
	v_and_b32_e32 v22, 7, v3
	v_lshrrev_b32_e32 v36, 3, v49
	s_mov_b32 s24, exec_lo
	v_cmpx_gt_u32_e32 8, v49
; %bb.1886:                             ;   in Loop: Header=BB261_1065 Depth=1
	v_ffbh_u32_e32 v22, v22
	v_min_u32_e32 v22, 32, v22
	v_subrev_nc_u32_e32 v36, 28, v22
	v_lshlrev_b64 v[43:44], v36, v[3:4]
	v_sub_nc_u32_e32 v36, 29, v22
	v_and_b32_e32 v22, 7, v43
; %bb.1887:                             ;   in Loop: Header=BB261_1065 Depth=1
	s_or_b32 exec_lo, exec_lo, s24
	v_lshlrev_b32_e32 v3, 8, v3
	v_lshl_add_u32 v36, v36, 10, 0x2000
	v_lshlrev_b32_e32 v22, 23, v22
	v_and_or_b32 v3, 0x8000, v3, v36
	v_lshl_or_b32 v36, v3, 16, v22
.LBB261_1888:                           ;   in Loop: Header=BB261_1065 Depth=1
	s_or_b32 exec_lo, exec_lo, s23
.LBB261_1889:                           ;   in Loop: Header=BB261_1065 Depth=1
	s_or_b32 exec_lo, exec_lo, s22
.LBB261_1890:                           ;   in Loop: Header=BB261_1065 Depth=1
	s_or_b32 exec_lo, exec_lo, s21
	v_mov_b32_e32 v3, v12
	v_cmp_ne_u16_sdwa s5, v12, v4 src0_sel:BYTE_0 src1_sel:DWORD
	v_mov_b32_e32 v22, 0
	v_mov_b32_e32 v49, 0
	s_and_saveexec_b32 s21, s5
	s_cbranch_execz .LBB261_1898
; %bb.1891:                             ;   in Loop: Header=BB261_1065 Depth=1
	v_cmp_ne_u16_sdwa s5, v12, v48 src0_sel:BYTE_0 src1_sel:DWORD
	v_mov_b32_e32 v49, 0x8000
	s_and_saveexec_b32 s22, s5
	s_cbranch_execz .LBB261_1897
; %bb.1892:                             ;   in Loop: Header=BB261_1065 Depth=1
	v_and_b32_e32 v44, 0x7f, v12
	v_mov_b32_e32 v49, 0x7c01
	s_mov_b32 s23, exec_lo
	v_cmpx_ne_u32_e32 0x7f, v44
	s_cbranch_execz .LBB261_1896
; %bb.1893:                             ;   in Loop: Header=BB261_1065 Depth=1
	v_and_b32_e32 v49, 7, v12
	v_lshrrev_b32_e32 v43, 3, v44
	s_mov_b32 s24, exec_lo
	v_cmpx_gt_u32_e32 8, v44
; %bb.1894:                             ;   in Loop: Header=BB261_1065 Depth=1
	v_ffbh_u32_e32 v37, v49
	v_min_u32_e32 v37, 32, v37
	v_subrev_nc_u32_e32 v49, 28, v37
	v_sub_nc_u32_e32 v43, 29, v37
	v_lshlrev_b64 v[44:45], v49, v[3:4]
	v_and_b32_e32 v49, 7, v44
; %bb.1895:                             ;   in Loop: Header=BB261_1065 Depth=1
	s_or_b32 exec_lo, exec_lo, s24
	v_lshlrev_b32_e32 v37, 8, v12
	v_lshl_add_u32 v43, v43, 10, 0x2000
	v_lshlrev_b32_e32 v49, 7, v49
	v_and_b32_e32 v37, 0x8000, v37
	v_and_b32_e32 v43, 0xfc00, v43
	v_or3_b32 v49, v37, v43, v49
.LBB261_1896:                           ;   in Loop: Header=BB261_1065 Depth=1
	s_or_b32 exec_lo, exec_lo, s23
.LBB261_1897:                           ;   in Loop: Header=BB261_1065 Depth=1
	s_or_b32 exec_lo, exec_lo, s22
.LBB261_1898:                           ;   in Loop: Header=BB261_1065 Depth=1
	s_or_b32 exec_lo, exec_lo, s21
	v_lshrrev_b16 v3, 8, v3
	v_mov_b32_e32 v43, 0
	s_mov_b32 s21, exec_lo
	v_cmpx_ne_u16_e32 0, v3
	s_cbranch_execz .LBB261_1906
; %bb.1899:                             ;   in Loop: Header=BB261_1065 Depth=1
	v_bfrev_b32_e32 v43, 1
	s_mov_b32 s22, exec_lo
	v_cmpx_ne_u16_e32 0x80, v3
	s_cbranch_execz .LBB261_1905
; %bb.1900:                             ;   in Loop: Header=BB261_1065 Depth=1
	v_and_b32_sdwa v45, v3, v34 dst_sel:DWORD dst_unused:UNUSED_PAD src0_sel:WORD_0 src1_sel:DWORD
	v_mov_b32_e32 v43, 0x7c010000
	s_mov_b32 s23, exec_lo
	v_cmpx_ne_u32_e32 0x7f, v45
	s_cbranch_execz .LBB261_1904
; %bb.1901:                             ;   in Loop: Header=BB261_1065 Depth=1
	v_and_b32_sdwa v43, v3, v67 dst_sel:DWORD dst_unused:UNUSED_PAD src0_sel:WORD_0 src1_sel:DWORD
	v_lshrrev_b32_e32 v44, 3, v45
	s_mov_b32 s24, exec_lo
	v_cmpx_gt_u32_e32 8, v45
; %bb.1902:                             ;   in Loop: Header=BB261_1065 Depth=1
	v_ffbh_u32_e32 v37, v43
	v_min_u32_e32 v37, 32, v37
	v_subrev_nc_u32_e32 v43, 28, v37
	v_lshlrev_b64 v[43:44], v43, v[3:4]
	v_sub_nc_u32_e32 v44, 29, v37
	v_and_b32_e32 v43, 7, v43
; %bb.1903:                             ;   in Loop: Header=BB261_1065 Depth=1
	s_or_b32 exec_lo, exec_lo, s24
	v_lshlrev_b32_sdwa v3, v68, v3 dst_sel:DWORD dst_unused:UNUSED_PAD src0_sel:DWORD src1_sel:WORD_0
	v_lshl_add_u32 v37, v44, 10, 0x2000
	v_and_or_b32 v3, 0x8000, v3, v37
	v_lshlrev_b32_e32 v37, 23, v43
	v_lshl_or_b32 v43, v3, 16, v37
.LBB261_1904:                           ;   in Loop: Header=BB261_1065 Depth=1
	s_or_b32 exec_lo, exec_lo, s23
.LBB261_1905:                           ;   in Loop: Header=BB261_1065 Depth=1
	s_or_b32 exec_lo, exec_lo, s22
.LBB261_1906:                           ;   in Loop: Header=BB261_1065 Depth=1
	s_or_b32 exec_lo, exec_lo, s21
	v_lshrrev_b32_e32 v3, 16, v12
	v_cmp_ne_u16_sdwa s5, v3, v4 src0_sel:BYTE_0 src1_sel:DWORD
	s_and_saveexec_b32 s21, s5
	s_cbranch_execz .LBB261_1914
; %bb.1907:                             ;   in Loop: Header=BB261_1065 Depth=1
	v_cmp_ne_u16_sdwa s5, v3, v48 src0_sel:BYTE_0 src1_sel:DWORD
	v_mov_b32_e32 v22, 0x8000
	s_and_saveexec_b32 s22, s5
	s_cbranch_execz .LBB261_1913
; %bb.1908:                             ;   in Loop: Header=BB261_1065 Depth=1
	v_bfe_u32 v45, v12, 16, 7
	v_mov_b32_e32 v22, 0x7c01
	s_mov_b32 s23, exec_lo
	v_cmpx_ne_u32_e32 0x7f, v45
	s_cbranch_execz .LBB261_1912
; %bb.1909:                             ;   in Loop: Header=BB261_1065 Depth=1
	v_and_b32_e32 v22, 7, v3
	v_lshrrev_b32_e32 v44, 3, v45
	s_mov_b32 s24, exec_lo
	v_cmpx_gt_u32_e32 8, v45
; %bb.1910:                             ;   in Loop: Header=BB261_1065 Depth=1
	v_ffbh_u32_e32 v22, v22
	v_min_u32_e32 v22, 32, v22
	v_subrev_nc_u32_e32 v37, 28, v22
	v_sub_nc_u32_e32 v44, 29, v22
	v_lshlrev_b64 v[45:46], v37, v[3:4]
	v_and_b32_e32 v22, 7, v45
; %bb.1911:                             ;   in Loop: Header=BB261_1065 Depth=1
	s_or_b32 exec_lo, exec_lo, s24
	v_lshlrev_b32_e32 v3, 8, v3
	v_lshl_add_u32 v37, v44, 10, 0x2000
	v_lshlrev_b32_e32 v22, 7, v22
	v_and_b32_e32 v3, 0x8000, v3
	v_and_b32_e32 v37, 0xfc00, v37
	v_or3_b32 v22, v3, v37, v22
.LBB261_1912:                           ;   in Loop: Header=BB261_1065 Depth=1
	s_or_b32 exec_lo, exec_lo, s23
.LBB261_1913:                           ;   in Loop: Header=BB261_1065 Depth=1
	s_or_b32 exec_lo, exec_lo, s22
.LBB261_1914:                           ;   in Loop: Header=BB261_1065 Depth=1
	s_or_b32 exec_lo, exec_lo, s21
	v_cmp_lt_u64_e64 s5, s[6:7], v[11:12]
	v_mov_b32_e32 v11, 0
	s_and_saveexec_b32 s21, s5
	s_cbranch_execz .LBB261_1922
; %bb.1915:                             ;   in Loop: Header=BB261_1065 Depth=1
	v_lshrrev_b32_e32 v3, 24, v12
	v_bfrev_b32_e32 v11, 1
	s_mov_b32 s22, exec_lo
	v_cmpx_ne_u32_e32 0x80, v3
	s_cbranch_execz .LBB261_1921
; %bb.1916:                             ;   in Loop: Header=BB261_1065 Depth=1
	v_and_b32_e32 v44, 0x7f, v3
	v_mov_b32_e32 v11, 0x7c010000
	s_mov_b32 s23, exec_lo
	v_cmpx_ne_u32_e32 0x7f, v44
	s_cbranch_execz .LBB261_1920
; %bb.1917:                             ;   in Loop: Header=BB261_1065 Depth=1
	v_and_b32_e32 v11, 7, v3
	v_lshrrev_b32_e32 v12, 3, v44
	s_mov_b32 s24, exec_lo
	v_cmpx_gt_u32_e32 8, v44
; %bb.1918:                             ;   in Loop: Header=BB261_1065 Depth=1
	v_ffbh_u32_e32 v11, v11
	v_min_u32_e32 v37, 32, v11
	v_subrev_nc_u32_e32 v11, 28, v37
	v_lshlrev_b64 v[11:12], v11, v[3:4]
	v_sub_nc_u32_e32 v12, 29, v37
	v_and_b32_e32 v11, 7, v11
; %bb.1919:                             ;   in Loop: Header=BB261_1065 Depth=1
	s_or_b32 exec_lo, exec_lo, s24
	v_lshlrev_b32_e32 v3, 8, v3
	v_lshl_add_u32 v12, v12, 10, 0x2000
	v_lshlrev_b32_e32 v11, 23, v11
	v_and_or_b32 v3, 0x8000, v3, v12
	v_lshl_or_b32 v11, v3, 16, v11
.LBB261_1920:                           ;   in Loop: Header=BB261_1065 Depth=1
	s_or_b32 exec_lo, exec_lo, s23
.LBB261_1921:                           ;   in Loop: Header=BB261_1065 Depth=1
	s_or_b32 exec_lo, exec_lo, s22
.LBB261_1922:                           ;   in Loop: Header=BB261_1065 Depth=1
	s_or_b32 exec_lo, exec_lo, s21
	v_or_b32_e32 v3, v36, v38
	s_waitcnt vmcnt(0) lgkmcnt(0)
	v_fma_mixlo_f16 v12, v23, v36, 0 op_sel:[0,1,0] op_sel_hi:[0,1,0]
	v_or_b32_e32 v35, v33, v35
	v_or_b32_e32 v36, v43, v49
	v_or_b32_e32 v22, v11, v22
	v_fma_mixlo_f16 v37, v23, v3, 0 op_sel_hi:[0,1,0]
	v_fma_mixlo_f16 v33, v23, v33, 0 op_sel:[0,1,0] op_sel_hi:[0,1,0]
	v_lshlrev_b32_e32 v3, 16, v12
	v_fma_mixlo_f16 v35, v23, v35, 0 op_sel_hi:[0,1,0]
	v_fma_mixlo_f16 v36, v23, v36, 0 op_sel_hi:[0,1,0]
	v_and_b32_e32 v12, 0xffff, v37
	v_fma_mixlo_f16 v37, v23, v43, 0 op_sel:[0,1,0] op_sel_hi:[0,1,0]
	v_fma_mixlo_f16 v11, v23, v11, 0 op_sel:[0,1,0] op_sel_hi:[0,1,0]
	v_fma_mixlo_f16 v23, v23, v22, 0 op_sel_hi:[0,1,0]
	v_lshlrev_b32_e32 v33, 16, v33
	v_and_b32_e32 v44, 0xffff, v35
	v_lshlrev_b32_e32 v22, 16, v37
	v_and_b32_e32 v36, 0xffff, v36
	;; [unrolled: 2-line block ×3, first 2 shown]
	v_or_b32_e32 v35, v3, v12
	v_or_b32_e32 v43, v33, v44
	;; [unrolled: 1-line block ×4, first 2 shown]
	s_and_saveexec_b32 s21, vcc_lo
	s_cbranch_execz .LBB261_1924
; %bb.1923:                             ;   in Loop: Header=BB261_1065 Depth=1
	v_cmp_lt_i32_e64 s5, v71, v32
	v_cndmask_b32_e64 v35, 0, v44, s5
	v_cmp_lt_i32_e64 s5, v100, v32
	v_cndmask_b32_e64 v33, 0, v33, s5
	v_cmp_lt_i32_e64 s5, v99, v32
	v_or_b32_e32 v43, v35, v33
	v_cndmask_b32_e64 v12, 0, v12, s5
	v_cmp_lt_i32_e64 s5, v98, v32
	v_cndmask_b32_e64 v3, 0, v3, s5
	v_cmp_lt_i32_e64 s5, v97, v32
	v_or_b32_e32 v35, v12, v3
	;; [unrolled: 5-line block ×3, first 2 shown]
	v_cndmask_b32_e64 v23, 0, v23, s5
	v_cmp_lt_i32_e64 s5, v86, v32
	v_cndmask_b32_e64 v11, 0, v11, s5
	v_or_b32_e32 v38, v23, v11
.LBB261_1924:                           ;   in Loop: Header=BB261_1065 Depth=1
	s_or_b32 exec_lo, exec_lo, s21
	;;#ASMSTART
	v_pk_mul_f16 v3, v85, v43;

	;;#ASMEND
	;;#ASMSTART
	v_pk_mul_f16 v11, v84, v35;

	;;#ASMEND
	;; [unrolled: 4-line block ×4, first 2 shown]
	;;#ASMSTART
	v_pk_add_f16 v3, v3, v11;

	;;#ASMEND
	;;#ASMSTART
	v_pk_add_f16 v3, v3, v12;

	;;#ASMEND
	;; [unrolled: 4-line block ×3, first 2 shown]
	v_and_b32_e32 v11, 0xffff, v3
	v_lshrrev_b32_e32 v3, 16, v3
	;;#ASMSTART
	v_cvt_f32_f16 v33, v11;
	;;#ASMEND
	;;#ASMSTART
	v_cvt_f32_f16 v35, v3;
	;;#ASMEND
	flat_load_dwordx2 v[11:12], v[9:10] offset:1280
	flat_load_dword v23, v[72:73]
	v_mov_b32_e32 v36, 0
	v_mov_b32_e32 v38, 0
	s_waitcnt vmcnt(1) lgkmcnt(1)
	v_cmp_ne_u16_sdwa s5, v11, v4 src0_sel:BYTE_0 src1_sel:DWORD
	s_and_saveexec_b32 s21, s5
	s_cbranch_execz .LBB261_1932
; %bb.1925:                             ;   in Loop: Header=BB261_1065 Depth=1
	v_cmp_ne_u16_sdwa s5, v11, v48 src0_sel:BYTE_0 src1_sel:DWORD
	v_mov_b32_e32 v38, 0x8000
	s_and_saveexec_b32 s22, s5
	s_cbranch_execz .LBB261_1931
; %bb.1926:                             ;   in Loop: Header=BB261_1065 Depth=1
	v_and_b32_e32 v49, 0x7f, v11
	v_mov_b32_e32 v38, 0x7c01
	s_mov_b32 s23, exec_lo
	v_cmpx_ne_u32_e32 0x7f, v49
	s_cbranch_execz .LBB261_1930
; %bb.1927:                             ;   in Loop: Header=BB261_1065 Depth=1
	v_and_b32_e32 v3, 7, v11
	v_lshrrev_b32_e32 v22, 3, v49
	s_mov_b32 s24, exec_lo
	v_cmpx_gt_u32_e32 8, v49
; %bb.1928:                             ;   in Loop: Header=BB261_1065 Depth=1
	v_ffbh_u32_e32 v3, v3
	v_min_u32_e32 v3, 32, v3
	v_subrev_nc_u32_e32 v22, 28, v3
	v_lshlrev_b64 v[37:38], v22, v[11:12]
	v_sub_nc_u32_e32 v22, 29, v3
	v_and_b32_e32 v3, 7, v37
; %bb.1929:                             ;   in Loop: Header=BB261_1065 Depth=1
	s_or_b32 exec_lo, exec_lo, s24
	v_lshlrev_b32_e32 v37, 8, v11
	v_lshl_add_u32 v22, v22, 10, 0x2000
	v_lshlrev_b32_e32 v3, 7, v3
	v_and_b32_e32 v37, 0x8000, v37
	v_and_b32_e32 v22, 0xfc00, v22
	v_or3_b32 v38, v37, v22, v3
.LBB261_1930:                           ;   in Loop: Header=BB261_1065 Depth=1
	s_or_b32 exec_lo, exec_lo, s23
.LBB261_1931:                           ;   in Loop: Header=BB261_1065 Depth=1
	s_or_b32 exec_lo, exec_lo, s22
.LBB261_1932:                           ;   in Loop: Header=BB261_1065 Depth=1
	s_or_b32 exec_lo, exec_lo, s21
	v_lshrrev_b16 v3, 8, v11
	s_mov_b32 s21, exec_lo
	v_cmpx_ne_u16_e32 0, v3
	s_cbranch_execz .LBB261_1940
; %bb.1933:                             ;   in Loop: Header=BB261_1065 Depth=1
	v_bfrev_b32_e32 v36, 1
	s_mov_b32 s22, exec_lo
	v_cmpx_ne_u16_e32 0x80, v3
	s_cbranch_execz .LBB261_1939
; %bb.1934:                             ;   in Loop: Header=BB261_1065 Depth=1
	v_and_b32_sdwa v49, v3, v34 dst_sel:DWORD dst_unused:UNUSED_PAD src0_sel:WORD_0 src1_sel:DWORD
	v_mov_b32_e32 v36, 0x7c010000
	s_mov_b32 s23, exec_lo
	v_cmpx_ne_u32_e32 0x7f, v49
	s_cbranch_execz .LBB261_1938
; %bb.1935:                             ;   in Loop: Header=BB261_1065 Depth=1
	v_and_b32_sdwa v22, v3, v67 dst_sel:DWORD dst_unused:UNUSED_PAD src0_sel:WORD_0 src1_sel:DWORD
	v_lshrrev_b32_e32 v36, 3, v49
	s_mov_b32 s24, exec_lo
	v_cmpx_gt_u32_e32 8, v49
; %bb.1936:                             ;   in Loop: Header=BB261_1065 Depth=1
	v_ffbh_u32_e32 v22, v22
	v_min_u32_e32 v22, 32, v22
	v_subrev_nc_u32_e32 v36, 28, v22
	v_lshlrev_b64 v[43:44], v36, v[3:4]
	v_sub_nc_u32_e32 v36, 29, v22
	v_and_b32_e32 v22, 7, v43
; %bb.1937:                             ;   in Loop: Header=BB261_1065 Depth=1
	s_or_b32 exec_lo, exec_lo, s24
	v_lshlrev_b32_sdwa v3, v68, v3 dst_sel:DWORD dst_unused:UNUSED_PAD src0_sel:DWORD src1_sel:WORD_0
	v_lshl_add_u32 v36, v36, 10, 0x2000
	v_lshlrev_b32_e32 v22, 23, v22
	v_and_or_b32 v3, 0x8000, v3, v36
	v_lshl_or_b32 v36, v3, 16, v22
.LBB261_1938:                           ;   in Loop: Header=BB261_1065 Depth=1
	s_or_b32 exec_lo, exec_lo, s23
.LBB261_1939:                           ;   in Loop: Header=BB261_1065 Depth=1
	s_or_b32 exec_lo, exec_lo, s22
.LBB261_1940:                           ;   in Loop: Header=BB261_1065 Depth=1
	s_or_b32 exec_lo, exec_lo, s21
	v_lshrrev_b32_e32 v3, 16, v11
	v_mov_b32_e32 v49, 0
	v_mov_b32_e32 v43, 0
	v_cmp_ne_u16_sdwa s5, v3, v4 src0_sel:BYTE_0 src1_sel:DWORD
	s_and_saveexec_b32 s21, s5
	s_cbranch_execz .LBB261_1948
; %bb.1941:                             ;   in Loop: Header=BB261_1065 Depth=1
	v_cmp_ne_u16_sdwa s5, v3, v48 src0_sel:BYTE_0 src1_sel:DWORD
	v_mov_b32_e32 v43, 0x8000
	s_and_saveexec_b32 s22, s5
	s_cbranch_execz .LBB261_1947
; %bb.1942:                             ;   in Loop: Header=BB261_1065 Depth=1
	v_bfe_u32 v44, v11, 16, 7
	v_mov_b32_e32 v43, 0x7c01
	s_mov_b32 s23, exec_lo
	v_cmpx_ne_u32_e32 0x7f, v44
	s_cbranch_execz .LBB261_1946
; %bb.1943:                             ;   in Loop: Header=BB261_1065 Depth=1
	v_and_b32_e32 v22, 7, v3
	v_lshrrev_b32_e32 v43, 3, v44
	s_mov_b32 s24, exec_lo
	v_cmpx_gt_u32_e32 8, v44
; %bb.1944:                             ;   in Loop: Header=BB261_1065 Depth=1
	v_ffbh_u32_e32 v22, v22
	v_min_u32_e32 v22, 32, v22
	v_subrev_nc_u32_e32 v37, 28, v22
	v_sub_nc_u32_e32 v43, 29, v22
	v_lshlrev_b64 v[44:45], v37, v[3:4]
	v_and_b32_e32 v22, 7, v44
; %bb.1945:                             ;   in Loop: Header=BB261_1065 Depth=1
	s_or_b32 exec_lo, exec_lo, s24
	v_lshlrev_b32_e32 v3, 8, v3
	v_lshl_add_u32 v37, v43, 10, 0x2000
	v_lshlrev_b32_e32 v22, 7, v22
	v_and_b32_e32 v3, 0x8000, v3
	v_and_b32_e32 v37, 0xfc00, v37
	v_or3_b32 v43, v3, v37, v22
.LBB261_1946:                           ;   in Loop: Header=BB261_1065 Depth=1
	s_or_b32 exec_lo, exec_lo, s23
.LBB261_1947:                           ;   in Loop: Header=BB261_1065 Depth=1
	s_or_b32 exec_lo, exec_lo, s22
.LBB261_1948:                           ;   in Loop: Header=BB261_1065 Depth=1
	s_or_b32 exec_lo, exec_lo, s21
	s_mov_b32 s21, exec_lo
	v_cmpx_lt_u32_e32 0xffffff, v11
	s_cbranch_execz .LBB261_1956
; %bb.1949:                             ;   in Loop: Header=BB261_1065 Depth=1
	v_lshrrev_b32_e32 v3, 24, v11
	v_bfrev_b32_e32 v49, 1
	s_mov_b32 s22, exec_lo
	v_cmpx_ne_u32_e32 0x80, v3
	s_cbranch_execz .LBB261_1955
; %bb.1950:                             ;   in Loop: Header=BB261_1065 Depth=1
	v_and_b32_e32 v44, 0x7f, v3
	v_mov_b32_e32 v49, 0x7c010000
	s_mov_b32 s23, exec_lo
	v_cmpx_ne_u32_e32 0x7f, v44
	s_cbranch_execz .LBB261_1954
; %bb.1951:                             ;   in Loop: Header=BB261_1065 Depth=1
	v_and_b32_e32 v22, 7, v3
	v_lshrrev_b32_e32 v49, 3, v44
	s_mov_b32 s24, exec_lo
	v_cmpx_gt_u32_e32 8, v44
; %bb.1952:                             ;   in Loop: Header=BB261_1065 Depth=1
	v_ffbh_u32_e32 v22, v22
	v_min_u32_e32 v22, 32, v22
	v_subrev_nc_u32_e32 v37, 28, v22
	v_sub_nc_u32_e32 v49, 29, v22
	v_lshlrev_b64 v[44:45], v37, v[3:4]
	v_and_b32_e32 v22, 7, v44
; %bb.1953:                             ;   in Loop: Header=BB261_1065 Depth=1
	s_or_b32 exec_lo, exec_lo, s24
	v_lshlrev_b32_e32 v3, 8, v3
	v_lshl_add_u32 v37, v49, 10, 0x2000
	v_lshlrev_b32_e32 v22, 23, v22
	v_and_or_b32 v3, 0x8000, v3, v37
	v_lshl_or_b32 v49, v3, 16, v22
.LBB261_1954:                           ;   in Loop: Header=BB261_1065 Depth=1
	s_or_b32 exec_lo, exec_lo, s23
.LBB261_1955:                           ;   in Loop: Header=BB261_1065 Depth=1
	s_or_b32 exec_lo, exec_lo, s22
.LBB261_1956:                           ;   in Loop: Header=BB261_1065 Depth=1
	s_or_b32 exec_lo, exec_lo, s21
	v_mov_b32_e32 v3, v12
	v_cmp_ne_u16_sdwa s5, v12, v4 src0_sel:BYTE_0 src1_sel:DWORD
	v_mov_b32_e32 v22, 0
	v_mov_b32_e32 v44, 0
	s_and_saveexec_b32 s21, s5
	s_cbranch_execz .LBB261_1964
; %bb.1957:                             ;   in Loop: Header=BB261_1065 Depth=1
	v_cmp_ne_u16_sdwa s5, v12, v48 src0_sel:BYTE_0 src1_sel:DWORD
	v_mov_b32_e32 v44, 0x8000
	s_and_saveexec_b32 s22, s5
	s_cbranch_execz .LBB261_1963
; %bb.1958:                             ;   in Loop: Header=BB261_1065 Depth=1
	v_and_b32_e32 v46, 0x7f, v12
	v_mov_b32_e32 v44, 0x7c01
	s_mov_b32 s23, exec_lo
	v_cmpx_ne_u32_e32 0x7f, v46
	s_cbranch_execz .LBB261_1962
; %bb.1959:                             ;   in Loop: Header=BB261_1065 Depth=1
	v_and_b32_e32 v44, 7, v12
	v_lshrrev_b32_e32 v45, 3, v46
	s_mov_b32 s24, exec_lo
	v_cmpx_gt_u32_e32 8, v46
; %bb.1960:                             ;   in Loop: Header=BB261_1065 Depth=1
	v_ffbh_u32_e32 v37, v44
	v_min_u32_e32 v37, 32, v37
	v_subrev_nc_u32_e32 v44, 28, v37
	v_lshlrev_b64 v[44:45], v44, v[3:4]
	v_sub_nc_u32_e32 v45, 29, v37
	v_and_b32_e32 v44, 7, v44
; %bb.1961:                             ;   in Loop: Header=BB261_1065 Depth=1
	s_or_b32 exec_lo, exec_lo, s24
	v_lshlrev_b32_e32 v37, 8, v12
	v_lshl_add_u32 v45, v45, 10, 0x2000
	v_lshlrev_b32_e32 v44, 7, v44
	v_and_b32_e32 v37, 0x8000, v37
	v_and_b32_e32 v45, 0xfc00, v45
	v_or3_b32 v44, v37, v45, v44
.LBB261_1962:                           ;   in Loop: Header=BB261_1065 Depth=1
	s_or_b32 exec_lo, exec_lo, s23
.LBB261_1963:                           ;   in Loop: Header=BB261_1065 Depth=1
	s_or_b32 exec_lo, exec_lo, s22
.LBB261_1964:                           ;   in Loop: Header=BB261_1065 Depth=1
	s_or_b32 exec_lo, exec_lo, s21
	v_lshrrev_b16 v3, 8, v3
	v_mov_b32_e32 v45, 0
	s_mov_b32 s21, exec_lo
	v_cmpx_ne_u16_e32 0, v3
	s_cbranch_execz .LBB261_1972
; %bb.1965:                             ;   in Loop: Header=BB261_1065 Depth=1
	v_bfrev_b32_e32 v45, 1
	s_mov_b32 s22, exec_lo
	v_cmpx_ne_u16_e32 0x80, v3
	s_cbranch_execz .LBB261_1971
; %bb.1966:                             ;   in Loop: Header=BB261_1065 Depth=1
	v_and_b32_sdwa v47, v3, v34 dst_sel:DWORD dst_unused:UNUSED_PAD src0_sel:WORD_0 src1_sel:DWORD
	v_mov_b32_e32 v45, 0x7c010000
	s_mov_b32 s23, exec_lo
	v_cmpx_ne_u32_e32 0x7f, v47
	s_cbranch_execz .LBB261_1970
; %bb.1967:                             ;   in Loop: Header=BB261_1065 Depth=1
	v_and_b32_sdwa v45, v3, v67 dst_sel:DWORD dst_unused:UNUSED_PAD src0_sel:WORD_0 src1_sel:DWORD
	v_lshrrev_b32_e32 v46, 3, v47
	s_mov_b32 s24, exec_lo
	v_cmpx_gt_u32_e32 8, v47
; %bb.1968:                             ;   in Loop: Header=BB261_1065 Depth=1
	v_ffbh_u32_e32 v37, v45
	v_min_u32_e32 v37, 32, v37
	v_subrev_nc_u32_e32 v45, 28, v37
	v_lshlrev_b64 v[45:46], v45, v[3:4]
	v_sub_nc_u32_e32 v46, 29, v37
	v_and_b32_e32 v45, 7, v45
; %bb.1969:                             ;   in Loop: Header=BB261_1065 Depth=1
	s_or_b32 exec_lo, exec_lo, s24
	v_lshlrev_b32_sdwa v3, v68, v3 dst_sel:DWORD dst_unused:UNUSED_PAD src0_sel:DWORD src1_sel:WORD_0
	v_lshl_add_u32 v37, v46, 10, 0x2000
	v_and_or_b32 v3, 0x8000, v3, v37
	v_lshlrev_b32_e32 v37, 23, v45
	v_lshl_or_b32 v45, v3, 16, v37
.LBB261_1970:                           ;   in Loop: Header=BB261_1065 Depth=1
	s_or_b32 exec_lo, exec_lo, s23
.LBB261_1971:                           ;   in Loop: Header=BB261_1065 Depth=1
	s_or_b32 exec_lo, exec_lo, s22
.LBB261_1972:                           ;   in Loop: Header=BB261_1065 Depth=1
	s_or_b32 exec_lo, exec_lo, s21
	v_lshrrev_b32_e32 v3, 16, v12
	v_cmp_ne_u16_sdwa s5, v3, v4 src0_sel:BYTE_0 src1_sel:DWORD
	s_and_saveexec_b32 s21, s5
	s_cbranch_execz .LBB261_1980
; %bb.1973:                             ;   in Loop: Header=BB261_1065 Depth=1
	v_cmp_ne_u16_sdwa s5, v3, v48 src0_sel:BYTE_0 src1_sel:DWORD
	v_mov_b32_e32 v22, 0x8000
	s_and_saveexec_b32 s22, s5
	s_cbranch_execz .LBB261_1979
; %bb.1974:                             ;   in Loop: Header=BB261_1065 Depth=1
	v_bfe_u32 v47, v12, 16, 7
	v_mov_b32_e32 v22, 0x7c01
	s_mov_b32 s23, exec_lo
	v_cmpx_ne_u32_e32 0x7f, v47
	s_cbranch_execz .LBB261_1978
; %bb.1975:                             ;   in Loop: Header=BB261_1065 Depth=1
	v_and_b32_e32 v22, 7, v3
	v_lshrrev_b32_e32 v46, 3, v47
	s_mov_b32 s24, exec_lo
	v_cmpx_gt_u32_e32 8, v47
; %bb.1976:                             ;   in Loop: Header=BB261_1065 Depth=1
	v_ffbh_u32_e32 v22, v22
	v_min_u32_e32 v22, 32, v22
	v_subrev_nc_u32_e32 v37, 28, v22
	v_sub_nc_u32_e32 v46, 29, v22
	v_lshlrev_b64 v[56:57], v37, v[3:4]
	v_and_b32_e32 v22, 7, v56
; %bb.1977:                             ;   in Loop: Header=BB261_1065 Depth=1
	s_or_b32 exec_lo, exec_lo, s24
	v_lshlrev_b32_e32 v3, 8, v3
	v_lshl_add_u32 v37, v46, 10, 0x2000
	v_lshlrev_b32_e32 v22, 7, v22
	v_and_b32_e32 v3, 0x8000, v3
	v_and_b32_e32 v37, 0xfc00, v37
	v_or3_b32 v22, v3, v37, v22
.LBB261_1978:                           ;   in Loop: Header=BB261_1065 Depth=1
	s_or_b32 exec_lo, exec_lo, s23
.LBB261_1979:                           ;   in Loop: Header=BB261_1065 Depth=1
	s_or_b32 exec_lo, exec_lo, s22
.LBB261_1980:                           ;   in Loop: Header=BB261_1065 Depth=1
	s_or_b32 exec_lo, exec_lo, s21
	v_cmp_lt_u64_e64 s5, s[6:7], v[11:12]
	v_mov_b32_e32 v11, 0
	s_and_saveexec_b32 s21, s5
	s_cbranch_execz .LBB261_1988
; %bb.1981:                             ;   in Loop: Header=BB261_1065 Depth=1
	v_lshrrev_b32_e32 v3, 24, v12
	v_bfrev_b32_e32 v11, 1
	s_mov_b32 s22, exec_lo
	v_cmpx_ne_u32_e32 0x80, v3
	s_cbranch_execz .LBB261_1987
; %bb.1982:                             ;   in Loop: Header=BB261_1065 Depth=1
	v_and_b32_e32 v46, 0x7f, v3
	v_mov_b32_e32 v11, 0x7c010000
	s_mov_b32 s23, exec_lo
	v_cmpx_ne_u32_e32 0x7f, v46
	s_cbranch_execz .LBB261_1986
; %bb.1983:                             ;   in Loop: Header=BB261_1065 Depth=1
	v_and_b32_e32 v11, 7, v3
	v_lshrrev_b32_e32 v12, 3, v46
	s_mov_b32 s24, exec_lo
	v_cmpx_gt_u32_e32 8, v46
; %bb.1984:                             ;   in Loop: Header=BB261_1065 Depth=1
	v_ffbh_u32_e32 v11, v11
	v_min_u32_e32 v37, 32, v11
	v_subrev_nc_u32_e32 v11, 28, v37
	v_lshlrev_b64 v[11:12], v11, v[3:4]
	v_sub_nc_u32_e32 v12, 29, v37
	v_and_b32_e32 v11, 7, v11
; %bb.1985:                             ;   in Loop: Header=BB261_1065 Depth=1
	s_or_b32 exec_lo, exec_lo, s24
	v_lshlrev_b32_e32 v3, 8, v3
	v_lshl_add_u32 v12, v12, 10, 0x2000
	v_lshlrev_b32_e32 v11, 23, v11
	v_and_or_b32 v3, 0x8000, v3, v12
	v_lshl_or_b32 v11, v3, 16, v11
.LBB261_1986:                           ;   in Loop: Header=BB261_1065 Depth=1
	s_or_b32 exec_lo, exec_lo, s23
.LBB261_1987:                           ;   in Loop: Header=BB261_1065 Depth=1
	s_or_b32 exec_lo, exec_lo, s22
.LBB261_1988:                           ;   in Loop: Header=BB261_1065 Depth=1
	s_or_b32 exec_lo, exec_lo, s21
	v_or_b32_e32 v3, v49, v43
	s_waitcnt vmcnt(0) lgkmcnt(0)
	v_fma_mixlo_f16 v12, v23, v49, 0 op_sel:[0,1,0] op_sel_hi:[0,1,0]
	v_or_b32_e32 v37, v36, v38
	v_or_b32_e32 v38, v45, v44
	;; [unrolled: 1-line block ×3, first 2 shown]
	v_fma_mixlo_f16 v49, v23, v3, 0 op_sel_hi:[0,1,0]
	v_fma_mixlo_f16 v36, v23, v36, 0 op_sel:[0,1,0] op_sel_hi:[0,1,0]
	v_lshlrev_b32_e32 v3, 16, v12
	v_fma_mixlo_f16 v37, v23, v37, 0 op_sel_hi:[0,1,0]
	v_fma_mixlo_f16 v38, v23, v38, 0 op_sel_hi:[0,1,0]
	v_and_b32_e32 v12, 0xffff, v49
	v_fma_mixlo_f16 v49, v23, v45, 0 op_sel:[0,1,0] op_sel_hi:[0,1,0]
	v_fma_mixlo_f16 v11, v23, v11, 0 op_sel:[0,1,0] op_sel_hi:[0,1,0]
	v_fma_mixlo_f16 v23, v23, v22, 0 op_sel_hi:[0,1,0]
	v_lshlrev_b32_e32 v36, 16, v36
	v_and_b32_e32 v46, 0xffff, v37
	v_lshlrev_b32_e32 v22, 16, v49
	v_and_b32_e32 v49, 0xffff, v38
	;; [unrolled: 2-line block ×3, first 2 shown]
	v_or_b32_e32 v38, v3, v12
	v_or_b32_e32 v45, v36, v46
	;; [unrolled: 1-line block ×4, first 2 shown]
	s_and_saveexec_b32 s21, vcc_lo
	s_cbranch_execz .LBB261_1990
; %bb.1989:                             ;   in Loop: Header=BB261_1065 Depth=1
	v_cmp_lt_i32_e64 s5, v71, v32
	v_cndmask_b32_e64 v37, 0, v46, s5
	v_cmp_lt_i32_e64 s5, v100, v32
	v_cndmask_b32_e64 v36, 0, v36, s5
	v_cmp_lt_i32_e64 s5, v99, v32
	v_or_b32_e32 v45, v37, v36
	v_cndmask_b32_e64 v12, 0, v12, s5
	v_cmp_lt_i32_e64 s5, v98, v32
	v_cndmask_b32_e64 v3, 0, v3, s5
	v_cmp_lt_i32_e64 s5, v97, v32
	v_or_b32_e32 v38, v12, v3
	;; [unrolled: 5-line block ×3, first 2 shown]
	v_cndmask_b32_e64 v23, 0, v23, s5
	v_cmp_lt_i32_e64 s5, v86, v32
	v_cndmask_b32_e64 v11, 0, v11, s5
	v_or_b32_e32 v43, v23, v11
.LBB261_1990:                           ;   in Loop: Header=BB261_1065 Depth=1
	s_or_b32 exec_lo, exec_lo, s21
	;;#ASMSTART
	v_pk_mul_f16 v3, v85, v45;

	;;#ASMEND
	;;#ASMSTART
	v_pk_mul_f16 v11, v84, v38;

	;;#ASMEND
	;; [unrolled: 4-line block ×4, first 2 shown]
	;;#ASMSTART
	v_pk_add_f16 v3, v3, v11;

	;;#ASMEND
	;;#ASMSTART
	v_pk_add_f16 v3, v3, v12;

	;;#ASMEND
	;;#ASMSTART
	v_pk_add_f16 v3, v3, v22;

	;;#ASMEND
	v_and_b32_e32 v11, 0xffff, v3
	v_lshrrev_b32_e32 v3, 16, v3
	;;#ASMSTART
	v_cvt_f32_f16 v36, v11;
	;;#ASMEND
	;;#ASMSTART
	v_cvt_f32_f16 v38, v3;
	;;#ASMEND
	flat_load_dwordx2 v[11:12], v[9:10] offset:1536
	flat_load_dword v23, v[72:73]
	v_mov_b32_e32 v49, 0
	v_mov_b32_e32 v43, 0
	s_waitcnt vmcnt(1) lgkmcnt(1)
	v_cmp_ne_u16_sdwa s5, v11, v4 src0_sel:BYTE_0 src1_sel:DWORD
	s_and_saveexec_b32 s21, s5
	s_cbranch_execz .LBB261_1998
; %bb.1991:                             ;   in Loop: Header=BB261_1065 Depth=1
	v_cmp_ne_u16_sdwa s5, v11, v48 src0_sel:BYTE_0 src1_sel:DWORD
	v_mov_b32_e32 v43, 0x8000
	s_and_saveexec_b32 s22, s5
	s_cbranch_execz .LBB261_1997
; %bb.1992:                             ;   in Loop: Header=BB261_1065 Depth=1
	v_and_b32_e32 v44, 0x7f, v11
	v_mov_b32_e32 v43, 0x7c01
	s_mov_b32 s23, exec_lo
	v_cmpx_ne_u32_e32 0x7f, v44
	s_cbranch_execz .LBB261_1996
; %bb.1993:                             ;   in Loop: Header=BB261_1065 Depth=1
	v_and_b32_e32 v3, 7, v11
	v_lshrrev_b32_e32 v22, 3, v44
	s_mov_b32 s24, exec_lo
	v_cmpx_gt_u32_e32 8, v44
; %bb.1994:                             ;   in Loop: Header=BB261_1065 Depth=1
	v_ffbh_u32_e32 v3, v3
	v_min_u32_e32 v3, 32, v3
	v_subrev_nc_u32_e32 v22, 28, v3
	v_lshlrev_b64 v[43:44], v22, v[11:12]
	v_sub_nc_u32_e32 v22, 29, v3
	v_and_b32_e32 v3, 7, v43
; %bb.1995:                             ;   in Loop: Header=BB261_1065 Depth=1
	s_or_b32 exec_lo, exec_lo, s24
	v_lshlrev_b32_e32 v37, 8, v11
	v_lshl_add_u32 v22, v22, 10, 0x2000
	v_lshlrev_b32_e32 v3, 7, v3
	v_and_b32_e32 v37, 0x8000, v37
	v_and_b32_e32 v22, 0xfc00, v22
	v_or3_b32 v43, v37, v22, v3
.LBB261_1996:                           ;   in Loop: Header=BB261_1065 Depth=1
	s_or_b32 exec_lo, exec_lo, s23
.LBB261_1997:                           ;   in Loop: Header=BB261_1065 Depth=1
	s_or_b32 exec_lo, exec_lo, s22
.LBB261_1998:                           ;   in Loop: Header=BB261_1065 Depth=1
	s_or_b32 exec_lo, exec_lo, s21
	v_lshrrev_b16 v3, 8, v11
	s_mov_b32 s21, exec_lo
	v_cmpx_ne_u16_e32 0, v3
	s_cbranch_execz .LBB261_2006
; %bb.1999:                             ;   in Loop: Header=BB261_1065 Depth=1
	v_bfrev_b32_e32 v49, 1
	s_mov_b32 s22, exec_lo
	v_cmpx_ne_u16_e32 0x80, v3
	s_cbranch_execz .LBB261_2005
; %bb.2000:                             ;   in Loop: Header=BB261_1065 Depth=1
	v_and_b32_sdwa v44, v3, v34 dst_sel:DWORD dst_unused:UNUSED_PAD src0_sel:WORD_0 src1_sel:DWORD
	v_mov_b32_e32 v49, 0x7c010000
	s_mov_b32 s23, exec_lo
	v_cmpx_ne_u32_e32 0x7f, v44
	s_cbranch_execz .LBB261_2004
; %bb.2001:                             ;   in Loop: Header=BB261_1065 Depth=1
	v_and_b32_sdwa v22, v3, v67 dst_sel:DWORD dst_unused:UNUSED_PAD src0_sel:WORD_0 src1_sel:DWORD
	v_lshrrev_b32_e32 v49, 3, v44
	s_mov_b32 s24, exec_lo
	v_cmpx_gt_u32_e32 8, v44
; %bb.2002:                             ;   in Loop: Header=BB261_1065 Depth=1
	v_ffbh_u32_e32 v22, v22
	v_min_u32_e32 v22, 32, v22
	v_subrev_nc_u32_e32 v37, 28, v22
	v_sub_nc_u32_e32 v49, 29, v22
	v_lshlrev_b64 v[44:45], v37, v[3:4]
	v_and_b32_e32 v22, 7, v44
; %bb.2003:                             ;   in Loop: Header=BB261_1065 Depth=1
	s_or_b32 exec_lo, exec_lo, s24
	v_lshlrev_b32_sdwa v3, v68, v3 dst_sel:DWORD dst_unused:UNUSED_PAD src0_sel:DWORD src1_sel:WORD_0
	v_lshl_add_u32 v37, v49, 10, 0x2000
	v_lshlrev_b32_e32 v22, 23, v22
	v_and_or_b32 v3, 0x8000, v3, v37
	v_lshl_or_b32 v49, v3, 16, v22
.LBB261_2004:                           ;   in Loop: Header=BB261_1065 Depth=1
	s_or_b32 exec_lo, exec_lo, s23
.LBB261_2005:                           ;   in Loop: Header=BB261_1065 Depth=1
	s_or_b32 exec_lo, exec_lo, s22
.LBB261_2006:                           ;   in Loop: Header=BB261_1065 Depth=1
	s_or_b32 exec_lo, exec_lo, s21
	v_lshrrev_b32_e32 v3, 16, v11
	v_mov_b32_e32 v44, 0
	v_mov_b32_e32 v45, 0
	v_cmp_ne_u16_sdwa s5, v3, v4 src0_sel:BYTE_0 src1_sel:DWORD
	s_and_saveexec_b32 s21, s5
	s_cbranch_execz .LBB261_2014
; %bb.2007:                             ;   in Loop: Header=BB261_1065 Depth=1
	v_cmp_ne_u16_sdwa s5, v3, v48 src0_sel:BYTE_0 src1_sel:DWORD
	v_mov_b32_e32 v45, 0x8000
	s_and_saveexec_b32 s22, s5
	s_cbranch_execz .LBB261_2013
; %bb.2008:                             ;   in Loop: Header=BB261_1065 Depth=1
	v_bfe_u32 v46, v11, 16, 7
	v_mov_b32_e32 v45, 0x7c01
	s_mov_b32 s23, exec_lo
	v_cmpx_ne_u32_e32 0x7f, v46
	s_cbranch_execz .LBB261_2012
; %bb.2009:                             ;   in Loop: Header=BB261_1065 Depth=1
	v_and_b32_e32 v22, 7, v3
	v_lshrrev_b32_e32 v45, 3, v46
	s_mov_b32 s24, exec_lo
	v_cmpx_gt_u32_e32 8, v46
; %bb.2010:                             ;   in Loop: Header=BB261_1065 Depth=1
	v_ffbh_u32_e32 v22, v22
	v_min_u32_e32 v22, 32, v22
	v_subrev_nc_u32_e32 v37, 28, v22
	v_sub_nc_u32_e32 v45, 29, v22
	v_lshlrev_b64 v[46:47], v37, v[3:4]
	v_and_b32_e32 v22, 7, v46
; %bb.2011:                             ;   in Loop: Header=BB261_1065 Depth=1
	s_or_b32 exec_lo, exec_lo, s24
	v_lshlrev_b32_e32 v3, 8, v3
	v_lshl_add_u32 v37, v45, 10, 0x2000
	v_lshlrev_b32_e32 v22, 7, v22
	v_and_b32_e32 v3, 0x8000, v3
	v_and_b32_e32 v37, 0xfc00, v37
	v_or3_b32 v45, v3, v37, v22
.LBB261_2012:                           ;   in Loop: Header=BB261_1065 Depth=1
	s_or_b32 exec_lo, exec_lo, s23
.LBB261_2013:                           ;   in Loop: Header=BB261_1065 Depth=1
	s_or_b32 exec_lo, exec_lo, s22
.LBB261_2014:                           ;   in Loop: Header=BB261_1065 Depth=1
	s_or_b32 exec_lo, exec_lo, s21
	s_mov_b32 s21, exec_lo
	v_cmpx_lt_u32_e32 0xffffff, v11
	s_cbranch_execz .LBB261_2022
; %bb.2015:                             ;   in Loop: Header=BB261_1065 Depth=1
	v_lshrrev_b32_e32 v3, 24, v11
	v_bfrev_b32_e32 v44, 1
	s_mov_b32 s22, exec_lo
	v_cmpx_ne_u32_e32 0x80, v3
	s_cbranch_execz .LBB261_2021
; %bb.2016:                             ;   in Loop: Header=BB261_1065 Depth=1
	v_and_b32_e32 v46, 0x7f, v3
	v_mov_b32_e32 v44, 0x7c010000
	s_mov_b32 s23, exec_lo
	v_cmpx_ne_u32_e32 0x7f, v46
	s_cbranch_execz .LBB261_2020
; %bb.2017:                             ;   in Loop: Header=BB261_1065 Depth=1
	v_and_b32_e32 v22, 7, v3
	v_lshrrev_b32_e32 v44, 3, v46
	s_mov_b32 s24, exec_lo
	v_cmpx_gt_u32_e32 8, v46
; %bb.2018:                             ;   in Loop: Header=BB261_1065 Depth=1
	v_ffbh_u32_e32 v22, v22
	v_min_u32_e32 v22, 32, v22
	v_subrev_nc_u32_e32 v37, 28, v22
	v_sub_nc_u32_e32 v44, 29, v22
	v_lshlrev_b64 v[46:47], v37, v[3:4]
	v_and_b32_e32 v22, 7, v46
; %bb.2019:                             ;   in Loop: Header=BB261_1065 Depth=1
	s_or_b32 exec_lo, exec_lo, s24
	v_lshlrev_b32_e32 v3, 8, v3
	v_lshl_add_u32 v37, v44, 10, 0x2000
	v_lshlrev_b32_e32 v22, 23, v22
	v_and_or_b32 v3, 0x8000, v3, v37
	v_lshl_or_b32 v44, v3, 16, v22
.LBB261_2020:                           ;   in Loop: Header=BB261_1065 Depth=1
	s_or_b32 exec_lo, exec_lo, s23
.LBB261_2021:                           ;   in Loop: Header=BB261_1065 Depth=1
	s_or_b32 exec_lo, exec_lo, s22
.LBB261_2022:                           ;   in Loop: Header=BB261_1065 Depth=1
	s_or_b32 exec_lo, exec_lo, s21
	v_mov_b32_e32 v3, v12
	v_cmp_ne_u16_sdwa s5, v12, v4 src0_sel:BYTE_0 src1_sel:DWORD
	v_mov_b32_e32 v22, 0
	v_mov_b32_e32 v46, 0
	s_and_saveexec_b32 s21, s5
	s_cbranch_execz .LBB261_2030
; %bb.2023:                             ;   in Loop: Header=BB261_1065 Depth=1
	v_cmp_ne_u16_sdwa s5, v12, v48 src0_sel:BYTE_0 src1_sel:DWORD
	v_mov_b32_e32 v46, 0x8000
	s_and_saveexec_b32 s22, s5
	s_cbranch_execz .LBB261_2029
; %bb.2024:                             ;   in Loop: Header=BB261_1065 Depth=1
	v_and_b32_e32 v56, 0x7f, v12
	v_mov_b32_e32 v46, 0x7c01
	s_mov_b32 s23, exec_lo
	v_cmpx_ne_u32_e32 0x7f, v56
	s_cbranch_execz .LBB261_2028
; %bb.2025:                             ;   in Loop: Header=BB261_1065 Depth=1
	v_and_b32_e32 v46, 7, v12
	v_lshrrev_b32_e32 v47, 3, v56
	s_mov_b32 s24, exec_lo
	v_cmpx_gt_u32_e32 8, v56
; %bb.2026:                             ;   in Loop: Header=BB261_1065 Depth=1
	v_ffbh_u32_e32 v37, v46
	v_min_u32_e32 v37, 32, v37
	v_subrev_nc_u32_e32 v46, 28, v37
	v_lshlrev_b64 v[46:47], v46, v[3:4]
	v_sub_nc_u32_e32 v47, 29, v37
	v_and_b32_e32 v46, 7, v46
; %bb.2027:                             ;   in Loop: Header=BB261_1065 Depth=1
	s_or_b32 exec_lo, exec_lo, s24
	v_lshlrev_b32_e32 v37, 8, v12
	v_lshl_add_u32 v47, v47, 10, 0x2000
	v_lshlrev_b32_e32 v46, 7, v46
	v_and_b32_e32 v37, 0x8000, v37
	v_and_b32_e32 v47, 0xfc00, v47
	v_or3_b32 v46, v37, v47, v46
.LBB261_2028:                           ;   in Loop: Header=BB261_1065 Depth=1
	s_or_b32 exec_lo, exec_lo, s23
.LBB261_2029:                           ;   in Loop: Header=BB261_1065 Depth=1
	s_or_b32 exec_lo, exec_lo, s22
.LBB261_2030:                           ;   in Loop: Header=BB261_1065 Depth=1
	s_or_b32 exec_lo, exec_lo, s21
	v_lshrrev_b16 v3, 8, v3
	v_mov_b32_e32 v47, 0
	s_mov_b32 s21, exec_lo
	v_cmpx_ne_u16_e32 0, v3
	s_cbranch_execz .LBB261_2038
; %bb.2031:                             ;   in Loop: Header=BB261_1065 Depth=1
	v_bfrev_b32_e32 v47, 1
	s_mov_b32 s22, exec_lo
	v_cmpx_ne_u16_e32 0x80, v3
	s_cbranch_execz .LBB261_2037
; %bb.2032:                             ;   in Loop: Header=BB261_1065 Depth=1
	v_and_b32_sdwa v57, v3, v34 dst_sel:DWORD dst_unused:UNUSED_PAD src0_sel:WORD_0 src1_sel:DWORD
	v_mov_b32_e32 v47, 0x7c010000
	s_mov_b32 s23, exec_lo
	v_cmpx_ne_u32_e32 0x7f, v57
	s_cbranch_execz .LBB261_2036
; %bb.2033:                             ;   in Loop: Header=BB261_1065 Depth=1
	v_and_b32_sdwa v47, v3, v67 dst_sel:DWORD dst_unused:UNUSED_PAD src0_sel:WORD_0 src1_sel:DWORD
	v_lshrrev_b32_e32 v56, 3, v57
	s_mov_b32 s24, exec_lo
	v_cmpx_gt_u32_e32 8, v57
; %bb.2034:                             ;   in Loop: Header=BB261_1065 Depth=1
	v_ffbh_u32_e32 v37, v47
	v_min_u32_e32 v37, 32, v37
	v_subrev_nc_u32_e32 v47, 28, v37
	v_sub_nc_u32_e32 v56, 29, v37
	v_lshlrev_b64 v[57:58], v47, v[3:4]
	v_and_b32_e32 v47, 7, v57
; %bb.2035:                             ;   in Loop: Header=BB261_1065 Depth=1
	s_or_b32 exec_lo, exec_lo, s24
	v_lshlrev_b32_sdwa v3, v68, v3 dst_sel:DWORD dst_unused:UNUSED_PAD src0_sel:DWORD src1_sel:WORD_0
	v_lshl_add_u32 v37, v56, 10, 0x2000
	v_and_or_b32 v3, 0x8000, v3, v37
	v_lshlrev_b32_e32 v37, 23, v47
	v_lshl_or_b32 v47, v3, 16, v37
.LBB261_2036:                           ;   in Loop: Header=BB261_1065 Depth=1
	s_or_b32 exec_lo, exec_lo, s23
.LBB261_2037:                           ;   in Loop: Header=BB261_1065 Depth=1
	s_or_b32 exec_lo, exec_lo, s22
.LBB261_2038:                           ;   in Loop: Header=BB261_1065 Depth=1
	s_or_b32 exec_lo, exec_lo, s21
	v_lshrrev_b32_e32 v3, 16, v12
	v_cmp_ne_u16_sdwa s5, v3, v4 src0_sel:BYTE_0 src1_sel:DWORD
	s_and_saveexec_b32 s21, s5
	s_cbranch_execz .LBB261_2046
; %bb.2039:                             ;   in Loop: Header=BB261_1065 Depth=1
	v_cmp_ne_u16_sdwa s5, v3, v48 src0_sel:BYTE_0 src1_sel:DWORD
	v_mov_b32_e32 v22, 0x8000
	s_and_saveexec_b32 s22, s5
	s_cbranch_execz .LBB261_2045
; %bb.2040:                             ;   in Loop: Header=BB261_1065 Depth=1
	v_bfe_u32 v57, v12, 16, 7
	v_mov_b32_e32 v22, 0x7c01
	s_mov_b32 s23, exec_lo
	v_cmpx_ne_u32_e32 0x7f, v57
	s_cbranch_execz .LBB261_2044
; %bb.2041:                             ;   in Loop: Header=BB261_1065 Depth=1
	v_and_b32_e32 v22, 7, v3
	v_lshrrev_b32_e32 v56, 3, v57
	s_mov_b32 s24, exec_lo
	v_cmpx_gt_u32_e32 8, v57
; %bb.2042:                             ;   in Loop: Header=BB261_1065 Depth=1
	v_ffbh_u32_e32 v22, v22
	v_min_u32_e32 v22, 32, v22
	v_subrev_nc_u32_e32 v37, 28, v22
	v_sub_nc_u32_e32 v56, 29, v22
	v_lshlrev_b64 v[57:58], v37, v[3:4]
	v_and_b32_e32 v22, 7, v57
; %bb.2043:                             ;   in Loop: Header=BB261_1065 Depth=1
	s_or_b32 exec_lo, exec_lo, s24
	v_lshlrev_b32_e32 v3, 8, v3
	v_lshl_add_u32 v37, v56, 10, 0x2000
	v_lshlrev_b32_e32 v22, 7, v22
	v_and_b32_e32 v3, 0x8000, v3
	v_and_b32_e32 v37, 0xfc00, v37
	v_or3_b32 v22, v3, v37, v22
.LBB261_2044:                           ;   in Loop: Header=BB261_1065 Depth=1
	s_or_b32 exec_lo, exec_lo, s23
.LBB261_2045:                           ;   in Loop: Header=BB261_1065 Depth=1
	s_or_b32 exec_lo, exec_lo, s22
.LBB261_2046:                           ;   in Loop: Header=BB261_1065 Depth=1
	s_or_b32 exec_lo, exec_lo, s21
	v_cmp_lt_u64_e64 s5, s[6:7], v[11:12]
	v_mov_b32_e32 v11, 0
	s_and_saveexec_b32 s21, s5
	s_cbranch_execz .LBB261_2054
; %bb.2047:                             ;   in Loop: Header=BB261_1065 Depth=1
	v_lshrrev_b32_e32 v3, 24, v12
	v_bfrev_b32_e32 v11, 1
	s_mov_b32 s22, exec_lo
	v_cmpx_ne_u32_e32 0x80, v3
	s_cbranch_execz .LBB261_2053
; %bb.2048:                             ;   in Loop: Header=BB261_1065 Depth=1
	v_and_b32_e32 v56, 0x7f, v3
	v_mov_b32_e32 v11, 0x7c010000
	s_mov_b32 s23, exec_lo
	v_cmpx_ne_u32_e32 0x7f, v56
	s_cbranch_execz .LBB261_2052
; %bb.2049:                             ;   in Loop: Header=BB261_1065 Depth=1
	v_and_b32_e32 v11, 7, v3
	v_lshrrev_b32_e32 v12, 3, v56
	s_mov_b32 s24, exec_lo
	v_cmpx_gt_u32_e32 8, v56
; %bb.2050:                             ;   in Loop: Header=BB261_1065 Depth=1
	v_ffbh_u32_e32 v11, v11
	v_min_u32_e32 v37, 32, v11
	v_subrev_nc_u32_e32 v11, 28, v37
	v_lshlrev_b64 v[11:12], v11, v[3:4]
	v_sub_nc_u32_e32 v12, 29, v37
	v_and_b32_e32 v11, 7, v11
; %bb.2051:                             ;   in Loop: Header=BB261_1065 Depth=1
	s_or_b32 exec_lo, exec_lo, s24
	v_lshlrev_b32_e32 v3, 8, v3
	v_lshl_add_u32 v12, v12, 10, 0x2000
	v_lshlrev_b32_e32 v11, 23, v11
	v_and_or_b32 v3, 0x8000, v3, v12
	v_lshl_or_b32 v11, v3, 16, v11
.LBB261_2052:                           ;   in Loop: Header=BB261_1065 Depth=1
	s_or_b32 exec_lo, exec_lo, s23
.LBB261_2053:                           ;   in Loop: Header=BB261_1065 Depth=1
	s_or_b32 exec_lo, exec_lo, s22
.LBB261_2054:                           ;   in Loop: Header=BB261_1065 Depth=1
	s_or_b32 exec_lo, exec_lo, s21
	v_or_b32_e32 v3, v44, v45
	s_waitcnt vmcnt(0) lgkmcnt(0)
	v_fma_mixlo_f16 v12, v23, v44, 0 op_sel:[0,1,0] op_sel_hi:[0,1,0]
	v_or_b32_e32 v37, v49, v43
	v_or_b32_e32 v43, v47, v46
	;; [unrolled: 1-line block ×3, first 2 shown]
	v_fma_mixlo_f16 v44, v23, v3, 0 op_sel_hi:[0,1,0]
	v_fma_mixlo_f16 v49, v23, v49, 0 op_sel:[0,1,0] op_sel_hi:[0,1,0]
	v_lshlrev_b32_e32 v3, 16, v12
	v_fma_mixlo_f16 v37, v23, v37, 0 op_sel_hi:[0,1,0]
	v_fma_mixlo_f16 v43, v23, v43, 0 op_sel_hi:[0,1,0]
	v_and_b32_e32 v12, 0xffff, v44
	v_fma_mixlo_f16 v44, v23, v47, 0 op_sel:[0,1,0] op_sel_hi:[0,1,0]
	v_fma_mixlo_f16 v11, v23, v11, 0 op_sel:[0,1,0] op_sel_hi:[0,1,0]
	v_fma_mixlo_f16 v23, v23, v22, 0 op_sel_hi:[0,1,0]
	v_lshlrev_b32_e32 v49, 16, v49
	v_and_b32_e32 v56, 0xffff, v37
	v_lshlrev_b32_e32 v22, 16, v44
	v_and_b32_e32 v44, 0xffff, v43
	;; [unrolled: 2-line block ×3, first 2 shown]
	v_or_b32_e32 v43, v3, v12
	v_or_b32_e32 v47, v49, v56
	;; [unrolled: 1-line block ×4, first 2 shown]
	s_and_saveexec_b32 s21, vcc_lo
	s_cbranch_execz .LBB261_2056
; %bb.2055:                             ;   in Loop: Header=BB261_1065 Depth=1
	v_cmp_lt_i32_e64 s5, v71, v32
	v_cndmask_b32_e64 v37, 0, v56, s5
	v_cmp_lt_i32_e64 s5, v100, v32
	v_cndmask_b32_e64 v49, 0, v49, s5
	v_cmp_lt_i32_e64 s5, v99, v32
	v_or_b32_e32 v47, v37, v49
	v_cndmask_b32_e64 v12, 0, v12, s5
	v_cmp_lt_i32_e64 s5, v98, v32
	v_cndmask_b32_e64 v3, 0, v3, s5
	v_cmp_lt_i32_e64 s5, v97, v32
	v_or_b32_e32 v43, v12, v3
	;; [unrolled: 5-line block ×3, first 2 shown]
	v_cndmask_b32_e64 v23, 0, v23, s5
	v_cmp_lt_i32_e64 s5, v86, v32
	v_cndmask_b32_e64 v11, 0, v11, s5
	v_or_b32_e32 v45, v23, v11
.LBB261_2056:                           ;   in Loop: Header=BB261_1065 Depth=1
	s_or_b32 exec_lo, exec_lo, s21
	;;#ASMSTART
	v_pk_mul_f16 v3, v85, v47;

	;;#ASMEND
	;;#ASMSTART
	v_pk_mul_f16 v11, v84, v43;

	;;#ASMEND
	;; [unrolled: 4-line block ×4, first 2 shown]
	;;#ASMSTART
	v_pk_add_f16 v3, v3, v11;

	;;#ASMEND
	;;#ASMSTART
	v_pk_add_f16 v3, v3, v12;

	;;#ASMEND
	;; [unrolled: 4-line block ×3, first 2 shown]
	v_and_b32_e32 v11, 0xffff, v3
	v_lshrrev_b32_e32 v3, 16, v3
	;;#ASMSTART
	v_cvt_f32_f16 v11, v11;
	;;#ASMEND
	;;#ASMSTART
	v_cvt_f32_f16 v12, v3;
	;;#ASMEND
	flat_load_dwordx2 v[9:10], v[9:10] offset:1792
	flat_load_dword v23, v[72:73]
	v_mov_b32_e32 v49, 0
	v_mov_b32_e32 v43, 0
	s_waitcnt vmcnt(1) lgkmcnt(1)
	v_cmp_ne_u16_sdwa s5, v9, v4 src0_sel:BYTE_0 src1_sel:DWORD
	s_and_saveexec_b32 s21, s5
	s_cbranch_execz .LBB261_2064
; %bb.2057:                             ;   in Loop: Header=BB261_1065 Depth=1
	v_cmp_ne_u16_sdwa s5, v9, v48 src0_sel:BYTE_0 src1_sel:DWORD
	v_mov_b32_e32 v43, 0x8000
	s_and_saveexec_b32 s22, s5
	s_cbranch_execz .LBB261_2063
; %bb.2058:                             ;   in Loop: Header=BB261_1065 Depth=1
	v_and_b32_e32 v44, 0x7f, v9
	v_mov_b32_e32 v43, 0x7c01
	s_mov_b32 s23, exec_lo
	v_cmpx_ne_u32_e32 0x7f, v44
	s_cbranch_execz .LBB261_2062
; %bb.2059:                             ;   in Loop: Header=BB261_1065 Depth=1
	v_and_b32_e32 v3, 7, v9
	v_lshrrev_b32_e32 v22, 3, v44
	s_mov_b32 s24, exec_lo
	v_cmpx_gt_u32_e32 8, v44
; %bb.2060:                             ;   in Loop: Header=BB261_1065 Depth=1
	v_ffbh_u32_e32 v3, v3
	v_min_u32_e32 v3, 32, v3
	v_subrev_nc_u32_e32 v22, 28, v3
	v_lshlrev_b64 v[43:44], v22, v[9:10]
	v_sub_nc_u32_e32 v22, 29, v3
	v_and_b32_e32 v3, 7, v43
; %bb.2061:                             ;   in Loop: Header=BB261_1065 Depth=1
	s_or_b32 exec_lo, exec_lo, s24
	v_lshlrev_b32_e32 v37, 8, v9
	v_lshl_add_u32 v22, v22, 10, 0x2000
	v_lshlrev_b32_e32 v3, 7, v3
	v_and_b32_e32 v37, 0x8000, v37
	v_and_b32_e32 v22, 0xfc00, v22
	v_or3_b32 v43, v37, v22, v3
.LBB261_2062:                           ;   in Loop: Header=BB261_1065 Depth=1
	s_or_b32 exec_lo, exec_lo, s23
.LBB261_2063:                           ;   in Loop: Header=BB261_1065 Depth=1
	s_or_b32 exec_lo, exec_lo, s22
.LBB261_2064:                           ;   in Loop: Header=BB261_1065 Depth=1
	s_or_b32 exec_lo, exec_lo, s21
	v_lshrrev_b16 v3, 8, v9
	s_mov_b32 s21, exec_lo
	v_cmpx_ne_u16_e32 0, v3
	s_cbranch_execz .LBB261_2072
; %bb.2065:                             ;   in Loop: Header=BB261_1065 Depth=1
	v_bfrev_b32_e32 v49, 1
	s_mov_b32 s22, exec_lo
	v_cmpx_ne_u16_e32 0x80, v3
	s_cbranch_execz .LBB261_2071
; %bb.2066:                             ;   in Loop: Header=BB261_1065 Depth=1
	v_and_b32_sdwa v44, v3, v34 dst_sel:DWORD dst_unused:UNUSED_PAD src0_sel:WORD_0 src1_sel:DWORD
	v_mov_b32_e32 v49, 0x7c010000
	s_mov_b32 s23, exec_lo
	v_cmpx_ne_u32_e32 0x7f, v44
	s_cbranch_execz .LBB261_2070
; %bb.2067:                             ;   in Loop: Header=BB261_1065 Depth=1
	v_and_b32_sdwa v22, v3, v67 dst_sel:DWORD dst_unused:UNUSED_PAD src0_sel:WORD_0 src1_sel:DWORD
	v_lshrrev_b32_e32 v49, 3, v44
	s_mov_b32 s24, exec_lo
	v_cmpx_gt_u32_e32 8, v44
; %bb.2068:                             ;   in Loop: Header=BB261_1065 Depth=1
	v_ffbh_u32_e32 v22, v22
	v_min_u32_e32 v22, 32, v22
	v_subrev_nc_u32_e32 v37, 28, v22
	v_sub_nc_u32_e32 v49, 29, v22
	v_lshlrev_b64 v[44:45], v37, v[3:4]
	v_and_b32_e32 v22, 7, v44
; %bb.2069:                             ;   in Loop: Header=BB261_1065 Depth=1
	s_or_b32 exec_lo, exec_lo, s24
	v_lshlrev_b32_sdwa v3, v68, v3 dst_sel:DWORD dst_unused:UNUSED_PAD src0_sel:DWORD src1_sel:WORD_0
	v_lshl_add_u32 v37, v49, 10, 0x2000
	v_lshlrev_b32_e32 v22, 23, v22
	v_and_or_b32 v3, 0x8000, v3, v37
	v_lshl_or_b32 v49, v3, 16, v22
.LBB261_2070:                           ;   in Loop: Header=BB261_1065 Depth=1
	s_or_b32 exec_lo, exec_lo, s23
.LBB261_2071:                           ;   in Loop: Header=BB261_1065 Depth=1
	s_or_b32 exec_lo, exec_lo, s22
.LBB261_2072:                           ;   in Loop: Header=BB261_1065 Depth=1
	s_or_b32 exec_lo, exec_lo, s21
	v_lshrrev_b32_e32 v3, 16, v9
	v_mov_b32_e32 v44, 0
	v_mov_b32_e32 v45, 0
	v_cmp_ne_u16_sdwa s5, v3, v4 src0_sel:BYTE_0 src1_sel:DWORD
	s_and_saveexec_b32 s21, s5
	s_cbranch_execz .LBB261_2080
; %bb.2073:                             ;   in Loop: Header=BB261_1065 Depth=1
	v_cmp_ne_u16_sdwa s5, v3, v48 src0_sel:BYTE_0 src1_sel:DWORD
	v_mov_b32_e32 v45, 0x8000
	s_and_saveexec_b32 s22, s5
	s_cbranch_execz .LBB261_2079
; %bb.2074:                             ;   in Loop: Header=BB261_1065 Depth=1
	v_bfe_u32 v46, v9, 16, 7
	v_mov_b32_e32 v45, 0x7c01
	s_mov_b32 s23, exec_lo
	v_cmpx_ne_u32_e32 0x7f, v46
	s_cbranch_execz .LBB261_2078
; %bb.2075:                             ;   in Loop: Header=BB261_1065 Depth=1
	v_and_b32_e32 v22, 7, v3
	v_lshrrev_b32_e32 v45, 3, v46
	s_mov_b32 s24, exec_lo
	v_cmpx_gt_u32_e32 8, v46
; %bb.2076:                             ;   in Loop: Header=BB261_1065 Depth=1
	v_ffbh_u32_e32 v22, v22
	v_min_u32_e32 v22, 32, v22
	v_subrev_nc_u32_e32 v37, 28, v22
	v_sub_nc_u32_e32 v45, 29, v22
	v_lshlrev_b64 v[46:47], v37, v[3:4]
	v_and_b32_e32 v22, 7, v46
; %bb.2077:                             ;   in Loop: Header=BB261_1065 Depth=1
	s_or_b32 exec_lo, exec_lo, s24
	v_lshlrev_b32_e32 v3, 8, v3
	v_lshl_add_u32 v37, v45, 10, 0x2000
	v_lshlrev_b32_e32 v22, 7, v22
	v_and_b32_e32 v3, 0x8000, v3
	v_and_b32_e32 v37, 0xfc00, v37
	v_or3_b32 v45, v3, v37, v22
.LBB261_2078:                           ;   in Loop: Header=BB261_1065 Depth=1
	s_or_b32 exec_lo, exec_lo, s23
.LBB261_2079:                           ;   in Loop: Header=BB261_1065 Depth=1
	s_or_b32 exec_lo, exec_lo, s22
.LBB261_2080:                           ;   in Loop: Header=BB261_1065 Depth=1
	s_or_b32 exec_lo, exec_lo, s21
	s_mov_b32 s21, exec_lo
	v_cmpx_lt_u32_e32 0xffffff, v9
	s_cbranch_execz .LBB261_2088
; %bb.2081:                             ;   in Loop: Header=BB261_1065 Depth=1
	v_lshrrev_b32_e32 v3, 24, v9
	v_bfrev_b32_e32 v44, 1
	s_mov_b32 s22, exec_lo
	v_cmpx_ne_u32_e32 0x80, v3
	s_cbranch_execz .LBB261_2087
; %bb.2082:                             ;   in Loop: Header=BB261_1065 Depth=1
	v_and_b32_e32 v46, 0x7f, v3
	v_mov_b32_e32 v44, 0x7c010000
	s_mov_b32 s23, exec_lo
	v_cmpx_ne_u32_e32 0x7f, v46
	s_cbranch_execz .LBB261_2086
; %bb.2083:                             ;   in Loop: Header=BB261_1065 Depth=1
	v_and_b32_e32 v22, 7, v3
	v_lshrrev_b32_e32 v44, 3, v46
	s_mov_b32 s24, exec_lo
	v_cmpx_gt_u32_e32 8, v46
; %bb.2084:                             ;   in Loop: Header=BB261_1065 Depth=1
	v_ffbh_u32_e32 v22, v22
	v_min_u32_e32 v22, 32, v22
	v_subrev_nc_u32_e32 v37, 28, v22
	v_sub_nc_u32_e32 v44, 29, v22
	v_lshlrev_b64 v[46:47], v37, v[3:4]
	v_and_b32_e32 v22, 7, v46
; %bb.2085:                             ;   in Loop: Header=BB261_1065 Depth=1
	s_or_b32 exec_lo, exec_lo, s24
	v_lshlrev_b32_e32 v3, 8, v3
	v_lshl_add_u32 v37, v44, 10, 0x2000
	v_lshlrev_b32_e32 v22, 23, v22
	v_and_or_b32 v3, 0x8000, v3, v37
	v_lshl_or_b32 v44, v3, 16, v22
.LBB261_2086:                           ;   in Loop: Header=BB261_1065 Depth=1
	s_or_b32 exec_lo, exec_lo, s23
.LBB261_2087:                           ;   in Loop: Header=BB261_1065 Depth=1
	s_or_b32 exec_lo, exec_lo, s22
.LBB261_2088:                           ;   in Loop: Header=BB261_1065 Depth=1
	s_or_b32 exec_lo, exec_lo, s21
	v_mov_b32_e32 v3, v10
	v_cmp_ne_u16_sdwa s5, v10, v4 src0_sel:BYTE_0 src1_sel:DWORD
	v_mov_b32_e32 v22, 0
	v_mov_b32_e32 v46, 0
	s_and_saveexec_b32 s21, s5
	s_cbranch_execz .LBB261_2096
; %bb.2089:                             ;   in Loop: Header=BB261_1065 Depth=1
	v_cmp_ne_u16_sdwa s5, v10, v48 src0_sel:BYTE_0 src1_sel:DWORD
	v_mov_b32_e32 v46, 0x8000
	s_and_saveexec_b32 s22, s5
	s_cbranch_execz .LBB261_2095
; %bb.2090:                             ;   in Loop: Header=BB261_1065 Depth=1
	v_and_b32_e32 v56, 0x7f, v10
	v_mov_b32_e32 v46, 0x7c01
	s_mov_b32 s23, exec_lo
	v_cmpx_ne_u32_e32 0x7f, v56
	s_cbranch_execz .LBB261_2094
; %bb.2091:                             ;   in Loop: Header=BB261_1065 Depth=1
	v_and_b32_e32 v46, 7, v10
	v_lshrrev_b32_e32 v47, 3, v56
	s_mov_b32 s24, exec_lo
	v_cmpx_gt_u32_e32 8, v56
; %bb.2092:                             ;   in Loop: Header=BB261_1065 Depth=1
	v_ffbh_u32_e32 v37, v46
	v_min_u32_e32 v37, 32, v37
	v_subrev_nc_u32_e32 v46, 28, v37
	v_lshlrev_b64 v[46:47], v46, v[3:4]
	v_sub_nc_u32_e32 v47, 29, v37
	v_and_b32_e32 v46, 7, v46
; %bb.2093:                             ;   in Loop: Header=BB261_1065 Depth=1
	s_or_b32 exec_lo, exec_lo, s24
	v_lshlrev_b32_e32 v37, 8, v10
	v_lshl_add_u32 v47, v47, 10, 0x2000
	v_lshlrev_b32_e32 v46, 7, v46
	v_and_b32_e32 v37, 0x8000, v37
	v_and_b32_e32 v47, 0xfc00, v47
	v_or3_b32 v46, v37, v47, v46
.LBB261_2094:                           ;   in Loop: Header=BB261_1065 Depth=1
	s_or_b32 exec_lo, exec_lo, s23
.LBB261_2095:                           ;   in Loop: Header=BB261_1065 Depth=1
	s_or_b32 exec_lo, exec_lo, s22
.LBB261_2096:                           ;   in Loop: Header=BB261_1065 Depth=1
	s_or_b32 exec_lo, exec_lo, s21
	v_lshrrev_b16 v3, 8, v3
	v_mov_b32_e32 v47, 0
	s_mov_b32 s21, exec_lo
	v_cmpx_ne_u16_e32 0, v3
	s_cbranch_execz .LBB261_2104
; %bb.2097:                             ;   in Loop: Header=BB261_1065 Depth=1
	v_bfrev_b32_e32 v47, 1
	s_mov_b32 s22, exec_lo
	v_cmpx_ne_u16_e32 0x80, v3
	s_cbranch_execz .LBB261_2103
; %bb.2098:                             ;   in Loop: Header=BB261_1065 Depth=1
	v_and_b32_sdwa v57, v3, v34 dst_sel:DWORD dst_unused:UNUSED_PAD src0_sel:WORD_0 src1_sel:DWORD
	v_mov_b32_e32 v47, 0x7c010000
	s_mov_b32 s23, exec_lo
	v_cmpx_ne_u32_e32 0x7f, v57
	s_cbranch_execz .LBB261_2102
; %bb.2099:                             ;   in Loop: Header=BB261_1065 Depth=1
	v_and_b32_sdwa v47, v3, v67 dst_sel:DWORD dst_unused:UNUSED_PAD src0_sel:WORD_0 src1_sel:DWORD
	v_lshrrev_b32_e32 v56, 3, v57
	s_mov_b32 s24, exec_lo
	v_cmpx_gt_u32_e32 8, v57
; %bb.2100:                             ;   in Loop: Header=BB261_1065 Depth=1
	v_ffbh_u32_e32 v37, v47
	v_min_u32_e32 v37, 32, v37
	v_subrev_nc_u32_e32 v47, 28, v37
	v_sub_nc_u32_e32 v56, 29, v37
	v_lshlrev_b64 v[57:58], v47, v[3:4]
	v_and_b32_e32 v47, 7, v57
; %bb.2101:                             ;   in Loop: Header=BB261_1065 Depth=1
	s_or_b32 exec_lo, exec_lo, s24
	v_lshlrev_b32_sdwa v3, v68, v3 dst_sel:DWORD dst_unused:UNUSED_PAD src0_sel:DWORD src1_sel:WORD_0
	v_lshl_add_u32 v37, v56, 10, 0x2000
	v_and_or_b32 v3, 0x8000, v3, v37
	v_lshlrev_b32_e32 v37, 23, v47
	v_lshl_or_b32 v47, v3, 16, v37
.LBB261_2102:                           ;   in Loop: Header=BB261_1065 Depth=1
	s_or_b32 exec_lo, exec_lo, s23
.LBB261_2103:                           ;   in Loop: Header=BB261_1065 Depth=1
	s_or_b32 exec_lo, exec_lo, s22
.LBB261_2104:                           ;   in Loop: Header=BB261_1065 Depth=1
	s_or_b32 exec_lo, exec_lo, s21
	v_lshrrev_b32_e32 v3, 16, v10
	v_cmp_ne_u16_sdwa s5, v3, v4 src0_sel:BYTE_0 src1_sel:DWORD
	s_and_saveexec_b32 s21, s5
	s_cbranch_execz .LBB261_2112
; %bb.2105:                             ;   in Loop: Header=BB261_1065 Depth=1
	v_cmp_ne_u16_sdwa s5, v3, v48 src0_sel:BYTE_0 src1_sel:DWORD
	v_mov_b32_e32 v22, 0x8000
	s_and_saveexec_b32 s22, s5
	s_cbranch_execz .LBB261_2111
; %bb.2106:                             ;   in Loop: Header=BB261_1065 Depth=1
	v_bfe_u32 v57, v10, 16, 7
	v_mov_b32_e32 v22, 0x7c01
	s_mov_b32 s23, exec_lo
	v_cmpx_ne_u32_e32 0x7f, v57
	s_cbranch_execz .LBB261_2110
; %bb.2107:                             ;   in Loop: Header=BB261_1065 Depth=1
	v_and_b32_e32 v22, 7, v3
	v_lshrrev_b32_e32 v56, 3, v57
	s_mov_b32 s24, exec_lo
	v_cmpx_gt_u32_e32 8, v57
; %bb.2108:                             ;   in Loop: Header=BB261_1065 Depth=1
	v_ffbh_u32_e32 v22, v22
	v_min_u32_e32 v22, 32, v22
	v_subrev_nc_u32_e32 v37, 28, v22
	v_sub_nc_u32_e32 v56, 29, v22
	v_lshlrev_b64 v[57:58], v37, v[3:4]
	v_and_b32_e32 v22, 7, v57
; %bb.2109:                             ;   in Loop: Header=BB261_1065 Depth=1
	s_or_b32 exec_lo, exec_lo, s24
	v_lshlrev_b32_e32 v3, 8, v3
	v_lshl_add_u32 v37, v56, 10, 0x2000
	v_lshlrev_b32_e32 v22, 7, v22
	v_and_b32_e32 v3, 0x8000, v3
	v_and_b32_e32 v37, 0xfc00, v37
	v_or3_b32 v22, v3, v37, v22
.LBB261_2110:                           ;   in Loop: Header=BB261_1065 Depth=1
	s_or_b32 exec_lo, exec_lo, s23
.LBB261_2111:                           ;   in Loop: Header=BB261_1065 Depth=1
	s_or_b32 exec_lo, exec_lo, s22
.LBB261_2112:                           ;   in Loop: Header=BB261_1065 Depth=1
	s_or_b32 exec_lo, exec_lo, s21
	v_cmp_lt_u64_e64 s5, s[6:7], v[9:10]
	v_mov_b32_e32 v9, 0
	s_and_saveexec_b32 s21, s5
	s_cbranch_execz .LBB261_2120
; %bb.2113:                             ;   in Loop: Header=BB261_1065 Depth=1
	v_lshrrev_b32_e32 v3, 24, v10
	v_bfrev_b32_e32 v9, 1
	s_mov_b32 s22, exec_lo
	v_cmpx_ne_u32_e32 0x80, v3
	s_cbranch_execz .LBB261_2119
; %bb.2114:                             ;   in Loop: Header=BB261_1065 Depth=1
	v_and_b32_e32 v56, 0x7f, v3
	v_mov_b32_e32 v9, 0x7c010000
	s_mov_b32 s23, exec_lo
	v_cmpx_ne_u32_e32 0x7f, v56
	s_cbranch_execz .LBB261_2118
; %bb.2115:                             ;   in Loop: Header=BB261_1065 Depth=1
	v_and_b32_e32 v9, 7, v3
	v_lshrrev_b32_e32 v10, 3, v56
	s_mov_b32 s24, exec_lo
	v_cmpx_gt_u32_e32 8, v56
; %bb.2116:                             ;   in Loop: Header=BB261_1065 Depth=1
	v_ffbh_u32_e32 v9, v9
	v_min_u32_e32 v37, 32, v9
	v_subrev_nc_u32_e32 v9, 28, v37
	v_lshlrev_b64 v[9:10], v9, v[3:4]
	v_sub_nc_u32_e32 v10, 29, v37
	v_and_b32_e32 v9, 7, v9
; %bb.2117:                             ;   in Loop: Header=BB261_1065 Depth=1
	s_or_b32 exec_lo, exec_lo, s24
	v_lshlrev_b32_e32 v3, 8, v3
	v_lshl_add_u32 v10, v10, 10, 0x2000
	v_lshlrev_b32_e32 v9, 23, v9
	v_and_or_b32 v3, 0x8000, v3, v10
	v_lshl_or_b32 v9, v3, 16, v9
.LBB261_2118:                           ;   in Loop: Header=BB261_1065 Depth=1
	s_or_b32 exec_lo, exec_lo, s23
.LBB261_2119:                           ;   in Loop: Header=BB261_1065 Depth=1
	s_or_b32 exec_lo, exec_lo, s22
.LBB261_2120:                           ;   in Loop: Header=BB261_1065 Depth=1
	s_or_b32 exec_lo, exec_lo, s21
	v_or_b32_e32 v3, v44, v45
	s_waitcnt vmcnt(0) lgkmcnt(0)
	v_fma_mixlo_f16 v10, v23, v44, 0 op_sel:[0,1,0] op_sel_hi:[0,1,0]
	v_or_b32_e32 v37, v49, v43
	v_fma_mixlo_f16 v43, v23, v49, 0 op_sel:[0,1,0] op_sel_hi:[0,1,0]
	v_or_b32_e32 v44, v47, v46
	v_fma_mixlo_f16 v3, v23, v3, 0 op_sel_hi:[0,1,0]
	v_or_b32_e32 v22, v9, v22
	v_lshlrev_b32_e32 v49, 16, v10
	v_lshlrev_b32_e32 v46, 16, v43
	v_fma_mixlo_f16 v10, v23, v37, 0 op_sel_hi:[0,1,0]
	v_and_b32_e32 v43, 0xffff, v3
	v_fma_mixlo_f16 v3, v23, v47, 0 op_sel:[0,1,0] op_sel_hi:[0,1,0]
	v_fma_mixlo_f16 v37, v23, v44, 0 op_sel_hi:[0,1,0]
	v_fma_mixlo_f16 v9, v23, v9, 0 op_sel:[0,1,0] op_sel_hi:[0,1,0]
	v_fma_mixlo_f16 v22, v23, v22, 0 op_sel_hi:[0,1,0]
	v_and_b32_e32 v56, 0xffff, v10
	v_lshlrev_b32_e32 v44, 16, v3
	v_and_b32_e32 v47, 0xffff, v37
	v_lshlrev_b32_e32 v23, 16, v9
	v_and_b32_e32 v45, 0xffff, v22
	v_or_b32_e32 v10, v49, v43
	v_or_b32_e32 v22, v46, v56
	v_or_b32_e32 v9, v44, v47
	v_or_b32_e32 v3, v23, v45
	s_and_saveexec_b32 s5, vcc_lo
	s_cbranch_execz .LBB261_1063
; %bb.2121:                             ;   in Loop: Header=BB261_1065 Depth=1
	v_cmp_lt_i32_e32 vcc_lo, v71, v32
	v_cndmask_b32_e32 v3, 0, v56, vcc_lo
	v_cmp_lt_i32_e32 vcc_lo, v100, v32
	v_cndmask_b32_e32 v9, 0, v46, vcc_lo
	v_cmp_lt_i32_e32 vcc_lo, v99, v32
	v_or_b32_e32 v22, v3, v9
	v_cndmask_b32_e32 v10, 0, v43, vcc_lo
	v_cmp_lt_i32_e32 vcc_lo, v98, v32
	v_cndmask_b32_e32 v37, 0, v49, vcc_lo
	v_cmp_lt_i32_e32 vcc_lo, v97, v32
	v_or_b32_e32 v10, v10, v37
	;; [unrolled: 5-line block ×3, first 2 shown]
	v_cndmask_b32_e32 v87, 0, v45, vcc_lo
	v_cmp_lt_i32_e32 vcc_lo, v86, v32
	v_cndmask_b32_e32 v23, 0, v23, vcc_lo
	v_or_b32_e32 v3, v87, v23
	s_branch .LBB261_1063
.LBB261_2122:
	s_or_b32 exec_lo, exec_lo, s17
	v_mov_b32_e32 v3, s18
	v_mov_b32_e32 v4, s19
.LBB261_2123:
	s_or_b32 exec_lo, exec_lo, s13
	v_lshlrev_b64 v[0:1], 2, v[3:4]
	s_getpc_b64 s[6:7]
	s_add_u32 s6, s6, llvm.amdgcn.dynlds.offset.table@rel32@lo+4
	s_addc_u32 s7, s7, llvm.amdgcn.dynlds.offset.table@rel32@hi+12
	s_waitcnt_vscnt null, 0x0
	s_barrier
	buffer_gl0_inv
	ds_bpermute_b32 v2, v15, v64
	v_add_co_u32 v0, vcc_lo, s6, v0
	v_add_co_ci_u32_e64 v1, null, s7, v1, vcc_lo
	ds_bpermute_b32 v3, v15, v55
	ds_bpermute_b32 v4, v15, v54
	;; [unrolled: 1-line block ×3, first 2 shown]
	global_load_dword v18, v[0:1], off
	ds_bpermute_b32 v0, v15, v65
	ds_bpermute_b32 v1, v15, v66
	;; [unrolled: 1-line block ×12, first 2 shown]
	v_lshrrev_b32_e32 v19, 1, v14
	v_lshlrev_b32_e32 v22, 10, v74
	v_and_b32_e32 v35, 0x3c1, v62
	s_waitcnt lgkmcnt(15)
	v_add_f32_e32 v13, v64, v2
	s_waitcnt lgkmcnt(14)
	v_add_f32_e32 v12, v55, v3
	s_waitcnt lgkmcnt(13)
	v_add_f32_e32 v11, v54, v4
	s_waitcnt lgkmcnt(12)
	v_add_f32_e32 v10, v53, v5
	s_mov_b32 s5, exec_lo
	s_waitcnt lgkmcnt(11)
	v_add_f32_e32 v15, v65, v0
	s_waitcnt lgkmcnt(10)
	v_add_f32_e32 v14, v66, v1
	;; [unrolled: 2-line block ×12, first 2 shown]
	s_waitcnt vmcnt(0)
	v_lshl_add_u32 v17, v19, 2, v18
	v_cmpx_eq_u32_e32 64, v35
	s_cbranch_execz .LBB261_2125
; %bb.2124:
	v_add_nc_u32_e32 v16, v17, v22
	v_add_nc_u32_e32 v20, 0xfffff800, v16
	;; [unrolled: 1-line block ×7, first 2 shown]
	ds_write_b32 v20, v15
	ds_write_b32 v21, v14
	;; [unrolled: 1-line block ×6, first 2 shown]
	v_add_nc_u32_e32 v20, 0xfffff980, v16
	v_add_nc_u32_e32 v21, 0xfffff9c0, v16
	;; [unrolled: 1-line block ×5, first 2 shown]
	ds_write_b32 v20, v9
	ds_write_b32 v21, v8
	;; [unrolled: 1-line block ×5, first 2 shown]
	v_add_nc_u32_e32 v20, 0xfffffac0, v16
	v_add_nc_u32_e32 v21, 0xfffffb00, v16
	;; [unrolled: 1-line block ×5, first 2 shown]
	ds_write_b32 v20, v4
	ds_write_b32 v21, v3
	;; [unrolled: 1-line block ×5, first 2 shown]
.LBB261_2125:
	s_or_b32 exec_lo, exec_lo, s5
	v_lshlrev_b32_e32 v16, 2, v19
	v_cmp_eq_u32_e32 vcc_lo, 0, v63
	s_waitcnt lgkmcnt(0)
	s_barrier
	buffer_gl0_inv
	v_add3_u32 v16, v18, v22, v16
	s_and_saveexec_b32 s5, s4
	s_cbranch_execz .LBB261_2144
; %bb.2126:
	s_and_saveexec_b32 s4, vcc_lo
	s_cbranch_execnz .LBB261_2168
; %bb.2127:
	s_or_b32 exec_lo, exec_lo, s4
	s_and_saveexec_b32 s4, vcc_lo
	s_cbranch_execnz .LBB261_2169
.LBB261_2128:
	s_or_b32 exec_lo, exec_lo, s4
	s_and_saveexec_b32 s4, vcc_lo
	s_cbranch_execnz .LBB261_2170
.LBB261_2129:
	s_or_b32 exec_lo, exec_lo, s4
	s_and_saveexec_b32 s4, vcc_lo
	s_cbranch_execnz .LBB261_2171
.LBB261_2130:
	s_or_b32 exec_lo, exec_lo, s4
	s_and_saveexec_b32 s4, vcc_lo
	s_cbranch_execnz .LBB261_2172
.LBB261_2131:
	s_or_b32 exec_lo, exec_lo, s4
	s_and_saveexec_b32 s4, vcc_lo
	s_cbranch_execnz .LBB261_2173
.LBB261_2132:
	s_or_b32 exec_lo, exec_lo, s4
	s_and_saveexec_b32 s4, vcc_lo
	s_cbranch_execnz .LBB261_2174
.LBB261_2133:
	s_or_b32 exec_lo, exec_lo, s4
	s_and_saveexec_b32 s4, vcc_lo
	s_cbranch_execnz .LBB261_2175
.LBB261_2134:
	s_or_b32 exec_lo, exec_lo, s4
	s_and_saveexec_b32 s4, vcc_lo
	s_cbranch_execnz .LBB261_2176
.LBB261_2135:
	s_or_b32 exec_lo, exec_lo, s4
	s_and_saveexec_b32 s4, vcc_lo
	s_cbranch_execnz .LBB261_2177
.LBB261_2136:
	s_or_b32 exec_lo, exec_lo, s4
	s_and_saveexec_b32 s4, vcc_lo
	s_cbranch_execnz .LBB261_2178
.LBB261_2137:
	s_or_b32 exec_lo, exec_lo, s4
	s_and_saveexec_b32 s4, vcc_lo
	s_cbranch_execnz .LBB261_2179
.LBB261_2138:
	s_or_b32 exec_lo, exec_lo, s4
	s_and_saveexec_b32 s4, vcc_lo
	s_cbranch_execnz .LBB261_2180
.LBB261_2139:
	s_or_b32 exec_lo, exec_lo, s4
	s_and_saveexec_b32 s4, vcc_lo
	s_cbranch_execnz .LBB261_2181
.LBB261_2140:
	s_or_b32 exec_lo, exec_lo, s4
	s_and_saveexec_b32 s4, vcc_lo
	s_cbranch_execnz .LBB261_2182
.LBB261_2141:
	s_or_b32 exec_lo, exec_lo, s4
	s_and_saveexec_b32 s4, vcc_lo
	s_cbranch_execz .LBB261_2143
.LBB261_2142:
	ds_read_b32 v18, v16 offset:960
	s_waitcnt lgkmcnt(0)
	v_add_f32_e32 v0, v18, v0
.LBB261_2143:
	s_or_b32 exec_lo, exec_lo, s4
.LBB261_2144:
	s_or_b32 exec_lo, exec_lo, s5
	v_and_b32_e32 v18, 0x3e1, v62
	s_mov_b32 s5, exec_lo
	s_barrier
	buffer_gl0_inv
	v_cmpx_eq_u32_e32 32, v18
	s_cbranch_execz .LBB261_2146
; %bb.2145:
	ds_write2_b32 v17, v15, v14 offset1:16
	ds_write2_b32 v17, v13, v12 offset0:32 offset1:48
	ds_write2_b32 v17, v11, v10 offset0:64 offset1:80
	ds_write2_b32 v17, v9, v8 offset0:96 offset1:112
	ds_write2_b32 v17, v7, v6 offset0:128 offset1:144
	ds_write2_b32 v17, v5, v4 offset0:160 offset1:176
	ds_write2_b32 v17, v3, v2 offset0:192 offset1:208
	ds_write2_b32 v17, v1, v0 offset0:224 offset1:240
.LBB261_2146:
	s_or_b32 exec_lo, exec_lo, s5
	s_mov_b32 s5, exec_lo
	s_waitcnt lgkmcnt(0)
	s_barrier
	buffer_gl0_inv
	v_cmpx_gt_u32_e32 32, v62
	s_cbranch_execz .LBB261_2165
; %bb.2147:
	s_and_saveexec_b32 s4, vcc_lo
	s_cbranch_execnz .LBB261_2183
; %bb.2148:
	s_or_b32 exec_lo, exec_lo, s4
	s_and_saveexec_b32 s4, vcc_lo
	s_cbranch_execnz .LBB261_2184
.LBB261_2149:
	s_or_b32 exec_lo, exec_lo, s4
	s_and_saveexec_b32 s4, vcc_lo
	s_cbranch_execnz .LBB261_2185
.LBB261_2150:
	s_or_b32 exec_lo, exec_lo, s4
	s_and_saveexec_b32 s4, vcc_lo
	s_cbranch_execnz .LBB261_2186
.LBB261_2151:
	s_or_b32 exec_lo, exec_lo, s4
	s_and_saveexec_b32 s4, vcc_lo
	s_cbranch_execnz .LBB261_2187
.LBB261_2152:
	s_or_b32 exec_lo, exec_lo, s4
	s_and_saveexec_b32 s4, vcc_lo
	s_cbranch_execnz .LBB261_2188
.LBB261_2153:
	s_or_b32 exec_lo, exec_lo, s4
	s_and_saveexec_b32 s4, vcc_lo
	s_cbranch_execnz .LBB261_2189
.LBB261_2154:
	s_or_b32 exec_lo, exec_lo, s4
	s_and_saveexec_b32 s4, vcc_lo
	s_cbranch_execnz .LBB261_2190
.LBB261_2155:
	s_or_b32 exec_lo, exec_lo, s4
	s_and_saveexec_b32 s4, vcc_lo
	s_cbranch_execnz .LBB261_2191
.LBB261_2156:
	s_or_b32 exec_lo, exec_lo, s4
	s_and_saveexec_b32 s4, vcc_lo
	s_cbranch_execnz .LBB261_2192
.LBB261_2157:
	s_or_b32 exec_lo, exec_lo, s4
	s_and_saveexec_b32 s4, vcc_lo
	s_cbranch_execnz .LBB261_2193
.LBB261_2158:
	s_or_b32 exec_lo, exec_lo, s4
	s_and_saveexec_b32 s4, vcc_lo
	s_cbranch_execnz .LBB261_2194
.LBB261_2159:
	s_or_b32 exec_lo, exec_lo, s4
	s_and_saveexec_b32 s4, vcc_lo
	s_cbranch_execnz .LBB261_2195
.LBB261_2160:
	s_or_b32 exec_lo, exec_lo, s4
	s_and_saveexec_b32 s4, vcc_lo
	s_cbranch_execnz .LBB261_2196
.LBB261_2161:
	s_or_b32 exec_lo, exec_lo, s4
	s_and_saveexec_b32 s4, vcc_lo
	s_cbranch_execnz .LBB261_2197
.LBB261_2162:
	s_or_b32 exec_lo, exec_lo, s4
	s_and_saveexec_b32 s4, vcc_lo
	s_cbranch_execz .LBB261_2164
.LBB261_2163:
	ds_read_b32 v16, v16 offset:960
	s_waitcnt lgkmcnt(0)
	v_add_f32_e32 v0, v16, v0
.LBB261_2164:
	s_or_b32 exec_lo, exec_lo, s4
.LBB261_2165:
	s_or_b32 exec_lo, exec_lo, s5
	s_mov_b32 s4, exec_lo
	s_barrier
	buffer_gl0_inv
	v_cmpx_eq_u32_e32 0, v18
	s_cbranch_execz .LBB261_2167
; %bb.2166:
	s_and_b32 s5, 0xffff, s12
	v_lshlrev_b32_e32 v16, 1, v61
	s_cmp_lg_u32 s5, 0
	;;#ASMSTART
	v_cvt_f16_f32 v15, v15;

	;;#ASMEND
	s_cselect_b32 s5, -1, 0
	s_cmp_lg_u32 s5, 0
	s_addc_u32 s5, s15, 0
	s_lshl_b32 s6, s14, 8
	s_mul_i32 s7, s10, s5
	s_mul_i32 s8, s16, s5
	;; [unrolled: 1-line block ×3, first 2 shown]
	s_ashr_i32 s9, s8, 31
	s_lshl_b32 s10, s7, 8
	s_lshl_b64 s[8:9], s[8:9], 1
	s_ashr_i32 s11, s10, 31
	s_ashr_i32 s7, s6, 31
	s_lshl_b64 s[10:11], s[10:11], 1
	s_lshl_b64 s[6:7], s[6:7], 1
	v_add_co_u32 v17, vcc_lo, v60, s10
	v_add_co_ci_u32_e64 v18, null, s11, v59, vcc_lo
	v_add_co_u32 v17, vcc_lo, v17, s8
	v_add_co_ci_u32_e64 v18, null, s9, v18, vcc_lo
	;; [unrolled: 2-line block ×4, first 2 shown]
	flat_store_short v[16:17], v15
	;;#ASMSTART
	v_cvt_f16_f32 v14, v14;

	;;#ASMEND
	flat_store_short v[16:17], v14 offset:32
	;;#ASMSTART
	v_cvt_f16_f32 v13, v13;

	;;#ASMEND
	flat_store_short v[16:17], v13 offset:64
	;; [unrolled: 5-line block ×15, first 2 shown]
.LBB261_2167:
	s_or_b32 exec_lo, exec_lo, s4
	s_clause 0x2f
	buffer_load_dword v127, off, s[0:3], s32
	buffer_load_dword v126, off, s[0:3], s32 offset:4
	buffer_load_dword v125, off, s[0:3], s32 offset:8
	;; [unrolled: 1-line block ×47, first 2 shown]
	s_waitcnt vmcnt(0) lgkmcnt(0)
	s_setpc_b64 s[30:31]
.LBB261_2168:
	ds_read_b32 v18, v16
	s_waitcnt lgkmcnt(0)
	v_add_f32_e32 v15, v18, v15
	s_or_b32 exec_lo, exec_lo, s4
	s_and_saveexec_b32 s4, vcc_lo
	s_cbranch_execz .LBB261_2128
.LBB261_2169:
	ds_read_b32 v18, v16 offset:64
	s_waitcnt lgkmcnt(0)
	v_add_f32_e32 v14, v18, v14
	s_or_b32 exec_lo, exec_lo, s4
	s_and_saveexec_b32 s4, vcc_lo
	s_cbranch_execz .LBB261_2129
.LBB261_2170:
	ds_read_b32 v18, v16 offset:128
	s_waitcnt lgkmcnt(0)
	v_add_f32_e32 v13, v18, v13
	s_or_b32 exec_lo, exec_lo, s4
	s_and_saveexec_b32 s4, vcc_lo
	s_cbranch_execz .LBB261_2130
.LBB261_2171:
	ds_read_b32 v18, v16 offset:192
	s_waitcnt lgkmcnt(0)
	v_add_f32_e32 v12, v18, v12
	s_or_b32 exec_lo, exec_lo, s4
	s_and_saveexec_b32 s4, vcc_lo
	s_cbranch_execz .LBB261_2131
.LBB261_2172:
	ds_read_b32 v18, v16 offset:256
	s_waitcnt lgkmcnt(0)
	v_add_f32_e32 v11, v18, v11
	s_or_b32 exec_lo, exec_lo, s4
	s_and_saveexec_b32 s4, vcc_lo
	s_cbranch_execz .LBB261_2132
.LBB261_2173:
	ds_read_b32 v18, v16 offset:320
	s_waitcnt lgkmcnt(0)
	v_add_f32_e32 v10, v18, v10
	s_or_b32 exec_lo, exec_lo, s4
	s_and_saveexec_b32 s4, vcc_lo
	s_cbranch_execz .LBB261_2133
.LBB261_2174:
	ds_read_b32 v18, v16 offset:384
	s_waitcnt lgkmcnt(0)
	v_add_f32_e32 v9, v18, v9
	s_or_b32 exec_lo, exec_lo, s4
	s_and_saveexec_b32 s4, vcc_lo
	s_cbranch_execz .LBB261_2134
.LBB261_2175:
	ds_read_b32 v18, v16 offset:448
	s_waitcnt lgkmcnt(0)
	v_add_f32_e32 v8, v18, v8
	s_or_b32 exec_lo, exec_lo, s4
	s_and_saveexec_b32 s4, vcc_lo
	s_cbranch_execz .LBB261_2135
.LBB261_2176:
	ds_read_b32 v18, v16 offset:512
	s_waitcnt lgkmcnt(0)
	v_add_f32_e32 v7, v18, v7
	s_or_b32 exec_lo, exec_lo, s4
	s_and_saveexec_b32 s4, vcc_lo
	s_cbranch_execz .LBB261_2136
.LBB261_2177:
	ds_read_b32 v18, v16 offset:576
	s_waitcnt lgkmcnt(0)
	v_add_f32_e32 v6, v18, v6
	s_or_b32 exec_lo, exec_lo, s4
	s_and_saveexec_b32 s4, vcc_lo
	s_cbranch_execz .LBB261_2137
.LBB261_2178:
	ds_read_b32 v18, v16 offset:640
	s_waitcnt lgkmcnt(0)
	v_add_f32_e32 v5, v18, v5
	s_or_b32 exec_lo, exec_lo, s4
	s_and_saveexec_b32 s4, vcc_lo
	s_cbranch_execz .LBB261_2138
.LBB261_2179:
	ds_read_b32 v18, v16 offset:704
	s_waitcnt lgkmcnt(0)
	v_add_f32_e32 v4, v18, v4
	s_or_b32 exec_lo, exec_lo, s4
	s_and_saveexec_b32 s4, vcc_lo
	s_cbranch_execz .LBB261_2139
.LBB261_2180:
	ds_read_b32 v18, v16 offset:768
	s_waitcnt lgkmcnt(0)
	v_add_f32_e32 v3, v18, v3
	s_or_b32 exec_lo, exec_lo, s4
	s_and_saveexec_b32 s4, vcc_lo
	s_cbranch_execz .LBB261_2140
.LBB261_2181:
	ds_read_b32 v18, v16 offset:832
	s_waitcnt lgkmcnt(0)
	v_add_f32_e32 v2, v18, v2
	s_or_b32 exec_lo, exec_lo, s4
	s_and_saveexec_b32 s4, vcc_lo
	s_cbranch_execz .LBB261_2141
.LBB261_2182:
	ds_read_b32 v18, v16 offset:896
	s_waitcnt lgkmcnt(0)
	v_add_f32_e32 v1, v18, v1
	s_or_b32 exec_lo, exec_lo, s4
	s_and_saveexec_b32 s4, vcc_lo
	s_cbranch_execnz .LBB261_2142
	s_branch .LBB261_2143
.LBB261_2183:
	ds_read_b32 v17, v16
	s_waitcnt lgkmcnt(0)
	v_add_f32_e32 v15, v17, v15
	s_or_b32 exec_lo, exec_lo, s4
	s_and_saveexec_b32 s4, vcc_lo
	s_cbranch_execz .LBB261_2149
.LBB261_2184:
	ds_read_b32 v17, v16 offset:64
	s_waitcnt lgkmcnt(0)
	v_add_f32_e32 v14, v17, v14
	s_or_b32 exec_lo, exec_lo, s4
	s_and_saveexec_b32 s4, vcc_lo
	s_cbranch_execz .LBB261_2150
.LBB261_2185:
	ds_read_b32 v17, v16 offset:128
	s_waitcnt lgkmcnt(0)
	v_add_f32_e32 v13, v17, v13
	s_or_b32 exec_lo, exec_lo, s4
	s_and_saveexec_b32 s4, vcc_lo
	s_cbranch_execz .LBB261_2151
.LBB261_2186:
	ds_read_b32 v17, v16 offset:192
	s_waitcnt lgkmcnt(0)
	v_add_f32_e32 v12, v17, v12
	s_or_b32 exec_lo, exec_lo, s4
	s_and_saveexec_b32 s4, vcc_lo
	s_cbranch_execz .LBB261_2152
.LBB261_2187:
	ds_read_b32 v17, v16 offset:256
	s_waitcnt lgkmcnt(0)
	v_add_f32_e32 v11, v17, v11
	s_or_b32 exec_lo, exec_lo, s4
	s_and_saveexec_b32 s4, vcc_lo
	s_cbranch_execz .LBB261_2153
.LBB261_2188:
	ds_read_b32 v17, v16 offset:320
	s_waitcnt lgkmcnt(0)
	v_add_f32_e32 v10, v17, v10
	s_or_b32 exec_lo, exec_lo, s4
	s_and_saveexec_b32 s4, vcc_lo
	s_cbranch_execz .LBB261_2154
.LBB261_2189:
	ds_read_b32 v17, v16 offset:384
	s_waitcnt lgkmcnt(0)
	v_add_f32_e32 v9, v17, v9
	s_or_b32 exec_lo, exec_lo, s4
	s_and_saveexec_b32 s4, vcc_lo
	s_cbranch_execz .LBB261_2155
.LBB261_2190:
	ds_read_b32 v17, v16 offset:448
	s_waitcnt lgkmcnt(0)
	v_add_f32_e32 v8, v17, v8
	s_or_b32 exec_lo, exec_lo, s4
	s_and_saveexec_b32 s4, vcc_lo
	s_cbranch_execz .LBB261_2156
.LBB261_2191:
	ds_read_b32 v17, v16 offset:512
	s_waitcnt lgkmcnt(0)
	v_add_f32_e32 v7, v17, v7
	s_or_b32 exec_lo, exec_lo, s4
	s_and_saveexec_b32 s4, vcc_lo
	s_cbranch_execz .LBB261_2157
.LBB261_2192:
	ds_read_b32 v17, v16 offset:576
	s_waitcnt lgkmcnt(0)
	v_add_f32_e32 v6, v17, v6
	s_or_b32 exec_lo, exec_lo, s4
	s_and_saveexec_b32 s4, vcc_lo
	s_cbranch_execz .LBB261_2158
.LBB261_2193:
	ds_read_b32 v17, v16 offset:640
	s_waitcnt lgkmcnt(0)
	v_add_f32_e32 v5, v17, v5
	s_or_b32 exec_lo, exec_lo, s4
	s_and_saveexec_b32 s4, vcc_lo
	s_cbranch_execz .LBB261_2159
.LBB261_2194:
	ds_read_b32 v17, v16 offset:704
	s_waitcnt lgkmcnt(0)
	v_add_f32_e32 v4, v17, v4
	s_or_b32 exec_lo, exec_lo, s4
	s_and_saveexec_b32 s4, vcc_lo
	s_cbranch_execz .LBB261_2160
.LBB261_2195:
	ds_read_b32 v17, v16 offset:768
	s_waitcnt lgkmcnt(0)
	v_add_f32_e32 v3, v17, v3
	s_or_b32 exec_lo, exec_lo, s4
	s_and_saveexec_b32 s4, vcc_lo
	s_cbranch_execz .LBB261_2161
.LBB261_2196:
	ds_read_b32 v17, v16 offset:832
	s_waitcnt lgkmcnt(0)
	v_add_f32_e32 v2, v17, v2
	s_or_b32 exec_lo, exec_lo, s4
	s_and_saveexec_b32 s4, vcc_lo
	s_cbranch_execz .LBB261_2162
.LBB261_2197:
	ds_read_b32 v17, v16 offset:896
	s_waitcnt lgkmcnt(0)
	v_add_f32_e32 v1, v17, v1
	s_or_b32 exec_lo, exec_lo, s4
	s_and_saveexec_b32 s4, vcc_lo
	s_cbranch_execnz .LBB261_2163
	s_branch .LBB261_2164
.Lfunc_end261:
	.size	_ZN4vllm22paged_attention_kernelIthLi256ELi16ELi128ELNS_18Fp8KVCacheDataTypeE1ELb1ELi0EEEvPfS2_PT_PKS3_PKT0_S9_ifPKiSB_iPKfiiiSD_SD_iiiii, .Lfunc_end261-_ZN4vllm22paged_attention_kernelIthLi256ELi16ELi128ELNS_18Fp8KVCacheDataTypeE1ELb1ELi0EEEvPfS2_PT_PKS3_PKT0_S9_ifPKiSB_iPKfiiiSD_SD_iiiii
                                        ; -- End function
	.set .L_ZN4vllm22paged_attention_kernelIthLi256ELi16ELi128ELNS_18Fp8KVCacheDataTypeE1ELb1ELi0EEEvPfS2_PT_PKS3_PKT0_S9_ifPKiSB_iPKfiiiSD_SD_iiiii.num_vgpr, 128
	.set .L_ZN4vllm22paged_attention_kernelIthLi256ELi16ELi128ELNS_18Fp8KVCacheDataTypeE1ELb1ELi0EEEvPfS2_PT_PKS3_PKT0_S9_ifPKiSB_iPKfiiiSD_SD_iiiii.num_agpr, 0
	.set .L_ZN4vllm22paged_attention_kernelIthLi256ELi16ELi128ELNS_18Fp8KVCacheDataTypeE1ELb1ELi0EEEvPfS2_PT_PKS3_PKT0_S9_ifPKiSB_iPKfiiiSD_SD_iiiii.numbered_sgpr, 33
	.set .L_ZN4vllm22paged_attention_kernelIthLi256ELi16ELi128ELNS_18Fp8KVCacheDataTypeE1ELb1ELi0EEEvPfS2_PT_PKS3_PKT0_S9_ifPKiSB_iPKfiiiSD_SD_iiiii.num_named_barrier, 0
	.set .L_ZN4vllm22paged_attention_kernelIthLi256ELi16ELi128ELNS_18Fp8KVCacheDataTypeE1ELb1ELi0EEEvPfS2_PT_PKS3_PKT0_S9_ifPKiSB_iPKfiiiSD_SD_iiiii.private_seg_size, 496
	.set .L_ZN4vllm22paged_attention_kernelIthLi256ELi16ELi128ELNS_18Fp8KVCacheDataTypeE1ELb1ELi0EEEvPfS2_PT_PKS3_PKT0_S9_ifPKiSB_iPKfiiiSD_SD_iiiii.uses_vcc, 1
	.set .L_ZN4vllm22paged_attention_kernelIthLi256ELi16ELi128ELNS_18Fp8KVCacheDataTypeE1ELb1ELi0EEEvPfS2_PT_PKS3_PKT0_S9_ifPKiSB_iPKfiiiSD_SD_iiiii.uses_flat_scratch, 0
	.set .L_ZN4vllm22paged_attention_kernelIthLi256ELi16ELi128ELNS_18Fp8KVCacheDataTypeE1ELb1ELi0EEEvPfS2_PT_PKS3_PKT0_S9_ifPKiSB_iPKfiiiSD_SD_iiiii.has_dyn_sized_stack, 0
	.set .L_ZN4vllm22paged_attention_kernelIthLi256ELi16ELi128ELNS_18Fp8KVCacheDataTypeE1ELb1ELi0EEEvPfS2_PT_PKS3_PKT0_S9_ifPKiSB_iPKfiiiSD_SD_iiiii.has_recursion, 0
	.set .L_ZN4vllm22paged_attention_kernelIthLi256ELi16ELi128ELNS_18Fp8KVCacheDataTypeE1ELb1ELi0EEEvPfS2_PT_PKS3_PKT0_S9_ifPKiSB_iPKfiiiSD_SD_iiiii.has_indirect_call, 0
	.section	.AMDGPU.csdata,"",@progbits
; Function info:
; codeLenInByte = 74392
; TotalNumSgprs: 35
; NumVgprs: 128
; ScratchSize: 496
; MemoryBound: 0
	.section	.text._ZN4vllm25paged_attention_v1_kernelIthLi256ELi16ELi128ELNS_18Fp8KVCacheDataTypeE1ELb1EEEvPT_PKS2_PKT0_S8_ifPKiSA_iPKfiiiSC_SC_iiiii,"axG",@progbits,_ZN4vllm25paged_attention_v1_kernelIthLi256ELi16ELi128ELNS_18Fp8KVCacheDataTypeE1ELb1EEEvPT_PKS2_PKT0_S8_ifPKiSA_iPKfiiiSC_SC_iiiii,comdat
	.protected	_ZN4vllm25paged_attention_v1_kernelIthLi256ELi16ELi128ELNS_18Fp8KVCacheDataTypeE1ELb1EEEvPT_PKS2_PKT0_S8_ifPKiSA_iPKfiiiSC_SC_iiiii ; -- Begin function _ZN4vllm25paged_attention_v1_kernelIthLi256ELi16ELi128ELNS_18Fp8KVCacheDataTypeE1ELb1EEEvPT_PKS2_PKT0_S8_ifPKiSA_iPKfiiiSC_SC_iiiii
	.globl	_ZN4vllm25paged_attention_v1_kernelIthLi256ELi16ELi128ELNS_18Fp8KVCacheDataTypeE1ELb1EEEvPT_PKS2_PKT0_S8_ifPKiSA_iPKfiiiSC_SC_iiiii
	.p2align	8
	.type	_ZN4vllm25paged_attention_v1_kernelIthLi256ELi16ELi128ELNS_18Fp8KVCacheDataTypeE1ELb1EEEvPT_PKS2_PKT0_S8_ifPKiSA_iPKfiiiSC_SC_iiiii,@function
_ZN4vllm25paged_attention_v1_kernelIthLi256ELi16ELi128ELNS_18Fp8KVCacheDataTypeE1ELb1EEEvPT_PKS2_PKT0_S8_ifPKiSA_iPKfiiiSC_SC_iiiii: ; @_ZN4vllm25paged_attention_v1_kernelIthLi256ELi16ELi128ELNS_18Fp8KVCacheDataTypeE1ELb1EEEvPT_PKS2_PKT0_S8_ifPKiSA_iPKfiiiSC_SC_iiiii
; %bb.0:
	s_clause 0x7
	s_load_dwordx8 s[16:23], s[4:5], 0x0
	s_load_dwordx4 s[36:39], s[4:5], 0x20
	s_load_dwordx2 s[10:11], s[4:5], 0x30
	s_load_dword s13, s[4:5], 0x38
	s_load_dwordx2 s[34:35], s[4:5], 0x40
	s_load_dwordx8 s[24:31], s[4:5], 0x48
	s_load_dword s15, s[4:5], 0x78
	s_load_dwordx4 s[40:43], s[4:5], 0x68
	s_add_u32 s0, s0, s9
	s_addc_u32 s1, s1, 0
	v_mov_b32_e32 v31, v0
	s_mov_b32 s14, s8
	s_add_u32 s8, s4, 0x80
	s_addc_u32 s9, s5, 0
	s_getpc_b64 s[4:5]
	s_add_u32 s4, s4, _ZN4vllm22paged_attention_kernelIthLi256ELi16ELi128ELNS_18Fp8KVCacheDataTypeE1ELb1ELi0EEEvPfS2_PT_PKS3_PKT0_S9_ifPKiSB_iPKfiiiSD_SD_iiiii@rel32@lo+4
	s_addc_u32 s5, s5, _ZN4vllm22paged_attention_kernelIthLi256ELi16ELi128ELNS_18Fp8KVCacheDataTypeE1ELb1ELi0EEEvPfS2_PT_PKS3_PKT0_S9_ifPKiSB_iPKfiiiSD_SD_iiiii@rel32@hi+12
	s_mov_b32 s12, s6
	s_mov_b32 s32, 0
	s_waitcnt lgkmcnt(0)
	v_mov_b32_e32 v0, s16
	v_mov_b32_e32 v1, s17
	;; [unrolled: 1-line block ×29, first 2 shown]
	s_mov_b32 s13, s7
	s_mov_b32 s15, 45
	s_swappc_b64 s[30:31], s[4:5]
	s_endpgm
	.section	.rodata,"a",@progbits
	.p2align	6, 0x0
	.amdhsa_kernel _ZN4vllm25paged_attention_v1_kernelIthLi256ELi16ELi128ELNS_18Fp8KVCacheDataTypeE1ELb1EEEvPT_PKS2_PKT0_S8_ifPKiSA_iPKfiiiSC_SC_iiiii
		.amdhsa_group_segment_fixed_size 544
		.amdhsa_private_segment_fixed_size 496
		.amdhsa_kernarg_size 384
		.amdhsa_user_sgpr_count 6
		.amdhsa_user_sgpr_private_segment_buffer 1
		.amdhsa_user_sgpr_dispatch_ptr 0
		.amdhsa_user_sgpr_queue_ptr 0
		.amdhsa_user_sgpr_kernarg_segment_ptr 1
		.amdhsa_user_sgpr_dispatch_id 0
		.amdhsa_user_sgpr_flat_scratch_init 0
		.amdhsa_user_sgpr_private_segment_size 0
		.amdhsa_wavefront_size32 1
		.amdhsa_uses_dynamic_stack 0
		.amdhsa_system_sgpr_private_segment_wavefront_offset 1
		.amdhsa_system_sgpr_workgroup_id_x 1
		.amdhsa_system_sgpr_workgroup_id_y 1
		.amdhsa_system_sgpr_workgroup_id_z 1
		.amdhsa_system_sgpr_workgroup_info 0
		.amdhsa_system_vgpr_workitem_id 0
		.amdhsa_next_free_vgpr 128
		.amdhsa_next_free_sgpr 44
		.amdhsa_reserve_vcc 1
		.amdhsa_reserve_flat_scratch 0
		.amdhsa_float_round_mode_32 0
		.amdhsa_float_round_mode_16_64 0
		.amdhsa_float_denorm_mode_32 3
		.amdhsa_float_denorm_mode_16_64 3
		.amdhsa_dx10_clamp 1
		.amdhsa_ieee_mode 1
		.amdhsa_fp16_overflow 0
		.amdhsa_workgroup_processor_mode 1
		.amdhsa_memory_ordered 1
		.amdhsa_forward_progress 1
		.amdhsa_shared_vgpr_count 0
		.amdhsa_exception_fp_ieee_invalid_op 0
		.amdhsa_exception_fp_denorm_src 0
		.amdhsa_exception_fp_ieee_div_zero 0
		.amdhsa_exception_fp_ieee_overflow 0
		.amdhsa_exception_fp_ieee_underflow 0
		.amdhsa_exception_fp_ieee_inexact 0
		.amdhsa_exception_int_div_zero 0
	.end_amdhsa_kernel
	.section	.text._ZN4vllm25paged_attention_v1_kernelIthLi256ELi16ELi128ELNS_18Fp8KVCacheDataTypeE1ELb1EEEvPT_PKS2_PKT0_S8_ifPKiSA_iPKfiiiSC_SC_iiiii,"axG",@progbits,_ZN4vllm25paged_attention_v1_kernelIthLi256ELi16ELi128ELNS_18Fp8KVCacheDataTypeE1ELb1EEEvPT_PKS2_PKT0_S8_ifPKiSA_iPKfiiiSC_SC_iiiii,comdat
.Lfunc_end262:
	.size	_ZN4vllm25paged_attention_v1_kernelIthLi256ELi16ELi128ELNS_18Fp8KVCacheDataTypeE1ELb1EEEvPT_PKS2_PKT0_S8_ifPKiSA_iPKfiiiSC_SC_iiiii, .Lfunc_end262-_ZN4vllm25paged_attention_v1_kernelIthLi256ELi16ELi128ELNS_18Fp8KVCacheDataTypeE1ELb1EEEvPT_PKS2_PKT0_S8_ifPKiSA_iPKfiiiSC_SC_iiiii
                                        ; -- End function
	.set _ZN4vllm25paged_attention_v1_kernelIthLi256ELi16ELi128ELNS_18Fp8KVCacheDataTypeE1ELb1EEEvPT_PKS2_PKT0_S8_ifPKiSA_iPKfiiiSC_SC_iiiii.num_vgpr, max(32, .L_ZN4vllm22paged_attention_kernelIthLi256ELi16ELi128ELNS_18Fp8KVCacheDataTypeE1ELb1ELi0EEEvPfS2_PT_PKS3_PKT0_S9_ifPKiSB_iPKfiiiSD_SD_iiiii.num_vgpr)
	.set _ZN4vllm25paged_attention_v1_kernelIthLi256ELi16ELi128ELNS_18Fp8KVCacheDataTypeE1ELb1EEEvPT_PKS2_PKT0_S8_ifPKiSA_iPKfiiiSC_SC_iiiii.num_agpr, max(0, .L_ZN4vllm22paged_attention_kernelIthLi256ELi16ELi128ELNS_18Fp8KVCacheDataTypeE1ELb1ELi0EEEvPfS2_PT_PKS3_PKT0_S9_ifPKiSB_iPKfiiiSD_SD_iiiii.num_agpr)
	.set _ZN4vllm25paged_attention_v1_kernelIthLi256ELi16ELi128ELNS_18Fp8KVCacheDataTypeE1ELb1EEEvPT_PKS2_PKT0_S8_ifPKiSA_iPKfiiiSC_SC_iiiii.numbered_sgpr, max(44, .L_ZN4vllm22paged_attention_kernelIthLi256ELi16ELi128ELNS_18Fp8KVCacheDataTypeE1ELb1ELi0EEEvPfS2_PT_PKS3_PKT0_S9_ifPKiSB_iPKfiiiSD_SD_iiiii.numbered_sgpr)
	.set _ZN4vllm25paged_attention_v1_kernelIthLi256ELi16ELi128ELNS_18Fp8KVCacheDataTypeE1ELb1EEEvPT_PKS2_PKT0_S8_ifPKiSA_iPKfiiiSC_SC_iiiii.num_named_barrier, max(0, .L_ZN4vllm22paged_attention_kernelIthLi256ELi16ELi128ELNS_18Fp8KVCacheDataTypeE1ELb1ELi0EEEvPfS2_PT_PKS3_PKT0_S9_ifPKiSB_iPKfiiiSD_SD_iiiii.num_named_barrier)
	.set _ZN4vllm25paged_attention_v1_kernelIthLi256ELi16ELi128ELNS_18Fp8KVCacheDataTypeE1ELb1EEEvPT_PKS2_PKT0_S8_ifPKiSA_iPKfiiiSC_SC_iiiii.private_seg_size, 0+max(.L_ZN4vllm22paged_attention_kernelIthLi256ELi16ELi128ELNS_18Fp8KVCacheDataTypeE1ELb1ELi0EEEvPfS2_PT_PKS3_PKT0_S9_ifPKiSB_iPKfiiiSD_SD_iiiii.private_seg_size)
	.set _ZN4vllm25paged_attention_v1_kernelIthLi256ELi16ELi128ELNS_18Fp8KVCacheDataTypeE1ELb1EEEvPT_PKS2_PKT0_S8_ifPKiSA_iPKfiiiSC_SC_iiiii.uses_vcc, or(1, .L_ZN4vllm22paged_attention_kernelIthLi256ELi16ELi128ELNS_18Fp8KVCacheDataTypeE1ELb1ELi0EEEvPfS2_PT_PKS3_PKT0_S9_ifPKiSB_iPKfiiiSD_SD_iiiii.uses_vcc)
	.set _ZN4vllm25paged_attention_v1_kernelIthLi256ELi16ELi128ELNS_18Fp8KVCacheDataTypeE1ELb1EEEvPT_PKS2_PKT0_S8_ifPKiSA_iPKfiiiSC_SC_iiiii.uses_flat_scratch, or(0, .L_ZN4vllm22paged_attention_kernelIthLi256ELi16ELi128ELNS_18Fp8KVCacheDataTypeE1ELb1ELi0EEEvPfS2_PT_PKS3_PKT0_S9_ifPKiSB_iPKfiiiSD_SD_iiiii.uses_flat_scratch)
	.set _ZN4vllm25paged_attention_v1_kernelIthLi256ELi16ELi128ELNS_18Fp8KVCacheDataTypeE1ELb1EEEvPT_PKS2_PKT0_S8_ifPKiSA_iPKfiiiSC_SC_iiiii.has_dyn_sized_stack, or(0, .L_ZN4vllm22paged_attention_kernelIthLi256ELi16ELi128ELNS_18Fp8KVCacheDataTypeE1ELb1ELi0EEEvPfS2_PT_PKS3_PKT0_S9_ifPKiSB_iPKfiiiSD_SD_iiiii.has_dyn_sized_stack)
	.set _ZN4vllm25paged_attention_v1_kernelIthLi256ELi16ELi128ELNS_18Fp8KVCacheDataTypeE1ELb1EEEvPT_PKS2_PKT0_S8_ifPKiSA_iPKfiiiSC_SC_iiiii.has_recursion, or(0, .L_ZN4vllm22paged_attention_kernelIthLi256ELi16ELi128ELNS_18Fp8KVCacheDataTypeE1ELb1ELi0EEEvPfS2_PT_PKS3_PKT0_S9_ifPKiSB_iPKfiiiSD_SD_iiiii.has_recursion)
	.set _ZN4vllm25paged_attention_v1_kernelIthLi256ELi16ELi128ELNS_18Fp8KVCacheDataTypeE1ELb1EEEvPT_PKS2_PKT0_S8_ifPKiSA_iPKfiiiSC_SC_iiiii.has_indirect_call, or(0, .L_ZN4vllm22paged_attention_kernelIthLi256ELi16ELi128ELNS_18Fp8KVCacheDataTypeE1ELb1ELi0EEEvPfS2_PT_PKS3_PKT0_S9_ifPKiSB_iPKfiiiSD_SD_iiiii.has_indirect_call)
	.section	.AMDGPU.csdata,"",@progbits
; Kernel info:
; codeLenInByte = 260
; TotalNumSgprs: 46
; NumVgprs: 128
; ScratchSize: 496
; MemoryBound: 0
; FloatMode: 240
; IeeeMode: 1
; LDSByteSize: 544 bytes/workgroup (compile time only)
; SGPRBlocks: 0
; VGPRBlocks: 15
; NumSGPRsForWavesPerEU: 46
; NumVGPRsForWavesPerEU: 128
; Occupancy: 8
; WaveLimiterHint : 1
; COMPUTE_PGM_RSRC2:SCRATCH_EN: 1
; COMPUTE_PGM_RSRC2:USER_SGPR: 6
; COMPUTE_PGM_RSRC2:TRAP_HANDLER: 0
; COMPUTE_PGM_RSRC2:TGID_X_EN: 1
; COMPUTE_PGM_RSRC2:TGID_Y_EN: 1
; COMPUTE_PGM_RSRC2:TGID_Z_EN: 1
; COMPUTE_PGM_RSRC2:TIDIG_COMP_CNT: 0
	.section	.text._ZN4vllm25paged_attention_v1_kernelIthLi32ELi16ELi128ELNS_18Fp8KVCacheDataTypeE1ELb0EEEvPT_PKS2_PKT0_S8_ifPKiSA_iPKfiiiSC_SC_iiiii,"axG",@progbits,_ZN4vllm25paged_attention_v1_kernelIthLi32ELi16ELi128ELNS_18Fp8KVCacheDataTypeE1ELb0EEEvPT_PKS2_PKT0_S8_ifPKiSA_iPKfiiiSC_SC_iiiii,comdat
	.protected	_ZN4vllm25paged_attention_v1_kernelIthLi32ELi16ELi128ELNS_18Fp8KVCacheDataTypeE1ELb0EEEvPT_PKS2_PKT0_S8_ifPKiSA_iPKfiiiSC_SC_iiiii ; -- Begin function _ZN4vllm25paged_attention_v1_kernelIthLi32ELi16ELi128ELNS_18Fp8KVCacheDataTypeE1ELb0EEEvPT_PKS2_PKT0_S8_ifPKiSA_iPKfiiiSC_SC_iiiii
	.globl	_ZN4vllm25paged_attention_v1_kernelIthLi32ELi16ELi128ELNS_18Fp8KVCacheDataTypeE1ELb0EEEvPT_PKS2_PKT0_S8_ifPKiSA_iPKfiiiSC_SC_iiiii
	.p2align	8
	.type	_ZN4vllm25paged_attention_v1_kernelIthLi32ELi16ELi128ELNS_18Fp8KVCacheDataTypeE1ELb0EEEvPT_PKS2_PKT0_S8_ifPKiSA_iPKfiiiSC_SC_iiiii,@function
_ZN4vllm25paged_attention_v1_kernelIthLi32ELi16ELi128ELNS_18Fp8KVCacheDataTypeE1ELb0EEEvPT_PKS2_PKT0_S8_ifPKiSA_iPKfiiiSC_SC_iiiii: ; @_ZN4vllm25paged_attention_v1_kernelIthLi32ELi16ELi128ELNS_18Fp8KVCacheDataTypeE1ELb0EEEvPT_PKS2_PKT0_S8_ifPKiSA_iPKfiiiSC_SC_iiiii
; %bb.0:
	s_clause 0x2
	s_load_dword s9, s[4:5], 0x80
	s_load_dwordx2 s[0:1], s[4:5], 0x30
	s_load_dwordx2 s[28:29], s[4:5], 0x20
	s_mov_b32 s10, s7
	s_ashr_i32 s11, s7, 31
	s_lshl_b64 s[2:3], s[10:11], 2
	s_waitcnt lgkmcnt(0)
	s_add_u32 s0, s0, s2
	s_addc_u32 s1, s1, s3
	s_abs_i32 s2, s28
	s_abs_i32 s11, s9
	v_cvt_f32_u32_e32 v1, s2
	s_sub_i32 s7, 0, s2
	v_rcp_iflag_f32_e32 v1, v1
	v_mul_f32_e32 v1, 0x4f7ffffe, v1
	v_cvt_u32_f32_e32 v1, v1
	v_readfirstlane_b32 s3, v1
	s_mul_i32 s7, s7, s3
	s_mul_hi_u32 s7, s3, s7
	s_add_i32 s3, s3, s7
	s_xor_b32 s7, s9, s28
	s_mul_hi_u32 s3, s11, s3
	s_ashr_i32 s7, s7, 31
	s_mul_i32 s12, s3, s2
	s_mov_b32 s28, 0
	s_sub_i32 s11, s11, s12
	s_add_i32 s12, s3, 1
	s_sub_i32 s13, s11, s2
	s_cmp_ge_u32 s11, s2
	s_cselect_b32 s3, s12, s3
	s_cselect_b32 s11, s13, s11
	s_add_i32 s12, s3, 1
	s_cmp_ge_u32 s11, s2
	s_cselect_b32 s2, s12, s3
	s_abs_i32 s13, s6
	s_xor_b32 s2, s2, s7
	s_sub_i32 s15, s2, s7
	s_load_dwordx2 s[2:3], s[4:5], 0x40
	s_abs_i32 s12, s15
	v_cvt_f32_u32_e32 v1, s12
	s_sub_i32 s11, 0, s12
	v_rcp_iflag_f32_e32 v1, v1
	v_mul_f32_e32 v1, 0x4f7ffffe, v1
	v_cvt_u32_f32_e32 v1, v1
	v_readfirstlane_b32 s7, v1
	s_mul_i32 s11, s11, s7
	s_mul_hi_u32 s11, s7, s11
	s_add_i32 s7, s7, s11
	s_waitcnt lgkmcnt(0)
	s_cmp_eq_u64 s[2:3], 0
	s_mul_hi_u32 s14, s13, s7
	s_cbranch_scc1 .LBB263_2
; %bb.1:
	s_ashr_i32 s7, s6, 31
	s_lshl_b64 s[16:17], s[6:7], 2
	s_add_u32 s2, s2, s16
	s_addc_u32 s3, s3, s17
	s_load_dword s28, s[2:3], 0x0
.LBB263_2:
	s_load_dword s11, s[0:1], 0x0
	s_load_dwordx4 s[16:19], s[4:5], 0x48
	v_lshrrev_b32_e32 v11, 1, v0
	v_and_b32_e32 v12, 1, v0
	v_lshlrev_b32_e32 v10, 3, v0
	s_ashr_i32 s0, s6, 31
	s_ashr_i32 s1, s15, 31
	s_lshl_b32 s6, s6, 5
	s_mov_b32 s2, exec_lo
	v_cmpx_gt_u32_e32 8, v0
	s_cbranch_execz .LBB263_4
; %bb.3:
	s_load_dwordx2 s[20:21], s[4:5], 0x8
	s_waitcnt lgkmcnt(0)
	s_mul_i32 s22, s16, s10
	v_lshlrev_b32_e32 v3, 3, v11
	s_ashr_i32 s23, s22, 31
	s_lshl_b64 s[22:23], s[22:23], 1
	v_lshl_add_u32 v3, v12, 5, v3
	s_add_u32 s3, s20, s22
	s_addc_u32 s15, s21, s23
	s_ashr_i32 s7, s6, 31
	s_lshl_b64 s[20:21], s[6:7], 1
	s_add_u32 s20, s3, s20
	s_addc_u32 s21, s15, s21
	global_load_dwordx2 v[1:2], v10, s[20:21]
	s_waitcnt vmcnt(0)
	ds_write_b64 v3, v[1:2]
.LBB263_4:
	s_or_b32 exec_lo, exec_lo, s2
	s_waitcnt lgkmcnt(0)
	s_add_i32 s2, s11, 15
	s_clause 0x1
	s_load_dwordx2 s[22:23], s[4:5], 0x28
	s_load_dword s7, s[4:5], 0x38
	s_ashr_i32 s3, s2, 31
	s_xor_b32 s0, s0, s1
	s_lshr_b32 s3, s3, 28
	s_mul_i32 s1, s14, s12
	s_add_i32 s2, s2, s3
	s_sub_i32 s1, s13, s1
	s_ashr_i32 s16, s2, 4
	s_add_i32 s2, s14, 1
	s_sub_i32 s3, s1, s12
	s_cmp_ge_u32 s1, s12
	v_lshrrev_b32_e32 v13, 5, v0
	s_cselect_b32 s2, s2, s14
	s_cselect_b32 s1, s3, s1
	s_add_i32 s3, s2, 1
	s_cmp_ge_u32 s1, s12
	v_mbcnt_lo_u32_b32 v15, -1, 0
	s_cselect_b32 s1, s3, s2
	s_mov_b32 s2, exec_lo
	s_xor_b32 s1, s1, s0
	s_waitcnt lgkmcnt(0)
	s_mul_i32 s24, s7, s10
	s_sub_i32 s1, s1, s0
	v_cmp_gt_i32_e64 s0, s16, v13
	s_ashr_i32 s25, s24, 31
	s_barrier
	buffer_gl0_inv
                                        ; implicit-def: $vgpr2
                                        ; implicit-def: $vgpr17
	v_cmpx_le_i32_e64 s16, v13
	s_xor_b32 s2, exec_lo, s2
; %bb.5:
	v_mov_b32_e32 v2, 0
	v_mbcnt_lo_u32_b32 v15, -1, 0
	v_mov_b32_e32 v17, 32
; %bb.6:
	s_or_saveexec_b32 s19, s2
	s_clause 0x3
	s_load_dwordx2 s[20:21], s[4:5], 0x0
	s_load_dwordx2 s[26:27], s[4:5], 0x18
	s_load_dword s7, s[4:5], 0x88
	s_load_dwordx4 s[12:15], s[4:5], 0x58
	v_mov_b32_e32 v16, 0xff7fffff
	v_lshrrev_b32_e32 v14, 3, v0
	s_mul_i32 s18, s1, s18
	s_xor_b32 exec_lo, exec_lo, s19
	s_cbranch_execz .LBB263_140
; %bb.7:
	s_load_dwordx2 s[2:3], s[4:5], 0x10
	v_bfe_u32 v1, v0, 1, 4
	s_ashr_i32 s4, s18, 31
	v_lshlrev_b32_e32 v4, 2, v12
	v_and_b32_e32 v5, 0x7c, v14
	v_mov_b32_e32 v2, 0
	v_lshlrev_b32_e32 v3, 2, v1
	v_lshlrev_b32_e32 v6, 4, v1
	v_lshl_or_b32 v19, v13, 4, v1
	v_lshlrev_b32_e32 v18, 5, v12
	v_cmp_neq_f32_e64 s1, s28, 0
	v_lshl_or_b32 v3, v13, 6, v3
	v_mov_b32_e32 v16, 0xff7fffff
	v_mov_b32_e32 v17, 32
	;; [unrolled: 1-line block ×4, first 2 shown]
	v_add_nc_u32_e32 v20, 0x60, v3
	v_mov_b32_e32 v23, 7
	v_mov_b32_e32 v24, 8
	;; [unrolled: 1-line block ×3, first 2 shown]
	s_waitcnt lgkmcnt(0)
	s_add_u32 s5, s2, s18
	s_addc_u32 s30, s3, s4
	v_add_co_u32 v1, s5, s5, v6
	v_add_co_ci_u32_e64 v6, null, s30, 0, s5
	s_lshl_b64 s[2:3], s[24:25], 2
	s_sub_i32 s4, 1, s11
	s_add_u32 s5, s22, s2
	v_add_co_u32 v3, s2, v1, v4
	s_addc_u32 s3, s23, s3
	v_add_co_ci_u32_e64 v4, null, 0, v6, s2
	v_add_co_u32 v5, s2, s5, v5
	v_add_co_ci_u32_e64 v6, null, s3, 0, s2
	s_mov_b32 s30, s17
	s_mov_b32 s5, 0
	v_cmp_eq_u32_e32 vcc_lo, 0, v12
	s_branch .LBB263_9
.LBB263_8:                              ;   in Loop: Header=BB263_9 Depth=1
	s_or_b32 exec_lo, exec_lo, s3
	v_add_nc_u32_e32 v25, 4, v25
	v_add_co_u32 v5, s3, v5, 16
	v_add_nc_u32_e32 v19, 64, v19
	v_add_nc_u32_e32 v20, 0x100, v20
	v_cmp_le_i32_e64 s2, s16, v25
	v_add_co_ci_u32_e64 v6, null, 0, v6, s3
	s_or_b32 s5, s2, s5
	s_andn2_b32 exec_lo, exec_lo, s5
	s_cbranch_execz .LBB263_139
.LBB263_9:                              ; =>This Inner Loop Header: Depth=1
	global_load_dword v1, v[5:6], off
	v_mov_b32_e32 v27, 0
	s_waitcnt vmcnt(0) lgkmcnt(0)
	v_mad_i64_i32 v[7:8], null, v1, s30, v[3:4]
	global_load_dword v9, v[7:8], off
	global_load_dword v26, v2, s[12:13]
	s_waitcnt vmcnt(1)
	v_cmp_ne_u16_sdwa s2, v9, v2 src0_sel:BYTE_0 src1_sel:DWORD
	s_and_saveexec_b32 s3, s2
	s_cbranch_execz .LBB263_17
; %bb.10:                               ;   in Loop: Header=BB263_9 Depth=1
	v_cmp_ne_u16_sdwa s2, v9, v21 src0_sel:BYTE_0 src1_sel:DWORD
	v_mov_b32_e32 v27, 0x8000
	s_and_saveexec_b32 s31, s2
	s_cbranch_execz .LBB263_16
; %bb.11:                               ;   in Loop: Header=BB263_9 Depth=1
	v_and_b32_e32 v28, 0x7f, v9
	v_mov_b32_e32 v27, 0x7c01
	s_mov_b32 s33, exec_lo
	v_cmpx_ne_u32_e32 0x7f, v28
	s_cbranch_execz .LBB263_15
; %bb.12:                               ;   in Loop: Header=BB263_9 Depth=1
	v_and_b32_e32 v1, 7, v9
	v_lshrrev_b32_e32 v27, 3, v28
	s_mov_b32 s34, exec_lo
	v_cmpx_gt_u32_e32 8, v28
; %bb.13:                               ;   in Loop: Header=BB263_9 Depth=1
	v_ffbh_u32_e32 v1, v1
	v_min_u32_e32 v1, 32, v1
	v_subrev_nc_u32_e32 v27, 28, v1
	v_lshlrev_b64 v[28:29], v27, v[9:10]
	v_sub_nc_u32_e32 v27, 29, v1
	v_and_b32_e32 v1, 7, v28
; %bb.14:                               ;   in Loop: Header=BB263_9 Depth=1
	s_or_b32 exec_lo, exec_lo, s34
	v_lshlrev_b32_e32 v28, 8, v9
	v_lshl_add_u32 v27, v27, 10, 0x2000
	v_lshlrev_b32_e32 v1, 7, v1
	v_and_b32_e32 v28, 0x8000, v28
	v_and_b32_e32 v27, 0xfc00, v27
	v_or3_b32 v27, v28, v27, v1
.LBB263_15:                             ;   in Loop: Header=BB263_9 Depth=1
	s_or_b32 exec_lo, exec_lo, s33
.LBB263_16:                             ;   in Loop: Header=BB263_9 Depth=1
	s_or_b32 exec_lo, exec_lo, s31
.LBB263_17:                             ;   in Loop: Header=BB263_9 Depth=1
	s_or_b32 exec_lo, exec_lo, s3
	v_lshrrev_b16 v1, 8, v9
	v_mov_b32_e32 v28, 0
	s_mov_b32 s3, exec_lo
	v_cmpx_ne_u16_e32 0, v1
	s_cbranch_execz .LBB263_25
; %bb.18:                               ;   in Loop: Header=BB263_9 Depth=1
	v_bfrev_b32_e32 v28, 1
	s_mov_b32 s31, exec_lo
	v_cmpx_ne_u16_e32 0x80, v1
	s_cbranch_execz .LBB263_24
; %bb.19:                               ;   in Loop: Header=BB263_9 Depth=1
	v_and_b32_sdwa v30, v1, v22 dst_sel:DWORD dst_unused:UNUSED_PAD src0_sel:WORD_0 src1_sel:DWORD
	v_mov_b32_e32 v28, 0x7c010000
	s_mov_b32 s33, exec_lo
	v_cmpx_ne_u32_e32 0x7f, v30
	s_cbranch_execz .LBB263_23
; %bb.20:                               ;   in Loop: Header=BB263_9 Depth=1
	v_and_b32_sdwa v28, v1, v23 dst_sel:DWORD dst_unused:UNUSED_PAD src0_sel:WORD_0 src1_sel:DWORD
	v_lshrrev_b32_e32 v29, 3, v30
	s_mov_b32 s34, exec_lo
	v_cmpx_gt_u32_e32 8, v30
; %bb.21:                               ;   in Loop: Header=BB263_9 Depth=1
	v_ffbh_u32_e32 v28, v28
	v_min_u32_e32 v30, 32, v28
	v_subrev_nc_u32_e32 v28, 28, v30
	v_lshlrev_b64 v[28:29], v28, v[1:2]
	v_sub_nc_u32_e32 v29, 29, v30
	v_and_b32_e32 v28, 7, v28
; %bb.22:                               ;   in Loop: Header=BB263_9 Depth=1
	s_or_b32 exec_lo, exec_lo, s34
	v_lshlrev_b32_sdwa v1, v24, v1 dst_sel:DWORD dst_unused:UNUSED_PAD src0_sel:DWORD src1_sel:WORD_0
	v_lshl_add_u32 v29, v29, 10, 0x2000
	v_lshlrev_b32_e32 v28, 23, v28
	v_and_or_b32 v1, 0x8000, v1, v29
	v_lshl_or_b32 v28, v1, 16, v28
.LBB263_23:                             ;   in Loop: Header=BB263_9 Depth=1
	s_or_b32 exec_lo, exec_lo, s33
.LBB263_24:                             ;   in Loop: Header=BB263_9 Depth=1
	s_or_b32 exec_lo, exec_lo, s31
.LBB263_25:                             ;   in Loop: Header=BB263_9 Depth=1
	s_or_b32 exec_lo, exec_lo, s3
	v_lshrrev_b32_e32 v1, 16, v9
	v_mov_b32_e32 v29, 0
	v_mov_b32_e32 v30, 0
	v_cmp_ne_u16_sdwa s2, v1, v2 src0_sel:BYTE_0 src1_sel:DWORD
	s_and_saveexec_b32 s3, s2
	s_cbranch_execz .LBB263_33
; %bb.26:                               ;   in Loop: Header=BB263_9 Depth=1
	v_cmp_ne_u16_sdwa s2, v1, v21 src0_sel:BYTE_0 src1_sel:DWORD
	v_mov_b32_e32 v30, 0x8000
	s_and_saveexec_b32 s31, s2
	s_cbranch_execz .LBB263_32
; %bb.27:                               ;   in Loop: Header=BB263_9 Depth=1
	v_bfe_u32 v32, v9, 16, 7
	v_mov_b32_e32 v30, 0x7c01
	s_mov_b32 s33, exec_lo
	v_cmpx_ne_u32_e32 0x7f, v32
	s_cbranch_execz .LBB263_31
; %bb.28:                               ;   in Loop: Header=BB263_9 Depth=1
	v_and_b32_e32 v30, 7, v1
	v_lshrrev_b32_e32 v31, 3, v32
	s_mov_b32 s34, exec_lo
	v_cmpx_gt_u32_e32 8, v32
; %bb.29:                               ;   in Loop: Header=BB263_9 Depth=1
	v_ffbh_u32_e32 v30, v30
	v_min_u32_e32 v32, 32, v30
	v_subrev_nc_u32_e32 v30, 28, v32
	v_lshlrev_b64 v[30:31], v30, v[1:2]
	v_sub_nc_u32_e32 v31, 29, v32
	v_and_b32_e32 v30, 7, v30
; %bb.30:                               ;   in Loop: Header=BB263_9 Depth=1
	s_or_b32 exec_lo, exec_lo, s34
	v_lshlrev_b32_e32 v1, 8, v1
	v_lshl_add_u32 v31, v31, 10, 0x2000
	v_lshlrev_b32_e32 v30, 7, v30
	v_and_b32_e32 v1, 0x8000, v1
	v_and_b32_e32 v31, 0xfc00, v31
	v_or3_b32 v30, v1, v31, v30
.LBB263_31:                             ;   in Loop: Header=BB263_9 Depth=1
	s_or_b32 exec_lo, exec_lo, s33
.LBB263_32:                             ;   in Loop: Header=BB263_9 Depth=1
	s_or_b32 exec_lo, exec_lo, s31
.LBB263_33:                             ;   in Loop: Header=BB263_9 Depth=1
	s_or_b32 exec_lo, exec_lo, s3
	s_mov_b32 s3, exec_lo
	v_cmpx_lt_u32_e32 0xffffff, v9
	s_cbranch_execz .LBB263_41
; %bb.34:                               ;   in Loop: Header=BB263_9 Depth=1
	v_lshrrev_b32_e32 v1, 24, v9
	v_bfrev_b32_e32 v29, 1
	s_mov_b32 s31, exec_lo
	v_cmpx_ne_u32_e32 0x80, v1
	s_cbranch_execz .LBB263_40
; %bb.35:                               ;   in Loop: Header=BB263_9 Depth=1
	v_and_b32_e32 v31, 0x7f, v1
	v_mov_b32_e32 v29, 0x7c010000
	s_mov_b32 s33, exec_lo
	v_cmpx_ne_u32_e32 0x7f, v31
	s_cbranch_execz .LBB263_39
; %bb.36:                               ;   in Loop: Header=BB263_9 Depth=1
	v_and_b32_e32 v9, 7, v1
	v_lshrrev_b32_e32 v29, 3, v31
	s_mov_b32 s34, exec_lo
	v_cmpx_gt_u32_e32 8, v31
; %bb.37:                               ;   in Loop: Header=BB263_9 Depth=1
	v_ffbh_u32_e32 v9, v9
	v_min_u32_e32 v9, 32, v9
	v_subrev_nc_u32_e32 v29, 28, v9
	v_lshlrev_b64 v[31:32], v29, v[1:2]
	v_sub_nc_u32_e32 v29, 29, v9
	v_and_b32_e32 v9, 7, v31
; %bb.38:                               ;   in Loop: Header=BB263_9 Depth=1
	s_or_b32 exec_lo, exec_lo, s34
	v_lshlrev_b32_e32 v1, 8, v1
	v_lshl_add_u32 v29, v29, 10, 0x2000
	v_lshlrev_b32_e32 v9, 23, v9
	v_and_or_b32 v1, 0x8000, v1, v29
	v_lshl_or_b32 v29, v1, 16, v9
.LBB263_39:                             ;   in Loop: Header=BB263_9 Depth=1
	s_or_b32 exec_lo, exec_lo, s33
.LBB263_40:                             ;   in Loop: Header=BB263_9 Depth=1
	s_or_b32 exec_lo, exec_lo, s31
.LBB263_41:                             ;   in Loop: Header=BB263_9 Depth=1
	s_or_b32 exec_lo, exec_lo, s3
	global_load_dword v9, v[7:8], off offset:8
	v_mov_b32_e32 v31, 0
	v_mov_b32_e32 v32, 0
	s_waitcnt vmcnt(0)
	v_cmp_ne_u16_sdwa s2, v9, v2 src0_sel:BYTE_0 src1_sel:DWORD
	s_and_saveexec_b32 s3, s2
	s_cbranch_execz .LBB263_49
; %bb.42:                               ;   in Loop: Header=BB263_9 Depth=1
	v_cmp_ne_u16_sdwa s2, v9, v21 src0_sel:BYTE_0 src1_sel:DWORD
	v_mov_b32_e32 v32, 0x8000
	s_and_saveexec_b32 s31, s2
	s_cbranch_execz .LBB263_48
; %bb.43:                               ;   in Loop: Header=BB263_9 Depth=1
	v_and_b32_e32 v33, 0x7f, v9
	v_mov_b32_e32 v32, 0x7c01
	s_mov_b32 s33, exec_lo
	v_cmpx_ne_u32_e32 0x7f, v33
	s_cbranch_execz .LBB263_47
; %bb.44:                               ;   in Loop: Header=BB263_9 Depth=1
	v_and_b32_e32 v1, 7, v9
	v_lshrrev_b32_e32 v32, 3, v33
	s_mov_b32 s34, exec_lo
	v_cmpx_gt_u32_e32 8, v33
; %bb.45:                               ;   in Loop: Header=BB263_9 Depth=1
	v_ffbh_u32_e32 v1, v1
	v_min_u32_e32 v1, 32, v1
	v_subrev_nc_u32_e32 v32, 28, v1
	v_lshlrev_b64 v[33:34], v32, v[9:10]
	v_sub_nc_u32_e32 v32, 29, v1
	v_and_b32_e32 v1, 7, v33
; %bb.46:                               ;   in Loop: Header=BB263_9 Depth=1
	s_or_b32 exec_lo, exec_lo, s34
	v_lshlrev_b32_e32 v33, 8, v9
	v_lshl_add_u32 v32, v32, 10, 0x2000
	v_lshlrev_b32_e32 v1, 7, v1
	v_and_b32_e32 v33, 0x8000, v33
	v_and_b32_e32 v32, 0xfc00, v32
	v_or3_b32 v32, v33, v32, v1
.LBB263_47:                             ;   in Loop: Header=BB263_9 Depth=1
	s_or_b32 exec_lo, exec_lo, s33
.LBB263_48:                             ;   in Loop: Header=BB263_9 Depth=1
	s_or_b32 exec_lo, exec_lo, s31
.LBB263_49:                             ;   in Loop: Header=BB263_9 Depth=1
	s_or_b32 exec_lo, exec_lo, s3
	v_lshrrev_b16 v1, 8, v9
	s_mov_b32 s3, exec_lo
	v_cmpx_ne_u16_e32 0, v1
	s_cbranch_execz .LBB263_57
; %bb.50:                               ;   in Loop: Header=BB263_9 Depth=1
	v_bfrev_b32_e32 v31, 1
	s_mov_b32 s31, exec_lo
	v_cmpx_ne_u16_e32 0x80, v1
	s_cbranch_execz .LBB263_56
; %bb.51:                               ;   in Loop: Header=BB263_9 Depth=1
	v_and_b32_sdwa v34, v1, v22 dst_sel:DWORD dst_unused:UNUSED_PAD src0_sel:WORD_0 src1_sel:DWORD
	v_mov_b32_e32 v31, 0x7c010000
	s_mov_b32 s33, exec_lo
	v_cmpx_ne_u32_e32 0x7f, v34
	s_cbranch_execz .LBB263_55
; %bb.52:                               ;   in Loop: Header=BB263_9 Depth=1
	v_and_b32_sdwa v31, v1, v23 dst_sel:DWORD dst_unused:UNUSED_PAD src0_sel:WORD_0 src1_sel:DWORD
	v_lshrrev_b32_e32 v33, 3, v34
	s_mov_b32 s34, exec_lo
	v_cmpx_gt_u32_e32 8, v34
; %bb.53:                               ;   in Loop: Header=BB263_9 Depth=1
	v_ffbh_u32_e32 v31, v31
	v_min_u32_e32 v31, 32, v31
	v_subrev_nc_u32_e32 v33, 28, v31
	v_lshlrev_b64 v[34:35], v33, v[1:2]
	v_sub_nc_u32_e32 v33, 29, v31
	v_and_b32_e32 v31, 7, v34
; %bb.54:                               ;   in Loop: Header=BB263_9 Depth=1
	s_or_b32 exec_lo, exec_lo, s34
	v_lshlrev_b32_sdwa v1, v24, v1 dst_sel:DWORD dst_unused:UNUSED_PAD src0_sel:DWORD src1_sel:WORD_0
	v_lshl_add_u32 v33, v33, 10, 0x2000
	v_lshlrev_b32_e32 v31, 23, v31
	v_and_or_b32 v1, 0x8000, v1, v33
	v_lshl_or_b32 v31, v1, 16, v31
.LBB263_55:                             ;   in Loop: Header=BB263_9 Depth=1
	s_or_b32 exec_lo, exec_lo, s33
.LBB263_56:                             ;   in Loop: Header=BB263_9 Depth=1
	s_or_b32 exec_lo, exec_lo, s31
.LBB263_57:                             ;   in Loop: Header=BB263_9 Depth=1
	s_or_b32 exec_lo, exec_lo, s3
	v_lshrrev_b32_e32 v1, 16, v9
	v_mov_b32_e32 v33, 0
	v_mov_b32_e32 v34, 0
	v_cmp_ne_u16_sdwa s2, v1, v2 src0_sel:BYTE_0 src1_sel:DWORD
	s_and_saveexec_b32 s3, s2
	s_cbranch_execz .LBB263_65
; %bb.58:                               ;   in Loop: Header=BB263_9 Depth=1
	v_cmp_ne_u16_sdwa s2, v1, v21 src0_sel:BYTE_0 src1_sel:DWORD
	v_mov_b32_e32 v34, 0x8000
	s_and_saveexec_b32 s31, s2
	s_cbranch_execz .LBB263_64
; %bb.59:                               ;   in Loop: Header=BB263_9 Depth=1
	v_bfe_u32 v36, v9, 16, 7
	v_mov_b32_e32 v34, 0x7c01
	s_mov_b32 s33, exec_lo
	v_cmpx_ne_u32_e32 0x7f, v36
	s_cbranch_execz .LBB263_63
; %bb.60:                               ;   in Loop: Header=BB263_9 Depth=1
	v_and_b32_e32 v34, 7, v1
	v_lshrrev_b32_e32 v35, 3, v36
	s_mov_b32 s34, exec_lo
	v_cmpx_gt_u32_e32 8, v36
; %bb.61:                               ;   in Loop: Header=BB263_9 Depth=1
	v_ffbh_u32_e32 v34, v34
	v_min_u32_e32 v36, 32, v34
	v_subrev_nc_u32_e32 v34, 28, v36
	v_lshlrev_b64 v[34:35], v34, v[1:2]
	v_sub_nc_u32_e32 v35, 29, v36
	v_and_b32_e32 v34, 7, v34
; %bb.62:                               ;   in Loop: Header=BB263_9 Depth=1
	s_or_b32 exec_lo, exec_lo, s34
	v_lshlrev_b32_e32 v1, 8, v1
	v_lshl_add_u32 v35, v35, 10, 0x2000
	v_lshlrev_b32_e32 v34, 7, v34
	v_and_b32_e32 v1, 0x8000, v1
	v_and_b32_e32 v35, 0xfc00, v35
	v_or3_b32 v34, v1, v35, v34
.LBB263_63:                             ;   in Loop: Header=BB263_9 Depth=1
	s_or_b32 exec_lo, exec_lo, s33
.LBB263_64:                             ;   in Loop: Header=BB263_9 Depth=1
	s_or_b32 exec_lo, exec_lo, s31
.LBB263_65:                             ;   in Loop: Header=BB263_9 Depth=1
	s_or_b32 exec_lo, exec_lo, s3
	s_mov_b32 s3, exec_lo
	v_cmpx_lt_u32_e32 0xffffff, v9
	s_cbranch_execz .LBB263_73
; %bb.66:                               ;   in Loop: Header=BB263_9 Depth=1
	v_lshrrev_b32_e32 v1, 24, v9
	v_bfrev_b32_e32 v33, 1
	s_mov_b32 s31, exec_lo
	v_cmpx_ne_u32_e32 0x80, v1
	s_cbranch_execz .LBB263_72
; %bb.67:                               ;   in Loop: Header=BB263_9 Depth=1
	v_and_b32_e32 v35, 0x7f, v1
	v_mov_b32_e32 v33, 0x7c010000
	s_mov_b32 s33, exec_lo
	v_cmpx_ne_u32_e32 0x7f, v35
	s_cbranch_execz .LBB263_71
; %bb.68:                               ;   in Loop: Header=BB263_9 Depth=1
	v_and_b32_e32 v9, 7, v1
	v_lshrrev_b32_e32 v33, 3, v35
	s_mov_b32 s34, exec_lo
	v_cmpx_gt_u32_e32 8, v35
; %bb.69:                               ;   in Loop: Header=BB263_9 Depth=1
	v_ffbh_u32_e32 v9, v9
	v_min_u32_e32 v9, 32, v9
	v_subrev_nc_u32_e32 v33, 28, v9
	v_lshlrev_b64 v[35:36], v33, v[1:2]
	v_sub_nc_u32_e32 v33, 29, v9
	v_and_b32_e32 v9, 7, v35
; %bb.70:                               ;   in Loop: Header=BB263_9 Depth=1
	s_or_b32 exec_lo, exec_lo, s34
	v_lshlrev_b32_e32 v1, 8, v1
	v_lshl_add_u32 v33, v33, 10, 0x2000
	v_lshlrev_b32_e32 v9, 23, v9
	v_and_or_b32 v1, 0x8000, v1, v33
	v_lshl_or_b32 v33, v1, 16, v9
.LBB263_71:                             ;   in Loop: Header=BB263_9 Depth=1
	s_or_b32 exec_lo, exec_lo, s33
.LBB263_72:                             ;   in Loop: Header=BB263_9 Depth=1
	s_or_b32 exec_lo, exec_lo, s31
.LBB263_73:                             ;   in Loop: Header=BB263_9 Depth=1
	s_or_b32 exec_lo, exec_lo, s3
	global_load_dword v9, v[7:8], off offset:256
	v_mov_b32_e32 v35, 0
	v_mov_b32_e32 v36, 0
	s_waitcnt vmcnt(0)
	v_cmp_ne_u16_sdwa s2, v9, v2 src0_sel:BYTE_0 src1_sel:DWORD
	s_and_saveexec_b32 s3, s2
	s_cbranch_execz .LBB263_81
; %bb.74:                               ;   in Loop: Header=BB263_9 Depth=1
	v_cmp_ne_u16_sdwa s2, v9, v21 src0_sel:BYTE_0 src1_sel:DWORD
	v_mov_b32_e32 v36, 0x8000
	s_and_saveexec_b32 s31, s2
	s_cbranch_execz .LBB263_80
; %bb.75:                               ;   in Loop: Header=BB263_9 Depth=1
	v_and_b32_e32 v37, 0x7f, v9
	v_mov_b32_e32 v36, 0x7c01
	s_mov_b32 s33, exec_lo
	v_cmpx_ne_u32_e32 0x7f, v37
	s_cbranch_execz .LBB263_79
; %bb.76:                               ;   in Loop: Header=BB263_9 Depth=1
	v_and_b32_e32 v1, 7, v9
	v_lshrrev_b32_e32 v36, 3, v37
	s_mov_b32 s34, exec_lo
	v_cmpx_gt_u32_e32 8, v37
; %bb.77:                               ;   in Loop: Header=BB263_9 Depth=1
	v_ffbh_u32_e32 v1, v1
	v_min_u32_e32 v1, 32, v1
	v_subrev_nc_u32_e32 v36, 28, v1
	v_lshlrev_b64 v[37:38], v36, v[9:10]
	v_sub_nc_u32_e32 v36, 29, v1
	v_and_b32_e32 v1, 7, v37
; %bb.78:                               ;   in Loop: Header=BB263_9 Depth=1
	s_or_b32 exec_lo, exec_lo, s34
	v_lshlrev_b32_e32 v37, 8, v9
	v_lshl_add_u32 v36, v36, 10, 0x2000
	v_lshlrev_b32_e32 v1, 7, v1
	v_and_b32_e32 v37, 0x8000, v37
	v_and_b32_e32 v36, 0xfc00, v36
	v_or3_b32 v36, v37, v36, v1
.LBB263_79:                             ;   in Loop: Header=BB263_9 Depth=1
	s_or_b32 exec_lo, exec_lo, s33
.LBB263_80:                             ;   in Loop: Header=BB263_9 Depth=1
	s_or_b32 exec_lo, exec_lo, s31
.LBB263_81:                             ;   in Loop: Header=BB263_9 Depth=1
	s_or_b32 exec_lo, exec_lo, s3
	v_lshrrev_b16 v1, 8, v9
	s_mov_b32 s3, exec_lo
	v_cmpx_ne_u16_e32 0, v1
	s_cbranch_execz .LBB263_89
; %bb.82:                               ;   in Loop: Header=BB263_9 Depth=1
	v_bfrev_b32_e32 v35, 1
	s_mov_b32 s31, exec_lo
	v_cmpx_ne_u16_e32 0x80, v1
	s_cbranch_execz .LBB263_88
; %bb.83:                               ;   in Loop: Header=BB263_9 Depth=1
	v_and_b32_sdwa v38, v1, v22 dst_sel:DWORD dst_unused:UNUSED_PAD src0_sel:WORD_0 src1_sel:DWORD
	v_mov_b32_e32 v35, 0x7c010000
	s_mov_b32 s33, exec_lo
	v_cmpx_ne_u32_e32 0x7f, v38
	s_cbranch_execz .LBB263_87
; %bb.84:                               ;   in Loop: Header=BB263_9 Depth=1
	v_and_b32_sdwa v35, v1, v23 dst_sel:DWORD dst_unused:UNUSED_PAD src0_sel:WORD_0 src1_sel:DWORD
	v_lshrrev_b32_e32 v37, 3, v38
	s_mov_b32 s34, exec_lo
	v_cmpx_gt_u32_e32 8, v38
; %bb.85:                               ;   in Loop: Header=BB263_9 Depth=1
	v_ffbh_u32_e32 v35, v35
	v_min_u32_e32 v35, 32, v35
	v_subrev_nc_u32_e32 v37, 28, v35
	v_lshlrev_b64 v[38:39], v37, v[1:2]
	v_sub_nc_u32_e32 v37, 29, v35
	v_and_b32_e32 v35, 7, v38
; %bb.86:                               ;   in Loop: Header=BB263_9 Depth=1
	s_or_b32 exec_lo, exec_lo, s34
	v_lshlrev_b32_sdwa v1, v24, v1 dst_sel:DWORD dst_unused:UNUSED_PAD src0_sel:DWORD src1_sel:WORD_0
	v_lshl_add_u32 v37, v37, 10, 0x2000
	v_lshlrev_b32_e32 v35, 23, v35
	v_and_or_b32 v1, 0x8000, v1, v37
	v_lshl_or_b32 v35, v1, 16, v35
.LBB263_87:                             ;   in Loop: Header=BB263_9 Depth=1
	s_or_b32 exec_lo, exec_lo, s33
.LBB263_88:                             ;   in Loop: Header=BB263_9 Depth=1
	s_or_b32 exec_lo, exec_lo, s31
.LBB263_89:                             ;   in Loop: Header=BB263_9 Depth=1
	s_or_b32 exec_lo, exec_lo, s3
	v_lshrrev_b32_e32 v1, 16, v9
	v_mov_b32_e32 v37, 0
	v_mov_b32_e32 v38, 0
	v_cmp_ne_u16_sdwa s2, v1, v2 src0_sel:BYTE_0 src1_sel:DWORD
	s_and_saveexec_b32 s3, s2
	s_cbranch_execz .LBB263_97
; %bb.90:                               ;   in Loop: Header=BB263_9 Depth=1
	v_cmp_ne_u16_sdwa s2, v1, v21 src0_sel:BYTE_0 src1_sel:DWORD
	v_mov_b32_e32 v38, 0x8000
	s_and_saveexec_b32 s31, s2
	s_cbranch_execz .LBB263_96
; %bb.91:                               ;   in Loop: Header=BB263_9 Depth=1
	v_bfe_u32 v40, v9, 16, 7
	v_mov_b32_e32 v38, 0x7c01
	s_mov_b32 s33, exec_lo
	v_cmpx_ne_u32_e32 0x7f, v40
	s_cbranch_execz .LBB263_95
; %bb.92:                               ;   in Loop: Header=BB263_9 Depth=1
	v_and_b32_e32 v38, 7, v1
	v_lshrrev_b32_e32 v39, 3, v40
	s_mov_b32 s34, exec_lo
	v_cmpx_gt_u32_e32 8, v40
; %bb.93:                               ;   in Loop: Header=BB263_9 Depth=1
	v_ffbh_u32_e32 v38, v38
	v_min_u32_e32 v40, 32, v38
	v_subrev_nc_u32_e32 v38, 28, v40
	v_lshlrev_b64 v[38:39], v38, v[1:2]
	v_sub_nc_u32_e32 v39, 29, v40
	v_and_b32_e32 v38, 7, v38
; %bb.94:                               ;   in Loop: Header=BB263_9 Depth=1
	s_or_b32 exec_lo, exec_lo, s34
	v_lshlrev_b32_e32 v1, 8, v1
	v_lshl_add_u32 v39, v39, 10, 0x2000
	v_lshlrev_b32_e32 v38, 7, v38
	v_and_b32_e32 v1, 0x8000, v1
	v_and_b32_e32 v39, 0xfc00, v39
	v_or3_b32 v38, v1, v39, v38
.LBB263_95:                             ;   in Loop: Header=BB263_9 Depth=1
	s_or_b32 exec_lo, exec_lo, s33
.LBB263_96:                             ;   in Loop: Header=BB263_9 Depth=1
	s_or_b32 exec_lo, exec_lo, s31
.LBB263_97:                             ;   in Loop: Header=BB263_9 Depth=1
	s_or_b32 exec_lo, exec_lo, s3
	s_mov_b32 s3, exec_lo
	v_cmpx_lt_u32_e32 0xffffff, v9
	s_cbranch_execz .LBB263_105
; %bb.98:                               ;   in Loop: Header=BB263_9 Depth=1
	v_lshrrev_b32_e32 v1, 24, v9
	v_bfrev_b32_e32 v37, 1
	s_mov_b32 s31, exec_lo
	v_cmpx_ne_u32_e32 0x80, v1
	s_cbranch_execz .LBB263_104
; %bb.99:                               ;   in Loop: Header=BB263_9 Depth=1
	v_and_b32_e32 v39, 0x7f, v1
	v_mov_b32_e32 v37, 0x7c010000
	s_mov_b32 s33, exec_lo
	v_cmpx_ne_u32_e32 0x7f, v39
	s_cbranch_execz .LBB263_103
; %bb.100:                              ;   in Loop: Header=BB263_9 Depth=1
	v_and_b32_e32 v9, 7, v1
	v_lshrrev_b32_e32 v37, 3, v39
	s_mov_b32 s34, exec_lo
	v_cmpx_gt_u32_e32 8, v39
; %bb.101:                              ;   in Loop: Header=BB263_9 Depth=1
	v_ffbh_u32_e32 v9, v9
	v_min_u32_e32 v9, 32, v9
	v_subrev_nc_u32_e32 v37, 28, v9
	v_lshlrev_b64 v[39:40], v37, v[1:2]
	v_sub_nc_u32_e32 v37, 29, v9
	v_and_b32_e32 v9, 7, v39
; %bb.102:                              ;   in Loop: Header=BB263_9 Depth=1
	s_or_b32 exec_lo, exec_lo, s34
	v_lshlrev_b32_e32 v1, 8, v1
	v_lshl_add_u32 v37, v37, 10, 0x2000
	v_lshlrev_b32_e32 v9, 23, v9
	v_and_or_b32 v1, 0x8000, v1, v37
	v_lshl_or_b32 v37, v1, 16, v9
.LBB263_103:                            ;   in Loop: Header=BB263_9 Depth=1
	s_or_b32 exec_lo, exec_lo, s33
.LBB263_104:                            ;   in Loop: Header=BB263_9 Depth=1
	s_or_b32 exec_lo, exec_lo, s31
.LBB263_105:                            ;   in Loop: Header=BB263_9 Depth=1
	s_or_b32 exec_lo, exec_lo, s3
	global_load_dword v7, v[7:8], off offset:264
	v_mov_b32_e32 v8, 0
	v_mov_b32_e32 v9, 0
	s_waitcnt vmcnt(0)
	v_cmp_ne_u16_sdwa s2, v7, v2 src0_sel:BYTE_0 src1_sel:DWORD
	s_and_saveexec_b32 s3, s2
	s_cbranch_execz .LBB263_113
; %bb.106:                              ;   in Loop: Header=BB263_9 Depth=1
	v_cmp_ne_u16_sdwa s2, v7, v21 src0_sel:BYTE_0 src1_sel:DWORD
	v_mov_b32_e32 v9, 0x8000
	s_and_saveexec_b32 s31, s2
	s_cbranch_execz .LBB263_112
; %bb.107:                              ;   in Loop: Header=BB263_9 Depth=1
	v_and_b32_e32 v39, 0x7f, v7
	v_mov_b32_e32 v9, 0x7c01
	s_mov_b32 s33, exec_lo
	v_cmpx_ne_u32_e32 0x7f, v39
	s_cbranch_execz .LBB263_111
; %bb.108:                              ;   in Loop: Header=BB263_9 Depth=1
	v_and_b32_e32 v1, 7, v7
	v_lshrrev_b32_e32 v9, 3, v39
	s_mov_b32 s34, exec_lo
	v_cmpx_gt_u32_e32 8, v39
; %bb.109:                              ;   in Loop: Header=BB263_9 Depth=1
	v_ffbh_u32_e32 v1, v1
	v_min_u32_e32 v1, 32, v1
	v_subrev_nc_u32_e32 v9, 28, v1
	v_lshlrev_b64 v[39:40], v9, v[7:8]
	v_sub_nc_u32_e32 v9, 29, v1
	v_and_b32_e32 v1, 7, v39
; %bb.110:                              ;   in Loop: Header=BB263_9 Depth=1
	s_or_b32 exec_lo, exec_lo, s34
	v_lshlrev_b32_e32 v39, 8, v7
	v_lshl_add_u32 v9, v9, 10, 0x2000
	v_lshlrev_b32_e32 v1, 7, v1
	v_and_b32_e32 v39, 0x8000, v39
	v_and_b32_e32 v9, 0xfc00, v9
	v_or3_b32 v9, v39, v9, v1
.LBB263_111:                            ;   in Loop: Header=BB263_9 Depth=1
	s_or_b32 exec_lo, exec_lo, s33
.LBB263_112:                            ;   in Loop: Header=BB263_9 Depth=1
	s_or_b32 exec_lo, exec_lo, s31
.LBB263_113:                            ;   in Loop: Header=BB263_9 Depth=1
	s_or_b32 exec_lo, exec_lo, s3
	v_lshrrev_b16 v1, 8, v7
	s_mov_b32 s3, exec_lo
	v_cmpx_ne_u16_e32 0, v1
	s_cbranch_execz .LBB263_121
; %bb.114:                              ;   in Loop: Header=BB263_9 Depth=1
	v_bfrev_b32_e32 v8, 1
	s_mov_b32 s31, exec_lo
	v_cmpx_ne_u16_e32 0x80, v1
	s_cbranch_execz .LBB263_120
; %bb.115:                              ;   in Loop: Header=BB263_9 Depth=1
	v_and_b32_sdwa v40, v1, v22 dst_sel:DWORD dst_unused:UNUSED_PAD src0_sel:WORD_0 src1_sel:DWORD
	v_mov_b32_e32 v8, 0x7c010000
	s_mov_b32 s33, exec_lo
	v_cmpx_ne_u32_e32 0x7f, v40
	s_cbranch_execz .LBB263_119
; %bb.116:                              ;   in Loop: Header=BB263_9 Depth=1
	v_and_b32_sdwa v8, v1, v23 dst_sel:DWORD dst_unused:UNUSED_PAD src0_sel:WORD_0 src1_sel:DWORD
	v_lshrrev_b32_e32 v39, 3, v40
	s_mov_b32 s34, exec_lo
	v_cmpx_gt_u32_e32 8, v40
; %bb.117:                              ;   in Loop: Header=BB263_9 Depth=1
	v_ffbh_u32_e32 v8, v8
	v_min_u32_e32 v8, 32, v8
	v_subrev_nc_u32_e32 v39, 28, v8
	v_lshlrev_b64 v[40:41], v39, v[1:2]
	v_sub_nc_u32_e32 v39, 29, v8
	v_and_b32_e32 v8, 7, v40
; %bb.118:                              ;   in Loop: Header=BB263_9 Depth=1
	s_or_b32 exec_lo, exec_lo, s34
	v_lshlrev_b32_sdwa v1, v24, v1 dst_sel:DWORD dst_unused:UNUSED_PAD src0_sel:DWORD src1_sel:WORD_0
	v_lshl_add_u32 v39, v39, 10, 0x2000
	v_lshlrev_b32_e32 v8, 23, v8
	v_and_or_b32 v1, 0x8000, v1, v39
	v_lshl_or_b32 v8, v1, 16, v8
.LBB263_119:                            ;   in Loop: Header=BB263_9 Depth=1
	s_or_b32 exec_lo, exec_lo, s33
.LBB263_120:                            ;   in Loop: Header=BB263_9 Depth=1
	s_or_b32 exec_lo, exec_lo, s31
.LBB263_121:                            ;   in Loop: Header=BB263_9 Depth=1
	s_or_b32 exec_lo, exec_lo, s3
	v_lshrrev_b32_e32 v1, 16, v7
	v_mov_b32_e32 v39, 0
	v_mov_b32_e32 v40, 0
	v_cmp_ne_u16_sdwa s2, v1, v2 src0_sel:BYTE_0 src1_sel:DWORD
	s_and_saveexec_b32 s3, s2
	s_cbranch_execz .LBB263_129
; %bb.122:                              ;   in Loop: Header=BB263_9 Depth=1
	v_cmp_ne_u16_sdwa s2, v1, v21 src0_sel:BYTE_0 src1_sel:DWORD
	v_mov_b32_e32 v40, 0x8000
	s_and_saveexec_b32 s31, s2
	s_cbranch_execz .LBB263_128
; %bb.123:                              ;   in Loop: Header=BB263_9 Depth=1
	v_bfe_u32 v42, v7, 16, 7
	v_mov_b32_e32 v40, 0x7c01
	s_mov_b32 s33, exec_lo
	v_cmpx_ne_u32_e32 0x7f, v42
	s_cbranch_execz .LBB263_127
; %bb.124:                              ;   in Loop: Header=BB263_9 Depth=1
	v_and_b32_e32 v40, 7, v1
	v_lshrrev_b32_e32 v41, 3, v42
	s_mov_b32 s34, exec_lo
	v_cmpx_gt_u32_e32 8, v42
; %bb.125:                              ;   in Loop: Header=BB263_9 Depth=1
	v_ffbh_u32_e32 v40, v40
	v_min_u32_e32 v42, 32, v40
	v_subrev_nc_u32_e32 v40, 28, v42
	v_lshlrev_b64 v[40:41], v40, v[1:2]
	v_sub_nc_u32_e32 v41, 29, v42
	v_and_b32_e32 v40, 7, v40
; %bb.126:                              ;   in Loop: Header=BB263_9 Depth=1
	s_or_b32 exec_lo, exec_lo, s34
	v_lshlrev_b32_e32 v1, 8, v1
	v_lshl_add_u32 v41, v41, 10, 0x2000
	v_lshlrev_b32_e32 v40, 7, v40
	v_and_b32_e32 v1, 0x8000, v1
	v_and_b32_e32 v41, 0xfc00, v41
	v_or3_b32 v40, v1, v41, v40
.LBB263_127:                            ;   in Loop: Header=BB263_9 Depth=1
	s_or_b32 exec_lo, exec_lo, s33
.LBB263_128:                            ;   in Loop: Header=BB263_9 Depth=1
	s_or_b32 exec_lo, exec_lo, s31
.LBB263_129:                            ;   in Loop: Header=BB263_9 Depth=1
	s_or_b32 exec_lo, exec_lo, s3
	s_mov_b32 s3, exec_lo
	v_cmpx_lt_u32_e32 0xffffff, v7
	s_cbranch_execz .LBB263_137
; %bb.130:                              ;   in Loop: Header=BB263_9 Depth=1
	v_lshrrev_b32_e32 v1, 24, v7
	v_bfrev_b32_e32 v39, 1
	s_mov_b32 s31, exec_lo
	v_cmpx_ne_u32_e32 0x80, v1
	s_cbranch_execz .LBB263_136
; %bb.131:                              ;   in Loop: Header=BB263_9 Depth=1
	v_and_b32_e32 v41, 0x7f, v1
	v_mov_b32_e32 v39, 0x7c010000
	s_mov_b32 s33, exec_lo
	v_cmpx_ne_u32_e32 0x7f, v41
	s_cbranch_execz .LBB263_135
; %bb.132:                              ;   in Loop: Header=BB263_9 Depth=1
	v_and_b32_e32 v7, 7, v1
	v_lshrrev_b32_e32 v39, 3, v41
	s_mov_b32 s34, exec_lo
	v_cmpx_gt_u32_e32 8, v41
; %bb.133:                              ;   in Loop: Header=BB263_9 Depth=1
	v_ffbh_u32_e32 v7, v7
	v_min_u32_e32 v7, 32, v7
	v_subrev_nc_u32_e32 v39, 28, v7
	v_lshlrev_b64 v[41:42], v39, v[1:2]
	v_sub_nc_u32_e32 v39, 29, v7
	v_and_b32_e32 v7, 7, v41
; %bb.134:                              ;   in Loop: Header=BB263_9 Depth=1
	s_or_b32 exec_lo, exec_lo, s34
	v_lshlrev_b32_e32 v1, 8, v1
	v_lshl_add_u32 v39, v39, 10, 0x2000
	v_lshlrev_b32_e32 v7, 23, v7
	v_and_or_b32 v1, 0x8000, v1, v39
	v_lshl_or_b32 v39, v1, 16, v7
.LBB263_135:                            ;   in Loop: Header=BB263_9 Depth=1
	s_or_b32 exec_lo, exec_lo, s33
.LBB263_136:                            ;   in Loop: Header=BB263_9 Depth=1
	s_or_b32 exec_lo, exec_lo, s31
.LBB263_137:                            ;   in Loop: Header=BB263_9 Depth=1
	s_or_b32 exec_lo, exec_lo, s3
	ds_read_b64 v[41:42], v18
	v_or_b32_e32 v1, v28, v27
	v_or_b32_e32 v7, v29, v30
	v_fma_mixlo_f16 v27, v26, v28, 0 op_sel:[0,1,0] op_sel_hi:[0,1,0]
	v_fma_mixlo_f16 v28, v26, v29, 0 op_sel:[0,1,0] op_sel_hi:[0,1,0]
	v_or_b32_e32 v9, v8, v9
	v_fma_mixlo_f16 v1, v26, v1, 0 op_sel_hi:[0,1,0]
	v_fma_mixlo_f16 v7, v26, v7, 0 op_sel_hi:[0,1,0]
	v_and_b32_e32 v27, 0xffff, v27
	v_and_b32_e32 v28, 0xffff, v28
	v_or_b32_e32 v40, v39, v40
	v_and_b32_e32 v30, 0xffff, v1
	v_and_b32_e32 v7, 0xffff, v7
	v_fma_mixlo_f16 v9, v26, v9, 0 op_sel_hi:[0,1,0]
	v_fma_mixlo_f16 v39, v26, v39, 0 op_sel:[0,1,0] op_sel_hi:[0,1,0]
	v_and_b32_e32 v39, 0xffff, v39
	s_waitcnt lgkmcnt(0)
	v_and_b32_e32 v1, 0xffff, v41
	v_lshrrev_b32_e32 v29, 16, v41
	v_lshrrev_b32_e32 v43, 16, v42
	v_and_b32_e32 v42, 0xffff, v42
	;;#ASMSTART
	v_cvt_f32_f16 v1, v1;
	;;#ASMEND
	;;#ASMSTART
	v_cvt_f32_f16 v29, v29;
	;;#ASMEND
	;; [unrolled: 3-line block ×8, first 2 shown]
	ds_read_b64 v[27:28], v18 offset:8
	v_or_b32_e32 v7, v31, v32
	v_or_b32_e32 v32, v33, v34
	v_fma_mixlo_f16 v31, v26, v31, 0 op_sel:[0,1,0] op_sel_hi:[0,1,0]
	v_fma_mixlo_f16 v33, v26, v33, 0 op_sel:[0,1,0] op_sel_hi:[0,1,0]
	v_fma_mixlo_f16 v7, v26, v7, 0 op_sel_hi:[0,1,0]
	v_fma_mixlo_f16 v32, v26, v32, 0 op_sel_hi:[0,1,0]
	v_and_b32_e32 v34, 0xffff, v31
	v_and_b32_e32 v49, 0xffff, v33
	;; [unrolled: 1-line block ×4, first 2 shown]
	s_waitcnt lgkmcnt(0)
	v_and_b32_e32 v31, 0xffff, v27
	v_lshrrev_b32_e32 v27, 16, v27
	v_lshrrev_b32_e32 v47, 16, v28
	v_and_b32_e32 v28, 0xffff, v28
	;;#ASMSTART
	v_cvt_f32_f16 v31, v31;
	;;#ASMEND
	;;#ASMSTART
	v_cvt_f32_f16 v32, v27;
	;;#ASMEND
	;; [unrolled: 3-line block ×8, first 2 shown]
	ds_read_b64 v[27:28], v18 offset:16
	v_or_b32_e32 v7, v35, v36
	v_or_b32_e32 v36, v37, v38
	v_fma_mixlo_f16 v35, v26, v35, 0 op_sel:[0,1,0] op_sel_hi:[0,1,0]
	v_fma_mixlo_f16 v37, v26, v37, 0 op_sel:[0,1,0] op_sel_hi:[0,1,0]
	;; [unrolled: 1-line block ×3, first 2 shown]
	v_fma_mixlo_f16 v7, v26, v7, 0 op_sel_hi:[0,1,0]
	v_fma_mixlo_f16 v8, v26, v36, 0 op_sel_hi:[0,1,0]
	v_and_b32_e32 v36, 0xffff, v35
	v_and_b32_e32 v52, 0xffff, v37
	v_mul_f32_e32 v31, v31, v33
	v_and_b32_e32 v7, 0xffff, v7
	v_and_b32_e32 v8, 0xffff, v8
	v_mul_f32_e32 v32, v32, v34
	v_mul_f32_e32 v33, v46, v48
	v_fmac_f32_e32 v31, v1, v30
	v_fma_mixlo_f16 v26, v26, v40, 0 op_sel_hi:[0,1,0]
	v_and_b32_e32 v34, 0xffff, v9
	v_fmac_f32_e32 v32, v29, v41
	v_fmac_f32_e32 v33, v42, v44
	s_waitcnt lgkmcnt(0)
	v_and_b32_e32 v35, 0xffff, v27
	v_lshrrev_b32_e32 v37, 16, v27
	v_lshrrev_b32_e32 v50, 16, v28
	v_and_b32_e32 v51, 0xffff, v28
	;;#ASMSTART
	v_cvt_f32_f16 v27, v35;
	;;#ASMEND
	;;#ASMSTART
	v_cvt_f32_f16 v28, v37;
	;;#ASMEND
	;; [unrolled: 3-line block ×8, first 2 shown]
	ds_read_b64 v[7:8], v18 offset:24
	v_fmac_f32_e32 v31, v27, v35
	v_fmac_f32_e32 v32, v28, v36
	v_mul_f32_e32 v9, v47, v49
	v_fmac_f32_e32 v33, v37, v51
	v_and_b32_e32 v38, 0xffff, v38
	v_and_b32_e32 v29, 0xffff, v26
	v_fmac_f32_e32 v9, v43, v45
	v_fmac_f32_e32 v9, v50, v52
	s_waitcnt lgkmcnt(0)
	v_and_b32_e32 v1, 0xffff, v7
	v_lshrrev_b32_e32 v7, 16, v7
	v_lshrrev_b32_e32 v27, 16, v8
	v_and_b32_e32 v28, 0xffff, v8
	;;#ASMSTART
	v_cvt_f32_f16 v1, v1;
	;;#ASMEND
	;;#ASMSTART
	v_cvt_f32_f16 v7, v7;
	;;#ASMEND
	;; [unrolled: 3-line block ×4, first 2 shown]
	v_fmac_f32_e32 v31, v1, v8
	v_fmac_f32_e32 v32, v7, v26
	;;#ASMSTART
	v_cvt_f32_f16 v1, v28;
	;;#ASMEND
	;;#ASMSTART
	v_cvt_f32_f16 v7, v27;
	;;#ASMEND
	;; [unrolled: 3-line block ×3, first 2 shown]
	v_fmac_f32_e32 v33, v1, v8
	v_xor_b32_e32 v8, 1, v15
	v_add_f32_e32 v1, v31, v32
	;;#ASMSTART
	v_cvt_f32_f16 v26, v39;
	;;#ASMEND
	v_fmac_f32_e32 v9, v7, v26
	v_cmp_gt_i32_e64 s2, 32, v8
	v_add_f32_e32 v1, v1, v33
	v_cndmask_b32_e64 v7, v15, v8, s2
	v_add_f32_e32 v1, v9, v1
	v_lshlrev_b32_e32 v7, 2, v7
	ds_bpermute_b32 v7, v7, v1
	s_and_saveexec_b32 s3, vcc_lo
	s_cbranch_execz .LBB263_8
; %bb.138:                              ;   in Loop: Header=BB263_9 Depth=1
	v_add_nc_u32_e32 v8, s4, v19
	s_waitcnt lgkmcnt(0)
	v_add_f32_e32 v1, v1, v7
	v_cmp_gt_i32_e64 s2, s11, v19
	v_cvt_f32_i32_e32 v8, v8
	v_mul_f32_e32 v8, s28, v8
	v_cndmask_b32_e64 v7, 0, v8, s1
	v_max_f32_e32 v8, v16, v16
	v_fmac_f32_e32 v7, s29, v1
	v_max_f32_e32 v1, v8, v7
	v_cndmask_b32_e64 v7, 0, v7, s2
	v_cndmask_b32_e64 v16, v16, v1, s2
	ds_write_b32 v20, v7
	s_branch .LBB263_8
.LBB263_139:
	s_or_b32 exec_lo, exec_lo, s5
.LBB263_140:
	s_or_b32 exec_lo, exec_lo, s19
	v_xor_b32_e32 v1, 16, v15
	v_xor_b32_e32 v4, 8, v15
	v_max_f32_e32 v5, v16, v16
	v_xor_b32_e32 v6, 4, v15
	v_cmp_lt_i32_e32 vcc_lo, v1, v17
	v_cndmask_b32_e32 v1, v15, v1, vcc_lo
	v_cmp_lt_i32_e32 vcc_lo, v4, v17
	v_lshlrev_b32_e32 v3, 2, v1
	v_cndmask_b32_e32 v4, v15, v4, vcc_lo
	v_cmp_lt_i32_e32 vcc_lo, v6, v17
	ds_bpermute_b32 v1, v3, v16
	v_lshlrev_b32_e32 v4, 2, v4
	v_cndmask_b32_e32 v6, v15, v6, vcc_lo
	v_and_b32_e32 v16, 31, v0
	s_waitcnt lgkmcnt(0)
	v_max_f32_e32 v1, v1, v1
	v_max_f32_e32 v1, v5, v1
	ds_bpermute_b32 v5, v4, v1
	s_waitcnt lgkmcnt(0)
	v_max_f32_e32 v7, v5, v5
	v_lshlrev_b32_e32 v5, 2, v6
	v_max_f32_e32 v1, v1, v7
	v_xor_b32_e32 v7, 2, v15
	ds_bpermute_b32 v6, v5, v1
	v_cmp_lt_i32_e32 vcc_lo, v7, v17
	v_cndmask_b32_e32 v8, v15, v7, vcc_lo
	v_cmp_eq_u32_e32 vcc_lo, 0, v16
	s_waitcnt lgkmcnt(0)
	v_max_f32_e32 v6, v6, v6
	v_max_f32_e32 v7, v1, v6
	v_lshlrev_b32_e32 v1, 2, v8
	v_lshlrev_b32_e32 v6, 2, v13
	ds_bpermute_b32 v8, v1, v7
	s_and_saveexec_b32 s1, vcc_lo
	s_cbranch_execz .LBB263_142
; %bb.141:
	s_waitcnt lgkmcnt(0)
	v_max_f32_e32 v8, v8, v8
	v_max_f32_e32 v7, v7, v7
	;; [unrolled: 1-line block ×3, first 2 shown]
	ds_write_b32 v6, v7 offset:64
.LBB263_142:
	s_or_b32 exec_lo, exec_lo, s1
	v_cmp_gt_u32_e64 s1, 4, v16
	s_waitcnt lgkmcnt(0)
	v_mov_b32_e32 v8, 0xff7fffff
	v_lshlrev_b32_e32 v7, 2, v16
	s_barrier
	buffer_gl0_inv
	s_and_saveexec_b32 s2, s1
; %bb.143:
	ds_read_b32 v8, v7 offset:64
; %bb.144:
	s_or_b32 exec_lo, exec_lo, s2
	s_waitcnt lgkmcnt(0)
	ds_bpermute_b32 v9, v1, v8
	v_xor_b32_e32 v18, 1, v15
	v_max_f32_e32 v8, v8, v8
	v_lshlrev_b32_e32 v2, 2, v2
	v_cmp_lt_i32_e64 s2, v18, v17
	v_cndmask_b32_e64 v17, v15, v18, s2
	s_lshl_b32 s2, s16, 4
	s_min_i32 s4, s2, s11
	v_lshlrev_b32_e32 v17, 2, v17
	v_cmp_gt_i32_e64 s2, s4, v0
	s_waitcnt lgkmcnt(0)
	v_max_f32_e32 v9, v9, v9
	v_max_f32_e32 v8, v8, v9
	ds_bpermute_b32 v9, v17, v8
	s_waitcnt lgkmcnt(0)
	v_max_f32_e32 v9, v9, v9
	v_max_f32_e32 v8, v8, v9
	ds_bpermute_b32 v9, v2, v8
	v_mov_b32_e32 v8, 0
	v_lshl_add_u32 v2, v0, 2, 0x60
	s_and_saveexec_b32 s5, s2
	s_cbranch_execz .LBB263_148
; %bb.145:
	v_lshl_add_u32 v18, v0, 2, 0x60
	v_mov_b32_e32 v8, 0
	v_mov_b32_e32 v19, v0
	s_mov_b32 s12, 0
	.p2align	6
.LBB263_146:                            ; =>This Inner Loop Header: Depth=1
	ds_read_b32 v20, v18
	v_add_nc_u32_e32 v19, 0x80, v19
	v_cmp_le_i32_e64 s3, s4, v19
	s_or_b32 s12, s3, s12
	s_waitcnt lgkmcnt(0)
	v_sub_f32_e32 v20, v20, v9
	v_mul_f32_e32 v20, 0x3fb8aa3b, v20
	v_exp_f32_e32 v20, v20
	ds_write_b32 v18, v20
	v_add_f32_e32 v8, v8, v20
	v_add_nc_u32_e32 v18, 0x200, v18
	s_andn2_b32 exec_lo, exec_lo, s12
	s_cbranch_execnz .LBB263_146
; %bb.147:
	s_or_b32 exec_lo, exec_lo, s12
.LBB263_148:
	s_or_b32 exec_lo, exec_lo, s5
	ds_bpermute_b32 v3, v3, v8
	s_waitcnt lgkmcnt(0)
	v_add_f32_e32 v3, v8, v3
	ds_bpermute_b32 v4, v4, v3
	s_waitcnt lgkmcnt(0)
	v_add_f32_e32 v3, v3, v4
	;; [unrolled: 3-line block ×5, first 2 shown]
	s_and_saveexec_b32 s3, vcc_lo
; %bb.149:
	ds_write_b32 v6, v3 offset:80
; %bb.150:
	s_or_b32 exec_lo, exec_lo, s3
	s_waitcnt lgkmcnt(0)
	s_barrier
	buffer_gl0_inv
	s_and_saveexec_b32 s3, s1
; %bb.151:
	ds_read_b32 v3, v7 offset:80
; %bb.152:
	s_or_b32 exec_lo, exec_lo, s3
	s_waitcnt lgkmcnt(0)
	ds_bpermute_b32 v1, v1, v3
	v_lshlrev_b32_e32 v4, 2, v15
	s_waitcnt lgkmcnt(0)
	v_add_f32_e32 v1, v3, v1
	ds_bpermute_b32 v3, v17, v1
	s_waitcnt lgkmcnt(0)
	v_add_f32_e32 v1, v1, v3
	v_and_b32_e32 v3, 0xffffff80, v4
	ds_bpermute_b32 v1, v3, v1
	s_and_saveexec_b32 s1, s2
	s_cbranch_execz .LBB263_155
; %bb.153:
	s_waitcnt lgkmcnt(0)
	v_add_f32_e32 v1, 0x358637bd, v1
	s_mov_b32 s2, 0
	v_div_scale_f32 v3, null, v1, v1, 1.0
	v_div_scale_f32 v6, vcc_lo, 1.0, v1, 1.0
	v_rcp_f32_e32 v4, v3
	v_fma_f32 v5, -v3, v4, 1.0
	v_fmac_f32_e32 v4, v5, v4
	v_mul_f32_e32 v5, v6, v4
	v_fma_f32 v7, -v3, v5, v6
	v_fmac_f32_e32 v5, v7, v4
	v_fma_f32 v3, -v3, v5, v6
	v_div_fmas_f32 v3, v3, v4, v5
	v_div_fixup_f32 v1, v3, v1, 1.0
	v_mov_b32_e32 v3, v0
.LBB263_154:                            ; =>This Inner Loop Header: Depth=1
	ds_read_b32 v4, v2
	v_add_nc_u32_e32 v3, 0x80, v3
	v_cmp_le_i32_e32 vcc_lo, s4, v3
	s_or_b32 s2, vcc_lo, s2
	s_waitcnt lgkmcnt(0)
	v_mul_f32_e32 v4, v1, v4
	ds_write_b32 v2, v4
	v_add_nc_u32_e32 v2, 0x200, v2
	s_andn2_b32 exec_lo, exec_lo, s2
	s_cbranch_execnz .LBB263_154
.LBB263_155:
	s_or_b32 exec_lo, exec_lo, s1
	v_mov_b32_e32 v15, 0
	v_mov_b32_e32 v18, 0
	s_waitcnt lgkmcnt(0)
	s_barrier
	buffer_gl0_inv
	s_and_saveexec_b32 s1, s0
	s_cbranch_execz .LBB263_291
; %bb.156:
	v_lshlrev_b32_e32 v3, 5, v12
	v_and_b32_e32 v4, 0xf8, v10
	v_and_b32_e32 v1, 8, v10
	v_lshlrev_b32_e32 v5, 4, v13
	s_ashr_i32 s0, s18, 31
	s_add_u32 s2, s26, s18
	s_addc_u32 s0, s27, s0
	v_lshl_or_b32 v6, v13, 6, v3
	v_add_co_u32 v3, s2, s2, v4
	v_or3_b32 v19, v5, v1, 7
	v_and_b32_e32 v1, 0x7c, v14
	v_add_co_ci_u32_e64 v4, null, s0, 0, s2
	s_lshl_b64 s[2:3], s[24:25], 2
	s_add_i32 s5, s16, -1
	s_add_u32 s0, s22, s2
	s_addc_u32 s2, s23, s3
	v_add_co_u32 v5, s0, s0, v1
	v_mov_b32_e32 v2, 0
	v_add_nc_u32_e32 v14, 0x60, v6
	v_add_co_ci_u32_e64 v6, null, s2, 0, s0
	v_mov_b32_e32 v20, 0x80
	v_mov_b32_e32 v21, 0x7f
	;; [unrolled: 1-line block ×7, first 2 shown]
	s_mov_b32 s2, -1
	s_mov_b32 s4, s17
	s_mov_b32 s3, 0xffffff
	;; [unrolled: 1-line block ×3, first 2 shown]
	s_branch .LBB263_158
.LBB263_157:                            ;   in Loop: Header=BB263_158 Depth=1
	s_or_b32 exec_lo, exec_lo, s0
	;;#ASMSTART
	v_pk_mul_f16 v1, v35, v42;

	;;#ASMEND
	;;#ASMSTART
	v_pk_mul_f16 v7, v32, v38;

	;;#ASMEND
	;;#ASMSTART
	v_pk_mul_f16 v8, v31, v41;

	;;#ASMEND
	;;#ASMSTART
	v_pk_mul_f16 v9, v30, v40;

	;;#ASMEND
	;;#ASMSTART
	v_pk_add_f16 v1, v1, v7;

	;;#ASMEND
	;;#ASMSTART
	v_pk_add_f16 v1, v1, v8;

	;;#ASMEND
	;; [unrolled: 4-line block ×3, first 2 shown]
	v_and_b32_e32 v7, 0xffff, v1
	v_add_nc_u32_e32 v24, 4, v24
	v_lshrrev_b32_e32 v8, 16, v1
	;;#ASMSTART
	v_cvt_f32_f16 v7, v7;
	;;#ASMEND
	v_add_f32_e32 v1, v33, v34
	;;#ASMSTART
	v_cvt_f32_f16 v8, v8;
	;;#ASMEND
	v_add_f32_e32 v7, v7, v8
	v_cmp_le_i32_e32 vcc_lo, s16, v24
	v_add_co_u32 v5, s0, v5, 16
	v_add_f32_e32 v18, v18, v1
	v_add_f32_e32 v15, v15, v7
	v_add_nc_u32_e32 v19, 64, v19
	v_add_nc_u32_e32 v14, 0x100, v14
	v_add_co_ci_u32_e64 v6, null, 0, v6, s0
	s_or_b32 s12, vcc_lo, s12
	s_andn2_b32 exec_lo, exec_lo, s12
	s_cbranch_execz .LBB263_290
.LBB263_158:                            ; =>This Inner Loop Header: Depth=1
	global_load_dword v1, v[5:6], off
	ds_read2_b64 v[25:28], v14 offset1:1
	ds_read2_b64 v[36:39], v14 offset0:2 offset1:3
	s_waitcnt lgkmcnt(1)
	;;#ASMSTART
	v_cvt_f16_f32 v30, v25;

	;;#ASMEND
	;;#ASMSTART
	v_cvt_f16_f32 v31, v26;

	;;#ASMEND
	;; [unrolled: 4-line block ×4, first 2 shown]
	s_waitcnt lgkmcnt(0)
	;;#ASMSTART
	v_cvt_f16_f32 v36, v36;

	;;#ASMEND
	;;#ASMSTART
	v_cvt_f16_f32 v33, v37;

	;;#ASMEND
	;; [unrolled: 4-line block ×4, first 2 shown]
	v_mov_b32_e32 v26, 0
	s_waitcnt vmcnt(0)
	v_mad_i64_i32 v[7:8], null, v1, s4, v[3:4]
	global_load_dwordx2 v[9:10], v[7:8], off
	global_load_dword v25, v2, s[14:15]
	s_waitcnt vmcnt(1)
	v_cmp_ne_u16_sdwa s13, v9, v2 src0_sel:BYTE_0 src1_sel:DWORD
	s_and_saveexec_b32 s0, s13
	s_cbranch_execz .LBB263_166
; %bb.159:                              ;   in Loop: Header=BB263_158 Depth=1
	v_cmp_ne_u16_sdwa s17, v9, v20 src0_sel:BYTE_0 src1_sel:DWORD
	v_mov_b32_e32 v26, 0x8000
	s_and_saveexec_b32 s13, s17
	s_cbranch_execz .LBB263_165
; %bb.160:                              ;   in Loop: Header=BB263_158 Depth=1
	v_and_b32_e32 v27, 0x7f, v9
	v_mov_b32_e32 v26, 0x7c01
	s_mov_b32 s17, exec_lo
	v_cmpx_ne_u32_e32 0x7f, v27
	s_cbranch_execz .LBB263_164
; %bb.161:                              ;   in Loop: Header=BB263_158 Depth=1
	v_and_b32_e32 v1, 7, v9
	v_lshrrev_b32_e32 v26, 3, v27
	s_mov_b32 s18, exec_lo
	v_cmpx_gt_u32_e32 8, v27
; %bb.162:                              ;   in Loop: Header=BB263_158 Depth=1
	v_ffbh_u32_e32 v1, v1
	v_min_u32_e32 v1, 32, v1
	v_subrev_nc_u32_e32 v26, 28, v1
	v_lshlrev_b64 v[27:28], v26, v[9:10]
	v_sub_nc_u32_e32 v26, 29, v1
	v_and_b32_e32 v1, 7, v27
; %bb.163:                              ;   in Loop: Header=BB263_158 Depth=1
	s_or_b32 exec_lo, exec_lo, s18
	v_lshlrev_b32_e32 v27, 8, v9
	v_lshl_add_u32 v26, v26, 10, 0x2000
	v_lshlrev_b32_e32 v1, 7, v1
	v_and_b32_e32 v27, 0x8000, v27
	v_and_b32_e32 v26, 0xfc00, v26
	v_or3_b32 v26, v27, v26, v1
.LBB263_164:                            ;   in Loop: Header=BB263_158 Depth=1
	s_or_b32 exec_lo, exec_lo, s17
.LBB263_165:                            ;   in Loop: Header=BB263_158 Depth=1
	s_or_b32 exec_lo, exec_lo, s13
.LBB263_166:                            ;   in Loop: Header=BB263_158 Depth=1
	s_or_b32 exec_lo, exec_lo, s0
	v_lshrrev_b16 v1, 8, v9
	v_mov_b32_e32 v28, 0
	v_mov_b32_e32 v27, 0
	s_mov_b32 s0, exec_lo
	v_cmpx_ne_u16_e32 0, v1
	s_cbranch_execz .LBB263_174
; %bb.167:                              ;   in Loop: Header=BB263_158 Depth=1
	v_bfrev_b32_e32 v27, 1
	s_mov_b32 s13, exec_lo
	v_cmpx_ne_u16_e32 0x80, v1
	s_cbranch_execz .LBB263_173
; %bb.168:                              ;   in Loop: Header=BB263_158 Depth=1
	v_and_b32_sdwa v38, v1, v21 dst_sel:DWORD dst_unused:UNUSED_PAD src0_sel:WORD_0 src1_sel:DWORD
	v_mov_b32_e32 v27, 0x7c010000
	s_mov_b32 s17, exec_lo
	v_cmpx_ne_u32_e32 0x7f, v38
	s_cbranch_execz .LBB263_172
; %bb.169:                              ;   in Loop: Header=BB263_158 Depth=1
	v_and_b32_sdwa v27, v1, v22 dst_sel:DWORD dst_unused:UNUSED_PAD src0_sel:WORD_0 src1_sel:DWORD
	v_lshrrev_b32_e32 v29, 3, v38
	s_mov_b32 s18, exec_lo
	v_cmpx_gt_u32_e32 8, v38
; %bb.170:                              ;   in Loop: Header=BB263_158 Depth=1
	v_ffbh_u32_e32 v27, v27
	v_min_u32_e32 v27, 32, v27
	v_subrev_nc_u32_e32 v29, 28, v27
	v_lshlrev_b64 v[38:39], v29, v[1:2]
	v_sub_nc_u32_e32 v29, 29, v27
	v_and_b32_e32 v27, 7, v38
; %bb.171:                              ;   in Loop: Header=BB263_158 Depth=1
	s_or_b32 exec_lo, exec_lo, s18
	v_lshlrev_b32_sdwa v1, v23, v1 dst_sel:DWORD dst_unused:UNUSED_PAD src0_sel:DWORD src1_sel:WORD_0
	v_lshl_add_u32 v29, v29, 10, 0x2000
	v_lshlrev_b32_e32 v27, 23, v27
	v_and_or_b32 v1, 0x8000, v1, v29
	v_lshl_or_b32 v27, v1, 16, v27
.LBB263_172:                            ;   in Loop: Header=BB263_158 Depth=1
	s_or_b32 exec_lo, exec_lo, s17
.LBB263_173:                            ;   in Loop: Header=BB263_158 Depth=1
	s_or_b32 exec_lo, exec_lo, s13
.LBB263_174:                            ;   in Loop: Header=BB263_158 Depth=1
	s_or_b32 exec_lo, exec_lo, s0
	v_lshrrev_b32_e32 v1, 16, v9
	v_cmp_ne_u16_sdwa s13, v1, v2 src0_sel:BYTE_0 src1_sel:DWORD
	s_and_saveexec_b32 s0, s13
	s_cbranch_execz .LBB263_182
; %bb.175:                              ;   in Loop: Header=BB263_158 Depth=1
	v_cmp_ne_u16_sdwa s17, v1, v20 src0_sel:BYTE_0 src1_sel:DWORD
	v_mov_b32_e32 v28, 0x8000
	s_and_saveexec_b32 s13, s17
	s_cbranch_execz .LBB263_181
; %bb.176:                              ;   in Loop: Header=BB263_158 Depth=1
	v_bfe_u32 v38, v9, 16, 7
	v_mov_b32_e32 v28, 0x7c01
	s_mov_b32 s17, exec_lo
	v_cmpx_ne_u32_e32 0x7f, v38
	s_cbranch_execz .LBB263_180
; %bb.177:                              ;   in Loop: Header=BB263_158 Depth=1
	v_and_b32_e32 v28, 7, v1
	v_lshrrev_b32_e32 v29, 3, v38
	s_mov_b32 s18, exec_lo
	v_cmpx_gt_u32_e32 8, v38
; %bb.178:                              ;   in Loop: Header=BB263_158 Depth=1
	v_ffbh_u32_e32 v28, v28
	v_min_u32_e32 v38, 32, v28
	v_subrev_nc_u32_e32 v28, 28, v38
	v_lshlrev_b64 v[28:29], v28, v[1:2]
	v_sub_nc_u32_e32 v29, 29, v38
	v_and_b32_e32 v28, 7, v28
; %bb.179:                              ;   in Loop: Header=BB263_158 Depth=1
	s_or_b32 exec_lo, exec_lo, s18
	v_lshlrev_b32_e32 v1, 8, v1
	v_lshl_add_u32 v29, v29, 10, 0x2000
	v_lshlrev_b32_e32 v28, 7, v28
	v_and_b32_e32 v1, 0x8000, v1
	v_and_b32_e32 v29, 0xfc00, v29
	v_or3_b32 v28, v1, v29, v28
.LBB263_180:                            ;   in Loop: Header=BB263_158 Depth=1
	s_or_b32 exec_lo, exec_lo, s17
.LBB263_181:                            ;   in Loop: Header=BB263_158 Depth=1
	s_or_b32 exec_lo, exec_lo, s13
.LBB263_182:                            ;   in Loop: Header=BB263_158 Depth=1
	s_or_b32 exec_lo, exec_lo, s0
	v_mov_b32_e32 v29, 0
	v_mov_b32_e32 v38, 0
	s_mov_b32 s0, exec_lo
	v_cmpx_lt_u32_e32 0xffffff, v9
	s_cbranch_execz .LBB263_190
; %bb.183:                              ;   in Loop: Header=BB263_158 Depth=1
	v_lshrrev_b32_e32 v1, 24, v9
	v_bfrev_b32_e32 v38, 1
	s_mov_b32 s13, exec_lo
	v_cmpx_ne_u32_e32 0x80, v1
	s_cbranch_execz .LBB263_189
; %bb.184:                              ;   in Loop: Header=BB263_158 Depth=1
	v_and_b32_e32 v40, 0x7f, v1
	v_mov_b32_e32 v38, 0x7c010000
	s_mov_b32 s17, exec_lo
	v_cmpx_ne_u32_e32 0x7f, v40
	s_cbranch_execz .LBB263_188
; %bb.185:                              ;   in Loop: Header=BB263_158 Depth=1
	v_and_b32_e32 v38, 7, v1
	v_lshrrev_b32_e32 v39, 3, v40
	s_mov_b32 s18, exec_lo
	v_cmpx_gt_u32_e32 8, v40
; %bb.186:                              ;   in Loop: Header=BB263_158 Depth=1
	v_ffbh_u32_e32 v38, v38
	v_min_u32_e32 v40, 32, v38
	v_subrev_nc_u32_e32 v38, 28, v40
	v_lshlrev_b64 v[38:39], v38, v[1:2]
	v_sub_nc_u32_e32 v39, 29, v40
	v_and_b32_e32 v38, 7, v38
; %bb.187:                              ;   in Loop: Header=BB263_158 Depth=1
	s_or_b32 exec_lo, exec_lo, s18
	v_lshlrev_b32_e32 v1, 8, v1
	v_lshl_add_u32 v39, v39, 10, 0x2000
	v_lshlrev_b32_e32 v38, 23, v38
	v_and_or_b32 v1, 0x8000, v1, v39
	v_lshl_or_b32 v38, v1, 16, v38
.LBB263_188:                            ;   in Loop: Header=BB263_158 Depth=1
	s_or_b32 exec_lo, exec_lo, s17
.LBB263_189:                            ;   in Loop: Header=BB263_158 Depth=1
	s_or_b32 exec_lo, exec_lo, s13
.LBB263_190:                            ;   in Loop: Header=BB263_158 Depth=1
	s_or_b32 exec_lo, exec_lo, s0
	v_mov_b32_e32 v1, v10
	v_cmp_ne_u16_sdwa s13, v10, v2 src0_sel:BYTE_0 src1_sel:DWORD
	s_and_saveexec_b32 s0, s13
	s_cbranch_execz .LBB263_198
; %bb.191:                              ;   in Loop: Header=BB263_158 Depth=1
	v_cmp_ne_u16_sdwa s17, v10, v20 src0_sel:BYTE_0 src1_sel:DWORD
	v_mov_b32_e32 v29, 0x8000
	s_and_saveexec_b32 s13, s17
	s_cbranch_execz .LBB263_197
; %bb.192:                              ;   in Loop: Header=BB263_158 Depth=1
	v_and_b32_e32 v40, 0x7f, v10
	v_mov_b32_e32 v29, 0x7c01
	s_mov_b32 s17, exec_lo
	v_cmpx_ne_u32_e32 0x7f, v40
	s_cbranch_execz .LBB263_196
; %bb.193:                              ;   in Loop: Header=BB263_158 Depth=1
	v_and_b32_e32 v29, 7, v10
	v_lshrrev_b32_e32 v39, 3, v40
	s_mov_b32 s18, exec_lo
	v_cmpx_gt_u32_e32 8, v40
; %bb.194:                              ;   in Loop: Header=BB263_158 Depth=1
	v_ffbh_u32_e32 v29, v29
	v_min_u32_e32 v29, 32, v29
	v_subrev_nc_u32_e32 v39, 28, v29
	v_lshlrev_b64 v[40:41], v39, v[1:2]
	v_sub_nc_u32_e32 v39, 29, v29
	v_and_b32_e32 v29, 7, v40
; %bb.195:                              ;   in Loop: Header=BB263_158 Depth=1
	s_or_b32 exec_lo, exec_lo, s18
	v_lshlrev_b32_e32 v40, 8, v10
	v_lshl_add_u32 v39, v39, 10, 0x2000
	v_lshlrev_b32_e32 v29, 7, v29
	v_and_b32_e32 v40, 0x8000, v40
	v_and_b32_e32 v39, 0xfc00, v39
	v_or3_b32 v29, v40, v39, v29
.LBB263_196:                            ;   in Loop: Header=BB263_158 Depth=1
	s_or_b32 exec_lo, exec_lo, s17
.LBB263_197:                            ;   in Loop: Header=BB263_158 Depth=1
	s_or_b32 exec_lo, exec_lo, s13
.LBB263_198:                            ;   in Loop: Header=BB263_158 Depth=1
	s_or_b32 exec_lo, exec_lo, s0
	v_lshrrev_b16 v1, 8, v1
	v_mov_b32_e32 v40, 0
	v_mov_b32_e32 v39, 0
	s_mov_b32 s0, exec_lo
	v_cmpx_ne_u16_e32 0, v1
	s_cbranch_execz .LBB263_206
; %bb.199:                              ;   in Loop: Header=BB263_158 Depth=1
	v_bfrev_b32_e32 v39, 1
	s_mov_b32 s13, exec_lo
	v_cmpx_ne_u16_e32 0x80, v1
	s_cbranch_execz .LBB263_205
; %bb.200:                              ;   in Loop: Header=BB263_158 Depth=1
	v_and_b32_sdwa v42, v1, v21 dst_sel:DWORD dst_unused:UNUSED_PAD src0_sel:WORD_0 src1_sel:DWORD
	v_mov_b32_e32 v39, 0x7c010000
	s_mov_b32 s17, exec_lo
	v_cmpx_ne_u32_e32 0x7f, v42
	s_cbranch_execz .LBB263_204
; %bb.201:                              ;   in Loop: Header=BB263_158 Depth=1
	v_and_b32_sdwa v39, v1, v22 dst_sel:DWORD dst_unused:UNUSED_PAD src0_sel:WORD_0 src1_sel:DWORD
	v_lshrrev_b32_e32 v41, 3, v42
	s_mov_b32 s18, exec_lo
	v_cmpx_gt_u32_e32 8, v42
; %bb.202:                              ;   in Loop: Header=BB263_158 Depth=1
	v_ffbh_u32_e32 v39, v39
	v_min_u32_e32 v39, 32, v39
	v_subrev_nc_u32_e32 v41, 28, v39
	v_lshlrev_b64 v[42:43], v41, v[1:2]
	v_sub_nc_u32_e32 v41, 29, v39
	v_and_b32_e32 v39, 7, v42
; %bb.203:                              ;   in Loop: Header=BB263_158 Depth=1
	s_or_b32 exec_lo, exec_lo, s18
	v_lshlrev_b32_sdwa v1, v23, v1 dst_sel:DWORD dst_unused:UNUSED_PAD src0_sel:DWORD src1_sel:WORD_0
	v_lshl_add_u32 v41, v41, 10, 0x2000
	v_lshlrev_b32_e32 v39, 23, v39
	v_and_or_b32 v1, 0x8000, v1, v41
	v_lshl_or_b32 v39, v1, 16, v39
.LBB263_204:                            ;   in Loop: Header=BB263_158 Depth=1
	s_or_b32 exec_lo, exec_lo, s17
.LBB263_205:                            ;   in Loop: Header=BB263_158 Depth=1
	s_or_b32 exec_lo, exec_lo, s13
.LBB263_206:                            ;   in Loop: Header=BB263_158 Depth=1
	s_or_b32 exec_lo, exec_lo, s0
	v_lshrrev_b32_e32 v1, 16, v10
	v_cmp_ne_u16_sdwa s13, v1, v2 src0_sel:BYTE_0 src1_sel:DWORD
	s_and_saveexec_b32 s0, s13
	s_cbranch_execz .LBB263_214
; %bb.207:                              ;   in Loop: Header=BB263_158 Depth=1
	v_cmp_ne_u16_sdwa s17, v1, v20 src0_sel:BYTE_0 src1_sel:DWORD
	v_mov_b32_e32 v40, 0x8000
	s_and_saveexec_b32 s13, s17
	s_cbranch_execz .LBB263_213
; %bb.208:                              ;   in Loop: Header=BB263_158 Depth=1
	v_bfe_u32 v42, v10, 16, 7
	v_mov_b32_e32 v40, 0x7c01
	s_mov_b32 s17, exec_lo
	v_cmpx_ne_u32_e32 0x7f, v42
	s_cbranch_execz .LBB263_212
; %bb.209:                              ;   in Loop: Header=BB263_158 Depth=1
	v_and_b32_e32 v40, 7, v1
	v_lshrrev_b32_e32 v41, 3, v42
	s_mov_b32 s18, exec_lo
	v_cmpx_gt_u32_e32 8, v42
; %bb.210:                              ;   in Loop: Header=BB263_158 Depth=1
	v_ffbh_u32_e32 v40, v40
	v_min_u32_e32 v42, 32, v40
	v_subrev_nc_u32_e32 v40, 28, v42
	v_lshlrev_b64 v[40:41], v40, v[1:2]
	v_sub_nc_u32_e32 v41, 29, v42
	v_and_b32_e32 v40, 7, v40
; %bb.211:                              ;   in Loop: Header=BB263_158 Depth=1
	s_or_b32 exec_lo, exec_lo, s18
	v_lshlrev_b32_e32 v1, 8, v1
	v_lshl_add_u32 v41, v41, 10, 0x2000
	v_lshlrev_b32_e32 v40, 7, v40
	v_and_b32_e32 v1, 0x8000, v1
	v_and_b32_e32 v41, 0xfc00, v41
	v_or3_b32 v40, v1, v41, v40
.LBB263_212:                            ;   in Loop: Header=BB263_158 Depth=1
	s_or_b32 exec_lo, exec_lo, s17
.LBB263_213:                            ;   in Loop: Header=BB263_158 Depth=1
	s_or_b32 exec_lo, exec_lo, s13
.LBB263_214:                            ;   in Loop: Header=BB263_158 Depth=1
	s_or_b32 exec_lo, exec_lo, s0
	v_mov_b32_e32 v41, 0
	s_mov_b32 s0, exec_lo
	v_cmpx_lt_u64_e64 s[2:3], v[9:10]
	s_cbranch_execz .LBB263_222
; %bb.215:                              ;   in Loop: Header=BB263_158 Depth=1
	v_lshrrev_b32_e32 v1, 24, v10
	v_bfrev_b32_e32 v41, 1
	s_mov_b32 s13, exec_lo
	v_cmpx_ne_u32_e32 0x80, v1
	s_cbranch_execz .LBB263_221
; %bb.216:                              ;   in Loop: Header=BB263_158 Depth=1
	v_and_b32_e32 v42, 0x7f, v1
	v_mov_b32_e32 v41, 0x7c010000
	s_mov_b32 s17, exec_lo
	v_cmpx_ne_u32_e32 0x7f, v42
	s_cbranch_execz .LBB263_220
; %bb.217:                              ;   in Loop: Header=BB263_158 Depth=1
	v_and_b32_e32 v9, 7, v1
	v_lshrrev_b32_e32 v10, 3, v42
	s_mov_b32 s18, exec_lo
	v_cmpx_gt_u32_e32 8, v42
; %bb.218:                              ;   in Loop: Header=BB263_158 Depth=1
	v_ffbh_u32_e32 v9, v9
	v_min_u32_e32 v41, 32, v9
	v_subrev_nc_u32_e32 v9, 28, v41
	v_lshlrev_b64 v[9:10], v9, v[1:2]
	v_sub_nc_u32_e32 v10, 29, v41
	v_and_b32_e32 v9, 7, v9
; %bb.219:                              ;   in Loop: Header=BB263_158 Depth=1
	s_or_b32 exec_lo, exec_lo, s18
	v_lshlrev_b32_e32 v1, 8, v1
	v_lshl_add_u32 v10, v10, 10, 0x2000
	v_lshlrev_b32_e32 v9, 23, v9
	v_and_or_b32 v1, 0x8000, v1, v10
	v_lshl_or_b32 v41, v1, 16, v9
.LBB263_220:                            ;   in Loop: Header=BB263_158 Depth=1
	s_or_b32 exec_lo, exec_lo, s17
.LBB263_221:                            ;   in Loop: Header=BB263_158 Depth=1
	s_or_b32 exec_lo, exec_lo, s13
.LBB263_222:                            ;   in Loop: Header=BB263_158 Depth=1
	s_or_b32 exec_lo, exec_lo, s0
	v_or_b32_e32 v1, v38, v28
	s_waitcnt vmcnt(0)
	v_fma_mixlo_f16 v10, v25, v38, 0 op_sel:[0,1,0] op_sel_hi:[0,1,0]
	v_or_b32_e32 v26, v27, v26
	v_fma_mixlo_f16 v27, v25, v27, 0 op_sel:[0,1,0] op_sel_hi:[0,1,0]
	v_or_b32_e32 v28, v39, v29
	v_fma_mixlo_f16 v1, v25, v1, 0 op_sel_hi:[0,1,0]
	v_or_b32_e32 v29, v41, v40
	v_lshlrev_b32_e32 v38, 16, v10
	v_lshlrev_b32_e32 v46, 16, v27
	v_fma_mixlo_f16 v10, v25, v39, 0 op_sel:[0,1,0] op_sel_hi:[0,1,0]
	v_and_b32_e32 v43, 0xffff, v1
	v_fma_mixlo_f16 v1, v25, v26, 0 op_sel_hi:[0,1,0]
	v_fma_mixlo_f16 v26, v25, v28, 0 op_sel_hi:[0,1,0]
	v_fma_mixlo_f16 v27, v25, v41, 0 op_sel:[0,1,0] op_sel_hi:[0,1,0]
	v_fma_mixlo_f16 v25, v25, v29, 0 op_sel_hi:[0,1,0]
	v_lshlrev_b32_e32 v44, 16, v10
	v_and_b32_e32 v48, 0xffff, v1
	v_and_b32_e32 v47, 0xffff, v26
	v_lshlrev_b32_e32 v41, 16, v27
	v_and_b32_e32 v45, 0xffff, v25
	v_add_nc_u32_e32 v9, -7, v19
	v_cmp_eq_u32_e32 vcc_lo, s5, v24
	v_or_b32_e32 v1, v38, v43
	v_or_b32_e32 v39, v46, v48
	;; [unrolled: 1-line block ×4, first 2 shown]
	v_add_nc_u32_e32 v29, -6, v19
	v_add_nc_u32_e32 v28, -5, v19
	;; [unrolled: 1-line block ×6, first 2 shown]
	s_and_saveexec_b32 s13, vcc_lo
	s_cbranch_execz .LBB263_224
; %bb.223:                              ;   in Loop: Header=BB263_158 Depth=1
	v_cmp_gt_i32_e64 s0, s11, v9
	v_cndmask_b32_e64 v1, 0, v48, s0
	v_cmp_gt_i32_e64 s0, s11, v29
	v_cndmask_b32_e64 v39, 0, v46, s0
	v_cmp_gt_i32_e64 s0, s11, v28
	v_or_b32_e32 v39, v39, v1
	v_cndmask_b32_e64 v40, 0, v43, s0
	v_cmp_gt_i32_e64 s0, s11, v27
	v_cndmask_b32_e64 v38, 0, v38, s0
	v_cmp_gt_i32_e64 s0, s11, v26
	v_or_b32_e32 v1, v38, v40
	;; [unrolled: 5-line block ×3, first 2 shown]
	v_cndmask_b32_e64 v44, 0, v45, s0
	v_cmp_gt_i32_e64 s0, s11, v19
	v_cndmask_b32_e64 v41, 0, v41, s0
	v_or_b32_e32 v42, v41, v44
.LBB263_224:                            ;   in Loop: Header=BB263_158 Depth=1
	s_or_b32 exec_lo, exec_lo, s13
	v_and_b32_e32 v30, 0xffff, v30
	v_and_b32_e32 v38, 0xffff, v35
	v_and_b32_e32 v36, 0xffff, v36
	v_and_b32_e32 v37, 0xffff, v37
	v_lshl_or_b32 v35, v31, 16, v30
	v_lshl_or_b32 v32, v32, 16, v38
	;; [unrolled: 1-line block ×3, first 2 shown]
	;;#ASMSTART
	v_pk_mul_f16 v33, v35, v39;

	;;#ASMEND
	;;#ASMSTART
	v_pk_mul_f16 v1, v32, v1;

	;;#ASMEND
	v_lshl_or_b32 v30, v34, 16, v37
	;;#ASMSTART
	v_pk_mul_f16 v34, v31, v40;

	;;#ASMEND
	;;#ASMSTART
	v_pk_mul_f16 v36, v30, v42;

	;;#ASMEND
	;;#ASMSTART
	v_pk_add_f16 v1, v33, v1;

	;;#ASMEND
	;;#ASMSTART
	v_pk_add_f16 v1, v1, v34;

	;;#ASMEND
	;;#ASMSTART
	v_pk_add_f16 v1, v1, v36;

	;;#ASMEND
	v_and_b32_e32 v33, 0xffff, v1
	v_lshrrev_b32_e32 v1, 16, v1
	;;#ASMSTART
	v_cvt_f32_f16 v33, v33;
	;;#ASMEND
	;;#ASMSTART
	v_cvt_f32_f16 v34, v1;
	;;#ASMEND
	global_load_dwordx2 v[7:8], v[7:8], off offset:256
	v_mov_b32_e32 v37, 0
	v_mov_b32_e32 v38, 0
	global_load_dword v36, v37, s[14:15]
	s_waitcnt vmcnt(1)
	v_cmp_ne_u16_sdwa s0, v7, v2 src0_sel:BYTE_0 src1_sel:DWORD
	s_and_saveexec_b32 s13, s0
	s_cbranch_execz .LBB263_232
; %bb.225:                              ;   in Loop: Header=BB263_158 Depth=1
	v_cmp_ne_u16_sdwa s0, v7, v20 src0_sel:BYTE_0 src1_sel:DWORD
	v_mov_b32_e32 v38, 0x8000
	s_and_saveexec_b32 s17, s0
	s_cbranch_execz .LBB263_231
; %bb.226:                              ;   in Loop: Header=BB263_158 Depth=1
	v_and_b32_e32 v39, 0x7f, v7
	v_mov_b32_e32 v38, 0x7c01
	s_mov_b32 s18, exec_lo
	v_cmpx_ne_u32_e32 0x7f, v39
	s_cbranch_execz .LBB263_230
; %bb.227:                              ;   in Loop: Header=BB263_158 Depth=1
	v_and_b32_e32 v1, 7, v7
	v_lshrrev_b32_e32 v38, 3, v39
	s_mov_b32 s19, exec_lo
	v_cmpx_gt_u32_e32 8, v39
; %bb.228:                              ;   in Loop: Header=BB263_158 Depth=1
	v_ffbh_u32_e32 v1, v1
	v_min_u32_e32 v1, 32, v1
	v_subrev_nc_u32_e32 v38, 28, v1
	v_lshlrev_b64 v[39:40], v38, v[7:8]
	v_sub_nc_u32_e32 v38, 29, v1
	v_and_b32_e32 v1, 7, v39
; %bb.229:                              ;   in Loop: Header=BB263_158 Depth=1
	s_or_b32 exec_lo, exec_lo, s19
	v_lshlrev_b32_e32 v39, 8, v7
	v_lshl_add_u32 v38, v38, 10, 0x2000
	v_lshlrev_b32_e32 v1, 7, v1
	v_and_b32_e32 v39, 0x8000, v39
	v_and_b32_e32 v38, 0xfc00, v38
	v_or3_b32 v38, v39, v38, v1
.LBB263_230:                            ;   in Loop: Header=BB263_158 Depth=1
	s_or_b32 exec_lo, exec_lo, s18
.LBB263_231:                            ;   in Loop: Header=BB263_158 Depth=1
	s_or_b32 exec_lo, exec_lo, s17
.LBB263_232:                            ;   in Loop: Header=BB263_158 Depth=1
	s_or_b32 exec_lo, exec_lo, s13
	v_lshrrev_b16 v1, 8, v7
	s_mov_b32 s13, exec_lo
	v_cmpx_ne_u16_e32 0, v1
	s_cbranch_execz .LBB263_240
; %bb.233:                              ;   in Loop: Header=BB263_158 Depth=1
	v_bfrev_b32_e32 v37, 1
	s_mov_b32 s17, exec_lo
	v_cmpx_ne_u16_e32 0x80, v1
	s_cbranch_execz .LBB263_239
; %bb.234:                              ;   in Loop: Header=BB263_158 Depth=1
	v_and_b32_sdwa v40, v1, v21 dst_sel:DWORD dst_unused:UNUSED_PAD src0_sel:WORD_0 src1_sel:DWORD
	v_mov_b32_e32 v37, 0x7c010000
	s_mov_b32 s18, exec_lo
	v_cmpx_ne_u32_e32 0x7f, v40
	s_cbranch_execz .LBB263_238
; %bb.235:                              ;   in Loop: Header=BB263_158 Depth=1
	v_and_b32_sdwa v37, v1, v22 dst_sel:DWORD dst_unused:UNUSED_PAD src0_sel:WORD_0 src1_sel:DWORD
	v_lshrrev_b32_e32 v39, 3, v40
	s_mov_b32 s19, exec_lo
	v_cmpx_gt_u32_e32 8, v40
; %bb.236:                              ;   in Loop: Header=BB263_158 Depth=1
	v_ffbh_u32_e32 v37, v37
	v_min_u32_e32 v37, 32, v37
	v_subrev_nc_u32_e32 v39, 28, v37
	v_lshlrev_b64 v[40:41], v39, v[1:2]
	v_sub_nc_u32_e32 v39, 29, v37
	v_and_b32_e32 v37, 7, v40
; %bb.237:                              ;   in Loop: Header=BB263_158 Depth=1
	s_or_b32 exec_lo, exec_lo, s19
	v_lshlrev_b32_sdwa v1, v23, v1 dst_sel:DWORD dst_unused:UNUSED_PAD src0_sel:DWORD src1_sel:WORD_0
	v_lshl_add_u32 v39, v39, 10, 0x2000
	v_lshlrev_b32_e32 v37, 23, v37
	v_and_or_b32 v1, 0x8000, v1, v39
	v_lshl_or_b32 v37, v1, 16, v37
.LBB263_238:                            ;   in Loop: Header=BB263_158 Depth=1
	s_or_b32 exec_lo, exec_lo, s18
.LBB263_239:                            ;   in Loop: Header=BB263_158 Depth=1
	s_or_b32 exec_lo, exec_lo, s17
.LBB263_240:                            ;   in Loop: Header=BB263_158 Depth=1
	s_or_b32 exec_lo, exec_lo, s13
	v_lshrrev_b32_e32 v1, 16, v7
	v_mov_b32_e32 v39, 0
	v_mov_b32_e32 v40, 0
	v_cmp_ne_u16_sdwa s0, v1, v2 src0_sel:BYTE_0 src1_sel:DWORD
	s_and_saveexec_b32 s13, s0
	s_cbranch_execz .LBB263_248
; %bb.241:                              ;   in Loop: Header=BB263_158 Depth=1
	v_cmp_ne_u16_sdwa s0, v1, v20 src0_sel:BYTE_0 src1_sel:DWORD
	v_mov_b32_e32 v40, 0x8000
	s_and_saveexec_b32 s17, s0
	s_cbranch_execz .LBB263_247
; %bb.242:                              ;   in Loop: Header=BB263_158 Depth=1
	v_bfe_u32 v42, v7, 16, 7
	v_mov_b32_e32 v40, 0x7c01
	s_mov_b32 s18, exec_lo
	v_cmpx_ne_u32_e32 0x7f, v42
	s_cbranch_execz .LBB263_246
; %bb.243:                              ;   in Loop: Header=BB263_158 Depth=1
	v_and_b32_e32 v40, 7, v1
	v_lshrrev_b32_e32 v41, 3, v42
	s_mov_b32 s19, exec_lo
	v_cmpx_gt_u32_e32 8, v42
; %bb.244:                              ;   in Loop: Header=BB263_158 Depth=1
	v_ffbh_u32_e32 v40, v40
	v_min_u32_e32 v42, 32, v40
	v_subrev_nc_u32_e32 v40, 28, v42
	v_lshlrev_b64 v[40:41], v40, v[1:2]
	v_sub_nc_u32_e32 v41, 29, v42
	v_and_b32_e32 v40, 7, v40
; %bb.245:                              ;   in Loop: Header=BB263_158 Depth=1
	s_or_b32 exec_lo, exec_lo, s19
	v_lshlrev_b32_e32 v1, 8, v1
	v_lshl_add_u32 v41, v41, 10, 0x2000
	v_lshlrev_b32_e32 v40, 7, v40
	v_and_b32_e32 v1, 0x8000, v1
	v_and_b32_e32 v41, 0xfc00, v41
	v_or3_b32 v40, v1, v41, v40
.LBB263_246:                            ;   in Loop: Header=BB263_158 Depth=1
	s_or_b32 exec_lo, exec_lo, s18
.LBB263_247:                            ;   in Loop: Header=BB263_158 Depth=1
	s_or_b32 exec_lo, exec_lo, s17
.LBB263_248:                            ;   in Loop: Header=BB263_158 Depth=1
	s_or_b32 exec_lo, exec_lo, s13
	s_mov_b32 s13, exec_lo
	v_cmpx_lt_u32_e32 0xffffff, v7
	s_cbranch_execz .LBB263_256
; %bb.249:                              ;   in Loop: Header=BB263_158 Depth=1
	v_lshrrev_b32_e32 v1, 24, v7
	v_bfrev_b32_e32 v39, 1
	s_mov_b32 s17, exec_lo
	v_cmpx_ne_u32_e32 0x80, v1
	s_cbranch_execz .LBB263_255
; %bb.250:                              ;   in Loop: Header=BB263_158 Depth=1
	v_and_b32_e32 v42, 0x7f, v1
	v_mov_b32_e32 v39, 0x7c010000
	s_mov_b32 s18, exec_lo
	v_cmpx_ne_u32_e32 0x7f, v42
	s_cbranch_execz .LBB263_254
; %bb.251:                              ;   in Loop: Header=BB263_158 Depth=1
	v_and_b32_e32 v39, 7, v1
	v_lshrrev_b32_e32 v41, 3, v42
	s_mov_b32 s19, exec_lo
	v_cmpx_gt_u32_e32 8, v42
; %bb.252:                              ;   in Loop: Header=BB263_158 Depth=1
	v_ffbh_u32_e32 v39, v39
	v_min_u32_e32 v39, 32, v39
	v_subrev_nc_u32_e32 v41, 28, v39
	v_lshlrev_b64 v[42:43], v41, v[1:2]
	v_sub_nc_u32_e32 v41, 29, v39
	v_and_b32_e32 v39, 7, v42
; %bb.253:                              ;   in Loop: Header=BB263_158 Depth=1
	s_or_b32 exec_lo, exec_lo, s19
	v_lshlrev_b32_e32 v1, 8, v1
	v_lshl_add_u32 v41, v41, 10, 0x2000
	v_lshlrev_b32_e32 v39, 23, v39
	v_and_or_b32 v1, 0x8000, v1, v41
	v_lshl_or_b32 v39, v1, 16, v39
.LBB263_254:                            ;   in Loop: Header=BB263_158 Depth=1
	s_or_b32 exec_lo, exec_lo, s18
.LBB263_255:                            ;   in Loop: Header=BB263_158 Depth=1
	s_or_b32 exec_lo, exec_lo, s17
.LBB263_256:                            ;   in Loop: Header=BB263_158 Depth=1
	s_or_b32 exec_lo, exec_lo, s13
	v_mov_b32_e32 v1, v8
	v_cmp_ne_u16_sdwa s0, v8, v2 src0_sel:BYTE_0 src1_sel:DWORD
	v_mov_b32_e32 v41, 0
	v_mov_b32_e32 v42, 0
	s_and_saveexec_b32 s13, s0
	s_cbranch_execz .LBB263_264
; %bb.257:                              ;   in Loop: Header=BB263_158 Depth=1
	v_cmp_ne_u16_sdwa s0, v8, v20 src0_sel:BYTE_0 src1_sel:DWORD
	v_mov_b32_e32 v42, 0x8000
	s_and_saveexec_b32 s17, s0
	s_cbranch_execz .LBB263_263
; %bb.258:                              ;   in Loop: Header=BB263_158 Depth=1
	v_and_b32_e32 v44, 0x7f, v8
	v_mov_b32_e32 v42, 0x7c01
	s_mov_b32 s18, exec_lo
	v_cmpx_ne_u32_e32 0x7f, v44
	s_cbranch_execz .LBB263_262
; %bb.259:                              ;   in Loop: Header=BB263_158 Depth=1
	v_and_b32_e32 v42, 7, v8
	v_lshrrev_b32_e32 v43, 3, v44
	s_mov_b32 s19, exec_lo
	v_cmpx_gt_u32_e32 8, v44
; %bb.260:                              ;   in Loop: Header=BB263_158 Depth=1
	v_ffbh_u32_e32 v42, v42
	v_min_u32_e32 v44, 32, v42
	v_subrev_nc_u32_e32 v42, 28, v44
	v_lshlrev_b64 v[42:43], v42, v[1:2]
	v_sub_nc_u32_e32 v43, 29, v44
	v_and_b32_e32 v42, 7, v42
; %bb.261:                              ;   in Loop: Header=BB263_158 Depth=1
	s_or_b32 exec_lo, exec_lo, s19
	v_lshlrev_b32_e32 v44, 8, v8
	v_lshl_add_u32 v43, v43, 10, 0x2000
	v_lshlrev_b32_e32 v42, 7, v42
	v_and_b32_e32 v44, 0x8000, v44
	v_and_b32_e32 v43, 0xfc00, v43
	v_or3_b32 v42, v44, v43, v42
.LBB263_262:                            ;   in Loop: Header=BB263_158 Depth=1
	s_or_b32 exec_lo, exec_lo, s18
.LBB263_263:                            ;   in Loop: Header=BB263_158 Depth=1
	s_or_b32 exec_lo, exec_lo, s17
.LBB263_264:                            ;   in Loop: Header=BB263_158 Depth=1
	s_or_b32 exec_lo, exec_lo, s13
	v_lshrrev_b16 v1, 8, v1
	v_mov_b32_e32 v43, 0
	s_mov_b32 s13, exec_lo
	v_cmpx_ne_u16_e32 0, v1
	s_cbranch_execz .LBB263_272
; %bb.265:                              ;   in Loop: Header=BB263_158 Depth=1
	v_bfrev_b32_e32 v43, 1
	s_mov_b32 s17, exec_lo
	v_cmpx_ne_u16_e32 0x80, v1
	s_cbranch_execz .LBB263_271
; %bb.266:                              ;   in Loop: Header=BB263_158 Depth=1
	v_and_b32_sdwa v45, v1, v21 dst_sel:DWORD dst_unused:UNUSED_PAD src0_sel:WORD_0 src1_sel:DWORD
	v_mov_b32_e32 v43, 0x7c010000
	s_mov_b32 s18, exec_lo
	v_cmpx_ne_u32_e32 0x7f, v45
	s_cbranch_execz .LBB263_270
; %bb.267:                              ;   in Loop: Header=BB263_158 Depth=1
	v_and_b32_sdwa v43, v1, v22 dst_sel:DWORD dst_unused:UNUSED_PAD src0_sel:WORD_0 src1_sel:DWORD
	v_lshrrev_b32_e32 v44, 3, v45
	s_mov_b32 s19, exec_lo
	v_cmpx_gt_u32_e32 8, v45
; %bb.268:                              ;   in Loop: Header=BB263_158 Depth=1
	v_ffbh_u32_e32 v43, v43
	v_min_u32_e32 v45, 32, v43
	v_subrev_nc_u32_e32 v43, 28, v45
	v_lshlrev_b64 v[43:44], v43, v[1:2]
	v_sub_nc_u32_e32 v44, 29, v45
	v_and_b32_e32 v43, 7, v43
; %bb.269:                              ;   in Loop: Header=BB263_158 Depth=1
	s_or_b32 exec_lo, exec_lo, s19
	v_lshlrev_b32_sdwa v1, v23, v1 dst_sel:DWORD dst_unused:UNUSED_PAD src0_sel:DWORD src1_sel:WORD_0
	v_lshl_add_u32 v44, v44, 10, 0x2000
	v_lshlrev_b32_e32 v43, 23, v43
	v_and_or_b32 v1, 0x8000, v1, v44
	v_lshl_or_b32 v43, v1, 16, v43
.LBB263_270:                            ;   in Loop: Header=BB263_158 Depth=1
	s_or_b32 exec_lo, exec_lo, s18
.LBB263_271:                            ;   in Loop: Header=BB263_158 Depth=1
	s_or_b32 exec_lo, exec_lo, s17
.LBB263_272:                            ;   in Loop: Header=BB263_158 Depth=1
	s_or_b32 exec_lo, exec_lo, s13
	v_lshrrev_b32_e32 v1, 16, v8
	v_cmp_ne_u16_sdwa s0, v1, v2 src0_sel:BYTE_0 src1_sel:DWORD
	s_and_saveexec_b32 s13, s0
	s_cbranch_execz .LBB263_280
; %bb.273:                              ;   in Loop: Header=BB263_158 Depth=1
	v_cmp_ne_u16_sdwa s0, v1, v20 src0_sel:BYTE_0 src1_sel:DWORD
	v_mov_b32_e32 v41, 0x8000
	s_and_saveexec_b32 s17, s0
	s_cbranch_execz .LBB263_279
; %bb.274:                              ;   in Loop: Header=BB263_158 Depth=1
	v_bfe_u32 v45, v8, 16, 7
	v_mov_b32_e32 v41, 0x7c01
	s_mov_b32 s18, exec_lo
	v_cmpx_ne_u32_e32 0x7f, v45
	s_cbranch_execz .LBB263_278
; %bb.275:                              ;   in Loop: Header=BB263_158 Depth=1
	v_and_b32_e32 v41, 7, v1
	v_lshrrev_b32_e32 v44, 3, v45
	s_mov_b32 s19, exec_lo
	v_cmpx_gt_u32_e32 8, v45
; %bb.276:                              ;   in Loop: Header=BB263_158 Depth=1
	v_ffbh_u32_e32 v41, v41
	v_min_u32_e32 v41, 32, v41
	v_subrev_nc_u32_e32 v44, 28, v41
	v_lshlrev_b64 v[45:46], v44, v[1:2]
	v_sub_nc_u32_e32 v44, 29, v41
	v_and_b32_e32 v41, 7, v45
; %bb.277:                              ;   in Loop: Header=BB263_158 Depth=1
	s_or_b32 exec_lo, exec_lo, s19
	v_lshlrev_b32_e32 v1, 8, v1
	v_lshl_add_u32 v44, v44, 10, 0x2000
	v_lshlrev_b32_e32 v41, 7, v41
	v_and_b32_e32 v1, 0x8000, v1
	v_and_b32_e32 v44, 0xfc00, v44
	v_or3_b32 v41, v1, v44, v41
.LBB263_278:                            ;   in Loop: Header=BB263_158 Depth=1
	s_or_b32 exec_lo, exec_lo, s18
.LBB263_279:                            ;   in Loop: Header=BB263_158 Depth=1
	s_or_b32 exec_lo, exec_lo, s17
.LBB263_280:                            ;   in Loop: Header=BB263_158 Depth=1
	s_or_b32 exec_lo, exec_lo, s13
	v_cmp_lt_u64_e64 s0, s[2:3], v[7:8]
	v_mov_b32_e32 v7, 0
	s_and_saveexec_b32 s13, s0
	s_cbranch_execz .LBB263_288
; %bb.281:                              ;   in Loop: Header=BB263_158 Depth=1
	v_lshrrev_b32_e32 v1, 24, v8
	v_bfrev_b32_e32 v7, 1
	s_mov_b32 s17, exec_lo
	v_cmpx_ne_u32_e32 0x80, v1
	s_cbranch_execz .LBB263_287
; %bb.282:                              ;   in Loop: Header=BB263_158 Depth=1
	v_and_b32_e32 v44, 0x7f, v1
	v_mov_b32_e32 v7, 0x7c010000
	s_mov_b32 s18, exec_lo
	v_cmpx_ne_u32_e32 0x7f, v44
	s_cbranch_execz .LBB263_286
; %bb.283:                              ;   in Loop: Header=BB263_158 Depth=1
	v_and_b32_e32 v7, 7, v1
	v_lshrrev_b32_e32 v8, 3, v44
	s_mov_b32 s19, exec_lo
	v_cmpx_gt_u32_e32 8, v44
; %bb.284:                              ;   in Loop: Header=BB263_158 Depth=1
	v_ffbh_u32_e32 v7, v7
	v_min_u32_e32 v44, 32, v7
	v_subrev_nc_u32_e32 v7, 28, v44
	v_lshlrev_b64 v[7:8], v7, v[1:2]
	v_sub_nc_u32_e32 v8, 29, v44
	v_and_b32_e32 v7, 7, v7
; %bb.285:                              ;   in Loop: Header=BB263_158 Depth=1
	s_or_b32 exec_lo, exec_lo, s19
	v_lshlrev_b32_e32 v1, 8, v1
	v_lshl_add_u32 v8, v8, 10, 0x2000
	v_lshlrev_b32_e32 v7, 23, v7
	v_and_or_b32 v1, 0x8000, v1, v8
	v_lshl_or_b32 v7, v1, 16, v7
.LBB263_286:                            ;   in Loop: Header=BB263_158 Depth=1
	s_or_b32 exec_lo, exec_lo, s18
.LBB263_287:                            ;   in Loop: Header=BB263_158 Depth=1
	s_or_b32 exec_lo, exec_lo, s17
.LBB263_288:                            ;   in Loop: Header=BB263_158 Depth=1
	s_or_b32 exec_lo, exec_lo, s13
	v_or_b32_e32 v1, v39, v40
	v_or_b32_e32 v38, v37, v38
	s_waitcnt vmcnt(0)
	v_fma_mixlo_f16 v37, v36, v37, 0 op_sel:[0,1,0] op_sel_hi:[0,1,0]
	v_or_b32_e32 v40, v43, v42
	v_or_b32_e32 v41, v7, v41
	v_fma_mixlo_f16 v8, v36, v39, 0 op_sel:[0,1,0] op_sel_hi:[0,1,0]
	v_fma_mixlo_f16 v42, v36, v1, 0 op_sel_hi:[0,1,0]
	v_lshlrev_b32_e32 v39, 16, v37
	v_fma_mixlo_f16 v37, v36, v38, 0 op_sel_hi:[0,1,0]
	v_fma_mixlo_f16 v38, v36, v43, 0 op_sel:[0,1,0] op_sel_hi:[0,1,0]
	v_fma_mixlo_f16 v40, v36, v40, 0 op_sel_hi:[0,1,0]
	v_fma_mixlo_f16 v7, v36, v7, 0 op_sel:[0,1,0] op_sel_hi:[0,1,0]
	v_fma_mixlo_f16 v41, v36, v41, 0 op_sel_hi:[0,1,0]
	v_lshlrev_b32_e32 v1, 16, v8
	v_and_b32_e32 v8, 0xffff, v42
	v_and_b32_e32 v44, 0xffff, v37
	v_lshlrev_b32_e32 v36, 16, v38
	v_and_b32_e32 v43, 0xffff, v40
	v_lshlrev_b32_e32 v7, 16, v7
	v_and_b32_e32 v37, 0xffff, v41
	v_or_b32_e32 v38, v1, v8
	v_or_b32_e32 v42, v39, v44
	v_or_b32_e32 v41, v36, v43
	v_or_b32_e32 v40, v7, v37
	s_and_saveexec_b32 s0, vcc_lo
	s_cbranch_execz .LBB263_157
; %bb.289:                              ;   in Loop: Header=BB263_158 Depth=1
	v_cmp_gt_i32_e32 vcc_lo, s11, v9
	v_cndmask_b32_e32 v9, 0, v44, vcc_lo
	v_cmp_gt_i32_e32 vcc_lo, s11, v29
	v_cndmask_b32_e32 v29, 0, v39, vcc_lo
	v_cmp_gt_i32_e32 vcc_lo, s11, v28
	v_or_b32_e32 v42, v29, v9
	v_cndmask_b32_e32 v8, 0, v8, vcc_lo
	v_cmp_gt_i32_e32 vcc_lo, s11, v27
	v_cndmask_b32_e32 v1, 0, v1, vcc_lo
	v_cmp_gt_i32_e32 vcc_lo, s11, v26
	v_or_b32_e32 v38, v1, v8
	;; [unrolled: 5-line block ×3, first 2 shown]
	v_cndmask_b32_e32 v10, 0, v37, vcc_lo
	v_cmp_gt_i32_e32 vcc_lo, s11, v19
	v_cndmask_b32_e32 v7, 0, v7, vcc_lo
	v_or_b32_e32 v40, v7, v10
	s_branch .LBB263_157
.LBB263_290:
	s_or_b32 exec_lo, exec_lo, s12
.LBB263_291:
	s_or_b32 exec_lo, exec_lo, s1
	ds_bpermute_b32 v1, v17, v18
	ds_bpermute_b32 v5, v17, v15
	v_lshrrev_b32_e32 v3, 1, v16
	v_and_b32_e32 v6, 0x3c1, v0
	s_mov_b32 s0, exec_lo
	s_waitcnt lgkmcnt(0)
	s_barrier
	v_lshl_add_u32 v4, v3, 2, 0x60
	buffer_gl0_inv
	v_add_f32_e32 v2, v18, v1
	v_add_f32_e32 v1, v15, v5
	v_cmpx_eq_u32_e32 64, v6
	s_cbranch_execz .LBB263_293
; %bb.292:
	v_lshl_add_u32 v5, v13, 7, v4
	v_add_nc_u32_e32 v6, 0xffffff00, v5
	v_add_nc_u32_e32 v5, 0xffffff40, v5
	ds_write_b32 v6, v2
	ds_write_b32 v5, v1
.LBB263_293:
	s_or_b32 exec_lo, exec_lo, s0
	v_and_b32_e32 v5, 0x3e0, v0
	v_lshlrev_b32_e32 v3, 2, v3
	s_mov_b32 s1, exec_lo
	v_cmp_eq_u32_e32 vcc_lo, 0, v12
	s_waitcnt lgkmcnt(0)
	v_lshlrev_b32_e32 v5, 2, v5
	s_barrier
	buffer_gl0_inv
	v_add3_u32 v3, 0x60, v5, v3
	v_cmpx_gt_u32_e32 64, v0
	s_cbranch_execz .LBB263_299
; %bb.294:
	s_and_saveexec_b32 s0, vcc_lo
	s_cbranch_execz .LBB263_296
; %bb.295:
	ds_read_b32 v5, v3
	s_waitcnt lgkmcnt(0)
	v_add_f32_e32 v2, v2, v5
.LBB263_296:
	s_or_b32 exec_lo, exec_lo, s0
	s_and_saveexec_b32 s0, vcc_lo
	s_cbranch_execz .LBB263_298
; %bb.297:
	ds_read_b32 v5, v3 offset:64
	s_waitcnt lgkmcnt(0)
	v_add_f32_e32 v1, v1, v5
.LBB263_298:
	s_or_b32 exec_lo, exec_lo, s0
.LBB263_299:
	s_or_b32 exec_lo, exec_lo, s1
	v_and_b32_e32 v5, 0x3e1, v0
	s_mov_b32 s1, exec_lo
	s_barrier
	buffer_gl0_inv
	v_cmpx_eq_u32_e32 32, v5
; %bb.300:
	ds_write2_b32 v4, v2, v1 offset1:16
; %bb.301:
	s_or_b32 exec_lo, exec_lo, s1
	s_mov_b32 s1, exec_lo
	s_waitcnt lgkmcnt(0)
	s_barrier
	buffer_gl0_inv
	v_cmpx_gt_u32_e32 32, v0
	s_cbranch_execz .LBB263_307
; %bb.302:
	s_and_saveexec_b32 s0, vcc_lo
	s_cbranch_execz .LBB263_304
; %bb.303:
	ds_read_b32 v0, v3
	s_waitcnt lgkmcnt(0)
	v_add_f32_e32 v2, v2, v0
.LBB263_304:
	s_or_b32 exec_lo, exec_lo, s0
	s_and_saveexec_b32 s0, vcc_lo
	s_cbranch_execz .LBB263_306
; %bb.305:
	ds_read_b32 v0, v3 offset:64
	s_waitcnt lgkmcnt(0)
	v_add_f32_e32 v1, v1, v0
.LBB263_306:
	s_or_b32 exec_lo, exec_lo, s0
.LBB263_307:
	s_or_b32 exec_lo, exec_lo, s1
	s_barrier
	buffer_gl0_inv
	s_mov_b32 s0, exec_lo
	v_cmpx_eq_u32_e32 0, v5
	s_cbranch_execz .LBB263_309
; %bb.308:
	s_mul_i32 s0, s10, s7
	s_mul_i32 s2, s7, s6
	;; [unrolled: 1-line block ×3, first 2 shown]
	v_lshlrev_b32_e32 v0, 1, v11
	s_lshl_b32 s0, s0, 5
	;;#ASMSTART
	v_cvt_f16_f32 v2, v2;

	;;#ASMEND
	s_ashr_i32 s1, s0, 31
	s_lshl_b64 s[0:1], s[0:1], 1
	s_add_u32 s4, s20, s0
	s_addc_u32 s5, s21, s1
	s_ashr_i32 s3, s2, 31
	s_lshl_b64 s[0:1], s[2:3], 1
	s_add_u32 s2, s4, s0
	s_addc_u32 s3, s5, s1
	s_lshl_b32 s0, s8, 5
	s_ashr_i32 s1, s0, 31
	s_lshl_b64 s[0:1], s[0:1], 1
	s_add_u32 s0, s2, s0
	s_addc_u32 s1, s3, s1
	global_store_short v0, v2, s[0:1]
	;;#ASMSTART
	v_cvt_f16_f32 v1, v1;

	;;#ASMEND
	global_store_short v0, v1, s[0:1] offset:32
.LBB263_309:
	s_endpgm
	.section	.rodata,"a",@progbits
	.p2align	6, 0x0
	.amdhsa_kernel _ZN4vllm25paged_attention_v1_kernelIthLi32ELi16ELi128ELNS_18Fp8KVCacheDataTypeE1ELb0EEEvPT_PKS2_PKT0_S8_ifPKiSA_iPKfiiiSC_SC_iiiii
		.amdhsa_group_segment_fixed_size 96
		.amdhsa_private_segment_fixed_size 0
		.amdhsa_kernarg_size 384
		.amdhsa_user_sgpr_count 6
		.amdhsa_user_sgpr_private_segment_buffer 1
		.amdhsa_user_sgpr_dispatch_ptr 0
		.amdhsa_user_sgpr_queue_ptr 0
		.amdhsa_user_sgpr_kernarg_segment_ptr 1
		.amdhsa_user_sgpr_dispatch_id 0
		.amdhsa_user_sgpr_flat_scratch_init 0
		.amdhsa_user_sgpr_private_segment_size 0
		.amdhsa_wavefront_size32 1
		.amdhsa_uses_dynamic_stack 0
		.amdhsa_system_sgpr_private_segment_wavefront_offset 0
		.amdhsa_system_sgpr_workgroup_id_x 1
		.amdhsa_system_sgpr_workgroup_id_y 1
		.amdhsa_system_sgpr_workgroup_id_z 1
		.amdhsa_system_sgpr_workgroup_info 0
		.amdhsa_system_vgpr_workitem_id 0
		.amdhsa_next_free_vgpr 53
		.amdhsa_next_free_sgpr 35
		.amdhsa_reserve_vcc 1
		.amdhsa_reserve_flat_scratch 0
		.amdhsa_float_round_mode_32 0
		.amdhsa_float_round_mode_16_64 0
		.amdhsa_float_denorm_mode_32 3
		.amdhsa_float_denorm_mode_16_64 3
		.amdhsa_dx10_clamp 1
		.amdhsa_ieee_mode 1
		.amdhsa_fp16_overflow 0
		.amdhsa_workgroup_processor_mode 1
		.amdhsa_memory_ordered 1
		.amdhsa_forward_progress 1
		.amdhsa_shared_vgpr_count 0
		.amdhsa_exception_fp_ieee_invalid_op 0
		.amdhsa_exception_fp_denorm_src 0
		.amdhsa_exception_fp_ieee_div_zero 0
		.amdhsa_exception_fp_ieee_overflow 0
		.amdhsa_exception_fp_ieee_underflow 0
		.amdhsa_exception_fp_ieee_inexact 0
		.amdhsa_exception_int_div_zero 0
	.end_amdhsa_kernel
	.section	.text._ZN4vllm25paged_attention_v1_kernelIthLi32ELi16ELi128ELNS_18Fp8KVCacheDataTypeE1ELb0EEEvPT_PKS2_PKT0_S8_ifPKiSA_iPKfiiiSC_SC_iiiii,"axG",@progbits,_ZN4vllm25paged_attention_v1_kernelIthLi32ELi16ELi128ELNS_18Fp8KVCacheDataTypeE1ELb0EEEvPT_PKS2_PKT0_S8_ifPKiSA_iPKfiiiSC_SC_iiiii,comdat
.Lfunc_end263:
	.size	_ZN4vllm25paged_attention_v1_kernelIthLi32ELi16ELi128ELNS_18Fp8KVCacheDataTypeE1ELb0EEEvPT_PKS2_PKT0_S8_ifPKiSA_iPKfiiiSC_SC_iiiii, .Lfunc_end263-_ZN4vllm25paged_attention_v1_kernelIthLi32ELi16ELi128ELNS_18Fp8KVCacheDataTypeE1ELb0EEEvPT_PKS2_PKT0_S8_ifPKiSA_iPKfiiiSC_SC_iiiii
                                        ; -- End function
	.set _ZN4vllm25paged_attention_v1_kernelIthLi32ELi16ELi128ELNS_18Fp8KVCacheDataTypeE1ELb0EEEvPT_PKS2_PKT0_S8_ifPKiSA_iPKfiiiSC_SC_iiiii.num_vgpr, 53
	.set _ZN4vllm25paged_attention_v1_kernelIthLi32ELi16ELi128ELNS_18Fp8KVCacheDataTypeE1ELb0EEEvPT_PKS2_PKT0_S8_ifPKiSA_iPKfiiiSC_SC_iiiii.num_agpr, 0
	.set _ZN4vllm25paged_attention_v1_kernelIthLi32ELi16ELi128ELNS_18Fp8KVCacheDataTypeE1ELb0EEEvPT_PKS2_PKT0_S8_ifPKiSA_iPKfiiiSC_SC_iiiii.numbered_sgpr, 35
	.set _ZN4vllm25paged_attention_v1_kernelIthLi32ELi16ELi128ELNS_18Fp8KVCacheDataTypeE1ELb0EEEvPT_PKS2_PKT0_S8_ifPKiSA_iPKfiiiSC_SC_iiiii.num_named_barrier, 0
	.set _ZN4vllm25paged_attention_v1_kernelIthLi32ELi16ELi128ELNS_18Fp8KVCacheDataTypeE1ELb0EEEvPT_PKS2_PKT0_S8_ifPKiSA_iPKfiiiSC_SC_iiiii.private_seg_size, 0
	.set _ZN4vllm25paged_attention_v1_kernelIthLi32ELi16ELi128ELNS_18Fp8KVCacheDataTypeE1ELb0EEEvPT_PKS2_PKT0_S8_ifPKiSA_iPKfiiiSC_SC_iiiii.uses_vcc, 1
	.set _ZN4vllm25paged_attention_v1_kernelIthLi32ELi16ELi128ELNS_18Fp8KVCacheDataTypeE1ELb0EEEvPT_PKS2_PKT0_S8_ifPKiSA_iPKfiiiSC_SC_iiiii.uses_flat_scratch, 0
	.set _ZN4vllm25paged_attention_v1_kernelIthLi32ELi16ELi128ELNS_18Fp8KVCacheDataTypeE1ELb0EEEvPT_PKS2_PKT0_S8_ifPKiSA_iPKfiiiSC_SC_iiiii.has_dyn_sized_stack, 0
	.set _ZN4vllm25paged_attention_v1_kernelIthLi32ELi16ELi128ELNS_18Fp8KVCacheDataTypeE1ELb0EEEvPT_PKS2_PKT0_S8_ifPKiSA_iPKfiiiSC_SC_iiiii.has_recursion, 0
	.set _ZN4vllm25paged_attention_v1_kernelIthLi32ELi16ELi128ELNS_18Fp8KVCacheDataTypeE1ELb0EEEvPT_PKS2_PKT0_S8_ifPKiSA_iPKfiiiSC_SC_iiiii.has_indirect_call, 0
	.section	.AMDGPU.csdata,"",@progbits
; Kernel info:
; codeLenInByte = 10976
; TotalNumSgprs: 37
; NumVgprs: 53
; ScratchSize: 0
; MemoryBound: 0
; FloatMode: 240
; IeeeMode: 1
; LDSByteSize: 96 bytes/workgroup (compile time only)
; SGPRBlocks: 0
; VGPRBlocks: 6
; NumSGPRsForWavesPerEU: 37
; NumVGPRsForWavesPerEU: 53
; Occupancy: 16
; WaveLimiterHint : 1
; COMPUTE_PGM_RSRC2:SCRATCH_EN: 0
; COMPUTE_PGM_RSRC2:USER_SGPR: 6
; COMPUTE_PGM_RSRC2:TRAP_HANDLER: 0
; COMPUTE_PGM_RSRC2:TGID_X_EN: 1
; COMPUTE_PGM_RSRC2:TGID_Y_EN: 1
; COMPUTE_PGM_RSRC2:TGID_Z_EN: 1
; COMPUTE_PGM_RSRC2:TIDIG_COMP_CNT: 0
	.section	.text._ZN4vllm25paged_attention_v1_kernelIthLi64ELi16ELi128ELNS_18Fp8KVCacheDataTypeE1ELb0EEEvPT_PKS2_PKT0_S8_ifPKiSA_iPKfiiiSC_SC_iiiii,"axG",@progbits,_ZN4vllm25paged_attention_v1_kernelIthLi64ELi16ELi128ELNS_18Fp8KVCacheDataTypeE1ELb0EEEvPT_PKS2_PKT0_S8_ifPKiSA_iPKfiiiSC_SC_iiiii,comdat
	.protected	_ZN4vllm25paged_attention_v1_kernelIthLi64ELi16ELi128ELNS_18Fp8KVCacheDataTypeE1ELb0EEEvPT_PKS2_PKT0_S8_ifPKiSA_iPKfiiiSC_SC_iiiii ; -- Begin function _ZN4vllm25paged_attention_v1_kernelIthLi64ELi16ELi128ELNS_18Fp8KVCacheDataTypeE1ELb0EEEvPT_PKS2_PKT0_S8_ifPKiSA_iPKfiiiSC_SC_iiiii
	.globl	_ZN4vllm25paged_attention_v1_kernelIthLi64ELi16ELi128ELNS_18Fp8KVCacheDataTypeE1ELb0EEEvPT_PKS2_PKT0_S8_ifPKiSA_iPKfiiiSC_SC_iiiii
	.p2align	8
	.type	_ZN4vllm25paged_attention_v1_kernelIthLi64ELi16ELi128ELNS_18Fp8KVCacheDataTypeE1ELb0EEEvPT_PKS2_PKT0_S8_ifPKiSA_iPKfiiiSC_SC_iiiii,@function
_ZN4vllm25paged_attention_v1_kernelIthLi64ELi16ELi128ELNS_18Fp8KVCacheDataTypeE1ELb0EEEvPT_PKS2_PKT0_S8_ifPKiSA_iPKfiiiSC_SC_iiiii: ; @_ZN4vllm25paged_attention_v1_kernelIthLi64ELi16ELi128ELNS_18Fp8KVCacheDataTypeE1ELb0EEEvPT_PKS2_PKT0_S8_ifPKiSA_iPKfiiiSC_SC_iiiii
; %bb.0:
	s_clause 0x2
	s_load_dword s9, s[4:5], 0x80
	s_load_dwordx2 s[0:1], s[4:5], 0x30
	s_load_dwordx2 s[28:29], s[4:5], 0x20
	s_mov_b32 s10, s7
	s_ashr_i32 s11, s7, 31
	s_lshl_b64 s[2:3], s[10:11], 2
	s_waitcnt lgkmcnt(0)
	s_add_u32 s0, s0, s2
	s_addc_u32 s1, s1, s3
	s_abs_i32 s2, s28
	s_abs_i32 s11, s9
	v_cvt_f32_u32_e32 v1, s2
	s_sub_i32 s7, 0, s2
	v_rcp_iflag_f32_e32 v1, v1
	v_mul_f32_e32 v1, 0x4f7ffffe, v1
	v_cvt_u32_f32_e32 v1, v1
	v_readfirstlane_b32 s3, v1
	s_mul_i32 s7, s7, s3
	s_mul_hi_u32 s7, s3, s7
	s_add_i32 s3, s3, s7
	s_xor_b32 s7, s9, s28
	s_mul_hi_u32 s3, s11, s3
	s_ashr_i32 s7, s7, 31
	s_mul_i32 s12, s3, s2
	s_mov_b32 s28, 0
	s_sub_i32 s11, s11, s12
	s_add_i32 s12, s3, 1
	s_sub_i32 s13, s11, s2
	s_cmp_ge_u32 s11, s2
	s_cselect_b32 s3, s12, s3
	s_cselect_b32 s11, s13, s11
	s_add_i32 s12, s3, 1
	s_cmp_ge_u32 s11, s2
	s_cselect_b32 s2, s12, s3
	s_abs_i32 s13, s6
	s_xor_b32 s2, s2, s7
	s_sub_i32 s15, s2, s7
	s_load_dwordx2 s[2:3], s[4:5], 0x40
	s_abs_i32 s12, s15
	v_cvt_f32_u32_e32 v1, s12
	s_sub_i32 s11, 0, s12
	v_rcp_iflag_f32_e32 v1, v1
	v_mul_f32_e32 v1, 0x4f7ffffe, v1
	v_cvt_u32_f32_e32 v1, v1
	v_readfirstlane_b32 s7, v1
	s_mul_i32 s11, s11, s7
	s_mul_hi_u32 s11, s7, s11
	s_add_i32 s7, s7, s11
	s_waitcnt lgkmcnt(0)
	s_cmp_eq_u64 s[2:3], 0
	s_mul_hi_u32 s14, s13, s7
	s_cbranch_scc1 .LBB264_2
; %bb.1:
	s_ashr_i32 s7, s6, 31
	s_lshl_b64 s[16:17], s[6:7], 2
	s_add_u32 s2, s2, s16
	s_addc_u32 s3, s3, s17
	s_load_dword s28, s[2:3], 0x0
.LBB264_2:
	s_load_dword s11, s[0:1], 0x0
	s_load_dwordx4 s[16:19], s[4:5], 0x48
	v_lshrrev_b32_e32 v11, 1, v0
	v_and_b32_e32 v12, 1, v0
	v_lshlrev_b32_e32 v10, 3, v0
	s_ashr_i32 s0, s6, 31
	s_ashr_i32 s1, s15, 31
	s_lshl_b32 s6, s6, 6
	s_mov_b32 s2, exec_lo
	v_cmpx_gt_u32_e32 16, v0
	s_cbranch_execz .LBB264_4
; %bb.3:
	s_load_dwordx2 s[20:21], s[4:5], 0x8
	s_waitcnt lgkmcnt(0)
	s_mul_i32 s22, s16, s10
	v_lshlrev_b32_e32 v3, 3, v11
	s_ashr_i32 s23, s22, 31
	s_lshl_b64 s[22:23], s[22:23], 1
	v_lshl_add_u32 v3, v12, 6, v3
	s_add_u32 s3, s20, s22
	s_addc_u32 s15, s21, s23
	s_ashr_i32 s7, s6, 31
	s_lshl_b64 s[20:21], s[6:7], 1
	s_add_u32 s20, s3, s20
	s_addc_u32 s21, s15, s21
	global_load_dwordx2 v[1:2], v10, s[20:21]
	s_waitcnt vmcnt(0)
	ds_write_b64 v3, v[1:2]
.LBB264_4:
	s_or_b32 exec_lo, exec_lo, s2
	s_waitcnt lgkmcnt(0)
	s_add_i32 s2, s11, 15
	s_clause 0x1
	s_load_dwordx2 s[22:23], s[4:5], 0x28
	s_load_dword s7, s[4:5], 0x38
	s_ashr_i32 s3, s2, 31
	s_xor_b32 s0, s0, s1
	s_lshr_b32 s3, s3, 28
	s_mul_i32 s1, s14, s12
	s_add_i32 s2, s2, s3
	s_sub_i32 s1, s13, s1
	s_ashr_i32 s16, s2, 4
	s_add_i32 s2, s14, 1
	s_sub_i32 s3, s1, s12
	s_cmp_ge_u32 s1, s12
	v_lshrrev_b32_e32 v13, 5, v0
	s_cselect_b32 s2, s2, s14
	s_cselect_b32 s1, s3, s1
	s_add_i32 s3, s2, 1
	s_cmp_ge_u32 s1, s12
	v_mbcnt_lo_u32_b32 v15, -1, 0
	s_cselect_b32 s1, s3, s2
	s_mov_b32 s2, exec_lo
	s_xor_b32 s1, s1, s0
	s_waitcnt lgkmcnt(0)
	s_mul_i32 s24, s7, s10
	s_sub_i32 s1, s1, s0
	v_cmp_gt_i32_e64 s0, s16, v13
	s_ashr_i32 s25, s24, 31
	s_barrier
	buffer_gl0_inv
                                        ; implicit-def: $vgpr2
                                        ; implicit-def: $vgpr17
	v_cmpx_le_i32_e64 s16, v13
	s_xor_b32 s2, exec_lo, s2
; %bb.5:
	v_mov_b32_e32 v2, 0
	v_mbcnt_lo_u32_b32 v15, -1, 0
	v_mov_b32_e32 v17, 32
; %bb.6:
	s_or_saveexec_b32 s19, s2
	s_clause 0x3
	s_load_dwordx2 s[20:21], s[4:5], 0x0
	s_load_dwordx2 s[26:27], s[4:5], 0x18
	s_load_dword s7, s[4:5], 0x88
	s_load_dwordx4 s[12:15], s[4:5], 0x58
	v_mov_b32_e32 v16, 0xff7fffff
	v_lshrrev_b32_e32 v14, 3, v0
	s_mul_i32 s18, s1, s18
	s_xor_b32 exec_lo, exec_lo, s19
	s_cbranch_execz .LBB264_268
; %bb.7:
	s_load_dwordx2 s[2:3], s[4:5], 0x10
	v_bfe_u32 v1, v0, 1, 4
	s_ashr_i32 s4, s18, 31
	v_lshlrev_b32_e32 v4, 2, v12
	v_and_b32_e32 v5, 0x7c, v14
	v_mov_b32_e32 v2, 0
	v_lshlrev_b32_e32 v3, 2, v1
	v_lshlrev_b32_e32 v6, 4, v1
	v_lshl_or_b32 v19, v13, 4, v1
	v_lshlrev_b32_e32 v18, 6, v12
	v_cmp_neq_f32_e64 s1, s28, 0
	v_lshl_or_b32 v3, v13, 6, v3
	v_mov_b32_e32 v16, 0xff7fffff
	v_mov_b32_e32 v17, 32
	;; [unrolled: 1-line block ×4, first 2 shown]
	v_add_nc_u32_e32 v20, 0xa0, v3
	v_mov_b32_e32 v23, 7
	v_mov_b32_e32 v24, 8
	;; [unrolled: 1-line block ×3, first 2 shown]
	s_waitcnt lgkmcnt(0)
	s_add_u32 s5, s2, s18
	s_addc_u32 s30, s3, s4
	v_add_co_u32 v1, s5, s5, v6
	v_add_co_ci_u32_e64 v6, null, s30, 0, s5
	s_lshl_b64 s[2:3], s[24:25], 2
	s_sub_i32 s4, 1, s11
	s_add_u32 s5, s22, s2
	v_add_co_u32 v3, s2, v1, v4
	s_addc_u32 s3, s23, s3
	v_add_co_ci_u32_e64 v4, null, 0, v6, s2
	v_add_co_u32 v5, s2, s5, v5
	v_add_co_ci_u32_e64 v6, null, s3, 0, s2
	s_mov_b32 s30, s17
	s_mov_b32 s5, 0
	v_cmp_eq_u32_e32 vcc_lo, 0, v12
	s_branch .LBB264_9
.LBB264_8:                              ;   in Loop: Header=BB264_9 Depth=1
	s_or_b32 exec_lo, exec_lo, s3
	v_add_nc_u32_e32 v25, 4, v25
	v_add_co_u32 v5, s3, v5, 16
	v_add_nc_u32_e32 v19, 64, v19
	v_add_nc_u32_e32 v20, 0x100, v20
	v_cmp_le_i32_e64 s2, s16, v25
	v_add_co_ci_u32_e64 v6, null, 0, v6, s3
	s_or_b32 s5, s2, s5
	s_andn2_b32 exec_lo, exec_lo, s5
	s_cbranch_execz .LBB264_267
.LBB264_9:                              ; =>This Inner Loop Header: Depth=1
	global_load_dword v1, v[5:6], off
	v_mov_b32_e32 v27, 0
	s_waitcnt vmcnt(0) lgkmcnt(0)
	v_mad_i64_i32 v[7:8], null, v1, s30, v[3:4]
	global_load_dword v9, v[7:8], off
	global_load_dword v26, v2, s[12:13]
	s_waitcnt vmcnt(1)
	v_cmp_ne_u16_sdwa s2, v9, v2 src0_sel:BYTE_0 src1_sel:DWORD
	s_and_saveexec_b32 s3, s2
	s_cbranch_execz .LBB264_17
; %bb.10:                               ;   in Loop: Header=BB264_9 Depth=1
	v_cmp_ne_u16_sdwa s2, v9, v21 src0_sel:BYTE_0 src1_sel:DWORD
	v_mov_b32_e32 v27, 0x8000
	s_and_saveexec_b32 s31, s2
	s_cbranch_execz .LBB264_16
; %bb.11:                               ;   in Loop: Header=BB264_9 Depth=1
	v_and_b32_e32 v28, 0x7f, v9
	v_mov_b32_e32 v27, 0x7c01
	s_mov_b32 s33, exec_lo
	v_cmpx_ne_u32_e32 0x7f, v28
	s_cbranch_execz .LBB264_15
; %bb.12:                               ;   in Loop: Header=BB264_9 Depth=1
	v_and_b32_e32 v1, 7, v9
	v_lshrrev_b32_e32 v27, 3, v28
	s_mov_b32 s34, exec_lo
	v_cmpx_gt_u32_e32 8, v28
; %bb.13:                               ;   in Loop: Header=BB264_9 Depth=1
	v_ffbh_u32_e32 v1, v1
	v_min_u32_e32 v1, 32, v1
	v_subrev_nc_u32_e32 v27, 28, v1
	v_lshlrev_b64 v[28:29], v27, v[9:10]
	v_sub_nc_u32_e32 v27, 29, v1
	v_and_b32_e32 v1, 7, v28
; %bb.14:                               ;   in Loop: Header=BB264_9 Depth=1
	s_or_b32 exec_lo, exec_lo, s34
	v_lshlrev_b32_e32 v28, 8, v9
	v_lshl_add_u32 v27, v27, 10, 0x2000
	v_lshlrev_b32_e32 v1, 7, v1
	v_and_b32_e32 v28, 0x8000, v28
	v_and_b32_e32 v27, 0xfc00, v27
	v_or3_b32 v27, v28, v27, v1
.LBB264_15:                             ;   in Loop: Header=BB264_9 Depth=1
	s_or_b32 exec_lo, exec_lo, s33
.LBB264_16:                             ;   in Loop: Header=BB264_9 Depth=1
	s_or_b32 exec_lo, exec_lo, s31
.LBB264_17:                             ;   in Loop: Header=BB264_9 Depth=1
	s_or_b32 exec_lo, exec_lo, s3
	v_lshrrev_b16 v1, 8, v9
	v_mov_b32_e32 v28, 0
	s_mov_b32 s3, exec_lo
	v_cmpx_ne_u16_e32 0, v1
	s_cbranch_execz .LBB264_25
; %bb.18:                               ;   in Loop: Header=BB264_9 Depth=1
	v_bfrev_b32_e32 v28, 1
	s_mov_b32 s31, exec_lo
	v_cmpx_ne_u16_e32 0x80, v1
	s_cbranch_execz .LBB264_24
; %bb.19:                               ;   in Loop: Header=BB264_9 Depth=1
	v_and_b32_sdwa v30, v1, v22 dst_sel:DWORD dst_unused:UNUSED_PAD src0_sel:WORD_0 src1_sel:DWORD
	v_mov_b32_e32 v28, 0x7c010000
	s_mov_b32 s33, exec_lo
	v_cmpx_ne_u32_e32 0x7f, v30
	s_cbranch_execz .LBB264_23
; %bb.20:                               ;   in Loop: Header=BB264_9 Depth=1
	v_and_b32_sdwa v28, v1, v23 dst_sel:DWORD dst_unused:UNUSED_PAD src0_sel:WORD_0 src1_sel:DWORD
	v_lshrrev_b32_e32 v29, 3, v30
	s_mov_b32 s34, exec_lo
	v_cmpx_gt_u32_e32 8, v30
; %bb.21:                               ;   in Loop: Header=BB264_9 Depth=1
	v_ffbh_u32_e32 v28, v28
	v_min_u32_e32 v30, 32, v28
	v_subrev_nc_u32_e32 v28, 28, v30
	v_lshlrev_b64 v[28:29], v28, v[1:2]
	v_sub_nc_u32_e32 v29, 29, v30
	v_and_b32_e32 v28, 7, v28
; %bb.22:                               ;   in Loop: Header=BB264_9 Depth=1
	s_or_b32 exec_lo, exec_lo, s34
	v_lshlrev_b32_sdwa v1, v24, v1 dst_sel:DWORD dst_unused:UNUSED_PAD src0_sel:DWORD src1_sel:WORD_0
	v_lshl_add_u32 v29, v29, 10, 0x2000
	v_lshlrev_b32_e32 v28, 23, v28
	v_and_or_b32 v1, 0x8000, v1, v29
	v_lshl_or_b32 v28, v1, 16, v28
.LBB264_23:                             ;   in Loop: Header=BB264_9 Depth=1
	s_or_b32 exec_lo, exec_lo, s33
.LBB264_24:                             ;   in Loop: Header=BB264_9 Depth=1
	s_or_b32 exec_lo, exec_lo, s31
.LBB264_25:                             ;   in Loop: Header=BB264_9 Depth=1
	s_or_b32 exec_lo, exec_lo, s3
	v_lshrrev_b32_e32 v1, 16, v9
	v_mov_b32_e32 v29, 0
	v_mov_b32_e32 v30, 0
	v_cmp_ne_u16_sdwa s2, v1, v2 src0_sel:BYTE_0 src1_sel:DWORD
	s_and_saveexec_b32 s3, s2
	s_cbranch_execz .LBB264_33
; %bb.26:                               ;   in Loop: Header=BB264_9 Depth=1
	v_cmp_ne_u16_sdwa s2, v1, v21 src0_sel:BYTE_0 src1_sel:DWORD
	v_mov_b32_e32 v30, 0x8000
	s_and_saveexec_b32 s31, s2
	s_cbranch_execz .LBB264_32
; %bb.27:                               ;   in Loop: Header=BB264_9 Depth=1
	v_bfe_u32 v32, v9, 16, 7
	v_mov_b32_e32 v30, 0x7c01
	s_mov_b32 s33, exec_lo
	v_cmpx_ne_u32_e32 0x7f, v32
	s_cbranch_execz .LBB264_31
; %bb.28:                               ;   in Loop: Header=BB264_9 Depth=1
	v_and_b32_e32 v30, 7, v1
	v_lshrrev_b32_e32 v31, 3, v32
	s_mov_b32 s34, exec_lo
	v_cmpx_gt_u32_e32 8, v32
; %bb.29:                               ;   in Loop: Header=BB264_9 Depth=1
	v_ffbh_u32_e32 v30, v30
	v_min_u32_e32 v32, 32, v30
	v_subrev_nc_u32_e32 v30, 28, v32
	v_lshlrev_b64 v[30:31], v30, v[1:2]
	v_sub_nc_u32_e32 v31, 29, v32
	v_and_b32_e32 v30, 7, v30
; %bb.30:                               ;   in Loop: Header=BB264_9 Depth=1
	s_or_b32 exec_lo, exec_lo, s34
	v_lshlrev_b32_e32 v1, 8, v1
	v_lshl_add_u32 v31, v31, 10, 0x2000
	v_lshlrev_b32_e32 v30, 7, v30
	v_and_b32_e32 v1, 0x8000, v1
	v_and_b32_e32 v31, 0xfc00, v31
	v_or3_b32 v30, v1, v31, v30
.LBB264_31:                             ;   in Loop: Header=BB264_9 Depth=1
	s_or_b32 exec_lo, exec_lo, s33
.LBB264_32:                             ;   in Loop: Header=BB264_9 Depth=1
	s_or_b32 exec_lo, exec_lo, s31
.LBB264_33:                             ;   in Loop: Header=BB264_9 Depth=1
	s_or_b32 exec_lo, exec_lo, s3
	s_mov_b32 s3, exec_lo
	v_cmpx_lt_u32_e32 0xffffff, v9
	s_cbranch_execz .LBB264_41
; %bb.34:                               ;   in Loop: Header=BB264_9 Depth=1
	v_lshrrev_b32_e32 v1, 24, v9
	v_bfrev_b32_e32 v29, 1
	s_mov_b32 s31, exec_lo
	v_cmpx_ne_u32_e32 0x80, v1
	s_cbranch_execz .LBB264_40
; %bb.35:                               ;   in Loop: Header=BB264_9 Depth=1
	v_and_b32_e32 v31, 0x7f, v1
	v_mov_b32_e32 v29, 0x7c010000
	s_mov_b32 s33, exec_lo
	v_cmpx_ne_u32_e32 0x7f, v31
	s_cbranch_execz .LBB264_39
; %bb.36:                               ;   in Loop: Header=BB264_9 Depth=1
	v_and_b32_e32 v9, 7, v1
	v_lshrrev_b32_e32 v29, 3, v31
	s_mov_b32 s34, exec_lo
	v_cmpx_gt_u32_e32 8, v31
; %bb.37:                               ;   in Loop: Header=BB264_9 Depth=1
	v_ffbh_u32_e32 v9, v9
	v_min_u32_e32 v9, 32, v9
	v_subrev_nc_u32_e32 v29, 28, v9
	v_lshlrev_b64 v[31:32], v29, v[1:2]
	v_sub_nc_u32_e32 v29, 29, v9
	v_and_b32_e32 v9, 7, v31
; %bb.38:                               ;   in Loop: Header=BB264_9 Depth=1
	s_or_b32 exec_lo, exec_lo, s34
	v_lshlrev_b32_e32 v1, 8, v1
	v_lshl_add_u32 v29, v29, 10, 0x2000
	v_lshlrev_b32_e32 v9, 23, v9
	v_and_or_b32 v1, 0x8000, v1, v29
	v_lshl_or_b32 v29, v1, 16, v9
.LBB264_39:                             ;   in Loop: Header=BB264_9 Depth=1
	s_or_b32 exec_lo, exec_lo, s33
.LBB264_40:                             ;   in Loop: Header=BB264_9 Depth=1
	s_or_b32 exec_lo, exec_lo, s31
.LBB264_41:                             ;   in Loop: Header=BB264_9 Depth=1
	s_or_b32 exec_lo, exec_lo, s3
	global_load_dword v9, v[7:8], off offset:8
	v_mov_b32_e32 v31, 0
	v_mov_b32_e32 v32, 0
	s_waitcnt vmcnt(0)
	v_cmp_ne_u16_sdwa s2, v9, v2 src0_sel:BYTE_0 src1_sel:DWORD
	s_and_saveexec_b32 s3, s2
	s_cbranch_execz .LBB264_49
; %bb.42:                               ;   in Loop: Header=BB264_9 Depth=1
	v_cmp_ne_u16_sdwa s2, v9, v21 src0_sel:BYTE_0 src1_sel:DWORD
	v_mov_b32_e32 v32, 0x8000
	s_and_saveexec_b32 s31, s2
	s_cbranch_execz .LBB264_48
; %bb.43:                               ;   in Loop: Header=BB264_9 Depth=1
	v_and_b32_e32 v33, 0x7f, v9
	v_mov_b32_e32 v32, 0x7c01
	s_mov_b32 s33, exec_lo
	v_cmpx_ne_u32_e32 0x7f, v33
	s_cbranch_execz .LBB264_47
; %bb.44:                               ;   in Loop: Header=BB264_9 Depth=1
	v_and_b32_e32 v1, 7, v9
	v_lshrrev_b32_e32 v32, 3, v33
	s_mov_b32 s34, exec_lo
	v_cmpx_gt_u32_e32 8, v33
; %bb.45:                               ;   in Loop: Header=BB264_9 Depth=1
	v_ffbh_u32_e32 v1, v1
	v_min_u32_e32 v1, 32, v1
	v_subrev_nc_u32_e32 v32, 28, v1
	v_lshlrev_b64 v[33:34], v32, v[9:10]
	v_sub_nc_u32_e32 v32, 29, v1
	v_and_b32_e32 v1, 7, v33
; %bb.46:                               ;   in Loop: Header=BB264_9 Depth=1
	s_or_b32 exec_lo, exec_lo, s34
	v_lshlrev_b32_e32 v33, 8, v9
	v_lshl_add_u32 v32, v32, 10, 0x2000
	v_lshlrev_b32_e32 v1, 7, v1
	v_and_b32_e32 v33, 0x8000, v33
	v_and_b32_e32 v32, 0xfc00, v32
	v_or3_b32 v32, v33, v32, v1
.LBB264_47:                             ;   in Loop: Header=BB264_9 Depth=1
	s_or_b32 exec_lo, exec_lo, s33
.LBB264_48:                             ;   in Loop: Header=BB264_9 Depth=1
	s_or_b32 exec_lo, exec_lo, s31
.LBB264_49:                             ;   in Loop: Header=BB264_9 Depth=1
	s_or_b32 exec_lo, exec_lo, s3
	v_lshrrev_b16 v1, 8, v9
	s_mov_b32 s3, exec_lo
	v_cmpx_ne_u16_e32 0, v1
	s_cbranch_execz .LBB264_57
; %bb.50:                               ;   in Loop: Header=BB264_9 Depth=1
	v_bfrev_b32_e32 v31, 1
	s_mov_b32 s31, exec_lo
	v_cmpx_ne_u16_e32 0x80, v1
	s_cbranch_execz .LBB264_56
; %bb.51:                               ;   in Loop: Header=BB264_9 Depth=1
	v_and_b32_sdwa v34, v1, v22 dst_sel:DWORD dst_unused:UNUSED_PAD src0_sel:WORD_0 src1_sel:DWORD
	v_mov_b32_e32 v31, 0x7c010000
	s_mov_b32 s33, exec_lo
	v_cmpx_ne_u32_e32 0x7f, v34
	s_cbranch_execz .LBB264_55
; %bb.52:                               ;   in Loop: Header=BB264_9 Depth=1
	v_and_b32_sdwa v31, v1, v23 dst_sel:DWORD dst_unused:UNUSED_PAD src0_sel:WORD_0 src1_sel:DWORD
	v_lshrrev_b32_e32 v33, 3, v34
	s_mov_b32 s34, exec_lo
	v_cmpx_gt_u32_e32 8, v34
; %bb.53:                               ;   in Loop: Header=BB264_9 Depth=1
	v_ffbh_u32_e32 v31, v31
	v_min_u32_e32 v31, 32, v31
	v_subrev_nc_u32_e32 v33, 28, v31
	v_lshlrev_b64 v[34:35], v33, v[1:2]
	v_sub_nc_u32_e32 v33, 29, v31
	v_and_b32_e32 v31, 7, v34
; %bb.54:                               ;   in Loop: Header=BB264_9 Depth=1
	s_or_b32 exec_lo, exec_lo, s34
	v_lshlrev_b32_sdwa v1, v24, v1 dst_sel:DWORD dst_unused:UNUSED_PAD src0_sel:DWORD src1_sel:WORD_0
	v_lshl_add_u32 v33, v33, 10, 0x2000
	v_lshlrev_b32_e32 v31, 23, v31
	v_and_or_b32 v1, 0x8000, v1, v33
	v_lshl_or_b32 v31, v1, 16, v31
.LBB264_55:                             ;   in Loop: Header=BB264_9 Depth=1
	s_or_b32 exec_lo, exec_lo, s33
.LBB264_56:                             ;   in Loop: Header=BB264_9 Depth=1
	s_or_b32 exec_lo, exec_lo, s31
.LBB264_57:                             ;   in Loop: Header=BB264_9 Depth=1
	s_or_b32 exec_lo, exec_lo, s3
	v_lshrrev_b32_e32 v1, 16, v9
	v_mov_b32_e32 v33, 0
	v_mov_b32_e32 v34, 0
	v_cmp_ne_u16_sdwa s2, v1, v2 src0_sel:BYTE_0 src1_sel:DWORD
	s_and_saveexec_b32 s3, s2
	s_cbranch_execz .LBB264_65
; %bb.58:                               ;   in Loop: Header=BB264_9 Depth=1
	v_cmp_ne_u16_sdwa s2, v1, v21 src0_sel:BYTE_0 src1_sel:DWORD
	v_mov_b32_e32 v34, 0x8000
	s_and_saveexec_b32 s31, s2
	s_cbranch_execz .LBB264_64
; %bb.59:                               ;   in Loop: Header=BB264_9 Depth=1
	v_bfe_u32 v36, v9, 16, 7
	v_mov_b32_e32 v34, 0x7c01
	s_mov_b32 s33, exec_lo
	v_cmpx_ne_u32_e32 0x7f, v36
	s_cbranch_execz .LBB264_63
; %bb.60:                               ;   in Loop: Header=BB264_9 Depth=1
	v_and_b32_e32 v34, 7, v1
	v_lshrrev_b32_e32 v35, 3, v36
	s_mov_b32 s34, exec_lo
	v_cmpx_gt_u32_e32 8, v36
; %bb.61:                               ;   in Loop: Header=BB264_9 Depth=1
	v_ffbh_u32_e32 v34, v34
	v_min_u32_e32 v36, 32, v34
	v_subrev_nc_u32_e32 v34, 28, v36
	v_lshlrev_b64 v[34:35], v34, v[1:2]
	v_sub_nc_u32_e32 v35, 29, v36
	v_and_b32_e32 v34, 7, v34
; %bb.62:                               ;   in Loop: Header=BB264_9 Depth=1
	s_or_b32 exec_lo, exec_lo, s34
	v_lshlrev_b32_e32 v1, 8, v1
	v_lshl_add_u32 v35, v35, 10, 0x2000
	v_lshlrev_b32_e32 v34, 7, v34
	v_and_b32_e32 v1, 0x8000, v1
	v_and_b32_e32 v35, 0xfc00, v35
	v_or3_b32 v34, v1, v35, v34
.LBB264_63:                             ;   in Loop: Header=BB264_9 Depth=1
	s_or_b32 exec_lo, exec_lo, s33
.LBB264_64:                             ;   in Loop: Header=BB264_9 Depth=1
	s_or_b32 exec_lo, exec_lo, s31
.LBB264_65:                             ;   in Loop: Header=BB264_9 Depth=1
	s_or_b32 exec_lo, exec_lo, s3
	s_mov_b32 s3, exec_lo
	v_cmpx_lt_u32_e32 0xffffff, v9
	s_cbranch_execz .LBB264_73
; %bb.66:                               ;   in Loop: Header=BB264_9 Depth=1
	v_lshrrev_b32_e32 v1, 24, v9
	v_bfrev_b32_e32 v33, 1
	s_mov_b32 s31, exec_lo
	v_cmpx_ne_u32_e32 0x80, v1
	s_cbranch_execz .LBB264_72
; %bb.67:                               ;   in Loop: Header=BB264_9 Depth=1
	v_and_b32_e32 v35, 0x7f, v1
	v_mov_b32_e32 v33, 0x7c010000
	s_mov_b32 s33, exec_lo
	v_cmpx_ne_u32_e32 0x7f, v35
	s_cbranch_execz .LBB264_71
; %bb.68:                               ;   in Loop: Header=BB264_9 Depth=1
	v_and_b32_e32 v9, 7, v1
	v_lshrrev_b32_e32 v33, 3, v35
	s_mov_b32 s34, exec_lo
	v_cmpx_gt_u32_e32 8, v35
; %bb.69:                               ;   in Loop: Header=BB264_9 Depth=1
	v_ffbh_u32_e32 v9, v9
	v_min_u32_e32 v9, 32, v9
	v_subrev_nc_u32_e32 v33, 28, v9
	v_lshlrev_b64 v[35:36], v33, v[1:2]
	v_sub_nc_u32_e32 v33, 29, v9
	v_and_b32_e32 v9, 7, v35
; %bb.70:                               ;   in Loop: Header=BB264_9 Depth=1
	s_or_b32 exec_lo, exec_lo, s34
	v_lshlrev_b32_e32 v1, 8, v1
	v_lshl_add_u32 v33, v33, 10, 0x2000
	v_lshlrev_b32_e32 v9, 23, v9
	v_and_or_b32 v1, 0x8000, v1, v33
	v_lshl_or_b32 v33, v1, 16, v9
.LBB264_71:                             ;   in Loop: Header=BB264_9 Depth=1
	s_or_b32 exec_lo, exec_lo, s33
.LBB264_72:                             ;   in Loop: Header=BB264_9 Depth=1
	s_or_b32 exec_lo, exec_lo, s31
.LBB264_73:                             ;   in Loop: Header=BB264_9 Depth=1
	s_or_b32 exec_lo, exec_lo, s3
	global_load_dword v9, v[7:8], off offset:256
	v_mov_b32_e32 v35, 0
	v_mov_b32_e32 v36, 0
	s_waitcnt vmcnt(0)
	v_cmp_ne_u16_sdwa s2, v9, v2 src0_sel:BYTE_0 src1_sel:DWORD
	s_and_saveexec_b32 s3, s2
	s_cbranch_execz .LBB264_81
; %bb.74:                               ;   in Loop: Header=BB264_9 Depth=1
	v_cmp_ne_u16_sdwa s2, v9, v21 src0_sel:BYTE_0 src1_sel:DWORD
	v_mov_b32_e32 v36, 0x8000
	s_and_saveexec_b32 s31, s2
	s_cbranch_execz .LBB264_80
; %bb.75:                               ;   in Loop: Header=BB264_9 Depth=1
	v_and_b32_e32 v37, 0x7f, v9
	v_mov_b32_e32 v36, 0x7c01
	s_mov_b32 s33, exec_lo
	v_cmpx_ne_u32_e32 0x7f, v37
	s_cbranch_execz .LBB264_79
; %bb.76:                               ;   in Loop: Header=BB264_9 Depth=1
	v_and_b32_e32 v1, 7, v9
	v_lshrrev_b32_e32 v36, 3, v37
	s_mov_b32 s34, exec_lo
	v_cmpx_gt_u32_e32 8, v37
; %bb.77:                               ;   in Loop: Header=BB264_9 Depth=1
	v_ffbh_u32_e32 v1, v1
	v_min_u32_e32 v1, 32, v1
	v_subrev_nc_u32_e32 v36, 28, v1
	v_lshlrev_b64 v[37:38], v36, v[9:10]
	v_sub_nc_u32_e32 v36, 29, v1
	v_and_b32_e32 v1, 7, v37
; %bb.78:                               ;   in Loop: Header=BB264_9 Depth=1
	s_or_b32 exec_lo, exec_lo, s34
	v_lshlrev_b32_e32 v37, 8, v9
	v_lshl_add_u32 v36, v36, 10, 0x2000
	v_lshlrev_b32_e32 v1, 7, v1
	v_and_b32_e32 v37, 0x8000, v37
	v_and_b32_e32 v36, 0xfc00, v36
	v_or3_b32 v36, v37, v36, v1
.LBB264_79:                             ;   in Loop: Header=BB264_9 Depth=1
	s_or_b32 exec_lo, exec_lo, s33
.LBB264_80:                             ;   in Loop: Header=BB264_9 Depth=1
	s_or_b32 exec_lo, exec_lo, s31
.LBB264_81:                             ;   in Loop: Header=BB264_9 Depth=1
	s_or_b32 exec_lo, exec_lo, s3
	v_lshrrev_b16 v1, 8, v9
	s_mov_b32 s3, exec_lo
	v_cmpx_ne_u16_e32 0, v1
	s_cbranch_execz .LBB264_89
; %bb.82:                               ;   in Loop: Header=BB264_9 Depth=1
	v_bfrev_b32_e32 v35, 1
	s_mov_b32 s31, exec_lo
	v_cmpx_ne_u16_e32 0x80, v1
	s_cbranch_execz .LBB264_88
; %bb.83:                               ;   in Loop: Header=BB264_9 Depth=1
	v_and_b32_sdwa v38, v1, v22 dst_sel:DWORD dst_unused:UNUSED_PAD src0_sel:WORD_0 src1_sel:DWORD
	v_mov_b32_e32 v35, 0x7c010000
	s_mov_b32 s33, exec_lo
	v_cmpx_ne_u32_e32 0x7f, v38
	s_cbranch_execz .LBB264_87
; %bb.84:                               ;   in Loop: Header=BB264_9 Depth=1
	v_and_b32_sdwa v35, v1, v23 dst_sel:DWORD dst_unused:UNUSED_PAD src0_sel:WORD_0 src1_sel:DWORD
	v_lshrrev_b32_e32 v37, 3, v38
	s_mov_b32 s34, exec_lo
	v_cmpx_gt_u32_e32 8, v38
; %bb.85:                               ;   in Loop: Header=BB264_9 Depth=1
	v_ffbh_u32_e32 v35, v35
	v_min_u32_e32 v35, 32, v35
	v_subrev_nc_u32_e32 v37, 28, v35
	v_lshlrev_b64 v[38:39], v37, v[1:2]
	v_sub_nc_u32_e32 v37, 29, v35
	v_and_b32_e32 v35, 7, v38
; %bb.86:                               ;   in Loop: Header=BB264_9 Depth=1
	s_or_b32 exec_lo, exec_lo, s34
	v_lshlrev_b32_sdwa v1, v24, v1 dst_sel:DWORD dst_unused:UNUSED_PAD src0_sel:DWORD src1_sel:WORD_0
	v_lshl_add_u32 v37, v37, 10, 0x2000
	v_lshlrev_b32_e32 v35, 23, v35
	v_and_or_b32 v1, 0x8000, v1, v37
	v_lshl_or_b32 v35, v1, 16, v35
.LBB264_87:                             ;   in Loop: Header=BB264_9 Depth=1
	s_or_b32 exec_lo, exec_lo, s33
.LBB264_88:                             ;   in Loop: Header=BB264_9 Depth=1
	s_or_b32 exec_lo, exec_lo, s31
.LBB264_89:                             ;   in Loop: Header=BB264_9 Depth=1
	s_or_b32 exec_lo, exec_lo, s3
	v_lshrrev_b32_e32 v1, 16, v9
	v_mov_b32_e32 v37, 0
	v_mov_b32_e32 v38, 0
	v_cmp_ne_u16_sdwa s2, v1, v2 src0_sel:BYTE_0 src1_sel:DWORD
	s_and_saveexec_b32 s3, s2
	s_cbranch_execz .LBB264_97
; %bb.90:                               ;   in Loop: Header=BB264_9 Depth=1
	v_cmp_ne_u16_sdwa s2, v1, v21 src0_sel:BYTE_0 src1_sel:DWORD
	v_mov_b32_e32 v38, 0x8000
	s_and_saveexec_b32 s31, s2
	s_cbranch_execz .LBB264_96
; %bb.91:                               ;   in Loop: Header=BB264_9 Depth=1
	v_bfe_u32 v40, v9, 16, 7
	v_mov_b32_e32 v38, 0x7c01
	s_mov_b32 s33, exec_lo
	v_cmpx_ne_u32_e32 0x7f, v40
	s_cbranch_execz .LBB264_95
; %bb.92:                               ;   in Loop: Header=BB264_9 Depth=1
	v_and_b32_e32 v38, 7, v1
	v_lshrrev_b32_e32 v39, 3, v40
	s_mov_b32 s34, exec_lo
	v_cmpx_gt_u32_e32 8, v40
; %bb.93:                               ;   in Loop: Header=BB264_9 Depth=1
	v_ffbh_u32_e32 v38, v38
	v_min_u32_e32 v40, 32, v38
	v_subrev_nc_u32_e32 v38, 28, v40
	v_lshlrev_b64 v[38:39], v38, v[1:2]
	v_sub_nc_u32_e32 v39, 29, v40
	v_and_b32_e32 v38, 7, v38
; %bb.94:                               ;   in Loop: Header=BB264_9 Depth=1
	s_or_b32 exec_lo, exec_lo, s34
	v_lshlrev_b32_e32 v1, 8, v1
	v_lshl_add_u32 v39, v39, 10, 0x2000
	v_lshlrev_b32_e32 v38, 7, v38
	v_and_b32_e32 v1, 0x8000, v1
	v_and_b32_e32 v39, 0xfc00, v39
	v_or3_b32 v38, v1, v39, v38
.LBB264_95:                             ;   in Loop: Header=BB264_9 Depth=1
	s_or_b32 exec_lo, exec_lo, s33
.LBB264_96:                             ;   in Loop: Header=BB264_9 Depth=1
	s_or_b32 exec_lo, exec_lo, s31
.LBB264_97:                             ;   in Loop: Header=BB264_9 Depth=1
	s_or_b32 exec_lo, exec_lo, s3
	s_mov_b32 s3, exec_lo
	v_cmpx_lt_u32_e32 0xffffff, v9
	s_cbranch_execz .LBB264_105
; %bb.98:                               ;   in Loop: Header=BB264_9 Depth=1
	v_lshrrev_b32_e32 v1, 24, v9
	v_bfrev_b32_e32 v37, 1
	s_mov_b32 s31, exec_lo
	v_cmpx_ne_u32_e32 0x80, v1
	s_cbranch_execz .LBB264_104
; %bb.99:                               ;   in Loop: Header=BB264_9 Depth=1
	v_and_b32_e32 v39, 0x7f, v1
	v_mov_b32_e32 v37, 0x7c010000
	s_mov_b32 s33, exec_lo
	v_cmpx_ne_u32_e32 0x7f, v39
	s_cbranch_execz .LBB264_103
; %bb.100:                              ;   in Loop: Header=BB264_9 Depth=1
	v_and_b32_e32 v9, 7, v1
	v_lshrrev_b32_e32 v37, 3, v39
	s_mov_b32 s34, exec_lo
	v_cmpx_gt_u32_e32 8, v39
; %bb.101:                              ;   in Loop: Header=BB264_9 Depth=1
	v_ffbh_u32_e32 v9, v9
	v_min_u32_e32 v9, 32, v9
	v_subrev_nc_u32_e32 v37, 28, v9
	v_lshlrev_b64 v[39:40], v37, v[1:2]
	v_sub_nc_u32_e32 v37, 29, v9
	v_and_b32_e32 v9, 7, v39
; %bb.102:                              ;   in Loop: Header=BB264_9 Depth=1
	s_or_b32 exec_lo, exec_lo, s34
	v_lshlrev_b32_e32 v1, 8, v1
	v_lshl_add_u32 v37, v37, 10, 0x2000
	v_lshlrev_b32_e32 v9, 23, v9
	v_and_or_b32 v1, 0x8000, v1, v37
	v_lshl_or_b32 v37, v1, 16, v9
.LBB264_103:                            ;   in Loop: Header=BB264_9 Depth=1
	s_or_b32 exec_lo, exec_lo, s33
.LBB264_104:                            ;   in Loop: Header=BB264_9 Depth=1
	s_or_b32 exec_lo, exec_lo, s31
.LBB264_105:                            ;   in Loop: Header=BB264_9 Depth=1
	s_or_b32 exec_lo, exec_lo, s3
	global_load_dword v9, v[7:8], off offset:264
	v_mov_b32_e32 v39, 0
	v_mov_b32_e32 v40, 0
	s_waitcnt vmcnt(0)
	v_cmp_ne_u16_sdwa s2, v9, v2 src0_sel:BYTE_0 src1_sel:DWORD
	s_and_saveexec_b32 s3, s2
	s_cbranch_execz .LBB264_113
; %bb.106:                              ;   in Loop: Header=BB264_9 Depth=1
	v_cmp_ne_u16_sdwa s2, v9, v21 src0_sel:BYTE_0 src1_sel:DWORD
	v_mov_b32_e32 v40, 0x8000
	s_and_saveexec_b32 s31, s2
	s_cbranch_execz .LBB264_112
; %bb.107:                              ;   in Loop: Header=BB264_9 Depth=1
	v_and_b32_e32 v41, 0x7f, v9
	v_mov_b32_e32 v40, 0x7c01
	s_mov_b32 s33, exec_lo
	v_cmpx_ne_u32_e32 0x7f, v41
	s_cbranch_execz .LBB264_111
; %bb.108:                              ;   in Loop: Header=BB264_9 Depth=1
	v_and_b32_e32 v1, 7, v9
	v_lshrrev_b32_e32 v40, 3, v41
	s_mov_b32 s34, exec_lo
	v_cmpx_gt_u32_e32 8, v41
; %bb.109:                              ;   in Loop: Header=BB264_9 Depth=1
	v_ffbh_u32_e32 v1, v1
	v_min_u32_e32 v1, 32, v1
	v_subrev_nc_u32_e32 v40, 28, v1
	v_lshlrev_b64 v[41:42], v40, v[9:10]
	v_sub_nc_u32_e32 v40, 29, v1
	v_and_b32_e32 v1, 7, v41
; %bb.110:                              ;   in Loop: Header=BB264_9 Depth=1
	s_or_b32 exec_lo, exec_lo, s34
	v_lshlrev_b32_e32 v41, 8, v9
	v_lshl_add_u32 v40, v40, 10, 0x2000
	v_lshlrev_b32_e32 v1, 7, v1
	v_and_b32_e32 v41, 0x8000, v41
	v_and_b32_e32 v40, 0xfc00, v40
	v_or3_b32 v40, v41, v40, v1
.LBB264_111:                            ;   in Loop: Header=BB264_9 Depth=1
	s_or_b32 exec_lo, exec_lo, s33
.LBB264_112:                            ;   in Loop: Header=BB264_9 Depth=1
	s_or_b32 exec_lo, exec_lo, s31
.LBB264_113:                            ;   in Loop: Header=BB264_9 Depth=1
	s_or_b32 exec_lo, exec_lo, s3
	v_lshrrev_b16 v1, 8, v9
	s_mov_b32 s3, exec_lo
	v_cmpx_ne_u16_e32 0, v1
	s_cbranch_execz .LBB264_121
; %bb.114:                              ;   in Loop: Header=BB264_9 Depth=1
	v_bfrev_b32_e32 v39, 1
	s_mov_b32 s31, exec_lo
	v_cmpx_ne_u16_e32 0x80, v1
	s_cbranch_execz .LBB264_120
; %bb.115:                              ;   in Loop: Header=BB264_9 Depth=1
	v_and_b32_sdwa v42, v1, v22 dst_sel:DWORD dst_unused:UNUSED_PAD src0_sel:WORD_0 src1_sel:DWORD
	v_mov_b32_e32 v39, 0x7c010000
	s_mov_b32 s33, exec_lo
	v_cmpx_ne_u32_e32 0x7f, v42
	s_cbranch_execz .LBB264_119
; %bb.116:                              ;   in Loop: Header=BB264_9 Depth=1
	v_and_b32_sdwa v39, v1, v23 dst_sel:DWORD dst_unused:UNUSED_PAD src0_sel:WORD_0 src1_sel:DWORD
	v_lshrrev_b32_e32 v41, 3, v42
	s_mov_b32 s34, exec_lo
	v_cmpx_gt_u32_e32 8, v42
; %bb.117:                              ;   in Loop: Header=BB264_9 Depth=1
	v_ffbh_u32_e32 v39, v39
	v_min_u32_e32 v39, 32, v39
	v_subrev_nc_u32_e32 v41, 28, v39
	v_lshlrev_b64 v[42:43], v41, v[1:2]
	v_sub_nc_u32_e32 v41, 29, v39
	v_and_b32_e32 v39, 7, v42
; %bb.118:                              ;   in Loop: Header=BB264_9 Depth=1
	s_or_b32 exec_lo, exec_lo, s34
	v_lshlrev_b32_sdwa v1, v24, v1 dst_sel:DWORD dst_unused:UNUSED_PAD src0_sel:DWORD src1_sel:WORD_0
	v_lshl_add_u32 v41, v41, 10, 0x2000
	v_lshlrev_b32_e32 v39, 23, v39
	v_and_or_b32 v1, 0x8000, v1, v41
	v_lshl_or_b32 v39, v1, 16, v39
.LBB264_119:                            ;   in Loop: Header=BB264_9 Depth=1
	s_or_b32 exec_lo, exec_lo, s33
.LBB264_120:                            ;   in Loop: Header=BB264_9 Depth=1
	s_or_b32 exec_lo, exec_lo, s31
.LBB264_121:                            ;   in Loop: Header=BB264_9 Depth=1
	s_or_b32 exec_lo, exec_lo, s3
	v_lshrrev_b32_e32 v1, 16, v9
	v_mov_b32_e32 v41, 0
	v_mov_b32_e32 v42, 0
	v_cmp_ne_u16_sdwa s2, v1, v2 src0_sel:BYTE_0 src1_sel:DWORD
	s_and_saveexec_b32 s3, s2
	s_cbranch_execz .LBB264_129
; %bb.122:                              ;   in Loop: Header=BB264_9 Depth=1
	v_cmp_ne_u16_sdwa s2, v1, v21 src0_sel:BYTE_0 src1_sel:DWORD
	v_mov_b32_e32 v42, 0x8000
	s_and_saveexec_b32 s31, s2
	s_cbranch_execz .LBB264_128
; %bb.123:                              ;   in Loop: Header=BB264_9 Depth=1
	v_bfe_u32 v44, v9, 16, 7
	v_mov_b32_e32 v42, 0x7c01
	s_mov_b32 s33, exec_lo
	v_cmpx_ne_u32_e32 0x7f, v44
	s_cbranch_execz .LBB264_127
; %bb.124:                              ;   in Loop: Header=BB264_9 Depth=1
	v_and_b32_e32 v42, 7, v1
	v_lshrrev_b32_e32 v43, 3, v44
	s_mov_b32 s34, exec_lo
	v_cmpx_gt_u32_e32 8, v44
; %bb.125:                              ;   in Loop: Header=BB264_9 Depth=1
	v_ffbh_u32_e32 v42, v42
	v_min_u32_e32 v44, 32, v42
	v_subrev_nc_u32_e32 v42, 28, v44
	v_lshlrev_b64 v[42:43], v42, v[1:2]
	v_sub_nc_u32_e32 v43, 29, v44
	v_and_b32_e32 v42, 7, v42
; %bb.126:                              ;   in Loop: Header=BB264_9 Depth=1
	s_or_b32 exec_lo, exec_lo, s34
	v_lshlrev_b32_e32 v1, 8, v1
	v_lshl_add_u32 v43, v43, 10, 0x2000
	v_lshlrev_b32_e32 v42, 7, v42
	v_and_b32_e32 v1, 0x8000, v1
	v_and_b32_e32 v43, 0xfc00, v43
	v_or3_b32 v42, v1, v43, v42
.LBB264_127:                            ;   in Loop: Header=BB264_9 Depth=1
	s_or_b32 exec_lo, exec_lo, s33
.LBB264_128:                            ;   in Loop: Header=BB264_9 Depth=1
	s_or_b32 exec_lo, exec_lo, s31
.LBB264_129:                            ;   in Loop: Header=BB264_9 Depth=1
	s_or_b32 exec_lo, exec_lo, s3
	s_mov_b32 s3, exec_lo
	v_cmpx_lt_u32_e32 0xffffff, v9
	s_cbranch_execz .LBB264_137
; %bb.130:                              ;   in Loop: Header=BB264_9 Depth=1
	v_lshrrev_b32_e32 v1, 24, v9
	v_bfrev_b32_e32 v41, 1
	s_mov_b32 s31, exec_lo
	v_cmpx_ne_u32_e32 0x80, v1
	s_cbranch_execz .LBB264_136
; %bb.131:                              ;   in Loop: Header=BB264_9 Depth=1
	v_and_b32_e32 v43, 0x7f, v1
	v_mov_b32_e32 v41, 0x7c010000
	s_mov_b32 s33, exec_lo
	v_cmpx_ne_u32_e32 0x7f, v43
	s_cbranch_execz .LBB264_135
; %bb.132:                              ;   in Loop: Header=BB264_9 Depth=1
	v_and_b32_e32 v9, 7, v1
	v_lshrrev_b32_e32 v41, 3, v43
	s_mov_b32 s34, exec_lo
	v_cmpx_gt_u32_e32 8, v43
; %bb.133:                              ;   in Loop: Header=BB264_9 Depth=1
	v_ffbh_u32_e32 v9, v9
	v_min_u32_e32 v9, 32, v9
	v_subrev_nc_u32_e32 v41, 28, v9
	v_lshlrev_b64 v[43:44], v41, v[1:2]
	v_sub_nc_u32_e32 v41, 29, v9
	v_and_b32_e32 v9, 7, v43
; %bb.134:                              ;   in Loop: Header=BB264_9 Depth=1
	s_or_b32 exec_lo, exec_lo, s34
	v_lshlrev_b32_e32 v1, 8, v1
	v_lshl_add_u32 v41, v41, 10, 0x2000
	v_lshlrev_b32_e32 v9, 23, v9
	v_and_or_b32 v1, 0x8000, v1, v41
	v_lshl_or_b32 v41, v1, 16, v9
.LBB264_135:                            ;   in Loop: Header=BB264_9 Depth=1
	s_or_b32 exec_lo, exec_lo, s33
.LBB264_136:                            ;   in Loop: Header=BB264_9 Depth=1
	s_or_b32 exec_lo, exec_lo, s31
.LBB264_137:                            ;   in Loop: Header=BB264_9 Depth=1
	s_or_b32 exec_lo, exec_lo, s3
	global_load_dword v9, v[7:8], off offset:512
	v_mov_b32_e32 v43, 0
	v_mov_b32_e32 v44, 0
	s_waitcnt vmcnt(0)
	v_cmp_ne_u16_sdwa s2, v9, v2 src0_sel:BYTE_0 src1_sel:DWORD
	s_and_saveexec_b32 s3, s2
	s_cbranch_execz .LBB264_145
; %bb.138:                              ;   in Loop: Header=BB264_9 Depth=1
	v_cmp_ne_u16_sdwa s2, v9, v21 src0_sel:BYTE_0 src1_sel:DWORD
	v_mov_b32_e32 v44, 0x8000
	s_and_saveexec_b32 s31, s2
	s_cbranch_execz .LBB264_144
; %bb.139:                              ;   in Loop: Header=BB264_9 Depth=1
	v_and_b32_e32 v45, 0x7f, v9
	v_mov_b32_e32 v44, 0x7c01
	s_mov_b32 s33, exec_lo
	v_cmpx_ne_u32_e32 0x7f, v45
	s_cbranch_execz .LBB264_143
; %bb.140:                              ;   in Loop: Header=BB264_9 Depth=1
	v_and_b32_e32 v1, 7, v9
	v_lshrrev_b32_e32 v44, 3, v45
	s_mov_b32 s34, exec_lo
	v_cmpx_gt_u32_e32 8, v45
; %bb.141:                              ;   in Loop: Header=BB264_9 Depth=1
	v_ffbh_u32_e32 v1, v1
	v_min_u32_e32 v1, 32, v1
	v_subrev_nc_u32_e32 v44, 28, v1
	v_lshlrev_b64 v[45:46], v44, v[9:10]
	v_sub_nc_u32_e32 v44, 29, v1
	v_and_b32_e32 v1, 7, v45
; %bb.142:                              ;   in Loop: Header=BB264_9 Depth=1
	s_or_b32 exec_lo, exec_lo, s34
	v_lshlrev_b32_e32 v45, 8, v9
	v_lshl_add_u32 v44, v44, 10, 0x2000
	v_lshlrev_b32_e32 v1, 7, v1
	v_and_b32_e32 v45, 0x8000, v45
	v_and_b32_e32 v44, 0xfc00, v44
	v_or3_b32 v44, v45, v44, v1
.LBB264_143:                            ;   in Loop: Header=BB264_9 Depth=1
	s_or_b32 exec_lo, exec_lo, s33
.LBB264_144:                            ;   in Loop: Header=BB264_9 Depth=1
	s_or_b32 exec_lo, exec_lo, s31
.LBB264_145:                            ;   in Loop: Header=BB264_9 Depth=1
	s_or_b32 exec_lo, exec_lo, s3
	v_lshrrev_b16 v1, 8, v9
	s_mov_b32 s3, exec_lo
	v_cmpx_ne_u16_e32 0, v1
	s_cbranch_execz .LBB264_153
; %bb.146:                              ;   in Loop: Header=BB264_9 Depth=1
	v_bfrev_b32_e32 v43, 1
	s_mov_b32 s31, exec_lo
	v_cmpx_ne_u16_e32 0x80, v1
	s_cbranch_execz .LBB264_152
; %bb.147:                              ;   in Loop: Header=BB264_9 Depth=1
	v_and_b32_sdwa v46, v1, v22 dst_sel:DWORD dst_unused:UNUSED_PAD src0_sel:WORD_0 src1_sel:DWORD
	v_mov_b32_e32 v43, 0x7c010000
	s_mov_b32 s33, exec_lo
	v_cmpx_ne_u32_e32 0x7f, v46
	s_cbranch_execz .LBB264_151
; %bb.148:                              ;   in Loop: Header=BB264_9 Depth=1
	v_and_b32_sdwa v43, v1, v23 dst_sel:DWORD dst_unused:UNUSED_PAD src0_sel:WORD_0 src1_sel:DWORD
	v_lshrrev_b32_e32 v45, 3, v46
	s_mov_b32 s34, exec_lo
	v_cmpx_gt_u32_e32 8, v46
; %bb.149:                              ;   in Loop: Header=BB264_9 Depth=1
	v_ffbh_u32_e32 v43, v43
	v_min_u32_e32 v43, 32, v43
	v_subrev_nc_u32_e32 v45, 28, v43
	v_lshlrev_b64 v[46:47], v45, v[1:2]
	v_sub_nc_u32_e32 v45, 29, v43
	v_and_b32_e32 v43, 7, v46
; %bb.150:                              ;   in Loop: Header=BB264_9 Depth=1
	s_or_b32 exec_lo, exec_lo, s34
	v_lshlrev_b32_sdwa v1, v24, v1 dst_sel:DWORD dst_unused:UNUSED_PAD src0_sel:DWORD src1_sel:WORD_0
	v_lshl_add_u32 v45, v45, 10, 0x2000
	v_lshlrev_b32_e32 v43, 23, v43
	v_and_or_b32 v1, 0x8000, v1, v45
	v_lshl_or_b32 v43, v1, 16, v43
.LBB264_151:                            ;   in Loop: Header=BB264_9 Depth=1
	s_or_b32 exec_lo, exec_lo, s33
.LBB264_152:                            ;   in Loop: Header=BB264_9 Depth=1
	s_or_b32 exec_lo, exec_lo, s31
.LBB264_153:                            ;   in Loop: Header=BB264_9 Depth=1
	s_or_b32 exec_lo, exec_lo, s3
	v_lshrrev_b32_e32 v1, 16, v9
	v_mov_b32_e32 v45, 0
	v_mov_b32_e32 v46, 0
	v_cmp_ne_u16_sdwa s2, v1, v2 src0_sel:BYTE_0 src1_sel:DWORD
	s_and_saveexec_b32 s3, s2
	s_cbranch_execz .LBB264_161
; %bb.154:                              ;   in Loop: Header=BB264_9 Depth=1
	v_cmp_ne_u16_sdwa s2, v1, v21 src0_sel:BYTE_0 src1_sel:DWORD
	v_mov_b32_e32 v46, 0x8000
	s_and_saveexec_b32 s31, s2
	s_cbranch_execz .LBB264_160
; %bb.155:                              ;   in Loop: Header=BB264_9 Depth=1
	v_bfe_u32 v48, v9, 16, 7
	v_mov_b32_e32 v46, 0x7c01
	s_mov_b32 s33, exec_lo
	v_cmpx_ne_u32_e32 0x7f, v48
	s_cbranch_execz .LBB264_159
; %bb.156:                              ;   in Loop: Header=BB264_9 Depth=1
	v_and_b32_e32 v46, 7, v1
	v_lshrrev_b32_e32 v47, 3, v48
	s_mov_b32 s34, exec_lo
	v_cmpx_gt_u32_e32 8, v48
; %bb.157:                              ;   in Loop: Header=BB264_9 Depth=1
	v_ffbh_u32_e32 v46, v46
	v_min_u32_e32 v48, 32, v46
	v_subrev_nc_u32_e32 v46, 28, v48
	v_lshlrev_b64 v[46:47], v46, v[1:2]
	v_sub_nc_u32_e32 v47, 29, v48
	v_and_b32_e32 v46, 7, v46
; %bb.158:                              ;   in Loop: Header=BB264_9 Depth=1
	s_or_b32 exec_lo, exec_lo, s34
	v_lshlrev_b32_e32 v1, 8, v1
	v_lshl_add_u32 v47, v47, 10, 0x2000
	v_lshlrev_b32_e32 v46, 7, v46
	v_and_b32_e32 v1, 0x8000, v1
	v_and_b32_e32 v47, 0xfc00, v47
	v_or3_b32 v46, v1, v47, v46
.LBB264_159:                            ;   in Loop: Header=BB264_9 Depth=1
	s_or_b32 exec_lo, exec_lo, s33
.LBB264_160:                            ;   in Loop: Header=BB264_9 Depth=1
	s_or_b32 exec_lo, exec_lo, s31
.LBB264_161:                            ;   in Loop: Header=BB264_9 Depth=1
	s_or_b32 exec_lo, exec_lo, s3
	s_mov_b32 s3, exec_lo
	v_cmpx_lt_u32_e32 0xffffff, v9
	s_cbranch_execz .LBB264_169
; %bb.162:                              ;   in Loop: Header=BB264_9 Depth=1
	v_lshrrev_b32_e32 v1, 24, v9
	v_bfrev_b32_e32 v45, 1
	s_mov_b32 s31, exec_lo
	v_cmpx_ne_u32_e32 0x80, v1
	s_cbranch_execz .LBB264_168
; %bb.163:                              ;   in Loop: Header=BB264_9 Depth=1
	v_and_b32_e32 v47, 0x7f, v1
	v_mov_b32_e32 v45, 0x7c010000
	s_mov_b32 s33, exec_lo
	v_cmpx_ne_u32_e32 0x7f, v47
	s_cbranch_execz .LBB264_167
; %bb.164:                              ;   in Loop: Header=BB264_9 Depth=1
	v_and_b32_e32 v9, 7, v1
	v_lshrrev_b32_e32 v45, 3, v47
	s_mov_b32 s34, exec_lo
	v_cmpx_gt_u32_e32 8, v47
; %bb.165:                              ;   in Loop: Header=BB264_9 Depth=1
	v_ffbh_u32_e32 v9, v9
	v_min_u32_e32 v9, 32, v9
	v_subrev_nc_u32_e32 v45, 28, v9
	v_lshlrev_b64 v[47:48], v45, v[1:2]
	v_sub_nc_u32_e32 v45, 29, v9
	v_and_b32_e32 v9, 7, v47
; %bb.166:                              ;   in Loop: Header=BB264_9 Depth=1
	s_or_b32 exec_lo, exec_lo, s34
	v_lshlrev_b32_e32 v1, 8, v1
	v_lshl_add_u32 v45, v45, 10, 0x2000
	v_lshlrev_b32_e32 v9, 23, v9
	v_and_or_b32 v1, 0x8000, v1, v45
	v_lshl_or_b32 v45, v1, 16, v9
.LBB264_167:                            ;   in Loop: Header=BB264_9 Depth=1
	s_or_b32 exec_lo, exec_lo, s33
.LBB264_168:                            ;   in Loop: Header=BB264_9 Depth=1
	s_or_b32 exec_lo, exec_lo, s31
.LBB264_169:                            ;   in Loop: Header=BB264_9 Depth=1
	s_or_b32 exec_lo, exec_lo, s3
	global_load_dword v9, v[7:8], off offset:520
	v_mov_b32_e32 v47, 0
	v_mov_b32_e32 v48, 0
	s_waitcnt vmcnt(0)
	v_cmp_ne_u16_sdwa s2, v9, v2 src0_sel:BYTE_0 src1_sel:DWORD
	s_and_saveexec_b32 s3, s2
	s_cbranch_execz .LBB264_177
; %bb.170:                              ;   in Loop: Header=BB264_9 Depth=1
	v_cmp_ne_u16_sdwa s2, v9, v21 src0_sel:BYTE_0 src1_sel:DWORD
	v_mov_b32_e32 v48, 0x8000
	s_and_saveexec_b32 s31, s2
	s_cbranch_execz .LBB264_176
; %bb.171:                              ;   in Loop: Header=BB264_9 Depth=1
	v_and_b32_e32 v49, 0x7f, v9
	v_mov_b32_e32 v48, 0x7c01
	s_mov_b32 s33, exec_lo
	v_cmpx_ne_u32_e32 0x7f, v49
	s_cbranch_execz .LBB264_175
; %bb.172:                              ;   in Loop: Header=BB264_9 Depth=1
	v_and_b32_e32 v1, 7, v9
	v_lshrrev_b32_e32 v48, 3, v49
	s_mov_b32 s34, exec_lo
	v_cmpx_gt_u32_e32 8, v49
; %bb.173:                              ;   in Loop: Header=BB264_9 Depth=1
	v_ffbh_u32_e32 v1, v1
	v_min_u32_e32 v1, 32, v1
	v_subrev_nc_u32_e32 v48, 28, v1
	v_lshlrev_b64 v[49:50], v48, v[9:10]
	v_sub_nc_u32_e32 v48, 29, v1
	v_and_b32_e32 v1, 7, v49
; %bb.174:                              ;   in Loop: Header=BB264_9 Depth=1
	s_or_b32 exec_lo, exec_lo, s34
	v_lshlrev_b32_e32 v49, 8, v9
	v_lshl_add_u32 v48, v48, 10, 0x2000
	v_lshlrev_b32_e32 v1, 7, v1
	v_and_b32_e32 v49, 0x8000, v49
	v_and_b32_e32 v48, 0xfc00, v48
	v_or3_b32 v48, v49, v48, v1
.LBB264_175:                            ;   in Loop: Header=BB264_9 Depth=1
	s_or_b32 exec_lo, exec_lo, s33
.LBB264_176:                            ;   in Loop: Header=BB264_9 Depth=1
	s_or_b32 exec_lo, exec_lo, s31
.LBB264_177:                            ;   in Loop: Header=BB264_9 Depth=1
	s_or_b32 exec_lo, exec_lo, s3
	v_lshrrev_b16 v1, 8, v9
	s_mov_b32 s3, exec_lo
	v_cmpx_ne_u16_e32 0, v1
	s_cbranch_execz .LBB264_185
; %bb.178:                              ;   in Loop: Header=BB264_9 Depth=1
	v_bfrev_b32_e32 v47, 1
	s_mov_b32 s31, exec_lo
	v_cmpx_ne_u16_e32 0x80, v1
	s_cbranch_execz .LBB264_184
; %bb.179:                              ;   in Loop: Header=BB264_9 Depth=1
	v_and_b32_sdwa v50, v1, v22 dst_sel:DWORD dst_unused:UNUSED_PAD src0_sel:WORD_0 src1_sel:DWORD
	v_mov_b32_e32 v47, 0x7c010000
	s_mov_b32 s33, exec_lo
	v_cmpx_ne_u32_e32 0x7f, v50
	s_cbranch_execz .LBB264_183
; %bb.180:                              ;   in Loop: Header=BB264_9 Depth=1
	v_and_b32_sdwa v47, v1, v23 dst_sel:DWORD dst_unused:UNUSED_PAD src0_sel:WORD_0 src1_sel:DWORD
	v_lshrrev_b32_e32 v49, 3, v50
	s_mov_b32 s34, exec_lo
	v_cmpx_gt_u32_e32 8, v50
; %bb.181:                              ;   in Loop: Header=BB264_9 Depth=1
	v_ffbh_u32_e32 v47, v47
	v_min_u32_e32 v47, 32, v47
	v_subrev_nc_u32_e32 v49, 28, v47
	v_lshlrev_b64 v[50:51], v49, v[1:2]
	v_sub_nc_u32_e32 v49, 29, v47
	v_and_b32_e32 v47, 7, v50
; %bb.182:                              ;   in Loop: Header=BB264_9 Depth=1
	s_or_b32 exec_lo, exec_lo, s34
	v_lshlrev_b32_sdwa v1, v24, v1 dst_sel:DWORD dst_unused:UNUSED_PAD src0_sel:DWORD src1_sel:WORD_0
	v_lshl_add_u32 v49, v49, 10, 0x2000
	v_lshlrev_b32_e32 v47, 23, v47
	v_and_or_b32 v1, 0x8000, v1, v49
	v_lshl_or_b32 v47, v1, 16, v47
.LBB264_183:                            ;   in Loop: Header=BB264_9 Depth=1
	s_or_b32 exec_lo, exec_lo, s33
.LBB264_184:                            ;   in Loop: Header=BB264_9 Depth=1
	s_or_b32 exec_lo, exec_lo, s31
.LBB264_185:                            ;   in Loop: Header=BB264_9 Depth=1
	s_or_b32 exec_lo, exec_lo, s3
	v_lshrrev_b32_e32 v1, 16, v9
	v_mov_b32_e32 v49, 0
	v_mov_b32_e32 v50, 0
	v_cmp_ne_u16_sdwa s2, v1, v2 src0_sel:BYTE_0 src1_sel:DWORD
	s_and_saveexec_b32 s3, s2
	s_cbranch_execz .LBB264_193
; %bb.186:                              ;   in Loop: Header=BB264_9 Depth=1
	v_cmp_ne_u16_sdwa s2, v1, v21 src0_sel:BYTE_0 src1_sel:DWORD
	v_mov_b32_e32 v50, 0x8000
	s_and_saveexec_b32 s31, s2
	s_cbranch_execz .LBB264_192
; %bb.187:                              ;   in Loop: Header=BB264_9 Depth=1
	v_bfe_u32 v52, v9, 16, 7
	v_mov_b32_e32 v50, 0x7c01
	s_mov_b32 s33, exec_lo
	v_cmpx_ne_u32_e32 0x7f, v52
	s_cbranch_execz .LBB264_191
; %bb.188:                              ;   in Loop: Header=BB264_9 Depth=1
	v_and_b32_e32 v50, 7, v1
	v_lshrrev_b32_e32 v51, 3, v52
	s_mov_b32 s34, exec_lo
	v_cmpx_gt_u32_e32 8, v52
; %bb.189:                              ;   in Loop: Header=BB264_9 Depth=1
	v_ffbh_u32_e32 v50, v50
	v_min_u32_e32 v52, 32, v50
	v_subrev_nc_u32_e32 v50, 28, v52
	v_lshlrev_b64 v[50:51], v50, v[1:2]
	v_sub_nc_u32_e32 v51, 29, v52
	v_and_b32_e32 v50, 7, v50
; %bb.190:                              ;   in Loop: Header=BB264_9 Depth=1
	s_or_b32 exec_lo, exec_lo, s34
	v_lshlrev_b32_e32 v1, 8, v1
	v_lshl_add_u32 v51, v51, 10, 0x2000
	v_lshlrev_b32_e32 v50, 7, v50
	v_and_b32_e32 v1, 0x8000, v1
	v_and_b32_e32 v51, 0xfc00, v51
	v_or3_b32 v50, v1, v51, v50
.LBB264_191:                            ;   in Loop: Header=BB264_9 Depth=1
	s_or_b32 exec_lo, exec_lo, s33
.LBB264_192:                            ;   in Loop: Header=BB264_9 Depth=1
	s_or_b32 exec_lo, exec_lo, s31
.LBB264_193:                            ;   in Loop: Header=BB264_9 Depth=1
	s_or_b32 exec_lo, exec_lo, s3
	s_mov_b32 s3, exec_lo
	v_cmpx_lt_u32_e32 0xffffff, v9
	s_cbranch_execz .LBB264_201
; %bb.194:                              ;   in Loop: Header=BB264_9 Depth=1
	v_lshrrev_b32_e32 v1, 24, v9
	v_bfrev_b32_e32 v49, 1
	s_mov_b32 s31, exec_lo
	v_cmpx_ne_u32_e32 0x80, v1
	s_cbranch_execz .LBB264_200
; %bb.195:                              ;   in Loop: Header=BB264_9 Depth=1
	v_and_b32_e32 v51, 0x7f, v1
	v_mov_b32_e32 v49, 0x7c010000
	s_mov_b32 s33, exec_lo
	v_cmpx_ne_u32_e32 0x7f, v51
	s_cbranch_execz .LBB264_199
; %bb.196:                              ;   in Loop: Header=BB264_9 Depth=1
	v_and_b32_e32 v9, 7, v1
	v_lshrrev_b32_e32 v49, 3, v51
	s_mov_b32 s34, exec_lo
	v_cmpx_gt_u32_e32 8, v51
; %bb.197:                              ;   in Loop: Header=BB264_9 Depth=1
	v_ffbh_u32_e32 v9, v9
	v_min_u32_e32 v9, 32, v9
	v_subrev_nc_u32_e32 v49, 28, v9
	v_lshlrev_b64 v[51:52], v49, v[1:2]
	v_sub_nc_u32_e32 v49, 29, v9
	v_and_b32_e32 v9, 7, v51
; %bb.198:                              ;   in Loop: Header=BB264_9 Depth=1
	s_or_b32 exec_lo, exec_lo, s34
	v_lshlrev_b32_e32 v1, 8, v1
	v_lshl_add_u32 v49, v49, 10, 0x2000
	v_lshlrev_b32_e32 v9, 23, v9
	v_and_or_b32 v1, 0x8000, v1, v49
	v_lshl_or_b32 v49, v1, 16, v9
.LBB264_199:                            ;   in Loop: Header=BB264_9 Depth=1
	s_or_b32 exec_lo, exec_lo, s33
.LBB264_200:                            ;   in Loop: Header=BB264_9 Depth=1
	s_or_b32 exec_lo, exec_lo, s31
.LBB264_201:                            ;   in Loop: Header=BB264_9 Depth=1
	s_or_b32 exec_lo, exec_lo, s3
	global_load_dword v9, v[7:8], off offset:768
	v_mov_b32_e32 v51, 0
	v_mov_b32_e32 v52, 0
	s_waitcnt vmcnt(0)
	v_cmp_ne_u16_sdwa s2, v9, v2 src0_sel:BYTE_0 src1_sel:DWORD
	s_and_saveexec_b32 s3, s2
	s_cbranch_execz .LBB264_209
; %bb.202:                              ;   in Loop: Header=BB264_9 Depth=1
	v_cmp_ne_u16_sdwa s2, v9, v21 src0_sel:BYTE_0 src1_sel:DWORD
	v_mov_b32_e32 v52, 0x8000
	s_and_saveexec_b32 s31, s2
	s_cbranch_execz .LBB264_208
; %bb.203:                              ;   in Loop: Header=BB264_9 Depth=1
	v_and_b32_e32 v53, 0x7f, v9
	v_mov_b32_e32 v52, 0x7c01
	s_mov_b32 s33, exec_lo
	v_cmpx_ne_u32_e32 0x7f, v53
	s_cbranch_execz .LBB264_207
; %bb.204:                              ;   in Loop: Header=BB264_9 Depth=1
	v_and_b32_e32 v1, 7, v9
	v_lshrrev_b32_e32 v52, 3, v53
	s_mov_b32 s34, exec_lo
	v_cmpx_gt_u32_e32 8, v53
; %bb.205:                              ;   in Loop: Header=BB264_9 Depth=1
	v_ffbh_u32_e32 v1, v1
	v_min_u32_e32 v1, 32, v1
	v_subrev_nc_u32_e32 v52, 28, v1
	v_lshlrev_b64 v[53:54], v52, v[9:10]
	v_sub_nc_u32_e32 v52, 29, v1
	v_and_b32_e32 v1, 7, v53
; %bb.206:                              ;   in Loop: Header=BB264_9 Depth=1
	s_or_b32 exec_lo, exec_lo, s34
	v_lshlrev_b32_e32 v53, 8, v9
	v_lshl_add_u32 v52, v52, 10, 0x2000
	v_lshlrev_b32_e32 v1, 7, v1
	v_and_b32_e32 v53, 0x8000, v53
	v_and_b32_e32 v52, 0xfc00, v52
	v_or3_b32 v52, v53, v52, v1
.LBB264_207:                            ;   in Loop: Header=BB264_9 Depth=1
	s_or_b32 exec_lo, exec_lo, s33
.LBB264_208:                            ;   in Loop: Header=BB264_9 Depth=1
	s_or_b32 exec_lo, exec_lo, s31
.LBB264_209:                            ;   in Loop: Header=BB264_9 Depth=1
	s_or_b32 exec_lo, exec_lo, s3
	v_lshrrev_b16 v1, 8, v9
	s_mov_b32 s3, exec_lo
	v_cmpx_ne_u16_e32 0, v1
	s_cbranch_execz .LBB264_217
; %bb.210:                              ;   in Loop: Header=BB264_9 Depth=1
	v_bfrev_b32_e32 v51, 1
	s_mov_b32 s31, exec_lo
	v_cmpx_ne_u16_e32 0x80, v1
	s_cbranch_execz .LBB264_216
; %bb.211:                              ;   in Loop: Header=BB264_9 Depth=1
	v_and_b32_sdwa v54, v1, v22 dst_sel:DWORD dst_unused:UNUSED_PAD src0_sel:WORD_0 src1_sel:DWORD
	v_mov_b32_e32 v51, 0x7c010000
	s_mov_b32 s33, exec_lo
	v_cmpx_ne_u32_e32 0x7f, v54
	s_cbranch_execz .LBB264_215
; %bb.212:                              ;   in Loop: Header=BB264_9 Depth=1
	v_and_b32_sdwa v51, v1, v23 dst_sel:DWORD dst_unused:UNUSED_PAD src0_sel:WORD_0 src1_sel:DWORD
	v_lshrrev_b32_e32 v53, 3, v54
	s_mov_b32 s34, exec_lo
	v_cmpx_gt_u32_e32 8, v54
; %bb.213:                              ;   in Loop: Header=BB264_9 Depth=1
	v_ffbh_u32_e32 v51, v51
	v_min_u32_e32 v51, 32, v51
	v_subrev_nc_u32_e32 v53, 28, v51
	v_lshlrev_b64 v[54:55], v53, v[1:2]
	v_sub_nc_u32_e32 v53, 29, v51
	v_and_b32_e32 v51, 7, v54
; %bb.214:                              ;   in Loop: Header=BB264_9 Depth=1
	s_or_b32 exec_lo, exec_lo, s34
	v_lshlrev_b32_sdwa v1, v24, v1 dst_sel:DWORD dst_unused:UNUSED_PAD src0_sel:DWORD src1_sel:WORD_0
	v_lshl_add_u32 v53, v53, 10, 0x2000
	v_lshlrev_b32_e32 v51, 23, v51
	v_and_or_b32 v1, 0x8000, v1, v53
	v_lshl_or_b32 v51, v1, 16, v51
.LBB264_215:                            ;   in Loop: Header=BB264_9 Depth=1
	s_or_b32 exec_lo, exec_lo, s33
.LBB264_216:                            ;   in Loop: Header=BB264_9 Depth=1
	s_or_b32 exec_lo, exec_lo, s31
.LBB264_217:                            ;   in Loop: Header=BB264_9 Depth=1
	s_or_b32 exec_lo, exec_lo, s3
	v_lshrrev_b32_e32 v1, 16, v9
	v_mov_b32_e32 v53, 0
	v_mov_b32_e32 v54, 0
	v_cmp_ne_u16_sdwa s2, v1, v2 src0_sel:BYTE_0 src1_sel:DWORD
	s_and_saveexec_b32 s3, s2
	s_cbranch_execz .LBB264_225
; %bb.218:                              ;   in Loop: Header=BB264_9 Depth=1
	v_cmp_ne_u16_sdwa s2, v1, v21 src0_sel:BYTE_0 src1_sel:DWORD
	v_mov_b32_e32 v54, 0x8000
	s_and_saveexec_b32 s31, s2
	s_cbranch_execz .LBB264_224
; %bb.219:                              ;   in Loop: Header=BB264_9 Depth=1
	v_bfe_u32 v56, v9, 16, 7
	v_mov_b32_e32 v54, 0x7c01
	s_mov_b32 s33, exec_lo
	v_cmpx_ne_u32_e32 0x7f, v56
	s_cbranch_execz .LBB264_223
; %bb.220:                              ;   in Loop: Header=BB264_9 Depth=1
	v_and_b32_e32 v54, 7, v1
	v_lshrrev_b32_e32 v55, 3, v56
	s_mov_b32 s34, exec_lo
	v_cmpx_gt_u32_e32 8, v56
; %bb.221:                              ;   in Loop: Header=BB264_9 Depth=1
	v_ffbh_u32_e32 v54, v54
	v_min_u32_e32 v56, 32, v54
	v_subrev_nc_u32_e32 v54, 28, v56
	v_lshlrev_b64 v[54:55], v54, v[1:2]
	v_sub_nc_u32_e32 v55, 29, v56
	v_and_b32_e32 v54, 7, v54
; %bb.222:                              ;   in Loop: Header=BB264_9 Depth=1
	s_or_b32 exec_lo, exec_lo, s34
	v_lshlrev_b32_e32 v1, 8, v1
	v_lshl_add_u32 v55, v55, 10, 0x2000
	v_lshlrev_b32_e32 v54, 7, v54
	v_and_b32_e32 v1, 0x8000, v1
	v_and_b32_e32 v55, 0xfc00, v55
	v_or3_b32 v54, v1, v55, v54
.LBB264_223:                            ;   in Loop: Header=BB264_9 Depth=1
	s_or_b32 exec_lo, exec_lo, s33
.LBB264_224:                            ;   in Loop: Header=BB264_9 Depth=1
	s_or_b32 exec_lo, exec_lo, s31
.LBB264_225:                            ;   in Loop: Header=BB264_9 Depth=1
	s_or_b32 exec_lo, exec_lo, s3
	s_mov_b32 s3, exec_lo
	v_cmpx_lt_u32_e32 0xffffff, v9
	s_cbranch_execz .LBB264_233
; %bb.226:                              ;   in Loop: Header=BB264_9 Depth=1
	v_lshrrev_b32_e32 v1, 24, v9
	v_bfrev_b32_e32 v53, 1
	s_mov_b32 s31, exec_lo
	v_cmpx_ne_u32_e32 0x80, v1
	s_cbranch_execz .LBB264_232
; %bb.227:                              ;   in Loop: Header=BB264_9 Depth=1
	v_and_b32_e32 v55, 0x7f, v1
	v_mov_b32_e32 v53, 0x7c010000
	s_mov_b32 s33, exec_lo
	v_cmpx_ne_u32_e32 0x7f, v55
	s_cbranch_execz .LBB264_231
; %bb.228:                              ;   in Loop: Header=BB264_9 Depth=1
	v_and_b32_e32 v9, 7, v1
	v_lshrrev_b32_e32 v53, 3, v55
	s_mov_b32 s34, exec_lo
	v_cmpx_gt_u32_e32 8, v55
; %bb.229:                              ;   in Loop: Header=BB264_9 Depth=1
	v_ffbh_u32_e32 v9, v9
	v_min_u32_e32 v9, 32, v9
	v_subrev_nc_u32_e32 v53, 28, v9
	v_lshlrev_b64 v[55:56], v53, v[1:2]
	v_sub_nc_u32_e32 v53, 29, v9
	v_and_b32_e32 v9, 7, v55
; %bb.230:                              ;   in Loop: Header=BB264_9 Depth=1
	s_or_b32 exec_lo, exec_lo, s34
	v_lshlrev_b32_e32 v1, 8, v1
	v_lshl_add_u32 v53, v53, 10, 0x2000
	v_lshlrev_b32_e32 v9, 23, v9
	v_and_or_b32 v1, 0x8000, v1, v53
	v_lshl_or_b32 v53, v1, 16, v9
.LBB264_231:                            ;   in Loop: Header=BB264_9 Depth=1
	s_or_b32 exec_lo, exec_lo, s33
.LBB264_232:                            ;   in Loop: Header=BB264_9 Depth=1
	s_or_b32 exec_lo, exec_lo, s31
.LBB264_233:                            ;   in Loop: Header=BB264_9 Depth=1
	s_or_b32 exec_lo, exec_lo, s3
	global_load_dword v7, v[7:8], off offset:776
	v_mov_b32_e32 v8, 0
	v_mov_b32_e32 v9, 0
	s_waitcnt vmcnt(0)
	v_cmp_ne_u16_sdwa s2, v7, v2 src0_sel:BYTE_0 src1_sel:DWORD
	s_and_saveexec_b32 s3, s2
	s_cbranch_execz .LBB264_241
; %bb.234:                              ;   in Loop: Header=BB264_9 Depth=1
	v_cmp_ne_u16_sdwa s2, v7, v21 src0_sel:BYTE_0 src1_sel:DWORD
	v_mov_b32_e32 v9, 0x8000
	s_and_saveexec_b32 s31, s2
	s_cbranch_execz .LBB264_240
; %bb.235:                              ;   in Loop: Header=BB264_9 Depth=1
	v_and_b32_e32 v55, 0x7f, v7
	v_mov_b32_e32 v9, 0x7c01
	s_mov_b32 s33, exec_lo
	v_cmpx_ne_u32_e32 0x7f, v55
	s_cbranch_execz .LBB264_239
; %bb.236:                              ;   in Loop: Header=BB264_9 Depth=1
	v_and_b32_e32 v1, 7, v7
	v_lshrrev_b32_e32 v9, 3, v55
	s_mov_b32 s34, exec_lo
	v_cmpx_gt_u32_e32 8, v55
; %bb.237:                              ;   in Loop: Header=BB264_9 Depth=1
	v_ffbh_u32_e32 v1, v1
	v_min_u32_e32 v1, 32, v1
	v_subrev_nc_u32_e32 v9, 28, v1
	v_lshlrev_b64 v[55:56], v9, v[7:8]
	v_sub_nc_u32_e32 v9, 29, v1
	v_and_b32_e32 v1, 7, v55
; %bb.238:                              ;   in Loop: Header=BB264_9 Depth=1
	s_or_b32 exec_lo, exec_lo, s34
	v_lshlrev_b32_e32 v55, 8, v7
	v_lshl_add_u32 v9, v9, 10, 0x2000
	v_lshlrev_b32_e32 v1, 7, v1
	v_and_b32_e32 v55, 0x8000, v55
	v_and_b32_e32 v9, 0xfc00, v9
	v_or3_b32 v9, v55, v9, v1
.LBB264_239:                            ;   in Loop: Header=BB264_9 Depth=1
	s_or_b32 exec_lo, exec_lo, s33
.LBB264_240:                            ;   in Loop: Header=BB264_9 Depth=1
	s_or_b32 exec_lo, exec_lo, s31
.LBB264_241:                            ;   in Loop: Header=BB264_9 Depth=1
	s_or_b32 exec_lo, exec_lo, s3
	v_lshrrev_b16 v1, 8, v7
	s_mov_b32 s3, exec_lo
	v_cmpx_ne_u16_e32 0, v1
	s_cbranch_execz .LBB264_249
; %bb.242:                              ;   in Loop: Header=BB264_9 Depth=1
	v_bfrev_b32_e32 v8, 1
	s_mov_b32 s31, exec_lo
	v_cmpx_ne_u16_e32 0x80, v1
	s_cbranch_execz .LBB264_248
; %bb.243:                              ;   in Loop: Header=BB264_9 Depth=1
	v_and_b32_sdwa v56, v1, v22 dst_sel:DWORD dst_unused:UNUSED_PAD src0_sel:WORD_0 src1_sel:DWORD
	v_mov_b32_e32 v8, 0x7c010000
	s_mov_b32 s33, exec_lo
	v_cmpx_ne_u32_e32 0x7f, v56
	s_cbranch_execz .LBB264_247
; %bb.244:                              ;   in Loop: Header=BB264_9 Depth=1
	v_and_b32_sdwa v8, v1, v23 dst_sel:DWORD dst_unused:UNUSED_PAD src0_sel:WORD_0 src1_sel:DWORD
	v_lshrrev_b32_e32 v55, 3, v56
	s_mov_b32 s34, exec_lo
	v_cmpx_gt_u32_e32 8, v56
; %bb.245:                              ;   in Loop: Header=BB264_9 Depth=1
	v_ffbh_u32_e32 v8, v8
	v_min_u32_e32 v8, 32, v8
	v_subrev_nc_u32_e32 v55, 28, v8
	v_lshlrev_b64 v[56:57], v55, v[1:2]
	v_sub_nc_u32_e32 v55, 29, v8
	v_and_b32_e32 v8, 7, v56
; %bb.246:                              ;   in Loop: Header=BB264_9 Depth=1
	s_or_b32 exec_lo, exec_lo, s34
	v_lshlrev_b32_sdwa v1, v24, v1 dst_sel:DWORD dst_unused:UNUSED_PAD src0_sel:DWORD src1_sel:WORD_0
	v_lshl_add_u32 v55, v55, 10, 0x2000
	v_lshlrev_b32_e32 v8, 23, v8
	v_and_or_b32 v1, 0x8000, v1, v55
	v_lshl_or_b32 v8, v1, 16, v8
.LBB264_247:                            ;   in Loop: Header=BB264_9 Depth=1
	s_or_b32 exec_lo, exec_lo, s33
.LBB264_248:                            ;   in Loop: Header=BB264_9 Depth=1
	s_or_b32 exec_lo, exec_lo, s31
.LBB264_249:                            ;   in Loop: Header=BB264_9 Depth=1
	s_or_b32 exec_lo, exec_lo, s3
	v_lshrrev_b32_e32 v1, 16, v7
	v_mov_b32_e32 v55, 0
	v_mov_b32_e32 v56, 0
	v_cmp_ne_u16_sdwa s2, v1, v2 src0_sel:BYTE_0 src1_sel:DWORD
	s_and_saveexec_b32 s3, s2
	s_cbranch_execz .LBB264_257
; %bb.250:                              ;   in Loop: Header=BB264_9 Depth=1
	v_cmp_ne_u16_sdwa s2, v1, v21 src0_sel:BYTE_0 src1_sel:DWORD
	v_mov_b32_e32 v56, 0x8000
	s_and_saveexec_b32 s31, s2
	s_cbranch_execz .LBB264_256
; %bb.251:                              ;   in Loop: Header=BB264_9 Depth=1
	v_bfe_u32 v58, v7, 16, 7
	v_mov_b32_e32 v56, 0x7c01
	s_mov_b32 s33, exec_lo
	v_cmpx_ne_u32_e32 0x7f, v58
	s_cbranch_execz .LBB264_255
; %bb.252:                              ;   in Loop: Header=BB264_9 Depth=1
	v_and_b32_e32 v56, 7, v1
	v_lshrrev_b32_e32 v57, 3, v58
	s_mov_b32 s34, exec_lo
	v_cmpx_gt_u32_e32 8, v58
; %bb.253:                              ;   in Loop: Header=BB264_9 Depth=1
	v_ffbh_u32_e32 v56, v56
	v_min_u32_e32 v58, 32, v56
	v_subrev_nc_u32_e32 v56, 28, v58
	v_lshlrev_b64 v[56:57], v56, v[1:2]
	v_sub_nc_u32_e32 v57, 29, v58
	v_and_b32_e32 v56, 7, v56
; %bb.254:                              ;   in Loop: Header=BB264_9 Depth=1
	s_or_b32 exec_lo, exec_lo, s34
	v_lshlrev_b32_e32 v1, 8, v1
	v_lshl_add_u32 v57, v57, 10, 0x2000
	v_lshlrev_b32_e32 v56, 7, v56
	v_and_b32_e32 v1, 0x8000, v1
	v_and_b32_e32 v57, 0xfc00, v57
	v_or3_b32 v56, v1, v57, v56
.LBB264_255:                            ;   in Loop: Header=BB264_9 Depth=1
	s_or_b32 exec_lo, exec_lo, s33
.LBB264_256:                            ;   in Loop: Header=BB264_9 Depth=1
	s_or_b32 exec_lo, exec_lo, s31
.LBB264_257:                            ;   in Loop: Header=BB264_9 Depth=1
	s_or_b32 exec_lo, exec_lo, s3
	s_mov_b32 s3, exec_lo
	v_cmpx_lt_u32_e32 0xffffff, v7
	s_cbranch_execz .LBB264_265
; %bb.258:                              ;   in Loop: Header=BB264_9 Depth=1
	v_lshrrev_b32_e32 v1, 24, v7
	v_bfrev_b32_e32 v55, 1
	s_mov_b32 s31, exec_lo
	v_cmpx_ne_u32_e32 0x80, v1
	s_cbranch_execz .LBB264_264
; %bb.259:                              ;   in Loop: Header=BB264_9 Depth=1
	v_and_b32_e32 v57, 0x7f, v1
	v_mov_b32_e32 v55, 0x7c010000
	s_mov_b32 s33, exec_lo
	v_cmpx_ne_u32_e32 0x7f, v57
	s_cbranch_execz .LBB264_263
; %bb.260:                              ;   in Loop: Header=BB264_9 Depth=1
	v_and_b32_e32 v7, 7, v1
	v_lshrrev_b32_e32 v55, 3, v57
	s_mov_b32 s34, exec_lo
	v_cmpx_gt_u32_e32 8, v57
; %bb.261:                              ;   in Loop: Header=BB264_9 Depth=1
	v_ffbh_u32_e32 v7, v7
	v_min_u32_e32 v7, 32, v7
	v_subrev_nc_u32_e32 v55, 28, v7
	v_lshlrev_b64 v[57:58], v55, v[1:2]
	v_sub_nc_u32_e32 v55, 29, v7
	v_and_b32_e32 v7, 7, v57
; %bb.262:                              ;   in Loop: Header=BB264_9 Depth=1
	s_or_b32 exec_lo, exec_lo, s34
	v_lshlrev_b32_e32 v1, 8, v1
	v_lshl_add_u32 v55, v55, 10, 0x2000
	v_lshlrev_b32_e32 v7, 23, v7
	v_and_or_b32 v1, 0x8000, v1, v55
	v_lshl_or_b32 v55, v1, 16, v7
.LBB264_263:                            ;   in Loop: Header=BB264_9 Depth=1
	s_or_b32 exec_lo, exec_lo, s33
.LBB264_264:                            ;   in Loop: Header=BB264_9 Depth=1
	s_or_b32 exec_lo, exec_lo, s31
.LBB264_265:                            ;   in Loop: Header=BB264_9 Depth=1
	s_or_b32 exec_lo, exec_lo, s3
	ds_read_b64 v[57:58], v18
	v_or_b32_e32 v1, v28, v27
	v_or_b32_e32 v7, v29, v30
	v_fma_mixlo_f16 v27, v26, v28, 0 op_sel:[0,1,0] op_sel_hi:[0,1,0]
	v_fma_mixlo_f16 v28, v26, v29, 0 op_sel:[0,1,0] op_sel_hi:[0,1,0]
	v_or_b32_e32 v32, v31, v32
	v_fma_mixlo_f16 v1, v26, v1, 0 op_sel_hi:[0,1,0]
	v_fma_mixlo_f16 v7, v26, v7, 0 op_sel_hi:[0,1,0]
	v_and_b32_e32 v29, 0xffff, v27
	v_and_b32_e32 v59, 0xffff, v28
	v_or_b32_e32 v34, v33, v34
	v_and_b32_e32 v27, 0xffff, v1
	v_fma_mixlo_f16 v31, v26, v31, 0 op_sel:[0,1,0] op_sel_hi:[0,1,0]
	v_fma_mixlo_f16 v33, v26, v33, 0 op_sel:[0,1,0] op_sel_hi:[0,1,0]
	v_fma_mixlo_f16 v32, v26, v32, 0 op_sel_hi:[0,1,0]
	v_fma_mixlo_f16 v34, v26, v34, 0 op_sel_hi:[0,1,0]
	v_or_b32_e32 v36, v35, v36
	v_and_b32_e32 v61, 0xffff, v31
	v_and_b32_e32 v62, 0xffff, v33
	;; [unrolled: 1-line block ×3, first 2 shown]
	s_waitcnt lgkmcnt(0)
	v_and_b32_e32 v1, 0xffff, v57
	v_lshrrev_b32_e32 v28, 16, v57
	v_and_b32_e32 v57, 0xffff, v7
	v_lshrrev_b32_e32 v30, 16, v58
	v_and_b32_e32 v58, 0xffff, v58
	;;#ASMSTART
	v_cvt_f32_f16 v1, v1;
	;;#ASMEND
	;;#ASMSTART
	v_cvt_f32_f16 v7, v28;
	;;#ASMEND
	;; [unrolled: 3-line block ×8, first 2 shown]
	ds_read_b64 v[59:60], v18 offset:8
	v_and_b32_e32 v63, 0xffff, v34
	v_or_b32_e32 v38, v37, v38
	v_fma_mixlo_f16 v35, v26, v35, 0 op_sel:[0,1,0] op_sel_hi:[0,1,0]
	v_fma_mixlo_f16 v37, v26, v37, 0 op_sel:[0,1,0] op_sel_hi:[0,1,0]
	v_fma_mixlo_f16 v36, v26, v36, 0 op_sel_hi:[0,1,0]
	v_or_b32_e32 v40, v39, v40
	v_fma_mixlo_f16 v38, v26, v38, 0 op_sel_hi:[0,1,0]
	v_and_b32_e32 v35, 0xffff, v35
	v_and_b32_e32 v68, 0xffff, v37
	;; [unrolled: 1-line block ×3, first 2 shown]
	v_or_b32_e32 v42, v41, v42
	v_and_b32_e32 v67, 0xffff, v38
	v_fma_mixlo_f16 v39, v26, v39, 0 op_sel:[0,1,0] op_sel_hi:[0,1,0]
	v_fma_mixlo_f16 v41, v26, v41, 0 op_sel:[0,1,0] op_sel_hi:[0,1,0]
	v_fma_mixlo_f16 v40, v26, v40, 0 op_sel_hi:[0,1,0]
	v_fma_mixlo_f16 v42, v26, v42, 0 op_sel_hi:[0,1,0]
	v_or_b32_e32 v44, v43, v44
	v_and_b32_e32 v69, 0xffff, v39
	v_and_b32_e32 v72, 0xffff, v41
	s_waitcnt lgkmcnt(0)
	v_and_b32_e32 v31, 0xffff, v59
	v_lshrrev_b32_e32 v32, 16, v59
	v_lshrrev_b32_e32 v64, 16, v60
	v_and_b32_e32 v59, 0xffff, v60
	;;#ASMSTART
	v_cvt_f32_f16 v31, v31;
	;;#ASMEND
	;;#ASMSTART
	v_cvt_f32_f16 v32, v32;
	;;#ASMEND
	;; [unrolled: 3-line block ×8, first 2 shown]
	ds_read_b64 v[63:64], v18 offset:16
	v_and_b32_e32 v41, 0xffff, v40
	v_and_b32_e32 v71, 0xffff, v42
	v_or_b32_e32 v46, v45, v46
	v_fma_mixlo_f16 v43, v26, v43, 0 op_sel:[0,1,0] op_sel_hi:[0,1,0]
	v_fma_mixlo_f16 v45, v26, v45, 0 op_sel:[0,1,0] op_sel_hi:[0,1,0]
	v_fma_mixlo_f16 v44, v26, v44, 0 op_sel_hi:[0,1,0]
	v_or_b32_e32 v48, v47, v48
	v_fma_mixlo_f16 v46, v26, v46, 0 op_sel_hi:[0,1,0]
	v_and_b32_e32 v73, 0xffff, v43
	v_and_b32_e32 v76, 0xffff, v45
	;; [unrolled: 1-line block ×3, first 2 shown]
	v_or_b32_e32 v50, v49, v50
	v_and_b32_e32 v75, 0xffff, v46
	v_fma_mixlo_f16 v47, v26, v47, 0 op_sel:[0,1,0] op_sel_hi:[0,1,0]
	v_fma_mixlo_f16 v49, v26, v49, 0 op_sel:[0,1,0] op_sel_hi:[0,1,0]
	v_fma_mixlo_f16 v48, v26, v48, 0 op_sel_hi:[0,1,0]
	v_fma_mixlo_f16 v50, v26, v50, 0 op_sel_hi:[0,1,0]
	v_mul_f32_e32 v31, v31, v33
	v_and_b32_e32 v77, 0xffff, v47
	s_waitcnt lgkmcnt(0)
	v_and_b32_e32 v37, 0xffff, v63
	v_lshrrev_b32_e32 v63, 16, v63
	v_lshrrev_b32_e32 v66, 16, v64
	v_and_b32_e32 v65, 0xffff, v64
	;;#ASMSTART
	v_cvt_f32_f16 v37, v37;
	;;#ASMEND
	;;#ASMSTART
	v_cvt_f32_f16 v38, v63;
	;;#ASMEND
	;; [unrolled: 3-line block ×8, first 2 shown]
	ds_read_b64 v[35:36], v18 offset:24
	v_and_b32_e32 v80, 0xffff, v49
	v_and_b32_e32 v49, 0xffff, v48
	;; [unrolled: 1-line block ×3, first 2 shown]
	v_mul_f32_e32 v32, v32, v34
	v_mul_f32_e32 v33, v59, v61
	v_or_b32_e32 v52, v51, v52
	v_or_b32_e32 v54, v53, v54
	v_fmac_f32_e32 v31, v1, v27
	v_fmac_f32_e32 v32, v7, v28
	;; [unrolled: 1-line block ×3, first 2 shown]
	v_or_b32_e32 v9, v8, v9
	v_fma_mixlo_f16 v81, v26, v8, 0 op_sel:[0,1,0] op_sel_hi:[0,1,0]
	v_fma_mixlo_f16 v8, v26, v52, 0 op_sel_hi:[0,1,0]
	v_mul_f32_e32 v34, v60, v62
	v_fma_mixlo_f16 v51, v26, v51, 0 op_sel:[0,1,0] op_sel_hi:[0,1,0]
	v_fma_mixlo_f16 v53, v26, v53, 0 op_sel:[0,1,0] op_sel_hi:[0,1,0]
	v_fma_mixlo_f16 v52, v26, v54, 0 op_sel_hi:[0,1,0]
	v_fmac_f32_e32 v31, v37, v63
	v_fmac_f32_e32 v32, v38, v64
	s_waitcnt lgkmcnt(0)
	v_and_b32_e32 v39, 0xffff, v35
	v_lshrrev_b32_e32 v35, 16, v35
	v_lshrrev_b32_e32 v70, 16, v36
	v_and_b32_e32 v36, 0xffff, v36
	;;#ASMSTART
	v_cvt_f32_f16 v39, v39;
	;;#ASMEND
	;;#ASMSTART
	v_cvt_f32_f16 v40, v35;
	;;#ASMEND
	;; [unrolled: 3-line block ×8, first 2 shown]
	ds_read_b64 v[35:36], v18 offset:32
	v_fmac_f32_e32 v33, v65, v67
	v_and_b32_e32 v8, 0xffff, v8
	v_fmac_f32_e32 v34, v30, v58
	v_and_b32_e32 v51, 0xffff, v51
	v_and_b32_e32 v53, 0xffff, v53
	;; [unrolled: 1-line block ×3, first 2 shown]
	v_fmac_f32_e32 v31, v39, v41
	v_fmac_f32_e32 v32, v40, v42
	;; [unrolled: 1-line block ×4, first 2 shown]
	v_or_b32_e32 v56, v55, v56
	v_fma_mixlo_f16 v9, v26, v9, 0 op_sel_hi:[0,1,0]
	v_fma_mixlo_f16 v55, v26, v55, 0 op_sel:[0,1,0] op_sel_hi:[0,1,0]
	v_and_b32_e32 v38, 0xffff, v81
	v_fmac_f32_e32 v34, v70, v72
	v_fma_mixlo_f16 v26, v26, v56, 0 op_sel_hi:[0,1,0]
	v_and_b32_e32 v9, 0xffff, v9
	s_waitcnt lgkmcnt(0)
	v_and_b32_e32 v43, 0xffff, v35
	v_lshrrev_b32_e32 v35, 16, v35
	v_lshrrev_b32_e32 v74, 16, v36
	v_and_b32_e32 v36, 0xffff, v36
	;;#ASMSTART
	v_cvt_f32_f16 v43, v43;
	;;#ASMEND
	;;#ASMSTART
	v_cvt_f32_f16 v44, v35;
	;;#ASMEND
	;; [unrolled: 3-line block ×8, first 2 shown]
	ds_read_b64 v[35:36], v18 offset:40
	v_fmac_f32_e32 v31, v43, v45
	v_fmac_f32_e32 v32, v44, v46
	;; [unrolled: 1-line block ×4, first 2 shown]
	v_and_b32_e32 v26, 0xffff, v26
	s_waitcnt lgkmcnt(0)
	v_and_b32_e32 v47, 0xffff, v35
	v_lshrrev_b32_e32 v35, 16, v35
	v_lshrrev_b32_e32 v78, 16, v36
	v_and_b32_e32 v36, 0xffff, v36
	;;#ASMSTART
	v_cvt_f32_f16 v47, v47;
	;;#ASMEND
	;;#ASMSTART
	v_cvt_f32_f16 v48, v35;
	;;#ASMEND
	;; [unrolled: 3-line block ×8, first 2 shown]
	ds_read_b64 v[35:36], v18 offset:48
	v_fmac_f32_e32 v31, v47, v49
	v_fmac_f32_e32 v32, v48, v50
	;; [unrolled: 1-line block ×4, first 2 shown]
	s_waitcnt lgkmcnt(0)
	v_and_b32_e32 v1, 0xffff, v35
	v_lshrrev_b32_e32 v7, 16, v35
	v_lshrrev_b32_e32 v35, 16, v36
	v_and_b32_e32 v30, 0xffff, v36
	;;#ASMSTART
	v_cvt_f32_f16 v1, v1;
	;;#ASMEND
	;;#ASMSTART
	v_cvt_f32_f16 v27, v7;
	;;#ASMEND
	;;#ASMSTART
	v_cvt_f32_f16 v28, v8;
	;;#ASMEND
	;;#ASMSTART
	v_cvt_f32_f16 v29, v51;
	;;#ASMEND
	;;#ASMSTART
	v_cvt_f32_f16 v30, v30;
	;;#ASMEND
	;;#ASMSTART
	v_cvt_f32_f16 v35, v35;
	;;#ASMEND
	;;#ASMSTART
	v_cvt_f32_f16 v36, v52;
	;;#ASMEND
	;;#ASMSTART
	v_cvt_f32_f16 v37, v53;
	;;#ASMEND
	ds_read_b64 v[7:8], v18 offset:56
	v_fmac_f32_e32 v31, v1, v28
	v_fmac_f32_e32 v32, v27, v29
	;; [unrolled: 1-line block ×4, first 2 shown]
	s_waitcnt lgkmcnt(0)
	v_and_b32_e32 v1, 0xffff, v7
	v_lshrrev_b32_e32 v7, 16, v7
	;;#ASMSTART
	v_cvt_f32_f16 v1, v1;
	;;#ASMEND
	;;#ASMSTART
	v_cvt_f32_f16 v7, v7;
	;;#ASMEND
	v_and_b32_e32 v28, 0xffff, v8
	v_lshrrev_b32_e32 v8, 16, v8
	;;#ASMSTART
	v_cvt_f32_f16 v9, v9;
	;;#ASMEND
	;;#ASMSTART
	v_cvt_f32_f16 v27, v38;
	;;#ASMEND
	v_fmac_f32_e32 v31, v1, v9
	v_fmac_f32_e32 v32, v7, v27
	;;#ASMSTART
	v_cvt_f32_f16 v1, v28;
	;;#ASMEND
	;;#ASMSTART
	v_cvt_f32_f16 v7, v8;
	;;#ASMEND
	;; [unrolled: 3-line block ×3, first 2 shown]
	v_fmac_f32_e32 v33, v1, v8
	v_xor_b32_e32 v8, 1, v15
	v_add_f32_e32 v1, v31, v32
	v_and_b32_e32 v9, 0xffff, v55
	;;#ASMSTART
	v_cvt_f32_f16 v9, v9;
	;;#ASMEND
	v_fmac_f32_e32 v34, v7, v9
	v_cmp_gt_i32_e64 s2, 32, v8
	v_add_f32_e32 v1, v1, v33
	v_cndmask_b32_e64 v7, v15, v8, s2
	v_add_f32_e32 v1, v34, v1
	v_lshlrev_b32_e32 v7, 2, v7
	ds_bpermute_b32 v7, v7, v1
	s_and_saveexec_b32 s3, vcc_lo
	s_cbranch_execz .LBB264_8
; %bb.266:                              ;   in Loop: Header=BB264_9 Depth=1
	v_add_nc_u32_e32 v8, s4, v19
	s_waitcnt lgkmcnt(0)
	v_add_f32_e32 v1, v1, v7
	v_cmp_gt_i32_e64 s2, s11, v19
	v_cvt_f32_i32_e32 v8, v8
	v_mul_f32_e32 v8, s28, v8
	v_cndmask_b32_e64 v7, 0, v8, s1
	v_max_f32_e32 v8, v16, v16
	v_fmac_f32_e32 v7, s29, v1
	v_max_f32_e32 v1, v8, v7
	v_cndmask_b32_e64 v7, 0, v7, s2
	v_cndmask_b32_e64 v16, v16, v1, s2
	ds_write_b32 v20, v7
	s_branch .LBB264_8
.LBB264_267:
	s_or_b32 exec_lo, exec_lo, s5
.LBB264_268:
	s_or_b32 exec_lo, exec_lo, s19
	v_xor_b32_e32 v1, 16, v15
	v_xor_b32_e32 v4, 8, v15
	v_max_f32_e32 v5, v16, v16
	v_xor_b32_e32 v6, 4, v15
	v_cmp_lt_i32_e32 vcc_lo, v1, v17
	v_cndmask_b32_e32 v1, v15, v1, vcc_lo
	v_cmp_lt_i32_e32 vcc_lo, v4, v17
	v_lshlrev_b32_e32 v3, 2, v1
	v_cndmask_b32_e32 v4, v15, v4, vcc_lo
	v_cmp_lt_i32_e32 vcc_lo, v6, v17
	ds_bpermute_b32 v1, v3, v16
	v_lshlrev_b32_e32 v4, 2, v4
	v_cndmask_b32_e32 v6, v15, v6, vcc_lo
	v_and_b32_e32 v16, 31, v0
	s_waitcnt lgkmcnt(0)
	v_max_f32_e32 v1, v1, v1
	v_max_f32_e32 v1, v5, v1
	ds_bpermute_b32 v5, v4, v1
	s_waitcnt lgkmcnt(0)
	v_max_f32_e32 v7, v5, v5
	v_lshlrev_b32_e32 v5, 2, v6
	v_max_f32_e32 v1, v1, v7
	v_xor_b32_e32 v7, 2, v15
	ds_bpermute_b32 v6, v5, v1
	v_cmp_lt_i32_e32 vcc_lo, v7, v17
	v_cndmask_b32_e32 v8, v15, v7, vcc_lo
	v_cmp_eq_u32_e32 vcc_lo, 0, v16
	s_waitcnt lgkmcnt(0)
	v_max_f32_e32 v6, v6, v6
	v_max_f32_e32 v7, v1, v6
	v_lshlrev_b32_e32 v1, 2, v8
	v_lshlrev_b32_e32 v6, 2, v13
	ds_bpermute_b32 v8, v1, v7
	s_and_saveexec_b32 s1, vcc_lo
	s_cbranch_execz .LBB264_270
; %bb.269:
	s_waitcnt lgkmcnt(0)
	v_max_f32_e32 v8, v8, v8
	v_max_f32_e32 v7, v7, v7
	;; [unrolled: 1-line block ×3, first 2 shown]
	ds_write_b32 v6, v7 offset:128
.LBB264_270:
	s_or_b32 exec_lo, exec_lo, s1
	v_cmp_gt_u32_e64 s1, 4, v16
	s_waitcnt lgkmcnt(0)
	v_mov_b32_e32 v8, 0xff7fffff
	v_lshlrev_b32_e32 v7, 2, v16
	s_barrier
	buffer_gl0_inv
	s_and_saveexec_b32 s2, s1
; %bb.271:
	ds_read_b32 v8, v7 offset:128
; %bb.272:
	s_or_b32 exec_lo, exec_lo, s2
	s_waitcnt lgkmcnt(0)
	ds_bpermute_b32 v9, v1, v8
	v_xor_b32_e32 v18, 1, v15
	v_max_f32_e32 v8, v8, v8
	v_lshlrev_b32_e32 v2, 2, v2
	v_cmp_lt_i32_e64 s2, v18, v17
	v_cndmask_b32_e64 v17, v15, v18, s2
	s_lshl_b32 s2, s16, 4
	s_min_i32 s4, s2, s11
	v_lshlrev_b32_e32 v17, 2, v17
	v_cmp_gt_i32_e64 s2, s4, v0
	s_waitcnt lgkmcnt(0)
	v_max_f32_e32 v9, v9, v9
	v_max_f32_e32 v8, v8, v9
	ds_bpermute_b32 v9, v17, v8
	s_waitcnt lgkmcnt(0)
	v_max_f32_e32 v9, v9, v9
	v_max_f32_e32 v8, v8, v9
	ds_bpermute_b32 v9, v2, v8
	v_mov_b32_e32 v8, 0
	v_lshl_add_u32 v2, v0, 2, 0xa0
	s_and_saveexec_b32 s5, s2
	s_cbranch_execz .LBB264_276
; %bb.273:
	v_lshl_add_u32 v18, v0, 2, 0xa0
	v_mov_b32_e32 v8, 0
	v_mov_b32_e32 v19, v0
	s_mov_b32 s12, 0
	.p2align	6
.LBB264_274:                            ; =>This Inner Loop Header: Depth=1
	ds_read_b32 v20, v18
	v_add_nc_u32_e32 v19, 0x80, v19
	v_cmp_le_i32_e64 s3, s4, v19
	s_or_b32 s12, s3, s12
	s_waitcnt lgkmcnt(0)
	v_sub_f32_e32 v20, v20, v9
	v_mul_f32_e32 v20, 0x3fb8aa3b, v20
	v_exp_f32_e32 v20, v20
	ds_write_b32 v18, v20
	v_add_f32_e32 v8, v8, v20
	v_add_nc_u32_e32 v18, 0x200, v18
	s_andn2_b32 exec_lo, exec_lo, s12
	s_cbranch_execnz .LBB264_274
; %bb.275:
	s_or_b32 exec_lo, exec_lo, s12
.LBB264_276:
	s_or_b32 exec_lo, exec_lo, s5
	ds_bpermute_b32 v3, v3, v8
	s_waitcnt lgkmcnt(0)
	v_add_f32_e32 v3, v8, v3
	ds_bpermute_b32 v4, v4, v3
	s_waitcnt lgkmcnt(0)
	v_add_f32_e32 v3, v3, v4
	;; [unrolled: 3-line block ×5, first 2 shown]
	s_and_saveexec_b32 s3, vcc_lo
; %bb.277:
	ds_write_b32 v6, v3 offset:144
; %bb.278:
	s_or_b32 exec_lo, exec_lo, s3
	s_waitcnt lgkmcnt(0)
	s_barrier
	buffer_gl0_inv
	s_and_saveexec_b32 s3, s1
; %bb.279:
	ds_read_b32 v3, v7 offset:144
; %bb.280:
	s_or_b32 exec_lo, exec_lo, s3
	s_waitcnt lgkmcnt(0)
	ds_bpermute_b32 v1, v1, v3
	v_lshlrev_b32_e32 v4, 2, v15
	s_waitcnt lgkmcnt(0)
	v_add_f32_e32 v1, v3, v1
	ds_bpermute_b32 v3, v17, v1
	s_waitcnt lgkmcnt(0)
	v_add_f32_e32 v1, v1, v3
	v_and_b32_e32 v3, 0xffffff80, v4
	ds_bpermute_b32 v1, v3, v1
	s_and_saveexec_b32 s1, s2
	s_cbranch_execz .LBB264_283
; %bb.281:
	s_waitcnt lgkmcnt(0)
	v_add_f32_e32 v1, 0x358637bd, v1
	s_mov_b32 s2, 0
	v_div_scale_f32 v3, null, v1, v1, 1.0
	v_div_scale_f32 v6, vcc_lo, 1.0, v1, 1.0
	v_rcp_f32_e32 v4, v3
	v_fma_f32 v5, -v3, v4, 1.0
	v_fmac_f32_e32 v4, v5, v4
	v_mul_f32_e32 v5, v6, v4
	v_fma_f32 v7, -v3, v5, v6
	v_fmac_f32_e32 v5, v7, v4
	v_fma_f32 v3, -v3, v5, v6
	v_div_fmas_f32 v3, v3, v4, v5
	v_div_fixup_f32 v1, v3, v1, 1.0
	v_mov_b32_e32 v3, v0
.LBB264_282:                            ; =>This Inner Loop Header: Depth=1
	ds_read_b32 v4, v2
	v_add_nc_u32_e32 v3, 0x80, v3
	v_cmp_le_i32_e32 vcc_lo, s4, v3
	s_or_b32 s2, vcc_lo, s2
	s_waitcnt lgkmcnt(0)
	v_mul_f32_e32 v4, v1, v4
	ds_write_b32 v2, v4
	v_add_nc_u32_e32 v2, 0x200, v2
	s_andn2_b32 exec_lo, exec_lo, s2
	s_cbranch_execnz .LBB264_282
.LBB264_283:
	s_or_b32 exec_lo, exec_lo, s1
	v_mov_b32_e32 v19, 0
	v_mov_b32_e32 v20, 0
	;; [unrolled: 1-line block ×4, first 2 shown]
	s_waitcnt lgkmcnt(0)
	s_barrier
	buffer_gl0_inv
	s_and_saveexec_b32 s1, s0
	s_cbranch_execz .LBB264_551
; %bb.284:
	v_lshlrev_b32_e32 v3, 5, v12
	v_and_b32_e32 v4, 0xf8, v10
	v_and_b32_e32 v1, 8, v10
	v_lshlrev_b32_e32 v5, 4, v13
	s_ashr_i32 s0, s18, 31
	s_add_u32 s2, s26, s18
	s_addc_u32 s0, s27, s0
	v_lshl_or_b32 v6, v13, 6, v3
	v_add_co_u32 v3, s2, s2, v4
	v_or3_b32 v21, v5, v1, 7
	v_and_b32_e32 v1, 0x7c, v14
	v_add_co_ci_u32_e64 v4, null, s0, 0, s2
	s_lshl_b64 s[2:3], s[24:25], 2
	s_add_i32 s5, s16, -1
	s_add_u32 s0, s22, s2
	s_addc_u32 s2, s23, s3
	v_add_co_u32 v5, s0, s0, v1
	v_mov_b32_e32 v2, 0
	v_add_nc_u32_e32 v14, 0xa0, v6
	v_add_co_ci_u32_e64 v6, null, s2, 0, s0
	v_mov_b32_e32 v22, 0x80
	v_mov_b32_e32 v23, 0x7f
	v_mov_b32_e32 v24, 7
	v_mov_b32_e32 v25, 8
	v_mov_b32_e32 v15, 0
	v_mov_b32_e32 v18, 0
	v_mov_b32_e32 v20, 0
	v_mov_b32_e32 v19, 0
	v_mov_b32_e32 v26, v13
	s_mov_b32 s2, -1
	s_mov_b32 s4, s17
	s_mov_b32 s3, 0xffffff
	;; [unrolled: 1-line block ×3, first 2 shown]
	s_branch .LBB264_286
.LBB264_285:                            ;   in Loop: Header=BB264_286 Depth=1
	s_or_b32 exec_lo, exec_lo, s0
	;;#ASMSTART
	v_pk_mul_f16 v1, v38, v44;

	;;#ASMEND
	;;#ASMSTART
	v_pk_mul_f16 v7, v36, v7;

	;;#ASMEND
	;; [unrolled: 4-line block ×4, first 2 shown]
	;;#ASMSTART
	v_pk_add_f16 v1, v1, v7;

	;;#ASMEND
	;;#ASMSTART
	v_pk_add_f16 v1, v1, v8;

	;;#ASMEND
	;; [unrolled: 4-line block ×3, first 2 shown]
	v_add_nc_u32_e32 v26, 4, v26
	v_and_b32_e32 v27, 0xffff, v1
	v_lshrrev_b32_e32 v28, 16, v1
	v_add_f32_e32 v1, v9, v10
	;;#ASMSTART
	v_cvt_f32_f16 v9, v27;
	;;#ASMEND
	v_add_f32_e32 v7, v40, v41
	v_add_f32_e32 v8, v37, v39
	;;#ASMSTART
	v_cvt_f32_f16 v10, v28;
	;;#ASMEND
	v_add_f32_e32 v9, v9, v10
	v_cmp_le_i32_e32 vcc_lo, s16, v26
	v_add_co_u32 v5, s0, v5, 16
	v_add_f32_e32 v18, v18, v1
	v_add_f32_e32 v20, v20, v7
	;; [unrolled: 1-line block ×4, first 2 shown]
	v_add_nc_u32_e32 v21, 64, v21
	v_add_nc_u32_e32 v14, 0x100, v14
	v_add_co_ci_u32_e64 v6, null, 0, v6, s0
	s_or_b32 s12, vcc_lo, s12
	s_andn2_b32 exec_lo, exec_lo, s12
	s_cbranch_execz .LBB264_550
.LBB264_286:                            ; =>This Inner Loop Header: Depth=1
	global_load_dword v1, v[5:6], off
	ds_read2_b64 v[27:30], v14 offset1:1
	ds_read2_b64 v[40:43], v14 offset0:2 offset1:3
	s_waitcnt lgkmcnt(1)
	;;#ASMSTART
	v_cvt_f16_f32 v34, v27;

	;;#ASMEND
	;;#ASMSTART
	v_cvt_f16_f32 v35, v28;

	;;#ASMEND
	;;#ASMSTART
	v_cvt_f16_f32 v38, v29;

	;;#ASMEND
	;;#ASMSTART
	v_cvt_f16_f32 v36, v30;

	;;#ASMEND
	s_waitcnt lgkmcnt(0)
	;;#ASMSTART
	v_cvt_f16_f32 v40, v40;

	;;#ASMEND
	;;#ASMSTART
	v_cvt_f16_f32 v37, v41;

	;;#ASMEND
	;; [unrolled: 4-line block ×4, first 2 shown]
	v_mov_b32_e32 v29, 0
	s_waitcnt vmcnt(0)
	v_mad_i64_i32 v[7:8], null, v1, s4, v[3:4]
	global_load_dwordx2 v[9:10], v[7:8], off
	global_load_dword v28, v2, s[14:15]
	s_waitcnt vmcnt(1)
	v_cmp_ne_u16_sdwa s13, v9, v2 src0_sel:BYTE_0 src1_sel:DWORD
	s_and_saveexec_b32 s0, s13
	s_cbranch_execz .LBB264_294
; %bb.287:                              ;   in Loop: Header=BB264_286 Depth=1
	v_cmp_ne_u16_sdwa s17, v9, v22 src0_sel:BYTE_0 src1_sel:DWORD
	v_mov_b32_e32 v29, 0x8000
	s_and_saveexec_b32 s13, s17
	s_cbranch_execz .LBB264_293
; %bb.288:                              ;   in Loop: Header=BB264_286 Depth=1
	v_and_b32_e32 v30, 0x7f, v9
	v_mov_b32_e32 v29, 0x7c01
	s_mov_b32 s17, exec_lo
	v_cmpx_ne_u32_e32 0x7f, v30
	s_cbranch_execz .LBB264_292
; %bb.289:                              ;   in Loop: Header=BB264_286 Depth=1
	v_and_b32_e32 v1, 7, v9
	v_lshrrev_b32_e32 v27, 3, v30
	s_mov_b32 s18, exec_lo
	v_cmpx_gt_u32_e32 8, v30
; %bb.290:                              ;   in Loop: Header=BB264_286 Depth=1
	v_ffbh_u32_e32 v1, v1
	v_min_u32_e32 v1, 32, v1
	v_subrev_nc_u32_e32 v27, 28, v1
	v_lshlrev_b64 v[29:30], v27, v[9:10]
	v_sub_nc_u32_e32 v27, 29, v1
	v_and_b32_e32 v1, 7, v29
; %bb.291:                              ;   in Loop: Header=BB264_286 Depth=1
	s_or_b32 exec_lo, exec_lo, s18
	v_lshlrev_b32_e32 v29, 8, v9
	v_lshl_add_u32 v27, v27, 10, 0x2000
	v_lshlrev_b32_e32 v1, 7, v1
	v_and_b32_e32 v29, 0x8000, v29
	v_and_b32_e32 v27, 0xfc00, v27
	v_or3_b32 v29, v29, v27, v1
.LBB264_292:                            ;   in Loop: Header=BB264_286 Depth=1
	s_or_b32 exec_lo, exec_lo, s17
.LBB264_293:                            ;   in Loop: Header=BB264_286 Depth=1
	s_or_b32 exec_lo, exec_lo, s13
.LBB264_294:                            ;   in Loop: Header=BB264_286 Depth=1
	s_or_b32 exec_lo, exec_lo, s0
	v_lshrrev_b16 v1, 8, v9
	v_mov_b32_e32 v27, 0
	v_mov_b32_e32 v30, 0
	s_mov_b32 s0, exec_lo
	v_cmpx_ne_u16_e32 0, v1
	s_cbranch_execz .LBB264_302
; %bb.295:                              ;   in Loop: Header=BB264_286 Depth=1
	v_bfrev_b32_e32 v30, 1
	s_mov_b32 s13, exec_lo
	v_cmpx_ne_u16_e32 0x80, v1
	s_cbranch_execz .LBB264_301
; %bb.296:                              ;   in Loop: Header=BB264_286 Depth=1
	v_and_b32_sdwa v32, v1, v23 dst_sel:DWORD dst_unused:UNUSED_PAD src0_sel:WORD_0 src1_sel:DWORD
	v_mov_b32_e32 v30, 0x7c010000
	s_mov_b32 s17, exec_lo
	v_cmpx_ne_u32_e32 0x7f, v32
	s_cbranch_execz .LBB264_300
; %bb.297:                              ;   in Loop: Header=BB264_286 Depth=1
	v_and_b32_sdwa v30, v1, v24 dst_sel:DWORD dst_unused:UNUSED_PAD src0_sel:WORD_0 src1_sel:DWORD
	v_lshrrev_b32_e32 v31, 3, v32
	s_mov_b32 s18, exec_lo
	v_cmpx_gt_u32_e32 8, v32
; %bb.298:                              ;   in Loop: Header=BB264_286 Depth=1
	v_ffbh_u32_e32 v30, v30
	v_min_u32_e32 v32, 32, v30
	v_subrev_nc_u32_e32 v30, 28, v32
	v_lshlrev_b64 v[30:31], v30, v[1:2]
	v_sub_nc_u32_e32 v31, 29, v32
	v_and_b32_e32 v30, 7, v30
; %bb.299:                              ;   in Loop: Header=BB264_286 Depth=1
	s_or_b32 exec_lo, exec_lo, s18
	v_lshlrev_b32_sdwa v1, v25, v1 dst_sel:DWORD dst_unused:UNUSED_PAD src0_sel:DWORD src1_sel:WORD_0
	v_lshl_add_u32 v31, v31, 10, 0x2000
	v_lshlrev_b32_e32 v30, 23, v30
	v_and_or_b32 v1, 0x8000, v1, v31
	v_lshl_or_b32 v30, v1, 16, v30
.LBB264_300:                            ;   in Loop: Header=BB264_286 Depth=1
	s_or_b32 exec_lo, exec_lo, s17
.LBB264_301:                            ;   in Loop: Header=BB264_286 Depth=1
	s_or_b32 exec_lo, exec_lo, s13
.LBB264_302:                            ;   in Loop: Header=BB264_286 Depth=1
	s_or_b32 exec_lo, exec_lo, s0
	v_lshrrev_b32_e32 v1, 16, v9
	v_cmp_ne_u16_sdwa s13, v1, v2 src0_sel:BYTE_0 src1_sel:DWORD
	s_and_saveexec_b32 s0, s13
	s_cbranch_execz .LBB264_310
; %bb.303:                              ;   in Loop: Header=BB264_286 Depth=1
	v_cmp_ne_u16_sdwa s17, v1, v22 src0_sel:BYTE_0 src1_sel:DWORD
	v_mov_b32_e32 v27, 0x8000
	s_and_saveexec_b32 s13, s17
	s_cbranch_execz .LBB264_309
; %bb.304:                              ;   in Loop: Header=BB264_286 Depth=1
	v_bfe_u32 v32, v9, 16, 7
	v_mov_b32_e32 v27, 0x7c01
	s_mov_b32 s17, exec_lo
	v_cmpx_ne_u32_e32 0x7f, v32
	s_cbranch_execz .LBB264_308
; %bb.305:                              ;   in Loop: Header=BB264_286 Depth=1
	v_and_b32_e32 v27, 7, v1
	v_lshrrev_b32_e32 v31, 3, v32
	s_mov_b32 s18, exec_lo
	v_cmpx_gt_u32_e32 8, v32
; %bb.306:                              ;   in Loop: Header=BB264_286 Depth=1
	v_ffbh_u32_e32 v27, v27
	v_min_u32_e32 v27, 32, v27
	v_subrev_nc_u32_e32 v31, 28, v27
	v_lshlrev_b64 v[32:33], v31, v[1:2]
	v_sub_nc_u32_e32 v31, 29, v27
	v_and_b32_e32 v27, 7, v32
; %bb.307:                              ;   in Loop: Header=BB264_286 Depth=1
	s_or_b32 exec_lo, exec_lo, s18
	v_lshlrev_b32_e32 v1, 8, v1
	v_lshl_add_u32 v31, v31, 10, 0x2000
	v_lshlrev_b32_e32 v27, 7, v27
	v_and_b32_e32 v1, 0x8000, v1
	v_and_b32_e32 v31, 0xfc00, v31
	v_or3_b32 v27, v1, v31, v27
.LBB264_308:                            ;   in Loop: Header=BB264_286 Depth=1
	s_or_b32 exec_lo, exec_lo, s17
.LBB264_309:                            ;   in Loop: Header=BB264_286 Depth=1
	s_or_b32 exec_lo, exec_lo, s13
.LBB264_310:                            ;   in Loop: Header=BB264_286 Depth=1
	s_or_b32 exec_lo, exec_lo, s0
	v_mov_b32_e32 v31, 0
	v_mov_b32_e32 v32, 0
	s_mov_b32 s0, exec_lo
	v_cmpx_lt_u32_e32 0xffffff, v9
	s_cbranch_execz .LBB264_318
; %bb.311:                              ;   in Loop: Header=BB264_286 Depth=1
	v_lshrrev_b32_e32 v1, 24, v9
	v_bfrev_b32_e32 v32, 1
	s_mov_b32 s13, exec_lo
	v_cmpx_ne_u32_e32 0x80, v1
	s_cbranch_execz .LBB264_317
; %bb.312:                              ;   in Loop: Header=BB264_286 Depth=1
	v_and_b32_e32 v42, 0x7f, v1
	v_mov_b32_e32 v32, 0x7c010000
	s_mov_b32 s17, exec_lo
	v_cmpx_ne_u32_e32 0x7f, v42
	s_cbranch_execz .LBB264_316
; %bb.313:                              ;   in Loop: Header=BB264_286 Depth=1
	v_and_b32_e32 v32, 7, v1
	v_lshrrev_b32_e32 v33, 3, v42
	s_mov_b32 s18, exec_lo
	v_cmpx_gt_u32_e32 8, v42
; %bb.314:                              ;   in Loop: Header=BB264_286 Depth=1
	v_ffbh_u32_e32 v32, v32
	v_min_u32_e32 v42, 32, v32
	v_subrev_nc_u32_e32 v32, 28, v42
	v_lshlrev_b64 v[32:33], v32, v[1:2]
	v_sub_nc_u32_e32 v33, 29, v42
	v_and_b32_e32 v32, 7, v32
; %bb.315:                              ;   in Loop: Header=BB264_286 Depth=1
	s_or_b32 exec_lo, exec_lo, s18
	v_lshlrev_b32_e32 v1, 8, v1
	v_lshl_add_u32 v33, v33, 10, 0x2000
	v_lshlrev_b32_e32 v32, 23, v32
	v_and_or_b32 v1, 0x8000, v1, v33
	v_lshl_or_b32 v32, v1, 16, v32
.LBB264_316:                            ;   in Loop: Header=BB264_286 Depth=1
	s_or_b32 exec_lo, exec_lo, s17
.LBB264_317:                            ;   in Loop: Header=BB264_286 Depth=1
	s_or_b32 exec_lo, exec_lo, s13
.LBB264_318:                            ;   in Loop: Header=BB264_286 Depth=1
	s_or_b32 exec_lo, exec_lo, s0
	v_mov_b32_e32 v1, v10
	v_cmp_ne_u16_sdwa s13, v10, v2 src0_sel:BYTE_0 src1_sel:DWORD
	s_and_saveexec_b32 s0, s13
	s_cbranch_execz .LBB264_326
; %bb.319:                              ;   in Loop: Header=BB264_286 Depth=1
	v_cmp_ne_u16_sdwa s17, v10, v22 src0_sel:BYTE_0 src1_sel:DWORD
	v_mov_b32_e32 v31, 0x8000
	s_and_saveexec_b32 s13, s17
	s_cbranch_execz .LBB264_325
; %bb.320:                              ;   in Loop: Header=BB264_286 Depth=1
	v_and_b32_e32 v42, 0x7f, v10
	v_mov_b32_e32 v31, 0x7c01
	s_mov_b32 s17, exec_lo
	v_cmpx_ne_u32_e32 0x7f, v42
	s_cbranch_execz .LBB264_324
; %bb.321:                              ;   in Loop: Header=BB264_286 Depth=1
	v_and_b32_e32 v31, 7, v10
	v_lshrrev_b32_e32 v33, 3, v42
	s_mov_b32 s18, exec_lo
	v_cmpx_gt_u32_e32 8, v42
; %bb.322:                              ;   in Loop: Header=BB264_286 Depth=1
	v_ffbh_u32_e32 v31, v31
	v_min_u32_e32 v31, 32, v31
	v_subrev_nc_u32_e32 v33, 28, v31
	v_lshlrev_b64 v[42:43], v33, v[1:2]
	v_sub_nc_u32_e32 v33, 29, v31
	v_and_b32_e32 v31, 7, v42
; %bb.323:                              ;   in Loop: Header=BB264_286 Depth=1
	s_or_b32 exec_lo, exec_lo, s18
	v_lshlrev_b32_e32 v42, 8, v10
	v_lshl_add_u32 v33, v33, 10, 0x2000
	v_lshlrev_b32_e32 v31, 7, v31
	v_and_b32_e32 v42, 0x8000, v42
	v_and_b32_e32 v33, 0xfc00, v33
	v_or3_b32 v31, v42, v33, v31
.LBB264_324:                            ;   in Loop: Header=BB264_286 Depth=1
	s_or_b32 exec_lo, exec_lo, s17
.LBB264_325:                            ;   in Loop: Header=BB264_286 Depth=1
	s_or_b32 exec_lo, exec_lo, s13
.LBB264_326:                            ;   in Loop: Header=BB264_286 Depth=1
	s_or_b32 exec_lo, exec_lo, s0
	v_lshrrev_b16 v1, 8, v1
	v_mov_b32_e32 v42, 0
	v_mov_b32_e32 v33, 0
	s_mov_b32 s0, exec_lo
	v_cmpx_ne_u16_e32 0, v1
	s_cbranch_execz .LBB264_334
; %bb.327:                              ;   in Loop: Header=BB264_286 Depth=1
	v_bfrev_b32_e32 v33, 1
	s_mov_b32 s13, exec_lo
	v_cmpx_ne_u16_e32 0x80, v1
	s_cbranch_execz .LBB264_333
; %bb.328:                              ;   in Loop: Header=BB264_286 Depth=1
	v_and_b32_sdwa v44, v1, v23 dst_sel:DWORD dst_unused:UNUSED_PAD src0_sel:WORD_0 src1_sel:DWORD
	v_mov_b32_e32 v33, 0x7c010000
	s_mov_b32 s17, exec_lo
	v_cmpx_ne_u32_e32 0x7f, v44
	s_cbranch_execz .LBB264_332
; %bb.329:                              ;   in Loop: Header=BB264_286 Depth=1
	v_and_b32_sdwa v33, v1, v24 dst_sel:DWORD dst_unused:UNUSED_PAD src0_sel:WORD_0 src1_sel:DWORD
	v_lshrrev_b32_e32 v43, 3, v44
	s_mov_b32 s18, exec_lo
	v_cmpx_gt_u32_e32 8, v44
; %bb.330:                              ;   in Loop: Header=BB264_286 Depth=1
	v_ffbh_u32_e32 v33, v33
	v_min_u32_e32 v33, 32, v33
	v_subrev_nc_u32_e32 v43, 28, v33
	v_lshlrev_b64 v[44:45], v43, v[1:2]
	v_sub_nc_u32_e32 v43, 29, v33
	v_and_b32_e32 v33, 7, v44
; %bb.331:                              ;   in Loop: Header=BB264_286 Depth=1
	s_or_b32 exec_lo, exec_lo, s18
	v_lshlrev_b32_sdwa v1, v25, v1 dst_sel:DWORD dst_unused:UNUSED_PAD src0_sel:DWORD src1_sel:WORD_0
	v_lshl_add_u32 v43, v43, 10, 0x2000
	v_lshlrev_b32_e32 v33, 23, v33
	v_and_or_b32 v1, 0x8000, v1, v43
	v_lshl_or_b32 v33, v1, 16, v33
.LBB264_332:                            ;   in Loop: Header=BB264_286 Depth=1
	s_or_b32 exec_lo, exec_lo, s17
.LBB264_333:                            ;   in Loop: Header=BB264_286 Depth=1
	s_or_b32 exec_lo, exec_lo, s13
.LBB264_334:                            ;   in Loop: Header=BB264_286 Depth=1
	s_or_b32 exec_lo, exec_lo, s0
	v_lshrrev_b32_e32 v1, 16, v10
	v_cmp_ne_u16_sdwa s13, v1, v2 src0_sel:BYTE_0 src1_sel:DWORD
	s_and_saveexec_b32 s0, s13
	s_cbranch_execz .LBB264_342
; %bb.335:                              ;   in Loop: Header=BB264_286 Depth=1
	v_cmp_ne_u16_sdwa s17, v1, v22 src0_sel:BYTE_0 src1_sel:DWORD
	v_mov_b32_e32 v42, 0x8000
	s_and_saveexec_b32 s13, s17
	s_cbranch_execz .LBB264_341
; %bb.336:                              ;   in Loop: Header=BB264_286 Depth=1
	v_bfe_u32 v44, v10, 16, 7
	v_mov_b32_e32 v42, 0x7c01
	s_mov_b32 s17, exec_lo
	v_cmpx_ne_u32_e32 0x7f, v44
	s_cbranch_execz .LBB264_340
; %bb.337:                              ;   in Loop: Header=BB264_286 Depth=1
	v_and_b32_e32 v42, 7, v1
	v_lshrrev_b32_e32 v43, 3, v44
	s_mov_b32 s18, exec_lo
	v_cmpx_gt_u32_e32 8, v44
; %bb.338:                              ;   in Loop: Header=BB264_286 Depth=1
	v_ffbh_u32_e32 v42, v42
	v_min_u32_e32 v44, 32, v42
	v_subrev_nc_u32_e32 v42, 28, v44
	v_lshlrev_b64 v[42:43], v42, v[1:2]
	v_sub_nc_u32_e32 v43, 29, v44
	v_and_b32_e32 v42, 7, v42
; %bb.339:                              ;   in Loop: Header=BB264_286 Depth=1
	s_or_b32 exec_lo, exec_lo, s18
	v_lshlrev_b32_e32 v1, 8, v1
	v_lshl_add_u32 v43, v43, 10, 0x2000
	v_lshlrev_b32_e32 v42, 7, v42
	v_and_b32_e32 v1, 0x8000, v1
	v_and_b32_e32 v43, 0xfc00, v43
	v_or3_b32 v42, v1, v43, v42
.LBB264_340:                            ;   in Loop: Header=BB264_286 Depth=1
	s_or_b32 exec_lo, exec_lo, s17
.LBB264_341:                            ;   in Loop: Header=BB264_286 Depth=1
	s_or_b32 exec_lo, exec_lo, s13
.LBB264_342:                            ;   in Loop: Header=BB264_286 Depth=1
	s_or_b32 exec_lo, exec_lo, s0
	v_cmp_lt_u64_e32 vcc_lo, s[2:3], v[9:10]
	v_mov_b32_e32 v9, 0
	s_and_saveexec_b32 s0, vcc_lo
	s_cbranch_execz .LBB264_350
; %bb.343:                              ;   in Loop: Header=BB264_286 Depth=1
	v_lshrrev_b32_e32 v1, 24, v10
	v_bfrev_b32_e32 v9, 1
	s_mov_b32 s13, exec_lo
	v_cmpx_ne_u32_e32 0x80, v1
	s_cbranch_execz .LBB264_349
; %bb.344:                              ;   in Loop: Header=BB264_286 Depth=1
	v_and_b32_e32 v43, 0x7f, v1
	v_mov_b32_e32 v9, 0x7c010000
	s_mov_b32 s17, exec_lo
	v_cmpx_ne_u32_e32 0x7f, v43
	s_cbranch_execz .LBB264_348
; %bb.345:                              ;   in Loop: Header=BB264_286 Depth=1
	v_and_b32_e32 v9, 7, v1
	v_lshrrev_b32_e32 v10, 3, v43
	s_mov_b32 s18, exec_lo
	v_cmpx_gt_u32_e32 8, v43
; %bb.346:                              ;   in Loop: Header=BB264_286 Depth=1
	v_ffbh_u32_e32 v9, v9
	v_min_u32_e32 v43, 32, v9
	v_subrev_nc_u32_e32 v9, 28, v43
	v_lshlrev_b64 v[9:10], v9, v[1:2]
	v_sub_nc_u32_e32 v10, 29, v43
	v_and_b32_e32 v9, 7, v9
; %bb.347:                              ;   in Loop: Header=BB264_286 Depth=1
	s_or_b32 exec_lo, exec_lo, s18
	v_lshlrev_b32_e32 v1, 8, v1
	v_lshl_add_u32 v10, v10, 10, 0x2000
	v_lshlrev_b32_e32 v9, 23, v9
	v_and_or_b32 v1, 0x8000, v1, v10
	v_lshl_or_b32 v9, v1, 16, v9
.LBB264_348:                            ;   in Loop: Header=BB264_286 Depth=1
	s_or_b32 exec_lo, exec_lo, s17
.LBB264_349:                            ;   in Loop: Header=BB264_286 Depth=1
	s_or_b32 exec_lo, exec_lo, s13
.LBB264_350:                            ;   in Loop: Header=BB264_286 Depth=1
	s_or_b32 exec_lo, exec_lo, s0
	v_or_b32_e32 v1, v32, v27
	s_waitcnt vmcnt(0)
	v_fma_mixlo_f16 v10, v28, v32, 0 op_sel:[0,1,0] op_sel_hi:[0,1,0]
	v_or_b32_e32 v29, v30, v29
	v_fma_mixlo_f16 v30, v28, v30, 0 op_sel:[0,1,0] op_sel_hi:[0,1,0]
	v_or_b32_e32 v31, v33, v31
	v_fma_mixlo_f16 v1, v28, v1, 0 op_sel_hi:[0,1,0]
	v_or_b32_e32 v32, v9, v42
	v_fma_mixlo_f16 v9, v28, v9, 0 op_sel:[0,1,0] op_sel_hi:[0,1,0]
	v_lshlrev_b32_e32 v48, 16, v30
	v_fma_mixlo_f16 v30, v28, v31, 0 op_sel_hi:[0,1,0]
	v_and_b32_e32 v45, 0xffff, v1
	v_fma_mixlo_f16 v1, v28, v29, 0 op_sel_hi:[0,1,0]
	v_fma_mixlo_f16 v29, v28, v33, 0 op_sel:[0,1,0] op_sel_hi:[0,1,0]
	v_fma_mixlo_f16 v28, v28, v32, 0 op_sel_hi:[0,1,0]
	v_lshlrev_b32_e32 v10, 16, v10
	v_and_b32_e32 v49, 0xffff, v30
	v_and_b32_e32 v50, 0xffff, v1
	v_lshlrev_b32_e32 v46, 16, v29
	v_lshlrev_b32_e32 v43, 16, v9
	v_and_b32_e32 v47, 0xffff, v28
	v_add_nc_u32_e32 v27, -7, v21
	v_cmp_eq_u32_e32 vcc_lo, s5, v26
	v_or_b32_e32 v1, v10, v45
	v_or_b32_e32 v9, v48, v50
	v_or_b32_e32 v42, v46, v49
	v_or_b32_e32 v44, v43, v47
	v_add_nc_u32_e32 v33, -6, v21
	v_add_nc_u32_e32 v32, -5, v21
	;; [unrolled: 1-line block ×6, first 2 shown]
	s_and_saveexec_b32 s13, vcc_lo
	s_cbranch_execz .LBB264_352
; %bb.351:                              ;   in Loop: Header=BB264_286 Depth=1
	v_cmp_gt_i32_e64 s0, s11, v27
	v_cndmask_b32_e64 v1, 0, v50, s0
	v_cmp_gt_i32_e64 s0, s11, v33
	v_cndmask_b32_e64 v9, 0, v48, s0
	v_cmp_gt_i32_e64 s0, s11, v32
	v_or_b32_e32 v9, v9, v1
	v_cndmask_b32_e64 v42, 0, v45, s0
	v_cmp_gt_i32_e64 s0, s11, v31
	v_cndmask_b32_e64 v10, 0, v10, s0
	v_cmp_gt_i32_e64 s0, s11, v30
	v_or_b32_e32 v1, v10, v42
	;; [unrolled: 5-line block ×3, first 2 shown]
	v_cndmask_b32_e64 v46, 0, v47, s0
	v_cmp_gt_i32_e64 s0, s11, v21
	v_cndmask_b32_e64 v43, 0, v43, s0
	v_or_b32_e32 v44, v43, v46
.LBB264_352:                            ;   in Loop: Header=BB264_286 Depth=1
	s_or_b32 exec_lo, exec_lo, s13
	v_and_b32_e32 v10, 0xffff, v34
	v_and_b32_e32 v34, 0xffff, v38
	;; [unrolled: 1-line block ×4, first 2 shown]
	v_lshl_or_b32 v38, v35, 16, v10
	v_lshl_or_b32 v36, v36, 16, v34
	;;#ASMSTART
	v_pk_mul_f16 v9, v38, v9;

	;;#ASMEND
	;;#ASMSTART
	v_pk_mul_f16 v1, v36, v1;

	;;#ASMEND
	v_lshl_or_b32 v35, v37, 16, v40
	v_lshl_or_b32 v34, v39, 16, v41
	;;#ASMSTART
	v_pk_mul_f16 v10, v35, v42;

	;;#ASMEND
	;;#ASMSTART
	v_pk_mul_f16 v37, v34, v44;

	;;#ASMEND
	;;#ASMSTART
	v_pk_add_f16 v1, v9, v1;

	;;#ASMEND
	;;#ASMSTART
	v_pk_add_f16 v1, v1, v10;
	;; [unrolled: 4-line block ×3, first 2 shown]

	;;#ASMEND
	v_and_b32_e32 v9, 0xffff, v1
	v_lshrrev_b32_e32 v1, 16, v1
	;;#ASMSTART
	v_cvt_f32_f16 v37, v9;
	;;#ASMEND
	;;#ASMSTART
	v_cvt_f32_f16 v39, v1;
	;;#ASMEND
	global_load_dwordx2 v[9:10], v[7:8], off offset:256
	v_mov_b32_e32 v41, 0
	v_mov_b32_e32 v42, 0
	global_load_dword v40, v41, s[14:15]
	s_waitcnt vmcnt(1)
	v_cmp_ne_u16_sdwa s0, v9, v2 src0_sel:BYTE_0 src1_sel:DWORD
	s_and_saveexec_b32 s13, s0
	s_cbranch_execz .LBB264_360
; %bb.353:                              ;   in Loop: Header=BB264_286 Depth=1
	v_cmp_ne_u16_sdwa s0, v9, v22 src0_sel:BYTE_0 src1_sel:DWORD
	v_mov_b32_e32 v42, 0x8000
	s_and_saveexec_b32 s17, s0
	s_cbranch_execz .LBB264_359
; %bb.354:                              ;   in Loop: Header=BB264_286 Depth=1
	v_and_b32_e32 v43, 0x7f, v9
	v_mov_b32_e32 v42, 0x7c01
	s_mov_b32 s18, exec_lo
	v_cmpx_ne_u32_e32 0x7f, v43
	s_cbranch_execz .LBB264_358
; %bb.355:                              ;   in Loop: Header=BB264_286 Depth=1
	v_and_b32_e32 v1, 7, v9
	v_lshrrev_b32_e32 v42, 3, v43
	s_mov_b32 s19, exec_lo
	v_cmpx_gt_u32_e32 8, v43
; %bb.356:                              ;   in Loop: Header=BB264_286 Depth=1
	v_ffbh_u32_e32 v1, v1
	v_min_u32_e32 v1, 32, v1
	v_subrev_nc_u32_e32 v42, 28, v1
	v_lshlrev_b64 v[43:44], v42, v[9:10]
	v_sub_nc_u32_e32 v42, 29, v1
	v_and_b32_e32 v1, 7, v43
; %bb.357:                              ;   in Loop: Header=BB264_286 Depth=1
	s_or_b32 exec_lo, exec_lo, s19
	v_lshlrev_b32_e32 v43, 8, v9
	v_lshl_add_u32 v42, v42, 10, 0x2000
	v_lshlrev_b32_e32 v1, 7, v1
	v_and_b32_e32 v43, 0x8000, v43
	v_and_b32_e32 v42, 0xfc00, v42
	v_or3_b32 v42, v43, v42, v1
.LBB264_358:                            ;   in Loop: Header=BB264_286 Depth=1
	s_or_b32 exec_lo, exec_lo, s18
.LBB264_359:                            ;   in Loop: Header=BB264_286 Depth=1
	s_or_b32 exec_lo, exec_lo, s17
.LBB264_360:                            ;   in Loop: Header=BB264_286 Depth=1
	s_or_b32 exec_lo, exec_lo, s13
	v_lshrrev_b16 v1, 8, v9
	s_mov_b32 s13, exec_lo
	v_cmpx_ne_u16_e32 0, v1
	s_cbranch_execz .LBB264_368
; %bb.361:                              ;   in Loop: Header=BB264_286 Depth=1
	v_bfrev_b32_e32 v41, 1
	s_mov_b32 s17, exec_lo
	v_cmpx_ne_u16_e32 0x80, v1
	s_cbranch_execz .LBB264_367
; %bb.362:                              ;   in Loop: Header=BB264_286 Depth=1
	v_and_b32_sdwa v44, v1, v23 dst_sel:DWORD dst_unused:UNUSED_PAD src0_sel:WORD_0 src1_sel:DWORD
	v_mov_b32_e32 v41, 0x7c010000
	s_mov_b32 s18, exec_lo
	v_cmpx_ne_u32_e32 0x7f, v44
	s_cbranch_execz .LBB264_366
; %bb.363:                              ;   in Loop: Header=BB264_286 Depth=1
	v_and_b32_sdwa v41, v1, v24 dst_sel:DWORD dst_unused:UNUSED_PAD src0_sel:WORD_0 src1_sel:DWORD
	v_lshrrev_b32_e32 v43, 3, v44
	s_mov_b32 s19, exec_lo
	v_cmpx_gt_u32_e32 8, v44
; %bb.364:                              ;   in Loop: Header=BB264_286 Depth=1
	v_ffbh_u32_e32 v41, v41
	v_min_u32_e32 v41, 32, v41
	v_subrev_nc_u32_e32 v43, 28, v41
	v_lshlrev_b64 v[44:45], v43, v[1:2]
	v_sub_nc_u32_e32 v43, 29, v41
	v_and_b32_e32 v41, 7, v44
; %bb.365:                              ;   in Loop: Header=BB264_286 Depth=1
	s_or_b32 exec_lo, exec_lo, s19
	v_lshlrev_b32_sdwa v1, v25, v1 dst_sel:DWORD dst_unused:UNUSED_PAD src0_sel:DWORD src1_sel:WORD_0
	v_lshl_add_u32 v43, v43, 10, 0x2000
	v_lshlrev_b32_e32 v41, 23, v41
	v_and_or_b32 v1, 0x8000, v1, v43
	v_lshl_or_b32 v41, v1, 16, v41
.LBB264_366:                            ;   in Loop: Header=BB264_286 Depth=1
	s_or_b32 exec_lo, exec_lo, s18
.LBB264_367:                            ;   in Loop: Header=BB264_286 Depth=1
	s_or_b32 exec_lo, exec_lo, s17
.LBB264_368:                            ;   in Loop: Header=BB264_286 Depth=1
	s_or_b32 exec_lo, exec_lo, s13
	v_lshrrev_b32_e32 v1, 16, v9
	v_mov_b32_e32 v43, 0
	v_mov_b32_e32 v44, 0
	v_cmp_ne_u16_sdwa s0, v1, v2 src0_sel:BYTE_0 src1_sel:DWORD
	s_and_saveexec_b32 s13, s0
	s_cbranch_execz .LBB264_376
; %bb.369:                              ;   in Loop: Header=BB264_286 Depth=1
	v_cmp_ne_u16_sdwa s0, v1, v22 src0_sel:BYTE_0 src1_sel:DWORD
	v_mov_b32_e32 v44, 0x8000
	s_and_saveexec_b32 s17, s0
	s_cbranch_execz .LBB264_375
; %bb.370:                              ;   in Loop: Header=BB264_286 Depth=1
	v_bfe_u32 v46, v9, 16, 7
	v_mov_b32_e32 v44, 0x7c01
	s_mov_b32 s18, exec_lo
	v_cmpx_ne_u32_e32 0x7f, v46
	s_cbranch_execz .LBB264_374
; %bb.371:                              ;   in Loop: Header=BB264_286 Depth=1
	v_and_b32_e32 v44, 7, v1
	v_lshrrev_b32_e32 v45, 3, v46
	s_mov_b32 s19, exec_lo
	v_cmpx_gt_u32_e32 8, v46
; %bb.372:                              ;   in Loop: Header=BB264_286 Depth=1
	v_ffbh_u32_e32 v44, v44
	v_min_u32_e32 v46, 32, v44
	v_subrev_nc_u32_e32 v44, 28, v46
	v_lshlrev_b64 v[44:45], v44, v[1:2]
	v_sub_nc_u32_e32 v45, 29, v46
	v_and_b32_e32 v44, 7, v44
; %bb.373:                              ;   in Loop: Header=BB264_286 Depth=1
	s_or_b32 exec_lo, exec_lo, s19
	v_lshlrev_b32_e32 v1, 8, v1
	v_lshl_add_u32 v45, v45, 10, 0x2000
	v_lshlrev_b32_e32 v44, 7, v44
	v_and_b32_e32 v1, 0x8000, v1
	v_and_b32_e32 v45, 0xfc00, v45
	v_or3_b32 v44, v1, v45, v44
.LBB264_374:                            ;   in Loop: Header=BB264_286 Depth=1
	s_or_b32 exec_lo, exec_lo, s18
.LBB264_375:                            ;   in Loop: Header=BB264_286 Depth=1
	s_or_b32 exec_lo, exec_lo, s17
.LBB264_376:                            ;   in Loop: Header=BB264_286 Depth=1
	s_or_b32 exec_lo, exec_lo, s13
	s_mov_b32 s13, exec_lo
	v_cmpx_lt_u32_e32 0xffffff, v9
	s_cbranch_execz .LBB264_384
; %bb.377:                              ;   in Loop: Header=BB264_286 Depth=1
	v_lshrrev_b32_e32 v1, 24, v9
	v_bfrev_b32_e32 v43, 1
	s_mov_b32 s17, exec_lo
	v_cmpx_ne_u32_e32 0x80, v1
	s_cbranch_execz .LBB264_383
; %bb.378:                              ;   in Loop: Header=BB264_286 Depth=1
	v_and_b32_e32 v46, 0x7f, v1
	v_mov_b32_e32 v43, 0x7c010000
	s_mov_b32 s18, exec_lo
	v_cmpx_ne_u32_e32 0x7f, v46
	s_cbranch_execz .LBB264_382
; %bb.379:                              ;   in Loop: Header=BB264_286 Depth=1
	v_and_b32_e32 v43, 7, v1
	v_lshrrev_b32_e32 v45, 3, v46
	s_mov_b32 s19, exec_lo
	v_cmpx_gt_u32_e32 8, v46
; %bb.380:                              ;   in Loop: Header=BB264_286 Depth=1
	v_ffbh_u32_e32 v43, v43
	v_min_u32_e32 v43, 32, v43
	v_subrev_nc_u32_e32 v45, 28, v43
	v_lshlrev_b64 v[46:47], v45, v[1:2]
	v_sub_nc_u32_e32 v45, 29, v43
	v_and_b32_e32 v43, 7, v46
; %bb.381:                              ;   in Loop: Header=BB264_286 Depth=1
	s_or_b32 exec_lo, exec_lo, s19
	v_lshlrev_b32_e32 v1, 8, v1
	v_lshl_add_u32 v45, v45, 10, 0x2000
	v_lshlrev_b32_e32 v43, 23, v43
	v_and_or_b32 v1, 0x8000, v1, v45
	v_lshl_or_b32 v43, v1, 16, v43
.LBB264_382:                            ;   in Loop: Header=BB264_286 Depth=1
	s_or_b32 exec_lo, exec_lo, s18
.LBB264_383:                            ;   in Loop: Header=BB264_286 Depth=1
	s_or_b32 exec_lo, exec_lo, s17
.LBB264_384:                            ;   in Loop: Header=BB264_286 Depth=1
	s_or_b32 exec_lo, exec_lo, s13
	v_mov_b32_e32 v1, v10
	v_cmp_ne_u16_sdwa s0, v10, v2 src0_sel:BYTE_0 src1_sel:DWORD
	v_mov_b32_e32 v45, 0
	v_mov_b32_e32 v46, 0
	s_and_saveexec_b32 s13, s0
	s_cbranch_execz .LBB264_392
; %bb.385:                              ;   in Loop: Header=BB264_286 Depth=1
	v_cmp_ne_u16_sdwa s0, v10, v22 src0_sel:BYTE_0 src1_sel:DWORD
	v_mov_b32_e32 v46, 0x8000
	s_and_saveexec_b32 s17, s0
	s_cbranch_execz .LBB264_391
; %bb.386:                              ;   in Loop: Header=BB264_286 Depth=1
	v_and_b32_e32 v48, 0x7f, v10
	v_mov_b32_e32 v46, 0x7c01
	s_mov_b32 s18, exec_lo
	v_cmpx_ne_u32_e32 0x7f, v48
	s_cbranch_execz .LBB264_390
; %bb.387:                              ;   in Loop: Header=BB264_286 Depth=1
	v_and_b32_e32 v46, 7, v10
	v_lshrrev_b32_e32 v47, 3, v48
	s_mov_b32 s19, exec_lo
	v_cmpx_gt_u32_e32 8, v48
; %bb.388:                              ;   in Loop: Header=BB264_286 Depth=1
	v_ffbh_u32_e32 v46, v46
	v_min_u32_e32 v48, 32, v46
	v_subrev_nc_u32_e32 v46, 28, v48
	v_lshlrev_b64 v[46:47], v46, v[1:2]
	v_sub_nc_u32_e32 v47, 29, v48
	v_and_b32_e32 v46, 7, v46
; %bb.389:                              ;   in Loop: Header=BB264_286 Depth=1
	s_or_b32 exec_lo, exec_lo, s19
	v_lshlrev_b32_e32 v48, 8, v10
	v_lshl_add_u32 v47, v47, 10, 0x2000
	v_lshlrev_b32_e32 v46, 7, v46
	v_and_b32_e32 v48, 0x8000, v48
	v_and_b32_e32 v47, 0xfc00, v47
	v_or3_b32 v46, v48, v47, v46
.LBB264_390:                            ;   in Loop: Header=BB264_286 Depth=1
	s_or_b32 exec_lo, exec_lo, s18
.LBB264_391:                            ;   in Loop: Header=BB264_286 Depth=1
	s_or_b32 exec_lo, exec_lo, s17
.LBB264_392:                            ;   in Loop: Header=BB264_286 Depth=1
	s_or_b32 exec_lo, exec_lo, s13
	v_lshrrev_b16 v1, 8, v1
	v_mov_b32_e32 v47, 0
	s_mov_b32 s13, exec_lo
	v_cmpx_ne_u16_e32 0, v1
	s_cbranch_execz .LBB264_400
; %bb.393:                              ;   in Loop: Header=BB264_286 Depth=1
	v_bfrev_b32_e32 v47, 1
	s_mov_b32 s17, exec_lo
	v_cmpx_ne_u16_e32 0x80, v1
	s_cbranch_execz .LBB264_399
; %bb.394:                              ;   in Loop: Header=BB264_286 Depth=1
	v_and_b32_sdwa v49, v1, v23 dst_sel:DWORD dst_unused:UNUSED_PAD src0_sel:WORD_0 src1_sel:DWORD
	v_mov_b32_e32 v47, 0x7c010000
	s_mov_b32 s18, exec_lo
	v_cmpx_ne_u32_e32 0x7f, v49
	s_cbranch_execz .LBB264_398
; %bb.395:                              ;   in Loop: Header=BB264_286 Depth=1
	v_and_b32_sdwa v47, v1, v24 dst_sel:DWORD dst_unused:UNUSED_PAD src0_sel:WORD_0 src1_sel:DWORD
	v_lshrrev_b32_e32 v48, 3, v49
	s_mov_b32 s19, exec_lo
	v_cmpx_gt_u32_e32 8, v49
; %bb.396:                              ;   in Loop: Header=BB264_286 Depth=1
	v_ffbh_u32_e32 v47, v47
	v_min_u32_e32 v49, 32, v47
	v_subrev_nc_u32_e32 v47, 28, v49
	v_lshlrev_b64 v[47:48], v47, v[1:2]
	v_sub_nc_u32_e32 v48, 29, v49
	v_and_b32_e32 v47, 7, v47
; %bb.397:                              ;   in Loop: Header=BB264_286 Depth=1
	s_or_b32 exec_lo, exec_lo, s19
	v_lshlrev_b32_sdwa v1, v25, v1 dst_sel:DWORD dst_unused:UNUSED_PAD src0_sel:DWORD src1_sel:WORD_0
	v_lshl_add_u32 v48, v48, 10, 0x2000
	v_lshlrev_b32_e32 v47, 23, v47
	v_and_or_b32 v1, 0x8000, v1, v48
	v_lshl_or_b32 v47, v1, 16, v47
.LBB264_398:                            ;   in Loop: Header=BB264_286 Depth=1
	s_or_b32 exec_lo, exec_lo, s18
.LBB264_399:                            ;   in Loop: Header=BB264_286 Depth=1
	s_or_b32 exec_lo, exec_lo, s17
.LBB264_400:                            ;   in Loop: Header=BB264_286 Depth=1
	s_or_b32 exec_lo, exec_lo, s13
	v_lshrrev_b32_e32 v1, 16, v10
	v_cmp_ne_u16_sdwa s0, v1, v2 src0_sel:BYTE_0 src1_sel:DWORD
	s_and_saveexec_b32 s13, s0
	s_cbranch_execz .LBB264_408
; %bb.401:                              ;   in Loop: Header=BB264_286 Depth=1
	v_cmp_ne_u16_sdwa s0, v1, v22 src0_sel:BYTE_0 src1_sel:DWORD
	v_mov_b32_e32 v45, 0x8000
	s_and_saveexec_b32 s17, s0
	s_cbranch_execz .LBB264_407
; %bb.402:                              ;   in Loop: Header=BB264_286 Depth=1
	v_bfe_u32 v49, v10, 16, 7
	v_mov_b32_e32 v45, 0x7c01
	s_mov_b32 s18, exec_lo
	v_cmpx_ne_u32_e32 0x7f, v49
	s_cbranch_execz .LBB264_406
; %bb.403:                              ;   in Loop: Header=BB264_286 Depth=1
	v_and_b32_e32 v45, 7, v1
	v_lshrrev_b32_e32 v48, 3, v49
	s_mov_b32 s19, exec_lo
	v_cmpx_gt_u32_e32 8, v49
; %bb.404:                              ;   in Loop: Header=BB264_286 Depth=1
	v_ffbh_u32_e32 v45, v45
	v_min_u32_e32 v45, 32, v45
	v_subrev_nc_u32_e32 v48, 28, v45
	v_lshlrev_b64 v[49:50], v48, v[1:2]
	v_sub_nc_u32_e32 v48, 29, v45
	v_and_b32_e32 v45, 7, v49
; %bb.405:                              ;   in Loop: Header=BB264_286 Depth=1
	s_or_b32 exec_lo, exec_lo, s19
	v_lshlrev_b32_e32 v1, 8, v1
	v_lshl_add_u32 v48, v48, 10, 0x2000
	v_lshlrev_b32_e32 v45, 7, v45
	v_and_b32_e32 v1, 0x8000, v1
	v_and_b32_e32 v48, 0xfc00, v48
	v_or3_b32 v45, v1, v48, v45
.LBB264_406:                            ;   in Loop: Header=BB264_286 Depth=1
	s_or_b32 exec_lo, exec_lo, s18
.LBB264_407:                            ;   in Loop: Header=BB264_286 Depth=1
	s_or_b32 exec_lo, exec_lo, s17
.LBB264_408:                            ;   in Loop: Header=BB264_286 Depth=1
	s_or_b32 exec_lo, exec_lo, s13
	v_cmp_lt_u64_e64 s0, s[2:3], v[9:10]
	v_mov_b32_e32 v9, 0
	s_and_saveexec_b32 s13, s0
	s_cbranch_execz .LBB264_416
; %bb.409:                              ;   in Loop: Header=BB264_286 Depth=1
	v_lshrrev_b32_e32 v1, 24, v10
	v_bfrev_b32_e32 v9, 1
	s_mov_b32 s17, exec_lo
	v_cmpx_ne_u32_e32 0x80, v1
	s_cbranch_execz .LBB264_415
; %bb.410:                              ;   in Loop: Header=BB264_286 Depth=1
	v_and_b32_e32 v48, 0x7f, v1
	v_mov_b32_e32 v9, 0x7c010000
	s_mov_b32 s18, exec_lo
	v_cmpx_ne_u32_e32 0x7f, v48
	s_cbranch_execz .LBB264_414
; %bb.411:                              ;   in Loop: Header=BB264_286 Depth=1
	v_and_b32_e32 v9, 7, v1
	v_lshrrev_b32_e32 v10, 3, v48
	s_mov_b32 s19, exec_lo
	v_cmpx_gt_u32_e32 8, v48
; %bb.412:                              ;   in Loop: Header=BB264_286 Depth=1
	v_ffbh_u32_e32 v9, v9
	v_min_u32_e32 v48, 32, v9
	v_subrev_nc_u32_e32 v9, 28, v48
	v_lshlrev_b64 v[9:10], v9, v[1:2]
	v_sub_nc_u32_e32 v10, 29, v48
	v_and_b32_e32 v9, 7, v9
; %bb.413:                              ;   in Loop: Header=BB264_286 Depth=1
	s_or_b32 exec_lo, exec_lo, s19
	v_lshlrev_b32_e32 v1, 8, v1
	v_lshl_add_u32 v10, v10, 10, 0x2000
	v_lshlrev_b32_e32 v9, 23, v9
	v_and_or_b32 v1, 0x8000, v1, v10
	v_lshl_or_b32 v9, v1, 16, v9
.LBB264_414:                            ;   in Loop: Header=BB264_286 Depth=1
	s_or_b32 exec_lo, exec_lo, s18
.LBB264_415:                            ;   in Loop: Header=BB264_286 Depth=1
	s_or_b32 exec_lo, exec_lo, s17
.LBB264_416:                            ;   in Loop: Header=BB264_286 Depth=1
	s_or_b32 exec_lo, exec_lo, s13
	v_or_b32_e32 v1, v43, v44
	s_waitcnt vmcnt(0)
	v_fma_mixlo_f16 v10, v40, v43, 0 op_sel:[0,1,0] op_sel_hi:[0,1,0]
	v_or_b32_e32 v43, v41, v42
	v_fma_mixlo_f16 v41, v40, v41, 0 op_sel:[0,1,0] op_sel_hi:[0,1,0]
	v_or_b32_e32 v44, v47, v46
	v_or_b32_e32 v45, v9, v45
	v_fma_mixlo_f16 v46, v40, v1, 0 op_sel_hi:[0,1,0]
	v_fma_mixlo_f16 v9, v40, v9, 0 op_sel:[0,1,0] op_sel_hi:[0,1,0]
	v_lshlrev_b32_e32 v42, 16, v41
	v_fma_mixlo_f16 v41, v40, v43, 0 op_sel_hi:[0,1,0]
	v_fma_mixlo_f16 v43, v40, v47, 0 op_sel:[0,1,0] op_sel_hi:[0,1,0]
	v_fma_mixlo_f16 v44, v40, v44, 0 op_sel_hi:[0,1,0]
	v_fma_mixlo_f16 v45, v40, v45, 0 op_sel_hi:[0,1,0]
	v_lshlrev_b32_e32 v1, 16, v10
	v_and_b32_e32 v10, 0xffff, v46
	v_and_b32_e32 v48, 0xffff, v41
	v_lshlrev_b32_e32 v40, 16, v43
	v_and_b32_e32 v44, 0xffff, v44
	v_lshlrev_b32_e32 v9, 16, v9
	v_and_b32_e32 v41, 0xffff, v45
	v_or_b32_e32 v43, v1, v10
	v_or_b32_e32 v47, v42, v48
	;; [unrolled: 1-line block ×4, first 2 shown]
	s_and_saveexec_b32 s13, vcc_lo
	s_cbranch_execz .LBB264_418
; %bb.417:                              ;   in Loop: Header=BB264_286 Depth=1
	v_cmp_gt_i32_e64 s0, s11, v27
	v_cndmask_b32_e64 v43, 0, v48, s0
	v_cmp_gt_i32_e64 s0, s11, v33
	v_cndmask_b32_e64 v42, 0, v42, s0
	v_cmp_gt_i32_e64 s0, s11, v32
	v_or_b32_e32 v47, v42, v43
	v_cndmask_b32_e64 v10, 0, v10, s0
	v_cmp_gt_i32_e64 s0, s11, v31
	v_cndmask_b32_e64 v1, 0, v1, s0
	v_cmp_gt_i32_e64 s0, s11, v30
	v_or_b32_e32 v43, v1, v10
	v_cndmask_b32_e64 v44, 0, v44, s0
	v_cmp_gt_i32_e64 s0, s11, v29
	v_cndmask_b32_e64 v40, 0, v40, s0
	v_cmp_gt_i32_e64 s0, s11, v28
	v_or_b32_e32 v46, v40, v44
	v_cndmask_b32_e64 v41, 0, v41, s0
	v_cmp_gt_i32_e64 s0, s11, v21
	v_cndmask_b32_e64 v9, 0, v9, s0
	v_or_b32_e32 v45, v9, v41
.LBB264_418:                            ;   in Loop: Header=BB264_286 Depth=1
	s_or_b32 exec_lo, exec_lo, s13
	;;#ASMSTART
	v_pk_mul_f16 v1, v38, v47;

	;;#ASMEND
	;;#ASMSTART
	v_pk_mul_f16 v9, v36, v43;

	;;#ASMEND
	;; [unrolled: 4-line block ×4, first 2 shown]
	;;#ASMSTART
	v_pk_add_f16 v1, v1, v9;

	;;#ASMEND
	;;#ASMSTART
	v_pk_add_f16 v1, v1, v10;

	;;#ASMEND
	;; [unrolled: 4-line block ×3, first 2 shown]
	v_and_b32_e32 v9, 0xffff, v1
	v_lshrrev_b32_e32 v1, 16, v1
	;;#ASMSTART
	v_cvt_f32_f16 v40, v9;
	;;#ASMEND
	;;#ASMSTART
	v_cvt_f32_f16 v41, v1;
	;;#ASMEND
	global_load_dwordx2 v[9:10], v[7:8], off offset:512
	v_mov_b32_e32 v43, 0
	v_mov_b32_e32 v44, 0
	global_load_dword v42, v43, s[14:15]
	s_waitcnt vmcnt(1)
	v_cmp_ne_u16_sdwa s0, v9, v2 src0_sel:BYTE_0 src1_sel:DWORD
	s_and_saveexec_b32 s13, s0
	s_cbranch_execz .LBB264_426
; %bb.419:                              ;   in Loop: Header=BB264_286 Depth=1
	v_cmp_ne_u16_sdwa s0, v9, v22 src0_sel:BYTE_0 src1_sel:DWORD
	v_mov_b32_e32 v44, 0x8000
	s_and_saveexec_b32 s17, s0
	s_cbranch_execz .LBB264_425
; %bb.420:                              ;   in Loop: Header=BB264_286 Depth=1
	v_and_b32_e32 v45, 0x7f, v9
	v_mov_b32_e32 v44, 0x7c01
	s_mov_b32 s18, exec_lo
	v_cmpx_ne_u32_e32 0x7f, v45
	s_cbranch_execz .LBB264_424
; %bb.421:                              ;   in Loop: Header=BB264_286 Depth=1
	v_and_b32_e32 v1, 7, v9
	v_lshrrev_b32_e32 v44, 3, v45
	s_mov_b32 s19, exec_lo
	v_cmpx_gt_u32_e32 8, v45
; %bb.422:                              ;   in Loop: Header=BB264_286 Depth=1
	v_ffbh_u32_e32 v1, v1
	v_min_u32_e32 v1, 32, v1
	v_subrev_nc_u32_e32 v44, 28, v1
	v_lshlrev_b64 v[45:46], v44, v[9:10]
	v_sub_nc_u32_e32 v44, 29, v1
	v_and_b32_e32 v1, 7, v45
; %bb.423:                              ;   in Loop: Header=BB264_286 Depth=1
	s_or_b32 exec_lo, exec_lo, s19
	v_lshlrev_b32_e32 v45, 8, v9
	v_lshl_add_u32 v44, v44, 10, 0x2000
	v_lshlrev_b32_e32 v1, 7, v1
	v_and_b32_e32 v45, 0x8000, v45
	v_and_b32_e32 v44, 0xfc00, v44
	v_or3_b32 v44, v45, v44, v1
.LBB264_424:                            ;   in Loop: Header=BB264_286 Depth=1
	s_or_b32 exec_lo, exec_lo, s18
.LBB264_425:                            ;   in Loop: Header=BB264_286 Depth=1
	s_or_b32 exec_lo, exec_lo, s17
.LBB264_426:                            ;   in Loop: Header=BB264_286 Depth=1
	s_or_b32 exec_lo, exec_lo, s13
	v_lshrrev_b16 v1, 8, v9
	s_mov_b32 s13, exec_lo
	v_cmpx_ne_u16_e32 0, v1
	s_cbranch_execz .LBB264_434
; %bb.427:                              ;   in Loop: Header=BB264_286 Depth=1
	v_bfrev_b32_e32 v43, 1
	s_mov_b32 s17, exec_lo
	v_cmpx_ne_u16_e32 0x80, v1
	s_cbranch_execz .LBB264_433
; %bb.428:                              ;   in Loop: Header=BB264_286 Depth=1
	v_and_b32_sdwa v46, v1, v23 dst_sel:DWORD dst_unused:UNUSED_PAD src0_sel:WORD_0 src1_sel:DWORD
	v_mov_b32_e32 v43, 0x7c010000
	s_mov_b32 s18, exec_lo
	v_cmpx_ne_u32_e32 0x7f, v46
	s_cbranch_execz .LBB264_432
; %bb.429:                              ;   in Loop: Header=BB264_286 Depth=1
	v_and_b32_sdwa v43, v1, v24 dst_sel:DWORD dst_unused:UNUSED_PAD src0_sel:WORD_0 src1_sel:DWORD
	v_lshrrev_b32_e32 v45, 3, v46
	s_mov_b32 s19, exec_lo
	v_cmpx_gt_u32_e32 8, v46
; %bb.430:                              ;   in Loop: Header=BB264_286 Depth=1
	v_ffbh_u32_e32 v43, v43
	v_min_u32_e32 v43, 32, v43
	v_subrev_nc_u32_e32 v45, 28, v43
	v_lshlrev_b64 v[46:47], v45, v[1:2]
	v_sub_nc_u32_e32 v45, 29, v43
	v_and_b32_e32 v43, 7, v46
; %bb.431:                              ;   in Loop: Header=BB264_286 Depth=1
	s_or_b32 exec_lo, exec_lo, s19
	v_lshlrev_b32_sdwa v1, v25, v1 dst_sel:DWORD dst_unused:UNUSED_PAD src0_sel:DWORD src1_sel:WORD_0
	v_lshl_add_u32 v45, v45, 10, 0x2000
	v_lshlrev_b32_e32 v43, 23, v43
	v_and_or_b32 v1, 0x8000, v1, v45
	v_lshl_or_b32 v43, v1, 16, v43
.LBB264_432:                            ;   in Loop: Header=BB264_286 Depth=1
	s_or_b32 exec_lo, exec_lo, s18
.LBB264_433:                            ;   in Loop: Header=BB264_286 Depth=1
	s_or_b32 exec_lo, exec_lo, s17
.LBB264_434:                            ;   in Loop: Header=BB264_286 Depth=1
	s_or_b32 exec_lo, exec_lo, s13
	v_lshrrev_b32_e32 v1, 16, v9
	v_mov_b32_e32 v45, 0
	v_mov_b32_e32 v46, 0
	v_cmp_ne_u16_sdwa s0, v1, v2 src0_sel:BYTE_0 src1_sel:DWORD
	s_and_saveexec_b32 s13, s0
	s_cbranch_execz .LBB264_442
; %bb.435:                              ;   in Loop: Header=BB264_286 Depth=1
	v_cmp_ne_u16_sdwa s0, v1, v22 src0_sel:BYTE_0 src1_sel:DWORD
	v_mov_b32_e32 v46, 0x8000
	s_and_saveexec_b32 s17, s0
	s_cbranch_execz .LBB264_441
; %bb.436:                              ;   in Loop: Header=BB264_286 Depth=1
	v_bfe_u32 v48, v9, 16, 7
	v_mov_b32_e32 v46, 0x7c01
	s_mov_b32 s18, exec_lo
	v_cmpx_ne_u32_e32 0x7f, v48
	s_cbranch_execz .LBB264_440
; %bb.437:                              ;   in Loop: Header=BB264_286 Depth=1
	v_and_b32_e32 v46, 7, v1
	v_lshrrev_b32_e32 v47, 3, v48
	s_mov_b32 s19, exec_lo
	v_cmpx_gt_u32_e32 8, v48
; %bb.438:                              ;   in Loop: Header=BB264_286 Depth=1
	v_ffbh_u32_e32 v46, v46
	v_min_u32_e32 v48, 32, v46
	v_subrev_nc_u32_e32 v46, 28, v48
	v_lshlrev_b64 v[46:47], v46, v[1:2]
	v_sub_nc_u32_e32 v47, 29, v48
	v_and_b32_e32 v46, 7, v46
; %bb.439:                              ;   in Loop: Header=BB264_286 Depth=1
	s_or_b32 exec_lo, exec_lo, s19
	v_lshlrev_b32_e32 v1, 8, v1
	v_lshl_add_u32 v47, v47, 10, 0x2000
	v_lshlrev_b32_e32 v46, 7, v46
	v_and_b32_e32 v1, 0x8000, v1
	v_and_b32_e32 v47, 0xfc00, v47
	v_or3_b32 v46, v1, v47, v46
.LBB264_440:                            ;   in Loop: Header=BB264_286 Depth=1
	s_or_b32 exec_lo, exec_lo, s18
.LBB264_441:                            ;   in Loop: Header=BB264_286 Depth=1
	s_or_b32 exec_lo, exec_lo, s17
.LBB264_442:                            ;   in Loop: Header=BB264_286 Depth=1
	s_or_b32 exec_lo, exec_lo, s13
	s_mov_b32 s13, exec_lo
	v_cmpx_lt_u32_e32 0xffffff, v9
	s_cbranch_execz .LBB264_450
; %bb.443:                              ;   in Loop: Header=BB264_286 Depth=1
	v_lshrrev_b32_e32 v1, 24, v9
	v_bfrev_b32_e32 v45, 1
	s_mov_b32 s17, exec_lo
	v_cmpx_ne_u32_e32 0x80, v1
	s_cbranch_execz .LBB264_449
; %bb.444:                              ;   in Loop: Header=BB264_286 Depth=1
	v_and_b32_e32 v48, 0x7f, v1
	v_mov_b32_e32 v45, 0x7c010000
	s_mov_b32 s18, exec_lo
	v_cmpx_ne_u32_e32 0x7f, v48
	s_cbranch_execz .LBB264_448
; %bb.445:                              ;   in Loop: Header=BB264_286 Depth=1
	v_and_b32_e32 v45, 7, v1
	v_lshrrev_b32_e32 v47, 3, v48
	s_mov_b32 s19, exec_lo
	v_cmpx_gt_u32_e32 8, v48
; %bb.446:                              ;   in Loop: Header=BB264_286 Depth=1
	v_ffbh_u32_e32 v45, v45
	v_min_u32_e32 v45, 32, v45
	v_subrev_nc_u32_e32 v47, 28, v45
	v_lshlrev_b64 v[48:49], v47, v[1:2]
	v_sub_nc_u32_e32 v47, 29, v45
	v_and_b32_e32 v45, 7, v48
; %bb.447:                              ;   in Loop: Header=BB264_286 Depth=1
	s_or_b32 exec_lo, exec_lo, s19
	v_lshlrev_b32_e32 v1, 8, v1
	v_lshl_add_u32 v47, v47, 10, 0x2000
	v_lshlrev_b32_e32 v45, 23, v45
	v_and_or_b32 v1, 0x8000, v1, v47
	v_lshl_or_b32 v45, v1, 16, v45
.LBB264_448:                            ;   in Loop: Header=BB264_286 Depth=1
	s_or_b32 exec_lo, exec_lo, s18
.LBB264_449:                            ;   in Loop: Header=BB264_286 Depth=1
	s_or_b32 exec_lo, exec_lo, s17
.LBB264_450:                            ;   in Loop: Header=BB264_286 Depth=1
	s_or_b32 exec_lo, exec_lo, s13
	v_mov_b32_e32 v1, v10
	v_cmp_ne_u16_sdwa s0, v10, v2 src0_sel:BYTE_0 src1_sel:DWORD
	v_mov_b32_e32 v47, 0
	v_mov_b32_e32 v48, 0
	s_and_saveexec_b32 s13, s0
	s_cbranch_execz .LBB264_458
; %bb.451:                              ;   in Loop: Header=BB264_286 Depth=1
	v_cmp_ne_u16_sdwa s0, v10, v22 src0_sel:BYTE_0 src1_sel:DWORD
	v_mov_b32_e32 v48, 0x8000
	s_and_saveexec_b32 s17, s0
	s_cbranch_execz .LBB264_457
; %bb.452:                              ;   in Loop: Header=BB264_286 Depth=1
	v_and_b32_e32 v50, 0x7f, v10
	v_mov_b32_e32 v48, 0x7c01
	s_mov_b32 s18, exec_lo
	v_cmpx_ne_u32_e32 0x7f, v50
	s_cbranch_execz .LBB264_456
; %bb.453:                              ;   in Loop: Header=BB264_286 Depth=1
	v_and_b32_e32 v48, 7, v10
	v_lshrrev_b32_e32 v49, 3, v50
	s_mov_b32 s19, exec_lo
	v_cmpx_gt_u32_e32 8, v50
; %bb.454:                              ;   in Loop: Header=BB264_286 Depth=1
	v_ffbh_u32_e32 v48, v48
	v_min_u32_e32 v50, 32, v48
	v_subrev_nc_u32_e32 v48, 28, v50
	v_lshlrev_b64 v[48:49], v48, v[1:2]
	v_sub_nc_u32_e32 v49, 29, v50
	v_and_b32_e32 v48, 7, v48
; %bb.455:                              ;   in Loop: Header=BB264_286 Depth=1
	s_or_b32 exec_lo, exec_lo, s19
	v_lshlrev_b32_e32 v50, 8, v10
	v_lshl_add_u32 v49, v49, 10, 0x2000
	v_lshlrev_b32_e32 v48, 7, v48
	v_and_b32_e32 v50, 0x8000, v50
	v_and_b32_e32 v49, 0xfc00, v49
	v_or3_b32 v48, v50, v49, v48
.LBB264_456:                            ;   in Loop: Header=BB264_286 Depth=1
	s_or_b32 exec_lo, exec_lo, s18
.LBB264_457:                            ;   in Loop: Header=BB264_286 Depth=1
	s_or_b32 exec_lo, exec_lo, s17
.LBB264_458:                            ;   in Loop: Header=BB264_286 Depth=1
	s_or_b32 exec_lo, exec_lo, s13
	v_lshrrev_b16 v1, 8, v1
	v_mov_b32_e32 v49, 0
	s_mov_b32 s13, exec_lo
	v_cmpx_ne_u16_e32 0, v1
	s_cbranch_execz .LBB264_466
; %bb.459:                              ;   in Loop: Header=BB264_286 Depth=1
	v_bfrev_b32_e32 v49, 1
	s_mov_b32 s17, exec_lo
	v_cmpx_ne_u16_e32 0x80, v1
	s_cbranch_execz .LBB264_465
; %bb.460:                              ;   in Loop: Header=BB264_286 Depth=1
	v_and_b32_sdwa v51, v1, v23 dst_sel:DWORD dst_unused:UNUSED_PAD src0_sel:WORD_0 src1_sel:DWORD
	v_mov_b32_e32 v49, 0x7c010000
	s_mov_b32 s18, exec_lo
	v_cmpx_ne_u32_e32 0x7f, v51
	s_cbranch_execz .LBB264_464
; %bb.461:                              ;   in Loop: Header=BB264_286 Depth=1
	v_and_b32_sdwa v49, v1, v24 dst_sel:DWORD dst_unused:UNUSED_PAD src0_sel:WORD_0 src1_sel:DWORD
	v_lshrrev_b32_e32 v50, 3, v51
	s_mov_b32 s19, exec_lo
	v_cmpx_gt_u32_e32 8, v51
; %bb.462:                              ;   in Loop: Header=BB264_286 Depth=1
	v_ffbh_u32_e32 v49, v49
	v_min_u32_e32 v51, 32, v49
	v_subrev_nc_u32_e32 v49, 28, v51
	v_lshlrev_b64 v[49:50], v49, v[1:2]
	v_sub_nc_u32_e32 v50, 29, v51
	v_and_b32_e32 v49, 7, v49
; %bb.463:                              ;   in Loop: Header=BB264_286 Depth=1
	s_or_b32 exec_lo, exec_lo, s19
	v_lshlrev_b32_sdwa v1, v25, v1 dst_sel:DWORD dst_unused:UNUSED_PAD src0_sel:DWORD src1_sel:WORD_0
	v_lshl_add_u32 v50, v50, 10, 0x2000
	v_lshlrev_b32_e32 v49, 23, v49
	v_and_or_b32 v1, 0x8000, v1, v50
	v_lshl_or_b32 v49, v1, 16, v49
.LBB264_464:                            ;   in Loop: Header=BB264_286 Depth=1
	s_or_b32 exec_lo, exec_lo, s18
.LBB264_465:                            ;   in Loop: Header=BB264_286 Depth=1
	s_or_b32 exec_lo, exec_lo, s17
.LBB264_466:                            ;   in Loop: Header=BB264_286 Depth=1
	s_or_b32 exec_lo, exec_lo, s13
	v_lshrrev_b32_e32 v1, 16, v10
	v_cmp_ne_u16_sdwa s0, v1, v2 src0_sel:BYTE_0 src1_sel:DWORD
	s_and_saveexec_b32 s13, s0
	s_cbranch_execz .LBB264_474
; %bb.467:                              ;   in Loop: Header=BB264_286 Depth=1
	v_cmp_ne_u16_sdwa s0, v1, v22 src0_sel:BYTE_0 src1_sel:DWORD
	v_mov_b32_e32 v47, 0x8000
	s_and_saveexec_b32 s17, s0
	s_cbranch_execz .LBB264_473
; %bb.468:                              ;   in Loop: Header=BB264_286 Depth=1
	v_bfe_u32 v51, v10, 16, 7
	v_mov_b32_e32 v47, 0x7c01
	s_mov_b32 s18, exec_lo
	v_cmpx_ne_u32_e32 0x7f, v51
	s_cbranch_execz .LBB264_472
; %bb.469:                              ;   in Loop: Header=BB264_286 Depth=1
	v_and_b32_e32 v47, 7, v1
	v_lshrrev_b32_e32 v50, 3, v51
	s_mov_b32 s19, exec_lo
	v_cmpx_gt_u32_e32 8, v51
; %bb.470:                              ;   in Loop: Header=BB264_286 Depth=1
	v_ffbh_u32_e32 v47, v47
	v_min_u32_e32 v47, 32, v47
	v_subrev_nc_u32_e32 v50, 28, v47
	v_lshlrev_b64 v[51:52], v50, v[1:2]
	v_sub_nc_u32_e32 v50, 29, v47
	v_and_b32_e32 v47, 7, v51
; %bb.471:                              ;   in Loop: Header=BB264_286 Depth=1
	s_or_b32 exec_lo, exec_lo, s19
	v_lshlrev_b32_e32 v1, 8, v1
	v_lshl_add_u32 v50, v50, 10, 0x2000
	v_lshlrev_b32_e32 v47, 7, v47
	v_and_b32_e32 v1, 0x8000, v1
	v_and_b32_e32 v50, 0xfc00, v50
	v_or3_b32 v47, v1, v50, v47
.LBB264_472:                            ;   in Loop: Header=BB264_286 Depth=1
	s_or_b32 exec_lo, exec_lo, s18
.LBB264_473:                            ;   in Loop: Header=BB264_286 Depth=1
	s_or_b32 exec_lo, exec_lo, s17
.LBB264_474:                            ;   in Loop: Header=BB264_286 Depth=1
	s_or_b32 exec_lo, exec_lo, s13
	v_cmp_lt_u64_e64 s0, s[2:3], v[9:10]
	v_mov_b32_e32 v9, 0
	s_and_saveexec_b32 s13, s0
	s_cbranch_execz .LBB264_482
; %bb.475:                              ;   in Loop: Header=BB264_286 Depth=1
	v_lshrrev_b32_e32 v1, 24, v10
	v_bfrev_b32_e32 v9, 1
	s_mov_b32 s17, exec_lo
	v_cmpx_ne_u32_e32 0x80, v1
	s_cbranch_execz .LBB264_481
; %bb.476:                              ;   in Loop: Header=BB264_286 Depth=1
	v_and_b32_e32 v50, 0x7f, v1
	v_mov_b32_e32 v9, 0x7c010000
	s_mov_b32 s18, exec_lo
	v_cmpx_ne_u32_e32 0x7f, v50
	s_cbranch_execz .LBB264_480
; %bb.477:                              ;   in Loop: Header=BB264_286 Depth=1
	v_and_b32_e32 v9, 7, v1
	v_lshrrev_b32_e32 v10, 3, v50
	s_mov_b32 s19, exec_lo
	v_cmpx_gt_u32_e32 8, v50
; %bb.478:                              ;   in Loop: Header=BB264_286 Depth=1
	v_ffbh_u32_e32 v9, v9
	v_min_u32_e32 v50, 32, v9
	v_subrev_nc_u32_e32 v9, 28, v50
	v_lshlrev_b64 v[9:10], v9, v[1:2]
	v_sub_nc_u32_e32 v10, 29, v50
	v_and_b32_e32 v9, 7, v9
; %bb.479:                              ;   in Loop: Header=BB264_286 Depth=1
	s_or_b32 exec_lo, exec_lo, s19
	v_lshlrev_b32_e32 v1, 8, v1
	v_lshl_add_u32 v10, v10, 10, 0x2000
	v_lshlrev_b32_e32 v9, 23, v9
	v_and_or_b32 v1, 0x8000, v1, v10
	v_lshl_or_b32 v9, v1, 16, v9
.LBB264_480:                            ;   in Loop: Header=BB264_286 Depth=1
	s_or_b32 exec_lo, exec_lo, s18
.LBB264_481:                            ;   in Loop: Header=BB264_286 Depth=1
	s_or_b32 exec_lo, exec_lo, s17
.LBB264_482:                            ;   in Loop: Header=BB264_286 Depth=1
	s_or_b32 exec_lo, exec_lo, s13
	v_or_b32_e32 v1, v45, v46
	s_waitcnt vmcnt(0)
	v_fma_mixlo_f16 v10, v42, v45, 0 op_sel:[0,1,0] op_sel_hi:[0,1,0]
	v_or_b32_e32 v45, v43, v44
	v_fma_mixlo_f16 v43, v42, v43, 0 op_sel:[0,1,0] op_sel_hi:[0,1,0]
	v_or_b32_e32 v46, v49, v48
	v_or_b32_e32 v47, v9, v47
	v_fma_mixlo_f16 v48, v42, v1, 0 op_sel_hi:[0,1,0]
	v_fma_mixlo_f16 v9, v42, v9, 0 op_sel:[0,1,0] op_sel_hi:[0,1,0]
	v_lshlrev_b32_e32 v44, 16, v43
	v_fma_mixlo_f16 v43, v42, v45, 0 op_sel_hi:[0,1,0]
	v_fma_mixlo_f16 v45, v42, v49, 0 op_sel:[0,1,0] op_sel_hi:[0,1,0]
	v_fma_mixlo_f16 v46, v42, v46, 0 op_sel_hi:[0,1,0]
	v_fma_mixlo_f16 v47, v42, v47, 0 op_sel_hi:[0,1,0]
	v_lshlrev_b32_e32 v1, 16, v10
	v_and_b32_e32 v10, 0xffff, v48
	v_and_b32_e32 v50, 0xffff, v43
	v_lshlrev_b32_e32 v42, 16, v45
	v_and_b32_e32 v46, 0xffff, v46
	v_lshlrev_b32_e32 v9, 16, v9
	v_and_b32_e32 v43, 0xffff, v47
	v_or_b32_e32 v45, v1, v10
	v_or_b32_e32 v49, v44, v50
	;; [unrolled: 1-line block ×4, first 2 shown]
	s_and_saveexec_b32 s13, vcc_lo
	s_cbranch_execz .LBB264_484
; %bb.483:                              ;   in Loop: Header=BB264_286 Depth=1
	v_cmp_gt_i32_e64 s0, s11, v27
	v_cndmask_b32_e64 v45, 0, v50, s0
	v_cmp_gt_i32_e64 s0, s11, v33
	v_cndmask_b32_e64 v44, 0, v44, s0
	v_cmp_gt_i32_e64 s0, s11, v32
	v_or_b32_e32 v49, v44, v45
	v_cndmask_b32_e64 v10, 0, v10, s0
	v_cmp_gt_i32_e64 s0, s11, v31
	v_cndmask_b32_e64 v1, 0, v1, s0
	v_cmp_gt_i32_e64 s0, s11, v30
	v_or_b32_e32 v45, v1, v10
	;; [unrolled: 5-line block ×3, first 2 shown]
	v_cndmask_b32_e64 v43, 0, v43, s0
	v_cmp_gt_i32_e64 s0, s11, v21
	v_cndmask_b32_e64 v9, 0, v9, s0
	v_or_b32_e32 v47, v9, v43
.LBB264_484:                            ;   in Loop: Header=BB264_286 Depth=1
	s_or_b32 exec_lo, exec_lo, s13
	;;#ASMSTART
	v_pk_mul_f16 v1, v38, v49;

	;;#ASMEND
	;;#ASMSTART
	v_pk_mul_f16 v9, v36, v45;

	;;#ASMEND
	;;#ASMSTART
	v_pk_mul_f16 v10, v35, v48;

	;;#ASMEND
	;;#ASMSTART
	v_pk_mul_f16 v42, v34, v47;

	;;#ASMEND
	;;#ASMSTART
	v_pk_add_f16 v1, v1, v9;

	;;#ASMEND
	;;#ASMSTART
	v_pk_add_f16 v1, v1, v10;

	;;#ASMEND
	;; [unrolled: 4-line block ×3, first 2 shown]
	v_and_b32_e32 v9, 0xffff, v1
	v_lshrrev_b32_e32 v1, 16, v1
	;;#ASMSTART
	v_cvt_f32_f16 v9, v9;
	;;#ASMEND
	;;#ASMSTART
	v_cvt_f32_f16 v10, v1;
	;;#ASMEND
	global_load_dwordx2 v[7:8], v[7:8], off offset:768
	v_mov_b32_e32 v43, 0
	v_mov_b32_e32 v44, 0
	global_load_dword v42, v43, s[14:15]
	s_waitcnt vmcnt(1)
	v_cmp_ne_u16_sdwa s0, v7, v2 src0_sel:BYTE_0 src1_sel:DWORD
	s_and_saveexec_b32 s13, s0
	s_cbranch_execz .LBB264_492
; %bb.485:                              ;   in Loop: Header=BB264_286 Depth=1
	v_cmp_ne_u16_sdwa s0, v7, v22 src0_sel:BYTE_0 src1_sel:DWORD
	v_mov_b32_e32 v44, 0x8000
	s_and_saveexec_b32 s17, s0
	s_cbranch_execz .LBB264_491
; %bb.486:                              ;   in Loop: Header=BB264_286 Depth=1
	v_and_b32_e32 v45, 0x7f, v7
	v_mov_b32_e32 v44, 0x7c01
	s_mov_b32 s18, exec_lo
	v_cmpx_ne_u32_e32 0x7f, v45
	s_cbranch_execz .LBB264_490
; %bb.487:                              ;   in Loop: Header=BB264_286 Depth=1
	v_and_b32_e32 v1, 7, v7
	v_lshrrev_b32_e32 v44, 3, v45
	s_mov_b32 s19, exec_lo
	v_cmpx_gt_u32_e32 8, v45
; %bb.488:                              ;   in Loop: Header=BB264_286 Depth=1
	v_ffbh_u32_e32 v1, v1
	v_min_u32_e32 v1, 32, v1
	v_subrev_nc_u32_e32 v44, 28, v1
	v_lshlrev_b64 v[45:46], v44, v[7:8]
	v_sub_nc_u32_e32 v44, 29, v1
	v_and_b32_e32 v1, 7, v45
; %bb.489:                              ;   in Loop: Header=BB264_286 Depth=1
	s_or_b32 exec_lo, exec_lo, s19
	v_lshlrev_b32_e32 v45, 8, v7
	v_lshl_add_u32 v44, v44, 10, 0x2000
	v_lshlrev_b32_e32 v1, 7, v1
	v_and_b32_e32 v45, 0x8000, v45
	v_and_b32_e32 v44, 0xfc00, v44
	v_or3_b32 v44, v45, v44, v1
.LBB264_490:                            ;   in Loop: Header=BB264_286 Depth=1
	s_or_b32 exec_lo, exec_lo, s18
.LBB264_491:                            ;   in Loop: Header=BB264_286 Depth=1
	s_or_b32 exec_lo, exec_lo, s17
.LBB264_492:                            ;   in Loop: Header=BB264_286 Depth=1
	s_or_b32 exec_lo, exec_lo, s13
	v_lshrrev_b16 v1, 8, v7
	s_mov_b32 s13, exec_lo
	v_cmpx_ne_u16_e32 0, v1
	s_cbranch_execz .LBB264_500
; %bb.493:                              ;   in Loop: Header=BB264_286 Depth=1
	v_bfrev_b32_e32 v43, 1
	s_mov_b32 s17, exec_lo
	v_cmpx_ne_u16_e32 0x80, v1
	s_cbranch_execz .LBB264_499
; %bb.494:                              ;   in Loop: Header=BB264_286 Depth=1
	v_and_b32_sdwa v46, v1, v23 dst_sel:DWORD dst_unused:UNUSED_PAD src0_sel:WORD_0 src1_sel:DWORD
	v_mov_b32_e32 v43, 0x7c010000
	s_mov_b32 s18, exec_lo
	v_cmpx_ne_u32_e32 0x7f, v46
	s_cbranch_execz .LBB264_498
; %bb.495:                              ;   in Loop: Header=BB264_286 Depth=1
	v_and_b32_sdwa v43, v1, v24 dst_sel:DWORD dst_unused:UNUSED_PAD src0_sel:WORD_0 src1_sel:DWORD
	v_lshrrev_b32_e32 v45, 3, v46
	s_mov_b32 s19, exec_lo
	v_cmpx_gt_u32_e32 8, v46
; %bb.496:                              ;   in Loop: Header=BB264_286 Depth=1
	v_ffbh_u32_e32 v43, v43
	v_min_u32_e32 v43, 32, v43
	v_subrev_nc_u32_e32 v45, 28, v43
	v_lshlrev_b64 v[46:47], v45, v[1:2]
	v_sub_nc_u32_e32 v45, 29, v43
	v_and_b32_e32 v43, 7, v46
; %bb.497:                              ;   in Loop: Header=BB264_286 Depth=1
	s_or_b32 exec_lo, exec_lo, s19
	v_lshlrev_b32_sdwa v1, v25, v1 dst_sel:DWORD dst_unused:UNUSED_PAD src0_sel:DWORD src1_sel:WORD_0
	v_lshl_add_u32 v45, v45, 10, 0x2000
	v_lshlrev_b32_e32 v43, 23, v43
	v_and_or_b32 v1, 0x8000, v1, v45
	v_lshl_or_b32 v43, v1, 16, v43
.LBB264_498:                            ;   in Loop: Header=BB264_286 Depth=1
	s_or_b32 exec_lo, exec_lo, s18
.LBB264_499:                            ;   in Loop: Header=BB264_286 Depth=1
	s_or_b32 exec_lo, exec_lo, s17
.LBB264_500:                            ;   in Loop: Header=BB264_286 Depth=1
	s_or_b32 exec_lo, exec_lo, s13
	v_lshrrev_b32_e32 v1, 16, v7
	v_mov_b32_e32 v45, 0
	v_mov_b32_e32 v46, 0
	v_cmp_ne_u16_sdwa s0, v1, v2 src0_sel:BYTE_0 src1_sel:DWORD
	s_and_saveexec_b32 s13, s0
	s_cbranch_execz .LBB264_508
; %bb.501:                              ;   in Loop: Header=BB264_286 Depth=1
	v_cmp_ne_u16_sdwa s0, v1, v22 src0_sel:BYTE_0 src1_sel:DWORD
	v_mov_b32_e32 v46, 0x8000
	s_and_saveexec_b32 s17, s0
	s_cbranch_execz .LBB264_507
; %bb.502:                              ;   in Loop: Header=BB264_286 Depth=1
	v_bfe_u32 v48, v7, 16, 7
	v_mov_b32_e32 v46, 0x7c01
	s_mov_b32 s18, exec_lo
	v_cmpx_ne_u32_e32 0x7f, v48
	s_cbranch_execz .LBB264_506
; %bb.503:                              ;   in Loop: Header=BB264_286 Depth=1
	v_and_b32_e32 v46, 7, v1
	v_lshrrev_b32_e32 v47, 3, v48
	s_mov_b32 s19, exec_lo
	v_cmpx_gt_u32_e32 8, v48
; %bb.504:                              ;   in Loop: Header=BB264_286 Depth=1
	v_ffbh_u32_e32 v46, v46
	v_min_u32_e32 v48, 32, v46
	v_subrev_nc_u32_e32 v46, 28, v48
	v_lshlrev_b64 v[46:47], v46, v[1:2]
	v_sub_nc_u32_e32 v47, 29, v48
	v_and_b32_e32 v46, 7, v46
; %bb.505:                              ;   in Loop: Header=BB264_286 Depth=1
	s_or_b32 exec_lo, exec_lo, s19
	v_lshlrev_b32_e32 v1, 8, v1
	v_lshl_add_u32 v47, v47, 10, 0x2000
	v_lshlrev_b32_e32 v46, 7, v46
	v_and_b32_e32 v1, 0x8000, v1
	v_and_b32_e32 v47, 0xfc00, v47
	v_or3_b32 v46, v1, v47, v46
.LBB264_506:                            ;   in Loop: Header=BB264_286 Depth=1
	s_or_b32 exec_lo, exec_lo, s18
.LBB264_507:                            ;   in Loop: Header=BB264_286 Depth=1
	s_or_b32 exec_lo, exec_lo, s17
.LBB264_508:                            ;   in Loop: Header=BB264_286 Depth=1
	s_or_b32 exec_lo, exec_lo, s13
	s_mov_b32 s13, exec_lo
	v_cmpx_lt_u32_e32 0xffffff, v7
	s_cbranch_execz .LBB264_516
; %bb.509:                              ;   in Loop: Header=BB264_286 Depth=1
	v_lshrrev_b32_e32 v1, 24, v7
	v_bfrev_b32_e32 v45, 1
	s_mov_b32 s17, exec_lo
	v_cmpx_ne_u32_e32 0x80, v1
	s_cbranch_execz .LBB264_515
; %bb.510:                              ;   in Loop: Header=BB264_286 Depth=1
	v_and_b32_e32 v48, 0x7f, v1
	v_mov_b32_e32 v45, 0x7c010000
	s_mov_b32 s18, exec_lo
	v_cmpx_ne_u32_e32 0x7f, v48
	s_cbranch_execz .LBB264_514
; %bb.511:                              ;   in Loop: Header=BB264_286 Depth=1
	v_and_b32_e32 v45, 7, v1
	v_lshrrev_b32_e32 v47, 3, v48
	s_mov_b32 s19, exec_lo
	v_cmpx_gt_u32_e32 8, v48
; %bb.512:                              ;   in Loop: Header=BB264_286 Depth=1
	v_ffbh_u32_e32 v45, v45
	v_min_u32_e32 v45, 32, v45
	v_subrev_nc_u32_e32 v47, 28, v45
	v_lshlrev_b64 v[48:49], v47, v[1:2]
	v_sub_nc_u32_e32 v47, 29, v45
	v_and_b32_e32 v45, 7, v48
; %bb.513:                              ;   in Loop: Header=BB264_286 Depth=1
	s_or_b32 exec_lo, exec_lo, s19
	v_lshlrev_b32_e32 v1, 8, v1
	v_lshl_add_u32 v47, v47, 10, 0x2000
	v_lshlrev_b32_e32 v45, 23, v45
	v_and_or_b32 v1, 0x8000, v1, v47
	v_lshl_or_b32 v45, v1, 16, v45
.LBB264_514:                            ;   in Loop: Header=BB264_286 Depth=1
	s_or_b32 exec_lo, exec_lo, s18
.LBB264_515:                            ;   in Loop: Header=BB264_286 Depth=1
	s_or_b32 exec_lo, exec_lo, s17
.LBB264_516:                            ;   in Loop: Header=BB264_286 Depth=1
	s_or_b32 exec_lo, exec_lo, s13
	v_mov_b32_e32 v1, v8
	v_cmp_ne_u16_sdwa s0, v8, v2 src0_sel:BYTE_0 src1_sel:DWORD
	v_mov_b32_e32 v47, 0
	v_mov_b32_e32 v48, 0
	s_and_saveexec_b32 s13, s0
	s_cbranch_execz .LBB264_524
; %bb.517:                              ;   in Loop: Header=BB264_286 Depth=1
	v_cmp_ne_u16_sdwa s0, v8, v22 src0_sel:BYTE_0 src1_sel:DWORD
	v_mov_b32_e32 v48, 0x8000
	s_and_saveexec_b32 s17, s0
	s_cbranch_execz .LBB264_523
; %bb.518:                              ;   in Loop: Header=BB264_286 Depth=1
	v_and_b32_e32 v50, 0x7f, v8
	v_mov_b32_e32 v48, 0x7c01
	s_mov_b32 s18, exec_lo
	v_cmpx_ne_u32_e32 0x7f, v50
	s_cbranch_execz .LBB264_522
; %bb.519:                              ;   in Loop: Header=BB264_286 Depth=1
	v_and_b32_e32 v48, 7, v8
	v_lshrrev_b32_e32 v49, 3, v50
	s_mov_b32 s19, exec_lo
	v_cmpx_gt_u32_e32 8, v50
; %bb.520:                              ;   in Loop: Header=BB264_286 Depth=1
	v_ffbh_u32_e32 v48, v48
	v_min_u32_e32 v50, 32, v48
	v_subrev_nc_u32_e32 v48, 28, v50
	v_lshlrev_b64 v[48:49], v48, v[1:2]
	v_sub_nc_u32_e32 v49, 29, v50
	v_and_b32_e32 v48, 7, v48
; %bb.521:                              ;   in Loop: Header=BB264_286 Depth=1
	s_or_b32 exec_lo, exec_lo, s19
	v_lshlrev_b32_e32 v50, 8, v8
	v_lshl_add_u32 v49, v49, 10, 0x2000
	v_lshlrev_b32_e32 v48, 7, v48
	v_and_b32_e32 v50, 0x8000, v50
	v_and_b32_e32 v49, 0xfc00, v49
	v_or3_b32 v48, v50, v49, v48
.LBB264_522:                            ;   in Loop: Header=BB264_286 Depth=1
	s_or_b32 exec_lo, exec_lo, s18
.LBB264_523:                            ;   in Loop: Header=BB264_286 Depth=1
	s_or_b32 exec_lo, exec_lo, s17
.LBB264_524:                            ;   in Loop: Header=BB264_286 Depth=1
	s_or_b32 exec_lo, exec_lo, s13
	v_lshrrev_b16 v1, 8, v1
	v_mov_b32_e32 v49, 0
	s_mov_b32 s13, exec_lo
	v_cmpx_ne_u16_e32 0, v1
	s_cbranch_execz .LBB264_532
; %bb.525:                              ;   in Loop: Header=BB264_286 Depth=1
	v_bfrev_b32_e32 v49, 1
	s_mov_b32 s17, exec_lo
	v_cmpx_ne_u16_e32 0x80, v1
	s_cbranch_execz .LBB264_531
; %bb.526:                              ;   in Loop: Header=BB264_286 Depth=1
	v_and_b32_sdwa v51, v1, v23 dst_sel:DWORD dst_unused:UNUSED_PAD src0_sel:WORD_0 src1_sel:DWORD
	v_mov_b32_e32 v49, 0x7c010000
	s_mov_b32 s18, exec_lo
	v_cmpx_ne_u32_e32 0x7f, v51
	s_cbranch_execz .LBB264_530
; %bb.527:                              ;   in Loop: Header=BB264_286 Depth=1
	v_and_b32_sdwa v49, v1, v24 dst_sel:DWORD dst_unused:UNUSED_PAD src0_sel:WORD_0 src1_sel:DWORD
	v_lshrrev_b32_e32 v50, 3, v51
	s_mov_b32 s19, exec_lo
	v_cmpx_gt_u32_e32 8, v51
; %bb.528:                              ;   in Loop: Header=BB264_286 Depth=1
	v_ffbh_u32_e32 v49, v49
	v_min_u32_e32 v51, 32, v49
	v_subrev_nc_u32_e32 v49, 28, v51
	v_lshlrev_b64 v[49:50], v49, v[1:2]
	v_sub_nc_u32_e32 v50, 29, v51
	v_and_b32_e32 v49, 7, v49
; %bb.529:                              ;   in Loop: Header=BB264_286 Depth=1
	s_or_b32 exec_lo, exec_lo, s19
	v_lshlrev_b32_sdwa v1, v25, v1 dst_sel:DWORD dst_unused:UNUSED_PAD src0_sel:DWORD src1_sel:WORD_0
	v_lshl_add_u32 v50, v50, 10, 0x2000
	v_lshlrev_b32_e32 v49, 23, v49
	v_and_or_b32 v1, 0x8000, v1, v50
	v_lshl_or_b32 v49, v1, 16, v49
.LBB264_530:                            ;   in Loop: Header=BB264_286 Depth=1
	s_or_b32 exec_lo, exec_lo, s18
.LBB264_531:                            ;   in Loop: Header=BB264_286 Depth=1
	s_or_b32 exec_lo, exec_lo, s17
.LBB264_532:                            ;   in Loop: Header=BB264_286 Depth=1
	s_or_b32 exec_lo, exec_lo, s13
	v_lshrrev_b32_e32 v1, 16, v8
	v_cmp_ne_u16_sdwa s0, v1, v2 src0_sel:BYTE_0 src1_sel:DWORD
	s_and_saveexec_b32 s13, s0
	s_cbranch_execz .LBB264_540
; %bb.533:                              ;   in Loop: Header=BB264_286 Depth=1
	v_cmp_ne_u16_sdwa s0, v1, v22 src0_sel:BYTE_0 src1_sel:DWORD
	v_mov_b32_e32 v47, 0x8000
	s_and_saveexec_b32 s17, s0
	s_cbranch_execz .LBB264_539
; %bb.534:                              ;   in Loop: Header=BB264_286 Depth=1
	v_bfe_u32 v51, v8, 16, 7
	v_mov_b32_e32 v47, 0x7c01
	s_mov_b32 s18, exec_lo
	v_cmpx_ne_u32_e32 0x7f, v51
	s_cbranch_execz .LBB264_538
; %bb.535:                              ;   in Loop: Header=BB264_286 Depth=1
	v_and_b32_e32 v47, 7, v1
	v_lshrrev_b32_e32 v50, 3, v51
	s_mov_b32 s19, exec_lo
	v_cmpx_gt_u32_e32 8, v51
; %bb.536:                              ;   in Loop: Header=BB264_286 Depth=1
	v_ffbh_u32_e32 v47, v47
	v_min_u32_e32 v47, 32, v47
	v_subrev_nc_u32_e32 v50, 28, v47
	v_lshlrev_b64 v[51:52], v50, v[1:2]
	v_sub_nc_u32_e32 v50, 29, v47
	v_and_b32_e32 v47, 7, v51
; %bb.537:                              ;   in Loop: Header=BB264_286 Depth=1
	s_or_b32 exec_lo, exec_lo, s19
	v_lshlrev_b32_e32 v1, 8, v1
	v_lshl_add_u32 v50, v50, 10, 0x2000
	v_lshlrev_b32_e32 v47, 7, v47
	v_and_b32_e32 v1, 0x8000, v1
	v_and_b32_e32 v50, 0xfc00, v50
	v_or3_b32 v47, v1, v50, v47
.LBB264_538:                            ;   in Loop: Header=BB264_286 Depth=1
	s_or_b32 exec_lo, exec_lo, s18
.LBB264_539:                            ;   in Loop: Header=BB264_286 Depth=1
	s_or_b32 exec_lo, exec_lo, s17
.LBB264_540:                            ;   in Loop: Header=BB264_286 Depth=1
	s_or_b32 exec_lo, exec_lo, s13
	v_cmp_lt_u64_e64 s0, s[2:3], v[7:8]
	v_mov_b32_e32 v7, 0
	s_and_saveexec_b32 s13, s0
	s_cbranch_execz .LBB264_548
; %bb.541:                              ;   in Loop: Header=BB264_286 Depth=1
	v_lshrrev_b32_e32 v1, 24, v8
	v_bfrev_b32_e32 v7, 1
	s_mov_b32 s17, exec_lo
	v_cmpx_ne_u32_e32 0x80, v1
	s_cbranch_execz .LBB264_547
; %bb.542:                              ;   in Loop: Header=BB264_286 Depth=1
	v_and_b32_e32 v50, 0x7f, v1
	v_mov_b32_e32 v7, 0x7c010000
	s_mov_b32 s18, exec_lo
	v_cmpx_ne_u32_e32 0x7f, v50
	s_cbranch_execz .LBB264_546
; %bb.543:                              ;   in Loop: Header=BB264_286 Depth=1
	v_and_b32_e32 v7, 7, v1
	v_lshrrev_b32_e32 v8, 3, v50
	s_mov_b32 s19, exec_lo
	v_cmpx_gt_u32_e32 8, v50
; %bb.544:                              ;   in Loop: Header=BB264_286 Depth=1
	v_ffbh_u32_e32 v7, v7
	v_min_u32_e32 v50, 32, v7
	v_subrev_nc_u32_e32 v7, 28, v50
	v_lshlrev_b64 v[7:8], v7, v[1:2]
	v_sub_nc_u32_e32 v8, 29, v50
	v_and_b32_e32 v7, 7, v7
; %bb.545:                              ;   in Loop: Header=BB264_286 Depth=1
	s_or_b32 exec_lo, exec_lo, s19
	v_lshlrev_b32_e32 v1, 8, v1
	v_lshl_add_u32 v8, v8, 10, 0x2000
	v_lshlrev_b32_e32 v7, 23, v7
	v_and_or_b32 v1, 0x8000, v1, v8
	v_lshl_or_b32 v7, v1, 16, v7
.LBB264_546:                            ;   in Loop: Header=BB264_286 Depth=1
	s_or_b32 exec_lo, exec_lo, s18
.LBB264_547:                            ;   in Loop: Header=BB264_286 Depth=1
	s_or_b32 exec_lo, exec_lo, s17
.LBB264_548:                            ;   in Loop: Header=BB264_286 Depth=1
	s_or_b32 exec_lo, exec_lo, s13
	v_or_b32_e32 v1, v45, v46
	s_waitcnt vmcnt(0)
	v_fma_mixlo_f16 v8, v42, v45, 0 op_sel:[0,1,0] op_sel_hi:[0,1,0]
	v_or_b32_e32 v44, v43, v44
	v_fma_mixlo_f16 v43, v42, v43, 0 op_sel:[0,1,0] op_sel_hi:[0,1,0]
	v_or_b32_e32 v46, v49, v48
	v_or_b32_e32 v47, v7, v47
	v_fma_mixlo_f16 v45, v42, v1, 0 op_sel_hi:[0,1,0]
	v_lshlrev_b32_e32 v1, 16, v8
	v_lshlrev_b32_e32 v48, 16, v43
	v_fma_mixlo_f16 v8, v42, v44, 0 op_sel_hi:[0,1,0]
	v_fma_mixlo_f16 v43, v42, v49, 0 op_sel:[0,1,0] op_sel_hi:[0,1,0]
	v_fma_mixlo_f16 v44, v42, v46, 0 op_sel_hi:[0,1,0]
	v_fma_mixlo_f16 v7, v42, v7, 0 op_sel:[0,1,0] op_sel_hi:[0,1,0]
	v_fma_mixlo_f16 v42, v42, v47, 0 op_sel_hi:[0,1,0]
	v_and_b32_e32 v45, 0xffff, v45
	v_and_b32_e32 v50, 0xffff, v8
	v_lshlrev_b32_e32 v46, 16, v43
	v_and_b32_e32 v49, 0xffff, v44
	v_lshlrev_b32_e32 v8, 16, v7
	v_and_b32_e32 v47, 0xffff, v42
	v_or_b32_e32 v7, v1, v45
	v_or_b32_e32 v44, v48, v50
	;; [unrolled: 1-line block ×4, first 2 shown]
	s_and_saveexec_b32 s0, vcc_lo
	s_cbranch_execz .LBB264_285
; %bb.549:                              ;   in Loop: Header=BB264_286 Depth=1
	v_cmp_gt_i32_e32 vcc_lo, s11, v27
	v_cndmask_b32_e32 v7, 0, v50, vcc_lo
	v_cmp_gt_i32_e32 vcc_lo, s11, v33
	v_cndmask_b32_e32 v27, 0, v48, vcc_lo
	v_cmp_gt_i32_e32 vcc_lo, s11, v32
	v_or_b32_e32 v44, v27, v7
	v_cndmask_b32_e32 v32, 0, v45, vcc_lo
	v_cmp_gt_i32_e32 vcc_lo, s11, v31
	v_cndmask_b32_e32 v1, 0, v1, vcc_lo
	v_cmp_gt_i32_e32 vcc_lo, s11, v30
	v_or_b32_e32 v7, v1, v32
	;; [unrolled: 5-line block ×3, first 2 shown]
	v_cndmask_b32_e32 v28, 0, v47, vcc_lo
	v_cmp_gt_i32_e32 vcc_lo, s11, v21
	v_cndmask_b32_e32 v8, 0, v8, vcc_lo
	v_or_b32_e32 v42, v8, v28
	s_branch .LBB264_285
.LBB264_550:
	s_or_b32 exec_lo, exec_lo, s12
.LBB264_551:
	s_or_b32 exec_lo, exec_lo, s1
	ds_bpermute_b32 v1, v17, v19
	ds_bpermute_b32 v2, v17, v20
	;; [unrolled: 1-line block ×4, first 2 shown]
	v_lshrrev_b32_e32 v5, 1, v16
	v_lshlrev_b32_e32 v7, 8, v13
	v_and_b32_e32 v10, 0x3c1, v0
	s_mov_b32 s0, exec_lo
	s_waitcnt lgkmcnt(0)
	v_lshl_add_u32 v6, v5, 2, 0xa0
	s_barrier
	buffer_gl0_inv
	v_add_f32_e32 v4, v19, v1
	v_add_f32_e32 v3, v20, v2
	;; [unrolled: 1-line block ×4, first 2 shown]
	v_cmpx_eq_u32_e32 64, v10
	s_cbranch_execz .LBB264_553
; %bb.552:
	v_add_nc_u32_e32 v8, v6, v7
	v_add_nc_u32_e32 v9, 0xfffffe00, v8
	;; [unrolled: 1-line block ×5, first 2 shown]
	ds_write_b32 v9, v4
	ds_write_b32 v10, v3
	;; [unrolled: 1-line block ×4, first 2 shown]
.LBB264_553:
	s_or_b32 exec_lo, exec_lo, s0
	v_lshlrev_b32_e32 v5, 2, v5
	s_mov_b32 s1, exec_lo
	v_cmp_eq_u32_e32 vcc_lo, 0, v12
	s_waitcnt lgkmcnt(0)
	s_barrier
	v_add3_u32 v5, 0xa0, v7, v5
	buffer_gl0_inv
	v_cmpx_gt_u32_e32 64, v0
	s_cbranch_execz .LBB264_560
; %bb.554:
	s_and_saveexec_b32 s0, vcc_lo
	s_cbranch_execnz .LBB264_572
; %bb.555:
	s_or_b32 exec_lo, exec_lo, s0
	s_and_saveexec_b32 s0, vcc_lo
	s_cbranch_execnz .LBB264_573
.LBB264_556:
	s_or_b32 exec_lo, exec_lo, s0
	s_and_saveexec_b32 s0, vcc_lo
	s_cbranch_execnz .LBB264_574
.LBB264_557:
	s_or_b32 exec_lo, exec_lo, s0
	s_and_saveexec_b32 s0, vcc_lo
	s_cbranch_execz .LBB264_559
.LBB264_558:
	ds_read_b32 v7, v5 offset:192
	s_waitcnt lgkmcnt(0)
	v_add_f32_e32 v1, v1, v7
.LBB264_559:
	s_or_b32 exec_lo, exec_lo, s0
.LBB264_560:
	s_or_b32 exec_lo, exec_lo, s1
	v_and_b32_e32 v7, 0x3e1, v0
	s_mov_b32 s1, exec_lo
	s_barrier
	buffer_gl0_inv
	v_cmpx_eq_u32_e32 32, v7
	s_cbranch_execz .LBB264_562
; %bb.561:
	ds_write2_b32 v6, v4, v3 offset1:16
	ds_write2_b32 v6, v2, v1 offset0:32 offset1:48
.LBB264_562:
	s_or_b32 exec_lo, exec_lo, s1
	s_mov_b32 s1, exec_lo
	s_waitcnt lgkmcnt(0)
	s_barrier
	buffer_gl0_inv
	v_cmpx_gt_u32_e32 32, v0
	s_cbranch_execz .LBB264_569
; %bb.563:
	s_and_saveexec_b32 s0, vcc_lo
	s_cbranch_execnz .LBB264_575
; %bb.564:
	s_or_b32 exec_lo, exec_lo, s0
	s_and_saveexec_b32 s0, vcc_lo
	s_cbranch_execnz .LBB264_576
.LBB264_565:
	s_or_b32 exec_lo, exec_lo, s0
	s_and_saveexec_b32 s0, vcc_lo
	s_cbranch_execnz .LBB264_577
.LBB264_566:
	s_or_b32 exec_lo, exec_lo, s0
	s_and_saveexec_b32 s0, vcc_lo
	s_cbranch_execz .LBB264_568
.LBB264_567:
	ds_read_b32 v0, v5 offset:192
	s_waitcnt lgkmcnt(0)
	v_add_f32_e32 v1, v1, v0
.LBB264_568:
	s_or_b32 exec_lo, exec_lo, s0
.LBB264_569:
	s_or_b32 exec_lo, exec_lo, s1
	s_barrier
	buffer_gl0_inv
	s_mov_b32 s0, exec_lo
	v_cmpx_eq_u32_e32 0, v7
	s_cbranch_execz .LBB264_571
; %bb.570:
	s_mul_i32 s0, s10, s7
	s_mul_i32 s2, s7, s6
	s_mul_i32 s0, s0, s9
	v_lshlrev_b32_e32 v0, 1, v11
	s_lshl_b32 s0, s0, 6
	;;#ASMSTART
	v_cvt_f16_f32 v4, v4;

	;;#ASMEND
	s_ashr_i32 s1, s0, 31
	s_lshl_b64 s[0:1], s[0:1], 1
	s_add_u32 s4, s20, s0
	s_addc_u32 s5, s21, s1
	s_ashr_i32 s3, s2, 31
	s_lshl_b64 s[0:1], s[2:3], 1
	s_add_u32 s2, s4, s0
	s_addc_u32 s3, s5, s1
	s_lshl_b32 s0, s8, 6
	s_ashr_i32 s1, s0, 31
	s_lshl_b64 s[0:1], s[0:1], 1
	s_add_u32 s0, s2, s0
	s_addc_u32 s1, s3, s1
	global_store_short v0, v4, s[0:1]
	;;#ASMSTART
	v_cvt_f16_f32 v3, v3;

	;;#ASMEND
	global_store_short v0, v3, s[0:1] offset:32
	;;#ASMSTART
	v_cvt_f16_f32 v2, v2;

	;;#ASMEND
	global_store_short v0, v2, s[0:1] offset:64
	;; [unrolled: 5-line block ×3, first 2 shown]
.LBB264_571:
	s_endpgm
.LBB264_572:
	ds_read_b32 v7, v5
	s_waitcnt lgkmcnt(0)
	v_add_f32_e32 v4, v4, v7
	s_or_b32 exec_lo, exec_lo, s0
	s_and_saveexec_b32 s0, vcc_lo
	s_cbranch_execz .LBB264_556
.LBB264_573:
	ds_read_b32 v7, v5 offset:64
	s_waitcnt lgkmcnt(0)
	v_add_f32_e32 v3, v3, v7
	s_or_b32 exec_lo, exec_lo, s0
	s_and_saveexec_b32 s0, vcc_lo
	s_cbranch_execz .LBB264_557
.LBB264_574:
	ds_read_b32 v7, v5 offset:128
	s_waitcnt lgkmcnt(0)
	v_add_f32_e32 v2, v2, v7
	s_or_b32 exec_lo, exec_lo, s0
	s_and_saveexec_b32 s0, vcc_lo
	s_cbranch_execnz .LBB264_558
	s_branch .LBB264_559
.LBB264_575:
	ds_read_b32 v0, v5
	s_waitcnt lgkmcnt(0)
	v_add_f32_e32 v4, v4, v0
	s_or_b32 exec_lo, exec_lo, s0
	s_and_saveexec_b32 s0, vcc_lo
	s_cbranch_execz .LBB264_565
.LBB264_576:
	ds_read_b32 v0, v5 offset:64
	s_waitcnt lgkmcnt(0)
	v_add_f32_e32 v3, v3, v0
	s_or_b32 exec_lo, exec_lo, s0
	s_and_saveexec_b32 s0, vcc_lo
	s_cbranch_execz .LBB264_566
.LBB264_577:
	ds_read_b32 v0, v5 offset:128
	s_waitcnt lgkmcnt(0)
	v_add_f32_e32 v2, v2, v0
	s_or_b32 exec_lo, exec_lo, s0
	s_and_saveexec_b32 s0, vcc_lo
	s_cbranch_execnz .LBB264_567
	s_branch .LBB264_568
	.section	.rodata,"a",@progbits
	.p2align	6, 0x0
	.amdhsa_kernel _ZN4vllm25paged_attention_v1_kernelIthLi64ELi16ELi128ELNS_18Fp8KVCacheDataTypeE1ELb0EEEvPT_PKS2_PKT0_S8_ifPKiSA_iPKfiiiSC_SC_iiiii
		.amdhsa_group_segment_fixed_size 160
		.amdhsa_private_segment_fixed_size 0
		.amdhsa_kernarg_size 384
		.amdhsa_user_sgpr_count 6
		.amdhsa_user_sgpr_private_segment_buffer 1
		.amdhsa_user_sgpr_dispatch_ptr 0
		.amdhsa_user_sgpr_queue_ptr 0
		.amdhsa_user_sgpr_kernarg_segment_ptr 1
		.amdhsa_user_sgpr_dispatch_id 0
		.amdhsa_user_sgpr_flat_scratch_init 0
		.amdhsa_user_sgpr_private_segment_size 0
		.amdhsa_wavefront_size32 1
		.amdhsa_uses_dynamic_stack 0
		.amdhsa_system_sgpr_private_segment_wavefront_offset 0
		.amdhsa_system_sgpr_workgroup_id_x 1
		.amdhsa_system_sgpr_workgroup_id_y 1
		.amdhsa_system_sgpr_workgroup_id_z 1
		.amdhsa_system_sgpr_workgroup_info 0
		.amdhsa_system_vgpr_workitem_id 0
		.amdhsa_next_free_vgpr 82
		.amdhsa_next_free_sgpr 35
		.amdhsa_reserve_vcc 1
		.amdhsa_reserve_flat_scratch 0
		.amdhsa_float_round_mode_32 0
		.amdhsa_float_round_mode_16_64 0
		.amdhsa_float_denorm_mode_32 3
		.amdhsa_float_denorm_mode_16_64 3
		.amdhsa_dx10_clamp 1
		.amdhsa_ieee_mode 1
		.amdhsa_fp16_overflow 0
		.amdhsa_workgroup_processor_mode 1
		.amdhsa_memory_ordered 1
		.amdhsa_forward_progress 1
		.amdhsa_shared_vgpr_count 0
		.amdhsa_exception_fp_ieee_invalid_op 0
		.amdhsa_exception_fp_denorm_src 0
		.amdhsa_exception_fp_ieee_div_zero 0
		.amdhsa_exception_fp_ieee_overflow 0
		.amdhsa_exception_fp_ieee_underflow 0
		.amdhsa_exception_fp_ieee_inexact 0
		.amdhsa_exception_int_div_zero 0
	.end_amdhsa_kernel
	.section	.text._ZN4vllm25paged_attention_v1_kernelIthLi64ELi16ELi128ELNS_18Fp8KVCacheDataTypeE1ELb0EEEvPT_PKS2_PKT0_S8_ifPKiSA_iPKfiiiSC_SC_iiiii,"axG",@progbits,_ZN4vllm25paged_attention_v1_kernelIthLi64ELi16ELi128ELNS_18Fp8KVCacheDataTypeE1ELb0EEEvPT_PKS2_PKT0_S8_ifPKiSA_iPKfiiiSC_SC_iiiii,comdat
.Lfunc_end264:
	.size	_ZN4vllm25paged_attention_v1_kernelIthLi64ELi16ELi128ELNS_18Fp8KVCacheDataTypeE1ELb0EEEvPT_PKS2_PKT0_S8_ifPKiSA_iPKfiiiSC_SC_iiiii, .Lfunc_end264-_ZN4vllm25paged_attention_v1_kernelIthLi64ELi16ELi128ELNS_18Fp8KVCacheDataTypeE1ELb0EEEvPT_PKS2_PKT0_S8_ifPKiSA_iPKfiiiSC_SC_iiiii
                                        ; -- End function
	.set _ZN4vllm25paged_attention_v1_kernelIthLi64ELi16ELi128ELNS_18Fp8KVCacheDataTypeE1ELb0EEEvPT_PKS2_PKT0_S8_ifPKiSA_iPKfiiiSC_SC_iiiii.num_vgpr, 82
	.set _ZN4vllm25paged_attention_v1_kernelIthLi64ELi16ELi128ELNS_18Fp8KVCacheDataTypeE1ELb0EEEvPT_PKS2_PKT0_S8_ifPKiSA_iPKfiiiSC_SC_iiiii.num_agpr, 0
	.set _ZN4vllm25paged_attention_v1_kernelIthLi64ELi16ELi128ELNS_18Fp8KVCacheDataTypeE1ELb0EEEvPT_PKS2_PKT0_S8_ifPKiSA_iPKfiiiSC_SC_iiiii.numbered_sgpr, 35
	.set _ZN4vllm25paged_attention_v1_kernelIthLi64ELi16ELi128ELNS_18Fp8KVCacheDataTypeE1ELb0EEEvPT_PKS2_PKT0_S8_ifPKiSA_iPKfiiiSC_SC_iiiii.num_named_barrier, 0
	.set _ZN4vllm25paged_attention_v1_kernelIthLi64ELi16ELi128ELNS_18Fp8KVCacheDataTypeE1ELb0EEEvPT_PKS2_PKT0_S8_ifPKiSA_iPKfiiiSC_SC_iiiii.private_seg_size, 0
	.set _ZN4vllm25paged_attention_v1_kernelIthLi64ELi16ELi128ELNS_18Fp8KVCacheDataTypeE1ELb0EEEvPT_PKS2_PKT0_S8_ifPKiSA_iPKfiiiSC_SC_iiiii.uses_vcc, 1
	.set _ZN4vllm25paged_attention_v1_kernelIthLi64ELi16ELi128ELNS_18Fp8KVCacheDataTypeE1ELb0EEEvPT_PKS2_PKT0_S8_ifPKiSA_iPKfiiiSC_SC_iiiii.uses_flat_scratch, 0
	.set _ZN4vllm25paged_attention_v1_kernelIthLi64ELi16ELi128ELNS_18Fp8KVCacheDataTypeE1ELb0EEEvPT_PKS2_PKT0_S8_ifPKiSA_iPKfiiiSC_SC_iiiii.has_dyn_sized_stack, 0
	.set _ZN4vllm25paged_attention_v1_kernelIthLi64ELi16ELi128ELNS_18Fp8KVCacheDataTypeE1ELb0EEEvPT_PKS2_PKT0_S8_ifPKiSA_iPKfiiiSC_SC_iiiii.has_recursion, 0
	.set _ZN4vllm25paged_attention_v1_kernelIthLi64ELi16ELi128ELNS_18Fp8KVCacheDataTypeE1ELb0EEEvPT_PKS2_PKT0_S8_ifPKiSA_iPKfiiiSC_SC_iiiii.has_indirect_call, 0
	.section	.AMDGPU.csdata,"",@progbits
; Kernel info:
; codeLenInByte = 19340
; TotalNumSgprs: 37
; NumVgprs: 82
; ScratchSize: 0
; MemoryBound: 0
; FloatMode: 240
; IeeeMode: 1
; LDSByteSize: 160 bytes/workgroup (compile time only)
; SGPRBlocks: 0
; VGPRBlocks: 10
; NumSGPRsForWavesPerEU: 37
; NumVGPRsForWavesPerEU: 82
; Occupancy: 10
; WaveLimiterHint : 1
; COMPUTE_PGM_RSRC2:SCRATCH_EN: 0
; COMPUTE_PGM_RSRC2:USER_SGPR: 6
; COMPUTE_PGM_RSRC2:TRAP_HANDLER: 0
; COMPUTE_PGM_RSRC2:TGID_X_EN: 1
; COMPUTE_PGM_RSRC2:TGID_Y_EN: 1
; COMPUTE_PGM_RSRC2:TGID_Z_EN: 1
; COMPUTE_PGM_RSRC2:TIDIG_COMP_CNT: 0
	.section	.text._ZN4vllm25paged_attention_v1_kernelIthLi80ELi16ELi128ELNS_18Fp8KVCacheDataTypeE1ELb0EEEvPT_PKS2_PKT0_S8_ifPKiSA_iPKfiiiSC_SC_iiiii,"axG",@progbits,_ZN4vllm25paged_attention_v1_kernelIthLi80ELi16ELi128ELNS_18Fp8KVCacheDataTypeE1ELb0EEEvPT_PKS2_PKT0_S8_ifPKiSA_iPKfiiiSC_SC_iiiii,comdat
	.protected	_ZN4vllm25paged_attention_v1_kernelIthLi80ELi16ELi128ELNS_18Fp8KVCacheDataTypeE1ELb0EEEvPT_PKS2_PKT0_S8_ifPKiSA_iPKfiiiSC_SC_iiiii ; -- Begin function _ZN4vllm25paged_attention_v1_kernelIthLi80ELi16ELi128ELNS_18Fp8KVCacheDataTypeE1ELb0EEEvPT_PKS2_PKT0_S8_ifPKiSA_iPKfiiiSC_SC_iiiii
	.globl	_ZN4vllm25paged_attention_v1_kernelIthLi80ELi16ELi128ELNS_18Fp8KVCacheDataTypeE1ELb0EEEvPT_PKS2_PKT0_S8_ifPKiSA_iPKfiiiSC_SC_iiiii
	.p2align	8
	.type	_ZN4vllm25paged_attention_v1_kernelIthLi80ELi16ELi128ELNS_18Fp8KVCacheDataTypeE1ELb0EEEvPT_PKS2_PKT0_S8_ifPKiSA_iPKfiiiSC_SC_iiiii,@function
_ZN4vllm25paged_attention_v1_kernelIthLi80ELi16ELi128ELNS_18Fp8KVCacheDataTypeE1ELb0EEEvPT_PKS2_PKT0_S8_ifPKiSA_iPKfiiiSC_SC_iiiii: ; @_ZN4vllm25paged_attention_v1_kernelIthLi80ELi16ELi128ELNS_18Fp8KVCacheDataTypeE1ELb0EEEvPT_PKS2_PKT0_S8_ifPKiSA_iPKfiiiSC_SC_iiiii
; %bb.0:
	s_clause 0x2
	s_load_dword s9, s[4:5], 0x80
	s_load_dwordx2 s[0:1], s[4:5], 0x30
	s_load_dwordx2 s[28:29], s[4:5], 0x20
	s_mov_b32 s10, s7
	s_ashr_i32 s11, s7, 31
	s_lshl_b64 s[2:3], s[10:11], 2
	s_waitcnt lgkmcnt(0)
	s_add_u32 s0, s0, s2
	s_addc_u32 s1, s1, s3
	s_abs_i32 s2, s28
	s_abs_i32 s11, s9
	v_cvt_f32_u32_e32 v1, s2
	s_sub_i32 s7, 0, s2
	v_rcp_iflag_f32_e32 v1, v1
	v_mul_f32_e32 v1, 0x4f7ffffe, v1
	v_cvt_u32_f32_e32 v1, v1
	v_readfirstlane_b32 s3, v1
	s_mul_i32 s7, s7, s3
	s_mul_hi_u32 s7, s3, s7
	s_add_i32 s3, s3, s7
	s_xor_b32 s7, s9, s28
	s_mul_hi_u32 s3, s11, s3
	s_ashr_i32 s7, s7, 31
	s_mul_i32 s12, s3, s2
	s_mov_b32 s28, 0
	s_sub_i32 s11, s11, s12
	s_add_i32 s12, s3, 1
	s_sub_i32 s13, s11, s2
	s_cmp_ge_u32 s11, s2
	s_cselect_b32 s3, s12, s3
	s_cselect_b32 s11, s13, s11
	s_add_i32 s12, s3, 1
	s_cmp_ge_u32 s11, s2
	s_cselect_b32 s2, s12, s3
	s_abs_i32 s13, s6
	s_xor_b32 s2, s2, s7
	s_sub_i32 s15, s2, s7
	s_load_dwordx2 s[2:3], s[4:5], 0x40
	s_abs_i32 s12, s15
	v_cvt_f32_u32_e32 v1, s12
	s_sub_i32 s11, 0, s12
	v_rcp_iflag_f32_e32 v1, v1
	v_mul_f32_e32 v1, 0x4f7ffffe, v1
	v_cvt_u32_f32_e32 v1, v1
	v_readfirstlane_b32 s7, v1
	s_mul_i32 s11, s11, s7
	s_mul_hi_u32 s11, s7, s11
	s_add_i32 s7, s7, s11
	s_waitcnt lgkmcnt(0)
	s_cmp_eq_u64 s[2:3], 0
	s_mul_hi_u32 s14, s13, s7
	s_cbranch_scc1 .LBB265_2
; %bb.1:
	s_ashr_i32 s7, s6, 31
	s_lshl_b64 s[16:17], s[6:7], 2
	s_add_u32 s2, s2, s16
	s_addc_u32 s3, s3, s17
	s_load_dword s28, s[2:3], 0x0
.LBB265_2:
	s_load_dword s11, s[0:1], 0x0
	s_load_dwordx4 s[16:19], s[4:5], 0x48
	v_lshrrev_b32_e32 v11, 1, v0
	v_and_b32_e32 v12, 1, v0
	v_lshlrev_b32_e32 v10, 3, v0
	s_ashr_i32 s0, s6, 31
	s_ashr_i32 s1, s15, 31
	s_mulk_i32 s6, 0x50
	s_mov_b32 s2, exec_lo
	v_cmpx_gt_u32_e32 20, v0
	s_cbranch_execz .LBB265_4
; %bb.3:
	s_load_dwordx2 s[20:21], s[4:5], 0x8
	s_waitcnt lgkmcnt(0)
	s_mul_i32 s22, s16, s10
	v_lshlrev_b32_e32 v3, 3, v11
	s_ashr_i32 s23, s22, 31
	s_lshl_b64 s[22:23], s[22:23], 1
	v_mad_u32_u24 v3, 0x50, v12, v3
	s_add_u32 s3, s20, s22
	s_addc_u32 s15, s21, s23
	s_ashr_i32 s7, s6, 31
	s_lshl_b64 s[20:21], s[6:7], 1
	s_add_u32 s20, s3, s20
	s_addc_u32 s21, s15, s21
	global_load_dwordx2 v[1:2], v10, s[20:21]
	s_waitcnt vmcnt(0)
	ds_write_b64 v3, v[1:2]
.LBB265_4:
	s_or_b32 exec_lo, exec_lo, s2
	s_waitcnt lgkmcnt(0)
	s_add_i32 s2, s11, 15
	s_clause 0x1
	s_load_dwordx2 s[22:23], s[4:5], 0x28
	s_load_dword s7, s[4:5], 0x38
	s_ashr_i32 s3, s2, 31
	s_xor_b32 s0, s0, s1
	s_lshr_b32 s3, s3, 28
	s_mul_i32 s1, s14, s12
	s_add_i32 s2, s2, s3
	s_sub_i32 s1, s13, s1
	s_ashr_i32 s16, s2, 4
	s_add_i32 s2, s14, 1
	s_sub_i32 s3, s1, s12
	s_cmp_ge_u32 s1, s12
	v_lshrrev_b32_e32 v13, 5, v0
	s_cselect_b32 s2, s2, s14
	s_cselect_b32 s1, s3, s1
	s_add_i32 s3, s2, 1
	s_cmp_ge_u32 s1, s12
	v_mbcnt_lo_u32_b32 v15, -1, 0
	s_cselect_b32 s1, s3, s2
	s_mov_b32 s2, exec_lo
	s_xor_b32 s1, s1, s0
	s_waitcnt lgkmcnt(0)
	s_mul_i32 s24, s7, s10
	s_sub_i32 s1, s1, s0
	v_cmp_gt_i32_e64 s0, s16, v13
	s_ashr_i32 s25, s24, 31
	s_barrier
	buffer_gl0_inv
                                        ; implicit-def: $vgpr2
                                        ; implicit-def: $vgpr17
	v_cmpx_le_i32_e64 s16, v13
	s_xor_b32 s2, exec_lo, s2
; %bb.5:
	v_mov_b32_e32 v2, 0
	v_mbcnt_lo_u32_b32 v15, -1, 0
	v_mov_b32_e32 v17, 32
; %bb.6:
	s_or_saveexec_b32 s19, s2
	s_clause 0x3
	s_load_dwordx2 s[20:21], s[4:5], 0x0
	s_load_dwordx2 s[26:27], s[4:5], 0x18
	s_load_dword s7, s[4:5], 0x88
	s_load_dwordx4 s[12:15], s[4:5], 0x58
	v_mov_b32_e32 v16, 0xff7fffff
	v_lshrrev_b32_e32 v14, 3, v0
	s_mul_i32 s18, s1, s18
	s_xor_b32 exec_lo, exec_lo, s19
	s_cbranch_execz .LBB265_332
; %bb.7:
	s_load_dwordx2 s[2:3], s[4:5], 0x10
	v_bfe_u32 v1, v0, 1, 4
	s_ashr_i32 s4, s18, 31
	v_lshlrev_b32_e32 v4, 2, v12
	v_and_b32_e32 v5, 0x7c, v14
	v_mov_b32_e32 v2, 0
	v_lshlrev_b32_e32 v3, 2, v1
	v_lshlrev_b32_e32 v6, 4, v1
	v_lshl_or_b32 v19, v13, 4, v1
	v_mul_u32_u24_e32 v18, 0x50, v12
	v_cmp_neq_f32_e64 s1, s28, 0
	v_lshl_or_b32 v3, v13, 6, v3
	v_mov_b32_e32 v16, 0xff7fffff
	v_mov_b32_e32 v17, 32
	;; [unrolled: 1-line block ×4, first 2 shown]
	v_add_nc_u32_e32 v20, 0xc0, v3
	v_mov_b32_e32 v23, 7
	v_mov_b32_e32 v24, 8
	;; [unrolled: 1-line block ×3, first 2 shown]
	s_waitcnt lgkmcnt(0)
	s_add_u32 s5, s2, s18
	s_addc_u32 s30, s3, s4
	v_add_co_u32 v1, s5, s5, v6
	v_add_co_ci_u32_e64 v6, null, s30, 0, s5
	s_lshl_b64 s[2:3], s[24:25], 2
	s_sub_i32 s4, 1, s11
	s_add_u32 s5, s22, s2
	v_add_co_u32 v3, s2, v1, v4
	s_addc_u32 s3, s23, s3
	v_add_co_ci_u32_e64 v4, null, 0, v6, s2
	v_add_co_u32 v5, s2, s5, v5
	v_add_co_ci_u32_e64 v6, null, s3, 0, s2
	s_mov_b32 s30, s17
	s_mov_b32 s5, 0
	v_cmp_eq_u32_e32 vcc_lo, 0, v12
	s_branch .LBB265_9
.LBB265_8:                              ;   in Loop: Header=BB265_9 Depth=1
	s_or_b32 exec_lo, exec_lo, s3
	v_add_nc_u32_e32 v25, 4, v25
	v_add_co_u32 v5, s3, v5, 16
	v_add_nc_u32_e32 v19, 64, v19
	v_add_nc_u32_e32 v20, 0x100, v20
	v_cmp_le_i32_e64 s2, s16, v25
	v_add_co_ci_u32_e64 v6, null, 0, v6, s3
	s_or_b32 s5, s2, s5
	s_andn2_b32 exec_lo, exec_lo, s5
	s_cbranch_execz .LBB265_331
.LBB265_9:                              ; =>This Inner Loop Header: Depth=1
	global_load_dword v1, v[5:6], off
	v_mov_b32_e32 v27, 0
	s_waitcnt vmcnt(0) lgkmcnt(0)
	v_mad_i64_i32 v[7:8], null, v1, s30, v[3:4]
	global_load_dword v9, v[7:8], off
	global_load_dword v26, v2, s[12:13]
	s_waitcnt vmcnt(1)
	v_cmp_ne_u16_sdwa s2, v9, v2 src0_sel:BYTE_0 src1_sel:DWORD
	s_and_saveexec_b32 s3, s2
	s_cbranch_execz .LBB265_17
; %bb.10:                               ;   in Loop: Header=BB265_9 Depth=1
	v_cmp_ne_u16_sdwa s2, v9, v21 src0_sel:BYTE_0 src1_sel:DWORD
	v_mov_b32_e32 v27, 0x8000
	s_and_saveexec_b32 s31, s2
	s_cbranch_execz .LBB265_16
; %bb.11:                               ;   in Loop: Header=BB265_9 Depth=1
	v_and_b32_e32 v28, 0x7f, v9
	v_mov_b32_e32 v27, 0x7c01
	s_mov_b32 s33, exec_lo
	v_cmpx_ne_u32_e32 0x7f, v28
	s_cbranch_execz .LBB265_15
; %bb.12:                               ;   in Loop: Header=BB265_9 Depth=1
	v_and_b32_e32 v1, 7, v9
	v_lshrrev_b32_e32 v27, 3, v28
	s_mov_b32 s34, exec_lo
	v_cmpx_gt_u32_e32 8, v28
; %bb.13:                               ;   in Loop: Header=BB265_9 Depth=1
	v_ffbh_u32_e32 v1, v1
	v_min_u32_e32 v1, 32, v1
	v_subrev_nc_u32_e32 v27, 28, v1
	v_lshlrev_b64 v[28:29], v27, v[9:10]
	v_sub_nc_u32_e32 v27, 29, v1
	v_and_b32_e32 v1, 7, v28
; %bb.14:                               ;   in Loop: Header=BB265_9 Depth=1
	s_or_b32 exec_lo, exec_lo, s34
	v_lshlrev_b32_e32 v28, 8, v9
	v_lshl_add_u32 v27, v27, 10, 0x2000
	v_lshlrev_b32_e32 v1, 7, v1
	v_and_b32_e32 v28, 0x8000, v28
	v_and_b32_e32 v27, 0xfc00, v27
	v_or3_b32 v27, v28, v27, v1
.LBB265_15:                             ;   in Loop: Header=BB265_9 Depth=1
	s_or_b32 exec_lo, exec_lo, s33
.LBB265_16:                             ;   in Loop: Header=BB265_9 Depth=1
	s_or_b32 exec_lo, exec_lo, s31
.LBB265_17:                             ;   in Loop: Header=BB265_9 Depth=1
	s_or_b32 exec_lo, exec_lo, s3
	v_lshrrev_b16 v1, 8, v9
	v_mov_b32_e32 v28, 0
	s_mov_b32 s3, exec_lo
	v_cmpx_ne_u16_e32 0, v1
	s_cbranch_execz .LBB265_25
; %bb.18:                               ;   in Loop: Header=BB265_9 Depth=1
	v_bfrev_b32_e32 v28, 1
	s_mov_b32 s31, exec_lo
	v_cmpx_ne_u16_e32 0x80, v1
	s_cbranch_execz .LBB265_24
; %bb.19:                               ;   in Loop: Header=BB265_9 Depth=1
	v_and_b32_sdwa v30, v1, v22 dst_sel:DWORD dst_unused:UNUSED_PAD src0_sel:WORD_0 src1_sel:DWORD
	v_mov_b32_e32 v28, 0x7c010000
	s_mov_b32 s33, exec_lo
	v_cmpx_ne_u32_e32 0x7f, v30
	s_cbranch_execz .LBB265_23
; %bb.20:                               ;   in Loop: Header=BB265_9 Depth=1
	v_and_b32_sdwa v28, v1, v23 dst_sel:DWORD dst_unused:UNUSED_PAD src0_sel:WORD_0 src1_sel:DWORD
	v_lshrrev_b32_e32 v29, 3, v30
	s_mov_b32 s34, exec_lo
	v_cmpx_gt_u32_e32 8, v30
; %bb.21:                               ;   in Loop: Header=BB265_9 Depth=1
	v_ffbh_u32_e32 v28, v28
	v_min_u32_e32 v30, 32, v28
	v_subrev_nc_u32_e32 v28, 28, v30
	v_lshlrev_b64 v[28:29], v28, v[1:2]
	v_sub_nc_u32_e32 v29, 29, v30
	v_and_b32_e32 v28, 7, v28
; %bb.22:                               ;   in Loop: Header=BB265_9 Depth=1
	s_or_b32 exec_lo, exec_lo, s34
	v_lshlrev_b32_sdwa v1, v24, v1 dst_sel:DWORD dst_unused:UNUSED_PAD src0_sel:DWORD src1_sel:WORD_0
	v_lshl_add_u32 v29, v29, 10, 0x2000
	v_lshlrev_b32_e32 v28, 23, v28
	v_and_or_b32 v1, 0x8000, v1, v29
	v_lshl_or_b32 v28, v1, 16, v28
.LBB265_23:                             ;   in Loop: Header=BB265_9 Depth=1
	s_or_b32 exec_lo, exec_lo, s33
.LBB265_24:                             ;   in Loop: Header=BB265_9 Depth=1
	s_or_b32 exec_lo, exec_lo, s31
.LBB265_25:                             ;   in Loop: Header=BB265_9 Depth=1
	s_or_b32 exec_lo, exec_lo, s3
	v_lshrrev_b32_e32 v1, 16, v9
	v_mov_b32_e32 v29, 0
	v_mov_b32_e32 v30, 0
	v_cmp_ne_u16_sdwa s2, v1, v2 src0_sel:BYTE_0 src1_sel:DWORD
	s_and_saveexec_b32 s3, s2
	s_cbranch_execz .LBB265_33
; %bb.26:                               ;   in Loop: Header=BB265_9 Depth=1
	v_cmp_ne_u16_sdwa s2, v1, v21 src0_sel:BYTE_0 src1_sel:DWORD
	v_mov_b32_e32 v30, 0x8000
	s_and_saveexec_b32 s31, s2
	s_cbranch_execz .LBB265_32
; %bb.27:                               ;   in Loop: Header=BB265_9 Depth=1
	v_bfe_u32 v32, v9, 16, 7
	v_mov_b32_e32 v30, 0x7c01
	s_mov_b32 s33, exec_lo
	v_cmpx_ne_u32_e32 0x7f, v32
	s_cbranch_execz .LBB265_31
; %bb.28:                               ;   in Loop: Header=BB265_9 Depth=1
	v_and_b32_e32 v30, 7, v1
	v_lshrrev_b32_e32 v31, 3, v32
	s_mov_b32 s34, exec_lo
	v_cmpx_gt_u32_e32 8, v32
; %bb.29:                               ;   in Loop: Header=BB265_9 Depth=1
	v_ffbh_u32_e32 v30, v30
	v_min_u32_e32 v32, 32, v30
	v_subrev_nc_u32_e32 v30, 28, v32
	v_lshlrev_b64 v[30:31], v30, v[1:2]
	v_sub_nc_u32_e32 v31, 29, v32
	v_and_b32_e32 v30, 7, v30
; %bb.30:                               ;   in Loop: Header=BB265_9 Depth=1
	s_or_b32 exec_lo, exec_lo, s34
	v_lshlrev_b32_e32 v1, 8, v1
	v_lshl_add_u32 v31, v31, 10, 0x2000
	v_lshlrev_b32_e32 v30, 7, v30
	v_and_b32_e32 v1, 0x8000, v1
	v_and_b32_e32 v31, 0xfc00, v31
	v_or3_b32 v30, v1, v31, v30
.LBB265_31:                             ;   in Loop: Header=BB265_9 Depth=1
	s_or_b32 exec_lo, exec_lo, s33
.LBB265_32:                             ;   in Loop: Header=BB265_9 Depth=1
	s_or_b32 exec_lo, exec_lo, s31
.LBB265_33:                             ;   in Loop: Header=BB265_9 Depth=1
	s_or_b32 exec_lo, exec_lo, s3
	s_mov_b32 s3, exec_lo
	v_cmpx_lt_u32_e32 0xffffff, v9
	s_cbranch_execz .LBB265_41
; %bb.34:                               ;   in Loop: Header=BB265_9 Depth=1
	v_lshrrev_b32_e32 v1, 24, v9
	v_bfrev_b32_e32 v29, 1
	s_mov_b32 s31, exec_lo
	v_cmpx_ne_u32_e32 0x80, v1
	s_cbranch_execz .LBB265_40
; %bb.35:                               ;   in Loop: Header=BB265_9 Depth=1
	v_and_b32_e32 v31, 0x7f, v1
	v_mov_b32_e32 v29, 0x7c010000
	s_mov_b32 s33, exec_lo
	v_cmpx_ne_u32_e32 0x7f, v31
	s_cbranch_execz .LBB265_39
; %bb.36:                               ;   in Loop: Header=BB265_9 Depth=1
	v_and_b32_e32 v9, 7, v1
	v_lshrrev_b32_e32 v29, 3, v31
	s_mov_b32 s34, exec_lo
	v_cmpx_gt_u32_e32 8, v31
; %bb.37:                               ;   in Loop: Header=BB265_9 Depth=1
	v_ffbh_u32_e32 v9, v9
	v_min_u32_e32 v9, 32, v9
	v_subrev_nc_u32_e32 v29, 28, v9
	v_lshlrev_b64 v[31:32], v29, v[1:2]
	v_sub_nc_u32_e32 v29, 29, v9
	v_and_b32_e32 v9, 7, v31
; %bb.38:                               ;   in Loop: Header=BB265_9 Depth=1
	s_or_b32 exec_lo, exec_lo, s34
	v_lshlrev_b32_e32 v1, 8, v1
	v_lshl_add_u32 v29, v29, 10, 0x2000
	v_lshlrev_b32_e32 v9, 23, v9
	v_and_or_b32 v1, 0x8000, v1, v29
	v_lshl_or_b32 v29, v1, 16, v9
.LBB265_39:                             ;   in Loop: Header=BB265_9 Depth=1
	s_or_b32 exec_lo, exec_lo, s33
.LBB265_40:                             ;   in Loop: Header=BB265_9 Depth=1
	s_or_b32 exec_lo, exec_lo, s31
.LBB265_41:                             ;   in Loop: Header=BB265_9 Depth=1
	s_or_b32 exec_lo, exec_lo, s3
	global_load_dword v9, v[7:8], off offset:8
	v_mov_b32_e32 v31, 0
	v_mov_b32_e32 v32, 0
	s_waitcnt vmcnt(0)
	v_cmp_ne_u16_sdwa s2, v9, v2 src0_sel:BYTE_0 src1_sel:DWORD
	s_and_saveexec_b32 s3, s2
	s_cbranch_execz .LBB265_49
; %bb.42:                               ;   in Loop: Header=BB265_9 Depth=1
	v_cmp_ne_u16_sdwa s2, v9, v21 src0_sel:BYTE_0 src1_sel:DWORD
	v_mov_b32_e32 v32, 0x8000
	s_and_saveexec_b32 s31, s2
	s_cbranch_execz .LBB265_48
; %bb.43:                               ;   in Loop: Header=BB265_9 Depth=1
	v_and_b32_e32 v33, 0x7f, v9
	v_mov_b32_e32 v32, 0x7c01
	s_mov_b32 s33, exec_lo
	v_cmpx_ne_u32_e32 0x7f, v33
	s_cbranch_execz .LBB265_47
; %bb.44:                               ;   in Loop: Header=BB265_9 Depth=1
	v_and_b32_e32 v1, 7, v9
	v_lshrrev_b32_e32 v32, 3, v33
	s_mov_b32 s34, exec_lo
	v_cmpx_gt_u32_e32 8, v33
; %bb.45:                               ;   in Loop: Header=BB265_9 Depth=1
	v_ffbh_u32_e32 v1, v1
	v_min_u32_e32 v1, 32, v1
	v_subrev_nc_u32_e32 v32, 28, v1
	v_lshlrev_b64 v[33:34], v32, v[9:10]
	v_sub_nc_u32_e32 v32, 29, v1
	v_and_b32_e32 v1, 7, v33
; %bb.46:                               ;   in Loop: Header=BB265_9 Depth=1
	s_or_b32 exec_lo, exec_lo, s34
	v_lshlrev_b32_e32 v33, 8, v9
	v_lshl_add_u32 v32, v32, 10, 0x2000
	v_lshlrev_b32_e32 v1, 7, v1
	v_and_b32_e32 v33, 0x8000, v33
	v_and_b32_e32 v32, 0xfc00, v32
	v_or3_b32 v32, v33, v32, v1
.LBB265_47:                             ;   in Loop: Header=BB265_9 Depth=1
	s_or_b32 exec_lo, exec_lo, s33
.LBB265_48:                             ;   in Loop: Header=BB265_9 Depth=1
	s_or_b32 exec_lo, exec_lo, s31
.LBB265_49:                             ;   in Loop: Header=BB265_9 Depth=1
	s_or_b32 exec_lo, exec_lo, s3
	v_lshrrev_b16 v1, 8, v9
	s_mov_b32 s3, exec_lo
	v_cmpx_ne_u16_e32 0, v1
	s_cbranch_execz .LBB265_57
; %bb.50:                               ;   in Loop: Header=BB265_9 Depth=1
	v_bfrev_b32_e32 v31, 1
	s_mov_b32 s31, exec_lo
	v_cmpx_ne_u16_e32 0x80, v1
	s_cbranch_execz .LBB265_56
; %bb.51:                               ;   in Loop: Header=BB265_9 Depth=1
	v_and_b32_sdwa v34, v1, v22 dst_sel:DWORD dst_unused:UNUSED_PAD src0_sel:WORD_0 src1_sel:DWORD
	v_mov_b32_e32 v31, 0x7c010000
	s_mov_b32 s33, exec_lo
	v_cmpx_ne_u32_e32 0x7f, v34
	s_cbranch_execz .LBB265_55
; %bb.52:                               ;   in Loop: Header=BB265_9 Depth=1
	v_and_b32_sdwa v31, v1, v23 dst_sel:DWORD dst_unused:UNUSED_PAD src0_sel:WORD_0 src1_sel:DWORD
	v_lshrrev_b32_e32 v33, 3, v34
	s_mov_b32 s34, exec_lo
	v_cmpx_gt_u32_e32 8, v34
; %bb.53:                               ;   in Loop: Header=BB265_9 Depth=1
	v_ffbh_u32_e32 v31, v31
	v_min_u32_e32 v31, 32, v31
	v_subrev_nc_u32_e32 v33, 28, v31
	v_lshlrev_b64 v[34:35], v33, v[1:2]
	v_sub_nc_u32_e32 v33, 29, v31
	v_and_b32_e32 v31, 7, v34
; %bb.54:                               ;   in Loop: Header=BB265_9 Depth=1
	s_or_b32 exec_lo, exec_lo, s34
	v_lshlrev_b32_sdwa v1, v24, v1 dst_sel:DWORD dst_unused:UNUSED_PAD src0_sel:DWORD src1_sel:WORD_0
	v_lshl_add_u32 v33, v33, 10, 0x2000
	v_lshlrev_b32_e32 v31, 23, v31
	v_and_or_b32 v1, 0x8000, v1, v33
	v_lshl_or_b32 v31, v1, 16, v31
.LBB265_55:                             ;   in Loop: Header=BB265_9 Depth=1
	s_or_b32 exec_lo, exec_lo, s33
.LBB265_56:                             ;   in Loop: Header=BB265_9 Depth=1
	s_or_b32 exec_lo, exec_lo, s31
.LBB265_57:                             ;   in Loop: Header=BB265_9 Depth=1
	s_or_b32 exec_lo, exec_lo, s3
	v_lshrrev_b32_e32 v1, 16, v9
	v_mov_b32_e32 v33, 0
	v_mov_b32_e32 v34, 0
	v_cmp_ne_u16_sdwa s2, v1, v2 src0_sel:BYTE_0 src1_sel:DWORD
	s_and_saveexec_b32 s3, s2
	s_cbranch_execz .LBB265_65
; %bb.58:                               ;   in Loop: Header=BB265_9 Depth=1
	v_cmp_ne_u16_sdwa s2, v1, v21 src0_sel:BYTE_0 src1_sel:DWORD
	v_mov_b32_e32 v34, 0x8000
	s_and_saveexec_b32 s31, s2
	s_cbranch_execz .LBB265_64
; %bb.59:                               ;   in Loop: Header=BB265_9 Depth=1
	v_bfe_u32 v36, v9, 16, 7
	v_mov_b32_e32 v34, 0x7c01
	s_mov_b32 s33, exec_lo
	v_cmpx_ne_u32_e32 0x7f, v36
	s_cbranch_execz .LBB265_63
; %bb.60:                               ;   in Loop: Header=BB265_9 Depth=1
	v_and_b32_e32 v34, 7, v1
	v_lshrrev_b32_e32 v35, 3, v36
	s_mov_b32 s34, exec_lo
	v_cmpx_gt_u32_e32 8, v36
; %bb.61:                               ;   in Loop: Header=BB265_9 Depth=1
	v_ffbh_u32_e32 v34, v34
	v_min_u32_e32 v36, 32, v34
	v_subrev_nc_u32_e32 v34, 28, v36
	v_lshlrev_b64 v[34:35], v34, v[1:2]
	v_sub_nc_u32_e32 v35, 29, v36
	v_and_b32_e32 v34, 7, v34
; %bb.62:                               ;   in Loop: Header=BB265_9 Depth=1
	s_or_b32 exec_lo, exec_lo, s34
	v_lshlrev_b32_e32 v1, 8, v1
	v_lshl_add_u32 v35, v35, 10, 0x2000
	v_lshlrev_b32_e32 v34, 7, v34
	v_and_b32_e32 v1, 0x8000, v1
	v_and_b32_e32 v35, 0xfc00, v35
	v_or3_b32 v34, v1, v35, v34
.LBB265_63:                             ;   in Loop: Header=BB265_9 Depth=1
	s_or_b32 exec_lo, exec_lo, s33
.LBB265_64:                             ;   in Loop: Header=BB265_9 Depth=1
	s_or_b32 exec_lo, exec_lo, s31
.LBB265_65:                             ;   in Loop: Header=BB265_9 Depth=1
	s_or_b32 exec_lo, exec_lo, s3
	s_mov_b32 s3, exec_lo
	v_cmpx_lt_u32_e32 0xffffff, v9
	s_cbranch_execz .LBB265_73
; %bb.66:                               ;   in Loop: Header=BB265_9 Depth=1
	v_lshrrev_b32_e32 v1, 24, v9
	v_bfrev_b32_e32 v33, 1
	s_mov_b32 s31, exec_lo
	v_cmpx_ne_u32_e32 0x80, v1
	s_cbranch_execz .LBB265_72
; %bb.67:                               ;   in Loop: Header=BB265_9 Depth=1
	v_and_b32_e32 v35, 0x7f, v1
	v_mov_b32_e32 v33, 0x7c010000
	s_mov_b32 s33, exec_lo
	v_cmpx_ne_u32_e32 0x7f, v35
	s_cbranch_execz .LBB265_71
; %bb.68:                               ;   in Loop: Header=BB265_9 Depth=1
	v_and_b32_e32 v9, 7, v1
	v_lshrrev_b32_e32 v33, 3, v35
	s_mov_b32 s34, exec_lo
	v_cmpx_gt_u32_e32 8, v35
; %bb.69:                               ;   in Loop: Header=BB265_9 Depth=1
	v_ffbh_u32_e32 v9, v9
	v_min_u32_e32 v9, 32, v9
	v_subrev_nc_u32_e32 v33, 28, v9
	v_lshlrev_b64 v[35:36], v33, v[1:2]
	v_sub_nc_u32_e32 v33, 29, v9
	v_and_b32_e32 v9, 7, v35
; %bb.70:                               ;   in Loop: Header=BB265_9 Depth=1
	s_or_b32 exec_lo, exec_lo, s34
	v_lshlrev_b32_e32 v1, 8, v1
	v_lshl_add_u32 v33, v33, 10, 0x2000
	v_lshlrev_b32_e32 v9, 23, v9
	v_and_or_b32 v1, 0x8000, v1, v33
	v_lshl_or_b32 v33, v1, 16, v9
.LBB265_71:                             ;   in Loop: Header=BB265_9 Depth=1
	s_or_b32 exec_lo, exec_lo, s33
.LBB265_72:                             ;   in Loop: Header=BB265_9 Depth=1
	s_or_b32 exec_lo, exec_lo, s31
.LBB265_73:                             ;   in Loop: Header=BB265_9 Depth=1
	s_or_b32 exec_lo, exec_lo, s3
	global_load_dword v9, v[7:8], off offset:256
	v_mov_b32_e32 v35, 0
	v_mov_b32_e32 v36, 0
	s_waitcnt vmcnt(0)
	v_cmp_ne_u16_sdwa s2, v9, v2 src0_sel:BYTE_0 src1_sel:DWORD
	s_and_saveexec_b32 s3, s2
	s_cbranch_execz .LBB265_81
; %bb.74:                               ;   in Loop: Header=BB265_9 Depth=1
	v_cmp_ne_u16_sdwa s2, v9, v21 src0_sel:BYTE_0 src1_sel:DWORD
	v_mov_b32_e32 v36, 0x8000
	s_and_saveexec_b32 s31, s2
	s_cbranch_execz .LBB265_80
; %bb.75:                               ;   in Loop: Header=BB265_9 Depth=1
	v_and_b32_e32 v37, 0x7f, v9
	v_mov_b32_e32 v36, 0x7c01
	s_mov_b32 s33, exec_lo
	v_cmpx_ne_u32_e32 0x7f, v37
	s_cbranch_execz .LBB265_79
; %bb.76:                               ;   in Loop: Header=BB265_9 Depth=1
	v_and_b32_e32 v1, 7, v9
	v_lshrrev_b32_e32 v36, 3, v37
	s_mov_b32 s34, exec_lo
	v_cmpx_gt_u32_e32 8, v37
; %bb.77:                               ;   in Loop: Header=BB265_9 Depth=1
	v_ffbh_u32_e32 v1, v1
	v_min_u32_e32 v1, 32, v1
	v_subrev_nc_u32_e32 v36, 28, v1
	v_lshlrev_b64 v[37:38], v36, v[9:10]
	v_sub_nc_u32_e32 v36, 29, v1
	v_and_b32_e32 v1, 7, v37
; %bb.78:                               ;   in Loop: Header=BB265_9 Depth=1
	s_or_b32 exec_lo, exec_lo, s34
	v_lshlrev_b32_e32 v37, 8, v9
	v_lshl_add_u32 v36, v36, 10, 0x2000
	v_lshlrev_b32_e32 v1, 7, v1
	v_and_b32_e32 v37, 0x8000, v37
	v_and_b32_e32 v36, 0xfc00, v36
	v_or3_b32 v36, v37, v36, v1
.LBB265_79:                             ;   in Loop: Header=BB265_9 Depth=1
	s_or_b32 exec_lo, exec_lo, s33
.LBB265_80:                             ;   in Loop: Header=BB265_9 Depth=1
	s_or_b32 exec_lo, exec_lo, s31
.LBB265_81:                             ;   in Loop: Header=BB265_9 Depth=1
	s_or_b32 exec_lo, exec_lo, s3
	v_lshrrev_b16 v1, 8, v9
	s_mov_b32 s3, exec_lo
	v_cmpx_ne_u16_e32 0, v1
	s_cbranch_execz .LBB265_89
; %bb.82:                               ;   in Loop: Header=BB265_9 Depth=1
	v_bfrev_b32_e32 v35, 1
	s_mov_b32 s31, exec_lo
	v_cmpx_ne_u16_e32 0x80, v1
	s_cbranch_execz .LBB265_88
; %bb.83:                               ;   in Loop: Header=BB265_9 Depth=1
	v_and_b32_sdwa v38, v1, v22 dst_sel:DWORD dst_unused:UNUSED_PAD src0_sel:WORD_0 src1_sel:DWORD
	v_mov_b32_e32 v35, 0x7c010000
	s_mov_b32 s33, exec_lo
	v_cmpx_ne_u32_e32 0x7f, v38
	s_cbranch_execz .LBB265_87
; %bb.84:                               ;   in Loop: Header=BB265_9 Depth=1
	v_and_b32_sdwa v35, v1, v23 dst_sel:DWORD dst_unused:UNUSED_PAD src0_sel:WORD_0 src1_sel:DWORD
	v_lshrrev_b32_e32 v37, 3, v38
	s_mov_b32 s34, exec_lo
	v_cmpx_gt_u32_e32 8, v38
; %bb.85:                               ;   in Loop: Header=BB265_9 Depth=1
	v_ffbh_u32_e32 v35, v35
	v_min_u32_e32 v35, 32, v35
	v_subrev_nc_u32_e32 v37, 28, v35
	v_lshlrev_b64 v[38:39], v37, v[1:2]
	v_sub_nc_u32_e32 v37, 29, v35
	v_and_b32_e32 v35, 7, v38
; %bb.86:                               ;   in Loop: Header=BB265_9 Depth=1
	s_or_b32 exec_lo, exec_lo, s34
	v_lshlrev_b32_sdwa v1, v24, v1 dst_sel:DWORD dst_unused:UNUSED_PAD src0_sel:DWORD src1_sel:WORD_0
	v_lshl_add_u32 v37, v37, 10, 0x2000
	v_lshlrev_b32_e32 v35, 23, v35
	v_and_or_b32 v1, 0x8000, v1, v37
	v_lshl_or_b32 v35, v1, 16, v35
.LBB265_87:                             ;   in Loop: Header=BB265_9 Depth=1
	s_or_b32 exec_lo, exec_lo, s33
.LBB265_88:                             ;   in Loop: Header=BB265_9 Depth=1
	s_or_b32 exec_lo, exec_lo, s31
.LBB265_89:                             ;   in Loop: Header=BB265_9 Depth=1
	s_or_b32 exec_lo, exec_lo, s3
	v_lshrrev_b32_e32 v1, 16, v9
	v_mov_b32_e32 v37, 0
	v_mov_b32_e32 v38, 0
	v_cmp_ne_u16_sdwa s2, v1, v2 src0_sel:BYTE_0 src1_sel:DWORD
	s_and_saveexec_b32 s3, s2
	s_cbranch_execz .LBB265_97
; %bb.90:                               ;   in Loop: Header=BB265_9 Depth=1
	v_cmp_ne_u16_sdwa s2, v1, v21 src0_sel:BYTE_0 src1_sel:DWORD
	v_mov_b32_e32 v38, 0x8000
	s_and_saveexec_b32 s31, s2
	s_cbranch_execz .LBB265_96
; %bb.91:                               ;   in Loop: Header=BB265_9 Depth=1
	v_bfe_u32 v40, v9, 16, 7
	v_mov_b32_e32 v38, 0x7c01
	s_mov_b32 s33, exec_lo
	v_cmpx_ne_u32_e32 0x7f, v40
	s_cbranch_execz .LBB265_95
; %bb.92:                               ;   in Loop: Header=BB265_9 Depth=1
	v_and_b32_e32 v38, 7, v1
	v_lshrrev_b32_e32 v39, 3, v40
	s_mov_b32 s34, exec_lo
	v_cmpx_gt_u32_e32 8, v40
; %bb.93:                               ;   in Loop: Header=BB265_9 Depth=1
	v_ffbh_u32_e32 v38, v38
	v_min_u32_e32 v40, 32, v38
	v_subrev_nc_u32_e32 v38, 28, v40
	v_lshlrev_b64 v[38:39], v38, v[1:2]
	v_sub_nc_u32_e32 v39, 29, v40
	v_and_b32_e32 v38, 7, v38
; %bb.94:                               ;   in Loop: Header=BB265_9 Depth=1
	s_or_b32 exec_lo, exec_lo, s34
	v_lshlrev_b32_e32 v1, 8, v1
	v_lshl_add_u32 v39, v39, 10, 0x2000
	v_lshlrev_b32_e32 v38, 7, v38
	v_and_b32_e32 v1, 0x8000, v1
	v_and_b32_e32 v39, 0xfc00, v39
	v_or3_b32 v38, v1, v39, v38
.LBB265_95:                             ;   in Loop: Header=BB265_9 Depth=1
	s_or_b32 exec_lo, exec_lo, s33
.LBB265_96:                             ;   in Loop: Header=BB265_9 Depth=1
	s_or_b32 exec_lo, exec_lo, s31
.LBB265_97:                             ;   in Loop: Header=BB265_9 Depth=1
	s_or_b32 exec_lo, exec_lo, s3
	s_mov_b32 s3, exec_lo
	v_cmpx_lt_u32_e32 0xffffff, v9
	s_cbranch_execz .LBB265_105
; %bb.98:                               ;   in Loop: Header=BB265_9 Depth=1
	v_lshrrev_b32_e32 v1, 24, v9
	v_bfrev_b32_e32 v37, 1
	s_mov_b32 s31, exec_lo
	v_cmpx_ne_u32_e32 0x80, v1
	s_cbranch_execz .LBB265_104
; %bb.99:                               ;   in Loop: Header=BB265_9 Depth=1
	v_and_b32_e32 v39, 0x7f, v1
	v_mov_b32_e32 v37, 0x7c010000
	s_mov_b32 s33, exec_lo
	v_cmpx_ne_u32_e32 0x7f, v39
	s_cbranch_execz .LBB265_103
; %bb.100:                              ;   in Loop: Header=BB265_9 Depth=1
	v_and_b32_e32 v9, 7, v1
	v_lshrrev_b32_e32 v37, 3, v39
	s_mov_b32 s34, exec_lo
	v_cmpx_gt_u32_e32 8, v39
; %bb.101:                              ;   in Loop: Header=BB265_9 Depth=1
	v_ffbh_u32_e32 v9, v9
	v_min_u32_e32 v9, 32, v9
	v_subrev_nc_u32_e32 v37, 28, v9
	v_lshlrev_b64 v[39:40], v37, v[1:2]
	v_sub_nc_u32_e32 v37, 29, v9
	v_and_b32_e32 v9, 7, v39
; %bb.102:                              ;   in Loop: Header=BB265_9 Depth=1
	s_or_b32 exec_lo, exec_lo, s34
	v_lshlrev_b32_e32 v1, 8, v1
	v_lshl_add_u32 v37, v37, 10, 0x2000
	v_lshlrev_b32_e32 v9, 23, v9
	v_and_or_b32 v1, 0x8000, v1, v37
	v_lshl_or_b32 v37, v1, 16, v9
.LBB265_103:                            ;   in Loop: Header=BB265_9 Depth=1
	s_or_b32 exec_lo, exec_lo, s33
.LBB265_104:                            ;   in Loop: Header=BB265_9 Depth=1
	s_or_b32 exec_lo, exec_lo, s31
.LBB265_105:                            ;   in Loop: Header=BB265_9 Depth=1
	s_or_b32 exec_lo, exec_lo, s3
	global_load_dword v9, v[7:8], off offset:264
	v_mov_b32_e32 v39, 0
	v_mov_b32_e32 v40, 0
	s_waitcnt vmcnt(0)
	v_cmp_ne_u16_sdwa s2, v9, v2 src0_sel:BYTE_0 src1_sel:DWORD
	s_and_saveexec_b32 s3, s2
	s_cbranch_execz .LBB265_113
; %bb.106:                              ;   in Loop: Header=BB265_9 Depth=1
	v_cmp_ne_u16_sdwa s2, v9, v21 src0_sel:BYTE_0 src1_sel:DWORD
	v_mov_b32_e32 v40, 0x8000
	s_and_saveexec_b32 s31, s2
	s_cbranch_execz .LBB265_112
; %bb.107:                              ;   in Loop: Header=BB265_9 Depth=1
	v_and_b32_e32 v41, 0x7f, v9
	v_mov_b32_e32 v40, 0x7c01
	s_mov_b32 s33, exec_lo
	v_cmpx_ne_u32_e32 0x7f, v41
	s_cbranch_execz .LBB265_111
; %bb.108:                              ;   in Loop: Header=BB265_9 Depth=1
	v_and_b32_e32 v1, 7, v9
	v_lshrrev_b32_e32 v40, 3, v41
	s_mov_b32 s34, exec_lo
	v_cmpx_gt_u32_e32 8, v41
; %bb.109:                              ;   in Loop: Header=BB265_9 Depth=1
	v_ffbh_u32_e32 v1, v1
	v_min_u32_e32 v1, 32, v1
	v_subrev_nc_u32_e32 v40, 28, v1
	v_lshlrev_b64 v[41:42], v40, v[9:10]
	v_sub_nc_u32_e32 v40, 29, v1
	v_and_b32_e32 v1, 7, v41
; %bb.110:                              ;   in Loop: Header=BB265_9 Depth=1
	s_or_b32 exec_lo, exec_lo, s34
	v_lshlrev_b32_e32 v41, 8, v9
	v_lshl_add_u32 v40, v40, 10, 0x2000
	v_lshlrev_b32_e32 v1, 7, v1
	v_and_b32_e32 v41, 0x8000, v41
	v_and_b32_e32 v40, 0xfc00, v40
	v_or3_b32 v40, v41, v40, v1
.LBB265_111:                            ;   in Loop: Header=BB265_9 Depth=1
	s_or_b32 exec_lo, exec_lo, s33
.LBB265_112:                            ;   in Loop: Header=BB265_9 Depth=1
	s_or_b32 exec_lo, exec_lo, s31
.LBB265_113:                            ;   in Loop: Header=BB265_9 Depth=1
	s_or_b32 exec_lo, exec_lo, s3
	v_lshrrev_b16 v1, 8, v9
	s_mov_b32 s3, exec_lo
	v_cmpx_ne_u16_e32 0, v1
	s_cbranch_execz .LBB265_121
; %bb.114:                              ;   in Loop: Header=BB265_9 Depth=1
	v_bfrev_b32_e32 v39, 1
	s_mov_b32 s31, exec_lo
	v_cmpx_ne_u16_e32 0x80, v1
	s_cbranch_execz .LBB265_120
; %bb.115:                              ;   in Loop: Header=BB265_9 Depth=1
	v_and_b32_sdwa v42, v1, v22 dst_sel:DWORD dst_unused:UNUSED_PAD src0_sel:WORD_0 src1_sel:DWORD
	v_mov_b32_e32 v39, 0x7c010000
	s_mov_b32 s33, exec_lo
	v_cmpx_ne_u32_e32 0x7f, v42
	s_cbranch_execz .LBB265_119
; %bb.116:                              ;   in Loop: Header=BB265_9 Depth=1
	v_and_b32_sdwa v39, v1, v23 dst_sel:DWORD dst_unused:UNUSED_PAD src0_sel:WORD_0 src1_sel:DWORD
	v_lshrrev_b32_e32 v41, 3, v42
	s_mov_b32 s34, exec_lo
	v_cmpx_gt_u32_e32 8, v42
; %bb.117:                              ;   in Loop: Header=BB265_9 Depth=1
	v_ffbh_u32_e32 v39, v39
	v_min_u32_e32 v39, 32, v39
	v_subrev_nc_u32_e32 v41, 28, v39
	v_lshlrev_b64 v[42:43], v41, v[1:2]
	v_sub_nc_u32_e32 v41, 29, v39
	v_and_b32_e32 v39, 7, v42
; %bb.118:                              ;   in Loop: Header=BB265_9 Depth=1
	s_or_b32 exec_lo, exec_lo, s34
	v_lshlrev_b32_sdwa v1, v24, v1 dst_sel:DWORD dst_unused:UNUSED_PAD src0_sel:DWORD src1_sel:WORD_0
	v_lshl_add_u32 v41, v41, 10, 0x2000
	v_lshlrev_b32_e32 v39, 23, v39
	v_and_or_b32 v1, 0x8000, v1, v41
	v_lshl_or_b32 v39, v1, 16, v39
.LBB265_119:                            ;   in Loop: Header=BB265_9 Depth=1
	s_or_b32 exec_lo, exec_lo, s33
.LBB265_120:                            ;   in Loop: Header=BB265_9 Depth=1
	s_or_b32 exec_lo, exec_lo, s31
.LBB265_121:                            ;   in Loop: Header=BB265_9 Depth=1
	s_or_b32 exec_lo, exec_lo, s3
	v_lshrrev_b32_e32 v1, 16, v9
	v_mov_b32_e32 v41, 0
	v_mov_b32_e32 v42, 0
	v_cmp_ne_u16_sdwa s2, v1, v2 src0_sel:BYTE_0 src1_sel:DWORD
	s_and_saveexec_b32 s3, s2
	s_cbranch_execz .LBB265_129
; %bb.122:                              ;   in Loop: Header=BB265_9 Depth=1
	v_cmp_ne_u16_sdwa s2, v1, v21 src0_sel:BYTE_0 src1_sel:DWORD
	v_mov_b32_e32 v42, 0x8000
	s_and_saveexec_b32 s31, s2
	s_cbranch_execz .LBB265_128
; %bb.123:                              ;   in Loop: Header=BB265_9 Depth=1
	v_bfe_u32 v44, v9, 16, 7
	v_mov_b32_e32 v42, 0x7c01
	s_mov_b32 s33, exec_lo
	v_cmpx_ne_u32_e32 0x7f, v44
	s_cbranch_execz .LBB265_127
; %bb.124:                              ;   in Loop: Header=BB265_9 Depth=1
	v_and_b32_e32 v42, 7, v1
	v_lshrrev_b32_e32 v43, 3, v44
	s_mov_b32 s34, exec_lo
	v_cmpx_gt_u32_e32 8, v44
; %bb.125:                              ;   in Loop: Header=BB265_9 Depth=1
	v_ffbh_u32_e32 v42, v42
	v_min_u32_e32 v44, 32, v42
	v_subrev_nc_u32_e32 v42, 28, v44
	v_lshlrev_b64 v[42:43], v42, v[1:2]
	v_sub_nc_u32_e32 v43, 29, v44
	v_and_b32_e32 v42, 7, v42
; %bb.126:                              ;   in Loop: Header=BB265_9 Depth=1
	s_or_b32 exec_lo, exec_lo, s34
	v_lshlrev_b32_e32 v1, 8, v1
	v_lshl_add_u32 v43, v43, 10, 0x2000
	v_lshlrev_b32_e32 v42, 7, v42
	v_and_b32_e32 v1, 0x8000, v1
	v_and_b32_e32 v43, 0xfc00, v43
	v_or3_b32 v42, v1, v43, v42
.LBB265_127:                            ;   in Loop: Header=BB265_9 Depth=1
	s_or_b32 exec_lo, exec_lo, s33
.LBB265_128:                            ;   in Loop: Header=BB265_9 Depth=1
	s_or_b32 exec_lo, exec_lo, s31
.LBB265_129:                            ;   in Loop: Header=BB265_9 Depth=1
	s_or_b32 exec_lo, exec_lo, s3
	s_mov_b32 s3, exec_lo
	v_cmpx_lt_u32_e32 0xffffff, v9
	s_cbranch_execz .LBB265_137
; %bb.130:                              ;   in Loop: Header=BB265_9 Depth=1
	v_lshrrev_b32_e32 v1, 24, v9
	v_bfrev_b32_e32 v41, 1
	s_mov_b32 s31, exec_lo
	v_cmpx_ne_u32_e32 0x80, v1
	s_cbranch_execz .LBB265_136
; %bb.131:                              ;   in Loop: Header=BB265_9 Depth=1
	v_and_b32_e32 v43, 0x7f, v1
	v_mov_b32_e32 v41, 0x7c010000
	s_mov_b32 s33, exec_lo
	v_cmpx_ne_u32_e32 0x7f, v43
	s_cbranch_execz .LBB265_135
; %bb.132:                              ;   in Loop: Header=BB265_9 Depth=1
	v_and_b32_e32 v9, 7, v1
	v_lshrrev_b32_e32 v41, 3, v43
	s_mov_b32 s34, exec_lo
	v_cmpx_gt_u32_e32 8, v43
; %bb.133:                              ;   in Loop: Header=BB265_9 Depth=1
	v_ffbh_u32_e32 v9, v9
	v_min_u32_e32 v9, 32, v9
	v_subrev_nc_u32_e32 v41, 28, v9
	v_lshlrev_b64 v[43:44], v41, v[1:2]
	v_sub_nc_u32_e32 v41, 29, v9
	v_and_b32_e32 v9, 7, v43
; %bb.134:                              ;   in Loop: Header=BB265_9 Depth=1
	s_or_b32 exec_lo, exec_lo, s34
	v_lshlrev_b32_e32 v1, 8, v1
	v_lshl_add_u32 v41, v41, 10, 0x2000
	v_lshlrev_b32_e32 v9, 23, v9
	v_and_or_b32 v1, 0x8000, v1, v41
	v_lshl_or_b32 v41, v1, 16, v9
.LBB265_135:                            ;   in Loop: Header=BB265_9 Depth=1
	s_or_b32 exec_lo, exec_lo, s33
.LBB265_136:                            ;   in Loop: Header=BB265_9 Depth=1
	s_or_b32 exec_lo, exec_lo, s31
.LBB265_137:                            ;   in Loop: Header=BB265_9 Depth=1
	s_or_b32 exec_lo, exec_lo, s3
	global_load_dword v9, v[7:8], off offset:512
	v_mov_b32_e32 v43, 0
	v_mov_b32_e32 v44, 0
	s_waitcnt vmcnt(0)
	v_cmp_ne_u16_sdwa s2, v9, v2 src0_sel:BYTE_0 src1_sel:DWORD
	s_and_saveexec_b32 s3, s2
	s_cbranch_execz .LBB265_145
; %bb.138:                              ;   in Loop: Header=BB265_9 Depth=1
	v_cmp_ne_u16_sdwa s2, v9, v21 src0_sel:BYTE_0 src1_sel:DWORD
	v_mov_b32_e32 v44, 0x8000
	s_and_saveexec_b32 s31, s2
	s_cbranch_execz .LBB265_144
; %bb.139:                              ;   in Loop: Header=BB265_9 Depth=1
	v_and_b32_e32 v45, 0x7f, v9
	v_mov_b32_e32 v44, 0x7c01
	s_mov_b32 s33, exec_lo
	v_cmpx_ne_u32_e32 0x7f, v45
	s_cbranch_execz .LBB265_143
; %bb.140:                              ;   in Loop: Header=BB265_9 Depth=1
	v_and_b32_e32 v1, 7, v9
	v_lshrrev_b32_e32 v44, 3, v45
	s_mov_b32 s34, exec_lo
	v_cmpx_gt_u32_e32 8, v45
; %bb.141:                              ;   in Loop: Header=BB265_9 Depth=1
	v_ffbh_u32_e32 v1, v1
	v_min_u32_e32 v1, 32, v1
	v_subrev_nc_u32_e32 v44, 28, v1
	v_lshlrev_b64 v[45:46], v44, v[9:10]
	v_sub_nc_u32_e32 v44, 29, v1
	v_and_b32_e32 v1, 7, v45
; %bb.142:                              ;   in Loop: Header=BB265_9 Depth=1
	s_or_b32 exec_lo, exec_lo, s34
	v_lshlrev_b32_e32 v45, 8, v9
	v_lshl_add_u32 v44, v44, 10, 0x2000
	v_lshlrev_b32_e32 v1, 7, v1
	v_and_b32_e32 v45, 0x8000, v45
	v_and_b32_e32 v44, 0xfc00, v44
	v_or3_b32 v44, v45, v44, v1
.LBB265_143:                            ;   in Loop: Header=BB265_9 Depth=1
	s_or_b32 exec_lo, exec_lo, s33
.LBB265_144:                            ;   in Loop: Header=BB265_9 Depth=1
	s_or_b32 exec_lo, exec_lo, s31
.LBB265_145:                            ;   in Loop: Header=BB265_9 Depth=1
	s_or_b32 exec_lo, exec_lo, s3
	v_lshrrev_b16 v1, 8, v9
	s_mov_b32 s3, exec_lo
	v_cmpx_ne_u16_e32 0, v1
	s_cbranch_execz .LBB265_153
; %bb.146:                              ;   in Loop: Header=BB265_9 Depth=1
	v_bfrev_b32_e32 v43, 1
	s_mov_b32 s31, exec_lo
	v_cmpx_ne_u16_e32 0x80, v1
	s_cbranch_execz .LBB265_152
; %bb.147:                              ;   in Loop: Header=BB265_9 Depth=1
	v_and_b32_sdwa v46, v1, v22 dst_sel:DWORD dst_unused:UNUSED_PAD src0_sel:WORD_0 src1_sel:DWORD
	v_mov_b32_e32 v43, 0x7c010000
	s_mov_b32 s33, exec_lo
	v_cmpx_ne_u32_e32 0x7f, v46
	s_cbranch_execz .LBB265_151
; %bb.148:                              ;   in Loop: Header=BB265_9 Depth=1
	v_and_b32_sdwa v43, v1, v23 dst_sel:DWORD dst_unused:UNUSED_PAD src0_sel:WORD_0 src1_sel:DWORD
	v_lshrrev_b32_e32 v45, 3, v46
	s_mov_b32 s34, exec_lo
	v_cmpx_gt_u32_e32 8, v46
; %bb.149:                              ;   in Loop: Header=BB265_9 Depth=1
	v_ffbh_u32_e32 v43, v43
	v_min_u32_e32 v43, 32, v43
	v_subrev_nc_u32_e32 v45, 28, v43
	v_lshlrev_b64 v[46:47], v45, v[1:2]
	v_sub_nc_u32_e32 v45, 29, v43
	v_and_b32_e32 v43, 7, v46
; %bb.150:                              ;   in Loop: Header=BB265_9 Depth=1
	s_or_b32 exec_lo, exec_lo, s34
	v_lshlrev_b32_sdwa v1, v24, v1 dst_sel:DWORD dst_unused:UNUSED_PAD src0_sel:DWORD src1_sel:WORD_0
	v_lshl_add_u32 v45, v45, 10, 0x2000
	v_lshlrev_b32_e32 v43, 23, v43
	v_and_or_b32 v1, 0x8000, v1, v45
	v_lshl_or_b32 v43, v1, 16, v43
.LBB265_151:                            ;   in Loop: Header=BB265_9 Depth=1
	s_or_b32 exec_lo, exec_lo, s33
.LBB265_152:                            ;   in Loop: Header=BB265_9 Depth=1
	s_or_b32 exec_lo, exec_lo, s31
.LBB265_153:                            ;   in Loop: Header=BB265_9 Depth=1
	s_or_b32 exec_lo, exec_lo, s3
	v_lshrrev_b32_e32 v1, 16, v9
	v_mov_b32_e32 v45, 0
	v_mov_b32_e32 v46, 0
	v_cmp_ne_u16_sdwa s2, v1, v2 src0_sel:BYTE_0 src1_sel:DWORD
	s_and_saveexec_b32 s3, s2
	s_cbranch_execz .LBB265_161
; %bb.154:                              ;   in Loop: Header=BB265_9 Depth=1
	v_cmp_ne_u16_sdwa s2, v1, v21 src0_sel:BYTE_0 src1_sel:DWORD
	v_mov_b32_e32 v46, 0x8000
	s_and_saveexec_b32 s31, s2
	s_cbranch_execz .LBB265_160
; %bb.155:                              ;   in Loop: Header=BB265_9 Depth=1
	v_bfe_u32 v48, v9, 16, 7
	v_mov_b32_e32 v46, 0x7c01
	s_mov_b32 s33, exec_lo
	v_cmpx_ne_u32_e32 0x7f, v48
	s_cbranch_execz .LBB265_159
; %bb.156:                              ;   in Loop: Header=BB265_9 Depth=1
	v_and_b32_e32 v46, 7, v1
	v_lshrrev_b32_e32 v47, 3, v48
	s_mov_b32 s34, exec_lo
	v_cmpx_gt_u32_e32 8, v48
; %bb.157:                              ;   in Loop: Header=BB265_9 Depth=1
	v_ffbh_u32_e32 v46, v46
	v_min_u32_e32 v48, 32, v46
	v_subrev_nc_u32_e32 v46, 28, v48
	v_lshlrev_b64 v[46:47], v46, v[1:2]
	v_sub_nc_u32_e32 v47, 29, v48
	v_and_b32_e32 v46, 7, v46
; %bb.158:                              ;   in Loop: Header=BB265_9 Depth=1
	s_or_b32 exec_lo, exec_lo, s34
	v_lshlrev_b32_e32 v1, 8, v1
	v_lshl_add_u32 v47, v47, 10, 0x2000
	v_lshlrev_b32_e32 v46, 7, v46
	v_and_b32_e32 v1, 0x8000, v1
	v_and_b32_e32 v47, 0xfc00, v47
	v_or3_b32 v46, v1, v47, v46
.LBB265_159:                            ;   in Loop: Header=BB265_9 Depth=1
	s_or_b32 exec_lo, exec_lo, s33
.LBB265_160:                            ;   in Loop: Header=BB265_9 Depth=1
	s_or_b32 exec_lo, exec_lo, s31
.LBB265_161:                            ;   in Loop: Header=BB265_9 Depth=1
	s_or_b32 exec_lo, exec_lo, s3
	s_mov_b32 s3, exec_lo
	v_cmpx_lt_u32_e32 0xffffff, v9
	s_cbranch_execz .LBB265_169
; %bb.162:                              ;   in Loop: Header=BB265_9 Depth=1
	v_lshrrev_b32_e32 v1, 24, v9
	v_bfrev_b32_e32 v45, 1
	s_mov_b32 s31, exec_lo
	v_cmpx_ne_u32_e32 0x80, v1
	s_cbranch_execz .LBB265_168
; %bb.163:                              ;   in Loop: Header=BB265_9 Depth=1
	v_and_b32_e32 v47, 0x7f, v1
	v_mov_b32_e32 v45, 0x7c010000
	s_mov_b32 s33, exec_lo
	v_cmpx_ne_u32_e32 0x7f, v47
	s_cbranch_execz .LBB265_167
; %bb.164:                              ;   in Loop: Header=BB265_9 Depth=1
	v_and_b32_e32 v9, 7, v1
	v_lshrrev_b32_e32 v45, 3, v47
	s_mov_b32 s34, exec_lo
	v_cmpx_gt_u32_e32 8, v47
; %bb.165:                              ;   in Loop: Header=BB265_9 Depth=1
	v_ffbh_u32_e32 v9, v9
	v_min_u32_e32 v9, 32, v9
	v_subrev_nc_u32_e32 v45, 28, v9
	v_lshlrev_b64 v[47:48], v45, v[1:2]
	v_sub_nc_u32_e32 v45, 29, v9
	v_and_b32_e32 v9, 7, v47
; %bb.166:                              ;   in Loop: Header=BB265_9 Depth=1
	s_or_b32 exec_lo, exec_lo, s34
	v_lshlrev_b32_e32 v1, 8, v1
	v_lshl_add_u32 v45, v45, 10, 0x2000
	v_lshlrev_b32_e32 v9, 23, v9
	v_and_or_b32 v1, 0x8000, v1, v45
	v_lshl_or_b32 v45, v1, 16, v9
.LBB265_167:                            ;   in Loop: Header=BB265_9 Depth=1
	s_or_b32 exec_lo, exec_lo, s33
.LBB265_168:                            ;   in Loop: Header=BB265_9 Depth=1
	s_or_b32 exec_lo, exec_lo, s31
.LBB265_169:                            ;   in Loop: Header=BB265_9 Depth=1
	s_or_b32 exec_lo, exec_lo, s3
	global_load_dword v9, v[7:8], off offset:520
	v_mov_b32_e32 v47, 0
	v_mov_b32_e32 v48, 0
	s_waitcnt vmcnt(0)
	v_cmp_ne_u16_sdwa s2, v9, v2 src0_sel:BYTE_0 src1_sel:DWORD
	s_and_saveexec_b32 s3, s2
	s_cbranch_execz .LBB265_177
; %bb.170:                              ;   in Loop: Header=BB265_9 Depth=1
	v_cmp_ne_u16_sdwa s2, v9, v21 src0_sel:BYTE_0 src1_sel:DWORD
	v_mov_b32_e32 v48, 0x8000
	s_and_saveexec_b32 s31, s2
	s_cbranch_execz .LBB265_176
; %bb.171:                              ;   in Loop: Header=BB265_9 Depth=1
	v_and_b32_e32 v49, 0x7f, v9
	v_mov_b32_e32 v48, 0x7c01
	s_mov_b32 s33, exec_lo
	v_cmpx_ne_u32_e32 0x7f, v49
	s_cbranch_execz .LBB265_175
; %bb.172:                              ;   in Loop: Header=BB265_9 Depth=1
	v_and_b32_e32 v1, 7, v9
	v_lshrrev_b32_e32 v48, 3, v49
	s_mov_b32 s34, exec_lo
	v_cmpx_gt_u32_e32 8, v49
; %bb.173:                              ;   in Loop: Header=BB265_9 Depth=1
	v_ffbh_u32_e32 v1, v1
	v_min_u32_e32 v1, 32, v1
	v_subrev_nc_u32_e32 v48, 28, v1
	v_lshlrev_b64 v[49:50], v48, v[9:10]
	v_sub_nc_u32_e32 v48, 29, v1
	v_and_b32_e32 v1, 7, v49
; %bb.174:                              ;   in Loop: Header=BB265_9 Depth=1
	s_or_b32 exec_lo, exec_lo, s34
	v_lshlrev_b32_e32 v49, 8, v9
	v_lshl_add_u32 v48, v48, 10, 0x2000
	v_lshlrev_b32_e32 v1, 7, v1
	v_and_b32_e32 v49, 0x8000, v49
	v_and_b32_e32 v48, 0xfc00, v48
	v_or3_b32 v48, v49, v48, v1
.LBB265_175:                            ;   in Loop: Header=BB265_9 Depth=1
	s_or_b32 exec_lo, exec_lo, s33
.LBB265_176:                            ;   in Loop: Header=BB265_9 Depth=1
	s_or_b32 exec_lo, exec_lo, s31
.LBB265_177:                            ;   in Loop: Header=BB265_9 Depth=1
	s_or_b32 exec_lo, exec_lo, s3
	v_lshrrev_b16 v1, 8, v9
	s_mov_b32 s3, exec_lo
	v_cmpx_ne_u16_e32 0, v1
	s_cbranch_execz .LBB265_185
; %bb.178:                              ;   in Loop: Header=BB265_9 Depth=1
	v_bfrev_b32_e32 v47, 1
	s_mov_b32 s31, exec_lo
	v_cmpx_ne_u16_e32 0x80, v1
	s_cbranch_execz .LBB265_184
; %bb.179:                              ;   in Loop: Header=BB265_9 Depth=1
	v_and_b32_sdwa v50, v1, v22 dst_sel:DWORD dst_unused:UNUSED_PAD src0_sel:WORD_0 src1_sel:DWORD
	v_mov_b32_e32 v47, 0x7c010000
	s_mov_b32 s33, exec_lo
	v_cmpx_ne_u32_e32 0x7f, v50
	s_cbranch_execz .LBB265_183
; %bb.180:                              ;   in Loop: Header=BB265_9 Depth=1
	v_and_b32_sdwa v47, v1, v23 dst_sel:DWORD dst_unused:UNUSED_PAD src0_sel:WORD_0 src1_sel:DWORD
	v_lshrrev_b32_e32 v49, 3, v50
	s_mov_b32 s34, exec_lo
	v_cmpx_gt_u32_e32 8, v50
; %bb.181:                              ;   in Loop: Header=BB265_9 Depth=1
	v_ffbh_u32_e32 v47, v47
	v_min_u32_e32 v47, 32, v47
	v_subrev_nc_u32_e32 v49, 28, v47
	v_lshlrev_b64 v[50:51], v49, v[1:2]
	v_sub_nc_u32_e32 v49, 29, v47
	v_and_b32_e32 v47, 7, v50
; %bb.182:                              ;   in Loop: Header=BB265_9 Depth=1
	s_or_b32 exec_lo, exec_lo, s34
	v_lshlrev_b32_sdwa v1, v24, v1 dst_sel:DWORD dst_unused:UNUSED_PAD src0_sel:DWORD src1_sel:WORD_0
	v_lshl_add_u32 v49, v49, 10, 0x2000
	v_lshlrev_b32_e32 v47, 23, v47
	v_and_or_b32 v1, 0x8000, v1, v49
	v_lshl_or_b32 v47, v1, 16, v47
.LBB265_183:                            ;   in Loop: Header=BB265_9 Depth=1
	s_or_b32 exec_lo, exec_lo, s33
.LBB265_184:                            ;   in Loop: Header=BB265_9 Depth=1
	s_or_b32 exec_lo, exec_lo, s31
.LBB265_185:                            ;   in Loop: Header=BB265_9 Depth=1
	s_or_b32 exec_lo, exec_lo, s3
	v_lshrrev_b32_e32 v1, 16, v9
	v_mov_b32_e32 v49, 0
	v_mov_b32_e32 v50, 0
	v_cmp_ne_u16_sdwa s2, v1, v2 src0_sel:BYTE_0 src1_sel:DWORD
	s_and_saveexec_b32 s3, s2
	s_cbranch_execz .LBB265_193
; %bb.186:                              ;   in Loop: Header=BB265_9 Depth=1
	v_cmp_ne_u16_sdwa s2, v1, v21 src0_sel:BYTE_0 src1_sel:DWORD
	v_mov_b32_e32 v50, 0x8000
	s_and_saveexec_b32 s31, s2
	s_cbranch_execz .LBB265_192
; %bb.187:                              ;   in Loop: Header=BB265_9 Depth=1
	v_bfe_u32 v52, v9, 16, 7
	v_mov_b32_e32 v50, 0x7c01
	s_mov_b32 s33, exec_lo
	v_cmpx_ne_u32_e32 0x7f, v52
	s_cbranch_execz .LBB265_191
; %bb.188:                              ;   in Loop: Header=BB265_9 Depth=1
	v_and_b32_e32 v50, 7, v1
	v_lshrrev_b32_e32 v51, 3, v52
	s_mov_b32 s34, exec_lo
	v_cmpx_gt_u32_e32 8, v52
; %bb.189:                              ;   in Loop: Header=BB265_9 Depth=1
	v_ffbh_u32_e32 v50, v50
	v_min_u32_e32 v52, 32, v50
	v_subrev_nc_u32_e32 v50, 28, v52
	v_lshlrev_b64 v[50:51], v50, v[1:2]
	v_sub_nc_u32_e32 v51, 29, v52
	v_and_b32_e32 v50, 7, v50
; %bb.190:                              ;   in Loop: Header=BB265_9 Depth=1
	s_or_b32 exec_lo, exec_lo, s34
	v_lshlrev_b32_e32 v1, 8, v1
	v_lshl_add_u32 v51, v51, 10, 0x2000
	v_lshlrev_b32_e32 v50, 7, v50
	v_and_b32_e32 v1, 0x8000, v1
	v_and_b32_e32 v51, 0xfc00, v51
	v_or3_b32 v50, v1, v51, v50
.LBB265_191:                            ;   in Loop: Header=BB265_9 Depth=1
	s_or_b32 exec_lo, exec_lo, s33
.LBB265_192:                            ;   in Loop: Header=BB265_9 Depth=1
	s_or_b32 exec_lo, exec_lo, s31
.LBB265_193:                            ;   in Loop: Header=BB265_9 Depth=1
	s_or_b32 exec_lo, exec_lo, s3
	s_mov_b32 s3, exec_lo
	v_cmpx_lt_u32_e32 0xffffff, v9
	s_cbranch_execz .LBB265_201
; %bb.194:                              ;   in Loop: Header=BB265_9 Depth=1
	v_lshrrev_b32_e32 v1, 24, v9
	v_bfrev_b32_e32 v49, 1
	s_mov_b32 s31, exec_lo
	v_cmpx_ne_u32_e32 0x80, v1
	s_cbranch_execz .LBB265_200
; %bb.195:                              ;   in Loop: Header=BB265_9 Depth=1
	v_and_b32_e32 v51, 0x7f, v1
	v_mov_b32_e32 v49, 0x7c010000
	s_mov_b32 s33, exec_lo
	v_cmpx_ne_u32_e32 0x7f, v51
	s_cbranch_execz .LBB265_199
; %bb.196:                              ;   in Loop: Header=BB265_9 Depth=1
	v_and_b32_e32 v9, 7, v1
	v_lshrrev_b32_e32 v49, 3, v51
	s_mov_b32 s34, exec_lo
	v_cmpx_gt_u32_e32 8, v51
; %bb.197:                              ;   in Loop: Header=BB265_9 Depth=1
	v_ffbh_u32_e32 v9, v9
	v_min_u32_e32 v9, 32, v9
	v_subrev_nc_u32_e32 v49, 28, v9
	v_lshlrev_b64 v[51:52], v49, v[1:2]
	v_sub_nc_u32_e32 v49, 29, v9
	v_and_b32_e32 v9, 7, v51
; %bb.198:                              ;   in Loop: Header=BB265_9 Depth=1
	s_or_b32 exec_lo, exec_lo, s34
	v_lshlrev_b32_e32 v1, 8, v1
	v_lshl_add_u32 v49, v49, 10, 0x2000
	v_lshlrev_b32_e32 v9, 23, v9
	v_and_or_b32 v1, 0x8000, v1, v49
	v_lshl_or_b32 v49, v1, 16, v9
.LBB265_199:                            ;   in Loop: Header=BB265_9 Depth=1
	s_or_b32 exec_lo, exec_lo, s33
.LBB265_200:                            ;   in Loop: Header=BB265_9 Depth=1
	s_or_b32 exec_lo, exec_lo, s31
.LBB265_201:                            ;   in Loop: Header=BB265_9 Depth=1
	s_or_b32 exec_lo, exec_lo, s3
	global_load_dword v9, v[7:8], off offset:768
	v_mov_b32_e32 v51, 0
	v_mov_b32_e32 v52, 0
	s_waitcnt vmcnt(0)
	v_cmp_ne_u16_sdwa s2, v9, v2 src0_sel:BYTE_0 src1_sel:DWORD
	s_and_saveexec_b32 s3, s2
	s_cbranch_execz .LBB265_209
; %bb.202:                              ;   in Loop: Header=BB265_9 Depth=1
	v_cmp_ne_u16_sdwa s2, v9, v21 src0_sel:BYTE_0 src1_sel:DWORD
	v_mov_b32_e32 v52, 0x8000
	s_and_saveexec_b32 s31, s2
	s_cbranch_execz .LBB265_208
; %bb.203:                              ;   in Loop: Header=BB265_9 Depth=1
	v_and_b32_e32 v53, 0x7f, v9
	v_mov_b32_e32 v52, 0x7c01
	s_mov_b32 s33, exec_lo
	v_cmpx_ne_u32_e32 0x7f, v53
	s_cbranch_execz .LBB265_207
; %bb.204:                              ;   in Loop: Header=BB265_9 Depth=1
	v_and_b32_e32 v1, 7, v9
	v_lshrrev_b32_e32 v52, 3, v53
	s_mov_b32 s34, exec_lo
	v_cmpx_gt_u32_e32 8, v53
; %bb.205:                              ;   in Loop: Header=BB265_9 Depth=1
	v_ffbh_u32_e32 v1, v1
	v_min_u32_e32 v1, 32, v1
	v_subrev_nc_u32_e32 v52, 28, v1
	v_lshlrev_b64 v[53:54], v52, v[9:10]
	v_sub_nc_u32_e32 v52, 29, v1
	v_and_b32_e32 v1, 7, v53
; %bb.206:                              ;   in Loop: Header=BB265_9 Depth=1
	s_or_b32 exec_lo, exec_lo, s34
	v_lshlrev_b32_e32 v53, 8, v9
	v_lshl_add_u32 v52, v52, 10, 0x2000
	v_lshlrev_b32_e32 v1, 7, v1
	v_and_b32_e32 v53, 0x8000, v53
	v_and_b32_e32 v52, 0xfc00, v52
	v_or3_b32 v52, v53, v52, v1
.LBB265_207:                            ;   in Loop: Header=BB265_9 Depth=1
	s_or_b32 exec_lo, exec_lo, s33
.LBB265_208:                            ;   in Loop: Header=BB265_9 Depth=1
	s_or_b32 exec_lo, exec_lo, s31
.LBB265_209:                            ;   in Loop: Header=BB265_9 Depth=1
	s_or_b32 exec_lo, exec_lo, s3
	v_lshrrev_b16 v1, 8, v9
	s_mov_b32 s3, exec_lo
	v_cmpx_ne_u16_e32 0, v1
	s_cbranch_execz .LBB265_217
; %bb.210:                              ;   in Loop: Header=BB265_9 Depth=1
	v_bfrev_b32_e32 v51, 1
	s_mov_b32 s31, exec_lo
	v_cmpx_ne_u16_e32 0x80, v1
	s_cbranch_execz .LBB265_216
; %bb.211:                              ;   in Loop: Header=BB265_9 Depth=1
	v_and_b32_sdwa v54, v1, v22 dst_sel:DWORD dst_unused:UNUSED_PAD src0_sel:WORD_0 src1_sel:DWORD
	v_mov_b32_e32 v51, 0x7c010000
	s_mov_b32 s33, exec_lo
	v_cmpx_ne_u32_e32 0x7f, v54
	s_cbranch_execz .LBB265_215
; %bb.212:                              ;   in Loop: Header=BB265_9 Depth=1
	v_and_b32_sdwa v51, v1, v23 dst_sel:DWORD dst_unused:UNUSED_PAD src0_sel:WORD_0 src1_sel:DWORD
	v_lshrrev_b32_e32 v53, 3, v54
	s_mov_b32 s34, exec_lo
	v_cmpx_gt_u32_e32 8, v54
; %bb.213:                              ;   in Loop: Header=BB265_9 Depth=1
	v_ffbh_u32_e32 v51, v51
	v_min_u32_e32 v51, 32, v51
	v_subrev_nc_u32_e32 v53, 28, v51
	v_lshlrev_b64 v[54:55], v53, v[1:2]
	v_sub_nc_u32_e32 v53, 29, v51
	v_and_b32_e32 v51, 7, v54
; %bb.214:                              ;   in Loop: Header=BB265_9 Depth=1
	s_or_b32 exec_lo, exec_lo, s34
	v_lshlrev_b32_sdwa v1, v24, v1 dst_sel:DWORD dst_unused:UNUSED_PAD src0_sel:DWORD src1_sel:WORD_0
	v_lshl_add_u32 v53, v53, 10, 0x2000
	v_lshlrev_b32_e32 v51, 23, v51
	v_and_or_b32 v1, 0x8000, v1, v53
	v_lshl_or_b32 v51, v1, 16, v51
.LBB265_215:                            ;   in Loop: Header=BB265_9 Depth=1
	s_or_b32 exec_lo, exec_lo, s33
.LBB265_216:                            ;   in Loop: Header=BB265_9 Depth=1
	s_or_b32 exec_lo, exec_lo, s31
.LBB265_217:                            ;   in Loop: Header=BB265_9 Depth=1
	s_or_b32 exec_lo, exec_lo, s3
	v_lshrrev_b32_e32 v1, 16, v9
	v_mov_b32_e32 v53, 0
	v_mov_b32_e32 v54, 0
	v_cmp_ne_u16_sdwa s2, v1, v2 src0_sel:BYTE_0 src1_sel:DWORD
	s_and_saveexec_b32 s3, s2
	s_cbranch_execz .LBB265_225
; %bb.218:                              ;   in Loop: Header=BB265_9 Depth=1
	v_cmp_ne_u16_sdwa s2, v1, v21 src0_sel:BYTE_0 src1_sel:DWORD
	v_mov_b32_e32 v54, 0x8000
	s_and_saveexec_b32 s31, s2
	s_cbranch_execz .LBB265_224
; %bb.219:                              ;   in Loop: Header=BB265_9 Depth=1
	v_bfe_u32 v56, v9, 16, 7
	v_mov_b32_e32 v54, 0x7c01
	s_mov_b32 s33, exec_lo
	v_cmpx_ne_u32_e32 0x7f, v56
	s_cbranch_execz .LBB265_223
; %bb.220:                              ;   in Loop: Header=BB265_9 Depth=1
	v_and_b32_e32 v54, 7, v1
	v_lshrrev_b32_e32 v55, 3, v56
	s_mov_b32 s34, exec_lo
	v_cmpx_gt_u32_e32 8, v56
; %bb.221:                              ;   in Loop: Header=BB265_9 Depth=1
	v_ffbh_u32_e32 v54, v54
	v_min_u32_e32 v56, 32, v54
	v_subrev_nc_u32_e32 v54, 28, v56
	v_lshlrev_b64 v[54:55], v54, v[1:2]
	v_sub_nc_u32_e32 v55, 29, v56
	v_and_b32_e32 v54, 7, v54
; %bb.222:                              ;   in Loop: Header=BB265_9 Depth=1
	s_or_b32 exec_lo, exec_lo, s34
	v_lshlrev_b32_e32 v1, 8, v1
	v_lshl_add_u32 v55, v55, 10, 0x2000
	v_lshlrev_b32_e32 v54, 7, v54
	v_and_b32_e32 v1, 0x8000, v1
	v_and_b32_e32 v55, 0xfc00, v55
	v_or3_b32 v54, v1, v55, v54
.LBB265_223:                            ;   in Loop: Header=BB265_9 Depth=1
	s_or_b32 exec_lo, exec_lo, s33
.LBB265_224:                            ;   in Loop: Header=BB265_9 Depth=1
	s_or_b32 exec_lo, exec_lo, s31
.LBB265_225:                            ;   in Loop: Header=BB265_9 Depth=1
	s_or_b32 exec_lo, exec_lo, s3
	s_mov_b32 s3, exec_lo
	v_cmpx_lt_u32_e32 0xffffff, v9
	s_cbranch_execz .LBB265_233
; %bb.226:                              ;   in Loop: Header=BB265_9 Depth=1
	v_lshrrev_b32_e32 v1, 24, v9
	v_bfrev_b32_e32 v53, 1
	s_mov_b32 s31, exec_lo
	v_cmpx_ne_u32_e32 0x80, v1
	s_cbranch_execz .LBB265_232
; %bb.227:                              ;   in Loop: Header=BB265_9 Depth=1
	v_and_b32_e32 v55, 0x7f, v1
	v_mov_b32_e32 v53, 0x7c010000
	s_mov_b32 s33, exec_lo
	v_cmpx_ne_u32_e32 0x7f, v55
	s_cbranch_execz .LBB265_231
; %bb.228:                              ;   in Loop: Header=BB265_9 Depth=1
	v_and_b32_e32 v9, 7, v1
	v_lshrrev_b32_e32 v53, 3, v55
	s_mov_b32 s34, exec_lo
	v_cmpx_gt_u32_e32 8, v55
; %bb.229:                              ;   in Loop: Header=BB265_9 Depth=1
	v_ffbh_u32_e32 v9, v9
	v_min_u32_e32 v9, 32, v9
	v_subrev_nc_u32_e32 v53, 28, v9
	v_lshlrev_b64 v[55:56], v53, v[1:2]
	v_sub_nc_u32_e32 v53, 29, v9
	v_and_b32_e32 v9, 7, v55
; %bb.230:                              ;   in Loop: Header=BB265_9 Depth=1
	s_or_b32 exec_lo, exec_lo, s34
	v_lshlrev_b32_e32 v1, 8, v1
	v_lshl_add_u32 v53, v53, 10, 0x2000
	v_lshlrev_b32_e32 v9, 23, v9
	v_and_or_b32 v1, 0x8000, v1, v53
	v_lshl_or_b32 v53, v1, 16, v9
.LBB265_231:                            ;   in Loop: Header=BB265_9 Depth=1
	s_or_b32 exec_lo, exec_lo, s33
.LBB265_232:                            ;   in Loop: Header=BB265_9 Depth=1
	s_or_b32 exec_lo, exec_lo, s31
.LBB265_233:                            ;   in Loop: Header=BB265_9 Depth=1
	s_or_b32 exec_lo, exec_lo, s3
	global_load_dword v9, v[7:8], off offset:776
	v_mov_b32_e32 v55, 0
	v_mov_b32_e32 v56, 0
	s_waitcnt vmcnt(0)
	v_cmp_ne_u16_sdwa s2, v9, v2 src0_sel:BYTE_0 src1_sel:DWORD
	s_and_saveexec_b32 s3, s2
	s_cbranch_execz .LBB265_241
; %bb.234:                              ;   in Loop: Header=BB265_9 Depth=1
	v_cmp_ne_u16_sdwa s2, v9, v21 src0_sel:BYTE_0 src1_sel:DWORD
	v_mov_b32_e32 v56, 0x8000
	s_and_saveexec_b32 s31, s2
	s_cbranch_execz .LBB265_240
; %bb.235:                              ;   in Loop: Header=BB265_9 Depth=1
	v_and_b32_e32 v57, 0x7f, v9
	v_mov_b32_e32 v56, 0x7c01
	s_mov_b32 s33, exec_lo
	v_cmpx_ne_u32_e32 0x7f, v57
	s_cbranch_execz .LBB265_239
; %bb.236:                              ;   in Loop: Header=BB265_9 Depth=1
	v_and_b32_e32 v1, 7, v9
	v_lshrrev_b32_e32 v56, 3, v57
	s_mov_b32 s34, exec_lo
	v_cmpx_gt_u32_e32 8, v57
; %bb.237:                              ;   in Loop: Header=BB265_9 Depth=1
	v_ffbh_u32_e32 v1, v1
	v_min_u32_e32 v1, 32, v1
	v_subrev_nc_u32_e32 v56, 28, v1
	v_lshlrev_b64 v[57:58], v56, v[9:10]
	v_sub_nc_u32_e32 v56, 29, v1
	v_and_b32_e32 v1, 7, v57
; %bb.238:                              ;   in Loop: Header=BB265_9 Depth=1
	s_or_b32 exec_lo, exec_lo, s34
	v_lshlrev_b32_e32 v57, 8, v9
	v_lshl_add_u32 v56, v56, 10, 0x2000
	v_lshlrev_b32_e32 v1, 7, v1
	v_and_b32_e32 v57, 0x8000, v57
	v_and_b32_e32 v56, 0xfc00, v56
	v_or3_b32 v56, v57, v56, v1
.LBB265_239:                            ;   in Loop: Header=BB265_9 Depth=1
	s_or_b32 exec_lo, exec_lo, s33
.LBB265_240:                            ;   in Loop: Header=BB265_9 Depth=1
	s_or_b32 exec_lo, exec_lo, s31
.LBB265_241:                            ;   in Loop: Header=BB265_9 Depth=1
	s_or_b32 exec_lo, exec_lo, s3
	v_lshrrev_b16 v1, 8, v9
	s_mov_b32 s3, exec_lo
	v_cmpx_ne_u16_e32 0, v1
	s_cbranch_execz .LBB265_249
; %bb.242:                              ;   in Loop: Header=BB265_9 Depth=1
	v_bfrev_b32_e32 v55, 1
	s_mov_b32 s31, exec_lo
	v_cmpx_ne_u16_e32 0x80, v1
	s_cbranch_execz .LBB265_248
; %bb.243:                              ;   in Loop: Header=BB265_9 Depth=1
	v_and_b32_sdwa v58, v1, v22 dst_sel:DWORD dst_unused:UNUSED_PAD src0_sel:WORD_0 src1_sel:DWORD
	v_mov_b32_e32 v55, 0x7c010000
	s_mov_b32 s33, exec_lo
	v_cmpx_ne_u32_e32 0x7f, v58
	s_cbranch_execz .LBB265_247
; %bb.244:                              ;   in Loop: Header=BB265_9 Depth=1
	v_and_b32_sdwa v55, v1, v23 dst_sel:DWORD dst_unused:UNUSED_PAD src0_sel:WORD_0 src1_sel:DWORD
	v_lshrrev_b32_e32 v57, 3, v58
	s_mov_b32 s34, exec_lo
	v_cmpx_gt_u32_e32 8, v58
; %bb.245:                              ;   in Loop: Header=BB265_9 Depth=1
	v_ffbh_u32_e32 v55, v55
	v_min_u32_e32 v55, 32, v55
	v_subrev_nc_u32_e32 v57, 28, v55
	v_lshlrev_b64 v[58:59], v57, v[1:2]
	v_sub_nc_u32_e32 v57, 29, v55
	v_and_b32_e32 v55, 7, v58
; %bb.246:                              ;   in Loop: Header=BB265_9 Depth=1
	s_or_b32 exec_lo, exec_lo, s34
	v_lshlrev_b32_sdwa v1, v24, v1 dst_sel:DWORD dst_unused:UNUSED_PAD src0_sel:DWORD src1_sel:WORD_0
	v_lshl_add_u32 v57, v57, 10, 0x2000
	v_lshlrev_b32_e32 v55, 23, v55
	v_and_or_b32 v1, 0x8000, v1, v57
	v_lshl_or_b32 v55, v1, 16, v55
.LBB265_247:                            ;   in Loop: Header=BB265_9 Depth=1
	s_or_b32 exec_lo, exec_lo, s33
.LBB265_248:                            ;   in Loop: Header=BB265_9 Depth=1
	s_or_b32 exec_lo, exec_lo, s31
.LBB265_249:                            ;   in Loop: Header=BB265_9 Depth=1
	s_or_b32 exec_lo, exec_lo, s3
	v_lshrrev_b32_e32 v1, 16, v9
	v_mov_b32_e32 v57, 0
	v_mov_b32_e32 v58, 0
	v_cmp_ne_u16_sdwa s2, v1, v2 src0_sel:BYTE_0 src1_sel:DWORD
	s_and_saveexec_b32 s3, s2
	s_cbranch_execz .LBB265_257
; %bb.250:                              ;   in Loop: Header=BB265_9 Depth=1
	v_cmp_ne_u16_sdwa s2, v1, v21 src0_sel:BYTE_0 src1_sel:DWORD
	v_mov_b32_e32 v58, 0x8000
	s_and_saveexec_b32 s31, s2
	s_cbranch_execz .LBB265_256
; %bb.251:                              ;   in Loop: Header=BB265_9 Depth=1
	v_bfe_u32 v60, v9, 16, 7
	v_mov_b32_e32 v58, 0x7c01
	s_mov_b32 s33, exec_lo
	v_cmpx_ne_u32_e32 0x7f, v60
	s_cbranch_execz .LBB265_255
; %bb.252:                              ;   in Loop: Header=BB265_9 Depth=1
	v_and_b32_e32 v58, 7, v1
	v_lshrrev_b32_e32 v59, 3, v60
	s_mov_b32 s34, exec_lo
	v_cmpx_gt_u32_e32 8, v60
; %bb.253:                              ;   in Loop: Header=BB265_9 Depth=1
	v_ffbh_u32_e32 v58, v58
	v_min_u32_e32 v60, 32, v58
	v_subrev_nc_u32_e32 v58, 28, v60
	v_lshlrev_b64 v[58:59], v58, v[1:2]
	v_sub_nc_u32_e32 v59, 29, v60
	v_and_b32_e32 v58, 7, v58
; %bb.254:                              ;   in Loop: Header=BB265_9 Depth=1
	s_or_b32 exec_lo, exec_lo, s34
	v_lshlrev_b32_e32 v1, 8, v1
	v_lshl_add_u32 v59, v59, 10, 0x2000
	v_lshlrev_b32_e32 v58, 7, v58
	v_and_b32_e32 v1, 0x8000, v1
	v_and_b32_e32 v59, 0xfc00, v59
	v_or3_b32 v58, v1, v59, v58
.LBB265_255:                            ;   in Loop: Header=BB265_9 Depth=1
	s_or_b32 exec_lo, exec_lo, s33
.LBB265_256:                            ;   in Loop: Header=BB265_9 Depth=1
	s_or_b32 exec_lo, exec_lo, s31
.LBB265_257:                            ;   in Loop: Header=BB265_9 Depth=1
	s_or_b32 exec_lo, exec_lo, s3
	s_mov_b32 s3, exec_lo
	v_cmpx_lt_u32_e32 0xffffff, v9
	s_cbranch_execz .LBB265_265
; %bb.258:                              ;   in Loop: Header=BB265_9 Depth=1
	v_lshrrev_b32_e32 v1, 24, v9
	v_bfrev_b32_e32 v57, 1
	s_mov_b32 s31, exec_lo
	v_cmpx_ne_u32_e32 0x80, v1
	s_cbranch_execz .LBB265_264
; %bb.259:                              ;   in Loop: Header=BB265_9 Depth=1
	v_and_b32_e32 v59, 0x7f, v1
	v_mov_b32_e32 v57, 0x7c010000
	s_mov_b32 s33, exec_lo
	v_cmpx_ne_u32_e32 0x7f, v59
	s_cbranch_execz .LBB265_263
; %bb.260:                              ;   in Loop: Header=BB265_9 Depth=1
	v_and_b32_e32 v9, 7, v1
	v_lshrrev_b32_e32 v57, 3, v59
	s_mov_b32 s34, exec_lo
	v_cmpx_gt_u32_e32 8, v59
; %bb.261:                              ;   in Loop: Header=BB265_9 Depth=1
	v_ffbh_u32_e32 v9, v9
	v_min_u32_e32 v9, 32, v9
	v_subrev_nc_u32_e32 v57, 28, v9
	v_lshlrev_b64 v[59:60], v57, v[1:2]
	v_sub_nc_u32_e32 v57, 29, v9
	v_and_b32_e32 v9, 7, v59
; %bb.262:                              ;   in Loop: Header=BB265_9 Depth=1
	s_or_b32 exec_lo, exec_lo, s34
	v_lshlrev_b32_e32 v1, 8, v1
	v_lshl_add_u32 v57, v57, 10, 0x2000
	v_lshlrev_b32_e32 v9, 23, v9
	v_and_or_b32 v1, 0x8000, v1, v57
	v_lshl_or_b32 v57, v1, 16, v9
.LBB265_263:                            ;   in Loop: Header=BB265_9 Depth=1
	s_or_b32 exec_lo, exec_lo, s33
.LBB265_264:                            ;   in Loop: Header=BB265_9 Depth=1
	s_or_b32 exec_lo, exec_lo, s31
.LBB265_265:                            ;   in Loop: Header=BB265_9 Depth=1
	s_or_b32 exec_lo, exec_lo, s3
	global_load_dword v9, v[7:8], off offset:1024
	v_mov_b32_e32 v59, 0
	v_mov_b32_e32 v60, 0
	s_waitcnt vmcnt(0)
	v_cmp_ne_u16_sdwa s2, v9, v2 src0_sel:BYTE_0 src1_sel:DWORD
	s_and_saveexec_b32 s3, s2
	s_cbranch_execz .LBB265_273
; %bb.266:                              ;   in Loop: Header=BB265_9 Depth=1
	v_cmp_ne_u16_sdwa s2, v9, v21 src0_sel:BYTE_0 src1_sel:DWORD
	v_mov_b32_e32 v60, 0x8000
	s_and_saveexec_b32 s31, s2
	s_cbranch_execz .LBB265_272
; %bb.267:                              ;   in Loop: Header=BB265_9 Depth=1
	v_and_b32_e32 v61, 0x7f, v9
	v_mov_b32_e32 v60, 0x7c01
	s_mov_b32 s33, exec_lo
	v_cmpx_ne_u32_e32 0x7f, v61
	s_cbranch_execz .LBB265_271
; %bb.268:                              ;   in Loop: Header=BB265_9 Depth=1
	v_and_b32_e32 v1, 7, v9
	v_lshrrev_b32_e32 v60, 3, v61
	s_mov_b32 s34, exec_lo
	v_cmpx_gt_u32_e32 8, v61
; %bb.269:                              ;   in Loop: Header=BB265_9 Depth=1
	v_ffbh_u32_e32 v1, v1
	v_min_u32_e32 v1, 32, v1
	v_subrev_nc_u32_e32 v60, 28, v1
	v_lshlrev_b64 v[61:62], v60, v[9:10]
	v_sub_nc_u32_e32 v60, 29, v1
	v_and_b32_e32 v1, 7, v61
; %bb.270:                              ;   in Loop: Header=BB265_9 Depth=1
	s_or_b32 exec_lo, exec_lo, s34
	v_lshlrev_b32_e32 v61, 8, v9
	v_lshl_add_u32 v60, v60, 10, 0x2000
	v_lshlrev_b32_e32 v1, 7, v1
	v_and_b32_e32 v61, 0x8000, v61
	v_and_b32_e32 v60, 0xfc00, v60
	v_or3_b32 v60, v61, v60, v1
.LBB265_271:                            ;   in Loop: Header=BB265_9 Depth=1
	s_or_b32 exec_lo, exec_lo, s33
.LBB265_272:                            ;   in Loop: Header=BB265_9 Depth=1
	s_or_b32 exec_lo, exec_lo, s31
.LBB265_273:                            ;   in Loop: Header=BB265_9 Depth=1
	s_or_b32 exec_lo, exec_lo, s3
	v_lshrrev_b16 v1, 8, v9
	s_mov_b32 s3, exec_lo
	v_cmpx_ne_u16_e32 0, v1
	s_cbranch_execz .LBB265_281
; %bb.274:                              ;   in Loop: Header=BB265_9 Depth=1
	v_bfrev_b32_e32 v59, 1
	s_mov_b32 s31, exec_lo
	v_cmpx_ne_u16_e32 0x80, v1
	s_cbranch_execz .LBB265_280
; %bb.275:                              ;   in Loop: Header=BB265_9 Depth=1
	v_and_b32_sdwa v62, v1, v22 dst_sel:DWORD dst_unused:UNUSED_PAD src0_sel:WORD_0 src1_sel:DWORD
	v_mov_b32_e32 v59, 0x7c010000
	s_mov_b32 s33, exec_lo
	v_cmpx_ne_u32_e32 0x7f, v62
	s_cbranch_execz .LBB265_279
; %bb.276:                              ;   in Loop: Header=BB265_9 Depth=1
	v_and_b32_sdwa v59, v1, v23 dst_sel:DWORD dst_unused:UNUSED_PAD src0_sel:WORD_0 src1_sel:DWORD
	v_lshrrev_b32_e32 v61, 3, v62
	s_mov_b32 s34, exec_lo
	v_cmpx_gt_u32_e32 8, v62
; %bb.277:                              ;   in Loop: Header=BB265_9 Depth=1
	v_ffbh_u32_e32 v59, v59
	v_min_u32_e32 v59, 32, v59
	v_subrev_nc_u32_e32 v61, 28, v59
	v_lshlrev_b64 v[62:63], v61, v[1:2]
	v_sub_nc_u32_e32 v61, 29, v59
	v_and_b32_e32 v59, 7, v62
; %bb.278:                              ;   in Loop: Header=BB265_9 Depth=1
	s_or_b32 exec_lo, exec_lo, s34
	v_lshlrev_b32_sdwa v1, v24, v1 dst_sel:DWORD dst_unused:UNUSED_PAD src0_sel:DWORD src1_sel:WORD_0
	v_lshl_add_u32 v61, v61, 10, 0x2000
	v_lshlrev_b32_e32 v59, 23, v59
	v_and_or_b32 v1, 0x8000, v1, v61
	v_lshl_or_b32 v59, v1, 16, v59
.LBB265_279:                            ;   in Loop: Header=BB265_9 Depth=1
	s_or_b32 exec_lo, exec_lo, s33
.LBB265_280:                            ;   in Loop: Header=BB265_9 Depth=1
	s_or_b32 exec_lo, exec_lo, s31
.LBB265_281:                            ;   in Loop: Header=BB265_9 Depth=1
	s_or_b32 exec_lo, exec_lo, s3
	v_lshrrev_b32_e32 v1, 16, v9
	v_mov_b32_e32 v61, 0
	v_mov_b32_e32 v62, 0
	v_cmp_ne_u16_sdwa s2, v1, v2 src0_sel:BYTE_0 src1_sel:DWORD
	s_and_saveexec_b32 s3, s2
	s_cbranch_execz .LBB265_289
; %bb.282:                              ;   in Loop: Header=BB265_9 Depth=1
	v_cmp_ne_u16_sdwa s2, v1, v21 src0_sel:BYTE_0 src1_sel:DWORD
	v_mov_b32_e32 v62, 0x8000
	s_and_saveexec_b32 s31, s2
	s_cbranch_execz .LBB265_288
; %bb.283:                              ;   in Loop: Header=BB265_9 Depth=1
	v_bfe_u32 v64, v9, 16, 7
	v_mov_b32_e32 v62, 0x7c01
	s_mov_b32 s33, exec_lo
	v_cmpx_ne_u32_e32 0x7f, v64
	s_cbranch_execz .LBB265_287
; %bb.284:                              ;   in Loop: Header=BB265_9 Depth=1
	v_and_b32_e32 v62, 7, v1
	v_lshrrev_b32_e32 v63, 3, v64
	s_mov_b32 s34, exec_lo
	v_cmpx_gt_u32_e32 8, v64
; %bb.285:                              ;   in Loop: Header=BB265_9 Depth=1
	v_ffbh_u32_e32 v62, v62
	v_min_u32_e32 v64, 32, v62
	v_subrev_nc_u32_e32 v62, 28, v64
	v_lshlrev_b64 v[62:63], v62, v[1:2]
	v_sub_nc_u32_e32 v63, 29, v64
	v_and_b32_e32 v62, 7, v62
; %bb.286:                              ;   in Loop: Header=BB265_9 Depth=1
	s_or_b32 exec_lo, exec_lo, s34
	v_lshlrev_b32_e32 v1, 8, v1
	v_lshl_add_u32 v63, v63, 10, 0x2000
	v_lshlrev_b32_e32 v62, 7, v62
	v_and_b32_e32 v1, 0x8000, v1
	v_and_b32_e32 v63, 0xfc00, v63
	v_or3_b32 v62, v1, v63, v62
.LBB265_287:                            ;   in Loop: Header=BB265_9 Depth=1
	s_or_b32 exec_lo, exec_lo, s33
.LBB265_288:                            ;   in Loop: Header=BB265_9 Depth=1
	s_or_b32 exec_lo, exec_lo, s31
.LBB265_289:                            ;   in Loop: Header=BB265_9 Depth=1
	s_or_b32 exec_lo, exec_lo, s3
	s_mov_b32 s3, exec_lo
	v_cmpx_lt_u32_e32 0xffffff, v9
	s_cbranch_execz .LBB265_297
; %bb.290:                              ;   in Loop: Header=BB265_9 Depth=1
	v_lshrrev_b32_e32 v1, 24, v9
	v_bfrev_b32_e32 v61, 1
	s_mov_b32 s31, exec_lo
	v_cmpx_ne_u32_e32 0x80, v1
	s_cbranch_execz .LBB265_296
; %bb.291:                              ;   in Loop: Header=BB265_9 Depth=1
	v_and_b32_e32 v63, 0x7f, v1
	v_mov_b32_e32 v61, 0x7c010000
	s_mov_b32 s33, exec_lo
	v_cmpx_ne_u32_e32 0x7f, v63
	s_cbranch_execz .LBB265_295
; %bb.292:                              ;   in Loop: Header=BB265_9 Depth=1
	v_and_b32_e32 v9, 7, v1
	v_lshrrev_b32_e32 v61, 3, v63
	s_mov_b32 s34, exec_lo
	v_cmpx_gt_u32_e32 8, v63
; %bb.293:                              ;   in Loop: Header=BB265_9 Depth=1
	v_ffbh_u32_e32 v9, v9
	v_min_u32_e32 v9, 32, v9
	v_subrev_nc_u32_e32 v61, 28, v9
	v_lshlrev_b64 v[63:64], v61, v[1:2]
	v_sub_nc_u32_e32 v61, 29, v9
	v_and_b32_e32 v9, 7, v63
; %bb.294:                              ;   in Loop: Header=BB265_9 Depth=1
	s_or_b32 exec_lo, exec_lo, s34
	v_lshlrev_b32_e32 v1, 8, v1
	v_lshl_add_u32 v61, v61, 10, 0x2000
	v_lshlrev_b32_e32 v9, 23, v9
	v_and_or_b32 v1, 0x8000, v1, v61
	v_lshl_or_b32 v61, v1, 16, v9
.LBB265_295:                            ;   in Loop: Header=BB265_9 Depth=1
	s_or_b32 exec_lo, exec_lo, s33
.LBB265_296:                            ;   in Loop: Header=BB265_9 Depth=1
	s_or_b32 exec_lo, exec_lo, s31
.LBB265_297:                            ;   in Loop: Header=BB265_9 Depth=1
	s_or_b32 exec_lo, exec_lo, s3
	global_load_dword v7, v[7:8], off offset:1032
	v_mov_b32_e32 v8, 0
	v_mov_b32_e32 v9, 0
	s_waitcnt vmcnt(0)
	v_cmp_ne_u16_sdwa s2, v7, v2 src0_sel:BYTE_0 src1_sel:DWORD
	s_and_saveexec_b32 s3, s2
	s_cbranch_execz .LBB265_305
; %bb.298:                              ;   in Loop: Header=BB265_9 Depth=1
	v_cmp_ne_u16_sdwa s2, v7, v21 src0_sel:BYTE_0 src1_sel:DWORD
	v_mov_b32_e32 v9, 0x8000
	s_and_saveexec_b32 s31, s2
	s_cbranch_execz .LBB265_304
; %bb.299:                              ;   in Loop: Header=BB265_9 Depth=1
	v_and_b32_e32 v63, 0x7f, v7
	v_mov_b32_e32 v9, 0x7c01
	s_mov_b32 s33, exec_lo
	v_cmpx_ne_u32_e32 0x7f, v63
	s_cbranch_execz .LBB265_303
; %bb.300:                              ;   in Loop: Header=BB265_9 Depth=1
	v_and_b32_e32 v1, 7, v7
	v_lshrrev_b32_e32 v9, 3, v63
	s_mov_b32 s34, exec_lo
	v_cmpx_gt_u32_e32 8, v63
; %bb.301:                              ;   in Loop: Header=BB265_9 Depth=1
	v_ffbh_u32_e32 v1, v1
	v_min_u32_e32 v1, 32, v1
	v_subrev_nc_u32_e32 v9, 28, v1
	v_lshlrev_b64 v[63:64], v9, v[7:8]
	v_sub_nc_u32_e32 v9, 29, v1
	v_and_b32_e32 v1, 7, v63
; %bb.302:                              ;   in Loop: Header=BB265_9 Depth=1
	s_or_b32 exec_lo, exec_lo, s34
	v_lshlrev_b32_e32 v63, 8, v7
	v_lshl_add_u32 v9, v9, 10, 0x2000
	v_lshlrev_b32_e32 v1, 7, v1
	v_and_b32_e32 v63, 0x8000, v63
	v_and_b32_e32 v9, 0xfc00, v9
	v_or3_b32 v9, v63, v9, v1
.LBB265_303:                            ;   in Loop: Header=BB265_9 Depth=1
	s_or_b32 exec_lo, exec_lo, s33
.LBB265_304:                            ;   in Loop: Header=BB265_9 Depth=1
	s_or_b32 exec_lo, exec_lo, s31
.LBB265_305:                            ;   in Loop: Header=BB265_9 Depth=1
	s_or_b32 exec_lo, exec_lo, s3
	v_lshrrev_b16 v1, 8, v7
	s_mov_b32 s3, exec_lo
	v_cmpx_ne_u16_e32 0, v1
	s_cbranch_execz .LBB265_313
; %bb.306:                              ;   in Loop: Header=BB265_9 Depth=1
	v_bfrev_b32_e32 v8, 1
	s_mov_b32 s31, exec_lo
	v_cmpx_ne_u16_e32 0x80, v1
	s_cbranch_execz .LBB265_312
; %bb.307:                              ;   in Loop: Header=BB265_9 Depth=1
	v_and_b32_sdwa v64, v1, v22 dst_sel:DWORD dst_unused:UNUSED_PAD src0_sel:WORD_0 src1_sel:DWORD
	v_mov_b32_e32 v8, 0x7c010000
	s_mov_b32 s33, exec_lo
	v_cmpx_ne_u32_e32 0x7f, v64
	s_cbranch_execz .LBB265_311
; %bb.308:                              ;   in Loop: Header=BB265_9 Depth=1
	v_and_b32_sdwa v8, v1, v23 dst_sel:DWORD dst_unused:UNUSED_PAD src0_sel:WORD_0 src1_sel:DWORD
	v_lshrrev_b32_e32 v63, 3, v64
	s_mov_b32 s34, exec_lo
	v_cmpx_gt_u32_e32 8, v64
; %bb.309:                              ;   in Loop: Header=BB265_9 Depth=1
	v_ffbh_u32_e32 v8, v8
	v_min_u32_e32 v8, 32, v8
	v_subrev_nc_u32_e32 v63, 28, v8
	v_lshlrev_b64 v[64:65], v63, v[1:2]
	v_sub_nc_u32_e32 v63, 29, v8
	v_and_b32_e32 v8, 7, v64
; %bb.310:                              ;   in Loop: Header=BB265_9 Depth=1
	s_or_b32 exec_lo, exec_lo, s34
	v_lshlrev_b32_sdwa v1, v24, v1 dst_sel:DWORD dst_unused:UNUSED_PAD src0_sel:DWORD src1_sel:WORD_0
	v_lshl_add_u32 v63, v63, 10, 0x2000
	v_lshlrev_b32_e32 v8, 23, v8
	v_and_or_b32 v1, 0x8000, v1, v63
	v_lshl_or_b32 v8, v1, 16, v8
.LBB265_311:                            ;   in Loop: Header=BB265_9 Depth=1
	s_or_b32 exec_lo, exec_lo, s33
.LBB265_312:                            ;   in Loop: Header=BB265_9 Depth=1
	s_or_b32 exec_lo, exec_lo, s31
.LBB265_313:                            ;   in Loop: Header=BB265_9 Depth=1
	s_or_b32 exec_lo, exec_lo, s3
	v_lshrrev_b32_e32 v1, 16, v7
	v_mov_b32_e32 v63, 0
	v_mov_b32_e32 v64, 0
	v_cmp_ne_u16_sdwa s2, v1, v2 src0_sel:BYTE_0 src1_sel:DWORD
	s_and_saveexec_b32 s3, s2
	s_cbranch_execz .LBB265_321
; %bb.314:                              ;   in Loop: Header=BB265_9 Depth=1
	v_cmp_ne_u16_sdwa s2, v1, v21 src0_sel:BYTE_0 src1_sel:DWORD
	v_mov_b32_e32 v64, 0x8000
	s_and_saveexec_b32 s31, s2
	s_cbranch_execz .LBB265_320
; %bb.315:                              ;   in Loop: Header=BB265_9 Depth=1
	v_bfe_u32 v66, v7, 16, 7
	v_mov_b32_e32 v64, 0x7c01
	s_mov_b32 s33, exec_lo
	v_cmpx_ne_u32_e32 0x7f, v66
	s_cbranch_execz .LBB265_319
; %bb.316:                              ;   in Loop: Header=BB265_9 Depth=1
	v_and_b32_e32 v64, 7, v1
	v_lshrrev_b32_e32 v65, 3, v66
	s_mov_b32 s34, exec_lo
	v_cmpx_gt_u32_e32 8, v66
; %bb.317:                              ;   in Loop: Header=BB265_9 Depth=1
	v_ffbh_u32_e32 v64, v64
	v_min_u32_e32 v66, 32, v64
	v_subrev_nc_u32_e32 v64, 28, v66
	v_lshlrev_b64 v[64:65], v64, v[1:2]
	v_sub_nc_u32_e32 v65, 29, v66
	v_and_b32_e32 v64, 7, v64
; %bb.318:                              ;   in Loop: Header=BB265_9 Depth=1
	s_or_b32 exec_lo, exec_lo, s34
	v_lshlrev_b32_e32 v1, 8, v1
	v_lshl_add_u32 v65, v65, 10, 0x2000
	v_lshlrev_b32_e32 v64, 7, v64
	v_and_b32_e32 v1, 0x8000, v1
	v_and_b32_e32 v65, 0xfc00, v65
	v_or3_b32 v64, v1, v65, v64
.LBB265_319:                            ;   in Loop: Header=BB265_9 Depth=1
	s_or_b32 exec_lo, exec_lo, s33
.LBB265_320:                            ;   in Loop: Header=BB265_9 Depth=1
	s_or_b32 exec_lo, exec_lo, s31
.LBB265_321:                            ;   in Loop: Header=BB265_9 Depth=1
	s_or_b32 exec_lo, exec_lo, s3
	s_mov_b32 s3, exec_lo
	v_cmpx_lt_u32_e32 0xffffff, v7
	s_cbranch_execz .LBB265_329
; %bb.322:                              ;   in Loop: Header=BB265_9 Depth=1
	v_lshrrev_b32_e32 v1, 24, v7
	v_bfrev_b32_e32 v63, 1
	s_mov_b32 s31, exec_lo
	v_cmpx_ne_u32_e32 0x80, v1
	s_cbranch_execz .LBB265_328
; %bb.323:                              ;   in Loop: Header=BB265_9 Depth=1
	v_and_b32_e32 v65, 0x7f, v1
	v_mov_b32_e32 v63, 0x7c010000
	s_mov_b32 s33, exec_lo
	v_cmpx_ne_u32_e32 0x7f, v65
	s_cbranch_execz .LBB265_327
; %bb.324:                              ;   in Loop: Header=BB265_9 Depth=1
	v_and_b32_e32 v7, 7, v1
	v_lshrrev_b32_e32 v63, 3, v65
	s_mov_b32 s34, exec_lo
	v_cmpx_gt_u32_e32 8, v65
; %bb.325:                              ;   in Loop: Header=BB265_9 Depth=1
	v_ffbh_u32_e32 v7, v7
	v_min_u32_e32 v7, 32, v7
	v_subrev_nc_u32_e32 v63, 28, v7
	v_lshlrev_b64 v[65:66], v63, v[1:2]
	v_sub_nc_u32_e32 v63, 29, v7
	v_and_b32_e32 v7, 7, v65
; %bb.326:                              ;   in Loop: Header=BB265_9 Depth=1
	s_or_b32 exec_lo, exec_lo, s34
	v_lshlrev_b32_e32 v1, 8, v1
	v_lshl_add_u32 v63, v63, 10, 0x2000
	v_lshlrev_b32_e32 v7, 23, v7
	v_and_or_b32 v1, 0x8000, v1, v63
	v_lshl_or_b32 v63, v1, 16, v7
.LBB265_327:                            ;   in Loop: Header=BB265_9 Depth=1
	s_or_b32 exec_lo, exec_lo, s33
.LBB265_328:                            ;   in Loop: Header=BB265_9 Depth=1
	s_or_b32 exec_lo, exec_lo, s31
.LBB265_329:                            ;   in Loop: Header=BB265_9 Depth=1
	s_or_b32 exec_lo, exec_lo, s3
	ds_read_b64 v[65:66], v18
	v_or_b32_e32 v1, v28, v27
	v_or_b32_e32 v7, v29, v30
	v_fma_mixlo_f16 v27, v26, v28, 0 op_sel:[0,1,0] op_sel_hi:[0,1,0]
	v_fma_mixlo_f16 v28, v26, v29, 0 op_sel:[0,1,0] op_sel_hi:[0,1,0]
	v_or_b32_e32 v32, v31, v32
	v_fma_mixlo_f16 v1, v26, v1, 0 op_sel_hi:[0,1,0]
	v_fma_mixlo_f16 v7, v26, v7, 0 op_sel_hi:[0,1,0]
	v_and_b32_e32 v27, 0xffff, v27
	v_and_b32_e32 v28, 0xffff, v28
	v_or_b32_e32 v34, v33, v34
	v_and_b32_e32 v1, 0xffff, v1
	v_and_b32_e32 v67, 0xffff, v7
	v_fma_mixlo_f16 v31, v26, v31, 0 op_sel:[0,1,0] op_sel_hi:[0,1,0]
	v_fma_mixlo_f16 v33, v26, v33, 0 op_sel:[0,1,0] op_sel_hi:[0,1,0]
	v_fma_mixlo_f16 v32, v26, v32, 0 op_sel_hi:[0,1,0]
	v_fma_mixlo_f16 v34, v26, v34, 0 op_sel_hi:[0,1,0]
	v_or_b32_e32 v36, v35, v36
	v_and_b32_e32 v31, 0xffff, v31
	v_and_b32_e32 v71, 0xffff, v33
	s_waitcnt lgkmcnt(0)
	v_and_b32_e32 v29, 0xffff, v65
	v_lshrrev_b32_e32 v30, 16, v65
	v_lshrrev_b32_e32 v7, 16, v66
	v_and_b32_e32 v68, 0xffff, v66
	;;#ASMSTART
	v_cvt_f32_f16 v29, v29;
	;;#ASMEND
	;;#ASMSTART
	v_cvt_f32_f16 v30, v30;
	;;#ASMEND
	;; [unrolled: 3-line block ×8, first 2 shown]
	ds_read_b64 v[67:68], v18 offset:8
	v_and_b32_e32 v32, 0xffff, v32
	v_and_b32_e32 v34, 0xffff, v34
	v_or_b32_e32 v38, v37, v38
	v_fma_mixlo_f16 v35, v26, v35, 0 op_sel:[0,1,0] op_sel_hi:[0,1,0]
	v_fma_mixlo_f16 v37, v26, v37, 0 op_sel:[0,1,0] op_sel_hi:[0,1,0]
	v_fma_mixlo_f16 v36, v26, v36, 0 op_sel_hi:[0,1,0]
	v_or_b32_e32 v40, v39, v40
	v_fma_mixlo_f16 v38, v26, v38, 0 op_sel_hi:[0,1,0]
	v_or_b32_e32 v42, v41, v42
	v_and_b32_e32 v74, 0xffff, v37
	v_and_b32_e32 v37, 0xffff, v36
	v_fma_mixlo_f16 v39, v26, v39, 0 op_sel:[0,1,0] op_sel_hi:[0,1,0]
	v_and_b32_e32 v75, 0xffff, v38
	v_fma_mixlo_f16 v41, v26, v41, 0 op_sel:[0,1,0] op_sel_hi:[0,1,0]
	v_fma_mixlo_f16 v40, v26, v40, 0 op_sel_hi:[0,1,0]
	v_fma_mixlo_f16 v42, v26, v42, 0 op_sel_hi:[0,1,0]
	v_and_b32_e32 v77, 0xffff, v39
	v_or_b32_e32 v44, v43, v44
	v_and_b32_e32 v78, 0xffff, v41
	s_waitcnt lgkmcnt(0)
	v_and_b32_e32 v33, 0xffff, v67
	v_lshrrev_b32_e32 v67, 16, v67
	v_lshrrev_b32_e32 v72, 16, v68
	v_and_b32_e32 v73, 0xffff, v68
	;;#ASMSTART
	v_cvt_f32_f16 v68, v33;
	;;#ASMEND
	;;#ASMSTART
	v_cvt_f32_f16 v67, v67;
	;;#ASMEND
	;; [unrolled: 3-line block ×8, first 2 shown]
	ds_read_b64 v[71:72], v18 offset:16
	v_and_b32_e32 v73, 0xffff, v35
	v_and_b32_e32 v41, 0xffff, v40
	;; [unrolled: 1-line block ×3, first 2 shown]
	v_or_b32_e32 v46, v45, v46
	v_fma_mixlo_f16 v43, v26, v43, 0 op_sel:[0,1,0] op_sel_hi:[0,1,0]
	v_fma_mixlo_f16 v45, v26, v45, 0 op_sel:[0,1,0] op_sel_hi:[0,1,0]
	v_fma_mixlo_f16 v44, v26, v44, 0 op_sel_hi:[0,1,0]
	v_or_b32_e32 v48, v47, v48
	v_fma_mixlo_f16 v46, v26, v46, 0 op_sel_hi:[0,1,0]
	v_and_b32_e32 v43, 0xffff, v43
	v_and_b32_e32 v84, 0xffff, v45
	v_and_b32_e32 v44, 0xffff, v44
	v_or_b32_e32 v50, v49, v50
	v_and_b32_e32 v83, 0xffff, v46
	v_fma_mixlo_f16 v47, v26, v47, 0 op_sel:[0,1,0] op_sel_hi:[0,1,0]
	v_fma_mixlo_f16 v49, v26, v49, 0 op_sel:[0,1,0] op_sel_hi:[0,1,0]
	v_fma_mixlo_f16 v48, v26, v48, 0 op_sel_hi:[0,1,0]
	v_fma_mixlo_f16 v50, v26, v50, 0 op_sel_hi:[0,1,0]
	v_or_b32_e32 v52, v51, v52
	s_waitcnt lgkmcnt(0)
	v_and_b32_e32 v35, 0xffff, v71
	v_lshrrev_b32_e32 v36, 16, v71
	v_lshrrev_b32_e32 v38, 16, v72
	v_and_b32_e32 v76, 0xffff, v72
	;;#ASMSTART
	v_cvt_f32_f16 v35, v35;
	;;#ASMEND
	;;#ASMSTART
	v_cvt_f32_f16 v36, v36;
	;;#ASMEND
	;; [unrolled: 3-line block ×8, first 2 shown]
	ds_read_b64 v[75:76], v18 offset:24
	v_and_b32_e32 v85, 0xffff, v47
	v_and_b32_e32 v88, 0xffff, v49
	;; [unrolled: 1-line block ×4, first 2 shown]
	v_or_b32_e32 v54, v53, v54
	v_fma_mixlo_f16 v51, v26, v51, 0 op_sel:[0,1,0] op_sel_hi:[0,1,0]
	v_fma_mixlo_f16 v53, v26, v53, 0 op_sel:[0,1,0] op_sel_hi:[0,1,0]
	v_fma_mixlo_f16 v52, v26, v52, 0 op_sel_hi:[0,1,0]
	v_or_b32_e32 v56, v55, v56
	v_fma_mixlo_f16 v54, v26, v54, 0 op_sel_hi:[0,1,0]
	v_and_b32_e32 v89, 0xffff, v51
	v_and_b32_e32 v92, 0xffff, v53
	;; [unrolled: 1-line block ×3, first 2 shown]
	v_or_b32_e32 v58, v57, v58
	v_and_b32_e32 v91, 0xffff, v54
	v_fma_mixlo_f16 v55, v26, v55, 0 op_sel:[0,1,0] op_sel_hi:[0,1,0]
	v_fma_mixlo_f16 v57, v26, v57, 0 op_sel:[0,1,0] op_sel_hi:[0,1,0]
	v_or_b32_e32 v9, v8, v9
	v_fma_mixlo_f16 v93, v26, v8, 0 op_sel:[0,1,0] op_sel_hi:[0,1,0]
	s_waitcnt lgkmcnt(0)
	v_and_b32_e32 v39, 0xffff, v75
	v_lshrrev_b32_e32 v40, 16, v75
	v_lshrrev_b32_e32 v42, 16, v76
	v_and_b32_e32 v80, 0xffff, v76
	;;#ASMSTART
	v_cvt_f32_f16 v39, v39;
	;;#ASMEND
	;;#ASMSTART
	v_cvt_f32_f16 v40, v40;
	;;#ASMEND
	;; [unrolled: 3-line block ×8, first 2 shown]
	ds_read_b64 v[79:80], v18 offset:32
	v_fma_mixlo_f16 v8, v26, v56, 0 op_sel_hi:[0,1,0]
	v_fma_mixlo_f16 v56, v26, v58, 0 op_sel_hi:[0,1,0]
	v_or_b32_e32 v60, v59, v60
	v_fma_mixlo_f16 v59, v26, v59, 0 op_sel:[0,1,0] op_sel_hi:[0,1,0]
	v_fma_mixlo_f16 v58, v26, v9, 0 op_sel_hi:[0,1,0]
	v_and_b32_e32 v9, 0xffff, v55
	v_and_b32_e32 v94, 0xffff, v57
	;; [unrolled: 1-line block ×3, first 2 shown]
	v_mul_f32_e32 v55, v68, v70
	v_and_b32_e32 v8, 0xffff, v8
	v_mul_f32_e32 v31, v31, v33
	v_and_b32_e32 v95, 0xffff, v59
	v_mul_f32_e32 v32, v32, v34
	v_fmac_f32_e32 v55, v29, v65
	v_or_b32_e32 v62, v61, v62
	v_fmac_f32_e32 v31, v1, v27
	v_fma_mixlo_f16 v61, v26, v61, 0 op_sel:[0,1,0] op_sel_hi:[0,1,0]
	v_fmac_f32_e32 v32, v7, v28
	v_fmac_f32_e32 v55, v35, v71
	s_waitcnt lgkmcnt(0)
	v_and_b32_e32 v45, 0xffff, v79
	v_lshrrev_b32_e32 v79, 16, v79
	v_lshrrev_b32_e32 v82, 16, v80
	v_and_b32_e32 v81, 0xffff, v80
	;;#ASMSTART
	v_cvt_f32_f16 v45, v45;
	;;#ASMEND
	;;#ASMSTART
	v_cvt_f32_f16 v46, v79;
	;;#ASMEND
	;; [unrolled: 3-line block ×8, first 2 shown]
	ds_read_b64 v[43:44], v18 offset:40
	v_fmac_f32_e32 v31, v37, v73
	v_fmac_f32_e32 v55, v39, v75
	v_fma_mixlo_f16 v60, v26, v60, 0 op_sel_hi:[0,1,0]
	v_fma_mixlo_f16 v62, v26, v62, 0 op_sel_hi:[0,1,0]
	v_fmac_f32_e32 v32, v38, v74
	v_fmac_f32_e32 v31, v41, v77
	;; [unrolled: 1-line block ×3, first 2 shown]
	v_and_b32_e32 v34, 0xffff, v61
	v_and_b32_e32 v7, 0xffff, v60
	;; [unrolled: 1-line block ×3, first 2 shown]
	v_fmac_f32_e32 v31, v81, v83
	v_fmac_f32_e32 v32, v42, v78
	v_or_b32_e32 v35, v63, v64
	v_fmac_f32_e32 v32, v82, v84
	v_fma_mixlo_f16 v35, v26, v35, 0 op_sel_hi:[0,1,0]
	v_fma_mixlo_f16 v26, v26, v63, 0 op_sel:[0,1,0] op_sel_hi:[0,1,0]
	s_waitcnt lgkmcnt(0)
	v_and_b32_e32 v47, 0xffff, v43
	v_lshrrev_b32_e32 v43, 16, v43
	v_lshrrev_b32_e32 v86, 16, v44
	v_and_b32_e32 v44, 0xffff, v44
	;;#ASMSTART
	v_cvt_f32_f16 v47, v47;
	;;#ASMEND
	;;#ASMSTART
	v_cvt_f32_f16 v48, v43;
	;;#ASMEND
	;; [unrolled: 3-line block ×8, first 2 shown]
	ds_read_b64 v[43:44], v18 offset:48
	v_fmac_f32_e32 v55, v47, v49
	v_fmac_f32_e32 v31, v85, v87
	;; [unrolled: 1-line block ×3, first 2 shown]
	s_waitcnt lgkmcnt(0)
	v_and_b32_e32 v51, 0xffff, v43
	v_lshrrev_b32_e32 v43, 16, v43
	v_lshrrev_b32_e32 v90, 16, v44
	v_and_b32_e32 v44, 0xffff, v44
	;;#ASMSTART
	v_cvt_f32_f16 v51, v51;
	;;#ASMEND
	;;#ASMSTART
	v_cvt_f32_f16 v52, v43;
	;;#ASMEND
	;; [unrolled: 3-line block ×8, first 2 shown]
	ds_read_b64 v[43:44], v18 offset:56
	v_fmac_f32_e32 v55, v51, v53
	v_fmac_f32_e32 v31, v89, v91
	;; [unrolled: 1-line block ×3, first 2 shown]
	s_waitcnt lgkmcnt(0)
	v_and_b32_e32 v56, 0xffff, v43
	v_lshrrev_b32_e32 v57, 16, v43
	v_mul_f32_e32 v43, v67, v69
	v_lshrrev_b32_e32 v68, 16, v44
	v_and_b32_e32 v67, 0xffff, v44
	;;#ASMSTART
	v_cvt_f32_f16 v44, v56;
	;;#ASMEND
	;;#ASMSTART
	v_cvt_f32_f16 v56, v57;
	;;#ASMEND
	;; [unrolled: 3-line block ×8, first 2 shown]
	ds_read_b64 v[8:9], v18 offset:64
	v_fmac_f32_e32 v43, v30, v66
	v_fmac_f32_e32 v55, v44, v57
	;; [unrolled: 1-line block ×7, first 2 shown]
	s_waitcnt lgkmcnt(0)
	v_and_b32_e32 v1, 0xffff, v8
	v_lshrrev_b32_e32 v8, 16, v8
	v_lshrrev_b32_e32 v30, 16, v9
	v_and_b32_e32 v29, 0xffff, v9
	;;#ASMSTART
	v_cvt_f32_f16 v1, v1;
	;;#ASMEND
	;;#ASMSTART
	v_cvt_f32_f16 v9, v8;
	;;#ASMEND
	;; [unrolled: 3-line block ×8, first 2 shown]
	ds_read_b64 v[7:8], v18 offset:72
	v_fmac_f32_e32 v43, v48, v50
	v_fmac_f32_e32 v55, v1, v27
	;; [unrolled: 1-line block ×3, first 2 shown]
	v_and_b32_e32 v27, 0xffff, v93
	v_and_b32_e32 v29, 0xffff, v35
	v_fmac_f32_e32 v43, v52, v54
	v_fmac_f32_e32 v32, v30, v34
	;; [unrolled: 1-line block ×4, first 2 shown]
	v_and_b32_e32 v9, 0xffff, v58
	s_waitcnt lgkmcnt(0)
	v_and_b32_e32 v1, 0xffff, v7
	v_lshrrev_b32_e32 v7, 16, v7
	;;#ASMSTART
	v_cvt_f32_f16 v1, v1;
	;;#ASMEND
	;;#ASMSTART
	v_cvt_f32_f16 v7, v7;
	;;#ASMEND
	v_and_b32_e32 v28, 0xffff, v8
	v_lshrrev_b32_e32 v8, 16, v8
	;;#ASMSTART
	v_cvt_f32_f16 v9, v9;
	;;#ASMEND
	;;#ASMSTART
	v_cvt_f32_f16 v27, v27;
	;;#ASMEND
	v_fmac_f32_e32 v55, v1, v9
	v_fmac_f32_e32 v43, v7, v27
	;;#ASMSTART
	v_cvt_f32_f16 v1, v28;
	;;#ASMEND
	;;#ASMSTART
	v_cvt_f32_f16 v7, v8;
	;;#ASMEND
	;;#ASMSTART
	v_cvt_f32_f16 v8, v29;
	;;#ASMEND
	v_fmac_f32_e32 v31, v1, v8
	v_xor_b32_e32 v8, 1, v15
	v_add_f32_e32 v1, v55, v43
	v_and_b32_e32 v9, 0xffff, v26
	;;#ASMSTART
	v_cvt_f32_f16 v9, v9;
	;;#ASMEND
	v_fmac_f32_e32 v32, v7, v9
	v_cmp_gt_i32_e64 s2, 32, v8
	v_add_f32_e32 v1, v1, v31
	v_cndmask_b32_e64 v7, v15, v8, s2
	v_add_f32_e32 v1, v32, v1
	v_lshlrev_b32_e32 v7, 2, v7
	ds_bpermute_b32 v7, v7, v1
	s_and_saveexec_b32 s3, vcc_lo
	s_cbranch_execz .LBB265_8
; %bb.330:                              ;   in Loop: Header=BB265_9 Depth=1
	v_add_nc_u32_e32 v8, s4, v19
	s_waitcnt lgkmcnt(0)
	v_add_f32_e32 v1, v1, v7
	v_cmp_gt_i32_e64 s2, s11, v19
	v_cvt_f32_i32_e32 v8, v8
	v_mul_f32_e32 v8, s28, v8
	v_cndmask_b32_e64 v7, 0, v8, s1
	v_max_f32_e32 v8, v16, v16
	v_fmac_f32_e32 v7, s29, v1
	v_max_f32_e32 v1, v8, v7
	v_cndmask_b32_e64 v7, 0, v7, s2
	v_cndmask_b32_e64 v16, v16, v1, s2
	ds_write_b32 v20, v7
	s_branch .LBB265_8
.LBB265_331:
	s_or_b32 exec_lo, exec_lo, s5
.LBB265_332:
	s_or_b32 exec_lo, exec_lo, s19
	v_xor_b32_e32 v1, 16, v15
	v_xor_b32_e32 v4, 8, v15
	v_max_f32_e32 v5, v16, v16
	v_xor_b32_e32 v6, 4, v15
	v_cmp_lt_i32_e32 vcc_lo, v1, v17
	v_cndmask_b32_e32 v1, v15, v1, vcc_lo
	v_cmp_lt_i32_e32 vcc_lo, v4, v17
	v_lshlrev_b32_e32 v3, 2, v1
	v_cndmask_b32_e32 v4, v15, v4, vcc_lo
	v_cmp_lt_i32_e32 vcc_lo, v6, v17
	ds_bpermute_b32 v1, v3, v16
	v_lshlrev_b32_e32 v4, 2, v4
	v_cndmask_b32_e32 v6, v15, v6, vcc_lo
	v_and_b32_e32 v16, 31, v0
	s_waitcnt lgkmcnt(0)
	v_max_f32_e32 v1, v1, v1
	v_max_f32_e32 v1, v5, v1
	ds_bpermute_b32 v5, v4, v1
	s_waitcnt lgkmcnt(0)
	v_max_f32_e32 v7, v5, v5
	v_lshlrev_b32_e32 v5, 2, v6
	v_max_f32_e32 v1, v1, v7
	v_xor_b32_e32 v7, 2, v15
	ds_bpermute_b32 v6, v5, v1
	v_cmp_lt_i32_e32 vcc_lo, v7, v17
	v_cndmask_b32_e32 v8, v15, v7, vcc_lo
	v_cmp_eq_u32_e32 vcc_lo, 0, v16
	s_waitcnt lgkmcnt(0)
	v_max_f32_e32 v6, v6, v6
	v_max_f32_e32 v7, v1, v6
	v_lshlrev_b32_e32 v1, 2, v8
	v_lshlrev_b32_e32 v6, 2, v13
	ds_bpermute_b32 v8, v1, v7
	s_and_saveexec_b32 s1, vcc_lo
	s_cbranch_execz .LBB265_334
; %bb.333:
	s_waitcnt lgkmcnt(0)
	v_max_f32_e32 v8, v8, v8
	v_max_f32_e32 v7, v7, v7
	;; [unrolled: 1-line block ×3, first 2 shown]
	ds_write_b32 v6, v7 offset:160
.LBB265_334:
	s_or_b32 exec_lo, exec_lo, s1
	v_cmp_gt_u32_e64 s1, 4, v16
	s_waitcnt lgkmcnt(0)
	v_mov_b32_e32 v8, 0xff7fffff
	v_lshlrev_b32_e32 v7, 2, v16
	s_barrier
	buffer_gl0_inv
	s_and_saveexec_b32 s2, s1
; %bb.335:
	ds_read_b32 v8, v7 offset:160
; %bb.336:
	s_or_b32 exec_lo, exec_lo, s2
	s_waitcnt lgkmcnt(0)
	ds_bpermute_b32 v9, v1, v8
	v_xor_b32_e32 v18, 1, v15
	v_max_f32_e32 v8, v8, v8
	v_lshlrev_b32_e32 v2, 2, v2
	v_cmp_lt_i32_e64 s2, v18, v17
	v_cndmask_b32_e64 v17, v15, v18, s2
	s_lshl_b32 s2, s16, 4
	s_min_i32 s4, s2, s11
	v_lshlrev_b32_e32 v17, 2, v17
	v_cmp_gt_i32_e64 s2, s4, v0
	s_waitcnt lgkmcnt(0)
	v_max_f32_e32 v9, v9, v9
	v_max_f32_e32 v8, v8, v9
	ds_bpermute_b32 v9, v17, v8
	s_waitcnt lgkmcnt(0)
	v_max_f32_e32 v9, v9, v9
	v_max_f32_e32 v8, v8, v9
	ds_bpermute_b32 v9, v2, v8
	v_mov_b32_e32 v8, 0
	v_lshl_add_u32 v2, v0, 2, 0xc0
	s_and_saveexec_b32 s5, s2
	s_cbranch_execz .LBB265_340
; %bb.337:
	v_lshl_add_u32 v18, v0, 2, 0xc0
	v_mov_b32_e32 v8, 0
	v_mov_b32_e32 v19, v0
	s_mov_b32 s12, 0
	.p2align	6
.LBB265_338:                            ; =>This Inner Loop Header: Depth=1
	ds_read_b32 v20, v18
	v_add_nc_u32_e32 v19, 0x80, v19
	v_cmp_le_i32_e64 s3, s4, v19
	s_or_b32 s12, s3, s12
	s_waitcnt lgkmcnt(0)
	v_sub_f32_e32 v20, v20, v9
	v_mul_f32_e32 v20, 0x3fb8aa3b, v20
	v_exp_f32_e32 v20, v20
	ds_write_b32 v18, v20
	v_add_f32_e32 v8, v8, v20
	v_add_nc_u32_e32 v18, 0x200, v18
	s_andn2_b32 exec_lo, exec_lo, s12
	s_cbranch_execnz .LBB265_338
; %bb.339:
	s_or_b32 exec_lo, exec_lo, s12
.LBB265_340:
	s_or_b32 exec_lo, exec_lo, s5
	ds_bpermute_b32 v3, v3, v8
	s_waitcnt lgkmcnt(0)
	v_add_f32_e32 v3, v8, v3
	ds_bpermute_b32 v4, v4, v3
	s_waitcnt lgkmcnt(0)
	v_add_f32_e32 v3, v3, v4
	ds_bpermute_b32 v4, v5, v3
	s_waitcnt lgkmcnt(0)
	v_add_f32_e32 v3, v3, v4
	ds_bpermute_b32 v4, v1, v3
	s_waitcnt lgkmcnt(0)
	v_add_f32_e32 v3, v3, v4
	ds_bpermute_b32 v4, v17, v3
	s_waitcnt lgkmcnt(0)
	v_add_f32_e32 v3, v3, v4
	s_and_saveexec_b32 s3, vcc_lo
; %bb.341:
	ds_write_b32 v6, v3 offset:176
; %bb.342:
	s_or_b32 exec_lo, exec_lo, s3
	s_waitcnt lgkmcnt(0)
	s_barrier
	buffer_gl0_inv
	s_and_saveexec_b32 s3, s1
; %bb.343:
	ds_read_b32 v3, v7 offset:176
; %bb.344:
	s_or_b32 exec_lo, exec_lo, s3
	s_waitcnt lgkmcnt(0)
	ds_bpermute_b32 v1, v1, v3
	v_lshlrev_b32_e32 v4, 2, v15
	s_waitcnt lgkmcnt(0)
	v_add_f32_e32 v1, v3, v1
	ds_bpermute_b32 v3, v17, v1
	s_waitcnt lgkmcnt(0)
	v_add_f32_e32 v1, v1, v3
	v_and_b32_e32 v3, 0xffffff80, v4
	ds_bpermute_b32 v1, v3, v1
	s_and_saveexec_b32 s1, s2
	s_cbranch_execz .LBB265_347
; %bb.345:
	s_waitcnt lgkmcnt(0)
	v_add_f32_e32 v1, 0x358637bd, v1
	s_mov_b32 s2, 0
	v_div_scale_f32 v3, null, v1, v1, 1.0
	v_div_scale_f32 v6, vcc_lo, 1.0, v1, 1.0
	v_rcp_f32_e32 v4, v3
	v_fma_f32 v5, -v3, v4, 1.0
	v_fmac_f32_e32 v4, v5, v4
	v_mul_f32_e32 v5, v6, v4
	v_fma_f32 v7, -v3, v5, v6
	v_fmac_f32_e32 v5, v7, v4
	v_fma_f32 v3, -v3, v5, v6
	v_div_fmas_f32 v3, v3, v4, v5
	v_div_fixup_f32 v1, v3, v1, 1.0
	v_mov_b32_e32 v3, v0
.LBB265_346:                            ; =>This Inner Loop Header: Depth=1
	ds_read_b32 v4, v2
	v_add_nc_u32_e32 v3, 0x80, v3
	v_cmp_le_i32_e32 vcc_lo, s4, v3
	s_or_b32 s2, vcc_lo, s2
	s_waitcnt lgkmcnt(0)
	v_mul_f32_e32 v4, v1, v4
	ds_write_b32 v2, v4
	v_add_nc_u32_e32 v2, 0x200, v2
	s_andn2_b32 exec_lo, exec_lo, s2
	s_cbranch_execnz .LBB265_346
.LBB265_347:
	s_or_b32 exec_lo, exec_lo, s1
	v_mov_b32_e32 v20, 0
	v_mov_b32_e32 v21, 0
	v_mov_b32_e32 v19, 0
	v_mov_b32_e32 v18, 0
	v_mov_b32_e32 v15, 0
	s_waitcnt lgkmcnt(0)
	s_barrier
	buffer_gl0_inv
	s_and_saveexec_b32 s1, s0
	s_cbranch_execz .LBB265_681
; %bb.348:
	v_lshlrev_b32_e32 v3, 5, v12
	v_and_b32_e32 v4, 0xf8, v10
	v_and_b32_e32 v1, 8, v10
	v_lshlrev_b32_e32 v5, 4, v13
	s_ashr_i32 s0, s18, 31
	s_add_u32 s2, s26, s18
	s_addc_u32 s0, s27, s0
	v_lshl_or_b32 v6, v13, 6, v3
	v_add_co_u32 v3, s2, s2, v4
	v_or3_b32 v22, v5, v1, 7
	v_and_b32_e32 v1, 0x7c, v14
	v_add_co_ci_u32_e64 v4, null, s0, 0, s2
	s_lshl_b64 s[2:3], s[24:25], 2
	s_add_i32 s5, s16, -1
	s_add_u32 s0, s22, s2
	s_addc_u32 s2, s23, s3
	v_add_co_u32 v5, s0, s0, v1
	v_mov_b32_e32 v2, 0
	v_add_nc_u32_e32 v14, 0xc0, v6
	v_add_co_ci_u32_e64 v6, null, s2, 0, s0
	v_mov_b32_e32 v23, 0x80
	v_mov_b32_e32 v24, 0x7f
	v_mov_b32_e32 v25, 7
	v_mov_b32_e32 v26, 8
	v_mov_b32_e32 v15, 0
	v_mov_b32_e32 v18, 0
	v_mov_b32_e32 v19, 0
	v_mov_b32_e32 v21, 0
	v_mov_b32_e32 v20, 0
	v_mov_b32_e32 v27, v13
	s_mov_b32 s2, -1
	s_mov_b32 s4, s17
	s_mov_b32 s3, 0xffffff
	;; [unrolled: 1-line block ×3, first 2 shown]
	s_branch .LBB265_350
.LBB265_349:                            ;   in Loop: Header=BB265_350 Depth=1
	s_or_b32 exec_lo, exec_lo, s0
	v_add_f32_e32 v8, v9, v10
	;;#ASMSTART
	v_pk_mul_f16 v9, v39, v46;

	;;#ASMEND
	;;#ASMSTART
	v_pk_mul_f16 v1, v38, v1;

	;;#ASMEND
	;; [unrolled: 4-line block ×4, first 2 shown]
	;;#ASMSTART
	v_pk_add_f16 v1, v9, v1;

	;;#ASMEND
	;;#ASMSTART
	v_pk_add_f16 v1, v1, v10;

	;;#ASMEND
	;; [unrolled: 4-line block ×3, first 2 shown]
	v_and_b32_e32 v9, 0xffff, v1
	v_add_nc_u32_e32 v27, 4, v27
	v_lshrrev_b32_e32 v10, 16, v1
	;;#ASMSTART
	v_cvt_f32_f16 v9, v9;
	;;#ASMEND
	v_add_f32_e32 v18, v18, v8
	v_add_f32_e32 v1, v43, v44
	;; [unrolled: 1-line block ×4, first 2 shown]
	;;#ASMSTART
	v_cvt_f32_f16 v10, v10;
	;;#ASMEND
	v_add_f32_e32 v9, v9, v10
	v_cmp_le_i32_e32 vcc_lo, s16, v27
	v_add_co_u32 v5, s0, v5, 16
	v_add_f32_e32 v19, v19, v1
	v_add_f32_e32 v21, v21, v7
	;; [unrolled: 1-line block ×4, first 2 shown]
	v_add_nc_u32_e32 v22, 64, v22
	v_add_nc_u32_e32 v14, 0x100, v14
	v_add_co_ci_u32_e64 v6, null, 0, v6, s0
	s_or_b32 s12, vcc_lo, s12
	s_andn2_b32 exec_lo, exec_lo, s12
	s_cbranch_execz .LBB265_680
.LBB265_350:                            ; =>This Inner Loop Header: Depth=1
	global_load_dword v1, v[5:6], off
	ds_read2_b64 v[28:31], v14 offset1:1
	ds_read2_b64 v[40:43], v14 offset0:2 offset1:3
	s_waitcnt lgkmcnt(1)
	;;#ASMSTART
	v_cvt_f16_f32 v35, v28;

	;;#ASMEND
	;;#ASMSTART
	v_cvt_f16_f32 v36, v29;

	;;#ASMEND
	;; [unrolled: 4-line block ×4, first 2 shown]
	s_waitcnt lgkmcnt(0)
	;;#ASMSTART
	v_cvt_f16_f32 v39, v40;

	;;#ASMEND
	;;#ASMSTART
	v_cvt_f16_f32 v40, v41;

	;;#ASMEND
	;; [unrolled: 4-line block ×4, first 2 shown]
	v_mov_b32_e32 v30, 0
	s_waitcnt vmcnt(0)
	v_mad_i64_i32 v[7:8], null, v1, s4, v[3:4]
	global_load_dwordx2 v[9:10], v[7:8], off
	global_load_dword v29, v2, s[14:15]
	s_waitcnt vmcnt(1)
	v_cmp_ne_u16_sdwa s13, v9, v2 src0_sel:BYTE_0 src1_sel:DWORD
	s_and_saveexec_b32 s0, s13
	s_cbranch_execz .LBB265_358
; %bb.351:                              ;   in Loop: Header=BB265_350 Depth=1
	v_cmp_ne_u16_sdwa s17, v9, v23 src0_sel:BYTE_0 src1_sel:DWORD
	v_mov_b32_e32 v30, 0x8000
	s_and_saveexec_b32 s13, s17
	s_cbranch_execz .LBB265_357
; %bb.352:                              ;   in Loop: Header=BB265_350 Depth=1
	v_and_b32_e32 v31, 0x7f, v9
	v_mov_b32_e32 v30, 0x7c01
	s_mov_b32 s17, exec_lo
	v_cmpx_ne_u32_e32 0x7f, v31
	s_cbranch_execz .LBB265_356
; %bb.353:                              ;   in Loop: Header=BB265_350 Depth=1
	v_and_b32_e32 v1, 7, v9
	v_lshrrev_b32_e32 v28, 3, v31
	s_mov_b32 s18, exec_lo
	v_cmpx_gt_u32_e32 8, v31
; %bb.354:                              ;   in Loop: Header=BB265_350 Depth=1
	v_ffbh_u32_e32 v1, v1
	v_min_u32_e32 v1, 32, v1
	v_subrev_nc_u32_e32 v28, 28, v1
	v_lshlrev_b64 v[30:31], v28, v[9:10]
	v_sub_nc_u32_e32 v28, 29, v1
	v_and_b32_e32 v1, 7, v30
; %bb.355:                              ;   in Loop: Header=BB265_350 Depth=1
	s_or_b32 exec_lo, exec_lo, s18
	v_lshlrev_b32_e32 v30, 8, v9
	v_lshl_add_u32 v28, v28, 10, 0x2000
	v_lshlrev_b32_e32 v1, 7, v1
	v_and_b32_e32 v30, 0x8000, v30
	v_and_b32_e32 v28, 0xfc00, v28
	v_or3_b32 v30, v30, v28, v1
.LBB265_356:                            ;   in Loop: Header=BB265_350 Depth=1
	s_or_b32 exec_lo, exec_lo, s17
.LBB265_357:                            ;   in Loop: Header=BB265_350 Depth=1
	s_or_b32 exec_lo, exec_lo, s13
.LBB265_358:                            ;   in Loop: Header=BB265_350 Depth=1
	s_or_b32 exec_lo, exec_lo, s0
	v_lshrrev_b16 v1, 8, v9
	v_mov_b32_e32 v28, 0
	v_mov_b32_e32 v31, 0
	s_mov_b32 s0, exec_lo
	v_cmpx_ne_u16_e32 0, v1
	s_cbranch_execz .LBB265_366
; %bb.359:                              ;   in Loop: Header=BB265_350 Depth=1
	v_bfrev_b32_e32 v31, 1
	s_mov_b32 s13, exec_lo
	v_cmpx_ne_u16_e32 0x80, v1
	s_cbranch_execz .LBB265_365
; %bb.360:                              ;   in Loop: Header=BB265_350 Depth=1
	v_and_b32_sdwa v33, v1, v24 dst_sel:DWORD dst_unused:UNUSED_PAD src0_sel:WORD_0 src1_sel:DWORD
	v_mov_b32_e32 v31, 0x7c010000
	s_mov_b32 s17, exec_lo
	v_cmpx_ne_u32_e32 0x7f, v33
	s_cbranch_execz .LBB265_364
; %bb.361:                              ;   in Loop: Header=BB265_350 Depth=1
	v_and_b32_sdwa v31, v1, v25 dst_sel:DWORD dst_unused:UNUSED_PAD src0_sel:WORD_0 src1_sel:DWORD
	v_lshrrev_b32_e32 v32, 3, v33
	s_mov_b32 s18, exec_lo
	v_cmpx_gt_u32_e32 8, v33
; %bb.362:                              ;   in Loop: Header=BB265_350 Depth=1
	v_ffbh_u32_e32 v31, v31
	v_min_u32_e32 v33, 32, v31
	v_subrev_nc_u32_e32 v31, 28, v33
	v_lshlrev_b64 v[31:32], v31, v[1:2]
	v_sub_nc_u32_e32 v32, 29, v33
	v_and_b32_e32 v31, 7, v31
; %bb.363:                              ;   in Loop: Header=BB265_350 Depth=1
	s_or_b32 exec_lo, exec_lo, s18
	v_lshlrev_b32_sdwa v1, v26, v1 dst_sel:DWORD dst_unused:UNUSED_PAD src0_sel:DWORD src1_sel:WORD_0
	v_lshl_add_u32 v32, v32, 10, 0x2000
	v_lshlrev_b32_e32 v31, 23, v31
	v_and_or_b32 v1, 0x8000, v1, v32
	v_lshl_or_b32 v31, v1, 16, v31
.LBB265_364:                            ;   in Loop: Header=BB265_350 Depth=1
	s_or_b32 exec_lo, exec_lo, s17
.LBB265_365:                            ;   in Loop: Header=BB265_350 Depth=1
	s_or_b32 exec_lo, exec_lo, s13
.LBB265_366:                            ;   in Loop: Header=BB265_350 Depth=1
	s_or_b32 exec_lo, exec_lo, s0
	v_lshrrev_b32_e32 v1, 16, v9
	v_cmp_ne_u16_sdwa s13, v1, v2 src0_sel:BYTE_0 src1_sel:DWORD
	s_and_saveexec_b32 s0, s13
	s_cbranch_execz .LBB265_374
; %bb.367:                              ;   in Loop: Header=BB265_350 Depth=1
	v_cmp_ne_u16_sdwa s17, v1, v23 src0_sel:BYTE_0 src1_sel:DWORD
	v_mov_b32_e32 v28, 0x8000
	s_and_saveexec_b32 s13, s17
	s_cbranch_execz .LBB265_373
; %bb.368:                              ;   in Loop: Header=BB265_350 Depth=1
	v_bfe_u32 v33, v9, 16, 7
	v_mov_b32_e32 v28, 0x7c01
	s_mov_b32 s17, exec_lo
	v_cmpx_ne_u32_e32 0x7f, v33
	s_cbranch_execz .LBB265_372
; %bb.369:                              ;   in Loop: Header=BB265_350 Depth=1
	v_and_b32_e32 v28, 7, v1
	v_lshrrev_b32_e32 v32, 3, v33
	s_mov_b32 s18, exec_lo
	v_cmpx_gt_u32_e32 8, v33
; %bb.370:                              ;   in Loop: Header=BB265_350 Depth=1
	v_ffbh_u32_e32 v28, v28
	v_min_u32_e32 v28, 32, v28
	v_subrev_nc_u32_e32 v32, 28, v28
	v_lshlrev_b64 v[33:34], v32, v[1:2]
	v_sub_nc_u32_e32 v32, 29, v28
	v_and_b32_e32 v28, 7, v33
; %bb.371:                              ;   in Loop: Header=BB265_350 Depth=1
	s_or_b32 exec_lo, exec_lo, s18
	v_lshlrev_b32_e32 v1, 8, v1
	v_lshl_add_u32 v32, v32, 10, 0x2000
	v_lshlrev_b32_e32 v28, 7, v28
	v_and_b32_e32 v1, 0x8000, v1
	v_and_b32_e32 v32, 0xfc00, v32
	v_or3_b32 v28, v1, v32, v28
.LBB265_372:                            ;   in Loop: Header=BB265_350 Depth=1
	s_or_b32 exec_lo, exec_lo, s17
.LBB265_373:                            ;   in Loop: Header=BB265_350 Depth=1
	s_or_b32 exec_lo, exec_lo, s13
.LBB265_374:                            ;   in Loop: Header=BB265_350 Depth=1
	s_or_b32 exec_lo, exec_lo, s0
	v_mov_b32_e32 v32, 0
	v_mov_b32_e32 v33, 0
	s_mov_b32 s0, exec_lo
	v_cmpx_lt_u32_e32 0xffffff, v9
	s_cbranch_execz .LBB265_382
; %bb.375:                              ;   in Loop: Header=BB265_350 Depth=1
	v_lshrrev_b32_e32 v1, 24, v9
	v_bfrev_b32_e32 v33, 1
	s_mov_b32 s13, exec_lo
	v_cmpx_ne_u32_e32 0x80, v1
	s_cbranch_execz .LBB265_381
; %bb.376:                              ;   in Loop: Header=BB265_350 Depth=1
	v_and_b32_e32 v43, 0x7f, v1
	v_mov_b32_e32 v33, 0x7c010000
	s_mov_b32 s17, exec_lo
	v_cmpx_ne_u32_e32 0x7f, v43
	s_cbranch_execz .LBB265_380
; %bb.377:                              ;   in Loop: Header=BB265_350 Depth=1
	v_and_b32_e32 v33, 7, v1
	v_lshrrev_b32_e32 v34, 3, v43
	s_mov_b32 s18, exec_lo
	v_cmpx_gt_u32_e32 8, v43
; %bb.378:                              ;   in Loop: Header=BB265_350 Depth=1
	v_ffbh_u32_e32 v33, v33
	v_min_u32_e32 v43, 32, v33
	v_subrev_nc_u32_e32 v33, 28, v43
	v_lshlrev_b64 v[33:34], v33, v[1:2]
	v_sub_nc_u32_e32 v34, 29, v43
	v_and_b32_e32 v33, 7, v33
; %bb.379:                              ;   in Loop: Header=BB265_350 Depth=1
	s_or_b32 exec_lo, exec_lo, s18
	v_lshlrev_b32_e32 v1, 8, v1
	v_lshl_add_u32 v34, v34, 10, 0x2000
	v_lshlrev_b32_e32 v33, 23, v33
	v_and_or_b32 v1, 0x8000, v1, v34
	v_lshl_or_b32 v33, v1, 16, v33
.LBB265_380:                            ;   in Loop: Header=BB265_350 Depth=1
	s_or_b32 exec_lo, exec_lo, s17
.LBB265_381:                            ;   in Loop: Header=BB265_350 Depth=1
	s_or_b32 exec_lo, exec_lo, s13
.LBB265_382:                            ;   in Loop: Header=BB265_350 Depth=1
	s_or_b32 exec_lo, exec_lo, s0
	v_mov_b32_e32 v1, v10
	v_cmp_ne_u16_sdwa s13, v10, v2 src0_sel:BYTE_0 src1_sel:DWORD
	s_and_saveexec_b32 s0, s13
	s_cbranch_execz .LBB265_390
; %bb.383:                              ;   in Loop: Header=BB265_350 Depth=1
	v_cmp_ne_u16_sdwa s17, v10, v23 src0_sel:BYTE_0 src1_sel:DWORD
	v_mov_b32_e32 v32, 0x8000
	s_and_saveexec_b32 s13, s17
	s_cbranch_execz .LBB265_389
; %bb.384:                              ;   in Loop: Header=BB265_350 Depth=1
	v_and_b32_e32 v43, 0x7f, v10
	v_mov_b32_e32 v32, 0x7c01
	s_mov_b32 s17, exec_lo
	v_cmpx_ne_u32_e32 0x7f, v43
	s_cbranch_execz .LBB265_388
; %bb.385:                              ;   in Loop: Header=BB265_350 Depth=1
	v_and_b32_e32 v32, 7, v10
	v_lshrrev_b32_e32 v34, 3, v43
	s_mov_b32 s18, exec_lo
	v_cmpx_gt_u32_e32 8, v43
; %bb.386:                              ;   in Loop: Header=BB265_350 Depth=1
	v_ffbh_u32_e32 v32, v32
	v_min_u32_e32 v32, 32, v32
	v_subrev_nc_u32_e32 v34, 28, v32
	v_lshlrev_b64 v[43:44], v34, v[1:2]
	v_sub_nc_u32_e32 v34, 29, v32
	v_and_b32_e32 v32, 7, v43
; %bb.387:                              ;   in Loop: Header=BB265_350 Depth=1
	s_or_b32 exec_lo, exec_lo, s18
	v_lshlrev_b32_e32 v43, 8, v10
	v_lshl_add_u32 v34, v34, 10, 0x2000
	v_lshlrev_b32_e32 v32, 7, v32
	v_and_b32_e32 v43, 0x8000, v43
	v_and_b32_e32 v34, 0xfc00, v34
	v_or3_b32 v32, v43, v34, v32
.LBB265_388:                            ;   in Loop: Header=BB265_350 Depth=1
	s_or_b32 exec_lo, exec_lo, s17
.LBB265_389:                            ;   in Loop: Header=BB265_350 Depth=1
	s_or_b32 exec_lo, exec_lo, s13
.LBB265_390:                            ;   in Loop: Header=BB265_350 Depth=1
	s_or_b32 exec_lo, exec_lo, s0
	v_lshrrev_b16 v1, 8, v1
	v_mov_b32_e32 v43, 0
	v_mov_b32_e32 v34, 0
	s_mov_b32 s0, exec_lo
	v_cmpx_ne_u16_e32 0, v1
	s_cbranch_execz .LBB265_398
; %bb.391:                              ;   in Loop: Header=BB265_350 Depth=1
	v_bfrev_b32_e32 v34, 1
	s_mov_b32 s13, exec_lo
	v_cmpx_ne_u16_e32 0x80, v1
	s_cbranch_execz .LBB265_397
; %bb.392:                              ;   in Loop: Header=BB265_350 Depth=1
	v_and_b32_sdwa v45, v1, v24 dst_sel:DWORD dst_unused:UNUSED_PAD src0_sel:WORD_0 src1_sel:DWORD
	v_mov_b32_e32 v34, 0x7c010000
	s_mov_b32 s17, exec_lo
	v_cmpx_ne_u32_e32 0x7f, v45
	s_cbranch_execz .LBB265_396
; %bb.393:                              ;   in Loop: Header=BB265_350 Depth=1
	v_and_b32_sdwa v34, v1, v25 dst_sel:DWORD dst_unused:UNUSED_PAD src0_sel:WORD_0 src1_sel:DWORD
	v_lshrrev_b32_e32 v44, 3, v45
	s_mov_b32 s18, exec_lo
	v_cmpx_gt_u32_e32 8, v45
; %bb.394:                              ;   in Loop: Header=BB265_350 Depth=1
	v_ffbh_u32_e32 v34, v34
	v_min_u32_e32 v34, 32, v34
	v_subrev_nc_u32_e32 v44, 28, v34
	v_lshlrev_b64 v[45:46], v44, v[1:2]
	v_sub_nc_u32_e32 v44, 29, v34
	v_and_b32_e32 v34, 7, v45
; %bb.395:                              ;   in Loop: Header=BB265_350 Depth=1
	s_or_b32 exec_lo, exec_lo, s18
	v_lshlrev_b32_sdwa v1, v26, v1 dst_sel:DWORD dst_unused:UNUSED_PAD src0_sel:DWORD src1_sel:WORD_0
	v_lshl_add_u32 v44, v44, 10, 0x2000
	v_lshlrev_b32_e32 v34, 23, v34
	v_and_or_b32 v1, 0x8000, v1, v44
	v_lshl_or_b32 v34, v1, 16, v34
.LBB265_396:                            ;   in Loop: Header=BB265_350 Depth=1
	s_or_b32 exec_lo, exec_lo, s17
.LBB265_397:                            ;   in Loop: Header=BB265_350 Depth=1
	s_or_b32 exec_lo, exec_lo, s13
.LBB265_398:                            ;   in Loop: Header=BB265_350 Depth=1
	s_or_b32 exec_lo, exec_lo, s0
	v_lshrrev_b32_e32 v1, 16, v10
	v_cmp_ne_u16_sdwa s13, v1, v2 src0_sel:BYTE_0 src1_sel:DWORD
	s_and_saveexec_b32 s0, s13
	s_cbranch_execz .LBB265_406
; %bb.399:                              ;   in Loop: Header=BB265_350 Depth=1
	v_cmp_ne_u16_sdwa s17, v1, v23 src0_sel:BYTE_0 src1_sel:DWORD
	v_mov_b32_e32 v43, 0x8000
	s_and_saveexec_b32 s13, s17
	s_cbranch_execz .LBB265_405
; %bb.400:                              ;   in Loop: Header=BB265_350 Depth=1
	v_bfe_u32 v45, v10, 16, 7
	v_mov_b32_e32 v43, 0x7c01
	s_mov_b32 s17, exec_lo
	v_cmpx_ne_u32_e32 0x7f, v45
	s_cbranch_execz .LBB265_404
; %bb.401:                              ;   in Loop: Header=BB265_350 Depth=1
	v_and_b32_e32 v43, 7, v1
	v_lshrrev_b32_e32 v44, 3, v45
	s_mov_b32 s18, exec_lo
	v_cmpx_gt_u32_e32 8, v45
; %bb.402:                              ;   in Loop: Header=BB265_350 Depth=1
	v_ffbh_u32_e32 v43, v43
	v_min_u32_e32 v45, 32, v43
	v_subrev_nc_u32_e32 v43, 28, v45
	v_lshlrev_b64 v[43:44], v43, v[1:2]
	v_sub_nc_u32_e32 v44, 29, v45
	v_and_b32_e32 v43, 7, v43
; %bb.403:                              ;   in Loop: Header=BB265_350 Depth=1
	s_or_b32 exec_lo, exec_lo, s18
	v_lshlrev_b32_e32 v1, 8, v1
	v_lshl_add_u32 v44, v44, 10, 0x2000
	v_lshlrev_b32_e32 v43, 7, v43
	v_and_b32_e32 v1, 0x8000, v1
	v_and_b32_e32 v44, 0xfc00, v44
	v_or3_b32 v43, v1, v44, v43
.LBB265_404:                            ;   in Loop: Header=BB265_350 Depth=1
	s_or_b32 exec_lo, exec_lo, s17
.LBB265_405:                            ;   in Loop: Header=BB265_350 Depth=1
	s_or_b32 exec_lo, exec_lo, s13
.LBB265_406:                            ;   in Loop: Header=BB265_350 Depth=1
	s_or_b32 exec_lo, exec_lo, s0
	v_cmp_lt_u64_e32 vcc_lo, s[2:3], v[9:10]
	v_mov_b32_e32 v9, 0
	s_and_saveexec_b32 s0, vcc_lo
	s_cbranch_execz .LBB265_414
; %bb.407:                              ;   in Loop: Header=BB265_350 Depth=1
	v_lshrrev_b32_e32 v1, 24, v10
	v_bfrev_b32_e32 v9, 1
	s_mov_b32 s13, exec_lo
	v_cmpx_ne_u32_e32 0x80, v1
	s_cbranch_execz .LBB265_413
; %bb.408:                              ;   in Loop: Header=BB265_350 Depth=1
	v_and_b32_e32 v44, 0x7f, v1
	v_mov_b32_e32 v9, 0x7c010000
	s_mov_b32 s17, exec_lo
	v_cmpx_ne_u32_e32 0x7f, v44
	s_cbranch_execz .LBB265_412
; %bb.409:                              ;   in Loop: Header=BB265_350 Depth=1
	v_and_b32_e32 v9, 7, v1
	v_lshrrev_b32_e32 v10, 3, v44
	s_mov_b32 s18, exec_lo
	v_cmpx_gt_u32_e32 8, v44
; %bb.410:                              ;   in Loop: Header=BB265_350 Depth=1
	v_ffbh_u32_e32 v9, v9
	v_min_u32_e32 v44, 32, v9
	v_subrev_nc_u32_e32 v9, 28, v44
	v_lshlrev_b64 v[9:10], v9, v[1:2]
	v_sub_nc_u32_e32 v10, 29, v44
	v_and_b32_e32 v9, 7, v9
; %bb.411:                              ;   in Loop: Header=BB265_350 Depth=1
	s_or_b32 exec_lo, exec_lo, s18
	v_lshlrev_b32_e32 v1, 8, v1
	v_lshl_add_u32 v10, v10, 10, 0x2000
	v_lshlrev_b32_e32 v9, 23, v9
	v_and_or_b32 v1, 0x8000, v1, v10
	v_lshl_or_b32 v9, v1, 16, v9
.LBB265_412:                            ;   in Loop: Header=BB265_350 Depth=1
	s_or_b32 exec_lo, exec_lo, s17
.LBB265_413:                            ;   in Loop: Header=BB265_350 Depth=1
	s_or_b32 exec_lo, exec_lo, s13
.LBB265_414:                            ;   in Loop: Header=BB265_350 Depth=1
	s_or_b32 exec_lo, exec_lo, s0
	v_or_b32_e32 v1, v33, v28
	s_waitcnt vmcnt(0)
	v_fma_mixlo_f16 v10, v29, v33, 0 op_sel:[0,1,0] op_sel_hi:[0,1,0]
	v_or_b32_e32 v30, v31, v30
	v_fma_mixlo_f16 v31, v29, v31, 0 op_sel:[0,1,0] op_sel_hi:[0,1,0]
	v_or_b32_e32 v32, v34, v32
	v_fma_mixlo_f16 v1, v29, v1, 0 op_sel_hi:[0,1,0]
	v_or_b32_e32 v33, v9, v43
	v_fma_mixlo_f16 v9, v29, v9, 0 op_sel:[0,1,0] op_sel_hi:[0,1,0]
	v_lshlrev_b32_e32 v49, 16, v31
	v_fma_mixlo_f16 v31, v29, v32, 0 op_sel_hi:[0,1,0]
	v_and_b32_e32 v46, 0xffff, v1
	v_fma_mixlo_f16 v1, v29, v30, 0 op_sel_hi:[0,1,0]
	v_fma_mixlo_f16 v30, v29, v34, 0 op_sel:[0,1,0] op_sel_hi:[0,1,0]
	v_fma_mixlo_f16 v29, v29, v33, 0 op_sel_hi:[0,1,0]
	v_lshlrev_b32_e32 v10, 16, v10
	v_and_b32_e32 v50, 0xffff, v31
	v_and_b32_e32 v51, 0xffff, v1
	v_lshlrev_b32_e32 v47, 16, v30
	v_lshlrev_b32_e32 v44, 16, v9
	v_and_b32_e32 v48, 0xffff, v29
	v_add_nc_u32_e32 v28, -7, v22
	v_cmp_eq_u32_e32 vcc_lo, s5, v27
	v_or_b32_e32 v1, v10, v46
	v_or_b32_e32 v9, v49, v51
	;; [unrolled: 1-line block ×4, first 2 shown]
	v_add_nc_u32_e32 v34, -6, v22
	v_add_nc_u32_e32 v33, -5, v22
	v_add_nc_u32_e32 v32, -4, v22
	v_add_nc_u32_e32 v31, -3, v22
	v_add_nc_u32_e32 v30, -2, v22
	v_add_nc_u32_e32 v29, -1, v22
	s_and_saveexec_b32 s13, vcc_lo
	s_cbranch_execz .LBB265_416
; %bb.415:                              ;   in Loop: Header=BB265_350 Depth=1
	v_cmp_gt_i32_e64 s0, s11, v28
	v_cndmask_b32_e64 v1, 0, v51, s0
	v_cmp_gt_i32_e64 s0, s11, v34
	v_cndmask_b32_e64 v9, 0, v49, s0
	v_cmp_gt_i32_e64 s0, s11, v33
	v_or_b32_e32 v9, v9, v1
	v_cndmask_b32_e64 v43, 0, v46, s0
	v_cmp_gt_i32_e64 s0, s11, v32
	v_cndmask_b32_e64 v10, 0, v10, s0
	v_cmp_gt_i32_e64 s0, s11, v31
	v_or_b32_e32 v1, v10, v43
	;; [unrolled: 5-line block ×3, first 2 shown]
	v_cndmask_b32_e64 v47, 0, v48, s0
	v_cmp_gt_i32_e64 s0, s11, v22
	v_cndmask_b32_e64 v44, 0, v44, s0
	v_or_b32_e32 v45, v44, v47
.LBB265_416:                            ;   in Loop: Header=BB265_350 Depth=1
	s_or_b32 exec_lo, exec_lo, s13
	v_and_b32_e32 v10, 0xffff, v35
	v_and_b32_e32 v35, 0xffff, v38
	;; [unrolled: 1-line block ×4, first 2 shown]
	v_lshl_or_b32 v39, v36, 16, v10
	v_lshl_or_b32 v38, v37, 16, v35
	;;#ASMSTART
	v_pk_mul_f16 v9, v39, v9;

	;;#ASMEND
	;;#ASMSTART
	v_pk_mul_f16 v1, v38, v1;

	;;#ASMEND
	v_lshl_or_b32 v36, v40, 16, v44
	v_lshl_or_b32 v35, v41, 16, v42
	;;#ASMSTART
	v_pk_mul_f16 v10, v36, v43;

	;;#ASMEND
	;;#ASMSTART
	v_pk_mul_f16 v37, v35, v45;

	;;#ASMEND
	;;#ASMSTART
	v_pk_add_f16 v1, v9, v1;

	;;#ASMEND
	;;#ASMSTART
	v_pk_add_f16 v1, v1, v10;
	;; [unrolled: 4-line block ×3, first 2 shown]

	;;#ASMEND
	v_and_b32_e32 v9, 0xffff, v1
	v_lshrrev_b32_e32 v1, 16, v1
	;;#ASMSTART
	v_cvt_f32_f16 v37, v9;
	;;#ASMEND
	;;#ASMSTART
	v_cvt_f32_f16 v40, v1;
	;;#ASMEND
	global_load_dwordx2 v[9:10], v[7:8], off offset:256
	v_mov_b32_e32 v42, 0
	v_mov_b32_e32 v43, 0
	global_load_dword v41, v42, s[14:15]
	s_waitcnt vmcnt(1)
	v_cmp_ne_u16_sdwa s0, v9, v2 src0_sel:BYTE_0 src1_sel:DWORD
	s_and_saveexec_b32 s13, s0
	s_cbranch_execz .LBB265_424
; %bb.417:                              ;   in Loop: Header=BB265_350 Depth=1
	v_cmp_ne_u16_sdwa s0, v9, v23 src0_sel:BYTE_0 src1_sel:DWORD
	v_mov_b32_e32 v43, 0x8000
	s_and_saveexec_b32 s17, s0
	s_cbranch_execz .LBB265_423
; %bb.418:                              ;   in Loop: Header=BB265_350 Depth=1
	v_and_b32_e32 v44, 0x7f, v9
	v_mov_b32_e32 v43, 0x7c01
	s_mov_b32 s18, exec_lo
	v_cmpx_ne_u32_e32 0x7f, v44
	s_cbranch_execz .LBB265_422
; %bb.419:                              ;   in Loop: Header=BB265_350 Depth=1
	v_and_b32_e32 v1, 7, v9
	v_lshrrev_b32_e32 v43, 3, v44
	s_mov_b32 s19, exec_lo
	v_cmpx_gt_u32_e32 8, v44
; %bb.420:                              ;   in Loop: Header=BB265_350 Depth=1
	v_ffbh_u32_e32 v1, v1
	v_min_u32_e32 v1, 32, v1
	v_subrev_nc_u32_e32 v43, 28, v1
	v_lshlrev_b64 v[44:45], v43, v[9:10]
	v_sub_nc_u32_e32 v43, 29, v1
	v_and_b32_e32 v1, 7, v44
; %bb.421:                              ;   in Loop: Header=BB265_350 Depth=1
	s_or_b32 exec_lo, exec_lo, s19
	v_lshlrev_b32_e32 v44, 8, v9
	v_lshl_add_u32 v43, v43, 10, 0x2000
	v_lshlrev_b32_e32 v1, 7, v1
	v_and_b32_e32 v44, 0x8000, v44
	v_and_b32_e32 v43, 0xfc00, v43
	v_or3_b32 v43, v44, v43, v1
.LBB265_422:                            ;   in Loop: Header=BB265_350 Depth=1
	s_or_b32 exec_lo, exec_lo, s18
.LBB265_423:                            ;   in Loop: Header=BB265_350 Depth=1
	s_or_b32 exec_lo, exec_lo, s17
.LBB265_424:                            ;   in Loop: Header=BB265_350 Depth=1
	s_or_b32 exec_lo, exec_lo, s13
	v_lshrrev_b16 v1, 8, v9
	s_mov_b32 s13, exec_lo
	v_cmpx_ne_u16_e32 0, v1
	s_cbranch_execz .LBB265_432
; %bb.425:                              ;   in Loop: Header=BB265_350 Depth=1
	v_bfrev_b32_e32 v42, 1
	s_mov_b32 s17, exec_lo
	v_cmpx_ne_u16_e32 0x80, v1
	s_cbranch_execz .LBB265_431
; %bb.426:                              ;   in Loop: Header=BB265_350 Depth=1
	v_and_b32_sdwa v45, v1, v24 dst_sel:DWORD dst_unused:UNUSED_PAD src0_sel:WORD_0 src1_sel:DWORD
	v_mov_b32_e32 v42, 0x7c010000
	s_mov_b32 s18, exec_lo
	v_cmpx_ne_u32_e32 0x7f, v45
	s_cbranch_execz .LBB265_430
; %bb.427:                              ;   in Loop: Header=BB265_350 Depth=1
	v_and_b32_sdwa v42, v1, v25 dst_sel:DWORD dst_unused:UNUSED_PAD src0_sel:WORD_0 src1_sel:DWORD
	v_lshrrev_b32_e32 v44, 3, v45
	s_mov_b32 s19, exec_lo
	v_cmpx_gt_u32_e32 8, v45
; %bb.428:                              ;   in Loop: Header=BB265_350 Depth=1
	v_ffbh_u32_e32 v42, v42
	v_min_u32_e32 v42, 32, v42
	v_subrev_nc_u32_e32 v44, 28, v42
	v_lshlrev_b64 v[45:46], v44, v[1:2]
	v_sub_nc_u32_e32 v44, 29, v42
	v_and_b32_e32 v42, 7, v45
; %bb.429:                              ;   in Loop: Header=BB265_350 Depth=1
	s_or_b32 exec_lo, exec_lo, s19
	v_lshlrev_b32_sdwa v1, v26, v1 dst_sel:DWORD dst_unused:UNUSED_PAD src0_sel:DWORD src1_sel:WORD_0
	v_lshl_add_u32 v44, v44, 10, 0x2000
	v_lshlrev_b32_e32 v42, 23, v42
	v_and_or_b32 v1, 0x8000, v1, v44
	v_lshl_or_b32 v42, v1, 16, v42
.LBB265_430:                            ;   in Loop: Header=BB265_350 Depth=1
	s_or_b32 exec_lo, exec_lo, s18
.LBB265_431:                            ;   in Loop: Header=BB265_350 Depth=1
	s_or_b32 exec_lo, exec_lo, s17
.LBB265_432:                            ;   in Loop: Header=BB265_350 Depth=1
	s_or_b32 exec_lo, exec_lo, s13
	v_lshrrev_b32_e32 v1, 16, v9
	v_mov_b32_e32 v44, 0
	v_mov_b32_e32 v45, 0
	v_cmp_ne_u16_sdwa s0, v1, v2 src0_sel:BYTE_0 src1_sel:DWORD
	s_and_saveexec_b32 s13, s0
	s_cbranch_execz .LBB265_440
; %bb.433:                              ;   in Loop: Header=BB265_350 Depth=1
	v_cmp_ne_u16_sdwa s0, v1, v23 src0_sel:BYTE_0 src1_sel:DWORD
	v_mov_b32_e32 v45, 0x8000
	s_and_saveexec_b32 s17, s0
	s_cbranch_execz .LBB265_439
; %bb.434:                              ;   in Loop: Header=BB265_350 Depth=1
	v_bfe_u32 v47, v9, 16, 7
	v_mov_b32_e32 v45, 0x7c01
	s_mov_b32 s18, exec_lo
	v_cmpx_ne_u32_e32 0x7f, v47
	s_cbranch_execz .LBB265_438
; %bb.435:                              ;   in Loop: Header=BB265_350 Depth=1
	v_and_b32_e32 v45, 7, v1
	v_lshrrev_b32_e32 v46, 3, v47
	s_mov_b32 s19, exec_lo
	v_cmpx_gt_u32_e32 8, v47
; %bb.436:                              ;   in Loop: Header=BB265_350 Depth=1
	v_ffbh_u32_e32 v45, v45
	v_min_u32_e32 v47, 32, v45
	v_subrev_nc_u32_e32 v45, 28, v47
	v_lshlrev_b64 v[45:46], v45, v[1:2]
	v_sub_nc_u32_e32 v46, 29, v47
	v_and_b32_e32 v45, 7, v45
; %bb.437:                              ;   in Loop: Header=BB265_350 Depth=1
	s_or_b32 exec_lo, exec_lo, s19
	v_lshlrev_b32_e32 v1, 8, v1
	v_lshl_add_u32 v46, v46, 10, 0x2000
	v_lshlrev_b32_e32 v45, 7, v45
	v_and_b32_e32 v1, 0x8000, v1
	v_and_b32_e32 v46, 0xfc00, v46
	v_or3_b32 v45, v1, v46, v45
.LBB265_438:                            ;   in Loop: Header=BB265_350 Depth=1
	s_or_b32 exec_lo, exec_lo, s18
.LBB265_439:                            ;   in Loop: Header=BB265_350 Depth=1
	s_or_b32 exec_lo, exec_lo, s17
.LBB265_440:                            ;   in Loop: Header=BB265_350 Depth=1
	s_or_b32 exec_lo, exec_lo, s13
	s_mov_b32 s13, exec_lo
	v_cmpx_lt_u32_e32 0xffffff, v9
	s_cbranch_execz .LBB265_448
; %bb.441:                              ;   in Loop: Header=BB265_350 Depth=1
	v_lshrrev_b32_e32 v1, 24, v9
	v_bfrev_b32_e32 v44, 1
	s_mov_b32 s17, exec_lo
	v_cmpx_ne_u32_e32 0x80, v1
	s_cbranch_execz .LBB265_447
; %bb.442:                              ;   in Loop: Header=BB265_350 Depth=1
	v_and_b32_e32 v47, 0x7f, v1
	v_mov_b32_e32 v44, 0x7c010000
	s_mov_b32 s18, exec_lo
	v_cmpx_ne_u32_e32 0x7f, v47
	s_cbranch_execz .LBB265_446
; %bb.443:                              ;   in Loop: Header=BB265_350 Depth=1
	v_and_b32_e32 v44, 7, v1
	v_lshrrev_b32_e32 v46, 3, v47
	s_mov_b32 s19, exec_lo
	v_cmpx_gt_u32_e32 8, v47
; %bb.444:                              ;   in Loop: Header=BB265_350 Depth=1
	v_ffbh_u32_e32 v44, v44
	v_min_u32_e32 v44, 32, v44
	v_subrev_nc_u32_e32 v46, 28, v44
	v_lshlrev_b64 v[47:48], v46, v[1:2]
	v_sub_nc_u32_e32 v46, 29, v44
	v_and_b32_e32 v44, 7, v47
; %bb.445:                              ;   in Loop: Header=BB265_350 Depth=1
	s_or_b32 exec_lo, exec_lo, s19
	v_lshlrev_b32_e32 v1, 8, v1
	v_lshl_add_u32 v46, v46, 10, 0x2000
	v_lshlrev_b32_e32 v44, 23, v44
	v_and_or_b32 v1, 0x8000, v1, v46
	v_lshl_or_b32 v44, v1, 16, v44
.LBB265_446:                            ;   in Loop: Header=BB265_350 Depth=1
	s_or_b32 exec_lo, exec_lo, s18
.LBB265_447:                            ;   in Loop: Header=BB265_350 Depth=1
	s_or_b32 exec_lo, exec_lo, s17
.LBB265_448:                            ;   in Loop: Header=BB265_350 Depth=1
	s_or_b32 exec_lo, exec_lo, s13
	v_mov_b32_e32 v1, v10
	v_cmp_ne_u16_sdwa s0, v10, v2 src0_sel:BYTE_0 src1_sel:DWORD
	v_mov_b32_e32 v46, 0
	v_mov_b32_e32 v47, 0
	s_and_saveexec_b32 s13, s0
	s_cbranch_execz .LBB265_456
; %bb.449:                              ;   in Loop: Header=BB265_350 Depth=1
	v_cmp_ne_u16_sdwa s0, v10, v23 src0_sel:BYTE_0 src1_sel:DWORD
	v_mov_b32_e32 v47, 0x8000
	s_and_saveexec_b32 s17, s0
	s_cbranch_execz .LBB265_455
; %bb.450:                              ;   in Loop: Header=BB265_350 Depth=1
	v_and_b32_e32 v49, 0x7f, v10
	v_mov_b32_e32 v47, 0x7c01
	s_mov_b32 s18, exec_lo
	v_cmpx_ne_u32_e32 0x7f, v49
	s_cbranch_execz .LBB265_454
; %bb.451:                              ;   in Loop: Header=BB265_350 Depth=1
	v_and_b32_e32 v47, 7, v10
	v_lshrrev_b32_e32 v48, 3, v49
	s_mov_b32 s19, exec_lo
	v_cmpx_gt_u32_e32 8, v49
; %bb.452:                              ;   in Loop: Header=BB265_350 Depth=1
	v_ffbh_u32_e32 v47, v47
	v_min_u32_e32 v49, 32, v47
	v_subrev_nc_u32_e32 v47, 28, v49
	v_lshlrev_b64 v[47:48], v47, v[1:2]
	v_sub_nc_u32_e32 v48, 29, v49
	v_and_b32_e32 v47, 7, v47
; %bb.453:                              ;   in Loop: Header=BB265_350 Depth=1
	s_or_b32 exec_lo, exec_lo, s19
	v_lshlrev_b32_e32 v49, 8, v10
	v_lshl_add_u32 v48, v48, 10, 0x2000
	v_lshlrev_b32_e32 v47, 7, v47
	v_and_b32_e32 v49, 0x8000, v49
	v_and_b32_e32 v48, 0xfc00, v48
	v_or3_b32 v47, v49, v48, v47
.LBB265_454:                            ;   in Loop: Header=BB265_350 Depth=1
	s_or_b32 exec_lo, exec_lo, s18
.LBB265_455:                            ;   in Loop: Header=BB265_350 Depth=1
	s_or_b32 exec_lo, exec_lo, s17
.LBB265_456:                            ;   in Loop: Header=BB265_350 Depth=1
	s_or_b32 exec_lo, exec_lo, s13
	v_lshrrev_b16 v1, 8, v1
	v_mov_b32_e32 v48, 0
	s_mov_b32 s13, exec_lo
	v_cmpx_ne_u16_e32 0, v1
	s_cbranch_execz .LBB265_464
; %bb.457:                              ;   in Loop: Header=BB265_350 Depth=1
	v_bfrev_b32_e32 v48, 1
	s_mov_b32 s17, exec_lo
	v_cmpx_ne_u16_e32 0x80, v1
	s_cbranch_execz .LBB265_463
; %bb.458:                              ;   in Loop: Header=BB265_350 Depth=1
	v_and_b32_sdwa v50, v1, v24 dst_sel:DWORD dst_unused:UNUSED_PAD src0_sel:WORD_0 src1_sel:DWORD
	v_mov_b32_e32 v48, 0x7c010000
	s_mov_b32 s18, exec_lo
	v_cmpx_ne_u32_e32 0x7f, v50
	s_cbranch_execz .LBB265_462
; %bb.459:                              ;   in Loop: Header=BB265_350 Depth=1
	v_and_b32_sdwa v48, v1, v25 dst_sel:DWORD dst_unused:UNUSED_PAD src0_sel:WORD_0 src1_sel:DWORD
	v_lshrrev_b32_e32 v49, 3, v50
	s_mov_b32 s19, exec_lo
	v_cmpx_gt_u32_e32 8, v50
; %bb.460:                              ;   in Loop: Header=BB265_350 Depth=1
	v_ffbh_u32_e32 v48, v48
	v_min_u32_e32 v50, 32, v48
	v_subrev_nc_u32_e32 v48, 28, v50
	v_lshlrev_b64 v[48:49], v48, v[1:2]
	v_sub_nc_u32_e32 v49, 29, v50
	v_and_b32_e32 v48, 7, v48
; %bb.461:                              ;   in Loop: Header=BB265_350 Depth=1
	s_or_b32 exec_lo, exec_lo, s19
	v_lshlrev_b32_sdwa v1, v26, v1 dst_sel:DWORD dst_unused:UNUSED_PAD src0_sel:DWORD src1_sel:WORD_0
	v_lshl_add_u32 v49, v49, 10, 0x2000
	v_lshlrev_b32_e32 v48, 23, v48
	v_and_or_b32 v1, 0x8000, v1, v49
	v_lshl_or_b32 v48, v1, 16, v48
.LBB265_462:                            ;   in Loop: Header=BB265_350 Depth=1
	s_or_b32 exec_lo, exec_lo, s18
.LBB265_463:                            ;   in Loop: Header=BB265_350 Depth=1
	s_or_b32 exec_lo, exec_lo, s17
.LBB265_464:                            ;   in Loop: Header=BB265_350 Depth=1
	s_or_b32 exec_lo, exec_lo, s13
	v_lshrrev_b32_e32 v1, 16, v10
	v_cmp_ne_u16_sdwa s0, v1, v2 src0_sel:BYTE_0 src1_sel:DWORD
	s_and_saveexec_b32 s13, s0
	s_cbranch_execz .LBB265_472
; %bb.465:                              ;   in Loop: Header=BB265_350 Depth=1
	v_cmp_ne_u16_sdwa s0, v1, v23 src0_sel:BYTE_0 src1_sel:DWORD
	v_mov_b32_e32 v46, 0x8000
	s_and_saveexec_b32 s17, s0
	s_cbranch_execz .LBB265_471
; %bb.466:                              ;   in Loop: Header=BB265_350 Depth=1
	v_bfe_u32 v50, v10, 16, 7
	v_mov_b32_e32 v46, 0x7c01
	s_mov_b32 s18, exec_lo
	v_cmpx_ne_u32_e32 0x7f, v50
	s_cbranch_execz .LBB265_470
; %bb.467:                              ;   in Loop: Header=BB265_350 Depth=1
	v_and_b32_e32 v46, 7, v1
	v_lshrrev_b32_e32 v49, 3, v50
	s_mov_b32 s19, exec_lo
	v_cmpx_gt_u32_e32 8, v50
; %bb.468:                              ;   in Loop: Header=BB265_350 Depth=1
	v_ffbh_u32_e32 v46, v46
	v_min_u32_e32 v46, 32, v46
	v_subrev_nc_u32_e32 v49, 28, v46
	v_lshlrev_b64 v[50:51], v49, v[1:2]
	v_sub_nc_u32_e32 v49, 29, v46
	v_and_b32_e32 v46, 7, v50
; %bb.469:                              ;   in Loop: Header=BB265_350 Depth=1
	s_or_b32 exec_lo, exec_lo, s19
	v_lshlrev_b32_e32 v1, 8, v1
	v_lshl_add_u32 v49, v49, 10, 0x2000
	v_lshlrev_b32_e32 v46, 7, v46
	v_and_b32_e32 v1, 0x8000, v1
	v_and_b32_e32 v49, 0xfc00, v49
	v_or3_b32 v46, v1, v49, v46
.LBB265_470:                            ;   in Loop: Header=BB265_350 Depth=1
	s_or_b32 exec_lo, exec_lo, s18
.LBB265_471:                            ;   in Loop: Header=BB265_350 Depth=1
	s_or_b32 exec_lo, exec_lo, s17
.LBB265_472:                            ;   in Loop: Header=BB265_350 Depth=1
	s_or_b32 exec_lo, exec_lo, s13
	v_cmp_lt_u64_e64 s0, s[2:3], v[9:10]
	v_mov_b32_e32 v9, 0
	s_and_saveexec_b32 s13, s0
	s_cbranch_execz .LBB265_480
; %bb.473:                              ;   in Loop: Header=BB265_350 Depth=1
	v_lshrrev_b32_e32 v1, 24, v10
	v_bfrev_b32_e32 v9, 1
	s_mov_b32 s17, exec_lo
	v_cmpx_ne_u32_e32 0x80, v1
	s_cbranch_execz .LBB265_479
; %bb.474:                              ;   in Loop: Header=BB265_350 Depth=1
	v_and_b32_e32 v49, 0x7f, v1
	v_mov_b32_e32 v9, 0x7c010000
	s_mov_b32 s18, exec_lo
	v_cmpx_ne_u32_e32 0x7f, v49
	s_cbranch_execz .LBB265_478
; %bb.475:                              ;   in Loop: Header=BB265_350 Depth=1
	v_and_b32_e32 v9, 7, v1
	v_lshrrev_b32_e32 v10, 3, v49
	s_mov_b32 s19, exec_lo
	v_cmpx_gt_u32_e32 8, v49
; %bb.476:                              ;   in Loop: Header=BB265_350 Depth=1
	v_ffbh_u32_e32 v9, v9
	v_min_u32_e32 v49, 32, v9
	v_subrev_nc_u32_e32 v9, 28, v49
	v_lshlrev_b64 v[9:10], v9, v[1:2]
	v_sub_nc_u32_e32 v10, 29, v49
	v_and_b32_e32 v9, 7, v9
; %bb.477:                              ;   in Loop: Header=BB265_350 Depth=1
	s_or_b32 exec_lo, exec_lo, s19
	v_lshlrev_b32_e32 v1, 8, v1
	v_lshl_add_u32 v10, v10, 10, 0x2000
	v_lshlrev_b32_e32 v9, 23, v9
	v_and_or_b32 v1, 0x8000, v1, v10
	v_lshl_or_b32 v9, v1, 16, v9
.LBB265_478:                            ;   in Loop: Header=BB265_350 Depth=1
	s_or_b32 exec_lo, exec_lo, s18
.LBB265_479:                            ;   in Loop: Header=BB265_350 Depth=1
	s_or_b32 exec_lo, exec_lo, s17
.LBB265_480:                            ;   in Loop: Header=BB265_350 Depth=1
	s_or_b32 exec_lo, exec_lo, s13
	v_or_b32_e32 v1, v44, v45
	s_waitcnt vmcnt(0)
	v_fma_mixlo_f16 v10, v41, v44, 0 op_sel:[0,1,0] op_sel_hi:[0,1,0]
	v_or_b32_e32 v44, v42, v43
	v_fma_mixlo_f16 v42, v41, v42, 0 op_sel:[0,1,0] op_sel_hi:[0,1,0]
	v_or_b32_e32 v45, v48, v47
	v_or_b32_e32 v46, v9, v46
	v_fma_mixlo_f16 v47, v41, v1, 0 op_sel_hi:[0,1,0]
	v_fma_mixlo_f16 v9, v41, v9, 0 op_sel:[0,1,0] op_sel_hi:[0,1,0]
	v_lshlrev_b32_e32 v43, 16, v42
	v_fma_mixlo_f16 v42, v41, v44, 0 op_sel_hi:[0,1,0]
	v_fma_mixlo_f16 v44, v41, v48, 0 op_sel:[0,1,0] op_sel_hi:[0,1,0]
	v_fma_mixlo_f16 v45, v41, v45, 0 op_sel_hi:[0,1,0]
	v_fma_mixlo_f16 v46, v41, v46, 0 op_sel_hi:[0,1,0]
	v_lshlrev_b32_e32 v1, 16, v10
	v_and_b32_e32 v10, 0xffff, v47
	v_and_b32_e32 v49, 0xffff, v42
	v_lshlrev_b32_e32 v41, 16, v44
	v_and_b32_e32 v45, 0xffff, v45
	v_lshlrev_b32_e32 v9, 16, v9
	v_and_b32_e32 v42, 0xffff, v46
	v_or_b32_e32 v44, v1, v10
	v_or_b32_e32 v48, v43, v49
	;; [unrolled: 1-line block ×4, first 2 shown]
	s_and_saveexec_b32 s13, vcc_lo
	s_cbranch_execz .LBB265_482
; %bb.481:                              ;   in Loop: Header=BB265_350 Depth=1
	v_cmp_gt_i32_e64 s0, s11, v28
	v_cndmask_b32_e64 v44, 0, v49, s0
	v_cmp_gt_i32_e64 s0, s11, v34
	v_cndmask_b32_e64 v43, 0, v43, s0
	v_cmp_gt_i32_e64 s0, s11, v33
	v_or_b32_e32 v48, v43, v44
	v_cndmask_b32_e64 v10, 0, v10, s0
	v_cmp_gt_i32_e64 s0, s11, v32
	v_cndmask_b32_e64 v1, 0, v1, s0
	v_cmp_gt_i32_e64 s0, s11, v31
	v_or_b32_e32 v44, v1, v10
	;; [unrolled: 5-line block ×3, first 2 shown]
	v_cndmask_b32_e64 v42, 0, v42, s0
	v_cmp_gt_i32_e64 s0, s11, v22
	v_cndmask_b32_e64 v9, 0, v9, s0
	v_or_b32_e32 v46, v9, v42
.LBB265_482:                            ;   in Loop: Header=BB265_350 Depth=1
	s_or_b32 exec_lo, exec_lo, s13
	;;#ASMSTART
	v_pk_mul_f16 v1, v39, v48;

	;;#ASMEND
	;;#ASMSTART
	v_pk_mul_f16 v9, v38, v44;

	;;#ASMEND
	;; [unrolled: 4-line block ×4, first 2 shown]
	;;#ASMSTART
	v_pk_add_f16 v1, v1, v9;

	;;#ASMEND
	;;#ASMSTART
	v_pk_add_f16 v1, v1, v10;

	;;#ASMEND
	;; [unrolled: 4-line block ×3, first 2 shown]
	v_and_b32_e32 v9, 0xffff, v1
	v_lshrrev_b32_e32 v1, 16, v1
	;;#ASMSTART
	v_cvt_f32_f16 v41, v9;
	;;#ASMEND
	;;#ASMSTART
	v_cvt_f32_f16 v42, v1;
	;;#ASMEND
	global_load_dwordx2 v[9:10], v[7:8], off offset:512
	v_mov_b32_e32 v44, 0
	v_mov_b32_e32 v45, 0
	global_load_dword v43, v44, s[14:15]
	s_waitcnt vmcnt(1)
	v_cmp_ne_u16_sdwa s0, v9, v2 src0_sel:BYTE_0 src1_sel:DWORD
	s_and_saveexec_b32 s13, s0
	s_cbranch_execz .LBB265_490
; %bb.483:                              ;   in Loop: Header=BB265_350 Depth=1
	v_cmp_ne_u16_sdwa s0, v9, v23 src0_sel:BYTE_0 src1_sel:DWORD
	v_mov_b32_e32 v45, 0x8000
	s_and_saveexec_b32 s17, s0
	s_cbranch_execz .LBB265_489
; %bb.484:                              ;   in Loop: Header=BB265_350 Depth=1
	v_and_b32_e32 v46, 0x7f, v9
	v_mov_b32_e32 v45, 0x7c01
	s_mov_b32 s18, exec_lo
	v_cmpx_ne_u32_e32 0x7f, v46
	s_cbranch_execz .LBB265_488
; %bb.485:                              ;   in Loop: Header=BB265_350 Depth=1
	v_and_b32_e32 v1, 7, v9
	v_lshrrev_b32_e32 v45, 3, v46
	s_mov_b32 s19, exec_lo
	v_cmpx_gt_u32_e32 8, v46
; %bb.486:                              ;   in Loop: Header=BB265_350 Depth=1
	v_ffbh_u32_e32 v1, v1
	v_min_u32_e32 v1, 32, v1
	v_subrev_nc_u32_e32 v45, 28, v1
	v_lshlrev_b64 v[46:47], v45, v[9:10]
	v_sub_nc_u32_e32 v45, 29, v1
	v_and_b32_e32 v1, 7, v46
; %bb.487:                              ;   in Loop: Header=BB265_350 Depth=1
	s_or_b32 exec_lo, exec_lo, s19
	v_lshlrev_b32_e32 v46, 8, v9
	v_lshl_add_u32 v45, v45, 10, 0x2000
	v_lshlrev_b32_e32 v1, 7, v1
	v_and_b32_e32 v46, 0x8000, v46
	v_and_b32_e32 v45, 0xfc00, v45
	v_or3_b32 v45, v46, v45, v1
.LBB265_488:                            ;   in Loop: Header=BB265_350 Depth=1
	s_or_b32 exec_lo, exec_lo, s18
.LBB265_489:                            ;   in Loop: Header=BB265_350 Depth=1
	s_or_b32 exec_lo, exec_lo, s17
.LBB265_490:                            ;   in Loop: Header=BB265_350 Depth=1
	s_or_b32 exec_lo, exec_lo, s13
	v_lshrrev_b16 v1, 8, v9
	s_mov_b32 s13, exec_lo
	v_cmpx_ne_u16_e32 0, v1
	s_cbranch_execz .LBB265_498
; %bb.491:                              ;   in Loop: Header=BB265_350 Depth=1
	v_bfrev_b32_e32 v44, 1
	s_mov_b32 s17, exec_lo
	v_cmpx_ne_u16_e32 0x80, v1
	s_cbranch_execz .LBB265_497
; %bb.492:                              ;   in Loop: Header=BB265_350 Depth=1
	v_and_b32_sdwa v47, v1, v24 dst_sel:DWORD dst_unused:UNUSED_PAD src0_sel:WORD_0 src1_sel:DWORD
	v_mov_b32_e32 v44, 0x7c010000
	s_mov_b32 s18, exec_lo
	v_cmpx_ne_u32_e32 0x7f, v47
	s_cbranch_execz .LBB265_496
; %bb.493:                              ;   in Loop: Header=BB265_350 Depth=1
	v_and_b32_sdwa v44, v1, v25 dst_sel:DWORD dst_unused:UNUSED_PAD src0_sel:WORD_0 src1_sel:DWORD
	v_lshrrev_b32_e32 v46, 3, v47
	s_mov_b32 s19, exec_lo
	v_cmpx_gt_u32_e32 8, v47
; %bb.494:                              ;   in Loop: Header=BB265_350 Depth=1
	v_ffbh_u32_e32 v44, v44
	v_min_u32_e32 v44, 32, v44
	v_subrev_nc_u32_e32 v46, 28, v44
	v_lshlrev_b64 v[47:48], v46, v[1:2]
	v_sub_nc_u32_e32 v46, 29, v44
	v_and_b32_e32 v44, 7, v47
; %bb.495:                              ;   in Loop: Header=BB265_350 Depth=1
	s_or_b32 exec_lo, exec_lo, s19
	v_lshlrev_b32_sdwa v1, v26, v1 dst_sel:DWORD dst_unused:UNUSED_PAD src0_sel:DWORD src1_sel:WORD_0
	v_lshl_add_u32 v46, v46, 10, 0x2000
	v_lshlrev_b32_e32 v44, 23, v44
	v_and_or_b32 v1, 0x8000, v1, v46
	v_lshl_or_b32 v44, v1, 16, v44
.LBB265_496:                            ;   in Loop: Header=BB265_350 Depth=1
	s_or_b32 exec_lo, exec_lo, s18
.LBB265_497:                            ;   in Loop: Header=BB265_350 Depth=1
	s_or_b32 exec_lo, exec_lo, s17
.LBB265_498:                            ;   in Loop: Header=BB265_350 Depth=1
	s_or_b32 exec_lo, exec_lo, s13
	v_lshrrev_b32_e32 v1, 16, v9
	v_mov_b32_e32 v46, 0
	v_mov_b32_e32 v47, 0
	v_cmp_ne_u16_sdwa s0, v1, v2 src0_sel:BYTE_0 src1_sel:DWORD
	s_and_saveexec_b32 s13, s0
	s_cbranch_execz .LBB265_506
; %bb.499:                              ;   in Loop: Header=BB265_350 Depth=1
	v_cmp_ne_u16_sdwa s0, v1, v23 src0_sel:BYTE_0 src1_sel:DWORD
	v_mov_b32_e32 v47, 0x8000
	s_and_saveexec_b32 s17, s0
	s_cbranch_execz .LBB265_505
; %bb.500:                              ;   in Loop: Header=BB265_350 Depth=1
	v_bfe_u32 v49, v9, 16, 7
	v_mov_b32_e32 v47, 0x7c01
	s_mov_b32 s18, exec_lo
	v_cmpx_ne_u32_e32 0x7f, v49
	s_cbranch_execz .LBB265_504
; %bb.501:                              ;   in Loop: Header=BB265_350 Depth=1
	v_and_b32_e32 v47, 7, v1
	v_lshrrev_b32_e32 v48, 3, v49
	s_mov_b32 s19, exec_lo
	v_cmpx_gt_u32_e32 8, v49
; %bb.502:                              ;   in Loop: Header=BB265_350 Depth=1
	v_ffbh_u32_e32 v47, v47
	v_min_u32_e32 v49, 32, v47
	v_subrev_nc_u32_e32 v47, 28, v49
	v_lshlrev_b64 v[47:48], v47, v[1:2]
	v_sub_nc_u32_e32 v48, 29, v49
	v_and_b32_e32 v47, 7, v47
; %bb.503:                              ;   in Loop: Header=BB265_350 Depth=1
	s_or_b32 exec_lo, exec_lo, s19
	v_lshlrev_b32_e32 v1, 8, v1
	v_lshl_add_u32 v48, v48, 10, 0x2000
	v_lshlrev_b32_e32 v47, 7, v47
	v_and_b32_e32 v1, 0x8000, v1
	v_and_b32_e32 v48, 0xfc00, v48
	v_or3_b32 v47, v1, v48, v47
.LBB265_504:                            ;   in Loop: Header=BB265_350 Depth=1
	s_or_b32 exec_lo, exec_lo, s18
.LBB265_505:                            ;   in Loop: Header=BB265_350 Depth=1
	s_or_b32 exec_lo, exec_lo, s17
.LBB265_506:                            ;   in Loop: Header=BB265_350 Depth=1
	s_or_b32 exec_lo, exec_lo, s13
	s_mov_b32 s13, exec_lo
	v_cmpx_lt_u32_e32 0xffffff, v9
	s_cbranch_execz .LBB265_514
; %bb.507:                              ;   in Loop: Header=BB265_350 Depth=1
	v_lshrrev_b32_e32 v1, 24, v9
	v_bfrev_b32_e32 v46, 1
	s_mov_b32 s17, exec_lo
	v_cmpx_ne_u32_e32 0x80, v1
	s_cbranch_execz .LBB265_513
; %bb.508:                              ;   in Loop: Header=BB265_350 Depth=1
	v_and_b32_e32 v49, 0x7f, v1
	v_mov_b32_e32 v46, 0x7c010000
	s_mov_b32 s18, exec_lo
	v_cmpx_ne_u32_e32 0x7f, v49
	s_cbranch_execz .LBB265_512
; %bb.509:                              ;   in Loop: Header=BB265_350 Depth=1
	v_and_b32_e32 v46, 7, v1
	v_lshrrev_b32_e32 v48, 3, v49
	s_mov_b32 s19, exec_lo
	v_cmpx_gt_u32_e32 8, v49
; %bb.510:                              ;   in Loop: Header=BB265_350 Depth=1
	v_ffbh_u32_e32 v46, v46
	v_min_u32_e32 v46, 32, v46
	v_subrev_nc_u32_e32 v48, 28, v46
	v_lshlrev_b64 v[49:50], v48, v[1:2]
	v_sub_nc_u32_e32 v48, 29, v46
	v_and_b32_e32 v46, 7, v49
; %bb.511:                              ;   in Loop: Header=BB265_350 Depth=1
	s_or_b32 exec_lo, exec_lo, s19
	v_lshlrev_b32_e32 v1, 8, v1
	v_lshl_add_u32 v48, v48, 10, 0x2000
	v_lshlrev_b32_e32 v46, 23, v46
	v_and_or_b32 v1, 0x8000, v1, v48
	v_lshl_or_b32 v46, v1, 16, v46
.LBB265_512:                            ;   in Loop: Header=BB265_350 Depth=1
	s_or_b32 exec_lo, exec_lo, s18
.LBB265_513:                            ;   in Loop: Header=BB265_350 Depth=1
	s_or_b32 exec_lo, exec_lo, s17
.LBB265_514:                            ;   in Loop: Header=BB265_350 Depth=1
	s_or_b32 exec_lo, exec_lo, s13
	v_mov_b32_e32 v1, v10
	v_cmp_ne_u16_sdwa s0, v10, v2 src0_sel:BYTE_0 src1_sel:DWORD
	v_mov_b32_e32 v48, 0
	v_mov_b32_e32 v49, 0
	s_and_saveexec_b32 s13, s0
	s_cbranch_execz .LBB265_522
; %bb.515:                              ;   in Loop: Header=BB265_350 Depth=1
	v_cmp_ne_u16_sdwa s0, v10, v23 src0_sel:BYTE_0 src1_sel:DWORD
	v_mov_b32_e32 v49, 0x8000
	s_and_saveexec_b32 s17, s0
	s_cbranch_execz .LBB265_521
; %bb.516:                              ;   in Loop: Header=BB265_350 Depth=1
	v_and_b32_e32 v51, 0x7f, v10
	v_mov_b32_e32 v49, 0x7c01
	s_mov_b32 s18, exec_lo
	v_cmpx_ne_u32_e32 0x7f, v51
	s_cbranch_execz .LBB265_520
; %bb.517:                              ;   in Loop: Header=BB265_350 Depth=1
	v_and_b32_e32 v49, 7, v10
	v_lshrrev_b32_e32 v50, 3, v51
	s_mov_b32 s19, exec_lo
	v_cmpx_gt_u32_e32 8, v51
; %bb.518:                              ;   in Loop: Header=BB265_350 Depth=1
	v_ffbh_u32_e32 v49, v49
	v_min_u32_e32 v51, 32, v49
	v_subrev_nc_u32_e32 v49, 28, v51
	v_lshlrev_b64 v[49:50], v49, v[1:2]
	v_sub_nc_u32_e32 v50, 29, v51
	v_and_b32_e32 v49, 7, v49
; %bb.519:                              ;   in Loop: Header=BB265_350 Depth=1
	s_or_b32 exec_lo, exec_lo, s19
	v_lshlrev_b32_e32 v51, 8, v10
	v_lshl_add_u32 v50, v50, 10, 0x2000
	v_lshlrev_b32_e32 v49, 7, v49
	v_and_b32_e32 v51, 0x8000, v51
	v_and_b32_e32 v50, 0xfc00, v50
	v_or3_b32 v49, v51, v50, v49
.LBB265_520:                            ;   in Loop: Header=BB265_350 Depth=1
	s_or_b32 exec_lo, exec_lo, s18
.LBB265_521:                            ;   in Loop: Header=BB265_350 Depth=1
	s_or_b32 exec_lo, exec_lo, s17
.LBB265_522:                            ;   in Loop: Header=BB265_350 Depth=1
	s_or_b32 exec_lo, exec_lo, s13
	v_lshrrev_b16 v1, 8, v1
	v_mov_b32_e32 v50, 0
	s_mov_b32 s13, exec_lo
	v_cmpx_ne_u16_e32 0, v1
	s_cbranch_execz .LBB265_530
; %bb.523:                              ;   in Loop: Header=BB265_350 Depth=1
	v_bfrev_b32_e32 v50, 1
	s_mov_b32 s17, exec_lo
	v_cmpx_ne_u16_e32 0x80, v1
	s_cbranch_execz .LBB265_529
; %bb.524:                              ;   in Loop: Header=BB265_350 Depth=1
	v_and_b32_sdwa v52, v1, v24 dst_sel:DWORD dst_unused:UNUSED_PAD src0_sel:WORD_0 src1_sel:DWORD
	v_mov_b32_e32 v50, 0x7c010000
	s_mov_b32 s18, exec_lo
	v_cmpx_ne_u32_e32 0x7f, v52
	s_cbranch_execz .LBB265_528
; %bb.525:                              ;   in Loop: Header=BB265_350 Depth=1
	v_and_b32_sdwa v50, v1, v25 dst_sel:DWORD dst_unused:UNUSED_PAD src0_sel:WORD_0 src1_sel:DWORD
	v_lshrrev_b32_e32 v51, 3, v52
	s_mov_b32 s19, exec_lo
	v_cmpx_gt_u32_e32 8, v52
; %bb.526:                              ;   in Loop: Header=BB265_350 Depth=1
	v_ffbh_u32_e32 v50, v50
	v_min_u32_e32 v52, 32, v50
	v_subrev_nc_u32_e32 v50, 28, v52
	v_lshlrev_b64 v[50:51], v50, v[1:2]
	v_sub_nc_u32_e32 v51, 29, v52
	v_and_b32_e32 v50, 7, v50
; %bb.527:                              ;   in Loop: Header=BB265_350 Depth=1
	s_or_b32 exec_lo, exec_lo, s19
	v_lshlrev_b32_sdwa v1, v26, v1 dst_sel:DWORD dst_unused:UNUSED_PAD src0_sel:DWORD src1_sel:WORD_0
	v_lshl_add_u32 v51, v51, 10, 0x2000
	v_lshlrev_b32_e32 v50, 23, v50
	v_and_or_b32 v1, 0x8000, v1, v51
	v_lshl_or_b32 v50, v1, 16, v50
.LBB265_528:                            ;   in Loop: Header=BB265_350 Depth=1
	s_or_b32 exec_lo, exec_lo, s18
.LBB265_529:                            ;   in Loop: Header=BB265_350 Depth=1
	s_or_b32 exec_lo, exec_lo, s17
.LBB265_530:                            ;   in Loop: Header=BB265_350 Depth=1
	s_or_b32 exec_lo, exec_lo, s13
	v_lshrrev_b32_e32 v1, 16, v10
	v_cmp_ne_u16_sdwa s0, v1, v2 src0_sel:BYTE_0 src1_sel:DWORD
	s_and_saveexec_b32 s13, s0
	s_cbranch_execz .LBB265_538
; %bb.531:                              ;   in Loop: Header=BB265_350 Depth=1
	v_cmp_ne_u16_sdwa s0, v1, v23 src0_sel:BYTE_0 src1_sel:DWORD
	v_mov_b32_e32 v48, 0x8000
	s_and_saveexec_b32 s17, s0
	s_cbranch_execz .LBB265_537
; %bb.532:                              ;   in Loop: Header=BB265_350 Depth=1
	v_bfe_u32 v52, v10, 16, 7
	v_mov_b32_e32 v48, 0x7c01
	s_mov_b32 s18, exec_lo
	v_cmpx_ne_u32_e32 0x7f, v52
	s_cbranch_execz .LBB265_536
; %bb.533:                              ;   in Loop: Header=BB265_350 Depth=1
	v_and_b32_e32 v48, 7, v1
	v_lshrrev_b32_e32 v51, 3, v52
	s_mov_b32 s19, exec_lo
	v_cmpx_gt_u32_e32 8, v52
; %bb.534:                              ;   in Loop: Header=BB265_350 Depth=1
	v_ffbh_u32_e32 v48, v48
	v_min_u32_e32 v48, 32, v48
	v_subrev_nc_u32_e32 v51, 28, v48
	v_lshlrev_b64 v[52:53], v51, v[1:2]
	v_sub_nc_u32_e32 v51, 29, v48
	v_and_b32_e32 v48, 7, v52
; %bb.535:                              ;   in Loop: Header=BB265_350 Depth=1
	s_or_b32 exec_lo, exec_lo, s19
	v_lshlrev_b32_e32 v1, 8, v1
	v_lshl_add_u32 v51, v51, 10, 0x2000
	v_lshlrev_b32_e32 v48, 7, v48
	v_and_b32_e32 v1, 0x8000, v1
	v_and_b32_e32 v51, 0xfc00, v51
	v_or3_b32 v48, v1, v51, v48
.LBB265_536:                            ;   in Loop: Header=BB265_350 Depth=1
	s_or_b32 exec_lo, exec_lo, s18
.LBB265_537:                            ;   in Loop: Header=BB265_350 Depth=1
	s_or_b32 exec_lo, exec_lo, s17
.LBB265_538:                            ;   in Loop: Header=BB265_350 Depth=1
	s_or_b32 exec_lo, exec_lo, s13
	v_cmp_lt_u64_e64 s0, s[2:3], v[9:10]
	v_mov_b32_e32 v9, 0
	s_and_saveexec_b32 s13, s0
	s_cbranch_execz .LBB265_546
; %bb.539:                              ;   in Loop: Header=BB265_350 Depth=1
	v_lshrrev_b32_e32 v1, 24, v10
	v_bfrev_b32_e32 v9, 1
	s_mov_b32 s17, exec_lo
	v_cmpx_ne_u32_e32 0x80, v1
	s_cbranch_execz .LBB265_545
; %bb.540:                              ;   in Loop: Header=BB265_350 Depth=1
	v_and_b32_e32 v51, 0x7f, v1
	v_mov_b32_e32 v9, 0x7c010000
	s_mov_b32 s18, exec_lo
	v_cmpx_ne_u32_e32 0x7f, v51
	s_cbranch_execz .LBB265_544
; %bb.541:                              ;   in Loop: Header=BB265_350 Depth=1
	v_and_b32_e32 v9, 7, v1
	v_lshrrev_b32_e32 v10, 3, v51
	s_mov_b32 s19, exec_lo
	v_cmpx_gt_u32_e32 8, v51
; %bb.542:                              ;   in Loop: Header=BB265_350 Depth=1
	v_ffbh_u32_e32 v9, v9
	v_min_u32_e32 v51, 32, v9
	v_subrev_nc_u32_e32 v9, 28, v51
	v_lshlrev_b64 v[9:10], v9, v[1:2]
	v_sub_nc_u32_e32 v10, 29, v51
	v_and_b32_e32 v9, 7, v9
; %bb.543:                              ;   in Loop: Header=BB265_350 Depth=1
	s_or_b32 exec_lo, exec_lo, s19
	v_lshlrev_b32_e32 v1, 8, v1
	v_lshl_add_u32 v10, v10, 10, 0x2000
	v_lshlrev_b32_e32 v9, 23, v9
	v_and_or_b32 v1, 0x8000, v1, v10
	v_lshl_or_b32 v9, v1, 16, v9
.LBB265_544:                            ;   in Loop: Header=BB265_350 Depth=1
	s_or_b32 exec_lo, exec_lo, s18
.LBB265_545:                            ;   in Loop: Header=BB265_350 Depth=1
	s_or_b32 exec_lo, exec_lo, s17
.LBB265_546:                            ;   in Loop: Header=BB265_350 Depth=1
	s_or_b32 exec_lo, exec_lo, s13
	v_or_b32_e32 v1, v46, v47
	s_waitcnt vmcnt(0)
	v_fma_mixlo_f16 v10, v43, v46, 0 op_sel:[0,1,0] op_sel_hi:[0,1,0]
	v_or_b32_e32 v46, v44, v45
	v_fma_mixlo_f16 v44, v43, v44, 0 op_sel:[0,1,0] op_sel_hi:[0,1,0]
	v_or_b32_e32 v47, v50, v49
	v_or_b32_e32 v48, v9, v48
	v_fma_mixlo_f16 v49, v43, v1, 0 op_sel_hi:[0,1,0]
	v_fma_mixlo_f16 v9, v43, v9, 0 op_sel:[0,1,0] op_sel_hi:[0,1,0]
	v_lshlrev_b32_e32 v45, 16, v44
	v_fma_mixlo_f16 v44, v43, v46, 0 op_sel_hi:[0,1,0]
	v_fma_mixlo_f16 v46, v43, v50, 0 op_sel:[0,1,0] op_sel_hi:[0,1,0]
	v_fma_mixlo_f16 v47, v43, v47, 0 op_sel_hi:[0,1,0]
	v_fma_mixlo_f16 v48, v43, v48, 0 op_sel_hi:[0,1,0]
	v_lshlrev_b32_e32 v1, 16, v10
	v_and_b32_e32 v10, 0xffff, v49
	v_and_b32_e32 v51, 0xffff, v44
	v_lshlrev_b32_e32 v43, 16, v46
	v_and_b32_e32 v47, 0xffff, v47
	v_lshlrev_b32_e32 v9, 16, v9
	v_and_b32_e32 v44, 0xffff, v48
	v_or_b32_e32 v46, v1, v10
	v_or_b32_e32 v50, v45, v51
	;; [unrolled: 1-line block ×4, first 2 shown]
	s_and_saveexec_b32 s13, vcc_lo
	s_cbranch_execz .LBB265_548
; %bb.547:                              ;   in Loop: Header=BB265_350 Depth=1
	v_cmp_gt_i32_e64 s0, s11, v28
	v_cndmask_b32_e64 v46, 0, v51, s0
	v_cmp_gt_i32_e64 s0, s11, v34
	v_cndmask_b32_e64 v45, 0, v45, s0
	v_cmp_gt_i32_e64 s0, s11, v33
	v_or_b32_e32 v50, v45, v46
	v_cndmask_b32_e64 v10, 0, v10, s0
	v_cmp_gt_i32_e64 s0, s11, v32
	v_cndmask_b32_e64 v1, 0, v1, s0
	v_cmp_gt_i32_e64 s0, s11, v31
	v_or_b32_e32 v46, v1, v10
	;; [unrolled: 5-line block ×3, first 2 shown]
	v_cndmask_b32_e64 v44, 0, v44, s0
	v_cmp_gt_i32_e64 s0, s11, v22
	v_cndmask_b32_e64 v9, 0, v9, s0
	v_or_b32_e32 v48, v9, v44
.LBB265_548:                            ;   in Loop: Header=BB265_350 Depth=1
	s_or_b32 exec_lo, exec_lo, s13
	;;#ASMSTART
	v_pk_mul_f16 v1, v39, v50;

	;;#ASMEND
	;;#ASMSTART
	v_pk_mul_f16 v9, v38, v46;

	;;#ASMEND
	;; [unrolled: 4-line block ×4, first 2 shown]
	;;#ASMSTART
	v_pk_add_f16 v1, v1, v9;

	;;#ASMEND
	;;#ASMSTART
	v_pk_add_f16 v1, v1, v10;

	;;#ASMEND
	;; [unrolled: 4-line block ×3, first 2 shown]
	v_and_b32_e32 v9, 0xffff, v1
	v_lshrrev_b32_e32 v1, 16, v1
	;;#ASMSTART
	v_cvt_f32_f16 v43, v9;
	;;#ASMEND
	;;#ASMSTART
	v_cvt_f32_f16 v44, v1;
	;;#ASMEND
	global_load_dwordx2 v[9:10], v[7:8], off offset:768
	v_mov_b32_e32 v46, 0
	v_mov_b32_e32 v47, 0
	global_load_dword v45, v46, s[14:15]
	s_waitcnt vmcnt(1)
	v_cmp_ne_u16_sdwa s0, v9, v2 src0_sel:BYTE_0 src1_sel:DWORD
	s_and_saveexec_b32 s13, s0
	s_cbranch_execz .LBB265_556
; %bb.549:                              ;   in Loop: Header=BB265_350 Depth=1
	v_cmp_ne_u16_sdwa s0, v9, v23 src0_sel:BYTE_0 src1_sel:DWORD
	v_mov_b32_e32 v47, 0x8000
	s_and_saveexec_b32 s17, s0
	s_cbranch_execz .LBB265_555
; %bb.550:                              ;   in Loop: Header=BB265_350 Depth=1
	v_and_b32_e32 v48, 0x7f, v9
	v_mov_b32_e32 v47, 0x7c01
	s_mov_b32 s18, exec_lo
	v_cmpx_ne_u32_e32 0x7f, v48
	s_cbranch_execz .LBB265_554
; %bb.551:                              ;   in Loop: Header=BB265_350 Depth=1
	v_and_b32_e32 v1, 7, v9
	v_lshrrev_b32_e32 v47, 3, v48
	s_mov_b32 s19, exec_lo
	v_cmpx_gt_u32_e32 8, v48
; %bb.552:                              ;   in Loop: Header=BB265_350 Depth=1
	v_ffbh_u32_e32 v1, v1
	v_min_u32_e32 v1, 32, v1
	v_subrev_nc_u32_e32 v47, 28, v1
	v_lshlrev_b64 v[48:49], v47, v[9:10]
	v_sub_nc_u32_e32 v47, 29, v1
	v_and_b32_e32 v1, 7, v48
; %bb.553:                              ;   in Loop: Header=BB265_350 Depth=1
	s_or_b32 exec_lo, exec_lo, s19
	v_lshlrev_b32_e32 v48, 8, v9
	v_lshl_add_u32 v47, v47, 10, 0x2000
	v_lshlrev_b32_e32 v1, 7, v1
	v_and_b32_e32 v48, 0x8000, v48
	v_and_b32_e32 v47, 0xfc00, v47
	v_or3_b32 v47, v48, v47, v1
.LBB265_554:                            ;   in Loop: Header=BB265_350 Depth=1
	s_or_b32 exec_lo, exec_lo, s18
.LBB265_555:                            ;   in Loop: Header=BB265_350 Depth=1
	s_or_b32 exec_lo, exec_lo, s17
.LBB265_556:                            ;   in Loop: Header=BB265_350 Depth=1
	s_or_b32 exec_lo, exec_lo, s13
	v_lshrrev_b16 v1, 8, v9
	s_mov_b32 s13, exec_lo
	v_cmpx_ne_u16_e32 0, v1
	s_cbranch_execz .LBB265_564
; %bb.557:                              ;   in Loop: Header=BB265_350 Depth=1
	v_bfrev_b32_e32 v46, 1
	s_mov_b32 s17, exec_lo
	v_cmpx_ne_u16_e32 0x80, v1
	s_cbranch_execz .LBB265_563
; %bb.558:                              ;   in Loop: Header=BB265_350 Depth=1
	v_and_b32_sdwa v49, v1, v24 dst_sel:DWORD dst_unused:UNUSED_PAD src0_sel:WORD_0 src1_sel:DWORD
	v_mov_b32_e32 v46, 0x7c010000
	s_mov_b32 s18, exec_lo
	v_cmpx_ne_u32_e32 0x7f, v49
	s_cbranch_execz .LBB265_562
; %bb.559:                              ;   in Loop: Header=BB265_350 Depth=1
	v_and_b32_sdwa v46, v1, v25 dst_sel:DWORD dst_unused:UNUSED_PAD src0_sel:WORD_0 src1_sel:DWORD
	v_lshrrev_b32_e32 v48, 3, v49
	s_mov_b32 s19, exec_lo
	v_cmpx_gt_u32_e32 8, v49
; %bb.560:                              ;   in Loop: Header=BB265_350 Depth=1
	v_ffbh_u32_e32 v46, v46
	v_min_u32_e32 v46, 32, v46
	v_subrev_nc_u32_e32 v48, 28, v46
	v_lshlrev_b64 v[49:50], v48, v[1:2]
	v_sub_nc_u32_e32 v48, 29, v46
	v_and_b32_e32 v46, 7, v49
; %bb.561:                              ;   in Loop: Header=BB265_350 Depth=1
	s_or_b32 exec_lo, exec_lo, s19
	v_lshlrev_b32_sdwa v1, v26, v1 dst_sel:DWORD dst_unused:UNUSED_PAD src0_sel:DWORD src1_sel:WORD_0
	v_lshl_add_u32 v48, v48, 10, 0x2000
	v_lshlrev_b32_e32 v46, 23, v46
	v_and_or_b32 v1, 0x8000, v1, v48
	v_lshl_or_b32 v46, v1, 16, v46
.LBB265_562:                            ;   in Loop: Header=BB265_350 Depth=1
	s_or_b32 exec_lo, exec_lo, s18
.LBB265_563:                            ;   in Loop: Header=BB265_350 Depth=1
	s_or_b32 exec_lo, exec_lo, s17
.LBB265_564:                            ;   in Loop: Header=BB265_350 Depth=1
	s_or_b32 exec_lo, exec_lo, s13
	v_lshrrev_b32_e32 v1, 16, v9
	v_mov_b32_e32 v48, 0
	v_mov_b32_e32 v49, 0
	v_cmp_ne_u16_sdwa s0, v1, v2 src0_sel:BYTE_0 src1_sel:DWORD
	s_and_saveexec_b32 s13, s0
	s_cbranch_execz .LBB265_572
; %bb.565:                              ;   in Loop: Header=BB265_350 Depth=1
	v_cmp_ne_u16_sdwa s0, v1, v23 src0_sel:BYTE_0 src1_sel:DWORD
	v_mov_b32_e32 v49, 0x8000
	s_and_saveexec_b32 s17, s0
	s_cbranch_execz .LBB265_571
; %bb.566:                              ;   in Loop: Header=BB265_350 Depth=1
	v_bfe_u32 v51, v9, 16, 7
	v_mov_b32_e32 v49, 0x7c01
	s_mov_b32 s18, exec_lo
	v_cmpx_ne_u32_e32 0x7f, v51
	s_cbranch_execz .LBB265_570
; %bb.567:                              ;   in Loop: Header=BB265_350 Depth=1
	v_and_b32_e32 v49, 7, v1
	v_lshrrev_b32_e32 v50, 3, v51
	s_mov_b32 s19, exec_lo
	v_cmpx_gt_u32_e32 8, v51
; %bb.568:                              ;   in Loop: Header=BB265_350 Depth=1
	v_ffbh_u32_e32 v49, v49
	v_min_u32_e32 v51, 32, v49
	v_subrev_nc_u32_e32 v49, 28, v51
	v_lshlrev_b64 v[49:50], v49, v[1:2]
	v_sub_nc_u32_e32 v50, 29, v51
	v_and_b32_e32 v49, 7, v49
; %bb.569:                              ;   in Loop: Header=BB265_350 Depth=1
	s_or_b32 exec_lo, exec_lo, s19
	v_lshlrev_b32_e32 v1, 8, v1
	v_lshl_add_u32 v50, v50, 10, 0x2000
	v_lshlrev_b32_e32 v49, 7, v49
	v_and_b32_e32 v1, 0x8000, v1
	v_and_b32_e32 v50, 0xfc00, v50
	v_or3_b32 v49, v1, v50, v49
.LBB265_570:                            ;   in Loop: Header=BB265_350 Depth=1
	s_or_b32 exec_lo, exec_lo, s18
.LBB265_571:                            ;   in Loop: Header=BB265_350 Depth=1
	s_or_b32 exec_lo, exec_lo, s17
.LBB265_572:                            ;   in Loop: Header=BB265_350 Depth=1
	s_or_b32 exec_lo, exec_lo, s13
	s_mov_b32 s13, exec_lo
	v_cmpx_lt_u32_e32 0xffffff, v9
	s_cbranch_execz .LBB265_580
; %bb.573:                              ;   in Loop: Header=BB265_350 Depth=1
	v_lshrrev_b32_e32 v1, 24, v9
	v_bfrev_b32_e32 v48, 1
	s_mov_b32 s17, exec_lo
	v_cmpx_ne_u32_e32 0x80, v1
	s_cbranch_execz .LBB265_579
; %bb.574:                              ;   in Loop: Header=BB265_350 Depth=1
	v_and_b32_e32 v51, 0x7f, v1
	v_mov_b32_e32 v48, 0x7c010000
	s_mov_b32 s18, exec_lo
	v_cmpx_ne_u32_e32 0x7f, v51
	s_cbranch_execz .LBB265_578
; %bb.575:                              ;   in Loop: Header=BB265_350 Depth=1
	v_and_b32_e32 v48, 7, v1
	v_lshrrev_b32_e32 v50, 3, v51
	s_mov_b32 s19, exec_lo
	v_cmpx_gt_u32_e32 8, v51
; %bb.576:                              ;   in Loop: Header=BB265_350 Depth=1
	v_ffbh_u32_e32 v48, v48
	v_min_u32_e32 v48, 32, v48
	v_subrev_nc_u32_e32 v50, 28, v48
	v_lshlrev_b64 v[51:52], v50, v[1:2]
	v_sub_nc_u32_e32 v50, 29, v48
	v_and_b32_e32 v48, 7, v51
; %bb.577:                              ;   in Loop: Header=BB265_350 Depth=1
	s_or_b32 exec_lo, exec_lo, s19
	v_lshlrev_b32_e32 v1, 8, v1
	v_lshl_add_u32 v50, v50, 10, 0x2000
	v_lshlrev_b32_e32 v48, 23, v48
	v_and_or_b32 v1, 0x8000, v1, v50
	v_lshl_or_b32 v48, v1, 16, v48
.LBB265_578:                            ;   in Loop: Header=BB265_350 Depth=1
	s_or_b32 exec_lo, exec_lo, s18
.LBB265_579:                            ;   in Loop: Header=BB265_350 Depth=1
	s_or_b32 exec_lo, exec_lo, s17
.LBB265_580:                            ;   in Loop: Header=BB265_350 Depth=1
	s_or_b32 exec_lo, exec_lo, s13
	v_mov_b32_e32 v1, v10
	v_cmp_ne_u16_sdwa s0, v10, v2 src0_sel:BYTE_0 src1_sel:DWORD
	v_mov_b32_e32 v50, 0
	v_mov_b32_e32 v51, 0
	s_and_saveexec_b32 s13, s0
	s_cbranch_execz .LBB265_588
; %bb.581:                              ;   in Loop: Header=BB265_350 Depth=1
	v_cmp_ne_u16_sdwa s0, v10, v23 src0_sel:BYTE_0 src1_sel:DWORD
	v_mov_b32_e32 v51, 0x8000
	s_and_saveexec_b32 s17, s0
	s_cbranch_execz .LBB265_587
; %bb.582:                              ;   in Loop: Header=BB265_350 Depth=1
	v_and_b32_e32 v53, 0x7f, v10
	v_mov_b32_e32 v51, 0x7c01
	s_mov_b32 s18, exec_lo
	v_cmpx_ne_u32_e32 0x7f, v53
	s_cbranch_execz .LBB265_586
; %bb.583:                              ;   in Loop: Header=BB265_350 Depth=1
	v_and_b32_e32 v51, 7, v10
	v_lshrrev_b32_e32 v52, 3, v53
	s_mov_b32 s19, exec_lo
	v_cmpx_gt_u32_e32 8, v53
; %bb.584:                              ;   in Loop: Header=BB265_350 Depth=1
	v_ffbh_u32_e32 v51, v51
	v_min_u32_e32 v53, 32, v51
	v_subrev_nc_u32_e32 v51, 28, v53
	v_lshlrev_b64 v[51:52], v51, v[1:2]
	v_sub_nc_u32_e32 v52, 29, v53
	v_and_b32_e32 v51, 7, v51
; %bb.585:                              ;   in Loop: Header=BB265_350 Depth=1
	s_or_b32 exec_lo, exec_lo, s19
	v_lshlrev_b32_e32 v53, 8, v10
	v_lshl_add_u32 v52, v52, 10, 0x2000
	v_lshlrev_b32_e32 v51, 7, v51
	v_and_b32_e32 v53, 0x8000, v53
	v_and_b32_e32 v52, 0xfc00, v52
	v_or3_b32 v51, v53, v52, v51
.LBB265_586:                            ;   in Loop: Header=BB265_350 Depth=1
	s_or_b32 exec_lo, exec_lo, s18
.LBB265_587:                            ;   in Loop: Header=BB265_350 Depth=1
	s_or_b32 exec_lo, exec_lo, s17
.LBB265_588:                            ;   in Loop: Header=BB265_350 Depth=1
	s_or_b32 exec_lo, exec_lo, s13
	v_lshrrev_b16 v1, 8, v1
	v_mov_b32_e32 v52, 0
	s_mov_b32 s13, exec_lo
	v_cmpx_ne_u16_e32 0, v1
	s_cbranch_execz .LBB265_596
; %bb.589:                              ;   in Loop: Header=BB265_350 Depth=1
	v_bfrev_b32_e32 v52, 1
	s_mov_b32 s17, exec_lo
	v_cmpx_ne_u16_e32 0x80, v1
	s_cbranch_execz .LBB265_595
; %bb.590:                              ;   in Loop: Header=BB265_350 Depth=1
	v_and_b32_sdwa v54, v1, v24 dst_sel:DWORD dst_unused:UNUSED_PAD src0_sel:WORD_0 src1_sel:DWORD
	v_mov_b32_e32 v52, 0x7c010000
	s_mov_b32 s18, exec_lo
	v_cmpx_ne_u32_e32 0x7f, v54
	s_cbranch_execz .LBB265_594
; %bb.591:                              ;   in Loop: Header=BB265_350 Depth=1
	v_and_b32_sdwa v52, v1, v25 dst_sel:DWORD dst_unused:UNUSED_PAD src0_sel:WORD_0 src1_sel:DWORD
	v_lshrrev_b32_e32 v53, 3, v54
	s_mov_b32 s19, exec_lo
	v_cmpx_gt_u32_e32 8, v54
; %bb.592:                              ;   in Loop: Header=BB265_350 Depth=1
	v_ffbh_u32_e32 v52, v52
	v_min_u32_e32 v54, 32, v52
	v_subrev_nc_u32_e32 v52, 28, v54
	v_lshlrev_b64 v[52:53], v52, v[1:2]
	v_sub_nc_u32_e32 v53, 29, v54
	v_and_b32_e32 v52, 7, v52
; %bb.593:                              ;   in Loop: Header=BB265_350 Depth=1
	s_or_b32 exec_lo, exec_lo, s19
	v_lshlrev_b32_sdwa v1, v26, v1 dst_sel:DWORD dst_unused:UNUSED_PAD src0_sel:DWORD src1_sel:WORD_0
	v_lshl_add_u32 v53, v53, 10, 0x2000
	v_lshlrev_b32_e32 v52, 23, v52
	v_and_or_b32 v1, 0x8000, v1, v53
	v_lshl_or_b32 v52, v1, 16, v52
.LBB265_594:                            ;   in Loop: Header=BB265_350 Depth=1
	s_or_b32 exec_lo, exec_lo, s18
.LBB265_595:                            ;   in Loop: Header=BB265_350 Depth=1
	s_or_b32 exec_lo, exec_lo, s17
.LBB265_596:                            ;   in Loop: Header=BB265_350 Depth=1
	s_or_b32 exec_lo, exec_lo, s13
	v_lshrrev_b32_e32 v1, 16, v10
	v_cmp_ne_u16_sdwa s0, v1, v2 src0_sel:BYTE_0 src1_sel:DWORD
	s_and_saveexec_b32 s13, s0
	s_cbranch_execz .LBB265_604
; %bb.597:                              ;   in Loop: Header=BB265_350 Depth=1
	v_cmp_ne_u16_sdwa s0, v1, v23 src0_sel:BYTE_0 src1_sel:DWORD
	v_mov_b32_e32 v50, 0x8000
	s_and_saveexec_b32 s17, s0
	s_cbranch_execz .LBB265_603
; %bb.598:                              ;   in Loop: Header=BB265_350 Depth=1
	v_bfe_u32 v54, v10, 16, 7
	v_mov_b32_e32 v50, 0x7c01
	s_mov_b32 s18, exec_lo
	v_cmpx_ne_u32_e32 0x7f, v54
	s_cbranch_execz .LBB265_602
; %bb.599:                              ;   in Loop: Header=BB265_350 Depth=1
	v_and_b32_e32 v50, 7, v1
	v_lshrrev_b32_e32 v53, 3, v54
	s_mov_b32 s19, exec_lo
	v_cmpx_gt_u32_e32 8, v54
; %bb.600:                              ;   in Loop: Header=BB265_350 Depth=1
	v_ffbh_u32_e32 v50, v50
	v_min_u32_e32 v50, 32, v50
	v_subrev_nc_u32_e32 v53, 28, v50
	v_lshlrev_b64 v[54:55], v53, v[1:2]
	v_sub_nc_u32_e32 v53, 29, v50
	v_and_b32_e32 v50, 7, v54
; %bb.601:                              ;   in Loop: Header=BB265_350 Depth=1
	s_or_b32 exec_lo, exec_lo, s19
	v_lshlrev_b32_e32 v1, 8, v1
	v_lshl_add_u32 v53, v53, 10, 0x2000
	v_lshlrev_b32_e32 v50, 7, v50
	v_and_b32_e32 v1, 0x8000, v1
	v_and_b32_e32 v53, 0xfc00, v53
	v_or3_b32 v50, v1, v53, v50
.LBB265_602:                            ;   in Loop: Header=BB265_350 Depth=1
	s_or_b32 exec_lo, exec_lo, s18
.LBB265_603:                            ;   in Loop: Header=BB265_350 Depth=1
	s_or_b32 exec_lo, exec_lo, s17
.LBB265_604:                            ;   in Loop: Header=BB265_350 Depth=1
	s_or_b32 exec_lo, exec_lo, s13
	v_cmp_lt_u64_e64 s0, s[2:3], v[9:10]
	v_mov_b32_e32 v9, 0
	s_and_saveexec_b32 s13, s0
	s_cbranch_execz .LBB265_612
; %bb.605:                              ;   in Loop: Header=BB265_350 Depth=1
	v_lshrrev_b32_e32 v1, 24, v10
	v_bfrev_b32_e32 v9, 1
	s_mov_b32 s17, exec_lo
	v_cmpx_ne_u32_e32 0x80, v1
	s_cbranch_execz .LBB265_611
; %bb.606:                              ;   in Loop: Header=BB265_350 Depth=1
	v_and_b32_e32 v53, 0x7f, v1
	v_mov_b32_e32 v9, 0x7c010000
	s_mov_b32 s18, exec_lo
	v_cmpx_ne_u32_e32 0x7f, v53
	s_cbranch_execz .LBB265_610
; %bb.607:                              ;   in Loop: Header=BB265_350 Depth=1
	v_and_b32_e32 v9, 7, v1
	v_lshrrev_b32_e32 v10, 3, v53
	s_mov_b32 s19, exec_lo
	v_cmpx_gt_u32_e32 8, v53
; %bb.608:                              ;   in Loop: Header=BB265_350 Depth=1
	v_ffbh_u32_e32 v9, v9
	v_min_u32_e32 v53, 32, v9
	v_subrev_nc_u32_e32 v9, 28, v53
	v_lshlrev_b64 v[9:10], v9, v[1:2]
	v_sub_nc_u32_e32 v10, 29, v53
	v_and_b32_e32 v9, 7, v9
; %bb.609:                              ;   in Loop: Header=BB265_350 Depth=1
	s_or_b32 exec_lo, exec_lo, s19
	v_lshlrev_b32_e32 v1, 8, v1
	v_lshl_add_u32 v10, v10, 10, 0x2000
	v_lshlrev_b32_e32 v9, 23, v9
	v_and_or_b32 v1, 0x8000, v1, v10
	v_lshl_or_b32 v9, v1, 16, v9
.LBB265_610:                            ;   in Loop: Header=BB265_350 Depth=1
	s_or_b32 exec_lo, exec_lo, s18
.LBB265_611:                            ;   in Loop: Header=BB265_350 Depth=1
	s_or_b32 exec_lo, exec_lo, s17
.LBB265_612:                            ;   in Loop: Header=BB265_350 Depth=1
	s_or_b32 exec_lo, exec_lo, s13
	v_or_b32_e32 v1, v48, v49
	s_waitcnt vmcnt(0)
	v_fma_mixlo_f16 v10, v45, v48, 0 op_sel:[0,1,0] op_sel_hi:[0,1,0]
	v_or_b32_e32 v48, v46, v47
	v_fma_mixlo_f16 v46, v45, v46, 0 op_sel:[0,1,0] op_sel_hi:[0,1,0]
	v_or_b32_e32 v49, v52, v51
	v_or_b32_e32 v50, v9, v50
	v_fma_mixlo_f16 v51, v45, v1, 0 op_sel_hi:[0,1,0]
	v_fma_mixlo_f16 v9, v45, v9, 0 op_sel:[0,1,0] op_sel_hi:[0,1,0]
	v_lshlrev_b32_e32 v47, 16, v46
	v_fma_mixlo_f16 v46, v45, v48, 0 op_sel_hi:[0,1,0]
	v_fma_mixlo_f16 v48, v45, v52, 0 op_sel:[0,1,0] op_sel_hi:[0,1,0]
	v_fma_mixlo_f16 v49, v45, v49, 0 op_sel_hi:[0,1,0]
	v_fma_mixlo_f16 v50, v45, v50, 0 op_sel_hi:[0,1,0]
	v_lshlrev_b32_e32 v1, 16, v10
	v_and_b32_e32 v10, 0xffff, v51
	v_and_b32_e32 v53, 0xffff, v46
	v_lshlrev_b32_e32 v45, 16, v48
	v_and_b32_e32 v49, 0xffff, v49
	v_lshlrev_b32_e32 v9, 16, v9
	v_and_b32_e32 v46, 0xffff, v50
	v_or_b32_e32 v48, v1, v10
	v_or_b32_e32 v52, v47, v53
	;; [unrolled: 1-line block ×4, first 2 shown]
	s_and_saveexec_b32 s13, vcc_lo
	s_cbranch_execz .LBB265_614
; %bb.613:                              ;   in Loop: Header=BB265_350 Depth=1
	v_cmp_gt_i32_e64 s0, s11, v28
	v_cndmask_b32_e64 v48, 0, v53, s0
	v_cmp_gt_i32_e64 s0, s11, v34
	v_cndmask_b32_e64 v47, 0, v47, s0
	v_cmp_gt_i32_e64 s0, s11, v33
	v_or_b32_e32 v52, v47, v48
	v_cndmask_b32_e64 v10, 0, v10, s0
	v_cmp_gt_i32_e64 s0, s11, v32
	v_cndmask_b32_e64 v1, 0, v1, s0
	v_cmp_gt_i32_e64 s0, s11, v31
	v_or_b32_e32 v48, v1, v10
	;; [unrolled: 5-line block ×3, first 2 shown]
	v_cndmask_b32_e64 v46, 0, v46, s0
	v_cmp_gt_i32_e64 s0, s11, v22
	v_cndmask_b32_e64 v9, 0, v9, s0
	v_or_b32_e32 v50, v9, v46
.LBB265_614:                            ;   in Loop: Header=BB265_350 Depth=1
	s_or_b32 exec_lo, exec_lo, s13
	;;#ASMSTART
	v_pk_mul_f16 v1, v39, v52;

	;;#ASMEND
	;;#ASMSTART
	v_pk_mul_f16 v9, v38, v48;

	;;#ASMEND
	;; [unrolled: 4-line block ×4, first 2 shown]
	;;#ASMSTART
	v_pk_add_f16 v1, v1, v9;

	;;#ASMEND
	;;#ASMSTART
	v_pk_add_f16 v1, v1, v10;

	;;#ASMEND
	;; [unrolled: 4-line block ×3, first 2 shown]
	v_and_b32_e32 v9, 0xffff, v1
	v_lshrrev_b32_e32 v1, 16, v1
	;;#ASMSTART
	v_cvt_f32_f16 v9, v9;
	;;#ASMEND
	;;#ASMSTART
	v_cvt_f32_f16 v10, v1;
	;;#ASMEND
	global_load_dwordx2 v[7:8], v[7:8], off offset:1024
	v_mov_b32_e32 v46, 0
	v_mov_b32_e32 v47, 0
	global_load_dword v45, v46, s[14:15]
	s_waitcnt vmcnt(1)
	v_cmp_ne_u16_sdwa s0, v7, v2 src0_sel:BYTE_0 src1_sel:DWORD
	s_and_saveexec_b32 s13, s0
	s_cbranch_execz .LBB265_622
; %bb.615:                              ;   in Loop: Header=BB265_350 Depth=1
	v_cmp_ne_u16_sdwa s0, v7, v23 src0_sel:BYTE_0 src1_sel:DWORD
	v_mov_b32_e32 v47, 0x8000
	s_and_saveexec_b32 s17, s0
	s_cbranch_execz .LBB265_621
; %bb.616:                              ;   in Loop: Header=BB265_350 Depth=1
	v_and_b32_e32 v48, 0x7f, v7
	v_mov_b32_e32 v47, 0x7c01
	s_mov_b32 s18, exec_lo
	v_cmpx_ne_u32_e32 0x7f, v48
	s_cbranch_execz .LBB265_620
; %bb.617:                              ;   in Loop: Header=BB265_350 Depth=1
	v_and_b32_e32 v1, 7, v7
	v_lshrrev_b32_e32 v47, 3, v48
	s_mov_b32 s19, exec_lo
	v_cmpx_gt_u32_e32 8, v48
; %bb.618:                              ;   in Loop: Header=BB265_350 Depth=1
	v_ffbh_u32_e32 v1, v1
	v_min_u32_e32 v1, 32, v1
	v_subrev_nc_u32_e32 v47, 28, v1
	v_lshlrev_b64 v[48:49], v47, v[7:8]
	v_sub_nc_u32_e32 v47, 29, v1
	v_and_b32_e32 v1, 7, v48
; %bb.619:                              ;   in Loop: Header=BB265_350 Depth=1
	s_or_b32 exec_lo, exec_lo, s19
	v_lshlrev_b32_e32 v48, 8, v7
	v_lshl_add_u32 v47, v47, 10, 0x2000
	v_lshlrev_b32_e32 v1, 7, v1
	v_and_b32_e32 v48, 0x8000, v48
	v_and_b32_e32 v47, 0xfc00, v47
	v_or3_b32 v47, v48, v47, v1
.LBB265_620:                            ;   in Loop: Header=BB265_350 Depth=1
	s_or_b32 exec_lo, exec_lo, s18
.LBB265_621:                            ;   in Loop: Header=BB265_350 Depth=1
	s_or_b32 exec_lo, exec_lo, s17
.LBB265_622:                            ;   in Loop: Header=BB265_350 Depth=1
	s_or_b32 exec_lo, exec_lo, s13
	v_lshrrev_b16 v1, 8, v7
	s_mov_b32 s13, exec_lo
	v_cmpx_ne_u16_e32 0, v1
	s_cbranch_execz .LBB265_630
; %bb.623:                              ;   in Loop: Header=BB265_350 Depth=1
	v_bfrev_b32_e32 v46, 1
	s_mov_b32 s17, exec_lo
	v_cmpx_ne_u16_e32 0x80, v1
	s_cbranch_execz .LBB265_629
; %bb.624:                              ;   in Loop: Header=BB265_350 Depth=1
	v_and_b32_sdwa v49, v1, v24 dst_sel:DWORD dst_unused:UNUSED_PAD src0_sel:WORD_0 src1_sel:DWORD
	v_mov_b32_e32 v46, 0x7c010000
	s_mov_b32 s18, exec_lo
	v_cmpx_ne_u32_e32 0x7f, v49
	s_cbranch_execz .LBB265_628
; %bb.625:                              ;   in Loop: Header=BB265_350 Depth=1
	v_and_b32_sdwa v46, v1, v25 dst_sel:DWORD dst_unused:UNUSED_PAD src0_sel:WORD_0 src1_sel:DWORD
	v_lshrrev_b32_e32 v48, 3, v49
	s_mov_b32 s19, exec_lo
	v_cmpx_gt_u32_e32 8, v49
; %bb.626:                              ;   in Loop: Header=BB265_350 Depth=1
	v_ffbh_u32_e32 v46, v46
	v_min_u32_e32 v46, 32, v46
	v_subrev_nc_u32_e32 v48, 28, v46
	v_lshlrev_b64 v[49:50], v48, v[1:2]
	v_sub_nc_u32_e32 v48, 29, v46
	v_and_b32_e32 v46, 7, v49
; %bb.627:                              ;   in Loop: Header=BB265_350 Depth=1
	s_or_b32 exec_lo, exec_lo, s19
	v_lshlrev_b32_sdwa v1, v26, v1 dst_sel:DWORD dst_unused:UNUSED_PAD src0_sel:DWORD src1_sel:WORD_0
	v_lshl_add_u32 v48, v48, 10, 0x2000
	v_lshlrev_b32_e32 v46, 23, v46
	v_and_or_b32 v1, 0x8000, v1, v48
	v_lshl_or_b32 v46, v1, 16, v46
.LBB265_628:                            ;   in Loop: Header=BB265_350 Depth=1
	s_or_b32 exec_lo, exec_lo, s18
.LBB265_629:                            ;   in Loop: Header=BB265_350 Depth=1
	s_or_b32 exec_lo, exec_lo, s17
.LBB265_630:                            ;   in Loop: Header=BB265_350 Depth=1
	s_or_b32 exec_lo, exec_lo, s13
	v_lshrrev_b32_e32 v1, 16, v7
	v_mov_b32_e32 v48, 0
	v_mov_b32_e32 v49, 0
	v_cmp_ne_u16_sdwa s0, v1, v2 src0_sel:BYTE_0 src1_sel:DWORD
	s_and_saveexec_b32 s13, s0
	s_cbranch_execz .LBB265_638
; %bb.631:                              ;   in Loop: Header=BB265_350 Depth=1
	v_cmp_ne_u16_sdwa s0, v1, v23 src0_sel:BYTE_0 src1_sel:DWORD
	v_mov_b32_e32 v49, 0x8000
	s_and_saveexec_b32 s17, s0
	s_cbranch_execz .LBB265_637
; %bb.632:                              ;   in Loop: Header=BB265_350 Depth=1
	v_bfe_u32 v51, v7, 16, 7
	v_mov_b32_e32 v49, 0x7c01
	s_mov_b32 s18, exec_lo
	v_cmpx_ne_u32_e32 0x7f, v51
	s_cbranch_execz .LBB265_636
; %bb.633:                              ;   in Loop: Header=BB265_350 Depth=1
	v_and_b32_e32 v49, 7, v1
	v_lshrrev_b32_e32 v50, 3, v51
	s_mov_b32 s19, exec_lo
	v_cmpx_gt_u32_e32 8, v51
; %bb.634:                              ;   in Loop: Header=BB265_350 Depth=1
	v_ffbh_u32_e32 v49, v49
	v_min_u32_e32 v51, 32, v49
	v_subrev_nc_u32_e32 v49, 28, v51
	v_lshlrev_b64 v[49:50], v49, v[1:2]
	v_sub_nc_u32_e32 v50, 29, v51
	v_and_b32_e32 v49, 7, v49
; %bb.635:                              ;   in Loop: Header=BB265_350 Depth=1
	s_or_b32 exec_lo, exec_lo, s19
	v_lshlrev_b32_e32 v1, 8, v1
	v_lshl_add_u32 v50, v50, 10, 0x2000
	v_lshlrev_b32_e32 v49, 7, v49
	v_and_b32_e32 v1, 0x8000, v1
	v_and_b32_e32 v50, 0xfc00, v50
	v_or3_b32 v49, v1, v50, v49
.LBB265_636:                            ;   in Loop: Header=BB265_350 Depth=1
	s_or_b32 exec_lo, exec_lo, s18
.LBB265_637:                            ;   in Loop: Header=BB265_350 Depth=1
	s_or_b32 exec_lo, exec_lo, s17
.LBB265_638:                            ;   in Loop: Header=BB265_350 Depth=1
	s_or_b32 exec_lo, exec_lo, s13
	s_mov_b32 s13, exec_lo
	v_cmpx_lt_u32_e32 0xffffff, v7
	s_cbranch_execz .LBB265_646
; %bb.639:                              ;   in Loop: Header=BB265_350 Depth=1
	v_lshrrev_b32_e32 v1, 24, v7
	v_bfrev_b32_e32 v48, 1
	s_mov_b32 s17, exec_lo
	v_cmpx_ne_u32_e32 0x80, v1
	s_cbranch_execz .LBB265_645
; %bb.640:                              ;   in Loop: Header=BB265_350 Depth=1
	v_and_b32_e32 v51, 0x7f, v1
	v_mov_b32_e32 v48, 0x7c010000
	s_mov_b32 s18, exec_lo
	v_cmpx_ne_u32_e32 0x7f, v51
	s_cbranch_execz .LBB265_644
; %bb.641:                              ;   in Loop: Header=BB265_350 Depth=1
	v_and_b32_e32 v48, 7, v1
	v_lshrrev_b32_e32 v50, 3, v51
	s_mov_b32 s19, exec_lo
	v_cmpx_gt_u32_e32 8, v51
; %bb.642:                              ;   in Loop: Header=BB265_350 Depth=1
	v_ffbh_u32_e32 v48, v48
	v_min_u32_e32 v48, 32, v48
	v_subrev_nc_u32_e32 v50, 28, v48
	v_lshlrev_b64 v[51:52], v50, v[1:2]
	v_sub_nc_u32_e32 v50, 29, v48
	v_and_b32_e32 v48, 7, v51
; %bb.643:                              ;   in Loop: Header=BB265_350 Depth=1
	s_or_b32 exec_lo, exec_lo, s19
	v_lshlrev_b32_e32 v1, 8, v1
	v_lshl_add_u32 v50, v50, 10, 0x2000
	v_lshlrev_b32_e32 v48, 23, v48
	v_and_or_b32 v1, 0x8000, v1, v50
	v_lshl_or_b32 v48, v1, 16, v48
.LBB265_644:                            ;   in Loop: Header=BB265_350 Depth=1
	s_or_b32 exec_lo, exec_lo, s18
.LBB265_645:                            ;   in Loop: Header=BB265_350 Depth=1
	s_or_b32 exec_lo, exec_lo, s17
.LBB265_646:                            ;   in Loop: Header=BB265_350 Depth=1
	s_or_b32 exec_lo, exec_lo, s13
	v_mov_b32_e32 v1, v8
	v_cmp_ne_u16_sdwa s0, v8, v2 src0_sel:BYTE_0 src1_sel:DWORD
	v_mov_b32_e32 v50, 0
	v_mov_b32_e32 v51, 0
	s_and_saveexec_b32 s13, s0
	s_cbranch_execz .LBB265_654
; %bb.647:                              ;   in Loop: Header=BB265_350 Depth=1
	v_cmp_ne_u16_sdwa s0, v8, v23 src0_sel:BYTE_0 src1_sel:DWORD
	v_mov_b32_e32 v51, 0x8000
	s_and_saveexec_b32 s17, s0
	s_cbranch_execz .LBB265_653
; %bb.648:                              ;   in Loop: Header=BB265_350 Depth=1
	v_and_b32_e32 v53, 0x7f, v8
	v_mov_b32_e32 v51, 0x7c01
	s_mov_b32 s18, exec_lo
	v_cmpx_ne_u32_e32 0x7f, v53
	s_cbranch_execz .LBB265_652
; %bb.649:                              ;   in Loop: Header=BB265_350 Depth=1
	v_and_b32_e32 v51, 7, v8
	v_lshrrev_b32_e32 v52, 3, v53
	s_mov_b32 s19, exec_lo
	v_cmpx_gt_u32_e32 8, v53
; %bb.650:                              ;   in Loop: Header=BB265_350 Depth=1
	v_ffbh_u32_e32 v51, v51
	v_min_u32_e32 v53, 32, v51
	v_subrev_nc_u32_e32 v51, 28, v53
	v_lshlrev_b64 v[51:52], v51, v[1:2]
	v_sub_nc_u32_e32 v52, 29, v53
	v_and_b32_e32 v51, 7, v51
; %bb.651:                              ;   in Loop: Header=BB265_350 Depth=1
	s_or_b32 exec_lo, exec_lo, s19
	v_lshlrev_b32_e32 v53, 8, v8
	v_lshl_add_u32 v52, v52, 10, 0x2000
	v_lshlrev_b32_e32 v51, 7, v51
	v_and_b32_e32 v53, 0x8000, v53
	v_and_b32_e32 v52, 0xfc00, v52
	v_or3_b32 v51, v53, v52, v51
.LBB265_652:                            ;   in Loop: Header=BB265_350 Depth=1
	s_or_b32 exec_lo, exec_lo, s18
.LBB265_653:                            ;   in Loop: Header=BB265_350 Depth=1
	s_or_b32 exec_lo, exec_lo, s17
.LBB265_654:                            ;   in Loop: Header=BB265_350 Depth=1
	s_or_b32 exec_lo, exec_lo, s13
	v_lshrrev_b16 v1, 8, v1
	v_mov_b32_e32 v52, 0
	s_mov_b32 s13, exec_lo
	v_cmpx_ne_u16_e32 0, v1
	s_cbranch_execz .LBB265_662
; %bb.655:                              ;   in Loop: Header=BB265_350 Depth=1
	v_bfrev_b32_e32 v52, 1
	s_mov_b32 s17, exec_lo
	v_cmpx_ne_u16_e32 0x80, v1
	s_cbranch_execz .LBB265_661
; %bb.656:                              ;   in Loop: Header=BB265_350 Depth=1
	v_and_b32_sdwa v54, v1, v24 dst_sel:DWORD dst_unused:UNUSED_PAD src0_sel:WORD_0 src1_sel:DWORD
	v_mov_b32_e32 v52, 0x7c010000
	s_mov_b32 s18, exec_lo
	v_cmpx_ne_u32_e32 0x7f, v54
	s_cbranch_execz .LBB265_660
; %bb.657:                              ;   in Loop: Header=BB265_350 Depth=1
	v_and_b32_sdwa v52, v1, v25 dst_sel:DWORD dst_unused:UNUSED_PAD src0_sel:WORD_0 src1_sel:DWORD
	v_lshrrev_b32_e32 v53, 3, v54
	s_mov_b32 s19, exec_lo
	v_cmpx_gt_u32_e32 8, v54
; %bb.658:                              ;   in Loop: Header=BB265_350 Depth=1
	v_ffbh_u32_e32 v52, v52
	v_min_u32_e32 v54, 32, v52
	v_subrev_nc_u32_e32 v52, 28, v54
	v_lshlrev_b64 v[52:53], v52, v[1:2]
	v_sub_nc_u32_e32 v53, 29, v54
	v_and_b32_e32 v52, 7, v52
; %bb.659:                              ;   in Loop: Header=BB265_350 Depth=1
	s_or_b32 exec_lo, exec_lo, s19
	v_lshlrev_b32_sdwa v1, v26, v1 dst_sel:DWORD dst_unused:UNUSED_PAD src0_sel:DWORD src1_sel:WORD_0
	v_lshl_add_u32 v53, v53, 10, 0x2000
	v_lshlrev_b32_e32 v52, 23, v52
	v_and_or_b32 v1, 0x8000, v1, v53
	v_lshl_or_b32 v52, v1, 16, v52
.LBB265_660:                            ;   in Loop: Header=BB265_350 Depth=1
	s_or_b32 exec_lo, exec_lo, s18
.LBB265_661:                            ;   in Loop: Header=BB265_350 Depth=1
	s_or_b32 exec_lo, exec_lo, s17
.LBB265_662:                            ;   in Loop: Header=BB265_350 Depth=1
	s_or_b32 exec_lo, exec_lo, s13
	v_lshrrev_b32_e32 v1, 16, v8
	v_cmp_ne_u16_sdwa s0, v1, v2 src0_sel:BYTE_0 src1_sel:DWORD
	s_and_saveexec_b32 s13, s0
	s_cbranch_execz .LBB265_670
; %bb.663:                              ;   in Loop: Header=BB265_350 Depth=1
	v_cmp_ne_u16_sdwa s0, v1, v23 src0_sel:BYTE_0 src1_sel:DWORD
	v_mov_b32_e32 v50, 0x8000
	s_and_saveexec_b32 s17, s0
	s_cbranch_execz .LBB265_669
; %bb.664:                              ;   in Loop: Header=BB265_350 Depth=1
	v_bfe_u32 v54, v8, 16, 7
	v_mov_b32_e32 v50, 0x7c01
	s_mov_b32 s18, exec_lo
	v_cmpx_ne_u32_e32 0x7f, v54
	s_cbranch_execz .LBB265_668
; %bb.665:                              ;   in Loop: Header=BB265_350 Depth=1
	v_and_b32_e32 v50, 7, v1
	v_lshrrev_b32_e32 v53, 3, v54
	s_mov_b32 s19, exec_lo
	v_cmpx_gt_u32_e32 8, v54
; %bb.666:                              ;   in Loop: Header=BB265_350 Depth=1
	v_ffbh_u32_e32 v50, v50
	v_min_u32_e32 v50, 32, v50
	v_subrev_nc_u32_e32 v53, 28, v50
	v_lshlrev_b64 v[54:55], v53, v[1:2]
	v_sub_nc_u32_e32 v53, 29, v50
	v_and_b32_e32 v50, 7, v54
; %bb.667:                              ;   in Loop: Header=BB265_350 Depth=1
	s_or_b32 exec_lo, exec_lo, s19
	v_lshlrev_b32_e32 v1, 8, v1
	v_lshl_add_u32 v53, v53, 10, 0x2000
	v_lshlrev_b32_e32 v50, 7, v50
	v_and_b32_e32 v1, 0x8000, v1
	v_and_b32_e32 v53, 0xfc00, v53
	v_or3_b32 v50, v1, v53, v50
.LBB265_668:                            ;   in Loop: Header=BB265_350 Depth=1
	s_or_b32 exec_lo, exec_lo, s18
.LBB265_669:                            ;   in Loop: Header=BB265_350 Depth=1
	s_or_b32 exec_lo, exec_lo, s17
.LBB265_670:                            ;   in Loop: Header=BB265_350 Depth=1
	s_or_b32 exec_lo, exec_lo, s13
	v_cmp_lt_u64_e64 s0, s[2:3], v[7:8]
	v_mov_b32_e32 v7, 0
	s_and_saveexec_b32 s13, s0
	s_cbranch_execz .LBB265_678
; %bb.671:                              ;   in Loop: Header=BB265_350 Depth=1
	v_lshrrev_b32_e32 v1, 24, v8
	v_bfrev_b32_e32 v7, 1
	s_mov_b32 s17, exec_lo
	v_cmpx_ne_u32_e32 0x80, v1
	s_cbranch_execz .LBB265_677
; %bb.672:                              ;   in Loop: Header=BB265_350 Depth=1
	v_and_b32_e32 v53, 0x7f, v1
	v_mov_b32_e32 v7, 0x7c010000
	s_mov_b32 s18, exec_lo
	v_cmpx_ne_u32_e32 0x7f, v53
	s_cbranch_execz .LBB265_676
; %bb.673:                              ;   in Loop: Header=BB265_350 Depth=1
	v_and_b32_e32 v7, 7, v1
	v_lshrrev_b32_e32 v8, 3, v53
	s_mov_b32 s19, exec_lo
	v_cmpx_gt_u32_e32 8, v53
; %bb.674:                              ;   in Loop: Header=BB265_350 Depth=1
	v_ffbh_u32_e32 v7, v7
	v_min_u32_e32 v53, 32, v7
	v_subrev_nc_u32_e32 v7, 28, v53
	v_lshlrev_b64 v[7:8], v7, v[1:2]
	v_sub_nc_u32_e32 v8, 29, v53
	v_and_b32_e32 v7, 7, v7
; %bb.675:                              ;   in Loop: Header=BB265_350 Depth=1
	s_or_b32 exec_lo, exec_lo, s19
	v_lshlrev_b32_e32 v1, 8, v1
	v_lshl_add_u32 v8, v8, 10, 0x2000
	v_lshlrev_b32_e32 v7, 23, v7
	v_and_or_b32 v1, 0x8000, v1, v8
	v_lshl_or_b32 v7, v1, 16, v7
.LBB265_676:                            ;   in Loop: Header=BB265_350 Depth=1
	s_or_b32 exec_lo, exec_lo, s18
.LBB265_677:                            ;   in Loop: Header=BB265_350 Depth=1
	s_or_b32 exec_lo, exec_lo, s17
.LBB265_678:                            ;   in Loop: Header=BB265_350 Depth=1
	s_or_b32 exec_lo, exec_lo, s13
	v_or_b32_e32 v1, v48, v49
	v_or_b32_e32 v47, v46, v47
	s_waitcnt vmcnt(0)
	v_fma_mixlo_f16 v46, v45, v46, 0 op_sel:[0,1,0] op_sel_hi:[0,1,0]
	v_or_b32_e32 v49, v52, v51
	v_or_b32_e32 v50, v7, v50
	v_fma_mixlo_f16 v1, v45, v1, 0 op_sel_hi:[0,1,0]
	v_fma_mixlo_f16 v8, v45, v48, 0 op_sel:[0,1,0] op_sel_hi:[0,1,0]
	v_lshlrev_b32_e32 v51, 16, v46
	v_fma_mixlo_f16 v46, v45, v47, 0 op_sel_hi:[0,1,0]
	v_fma_mixlo_f16 v47, v45, v49, 0 op_sel_hi:[0,1,0]
	v_and_b32_e32 v48, 0xffff, v1
	v_fma_mixlo_f16 v1, v45, v52, 0 op_sel:[0,1,0] op_sel_hi:[0,1,0]
	v_fma_mixlo_f16 v7, v45, v7, 0 op_sel:[0,1,0] op_sel_hi:[0,1,0]
	v_fma_mixlo_f16 v45, v45, v50, 0 op_sel_hi:[0,1,0]
	v_lshlrev_b32_e32 v8, 16, v8
	v_and_b32_e32 v53, 0xffff, v46
	v_lshlrev_b32_e32 v49, 16, v1
	v_and_b32_e32 v52, 0xffff, v47
	;; [unrolled: 2-line block ×3, first 2 shown]
	v_or_b32_e32 v1, v8, v48
	v_or_b32_e32 v46, v51, v53
	;; [unrolled: 1-line block ×4, first 2 shown]
	s_and_saveexec_b32 s0, vcc_lo
	s_cbranch_execz .LBB265_349
; %bb.679:                              ;   in Loop: Header=BB265_350 Depth=1
	v_cmp_gt_i32_e32 vcc_lo, s11, v28
	v_cndmask_b32_e32 v1, 0, v53, vcc_lo
	v_cmp_gt_i32_e32 vcc_lo, s11, v34
	v_cndmask_b32_e32 v7, 0, v51, vcc_lo
	v_cmp_gt_i32_e32 vcc_lo, s11, v33
	v_or_b32_e32 v46, v7, v1
	v_cndmask_b32_e32 v28, 0, v48, vcc_lo
	v_cmp_gt_i32_e32 vcc_lo, s11, v32
	v_cndmask_b32_e32 v8, 0, v8, vcc_lo
	v_cmp_gt_i32_e32 vcc_lo, s11, v31
	v_or_b32_e32 v1, v8, v28
	v_cndmask_b32_e32 v31, 0, v52, vcc_lo
	v_cmp_gt_i32_e32 vcc_lo, s11, v30
	v_cndmask_b32_e32 v30, 0, v49, vcc_lo
	v_cmp_gt_i32_e32 vcc_lo, s11, v29
	v_or_b32_e32 v45, v30, v31
	v_cndmask_b32_e32 v29, 0, v50, vcc_lo
	v_cmp_gt_i32_e32 vcc_lo, s11, v22
	v_cndmask_b32_e32 v32, 0, v47, vcc_lo
	v_or_b32_e32 v7, v32, v29
	s_branch .LBB265_349
.LBB265_680:
	s_or_b32 exec_lo, exec_lo, s12
.LBB265_681:
	s_or_b32 exec_lo, exec_lo, s1
	ds_bpermute_b32 v1, v17, v20
	ds_bpermute_b32 v2, v17, v21
	;; [unrolled: 1-line block ×5, first 2 shown]
	v_lshrrev_b32_e32 v6, 1, v16
	v_mul_u32_u24_e32 v8, 0x140, v13
	v_and_b32_e32 v13, 0x3c1, v0
	s_mov_b32 s0, exec_lo
	s_waitcnt lgkmcnt(0)
	v_lshl_add_u32 v7, v6, 2, 0xc0
	s_barrier
	buffer_gl0_inv
	v_add_f32_e32 v5, v20, v1
	v_add_f32_e32 v4, v21, v2
	;; [unrolled: 1-line block ×5, first 2 shown]
	v_cmpx_eq_u32_e32 64, v13
	s_cbranch_execz .LBB265_683
; %bb.682:
	v_add_nc_u32_e32 v9, v7, v8
	v_add_nc_u32_e32 v10, 0xfffffd80, v9
	;; [unrolled: 1-line block ×6, first 2 shown]
	ds_write_b32 v10, v5
	ds_write_b32 v13, v4
	;; [unrolled: 1-line block ×5, first 2 shown]
.LBB265_683:
	s_or_b32 exec_lo, exec_lo, s0
	v_lshlrev_b32_e32 v6, 2, v6
	s_mov_b32 s1, exec_lo
	v_cmp_eq_u32_e32 vcc_lo, 0, v12
	s_waitcnt lgkmcnt(0)
	s_barrier
	v_add3_u32 v6, 0xc0, v8, v6
	buffer_gl0_inv
	v_cmpx_gt_u32_e32 64, v0
	s_cbranch_execz .LBB265_691
; %bb.684:
	s_and_saveexec_b32 s0, vcc_lo
	s_cbranch_execnz .LBB265_704
; %bb.685:
	s_or_b32 exec_lo, exec_lo, s0
	s_and_saveexec_b32 s0, vcc_lo
	s_cbranch_execnz .LBB265_705
.LBB265_686:
	s_or_b32 exec_lo, exec_lo, s0
	s_and_saveexec_b32 s0, vcc_lo
	s_cbranch_execnz .LBB265_706
.LBB265_687:
	s_or_b32 exec_lo, exec_lo, s0
	s_and_saveexec_b32 s0, vcc_lo
	s_cbranch_execnz .LBB265_707
.LBB265_688:
	s_or_b32 exec_lo, exec_lo, s0
	s_and_saveexec_b32 s0, vcc_lo
	s_cbranch_execz .LBB265_690
.LBB265_689:
	ds_read_b32 v8, v6 offset:256
	s_waitcnt lgkmcnt(0)
	v_add_f32_e32 v1, v1, v8
.LBB265_690:
	s_or_b32 exec_lo, exec_lo, s0
.LBB265_691:
	s_or_b32 exec_lo, exec_lo, s1
	v_and_b32_e32 v8, 0x3e1, v0
	s_mov_b32 s1, exec_lo
	s_barrier
	buffer_gl0_inv
	v_cmpx_eq_u32_e32 32, v8
	s_cbranch_execz .LBB265_693
; %bb.692:
	ds_write2_b32 v7, v5, v4 offset1:16
	ds_write2_b32 v7, v3, v2 offset0:32 offset1:48
	ds_write_b32 v7, v1 offset:256
.LBB265_693:
	s_or_b32 exec_lo, exec_lo, s1
	s_mov_b32 s1, exec_lo
	s_waitcnt lgkmcnt(0)
	s_barrier
	buffer_gl0_inv
	v_cmpx_gt_u32_e32 32, v0
	s_cbranch_execz .LBB265_701
; %bb.694:
	s_and_saveexec_b32 s0, vcc_lo
	s_cbranch_execnz .LBB265_708
; %bb.695:
	s_or_b32 exec_lo, exec_lo, s0
	s_and_saveexec_b32 s0, vcc_lo
	s_cbranch_execnz .LBB265_709
.LBB265_696:
	s_or_b32 exec_lo, exec_lo, s0
	s_and_saveexec_b32 s0, vcc_lo
	s_cbranch_execnz .LBB265_710
.LBB265_697:
	s_or_b32 exec_lo, exec_lo, s0
	s_and_saveexec_b32 s0, vcc_lo
	s_cbranch_execnz .LBB265_711
.LBB265_698:
	s_or_b32 exec_lo, exec_lo, s0
	s_and_saveexec_b32 s0, vcc_lo
	s_cbranch_execz .LBB265_700
.LBB265_699:
	ds_read_b32 v0, v6 offset:256
	s_waitcnt lgkmcnt(0)
	v_add_f32_e32 v1, v1, v0
.LBB265_700:
	s_or_b32 exec_lo, exec_lo, s0
.LBB265_701:
	s_or_b32 exec_lo, exec_lo, s1
	s_barrier
	buffer_gl0_inv
	s_mov_b32 s0, exec_lo
	v_cmpx_eq_u32_e32 0, v8
	s_cbranch_execz .LBB265_703
; %bb.702:
	s_mul_i32 s0, s10, s7
	s_mul_i32 s2, s7, s6
	;; [unrolled: 1-line block ×3, first 2 shown]
	v_lshlrev_b32_e32 v0, 1, v11
	s_mulk_i32 s0, 0x50
	;;#ASMSTART
	v_cvt_f16_f32 v5, v5;

	;;#ASMEND
	s_ashr_i32 s1, s0, 31
	s_lshl_b64 s[0:1], s[0:1], 1
	s_add_u32 s4, s20, s0
	s_addc_u32 s5, s21, s1
	s_ashr_i32 s3, s2, 31
	s_lshl_b64 s[0:1], s[2:3], 1
	s_mul_i32 s2, s8, 0x50
	s_add_u32 s4, s4, s0
	s_addc_u32 s5, s5, s1
	s_ashr_i32 s3, s2, 31
	s_lshl_b64 s[0:1], s[2:3], 1
	s_add_u32 s0, s4, s0
	s_addc_u32 s1, s5, s1
	global_store_short v0, v5, s[0:1]
	;;#ASMSTART
	v_cvt_f16_f32 v4, v4;

	;;#ASMEND
	global_store_short v0, v4, s[0:1] offset:32
	;;#ASMSTART
	v_cvt_f16_f32 v3, v3;

	;;#ASMEND
	global_store_short v0, v3, s[0:1] offset:64
	;; [unrolled: 5-line block ×4, first 2 shown]
.LBB265_703:
	s_endpgm
.LBB265_704:
	ds_read_b32 v8, v6
	s_waitcnt lgkmcnt(0)
	v_add_f32_e32 v5, v5, v8
	s_or_b32 exec_lo, exec_lo, s0
	s_and_saveexec_b32 s0, vcc_lo
	s_cbranch_execz .LBB265_686
.LBB265_705:
	ds_read_b32 v8, v6 offset:64
	s_waitcnt lgkmcnt(0)
	v_add_f32_e32 v4, v4, v8
	s_or_b32 exec_lo, exec_lo, s0
	s_and_saveexec_b32 s0, vcc_lo
	s_cbranch_execz .LBB265_687
.LBB265_706:
	ds_read_b32 v8, v6 offset:128
	s_waitcnt lgkmcnt(0)
	v_add_f32_e32 v3, v3, v8
	s_or_b32 exec_lo, exec_lo, s0
	s_and_saveexec_b32 s0, vcc_lo
	s_cbranch_execz .LBB265_688
.LBB265_707:
	ds_read_b32 v8, v6 offset:192
	s_waitcnt lgkmcnt(0)
	v_add_f32_e32 v2, v2, v8
	s_or_b32 exec_lo, exec_lo, s0
	s_and_saveexec_b32 s0, vcc_lo
	s_cbranch_execnz .LBB265_689
	s_branch .LBB265_690
.LBB265_708:
	ds_read_b32 v0, v6
	s_waitcnt lgkmcnt(0)
	v_add_f32_e32 v5, v5, v0
	s_or_b32 exec_lo, exec_lo, s0
	s_and_saveexec_b32 s0, vcc_lo
	s_cbranch_execz .LBB265_696
.LBB265_709:
	ds_read_b32 v0, v6 offset:64
	s_waitcnt lgkmcnt(0)
	v_add_f32_e32 v4, v4, v0
	s_or_b32 exec_lo, exec_lo, s0
	s_and_saveexec_b32 s0, vcc_lo
	s_cbranch_execz .LBB265_697
.LBB265_710:
	ds_read_b32 v0, v6 offset:128
	s_waitcnt lgkmcnt(0)
	v_add_f32_e32 v3, v3, v0
	s_or_b32 exec_lo, exec_lo, s0
	s_and_saveexec_b32 s0, vcc_lo
	s_cbranch_execz .LBB265_698
.LBB265_711:
	ds_read_b32 v0, v6 offset:192
	s_waitcnt lgkmcnt(0)
	v_add_f32_e32 v2, v2, v0
	s_or_b32 exec_lo, exec_lo, s0
	s_and_saveexec_b32 s0, vcc_lo
	s_cbranch_execnz .LBB265_699
	s_branch .LBB265_700
	.section	.rodata,"a",@progbits
	.p2align	6, 0x0
	.amdhsa_kernel _ZN4vllm25paged_attention_v1_kernelIthLi80ELi16ELi128ELNS_18Fp8KVCacheDataTypeE1ELb0EEEvPT_PKS2_PKT0_S8_ifPKiSA_iPKfiiiSC_SC_iiiii
		.amdhsa_group_segment_fixed_size 192
		.amdhsa_private_segment_fixed_size 0
		.amdhsa_kernarg_size 384
		.amdhsa_user_sgpr_count 6
		.amdhsa_user_sgpr_private_segment_buffer 1
		.amdhsa_user_sgpr_dispatch_ptr 0
		.amdhsa_user_sgpr_queue_ptr 0
		.amdhsa_user_sgpr_kernarg_segment_ptr 1
		.amdhsa_user_sgpr_dispatch_id 0
		.amdhsa_user_sgpr_flat_scratch_init 0
		.amdhsa_user_sgpr_private_segment_size 0
		.amdhsa_wavefront_size32 1
		.amdhsa_uses_dynamic_stack 0
		.amdhsa_system_sgpr_private_segment_wavefront_offset 0
		.amdhsa_system_sgpr_workgroup_id_x 1
		.amdhsa_system_sgpr_workgroup_id_y 1
		.amdhsa_system_sgpr_workgroup_id_z 1
		.amdhsa_system_sgpr_workgroup_info 0
		.amdhsa_system_vgpr_workitem_id 0
		.amdhsa_next_free_vgpr 97
		.amdhsa_next_free_sgpr 35
		.amdhsa_reserve_vcc 1
		.amdhsa_reserve_flat_scratch 0
		.amdhsa_float_round_mode_32 0
		.amdhsa_float_round_mode_16_64 0
		.amdhsa_float_denorm_mode_32 3
		.amdhsa_float_denorm_mode_16_64 3
		.amdhsa_dx10_clamp 1
		.amdhsa_ieee_mode 1
		.amdhsa_fp16_overflow 0
		.amdhsa_workgroup_processor_mode 1
		.amdhsa_memory_ordered 1
		.amdhsa_forward_progress 1
		.amdhsa_shared_vgpr_count 0
		.amdhsa_exception_fp_ieee_invalid_op 0
		.amdhsa_exception_fp_denorm_src 0
		.amdhsa_exception_fp_ieee_div_zero 0
		.amdhsa_exception_fp_ieee_overflow 0
		.amdhsa_exception_fp_ieee_underflow 0
		.amdhsa_exception_fp_ieee_inexact 0
		.amdhsa_exception_int_div_zero 0
	.end_amdhsa_kernel
	.section	.text._ZN4vllm25paged_attention_v1_kernelIthLi80ELi16ELi128ELNS_18Fp8KVCacheDataTypeE1ELb0EEEvPT_PKS2_PKT0_S8_ifPKiSA_iPKfiiiSC_SC_iiiii,"axG",@progbits,_ZN4vllm25paged_attention_v1_kernelIthLi80ELi16ELi128ELNS_18Fp8KVCacheDataTypeE1ELb0EEEvPT_PKS2_PKT0_S8_ifPKiSA_iPKfiiiSC_SC_iiiii,comdat
.Lfunc_end265:
	.size	_ZN4vllm25paged_attention_v1_kernelIthLi80ELi16ELi128ELNS_18Fp8KVCacheDataTypeE1ELb0EEEvPT_PKS2_PKT0_S8_ifPKiSA_iPKfiiiSC_SC_iiiii, .Lfunc_end265-_ZN4vllm25paged_attention_v1_kernelIthLi80ELi16ELi128ELNS_18Fp8KVCacheDataTypeE1ELb0EEEvPT_PKS2_PKT0_S8_ifPKiSA_iPKfiiiSC_SC_iiiii
                                        ; -- End function
	.set _ZN4vllm25paged_attention_v1_kernelIthLi80ELi16ELi128ELNS_18Fp8KVCacheDataTypeE1ELb0EEEvPT_PKS2_PKT0_S8_ifPKiSA_iPKfiiiSC_SC_iiiii.num_vgpr, 97
	.set _ZN4vllm25paged_attention_v1_kernelIthLi80ELi16ELi128ELNS_18Fp8KVCacheDataTypeE1ELb0EEEvPT_PKS2_PKT0_S8_ifPKiSA_iPKfiiiSC_SC_iiiii.num_agpr, 0
	.set _ZN4vllm25paged_attention_v1_kernelIthLi80ELi16ELi128ELNS_18Fp8KVCacheDataTypeE1ELb0EEEvPT_PKS2_PKT0_S8_ifPKiSA_iPKfiiiSC_SC_iiiii.numbered_sgpr, 35
	.set _ZN4vllm25paged_attention_v1_kernelIthLi80ELi16ELi128ELNS_18Fp8KVCacheDataTypeE1ELb0EEEvPT_PKS2_PKT0_S8_ifPKiSA_iPKfiiiSC_SC_iiiii.num_named_barrier, 0
	.set _ZN4vllm25paged_attention_v1_kernelIthLi80ELi16ELi128ELNS_18Fp8KVCacheDataTypeE1ELb0EEEvPT_PKS2_PKT0_S8_ifPKiSA_iPKfiiiSC_SC_iiiii.private_seg_size, 0
	.set _ZN4vllm25paged_attention_v1_kernelIthLi80ELi16ELi128ELNS_18Fp8KVCacheDataTypeE1ELb0EEEvPT_PKS2_PKT0_S8_ifPKiSA_iPKfiiiSC_SC_iiiii.uses_vcc, 1
	.set _ZN4vllm25paged_attention_v1_kernelIthLi80ELi16ELi128ELNS_18Fp8KVCacheDataTypeE1ELb0EEEvPT_PKS2_PKT0_S8_ifPKiSA_iPKfiiiSC_SC_iiiii.uses_flat_scratch, 0
	.set _ZN4vllm25paged_attention_v1_kernelIthLi80ELi16ELi128ELNS_18Fp8KVCacheDataTypeE1ELb0EEEvPT_PKS2_PKT0_S8_ifPKiSA_iPKfiiiSC_SC_iiiii.has_dyn_sized_stack, 0
	.set _ZN4vllm25paged_attention_v1_kernelIthLi80ELi16ELi128ELNS_18Fp8KVCacheDataTypeE1ELb0EEEvPT_PKS2_PKT0_S8_ifPKiSA_iPKfiiiSC_SC_iiiii.has_recursion, 0
	.set _ZN4vllm25paged_attention_v1_kernelIthLi80ELi16ELi128ELNS_18Fp8KVCacheDataTypeE1ELb0EEEvPT_PKS2_PKT0_S8_ifPKiSA_iPKfiiiSC_SC_iiiii.has_indirect_call, 0
	.section	.AMDGPU.csdata,"",@progbits
; Kernel info:
; codeLenInByte = 23524
; TotalNumSgprs: 37
; NumVgprs: 97
; ScratchSize: 0
; MemoryBound: 0
; FloatMode: 240
; IeeeMode: 1
; LDSByteSize: 192 bytes/workgroup (compile time only)
; SGPRBlocks: 0
; VGPRBlocks: 12
; NumSGPRsForWavesPerEU: 37
; NumVGPRsForWavesPerEU: 97
; Occupancy: 9
; WaveLimiterHint : 1
; COMPUTE_PGM_RSRC2:SCRATCH_EN: 0
; COMPUTE_PGM_RSRC2:USER_SGPR: 6
; COMPUTE_PGM_RSRC2:TRAP_HANDLER: 0
; COMPUTE_PGM_RSRC2:TGID_X_EN: 1
; COMPUTE_PGM_RSRC2:TGID_Y_EN: 1
; COMPUTE_PGM_RSRC2:TGID_Z_EN: 1
; COMPUTE_PGM_RSRC2:TIDIG_COMP_CNT: 0
	.section	.text._ZN4vllm25paged_attention_v1_kernelIthLi96ELi16ELi128ELNS_18Fp8KVCacheDataTypeE1ELb0EEEvPT_PKS2_PKT0_S8_ifPKiSA_iPKfiiiSC_SC_iiiii,"axG",@progbits,_ZN4vllm25paged_attention_v1_kernelIthLi96ELi16ELi128ELNS_18Fp8KVCacheDataTypeE1ELb0EEEvPT_PKS2_PKT0_S8_ifPKiSA_iPKfiiiSC_SC_iiiii,comdat
	.protected	_ZN4vllm25paged_attention_v1_kernelIthLi96ELi16ELi128ELNS_18Fp8KVCacheDataTypeE1ELb0EEEvPT_PKS2_PKT0_S8_ifPKiSA_iPKfiiiSC_SC_iiiii ; -- Begin function _ZN4vllm25paged_attention_v1_kernelIthLi96ELi16ELi128ELNS_18Fp8KVCacheDataTypeE1ELb0EEEvPT_PKS2_PKT0_S8_ifPKiSA_iPKfiiiSC_SC_iiiii
	.globl	_ZN4vllm25paged_attention_v1_kernelIthLi96ELi16ELi128ELNS_18Fp8KVCacheDataTypeE1ELb0EEEvPT_PKS2_PKT0_S8_ifPKiSA_iPKfiiiSC_SC_iiiii
	.p2align	8
	.type	_ZN4vllm25paged_attention_v1_kernelIthLi96ELi16ELi128ELNS_18Fp8KVCacheDataTypeE1ELb0EEEvPT_PKS2_PKT0_S8_ifPKiSA_iPKfiiiSC_SC_iiiii,@function
_ZN4vllm25paged_attention_v1_kernelIthLi96ELi16ELi128ELNS_18Fp8KVCacheDataTypeE1ELb0EEEvPT_PKS2_PKT0_S8_ifPKiSA_iPKfiiiSC_SC_iiiii: ; @_ZN4vllm25paged_attention_v1_kernelIthLi96ELi16ELi128ELNS_18Fp8KVCacheDataTypeE1ELb0EEEvPT_PKS2_PKT0_S8_ifPKiSA_iPKfiiiSC_SC_iiiii
; %bb.0:
	s_clause 0x2
	s_load_dword s9, s[4:5], 0x80
	s_load_dwordx2 s[0:1], s[4:5], 0x30
	s_load_dwordx2 s[28:29], s[4:5], 0x20
	s_mov_b32 s10, s7
	s_ashr_i32 s11, s7, 31
	s_lshl_b64 s[2:3], s[10:11], 2
	s_waitcnt lgkmcnt(0)
	s_add_u32 s0, s0, s2
	s_addc_u32 s1, s1, s3
	s_abs_i32 s2, s28
	s_abs_i32 s11, s9
	v_cvt_f32_u32_e32 v1, s2
	s_sub_i32 s7, 0, s2
	v_rcp_iflag_f32_e32 v1, v1
	v_mul_f32_e32 v1, 0x4f7ffffe, v1
	v_cvt_u32_f32_e32 v1, v1
	v_readfirstlane_b32 s3, v1
	s_mul_i32 s7, s7, s3
	s_mul_hi_u32 s7, s3, s7
	s_add_i32 s3, s3, s7
	s_xor_b32 s7, s9, s28
	s_mul_hi_u32 s3, s11, s3
	s_ashr_i32 s7, s7, 31
	s_mul_i32 s12, s3, s2
	s_mov_b32 s28, 0
	s_sub_i32 s11, s11, s12
	s_add_i32 s12, s3, 1
	s_sub_i32 s13, s11, s2
	s_cmp_ge_u32 s11, s2
	s_cselect_b32 s3, s12, s3
	s_cselect_b32 s11, s13, s11
	s_add_i32 s12, s3, 1
	s_cmp_ge_u32 s11, s2
	s_cselect_b32 s2, s12, s3
	s_abs_i32 s13, s6
	s_xor_b32 s2, s2, s7
	s_sub_i32 s15, s2, s7
	s_load_dwordx2 s[2:3], s[4:5], 0x40
	s_abs_i32 s12, s15
	v_cvt_f32_u32_e32 v1, s12
	s_sub_i32 s11, 0, s12
	v_rcp_iflag_f32_e32 v1, v1
	v_mul_f32_e32 v1, 0x4f7ffffe, v1
	v_cvt_u32_f32_e32 v1, v1
	v_readfirstlane_b32 s7, v1
	s_mul_i32 s11, s11, s7
	s_mul_hi_u32 s11, s7, s11
	s_add_i32 s7, s7, s11
	s_waitcnt lgkmcnt(0)
	s_cmp_eq_u64 s[2:3], 0
	s_mul_hi_u32 s14, s13, s7
	s_cbranch_scc1 .LBB266_2
; %bb.1:
	s_ashr_i32 s7, s6, 31
	s_lshl_b64 s[16:17], s[6:7], 2
	s_add_u32 s2, s2, s16
	s_addc_u32 s3, s3, s17
	s_load_dword s28, s[2:3], 0x0
.LBB266_2:
	s_load_dword s11, s[0:1], 0x0
	s_load_dwordx4 s[16:19], s[4:5], 0x48
	v_lshrrev_b32_e32 v11, 1, v0
	v_and_b32_e32 v12, 1, v0
	v_lshlrev_b32_e32 v10, 3, v0
	s_ashr_i32 s0, s6, 31
	s_ashr_i32 s1, s15, 31
	s_mulk_i32 s6, 0x60
	s_mov_b32 s2, exec_lo
	v_cmpx_gt_u32_e32 24, v0
	s_cbranch_execz .LBB266_4
; %bb.3:
	s_load_dwordx2 s[20:21], s[4:5], 0x8
	s_waitcnt lgkmcnt(0)
	s_mul_i32 s22, s16, s10
	v_lshlrev_b32_e32 v3, 3, v11
	s_ashr_i32 s23, s22, 31
	s_lshl_b64 s[22:23], s[22:23], 1
	v_mad_u32_u24 v3, 0x60, v12, v3
	s_add_u32 s3, s20, s22
	s_addc_u32 s15, s21, s23
	s_ashr_i32 s7, s6, 31
	s_lshl_b64 s[20:21], s[6:7], 1
	s_add_u32 s20, s3, s20
	s_addc_u32 s21, s15, s21
	global_load_dwordx2 v[1:2], v10, s[20:21]
	s_waitcnt vmcnt(0)
	ds_write_b64 v3, v[1:2]
.LBB266_4:
	s_or_b32 exec_lo, exec_lo, s2
	s_waitcnt lgkmcnt(0)
	s_add_i32 s2, s11, 15
	s_clause 0x1
	s_load_dwordx2 s[22:23], s[4:5], 0x28
	s_load_dword s7, s[4:5], 0x38
	s_ashr_i32 s3, s2, 31
	s_xor_b32 s0, s0, s1
	s_lshr_b32 s3, s3, 28
	s_mul_i32 s1, s14, s12
	s_add_i32 s2, s2, s3
	s_sub_i32 s1, s13, s1
	s_ashr_i32 s16, s2, 4
	s_add_i32 s2, s14, 1
	s_sub_i32 s3, s1, s12
	s_cmp_ge_u32 s1, s12
	v_lshrrev_b32_e32 v13, 5, v0
	s_cselect_b32 s2, s2, s14
	s_cselect_b32 s1, s3, s1
	s_add_i32 s3, s2, 1
	s_cmp_ge_u32 s1, s12
	v_mbcnt_lo_u32_b32 v15, -1, 0
	s_cselect_b32 s1, s3, s2
	s_mov_b32 s2, exec_lo
	s_xor_b32 s1, s1, s0
	s_waitcnt lgkmcnt(0)
	s_mul_i32 s24, s7, s10
	s_sub_i32 s1, s1, s0
	v_cmp_gt_i32_e64 s0, s16, v13
	s_ashr_i32 s25, s24, 31
	s_barrier
	buffer_gl0_inv
                                        ; implicit-def: $vgpr2
                                        ; implicit-def: $vgpr16
	v_cmpx_le_i32_e64 s16, v13
	s_xor_b32 s2, exec_lo, s2
; %bb.5:
	v_mov_b32_e32 v2, 0
	v_mbcnt_lo_u32_b32 v15, -1, 0
	v_mov_b32_e32 v16, 32
; %bb.6:
	s_or_saveexec_b32 s19, s2
	s_clause 0x3
	s_load_dwordx2 s[20:21], s[4:5], 0x0
	s_load_dwordx2 s[26:27], s[4:5], 0x18
	s_load_dword s7, s[4:5], 0x88
	s_load_dwordx4 s[12:15], s[4:5], 0x58
	v_mov_b32_e32 v17, 0xff7fffff
	v_lshrrev_b32_e32 v14, 3, v0
	s_mul_i32 s18, s1, s18
	s_xor_b32 exec_lo, exec_lo, s19
	s_cbranch_execz .LBB266_396
; %bb.7:
	s_load_dwordx2 s[2:3], s[4:5], 0x10
	v_bfe_u32 v1, v0, 1, 4
	s_ashr_i32 s4, s18, 31
	v_lshlrev_b32_e32 v4, 2, v12
	v_and_b32_e32 v5, 0x7c, v14
	v_mov_b32_e32 v2, 0
	v_lshlrev_b32_e32 v3, 2, v1
	v_lshlrev_b32_e32 v6, 4, v1
	v_lshl_or_b32 v19, v13, 4, v1
	v_mul_u32_u24_e32 v18, 0x60, v12
	v_cmp_neq_f32_e64 s1, s28, 0
	v_lshl_or_b32 v3, v13, 6, v3
	v_mov_b32_e32 v17, 0xff7fffff
	v_mov_b32_e32 v16, 32
	v_mov_b32_e32 v21, 0x80
	v_mov_b32_e32 v22, 0x7f
	v_add_nc_u32_e32 v20, 0xe0, v3
	v_mov_b32_e32 v23, 7
	v_mov_b32_e32 v24, 8
	;; [unrolled: 1-line block ×3, first 2 shown]
	s_waitcnt lgkmcnt(0)
	s_add_u32 s5, s2, s18
	s_addc_u32 s30, s3, s4
	v_add_co_u32 v1, s5, s5, v6
	v_add_co_ci_u32_e64 v6, null, s30, 0, s5
	s_lshl_b64 s[2:3], s[24:25], 2
	s_sub_i32 s4, 1, s11
	s_add_u32 s5, s22, s2
	v_add_co_u32 v3, s2, v1, v4
	s_addc_u32 s3, s23, s3
	v_add_co_ci_u32_e64 v4, null, 0, v6, s2
	v_add_co_u32 v5, s2, s5, v5
	v_add_co_ci_u32_e64 v6, null, s3, 0, s2
	s_mov_b32 s30, s17
	s_mov_b32 s5, 0
	v_cmp_eq_u32_e32 vcc_lo, 0, v12
	s_branch .LBB266_9
.LBB266_8:                              ;   in Loop: Header=BB266_9 Depth=1
	s_or_b32 exec_lo, exec_lo, s3
	v_add_nc_u32_e32 v25, 4, v25
	v_add_co_u32 v5, s3, v5, 16
	v_add_nc_u32_e32 v19, 64, v19
	v_add_nc_u32_e32 v20, 0x100, v20
	v_cmp_le_i32_e64 s2, s16, v25
	v_add_co_ci_u32_e64 v6, null, 0, v6, s3
	s_or_b32 s5, s2, s5
	s_andn2_b32 exec_lo, exec_lo, s5
	s_cbranch_execz .LBB266_395
.LBB266_9:                              ; =>This Inner Loop Header: Depth=1
	global_load_dword v1, v[5:6], off
	v_mov_b32_e32 v27, 0
	s_waitcnt vmcnt(0) lgkmcnt(0)
	v_mad_i64_i32 v[7:8], null, v1, s30, v[3:4]
	global_load_dword v9, v[7:8], off
	global_load_dword v26, v2, s[12:13]
	s_waitcnt vmcnt(1)
	v_cmp_ne_u16_sdwa s2, v9, v2 src0_sel:BYTE_0 src1_sel:DWORD
	s_and_saveexec_b32 s3, s2
	s_cbranch_execz .LBB266_17
; %bb.10:                               ;   in Loop: Header=BB266_9 Depth=1
	v_cmp_ne_u16_sdwa s2, v9, v21 src0_sel:BYTE_0 src1_sel:DWORD
	v_mov_b32_e32 v27, 0x8000
	s_and_saveexec_b32 s31, s2
	s_cbranch_execz .LBB266_16
; %bb.11:                               ;   in Loop: Header=BB266_9 Depth=1
	v_and_b32_e32 v28, 0x7f, v9
	v_mov_b32_e32 v27, 0x7c01
	s_mov_b32 s33, exec_lo
	v_cmpx_ne_u32_e32 0x7f, v28
	s_cbranch_execz .LBB266_15
; %bb.12:                               ;   in Loop: Header=BB266_9 Depth=1
	v_and_b32_e32 v1, 7, v9
	v_lshrrev_b32_e32 v27, 3, v28
	s_mov_b32 s34, exec_lo
	v_cmpx_gt_u32_e32 8, v28
; %bb.13:                               ;   in Loop: Header=BB266_9 Depth=1
	v_ffbh_u32_e32 v1, v1
	v_min_u32_e32 v1, 32, v1
	v_subrev_nc_u32_e32 v27, 28, v1
	v_lshlrev_b64 v[28:29], v27, v[9:10]
	v_sub_nc_u32_e32 v27, 29, v1
	v_and_b32_e32 v1, 7, v28
; %bb.14:                               ;   in Loop: Header=BB266_9 Depth=1
	s_or_b32 exec_lo, exec_lo, s34
	v_lshlrev_b32_e32 v28, 8, v9
	v_lshl_add_u32 v27, v27, 10, 0x2000
	v_lshlrev_b32_e32 v1, 7, v1
	v_and_b32_e32 v28, 0x8000, v28
	v_and_b32_e32 v27, 0xfc00, v27
	v_or3_b32 v27, v28, v27, v1
.LBB266_15:                             ;   in Loop: Header=BB266_9 Depth=1
	s_or_b32 exec_lo, exec_lo, s33
.LBB266_16:                             ;   in Loop: Header=BB266_9 Depth=1
	s_or_b32 exec_lo, exec_lo, s31
.LBB266_17:                             ;   in Loop: Header=BB266_9 Depth=1
	s_or_b32 exec_lo, exec_lo, s3
	v_lshrrev_b16 v1, 8, v9
	v_mov_b32_e32 v28, 0
	s_mov_b32 s3, exec_lo
	v_cmpx_ne_u16_e32 0, v1
	s_cbranch_execz .LBB266_25
; %bb.18:                               ;   in Loop: Header=BB266_9 Depth=1
	v_bfrev_b32_e32 v28, 1
	s_mov_b32 s31, exec_lo
	v_cmpx_ne_u16_e32 0x80, v1
	s_cbranch_execz .LBB266_24
; %bb.19:                               ;   in Loop: Header=BB266_9 Depth=1
	v_and_b32_sdwa v30, v1, v22 dst_sel:DWORD dst_unused:UNUSED_PAD src0_sel:WORD_0 src1_sel:DWORD
	v_mov_b32_e32 v28, 0x7c010000
	s_mov_b32 s33, exec_lo
	v_cmpx_ne_u32_e32 0x7f, v30
	s_cbranch_execz .LBB266_23
; %bb.20:                               ;   in Loop: Header=BB266_9 Depth=1
	v_and_b32_sdwa v28, v1, v23 dst_sel:DWORD dst_unused:UNUSED_PAD src0_sel:WORD_0 src1_sel:DWORD
	v_lshrrev_b32_e32 v29, 3, v30
	s_mov_b32 s34, exec_lo
	v_cmpx_gt_u32_e32 8, v30
; %bb.21:                               ;   in Loop: Header=BB266_9 Depth=1
	v_ffbh_u32_e32 v28, v28
	v_min_u32_e32 v30, 32, v28
	v_subrev_nc_u32_e32 v28, 28, v30
	v_lshlrev_b64 v[28:29], v28, v[1:2]
	v_sub_nc_u32_e32 v29, 29, v30
	v_and_b32_e32 v28, 7, v28
; %bb.22:                               ;   in Loop: Header=BB266_9 Depth=1
	s_or_b32 exec_lo, exec_lo, s34
	v_lshlrev_b32_sdwa v1, v24, v1 dst_sel:DWORD dst_unused:UNUSED_PAD src0_sel:DWORD src1_sel:WORD_0
	v_lshl_add_u32 v29, v29, 10, 0x2000
	v_lshlrev_b32_e32 v28, 23, v28
	v_and_or_b32 v1, 0x8000, v1, v29
	v_lshl_or_b32 v28, v1, 16, v28
.LBB266_23:                             ;   in Loop: Header=BB266_9 Depth=1
	s_or_b32 exec_lo, exec_lo, s33
.LBB266_24:                             ;   in Loop: Header=BB266_9 Depth=1
	s_or_b32 exec_lo, exec_lo, s31
.LBB266_25:                             ;   in Loop: Header=BB266_9 Depth=1
	s_or_b32 exec_lo, exec_lo, s3
	v_lshrrev_b32_e32 v1, 16, v9
	v_mov_b32_e32 v29, 0
	v_mov_b32_e32 v30, 0
	v_cmp_ne_u16_sdwa s2, v1, v2 src0_sel:BYTE_0 src1_sel:DWORD
	s_and_saveexec_b32 s3, s2
	s_cbranch_execz .LBB266_33
; %bb.26:                               ;   in Loop: Header=BB266_9 Depth=1
	v_cmp_ne_u16_sdwa s2, v1, v21 src0_sel:BYTE_0 src1_sel:DWORD
	v_mov_b32_e32 v30, 0x8000
	s_and_saveexec_b32 s31, s2
	s_cbranch_execz .LBB266_32
; %bb.27:                               ;   in Loop: Header=BB266_9 Depth=1
	v_bfe_u32 v32, v9, 16, 7
	v_mov_b32_e32 v30, 0x7c01
	s_mov_b32 s33, exec_lo
	v_cmpx_ne_u32_e32 0x7f, v32
	s_cbranch_execz .LBB266_31
; %bb.28:                               ;   in Loop: Header=BB266_9 Depth=1
	v_and_b32_e32 v30, 7, v1
	v_lshrrev_b32_e32 v31, 3, v32
	s_mov_b32 s34, exec_lo
	v_cmpx_gt_u32_e32 8, v32
; %bb.29:                               ;   in Loop: Header=BB266_9 Depth=1
	v_ffbh_u32_e32 v30, v30
	v_min_u32_e32 v32, 32, v30
	v_subrev_nc_u32_e32 v30, 28, v32
	v_lshlrev_b64 v[30:31], v30, v[1:2]
	v_sub_nc_u32_e32 v31, 29, v32
	v_and_b32_e32 v30, 7, v30
; %bb.30:                               ;   in Loop: Header=BB266_9 Depth=1
	s_or_b32 exec_lo, exec_lo, s34
	v_lshlrev_b32_e32 v1, 8, v1
	v_lshl_add_u32 v31, v31, 10, 0x2000
	v_lshlrev_b32_e32 v30, 7, v30
	v_and_b32_e32 v1, 0x8000, v1
	v_and_b32_e32 v31, 0xfc00, v31
	v_or3_b32 v30, v1, v31, v30
.LBB266_31:                             ;   in Loop: Header=BB266_9 Depth=1
	s_or_b32 exec_lo, exec_lo, s33
.LBB266_32:                             ;   in Loop: Header=BB266_9 Depth=1
	s_or_b32 exec_lo, exec_lo, s31
.LBB266_33:                             ;   in Loop: Header=BB266_9 Depth=1
	s_or_b32 exec_lo, exec_lo, s3
	s_mov_b32 s3, exec_lo
	v_cmpx_lt_u32_e32 0xffffff, v9
	s_cbranch_execz .LBB266_41
; %bb.34:                               ;   in Loop: Header=BB266_9 Depth=1
	v_lshrrev_b32_e32 v1, 24, v9
	v_bfrev_b32_e32 v29, 1
	s_mov_b32 s31, exec_lo
	v_cmpx_ne_u32_e32 0x80, v1
	s_cbranch_execz .LBB266_40
; %bb.35:                               ;   in Loop: Header=BB266_9 Depth=1
	v_and_b32_e32 v31, 0x7f, v1
	v_mov_b32_e32 v29, 0x7c010000
	s_mov_b32 s33, exec_lo
	v_cmpx_ne_u32_e32 0x7f, v31
	s_cbranch_execz .LBB266_39
; %bb.36:                               ;   in Loop: Header=BB266_9 Depth=1
	v_and_b32_e32 v9, 7, v1
	v_lshrrev_b32_e32 v29, 3, v31
	s_mov_b32 s34, exec_lo
	v_cmpx_gt_u32_e32 8, v31
; %bb.37:                               ;   in Loop: Header=BB266_9 Depth=1
	v_ffbh_u32_e32 v9, v9
	v_min_u32_e32 v9, 32, v9
	v_subrev_nc_u32_e32 v29, 28, v9
	v_lshlrev_b64 v[31:32], v29, v[1:2]
	v_sub_nc_u32_e32 v29, 29, v9
	v_and_b32_e32 v9, 7, v31
; %bb.38:                               ;   in Loop: Header=BB266_9 Depth=1
	s_or_b32 exec_lo, exec_lo, s34
	v_lshlrev_b32_e32 v1, 8, v1
	v_lshl_add_u32 v29, v29, 10, 0x2000
	v_lshlrev_b32_e32 v9, 23, v9
	v_and_or_b32 v1, 0x8000, v1, v29
	v_lshl_or_b32 v29, v1, 16, v9
.LBB266_39:                             ;   in Loop: Header=BB266_9 Depth=1
	s_or_b32 exec_lo, exec_lo, s33
.LBB266_40:                             ;   in Loop: Header=BB266_9 Depth=1
	s_or_b32 exec_lo, exec_lo, s31
.LBB266_41:                             ;   in Loop: Header=BB266_9 Depth=1
	s_or_b32 exec_lo, exec_lo, s3
	global_load_dword v9, v[7:8], off offset:8
	v_mov_b32_e32 v31, 0
	v_mov_b32_e32 v32, 0
	s_waitcnt vmcnt(0)
	v_cmp_ne_u16_sdwa s2, v9, v2 src0_sel:BYTE_0 src1_sel:DWORD
	s_and_saveexec_b32 s3, s2
	s_cbranch_execz .LBB266_49
; %bb.42:                               ;   in Loop: Header=BB266_9 Depth=1
	v_cmp_ne_u16_sdwa s2, v9, v21 src0_sel:BYTE_0 src1_sel:DWORD
	v_mov_b32_e32 v32, 0x8000
	s_and_saveexec_b32 s31, s2
	s_cbranch_execz .LBB266_48
; %bb.43:                               ;   in Loop: Header=BB266_9 Depth=1
	v_and_b32_e32 v33, 0x7f, v9
	v_mov_b32_e32 v32, 0x7c01
	s_mov_b32 s33, exec_lo
	v_cmpx_ne_u32_e32 0x7f, v33
	s_cbranch_execz .LBB266_47
; %bb.44:                               ;   in Loop: Header=BB266_9 Depth=1
	v_and_b32_e32 v1, 7, v9
	v_lshrrev_b32_e32 v32, 3, v33
	s_mov_b32 s34, exec_lo
	v_cmpx_gt_u32_e32 8, v33
; %bb.45:                               ;   in Loop: Header=BB266_9 Depth=1
	v_ffbh_u32_e32 v1, v1
	v_min_u32_e32 v1, 32, v1
	v_subrev_nc_u32_e32 v32, 28, v1
	v_lshlrev_b64 v[33:34], v32, v[9:10]
	v_sub_nc_u32_e32 v32, 29, v1
	v_and_b32_e32 v1, 7, v33
; %bb.46:                               ;   in Loop: Header=BB266_9 Depth=1
	s_or_b32 exec_lo, exec_lo, s34
	v_lshlrev_b32_e32 v33, 8, v9
	v_lshl_add_u32 v32, v32, 10, 0x2000
	v_lshlrev_b32_e32 v1, 7, v1
	v_and_b32_e32 v33, 0x8000, v33
	v_and_b32_e32 v32, 0xfc00, v32
	v_or3_b32 v32, v33, v32, v1
.LBB266_47:                             ;   in Loop: Header=BB266_9 Depth=1
	s_or_b32 exec_lo, exec_lo, s33
.LBB266_48:                             ;   in Loop: Header=BB266_9 Depth=1
	s_or_b32 exec_lo, exec_lo, s31
.LBB266_49:                             ;   in Loop: Header=BB266_9 Depth=1
	s_or_b32 exec_lo, exec_lo, s3
	v_lshrrev_b16 v1, 8, v9
	s_mov_b32 s3, exec_lo
	v_cmpx_ne_u16_e32 0, v1
	s_cbranch_execz .LBB266_57
; %bb.50:                               ;   in Loop: Header=BB266_9 Depth=1
	v_bfrev_b32_e32 v31, 1
	s_mov_b32 s31, exec_lo
	v_cmpx_ne_u16_e32 0x80, v1
	s_cbranch_execz .LBB266_56
; %bb.51:                               ;   in Loop: Header=BB266_9 Depth=1
	v_and_b32_sdwa v34, v1, v22 dst_sel:DWORD dst_unused:UNUSED_PAD src0_sel:WORD_0 src1_sel:DWORD
	v_mov_b32_e32 v31, 0x7c010000
	s_mov_b32 s33, exec_lo
	v_cmpx_ne_u32_e32 0x7f, v34
	s_cbranch_execz .LBB266_55
; %bb.52:                               ;   in Loop: Header=BB266_9 Depth=1
	v_and_b32_sdwa v31, v1, v23 dst_sel:DWORD dst_unused:UNUSED_PAD src0_sel:WORD_0 src1_sel:DWORD
	v_lshrrev_b32_e32 v33, 3, v34
	s_mov_b32 s34, exec_lo
	v_cmpx_gt_u32_e32 8, v34
; %bb.53:                               ;   in Loop: Header=BB266_9 Depth=1
	v_ffbh_u32_e32 v31, v31
	v_min_u32_e32 v31, 32, v31
	v_subrev_nc_u32_e32 v33, 28, v31
	v_lshlrev_b64 v[34:35], v33, v[1:2]
	v_sub_nc_u32_e32 v33, 29, v31
	v_and_b32_e32 v31, 7, v34
; %bb.54:                               ;   in Loop: Header=BB266_9 Depth=1
	s_or_b32 exec_lo, exec_lo, s34
	v_lshlrev_b32_sdwa v1, v24, v1 dst_sel:DWORD dst_unused:UNUSED_PAD src0_sel:DWORD src1_sel:WORD_0
	v_lshl_add_u32 v33, v33, 10, 0x2000
	v_lshlrev_b32_e32 v31, 23, v31
	v_and_or_b32 v1, 0x8000, v1, v33
	v_lshl_or_b32 v31, v1, 16, v31
.LBB266_55:                             ;   in Loop: Header=BB266_9 Depth=1
	s_or_b32 exec_lo, exec_lo, s33
.LBB266_56:                             ;   in Loop: Header=BB266_9 Depth=1
	s_or_b32 exec_lo, exec_lo, s31
.LBB266_57:                             ;   in Loop: Header=BB266_9 Depth=1
	s_or_b32 exec_lo, exec_lo, s3
	v_lshrrev_b32_e32 v1, 16, v9
	v_mov_b32_e32 v33, 0
	v_mov_b32_e32 v34, 0
	v_cmp_ne_u16_sdwa s2, v1, v2 src0_sel:BYTE_0 src1_sel:DWORD
	s_and_saveexec_b32 s3, s2
	s_cbranch_execz .LBB266_65
; %bb.58:                               ;   in Loop: Header=BB266_9 Depth=1
	v_cmp_ne_u16_sdwa s2, v1, v21 src0_sel:BYTE_0 src1_sel:DWORD
	v_mov_b32_e32 v34, 0x8000
	s_and_saveexec_b32 s31, s2
	s_cbranch_execz .LBB266_64
; %bb.59:                               ;   in Loop: Header=BB266_9 Depth=1
	v_bfe_u32 v36, v9, 16, 7
	v_mov_b32_e32 v34, 0x7c01
	s_mov_b32 s33, exec_lo
	v_cmpx_ne_u32_e32 0x7f, v36
	s_cbranch_execz .LBB266_63
; %bb.60:                               ;   in Loop: Header=BB266_9 Depth=1
	v_and_b32_e32 v34, 7, v1
	v_lshrrev_b32_e32 v35, 3, v36
	s_mov_b32 s34, exec_lo
	v_cmpx_gt_u32_e32 8, v36
; %bb.61:                               ;   in Loop: Header=BB266_9 Depth=1
	v_ffbh_u32_e32 v34, v34
	v_min_u32_e32 v36, 32, v34
	v_subrev_nc_u32_e32 v34, 28, v36
	v_lshlrev_b64 v[34:35], v34, v[1:2]
	v_sub_nc_u32_e32 v35, 29, v36
	v_and_b32_e32 v34, 7, v34
; %bb.62:                               ;   in Loop: Header=BB266_9 Depth=1
	s_or_b32 exec_lo, exec_lo, s34
	v_lshlrev_b32_e32 v1, 8, v1
	v_lshl_add_u32 v35, v35, 10, 0x2000
	v_lshlrev_b32_e32 v34, 7, v34
	v_and_b32_e32 v1, 0x8000, v1
	v_and_b32_e32 v35, 0xfc00, v35
	v_or3_b32 v34, v1, v35, v34
.LBB266_63:                             ;   in Loop: Header=BB266_9 Depth=1
	s_or_b32 exec_lo, exec_lo, s33
.LBB266_64:                             ;   in Loop: Header=BB266_9 Depth=1
	s_or_b32 exec_lo, exec_lo, s31
.LBB266_65:                             ;   in Loop: Header=BB266_9 Depth=1
	s_or_b32 exec_lo, exec_lo, s3
	s_mov_b32 s3, exec_lo
	v_cmpx_lt_u32_e32 0xffffff, v9
	s_cbranch_execz .LBB266_73
; %bb.66:                               ;   in Loop: Header=BB266_9 Depth=1
	v_lshrrev_b32_e32 v1, 24, v9
	v_bfrev_b32_e32 v33, 1
	s_mov_b32 s31, exec_lo
	v_cmpx_ne_u32_e32 0x80, v1
	s_cbranch_execz .LBB266_72
; %bb.67:                               ;   in Loop: Header=BB266_9 Depth=1
	v_and_b32_e32 v35, 0x7f, v1
	v_mov_b32_e32 v33, 0x7c010000
	s_mov_b32 s33, exec_lo
	v_cmpx_ne_u32_e32 0x7f, v35
	s_cbranch_execz .LBB266_71
; %bb.68:                               ;   in Loop: Header=BB266_9 Depth=1
	v_and_b32_e32 v9, 7, v1
	v_lshrrev_b32_e32 v33, 3, v35
	s_mov_b32 s34, exec_lo
	v_cmpx_gt_u32_e32 8, v35
; %bb.69:                               ;   in Loop: Header=BB266_9 Depth=1
	v_ffbh_u32_e32 v9, v9
	v_min_u32_e32 v9, 32, v9
	v_subrev_nc_u32_e32 v33, 28, v9
	v_lshlrev_b64 v[35:36], v33, v[1:2]
	v_sub_nc_u32_e32 v33, 29, v9
	v_and_b32_e32 v9, 7, v35
; %bb.70:                               ;   in Loop: Header=BB266_9 Depth=1
	s_or_b32 exec_lo, exec_lo, s34
	v_lshlrev_b32_e32 v1, 8, v1
	v_lshl_add_u32 v33, v33, 10, 0x2000
	v_lshlrev_b32_e32 v9, 23, v9
	v_and_or_b32 v1, 0x8000, v1, v33
	v_lshl_or_b32 v33, v1, 16, v9
.LBB266_71:                             ;   in Loop: Header=BB266_9 Depth=1
	s_or_b32 exec_lo, exec_lo, s33
.LBB266_72:                             ;   in Loop: Header=BB266_9 Depth=1
	s_or_b32 exec_lo, exec_lo, s31
.LBB266_73:                             ;   in Loop: Header=BB266_9 Depth=1
	s_or_b32 exec_lo, exec_lo, s3
	global_load_dword v9, v[7:8], off offset:256
	v_mov_b32_e32 v35, 0
	v_mov_b32_e32 v36, 0
	s_waitcnt vmcnt(0)
	v_cmp_ne_u16_sdwa s2, v9, v2 src0_sel:BYTE_0 src1_sel:DWORD
	s_and_saveexec_b32 s3, s2
	s_cbranch_execz .LBB266_81
; %bb.74:                               ;   in Loop: Header=BB266_9 Depth=1
	v_cmp_ne_u16_sdwa s2, v9, v21 src0_sel:BYTE_0 src1_sel:DWORD
	v_mov_b32_e32 v36, 0x8000
	s_and_saveexec_b32 s31, s2
	s_cbranch_execz .LBB266_80
; %bb.75:                               ;   in Loop: Header=BB266_9 Depth=1
	v_and_b32_e32 v37, 0x7f, v9
	v_mov_b32_e32 v36, 0x7c01
	s_mov_b32 s33, exec_lo
	v_cmpx_ne_u32_e32 0x7f, v37
	s_cbranch_execz .LBB266_79
; %bb.76:                               ;   in Loop: Header=BB266_9 Depth=1
	v_and_b32_e32 v1, 7, v9
	v_lshrrev_b32_e32 v36, 3, v37
	s_mov_b32 s34, exec_lo
	v_cmpx_gt_u32_e32 8, v37
; %bb.77:                               ;   in Loop: Header=BB266_9 Depth=1
	v_ffbh_u32_e32 v1, v1
	v_min_u32_e32 v1, 32, v1
	v_subrev_nc_u32_e32 v36, 28, v1
	v_lshlrev_b64 v[37:38], v36, v[9:10]
	v_sub_nc_u32_e32 v36, 29, v1
	v_and_b32_e32 v1, 7, v37
; %bb.78:                               ;   in Loop: Header=BB266_9 Depth=1
	s_or_b32 exec_lo, exec_lo, s34
	v_lshlrev_b32_e32 v37, 8, v9
	v_lshl_add_u32 v36, v36, 10, 0x2000
	v_lshlrev_b32_e32 v1, 7, v1
	v_and_b32_e32 v37, 0x8000, v37
	v_and_b32_e32 v36, 0xfc00, v36
	v_or3_b32 v36, v37, v36, v1
.LBB266_79:                             ;   in Loop: Header=BB266_9 Depth=1
	s_or_b32 exec_lo, exec_lo, s33
.LBB266_80:                             ;   in Loop: Header=BB266_9 Depth=1
	s_or_b32 exec_lo, exec_lo, s31
.LBB266_81:                             ;   in Loop: Header=BB266_9 Depth=1
	s_or_b32 exec_lo, exec_lo, s3
	v_lshrrev_b16 v1, 8, v9
	s_mov_b32 s3, exec_lo
	v_cmpx_ne_u16_e32 0, v1
	s_cbranch_execz .LBB266_89
; %bb.82:                               ;   in Loop: Header=BB266_9 Depth=1
	v_bfrev_b32_e32 v35, 1
	s_mov_b32 s31, exec_lo
	v_cmpx_ne_u16_e32 0x80, v1
	s_cbranch_execz .LBB266_88
; %bb.83:                               ;   in Loop: Header=BB266_9 Depth=1
	v_and_b32_sdwa v38, v1, v22 dst_sel:DWORD dst_unused:UNUSED_PAD src0_sel:WORD_0 src1_sel:DWORD
	v_mov_b32_e32 v35, 0x7c010000
	s_mov_b32 s33, exec_lo
	v_cmpx_ne_u32_e32 0x7f, v38
	s_cbranch_execz .LBB266_87
; %bb.84:                               ;   in Loop: Header=BB266_9 Depth=1
	v_and_b32_sdwa v35, v1, v23 dst_sel:DWORD dst_unused:UNUSED_PAD src0_sel:WORD_0 src1_sel:DWORD
	v_lshrrev_b32_e32 v37, 3, v38
	s_mov_b32 s34, exec_lo
	v_cmpx_gt_u32_e32 8, v38
; %bb.85:                               ;   in Loop: Header=BB266_9 Depth=1
	v_ffbh_u32_e32 v35, v35
	v_min_u32_e32 v35, 32, v35
	v_subrev_nc_u32_e32 v37, 28, v35
	v_lshlrev_b64 v[38:39], v37, v[1:2]
	v_sub_nc_u32_e32 v37, 29, v35
	v_and_b32_e32 v35, 7, v38
; %bb.86:                               ;   in Loop: Header=BB266_9 Depth=1
	s_or_b32 exec_lo, exec_lo, s34
	v_lshlrev_b32_sdwa v1, v24, v1 dst_sel:DWORD dst_unused:UNUSED_PAD src0_sel:DWORD src1_sel:WORD_0
	v_lshl_add_u32 v37, v37, 10, 0x2000
	v_lshlrev_b32_e32 v35, 23, v35
	v_and_or_b32 v1, 0x8000, v1, v37
	v_lshl_or_b32 v35, v1, 16, v35
.LBB266_87:                             ;   in Loop: Header=BB266_9 Depth=1
	s_or_b32 exec_lo, exec_lo, s33
.LBB266_88:                             ;   in Loop: Header=BB266_9 Depth=1
	s_or_b32 exec_lo, exec_lo, s31
.LBB266_89:                             ;   in Loop: Header=BB266_9 Depth=1
	s_or_b32 exec_lo, exec_lo, s3
	v_lshrrev_b32_e32 v1, 16, v9
	v_mov_b32_e32 v37, 0
	v_mov_b32_e32 v38, 0
	v_cmp_ne_u16_sdwa s2, v1, v2 src0_sel:BYTE_0 src1_sel:DWORD
	s_and_saveexec_b32 s3, s2
	s_cbranch_execz .LBB266_97
; %bb.90:                               ;   in Loop: Header=BB266_9 Depth=1
	v_cmp_ne_u16_sdwa s2, v1, v21 src0_sel:BYTE_0 src1_sel:DWORD
	v_mov_b32_e32 v38, 0x8000
	s_and_saveexec_b32 s31, s2
	s_cbranch_execz .LBB266_96
; %bb.91:                               ;   in Loop: Header=BB266_9 Depth=1
	v_bfe_u32 v40, v9, 16, 7
	v_mov_b32_e32 v38, 0x7c01
	s_mov_b32 s33, exec_lo
	v_cmpx_ne_u32_e32 0x7f, v40
	s_cbranch_execz .LBB266_95
; %bb.92:                               ;   in Loop: Header=BB266_9 Depth=1
	v_and_b32_e32 v38, 7, v1
	v_lshrrev_b32_e32 v39, 3, v40
	s_mov_b32 s34, exec_lo
	v_cmpx_gt_u32_e32 8, v40
; %bb.93:                               ;   in Loop: Header=BB266_9 Depth=1
	v_ffbh_u32_e32 v38, v38
	v_min_u32_e32 v40, 32, v38
	v_subrev_nc_u32_e32 v38, 28, v40
	v_lshlrev_b64 v[38:39], v38, v[1:2]
	v_sub_nc_u32_e32 v39, 29, v40
	v_and_b32_e32 v38, 7, v38
; %bb.94:                               ;   in Loop: Header=BB266_9 Depth=1
	s_or_b32 exec_lo, exec_lo, s34
	v_lshlrev_b32_e32 v1, 8, v1
	v_lshl_add_u32 v39, v39, 10, 0x2000
	v_lshlrev_b32_e32 v38, 7, v38
	v_and_b32_e32 v1, 0x8000, v1
	v_and_b32_e32 v39, 0xfc00, v39
	v_or3_b32 v38, v1, v39, v38
.LBB266_95:                             ;   in Loop: Header=BB266_9 Depth=1
	s_or_b32 exec_lo, exec_lo, s33
.LBB266_96:                             ;   in Loop: Header=BB266_9 Depth=1
	s_or_b32 exec_lo, exec_lo, s31
.LBB266_97:                             ;   in Loop: Header=BB266_9 Depth=1
	s_or_b32 exec_lo, exec_lo, s3
	s_mov_b32 s3, exec_lo
	v_cmpx_lt_u32_e32 0xffffff, v9
	s_cbranch_execz .LBB266_105
; %bb.98:                               ;   in Loop: Header=BB266_9 Depth=1
	v_lshrrev_b32_e32 v1, 24, v9
	v_bfrev_b32_e32 v37, 1
	s_mov_b32 s31, exec_lo
	v_cmpx_ne_u32_e32 0x80, v1
	s_cbranch_execz .LBB266_104
; %bb.99:                               ;   in Loop: Header=BB266_9 Depth=1
	v_and_b32_e32 v39, 0x7f, v1
	v_mov_b32_e32 v37, 0x7c010000
	s_mov_b32 s33, exec_lo
	v_cmpx_ne_u32_e32 0x7f, v39
	s_cbranch_execz .LBB266_103
; %bb.100:                              ;   in Loop: Header=BB266_9 Depth=1
	v_and_b32_e32 v9, 7, v1
	v_lshrrev_b32_e32 v37, 3, v39
	s_mov_b32 s34, exec_lo
	v_cmpx_gt_u32_e32 8, v39
; %bb.101:                              ;   in Loop: Header=BB266_9 Depth=1
	v_ffbh_u32_e32 v9, v9
	v_min_u32_e32 v9, 32, v9
	v_subrev_nc_u32_e32 v37, 28, v9
	v_lshlrev_b64 v[39:40], v37, v[1:2]
	v_sub_nc_u32_e32 v37, 29, v9
	v_and_b32_e32 v9, 7, v39
; %bb.102:                              ;   in Loop: Header=BB266_9 Depth=1
	s_or_b32 exec_lo, exec_lo, s34
	v_lshlrev_b32_e32 v1, 8, v1
	v_lshl_add_u32 v37, v37, 10, 0x2000
	v_lshlrev_b32_e32 v9, 23, v9
	v_and_or_b32 v1, 0x8000, v1, v37
	v_lshl_or_b32 v37, v1, 16, v9
.LBB266_103:                            ;   in Loop: Header=BB266_9 Depth=1
	s_or_b32 exec_lo, exec_lo, s33
.LBB266_104:                            ;   in Loop: Header=BB266_9 Depth=1
	s_or_b32 exec_lo, exec_lo, s31
.LBB266_105:                            ;   in Loop: Header=BB266_9 Depth=1
	s_or_b32 exec_lo, exec_lo, s3
	global_load_dword v9, v[7:8], off offset:264
	v_mov_b32_e32 v39, 0
	v_mov_b32_e32 v40, 0
	s_waitcnt vmcnt(0)
	v_cmp_ne_u16_sdwa s2, v9, v2 src0_sel:BYTE_0 src1_sel:DWORD
	s_and_saveexec_b32 s3, s2
	s_cbranch_execz .LBB266_113
; %bb.106:                              ;   in Loop: Header=BB266_9 Depth=1
	v_cmp_ne_u16_sdwa s2, v9, v21 src0_sel:BYTE_0 src1_sel:DWORD
	v_mov_b32_e32 v40, 0x8000
	s_and_saveexec_b32 s31, s2
	s_cbranch_execz .LBB266_112
; %bb.107:                              ;   in Loop: Header=BB266_9 Depth=1
	v_and_b32_e32 v41, 0x7f, v9
	v_mov_b32_e32 v40, 0x7c01
	s_mov_b32 s33, exec_lo
	v_cmpx_ne_u32_e32 0x7f, v41
	s_cbranch_execz .LBB266_111
; %bb.108:                              ;   in Loop: Header=BB266_9 Depth=1
	v_and_b32_e32 v1, 7, v9
	v_lshrrev_b32_e32 v40, 3, v41
	s_mov_b32 s34, exec_lo
	v_cmpx_gt_u32_e32 8, v41
; %bb.109:                              ;   in Loop: Header=BB266_9 Depth=1
	v_ffbh_u32_e32 v1, v1
	v_min_u32_e32 v1, 32, v1
	v_subrev_nc_u32_e32 v40, 28, v1
	v_lshlrev_b64 v[41:42], v40, v[9:10]
	v_sub_nc_u32_e32 v40, 29, v1
	v_and_b32_e32 v1, 7, v41
; %bb.110:                              ;   in Loop: Header=BB266_9 Depth=1
	s_or_b32 exec_lo, exec_lo, s34
	v_lshlrev_b32_e32 v41, 8, v9
	v_lshl_add_u32 v40, v40, 10, 0x2000
	v_lshlrev_b32_e32 v1, 7, v1
	v_and_b32_e32 v41, 0x8000, v41
	v_and_b32_e32 v40, 0xfc00, v40
	v_or3_b32 v40, v41, v40, v1
.LBB266_111:                            ;   in Loop: Header=BB266_9 Depth=1
	s_or_b32 exec_lo, exec_lo, s33
.LBB266_112:                            ;   in Loop: Header=BB266_9 Depth=1
	s_or_b32 exec_lo, exec_lo, s31
.LBB266_113:                            ;   in Loop: Header=BB266_9 Depth=1
	s_or_b32 exec_lo, exec_lo, s3
	v_lshrrev_b16 v1, 8, v9
	s_mov_b32 s3, exec_lo
	v_cmpx_ne_u16_e32 0, v1
	s_cbranch_execz .LBB266_121
; %bb.114:                              ;   in Loop: Header=BB266_9 Depth=1
	v_bfrev_b32_e32 v39, 1
	s_mov_b32 s31, exec_lo
	v_cmpx_ne_u16_e32 0x80, v1
	s_cbranch_execz .LBB266_120
; %bb.115:                              ;   in Loop: Header=BB266_9 Depth=1
	v_and_b32_sdwa v42, v1, v22 dst_sel:DWORD dst_unused:UNUSED_PAD src0_sel:WORD_0 src1_sel:DWORD
	v_mov_b32_e32 v39, 0x7c010000
	s_mov_b32 s33, exec_lo
	v_cmpx_ne_u32_e32 0x7f, v42
	s_cbranch_execz .LBB266_119
; %bb.116:                              ;   in Loop: Header=BB266_9 Depth=1
	v_and_b32_sdwa v39, v1, v23 dst_sel:DWORD dst_unused:UNUSED_PAD src0_sel:WORD_0 src1_sel:DWORD
	v_lshrrev_b32_e32 v41, 3, v42
	s_mov_b32 s34, exec_lo
	v_cmpx_gt_u32_e32 8, v42
; %bb.117:                              ;   in Loop: Header=BB266_9 Depth=1
	v_ffbh_u32_e32 v39, v39
	v_min_u32_e32 v39, 32, v39
	v_subrev_nc_u32_e32 v41, 28, v39
	v_lshlrev_b64 v[42:43], v41, v[1:2]
	v_sub_nc_u32_e32 v41, 29, v39
	v_and_b32_e32 v39, 7, v42
; %bb.118:                              ;   in Loop: Header=BB266_9 Depth=1
	s_or_b32 exec_lo, exec_lo, s34
	v_lshlrev_b32_sdwa v1, v24, v1 dst_sel:DWORD dst_unused:UNUSED_PAD src0_sel:DWORD src1_sel:WORD_0
	v_lshl_add_u32 v41, v41, 10, 0x2000
	v_lshlrev_b32_e32 v39, 23, v39
	v_and_or_b32 v1, 0x8000, v1, v41
	v_lshl_or_b32 v39, v1, 16, v39
.LBB266_119:                            ;   in Loop: Header=BB266_9 Depth=1
	s_or_b32 exec_lo, exec_lo, s33
.LBB266_120:                            ;   in Loop: Header=BB266_9 Depth=1
	s_or_b32 exec_lo, exec_lo, s31
.LBB266_121:                            ;   in Loop: Header=BB266_9 Depth=1
	s_or_b32 exec_lo, exec_lo, s3
	v_lshrrev_b32_e32 v1, 16, v9
	v_mov_b32_e32 v41, 0
	v_mov_b32_e32 v42, 0
	v_cmp_ne_u16_sdwa s2, v1, v2 src0_sel:BYTE_0 src1_sel:DWORD
	s_and_saveexec_b32 s3, s2
	s_cbranch_execz .LBB266_129
; %bb.122:                              ;   in Loop: Header=BB266_9 Depth=1
	v_cmp_ne_u16_sdwa s2, v1, v21 src0_sel:BYTE_0 src1_sel:DWORD
	v_mov_b32_e32 v42, 0x8000
	s_and_saveexec_b32 s31, s2
	s_cbranch_execz .LBB266_128
; %bb.123:                              ;   in Loop: Header=BB266_9 Depth=1
	v_bfe_u32 v44, v9, 16, 7
	v_mov_b32_e32 v42, 0x7c01
	s_mov_b32 s33, exec_lo
	v_cmpx_ne_u32_e32 0x7f, v44
	s_cbranch_execz .LBB266_127
; %bb.124:                              ;   in Loop: Header=BB266_9 Depth=1
	v_and_b32_e32 v42, 7, v1
	v_lshrrev_b32_e32 v43, 3, v44
	s_mov_b32 s34, exec_lo
	v_cmpx_gt_u32_e32 8, v44
; %bb.125:                              ;   in Loop: Header=BB266_9 Depth=1
	v_ffbh_u32_e32 v42, v42
	v_min_u32_e32 v44, 32, v42
	v_subrev_nc_u32_e32 v42, 28, v44
	v_lshlrev_b64 v[42:43], v42, v[1:2]
	v_sub_nc_u32_e32 v43, 29, v44
	v_and_b32_e32 v42, 7, v42
; %bb.126:                              ;   in Loop: Header=BB266_9 Depth=1
	s_or_b32 exec_lo, exec_lo, s34
	v_lshlrev_b32_e32 v1, 8, v1
	v_lshl_add_u32 v43, v43, 10, 0x2000
	v_lshlrev_b32_e32 v42, 7, v42
	v_and_b32_e32 v1, 0x8000, v1
	v_and_b32_e32 v43, 0xfc00, v43
	v_or3_b32 v42, v1, v43, v42
.LBB266_127:                            ;   in Loop: Header=BB266_9 Depth=1
	s_or_b32 exec_lo, exec_lo, s33
.LBB266_128:                            ;   in Loop: Header=BB266_9 Depth=1
	s_or_b32 exec_lo, exec_lo, s31
.LBB266_129:                            ;   in Loop: Header=BB266_9 Depth=1
	s_or_b32 exec_lo, exec_lo, s3
	s_mov_b32 s3, exec_lo
	v_cmpx_lt_u32_e32 0xffffff, v9
	s_cbranch_execz .LBB266_137
; %bb.130:                              ;   in Loop: Header=BB266_9 Depth=1
	v_lshrrev_b32_e32 v1, 24, v9
	v_bfrev_b32_e32 v41, 1
	s_mov_b32 s31, exec_lo
	v_cmpx_ne_u32_e32 0x80, v1
	s_cbranch_execz .LBB266_136
; %bb.131:                              ;   in Loop: Header=BB266_9 Depth=1
	v_and_b32_e32 v43, 0x7f, v1
	v_mov_b32_e32 v41, 0x7c010000
	s_mov_b32 s33, exec_lo
	v_cmpx_ne_u32_e32 0x7f, v43
	s_cbranch_execz .LBB266_135
; %bb.132:                              ;   in Loop: Header=BB266_9 Depth=1
	v_and_b32_e32 v9, 7, v1
	v_lshrrev_b32_e32 v41, 3, v43
	s_mov_b32 s34, exec_lo
	v_cmpx_gt_u32_e32 8, v43
; %bb.133:                              ;   in Loop: Header=BB266_9 Depth=1
	v_ffbh_u32_e32 v9, v9
	v_min_u32_e32 v9, 32, v9
	v_subrev_nc_u32_e32 v41, 28, v9
	v_lshlrev_b64 v[43:44], v41, v[1:2]
	v_sub_nc_u32_e32 v41, 29, v9
	v_and_b32_e32 v9, 7, v43
; %bb.134:                              ;   in Loop: Header=BB266_9 Depth=1
	s_or_b32 exec_lo, exec_lo, s34
	v_lshlrev_b32_e32 v1, 8, v1
	v_lshl_add_u32 v41, v41, 10, 0x2000
	v_lshlrev_b32_e32 v9, 23, v9
	v_and_or_b32 v1, 0x8000, v1, v41
	v_lshl_or_b32 v41, v1, 16, v9
.LBB266_135:                            ;   in Loop: Header=BB266_9 Depth=1
	s_or_b32 exec_lo, exec_lo, s33
.LBB266_136:                            ;   in Loop: Header=BB266_9 Depth=1
	s_or_b32 exec_lo, exec_lo, s31
.LBB266_137:                            ;   in Loop: Header=BB266_9 Depth=1
	s_or_b32 exec_lo, exec_lo, s3
	global_load_dword v9, v[7:8], off offset:512
	v_mov_b32_e32 v43, 0
	v_mov_b32_e32 v44, 0
	s_waitcnt vmcnt(0)
	v_cmp_ne_u16_sdwa s2, v9, v2 src0_sel:BYTE_0 src1_sel:DWORD
	s_and_saveexec_b32 s3, s2
	s_cbranch_execz .LBB266_145
; %bb.138:                              ;   in Loop: Header=BB266_9 Depth=1
	v_cmp_ne_u16_sdwa s2, v9, v21 src0_sel:BYTE_0 src1_sel:DWORD
	v_mov_b32_e32 v44, 0x8000
	s_and_saveexec_b32 s31, s2
	s_cbranch_execz .LBB266_144
; %bb.139:                              ;   in Loop: Header=BB266_9 Depth=1
	v_and_b32_e32 v45, 0x7f, v9
	v_mov_b32_e32 v44, 0x7c01
	s_mov_b32 s33, exec_lo
	v_cmpx_ne_u32_e32 0x7f, v45
	s_cbranch_execz .LBB266_143
; %bb.140:                              ;   in Loop: Header=BB266_9 Depth=1
	v_and_b32_e32 v1, 7, v9
	v_lshrrev_b32_e32 v44, 3, v45
	s_mov_b32 s34, exec_lo
	v_cmpx_gt_u32_e32 8, v45
; %bb.141:                              ;   in Loop: Header=BB266_9 Depth=1
	v_ffbh_u32_e32 v1, v1
	v_min_u32_e32 v1, 32, v1
	v_subrev_nc_u32_e32 v44, 28, v1
	v_lshlrev_b64 v[45:46], v44, v[9:10]
	v_sub_nc_u32_e32 v44, 29, v1
	v_and_b32_e32 v1, 7, v45
; %bb.142:                              ;   in Loop: Header=BB266_9 Depth=1
	s_or_b32 exec_lo, exec_lo, s34
	v_lshlrev_b32_e32 v45, 8, v9
	v_lshl_add_u32 v44, v44, 10, 0x2000
	v_lshlrev_b32_e32 v1, 7, v1
	v_and_b32_e32 v45, 0x8000, v45
	v_and_b32_e32 v44, 0xfc00, v44
	v_or3_b32 v44, v45, v44, v1
.LBB266_143:                            ;   in Loop: Header=BB266_9 Depth=1
	s_or_b32 exec_lo, exec_lo, s33
.LBB266_144:                            ;   in Loop: Header=BB266_9 Depth=1
	s_or_b32 exec_lo, exec_lo, s31
.LBB266_145:                            ;   in Loop: Header=BB266_9 Depth=1
	s_or_b32 exec_lo, exec_lo, s3
	v_lshrrev_b16 v1, 8, v9
	s_mov_b32 s3, exec_lo
	v_cmpx_ne_u16_e32 0, v1
	s_cbranch_execz .LBB266_153
; %bb.146:                              ;   in Loop: Header=BB266_9 Depth=1
	v_bfrev_b32_e32 v43, 1
	s_mov_b32 s31, exec_lo
	v_cmpx_ne_u16_e32 0x80, v1
	s_cbranch_execz .LBB266_152
; %bb.147:                              ;   in Loop: Header=BB266_9 Depth=1
	v_and_b32_sdwa v46, v1, v22 dst_sel:DWORD dst_unused:UNUSED_PAD src0_sel:WORD_0 src1_sel:DWORD
	v_mov_b32_e32 v43, 0x7c010000
	s_mov_b32 s33, exec_lo
	v_cmpx_ne_u32_e32 0x7f, v46
	s_cbranch_execz .LBB266_151
; %bb.148:                              ;   in Loop: Header=BB266_9 Depth=1
	v_and_b32_sdwa v43, v1, v23 dst_sel:DWORD dst_unused:UNUSED_PAD src0_sel:WORD_0 src1_sel:DWORD
	v_lshrrev_b32_e32 v45, 3, v46
	s_mov_b32 s34, exec_lo
	v_cmpx_gt_u32_e32 8, v46
; %bb.149:                              ;   in Loop: Header=BB266_9 Depth=1
	v_ffbh_u32_e32 v43, v43
	v_min_u32_e32 v43, 32, v43
	v_subrev_nc_u32_e32 v45, 28, v43
	v_lshlrev_b64 v[46:47], v45, v[1:2]
	v_sub_nc_u32_e32 v45, 29, v43
	v_and_b32_e32 v43, 7, v46
; %bb.150:                              ;   in Loop: Header=BB266_9 Depth=1
	s_or_b32 exec_lo, exec_lo, s34
	v_lshlrev_b32_sdwa v1, v24, v1 dst_sel:DWORD dst_unused:UNUSED_PAD src0_sel:DWORD src1_sel:WORD_0
	v_lshl_add_u32 v45, v45, 10, 0x2000
	v_lshlrev_b32_e32 v43, 23, v43
	v_and_or_b32 v1, 0x8000, v1, v45
	v_lshl_or_b32 v43, v1, 16, v43
.LBB266_151:                            ;   in Loop: Header=BB266_9 Depth=1
	s_or_b32 exec_lo, exec_lo, s33
.LBB266_152:                            ;   in Loop: Header=BB266_9 Depth=1
	s_or_b32 exec_lo, exec_lo, s31
.LBB266_153:                            ;   in Loop: Header=BB266_9 Depth=1
	s_or_b32 exec_lo, exec_lo, s3
	v_lshrrev_b32_e32 v1, 16, v9
	v_mov_b32_e32 v45, 0
	v_mov_b32_e32 v46, 0
	v_cmp_ne_u16_sdwa s2, v1, v2 src0_sel:BYTE_0 src1_sel:DWORD
	s_and_saveexec_b32 s3, s2
	s_cbranch_execz .LBB266_161
; %bb.154:                              ;   in Loop: Header=BB266_9 Depth=1
	v_cmp_ne_u16_sdwa s2, v1, v21 src0_sel:BYTE_0 src1_sel:DWORD
	v_mov_b32_e32 v46, 0x8000
	s_and_saveexec_b32 s31, s2
	s_cbranch_execz .LBB266_160
; %bb.155:                              ;   in Loop: Header=BB266_9 Depth=1
	v_bfe_u32 v48, v9, 16, 7
	v_mov_b32_e32 v46, 0x7c01
	s_mov_b32 s33, exec_lo
	v_cmpx_ne_u32_e32 0x7f, v48
	s_cbranch_execz .LBB266_159
; %bb.156:                              ;   in Loop: Header=BB266_9 Depth=1
	v_and_b32_e32 v46, 7, v1
	v_lshrrev_b32_e32 v47, 3, v48
	s_mov_b32 s34, exec_lo
	v_cmpx_gt_u32_e32 8, v48
; %bb.157:                              ;   in Loop: Header=BB266_9 Depth=1
	v_ffbh_u32_e32 v46, v46
	v_min_u32_e32 v48, 32, v46
	v_subrev_nc_u32_e32 v46, 28, v48
	v_lshlrev_b64 v[46:47], v46, v[1:2]
	v_sub_nc_u32_e32 v47, 29, v48
	v_and_b32_e32 v46, 7, v46
; %bb.158:                              ;   in Loop: Header=BB266_9 Depth=1
	s_or_b32 exec_lo, exec_lo, s34
	v_lshlrev_b32_e32 v1, 8, v1
	v_lshl_add_u32 v47, v47, 10, 0x2000
	v_lshlrev_b32_e32 v46, 7, v46
	v_and_b32_e32 v1, 0x8000, v1
	v_and_b32_e32 v47, 0xfc00, v47
	v_or3_b32 v46, v1, v47, v46
.LBB266_159:                            ;   in Loop: Header=BB266_9 Depth=1
	s_or_b32 exec_lo, exec_lo, s33
.LBB266_160:                            ;   in Loop: Header=BB266_9 Depth=1
	s_or_b32 exec_lo, exec_lo, s31
.LBB266_161:                            ;   in Loop: Header=BB266_9 Depth=1
	s_or_b32 exec_lo, exec_lo, s3
	s_mov_b32 s3, exec_lo
	v_cmpx_lt_u32_e32 0xffffff, v9
	s_cbranch_execz .LBB266_169
; %bb.162:                              ;   in Loop: Header=BB266_9 Depth=1
	v_lshrrev_b32_e32 v1, 24, v9
	v_bfrev_b32_e32 v45, 1
	s_mov_b32 s31, exec_lo
	v_cmpx_ne_u32_e32 0x80, v1
	s_cbranch_execz .LBB266_168
; %bb.163:                              ;   in Loop: Header=BB266_9 Depth=1
	v_and_b32_e32 v47, 0x7f, v1
	v_mov_b32_e32 v45, 0x7c010000
	s_mov_b32 s33, exec_lo
	v_cmpx_ne_u32_e32 0x7f, v47
	s_cbranch_execz .LBB266_167
; %bb.164:                              ;   in Loop: Header=BB266_9 Depth=1
	v_and_b32_e32 v9, 7, v1
	v_lshrrev_b32_e32 v45, 3, v47
	s_mov_b32 s34, exec_lo
	v_cmpx_gt_u32_e32 8, v47
; %bb.165:                              ;   in Loop: Header=BB266_9 Depth=1
	v_ffbh_u32_e32 v9, v9
	v_min_u32_e32 v9, 32, v9
	v_subrev_nc_u32_e32 v45, 28, v9
	v_lshlrev_b64 v[47:48], v45, v[1:2]
	v_sub_nc_u32_e32 v45, 29, v9
	v_and_b32_e32 v9, 7, v47
; %bb.166:                              ;   in Loop: Header=BB266_9 Depth=1
	s_or_b32 exec_lo, exec_lo, s34
	v_lshlrev_b32_e32 v1, 8, v1
	v_lshl_add_u32 v45, v45, 10, 0x2000
	v_lshlrev_b32_e32 v9, 23, v9
	v_and_or_b32 v1, 0x8000, v1, v45
	v_lshl_or_b32 v45, v1, 16, v9
.LBB266_167:                            ;   in Loop: Header=BB266_9 Depth=1
	s_or_b32 exec_lo, exec_lo, s33
.LBB266_168:                            ;   in Loop: Header=BB266_9 Depth=1
	s_or_b32 exec_lo, exec_lo, s31
.LBB266_169:                            ;   in Loop: Header=BB266_9 Depth=1
	s_or_b32 exec_lo, exec_lo, s3
	global_load_dword v9, v[7:8], off offset:520
	v_mov_b32_e32 v47, 0
	v_mov_b32_e32 v48, 0
	s_waitcnt vmcnt(0)
	v_cmp_ne_u16_sdwa s2, v9, v2 src0_sel:BYTE_0 src1_sel:DWORD
	s_and_saveexec_b32 s3, s2
	s_cbranch_execz .LBB266_177
; %bb.170:                              ;   in Loop: Header=BB266_9 Depth=1
	v_cmp_ne_u16_sdwa s2, v9, v21 src0_sel:BYTE_0 src1_sel:DWORD
	v_mov_b32_e32 v48, 0x8000
	s_and_saveexec_b32 s31, s2
	s_cbranch_execz .LBB266_176
; %bb.171:                              ;   in Loop: Header=BB266_9 Depth=1
	v_and_b32_e32 v49, 0x7f, v9
	v_mov_b32_e32 v48, 0x7c01
	s_mov_b32 s33, exec_lo
	v_cmpx_ne_u32_e32 0x7f, v49
	s_cbranch_execz .LBB266_175
; %bb.172:                              ;   in Loop: Header=BB266_9 Depth=1
	v_and_b32_e32 v1, 7, v9
	v_lshrrev_b32_e32 v48, 3, v49
	s_mov_b32 s34, exec_lo
	v_cmpx_gt_u32_e32 8, v49
; %bb.173:                              ;   in Loop: Header=BB266_9 Depth=1
	v_ffbh_u32_e32 v1, v1
	v_min_u32_e32 v1, 32, v1
	v_subrev_nc_u32_e32 v48, 28, v1
	v_lshlrev_b64 v[49:50], v48, v[9:10]
	v_sub_nc_u32_e32 v48, 29, v1
	v_and_b32_e32 v1, 7, v49
; %bb.174:                              ;   in Loop: Header=BB266_9 Depth=1
	s_or_b32 exec_lo, exec_lo, s34
	v_lshlrev_b32_e32 v49, 8, v9
	v_lshl_add_u32 v48, v48, 10, 0x2000
	v_lshlrev_b32_e32 v1, 7, v1
	v_and_b32_e32 v49, 0x8000, v49
	v_and_b32_e32 v48, 0xfc00, v48
	v_or3_b32 v48, v49, v48, v1
.LBB266_175:                            ;   in Loop: Header=BB266_9 Depth=1
	s_or_b32 exec_lo, exec_lo, s33
.LBB266_176:                            ;   in Loop: Header=BB266_9 Depth=1
	s_or_b32 exec_lo, exec_lo, s31
.LBB266_177:                            ;   in Loop: Header=BB266_9 Depth=1
	s_or_b32 exec_lo, exec_lo, s3
	v_lshrrev_b16 v1, 8, v9
	s_mov_b32 s3, exec_lo
	v_cmpx_ne_u16_e32 0, v1
	s_cbranch_execz .LBB266_185
; %bb.178:                              ;   in Loop: Header=BB266_9 Depth=1
	v_bfrev_b32_e32 v47, 1
	s_mov_b32 s31, exec_lo
	v_cmpx_ne_u16_e32 0x80, v1
	s_cbranch_execz .LBB266_184
; %bb.179:                              ;   in Loop: Header=BB266_9 Depth=1
	v_and_b32_sdwa v50, v1, v22 dst_sel:DWORD dst_unused:UNUSED_PAD src0_sel:WORD_0 src1_sel:DWORD
	v_mov_b32_e32 v47, 0x7c010000
	s_mov_b32 s33, exec_lo
	v_cmpx_ne_u32_e32 0x7f, v50
	s_cbranch_execz .LBB266_183
; %bb.180:                              ;   in Loop: Header=BB266_9 Depth=1
	v_and_b32_sdwa v47, v1, v23 dst_sel:DWORD dst_unused:UNUSED_PAD src0_sel:WORD_0 src1_sel:DWORD
	v_lshrrev_b32_e32 v49, 3, v50
	s_mov_b32 s34, exec_lo
	v_cmpx_gt_u32_e32 8, v50
; %bb.181:                              ;   in Loop: Header=BB266_9 Depth=1
	v_ffbh_u32_e32 v47, v47
	v_min_u32_e32 v47, 32, v47
	v_subrev_nc_u32_e32 v49, 28, v47
	v_lshlrev_b64 v[50:51], v49, v[1:2]
	v_sub_nc_u32_e32 v49, 29, v47
	v_and_b32_e32 v47, 7, v50
; %bb.182:                              ;   in Loop: Header=BB266_9 Depth=1
	s_or_b32 exec_lo, exec_lo, s34
	v_lshlrev_b32_sdwa v1, v24, v1 dst_sel:DWORD dst_unused:UNUSED_PAD src0_sel:DWORD src1_sel:WORD_0
	v_lshl_add_u32 v49, v49, 10, 0x2000
	v_lshlrev_b32_e32 v47, 23, v47
	v_and_or_b32 v1, 0x8000, v1, v49
	v_lshl_or_b32 v47, v1, 16, v47
.LBB266_183:                            ;   in Loop: Header=BB266_9 Depth=1
	s_or_b32 exec_lo, exec_lo, s33
.LBB266_184:                            ;   in Loop: Header=BB266_9 Depth=1
	s_or_b32 exec_lo, exec_lo, s31
.LBB266_185:                            ;   in Loop: Header=BB266_9 Depth=1
	s_or_b32 exec_lo, exec_lo, s3
	v_lshrrev_b32_e32 v1, 16, v9
	v_mov_b32_e32 v49, 0
	v_mov_b32_e32 v50, 0
	v_cmp_ne_u16_sdwa s2, v1, v2 src0_sel:BYTE_0 src1_sel:DWORD
	s_and_saveexec_b32 s3, s2
	s_cbranch_execz .LBB266_193
; %bb.186:                              ;   in Loop: Header=BB266_9 Depth=1
	v_cmp_ne_u16_sdwa s2, v1, v21 src0_sel:BYTE_0 src1_sel:DWORD
	v_mov_b32_e32 v50, 0x8000
	s_and_saveexec_b32 s31, s2
	s_cbranch_execz .LBB266_192
; %bb.187:                              ;   in Loop: Header=BB266_9 Depth=1
	v_bfe_u32 v52, v9, 16, 7
	v_mov_b32_e32 v50, 0x7c01
	s_mov_b32 s33, exec_lo
	v_cmpx_ne_u32_e32 0x7f, v52
	s_cbranch_execz .LBB266_191
; %bb.188:                              ;   in Loop: Header=BB266_9 Depth=1
	v_and_b32_e32 v50, 7, v1
	v_lshrrev_b32_e32 v51, 3, v52
	s_mov_b32 s34, exec_lo
	v_cmpx_gt_u32_e32 8, v52
; %bb.189:                              ;   in Loop: Header=BB266_9 Depth=1
	v_ffbh_u32_e32 v50, v50
	v_min_u32_e32 v52, 32, v50
	v_subrev_nc_u32_e32 v50, 28, v52
	v_lshlrev_b64 v[50:51], v50, v[1:2]
	v_sub_nc_u32_e32 v51, 29, v52
	v_and_b32_e32 v50, 7, v50
; %bb.190:                              ;   in Loop: Header=BB266_9 Depth=1
	s_or_b32 exec_lo, exec_lo, s34
	v_lshlrev_b32_e32 v1, 8, v1
	v_lshl_add_u32 v51, v51, 10, 0x2000
	v_lshlrev_b32_e32 v50, 7, v50
	v_and_b32_e32 v1, 0x8000, v1
	v_and_b32_e32 v51, 0xfc00, v51
	v_or3_b32 v50, v1, v51, v50
.LBB266_191:                            ;   in Loop: Header=BB266_9 Depth=1
	s_or_b32 exec_lo, exec_lo, s33
.LBB266_192:                            ;   in Loop: Header=BB266_9 Depth=1
	s_or_b32 exec_lo, exec_lo, s31
.LBB266_193:                            ;   in Loop: Header=BB266_9 Depth=1
	s_or_b32 exec_lo, exec_lo, s3
	s_mov_b32 s3, exec_lo
	v_cmpx_lt_u32_e32 0xffffff, v9
	s_cbranch_execz .LBB266_201
; %bb.194:                              ;   in Loop: Header=BB266_9 Depth=1
	v_lshrrev_b32_e32 v1, 24, v9
	v_bfrev_b32_e32 v49, 1
	s_mov_b32 s31, exec_lo
	v_cmpx_ne_u32_e32 0x80, v1
	s_cbranch_execz .LBB266_200
; %bb.195:                              ;   in Loop: Header=BB266_9 Depth=1
	v_and_b32_e32 v51, 0x7f, v1
	v_mov_b32_e32 v49, 0x7c010000
	s_mov_b32 s33, exec_lo
	v_cmpx_ne_u32_e32 0x7f, v51
	s_cbranch_execz .LBB266_199
; %bb.196:                              ;   in Loop: Header=BB266_9 Depth=1
	v_and_b32_e32 v9, 7, v1
	v_lshrrev_b32_e32 v49, 3, v51
	s_mov_b32 s34, exec_lo
	v_cmpx_gt_u32_e32 8, v51
; %bb.197:                              ;   in Loop: Header=BB266_9 Depth=1
	v_ffbh_u32_e32 v9, v9
	v_min_u32_e32 v9, 32, v9
	v_subrev_nc_u32_e32 v49, 28, v9
	v_lshlrev_b64 v[51:52], v49, v[1:2]
	v_sub_nc_u32_e32 v49, 29, v9
	v_and_b32_e32 v9, 7, v51
; %bb.198:                              ;   in Loop: Header=BB266_9 Depth=1
	s_or_b32 exec_lo, exec_lo, s34
	v_lshlrev_b32_e32 v1, 8, v1
	v_lshl_add_u32 v49, v49, 10, 0x2000
	v_lshlrev_b32_e32 v9, 23, v9
	v_and_or_b32 v1, 0x8000, v1, v49
	v_lshl_or_b32 v49, v1, 16, v9
.LBB266_199:                            ;   in Loop: Header=BB266_9 Depth=1
	s_or_b32 exec_lo, exec_lo, s33
.LBB266_200:                            ;   in Loop: Header=BB266_9 Depth=1
	s_or_b32 exec_lo, exec_lo, s31
.LBB266_201:                            ;   in Loop: Header=BB266_9 Depth=1
	s_or_b32 exec_lo, exec_lo, s3
	global_load_dword v9, v[7:8], off offset:768
	v_mov_b32_e32 v51, 0
	v_mov_b32_e32 v52, 0
	s_waitcnt vmcnt(0)
	v_cmp_ne_u16_sdwa s2, v9, v2 src0_sel:BYTE_0 src1_sel:DWORD
	s_and_saveexec_b32 s3, s2
	s_cbranch_execz .LBB266_209
; %bb.202:                              ;   in Loop: Header=BB266_9 Depth=1
	v_cmp_ne_u16_sdwa s2, v9, v21 src0_sel:BYTE_0 src1_sel:DWORD
	v_mov_b32_e32 v52, 0x8000
	s_and_saveexec_b32 s31, s2
	s_cbranch_execz .LBB266_208
; %bb.203:                              ;   in Loop: Header=BB266_9 Depth=1
	v_and_b32_e32 v53, 0x7f, v9
	v_mov_b32_e32 v52, 0x7c01
	s_mov_b32 s33, exec_lo
	v_cmpx_ne_u32_e32 0x7f, v53
	s_cbranch_execz .LBB266_207
; %bb.204:                              ;   in Loop: Header=BB266_9 Depth=1
	v_and_b32_e32 v1, 7, v9
	v_lshrrev_b32_e32 v52, 3, v53
	s_mov_b32 s34, exec_lo
	v_cmpx_gt_u32_e32 8, v53
; %bb.205:                              ;   in Loop: Header=BB266_9 Depth=1
	v_ffbh_u32_e32 v1, v1
	v_min_u32_e32 v1, 32, v1
	v_subrev_nc_u32_e32 v52, 28, v1
	v_lshlrev_b64 v[53:54], v52, v[9:10]
	v_sub_nc_u32_e32 v52, 29, v1
	v_and_b32_e32 v1, 7, v53
; %bb.206:                              ;   in Loop: Header=BB266_9 Depth=1
	s_or_b32 exec_lo, exec_lo, s34
	v_lshlrev_b32_e32 v53, 8, v9
	v_lshl_add_u32 v52, v52, 10, 0x2000
	v_lshlrev_b32_e32 v1, 7, v1
	v_and_b32_e32 v53, 0x8000, v53
	v_and_b32_e32 v52, 0xfc00, v52
	v_or3_b32 v52, v53, v52, v1
.LBB266_207:                            ;   in Loop: Header=BB266_9 Depth=1
	s_or_b32 exec_lo, exec_lo, s33
.LBB266_208:                            ;   in Loop: Header=BB266_9 Depth=1
	s_or_b32 exec_lo, exec_lo, s31
.LBB266_209:                            ;   in Loop: Header=BB266_9 Depth=1
	s_or_b32 exec_lo, exec_lo, s3
	v_lshrrev_b16 v1, 8, v9
	s_mov_b32 s3, exec_lo
	v_cmpx_ne_u16_e32 0, v1
	s_cbranch_execz .LBB266_217
; %bb.210:                              ;   in Loop: Header=BB266_9 Depth=1
	v_bfrev_b32_e32 v51, 1
	s_mov_b32 s31, exec_lo
	v_cmpx_ne_u16_e32 0x80, v1
	s_cbranch_execz .LBB266_216
; %bb.211:                              ;   in Loop: Header=BB266_9 Depth=1
	v_and_b32_sdwa v54, v1, v22 dst_sel:DWORD dst_unused:UNUSED_PAD src0_sel:WORD_0 src1_sel:DWORD
	v_mov_b32_e32 v51, 0x7c010000
	s_mov_b32 s33, exec_lo
	v_cmpx_ne_u32_e32 0x7f, v54
	s_cbranch_execz .LBB266_215
; %bb.212:                              ;   in Loop: Header=BB266_9 Depth=1
	v_and_b32_sdwa v51, v1, v23 dst_sel:DWORD dst_unused:UNUSED_PAD src0_sel:WORD_0 src1_sel:DWORD
	v_lshrrev_b32_e32 v53, 3, v54
	s_mov_b32 s34, exec_lo
	v_cmpx_gt_u32_e32 8, v54
; %bb.213:                              ;   in Loop: Header=BB266_9 Depth=1
	v_ffbh_u32_e32 v51, v51
	v_min_u32_e32 v51, 32, v51
	v_subrev_nc_u32_e32 v53, 28, v51
	v_lshlrev_b64 v[54:55], v53, v[1:2]
	v_sub_nc_u32_e32 v53, 29, v51
	v_and_b32_e32 v51, 7, v54
; %bb.214:                              ;   in Loop: Header=BB266_9 Depth=1
	s_or_b32 exec_lo, exec_lo, s34
	v_lshlrev_b32_sdwa v1, v24, v1 dst_sel:DWORD dst_unused:UNUSED_PAD src0_sel:DWORD src1_sel:WORD_0
	v_lshl_add_u32 v53, v53, 10, 0x2000
	v_lshlrev_b32_e32 v51, 23, v51
	v_and_or_b32 v1, 0x8000, v1, v53
	v_lshl_or_b32 v51, v1, 16, v51
.LBB266_215:                            ;   in Loop: Header=BB266_9 Depth=1
	s_or_b32 exec_lo, exec_lo, s33
.LBB266_216:                            ;   in Loop: Header=BB266_9 Depth=1
	s_or_b32 exec_lo, exec_lo, s31
.LBB266_217:                            ;   in Loop: Header=BB266_9 Depth=1
	s_or_b32 exec_lo, exec_lo, s3
	v_lshrrev_b32_e32 v1, 16, v9
	v_mov_b32_e32 v53, 0
	v_mov_b32_e32 v54, 0
	v_cmp_ne_u16_sdwa s2, v1, v2 src0_sel:BYTE_0 src1_sel:DWORD
	s_and_saveexec_b32 s3, s2
	s_cbranch_execz .LBB266_225
; %bb.218:                              ;   in Loop: Header=BB266_9 Depth=1
	v_cmp_ne_u16_sdwa s2, v1, v21 src0_sel:BYTE_0 src1_sel:DWORD
	v_mov_b32_e32 v54, 0x8000
	s_and_saveexec_b32 s31, s2
	s_cbranch_execz .LBB266_224
; %bb.219:                              ;   in Loop: Header=BB266_9 Depth=1
	v_bfe_u32 v56, v9, 16, 7
	v_mov_b32_e32 v54, 0x7c01
	s_mov_b32 s33, exec_lo
	v_cmpx_ne_u32_e32 0x7f, v56
	s_cbranch_execz .LBB266_223
; %bb.220:                              ;   in Loop: Header=BB266_9 Depth=1
	v_and_b32_e32 v54, 7, v1
	v_lshrrev_b32_e32 v55, 3, v56
	s_mov_b32 s34, exec_lo
	v_cmpx_gt_u32_e32 8, v56
; %bb.221:                              ;   in Loop: Header=BB266_9 Depth=1
	v_ffbh_u32_e32 v54, v54
	v_min_u32_e32 v56, 32, v54
	v_subrev_nc_u32_e32 v54, 28, v56
	v_lshlrev_b64 v[54:55], v54, v[1:2]
	v_sub_nc_u32_e32 v55, 29, v56
	v_and_b32_e32 v54, 7, v54
; %bb.222:                              ;   in Loop: Header=BB266_9 Depth=1
	s_or_b32 exec_lo, exec_lo, s34
	v_lshlrev_b32_e32 v1, 8, v1
	v_lshl_add_u32 v55, v55, 10, 0x2000
	v_lshlrev_b32_e32 v54, 7, v54
	v_and_b32_e32 v1, 0x8000, v1
	v_and_b32_e32 v55, 0xfc00, v55
	v_or3_b32 v54, v1, v55, v54
.LBB266_223:                            ;   in Loop: Header=BB266_9 Depth=1
	s_or_b32 exec_lo, exec_lo, s33
.LBB266_224:                            ;   in Loop: Header=BB266_9 Depth=1
	s_or_b32 exec_lo, exec_lo, s31
.LBB266_225:                            ;   in Loop: Header=BB266_9 Depth=1
	s_or_b32 exec_lo, exec_lo, s3
	s_mov_b32 s3, exec_lo
	v_cmpx_lt_u32_e32 0xffffff, v9
	s_cbranch_execz .LBB266_233
; %bb.226:                              ;   in Loop: Header=BB266_9 Depth=1
	v_lshrrev_b32_e32 v1, 24, v9
	v_bfrev_b32_e32 v53, 1
	s_mov_b32 s31, exec_lo
	v_cmpx_ne_u32_e32 0x80, v1
	s_cbranch_execz .LBB266_232
; %bb.227:                              ;   in Loop: Header=BB266_9 Depth=1
	v_and_b32_e32 v55, 0x7f, v1
	v_mov_b32_e32 v53, 0x7c010000
	s_mov_b32 s33, exec_lo
	v_cmpx_ne_u32_e32 0x7f, v55
	s_cbranch_execz .LBB266_231
; %bb.228:                              ;   in Loop: Header=BB266_9 Depth=1
	v_and_b32_e32 v9, 7, v1
	v_lshrrev_b32_e32 v53, 3, v55
	s_mov_b32 s34, exec_lo
	v_cmpx_gt_u32_e32 8, v55
; %bb.229:                              ;   in Loop: Header=BB266_9 Depth=1
	v_ffbh_u32_e32 v9, v9
	v_min_u32_e32 v9, 32, v9
	v_subrev_nc_u32_e32 v53, 28, v9
	v_lshlrev_b64 v[55:56], v53, v[1:2]
	v_sub_nc_u32_e32 v53, 29, v9
	v_and_b32_e32 v9, 7, v55
; %bb.230:                              ;   in Loop: Header=BB266_9 Depth=1
	s_or_b32 exec_lo, exec_lo, s34
	v_lshlrev_b32_e32 v1, 8, v1
	v_lshl_add_u32 v53, v53, 10, 0x2000
	v_lshlrev_b32_e32 v9, 23, v9
	v_and_or_b32 v1, 0x8000, v1, v53
	v_lshl_or_b32 v53, v1, 16, v9
.LBB266_231:                            ;   in Loop: Header=BB266_9 Depth=1
	s_or_b32 exec_lo, exec_lo, s33
.LBB266_232:                            ;   in Loop: Header=BB266_9 Depth=1
	s_or_b32 exec_lo, exec_lo, s31
.LBB266_233:                            ;   in Loop: Header=BB266_9 Depth=1
	s_or_b32 exec_lo, exec_lo, s3
	global_load_dword v9, v[7:8], off offset:776
	v_mov_b32_e32 v55, 0
	v_mov_b32_e32 v56, 0
	s_waitcnt vmcnt(0)
	v_cmp_ne_u16_sdwa s2, v9, v2 src0_sel:BYTE_0 src1_sel:DWORD
	s_and_saveexec_b32 s3, s2
	s_cbranch_execz .LBB266_241
; %bb.234:                              ;   in Loop: Header=BB266_9 Depth=1
	v_cmp_ne_u16_sdwa s2, v9, v21 src0_sel:BYTE_0 src1_sel:DWORD
	v_mov_b32_e32 v56, 0x8000
	s_and_saveexec_b32 s31, s2
	s_cbranch_execz .LBB266_240
; %bb.235:                              ;   in Loop: Header=BB266_9 Depth=1
	v_and_b32_e32 v57, 0x7f, v9
	v_mov_b32_e32 v56, 0x7c01
	s_mov_b32 s33, exec_lo
	v_cmpx_ne_u32_e32 0x7f, v57
	s_cbranch_execz .LBB266_239
; %bb.236:                              ;   in Loop: Header=BB266_9 Depth=1
	v_and_b32_e32 v1, 7, v9
	v_lshrrev_b32_e32 v56, 3, v57
	s_mov_b32 s34, exec_lo
	v_cmpx_gt_u32_e32 8, v57
; %bb.237:                              ;   in Loop: Header=BB266_9 Depth=1
	v_ffbh_u32_e32 v1, v1
	v_min_u32_e32 v1, 32, v1
	v_subrev_nc_u32_e32 v56, 28, v1
	v_lshlrev_b64 v[57:58], v56, v[9:10]
	v_sub_nc_u32_e32 v56, 29, v1
	v_and_b32_e32 v1, 7, v57
; %bb.238:                              ;   in Loop: Header=BB266_9 Depth=1
	s_or_b32 exec_lo, exec_lo, s34
	v_lshlrev_b32_e32 v57, 8, v9
	v_lshl_add_u32 v56, v56, 10, 0x2000
	v_lshlrev_b32_e32 v1, 7, v1
	v_and_b32_e32 v57, 0x8000, v57
	v_and_b32_e32 v56, 0xfc00, v56
	v_or3_b32 v56, v57, v56, v1
.LBB266_239:                            ;   in Loop: Header=BB266_9 Depth=1
	s_or_b32 exec_lo, exec_lo, s33
.LBB266_240:                            ;   in Loop: Header=BB266_9 Depth=1
	s_or_b32 exec_lo, exec_lo, s31
.LBB266_241:                            ;   in Loop: Header=BB266_9 Depth=1
	s_or_b32 exec_lo, exec_lo, s3
	v_lshrrev_b16 v1, 8, v9
	s_mov_b32 s3, exec_lo
	v_cmpx_ne_u16_e32 0, v1
	s_cbranch_execz .LBB266_249
; %bb.242:                              ;   in Loop: Header=BB266_9 Depth=1
	v_bfrev_b32_e32 v55, 1
	s_mov_b32 s31, exec_lo
	v_cmpx_ne_u16_e32 0x80, v1
	s_cbranch_execz .LBB266_248
; %bb.243:                              ;   in Loop: Header=BB266_9 Depth=1
	v_and_b32_sdwa v58, v1, v22 dst_sel:DWORD dst_unused:UNUSED_PAD src0_sel:WORD_0 src1_sel:DWORD
	v_mov_b32_e32 v55, 0x7c010000
	s_mov_b32 s33, exec_lo
	v_cmpx_ne_u32_e32 0x7f, v58
	s_cbranch_execz .LBB266_247
; %bb.244:                              ;   in Loop: Header=BB266_9 Depth=1
	v_and_b32_sdwa v55, v1, v23 dst_sel:DWORD dst_unused:UNUSED_PAD src0_sel:WORD_0 src1_sel:DWORD
	v_lshrrev_b32_e32 v57, 3, v58
	s_mov_b32 s34, exec_lo
	v_cmpx_gt_u32_e32 8, v58
; %bb.245:                              ;   in Loop: Header=BB266_9 Depth=1
	v_ffbh_u32_e32 v55, v55
	v_min_u32_e32 v55, 32, v55
	v_subrev_nc_u32_e32 v57, 28, v55
	v_lshlrev_b64 v[58:59], v57, v[1:2]
	v_sub_nc_u32_e32 v57, 29, v55
	v_and_b32_e32 v55, 7, v58
; %bb.246:                              ;   in Loop: Header=BB266_9 Depth=1
	s_or_b32 exec_lo, exec_lo, s34
	v_lshlrev_b32_sdwa v1, v24, v1 dst_sel:DWORD dst_unused:UNUSED_PAD src0_sel:DWORD src1_sel:WORD_0
	v_lshl_add_u32 v57, v57, 10, 0x2000
	v_lshlrev_b32_e32 v55, 23, v55
	v_and_or_b32 v1, 0x8000, v1, v57
	v_lshl_or_b32 v55, v1, 16, v55
.LBB266_247:                            ;   in Loop: Header=BB266_9 Depth=1
	s_or_b32 exec_lo, exec_lo, s33
.LBB266_248:                            ;   in Loop: Header=BB266_9 Depth=1
	s_or_b32 exec_lo, exec_lo, s31
.LBB266_249:                            ;   in Loop: Header=BB266_9 Depth=1
	s_or_b32 exec_lo, exec_lo, s3
	v_lshrrev_b32_e32 v1, 16, v9
	v_mov_b32_e32 v57, 0
	v_mov_b32_e32 v58, 0
	v_cmp_ne_u16_sdwa s2, v1, v2 src0_sel:BYTE_0 src1_sel:DWORD
	s_and_saveexec_b32 s3, s2
	s_cbranch_execz .LBB266_257
; %bb.250:                              ;   in Loop: Header=BB266_9 Depth=1
	v_cmp_ne_u16_sdwa s2, v1, v21 src0_sel:BYTE_0 src1_sel:DWORD
	v_mov_b32_e32 v58, 0x8000
	s_and_saveexec_b32 s31, s2
	s_cbranch_execz .LBB266_256
; %bb.251:                              ;   in Loop: Header=BB266_9 Depth=1
	v_bfe_u32 v60, v9, 16, 7
	v_mov_b32_e32 v58, 0x7c01
	s_mov_b32 s33, exec_lo
	v_cmpx_ne_u32_e32 0x7f, v60
	s_cbranch_execz .LBB266_255
; %bb.252:                              ;   in Loop: Header=BB266_9 Depth=1
	v_and_b32_e32 v58, 7, v1
	v_lshrrev_b32_e32 v59, 3, v60
	s_mov_b32 s34, exec_lo
	v_cmpx_gt_u32_e32 8, v60
; %bb.253:                              ;   in Loop: Header=BB266_9 Depth=1
	v_ffbh_u32_e32 v58, v58
	v_min_u32_e32 v60, 32, v58
	v_subrev_nc_u32_e32 v58, 28, v60
	v_lshlrev_b64 v[58:59], v58, v[1:2]
	v_sub_nc_u32_e32 v59, 29, v60
	v_and_b32_e32 v58, 7, v58
; %bb.254:                              ;   in Loop: Header=BB266_9 Depth=1
	s_or_b32 exec_lo, exec_lo, s34
	v_lshlrev_b32_e32 v1, 8, v1
	v_lshl_add_u32 v59, v59, 10, 0x2000
	v_lshlrev_b32_e32 v58, 7, v58
	v_and_b32_e32 v1, 0x8000, v1
	v_and_b32_e32 v59, 0xfc00, v59
	v_or3_b32 v58, v1, v59, v58
.LBB266_255:                            ;   in Loop: Header=BB266_9 Depth=1
	s_or_b32 exec_lo, exec_lo, s33
.LBB266_256:                            ;   in Loop: Header=BB266_9 Depth=1
	s_or_b32 exec_lo, exec_lo, s31
.LBB266_257:                            ;   in Loop: Header=BB266_9 Depth=1
	s_or_b32 exec_lo, exec_lo, s3
	s_mov_b32 s3, exec_lo
	v_cmpx_lt_u32_e32 0xffffff, v9
	s_cbranch_execz .LBB266_265
; %bb.258:                              ;   in Loop: Header=BB266_9 Depth=1
	v_lshrrev_b32_e32 v1, 24, v9
	v_bfrev_b32_e32 v57, 1
	s_mov_b32 s31, exec_lo
	v_cmpx_ne_u32_e32 0x80, v1
	s_cbranch_execz .LBB266_264
; %bb.259:                              ;   in Loop: Header=BB266_9 Depth=1
	v_and_b32_e32 v59, 0x7f, v1
	v_mov_b32_e32 v57, 0x7c010000
	s_mov_b32 s33, exec_lo
	v_cmpx_ne_u32_e32 0x7f, v59
	s_cbranch_execz .LBB266_263
; %bb.260:                              ;   in Loop: Header=BB266_9 Depth=1
	v_and_b32_e32 v9, 7, v1
	v_lshrrev_b32_e32 v57, 3, v59
	s_mov_b32 s34, exec_lo
	v_cmpx_gt_u32_e32 8, v59
; %bb.261:                              ;   in Loop: Header=BB266_9 Depth=1
	v_ffbh_u32_e32 v9, v9
	v_min_u32_e32 v9, 32, v9
	v_subrev_nc_u32_e32 v57, 28, v9
	v_lshlrev_b64 v[59:60], v57, v[1:2]
	v_sub_nc_u32_e32 v57, 29, v9
	v_and_b32_e32 v9, 7, v59
; %bb.262:                              ;   in Loop: Header=BB266_9 Depth=1
	s_or_b32 exec_lo, exec_lo, s34
	v_lshlrev_b32_e32 v1, 8, v1
	v_lshl_add_u32 v57, v57, 10, 0x2000
	v_lshlrev_b32_e32 v9, 23, v9
	v_and_or_b32 v1, 0x8000, v1, v57
	v_lshl_or_b32 v57, v1, 16, v9
.LBB266_263:                            ;   in Loop: Header=BB266_9 Depth=1
	s_or_b32 exec_lo, exec_lo, s33
.LBB266_264:                            ;   in Loop: Header=BB266_9 Depth=1
	s_or_b32 exec_lo, exec_lo, s31
.LBB266_265:                            ;   in Loop: Header=BB266_9 Depth=1
	s_or_b32 exec_lo, exec_lo, s3
	global_load_dword v9, v[7:8], off offset:1024
	v_mov_b32_e32 v59, 0
	v_mov_b32_e32 v60, 0
	s_waitcnt vmcnt(0)
	v_cmp_ne_u16_sdwa s2, v9, v2 src0_sel:BYTE_0 src1_sel:DWORD
	s_and_saveexec_b32 s3, s2
	s_cbranch_execz .LBB266_273
; %bb.266:                              ;   in Loop: Header=BB266_9 Depth=1
	v_cmp_ne_u16_sdwa s2, v9, v21 src0_sel:BYTE_0 src1_sel:DWORD
	v_mov_b32_e32 v60, 0x8000
	s_and_saveexec_b32 s31, s2
	s_cbranch_execz .LBB266_272
; %bb.267:                              ;   in Loop: Header=BB266_9 Depth=1
	v_and_b32_e32 v61, 0x7f, v9
	v_mov_b32_e32 v60, 0x7c01
	s_mov_b32 s33, exec_lo
	v_cmpx_ne_u32_e32 0x7f, v61
	s_cbranch_execz .LBB266_271
; %bb.268:                              ;   in Loop: Header=BB266_9 Depth=1
	v_and_b32_e32 v1, 7, v9
	v_lshrrev_b32_e32 v60, 3, v61
	s_mov_b32 s34, exec_lo
	v_cmpx_gt_u32_e32 8, v61
; %bb.269:                              ;   in Loop: Header=BB266_9 Depth=1
	v_ffbh_u32_e32 v1, v1
	v_min_u32_e32 v1, 32, v1
	v_subrev_nc_u32_e32 v60, 28, v1
	v_lshlrev_b64 v[61:62], v60, v[9:10]
	v_sub_nc_u32_e32 v60, 29, v1
	v_and_b32_e32 v1, 7, v61
; %bb.270:                              ;   in Loop: Header=BB266_9 Depth=1
	s_or_b32 exec_lo, exec_lo, s34
	v_lshlrev_b32_e32 v61, 8, v9
	v_lshl_add_u32 v60, v60, 10, 0x2000
	v_lshlrev_b32_e32 v1, 7, v1
	v_and_b32_e32 v61, 0x8000, v61
	v_and_b32_e32 v60, 0xfc00, v60
	v_or3_b32 v60, v61, v60, v1
.LBB266_271:                            ;   in Loop: Header=BB266_9 Depth=1
	s_or_b32 exec_lo, exec_lo, s33
.LBB266_272:                            ;   in Loop: Header=BB266_9 Depth=1
	s_or_b32 exec_lo, exec_lo, s31
.LBB266_273:                            ;   in Loop: Header=BB266_9 Depth=1
	s_or_b32 exec_lo, exec_lo, s3
	v_lshrrev_b16 v1, 8, v9
	s_mov_b32 s3, exec_lo
	v_cmpx_ne_u16_e32 0, v1
	s_cbranch_execz .LBB266_281
; %bb.274:                              ;   in Loop: Header=BB266_9 Depth=1
	v_bfrev_b32_e32 v59, 1
	s_mov_b32 s31, exec_lo
	v_cmpx_ne_u16_e32 0x80, v1
	s_cbranch_execz .LBB266_280
; %bb.275:                              ;   in Loop: Header=BB266_9 Depth=1
	v_and_b32_sdwa v62, v1, v22 dst_sel:DWORD dst_unused:UNUSED_PAD src0_sel:WORD_0 src1_sel:DWORD
	v_mov_b32_e32 v59, 0x7c010000
	s_mov_b32 s33, exec_lo
	v_cmpx_ne_u32_e32 0x7f, v62
	s_cbranch_execz .LBB266_279
; %bb.276:                              ;   in Loop: Header=BB266_9 Depth=1
	v_and_b32_sdwa v59, v1, v23 dst_sel:DWORD dst_unused:UNUSED_PAD src0_sel:WORD_0 src1_sel:DWORD
	v_lshrrev_b32_e32 v61, 3, v62
	s_mov_b32 s34, exec_lo
	v_cmpx_gt_u32_e32 8, v62
; %bb.277:                              ;   in Loop: Header=BB266_9 Depth=1
	v_ffbh_u32_e32 v59, v59
	v_min_u32_e32 v59, 32, v59
	v_subrev_nc_u32_e32 v61, 28, v59
	v_lshlrev_b64 v[62:63], v61, v[1:2]
	v_sub_nc_u32_e32 v61, 29, v59
	v_and_b32_e32 v59, 7, v62
; %bb.278:                              ;   in Loop: Header=BB266_9 Depth=1
	s_or_b32 exec_lo, exec_lo, s34
	v_lshlrev_b32_sdwa v1, v24, v1 dst_sel:DWORD dst_unused:UNUSED_PAD src0_sel:DWORD src1_sel:WORD_0
	v_lshl_add_u32 v61, v61, 10, 0x2000
	v_lshlrev_b32_e32 v59, 23, v59
	v_and_or_b32 v1, 0x8000, v1, v61
	v_lshl_or_b32 v59, v1, 16, v59
.LBB266_279:                            ;   in Loop: Header=BB266_9 Depth=1
	s_or_b32 exec_lo, exec_lo, s33
.LBB266_280:                            ;   in Loop: Header=BB266_9 Depth=1
	s_or_b32 exec_lo, exec_lo, s31
.LBB266_281:                            ;   in Loop: Header=BB266_9 Depth=1
	s_or_b32 exec_lo, exec_lo, s3
	v_lshrrev_b32_e32 v1, 16, v9
	v_mov_b32_e32 v61, 0
	v_mov_b32_e32 v62, 0
	v_cmp_ne_u16_sdwa s2, v1, v2 src0_sel:BYTE_0 src1_sel:DWORD
	s_and_saveexec_b32 s3, s2
	s_cbranch_execz .LBB266_289
; %bb.282:                              ;   in Loop: Header=BB266_9 Depth=1
	v_cmp_ne_u16_sdwa s2, v1, v21 src0_sel:BYTE_0 src1_sel:DWORD
	v_mov_b32_e32 v62, 0x8000
	s_and_saveexec_b32 s31, s2
	s_cbranch_execz .LBB266_288
; %bb.283:                              ;   in Loop: Header=BB266_9 Depth=1
	v_bfe_u32 v64, v9, 16, 7
	v_mov_b32_e32 v62, 0x7c01
	s_mov_b32 s33, exec_lo
	v_cmpx_ne_u32_e32 0x7f, v64
	s_cbranch_execz .LBB266_287
; %bb.284:                              ;   in Loop: Header=BB266_9 Depth=1
	v_and_b32_e32 v62, 7, v1
	v_lshrrev_b32_e32 v63, 3, v64
	s_mov_b32 s34, exec_lo
	v_cmpx_gt_u32_e32 8, v64
; %bb.285:                              ;   in Loop: Header=BB266_9 Depth=1
	v_ffbh_u32_e32 v62, v62
	v_min_u32_e32 v64, 32, v62
	v_subrev_nc_u32_e32 v62, 28, v64
	v_lshlrev_b64 v[62:63], v62, v[1:2]
	v_sub_nc_u32_e32 v63, 29, v64
	v_and_b32_e32 v62, 7, v62
; %bb.286:                              ;   in Loop: Header=BB266_9 Depth=1
	s_or_b32 exec_lo, exec_lo, s34
	v_lshlrev_b32_e32 v1, 8, v1
	v_lshl_add_u32 v63, v63, 10, 0x2000
	v_lshlrev_b32_e32 v62, 7, v62
	v_and_b32_e32 v1, 0x8000, v1
	v_and_b32_e32 v63, 0xfc00, v63
	v_or3_b32 v62, v1, v63, v62
.LBB266_287:                            ;   in Loop: Header=BB266_9 Depth=1
	s_or_b32 exec_lo, exec_lo, s33
.LBB266_288:                            ;   in Loop: Header=BB266_9 Depth=1
	s_or_b32 exec_lo, exec_lo, s31
.LBB266_289:                            ;   in Loop: Header=BB266_9 Depth=1
	s_or_b32 exec_lo, exec_lo, s3
	s_mov_b32 s3, exec_lo
	v_cmpx_lt_u32_e32 0xffffff, v9
	s_cbranch_execz .LBB266_297
; %bb.290:                              ;   in Loop: Header=BB266_9 Depth=1
	v_lshrrev_b32_e32 v1, 24, v9
	v_bfrev_b32_e32 v61, 1
	s_mov_b32 s31, exec_lo
	v_cmpx_ne_u32_e32 0x80, v1
	s_cbranch_execz .LBB266_296
; %bb.291:                              ;   in Loop: Header=BB266_9 Depth=1
	v_and_b32_e32 v63, 0x7f, v1
	v_mov_b32_e32 v61, 0x7c010000
	s_mov_b32 s33, exec_lo
	v_cmpx_ne_u32_e32 0x7f, v63
	s_cbranch_execz .LBB266_295
; %bb.292:                              ;   in Loop: Header=BB266_9 Depth=1
	v_and_b32_e32 v9, 7, v1
	v_lshrrev_b32_e32 v61, 3, v63
	s_mov_b32 s34, exec_lo
	v_cmpx_gt_u32_e32 8, v63
; %bb.293:                              ;   in Loop: Header=BB266_9 Depth=1
	v_ffbh_u32_e32 v9, v9
	v_min_u32_e32 v9, 32, v9
	v_subrev_nc_u32_e32 v61, 28, v9
	v_lshlrev_b64 v[63:64], v61, v[1:2]
	v_sub_nc_u32_e32 v61, 29, v9
	v_and_b32_e32 v9, 7, v63
; %bb.294:                              ;   in Loop: Header=BB266_9 Depth=1
	s_or_b32 exec_lo, exec_lo, s34
	v_lshlrev_b32_e32 v1, 8, v1
	v_lshl_add_u32 v61, v61, 10, 0x2000
	v_lshlrev_b32_e32 v9, 23, v9
	v_and_or_b32 v1, 0x8000, v1, v61
	v_lshl_or_b32 v61, v1, 16, v9
.LBB266_295:                            ;   in Loop: Header=BB266_9 Depth=1
	s_or_b32 exec_lo, exec_lo, s33
.LBB266_296:                            ;   in Loop: Header=BB266_9 Depth=1
	s_or_b32 exec_lo, exec_lo, s31
.LBB266_297:                            ;   in Loop: Header=BB266_9 Depth=1
	s_or_b32 exec_lo, exec_lo, s3
	global_load_dword v9, v[7:8], off offset:1032
	v_mov_b32_e32 v63, 0
	v_mov_b32_e32 v64, 0
	s_waitcnt vmcnt(0)
	v_cmp_ne_u16_sdwa s2, v9, v2 src0_sel:BYTE_0 src1_sel:DWORD
	s_and_saveexec_b32 s3, s2
	s_cbranch_execz .LBB266_305
; %bb.298:                              ;   in Loop: Header=BB266_9 Depth=1
	v_cmp_ne_u16_sdwa s2, v9, v21 src0_sel:BYTE_0 src1_sel:DWORD
	v_mov_b32_e32 v64, 0x8000
	s_and_saveexec_b32 s31, s2
	s_cbranch_execz .LBB266_304
; %bb.299:                              ;   in Loop: Header=BB266_9 Depth=1
	v_and_b32_e32 v65, 0x7f, v9
	v_mov_b32_e32 v64, 0x7c01
	s_mov_b32 s33, exec_lo
	v_cmpx_ne_u32_e32 0x7f, v65
	s_cbranch_execz .LBB266_303
; %bb.300:                              ;   in Loop: Header=BB266_9 Depth=1
	v_and_b32_e32 v1, 7, v9
	v_lshrrev_b32_e32 v64, 3, v65
	s_mov_b32 s34, exec_lo
	v_cmpx_gt_u32_e32 8, v65
; %bb.301:                              ;   in Loop: Header=BB266_9 Depth=1
	v_ffbh_u32_e32 v1, v1
	v_min_u32_e32 v1, 32, v1
	v_subrev_nc_u32_e32 v64, 28, v1
	v_lshlrev_b64 v[65:66], v64, v[9:10]
	v_sub_nc_u32_e32 v64, 29, v1
	v_and_b32_e32 v1, 7, v65
; %bb.302:                              ;   in Loop: Header=BB266_9 Depth=1
	s_or_b32 exec_lo, exec_lo, s34
	v_lshlrev_b32_e32 v65, 8, v9
	v_lshl_add_u32 v64, v64, 10, 0x2000
	v_lshlrev_b32_e32 v1, 7, v1
	v_and_b32_e32 v65, 0x8000, v65
	v_and_b32_e32 v64, 0xfc00, v64
	v_or3_b32 v64, v65, v64, v1
.LBB266_303:                            ;   in Loop: Header=BB266_9 Depth=1
	s_or_b32 exec_lo, exec_lo, s33
.LBB266_304:                            ;   in Loop: Header=BB266_9 Depth=1
	s_or_b32 exec_lo, exec_lo, s31
.LBB266_305:                            ;   in Loop: Header=BB266_9 Depth=1
	s_or_b32 exec_lo, exec_lo, s3
	v_lshrrev_b16 v1, 8, v9
	s_mov_b32 s3, exec_lo
	v_cmpx_ne_u16_e32 0, v1
	s_cbranch_execz .LBB266_313
; %bb.306:                              ;   in Loop: Header=BB266_9 Depth=1
	v_bfrev_b32_e32 v63, 1
	s_mov_b32 s31, exec_lo
	v_cmpx_ne_u16_e32 0x80, v1
	s_cbranch_execz .LBB266_312
; %bb.307:                              ;   in Loop: Header=BB266_9 Depth=1
	v_and_b32_sdwa v66, v1, v22 dst_sel:DWORD dst_unused:UNUSED_PAD src0_sel:WORD_0 src1_sel:DWORD
	v_mov_b32_e32 v63, 0x7c010000
	s_mov_b32 s33, exec_lo
	v_cmpx_ne_u32_e32 0x7f, v66
	s_cbranch_execz .LBB266_311
; %bb.308:                              ;   in Loop: Header=BB266_9 Depth=1
	v_and_b32_sdwa v63, v1, v23 dst_sel:DWORD dst_unused:UNUSED_PAD src0_sel:WORD_0 src1_sel:DWORD
	v_lshrrev_b32_e32 v65, 3, v66
	s_mov_b32 s34, exec_lo
	v_cmpx_gt_u32_e32 8, v66
; %bb.309:                              ;   in Loop: Header=BB266_9 Depth=1
	v_ffbh_u32_e32 v63, v63
	v_min_u32_e32 v63, 32, v63
	v_subrev_nc_u32_e32 v65, 28, v63
	v_lshlrev_b64 v[66:67], v65, v[1:2]
	v_sub_nc_u32_e32 v65, 29, v63
	v_and_b32_e32 v63, 7, v66
; %bb.310:                              ;   in Loop: Header=BB266_9 Depth=1
	s_or_b32 exec_lo, exec_lo, s34
	v_lshlrev_b32_sdwa v1, v24, v1 dst_sel:DWORD dst_unused:UNUSED_PAD src0_sel:DWORD src1_sel:WORD_0
	v_lshl_add_u32 v65, v65, 10, 0x2000
	v_lshlrev_b32_e32 v63, 23, v63
	v_and_or_b32 v1, 0x8000, v1, v65
	v_lshl_or_b32 v63, v1, 16, v63
.LBB266_311:                            ;   in Loop: Header=BB266_9 Depth=1
	s_or_b32 exec_lo, exec_lo, s33
.LBB266_312:                            ;   in Loop: Header=BB266_9 Depth=1
	s_or_b32 exec_lo, exec_lo, s31
.LBB266_313:                            ;   in Loop: Header=BB266_9 Depth=1
	s_or_b32 exec_lo, exec_lo, s3
	v_lshrrev_b32_e32 v1, 16, v9
	v_mov_b32_e32 v65, 0
	v_mov_b32_e32 v66, 0
	v_cmp_ne_u16_sdwa s2, v1, v2 src0_sel:BYTE_0 src1_sel:DWORD
	s_and_saveexec_b32 s3, s2
	s_cbranch_execz .LBB266_321
; %bb.314:                              ;   in Loop: Header=BB266_9 Depth=1
	v_cmp_ne_u16_sdwa s2, v1, v21 src0_sel:BYTE_0 src1_sel:DWORD
	v_mov_b32_e32 v66, 0x8000
	s_and_saveexec_b32 s31, s2
	s_cbranch_execz .LBB266_320
; %bb.315:                              ;   in Loop: Header=BB266_9 Depth=1
	v_bfe_u32 v68, v9, 16, 7
	v_mov_b32_e32 v66, 0x7c01
	s_mov_b32 s33, exec_lo
	v_cmpx_ne_u32_e32 0x7f, v68
	s_cbranch_execz .LBB266_319
; %bb.316:                              ;   in Loop: Header=BB266_9 Depth=1
	v_and_b32_e32 v66, 7, v1
	v_lshrrev_b32_e32 v67, 3, v68
	s_mov_b32 s34, exec_lo
	v_cmpx_gt_u32_e32 8, v68
; %bb.317:                              ;   in Loop: Header=BB266_9 Depth=1
	v_ffbh_u32_e32 v66, v66
	v_min_u32_e32 v68, 32, v66
	v_subrev_nc_u32_e32 v66, 28, v68
	v_lshlrev_b64 v[66:67], v66, v[1:2]
	v_sub_nc_u32_e32 v67, 29, v68
	v_and_b32_e32 v66, 7, v66
; %bb.318:                              ;   in Loop: Header=BB266_9 Depth=1
	s_or_b32 exec_lo, exec_lo, s34
	v_lshlrev_b32_e32 v1, 8, v1
	v_lshl_add_u32 v67, v67, 10, 0x2000
	v_lshlrev_b32_e32 v66, 7, v66
	v_and_b32_e32 v1, 0x8000, v1
	v_and_b32_e32 v67, 0xfc00, v67
	v_or3_b32 v66, v1, v67, v66
.LBB266_319:                            ;   in Loop: Header=BB266_9 Depth=1
	s_or_b32 exec_lo, exec_lo, s33
.LBB266_320:                            ;   in Loop: Header=BB266_9 Depth=1
	s_or_b32 exec_lo, exec_lo, s31
.LBB266_321:                            ;   in Loop: Header=BB266_9 Depth=1
	s_or_b32 exec_lo, exec_lo, s3
	s_mov_b32 s3, exec_lo
	v_cmpx_lt_u32_e32 0xffffff, v9
	s_cbranch_execz .LBB266_329
; %bb.322:                              ;   in Loop: Header=BB266_9 Depth=1
	v_lshrrev_b32_e32 v1, 24, v9
	v_bfrev_b32_e32 v65, 1
	s_mov_b32 s31, exec_lo
	v_cmpx_ne_u32_e32 0x80, v1
	s_cbranch_execz .LBB266_328
; %bb.323:                              ;   in Loop: Header=BB266_9 Depth=1
	v_and_b32_e32 v67, 0x7f, v1
	v_mov_b32_e32 v65, 0x7c010000
	s_mov_b32 s33, exec_lo
	v_cmpx_ne_u32_e32 0x7f, v67
	s_cbranch_execz .LBB266_327
; %bb.324:                              ;   in Loop: Header=BB266_9 Depth=1
	v_and_b32_e32 v9, 7, v1
	v_lshrrev_b32_e32 v65, 3, v67
	s_mov_b32 s34, exec_lo
	v_cmpx_gt_u32_e32 8, v67
; %bb.325:                              ;   in Loop: Header=BB266_9 Depth=1
	v_ffbh_u32_e32 v9, v9
	v_min_u32_e32 v9, 32, v9
	v_subrev_nc_u32_e32 v65, 28, v9
	v_lshlrev_b64 v[67:68], v65, v[1:2]
	v_sub_nc_u32_e32 v65, 29, v9
	v_and_b32_e32 v9, 7, v67
; %bb.326:                              ;   in Loop: Header=BB266_9 Depth=1
	s_or_b32 exec_lo, exec_lo, s34
	v_lshlrev_b32_e32 v1, 8, v1
	v_lshl_add_u32 v65, v65, 10, 0x2000
	v_lshlrev_b32_e32 v9, 23, v9
	v_and_or_b32 v1, 0x8000, v1, v65
	v_lshl_or_b32 v65, v1, 16, v9
.LBB266_327:                            ;   in Loop: Header=BB266_9 Depth=1
	s_or_b32 exec_lo, exec_lo, s33
.LBB266_328:                            ;   in Loop: Header=BB266_9 Depth=1
	s_or_b32 exec_lo, exec_lo, s31
.LBB266_329:                            ;   in Loop: Header=BB266_9 Depth=1
	s_or_b32 exec_lo, exec_lo, s3
	global_load_dword v9, v[7:8], off offset:1280
	v_mov_b32_e32 v67, 0
	v_mov_b32_e32 v68, 0
	s_waitcnt vmcnt(0)
	v_cmp_ne_u16_sdwa s2, v9, v2 src0_sel:BYTE_0 src1_sel:DWORD
	s_and_saveexec_b32 s3, s2
	s_cbranch_execz .LBB266_337
; %bb.330:                              ;   in Loop: Header=BB266_9 Depth=1
	v_cmp_ne_u16_sdwa s2, v9, v21 src0_sel:BYTE_0 src1_sel:DWORD
	v_mov_b32_e32 v68, 0x8000
	s_and_saveexec_b32 s31, s2
	s_cbranch_execz .LBB266_336
; %bb.331:                              ;   in Loop: Header=BB266_9 Depth=1
	v_and_b32_e32 v69, 0x7f, v9
	v_mov_b32_e32 v68, 0x7c01
	s_mov_b32 s33, exec_lo
	v_cmpx_ne_u32_e32 0x7f, v69
	s_cbranch_execz .LBB266_335
; %bb.332:                              ;   in Loop: Header=BB266_9 Depth=1
	v_and_b32_e32 v1, 7, v9
	v_lshrrev_b32_e32 v68, 3, v69
	s_mov_b32 s34, exec_lo
	v_cmpx_gt_u32_e32 8, v69
; %bb.333:                              ;   in Loop: Header=BB266_9 Depth=1
	v_ffbh_u32_e32 v1, v1
	v_min_u32_e32 v1, 32, v1
	v_subrev_nc_u32_e32 v68, 28, v1
	v_lshlrev_b64 v[69:70], v68, v[9:10]
	v_sub_nc_u32_e32 v68, 29, v1
	v_and_b32_e32 v1, 7, v69
; %bb.334:                              ;   in Loop: Header=BB266_9 Depth=1
	s_or_b32 exec_lo, exec_lo, s34
	v_lshlrev_b32_e32 v69, 8, v9
	v_lshl_add_u32 v68, v68, 10, 0x2000
	v_lshlrev_b32_e32 v1, 7, v1
	v_and_b32_e32 v69, 0x8000, v69
	v_and_b32_e32 v68, 0xfc00, v68
	v_or3_b32 v68, v69, v68, v1
.LBB266_335:                            ;   in Loop: Header=BB266_9 Depth=1
	s_or_b32 exec_lo, exec_lo, s33
.LBB266_336:                            ;   in Loop: Header=BB266_9 Depth=1
	s_or_b32 exec_lo, exec_lo, s31
.LBB266_337:                            ;   in Loop: Header=BB266_9 Depth=1
	s_or_b32 exec_lo, exec_lo, s3
	v_lshrrev_b16 v1, 8, v9
	s_mov_b32 s3, exec_lo
	v_cmpx_ne_u16_e32 0, v1
	s_cbranch_execz .LBB266_345
; %bb.338:                              ;   in Loop: Header=BB266_9 Depth=1
	v_bfrev_b32_e32 v67, 1
	s_mov_b32 s31, exec_lo
	v_cmpx_ne_u16_e32 0x80, v1
	s_cbranch_execz .LBB266_344
; %bb.339:                              ;   in Loop: Header=BB266_9 Depth=1
	v_and_b32_sdwa v70, v1, v22 dst_sel:DWORD dst_unused:UNUSED_PAD src0_sel:WORD_0 src1_sel:DWORD
	v_mov_b32_e32 v67, 0x7c010000
	s_mov_b32 s33, exec_lo
	v_cmpx_ne_u32_e32 0x7f, v70
	s_cbranch_execz .LBB266_343
; %bb.340:                              ;   in Loop: Header=BB266_9 Depth=1
	v_and_b32_sdwa v67, v1, v23 dst_sel:DWORD dst_unused:UNUSED_PAD src0_sel:WORD_0 src1_sel:DWORD
	v_lshrrev_b32_e32 v69, 3, v70
	s_mov_b32 s34, exec_lo
	v_cmpx_gt_u32_e32 8, v70
; %bb.341:                              ;   in Loop: Header=BB266_9 Depth=1
	v_ffbh_u32_e32 v67, v67
	v_min_u32_e32 v67, 32, v67
	v_subrev_nc_u32_e32 v69, 28, v67
	v_lshlrev_b64 v[70:71], v69, v[1:2]
	v_sub_nc_u32_e32 v69, 29, v67
	v_and_b32_e32 v67, 7, v70
; %bb.342:                              ;   in Loop: Header=BB266_9 Depth=1
	s_or_b32 exec_lo, exec_lo, s34
	v_lshlrev_b32_sdwa v1, v24, v1 dst_sel:DWORD dst_unused:UNUSED_PAD src0_sel:DWORD src1_sel:WORD_0
	v_lshl_add_u32 v69, v69, 10, 0x2000
	v_lshlrev_b32_e32 v67, 23, v67
	v_and_or_b32 v1, 0x8000, v1, v69
	v_lshl_or_b32 v67, v1, 16, v67
.LBB266_343:                            ;   in Loop: Header=BB266_9 Depth=1
	s_or_b32 exec_lo, exec_lo, s33
.LBB266_344:                            ;   in Loop: Header=BB266_9 Depth=1
	s_or_b32 exec_lo, exec_lo, s31
.LBB266_345:                            ;   in Loop: Header=BB266_9 Depth=1
	s_or_b32 exec_lo, exec_lo, s3
	v_lshrrev_b32_e32 v1, 16, v9
	v_mov_b32_e32 v69, 0
	v_mov_b32_e32 v70, 0
	v_cmp_ne_u16_sdwa s2, v1, v2 src0_sel:BYTE_0 src1_sel:DWORD
	s_and_saveexec_b32 s3, s2
	s_cbranch_execz .LBB266_353
; %bb.346:                              ;   in Loop: Header=BB266_9 Depth=1
	v_cmp_ne_u16_sdwa s2, v1, v21 src0_sel:BYTE_0 src1_sel:DWORD
	v_mov_b32_e32 v70, 0x8000
	s_and_saveexec_b32 s31, s2
	s_cbranch_execz .LBB266_352
; %bb.347:                              ;   in Loop: Header=BB266_9 Depth=1
	v_bfe_u32 v72, v9, 16, 7
	v_mov_b32_e32 v70, 0x7c01
	s_mov_b32 s33, exec_lo
	v_cmpx_ne_u32_e32 0x7f, v72
	s_cbranch_execz .LBB266_351
; %bb.348:                              ;   in Loop: Header=BB266_9 Depth=1
	v_and_b32_e32 v70, 7, v1
	v_lshrrev_b32_e32 v71, 3, v72
	s_mov_b32 s34, exec_lo
	v_cmpx_gt_u32_e32 8, v72
; %bb.349:                              ;   in Loop: Header=BB266_9 Depth=1
	v_ffbh_u32_e32 v70, v70
	v_min_u32_e32 v72, 32, v70
	v_subrev_nc_u32_e32 v70, 28, v72
	v_lshlrev_b64 v[70:71], v70, v[1:2]
	v_sub_nc_u32_e32 v71, 29, v72
	v_and_b32_e32 v70, 7, v70
; %bb.350:                              ;   in Loop: Header=BB266_9 Depth=1
	s_or_b32 exec_lo, exec_lo, s34
	v_lshlrev_b32_e32 v1, 8, v1
	v_lshl_add_u32 v71, v71, 10, 0x2000
	v_lshlrev_b32_e32 v70, 7, v70
	v_and_b32_e32 v1, 0x8000, v1
	v_and_b32_e32 v71, 0xfc00, v71
	v_or3_b32 v70, v1, v71, v70
.LBB266_351:                            ;   in Loop: Header=BB266_9 Depth=1
	s_or_b32 exec_lo, exec_lo, s33
.LBB266_352:                            ;   in Loop: Header=BB266_9 Depth=1
	s_or_b32 exec_lo, exec_lo, s31
.LBB266_353:                            ;   in Loop: Header=BB266_9 Depth=1
	s_or_b32 exec_lo, exec_lo, s3
	s_mov_b32 s3, exec_lo
	v_cmpx_lt_u32_e32 0xffffff, v9
	s_cbranch_execz .LBB266_361
; %bb.354:                              ;   in Loop: Header=BB266_9 Depth=1
	v_lshrrev_b32_e32 v1, 24, v9
	v_bfrev_b32_e32 v69, 1
	s_mov_b32 s31, exec_lo
	v_cmpx_ne_u32_e32 0x80, v1
	s_cbranch_execz .LBB266_360
; %bb.355:                              ;   in Loop: Header=BB266_9 Depth=1
	v_and_b32_e32 v71, 0x7f, v1
	v_mov_b32_e32 v69, 0x7c010000
	s_mov_b32 s33, exec_lo
	v_cmpx_ne_u32_e32 0x7f, v71
	s_cbranch_execz .LBB266_359
; %bb.356:                              ;   in Loop: Header=BB266_9 Depth=1
	v_and_b32_e32 v9, 7, v1
	v_lshrrev_b32_e32 v69, 3, v71
	s_mov_b32 s34, exec_lo
	v_cmpx_gt_u32_e32 8, v71
; %bb.357:                              ;   in Loop: Header=BB266_9 Depth=1
	v_ffbh_u32_e32 v9, v9
	v_min_u32_e32 v9, 32, v9
	v_subrev_nc_u32_e32 v69, 28, v9
	v_lshlrev_b64 v[71:72], v69, v[1:2]
	v_sub_nc_u32_e32 v69, 29, v9
	v_and_b32_e32 v9, 7, v71
; %bb.358:                              ;   in Loop: Header=BB266_9 Depth=1
	s_or_b32 exec_lo, exec_lo, s34
	v_lshlrev_b32_e32 v1, 8, v1
	v_lshl_add_u32 v69, v69, 10, 0x2000
	v_lshlrev_b32_e32 v9, 23, v9
	v_and_or_b32 v1, 0x8000, v1, v69
	v_lshl_or_b32 v69, v1, 16, v9
.LBB266_359:                            ;   in Loop: Header=BB266_9 Depth=1
	s_or_b32 exec_lo, exec_lo, s33
.LBB266_360:                            ;   in Loop: Header=BB266_9 Depth=1
	s_or_b32 exec_lo, exec_lo, s31
.LBB266_361:                            ;   in Loop: Header=BB266_9 Depth=1
	s_or_b32 exec_lo, exec_lo, s3
	global_load_dword v7, v[7:8], off offset:1288
	v_mov_b32_e32 v9, 0
	v_mov_b32_e32 v71, 0
	s_waitcnt vmcnt(0)
	v_cmp_ne_u16_sdwa s2, v7, v2 src0_sel:BYTE_0 src1_sel:DWORD
	s_and_saveexec_b32 s3, s2
	s_cbranch_execz .LBB266_369
; %bb.362:                              ;   in Loop: Header=BB266_9 Depth=1
	v_cmp_ne_u16_sdwa s2, v7, v21 src0_sel:BYTE_0 src1_sel:DWORD
	v_mov_b32_e32 v71, 0x8000
	s_and_saveexec_b32 s31, s2
	s_cbranch_execz .LBB266_368
; %bb.363:                              ;   in Loop: Header=BB266_9 Depth=1
	v_and_b32_e32 v72, 0x7f, v7
	v_mov_b32_e32 v71, 0x7c01
	s_mov_b32 s33, exec_lo
	v_cmpx_ne_u32_e32 0x7f, v72
	s_cbranch_execz .LBB266_367
; %bb.364:                              ;   in Loop: Header=BB266_9 Depth=1
	v_and_b32_e32 v1, 7, v7
	v_lshrrev_b32_e32 v8, 3, v72
	s_mov_b32 s34, exec_lo
	v_cmpx_gt_u32_e32 8, v72
; %bb.365:                              ;   in Loop: Header=BB266_9 Depth=1
	v_ffbh_u32_e32 v1, v1
	v_min_u32_e32 v1, 32, v1
	v_subrev_nc_u32_e32 v8, 28, v1
	v_lshlrev_b64 v[71:72], v8, v[7:8]
	v_sub_nc_u32_e32 v8, 29, v1
	v_and_b32_e32 v1, 7, v71
; %bb.366:                              ;   in Loop: Header=BB266_9 Depth=1
	s_or_b32 exec_lo, exec_lo, s34
	v_lshlrev_b32_e32 v71, 8, v7
	v_lshl_add_u32 v8, v8, 10, 0x2000
	v_lshlrev_b32_e32 v1, 7, v1
	v_and_b32_e32 v71, 0x8000, v71
	v_and_b32_e32 v8, 0xfc00, v8
	v_or3_b32 v71, v71, v8, v1
.LBB266_367:                            ;   in Loop: Header=BB266_9 Depth=1
	s_or_b32 exec_lo, exec_lo, s33
.LBB266_368:                            ;   in Loop: Header=BB266_9 Depth=1
	s_or_b32 exec_lo, exec_lo, s31
.LBB266_369:                            ;   in Loop: Header=BB266_9 Depth=1
	s_or_b32 exec_lo, exec_lo, s3
	v_lshrrev_b16 v1, 8, v7
	s_mov_b32 s3, exec_lo
	v_cmpx_ne_u16_e32 0, v1
	s_cbranch_execz .LBB266_377
; %bb.370:                              ;   in Loop: Header=BB266_9 Depth=1
	v_bfrev_b32_e32 v9, 1
	s_mov_b32 s31, exec_lo
	v_cmpx_ne_u16_e32 0x80, v1
	s_cbranch_execz .LBB266_376
; %bb.371:                              ;   in Loop: Header=BB266_9 Depth=1
	v_and_b32_sdwa v72, v1, v22 dst_sel:DWORD dst_unused:UNUSED_PAD src0_sel:WORD_0 src1_sel:DWORD
	v_mov_b32_e32 v9, 0x7c010000
	s_mov_b32 s33, exec_lo
	v_cmpx_ne_u32_e32 0x7f, v72
	s_cbranch_execz .LBB266_375
; %bb.372:                              ;   in Loop: Header=BB266_9 Depth=1
	v_and_b32_sdwa v8, v1, v23 dst_sel:DWORD dst_unused:UNUSED_PAD src0_sel:WORD_0 src1_sel:DWORD
	v_lshrrev_b32_e32 v9, 3, v72
	s_mov_b32 s34, exec_lo
	v_cmpx_gt_u32_e32 8, v72
; %bb.373:                              ;   in Loop: Header=BB266_9 Depth=1
	v_ffbh_u32_e32 v8, v8
	v_min_u32_e32 v72, 32, v8
	v_subrev_nc_u32_e32 v8, 28, v72
	v_lshlrev_b64 v[8:9], v8, v[1:2]
	v_sub_nc_u32_e32 v9, 29, v72
	v_and_b32_e32 v8, 7, v8
; %bb.374:                              ;   in Loop: Header=BB266_9 Depth=1
	s_or_b32 exec_lo, exec_lo, s34
	v_lshlrev_b32_sdwa v1, v24, v1 dst_sel:DWORD dst_unused:UNUSED_PAD src0_sel:DWORD src1_sel:WORD_0
	v_lshl_add_u32 v9, v9, 10, 0x2000
	v_lshlrev_b32_e32 v8, 23, v8
	v_and_or_b32 v1, 0x8000, v1, v9
	v_lshl_or_b32 v9, v1, 16, v8
.LBB266_375:                            ;   in Loop: Header=BB266_9 Depth=1
	s_or_b32 exec_lo, exec_lo, s33
.LBB266_376:                            ;   in Loop: Header=BB266_9 Depth=1
	s_or_b32 exec_lo, exec_lo, s31
.LBB266_377:                            ;   in Loop: Header=BB266_9 Depth=1
	s_or_b32 exec_lo, exec_lo, s3
	v_lshrrev_b32_e32 v1, 16, v7
	v_mov_b32_e32 v8, 0
	v_mov_b32_e32 v72, 0
	v_cmp_ne_u16_sdwa s2, v1, v2 src0_sel:BYTE_0 src1_sel:DWORD
	s_and_saveexec_b32 s3, s2
	s_cbranch_execz .LBB266_385
; %bb.378:                              ;   in Loop: Header=BB266_9 Depth=1
	v_cmp_ne_u16_sdwa s2, v1, v21 src0_sel:BYTE_0 src1_sel:DWORD
	v_mov_b32_e32 v72, 0x8000
	s_and_saveexec_b32 s31, s2
	s_cbranch_execz .LBB266_384
; %bb.379:                              ;   in Loop: Header=BB266_9 Depth=1
	v_bfe_u32 v74, v7, 16, 7
	v_mov_b32_e32 v72, 0x7c01
	s_mov_b32 s33, exec_lo
	v_cmpx_ne_u32_e32 0x7f, v74
	s_cbranch_execz .LBB266_383
; %bb.380:                              ;   in Loop: Header=BB266_9 Depth=1
	v_and_b32_e32 v72, 7, v1
	v_lshrrev_b32_e32 v73, 3, v74
	s_mov_b32 s34, exec_lo
	v_cmpx_gt_u32_e32 8, v74
; %bb.381:                              ;   in Loop: Header=BB266_9 Depth=1
	v_ffbh_u32_e32 v72, v72
	v_min_u32_e32 v74, 32, v72
	v_subrev_nc_u32_e32 v72, 28, v74
	v_lshlrev_b64 v[72:73], v72, v[1:2]
	v_sub_nc_u32_e32 v73, 29, v74
	v_and_b32_e32 v72, 7, v72
; %bb.382:                              ;   in Loop: Header=BB266_9 Depth=1
	s_or_b32 exec_lo, exec_lo, s34
	v_lshlrev_b32_e32 v1, 8, v1
	v_lshl_add_u32 v73, v73, 10, 0x2000
	v_lshlrev_b32_e32 v72, 7, v72
	v_and_b32_e32 v1, 0x8000, v1
	v_and_b32_e32 v73, 0xfc00, v73
	v_or3_b32 v72, v1, v73, v72
.LBB266_383:                            ;   in Loop: Header=BB266_9 Depth=1
	s_or_b32 exec_lo, exec_lo, s33
.LBB266_384:                            ;   in Loop: Header=BB266_9 Depth=1
	s_or_b32 exec_lo, exec_lo, s31
.LBB266_385:                            ;   in Loop: Header=BB266_9 Depth=1
	s_or_b32 exec_lo, exec_lo, s3
	s_mov_b32 s3, exec_lo
	v_cmpx_lt_u32_e32 0xffffff, v7
	s_cbranch_execz .LBB266_393
; %bb.386:                              ;   in Loop: Header=BB266_9 Depth=1
	v_lshrrev_b32_e32 v1, 24, v7
	v_bfrev_b32_e32 v8, 1
	s_mov_b32 s31, exec_lo
	v_cmpx_ne_u32_e32 0x80, v1
	s_cbranch_execz .LBB266_392
; %bb.387:                              ;   in Loop: Header=BB266_9 Depth=1
	v_and_b32_e32 v73, 0x7f, v1
	v_mov_b32_e32 v8, 0x7c010000
	s_mov_b32 s33, exec_lo
	v_cmpx_ne_u32_e32 0x7f, v73
	s_cbranch_execz .LBB266_391
; %bb.388:                              ;   in Loop: Header=BB266_9 Depth=1
	v_and_b32_e32 v7, 7, v1
	v_lshrrev_b32_e32 v8, 3, v73
	s_mov_b32 s34, exec_lo
	v_cmpx_gt_u32_e32 8, v73
; %bb.389:                              ;   in Loop: Header=BB266_9 Depth=1
	v_ffbh_u32_e32 v7, v7
	v_min_u32_e32 v73, 32, v7
	v_subrev_nc_u32_e32 v7, 28, v73
	v_lshlrev_b64 v[7:8], v7, v[1:2]
	v_sub_nc_u32_e32 v8, 29, v73
	v_and_b32_e32 v7, 7, v7
; %bb.390:                              ;   in Loop: Header=BB266_9 Depth=1
	s_or_b32 exec_lo, exec_lo, s34
	v_lshlrev_b32_e32 v1, 8, v1
	v_lshl_add_u32 v8, v8, 10, 0x2000
	v_lshlrev_b32_e32 v7, 23, v7
	v_and_or_b32 v1, 0x8000, v1, v8
	v_lshl_or_b32 v8, v1, 16, v7
.LBB266_391:                            ;   in Loop: Header=BB266_9 Depth=1
	s_or_b32 exec_lo, exec_lo, s33
.LBB266_392:                            ;   in Loop: Header=BB266_9 Depth=1
	s_or_b32 exec_lo, exec_lo, s31
.LBB266_393:                            ;   in Loop: Header=BB266_9 Depth=1
	s_or_b32 exec_lo, exec_lo, s3
	ds_read_b64 v[73:74], v18
	v_or_b32_e32 v1, v28, v27
	v_or_b32_e32 v7, v29, v30
	v_fma_mixlo_f16 v27, v26, v28, 0 op_sel:[0,1,0] op_sel_hi:[0,1,0]
	v_fma_mixlo_f16 v28, v26, v29, 0 op_sel:[0,1,0] op_sel_hi:[0,1,0]
	v_or_b32_e32 v32, v31, v32
	v_fma_mixlo_f16 v1, v26, v1, 0 op_sel_hi:[0,1,0]
	v_fma_mixlo_f16 v7, v26, v7, 0 op_sel_hi:[0,1,0]
	v_and_b32_e32 v27, 0xffff, v27
	v_and_b32_e32 v75, 0xffff, v28
	v_or_b32_e32 v34, v33, v34
	v_and_b32_e32 v28, 0xffff, v1
	v_fma_mixlo_f16 v31, v26, v31, 0 op_sel:[0,1,0] op_sel_hi:[0,1,0]
	v_fma_mixlo_f16 v33, v26, v33, 0 op_sel:[0,1,0] op_sel_hi:[0,1,0]
	v_fma_mixlo_f16 v32, v26, v32, 0 op_sel_hi:[0,1,0]
	v_fma_mixlo_f16 v34, v26, v34, 0 op_sel_hi:[0,1,0]
	v_or_b32_e32 v36, v35, v36
	v_and_b32_e32 v77, 0xffff, v31
	v_and_b32_e32 v78, 0xffff, v33
	;; [unrolled: 1-line block ×3, first 2 shown]
	s_waitcnt lgkmcnt(0)
	v_and_b32_e32 v1, 0xffff, v73
	v_lshrrev_b32_e32 v29, 16, v73
	v_and_b32_e32 v73, 0xffff, v7
	v_lshrrev_b32_e32 v76, 16, v74
	v_and_b32_e32 v74, 0xffff, v74
	;;#ASMSTART
	v_cvt_f32_f16 v7, v1;
	;;#ASMEND
	;;#ASMSTART
	v_cvt_f32_f16 v1, v29;
	;;#ASMEND
	;; [unrolled: 3-line block ×8, first 2 shown]
	ds_read_b64 v[75:76], v18 offset:8
	v_and_b32_e32 v79, 0xffff, v34
	v_or_b32_e32 v38, v37, v38
	v_fma_mixlo_f16 v35, v26, v35, 0 op_sel:[0,1,0] op_sel_hi:[0,1,0]
	v_fma_mixlo_f16 v37, v26, v37, 0 op_sel:[0,1,0] op_sel_hi:[0,1,0]
	v_fma_mixlo_f16 v36, v26, v36, 0 op_sel_hi:[0,1,0]
	v_or_b32_e32 v40, v39, v40
	v_fma_mixlo_f16 v38, v26, v38, 0 op_sel_hi:[0,1,0]
	v_and_b32_e32 v35, 0xffff, v35
	v_and_b32_e32 v83, 0xffff, v37
	;; [unrolled: 1-line block ×3, first 2 shown]
	v_or_b32_e32 v42, v41, v42
	v_and_b32_e32 v38, 0xffff, v38
	v_fma_mixlo_f16 v39, v26, v39, 0 op_sel:[0,1,0] op_sel_hi:[0,1,0]
	v_fma_mixlo_f16 v41, v26, v41, 0 op_sel:[0,1,0] op_sel_hi:[0,1,0]
	v_fma_mixlo_f16 v40, v26, v40, 0 op_sel_hi:[0,1,0]
	v_fma_mixlo_f16 v42, v26, v42, 0 op_sel_hi:[0,1,0]
	v_or_b32_e32 v44, v43, v44
	v_or_b32_e32 v46, v45, v46
	v_and_b32_e32 v86, 0xffff, v41
	s_waitcnt lgkmcnt(0)
	v_and_b32_e32 v31, 0xffff, v75
	v_lshrrev_b32_e32 v75, 16, v75
	v_lshrrev_b32_e32 v80, 16, v76
	v_and_b32_e32 v34, 0xffff, v76
	;;#ASMSTART
	v_cvt_f32_f16 v32, v31;
	;;#ASMEND
	;;#ASMSTART
	v_cvt_f32_f16 v31, v75;
	;;#ASMEND
	;; [unrolled: 3-line block ×8, first 2 shown]
	ds_read_b64 v[79:80], v18 offset:16
	v_and_b32_e32 v41, 0xffff, v40
	v_and_b32_e32 v87, 0xffff, v42
	v_fma_mixlo_f16 v43, v26, v43, 0 op_sel:[0,1,0] op_sel_hi:[0,1,0]
	v_fma_mixlo_f16 v45, v26, v45, 0 op_sel:[0,1,0] op_sel_hi:[0,1,0]
	v_fma_mixlo_f16 v44, v26, v44, 0 op_sel_hi:[0,1,0]
	v_fma_mixlo_f16 v46, v26, v46, 0 op_sel_hi:[0,1,0]
	v_or_b32_e32 v48, v47, v48
	v_and_b32_e32 v43, 0xffff, v43
	v_and_b32_e32 v91, 0xffff, v45
	;; [unrolled: 1-line block ×4, first 2 shown]
	v_or_b32_e32 v50, v49, v50
	v_fma_mixlo_f16 v47, v26, v47, 0 op_sel:[0,1,0] op_sel_hi:[0,1,0]
	v_fma_mixlo_f16 v49, v26, v49, 0 op_sel:[0,1,0] op_sel_hi:[0,1,0]
	v_fma_mixlo_f16 v48, v26, v48, 0 op_sel_hi:[0,1,0]
	v_or_b32_e32 v52, v51, v52
	v_fma_mixlo_f16 v50, v26, v50, 0 op_sel_hi:[0,1,0]
	v_or_b32_e32 v54, v53, v54
	v_and_b32_e32 v94, 0xffff, v49
	s_waitcnt lgkmcnt(0)
	v_and_b32_e32 v37, 0xffff, v79
	v_lshrrev_b32_e32 v79, 16, v79
	v_lshrrev_b32_e32 v84, 16, v80
	v_and_b32_e32 v85, 0xffff, v80
	;;#ASMSTART
	v_cvt_f32_f16 v80, v37;
	;;#ASMEND
	;;#ASMSTART
	v_cvt_f32_f16 v79, v79;
	;;#ASMEND
	;; [unrolled: 3-line block ×8, first 2 shown]
	ds_read_b64 v[83:84], v18 offset:24
	v_and_b32_e32 v85, 0xffff, v39
	v_and_b32_e32 v49, 0xffff, v48
	;; [unrolled: 1-line block ×3, first 2 shown]
	v_fma_mixlo_f16 v51, v26, v51, 0 op_sel:[0,1,0] op_sel_hi:[0,1,0]
	v_fma_mixlo_f16 v53, v26, v53, 0 op_sel:[0,1,0] op_sel_hi:[0,1,0]
	v_fma_mixlo_f16 v52, v26, v52, 0 op_sel_hi:[0,1,0]
	v_fma_mixlo_f16 v54, v26, v54, 0 op_sel_hi:[0,1,0]
	v_or_b32_e32 v56, v55, v56
	v_and_b32_e32 v51, 0xffff, v51
	v_and_b32_e32 v99, 0xffff, v53
	v_and_b32_e32 v52, 0xffff, v52
	v_and_b32_e32 v98, 0xffff, v54
	v_or_b32_e32 v58, v57, v58
	v_fma_mixlo_f16 v55, v26, v55, 0 op_sel:[0,1,0] op_sel_hi:[0,1,0]
	v_fma_mixlo_f16 v57, v26, v57, 0 op_sel:[0,1,0] op_sel_hi:[0,1,0]
	v_fma_mixlo_f16 v56, v26, v56, 0 op_sel_hi:[0,1,0]
	v_or_b32_e32 v60, v59, v60
	v_fma_mixlo_f16 v58, v26, v58, 0 op_sel_hi:[0,1,0]
	v_or_b32_e32 v62, v61, v62
	s_waitcnt lgkmcnt(0)
	v_and_b32_e32 v39, 0xffff, v83
	v_lshrrev_b32_e32 v40, 16, v83
	v_lshrrev_b32_e32 v42, 16, v84
	v_and_b32_e32 v88, 0xffff, v84
	;;#ASMSTART
	v_cvt_f32_f16 v39, v39;
	;;#ASMEND
	;;#ASMSTART
	v_cvt_f32_f16 v40, v40;
	;;#ASMEND
	;; [unrolled: 3-line block ×8, first 2 shown]
	ds_read_b64 v[87:88], v18 offset:32
	v_and_b32_e32 v102, 0xffff, v57
	v_and_b32_e32 v57, 0xffff, v56
	v_and_b32_e32 v103, 0xffff, v58
	v_fma_mixlo_f16 v59, v26, v59, 0 op_sel:[0,1,0] op_sel_hi:[0,1,0]
	v_fma_mixlo_f16 v61, v26, v61, 0 op_sel:[0,1,0] op_sel_hi:[0,1,0]
	v_fma_mixlo_f16 v60, v26, v60, 0 op_sel_hi:[0,1,0]
	v_fma_mixlo_f16 v62, v26, v62, 0 op_sel_hi:[0,1,0]
	v_or_b32_e32 v64, v63, v64
	v_and_b32_e32 v59, 0xffff, v59
	v_and_b32_e32 v108, 0xffff, v61
	v_and_b32_e32 v60, 0xffff, v60
	v_and_b32_e32 v107, 0xffff, v62
	v_mul_f32_e32 v32, v32, v76
	v_or_b32_e32 v66, v65, v66
	v_mul_f32_e32 v31, v31, v33
	v_mul_f32_e32 v33, v34, v77
	v_fma_mixlo_f16 v65, v26, v65, 0 op_sel:[0,1,0] op_sel_hi:[0,1,0]
	v_fma_mixlo_f16 v64, v26, v64, 0 op_sel_hi:[0,1,0]
	v_fmac_f32_e32 v32, v7, v30
	s_waitcnt lgkmcnt(0)
	v_and_b32_e32 v45, 0xffff, v87
	v_lshrrev_b32_e32 v89, 16, v87
	v_lshrrev_b32_e32 v92, 16, v88
	v_and_b32_e32 v93, 0xffff, v88
	;;#ASMSTART
	v_cvt_f32_f16 v87, v45;
	;;#ASMEND
	;;#ASMSTART
	v_cvt_f32_f16 v88, v89;
	;;#ASMEND
	;; [unrolled: 3-line block ×8, first 2 shown]
	ds_read_b64 v[91:92], v18 offset:40
	v_and_b32_e32 v93, 0xffff, v47
	v_fma_mixlo_f16 v63, v26, v63, 0 op_sel:[0,1,0] op_sel_hi:[0,1,0]
	v_fma_mixlo_f16 v66, v26, v66, 0 op_sel_hi:[0,1,0]
	v_mul_f32_e32 v34, v75, v78
	v_fmac_f32_e32 v31, v1, v27
	v_fmac_f32_e32 v33, v28, v73
	v_and_b32_e32 v65, 0xffff, v65
	v_and_b32_e32 v64, 0xffff, v64
	v_fmac_f32_e32 v32, v80, v82
	v_and_b32_e32 v109, 0xffff, v63
	v_and_b32_e32 v66, 0xffff, v66
	v_fmac_f32_e32 v34, v29, v74
	v_fmac_f32_e32 v31, v79, v81
	;; [unrolled: 1-line block ×4, first 2 shown]
	v_or_b32_e32 v68, v67, v68
	v_fmac_f32_e32 v34, v36, v38
	v_fmac_f32_e32 v31, v40, v84
	;; [unrolled: 1-line block ×3, first 2 shown]
	s_waitcnt lgkmcnt(0)
	v_and_b32_e32 v47, 0xffff, v91
	v_lshrrev_b32_e32 v48, 16, v91
	v_lshrrev_b32_e32 v50, 16, v92
	v_and_b32_e32 v96, 0xffff, v92
	;;#ASMSTART
	v_cvt_f32_f16 v47, v47;
	;;#ASMEND
	;;#ASMSTART
	v_cvt_f32_f16 v48, v48;
	;;#ASMEND
	;; [unrolled: 3-line block ×8, first 2 shown]
	ds_read_b64 v[95:96], v18 offset:48
	v_fmac_f32_e32 v32, v87, v89
	v_fmac_f32_e32 v31, v88, v90
	;; [unrolled: 1-line block ×3, first 2 shown]
	v_or_b32_e32 v70, v69, v70
	v_fmac_f32_e32 v34, v42, v86
	v_fmac_f32_e32 v32, v47, v91
	;; [unrolled: 1-line block ×4, first 2 shown]
	v_fma_mixlo_f16 v67, v26, v67, 0 op_sel:[0,1,0] op_sel_hi:[0,1,0]
	v_fma_mixlo_f16 v69, v26, v69, 0 op_sel:[0,1,0] op_sel_hi:[0,1,0]
	v_fma_mixlo_f16 v68, v26, v68, 0 op_sel_hi:[0,1,0]
	v_fma_mixlo_f16 v63, v26, v70, 0 op_sel_hi:[0,1,0]
	v_fmac_f32_e32 v34, v44, v46
	v_and_b32_e32 v39, 0xffff, v67
	v_and_b32_e32 v43, 0xffff, v69
	;; [unrolled: 1-line block ×3, first 2 shown]
	v_or_b32_e32 v71, v9, v71
	v_fmac_f32_e32 v34, v50, v94
	v_or_b32_e32 v44, v8, v72
	s_waitcnt lgkmcnt(0)
	v_and_b32_e32 v53, 0xffff, v95
	v_lshrrev_b32_e32 v95, 16, v95
	v_lshrrev_b32_e32 v100, 16, v96
	v_and_b32_e32 v101, 0xffff, v96
	;;#ASMSTART
	v_cvt_f32_f16 v53, v53;
	;;#ASMEND
	;;#ASMSTART
	v_cvt_f32_f16 v54, v95;
	;;#ASMEND
	;; [unrolled: 3-line block ×8, first 2 shown]
	ds_read_b64 v[99:100], v18 offset:56
	v_and_b32_e32 v101, 0xffff, v55
	v_fmac_f32_e32 v32, v53, v96
	v_fmac_f32_e32 v31, v54, v97
	;; [unrolled: 1-line block ×4, first 2 shown]
	v_fma_mixlo_f16 v9, v26, v9, 0 op_sel:[0,1,0] op_sel_hi:[0,1,0]
	v_fma_mixlo_f16 v35, v26, v71, 0 op_sel_hi:[0,1,0]
	v_fma_mixlo_f16 v44, v26, v44, 0 op_sel_hi:[0,1,0]
	s_waitcnt lgkmcnt(0)
	v_and_b32_e32 v55, 0xffff, v99
	v_lshrrev_b32_e32 v56, 16, v99
	v_lshrrev_b32_e32 v104, 16, v100
	v_and_b32_e32 v100, 0xffff, v100
	;;#ASMSTART
	v_cvt_f32_f16 v55, v55;
	;;#ASMEND
	;;#ASMSTART
	v_cvt_f32_f16 v56, v56;
	;;#ASMEND
	;; [unrolled: 3-line block ×8, first 2 shown]
	ds_read_b64 v[101:102], v18 offset:64
	v_fmac_f32_e32 v32, v55, v58
	v_fmac_f32_e32 v31, v56, v99
	;; [unrolled: 1-line block ×4, first 2 shown]
	s_waitcnt lgkmcnt(0)
	v_and_b32_e32 v61, 0xffff, v101
	v_lshrrev_b32_e32 v101, 16, v101
	v_lshrrev_b32_e32 v106, 16, v102
	v_and_b32_e32 v105, 0xffff, v102
	;;#ASMSTART
	v_cvt_f32_f16 v61, v61;
	;;#ASMEND
	;;#ASMSTART
	v_cvt_f32_f16 v62, v101;
	;;#ASMEND
	;; [unrolled: 3-line block ×8, first 2 shown]
	ds_read_b64 v[59:60], v18 offset:72
	v_fmac_f32_e32 v32, v61, v101
	v_fmac_f32_e32 v31, v62, v102
	;; [unrolled: 1-line block ×4, first 2 shown]
	s_waitcnt lgkmcnt(0)
	v_and_b32_e32 v1, 0xffff, v59
	v_lshrrev_b32_e32 v7, 16, v59
	v_lshrrev_b32_e32 v27, 16, v60
	v_and_b32_e32 v28, 0xffff, v60
	;;#ASMSTART
	v_cvt_f32_f16 v1, v1;
	;;#ASMEND
	;;#ASMSTART
	v_cvt_f32_f16 v7, v7;
	;;#ASMEND
	;; [unrolled: 3-line block ×8, first 2 shown]
	ds_read_b64 v[27:28], v18 offset:80
	v_fmac_f32_e32 v32, v1, v29
	v_fmac_f32_e32 v31, v7, v30
	v_fmac_f32_e32 v33, v59, v64
	v_fma_mixlo_f16 v1, v26, v8, 0 op_sel:[0,1,0] op_sel_hi:[0,1,0]
	v_and_b32_e32 v26, 0xffff, v35
	v_fmac_f32_e32 v34, v60, v65
	v_and_b32_e32 v29, 0xffff, v44
	s_waitcnt lgkmcnt(0)
	v_and_b32_e32 v36, 0xffff, v27
	v_lshrrev_b32_e32 v27, 16, v27
	v_lshrrev_b32_e32 v41, 16, v28
	v_and_b32_e32 v28, 0xffff, v28
	;;#ASMSTART
	v_cvt_f32_f16 v36, v36;
	;;#ASMEND
	;;#ASMSTART
	v_cvt_f32_f16 v37, v27;
	;;#ASMEND
	v_and_b32_e32 v27, 0xffff, v63
	;;#ASMSTART
	v_cvt_f32_f16 v38, v38;
	;;#ASMEND
	;;#ASMSTART
	v_cvt_f32_f16 v39, v39;
	;;#ASMEND
	;; [unrolled: 3-line block ×6, first 2 shown]
	ds_read_b64 v[27:28], v18 offset:88
	v_fmac_f32_e32 v32, v36, v38
	v_fmac_f32_e32 v31, v37, v39
	;; [unrolled: 1-line block ×4, first 2 shown]
	s_waitcnt lgkmcnt(0)
	v_and_b32_e32 v7, 0xffff, v27
	v_lshrrev_b32_e32 v8, 16, v27
	v_and_b32_e32 v27, 0xffff, v9
	;;#ASMSTART
	v_cvt_f32_f16 v7, v7;
	;;#ASMEND
	;;#ASMSTART
	v_cvt_f32_f16 v8, v8;
	;;#ASMEND
	;; [unrolled: 3-line block ×4, first 2 shown]
	v_and_b32_e32 v27, 0xffff, v28
	v_fmac_f32_e32 v32, v7, v9
	;;#ASMSTART
	v_cvt_f32_f16 v7, v27;
	;;#ASMEND
	v_lshrrev_b32_e32 v28, 16, v28
	v_fmac_f32_e32 v31, v8, v26
	;;#ASMSTART
	v_cvt_f32_f16 v8, v28;
	;;#ASMEND
	;;#ASMSTART
	v_cvt_f32_f16 v9, v29;
	;;#ASMEND
	v_fmac_f32_e32 v33, v7, v9
	v_xor_b32_e32 v7, 1, v15
	v_and_b32_e32 v26, 0xffff, v1
	v_add_f32_e32 v1, v32, v31
	;;#ASMSTART
	v_cvt_f32_f16 v9, v26;
	;;#ASMEND
	v_fmac_f32_e32 v34, v8, v9
	v_cmp_gt_i32_e64 s2, 32, v7
	v_add_f32_e32 v1, v1, v33
	v_cndmask_b32_e64 v7, v15, v7, s2
	v_add_f32_e32 v1, v34, v1
	v_lshlrev_b32_e32 v7, 2, v7
	ds_bpermute_b32 v7, v7, v1
	s_and_saveexec_b32 s3, vcc_lo
	s_cbranch_execz .LBB266_8
; %bb.394:                              ;   in Loop: Header=BB266_9 Depth=1
	v_add_nc_u32_e32 v8, s4, v19
	s_waitcnt lgkmcnt(0)
	v_add_f32_e32 v1, v1, v7
	v_cmp_gt_i32_e64 s2, s11, v19
	v_cvt_f32_i32_e32 v8, v8
	v_mul_f32_e32 v8, s28, v8
	v_cndmask_b32_e64 v7, 0, v8, s1
	v_max_f32_e32 v8, v17, v17
	v_fmac_f32_e32 v7, s29, v1
	v_max_f32_e32 v1, v8, v7
	v_cndmask_b32_e64 v7, 0, v7, s2
	v_cndmask_b32_e64 v17, v17, v1, s2
	ds_write_b32 v20, v7
	s_branch .LBB266_8
.LBB266_395:
	s_or_b32 exec_lo, exec_lo, s5
.LBB266_396:
	s_or_b32 exec_lo, exec_lo, s19
	v_xor_b32_e32 v1, 16, v15
	v_xor_b32_e32 v4, 8, v15
	v_max_f32_e32 v5, v17, v17
	v_xor_b32_e32 v6, 4, v15
	v_cmp_lt_i32_e32 vcc_lo, v1, v16
	v_cndmask_b32_e32 v1, v15, v1, vcc_lo
	v_cmp_lt_i32_e32 vcc_lo, v4, v16
	v_lshlrev_b32_e32 v3, 2, v1
	v_cndmask_b32_e32 v4, v15, v4, vcc_lo
	v_cmp_lt_i32_e32 vcc_lo, v6, v16
	ds_bpermute_b32 v1, v3, v17
	v_lshlrev_b32_e32 v4, 2, v4
	v_cndmask_b32_e32 v6, v15, v6, vcc_lo
	v_and_b32_e32 v17, 31, v0
	s_waitcnt lgkmcnt(0)
	v_max_f32_e32 v1, v1, v1
	v_max_f32_e32 v1, v5, v1
	ds_bpermute_b32 v5, v4, v1
	s_waitcnt lgkmcnt(0)
	v_max_f32_e32 v7, v5, v5
	v_lshlrev_b32_e32 v5, 2, v6
	v_max_f32_e32 v1, v1, v7
	v_xor_b32_e32 v7, 2, v15
	ds_bpermute_b32 v6, v5, v1
	v_cmp_lt_i32_e32 vcc_lo, v7, v16
	v_cndmask_b32_e32 v8, v15, v7, vcc_lo
	v_cmp_eq_u32_e32 vcc_lo, 0, v17
	s_waitcnt lgkmcnt(0)
	v_max_f32_e32 v6, v6, v6
	v_max_f32_e32 v7, v1, v6
	v_lshlrev_b32_e32 v1, 2, v8
	v_lshlrev_b32_e32 v6, 2, v13
	ds_bpermute_b32 v8, v1, v7
	s_and_saveexec_b32 s1, vcc_lo
	s_cbranch_execz .LBB266_398
; %bb.397:
	s_waitcnt lgkmcnt(0)
	v_max_f32_e32 v8, v8, v8
	v_max_f32_e32 v7, v7, v7
	;; [unrolled: 1-line block ×3, first 2 shown]
	ds_write_b32 v6, v7 offset:192
.LBB266_398:
	s_or_b32 exec_lo, exec_lo, s1
	v_cmp_gt_u32_e64 s1, 4, v17
	s_waitcnt lgkmcnt(0)
	v_mov_b32_e32 v8, 0xff7fffff
	v_lshlrev_b32_e32 v7, 2, v17
	s_barrier
	buffer_gl0_inv
	s_and_saveexec_b32 s2, s1
; %bb.399:
	ds_read_b32 v8, v7 offset:192
; %bb.400:
	s_or_b32 exec_lo, exec_lo, s2
	s_waitcnt lgkmcnt(0)
	ds_bpermute_b32 v9, v1, v8
	v_xor_b32_e32 v18, 1, v15
	v_max_f32_e32 v8, v8, v8
	v_lshlrev_b32_e32 v2, 2, v2
	v_cmp_lt_i32_e64 s2, v18, v16
	v_cndmask_b32_e64 v16, v15, v18, s2
	s_lshl_b32 s2, s16, 4
	s_min_i32 s4, s2, s11
	v_lshlrev_b32_e32 v16, 2, v16
	v_cmp_gt_i32_e64 s2, s4, v0
	s_waitcnt lgkmcnt(0)
	v_max_f32_e32 v9, v9, v9
	v_max_f32_e32 v8, v8, v9
	ds_bpermute_b32 v9, v16, v8
	s_waitcnt lgkmcnt(0)
	v_max_f32_e32 v9, v9, v9
	v_max_f32_e32 v8, v8, v9
	ds_bpermute_b32 v9, v2, v8
	v_mov_b32_e32 v8, 0
	v_lshl_add_u32 v2, v0, 2, 0xe0
	s_and_saveexec_b32 s5, s2
	s_cbranch_execz .LBB266_404
; %bb.401:
	v_lshl_add_u32 v18, v0, 2, 0xe0
	v_mov_b32_e32 v8, 0
	v_mov_b32_e32 v19, v0
	s_mov_b32 s12, 0
	.p2align	6
.LBB266_402:                            ; =>This Inner Loop Header: Depth=1
	ds_read_b32 v20, v18
	v_add_nc_u32_e32 v19, 0x80, v19
	v_cmp_le_i32_e64 s3, s4, v19
	s_or_b32 s12, s3, s12
	s_waitcnt lgkmcnt(0)
	v_sub_f32_e32 v20, v20, v9
	v_mul_f32_e32 v20, 0x3fb8aa3b, v20
	v_exp_f32_e32 v20, v20
	ds_write_b32 v18, v20
	v_add_f32_e32 v8, v8, v20
	v_add_nc_u32_e32 v18, 0x200, v18
	s_andn2_b32 exec_lo, exec_lo, s12
	s_cbranch_execnz .LBB266_402
; %bb.403:
	s_or_b32 exec_lo, exec_lo, s12
.LBB266_404:
	s_or_b32 exec_lo, exec_lo, s5
	ds_bpermute_b32 v3, v3, v8
	s_waitcnt lgkmcnt(0)
	v_add_f32_e32 v3, v8, v3
	ds_bpermute_b32 v4, v4, v3
	s_waitcnt lgkmcnt(0)
	v_add_f32_e32 v3, v3, v4
	;; [unrolled: 3-line block ×5, first 2 shown]
	s_and_saveexec_b32 s3, vcc_lo
; %bb.405:
	ds_write_b32 v6, v3 offset:208
; %bb.406:
	s_or_b32 exec_lo, exec_lo, s3
	s_waitcnt lgkmcnt(0)
	s_barrier
	buffer_gl0_inv
	s_and_saveexec_b32 s3, s1
; %bb.407:
	ds_read_b32 v3, v7 offset:208
; %bb.408:
	s_or_b32 exec_lo, exec_lo, s3
	s_waitcnt lgkmcnt(0)
	ds_bpermute_b32 v1, v1, v3
	v_lshlrev_b32_e32 v4, 2, v15
	s_waitcnt lgkmcnt(0)
	v_add_f32_e32 v1, v3, v1
	ds_bpermute_b32 v3, v16, v1
	s_waitcnt lgkmcnt(0)
	v_add_f32_e32 v1, v1, v3
	v_and_b32_e32 v3, 0xffffff80, v4
	ds_bpermute_b32 v1, v3, v1
	s_and_saveexec_b32 s1, s2
	s_cbranch_execz .LBB266_411
; %bb.409:
	s_waitcnt lgkmcnt(0)
	v_add_f32_e32 v1, 0x358637bd, v1
	s_mov_b32 s2, 0
	v_div_scale_f32 v3, null, v1, v1, 1.0
	v_div_scale_f32 v6, vcc_lo, 1.0, v1, 1.0
	v_rcp_f32_e32 v4, v3
	v_fma_f32 v5, -v3, v4, 1.0
	v_fmac_f32_e32 v4, v5, v4
	v_mul_f32_e32 v5, v6, v4
	v_fma_f32 v7, -v3, v5, v6
	v_fmac_f32_e32 v5, v7, v4
	v_fma_f32 v3, -v3, v5, v6
	v_div_fmas_f32 v3, v3, v4, v5
	v_div_fixup_f32 v1, v3, v1, 1.0
	v_mov_b32_e32 v3, v0
.LBB266_410:                            ; =>This Inner Loop Header: Depth=1
	ds_read_b32 v4, v2
	v_add_nc_u32_e32 v3, 0x80, v3
	v_cmp_le_i32_e32 vcc_lo, s4, v3
	s_or_b32 s2, vcc_lo, s2
	s_waitcnt lgkmcnt(0)
	v_mul_f32_e32 v4, v1, v4
	ds_write_b32 v2, v4
	v_add_nc_u32_e32 v2, 0x200, v2
	s_andn2_b32 exec_lo, exec_lo, s2
	s_cbranch_execnz .LBB266_410
.LBB266_411:
	s_or_b32 exec_lo, exec_lo, s1
	v_mov_b32_e32 v21, 0
	v_mov_b32_e32 v22, 0
	;; [unrolled: 1-line block ×6, first 2 shown]
	s_waitcnt lgkmcnt(0)
	s_barrier
	buffer_gl0_inv
	s_and_saveexec_b32 s1, s0
	s_cbranch_execz .LBB266_811
; %bb.412:
	v_lshlrev_b32_e32 v3, 5, v12
	v_and_b32_e32 v4, 0xf8, v10
	v_and_b32_e32 v1, 8, v10
	v_lshlrev_b32_e32 v5, 4, v13
	s_ashr_i32 s0, s18, 31
	s_add_u32 s2, s26, s18
	s_addc_u32 s0, s27, s0
	v_lshl_or_b32 v6, v13, 6, v3
	v_add_co_u32 v3, s2, s2, v4
	v_or3_b32 v23, v5, v1, 7
	v_and_b32_e32 v1, 0x7c, v14
	v_add_co_ci_u32_e64 v4, null, s0, 0, s2
	s_lshl_b64 s[2:3], s[24:25], 2
	s_add_i32 s5, s16, -1
	s_add_u32 s0, s22, s2
	s_addc_u32 s2, s23, s3
	v_add_co_u32 v5, s0, s0, v1
	v_mov_b32_e32 v2, 0
	v_add_nc_u32_e32 v14, 0xe0, v6
	v_add_co_ci_u32_e64 v6, null, s2, 0, s0
	v_mov_b32_e32 v24, 0x80
	v_mov_b32_e32 v25, 0x7f
	;; [unrolled: 1-line block ×11, first 2 shown]
	s_mov_b32 s2, -1
	s_mov_b32 s4, s17
	s_mov_b32 s3, 0xffffff
	;; [unrolled: 1-line block ×3, first 2 shown]
	s_branch .LBB266_414
.LBB266_413:                            ;   in Loop: Header=BB266_414 Depth=1
	s_or_b32 exec_lo, exec_lo, s0
	v_add_f32_e32 v9, v9, v10
	v_add_f32_e32 v10, v46, v47
	;;#ASMSTART
	v_pk_mul_f16 v29, v41, v48;

	;;#ASMEND
	;;#ASMSTART
	v_pk_mul_f16 v8, v39, v8;

	;;#ASMEND
	;; [unrolled: 4-line block ×4, first 2 shown]
	v_add_f32_e32 v18, v18, v9
	;;#ASMSTART
	v_pk_add_f16 v8, v29, v8;

	;;#ASMEND
	;;#ASMSTART
	v_pk_add_f16 v7, v8, v7;

	;;#ASMEND
	;;#ASMSTART
	v_pk_add_f16 v1, v7, v1;

	;;#ASMEND
	v_and_b32_e32 v9, 0xffff, v1
	v_add_nc_u32_e32 v28, 4, v28
	v_add_f32_e32 v19, v19, v10
	v_lshrrev_b32_e32 v10, 16, v1
	;;#ASMSTART
	v_cvt_f32_f16 v9, v9;
	;;#ASMEND
	v_add_f32_e32 v1, v44, v45
	v_add_f32_e32 v7, v42, v43
	;; [unrolled: 1-line block ×3, first 2 shown]
	;;#ASMSTART
	v_cvt_f32_f16 v10, v10;
	;;#ASMEND
	v_add_f32_e32 v9, v9, v10
	v_cmp_le_i32_e32 vcc_lo, s16, v28
	v_add_co_u32 v5, s0, v5, 16
	v_add_f32_e32 v20, v20, v1
	v_add_f32_e32 v22, v22, v7
	;; [unrolled: 1-line block ×4, first 2 shown]
	v_add_nc_u32_e32 v23, 64, v23
	v_add_nc_u32_e32 v14, 0x100, v14
	v_add_co_ci_u32_e64 v6, null, 0, v6, s0
	s_or_b32 s12, vcc_lo, s12
	s_andn2_b32 exec_lo, exec_lo, s12
	s_cbranch_execz .LBB266_810
.LBB266_414:                            ; =>This Inner Loop Header: Depth=1
	global_load_dword v1, v[5:6], off
	ds_read2_b64 v[29:32], v14 offset1:1
	ds_read2_b64 v[41:44], v14 offset0:2 offset1:3
	s_waitcnt lgkmcnt(1)
	;;#ASMSTART
	v_cvt_f16_f32 v36, v29;

	;;#ASMEND
	;;#ASMSTART
	v_cvt_f16_f32 v37, v30;

	;;#ASMEND
	;; [unrolled: 4-line block ×4, first 2 shown]
	s_waitcnt lgkmcnt(0)
	;;#ASMSTART
	v_cvt_f16_f32 v41, v41;

	;;#ASMEND
	;;#ASMSTART
	v_cvt_f16_f32 v40, v42;

	;;#ASMEND
	;; [unrolled: 4-line block ×4, first 2 shown]
	v_mov_b32_e32 v31, 0
	s_waitcnt vmcnt(0)
	v_mad_i64_i32 v[7:8], null, v1, s4, v[3:4]
	global_load_dwordx2 v[9:10], v[7:8], off
	global_load_dword v30, v2, s[14:15]
	s_waitcnt vmcnt(1)
	v_cmp_ne_u16_sdwa s13, v9, v2 src0_sel:BYTE_0 src1_sel:DWORD
	s_and_saveexec_b32 s0, s13
	s_cbranch_execz .LBB266_422
; %bb.415:                              ;   in Loop: Header=BB266_414 Depth=1
	v_cmp_ne_u16_sdwa s17, v9, v24 src0_sel:BYTE_0 src1_sel:DWORD
	v_mov_b32_e32 v31, 0x8000
	s_and_saveexec_b32 s13, s17
	s_cbranch_execz .LBB266_421
; %bb.416:                              ;   in Loop: Header=BB266_414 Depth=1
	v_and_b32_e32 v32, 0x7f, v9
	v_mov_b32_e32 v31, 0x7c01
	s_mov_b32 s17, exec_lo
	v_cmpx_ne_u32_e32 0x7f, v32
	s_cbranch_execz .LBB266_420
; %bb.417:                              ;   in Loop: Header=BB266_414 Depth=1
	v_and_b32_e32 v1, 7, v9
	v_lshrrev_b32_e32 v29, 3, v32
	s_mov_b32 s18, exec_lo
	v_cmpx_gt_u32_e32 8, v32
; %bb.418:                              ;   in Loop: Header=BB266_414 Depth=1
	v_ffbh_u32_e32 v1, v1
	v_min_u32_e32 v1, 32, v1
	v_subrev_nc_u32_e32 v29, 28, v1
	v_lshlrev_b64 v[31:32], v29, v[9:10]
	v_sub_nc_u32_e32 v29, 29, v1
	v_and_b32_e32 v1, 7, v31
; %bb.419:                              ;   in Loop: Header=BB266_414 Depth=1
	s_or_b32 exec_lo, exec_lo, s18
	v_lshlrev_b32_e32 v31, 8, v9
	v_lshl_add_u32 v29, v29, 10, 0x2000
	v_lshlrev_b32_e32 v1, 7, v1
	v_and_b32_e32 v31, 0x8000, v31
	v_and_b32_e32 v29, 0xfc00, v29
	v_or3_b32 v31, v31, v29, v1
.LBB266_420:                            ;   in Loop: Header=BB266_414 Depth=1
	s_or_b32 exec_lo, exec_lo, s17
.LBB266_421:                            ;   in Loop: Header=BB266_414 Depth=1
	s_or_b32 exec_lo, exec_lo, s13
.LBB266_422:                            ;   in Loop: Header=BB266_414 Depth=1
	s_or_b32 exec_lo, exec_lo, s0
	v_lshrrev_b16 v1, 8, v9
	v_mov_b32_e32 v29, 0
	v_mov_b32_e32 v32, 0
	s_mov_b32 s0, exec_lo
	v_cmpx_ne_u16_e32 0, v1
	s_cbranch_execz .LBB266_430
; %bb.423:                              ;   in Loop: Header=BB266_414 Depth=1
	v_bfrev_b32_e32 v32, 1
	s_mov_b32 s13, exec_lo
	v_cmpx_ne_u16_e32 0x80, v1
	s_cbranch_execz .LBB266_429
; %bb.424:                              ;   in Loop: Header=BB266_414 Depth=1
	v_and_b32_sdwa v34, v1, v25 dst_sel:DWORD dst_unused:UNUSED_PAD src0_sel:WORD_0 src1_sel:DWORD
	v_mov_b32_e32 v32, 0x7c010000
	s_mov_b32 s17, exec_lo
	v_cmpx_ne_u32_e32 0x7f, v34
	s_cbranch_execz .LBB266_428
; %bb.425:                              ;   in Loop: Header=BB266_414 Depth=1
	v_and_b32_sdwa v32, v1, v26 dst_sel:DWORD dst_unused:UNUSED_PAD src0_sel:WORD_0 src1_sel:DWORD
	v_lshrrev_b32_e32 v33, 3, v34
	s_mov_b32 s18, exec_lo
	v_cmpx_gt_u32_e32 8, v34
; %bb.426:                              ;   in Loop: Header=BB266_414 Depth=1
	v_ffbh_u32_e32 v32, v32
	v_min_u32_e32 v34, 32, v32
	v_subrev_nc_u32_e32 v32, 28, v34
	v_lshlrev_b64 v[32:33], v32, v[1:2]
	v_sub_nc_u32_e32 v33, 29, v34
	v_and_b32_e32 v32, 7, v32
; %bb.427:                              ;   in Loop: Header=BB266_414 Depth=1
	s_or_b32 exec_lo, exec_lo, s18
	v_lshlrev_b32_sdwa v1, v27, v1 dst_sel:DWORD dst_unused:UNUSED_PAD src0_sel:DWORD src1_sel:WORD_0
	v_lshl_add_u32 v33, v33, 10, 0x2000
	v_lshlrev_b32_e32 v32, 23, v32
	v_and_or_b32 v1, 0x8000, v1, v33
	v_lshl_or_b32 v32, v1, 16, v32
.LBB266_428:                            ;   in Loop: Header=BB266_414 Depth=1
	s_or_b32 exec_lo, exec_lo, s17
.LBB266_429:                            ;   in Loop: Header=BB266_414 Depth=1
	s_or_b32 exec_lo, exec_lo, s13
.LBB266_430:                            ;   in Loop: Header=BB266_414 Depth=1
	s_or_b32 exec_lo, exec_lo, s0
	v_lshrrev_b32_e32 v1, 16, v9
	v_cmp_ne_u16_sdwa s13, v1, v2 src0_sel:BYTE_0 src1_sel:DWORD
	s_and_saveexec_b32 s0, s13
	s_cbranch_execz .LBB266_438
; %bb.431:                              ;   in Loop: Header=BB266_414 Depth=1
	v_cmp_ne_u16_sdwa s17, v1, v24 src0_sel:BYTE_0 src1_sel:DWORD
	v_mov_b32_e32 v29, 0x8000
	s_and_saveexec_b32 s13, s17
	s_cbranch_execz .LBB266_437
; %bb.432:                              ;   in Loop: Header=BB266_414 Depth=1
	v_bfe_u32 v34, v9, 16, 7
	v_mov_b32_e32 v29, 0x7c01
	s_mov_b32 s17, exec_lo
	v_cmpx_ne_u32_e32 0x7f, v34
	s_cbranch_execz .LBB266_436
; %bb.433:                              ;   in Loop: Header=BB266_414 Depth=1
	v_and_b32_e32 v29, 7, v1
	v_lshrrev_b32_e32 v33, 3, v34
	s_mov_b32 s18, exec_lo
	v_cmpx_gt_u32_e32 8, v34
; %bb.434:                              ;   in Loop: Header=BB266_414 Depth=1
	v_ffbh_u32_e32 v29, v29
	v_min_u32_e32 v29, 32, v29
	v_subrev_nc_u32_e32 v33, 28, v29
	v_lshlrev_b64 v[34:35], v33, v[1:2]
	v_sub_nc_u32_e32 v33, 29, v29
	v_and_b32_e32 v29, 7, v34
; %bb.435:                              ;   in Loop: Header=BB266_414 Depth=1
	s_or_b32 exec_lo, exec_lo, s18
	v_lshlrev_b32_e32 v1, 8, v1
	v_lshl_add_u32 v33, v33, 10, 0x2000
	v_lshlrev_b32_e32 v29, 7, v29
	v_and_b32_e32 v1, 0x8000, v1
	v_and_b32_e32 v33, 0xfc00, v33
	v_or3_b32 v29, v1, v33, v29
.LBB266_436:                            ;   in Loop: Header=BB266_414 Depth=1
	s_or_b32 exec_lo, exec_lo, s17
.LBB266_437:                            ;   in Loop: Header=BB266_414 Depth=1
	s_or_b32 exec_lo, exec_lo, s13
.LBB266_438:                            ;   in Loop: Header=BB266_414 Depth=1
	s_or_b32 exec_lo, exec_lo, s0
	v_mov_b32_e32 v33, 0
	v_mov_b32_e32 v34, 0
	s_mov_b32 s0, exec_lo
	v_cmpx_lt_u32_e32 0xffffff, v9
	s_cbranch_execz .LBB266_446
; %bb.439:                              ;   in Loop: Header=BB266_414 Depth=1
	v_lshrrev_b32_e32 v1, 24, v9
	v_bfrev_b32_e32 v34, 1
	s_mov_b32 s13, exec_lo
	v_cmpx_ne_u32_e32 0x80, v1
	s_cbranch_execz .LBB266_445
; %bb.440:                              ;   in Loop: Header=BB266_414 Depth=1
	v_and_b32_e32 v44, 0x7f, v1
	v_mov_b32_e32 v34, 0x7c010000
	s_mov_b32 s17, exec_lo
	v_cmpx_ne_u32_e32 0x7f, v44
	s_cbranch_execz .LBB266_444
; %bb.441:                              ;   in Loop: Header=BB266_414 Depth=1
	v_and_b32_e32 v34, 7, v1
	v_lshrrev_b32_e32 v35, 3, v44
	s_mov_b32 s18, exec_lo
	v_cmpx_gt_u32_e32 8, v44
; %bb.442:                              ;   in Loop: Header=BB266_414 Depth=1
	v_ffbh_u32_e32 v34, v34
	v_min_u32_e32 v44, 32, v34
	v_subrev_nc_u32_e32 v34, 28, v44
	v_lshlrev_b64 v[34:35], v34, v[1:2]
	v_sub_nc_u32_e32 v35, 29, v44
	v_and_b32_e32 v34, 7, v34
; %bb.443:                              ;   in Loop: Header=BB266_414 Depth=1
	s_or_b32 exec_lo, exec_lo, s18
	v_lshlrev_b32_e32 v1, 8, v1
	v_lshl_add_u32 v35, v35, 10, 0x2000
	v_lshlrev_b32_e32 v34, 23, v34
	v_and_or_b32 v1, 0x8000, v1, v35
	v_lshl_or_b32 v34, v1, 16, v34
.LBB266_444:                            ;   in Loop: Header=BB266_414 Depth=1
	s_or_b32 exec_lo, exec_lo, s17
.LBB266_445:                            ;   in Loop: Header=BB266_414 Depth=1
	s_or_b32 exec_lo, exec_lo, s13
.LBB266_446:                            ;   in Loop: Header=BB266_414 Depth=1
	s_or_b32 exec_lo, exec_lo, s0
	v_mov_b32_e32 v1, v10
	v_cmp_ne_u16_sdwa s13, v10, v2 src0_sel:BYTE_0 src1_sel:DWORD
	s_and_saveexec_b32 s0, s13
	s_cbranch_execz .LBB266_454
; %bb.447:                              ;   in Loop: Header=BB266_414 Depth=1
	v_cmp_ne_u16_sdwa s17, v10, v24 src0_sel:BYTE_0 src1_sel:DWORD
	v_mov_b32_e32 v33, 0x8000
	s_and_saveexec_b32 s13, s17
	s_cbranch_execz .LBB266_453
; %bb.448:                              ;   in Loop: Header=BB266_414 Depth=1
	v_and_b32_e32 v44, 0x7f, v10
	v_mov_b32_e32 v33, 0x7c01
	s_mov_b32 s17, exec_lo
	v_cmpx_ne_u32_e32 0x7f, v44
	s_cbranch_execz .LBB266_452
; %bb.449:                              ;   in Loop: Header=BB266_414 Depth=1
	v_and_b32_e32 v33, 7, v10
	v_lshrrev_b32_e32 v35, 3, v44
	s_mov_b32 s18, exec_lo
	v_cmpx_gt_u32_e32 8, v44
; %bb.450:                              ;   in Loop: Header=BB266_414 Depth=1
	v_ffbh_u32_e32 v33, v33
	v_min_u32_e32 v33, 32, v33
	v_subrev_nc_u32_e32 v35, 28, v33
	v_lshlrev_b64 v[44:45], v35, v[1:2]
	v_sub_nc_u32_e32 v35, 29, v33
	v_and_b32_e32 v33, 7, v44
; %bb.451:                              ;   in Loop: Header=BB266_414 Depth=1
	s_or_b32 exec_lo, exec_lo, s18
	v_lshlrev_b32_e32 v44, 8, v10
	v_lshl_add_u32 v35, v35, 10, 0x2000
	v_lshlrev_b32_e32 v33, 7, v33
	v_and_b32_e32 v44, 0x8000, v44
	v_and_b32_e32 v35, 0xfc00, v35
	v_or3_b32 v33, v44, v35, v33
.LBB266_452:                            ;   in Loop: Header=BB266_414 Depth=1
	s_or_b32 exec_lo, exec_lo, s17
.LBB266_453:                            ;   in Loop: Header=BB266_414 Depth=1
	s_or_b32 exec_lo, exec_lo, s13
.LBB266_454:                            ;   in Loop: Header=BB266_414 Depth=1
	s_or_b32 exec_lo, exec_lo, s0
	v_lshrrev_b16 v1, 8, v1
	v_mov_b32_e32 v44, 0
	v_mov_b32_e32 v35, 0
	s_mov_b32 s0, exec_lo
	v_cmpx_ne_u16_e32 0, v1
	s_cbranch_execz .LBB266_462
; %bb.455:                              ;   in Loop: Header=BB266_414 Depth=1
	v_bfrev_b32_e32 v35, 1
	s_mov_b32 s13, exec_lo
	v_cmpx_ne_u16_e32 0x80, v1
	s_cbranch_execz .LBB266_461
; %bb.456:                              ;   in Loop: Header=BB266_414 Depth=1
	v_and_b32_sdwa v46, v1, v25 dst_sel:DWORD dst_unused:UNUSED_PAD src0_sel:WORD_0 src1_sel:DWORD
	v_mov_b32_e32 v35, 0x7c010000
	s_mov_b32 s17, exec_lo
	v_cmpx_ne_u32_e32 0x7f, v46
	s_cbranch_execz .LBB266_460
; %bb.457:                              ;   in Loop: Header=BB266_414 Depth=1
	v_and_b32_sdwa v35, v1, v26 dst_sel:DWORD dst_unused:UNUSED_PAD src0_sel:WORD_0 src1_sel:DWORD
	v_lshrrev_b32_e32 v45, 3, v46
	s_mov_b32 s18, exec_lo
	v_cmpx_gt_u32_e32 8, v46
; %bb.458:                              ;   in Loop: Header=BB266_414 Depth=1
	v_ffbh_u32_e32 v35, v35
	v_min_u32_e32 v35, 32, v35
	v_subrev_nc_u32_e32 v45, 28, v35
	v_lshlrev_b64 v[46:47], v45, v[1:2]
	v_sub_nc_u32_e32 v45, 29, v35
	v_and_b32_e32 v35, 7, v46
; %bb.459:                              ;   in Loop: Header=BB266_414 Depth=1
	s_or_b32 exec_lo, exec_lo, s18
	v_lshlrev_b32_sdwa v1, v27, v1 dst_sel:DWORD dst_unused:UNUSED_PAD src0_sel:DWORD src1_sel:WORD_0
	v_lshl_add_u32 v45, v45, 10, 0x2000
	v_lshlrev_b32_e32 v35, 23, v35
	v_and_or_b32 v1, 0x8000, v1, v45
	v_lshl_or_b32 v35, v1, 16, v35
.LBB266_460:                            ;   in Loop: Header=BB266_414 Depth=1
	s_or_b32 exec_lo, exec_lo, s17
.LBB266_461:                            ;   in Loop: Header=BB266_414 Depth=1
	s_or_b32 exec_lo, exec_lo, s13
.LBB266_462:                            ;   in Loop: Header=BB266_414 Depth=1
	s_or_b32 exec_lo, exec_lo, s0
	v_lshrrev_b32_e32 v1, 16, v10
	v_cmp_ne_u16_sdwa s13, v1, v2 src0_sel:BYTE_0 src1_sel:DWORD
	s_and_saveexec_b32 s0, s13
	s_cbranch_execz .LBB266_470
; %bb.463:                              ;   in Loop: Header=BB266_414 Depth=1
	v_cmp_ne_u16_sdwa s17, v1, v24 src0_sel:BYTE_0 src1_sel:DWORD
	v_mov_b32_e32 v44, 0x8000
	s_and_saveexec_b32 s13, s17
	s_cbranch_execz .LBB266_469
; %bb.464:                              ;   in Loop: Header=BB266_414 Depth=1
	v_bfe_u32 v46, v10, 16, 7
	v_mov_b32_e32 v44, 0x7c01
	s_mov_b32 s17, exec_lo
	v_cmpx_ne_u32_e32 0x7f, v46
	s_cbranch_execz .LBB266_468
; %bb.465:                              ;   in Loop: Header=BB266_414 Depth=1
	v_and_b32_e32 v44, 7, v1
	v_lshrrev_b32_e32 v45, 3, v46
	s_mov_b32 s18, exec_lo
	v_cmpx_gt_u32_e32 8, v46
; %bb.466:                              ;   in Loop: Header=BB266_414 Depth=1
	v_ffbh_u32_e32 v44, v44
	v_min_u32_e32 v46, 32, v44
	v_subrev_nc_u32_e32 v44, 28, v46
	v_lshlrev_b64 v[44:45], v44, v[1:2]
	v_sub_nc_u32_e32 v45, 29, v46
	v_and_b32_e32 v44, 7, v44
; %bb.467:                              ;   in Loop: Header=BB266_414 Depth=1
	s_or_b32 exec_lo, exec_lo, s18
	v_lshlrev_b32_e32 v1, 8, v1
	v_lshl_add_u32 v45, v45, 10, 0x2000
	v_lshlrev_b32_e32 v44, 7, v44
	v_and_b32_e32 v1, 0x8000, v1
	v_and_b32_e32 v45, 0xfc00, v45
	v_or3_b32 v44, v1, v45, v44
.LBB266_468:                            ;   in Loop: Header=BB266_414 Depth=1
	s_or_b32 exec_lo, exec_lo, s17
.LBB266_469:                            ;   in Loop: Header=BB266_414 Depth=1
	s_or_b32 exec_lo, exec_lo, s13
.LBB266_470:                            ;   in Loop: Header=BB266_414 Depth=1
	s_or_b32 exec_lo, exec_lo, s0
	v_cmp_lt_u64_e32 vcc_lo, s[2:3], v[9:10]
	v_mov_b32_e32 v9, 0
	s_and_saveexec_b32 s0, vcc_lo
	s_cbranch_execz .LBB266_478
; %bb.471:                              ;   in Loop: Header=BB266_414 Depth=1
	v_lshrrev_b32_e32 v1, 24, v10
	v_bfrev_b32_e32 v9, 1
	s_mov_b32 s13, exec_lo
	v_cmpx_ne_u32_e32 0x80, v1
	s_cbranch_execz .LBB266_477
; %bb.472:                              ;   in Loop: Header=BB266_414 Depth=1
	v_and_b32_e32 v45, 0x7f, v1
	v_mov_b32_e32 v9, 0x7c010000
	s_mov_b32 s17, exec_lo
	v_cmpx_ne_u32_e32 0x7f, v45
	s_cbranch_execz .LBB266_476
; %bb.473:                              ;   in Loop: Header=BB266_414 Depth=1
	v_and_b32_e32 v9, 7, v1
	v_lshrrev_b32_e32 v10, 3, v45
	s_mov_b32 s18, exec_lo
	v_cmpx_gt_u32_e32 8, v45
; %bb.474:                              ;   in Loop: Header=BB266_414 Depth=1
	v_ffbh_u32_e32 v9, v9
	v_min_u32_e32 v45, 32, v9
	v_subrev_nc_u32_e32 v9, 28, v45
	v_lshlrev_b64 v[9:10], v9, v[1:2]
	v_sub_nc_u32_e32 v10, 29, v45
	v_and_b32_e32 v9, 7, v9
; %bb.475:                              ;   in Loop: Header=BB266_414 Depth=1
	s_or_b32 exec_lo, exec_lo, s18
	v_lshlrev_b32_e32 v1, 8, v1
	v_lshl_add_u32 v10, v10, 10, 0x2000
	v_lshlrev_b32_e32 v9, 23, v9
	v_and_or_b32 v1, 0x8000, v1, v10
	v_lshl_or_b32 v9, v1, 16, v9
.LBB266_476:                            ;   in Loop: Header=BB266_414 Depth=1
	s_or_b32 exec_lo, exec_lo, s17
.LBB266_477:                            ;   in Loop: Header=BB266_414 Depth=1
	s_or_b32 exec_lo, exec_lo, s13
.LBB266_478:                            ;   in Loop: Header=BB266_414 Depth=1
	s_or_b32 exec_lo, exec_lo, s0
	v_or_b32_e32 v1, v34, v29
	s_waitcnt vmcnt(0)
	v_fma_mixlo_f16 v10, v30, v34, 0 op_sel:[0,1,0] op_sel_hi:[0,1,0]
	v_or_b32_e32 v31, v32, v31
	v_fma_mixlo_f16 v32, v30, v32, 0 op_sel:[0,1,0] op_sel_hi:[0,1,0]
	v_or_b32_e32 v33, v35, v33
	v_fma_mixlo_f16 v1, v30, v1, 0 op_sel_hi:[0,1,0]
	v_or_b32_e32 v34, v9, v44
	v_fma_mixlo_f16 v9, v30, v9, 0 op_sel:[0,1,0] op_sel_hi:[0,1,0]
	v_lshlrev_b32_e32 v50, 16, v32
	v_fma_mixlo_f16 v32, v30, v33, 0 op_sel_hi:[0,1,0]
	v_and_b32_e32 v47, 0xffff, v1
	v_fma_mixlo_f16 v1, v30, v31, 0 op_sel_hi:[0,1,0]
	v_fma_mixlo_f16 v31, v30, v35, 0 op_sel:[0,1,0] op_sel_hi:[0,1,0]
	v_fma_mixlo_f16 v30, v30, v34, 0 op_sel_hi:[0,1,0]
	v_lshlrev_b32_e32 v10, 16, v10
	v_and_b32_e32 v51, 0xffff, v32
	v_and_b32_e32 v52, 0xffff, v1
	v_lshlrev_b32_e32 v48, 16, v31
	v_lshlrev_b32_e32 v45, 16, v9
	v_and_b32_e32 v49, 0xffff, v30
	v_add_nc_u32_e32 v29, -7, v23
	v_cmp_eq_u32_e32 vcc_lo, s5, v28
	v_or_b32_e32 v1, v10, v47
	v_or_b32_e32 v9, v50, v52
	;; [unrolled: 1-line block ×4, first 2 shown]
	v_add_nc_u32_e32 v35, -6, v23
	v_add_nc_u32_e32 v34, -5, v23
	;; [unrolled: 1-line block ×6, first 2 shown]
	s_and_saveexec_b32 s13, vcc_lo
	s_cbranch_execz .LBB266_480
; %bb.479:                              ;   in Loop: Header=BB266_414 Depth=1
	v_cmp_gt_i32_e64 s0, s11, v29
	v_cndmask_b32_e64 v1, 0, v52, s0
	v_cmp_gt_i32_e64 s0, s11, v35
	v_cndmask_b32_e64 v9, 0, v50, s0
	v_cmp_gt_i32_e64 s0, s11, v34
	v_or_b32_e32 v9, v9, v1
	v_cndmask_b32_e64 v44, 0, v47, s0
	v_cmp_gt_i32_e64 s0, s11, v33
	v_cndmask_b32_e64 v10, 0, v10, s0
	v_cmp_gt_i32_e64 s0, s11, v32
	v_or_b32_e32 v1, v10, v44
	;; [unrolled: 5-line block ×3, first 2 shown]
	v_cndmask_b32_e64 v48, 0, v49, s0
	v_cmp_gt_i32_e64 s0, s11, v23
	v_cndmask_b32_e64 v45, 0, v45, s0
	v_or_b32_e32 v46, v45, v48
.LBB266_480:                            ;   in Loop: Header=BB266_414 Depth=1
	s_or_b32 exec_lo, exec_lo, s13
	v_and_b32_e32 v10, 0xffff, v36
	v_and_b32_e32 v36, 0xffff, v39
	;; [unrolled: 1-line block ×4, first 2 shown]
	v_lshl_or_b32 v41, v37, 16, v10
	v_lshl_or_b32 v39, v38, 16, v36
	;;#ASMSTART
	v_pk_mul_f16 v9, v41, v9;

	;;#ASMEND
	;;#ASMSTART
	v_pk_mul_f16 v1, v39, v1;

	;;#ASMEND
	v_lshl_or_b32 v37, v40, 16, v45
	v_lshl_or_b32 v36, v42, 16, v43
	;;#ASMSTART
	v_pk_mul_f16 v10, v37, v44;

	;;#ASMEND
	;;#ASMSTART
	v_pk_mul_f16 v38, v36, v46;

	;;#ASMEND
	;;#ASMSTART
	v_pk_add_f16 v1, v9, v1;

	;;#ASMEND
	;;#ASMSTART
	v_pk_add_f16 v1, v1, v10;
	;; [unrolled: 4-line block ×3, first 2 shown]

	;;#ASMEND
	v_and_b32_e32 v9, 0xffff, v1
	v_lshrrev_b32_e32 v1, 16, v1
	;;#ASMSTART
	v_cvt_f32_f16 v38, v9;
	;;#ASMEND
	;;#ASMSTART
	v_cvt_f32_f16 v40, v1;
	;;#ASMEND
	global_load_dwordx2 v[9:10], v[7:8], off offset:256
	v_mov_b32_e32 v43, 0
	v_mov_b32_e32 v44, 0
	global_load_dword v42, v43, s[14:15]
	s_waitcnt vmcnt(1)
	v_cmp_ne_u16_sdwa s0, v9, v2 src0_sel:BYTE_0 src1_sel:DWORD
	s_and_saveexec_b32 s13, s0
	s_cbranch_execz .LBB266_488
; %bb.481:                              ;   in Loop: Header=BB266_414 Depth=1
	v_cmp_ne_u16_sdwa s0, v9, v24 src0_sel:BYTE_0 src1_sel:DWORD
	v_mov_b32_e32 v44, 0x8000
	s_and_saveexec_b32 s17, s0
	s_cbranch_execz .LBB266_487
; %bb.482:                              ;   in Loop: Header=BB266_414 Depth=1
	v_and_b32_e32 v45, 0x7f, v9
	v_mov_b32_e32 v44, 0x7c01
	s_mov_b32 s18, exec_lo
	v_cmpx_ne_u32_e32 0x7f, v45
	s_cbranch_execz .LBB266_486
; %bb.483:                              ;   in Loop: Header=BB266_414 Depth=1
	v_and_b32_e32 v1, 7, v9
	v_lshrrev_b32_e32 v44, 3, v45
	s_mov_b32 s19, exec_lo
	v_cmpx_gt_u32_e32 8, v45
; %bb.484:                              ;   in Loop: Header=BB266_414 Depth=1
	v_ffbh_u32_e32 v1, v1
	v_min_u32_e32 v1, 32, v1
	v_subrev_nc_u32_e32 v44, 28, v1
	v_lshlrev_b64 v[45:46], v44, v[9:10]
	v_sub_nc_u32_e32 v44, 29, v1
	v_and_b32_e32 v1, 7, v45
; %bb.485:                              ;   in Loop: Header=BB266_414 Depth=1
	s_or_b32 exec_lo, exec_lo, s19
	v_lshlrev_b32_e32 v45, 8, v9
	v_lshl_add_u32 v44, v44, 10, 0x2000
	v_lshlrev_b32_e32 v1, 7, v1
	v_and_b32_e32 v45, 0x8000, v45
	v_and_b32_e32 v44, 0xfc00, v44
	v_or3_b32 v44, v45, v44, v1
.LBB266_486:                            ;   in Loop: Header=BB266_414 Depth=1
	s_or_b32 exec_lo, exec_lo, s18
.LBB266_487:                            ;   in Loop: Header=BB266_414 Depth=1
	s_or_b32 exec_lo, exec_lo, s17
.LBB266_488:                            ;   in Loop: Header=BB266_414 Depth=1
	s_or_b32 exec_lo, exec_lo, s13
	v_lshrrev_b16 v1, 8, v9
	s_mov_b32 s13, exec_lo
	v_cmpx_ne_u16_e32 0, v1
	s_cbranch_execz .LBB266_496
; %bb.489:                              ;   in Loop: Header=BB266_414 Depth=1
	v_bfrev_b32_e32 v43, 1
	s_mov_b32 s17, exec_lo
	v_cmpx_ne_u16_e32 0x80, v1
	s_cbranch_execz .LBB266_495
; %bb.490:                              ;   in Loop: Header=BB266_414 Depth=1
	v_and_b32_sdwa v46, v1, v25 dst_sel:DWORD dst_unused:UNUSED_PAD src0_sel:WORD_0 src1_sel:DWORD
	v_mov_b32_e32 v43, 0x7c010000
	s_mov_b32 s18, exec_lo
	v_cmpx_ne_u32_e32 0x7f, v46
	s_cbranch_execz .LBB266_494
; %bb.491:                              ;   in Loop: Header=BB266_414 Depth=1
	v_and_b32_sdwa v43, v1, v26 dst_sel:DWORD dst_unused:UNUSED_PAD src0_sel:WORD_0 src1_sel:DWORD
	v_lshrrev_b32_e32 v45, 3, v46
	s_mov_b32 s19, exec_lo
	v_cmpx_gt_u32_e32 8, v46
; %bb.492:                              ;   in Loop: Header=BB266_414 Depth=1
	v_ffbh_u32_e32 v43, v43
	v_min_u32_e32 v43, 32, v43
	v_subrev_nc_u32_e32 v45, 28, v43
	v_lshlrev_b64 v[46:47], v45, v[1:2]
	v_sub_nc_u32_e32 v45, 29, v43
	v_and_b32_e32 v43, 7, v46
; %bb.493:                              ;   in Loop: Header=BB266_414 Depth=1
	s_or_b32 exec_lo, exec_lo, s19
	v_lshlrev_b32_sdwa v1, v27, v1 dst_sel:DWORD dst_unused:UNUSED_PAD src0_sel:DWORD src1_sel:WORD_0
	v_lshl_add_u32 v45, v45, 10, 0x2000
	v_lshlrev_b32_e32 v43, 23, v43
	v_and_or_b32 v1, 0x8000, v1, v45
	v_lshl_or_b32 v43, v1, 16, v43
.LBB266_494:                            ;   in Loop: Header=BB266_414 Depth=1
	s_or_b32 exec_lo, exec_lo, s18
.LBB266_495:                            ;   in Loop: Header=BB266_414 Depth=1
	s_or_b32 exec_lo, exec_lo, s17
.LBB266_496:                            ;   in Loop: Header=BB266_414 Depth=1
	s_or_b32 exec_lo, exec_lo, s13
	v_lshrrev_b32_e32 v1, 16, v9
	v_mov_b32_e32 v45, 0
	v_mov_b32_e32 v46, 0
	v_cmp_ne_u16_sdwa s0, v1, v2 src0_sel:BYTE_0 src1_sel:DWORD
	s_and_saveexec_b32 s13, s0
	s_cbranch_execz .LBB266_504
; %bb.497:                              ;   in Loop: Header=BB266_414 Depth=1
	v_cmp_ne_u16_sdwa s0, v1, v24 src0_sel:BYTE_0 src1_sel:DWORD
	v_mov_b32_e32 v46, 0x8000
	s_and_saveexec_b32 s17, s0
	s_cbranch_execz .LBB266_503
; %bb.498:                              ;   in Loop: Header=BB266_414 Depth=1
	v_bfe_u32 v48, v9, 16, 7
	v_mov_b32_e32 v46, 0x7c01
	s_mov_b32 s18, exec_lo
	v_cmpx_ne_u32_e32 0x7f, v48
	s_cbranch_execz .LBB266_502
; %bb.499:                              ;   in Loop: Header=BB266_414 Depth=1
	v_and_b32_e32 v46, 7, v1
	v_lshrrev_b32_e32 v47, 3, v48
	s_mov_b32 s19, exec_lo
	v_cmpx_gt_u32_e32 8, v48
; %bb.500:                              ;   in Loop: Header=BB266_414 Depth=1
	v_ffbh_u32_e32 v46, v46
	v_min_u32_e32 v48, 32, v46
	v_subrev_nc_u32_e32 v46, 28, v48
	v_lshlrev_b64 v[46:47], v46, v[1:2]
	v_sub_nc_u32_e32 v47, 29, v48
	v_and_b32_e32 v46, 7, v46
; %bb.501:                              ;   in Loop: Header=BB266_414 Depth=1
	s_or_b32 exec_lo, exec_lo, s19
	v_lshlrev_b32_e32 v1, 8, v1
	v_lshl_add_u32 v47, v47, 10, 0x2000
	v_lshlrev_b32_e32 v46, 7, v46
	v_and_b32_e32 v1, 0x8000, v1
	v_and_b32_e32 v47, 0xfc00, v47
	v_or3_b32 v46, v1, v47, v46
.LBB266_502:                            ;   in Loop: Header=BB266_414 Depth=1
	s_or_b32 exec_lo, exec_lo, s18
.LBB266_503:                            ;   in Loop: Header=BB266_414 Depth=1
	s_or_b32 exec_lo, exec_lo, s17
.LBB266_504:                            ;   in Loop: Header=BB266_414 Depth=1
	s_or_b32 exec_lo, exec_lo, s13
	s_mov_b32 s13, exec_lo
	v_cmpx_lt_u32_e32 0xffffff, v9
	s_cbranch_execz .LBB266_512
; %bb.505:                              ;   in Loop: Header=BB266_414 Depth=1
	v_lshrrev_b32_e32 v1, 24, v9
	v_bfrev_b32_e32 v45, 1
	s_mov_b32 s17, exec_lo
	v_cmpx_ne_u32_e32 0x80, v1
	s_cbranch_execz .LBB266_511
; %bb.506:                              ;   in Loop: Header=BB266_414 Depth=1
	v_and_b32_e32 v48, 0x7f, v1
	v_mov_b32_e32 v45, 0x7c010000
	s_mov_b32 s18, exec_lo
	v_cmpx_ne_u32_e32 0x7f, v48
	s_cbranch_execz .LBB266_510
; %bb.507:                              ;   in Loop: Header=BB266_414 Depth=1
	v_and_b32_e32 v45, 7, v1
	v_lshrrev_b32_e32 v47, 3, v48
	s_mov_b32 s19, exec_lo
	v_cmpx_gt_u32_e32 8, v48
; %bb.508:                              ;   in Loop: Header=BB266_414 Depth=1
	v_ffbh_u32_e32 v45, v45
	v_min_u32_e32 v45, 32, v45
	v_subrev_nc_u32_e32 v47, 28, v45
	v_lshlrev_b64 v[48:49], v47, v[1:2]
	v_sub_nc_u32_e32 v47, 29, v45
	v_and_b32_e32 v45, 7, v48
; %bb.509:                              ;   in Loop: Header=BB266_414 Depth=1
	s_or_b32 exec_lo, exec_lo, s19
	v_lshlrev_b32_e32 v1, 8, v1
	v_lshl_add_u32 v47, v47, 10, 0x2000
	v_lshlrev_b32_e32 v45, 23, v45
	v_and_or_b32 v1, 0x8000, v1, v47
	v_lshl_or_b32 v45, v1, 16, v45
.LBB266_510:                            ;   in Loop: Header=BB266_414 Depth=1
	s_or_b32 exec_lo, exec_lo, s18
.LBB266_511:                            ;   in Loop: Header=BB266_414 Depth=1
	s_or_b32 exec_lo, exec_lo, s17
.LBB266_512:                            ;   in Loop: Header=BB266_414 Depth=1
	s_or_b32 exec_lo, exec_lo, s13
	v_mov_b32_e32 v1, v10
	v_cmp_ne_u16_sdwa s0, v10, v2 src0_sel:BYTE_0 src1_sel:DWORD
	v_mov_b32_e32 v47, 0
	v_mov_b32_e32 v48, 0
	s_and_saveexec_b32 s13, s0
	s_cbranch_execz .LBB266_520
; %bb.513:                              ;   in Loop: Header=BB266_414 Depth=1
	v_cmp_ne_u16_sdwa s0, v10, v24 src0_sel:BYTE_0 src1_sel:DWORD
	v_mov_b32_e32 v48, 0x8000
	s_and_saveexec_b32 s17, s0
	s_cbranch_execz .LBB266_519
; %bb.514:                              ;   in Loop: Header=BB266_414 Depth=1
	v_and_b32_e32 v50, 0x7f, v10
	v_mov_b32_e32 v48, 0x7c01
	s_mov_b32 s18, exec_lo
	v_cmpx_ne_u32_e32 0x7f, v50
	s_cbranch_execz .LBB266_518
; %bb.515:                              ;   in Loop: Header=BB266_414 Depth=1
	v_and_b32_e32 v48, 7, v10
	v_lshrrev_b32_e32 v49, 3, v50
	s_mov_b32 s19, exec_lo
	v_cmpx_gt_u32_e32 8, v50
; %bb.516:                              ;   in Loop: Header=BB266_414 Depth=1
	v_ffbh_u32_e32 v48, v48
	v_min_u32_e32 v50, 32, v48
	v_subrev_nc_u32_e32 v48, 28, v50
	v_lshlrev_b64 v[48:49], v48, v[1:2]
	v_sub_nc_u32_e32 v49, 29, v50
	v_and_b32_e32 v48, 7, v48
; %bb.517:                              ;   in Loop: Header=BB266_414 Depth=1
	s_or_b32 exec_lo, exec_lo, s19
	v_lshlrev_b32_e32 v50, 8, v10
	v_lshl_add_u32 v49, v49, 10, 0x2000
	v_lshlrev_b32_e32 v48, 7, v48
	v_and_b32_e32 v50, 0x8000, v50
	v_and_b32_e32 v49, 0xfc00, v49
	v_or3_b32 v48, v50, v49, v48
.LBB266_518:                            ;   in Loop: Header=BB266_414 Depth=1
	s_or_b32 exec_lo, exec_lo, s18
.LBB266_519:                            ;   in Loop: Header=BB266_414 Depth=1
	s_or_b32 exec_lo, exec_lo, s17
.LBB266_520:                            ;   in Loop: Header=BB266_414 Depth=1
	s_or_b32 exec_lo, exec_lo, s13
	v_lshrrev_b16 v1, 8, v1
	v_mov_b32_e32 v49, 0
	s_mov_b32 s13, exec_lo
	v_cmpx_ne_u16_e32 0, v1
	s_cbranch_execz .LBB266_528
; %bb.521:                              ;   in Loop: Header=BB266_414 Depth=1
	v_bfrev_b32_e32 v49, 1
	s_mov_b32 s17, exec_lo
	v_cmpx_ne_u16_e32 0x80, v1
	s_cbranch_execz .LBB266_527
; %bb.522:                              ;   in Loop: Header=BB266_414 Depth=1
	v_and_b32_sdwa v51, v1, v25 dst_sel:DWORD dst_unused:UNUSED_PAD src0_sel:WORD_0 src1_sel:DWORD
	v_mov_b32_e32 v49, 0x7c010000
	s_mov_b32 s18, exec_lo
	v_cmpx_ne_u32_e32 0x7f, v51
	s_cbranch_execz .LBB266_526
; %bb.523:                              ;   in Loop: Header=BB266_414 Depth=1
	v_and_b32_sdwa v49, v1, v26 dst_sel:DWORD dst_unused:UNUSED_PAD src0_sel:WORD_0 src1_sel:DWORD
	v_lshrrev_b32_e32 v50, 3, v51
	s_mov_b32 s19, exec_lo
	v_cmpx_gt_u32_e32 8, v51
; %bb.524:                              ;   in Loop: Header=BB266_414 Depth=1
	v_ffbh_u32_e32 v49, v49
	v_min_u32_e32 v51, 32, v49
	v_subrev_nc_u32_e32 v49, 28, v51
	v_lshlrev_b64 v[49:50], v49, v[1:2]
	v_sub_nc_u32_e32 v50, 29, v51
	v_and_b32_e32 v49, 7, v49
; %bb.525:                              ;   in Loop: Header=BB266_414 Depth=1
	s_or_b32 exec_lo, exec_lo, s19
	v_lshlrev_b32_sdwa v1, v27, v1 dst_sel:DWORD dst_unused:UNUSED_PAD src0_sel:DWORD src1_sel:WORD_0
	v_lshl_add_u32 v50, v50, 10, 0x2000
	v_lshlrev_b32_e32 v49, 23, v49
	v_and_or_b32 v1, 0x8000, v1, v50
	v_lshl_or_b32 v49, v1, 16, v49
.LBB266_526:                            ;   in Loop: Header=BB266_414 Depth=1
	s_or_b32 exec_lo, exec_lo, s18
.LBB266_527:                            ;   in Loop: Header=BB266_414 Depth=1
	s_or_b32 exec_lo, exec_lo, s17
.LBB266_528:                            ;   in Loop: Header=BB266_414 Depth=1
	s_or_b32 exec_lo, exec_lo, s13
	v_lshrrev_b32_e32 v1, 16, v10
	v_cmp_ne_u16_sdwa s0, v1, v2 src0_sel:BYTE_0 src1_sel:DWORD
	s_and_saveexec_b32 s13, s0
	s_cbranch_execz .LBB266_536
; %bb.529:                              ;   in Loop: Header=BB266_414 Depth=1
	v_cmp_ne_u16_sdwa s0, v1, v24 src0_sel:BYTE_0 src1_sel:DWORD
	v_mov_b32_e32 v47, 0x8000
	s_and_saveexec_b32 s17, s0
	s_cbranch_execz .LBB266_535
; %bb.530:                              ;   in Loop: Header=BB266_414 Depth=1
	v_bfe_u32 v51, v10, 16, 7
	v_mov_b32_e32 v47, 0x7c01
	s_mov_b32 s18, exec_lo
	v_cmpx_ne_u32_e32 0x7f, v51
	s_cbranch_execz .LBB266_534
; %bb.531:                              ;   in Loop: Header=BB266_414 Depth=1
	v_and_b32_e32 v47, 7, v1
	v_lshrrev_b32_e32 v50, 3, v51
	s_mov_b32 s19, exec_lo
	v_cmpx_gt_u32_e32 8, v51
; %bb.532:                              ;   in Loop: Header=BB266_414 Depth=1
	v_ffbh_u32_e32 v47, v47
	v_min_u32_e32 v47, 32, v47
	v_subrev_nc_u32_e32 v50, 28, v47
	v_lshlrev_b64 v[51:52], v50, v[1:2]
	v_sub_nc_u32_e32 v50, 29, v47
	v_and_b32_e32 v47, 7, v51
; %bb.533:                              ;   in Loop: Header=BB266_414 Depth=1
	s_or_b32 exec_lo, exec_lo, s19
	v_lshlrev_b32_e32 v1, 8, v1
	v_lshl_add_u32 v50, v50, 10, 0x2000
	v_lshlrev_b32_e32 v47, 7, v47
	v_and_b32_e32 v1, 0x8000, v1
	v_and_b32_e32 v50, 0xfc00, v50
	v_or3_b32 v47, v1, v50, v47
.LBB266_534:                            ;   in Loop: Header=BB266_414 Depth=1
	s_or_b32 exec_lo, exec_lo, s18
.LBB266_535:                            ;   in Loop: Header=BB266_414 Depth=1
	s_or_b32 exec_lo, exec_lo, s17
.LBB266_536:                            ;   in Loop: Header=BB266_414 Depth=1
	s_or_b32 exec_lo, exec_lo, s13
	v_cmp_lt_u64_e64 s0, s[2:3], v[9:10]
	v_mov_b32_e32 v9, 0
	s_and_saveexec_b32 s13, s0
	s_cbranch_execz .LBB266_544
; %bb.537:                              ;   in Loop: Header=BB266_414 Depth=1
	v_lshrrev_b32_e32 v1, 24, v10
	v_bfrev_b32_e32 v9, 1
	s_mov_b32 s17, exec_lo
	v_cmpx_ne_u32_e32 0x80, v1
	s_cbranch_execz .LBB266_543
; %bb.538:                              ;   in Loop: Header=BB266_414 Depth=1
	v_and_b32_e32 v50, 0x7f, v1
	v_mov_b32_e32 v9, 0x7c010000
	s_mov_b32 s18, exec_lo
	v_cmpx_ne_u32_e32 0x7f, v50
	s_cbranch_execz .LBB266_542
; %bb.539:                              ;   in Loop: Header=BB266_414 Depth=1
	v_and_b32_e32 v9, 7, v1
	v_lshrrev_b32_e32 v10, 3, v50
	s_mov_b32 s19, exec_lo
	v_cmpx_gt_u32_e32 8, v50
; %bb.540:                              ;   in Loop: Header=BB266_414 Depth=1
	v_ffbh_u32_e32 v9, v9
	v_min_u32_e32 v50, 32, v9
	v_subrev_nc_u32_e32 v9, 28, v50
	v_lshlrev_b64 v[9:10], v9, v[1:2]
	v_sub_nc_u32_e32 v10, 29, v50
	v_and_b32_e32 v9, 7, v9
; %bb.541:                              ;   in Loop: Header=BB266_414 Depth=1
	s_or_b32 exec_lo, exec_lo, s19
	v_lshlrev_b32_e32 v1, 8, v1
	v_lshl_add_u32 v10, v10, 10, 0x2000
	v_lshlrev_b32_e32 v9, 23, v9
	v_and_or_b32 v1, 0x8000, v1, v10
	v_lshl_or_b32 v9, v1, 16, v9
.LBB266_542:                            ;   in Loop: Header=BB266_414 Depth=1
	s_or_b32 exec_lo, exec_lo, s18
.LBB266_543:                            ;   in Loop: Header=BB266_414 Depth=1
	s_or_b32 exec_lo, exec_lo, s17
.LBB266_544:                            ;   in Loop: Header=BB266_414 Depth=1
	s_or_b32 exec_lo, exec_lo, s13
	v_or_b32_e32 v1, v45, v46
	s_waitcnt vmcnt(0)
	v_fma_mixlo_f16 v10, v42, v45, 0 op_sel:[0,1,0] op_sel_hi:[0,1,0]
	v_or_b32_e32 v45, v43, v44
	v_fma_mixlo_f16 v43, v42, v43, 0 op_sel:[0,1,0] op_sel_hi:[0,1,0]
	v_or_b32_e32 v46, v49, v48
	v_or_b32_e32 v47, v9, v47
	v_fma_mixlo_f16 v48, v42, v1, 0 op_sel_hi:[0,1,0]
	v_fma_mixlo_f16 v9, v42, v9, 0 op_sel:[0,1,0] op_sel_hi:[0,1,0]
	v_lshlrev_b32_e32 v44, 16, v43
	v_fma_mixlo_f16 v43, v42, v45, 0 op_sel_hi:[0,1,0]
	v_fma_mixlo_f16 v45, v42, v49, 0 op_sel:[0,1,0] op_sel_hi:[0,1,0]
	v_fma_mixlo_f16 v46, v42, v46, 0 op_sel_hi:[0,1,0]
	v_fma_mixlo_f16 v47, v42, v47, 0 op_sel_hi:[0,1,0]
	v_lshlrev_b32_e32 v1, 16, v10
	v_and_b32_e32 v10, 0xffff, v48
	v_and_b32_e32 v50, 0xffff, v43
	v_lshlrev_b32_e32 v42, 16, v45
	v_and_b32_e32 v46, 0xffff, v46
	v_lshlrev_b32_e32 v9, 16, v9
	v_and_b32_e32 v43, 0xffff, v47
	v_or_b32_e32 v45, v1, v10
	v_or_b32_e32 v49, v44, v50
	;; [unrolled: 1-line block ×4, first 2 shown]
	s_and_saveexec_b32 s13, vcc_lo
	s_cbranch_execz .LBB266_546
; %bb.545:                              ;   in Loop: Header=BB266_414 Depth=1
	v_cmp_gt_i32_e64 s0, s11, v29
	v_cndmask_b32_e64 v45, 0, v50, s0
	v_cmp_gt_i32_e64 s0, s11, v35
	v_cndmask_b32_e64 v44, 0, v44, s0
	v_cmp_gt_i32_e64 s0, s11, v34
	v_or_b32_e32 v49, v44, v45
	v_cndmask_b32_e64 v10, 0, v10, s0
	v_cmp_gt_i32_e64 s0, s11, v33
	v_cndmask_b32_e64 v1, 0, v1, s0
	v_cmp_gt_i32_e64 s0, s11, v32
	v_or_b32_e32 v45, v1, v10
	;; [unrolled: 5-line block ×3, first 2 shown]
	v_cndmask_b32_e64 v43, 0, v43, s0
	v_cmp_gt_i32_e64 s0, s11, v23
	v_cndmask_b32_e64 v9, 0, v9, s0
	v_or_b32_e32 v47, v9, v43
.LBB266_546:                            ;   in Loop: Header=BB266_414 Depth=1
	s_or_b32 exec_lo, exec_lo, s13
	;;#ASMSTART
	v_pk_mul_f16 v1, v41, v49;

	;;#ASMEND
	;;#ASMSTART
	v_pk_mul_f16 v9, v39, v45;

	;;#ASMEND
	;; [unrolled: 4-line block ×4, first 2 shown]
	;;#ASMSTART
	v_pk_add_f16 v1, v1, v9;

	;;#ASMEND
	;;#ASMSTART
	v_pk_add_f16 v1, v1, v10;

	;;#ASMEND
	;;#ASMSTART
	v_pk_add_f16 v1, v1, v42;

	;;#ASMEND
	v_and_b32_e32 v9, 0xffff, v1
	v_lshrrev_b32_e32 v1, 16, v1
	;;#ASMSTART
	v_cvt_f32_f16 v42, v9;
	;;#ASMEND
	;;#ASMSTART
	v_cvt_f32_f16 v43, v1;
	;;#ASMEND
	global_load_dwordx2 v[9:10], v[7:8], off offset:512
	v_mov_b32_e32 v45, 0
	v_mov_b32_e32 v46, 0
	global_load_dword v44, v45, s[14:15]
	s_waitcnt vmcnt(1)
	v_cmp_ne_u16_sdwa s0, v9, v2 src0_sel:BYTE_0 src1_sel:DWORD
	s_and_saveexec_b32 s13, s0
	s_cbranch_execz .LBB266_554
; %bb.547:                              ;   in Loop: Header=BB266_414 Depth=1
	v_cmp_ne_u16_sdwa s0, v9, v24 src0_sel:BYTE_0 src1_sel:DWORD
	v_mov_b32_e32 v46, 0x8000
	s_and_saveexec_b32 s17, s0
	s_cbranch_execz .LBB266_553
; %bb.548:                              ;   in Loop: Header=BB266_414 Depth=1
	v_and_b32_e32 v47, 0x7f, v9
	v_mov_b32_e32 v46, 0x7c01
	s_mov_b32 s18, exec_lo
	v_cmpx_ne_u32_e32 0x7f, v47
	s_cbranch_execz .LBB266_552
; %bb.549:                              ;   in Loop: Header=BB266_414 Depth=1
	v_and_b32_e32 v1, 7, v9
	v_lshrrev_b32_e32 v46, 3, v47
	s_mov_b32 s19, exec_lo
	v_cmpx_gt_u32_e32 8, v47
; %bb.550:                              ;   in Loop: Header=BB266_414 Depth=1
	v_ffbh_u32_e32 v1, v1
	v_min_u32_e32 v1, 32, v1
	v_subrev_nc_u32_e32 v46, 28, v1
	v_lshlrev_b64 v[47:48], v46, v[9:10]
	v_sub_nc_u32_e32 v46, 29, v1
	v_and_b32_e32 v1, 7, v47
; %bb.551:                              ;   in Loop: Header=BB266_414 Depth=1
	s_or_b32 exec_lo, exec_lo, s19
	v_lshlrev_b32_e32 v47, 8, v9
	v_lshl_add_u32 v46, v46, 10, 0x2000
	v_lshlrev_b32_e32 v1, 7, v1
	v_and_b32_e32 v47, 0x8000, v47
	v_and_b32_e32 v46, 0xfc00, v46
	v_or3_b32 v46, v47, v46, v1
.LBB266_552:                            ;   in Loop: Header=BB266_414 Depth=1
	s_or_b32 exec_lo, exec_lo, s18
.LBB266_553:                            ;   in Loop: Header=BB266_414 Depth=1
	s_or_b32 exec_lo, exec_lo, s17
.LBB266_554:                            ;   in Loop: Header=BB266_414 Depth=1
	s_or_b32 exec_lo, exec_lo, s13
	v_lshrrev_b16 v1, 8, v9
	s_mov_b32 s13, exec_lo
	v_cmpx_ne_u16_e32 0, v1
	s_cbranch_execz .LBB266_562
; %bb.555:                              ;   in Loop: Header=BB266_414 Depth=1
	v_bfrev_b32_e32 v45, 1
	s_mov_b32 s17, exec_lo
	v_cmpx_ne_u16_e32 0x80, v1
	s_cbranch_execz .LBB266_561
; %bb.556:                              ;   in Loop: Header=BB266_414 Depth=1
	v_and_b32_sdwa v48, v1, v25 dst_sel:DWORD dst_unused:UNUSED_PAD src0_sel:WORD_0 src1_sel:DWORD
	v_mov_b32_e32 v45, 0x7c010000
	s_mov_b32 s18, exec_lo
	v_cmpx_ne_u32_e32 0x7f, v48
	s_cbranch_execz .LBB266_560
; %bb.557:                              ;   in Loop: Header=BB266_414 Depth=1
	v_and_b32_sdwa v45, v1, v26 dst_sel:DWORD dst_unused:UNUSED_PAD src0_sel:WORD_0 src1_sel:DWORD
	v_lshrrev_b32_e32 v47, 3, v48
	s_mov_b32 s19, exec_lo
	v_cmpx_gt_u32_e32 8, v48
; %bb.558:                              ;   in Loop: Header=BB266_414 Depth=1
	v_ffbh_u32_e32 v45, v45
	v_min_u32_e32 v45, 32, v45
	v_subrev_nc_u32_e32 v47, 28, v45
	v_lshlrev_b64 v[48:49], v47, v[1:2]
	v_sub_nc_u32_e32 v47, 29, v45
	v_and_b32_e32 v45, 7, v48
; %bb.559:                              ;   in Loop: Header=BB266_414 Depth=1
	s_or_b32 exec_lo, exec_lo, s19
	v_lshlrev_b32_sdwa v1, v27, v1 dst_sel:DWORD dst_unused:UNUSED_PAD src0_sel:DWORD src1_sel:WORD_0
	v_lshl_add_u32 v47, v47, 10, 0x2000
	v_lshlrev_b32_e32 v45, 23, v45
	v_and_or_b32 v1, 0x8000, v1, v47
	v_lshl_or_b32 v45, v1, 16, v45
.LBB266_560:                            ;   in Loop: Header=BB266_414 Depth=1
	s_or_b32 exec_lo, exec_lo, s18
.LBB266_561:                            ;   in Loop: Header=BB266_414 Depth=1
	s_or_b32 exec_lo, exec_lo, s17
.LBB266_562:                            ;   in Loop: Header=BB266_414 Depth=1
	s_or_b32 exec_lo, exec_lo, s13
	v_lshrrev_b32_e32 v1, 16, v9
	v_mov_b32_e32 v47, 0
	v_mov_b32_e32 v48, 0
	v_cmp_ne_u16_sdwa s0, v1, v2 src0_sel:BYTE_0 src1_sel:DWORD
	s_and_saveexec_b32 s13, s0
	s_cbranch_execz .LBB266_570
; %bb.563:                              ;   in Loop: Header=BB266_414 Depth=1
	v_cmp_ne_u16_sdwa s0, v1, v24 src0_sel:BYTE_0 src1_sel:DWORD
	v_mov_b32_e32 v48, 0x8000
	s_and_saveexec_b32 s17, s0
	s_cbranch_execz .LBB266_569
; %bb.564:                              ;   in Loop: Header=BB266_414 Depth=1
	v_bfe_u32 v50, v9, 16, 7
	v_mov_b32_e32 v48, 0x7c01
	s_mov_b32 s18, exec_lo
	v_cmpx_ne_u32_e32 0x7f, v50
	s_cbranch_execz .LBB266_568
; %bb.565:                              ;   in Loop: Header=BB266_414 Depth=1
	v_and_b32_e32 v48, 7, v1
	v_lshrrev_b32_e32 v49, 3, v50
	s_mov_b32 s19, exec_lo
	v_cmpx_gt_u32_e32 8, v50
; %bb.566:                              ;   in Loop: Header=BB266_414 Depth=1
	v_ffbh_u32_e32 v48, v48
	v_min_u32_e32 v50, 32, v48
	v_subrev_nc_u32_e32 v48, 28, v50
	v_lshlrev_b64 v[48:49], v48, v[1:2]
	v_sub_nc_u32_e32 v49, 29, v50
	v_and_b32_e32 v48, 7, v48
; %bb.567:                              ;   in Loop: Header=BB266_414 Depth=1
	s_or_b32 exec_lo, exec_lo, s19
	v_lshlrev_b32_e32 v1, 8, v1
	v_lshl_add_u32 v49, v49, 10, 0x2000
	v_lshlrev_b32_e32 v48, 7, v48
	v_and_b32_e32 v1, 0x8000, v1
	v_and_b32_e32 v49, 0xfc00, v49
	v_or3_b32 v48, v1, v49, v48
.LBB266_568:                            ;   in Loop: Header=BB266_414 Depth=1
	s_or_b32 exec_lo, exec_lo, s18
.LBB266_569:                            ;   in Loop: Header=BB266_414 Depth=1
	s_or_b32 exec_lo, exec_lo, s17
.LBB266_570:                            ;   in Loop: Header=BB266_414 Depth=1
	s_or_b32 exec_lo, exec_lo, s13
	s_mov_b32 s13, exec_lo
	v_cmpx_lt_u32_e32 0xffffff, v9
	s_cbranch_execz .LBB266_578
; %bb.571:                              ;   in Loop: Header=BB266_414 Depth=1
	v_lshrrev_b32_e32 v1, 24, v9
	v_bfrev_b32_e32 v47, 1
	s_mov_b32 s17, exec_lo
	v_cmpx_ne_u32_e32 0x80, v1
	s_cbranch_execz .LBB266_577
; %bb.572:                              ;   in Loop: Header=BB266_414 Depth=1
	v_and_b32_e32 v50, 0x7f, v1
	v_mov_b32_e32 v47, 0x7c010000
	s_mov_b32 s18, exec_lo
	v_cmpx_ne_u32_e32 0x7f, v50
	s_cbranch_execz .LBB266_576
; %bb.573:                              ;   in Loop: Header=BB266_414 Depth=1
	v_and_b32_e32 v47, 7, v1
	v_lshrrev_b32_e32 v49, 3, v50
	s_mov_b32 s19, exec_lo
	v_cmpx_gt_u32_e32 8, v50
; %bb.574:                              ;   in Loop: Header=BB266_414 Depth=1
	v_ffbh_u32_e32 v47, v47
	v_min_u32_e32 v47, 32, v47
	v_subrev_nc_u32_e32 v49, 28, v47
	v_lshlrev_b64 v[50:51], v49, v[1:2]
	v_sub_nc_u32_e32 v49, 29, v47
	v_and_b32_e32 v47, 7, v50
; %bb.575:                              ;   in Loop: Header=BB266_414 Depth=1
	s_or_b32 exec_lo, exec_lo, s19
	v_lshlrev_b32_e32 v1, 8, v1
	v_lshl_add_u32 v49, v49, 10, 0x2000
	v_lshlrev_b32_e32 v47, 23, v47
	v_and_or_b32 v1, 0x8000, v1, v49
	v_lshl_or_b32 v47, v1, 16, v47
.LBB266_576:                            ;   in Loop: Header=BB266_414 Depth=1
	s_or_b32 exec_lo, exec_lo, s18
.LBB266_577:                            ;   in Loop: Header=BB266_414 Depth=1
	s_or_b32 exec_lo, exec_lo, s17
.LBB266_578:                            ;   in Loop: Header=BB266_414 Depth=1
	s_or_b32 exec_lo, exec_lo, s13
	v_mov_b32_e32 v1, v10
	v_cmp_ne_u16_sdwa s0, v10, v2 src0_sel:BYTE_0 src1_sel:DWORD
	v_mov_b32_e32 v49, 0
	v_mov_b32_e32 v50, 0
	s_and_saveexec_b32 s13, s0
	s_cbranch_execz .LBB266_586
; %bb.579:                              ;   in Loop: Header=BB266_414 Depth=1
	v_cmp_ne_u16_sdwa s0, v10, v24 src0_sel:BYTE_0 src1_sel:DWORD
	v_mov_b32_e32 v50, 0x8000
	s_and_saveexec_b32 s17, s0
	s_cbranch_execz .LBB266_585
; %bb.580:                              ;   in Loop: Header=BB266_414 Depth=1
	v_and_b32_e32 v52, 0x7f, v10
	v_mov_b32_e32 v50, 0x7c01
	s_mov_b32 s18, exec_lo
	v_cmpx_ne_u32_e32 0x7f, v52
	s_cbranch_execz .LBB266_584
; %bb.581:                              ;   in Loop: Header=BB266_414 Depth=1
	v_and_b32_e32 v50, 7, v10
	v_lshrrev_b32_e32 v51, 3, v52
	s_mov_b32 s19, exec_lo
	v_cmpx_gt_u32_e32 8, v52
; %bb.582:                              ;   in Loop: Header=BB266_414 Depth=1
	v_ffbh_u32_e32 v50, v50
	v_min_u32_e32 v52, 32, v50
	v_subrev_nc_u32_e32 v50, 28, v52
	v_lshlrev_b64 v[50:51], v50, v[1:2]
	v_sub_nc_u32_e32 v51, 29, v52
	v_and_b32_e32 v50, 7, v50
; %bb.583:                              ;   in Loop: Header=BB266_414 Depth=1
	s_or_b32 exec_lo, exec_lo, s19
	v_lshlrev_b32_e32 v52, 8, v10
	v_lshl_add_u32 v51, v51, 10, 0x2000
	v_lshlrev_b32_e32 v50, 7, v50
	v_and_b32_e32 v52, 0x8000, v52
	v_and_b32_e32 v51, 0xfc00, v51
	v_or3_b32 v50, v52, v51, v50
.LBB266_584:                            ;   in Loop: Header=BB266_414 Depth=1
	s_or_b32 exec_lo, exec_lo, s18
.LBB266_585:                            ;   in Loop: Header=BB266_414 Depth=1
	s_or_b32 exec_lo, exec_lo, s17
.LBB266_586:                            ;   in Loop: Header=BB266_414 Depth=1
	s_or_b32 exec_lo, exec_lo, s13
	v_lshrrev_b16 v1, 8, v1
	v_mov_b32_e32 v51, 0
	s_mov_b32 s13, exec_lo
	v_cmpx_ne_u16_e32 0, v1
	s_cbranch_execz .LBB266_594
; %bb.587:                              ;   in Loop: Header=BB266_414 Depth=1
	v_bfrev_b32_e32 v51, 1
	s_mov_b32 s17, exec_lo
	v_cmpx_ne_u16_e32 0x80, v1
	s_cbranch_execz .LBB266_593
; %bb.588:                              ;   in Loop: Header=BB266_414 Depth=1
	v_and_b32_sdwa v53, v1, v25 dst_sel:DWORD dst_unused:UNUSED_PAD src0_sel:WORD_0 src1_sel:DWORD
	v_mov_b32_e32 v51, 0x7c010000
	s_mov_b32 s18, exec_lo
	v_cmpx_ne_u32_e32 0x7f, v53
	s_cbranch_execz .LBB266_592
; %bb.589:                              ;   in Loop: Header=BB266_414 Depth=1
	v_and_b32_sdwa v51, v1, v26 dst_sel:DWORD dst_unused:UNUSED_PAD src0_sel:WORD_0 src1_sel:DWORD
	v_lshrrev_b32_e32 v52, 3, v53
	s_mov_b32 s19, exec_lo
	v_cmpx_gt_u32_e32 8, v53
; %bb.590:                              ;   in Loop: Header=BB266_414 Depth=1
	v_ffbh_u32_e32 v51, v51
	v_min_u32_e32 v53, 32, v51
	v_subrev_nc_u32_e32 v51, 28, v53
	v_lshlrev_b64 v[51:52], v51, v[1:2]
	v_sub_nc_u32_e32 v52, 29, v53
	v_and_b32_e32 v51, 7, v51
; %bb.591:                              ;   in Loop: Header=BB266_414 Depth=1
	s_or_b32 exec_lo, exec_lo, s19
	v_lshlrev_b32_sdwa v1, v27, v1 dst_sel:DWORD dst_unused:UNUSED_PAD src0_sel:DWORD src1_sel:WORD_0
	v_lshl_add_u32 v52, v52, 10, 0x2000
	v_lshlrev_b32_e32 v51, 23, v51
	v_and_or_b32 v1, 0x8000, v1, v52
	v_lshl_or_b32 v51, v1, 16, v51
.LBB266_592:                            ;   in Loop: Header=BB266_414 Depth=1
	s_or_b32 exec_lo, exec_lo, s18
.LBB266_593:                            ;   in Loop: Header=BB266_414 Depth=1
	s_or_b32 exec_lo, exec_lo, s17
.LBB266_594:                            ;   in Loop: Header=BB266_414 Depth=1
	s_or_b32 exec_lo, exec_lo, s13
	v_lshrrev_b32_e32 v1, 16, v10
	v_cmp_ne_u16_sdwa s0, v1, v2 src0_sel:BYTE_0 src1_sel:DWORD
	s_and_saveexec_b32 s13, s0
	s_cbranch_execz .LBB266_602
; %bb.595:                              ;   in Loop: Header=BB266_414 Depth=1
	v_cmp_ne_u16_sdwa s0, v1, v24 src0_sel:BYTE_0 src1_sel:DWORD
	v_mov_b32_e32 v49, 0x8000
	s_and_saveexec_b32 s17, s0
	s_cbranch_execz .LBB266_601
; %bb.596:                              ;   in Loop: Header=BB266_414 Depth=1
	v_bfe_u32 v53, v10, 16, 7
	v_mov_b32_e32 v49, 0x7c01
	s_mov_b32 s18, exec_lo
	v_cmpx_ne_u32_e32 0x7f, v53
	s_cbranch_execz .LBB266_600
; %bb.597:                              ;   in Loop: Header=BB266_414 Depth=1
	v_and_b32_e32 v49, 7, v1
	v_lshrrev_b32_e32 v52, 3, v53
	s_mov_b32 s19, exec_lo
	v_cmpx_gt_u32_e32 8, v53
; %bb.598:                              ;   in Loop: Header=BB266_414 Depth=1
	v_ffbh_u32_e32 v49, v49
	v_min_u32_e32 v49, 32, v49
	v_subrev_nc_u32_e32 v52, 28, v49
	v_lshlrev_b64 v[53:54], v52, v[1:2]
	v_sub_nc_u32_e32 v52, 29, v49
	v_and_b32_e32 v49, 7, v53
; %bb.599:                              ;   in Loop: Header=BB266_414 Depth=1
	s_or_b32 exec_lo, exec_lo, s19
	v_lshlrev_b32_e32 v1, 8, v1
	v_lshl_add_u32 v52, v52, 10, 0x2000
	v_lshlrev_b32_e32 v49, 7, v49
	v_and_b32_e32 v1, 0x8000, v1
	v_and_b32_e32 v52, 0xfc00, v52
	v_or3_b32 v49, v1, v52, v49
.LBB266_600:                            ;   in Loop: Header=BB266_414 Depth=1
	s_or_b32 exec_lo, exec_lo, s18
.LBB266_601:                            ;   in Loop: Header=BB266_414 Depth=1
	s_or_b32 exec_lo, exec_lo, s17
.LBB266_602:                            ;   in Loop: Header=BB266_414 Depth=1
	s_or_b32 exec_lo, exec_lo, s13
	v_cmp_lt_u64_e64 s0, s[2:3], v[9:10]
	v_mov_b32_e32 v9, 0
	s_and_saveexec_b32 s13, s0
	s_cbranch_execz .LBB266_610
; %bb.603:                              ;   in Loop: Header=BB266_414 Depth=1
	v_lshrrev_b32_e32 v1, 24, v10
	v_bfrev_b32_e32 v9, 1
	s_mov_b32 s17, exec_lo
	v_cmpx_ne_u32_e32 0x80, v1
	s_cbranch_execz .LBB266_609
; %bb.604:                              ;   in Loop: Header=BB266_414 Depth=1
	v_and_b32_e32 v52, 0x7f, v1
	v_mov_b32_e32 v9, 0x7c010000
	s_mov_b32 s18, exec_lo
	v_cmpx_ne_u32_e32 0x7f, v52
	s_cbranch_execz .LBB266_608
; %bb.605:                              ;   in Loop: Header=BB266_414 Depth=1
	v_and_b32_e32 v9, 7, v1
	v_lshrrev_b32_e32 v10, 3, v52
	s_mov_b32 s19, exec_lo
	v_cmpx_gt_u32_e32 8, v52
; %bb.606:                              ;   in Loop: Header=BB266_414 Depth=1
	v_ffbh_u32_e32 v9, v9
	v_min_u32_e32 v52, 32, v9
	v_subrev_nc_u32_e32 v9, 28, v52
	v_lshlrev_b64 v[9:10], v9, v[1:2]
	v_sub_nc_u32_e32 v10, 29, v52
	v_and_b32_e32 v9, 7, v9
; %bb.607:                              ;   in Loop: Header=BB266_414 Depth=1
	s_or_b32 exec_lo, exec_lo, s19
	v_lshlrev_b32_e32 v1, 8, v1
	v_lshl_add_u32 v10, v10, 10, 0x2000
	v_lshlrev_b32_e32 v9, 23, v9
	v_and_or_b32 v1, 0x8000, v1, v10
	v_lshl_or_b32 v9, v1, 16, v9
.LBB266_608:                            ;   in Loop: Header=BB266_414 Depth=1
	s_or_b32 exec_lo, exec_lo, s18
.LBB266_609:                            ;   in Loop: Header=BB266_414 Depth=1
	s_or_b32 exec_lo, exec_lo, s17
.LBB266_610:                            ;   in Loop: Header=BB266_414 Depth=1
	s_or_b32 exec_lo, exec_lo, s13
	v_or_b32_e32 v1, v47, v48
	s_waitcnt vmcnt(0)
	v_fma_mixlo_f16 v10, v44, v47, 0 op_sel:[0,1,0] op_sel_hi:[0,1,0]
	v_or_b32_e32 v47, v45, v46
	v_fma_mixlo_f16 v45, v44, v45, 0 op_sel:[0,1,0] op_sel_hi:[0,1,0]
	v_or_b32_e32 v48, v51, v50
	v_or_b32_e32 v49, v9, v49
	v_fma_mixlo_f16 v50, v44, v1, 0 op_sel_hi:[0,1,0]
	v_fma_mixlo_f16 v9, v44, v9, 0 op_sel:[0,1,0] op_sel_hi:[0,1,0]
	v_lshlrev_b32_e32 v46, 16, v45
	v_fma_mixlo_f16 v45, v44, v47, 0 op_sel_hi:[0,1,0]
	v_fma_mixlo_f16 v47, v44, v51, 0 op_sel:[0,1,0] op_sel_hi:[0,1,0]
	v_fma_mixlo_f16 v48, v44, v48, 0 op_sel_hi:[0,1,0]
	v_fma_mixlo_f16 v49, v44, v49, 0 op_sel_hi:[0,1,0]
	v_lshlrev_b32_e32 v1, 16, v10
	v_and_b32_e32 v10, 0xffff, v50
	v_and_b32_e32 v52, 0xffff, v45
	v_lshlrev_b32_e32 v44, 16, v47
	v_and_b32_e32 v48, 0xffff, v48
	v_lshlrev_b32_e32 v9, 16, v9
	v_and_b32_e32 v45, 0xffff, v49
	v_or_b32_e32 v47, v1, v10
	v_or_b32_e32 v51, v46, v52
	;; [unrolled: 1-line block ×4, first 2 shown]
	s_and_saveexec_b32 s13, vcc_lo
	s_cbranch_execz .LBB266_612
; %bb.611:                              ;   in Loop: Header=BB266_414 Depth=1
	v_cmp_gt_i32_e64 s0, s11, v29
	v_cndmask_b32_e64 v47, 0, v52, s0
	v_cmp_gt_i32_e64 s0, s11, v35
	v_cndmask_b32_e64 v46, 0, v46, s0
	v_cmp_gt_i32_e64 s0, s11, v34
	v_or_b32_e32 v51, v46, v47
	v_cndmask_b32_e64 v10, 0, v10, s0
	v_cmp_gt_i32_e64 s0, s11, v33
	v_cndmask_b32_e64 v1, 0, v1, s0
	v_cmp_gt_i32_e64 s0, s11, v32
	v_or_b32_e32 v47, v1, v10
	;; [unrolled: 5-line block ×3, first 2 shown]
	v_cndmask_b32_e64 v45, 0, v45, s0
	v_cmp_gt_i32_e64 s0, s11, v23
	v_cndmask_b32_e64 v9, 0, v9, s0
	v_or_b32_e32 v49, v9, v45
.LBB266_612:                            ;   in Loop: Header=BB266_414 Depth=1
	s_or_b32 exec_lo, exec_lo, s13
	;;#ASMSTART
	v_pk_mul_f16 v1, v41, v51;

	;;#ASMEND
	;;#ASMSTART
	v_pk_mul_f16 v9, v39, v47;

	;;#ASMEND
	;; [unrolled: 4-line block ×4, first 2 shown]
	;;#ASMSTART
	v_pk_add_f16 v1, v1, v9;

	;;#ASMEND
	;;#ASMSTART
	v_pk_add_f16 v1, v1, v10;

	;;#ASMEND
	;; [unrolled: 4-line block ×3, first 2 shown]
	v_and_b32_e32 v9, 0xffff, v1
	v_lshrrev_b32_e32 v1, 16, v1
	;;#ASMSTART
	v_cvt_f32_f16 v44, v9;
	;;#ASMEND
	;;#ASMSTART
	v_cvt_f32_f16 v45, v1;
	;;#ASMEND
	global_load_dwordx2 v[9:10], v[7:8], off offset:768
	v_mov_b32_e32 v47, 0
	v_mov_b32_e32 v48, 0
	global_load_dword v46, v47, s[14:15]
	s_waitcnt vmcnt(1)
	v_cmp_ne_u16_sdwa s0, v9, v2 src0_sel:BYTE_0 src1_sel:DWORD
	s_and_saveexec_b32 s13, s0
	s_cbranch_execz .LBB266_620
; %bb.613:                              ;   in Loop: Header=BB266_414 Depth=1
	v_cmp_ne_u16_sdwa s0, v9, v24 src0_sel:BYTE_0 src1_sel:DWORD
	v_mov_b32_e32 v48, 0x8000
	s_and_saveexec_b32 s17, s0
	s_cbranch_execz .LBB266_619
; %bb.614:                              ;   in Loop: Header=BB266_414 Depth=1
	v_and_b32_e32 v49, 0x7f, v9
	v_mov_b32_e32 v48, 0x7c01
	s_mov_b32 s18, exec_lo
	v_cmpx_ne_u32_e32 0x7f, v49
	s_cbranch_execz .LBB266_618
; %bb.615:                              ;   in Loop: Header=BB266_414 Depth=1
	v_and_b32_e32 v1, 7, v9
	v_lshrrev_b32_e32 v48, 3, v49
	s_mov_b32 s19, exec_lo
	v_cmpx_gt_u32_e32 8, v49
; %bb.616:                              ;   in Loop: Header=BB266_414 Depth=1
	v_ffbh_u32_e32 v1, v1
	v_min_u32_e32 v1, 32, v1
	v_subrev_nc_u32_e32 v48, 28, v1
	v_lshlrev_b64 v[49:50], v48, v[9:10]
	v_sub_nc_u32_e32 v48, 29, v1
	v_and_b32_e32 v1, 7, v49
; %bb.617:                              ;   in Loop: Header=BB266_414 Depth=1
	s_or_b32 exec_lo, exec_lo, s19
	v_lshlrev_b32_e32 v49, 8, v9
	v_lshl_add_u32 v48, v48, 10, 0x2000
	v_lshlrev_b32_e32 v1, 7, v1
	v_and_b32_e32 v49, 0x8000, v49
	v_and_b32_e32 v48, 0xfc00, v48
	v_or3_b32 v48, v49, v48, v1
.LBB266_618:                            ;   in Loop: Header=BB266_414 Depth=1
	s_or_b32 exec_lo, exec_lo, s18
.LBB266_619:                            ;   in Loop: Header=BB266_414 Depth=1
	s_or_b32 exec_lo, exec_lo, s17
.LBB266_620:                            ;   in Loop: Header=BB266_414 Depth=1
	s_or_b32 exec_lo, exec_lo, s13
	v_lshrrev_b16 v1, 8, v9
	s_mov_b32 s13, exec_lo
	v_cmpx_ne_u16_e32 0, v1
	s_cbranch_execz .LBB266_628
; %bb.621:                              ;   in Loop: Header=BB266_414 Depth=1
	v_bfrev_b32_e32 v47, 1
	s_mov_b32 s17, exec_lo
	v_cmpx_ne_u16_e32 0x80, v1
	s_cbranch_execz .LBB266_627
; %bb.622:                              ;   in Loop: Header=BB266_414 Depth=1
	v_and_b32_sdwa v50, v1, v25 dst_sel:DWORD dst_unused:UNUSED_PAD src0_sel:WORD_0 src1_sel:DWORD
	v_mov_b32_e32 v47, 0x7c010000
	s_mov_b32 s18, exec_lo
	v_cmpx_ne_u32_e32 0x7f, v50
	s_cbranch_execz .LBB266_626
; %bb.623:                              ;   in Loop: Header=BB266_414 Depth=1
	v_and_b32_sdwa v47, v1, v26 dst_sel:DWORD dst_unused:UNUSED_PAD src0_sel:WORD_0 src1_sel:DWORD
	v_lshrrev_b32_e32 v49, 3, v50
	s_mov_b32 s19, exec_lo
	v_cmpx_gt_u32_e32 8, v50
; %bb.624:                              ;   in Loop: Header=BB266_414 Depth=1
	v_ffbh_u32_e32 v47, v47
	v_min_u32_e32 v47, 32, v47
	v_subrev_nc_u32_e32 v49, 28, v47
	v_lshlrev_b64 v[50:51], v49, v[1:2]
	v_sub_nc_u32_e32 v49, 29, v47
	v_and_b32_e32 v47, 7, v50
; %bb.625:                              ;   in Loop: Header=BB266_414 Depth=1
	s_or_b32 exec_lo, exec_lo, s19
	v_lshlrev_b32_sdwa v1, v27, v1 dst_sel:DWORD dst_unused:UNUSED_PAD src0_sel:DWORD src1_sel:WORD_0
	v_lshl_add_u32 v49, v49, 10, 0x2000
	v_lshlrev_b32_e32 v47, 23, v47
	v_and_or_b32 v1, 0x8000, v1, v49
	v_lshl_or_b32 v47, v1, 16, v47
.LBB266_626:                            ;   in Loop: Header=BB266_414 Depth=1
	s_or_b32 exec_lo, exec_lo, s18
.LBB266_627:                            ;   in Loop: Header=BB266_414 Depth=1
	s_or_b32 exec_lo, exec_lo, s17
.LBB266_628:                            ;   in Loop: Header=BB266_414 Depth=1
	s_or_b32 exec_lo, exec_lo, s13
	v_lshrrev_b32_e32 v1, 16, v9
	v_mov_b32_e32 v49, 0
	v_mov_b32_e32 v50, 0
	v_cmp_ne_u16_sdwa s0, v1, v2 src0_sel:BYTE_0 src1_sel:DWORD
	s_and_saveexec_b32 s13, s0
	s_cbranch_execz .LBB266_636
; %bb.629:                              ;   in Loop: Header=BB266_414 Depth=1
	v_cmp_ne_u16_sdwa s0, v1, v24 src0_sel:BYTE_0 src1_sel:DWORD
	v_mov_b32_e32 v50, 0x8000
	s_and_saveexec_b32 s17, s0
	s_cbranch_execz .LBB266_635
; %bb.630:                              ;   in Loop: Header=BB266_414 Depth=1
	v_bfe_u32 v52, v9, 16, 7
	v_mov_b32_e32 v50, 0x7c01
	s_mov_b32 s18, exec_lo
	v_cmpx_ne_u32_e32 0x7f, v52
	s_cbranch_execz .LBB266_634
; %bb.631:                              ;   in Loop: Header=BB266_414 Depth=1
	v_and_b32_e32 v50, 7, v1
	v_lshrrev_b32_e32 v51, 3, v52
	s_mov_b32 s19, exec_lo
	v_cmpx_gt_u32_e32 8, v52
; %bb.632:                              ;   in Loop: Header=BB266_414 Depth=1
	v_ffbh_u32_e32 v50, v50
	v_min_u32_e32 v52, 32, v50
	v_subrev_nc_u32_e32 v50, 28, v52
	v_lshlrev_b64 v[50:51], v50, v[1:2]
	v_sub_nc_u32_e32 v51, 29, v52
	v_and_b32_e32 v50, 7, v50
; %bb.633:                              ;   in Loop: Header=BB266_414 Depth=1
	s_or_b32 exec_lo, exec_lo, s19
	v_lshlrev_b32_e32 v1, 8, v1
	v_lshl_add_u32 v51, v51, 10, 0x2000
	v_lshlrev_b32_e32 v50, 7, v50
	v_and_b32_e32 v1, 0x8000, v1
	v_and_b32_e32 v51, 0xfc00, v51
	v_or3_b32 v50, v1, v51, v50
.LBB266_634:                            ;   in Loop: Header=BB266_414 Depth=1
	s_or_b32 exec_lo, exec_lo, s18
.LBB266_635:                            ;   in Loop: Header=BB266_414 Depth=1
	s_or_b32 exec_lo, exec_lo, s17
.LBB266_636:                            ;   in Loop: Header=BB266_414 Depth=1
	s_or_b32 exec_lo, exec_lo, s13
	s_mov_b32 s13, exec_lo
	v_cmpx_lt_u32_e32 0xffffff, v9
	s_cbranch_execz .LBB266_644
; %bb.637:                              ;   in Loop: Header=BB266_414 Depth=1
	v_lshrrev_b32_e32 v1, 24, v9
	v_bfrev_b32_e32 v49, 1
	s_mov_b32 s17, exec_lo
	v_cmpx_ne_u32_e32 0x80, v1
	s_cbranch_execz .LBB266_643
; %bb.638:                              ;   in Loop: Header=BB266_414 Depth=1
	v_and_b32_e32 v52, 0x7f, v1
	v_mov_b32_e32 v49, 0x7c010000
	s_mov_b32 s18, exec_lo
	v_cmpx_ne_u32_e32 0x7f, v52
	s_cbranch_execz .LBB266_642
; %bb.639:                              ;   in Loop: Header=BB266_414 Depth=1
	v_and_b32_e32 v49, 7, v1
	v_lshrrev_b32_e32 v51, 3, v52
	s_mov_b32 s19, exec_lo
	v_cmpx_gt_u32_e32 8, v52
; %bb.640:                              ;   in Loop: Header=BB266_414 Depth=1
	v_ffbh_u32_e32 v49, v49
	v_min_u32_e32 v49, 32, v49
	v_subrev_nc_u32_e32 v51, 28, v49
	v_lshlrev_b64 v[52:53], v51, v[1:2]
	v_sub_nc_u32_e32 v51, 29, v49
	v_and_b32_e32 v49, 7, v52
; %bb.641:                              ;   in Loop: Header=BB266_414 Depth=1
	s_or_b32 exec_lo, exec_lo, s19
	v_lshlrev_b32_e32 v1, 8, v1
	v_lshl_add_u32 v51, v51, 10, 0x2000
	v_lshlrev_b32_e32 v49, 23, v49
	v_and_or_b32 v1, 0x8000, v1, v51
	v_lshl_or_b32 v49, v1, 16, v49
.LBB266_642:                            ;   in Loop: Header=BB266_414 Depth=1
	s_or_b32 exec_lo, exec_lo, s18
.LBB266_643:                            ;   in Loop: Header=BB266_414 Depth=1
	s_or_b32 exec_lo, exec_lo, s17
.LBB266_644:                            ;   in Loop: Header=BB266_414 Depth=1
	s_or_b32 exec_lo, exec_lo, s13
	v_mov_b32_e32 v1, v10
	v_cmp_ne_u16_sdwa s0, v10, v2 src0_sel:BYTE_0 src1_sel:DWORD
	v_mov_b32_e32 v51, 0
	v_mov_b32_e32 v52, 0
	s_and_saveexec_b32 s13, s0
	s_cbranch_execz .LBB266_652
; %bb.645:                              ;   in Loop: Header=BB266_414 Depth=1
	v_cmp_ne_u16_sdwa s0, v10, v24 src0_sel:BYTE_0 src1_sel:DWORD
	v_mov_b32_e32 v52, 0x8000
	s_and_saveexec_b32 s17, s0
	s_cbranch_execz .LBB266_651
; %bb.646:                              ;   in Loop: Header=BB266_414 Depth=1
	v_and_b32_e32 v54, 0x7f, v10
	v_mov_b32_e32 v52, 0x7c01
	s_mov_b32 s18, exec_lo
	v_cmpx_ne_u32_e32 0x7f, v54
	s_cbranch_execz .LBB266_650
; %bb.647:                              ;   in Loop: Header=BB266_414 Depth=1
	v_and_b32_e32 v52, 7, v10
	v_lshrrev_b32_e32 v53, 3, v54
	s_mov_b32 s19, exec_lo
	v_cmpx_gt_u32_e32 8, v54
; %bb.648:                              ;   in Loop: Header=BB266_414 Depth=1
	v_ffbh_u32_e32 v52, v52
	v_min_u32_e32 v54, 32, v52
	v_subrev_nc_u32_e32 v52, 28, v54
	v_lshlrev_b64 v[52:53], v52, v[1:2]
	v_sub_nc_u32_e32 v53, 29, v54
	v_and_b32_e32 v52, 7, v52
; %bb.649:                              ;   in Loop: Header=BB266_414 Depth=1
	s_or_b32 exec_lo, exec_lo, s19
	v_lshlrev_b32_e32 v54, 8, v10
	v_lshl_add_u32 v53, v53, 10, 0x2000
	v_lshlrev_b32_e32 v52, 7, v52
	v_and_b32_e32 v54, 0x8000, v54
	v_and_b32_e32 v53, 0xfc00, v53
	v_or3_b32 v52, v54, v53, v52
.LBB266_650:                            ;   in Loop: Header=BB266_414 Depth=1
	s_or_b32 exec_lo, exec_lo, s18
.LBB266_651:                            ;   in Loop: Header=BB266_414 Depth=1
	s_or_b32 exec_lo, exec_lo, s17
.LBB266_652:                            ;   in Loop: Header=BB266_414 Depth=1
	s_or_b32 exec_lo, exec_lo, s13
	v_lshrrev_b16 v1, 8, v1
	v_mov_b32_e32 v53, 0
	s_mov_b32 s13, exec_lo
	v_cmpx_ne_u16_e32 0, v1
	s_cbranch_execz .LBB266_660
; %bb.653:                              ;   in Loop: Header=BB266_414 Depth=1
	v_bfrev_b32_e32 v53, 1
	s_mov_b32 s17, exec_lo
	v_cmpx_ne_u16_e32 0x80, v1
	s_cbranch_execz .LBB266_659
; %bb.654:                              ;   in Loop: Header=BB266_414 Depth=1
	v_and_b32_sdwa v55, v1, v25 dst_sel:DWORD dst_unused:UNUSED_PAD src0_sel:WORD_0 src1_sel:DWORD
	v_mov_b32_e32 v53, 0x7c010000
	s_mov_b32 s18, exec_lo
	v_cmpx_ne_u32_e32 0x7f, v55
	s_cbranch_execz .LBB266_658
; %bb.655:                              ;   in Loop: Header=BB266_414 Depth=1
	v_and_b32_sdwa v53, v1, v26 dst_sel:DWORD dst_unused:UNUSED_PAD src0_sel:WORD_0 src1_sel:DWORD
	v_lshrrev_b32_e32 v54, 3, v55
	s_mov_b32 s19, exec_lo
	v_cmpx_gt_u32_e32 8, v55
; %bb.656:                              ;   in Loop: Header=BB266_414 Depth=1
	v_ffbh_u32_e32 v53, v53
	v_min_u32_e32 v55, 32, v53
	v_subrev_nc_u32_e32 v53, 28, v55
	v_lshlrev_b64 v[53:54], v53, v[1:2]
	v_sub_nc_u32_e32 v54, 29, v55
	v_and_b32_e32 v53, 7, v53
; %bb.657:                              ;   in Loop: Header=BB266_414 Depth=1
	s_or_b32 exec_lo, exec_lo, s19
	v_lshlrev_b32_sdwa v1, v27, v1 dst_sel:DWORD dst_unused:UNUSED_PAD src0_sel:DWORD src1_sel:WORD_0
	v_lshl_add_u32 v54, v54, 10, 0x2000
	v_lshlrev_b32_e32 v53, 23, v53
	v_and_or_b32 v1, 0x8000, v1, v54
	v_lshl_or_b32 v53, v1, 16, v53
.LBB266_658:                            ;   in Loop: Header=BB266_414 Depth=1
	s_or_b32 exec_lo, exec_lo, s18
.LBB266_659:                            ;   in Loop: Header=BB266_414 Depth=1
	s_or_b32 exec_lo, exec_lo, s17
.LBB266_660:                            ;   in Loop: Header=BB266_414 Depth=1
	s_or_b32 exec_lo, exec_lo, s13
	v_lshrrev_b32_e32 v1, 16, v10
	v_cmp_ne_u16_sdwa s0, v1, v2 src0_sel:BYTE_0 src1_sel:DWORD
	s_and_saveexec_b32 s13, s0
	s_cbranch_execz .LBB266_668
; %bb.661:                              ;   in Loop: Header=BB266_414 Depth=1
	v_cmp_ne_u16_sdwa s0, v1, v24 src0_sel:BYTE_0 src1_sel:DWORD
	v_mov_b32_e32 v51, 0x8000
	s_and_saveexec_b32 s17, s0
	s_cbranch_execz .LBB266_667
; %bb.662:                              ;   in Loop: Header=BB266_414 Depth=1
	v_bfe_u32 v55, v10, 16, 7
	v_mov_b32_e32 v51, 0x7c01
	s_mov_b32 s18, exec_lo
	v_cmpx_ne_u32_e32 0x7f, v55
	s_cbranch_execz .LBB266_666
; %bb.663:                              ;   in Loop: Header=BB266_414 Depth=1
	v_and_b32_e32 v51, 7, v1
	v_lshrrev_b32_e32 v54, 3, v55
	s_mov_b32 s19, exec_lo
	v_cmpx_gt_u32_e32 8, v55
; %bb.664:                              ;   in Loop: Header=BB266_414 Depth=1
	v_ffbh_u32_e32 v51, v51
	v_min_u32_e32 v51, 32, v51
	v_subrev_nc_u32_e32 v54, 28, v51
	v_lshlrev_b64 v[55:56], v54, v[1:2]
	v_sub_nc_u32_e32 v54, 29, v51
	v_and_b32_e32 v51, 7, v55
; %bb.665:                              ;   in Loop: Header=BB266_414 Depth=1
	s_or_b32 exec_lo, exec_lo, s19
	v_lshlrev_b32_e32 v1, 8, v1
	v_lshl_add_u32 v54, v54, 10, 0x2000
	v_lshlrev_b32_e32 v51, 7, v51
	v_and_b32_e32 v1, 0x8000, v1
	v_and_b32_e32 v54, 0xfc00, v54
	v_or3_b32 v51, v1, v54, v51
.LBB266_666:                            ;   in Loop: Header=BB266_414 Depth=1
	s_or_b32 exec_lo, exec_lo, s18
.LBB266_667:                            ;   in Loop: Header=BB266_414 Depth=1
	s_or_b32 exec_lo, exec_lo, s17
.LBB266_668:                            ;   in Loop: Header=BB266_414 Depth=1
	s_or_b32 exec_lo, exec_lo, s13
	v_cmp_lt_u64_e64 s0, s[2:3], v[9:10]
	v_mov_b32_e32 v9, 0
	s_and_saveexec_b32 s13, s0
	s_cbranch_execz .LBB266_676
; %bb.669:                              ;   in Loop: Header=BB266_414 Depth=1
	v_lshrrev_b32_e32 v1, 24, v10
	v_bfrev_b32_e32 v9, 1
	s_mov_b32 s17, exec_lo
	v_cmpx_ne_u32_e32 0x80, v1
	s_cbranch_execz .LBB266_675
; %bb.670:                              ;   in Loop: Header=BB266_414 Depth=1
	v_and_b32_e32 v54, 0x7f, v1
	v_mov_b32_e32 v9, 0x7c010000
	s_mov_b32 s18, exec_lo
	v_cmpx_ne_u32_e32 0x7f, v54
	s_cbranch_execz .LBB266_674
; %bb.671:                              ;   in Loop: Header=BB266_414 Depth=1
	v_and_b32_e32 v9, 7, v1
	v_lshrrev_b32_e32 v10, 3, v54
	s_mov_b32 s19, exec_lo
	v_cmpx_gt_u32_e32 8, v54
; %bb.672:                              ;   in Loop: Header=BB266_414 Depth=1
	v_ffbh_u32_e32 v9, v9
	v_min_u32_e32 v54, 32, v9
	v_subrev_nc_u32_e32 v9, 28, v54
	v_lshlrev_b64 v[9:10], v9, v[1:2]
	v_sub_nc_u32_e32 v10, 29, v54
	v_and_b32_e32 v9, 7, v9
; %bb.673:                              ;   in Loop: Header=BB266_414 Depth=1
	s_or_b32 exec_lo, exec_lo, s19
	v_lshlrev_b32_e32 v1, 8, v1
	v_lshl_add_u32 v10, v10, 10, 0x2000
	v_lshlrev_b32_e32 v9, 23, v9
	v_and_or_b32 v1, 0x8000, v1, v10
	v_lshl_or_b32 v9, v1, 16, v9
.LBB266_674:                            ;   in Loop: Header=BB266_414 Depth=1
	s_or_b32 exec_lo, exec_lo, s18
.LBB266_675:                            ;   in Loop: Header=BB266_414 Depth=1
	s_or_b32 exec_lo, exec_lo, s17
.LBB266_676:                            ;   in Loop: Header=BB266_414 Depth=1
	s_or_b32 exec_lo, exec_lo, s13
	v_or_b32_e32 v1, v49, v50
	s_waitcnt vmcnt(0)
	v_fma_mixlo_f16 v10, v46, v49, 0 op_sel:[0,1,0] op_sel_hi:[0,1,0]
	v_or_b32_e32 v49, v47, v48
	v_fma_mixlo_f16 v47, v46, v47, 0 op_sel:[0,1,0] op_sel_hi:[0,1,0]
	v_or_b32_e32 v50, v53, v52
	v_or_b32_e32 v51, v9, v51
	v_fma_mixlo_f16 v52, v46, v1, 0 op_sel_hi:[0,1,0]
	v_fma_mixlo_f16 v9, v46, v9, 0 op_sel:[0,1,0] op_sel_hi:[0,1,0]
	v_lshlrev_b32_e32 v48, 16, v47
	v_fma_mixlo_f16 v47, v46, v49, 0 op_sel_hi:[0,1,0]
	v_fma_mixlo_f16 v49, v46, v53, 0 op_sel:[0,1,0] op_sel_hi:[0,1,0]
	v_fma_mixlo_f16 v50, v46, v50, 0 op_sel_hi:[0,1,0]
	v_fma_mixlo_f16 v51, v46, v51, 0 op_sel_hi:[0,1,0]
	v_lshlrev_b32_e32 v1, 16, v10
	v_and_b32_e32 v10, 0xffff, v52
	v_and_b32_e32 v54, 0xffff, v47
	v_lshlrev_b32_e32 v46, 16, v49
	v_and_b32_e32 v50, 0xffff, v50
	v_lshlrev_b32_e32 v9, 16, v9
	v_and_b32_e32 v47, 0xffff, v51
	v_or_b32_e32 v49, v1, v10
	v_or_b32_e32 v53, v48, v54
	;; [unrolled: 1-line block ×4, first 2 shown]
	s_and_saveexec_b32 s13, vcc_lo
	s_cbranch_execz .LBB266_678
; %bb.677:                              ;   in Loop: Header=BB266_414 Depth=1
	v_cmp_gt_i32_e64 s0, s11, v29
	v_cndmask_b32_e64 v49, 0, v54, s0
	v_cmp_gt_i32_e64 s0, s11, v35
	v_cndmask_b32_e64 v48, 0, v48, s0
	v_cmp_gt_i32_e64 s0, s11, v34
	v_or_b32_e32 v53, v48, v49
	v_cndmask_b32_e64 v10, 0, v10, s0
	v_cmp_gt_i32_e64 s0, s11, v33
	v_cndmask_b32_e64 v1, 0, v1, s0
	v_cmp_gt_i32_e64 s0, s11, v32
	v_or_b32_e32 v49, v1, v10
	;; [unrolled: 5-line block ×3, first 2 shown]
	v_cndmask_b32_e64 v47, 0, v47, s0
	v_cmp_gt_i32_e64 s0, s11, v23
	v_cndmask_b32_e64 v9, 0, v9, s0
	v_or_b32_e32 v51, v9, v47
.LBB266_678:                            ;   in Loop: Header=BB266_414 Depth=1
	s_or_b32 exec_lo, exec_lo, s13
	;;#ASMSTART
	v_pk_mul_f16 v1, v41, v53;

	;;#ASMEND
	;;#ASMSTART
	v_pk_mul_f16 v9, v39, v49;

	;;#ASMEND
	;; [unrolled: 4-line block ×4, first 2 shown]
	;;#ASMSTART
	v_pk_add_f16 v1, v1, v9;

	;;#ASMEND
	;;#ASMSTART
	v_pk_add_f16 v1, v1, v10;

	;;#ASMEND
	;; [unrolled: 4-line block ×3, first 2 shown]
	v_and_b32_e32 v9, 0xffff, v1
	v_lshrrev_b32_e32 v1, 16, v1
	;;#ASMSTART
	v_cvt_f32_f16 v46, v9;
	;;#ASMEND
	;;#ASMSTART
	v_cvt_f32_f16 v47, v1;
	;;#ASMEND
	global_load_dwordx2 v[9:10], v[7:8], off offset:1024
	v_mov_b32_e32 v49, 0
	v_mov_b32_e32 v50, 0
	global_load_dword v48, v49, s[14:15]
	s_waitcnt vmcnt(1)
	v_cmp_ne_u16_sdwa s0, v9, v2 src0_sel:BYTE_0 src1_sel:DWORD
	s_and_saveexec_b32 s13, s0
	s_cbranch_execz .LBB266_686
; %bb.679:                              ;   in Loop: Header=BB266_414 Depth=1
	v_cmp_ne_u16_sdwa s0, v9, v24 src0_sel:BYTE_0 src1_sel:DWORD
	v_mov_b32_e32 v50, 0x8000
	s_and_saveexec_b32 s17, s0
	s_cbranch_execz .LBB266_685
; %bb.680:                              ;   in Loop: Header=BB266_414 Depth=1
	v_and_b32_e32 v51, 0x7f, v9
	v_mov_b32_e32 v50, 0x7c01
	s_mov_b32 s18, exec_lo
	v_cmpx_ne_u32_e32 0x7f, v51
	s_cbranch_execz .LBB266_684
; %bb.681:                              ;   in Loop: Header=BB266_414 Depth=1
	v_and_b32_e32 v1, 7, v9
	v_lshrrev_b32_e32 v50, 3, v51
	s_mov_b32 s19, exec_lo
	v_cmpx_gt_u32_e32 8, v51
; %bb.682:                              ;   in Loop: Header=BB266_414 Depth=1
	v_ffbh_u32_e32 v1, v1
	v_min_u32_e32 v1, 32, v1
	v_subrev_nc_u32_e32 v50, 28, v1
	v_lshlrev_b64 v[51:52], v50, v[9:10]
	v_sub_nc_u32_e32 v50, 29, v1
	v_and_b32_e32 v1, 7, v51
; %bb.683:                              ;   in Loop: Header=BB266_414 Depth=1
	s_or_b32 exec_lo, exec_lo, s19
	v_lshlrev_b32_e32 v51, 8, v9
	v_lshl_add_u32 v50, v50, 10, 0x2000
	v_lshlrev_b32_e32 v1, 7, v1
	v_and_b32_e32 v51, 0x8000, v51
	v_and_b32_e32 v50, 0xfc00, v50
	v_or3_b32 v50, v51, v50, v1
.LBB266_684:                            ;   in Loop: Header=BB266_414 Depth=1
	s_or_b32 exec_lo, exec_lo, s18
.LBB266_685:                            ;   in Loop: Header=BB266_414 Depth=1
	s_or_b32 exec_lo, exec_lo, s17
.LBB266_686:                            ;   in Loop: Header=BB266_414 Depth=1
	s_or_b32 exec_lo, exec_lo, s13
	v_lshrrev_b16 v1, 8, v9
	s_mov_b32 s13, exec_lo
	v_cmpx_ne_u16_e32 0, v1
	s_cbranch_execz .LBB266_694
; %bb.687:                              ;   in Loop: Header=BB266_414 Depth=1
	v_bfrev_b32_e32 v49, 1
	s_mov_b32 s17, exec_lo
	v_cmpx_ne_u16_e32 0x80, v1
	s_cbranch_execz .LBB266_693
; %bb.688:                              ;   in Loop: Header=BB266_414 Depth=1
	v_and_b32_sdwa v52, v1, v25 dst_sel:DWORD dst_unused:UNUSED_PAD src0_sel:WORD_0 src1_sel:DWORD
	v_mov_b32_e32 v49, 0x7c010000
	s_mov_b32 s18, exec_lo
	v_cmpx_ne_u32_e32 0x7f, v52
	s_cbranch_execz .LBB266_692
; %bb.689:                              ;   in Loop: Header=BB266_414 Depth=1
	v_and_b32_sdwa v49, v1, v26 dst_sel:DWORD dst_unused:UNUSED_PAD src0_sel:WORD_0 src1_sel:DWORD
	v_lshrrev_b32_e32 v51, 3, v52
	s_mov_b32 s19, exec_lo
	v_cmpx_gt_u32_e32 8, v52
; %bb.690:                              ;   in Loop: Header=BB266_414 Depth=1
	v_ffbh_u32_e32 v49, v49
	v_min_u32_e32 v49, 32, v49
	v_subrev_nc_u32_e32 v51, 28, v49
	v_lshlrev_b64 v[52:53], v51, v[1:2]
	v_sub_nc_u32_e32 v51, 29, v49
	v_and_b32_e32 v49, 7, v52
; %bb.691:                              ;   in Loop: Header=BB266_414 Depth=1
	s_or_b32 exec_lo, exec_lo, s19
	v_lshlrev_b32_sdwa v1, v27, v1 dst_sel:DWORD dst_unused:UNUSED_PAD src0_sel:DWORD src1_sel:WORD_0
	v_lshl_add_u32 v51, v51, 10, 0x2000
	v_lshlrev_b32_e32 v49, 23, v49
	v_and_or_b32 v1, 0x8000, v1, v51
	v_lshl_or_b32 v49, v1, 16, v49
.LBB266_692:                            ;   in Loop: Header=BB266_414 Depth=1
	s_or_b32 exec_lo, exec_lo, s18
.LBB266_693:                            ;   in Loop: Header=BB266_414 Depth=1
	s_or_b32 exec_lo, exec_lo, s17
.LBB266_694:                            ;   in Loop: Header=BB266_414 Depth=1
	s_or_b32 exec_lo, exec_lo, s13
	v_lshrrev_b32_e32 v1, 16, v9
	v_mov_b32_e32 v51, 0
	v_mov_b32_e32 v52, 0
	v_cmp_ne_u16_sdwa s0, v1, v2 src0_sel:BYTE_0 src1_sel:DWORD
	s_and_saveexec_b32 s13, s0
	s_cbranch_execz .LBB266_702
; %bb.695:                              ;   in Loop: Header=BB266_414 Depth=1
	v_cmp_ne_u16_sdwa s0, v1, v24 src0_sel:BYTE_0 src1_sel:DWORD
	v_mov_b32_e32 v52, 0x8000
	s_and_saveexec_b32 s17, s0
	s_cbranch_execz .LBB266_701
; %bb.696:                              ;   in Loop: Header=BB266_414 Depth=1
	v_bfe_u32 v54, v9, 16, 7
	v_mov_b32_e32 v52, 0x7c01
	s_mov_b32 s18, exec_lo
	v_cmpx_ne_u32_e32 0x7f, v54
	s_cbranch_execz .LBB266_700
; %bb.697:                              ;   in Loop: Header=BB266_414 Depth=1
	v_and_b32_e32 v52, 7, v1
	v_lshrrev_b32_e32 v53, 3, v54
	s_mov_b32 s19, exec_lo
	v_cmpx_gt_u32_e32 8, v54
; %bb.698:                              ;   in Loop: Header=BB266_414 Depth=1
	v_ffbh_u32_e32 v52, v52
	v_min_u32_e32 v54, 32, v52
	v_subrev_nc_u32_e32 v52, 28, v54
	v_lshlrev_b64 v[52:53], v52, v[1:2]
	v_sub_nc_u32_e32 v53, 29, v54
	v_and_b32_e32 v52, 7, v52
; %bb.699:                              ;   in Loop: Header=BB266_414 Depth=1
	s_or_b32 exec_lo, exec_lo, s19
	v_lshlrev_b32_e32 v1, 8, v1
	v_lshl_add_u32 v53, v53, 10, 0x2000
	v_lshlrev_b32_e32 v52, 7, v52
	v_and_b32_e32 v1, 0x8000, v1
	v_and_b32_e32 v53, 0xfc00, v53
	v_or3_b32 v52, v1, v53, v52
.LBB266_700:                            ;   in Loop: Header=BB266_414 Depth=1
	s_or_b32 exec_lo, exec_lo, s18
.LBB266_701:                            ;   in Loop: Header=BB266_414 Depth=1
	s_or_b32 exec_lo, exec_lo, s17
.LBB266_702:                            ;   in Loop: Header=BB266_414 Depth=1
	s_or_b32 exec_lo, exec_lo, s13
	s_mov_b32 s13, exec_lo
	v_cmpx_lt_u32_e32 0xffffff, v9
	s_cbranch_execz .LBB266_710
; %bb.703:                              ;   in Loop: Header=BB266_414 Depth=1
	v_lshrrev_b32_e32 v1, 24, v9
	v_bfrev_b32_e32 v51, 1
	s_mov_b32 s17, exec_lo
	v_cmpx_ne_u32_e32 0x80, v1
	s_cbranch_execz .LBB266_709
; %bb.704:                              ;   in Loop: Header=BB266_414 Depth=1
	v_and_b32_e32 v54, 0x7f, v1
	v_mov_b32_e32 v51, 0x7c010000
	s_mov_b32 s18, exec_lo
	v_cmpx_ne_u32_e32 0x7f, v54
	s_cbranch_execz .LBB266_708
; %bb.705:                              ;   in Loop: Header=BB266_414 Depth=1
	v_and_b32_e32 v51, 7, v1
	v_lshrrev_b32_e32 v53, 3, v54
	s_mov_b32 s19, exec_lo
	v_cmpx_gt_u32_e32 8, v54
; %bb.706:                              ;   in Loop: Header=BB266_414 Depth=1
	v_ffbh_u32_e32 v51, v51
	v_min_u32_e32 v51, 32, v51
	v_subrev_nc_u32_e32 v53, 28, v51
	v_lshlrev_b64 v[54:55], v53, v[1:2]
	v_sub_nc_u32_e32 v53, 29, v51
	v_and_b32_e32 v51, 7, v54
; %bb.707:                              ;   in Loop: Header=BB266_414 Depth=1
	s_or_b32 exec_lo, exec_lo, s19
	v_lshlrev_b32_e32 v1, 8, v1
	v_lshl_add_u32 v53, v53, 10, 0x2000
	v_lshlrev_b32_e32 v51, 23, v51
	v_and_or_b32 v1, 0x8000, v1, v53
	v_lshl_or_b32 v51, v1, 16, v51
.LBB266_708:                            ;   in Loop: Header=BB266_414 Depth=1
	s_or_b32 exec_lo, exec_lo, s18
.LBB266_709:                            ;   in Loop: Header=BB266_414 Depth=1
	s_or_b32 exec_lo, exec_lo, s17
.LBB266_710:                            ;   in Loop: Header=BB266_414 Depth=1
	s_or_b32 exec_lo, exec_lo, s13
	v_mov_b32_e32 v1, v10
	v_cmp_ne_u16_sdwa s0, v10, v2 src0_sel:BYTE_0 src1_sel:DWORD
	v_mov_b32_e32 v53, 0
	v_mov_b32_e32 v54, 0
	s_and_saveexec_b32 s13, s0
	s_cbranch_execz .LBB266_718
; %bb.711:                              ;   in Loop: Header=BB266_414 Depth=1
	v_cmp_ne_u16_sdwa s0, v10, v24 src0_sel:BYTE_0 src1_sel:DWORD
	v_mov_b32_e32 v54, 0x8000
	s_and_saveexec_b32 s17, s0
	s_cbranch_execz .LBB266_717
; %bb.712:                              ;   in Loop: Header=BB266_414 Depth=1
	v_and_b32_e32 v56, 0x7f, v10
	v_mov_b32_e32 v54, 0x7c01
	s_mov_b32 s18, exec_lo
	v_cmpx_ne_u32_e32 0x7f, v56
	s_cbranch_execz .LBB266_716
; %bb.713:                              ;   in Loop: Header=BB266_414 Depth=1
	v_and_b32_e32 v54, 7, v10
	v_lshrrev_b32_e32 v55, 3, v56
	s_mov_b32 s19, exec_lo
	v_cmpx_gt_u32_e32 8, v56
; %bb.714:                              ;   in Loop: Header=BB266_414 Depth=1
	v_ffbh_u32_e32 v54, v54
	v_min_u32_e32 v56, 32, v54
	v_subrev_nc_u32_e32 v54, 28, v56
	v_lshlrev_b64 v[54:55], v54, v[1:2]
	v_sub_nc_u32_e32 v55, 29, v56
	v_and_b32_e32 v54, 7, v54
; %bb.715:                              ;   in Loop: Header=BB266_414 Depth=1
	s_or_b32 exec_lo, exec_lo, s19
	v_lshlrev_b32_e32 v56, 8, v10
	v_lshl_add_u32 v55, v55, 10, 0x2000
	v_lshlrev_b32_e32 v54, 7, v54
	v_and_b32_e32 v56, 0x8000, v56
	v_and_b32_e32 v55, 0xfc00, v55
	v_or3_b32 v54, v56, v55, v54
.LBB266_716:                            ;   in Loop: Header=BB266_414 Depth=1
	s_or_b32 exec_lo, exec_lo, s18
.LBB266_717:                            ;   in Loop: Header=BB266_414 Depth=1
	s_or_b32 exec_lo, exec_lo, s17
.LBB266_718:                            ;   in Loop: Header=BB266_414 Depth=1
	s_or_b32 exec_lo, exec_lo, s13
	v_lshrrev_b16 v1, 8, v1
	v_mov_b32_e32 v55, 0
	s_mov_b32 s13, exec_lo
	v_cmpx_ne_u16_e32 0, v1
	s_cbranch_execz .LBB266_726
; %bb.719:                              ;   in Loop: Header=BB266_414 Depth=1
	v_bfrev_b32_e32 v55, 1
	s_mov_b32 s17, exec_lo
	v_cmpx_ne_u16_e32 0x80, v1
	s_cbranch_execz .LBB266_725
; %bb.720:                              ;   in Loop: Header=BB266_414 Depth=1
	v_and_b32_sdwa v57, v1, v25 dst_sel:DWORD dst_unused:UNUSED_PAD src0_sel:WORD_0 src1_sel:DWORD
	v_mov_b32_e32 v55, 0x7c010000
	s_mov_b32 s18, exec_lo
	v_cmpx_ne_u32_e32 0x7f, v57
	s_cbranch_execz .LBB266_724
; %bb.721:                              ;   in Loop: Header=BB266_414 Depth=1
	v_and_b32_sdwa v55, v1, v26 dst_sel:DWORD dst_unused:UNUSED_PAD src0_sel:WORD_0 src1_sel:DWORD
	v_lshrrev_b32_e32 v56, 3, v57
	s_mov_b32 s19, exec_lo
	v_cmpx_gt_u32_e32 8, v57
; %bb.722:                              ;   in Loop: Header=BB266_414 Depth=1
	v_ffbh_u32_e32 v55, v55
	v_min_u32_e32 v57, 32, v55
	v_subrev_nc_u32_e32 v55, 28, v57
	v_lshlrev_b64 v[55:56], v55, v[1:2]
	v_sub_nc_u32_e32 v56, 29, v57
	v_and_b32_e32 v55, 7, v55
; %bb.723:                              ;   in Loop: Header=BB266_414 Depth=1
	s_or_b32 exec_lo, exec_lo, s19
	v_lshlrev_b32_sdwa v1, v27, v1 dst_sel:DWORD dst_unused:UNUSED_PAD src0_sel:DWORD src1_sel:WORD_0
	v_lshl_add_u32 v56, v56, 10, 0x2000
	v_lshlrev_b32_e32 v55, 23, v55
	v_and_or_b32 v1, 0x8000, v1, v56
	v_lshl_or_b32 v55, v1, 16, v55
.LBB266_724:                            ;   in Loop: Header=BB266_414 Depth=1
	s_or_b32 exec_lo, exec_lo, s18
.LBB266_725:                            ;   in Loop: Header=BB266_414 Depth=1
	s_or_b32 exec_lo, exec_lo, s17
.LBB266_726:                            ;   in Loop: Header=BB266_414 Depth=1
	s_or_b32 exec_lo, exec_lo, s13
	v_lshrrev_b32_e32 v1, 16, v10
	v_cmp_ne_u16_sdwa s0, v1, v2 src0_sel:BYTE_0 src1_sel:DWORD
	s_and_saveexec_b32 s13, s0
	s_cbranch_execz .LBB266_734
; %bb.727:                              ;   in Loop: Header=BB266_414 Depth=1
	v_cmp_ne_u16_sdwa s0, v1, v24 src0_sel:BYTE_0 src1_sel:DWORD
	v_mov_b32_e32 v53, 0x8000
	s_and_saveexec_b32 s17, s0
	s_cbranch_execz .LBB266_733
; %bb.728:                              ;   in Loop: Header=BB266_414 Depth=1
	v_bfe_u32 v57, v10, 16, 7
	v_mov_b32_e32 v53, 0x7c01
	s_mov_b32 s18, exec_lo
	v_cmpx_ne_u32_e32 0x7f, v57
	s_cbranch_execz .LBB266_732
; %bb.729:                              ;   in Loop: Header=BB266_414 Depth=1
	v_and_b32_e32 v53, 7, v1
	v_lshrrev_b32_e32 v56, 3, v57
	s_mov_b32 s19, exec_lo
	v_cmpx_gt_u32_e32 8, v57
; %bb.730:                              ;   in Loop: Header=BB266_414 Depth=1
	v_ffbh_u32_e32 v53, v53
	v_min_u32_e32 v53, 32, v53
	v_subrev_nc_u32_e32 v56, 28, v53
	v_lshlrev_b64 v[57:58], v56, v[1:2]
	v_sub_nc_u32_e32 v56, 29, v53
	v_and_b32_e32 v53, 7, v57
; %bb.731:                              ;   in Loop: Header=BB266_414 Depth=1
	s_or_b32 exec_lo, exec_lo, s19
	v_lshlrev_b32_e32 v1, 8, v1
	v_lshl_add_u32 v56, v56, 10, 0x2000
	v_lshlrev_b32_e32 v53, 7, v53
	v_and_b32_e32 v1, 0x8000, v1
	v_and_b32_e32 v56, 0xfc00, v56
	v_or3_b32 v53, v1, v56, v53
.LBB266_732:                            ;   in Loop: Header=BB266_414 Depth=1
	s_or_b32 exec_lo, exec_lo, s18
.LBB266_733:                            ;   in Loop: Header=BB266_414 Depth=1
	s_or_b32 exec_lo, exec_lo, s17
.LBB266_734:                            ;   in Loop: Header=BB266_414 Depth=1
	s_or_b32 exec_lo, exec_lo, s13
	v_cmp_lt_u64_e64 s0, s[2:3], v[9:10]
	v_mov_b32_e32 v9, 0
	s_and_saveexec_b32 s13, s0
	s_cbranch_execz .LBB266_742
; %bb.735:                              ;   in Loop: Header=BB266_414 Depth=1
	v_lshrrev_b32_e32 v1, 24, v10
	v_bfrev_b32_e32 v9, 1
	s_mov_b32 s17, exec_lo
	v_cmpx_ne_u32_e32 0x80, v1
	s_cbranch_execz .LBB266_741
; %bb.736:                              ;   in Loop: Header=BB266_414 Depth=1
	v_and_b32_e32 v56, 0x7f, v1
	v_mov_b32_e32 v9, 0x7c010000
	s_mov_b32 s18, exec_lo
	v_cmpx_ne_u32_e32 0x7f, v56
	s_cbranch_execz .LBB266_740
; %bb.737:                              ;   in Loop: Header=BB266_414 Depth=1
	v_and_b32_e32 v9, 7, v1
	v_lshrrev_b32_e32 v10, 3, v56
	s_mov_b32 s19, exec_lo
	v_cmpx_gt_u32_e32 8, v56
; %bb.738:                              ;   in Loop: Header=BB266_414 Depth=1
	v_ffbh_u32_e32 v9, v9
	v_min_u32_e32 v56, 32, v9
	v_subrev_nc_u32_e32 v9, 28, v56
	v_lshlrev_b64 v[9:10], v9, v[1:2]
	v_sub_nc_u32_e32 v10, 29, v56
	v_and_b32_e32 v9, 7, v9
; %bb.739:                              ;   in Loop: Header=BB266_414 Depth=1
	s_or_b32 exec_lo, exec_lo, s19
	v_lshlrev_b32_e32 v1, 8, v1
	v_lshl_add_u32 v10, v10, 10, 0x2000
	v_lshlrev_b32_e32 v9, 23, v9
	v_and_or_b32 v1, 0x8000, v1, v10
	v_lshl_or_b32 v9, v1, 16, v9
.LBB266_740:                            ;   in Loop: Header=BB266_414 Depth=1
	s_or_b32 exec_lo, exec_lo, s18
.LBB266_741:                            ;   in Loop: Header=BB266_414 Depth=1
	s_or_b32 exec_lo, exec_lo, s17
.LBB266_742:                            ;   in Loop: Header=BB266_414 Depth=1
	s_or_b32 exec_lo, exec_lo, s13
	v_or_b32_e32 v1, v51, v52
	s_waitcnt vmcnt(0)
	v_fma_mixlo_f16 v10, v48, v51, 0 op_sel:[0,1,0] op_sel_hi:[0,1,0]
	v_or_b32_e32 v51, v49, v50
	v_fma_mixlo_f16 v49, v48, v49, 0 op_sel:[0,1,0] op_sel_hi:[0,1,0]
	v_or_b32_e32 v52, v55, v54
	v_or_b32_e32 v53, v9, v53
	v_fma_mixlo_f16 v54, v48, v1, 0 op_sel_hi:[0,1,0]
	v_fma_mixlo_f16 v9, v48, v9, 0 op_sel:[0,1,0] op_sel_hi:[0,1,0]
	v_lshlrev_b32_e32 v50, 16, v49
	v_fma_mixlo_f16 v49, v48, v51, 0 op_sel_hi:[0,1,0]
	v_fma_mixlo_f16 v51, v48, v55, 0 op_sel:[0,1,0] op_sel_hi:[0,1,0]
	v_fma_mixlo_f16 v52, v48, v52, 0 op_sel_hi:[0,1,0]
	v_fma_mixlo_f16 v53, v48, v53, 0 op_sel_hi:[0,1,0]
	v_lshlrev_b32_e32 v1, 16, v10
	v_and_b32_e32 v10, 0xffff, v54
	v_and_b32_e32 v56, 0xffff, v49
	v_lshlrev_b32_e32 v48, 16, v51
	v_and_b32_e32 v52, 0xffff, v52
	v_lshlrev_b32_e32 v9, 16, v9
	v_and_b32_e32 v49, 0xffff, v53
	v_or_b32_e32 v51, v1, v10
	v_or_b32_e32 v55, v50, v56
	;; [unrolled: 1-line block ×4, first 2 shown]
	s_and_saveexec_b32 s13, vcc_lo
	s_cbranch_execz .LBB266_744
; %bb.743:                              ;   in Loop: Header=BB266_414 Depth=1
	v_cmp_gt_i32_e64 s0, s11, v29
	v_cndmask_b32_e64 v51, 0, v56, s0
	v_cmp_gt_i32_e64 s0, s11, v35
	v_cndmask_b32_e64 v50, 0, v50, s0
	v_cmp_gt_i32_e64 s0, s11, v34
	v_or_b32_e32 v55, v50, v51
	v_cndmask_b32_e64 v10, 0, v10, s0
	v_cmp_gt_i32_e64 s0, s11, v33
	v_cndmask_b32_e64 v1, 0, v1, s0
	v_cmp_gt_i32_e64 s0, s11, v32
	v_or_b32_e32 v51, v1, v10
	;; [unrolled: 5-line block ×3, first 2 shown]
	v_cndmask_b32_e64 v49, 0, v49, s0
	v_cmp_gt_i32_e64 s0, s11, v23
	v_cndmask_b32_e64 v9, 0, v9, s0
	v_or_b32_e32 v53, v9, v49
.LBB266_744:                            ;   in Loop: Header=BB266_414 Depth=1
	s_or_b32 exec_lo, exec_lo, s13
	;;#ASMSTART
	v_pk_mul_f16 v1, v41, v55;

	;;#ASMEND
	;;#ASMSTART
	v_pk_mul_f16 v9, v39, v51;

	;;#ASMEND
	;; [unrolled: 4-line block ×4, first 2 shown]
	;;#ASMSTART
	v_pk_add_f16 v1, v1, v9;

	;;#ASMEND
	;;#ASMSTART
	v_pk_add_f16 v1, v1, v10;

	;;#ASMEND
	;; [unrolled: 4-line block ×3, first 2 shown]
	v_and_b32_e32 v9, 0xffff, v1
	v_lshrrev_b32_e32 v1, 16, v1
	;;#ASMSTART
	v_cvt_f32_f16 v9, v9;
	;;#ASMEND
	;;#ASMSTART
	v_cvt_f32_f16 v10, v1;
	;;#ASMEND
	global_load_dwordx2 v[7:8], v[7:8], off offset:1280
	v_mov_b32_e32 v49, 0
	v_mov_b32_e32 v50, 0
	global_load_dword v48, v49, s[14:15]
	s_waitcnt vmcnt(1)
	v_cmp_ne_u16_sdwa s0, v7, v2 src0_sel:BYTE_0 src1_sel:DWORD
	s_and_saveexec_b32 s13, s0
	s_cbranch_execz .LBB266_752
; %bb.745:                              ;   in Loop: Header=BB266_414 Depth=1
	v_cmp_ne_u16_sdwa s0, v7, v24 src0_sel:BYTE_0 src1_sel:DWORD
	v_mov_b32_e32 v50, 0x8000
	s_and_saveexec_b32 s17, s0
	s_cbranch_execz .LBB266_751
; %bb.746:                              ;   in Loop: Header=BB266_414 Depth=1
	v_and_b32_e32 v51, 0x7f, v7
	v_mov_b32_e32 v50, 0x7c01
	s_mov_b32 s18, exec_lo
	v_cmpx_ne_u32_e32 0x7f, v51
	s_cbranch_execz .LBB266_750
; %bb.747:                              ;   in Loop: Header=BB266_414 Depth=1
	v_and_b32_e32 v1, 7, v7
	v_lshrrev_b32_e32 v50, 3, v51
	s_mov_b32 s19, exec_lo
	v_cmpx_gt_u32_e32 8, v51
; %bb.748:                              ;   in Loop: Header=BB266_414 Depth=1
	v_ffbh_u32_e32 v1, v1
	v_min_u32_e32 v1, 32, v1
	v_subrev_nc_u32_e32 v50, 28, v1
	v_lshlrev_b64 v[51:52], v50, v[7:8]
	v_sub_nc_u32_e32 v50, 29, v1
	v_and_b32_e32 v1, 7, v51
; %bb.749:                              ;   in Loop: Header=BB266_414 Depth=1
	s_or_b32 exec_lo, exec_lo, s19
	v_lshlrev_b32_e32 v51, 8, v7
	v_lshl_add_u32 v50, v50, 10, 0x2000
	v_lshlrev_b32_e32 v1, 7, v1
	v_and_b32_e32 v51, 0x8000, v51
	v_and_b32_e32 v50, 0xfc00, v50
	v_or3_b32 v50, v51, v50, v1
.LBB266_750:                            ;   in Loop: Header=BB266_414 Depth=1
	s_or_b32 exec_lo, exec_lo, s18
.LBB266_751:                            ;   in Loop: Header=BB266_414 Depth=1
	s_or_b32 exec_lo, exec_lo, s17
.LBB266_752:                            ;   in Loop: Header=BB266_414 Depth=1
	s_or_b32 exec_lo, exec_lo, s13
	v_lshrrev_b16 v1, 8, v7
	s_mov_b32 s13, exec_lo
	v_cmpx_ne_u16_e32 0, v1
	s_cbranch_execz .LBB266_760
; %bb.753:                              ;   in Loop: Header=BB266_414 Depth=1
	v_bfrev_b32_e32 v49, 1
	s_mov_b32 s17, exec_lo
	v_cmpx_ne_u16_e32 0x80, v1
	s_cbranch_execz .LBB266_759
; %bb.754:                              ;   in Loop: Header=BB266_414 Depth=1
	v_and_b32_sdwa v52, v1, v25 dst_sel:DWORD dst_unused:UNUSED_PAD src0_sel:WORD_0 src1_sel:DWORD
	v_mov_b32_e32 v49, 0x7c010000
	s_mov_b32 s18, exec_lo
	v_cmpx_ne_u32_e32 0x7f, v52
	s_cbranch_execz .LBB266_758
; %bb.755:                              ;   in Loop: Header=BB266_414 Depth=1
	v_and_b32_sdwa v49, v1, v26 dst_sel:DWORD dst_unused:UNUSED_PAD src0_sel:WORD_0 src1_sel:DWORD
	v_lshrrev_b32_e32 v51, 3, v52
	s_mov_b32 s19, exec_lo
	v_cmpx_gt_u32_e32 8, v52
; %bb.756:                              ;   in Loop: Header=BB266_414 Depth=1
	v_ffbh_u32_e32 v49, v49
	v_min_u32_e32 v49, 32, v49
	v_subrev_nc_u32_e32 v51, 28, v49
	v_lshlrev_b64 v[52:53], v51, v[1:2]
	v_sub_nc_u32_e32 v51, 29, v49
	v_and_b32_e32 v49, 7, v52
; %bb.757:                              ;   in Loop: Header=BB266_414 Depth=1
	s_or_b32 exec_lo, exec_lo, s19
	v_lshlrev_b32_sdwa v1, v27, v1 dst_sel:DWORD dst_unused:UNUSED_PAD src0_sel:DWORD src1_sel:WORD_0
	v_lshl_add_u32 v51, v51, 10, 0x2000
	v_lshlrev_b32_e32 v49, 23, v49
	v_and_or_b32 v1, 0x8000, v1, v51
	v_lshl_or_b32 v49, v1, 16, v49
.LBB266_758:                            ;   in Loop: Header=BB266_414 Depth=1
	s_or_b32 exec_lo, exec_lo, s18
.LBB266_759:                            ;   in Loop: Header=BB266_414 Depth=1
	s_or_b32 exec_lo, exec_lo, s17
.LBB266_760:                            ;   in Loop: Header=BB266_414 Depth=1
	s_or_b32 exec_lo, exec_lo, s13
	v_lshrrev_b32_e32 v1, 16, v7
	v_mov_b32_e32 v51, 0
	v_mov_b32_e32 v52, 0
	v_cmp_ne_u16_sdwa s0, v1, v2 src0_sel:BYTE_0 src1_sel:DWORD
	s_and_saveexec_b32 s13, s0
	s_cbranch_execz .LBB266_768
; %bb.761:                              ;   in Loop: Header=BB266_414 Depth=1
	v_cmp_ne_u16_sdwa s0, v1, v24 src0_sel:BYTE_0 src1_sel:DWORD
	v_mov_b32_e32 v52, 0x8000
	s_and_saveexec_b32 s17, s0
	s_cbranch_execz .LBB266_767
; %bb.762:                              ;   in Loop: Header=BB266_414 Depth=1
	v_bfe_u32 v54, v7, 16, 7
	v_mov_b32_e32 v52, 0x7c01
	s_mov_b32 s18, exec_lo
	v_cmpx_ne_u32_e32 0x7f, v54
	s_cbranch_execz .LBB266_766
; %bb.763:                              ;   in Loop: Header=BB266_414 Depth=1
	v_and_b32_e32 v52, 7, v1
	v_lshrrev_b32_e32 v53, 3, v54
	s_mov_b32 s19, exec_lo
	v_cmpx_gt_u32_e32 8, v54
; %bb.764:                              ;   in Loop: Header=BB266_414 Depth=1
	v_ffbh_u32_e32 v52, v52
	v_min_u32_e32 v54, 32, v52
	v_subrev_nc_u32_e32 v52, 28, v54
	v_lshlrev_b64 v[52:53], v52, v[1:2]
	v_sub_nc_u32_e32 v53, 29, v54
	v_and_b32_e32 v52, 7, v52
; %bb.765:                              ;   in Loop: Header=BB266_414 Depth=1
	s_or_b32 exec_lo, exec_lo, s19
	v_lshlrev_b32_e32 v1, 8, v1
	v_lshl_add_u32 v53, v53, 10, 0x2000
	v_lshlrev_b32_e32 v52, 7, v52
	v_and_b32_e32 v1, 0x8000, v1
	v_and_b32_e32 v53, 0xfc00, v53
	v_or3_b32 v52, v1, v53, v52
.LBB266_766:                            ;   in Loop: Header=BB266_414 Depth=1
	s_or_b32 exec_lo, exec_lo, s18
.LBB266_767:                            ;   in Loop: Header=BB266_414 Depth=1
	s_or_b32 exec_lo, exec_lo, s17
.LBB266_768:                            ;   in Loop: Header=BB266_414 Depth=1
	s_or_b32 exec_lo, exec_lo, s13
	s_mov_b32 s13, exec_lo
	v_cmpx_lt_u32_e32 0xffffff, v7
	s_cbranch_execz .LBB266_776
; %bb.769:                              ;   in Loop: Header=BB266_414 Depth=1
	v_lshrrev_b32_e32 v1, 24, v7
	v_bfrev_b32_e32 v51, 1
	s_mov_b32 s17, exec_lo
	v_cmpx_ne_u32_e32 0x80, v1
	s_cbranch_execz .LBB266_775
; %bb.770:                              ;   in Loop: Header=BB266_414 Depth=1
	v_and_b32_e32 v54, 0x7f, v1
	v_mov_b32_e32 v51, 0x7c010000
	s_mov_b32 s18, exec_lo
	v_cmpx_ne_u32_e32 0x7f, v54
	s_cbranch_execz .LBB266_774
; %bb.771:                              ;   in Loop: Header=BB266_414 Depth=1
	v_and_b32_e32 v51, 7, v1
	v_lshrrev_b32_e32 v53, 3, v54
	s_mov_b32 s19, exec_lo
	v_cmpx_gt_u32_e32 8, v54
; %bb.772:                              ;   in Loop: Header=BB266_414 Depth=1
	v_ffbh_u32_e32 v51, v51
	v_min_u32_e32 v51, 32, v51
	v_subrev_nc_u32_e32 v53, 28, v51
	v_lshlrev_b64 v[54:55], v53, v[1:2]
	v_sub_nc_u32_e32 v53, 29, v51
	v_and_b32_e32 v51, 7, v54
; %bb.773:                              ;   in Loop: Header=BB266_414 Depth=1
	s_or_b32 exec_lo, exec_lo, s19
	v_lshlrev_b32_e32 v1, 8, v1
	v_lshl_add_u32 v53, v53, 10, 0x2000
	v_lshlrev_b32_e32 v51, 23, v51
	v_and_or_b32 v1, 0x8000, v1, v53
	v_lshl_or_b32 v51, v1, 16, v51
.LBB266_774:                            ;   in Loop: Header=BB266_414 Depth=1
	s_or_b32 exec_lo, exec_lo, s18
.LBB266_775:                            ;   in Loop: Header=BB266_414 Depth=1
	s_or_b32 exec_lo, exec_lo, s17
.LBB266_776:                            ;   in Loop: Header=BB266_414 Depth=1
	s_or_b32 exec_lo, exec_lo, s13
	v_mov_b32_e32 v1, v8
	v_cmp_ne_u16_sdwa s0, v8, v2 src0_sel:BYTE_0 src1_sel:DWORD
	v_mov_b32_e32 v53, 0
	v_mov_b32_e32 v54, 0
	s_and_saveexec_b32 s13, s0
	s_cbranch_execz .LBB266_784
; %bb.777:                              ;   in Loop: Header=BB266_414 Depth=1
	v_cmp_ne_u16_sdwa s0, v8, v24 src0_sel:BYTE_0 src1_sel:DWORD
	v_mov_b32_e32 v54, 0x8000
	s_and_saveexec_b32 s17, s0
	s_cbranch_execz .LBB266_783
; %bb.778:                              ;   in Loop: Header=BB266_414 Depth=1
	v_and_b32_e32 v56, 0x7f, v8
	v_mov_b32_e32 v54, 0x7c01
	s_mov_b32 s18, exec_lo
	v_cmpx_ne_u32_e32 0x7f, v56
	s_cbranch_execz .LBB266_782
; %bb.779:                              ;   in Loop: Header=BB266_414 Depth=1
	v_and_b32_e32 v54, 7, v8
	v_lshrrev_b32_e32 v55, 3, v56
	s_mov_b32 s19, exec_lo
	v_cmpx_gt_u32_e32 8, v56
; %bb.780:                              ;   in Loop: Header=BB266_414 Depth=1
	v_ffbh_u32_e32 v54, v54
	v_min_u32_e32 v56, 32, v54
	v_subrev_nc_u32_e32 v54, 28, v56
	v_lshlrev_b64 v[54:55], v54, v[1:2]
	v_sub_nc_u32_e32 v55, 29, v56
	v_and_b32_e32 v54, 7, v54
; %bb.781:                              ;   in Loop: Header=BB266_414 Depth=1
	s_or_b32 exec_lo, exec_lo, s19
	v_lshlrev_b32_e32 v56, 8, v8
	v_lshl_add_u32 v55, v55, 10, 0x2000
	v_lshlrev_b32_e32 v54, 7, v54
	v_and_b32_e32 v56, 0x8000, v56
	v_and_b32_e32 v55, 0xfc00, v55
	v_or3_b32 v54, v56, v55, v54
.LBB266_782:                            ;   in Loop: Header=BB266_414 Depth=1
	s_or_b32 exec_lo, exec_lo, s18
.LBB266_783:                            ;   in Loop: Header=BB266_414 Depth=1
	s_or_b32 exec_lo, exec_lo, s17
.LBB266_784:                            ;   in Loop: Header=BB266_414 Depth=1
	s_or_b32 exec_lo, exec_lo, s13
	v_lshrrev_b16 v1, 8, v1
	v_mov_b32_e32 v55, 0
	s_mov_b32 s13, exec_lo
	v_cmpx_ne_u16_e32 0, v1
	s_cbranch_execz .LBB266_792
; %bb.785:                              ;   in Loop: Header=BB266_414 Depth=1
	v_bfrev_b32_e32 v55, 1
	s_mov_b32 s17, exec_lo
	v_cmpx_ne_u16_e32 0x80, v1
	s_cbranch_execz .LBB266_791
; %bb.786:                              ;   in Loop: Header=BB266_414 Depth=1
	v_and_b32_sdwa v57, v1, v25 dst_sel:DWORD dst_unused:UNUSED_PAD src0_sel:WORD_0 src1_sel:DWORD
	v_mov_b32_e32 v55, 0x7c010000
	s_mov_b32 s18, exec_lo
	v_cmpx_ne_u32_e32 0x7f, v57
	s_cbranch_execz .LBB266_790
; %bb.787:                              ;   in Loop: Header=BB266_414 Depth=1
	v_and_b32_sdwa v55, v1, v26 dst_sel:DWORD dst_unused:UNUSED_PAD src0_sel:WORD_0 src1_sel:DWORD
	v_lshrrev_b32_e32 v56, 3, v57
	s_mov_b32 s19, exec_lo
	v_cmpx_gt_u32_e32 8, v57
; %bb.788:                              ;   in Loop: Header=BB266_414 Depth=1
	v_ffbh_u32_e32 v55, v55
	v_min_u32_e32 v57, 32, v55
	v_subrev_nc_u32_e32 v55, 28, v57
	v_lshlrev_b64 v[55:56], v55, v[1:2]
	v_sub_nc_u32_e32 v56, 29, v57
	v_and_b32_e32 v55, 7, v55
; %bb.789:                              ;   in Loop: Header=BB266_414 Depth=1
	s_or_b32 exec_lo, exec_lo, s19
	v_lshlrev_b32_sdwa v1, v27, v1 dst_sel:DWORD dst_unused:UNUSED_PAD src0_sel:DWORD src1_sel:WORD_0
	v_lshl_add_u32 v56, v56, 10, 0x2000
	v_lshlrev_b32_e32 v55, 23, v55
	v_and_or_b32 v1, 0x8000, v1, v56
	v_lshl_or_b32 v55, v1, 16, v55
.LBB266_790:                            ;   in Loop: Header=BB266_414 Depth=1
	s_or_b32 exec_lo, exec_lo, s18
.LBB266_791:                            ;   in Loop: Header=BB266_414 Depth=1
	s_or_b32 exec_lo, exec_lo, s17
.LBB266_792:                            ;   in Loop: Header=BB266_414 Depth=1
	s_or_b32 exec_lo, exec_lo, s13
	v_lshrrev_b32_e32 v1, 16, v8
	v_cmp_ne_u16_sdwa s0, v1, v2 src0_sel:BYTE_0 src1_sel:DWORD
	s_and_saveexec_b32 s13, s0
	s_cbranch_execz .LBB266_800
; %bb.793:                              ;   in Loop: Header=BB266_414 Depth=1
	v_cmp_ne_u16_sdwa s0, v1, v24 src0_sel:BYTE_0 src1_sel:DWORD
	v_mov_b32_e32 v53, 0x8000
	s_and_saveexec_b32 s17, s0
	s_cbranch_execz .LBB266_799
; %bb.794:                              ;   in Loop: Header=BB266_414 Depth=1
	v_bfe_u32 v57, v8, 16, 7
	v_mov_b32_e32 v53, 0x7c01
	s_mov_b32 s18, exec_lo
	v_cmpx_ne_u32_e32 0x7f, v57
	s_cbranch_execz .LBB266_798
; %bb.795:                              ;   in Loop: Header=BB266_414 Depth=1
	v_and_b32_e32 v53, 7, v1
	v_lshrrev_b32_e32 v56, 3, v57
	s_mov_b32 s19, exec_lo
	v_cmpx_gt_u32_e32 8, v57
; %bb.796:                              ;   in Loop: Header=BB266_414 Depth=1
	v_ffbh_u32_e32 v53, v53
	v_min_u32_e32 v53, 32, v53
	v_subrev_nc_u32_e32 v56, 28, v53
	v_lshlrev_b64 v[57:58], v56, v[1:2]
	v_sub_nc_u32_e32 v56, 29, v53
	v_and_b32_e32 v53, 7, v57
; %bb.797:                              ;   in Loop: Header=BB266_414 Depth=1
	s_or_b32 exec_lo, exec_lo, s19
	v_lshlrev_b32_e32 v1, 8, v1
	v_lshl_add_u32 v56, v56, 10, 0x2000
	v_lshlrev_b32_e32 v53, 7, v53
	v_and_b32_e32 v1, 0x8000, v1
	v_and_b32_e32 v56, 0xfc00, v56
	v_or3_b32 v53, v1, v56, v53
.LBB266_798:                            ;   in Loop: Header=BB266_414 Depth=1
	s_or_b32 exec_lo, exec_lo, s18
.LBB266_799:                            ;   in Loop: Header=BB266_414 Depth=1
	s_or_b32 exec_lo, exec_lo, s17
.LBB266_800:                            ;   in Loop: Header=BB266_414 Depth=1
	s_or_b32 exec_lo, exec_lo, s13
	v_cmp_lt_u64_e64 s0, s[2:3], v[7:8]
	v_mov_b32_e32 v7, 0
	s_and_saveexec_b32 s13, s0
	s_cbranch_execz .LBB266_808
; %bb.801:                              ;   in Loop: Header=BB266_414 Depth=1
	v_lshrrev_b32_e32 v1, 24, v8
	v_bfrev_b32_e32 v7, 1
	s_mov_b32 s17, exec_lo
	v_cmpx_ne_u32_e32 0x80, v1
	s_cbranch_execz .LBB266_807
; %bb.802:                              ;   in Loop: Header=BB266_414 Depth=1
	v_and_b32_e32 v56, 0x7f, v1
	v_mov_b32_e32 v7, 0x7c010000
	s_mov_b32 s18, exec_lo
	v_cmpx_ne_u32_e32 0x7f, v56
	s_cbranch_execz .LBB266_806
; %bb.803:                              ;   in Loop: Header=BB266_414 Depth=1
	v_and_b32_e32 v7, 7, v1
	v_lshrrev_b32_e32 v8, 3, v56
	s_mov_b32 s19, exec_lo
	v_cmpx_gt_u32_e32 8, v56
; %bb.804:                              ;   in Loop: Header=BB266_414 Depth=1
	v_ffbh_u32_e32 v7, v7
	v_min_u32_e32 v56, 32, v7
	v_subrev_nc_u32_e32 v7, 28, v56
	v_lshlrev_b64 v[7:8], v7, v[1:2]
	v_sub_nc_u32_e32 v8, 29, v56
	v_and_b32_e32 v7, 7, v7
; %bb.805:                              ;   in Loop: Header=BB266_414 Depth=1
	s_or_b32 exec_lo, exec_lo, s19
	v_lshlrev_b32_e32 v1, 8, v1
	v_lshl_add_u32 v8, v8, 10, 0x2000
	v_lshlrev_b32_e32 v7, 23, v7
	v_and_or_b32 v1, 0x8000, v1, v8
	v_lshl_or_b32 v7, v1, 16, v7
.LBB266_806:                            ;   in Loop: Header=BB266_414 Depth=1
	s_or_b32 exec_lo, exec_lo, s18
.LBB266_807:                            ;   in Loop: Header=BB266_414 Depth=1
	s_or_b32 exec_lo, exec_lo, s17
.LBB266_808:                            ;   in Loop: Header=BB266_414 Depth=1
	s_or_b32 exec_lo, exec_lo, s13
	v_or_b32_e32 v1, v51, v52
	s_waitcnt vmcnt(0)
	v_fma_mixlo_f16 v8, v48, v51, 0 op_sel:[0,1,0] op_sel_hi:[0,1,0]
	v_or_b32_e32 v50, v49, v50
	v_fma_mixlo_f16 v51, v48, v49, 0 op_sel:[0,1,0] op_sel_hi:[0,1,0]
	v_or_b32_e32 v52, v55, v54
	v_fma_mixlo_f16 v1, v48, v1, 0 op_sel_hi:[0,1,0]
	v_or_b32_e32 v53, v7, v53
	v_lshlrev_b32_e32 v49, 16, v8
	v_lshlrev_b32_e32 v54, 16, v51
	v_fma_mixlo_f16 v8, v48, v50, 0 op_sel_hi:[0,1,0]
	v_and_b32_e32 v51, 0xffff, v1
	v_fma_mixlo_f16 v1, v48, v55, 0 op_sel:[0,1,0] op_sel_hi:[0,1,0]
	v_fma_mixlo_f16 v50, v48, v52, 0 op_sel_hi:[0,1,0]
	v_fma_mixlo_f16 v7, v48, v7, 0 op_sel:[0,1,0] op_sel_hi:[0,1,0]
	v_fma_mixlo_f16 v48, v48, v53, 0 op_sel_hi:[0,1,0]
	v_and_b32_e32 v56, 0xffff, v8
	v_lshlrev_b32_e32 v52, 16, v1
	v_and_b32_e32 v55, 0xffff, v50
	v_lshlrev_b32_e32 v50, 16, v7
	v_and_b32_e32 v53, 0xffff, v48
	v_or_b32_e32 v8, v49, v51
	v_or_b32_e32 v48, v54, v56
	;; [unrolled: 1-line block ×4, first 2 shown]
	s_and_saveexec_b32 s0, vcc_lo
	s_cbranch_execz .LBB266_413
; %bb.809:                              ;   in Loop: Header=BB266_414 Depth=1
	v_cmp_gt_i32_e32 vcc_lo, s11, v29
	v_cndmask_b32_e32 v1, 0, v56, vcc_lo
	v_cmp_gt_i32_e32 vcc_lo, s11, v35
	v_cndmask_b32_e32 v7, 0, v54, vcc_lo
	v_cmp_gt_i32_e32 vcc_lo, s11, v34
	v_or_b32_e32 v48, v7, v1
	v_cndmask_b32_e32 v8, 0, v51, vcc_lo
	v_cmp_gt_i32_e32 vcc_lo, s11, v33
	v_cndmask_b32_e32 v29, 0, v49, vcc_lo
	v_cmp_gt_i32_e32 vcc_lo, s11, v32
	v_or_b32_e32 v8, v29, v8
	;; [unrolled: 5-line block ×3, first 2 shown]
	v_cndmask_b32_e32 v30, 0, v53, vcc_lo
	v_cmp_gt_i32_e32 vcc_lo, s11, v23
	v_cndmask_b32_e32 v33, 0, v50, vcc_lo
	v_or_b32_e32 v1, v33, v30
	s_branch .LBB266_413
.LBB266_810:
	s_or_b32 exec_lo, exec_lo, s12
.LBB266_811:
	s_or_b32 exec_lo, exec_lo, s1
	ds_bpermute_b32 v1, v16, v21
	ds_bpermute_b32 v2, v16, v22
	;; [unrolled: 1-line block ×6, first 2 shown]
	v_lshrrev_b32_e32 v7, 1, v17
	v_mul_u32_u24_e32 v9, 0x180, v13
	v_and_b32_e32 v13, 0x3c1, v0
	s_mov_b32 s0, exec_lo
	s_waitcnt lgkmcnt(0)
	v_lshl_add_u32 v8, v7, 2, 0xe0
	s_barrier
	buffer_gl0_inv
	v_add_f32_e32 v6, v21, v1
	v_add_f32_e32 v5, v22, v2
	;; [unrolled: 1-line block ×6, first 2 shown]
	v_cmpx_eq_u32_e32 64, v13
	s_cbranch_execz .LBB266_813
; %bb.812:
	v_add_nc_u32_e32 v10, v8, v9
	v_add_nc_u32_e32 v13, 0xfffffd00, v10
	;; [unrolled: 1-line block ×7, first 2 shown]
	ds_write_b32 v13, v6
	ds_write_b32 v14, v5
	;; [unrolled: 1-line block ×6, first 2 shown]
.LBB266_813:
	s_or_b32 exec_lo, exec_lo, s0
	v_lshlrev_b32_e32 v7, 2, v7
	s_mov_b32 s1, exec_lo
	v_cmp_eq_u32_e32 vcc_lo, 0, v12
	s_waitcnt lgkmcnt(0)
	s_barrier
	v_add3_u32 v7, 0xe0, v9, v7
	buffer_gl0_inv
	v_cmpx_gt_u32_e32 64, v0
	s_cbranch_execz .LBB266_822
; %bb.814:
	s_and_saveexec_b32 s0, vcc_lo
	s_cbranch_execnz .LBB266_836
; %bb.815:
	s_or_b32 exec_lo, exec_lo, s0
	s_and_saveexec_b32 s0, vcc_lo
	s_cbranch_execnz .LBB266_837
.LBB266_816:
	s_or_b32 exec_lo, exec_lo, s0
	s_and_saveexec_b32 s0, vcc_lo
	s_cbranch_execnz .LBB266_838
.LBB266_817:
	s_or_b32 exec_lo, exec_lo, s0
	s_and_saveexec_b32 s0, vcc_lo
	s_cbranch_execnz .LBB266_839
.LBB266_818:
	s_or_b32 exec_lo, exec_lo, s0
	s_and_saveexec_b32 s0, vcc_lo
	s_cbranch_execnz .LBB266_840
.LBB266_819:
	s_or_b32 exec_lo, exec_lo, s0
	s_and_saveexec_b32 s0, vcc_lo
	s_cbranch_execz .LBB266_821
.LBB266_820:
	ds_read_b32 v9, v7 offset:320
	s_waitcnt lgkmcnt(0)
	v_add_f32_e32 v1, v1, v9
.LBB266_821:
	s_or_b32 exec_lo, exec_lo, s0
.LBB266_822:
	s_or_b32 exec_lo, exec_lo, s1
	v_and_b32_e32 v9, 0x3e1, v0
	s_mov_b32 s1, exec_lo
	s_barrier
	buffer_gl0_inv
	v_cmpx_eq_u32_e32 32, v9
	s_cbranch_execz .LBB266_824
; %bb.823:
	ds_write2_b32 v8, v6, v5 offset1:16
	ds_write2_b32 v8, v4, v3 offset0:32 offset1:48
	ds_write2_b32 v8, v2, v1 offset0:64 offset1:80
.LBB266_824:
	s_or_b32 exec_lo, exec_lo, s1
	s_mov_b32 s1, exec_lo
	s_waitcnt lgkmcnt(0)
	s_barrier
	buffer_gl0_inv
	v_cmpx_gt_u32_e32 32, v0
	s_cbranch_execz .LBB266_833
; %bb.825:
	s_and_saveexec_b32 s0, vcc_lo
	s_cbranch_execnz .LBB266_841
; %bb.826:
	s_or_b32 exec_lo, exec_lo, s0
	s_and_saveexec_b32 s0, vcc_lo
	s_cbranch_execnz .LBB266_842
.LBB266_827:
	s_or_b32 exec_lo, exec_lo, s0
	s_and_saveexec_b32 s0, vcc_lo
	s_cbranch_execnz .LBB266_843
.LBB266_828:
	s_or_b32 exec_lo, exec_lo, s0
	s_and_saveexec_b32 s0, vcc_lo
	s_cbranch_execnz .LBB266_844
.LBB266_829:
	s_or_b32 exec_lo, exec_lo, s0
	s_and_saveexec_b32 s0, vcc_lo
	s_cbranch_execnz .LBB266_845
.LBB266_830:
	s_or_b32 exec_lo, exec_lo, s0
	s_and_saveexec_b32 s0, vcc_lo
	s_cbranch_execz .LBB266_832
.LBB266_831:
	ds_read_b32 v0, v7 offset:320
	s_waitcnt lgkmcnt(0)
	v_add_f32_e32 v1, v1, v0
.LBB266_832:
	s_or_b32 exec_lo, exec_lo, s0
.LBB266_833:
	s_or_b32 exec_lo, exec_lo, s1
	s_barrier
	buffer_gl0_inv
	s_mov_b32 s0, exec_lo
	v_cmpx_eq_u32_e32 0, v9
	s_cbranch_execz .LBB266_835
; %bb.834:
	s_mul_i32 s0, s10, s7
	s_mul_i32 s2, s7, s6
	;; [unrolled: 1-line block ×3, first 2 shown]
	v_lshlrev_b32_e32 v0, 1, v11
	s_mulk_i32 s0, 0x60
	;;#ASMSTART
	v_cvt_f16_f32 v6, v6;

	;;#ASMEND
	s_ashr_i32 s1, s0, 31
	s_lshl_b64 s[0:1], s[0:1], 1
	s_add_u32 s4, s20, s0
	s_addc_u32 s5, s21, s1
	s_ashr_i32 s3, s2, 31
	s_lshl_b64 s[0:1], s[2:3], 1
	s_mul_i32 s2, s8, 0x60
	s_add_u32 s4, s4, s0
	s_addc_u32 s5, s5, s1
	s_ashr_i32 s3, s2, 31
	s_lshl_b64 s[0:1], s[2:3], 1
	s_add_u32 s0, s4, s0
	s_addc_u32 s1, s5, s1
	global_store_short v0, v6, s[0:1]
	;;#ASMSTART
	v_cvt_f16_f32 v5, v5;

	;;#ASMEND
	global_store_short v0, v5, s[0:1] offset:32
	;;#ASMSTART
	v_cvt_f16_f32 v4, v4;

	;;#ASMEND
	global_store_short v0, v4, s[0:1] offset:64
	;; [unrolled: 5-line block ×5, first 2 shown]
.LBB266_835:
	s_endpgm
.LBB266_836:
	ds_read_b32 v9, v7
	s_waitcnt lgkmcnt(0)
	v_add_f32_e32 v6, v6, v9
	s_or_b32 exec_lo, exec_lo, s0
	s_and_saveexec_b32 s0, vcc_lo
	s_cbranch_execz .LBB266_816
.LBB266_837:
	ds_read_b32 v9, v7 offset:64
	s_waitcnt lgkmcnt(0)
	v_add_f32_e32 v5, v5, v9
	s_or_b32 exec_lo, exec_lo, s0
	s_and_saveexec_b32 s0, vcc_lo
	s_cbranch_execz .LBB266_817
.LBB266_838:
	ds_read_b32 v9, v7 offset:128
	s_waitcnt lgkmcnt(0)
	v_add_f32_e32 v4, v4, v9
	s_or_b32 exec_lo, exec_lo, s0
	s_and_saveexec_b32 s0, vcc_lo
	s_cbranch_execz .LBB266_818
.LBB266_839:
	ds_read_b32 v9, v7 offset:192
	s_waitcnt lgkmcnt(0)
	v_add_f32_e32 v3, v3, v9
	s_or_b32 exec_lo, exec_lo, s0
	s_and_saveexec_b32 s0, vcc_lo
	s_cbranch_execz .LBB266_819
.LBB266_840:
	ds_read_b32 v9, v7 offset:256
	s_waitcnt lgkmcnt(0)
	v_add_f32_e32 v2, v2, v9
	s_or_b32 exec_lo, exec_lo, s0
	s_and_saveexec_b32 s0, vcc_lo
	s_cbranch_execnz .LBB266_820
	s_branch .LBB266_821
.LBB266_841:
	ds_read_b32 v0, v7
	s_waitcnt lgkmcnt(0)
	v_add_f32_e32 v6, v6, v0
	s_or_b32 exec_lo, exec_lo, s0
	s_and_saveexec_b32 s0, vcc_lo
	s_cbranch_execz .LBB266_827
.LBB266_842:
	ds_read_b32 v0, v7 offset:64
	s_waitcnt lgkmcnt(0)
	v_add_f32_e32 v5, v5, v0
	s_or_b32 exec_lo, exec_lo, s0
	s_and_saveexec_b32 s0, vcc_lo
	s_cbranch_execz .LBB266_828
.LBB266_843:
	ds_read_b32 v0, v7 offset:128
	s_waitcnt lgkmcnt(0)
	v_add_f32_e32 v4, v4, v0
	s_or_b32 exec_lo, exec_lo, s0
	s_and_saveexec_b32 s0, vcc_lo
	s_cbranch_execz .LBB266_829
.LBB266_844:
	ds_read_b32 v0, v7 offset:192
	s_waitcnt lgkmcnt(0)
	v_add_f32_e32 v3, v3, v0
	s_or_b32 exec_lo, exec_lo, s0
	s_and_saveexec_b32 s0, vcc_lo
	s_cbranch_execz .LBB266_830
.LBB266_845:
	ds_read_b32 v0, v7 offset:256
	s_waitcnt lgkmcnt(0)
	v_add_f32_e32 v2, v2, v0
	s_or_b32 exec_lo, exec_lo, s0
	s_and_saveexec_b32 s0, vcc_lo
	s_cbranch_execnz .LBB266_831
	s_branch .LBB266_832
	.section	.rodata,"a",@progbits
	.p2align	6, 0x0
	.amdhsa_kernel _ZN4vllm25paged_attention_v1_kernelIthLi96ELi16ELi128ELNS_18Fp8KVCacheDataTypeE1ELb0EEEvPT_PKS2_PKT0_S8_ifPKiSA_iPKfiiiSC_SC_iiiii
		.amdhsa_group_segment_fixed_size 224
		.amdhsa_private_segment_fixed_size 0
		.amdhsa_kernarg_size 384
		.amdhsa_user_sgpr_count 6
		.amdhsa_user_sgpr_private_segment_buffer 1
		.amdhsa_user_sgpr_dispatch_ptr 0
		.amdhsa_user_sgpr_queue_ptr 0
		.amdhsa_user_sgpr_kernarg_segment_ptr 1
		.amdhsa_user_sgpr_dispatch_id 0
		.amdhsa_user_sgpr_flat_scratch_init 0
		.amdhsa_user_sgpr_private_segment_size 0
		.amdhsa_wavefront_size32 1
		.amdhsa_uses_dynamic_stack 0
		.amdhsa_system_sgpr_private_segment_wavefront_offset 0
		.amdhsa_system_sgpr_workgroup_id_x 1
		.amdhsa_system_sgpr_workgroup_id_y 1
		.amdhsa_system_sgpr_workgroup_id_z 1
		.amdhsa_system_sgpr_workgroup_info 0
		.amdhsa_system_vgpr_workitem_id 0
		.amdhsa_next_free_vgpr 110
		.amdhsa_next_free_sgpr 35
		.amdhsa_reserve_vcc 1
		.amdhsa_reserve_flat_scratch 0
		.amdhsa_float_round_mode_32 0
		.amdhsa_float_round_mode_16_64 0
		.amdhsa_float_denorm_mode_32 3
		.amdhsa_float_denorm_mode_16_64 3
		.amdhsa_dx10_clamp 1
		.amdhsa_ieee_mode 1
		.amdhsa_fp16_overflow 0
		.amdhsa_workgroup_processor_mode 1
		.amdhsa_memory_ordered 1
		.amdhsa_forward_progress 1
		.amdhsa_shared_vgpr_count 0
		.amdhsa_exception_fp_ieee_invalid_op 0
		.amdhsa_exception_fp_denorm_src 0
		.amdhsa_exception_fp_ieee_div_zero 0
		.amdhsa_exception_fp_ieee_overflow 0
		.amdhsa_exception_fp_ieee_underflow 0
		.amdhsa_exception_fp_ieee_inexact 0
		.amdhsa_exception_int_div_zero 0
	.end_amdhsa_kernel
	.section	.text._ZN4vllm25paged_attention_v1_kernelIthLi96ELi16ELi128ELNS_18Fp8KVCacheDataTypeE1ELb0EEEvPT_PKS2_PKT0_S8_ifPKiSA_iPKfiiiSC_SC_iiiii,"axG",@progbits,_ZN4vllm25paged_attention_v1_kernelIthLi96ELi16ELi128ELNS_18Fp8KVCacheDataTypeE1ELb0EEEvPT_PKS2_PKT0_S8_ifPKiSA_iPKfiiiSC_SC_iiiii,comdat
.Lfunc_end266:
	.size	_ZN4vllm25paged_attention_v1_kernelIthLi96ELi16ELi128ELNS_18Fp8KVCacheDataTypeE1ELb0EEEvPT_PKS2_PKT0_S8_ifPKiSA_iPKfiiiSC_SC_iiiii, .Lfunc_end266-_ZN4vllm25paged_attention_v1_kernelIthLi96ELi16ELi128ELNS_18Fp8KVCacheDataTypeE1ELb0EEEvPT_PKS2_PKT0_S8_ifPKiSA_iPKfiiiSC_SC_iiiii
                                        ; -- End function
	.set _ZN4vllm25paged_attention_v1_kernelIthLi96ELi16ELi128ELNS_18Fp8KVCacheDataTypeE1ELb0EEEvPT_PKS2_PKT0_S8_ifPKiSA_iPKfiiiSC_SC_iiiii.num_vgpr, 110
	.set _ZN4vllm25paged_attention_v1_kernelIthLi96ELi16ELi128ELNS_18Fp8KVCacheDataTypeE1ELb0EEEvPT_PKS2_PKT0_S8_ifPKiSA_iPKfiiiSC_SC_iiiii.num_agpr, 0
	.set _ZN4vllm25paged_attention_v1_kernelIthLi96ELi16ELi128ELNS_18Fp8KVCacheDataTypeE1ELb0EEEvPT_PKS2_PKT0_S8_ifPKiSA_iPKfiiiSC_SC_iiiii.numbered_sgpr, 35
	.set _ZN4vllm25paged_attention_v1_kernelIthLi96ELi16ELi128ELNS_18Fp8KVCacheDataTypeE1ELb0EEEvPT_PKS2_PKT0_S8_ifPKiSA_iPKfiiiSC_SC_iiiii.num_named_barrier, 0
	.set _ZN4vllm25paged_attention_v1_kernelIthLi96ELi16ELi128ELNS_18Fp8KVCacheDataTypeE1ELb0EEEvPT_PKS2_PKT0_S8_ifPKiSA_iPKfiiiSC_SC_iiiii.private_seg_size, 0
	.set _ZN4vllm25paged_attention_v1_kernelIthLi96ELi16ELi128ELNS_18Fp8KVCacheDataTypeE1ELb0EEEvPT_PKS2_PKT0_S8_ifPKiSA_iPKfiiiSC_SC_iiiii.uses_vcc, 1
	.set _ZN4vllm25paged_attention_v1_kernelIthLi96ELi16ELi128ELNS_18Fp8KVCacheDataTypeE1ELb0EEEvPT_PKS2_PKT0_S8_ifPKiSA_iPKfiiiSC_SC_iiiii.uses_flat_scratch, 0
	.set _ZN4vllm25paged_attention_v1_kernelIthLi96ELi16ELi128ELNS_18Fp8KVCacheDataTypeE1ELb0EEEvPT_PKS2_PKT0_S8_ifPKiSA_iPKfiiiSC_SC_iiiii.has_dyn_sized_stack, 0
	.set _ZN4vllm25paged_attention_v1_kernelIthLi96ELi16ELi128ELNS_18Fp8KVCacheDataTypeE1ELb0EEEvPT_PKS2_PKT0_S8_ifPKiSA_iPKfiiiSC_SC_iiiii.has_recursion, 0
	.set _ZN4vllm25paged_attention_v1_kernelIthLi96ELi16ELi128ELNS_18Fp8KVCacheDataTypeE1ELb0EEEvPT_PKS2_PKT0_S8_ifPKiSA_iPKfiiiSC_SC_iiiii.has_indirect_call, 0
	.section	.AMDGPU.csdata,"",@progbits
; Kernel info:
; codeLenInByte = 27628
; TotalNumSgprs: 37
; NumVgprs: 110
; ScratchSize: 0
; MemoryBound: 0
; FloatMode: 240
; IeeeMode: 1
; LDSByteSize: 224 bytes/workgroup (compile time only)
; SGPRBlocks: 0
; VGPRBlocks: 13
; NumSGPRsForWavesPerEU: 37
; NumVGPRsForWavesPerEU: 110
; Occupancy: 9
; WaveLimiterHint : 1
; COMPUTE_PGM_RSRC2:SCRATCH_EN: 0
; COMPUTE_PGM_RSRC2:USER_SGPR: 6
; COMPUTE_PGM_RSRC2:TRAP_HANDLER: 0
; COMPUTE_PGM_RSRC2:TGID_X_EN: 1
; COMPUTE_PGM_RSRC2:TGID_Y_EN: 1
; COMPUTE_PGM_RSRC2:TGID_Z_EN: 1
; COMPUTE_PGM_RSRC2:TIDIG_COMP_CNT: 0
	.section	.text._ZN4vllm25paged_attention_v1_kernelIthLi112ELi16ELi128ELNS_18Fp8KVCacheDataTypeE1ELb0EEEvPT_PKS2_PKT0_S8_ifPKiSA_iPKfiiiSC_SC_iiiii,"axG",@progbits,_ZN4vllm25paged_attention_v1_kernelIthLi112ELi16ELi128ELNS_18Fp8KVCacheDataTypeE1ELb0EEEvPT_PKS2_PKT0_S8_ifPKiSA_iPKfiiiSC_SC_iiiii,comdat
	.protected	_ZN4vllm25paged_attention_v1_kernelIthLi112ELi16ELi128ELNS_18Fp8KVCacheDataTypeE1ELb0EEEvPT_PKS2_PKT0_S8_ifPKiSA_iPKfiiiSC_SC_iiiii ; -- Begin function _ZN4vllm25paged_attention_v1_kernelIthLi112ELi16ELi128ELNS_18Fp8KVCacheDataTypeE1ELb0EEEvPT_PKS2_PKT0_S8_ifPKiSA_iPKfiiiSC_SC_iiiii
	.globl	_ZN4vllm25paged_attention_v1_kernelIthLi112ELi16ELi128ELNS_18Fp8KVCacheDataTypeE1ELb0EEEvPT_PKS2_PKT0_S8_ifPKiSA_iPKfiiiSC_SC_iiiii
	.p2align	8
	.type	_ZN4vllm25paged_attention_v1_kernelIthLi112ELi16ELi128ELNS_18Fp8KVCacheDataTypeE1ELb0EEEvPT_PKS2_PKT0_S8_ifPKiSA_iPKfiiiSC_SC_iiiii,@function
_ZN4vllm25paged_attention_v1_kernelIthLi112ELi16ELi128ELNS_18Fp8KVCacheDataTypeE1ELb0EEEvPT_PKS2_PKT0_S8_ifPKiSA_iPKfiiiSC_SC_iiiii: ; @_ZN4vllm25paged_attention_v1_kernelIthLi112ELi16ELi128ELNS_18Fp8KVCacheDataTypeE1ELb0EEEvPT_PKS2_PKT0_S8_ifPKiSA_iPKfiiiSC_SC_iiiii
; %bb.0:
	s_clause 0x2
	s_load_dword s9, s[4:5], 0x80
	s_load_dwordx2 s[0:1], s[4:5], 0x30
	s_load_dwordx2 s[28:29], s[4:5], 0x20
	s_mov_b32 s10, s7
	s_ashr_i32 s11, s7, 31
	s_lshl_b64 s[2:3], s[10:11], 2
	s_waitcnt lgkmcnt(0)
	s_add_u32 s0, s0, s2
	s_addc_u32 s1, s1, s3
	s_abs_i32 s2, s28
	s_abs_i32 s11, s9
	v_cvt_f32_u32_e32 v1, s2
	s_sub_i32 s7, 0, s2
	v_rcp_iflag_f32_e32 v1, v1
	v_mul_f32_e32 v1, 0x4f7ffffe, v1
	v_cvt_u32_f32_e32 v1, v1
	v_readfirstlane_b32 s3, v1
	s_mul_i32 s7, s7, s3
	s_mul_hi_u32 s7, s3, s7
	s_add_i32 s3, s3, s7
	s_xor_b32 s7, s9, s28
	s_mul_hi_u32 s3, s11, s3
	s_ashr_i32 s7, s7, 31
	s_mul_i32 s12, s3, s2
	s_mov_b32 s28, 0
	s_sub_i32 s11, s11, s12
	s_add_i32 s12, s3, 1
	s_sub_i32 s13, s11, s2
	s_cmp_ge_u32 s11, s2
	s_cselect_b32 s3, s12, s3
	s_cselect_b32 s11, s13, s11
	s_add_i32 s12, s3, 1
	s_cmp_ge_u32 s11, s2
	s_cselect_b32 s2, s12, s3
	s_abs_i32 s13, s6
	s_xor_b32 s2, s2, s7
	s_sub_i32 s15, s2, s7
	s_load_dwordx2 s[2:3], s[4:5], 0x40
	s_abs_i32 s12, s15
	v_cvt_f32_u32_e32 v1, s12
	s_sub_i32 s11, 0, s12
	v_rcp_iflag_f32_e32 v1, v1
	v_mul_f32_e32 v1, 0x4f7ffffe, v1
	v_cvt_u32_f32_e32 v1, v1
	v_readfirstlane_b32 s7, v1
	s_mul_i32 s11, s11, s7
	s_mul_hi_u32 s11, s7, s11
	s_add_i32 s7, s7, s11
	s_waitcnt lgkmcnt(0)
	s_cmp_eq_u64 s[2:3], 0
	s_mul_hi_u32 s14, s13, s7
	s_cbranch_scc1 .LBB267_2
; %bb.1:
	s_ashr_i32 s7, s6, 31
	s_lshl_b64 s[16:17], s[6:7], 2
	s_add_u32 s2, s2, s16
	s_addc_u32 s3, s3, s17
	s_load_dword s28, s[2:3], 0x0
.LBB267_2:
	s_load_dword s11, s[0:1], 0x0
	s_load_dwordx4 s[16:19], s[4:5], 0x48
	v_lshrrev_b32_e32 v11, 1, v0
	v_and_b32_e32 v12, 1, v0
	v_lshlrev_b32_e32 v10, 3, v0
	s_ashr_i32 s0, s6, 31
	s_ashr_i32 s1, s15, 31
	s_mulk_i32 s6, 0x70
	s_mov_b32 s2, exec_lo
	v_cmpx_gt_u32_e32 28, v0
	s_cbranch_execz .LBB267_4
; %bb.3:
	s_load_dwordx2 s[20:21], s[4:5], 0x8
	s_waitcnt lgkmcnt(0)
	s_mul_i32 s22, s16, s10
	v_lshlrev_b32_e32 v3, 3, v11
	s_ashr_i32 s23, s22, 31
	s_lshl_b64 s[22:23], s[22:23], 1
	v_mad_u32_u24 v3, 0x70, v12, v3
	s_add_u32 s3, s20, s22
	s_addc_u32 s15, s21, s23
	s_ashr_i32 s7, s6, 31
	s_lshl_b64 s[20:21], s[6:7], 1
	s_add_u32 s20, s3, s20
	s_addc_u32 s21, s15, s21
	global_load_dwordx2 v[1:2], v10, s[20:21]
	s_waitcnt vmcnt(0)
	ds_write_b64 v3, v[1:2]
.LBB267_4:
	s_or_b32 exec_lo, exec_lo, s2
	s_waitcnt lgkmcnt(0)
	s_add_i32 s2, s11, 15
	s_clause 0x1
	s_load_dwordx2 s[22:23], s[4:5], 0x28
	s_load_dword s7, s[4:5], 0x38
	s_ashr_i32 s3, s2, 31
	s_xor_b32 s0, s0, s1
	s_lshr_b32 s3, s3, 28
	s_mul_i32 s1, s14, s12
	s_add_i32 s2, s2, s3
	s_sub_i32 s1, s13, s1
	s_ashr_i32 s16, s2, 4
	s_add_i32 s2, s14, 1
	s_sub_i32 s3, s1, s12
	s_cmp_ge_u32 s1, s12
	v_lshrrev_b32_e32 v13, 5, v0
	s_cselect_b32 s2, s2, s14
	s_cselect_b32 s1, s3, s1
	s_add_i32 s3, s2, 1
	s_cmp_ge_u32 s1, s12
	v_mbcnt_lo_u32_b32 v15, -1, 0
	s_cselect_b32 s1, s3, s2
	s_mov_b32 s2, exec_lo
	s_xor_b32 s1, s1, s0
	s_waitcnt lgkmcnt(0)
	s_mul_i32 s24, s7, s10
	s_sub_i32 s1, s1, s0
	v_cmp_gt_i32_e64 s0, s16, v13
	s_ashr_i32 s25, s24, 31
	s_barrier
	buffer_gl0_inv
                                        ; implicit-def: $vgpr2
                                        ; implicit-def: $vgpr16
	v_cmpx_le_i32_e64 s16, v13
	s_xor_b32 s2, exec_lo, s2
; %bb.5:
	v_mov_b32_e32 v2, 0
	v_mbcnt_lo_u32_b32 v15, -1, 0
	v_mov_b32_e32 v16, 32
; %bb.6:
	s_or_saveexec_b32 s19, s2
	s_clause 0x3
	s_load_dwordx2 s[20:21], s[4:5], 0x0
	s_load_dwordx2 s[26:27], s[4:5], 0x18
	s_load_dword s7, s[4:5], 0x88
	s_load_dwordx4 s[12:15], s[4:5], 0x58
	v_mov_b32_e32 v17, 0xff7fffff
	v_lshrrev_b32_e32 v14, 3, v0
	s_mul_i32 s18, s1, s18
	s_xor_b32 exec_lo, exec_lo, s19
	s_cbranch_execz .LBB267_460
; %bb.7:
	s_load_dwordx2 s[2:3], s[4:5], 0x10
	v_bfe_u32 v1, v0, 1, 4
	s_ashr_i32 s4, s18, 31
	v_lshlrev_b32_e32 v4, 2, v12
	v_and_b32_e32 v5, 0x7c, v14
	v_mov_b32_e32 v2, 0
	v_lshlrev_b32_e32 v3, 2, v1
	v_lshlrev_b32_e32 v6, 4, v1
	v_lshl_or_b32 v19, v13, 4, v1
	v_mul_u32_u24_e32 v18, 0x70, v12
	v_cmp_neq_f32_e64 s1, s28, 0
	v_lshl_or_b32 v3, v13, 6, v3
	v_mov_b32_e32 v17, 0xff7fffff
	v_mov_b32_e32 v16, 32
	v_mov_b32_e32 v21, 0x80
	v_mov_b32_e32 v22, 0x7f
	v_add_nc_u32_e32 v20, 0x100, v3
	v_mov_b32_e32 v23, 7
	v_mov_b32_e32 v24, 8
	;; [unrolled: 1-line block ×3, first 2 shown]
	s_waitcnt lgkmcnt(0)
	s_add_u32 s5, s2, s18
	s_addc_u32 s30, s3, s4
	v_add_co_u32 v1, s5, s5, v6
	v_add_co_ci_u32_e64 v6, null, s30, 0, s5
	s_lshl_b64 s[2:3], s[24:25], 2
	s_sub_i32 s4, 1, s11
	s_add_u32 s5, s22, s2
	v_add_co_u32 v3, s2, v1, v4
	s_addc_u32 s3, s23, s3
	v_add_co_ci_u32_e64 v4, null, 0, v6, s2
	v_add_co_u32 v5, s2, s5, v5
	v_add_co_ci_u32_e64 v6, null, s3, 0, s2
	s_mov_b32 s30, s17
	s_mov_b32 s5, 0
	v_cmp_eq_u32_e32 vcc_lo, 0, v12
	s_branch .LBB267_9
.LBB267_8:                              ;   in Loop: Header=BB267_9 Depth=1
	s_or_b32 exec_lo, exec_lo, s3
	v_add_nc_u32_e32 v25, 4, v25
	v_add_co_u32 v5, s3, v5, 16
	v_add_nc_u32_e32 v19, 64, v19
	v_add_nc_u32_e32 v20, 0x100, v20
	v_cmp_le_i32_e64 s2, s16, v25
	v_add_co_ci_u32_e64 v6, null, 0, v6, s3
	s_or_b32 s5, s2, s5
	s_andn2_b32 exec_lo, exec_lo, s5
	s_cbranch_execz .LBB267_459
.LBB267_9:                              ; =>This Inner Loop Header: Depth=1
	global_load_dword v1, v[5:6], off
	v_mov_b32_e32 v27, 0
	s_waitcnt vmcnt(0) lgkmcnt(0)
	v_mad_i64_i32 v[7:8], null, v1, s30, v[3:4]
	global_load_dword v9, v[7:8], off
	global_load_dword v26, v2, s[12:13]
	s_waitcnt vmcnt(1)
	v_cmp_ne_u16_sdwa s2, v9, v2 src0_sel:BYTE_0 src1_sel:DWORD
	s_and_saveexec_b32 s3, s2
	s_cbranch_execz .LBB267_17
; %bb.10:                               ;   in Loop: Header=BB267_9 Depth=1
	v_cmp_ne_u16_sdwa s2, v9, v21 src0_sel:BYTE_0 src1_sel:DWORD
	v_mov_b32_e32 v27, 0x8000
	s_and_saveexec_b32 s31, s2
	s_cbranch_execz .LBB267_16
; %bb.11:                               ;   in Loop: Header=BB267_9 Depth=1
	v_and_b32_e32 v28, 0x7f, v9
	v_mov_b32_e32 v27, 0x7c01
	s_mov_b32 s33, exec_lo
	v_cmpx_ne_u32_e32 0x7f, v28
	s_cbranch_execz .LBB267_15
; %bb.12:                               ;   in Loop: Header=BB267_9 Depth=1
	v_and_b32_e32 v1, 7, v9
	v_lshrrev_b32_e32 v27, 3, v28
	s_mov_b32 s34, exec_lo
	v_cmpx_gt_u32_e32 8, v28
; %bb.13:                               ;   in Loop: Header=BB267_9 Depth=1
	v_ffbh_u32_e32 v1, v1
	v_min_u32_e32 v1, 32, v1
	v_subrev_nc_u32_e32 v27, 28, v1
	v_lshlrev_b64 v[28:29], v27, v[9:10]
	v_sub_nc_u32_e32 v27, 29, v1
	v_and_b32_e32 v1, 7, v28
; %bb.14:                               ;   in Loop: Header=BB267_9 Depth=1
	s_or_b32 exec_lo, exec_lo, s34
	v_lshlrev_b32_e32 v28, 8, v9
	v_lshl_add_u32 v27, v27, 10, 0x2000
	v_lshlrev_b32_e32 v1, 7, v1
	v_and_b32_e32 v28, 0x8000, v28
	v_and_b32_e32 v27, 0xfc00, v27
	v_or3_b32 v27, v28, v27, v1
.LBB267_15:                             ;   in Loop: Header=BB267_9 Depth=1
	s_or_b32 exec_lo, exec_lo, s33
.LBB267_16:                             ;   in Loop: Header=BB267_9 Depth=1
	s_or_b32 exec_lo, exec_lo, s31
.LBB267_17:                             ;   in Loop: Header=BB267_9 Depth=1
	s_or_b32 exec_lo, exec_lo, s3
	v_lshrrev_b16 v1, 8, v9
	v_mov_b32_e32 v28, 0
	s_mov_b32 s3, exec_lo
	v_cmpx_ne_u16_e32 0, v1
	s_cbranch_execz .LBB267_25
; %bb.18:                               ;   in Loop: Header=BB267_9 Depth=1
	v_bfrev_b32_e32 v28, 1
	s_mov_b32 s31, exec_lo
	v_cmpx_ne_u16_e32 0x80, v1
	s_cbranch_execz .LBB267_24
; %bb.19:                               ;   in Loop: Header=BB267_9 Depth=1
	v_and_b32_sdwa v30, v1, v22 dst_sel:DWORD dst_unused:UNUSED_PAD src0_sel:WORD_0 src1_sel:DWORD
	v_mov_b32_e32 v28, 0x7c010000
	s_mov_b32 s33, exec_lo
	v_cmpx_ne_u32_e32 0x7f, v30
	s_cbranch_execz .LBB267_23
; %bb.20:                               ;   in Loop: Header=BB267_9 Depth=1
	v_and_b32_sdwa v28, v1, v23 dst_sel:DWORD dst_unused:UNUSED_PAD src0_sel:WORD_0 src1_sel:DWORD
	v_lshrrev_b32_e32 v29, 3, v30
	s_mov_b32 s34, exec_lo
	v_cmpx_gt_u32_e32 8, v30
; %bb.21:                               ;   in Loop: Header=BB267_9 Depth=1
	v_ffbh_u32_e32 v28, v28
	v_min_u32_e32 v30, 32, v28
	v_subrev_nc_u32_e32 v28, 28, v30
	v_lshlrev_b64 v[28:29], v28, v[1:2]
	v_sub_nc_u32_e32 v29, 29, v30
	v_and_b32_e32 v28, 7, v28
; %bb.22:                               ;   in Loop: Header=BB267_9 Depth=1
	s_or_b32 exec_lo, exec_lo, s34
	v_lshlrev_b32_sdwa v1, v24, v1 dst_sel:DWORD dst_unused:UNUSED_PAD src0_sel:DWORD src1_sel:WORD_0
	v_lshl_add_u32 v29, v29, 10, 0x2000
	v_lshlrev_b32_e32 v28, 23, v28
	v_and_or_b32 v1, 0x8000, v1, v29
	v_lshl_or_b32 v28, v1, 16, v28
.LBB267_23:                             ;   in Loop: Header=BB267_9 Depth=1
	s_or_b32 exec_lo, exec_lo, s33
.LBB267_24:                             ;   in Loop: Header=BB267_9 Depth=1
	s_or_b32 exec_lo, exec_lo, s31
.LBB267_25:                             ;   in Loop: Header=BB267_9 Depth=1
	s_or_b32 exec_lo, exec_lo, s3
	v_lshrrev_b32_e32 v1, 16, v9
	v_mov_b32_e32 v29, 0
	v_mov_b32_e32 v30, 0
	v_cmp_ne_u16_sdwa s2, v1, v2 src0_sel:BYTE_0 src1_sel:DWORD
	s_and_saveexec_b32 s3, s2
	s_cbranch_execz .LBB267_33
; %bb.26:                               ;   in Loop: Header=BB267_9 Depth=1
	v_cmp_ne_u16_sdwa s2, v1, v21 src0_sel:BYTE_0 src1_sel:DWORD
	v_mov_b32_e32 v30, 0x8000
	s_and_saveexec_b32 s31, s2
	s_cbranch_execz .LBB267_32
; %bb.27:                               ;   in Loop: Header=BB267_9 Depth=1
	v_bfe_u32 v32, v9, 16, 7
	v_mov_b32_e32 v30, 0x7c01
	s_mov_b32 s33, exec_lo
	v_cmpx_ne_u32_e32 0x7f, v32
	s_cbranch_execz .LBB267_31
; %bb.28:                               ;   in Loop: Header=BB267_9 Depth=1
	v_and_b32_e32 v30, 7, v1
	v_lshrrev_b32_e32 v31, 3, v32
	s_mov_b32 s34, exec_lo
	v_cmpx_gt_u32_e32 8, v32
; %bb.29:                               ;   in Loop: Header=BB267_9 Depth=1
	v_ffbh_u32_e32 v30, v30
	v_min_u32_e32 v32, 32, v30
	v_subrev_nc_u32_e32 v30, 28, v32
	v_lshlrev_b64 v[30:31], v30, v[1:2]
	v_sub_nc_u32_e32 v31, 29, v32
	v_and_b32_e32 v30, 7, v30
; %bb.30:                               ;   in Loop: Header=BB267_9 Depth=1
	s_or_b32 exec_lo, exec_lo, s34
	v_lshlrev_b32_e32 v1, 8, v1
	v_lshl_add_u32 v31, v31, 10, 0x2000
	v_lshlrev_b32_e32 v30, 7, v30
	v_and_b32_e32 v1, 0x8000, v1
	v_and_b32_e32 v31, 0xfc00, v31
	v_or3_b32 v30, v1, v31, v30
.LBB267_31:                             ;   in Loop: Header=BB267_9 Depth=1
	s_or_b32 exec_lo, exec_lo, s33
.LBB267_32:                             ;   in Loop: Header=BB267_9 Depth=1
	s_or_b32 exec_lo, exec_lo, s31
.LBB267_33:                             ;   in Loop: Header=BB267_9 Depth=1
	s_or_b32 exec_lo, exec_lo, s3
	s_mov_b32 s3, exec_lo
	v_cmpx_lt_u32_e32 0xffffff, v9
	s_cbranch_execz .LBB267_41
; %bb.34:                               ;   in Loop: Header=BB267_9 Depth=1
	v_lshrrev_b32_e32 v1, 24, v9
	v_bfrev_b32_e32 v29, 1
	s_mov_b32 s31, exec_lo
	v_cmpx_ne_u32_e32 0x80, v1
	s_cbranch_execz .LBB267_40
; %bb.35:                               ;   in Loop: Header=BB267_9 Depth=1
	v_and_b32_e32 v31, 0x7f, v1
	v_mov_b32_e32 v29, 0x7c010000
	s_mov_b32 s33, exec_lo
	v_cmpx_ne_u32_e32 0x7f, v31
	s_cbranch_execz .LBB267_39
; %bb.36:                               ;   in Loop: Header=BB267_9 Depth=1
	v_and_b32_e32 v9, 7, v1
	v_lshrrev_b32_e32 v29, 3, v31
	s_mov_b32 s34, exec_lo
	v_cmpx_gt_u32_e32 8, v31
; %bb.37:                               ;   in Loop: Header=BB267_9 Depth=1
	v_ffbh_u32_e32 v9, v9
	v_min_u32_e32 v9, 32, v9
	v_subrev_nc_u32_e32 v29, 28, v9
	v_lshlrev_b64 v[31:32], v29, v[1:2]
	v_sub_nc_u32_e32 v29, 29, v9
	v_and_b32_e32 v9, 7, v31
; %bb.38:                               ;   in Loop: Header=BB267_9 Depth=1
	s_or_b32 exec_lo, exec_lo, s34
	v_lshlrev_b32_e32 v1, 8, v1
	v_lshl_add_u32 v29, v29, 10, 0x2000
	v_lshlrev_b32_e32 v9, 23, v9
	v_and_or_b32 v1, 0x8000, v1, v29
	v_lshl_or_b32 v29, v1, 16, v9
.LBB267_39:                             ;   in Loop: Header=BB267_9 Depth=1
	s_or_b32 exec_lo, exec_lo, s33
.LBB267_40:                             ;   in Loop: Header=BB267_9 Depth=1
	s_or_b32 exec_lo, exec_lo, s31
.LBB267_41:                             ;   in Loop: Header=BB267_9 Depth=1
	s_or_b32 exec_lo, exec_lo, s3
	global_load_dword v9, v[7:8], off offset:8
	v_mov_b32_e32 v31, 0
	v_mov_b32_e32 v32, 0
	s_waitcnt vmcnt(0)
	v_cmp_ne_u16_sdwa s2, v9, v2 src0_sel:BYTE_0 src1_sel:DWORD
	s_and_saveexec_b32 s3, s2
	s_cbranch_execz .LBB267_49
; %bb.42:                               ;   in Loop: Header=BB267_9 Depth=1
	v_cmp_ne_u16_sdwa s2, v9, v21 src0_sel:BYTE_0 src1_sel:DWORD
	v_mov_b32_e32 v32, 0x8000
	s_and_saveexec_b32 s31, s2
	s_cbranch_execz .LBB267_48
; %bb.43:                               ;   in Loop: Header=BB267_9 Depth=1
	v_and_b32_e32 v33, 0x7f, v9
	v_mov_b32_e32 v32, 0x7c01
	s_mov_b32 s33, exec_lo
	v_cmpx_ne_u32_e32 0x7f, v33
	s_cbranch_execz .LBB267_47
; %bb.44:                               ;   in Loop: Header=BB267_9 Depth=1
	v_and_b32_e32 v1, 7, v9
	v_lshrrev_b32_e32 v32, 3, v33
	s_mov_b32 s34, exec_lo
	v_cmpx_gt_u32_e32 8, v33
; %bb.45:                               ;   in Loop: Header=BB267_9 Depth=1
	v_ffbh_u32_e32 v1, v1
	v_min_u32_e32 v1, 32, v1
	v_subrev_nc_u32_e32 v32, 28, v1
	v_lshlrev_b64 v[33:34], v32, v[9:10]
	v_sub_nc_u32_e32 v32, 29, v1
	v_and_b32_e32 v1, 7, v33
; %bb.46:                               ;   in Loop: Header=BB267_9 Depth=1
	s_or_b32 exec_lo, exec_lo, s34
	v_lshlrev_b32_e32 v33, 8, v9
	v_lshl_add_u32 v32, v32, 10, 0x2000
	v_lshlrev_b32_e32 v1, 7, v1
	v_and_b32_e32 v33, 0x8000, v33
	v_and_b32_e32 v32, 0xfc00, v32
	v_or3_b32 v32, v33, v32, v1
.LBB267_47:                             ;   in Loop: Header=BB267_9 Depth=1
	s_or_b32 exec_lo, exec_lo, s33
.LBB267_48:                             ;   in Loop: Header=BB267_9 Depth=1
	s_or_b32 exec_lo, exec_lo, s31
.LBB267_49:                             ;   in Loop: Header=BB267_9 Depth=1
	s_or_b32 exec_lo, exec_lo, s3
	v_lshrrev_b16 v1, 8, v9
	s_mov_b32 s3, exec_lo
	v_cmpx_ne_u16_e32 0, v1
	s_cbranch_execz .LBB267_57
; %bb.50:                               ;   in Loop: Header=BB267_9 Depth=1
	v_bfrev_b32_e32 v31, 1
	s_mov_b32 s31, exec_lo
	v_cmpx_ne_u16_e32 0x80, v1
	s_cbranch_execz .LBB267_56
; %bb.51:                               ;   in Loop: Header=BB267_9 Depth=1
	v_and_b32_sdwa v34, v1, v22 dst_sel:DWORD dst_unused:UNUSED_PAD src0_sel:WORD_0 src1_sel:DWORD
	v_mov_b32_e32 v31, 0x7c010000
	s_mov_b32 s33, exec_lo
	v_cmpx_ne_u32_e32 0x7f, v34
	s_cbranch_execz .LBB267_55
; %bb.52:                               ;   in Loop: Header=BB267_9 Depth=1
	v_and_b32_sdwa v31, v1, v23 dst_sel:DWORD dst_unused:UNUSED_PAD src0_sel:WORD_0 src1_sel:DWORD
	v_lshrrev_b32_e32 v33, 3, v34
	s_mov_b32 s34, exec_lo
	v_cmpx_gt_u32_e32 8, v34
; %bb.53:                               ;   in Loop: Header=BB267_9 Depth=1
	v_ffbh_u32_e32 v31, v31
	v_min_u32_e32 v31, 32, v31
	v_subrev_nc_u32_e32 v33, 28, v31
	v_lshlrev_b64 v[34:35], v33, v[1:2]
	v_sub_nc_u32_e32 v33, 29, v31
	v_and_b32_e32 v31, 7, v34
; %bb.54:                               ;   in Loop: Header=BB267_9 Depth=1
	s_or_b32 exec_lo, exec_lo, s34
	v_lshlrev_b32_sdwa v1, v24, v1 dst_sel:DWORD dst_unused:UNUSED_PAD src0_sel:DWORD src1_sel:WORD_0
	v_lshl_add_u32 v33, v33, 10, 0x2000
	v_lshlrev_b32_e32 v31, 23, v31
	v_and_or_b32 v1, 0x8000, v1, v33
	v_lshl_or_b32 v31, v1, 16, v31
.LBB267_55:                             ;   in Loop: Header=BB267_9 Depth=1
	s_or_b32 exec_lo, exec_lo, s33
.LBB267_56:                             ;   in Loop: Header=BB267_9 Depth=1
	s_or_b32 exec_lo, exec_lo, s31
.LBB267_57:                             ;   in Loop: Header=BB267_9 Depth=1
	s_or_b32 exec_lo, exec_lo, s3
	v_lshrrev_b32_e32 v1, 16, v9
	v_mov_b32_e32 v33, 0
	v_mov_b32_e32 v34, 0
	v_cmp_ne_u16_sdwa s2, v1, v2 src0_sel:BYTE_0 src1_sel:DWORD
	s_and_saveexec_b32 s3, s2
	s_cbranch_execz .LBB267_65
; %bb.58:                               ;   in Loop: Header=BB267_9 Depth=1
	v_cmp_ne_u16_sdwa s2, v1, v21 src0_sel:BYTE_0 src1_sel:DWORD
	v_mov_b32_e32 v34, 0x8000
	s_and_saveexec_b32 s31, s2
	s_cbranch_execz .LBB267_64
; %bb.59:                               ;   in Loop: Header=BB267_9 Depth=1
	v_bfe_u32 v36, v9, 16, 7
	v_mov_b32_e32 v34, 0x7c01
	s_mov_b32 s33, exec_lo
	v_cmpx_ne_u32_e32 0x7f, v36
	s_cbranch_execz .LBB267_63
; %bb.60:                               ;   in Loop: Header=BB267_9 Depth=1
	v_and_b32_e32 v34, 7, v1
	v_lshrrev_b32_e32 v35, 3, v36
	s_mov_b32 s34, exec_lo
	v_cmpx_gt_u32_e32 8, v36
; %bb.61:                               ;   in Loop: Header=BB267_9 Depth=1
	v_ffbh_u32_e32 v34, v34
	v_min_u32_e32 v36, 32, v34
	v_subrev_nc_u32_e32 v34, 28, v36
	v_lshlrev_b64 v[34:35], v34, v[1:2]
	v_sub_nc_u32_e32 v35, 29, v36
	v_and_b32_e32 v34, 7, v34
; %bb.62:                               ;   in Loop: Header=BB267_9 Depth=1
	s_or_b32 exec_lo, exec_lo, s34
	v_lshlrev_b32_e32 v1, 8, v1
	v_lshl_add_u32 v35, v35, 10, 0x2000
	v_lshlrev_b32_e32 v34, 7, v34
	v_and_b32_e32 v1, 0x8000, v1
	v_and_b32_e32 v35, 0xfc00, v35
	v_or3_b32 v34, v1, v35, v34
.LBB267_63:                             ;   in Loop: Header=BB267_9 Depth=1
	s_or_b32 exec_lo, exec_lo, s33
.LBB267_64:                             ;   in Loop: Header=BB267_9 Depth=1
	s_or_b32 exec_lo, exec_lo, s31
.LBB267_65:                             ;   in Loop: Header=BB267_9 Depth=1
	s_or_b32 exec_lo, exec_lo, s3
	s_mov_b32 s3, exec_lo
	v_cmpx_lt_u32_e32 0xffffff, v9
	s_cbranch_execz .LBB267_73
; %bb.66:                               ;   in Loop: Header=BB267_9 Depth=1
	v_lshrrev_b32_e32 v1, 24, v9
	v_bfrev_b32_e32 v33, 1
	s_mov_b32 s31, exec_lo
	v_cmpx_ne_u32_e32 0x80, v1
	s_cbranch_execz .LBB267_72
; %bb.67:                               ;   in Loop: Header=BB267_9 Depth=1
	v_and_b32_e32 v35, 0x7f, v1
	v_mov_b32_e32 v33, 0x7c010000
	s_mov_b32 s33, exec_lo
	v_cmpx_ne_u32_e32 0x7f, v35
	s_cbranch_execz .LBB267_71
; %bb.68:                               ;   in Loop: Header=BB267_9 Depth=1
	v_and_b32_e32 v9, 7, v1
	v_lshrrev_b32_e32 v33, 3, v35
	s_mov_b32 s34, exec_lo
	v_cmpx_gt_u32_e32 8, v35
; %bb.69:                               ;   in Loop: Header=BB267_9 Depth=1
	v_ffbh_u32_e32 v9, v9
	v_min_u32_e32 v9, 32, v9
	v_subrev_nc_u32_e32 v33, 28, v9
	v_lshlrev_b64 v[35:36], v33, v[1:2]
	v_sub_nc_u32_e32 v33, 29, v9
	v_and_b32_e32 v9, 7, v35
; %bb.70:                               ;   in Loop: Header=BB267_9 Depth=1
	s_or_b32 exec_lo, exec_lo, s34
	v_lshlrev_b32_e32 v1, 8, v1
	v_lshl_add_u32 v33, v33, 10, 0x2000
	v_lshlrev_b32_e32 v9, 23, v9
	v_and_or_b32 v1, 0x8000, v1, v33
	v_lshl_or_b32 v33, v1, 16, v9
.LBB267_71:                             ;   in Loop: Header=BB267_9 Depth=1
	s_or_b32 exec_lo, exec_lo, s33
.LBB267_72:                             ;   in Loop: Header=BB267_9 Depth=1
	s_or_b32 exec_lo, exec_lo, s31
.LBB267_73:                             ;   in Loop: Header=BB267_9 Depth=1
	s_or_b32 exec_lo, exec_lo, s3
	global_load_dword v9, v[7:8], off offset:256
	v_mov_b32_e32 v35, 0
	v_mov_b32_e32 v36, 0
	s_waitcnt vmcnt(0)
	v_cmp_ne_u16_sdwa s2, v9, v2 src0_sel:BYTE_0 src1_sel:DWORD
	s_and_saveexec_b32 s3, s2
	s_cbranch_execz .LBB267_81
; %bb.74:                               ;   in Loop: Header=BB267_9 Depth=1
	v_cmp_ne_u16_sdwa s2, v9, v21 src0_sel:BYTE_0 src1_sel:DWORD
	v_mov_b32_e32 v36, 0x8000
	s_and_saveexec_b32 s31, s2
	s_cbranch_execz .LBB267_80
; %bb.75:                               ;   in Loop: Header=BB267_9 Depth=1
	v_and_b32_e32 v37, 0x7f, v9
	v_mov_b32_e32 v36, 0x7c01
	s_mov_b32 s33, exec_lo
	v_cmpx_ne_u32_e32 0x7f, v37
	s_cbranch_execz .LBB267_79
; %bb.76:                               ;   in Loop: Header=BB267_9 Depth=1
	v_and_b32_e32 v1, 7, v9
	v_lshrrev_b32_e32 v36, 3, v37
	s_mov_b32 s34, exec_lo
	v_cmpx_gt_u32_e32 8, v37
; %bb.77:                               ;   in Loop: Header=BB267_9 Depth=1
	v_ffbh_u32_e32 v1, v1
	v_min_u32_e32 v1, 32, v1
	v_subrev_nc_u32_e32 v36, 28, v1
	v_lshlrev_b64 v[37:38], v36, v[9:10]
	v_sub_nc_u32_e32 v36, 29, v1
	v_and_b32_e32 v1, 7, v37
; %bb.78:                               ;   in Loop: Header=BB267_9 Depth=1
	s_or_b32 exec_lo, exec_lo, s34
	v_lshlrev_b32_e32 v37, 8, v9
	v_lshl_add_u32 v36, v36, 10, 0x2000
	v_lshlrev_b32_e32 v1, 7, v1
	v_and_b32_e32 v37, 0x8000, v37
	v_and_b32_e32 v36, 0xfc00, v36
	v_or3_b32 v36, v37, v36, v1
.LBB267_79:                             ;   in Loop: Header=BB267_9 Depth=1
	s_or_b32 exec_lo, exec_lo, s33
.LBB267_80:                             ;   in Loop: Header=BB267_9 Depth=1
	s_or_b32 exec_lo, exec_lo, s31
.LBB267_81:                             ;   in Loop: Header=BB267_9 Depth=1
	s_or_b32 exec_lo, exec_lo, s3
	v_lshrrev_b16 v1, 8, v9
	s_mov_b32 s3, exec_lo
	v_cmpx_ne_u16_e32 0, v1
	s_cbranch_execz .LBB267_89
; %bb.82:                               ;   in Loop: Header=BB267_9 Depth=1
	v_bfrev_b32_e32 v35, 1
	s_mov_b32 s31, exec_lo
	v_cmpx_ne_u16_e32 0x80, v1
	s_cbranch_execz .LBB267_88
; %bb.83:                               ;   in Loop: Header=BB267_9 Depth=1
	v_and_b32_sdwa v38, v1, v22 dst_sel:DWORD dst_unused:UNUSED_PAD src0_sel:WORD_0 src1_sel:DWORD
	v_mov_b32_e32 v35, 0x7c010000
	s_mov_b32 s33, exec_lo
	v_cmpx_ne_u32_e32 0x7f, v38
	s_cbranch_execz .LBB267_87
; %bb.84:                               ;   in Loop: Header=BB267_9 Depth=1
	v_and_b32_sdwa v35, v1, v23 dst_sel:DWORD dst_unused:UNUSED_PAD src0_sel:WORD_0 src1_sel:DWORD
	v_lshrrev_b32_e32 v37, 3, v38
	s_mov_b32 s34, exec_lo
	v_cmpx_gt_u32_e32 8, v38
; %bb.85:                               ;   in Loop: Header=BB267_9 Depth=1
	v_ffbh_u32_e32 v35, v35
	v_min_u32_e32 v35, 32, v35
	v_subrev_nc_u32_e32 v37, 28, v35
	v_lshlrev_b64 v[38:39], v37, v[1:2]
	v_sub_nc_u32_e32 v37, 29, v35
	v_and_b32_e32 v35, 7, v38
; %bb.86:                               ;   in Loop: Header=BB267_9 Depth=1
	s_or_b32 exec_lo, exec_lo, s34
	v_lshlrev_b32_sdwa v1, v24, v1 dst_sel:DWORD dst_unused:UNUSED_PAD src0_sel:DWORD src1_sel:WORD_0
	v_lshl_add_u32 v37, v37, 10, 0x2000
	v_lshlrev_b32_e32 v35, 23, v35
	v_and_or_b32 v1, 0x8000, v1, v37
	v_lshl_or_b32 v35, v1, 16, v35
.LBB267_87:                             ;   in Loop: Header=BB267_9 Depth=1
	s_or_b32 exec_lo, exec_lo, s33
.LBB267_88:                             ;   in Loop: Header=BB267_9 Depth=1
	s_or_b32 exec_lo, exec_lo, s31
.LBB267_89:                             ;   in Loop: Header=BB267_9 Depth=1
	s_or_b32 exec_lo, exec_lo, s3
	v_lshrrev_b32_e32 v1, 16, v9
	v_mov_b32_e32 v37, 0
	v_mov_b32_e32 v38, 0
	v_cmp_ne_u16_sdwa s2, v1, v2 src0_sel:BYTE_0 src1_sel:DWORD
	s_and_saveexec_b32 s3, s2
	s_cbranch_execz .LBB267_97
; %bb.90:                               ;   in Loop: Header=BB267_9 Depth=1
	v_cmp_ne_u16_sdwa s2, v1, v21 src0_sel:BYTE_0 src1_sel:DWORD
	v_mov_b32_e32 v38, 0x8000
	s_and_saveexec_b32 s31, s2
	s_cbranch_execz .LBB267_96
; %bb.91:                               ;   in Loop: Header=BB267_9 Depth=1
	v_bfe_u32 v40, v9, 16, 7
	v_mov_b32_e32 v38, 0x7c01
	s_mov_b32 s33, exec_lo
	v_cmpx_ne_u32_e32 0x7f, v40
	s_cbranch_execz .LBB267_95
; %bb.92:                               ;   in Loop: Header=BB267_9 Depth=1
	v_and_b32_e32 v38, 7, v1
	v_lshrrev_b32_e32 v39, 3, v40
	s_mov_b32 s34, exec_lo
	v_cmpx_gt_u32_e32 8, v40
; %bb.93:                               ;   in Loop: Header=BB267_9 Depth=1
	v_ffbh_u32_e32 v38, v38
	v_min_u32_e32 v40, 32, v38
	v_subrev_nc_u32_e32 v38, 28, v40
	v_lshlrev_b64 v[38:39], v38, v[1:2]
	v_sub_nc_u32_e32 v39, 29, v40
	v_and_b32_e32 v38, 7, v38
; %bb.94:                               ;   in Loop: Header=BB267_9 Depth=1
	s_or_b32 exec_lo, exec_lo, s34
	v_lshlrev_b32_e32 v1, 8, v1
	v_lshl_add_u32 v39, v39, 10, 0x2000
	v_lshlrev_b32_e32 v38, 7, v38
	v_and_b32_e32 v1, 0x8000, v1
	v_and_b32_e32 v39, 0xfc00, v39
	v_or3_b32 v38, v1, v39, v38
.LBB267_95:                             ;   in Loop: Header=BB267_9 Depth=1
	s_or_b32 exec_lo, exec_lo, s33
.LBB267_96:                             ;   in Loop: Header=BB267_9 Depth=1
	s_or_b32 exec_lo, exec_lo, s31
.LBB267_97:                             ;   in Loop: Header=BB267_9 Depth=1
	s_or_b32 exec_lo, exec_lo, s3
	s_mov_b32 s3, exec_lo
	v_cmpx_lt_u32_e32 0xffffff, v9
	s_cbranch_execz .LBB267_105
; %bb.98:                               ;   in Loop: Header=BB267_9 Depth=1
	v_lshrrev_b32_e32 v1, 24, v9
	v_bfrev_b32_e32 v37, 1
	s_mov_b32 s31, exec_lo
	v_cmpx_ne_u32_e32 0x80, v1
	s_cbranch_execz .LBB267_104
; %bb.99:                               ;   in Loop: Header=BB267_9 Depth=1
	v_and_b32_e32 v39, 0x7f, v1
	v_mov_b32_e32 v37, 0x7c010000
	s_mov_b32 s33, exec_lo
	v_cmpx_ne_u32_e32 0x7f, v39
	s_cbranch_execz .LBB267_103
; %bb.100:                              ;   in Loop: Header=BB267_9 Depth=1
	v_and_b32_e32 v9, 7, v1
	v_lshrrev_b32_e32 v37, 3, v39
	s_mov_b32 s34, exec_lo
	v_cmpx_gt_u32_e32 8, v39
; %bb.101:                              ;   in Loop: Header=BB267_9 Depth=1
	v_ffbh_u32_e32 v9, v9
	v_min_u32_e32 v9, 32, v9
	v_subrev_nc_u32_e32 v37, 28, v9
	v_lshlrev_b64 v[39:40], v37, v[1:2]
	v_sub_nc_u32_e32 v37, 29, v9
	v_and_b32_e32 v9, 7, v39
; %bb.102:                              ;   in Loop: Header=BB267_9 Depth=1
	s_or_b32 exec_lo, exec_lo, s34
	v_lshlrev_b32_e32 v1, 8, v1
	v_lshl_add_u32 v37, v37, 10, 0x2000
	v_lshlrev_b32_e32 v9, 23, v9
	v_and_or_b32 v1, 0x8000, v1, v37
	v_lshl_or_b32 v37, v1, 16, v9
.LBB267_103:                            ;   in Loop: Header=BB267_9 Depth=1
	s_or_b32 exec_lo, exec_lo, s33
.LBB267_104:                            ;   in Loop: Header=BB267_9 Depth=1
	s_or_b32 exec_lo, exec_lo, s31
.LBB267_105:                            ;   in Loop: Header=BB267_9 Depth=1
	s_or_b32 exec_lo, exec_lo, s3
	global_load_dword v9, v[7:8], off offset:264
	v_mov_b32_e32 v39, 0
	v_mov_b32_e32 v40, 0
	s_waitcnt vmcnt(0)
	v_cmp_ne_u16_sdwa s2, v9, v2 src0_sel:BYTE_0 src1_sel:DWORD
	s_and_saveexec_b32 s3, s2
	s_cbranch_execz .LBB267_113
; %bb.106:                              ;   in Loop: Header=BB267_9 Depth=1
	v_cmp_ne_u16_sdwa s2, v9, v21 src0_sel:BYTE_0 src1_sel:DWORD
	v_mov_b32_e32 v40, 0x8000
	s_and_saveexec_b32 s31, s2
	s_cbranch_execz .LBB267_112
; %bb.107:                              ;   in Loop: Header=BB267_9 Depth=1
	v_and_b32_e32 v41, 0x7f, v9
	v_mov_b32_e32 v40, 0x7c01
	s_mov_b32 s33, exec_lo
	v_cmpx_ne_u32_e32 0x7f, v41
	s_cbranch_execz .LBB267_111
; %bb.108:                              ;   in Loop: Header=BB267_9 Depth=1
	v_and_b32_e32 v1, 7, v9
	v_lshrrev_b32_e32 v40, 3, v41
	s_mov_b32 s34, exec_lo
	v_cmpx_gt_u32_e32 8, v41
; %bb.109:                              ;   in Loop: Header=BB267_9 Depth=1
	v_ffbh_u32_e32 v1, v1
	v_min_u32_e32 v1, 32, v1
	v_subrev_nc_u32_e32 v40, 28, v1
	v_lshlrev_b64 v[41:42], v40, v[9:10]
	v_sub_nc_u32_e32 v40, 29, v1
	v_and_b32_e32 v1, 7, v41
; %bb.110:                              ;   in Loop: Header=BB267_9 Depth=1
	s_or_b32 exec_lo, exec_lo, s34
	v_lshlrev_b32_e32 v41, 8, v9
	v_lshl_add_u32 v40, v40, 10, 0x2000
	v_lshlrev_b32_e32 v1, 7, v1
	v_and_b32_e32 v41, 0x8000, v41
	v_and_b32_e32 v40, 0xfc00, v40
	v_or3_b32 v40, v41, v40, v1
.LBB267_111:                            ;   in Loop: Header=BB267_9 Depth=1
	s_or_b32 exec_lo, exec_lo, s33
.LBB267_112:                            ;   in Loop: Header=BB267_9 Depth=1
	s_or_b32 exec_lo, exec_lo, s31
.LBB267_113:                            ;   in Loop: Header=BB267_9 Depth=1
	s_or_b32 exec_lo, exec_lo, s3
	v_lshrrev_b16 v1, 8, v9
	s_mov_b32 s3, exec_lo
	v_cmpx_ne_u16_e32 0, v1
	s_cbranch_execz .LBB267_121
; %bb.114:                              ;   in Loop: Header=BB267_9 Depth=1
	v_bfrev_b32_e32 v39, 1
	s_mov_b32 s31, exec_lo
	v_cmpx_ne_u16_e32 0x80, v1
	s_cbranch_execz .LBB267_120
; %bb.115:                              ;   in Loop: Header=BB267_9 Depth=1
	v_and_b32_sdwa v42, v1, v22 dst_sel:DWORD dst_unused:UNUSED_PAD src0_sel:WORD_0 src1_sel:DWORD
	v_mov_b32_e32 v39, 0x7c010000
	s_mov_b32 s33, exec_lo
	v_cmpx_ne_u32_e32 0x7f, v42
	s_cbranch_execz .LBB267_119
; %bb.116:                              ;   in Loop: Header=BB267_9 Depth=1
	v_and_b32_sdwa v39, v1, v23 dst_sel:DWORD dst_unused:UNUSED_PAD src0_sel:WORD_0 src1_sel:DWORD
	v_lshrrev_b32_e32 v41, 3, v42
	s_mov_b32 s34, exec_lo
	v_cmpx_gt_u32_e32 8, v42
; %bb.117:                              ;   in Loop: Header=BB267_9 Depth=1
	v_ffbh_u32_e32 v39, v39
	v_min_u32_e32 v39, 32, v39
	v_subrev_nc_u32_e32 v41, 28, v39
	v_lshlrev_b64 v[42:43], v41, v[1:2]
	v_sub_nc_u32_e32 v41, 29, v39
	v_and_b32_e32 v39, 7, v42
; %bb.118:                              ;   in Loop: Header=BB267_9 Depth=1
	s_or_b32 exec_lo, exec_lo, s34
	v_lshlrev_b32_sdwa v1, v24, v1 dst_sel:DWORD dst_unused:UNUSED_PAD src0_sel:DWORD src1_sel:WORD_0
	v_lshl_add_u32 v41, v41, 10, 0x2000
	v_lshlrev_b32_e32 v39, 23, v39
	v_and_or_b32 v1, 0x8000, v1, v41
	v_lshl_or_b32 v39, v1, 16, v39
.LBB267_119:                            ;   in Loop: Header=BB267_9 Depth=1
	s_or_b32 exec_lo, exec_lo, s33
.LBB267_120:                            ;   in Loop: Header=BB267_9 Depth=1
	s_or_b32 exec_lo, exec_lo, s31
.LBB267_121:                            ;   in Loop: Header=BB267_9 Depth=1
	s_or_b32 exec_lo, exec_lo, s3
	v_lshrrev_b32_e32 v1, 16, v9
	v_mov_b32_e32 v41, 0
	v_mov_b32_e32 v42, 0
	v_cmp_ne_u16_sdwa s2, v1, v2 src0_sel:BYTE_0 src1_sel:DWORD
	s_and_saveexec_b32 s3, s2
	s_cbranch_execz .LBB267_129
; %bb.122:                              ;   in Loop: Header=BB267_9 Depth=1
	v_cmp_ne_u16_sdwa s2, v1, v21 src0_sel:BYTE_0 src1_sel:DWORD
	v_mov_b32_e32 v42, 0x8000
	s_and_saveexec_b32 s31, s2
	s_cbranch_execz .LBB267_128
; %bb.123:                              ;   in Loop: Header=BB267_9 Depth=1
	v_bfe_u32 v44, v9, 16, 7
	v_mov_b32_e32 v42, 0x7c01
	s_mov_b32 s33, exec_lo
	v_cmpx_ne_u32_e32 0x7f, v44
	s_cbranch_execz .LBB267_127
; %bb.124:                              ;   in Loop: Header=BB267_9 Depth=1
	v_and_b32_e32 v42, 7, v1
	v_lshrrev_b32_e32 v43, 3, v44
	s_mov_b32 s34, exec_lo
	v_cmpx_gt_u32_e32 8, v44
; %bb.125:                              ;   in Loop: Header=BB267_9 Depth=1
	v_ffbh_u32_e32 v42, v42
	v_min_u32_e32 v44, 32, v42
	v_subrev_nc_u32_e32 v42, 28, v44
	v_lshlrev_b64 v[42:43], v42, v[1:2]
	v_sub_nc_u32_e32 v43, 29, v44
	v_and_b32_e32 v42, 7, v42
; %bb.126:                              ;   in Loop: Header=BB267_9 Depth=1
	s_or_b32 exec_lo, exec_lo, s34
	v_lshlrev_b32_e32 v1, 8, v1
	v_lshl_add_u32 v43, v43, 10, 0x2000
	v_lshlrev_b32_e32 v42, 7, v42
	v_and_b32_e32 v1, 0x8000, v1
	v_and_b32_e32 v43, 0xfc00, v43
	v_or3_b32 v42, v1, v43, v42
.LBB267_127:                            ;   in Loop: Header=BB267_9 Depth=1
	s_or_b32 exec_lo, exec_lo, s33
.LBB267_128:                            ;   in Loop: Header=BB267_9 Depth=1
	s_or_b32 exec_lo, exec_lo, s31
.LBB267_129:                            ;   in Loop: Header=BB267_9 Depth=1
	s_or_b32 exec_lo, exec_lo, s3
	s_mov_b32 s3, exec_lo
	v_cmpx_lt_u32_e32 0xffffff, v9
	s_cbranch_execz .LBB267_137
; %bb.130:                              ;   in Loop: Header=BB267_9 Depth=1
	v_lshrrev_b32_e32 v1, 24, v9
	v_bfrev_b32_e32 v41, 1
	s_mov_b32 s31, exec_lo
	v_cmpx_ne_u32_e32 0x80, v1
	s_cbranch_execz .LBB267_136
; %bb.131:                              ;   in Loop: Header=BB267_9 Depth=1
	v_and_b32_e32 v43, 0x7f, v1
	v_mov_b32_e32 v41, 0x7c010000
	s_mov_b32 s33, exec_lo
	v_cmpx_ne_u32_e32 0x7f, v43
	s_cbranch_execz .LBB267_135
; %bb.132:                              ;   in Loop: Header=BB267_9 Depth=1
	v_and_b32_e32 v9, 7, v1
	v_lshrrev_b32_e32 v41, 3, v43
	s_mov_b32 s34, exec_lo
	v_cmpx_gt_u32_e32 8, v43
; %bb.133:                              ;   in Loop: Header=BB267_9 Depth=1
	v_ffbh_u32_e32 v9, v9
	v_min_u32_e32 v9, 32, v9
	v_subrev_nc_u32_e32 v41, 28, v9
	v_lshlrev_b64 v[43:44], v41, v[1:2]
	v_sub_nc_u32_e32 v41, 29, v9
	v_and_b32_e32 v9, 7, v43
; %bb.134:                              ;   in Loop: Header=BB267_9 Depth=1
	s_or_b32 exec_lo, exec_lo, s34
	v_lshlrev_b32_e32 v1, 8, v1
	v_lshl_add_u32 v41, v41, 10, 0x2000
	v_lshlrev_b32_e32 v9, 23, v9
	v_and_or_b32 v1, 0x8000, v1, v41
	v_lshl_or_b32 v41, v1, 16, v9
.LBB267_135:                            ;   in Loop: Header=BB267_9 Depth=1
	s_or_b32 exec_lo, exec_lo, s33
.LBB267_136:                            ;   in Loop: Header=BB267_9 Depth=1
	s_or_b32 exec_lo, exec_lo, s31
.LBB267_137:                            ;   in Loop: Header=BB267_9 Depth=1
	s_or_b32 exec_lo, exec_lo, s3
	global_load_dword v9, v[7:8], off offset:512
	v_mov_b32_e32 v43, 0
	v_mov_b32_e32 v44, 0
	s_waitcnt vmcnt(0)
	v_cmp_ne_u16_sdwa s2, v9, v2 src0_sel:BYTE_0 src1_sel:DWORD
	s_and_saveexec_b32 s3, s2
	s_cbranch_execz .LBB267_145
; %bb.138:                              ;   in Loop: Header=BB267_9 Depth=1
	v_cmp_ne_u16_sdwa s2, v9, v21 src0_sel:BYTE_0 src1_sel:DWORD
	v_mov_b32_e32 v44, 0x8000
	s_and_saveexec_b32 s31, s2
	s_cbranch_execz .LBB267_144
; %bb.139:                              ;   in Loop: Header=BB267_9 Depth=1
	v_and_b32_e32 v45, 0x7f, v9
	v_mov_b32_e32 v44, 0x7c01
	s_mov_b32 s33, exec_lo
	v_cmpx_ne_u32_e32 0x7f, v45
	s_cbranch_execz .LBB267_143
; %bb.140:                              ;   in Loop: Header=BB267_9 Depth=1
	v_and_b32_e32 v1, 7, v9
	v_lshrrev_b32_e32 v44, 3, v45
	s_mov_b32 s34, exec_lo
	v_cmpx_gt_u32_e32 8, v45
; %bb.141:                              ;   in Loop: Header=BB267_9 Depth=1
	v_ffbh_u32_e32 v1, v1
	v_min_u32_e32 v1, 32, v1
	v_subrev_nc_u32_e32 v44, 28, v1
	v_lshlrev_b64 v[45:46], v44, v[9:10]
	v_sub_nc_u32_e32 v44, 29, v1
	v_and_b32_e32 v1, 7, v45
; %bb.142:                              ;   in Loop: Header=BB267_9 Depth=1
	s_or_b32 exec_lo, exec_lo, s34
	v_lshlrev_b32_e32 v45, 8, v9
	v_lshl_add_u32 v44, v44, 10, 0x2000
	v_lshlrev_b32_e32 v1, 7, v1
	v_and_b32_e32 v45, 0x8000, v45
	v_and_b32_e32 v44, 0xfc00, v44
	v_or3_b32 v44, v45, v44, v1
.LBB267_143:                            ;   in Loop: Header=BB267_9 Depth=1
	s_or_b32 exec_lo, exec_lo, s33
.LBB267_144:                            ;   in Loop: Header=BB267_9 Depth=1
	s_or_b32 exec_lo, exec_lo, s31
.LBB267_145:                            ;   in Loop: Header=BB267_9 Depth=1
	s_or_b32 exec_lo, exec_lo, s3
	v_lshrrev_b16 v1, 8, v9
	s_mov_b32 s3, exec_lo
	v_cmpx_ne_u16_e32 0, v1
	s_cbranch_execz .LBB267_153
; %bb.146:                              ;   in Loop: Header=BB267_9 Depth=1
	v_bfrev_b32_e32 v43, 1
	s_mov_b32 s31, exec_lo
	v_cmpx_ne_u16_e32 0x80, v1
	s_cbranch_execz .LBB267_152
; %bb.147:                              ;   in Loop: Header=BB267_9 Depth=1
	v_and_b32_sdwa v46, v1, v22 dst_sel:DWORD dst_unused:UNUSED_PAD src0_sel:WORD_0 src1_sel:DWORD
	v_mov_b32_e32 v43, 0x7c010000
	s_mov_b32 s33, exec_lo
	v_cmpx_ne_u32_e32 0x7f, v46
	s_cbranch_execz .LBB267_151
; %bb.148:                              ;   in Loop: Header=BB267_9 Depth=1
	v_and_b32_sdwa v43, v1, v23 dst_sel:DWORD dst_unused:UNUSED_PAD src0_sel:WORD_0 src1_sel:DWORD
	v_lshrrev_b32_e32 v45, 3, v46
	s_mov_b32 s34, exec_lo
	v_cmpx_gt_u32_e32 8, v46
; %bb.149:                              ;   in Loop: Header=BB267_9 Depth=1
	v_ffbh_u32_e32 v43, v43
	v_min_u32_e32 v43, 32, v43
	v_subrev_nc_u32_e32 v45, 28, v43
	v_lshlrev_b64 v[46:47], v45, v[1:2]
	v_sub_nc_u32_e32 v45, 29, v43
	v_and_b32_e32 v43, 7, v46
; %bb.150:                              ;   in Loop: Header=BB267_9 Depth=1
	s_or_b32 exec_lo, exec_lo, s34
	v_lshlrev_b32_sdwa v1, v24, v1 dst_sel:DWORD dst_unused:UNUSED_PAD src0_sel:DWORD src1_sel:WORD_0
	v_lshl_add_u32 v45, v45, 10, 0x2000
	v_lshlrev_b32_e32 v43, 23, v43
	v_and_or_b32 v1, 0x8000, v1, v45
	v_lshl_or_b32 v43, v1, 16, v43
.LBB267_151:                            ;   in Loop: Header=BB267_9 Depth=1
	s_or_b32 exec_lo, exec_lo, s33
.LBB267_152:                            ;   in Loop: Header=BB267_9 Depth=1
	s_or_b32 exec_lo, exec_lo, s31
.LBB267_153:                            ;   in Loop: Header=BB267_9 Depth=1
	s_or_b32 exec_lo, exec_lo, s3
	v_lshrrev_b32_e32 v1, 16, v9
	v_mov_b32_e32 v45, 0
	v_mov_b32_e32 v46, 0
	v_cmp_ne_u16_sdwa s2, v1, v2 src0_sel:BYTE_0 src1_sel:DWORD
	s_and_saveexec_b32 s3, s2
	s_cbranch_execz .LBB267_161
; %bb.154:                              ;   in Loop: Header=BB267_9 Depth=1
	v_cmp_ne_u16_sdwa s2, v1, v21 src0_sel:BYTE_0 src1_sel:DWORD
	v_mov_b32_e32 v46, 0x8000
	s_and_saveexec_b32 s31, s2
	s_cbranch_execz .LBB267_160
; %bb.155:                              ;   in Loop: Header=BB267_9 Depth=1
	v_bfe_u32 v48, v9, 16, 7
	v_mov_b32_e32 v46, 0x7c01
	s_mov_b32 s33, exec_lo
	v_cmpx_ne_u32_e32 0x7f, v48
	s_cbranch_execz .LBB267_159
; %bb.156:                              ;   in Loop: Header=BB267_9 Depth=1
	v_and_b32_e32 v46, 7, v1
	v_lshrrev_b32_e32 v47, 3, v48
	s_mov_b32 s34, exec_lo
	v_cmpx_gt_u32_e32 8, v48
; %bb.157:                              ;   in Loop: Header=BB267_9 Depth=1
	v_ffbh_u32_e32 v46, v46
	v_min_u32_e32 v48, 32, v46
	v_subrev_nc_u32_e32 v46, 28, v48
	v_lshlrev_b64 v[46:47], v46, v[1:2]
	v_sub_nc_u32_e32 v47, 29, v48
	v_and_b32_e32 v46, 7, v46
; %bb.158:                              ;   in Loop: Header=BB267_9 Depth=1
	s_or_b32 exec_lo, exec_lo, s34
	v_lshlrev_b32_e32 v1, 8, v1
	v_lshl_add_u32 v47, v47, 10, 0x2000
	v_lshlrev_b32_e32 v46, 7, v46
	v_and_b32_e32 v1, 0x8000, v1
	v_and_b32_e32 v47, 0xfc00, v47
	v_or3_b32 v46, v1, v47, v46
.LBB267_159:                            ;   in Loop: Header=BB267_9 Depth=1
	s_or_b32 exec_lo, exec_lo, s33
.LBB267_160:                            ;   in Loop: Header=BB267_9 Depth=1
	s_or_b32 exec_lo, exec_lo, s31
.LBB267_161:                            ;   in Loop: Header=BB267_9 Depth=1
	s_or_b32 exec_lo, exec_lo, s3
	s_mov_b32 s3, exec_lo
	v_cmpx_lt_u32_e32 0xffffff, v9
	s_cbranch_execz .LBB267_169
; %bb.162:                              ;   in Loop: Header=BB267_9 Depth=1
	v_lshrrev_b32_e32 v1, 24, v9
	v_bfrev_b32_e32 v45, 1
	s_mov_b32 s31, exec_lo
	v_cmpx_ne_u32_e32 0x80, v1
	s_cbranch_execz .LBB267_168
; %bb.163:                              ;   in Loop: Header=BB267_9 Depth=1
	v_and_b32_e32 v47, 0x7f, v1
	v_mov_b32_e32 v45, 0x7c010000
	s_mov_b32 s33, exec_lo
	v_cmpx_ne_u32_e32 0x7f, v47
	s_cbranch_execz .LBB267_167
; %bb.164:                              ;   in Loop: Header=BB267_9 Depth=1
	v_and_b32_e32 v9, 7, v1
	v_lshrrev_b32_e32 v45, 3, v47
	s_mov_b32 s34, exec_lo
	v_cmpx_gt_u32_e32 8, v47
; %bb.165:                              ;   in Loop: Header=BB267_9 Depth=1
	v_ffbh_u32_e32 v9, v9
	v_min_u32_e32 v9, 32, v9
	v_subrev_nc_u32_e32 v45, 28, v9
	v_lshlrev_b64 v[47:48], v45, v[1:2]
	v_sub_nc_u32_e32 v45, 29, v9
	v_and_b32_e32 v9, 7, v47
; %bb.166:                              ;   in Loop: Header=BB267_9 Depth=1
	s_or_b32 exec_lo, exec_lo, s34
	v_lshlrev_b32_e32 v1, 8, v1
	v_lshl_add_u32 v45, v45, 10, 0x2000
	v_lshlrev_b32_e32 v9, 23, v9
	v_and_or_b32 v1, 0x8000, v1, v45
	v_lshl_or_b32 v45, v1, 16, v9
.LBB267_167:                            ;   in Loop: Header=BB267_9 Depth=1
	s_or_b32 exec_lo, exec_lo, s33
.LBB267_168:                            ;   in Loop: Header=BB267_9 Depth=1
	s_or_b32 exec_lo, exec_lo, s31
.LBB267_169:                            ;   in Loop: Header=BB267_9 Depth=1
	s_or_b32 exec_lo, exec_lo, s3
	global_load_dword v9, v[7:8], off offset:520
	v_mov_b32_e32 v47, 0
	v_mov_b32_e32 v48, 0
	s_waitcnt vmcnt(0)
	v_cmp_ne_u16_sdwa s2, v9, v2 src0_sel:BYTE_0 src1_sel:DWORD
	s_and_saveexec_b32 s3, s2
	s_cbranch_execz .LBB267_177
; %bb.170:                              ;   in Loop: Header=BB267_9 Depth=1
	v_cmp_ne_u16_sdwa s2, v9, v21 src0_sel:BYTE_0 src1_sel:DWORD
	v_mov_b32_e32 v48, 0x8000
	s_and_saveexec_b32 s31, s2
	s_cbranch_execz .LBB267_176
; %bb.171:                              ;   in Loop: Header=BB267_9 Depth=1
	v_and_b32_e32 v49, 0x7f, v9
	v_mov_b32_e32 v48, 0x7c01
	s_mov_b32 s33, exec_lo
	v_cmpx_ne_u32_e32 0x7f, v49
	s_cbranch_execz .LBB267_175
; %bb.172:                              ;   in Loop: Header=BB267_9 Depth=1
	v_and_b32_e32 v1, 7, v9
	v_lshrrev_b32_e32 v48, 3, v49
	s_mov_b32 s34, exec_lo
	v_cmpx_gt_u32_e32 8, v49
; %bb.173:                              ;   in Loop: Header=BB267_9 Depth=1
	v_ffbh_u32_e32 v1, v1
	v_min_u32_e32 v1, 32, v1
	v_subrev_nc_u32_e32 v48, 28, v1
	v_lshlrev_b64 v[49:50], v48, v[9:10]
	v_sub_nc_u32_e32 v48, 29, v1
	v_and_b32_e32 v1, 7, v49
; %bb.174:                              ;   in Loop: Header=BB267_9 Depth=1
	s_or_b32 exec_lo, exec_lo, s34
	v_lshlrev_b32_e32 v49, 8, v9
	v_lshl_add_u32 v48, v48, 10, 0x2000
	v_lshlrev_b32_e32 v1, 7, v1
	v_and_b32_e32 v49, 0x8000, v49
	v_and_b32_e32 v48, 0xfc00, v48
	v_or3_b32 v48, v49, v48, v1
.LBB267_175:                            ;   in Loop: Header=BB267_9 Depth=1
	s_or_b32 exec_lo, exec_lo, s33
.LBB267_176:                            ;   in Loop: Header=BB267_9 Depth=1
	s_or_b32 exec_lo, exec_lo, s31
.LBB267_177:                            ;   in Loop: Header=BB267_9 Depth=1
	s_or_b32 exec_lo, exec_lo, s3
	v_lshrrev_b16 v1, 8, v9
	s_mov_b32 s3, exec_lo
	v_cmpx_ne_u16_e32 0, v1
	s_cbranch_execz .LBB267_185
; %bb.178:                              ;   in Loop: Header=BB267_9 Depth=1
	v_bfrev_b32_e32 v47, 1
	s_mov_b32 s31, exec_lo
	v_cmpx_ne_u16_e32 0x80, v1
	s_cbranch_execz .LBB267_184
; %bb.179:                              ;   in Loop: Header=BB267_9 Depth=1
	v_and_b32_sdwa v50, v1, v22 dst_sel:DWORD dst_unused:UNUSED_PAD src0_sel:WORD_0 src1_sel:DWORD
	v_mov_b32_e32 v47, 0x7c010000
	s_mov_b32 s33, exec_lo
	v_cmpx_ne_u32_e32 0x7f, v50
	s_cbranch_execz .LBB267_183
; %bb.180:                              ;   in Loop: Header=BB267_9 Depth=1
	v_and_b32_sdwa v47, v1, v23 dst_sel:DWORD dst_unused:UNUSED_PAD src0_sel:WORD_0 src1_sel:DWORD
	v_lshrrev_b32_e32 v49, 3, v50
	s_mov_b32 s34, exec_lo
	v_cmpx_gt_u32_e32 8, v50
; %bb.181:                              ;   in Loop: Header=BB267_9 Depth=1
	v_ffbh_u32_e32 v47, v47
	v_min_u32_e32 v47, 32, v47
	v_subrev_nc_u32_e32 v49, 28, v47
	v_lshlrev_b64 v[50:51], v49, v[1:2]
	v_sub_nc_u32_e32 v49, 29, v47
	v_and_b32_e32 v47, 7, v50
; %bb.182:                              ;   in Loop: Header=BB267_9 Depth=1
	s_or_b32 exec_lo, exec_lo, s34
	v_lshlrev_b32_sdwa v1, v24, v1 dst_sel:DWORD dst_unused:UNUSED_PAD src0_sel:DWORD src1_sel:WORD_0
	v_lshl_add_u32 v49, v49, 10, 0x2000
	v_lshlrev_b32_e32 v47, 23, v47
	v_and_or_b32 v1, 0x8000, v1, v49
	v_lshl_or_b32 v47, v1, 16, v47
.LBB267_183:                            ;   in Loop: Header=BB267_9 Depth=1
	s_or_b32 exec_lo, exec_lo, s33
.LBB267_184:                            ;   in Loop: Header=BB267_9 Depth=1
	s_or_b32 exec_lo, exec_lo, s31
.LBB267_185:                            ;   in Loop: Header=BB267_9 Depth=1
	s_or_b32 exec_lo, exec_lo, s3
	v_lshrrev_b32_e32 v1, 16, v9
	v_mov_b32_e32 v49, 0
	v_mov_b32_e32 v50, 0
	v_cmp_ne_u16_sdwa s2, v1, v2 src0_sel:BYTE_0 src1_sel:DWORD
	s_and_saveexec_b32 s3, s2
	s_cbranch_execz .LBB267_193
; %bb.186:                              ;   in Loop: Header=BB267_9 Depth=1
	v_cmp_ne_u16_sdwa s2, v1, v21 src0_sel:BYTE_0 src1_sel:DWORD
	v_mov_b32_e32 v50, 0x8000
	s_and_saveexec_b32 s31, s2
	s_cbranch_execz .LBB267_192
; %bb.187:                              ;   in Loop: Header=BB267_9 Depth=1
	v_bfe_u32 v52, v9, 16, 7
	v_mov_b32_e32 v50, 0x7c01
	s_mov_b32 s33, exec_lo
	v_cmpx_ne_u32_e32 0x7f, v52
	s_cbranch_execz .LBB267_191
; %bb.188:                              ;   in Loop: Header=BB267_9 Depth=1
	v_and_b32_e32 v50, 7, v1
	v_lshrrev_b32_e32 v51, 3, v52
	s_mov_b32 s34, exec_lo
	v_cmpx_gt_u32_e32 8, v52
; %bb.189:                              ;   in Loop: Header=BB267_9 Depth=1
	v_ffbh_u32_e32 v50, v50
	v_min_u32_e32 v52, 32, v50
	v_subrev_nc_u32_e32 v50, 28, v52
	v_lshlrev_b64 v[50:51], v50, v[1:2]
	v_sub_nc_u32_e32 v51, 29, v52
	v_and_b32_e32 v50, 7, v50
; %bb.190:                              ;   in Loop: Header=BB267_9 Depth=1
	s_or_b32 exec_lo, exec_lo, s34
	v_lshlrev_b32_e32 v1, 8, v1
	v_lshl_add_u32 v51, v51, 10, 0x2000
	v_lshlrev_b32_e32 v50, 7, v50
	v_and_b32_e32 v1, 0x8000, v1
	v_and_b32_e32 v51, 0xfc00, v51
	v_or3_b32 v50, v1, v51, v50
.LBB267_191:                            ;   in Loop: Header=BB267_9 Depth=1
	s_or_b32 exec_lo, exec_lo, s33
.LBB267_192:                            ;   in Loop: Header=BB267_9 Depth=1
	s_or_b32 exec_lo, exec_lo, s31
.LBB267_193:                            ;   in Loop: Header=BB267_9 Depth=1
	s_or_b32 exec_lo, exec_lo, s3
	s_mov_b32 s3, exec_lo
	v_cmpx_lt_u32_e32 0xffffff, v9
	s_cbranch_execz .LBB267_201
; %bb.194:                              ;   in Loop: Header=BB267_9 Depth=1
	v_lshrrev_b32_e32 v1, 24, v9
	v_bfrev_b32_e32 v49, 1
	s_mov_b32 s31, exec_lo
	v_cmpx_ne_u32_e32 0x80, v1
	s_cbranch_execz .LBB267_200
; %bb.195:                              ;   in Loop: Header=BB267_9 Depth=1
	v_and_b32_e32 v51, 0x7f, v1
	v_mov_b32_e32 v49, 0x7c010000
	s_mov_b32 s33, exec_lo
	v_cmpx_ne_u32_e32 0x7f, v51
	s_cbranch_execz .LBB267_199
; %bb.196:                              ;   in Loop: Header=BB267_9 Depth=1
	v_and_b32_e32 v9, 7, v1
	v_lshrrev_b32_e32 v49, 3, v51
	s_mov_b32 s34, exec_lo
	v_cmpx_gt_u32_e32 8, v51
; %bb.197:                              ;   in Loop: Header=BB267_9 Depth=1
	v_ffbh_u32_e32 v9, v9
	v_min_u32_e32 v9, 32, v9
	v_subrev_nc_u32_e32 v49, 28, v9
	v_lshlrev_b64 v[51:52], v49, v[1:2]
	v_sub_nc_u32_e32 v49, 29, v9
	v_and_b32_e32 v9, 7, v51
; %bb.198:                              ;   in Loop: Header=BB267_9 Depth=1
	s_or_b32 exec_lo, exec_lo, s34
	v_lshlrev_b32_e32 v1, 8, v1
	v_lshl_add_u32 v49, v49, 10, 0x2000
	v_lshlrev_b32_e32 v9, 23, v9
	v_and_or_b32 v1, 0x8000, v1, v49
	v_lshl_or_b32 v49, v1, 16, v9
.LBB267_199:                            ;   in Loop: Header=BB267_9 Depth=1
	s_or_b32 exec_lo, exec_lo, s33
.LBB267_200:                            ;   in Loop: Header=BB267_9 Depth=1
	s_or_b32 exec_lo, exec_lo, s31
.LBB267_201:                            ;   in Loop: Header=BB267_9 Depth=1
	s_or_b32 exec_lo, exec_lo, s3
	global_load_dword v9, v[7:8], off offset:768
	v_mov_b32_e32 v51, 0
	v_mov_b32_e32 v52, 0
	s_waitcnt vmcnt(0)
	v_cmp_ne_u16_sdwa s2, v9, v2 src0_sel:BYTE_0 src1_sel:DWORD
	s_and_saveexec_b32 s3, s2
	s_cbranch_execz .LBB267_209
; %bb.202:                              ;   in Loop: Header=BB267_9 Depth=1
	v_cmp_ne_u16_sdwa s2, v9, v21 src0_sel:BYTE_0 src1_sel:DWORD
	v_mov_b32_e32 v52, 0x8000
	s_and_saveexec_b32 s31, s2
	s_cbranch_execz .LBB267_208
; %bb.203:                              ;   in Loop: Header=BB267_9 Depth=1
	v_and_b32_e32 v53, 0x7f, v9
	v_mov_b32_e32 v52, 0x7c01
	s_mov_b32 s33, exec_lo
	v_cmpx_ne_u32_e32 0x7f, v53
	s_cbranch_execz .LBB267_207
; %bb.204:                              ;   in Loop: Header=BB267_9 Depth=1
	v_and_b32_e32 v1, 7, v9
	v_lshrrev_b32_e32 v52, 3, v53
	s_mov_b32 s34, exec_lo
	v_cmpx_gt_u32_e32 8, v53
; %bb.205:                              ;   in Loop: Header=BB267_9 Depth=1
	v_ffbh_u32_e32 v1, v1
	v_min_u32_e32 v1, 32, v1
	v_subrev_nc_u32_e32 v52, 28, v1
	v_lshlrev_b64 v[53:54], v52, v[9:10]
	v_sub_nc_u32_e32 v52, 29, v1
	v_and_b32_e32 v1, 7, v53
; %bb.206:                              ;   in Loop: Header=BB267_9 Depth=1
	s_or_b32 exec_lo, exec_lo, s34
	v_lshlrev_b32_e32 v53, 8, v9
	v_lshl_add_u32 v52, v52, 10, 0x2000
	v_lshlrev_b32_e32 v1, 7, v1
	v_and_b32_e32 v53, 0x8000, v53
	v_and_b32_e32 v52, 0xfc00, v52
	v_or3_b32 v52, v53, v52, v1
.LBB267_207:                            ;   in Loop: Header=BB267_9 Depth=1
	s_or_b32 exec_lo, exec_lo, s33
.LBB267_208:                            ;   in Loop: Header=BB267_9 Depth=1
	s_or_b32 exec_lo, exec_lo, s31
.LBB267_209:                            ;   in Loop: Header=BB267_9 Depth=1
	s_or_b32 exec_lo, exec_lo, s3
	v_lshrrev_b16 v1, 8, v9
	s_mov_b32 s3, exec_lo
	v_cmpx_ne_u16_e32 0, v1
	s_cbranch_execz .LBB267_217
; %bb.210:                              ;   in Loop: Header=BB267_9 Depth=1
	v_bfrev_b32_e32 v51, 1
	s_mov_b32 s31, exec_lo
	v_cmpx_ne_u16_e32 0x80, v1
	s_cbranch_execz .LBB267_216
; %bb.211:                              ;   in Loop: Header=BB267_9 Depth=1
	v_and_b32_sdwa v54, v1, v22 dst_sel:DWORD dst_unused:UNUSED_PAD src0_sel:WORD_0 src1_sel:DWORD
	v_mov_b32_e32 v51, 0x7c010000
	s_mov_b32 s33, exec_lo
	v_cmpx_ne_u32_e32 0x7f, v54
	s_cbranch_execz .LBB267_215
; %bb.212:                              ;   in Loop: Header=BB267_9 Depth=1
	v_and_b32_sdwa v51, v1, v23 dst_sel:DWORD dst_unused:UNUSED_PAD src0_sel:WORD_0 src1_sel:DWORD
	v_lshrrev_b32_e32 v53, 3, v54
	s_mov_b32 s34, exec_lo
	v_cmpx_gt_u32_e32 8, v54
; %bb.213:                              ;   in Loop: Header=BB267_9 Depth=1
	v_ffbh_u32_e32 v51, v51
	v_min_u32_e32 v51, 32, v51
	v_subrev_nc_u32_e32 v53, 28, v51
	v_lshlrev_b64 v[54:55], v53, v[1:2]
	v_sub_nc_u32_e32 v53, 29, v51
	v_and_b32_e32 v51, 7, v54
; %bb.214:                              ;   in Loop: Header=BB267_9 Depth=1
	s_or_b32 exec_lo, exec_lo, s34
	v_lshlrev_b32_sdwa v1, v24, v1 dst_sel:DWORD dst_unused:UNUSED_PAD src0_sel:DWORD src1_sel:WORD_0
	v_lshl_add_u32 v53, v53, 10, 0x2000
	v_lshlrev_b32_e32 v51, 23, v51
	v_and_or_b32 v1, 0x8000, v1, v53
	v_lshl_or_b32 v51, v1, 16, v51
.LBB267_215:                            ;   in Loop: Header=BB267_9 Depth=1
	s_or_b32 exec_lo, exec_lo, s33
.LBB267_216:                            ;   in Loop: Header=BB267_9 Depth=1
	s_or_b32 exec_lo, exec_lo, s31
.LBB267_217:                            ;   in Loop: Header=BB267_9 Depth=1
	s_or_b32 exec_lo, exec_lo, s3
	v_lshrrev_b32_e32 v1, 16, v9
	v_mov_b32_e32 v53, 0
	v_mov_b32_e32 v54, 0
	v_cmp_ne_u16_sdwa s2, v1, v2 src0_sel:BYTE_0 src1_sel:DWORD
	s_and_saveexec_b32 s3, s2
	s_cbranch_execz .LBB267_225
; %bb.218:                              ;   in Loop: Header=BB267_9 Depth=1
	v_cmp_ne_u16_sdwa s2, v1, v21 src0_sel:BYTE_0 src1_sel:DWORD
	v_mov_b32_e32 v54, 0x8000
	s_and_saveexec_b32 s31, s2
	s_cbranch_execz .LBB267_224
; %bb.219:                              ;   in Loop: Header=BB267_9 Depth=1
	v_bfe_u32 v56, v9, 16, 7
	v_mov_b32_e32 v54, 0x7c01
	s_mov_b32 s33, exec_lo
	v_cmpx_ne_u32_e32 0x7f, v56
	s_cbranch_execz .LBB267_223
; %bb.220:                              ;   in Loop: Header=BB267_9 Depth=1
	v_and_b32_e32 v54, 7, v1
	v_lshrrev_b32_e32 v55, 3, v56
	s_mov_b32 s34, exec_lo
	v_cmpx_gt_u32_e32 8, v56
; %bb.221:                              ;   in Loop: Header=BB267_9 Depth=1
	v_ffbh_u32_e32 v54, v54
	v_min_u32_e32 v56, 32, v54
	v_subrev_nc_u32_e32 v54, 28, v56
	v_lshlrev_b64 v[54:55], v54, v[1:2]
	v_sub_nc_u32_e32 v55, 29, v56
	v_and_b32_e32 v54, 7, v54
; %bb.222:                              ;   in Loop: Header=BB267_9 Depth=1
	s_or_b32 exec_lo, exec_lo, s34
	v_lshlrev_b32_e32 v1, 8, v1
	v_lshl_add_u32 v55, v55, 10, 0x2000
	v_lshlrev_b32_e32 v54, 7, v54
	v_and_b32_e32 v1, 0x8000, v1
	v_and_b32_e32 v55, 0xfc00, v55
	v_or3_b32 v54, v1, v55, v54
.LBB267_223:                            ;   in Loop: Header=BB267_9 Depth=1
	s_or_b32 exec_lo, exec_lo, s33
.LBB267_224:                            ;   in Loop: Header=BB267_9 Depth=1
	s_or_b32 exec_lo, exec_lo, s31
.LBB267_225:                            ;   in Loop: Header=BB267_9 Depth=1
	s_or_b32 exec_lo, exec_lo, s3
	s_mov_b32 s3, exec_lo
	v_cmpx_lt_u32_e32 0xffffff, v9
	s_cbranch_execz .LBB267_233
; %bb.226:                              ;   in Loop: Header=BB267_9 Depth=1
	v_lshrrev_b32_e32 v1, 24, v9
	v_bfrev_b32_e32 v53, 1
	s_mov_b32 s31, exec_lo
	v_cmpx_ne_u32_e32 0x80, v1
	s_cbranch_execz .LBB267_232
; %bb.227:                              ;   in Loop: Header=BB267_9 Depth=1
	v_and_b32_e32 v55, 0x7f, v1
	v_mov_b32_e32 v53, 0x7c010000
	s_mov_b32 s33, exec_lo
	v_cmpx_ne_u32_e32 0x7f, v55
	s_cbranch_execz .LBB267_231
; %bb.228:                              ;   in Loop: Header=BB267_9 Depth=1
	v_and_b32_e32 v9, 7, v1
	v_lshrrev_b32_e32 v53, 3, v55
	s_mov_b32 s34, exec_lo
	v_cmpx_gt_u32_e32 8, v55
; %bb.229:                              ;   in Loop: Header=BB267_9 Depth=1
	v_ffbh_u32_e32 v9, v9
	v_min_u32_e32 v9, 32, v9
	v_subrev_nc_u32_e32 v53, 28, v9
	v_lshlrev_b64 v[55:56], v53, v[1:2]
	v_sub_nc_u32_e32 v53, 29, v9
	v_and_b32_e32 v9, 7, v55
; %bb.230:                              ;   in Loop: Header=BB267_9 Depth=1
	s_or_b32 exec_lo, exec_lo, s34
	v_lshlrev_b32_e32 v1, 8, v1
	v_lshl_add_u32 v53, v53, 10, 0x2000
	v_lshlrev_b32_e32 v9, 23, v9
	v_and_or_b32 v1, 0x8000, v1, v53
	v_lshl_or_b32 v53, v1, 16, v9
.LBB267_231:                            ;   in Loop: Header=BB267_9 Depth=1
	s_or_b32 exec_lo, exec_lo, s33
.LBB267_232:                            ;   in Loop: Header=BB267_9 Depth=1
	s_or_b32 exec_lo, exec_lo, s31
.LBB267_233:                            ;   in Loop: Header=BB267_9 Depth=1
	s_or_b32 exec_lo, exec_lo, s3
	global_load_dword v9, v[7:8], off offset:776
	v_mov_b32_e32 v55, 0
	v_mov_b32_e32 v56, 0
	s_waitcnt vmcnt(0)
	v_cmp_ne_u16_sdwa s2, v9, v2 src0_sel:BYTE_0 src1_sel:DWORD
	s_and_saveexec_b32 s3, s2
	s_cbranch_execz .LBB267_241
; %bb.234:                              ;   in Loop: Header=BB267_9 Depth=1
	v_cmp_ne_u16_sdwa s2, v9, v21 src0_sel:BYTE_0 src1_sel:DWORD
	v_mov_b32_e32 v56, 0x8000
	s_and_saveexec_b32 s31, s2
	s_cbranch_execz .LBB267_240
; %bb.235:                              ;   in Loop: Header=BB267_9 Depth=1
	v_and_b32_e32 v57, 0x7f, v9
	v_mov_b32_e32 v56, 0x7c01
	s_mov_b32 s33, exec_lo
	v_cmpx_ne_u32_e32 0x7f, v57
	s_cbranch_execz .LBB267_239
; %bb.236:                              ;   in Loop: Header=BB267_9 Depth=1
	v_and_b32_e32 v1, 7, v9
	v_lshrrev_b32_e32 v56, 3, v57
	s_mov_b32 s34, exec_lo
	v_cmpx_gt_u32_e32 8, v57
; %bb.237:                              ;   in Loop: Header=BB267_9 Depth=1
	v_ffbh_u32_e32 v1, v1
	v_min_u32_e32 v1, 32, v1
	v_subrev_nc_u32_e32 v56, 28, v1
	v_lshlrev_b64 v[57:58], v56, v[9:10]
	v_sub_nc_u32_e32 v56, 29, v1
	v_and_b32_e32 v1, 7, v57
; %bb.238:                              ;   in Loop: Header=BB267_9 Depth=1
	s_or_b32 exec_lo, exec_lo, s34
	v_lshlrev_b32_e32 v57, 8, v9
	v_lshl_add_u32 v56, v56, 10, 0x2000
	v_lshlrev_b32_e32 v1, 7, v1
	v_and_b32_e32 v57, 0x8000, v57
	v_and_b32_e32 v56, 0xfc00, v56
	v_or3_b32 v56, v57, v56, v1
.LBB267_239:                            ;   in Loop: Header=BB267_9 Depth=1
	s_or_b32 exec_lo, exec_lo, s33
.LBB267_240:                            ;   in Loop: Header=BB267_9 Depth=1
	s_or_b32 exec_lo, exec_lo, s31
.LBB267_241:                            ;   in Loop: Header=BB267_9 Depth=1
	s_or_b32 exec_lo, exec_lo, s3
	v_lshrrev_b16 v1, 8, v9
	s_mov_b32 s3, exec_lo
	v_cmpx_ne_u16_e32 0, v1
	s_cbranch_execz .LBB267_249
; %bb.242:                              ;   in Loop: Header=BB267_9 Depth=1
	v_bfrev_b32_e32 v55, 1
	s_mov_b32 s31, exec_lo
	v_cmpx_ne_u16_e32 0x80, v1
	s_cbranch_execz .LBB267_248
; %bb.243:                              ;   in Loop: Header=BB267_9 Depth=1
	v_and_b32_sdwa v58, v1, v22 dst_sel:DWORD dst_unused:UNUSED_PAD src0_sel:WORD_0 src1_sel:DWORD
	v_mov_b32_e32 v55, 0x7c010000
	s_mov_b32 s33, exec_lo
	v_cmpx_ne_u32_e32 0x7f, v58
	s_cbranch_execz .LBB267_247
; %bb.244:                              ;   in Loop: Header=BB267_9 Depth=1
	v_and_b32_sdwa v55, v1, v23 dst_sel:DWORD dst_unused:UNUSED_PAD src0_sel:WORD_0 src1_sel:DWORD
	v_lshrrev_b32_e32 v57, 3, v58
	s_mov_b32 s34, exec_lo
	v_cmpx_gt_u32_e32 8, v58
; %bb.245:                              ;   in Loop: Header=BB267_9 Depth=1
	v_ffbh_u32_e32 v55, v55
	v_min_u32_e32 v55, 32, v55
	v_subrev_nc_u32_e32 v57, 28, v55
	v_lshlrev_b64 v[58:59], v57, v[1:2]
	v_sub_nc_u32_e32 v57, 29, v55
	v_and_b32_e32 v55, 7, v58
; %bb.246:                              ;   in Loop: Header=BB267_9 Depth=1
	s_or_b32 exec_lo, exec_lo, s34
	v_lshlrev_b32_sdwa v1, v24, v1 dst_sel:DWORD dst_unused:UNUSED_PAD src0_sel:DWORD src1_sel:WORD_0
	v_lshl_add_u32 v57, v57, 10, 0x2000
	v_lshlrev_b32_e32 v55, 23, v55
	v_and_or_b32 v1, 0x8000, v1, v57
	v_lshl_or_b32 v55, v1, 16, v55
.LBB267_247:                            ;   in Loop: Header=BB267_9 Depth=1
	s_or_b32 exec_lo, exec_lo, s33
.LBB267_248:                            ;   in Loop: Header=BB267_9 Depth=1
	s_or_b32 exec_lo, exec_lo, s31
.LBB267_249:                            ;   in Loop: Header=BB267_9 Depth=1
	s_or_b32 exec_lo, exec_lo, s3
	v_lshrrev_b32_e32 v1, 16, v9
	v_mov_b32_e32 v57, 0
	v_mov_b32_e32 v58, 0
	v_cmp_ne_u16_sdwa s2, v1, v2 src0_sel:BYTE_0 src1_sel:DWORD
	s_and_saveexec_b32 s3, s2
	s_cbranch_execz .LBB267_257
; %bb.250:                              ;   in Loop: Header=BB267_9 Depth=1
	v_cmp_ne_u16_sdwa s2, v1, v21 src0_sel:BYTE_0 src1_sel:DWORD
	v_mov_b32_e32 v58, 0x8000
	s_and_saveexec_b32 s31, s2
	s_cbranch_execz .LBB267_256
; %bb.251:                              ;   in Loop: Header=BB267_9 Depth=1
	v_bfe_u32 v60, v9, 16, 7
	v_mov_b32_e32 v58, 0x7c01
	s_mov_b32 s33, exec_lo
	v_cmpx_ne_u32_e32 0x7f, v60
	s_cbranch_execz .LBB267_255
; %bb.252:                              ;   in Loop: Header=BB267_9 Depth=1
	v_and_b32_e32 v58, 7, v1
	v_lshrrev_b32_e32 v59, 3, v60
	s_mov_b32 s34, exec_lo
	v_cmpx_gt_u32_e32 8, v60
; %bb.253:                              ;   in Loop: Header=BB267_9 Depth=1
	v_ffbh_u32_e32 v58, v58
	v_min_u32_e32 v60, 32, v58
	v_subrev_nc_u32_e32 v58, 28, v60
	v_lshlrev_b64 v[58:59], v58, v[1:2]
	v_sub_nc_u32_e32 v59, 29, v60
	v_and_b32_e32 v58, 7, v58
; %bb.254:                              ;   in Loop: Header=BB267_9 Depth=1
	s_or_b32 exec_lo, exec_lo, s34
	v_lshlrev_b32_e32 v1, 8, v1
	v_lshl_add_u32 v59, v59, 10, 0x2000
	v_lshlrev_b32_e32 v58, 7, v58
	v_and_b32_e32 v1, 0x8000, v1
	v_and_b32_e32 v59, 0xfc00, v59
	v_or3_b32 v58, v1, v59, v58
.LBB267_255:                            ;   in Loop: Header=BB267_9 Depth=1
	s_or_b32 exec_lo, exec_lo, s33
.LBB267_256:                            ;   in Loop: Header=BB267_9 Depth=1
	s_or_b32 exec_lo, exec_lo, s31
.LBB267_257:                            ;   in Loop: Header=BB267_9 Depth=1
	s_or_b32 exec_lo, exec_lo, s3
	s_mov_b32 s3, exec_lo
	v_cmpx_lt_u32_e32 0xffffff, v9
	s_cbranch_execz .LBB267_265
; %bb.258:                              ;   in Loop: Header=BB267_9 Depth=1
	v_lshrrev_b32_e32 v1, 24, v9
	v_bfrev_b32_e32 v57, 1
	s_mov_b32 s31, exec_lo
	v_cmpx_ne_u32_e32 0x80, v1
	s_cbranch_execz .LBB267_264
; %bb.259:                              ;   in Loop: Header=BB267_9 Depth=1
	v_and_b32_e32 v59, 0x7f, v1
	v_mov_b32_e32 v57, 0x7c010000
	s_mov_b32 s33, exec_lo
	v_cmpx_ne_u32_e32 0x7f, v59
	s_cbranch_execz .LBB267_263
; %bb.260:                              ;   in Loop: Header=BB267_9 Depth=1
	v_and_b32_e32 v9, 7, v1
	v_lshrrev_b32_e32 v57, 3, v59
	s_mov_b32 s34, exec_lo
	v_cmpx_gt_u32_e32 8, v59
; %bb.261:                              ;   in Loop: Header=BB267_9 Depth=1
	v_ffbh_u32_e32 v9, v9
	v_min_u32_e32 v9, 32, v9
	v_subrev_nc_u32_e32 v57, 28, v9
	v_lshlrev_b64 v[59:60], v57, v[1:2]
	v_sub_nc_u32_e32 v57, 29, v9
	v_and_b32_e32 v9, 7, v59
; %bb.262:                              ;   in Loop: Header=BB267_9 Depth=1
	s_or_b32 exec_lo, exec_lo, s34
	v_lshlrev_b32_e32 v1, 8, v1
	v_lshl_add_u32 v57, v57, 10, 0x2000
	v_lshlrev_b32_e32 v9, 23, v9
	v_and_or_b32 v1, 0x8000, v1, v57
	v_lshl_or_b32 v57, v1, 16, v9
.LBB267_263:                            ;   in Loop: Header=BB267_9 Depth=1
	s_or_b32 exec_lo, exec_lo, s33
.LBB267_264:                            ;   in Loop: Header=BB267_9 Depth=1
	s_or_b32 exec_lo, exec_lo, s31
.LBB267_265:                            ;   in Loop: Header=BB267_9 Depth=1
	s_or_b32 exec_lo, exec_lo, s3
	global_load_dword v9, v[7:8], off offset:1024
	v_mov_b32_e32 v59, 0
	v_mov_b32_e32 v60, 0
	s_waitcnt vmcnt(0)
	v_cmp_ne_u16_sdwa s2, v9, v2 src0_sel:BYTE_0 src1_sel:DWORD
	s_and_saveexec_b32 s3, s2
	s_cbranch_execz .LBB267_273
; %bb.266:                              ;   in Loop: Header=BB267_9 Depth=1
	v_cmp_ne_u16_sdwa s2, v9, v21 src0_sel:BYTE_0 src1_sel:DWORD
	v_mov_b32_e32 v60, 0x8000
	s_and_saveexec_b32 s31, s2
	s_cbranch_execz .LBB267_272
; %bb.267:                              ;   in Loop: Header=BB267_9 Depth=1
	v_and_b32_e32 v61, 0x7f, v9
	v_mov_b32_e32 v60, 0x7c01
	s_mov_b32 s33, exec_lo
	v_cmpx_ne_u32_e32 0x7f, v61
	s_cbranch_execz .LBB267_271
; %bb.268:                              ;   in Loop: Header=BB267_9 Depth=1
	v_and_b32_e32 v1, 7, v9
	v_lshrrev_b32_e32 v60, 3, v61
	s_mov_b32 s34, exec_lo
	v_cmpx_gt_u32_e32 8, v61
; %bb.269:                              ;   in Loop: Header=BB267_9 Depth=1
	v_ffbh_u32_e32 v1, v1
	v_min_u32_e32 v1, 32, v1
	v_subrev_nc_u32_e32 v60, 28, v1
	v_lshlrev_b64 v[61:62], v60, v[9:10]
	v_sub_nc_u32_e32 v60, 29, v1
	v_and_b32_e32 v1, 7, v61
; %bb.270:                              ;   in Loop: Header=BB267_9 Depth=1
	s_or_b32 exec_lo, exec_lo, s34
	v_lshlrev_b32_e32 v61, 8, v9
	v_lshl_add_u32 v60, v60, 10, 0x2000
	v_lshlrev_b32_e32 v1, 7, v1
	v_and_b32_e32 v61, 0x8000, v61
	v_and_b32_e32 v60, 0xfc00, v60
	v_or3_b32 v60, v61, v60, v1
.LBB267_271:                            ;   in Loop: Header=BB267_9 Depth=1
	s_or_b32 exec_lo, exec_lo, s33
.LBB267_272:                            ;   in Loop: Header=BB267_9 Depth=1
	s_or_b32 exec_lo, exec_lo, s31
.LBB267_273:                            ;   in Loop: Header=BB267_9 Depth=1
	s_or_b32 exec_lo, exec_lo, s3
	v_lshrrev_b16 v1, 8, v9
	s_mov_b32 s3, exec_lo
	v_cmpx_ne_u16_e32 0, v1
	s_cbranch_execz .LBB267_281
; %bb.274:                              ;   in Loop: Header=BB267_9 Depth=1
	v_bfrev_b32_e32 v59, 1
	s_mov_b32 s31, exec_lo
	v_cmpx_ne_u16_e32 0x80, v1
	s_cbranch_execz .LBB267_280
; %bb.275:                              ;   in Loop: Header=BB267_9 Depth=1
	v_and_b32_sdwa v62, v1, v22 dst_sel:DWORD dst_unused:UNUSED_PAD src0_sel:WORD_0 src1_sel:DWORD
	v_mov_b32_e32 v59, 0x7c010000
	s_mov_b32 s33, exec_lo
	v_cmpx_ne_u32_e32 0x7f, v62
	s_cbranch_execz .LBB267_279
; %bb.276:                              ;   in Loop: Header=BB267_9 Depth=1
	v_and_b32_sdwa v59, v1, v23 dst_sel:DWORD dst_unused:UNUSED_PAD src0_sel:WORD_0 src1_sel:DWORD
	v_lshrrev_b32_e32 v61, 3, v62
	s_mov_b32 s34, exec_lo
	v_cmpx_gt_u32_e32 8, v62
; %bb.277:                              ;   in Loop: Header=BB267_9 Depth=1
	v_ffbh_u32_e32 v59, v59
	v_min_u32_e32 v59, 32, v59
	v_subrev_nc_u32_e32 v61, 28, v59
	v_lshlrev_b64 v[62:63], v61, v[1:2]
	v_sub_nc_u32_e32 v61, 29, v59
	v_and_b32_e32 v59, 7, v62
; %bb.278:                              ;   in Loop: Header=BB267_9 Depth=1
	s_or_b32 exec_lo, exec_lo, s34
	v_lshlrev_b32_sdwa v1, v24, v1 dst_sel:DWORD dst_unused:UNUSED_PAD src0_sel:DWORD src1_sel:WORD_0
	v_lshl_add_u32 v61, v61, 10, 0x2000
	v_lshlrev_b32_e32 v59, 23, v59
	v_and_or_b32 v1, 0x8000, v1, v61
	v_lshl_or_b32 v59, v1, 16, v59
.LBB267_279:                            ;   in Loop: Header=BB267_9 Depth=1
	s_or_b32 exec_lo, exec_lo, s33
.LBB267_280:                            ;   in Loop: Header=BB267_9 Depth=1
	s_or_b32 exec_lo, exec_lo, s31
.LBB267_281:                            ;   in Loop: Header=BB267_9 Depth=1
	s_or_b32 exec_lo, exec_lo, s3
	v_lshrrev_b32_e32 v1, 16, v9
	v_mov_b32_e32 v61, 0
	v_mov_b32_e32 v62, 0
	v_cmp_ne_u16_sdwa s2, v1, v2 src0_sel:BYTE_0 src1_sel:DWORD
	s_and_saveexec_b32 s3, s2
	s_cbranch_execz .LBB267_289
; %bb.282:                              ;   in Loop: Header=BB267_9 Depth=1
	v_cmp_ne_u16_sdwa s2, v1, v21 src0_sel:BYTE_0 src1_sel:DWORD
	v_mov_b32_e32 v62, 0x8000
	s_and_saveexec_b32 s31, s2
	s_cbranch_execz .LBB267_288
; %bb.283:                              ;   in Loop: Header=BB267_9 Depth=1
	v_bfe_u32 v64, v9, 16, 7
	v_mov_b32_e32 v62, 0x7c01
	s_mov_b32 s33, exec_lo
	v_cmpx_ne_u32_e32 0x7f, v64
	s_cbranch_execz .LBB267_287
; %bb.284:                              ;   in Loop: Header=BB267_9 Depth=1
	v_and_b32_e32 v62, 7, v1
	v_lshrrev_b32_e32 v63, 3, v64
	s_mov_b32 s34, exec_lo
	v_cmpx_gt_u32_e32 8, v64
; %bb.285:                              ;   in Loop: Header=BB267_9 Depth=1
	v_ffbh_u32_e32 v62, v62
	v_min_u32_e32 v64, 32, v62
	v_subrev_nc_u32_e32 v62, 28, v64
	v_lshlrev_b64 v[62:63], v62, v[1:2]
	v_sub_nc_u32_e32 v63, 29, v64
	v_and_b32_e32 v62, 7, v62
; %bb.286:                              ;   in Loop: Header=BB267_9 Depth=1
	s_or_b32 exec_lo, exec_lo, s34
	v_lshlrev_b32_e32 v1, 8, v1
	v_lshl_add_u32 v63, v63, 10, 0x2000
	v_lshlrev_b32_e32 v62, 7, v62
	v_and_b32_e32 v1, 0x8000, v1
	v_and_b32_e32 v63, 0xfc00, v63
	v_or3_b32 v62, v1, v63, v62
.LBB267_287:                            ;   in Loop: Header=BB267_9 Depth=1
	s_or_b32 exec_lo, exec_lo, s33
.LBB267_288:                            ;   in Loop: Header=BB267_9 Depth=1
	s_or_b32 exec_lo, exec_lo, s31
.LBB267_289:                            ;   in Loop: Header=BB267_9 Depth=1
	s_or_b32 exec_lo, exec_lo, s3
	s_mov_b32 s3, exec_lo
	v_cmpx_lt_u32_e32 0xffffff, v9
	s_cbranch_execz .LBB267_297
; %bb.290:                              ;   in Loop: Header=BB267_9 Depth=1
	v_lshrrev_b32_e32 v1, 24, v9
	v_bfrev_b32_e32 v61, 1
	s_mov_b32 s31, exec_lo
	v_cmpx_ne_u32_e32 0x80, v1
	s_cbranch_execz .LBB267_296
; %bb.291:                              ;   in Loop: Header=BB267_9 Depth=1
	v_and_b32_e32 v63, 0x7f, v1
	v_mov_b32_e32 v61, 0x7c010000
	s_mov_b32 s33, exec_lo
	v_cmpx_ne_u32_e32 0x7f, v63
	s_cbranch_execz .LBB267_295
; %bb.292:                              ;   in Loop: Header=BB267_9 Depth=1
	v_and_b32_e32 v9, 7, v1
	v_lshrrev_b32_e32 v61, 3, v63
	s_mov_b32 s34, exec_lo
	v_cmpx_gt_u32_e32 8, v63
; %bb.293:                              ;   in Loop: Header=BB267_9 Depth=1
	v_ffbh_u32_e32 v9, v9
	v_min_u32_e32 v9, 32, v9
	v_subrev_nc_u32_e32 v61, 28, v9
	v_lshlrev_b64 v[63:64], v61, v[1:2]
	v_sub_nc_u32_e32 v61, 29, v9
	v_and_b32_e32 v9, 7, v63
; %bb.294:                              ;   in Loop: Header=BB267_9 Depth=1
	s_or_b32 exec_lo, exec_lo, s34
	v_lshlrev_b32_e32 v1, 8, v1
	v_lshl_add_u32 v61, v61, 10, 0x2000
	v_lshlrev_b32_e32 v9, 23, v9
	v_and_or_b32 v1, 0x8000, v1, v61
	v_lshl_or_b32 v61, v1, 16, v9
.LBB267_295:                            ;   in Loop: Header=BB267_9 Depth=1
	s_or_b32 exec_lo, exec_lo, s33
.LBB267_296:                            ;   in Loop: Header=BB267_9 Depth=1
	s_or_b32 exec_lo, exec_lo, s31
.LBB267_297:                            ;   in Loop: Header=BB267_9 Depth=1
	s_or_b32 exec_lo, exec_lo, s3
	global_load_dword v9, v[7:8], off offset:1032
	v_mov_b32_e32 v63, 0
	v_mov_b32_e32 v64, 0
	s_waitcnt vmcnt(0)
	v_cmp_ne_u16_sdwa s2, v9, v2 src0_sel:BYTE_0 src1_sel:DWORD
	s_and_saveexec_b32 s3, s2
	s_cbranch_execz .LBB267_305
; %bb.298:                              ;   in Loop: Header=BB267_9 Depth=1
	v_cmp_ne_u16_sdwa s2, v9, v21 src0_sel:BYTE_0 src1_sel:DWORD
	v_mov_b32_e32 v64, 0x8000
	s_and_saveexec_b32 s31, s2
	s_cbranch_execz .LBB267_304
; %bb.299:                              ;   in Loop: Header=BB267_9 Depth=1
	v_and_b32_e32 v65, 0x7f, v9
	v_mov_b32_e32 v64, 0x7c01
	s_mov_b32 s33, exec_lo
	v_cmpx_ne_u32_e32 0x7f, v65
	s_cbranch_execz .LBB267_303
; %bb.300:                              ;   in Loop: Header=BB267_9 Depth=1
	v_and_b32_e32 v1, 7, v9
	v_lshrrev_b32_e32 v64, 3, v65
	s_mov_b32 s34, exec_lo
	v_cmpx_gt_u32_e32 8, v65
; %bb.301:                              ;   in Loop: Header=BB267_9 Depth=1
	v_ffbh_u32_e32 v1, v1
	v_min_u32_e32 v1, 32, v1
	v_subrev_nc_u32_e32 v64, 28, v1
	v_lshlrev_b64 v[65:66], v64, v[9:10]
	v_sub_nc_u32_e32 v64, 29, v1
	v_and_b32_e32 v1, 7, v65
; %bb.302:                              ;   in Loop: Header=BB267_9 Depth=1
	s_or_b32 exec_lo, exec_lo, s34
	v_lshlrev_b32_e32 v65, 8, v9
	v_lshl_add_u32 v64, v64, 10, 0x2000
	v_lshlrev_b32_e32 v1, 7, v1
	v_and_b32_e32 v65, 0x8000, v65
	v_and_b32_e32 v64, 0xfc00, v64
	v_or3_b32 v64, v65, v64, v1
.LBB267_303:                            ;   in Loop: Header=BB267_9 Depth=1
	s_or_b32 exec_lo, exec_lo, s33
.LBB267_304:                            ;   in Loop: Header=BB267_9 Depth=1
	s_or_b32 exec_lo, exec_lo, s31
.LBB267_305:                            ;   in Loop: Header=BB267_9 Depth=1
	s_or_b32 exec_lo, exec_lo, s3
	v_lshrrev_b16 v1, 8, v9
	s_mov_b32 s3, exec_lo
	v_cmpx_ne_u16_e32 0, v1
	s_cbranch_execz .LBB267_313
; %bb.306:                              ;   in Loop: Header=BB267_9 Depth=1
	v_bfrev_b32_e32 v63, 1
	s_mov_b32 s31, exec_lo
	v_cmpx_ne_u16_e32 0x80, v1
	s_cbranch_execz .LBB267_312
; %bb.307:                              ;   in Loop: Header=BB267_9 Depth=1
	v_and_b32_sdwa v66, v1, v22 dst_sel:DWORD dst_unused:UNUSED_PAD src0_sel:WORD_0 src1_sel:DWORD
	v_mov_b32_e32 v63, 0x7c010000
	s_mov_b32 s33, exec_lo
	v_cmpx_ne_u32_e32 0x7f, v66
	s_cbranch_execz .LBB267_311
; %bb.308:                              ;   in Loop: Header=BB267_9 Depth=1
	v_and_b32_sdwa v63, v1, v23 dst_sel:DWORD dst_unused:UNUSED_PAD src0_sel:WORD_0 src1_sel:DWORD
	v_lshrrev_b32_e32 v65, 3, v66
	s_mov_b32 s34, exec_lo
	v_cmpx_gt_u32_e32 8, v66
; %bb.309:                              ;   in Loop: Header=BB267_9 Depth=1
	v_ffbh_u32_e32 v63, v63
	v_min_u32_e32 v63, 32, v63
	v_subrev_nc_u32_e32 v65, 28, v63
	v_lshlrev_b64 v[66:67], v65, v[1:2]
	v_sub_nc_u32_e32 v65, 29, v63
	v_and_b32_e32 v63, 7, v66
; %bb.310:                              ;   in Loop: Header=BB267_9 Depth=1
	s_or_b32 exec_lo, exec_lo, s34
	v_lshlrev_b32_sdwa v1, v24, v1 dst_sel:DWORD dst_unused:UNUSED_PAD src0_sel:DWORD src1_sel:WORD_0
	v_lshl_add_u32 v65, v65, 10, 0x2000
	v_lshlrev_b32_e32 v63, 23, v63
	v_and_or_b32 v1, 0x8000, v1, v65
	v_lshl_or_b32 v63, v1, 16, v63
.LBB267_311:                            ;   in Loop: Header=BB267_9 Depth=1
	s_or_b32 exec_lo, exec_lo, s33
.LBB267_312:                            ;   in Loop: Header=BB267_9 Depth=1
	s_or_b32 exec_lo, exec_lo, s31
.LBB267_313:                            ;   in Loop: Header=BB267_9 Depth=1
	s_or_b32 exec_lo, exec_lo, s3
	v_lshrrev_b32_e32 v1, 16, v9
	v_mov_b32_e32 v65, 0
	v_mov_b32_e32 v66, 0
	v_cmp_ne_u16_sdwa s2, v1, v2 src0_sel:BYTE_0 src1_sel:DWORD
	s_and_saveexec_b32 s3, s2
	s_cbranch_execz .LBB267_321
; %bb.314:                              ;   in Loop: Header=BB267_9 Depth=1
	v_cmp_ne_u16_sdwa s2, v1, v21 src0_sel:BYTE_0 src1_sel:DWORD
	v_mov_b32_e32 v66, 0x8000
	s_and_saveexec_b32 s31, s2
	s_cbranch_execz .LBB267_320
; %bb.315:                              ;   in Loop: Header=BB267_9 Depth=1
	v_bfe_u32 v68, v9, 16, 7
	v_mov_b32_e32 v66, 0x7c01
	s_mov_b32 s33, exec_lo
	v_cmpx_ne_u32_e32 0x7f, v68
	s_cbranch_execz .LBB267_319
; %bb.316:                              ;   in Loop: Header=BB267_9 Depth=1
	v_and_b32_e32 v66, 7, v1
	v_lshrrev_b32_e32 v67, 3, v68
	s_mov_b32 s34, exec_lo
	v_cmpx_gt_u32_e32 8, v68
; %bb.317:                              ;   in Loop: Header=BB267_9 Depth=1
	v_ffbh_u32_e32 v66, v66
	v_min_u32_e32 v68, 32, v66
	v_subrev_nc_u32_e32 v66, 28, v68
	v_lshlrev_b64 v[66:67], v66, v[1:2]
	v_sub_nc_u32_e32 v67, 29, v68
	v_and_b32_e32 v66, 7, v66
; %bb.318:                              ;   in Loop: Header=BB267_9 Depth=1
	s_or_b32 exec_lo, exec_lo, s34
	v_lshlrev_b32_e32 v1, 8, v1
	v_lshl_add_u32 v67, v67, 10, 0x2000
	v_lshlrev_b32_e32 v66, 7, v66
	v_and_b32_e32 v1, 0x8000, v1
	v_and_b32_e32 v67, 0xfc00, v67
	v_or3_b32 v66, v1, v67, v66
.LBB267_319:                            ;   in Loop: Header=BB267_9 Depth=1
	s_or_b32 exec_lo, exec_lo, s33
.LBB267_320:                            ;   in Loop: Header=BB267_9 Depth=1
	s_or_b32 exec_lo, exec_lo, s31
.LBB267_321:                            ;   in Loop: Header=BB267_9 Depth=1
	s_or_b32 exec_lo, exec_lo, s3
	s_mov_b32 s3, exec_lo
	v_cmpx_lt_u32_e32 0xffffff, v9
	s_cbranch_execz .LBB267_329
; %bb.322:                              ;   in Loop: Header=BB267_9 Depth=1
	v_lshrrev_b32_e32 v1, 24, v9
	v_bfrev_b32_e32 v65, 1
	s_mov_b32 s31, exec_lo
	v_cmpx_ne_u32_e32 0x80, v1
	s_cbranch_execz .LBB267_328
; %bb.323:                              ;   in Loop: Header=BB267_9 Depth=1
	v_and_b32_e32 v67, 0x7f, v1
	v_mov_b32_e32 v65, 0x7c010000
	s_mov_b32 s33, exec_lo
	v_cmpx_ne_u32_e32 0x7f, v67
	s_cbranch_execz .LBB267_327
; %bb.324:                              ;   in Loop: Header=BB267_9 Depth=1
	v_and_b32_e32 v9, 7, v1
	v_lshrrev_b32_e32 v65, 3, v67
	s_mov_b32 s34, exec_lo
	v_cmpx_gt_u32_e32 8, v67
; %bb.325:                              ;   in Loop: Header=BB267_9 Depth=1
	v_ffbh_u32_e32 v9, v9
	v_min_u32_e32 v9, 32, v9
	v_subrev_nc_u32_e32 v65, 28, v9
	v_lshlrev_b64 v[67:68], v65, v[1:2]
	v_sub_nc_u32_e32 v65, 29, v9
	v_and_b32_e32 v9, 7, v67
; %bb.326:                              ;   in Loop: Header=BB267_9 Depth=1
	s_or_b32 exec_lo, exec_lo, s34
	v_lshlrev_b32_e32 v1, 8, v1
	v_lshl_add_u32 v65, v65, 10, 0x2000
	v_lshlrev_b32_e32 v9, 23, v9
	v_and_or_b32 v1, 0x8000, v1, v65
	v_lshl_or_b32 v65, v1, 16, v9
.LBB267_327:                            ;   in Loop: Header=BB267_9 Depth=1
	s_or_b32 exec_lo, exec_lo, s33
.LBB267_328:                            ;   in Loop: Header=BB267_9 Depth=1
	s_or_b32 exec_lo, exec_lo, s31
.LBB267_329:                            ;   in Loop: Header=BB267_9 Depth=1
	s_or_b32 exec_lo, exec_lo, s3
	global_load_dword v9, v[7:8], off offset:1280
	v_mov_b32_e32 v67, 0
	v_mov_b32_e32 v68, 0
	s_waitcnt vmcnt(0)
	v_cmp_ne_u16_sdwa s2, v9, v2 src0_sel:BYTE_0 src1_sel:DWORD
	s_and_saveexec_b32 s3, s2
	s_cbranch_execz .LBB267_337
; %bb.330:                              ;   in Loop: Header=BB267_9 Depth=1
	v_cmp_ne_u16_sdwa s2, v9, v21 src0_sel:BYTE_0 src1_sel:DWORD
	v_mov_b32_e32 v68, 0x8000
	s_and_saveexec_b32 s31, s2
	s_cbranch_execz .LBB267_336
; %bb.331:                              ;   in Loop: Header=BB267_9 Depth=1
	v_and_b32_e32 v69, 0x7f, v9
	v_mov_b32_e32 v68, 0x7c01
	s_mov_b32 s33, exec_lo
	v_cmpx_ne_u32_e32 0x7f, v69
	s_cbranch_execz .LBB267_335
; %bb.332:                              ;   in Loop: Header=BB267_9 Depth=1
	v_and_b32_e32 v1, 7, v9
	v_lshrrev_b32_e32 v68, 3, v69
	s_mov_b32 s34, exec_lo
	v_cmpx_gt_u32_e32 8, v69
; %bb.333:                              ;   in Loop: Header=BB267_9 Depth=1
	v_ffbh_u32_e32 v1, v1
	v_min_u32_e32 v1, 32, v1
	v_subrev_nc_u32_e32 v68, 28, v1
	v_lshlrev_b64 v[69:70], v68, v[9:10]
	v_sub_nc_u32_e32 v68, 29, v1
	v_and_b32_e32 v1, 7, v69
; %bb.334:                              ;   in Loop: Header=BB267_9 Depth=1
	s_or_b32 exec_lo, exec_lo, s34
	v_lshlrev_b32_e32 v69, 8, v9
	v_lshl_add_u32 v68, v68, 10, 0x2000
	v_lshlrev_b32_e32 v1, 7, v1
	v_and_b32_e32 v69, 0x8000, v69
	v_and_b32_e32 v68, 0xfc00, v68
	v_or3_b32 v68, v69, v68, v1
.LBB267_335:                            ;   in Loop: Header=BB267_9 Depth=1
	s_or_b32 exec_lo, exec_lo, s33
.LBB267_336:                            ;   in Loop: Header=BB267_9 Depth=1
	s_or_b32 exec_lo, exec_lo, s31
.LBB267_337:                            ;   in Loop: Header=BB267_9 Depth=1
	s_or_b32 exec_lo, exec_lo, s3
	v_lshrrev_b16 v1, 8, v9
	s_mov_b32 s3, exec_lo
	v_cmpx_ne_u16_e32 0, v1
	s_cbranch_execz .LBB267_345
; %bb.338:                              ;   in Loop: Header=BB267_9 Depth=1
	v_bfrev_b32_e32 v67, 1
	s_mov_b32 s31, exec_lo
	v_cmpx_ne_u16_e32 0x80, v1
	s_cbranch_execz .LBB267_344
; %bb.339:                              ;   in Loop: Header=BB267_9 Depth=1
	v_and_b32_sdwa v70, v1, v22 dst_sel:DWORD dst_unused:UNUSED_PAD src0_sel:WORD_0 src1_sel:DWORD
	v_mov_b32_e32 v67, 0x7c010000
	s_mov_b32 s33, exec_lo
	v_cmpx_ne_u32_e32 0x7f, v70
	s_cbranch_execz .LBB267_343
; %bb.340:                              ;   in Loop: Header=BB267_9 Depth=1
	v_and_b32_sdwa v67, v1, v23 dst_sel:DWORD dst_unused:UNUSED_PAD src0_sel:WORD_0 src1_sel:DWORD
	v_lshrrev_b32_e32 v69, 3, v70
	s_mov_b32 s34, exec_lo
	v_cmpx_gt_u32_e32 8, v70
; %bb.341:                              ;   in Loop: Header=BB267_9 Depth=1
	v_ffbh_u32_e32 v67, v67
	v_min_u32_e32 v67, 32, v67
	v_subrev_nc_u32_e32 v69, 28, v67
	v_lshlrev_b64 v[70:71], v69, v[1:2]
	v_sub_nc_u32_e32 v69, 29, v67
	v_and_b32_e32 v67, 7, v70
; %bb.342:                              ;   in Loop: Header=BB267_9 Depth=1
	s_or_b32 exec_lo, exec_lo, s34
	v_lshlrev_b32_sdwa v1, v24, v1 dst_sel:DWORD dst_unused:UNUSED_PAD src0_sel:DWORD src1_sel:WORD_0
	v_lshl_add_u32 v69, v69, 10, 0x2000
	v_lshlrev_b32_e32 v67, 23, v67
	v_and_or_b32 v1, 0x8000, v1, v69
	v_lshl_or_b32 v67, v1, 16, v67
.LBB267_343:                            ;   in Loop: Header=BB267_9 Depth=1
	s_or_b32 exec_lo, exec_lo, s33
.LBB267_344:                            ;   in Loop: Header=BB267_9 Depth=1
	s_or_b32 exec_lo, exec_lo, s31
.LBB267_345:                            ;   in Loop: Header=BB267_9 Depth=1
	s_or_b32 exec_lo, exec_lo, s3
	v_lshrrev_b32_e32 v1, 16, v9
	v_mov_b32_e32 v69, 0
	v_mov_b32_e32 v70, 0
	v_cmp_ne_u16_sdwa s2, v1, v2 src0_sel:BYTE_0 src1_sel:DWORD
	s_and_saveexec_b32 s3, s2
	s_cbranch_execz .LBB267_353
; %bb.346:                              ;   in Loop: Header=BB267_9 Depth=1
	v_cmp_ne_u16_sdwa s2, v1, v21 src0_sel:BYTE_0 src1_sel:DWORD
	v_mov_b32_e32 v70, 0x8000
	s_and_saveexec_b32 s31, s2
	s_cbranch_execz .LBB267_352
; %bb.347:                              ;   in Loop: Header=BB267_9 Depth=1
	v_bfe_u32 v72, v9, 16, 7
	v_mov_b32_e32 v70, 0x7c01
	s_mov_b32 s33, exec_lo
	v_cmpx_ne_u32_e32 0x7f, v72
	s_cbranch_execz .LBB267_351
; %bb.348:                              ;   in Loop: Header=BB267_9 Depth=1
	v_and_b32_e32 v70, 7, v1
	v_lshrrev_b32_e32 v71, 3, v72
	s_mov_b32 s34, exec_lo
	v_cmpx_gt_u32_e32 8, v72
; %bb.349:                              ;   in Loop: Header=BB267_9 Depth=1
	v_ffbh_u32_e32 v70, v70
	v_min_u32_e32 v72, 32, v70
	v_subrev_nc_u32_e32 v70, 28, v72
	v_lshlrev_b64 v[70:71], v70, v[1:2]
	v_sub_nc_u32_e32 v71, 29, v72
	v_and_b32_e32 v70, 7, v70
; %bb.350:                              ;   in Loop: Header=BB267_9 Depth=1
	s_or_b32 exec_lo, exec_lo, s34
	v_lshlrev_b32_e32 v1, 8, v1
	v_lshl_add_u32 v71, v71, 10, 0x2000
	v_lshlrev_b32_e32 v70, 7, v70
	v_and_b32_e32 v1, 0x8000, v1
	v_and_b32_e32 v71, 0xfc00, v71
	v_or3_b32 v70, v1, v71, v70
.LBB267_351:                            ;   in Loop: Header=BB267_9 Depth=1
	s_or_b32 exec_lo, exec_lo, s33
.LBB267_352:                            ;   in Loop: Header=BB267_9 Depth=1
	s_or_b32 exec_lo, exec_lo, s31
.LBB267_353:                            ;   in Loop: Header=BB267_9 Depth=1
	s_or_b32 exec_lo, exec_lo, s3
	s_mov_b32 s3, exec_lo
	v_cmpx_lt_u32_e32 0xffffff, v9
	s_cbranch_execz .LBB267_361
; %bb.354:                              ;   in Loop: Header=BB267_9 Depth=1
	v_lshrrev_b32_e32 v1, 24, v9
	v_bfrev_b32_e32 v69, 1
	s_mov_b32 s31, exec_lo
	v_cmpx_ne_u32_e32 0x80, v1
	s_cbranch_execz .LBB267_360
; %bb.355:                              ;   in Loop: Header=BB267_9 Depth=1
	v_and_b32_e32 v71, 0x7f, v1
	v_mov_b32_e32 v69, 0x7c010000
	s_mov_b32 s33, exec_lo
	v_cmpx_ne_u32_e32 0x7f, v71
	s_cbranch_execz .LBB267_359
; %bb.356:                              ;   in Loop: Header=BB267_9 Depth=1
	v_and_b32_e32 v9, 7, v1
	v_lshrrev_b32_e32 v69, 3, v71
	s_mov_b32 s34, exec_lo
	v_cmpx_gt_u32_e32 8, v71
; %bb.357:                              ;   in Loop: Header=BB267_9 Depth=1
	v_ffbh_u32_e32 v9, v9
	v_min_u32_e32 v9, 32, v9
	v_subrev_nc_u32_e32 v69, 28, v9
	v_lshlrev_b64 v[71:72], v69, v[1:2]
	v_sub_nc_u32_e32 v69, 29, v9
	v_and_b32_e32 v9, 7, v71
; %bb.358:                              ;   in Loop: Header=BB267_9 Depth=1
	s_or_b32 exec_lo, exec_lo, s34
	v_lshlrev_b32_e32 v1, 8, v1
	v_lshl_add_u32 v69, v69, 10, 0x2000
	v_lshlrev_b32_e32 v9, 23, v9
	v_and_or_b32 v1, 0x8000, v1, v69
	v_lshl_or_b32 v69, v1, 16, v9
.LBB267_359:                            ;   in Loop: Header=BB267_9 Depth=1
	s_or_b32 exec_lo, exec_lo, s33
.LBB267_360:                            ;   in Loop: Header=BB267_9 Depth=1
	s_or_b32 exec_lo, exec_lo, s31
.LBB267_361:                            ;   in Loop: Header=BB267_9 Depth=1
	s_or_b32 exec_lo, exec_lo, s3
	global_load_dword v9, v[7:8], off offset:1288
	v_mov_b32_e32 v71, 0
	v_mov_b32_e32 v72, 0
	s_waitcnt vmcnt(0)
	v_cmp_ne_u16_sdwa s2, v9, v2 src0_sel:BYTE_0 src1_sel:DWORD
	s_and_saveexec_b32 s3, s2
	s_cbranch_execz .LBB267_369
; %bb.362:                              ;   in Loop: Header=BB267_9 Depth=1
	v_cmp_ne_u16_sdwa s2, v9, v21 src0_sel:BYTE_0 src1_sel:DWORD
	v_mov_b32_e32 v72, 0x8000
	s_and_saveexec_b32 s31, s2
	s_cbranch_execz .LBB267_368
; %bb.363:                              ;   in Loop: Header=BB267_9 Depth=1
	v_and_b32_e32 v73, 0x7f, v9
	v_mov_b32_e32 v72, 0x7c01
	s_mov_b32 s33, exec_lo
	v_cmpx_ne_u32_e32 0x7f, v73
	s_cbranch_execz .LBB267_367
; %bb.364:                              ;   in Loop: Header=BB267_9 Depth=1
	v_and_b32_e32 v1, 7, v9
	v_lshrrev_b32_e32 v72, 3, v73
	s_mov_b32 s34, exec_lo
	v_cmpx_gt_u32_e32 8, v73
; %bb.365:                              ;   in Loop: Header=BB267_9 Depth=1
	v_ffbh_u32_e32 v1, v1
	v_min_u32_e32 v1, 32, v1
	v_subrev_nc_u32_e32 v72, 28, v1
	v_lshlrev_b64 v[73:74], v72, v[9:10]
	v_sub_nc_u32_e32 v72, 29, v1
	v_and_b32_e32 v1, 7, v73
; %bb.366:                              ;   in Loop: Header=BB267_9 Depth=1
	s_or_b32 exec_lo, exec_lo, s34
	v_lshlrev_b32_e32 v73, 8, v9
	v_lshl_add_u32 v72, v72, 10, 0x2000
	v_lshlrev_b32_e32 v1, 7, v1
	v_and_b32_e32 v73, 0x8000, v73
	v_and_b32_e32 v72, 0xfc00, v72
	v_or3_b32 v72, v73, v72, v1
.LBB267_367:                            ;   in Loop: Header=BB267_9 Depth=1
	s_or_b32 exec_lo, exec_lo, s33
.LBB267_368:                            ;   in Loop: Header=BB267_9 Depth=1
	s_or_b32 exec_lo, exec_lo, s31
.LBB267_369:                            ;   in Loop: Header=BB267_9 Depth=1
	s_or_b32 exec_lo, exec_lo, s3
	v_lshrrev_b16 v1, 8, v9
	s_mov_b32 s3, exec_lo
	v_cmpx_ne_u16_e32 0, v1
	s_cbranch_execz .LBB267_377
; %bb.370:                              ;   in Loop: Header=BB267_9 Depth=1
	v_bfrev_b32_e32 v71, 1
	s_mov_b32 s31, exec_lo
	v_cmpx_ne_u16_e32 0x80, v1
	s_cbranch_execz .LBB267_376
; %bb.371:                              ;   in Loop: Header=BB267_9 Depth=1
	v_and_b32_sdwa v74, v1, v22 dst_sel:DWORD dst_unused:UNUSED_PAD src0_sel:WORD_0 src1_sel:DWORD
	v_mov_b32_e32 v71, 0x7c010000
	s_mov_b32 s33, exec_lo
	v_cmpx_ne_u32_e32 0x7f, v74
	s_cbranch_execz .LBB267_375
; %bb.372:                              ;   in Loop: Header=BB267_9 Depth=1
	v_and_b32_sdwa v71, v1, v23 dst_sel:DWORD dst_unused:UNUSED_PAD src0_sel:WORD_0 src1_sel:DWORD
	v_lshrrev_b32_e32 v73, 3, v74
	s_mov_b32 s34, exec_lo
	v_cmpx_gt_u32_e32 8, v74
; %bb.373:                              ;   in Loop: Header=BB267_9 Depth=1
	v_ffbh_u32_e32 v71, v71
	v_min_u32_e32 v71, 32, v71
	v_subrev_nc_u32_e32 v73, 28, v71
	v_lshlrev_b64 v[74:75], v73, v[1:2]
	v_sub_nc_u32_e32 v73, 29, v71
	v_and_b32_e32 v71, 7, v74
; %bb.374:                              ;   in Loop: Header=BB267_9 Depth=1
	s_or_b32 exec_lo, exec_lo, s34
	v_lshlrev_b32_sdwa v1, v24, v1 dst_sel:DWORD dst_unused:UNUSED_PAD src0_sel:DWORD src1_sel:WORD_0
	v_lshl_add_u32 v73, v73, 10, 0x2000
	v_lshlrev_b32_e32 v71, 23, v71
	v_and_or_b32 v1, 0x8000, v1, v73
	v_lshl_or_b32 v71, v1, 16, v71
.LBB267_375:                            ;   in Loop: Header=BB267_9 Depth=1
	s_or_b32 exec_lo, exec_lo, s33
.LBB267_376:                            ;   in Loop: Header=BB267_9 Depth=1
	s_or_b32 exec_lo, exec_lo, s31
.LBB267_377:                            ;   in Loop: Header=BB267_9 Depth=1
	s_or_b32 exec_lo, exec_lo, s3
	v_lshrrev_b32_e32 v1, 16, v9
	v_mov_b32_e32 v73, 0
	v_mov_b32_e32 v74, 0
	v_cmp_ne_u16_sdwa s2, v1, v2 src0_sel:BYTE_0 src1_sel:DWORD
	s_and_saveexec_b32 s3, s2
	s_cbranch_execz .LBB267_385
; %bb.378:                              ;   in Loop: Header=BB267_9 Depth=1
	v_cmp_ne_u16_sdwa s2, v1, v21 src0_sel:BYTE_0 src1_sel:DWORD
	v_mov_b32_e32 v74, 0x8000
	s_and_saveexec_b32 s31, s2
	s_cbranch_execz .LBB267_384
; %bb.379:                              ;   in Loop: Header=BB267_9 Depth=1
	v_bfe_u32 v76, v9, 16, 7
	v_mov_b32_e32 v74, 0x7c01
	s_mov_b32 s33, exec_lo
	v_cmpx_ne_u32_e32 0x7f, v76
	s_cbranch_execz .LBB267_383
; %bb.380:                              ;   in Loop: Header=BB267_9 Depth=1
	v_and_b32_e32 v74, 7, v1
	v_lshrrev_b32_e32 v75, 3, v76
	s_mov_b32 s34, exec_lo
	v_cmpx_gt_u32_e32 8, v76
; %bb.381:                              ;   in Loop: Header=BB267_9 Depth=1
	v_ffbh_u32_e32 v74, v74
	v_min_u32_e32 v76, 32, v74
	v_subrev_nc_u32_e32 v74, 28, v76
	v_lshlrev_b64 v[74:75], v74, v[1:2]
	v_sub_nc_u32_e32 v75, 29, v76
	v_and_b32_e32 v74, 7, v74
; %bb.382:                              ;   in Loop: Header=BB267_9 Depth=1
	s_or_b32 exec_lo, exec_lo, s34
	v_lshlrev_b32_e32 v1, 8, v1
	v_lshl_add_u32 v75, v75, 10, 0x2000
	v_lshlrev_b32_e32 v74, 7, v74
	v_and_b32_e32 v1, 0x8000, v1
	v_and_b32_e32 v75, 0xfc00, v75
	v_or3_b32 v74, v1, v75, v74
.LBB267_383:                            ;   in Loop: Header=BB267_9 Depth=1
	s_or_b32 exec_lo, exec_lo, s33
.LBB267_384:                            ;   in Loop: Header=BB267_9 Depth=1
	s_or_b32 exec_lo, exec_lo, s31
.LBB267_385:                            ;   in Loop: Header=BB267_9 Depth=1
	s_or_b32 exec_lo, exec_lo, s3
	s_mov_b32 s3, exec_lo
	v_cmpx_lt_u32_e32 0xffffff, v9
	s_cbranch_execz .LBB267_393
; %bb.386:                              ;   in Loop: Header=BB267_9 Depth=1
	v_lshrrev_b32_e32 v1, 24, v9
	v_bfrev_b32_e32 v73, 1
	s_mov_b32 s31, exec_lo
	v_cmpx_ne_u32_e32 0x80, v1
	s_cbranch_execz .LBB267_392
; %bb.387:                              ;   in Loop: Header=BB267_9 Depth=1
	v_and_b32_e32 v75, 0x7f, v1
	v_mov_b32_e32 v73, 0x7c010000
	s_mov_b32 s33, exec_lo
	v_cmpx_ne_u32_e32 0x7f, v75
	s_cbranch_execz .LBB267_391
; %bb.388:                              ;   in Loop: Header=BB267_9 Depth=1
	v_and_b32_e32 v9, 7, v1
	v_lshrrev_b32_e32 v73, 3, v75
	s_mov_b32 s34, exec_lo
	v_cmpx_gt_u32_e32 8, v75
; %bb.389:                              ;   in Loop: Header=BB267_9 Depth=1
	v_ffbh_u32_e32 v9, v9
	v_min_u32_e32 v9, 32, v9
	v_subrev_nc_u32_e32 v73, 28, v9
	v_lshlrev_b64 v[75:76], v73, v[1:2]
	v_sub_nc_u32_e32 v73, 29, v9
	v_and_b32_e32 v9, 7, v75
; %bb.390:                              ;   in Loop: Header=BB267_9 Depth=1
	s_or_b32 exec_lo, exec_lo, s34
	v_lshlrev_b32_e32 v1, 8, v1
	v_lshl_add_u32 v73, v73, 10, 0x2000
	v_lshlrev_b32_e32 v9, 23, v9
	v_and_or_b32 v1, 0x8000, v1, v73
	v_lshl_or_b32 v73, v1, 16, v9
.LBB267_391:                            ;   in Loop: Header=BB267_9 Depth=1
	s_or_b32 exec_lo, exec_lo, s33
.LBB267_392:                            ;   in Loop: Header=BB267_9 Depth=1
	s_or_b32 exec_lo, exec_lo, s31
.LBB267_393:                            ;   in Loop: Header=BB267_9 Depth=1
	s_or_b32 exec_lo, exec_lo, s3
	global_load_dword v9, v[7:8], off offset:1536
	v_mov_b32_e32 v75, 0
	v_mov_b32_e32 v76, 0
	s_waitcnt vmcnt(0)
	v_cmp_ne_u16_sdwa s2, v9, v2 src0_sel:BYTE_0 src1_sel:DWORD
	s_and_saveexec_b32 s3, s2
	s_cbranch_execz .LBB267_401
; %bb.394:                              ;   in Loop: Header=BB267_9 Depth=1
	v_cmp_ne_u16_sdwa s2, v9, v21 src0_sel:BYTE_0 src1_sel:DWORD
	v_mov_b32_e32 v76, 0x8000
	s_and_saveexec_b32 s31, s2
	s_cbranch_execz .LBB267_400
; %bb.395:                              ;   in Loop: Header=BB267_9 Depth=1
	v_and_b32_e32 v77, 0x7f, v9
	v_mov_b32_e32 v76, 0x7c01
	s_mov_b32 s33, exec_lo
	v_cmpx_ne_u32_e32 0x7f, v77
	s_cbranch_execz .LBB267_399
; %bb.396:                              ;   in Loop: Header=BB267_9 Depth=1
	v_and_b32_e32 v1, 7, v9
	v_lshrrev_b32_e32 v76, 3, v77
	s_mov_b32 s34, exec_lo
	v_cmpx_gt_u32_e32 8, v77
; %bb.397:                              ;   in Loop: Header=BB267_9 Depth=1
	v_ffbh_u32_e32 v1, v1
	v_min_u32_e32 v1, 32, v1
	v_subrev_nc_u32_e32 v76, 28, v1
	v_lshlrev_b64 v[77:78], v76, v[9:10]
	v_sub_nc_u32_e32 v76, 29, v1
	v_and_b32_e32 v1, 7, v77
; %bb.398:                              ;   in Loop: Header=BB267_9 Depth=1
	s_or_b32 exec_lo, exec_lo, s34
	v_lshlrev_b32_e32 v77, 8, v9
	v_lshl_add_u32 v76, v76, 10, 0x2000
	v_lshlrev_b32_e32 v1, 7, v1
	v_and_b32_e32 v77, 0x8000, v77
	v_and_b32_e32 v76, 0xfc00, v76
	v_or3_b32 v76, v77, v76, v1
.LBB267_399:                            ;   in Loop: Header=BB267_9 Depth=1
	s_or_b32 exec_lo, exec_lo, s33
.LBB267_400:                            ;   in Loop: Header=BB267_9 Depth=1
	s_or_b32 exec_lo, exec_lo, s31
.LBB267_401:                            ;   in Loop: Header=BB267_9 Depth=1
	s_or_b32 exec_lo, exec_lo, s3
	v_lshrrev_b16 v1, 8, v9
	s_mov_b32 s3, exec_lo
	v_cmpx_ne_u16_e32 0, v1
	s_cbranch_execz .LBB267_409
; %bb.402:                              ;   in Loop: Header=BB267_9 Depth=1
	v_bfrev_b32_e32 v75, 1
	s_mov_b32 s31, exec_lo
	v_cmpx_ne_u16_e32 0x80, v1
	s_cbranch_execz .LBB267_408
; %bb.403:                              ;   in Loop: Header=BB267_9 Depth=1
	v_and_b32_sdwa v78, v1, v22 dst_sel:DWORD dst_unused:UNUSED_PAD src0_sel:WORD_0 src1_sel:DWORD
	v_mov_b32_e32 v75, 0x7c010000
	s_mov_b32 s33, exec_lo
	v_cmpx_ne_u32_e32 0x7f, v78
	s_cbranch_execz .LBB267_407
; %bb.404:                              ;   in Loop: Header=BB267_9 Depth=1
	v_and_b32_sdwa v75, v1, v23 dst_sel:DWORD dst_unused:UNUSED_PAD src0_sel:WORD_0 src1_sel:DWORD
	v_lshrrev_b32_e32 v77, 3, v78
	s_mov_b32 s34, exec_lo
	v_cmpx_gt_u32_e32 8, v78
; %bb.405:                              ;   in Loop: Header=BB267_9 Depth=1
	v_ffbh_u32_e32 v75, v75
	v_min_u32_e32 v75, 32, v75
	v_subrev_nc_u32_e32 v77, 28, v75
	v_lshlrev_b64 v[78:79], v77, v[1:2]
	v_sub_nc_u32_e32 v77, 29, v75
	v_and_b32_e32 v75, 7, v78
; %bb.406:                              ;   in Loop: Header=BB267_9 Depth=1
	s_or_b32 exec_lo, exec_lo, s34
	v_lshlrev_b32_sdwa v1, v24, v1 dst_sel:DWORD dst_unused:UNUSED_PAD src0_sel:DWORD src1_sel:WORD_0
	v_lshl_add_u32 v77, v77, 10, 0x2000
	v_lshlrev_b32_e32 v75, 23, v75
	v_and_or_b32 v1, 0x8000, v1, v77
	v_lshl_or_b32 v75, v1, 16, v75
.LBB267_407:                            ;   in Loop: Header=BB267_9 Depth=1
	s_or_b32 exec_lo, exec_lo, s33
.LBB267_408:                            ;   in Loop: Header=BB267_9 Depth=1
	s_or_b32 exec_lo, exec_lo, s31
.LBB267_409:                            ;   in Loop: Header=BB267_9 Depth=1
	s_or_b32 exec_lo, exec_lo, s3
	v_lshrrev_b32_e32 v1, 16, v9
	v_mov_b32_e32 v77, 0
	v_mov_b32_e32 v78, 0
	v_cmp_ne_u16_sdwa s2, v1, v2 src0_sel:BYTE_0 src1_sel:DWORD
	s_and_saveexec_b32 s3, s2
	s_cbranch_execz .LBB267_417
; %bb.410:                              ;   in Loop: Header=BB267_9 Depth=1
	v_cmp_ne_u16_sdwa s2, v1, v21 src0_sel:BYTE_0 src1_sel:DWORD
	v_mov_b32_e32 v78, 0x8000
	s_and_saveexec_b32 s31, s2
	s_cbranch_execz .LBB267_416
; %bb.411:                              ;   in Loop: Header=BB267_9 Depth=1
	v_bfe_u32 v80, v9, 16, 7
	v_mov_b32_e32 v78, 0x7c01
	s_mov_b32 s33, exec_lo
	v_cmpx_ne_u32_e32 0x7f, v80
	s_cbranch_execz .LBB267_415
; %bb.412:                              ;   in Loop: Header=BB267_9 Depth=1
	v_and_b32_e32 v78, 7, v1
	v_lshrrev_b32_e32 v79, 3, v80
	s_mov_b32 s34, exec_lo
	v_cmpx_gt_u32_e32 8, v80
; %bb.413:                              ;   in Loop: Header=BB267_9 Depth=1
	v_ffbh_u32_e32 v78, v78
	v_min_u32_e32 v80, 32, v78
	v_subrev_nc_u32_e32 v78, 28, v80
	v_lshlrev_b64 v[78:79], v78, v[1:2]
	v_sub_nc_u32_e32 v79, 29, v80
	v_and_b32_e32 v78, 7, v78
; %bb.414:                              ;   in Loop: Header=BB267_9 Depth=1
	s_or_b32 exec_lo, exec_lo, s34
	v_lshlrev_b32_e32 v1, 8, v1
	v_lshl_add_u32 v79, v79, 10, 0x2000
	v_lshlrev_b32_e32 v78, 7, v78
	v_and_b32_e32 v1, 0x8000, v1
	v_and_b32_e32 v79, 0xfc00, v79
	v_or3_b32 v78, v1, v79, v78
.LBB267_415:                            ;   in Loop: Header=BB267_9 Depth=1
	s_or_b32 exec_lo, exec_lo, s33
.LBB267_416:                            ;   in Loop: Header=BB267_9 Depth=1
	s_or_b32 exec_lo, exec_lo, s31
.LBB267_417:                            ;   in Loop: Header=BB267_9 Depth=1
	s_or_b32 exec_lo, exec_lo, s3
	s_mov_b32 s3, exec_lo
	v_cmpx_lt_u32_e32 0xffffff, v9
	s_cbranch_execz .LBB267_425
; %bb.418:                              ;   in Loop: Header=BB267_9 Depth=1
	v_lshrrev_b32_e32 v1, 24, v9
	v_bfrev_b32_e32 v77, 1
	s_mov_b32 s31, exec_lo
	v_cmpx_ne_u32_e32 0x80, v1
	s_cbranch_execz .LBB267_424
; %bb.419:                              ;   in Loop: Header=BB267_9 Depth=1
	v_and_b32_e32 v79, 0x7f, v1
	v_mov_b32_e32 v77, 0x7c010000
	s_mov_b32 s33, exec_lo
	v_cmpx_ne_u32_e32 0x7f, v79
	s_cbranch_execz .LBB267_423
; %bb.420:                              ;   in Loop: Header=BB267_9 Depth=1
	v_and_b32_e32 v9, 7, v1
	v_lshrrev_b32_e32 v77, 3, v79
	s_mov_b32 s34, exec_lo
	v_cmpx_gt_u32_e32 8, v79
; %bb.421:                              ;   in Loop: Header=BB267_9 Depth=1
	v_ffbh_u32_e32 v9, v9
	v_min_u32_e32 v9, 32, v9
	v_subrev_nc_u32_e32 v77, 28, v9
	v_lshlrev_b64 v[79:80], v77, v[1:2]
	v_sub_nc_u32_e32 v77, 29, v9
	v_and_b32_e32 v9, 7, v79
; %bb.422:                              ;   in Loop: Header=BB267_9 Depth=1
	s_or_b32 exec_lo, exec_lo, s34
	v_lshlrev_b32_e32 v1, 8, v1
	v_lshl_add_u32 v77, v77, 10, 0x2000
	v_lshlrev_b32_e32 v9, 23, v9
	v_and_or_b32 v1, 0x8000, v1, v77
	v_lshl_or_b32 v77, v1, 16, v9
.LBB267_423:                            ;   in Loop: Header=BB267_9 Depth=1
	s_or_b32 exec_lo, exec_lo, s33
.LBB267_424:                            ;   in Loop: Header=BB267_9 Depth=1
	s_or_b32 exec_lo, exec_lo, s31
.LBB267_425:                            ;   in Loop: Header=BB267_9 Depth=1
	s_or_b32 exec_lo, exec_lo, s3
	global_load_dword v7, v[7:8], off offset:1544
	v_mov_b32_e32 v9, 0
	v_mov_b32_e32 v80, 0
	s_waitcnt vmcnt(0)
	v_cmp_ne_u16_sdwa s2, v7, v2 src0_sel:BYTE_0 src1_sel:DWORD
	s_and_saveexec_b32 s3, s2
	s_cbranch_execz .LBB267_433
; %bb.426:                              ;   in Loop: Header=BB267_9 Depth=1
	v_cmp_ne_u16_sdwa s2, v7, v21 src0_sel:BYTE_0 src1_sel:DWORD
	v_mov_b32_e32 v80, 0x8000
	s_and_saveexec_b32 s31, s2
	s_cbranch_execz .LBB267_432
; %bb.427:                              ;   in Loop: Header=BB267_9 Depth=1
	v_and_b32_e32 v79, 0x7f, v7
	v_mov_b32_e32 v80, 0x7c01
	s_mov_b32 s33, exec_lo
	v_cmpx_ne_u32_e32 0x7f, v79
	s_cbranch_execz .LBB267_431
; %bb.428:                              ;   in Loop: Header=BB267_9 Depth=1
	v_and_b32_e32 v1, 7, v7
	v_lshrrev_b32_e32 v8, 3, v79
	s_mov_b32 s34, exec_lo
	v_cmpx_gt_u32_e32 8, v79
; %bb.429:                              ;   in Loop: Header=BB267_9 Depth=1
	v_ffbh_u32_e32 v1, v1
	v_min_u32_e32 v1, 32, v1
	v_subrev_nc_u32_e32 v8, 28, v1
	v_lshlrev_b64 v[79:80], v8, v[7:8]
	v_sub_nc_u32_e32 v8, 29, v1
	v_and_b32_e32 v1, 7, v79
; %bb.430:                              ;   in Loop: Header=BB267_9 Depth=1
	s_or_b32 exec_lo, exec_lo, s34
	v_lshlrev_b32_e32 v79, 8, v7
	v_lshl_add_u32 v8, v8, 10, 0x2000
	v_lshlrev_b32_e32 v1, 7, v1
	v_and_b32_e32 v79, 0x8000, v79
	v_and_b32_e32 v8, 0xfc00, v8
	v_or3_b32 v80, v79, v8, v1
.LBB267_431:                            ;   in Loop: Header=BB267_9 Depth=1
	s_or_b32 exec_lo, exec_lo, s33
.LBB267_432:                            ;   in Loop: Header=BB267_9 Depth=1
	s_or_b32 exec_lo, exec_lo, s31
.LBB267_433:                            ;   in Loop: Header=BB267_9 Depth=1
	s_or_b32 exec_lo, exec_lo, s3
	v_lshrrev_b16 v1, 8, v7
	s_mov_b32 s3, exec_lo
	v_cmpx_ne_u16_e32 0, v1
	s_cbranch_execz .LBB267_441
; %bb.434:                              ;   in Loop: Header=BB267_9 Depth=1
	v_bfrev_b32_e32 v9, 1
	s_mov_b32 s31, exec_lo
	v_cmpx_ne_u16_e32 0x80, v1
	s_cbranch_execz .LBB267_440
; %bb.435:                              ;   in Loop: Header=BB267_9 Depth=1
	v_and_b32_sdwa v79, v1, v22 dst_sel:DWORD dst_unused:UNUSED_PAD src0_sel:WORD_0 src1_sel:DWORD
	v_mov_b32_e32 v9, 0x7c010000
	s_mov_b32 s33, exec_lo
	v_cmpx_ne_u32_e32 0x7f, v79
	s_cbranch_execz .LBB267_439
; %bb.436:                              ;   in Loop: Header=BB267_9 Depth=1
	v_and_b32_sdwa v8, v1, v23 dst_sel:DWORD dst_unused:UNUSED_PAD src0_sel:WORD_0 src1_sel:DWORD
	v_lshrrev_b32_e32 v9, 3, v79
	s_mov_b32 s34, exec_lo
	v_cmpx_gt_u32_e32 8, v79
; %bb.437:                              ;   in Loop: Header=BB267_9 Depth=1
	v_ffbh_u32_e32 v8, v8
	v_min_u32_e32 v79, 32, v8
	v_subrev_nc_u32_e32 v8, 28, v79
	v_lshlrev_b64 v[8:9], v8, v[1:2]
	v_sub_nc_u32_e32 v9, 29, v79
	v_and_b32_e32 v8, 7, v8
; %bb.438:                              ;   in Loop: Header=BB267_9 Depth=1
	s_or_b32 exec_lo, exec_lo, s34
	v_lshlrev_b32_sdwa v1, v24, v1 dst_sel:DWORD dst_unused:UNUSED_PAD src0_sel:DWORD src1_sel:WORD_0
	v_lshl_add_u32 v9, v9, 10, 0x2000
	v_lshlrev_b32_e32 v8, 23, v8
	v_and_or_b32 v1, 0x8000, v1, v9
	v_lshl_or_b32 v9, v1, 16, v8
.LBB267_439:                            ;   in Loop: Header=BB267_9 Depth=1
	s_or_b32 exec_lo, exec_lo, s33
.LBB267_440:                            ;   in Loop: Header=BB267_9 Depth=1
	s_or_b32 exec_lo, exec_lo, s31
.LBB267_441:                            ;   in Loop: Header=BB267_9 Depth=1
	s_or_b32 exec_lo, exec_lo, s3
	v_lshrrev_b32_e32 v1, 16, v7
	v_mov_b32_e32 v8, 0
	v_mov_b32_e32 v79, 0
	v_cmp_ne_u16_sdwa s2, v1, v2 src0_sel:BYTE_0 src1_sel:DWORD
	s_and_saveexec_b32 s3, s2
	s_cbranch_execz .LBB267_449
; %bb.442:                              ;   in Loop: Header=BB267_9 Depth=1
	v_cmp_ne_u16_sdwa s2, v1, v21 src0_sel:BYTE_0 src1_sel:DWORD
	v_mov_b32_e32 v79, 0x8000
	s_and_saveexec_b32 s31, s2
	s_cbranch_execz .LBB267_448
; %bb.443:                              ;   in Loop: Header=BB267_9 Depth=1
	v_bfe_u32 v82, v7, 16, 7
	v_mov_b32_e32 v79, 0x7c01
	s_mov_b32 s33, exec_lo
	v_cmpx_ne_u32_e32 0x7f, v82
	s_cbranch_execz .LBB267_447
; %bb.444:                              ;   in Loop: Header=BB267_9 Depth=1
	v_and_b32_e32 v79, 7, v1
	v_lshrrev_b32_e32 v81, 3, v82
	s_mov_b32 s34, exec_lo
	v_cmpx_gt_u32_e32 8, v82
; %bb.445:                              ;   in Loop: Header=BB267_9 Depth=1
	v_ffbh_u32_e32 v79, v79
	v_min_u32_e32 v79, 32, v79
	v_subrev_nc_u32_e32 v81, 28, v79
	v_lshlrev_b64 v[82:83], v81, v[1:2]
	v_sub_nc_u32_e32 v81, 29, v79
	v_and_b32_e32 v79, 7, v82
; %bb.446:                              ;   in Loop: Header=BB267_9 Depth=1
	s_or_b32 exec_lo, exec_lo, s34
	v_lshlrev_b32_e32 v1, 8, v1
	v_lshl_add_u32 v81, v81, 10, 0x2000
	v_lshlrev_b32_e32 v79, 7, v79
	v_and_b32_e32 v1, 0x8000, v1
	v_and_b32_e32 v81, 0xfc00, v81
	v_or3_b32 v79, v1, v81, v79
.LBB267_447:                            ;   in Loop: Header=BB267_9 Depth=1
	s_or_b32 exec_lo, exec_lo, s33
.LBB267_448:                            ;   in Loop: Header=BB267_9 Depth=1
	s_or_b32 exec_lo, exec_lo, s31
.LBB267_449:                            ;   in Loop: Header=BB267_9 Depth=1
	s_or_b32 exec_lo, exec_lo, s3
	s_mov_b32 s3, exec_lo
	v_cmpx_lt_u32_e32 0xffffff, v7
	s_cbranch_execz .LBB267_457
; %bb.450:                              ;   in Loop: Header=BB267_9 Depth=1
	v_lshrrev_b32_e32 v1, 24, v7
	v_bfrev_b32_e32 v8, 1
	s_mov_b32 s31, exec_lo
	v_cmpx_ne_u32_e32 0x80, v1
	s_cbranch_execz .LBB267_456
; %bb.451:                              ;   in Loop: Header=BB267_9 Depth=1
	v_and_b32_e32 v81, 0x7f, v1
	v_mov_b32_e32 v8, 0x7c010000
	s_mov_b32 s33, exec_lo
	v_cmpx_ne_u32_e32 0x7f, v81
	s_cbranch_execz .LBB267_455
; %bb.452:                              ;   in Loop: Header=BB267_9 Depth=1
	v_and_b32_e32 v7, 7, v1
	v_lshrrev_b32_e32 v8, 3, v81
	s_mov_b32 s34, exec_lo
	v_cmpx_gt_u32_e32 8, v81
; %bb.453:                              ;   in Loop: Header=BB267_9 Depth=1
	v_ffbh_u32_e32 v7, v7
	v_min_u32_e32 v81, 32, v7
	v_subrev_nc_u32_e32 v7, 28, v81
	v_lshlrev_b64 v[7:8], v7, v[1:2]
	v_sub_nc_u32_e32 v8, 29, v81
	v_and_b32_e32 v7, 7, v7
; %bb.454:                              ;   in Loop: Header=BB267_9 Depth=1
	s_or_b32 exec_lo, exec_lo, s34
	v_lshlrev_b32_e32 v1, 8, v1
	v_lshl_add_u32 v8, v8, 10, 0x2000
	v_lshlrev_b32_e32 v7, 23, v7
	v_and_or_b32 v1, 0x8000, v1, v8
	v_lshl_or_b32 v8, v1, 16, v7
.LBB267_455:                            ;   in Loop: Header=BB267_9 Depth=1
	s_or_b32 exec_lo, exec_lo, s33
.LBB267_456:                            ;   in Loop: Header=BB267_9 Depth=1
	s_or_b32 exec_lo, exec_lo, s31
.LBB267_457:                            ;   in Loop: Header=BB267_9 Depth=1
	s_or_b32 exec_lo, exec_lo, s3
	ds_read_b64 v[81:82], v18
	v_or_b32_e32 v1, v28, v27
	v_or_b32_e32 v7, v29, v30
	v_fma_mixlo_f16 v27, v26, v28, 0 op_sel:[0,1,0] op_sel_hi:[0,1,0]
	v_fma_mixlo_f16 v28, v26, v29, 0 op_sel:[0,1,0] op_sel_hi:[0,1,0]
	v_or_b32_e32 v32, v31, v32
	v_fma_mixlo_f16 v1, v26, v1, 0 op_sel_hi:[0,1,0]
	v_fma_mixlo_f16 v7, v26, v7, 0 op_sel_hi:[0,1,0]
	v_and_b32_e32 v27, 0xffff, v27
	v_and_b32_e32 v83, 0xffff, v28
	v_or_b32_e32 v34, v33, v34
	v_and_b32_e32 v28, 0xffff, v1
	v_fma_mixlo_f16 v31, v26, v31, 0 op_sel:[0,1,0] op_sel_hi:[0,1,0]
	v_fma_mixlo_f16 v33, v26, v33, 0 op_sel:[0,1,0] op_sel_hi:[0,1,0]
	v_fma_mixlo_f16 v32, v26, v32, 0 op_sel_hi:[0,1,0]
	v_fma_mixlo_f16 v34, v26, v34, 0 op_sel_hi:[0,1,0]
	v_or_b32_e32 v36, v35, v36
	v_and_b32_e32 v31, 0xffff, v31
	v_and_b32_e32 v87, 0xffff, v33
	v_and_b32_e32 v32, 0xffff, v32
	s_waitcnt lgkmcnt(0)
	v_and_b32_e32 v1, 0xffff, v81
	v_lshrrev_b32_e32 v29, 16, v81
	v_and_b32_e32 v81, 0xffff, v7
	v_lshrrev_b32_e32 v84, 16, v82
	v_and_b32_e32 v30, 0xffff, v82
	;;#ASMSTART
	v_cvt_f32_f16 v1, v1;
	;;#ASMEND
	;;#ASMSTART
	v_cvt_f32_f16 v7, v29;
	;;#ASMEND
	;; [unrolled: 3-line block ×8, first 2 shown]
	ds_read_b64 v[83:84], v18 offset:8
	v_and_b32_e32 v86, 0xffff, v34
	v_or_b32_e32 v38, v37, v38
	v_fma_mixlo_f16 v35, v26, v35, 0 op_sel:[0,1,0] op_sel_hi:[0,1,0]
	v_fma_mixlo_f16 v37, v26, v37, 0 op_sel:[0,1,0] op_sel_hi:[0,1,0]
	v_fma_mixlo_f16 v36, v26, v36, 0 op_sel_hi:[0,1,0]
	v_or_b32_e32 v40, v39, v40
	v_fma_mixlo_f16 v38, v26, v38, 0 op_sel_hi:[0,1,0]
	v_and_b32_e32 v89, 0xffff, v35
	v_and_b32_e32 v90, 0xffff, v37
	v_and_b32_e32 v37, 0xffff, v36
	v_or_b32_e32 v42, v41, v42
	v_and_b32_e32 v91, 0xffff, v38
	v_fma_mixlo_f16 v39, v26, v39, 0 op_sel:[0,1,0] op_sel_hi:[0,1,0]
	v_fma_mixlo_f16 v41, v26, v41, 0 op_sel:[0,1,0] op_sel_hi:[0,1,0]
	v_fma_mixlo_f16 v40, v26, v40, 0 op_sel_hi:[0,1,0]
	v_fma_mixlo_f16 v42, v26, v42, 0 op_sel_hi:[0,1,0]
	v_or_b32_e32 v44, v43, v44
	v_and_b32_e32 v93, 0xffff, v39
	v_and_b32_e32 v95, 0xffff, v41
	s_waitcnt lgkmcnt(0)
	v_and_b32_e32 v33, 0xffff, v83
	v_lshrrev_b32_e32 v83, 16, v83
	v_lshrrev_b32_e32 v88, 16, v84
	v_and_b32_e32 v85, 0xffff, v84
	;;#ASMSTART
	v_cvt_f32_f16 v33, v33;
	;;#ASMEND
	;;#ASMSTART
	v_cvt_f32_f16 v34, v83;
	;;#ASMEND
	;; [unrolled: 3-line block ×8, first 2 shown]
	ds_read_b64 v[87:88], v18 offset:16
	v_and_b32_e32 v41, 0xffff, v40
	v_and_b32_e32 v94, 0xffff, v42
	v_or_b32_e32 v46, v45, v46
	v_fma_mixlo_f16 v43, v26, v43, 0 op_sel:[0,1,0] op_sel_hi:[0,1,0]
	v_fma_mixlo_f16 v45, v26, v45, 0 op_sel:[0,1,0] op_sel_hi:[0,1,0]
	v_fma_mixlo_f16 v44, v26, v44, 0 op_sel_hi:[0,1,0]
	v_or_b32_e32 v48, v47, v48
	v_fma_mixlo_f16 v46, v26, v46, 0 op_sel_hi:[0,1,0]
	v_and_b32_e32 v97, 0xffff, v43
	v_and_b32_e32 v98, 0xffff, v45
	;; [unrolled: 1-line block ×3, first 2 shown]
	v_or_b32_e32 v50, v49, v50
	v_and_b32_e32 v99, 0xffff, v46
	v_fma_mixlo_f16 v47, v26, v47, 0 op_sel:[0,1,0] op_sel_hi:[0,1,0]
	v_fma_mixlo_f16 v49, v26, v49, 0 op_sel:[0,1,0] op_sel_hi:[0,1,0]
	v_fma_mixlo_f16 v48, v26, v48, 0 op_sel_hi:[0,1,0]
	v_fma_mixlo_f16 v50, v26, v50, 0 op_sel_hi:[0,1,0]
	v_or_b32_e32 v52, v51, v52
	v_and_b32_e32 v101, 0xffff, v47
	s_waitcnt lgkmcnt(0)
	v_and_b32_e32 v35, 0xffff, v87
	v_lshrrev_b32_e32 v36, 16, v87
	v_lshrrev_b32_e32 v92, 16, v88
	v_and_b32_e32 v88, 0xffff, v88
	;;#ASMSTART
	v_cvt_f32_f16 v35, v35;
	;;#ASMEND
	;;#ASMSTART
	v_cvt_f32_f16 v36, v36;
	;;#ASMEND
	;; [unrolled: 3-line block ×8, first 2 shown]
	ds_read_b64 v[91:92], v18 offset:24
	v_and_b32_e32 v102, 0xffff, v49
	v_and_b32_e32 v49, 0xffff, v48
	v_and_b32_e32 v103, 0xffff, v50
	v_or_b32_e32 v54, v53, v54
	v_fma_mixlo_f16 v51, v26, v51, 0 op_sel:[0,1,0] op_sel_hi:[0,1,0]
	v_fma_mixlo_f16 v53, v26, v53, 0 op_sel:[0,1,0] op_sel_hi:[0,1,0]
	v_fma_mixlo_f16 v52, v26, v52, 0 op_sel_hi:[0,1,0]
	v_or_b32_e32 v56, v55, v56
	v_fma_mixlo_f16 v54, v26, v54, 0 op_sel_hi:[0,1,0]
	v_and_b32_e32 v105, 0xffff, v51
	v_and_b32_e32 v106, 0xffff, v53
	;; [unrolled: 1-line block ×3, first 2 shown]
	v_or_b32_e32 v58, v57, v58
	v_and_b32_e32 v107, 0xffff, v54
	v_fma_mixlo_f16 v55, v26, v55, 0 op_sel:[0,1,0] op_sel_hi:[0,1,0]
	v_fma_mixlo_f16 v57, v26, v57, 0 op_sel:[0,1,0] op_sel_hi:[0,1,0]
	v_fma_mixlo_f16 v56, v26, v56, 0 op_sel_hi:[0,1,0]
	v_fma_mixlo_f16 v58, v26, v58, 0 op_sel_hi:[0,1,0]
	v_or_b32_e32 v60, v59, v60
	s_waitcnt lgkmcnt(0)
	v_and_b32_e32 v39, 0xffff, v91
	v_lshrrev_b32_e32 v40, 16, v91
	v_lshrrev_b32_e32 v96, 16, v92
	v_and_b32_e32 v92, 0xffff, v92
	;;#ASMSTART
	v_cvt_f32_f16 v39, v39;
	;;#ASMEND
	;;#ASMSTART
	v_cvt_f32_f16 v40, v40;
	;;#ASMEND
	;; [unrolled: 3-line block ×8, first 2 shown]
	ds_read_b64 v[95:96], v18 offset:32
	v_and_b32_e32 v109, 0xffff, v55
	v_and_b32_e32 v110, 0xffff, v57
	;; [unrolled: 1-line block ×4, first 2 shown]
	v_or_b32_e32 v62, v61, v62
	v_fma_mixlo_f16 v59, v26, v59, 0 op_sel:[0,1,0] op_sel_hi:[0,1,0]
	v_fma_mixlo_f16 v61, v26, v61, 0 op_sel:[0,1,0] op_sel_hi:[0,1,0]
	v_fma_mixlo_f16 v60, v26, v60, 0 op_sel_hi:[0,1,0]
	v_or_b32_e32 v64, v63, v64
	v_fma_mixlo_f16 v62, v26, v62, 0 op_sel_hi:[0,1,0]
	v_and_b32_e32 v59, 0xffff, v59
	v_and_b32_e32 v115, 0xffff, v61
	;; [unrolled: 1-line block ×3, first 2 shown]
	v_or_b32_e32 v66, v65, v66
	v_and_b32_e32 v114, 0xffff, v62
	v_fma_mixlo_f16 v63, v26, v63, 0 op_sel:[0,1,0] op_sel_hi:[0,1,0]
	v_fma_mixlo_f16 v65, v26, v65, 0 op_sel:[0,1,0] op_sel_hi:[0,1,0]
	v_fma_mixlo_f16 v64, v26, v64, 0 op_sel_hi:[0,1,0]
	v_fma_mixlo_f16 v66, v26, v66, 0 op_sel_hi:[0,1,0]
	s_waitcnt lgkmcnt(0)
	v_and_b32_e32 v43, 0xffff, v95
	v_lshrrev_b32_e32 v44, 16, v95
	v_lshrrev_b32_e32 v100, 16, v96
	v_and_b32_e32 v95, 0xffff, v96
	;;#ASMSTART
	v_cvt_f32_f16 v43, v43;
	;;#ASMEND
	;;#ASMSTART
	v_cvt_f32_f16 v44, v44;
	;;#ASMEND
	;;#ASMSTART
	v_cvt_f32_f16 v45, v45;
	;;#ASMEND
	;;#ASMSTART
	v_cvt_f32_f16 v46, v97;
	;;#ASMEND
	;;#ASMSTART
	v_cvt_f32_f16 v95, v95;
	;;#ASMEND
	;;#ASMSTART
	v_cvt_f32_f16 v96, v100;
	;;#ASMEND
	;;#ASMSTART
	v_cvt_f32_f16 v97, v99;
	;;#ASMEND
	;;#ASMSTART
	v_cvt_f32_f16 v98, v98;
	;;#ASMEND
	ds_read_b64 v[99:100], v18 offset:40
	v_and_b32_e32 v63, 0xffff, v63
	v_and_b32_e32 v120, 0xffff, v65
	;; [unrolled: 1-line block ×4, first 2 shown]
	v_or_b32_e32 v68, v67, v68
	v_or_b32_e32 v70, v69, v70
	v_fma_mixlo_f16 v67, v26, v67, 0 op_sel:[0,1,0] op_sel_hi:[0,1,0]
	v_fma_mixlo_f16 v69, v26, v69, 0 op_sel:[0,1,0] op_sel_hi:[0,1,0]
	v_or_b32_e32 v72, v71, v72
	v_or_b32_e32 v74, v73, v74
	v_fma_mixlo_f16 v68, v26, v68, 0 op_sel_hi:[0,1,0]
	v_fma_mixlo_f16 v70, v26, v70, 0 op_sel_hi:[0,1,0]
	v_or_b32_e32 v76, v75, v76
	v_fma_mixlo_f16 v71, v26, v71, 0 op_sel:[0,1,0] op_sel_hi:[0,1,0]
	v_and_b32_e32 v121, 0xffff, v67
	v_and_b32_e32 v124, 0xffff, v69
	v_fma_mixlo_f16 v67, v26, v72, 0 op_sel_hi:[0,1,0]
	v_fma_mixlo_f16 v72, v26, v74, 0 op_sel_hi:[0,1,0]
	v_and_b32_e32 v74, 0xffff, v68
	s_waitcnt lgkmcnt(0)
	v_and_b32_e32 v47, 0xffff, v99
	v_lshrrev_b32_e32 v48, 16, v99
	v_lshrrev_b32_e32 v104, 16, v100
	v_and_b32_e32 v99, 0xffff, v100
	;;#ASMSTART
	v_cvt_f32_f16 v47, v47;
	;;#ASMEND
	;;#ASMSTART
	v_cvt_f32_f16 v48, v48;
	;;#ASMEND
	;; [unrolled: 3-line block ×8, first 2 shown]
	ds_read_b64 v[103:104], v18 offset:48
	v_and_b32_e32 v123, 0xffff, v70
	v_fma_mixlo_f16 v69, v26, v76, 0 op_sel_hi:[0,1,0]
	v_mul_f32_e32 v33, v33, v83
	v_and_b32_e32 v125, 0xffff, v71
	v_mul_f32_e32 v34, v34, v84
	v_mul_f32_e32 v71, v85, v86
	;; [unrolled: 1-line block ×3, first 2 shown]
	v_fmac_f32_e32 v33, v1, v28
	v_fma_mixlo_f16 v73, v26, v73, 0 op_sel:[0,1,0] op_sel_hi:[0,1,0]
	v_fmac_f32_e32 v34, v7, v29
	v_fmac_f32_e32 v71, v30, v81
	;; [unrolled: 1-line block ×4, first 2 shown]
	v_and_b32_e32 v28, 0xffff, v67
	v_fmac_f32_e32 v34, v36, v87
	v_fmac_f32_e32 v71, v88, v89
	v_and_b32_e32 v27, 0xffff, v72
	v_fmac_f32_e32 v33, v39, v42
	v_and_b32_e32 v73, 0xffff, v73
	s_waitcnt lgkmcnt(0)
	v_and_b32_e32 v51, 0xffff, v103
	v_lshrrev_b32_e32 v52, 16, v103
	v_lshrrev_b32_e32 v108, 16, v104
	v_and_b32_e32 v103, 0xffff, v104
	;;#ASMSTART
	v_cvt_f32_f16 v51, v51;
	;;#ASMEND
	;;#ASMSTART
	v_cvt_f32_f16 v52, v52;
	;;#ASMEND
	;; [unrolled: 3-line block ×8, first 2 shown]
	ds_read_b64 v[107:108], v18 offset:56
	v_fmac_f32_e32 v34, v40, v91
	v_fmac_f32_e32 v71, v92, v94
	;; [unrolled: 1-line block ×4, first 2 shown]
	v_or_b32_e32 v78, v77, v78
	v_fmac_f32_e32 v34, v44, v46
	v_fmac_f32_e32 v71, v95, v97
	;; [unrolled: 1-line block ×4, first 2 shown]
	v_fma_mixlo_f16 v75, v26, v75, 0 op_sel:[0,1,0] op_sel_hi:[0,1,0]
	v_fmac_f32_e32 v34, v48, v50
	v_fmac_f32_e32 v71, v99, v101
	v_fmac_f32_e32 v33, v51, v53
	v_fmac_f32_e32 v31, v96, v98
	v_fma_mixlo_f16 v77, v26, v77, 0 op_sel:[0,1,0] op_sel_hi:[0,1,0]
	v_fmac_f32_e32 v34, v52, v54
	v_fmac_f32_e32 v71, v103, v105
	v_fma_mixlo_f16 v38, v26, v78, 0 op_sel_hi:[0,1,0]
	v_fmac_f32_e32 v31, v100, v102
	s_waitcnt lgkmcnt(0)
	v_and_b32_e32 v55, 0xffff, v107
	v_lshrrev_b32_e32 v56, 16, v107
	v_lshrrev_b32_e32 v112, 16, v108
	v_and_b32_e32 v107, 0xffff, v108
	;;#ASMSTART
	v_cvt_f32_f16 v55, v55;
	;;#ASMEND
	;;#ASMSTART
	v_cvt_f32_f16 v56, v56;
	;;#ASMEND
	;; [unrolled: 3-line block ×8, first 2 shown]
	ds_read_b64 v[111:112], v18 offset:64
	v_fmac_f32_e32 v33, v55, v57
	v_fmac_f32_e32 v34, v56, v58
	;; [unrolled: 1-line block ×4, first 2 shown]
	v_and_b32_e32 v42, 0xffff, v69
	v_and_b32_e32 v45, 0xffff, v38
	;; [unrolled: 1-line block ×3, first 2 shown]
	v_or_b32_e32 v80, v9, v80
	v_fmac_f32_e32 v31, v108, v110
	v_or_b32_e32 v47, v8, v79
	v_fma_mixlo_f16 v9, v26, v9, 0 op_sel:[0,1,0] op_sel_hi:[0,1,0]
	v_fma_mixlo_f16 v39, v26, v80, 0 op_sel_hi:[0,1,0]
	v_fma_mixlo_f16 v47, v26, v47, 0 op_sel_hi:[0,1,0]
	s_waitcnt lgkmcnt(0)
	v_and_b32_e32 v61, 0xffff, v111
	v_lshrrev_b32_e32 v111, 16, v111
	v_lshrrev_b32_e32 v116, 16, v112
	v_and_b32_e32 v113, 0xffff, v112
	;;#ASMSTART
	v_cvt_f32_f16 v61, v61;
	;;#ASMEND
	;;#ASMSTART
	v_cvt_f32_f16 v62, v111;
	;;#ASMEND
	;;#ASMSTART
	v_cvt_f32_f16 v111, v60;
	;;#ASMEND
	;;#ASMSTART
	v_cvt_f32_f16 v112, v59;
	;;#ASMEND
	;;#ASMSTART
	v_cvt_f32_f16 v113, v113;
	;;#ASMEND
	;;#ASMSTART
	v_cvt_f32_f16 v59, v116;
	;;#ASMEND
	;;#ASMSTART
	v_cvt_f32_f16 v114, v114;
	;;#ASMEND
	;;#ASMSTART
	v_cvt_f32_f16 v60, v115;
	;;#ASMEND
	ds_read_b64 v[115:116], v18 offset:72
	v_fmac_f32_e32 v33, v61, v111
	v_fmac_f32_e32 v34, v62, v112
	v_fmac_f32_e32 v71, v113, v114
	v_fmac_f32_e32 v31, v59, v60
	s_waitcnt lgkmcnt(0)
	v_and_b32_e32 v65, 0xffff, v115
	v_lshrrev_b32_e32 v115, 16, v115
	v_lshrrev_b32_e32 v118, 16, v116
	v_and_b32_e32 v117, 0xffff, v116
	;;#ASMSTART
	v_cvt_f32_f16 v65, v65;
	;;#ASMEND
	;;#ASMSTART
	v_cvt_f32_f16 v66, v115;
	;;#ASMEND
	;;#ASMSTART
	v_cvt_f32_f16 v115, v64;
	;;#ASMEND
	;;#ASMSTART
	v_cvt_f32_f16 v116, v63;
	;;#ASMEND
	;;#ASMSTART
	v_cvt_f32_f16 v117, v117;
	;;#ASMEND
	;;#ASMSTART
	v_cvt_f32_f16 v118, v118;
	;;#ASMEND
	;;#ASMSTART
	v_cvt_f32_f16 v119, v119;
	;;#ASMEND
	;;#ASMSTART
	v_cvt_f32_f16 v120, v120;
	;;#ASMEND
	ds_read_b64 v[63:64], v18 offset:80
	v_fmac_f32_e32 v33, v65, v115
	v_fmac_f32_e32 v34, v66, v116
	v_fmac_f32_e32 v71, v117, v119
	v_fmac_f32_e32 v31, v118, v120
	;; [unrolled: 34-line block ×3, first 2 shown]
	s_waitcnt lgkmcnt(0)
	v_and_b32_e32 v1, 0xffff, v63
	v_lshrrev_b32_e32 v7, 16, v63
	v_lshrrev_b32_e32 v35, 16, v64
	v_and_b32_e32 v32, 0xffff, v64
	;;#ASMSTART
	v_cvt_f32_f16 v1, v1;
	;;#ASMEND
	;;#ASMSTART
	v_cvt_f32_f16 v7, v7;
	;;#ASMEND
	;; [unrolled: 3-line block ×8, first 2 shown]
	ds_read_b64 v[27:28], v18 offset:96
	v_fmac_f32_e32 v33, v1, v29
	v_fmac_f32_e32 v34, v7, v30
	;; [unrolled: 1-line block ×3, first 2 shown]
	v_fma_mixlo_f16 v1, v26, v8, 0 op_sel:[0,1,0] op_sel_hi:[0,1,0]
	v_and_b32_e32 v26, 0xffff, v39
	v_fmac_f32_e32 v31, v35, v37
	v_and_b32_e32 v29, 0xffff, v47
	s_waitcnt lgkmcnt(0)
	v_and_b32_e32 v40, 0xffff, v27
	v_lshrrev_b32_e32 v27, 16, v27
	;;#ASMSTART
	v_cvt_f32_f16 v40, v40;
	;;#ASMEND
	;;#ASMSTART
	v_cvt_f32_f16 v41, v27;
	;;#ASMEND
	v_and_b32_e32 v27, 0xffff, v75
	v_and_b32_e32 v43, 0xffff, v28
	v_lshrrev_b32_e32 v28, 16, v28
	;;#ASMSTART
	v_cvt_f32_f16 v42, v42;
	;;#ASMEND
	;;#ASMSTART
	v_cvt_f32_f16 v38, v27;
	;;#ASMEND
	;; [unrolled: 3-line block ×6, first 2 shown]
	ds_read_b64 v[27:28], v18 offset:104
	v_fmac_f32_e32 v33, v40, v42
	v_fmac_f32_e32 v34, v41, v38
	;; [unrolled: 1-line block ×4, first 2 shown]
	s_waitcnt lgkmcnt(0)
	v_and_b32_e32 v7, 0xffff, v27
	v_lshrrev_b32_e32 v8, 16, v27
	v_and_b32_e32 v27, 0xffff, v9
	;;#ASMSTART
	v_cvt_f32_f16 v7, v7;
	;;#ASMEND
	;;#ASMSTART
	v_cvt_f32_f16 v8, v8;
	;;#ASMEND
	;; [unrolled: 3-line block ×4, first 2 shown]
	v_and_b32_e32 v27, 0xffff, v28
	v_fmac_f32_e32 v33, v7, v9
	;;#ASMSTART
	v_cvt_f32_f16 v7, v27;
	;;#ASMEND
	v_lshrrev_b32_e32 v28, 16, v28
	v_fmac_f32_e32 v34, v8, v26
	;;#ASMSTART
	v_cvt_f32_f16 v8, v28;
	;;#ASMEND
	;;#ASMSTART
	v_cvt_f32_f16 v9, v29;
	;;#ASMEND
	v_fmac_f32_e32 v71, v7, v9
	v_xor_b32_e32 v7, 1, v15
	v_and_b32_e32 v26, 0xffff, v1
	v_add_f32_e32 v1, v33, v34
	;;#ASMSTART
	v_cvt_f32_f16 v9, v26;
	;;#ASMEND
	v_fmac_f32_e32 v31, v8, v9
	v_cmp_gt_i32_e64 s2, 32, v7
	v_add_f32_e32 v1, v1, v71
	v_cndmask_b32_e64 v7, v15, v7, s2
	v_add_f32_e32 v1, v31, v1
	v_lshlrev_b32_e32 v7, 2, v7
	ds_bpermute_b32 v7, v7, v1
	s_and_saveexec_b32 s3, vcc_lo
	s_cbranch_execz .LBB267_8
; %bb.458:                              ;   in Loop: Header=BB267_9 Depth=1
	v_add_nc_u32_e32 v8, s4, v19
	s_waitcnt lgkmcnt(0)
	v_add_f32_e32 v1, v1, v7
	v_cmp_gt_i32_e64 s2, s11, v19
	v_cvt_f32_i32_e32 v8, v8
	v_mul_f32_e32 v8, s28, v8
	v_cndmask_b32_e64 v7, 0, v8, s1
	v_max_f32_e32 v8, v17, v17
	v_fmac_f32_e32 v7, s29, v1
	v_max_f32_e32 v1, v8, v7
	v_cndmask_b32_e64 v7, 0, v7, s2
	v_cndmask_b32_e64 v17, v17, v1, s2
	ds_write_b32 v20, v7
	s_branch .LBB267_8
.LBB267_459:
	s_or_b32 exec_lo, exec_lo, s5
.LBB267_460:
	s_or_b32 exec_lo, exec_lo, s19
	v_xor_b32_e32 v1, 16, v15
	v_xor_b32_e32 v4, 8, v15
	v_max_f32_e32 v5, v17, v17
	v_xor_b32_e32 v6, 4, v15
	v_cmp_lt_i32_e32 vcc_lo, v1, v16
	v_cndmask_b32_e32 v1, v15, v1, vcc_lo
	v_cmp_lt_i32_e32 vcc_lo, v4, v16
	v_lshlrev_b32_e32 v3, 2, v1
	v_cndmask_b32_e32 v4, v15, v4, vcc_lo
	v_cmp_lt_i32_e32 vcc_lo, v6, v16
	ds_bpermute_b32 v1, v3, v17
	v_lshlrev_b32_e32 v4, 2, v4
	v_cndmask_b32_e32 v6, v15, v6, vcc_lo
	v_and_b32_e32 v17, 31, v0
	s_waitcnt lgkmcnt(0)
	v_max_f32_e32 v1, v1, v1
	v_max_f32_e32 v1, v5, v1
	ds_bpermute_b32 v5, v4, v1
	s_waitcnt lgkmcnt(0)
	v_max_f32_e32 v7, v5, v5
	v_lshlrev_b32_e32 v5, 2, v6
	v_max_f32_e32 v1, v1, v7
	v_xor_b32_e32 v7, 2, v15
	ds_bpermute_b32 v6, v5, v1
	v_cmp_lt_i32_e32 vcc_lo, v7, v16
	v_cndmask_b32_e32 v8, v15, v7, vcc_lo
	v_cmp_eq_u32_e32 vcc_lo, 0, v17
	s_waitcnt lgkmcnt(0)
	v_max_f32_e32 v6, v6, v6
	v_max_f32_e32 v7, v1, v6
	v_lshlrev_b32_e32 v1, 2, v8
	v_lshlrev_b32_e32 v6, 2, v13
	ds_bpermute_b32 v8, v1, v7
	s_and_saveexec_b32 s1, vcc_lo
	s_cbranch_execz .LBB267_462
; %bb.461:
	s_waitcnt lgkmcnt(0)
	v_max_f32_e32 v8, v8, v8
	v_max_f32_e32 v7, v7, v7
	;; [unrolled: 1-line block ×3, first 2 shown]
	ds_write_b32 v6, v7 offset:224
.LBB267_462:
	s_or_b32 exec_lo, exec_lo, s1
	v_cmp_gt_u32_e64 s1, 4, v17
	s_waitcnt lgkmcnt(0)
	v_mov_b32_e32 v8, 0xff7fffff
	v_lshlrev_b32_e32 v7, 2, v17
	s_barrier
	buffer_gl0_inv
	s_and_saveexec_b32 s2, s1
; %bb.463:
	ds_read_b32 v8, v7 offset:224
; %bb.464:
	s_or_b32 exec_lo, exec_lo, s2
	s_waitcnt lgkmcnt(0)
	ds_bpermute_b32 v9, v1, v8
	v_xor_b32_e32 v18, 1, v15
	v_max_f32_e32 v8, v8, v8
	v_lshlrev_b32_e32 v2, 2, v2
	v_cmp_lt_i32_e64 s2, v18, v16
	v_cndmask_b32_e64 v16, v15, v18, s2
	s_lshl_b32 s2, s16, 4
	s_min_i32 s4, s2, s11
	v_lshlrev_b32_e32 v16, 2, v16
	v_cmp_gt_i32_e64 s2, s4, v0
	s_waitcnt lgkmcnt(0)
	v_max_f32_e32 v9, v9, v9
	v_max_f32_e32 v8, v8, v9
	ds_bpermute_b32 v9, v16, v8
	s_waitcnt lgkmcnt(0)
	v_max_f32_e32 v9, v9, v9
	v_max_f32_e32 v8, v8, v9
	ds_bpermute_b32 v9, v2, v8
	v_mov_b32_e32 v8, 0
	v_lshl_add_u32 v2, v0, 2, 0x100
	s_and_saveexec_b32 s5, s2
	s_cbranch_execz .LBB267_468
; %bb.465:
	v_lshl_add_u32 v18, v0, 2, 0x100
	v_mov_b32_e32 v8, 0
	v_mov_b32_e32 v19, v0
	s_mov_b32 s12, 0
	.p2align	6
.LBB267_466:                            ; =>This Inner Loop Header: Depth=1
	ds_read_b32 v20, v18
	v_add_nc_u32_e32 v19, 0x80, v19
	v_cmp_le_i32_e64 s3, s4, v19
	s_or_b32 s12, s3, s12
	s_waitcnt lgkmcnt(0)
	v_sub_f32_e32 v20, v20, v9
	v_mul_f32_e32 v20, 0x3fb8aa3b, v20
	v_exp_f32_e32 v20, v20
	ds_write_b32 v18, v20
	v_add_f32_e32 v8, v8, v20
	v_add_nc_u32_e32 v18, 0x200, v18
	s_andn2_b32 exec_lo, exec_lo, s12
	s_cbranch_execnz .LBB267_466
; %bb.467:
	s_or_b32 exec_lo, exec_lo, s12
.LBB267_468:
	s_or_b32 exec_lo, exec_lo, s5
	ds_bpermute_b32 v3, v3, v8
	s_waitcnt lgkmcnt(0)
	v_add_f32_e32 v3, v8, v3
	ds_bpermute_b32 v4, v4, v3
	s_waitcnt lgkmcnt(0)
	v_add_f32_e32 v3, v3, v4
	ds_bpermute_b32 v4, v5, v3
	s_waitcnt lgkmcnt(0)
	v_add_f32_e32 v3, v3, v4
	ds_bpermute_b32 v4, v1, v3
	s_waitcnt lgkmcnt(0)
	v_add_f32_e32 v3, v3, v4
	ds_bpermute_b32 v4, v16, v3
	s_waitcnt lgkmcnt(0)
	v_add_f32_e32 v3, v3, v4
	s_and_saveexec_b32 s3, vcc_lo
; %bb.469:
	ds_write_b32 v6, v3 offset:240
; %bb.470:
	s_or_b32 exec_lo, exec_lo, s3
	s_waitcnt lgkmcnt(0)
	s_barrier
	buffer_gl0_inv
	s_and_saveexec_b32 s3, s1
; %bb.471:
	ds_read_b32 v3, v7 offset:240
; %bb.472:
	s_or_b32 exec_lo, exec_lo, s3
	s_waitcnt lgkmcnt(0)
	ds_bpermute_b32 v1, v1, v3
	v_lshlrev_b32_e32 v4, 2, v15
	s_waitcnt lgkmcnt(0)
	v_add_f32_e32 v1, v3, v1
	ds_bpermute_b32 v3, v16, v1
	s_waitcnt lgkmcnt(0)
	v_add_f32_e32 v1, v1, v3
	v_and_b32_e32 v3, 0xffffff80, v4
	ds_bpermute_b32 v1, v3, v1
	s_and_saveexec_b32 s1, s2
	s_cbranch_execz .LBB267_475
; %bb.473:
	s_waitcnt lgkmcnt(0)
	v_add_f32_e32 v1, 0x358637bd, v1
	s_mov_b32 s2, 0
	v_div_scale_f32 v3, null, v1, v1, 1.0
	v_div_scale_f32 v6, vcc_lo, 1.0, v1, 1.0
	v_rcp_f32_e32 v4, v3
	v_fma_f32 v5, -v3, v4, 1.0
	v_fmac_f32_e32 v4, v5, v4
	v_mul_f32_e32 v5, v6, v4
	v_fma_f32 v7, -v3, v5, v6
	v_fmac_f32_e32 v5, v7, v4
	v_fma_f32 v3, -v3, v5, v6
	v_div_fmas_f32 v3, v3, v4, v5
	v_div_fixup_f32 v1, v3, v1, 1.0
	v_mov_b32_e32 v3, v0
.LBB267_474:                            ; =>This Inner Loop Header: Depth=1
	ds_read_b32 v4, v2
	v_add_nc_u32_e32 v3, 0x80, v3
	v_cmp_le_i32_e32 vcc_lo, s4, v3
	s_or_b32 s2, vcc_lo, s2
	s_waitcnt lgkmcnt(0)
	v_mul_f32_e32 v4, v1, v4
	ds_write_b32 v2, v4
	v_add_nc_u32_e32 v2, 0x200, v2
	s_andn2_b32 exec_lo, exec_lo, s2
	s_cbranch_execnz .LBB267_474
.LBB267_475:
	s_or_b32 exec_lo, exec_lo, s1
	v_mov_b32_e32 v22, 0
	v_mov_b32_e32 v23, 0
	;; [unrolled: 1-line block ×7, first 2 shown]
	s_waitcnt lgkmcnt(0)
	s_barrier
	buffer_gl0_inv
	s_and_saveexec_b32 s1, s0
	s_cbranch_execz .LBB267_941
; %bb.476:
	v_lshlrev_b32_e32 v3, 5, v12
	v_and_b32_e32 v4, 0xf8, v10
	v_and_b32_e32 v1, 8, v10
	v_lshlrev_b32_e32 v5, 4, v13
	s_ashr_i32 s0, s18, 31
	s_add_u32 s2, s26, s18
	s_addc_u32 s0, s27, s0
	v_lshl_or_b32 v6, v13, 6, v3
	v_add_co_u32 v3, s2, s2, v4
	v_or3_b32 v24, v5, v1, 7
	v_and_b32_e32 v1, 0x7c, v14
	v_add_co_ci_u32_e64 v4, null, s0, 0, s2
	s_lshl_b64 s[2:3], s[24:25], 2
	s_add_i32 s5, s16, -1
	s_add_u32 s0, s22, s2
	s_addc_u32 s2, s23, s3
	v_add_co_u32 v5, s0, s0, v1
	v_mov_b32_e32 v2, 0
	v_add_nc_u32_e32 v14, 0x100, v6
	v_add_co_ci_u32_e64 v6, null, s2, 0, s0
	v_mov_b32_e32 v25, 0x80
	v_mov_b32_e32 v26, 0x7f
	;; [unrolled: 1-line block ×12, first 2 shown]
	s_mov_b32 s2, -1
	s_mov_b32 s4, s17
	s_mov_b32 s3, 0xffffff
	s_mov_b32 s12, 0
	s_branch .LBB267_478
.LBB267_477:                            ;   in Loop: Header=BB267_478 Depth=1
	s_or_b32 exec_lo, exec_lo, s0
	v_add_f32_e32 v9, v9, v10
	v_add_f32_e32 v10, v49, v50
	v_add_nc_u32_e32 v29, 4, v29
	v_add_f32_e32 v30, v47, v48
	v_add_co_u32 v5, s0, v5, 16
	v_add_f32_e32 v18, v18, v9
	;;#ASMSTART
	v_pk_mul_f16 v9, v41, v51;

	;;#ASMEND
	;;#ASMSTART
	v_pk_mul_f16 v1, v39, v1;

	;;#ASMEND
	;; [unrolled: 4-line block ×4, first 2 shown]
	;;#ASMSTART
	v_pk_add_f16 v1, v9, v1;

	;;#ASMEND
	;;#ASMSTART
	v_pk_add_f16 v1, v1, v8;

	;;#ASMEND
	;;#ASMSTART
	v_pk_add_f16 v1, v1, v7;

	;;#ASMEND
	v_and_b32_e32 v9, 0xffff, v1
	v_add_f32_e32 v19, v19, v10
	v_lshrrev_b32_e32 v10, 16, v1
	;;#ASMSTART
	v_cvt_f32_f16 v9, v9;
	;;#ASMEND
	v_add_f32_e32 v1, v45, v46
	v_add_f32_e32 v7, v43, v44
	;; [unrolled: 1-line block ×3, first 2 shown]
	;;#ASMSTART
	v_cvt_f32_f16 v10, v10;
	;;#ASMEND
	v_add_f32_e32 v9, v9, v10
	v_cmp_le_i32_e32 vcc_lo, s16, v29
	v_add_f32_e32 v20, v20, v30
	v_add_f32_e32 v21, v21, v1
	;; [unrolled: 1-line block ×5, first 2 shown]
	v_add_nc_u32_e32 v24, 64, v24
	v_add_nc_u32_e32 v14, 0x100, v14
	v_add_co_ci_u32_e64 v6, null, 0, v6, s0
	s_or_b32 s12, vcc_lo, s12
	s_andn2_b32 exec_lo, exec_lo, s12
	s_cbranch_execz .LBB267_940
.LBB267_478:                            ; =>This Inner Loop Header: Depth=1
	global_load_dword v1, v[5:6], off
	ds_read2_b64 v[30:33], v14 offset1:1
	ds_read2_b64 v[43:46], v14 offset0:2 offset1:3
	s_waitcnt lgkmcnt(1)
	;;#ASMSTART
	v_cvt_f16_f32 v37, v30;

	;;#ASMEND
	;;#ASMSTART
	v_cvt_f16_f32 v38, v31;

	;;#ASMEND
	;; [unrolled: 4-line block ×4, first 2 shown]
	s_waitcnt lgkmcnt(0)
	;;#ASMSTART
	v_cvt_f16_f32 v43, v43;

	;;#ASMEND
	;;#ASMSTART
	v_cvt_f16_f32 v40, v44;

	;;#ASMEND
	;; [unrolled: 4-line block ×4, first 2 shown]
	v_mov_b32_e32 v32, 0
	s_waitcnt vmcnt(0)
	v_mad_i64_i32 v[7:8], null, v1, s4, v[3:4]
	global_load_dwordx2 v[9:10], v[7:8], off
	global_load_dword v31, v2, s[14:15]
	s_waitcnt vmcnt(1)
	v_cmp_ne_u16_sdwa s13, v9, v2 src0_sel:BYTE_0 src1_sel:DWORD
	s_and_saveexec_b32 s0, s13
	s_cbranch_execz .LBB267_486
; %bb.479:                              ;   in Loop: Header=BB267_478 Depth=1
	v_cmp_ne_u16_sdwa s17, v9, v25 src0_sel:BYTE_0 src1_sel:DWORD
	v_mov_b32_e32 v32, 0x8000
	s_and_saveexec_b32 s13, s17
	s_cbranch_execz .LBB267_485
; %bb.480:                              ;   in Loop: Header=BB267_478 Depth=1
	v_and_b32_e32 v33, 0x7f, v9
	v_mov_b32_e32 v32, 0x7c01
	s_mov_b32 s17, exec_lo
	v_cmpx_ne_u32_e32 0x7f, v33
	s_cbranch_execz .LBB267_484
; %bb.481:                              ;   in Loop: Header=BB267_478 Depth=1
	v_and_b32_e32 v1, 7, v9
	v_lshrrev_b32_e32 v30, 3, v33
	s_mov_b32 s18, exec_lo
	v_cmpx_gt_u32_e32 8, v33
; %bb.482:                              ;   in Loop: Header=BB267_478 Depth=1
	v_ffbh_u32_e32 v1, v1
	v_min_u32_e32 v1, 32, v1
	v_subrev_nc_u32_e32 v30, 28, v1
	v_lshlrev_b64 v[32:33], v30, v[9:10]
	v_sub_nc_u32_e32 v30, 29, v1
	v_and_b32_e32 v1, 7, v32
; %bb.483:                              ;   in Loop: Header=BB267_478 Depth=1
	s_or_b32 exec_lo, exec_lo, s18
	v_lshlrev_b32_e32 v32, 8, v9
	v_lshl_add_u32 v30, v30, 10, 0x2000
	v_lshlrev_b32_e32 v1, 7, v1
	v_and_b32_e32 v32, 0x8000, v32
	v_and_b32_e32 v30, 0xfc00, v30
	v_or3_b32 v32, v32, v30, v1
.LBB267_484:                            ;   in Loop: Header=BB267_478 Depth=1
	s_or_b32 exec_lo, exec_lo, s17
.LBB267_485:                            ;   in Loop: Header=BB267_478 Depth=1
	s_or_b32 exec_lo, exec_lo, s13
.LBB267_486:                            ;   in Loop: Header=BB267_478 Depth=1
	s_or_b32 exec_lo, exec_lo, s0
	v_lshrrev_b16 v1, 8, v9
	v_mov_b32_e32 v30, 0
	v_mov_b32_e32 v33, 0
	s_mov_b32 s0, exec_lo
	v_cmpx_ne_u16_e32 0, v1
	s_cbranch_execz .LBB267_494
; %bb.487:                              ;   in Loop: Header=BB267_478 Depth=1
	v_bfrev_b32_e32 v33, 1
	s_mov_b32 s13, exec_lo
	v_cmpx_ne_u16_e32 0x80, v1
	s_cbranch_execz .LBB267_493
; %bb.488:                              ;   in Loop: Header=BB267_478 Depth=1
	v_and_b32_sdwa v35, v1, v26 dst_sel:DWORD dst_unused:UNUSED_PAD src0_sel:WORD_0 src1_sel:DWORD
	v_mov_b32_e32 v33, 0x7c010000
	s_mov_b32 s17, exec_lo
	v_cmpx_ne_u32_e32 0x7f, v35
	s_cbranch_execz .LBB267_492
; %bb.489:                              ;   in Loop: Header=BB267_478 Depth=1
	v_and_b32_sdwa v33, v1, v27 dst_sel:DWORD dst_unused:UNUSED_PAD src0_sel:WORD_0 src1_sel:DWORD
	v_lshrrev_b32_e32 v34, 3, v35
	s_mov_b32 s18, exec_lo
	v_cmpx_gt_u32_e32 8, v35
; %bb.490:                              ;   in Loop: Header=BB267_478 Depth=1
	v_ffbh_u32_e32 v33, v33
	v_min_u32_e32 v35, 32, v33
	v_subrev_nc_u32_e32 v33, 28, v35
	v_lshlrev_b64 v[33:34], v33, v[1:2]
	v_sub_nc_u32_e32 v34, 29, v35
	v_and_b32_e32 v33, 7, v33
; %bb.491:                              ;   in Loop: Header=BB267_478 Depth=1
	s_or_b32 exec_lo, exec_lo, s18
	v_lshlrev_b32_sdwa v1, v28, v1 dst_sel:DWORD dst_unused:UNUSED_PAD src0_sel:DWORD src1_sel:WORD_0
	v_lshl_add_u32 v34, v34, 10, 0x2000
	v_lshlrev_b32_e32 v33, 23, v33
	v_and_or_b32 v1, 0x8000, v1, v34
	v_lshl_or_b32 v33, v1, 16, v33
.LBB267_492:                            ;   in Loop: Header=BB267_478 Depth=1
	s_or_b32 exec_lo, exec_lo, s17
.LBB267_493:                            ;   in Loop: Header=BB267_478 Depth=1
	s_or_b32 exec_lo, exec_lo, s13
.LBB267_494:                            ;   in Loop: Header=BB267_478 Depth=1
	s_or_b32 exec_lo, exec_lo, s0
	v_lshrrev_b32_e32 v1, 16, v9
	v_cmp_ne_u16_sdwa s13, v1, v2 src0_sel:BYTE_0 src1_sel:DWORD
	s_and_saveexec_b32 s0, s13
	s_cbranch_execz .LBB267_502
; %bb.495:                              ;   in Loop: Header=BB267_478 Depth=1
	v_cmp_ne_u16_sdwa s17, v1, v25 src0_sel:BYTE_0 src1_sel:DWORD
	v_mov_b32_e32 v30, 0x8000
	s_and_saveexec_b32 s13, s17
	s_cbranch_execz .LBB267_501
; %bb.496:                              ;   in Loop: Header=BB267_478 Depth=1
	v_bfe_u32 v35, v9, 16, 7
	v_mov_b32_e32 v30, 0x7c01
	s_mov_b32 s17, exec_lo
	v_cmpx_ne_u32_e32 0x7f, v35
	s_cbranch_execz .LBB267_500
; %bb.497:                              ;   in Loop: Header=BB267_478 Depth=1
	v_and_b32_e32 v30, 7, v1
	v_lshrrev_b32_e32 v34, 3, v35
	s_mov_b32 s18, exec_lo
	v_cmpx_gt_u32_e32 8, v35
; %bb.498:                              ;   in Loop: Header=BB267_478 Depth=1
	v_ffbh_u32_e32 v30, v30
	v_min_u32_e32 v30, 32, v30
	v_subrev_nc_u32_e32 v34, 28, v30
	v_lshlrev_b64 v[35:36], v34, v[1:2]
	v_sub_nc_u32_e32 v34, 29, v30
	v_and_b32_e32 v30, 7, v35
; %bb.499:                              ;   in Loop: Header=BB267_478 Depth=1
	s_or_b32 exec_lo, exec_lo, s18
	v_lshlrev_b32_e32 v1, 8, v1
	v_lshl_add_u32 v34, v34, 10, 0x2000
	v_lshlrev_b32_e32 v30, 7, v30
	v_and_b32_e32 v1, 0x8000, v1
	v_and_b32_e32 v34, 0xfc00, v34
	v_or3_b32 v30, v1, v34, v30
.LBB267_500:                            ;   in Loop: Header=BB267_478 Depth=1
	s_or_b32 exec_lo, exec_lo, s17
.LBB267_501:                            ;   in Loop: Header=BB267_478 Depth=1
	s_or_b32 exec_lo, exec_lo, s13
.LBB267_502:                            ;   in Loop: Header=BB267_478 Depth=1
	s_or_b32 exec_lo, exec_lo, s0
	v_mov_b32_e32 v34, 0
	v_mov_b32_e32 v35, 0
	s_mov_b32 s0, exec_lo
	v_cmpx_lt_u32_e32 0xffffff, v9
	s_cbranch_execz .LBB267_510
; %bb.503:                              ;   in Loop: Header=BB267_478 Depth=1
	v_lshrrev_b32_e32 v1, 24, v9
	v_bfrev_b32_e32 v35, 1
	s_mov_b32 s13, exec_lo
	v_cmpx_ne_u32_e32 0x80, v1
	s_cbranch_execz .LBB267_509
; %bb.504:                              ;   in Loop: Header=BB267_478 Depth=1
	v_and_b32_e32 v45, 0x7f, v1
	v_mov_b32_e32 v35, 0x7c010000
	s_mov_b32 s17, exec_lo
	v_cmpx_ne_u32_e32 0x7f, v45
	s_cbranch_execz .LBB267_508
; %bb.505:                              ;   in Loop: Header=BB267_478 Depth=1
	v_and_b32_e32 v35, 7, v1
	v_lshrrev_b32_e32 v36, 3, v45
	s_mov_b32 s18, exec_lo
	v_cmpx_gt_u32_e32 8, v45
; %bb.506:                              ;   in Loop: Header=BB267_478 Depth=1
	v_ffbh_u32_e32 v35, v35
	v_min_u32_e32 v45, 32, v35
	v_subrev_nc_u32_e32 v35, 28, v45
	v_lshlrev_b64 v[35:36], v35, v[1:2]
	v_sub_nc_u32_e32 v36, 29, v45
	v_and_b32_e32 v35, 7, v35
; %bb.507:                              ;   in Loop: Header=BB267_478 Depth=1
	s_or_b32 exec_lo, exec_lo, s18
	v_lshlrev_b32_e32 v1, 8, v1
	v_lshl_add_u32 v36, v36, 10, 0x2000
	v_lshlrev_b32_e32 v35, 23, v35
	v_and_or_b32 v1, 0x8000, v1, v36
	v_lshl_or_b32 v35, v1, 16, v35
.LBB267_508:                            ;   in Loop: Header=BB267_478 Depth=1
	s_or_b32 exec_lo, exec_lo, s17
.LBB267_509:                            ;   in Loop: Header=BB267_478 Depth=1
	s_or_b32 exec_lo, exec_lo, s13
.LBB267_510:                            ;   in Loop: Header=BB267_478 Depth=1
	s_or_b32 exec_lo, exec_lo, s0
	v_mov_b32_e32 v1, v10
	v_cmp_ne_u16_sdwa s13, v10, v2 src0_sel:BYTE_0 src1_sel:DWORD
	s_and_saveexec_b32 s0, s13
	s_cbranch_execz .LBB267_518
; %bb.511:                              ;   in Loop: Header=BB267_478 Depth=1
	v_cmp_ne_u16_sdwa s17, v10, v25 src0_sel:BYTE_0 src1_sel:DWORD
	v_mov_b32_e32 v34, 0x8000
	s_and_saveexec_b32 s13, s17
	s_cbranch_execz .LBB267_517
; %bb.512:                              ;   in Loop: Header=BB267_478 Depth=1
	v_and_b32_e32 v45, 0x7f, v10
	v_mov_b32_e32 v34, 0x7c01
	s_mov_b32 s17, exec_lo
	v_cmpx_ne_u32_e32 0x7f, v45
	s_cbranch_execz .LBB267_516
; %bb.513:                              ;   in Loop: Header=BB267_478 Depth=1
	v_and_b32_e32 v34, 7, v10
	v_lshrrev_b32_e32 v36, 3, v45
	s_mov_b32 s18, exec_lo
	v_cmpx_gt_u32_e32 8, v45
; %bb.514:                              ;   in Loop: Header=BB267_478 Depth=1
	v_ffbh_u32_e32 v34, v34
	v_min_u32_e32 v34, 32, v34
	v_subrev_nc_u32_e32 v36, 28, v34
	v_lshlrev_b64 v[45:46], v36, v[1:2]
	v_sub_nc_u32_e32 v36, 29, v34
	v_and_b32_e32 v34, 7, v45
; %bb.515:                              ;   in Loop: Header=BB267_478 Depth=1
	s_or_b32 exec_lo, exec_lo, s18
	v_lshlrev_b32_e32 v45, 8, v10
	v_lshl_add_u32 v36, v36, 10, 0x2000
	v_lshlrev_b32_e32 v34, 7, v34
	v_and_b32_e32 v45, 0x8000, v45
	v_and_b32_e32 v36, 0xfc00, v36
	v_or3_b32 v34, v45, v36, v34
.LBB267_516:                            ;   in Loop: Header=BB267_478 Depth=1
	s_or_b32 exec_lo, exec_lo, s17
.LBB267_517:                            ;   in Loop: Header=BB267_478 Depth=1
	s_or_b32 exec_lo, exec_lo, s13
.LBB267_518:                            ;   in Loop: Header=BB267_478 Depth=1
	s_or_b32 exec_lo, exec_lo, s0
	v_lshrrev_b16 v1, 8, v1
	v_mov_b32_e32 v45, 0
	v_mov_b32_e32 v36, 0
	s_mov_b32 s0, exec_lo
	v_cmpx_ne_u16_e32 0, v1
	s_cbranch_execz .LBB267_526
; %bb.519:                              ;   in Loop: Header=BB267_478 Depth=1
	v_bfrev_b32_e32 v36, 1
	s_mov_b32 s13, exec_lo
	v_cmpx_ne_u16_e32 0x80, v1
	s_cbranch_execz .LBB267_525
; %bb.520:                              ;   in Loop: Header=BB267_478 Depth=1
	v_and_b32_sdwa v47, v1, v26 dst_sel:DWORD dst_unused:UNUSED_PAD src0_sel:WORD_0 src1_sel:DWORD
	v_mov_b32_e32 v36, 0x7c010000
	s_mov_b32 s17, exec_lo
	v_cmpx_ne_u32_e32 0x7f, v47
	s_cbranch_execz .LBB267_524
; %bb.521:                              ;   in Loop: Header=BB267_478 Depth=1
	v_and_b32_sdwa v36, v1, v27 dst_sel:DWORD dst_unused:UNUSED_PAD src0_sel:WORD_0 src1_sel:DWORD
	v_lshrrev_b32_e32 v46, 3, v47
	s_mov_b32 s18, exec_lo
	v_cmpx_gt_u32_e32 8, v47
; %bb.522:                              ;   in Loop: Header=BB267_478 Depth=1
	v_ffbh_u32_e32 v36, v36
	v_min_u32_e32 v36, 32, v36
	v_subrev_nc_u32_e32 v46, 28, v36
	v_lshlrev_b64 v[47:48], v46, v[1:2]
	v_sub_nc_u32_e32 v46, 29, v36
	v_and_b32_e32 v36, 7, v47
; %bb.523:                              ;   in Loop: Header=BB267_478 Depth=1
	s_or_b32 exec_lo, exec_lo, s18
	v_lshlrev_b32_sdwa v1, v28, v1 dst_sel:DWORD dst_unused:UNUSED_PAD src0_sel:DWORD src1_sel:WORD_0
	v_lshl_add_u32 v46, v46, 10, 0x2000
	v_lshlrev_b32_e32 v36, 23, v36
	v_and_or_b32 v1, 0x8000, v1, v46
	v_lshl_or_b32 v36, v1, 16, v36
.LBB267_524:                            ;   in Loop: Header=BB267_478 Depth=1
	s_or_b32 exec_lo, exec_lo, s17
.LBB267_525:                            ;   in Loop: Header=BB267_478 Depth=1
	s_or_b32 exec_lo, exec_lo, s13
.LBB267_526:                            ;   in Loop: Header=BB267_478 Depth=1
	s_or_b32 exec_lo, exec_lo, s0
	v_lshrrev_b32_e32 v1, 16, v10
	v_cmp_ne_u16_sdwa s13, v1, v2 src0_sel:BYTE_0 src1_sel:DWORD
	s_and_saveexec_b32 s0, s13
	s_cbranch_execz .LBB267_534
; %bb.527:                              ;   in Loop: Header=BB267_478 Depth=1
	v_cmp_ne_u16_sdwa s17, v1, v25 src0_sel:BYTE_0 src1_sel:DWORD
	v_mov_b32_e32 v45, 0x8000
	s_and_saveexec_b32 s13, s17
	s_cbranch_execz .LBB267_533
; %bb.528:                              ;   in Loop: Header=BB267_478 Depth=1
	v_bfe_u32 v47, v10, 16, 7
	v_mov_b32_e32 v45, 0x7c01
	s_mov_b32 s17, exec_lo
	v_cmpx_ne_u32_e32 0x7f, v47
	s_cbranch_execz .LBB267_532
; %bb.529:                              ;   in Loop: Header=BB267_478 Depth=1
	v_and_b32_e32 v45, 7, v1
	v_lshrrev_b32_e32 v46, 3, v47
	s_mov_b32 s18, exec_lo
	v_cmpx_gt_u32_e32 8, v47
; %bb.530:                              ;   in Loop: Header=BB267_478 Depth=1
	v_ffbh_u32_e32 v45, v45
	v_min_u32_e32 v47, 32, v45
	v_subrev_nc_u32_e32 v45, 28, v47
	v_lshlrev_b64 v[45:46], v45, v[1:2]
	v_sub_nc_u32_e32 v46, 29, v47
	v_and_b32_e32 v45, 7, v45
; %bb.531:                              ;   in Loop: Header=BB267_478 Depth=1
	s_or_b32 exec_lo, exec_lo, s18
	v_lshlrev_b32_e32 v1, 8, v1
	v_lshl_add_u32 v46, v46, 10, 0x2000
	v_lshlrev_b32_e32 v45, 7, v45
	v_and_b32_e32 v1, 0x8000, v1
	v_and_b32_e32 v46, 0xfc00, v46
	v_or3_b32 v45, v1, v46, v45
.LBB267_532:                            ;   in Loop: Header=BB267_478 Depth=1
	s_or_b32 exec_lo, exec_lo, s17
.LBB267_533:                            ;   in Loop: Header=BB267_478 Depth=1
	s_or_b32 exec_lo, exec_lo, s13
.LBB267_534:                            ;   in Loop: Header=BB267_478 Depth=1
	s_or_b32 exec_lo, exec_lo, s0
	v_cmp_lt_u64_e32 vcc_lo, s[2:3], v[9:10]
	v_mov_b32_e32 v9, 0
	s_and_saveexec_b32 s0, vcc_lo
	s_cbranch_execz .LBB267_542
; %bb.535:                              ;   in Loop: Header=BB267_478 Depth=1
	v_lshrrev_b32_e32 v1, 24, v10
	v_bfrev_b32_e32 v9, 1
	s_mov_b32 s13, exec_lo
	v_cmpx_ne_u32_e32 0x80, v1
	s_cbranch_execz .LBB267_541
; %bb.536:                              ;   in Loop: Header=BB267_478 Depth=1
	v_and_b32_e32 v46, 0x7f, v1
	v_mov_b32_e32 v9, 0x7c010000
	s_mov_b32 s17, exec_lo
	v_cmpx_ne_u32_e32 0x7f, v46
	s_cbranch_execz .LBB267_540
; %bb.537:                              ;   in Loop: Header=BB267_478 Depth=1
	v_and_b32_e32 v9, 7, v1
	v_lshrrev_b32_e32 v10, 3, v46
	s_mov_b32 s18, exec_lo
	v_cmpx_gt_u32_e32 8, v46
; %bb.538:                              ;   in Loop: Header=BB267_478 Depth=1
	v_ffbh_u32_e32 v9, v9
	v_min_u32_e32 v46, 32, v9
	v_subrev_nc_u32_e32 v9, 28, v46
	v_lshlrev_b64 v[9:10], v9, v[1:2]
	v_sub_nc_u32_e32 v10, 29, v46
	v_and_b32_e32 v9, 7, v9
; %bb.539:                              ;   in Loop: Header=BB267_478 Depth=1
	s_or_b32 exec_lo, exec_lo, s18
	v_lshlrev_b32_e32 v1, 8, v1
	v_lshl_add_u32 v10, v10, 10, 0x2000
	v_lshlrev_b32_e32 v9, 23, v9
	v_and_or_b32 v1, 0x8000, v1, v10
	v_lshl_or_b32 v9, v1, 16, v9
.LBB267_540:                            ;   in Loop: Header=BB267_478 Depth=1
	s_or_b32 exec_lo, exec_lo, s17
.LBB267_541:                            ;   in Loop: Header=BB267_478 Depth=1
	s_or_b32 exec_lo, exec_lo, s13
.LBB267_542:                            ;   in Loop: Header=BB267_478 Depth=1
	s_or_b32 exec_lo, exec_lo, s0
	v_or_b32_e32 v1, v35, v30
	s_waitcnt vmcnt(0)
	v_fma_mixlo_f16 v10, v31, v35, 0 op_sel:[0,1,0] op_sel_hi:[0,1,0]
	v_or_b32_e32 v32, v33, v32
	v_fma_mixlo_f16 v33, v31, v33, 0 op_sel:[0,1,0] op_sel_hi:[0,1,0]
	v_or_b32_e32 v34, v36, v34
	v_fma_mixlo_f16 v1, v31, v1, 0 op_sel_hi:[0,1,0]
	v_or_b32_e32 v35, v9, v45
	v_fma_mixlo_f16 v9, v31, v9, 0 op_sel:[0,1,0] op_sel_hi:[0,1,0]
	v_lshlrev_b32_e32 v51, 16, v33
	v_fma_mixlo_f16 v33, v31, v34, 0 op_sel_hi:[0,1,0]
	v_and_b32_e32 v48, 0xffff, v1
	v_fma_mixlo_f16 v1, v31, v32, 0 op_sel_hi:[0,1,0]
	v_fma_mixlo_f16 v32, v31, v36, 0 op_sel:[0,1,0] op_sel_hi:[0,1,0]
	v_fma_mixlo_f16 v31, v31, v35, 0 op_sel_hi:[0,1,0]
	v_lshlrev_b32_e32 v10, 16, v10
	v_and_b32_e32 v52, 0xffff, v33
	v_and_b32_e32 v53, 0xffff, v1
	v_lshlrev_b32_e32 v49, 16, v32
	v_lshlrev_b32_e32 v46, 16, v9
	v_and_b32_e32 v50, 0xffff, v31
	v_add_nc_u32_e32 v30, -7, v24
	v_cmp_eq_u32_e32 vcc_lo, s5, v29
	v_or_b32_e32 v1, v10, v48
	v_or_b32_e32 v9, v51, v53
	;; [unrolled: 1-line block ×4, first 2 shown]
	v_add_nc_u32_e32 v36, -6, v24
	v_add_nc_u32_e32 v35, -5, v24
	;; [unrolled: 1-line block ×6, first 2 shown]
	s_and_saveexec_b32 s13, vcc_lo
	s_cbranch_execz .LBB267_544
; %bb.543:                              ;   in Loop: Header=BB267_478 Depth=1
	v_cmp_gt_i32_e64 s0, s11, v30
	v_cndmask_b32_e64 v1, 0, v53, s0
	v_cmp_gt_i32_e64 s0, s11, v36
	v_cndmask_b32_e64 v9, 0, v51, s0
	v_cmp_gt_i32_e64 s0, s11, v35
	v_or_b32_e32 v9, v9, v1
	v_cndmask_b32_e64 v45, 0, v48, s0
	v_cmp_gt_i32_e64 s0, s11, v34
	v_cndmask_b32_e64 v10, 0, v10, s0
	v_cmp_gt_i32_e64 s0, s11, v33
	v_or_b32_e32 v1, v10, v45
	;; [unrolled: 5-line block ×3, first 2 shown]
	v_cndmask_b32_e64 v49, 0, v50, s0
	v_cmp_gt_i32_e64 s0, s11, v24
	v_cndmask_b32_e64 v46, 0, v46, s0
	v_or_b32_e32 v47, v46, v49
.LBB267_544:                            ;   in Loop: Header=BB267_478 Depth=1
	s_or_b32 exec_lo, exec_lo, s13
	v_and_b32_e32 v10, 0xffff, v37
	v_and_b32_e32 v37, 0xffff, v41
	;; [unrolled: 1-line block ×4, first 2 shown]
	v_lshl_or_b32 v41, v38, 16, v10
	v_lshl_or_b32 v39, v39, 16, v37
	;;#ASMSTART
	v_pk_mul_f16 v9, v41, v9;

	;;#ASMEND
	;;#ASMSTART
	v_pk_mul_f16 v1, v39, v1;

	;;#ASMEND
	v_lshl_or_b32 v38, v40, 16, v43
	v_lshl_or_b32 v37, v42, 16, v44
	;;#ASMSTART
	v_pk_mul_f16 v10, v38, v45;

	;;#ASMEND
	;;#ASMSTART
	v_pk_mul_f16 v40, v37, v47;

	;;#ASMEND
	;;#ASMSTART
	v_pk_add_f16 v1, v9, v1;

	;;#ASMEND
	;;#ASMSTART
	v_pk_add_f16 v1, v1, v10;
	;; [unrolled: 4-line block ×3, first 2 shown]

	;;#ASMEND
	v_and_b32_e32 v9, 0xffff, v1
	v_lshrrev_b32_e32 v1, 16, v1
	;;#ASMSTART
	v_cvt_f32_f16 v40, v9;
	;;#ASMEND
	;;#ASMSTART
	v_cvt_f32_f16 v42, v1;
	;;#ASMEND
	global_load_dwordx2 v[9:10], v[7:8], off offset:256
	v_mov_b32_e32 v44, 0
	v_mov_b32_e32 v45, 0
	global_load_dword v43, v44, s[14:15]
	s_waitcnt vmcnt(1)
	v_cmp_ne_u16_sdwa s0, v9, v2 src0_sel:BYTE_0 src1_sel:DWORD
	s_and_saveexec_b32 s13, s0
	s_cbranch_execz .LBB267_552
; %bb.545:                              ;   in Loop: Header=BB267_478 Depth=1
	v_cmp_ne_u16_sdwa s0, v9, v25 src0_sel:BYTE_0 src1_sel:DWORD
	v_mov_b32_e32 v45, 0x8000
	s_and_saveexec_b32 s17, s0
	s_cbranch_execz .LBB267_551
; %bb.546:                              ;   in Loop: Header=BB267_478 Depth=1
	v_and_b32_e32 v46, 0x7f, v9
	v_mov_b32_e32 v45, 0x7c01
	s_mov_b32 s18, exec_lo
	v_cmpx_ne_u32_e32 0x7f, v46
	s_cbranch_execz .LBB267_550
; %bb.547:                              ;   in Loop: Header=BB267_478 Depth=1
	v_and_b32_e32 v1, 7, v9
	v_lshrrev_b32_e32 v45, 3, v46
	s_mov_b32 s19, exec_lo
	v_cmpx_gt_u32_e32 8, v46
; %bb.548:                              ;   in Loop: Header=BB267_478 Depth=1
	v_ffbh_u32_e32 v1, v1
	v_min_u32_e32 v1, 32, v1
	v_subrev_nc_u32_e32 v45, 28, v1
	v_lshlrev_b64 v[46:47], v45, v[9:10]
	v_sub_nc_u32_e32 v45, 29, v1
	v_and_b32_e32 v1, 7, v46
; %bb.549:                              ;   in Loop: Header=BB267_478 Depth=1
	s_or_b32 exec_lo, exec_lo, s19
	v_lshlrev_b32_e32 v46, 8, v9
	v_lshl_add_u32 v45, v45, 10, 0x2000
	v_lshlrev_b32_e32 v1, 7, v1
	v_and_b32_e32 v46, 0x8000, v46
	v_and_b32_e32 v45, 0xfc00, v45
	v_or3_b32 v45, v46, v45, v1
.LBB267_550:                            ;   in Loop: Header=BB267_478 Depth=1
	s_or_b32 exec_lo, exec_lo, s18
.LBB267_551:                            ;   in Loop: Header=BB267_478 Depth=1
	s_or_b32 exec_lo, exec_lo, s17
.LBB267_552:                            ;   in Loop: Header=BB267_478 Depth=1
	s_or_b32 exec_lo, exec_lo, s13
	v_lshrrev_b16 v1, 8, v9
	s_mov_b32 s13, exec_lo
	v_cmpx_ne_u16_e32 0, v1
	s_cbranch_execz .LBB267_560
; %bb.553:                              ;   in Loop: Header=BB267_478 Depth=1
	v_bfrev_b32_e32 v44, 1
	s_mov_b32 s17, exec_lo
	v_cmpx_ne_u16_e32 0x80, v1
	s_cbranch_execz .LBB267_559
; %bb.554:                              ;   in Loop: Header=BB267_478 Depth=1
	v_and_b32_sdwa v47, v1, v26 dst_sel:DWORD dst_unused:UNUSED_PAD src0_sel:WORD_0 src1_sel:DWORD
	v_mov_b32_e32 v44, 0x7c010000
	s_mov_b32 s18, exec_lo
	v_cmpx_ne_u32_e32 0x7f, v47
	s_cbranch_execz .LBB267_558
; %bb.555:                              ;   in Loop: Header=BB267_478 Depth=1
	v_and_b32_sdwa v44, v1, v27 dst_sel:DWORD dst_unused:UNUSED_PAD src0_sel:WORD_0 src1_sel:DWORD
	v_lshrrev_b32_e32 v46, 3, v47
	s_mov_b32 s19, exec_lo
	v_cmpx_gt_u32_e32 8, v47
; %bb.556:                              ;   in Loop: Header=BB267_478 Depth=1
	v_ffbh_u32_e32 v44, v44
	v_min_u32_e32 v44, 32, v44
	v_subrev_nc_u32_e32 v46, 28, v44
	v_lshlrev_b64 v[47:48], v46, v[1:2]
	v_sub_nc_u32_e32 v46, 29, v44
	v_and_b32_e32 v44, 7, v47
; %bb.557:                              ;   in Loop: Header=BB267_478 Depth=1
	s_or_b32 exec_lo, exec_lo, s19
	v_lshlrev_b32_sdwa v1, v28, v1 dst_sel:DWORD dst_unused:UNUSED_PAD src0_sel:DWORD src1_sel:WORD_0
	v_lshl_add_u32 v46, v46, 10, 0x2000
	v_lshlrev_b32_e32 v44, 23, v44
	v_and_or_b32 v1, 0x8000, v1, v46
	v_lshl_or_b32 v44, v1, 16, v44
.LBB267_558:                            ;   in Loop: Header=BB267_478 Depth=1
	s_or_b32 exec_lo, exec_lo, s18
.LBB267_559:                            ;   in Loop: Header=BB267_478 Depth=1
	s_or_b32 exec_lo, exec_lo, s17
.LBB267_560:                            ;   in Loop: Header=BB267_478 Depth=1
	s_or_b32 exec_lo, exec_lo, s13
	v_lshrrev_b32_e32 v1, 16, v9
	v_mov_b32_e32 v46, 0
	v_mov_b32_e32 v47, 0
	v_cmp_ne_u16_sdwa s0, v1, v2 src0_sel:BYTE_0 src1_sel:DWORD
	s_and_saveexec_b32 s13, s0
	s_cbranch_execz .LBB267_568
; %bb.561:                              ;   in Loop: Header=BB267_478 Depth=1
	v_cmp_ne_u16_sdwa s0, v1, v25 src0_sel:BYTE_0 src1_sel:DWORD
	v_mov_b32_e32 v47, 0x8000
	s_and_saveexec_b32 s17, s0
	s_cbranch_execz .LBB267_567
; %bb.562:                              ;   in Loop: Header=BB267_478 Depth=1
	v_bfe_u32 v49, v9, 16, 7
	v_mov_b32_e32 v47, 0x7c01
	s_mov_b32 s18, exec_lo
	v_cmpx_ne_u32_e32 0x7f, v49
	s_cbranch_execz .LBB267_566
; %bb.563:                              ;   in Loop: Header=BB267_478 Depth=1
	v_and_b32_e32 v47, 7, v1
	v_lshrrev_b32_e32 v48, 3, v49
	s_mov_b32 s19, exec_lo
	v_cmpx_gt_u32_e32 8, v49
; %bb.564:                              ;   in Loop: Header=BB267_478 Depth=1
	v_ffbh_u32_e32 v47, v47
	v_min_u32_e32 v49, 32, v47
	v_subrev_nc_u32_e32 v47, 28, v49
	v_lshlrev_b64 v[47:48], v47, v[1:2]
	v_sub_nc_u32_e32 v48, 29, v49
	v_and_b32_e32 v47, 7, v47
; %bb.565:                              ;   in Loop: Header=BB267_478 Depth=1
	s_or_b32 exec_lo, exec_lo, s19
	v_lshlrev_b32_e32 v1, 8, v1
	v_lshl_add_u32 v48, v48, 10, 0x2000
	v_lshlrev_b32_e32 v47, 7, v47
	v_and_b32_e32 v1, 0x8000, v1
	v_and_b32_e32 v48, 0xfc00, v48
	v_or3_b32 v47, v1, v48, v47
.LBB267_566:                            ;   in Loop: Header=BB267_478 Depth=1
	s_or_b32 exec_lo, exec_lo, s18
.LBB267_567:                            ;   in Loop: Header=BB267_478 Depth=1
	s_or_b32 exec_lo, exec_lo, s17
.LBB267_568:                            ;   in Loop: Header=BB267_478 Depth=1
	s_or_b32 exec_lo, exec_lo, s13
	s_mov_b32 s13, exec_lo
	v_cmpx_lt_u32_e32 0xffffff, v9
	s_cbranch_execz .LBB267_576
; %bb.569:                              ;   in Loop: Header=BB267_478 Depth=1
	v_lshrrev_b32_e32 v1, 24, v9
	v_bfrev_b32_e32 v46, 1
	s_mov_b32 s17, exec_lo
	v_cmpx_ne_u32_e32 0x80, v1
	s_cbranch_execz .LBB267_575
; %bb.570:                              ;   in Loop: Header=BB267_478 Depth=1
	v_and_b32_e32 v49, 0x7f, v1
	v_mov_b32_e32 v46, 0x7c010000
	s_mov_b32 s18, exec_lo
	v_cmpx_ne_u32_e32 0x7f, v49
	s_cbranch_execz .LBB267_574
; %bb.571:                              ;   in Loop: Header=BB267_478 Depth=1
	v_and_b32_e32 v46, 7, v1
	v_lshrrev_b32_e32 v48, 3, v49
	s_mov_b32 s19, exec_lo
	v_cmpx_gt_u32_e32 8, v49
; %bb.572:                              ;   in Loop: Header=BB267_478 Depth=1
	v_ffbh_u32_e32 v46, v46
	v_min_u32_e32 v46, 32, v46
	v_subrev_nc_u32_e32 v48, 28, v46
	v_lshlrev_b64 v[49:50], v48, v[1:2]
	v_sub_nc_u32_e32 v48, 29, v46
	v_and_b32_e32 v46, 7, v49
; %bb.573:                              ;   in Loop: Header=BB267_478 Depth=1
	s_or_b32 exec_lo, exec_lo, s19
	v_lshlrev_b32_e32 v1, 8, v1
	v_lshl_add_u32 v48, v48, 10, 0x2000
	v_lshlrev_b32_e32 v46, 23, v46
	v_and_or_b32 v1, 0x8000, v1, v48
	v_lshl_or_b32 v46, v1, 16, v46
.LBB267_574:                            ;   in Loop: Header=BB267_478 Depth=1
	s_or_b32 exec_lo, exec_lo, s18
.LBB267_575:                            ;   in Loop: Header=BB267_478 Depth=1
	s_or_b32 exec_lo, exec_lo, s17
.LBB267_576:                            ;   in Loop: Header=BB267_478 Depth=1
	s_or_b32 exec_lo, exec_lo, s13
	v_mov_b32_e32 v1, v10
	v_cmp_ne_u16_sdwa s0, v10, v2 src0_sel:BYTE_0 src1_sel:DWORD
	v_mov_b32_e32 v48, 0
	v_mov_b32_e32 v49, 0
	s_and_saveexec_b32 s13, s0
	s_cbranch_execz .LBB267_584
; %bb.577:                              ;   in Loop: Header=BB267_478 Depth=1
	v_cmp_ne_u16_sdwa s0, v10, v25 src0_sel:BYTE_0 src1_sel:DWORD
	v_mov_b32_e32 v49, 0x8000
	s_and_saveexec_b32 s17, s0
	s_cbranch_execz .LBB267_583
; %bb.578:                              ;   in Loop: Header=BB267_478 Depth=1
	v_and_b32_e32 v51, 0x7f, v10
	v_mov_b32_e32 v49, 0x7c01
	s_mov_b32 s18, exec_lo
	v_cmpx_ne_u32_e32 0x7f, v51
	s_cbranch_execz .LBB267_582
; %bb.579:                              ;   in Loop: Header=BB267_478 Depth=1
	v_and_b32_e32 v49, 7, v10
	v_lshrrev_b32_e32 v50, 3, v51
	s_mov_b32 s19, exec_lo
	v_cmpx_gt_u32_e32 8, v51
; %bb.580:                              ;   in Loop: Header=BB267_478 Depth=1
	v_ffbh_u32_e32 v49, v49
	v_min_u32_e32 v51, 32, v49
	v_subrev_nc_u32_e32 v49, 28, v51
	v_lshlrev_b64 v[49:50], v49, v[1:2]
	v_sub_nc_u32_e32 v50, 29, v51
	v_and_b32_e32 v49, 7, v49
; %bb.581:                              ;   in Loop: Header=BB267_478 Depth=1
	s_or_b32 exec_lo, exec_lo, s19
	v_lshlrev_b32_e32 v51, 8, v10
	v_lshl_add_u32 v50, v50, 10, 0x2000
	v_lshlrev_b32_e32 v49, 7, v49
	v_and_b32_e32 v51, 0x8000, v51
	v_and_b32_e32 v50, 0xfc00, v50
	v_or3_b32 v49, v51, v50, v49
.LBB267_582:                            ;   in Loop: Header=BB267_478 Depth=1
	s_or_b32 exec_lo, exec_lo, s18
.LBB267_583:                            ;   in Loop: Header=BB267_478 Depth=1
	s_or_b32 exec_lo, exec_lo, s17
.LBB267_584:                            ;   in Loop: Header=BB267_478 Depth=1
	s_or_b32 exec_lo, exec_lo, s13
	v_lshrrev_b16 v1, 8, v1
	v_mov_b32_e32 v50, 0
	s_mov_b32 s13, exec_lo
	v_cmpx_ne_u16_e32 0, v1
	s_cbranch_execz .LBB267_592
; %bb.585:                              ;   in Loop: Header=BB267_478 Depth=1
	v_bfrev_b32_e32 v50, 1
	s_mov_b32 s17, exec_lo
	v_cmpx_ne_u16_e32 0x80, v1
	s_cbranch_execz .LBB267_591
; %bb.586:                              ;   in Loop: Header=BB267_478 Depth=1
	v_and_b32_sdwa v52, v1, v26 dst_sel:DWORD dst_unused:UNUSED_PAD src0_sel:WORD_0 src1_sel:DWORD
	v_mov_b32_e32 v50, 0x7c010000
	s_mov_b32 s18, exec_lo
	v_cmpx_ne_u32_e32 0x7f, v52
	s_cbranch_execz .LBB267_590
; %bb.587:                              ;   in Loop: Header=BB267_478 Depth=1
	v_and_b32_sdwa v50, v1, v27 dst_sel:DWORD dst_unused:UNUSED_PAD src0_sel:WORD_0 src1_sel:DWORD
	v_lshrrev_b32_e32 v51, 3, v52
	s_mov_b32 s19, exec_lo
	v_cmpx_gt_u32_e32 8, v52
; %bb.588:                              ;   in Loop: Header=BB267_478 Depth=1
	v_ffbh_u32_e32 v50, v50
	v_min_u32_e32 v52, 32, v50
	v_subrev_nc_u32_e32 v50, 28, v52
	v_lshlrev_b64 v[50:51], v50, v[1:2]
	v_sub_nc_u32_e32 v51, 29, v52
	v_and_b32_e32 v50, 7, v50
; %bb.589:                              ;   in Loop: Header=BB267_478 Depth=1
	s_or_b32 exec_lo, exec_lo, s19
	v_lshlrev_b32_sdwa v1, v28, v1 dst_sel:DWORD dst_unused:UNUSED_PAD src0_sel:DWORD src1_sel:WORD_0
	v_lshl_add_u32 v51, v51, 10, 0x2000
	v_lshlrev_b32_e32 v50, 23, v50
	v_and_or_b32 v1, 0x8000, v1, v51
	v_lshl_or_b32 v50, v1, 16, v50
.LBB267_590:                            ;   in Loop: Header=BB267_478 Depth=1
	s_or_b32 exec_lo, exec_lo, s18
.LBB267_591:                            ;   in Loop: Header=BB267_478 Depth=1
	s_or_b32 exec_lo, exec_lo, s17
.LBB267_592:                            ;   in Loop: Header=BB267_478 Depth=1
	s_or_b32 exec_lo, exec_lo, s13
	v_lshrrev_b32_e32 v1, 16, v10
	v_cmp_ne_u16_sdwa s0, v1, v2 src0_sel:BYTE_0 src1_sel:DWORD
	s_and_saveexec_b32 s13, s0
	s_cbranch_execz .LBB267_600
; %bb.593:                              ;   in Loop: Header=BB267_478 Depth=1
	v_cmp_ne_u16_sdwa s0, v1, v25 src0_sel:BYTE_0 src1_sel:DWORD
	v_mov_b32_e32 v48, 0x8000
	s_and_saveexec_b32 s17, s0
	s_cbranch_execz .LBB267_599
; %bb.594:                              ;   in Loop: Header=BB267_478 Depth=1
	v_bfe_u32 v52, v10, 16, 7
	v_mov_b32_e32 v48, 0x7c01
	s_mov_b32 s18, exec_lo
	v_cmpx_ne_u32_e32 0x7f, v52
	s_cbranch_execz .LBB267_598
; %bb.595:                              ;   in Loop: Header=BB267_478 Depth=1
	v_and_b32_e32 v48, 7, v1
	v_lshrrev_b32_e32 v51, 3, v52
	s_mov_b32 s19, exec_lo
	v_cmpx_gt_u32_e32 8, v52
; %bb.596:                              ;   in Loop: Header=BB267_478 Depth=1
	v_ffbh_u32_e32 v48, v48
	v_min_u32_e32 v48, 32, v48
	v_subrev_nc_u32_e32 v51, 28, v48
	v_lshlrev_b64 v[52:53], v51, v[1:2]
	v_sub_nc_u32_e32 v51, 29, v48
	v_and_b32_e32 v48, 7, v52
; %bb.597:                              ;   in Loop: Header=BB267_478 Depth=1
	s_or_b32 exec_lo, exec_lo, s19
	v_lshlrev_b32_e32 v1, 8, v1
	v_lshl_add_u32 v51, v51, 10, 0x2000
	v_lshlrev_b32_e32 v48, 7, v48
	v_and_b32_e32 v1, 0x8000, v1
	v_and_b32_e32 v51, 0xfc00, v51
	v_or3_b32 v48, v1, v51, v48
.LBB267_598:                            ;   in Loop: Header=BB267_478 Depth=1
	s_or_b32 exec_lo, exec_lo, s18
.LBB267_599:                            ;   in Loop: Header=BB267_478 Depth=1
	s_or_b32 exec_lo, exec_lo, s17
.LBB267_600:                            ;   in Loop: Header=BB267_478 Depth=1
	s_or_b32 exec_lo, exec_lo, s13
	v_cmp_lt_u64_e64 s0, s[2:3], v[9:10]
	v_mov_b32_e32 v9, 0
	s_and_saveexec_b32 s13, s0
	s_cbranch_execz .LBB267_608
; %bb.601:                              ;   in Loop: Header=BB267_478 Depth=1
	v_lshrrev_b32_e32 v1, 24, v10
	v_bfrev_b32_e32 v9, 1
	s_mov_b32 s17, exec_lo
	v_cmpx_ne_u32_e32 0x80, v1
	s_cbranch_execz .LBB267_607
; %bb.602:                              ;   in Loop: Header=BB267_478 Depth=1
	v_and_b32_e32 v51, 0x7f, v1
	v_mov_b32_e32 v9, 0x7c010000
	s_mov_b32 s18, exec_lo
	v_cmpx_ne_u32_e32 0x7f, v51
	s_cbranch_execz .LBB267_606
; %bb.603:                              ;   in Loop: Header=BB267_478 Depth=1
	v_and_b32_e32 v9, 7, v1
	v_lshrrev_b32_e32 v10, 3, v51
	s_mov_b32 s19, exec_lo
	v_cmpx_gt_u32_e32 8, v51
; %bb.604:                              ;   in Loop: Header=BB267_478 Depth=1
	v_ffbh_u32_e32 v9, v9
	v_min_u32_e32 v51, 32, v9
	v_subrev_nc_u32_e32 v9, 28, v51
	v_lshlrev_b64 v[9:10], v9, v[1:2]
	v_sub_nc_u32_e32 v10, 29, v51
	v_and_b32_e32 v9, 7, v9
; %bb.605:                              ;   in Loop: Header=BB267_478 Depth=1
	s_or_b32 exec_lo, exec_lo, s19
	v_lshlrev_b32_e32 v1, 8, v1
	v_lshl_add_u32 v10, v10, 10, 0x2000
	v_lshlrev_b32_e32 v9, 23, v9
	v_and_or_b32 v1, 0x8000, v1, v10
	v_lshl_or_b32 v9, v1, 16, v9
.LBB267_606:                            ;   in Loop: Header=BB267_478 Depth=1
	s_or_b32 exec_lo, exec_lo, s18
.LBB267_607:                            ;   in Loop: Header=BB267_478 Depth=1
	s_or_b32 exec_lo, exec_lo, s17
.LBB267_608:                            ;   in Loop: Header=BB267_478 Depth=1
	s_or_b32 exec_lo, exec_lo, s13
	v_or_b32_e32 v1, v46, v47
	s_waitcnt vmcnt(0)
	v_fma_mixlo_f16 v10, v43, v46, 0 op_sel:[0,1,0] op_sel_hi:[0,1,0]
	v_or_b32_e32 v46, v44, v45
	v_fma_mixlo_f16 v44, v43, v44, 0 op_sel:[0,1,0] op_sel_hi:[0,1,0]
	v_or_b32_e32 v47, v50, v49
	v_or_b32_e32 v48, v9, v48
	v_fma_mixlo_f16 v49, v43, v1, 0 op_sel_hi:[0,1,0]
	v_fma_mixlo_f16 v9, v43, v9, 0 op_sel:[0,1,0] op_sel_hi:[0,1,0]
	v_lshlrev_b32_e32 v45, 16, v44
	v_fma_mixlo_f16 v44, v43, v46, 0 op_sel_hi:[0,1,0]
	v_fma_mixlo_f16 v46, v43, v50, 0 op_sel:[0,1,0] op_sel_hi:[0,1,0]
	v_fma_mixlo_f16 v47, v43, v47, 0 op_sel_hi:[0,1,0]
	v_fma_mixlo_f16 v48, v43, v48, 0 op_sel_hi:[0,1,0]
	v_lshlrev_b32_e32 v1, 16, v10
	v_and_b32_e32 v10, 0xffff, v49
	v_and_b32_e32 v51, 0xffff, v44
	v_lshlrev_b32_e32 v43, 16, v46
	v_and_b32_e32 v47, 0xffff, v47
	v_lshlrev_b32_e32 v9, 16, v9
	v_and_b32_e32 v44, 0xffff, v48
	v_or_b32_e32 v46, v1, v10
	v_or_b32_e32 v50, v45, v51
	;; [unrolled: 1-line block ×4, first 2 shown]
	s_and_saveexec_b32 s13, vcc_lo
	s_cbranch_execz .LBB267_610
; %bb.609:                              ;   in Loop: Header=BB267_478 Depth=1
	v_cmp_gt_i32_e64 s0, s11, v30
	v_cndmask_b32_e64 v46, 0, v51, s0
	v_cmp_gt_i32_e64 s0, s11, v36
	v_cndmask_b32_e64 v45, 0, v45, s0
	v_cmp_gt_i32_e64 s0, s11, v35
	v_or_b32_e32 v50, v45, v46
	v_cndmask_b32_e64 v10, 0, v10, s0
	v_cmp_gt_i32_e64 s0, s11, v34
	v_cndmask_b32_e64 v1, 0, v1, s0
	v_cmp_gt_i32_e64 s0, s11, v33
	v_or_b32_e32 v46, v1, v10
	v_cndmask_b32_e64 v47, 0, v47, s0
	v_cmp_gt_i32_e64 s0, s11, v32
	v_cndmask_b32_e64 v43, 0, v43, s0
	v_cmp_gt_i32_e64 s0, s11, v31
	v_or_b32_e32 v49, v43, v47
	v_cndmask_b32_e64 v44, 0, v44, s0
	v_cmp_gt_i32_e64 s0, s11, v24
	v_cndmask_b32_e64 v9, 0, v9, s0
	v_or_b32_e32 v48, v9, v44
.LBB267_610:                            ;   in Loop: Header=BB267_478 Depth=1
	s_or_b32 exec_lo, exec_lo, s13
	;;#ASMSTART
	v_pk_mul_f16 v1, v41, v50;

	;;#ASMEND
	;;#ASMSTART
	v_pk_mul_f16 v9, v39, v46;

	;;#ASMEND
	;; [unrolled: 4-line block ×4, first 2 shown]
	;;#ASMSTART
	v_pk_add_f16 v1, v1, v9;

	;;#ASMEND
	;;#ASMSTART
	v_pk_add_f16 v1, v1, v10;

	;;#ASMEND
	;; [unrolled: 4-line block ×3, first 2 shown]
	v_and_b32_e32 v9, 0xffff, v1
	v_lshrrev_b32_e32 v1, 16, v1
	;;#ASMSTART
	v_cvt_f32_f16 v43, v9;
	;;#ASMEND
	;;#ASMSTART
	v_cvt_f32_f16 v44, v1;
	;;#ASMEND
	global_load_dwordx2 v[9:10], v[7:8], off offset:512
	v_mov_b32_e32 v46, 0
	v_mov_b32_e32 v47, 0
	global_load_dword v45, v46, s[14:15]
	s_waitcnt vmcnt(1)
	v_cmp_ne_u16_sdwa s0, v9, v2 src0_sel:BYTE_0 src1_sel:DWORD
	s_and_saveexec_b32 s13, s0
	s_cbranch_execz .LBB267_618
; %bb.611:                              ;   in Loop: Header=BB267_478 Depth=1
	v_cmp_ne_u16_sdwa s0, v9, v25 src0_sel:BYTE_0 src1_sel:DWORD
	v_mov_b32_e32 v47, 0x8000
	s_and_saveexec_b32 s17, s0
	s_cbranch_execz .LBB267_617
; %bb.612:                              ;   in Loop: Header=BB267_478 Depth=1
	v_and_b32_e32 v48, 0x7f, v9
	v_mov_b32_e32 v47, 0x7c01
	s_mov_b32 s18, exec_lo
	v_cmpx_ne_u32_e32 0x7f, v48
	s_cbranch_execz .LBB267_616
; %bb.613:                              ;   in Loop: Header=BB267_478 Depth=1
	v_and_b32_e32 v1, 7, v9
	v_lshrrev_b32_e32 v47, 3, v48
	s_mov_b32 s19, exec_lo
	v_cmpx_gt_u32_e32 8, v48
; %bb.614:                              ;   in Loop: Header=BB267_478 Depth=1
	v_ffbh_u32_e32 v1, v1
	v_min_u32_e32 v1, 32, v1
	v_subrev_nc_u32_e32 v47, 28, v1
	v_lshlrev_b64 v[48:49], v47, v[9:10]
	v_sub_nc_u32_e32 v47, 29, v1
	v_and_b32_e32 v1, 7, v48
; %bb.615:                              ;   in Loop: Header=BB267_478 Depth=1
	s_or_b32 exec_lo, exec_lo, s19
	v_lshlrev_b32_e32 v48, 8, v9
	v_lshl_add_u32 v47, v47, 10, 0x2000
	v_lshlrev_b32_e32 v1, 7, v1
	v_and_b32_e32 v48, 0x8000, v48
	v_and_b32_e32 v47, 0xfc00, v47
	v_or3_b32 v47, v48, v47, v1
.LBB267_616:                            ;   in Loop: Header=BB267_478 Depth=1
	s_or_b32 exec_lo, exec_lo, s18
.LBB267_617:                            ;   in Loop: Header=BB267_478 Depth=1
	s_or_b32 exec_lo, exec_lo, s17
.LBB267_618:                            ;   in Loop: Header=BB267_478 Depth=1
	s_or_b32 exec_lo, exec_lo, s13
	v_lshrrev_b16 v1, 8, v9
	s_mov_b32 s13, exec_lo
	v_cmpx_ne_u16_e32 0, v1
	s_cbranch_execz .LBB267_626
; %bb.619:                              ;   in Loop: Header=BB267_478 Depth=1
	v_bfrev_b32_e32 v46, 1
	s_mov_b32 s17, exec_lo
	v_cmpx_ne_u16_e32 0x80, v1
	s_cbranch_execz .LBB267_625
; %bb.620:                              ;   in Loop: Header=BB267_478 Depth=1
	v_and_b32_sdwa v49, v1, v26 dst_sel:DWORD dst_unused:UNUSED_PAD src0_sel:WORD_0 src1_sel:DWORD
	v_mov_b32_e32 v46, 0x7c010000
	s_mov_b32 s18, exec_lo
	v_cmpx_ne_u32_e32 0x7f, v49
	s_cbranch_execz .LBB267_624
; %bb.621:                              ;   in Loop: Header=BB267_478 Depth=1
	v_and_b32_sdwa v46, v1, v27 dst_sel:DWORD dst_unused:UNUSED_PAD src0_sel:WORD_0 src1_sel:DWORD
	v_lshrrev_b32_e32 v48, 3, v49
	s_mov_b32 s19, exec_lo
	v_cmpx_gt_u32_e32 8, v49
; %bb.622:                              ;   in Loop: Header=BB267_478 Depth=1
	v_ffbh_u32_e32 v46, v46
	v_min_u32_e32 v46, 32, v46
	v_subrev_nc_u32_e32 v48, 28, v46
	v_lshlrev_b64 v[49:50], v48, v[1:2]
	v_sub_nc_u32_e32 v48, 29, v46
	v_and_b32_e32 v46, 7, v49
; %bb.623:                              ;   in Loop: Header=BB267_478 Depth=1
	s_or_b32 exec_lo, exec_lo, s19
	v_lshlrev_b32_sdwa v1, v28, v1 dst_sel:DWORD dst_unused:UNUSED_PAD src0_sel:DWORD src1_sel:WORD_0
	v_lshl_add_u32 v48, v48, 10, 0x2000
	v_lshlrev_b32_e32 v46, 23, v46
	v_and_or_b32 v1, 0x8000, v1, v48
	v_lshl_or_b32 v46, v1, 16, v46
.LBB267_624:                            ;   in Loop: Header=BB267_478 Depth=1
	s_or_b32 exec_lo, exec_lo, s18
.LBB267_625:                            ;   in Loop: Header=BB267_478 Depth=1
	s_or_b32 exec_lo, exec_lo, s17
.LBB267_626:                            ;   in Loop: Header=BB267_478 Depth=1
	s_or_b32 exec_lo, exec_lo, s13
	v_lshrrev_b32_e32 v1, 16, v9
	v_mov_b32_e32 v48, 0
	v_mov_b32_e32 v49, 0
	v_cmp_ne_u16_sdwa s0, v1, v2 src0_sel:BYTE_0 src1_sel:DWORD
	s_and_saveexec_b32 s13, s0
	s_cbranch_execz .LBB267_634
; %bb.627:                              ;   in Loop: Header=BB267_478 Depth=1
	v_cmp_ne_u16_sdwa s0, v1, v25 src0_sel:BYTE_0 src1_sel:DWORD
	v_mov_b32_e32 v49, 0x8000
	s_and_saveexec_b32 s17, s0
	s_cbranch_execz .LBB267_633
; %bb.628:                              ;   in Loop: Header=BB267_478 Depth=1
	v_bfe_u32 v51, v9, 16, 7
	v_mov_b32_e32 v49, 0x7c01
	s_mov_b32 s18, exec_lo
	v_cmpx_ne_u32_e32 0x7f, v51
	s_cbranch_execz .LBB267_632
; %bb.629:                              ;   in Loop: Header=BB267_478 Depth=1
	v_and_b32_e32 v49, 7, v1
	v_lshrrev_b32_e32 v50, 3, v51
	s_mov_b32 s19, exec_lo
	v_cmpx_gt_u32_e32 8, v51
; %bb.630:                              ;   in Loop: Header=BB267_478 Depth=1
	v_ffbh_u32_e32 v49, v49
	v_min_u32_e32 v51, 32, v49
	v_subrev_nc_u32_e32 v49, 28, v51
	v_lshlrev_b64 v[49:50], v49, v[1:2]
	v_sub_nc_u32_e32 v50, 29, v51
	v_and_b32_e32 v49, 7, v49
; %bb.631:                              ;   in Loop: Header=BB267_478 Depth=1
	s_or_b32 exec_lo, exec_lo, s19
	v_lshlrev_b32_e32 v1, 8, v1
	v_lshl_add_u32 v50, v50, 10, 0x2000
	v_lshlrev_b32_e32 v49, 7, v49
	v_and_b32_e32 v1, 0x8000, v1
	v_and_b32_e32 v50, 0xfc00, v50
	v_or3_b32 v49, v1, v50, v49
.LBB267_632:                            ;   in Loop: Header=BB267_478 Depth=1
	s_or_b32 exec_lo, exec_lo, s18
.LBB267_633:                            ;   in Loop: Header=BB267_478 Depth=1
	s_or_b32 exec_lo, exec_lo, s17
.LBB267_634:                            ;   in Loop: Header=BB267_478 Depth=1
	s_or_b32 exec_lo, exec_lo, s13
	s_mov_b32 s13, exec_lo
	v_cmpx_lt_u32_e32 0xffffff, v9
	s_cbranch_execz .LBB267_642
; %bb.635:                              ;   in Loop: Header=BB267_478 Depth=1
	v_lshrrev_b32_e32 v1, 24, v9
	v_bfrev_b32_e32 v48, 1
	s_mov_b32 s17, exec_lo
	v_cmpx_ne_u32_e32 0x80, v1
	s_cbranch_execz .LBB267_641
; %bb.636:                              ;   in Loop: Header=BB267_478 Depth=1
	v_and_b32_e32 v51, 0x7f, v1
	v_mov_b32_e32 v48, 0x7c010000
	s_mov_b32 s18, exec_lo
	v_cmpx_ne_u32_e32 0x7f, v51
	s_cbranch_execz .LBB267_640
; %bb.637:                              ;   in Loop: Header=BB267_478 Depth=1
	v_and_b32_e32 v48, 7, v1
	v_lshrrev_b32_e32 v50, 3, v51
	s_mov_b32 s19, exec_lo
	v_cmpx_gt_u32_e32 8, v51
; %bb.638:                              ;   in Loop: Header=BB267_478 Depth=1
	v_ffbh_u32_e32 v48, v48
	v_min_u32_e32 v48, 32, v48
	v_subrev_nc_u32_e32 v50, 28, v48
	v_lshlrev_b64 v[51:52], v50, v[1:2]
	v_sub_nc_u32_e32 v50, 29, v48
	v_and_b32_e32 v48, 7, v51
; %bb.639:                              ;   in Loop: Header=BB267_478 Depth=1
	s_or_b32 exec_lo, exec_lo, s19
	v_lshlrev_b32_e32 v1, 8, v1
	v_lshl_add_u32 v50, v50, 10, 0x2000
	v_lshlrev_b32_e32 v48, 23, v48
	v_and_or_b32 v1, 0x8000, v1, v50
	v_lshl_or_b32 v48, v1, 16, v48
.LBB267_640:                            ;   in Loop: Header=BB267_478 Depth=1
	s_or_b32 exec_lo, exec_lo, s18
.LBB267_641:                            ;   in Loop: Header=BB267_478 Depth=1
	s_or_b32 exec_lo, exec_lo, s17
.LBB267_642:                            ;   in Loop: Header=BB267_478 Depth=1
	s_or_b32 exec_lo, exec_lo, s13
	v_mov_b32_e32 v1, v10
	v_cmp_ne_u16_sdwa s0, v10, v2 src0_sel:BYTE_0 src1_sel:DWORD
	v_mov_b32_e32 v50, 0
	v_mov_b32_e32 v51, 0
	s_and_saveexec_b32 s13, s0
	s_cbranch_execz .LBB267_650
; %bb.643:                              ;   in Loop: Header=BB267_478 Depth=1
	v_cmp_ne_u16_sdwa s0, v10, v25 src0_sel:BYTE_0 src1_sel:DWORD
	v_mov_b32_e32 v51, 0x8000
	s_and_saveexec_b32 s17, s0
	s_cbranch_execz .LBB267_649
; %bb.644:                              ;   in Loop: Header=BB267_478 Depth=1
	v_and_b32_e32 v53, 0x7f, v10
	v_mov_b32_e32 v51, 0x7c01
	s_mov_b32 s18, exec_lo
	v_cmpx_ne_u32_e32 0x7f, v53
	s_cbranch_execz .LBB267_648
; %bb.645:                              ;   in Loop: Header=BB267_478 Depth=1
	v_and_b32_e32 v51, 7, v10
	v_lshrrev_b32_e32 v52, 3, v53
	s_mov_b32 s19, exec_lo
	v_cmpx_gt_u32_e32 8, v53
; %bb.646:                              ;   in Loop: Header=BB267_478 Depth=1
	v_ffbh_u32_e32 v51, v51
	v_min_u32_e32 v53, 32, v51
	v_subrev_nc_u32_e32 v51, 28, v53
	v_lshlrev_b64 v[51:52], v51, v[1:2]
	v_sub_nc_u32_e32 v52, 29, v53
	v_and_b32_e32 v51, 7, v51
; %bb.647:                              ;   in Loop: Header=BB267_478 Depth=1
	s_or_b32 exec_lo, exec_lo, s19
	v_lshlrev_b32_e32 v53, 8, v10
	v_lshl_add_u32 v52, v52, 10, 0x2000
	v_lshlrev_b32_e32 v51, 7, v51
	v_and_b32_e32 v53, 0x8000, v53
	v_and_b32_e32 v52, 0xfc00, v52
	v_or3_b32 v51, v53, v52, v51
.LBB267_648:                            ;   in Loop: Header=BB267_478 Depth=1
	s_or_b32 exec_lo, exec_lo, s18
.LBB267_649:                            ;   in Loop: Header=BB267_478 Depth=1
	s_or_b32 exec_lo, exec_lo, s17
.LBB267_650:                            ;   in Loop: Header=BB267_478 Depth=1
	s_or_b32 exec_lo, exec_lo, s13
	v_lshrrev_b16 v1, 8, v1
	v_mov_b32_e32 v52, 0
	s_mov_b32 s13, exec_lo
	v_cmpx_ne_u16_e32 0, v1
	s_cbranch_execz .LBB267_658
; %bb.651:                              ;   in Loop: Header=BB267_478 Depth=1
	v_bfrev_b32_e32 v52, 1
	s_mov_b32 s17, exec_lo
	v_cmpx_ne_u16_e32 0x80, v1
	s_cbranch_execz .LBB267_657
; %bb.652:                              ;   in Loop: Header=BB267_478 Depth=1
	v_and_b32_sdwa v54, v1, v26 dst_sel:DWORD dst_unused:UNUSED_PAD src0_sel:WORD_0 src1_sel:DWORD
	v_mov_b32_e32 v52, 0x7c010000
	s_mov_b32 s18, exec_lo
	v_cmpx_ne_u32_e32 0x7f, v54
	s_cbranch_execz .LBB267_656
; %bb.653:                              ;   in Loop: Header=BB267_478 Depth=1
	v_and_b32_sdwa v52, v1, v27 dst_sel:DWORD dst_unused:UNUSED_PAD src0_sel:WORD_0 src1_sel:DWORD
	v_lshrrev_b32_e32 v53, 3, v54
	s_mov_b32 s19, exec_lo
	v_cmpx_gt_u32_e32 8, v54
; %bb.654:                              ;   in Loop: Header=BB267_478 Depth=1
	v_ffbh_u32_e32 v52, v52
	v_min_u32_e32 v54, 32, v52
	v_subrev_nc_u32_e32 v52, 28, v54
	v_lshlrev_b64 v[52:53], v52, v[1:2]
	v_sub_nc_u32_e32 v53, 29, v54
	v_and_b32_e32 v52, 7, v52
; %bb.655:                              ;   in Loop: Header=BB267_478 Depth=1
	s_or_b32 exec_lo, exec_lo, s19
	v_lshlrev_b32_sdwa v1, v28, v1 dst_sel:DWORD dst_unused:UNUSED_PAD src0_sel:DWORD src1_sel:WORD_0
	v_lshl_add_u32 v53, v53, 10, 0x2000
	v_lshlrev_b32_e32 v52, 23, v52
	v_and_or_b32 v1, 0x8000, v1, v53
	v_lshl_or_b32 v52, v1, 16, v52
.LBB267_656:                            ;   in Loop: Header=BB267_478 Depth=1
	s_or_b32 exec_lo, exec_lo, s18
.LBB267_657:                            ;   in Loop: Header=BB267_478 Depth=1
	s_or_b32 exec_lo, exec_lo, s17
.LBB267_658:                            ;   in Loop: Header=BB267_478 Depth=1
	s_or_b32 exec_lo, exec_lo, s13
	v_lshrrev_b32_e32 v1, 16, v10
	v_cmp_ne_u16_sdwa s0, v1, v2 src0_sel:BYTE_0 src1_sel:DWORD
	s_and_saveexec_b32 s13, s0
	s_cbranch_execz .LBB267_666
; %bb.659:                              ;   in Loop: Header=BB267_478 Depth=1
	v_cmp_ne_u16_sdwa s0, v1, v25 src0_sel:BYTE_0 src1_sel:DWORD
	v_mov_b32_e32 v50, 0x8000
	s_and_saveexec_b32 s17, s0
	s_cbranch_execz .LBB267_665
; %bb.660:                              ;   in Loop: Header=BB267_478 Depth=1
	v_bfe_u32 v54, v10, 16, 7
	v_mov_b32_e32 v50, 0x7c01
	s_mov_b32 s18, exec_lo
	v_cmpx_ne_u32_e32 0x7f, v54
	s_cbranch_execz .LBB267_664
; %bb.661:                              ;   in Loop: Header=BB267_478 Depth=1
	v_and_b32_e32 v50, 7, v1
	v_lshrrev_b32_e32 v53, 3, v54
	s_mov_b32 s19, exec_lo
	v_cmpx_gt_u32_e32 8, v54
; %bb.662:                              ;   in Loop: Header=BB267_478 Depth=1
	v_ffbh_u32_e32 v50, v50
	v_min_u32_e32 v50, 32, v50
	v_subrev_nc_u32_e32 v53, 28, v50
	v_lshlrev_b64 v[54:55], v53, v[1:2]
	v_sub_nc_u32_e32 v53, 29, v50
	v_and_b32_e32 v50, 7, v54
; %bb.663:                              ;   in Loop: Header=BB267_478 Depth=1
	s_or_b32 exec_lo, exec_lo, s19
	v_lshlrev_b32_e32 v1, 8, v1
	v_lshl_add_u32 v53, v53, 10, 0x2000
	v_lshlrev_b32_e32 v50, 7, v50
	v_and_b32_e32 v1, 0x8000, v1
	v_and_b32_e32 v53, 0xfc00, v53
	v_or3_b32 v50, v1, v53, v50
.LBB267_664:                            ;   in Loop: Header=BB267_478 Depth=1
	s_or_b32 exec_lo, exec_lo, s18
.LBB267_665:                            ;   in Loop: Header=BB267_478 Depth=1
	s_or_b32 exec_lo, exec_lo, s17
.LBB267_666:                            ;   in Loop: Header=BB267_478 Depth=1
	s_or_b32 exec_lo, exec_lo, s13
	v_cmp_lt_u64_e64 s0, s[2:3], v[9:10]
	v_mov_b32_e32 v9, 0
	s_and_saveexec_b32 s13, s0
	s_cbranch_execz .LBB267_674
; %bb.667:                              ;   in Loop: Header=BB267_478 Depth=1
	v_lshrrev_b32_e32 v1, 24, v10
	v_bfrev_b32_e32 v9, 1
	s_mov_b32 s17, exec_lo
	v_cmpx_ne_u32_e32 0x80, v1
	s_cbranch_execz .LBB267_673
; %bb.668:                              ;   in Loop: Header=BB267_478 Depth=1
	v_and_b32_e32 v53, 0x7f, v1
	v_mov_b32_e32 v9, 0x7c010000
	s_mov_b32 s18, exec_lo
	v_cmpx_ne_u32_e32 0x7f, v53
	s_cbranch_execz .LBB267_672
; %bb.669:                              ;   in Loop: Header=BB267_478 Depth=1
	v_and_b32_e32 v9, 7, v1
	v_lshrrev_b32_e32 v10, 3, v53
	s_mov_b32 s19, exec_lo
	v_cmpx_gt_u32_e32 8, v53
; %bb.670:                              ;   in Loop: Header=BB267_478 Depth=1
	v_ffbh_u32_e32 v9, v9
	v_min_u32_e32 v53, 32, v9
	v_subrev_nc_u32_e32 v9, 28, v53
	v_lshlrev_b64 v[9:10], v9, v[1:2]
	v_sub_nc_u32_e32 v10, 29, v53
	v_and_b32_e32 v9, 7, v9
; %bb.671:                              ;   in Loop: Header=BB267_478 Depth=1
	s_or_b32 exec_lo, exec_lo, s19
	v_lshlrev_b32_e32 v1, 8, v1
	v_lshl_add_u32 v10, v10, 10, 0x2000
	v_lshlrev_b32_e32 v9, 23, v9
	v_and_or_b32 v1, 0x8000, v1, v10
	v_lshl_or_b32 v9, v1, 16, v9
.LBB267_672:                            ;   in Loop: Header=BB267_478 Depth=1
	s_or_b32 exec_lo, exec_lo, s18
.LBB267_673:                            ;   in Loop: Header=BB267_478 Depth=1
	s_or_b32 exec_lo, exec_lo, s17
.LBB267_674:                            ;   in Loop: Header=BB267_478 Depth=1
	s_or_b32 exec_lo, exec_lo, s13
	v_or_b32_e32 v1, v48, v49
	s_waitcnt vmcnt(0)
	v_fma_mixlo_f16 v10, v45, v48, 0 op_sel:[0,1,0] op_sel_hi:[0,1,0]
	v_or_b32_e32 v48, v46, v47
	v_fma_mixlo_f16 v46, v45, v46, 0 op_sel:[0,1,0] op_sel_hi:[0,1,0]
	v_or_b32_e32 v49, v52, v51
	v_or_b32_e32 v50, v9, v50
	v_fma_mixlo_f16 v51, v45, v1, 0 op_sel_hi:[0,1,0]
	v_fma_mixlo_f16 v9, v45, v9, 0 op_sel:[0,1,0] op_sel_hi:[0,1,0]
	v_lshlrev_b32_e32 v47, 16, v46
	v_fma_mixlo_f16 v46, v45, v48, 0 op_sel_hi:[0,1,0]
	v_fma_mixlo_f16 v48, v45, v52, 0 op_sel:[0,1,0] op_sel_hi:[0,1,0]
	v_fma_mixlo_f16 v49, v45, v49, 0 op_sel_hi:[0,1,0]
	v_fma_mixlo_f16 v50, v45, v50, 0 op_sel_hi:[0,1,0]
	v_lshlrev_b32_e32 v1, 16, v10
	v_and_b32_e32 v10, 0xffff, v51
	v_and_b32_e32 v53, 0xffff, v46
	v_lshlrev_b32_e32 v45, 16, v48
	v_and_b32_e32 v49, 0xffff, v49
	v_lshlrev_b32_e32 v9, 16, v9
	v_and_b32_e32 v46, 0xffff, v50
	v_or_b32_e32 v48, v1, v10
	v_or_b32_e32 v52, v47, v53
	;; [unrolled: 1-line block ×4, first 2 shown]
	s_and_saveexec_b32 s13, vcc_lo
	s_cbranch_execz .LBB267_676
; %bb.675:                              ;   in Loop: Header=BB267_478 Depth=1
	v_cmp_gt_i32_e64 s0, s11, v30
	v_cndmask_b32_e64 v48, 0, v53, s0
	v_cmp_gt_i32_e64 s0, s11, v36
	v_cndmask_b32_e64 v47, 0, v47, s0
	v_cmp_gt_i32_e64 s0, s11, v35
	v_or_b32_e32 v52, v47, v48
	v_cndmask_b32_e64 v10, 0, v10, s0
	v_cmp_gt_i32_e64 s0, s11, v34
	v_cndmask_b32_e64 v1, 0, v1, s0
	v_cmp_gt_i32_e64 s0, s11, v33
	v_or_b32_e32 v48, v1, v10
	v_cndmask_b32_e64 v49, 0, v49, s0
	v_cmp_gt_i32_e64 s0, s11, v32
	v_cndmask_b32_e64 v45, 0, v45, s0
	v_cmp_gt_i32_e64 s0, s11, v31
	v_or_b32_e32 v51, v45, v49
	v_cndmask_b32_e64 v46, 0, v46, s0
	v_cmp_gt_i32_e64 s0, s11, v24
	v_cndmask_b32_e64 v9, 0, v9, s0
	v_or_b32_e32 v50, v9, v46
.LBB267_676:                            ;   in Loop: Header=BB267_478 Depth=1
	s_or_b32 exec_lo, exec_lo, s13
	;;#ASMSTART
	v_pk_mul_f16 v1, v41, v52;

	;;#ASMEND
	;;#ASMSTART
	v_pk_mul_f16 v9, v39, v48;

	;;#ASMEND
	;; [unrolled: 4-line block ×4, first 2 shown]
	;;#ASMSTART
	v_pk_add_f16 v1, v1, v9;

	;;#ASMEND
	;;#ASMSTART
	v_pk_add_f16 v1, v1, v10;

	;;#ASMEND
	;; [unrolled: 4-line block ×3, first 2 shown]
	v_and_b32_e32 v9, 0xffff, v1
	v_lshrrev_b32_e32 v1, 16, v1
	;;#ASMSTART
	v_cvt_f32_f16 v45, v9;
	;;#ASMEND
	;;#ASMSTART
	v_cvt_f32_f16 v46, v1;
	;;#ASMEND
	global_load_dwordx2 v[9:10], v[7:8], off offset:768
	v_mov_b32_e32 v48, 0
	v_mov_b32_e32 v49, 0
	global_load_dword v47, v48, s[14:15]
	s_waitcnt vmcnt(1)
	v_cmp_ne_u16_sdwa s0, v9, v2 src0_sel:BYTE_0 src1_sel:DWORD
	s_and_saveexec_b32 s13, s0
	s_cbranch_execz .LBB267_684
; %bb.677:                              ;   in Loop: Header=BB267_478 Depth=1
	v_cmp_ne_u16_sdwa s0, v9, v25 src0_sel:BYTE_0 src1_sel:DWORD
	v_mov_b32_e32 v49, 0x8000
	s_and_saveexec_b32 s17, s0
	s_cbranch_execz .LBB267_683
; %bb.678:                              ;   in Loop: Header=BB267_478 Depth=1
	v_and_b32_e32 v50, 0x7f, v9
	v_mov_b32_e32 v49, 0x7c01
	s_mov_b32 s18, exec_lo
	v_cmpx_ne_u32_e32 0x7f, v50
	s_cbranch_execz .LBB267_682
; %bb.679:                              ;   in Loop: Header=BB267_478 Depth=1
	v_and_b32_e32 v1, 7, v9
	v_lshrrev_b32_e32 v49, 3, v50
	s_mov_b32 s19, exec_lo
	v_cmpx_gt_u32_e32 8, v50
; %bb.680:                              ;   in Loop: Header=BB267_478 Depth=1
	v_ffbh_u32_e32 v1, v1
	v_min_u32_e32 v1, 32, v1
	v_subrev_nc_u32_e32 v49, 28, v1
	v_lshlrev_b64 v[50:51], v49, v[9:10]
	v_sub_nc_u32_e32 v49, 29, v1
	v_and_b32_e32 v1, 7, v50
; %bb.681:                              ;   in Loop: Header=BB267_478 Depth=1
	s_or_b32 exec_lo, exec_lo, s19
	v_lshlrev_b32_e32 v50, 8, v9
	v_lshl_add_u32 v49, v49, 10, 0x2000
	v_lshlrev_b32_e32 v1, 7, v1
	v_and_b32_e32 v50, 0x8000, v50
	v_and_b32_e32 v49, 0xfc00, v49
	v_or3_b32 v49, v50, v49, v1
.LBB267_682:                            ;   in Loop: Header=BB267_478 Depth=1
	s_or_b32 exec_lo, exec_lo, s18
.LBB267_683:                            ;   in Loop: Header=BB267_478 Depth=1
	s_or_b32 exec_lo, exec_lo, s17
.LBB267_684:                            ;   in Loop: Header=BB267_478 Depth=1
	s_or_b32 exec_lo, exec_lo, s13
	v_lshrrev_b16 v1, 8, v9
	s_mov_b32 s13, exec_lo
	v_cmpx_ne_u16_e32 0, v1
	s_cbranch_execz .LBB267_692
; %bb.685:                              ;   in Loop: Header=BB267_478 Depth=1
	v_bfrev_b32_e32 v48, 1
	s_mov_b32 s17, exec_lo
	v_cmpx_ne_u16_e32 0x80, v1
	s_cbranch_execz .LBB267_691
; %bb.686:                              ;   in Loop: Header=BB267_478 Depth=1
	v_and_b32_sdwa v51, v1, v26 dst_sel:DWORD dst_unused:UNUSED_PAD src0_sel:WORD_0 src1_sel:DWORD
	v_mov_b32_e32 v48, 0x7c010000
	s_mov_b32 s18, exec_lo
	v_cmpx_ne_u32_e32 0x7f, v51
	s_cbranch_execz .LBB267_690
; %bb.687:                              ;   in Loop: Header=BB267_478 Depth=1
	v_and_b32_sdwa v48, v1, v27 dst_sel:DWORD dst_unused:UNUSED_PAD src0_sel:WORD_0 src1_sel:DWORD
	v_lshrrev_b32_e32 v50, 3, v51
	s_mov_b32 s19, exec_lo
	v_cmpx_gt_u32_e32 8, v51
; %bb.688:                              ;   in Loop: Header=BB267_478 Depth=1
	v_ffbh_u32_e32 v48, v48
	v_min_u32_e32 v48, 32, v48
	v_subrev_nc_u32_e32 v50, 28, v48
	v_lshlrev_b64 v[51:52], v50, v[1:2]
	v_sub_nc_u32_e32 v50, 29, v48
	v_and_b32_e32 v48, 7, v51
; %bb.689:                              ;   in Loop: Header=BB267_478 Depth=1
	s_or_b32 exec_lo, exec_lo, s19
	v_lshlrev_b32_sdwa v1, v28, v1 dst_sel:DWORD dst_unused:UNUSED_PAD src0_sel:DWORD src1_sel:WORD_0
	v_lshl_add_u32 v50, v50, 10, 0x2000
	v_lshlrev_b32_e32 v48, 23, v48
	v_and_or_b32 v1, 0x8000, v1, v50
	v_lshl_or_b32 v48, v1, 16, v48
.LBB267_690:                            ;   in Loop: Header=BB267_478 Depth=1
	s_or_b32 exec_lo, exec_lo, s18
.LBB267_691:                            ;   in Loop: Header=BB267_478 Depth=1
	s_or_b32 exec_lo, exec_lo, s17
.LBB267_692:                            ;   in Loop: Header=BB267_478 Depth=1
	s_or_b32 exec_lo, exec_lo, s13
	v_lshrrev_b32_e32 v1, 16, v9
	v_mov_b32_e32 v50, 0
	v_mov_b32_e32 v51, 0
	v_cmp_ne_u16_sdwa s0, v1, v2 src0_sel:BYTE_0 src1_sel:DWORD
	s_and_saveexec_b32 s13, s0
	s_cbranch_execz .LBB267_700
; %bb.693:                              ;   in Loop: Header=BB267_478 Depth=1
	v_cmp_ne_u16_sdwa s0, v1, v25 src0_sel:BYTE_0 src1_sel:DWORD
	v_mov_b32_e32 v51, 0x8000
	s_and_saveexec_b32 s17, s0
	s_cbranch_execz .LBB267_699
; %bb.694:                              ;   in Loop: Header=BB267_478 Depth=1
	v_bfe_u32 v53, v9, 16, 7
	v_mov_b32_e32 v51, 0x7c01
	s_mov_b32 s18, exec_lo
	v_cmpx_ne_u32_e32 0x7f, v53
	s_cbranch_execz .LBB267_698
; %bb.695:                              ;   in Loop: Header=BB267_478 Depth=1
	v_and_b32_e32 v51, 7, v1
	v_lshrrev_b32_e32 v52, 3, v53
	s_mov_b32 s19, exec_lo
	v_cmpx_gt_u32_e32 8, v53
; %bb.696:                              ;   in Loop: Header=BB267_478 Depth=1
	v_ffbh_u32_e32 v51, v51
	v_min_u32_e32 v53, 32, v51
	v_subrev_nc_u32_e32 v51, 28, v53
	v_lshlrev_b64 v[51:52], v51, v[1:2]
	v_sub_nc_u32_e32 v52, 29, v53
	v_and_b32_e32 v51, 7, v51
; %bb.697:                              ;   in Loop: Header=BB267_478 Depth=1
	s_or_b32 exec_lo, exec_lo, s19
	v_lshlrev_b32_e32 v1, 8, v1
	v_lshl_add_u32 v52, v52, 10, 0x2000
	v_lshlrev_b32_e32 v51, 7, v51
	v_and_b32_e32 v1, 0x8000, v1
	v_and_b32_e32 v52, 0xfc00, v52
	v_or3_b32 v51, v1, v52, v51
.LBB267_698:                            ;   in Loop: Header=BB267_478 Depth=1
	s_or_b32 exec_lo, exec_lo, s18
.LBB267_699:                            ;   in Loop: Header=BB267_478 Depth=1
	s_or_b32 exec_lo, exec_lo, s17
.LBB267_700:                            ;   in Loop: Header=BB267_478 Depth=1
	s_or_b32 exec_lo, exec_lo, s13
	s_mov_b32 s13, exec_lo
	v_cmpx_lt_u32_e32 0xffffff, v9
	s_cbranch_execz .LBB267_708
; %bb.701:                              ;   in Loop: Header=BB267_478 Depth=1
	v_lshrrev_b32_e32 v1, 24, v9
	v_bfrev_b32_e32 v50, 1
	s_mov_b32 s17, exec_lo
	v_cmpx_ne_u32_e32 0x80, v1
	s_cbranch_execz .LBB267_707
; %bb.702:                              ;   in Loop: Header=BB267_478 Depth=1
	v_and_b32_e32 v53, 0x7f, v1
	v_mov_b32_e32 v50, 0x7c010000
	s_mov_b32 s18, exec_lo
	v_cmpx_ne_u32_e32 0x7f, v53
	s_cbranch_execz .LBB267_706
; %bb.703:                              ;   in Loop: Header=BB267_478 Depth=1
	v_and_b32_e32 v50, 7, v1
	v_lshrrev_b32_e32 v52, 3, v53
	s_mov_b32 s19, exec_lo
	v_cmpx_gt_u32_e32 8, v53
; %bb.704:                              ;   in Loop: Header=BB267_478 Depth=1
	v_ffbh_u32_e32 v50, v50
	v_min_u32_e32 v50, 32, v50
	v_subrev_nc_u32_e32 v52, 28, v50
	v_lshlrev_b64 v[53:54], v52, v[1:2]
	v_sub_nc_u32_e32 v52, 29, v50
	v_and_b32_e32 v50, 7, v53
; %bb.705:                              ;   in Loop: Header=BB267_478 Depth=1
	s_or_b32 exec_lo, exec_lo, s19
	v_lshlrev_b32_e32 v1, 8, v1
	v_lshl_add_u32 v52, v52, 10, 0x2000
	v_lshlrev_b32_e32 v50, 23, v50
	v_and_or_b32 v1, 0x8000, v1, v52
	v_lshl_or_b32 v50, v1, 16, v50
.LBB267_706:                            ;   in Loop: Header=BB267_478 Depth=1
	s_or_b32 exec_lo, exec_lo, s18
.LBB267_707:                            ;   in Loop: Header=BB267_478 Depth=1
	s_or_b32 exec_lo, exec_lo, s17
.LBB267_708:                            ;   in Loop: Header=BB267_478 Depth=1
	s_or_b32 exec_lo, exec_lo, s13
	v_mov_b32_e32 v1, v10
	v_cmp_ne_u16_sdwa s0, v10, v2 src0_sel:BYTE_0 src1_sel:DWORD
	v_mov_b32_e32 v52, 0
	v_mov_b32_e32 v53, 0
	s_and_saveexec_b32 s13, s0
	s_cbranch_execz .LBB267_716
; %bb.709:                              ;   in Loop: Header=BB267_478 Depth=1
	v_cmp_ne_u16_sdwa s0, v10, v25 src0_sel:BYTE_0 src1_sel:DWORD
	v_mov_b32_e32 v53, 0x8000
	s_and_saveexec_b32 s17, s0
	s_cbranch_execz .LBB267_715
; %bb.710:                              ;   in Loop: Header=BB267_478 Depth=1
	v_and_b32_e32 v55, 0x7f, v10
	v_mov_b32_e32 v53, 0x7c01
	s_mov_b32 s18, exec_lo
	v_cmpx_ne_u32_e32 0x7f, v55
	s_cbranch_execz .LBB267_714
; %bb.711:                              ;   in Loop: Header=BB267_478 Depth=1
	v_and_b32_e32 v53, 7, v10
	v_lshrrev_b32_e32 v54, 3, v55
	s_mov_b32 s19, exec_lo
	v_cmpx_gt_u32_e32 8, v55
; %bb.712:                              ;   in Loop: Header=BB267_478 Depth=1
	v_ffbh_u32_e32 v53, v53
	v_min_u32_e32 v55, 32, v53
	v_subrev_nc_u32_e32 v53, 28, v55
	v_lshlrev_b64 v[53:54], v53, v[1:2]
	v_sub_nc_u32_e32 v54, 29, v55
	v_and_b32_e32 v53, 7, v53
; %bb.713:                              ;   in Loop: Header=BB267_478 Depth=1
	s_or_b32 exec_lo, exec_lo, s19
	v_lshlrev_b32_e32 v55, 8, v10
	v_lshl_add_u32 v54, v54, 10, 0x2000
	v_lshlrev_b32_e32 v53, 7, v53
	v_and_b32_e32 v55, 0x8000, v55
	v_and_b32_e32 v54, 0xfc00, v54
	v_or3_b32 v53, v55, v54, v53
.LBB267_714:                            ;   in Loop: Header=BB267_478 Depth=1
	s_or_b32 exec_lo, exec_lo, s18
.LBB267_715:                            ;   in Loop: Header=BB267_478 Depth=1
	s_or_b32 exec_lo, exec_lo, s17
.LBB267_716:                            ;   in Loop: Header=BB267_478 Depth=1
	s_or_b32 exec_lo, exec_lo, s13
	v_lshrrev_b16 v1, 8, v1
	v_mov_b32_e32 v54, 0
	s_mov_b32 s13, exec_lo
	v_cmpx_ne_u16_e32 0, v1
	s_cbranch_execz .LBB267_724
; %bb.717:                              ;   in Loop: Header=BB267_478 Depth=1
	v_bfrev_b32_e32 v54, 1
	s_mov_b32 s17, exec_lo
	v_cmpx_ne_u16_e32 0x80, v1
	s_cbranch_execz .LBB267_723
; %bb.718:                              ;   in Loop: Header=BB267_478 Depth=1
	v_and_b32_sdwa v56, v1, v26 dst_sel:DWORD dst_unused:UNUSED_PAD src0_sel:WORD_0 src1_sel:DWORD
	v_mov_b32_e32 v54, 0x7c010000
	s_mov_b32 s18, exec_lo
	v_cmpx_ne_u32_e32 0x7f, v56
	s_cbranch_execz .LBB267_722
; %bb.719:                              ;   in Loop: Header=BB267_478 Depth=1
	v_and_b32_sdwa v54, v1, v27 dst_sel:DWORD dst_unused:UNUSED_PAD src0_sel:WORD_0 src1_sel:DWORD
	v_lshrrev_b32_e32 v55, 3, v56
	s_mov_b32 s19, exec_lo
	v_cmpx_gt_u32_e32 8, v56
; %bb.720:                              ;   in Loop: Header=BB267_478 Depth=1
	v_ffbh_u32_e32 v54, v54
	v_min_u32_e32 v56, 32, v54
	v_subrev_nc_u32_e32 v54, 28, v56
	v_lshlrev_b64 v[54:55], v54, v[1:2]
	v_sub_nc_u32_e32 v55, 29, v56
	v_and_b32_e32 v54, 7, v54
; %bb.721:                              ;   in Loop: Header=BB267_478 Depth=1
	s_or_b32 exec_lo, exec_lo, s19
	v_lshlrev_b32_sdwa v1, v28, v1 dst_sel:DWORD dst_unused:UNUSED_PAD src0_sel:DWORD src1_sel:WORD_0
	v_lshl_add_u32 v55, v55, 10, 0x2000
	v_lshlrev_b32_e32 v54, 23, v54
	v_and_or_b32 v1, 0x8000, v1, v55
	v_lshl_or_b32 v54, v1, 16, v54
.LBB267_722:                            ;   in Loop: Header=BB267_478 Depth=1
	s_or_b32 exec_lo, exec_lo, s18
.LBB267_723:                            ;   in Loop: Header=BB267_478 Depth=1
	s_or_b32 exec_lo, exec_lo, s17
.LBB267_724:                            ;   in Loop: Header=BB267_478 Depth=1
	s_or_b32 exec_lo, exec_lo, s13
	v_lshrrev_b32_e32 v1, 16, v10
	v_cmp_ne_u16_sdwa s0, v1, v2 src0_sel:BYTE_0 src1_sel:DWORD
	s_and_saveexec_b32 s13, s0
	s_cbranch_execz .LBB267_732
; %bb.725:                              ;   in Loop: Header=BB267_478 Depth=1
	v_cmp_ne_u16_sdwa s0, v1, v25 src0_sel:BYTE_0 src1_sel:DWORD
	v_mov_b32_e32 v52, 0x8000
	s_and_saveexec_b32 s17, s0
	s_cbranch_execz .LBB267_731
; %bb.726:                              ;   in Loop: Header=BB267_478 Depth=1
	v_bfe_u32 v56, v10, 16, 7
	v_mov_b32_e32 v52, 0x7c01
	s_mov_b32 s18, exec_lo
	v_cmpx_ne_u32_e32 0x7f, v56
	s_cbranch_execz .LBB267_730
; %bb.727:                              ;   in Loop: Header=BB267_478 Depth=1
	v_and_b32_e32 v52, 7, v1
	v_lshrrev_b32_e32 v55, 3, v56
	s_mov_b32 s19, exec_lo
	v_cmpx_gt_u32_e32 8, v56
; %bb.728:                              ;   in Loop: Header=BB267_478 Depth=1
	v_ffbh_u32_e32 v52, v52
	v_min_u32_e32 v52, 32, v52
	v_subrev_nc_u32_e32 v55, 28, v52
	v_lshlrev_b64 v[56:57], v55, v[1:2]
	v_sub_nc_u32_e32 v55, 29, v52
	v_and_b32_e32 v52, 7, v56
; %bb.729:                              ;   in Loop: Header=BB267_478 Depth=1
	s_or_b32 exec_lo, exec_lo, s19
	v_lshlrev_b32_e32 v1, 8, v1
	v_lshl_add_u32 v55, v55, 10, 0x2000
	v_lshlrev_b32_e32 v52, 7, v52
	v_and_b32_e32 v1, 0x8000, v1
	v_and_b32_e32 v55, 0xfc00, v55
	v_or3_b32 v52, v1, v55, v52
.LBB267_730:                            ;   in Loop: Header=BB267_478 Depth=1
	s_or_b32 exec_lo, exec_lo, s18
.LBB267_731:                            ;   in Loop: Header=BB267_478 Depth=1
	s_or_b32 exec_lo, exec_lo, s17
.LBB267_732:                            ;   in Loop: Header=BB267_478 Depth=1
	s_or_b32 exec_lo, exec_lo, s13
	v_cmp_lt_u64_e64 s0, s[2:3], v[9:10]
	v_mov_b32_e32 v9, 0
	s_and_saveexec_b32 s13, s0
	s_cbranch_execz .LBB267_740
; %bb.733:                              ;   in Loop: Header=BB267_478 Depth=1
	v_lshrrev_b32_e32 v1, 24, v10
	v_bfrev_b32_e32 v9, 1
	s_mov_b32 s17, exec_lo
	v_cmpx_ne_u32_e32 0x80, v1
	s_cbranch_execz .LBB267_739
; %bb.734:                              ;   in Loop: Header=BB267_478 Depth=1
	v_and_b32_e32 v55, 0x7f, v1
	v_mov_b32_e32 v9, 0x7c010000
	s_mov_b32 s18, exec_lo
	v_cmpx_ne_u32_e32 0x7f, v55
	s_cbranch_execz .LBB267_738
; %bb.735:                              ;   in Loop: Header=BB267_478 Depth=1
	v_and_b32_e32 v9, 7, v1
	v_lshrrev_b32_e32 v10, 3, v55
	s_mov_b32 s19, exec_lo
	v_cmpx_gt_u32_e32 8, v55
; %bb.736:                              ;   in Loop: Header=BB267_478 Depth=1
	v_ffbh_u32_e32 v9, v9
	v_min_u32_e32 v55, 32, v9
	v_subrev_nc_u32_e32 v9, 28, v55
	v_lshlrev_b64 v[9:10], v9, v[1:2]
	v_sub_nc_u32_e32 v10, 29, v55
	v_and_b32_e32 v9, 7, v9
; %bb.737:                              ;   in Loop: Header=BB267_478 Depth=1
	s_or_b32 exec_lo, exec_lo, s19
	v_lshlrev_b32_e32 v1, 8, v1
	v_lshl_add_u32 v10, v10, 10, 0x2000
	v_lshlrev_b32_e32 v9, 23, v9
	v_and_or_b32 v1, 0x8000, v1, v10
	v_lshl_or_b32 v9, v1, 16, v9
.LBB267_738:                            ;   in Loop: Header=BB267_478 Depth=1
	s_or_b32 exec_lo, exec_lo, s18
.LBB267_739:                            ;   in Loop: Header=BB267_478 Depth=1
	s_or_b32 exec_lo, exec_lo, s17
.LBB267_740:                            ;   in Loop: Header=BB267_478 Depth=1
	s_or_b32 exec_lo, exec_lo, s13
	v_or_b32_e32 v1, v50, v51
	s_waitcnt vmcnt(0)
	v_fma_mixlo_f16 v10, v47, v50, 0 op_sel:[0,1,0] op_sel_hi:[0,1,0]
	v_or_b32_e32 v50, v48, v49
	v_fma_mixlo_f16 v48, v47, v48, 0 op_sel:[0,1,0] op_sel_hi:[0,1,0]
	v_or_b32_e32 v51, v54, v53
	v_or_b32_e32 v52, v9, v52
	v_fma_mixlo_f16 v53, v47, v1, 0 op_sel_hi:[0,1,0]
	v_fma_mixlo_f16 v9, v47, v9, 0 op_sel:[0,1,0] op_sel_hi:[0,1,0]
	v_lshlrev_b32_e32 v49, 16, v48
	v_fma_mixlo_f16 v48, v47, v50, 0 op_sel_hi:[0,1,0]
	v_fma_mixlo_f16 v50, v47, v54, 0 op_sel:[0,1,0] op_sel_hi:[0,1,0]
	v_fma_mixlo_f16 v51, v47, v51, 0 op_sel_hi:[0,1,0]
	v_fma_mixlo_f16 v52, v47, v52, 0 op_sel_hi:[0,1,0]
	v_lshlrev_b32_e32 v1, 16, v10
	v_and_b32_e32 v10, 0xffff, v53
	v_and_b32_e32 v55, 0xffff, v48
	v_lshlrev_b32_e32 v47, 16, v50
	v_and_b32_e32 v51, 0xffff, v51
	v_lshlrev_b32_e32 v9, 16, v9
	v_and_b32_e32 v48, 0xffff, v52
	v_or_b32_e32 v50, v1, v10
	v_or_b32_e32 v54, v49, v55
	;; [unrolled: 1-line block ×4, first 2 shown]
	s_and_saveexec_b32 s13, vcc_lo
	s_cbranch_execz .LBB267_742
; %bb.741:                              ;   in Loop: Header=BB267_478 Depth=1
	v_cmp_gt_i32_e64 s0, s11, v30
	v_cndmask_b32_e64 v50, 0, v55, s0
	v_cmp_gt_i32_e64 s0, s11, v36
	v_cndmask_b32_e64 v49, 0, v49, s0
	v_cmp_gt_i32_e64 s0, s11, v35
	v_or_b32_e32 v54, v49, v50
	v_cndmask_b32_e64 v10, 0, v10, s0
	v_cmp_gt_i32_e64 s0, s11, v34
	v_cndmask_b32_e64 v1, 0, v1, s0
	v_cmp_gt_i32_e64 s0, s11, v33
	v_or_b32_e32 v50, v1, v10
	;; [unrolled: 5-line block ×3, first 2 shown]
	v_cndmask_b32_e64 v48, 0, v48, s0
	v_cmp_gt_i32_e64 s0, s11, v24
	v_cndmask_b32_e64 v9, 0, v9, s0
	v_or_b32_e32 v52, v9, v48
.LBB267_742:                            ;   in Loop: Header=BB267_478 Depth=1
	s_or_b32 exec_lo, exec_lo, s13
	;;#ASMSTART
	v_pk_mul_f16 v1, v41, v54;

	;;#ASMEND
	;;#ASMSTART
	v_pk_mul_f16 v9, v39, v50;

	;;#ASMEND
	;; [unrolled: 4-line block ×4, first 2 shown]
	;;#ASMSTART
	v_pk_add_f16 v1, v1, v9;

	;;#ASMEND
	;;#ASMSTART
	v_pk_add_f16 v1, v1, v10;

	;;#ASMEND
	;; [unrolled: 4-line block ×3, first 2 shown]
	v_and_b32_e32 v9, 0xffff, v1
	v_lshrrev_b32_e32 v1, 16, v1
	;;#ASMSTART
	v_cvt_f32_f16 v47, v9;
	;;#ASMEND
	;;#ASMSTART
	v_cvt_f32_f16 v48, v1;
	;;#ASMEND
	global_load_dwordx2 v[9:10], v[7:8], off offset:1024
	v_mov_b32_e32 v50, 0
	v_mov_b32_e32 v51, 0
	global_load_dword v49, v50, s[14:15]
	s_waitcnt vmcnt(1)
	v_cmp_ne_u16_sdwa s0, v9, v2 src0_sel:BYTE_0 src1_sel:DWORD
	s_and_saveexec_b32 s13, s0
	s_cbranch_execz .LBB267_750
; %bb.743:                              ;   in Loop: Header=BB267_478 Depth=1
	v_cmp_ne_u16_sdwa s0, v9, v25 src0_sel:BYTE_0 src1_sel:DWORD
	v_mov_b32_e32 v51, 0x8000
	s_and_saveexec_b32 s17, s0
	s_cbranch_execz .LBB267_749
; %bb.744:                              ;   in Loop: Header=BB267_478 Depth=1
	v_and_b32_e32 v52, 0x7f, v9
	v_mov_b32_e32 v51, 0x7c01
	s_mov_b32 s18, exec_lo
	v_cmpx_ne_u32_e32 0x7f, v52
	s_cbranch_execz .LBB267_748
; %bb.745:                              ;   in Loop: Header=BB267_478 Depth=1
	v_and_b32_e32 v1, 7, v9
	v_lshrrev_b32_e32 v51, 3, v52
	s_mov_b32 s19, exec_lo
	v_cmpx_gt_u32_e32 8, v52
; %bb.746:                              ;   in Loop: Header=BB267_478 Depth=1
	v_ffbh_u32_e32 v1, v1
	v_min_u32_e32 v1, 32, v1
	v_subrev_nc_u32_e32 v51, 28, v1
	v_lshlrev_b64 v[52:53], v51, v[9:10]
	v_sub_nc_u32_e32 v51, 29, v1
	v_and_b32_e32 v1, 7, v52
; %bb.747:                              ;   in Loop: Header=BB267_478 Depth=1
	s_or_b32 exec_lo, exec_lo, s19
	v_lshlrev_b32_e32 v52, 8, v9
	v_lshl_add_u32 v51, v51, 10, 0x2000
	v_lshlrev_b32_e32 v1, 7, v1
	v_and_b32_e32 v52, 0x8000, v52
	v_and_b32_e32 v51, 0xfc00, v51
	v_or3_b32 v51, v52, v51, v1
.LBB267_748:                            ;   in Loop: Header=BB267_478 Depth=1
	s_or_b32 exec_lo, exec_lo, s18
.LBB267_749:                            ;   in Loop: Header=BB267_478 Depth=1
	s_or_b32 exec_lo, exec_lo, s17
.LBB267_750:                            ;   in Loop: Header=BB267_478 Depth=1
	s_or_b32 exec_lo, exec_lo, s13
	v_lshrrev_b16 v1, 8, v9
	s_mov_b32 s13, exec_lo
	v_cmpx_ne_u16_e32 0, v1
	s_cbranch_execz .LBB267_758
; %bb.751:                              ;   in Loop: Header=BB267_478 Depth=1
	v_bfrev_b32_e32 v50, 1
	s_mov_b32 s17, exec_lo
	v_cmpx_ne_u16_e32 0x80, v1
	s_cbranch_execz .LBB267_757
; %bb.752:                              ;   in Loop: Header=BB267_478 Depth=1
	v_and_b32_sdwa v53, v1, v26 dst_sel:DWORD dst_unused:UNUSED_PAD src0_sel:WORD_0 src1_sel:DWORD
	v_mov_b32_e32 v50, 0x7c010000
	s_mov_b32 s18, exec_lo
	v_cmpx_ne_u32_e32 0x7f, v53
	s_cbranch_execz .LBB267_756
; %bb.753:                              ;   in Loop: Header=BB267_478 Depth=1
	v_and_b32_sdwa v50, v1, v27 dst_sel:DWORD dst_unused:UNUSED_PAD src0_sel:WORD_0 src1_sel:DWORD
	v_lshrrev_b32_e32 v52, 3, v53
	s_mov_b32 s19, exec_lo
	v_cmpx_gt_u32_e32 8, v53
; %bb.754:                              ;   in Loop: Header=BB267_478 Depth=1
	v_ffbh_u32_e32 v50, v50
	v_min_u32_e32 v50, 32, v50
	v_subrev_nc_u32_e32 v52, 28, v50
	v_lshlrev_b64 v[53:54], v52, v[1:2]
	v_sub_nc_u32_e32 v52, 29, v50
	v_and_b32_e32 v50, 7, v53
; %bb.755:                              ;   in Loop: Header=BB267_478 Depth=1
	s_or_b32 exec_lo, exec_lo, s19
	v_lshlrev_b32_sdwa v1, v28, v1 dst_sel:DWORD dst_unused:UNUSED_PAD src0_sel:DWORD src1_sel:WORD_0
	v_lshl_add_u32 v52, v52, 10, 0x2000
	v_lshlrev_b32_e32 v50, 23, v50
	v_and_or_b32 v1, 0x8000, v1, v52
	v_lshl_or_b32 v50, v1, 16, v50
.LBB267_756:                            ;   in Loop: Header=BB267_478 Depth=1
	s_or_b32 exec_lo, exec_lo, s18
.LBB267_757:                            ;   in Loop: Header=BB267_478 Depth=1
	s_or_b32 exec_lo, exec_lo, s17
.LBB267_758:                            ;   in Loop: Header=BB267_478 Depth=1
	s_or_b32 exec_lo, exec_lo, s13
	v_lshrrev_b32_e32 v1, 16, v9
	v_mov_b32_e32 v52, 0
	v_mov_b32_e32 v53, 0
	v_cmp_ne_u16_sdwa s0, v1, v2 src0_sel:BYTE_0 src1_sel:DWORD
	s_and_saveexec_b32 s13, s0
	s_cbranch_execz .LBB267_766
; %bb.759:                              ;   in Loop: Header=BB267_478 Depth=1
	v_cmp_ne_u16_sdwa s0, v1, v25 src0_sel:BYTE_0 src1_sel:DWORD
	v_mov_b32_e32 v53, 0x8000
	s_and_saveexec_b32 s17, s0
	s_cbranch_execz .LBB267_765
; %bb.760:                              ;   in Loop: Header=BB267_478 Depth=1
	v_bfe_u32 v55, v9, 16, 7
	v_mov_b32_e32 v53, 0x7c01
	s_mov_b32 s18, exec_lo
	v_cmpx_ne_u32_e32 0x7f, v55
	s_cbranch_execz .LBB267_764
; %bb.761:                              ;   in Loop: Header=BB267_478 Depth=1
	v_and_b32_e32 v53, 7, v1
	v_lshrrev_b32_e32 v54, 3, v55
	s_mov_b32 s19, exec_lo
	v_cmpx_gt_u32_e32 8, v55
; %bb.762:                              ;   in Loop: Header=BB267_478 Depth=1
	v_ffbh_u32_e32 v53, v53
	v_min_u32_e32 v55, 32, v53
	v_subrev_nc_u32_e32 v53, 28, v55
	v_lshlrev_b64 v[53:54], v53, v[1:2]
	v_sub_nc_u32_e32 v54, 29, v55
	v_and_b32_e32 v53, 7, v53
; %bb.763:                              ;   in Loop: Header=BB267_478 Depth=1
	s_or_b32 exec_lo, exec_lo, s19
	v_lshlrev_b32_e32 v1, 8, v1
	v_lshl_add_u32 v54, v54, 10, 0x2000
	v_lshlrev_b32_e32 v53, 7, v53
	v_and_b32_e32 v1, 0x8000, v1
	v_and_b32_e32 v54, 0xfc00, v54
	v_or3_b32 v53, v1, v54, v53
.LBB267_764:                            ;   in Loop: Header=BB267_478 Depth=1
	s_or_b32 exec_lo, exec_lo, s18
.LBB267_765:                            ;   in Loop: Header=BB267_478 Depth=1
	s_or_b32 exec_lo, exec_lo, s17
.LBB267_766:                            ;   in Loop: Header=BB267_478 Depth=1
	s_or_b32 exec_lo, exec_lo, s13
	s_mov_b32 s13, exec_lo
	v_cmpx_lt_u32_e32 0xffffff, v9
	s_cbranch_execz .LBB267_774
; %bb.767:                              ;   in Loop: Header=BB267_478 Depth=1
	v_lshrrev_b32_e32 v1, 24, v9
	v_bfrev_b32_e32 v52, 1
	s_mov_b32 s17, exec_lo
	v_cmpx_ne_u32_e32 0x80, v1
	s_cbranch_execz .LBB267_773
; %bb.768:                              ;   in Loop: Header=BB267_478 Depth=1
	v_and_b32_e32 v55, 0x7f, v1
	v_mov_b32_e32 v52, 0x7c010000
	s_mov_b32 s18, exec_lo
	v_cmpx_ne_u32_e32 0x7f, v55
	s_cbranch_execz .LBB267_772
; %bb.769:                              ;   in Loop: Header=BB267_478 Depth=1
	v_and_b32_e32 v52, 7, v1
	v_lshrrev_b32_e32 v54, 3, v55
	s_mov_b32 s19, exec_lo
	v_cmpx_gt_u32_e32 8, v55
; %bb.770:                              ;   in Loop: Header=BB267_478 Depth=1
	v_ffbh_u32_e32 v52, v52
	v_min_u32_e32 v52, 32, v52
	v_subrev_nc_u32_e32 v54, 28, v52
	v_lshlrev_b64 v[55:56], v54, v[1:2]
	v_sub_nc_u32_e32 v54, 29, v52
	v_and_b32_e32 v52, 7, v55
; %bb.771:                              ;   in Loop: Header=BB267_478 Depth=1
	s_or_b32 exec_lo, exec_lo, s19
	v_lshlrev_b32_e32 v1, 8, v1
	v_lshl_add_u32 v54, v54, 10, 0x2000
	v_lshlrev_b32_e32 v52, 23, v52
	v_and_or_b32 v1, 0x8000, v1, v54
	v_lshl_or_b32 v52, v1, 16, v52
.LBB267_772:                            ;   in Loop: Header=BB267_478 Depth=1
	s_or_b32 exec_lo, exec_lo, s18
.LBB267_773:                            ;   in Loop: Header=BB267_478 Depth=1
	s_or_b32 exec_lo, exec_lo, s17
.LBB267_774:                            ;   in Loop: Header=BB267_478 Depth=1
	s_or_b32 exec_lo, exec_lo, s13
	v_mov_b32_e32 v1, v10
	v_cmp_ne_u16_sdwa s0, v10, v2 src0_sel:BYTE_0 src1_sel:DWORD
	v_mov_b32_e32 v54, 0
	v_mov_b32_e32 v55, 0
	s_and_saveexec_b32 s13, s0
	s_cbranch_execz .LBB267_782
; %bb.775:                              ;   in Loop: Header=BB267_478 Depth=1
	v_cmp_ne_u16_sdwa s0, v10, v25 src0_sel:BYTE_0 src1_sel:DWORD
	v_mov_b32_e32 v55, 0x8000
	s_and_saveexec_b32 s17, s0
	s_cbranch_execz .LBB267_781
; %bb.776:                              ;   in Loop: Header=BB267_478 Depth=1
	v_and_b32_e32 v57, 0x7f, v10
	v_mov_b32_e32 v55, 0x7c01
	s_mov_b32 s18, exec_lo
	v_cmpx_ne_u32_e32 0x7f, v57
	s_cbranch_execz .LBB267_780
; %bb.777:                              ;   in Loop: Header=BB267_478 Depth=1
	v_and_b32_e32 v55, 7, v10
	v_lshrrev_b32_e32 v56, 3, v57
	s_mov_b32 s19, exec_lo
	v_cmpx_gt_u32_e32 8, v57
; %bb.778:                              ;   in Loop: Header=BB267_478 Depth=1
	v_ffbh_u32_e32 v55, v55
	v_min_u32_e32 v57, 32, v55
	v_subrev_nc_u32_e32 v55, 28, v57
	v_lshlrev_b64 v[55:56], v55, v[1:2]
	v_sub_nc_u32_e32 v56, 29, v57
	v_and_b32_e32 v55, 7, v55
; %bb.779:                              ;   in Loop: Header=BB267_478 Depth=1
	s_or_b32 exec_lo, exec_lo, s19
	v_lshlrev_b32_e32 v57, 8, v10
	v_lshl_add_u32 v56, v56, 10, 0x2000
	v_lshlrev_b32_e32 v55, 7, v55
	v_and_b32_e32 v57, 0x8000, v57
	v_and_b32_e32 v56, 0xfc00, v56
	v_or3_b32 v55, v57, v56, v55
.LBB267_780:                            ;   in Loop: Header=BB267_478 Depth=1
	s_or_b32 exec_lo, exec_lo, s18
.LBB267_781:                            ;   in Loop: Header=BB267_478 Depth=1
	s_or_b32 exec_lo, exec_lo, s17
.LBB267_782:                            ;   in Loop: Header=BB267_478 Depth=1
	s_or_b32 exec_lo, exec_lo, s13
	v_lshrrev_b16 v1, 8, v1
	v_mov_b32_e32 v56, 0
	s_mov_b32 s13, exec_lo
	v_cmpx_ne_u16_e32 0, v1
	s_cbranch_execz .LBB267_790
; %bb.783:                              ;   in Loop: Header=BB267_478 Depth=1
	v_bfrev_b32_e32 v56, 1
	s_mov_b32 s17, exec_lo
	v_cmpx_ne_u16_e32 0x80, v1
	s_cbranch_execz .LBB267_789
; %bb.784:                              ;   in Loop: Header=BB267_478 Depth=1
	v_and_b32_sdwa v58, v1, v26 dst_sel:DWORD dst_unused:UNUSED_PAD src0_sel:WORD_0 src1_sel:DWORD
	v_mov_b32_e32 v56, 0x7c010000
	s_mov_b32 s18, exec_lo
	v_cmpx_ne_u32_e32 0x7f, v58
	s_cbranch_execz .LBB267_788
; %bb.785:                              ;   in Loop: Header=BB267_478 Depth=1
	v_and_b32_sdwa v56, v1, v27 dst_sel:DWORD dst_unused:UNUSED_PAD src0_sel:WORD_0 src1_sel:DWORD
	v_lshrrev_b32_e32 v57, 3, v58
	s_mov_b32 s19, exec_lo
	v_cmpx_gt_u32_e32 8, v58
; %bb.786:                              ;   in Loop: Header=BB267_478 Depth=1
	v_ffbh_u32_e32 v56, v56
	v_min_u32_e32 v58, 32, v56
	v_subrev_nc_u32_e32 v56, 28, v58
	v_lshlrev_b64 v[56:57], v56, v[1:2]
	v_sub_nc_u32_e32 v57, 29, v58
	v_and_b32_e32 v56, 7, v56
; %bb.787:                              ;   in Loop: Header=BB267_478 Depth=1
	s_or_b32 exec_lo, exec_lo, s19
	v_lshlrev_b32_sdwa v1, v28, v1 dst_sel:DWORD dst_unused:UNUSED_PAD src0_sel:DWORD src1_sel:WORD_0
	v_lshl_add_u32 v57, v57, 10, 0x2000
	v_lshlrev_b32_e32 v56, 23, v56
	v_and_or_b32 v1, 0x8000, v1, v57
	v_lshl_or_b32 v56, v1, 16, v56
.LBB267_788:                            ;   in Loop: Header=BB267_478 Depth=1
	s_or_b32 exec_lo, exec_lo, s18
.LBB267_789:                            ;   in Loop: Header=BB267_478 Depth=1
	s_or_b32 exec_lo, exec_lo, s17
.LBB267_790:                            ;   in Loop: Header=BB267_478 Depth=1
	s_or_b32 exec_lo, exec_lo, s13
	v_lshrrev_b32_e32 v1, 16, v10
	v_cmp_ne_u16_sdwa s0, v1, v2 src0_sel:BYTE_0 src1_sel:DWORD
	s_and_saveexec_b32 s13, s0
	s_cbranch_execz .LBB267_798
; %bb.791:                              ;   in Loop: Header=BB267_478 Depth=1
	v_cmp_ne_u16_sdwa s0, v1, v25 src0_sel:BYTE_0 src1_sel:DWORD
	v_mov_b32_e32 v54, 0x8000
	s_and_saveexec_b32 s17, s0
	s_cbranch_execz .LBB267_797
; %bb.792:                              ;   in Loop: Header=BB267_478 Depth=1
	v_bfe_u32 v58, v10, 16, 7
	v_mov_b32_e32 v54, 0x7c01
	s_mov_b32 s18, exec_lo
	v_cmpx_ne_u32_e32 0x7f, v58
	s_cbranch_execz .LBB267_796
; %bb.793:                              ;   in Loop: Header=BB267_478 Depth=1
	v_and_b32_e32 v54, 7, v1
	v_lshrrev_b32_e32 v57, 3, v58
	s_mov_b32 s19, exec_lo
	v_cmpx_gt_u32_e32 8, v58
; %bb.794:                              ;   in Loop: Header=BB267_478 Depth=1
	v_ffbh_u32_e32 v54, v54
	v_min_u32_e32 v54, 32, v54
	v_subrev_nc_u32_e32 v57, 28, v54
	v_lshlrev_b64 v[58:59], v57, v[1:2]
	v_sub_nc_u32_e32 v57, 29, v54
	v_and_b32_e32 v54, 7, v58
; %bb.795:                              ;   in Loop: Header=BB267_478 Depth=1
	s_or_b32 exec_lo, exec_lo, s19
	v_lshlrev_b32_e32 v1, 8, v1
	v_lshl_add_u32 v57, v57, 10, 0x2000
	v_lshlrev_b32_e32 v54, 7, v54
	v_and_b32_e32 v1, 0x8000, v1
	v_and_b32_e32 v57, 0xfc00, v57
	v_or3_b32 v54, v1, v57, v54
.LBB267_796:                            ;   in Loop: Header=BB267_478 Depth=1
	s_or_b32 exec_lo, exec_lo, s18
.LBB267_797:                            ;   in Loop: Header=BB267_478 Depth=1
	s_or_b32 exec_lo, exec_lo, s17
.LBB267_798:                            ;   in Loop: Header=BB267_478 Depth=1
	s_or_b32 exec_lo, exec_lo, s13
	v_cmp_lt_u64_e64 s0, s[2:3], v[9:10]
	v_mov_b32_e32 v9, 0
	s_and_saveexec_b32 s13, s0
	s_cbranch_execz .LBB267_806
; %bb.799:                              ;   in Loop: Header=BB267_478 Depth=1
	v_lshrrev_b32_e32 v1, 24, v10
	v_bfrev_b32_e32 v9, 1
	s_mov_b32 s17, exec_lo
	v_cmpx_ne_u32_e32 0x80, v1
	s_cbranch_execz .LBB267_805
; %bb.800:                              ;   in Loop: Header=BB267_478 Depth=1
	v_and_b32_e32 v57, 0x7f, v1
	v_mov_b32_e32 v9, 0x7c010000
	s_mov_b32 s18, exec_lo
	v_cmpx_ne_u32_e32 0x7f, v57
	s_cbranch_execz .LBB267_804
; %bb.801:                              ;   in Loop: Header=BB267_478 Depth=1
	v_and_b32_e32 v9, 7, v1
	v_lshrrev_b32_e32 v10, 3, v57
	s_mov_b32 s19, exec_lo
	v_cmpx_gt_u32_e32 8, v57
; %bb.802:                              ;   in Loop: Header=BB267_478 Depth=1
	v_ffbh_u32_e32 v9, v9
	v_min_u32_e32 v57, 32, v9
	v_subrev_nc_u32_e32 v9, 28, v57
	v_lshlrev_b64 v[9:10], v9, v[1:2]
	v_sub_nc_u32_e32 v10, 29, v57
	v_and_b32_e32 v9, 7, v9
; %bb.803:                              ;   in Loop: Header=BB267_478 Depth=1
	s_or_b32 exec_lo, exec_lo, s19
	v_lshlrev_b32_e32 v1, 8, v1
	v_lshl_add_u32 v10, v10, 10, 0x2000
	v_lshlrev_b32_e32 v9, 23, v9
	v_and_or_b32 v1, 0x8000, v1, v10
	v_lshl_or_b32 v9, v1, 16, v9
.LBB267_804:                            ;   in Loop: Header=BB267_478 Depth=1
	s_or_b32 exec_lo, exec_lo, s18
.LBB267_805:                            ;   in Loop: Header=BB267_478 Depth=1
	s_or_b32 exec_lo, exec_lo, s17
.LBB267_806:                            ;   in Loop: Header=BB267_478 Depth=1
	s_or_b32 exec_lo, exec_lo, s13
	v_or_b32_e32 v1, v52, v53
	s_waitcnt vmcnt(0)
	v_fma_mixlo_f16 v10, v49, v52, 0 op_sel:[0,1,0] op_sel_hi:[0,1,0]
	v_or_b32_e32 v52, v50, v51
	v_fma_mixlo_f16 v50, v49, v50, 0 op_sel:[0,1,0] op_sel_hi:[0,1,0]
	v_or_b32_e32 v53, v56, v55
	v_or_b32_e32 v54, v9, v54
	v_fma_mixlo_f16 v55, v49, v1, 0 op_sel_hi:[0,1,0]
	v_fma_mixlo_f16 v9, v49, v9, 0 op_sel:[0,1,0] op_sel_hi:[0,1,0]
	v_lshlrev_b32_e32 v51, 16, v50
	v_fma_mixlo_f16 v50, v49, v52, 0 op_sel_hi:[0,1,0]
	v_fma_mixlo_f16 v52, v49, v56, 0 op_sel:[0,1,0] op_sel_hi:[0,1,0]
	v_fma_mixlo_f16 v53, v49, v53, 0 op_sel_hi:[0,1,0]
	v_fma_mixlo_f16 v54, v49, v54, 0 op_sel_hi:[0,1,0]
	v_lshlrev_b32_e32 v1, 16, v10
	v_and_b32_e32 v10, 0xffff, v55
	v_and_b32_e32 v57, 0xffff, v50
	v_lshlrev_b32_e32 v49, 16, v52
	v_and_b32_e32 v53, 0xffff, v53
	v_lshlrev_b32_e32 v9, 16, v9
	v_and_b32_e32 v50, 0xffff, v54
	v_or_b32_e32 v52, v1, v10
	v_or_b32_e32 v56, v51, v57
	;; [unrolled: 1-line block ×4, first 2 shown]
	s_and_saveexec_b32 s13, vcc_lo
	s_cbranch_execz .LBB267_808
; %bb.807:                              ;   in Loop: Header=BB267_478 Depth=1
	v_cmp_gt_i32_e64 s0, s11, v30
	v_cndmask_b32_e64 v52, 0, v57, s0
	v_cmp_gt_i32_e64 s0, s11, v36
	v_cndmask_b32_e64 v51, 0, v51, s0
	v_cmp_gt_i32_e64 s0, s11, v35
	v_or_b32_e32 v56, v51, v52
	v_cndmask_b32_e64 v10, 0, v10, s0
	v_cmp_gt_i32_e64 s0, s11, v34
	v_cndmask_b32_e64 v1, 0, v1, s0
	v_cmp_gt_i32_e64 s0, s11, v33
	v_or_b32_e32 v52, v1, v10
	;; [unrolled: 5-line block ×3, first 2 shown]
	v_cndmask_b32_e64 v50, 0, v50, s0
	v_cmp_gt_i32_e64 s0, s11, v24
	v_cndmask_b32_e64 v9, 0, v9, s0
	v_or_b32_e32 v54, v9, v50
.LBB267_808:                            ;   in Loop: Header=BB267_478 Depth=1
	s_or_b32 exec_lo, exec_lo, s13
	;;#ASMSTART
	v_pk_mul_f16 v1, v41, v56;

	;;#ASMEND
	;;#ASMSTART
	v_pk_mul_f16 v9, v39, v52;

	;;#ASMEND
	;; [unrolled: 4-line block ×4, first 2 shown]
	;;#ASMSTART
	v_pk_add_f16 v1, v1, v9;

	;;#ASMEND
	;;#ASMSTART
	v_pk_add_f16 v1, v1, v10;

	;;#ASMEND
	;; [unrolled: 4-line block ×3, first 2 shown]
	v_and_b32_e32 v9, 0xffff, v1
	v_lshrrev_b32_e32 v1, 16, v1
	;;#ASMSTART
	v_cvt_f32_f16 v49, v9;
	;;#ASMEND
	;;#ASMSTART
	v_cvt_f32_f16 v50, v1;
	;;#ASMEND
	global_load_dwordx2 v[9:10], v[7:8], off offset:1280
	v_mov_b32_e32 v52, 0
	v_mov_b32_e32 v53, 0
	global_load_dword v51, v52, s[14:15]
	s_waitcnt vmcnt(1)
	v_cmp_ne_u16_sdwa s0, v9, v2 src0_sel:BYTE_0 src1_sel:DWORD
	s_and_saveexec_b32 s13, s0
	s_cbranch_execz .LBB267_816
; %bb.809:                              ;   in Loop: Header=BB267_478 Depth=1
	v_cmp_ne_u16_sdwa s0, v9, v25 src0_sel:BYTE_0 src1_sel:DWORD
	v_mov_b32_e32 v53, 0x8000
	s_and_saveexec_b32 s17, s0
	s_cbranch_execz .LBB267_815
; %bb.810:                              ;   in Loop: Header=BB267_478 Depth=1
	v_and_b32_e32 v54, 0x7f, v9
	v_mov_b32_e32 v53, 0x7c01
	s_mov_b32 s18, exec_lo
	v_cmpx_ne_u32_e32 0x7f, v54
	s_cbranch_execz .LBB267_814
; %bb.811:                              ;   in Loop: Header=BB267_478 Depth=1
	v_and_b32_e32 v1, 7, v9
	v_lshrrev_b32_e32 v53, 3, v54
	s_mov_b32 s19, exec_lo
	v_cmpx_gt_u32_e32 8, v54
; %bb.812:                              ;   in Loop: Header=BB267_478 Depth=1
	v_ffbh_u32_e32 v1, v1
	v_min_u32_e32 v1, 32, v1
	v_subrev_nc_u32_e32 v53, 28, v1
	v_lshlrev_b64 v[54:55], v53, v[9:10]
	v_sub_nc_u32_e32 v53, 29, v1
	v_and_b32_e32 v1, 7, v54
; %bb.813:                              ;   in Loop: Header=BB267_478 Depth=1
	s_or_b32 exec_lo, exec_lo, s19
	v_lshlrev_b32_e32 v54, 8, v9
	v_lshl_add_u32 v53, v53, 10, 0x2000
	v_lshlrev_b32_e32 v1, 7, v1
	v_and_b32_e32 v54, 0x8000, v54
	v_and_b32_e32 v53, 0xfc00, v53
	v_or3_b32 v53, v54, v53, v1
.LBB267_814:                            ;   in Loop: Header=BB267_478 Depth=1
	s_or_b32 exec_lo, exec_lo, s18
.LBB267_815:                            ;   in Loop: Header=BB267_478 Depth=1
	s_or_b32 exec_lo, exec_lo, s17
.LBB267_816:                            ;   in Loop: Header=BB267_478 Depth=1
	s_or_b32 exec_lo, exec_lo, s13
	v_lshrrev_b16 v1, 8, v9
	s_mov_b32 s13, exec_lo
	v_cmpx_ne_u16_e32 0, v1
	s_cbranch_execz .LBB267_824
; %bb.817:                              ;   in Loop: Header=BB267_478 Depth=1
	v_bfrev_b32_e32 v52, 1
	s_mov_b32 s17, exec_lo
	v_cmpx_ne_u16_e32 0x80, v1
	s_cbranch_execz .LBB267_823
; %bb.818:                              ;   in Loop: Header=BB267_478 Depth=1
	v_and_b32_sdwa v55, v1, v26 dst_sel:DWORD dst_unused:UNUSED_PAD src0_sel:WORD_0 src1_sel:DWORD
	v_mov_b32_e32 v52, 0x7c010000
	s_mov_b32 s18, exec_lo
	v_cmpx_ne_u32_e32 0x7f, v55
	s_cbranch_execz .LBB267_822
; %bb.819:                              ;   in Loop: Header=BB267_478 Depth=1
	v_and_b32_sdwa v52, v1, v27 dst_sel:DWORD dst_unused:UNUSED_PAD src0_sel:WORD_0 src1_sel:DWORD
	v_lshrrev_b32_e32 v54, 3, v55
	s_mov_b32 s19, exec_lo
	v_cmpx_gt_u32_e32 8, v55
; %bb.820:                              ;   in Loop: Header=BB267_478 Depth=1
	v_ffbh_u32_e32 v52, v52
	v_min_u32_e32 v52, 32, v52
	v_subrev_nc_u32_e32 v54, 28, v52
	v_lshlrev_b64 v[55:56], v54, v[1:2]
	v_sub_nc_u32_e32 v54, 29, v52
	v_and_b32_e32 v52, 7, v55
; %bb.821:                              ;   in Loop: Header=BB267_478 Depth=1
	s_or_b32 exec_lo, exec_lo, s19
	v_lshlrev_b32_sdwa v1, v28, v1 dst_sel:DWORD dst_unused:UNUSED_PAD src0_sel:DWORD src1_sel:WORD_0
	v_lshl_add_u32 v54, v54, 10, 0x2000
	v_lshlrev_b32_e32 v52, 23, v52
	v_and_or_b32 v1, 0x8000, v1, v54
	v_lshl_or_b32 v52, v1, 16, v52
.LBB267_822:                            ;   in Loop: Header=BB267_478 Depth=1
	s_or_b32 exec_lo, exec_lo, s18
.LBB267_823:                            ;   in Loop: Header=BB267_478 Depth=1
	s_or_b32 exec_lo, exec_lo, s17
.LBB267_824:                            ;   in Loop: Header=BB267_478 Depth=1
	s_or_b32 exec_lo, exec_lo, s13
	v_lshrrev_b32_e32 v1, 16, v9
	v_mov_b32_e32 v54, 0
	v_mov_b32_e32 v55, 0
	v_cmp_ne_u16_sdwa s0, v1, v2 src0_sel:BYTE_0 src1_sel:DWORD
	s_and_saveexec_b32 s13, s0
	s_cbranch_execz .LBB267_832
; %bb.825:                              ;   in Loop: Header=BB267_478 Depth=1
	v_cmp_ne_u16_sdwa s0, v1, v25 src0_sel:BYTE_0 src1_sel:DWORD
	v_mov_b32_e32 v55, 0x8000
	s_and_saveexec_b32 s17, s0
	s_cbranch_execz .LBB267_831
; %bb.826:                              ;   in Loop: Header=BB267_478 Depth=1
	v_bfe_u32 v57, v9, 16, 7
	v_mov_b32_e32 v55, 0x7c01
	s_mov_b32 s18, exec_lo
	v_cmpx_ne_u32_e32 0x7f, v57
	s_cbranch_execz .LBB267_830
; %bb.827:                              ;   in Loop: Header=BB267_478 Depth=1
	v_and_b32_e32 v55, 7, v1
	v_lshrrev_b32_e32 v56, 3, v57
	s_mov_b32 s19, exec_lo
	v_cmpx_gt_u32_e32 8, v57
; %bb.828:                              ;   in Loop: Header=BB267_478 Depth=1
	v_ffbh_u32_e32 v55, v55
	v_min_u32_e32 v57, 32, v55
	v_subrev_nc_u32_e32 v55, 28, v57
	v_lshlrev_b64 v[55:56], v55, v[1:2]
	v_sub_nc_u32_e32 v56, 29, v57
	v_and_b32_e32 v55, 7, v55
; %bb.829:                              ;   in Loop: Header=BB267_478 Depth=1
	s_or_b32 exec_lo, exec_lo, s19
	v_lshlrev_b32_e32 v1, 8, v1
	v_lshl_add_u32 v56, v56, 10, 0x2000
	v_lshlrev_b32_e32 v55, 7, v55
	v_and_b32_e32 v1, 0x8000, v1
	v_and_b32_e32 v56, 0xfc00, v56
	v_or3_b32 v55, v1, v56, v55
.LBB267_830:                            ;   in Loop: Header=BB267_478 Depth=1
	s_or_b32 exec_lo, exec_lo, s18
.LBB267_831:                            ;   in Loop: Header=BB267_478 Depth=1
	s_or_b32 exec_lo, exec_lo, s17
.LBB267_832:                            ;   in Loop: Header=BB267_478 Depth=1
	s_or_b32 exec_lo, exec_lo, s13
	s_mov_b32 s13, exec_lo
	v_cmpx_lt_u32_e32 0xffffff, v9
	s_cbranch_execz .LBB267_840
; %bb.833:                              ;   in Loop: Header=BB267_478 Depth=1
	v_lshrrev_b32_e32 v1, 24, v9
	v_bfrev_b32_e32 v54, 1
	s_mov_b32 s17, exec_lo
	v_cmpx_ne_u32_e32 0x80, v1
	s_cbranch_execz .LBB267_839
; %bb.834:                              ;   in Loop: Header=BB267_478 Depth=1
	v_and_b32_e32 v57, 0x7f, v1
	v_mov_b32_e32 v54, 0x7c010000
	s_mov_b32 s18, exec_lo
	v_cmpx_ne_u32_e32 0x7f, v57
	s_cbranch_execz .LBB267_838
; %bb.835:                              ;   in Loop: Header=BB267_478 Depth=1
	v_and_b32_e32 v54, 7, v1
	v_lshrrev_b32_e32 v56, 3, v57
	s_mov_b32 s19, exec_lo
	v_cmpx_gt_u32_e32 8, v57
; %bb.836:                              ;   in Loop: Header=BB267_478 Depth=1
	v_ffbh_u32_e32 v54, v54
	v_min_u32_e32 v54, 32, v54
	v_subrev_nc_u32_e32 v56, 28, v54
	v_lshlrev_b64 v[57:58], v56, v[1:2]
	v_sub_nc_u32_e32 v56, 29, v54
	v_and_b32_e32 v54, 7, v57
; %bb.837:                              ;   in Loop: Header=BB267_478 Depth=1
	s_or_b32 exec_lo, exec_lo, s19
	v_lshlrev_b32_e32 v1, 8, v1
	v_lshl_add_u32 v56, v56, 10, 0x2000
	v_lshlrev_b32_e32 v54, 23, v54
	v_and_or_b32 v1, 0x8000, v1, v56
	v_lshl_or_b32 v54, v1, 16, v54
.LBB267_838:                            ;   in Loop: Header=BB267_478 Depth=1
	s_or_b32 exec_lo, exec_lo, s18
.LBB267_839:                            ;   in Loop: Header=BB267_478 Depth=1
	s_or_b32 exec_lo, exec_lo, s17
.LBB267_840:                            ;   in Loop: Header=BB267_478 Depth=1
	s_or_b32 exec_lo, exec_lo, s13
	v_mov_b32_e32 v1, v10
	v_cmp_ne_u16_sdwa s0, v10, v2 src0_sel:BYTE_0 src1_sel:DWORD
	v_mov_b32_e32 v56, 0
	v_mov_b32_e32 v57, 0
	s_and_saveexec_b32 s13, s0
	s_cbranch_execz .LBB267_848
; %bb.841:                              ;   in Loop: Header=BB267_478 Depth=1
	v_cmp_ne_u16_sdwa s0, v10, v25 src0_sel:BYTE_0 src1_sel:DWORD
	v_mov_b32_e32 v57, 0x8000
	s_and_saveexec_b32 s17, s0
	s_cbranch_execz .LBB267_847
; %bb.842:                              ;   in Loop: Header=BB267_478 Depth=1
	v_and_b32_e32 v59, 0x7f, v10
	v_mov_b32_e32 v57, 0x7c01
	s_mov_b32 s18, exec_lo
	v_cmpx_ne_u32_e32 0x7f, v59
	s_cbranch_execz .LBB267_846
; %bb.843:                              ;   in Loop: Header=BB267_478 Depth=1
	v_and_b32_e32 v57, 7, v10
	v_lshrrev_b32_e32 v58, 3, v59
	s_mov_b32 s19, exec_lo
	v_cmpx_gt_u32_e32 8, v59
; %bb.844:                              ;   in Loop: Header=BB267_478 Depth=1
	v_ffbh_u32_e32 v57, v57
	v_min_u32_e32 v59, 32, v57
	v_subrev_nc_u32_e32 v57, 28, v59
	v_lshlrev_b64 v[57:58], v57, v[1:2]
	v_sub_nc_u32_e32 v58, 29, v59
	v_and_b32_e32 v57, 7, v57
; %bb.845:                              ;   in Loop: Header=BB267_478 Depth=1
	s_or_b32 exec_lo, exec_lo, s19
	v_lshlrev_b32_e32 v59, 8, v10
	v_lshl_add_u32 v58, v58, 10, 0x2000
	v_lshlrev_b32_e32 v57, 7, v57
	v_and_b32_e32 v59, 0x8000, v59
	v_and_b32_e32 v58, 0xfc00, v58
	v_or3_b32 v57, v59, v58, v57
.LBB267_846:                            ;   in Loop: Header=BB267_478 Depth=1
	s_or_b32 exec_lo, exec_lo, s18
.LBB267_847:                            ;   in Loop: Header=BB267_478 Depth=1
	s_or_b32 exec_lo, exec_lo, s17
.LBB267_848:                            ;   in Loop: Header=BB267_478 Depth=1
	s_or_b32 exec_lo, exec_lo, s13
	v_lshrrev_b16 v1, 8, v1
	v_mov_b32_e32 v58, 0
	s_mov_b32 s13, exec_lo
	v_cmpx_ne_u16_e32 0, v1
	s_cbranch_execz .LBB267_856
; %bb.849:                              ;   in Loop: Header=BB267_478 Depth=1
	v_bfrev_b32_e32 v58, 1
	s_mov_b32 s17, exec_lo
	v_cmpx_ne_u16_e32 0x80, v1
	s_cbranch_execz .LBB267_855
; %bb.850:                              ;   in Loop: Header=BB267_478 Depth=1
	v_and_b32_sdwa v60, v1, v26 dst_sel:DWORD dst_unused:UNUSED_PAD src0_sel:WORD_0 src1_sel:DWORD
	v_mov_b32_e32 v58, 0x7c010000
	s_mov_b32 s18, exec_lo
	v_cmpx_ne_u32_e32 0x7f, v60
	s_cbranch_execz .LBB267_854
; %bb.851:                              ;   in Loop: Header=BB267_478 Depth=1
	v_and_b32_sdwa v58, v1, v27 dst_sel:DWORD dst_unused:UNUSED_PAD src0_sel:WORD_0 src1_sel:DWORD
	v_lshrrev_b32_e32 v59, 3, v60
	s_mov_b32 s19, exec_lo
	v_cmpx_gt_u32_e32 8, v60
; %bb.852:                              ;   in Loop: Header=BB267_478 Depth=1
	v_ffbh_u32_e32 v58, v58
	v_min_u32_e32 v60, 32, v58
	v_subrev_nc_u32_e32 v58, 28, v60
	v_lshlrev_b64 v[58:59], v58, v[1:2]
	v_sub_nc_u32_e32 v59, 29, v60
	v_and_b32_e32 v58, 7, v58
; %bb.853:                              ;   in Loop: Header=BB267_478 Depth=1
	s_or_b32 exec_lo, exec_lo, s19
	v_lshlrev_b32_sdwa v1, v28, v1 dst_sel:DWORD dst_unused:UNUSED_PAD src0_sel:DWORD src1_sel:WORD_0
	v_lshl_add_u32 v59, v59, 10, 0x2000
	v_lshlrev_b32_e32 v58, 23, v58
	v_and_or_b32 v1, 0x8000, v1, v59
	v_lshl_or_b32 v58, v1, 16, v58
.LBB267_854:                            ;   in Loop: Header=BB267_478 Depth=1
	s_or_b32 exec_lo, exec_lo, s18
.LBB267_855:                            ;   in Loop: Header=BB267_478 Depth=1
	s_or_b32 exec_lo, exec_lo, s17
.LBB267_856:                            ;   in Loop: Header=BB267_478 Depth=1
	s_or_b32 exec_lo, exec_lo, s13
	v_lshrrev_b32_e32 v1, 16, v10
	v_cmp_ne_u16_sdwa s0, v1, v2 src0_sel:BYTE_0 src1_sel:DWORD
	s_and_saveexec_b32 s13, s0
	s_cbranch_execz .LBB267_864
; %bb.857:                              ;   in Loop: Header=BB267_478 Depth=1
	v_cmp_ne_u16_sdwa s0, v1, v25 src0_sel:BYTE_0 src1_sel:DWORD
	v_mov_b32_e32 v56, 0x8000
	s_and_saveexec_b32 s17, s0
	s_cbranch_execz .LBB267_863
; %bb.858:                              ;   in Loop: Header=BB267_478 Depth=1
	v_bfe_u32 v60, v10, 16, 7
	v_mov_b32_e32 v56, 0x7c01
	s_mov_b32 s18, exec_lo
	v_cmpx_ne_u32_e32 0x7f, v60
	s_cbranch_execz .LBB267_862
; %bb.859:                              ;   in Loop: Header=BB267_478 Depth=1
	v_and_b32_e32 v56, 7, v1
	v_lshrrev_b32_e32 v59, 3, v60
	s_mov_b32 s19, exec_lo
	v_cmpx_gt_u32_e32 8, v60
; %bb.860:                              ;   in Loop: Header=BB267_478 Depth=1
	v_ffbh_u32_e32 v56, v56
	v_min_u32_e32 v56, 32, v56
	v_subrev_nc_u32_e32 v59, 28, v56
	v_lshlrev_b64 v[60:61], v59, v[1:2]
	v_sub_nc_u32_e32 v59, 29, v56
	v_and_b32_e32 v56, 7, v60
; %bb.861:                              ;   in Loop: Header=BB267_478 Depth=1
	s_or_b32 exec_lo, exec_lo, s19
	v_lshlrev_b32_e32 v1, 8, v1
	v_lshl_add_u32 v59, v59, 10, 0x2000
	v_lshlrev_b32_e32 v56, 7, v56
	v_and_b32_e32 v1, 0x8000, v1
	v_and_b32_e32 v59, 0xfc00, v59
	v_or3_b32 v56, v1, v59, v56
.LBB267_862:                            ;   in Loop: Header=BB267_478 Depth=1
	s_or_b32 exec_lo, exec_lo, s18
.LBB267_863:                            ;   in Loop: Header=BB267_478 Depth=1
	s_or_b32 exec_lo, exec_lo, s17
.LBB267_864:                            ;   in Loop: Header=BB267_478 Depth=1
	s_or_b32 exec_lo, exec_lo, s13
	v_cmp_lt_u64_e64 s0, s[2:3], v[9:10]
	v_mov_b32_e32 v9, 0
	s_and_saveexec_b32 s13, s0
	s_cbranch_execz .LBB267_872
; %bb.865:                              ;   in Loop: Header=BB267_478 Depth=1
	v_lshrrev_b32_e32 v1, 24, v10
	v_bfrev_b32_e32 v9, 1
	s_mov_b32 s17, exec_lo
	v_cmpx_ne_u32_e32 0x80, v1
	s_cbranch_execz .LBB267_871
; %bb.866:                              ;   in Loop: Header=BB267_478 Depth=1
	v_and_b32_e32 v59, 0x7f, v1
	v_mov_b32_e32 v9, 0x7c010000
	s_mov_b32 s18, exec_lo
	v_cmpx_ne_u32_e32 0x7f, v59
	s_cbranch_execz .LBB267_870
; %bb.867:                              ;   in Loop: Header=BB267_478 Depth=1
	v_and_b32_e32 v9, 7, v1
	v_lshrrev_b32_e32 v10, 3, v59
	s_mov_b32 s19, exec_lo
	v_cmpx_gt_u32_e32 8, v59
; %bb.868:                              ;   in Loop: Header=BB267_478 Depth=1
	v_ffbh_u32_e32 v9, v9
	v_min_u32_e32 v59, 32, v9
	v_subrev_nc_u32_e32 v9, 28, v59
	v_lshlrev_b64 v[9:10], v9, v[1:2]
	v_sub_nc_u32_e32 v10, 29, v59
	v_and_b32_e32 v9, 7, v9
; %bb.869:                              ;   in Loop: Header=BB267_478 Depth=1
	s_or_b32 exec_lo, exec_lo, s19
	v_lshlrev_b32_e32 v1, 8, v1
	v_lshl_add_u32 v10, v10, 10, 0x2000
	v_lshlrev_b32_e32 v9, 23, v9
	v_and_or_b32 v1, 0x8000, v1, v10
	v_lshl_or_b32 v9, v1, 16, v9
.LBB267_870:                            ;   in Loop: Header=BB267_478 Depth=1
	s_or_b32 exec_lo, exec_lo, s18
.LBB267_871:                            ;   in Loop: Header=BB267_478 Depth=1
	s_or_b32 exec_lo, exec_lo, s17
.LBB267_872:                            ;   in Loop: Header=BB267_478 Depth=1
	s_or_b32 exec_lo, exec_lo, s13
	v_or_b32_e32 v1, v54, v55
	s_waitcnt vmcnt(0)
	v_fma_mixlo_f16 v10, v51, v54, 0 op_sel:[0,1,0] op_sel_hi:[0,1,0]
	v_or_b32_e32 v54, v52, v53
	v_fma_mixlo_f16 v52, v51, v52, 0 op_sel:[0,1,0] op_sel_hi:[0,1,0]
	v_or_b32_e32 v55, v58, v57
	v_or_b32_e32 v56, v9, v56
	v_fma_mixlo_f16 v57, v51, v1, 0 op_sel_hi:[0,1,0]
	v_fma_mixlo_f16 v9, v51, v9, 0 op_sel:[0,1,0] op_sel_hi:[0,1,0]
	v_lshlrev_b32_e32 v53, 16, v52
	v_fma_mixlo_f16 v52, v51, v54, 0 op_sel_hi:[0,1,0]
	v_fma_mixlo_f16 v54, v51, v58, 0 op_sel:[0,1,0] op_sel_hi:[0,1,0]
	v_fma_mixlo_f16 v55, v51, v55, 0 op_sel_hi:[0,1,0]
	v_fma_mixlo_f16 v56, v51, v56, 0 op_sel_hi:[0,1,0]
	v_lshlrev_b32_e32 v1, 16, v10
	v_and_b32_e32 v10, 0xffff, v57
	v_and_b32_e32 v59, 0xffff, v52
	v_lshlrev_b32_e32 v51, 16, v54
	v_and_b32_e32 v55, 0xffff, v55
	v_lshlrev_b32_e32 v9, 16, v9
	v_and_b32_e32 v52, 0xffff, v56
	v_or_b32_e32 v54, v1, v10
	v_or_b32_e32 v58, v53, v59
	;; [unrolled: 1-line block ×4, first 2 shown]
	s_and_saveexec_b32 s13, vcc_lo
	s_cbranch_execz .LBB267_874
; %bb.873:                              ;   in Loop: Header=BB267_478 Depth=1
	v_cmp_gt_i32_e64 s0, s11, v30
	v_cndmask_b32_e64 v54, 0, v59, s0
	v_cmp_gt_i32_e64 s0, s11, v36
	v_cndmask_b32_e64 v53, 0, v53, s0
	v_cmp_gt_i32_e64 s0, s11, v35
	v_or_b32_e32 v58, v53, v54
	v_cndmask_b32_e64 v10, 0, v10, s0
	v_cmp_gt_i32_e64 s0, s11, v34
	v_cndmask_b32_e64 v1, 0, v1, s0
	v_cmp_gt_i32_e64 s0, s11, v33
	v_or_b32_e32 v54, v1, v10
	;; [unrolled: 5-line block ×3, first 2 shown]
	v_cndmask_b32_e64 v52, 0, v52, s0
	v_cmp_gt_i32_e64 s0, s11, v24
	v_cndmask_b32_e64 v9, 0, v9, s0
	v_or_b32_e32 v56, v9, v52
.LBB267_874:                            ;   in Loop: Header=BB267_478 Depth=1
	s_or_b32 exec_lo, exec_lo, s13
	;;#ASMSTART
	v_pk_mul_f16 v1, v41, v58;

	;;#ASMEND
	;;#ASMSTART
	v_pk_mul_f16 v9, v39, v54;

	;;#ASMEND
	;; [unrolled: 4-line block ×4, first 2 shown]
	;;#ASMSTART
	v_pk_add_f16 v1, v1, v9;

	;;#ASMEND
	;;#ASMSTART
	v_pk_add_f16 v1, v1, v10;

	;;#ASMEND
	;;#ASMSTART
	v_pk_add_f16 v1, v1, v51;

	;;#ASMEND
	v_and_b32_e32 v9, 0xffff, v1
	v_lshrrev_b32_e32 v1, 16, v1
	;;#ASMSTART
	v_cvt_f32_f16 v9, v9;
	;;#ASMEND
	;;#ASMSTART
	v_cvt_f32_f16 v10, v1;
	;;#ASMEND
	global_load_dwordx2 v[7:8], v[7:8], off offset:1536
	v_mov_b32_e32 v52, 0
	v_mov_b32_e32 v53, 0
	global_load_dword v51, v52, s[14:15]
	s_waitcnt vmcnt(1)
	v_cmp_ne_u16_sdwa s0, v7, v2 src0_sel:BYTE_0 src1_sel:DWORD
	s_and_saveexec_b32 s13, s0
	s_cbranch_execz .LBB267_882
; %bb.875:                              ;   in Loop: Header=BB267_478 Depth=1
	v_cmp_ne_u16_sdwa s0, v7, v25 src0_sel:BYTE_0 src1_sel:DWORD
	v_mov_b32_e32 v53, 0x8000
	s_and_saveexec_b32 s17, s0
	s_cbranch_execz .LBB267_881
; %bb.876:                              ;   in Loop: Header=BB267_478 Depth=1
	v_and_b32_e32 v54, 0x7f, v7
	v_mov_b32_e32 v53, 0x7c01
	s_mov_b32 s18, exec_lo
	v_cmpx_ne_u32_e32 0x7f, v54
	s_cbranch_execz .LBB267_880
; %bb.877:                              ;   in Loop: Header=BB267_478 Depth=1
	v_and_b32_e32 v1, 7, v7
	v_lshrrev_b32_e32 v53, 3, v54
	s_mov_b32 s19, exec_lo
	v_cmpx_gt_u32_e32 8, v54
; %bb.878:                              ;   in Loop: Header=BB267_478 Depth=1
	v_ffbh_u32_e32 v1, v1
	v_min_u32_e32 v1, 32, v1
	v_subrev_nc_u32_e32 v53, 28, v1
	v_lshlrev_b64 v[54:55], v53, v[7:8]
	v_sub_nc_u32_e32 v53, 29, v1
	v_and_b32_e32 v1, 7, v54
; %bb.879:                              ;   in Loop: Header=BB267_478 Depth=1
	s_or_b32 exec_lo, exec_lo, s19
	v_lshlrev_b32_e32 v54, 8, v7
	v_lshl_add_u32 v53, v53, 10, 0x2000
	v_lshlrev_b32_e32 v1, 7, v1
	v_and_b32_e32 v54, 0x8000, v54
	v_and_b32_e32 v53, 0xfc00, v53
	v_or3_b32 v53, v54, v53, v1
.LBB267_880:                            ;   in Loop: Header=BB267_478 Depth=1
	s_or_b32 exec_lo, exec_lo, s18
.LBB267_881:                            ;   in Loop: Header=BB267_478 Depth=1
	s_or_b32 exec_lo, exec_lo, s17
.LBB267_882:                            ;   in Loop: Header=BB267_478 Depth=1
	s_or_b32 exec_lo, exec_lo, s13
	v_lshrrev_b16 v1, 8, v7
	s_mov_b32 s13, exec_lo
	v_cmpx_ne_u16_e32 0, v1
	s_cbranch_execz .LBB267_890
; %bb.883:                              ;   in Loop: Header=BB267_478 Depth=1
	v_bfrev_b32_e32 v52, 1
	s_mov_b32 s17, exec_lo
	v_cmpx_ne_u16_e32 0x80, v1
	s_cbranch_execz .LBB267_889
; %bb.884:                              ;   in Loop: Header=BB267_478 Depth=1
	v_and_b32_sdwa v55, v1, v26 dst_sel:DWORD dst_unused:UNUSED_PAD src0_sel:WORD_0 src1_sel:DWORD
	v_mov_b32_e32 v52, 0x7c010000
	s_mov_b32 s18, exec_lo
	v_cmpx_ne_u32_e32 0x7f, v55
	s_cbranch_execz .LBB267_888
; %bb.885:                              ;   in Loop: Header=BB267_478 Depth=1
	v_and_b32_sdwa v52, v1, v27 dst_sel:DWORD dst_unused:UNUSED_PAD src0_sel:WORD_0 src1_sel:DWORD
	v_lshrrev_b32_e32 v54, 3, v55
	s_mov_b32 s19, exec_lo
	v_cmpx_gt_u32_e32 8, v55
; %bb.886:                              ;   in Loop: Header=BB267_478 Depth=1
	v_ffbh_u32_e32 v52, v52
	v_min_u32_e32 v52, 32, v52
	v_subrev_nc_u32_e32 v54, 28, v52
	v_lshlrev_b64 v[55:56], v54, v[1:2]
	v_sub_nc_u32_e32 v54, 29, v52
	v_and_b32_e32 v52, 7, v55
; %bb.887:                              ;   in Loop: Header=BB267_478 Depth=1
	s_or_b32 exec_lo, exec_lo, s19
	v_lshlrev_b32_sdwa v1, v28, v1 dst_sel:DWORD dst_unused:UNUSED_PAD src0_sel:DWORD src1_sel:WORD_0
	v_lshl_add_u32 v54, v54, 10, 0x2000
	v_lshlrev_b32_e32 v52, 23, v52
	v_and_or_b32 v1, 0x8000, v1, v54
	v_lshl_or_b32 v52, v1, 16, v52
.LBB267_888:                            ;   in Loop: Header=BB267_478 Depth=1
	s_or_b32 exec_lo, exec_lo, s18
.LBB267_889:                            ;   in Loop: Header=BB267_478 Depth=1
	s_or_b32 exec_lo, exec_lo, s17
.LBB267_890:                            ;   in Loop: Header=BB267_478 Depth=1
	s_or_b32 exec_lo, exec_lo, s13
	v_lshrrev_b32_e32 v1, 16, v7
	v_mov_b32_e32 v54, 0
	v_mov_b32_e32 v55, 0
	v_cmp_ne_u16_sdwa s0, v1, v2 src0_sel:BYTE_0 src1_sel:DWORD
	s_and_saveexec_b32 s13, s0
	s_cbranch_execz .LBB267_898
; %bb.891:                              ;   in Loop: Header=BB267_478 Depth=1
	v_cmp_ne_u16_sdwa s0, v1, v25 src0_sel:BYTE_0 src1_sel:DWORD
	v_mov_b32_e32 v55, 0x8000
	s_and_saveexec_b32 s17, s0
	s_cbranch_execz .LBB267_897
; %bb.892:                              ;   in Loop: Header=BB267_478 Depth=1
	v_bfe_u32 v57, v7, 16, 7
	v_mov_b32_e32 v55, 0x7c01
	s_mov_b32 s18, exec_lo
	v_cmpx_ne_u32_e32 0x7f, v57
	s_cbranch_execz .LBB267_896
; %bb.893:                              ;   in Loop: Header=BB267_478 Depth=1
	v_and_b32_e32 v55, 7, v1
	v_lshrrev_b32_e32 v56, 3, v57
	s_mov_b32 s19, exec_lo
	v_cmpx_gt_u32_e32 8, v57
; %bb.894:                              ;   in Loop: Header=BB267_478 Depth=1
	v_ffbh_u32_e32 v55, v55
	v_min_u32_e32 v57, 32, v55
	v_subrev_nc_u32_e32 v55, 28, v57
	v_lshlrev_b64 v[55:56], v55, v[1:2]
	v_sub_nc_u32_e32 v56, 29, v57
	v_and_b32_e32 v55, 7, v55
; %bb.895:                              ;   in Loop: Header=BB267_478 Depth=1
	s_or_b32 exec_lo, exec_lo, s19
	v_lshlrev_b32_e32 v1, 8, v1
	v_lshl_add_u32 v56, v56, 10, 0x2000
	v_lshlrev_b32_e32 v55, 7, v55
	v_and_b32_e32 v1, 0x8000, v1
	v_and_b32_e32 v56, 0xfc00, v56
	v_or3_b32 v55, v1, v56, v55
.LBB267_896:                            ;   in Loop: Header=BB267_478 Depth=1
	s_or_b32 exec_lo, exec_lo, s18
.LBB267_897:                            ;   in Loop: Header=BB267_478 Depth=1
	s_or_b32 exec_lo, exec_lo, s17
.LBB267_898:                            ;   in Loop: Header=BB267_478 Depth=1
	s_or_b32 exec_lo, exec_lo, s13
	s_mov_b32 s13, exec_lo
	v_cmpx_lt_u32_e32 0xffffff, v7
	s_cbranch_execz .LBB267_906
; %bb.899:                              ;   in Loop: Header=BB267_478 Depth=1
	v_lshrrev_b32_e32 v1, 24, v7
	v_bfrev_b32_e32 v54, 1
	s_mov_b32 s17, exec_lo
	v_cmpx_ne_u32_e32 0x80, v1
	s_cbranch_execz .LBB267_905
; %bb.900:                              ;   in Loop: Header=BB267_478 Depth=1
	v_and_b32_e32 v57, 0x7f, v1
	v_mov_b32_e32 v54, 0x7c010000
	s_mov_b32 s18, exec_lo
	v_cmpx_ne_u32_e32 0x7f, v57
	s_cbranch_execz .LBB267_904
; %bb.901:                              ;   in Loop: Header=BB267_478 Depth=1
	v_and_b32_e32 v54, 7, v1
	v_lshrrev_b32_e32 v56, 3, v57
	s_mov_b32 s19, exec_lo
	v_cmpx_gt_u32_e32 8, v57
; %bb.902:                              ;   in Loop: Header=BB267_478 Depth=1
	v_ffbh_u32_e32 v54, v54
	v_min_u32_e32 v54, 32, v54
	v_subrev_nc_u32_e32 v56, 28, v54
	v_lshlrev_b64 v[57:58], v56, v[1:2]
	v_sub_nc_u32_e32 v56, 29, v54
	v_and_b32_e32 v54, 7, v57
; %bb.903:                              ;   in Loop: Header=BB267_478 Depth=1
	s_or_b32 exec_lo, exec_lo, s19
	v_lshlrev_b32_e32 v1, 8, v1
	v_lshl_add_u32 v56, v56, 10, 0x2000
	v_lshlrev_b32_e32 v54, 23, v54
	v_and_or_b32 v1, 0x8000, v1, v56
	v_lshl_or_b32 v54, v1, 16, v54
.LBB267_904:                            ;   in Loop: Header=BB267_478 Depth=1
	s_or_b32 exec_lo, exec_lo, s18
.LBB267_905:                            ;   in Loop: Header=BB267_478 Depth=1
	s_or_b32 exec_lo, exec_lo, s17
.LBB267_906:                            ;   in Loop: Header=BB267_478 Depth=1
	s_or_b32 exec_lo, exec_lo, s13
	v_mov_b32_e32 v1, v8
	v_cmp_ne_u16_sdwa s0, v8, v2 src0_sel:BYTE_0 src1_sel:DWORD
	v_mov_b32_e32 v56, 0
	v_mov_b32_e32 v57, 0
	s_and_saveexec_b32 s13, s0
	s_cbranch_execz .LBB267_914
; %bb.907:                              ;   in Loop: Header=BB267_478 Depth=1
	v_cmp_ne_u16_sdwa s0, v8, v25 src0_sel:BYTE_0 src1_sel:DWORD
	v_mov_b32_e32 v57, 0x8000
	s_and_saveexec_b32 s17, s0
	s_cbranch_execz .LBB267_913
; %bb.908:                              ;   in Loop: Header=BB267_478 Depth=1
	v_and_b32_e32 v59, 0x7f, v8
	v_mov_b32_e32 v57, 0x7c01
	s_mov_b32 s18, exec_lo
	v_cmpx_ne_u32_e32 0x7f, v59
	s_cbranch_execz .LBB267_912
; %bb.909:                              ;   in Loop: Header=BB267_478 Depth=1
	v_and_b32_e32 v57, 7, v8
	v_lshrrev_b32_e32 v58, 3, v59
	s_mov_b32 s19, exec_lo
	v_cmpx_gt_u32_e32 8, v59
; %bb.910:                              ;   in Loop: Header=BB267_478 Depth=1
	v_ffbh_u32_e32 v57, v57
	v_min_u32_e32 v59, 32, v57
	v_subrev_nc_u32_e32 v57, 28, v59
	v_lshlrev_b64 v[57:58], v57, v[1:2]
	v_sub_nc_u32_e32 v58, 29, v59
	v_and_b32_e32 v57, 7, v57
; %bb.911:                              ;   in Loop: Header=BB267_478 Depth=1
	s_or_b32 exec_lo, exec_lo, s19
	v_lshlrev_b32_e32 v59, 8, v8
	v_lshl_add_u32 v58, v58, 10, 0x2000
	v_lshlrev_b32_e32 v57, 7, v57
	v_and_b32_e32 v59, 0x8000, v59
	v_and_b32_e32 v58, 0xfc00, v58
	v_or3_b32 v57, v59, v58, v57
.LBB267_912:                            ;   in Loop: Header=BB267_478 Depth=1
	s_or_b32 exec_lo, exec_lo, s18
.LBB267_913:                            ;   in Loop: Header=BB267_478 Depth=1
	s_or_b32 exec_lo, exec_lo, s17
.LBB267_914:                            ;   in Loop: Header=BB267_478 Depth=1
	s_or_b32 exec_lo, exec_lo, s13
	v_lshrrev_b16 v1, 8, v1
	v_mov_b32_e32 v58, 0
	s_mov_b32 s13, exec_lo
	v_cmpx_ne_u16_e32 0, v1
	s_cbranch_execz .LBB267_922
; %bb.915:                              ;   in Loop: Header=BB267_478 Depth=1
	v_bfrev_b32_e32 v58, 1
	s_mov_b32 s17, exec_lo
	v_cmpx_ne_u16_e32 0x80, v1
	s_cbranch_execz .LBB267_921
; %bb.916:                              ;   in Loop: Header=BB267_478 Depth=1
	v_and_b32_sdwa v60, v1, v26 dst_sel:DWORD dst_unused:UNUSED_PAD src0_sel:WORD_0 src1_sel:DWORD
	v_mov_b32_e32 v58, 0x7c010000
	s_mov_b32 s18, exec_lo
	v_cmpx_ne_u32_e32 0x7f, v60
	s_cbranch_execz .LBB267_920
; %bb.917:                              ;   in Loop: Header=BB267_478 Depth=1
	v_and_b32_sdwa v58, v1, v27 dst_sel:DWORD dst_unused:UNUSED_PAD src0_sel:WORD_0 src1_sel:DWORD
	v_lshrrev_b32_e32 v59, 3, v60
	s_mov_b32 s19, exec_lo
	v_cmpx_gt_u32_e32 8, v60
; %bb.918:                              ;   in Loop: Header=BB267_478 Depth=1
	v_ffbh_u32_e32 v58, v58
	v_min_u32_e32 v60, 32, v58
	v_subrev_nc_u32_e32 v58, 28, v60
	v_lshlrev_b64 v[58:59], v58, v[1:2]
	v_sub_nc_u32_e32 v59, 29, v60
	v_and_b32_e32 v58, 7, v58
; %bb.919:                              ;   in Loop: Header=BB267_478 Depth=1
	s_or_b32 exec_lo, exec_lo, s19
	v_lshlrev_b32_sdwa v1, v28, v1 dst_sel:DWORD dst_unused:UNUSED_PAD src0_sel:DWORD src1_sel:WORD_0
	v_lshl_add_u32 v59, v59, 10, 0x2000
	v_lshlrev_b32_e32 v58, 23, v58
	v_and_or_b32 v1, 0x8000, v1, v59
	v_lshl_or_b32 v58, v1, 16, v58
.LBB267_920:                            ;   in Loop: Header=BB267_478 Depth=1
	s_or_b32 exec_lo, exec_lo, s18
.LBB267_921:                            ;   in Loop: Header=BB267_478 Depth=1
	s_or_b32 exec_lo, exec_lo, s17
.LBB267_922:                            ;   in Loop: Header=BB267_478 Depth=1
	s_or_b32 exec_lo, exec_lo, s13
	v_lshrrev_b32_e32 v1, 16, v8
	v_cmp_ne_u16_sdwa s0, v1, v2 src0_sel:BYTE_0 src1_sel:DWORD
	s_and_saveexec_b32 s13, s0
	s_cbranch_execz .LBB267_930
; %bb.923:                              ;   in Loop: Header=BB267_478 Depth=1
	v_cmp_ne_u16_sdwa s0, v1, v25 src0_sel:BYTE_0 src1_sel:DWORD
	v_mov_b32_e32 v56, 0x8000
	s_and_saveexec_b32 s17, s0
	s_cbranch_execz .LBB267_929
; %bb.924:                              ;   in Loop: Header=BB267_478 Depth=1
	v_bfe_u32 v60, v8, 16, 7
	v_mov_b32_e32 v56, 0x7c01
	s_mov_b32 s18, exec_lo
	v_cmpx_ne_u32_e32 0x7f, v60
	s_cbranch_execz .LBB267_928
; %bb.925:                              ;   in Loop: Header=BB267_478 Depth=1
	v_and_b32_e32 v56, 7, v1
	v_lshrrev_b32_e32 v59, 3, v60
	s_mov_b32 s19, exec_lo
	v_cmpx_gt_u32_e32 8, v60
; %bb.926:                              ;   in Loop: Header=BB267_478 Depth=1
	v_ffbh_u32_e32 v56, v56
	v_min_u32_e32 v56, 32, v56
	v_subrev_nc_u32_e32 v59, 28, v56
	v_lshlrev_b64 v[60:61], v59, v[1:2]
	v_sub_nc_u32_e32 v59, 29, v56
	v_and_b32_e32 v56, 7, v60
; %bb.927:                              ;   in Loop: Header=BB267_478 Depth=1
	s_or_b32 exec_lo, exec_lo, s19
	v_lshlrev_b32_e32 v1, 8, v1
	v_lshl_add_u32 v59, v59, 10, 0x2000
	v_lshlrev_b32_e32 v56, 7, v56
	v_and_b32_e32 v1, 0x8000, v1
	v_and_b32_e32 v59, 0xfc00, v59
	v_or3_b32 v56, v1, v59, v56
.LBB267_928:                            ;   in Loop: Header=BB267_478 Depth=1
	s_or_b32 exec_lo, exec_lo, s18
.LBB267_929:                            ;   in Loop: Header=BB267_478 Depth=1
	s_or_b32 exec_lo, exec_lo, s17
.LBB267_930:                            ;   in Loop: Header=BB267_478 Depth=1
	s_or_b32 exec_lo, exec_lo, s13
	v_cmp_lt_u64_e64 s0, s[2:3], v[7:8]
	v_mov_b32_e32 v7, 0
	s_and_saveexec_b32 s13, s0
	s_cbranch_execz .LBB267_938
; %bb.931:                              ;   in Loop: Header=BB267_478 Depth=1
	v_lshrrev_b32_e32 v1, 24, v8
	v_bfrev_b32_e32 v7, 1
	s_mov_b32 s17, exec_lo
	v_cmpx_ne_u32_e32 0x80, v1
	s_cbranch_execz .LBB267_937
; %bb.932:                              ;   in Loop: Header=BB267_478 Depth=1
	v_and_b32_e32 v59, 0x7f, v1
	v_mov_b32_e32 v7, 0x7c010000
	s_mov_b32 s18, exec_lo
	v_cmpx_ne_u32_e32 0x7f, v59
	s_cbranch_execz .LBB267_936
; %bb.933:                              ;   in Loop: Header=BB267_478 Depth=1
	v_and_b32_e32 v7, 7, v1
	v_lshrrev_b32_e32 v8, 3, v59
	s_mov_b32 s19, exec_lo
	v_cmpx_gt_u32_e32 8, v59
; %bb.934:                              ;   in Loop: Header=BB267_478 Depth=1
	v_ffbh_u32_e32 v7, v7
	v_min_u32_e32 v59, 32, v7
	v_subrev_nc_u32_e32 v7, 28, v59
	v_lshlrev_b64 v[7:8], v7, v[1:2]
	v_sub_nc_u32_e32 v8, 29, v59
	v_and_b32_e32 v7, 7, v7
; %bb.935:                              ;   in Loop: Header=BB267_478 Depth=1
	s_or_b32 exec_lo, exec_lo, s19
	v_lshlrev_b32_e32 v1, 8, v1
	v_lshl_add_u32 v8, v8, 10, 0x2000
	v_lshlrev_b32_e32 v7, 23, v7
	v_and_or_b32 v1, 0x8000, v1, v8
	v_lshl_or_b32 v7, v1, 16, v7
.LBB267_936:                            ;   in Loop: Header=BB267_478 Depth=1
	s_or_b32 exec_lo, exec_lo, s18
.LBB267_937:                            ;   in Loop: Header=BB267_478 Depth=1
	s_or_b32 exec_lo, exec_lo, s17
.LBB267_938:                            ;   in Loop: Header=BB267_478 Depth=1
	s_or_b32 exec_lo, exec_lo, s13
	v_or_b32_e32 v1, v54, v55
	s_waitcnt vmcnt(0)
	v_fma_mixlo_f16 v8, v51, v54, 0 op_sel:[0,1,0] op_sel_hi:[0,1,0]
	v_or_b32_e32 v53, v52, v53
	v_fma_mixlo_f16 v54, v51, v52, 0 op_sel:[0,1,0] op_sel_hi:[0,1,0]
	v_or_b32_e32 v55, v58, v57
	v_fma_mixlo_f16 v1, v51, v1, 0 op_sel_hi:[0,1,0]
	v_or_b32_e32 v56, v7, v56
	v_lshlrev_b32_e32 v52, 16, v8
	v_lshlrev_b32_e32 v57, 16, v54
	v_fma_mixlo_f16 v8, v51, v53, 0 op_sel_hi:[0,1,0]
	v_and_b32_e32 v54, 0xffff, v1
	v_fma_mixlo_f16 v1, v51, v58, 0 op_sel:[0,1,0] op_sel_hi:[0,1,0]
	v_fma_mixlo_f16 v53, v51, v55, 0 op_sel_hi:[0,1,0]
	v_fma_mixlo_f16 v7, v51, v7, 0 op_sel:[0,1,0] op_sel_hi:[0,1,0]
	v_fma_mixlo_f16 v51, v51, v56, 0 op_sel_hi:[0,1,0]
	v_and_b32_e32 v59, 0xffff, v8
	v_lshlrev_b32_e32 v55, 16, v1
	v_and_b32_e32 v58, 0xffff, v53
	v_lshlrev_b32_e32 v53, 16, v7
	v_and_b32_e32 v56, 0xffff, v51
	v_or_b32_e32 v1, v52, v54
	v_or_b32_e32 v51, v57, v59
	;; [unrolled: 1-line block ×4, first 2 shown]
	s_and_saveexec_b32 s0, vcc_lo
	s_cbranch_execz .LBB267_477
; %bb.939:                              ;   in Loop: Header=BB267_478 Depth=1
	v_cmp_gt_i32_e32 vcc_lo, s11, v30
	v_cndmask_b32_e32 v1, 0, v59, vcc_lo
	v_cmp_gt_i32_e32 vcc_lo, s11, v36
	v_cndmask_b32_e32 v7, 0, v57, vcc_lo
	v_cmp_gt_i32_e32 vcc_lo, s11, v35
	v_or_b32_e32 v51, v7, v1
	v_cndmask_b32_e32 v8, 0, v54, vcc_lo
	v_cmp_gt_i32_e32 vcc_lo, s11, v34
	v_cndmask_b32_e32 v30, 0, v52, vcc_lo
	v_cmp_gt_i32_e32 vcc_lo, s11, v33
	v_or_b32_e32 v1, v30, v8
	;; [unrolled: 5-line block ×3, first 2 shown]
	v_cndmask_b32_e32 v31, 0, v56, vcc_lo
	v_cmp_gt_i32_e32 vcc_lo, s11, v24
	v_cndmask_b32_e32 v34, 0, v53, vcc_lo
	v_or_b32_e32 v7, v34, v31
	s_branch .LBB267_477
.LBB267_940:
	s_or_b32 exec_lo, exec_lo, s12
.LBB267_941:
	s_or_b32 exec_lo, exec_lo, s1
	ds_bpermute_b32 v1, v16, v22
	ds_bpermute_b32 v2, v16, v23
	;; [unrolled: 1-line block ×7, first 2 shown]
	v_lshrrev_b32_e32 v8, 1, v17
	v_mul_u32_u24_e32 v10, 0x1c0, v13
	v_and_b32_e32 v13, 0x3c1, v0
	s_mov_b32 s0, exec_lo
	s_waitcnt lgkmcnt(0)
	v_lshl_add_u32 v9, v8, 2, 0x100
	s_barrier
	buffer_gl0_inv
	v_add_f32_e32 v7, v22, v1
	v_add_f32_e32 v6, v23, v2
	;; [unrolled: 1-line block ×7, first 2 shown]
	v_cmpx_eq_u32_e32 64, v13
	s_cbranch_execz .LBB267_943
; %bb.942:
	v_add_nc_u32_e32 v13, v9, v10
	v_add_nc_u32_e32 v14, 0xfffffc80, v13
	;; [unrolled: 1-line block ×8, first 2 shown]
	ds_write_b32 v14, v7
	ds_write_b32 v15, v6
	;; [unrolled: 1-line block ×7, first 2 shown]
.LBB267_943:
	s_or_b32 exec_lo, exec_lo, s0
	v_lshlrev_b32_e32 v8, 2, v8
	s_mov_b32 s1, exec_lo
	v_cmp_eq_u32_e32 vcc_lo, 0, v12
	s_waitcnt lgkmcnt(0)
	s_barrier
	v_add3_u32 v8, 0x100, v10, v8
	buffer_gl0_inv
	v_cmpx_gt_u32_e32 64, v0
	s_cbranch_execz .LBB267_953
; %bb.944:
	s_and_saveexec_b32 s0, vcc_lo
	s_cbranch_execnz .LBB267_968
; %bb.945:
	s_or_b32 exec_lo, exec_lo, s0
	s_and_saveexec_b32 s0, vcc_lo
	s_cbranch_execnz .LBB267_969
.LBB267_946:
	s_or_b32 exec_lo, exec_lo, s0
	s_and_saveexec_b32 s0, vcc_lo
	s_cbranch_execnz .LBB267_970
.LBB267_947:
	s_or_b32 exec_lo, exec_lo, s0
	s_and_saveexec_b32 s0, vcc_lo
	s_cbranch_execnz .LBB267_971
.LBB267_948:
	s_or_b32 exec_lo, exec_lo, s0
	s_and_saveexec_b32 s0, vcc_lo
	s_cbranch_execnz .LBB267_972
.LBB267_949:
	s_or_b32 exec_lo, exec_lo, s0
	s_and_saveexec_b32 s0, vcc_lo
	s_cbranch_execnz .LBB267_973
.LBB267_950:
	s_or_b32 exec_lo, exec_lo, s0
	s_and_saveexec_b32 s0, vcc_lo
	s_cbranch_execz .LBB267_952
.LBB267_951:
	ds_read_b32 v10, v8 offset:384
	s_waitcnt lgkmcnt(0)
	v_add_f32_e32 v1, v1, v10
.LBB267_952:
	s_or_b32 exec_lo, exec_lo, s0
.LBB267_953:
	s_or_b32 exec_lo, exec_lo, s1
	v_and_b32_e32 v10, 0x3e1, v0
	s_mov_b32 s1, exec_lo
	s_barrier
	buffer_gl0_inv
	v_cmpx_eq_u32_e32 32, v10
	s_cbranch_execz .LBB267_955
; %bb.954:
	ds_write2_b32 v9, v7, v6 offset1:16
	ds_write2_b32 v9, v5, v4 offset0:32 offset1:48
	ds_write2_b32 v9, v3, v2 offset0:64 offset1:80
	ds_write_b32 v9, v1 offset:384
.LBB267_955:
	s_or_b32 exec_lo, exec_lo, s1
	s_mov_b32 s1, exec_lo
	s_waitcnt lgkmcnt(0)
	s_barrier
	buffer_gl0_inv
	v_cmpx_gt_u32_e32 32, v0
	s_cbranch_execz .LBB267_965
; %bb.956:
	s_and_saveexec_b32 s0, vcc_lo
	s_cbranch_execnz .LBB267_974
; %bb.957:
	s_or_b32 exec_lo, exec_lo, s0
	s_and_saveexec_b32 s0, vcc_lo
	s_cbranch_execnz .LBB267_975
.LBB267_958:
	s_or_b32 exec_lo, exec_lo, s0
	s_and_saveexec_b32 s0, vcc_lo
	s_cbranch_execnz .LBB267_976
.LBB267_959:
	s_or_b32 exec_lo, exec_lo, s0
	s_and_saveexec_b32 s0, vcc_lo
	s_cbranch_execnz .LBB267_977
.LBB267_960:
	s_or_b32 exec_lo, exec_lo, s0
	s_and_saveexec_b32 s0, vcc_lo
	s_cbranch_execnz .LBB267_978
.LBB267_961:
	s_or_b32 exec_lo, exec_lo, s0
	s_and_saveexec_b32 s0, vcc_lo
	s_cbranch_execnz .LBB267_979
.LBB267_962:
	s_or_b32 exec_lo, exec_lo, s0
	s_and_saveexec_b32 s0, vcc_lo
	s_cbranch_execz .LBB267_964
.LBB267_963:
	ds_read_b32 v0, v8 offset:384
	s_waitcnt lgkmcnt(0)
	v_add_f32_e32 v1, v1, v0
.LBB267_964:
	s_or_b32 exec_lo, exec_lo, s0
.LBB267_965:
	s_or_b32 exec_lo, exec_lo, s1
	s_barrier
	buffer_gl0_inv
	s_mov_b32 s0, exec_lo
	v_cmpx_eq_u32_e32 0, v10
	s_cbranch_execz .LBB267_967
; %bb.966:
	s_mul_i32 s0, s10, s7
	s_mul_i32 s2, s7, s6
	s_mul_i32 s0, s0, s9
	v_lshlrev_b32_e32 v0, 1, v11
	s_mulk_i32 s0, 0x70
	;;#ASMSTART
	v_cvt_f16_f32 v7, v7;

	;;#ASMEND
	s_ashr_i32 s1, s0, 31
	s_lshl_b64 s[0:1], s[0:1], 1
	s_add_u32 s4, s20, s0
	s_addc_u32 s5, s21, s1
	s_ashr_i32 s3, s2, 31
	s_lshl_b64 s[0:1], s[2:3], 1
	s_mul_i32 s2, s8, 0x70
	s_add_u32 s4, s4, s0
	s_addc_u32 s5, s5, s1
	s_ashr_i32 s3, s2, 31
	s_lshl_b64 s[0:1], s[2:3], 1
	s_add_u32 s0, s4, s0
	s_addc_u32 s1, s5, s1
	global_store_short v0, v7, s[0:1]
	;;#ASMSTART
	v_cvt_f16_f32 v6, v6;

	;;#ASMEND
	global_store_short v0, v6, s[0:1] offset:32
	;;#ASMSTART
	v_cvt_f16_f32 v5, v5;

	;;#ASMEND
	global_store_short v0, v5, s[0:1] offset:64
	;; [unrolled: 5-line block ×6, first 2 shown]
.LBB267_967:
	s_endpgm
.LBB267_968:
	ds_read_b32 v10, v8
	s_waitcnt lgkmcnt(0)
	v_add_f32_e32 v7, v7, v10
	s_or_b32 exec_lo, exec_lo, s0
	s_and_saveexec_b32 s0, vcc_lo
	s_cbranch_execz .LBB267_946
.LBB267_969:
	ds_read_b32 v10, v8 offset:64
	s_waitcnt lgkmcnt(0)
	v_add_f32_e32 v6, v6, v10
	s_or_b32 exec_lo, exec_lo, s0
	s_and_saveexec_b32 s0, vcc_lo
	s_cbranch_execz .LBB267_947
.LBB267_970:
	ds_read_b32 v10, v8 offset:128
	s_waitcnt lgkmcnt(0)
	v_add_f32_e32 v5, v5, v10
	s_or_b32 exec_lo, exec_lo, s0
	s_and_saveexec_b32 s0, vcc_lo
	s_cbranch_execz .LBB267_948
.LBB267_971:
	ds_read_b32 v10, v8 offset:192
	s_waitcnt lgkmcnt(0)
	v_add_f32_e32 v4, v4, v10
	s_or_b32 exec_lo, exec_lo, s0
	s_and_saveexec_b32 s0, vcc_lo
	s_cbranch_execz .LBB267_949
.LBB267_972:
	ds_read_b32 v10, v8 offset:256
	s_waitcnt lgkmcnt(0)
	v_add_f32_e32 v3, v3, v10
	s_or_b32 exec_lo, exec_lo, s0
	s_and_saveexec_b32 s0, vcc_lo
	s_cbranch_execz .LBB267_950
.LBB267_973:
	ds_read_b32 v10, v8 offset:320
	s_waitcnt lgkmcnt(0)
	v_add_f32_e32 v2, v2, v10
	s_or_b32 exec_lo, exec_lo, s0
	s_and_saveexec_b32 s0, vcc_lo
	s_cbranch_execnz .LBB267_951
	s_branch .LBB267_952
.LBB267_974:
	ds_read_b32 v0, v8
	s_waitcnt lgkmcnt(0)
	v_add_f32_e32 v7, v7, v0
	s_or_b32 exec_lo, exec_lo, s0
	s_and_saveexec_b32 s0, vcc_lo
	s_cbranch_execz .LBB267_958
.LBB267_975:
	ds_read_b32 v0, v8 offset:64
	s_waitcnt lgkmcnt(0)
	v_add_f32_e32 v6, v6, v0
	s_or_b32 exec_lo, exec_lo, s0
	s_and_saveexec_b32 s0, vcc_lo
	s_cbranch_execz .LBB267_959
.LBB267_976:
	ds_read_b32 v0, v8 offset:128
	s_waitcnt lgkmcnt(0)
	v_add_f32_e32 v5, v5, v0
	s_or_b32 exec_lo, exec_lo, s0
	s_and_saveexec_b32 s0, vcc_lo
	s_cbranch_execz .LBB267_960
.LBB267_977:
	ds_read_b32 v0, v8 offset:192
	s_waitcnt lgkmcnt(0)
	v_add_f32_e32 v4, v4, v0
	s_or_b32 exec_lo, exec_lo, s0
	s_and_saveexec_b32 s0, vcc_lo
	s_cbranch_execz .LBB267_961
.LBB267_978:
	ds_read_b32 v0, v8 offset:256
	s_waitcnt lgkmcnt(0)
	v_add_f32_e32 v3, v3, v0
	s_or_b32 exec_lo, exec_lo, s0
	s_and_saveexec_b32 s0, vcc_lo
	s_cbranch_execz .LBB267_962
.LBB267_979:
	ds_read_b32 v0, v8 offset:320
	s_waitcnt lgkmcnt(0)
	v_add_f32_e32 v2, v2, v0
	s_or_b32 exec_lo, exec_lo, s0
	s_and_saveexec_b32 s0, vcc_lo
	s_cbranch_execnz .LBB267_963
	s_branch .LBB267_964
	.section	.rodata,"a",@progbits
	.p2align	6, 0x0
	.amdhsa_kernel _ZN4vllm25paged_attention_v1_kernelIthLi112ELi16ELi128ELNS_18Fp8KVCacheDataTypeE1ELb0EEEvPT_PKS2_PKT0_S8_ifPKiSA_iPKfiiiSC_SC_iiiii
		.amdhsa_group_segment_fixed_size 256
		.amdhsa_private_segment_fixed_size 0
		.amdhsa_kernarg_size 384
		.amdhsa_user_sgpr_count 6
		.amdhsa_user_sgpr_private_segment_buffer 1
		.amdhsa_user_sgpr_dispatch_ptr 0
		.amdhsa_user_sgpr_queue_ptr 0
		.amdhsa_user_sgpr_kernarg_segment_ptr 1
		.amdhsa_user_sgpr_dispatch_id 0
		.amdhsa_user_sgpr_flat_scratch_init 0
		.amdhsa_user_sgpr_private_segment_size 0
		.amdhsa_wavefront_size32 1
		.amdhsa_uses_dynamic_stack 0
		.amdhsa_system_sgpr_private_segment_wavefront_offset 0
		.amdhsa_system_sgpr_workgroup_id_x 1
		.amdhsa_system_sgpr_workgroup_id_y 1
		.amdhsa_system_sgpr_workgroup_id_z 1
		.amdhsa_system_sgpr_workgroup_info 0
		.amdhsa_system_vgpr_workitem_id 0
		.amdhsa_next_free_vgpr 126
		.amdhsa_next_free_sgpr 35
		.amdhsa_reserve_vcc 1
		.amdhsa_reserve_flat_scratch 0
		.amdhsa_float_round_mode_32 0
		.amdhsa_float_round_mode_16_64 0
		.amdhsa_float_denorm_mode_32 3
		.amdhsa_float_denorm_mode_16_64 3
		.amdhsa_dx10_clamp 1
		.amdhsa_ieee_mode 1
		.amdhsa_fp16_overflow 0
		.amdhsa_workgroup_processor_mode 1
		.amdhsa_memory_ordered 1
		.amdhsa_forward_progress 1
		.amdhsa_shared_vgpr_count 0
		.amdhsa_exception_fp_ieee_invalid_op 0
		.amdhsa_exception_fp_denorm_src 0
		.amdhsa_exception_fp_ieee_div_zero 0
		.amdhsa_exception_fp_ieee_overflow 0
		.amdhsa_exception_fp_ieee_underflow 0
		.amdhsa_exception_fp_ieee_inexact 0
		.amdhsa_exception_int_div_zero 0
	.end_amdhsa_kernel
	.section	.text._ZN4vllm25paged_attention_v1_kernelIthLi112ELi16ELi128ELNS_18Fp8KVCacheDataTypeE1ELb0EEEvPT_PKS2_PKT0_S8_ifPKiSA_iPKfiiiSC_SC_iiiii,"axG",@progbits,_ZN4vllm25paged_attention_v1_kernelIthLi112ELi16ELi128ELNS_18Fp8KVCacheDataTypeE1ELb0EEEvPT_PKS2_PKT0_S8_ifPKiSA_iPKfiiiSC_SC_iiiii,comdat
.Lfunc_end267:
	.size	_ZN4vllm25paged_attention_v1_kernelIthLi112ELi16ELi128ELNS_18Fp8KVCacheDataTypeE1ELb0EEEvPT_PKS2_PKT0_S8_ifPKiSA_iPKfiiiSC_SC_iiiii, .Lfunc_end267-_ZN4vllm25paged_attention_v1_kernelIthLi112ELi16ELi128ELNS_18Fp8KVCacheDataTypeE1ELb0EEEvPT_PKS2_PKT0_S8_ifPKiSA_iPKfiiiSC_SC_iiiii
                                        ; -- End function
	.set _ZN4vllm25paged_attention_v1_kernelIthLi112ELi16ELi128ELNS_18Fp8KVCacheDataTypeE1ELb0EEEvPT_PKS2_PKT0_S8_ifPKiSA_iPKfiiiSC_SC_iiiii.num_vgpr, 126
	.set _ZN4vllm25paged_attention_v1_kernelIthLi112ELi16ELi128ELNS_18Fp8KVCacheDataTypeE1ELb0EEEvPT_PKS2_PKT0_S8_ifPKiSA_iPKfiiiSC_SC_iiiii.num_agpr, 0
	.set _ZN4vllm25paged_attention_v1_kernelIthLi112ELi16ELi128ELNS_18Fp8KVCacheDataTypeE1ELb0EEEvPT_PKS2_PKT0_S8_ifPKiSA_iPKfiiiSC_SC_iiiii.numbered_sgpr, 35
	.set _ZN4vllm25paged_attention_v1_kernelIthLi112ELi16ELi128ELNS_18Fp8KVCacheDataTypeE1ELb0EEEvPT_PKS2_PKT0_S8_ifPKiSA_iPKfiiiSC_SC_iiiii.num_named_barrier, 0
	.set _ZN4vllm25paged_attention_v1_kernelIthLi112ELi16ELi128ELNS_18Fp8KVCacheDataTypeE1ELb0EEEvPT_PKS2_PKT0_S8_ifPKiSA_iPKfiiiSC_SC_iiiii.private_seg_size, 0
	.set _ZN4vllm25paged_attention_v1_kernelIthLi112ELi16ELi128ELNS_18Fp8KVCacheDataTypeE1ELb0EEEvPT_PKS2_PKT0_S8_ifPKiSA_iPKfiiiSC_SC_iiiii.uses_vcc, 1
	.set _ZN4vllm25paged_attention_v1_kernelIthLi112ELi16ELi128ELNS_18Fp8KVCacheDataTypeE1ELb0EEEvPT_PKS2_PKT0_S8_ifPKiSA_iPKfiiiSC_SC_iiiii.uses_flat_scratch, 0
	.set _ZN4vllm25paged_attention_v1_kernelIthLi112ELi16ELi128ELNS_18Fp8KVCacheDataTypeE1ELb0EEEvPT_PKS2_PKT0_S8_ifPKiSA_iPKfiiiSC_SC_iiiii.has_dyn_sized_stack, 0
	.set _ZN4vllm25paged_attention_v1_kernelIthLi112ELi16ELi128ELNS_18Fp8KVCacheDataTypeE1ELb0EEEvPT_PKS2_PKT0_S8_ifPKiSA_iPKfiiiSC_SC_iiiii.has_recursion, 0
	.set _ZN4vllm25paged_attention_v1_kernelIthLi112ELi16ELi128ELNS_18Fp8KVCacheDataTypeE1ELb0EEEvPT_PKS2_PKT0_S8_ifPKiSA_iPKfiiiSC_SC_iiiii.has_indirect_call, 0
	.section	.AMDGPU.csdata,"",@progbits
; Kernel info:
; codeLenInByte = 31804
; TotalNumSgprs: 37
; NumVgprs: 126
; ScratchSize: 0
; MemoryBound: 0
; FloatMode: 240
; IeeeMode: 1
; LDSByteSize: 256 bytes/workgroup (compile time only)
; SGPRBlocks: 0
; VGPRBlocks: 15
; NumSGPRsForWavesPerEU: 37
; NumVGPRsForWavesPerEU: 126
; Occupancy: 8
; WaveLimiterHint : 1
; COMPUTE_PGM_RSRC2:SCRATCH_EN: 0
; COMPUTE_PGM_RSRC2:USER_SGPR: 6
; COMPUTE_PGM_RSRC2:TRAP_HANDLER: 0
; COMPUTE_PGM_RSRC2:TGID_X_EN: 1
; COMPUTE_PGM_RSRC2:TGID_Y_EN: 1
; COMPUTE_PGM_RSRC2:TGID_Z_EN: 1
; COMPUTE_PGM_RSRC2:TIDIG_COMP_CNT: 0
	.section	.text._ZN4vllm25paged_attention_v1_kernelIthLi120ELi16ELi128ELNS_18Fp8KVCacheDataTypeE1ELb0EEEvPT_PKS2_PKT0_S8_ifPKiSA_iPKfiiiSC_SC_iiiii,"axG",@progbits,_ZN4vllm25paged_attention_v1_kernelIthLi120ELi16ELi128ELNS_18Fp8KVCacheDataTypeE1ELb0EEEvPT_PKS2_PKT0_S8_ifPKiSA_iPKfiiiSC_SC_iiiii,comdat
	.protected	_ZN4vllm25paged_attention_v1_kernelIthLi120ELi16ELi128ELNS_18Fp8KVCacheDataTypeE1ELb0EEEvPT_PKS2_PKT0_S8_ifPKiSA_iPKfiiiSC_SC_iiiii ; -- Begin function _ZN4vllm25paged_attention_v1_kernelIthLi120ELi16ELi128ELNS_18Fp8KVCacheDataTypeE1ELb0EEEvPT_PKS2_PKT0_S8_ifPKiSA_iPKfiiiSC_SC_iiiii
	.globl	_ZN4vllm25paged_attention_v1_kernelIthLi120ELi16ELi128ELNS_18Fp8KVCacheDataTypeE1ELb0EEEvPT_PKS2_PKT0_S8_ifPKiSA_iPKfiiiSC_SC_iiiii
	.p2align	8
	.type	_ZN4vllm25paged_attention_v1_kernelIthLi120ELi16ELi128ELNS_18Fp8KVCacheDataTypeE1ELb0EEEvPT_PKS2_PKT0_S8_ifPKiSA_iPKfiiiSC_SC_iiiii,@function
_ZN4vllm25paged_attention_v1_kernelIthLi120ELi16ELi128ELNS_18Fp8KVCacheDataTypeE1ELb0EEEvPT_PKS2_PKT0_S8_ifPKiSA_iPKfiiiSC_SC_iiiii: ; @_ZN4vllm25paged_attention_v1_kernelIthLi120ELi16ELi128ELNS_18Fp8KVCacheDataTypeE1ELb0EEEvPT_PKS2_PKT0_S8_ifPKiSA_iPKfiiiSC_SC_iiiii
; %bb.0:
	s_clause 0x2
	s_load_dword s9, s[4:5], 0x80
	s_load_dwordx2 s[0:1], s[4:5], 0x30
	s_load_dwordx2 s[28:29], s[4:5], 0x20
	s_mov_b32 s10, s7
	s_ashr_i32 s11, s7, 31
	s_lshl_b64 s[2:3], s[10:11], 2
	s_waitcnt lgkmcnt(0)
	s_add_u32 s0, s0, s2
	s_addc_u32 s1, s1, s3
	s_abs_i32 s2, s28
	s_abs_i32 s11, s9
	v_cvt_f32_u32_e32 v1, s2
	s_sub_i32 s7, 0, s2
	v_rcp_iflag_f32_e32 v1, v1
	v_mul_f32_e32 v1, 0x4f7ffffe, v1
	v_cvt_u32_f32_e32 v1, v1
	v_readfirstlane_b32 s3, v1
	s_mul_i32 s7, s7, s3
	s_mul_hi_u32 s7, s3, s7
	s_add_i32 s3, s3, s7
	s_xor_b32 s7, s9, s28
	s_mul_hi_u32 s3, s11, s3
	s_ashr_i32 s7, s7, 31
	s_mul_i32 s12, s3, s2
	s_mov_b32 s28, 0
	s_sub_i32 s11, s11, s12
	s_add_i32 s12, s3, 1
	s_sub_i32 s13, s11, s2
	s_cmp_ge_u32 s11, s2
	s_cselect_b32 s3, s12, s3
	s_cselect_b32 s11, s13, s11
	s_add_i32 s12, s3, 1
	s_cmp_ge_u32 s11, s2
	s_cselect_b32 s2, s12, s3
	s_abs_i32 s13, s6
	s_xor_b32 s2, s2, s7
	s_sub_i32 s15, s2, s7
	s_load_dwordx2 s[2:3], s[4:5], 0x40
	s_abs_i32 s12, s15
	v_cvt_f32_u32_e32 v1, s12
	s_sub_i32 s11, 0, s12
	v_rcp_iflag_f32_e32 v1, v1
	v_mul_f32_e32 v1, 0x4f7ffffe, v1
	v_cvt_u32_f32_e32 v1, v1
	v_readfirstlane_b32 s7, v1
	s_mul_i32 s11, s11, s7
	s_mul_hi_u32 s11, s7, s11
	s_add_i32 s7, s7, s11
	s_waitcnt lgkmcnt(0)
	s_cmp_eq_u64 s[2:3], 0
	s_mul_hi_u32 s14, s13, s7
	s_cbranch_scc1 .LBB268_2
; %bb.1:
	s_ashr_i32 s7, s6, 31
	s_lshl_b64 s[16:17], s[6:7], 2
	s_add_u32 s2, s2, s16
	s_addc_u32 s3, s3, s17
	s_load_dword s28, s[2:3], 0x0
.LBB268_2:
	s_load_dword s11, s[0:1], 0x0
	s_load_dwordx4 s[16:19], s[4:5], 0x48
	v_lshrrev_b32_e32 v11, 1, v0
	v_and_b32_e32 v12, 1, v0
	v_lshlrev_b32_e32 v10, 3, v0
	s_ashr_i32 s0, s6, 31
	s_ashr_i32 s1, s15, 31
	s_mulk_i32 s6, 0x78
	s_mov_b32 s2, exec_lo
	v_cmpx_gt_u32_e32 30, v0
	s_cbranch_execz .LBB268_4
; %bb.3:
	s_load_dwordx2 s[20:21], s[4:5], 0x8
	s_waitcnt lgkmcnt(0)
	s_mul_i32 s22, s16, s10
	v_lshlrev_b32_e32 v3, 3, v11
	s_ashr_i32 s23, s22, 31
	s_lshl_b64 s[22:23], s[22:23], 1
	v_mad_u32_u24 v3, 0x78, v12, v3
	s_add_u32 s3, s20, s22
	s_addc_u32 s15, s21, s23
	s_ashr_i32 s7, s6, 31
	s_lshl_b64 s[20:21], s[6:7], 1
	s_add_u32 s20, s3, s20
	s_addc_u32 s21, s15, s21
	global_load_dwordx2 v[1:2], v10, s[20:21]
	s_waitcnt vmcnt(0)
	ds_write_b64 v3, v[1:2]
.LBB268_4:
	s_or_b32 exec_lo, exec_lo, s2
	s_waitcnt lgkmcnt(0)
	s_add_i32 s2, s11, 15
	s_clause 0x1
	s_load_dwordx2 s[22:23], s[4:5], 0x28
	s_load_dword s7, s[4:5], 0x38
	s_ashr_i32 s3, s2, 31
	s_xor_b32 s0, s0, s1
	s_lshr_b32 s3, s3, 28
	s_mul_i32 s1, s14, s12
	s_add_i32 s2, s2, s3
	s_sub_i32 s1, s13, s1
	s_ashr_i32 s16, s2, 4
	s_add_i32 s2, s14, 1
	s_sub_i32 s3, s1, s12
	s_cmp_ge_u32 s1, s12
	v_lshrrev_b32_e32 v13, 5, v0
	s_cselect_b32 s2, s2, s14
	s_cselect_b32 s1, s3, s1
	s_add_i32 s3, s2, 1
	s_cmp_ge_u32 s1, s12
	v_mbcnt_lo_u32_b32 v14, -1, 0
	s_cselect_b32 s1, s3, s2
	s_waitcnt lgkmcnt(0)
	s_xor_b32 s1, s1, s0
	s_mul_i32 s24, s7, s10
	s_sub_i32 s1, s1, s0
	v_cmp_le_i32_e64 s0, s16, v13
	s_ashr_i32 s25, s24, 31
	s_barrier
	buffer_gl0_inv
                                        ; implicit-def: $vgpr2
                                        ; implicit-def: $vgpr15
	s_and_saveexec_b32 s2, s0
	s_xor_b32 s2, exec_lo, s2
; %bb.5:
	v_mov_b32_e32 v2, 0
	v_mbcnt_lo_u32_b32 v14, -1, 0
	v_mov_b32_e32 v15, 32
; %bb.6:
	s_or_saveexec_b32 s19, s2
	s_clause 0x3
	s_load_dwordx2 s[20:21], s[4:5], 0x0
	s_load_dwordx2 s[26:27], s[4:5], 0x18
	s_load_dword s7, s[4:5], 0x88
	s_load_dwordx4 s[12:15], s[4:5], 0x58
	v_mov_b32_e32 v17, 0xff7fffff
	v_lshrrev_b32_e32 v16, 3, v0
	s_mul_i32 s18, s1, s18
	s_xor_b32 exec_lo, exec_lo, s19
	s_cbranch_execz .LBB268_492
; %bb.7:
	s_load_dwordx2 s[2:3], s[4:5], 0x10
	v_bfe_u32 v1, v0, 1, 4
	s_ashr_i32 s4, s18, 31
	v_lshlrev_b32_e32 v4, 2, v12
	v_and_b32_e32 v5, 0x7c, v16
	v_mov_b32_e32 v2, 0
	v_lshlrev_b32_e32 v3, 2, v1
	v_lshlrev_b32_e32 v6, 4, v1
	v_lshl_or_b32 v19, v13, 4, v1
	v_mul_u32_u24_e32 v18, 0x78, v12
	v_cmp_neq_f32_e64 s1, s28, 0
	v_lshl_or_b32 v3, v13, 6, v3
	v_mov_b32_e32 v17, 0xff7fffff
	v_mov_b32_e32 v15, 32
	;; [unrolled: 1-line block ×4, first 2 shown]
	v_add_nc_u32_e32 v20, 0x110, v3
	v_mov_b32_e32 v23, 7
	v_mov_b32_e32 v24, 8
	;; [unrolled: 1-line block ×3, first 2 shown]
	s_waitcnt lgkmcnt(0)
	s_add_u32 s5, s2, s18
	s_addc_u32 s30, s3, s4
	v_add_co_u32 v1, s5, s5, v6
	v_add_co_ci_u32_e64 v6, null, s30, 0, s5
	s_lshl_b64 s[2:3], s[24:25], 2
	s_sub_i32 s4, 1, s11
	s_add_u32 s5, s22, s2
	v_add_co_u32 v3, s2, v1, v4
	s_addc_u32 s3, s23, s3
	v_add_co_ci_u32_e64 v4, null, 0, v6, s2
	v_add_co_u32 v5, s2, s5, v5
	v_add_co_ci_u32_e64 v6, null, s3, 0, s2
	s_mov_b32 s30, s17
	s_mov_b32 s5, 0
	v_cmp_eq_u32_e32 vcc_lo, 0, v12
	s_branch .LBB268_9
.LBB268_8:                              ;   in Loop: Header=BB268_9 Depth=1
	s_or_b32 exec_lo, exec_lo, s3
	v_add_nc_u32_e32 v25, 4, v25
	v_add_co_u32 v5, s3, v5, 16
	v_add_nc_u32_e32 v19, 64, v19
	v_add_nc_u32_e32 v20, 0x100, v20
	v_cmp_le_i32_e64 s2, s16, v25
	v_add_co_ci_u32_e64 v6, null, 0, v6, s3
	s_or_b32 s5, s2, s5
	s_andn2_b32 exec_lo, exec_lo, s5
	s_cbranch_execz .LBB268_491
.LBB268_9:                              ; =>This Inner Loop Header: Depth=1
	global_load_dword v1, v[5:6], off
	v_mov_b32_e32 v27, 0
	s_waitcnt vmcnt(0) lgkmcnt(0)
	v_mad_i64_i32 v[7:8], null, v1, s30, v[3:4]
	global_load_dword v9, v[7:8], off
	global_load_dword v26, v2, s[12:13]
	s_waitcnt vmcnt(1)
	v_cmp_ne_u16_sdwa s2, v9, v2 src0_sel:BYTE_0 src1_sel:DWORD
	s_and_saveexec_b32 s3, s2
	s_cbranch_execz .LBB268_17
; %bb.10:                               ;   in Loop: Header=BB268_9 Depth=1
	v_cmp_ne_u16_sdwa s2, v9, v21 src0_sel:BYTE_0 src1_sel:DWORD
	v_mov_b32_e32 v27, 0x8000
	s_and_saveexec_b32 s31, s2
	s_cbranch_execz .LBB268_16
; %bb.11:                               ;   in Loop: Header=BB268_9 Depth=1
	v_and_b32_e32 v28, 0x7f, v9
	v_mov_b32_e32 v27, 0x7c01
	s_mov_b32 s33, exec_lo
	v_cmpx_ne_u32_e32 0x7f, v28
	s_cbranch_execz .LBB268_15
; %bb.12:                               ;   in Loop: Header=BB268_9 Depth=1
	v_and_b32_e32 v1, 7, v9
	v_lshrrev_b32_e32 v27, 3, v28
	s_mov_b32 s34, exec_lo
	v_cmpx_gt_u32_e32 8, v28
; %bb.13:                               ;   in Loop: Header=BB268_9 Depth=1
	v_ffbh_u32_e32 v1, v1
	v_min_u32_e32 v1, 32, v1
	v_subrev_nc_u32_e32 v27, 28, v1
	v_lshlrev_b64 v[28:29], v27, v[9:10]
	v_sub_nc_u32_e32 v27, 29, v1
	v_and_b32_e32 v1, 7, v28
; %bb.14:                               ;   in Loop: Header=BB268_9 Depth=1
	s_or_b32 exec_lo, exec_lo, s34
	v_lshlrev_b32_e32 v28, 8, v9
	v_lshl_add_u32 v27, v27, 10, 0x2000
	v_lshlrev_b32_e32 v1, 7, v1
	v_and_b32_e32 v28, 0x8000, v28
	v_and_b32_e32 v27, 0xfc00, v27
	v_or3_b32 v27, v28, v27, v1
.LBB268_15:                             ;   in Loop: Header=BB268_9 Depth=1
	s_or_b32 exec_lo, exec_lo, s33
.LBB268_16:                             ;   in Loop: Header=BB268_9 Depth=1
	s_or_b32 exec_lo, exec_lo, s31
.LBB268_17:                             ;   in Loop: Header=BB268_9 Depth=1
	s_or_b32 exec_lo, exec_lo, s3
	v_lshrrev_b16 v1, 8, v9
	v_mov_b32_e32 v28, 0
	s_mov_b32 s3, exec_lo
	v_cmpx_ne_u16_e32 0, v1
	s_cbranch_execz .LBB268_25
; %bb.18:                               ;   in Loop: Header=BB268_9 Depth=1
	v_bfrev_b32_e32 v28, 1
	s_mov_b32 s31, exec_lo
	v_cmpx_ne_u16_e32 0x80, v1
	s_cbranch_execz .LBB268_24
; %bb.19:                               ;   in Loop: Header=BB268_9 Depth=1
	v_and_b32_sdwa v30, v1, v22 dst_sel:DWORD dst_unused:UNUSED_PAD src0_sel:WORD_0 src1_sel:DWORD
	v_mov_b32_e32 v28, 0x7c010000
	s_mov_b32 s33, exec_lo
	v_cmpx_ne_u32_e32 0x7f, v30
	s_cbranch_execz .LBB268_23
; %bb.20:                               ;   in Loop: Header=BB268_9 Depth=1
	v_and_b32_sdwa v28, v1, v23 dst_sel:DWORD dst_unused:UNUSED_PAD src0_sel:WORD_0 src1_sel:DWORD
	v_lshrrev_b32_e32 v29, 3, v30
	s_mov_b32 s34, exec_lo
	v_cmpx_gt_u32_e32 8, v30
; %bb.21:                               ;   in Loop: Header=BB268_9 Depth=1
	v_ffbh_u32_e32 v28, v28
	v_min_u32_e32 v30, 32, v28
	v_subrev_nc_u32_e32 v28, 28, v30
	v_lshlrev_b64 v[28:29], v28, v[1:2]
	v_sub_nc_u32_e32 v29, 29, v30
	v_and_b32_e32 v28, 7, v28
; %bb.22:                               ;   in Loop: Header=BB268_9 Depth=1
	s_or_b32 exec_lo, exec_lo, s34
	v_lshlrev_b32_sdwa v1, v24, v1 dst_sel:DWORD dst_unused:UNUSED_PAD src0_sel:DWORD src1_sel:WORD_0
	v_lshl_add_u32 v29, v29, 10, 0x2000
	v_lshlrev_b32_e32 v28, 23, v28
	v_and_or_b32 v1, 0x8000, v1, v29
	v_lshl_or_b32 v28, v1, 16, v28
.LBB268_23:                             ;   in Loop: Header=BB268_9 Depth=1
	s_or_b32 exec_lo, exec_lo, s33
.LBB268_24:                             ;   in Loop: Header=BB268_9 Depth=1
	s_or_b32 exec_lo, exec_lo, s31
.LBB268_25:                             ;   in Loop: Header=BB268_9 Depth=1
	s_or_b32 exec_lo, exec_lo, s3
	v_lshrrev_b32_e32 v1, 16, v9
	v_mov_b32_e32 v29, 0
	v_mov_b32_e32 v30, 0
	v_cmp_ne_u16_sdwa s2, v1, v2 src0_sel:BYTE_0 src1_sel:DWORD
	s_and_saveexec_b32 s3, s2
	s_cbranch_execz .LBB268_33
; %bb.26:                               ;   in Loop: Header=BB268_9 Depth=1
	v_cmp_ne_u16_sdwa s2, v1, v21 src0_sel:BYTE_0 src1_sel:DWORD
	v_mov_b32_e32 v30, 0x8000
	s_and_saveexec_b32 s31, s2
	s_cbranch_execz .LBB268_32
; %bb.27:                               ;   in Loop: Header=BB268_9 Depth=1
	v_bfe_u32 v32, v9, 16, 7
	v_mov_b32_e32 v30, 0x7c01
	s_mov_b32 s33, exec_lo
	v_cmpx_ne_u32_e32 0x7f, v32
	s_cbranch_execz .LBB268_31
; %bb.28:                               ;   in Loop: Header=BB268_9 Depth=1
	v_and_b32_e32 v30, 7, v1
	v_lshrrev_b32_e32 v31, 3, v32
	s_mov_b32 s34, exec_lo
	v_cmpx_gt_u32_e32 8, v32
; %bb.29:                               ;   in Loop: Header=BB268_9 Depth=1
	v_ffbh_u32_e32 v30, v30
	v_min_u32_e32 v32, 32, v30
	v_subrev_nc_u32_e32 v30, 28, v32
	v_lshlrev_b64 v[30:31], v30, v[1:2]
	v_sub_nc_u32_e32 v31, 29, v32
	v_and_b32_e32 v30, 7, v30
; %bb.30:                               ;   in Loop: Header=BB268_9 Depth=1
	s_or_b32 exec_lo, exec_lo, s34
	v_lshlrev_b32_e32 v1, 8, v1
	v_lshl_add_u32 v31, v31, 10, 0x2000
	v_lshlrev_b32_e32 v30, 7, v30
	v_and_b32_e32 v1, 0x8000, v1
	v_and_b32_e32 v31, 0xfc00, v31
	v_or3_b32 v30, v1, v31, v30
.LBB268_31:                             ;   in Loop: Header=BB268_9 Depth=1
	s_or_b32 exec_lo, exec_lo, s33
.LBB268_32:                             ;   in Loop: Header=BB268_9 Depth=1
	s_or_b32 exec_lo, exec_lo, s31
.LBB268_33:                             ;   in Loop: Header=BB268_9 Depth=1
	s_or_b32 exec_lo, exec_lo, s3
	s_mov_b32 s3, exec_lo
	v_cmpx_lt_u32_e32 0xffffff, v9
	s_cbranch_execz .LBB268_41
; %bb.34:                               ;   in Loop: Header=BB268_9 Depth=1
	v_lshrrev_b32_e32 v1, 24, v9
	v_bfrev_b32_e32 v29, 1
	s_mov_b32 s31, exec_lo
	v_cmpx_ne_u32_e32 0x80, v1
	s_cbranch_execz .LBB268_40
; %bb.35:                               ;   in Loop: Header=BB268_9 Depth=1
	v_and_b32_e32 v31, 0x7f, v1
	v_mov_b32_e32 v29, 0x7c010000
	s_mov_b32 s33, exec_lo
	v_cmpx_ne_u32_e32 0x7f, v31
	s_cbranch_execz .LBB268_39
; %bb.36:                               ;   in Loop: Header=BB268_9 Depth=1
	v_and_b32_e32 v9, 7, v1
	v_lshrrev_b32_e32 v29, 3, v31
	s_mov_b32 s34, exec_lo
	v_cmpx_gt_u32_e32 8, v31
; %bb.37:                               ;   in Loop: Header=BB268_9 Depth=1
	v_ffbh_u32_e32 v9, v9
	v_min_u32_e32 v9, 32, v9
	v_subrev_nc_u32_e32 v29, 28, v9
	v_lshlrev_b64 v[31:32], v29, v[1:2]
	v_sub_nc_u32_e32 v29, 29, v9
	v_and_b32_e32 v9, 7, v31
; %bb.38:                               ;   in Loop: Header=BB268_9 Depth=1
	s_or_b32 exec_lo, exec_lo, s34
	v_lshlrev_b32_e32 v1, 8, v1
	v_lshl_add_u32 v29, v29, 10, 0x2000
	v_lshlrev_b32_e32 v9, 23, v9
	v_and_or_b32 v1, 0x8000, v1, v29
	v_lshl_or_b32 v29, v1, 16, v9
.LBB268_39:                             ;   in Loop: Header=BB268_9 Depth=1
	s_or_b32 exec_lo, exec_lo, s33
.LBB268_40:                             ;   in Loop: Header=BB268_9 Depth=1
	s_or_b32 exec_lo, exec_lo, s31
.LBB268_41:                             ;   in Loop: Header=BB268_9 Depth=1
	s_or_b32 exec_lo, exec_lo, s3
	global_load_dword v9, v[7:8], off offset:8
	v_mov_b32_e32 v31, 0
	v_mov_b32_e32 v32, 0
	s_waitcnt vmcnt(0)
	v_cmp_ne_u16_sdwa s2, v9, v2 src0_sel:BYTE_0 src1_sel:DWORD
	s_and_saveexec_b32 s3, s2
	s_cbranch_execz .LBB268_49
; %bb.42:                               ;   in Loop: Header=BB268_9 Depth=1
	v_cmp_ne_u16_sdwa s2, v9, v21 src0_sel:BYTE_0 src1_sel:DWORD
	v_mov_b32_e32 v32, 0x8000
	s_and_saveexec_b32 s31, s2
	s_cbranch_execz .LBB268_48
; %bb.43:                               ;   in Loop: Header=BB268_9 Depth=1
	v_and_b32_e32 v33, 0x7f, v9
	v_mov_b32_e32 v32, 0x7c01
	s_mov_b32 s33, exec_lo
	v_cmpx_ne_u32_e32 0x7f, v33
	s_cbranch_execz .LBB268_47
; %bb.44:                               ;   in Loop: Header=BB268_9 Depth=1
	v_and_b32_e32 v1, 7, v9
	v_lshrrev_b32_e32 v32, 3, v33
	s_mov_b32 s34, exec_lo
	v_cmpx_gt_u32_e32 8, v33
; %bb.45:                               ;   in Loop: Header=BB268_9 Depth=1
	v_ffbh_u32_e32 v1, v1
	v_min_u32_e32 v1, 32, v1
	v_subrev_nc_u32_e32 v32, 28, v1
	v_lshlrev_b64 v[33:34], v32, v[9:10]
	v_sub_nc_u32_e32 v32, 29, v1
	v_and_b32_e32 v1, 7, v33
; %bb.46:                               ;   in Loop: Header=BB268_9 Depth=1
	s_or_b32 exec_lo, exec_lo, s34
	v_lshlrev_b32_e32 v33, 8, v9
	v_lshl_add_u32 v32, v32, 10, 0x2000
	v_lshlrev_b32_e32 v1, 7, v1
	v_and_b32_e32 v33, 0x8000, v33
	v_and_b32_e32 v32, 0xfc00, v32
	v_or3_b32 v32, v33, v32, v1
.LBB268_47:                             ;   in Loop: Header=BB268_9 Depth=1
	s_or_b32 exec_lo, exec_lo, s33
.LBB268_48:                             ;   in Loop: Header=BB268_9 Depth=1
	s_or_b32 exec_lo, exec_lo, s31
.LBB268_49:                             ;   in Loop: Header=BB268_9 Depth=1
	s_or_b32 exec_lo, exec_lo, s3
	v_lshrrev_b16 v1, 8, v9
	s_mov_b32 s3, exec_lo
	v_cmpx_ne_u16_e32 0, v1
	s_cbranch_execz .LBB268_57
; %bb.50:                               ;   in Loop: Header=BB268_9 Depth=1
	v_bfrev_b32_e32 v31, 1
	s_mov_b32 s31, exec_lo
	v_cmpx_ne_u16_e32 0x80, v1
	s_cbranch_execz .LBB268_56
; %bb.51:                               ;   in Loop: Header=BB268_9 Depth=1
	v_and_b32_sdwa v34, v1, v22 dst_sel:DWORD dst_unused:UNUSED_PAD src0_sel:WORD_0 src1_sel:DWORD
	v_mov_b32_e32 v31, 0x7c010000
	s_mov_b32 s33, exec_lo
	v_cmpx_ne_u32_e32 0x7f, v34
	s_cbranch_execz .LBB268_55
; %bb.52:                               ;   in Loop: Header=BB268_9 Depth=1
	v_and_b32_sdwa v31, v1, v23 dst_sel:DWORD dst_unused:UNUSED_PAD src0_sel:WORD_0 src1_sel:DWORD
	v_lshrrev_b32_e32 v33, 3, v34
	s_mov_b32 s34, exec_lo
	v_cmpx_gt_u32_e32 8, v34
; %bb.53:                               ;   in Loop: Header=BB268_9 Depth=1
	v_ffbh_u32_e32 v31, v31
	v_min_u32_e32 v31, 32, v31
	v_subrev_nc_u32_e32 v33, 28, v31
	v_lshlrev_b64 v[34:35], v33, v[1:2]
	v_sub_nc_u32_e32 v33, 29, v31
	v_and_b32_e32 v31, 7, v34
; %bb.54:                               ;   in Loop: Header=BB268_9 Depth=1
	s_or_b32 exec_lo, exec_lo, s34
	v_lshlrev_b32_sdwa v1, v24, v1 dst_sel:DWORD dst_unused:UNUSED_PAD src0_sel:DWORD src1_sel:WORD_0
	v_lshl_add_u32 v33, v33, 10, 0x2000
	v_lshlrev_b32_e32 v31, 23, v31
	v_and_or_b32 v1, 0x8000, v1, v33
	v_lshl_or_b32 v31, v1, 16, v31
.LBB268_55:                             ;   in Loop: Header=BB268_9 Depth=1
	s_or_b32 exec_lo, exec_lo, s33
.LBB268_56:                             ;   in Loop: Header=BB268_9 Depth=1
	s_or_b32 exec_lo, exec_lo, s31
.LBB268_57:                             ;   in Loop: Header=BB268_9 Depth=1
	s_or_b32 exec_lo, exec_lo, s3
	v_lshrrev_b32_e32 v1, 16, v9
	v_mov_b32_e32 v33, 0
	v_mov_b32_e32 v34, 0
	v_cmp_ne_u16_sdwa s2, v1, v2 src0_sel:BYTE_0 src1_sel:DWORD
	s_and_saveexec_b32 s3, s2
	s_cbranch_execz .LBB268_65
; %bb.58:                               ;   in Loop: Header=BB268_9 Depth=1
	v_cmp_ne_u16_sdwa s2, v1, v21 src0_sel:BYTE_0 src1_sel:DWORD
	v_mov_b32_e32 v34, 0x8000
	s_and_saveexec_b32 s31, s2
	s_cbranch_execz .LBB268_64
; %bb.59:                               ;   in Loop: Header=BB268_9 Depth=1
	v_bfe_u32 v36, v9, 16, 7
	v_mov_b32_e32 v34, 0x7c01
	s_mov_b32 s33, exec_lo
	v_cmpx_ne_u32_e32 0x7f, v36
	s_cbranch_execz .LBB268_63
; %bb.60:                               ;   in Loop: Header=BB268_9 Depth=1
	v_and_b32_e32 v34, 7, v1
	v_lshrrev_b32_e32 v35, 3, v36
	s_mov_b32 s34, exec_lo
	v_cmpx_gt_u32_e32 8, v36
; %bb.61:                               ;   in Loop: Header=BB268_9 Depth=1
	v_ffbh_u32_e32 v34, v34
	v_min_u32_e32 v36, 32, v34
	v_subrev_nc_u32_e32 v34, 28, v36
	v_lshlrev_b64 v[34:35], v34, v[1:2]
	v_sub_nc_u32_e32 v35, 29, v36
	v_and_b32_e32 v34, 7, v34
; %bb.62:                               ;   in Loop: Header=BB268_9 Depth=1
	s_or_b32 exec_lo, exec_lo, s34
	v_lshlrev_b32_e32 v1, 8, v1
	v_lshl_add_u32 v35, v35, 10, 0x2000
	v_lshlrev_b32_e32 v34, 7, v34
	v_and_b32_e32 v1, 0x8000, v1
	v_and_b32_e32 v35, 0xfc00, v35
	v_or3_b32 v34, v1, v35, v34
.LBB268_63:                             ;   in Loop: Header=BB268_9 Depth=1
	s_or_b32 exec_lo, exec_lo, s33
.LBB268_64:                             ;   in Loop: Header=BB268_9 Depth=1
	s_or_b32 exec_lo, exec_lo, s31
.LBB268_65:                             ;   in Loop: Header=BB268_9 Depth=1
	s_or_b32 exec_lo, exec_lo, s3
	s_mov_b32 s3, exec_lo
	v_cmpx_lt_u32_e32 0xffffff, v9
	s_cbranch_execz .LBB268_73
; %bb.66:                               ;   in Loop: Header=BB268_9 Depth=1
	v_lshrrev_b32_e32 v1, 24, v9
	v_bfrev_b32_e32 v33, 1
	s_mov_b32 s31, exec_lo
	v_cmpx_ne_u32_e32 0x80, v1
	s_cbranch_execz .LBB268_72
; %bb.67:                               ;   in Loop: Header=BB268_9 Depth=1
	v_and_b32_e32 v35, 0x7f, v1
	v_mov_b32_e32 v33, 0x7c010000
	s_mov_b32 s33, exec_lo
	v_cmpx_ne_u32_e32 0x7f, v35
	s_cbranch_execz .LBB268_71
; %bb.68:                               ;   in Loop: Header=BB268_9 Depth=1
	v_and_b32_e32 v9, 7, v1
	v_lshrrev_b32_e32 v33, 3, v35
	s_mov_b32 s34, exec_lo
	v_cmpx_gt_u32_e32 8, v35
; %bb.69:                               ;   in Loop: Header=BB268_9 Depth=1
	v_ffbh_u32_e32 v9, v9
	v_min_u32_e32 v9, 32, v9
	v_subrev_nc_u32_e32 v33, 28, v9
	v_lshlrev_b64 v[35:36], v33, v[1:2]
	v_sub_nc_u32_e32 v33, 29, v9
	v_and_b32_e32 v9, 7, v35
; %bb.70:                               ;   in Loop: Header=BB268_9 Depth=1
	s_or_b32 exec_lo, exec_lo, s34
	v_lshlrev_b32_e32 v1, 8, v1
	v_lshl_add_u32 v33, v33, 10, 0x2000
	v_lshlrev_b32_e32 v9, 23, v9
	v_and_or_b32 v1, 0x8000, v1, v33
	v_lshl_or_b32 v33, v1, 16, v9
.LBB268_71:                             ;   in Loop: Header=BB268_9 Depth=1
	s_or_b32 exec_lo, exec_lo, s33
.LBB268_72:                             ;   in Loop: Header=BB268_9 Depth=1
	s_or_b32 exec_lo, exec_lo, s31
.LBB268_73:                             ;   in Loop: Header=BB268_9 Depth=1
	s_or_b32 exec_lo, exec_lo, s3
	global_load_dword v9, v[7:8], off offset:256
	v_mov_b32_e32 v35, 0
	v_mov_b32_e32 v36, 0
	s_waitcnt vmcnt(0)
	v_cmp_ne_u16_sdwa s2, v9, v2 src0_sel:BYTE_0 src1_sel:DWORD
	s_and_saveexec_b32 s3, s2
	s_cbranch_execz .LBB268_81
; %bb.74:                               ;   in Loop: Header=BB268_9 Depth=1
	v_cmp_ne_u16_sdwa s2, v9, v21 src0_sel:BYTE_0 src1_sel:DWORD
	v_mov_b32_e32 v36, 0x8000
	s_and_saveexec_b32 s31, s2
	s_cbranch_execz .LBB268_80
; %bb.75:                               ;   in Loop: Header=BB268_9 Depth=1
	v_and_b32_e32 v37, 0x7f, v9
	v_mov_b32_e32 v36, 0x7c01
	s_mov_b32 s33, exec_lo
	v_cmpx_ne_u32_e32 0x7f, v37
	s_cbranch_execz .LBB268_79
; %bb.76:                               ;   in Loop: Header=BB268_9 Depth=1
	v_and_b32_e32 v1, 7, v9
	v_lshrrev_b32_e32 v36, 3, v37
	s_mov_b32 s34, exec_lo
	v_cmpx_gt_u32_e32 8, v37
; %bb.77:                               ;   in Loop: Header=BB268_9 Depth=1
	v_ffbh_u32_e32 v1, v1
	v_min_u32_e32 v1, 32, v1
	v_subrev_nc_u32_e32 v36, 28, v1
	v_lshlrev_b64 v[37:38], v36, v[9:10]
	v_sub_nc_u32_e32 v36, 29, v1
	v_and_b32_e32 v1, 7, v37
; %bb.78:                               ;   in Loop: Header=BB268_9 Depth=1
	s_or_b32 exec_lo, exec_lo, s34
	v_lshlrev_b32_e32 v37, 8, v9
	v_lshl_add_u32 v36, v36, 10, 0x2000
	v_lshlrev_b32_e32 v1, 7, v1
	v_and_b32_e32 v37, 0x8000, v37
	v_and_b32_e32 v36, 0xfc00, v36
	v_or3_b32 v36, v37, v36, v1
.LBB268_79:                             ;   in Loop: Header=BB268_9 Depth=1
	s_or_b32 exec_lo, exec_lo, s33
.LBB268_80:                             ;   in Loop: Header=BB268_9 Depth=1
	s_or_b32 exec_lo, exec_lo, s31
.LBB268_81:                             ;   in Loop: Header=BB268_9 Depth=1
	s_or_b32 exec_lo, exec_lo, s3
	v_lshrrev_b16 v1, 8, v9
	s_mov_b32 s3, exec_lo
	v_cmpx_ne_u16_e32 0, v1
	s_cbranch_execz .LBB268_89
; %bb.82:                               ;   in Loop: Header=BB268_9 Depth=1
	v_bfrev_b32_e32 v35, 1
	s_mov_b32 s31, exec_lo
	v_cmpx_ne_u16_e32 0x80, v1
	s_cbranch_execz .LBB268_88
; %bb.83:                               ;   in Loop: Header=BB268_9 Depth=1
	v_and_b32_sdwa v38, v1, v22 dst_sel:DWORD dst_unused:UNUSED_PAD src0_sel:WORD_0 src1_sel:DWORD
	v_mov_b32_e32 v35, 0x7c010000
	s_mov_b32 s33, exec_lo
	v_cmpx_ne_u32_e32 0x7f, v38
	s_cbranch_execz .LBB268_87
; %bb.84:                               ;   in Loop: Header=BB268_9 Depth=1
	v_and_b32_sdwa v35, v1, v23 dst_sel:DWORD dst_unused:UNUSED_PAD src0_sel:WORD_0 src1_sel:DWORD
	v_lshrrev_b32_e32 v37, 3, v38
	s_mov_b32 s34, exec_lo
	v_cmpx_gt_u32_e32 8, v38
; %bb.85:                               ;   in Loop: Header=BB268_9 Depth=1
	v_ffbh_u32_e32 v35, v35
	v_min_u32_e32 v35, 32, v35
	v_subrev_nc_u32_e32 v37, 28, v35
	v_lshlrev_b64 v[38:39], v37, v[1:2]
	v_sub_nc_u32_e32 v37, 29, v35
	v_and_b32_e32 v35, 7, v38
; %bb.86:                               ;   in Loop: Header=BB268_9 Depth=1
	s_or_b32 exec_lo, exec_lo, s34
	v_lshlrev_b32_sdwa v1, v24, v1 dst_sel:DWORD dst_unused:UNUSED_PAD src0_sel:DWORD src1_sel:WORD_0
	v_lshl_add_u32 v37, v37, 10, 0x2000
	v_lshlrev_b32_e32 v35, 23, v35
	v_and_or_b32 v1, 0x8000, v1, v37
	v_lshl_or_b32 v35, v1, 16, v35
.LBB268_87:                             ;   in Loop: Header=BB268_9 Depth=1
	s_or_b32 exec_lo, exec_lo, s33
.LBB268_88:                             ;   in Loop: Header=BB268_9 Depth=1
	s_or_b32 exec_lo, exec_lo, s31
.LBB268_89:                             ;   in Loop: Header=BB268_9 Depth=1
	s_or_b32 exec_lo, exec_lo, s3
	v_lshrrev_b32_e32 v1, 16, v9
	v_mov_b32_e32 v37, 0
	v_mov_b32_e32 v38, 0
	v_cmp_ne_u16_sdwa s2, v1, v2 src0_sel:BYTE_0 src1_sel:DWORD
	s_and_saveexec_b32 s3, s2
	s_cbranch_execz .LBB268_97
; %bb.90:                               ;   in Loop: Header=BB268_9 Depth=1
	v_cmp_ne_u16_sdwa s2, v1, v21 src0_sel:BYTE_0 src1_sel:DWORD
	v_mov_b32_e32 v38, 0x8000
	s_and_saveexec_b32 s31, s2
	s_cbranch_execz .LBB268_96
; %bb.91:                               ;   in Loop: Header=BB268_9 Depth=1
	v_bfe_u32 v40, v9, 16, 7
	v_mov_b32_e32 v38, 0x7c01
	s_mov_b32 s33, exec_lo
	v_cmpx_ne_u32_e32 0x7f, v40
	s_cbranch_execz .LBB268_95
; %bb.92:                               ;   in Loop: Header=BB268_9 Depth=1
	v_and_b32_e32 v38, 7, v1
	v_lshrrev_b32_e32 v39, 3, v40
	s_mov_b32 s34, exec_lo
	v_cmpx_gt_u32_e32 8, v40
; %bb.93:                               ;   in Loop: Header=BB268_9 Depth=1
	v_ffbh_u32_e32 v38, v38
	v_min_u32_e32 v40, 32, v38
	v_subrev_nc_u32_e32 v38, 28, v40
	v_lshlrev_b64 v[38:39], v38, v[1:2]
	v_sub_nc_u32_e32 v39, 29, v40
	v_and_b32_e32 v38, 7, v38
; %bb.94:                               ;   in Loop: Header=BB268_9 Depth=1
	s_or_b32 exec_lo, exec_lo, s34
	v_lshlrev_b32_e32 v1, 8, v1
	v_lshl_add_u32 v39, v39, 10, 0x2000
	v_lshlrev_b32_e32 v38, 7, v38
	v_and_b32_e32 v1, 0x8000, v1
	v_and_b32_e32 v39, 0xfc00, v39
	v_or3_b32 v38, v1, v39, v38
.LBB268_95:                             ;   in Loop: Header=BB268_9 Depth=1
	s_or_b32 exec_lo, exec_lo, s33
.LBB268_96:                             ;   in Loop: Header=BB268_9 Depth=1
	s_or_b32 exec_lo, exec_lo, s31
.LBB268_97:                             ;   in Loop: Header=BB268_9 Depth=1
	s_or_b32 exec_lo, exec_lo, s3
	s_mov_b32 s3, exec_lo
	v_cmpx_lt_u32_e32 0xffffff, v9
	s_cbranch_execz .LBB268_105
; %bb.98:                               ;   in Loop: Header=BB268_9 Depth=1
	v_lshrrev_b32_e32 v1, 24, v9
	v_bfrev_b32_e32 v37, 1
	s_mov_b32 s31, exec_lo
	v_cmpx_ne_u32_e32 0x80, v1
	s_cbranch_execz .LBB268_104
; %bb.99:                               ;   in Loop: Header=BB268_9 Depth=1
	v_and_b32_e32 v39, 0x7f, v1
	v_mov_b32_e32 v37, 0x7c010000
	s_mov_b32 s33, exec_lo
	v_cmpx_ne_u32_e32 0x7f, v39
	s_cbranch_execz .LBB268_103
; %bb.100:                              ;   in Loop: Header=BB268_9 Depth=1
	v_and_b32_e32 v9, 7, v1
	v_lshrrev_b32_e32 v37, 3, v39
	s_mov_b32 s34, exec_lo
	v_cmpx_gt_u32_e32 8, v39
; %bb.101:                              ;   in Loop: Header=BB268_9 Depth=1
	v_ffbh_u32_e32 v9, v9
	v_min_u32_e32 v9, 32, v9
	v_subrev_nc_u32_e32 v37, 28, v9
	v_lshlrev_b64 v[39:40], v37, v[1:2]
	v_sub_nc_u32_e32 v37, 29, v9
	v_and_b32_e32 v9, 7, v39
; %bb.102:                              ;   in Loop: Header=BB268_9 Depth=1
	s_or_b32 exec_lo, exec_lo, s34
	v_lshlrev_b32_e32 v1, 8, v1
	v_lshl_add_u32 v37, v37, 10, 0x2000
	v_lshlrev_b32_e32 v9, 23, v9
	v_and_or_b32 v1, 0x8000, v1, v37
	v_lshl_or_b32 v37, v1, 16, v9
.LBB268_103:                            ;   in Loop: Header=BB268_9 Depth=1
	s_or_b32 exec_lo, exec_lo, s33
.LBB268_104:                            ;   in Loop: Header=BB268_9 Depth=1
	s_or_b32 exec_lo, exec_lo, s31
.LBB268_105:                            ;   in Loop: Header=BB268_9 Depth=1
	s_or_b32 exec_lo, exec_lo, s3
	global_load_dword v9, v[7:8], off offset:264
	v_mov_b32_e32 v39, 0
	v_mov_b32_e32 v40, 0
	s_waitcnt vmcnt(0)
	v_cmp_ne_u16_sdwa s2, v9, v2 src0_sel:BYTE_0 src1_sel:DWORD
	s_and_saveexec_b32 s3, s2
	s_cbranch_execz .LBB268_113
; %bb.106:                              ;   in Loop: Header=BB268_9 Depth=1
	v_cmp_ne_u16_sdwa s2, v9, v21 src0_sel:BYTE_0 src1_sel:DWORD
	v_mov_b32_e32 v40, 0x8000
	s_and_saveexec_b32 s31, s2
	s_cbranch_execz .LBB268_112
; %bb.107:                              ;   in Loop: Header=BB268_9 Depth=1
	v_and_b32_e32 v41, 0x7f, v9
	v_mov_b32_e32 v40, 0x7c01
	s_mov_b32 s33, exec_lo
	v_cmpx_ne_u32_e32 0x7f, v41
	s_cbranch_execz .LBB268_111
; %bb.108:                              ;   in Loop: Header=BB268_9 Depth=1
	v_and_b32_e32 v1, 7, v9
	v_lshrrev_b32_e32 v40, 3, v41
	s_mov_b32 s34, exec_lo
	v_cmpx_gt_u32_e32 8, v41
; %bb.109:                              ;   in Loop: Header=BB268_9 Depth=1
	v_ffbh_u32_e32 v1, v1
	v_min_u32_e32 v1, 32, v1
	v_subrev_nc_u32_e32 v40, 28, v1
	v_lshlrev_b64 v[41:42], v40, v[9:10]
	v_sub_nc_u32_e32 v40, 29, v1
	v_and_b32_e32 v1, 7, v41
; %bb.110:                              ;   in Loop: Header=BB268_9 Depth=1
	s_or_b32 exec_lo, exec_lo, s34
	v_lshlrev_b32_e32 v41, 8, v9
	v_lshl_add_u32 v40, v40, 10, 0x2000
	v_lshlrev_b32_e32 v1, 7, v1
	v_and_b32_e32 v41, 0x8000, v41
	v_and_b32_e32 v40, 0xfc00, v40
	v_or3_b32 v40, v41, v40, v1
.LBB268_111:                            ;   in Loop: Header=BB268_9 Depth=1
	s_or_b32 exec_lo, exec_lo, s33
.LBB268_112:                            ;   in Loop: Header=BB268_9 Depth=1
	s_or_b32 exec_lo, exec_lo, s31
.LBB268_113:                            ;   in Loop: Header=BB268_9 Depth=1
	s_or_b32 exec_lo, exec_lo, s3
	v_lshrrev_b16 v1, 8, v9
	s_mov_b32 s3, exec_lo
	v_cmpx_ne_u16_e32 0, v1
	s_cbranch_execz .LBB268_121
; %bb.114:                              ;   in Loop: Header=BB268_9 Depth=1
	v_bfrev_b32_e32 v39, 1
	s_mov_b32 s31, exec_lo
	v_cmpx_ne_u16_e32 0x80, v1
	s_cbranch_execz .LBB268_120
; %bb.115:                              ;   in Loop: Header=BB268_9 Depth=1
	v_and_b32_sdwa v42, v1, v22 dst_sel:DWORD dst_unused:UNUSED_PAD src0_sel:WORD_0 src1_sel:DWORD
	v_mov_b32_e32 v39, 0x7c010000
	s_mov_b32 s33, exec_lo
	v_cmpx_ne_u32_e32 0x7f, v42
	s_cbranch_execz .LBB268_119
; %bb.116:                              ;   in Loop: Header=BB268_9 Depth=1
	v_and_b32_sdwa v39, v1, v23 dst_sel:DWORD dst_unused:UNUSED_PAD src0_sel:WORD_0 src1_sel:DWORD
	v_lshrrev_b32_e32 v41, 3, v42
	s_mov_b32 s34, exec_lo
	v_cmpx_gt_u32_e32 8, v42
; %bb.117:                              ;   in Loop: Header=BB268_9 Depth=1
	v_ffbh_u32_e32 v39, v39
	v_min_u32_e32 v39, 32, v39
	v_subrev_nc_u32_e32 v41, 28, v39
	v_lshlrev_b64 v[42:43], v41, v[1:2]
	v_sub_nc_u32_e32 v41, 29, v39
	v_and_b32_e32 v39, 7, v42
; %bb.118:                              ;   in Loop: Header=BB268_9 Depth=1
	s_or_b32 exec_lo, exec_lo, s34
	v_lshlrev_b32_sdwa v1, v24, v1 dst_sel:DWORD dst_unused:UNUSED_PAD src0_sel:DWORD src1_sel:WORD_0
	v_lshl_add_u32 v41, v41, 10, 0x2000
	v_lshlrev_b32_e32 v39, 23, v39
	v_and_or_b32 v1, 0x8000, v1, v41
	v_lshl_or_b32 v39, v1, 16, v39
.LBB268_119:                            ;   in Loop: Header=BB268_9 Depth=1
	s_or_b32 exec_lo, exec_lo, s33
.LBB268_120:                            ;   in Loop: Header=BB268_9 Depth=1
	s_or_b32 exec_lo, exec_lo, s31
.LBB268_121:                            ;   in Loop: Header=BB268_9 Depth=1
	s_or_b32 exec_lo, exec_lo, s3
	v_lshrrev_b32_e32 v1, 16, v9
	v_mov_b32_e32 v41, 0
	v_mov_b32_e32 v42, 0
	v_cmp_ne_u16_sdwa s2, v1, v2 src0_sel:BYTE_0 src1_sel:DWORD
	s_and_saveexec_b32 s3, s2
	s_cbranch_execz .LBB268_129
; %bb.122:                              ;   in Loop: Header=BB268_9 Depth=1
	v_cmp_ne_u16_sdwa s2, v1, v21 src0_sel:BYTE_0 src1_sel:DWORD
	v_mov_b32_e32 v42, 0x8000
	s_and_saveexec_b32 s31, s2
	s_cbranch_execz .LBB268_128
; %bb.123:                              ;   in Loop: Header=BB268_9 Depth=1
	v_bfe_u32 v44, v9, 16, 7
	v_mov_b32_e32 v42, 0x7c01
	s_mov_b32 s33, exec_lo
	v_cmpx_ne_u32_e32 0x7f, v44
	s_cbranch_execz .LBB268_127
; %bb.124:                              ;   in Loop: Header=BB268_9 Depth=1
	v_and_b32_e32 v42, 7, v1
	v_lshrrev_b32_e32 v43, 3, v44
	s_mov_b32 s34, exec_lo
	v_cmpx_gt_u32_e32 8, v44
; %bb.125:                              ;   in Loop: Header=BB268_9 Depth=1
	v_ffbh_u32_e32 v42, v42
	v_min_u32_e32 v44, 32, v42
	v_subrev_nc_u32_e32 v42, 28, v44
	v_lshlrev_b64 v[42:43], v42, v[1:2]
	v_sub_nc_u32_e32 v43, 29, v44
	v_and_b32_e32 v42, 7, v42
; %bb.126:                              ;   in Loop: Header=BB268_9 Depth=1
	s_or_b32 exec_lo, exec_lo, s34
	v_lshlrev_b32_e32 v1, 8, v1
	v_lshl_add_u32 v43, v43, 10, 0x2000
	v_lshlrev_b32_e32 v42, 7, v42
	v_and_b32_e32 v1, 0x8000, v1
	v_and_b32_e32 v43, 0xfc00, v43
	v_or3_b32 v42, v1, v43, v42
.LBB268_127:                            ;   in Loop: Header=BB268_9 Depth=1
	s_or_b32 exec_lo, exec_lo, s33
.LBB268_128:                            ;   in Loop: Header=BB268_9 Depth=1
	s_or_b32 exec_lo, exec_lo, s31
.LBB268_129:                            ;   in Loop: Header=BB268_9 Depth=1
	s_or_b32 exec_lo, exec_lo, s3
	s_mov_b32 s3, exec_lo
	v_cmpx_lt_u32_e32 0xffffff, v9
	s_cbranch_execz .LBB268_137
; %bb.130:                              ;   in Loop: Header=BB268_9 Depth=1
	v_lshrrev_b32_e32 v1, 24, v9
	v_bfrev_b32_e32 v41, 1
	s_mov_b32 s31, exec_lo
	v_cmpx_ne_u32_e32 0x80, v1
	s_cbranch_execz .LBB268_136
; %bb.131:                              ;   in Loop: Header=BB268_9 Depth=1
	v_and_b32_e32 v43, 0x7f, v1
	v_mov_b32_e32 v41, 0x7c010000
	s_mov_b32 s33, exec_lo
	v_cmpx_ne_u32_e32 0x7f, v43
	s_cbranch_execz .LBB268_135
; %bb.132:                              ;   in Loop: Header=BB268_9 Depth=1
	v_and_b32_e32 v9, 7, v1
	v_lshrrev_b32_e32 v41, 3, v43
	s_mov_b32 s34, exec_lo
	v_cmpx_gt_u32_e32 8, v43
; %bb.133:                              ;   in Loop: Header=BB268_9 Depth=1
	v_ffbh_u32_e32 v9, v9
	v_min_u32_e32 v9, 32, v9
	v_subrev_nc_u32_e32 v41, 28, v9
	v_lshlrev_b64 v[43:44], v41, v[1:2]
	v_sub_nc_u32_e32 v41, 29, v9
	v_and_b32_e32 v9, 7, v43
; %bb.134:                              ;   in Loop: Header=BB268_9 Depth=1
	s_or_b32 exec_lo, exec_lo, s34
	v_lshlrev_b32_e32 v1, 8, v1
	v_lshl_add_u32 v41, v41, 10, 0x2000
	v_lshlrev_b32_e32 v9, 23, v9
	v_and_or_b32 v1, 0x8000, v1, v41
	v_lshl_or_b32 v41, v1, 16, v9
.LBB268_135:                            ;   in Loop: Header=BB268_9 Depth=1
	s_or_b32 exec_lo, exec_lo, s33
.LBB268_136:                            ;   in Loop: Header=BB268_9 Depth=1
	s_or_b32 exec_lo, exec_lo, s31
.LBB268_137:                            ;   in Loop: Header=BB268_9 Depth=1
	s_or_b32 exec_lo, exec_lo, s3
	global_load_dword v9, v[7:8], off offset:512
	v_mov_b32_e32 v43, 0
	v_mov_b32_e32 v44, 0
	s_waitcnt vmcnt(0)
	v_cmp_ne_u16_sdwa s2, v9, v2 src0_sel:BYTE_0 src1_sel:DWORD
	s_and_saveexec_b32 s3, s2
	s_cbranch_execz .LBB268_145
; %bb.138:                              ;   in Loop: Header=BB268_9 Depth=1
	v_cmp_ne_u16_sdwa s2, v9, v21 src0_sel:BYTE_0 src1_sel:DWORD
	v_mov_b32_e32 v44, 0x8000
	s_and_saveexec_b32 s31, s2
	s_cbranch_execz .LBB268_144
; %bb.139:                              ;   in Loop: Header=BB268_9 Depth=1
	v_and_b32_e32 v45, 0x7f, v9
	v_mov_b32_e32 v44, 0x7c01
	s_mov_b32 s33, exec_lo
	v_cmpx_ne_u32_e32 0x7f, v45
	s_cbranch_execz .LBB268_143
; %bb.140:                              ;   in Loop: Header=BB268_9 Depth=1
	v_and_b32_e32 v1, 7, v9
	v_lshrrev_b32_e32 v44, 3, v45
	s_mov_b32 s34, exec_lo
	v_cmpx_gt_u32_e32 8, v45
; %bb.141:                              ;   in Loop: Header=BB268_9 Depth=1
	v_ffbh_u32_e32 v1, v1
	v_min_u32_e32 v1, 32, v1
	v_subrev_nc_u32_e32 v44, 28, v1
	v_lshlrev_b64 v[45:46], v44, v[9:10]
	v_sub_nc_u32_e32 v44, 29, v1
	v_and_b32_e32 v1, 7, v45
; %bb.142:                              ;   in Loop: Header=BB268_9 Depth=1
	s_or_b32 exec_lo, exec_lo, s34
	v_lshlrev_b32_e32 v45, 8, v9
	v_lshl_add_u32 v44, v44, 10, 0x2000
	v_lshlrev_b32_e32 v1, 7, v1
	v_and_b32_e32 v45, 0x8000, v45
	v_and_b32_e32 v44, 0xfc00, v44
	v_or3_b32 v44, v45, v44, v1
.LBB268_143:                            ;   in Loop: Header=BB268_9 Depth=1
	s_or_b32 exec_lo, exec_lo, s33
.LBB268_144:                            ;   in Loop: Header=BB268_9 Depth=1
	s_or_b32 exec_lo, exec_lo, s31
.LBB268_145:                            ;   in Loop: Header=BB268_9 Depth=1
	s_or_b32 exec_lo, exec_lo, s3
	v_lshrrev_b16 v1, 8, v9
	s_mov_b32 s3, exec_lo
	v_cmpx_ne_u16_e32 0, v1
	s_cbranch_execz .LBB268_153
; %bb.146:                              ;   in Loop: Header=BB268_9 Depth=1
	v_bfrev_b32_e32 v43, 1
	s_mov_b32 s31, exec_lo
	v_cmpx_ne_u16_e32 0x80, v1
	s_cbranch_execz .LBB268_152
; %bb.147:                              ;   in Loop: Header=BB268_9 Depth=1
	v_and_b32_sdwa v46, v1, v22 dst_sel:DWORD dst_unused:UNUSED_PAD src0_sel:WORD_0 src1_sel:DWORD
	v_mov_b32_e32 v43, 0x7c010000
	s_mov_b32 s33, exec_lo
	v_cmpx_ne_u32_e32 0x7f, v46
	s_cbranch_execz .LBB268_151
; %bb.148:                              ;   in Loop: Header=BB268_9 Depth=1
	v_and_b32_sdwa v43, v1, v23 dst_sel:DWORD dst_unused:UNUSED_PAD src0_sel:WORD_0 src1_sel:DWORD
	v_lshrrev_b32_e32 v45, 3, v46
	s_mov_b32 s34, exec_lo
	v_cmpx_gt_u32_e32 8, v46
; %bb.149:                              ;   in Loop: Header=BB268_9 Depth=1
	v_ffbh_u32_e32 v43, v43
	v_min_u32_e32 v43, 32, v43
	v_subrev_nc_u32_e32 v45, 28, v43
	v_lshlrev_b64 v[46:47], v45, v[1:2]
	v_sub_nc_u32_e32 v45, 29, v43
	v_and_b32_e32 v43, 7, v46
; %bb.150:                              ;   in Loop: Header=BB268_9 Depth=1
	s_or_b32 exec_lo, exec_lo, s34
	v_lshlrev_b32_sdwa v1, v24, v1 dst_sel:DWORD dst_unused:UNUSED_PAD src0_sel:DWORD src1_sel:WORD_0
	v_lshl_add_u32 v45, v45, 10, 0x2000
	v_lshlrev_b32_e32 v43, 23, v43
	v_and_or_b32 v1, 0x8000, v1, v45
	v_lshl_or_b32 v43, v1, 16, v43
.LBB268_151:                            ;   in Loop: Header=BB268_9 Depth=1
	s_or_b32 exec_lo, exec_lo, s33
.LBB268_152:                            ;   in Loop: Header=BB268_9 Depth=1
	s_or_b32 exec_lo, exec_lo, s31
.LBB268_153:                            ;   in Loop: Header=BB268_9 Depth=1
	s_or_b32 exec_lo, exec_lo, s3
	v_lshrrev_b32_e32 v1, 16, v9
	v_mov_b32_e32 v45, 0
	v_mov_b32_e32 v46, 0
	v_cmp_ne_u16_sdwa s2, v1, v2 src0_sel:BYTE_0 src1_sel:DWORD
	s_and_saveexec_b32 s3, s2
	s_cbranch_execz .LBB268_161
; %bb.154:                              ;   in Loop: Header=BB268_9 Depth=1
	v_cmp_ne_u16_sdwa s2, v1, v21 src0_sel:BYTE_0 src1_sel:DWORD
	v_mov_b32_e32 v46, 0x8000
	s_and_saveexec_b32 s31, s2
	s_cbranch_execz .LBB268_160
; %bb.155:                              ;   in Loop: Header=BB268_9 Depth=1
	v_bfe_u32 v48, v9, 16, 7
	v_mov_b32_e32 v46, 0x7c01
	s_mov_b32 s33, exec_lo
	v_cmpx_ne_u32_e32 0x7f, v48
	s_cbranch_execz .LBB268_159
; %bb.156:                              ;   in Loop: Header=BB268_9 Depth=1
	v_and_b32_e32 v46, 7, v1
	v_lshrrev_b32_e32 v47, 3, v48
	s_mov_b32 s34, exec_lo
	v_cmpx_gt_u32_e32 8, v48
; %bb.157:                              ;   in Loop: Header=BB268_9 Depth=1
	v_ffbh_u32_e32 v46, v46
	v_min_u32_e32 v48, 32, v46
	v_subrev_nc_u32_e32 v46, 28, v48
	v_lshlrev_b64 v[46:47], v46, v[1:2]
	v_sub_nc_u32_e32 v47, 29, v48
	v_and_b32_e32 v46, 7, v46
; %bb.158:                              ;   in Loop: Header=BB268_9 Depth=1
	s_or_b32 exec_lo, exec_lo, s34
	v_lshlrev_b32_e32 v1, 8, v1
	v_lshl_add_u32 v47, v47, 10, 0x2000
	v_lshlrev_b32_e32 v46, 7, v46
	v_and_b32_e32 v1, 0x8000, v1
	v_and_b32_e32 v47, 0xfc00, v47
	v_or3_b32 v46, v1, v47, v46
.LBB268_159:                            ;   in Loop: Header=BB268_9 Depth=1
	s_or_b32 exec_lo, exec_lo, s33
.LBB268_160:                            ;   in Loop: Header=BB268_9 Depth=1
	s_or_b32 exec_lo, exec_lo, s31
.LBB268_161:                            ;   in Loop: Header=BB268_9 Depth=1
	s_or_b32 exec_lo, exec_lo, s3
	s_mov_b32 s3, exec_lo
	v_cmpx_lt_u32_e32 0xffffff, v9
	s_cbranch_execz .LBB268_169
; %bb.162:                              ;   in Loop: Header=BB268_9 Depth=1
	v_lshrrev_b32_e32 v1, 24, v9
	v_bfrev_b32_e32 v45, 1
	s_mov_b32 s31, exec_lo
	v_cmpx_ne_u32_e32 0x80, v1
	s_cbranch_execz .LBB268_168
; %bb.163:                              ;   in Loop: Header=BB268_9 Depth=1
	v_and_b32_e32 v47, 0x7f, v1
	v_mov_b32_e32 v45, 0x7c010000
	s_mov_b32 s33, exec_lo
	v_cmpx_ne_u32_e32 0x7f, v47
	s_cbranch_execz .LBB268_167
; %bb.164:                              ;   in Loop: Header=BB268_9 Depth=1
	v_and_b32_e32 v9, 7, v1
	v_lshrrev_b32_e32 v45, 3, v47
	s_mov_b32 s34, exec_lo
	v_cmpx_gt_u32_e32 8, v47
; %bb.165:                              ;   in Loop: Header=BB268_9 Depth=1
	v_ffbh_u32_e32 v9, v9
	v_min_u32_e32 v9, 32, v9
	v_subrev_nc_u32_e32 v45, 28, v9
	v_lshlrev_b64 v[47:48], v45, v[1:2]
	v_sub_nc_u32_e32 v45, 29, v9
	v_and_b32_e32 v9, 7, v47
; %bb.166:                              ;   in Loop: Header=BB268_9 Depth=1
	s_or_b32 exec_lo, exec_lo, s34
	v_lshlrev_b32_e32 v1, 8, v1
	v_lshl_add_u32 v45, v45, 10, 0x2000
	v_lshlrev_b32_e32 v9, 23, v9
	v_and_or_b32 v1, 0x8000, v1, v45
	v_lshl_or_b32 v45, v1, 16, v9
.LBB268_167:                            ;   in Loop: Header=BB268_9 Depth=1
	s_or_b32 exec_lo, exec_lo, s33
.LBB268_168:                            ;   in Loop: Header=BB268_9 Depth=1
	s_or_b32 exec_lo, exec_lo, s31
.LBB268_169:                            ;   in Loop: Header=BB268_9 Depth=1
	s_or_b32 exec_lo, exec_lo, s3
	global_load_dword v9, v[7:8], off offset:520
	v_mov_b32_e32 v47, 0
	v_mov_b32_e32 v48, 0
	s_waitcnt vmcnt(0)
	v_cmp_ne_u16_sdwa s2, v9, v2 src0_sel:BYTE_0 src1_sel:DWORD
	s_and_saveexec_b32 s3, s2
	s_cbranch_execz .LBB268_177
; %bb.170:                              ;   in Loop: Header=BB268_9 Depth=1
	v_cmp_ne_u16_sdwa s2, v9, v21 src0_sel:BYTE_0 src1_sel:DWORD
	v_mov_b32_e32 v48, 0x8000
	s_and_saveexec_b32 s31, s2
	s_cbranch_execz .LBB268_176
; %bb.171:                              ;   in Loop: Header=BB268_9 Depth=1
	v_and_b32_e32 v49, 0x7f, v9
	v_mov_b32_e32 v48, 0x7c01
	s_mov_b32 s33, exec_lo
	v_cmpx_ne_u32_e32 0x7f, v49
	s_cbranch_execz .LBB268_175
; %bb.172:                              ;   in Loop: Header=BB268_9 Depth=1
	v_and_b32_e32 v1, 7, v9
	v_lshrrev_b32_e32 v48, 3, v49
	s_mov_b32 s34, exec_lo
	v_cmpx_gt_u32_e32 8, v49
; %bb.173:                              ;   in Loop: Header=BB268_9 Depth=1
	v_ffbh_u32_e32 v1, v1
	v_min_u32_e32 v1, 32, v1
	v_subrev_nc_u32_e32 v48, 28, v1
	v_lshlrev_b64 v[49:50], v48, v[9:10]
	v_sub_nc_u32_e32 v48, 29, v1
	v_and_b32_e32 v1, 7, v49
; %bb.174:                              ;   in Loop: Header=BB268_9 Depth=1
	s_or_b32 exec_lo, exec_lo, s34
	v_lshlrev_b32_e32 v49, 8, v9
	v_lshl_add_u32 v48, v48, 10, 0x2000
	v_lshlrev_b32_e32 v1, 7, v1
	v_and_b32_e32 v49, 0x8000, v49
	v_and_b32_e32 v48, 0xfc00, v48
	v_or3_b32 v48, v49, v48, v1
.LBB268_175:                            ;   in Loop: Header=BB268_9 Depth=1
	s_or_b32 exec_lo, exec_lo, s33
.LBB268_176:                            ;   in Loop: Header=BB268_9 Depth=1
	s_or_b32 exec_lo, exec_lo, s31
.LBB268_177:                            ;   in Loop: Header=BB268_9 Depth=1
	s_or_b32 exec_lo, exec_lo, s3
	v_lshrrev_b16 v1, 8, v9
	s_mov_b32 s3, exec_lo
	v_cmpx_ne_u16_e32 0, v1
	s_cbranch_execz .LBB268_185
; %bb.178:                              ;   in Loop: Header=BB268_9 Depth=1
	v_bfrev_b32_e32 v47, 1
	s_mov_b32 s31, exec_lo
	v_cmpx_ne_u16_e32 0x80, v1
	s_cbranch_execz .LBB268_184
; %bb.179:                              ;   in Loop: Header=BB268_9 Depth=1
	v_and_b32_sdwa v50, v1, v22 dst_sel:DWORD dst_unused:UNUSED_PAD src0_sel:WORD_0 src1_sel:DWORD
	v_mov_b32_e32 v47, 0x7c010000
	s_mov_b32 s33, exec_lo
	v_cmpx_ne_u32_e32 0x7f, v50
	s_cbranch_execz .LBB268_183
; %bb.180:                              ;   in Loop: Header=BB268_9 Depth=1
	v_and_b32_sdwa v47, v1, v23 dst_sel:DWORD dst_unused:UNUSED_PAD src0_sel:WORD_0 src1_sel:DWORD
	v_lshrrev_b32_e32 v49, 3, v50
	s_mov_b32 s34, exec_lo
	v_cmpx_gt_u32_e32 8, v50
; %bb.181:                              ;   in Loop: Header=BB268_9 Depth=1
	v_ffbh_u32_e32 v47, v47
	v_min_u32_e32 v47, 32, v47
	v_subrev_nc_u32_e32 v49, 28, v47
	v_lshlrev_b64 v[50:51], v49, v[1:2]
	v_sub_nc_u32_e32 v49, 29, v47
	v_and_b32_e32 v47, 7, v50
; %bb.182:                              ;   in Loop: Header=BB268_9 Depth=1
	s_or_b32 exec_lo, exec_lo, s34
	v_lshlrev_b32_sdwa v1, v24, v1 dst_sel:DWORD dst_unused:UNUSED_PAD src0_sel:DWORD src1_sel:WORD_0
	v_lshl_add_u32 v49, v49, 10, 0x2000
	v_lshlrev_b32_e32 v47, 23, v47
	v_and_or_b32 v1, 0x8000, v1, v49
	v_lshl_or_b32 v47, v1, 16, v47
.LBB268_183:                            ;   in Loop: Header=BB268_9 Depth=1
	s_or_b32 exec_lo, exec_lo, s33
.LBB268_184:                            ;   in Loop: Header=BB268_9 Depth=1
	s_or_b32 exec_lo, exec_lo, s31
.LBB268_185:                            ;   in Loop: Header=BB268_9 Depth=1
	s_or_b32 exec_lo, exec_lo, s3
	v_lshrrev_b32_e32 v1, 16, v9
	v_mov_b32_e32 v49, 0
	v_mov_b32_e32 v50, 0
	v_cmp_ne_u16_sdwa s2, v1, v2 src0_sel:BYTE_0 src1_sel:DWORD
	s_and_saveexec_b32 s3, s2
	s_cbranch_execz .LBB268_193
; %bb.186:                              ;   in Loop: Header=BB268_9 Depth=1
	v_cmp_ne_u16_sdwa s2, v1, v21 src0_sel:BYTE_0 src1_sel:DWORD
	v_mov_b32_e32 v50, 0x8000
	s_and_saveexec_b32 s31, s2
	s_cbranch_execz .LBB268_192
; %bb.187:                              ;   in Loop: Header=BB268_9 Depth=1
	v_bfe_u32 v52, v9, 16, 7
	v_mov_b32_e32 v50, 0x7c01
	s_mov_b32 s33, exec_lo
	v_cmpx_ne_u32_e32 0x7f, v52
	s_cbranch_execz .LBB268_191
; %bb.188:                              ;   in Loop: Header=BB268_9 Depth=1
	v_and_b32_e32 v50, 7, v1
	v_lshrrev_b32_e32 v51, 3, v52
	s_mov_b32 s34, exec_lo
	v_cmpx_gt_u32_e32 8, v52
; %bb.189:                              ;   in Loop: Header=BB268_9 Depth=1
	v_ffbh_u32_e32 v50, v50
	v_min_u32_e32 v52, 32, v50
	v_subrev_nc_u32_e32 v50, 28, v52
	v_lshlrev_b64 v[50:51], v50, v[1:2]
	v_sub_nc_u32_e32 v51, 29, v52
	v_and_b32_e32 v50, 7, v50
; %bb.190:                              ;   in Loop: Header=BB268_9 Depth=1
	s_or_b32 exec_lo, exec_lo, s34
	v_lshlrev_b32_e32 v1, 8, v1
	v_lshl_add_u32 v51, v51, 10, 0x2000
	v_lshlrev_b32_e32 v50, 7, v50
	v_and_b32_e32 v1, 0x8000, v1
	v_and_b32_e32 v51, 0xfc00, v51
	v_or3_b32 v50, v1, v51, v50
.LBB268_191:                            ;   in Loop: Header=BB268_9 Depth=1
	s_or_b32 exec_lo, exec_lo, s33
.LBB268_192:                            ;   in Loop: Header=BB268_9 Depth=1
	s_or_b32 exec_lo, exec_lo, s31
.LBB268_193:                            ;   in Loop: Header=BB268_9 Depth=1
	s_or_b32 exec_lo, exec_lo, s3
	s_mov_b32 s3, exec_lo
	v_cmpx_lt_u32_e32 0xffffff, v9
	s_cbranch_execz .LBB268_201
; %bb.194:                              ;   in Loop: Header=BB268_9 Depth=1
	v_lshrrev_b32_e32 v1, 24, v9
	v_bfrev_b32_e32 v49, 1
	s_mov_b32 s31, exec_lo
	v_cmpx_ne_u32_e32 0x80, v1
	s_cbranch_execz .LBB268_200
; %bb.195:                              ;   in Loop: Header=BB268_9 Depth=1
	v_and_b32_e32 v51, 0x7f, v1
	v_mov_b32_e32 v49, 0x7c010000
	s_mov_b32 s33, exec_lo
	v_cmpx_ne_u32_e32 0x7f, v51
	s_cbranch_execz .LBB268_199
; %bb.196:                              ;   in Loop: Header=BB268_9 Depth=1
	v_and_b32_e32 v9, 7, v1
	v_lshrrev_b32_e32 v49, 3, v51
	s_mov_b32 s34, exec_lo
	v_cmpx_gt_u32_e32 8, v51
; %bb.197:                              ;   in Loop: Header=BB268_9 Depth=1
	v_ffbh_u32_e32 v9, v9
	v_min_u32_e32 v9, 32, v9
	v_subrev_nc_u32_e32 v49, 28, v9
	v_lshlrev_b64 v[51:52], v49, v[1:2]
	v_sub_nc_u32_e32 v49, 29, v9
	v_and_b32_e32 v9, 7, v51
; %bb.198:                              ;   in Loop: Header=BB268_9 Depth=1
	s_or_b32 exec_lo, exec_lo, s34
	v_lshlrev_b32_e32 v1, 8, v1
	v_lshl_add_u32 v49, v49, 10, 0x2000
	v_lshlrev_b32_e32 v9, 23, v9
	v_and_or_b32 v1, 0x8000, v1, v49
	v_lshl_or_b32 v49, v1, 16, v9
.LBB268_199:                            ;   in Loop: Header=BB268_9 Depth=1
	s_or_b32 exec_lo, exec_lo, s33
.LBB268_200:                            ;   in Loop: Header=BB268_9 Depth=1
	s_or_b32 exec_lo, exec_lo, s31
.LBB268_201:                            ;   in Loop: Header=BB268_9 Depth=1
	s_or_b32 exec_lo, exec_lo, s3
	global_load_dword v9, v[7:8], off offset:768
	v_mov_b32_e32 v51, 0
	v_mov_b32_e32 v52, 0
	s_waitcnt vmcnt(0)
	v_cmp_ne_u16_sdwa s2, v9, v2 src0_sel:BYTE_0 src1_sel:DWORD
	s_and_saveexec_b32 s3, s2
	s_cbranch_execz .LBB268_209
; %bb.202:                              ;   in Loop: Header=BB268_9 Depth=1
	v_cmp_ne_u16_sdwa s2, v9, v21 src0_sel:BYTE_0 src1_sel:DWORD
	v_mov_b32_e32 v52, 0x8000
	s_and_saveexec_b32 s31, s2
	s_cbranch_execz .LBB268_208
; %bb.203:                              ;   in Loop: Header=BB268_9 Depth=1
	v_and_b32_e32 v53, 0x7f, v9
	v_mov_b32_e32 v52, 0x7c01
	s_mov_b32 s33, exec_lo
	v_cmpx_ne_u32_e32 0x7f, v53
	s_cbranch_execz .LBB268_207
; %bb.204:                              ;   in Loop: Header=BB268_9 Depth=1
	v_and_b32_e32 v1, 7, v9
	v_lshrrev_b32_e32 v52, 3, v53
	s_mov_b32 s34, exec_lo
	v_cmpx_gt_u32_e32 8, v53
; %bb.205:                              ;   in Loop: Header=BB268_9 Depth=1
	v_ffbh_u32_e32 v1, v1
	v_min_u32_e32 v1, 32, v1
	v_subrev_nc_u32_e32 v52, 28, v1
	v_lshlrev_b64 v[53:54], v52, v[9:10]
	v_sub_nc_u32_e32 v52, 29, v1
	v_and_b32_e32 v1, 7, v53
; %bb.206:                              ;   in Loop: Header=BB268_9 Depth=1
	s_or_b32 exec_lo, exec_lo, s34
	v_lshlrev_b32_e32 v53, 8, v9
	v_lshl_add_u32 v52, v52, 10, 0x2000
	v_lshlrev_b32_e32 v1, 7, v1
	v_and_b32_e32 v53, 0x8000, v53
	v_and_b32_e32 v52, 0xfc00, v52
	v_or3_b32 v52, v53, v52, v1
.LBB268_207:                            ;   in Loop: Header=BB268_9 Depth=1
	s_or_b32 exec_lo, exec_lo, s33
.LBB268_208:                            ;   in Loop: Header=BB268_9 Depth=1
	s_or_b32 exec_lo, exec_lo, s31
.LBB268_209:                            ;   in Loop: Header=BB268_9 Depth=1
	s_or_b32 exec_lo, exec_lo, s3
	v_lshrrev_b16 v1, 8, v9
	s_mov_b32 s3, exec_lo
	v_cmpx_ne_u16_e32 0, v1
	s_cbranch_execz .LBB268_217
; %bb.210:                              ;   in Loop: Header=BB268_9 Depth=1
	v_bfrev_b32_e32 v51, 1
	s_mov_b32 s31, exec_lo
	v_cmpx_ne_u16_e32 0x80, v1
	s_cbranch_execz .LBB268_216
; %bb.211:                              ;   in Loop: Header=BB268_9 Depth=1
	v_and_b32_sdwa v54, v1, v22 dst_sel:DWORD dst_unused:UNUSED_PAD src0_sel:WORD_0 src1_sel:DWORD
	v_mov_b32_e32 v51, 0x7c010000
	s_mov_b32 s33, exec_lo
	v_cmpx_ne_u32_e32 0x7f, v54
	s_cbranch_execz .LBB268_215
; %bb.212:                              ;   in Loop: Header=BB268_9 Depth=1
	v_and_b32_sdwa v51, v1, v23 dst_sel:DWORD dst_unused:UNUSED_PAD src0_sel:WORD_0 src1_sel:DWORD
	v_lshrrev_b32_e32 v53, 3, v54
	s_mov_b32 s34, exec_lo
	v_cmpx_gt_u32_e32 8, v54
; %bb.213:                              ;   in Loop: Header=BB268_9 Depth=1
	v_ffbh_u32_e32 v51, v51
	v_min_u32_e32 v51, 32, v51
	v_subrev_nc_u32_e32 v53, 28, v51
	v_lshlrev_b64 v[54:55], v53, v[1:2]
	v_sub_nc_u32_e32 v53, 29, v51
	v_and_b32_e32 v51, 7, v54
; %bb.214:                              ;   in Loop: Header=BB268_9 Depth=1
	s_or_b32 exec_lo, exec_lo, s34
	v_lshlrev_b32_sdwa v1, v24, v1 dst_sel:DWORD dst_unused:UNUSED_PAD src0_sel:DWORD src1_sel:WORD_0
	v_lshl_add_u32 v53, v53, 10, 0x2000
	v_lshlrev_b32_e32 v51, 23, v51
	v_and_or_b32 v1, 0x8000, v1, v53
	v_lshl_or_b32 v51, v1, 16, v51
.LBB268_215:                            ;   in Loop: Header=BB268_9 Depth=1
	s_or_b32 exec_lo, exec_lo, s33
.LBB268_216:                            ;   in Loop: Header=BB268_9 Depth=1
	s_or_b32 exec_lo, exec_lo, s31
.LBB268_217:                            ;   in Loop: Header=BB268_9 Depth=1
	s_or_b32 exec_lo, exec_lo, s3
	v_lshrrev_b32_e32 v1, 16, v9
	v_mov_b32_e32 v53, 0
	v_mov_b32_e32 v54, 0
	v_cmp_ne_u16_sdwa s2, v1, v2 src0_sel:BYTE_0 src1_sel:DWORD
	s_and_saveexec_b32 s3, s2
	s_cbranch_execz .LBB268_225
; %bb.218:                              ;   in Loop: Header=BB268_9 Depth=1
	v_cmp_ne_u16_sdwa s2, v1, v21 src0_sel:BYTE_0 src1_sel:DWORD
	v_mov_b32_e32 v54, 0x8000
	s_and_saveexec_b32 s31, s2
	s_cbranch_execz .LBB268_224
; %bb.219:                              ;   in Loop: Header=BB268_9 Depth=1
	v_bfe_u32 v56, v9, 16, 7
	v_mov_b32_e32 v54, 0x7c01
	s_mov_b32 s33, exec_lo
	v_cmpx_ne_u32_e32 0x7f, v56
	s_cbranch_execz .LBB268_223
; %bb.220:                              ;   in Loop: Header=BB268_9 Depth=1
	v_and_b32_e32 v54, 7, v1
	v_lshrrev_b32_e32 v55, 3, v56
	s_mov_b32 s34, exec_lo
	v_cmpx_gt_u32_e32 8, v56
; %bb.221:                              ;   in Loop: Header=BB268_9 Depth=1
	v_ffbh_u32_e32 v54, v54
	v_min_u32_e32 v56, 32, v54
	v_subrev_nc_u32_e32 v54, 28, v56
	v_lshlrev_b64 v[54:55], v54, v[1:2]
	v_sub_nc_u32_e32 v55, 29, v56
	v_and_b32_e32 v54, 7, v54
; %bb.222:                              ;   in Loop: Header=BB268_9 Depth=1
	s_or_b32 exec_lo, exec_lo, s34
	v_lshlrev_b32_e32 v1, 8, v1
	v_lshl_add_u32 v55, v55, 10, 0x2000
	v_lshlrev_b32_e32 v54, 7, v54
	v_and_b32_e32 v1, 0x8000, v1
	v_and_b32_e32 v55, 0xfc00, v55
	v_or3_b32 v54, v1, v55, v54
.LBB268_223:                            ;   in Loop: Header=BB268_9 Depth=1
	s_or_b32 exec_lo, exec_lo, s33
.LBB268_224:                            ;   in Loop: Header=BB268_9 Depth=1
	s_or_b32 exec_lo, exec_lo, s31
.LBB268_225:                            ;   in Loop: Header=BB268_9 Depth=1
	s_or_b32 exec_lo, exec_lo, s3
	s_mov_b32 s3, exec_lo
	v_cmpx_lt_u32_e32 0xffffff, v9
	s_cbranch_execz .LBB268_233
; %bb.226:                              ;   in Loop: Header=BB268_9 Depth=1
	v_lshrrev_b32_e32 v1, 24, v9
	v_bfrev_b32_e32 v53, 1
	s_mov_b32 s31, exec_lo
	v_cmpx_ne_u32_e32 0x80, v1
	s_cbranch_execz .LBB268_232
; %bb.227:                              ;   in Loop: Header=BB268_9 Depth=1
	v_and_b32_e32 v55, 0x7f, v1
	v_mov_b32_e32 v53, 0x7c010000
	s_mov_b32 s33, exec_lo
	v_cmpx_ne_u32_e32 0x7f, v55
	s_cbranch_execz .LBB268_231
; %bb.228:                              ;   in Loop: Header=BB268_9 Depth=1
	v_and_b32_e32 v9, 7, v1
	v_lshrrev_b32_e32 v53, 3, v55
	s_mov_b32 s34, exec_lo
	v_cmpx_gt_u32_e32 8, v55
; %bb.229:                              ;   in Loop: Header=BB268_9 Depth=1
	v_ffbh_u32_e32 v9, v9
	v_min_u32_e32 v9, 32, v9
	v_subrev_nc_u32_e32 v53, 28, v9
	v_lshlrev_b64 v[55:56], v53, v[1:2]
	v_sub_nc_u32_e32 v53, 29, v9
	v_and_b32_e32 v9, 7, v55
; %bb.230:                              ;   in Loop: Header=BB268_9 Depth=1
	s_or_b32 exec_lo, exec_lo, s34
	v_lshlrev_b32_e32 v1, 8, v1
	v_lshl_add_u32 v53, v53, 10, 0x2000
	v_lshlrev_b32_e32 v9, 23, v9
	v_and_or_b32 v1, 0x8000, v1, v53
	v_lshl_or_b32 v53, v1, 16, v9
.LBB268_231:                            ;   in Loop: Header=BB268_9 Depth=1
	s_or_b32 exec_lo, exec_lo, s33
.LBB268_232:                            ;   in Loop: Header=BB268_9 Depth=1
	s_or_b32 exec_lo, exec_lo, s31
.LBB268_233:                            ;   in Loop: Header=BB268_9 Depth=1
	s_or_b32 exec_lo, exec_lo, s3
	global_load_dword v9, v[7:8], off offset:776
	v_mov_b32_e32 v55, 0
	v_mov_b32_e32 v56, 0
	s_waitcnt vmcnt(0)
	v_cmp_ne_u16_sdwa s2, v9, v2 src0_sel:BYTE_0 src1_sel:DWORD
	s_and_saveexec_b32 s3, s2
	s_cbranch_execz .LBB268_241
; %bb.234:                              ;   in Loop: Header=BB268_9 Depth=1
	v_cmp_ne_u16_sdwa s2, v9, v21 src0_sel:BYTE_0 src1_sel:DWORD
	v_mov_b32_e32 v56, 0x8000
	s_and_saveexec_b32 s31, s2
	s_cbranch_execz .LBB268_240
; %bb.235:                              ;   in Loop: Header=BB268_9 Depth=1
	v_and_b32_e32 v57, 0x7f, v9
	v_mov_b32_e32 v56, 0x7c01
	s_mov_b32 s33, exec_lo
	v_cmpx_ne_u32_e32 0x7f, v57
	s_cbranch_execz .LBB268_239
; %bb.236:                              ;   in Loop: Header=BB268_9 Depth=1
	v_and_b32_e32 v1, 7, v9
	v_lshrrev_b32_e32 v56, 3, v57
	s_mov_b32 s34, exec_lo
	v_cmpx_gt_u32_e32 8, v57
; %bb.237:                              ;   in Loop: Header=BB268_9 Depth=1
	v_ffbh_u32_e32 v1, v1
	v_min_u32_e32 v1, 32, v1
	v_subrev_nc_u32_e32 v56, 28, v1
	v_lshlrev_b64 v[57:58], v56, v[9:10]
	v_sub_nc_u32_e32 v56, 29, v1
	v_and_b32_e32 v1, 7, v57
; %bb.238:                              ;   in Loop: Header=BB268_9 Depth=1
	s_or_b32 exec_lo, exec_lo, s34
	v_lshlrev_b32_e32 v57, 8, v9
	v_lshl_add_u32 v56, v56, 10, 0x2000
	v_lshlrev_b32_e32 v1, 7, v1
	v_and_b32_e32 v57, 0x8000, v57
	v_and_b32_e32 v56, 0xfc00, v56
	v_or3_b32 v56, v57, v56, v1
.LBB268_239:                            ;   in Loop: Header=BB268_9 Depth=1
	s_or_b32 exec_lo, exec_lo, s33
.LBB268_240:                            ;   in Loop: Header=BB268_9 Depth=1
	s_or_b32 exec_lo, exec_lo, s31
.LBB268_241:                            ;   in Loop: Header=BB268_9 Depth=1
	s_or_b32 exec_lo, exec_lo, s3
	v_lshrrev_b16 v1, 8, v9
	s_mov_b32 s3, exec_lo
	v_cmpx_ne_u16_e32 0, v1
	s_cbranch_execz .LBB268_249
; %bb.242:                              ;   in Loop: Header=BB268_9 Depth=1
	v_bfrev_b32_e32 v55, 1
	s_mov_b32 s31, exec_lo
	v_cmpx_ne_u16_e32 0x80, v1
	s_cbranch_execz .LBB268_248
; %bb.243:                              ;   in Loop: Header=BB268_9 Depth=1
	v_and_b32_sdwa v58, v1, v22 dst_sel:DWORD dst_unused:UNUSED_PAD src0_sel:WORD_0 src1_sel:DWORD
	v_mov_b32_e32 v55, 0x7c010000
	s_mov_b32 s33, exec_lo
	v_cmpx_ne_u32_e32 0x7f, v58
	s_cbranch_execz .LBB268_247
; %bb.244:                              ;   in Loop: Header=BB268_9 Depth=1
	v_and_b32_sdwa v55, v1, v23 dst_sel:DWORD dst_unused:UNUSED_PAD src0_sel:WORD_0 src1_sel:DWORD
	v_lshrrev_b32_e32 v57, 3, v58
	s_mov_b32 s34, exec_lo
	v_cmpx_gt_u32_e32 8, v58
; %bb.245:                              ;   in Loop: Header=BB268_9 Depth=1
	v_ffbh_u32_e32 v55, v55
	v_min_u32_e32 v55, 32, v55
	v_subrev_nc_u32_e32 v57, 28, v55
	v_lshlrev_b64 v[58:59], v57, v[1:2]
	v_sub_nc_u32_e32 v57, 29, v55
	v_and_b32_e32 v55, 7, v58
; %bb.246:                              ;   in Loop: Header=BB268_9 Depth=1
	s_or_b32 exec_lo, exec_lo, s34
	v_lshlrev_b32_sdwa v1, v24, v1 dst_sel:DWORD dst_unused:UNUSED_PAD src0_sel:DWORD src1_sel:WORD_0
	v_lshl_add_u32 v57, v57, 10, 0x2000
	v_lshlrev_b32_e32 v55, 23, v55
	v_and_or_b32 v1, 0x8000, v1, v57
	v_lshl_or_b32 v55, v1, 16, v55
.LBB268_247:                            ;   in Loop: Header=BB268_9 Depth=1
	s_or_b32 exec_lo, exec_lo, s33
.LBB268_248:                            ;   in Loop: Header=BB268_9 Depth=1
	s_or_b32 exec_lo, exec_lo, s31
.LBB268_249:                            ;   in Loop: Header=BB268_9 Depth=1
	s_or_b32 exec_lo, exec_lo, s3
	v_lshrrev_b32_e32 v1, 16, v9
	v_mov_b32_e32 v57, 0
	v_mov_b32_e32 v58, 0
	v_cmp_ne_u16_sdwa s2, v1, v2 src0_sel:BYTE_0 src1_sel:DWORD
	s_and_saveexec_b32 s3, s2
	s_cbranch_execz .LBB268_257
; %bb.250:                              ;   in Loop: Header=BB268_9 Depth=1
	v_cmp_ne_u16_sdwa s2, v1, v21 src0_sel:BYTE_0 src1_sel:DWORD
	v_mov_b32_e32 v58, 0x8000
	s_and_saveexec_b32 s31, s2
	s_cbranch_execz .LBB268_256
; %bb.251:                              ;   in Loop: Header=BB268_9 Depth=1
	v_bfe_u32 v60, v9, 16, 7
	v_mov_b32_e32 v58, 0x7c01
	s_mov_b32 s33, exec_lo
	v_cmpx_ne_u32_e32 0x7f, v60
	s_cbranch_execz .LBB268_255
; %bb.252:                              ;   in Loop: Header=BB268_9 Depth=1
	v_and_b32_e32 v58, 7, v1
	v_lshrrev_b32_e32 v59, 3, v60
	s_mov_b32 s34, exec_lo
	v_cmpx_gt_u32_e32 8, v60
; %bb.253:                              ;   in Loop: Header=BB268_9 Depth=1
	v_ffbh_u32_e32 v58, v58
	v_min_u32_e32 v60, 32, v58
	v_subrev_nc_u32_e32 v58, 28, v60
	v_lshlrev_b64 v[58:59], v58, v[1:2]
	v_sub_nc_u32_e32 v59, 29, v60
	v_and_b32_e32 v58, 7, v58
; %bb.254:                              ;   in Loop: Header=BB268_9 Depth=1
	s_or_b32 exec_lo, exec_lo, s34
	v_lshlrev_b32_e32 v1, 8, v1
	v_lshl_add_u32 v59, v59, 10, 0x2000
	v_lshlrev_b32_e32 v58, 7, v58
	v_and_b32_e32 v1, 0x8000, v1
	v_and_b32_e32 v59, 0xfc00, v59
	v_or3_b32 v58, v1, v59, v58
.LBB268_255:                            ;   in Loop: Header=BB268_9 Depth=1
	s_or_b32 exec_lo, exec_lo, s33
.LBB268_256:                            ;   in Loop: Header=BB268_9 Depth=1
	s_or_b32 exec_lo, exec_lo, s31
.LBB268_257:                            ;   in Loop: Header=BB268_9 Depth=1
	s_or_b32 exec_lo, exec_lo, s3
	s_mov_b32 s3, exec_lo
	v_cmpx_lt_u32_e32 0xffffff, v9
	s_cbranch_execz .LBB268_265
; %bb.258:                              ;   in Loop: Header=BB268_9 Depth=1
	v_lshrrev_b32_e32 v1, 24, v9
	v_bfrev_b32_e32 v57, 1
	s_mov_b32 s31, exec_lo
	v_cmpx_ne_u32_e32 0x80, v1
	s_cbranch_execz .LBB268_264
; %bb.259:                              ;   in Loop: Header=BB268_9 Depth=1
	v_and_b32_e32 v59, 0x7f, v1
	v_mov_b32_e32 v57, 0x7c010000
	s_mov_b32 s33, exec_lo
	v_cmpx_ne_u32_e32 0x7f, v59
	s_cbranch_execz .LBB268_263
; %bb.260:                              ;   in Loop: Header=BB268_9 Depth=1
	v_and_b32_e32 v9, 7, v1
	v_lshrrev_b32_e32 v57, 3, v59
	s_mov_b32 s34, exec_lo
	v_cmpx_gt_u32_e32 8, v59
; %bb.261:                              ;   in Loop: Header=BB268_9 Depth=1
	v_ffbh_u32_e32 v9, v9
	v_min_u32_e32 v9, 32, v9
	v_subrev_nc_u32_e32 v57, 28, v9
	v_lshlrev_b64 v[59:60], v57, v[1:2]
	v_sub_nc_u32_e32 v57, 29, v9
	v_and_b32_e32 v9, 7, v59
; %bb.262:                              ;   in Loop: Header=BB268_9 Depth=1
	s_or_b32 exec_lo, exec_lo, s34
	v_lshlrev_b32_e32 v1, 8, v1
	v_lshl_add_u32 v57, v57, 10, 0x2000
	v_lshlrev_b32_e32 v9, 23, v9
	v_and_or_b32 v1, 0x8000, v1, v57
	v_lshl_or_b32 v57, v1, 16, v9
.LBB268_263:                            ;   in Loop: Header=BB268_9 Depth=1
	s_or_b32 exec_lo, exec_lo, s33
.LBB268_264:                            ;   in Loop: Header=BB268_9 Depth=1
	s_or_b32 exec_lo, exec_lo, s31
.LBB268_265:                            ;   in Loop: Header=BB268_9 Depth=1
	s_or_b32 exec_lo, exec_lo, s3
	global_load_dword v9, v[7:8], off offset:1024
	v_mov_b32_e32 v59, 0
	v_mov_b32_e32 v60, 0
	s_waitcnt vmcnt(0)
	v_cmp_ne_u16_sdwa s2, v9, v2 src0_sel:BYTE_0 src1_sel:DWORD
	s_and_saveexec_b32 s3, s2
	s_cbranch_execz .LBB268_273
; %bb.266:                              ;   in Loop: Header=BB268_9 Depth=1
	v_cmp_ne_u16_sdwa s2, v9, v21 src0_sel:BYTE_0 src1_sel:DWORD
	v_mov_b32_e32 v60, 0x8000
	s_and_saveexec_b32 s31, s2
	s_cbranch_execz .LBB268_272
; %bb.267:                              ;   in Loop: Header=BB268_9 Depth=1
	v_and_b32_e32 v61, 0x7f, v9
	v_mov_b32_e32 v60, 0x7c01
	s_mov_b32 s33, exec_lo
	v_cmpx_ne_u32_e32 0x7f, v61
	s_cbranch_execz .LBB268_271
; %bb.268:                              ;   in Loop: Header=BB268_9 Depth=1
	v_and_b32_e32 v1, 7, v9
	v_lshrrev_b32_e32 v60, 3, v61
	s_mov_b32 s34, exec_lo
	v_cmpx_gt_u32_e32 8, v61
; %bb.269:                              ;   in Loop: Header=BB268_9 Depth=1
	v_ffbh_u32_e32 v1, v1
	v_min_u32_e32 v1, 32, v1
	v_subrev_nc_u32_e32 v60, 28, v1
	v_lshlrev_b64 v[61:62], v60, v[9:10]
	v_sub_nc_u32_e32 v60, 29, v1
	v_and_b32_e32 v1, 7, v61
; %bb.270:                              ;   in Loop: Header=BB268_9 Depth=1
	s_or_b32 exec_lo, exec_lo, s34
	v_lshlrev_b32_e32 v61, 8, v9
	v_lshl_add_u32 v60, v60, 10, 0x2000
	v_lshlrev_b32_e32 v1, 7, v1
	v_and_b32_e32 v61, 0x8000, v61
	v_and_b32_e32 v60, 0xfc00, v60
	v_or3_b32 v60, v61, v60, v1
.LBB268_271:                            ;   in Loop: Header=BB268_9 Depth=1
	s_or_b32 exec_lo, exec_lo, s33
.LBB268_272:                            ;   in Loop: Header=BB268_9 Depth=1
	s_or_b32 exec_lo, exec_lo, s31
.LBB268_273:                            ;   in Loop: Header=BB268_9 Depth=1
	s_or_b32 exec_lo, exec_lo, s3
	v_lshrrev_b16 v1, 8, v9
	s_mov_b32 s3, exec_lo
	v_cmpx_ne_u16_e32 0, v1
	s_cbranch_execz .LBB268_281
; %bb.274:                              ;   in Loop: Header=BB268_9 Depth=1
	v_bfrev_b32_e32 v59, 1
	s_mov_b32 s31, exec_lo
	v_cmpx_ne_u16_e32 0x80, v1
	s_cbranch_execz .LBB268_280
; %bb.275:                              ;   in Loop: Header=BB268_9 Depth=1
	v_and_b32_sdwa v62, v1, v22 dst_sel:DWORD dst_unused:UNUSED_PAD src0_sel:WORD_0 src1_sel:DWORD
	v_mov_b32_e32 v59, 0x7c010000
	s_mov_b32 s33, exec_lo
	v_cmpx_ne_u32_e32 0x7f, v62
	s_cbranch_execz .LBB268_279
; %bb.276:                              ;   in Loop: Header=BB268_9 Depth=1
	v_and_b32_sdwa v59, v1, v23 dst_sel:DWORD dst_unused:UNUSED_PAD src0_sel:WORD_0 src1_sel:DWORD
	v_lshrrev_b32_e32 v61, 3, v62
	s_mov_b32 s34, exec_lo
	v_cmpx_gt_u32_e32 8, v62
; %bb.277:                              ;   in Loop: Header=BB268_9 Depth=1
	v_ffbh_u32_e32 v59, v59
	v_min_u32_e32 v59, 32, v59
	v_subrev_nc_u32_e32 v61, 28, v59
	v_lshlrev_b64 v[62:63], v61, v[1:2]
	v_sub_nc_u32_e32 v61, 29, v59
	v_and_b32_e32 v59, 7, v62
; %bb.278:                              ;   in Loop: Header=BB268_9 Depth=1
	s_or_b32 exec_lo, exec_lo, s34
	v_lshlrev_b32_sdwa v1, v24, v1 dst_sel:DWORD dst_unused:UNUSED_PAD src0_sel:DWORD src1_sel:WORD_0
	v_lshl_add_u32 v61, v61, 10, 0x2000
	v_lshlrev_b32_e32 v59, 23, v59
	v_and_or_b32 v1, 0x8000, v1, v61
	v_lshl_or_b32 v59, v1, 16, v59
.LBB268_279:                            ;   in Loop: Header=BB268_9 Depth=1
	s_or_b32 exec_lo, exec_lo, s33
.LBB268_280:                            ;   in Loop: Header=BB268_9 Depth=1
	s_or_b32 exec_lo, exec_lo, s31
.LBB268_281:                            ;   in Loop: Header=BB268_9 Depth=1
	s_or_b32 exec_lo, exec_lo, s3
	v_lshrrev_b32_e32 v1, 16, v9
	v_mov_b32_e32 v61, 0
	v_mov_b32_e32 v62, 0
	v_cmp_ne_u16_sdwa s2, v1, v2 src0_sel:BYTE_0 src1_sel:DWORD
	s_and_saveexec_b32 s3, s2
	s_cbranch_execz .LBB268_289
; %bb.282:                              ;   in Loop: Header=BB268_9 Depth=1
	v_cmp_ne_u16_sdwa s2, v1, v21 src0_sel:BYTE_0 src1_sel:DWORD
	v_mov_b32_e32 v62, 0x8000
	s_and_saveexec_b32 s31, s2
	s_cbranch_execz .LBB268_288
; %bb.283:                              ;   in Loop: Header=BB268_9 Depth=1
	v_bfe_u32 v64, v9, 16, 7
	v_mov_b32_e32 v62, 0x7c01
	s_mov_b32 s33, exec_lo
	v_cmpx_ne_u32_e32 0x7f, v64
	s_cbranch_execz .LBB268_287
; %bb.284:                              ;   in Loop: Header=BB268_9 Depth=1
	v_and_b32_e32 v62, 7, v1
	v_lshrrev_b32_e32 v63, 3, v64
	s_mov_b32 s34, exec_lo
	v_cmpx_gt_u32_e32 8, v64
; %bb.285:                              ;   in Loop: Header=BB268_9 Depth=1
	v_ffbh_u32_e32 v62, v62
	v_min_u32_e32 v64, 32, v62
	v_subrev_nc_u32_e32 v62, 28, v64
	v_lshlrev_b64 v[62:63], v62, v[1:2]
	v_sub_nc_u32_e32 v63, 29, v64
	v_and_b32_e32 v62, 7, v62
; %bb.286:                              ;   in Loop: Header=BB268_9 Depth=1
	s_or_b32 exec_lo, exec_lo, s34
	v_lshlrev_b32_e32 v1, 8, v1
	v_lshl_add_u32 v63, v63, 10, 0x2000
	v_lshlrev_b32_e32 v62, 7, v62
	v_and_b32_e32 v1, 0x8000, v1
	v_and_b32_e32 v63, 0xfc00, v63
	v_or3_b32 v62, v1, v63, v62
.LBB268_287:                            ;   in Loop: Header=BB268_9 Depth=1
	s_or_b32 exec_lo, exec_lo, s33
.LBB268_288:                            ;   in Loop: Header=BB268_9 Depth=1
	s_or_b32 exec_lo, exec_lo, s31
.LBB268_289:                            ;   in Loop: Header=BB268_9 Depth=1
	s_or_b32 exec_lo, exec_lo, s3
	s_mov_b32 s3, exec_lo
	v_cmpx_lt_u32_e32 0xffffff, v9
	s_cbranch_execz .LBB268_297
; %bb.290:                              ;   in Loop: Header=BB268_9 Depth=1
	v_lshrrev_b32_e32 v1, 24, v9
	v_bfrev_b32_e32 v61, 1
	s_mov_b32 s31, exec_lo
	v_cmpx_ne_u32_e32 0x80, v1
	s_cbranch_execz .LBB268_296
; %bb.291:                              ;   in Loop: Header=BB268_9 Depth=1
	v_and_b32_e32 v63, 0x7f, v1
	v_mov_b32_e32 v61, 0x7c010000
	s_mov_b32 s33, exec_lo
	v_cmpx_ne_u32_e32 0x7f, v63
	s_cbranch_execz .LBB268_295
; %bb.292:                              ;   in Loop: Header=BB268_9 Depth=1
	v_and_b32_e32 v9, 7, v1
	v_lshrrev_b32_e32 v61, 3, v63
	s_mov_b32 s34, exec_lo
	v_cmpx_gt_u32_e32 8, v63
; %bb.293:                              ;   in Loop: Header=BB268_9 Depth=1
	v_ffbh_u32_e32 v9, v9
	v_min_u32_e32 v9, 32, v9
	v_subrev_nc_u32_e32 v61, 28, v9
	v_lshlrev_b64 v[63:64], v61, v[1:2]
	v_sub_nc_u32_e32 v61, 29, v9
	v_and_b32_e32 v9, 7, v63
; %bb.294:                              ;   in Loop: Header=BB268_9 Depth=1
	s_or_b32 exec_lo, exec_lo, s34
	v_lshlrev_b32_e32 v1, 8, v1
	v_lshl_add_u32 v61, v61, 10, 0x2000
	v_lshlrev_b32_e32 v9, 23, v9
	v_and_or_b32 v1, 0x8000, v1, v61
	v_lshl_or_b32 v61, v1, 16, v9
.LBB268_295:                            ;   in Loop: Header=BB268_9 Depth=1
	s_or_b32 exec_lo, exec_lo, s33
.LBB268_296:                            ;   in Loop: Header=BB268_9 Depth=1
	s_or_b32 exec_lo, exec_lo, s31
.LBB268_297:                            ;   in Loop: Header=BB268_9 Depth=1
	s_or_b32 exec_lo, exec_lo, s3
	global_load_dword v9, v[7:8], off offset:1032
	v_mov_b32_e32 v63, 0
	v_mov_b32_e32 v64, 0
	s_waitcnt vmcnt(0)
	v_cmp_ne_u16_sdwa s2, v9, v2 src0_sel:BYTE_0 src1_sel:DWORD
	s_and_saveexec_b32 s3, s2
	s_cbranch_execz .LBB268_305
; %bb.298:                              ;   in Loop: Header=BB268_9 Depth=1
	v_cmp_ne_u16_sdwa s2, v9, v21 src0_sel:BYTE_0 src1_sel:DWORD
	v_mov_b32_e32 v64, 0x8000
	s_and_saveexec_b32 s31, s2
	s_cbranch_execz .LBB268_304
; %bb.299:                              ;   in Loop: Header=BB268_9 Depth=1
	v_and_b32_e32 v65, 0x7f, v9
	v_mov_b32_e32 v64, 0x7c01
	s_mov_b32 s33, exec_lo
	v_cmpx_ne_u32_e32 0x7f, v65
	s_cbranch_execz .LBB268_303
; %bb.300:                              ;   in Loop: Header=BB268_9 Depth=1
	v_and_b32_e32 v1, 7, v9
	v_lshrrev_b32_e32 v64, 3, v65
	s_mov_b32 s34, exec_lo
	v_cmpx_gt_u32_e32 8, v65
; %bb.301:                              ;   in Loop: Header=BB268_9 Depth=1
	v_ffbh_u32_e32 v1, v1
	v_min_u32_e32 v1, 32, v1
	v_subrev_nc_u32_e32 v64, 28, v1
	v_lshlrev_b64 v[65:66], v64, v[9:10]
	v_sub_nc_u32_e32 v64, 29, v1
	v_and_b32_e32 v1, 7, v65
; %bb.302:                              ;   in Loop: Header=BB268_9 Depth=1
	s_or_b32 exec_lo, exec_lo, s34
	v_lshlrev_b32_e32 v65, 8, v9
	v_lshl_add_u32 v64, v64, 10, 0x2000
	v_lshlrev_b32_e32 v1, 7, v1
	v_and_b32_e32 v65, 0x8000, v65
	v_and_b32_e32 v64, 0xfc00, v64
	v_or3_b32 v64, v65, v64, v1
.LBB268_303:                            ;   in Loop: Header=BB268_9 Depth=1
	s_or_b32 exec_lo, exec_lo, s33
.LBB268_304:                            ;   in Loop: Header=BB268_9 Depth=1
	s_or_b32 exec_lo, exec_lo, s31
.LBB268_305:                            ;   in Loop: Header=BB268_9 Depth=1
	s_or_b32 exec_lo, exec_lo, s3
	v_lshrrev_b16 v1, 8, v9
	s_mov_b32 s3, exec_lo
	v_cmpx_ne_u16_e32 0, v1
	s_cbranch_execz .LBB268_313
; %bb.306:                              ;   in Loop: Header=BB268_9 Depth=1
	v_bfrev_b32_e32 v63, 1
	s_mov_b32 s31, exec_lo
	v_cmpx_ne_u16_e32 0x80, v1
	s_cbranch_execz .LBB268_312
; %bb.307:                              ;   in Loop: Header=BB268_9 Depth=1
	v_and_b32_sdwa v66, v1, v22 dst_sel:DWORD dst_unused:UNUSED_PAD src0_sel:WORD_0 src1_sel:DWORD
	v_mov_b32_e32 v63, 0x7c010000
	s_mov_b32 s33, exec_lo
	v_cmpx_ne_u32_e32 0x7f, v66
	s_cbranch_execz .LBB268_311
; %bb.308:                              ;   in Loop: Header=BB268_9 Depth=1
	v_and_b32_sdwa v63, v1, v23 dst_sel:DWORD dst_unused:UNUSED_PAD src0_sel:WORD_0 src1_sel:DWORD
	v_lshrrev_b32_e32 v65, 3, v66
	s_mov_b32 s34, exec_lo
	v_cmpx_gt_u32_e32 8, v66
; %bb.309:                              ;   in Loop: Header=BB268_9 Depth=1
	v_ffbh_u32_e32 v63, v63
	v_min_u32_e32 v63, 32, v63
	v_subrev_nc_u32_e32 v65, 28, v63
	v_lshlrev_b64 v[66:67], v65, v[1:2]
	v_sub_nc_u32_e32 v65, 29, v63
	v_and_b32_e32 v63, 7, v66
; %bb.310:                              ;   in Loop: Header=BB268_9 Depth=1
	s_or_b32 exec_lo, exec_lo, s34
	v_lshlrev_b32_sdwa v1, v24, v1 dst_sel:DWORD dst_unused:UNUSED_PAD src0_sel:DWORD src1_sel:WORD_0
	v_lshl_add_u32 v65, v65, 10, 0x2000
	v_lshlrev_b32_e32 v63, 23, v63
	v_and_or_b32 v1, 0x8000, v1, v65
	v_lshl_or_b32 v63, v1, 16, v63
.LBB268_311:                            ;   in Loop: Header=BB268_9 Depth=1
	s_or_b32 exec_lo, exec_lo, s33
.LBB268_312:                            ;   in Loop: Header=BB268_9 Depth=1
	s_or_b32 exec_lo, exec_lo, s31
.LBB268_313:                            ;   in Loop: Header=BB268_9 Depth=1
	s_or_b32 exec_lo, exec_lo, s3
	v_lshrrev_b32_e32 v1, 16, v9
	v_mov_b32_e32 v65, 0
	v_mov_b32_e32 v66, 0
	v_cmp_ne_u16_sdwa s2, v1, v2 src0_sel:BYTE_0 src1_sel:DWORD
	s_and_saveexec_b32 s3, s2
	s_cbranch_execz .LBB268_321
; %bb.314:                              ;   in Loop: Header=BB268_9 Depth=1
	v_cmp_ne_u16_sdwa s2, v1, v21 src0_sel:BYTE_0 src1_sel:DWORD
	v_mov_b32_e32 v66, 0x8000
	s_and_saveexec_b32 s31, s2
	s_cbranch_execz .LBB268_320
; %bb.315:                              ;   in Loop: Header=BB268_9 Depth=1
	v_bfe_u32 v68, v9, 16, 7
	v_mov_b32_e32 v66, 0x7c01
	s_mov_b32 s33, exec_lo
	v_cmpx_ne_u32_e32 0x7f, v68
	s_cbranch_execz .LBB268_319
; %bb.316:                              ;   in Loop: Header=BB268_9 Depth=1
	v_and_b32_e32 v66, 7, v1
	v_lshrrev_b32_e32 v67, 3, v68
	s_mov_b32 s34, exec_lo
	v_cmpx_gt_u32_e32 8, v68
; %bb.317:                              ;   in Loop: Header=BB268_9 Depth=1
	v_ffbh_u32_e32 v66, v66
	v_min_u32_e32 v68, 32, v66
	v_subrev_nc_u32_e32 v66, 28, v68
	v_lshlrev_b64 v[66:67], v66, v[1:2]
	v_sub_nc_u32_e32 v67, 29, v68
	v_and_b32_e32 v66, 7, v66
; %bb.318:                              ;   in Loop: Header=BB268_9 Depth=1
	s_or_b32 exec_lo, exec_lo, s34
	v_lshlrev_b32_e32 v1, 8, v1
	v_lshl_add_u32 v67, v67, 10, 0x2000
	v_lshlrev_b32_e32 v66, 7, v66
	v_and_b32_e32 v1, 0x8000, v1
	v_and_b32_e32 v67, 0xfc00, v67
	v_or3_b32 v66, v1, v67, v66
.LBB268_319:                            ;   in Loop: Header=BB268_9 Depth=1
	s_or_b32 exec_lo, exec_lo, s33
.LBB268_320:                            ;   in Loop: Header=BB268_9 Depth=1
	s_or_b32 exec_lo, exec_lo, s31
.LBB268_321:                            ;   in Loop: Header=BB268_9 Depth=1
	s_or_b32 exec_lo, exec_lo, s3
	s_mov_b32 s3, exec_lo
	v_cmpx_lt_u32_e32 0xffffff, v9
	s_cbranch_execz .LBB268_329
; %bb.322:                              ;   in Loop: Header=BB268_9 Depth=1
	v_lshrrev_b32_e32 v1, 24, v9
	v_bfrev_b32_e32 v65, 1
	s_mov_b32 s31, exec_lo
	v_cmpx_ne_u32_e32 0x80, v1
	s_cbranch_execz .LBB268_328
; %bb.323:                              ;   in Loop: Header=BB268_9 Depth=1
	v_and_b32_e32 v67, 0x7f, v1
	v_mov_b32_e32 v65, 0x7c010000
	s_mov_b32 s33, exec_lo
	v_cmpx_ne_u32_e32 0x7f, v67
	s_cbranch_execz .LBB268_327
; %bb.324:                              ;   in Loop: Header=BB268_9 Depth=1
	v_and_b32_e32 v9, 7, v1
	v_lshrrev_b32_e32 v65, 3, v67
	s_mov_b32 s34, exec_lo
	v_cmpx_gt_u32_e32 8, v67
; %bb.325:                              ;   in Loop: Header=BB268_9 Depth=1
	v_ffbh_u32_e32 v9, v9
	v_min_u32_e32 v9, 32, v9
	v_subrev_nc_u32_e32 v65, 28, v9
	v_lshlrev_b64 v[67:68], v65, v[1:2]
	v_sub_nc_u32_e32 v65, 29, v9
	v_and_b32_e32 v9, 7, v67
; %bb.326:                              ;   in Loop: Header=BB268_9 Depth=1
	s_or_b32 exec_lo, exec_lo, s34
	v_lshlrev_b32_e32 v1, 8, v1
	v_lshl_add_u32 v65, v65, 10, 0x2000
	v_lshlrev_b32_e32 v9, 23, v9
	v_and_or_b32 v1, 0x8000, v1, v65
	v_lshl_or_b32 v65, v1, 16, v9
.LBB268_327:                            ;   in Loop: Header=BB268_9 Depth=1
	s_or_b32 exec_lo, exec_lo, s33
.LBB268_328:                            ;   in Loop: Header=BB268_9 Depth=1
	s_or_b32 exec_lo, exec_lo, s31
.LBB268_329:                            ;   in Loop: Header=BB268_9 Depth=1
	s_or_b32 exec_lo, exec_lo, s3
	global_load_dword v9, v[7:8], off offset:1280
	v_mov_b32_e32 v67, 0
	v_mov_b32_e32 v68, 0
	s_waitcnt vmcnt(0)
	v_cmp_ne_u16_sdwa s2, v9, v2 src0_sel:BYTE_0 src1_sel:DWORD
	s_and_saveexec_b32 s3, s2
	s_cbranch_execz .LBB268_337
; %bb.330:                              ;   in Loop: Header=BB268_9 Depth=1
	v_cmp_ne_u16_sdwa s2, v9, v21 src0_sel:BYTE_0 src1_sel:DWORD
	v_mov_b32_e32 v68, 0x8000
	s_and_saveexec_b32 s31, s2
	s_cbranch_execz .LBB268_336
; %bb.331:                              ;   in Loop: Header=BB268_9 Depth=1
	v_and_b32_e32 v69, 0x7f, v9
	v_mov_b32_e32 v68, 0x7c01
	s_mov_b32 s33, exec_lo
	v_cmpx_ne_u32_e32 0x7f, v69
	s_cbranch_execz .LBB268_335
; %bb.332:                              ;   in Loop: Header=BB268_9 Depth=1
	v_and_b32_e32 v1, 7, v9
	v_lshrrev_b32_e32 v68, 3, v69
	s_mov_b32 s34, exec_lo
	v_cmpx_gt_u32_e32 8, v69
; %bb.333:                              ;   in Loop: Header=BB268_9 Depth=1
	v_ffbh_u32_e32 v1, v1
	v_min_u32_e32 v1, 32, v1
	v_subrev_nc_u32_e32 v68, 28, v1
	v_lshlrev_b64 v[69:70], v68, v[9:10]
	v_sub_nc_u32_e32 v68, 29, v1
	v_and_b32_e32 v1, 7, v69
; %bb.334:                              ;   in Loop: Header=BB268_9 Depth=1
	s_or_b32 exec_lo, exec_lo, s34
	v_lshlrev_b32_e32 v69, 8, v9
	v_lshl_add_u32 v68, v68, 10, 0x2000
	v_lshlrev_b32_e32 v1, 7, v1
	v_and_b32_e32 v69, 0x8000, v69
	v_and_b32_e32 v68, 0xfc00, v68
	v_or3_b32 v68, v69, v68, v1
.LBB268_335:                            ;   in Loop: Header=BB268_9 Depth=1
	s_or_b32 exec_lo, exec_lo, s33
.LBB268_336:                            ;   in Loop: Header=BB268_9 Depth=1
	s_or_b32 exec_lo, exec_lo, s31
.LBB268_337:                            ;   in Loop: Header=BB268_9 Depth=1
	s_or_b32 exec_lo, exec_lo, s3
	v_lshrrev_b16 v1, 8, v9
	s_mov_b32 s3, exec_lo
	v_cmpx_ne_u16_e32 0, v1
	s_cbranch_execz .LBB268_345
; %bb.338:                              ;   in Loop: Header=BB268_9 Depth=1
	v_bfrev_b32_e32 v67, 1
	s_mov_b32 s31, exec_lo
	v_cmpx_ne_u16_e32 0x80, v1
	s_cbranch_execz .LBB268_344
; %bb.339:                              ;   in Loop: Header=BB268_9 Depth=1
	v_and_b32_sdwa v70, v1, v22 dst_sel:DWORD dst_unused:UNUSED_PAD src0_sel:WORD_0 src1_sel:DWORD
	v_mov_b32_e32 v67, 0x7c010000
	s_mov_b32 s33, exec_lo
	v_cmpx_ne_u32_e32 0x7f, v70
	s_cbranch_execz .LBB268_343
; %bb.340:                              ;   in Loop: Header=BB268_9 Depth=1
	v_and_b32_sdwa v67, v1, v23 dst_sel:DWORD dst_unused:UNUSED_PAD src0_sel:WORD_0 src1_sel:DWORD
	v_lshrrev_b32_e32 v69, 3, v70
	s_mov_b32 s34, exec_lo
	v_cmpx_gt_u32_e32 8, v70
; %bb.341:                              ;   in Loop: Header=BB268_9 Depth=1
	v_ffbh_u32_e32 v67, v67
	v_min_u32_e32 v67, 32, v67
	v_subrev_nc_u32_e32 v69, 28, v67
	v_lshlrev_b64 v[70:71], v69, v[1:2]
	v_sub_nc_u32_e32 v69, 29, v67
	v_and_b32_e32 v67, 7, v70
; %bb.342:                              ;   in Loop: Header=BB268_9 Depth=1
	s_or_b32 exec_lo, exec_lo, s34
	v_lshlrev_b32_sdwa v1, v24, v1 dst_sel:DWORD dst_unused:UNUSED_PAD src0_sel:DWORD src1_sel:WORD_0
	v_lshl_add_u32 v69, v69, 10, 0x2000
	v_lshlrev_b32_e32 v67, 23, v67
	v_and_or_b32 v1, 0x8000, v1, v69
	v_lshl_or_b32 v67, v1, 16, v67
.LBB268_343:                            ;   in Loop: Header=BB268_9 Depth=1
	s_or_b32 exec_lo, exec_lo, s33
.LBB268_344:                            ;   in Loop: Header=BB268_9 Depth=1
	s_or_b32 exec_lo, exec_lo, s31
.LBB268_345:                            ;   in Loop: Header=BB268_9 Depth=1
	s_or_b32 exec_lo, exec_lo, s3
	v_lshrrev_b32_e32 v1, 16, v9
	v_mov_b32_e32 v69, 0
	v_mov_b32_e32 v70, 0
	v_cmp_ne_u16_sdwa s2, v1, v2 src0_sel:BYTE_0 src1_sel:DWORD
	s_and_saveexec_b32 s3, s2
	s_cbranch_execz .LBB268_353
; %bb.346:                              ;   in Loop: Header=BB268_9 Depth=1
	v_cmp_ne_u16_sdwa s2, v1, v21 src0_sel:BYTE_0 src1_sel:DWORD
	v_mov_b32_e32 v70, 0x8000
	s_and_saveexec_b32 s31, s2
	s_cbranch_execz .LBB268_352
; %bb.347:                              ;   in Loop: Header=BB268_9 Depth=1
	v_bfe_u32 v72, v9, 16, 7
	v_mov_b32_e32 v70, 0x7c01
	s_mov_b32 s33, exec_lo
	v_cmpx_ne_u32_e32 0x7f, v72
	s_cbranch_execz .LBB268_351
; %bb.348:                              ;   in Loop: Header=BB268_9 Depth=1
	v_and_b32_e32 v70, 7, v1
	v_lshrrev_b32_e32 v71, 3, v72
	s_mov_b32 s34, exec_lo
	v_cmpx_gt_u32_e32 8, v72
; %bb.349:                              ;   in Loop: Header=BB268_9 Depth=1
	v_ffbh_u32_e32 v70, v70
	v_min_u32_e32 v72, 32, v70
	v_subrev_nc_u32_e32 v70, 28, v72
	v_lshlrev_b64 v[70:71], v70, v[1:2]
	v_sub_nc_u32_e32 v71, 29, v72
	v_and_b32_e32 v70, 7, v70
; %bb.350:                              ;   in Loop: Header=BB268_9 Depth=1
	s_or_b32 exec_lo, exec_lo, s34
	v_lshlrev_b32_e32 v1, 8, v1
	v_lshl_add_u32 v71, v71, 10, 0x2000
	v_lshlrev_b32_e32 v70, 7, v70
	v_and_b32_e32 v1, 0x8000, v1
	v_and_b32_e32 v71, 0xfc00, v71
	v_or3_b32 v70, v1, v71, v70
.LBB268_351:                            ;   in Loop: Header=BB268_9 Depth=1
	s_or_b32 exec_lo, exec_lo, s33
.LBB268_352:                            ;   in Loop: Header=BB268_9 Depth=1
	s_or_b32 exec_lo, exec_lo, s31
.LBB268_353:                            ;   in Loop: Header=BB268_9 Depth=1
	s_or_b32 exec_lo, exec_lo, s3
	s_mov_b32 s3, exec_lo
	v_cmpx_lt_u32_e32 0xffffff, v9
	s_cbranch_execz .LBB268_361
; %bb.354:                              ;   in Loop: Header=BB268_9 Depth=1
	v_lshrrev_b32_e32 v1, 24, v9
	v_bfrev_b32_e32 v69, 1
	s_mov_b32 s31, exec_lo
	v_cmpx_ne_u32_e32 0x80, v1
	s_cbranch_execz .LBB268_360
; %bb.355:                              ;   in Loop: Header=BB268_9 Depth=1
	v_and_b32_e32 v71, 0x7f, v1
	v_mov_b32_e32 v69, 0x7c010000
	s_mov_b32 s33, exec_lo
	v_cmpx_ne_u32_e32 0x7f, v71
	s_cbranch_execz .LBB268_359
; %bb.356:                              ;   in Loop: Header=BB268_9 Depth=1
	v_and_b32_e32 v9, 7, v1
	v_lshrrev_b32_e32 v69, 3, v71
	s_mov_b32 s34, exec_lo
	v_cmpx_gt_u32_e32 8, v71
; %bb.357:                              ;   in Loop: Header=BB268_9 Depth=1
	v_ffbh_u32_e32 v9, v9
	v_min_u32_e32 v9, 32, v9
	v_subrev_nc_u32_e32 v69, 28, v9
	v_lshlrev_b64 v[71:72], v69, v[1:2]
	v_sub_nc_u32_e32 v69, 29, v9
	v_and_b32_e32 v9, 7, v71
; %bb.358:                              ;   in Loop: Header=BB268_9 Depth=1
	s_or_b32 exec_lo, exec_lo, s34
	v_lshlrev_b32_e32 v1, 8, v1
	v_lshl_add_u32 v69, v69, 10, 0x2000
	v_lshlrev_b32_e32 v9, 23, v9
	v_and_or_b32 v1, 0x8000, v1, v69
	v_lshl_or_b32 v69, v1, 16, v9
.LBB268_359:                            ;   in Loop: Header=BB268_9 Depth=1
	s_or_b32 exec_lo, exec_lo, s33
.LBB268_360:                            ;   in Loop: Header=BB268_9 Depth=1
	s_or_b32 exec_lo, exec_lo, s31
.LBB268_361:                            ;   in Loop: Header=BB268_9 Depth=1
	s_or_b32 exec_lo, exec_lo, s3
	global_load_dword v9, v[7:8], off offset:1288
	v_mov_b32_e32 v71, 0
	v_mov_b32_e32 v72, 0
	s_waitcnt vmcnt(0)
	v_cmp_ne_u16_sdwa s2, v9, v2 src0_sel:BYTE_0 src1_sel:DWORD
	s_and_saveexec_b32 s3, s2
	s_cbranch_execz .LBB268_369
; %bb.362:                              ;   in Loop: Header=BB268_9 Depth=1
	v_cmp_ne_u16_sdwa s2, v9, v21 src0_sel:BYTE_0 src1_sel:DWORD
	v_mov_b32_e32 v72, 0x8000
	s_and_saveexec_b32 s31, s2
	s_cbranch_execz .LBB268_368
; %bb.363:                              ;   in Loop: Header=BB268_9 Depth=1
	v_and_b32_e32 v73, 0x7f, v9
	v_mov_b32_e32 v72, 0x7c01
	s_mov_b32 s33, exec_lo
	v_cmpx_ne_u32_e32 0x7f, v73
	s_cbranch_execz .LBB268_367
; %bb.364:                              ;   in Loop: Header=BB268_9 Depth=1
	v_and_b32_e32 v1, 7, v9
	v_lshrrev_b32_e32 v72, 3, v73
	s_mov_b32 s34, exec_lo
	v_cmpx_gt_u32_e32 8, v73
; %bb.365:                              ;   in Loop: Header=BB268_9 Depth=1
	v_ffbh_u32_e32 v1, v1
	v_min_u32_e32 v1, 32, v1
	v_subrev_nc_u32_e32 v72, 28, v1
	v_lshlrev_b64 v[73:74], v72, v[9:10]
	v_sub_nc_u32_e32 v72, 29, v1
	v_and_b32_e32 v1, 7, v73
; %bb.366:                              ;   in Loop: Header=BB268_9 Depth=1
	s_or_b32 exec_lo, exec_lo, s34
	v_lshlrev_b32_e32 v73, 8, v9
	v_lshl_add_u32 v72, v72, 10, 0x2000
	v_lshlrev_b32_e32 v1, 7, v1
	v_and_b32_e32 v73, 0x8000, v73
	v_and_b32_e32 v72, 0xfc00, v72
	v_or3_b32 v72, v73, v72, v1
.LBB268_367:                            ;   in Loop: Header=BB268_9 Depth=1
	s_or_b32 exec_lo, exec_lo, s33
.LBB268_368:                            ;   in Loop: Header=BB268_9 Depth=1
	s_or_b32 exec_lo, exec_lo, s31
.LBB268_369:                            ;   in Loop: Header=BB268_9 Depth=1
	s_or_b32 exec_lo, exec_lo, s3
	v_lshrrev_b16 v1, 8, v9
	s_mov_b32 s3, exec_lo
	v_cmpx_ne_u16_e32 0, v1
	s_cbranch_execz .LBB268_377
; %bb.370:                              ;   in Loop: Header=BB268_9 Depth=1
	v_bfrev_b32_e32 v71, 1
	s_mov_b32 s31, exec_lo
	v_cmpx_ne_u16_e32 0x80, v1
	s_cbranch_execz .LBB268_376
; %bb.371:                              ;   in Loop: Header=BB268_9 Depth=1
	v_and_b32_sdwa v74, v1, v22 dst_sel:DWORD dst_unused:UNUSED_PAD src0_sel:WORD_0 src1_sel:DWORD
	v_mov_b32_e32 v71, 0x7c010000
	s_mov_b32 s33, exec_lo
	v_cmpx_ne_u32_e32 0x7f, v74
	s_cbranch_execz .LBB268_375
; %bb.372:                              ;   in Loop: Header=BB268_9 Depth=1
	v_and_b32_sdwa v71, v1, v23 dst_sel:DWORD dst_unused:UNUSED_PAD src0_sel:WORD_0 src1_sel:DWORD
	v_lshrrev_b32_e32 v73, 3, v74
	s_mov_b32 s34, exec_lo
	v_cmpx_gt_u32_e32 8, v74
; %bb.373:                              ;   in Loop: Header=BB268_9 Depth=1
	v_ffbh_u32_e32 v71, v71
	v_min_u32_e32 v71, 32, v71
	v_subrev_nc_u32_e32 v73, 28, v71
	v_lshlrev_b64 v[74:75], v73, v[1:2]
	v_sub_nc_u32_e32 v73, 29, v71
	v_and_b32_e32 v71, 7, v74
; %bb.374:                              ;   in Loop: Header=BB268_9 Depth=1
	s_or_b32 exec_lo, exec_lo, s34
	v_lshlrev_b32_sdwa v1, v24, v1 dst_sel:DWORD dst_unused:UNUSED_PAD src0_sel:DWORD src1_sel:WORD_0
	v_lshl_add_u32 v73, v73, 10, 0x2000
	v_lshlrev_b32_e32 v71, 23, v71
	v_and_or_b32 v1, 0x8000, v1, v73
	v_lshl_or_b32 v71, v1, 16, v71
.LBB268_375:                            ;   in Loop: Header=BB268_9 Depth=1
	s_or_b32 exec_lo, exec_lo, s33
.LBB268_376:                            ;   in Loop: Header=BB268_9 Depth=1
	s_or_b32 exec_lo, exec_lo, s31
.LBB268_377:                            ;   in Loop: Header=BB268_9 Depth=1
	s_or_b32 exec_lo, exec_lo, s3
	v_lshrrev_b32_e32 v1, 16, v9
	v_mov_b32_e32 v73, 0
	v_mov_b32_e32 v74, 0
	v_cmp_ne_u16_sdwa s2, v1, v2 src0_sel:BYTE_0 src1_sel:DWORD
	s_and_saveexec_b32 s3, s2
	s_cbranch_execz .LBB268_385
; %bb.378:                              ;   in Loop: Header=BB268_9 Depth=1
	v_cmp_ne_u16_sdwa s2, v1, v21 src0_sel:BYTE_0 src1_sel:DWORD
	v_mov_b32_e32 v74, 0x8000
	s_and_saveexec_b32 s31, s2
	s_cbranch_execz .LBB268_384
; %bb.379:                              ;   in Loop: Header=BB268_9 Depth=1
	v_bfe_u32 v76, v9, 16, 7
	v_mov_b32_e32 v74, 0x7c01
	s_mov_b32 s33, exec_lo
	v_cmpx_ne_u32_e32 0x7f, v76
	s_cbranch_execz .LBB268_383
; %bb.380:                              ;   in Loop: Header=BB268_9 Depth=1
	v_and_b32_e32 v74, 7, v1
	v_lshrrev_b32_e32 v75, 3, v76
	s_mov_b32 s34, exec_lo
	v_cmpx_gt_u32_e32 8, v76
; %bb.381:                              ;   in Loop: Header=BB268_9 Depth=1
	v_ffbh_u32_e32 v74, v74
	v_min_u32_e32 v76, 32, v74
	v_subrev_nc_u32_e32 v74, 28, v76
	v_lshlrev_b64 v[74:75], v74, v[1:2]
	v_sub_nc_u32_e32 v75, 29, v76
	v_and_b32_e32 v74, 7, v74
; %bb.382:                              ;   in Loop: Header=BB268_9 Depth=1
	s_or_b32 exec_lo, exec_lo, s34
	v_lshlrev_b32_e32 v1, 8, v1
	v_lshl_add_u32 v75, v75, 10, 0x2000
	v_lshlrev_b32_e32 v74, 7, v74
	v_and_b32_e32 v1, 0x8000, v1
	v_and_b32_e32 v75, 0xfc00, v75
	v_or3_b32 v74, v1, v75, v74
.LBB268_383:                            ;   in Loop: Header=BB268_9 Depth=1
	s_or_b32 exec_lo, exec_lo, s33
.LBB268_384:                            ;   in Loop: Header=BB268_9 Depth=1
	s_or_b32 exec_lo, exec_lo, s31
.LBB268_385:                            ;   in Loop: Header=BB268_9 Depth=1
	s_or_b32 exec_lo, exec_lo, s3
	s_mov_b32 s3, exec_lo
	v_cmpx_lt_u32_e32 0xffffff, v9
	s_cbranch_execz .LBB268_393
; %bb.386:                              ;   in Loop: Header=BB268_9 Depth=1
	v_lshrrev_b32_e32 v1, 24, v9
	v_bfrev_b32_e32 v73, 1
	s_mov_b32 s31, exec_lo
	v_cmpx_ne_u32_e32 0x80, v1
	s_cbranch_execz .LBB268_392
; %bb.387:                              ;   in Loop: Header=BB268_9 Depth=1
	v_and_b32_e32 v75, 0x7f, v1
	v_mov_b32_e32 v73, 0x7c010000
	s_mov_b32 s33, exec_lo
	v_cmpx_ne_u32_e32 0x7f, v75
	s_cbranch_execz .LBB268_391
; %bb.388:                              ;   in Loop: Header=BB268_9 Depth=1
	v_and_b32_e32 v9, 7, v1
	v_lshrrev_b32_e32 v73, 3, v75
	s_mov_b32 s34, exec_lo
	v_cmpx_gt_u32_e32 8, v75
; %bb.389:                              ;   in Loop: Header=BB268_9 Depth=1
	v_ffbh_u32_e32 v9, v9
	v_min_u32_e32 v9, 32, v9
	v_subrev_nc_u32_e32 v73, 28, v9
	v_lshlrev_b64 v[75:76], v73, v[1:2]
	v_sub_nc_u32_e32 v73, 29, v9
	v_and_b32_e32 v9, 7, v75
; %bb.390:                              ;   in Loop: Header=BB268_9 Depth=1
	s_or_b32 exec_lo, exec_lo, s34
	v_lshlrev_b32_e32 v1, 8, v1
	v_lshl_add_u32 v73, v73, 10, 0x2000
	v_lshlrev_b32_e32 v9, 23, v9
	v_and_or_b32 v1, 0x8000, v1, v73
	v_lshl_or_b32 v73, v1, 16, v9
.LBB268_391:                            ;   in Loop: Header=BB268_9 Depth=1
	s_or_b32 exec_lo, exec_lo, s33
.LBB268_392:                            ;   in Loop: Header=BB268_9 Depth=1
	s_or_b32 exec_lo, exec_lo, s31
.LBB268_393:                            ;   in Loop: Header=BB268_9 Depth=1
	s_or_b32 exec_lo, exec_lo, s3
	global_load_dword v9, v[7:8], off offset:1536
	v_mov_b32_e32 v75, 0
	v_mov_b32_e32 v76, 0
	s_waitcnt vmcnt(0)
	v_cmp_ne_u16_sdwa s2, v9, v2 src0_sel:BYTE_0 src1_sel:DWORD
	s_and_saveexec_b32 s3, s2
	s_cbranch_execz .LBB268_401
; %bb.394:                              ;   in Loop: Header=BB268_9 Depth=1
	v_cmp_ne_u16_sdwa s2, v9, v21 src0_sel:BYTE_0 src1_sel:DWORD
	v_mov_b32_e32 v76, 0x8000
	s_and_saveexec_b32 s31, s2
	s_cbranch_execz .LBB268_400
; %bb.395:                              ;   in Loop: Header=BB268_9 Depth=1
	v_and_b32_e32 v77, 0x7f, v9
	v_mov_b32_e32 v76, 0x7c01
	s_mov_b32 s33, exec_lo
	v_cmpx_ne_u32_e32 0x7f, v77
	s_cbranch_execz .LBB268_399
; %bb.396:                              ;   in Loop: Header=BB268_9 Depth=1
	v_and_b32_e32 v1, 7, v9
	v_lshrrev_b32_e32 v76, 3, v77
	s_mov_b32 s34, exec_lo
	v_cmpx_gt_u32_e32 8, v77
; %bb.397:                              ;   in Loop: Header=BB268_9 Depth=1
	v_ffbh_u32_e32 v1, v1
	v_min_u32_e32 v1, 32, v1
	v_subrev_nc_u32_e32 v76, 28, v1
	v_lshlrev_b64 v[77:78], v76, v[9:10]
	v_sub_nc_u32_e32 v76, 29, v1
	v_and_b32_e32 v1, 7, v77
; %bb.398:                              ;   in Loop: Header=BB268_9 Depth=1
	s_or_b32 exec_lo, exec_lo, s34
	v_lshlrev_b32_e32 v77, 8, v9
	v_lshl_add_u32 v76, v76, 10, 0x2000
	v_lshlrev_b32_e32 v1, 7, v1
	v_and_b32_e32 v77, 0x8000, v77
	v_and_b32_e32 v76, 0xfc00, v76
	v_or3_b32 v76, v77, v76, v1
.LBB268_399:                            ;   in Loop: Header=BB268_9 Depth=1
	s_or_b32 exec_lo, exec_lo, s33
.LBB268_400:                            ;   in Loop: Header=BB268_9 Depth=1
	s_or_b32 exec_lo, exec_lo, s31
.LBB268_401:                            ;   in Loop: Header=BB268_9 Depth=1
	s_or_b32 exec_lo, exec_lo, s3
	v_lshrrev_b16 v1, 8, v9
	s_mov_b32 s3, exec_lo
	v_cmpx_ne_u16_e32 0, v1
	s_cbranch_execz .LBB268_409
; %bb.402:                              ;   in Loop: Header=BB268_9 Depth=1
	v_bfrev_b32_e32 v75, 1
	s_mov_b32 s31, exec_lo
	v_cmpx_ne_u16_e32 0x80, v1
	s_cbranch_execz .LBB268_408
; %bb.403:                              ;   in Loop: Header=BB268_9 Depth=1
	v_and_b32_sdwa v78, v1, v22 dst_sel:DWORD dst_unused:UNUSED_PAD src0_sel:WORD_0 src1_sel:DWORD
	v_mov_b32_e32 v75, 0x7c010000
	s_mov_b32 s33, exec_lo
	v_cmpx_ne_u32_e32 0x7f, v78
	s_cbranch_execz .LBB268_407
; %bb.404:                              ;   in Loop: Header=BB268_9 Depth=1
	v_and_b32_sdwa v75, v1, v23 dst_sel:DWORD dst_unused:UNUSED_PAD src0_sel:WORD_0 src1_sel:DWORD
	v_lshrrev_b32_e32 v77, 3, v78
	s_mov_b32 s34, exec_lo
	v_cmpx_gt_u32_e32 8, v78
; %bb.405:                              ;   in Loop: Header=BB268_9 Depth=1
	v_ffbh_u32_e32 v75, v75
	v_min_u32_e32 v75, 32, v75
	v_subrev_nc_u32_e32 v77, 28, v75
	v_lshlrev_b64 v[78:79], v77, v[1:2]
	v_sub_nc_u32_e32 v77, 29, v75
	v_and_b32_e32 v75, 7, v78
; %bb.406:                              ;   in Loop: Header=BB268_9 Depth=1
	s_or_b32 exec_lo, exec_lo, s34
	v_lshlrev_b32_sdwa v1, v24, v1 dst_sel:DWORD dst_unused:UNUSED_PAD src0_sel:DWORD src1_sel:WORD_0
	v_lshl_add_u32 v77, v77, 10, 0x2000
	v_lshlrev_b32_e32 v75, 23, v75
	v_and_or_b32 v1, 0x8000, v1, v77
	v_lshl_or_b32 v75, v1, 16, v75
.LBB268_407:                            ;   in Loop: Header=BB268_9 Depth=1
	s_or_b32 exec_lo, exec_lo, s33
.LBB268_408:                            ;   in Loop: Header=BB268_9 Depth=1
	s_or_b32 exec_lo, exec_lo, s31
.LBB268_409:                            ;   in Loop: Header=BB268_9 Depth=1
	s_or_b32 exec_lo, exec_lo, s3
	v_lshrrev_b32_e32 v1, 16, v9
	v_mov_b32_e32 v77, 0
	v_mov_b32_e32 v78, 0
	v_cmp_ne_u16_sdwa s2, v1, v2 src0_sel:BYTE_0 src1_sel:DWORD
	s_and_saveexec_b32 s3, s2
	s_cbranch_execz .LBB268_417
; %bb.410:                              ;   in Loop: Header=BB268_9 Depth=1
	v_cmp_ne_u16_sdwa s2, v1, v21 src0_sel:BYTE_0 src1_sel:DWORD
	v_mov_b32_e32 v78, 0x8000
	s_and_saveexec_b32 s31, s2
	s_cbranch_execz .LBB268_416
; %bb.411:                              ;   in Loop: Header=BB268_9 Depth=1
	v_bfe_u32 v80, v9, 16, 7
	v_mov_b32_e32 v78, 0x7c01
	s_mov_b32 s33, exec_lo
	v_cmpx_ne_u32_e32 0x7f, v80
	s_cbranch_execz .LBB268_415
; %bb.412:                              ;   in Loop: Header=BB268_9 Depth=1
	v_and_b32_e32 v78, 7, v1
	v_lshrrev_b32_e32 v79, 3, v80
	s_mov_b32 s34, exec_lo
	v_cmpx_gt_u32_e32 8, v80
; %bb.413:                              ;   in Loop: Header=BB268_9 Depth=1
	v_ffbh_u32_e32 v78, v78
	v_min_u32_e32 v80, 32, v78
	v_subrev_nc_u32_e32 v78, 28, v80
	v_lshlrev_b64 v[78:79], v78, v[1:2]
	v_sub_nc_u32_e32 v79, 29, v80
	v_and_b32_e32 v78, 7, v78
; %bb.414:                              ;   in Loop: Header=BB268_9 Depth=1
	s_or_b32 exec_lo, exec_lo, s34
	v_lshlrev_b32_e32 v1, 8, v1
	v_lshl_add_u32 v79, v79, 10, 0x2000
	v_lshlrev_b32_e32 v78, 7, v78
	v_and_b32_e32 v1, 0x8000, v1
	v_and_b32_e32 v79, 0xfc00, v79
	v_or3_b32 v78, v1, v79, v78
.LBB268_415:                            ;   in Loop: Header=BB268_9 Depth=1
	s_or_b32 exec_lo, exec_lo, s33
.LBB268_416:                            ;   in Loop: Header=BB268_9 Depth=1
	s_or_b32 exec_lo, exec_lo, s31
.LBB268_417:                            ;   in Loop: Header=BB268_9 Depth=1
	s_or_b32 exec_lo, exec_lo, s3
	s_mov_b32 s3, exec_lo
	v_cmpx_lt_u32_e32 0xffffff, v9
	s_cbranch_execz .LBB268_425
; %bb.418:                              ;   in Loop: Header=BB268_9 Depth=1
	v_lshrrev_b32_e32 v1, 24, v9
	v_bfrev_b32_e32 v77, 1
	s_mov_b32 s31, exec_lo
	v_cmpx_ne_u32_e32 0x80, v1
	s_cbranch_execz .LBB268_424
; %bb.419:                              ;   in Loop: Header=BB268_9 Depth=1
	v_and_b32_e32 v79, 0x7f, v1
	v_mov_b32_e32 v77, 0x7c010000
	s_mov_b32 s33, exec_lo
	v_cmpx_ne_u32_e32 0x7f, v79
	s_cbranch_execz .LBB268_423
; %bb.420:                              ;   in Loop: Header=BB268_9 Depth=1
	v_and_b32_e32 v9, 7, v1
	v_lshrrev_b32_e32 v77, 3, v79
	s_mov_b32 s34, exec_lo
	v_cmpx_gt_u32_e32 8, v79
; %bb.421:                              ;   in Loop: Header=BB268_9 Depth=1
	v_ffbh_u32_e32 v9, v9
	v_min_u32_e32 v9, 32, v9
	v_subrev_nc_u32_e32 v77, 28, v9
	v_lshlrev_b64 v[79:80], v77, v[1:2]
	v_sub_nc_u32_e32 v77, 29, v9
	v_and_b32_e32 v9, 7, v79
; %bb.422:                              ;   in Loop: Header=BB268_9 Depth=1
	s_or_b32 exec_lo, exec_lo, s34
	v_lshlrev_b32_e32 v1, 8, v1
	v_lshl_add_u32 v77, v77, 10, 0x2000
	v_lshlrev_b32_e32 v9, 23, v9
	v_and_or_b32 v1, 0x8000, v1, v77
	v_lshl_or_b32 v77, v1, 16, v9
.LBB268_423:                            ;   in Loop: Header=BB268_9 Depth=1
	s_or_b32 exec_lo, exec_lo, s33
.LBB268_424:                            ;   in Loop: Header=BB268_9 Depth=1
	s_or_b32 exec_lo, exec_lo, s31
.LBB268_425:                            ;   in Loop: Header=BB268_9 Depth=1
	s_or_b32 exec_lo, exec_lo, s3
	global_load_dword v9, v[7:8], off offset:1544
	v_mov_b32_e32 v79, 0
	v_mov_b32_e32 v80, 0
	s_waitcnt vmcnt(0)
	v_cmp_ne_u16_sdwa s2, v9, v2 src0_sel:BYTE_0 src1_sel:DWORD
	s_and_saveexec_b32 s3, s2
	s_cbranch_execz .LBB268_433
; %bb.426:                              ;   in Loop: Header=BB268_9 Depth=1
	v_cmp_ne_u16_sdwa s2, v9, v21 src0_sel:BYTE_0 src1_sel:DWORD
	v_mov_b32_e32 v80, 0x8000
	s_and_saveexec_b32 s31, s2
	s_cbranch_execz .LBB268_432
; %bb.427:                              ;   in Loop: Header=BB268_9 Depth=1
	v_and_b32_e32 v81, 0x7f, v9
	v_mov_b32_e32 v80, 0x7c01
	s_mov_b32 s33, exec_lo
	v_cmpx_ne_u32_e32 0x7f, v81
	s_cbranch_execz .LBB268_431
; %bb.428:                              ;   in Loop: Header=BB268_9 Depth=1
	v_and_b32_e32 v1, 7, v9
	v_lshrrev_b32_e32 v80, 3, v81
	s_mov_b32 s34, exec_lo
	v_cmpx_gt_u32_e32 8, v81
; %bb.429:                              ;   in Loop: Header=BB268_9 Depth=1
	v_ffbh_u32_e32 v1, v1
	v_min_u32_e32 v1, 32, v1
	v_subrev_nc_u32_e32 v80, 28, v1
	v_lshlrev_b64 v[81:82], v80, v[9:10]
	v_sub_nc_u32_e32 v80, 29, v1
	v_and_b32_e32 v1, 7, v81
; %bb.430:                              ;   in Loop: Header=BB268_9 Depth=1
	s_or_b32 exec_lo, exec_lo, s34
	v_lshlrev_b32_e32 v81, 8, v9
	v_lshl_add_u32 v80, v80, 10, 0x2000
	v_lshlrev_b32_e32 v1, 7, v1
	v_and_b32_e32 v81, 0x8000, v81
	v_and_b32_e32 v80, 0xfc00, v80
	v_or3_b32 v80, v81, v80, v1
.LBB268_431:                            ;   in Loop: Header=BB268_9 Depth=1
	s_or_b32 exec_lo, exec_lo, s33
.LBB268_432:                            ;   in Loop: Header=BB268_9 Depth=1
	s_or_b32 exec_lo, exec_lo, s31
.LBB268_433:                            ;   in Loop: Header=BB268_9 Depth=1
	s_or_b32 exec_lo, exec_lo, s3
	v_lshrrev_b16 v1, 8, v9
	s_mov_b32 s3, exec_lo
	v_cmpx_ne_u16_e32 0, v1
	s_cbranch_execz .LBB268_441
; %bb.434:                              ;   in Loop: Header=BB268_9 Depth=1
	v_bfrev_b32_e32 v79, 1
	s_mov_b32 s31, exec_lo
	v_cmpx_ne_u16_e32 0x80, v1
	s_cbranch_execz .LBB268_440
; %bb.435:                              ;   in Loop: Header=BB268_9 Depth=1
	v_and_b32_sdwa v82, v1, v22 dst_sel:DWORD dst_unused:UNUSED_PAD src0_sel:WORD_0 src1_sel:DWORD
	v_mov_b32_e32 v79, 0x7c010000
	s_mov_b32 s33, exec_lo
	v_cmpx_ne_u32_e32 0x7f, v82
	s_cbranch_execz .LBB268_439
; %bb.436:                              ;   in Loop: Header=BB268_9 Depth=1
	v_and_b32_sdwa v79, v1, v23 dst_sel:DWORD dst_unused:UNUSED_PAD src0_sel:WORD_0 src1_sel:DWORD
	v_lshrrev_b32_e32 v81, 3, v82
	s_mov_b32 s34, exec_lo
	v_cmpx_gt_u32_e32 8, v82
; %bb.437:                              ;   in Loop: Header=BB268_9 Depth=1
	v_ffbh_u32_e32 v79, v79
	v_min_u32_e32 v79, 32, v79
	v_subrev_nc_u32_e32 v81, 28, v79
	v_lshlrev_b64 v[82:83], v81, v[1:2]
	v_sub_nc_u32_e32 v81, 29, v79
	v_and_b32_e32 v79, 7, v82
; %bb.438:                              ;   in Loop: Header=BB268_9 Depth=1
	s_or_b32 exec_lo, exec_lo, s34
	v_lshlrev_b32_sdwa v1, v24, v1 dst_sel:DWORD dst_unused:UNUSED_PAD src0_sel:DWORD src1_sel:WORD_0
	v_lshl_add_u32 v81, v81, 10, 0x2000
	v_lshlrev_b32_e32 v79, 23, v79
	v_and_or_b32 v1, 0x8000, v1, v81
	v_lshl_or_b32 v79, v1, 16, v79
.LBB268_439:                            ;   in Loop: Header=BB268_9 Depth=1
	s_or_b32 exec_lo, exec_lo, s33
.LBB268_440:                            ;   in Loop: Header=BB268_9 Depth=1
	s_or_b32 exec_lo, exec_lo, s31
.LBB268_441:                            ;   in Loop: Header=BB268_9 Depth=1
	s_or_b32 exec_lo, exec_lo, s3
	v_lshrrev_b32_e32 v1, 16, v9
	v_mov_b32_e32 v81, 0
	v_mov_b32_e32 v82, 0
	v_cmp_ne_u16_sdwa s2, v1, v2 src0_sel:BYTE_0 src1_sel:DWORD
	s_and_saveexec_b32 s3, s2
	s_cbranch_execz .LBB268_449
; %bb.442:                              ;   in Loop: Header=BB268_9 Depth=1
	v_cmp_ne_u16_sdwa s2, v1, v21 src0_sel:BYTE_0 src1_sel:DWORD
	v_mov_b32_e32 v82, 0x8000
	s_and_saveexec_b32 s31, s2
	s_cbranch_execz .LBB268_448
; %bb.443:                              ;   in Loop: Header=BB268_9 Depth=1
	v_bfe_u32 v84, v9, 16, 7
	v_mov_b32_e32 v82, 0x7c01
	s_mov_b32 s33, exec_lo
	v_cmpx_ne_u32_e32 0x7f, v84
	s_cbranch_execz .LBB268_447
; %bb.444:                              ;   in Loop: Header=BB268_9 Depth=1
	v_and_b32_e32 v82, 7, v1
	v_lshrrev_b32_e32 v83, 3, v84
	s_mov_b32 s34, exec_lo
	v_cmpx_gt_u32_e32 8, v84
; %bb.445:                              ;   in Loop: Header=BB268_9 Depth=1
	v_ffbh_u32_e32 v82, v82
	v_min_u32_e32 v84, 32, v82
	v_subrev_nc_u32_e32 v82, 28, v84
	v_lshlrev_b64 v[82:83], v82, v[1:2]
	v_sub_nc_u32_e32 v83, 29, v84
	v_and_b32_e32 v82, 7, v82
; %bb.446:                              ;   in Loop: Header=BB268_9 Depth=1
	s_or_b32 exec_lo, exec_lo, s34
	v_lshlrev_b32_e32 v1, 8, v1
	v_lshl_add_u32 v83, v83, 10, 0x2000
	v_lshlrev_b32_e32 v82, 7, v82
	v_and_b32_e32 v1, 0x8000, v1
	v_and_b32_e32 v83, 0xfc00, v83
	v_or3_b32 v82, v1, v83, v82
.LBB268_447:                            ;   in Loop: Header=BB268_9 Depth=1
	s_or_b32 exec_lo, exec_lo, s33
.LBB268_448:                            ;   in Loop: Header=BB268_9 Depth=1
	s_or_b32 exec_lo, exec_lo, s31
.LBB268_449:                            ;   in Loop: Header=BB268_9 Depth=1
	s_or_b32 exec_lo, exec_lo, s3
	s_mov_b32 s3, exec_lo
	v_cmpx_lt_u32_e32 0xffffff, v9
	s_cbranch_execz .LBB268_457
; %bb.450:                              ;   in Loop: Header=BB268_9 Depth=1
	v_lshrrev_b32_e32 v1, 24, v9
	v_bfrev_b32_e32 v81, 1
	s_mov_b32 s31, exec_lo
	v_cmpx_ne_u32_e32 0x80, v1
	s_cbranch_execz .LBB268_456
; %bb.451:                              ;   in Loop: Header=BB268_9 Depth=1
	v_and_b32_e32 v83, 0x7f, v1
	v_mov_b32_e32 v81, 0x7c010000
	s_mov_b32 s33, exec_lo
	v_cmpx_ne_u32_e32 0x7f, v83
	s_cbranch_execz .LBB268_455
; %bb.452:                              ;   in Loop: Header=BB268_9 Depth=1
	v_and_b32_e32 v9, 7, v1
	v_lshrrev_b32_e32 v81, 3, v83
	s_mov_b32 s34, exec_lo
	v_cmpx_gt_u32_e32 8, v83
; %bb.453:                              ;   in Loop: Header=BB268_9 Depth=1
	v_ffbh_u32_e32 v9, v9
	v_min_u32_e32 v9, 32, v9
	v_subrev_nc_u32_e32 v81, 28, v9
	v_lshlrev_b64 v[83:84], v81, v[1:2]
	v_sub_nc_u32_e32 v81, 29, v9
	v_and_b32_e32 v9, 7, v83
; %bb.454:                              ;   in Loop: Header=BB268_9 Depth=1
	s_or_b32 exec_lo, exec_lo, s34
	v_lshlrev_b32_e32 v1, 8, v1
	v_lshl_add_u32 v81, v81, 10, 0x2000
	v_lshlrev_b32_e32 v9, 23, v9
	v_and_or_b32 v1, 0x8000, v1, v81
	v_lshl_or_b32 v81, v1, 16, v9
.LBB268_455:                            ;   in Loop: Header=BB268_9 Depth=1
	s_or_b32 exec_lo, exec_lo, s33
.LBB268_456:                            ;   in Loop: Header=BB268_9 Depth=1
	s_or_b32 exec_lo, exec_lo, s31
.LBB268_457:                            ;   in Loop: Header=BB268_9 Depth=1
	s_or_b32 exec_lo, exec_lo, s3
	global_load_dword v7, v[7:8], off offset:1792
	v_mov_b32_e32 v8, 0
	v_mov_b32_e32 v9, 0
	s_waitcnt vmcnt(0)
	v_cmp_ne_u16_sdwa s2, v7, v2 src0_sel:BYTE_0 src1_sel:DWORD
	s_and_saveexec_b32 s3, s2
	s_cbranch_execz .LBB268_465
; %bb.458:                              ;   in Loop: Header=BB268_9 Depth=1
	v_cmp_ne_u16_sdwa s2, v7, v21 src0_sel:BYTE_0 src1_sel:DWORD
	v_mov_b32_e32 v9, 0x8000
	s_and_saveexec_b32 s31, s2
	s_cbranch_execz .LBB268_464
; %bb.459:                              ;   in Loop: Header=BB268_9 Depth=1
	v_and_b32_e32 v83, 0x7f, v7
	v_mov_b32_e32 v9, 0x7c01
	s_mov_b32 s33, exec_lo
	v_cmpx_ne_u32_e32 0x7f, v83
	s_cbranch_execz .LBB268_463
; %bb.460:                              ;   in Loop: Header=BB268_9 Depth=1
	v_and_b32_e32 v1, 7, v7
	v_lshrrev_b32_e32 v9, 3, v83
	s_mov_b32 s34, exec_lo
	v_cmpx_gt_u32_e32 8, v83
; %bb.461:                              ;   in Loop: Header=BB268_9 Depth=1
	v_ffbh_u32_e32 v1, v1
	v_min_u32_e32 v1, 32, v1
	v_subrev_nc_u32_e32 v9, 28, v1
	v_lshlrev_b64 v[83:84], v9, v[7:8]
	v_sub_nc_u32_e32 v9, 29, v1
	v_and_b32_e32 v1, 7, v83
; %bb.462:                              ;   in Loop: Header=BB268_9 Depth=1
	s_or_b32 exec_lo, exec_lo, s34
	v_lshlrev_b32_e32 v83, 8, v7
	v_lshl_add_u32 v9, v9, 10, 0x2000
	v_lshlrev_b32_e32 v1, 7, v1
	v_and_b32_e32 v83, 0x8000, v83
	v_and_b32_e32 v9, 0xfc00, v9
	v_or3_b32 v9, v83, v9, v1
.LBB268_463:                            ;   in Loop: Header=BB268_9 Depth=1
	s_or_b32 exec_lo, exec_lo, s33
.LBB268_464:                            ;   in Loop: Header=BB268_9 Depth=1
	s_or_b32 exec_lo, exec_lo, s31
.LBB268_465:                            ;   in Loop: Header=BB268_9 Depth=1
	s_or_b32 exec_lo, exec_lo, s3
	v_lshrrev_b16 v1, 8, v7
	s_mov_b32 s3, exec_lo
	v_cmpx_ne_u16_e32 0, v1
	s_cbranch_execz .LBB268_473
; %bb.466:                              ;   in Loop: Header=BB268_9 Depth=1
	v_bfrev_b32_e32 v8, 1
	s_mov_b32 s31, exec_lo
	v_cmpx_ne_u16_e32 0x80, v1
	s_cbranch_execz .LBB268_472
; %bb.467:                              ;   in Loop: Header=BB268_9 Depth=1
	v_and_b32_sdwa v84, v1, v22 dst_sel:DWORD dst_unused:UNUSED_PAD src0_sel:WORD_0 src1_sel:DWORD
	v_mov_b32_e32 v8, 0x7c010000
	s_mov_b32 s33, exec_lo
	v_cmpx_ne_u32_e32 0x7f, v84
	s_cbranch_execz .LBB268_471
; %bb.468:                              ;   in Loop: Header=BB268_9 Depth=1
	v_and_b32_sdwa v8, v1, v23 dst_sel:DWORD dst_unused:UNUSED_PAD src0_sel:WORD_0 src1_sel:DWORD
	v_lshrrev_b32_e32 v83, 3, v84
	s_mov_b32 s34, exec_lo
	v_cmpx_gt_u32_e32 8, v84
; %bb.469:                              ;   in Loop: Header=BB268_9 Depth=1
	v_ffbh_u32_e32 v8, v8
	v_min_u32_e32 v8, 32, v8
	v_subrev_nc_u32_e32 v83, 28, v8
	v_lshlrev_b64 v[84:85], v83, v[1:2]
	v_sub_nc_u32_e32 v83, 29, v8
	v_and_b32_e32 v8, 7, v84
; %bb.470:                              ;   in Loop: Header=BB268_9 Depth=1
	s_or_b32 exec_lo, exec_lo, s34
	v_lshlrev_b32_sdwa v1, v24, v1 dst_sel:DWORD dst_unused:UNUSED_PAD src0_sel:DWORD src1_sel:WORD_0
	v_lshl_add_u32 v83, v83, 10, 0x2000
	v_lshlrev_b32_e32 v8, 23, v8
	v_and_or_b32 v1, 0x8000, v1, v83
	v_lshl_or_b32 v8, v1, 16, v8
.LBB268_471:                            ;   in Loop: Header=BB268_9 Depth=1
	s_or_b32 exec_lo, exec_lo, s33
.LBB268_472:                            ;   in Loop: Header=BB268_9 Depth=1
	s_or_b32 exec_lo, exec_lo, s31
.LBB268_473:                            ;   in Loop: Header=BB268_9 Depth=1
	s_or_b32 exec_lo, exec_lo, s3
	v_lshrrev_b32_e32 v1, 16, v7
	v_mov_b32_e32 v83, 0
	v_mov_b32_e32 v84, 0
	v_cmp_ne_u16_sdwa s2, v1, v2 src0_sel:BYTE_0 src1_sel:DWORD
	s_and_saveexec_b32 s3, s2
	s_cbranch_execz .LBB268_481
; %bb.474:                              ;   in Loop: Header=BB268_9 Depth=1
	v_cmp_ne_u16_sdwa s2, v1, v21 src0_sel:BYTE_0 src1_sel:DWORD
	v_mov_b32_e32 v84, 0x8000
	s_and_saveexec_b32 s31, s2
	s_cbranch_execz .LBB268_480
; %bb.475:                              ;   in Loop: Header=BB268_9 Depth=1
	v_bfe_u32 v86, v7, 16, 7
	v_mov_b32_e32 v84, 0x7c01
	s_mov_b32 s33, exec_lo
	v_cmpx_ne_u32_e32 0x7f, v86
	s_cbranch_execz .LBB268_479
; %bb.476:                              ;   in Loop: Header=BB268_9 Depth=1
	v_and_b32_e32 v84, 7, v1
	v_lshrrev_b32_e32 v85, 3, v86
	s_mov_b32 s34, exec_lo
	v_cmpx_gt_u32_e32 8, v86
; %bb.477:                              ;   in Loop: Header=BB268_9 Depth=1
	v_ffbh_u32_e32 v84, v84
	v_min_u32_e32 v86, 32, v84
	v_subrev_nc_u32_e32 v84, 28, v86
	v_lshlrev_b64 v[84:85], v84, v[1:2]
	v_sub_nc_u32_e32 v85, 29, v86
	v_and_b32_e32 v84, 7, v84
; %bb.478:                              ;   in Loop: Header=BB268_9 Depth=1
	s_or_b32 exec_lo, exec_lo, s34
	v_lshlrev_b32_e32 v1, 8, v1
	v_lshl_add_u32 v85, v85, 10, 0x2000
	v_lshlrev_b32_e32 v84, 7, v84
	v_and_b32_e32 v1, 0x8000, v1
	v_and_b32_e32 v85, 0xfc00, v85
	v_or3_b32 v84, v1, v85, v84
.LBB268_479:                            ;   in Loop: Header=BB268_9 Depth=1
	s_or_b32 exec_lo, exec_lo, s33
.LBB268_480:                            ;   in Loop: Header=BB268_9 Depth=1
	s_or_b32 exec_lo, exec_lo, s31
.LBB268_481:                            ;   in Loop: Header=BB268_9 Depth=1
	s_or_b32 exec_lo, exec_lo, s3
	s_mov_b32 s3, exec_lo
	v_cmpx_lt_u32_e32 0xffffff, v7
	s_cbranch_execz .LBB268_489
; %bb.482:                              ;   in Loop: Header=BB268_9 Depth=1
	v_lshrrev_b32_e32 v1, 24, v7
	v_bfrev_b32_e32 v83, 1
	s_mov_b32 s31, exec_lo
	v_cmpx_ne_u32_e32 0x80, v1
	s_cbranch_execz .LBB268_488
; %bb.483:                              ;   in Loop: Header=BB268_9 Depth=1
	v_and_b32_e32 v85, 0x7f, v1
	v_mov_b32_e32 v83, 0x7c010000
	s_mov_b32 s33, exec_lo
	v_cmpx_ne_u32_e32 0x7f, v85
	s_cbranch_execz .LBB268_487
; %bb.484:                              ;   in Loop: Header=BB268_9 Depth=1
	v_and_b32_e32 v7, 7, v1
	v_lshrrev_b32_e32 v83, 3, v85
	s_mov_b32 s34, exec_lo
	v_cmpx_gt_u32_e32 8, v85
; %bb.485:                              ;   in Loop: Header=BB268_9 Depth=1
	v_ffbh_u32_e32 v7, v7
	v_min_u32_e32 v7, 32, v7
	v_subrev_nc_u32_e32 v83, 28, v7
	v_lshlrev_b64 v[85:86], v83, v[1:2]
	v_sub_nc_u32_e32 v83, 29, v7
	v_and_b32_e32 v7, 7, v85
; %bb.486:                              ;   in Loop: Header=BB268_9 Depth=1
	s_or_b32 exec_lo, exec_lo, s34
	v_lshlrev_b32_e32 v1, 8, v1
	v_lshl_add_u32 v83, v83, 10, 0x2000
	v_lshlrev_b32_e32 v7, 23, v7
	v_and_or_b32 v1, 0x8000, v1, v83
	v_lshl_or_b32 v83, v1, 16, v7
.LBB268_487:                            ;   in Loop: Header=BB268_9 Depth=1
	s_or_b32 exec_lo, exec_lo, s33
.LBB268_488:                            ;   in Loop: Header=BB268_9 Depth=1
	s_or_b32 exec_lo, exec_lo, s31
.LBB268_489:                            ;   in Loop: Header=BB268_9 Depth=1
	s_or_b32 exec_lo, exec_lo, s3
	ds_read_b64 v[85:86], v18
	v_or_b32_e32 v1, v28, v27
	v_or_b32_e32 v7, v29, v30
	v_fma_mixlo_f16 v27, v26, v28, 0 op_sel:[0,1,0] op_sel_hi:[0,1,0]
	v_fma_mixlo_f16 v28, v26, v29, 0 op_sel:[0,1,0] op_sel_hi:[0,1,0]
	v_or_b32_e32 v32, v31, v32
	v_fma_mixlo_f16 v1, v26, v1, 0 op_sel_hi:[0,1,0]
	v_fma_mixlo_f16 v7, v26, v7, 0 op_sel_hi:[0,1,0]
	v_and_b32_e32 v27, 0xffff, v27
	v_and_b32_e32 v29, 0xffff, v28
	v_or_b32_e32 v34, v33, v34
	v_and_b32_e32 v1, 0xffff, v1
	v_fma_mixlo_f16 v31, v26, v31, 0 op_sel:[0,1,0] op_sel_hi:[0,1,0]
	v_fma_mixlo_f16 v33, v26, v33, 0 op_sel:[0,1,0] op_sel_hi:[0,1,0]
	v_fma_mixlo_f16 v32, v26, v32, 0 op_sel_hi:[0,1,0]
	v_fma_mixlo_f16 v34, v26, v34, 0 op_sel_hi:[0,1,0]
	v_or_b32_e32 v40, v39, v40
	v_and_b32_e32 v31, 0xffff, v31
	v_and_b32_e32 v33, 0xffff, v33
	;; [unrolled: 1-line block ×3, first 2 shown]
	s_waitcnt lgkmcnt(0)
	v_and_b32_e32 v28, 0xffff, v85
	v_lshrrev_b32_e32 v30, 16, v85
	v_and_b32_e32 v85, 0xffff, v7
	v_and_b32_e32 v7, 0xffff, v86
	v_lshrrev_b32_e32 v87, 16, v86
	;;#ASMSTART
	v_cvt_f32_f16 v92, v28;
	;;#ASMEND
	;;#ASMSTART
	v_cvt_f32_f16 v90, v30;
	;;#ASMEND
	;; [unrolled: 3-line block ×8, first 2 shown]
	ds_read_b64 v[29:30], v18 offset:8
	v_and_b32_e32 v34, 0xffff, v34
	v_or_b32_e32 v42, v41, v42
	v_fma_mixlo_f16 v39, v26, v39, 0 op_sel:[0,1,0] op_sel_hi:[0,1,0]
	v_fma_mixlo_f16 v41, v26, v41, 0 op_sel:[0,1,0] op_sel_hi:[0,1,0]
	v_fma_mixlo_f16 v40, v26, v40, 0 op_sel_hi:[0,1,0]
	v_or_b32_e32 v44, v43, v44
	v_fma_mixlo_f16 v42, v26, v42, 0 op_sel_hi:[0,1,0]
	v_or_b32_e32 v46, v45, v46
	v_fma_mixlo_f16 v43, v26, v43, 0 op_sel:[0,1,0] op_sel_hi:[0,1,0]
	v_fma_mixlo_f16 v45, v26, v45, 0 op_sel:[0,1,0] op_sel_hi:[0,1,0]
	v_fma_mixlo_f16 v44, v26, v44, 0 op_sel_hi:[0,1,0]
	v_and_b32_e32 v87, 0xffff, v42
	v_fma_mixlo_f16 v46, v26, v46, 0 op_sel_hi:[0,1,0]
	v_and_b32_e32 v89, 0xffff, v43
	v_and_b32_e32 v91, 0xffff, v45
	;; [unrolled: 1-line block ×3, first 2 shown]
	v_or_b32_e32 v48, v47, v48
	v_and_b32_e32 v95, 0xffff, v46
	v_or_b32_e32 v50, v49, v50
	s_waitcnt lgkmcnt(0)
	v_and_b32_e32 v85, 0xffff, v29
	v_lshrrev_b32_e32 v29, 16, v29
	v_lshrrev_b32_e32 v86, 16, v30
	v_and_b32_e32 v30, 0xffff, v30
	;;#ASMSTART
	v_cvt_f32_f16 v113, v85;
	;;#ASMEND
	;;#ASMSTART
	v_cvt_f32_f16 v114, v29;
	;;#ASMEND
	;; [unrolled: 3-line block ×8, first 2 shown]
	ds_read_b64 v[29:30], v18 offset:16
	v_or_b32_e32 v31, v35, v36
	v_or_b32_e32 v32, v37, v38
	v_fma_mixlo_f16 v33, v26, v35, 0 op_sel:[0,1,0] op_sel_hi:[0,1,0]
	v_fma_mixlo_f16 v34, v26, v37, 0 op_sel:[0,1,0] op_sel_hi:[0,1,0]
	v_and_b32_e32 v86, 0xffff, v41
	v_fma_mixlo_f16 v31, v26, v31, 0 op_sel_hi:[0,1,0]
	v_fma_mixlo_f16 v32, v26, v32, 0 op_sel_hi:[0,1,0]
	v_and_b32_e32 v33, 0xffff, v33
	v_and_b32_e32 v36, 0xffff, v34
	v_fma_mixlo_f16 v47, v26, v47, 0 op_sel:[0,1,0] op_sel_hi:[0,1,0]
	v_and_b32_e32 v31, 0xffff, v31
	v_and_b32_e32 v37, 0xffff, v32
	v_fma_mixlo_f16 v49, v26, v49, 0 op_sel:[0,1,0] op_sel_hi:[0,1,0]
	v_fma_mixlo_f16 v48, v26, v48, 0 op_sel_hi:[0,1,0]
	v_fma_mixlo_f16 v50, v26, v50, 0 op_sel_hi:[0,1,0]
	v_and_b32_e32 v99, 0xffff, v47
	v_or_b32_e32 v52, v51, v52
	v_and_b32_e32 v100, 0xffff, v49
	v_and_b32_e32 v48, 0xffff, v48
	s_waitcnt lgkmcnt(0)
	v_and_b32_e32 v34, 0xffff, v29
	v_lshrrev_b32_e32 v35, 16, v29
	v_lshrrev_b32_e32 v38, 16, v30
	v_and_b32_e32 v85, 0xffff, v30
	;;#ASMSTART
	v_cvt_f32_f16 v29, v34;
	;;#ASMEND
	;;#ASMSTART
	v_cvt_f32_f16 v30, v35;
	;;#ASMEND
	;; [unrolled: 3-line block ×8, first 2 shown]
	ds_read_b64 v[37:38], v18 offset:24
	v_and_b32_e32 v85, 0xffff, v39
	v_and_b32_e32 v39, 0xffff, v40
	v_or_b32_e32 v54, v53, v54
	v_fma_mixlo_f16 v51, v26, v51, 0 op_sel:[0,1,0] op_sel_hi:[0,1,0]
	v_fma_mixlo_f16 v53, v26, v53, 0 op_sel:[0,1,0] op_sel_hi:[0,1,0]
	v_fma_mixlo_f16 v52, v26, v52, 0 op_sel_hi:[0,1,0]
	v_or_b32_e32 v56, v55, v56
	v_fma_mixlo_f16 v54, v26, v54, 0 op_sel_hi:[0,1,0]
	v_and_b32_e32 v101, 0xffff, v51
	v_and_b32_e32 v102, 0xffff, v53
	;; [unrolled: 1-line block ×3, first 2 shown]
	v_or_b32_e32 v58, v57, v58
	v_and_b32_e32 v103, 0xffff, v54
	v_fma_mixlo_f16 v55, v26, v55, 0 op_sel:[0,1,0] op_sel_hi:[0,1,0]
	v_fma_mixlo_f16 v56, v26, v56, 0 op_sel_hi:[0,1,0]
	v_fma_mixlo_f16 v57, v26, v57, 0 op_sel:[0,1,0] op_sel_hi:[0,1,0]
	v_fma_mixlo_f16 v58, v26, v58, 0 op_sel_hi:[0,1,0]
	v_or_b32_e32 v68, v67, v68
	v_and_b32_e32 v55, 0xffff, v55
	s_waitcnt lgkmcnt(0)
	v_and_b32_e32 v40, 0xffff, v37
	v_lshrrev_b32_e32 v41, 16, v37
	v_lshrrev_b32_e32 v42, 16, v38
	v_and_b32_e32 v88, 0xffff, v38
	;;#ASMSTART
	v_cvt_f32_f16 v37, v40;
	;;#ASMEND
	;;#ASMSTART
	v_cvt_f32_f16 v38, v41;
	;;#ASMEND
	;; [unrolled: 3-line block ×8, first 2 shown]
	ds_read_b64 v[87:88], v18 offset:32
	v_and_b32_e32 v56, 0xffff, v56
	v_and_b32_e32 v57, 0xffff, v57
	;; [unrolled: 1-line block ×3, first 2 shown]
	v_or_b32_e32 v70, v69, v70
	v_fma_mixlo_f16 v67, v26, v67, 0 op_sel:[0,1,0] op_sel_hi:[0,1,0]
	v_fma_mixlo_f16 v69, v26, v69, 0 op_sel:[0,1,0] op_sel_hi:[0,1,0]
	v_fma_mixlo_f16 v68, v26, v68, 0 op_sel_hi:[0,1,0]
	v_or_b32_e32 v72, v71, v72
	v_fma_mixlo_f16 v70, v26, v70, 0 op_sel_hi:[0,1,0]
	v_or_b32_e32 v74, v73, v74
	v_fma_mixlo_f16 v71, v26, v71, 0 op_sel:[0,1,0] op_sel_hi:[0,1,0]
	v_fma_mixlo_f16 v73, v26, v73, 0 op_sel:[0,1,0] op_sel_hi:[0,1,0]
	v_fma_mixlo_f16 v72, v26, v72, 0 op_sel_hi:[0,1,0]
	v_or_b32_e32 v78, v77, v78
	v_fma_mixlo_f16 v74, v26, v74, 0 op_sel_hi:[0,1,0]
	v_or_b32_e32 v76, v75, v76
	v_fma_mixlo_f16 v75, v26, v75, 0 op_sel:[0,1,0] op_sel_hi:[0,1,0]
	v_fma_mixlo_f16 v77, v26, v77, 0 op_sel:[0,1,0] op_sel_hi:[0,1,0]
	v_fma_mixlo_f16 v78, v26, v78, 0 op_sel_hi:[0,1,0]
	s_waitcnt lgkmcnt(0)
	v_and_b32_e32 v43, 0xffff, v87
	v_lshrrev_b32_e32 v44, 16, v87
	v_lshrrev_b32_e32 v96, 16, v88
	v_and_b32_e32 v87, 0xffff, v88
	;;#ASMSTART
	v_cvt_f32_f16 v43, v43;
	;;#ASMEND
	;;#ASMSTART
	v_cvt_f32_f16 v44, v44;
	;;#ASMEND
	;;#ASMSTART
	v_cvt_f32_f16 v45, v45;
	;;#ASMEND
	;;#ASMSTART
	v_cvt_f32_f16 v46, v89;
	;;#ASMEND
	;;#ASMSTART
	v_cvt_f32_f16 v87, v87;
	;;#ASMEND
	;;#ASMSTART
	v_cvt_f32_f16 v88, v96;
	;;#ASMEND
	;;#ASMSTART
	v_cvt_f32_f16 v89, v95;
	;;#ASMEND
	;;#ASMSTART
	v_cvt_f32_f16 v91, v91;
	;;#ASMEND
	ds_read_b64 v[95:96], v18 offset:40
	v_and_b32_e32 v75, 0xffff, v75
	v_and_b32_e32 v77, 0xffff, v77
	v_or_b32_e32 v82, v81, v82
	v_fma_mixlo_f16 v81, v26, v81, 0 op_sel:[0,1,0] op_sel_hi:[0,1,0]
	s_waitcnt lgkmcnt(0)
	v_and_b32_e32 v47, 0xffff, v95
	v_lshrrev_b32_e32 v49, 16, v95
	v_and_b32_e32 v95, 0xffff, v50
	v_lshrrev_b32_e32 v50, 16, v96
	v_and_b32_e32 v96, 0xffff, v96
	;;#ASMSTART
	v_cvt_f32_f16 v97, v47;
	;;#ASMEND
	;;#ASMSTART
	v_cvt_f32_f16 v47, v49;
	;;#ASMEND
	;; [unrolled: 3-line block ×8, first 2 shown]
	ds_read_b64 v[99:100], v18 offset:48
	s_waitcnt lgkmcnt(0)
	v_and_b32_e32 v51, 0xffff, v99
	v_lshrrev_b32_e32 v99, 16, v99
	v_lshrrev_b32_e32 v104, 16, v100
	v_and_b32_e32 v54, 0xffff, v100
	;;#ASMSTART
	v_cvt_f32_f16 v52, v51;
	;;#ASMEND
	;;#ASMSTART
	v_cvt_f32_f16 v51, v99;
	;;#ASMEND
	;; [unrolled: 3-line block ×8, first 2 shown]
	ds_read_b64 v[103:104], v18 offset:56
	s_waitcnt lgkmcnt(0)
	v_and_b32_e32 v105, 0xffff, v103
	v_lshrrev_b32_e32 v103, 16, v103
	v_lshrrev_b32_e32 v107, 16, v104
	v_and_b32_e32 v106, 0xffff, v104
	;;#ASMSTART
	v_cvt_f32_f16 v104, v105;
	;;#ASMEND
	;;#ASMSTART
	v_cvt_f32_f16 v103, v103;
	;;#ASMEND
	;; [unrolled: 3-line block ×8, first 2 shown]
	ds_read_b64 v[55:56], v18 offset:64
	v_or_b32_e32 v57, v59, v60
	v_or_b32_e32 v58, v61, v62
	v_fma_mixlo_f16 v59, v26, v59, 0 op_sel:[0,1,0] op_sel_hi:[0,1,0]
	v_fma_mixlo_f16 v60, v26, v61, 0 op_sel:[0,1,0] op_sel_hi:[0,1,0]
	v_fma_mixlo_f16 v57, v26, v57, 0 op_sel_hi:[0,1,0]
	v_fma_mixlo_f16 v58, v26, v58, 0 op_sel_hi:[0,1,0]
	v_and_b32_e32 v61, 0xffff, v59
	v_and_b32_e32 v122, 0xffff, v60
	v_and_b32_e32 v57, 0xffff, v57
	v_and_b32_e32 v58, 0xffff, v58
	s_waitcnt lgkmcnt(0)
	v_and_b32_e32 v59, 0xffff, v55
	v_lshrrev_b32_e32 v119, 16, v56
	v_lshrrev_b32_e32 v55, 16, v55
	v_and_b32_e32 v56, 0xffff, v56
	;;#ASMSTART
	v_cvt_f32_f16 v60, v59;
	;;#ASMEND
	;;#ASMSTART
	v_cvt_f32_f16 v59, v55;
	;;#ASMEND
	;; [unrolled: 3-line block ×8, first 2 shown]
	ds_read_b64 v[123:124], v18 offset:72
	v_or_b32_e32 v55, v63, v64
	v_or_b32_e32 v56, v65, v66
	v_fma_mixlo_f16 v57, v26, v63, 0 op_sel:[0,1,0] op_sel_hi:[0,1,0]
	v_fma_mixlo_f16 v58, v26, v65, 0 op_sel:[0,1,0] op_sel_hi:[0,1,0]
	v_fma_mixlo_f16 v55, v26, v55, 0 op_sel_hi:[0,1,0]
	v_fma_mixlo_f16 v56, v26, v56, 0 op_sel_hi:[0,1,0]
	v_and_b32_e32 v63, 0xffff, v57
	v_and_b32_e32 v64, 0xffff, v58
	v_mul_f32_e32 v58, v114, v116
	v_and_b32_e32 v66, 0xffff, v55
	v_and_b32_e32 v125, 0xffff, v56
	v_mul_f32_e32 v56, v111, v112
	v_mul_f32_e32 v57, v113, v115
	;; [unrolled: 1-line block ×3, first 2 shown]
	v_or_b32_e32 v117, v79, v80
	v_and_b32_e32 v80, 0xffff, v67
	v_and_b32_e32 v118, 0xffff, v69
	;; [unrolled: 1-line block ×3, first 2 shown]
	s_waitcnt lgkmcnt(0)
	v_and_b32_e32 v65, 0xffff, v123
	v_lshrrev_b32_e32 v114, 16, v123
	v_lshrrev_b32_e32 v112, 16, v124
	v_and_b32_e32 v111, 0xffff, v124
	;;#ASMSTART
	v_cvt_f32_f16 v113, v65;
	;;#ASMEND
	;;#ASMSTART
	v_cvt_f32_f16 v65, v114;
	;;#ASMEND
	;; [unrolled: 3-line block ×8, first 2 shown]
	ds_read_b64 v[115:116], v18 offset:80
	v_fmac_f32_e32 v57, v92, v94
	v_fmac_f32_e32 v58, v90, v93
	v_and_b32_e32 v123, 0xffff, v70
	v_and_b32_e32 v94, 0xffff, v71
	v_fma_mixlo_f16 v71, v26, v117, 0 op_sel_hi:[0,1,0]
	v_and_b32_e32 v117, 0xffff, v74
	v_fmac_f32_e32 v55, v7, v28
	v_fmac_f32_e32 v56, v1, v27
	v_fmac_f32_e32 v57, v29, v31
	v_fmac_f32_e32 v58, v30, v32
	v_fma_mixlo_f16 v79, v26, v79, 0 op_sel:[0,1,0] op_sel_hi:[0,1,0]
	v_fmac_f32_e32 v55, v33, v35
	v_fmac_f32_e32 v56, v34, v36
	;; [unrolled: 1-line block ×4, first 2 shown]
	v_and_b32_e32 v35, 0xffff, v78
	v_fmac_f32_e32 v55, v41, v85
	v_fmac_f32_e32 v56, v42, v86
	v_fmac_f32_e32 v57, v43, v45
	s_waitcnt lgkmcnt(0)
	v_and_b32_e32 v67, 0xffff, v115
	v_lshrrev_b32_e32 v68, 16, v115
	v_lshrrev_b32_e32 v92, 16, v116
	v_and_b32_e32 v90, 0xffff, v116
	;;#ASMSTART
	v_cvt_f32_f16 v67, v67;
	;;#ASMEND
	;;#ASMSTART
	v_cvt_f32_f16 v68, v68;
	;;#ASMEND
	;; [unrolled: 3-line block ×8, first 2 shown]
	ds_read_b64 v[115:116], v18 offset:88
	v_and_b32_e32 v118, 0xffff, v73
	v_and_b32_e32 v73, 0xffff, v72
	v_fmac_f32_e32 v58, v44, v46
	v_fmac_f32_e32 v55, v87, v89
	v_fmac_f32_e32 v57, v97, v98
	v_fmac_f32_e32 v56, v88, v91
	v_and_b32_e32 v39, 0xffff, v71
	v_fmac_f32_e32 v58, v47, v48
	v_fmac_f32_e32 v55, v49, v95
	v_fmac_f32_e32 v57, v52, v100
	v_fmac_f32_e32 v56, v50, v96
	;; [unrolled: 5-line block ×3, first 2 shown]
	v_or_b32_e32 v44, v83, v84
	v_fmac_f32_e32 v58, v103, v105
	v_fmac_f32_e32 v55, v106, v109
	s_waitcnt lgkmcnt(0)
	v_and_b32_e32 v7, 0xffff, v115
	v_lshrrev_b32_e32 v28, 16, v115
	v_lshrrev_b32_e32 v27, 16, v116
	v_and_b32_e32 v115, 0xffff, v116
	;;#ASMSTART
	v_cvt_f32_f16 v1, v7;
	;;#ASMEND
	;;#ASMSTART
	v_cvt_f32_f16 v72, v28;
	;;#ASMEND
	;; [unrolled: 3-line block ×8, first 2 shown]
	ds_read_b64 v[27:28], v18 offset:96
	v_fma_mixlo_f16 v7, v26, v76, 0 op_sel_hi:[0,1,0]
	v_fmac_f32_e32 v57, v60, v120
	v_fmac_f32_e32 v58, v59, v61
	v_fma_mixlo_f16 v76, v26, v82, 0 op_sel_hi:[0,1,0]
	v_fmac_f32_e32 v56, v107, v110
	v_and_b32_e32 v7, 0xffff, v7
	v_fmac_f32_e32 v55, v62, v121
	v_fmac_f32_e32 v57, v113, v114
	v_fmac_f32_e32 v58, v65, v66
	v_and_b32_e32 v42, 0xffff, v76
	v_fmac_f32_e32 v56, v119, v122
	v_fmac_f32_e32 v55, v111, v112
	;; [unrolled: 1-line block ×8, first 2 shown]
	s_waitcnt lgkmcnt(0)
	v_and_b32_e32 v29, 0xffff, v27
	v_lshrrev_b32_e32 v27, 16, v27
	v_lshrrev_b32_e32 v34, 16, v28
	v_and_b32_e32 v28, 0xffff, v28
	;;#ASMSTART
	v_cvt_f32_f16 v29, v29;
	;;#ASMEND
	;;#ASMSTART
	v_cvt_f32_f16 v30, v27;
	;;#ASMEND
	;; [unrolled: 3-line block ×8, first 2 shown]
	ds_read_b64 v[27:28], v18 offset:104
	v_or_b32_e32 v7, v8, v9
	v_fma_mixlo_f16 v9, v26, v8, 0 op_sel:[0,1,0] op_sel_hi:[0,1,0]
	v_fmac_f32_e32 v56, v69, v92
	v_fmac_f32_e32 v55, v94, v116
	;; [unrolled: 1-line block ×3, first 2 shown]
	v_fma_mixlo_f16 v37, v26, v7, 0 op_sel_hi:[0,1,0]
	v_fmac_f32_e32 v58, v30, v32
	v_fma_mixlo_f16 v1, v26, v44, 0 op_sel_hi:[0,1,0]
	v_fmac_f32_e32 v56, v115, v117
	v_fmac_f32_e32 v55, v33, v35
	v_and_b32_e32 v29, 0xffff, v37
	v_and_b32_e32 v30, 0xffff, v9
	v_fma_mixlo_f16 v26, v26, v83, 0 op_sel:[0,1,0] op_sel_hi:[0,1,0]
	v_fmac_f32_e32 v56, v34, v36
	v_and_b32_e32 v26, 0xffff, v26
	s_waitcnt lgkmcnt(0)
	v_and_b32_e32 v7, 0xffff, v27
	v_lshrrev_b32_e32 v8, 16, v27
	;;#ASMSTART
	v_cvt_f32_f16 v27, v7;
	;;#ASMEND
	;;#ASMSTART
	v_cvt_f32_f16 v38, v8;
	;;#ASMEND
	v_and_b32_e32 v7, 0xffff, v79
	v_and_b32_e32 v8, 0xffff, v28
	v_lshrrev_b32_e32 v41, 16, v28
	;;#ASMSTART
	v_cvt_f32_f16 v39, v39;
	;;#ASMEND
	;;#ASMSTART
	v_cvt_f32_f16 v28, v7;
	;;#ASMEND
	;; [unrolled: 3-line block ×6, first 2 shown]
	ds_read_b64 v[7:8], v18 offset:112
	v_fmac_f32_e32 v57, v27, v39
	v_fmac_f32_e32 v58, v38, v28
	;; [unrolled: 1-line block ×4, first 2 shown]
	s_waitcnt lgkmcnt(0)
	v_and_b32_e32 v27, 0xffff, v7
	v_lshrrev_b32_e32 v28, 16, v7
	;;#ASMSTART
	v_cvt_f32_f16 v7, v27;
	;;#ASMEND
	;;#ASMSTART
	v_cvt_f32_f16 v9, v28;
	;;#ASMEND
	;;#ASMSTART
	v_cvt_f32_f16 v27, v29;
	;;#ASMEND
	v_and_b32_e32 v29, 0xffff, v8
	v_lshrrev_b32_e32 v8, 16, v8
	;;#ASMSTART
	v_cvt_f32_f16 v28, v30;
	;;#ASMEND
	v_and_b32_e32 v30, 0xffff, v1
	v_fmac_f32_e32 v57, v7, v27
	v_fmac_f32_e32 v58, v9, v28
	;;#ASMSTART
	v_cvt_f32_f16 v1, v29;
	;;#ASMEND
	;;#ASMSTART
	v_cvt_f32_f16 v7, v8;
	;;#ASMEND
	v_xor_b32_e32 v8, 1, v14
	;;#ASMSTART
	v_cvt_f32_f16 v9, v30;
	;;#ASMEND
	v_fmac_f32_e32 v55, v1, v9
	v_add_f32_e32 v1, v57, v58
	;;#ASMSTART
	v_cvt_f32_f16 v9, v26;
	;;#ASMEND
	v_cmp_gt_i32_e64 s2, 32, v8
	v_fmac_f32_e32 v56, v7, v9
	v_add_f32_e32 v1, v1, v55
	v_cndmask_b32_e64 v7, v14, v8, s2
	v_add_f32_e32 v1, v56, v1
	v_lshlrev_b32_e32 v7, 2, v7
	ds_bpermute_b32 v7, v7, v1
	s_and_saveexec_b32 s3, vcc_lo
	s_cbranch_execz .LBB268_8
; %bb.490:                              ;   in Loop: Header=BB268_9 Depth=1
	v_add_nc_u32_e32 v8, s4, v19
	s_waitcnt lgkmcnt(0)
	v_add_f32_e32 v1, v1, v7
	v_cmp_gt_i32_e64 s2, s11, v19
	v_cvt_f32_i32_e32 v8, v8
	v_mul_f32_e32 v8, s28, v8
	v_cndmask_b32_e64 v7, 0, v8, s1
	v_max_f32_e32 v8, v17, v17
	v_fmac_f32_e32 v7, s29, v1
	v_max_f32_e32 v1, v8, v7
	v_cndmask_b32_e64 v7, 0, v7, s2
	v_cndmask_b32_e64 v17, v17, v1, s2
	ds_write_b32 v20, v7
	s_branch .LBB268_8
.LBB268_491:
	s_or_b32 exec_lo, exec_lo, s5
.LBB268_492:
	s_or_b32 exec_lo, exec_lo, s19
	v_xor_b32_e32 v1, 16, v14
	v_xor_b32_e32 v3, 8, v14
	v_max_f32_e32 v6, v17, v17
	s_waitcnt lgkmcnt(0)
	v_xor_b32_e32 v7, 2, v14
	v_cmp_lt_i32_e32 vcc_lo, v1, v15
	v_cndmask_b32_e32 v1, v14, v1, vcc_lo
	v_cmp_lt_i32_e32 vcc_lo, v3, v15
	v_lshlrev_b32_e32 v4, 2, v1
	v_cndmask_b32_e32 v3, v14, v3, vcc_lo
	ds_bpermute_b32 v1, v4, v17
	v_lshlrev_b32_e32 v5, 2, v3
	s_waitcnt lgkmcnt(0)
	v_max_f32_e32 v1, v1, v1
	v_max_f32_e32 v1, v6, v1
	v_xor_b32_e32 v6, 4, v14
	ds_bpermute_b32 v3, v5, v1
	v_cmp_lt_i32_e32 vcc_lo, v6, v15
	v_cndmask_b32_e32 v6, v14, v6, vcc_lo
	v_cmp_lt_i32_e32 vcc_lo, v7, v15
	v_lshlrev_b32_e32 v6, 2, v6
	v_cndmask_b32_e32 v7, v14, v7, vcc_lo
	s_waitcnt lgkmcnt(0)
	v_max_f32_e32 v3, v3, v3
	v_max_f32_e32 v1, v1, v3
	ds_bpermute_b32 v3, v6, v1
	s_waitcnt lgkmcnt(0)
	v_max_f32_e32 v3, v3, v3
	v_max_f32_e32 v8, v1, v3
	v_lshlrev_b32_e32 v3, 2, v7
	v_and_b32_e32 v1, 31, v0
	v_lshlrev_b32_e32 v7, 2, v13
	ds_bpermute_b32 v9, v3, v8
	v_cmp_eq_u32_e32 vcc_lo, 0, v1
	s_and_saveexec_b32 s1, vcc_lo
	s_cbranch_execz .LBB268_494
; %bb.493:
	s_waitcnt lgkmcnt(0)
	v_max_f32_e32 v9, v9, v9
	v_max_f32_e32 v8, v8, v8
	;; [unrolled: 1-line block ×3, first 2 shown]
	ds_write_b32 v7, v8 offset:240
.LBB268_494:
	s_or_b32 exec_lo, exec_lo, s1
	v_cmp_gt_u32_e64 s1, 4, v1
	s_waitcnt lgkmcnt(0)
	v_mov_b32_e32 v9, 0xff7fffff
	v_lshlrev_b32_e32 v8, 2, v1
	s_barrier
	buffer_gl0_inv
	s_and_saveexec_b32 s2, s1
; %bb.495:
	ds_read_b32 v9, v8 offset:240
; %bb.496:
	s_or_b32 exec_lo, exec_lo, s2
	s_waitcnt lgkmcnt(0)
	ds_bpermute_b32 v17, v3, v9
	v_xor_b32_e32 v18, 1, v14
	v_max_f32_e32 v9, v9, v9
	v_lshlrev_b32_e32 v2, 2, v2
	v_cmp_lt_i32_e64 s2, v18, v15
	v_cndmask_b32_e64 v15, v14, v18, s2
	s_lshl_b32 s2, s16, 4
	s_min_i32 s4, s2, s11
	v_lshlrev_b32_e32 v15, 2, v15
	v_cmp_gt_i32_e64 s2, s4, v0
	s_waitcnt lgkmcnt(0)
	v_max_f32_e32 v17, v17, v17
	v_max_f32_e32 v9, v9, v17
	ds_bpermute_b32 v17, v15, v9
	s_waitcnt lgkmcnt(0)
	v_max_f32_e32 v17, v17, v17
	v_max_f32_e32 v9, v9, v17
	ds_bpermute_b32 v17, v2, v9
	v_mov_b32_e32 v9, 0
	v_lshl_add_u32 v2, v0, 2, 0x110
	s_and_saveexec_b32 s5, s2
	s_cbranch_execz .LBB268_500
; %bb.497:
	v_lshl_add_u32 v18, v0, 2, 0x110
	v_mov_b32_e32 v9, 0
	v_mov_b32_e32 v19, v0
	s_mov_b32 s12, 0
	.p2align	6
.LBB268_498:                            ; =>This Inner Loop Header: Depth=1
	ds_read_b32 v20, v18
	v_add_nc_u32_e32 v19, 0x80, v19
	v_cmp_le_i32_e64 s3, s4, v19
	s_or_b32 s12, s3, s12
	s_waitcnt lgkmcnt(0)
	v_sub_f32_e32 v20, v20, v17
	v_mul_f32_e32 v20, 0x3fb8aa3b, v20
	v_exp_f32_e32 v20, v20
	ds_write_b32 v18, v20
	v_add_f32_e32 v9, v9, v20
	v_add_nc_u32_e32 v18, 0x200, v18
	s_andn2_b32 exec_lo, exec_lo, s12
	s_cbranch_execnz .LBB268_498
; %bb.499:
	s_or_b32 exec_lo, exec_lo, s12
.LBB268_500:
	s_or_b32 exec_lo, exec_lo, s5
	ds_bpermute_b32 v4, v4, v9
	s_waitcnt lgkmcnt(0)
	v_add_f32_e32 v4, v9, v4
	ds_bpermute_b32 v5, v5, v4
	s_waitcnt lgkmcnt(0)
	v_add_f32_e32 v4, v4, v5
	;; [unrolled: 3-line block ×5, first 2 shown]
	s_and_saveexec_b32 s3, vcc_lo
; %bb.501:
	ds_write_b32 v7, v4 offset:256
; %bb.502:
	s_or_b32 exec_lo, exec_lo, s3
	s_waitcnt lgkmcnt(0)
	s_barrier
	buffer_gl0_inv
	s_and_saveexec_b32 s3, s1
; %bb.503:
	ds_read_b32 v4, v8 offset:256
; %bb.504:
	s_or_b32 exec_lo, exec_lo, s3
	s_waitcnt lgkmcnt(0)
	ds_bpermute_b32 v3, v3, v4
	v_lshlrev_b32_e32 v5, 2, v14
	s_waitcnt lgkmcnt(0)
	v_add_f32_e32 v3, v4, v3
	ds_bpermute_b32 v4, v15, v3
	s_waitcnt lgkmcnt(0)
	v_add_f32_e32 v3, v3, v4
	v_and_b32_e32 v4, 0xffffff80, v5
	ds_bpermute_b32 v3, v4, v3
	s_and_saveexec_b32 s1, s2
	s_cbranch_execz .LBB268_507
; %bb.505:
	s_waitcnt lgkmcnt(0)
	v_add_f32_e32 v3, 0x358637bd, v3
	s_mov_b32 s2, 0
	v_div_scale_f32 v4, null, v3, v3, 1.0
	v_div_scale_f32 v7, vcc_lo, 1.0, v3, 1.0
	v_rcp_f32_e32 v5, v4
	v_fma_f32 v6, -v4, v5, 1.0
	v_fmac_f32_e32 v5, v6, v5
	v_mul_f32_e32 v6, v7, v5
	v_fma_f32 v8, -v4, v6, v7
	v_fmac_f32_e32 v6, v8, v5
	v_fma_f32 v4, -v4, v6, v7
	v_div_fmas_f32 v4, v4, v5, v6
	v_div_fixup_f32 v3, v4, v3, 1.0
	v_mov_b32_e32 v4, v0
.LBB268_506:                            ; =>This Inner Loop Header: Depth=1
	ds_read_b32 v5, v2
	v_add_nc_u32_e32 v4, 0x80, v4
	v_cmp_le_i32_e32 vcc_lo, s4, v4
	s_or_b32 s2, vcc_lo, s2
	s_waitcnt lgkmcnt(0)
	v_mul_f32_e32 v5, v3, v5
	ds_write_b32 v2, v5
	v_add_nc_u32_e32 v2, 0x200, v2
	s_andn2_b32 exec_lo, exec_lo, s2
	s_cbranch_execnz .LBB268_506
.LBB268_507:
	s_or_b32 exec_lo, exec_lo, s1
	v_lshrrev_b32_e32 v14, 1, v1
	s_waitcnt lgkmcnt(0)
	s_barrier
	buffer_gl0_inv
	s_and_saveexec_b32 s1, s0
	s_xor_b32 s0, exec_lo, s1
; %bb.508:
	v_lshrrev_b32_e32 v14, 1, v1
                                        ; implicit-def: $vgpr10
                                        ; implicit-def: $vgpr16
; %bb.509:
	s_or_saveexec_b32 s12, s0
	v_mov_b32_e32 v23, 0
	v_mov_b32_e32 v24, 0
	;; [unrolled: 1-line block ×8, first 2 shown]
	s_xor_b32 exec_lo, exec_lo, s12
	s_cbranch_execz .LBB268_1043
; %bb.510:
	v_and_b32_e32 v1, 8, v10
	v_or_b32_e32 v3, 0x70, v14
	v_lshlrev_b32_e32 v5, 4, v13
	v_lshlrev_b32_e32 v4, 5, v12
	s_ashr_i32 s0, s18, 31
	s_add_u32 s2, s26, s18
	v_lshl_or_b32 v25, v14, 4, v1
	v_lshl_or_b32 v26, v3, 4, v1
	v_or3_b32 v27, v5, v1, 7
	v_and_b32_e32 v1, 0x7c, v16
	s_addc_u32 s3, s27, s0
	s_lshl_b64 s[0:1], s[24:25], 2
	s_mov_b32 s13, s17
	s_add_i32 s17, s16, -1
	v_lshl_or_b32 v4, v13, 6, v4
	s_add_u32 s0, s22, s0
	v_cmp_gt_u32_e32 vcc_lo, 0x78, v3
	s_addc_u32 s1, s23, s1
	v_add_co_u32 v3, s0, s0, v1
	v_mov_b32_e32 v2, 0
	v_add_nc_u32_e32 v16, 0x110, v4
	v_add_co_ci_u32_e64 v4, null, s1, 0, s0
	v_mov_b32_e32 v28, 0x80
	v_mov_b32_e32 v29, 0x7f
	;; [unrolled: 1-line block ×13, first 2 shown]
	s_mov_b32 s4, -1
	s_mov_b32 s5, 0xffffff
	s_mov_b32 s18, 0
	s_branch .LBB268_513
.LBB268_511:                            ;   in Loop: Header=BB268_513 Depth=1
	s_or_b32 exec_lo, exec_lo, s1
	;;#ASMSTART
	v_pk_mul_f16 v1, v39, v55;

	;;#ASMEND
	;;#ASMSTART
	v_pk_mul_f16 v5, v38, v54;

	;;#ASMEND
	;; [unrolled: 4-line block ×4, first 2 shown]
	;;#ASMSTART
	v_pk_add_f16 v1, v1, v5;

	;;#ASMEND
	;;#ASMSTART
	v_pk_add_f16 v1, v1, v6;

	;;#ASMEND
	;;#ASMSTART
	v_pk_add_f16 v1, v1, v33;

	;;#ASMEND
	v_and_b32_e32 v5, 0xffff, v1
	v_lshrrev_b32_e32 v6, 16, v1
	;;#ASMSTART
	v_cvt_f32_f16 v1, v5;
	;;#ASMEND
	;;#ASMSTART
	v_cvt_f32_f16 v5, v6;
	;;#ASMEND
	v_add_f32_e32 v1, v1, v5
	v_add_f32_e32 v17, v17, v1
.LBB268_512:                            ;   in Loop: Header=BB268_513 Depth=1
	s_or_b32 exec_lo, exec_lo, s19
	v_add_f32_e32 v1, v7, v8
	v_add_f32_e32 v5, v9, v10
	;; [unrolled: 1-line block ×3, first 2 shown]
	v_add_nc_u32_e32 v32, 4, v32
	v_add_f32_e32 v7, v44, v45
	v_add_f32_e32 v18, v18, v1
	;; [unrolled: 1-line block ×7, first 2 shown]
	v_cmp_le_i32_e64 s0, s16, v32
	v_add_co_u32 v3, s1, v3, 16
	v_add_f32_e32 v21, v21, v7
	v_add_f32_e32 v22, v22, v1
	v_add_f32_e32 v24, v24, v5
	v_add_f32_e32 v23, v23, v6
	v_add_nc_u32_e32 v27, 64, v27
	v_add_nc_u32_e32 v16, 0x100, v16
	v_add_co_ci_u32_e64 v4, null, 0, v4, s1
	s_or_b32 s18, s0, s18
	s_andn2_b32 exec_lo, exec_lo, s18
	s_cbranch_execz .LBB268_1042
.LBB268_513:                            ; =>This Inner Loop Header: Depth=1
	global_load_dword v1, v[3:4], off
	ds_read2_b64 v[7:10], v16 offset1:1
	ds_read2_b64 v[39:42], v16 offset0:2 offset1:3
	v_mov_b32_e32 v43, 0
	s_waitcnt lgkmcnt(1)
	;;#ASMSTART
	v_cvt_f16_f32 v37, v7;

	;;#ASMEND
	;;#ASMSTART
	v_cvt_f16_f32 v34, v8;

	;;#ASMEND
	;;#ASMSTART
	v_cvt_f16_f32 v38, v9;

	;;#ASMEND
	;;#ASMSTART
	v_cvt_f16_f32 v35, v10;

	;;#ASMEND
	s_waitcnt lgkmcnt(0)
	;;#ASMSTART
	v_cvt_f16_f32 v39, v39;

	;;#ASMEND
	;;#ASMSTART
	v_cvt_f16_f32 v36, v40;

	;;#ASMEND
	;; [unrolled: 4-line block ×4, first 2 shown]
	s_waitcnt vmcnt(0)
	v_mad_i64_i32 v[5:6], null, v1, s13, s[2:3]
	v_add_co_u32 v7, s0, v5, v25
	v_add_co_ci_u32_e64 v8, null, 0, v6, s0
	global_load_dwordx2 v[9:10], v[7:8], off
	global_load_dword v42, v2, s[14:15]
	s_waitcnt vmcnt(1)
	v_cmp_ne_u16_sdwa s0, v9, v2 src0_sel:BYTE_0 src1_sel:DWORD
	s_and_saveexec_b32 s1, s0
	s_cbranch_execz .LBB268_521
; %bb.514:                              ;   in Loop: Header=BB268_513 Depth=1
	v_cmp_ne_u16_sdwa s0, v9, v28 src0_sel:BYTE_0 src1_sel:DWORD
	v_mov_b32_e32 v43, 0x8000
	s_and_saveexec_b32 s19, s0
	s_cbranch_execz .LBB268_520
; %bb.515:                              ;   in Loop: Header=BB268_513 Depth=1
	v_and_b32_e32 v44, 0x7f, v9
	v_mov_b32_e32 v43, 0x7c01
	s_mov_b32 s22, exec_lo
	v_cmpx_ne_u32_e32 0x7f, v44
	s_cbranch_execz .LBB268_519
; %bb.516:                              ;   in Loop: Header=BB268_513 Depth=1
	v_and_b32_e32 v1, 7, v9
	v_lshrrev_b32_e32 v33, 3, v44
	s_mov_b32 s23, exec_lo
	v_cmpx_gt_u32_e32 8, v44
; %bb.517:                              ;   in Loop: Header=BB268_513 Depth=1
	v_ffbh_u32_e32 v1, v1
	v_min_u32_e32 v1, 32, v1
	v_subrev_nc_u32_e32 v33, 28, v1
	v_lshlrev_b64 v[43:44], v33, v[9:10]
	v_sub_nc_u32_e32 v33, 29, v1
	v_and_b32_e32 v1, 7, v43
; %bb.518:                              ;   in Loop: Header=BB268_513 Depth=1
	s_or_b32 exec_lo, exec_lo, s23
	v_lshlrev_b32_e32 v43, 8, v9
	v_lshl_add_u32 v33, v33, 10, 0x2000
	v_lshlrev_b32_e32 v1, 7, v1
	v_and_b32_e32 v43, 0x8000, v43
	v_and_b32_e32 v33, 0xfc00, v33
	v_or3_b32 v43, v43, v33, v1
.LBB268_519:                            ;   in Loop: Header=BB268_513 Depth=1
	s_or_b32 exec_lo, exec_lo, s22
.LBB268_520:                            ;   in Loop: Header=BB268_513 Depth=1
	s_or_b32 exec_lo, exec_lo, s19
.LBB268_521:                            ;   in Loop: Header=BB268_513 Depth=1
	s_or_b32 exec_lo, exec_lo, s1
	v_lshrrev_b16 v1, 8, v9
	v_mov_b32_e32 v33, 0
	v_mov_b32_e32 v44, 0
	s_mov_b32 s1, exec_lo
	v_cmpx_ne_u16_e32 0, v1
	s_cbranch_execz .LBB268_529
; %bb.522:                              ;   in Loop: Header=BB268_513 Depth=1
	v_bfrev_b32_e32 v44, 1
	s_mov_b32 s19, exec_lo
	v_cmpx_ne_u16_e32 0x80, v1
	s_cbranch_execz .LBB268_528
; %bb.523:                              ;   in Loop: Header=BB268_513 Depth=1
	v_and_b32_sdwa v46, v1, v29 dst_sel:DWORD dst_unused:UNUSED_PAD src0_sel:WORD_0 src1_sel:DWORD
	v_mov_b32_e32 v44, 0x7c010000
	s_mov_b32 s22, exec_lo
	v_cmpx_ne_u32_e32 0x7f, v46
	s_cbranch_execz .LBB268_527
; %bb.524:                              ;   in Loop: Header=BB268_513 Depth=1
	v_and_b32_sdwa v44, v1, v30 dst_sel:DWORD dst_unused:UNUSED_PAD src0_sel:WORD_0 src1_sel:DWORD
	v_lshrrev_b32_e32 v45, 3, v46
	s_mov_b32 s23, exec_lo
	v_cmpx_gt_u32_e32 8, v46
; %bb.525:                              ;   in Loop: Header=BB268_513 Depth=1
	v_ffbh_u32_e32 v44, v44
	v_min_u32_e32 v46, 32, v44
	v_subrev_nc_u32_e32 v44, 28, v46
	v_lshlrev_b64 v[44:45], v44, v[1:2]
	v_sub_nc_u32_e32 v45, 29, v46
	v_and_b32_e32 v44, 7, v44
; %bb.526:                              ;   in Loop: Header=BB268_513 Depth=1
	s_or_b32 exec_lo, exec_lo, s23
	v_lshlrev_b32_sdwa v1, v31, v1 dst_sel:DWORD dst_unused:UNUSED_PAD src0_sel:DWORD src1_sel:WORD_0
	v_lshl_add_u32 v45, v45, 10, 0x2000
	v_lshlrev_b32_e32 v44, 23, v44
	v_and_or_b32 v1, 0x8000, v1, v45
	v_lshl_or_b32 v44, v1, 16, v44
.LBB268_527:                            ;   in Loop: Header=BB268_513 Depth=1
	s_or_b32 exec_lo, exec_lo, s22
.LBB268_528:                            ;   in Loop: Header=BB268_513 Depth=1
	s_or_b32 exec_lo, exec_lo, s19
.LBB268_529:                            ;   in Loop: Header=BB268_513 Depth=1
	s_or_b32 exec_lo, exec_lo, s1
	v_lshrrev_b32_e32 v1, 16, v9
	v_cmp_ne_u16_sdwa s0, v1, v2 src0_sel:BYTE_0 src1_sel:DWORD
	s_and_saveexec_b32 s1, s0
	s_cbranch_execz .LBB268_537
; %bb.530:                              ;   in Loop: Header=BB268_513 Depth=1
	v_cmp_ne_u16_sdwa s0, v1, v28 src0_sel:BYTE_0 src1_sel:DWORD
	v_mov_b32_e32 v33, 0x8000
	s_and_saveexec_b32 s19, s0
	s_cbranch_execz .LBB268_536
; %bb.531:                              ;   in Loop: Header=BB268_513 Depth=1
	v_bfe_u32 v46, v9, 16, 7
	v_mov_b32_e32 v33, 0x7c01
	s_mov_b32 s22, exec_lo
	v_cmpx_ne_u32_e32 0x7f, v46
	s_cbranch_execz .LBB268_535
; %bb.532:                              ;   in Loop: Header=BB268_513 Depth=1
	v_and_b32_e32 v33, 7, v1
	v_lshrrev_b32_e32 v45, 3, v46
	s_mov_b32 s23, exec_lo
	v_cmpx_gt_u32_e32 8, v46
; %bb.533:                              ;   in Loop: Header=BB268_513 Depth=1
	v_ffbh_u32_e32 v33, v33
	v_min_u32_e32 v33, 32, v33
	v_subrev_nc_u32_e32 v45, 28, v33
	v_lshlrev_b64 v[46:47], v45, v[1:2]
	v_sub_nc_u32_e32 v45, 29, v33
	v_and_b32_e32 v33, 7, v46
; %bb.534:                              ;   in Loop: Header=BB268_513 Depth=1
	s_or_b32 exec_lo, exec_lo, s23
	v_lshlrev_b32_e32 v1, 8, v1
	v_lshl_add_u32 v45, v45, 10, 0x2000
	v_lshlrev_b32_e32 v33, 7, v33
	v_and_b32_e32 v1, 0x8000, v1
	v_and_b32_e32 v45, 0xfc00, v45
	v_or3_b32 v33, v1, v45, v33
.LBB268_535:                            ;   in Loop: Header=BB268_513 Depth=1
	s_or_b32 exec_lo, exec_lo, s22
.LBB268_536:                            ;   in Loop: Header=BB268_513 Depth=1
	s_or_b32 exec_lo, exec_lo, s19
.LBB268_537:                            ;   in Loop: Header=BB268_513 Depth=1
	s_or_b32 exec_lo, exec_lo, s1
	v_mov_b32_e32 v45, 0
	v_mov_b32_e32 v46, 0
	s_mov_b32 s1, exec_lo
	v_cmpx_lt_u32_e32 0xffffff, v9
	s_cbranch_execz .LBB268_545
; %bb.538:                              ;   in Loop: Header=BB268_513 Depth=1
	v_lshrrev_b32_e32 v1, 24, v9
	v_bfrev_b32_e32 v46, 1
	s_mov_b32 s19, exec_lo
	v_cmpx_ne_u32_e32 0x80, v1
	s_cbranch_execz .LBB268_544
; %bb.539:                              ;   in Loop: Header=BB268_513 Depth=1
	v_and_b32_e32 v48, 0x7f, v1
	v_mov_b32_e32 v46, 0x7c010000
	s_mov_b32 s22, exec_lo
	v_cmpx_ne_u32_e32 0x7f, v48
	s_cbranch_execz .LBB268_543
; %bb.540:                              ;   in Loop: Header=BB268_513 Depth=1
	v_and_b32_e32 v46, 7, v1
	v_lshrrev_b32_e32 v47, 3, v48
	s_mov_b32 s23, exec_lo
	v_cmpx_gt_u32_e32 8, v48
; %bb.541:                              ;   in Loop: Header=BB268_513 Depth=1
	v_ffbh_u32_e32 v46, v46
	v_min_u32_e32 v48, 32, v46
	v_subrev_nc_u32_e32 v46, 28, v48
	v_lshlrev_b64 v[46:47], v46, v[1:2]
	v_sub_nc_u32_e32 v47, 29, v48
	v_and_b32_e32 v46, 7, v46
; %bb.542:                              ;   in Loop: Header=BB268_513 Depth=1
	s_or_b32 exec_lo, exec_lo, s23
	v_lshlrev_b32_e32 v1, 8, v1
	v_lshl_add_u32 v47, v47, 10, 0x2000
	v_lshlrev_b32_e32 v46, 23, v46
	v_and_or_b32 v1, 0x8000, v1, v47
	v_lshl_or_b32 v46, v1, 16, v46
.LBB268_543:                            ;   in Loop: Header=BB268_513 Depth=1
	s_or_b32 exec_lo, exec_lo, s22
.LBB268_544:                            ;   in Loop: Header=BB268_513 Depth=1
	s_or_b32 exec_lo, exec_lo, s19
.LBB268_545:                            ;   in Loop: Header=BB268_513 Depth=1
	s_or_b32 exec_lo, exec_lo, s1
	v_mov_b32_e32 v1, v10
	v_cmp_ne_u16_sdwa s0, v10, v2 src0_sel:BYTE_0 src1_sel:DWORD
	s_and_saveexec_b32 s1, s0
	s_cbranch_execz .LBB268_553
; %bb.546:                              ;   in Loop: Header=BB268_513 Depth=1
	v_cmp_ne_u16_sdwa s0, v10, v28 src0_sel:BYTE_0 src1_sel:DWORD
	v_mov_b32_e32 v45, 0x8000
	s_and_saveexec_b32 s19, s0
	s_cbranch_execz .LBB268_552
; %bb.547:                              ;   in Loop: Header=BB268_513 Depth=1
	v_and_b32_e32 v48, 0x7f, v10
	v_mov_b32_e32 v45, 0x7c01
	s_mov_b32 s22, exec_lo
	v_cmpx_ne_u32_e32 0x7f, v48
	s_cbranch_execz .LBB268_551
; %bb.548:                              ;   in Loop: Header=BB268_513 Depth=1
	v_and_b32_e32 v45, 7, v10
	v_lshrrev_b32_e32 v47, 3, v48
	s_mov_b32 s23, exec_lo
	v_cmpx_gt_u32_e32 8, v48
; %bb.549:                              ;   in Loop: Header=BB268_513 Depth=1
	v_ffbh_u32_e32 v45, v45
	v_min_u32_e32 v45, 32, v45
	v_subrev_nc_u32_e32 v47, 28, v45
	v_lshlrev_b64 v[48:49], v47, v[1:2]
	v_sub_nc_u32_e32 v47, 29, v45
	v_and_b32_e32 v45, 7, v48
; %bb.550:                              ;   in Loop: Header=BB268_513 Depth=1
	s_or_b32 exec_lo, exec_lo, s23
	v_lshlrev_b32_e32 v48, 8, v10
	v_lshl_add_u32 v47, v47, 10, 0x2000
	v_lshlrev_b32_e32 v45, 7, v45
	v_and_b32_e32 v48, 0x8000, v48
	v_and_b32_e32 v47, 0xfc00, v47
	v_or3_b32 v45, v48, v47, v45
.LBB268_551:                            ;   in Loop: Header=BB268_513 Depth=1
	s_or_b32 exec_lo, exec_lo, s22
.LBB268_552:                            ;   in Loop: Header=BB268_513 Depth=1
	s_or_b32 exec_lo, exec_lo, s19
.LBB268_553:                            ;   in Loop: Header=BB268_513 Depth=1
	s_or_b32 exec_lo, exec_lo, s1
	v_lshrrev_b16 v1, 8, v1
	v_mov_b32_e32 v48, 0
	v_mov_b32_e32 v47, 0
	s_mov_b32 s1, exec_lo
	v_cmpx_ne_u16_e32 0, v1
	s_cbranch_execz .LBB268_561
; %bb.554:                              ;   in Loop: Header=BB268_513 Depth=1
	v_bfrev_b32_e32 v47, 1
	s_mov_b32 s19, exec_lo
	v_cmpx_ne_u16_e32 0x80, v1
	s_cbranch_execz .LBB268_560
; %bb.555:                              ;   in Loop: Header=BB268_513 Depth=1
	v_and_b32_sdwa v50, v1, v29 dst_sel:DWORD dst_unused:UNUSED_PAD src0_sel:WORD_0 src1_sel:DWORD
	v_mov_b32_e32 v47, 0x7c010000
	s_mov_b32 s22, exec_lo
	v_cmpx_ne_u32_e32 0x7f, v50
	s_cbranch_execz .LBB268_559
; %bb.556:                              ;   in Loop: Header=BB268_513 Depth=1
	v_and_b32_sdwa v47, v1, v30 dst_sel:DWORD dst_unused:UNUSED_PAD src0_sel:WORD_0 src1_sel:DWORD
	v_lshrrev_b32_e32 v49, 3, v50
	s_mov_b32 s23, exec_lo
	v_cmpx_gt_u32_e32 8, v50
; %bb.557:                              ;   in Loop: Header=BB268_513 Depth=1
	v_ffbh_u32_e32 v47, v47
	v_min_u32_e32 v47, 32, v47
	v_subrev_nc_u32_e32 v49, 28, v47
	v_lshlrev_b64 v[50:51], v49, v[1:2]
	v_sub_nc_u32_e32 v49, 29, v47
	v_and_b32_e32 v47, 7, v50
; %bb.558:                              ;   in Loop: Header=BB268_513 Depth=1
	s_or_b32 exec_lo, exec_lo, s23
	v_lshlrev_b32_sdwa v1, v31, v1 dst_sel:DWORD dst_unused:UNUSED_PAD src0_sel:DWORD src1_sel:WORD_0
	v_lshl_add_u32 v49, v49, 10, 0x2000
	v_lshlrev_b32_e32 v47, 23, v47
	v_and_or_b32 v1, 0x8000, v1, v49
	v_lshl_or_b32 v47, v1, 16, v47
.LBB268_559:                            ;   in Loop: Header=BB268_513 Depth=1
	s_or_b32 exec_lo, exec_lo, s22
.LBB268_560:                            ;   in Loop: Header=BB268_513 Depth=1
	s_or_b32 exec_lo, exec_lo, s19
.LBB268_561:                            ;   in Loop: Header=BB268_513 Depth=1
	s_or_b32 exec_lo, exec_lo, s1
	v_lshrrev_b32_e32 v1, 16, v10
	v_cmp_ne_u16_sdwa s0, v1, v2 src0_sel:BYTE_0 src1_sel:DWORD
	s_and_saveexec_b32 s1, s0
	s_cbranch_execz .LBB268_569
; %bb.562:                              ;   in Loop: Header=BB268_513 Depth=1
	v_cmp_ne_u16_sdwa s0, v1, v28 src0_sel:BYTE_0 src1_sel:DWORD
	v_mov_b32_e32 v48, 0x8000
	s_and_saveexec_b32 s19, s0
	s_cbranch_execz .LBB268_568
; %bb.563:                              ;   in Loop: Header=BB268_513 Depth=1
	v_bfe_u32 v50, v10, 16, 7
	v_mov_b32_e32 v48, 0x7c01
	s_mov_b32 s22, exec_lo
	v_cmpx_ne_u32_e32 0x7f, v50
	s_cbranch_execz .LBB268_567
; %bb.564:                              ;   in Loop: Header=BB268_513 Depth=1
	v_and_b32_e32 v48, 7, v1
	v_lshrrev_b32_e32 v49, 3, v50
	s_mov_b32 s23, exec_lo
	v_cmpx_gt_u32_e32 8, v50
; %bb.565:                              ;   in Loop: Header=BB268_513 Depth=1
	v_ffbh_u32_e32 v48, v48
	v_min_u32_e32 v50, 32, v48
	v_subrev_nc_u32_e32 v48, 28, v50
	v_lshlrev_b64 v[48:49], v48, v[1:2]
	v_sub_nc_u32_e32 v49, 29, v50
	v_and_b32_e32 v48, 7, v48
; %bb.566:                              ;   in Loop: Header=BB268_513 Depth=1
	s_or_b32 exec_lo, exec_lo, s23
	v_lshlrev_b32_e32 v1, 8, v1
	v_lshl_add_u32 v49, v49, 10, 0x2000
	v_lshlrev_b32_e32 v48, 7, v48
	v_and_b32_e32 v1, 0x8000, v1
	v_and_b32_e32 v49, 0xfc00, v49
	v_or3_b32 v48, v1, v49, v48
.LBB268_567:                            ;   in Loop: Header=BB268_513 Depth=1
	s_or_b32 exec_lo, exec_lo, s22
.LBB268_568:                            ;   in Loop: Header=BB268_513 Depth=1
	s_or_b32 exec_lo, exec_lo, s19
.LBB268_569:                            ;   in Loop: Header=BB268_513 Depth=1
	s_or_b32 exec_lo, exec_lo, s1
	v_cmp_lt_u64_e64 s0, s[4:5], v[9:10]
	v_mov_b32_e32 v9, 0
	s_and_saveexec_b32 s1, s0
	s_cbranch_execz .LBB268_577
; %bb.570:                              ;   in Loop: Header=BB268_513 Depth=1
	v_lshrrev_b32_e32 v1, 24, v10
	v_bfrev_b32_e32 v9, 1
	s_mov_b32 s19, exec_lo
	v_cmpx_ne_u32_e32 0x80, v1
	s_cbranch_execz .LBB268_576
; %bb.571:                              ;   in Loop: Header=BB268_513 Depth=1
	v_and_b32_e32 v49, 0x7f, v1
	v_mov_b32_e32 v9, 0x7c010000
	s_mov_b32 s22, exec_lo
	v_cmpx_ne_u32_e32 0x7f, v49
	s_cbranch_execz .LBB268_575
; %bb.572:                              ;   in Loop: Header=BB268_513 Depth=1
	v_and_b32_e32 v9, 7, v1
	v_lshrrev_b32_e32 v10, 3, v49
	s_mov_b32 s23, exec_lo
	v_cmpx_gt_u32_e32 8, v49
; %bb.573:                              ;   in Loop: Header=BB268_513 Depth=1
	v_ffbh_u32_e32 v9, v9
	v_min_u32_e32 v49, 32, v9
	v_subrev_nc_u32_e32 v9, 28, v49
	v_lshlrev_b64 v[9:10], v9, v[1:2]
	v_sub_nc_u32_e32 v10, 29, v49
	v_and_b32_e32 v9, 7, v9
; %bb.574:                              ;   in Loop: Header=BB268_513 Depth=1
	s_or_b32 exec_lo, exec_lo, s23
	v_lshlrev_b32_e32 v1, 8, v1
	v_lshl_add_u32 v10, v10, 10, 0x2000
	v_lshlrev_b32_e32 v9, 23, v9
	v_and_or_b32 v1, 0x8000, v1, v10
	v_lshl_or_b32 v9, v1, 16, v9
.LBB268_575:                            ;   in Loop: Header=BB268_513 Depth=1
	s_or_b32 exec_lo, exec_lo, s22
.LBB268_576:                            ;   in Loop: Header=BB268_513 Depth=1
	s_or_b32 exec_lo, exec_lo, s19
.LBB268_577:                            ;   in Loop: Header=BB268_513 Depth=1
	s_or_b32 exec_lo, exec_lo, s1
	v_or_b32_e32 v1, v46, v33
	s_waitcnt vmcnt(0)
	v_fma_mixlo_f16 v10, v42, v46, 0 op_sel:[0,1,0] op_sel_hi:[0,1,0]
	v_or_b32_e32 v43, v44, v43
	v_fma_mixlo_f16 v44, v42, v44, 0 op_sel:[0,1,0] op_sel_hi:[0,1,0]
	v_or_b32_e32 v49, v47, v45
	v_fma_mixlo_f16 v46, v42, v1, 0 op_sel_hi:[0,1,0]
	v_or_b32_e32 v48, v9, v48
	v_lshlrev_b32_e32 v1, 16, v10
	v_lshlrev_b32_e32 v45, 16, v44
	v_fma_mixlo_f16 v10, v42, v43, 0 op_sel_hi:[0,1,0]
	v_and_b32_e32 v44, 0xffff, v46
	v_fma_mixlo_f16 v43, v42, v47, 0 op_sel:[0,1,0] op_sel_hi:[0,1,0]
	v_fma_mixlo_f16 v46, v42, v49, 0 op_sel_hi:[0,1,0]
	v_fma_mixlo_f16 v9, v42, v9, 0 op_sel:[0,1,0] op_sel_hi:[0,1,0]
	v_fma_mixlo_f16 v42, v42, v48, 0 op_sel_hi:[0,1,0]
	v_and_b32_e32 v50, 0xffff, v10
	v_lshlrev_b32_e32 v10, 16, v43
	v_and_b32_e32 v43, 0xffff, v46
	v_lshlrev_b32_e32 v9, 16, v9
	v_and_b32_e32 v42, 0xffff, v42
	v_add_nc_u32_e32 v33, -7, v27
	v_cmp_eq_u32_e64 s0, s17, v32
	v_or_b32_e32 v46, v1, v44
	v_or_b32_e32 v47, v45, v50
	;; [unrolled: 1-line block ×4, first 2 shown]
	s_and_saveexec_b32 s19, s0
	s_cbranch_execz .LBB268_579
; %bb.578:                              ;   in Loop: Header=BB268_513 Depth=1
	v_add_nc_u32_e32 v46, -6, v27
	v_cmp_gt_i32_e64 s1, s11, v33
	v_add_nc_u32_e32 v47, -5, v27
	v_add_nc_u32_e32 v49, -2, v27
	v_cndmask_b32_e64 v48, 0, v50, s1
	v_cmp_gt_i32_e64 s1, s11, v46
	v_add_nc_u32_e32 v46, -4, v27
	v_cndmask_b32_e64 v45, 0, v45, s1
	v_cmp_gt_i32_e64 s1, s11, v47
	;; [unrolled: 3-line block ×4, first 2 shown]
	v_or_b32_e32 v47, v45, v48
	v_cndmask_b32_e64 v43, 0, v43, s1
	v_cmp_gt_i32_e64 s1, s11, v49
	v_cndmask_b32_e64 v10, 0, v10, s1
	v_cmp_gt_i32_e64 s1, s11, v46
	v_or_b32_e32 v46, v1, v44
	v_or_b32_e32 v48, v10, v43
	v_cndmask_b32_e64 v42, 0, v42, s1
	v_cmp_gt_i32_e64 s1, s11, v27
	v_cndmask_b32_e64 v9, 0, v9, s1
	v_or_b32_e32 v49, v9, v42
.LBB268_579:                            ;   in Loop: Header=BB268_513 Depth=1
	s_or_b32 exec_lo, exec_lo, s19
	v_and_b32_e32 v1, 0xffff, v37
	v_and_b32_e32 v9, 0xffff, v38
	;; [unrolled: 1-line block ×4, first 2 shown]
	v_mov_b32_e32 v42, 0
	v_lshl_or_b32 v39, v34, 16, v1
	;;#ASMSTART
	v_pk_mul_f16 v1, v39, v47;

	;;#ASMEND
	v_lshl_or_b32 v38, v35, 16, v9
	v_lshl_or_b32 v37, v36, 16, v10
	;; [unrolled: 1-line block ×3, first 2 shown]
	;;#ASMSTART
	v_pk_mul_f16 v9, v38, v46;

	;;#ASMEND
	;;#ASMSTART
	v_pk_mul_f16 v10, v37, v48;

	;;#ASMEND
	;; [unrolled: 4-line block ×3, first 2 shown]
	;;#ASMSTART
	v_pk_add_f16 v1, v1, v9;

	;;#ASMEND
	;;#ASMSTART
	v_pk_add_f16 v1, v1, v10;

	;;#ASMEND
	;; [unrolled: 4-line block ×3, first 2 shown]
	v_and_b32_e32 v9, 0xffff, v1
	v_lshrrev_b32_e32 v1, 16, v1
	;;#ASMSTART
	v_cvt_f32_f16 v34, v9;
	;;#ASMEND
	;;#ASMSTART
	v_cvt_f32_f16 v35, v1;
	;;#ASMEND
	global_load_dwordx2 v[9:10], v[7:8], off offset:256
	v_mov_b32_e32 v41, 0
	global_load_dword v40, v41, s[14:15]
	s_waitcnt vmcnt(1)
	v_cmp_ne_u16_sdwa s1, v9, v2 src0_sel:BYTE_0 src1_sel:DWORD
	s_and_saveexec_b32 s19, s1
	s_cbranch_execz .LBB268_587
; %bb.580:                              ;   in Loop: Header=BB268_513 Depth=1
	v_cmp_ne_u16_sdwa s1, v9, v28 src0_sel:BYTE_0 src1_sel:DWORD
	v_mov_b32_e32 v42, 0x8000
	s_and_saveexec_b32 s22, s1
	s_cbranch_execz .LBB268_586
; %bb.581:                              ;   in Loop: Header=BB268_513 Depth=1
	v_and_b32_e32 v43, 0x7f, v9
	v_mov_b32_e32 v42, 0x7c01
	s_mov_b32 s23, exec_lo
	v_cmpx_ne_u32_e32 0x7f, v43
	s_cbranch_execz .LBB268_585
; %bb.582:                              ;   in Loop: Header=BB268_513 Depth=1
	v_and_b32_e32 v1, 7, v9
	v_lshrrev_b32_e32 v42, 3, v43
	s_mov_b32 s24, exec_lo
	v_cmpx_gt_u32_e32 8, v43
; %bb.583:                              ;   in Loop: Header=BB268_513 Depth=1
	v_ffbh_u32_e32 v1, v1
	v_min_u32_e32 v1, 32, v1
	v_subrev_nc_u32_e32 v42, 28, v1
	v_lshlrev_b64 v[43:44], v42, v[9:10]
	v_sub_nc_u32_e32 v42, 29, v1
	v_and_b32_e32 v1, 7, v43
; %bb.584:                              ;   in Loop: Header=BB268_513 Depth=1
	s_or_b32 exec_lo, exec_lo, s24
	v_lshlrev_b32_e32 v43, 8, v9
	v_lshl_add_u32 v42, v42, 10, 0x2000
	v_lshlrev_b32_e32 v1, 7, v1
	v_and_b32_e32 v43, 0x8000, v43
	v_and_b32_e32 v42, 0xfc00, v42
	v_or3_b32 v42, v43, v42, v1
.LBB268_585:                            ;   in Loop: Header=BB268_513 Depth=1
	s_or_b32 exec_lo, exec_lo, s23
.LBB268_586:                            ;   in Loop: Header=BB268_513 Depth=1
	s_or_b32 exec_lo, exec_lo, s22
.LBB268_587:                            ;   in Loop: Header=BB268_513 Depth=1
	s_or_b32 exec_lo, exec_lo, s19
	v_lshrrev_b16 v1, 8, v9
	s_mov_b32 s19, exec_lo
	v_cmpx_ne_u16_e32 0, v1
	s_cbranch_execz .LBB268_595
; %bb.588:                              ;   in Loop: Header=BB268_513 Depth=1
	v_bfrev_b32_e32 v41, 1
	s_mov_b32 s22, exec_lo
	v_cmpx_ne_u16_e32 0x80, v1
	s_cbranch_execz .LBB268_594
; %bb.589:                              ;   in Loop: Header=BB268_513 Depth=1
	v_and_b32_sdwa v44, v1, v29 dst_sel:DWORD dst_unused:UNUSED_PAD src0_sel:WORD_0 src1_sel:DWORD
	v_mov_b32_e32 v41, 0x7c010000
	s_mov_b32 s23, exec_lo
	v_cmpx_ne_u32_e32 0x7f, v44
	s_cbranch_execz .LBB268_593
; %bb.590:                              ;   in Loop: Header=BB268_513 Depth=1
	v_and_b32_sdwa v41, v1, v30 dst_sel:DWORD dst_unused:UNUSED_PAD src0_sel:WORD_0 src1_sel:DWORD
	v_lshrrev_b32_e32 v43, 3, v44
	s_mov_b32 s24, exec_lo
	v_cmpx_gt_u32_e32 8, v44
; %bb.591:                              ;   in Loop: Header=BB268_513 Depth=1
	v_ffbh_u32_e32 v41, v41
	v_min_u32_e32 v41, 32, v41
	v_subrev_nc_u32_e32 v43, 28, v41
	v_lshlrev_b64 v[44:45], v43, v[1:2]
	v_sub_nc_u32_e32 v43, 29, v41
	v_and_b32_e32 v41, 7, v44
; %bb.592:                              ;   in Loop: Header=BB268_513 Depth=1
	s_or_b32 exec_lo, exec_lo, s24
	v_lshlrev_b32_sdwa v1, v31, v1 dst_sel:DWORD dst_unused:UNUSED_PAD src0_sel:DWORD src1_sel:WORD_0
	v_lshl_add_u32 v43, v43, 10, 0x2000
	v_lshlrev_b32_e32 v41, 23, v41
	v_and_or_b32 v1, 0x8000, v1, v43
	v_lshl_or_b32 v41, v1, 16, v41
.LBB268_593:                            ;   in Loop: Header=BB268_513 Depth=1
	s_or_b32 exec_lo, exec_lo, s23
.LBB268_594:                            ;   in Loop: Header=BB268_513 Depth=1
	s_or_b32 exec_lo, exec_lo, s22
.LBB268_595:                            ;   in Loop: Header=BB268_513 Depth=1
	s_or_b32 exec_lo, exec_lo, s19
	v_lshrrev_b32_e32 v1, 16, v9
	v_mov_b32_e32 v43, 0
	v_mov_b32_e32 v44, 0
	v_cmp_ne_u16_sdwa s1, v1, v2 src0_sel:BYTE_0 src1_sel:DWORD
	s_and_saveexec_b32 s19, s1
	s_cbranch_execz .LBB268_603
; %bb.596:                              ;   in Loop: Header=BB268_513 Depth=1
	v_cmp_ne_u16_sdwa s1, v1, v28 src0_sel:BYTE_0 src1_sel:DWORD
	v_mov_b32_e32 v44, 0x8000
	s_and_saveexec_b32 s22, s1
	s_cbranch_execz .LBB268_602
; %bb.597:                              ;   in Loop: Header=BB268_513 Depth=1
	v_bfe_u32 v46, v9, 16, 7
	v_mov_b32_e32 v44, 0x7c01
	s_mov_b32 s23, exec_lo
	v_cmpx_ne_u32_e32 0x7f, v46
	s_cbranch_execz .LBB268_601
; %bb.598:                              ;   in Loop: Header=BB268_513 Depth=1
	v_and_b32_e32 v44, 7, v1
	v_lshrrev_b32_e32 v45, 3, v46
	s_mov_b32 s24, exec_lo
	v_cmpx_gt_u32_e32 8, v46
; %bb.599:                              ;   in Loop: Header=BB268_513 Depth=1
	v_ffbh_u32_e32 v44, v44
	v_min_u32_e32 v46, 32, v44
	v_subrev_nc_u32_e32 v44, 28, v46
	v_lshlrev_b64 v[44:45], v44, v[1:2]
	v_sub_nc_u32_e32 v45, 29, v46
	v_and_b32_e32 v44, 7, v44
; %bb.600:                              ;   in Loop: Header=BB268_513 Depth=1
	s_or_b32 exec_lo, exec_lo, s24
	v_lshlrev_b32_e32 v1, 8, v1
	v_lshl_add_u32 v45, v45, 10, 0x2000
	v_lshlrev_b32_e32 v44, 7, v44
	v_and_b32_e32 v1, 0x8000, v1
	v_and_b32_e32 v45, 0xfc00, v45
	v_or3_b32 v44, v1, v45, v44
.LBB268_601:                            ;   in Loop: Header=BB268_513 Depth=1
	s_or_b32 exec_lo, exec_lo, s23
.LBB268_602:                            ;   in Loop: Header=BB268_513 Depth=1
	s_or_b32 exec_lo, exec_lo, s22
.LBB268_603:                            ;   in Loop: Header=BB268_513 Depth=1
	s_or_b32 exec_lo, exec_lo, s19
	s_mov_b32 s19, exec_lo
	v_cmpx_lt_u32_e32 0xffffff, v9
	s_cbranch_execz .LBB268_611
; %bb.604:                              ;   in Loop: Header=BB268_513 Depth=1
	v_lshrrev_b32_e32 v1, 24, v9
	v_bfrev_b32_e32 v43, 1
	s_mov_b32 s22, exec_lo
	v_cmpx_ne_u32_e32 0x80, v1
	s_cbranch_execz .LBB268_610
; %bb.605:                              ;   in Loop: Header=BB268_513 Depth=1
	v_and_b32_e32 v46, 0x7f, v1
	v_mov_b32_e32 v43, 0x7c010000
	s_mov_b32 s23, exec_lo
	v_cmpx_ne_u32_e32 0x7f, v46
	s_cbranch_execz .LBB268_609
; %bb.606:                              ;   in Loop: Header=BB268_513 Depth=1
	v_and_b32_e32 v43, 7, v1
	v_lshrrev_b32_e32 v45, 3, v46
	s_mov_b32 s24, exec_lo
	v_cmpx_gt_u32_e32 8, v46
; %bb.607:                              ;   in Loop: Header=BB268_513 Depth=1
	v_ffbh_u32_e32 v43, v43
	v_min_u32_e32 v43, 32, v43
	v_subrev_nc_u32_e32 v45, 28, v43
	v_lshlrev_b64 v[46:47], v45, v[1:2]
	v_sub_nc_u32_e32 v45, 29, v43
	v_and_b32_e32 v43, 7, v46
; %bb.608:                              ;   in Loop: Header=BB268_513 Depth=1
	s_or_b32 exec_lo, exec_lo, s24
	v_lshlrev_b32_e32 v1, 8, v1
	v_lshl_add_u32 v45, v45, 10, 0x2000
	v_lshlrev_b32_e32 v43, 23, v43
	v_and_or_b32 v1, 0x8000, v1, v45
	v_lshl_or_b32 v43, v1, 16, v43
.LBB268_609:                            ;   in Loop: Header=BB268_513 Depth=1
	s_or_b32 exec_lo, exec_lo, s23
.LBB268_610:                            ;   in Loop: Header=BB268_513 Depth=1
	s_or_b32 exec_lo, exec_lo, s22
.LBB268_611:                            ;   in Loop: Header=BB268_513 Depth=1
	s_or_b32 exec_lo, exec_lo, s19
	v_mov_b32_e32 v1, v10
	v_cmp_ne_u16_sdwa s1, v10, v2 src0_sel:BYTE_0 src1_sel:DWORD
	v_mov_b32_e32 v45, 0
	v_mov_b32_e32 v46, 0
	s_and_saveexec_b32 s19, s1
	s_cbranch_execz .LBB268_619
; %bb.612:                              ;   in Loop: Header=BB268_513 Depth=1
	v_cmp_ne_u16_sdwa s1, v10, v28 src0_sel:BYTE_0 src1_sel:DWORD
	v_mov_b32_e32 v46, 0x8000
	s_and_saveexec_b32 s22, s1
	s_cbranch_execz .LBB268_618
; %bb.613:                              ;   in Loop: Header=BB268_513 Depth=1
	v_and_b32_e32 v48, 0x7f, v10
	v_mov_b32_e32 v46, 0x7c01
	s_mov_b32 s23, exec_lo
	v_cmpx_ne_u32_e32 0x7f, v48
	s_cbranch_execz .LBB268_617
; %bb.614:                              ;   in Loop: Header=BB268_513 Depth=1
	v_and_b32_e32 v46, 7, v10
	v_lshrrev_b32_e32 v47, 3, v48
	s_mov_b32 s24, exec_lo
	v_cmpx_gt_u32_e32 8, v48
; %bb.615:                              ;   in Loop: Header=BB268_513 Depth=1
	v_ffbh_u32_e32 v46, v46
	v_min_u32_e32 v48, 32, v46
	v_subrev_nc_u32_e32 v46, 28, v48
	v_lshlrev_b64 v[46:47], v46, v[1:2]
	v_sub_nc_u32_e32 v47, 29, v48
	v_and_b32_e32 v46, 7, v46
; %bb.616:                              ;   in Loop: Header=BB268_513 Depth=1
	s_or_b32 exec_lo, exec_lo, s24
	v_lshlrev_b32_e32 v48, 8, v10
	v_lshl_add_u32 v47, v47, 10, 0x2000
	v_lshlrev_b32_e32 v46, 7, v46
	v_and_b32_e32 v48, 0x8000, v48
	v_and_b32_e32 v47, 0xfc00, v47
	v_or3_b32 v46, v48, v47, v46
.LBB268_617:                            ;   in Loop: Header=BB268_513 Depth=1
	s_or_b32 exec_lo, exec_lo, s23
.LBB268_618:                            ;   in Loop: Header=BB268_513 Depth=1
	s_or_b32 exec_lo, exec_lo, s22
.LBB268_619:                            ;   in Loop: Header=BB268_513 Depth=1
	s_or_b32 exec_lo, exec_lo, s19
	v_lshrrev_b16 v1, 8, v1
	v_mov_b32_e32 v47, 0
	s_mov_b32 s19, exec_lo
	v_cmpx_ne_u16_e32 0, v1
	s_cbranch_execz .LBB268_627
; %bb.620:                              ;   in Loop: Header=BB268_513 Depth=1
	v_bfrev_b32_e32 v47, 1
	s_mov_b32 s22, exec_lo
	v_cmpx_ne_u16_e32 0x80, v1
	s_cbranch_execz .LBB268_626
; %bb.621:                              ;   in Loop: Header=BB268_513 Depth=1
	v_and_b32_sdwa v49, v1, v29 dst_sel:DWORD dst_unused:UNUSED_PAD src0_sel:WORD_0 src1_sel:DWORD
	v_mov_b32_e32 v47, 0x7c010000
	s_mov_b32 s23, exec_lo
	v_cmpx_ne_u32_e32 0x7f, v49
	s_cbranch_execz .LBB268_625
; %bb.622:                              ;   in Loop: Header=BB268_513 Depth=1
	v_and_b32_sdwa v47, v1, v30 dst_sel:DWORD dst_unused:UNUSED_PAD src0_sel:WORD_0 src1_sel:DWORD
	v_lshrrev_b32_e32 v48, 3, v49
	s_mov_b32 s24, exec_lo
	v_cmpx_gt_u32_e32 8, v49
; %bb.623:                              ;   in Loop: Header=BB268_513 Depth=1
	v_ffbh_u32_e32 v47, v47
	v_min_u32_e32 v49, 32, v47
	v_subrev_nc_u32_e32 v47, 28, v49
	v_lshlrev_b64 v[47:48], v47, v[1:2]
	v_sub_nc_u32_e32 v48, 29, v49
	v_and_b32_e32 v47, 7, v47
; %bb.624:                              ;   in Loop: Header=BB268_513 Depth=1
	s_or_b32 exec_lo, exec_lo, s24
	v_lshlrev_b32_sdwa v1, v31, v1 dst_sel:DWORD dst_unused:UNUSED_PAD src0_sel:DWORD src1_sel:WORD_0
	v_lshl_add_u32 v48, v48, 10, 0x2000
	v_lshlrev_b32_e32 v47, 23, v47
	v_and_or_b32 v1, 0x8000, v1, v48
	v_lshl_or_b32 v47, v1, 16, v47
.LBB268_625:                            ;   in Loop: Header=BB268_513 Depth=1
	s_or_b32 exec_lo, exec_lo, s23
.LBB268_626:                            ;   in Loop: Header=BB268_513 Depth=1
	s_or_b32 exec_lo, exec_lo, s22
.LBB268_627:                            ;   in Loop: Header=BB268_513 Depth=1
	s_or_b32 exec_lo, exec_lo, s19
	v_lshrrev_b32_e32 v1, 16, v10
	v_cmp_ne_u16_sdwa s1, v1, v2 src0_sel:BYTE_0 src1_sel:DWORD
	s_and_saveexec_b32 s19, s1
	s_cbranch_execz .LBB268_635
; %bb.628:                              ;   in Loop: Header=BB268_513 Depth=1
	v_cmp_ne_u16_sdwa s1, v1, v28 src0_sel:BYTE_0 src1_sel:DWORD
	v_mov_b32_e32 v45, 0x8000
	s_and_saveexec_b32 s22, s1
	s_cbranch_execz .LBB268_634
; %bb.629:                              ;   in Loop: Header=BB268_513 Depth=1
	v_bfe_u32 v49, v10, 16, 7
	v_mov_b32_e32 v45, 0x7c01
	s_mov_b32 s23, exec_lo
	v_cmpx_ne_u32_e32 0x7f, v49
	s_cbranch_execz .LBB268_633
; %bb.630:                              ;   in Loop: Header=BB268_513 Depth=1
	v_and_b32_e32 v45, 7, v1
	v_lshrrev_b32_e32 v48, 3, v49
	s_mov_b32 s24, exec_lo
	v_cmpx_gt_u32_e32 8, v49
; %bb.631:                              ;   in Loop: Header=BB268_513 Depth=1
	v_ffbh_u32_e32 v45, v45
	v_min_u32_e32 v45, 32, v45
	v_subrev_nc_u32_e32 v48, 28, v45
	v_lshlrev_b64 v[49:50], v48, v[1:2]
	v_sub_nc_u32_e32 v48, 29, v45
	v_and_b32_e32 v45, 7, v49
; %bb.632:                              ;   in Loop: Header=BB268_513 Depth=1
	s_or_b32 exec_lo, exec_lo, s24
	v_lshlrev_b32_e32 v1, 8, v1
	v_lshl_add_u32 v48, v48, 10, 0x2000
	v_lshlrev_b32_e32 v45, 7, v45
	v_and_b32_e32 v1, 0x8000, v1
	v_and_b32_e32 v48, 0xfc00, v48
	v_or3_b32 v45, v1, v48, v45
.LBB268_633:                            ;   in Loop: Header=BB268_513 Depth=1
	s_or_b32 exec_lo, exec_lo, s23
.LBB268_634:                            ;   in Loop: Header=BB268_513 Depth=1
	s_or_b32 exec_lo, exec_lo, s22
.LBB268_635:                            ;   in Loop: Header=BB268_513 Depth=1
	s_or_b32 exec_lo, exec_lo, s19
	v_cmp_lt_u64_e64 s1, s[4:5], v[9:10]
	v_mov_b32_e32 v9, 0
	s_and_saveexec_b32 s19, s1
	s_cbranch_execz .LBB268_643
; %bb.636:                              ;   in Loop: Header=BB268_513 Depth=1
	v_lshrrev_b32_e32 v1, 24, v10
	v_bfrev_b32_e32 v9, 1
	s_mov_b32 s22, exec_lo
	v_cmpx_ne_u32_e32 0x80, v1
	s_cbranch_execz .LBB268_642
; %bb.637:                              ;   in Loop: Header=BB268_513 Depth=1
	v_and_b32_e32 v48, 0x7f, v1
	v_mov_b32_e32 v9, 0x7c010000
	s_mov_b32 s23, exec_lo
	v_cmpx_ne_u32_e32 0x7f, v48
	s_cbranch_execz .LBB268_641
; %bb.638:                              ;   in Loop: Header=BB268_513 Depth=1
	v_and_b32_e32 v9, 7, v1
	v_lshrrev_b32_e32 v10, 3, v48
	s_mov_b32 s24, exec_lo
	v_cmpx_gt_u32_e32 8, v48
; %bb.639:                              ;   in Loop: Header=BB268_513 Depth=1
	v_ffbh_u32_e32 v9, v9
	v_min_u32_e32 v48, 32, v9
	v_subrev_nc_u32_e32 v9, 28, v48
	v_lshlrev_b64 v[9:10], v9, v[1:2]
	v_sub_nc_u32_e32 v10, 29, v48
	v_and_b32_e32 v9, 7, v9
; %bb.640:                              ;   in Loop: Header=BB268_513 Depth=1
	s_or_b32 exec_lo, exec_lo, s24
	v_lshlrev_b32_e32 v1, 8, v1
	v_lshl_add_u32 v10, v10, 10, 0x2000
	v_lshlrev_b32_e32 v9, 23, v9
	v_and_or_b32 v1, 0x8000, v1, v10
	v_lshl_or_b32 v9, v1, 16, v9
.LBB268_641:                            ;   in Loop: Header=BB268_513 Depth=1
	s_or_b32 exec_lo, exec_lo, s23
.LBB268_642:                            ;   in Loop: Header=BB268_513 Depth=1
	s_or_b32 exec_lo, exec_lo, s22
.LBB268_643:                            ;   in Loop: Header=BB268_513 Depth=1
	s_or_b32 exec_lo, exec_lo, s19
	v_or_b32_e32 v1, v43, v44
	s_waitcnt vmcnt(0)
	v_fma_mixlo_f16 v10, v40, v43, 0 op_sel:[0,1,0] op_sel_hi:[0,1,0]
	v_or_b32_e32 v42, v41, v42
	v_fma_mixlo_f16 v41, v40, v41, 0 op_sel:[0,1,0] op_sel_hi:[0,1,0]
	v_or_b32_e32 v44, v47, v46
	v_or_b32_e32 v45, v9, v45
	v_fma_mixlo_f16 v46, v40, v1, 0 op_sel_hi:[0,1,0]
	v_lshlrev_b32_e32 v1, 16, v10
	v_lshlrev_b32_e32 v43, 16, v41
	v_fma_mixlo_f16 v10, v40, v42, 0 op_sel_hi:[0,1,0]
	v_fma_mixlo_f16 v41, v40, v47, 0 op_sel:[0,1,0] op_sel_hi:[0,1,0]
	v_fma_mixlo_f16 v44, v40, v44, 0 op_sel_hi:[0,1,0]
	v_fma_mixlo_f16 v9, v40, v9, 0 op_sel:[0,1,0] op_sel_hi:[0,1,0]
	v_fma_mixlo_f16 v40, v40, v45, 0 op_sel_hi:[0,1,0]
	v_and_b32_e32 v42, 0xffff, v46
	v_and_b32_e32 v47, 0xffff, v10
	v_lshlrev_b32_e32 v10, 16, v41
	v_and_b32_e32 v41, 0xffff, v44
	v_lshlrev_b32_e32 v9, 16, v9
	v_and_b32_e32 v40, 0xffff, v40
	v_or_b32_e32 v44, v1, v42
	v_or_b32_e32 v48, v43, v47
	v_or_b32_e32 v46, v10, v41
	v_or_b32_e32 v45, v9, v40
	s_and_saveexec_b32 s19, s0
	s_cbranch_execz .LBB268_645
; %bb.644:                              ;   in Loop: Header=BB268_513 Depth=1
	v_add_nc_u32_e32 v44, -6, v27
	v_cmp_gt_i32_e64 s1, s11, v33
	v_add_nc_u32_e32 v45, -5, v27
	v_cndmask_b32_e64 v46, 0, v47, s1
	v_cmp_gt_i32_e64 s1, s11, v44
	v_add_nc_u32_e32 v44, -4, v27
	v_add_nc_u32_e32 v47, -2, v27
	v_cndmask_b32_e64 v43, 0, v43, s1
	v_cmp_gt_i32_e64 s1, s11, v45
	v_add_nc_u32_e32 v45, -3, v27
	v_or_b32_e32 v48, v43, v46
	v_cndmask_b32_e64 v42, 0, v42, s1
	v_cmp_gt_i32_e64 s1, s11, v44
	v_add_nc_u32_e32 v44, -1, v27
	v_cndmask_b32_e64 v1, 0, v1, s1
	v_cmp_gt_i32_e64 s1, s11, v45
	v_cndmask_b32_e64 v41, 0, v41, s1
	v_cmp_gt_i32_e64 s1, s11, v47
	;; [unrolled: 2-line block ×3, first 2 shown]
	v_or_b32_e32 v44, v1, v42
	v_or_b32_e32 v46, v10, v41
	v_cndmask_b32_e64 v40, 0, v40, s1
	v_cmp_gt_i32_e64 s1, s11, v27
	v_cndmask_b32_e64 v9, 0, v9, s1
	v_or_b32_e32 v45, v9, v40
.LBB268_645:                            ;   in Loop: Header=BB268_513 Depth=1
	s_or_b32 exec_lo, exec_lo, s19
	;;#ASMSTART
	v_pk_mul_f16 v1, v39, v48;

	;;#ASMEND
	;;#ASMSTART
	v_pk_mul_f16 v9, v38, v44;

	;;#ASMEND
	;; [unrolled: 4-line block ×4, first 2 shown]
	;;#ASMSTART
	v_pk_add_f16 v1, v1, v9;

	;;#ASMEND
	;;#ASMSTART
	v_pk_add_f16 v1, v1, v10;

	;;#ASMEND
	;; [unrolled: 4-line block ×3, first 2 shown]
	v_and_b32_e32 v9, 0xffff, v1
	v_lshrrev_b32_e32 v1, 16, v1
	;;#ASMSTART
	v_cvt_f32_f16 v40, v9;
	;;#ASMEND
	;;#ASMSTART
	v_cvt_f32_f16 v41, v1;
	;;#ASMEND
	global_load_dwordx2 v[9:10], v[7:8], off offset:512
	v_mov_b32_e32 v43, 0
	v_mov_b32_e32 v44, 0
	global_load_dword v42, v43, s[14:15]
	s_waitcnt vmcnt(1)
	v_cmp_ne_u16_sdwa s1, v9, v2 src0_sel:BYTE_0 src1_sel:DWORD
	s_and_saveexec_b32 s19, s1
	s_cbranch_execz .LBB268_653
; %bb.646:                              ;   in Loop: Header=BB268_513 Depth=1
	v_cmp_ne_u16_sdwa s1, v9, v28 src0_sel:BYTE_0 src1_sel:DWORD
	v_mov_b32_e32 v44, 0x8000
	s_and_saveexec_b32 s22, s1
	s_cbranch_execz .LBB268_652
; %bb.647:                              ;   in Loop: Header=BB268_513 Depth=1
	v_and_b32_e32 v45, 0x7f, v9
	v_mov_b32_e32 v44, 0x7c01
	s_mov_b32 s23, exec_lo
	v_cmpx_ne_u32_e32 0x7f, v45
	s_cbranch_execz .LBB268_651
; %bb.648:                              ;   in Loop: Header=BB268_513 Depth=1
	v_and_b32_e32 v1, 7, v9
	v_lshrrev_b32_e32 v44, 3, v45
	s_mov_b32 s24, exec_lo
	v_cmpx_gt_u32_e32 8, v45
; %bb.649:                              ;   in Loop: Header=BB268_513 Depth=1
	v_ffbh_u32_e32 v1, v1
	v_min_u32_e32 v1, 32, v1
	v_subrev_nc_u32_e32 v44, 28, v1
	v_lshlrev_b64 v[45:46], v44, v[9:10]
	v_sub_nc_u32_e32 v44, 29, v1
	v_and_b32_e32 v1, 7, v45
; %bb.650:                              ;   in Loop: Header=BB268_513 Depth=1
	s_or_b32 exec_lo, exec_lo, s24
	v_lshlrev_b32_e32 v45, 8, v9
	v_lshl_add_u32 v44, v44, 10, 0x2000
	v_lshlrev_b32_e32 v1, 7, v1
	v_and_b32_e32 v45, 0x8000, v45
	v_and_b32_e32 v44, 0xfc00, v44
	v_or3_b32 v44, v45, v44, v1
.LBB268_651:                            ;   in Loop: Header=BB268_513 Depth=1
	s_or_b32 exec_lo, exec_lo, s23
.LBB268_652:                            ;   in Loop: Header=BB268_513 Depth=1
	s_or_b32 exec_lo, exec_lo, s22
.LBB268_653:                            ;   in Loop: Header=BB268_513 Depth=1
	s_or_b32 exec_lo, exec_lo, s19
	v_lshrrev_b16 v1, 8, v9
	s_mov_b32 s19, exec_lo
	v_cmpx_ne_u16_e32 0, v1
	s_cbranch_execz .LBB268_661
; %bb.654:                              ;   in Loop: Header=BB268_513 Depth=1
	v_bfrev_b32_e32 v43, 1
	s_mov_b32 s22, exec_lo
	v_cmpx_ne_u16_e32 0x80, v1
	s_cbranch_execz .LBB268_660
; %bb.655:                              ;   in Loop: Header=BB268_513 Depth=1
	v_and_b32_sdwa v46, v1, v29 dst_sel:DWORD dst_unused:UNUSED_PAD src0_sel:WORD_0 src1_sel:DWORD
	v_mov_b32_e32 v43, 0x7c010000
	s_mov_b32 s23, exec_lo
	v_cmpx_ne_u32_e32 0x7f, v46
	s_cbranch_execz .LBB268_659
; %bb.656:                              ;   in Loop: Header=BB268_513 Depth=1
	v_and_b32_sdwa v43, v1, v30 dst_sel:DWORD dst_unused:UNUSED_PAD src0_sel:WORD_0 src1_sel:DWORD
	v_lshrrev_b32_e32 v45, 3, v46
	s_mov_b32 s24, exec_lo
	v_cmpx_gt_u32_e32 8, v46
; %bb.657:                              ;   in Loop: Header=BB268_513 Depth=1
	v_ffbh_u32_e32 v43, v43
	v_min_u32_e32 v43, 32, v43
	v_subrev_nc_u32_e32 v45, 28, v43
	v_lshlrev_b64 v[46:47], v45, v[1:2]
	v_sub_nc_u32_e32 v45, 29, v43
	v_and_b32_e32 v43, 7, v46
; %bb.658:                              ;   in Loop: Header=BB268_513 Depth=1
	s_or_b32 exec_lo, exec_lo, s24
	v_lshlrev_b32_sdwa v1, v31, v1 dst_sel:DWORD dst_unused:UNUSED_PAD src0_sel:DWORD src1_sel:WORD_0
	v_lshl_add_u32 v45, v45, 10, 0x2000
	v_lshlrev_b32_e32 v43, 23, v43
	v_and_or_b32 v1, 0x8000, v1, v45
	v_lshl_or_b32 v43, v1, 16, v43
.LBB268_659:                            ;   in Loop: Header=BB268_513 Depth=1
	s_or_b32 exec_lo, exec_lo, s23
.LBB268_660:                            ;   in Loop: Header=BB268_513 Depth=1
	s_or_b32 exec_lo, exec_lo, s22
.LBB268_661:                            ;   in Loop: Header=BB268_513 Depth=1
	s_or_b32 exec_lo, exec_lo, s19
	v_lshrrev_b32_e32 v1, 16, v9
	v_mov_b32_e32 v45, 0
	v_mov_b32_e32 v46, 0
	v_cmp_ne_u16_sdwa s1, v1, v2 src0_sel:BYTE_0 src1_sel:DWORD
	s_and_saveexec_b32 s19, s1
	s_cbranch_execz .LBB268_669
; %bb.662:                              ;   in Loop: Header=BB268_513 Depth=1
	v_cmp_ne_u16_sdwa s1, v1, v28 src0_sel:BYTE_0 src1_sel:DWORD
	v_mov_b32_e32 v46, 0x8000
	s_and_saveexec_b32 s22, s1
	s_cbranch_execz .LBB268_668
; %bb.663:                              ;   in Loop: Header=BB268_513 Depth=1
	v_bfe_u32 v48, v9, 16, 7
	v_mov_b32_e32 v46, 0x7c01
	s_mov_b32 s23, exec_lo
	v_cmpx_ne_u32_e32 0x7f, v48
	s_cbranch_execz .LBB268_667
; %bb.664:                              ;   in Loop: Header=BB268_513 Depth=1
	v_and_b32_e32 v46, 7, v1
	v_lshrrev_b32_e32 v47, 3, v48
	s_mov_b32 s24, exec_lo
	v_cmpx_gt_u32_e32 8, v48
; %bb.665:                              ;   in Loop: Header=BB268_513 Depth=1
	v_ffbh_u32_e32 v46, v46
	v_min_u32_e32 v48, 32, v46
	v_subrev_nc_u32_e32 v46, 28, v48
	v_lshlrev_b64 v[46:47], v46, v[1:2]
	v_sub_nc_u32_e32 v47, 29, v48
	v_and_b32_e32 v46, 7, v46
; %bb.666:                              ;   in Loop: Header=BB268_513 Depth=1
	s_or_b32 exec_lo, exec_lo, s24
	v_lshlrev_b32_e32 v1, 8, v1
	v_lshl_add_u32 v47, v47, 10, 0x2000
	v_lshlrev_b32_e32 v46, 7, v46
	v_and_b32_e32 v1, 0x8000, v1
	v_and_b32_e32 v47, 0xfc00, v47
	v_or3_b32 v46, v1, v47, v46
.LBB268_667:                            ;   in Loop: Header=BB268_513 Depth=1
	s_or_b32 exec_lo, exec_lo, s23
.LBB268_668:                            ;   in Loop: Header=BB268_513 Depth=1
	s_or_b32 exec_lo, exec_lo, s22
.LBB268_669:                            ;   in Loop: Header=BB268_513 Depth=1
	s_or_b32 exec_lo, exec_lo, s19
	s_mov_b32 s19, exec_lo
	v_cmpx_lt_u32_e32 0xffffff, v9
	s_cbranch_execz .LBB268_677
; %bb.670:                              ;   in Loop: Header=BB268_513 Depth=1
	v_lshrrev_b32_e32 v1, 24, v9
	v_bfrev_b32_e32 v45, 1
	s_mov_b32 s22, exec_lo
	v_cmpx_ne_u32_e32 0x80, v1
	s_cbranch_execz .LBB268_676
; %bb.671:                              ;   in Loop: Header=BB268_513 Depth=1
	v_and_b32_e32 v48, 0x7f, v1
	v_mov_b32_e32 v45, 0x7c010000
	s_mov_b32 s23, exec_lo
	v_cmpx_ne_u32_e32 0x7f, v48
	s_cbranch_execz .LBB268_675
; %bb.672:                              ;   in Loop: Header=BB268_513 Depth=1
	v_and_b32_e32 v45, 7, v1
	v_lshrrev_b32_e32 v47, 3, v48
	s_mov_b32 s24, exec_lo
	v_cmpx_gt_u32_e32 8, v48
; %bb.673:                              ;   in Loop: Header=BB268_513 Depth=1
	v_ffbh_u32_e32 v45, v45
	v_min_u32_e32 v45, 32, v45
	v_subrev_nc_u32_e32 v47, 28, v45
	v_lshlrev_b64 v[48:49], v47, v[1:2]
	v_sub_nc_u32_e32 v47, 29, v45
	v_and_b32_e32 v45, 7, v48
; %bb.674:                              ;   in Loop: Header=BB268_513 Depth=1
	s_or_b32 exec_lo, exec_lo, s24
	v_lshlrev_b32_e32 v1, 8, v1
	v_lshl_add_u32 v47, v47, 10, 0x2000
	v_lshlrev_b32_e32 v45, 23, v45
	v_and_or_b32 v1, 0x8000, v1, v47
	v_lshl_or_b32 v45, v1, 16, v45
.LBB268_675:                            ;   in Loop: Header=BB268_513 Depth=1
	s_or_b32 exec_lo, exec_lo, s23
.LBB268_676:                            ;   in Loop: Header=BB268_513 Depth=1
	s_or_b32 exec_lo, exec_lo, s22
.LBB268_677:                            ;   in Loop: Header=BB268_513 Depth=1
	s_or_b32 exec_lo, exec_lo, s19
	v_mov_b32_e32 v1, v10
	v_cmp_ne_u16_sdwa s1, v10, v2 src0_sel:BYTE_0 src1_sel:DWORD
	v_mov_b32_e32 v47, 0
	v_mov_b32_e32 v48, 0
	s_and_saveexec_b32 s19, s1
	s_cbranch_execz .LBB268_685
; %bb.678:                              ;   in Loop: Header=BB268_513 Depth=1
	v_cmp_ne_u16_sdwa s1, v10, v28 src0_sel:BYTE_0 src1_sel:DWORD
	v_mov_b32_e32 v48, 0x8000
	s_and_saveexec_b32 s22, s1
	s_cbranch_execz .LBB268_684
; %bb.679:                              ;   in Loop: Header=BB268_513 Depth=1
	v_and_b32_e32 v50, 0x7f, v10
	v_mov_b32_e32 v48, 0x7c01
	s_mov_b32 s23, exec_lo
	v_cmpx_ne_u32_e32 0x7f, v50
	s_cbranch_execz .LBB268_683
; %bb.680:                              ;   in Loop: Header=BB268_513 Depth=1
	v_and_b32_e32 v48, 7, v10
	v_lshrrev_b32_e32 v49, 3, v50
	s_mov_b32 s24, exec_lo
	v_cmpx_gt_u32_e32 8, v50
; %bb.681:                              ;   in Loop: Header=BB268_513 Depth=1
	v_ffbh_u32_e32 v48, v48
	v_min_u32_e32 v50, 32, v48
	v_subrev_nc_u32_e32 v48, 28, v50
	v_lshlrev_b64 v[48:49], v48, v[1:2]
	v_sub_nc_u32_e32 v49, 29, v50
	v_and_b32_e32 v48, 7, v48
; %bb.682:                              ;   in Loop: Header=BB268_513 Depth=1
	s_or_b32 exec_lo, exec_lo, s24
	v_lshlrev_b32_e32 v50, 8, v10
	v_lshl_add_u32 v49, v49, 10, 0x2000
	v_lshlrev_b32_e32 v48, 7, v48
	v_and_b32_e32 v50, 0x8000, v50
	v_and_b32_e32 v49, 0xfc00, v49
	v_or3_b32 v48, v50, v49, v48
.LBB268_683:                            ;   in Loop: Header=BB268_513 Depth=1
	s_or_b32 exec_lo, exec_lo, s23
.LBB268_684:                            ;   in Loop: Header=BB268_513 Depth=1
	s_or_b32 exec_lo, exec_lo, s22
.LBB268_685:                            ;   in Loop: Header=BB268_513 Depth=1
	s_or_b32 exec_lo, exec_lo, s19
	v_lshrrev_b16 v1, 8, v1
	v_mov_b32_e32 v49, 0
	s_mov_b32 s19, exec_lo
	v_cmpx_ne_u16_e32 0, v1
	s_cbranch_execz .LBB268_693
; %bb.686:                              ;   in Loop: Header=BB268_513 Depth=1
	v_bfrev_b32_e32 v49, 1
	s_mov_b32 s22, exec_lo
	v_cmpx_ne_u16_e32 0x80, v1
	s_cbranch_execz .LBB268_692
; %bb.687:                              ;   in Loop: Header=BB268_513 Depth=1
	v_and_b32_sdwa v51, v1, v29 dst_sel:DWORD dst_unused:UNUSED_PAD src0_sel:WORD_0 src1_sel:DWORD
	v_mov_b32_e32 v49, 0x7c010000
	s_mov_b32 s23, exec_lo
	v_cmpx_ne_u32_e32 0x7f, v51
	s_cbranch_execz .LBB268_691
; %bb.688:                              ;   in Loop: Header=BB268_513 Depth=1
	v_and_b32_sdwa v49, v1, v30 dst_sel:DWORD dst_unused:UNUSED_PAD src0_sel:WORD_0 src1_sel:DWORD
	v_lshrrev_b32_e32 v50, 3, v51
	s_mov_b32 s24, exec_lo
	v_cmpx_gt_u32_e32 8, v51
; %bb.689:                              ;   in Loop: Header=BB268_513 Depth=1
	v_ffbh_u32_e32 v49, v49
	v_min_u32_e32 v51, 32, v49
	v_subrev_nc_u32_e32 v49, 28, v51
	v_lshlrev_b64 v[49:50], v49, v[1:2]
	v_sub_nc_u32_e32 v50, 29, v51
	v_and_b32_e32 v49, 7, v49
; %bb.690:                              ;   in Loop: Header=BB268_513 Depth=1
	s_or_b32 exec_lo, exec_lo, s24
	v_lshlrev_b32_sdwa v1, v31, v1 dst_sel:DWORD dst_unused:UNUSED_PAD src0_sel:DWORD src1_sel:WORD_0
	v_lshl_add_u32 v50, v50, 10, 0x2000
	v_lshlrev_b32_e32 v49, 23, v49
	v_and_or_b32 v1, 0x8000, v1, v50
	v_lshl_or_b32 v49, v1, 16, v49
.LBB268_691:                            ;   in Loop: Header=BB268_513 Depth=1
	s_or_b32 exec_lo, exec_lo, s23
.LBB268_692:                            ;   in Loop: Header=BB268_513 Depth=1
	s_or_b32 exec_lo, exec_lo, s22
.LBB268_693:                            ;   in Loop: Header=BB268_513 Depth=1
	s_or_b32 exec_lo, exec_lo, s19
	v_lshrrev_b32_e32 v1, 16, v10
	v_cmp_ne_u16_sdwa s1, v1, v2 src0_sel:BYTE_0 src1_sel:DWORD
	s_and_saveexec_b32 s19, s1
	s_cbranch_execz .LBB268_701
; %bb.694:                              ;   in Loop: Header=BB268_513 Depth=1
	v_cmp_ne_u16_sdwa s1, v1, v28 src0_sel:BYTE_0 src1_sel:DWORD
	v_mov_b32_e32 v47, 0x8000
	s_and_saveexec_b32 s22, s1
	s_cbranch_execz .LBB268_700
; %bb.695:                              ;   in Loop: Header=BB268_513 Depth=1
	v_bfe_u32 v51, v10, 16, 7
	v_mov_b32_e32 v47, 0x7c01
	s_mov_b32 s23, exec_lo
	v_cmpx_ne_u32_e32 0x7f, v51
	s_cbranch_execz .LBB268_699
; %bb.696:                              ;   in Loop: Header=BB268_513 Depth=1
	v_and_b32_e32 v47, 7, v1
	v_lshrrev_b32_e32 v50, 3, v51
	s_mov_b32 s24, exec_lo
	v_cmpx_gt_u32_e32 8, v51
; %bb.697:                              ;   in Loop: Header=BB268_513 Depth=1
	v_ffbh_u32_e32 v47, v47
	v_min_u32_e32 v47, 32, v47
	v_subrev_nc_u32_e32 v50, 28, v47
	v_lshlrev_b64 v[51:52], v50, v[1:2]
	v_sub_nc_u32_e32 v50, 29, v47
	v_and_b32_e32 v47, 7, v51
; %bb.698:                              ;   in Loop: Header=BB268_513 Depth=1
	s_or_b32 exec_lo, exec_lo, s24
	v_lshlrev_b32_e32 v1, 8, v1
	v_lshl_add_u32 v50, v50, 10, 0x2000
	v_lshlrev_b32_e32 v47, 7, v47
	v_and_b32_e32 v1, 0x8000, v1
	v_and_b32_e32 v50, 0xfc00, v50
	v_or3_b32 v47, v1, v50, v47
.LBB268_699:                            ;   in Loop: Header=BB268_513 Depth=1
	s_or_b32 exec_lo, exec_lo, s23
.LBB268_700:                            ;   in Loop: Header=BB268_513 Depth=1
	s_or_b32 exec_lo, exec_lo, s22
.LBB268_701:                            ;   in Loop: Header=BB268_513 Depth=1
	s_or_b32 exec_lo, exec_lo, s19
	v_cmp_lt_u64_e64 s1, s[4:5], v[9:10]
	v_mov_b32_e32 v9, 0
	s_and_saveexec_b32 s19, s1
	s_cbranch_execz .LBB268_709
; %bb.702:                              ;   in Loop: Header=BB268_513 Depth=1
	v_lshrrev_b32_e32 v1, 24, v10
	v_bfrev_b32_e32 v9, 1
	s_mov_b32 s22, exec_lo
	v_cmpx_ne_u32_e32 0x80, v1
	s_cbranch_execz .LBB268_708
; %bb.703:                              ;   in Loop: Header=BB268_513 Depth=1
	v_and_b32_e32 v50, 0x7f, v1
	v_mov_b32_e32 v9, 0x7c010000
	s_mov_b32 s23, exec_lo
	v_cmpx_ne_u32_e32 0x7f, v50
	s_cbranch_execz .LBB268_707
; %bb.704:                              ;   in Loop: Header=BB268_513 Depth=1
	v_and_b32_e32 v9, 7, v1
	v_lshrrev_b32_e32 v10, 3, v50
	s_mov_b32 s24, exec_lo
	v_cmpx_gt_u32_e32 8, v50
; %bb.705:                              ;   in Loop: Header=BB268_513 Depth=1
	v_ffbh_u32_e32 v9, v9
	v_min_u32_e32 v50, 32, v9
	v_subrev_nc_u32_e32 v9, 28, v50
	v_lshlrev_b64 v[9:10], v9, v[1:2]
	v_sub_nc_u32_e32 v10, 29, v50
	v_and_b32_e32 v9, 7, v9
; %bb.706:                              ;   in Loop: Header=BB268_513 Depth=1
	s_or_b32 exec_lo, exec_lo, s24
	v_lshlrev_b32_e32 v1, 8, v1
	v_lshl_add_u32 v10, v10, 10, 0x2000
	v_lshlrev_b32_e32 v9, 23, v9
	v_and_or_b32 v1, 0x8000, v1, v10
	v_lshl_or_b32 v9, v1, 16, v9
.LBB268_707:                            ;   in Loop: Header=BB268_513 Depth=1
	s_or_b32 exec_lo, exec_lo, s23
.LBB268_708:                            ;   in Loop: Header=BB268_513 Depth=1
	s_or_b32 exec_lo, exec_lo, s22
.LBB268_709:                            ;   in Loop: Header=BB268_513 Depth=1
	s_or_b32 exec_lo, exec_lo, s19
	v_or_b32_e32 v1, v45, v46
	s_waitcnt vmcnt(0)
	v_fma_mixlo_f16 v10, v42, v45, 0 op_sel:[0,1,0] op_sel_hi:[0,1,0]
	v_or_b32_e32 v44, v43, v44
	v_fma_mixlo_f16 v43, v42, v43, 0 op_sel:[0,1,0] op_sel_hi:[0,1,0]
	v_or_b32_e32 v46, v49, v48
	v_or_b32_e32 v47, v9, v47
	v_fma_mixlo_f16 v48, v42, v1, 0 op_sel_hi:[0,1,0]
	v_lshlrev_b32_e32 v1, 16, v10
	v_lshlrev_b32_e32 v45, 16, v43
	v_fma_mixlo_f16 v10, v42, v44, 0 op_sel_hi:[0,1,0]
	v_fma_mixlo_f16 v43, v42, v49, 0 op_sel:[0,1,0] op_sel_hi:[0,1,0]
	v_fma_mixlo_f16 v46, v42, v46, 0 op_sel_hi:[0,1,0]
	v_fma_mixlo_f16 v9, v42, v9, 0 op_sel:[0,1,0] op_sel_hi:[0,1,0]
	v_fma_mixlo_f16 v42, v42, v47, 0 op_sel_hi:[0,1,0]
	v_and_b32_e32 v44, 0xffff, v48
	v_and_b32_e32 v49, 0xffff, v10
	v_lshlrev_b32_e32 v10, 16, v43
	v_and_b32_e32 v43, 0xffff, v46
	v_lshlrev_b32_e32 v9, 16, v9
	v_and_b32_e32 v42, 0xffff, v42
	v_or_b32_e32 v46, v1, v44
	v_or_b32_e32 v50, v45, v49
	;; [unrolled: 1-line block ×4, first 2 shown]
	s_and_saveexec_b32 s19, s0
	s_cbranch_execz .LBB268_711
; %bb.710:                              ;   in Loop: Header=BB268_513 Depth=1
	v_add_nc_u32_e32 v46, -6, v27
	v_cmp_gt_i32_e64 s1, s11, v33
	v_add_nc_u32_e32 v47, -5, v27
	v_cndmask_b32_e64 v48, 0, v49, s1
	v_cmp_gt_i32_e64 s1, s11, v46
	v_add_nc_u32_e32 v46, -4, v27
	v_add_nc_u32_e32 v49, -2, v27
	v_cndmask_b32_e64 v45, 0, v45, s1
	v_cmp_gt_i32_e64 s1, s11, v47
	v_add_nc_u32_e32 v47, -3, v27
	v_or_b32_e32 v50, v45, v48
	v_cndmask_b32_e64 v44, 0, v44, s1
	v_cmp_gt_i32_e64 s1, s11, v46
	v_add_nc_u32_e32 v46, -1, v27
	v_cndmask_b32_e64 v1, 0, v1, s1
	v_cmp_gt_i32_e64 s1, s11, v47
	v_cndmask_b32_e64 v43, 0, v43, s1
	v_cmp_gt_i32_e64 s1, s11, v49
	;; [unrolled: 2-line block ×3, first 2 shown]
	v_or_b32_e32 v46, v1, v44
	v_or_b32_e32 v48, v10, v43
	v_cndmask_b32_e64 v42, 0, v42, s1
	v_cmp_gt_i32_e64 s1, s11, v27
	v_cndmask_b32_e64 v9, 0, v9, s1
	v_or_b32_e32 v47, v9, v42
.LBB268_711:                            ;   in Loop: Header=BB268_513 Depth=1
	s_or_b32 exec_lo, exec_lo, s19
	;;#ASMSTART
	v_pk_mul_f16 v1, v39, v50;

	;;#ASMEND
	;;#ASMSTART
	v_pk_mul_f16 v9, v38, v46;

	;;#ASMEND
	;; [unrolled: 4-line block ×4, first 2 shown]
	;;#ASMSTART
	v_pk_add_f16 v1, v1, v9;

	;;#ASMEND
	;;#ASMSTART
	v_pk_add_f16 v1, v1, v10;

	;;#ASMEND
	;; [unrolled: 4-line block ×3, first 2 shown]
	v_and_b32_e32 v9, 0xffff, v1
	v_lshrrev_b32_e32 v1, 16, v1
	;;#ASMSTART
	v_cvt_f32_f16 v42, v9;
	;;#ASMEND
	;;#ASMSTART
	v_cvt_f32_f16 v43, v1;
	;;#ASMEND
	global_load_dwordx2 v[9:10], v[7:8], off offset:768
	v_mov_b32_e32 v45, 0
	v_mov_b32_e32 v46, 0
	global_load_dword v44, v45, s[14:15]
	s_waitcnt vmcnt(1)
	v_cmp_ne_u16_sdwa s1, v9, v2 src0_sel:BYTE_0 src1_sel:DWORD
	s_and_saveexec_b32 s19, s1
	s_cbranch_execz .LBB268_719
; %bb.712:                              ;   in Loop: Header=BB268_513 Depth=1
	v_cmp_ne_u16_sdwa s1, v9, v28 src0_sel:BYTE_0 src1_sel:DWORD
	v_mov_b32_e32 v46, 0x8000
	s_and_saveexec_b32 s22, s1
	s_cbranch_execz .LBB268_718
; %bb.713:                              ;   in Loop: Header=BB268_513 Depth=1
	v_and_b32_e32 v47, 0x7f, v9
	v_mov_b32_e32 v46, 0x7c01
	s_mov_b32 s23, exec_lo
	v_cmpx_ne_u32_e32 0x7f, v47
	s_cbranch_execz .LBB268_717
; %bb.714:                              ;   in Loop: Header=BB268_513 Depth=1
	v_and_b32_e32 v1, 7, v9
	v_lshrrev_b32_e32 v46, 3, v47
	s_mov_b32 s24, exec_lo
	v_cmpx_gt_u32_e32 8, v47
; %bb.715:                              ;   in Loop: Header=BB268_513 Depth=1
	v_ffbh_u32_e32 v1, v1
	v_min_u32_e32 v1, 32, v1
	v_subrev_nc_u32_e32 v46, 28, v1
	v_lshlrev_b64 v[47:48], v46, v[9:10]
	v_sub_nc_u32_e32 v46, 29, v1
	v_and_b32_e32 v1, 7, v47
; %bb.716:                              ;   in Loop: Header=BB268_513 Depth=1
	s_or_b32 exec_lo, exec_lo, s24
	v_lshlrev_b32_e32 v47, 8, v9
	v_lshl_add_u32 v46, v46, 10, 0x2000
	v_lshlrev_b32_e32 v1, 7, v1
	v_and_b32_e32 v47, 0x8000, v47
	v_and_b32_e32 v46, 0xfc00, v46
	v_or3_b32 v46, v47, v46, v1
.LBB268_717:                            ;   in Loop: Header=BB268_513 Depth=1
	s_or_b32 exec_lo, exec_lo, s23
.LBB268_718:                            ;   in Loop: Header=BB268_513 Depth=1
	s_or_b32 exec_lo, exec_lo, s22
.LBB268_719:                            ;   in Loop: Header=BB268_513 Depth=1
	s_or_b32 exec_lo, exec_lo, s19
	v_lshrrev_b16 v1, 8, v9
	s_mov_b32 s19, exec_lo
	v_cmpx_ne_u16_e32 0, v1
	s_cbranch_execz .LBB268_727
; %bb.720:                              ;   in Loop: Header=BB268_513 Depth=1
	v_bfrev_b32_e32 v45, 1
	s_mov_b32 s22, exec_lo
	v_cmpx_ne_u16_e32 0x80, v1
	s_cbranch_execz .LBB268_726
; %bb.721:                              ;   in Loop: Header=BB268_513 Depth=1
	v_and_b32_sdwa v48, v1, v29 dst_sel:DWORD dst_unused:UNUSED_PAD src0_sel:WORD_0 src1_sel:DWORD
	v_mov_b32_e32 v45, 0x7c010000
	s_mov_b32 s23, exec_lo
	v_cmpx_ne_u32_e32 0x7f, v48
	s_cbranch_execz .LBB268_725
; %bb.722:                              ;   in Loop: Header=BB268_513 Depth=1
	v_and_b32_sdwa v45, v1, v30 dst_sel:DWORD dst_unused:UNUSED_PAD src0_sel:WORD_0 src1_sel:DWORD
	v_lshrrev_b32_e32 v47, 3, v48
	s_mov_b32 s24, exec_lo
	v_cmpx_gt_u32_e32 8, v48
; %bb.723:                              ;   in Loop: Header=BB268_513 Depth=1
	v_ffbh_u32_e32 v45, v45
	v_min_u32_e32 v45, 32, v45
	v_subrev_nc_u32_e32 v47, 28, v45
	v_lshlrev_b64 v[48:49], v47, v[1:2]
	v_sub_nc_u32_e32 v47, 29, v45
	v_and_b32_e32 v45, 7, v48
; %bb.724:                              ;   in Loop: Header=BB268_513 Depth=1
	s_or_b32 exec_lo, exec_lo, s24
	v_lshlrev_b32_sdwa v1, v31, v1 dst_sel:DWORD dst_unused:UNUSED_PAD src0_sel:DWORD src1_sel:WORD_0
	v_lshl_add_u32 v47, v47, 10, 0x2000
	v_lshlrev_b32_e32 v45, 23, v45
	v_and_or_b32 v1, 0x8000, v1, v47
	v_lshl_or_b32 v45, v1, 16, v45
.LBB268_725:                            ;   in Loop: Header=BB268_513 Depth=1
	s_or_b32 exec_lo, exec_lo, s23
.LBB268_726:                            ;   in Loop: Header=BB268_513 Depth=1
	s_or_b32 exec_lo, exec_lo, s22
.LBB268_727:                            ;   in Loop: Header=BB268_513 Depth=1
	s_or_b32 exec_lo, exec_lo, s19
	v_lshrrev_b32_e32 v1, 16, v9
	v_mov_b32_e32 v47, 0
	v_mov_b32_e32 v48, 0
	v_cmp_ne_u16_sdwa s1, v1, v2 src0_sel:BYTE_0 src1_sel:DWORD
	s_and_saveexec_b32 s19, s1
	s_cbranch_execz .LBB268_735
; %bb.728:                              ;   in Loop: Header=BB268_513 Depth=1
	v_cmp_ne_u16_sdwa s1, v1, v28 src0_sel:BYTE_0 src1_sel:DWORD
	v_mov_b32_e32 v48, 0x8000
	s_and_saveexec_b32 s22, s1
	s_cbranch_execz .LBB268_734
; %bb.729:                              ;   in Loop: Header=BB268_513 Depth=1
	v_bfe_u32 v50, v9, 16, 7
	v_mov_b32_e32 v48, 0x7c01
	s_mov_b32 s23, exec_lo
	v_cmpx_ne_u32_e32 0x7f, v50
	s_cbranch_execz .LBB268_733
; %bb.730:                              ;   in Loop: Header=BB268_513 Depth=1
	v_and_b32_e32 v48, 7, v1
	v_lshrrev_b32_e32 v49, 3, v50
	s_mov_b32 s24, exec_lo
	v_cmpx_gt_u32_e32 8, v50
; %bb.731:                              ;   in Loop: Header=BB268_513 Depth=1
	v_ffbh_u32_e32 v48, v48
	v_min_u32_e32 v50, 32, v48
	v_subrev_nc_u32_e32 v48, 28, v50
	v_lshlrev_b64 v[48:49], v48, v[1:2]
	v_sub_nc_u32_e32 v49, 29, v50
	v_and_b32_e32 v48, 7, v48
; %bb.732:                              ;   in Loop: Header=BB268_513 Depth=1
	s_or_b32 exec_lo, exec_lo, s24
	v_lshlrev_b32_e32 v1, 8, v1
	v_lshl_add_u32 v49, v49, 10, 0x2000
	v_lshlrev_b32_e32 v48, 7, v48
	v_and_b32_e32 v1, 0x8000, v1
	v_and_b32_e32 v49, 0xfc00, v49
	v_or3_b32 v48, v1, v49, v48
.LBB268_733:                            ;   in Loop: Header=BB268_513 Depth=1
	s_or_b32 exec_lo, exec_lo, s23
.LBB268_734:                            ;   in Loop: Header=BB268_513 Depth=1
	s_or_b32 exec_lo, exec_lo, s22
.LBB268_735:                            ;   in Loop: Header=BB268_513 Depth=1
	s_or_b32 exec_lo, exec_lo, s19
	s_mov_b32 s19, exec_lo
	v_cmpx_lt_u32_e32 0xffffff, v9
	s_cbranch_execz .LBB268_743
; %bb.736:                              ;   in Loop: Header=BB268_513 Depth=1
	v_lshrrev_b32_e32 v1, 24, v9
	v_bfrev_b32_e32 v47, 1
	s_mov_b32 s22, exec_lo
	v_cmpx_ne_u32_e32 0x80, v1
	s_cbranch_execz .LBB268_742
; %bb.737:                              ;   in Loop: Header=BB268_513 Depth=1
	v_and_b32_e32 v50, 0x7f, v1
	v_mov_b32_e32 v47, 0x7c010000
	s_mov_b32 s23, exec_lo
	v_cmpx_ne_u32_e32 0x7f, v50
	s_cbranch_execz .LBB268_741
; %bb.738:                              ;   in Loop: Header=BB268_513 Depth=1
	v_and_b32_e32 v47, 7, v1
	v_lshrrev_b32_e32 v49, 3, v50
	s_mov_b32 s24, exec_lo
	v_cmpx_gt_u32_e32 8, v50
; %bb.739:                              ;   in Loop: Header=BB268_513 Depth=1
	v_ffbh_u32_e32 v47, v47
	v_min_u32_e32 v47, 32, v47
	v_subrev_nc_u32_e32 v49, 28, v47
	v_lshlrev_b64 v[50:51], v49, v[1:2]
	v_sub_nc_u32_e32 v49, 29, v47
	v_and_b32_e32 v47, 7, v50
; %bb.740:                              ;   in Loop: Header=BB268_513 Depth=1
	s_or_b32 exec_lo, exec_lo, s24
	v_lshlrev_b32_e32 v1, 8, v1
	v_lshl_add_u32 v49, v49, 10, 0x2000
	v_lshlrev_b32_e32 v47, 23, v47
	v_and_or_b32 v1, 0x8000, v1, v49
	v_lshl_or_b32 v47, v1, 16, v47
.LBB268_741:                            ;   in Loop: Header=BB268_513 Depth=1
	s_or_b32 exec_lo, exec_lo, s23
.LBB268_742:                            ;   in Loop: Header=BB268_513 Depth=1
	s_or_b32 exec_lo, exec_lo, s22
.LBB268_743:                            ;   in Loop: Header=BB268_513 Depth=1
	s_or_b32 exec_lo, exec_lo, s19
	v_mov_b32_e32 v1, v10
	v_cmp_ne_u16_sdwa s1, v10, v2 src0_sel:BYTE_0 src1_sel:DWORD
	v_mov_b32_e32 v49, 0
	v_mov_b32_e32 v50, 0
	s_and_saveexec_b32 s19, s1
	s_cbranch_execz .LBB268_751
; %bb.744:                              ;   in Loop: Header=BB268_513 Depth=1
	v_cmp_ne_u16_sdwa s1, v10, v28 src0_sel:BYTE_0 src1_sel:DWORD
	v_mov_b32_e32 v50, 0x8000
	s_and_saveexec_b32 s22, s1
	s_cbranch_execz .LBB268_750
; %bb.745:                              ;   in Loop: Header=BB268_513 Depth=1
	v_and_b32_e32 v52, 0x7f, v10
	v_mov_b32_e32 v50, 0x7c01
	s_mov_b32 s23, exec_lo
	v_cmpx_ne_u32_e32 0x7f, v52
	s_cbranch_execz .LBB268_749
; %bb.746:                              ;   in Loop: Header=BB268_513 Depth=1
	v_and_b32_e32 v50, 7, v10
	v_lshrrev_b32_e32 v51, 3, v52
	s_mov_b32 s24, exec_lo
	v_cmpx_gt_u32_e32 8, v52
; %bb.747:                              ;   in Loop: Header=BB268_513 Depth=1
	v_ffbh_u32_e32 v50, v50
	v_min_u32_e32 v52, 32, v50
	v_subrev_nc_u32_e32 v50, 28, v52
	v_lshlrev_b64 v[50:51], v50, v[1:2]
	v_sub_nc_u32_e32 v51, 29, v52
	v_and_b32_e32 v50, 7, v50
; %bb.748:                              ;   in Loop: Header=BB268_513 Depth=1
	s_or_b32 exec_lo, exec_lo, s24
	v_lshlrev_b32_e32 v52, 8, v10
	v_lshl_add_u32 v51, v51, 10, 0x2000
	v_lshlrev_b32_e32 v50, 7, v50
	v_and_b32_e32 v52, 0x8000, v52
	v_and_b32_e32 v51, 0xfc00, v51
	v_or3_b32 v50, v52, v51, v50
.LBB268_749:                            ;   in Loop: Header=BB268_513 Depth=1
	s_or_b32 exec_lo, exec_lo, s23
.LBB268_750:                            ;   in Loop: Header=BB268_513 Depth=1
	s_or_b32 exec_lo, exec_lo, s22
.LBB268_751:                            ;   in Loop: Header=BB268_513 Depth=1
	s_or_b32 exec_lo, exec_lo, s19
	v_lshrrev_b16 v1, 8, v1
	v_mov_b32_e32 v51, 0
	s_mov_b32 s19, exec_lo
	v_cmpx_ne_u16_e32 0, v1
	s_cbranch_execz .LBB268_759
; %bb.752:                              ;   in Loop: Header=BB268_513 Depth=1
	v_bfrev_b32_e32 v51, 1
	s_mov_b32 s22, exec_lo
	v_cmpx_ne_u16_e32 0x80, v1
	s_cbranch_execz .LBB268_758
; %bb.753:                              ;   in Loop: Header=BB268_513 Depth=1
	v_and_b32_sdwa v53, v1, v29 dst_sel:DWORD dst_unused:UNUSED_PAD src0_sel:WORD_0 src1_sel:DWORD
	v_mov_b32_e32 v51, 0x7c010000
	s_mov_b32 s23, exec_lo
	v_cmpx_ne_u32_e32 0x7f, v53
	s_cbranch_execz .LBB268_757
; %bb.754:                              ;   in Loop: Header=BB268_513 Depth=1
	v_and_b32_sdwa v51, v1, v30 dst_sel:DWORD dst_unused:UNUSED_PAD src0_sel:WORD_0 src1_sel:DWORD
	v_lshrrev_b32_e32 v52, 3, v53
	s_mov_b32 s24, exec_lo
	v_cmpx_gt_u32_e32 8, v53
; %bb.755:                              ;   in Loop: Header=BB268_513 Depth=1
	v_ffbh_u32_e32 v51, v51
	v_min_u32_e32 v53, 32, v51
	v_subrev_nc_u32_e32 v51, 28, v53
	v_lshlrev_b64 v[51:52], v51, v[1:2]
	v_sub_nc_u32_e32 v52, 29, v53
	v_and_b32_e32 v51, 7, v51
; %bb.756:                              ;   in Loop: Header=BB268_513 Depth=1
	s_or_b32 exec_lo, exec_lo, s24
	v_lshlrev_b32_sdwa v1, v31, v1 dst_sel:DWORD dst_unused:UNUSED_PAD src0_sel:DWORD src1_sel:WORD_0
	v_lshl_add_u32 v52, v52, 10, 0x2000
	v_lshlrev_b32_e32 v51, 23, v51
	v_and_or_b32 v1, 0x8000, v1, v52
	v_lshl_or_b32 v51, v1, 16, v51
.LBB268_757:                            ;   in Loop: Header=BB268_513 Depth=1
	s_or_b32 exec_lo, exec_lo, s23
.LBB268_758:                            ;   in Loop: Header=BB268_513 Depth=1
	s_or_b32 exec_lo, exec_lo, s22
.LBB268_759:                            ;   in Loop: Header=BB268_513 Depth=1
	s_or_b32 exec_lo, exec_lo, s19
	v_lshrrev_b32_e32 v1, 16, v10
	v_cmp_ne_u16_sdwa s1, v1, v2 src0_sel:BYTE_0 src1_sel:DWORD
	s_and_saveexec_b32 s19, s1
	s_cbranch_execz .LBB268_767
; %bb.760:                              ;   in Loop: Header=BB268_513 Depth=1
	v_cmp_ne_u16_sdwa s1, v1, v28 src0_sel:BYTE_0 src1_sel:DWORD
	v_mov_b32_e32 v49, 0x8000
	s_and_saveexec_b32 s22, s1
	s_cbranch_execz .LBB268_766
; %bb.761:                              ;   in Loop: Header=BB268_513 Depth=1
	v_bfe_u32 v53, v10, 16, 7
	v_mov_b32_e32 v49, 0x7c01
	s_mov_b32 s23, exec_lo
	v_cmpx_ne_u32_e32 0x7f, v53
	s_cbranch_execz .LBB268_765
; %bb.762:                              ;   in Loop: Header=BB268_513 Depth=1
	v_and_b32_e32 v49, 7, v1
	v_lshrrev_b32_e32 v52, 3, v53
	s_mov_b32 s24, exec_lo
	v_cmpx_gt_u32_e32 8, v53
; %bb.763:                              ;   in Loop: Header=BB268_513 Depth=1
	v_ffbh_u32_e32 v49, v49
	v_min_u32_e32 v49, 32, v49
	v_subrev_nc_u32_e32 v52, 28, v49
	v_lshlrev_b64 v[53:54], v52, v[1:2]
	v_sub_nc_u32_e32 v52, 29, v49
	v_and_b32_e32 v49, 7, v53
; %bb.764:                              ;   in Loop: Header=BB268_513 Depth=1
	s_or_b32 exec_lo, exec_lo, s24
	v_lshlrev_b32_e32 v1, 8, v1
	v_lshl_add_u32 v52, v52, 10, 0x2000
	v_lshlrev_b32_e32 v49, 7, v49
	v_and_b32_e32 v1, 0x8000, v1
	v_and_b32_e32 v52, 0xfc00, v52
	v_or3_b32 v49, v1, v52, v49
.LBB268_765:                            ;   in Loop: Header=BB268_513 Depth=1
	s_or_b32 exec_lo, exec_lo, s23
.LBB268_766:                            ;   in Loop: Header=BB268_513 Depth=1
	s_or_b32 exec_lo, exec_lo, s22
.LBB268_767:                            ;   in Loop: Header=BB268_513 Depth=1
	s_or_b32 exec_lo, exec_lo, s19
	v_cmp_lt_u64_e64 s1, s[4:5], v[9:10]
	v_mov_b32_e32 v9, 0
	s_and_saveexec_b32 s19, s1
	s_cbranch_execz .LBB268_775
; %bb.768:                              ;   in Loop: Header=BB268_513 Depth=1
	v_lshrrev_b32_e32 v1, 24, v10
	v_bfrev_b32_e32 v9, 1
	s_mov_b32 s22, exec_lo
	v_cmpx_ne_u32_e32 0x80, v1
	s_cbranch_execz .LBB268_774
; %bb.769:                              ;   in Loop: Header=BB268_513 Depth=1
	v_and_b32_e32 v52, 0x7f, v1
	v_mov_b32_e32 v9, 0x7c010000
	s_mov_b32 s23, exec_lo
	v_cmpx_ne_u32_e32 0x7f, v52
	s_cbranch_execz .LBB268_773
; %bb.770:                              ;   in Loop: Header=BB268_513 Depth=1
	v_and_b32_e32 v9, 7, v1
	v_lshrrev_b32_e32 v10, 3, v52
	s_mov_b32 s24, exec_lo
	v_cmpx_gt_u32_e32 8, v52
; %bb.771:                              ;   in Loop: Header=BB268_513 Depth=1
	v_ffbh_u32_e32 v9, v9
	v_min_u32_e32 v52, 32, v9
	v_subrev_nc_u32_e32 v9, 28, v52
	v_lshlrev_b64 v[9:10], v9, v[1:2]
	v_sub_nc_u32_e32 v10, 29, v52
	v_and_b32_e32 v9, 7, v9
; %bb.772:                              ;   in Loop: Header=BB268_513 Depth=1
	s_or_b32 exec_lo, exec_lo, s24
	v_lshlrev_b32_e32 v1, 8, v1
	v_lshl_add_u32 v10, v10, 10, 0x2000
	v_lshlrev_b32_e32 v9, 23, v9
	v_and_or_b32 v1, 0x8000, v1, v10
	v_lshl_or_b32 v9, v1, 16, v9
.LBB268_773:                            ;   in Loop: Header=BB268_513 Depth=1
	s_or_b32 exec_lo, exec_lo, s23
.LBB268_774:                            ;   in Loop: Header=BB268_513 Depth=1
	s_or_b32 exec_lo, exec_lo, s22
.LBB268_775:                            ;   in Loop: Header=BB268_513 Depth=1
	s_or_b32 exec_lo, exec_lo, s19
	v_or_b32_e32 v1, v47, v48
	s_waitcnt vmcnt(0)
	v_fma_mixlo_f16 v10, v44, v47, 0 op_sel:[0,1,0] op_sel_hi:[0,1,0]
	v_or_b32_e32 v46, v45, v46
	v_fma_mixlo_f16 v45, v44, v45, 0 op_sel:[0,1,0] op_sel_hi:[0,1,0]
	v_or_b32_e32 v48, v51, v50
	v_or_b32_e32 v49, v9, v49
	v_fma_mixlo_f16 v50, v44, v1, 0 op_sel_hi:[0,1,0]
	v_lshlrev_b32_e32 v1, 16, v10
	v_lshlrev_b32_e32 v47, 16, v45
	v_fma_mixlo_f16 v10, v44, v46, 0 op_sel_hi:[0,1,0]
	v_fma_mixlo_f16 v45, v44, v51, 0 op_sel:[0,1,0] op_sel_hi:[0,1,0]
	v_fma_mixlo_f16 v48, v44, v48, 0 op_sel_hi:[0,1,0]
	v_fma_mixlo_f16 v9, v44, v9, 0 op_sel:[0,1,0] op_sel_hi:[0,1,0]
	v_fma_mixlo_f16 v44, v44, v49, 0 op_sel_hi:[0,1,0]
	v_and_b32_e32 v46, 0xffff, v50
	v_and_b32_e32 v51, 0xffff, v10
	v_lshlrev_b32_e32 v10, 16, v45
	v_and_b32_e32 v45, 0xffff, v48
	v_lshlrev_b32_e32 v9, 16, v9
	v_and_b32_e32 v44, 0xffff, v44
	v_or_b32_e32 v48, v1, v46
	v_or_b32_e32 v52, v47, v51
	;; [unrolled: 1-line block ×4, first 2 shown]
	s_and_saveexec_b32 s19, s0
	s_cbranch_execz .LBB268_777
; %bb.776:                              ;   in Loop: Header=BB268_513 Depth=1
	v_add_nc_u32_e32 v48, -6, v27
	v_cmp_gt_i32_e64 s1, s11, v33
	v_add_nc_u32_e32 v49, -5, v27
	v_cndmask_b32_e64 v50, 0, v51, s1
	v_cmp_gt_i32_e64 s1, s11, v48
	v_add_nc_u32_e32 v48, -4, v27
	v_add_nc_u32_e32 v51, -2, v27
	v_cndmask_b32_e64 v47, 0, v47, s1
	v_cmp_gt_i32_e64 s1, s11, v49
	v_add_nc_u32_e32 v49, -3, v27
	v_or_b32_e32 v52, v47, v50
	v_cndmask_b32_e64 v46, 0, v46, s1
	v_cmp_gt_i32_e64 s1, s11, v48
	v_add_nc_u32_e32 v48, -1, v27
	v_cndmask_b32_e64 v1, 0, v1, s1
	v_cmp_gt_i32_e64 s1, s11, v49
	v_cndmask_b32_e64 v45, 0, v45, s1
	v_cmp_gt_i32_e64 s1, s11, v51
	;; [unrolled: 2-line block ×3, first 2 shown]
	v_or_b32_e32 v48, v1, v46
	v_or_b32_e32 v50, v10, v45
	v_cndmask_b32_e64 v44, 0, v44, s1
	v_cmp_gt_i32_e64 s1, s11, v27
	v_cndmask_b32_e64 v9, 0, v9, s1
	v_or_b32_e32 v49, v9, v44
.LBB268_777:                            ;   in Loop: Header=BB268_513 Depth=1
	s_or_b32 exec_lo, exec_lo, s19
	;;#ASMSTART
	v_pk_mul_f16 v1, v39, v52;

	;;#ASMEND
	;;#ASMSTART
	v_pk_mul_f16 v9, v38, v48;

	;;#ASMEND
	;; [unrolled: 4-line block ×4, first 2 shown]
	;;#ASMSTART
	v_pk_add_f16 v1, v1, v9;

	;;#ASMEND
	;;#ASMSTART
	v_pk_add_f16 v1, v1, v10;

	;;#ASMEND
	;; [unrolled: 4-line block ×3, first 2 shown]
	v_and_b32_e32 v9, 0xffff, v1
	v_lshrrev_b32_e32 v1, 16, v1
	;;#ASMSTART
	v_cvt_f32_f16 v44, v9;
	;;#ASMEND
	;;#ASMSTART
	v_cvt_f32_f16 v45, v1;
	;;#ASMEND
	global_load_dwordx2 v[9:10], v[7:8], off offset:1024
	v_mov_b32_e32 v47, 0
	v_mov_b32_e32 v48, 0
	global_load_dword v46, v47, s[14:15]
	s_waitcnt vmcnt(1)
	v_cmp_ne_u16_sdwa s1, v9, v2 src0_sel:BYTE_0 src1_sel:DWORD
	s_and_saveexec_b32 s19, s1
	s_cbranch_execz .LBB268_785
; %bb.778:                              ;   in Loop: Header=BB268_513 Depth=1
	v_cmp_ne_u16_sdwa s1, v9, v28 src0_sel:BYTE_0 src1_sel:DWORD
	v_mov_b32_e32 v48, 0x8000
	s_and_saveexec_b32 s22, s1
	s_cbranch_execz .LBB268_784
; %bb.779:                              ;   in Loop: Header=BB268_513 Depth=1
	v_and_b32_e32 v49, 0x7f, v9
	v_mov_b32_e32 v48, 0x7c01
	s_mov_b32 s23, exec_lo
	v_cmpx_ne_u32_e32 0x7f, v49
	s_cbranch_execz .LBB268_783
; %bb.780:                              ;   in Loop: Header=BB268_513 Depth=1
	v_and_b32_e32 v1, 7, v9
	v_lshrrev_b32_e32 v48, 3, v49
	s_mov_b32 s24, exec_lo
	v_cmpx_gt_u32_e32 8, v49
; %bb.781:                              ;   in Loop: Header=BB268_513 Depth=1
	v_ffbh_u32_e32 v1, v1
	v_min_u32_e32 v1, 32, v1
	v_subrev_nc_u32_e32 v48, 28, v1
	v_lshlrev_b64 v[49:50], v48, v[9:10]
	v_sub_nc_u32_e32 v48, 29, v1
	v_and_b32_e32 v1, 7, v49
; %bb.782:                              ;   in Loop: Header=BB268_513 Depth=1
	s_or_b32 exec_lo, exec_lo, s24
	v_lshlrev_b32_e32 v49, 8, v9
	v_lshl_add_u32 v48, v48, 10, 0x2000
	v_lshlrev_b32_e32 v1, 7, v1
	v_and_b32_e32 v49, 0x8000, v49
	v_and_b32_e32 v48, 0xfc00, v48
	v_or3_b32 v48, v49, v48, v1
.LBB268_783:                            ;   in Loop: Header=BB268_513 Depth=1
	s_or_b32 exec_lo, exec_lo, s23
.LBB268_784:                            ;   in Loop: Header=BB268_513 Depth=1
	s_or_b32 exec_lo, exec_lo, s22
.LBB268_785:                            ;   in Loop: Header=BB268_513 Depth=1
	s_or_b32 exec_lo, exec_lo, s19
	v_lshrrev_b16 v1, 8, v9
	s_mov_b32 s19, exec_lo
	v_cmpx_ne_u16_e32 0, v1
	s_cbranch_execz .LBB268_793
; %bb.786:                              ;   in Loop: Header=BB268_513 Depth=1
	v_bfrev_b32_e32 v47, 1
	s_mov_b32 s22, exec_lo
	v_cmpx_ne_u16_e32 0x80, v1
	s_cbranch_execz .LBB268_792
; %bb.787:                              ;   in Loop: Header=BB268_513 Depth=1
	v_and_b32_sdwa v50, v1, v29 dst_sel:DWORD dst_unused:UNUSED_PAD src0_sel:WORD_0 src1_sel:DWORD
	v_mov_b32_e32 v47, 0x7c010000
	s_mov_b32 s23, exec_lo
	v_cmpx_ne_u32_e32 0x7f, v50
	s_cbranch_execz .LBB268_791
; %bb.788:                              ;   in Loop: Header=BB268_513 Depth=1
	v_and_b32_sdwa v47, v1, v30 dst_sel:DWORD dst_unused:UNUSED_PAD src0_sel:WORD_0 src1_sel:DWORD
	v_lshrrev_b32_e32 v49, 3, v50
	s_mov_b32 s24, exec_lo
	v_cmpx_gt_u32_e32 8, v50
; %bb.789:                              ;   in Loop: Header=BB268_513 Depth=1
	v_ffbh_u32_e32 v47, v47
	v_min_u32_e32 v47, 32, v47
	v_subrev_nc_u32_e32 v49, 28, v47
	v_lshlrev_b64 v[50:51], v49, v[1:2]
	v_sub_nc_u32_e32 v49, 29, v47
	v_and_b32_e32 v47, 7, v50
; %bb.790:                              ;   in Loop: Header=BB268_513 Depth=1
	s_or_b32 exec_lo, exec_lo, s24
	v_lshlrev_b32_sdwa v1, v31, v1 dst_sel:DWORD dst_unused:UNUSED_PAD src0_sel:DWORD src1_sel:WORD_0
	v_lshl_add_u32 v49, v49, 10, 0x2000
	v_lshlrev_b32_e32 v47, 23, v47
	v_and_or_b32 v1, 0x8000, v1, v49
	v_lshl_or_b32 v47, v1, 16, v47
.LBB268_791:                            ;   in Loop: Header=BB268_513 Depth=1
	s_or_b32 exec_lo, exec_lo, s23
.LBB268_792:                            ;   in Loop: Header=BB268_513 Depth=1
	s_or_b32 exec_lo, exec_lo, s22
.LBB268_793:                            ;   in Loop: Header=BB268_513 Depth=1
	s_or_b32 exec_lo, exec_lo, s19
	v_lshrrev_b32_e32 v1, 16, v9
	v_mov_b32_e32 v49, 0
	v_mov_b32_e32 v50, 0
	v_cmp_ne_u16_sdwa s1, v1, v2 src0_sel:BYTE_0 src1_sel:DWORD
	s_and_saveexec_b32 s19, s1
	s_cbranch_execz .LBB268_801
; %bb.794:                              ;   in Loop: Header=BB268_513 Depth=1
	v_cmp_ne_u16_sdwa s1, v1, v28 src0_sel:BYTE_0 src1_sel:DWORD
	v_mov_b32_e32 v50, 0x8000
	s_and_saveexec_b32 s22, s1
	s_cbranch_execz .LBB268_800
; %bb.795:                              ;   in Loop: Header=BB268_513 Depth=1
	v_bfe_u32 v52, v9, 16, 7
	v_mov_b32_e32 v50, 0x7c01
	s_mov_b32 s23, exec_lo
	v_cmpx_ne_u32_e32 0x7f, v52
	s_cbranch_execz .LBB268_799
; %bb.796:                              ;   in Loop: Header=BB268_513 Depth=1
	v_and_b32_e32 v50, 7, v1
	v_lshrrev_b32_e32 v51, 3, v52
	s_mov_b32 s24, exec_lo
	v_cmpx_gt_u32_e32 8, v52
; %bb.797:                              ;   in Loop: Header=BB268_513 Depth=1
	v_ffbh_u32_e32 v50, v50
	v_min_u32_e32 v52, 32, v50
	v_subrev_nc_u32_e32 v50, 28, v52
	v_lshlrev_b64 v[50:51], v50, v[1:2]
	v_sub_nc_u32_e32 v51, 29, v52
	v_and_b32_e32 v50, 7, v50
; %bb.798:                              ;   in Loop: Header=BB268_513 Depth=1
	s_or_b32 exec_lo, exec_lo, s24
	v_lshlrev_b32_e32 v1, 8, v1
	v_lshl_add_u32 v51, v51, 10, 0x2000
	v_lshlrev_b32_e32 v50, 7, v50
	v_and_b32_e32 v1, 0x8000, v1
	v_and_b32_e32 v51, 0xfc00, v51
	v_or3_b32 v50, v1, v51, v50
.LBB268_799:                            ;   in Loop: Header=BB268_513 Depth=1
	s_or_b32 exec_lo, exec_lo, s23
.LBB268_800:                            ;   in Loop: Header=BB268_513 Depth=1
	s_or_b32 exec_lo, exec_lo, s22
.LBB268_801:                            ;   in Loop: Header=BB268_513 Depth=1
	s_or_b32 exec_lo, exec_lo, s19
	s_mov_b32 s19, exec_lo
	v_cmpx_lt_u32_e32 0xffffff, v9
	s_cbranch_execz .LBB268_809
; %bb.802:                              ;   in Loop: Header=BB268_513 Depth=1
	v_lshrrev_b32_e32 v1, 24, v9
	v_bfrev_b32_e32 v49, 1
	s_mov_b32 s22, exec_lo
	v_cmpx_ne_u32_e32 0x80, v1
	s_cbranch_execz .LBB268_808
; %bb.803:                              ;   in Loop: Header=BB268_513 Depth=1
	v_and_b32_e32 v52, 0x7f, v1
	v_mov_b32_e32 v49, 0x7c010000
	s_mov_b32 s23, exec_lo
	v_cmpx_ne_u32_e32 0x7f, v52
	s_cbranch_execz .LBB268_807
; %bb.804:                              ;   in Loop: Header=BB268_513 Depth=1
	v_and_b32_e32 v49, 7, v1
	v_lshrrev_b32_e32 v51, 3, v52
	s_mov_b32 s24, exec_lo
	v_cmpx_gt_u32_e32 8, v52
; %bb.805:                              ;   in Loop: Header=BB268_513 Depth=1
	v_ffbh_u32_e32 v49, v49
	v_min_u32_e32 v49, 32, v49
	v_subrev_nc_u32_e32 v51, 28, v49
	v_lshlrev_b64 v[52:53], v51, v[1:2]
	v_sub_nc_u32_e32 v51, 29, v49
	v_and_b32_e32 v49, 7, v52
; %bb.806:                              ;   in Loop: Header=BB268_513 Depth=1
	s_or_b32 exec_lo, exec_lo, s24
	v_lshlrev_b32_e32 v1, 8, v1
	v_lshl_add_u32 v51, v51, 10, 0x2000
	v_lshlrev_b32_e32 v49, 23, v49
	v_and_or_b32 v1, 0x8000, v1, v51
	v_lshl_or_b32 v49, v1, 16, v49
.LBB268_807:                            ;   in Loop: Header=BB268_513 Depth=1
	s_or_b32 exec_lo, exec_lo, s23
.LBB268_808:                            ;   in Loop: Header=BB268_513 Depth=1
	s_or_b32 exec_lo, exec_lo, s22
.LBB268_809:                            ;   in Loop: Header=BB268_513 Depth=1
	s_or_b32 exec_lo, exec_lo, s19
	v_mov_b32_e32 v1, v10
	v_cmp_ne_u16_sdwa s1, v10, v2 src0_sel:BYTE_0 src1_sel:DWORD
	v_mov_b32_e32 v51, 0
	v_mov_b32_e32 v52, 0
	s_and_saveexec_b32 s19, s1
	s_cbranch_execz .LBB268_817
; %bb.810:                              ;   in Loop: Header=BB268_513 Depth=1
	v_cmp_ne_u16_sdwa s1, v10, v28 src0_sel:BYTE_0 src1_sel:DWORD
	v_mov_b32_e32 v52, 0x8000
	s_and_saveexec_b32 s22, s1
	s_cbranch_execz .LBB268_816
; %bb.811:                              ;   in Loop: Header=BB268_513 Depth=1
	v_and_b32_e32 v54, 0x7f, v10
	v_mov_b32_e32 v52, 0x7c01
	s_mov_b32 s23, exec_lo
	v_cmpx_ne_u32_e32 0x7f, v54
	s_cbranch_execz .LBB268_815
; %bb.812:                              ;   in Loop: Header=BB268_513 Depth=1
	v_and_b32_e32 v52, 7, v10
	v_lshrrev_b32_e32 v53, 3, v54
	s_mov_b32 s24, exec_lo
	v_cmpx_gt_u32_e32 8, v54
; %bb.813:                              ;   in Loop: Header=BB268_513 Depth=1
	v_ffbh_u32_e32 v52, v52
	v_min_u32_e32 v54, 32, v52
	v_subrev_nc_u32_e32 v52, 28, v54
	v_lshlrev_b64 v[52:53], v52, v[1:2]
	v_sub_nc_u32_e32 v53, 29, v54
	v_and_b32_e32 v52, 7, v52
; %bb.814:                              ;   in Loop: Header=BB268_513 Depth=1
	s_or_b32 exec_lo, exec_lo, s24
	v_lshlrev_b32_e32 v54, 8, v10
	v_lshl_add_u32 v53, v53, 10, 0x2000
	v_lshlrev_b32_e32 v52, 7, v52
	v_and_b32_e32 v54, 0x8000, v54
	v_and_b32_e32 v53, 0xfc00, v53
	v_or3_b32 v52, v54, v53, v52
.LBB268_815:                            ;   in Loop: Header=BB268_513 Depth=1
	s_or_b32 exec_lo, exec_lo, s23
.LBB268_816:                            ;   in Loop: Header=BB268_513 Depth=1
	s_or_b32 exec_lo, exec_lo, s22
.LBB268_817:                            ;   in Loop: Header=BB268_513 Depth=1
	s_or_b32 exec_lo, exec_lo, s19
	v_lshrrev_b16 v1, 8, v1
	v_mov_b32_e32 v53, 0
	s_mov_b32 s19, exec_lo
	v_cmpx_ne_u16_e32 0, v1
	s_cbranch_execz .LBB268_825
; %bb.818:                              ;   in Loop: Header=BB268_513 Depth=1
	v_bfrev_b32_e32 v53, 1
	s_mov_b32 s22, exec_lo
	v_cmpx_ne_u16_e32 0x80, v1
	s_cbranch_execz .LBB268_824
; %bb.819:                              ;   in Loop: Header=BB268_513 Depth=1
	v_and_b32_sdwa v55, v1, v29 dst_sel:DWORD dst_unused:UNUSED_PAD src0_sel:WORD_0 src1_sel:DWORD
	v_mov_b32_e32 v53, 0x7c010000
	s_mov_b32 s23, exec_lo
	v_cmpx_ne_u32_e32 0x7f, v55
	s_cbranch_execz .LBB268_823
; %bb.820:                              ;   in Loop: Header=BB268_513 Depth=1
	v_and_b32_sdwa v53, v1, v30 dst_sel:DWORD dst_unused:UNUSED_PAD src0_sel:WORD_0 src1_sel:DWORD
	v_lshrrev_b32_e32 v54, 3, v55
	s_mov_b32 s24, exec_lo
	v_cmpx_gt_u32_e32 8, v55
; %bb.821:                              ;   in Loop: Header=BB268_513 Depth=1
	v_ffbh_u32_e32 v53, v53
	v_min_u32_e32 v55, 32, v53
	v_subrev_nc_u32_e32 v53, 28, v55
	v_lshlrev_b64 v[53:54], v53, v[1:2]
	v_sub_nc_u32_e32 v54, 29, v55
	v_and_b32_e32 v53, 7, v53
; %bb.822:                              ;   in Loop: Header=BB268_513 Depth=1
	s_or_b32 exec_lo, exec_lo, s24
	v_lshlrev_b32_sdwa v1, v31, v1 dst_sel:DWORD dst_unused:UNUSED_PAD src0_sel:DWORD src1_sel:WORD_0
	v_lshl_add_u32 v54, v54, 10, 0x2000
	v_lshlrev_b32_e32 v53, 23, v53
	v_and_or_b32 v1, 0x8000, v1, v54
	v_lshl_or_b32 v53, v1, 16, v53
.LBB268_823:                            ;   in Loop: Header=BB268_513 Depth=1
	s_or_b32 exec_lo, exec_lo, s23
.LBB268_824:                            ;   in Loop: Header=BB268_513 Depth=1
	s_or_b32 exec_lo, exec_lo, s22
.LBB268_825:                            ;   in Loop: Header=BB268_513 Depth=1
	s_or_b32 exec_lo, exec_lo, s19
	v_lshrrev_b32_e32 v1, 16, v10
	v_cmp_ne_u16_sdwa s1, v1, v2 src0_sel:BYTE_0 src1_sel:DWORD
	s_and_saveexec_b32 s19, s1
	s_cbranch_execz .LBB268_833
; %bb.826:                              ;   in Loop: Header=BB268_513 Depth=1
	v_cmp_ne_u16_sdwa s1, v1, v28 src0_sel:BYTE_0 src1_sel:DWORD
	v_mov_b32_e32 v51, 0x8000
	s_and_saveexec_b32 s22, s1
	s_cbranch_execz .LBB268_832
; %bb.827:                              ;   in Loop: Header=BB268_513 Depth=1
	v_bfe_u32 v55, v10, 16, 7
	v_mov_b32_e32 v51, 0x7c01
	s_mov_b32 s23, exec_lo
	v_cmpx_ne_u32_e32 0x7f, v55
	s_cbranch_execz .LBB268_831
; %bb.828:                              ;   in Loop: Header=BB268_513 Depth=1
	v_and_b32_e32 v51, 7, v1
	v_lshrrev_b32_e32 v54, 3, v55
	s_mov_b32 s24, exec_lo
	v_cmpx_gt_u32_e32 8, v55
; %bb.829:                              ;   in Loop: Header=BB268_513 Depth=1
	v_ffbh_u32_e32 v51, v51
	v_min_u32_e32 v51, 32, v51
	v_subrev_nc_u32_e32 v54, 28, v51
	v_lshlrev_b64 v[55:56], v54, v[1:2]
	v_sub_nc_u32_e32 v54, 29, v51
	v_and_b32_e32 v51, 7, v55
; %bb.830:                              ;   in Loop: Header=BB268_513 Depth=1
	s_or_b32 exec_lo, exec_lo, s24
	v_lshlrev_b32_e32 v1, 8, v1
	v_lshl_add_u32 v54, v54, 10, 0x2000
	v_lshlrev_b32_e32 v51, 7, v51
	v_and_b32_e32 v1, 0x8000, v1
	v_and_b32_e32 v54, 0xfc00, v54
	v_or3_b32 v51, v1, v54, v51
.LBB268_831:                            ;   in Loop: Header=BB268_513 Depth=1
	s_or_b32 exec_lo, exec_lo, s23
.LBB268_832:                            ;   in Loop: Header=BB268_513 Depth=1
	s_or_b32 exec_lo, exec_lo, s22
.LBB268_833:                            ;   in Loop: Header=BB268_513 Depth=1
	s_or_b32 exec_lo, exec_lo, s19
	v_cmp_lt_u64_e64 s1, s[4:5], v[9:10]
	v_mov_b32_e32 v9, 0
	s_and_saveexec_b32 s19, s1
	s_cbranch_execz .LBB268_841
; %bb.834:                              ;   in Loop: Header=BB268_513 Depth=1
	v_lshrrev_b32_e32 v1, 24, v10
	v_bfrev_b32_e32 v9, 1
	s_mov_b32 s22, exec_lo
	v_cmpx_ne_u32_e32 0x80, v1
	s_cbranch_execz .LBB268_840
; %bb.835:                              ;   in Loop: Header=BB268_513 Depth=1
	v_and_b32_e32 v54, 0x7f, v1
	v_mov_b32_e32 v9, 0x7c010000
	s_mov_b32 s23, exec_lo
	v_cmpx_ne_u32_e32 0x7f, v54
	s_cbranch_execz .LBB268_839
; %bb.836:                              ;   in Loop: Header=BB268_513 Depth=1
	v_and_b32_e32 v9, 7, v1
	v_lshrrev_b32_e32 v10, 3, v54
	s_mov_b32 s24, exec_lo
	v_cmpx_gt_u32_e32 8, v54
; %bb.837:                              ;   in Loop: Header=BB268_513 Depth=1
	v_ffbh_u32_e32 v9, v9
	v_min_u32_e32 v54, 32, v9
	v_subrev_nc_u32_e32 v9, 28, v54
	v_lshlrev_b64 v[9:10], v9, v[1:2]
	v_sub_nc_u32_e32 v10, 29, v54
	v_and_b32_e32 v9, 7, v9
; %bb.838:                              ;   in Loop: Header=BB268_513 Depth=1
	s_or_b32 exec_lo, exec_lo, s24
	v_lshlrev_b32_e32 v1, 8, v1
	v_lshl_add_u32 v10, v10, 10, 0x2000
	v_lshlrev_b32_e32 v9, 23, v9
	v_and_or_b32 v1, 0x8000, v1, v10
	v_lshl_or_b32 v9, v1, 16, v9
.LBB268_839:                            ;   in Loop: Header=BB268_513 Depth=1
	s_or_b32 exec_lo, exec_lo, s23
.LBB268_840:                            ;   in Loop: Header=BB268_513 Depth=1
	s_or_b32 exec_lo, exec_lo, s22
.LBB268_841:                            ;   in Loop: Header=BB268_513 Depth=1
	s_or_b32 exec_lo, exec_lo, s19
	v_or_b32_e32 v1, v49, v50
	s_waitcnt vmcnt(0)
	v_fma_mixlo_f16 v10, v46, v49, 0 op_sel:[0,1,0] op_sel_hi:[0,1,0]
	v_or_b32_e32 v48, v47, v48
	v_fma_mixlo_f16 v47, v46, v47, 0 op_sel:[0,1,0] op_sel_hi:[0,1,0]
	v_or_b32_e32 v50, v53, v52
	v_or_b32_e32 v51, v9, v51
	v_fma_mixlo_f16 v52, v46, v1, 0 op_sel_hi:[0,1,0]
	v_lshlrev_b32_e32 v1, 16, v10
	v_lshlrev_b32_e32 v49, 16, v47
	v_fma_mixlo_f16 v10, v46, v48, 0 op_sel_hi:[0,1,0]
	v_fma_mixlo_f16 v47, v46, v53, 0 op_sel:[0,1,0] op_sel_hi:[0,1,0]
	v_fma_mixlo_f16 v50, v46, v50, 0 op_sel_hi:[0,1,0]
	v_fma_mixlo_f16 v9, v46, v9, 0 op_sel:[0,1,0] op_sel_hi:[0,1,0]
	v_fma_mixlo_f16 v46, v46, v51, 0 op_sel_hi:[0,1,0]
	v_and_b32_e32 v48, 0xffff, v52
	v_and_b32_e32 v53, 0xffff, v10
	v_lshlrev_b32_e32 v10, 16, v47
	v_and_b32_e32 v47, 0xffff, v50
	v_lshlrev_b32_e32 v9, 16, v9
	v_and_b32_e32 v46, 0xffff, v46
	v_or_b32_e32 v50, v1, v48
	v_or_b32_e32 v54, v49, v53
	;; [unrolled: 1-line block ×4, first 2 shown]
	s_and_saveexec_b32 s19, s0
	s_cbranch_execz .LBB268_843
; %bb.842:                              ;   in Loop: Header=BB268_513 Depth=1
	v_add_nc_u32_e32 v50, -6, v27
	v_cmp_gt_i32_e64 s1, s11, v33
	v_add_nc_u32_e32 v51, -5, v27
	v_cndmask_b32_e64 v52, 0, v53, s1
	v_cmp_gt_i32_e64 s1, s11, v50
	v_add_nc_u32_e32 v50, -4, v27
	v_add_nc_u32_e32 v53, -2, v27
	v_cndmask_b32_e64 v49, 0, v49, s1
	v_cmp_gt_i32_e64 s1, s11, v51
	v_add_nc_u32_e32 v51, -3, v27
	v_or_b32_e32 v54, v49, v52
	v_cndmask_b32_e64 v48, 0, v48, s1
	v_cmp_gt_i32_e64 s1, s11, v50
	v_add_nc_u32_e32 v50, -1, v27
	v_cndmask_b32_e64 v1, 0, v1, s1
	v_cmp_gt_i32_e64 s1, s11, v51
	v_cndmask_b32_e64 v47, 0, v47, s1
	v_cmp_gt_i32_e64 s1, s11, v53
	;; [unrolled: 2-line block ×3, first 2 shown]
	v_or_b32_e32 v50, v1, v48
	v_or_b32_e32 v52, v10, v47
	v_cndmask_b32_e64 v46, 0, v46, s1
	v_cmp_gt_i32_e64 s1, s11, v27
	v_cndmask_b32_e64 v9, 0, v9, s1
	v_or_b32_e32 v51, v9, v46
.LBB268_843:                            ;   in Loop: Header=BB268_513 Depth=1
	s_or_b32 exec_lo, exec_lo, s19
	;;#ASMSTART
	v_pk_mul_f16 v1, v39, v54;

	;;#ASMEND
	;;#ASMSTART
	v_pk_mul_f16 v9, v38, v50;

	;;#ASMEND
	;; [unrolled: 4-line block ×4, first 2 shown]
	;;#ASMSTART
	v_pk_add_f16 v1, v1, v9;

	;;#ASMEND
	;;#ASMSTART
	v_pk_add_f16 v1, v1, v10;

	;;#ASMEND
	;;#ASMSTART
	v_pk_add_f16 v1, v1, v46;

	;;#ASMEND
	v_and_b32_e32 v9, 0xffff, v1
	v_lshrrev_b32_e32 v1, 16, v1
	;;#ASMSTART
	v_cvt_f32_f16 v46, v9;
	;;#ASMEND
	;;#ASMSTART
	v_cvt_f32_f16 v47, v1;
	;;#ASMEND
	global_load_dwordx2 v[9:10], v[7:8], off offset:1280
	v_mov_b32_e32 v49, 0
	v_mov_b32_e32 v50, 0
	global_load_dword v48, v49, s[14:15]
	s_waitcnt vmcnt(1)
	v_cmp_ne_u16_sdwa s1, v9, v2 src0_sel:BYTE_0 src1_sel:DWORD
	s_and_saveexec_b32 s19, s1
	s_cbranch_execz .LBB268_851
; %bb.844:                              ;   in Loop: Header=BB268_513 Depth=1
	v_cmp_ne_u16_sdwa s1, v9, v28 src0_sel:BYTE_0 src1_sel:DWORD
	v_mov_b32_e32 v50, 0x8000
	s_and_saveexec_b32 s22, s1
	s_cbranch_execz .LBB268_850
; %bb.845:                              ;   in Loop: Header=BB268_513 Depth=1
	v_and_b32_e32 v51, 0x7f, v9
	v_mov_b32_e32 v50, 0x7c01
	s_mov_b32 s23, exec_lo
	v_cmpx_ne_u32_e32 0x7f, v51
	s_cbranch_execz .LBB268_849
; %bb.846:                              ;   in Loop: Header=BB268_513 Depth=1
	v_and_b32_e32 v1, 7, v9
	v_lshrrev_b32_e32 v50, 3, v51
	s_mov_b32 s24, exec_lo
	v_cmpx_gt_u32_e32 8, v51
; %bb.847:                              ;   in Loop: Header=BB268_513 Depth=1
	v_ffbh_u32_e32 v1, v1
	v_min_u32_e32 v1, 32, v1
	v_subrev_nc_u32_e32 v50, 28, v1
	v_lshlrev_b64 v[51:52], v50, v[9:10]
	v_sub_nc_u32_e32 v50, 29, v1
	v_and_b32_e32 v1, 7, v51
; %bb.848:                              ;   in Loop: Header=BB268_513 Depth=1
	s_or_b32 exec_lo, exec_lo, s24
	v_lshlrev_b32_e32 v51, 8, v9
	v_lshl_add_u32 v50, v50, 10, 0x2000
	v_lshlrev_b32_e32 v1, 7, v1
	v_and_b32_e32 v51, 0x8000, v51
	v_and_b32_e32 v50, 0xfc00, v50
	v_or3_b32 v50, v51, v50, v1
.LBB268_849:                            ;   in Loop: Header=BB268_513 Depth=1
	s_or_b32 exec_lo, exec_lo, s23
.LBB268_850:                            ;   in Loop: Header=BB268_513 Depth=1
	s_or_b32 exec_lo, exec_lo, s22
.LBB268_851:                            ;   in Loop: Header=BB268_513 Depth=1
	s_or_b32 exec_lo, exec_lo, s19
	v_lshrrev_b16 v1, 8, v9
	s_mov_b32 s19, exec_lo
	v_cmpx_ne_u16_e32 0, v1
	s_cbranch_execz .LBB268_859
; %bb.852:                              ;   in Loop: Header=BB268_513 Depth=1
	v_bfrev_b32_e32 v49, 1
	s_mov_b32 s22, exec_lo
	v_cmpx_ne_u16_e32 0x80, v1
	s_cbranch_execz .LBB268_858
; %bb.853:                              ;   in Loop: Header=BB268_513 Depth=1
	v_and_b32_sdwa v52, v1, v29 dst_sel:DWORD dst_unused:UNUSED_PAD src0_sel:WORD_0 src1_sel:DWORD
	v_mov_b32_e32 v49, 0x7c010000
	s_mov_b32 s23, exec_lo
	v_cmpx_ne_u32_e32 0x7f, v52
	s_cbranch_execz .LBB268_857
; %bb.854:                              ;   in Loop: Header=BB268_513 Depth=1
	v_and_b32_sdwa v49, v1, v30 dst_sel:DWORD dst_unused:UNUSED_PAD src0_sel:WORD_0 src1_sel:DWORD
	v_lshrrev_b32_e32 v51, 3, v52
	s_mov_b32 s24, exec_lo
	v_cmpx_gt_u32_e32 8, v52
; %bb.855:                              ;   in Loop: Header=BB268_513 Depth=1
	v_ffbh_u32_e32 v49, v49
	v_min_u32_e32 v49, 32, v49
	v_subrev_nc_u32_e32 v51, 28, v49
	v_lshlrev_b64 v[52:53], v51, v[1:2]
	v_sub_nc_u32_e32 v51, 29, v49
	v_and_b32_e32 v49, 7, v52
; %bb.856:                              ;   in Loop: Header=BB268_513 Depth=1
	s_or_b32 exec_lo, exec_lo, s24
	v_lshlrev_b32_sdwa v1, v31, v1 dst_sel:DWORD dst_unused:UNUSED_PAD src0_sel:DWORD src1_sel:WORD_0
	v_lshl_add_u32 v51, v51, 10, 0x2000
	v_lshlrev_b32_e32 v49, 23, v49
	v_and_or_b32 v1, 0x8000, v1, v51
	v_lshl_or_b32 v49, v1, 16, v49
.LBB268_857:                            ;   in Loop: Header=BB268_513 Depth=1
	s_or_b32 exec_lo, exec_lo, s23
.LBB268_858:                            ;   in Loop: Header=BB268_513 Depth=1
	s_or_b32 exec_lo, exec_lo, s22
.LBB268_859:                            ;   in Loop: Header=BB268_513 Depth=1
	s_or_b32 exec_lo, exec_lo, s19
	v_lshrrev_b32_e32 v1, 16, v9
	v_mov_b32_e32 v51, 0
	v_mov_b32_e32 v52, 0
	v_cmp_ne_u16_sdwa s1, v1, v2 src0_sel:BYTE_0 src1_sel:DWORD
	s_and_saveexec_b32 s19, s1
	s_cbranch_execz .LBB268_867
; %bb.860:                              ;   in Loop: Header=BB268_513 Depth=1
	v_cmp_ne_u16_sdwa s1, v1, v28 src0_sel:BYTE_0 src1_sel:DWORD
	v_mov_b32_e32 v52, 0x8000
	s_and_saveexec_b32 s22, s1
	s_cbranch_execz .LBB268_866
; %bb.861:                              ;   in Loop: Header=BB268_513 Depth=1
	v_bfe_u32 v54, v9, 16, 7
	v_mov_b32_e32 v52, 0x7c01
	s_mov_b32 s23, exec_lo
	v_cmpx_ne_u32_e32 0x7f, v54
	s_cbranch_execz .LBB268_865
; %bb.862:                              ;   in Loop: Header=BB268_513 Depth=1
	v_and_b32_e32 v52, 7, v1
	v_lshrrev_b32_e32 v53, 3, v54
	s_mov_b32 s24, exec_lo
	v_cmpx_gt_u32_e32 8, v54
; %bb.863:                              ;   in Loop: Header=BB268_513 Depth=1
	v_ffbh_u32_e32 v52, v52
	v_min_u32_e32 v54, 32, v52
	v_subrev_nc_u32_e32 v52, 28, v54
	v_lshlrev_b64 v[52:53], v52, v[1:2]
	v_sub_nc_u32_e32 v53, 29, v54
	v_and_b32_e32 v52, 7, v52
; %bb.864:                              ;   in Loop: Header=BB268_513 Depth=1
	s_or_b32 exec_lo, exec_lo, s24
	v_lshlrev_b32_e32 v1, 8, v1
	v_lshl_add_u32 v53, v53, 10, 0x2000
	v_lshlrev_b32_e32 v52, 7, v52
	v_and_b32_e32 v1, 0x8000, v1
	v_and_b32_e32 v53, 0xfc00, v53
	v_or3_b32 v52, v1, v53, v52
.LBB268_865:                            ;   in Loop: Header=BB268_513 Depth=1
	s_or_b32 exec_lo, exec_lo, s23
.LBB268_866:                            ;   in Loop: Header=BB268_513 Depth=1
	s_or_b32 exec_lo, exec_lo, s22
.LBB268_867:                            ;   in Loop: Header=BB268_513 Depth=1
	s_or_b32 exec_lo, exec_lo, s19
	s_mov_b32 s19, exec_lo
	v_cmpx_lt_u32_e32 0xffffff, v9
	s_cbranch_execz .LBB268_875
; %bb.868:                              ;   in Loop: Header=BB268_513 Depth=1
	v_lshrrev_b32_e32 v1, 24, v9
	v_bfrev_b32_e32 v51, 1
	s_mov_b32 s22, exec_lo
	v_cmpx_ne_u32_e32 0x80, v1
	s_cbranch_execz .LBB268_874
; %bb.869:                              ;   in Loop: Header=BB268_513 Depth=1
	v_and_b32_e32 v54, 0x7f, v1
	v_mov_b32_e32 v51, 0x7c010000
	s_mov_b32 s23, exec_lo
	v_cmpx_ne_u32_e32 0x7f, v54
	s_cbranch_execz .LBB268_873
; %bb.870:                              ;   in Loop: Header=BB268_513 Depth=1
	v_and_b32_e32 v51, 7, v1
	v_lshrrev_b32_e32 v53, 3, v54
	s_mov_b32 s24, exec_lo
	v_cmpx_gt_u32_e32 8, v54
; %bb.871:                              ;   in Loop: Header=BB268_513 Depth=1
	v_ffbh_u32_e32 v51, v51
	v_min_u32_e32 v51, 32, v51
	v_subrev_nc_u32_e32 v53, 28, v51
	v_lshlrev_b64 v[54:55], v53, v[1:2]
	v_sub_nc_u32_e32 v53, 29, v51
	v_and_b32_e32 v51, 7, v54
; %bb.872:                              ;   in Loop: Header=BB268_513 Depth=1
	s_or_b32 exec_lo, exec_lo, s24
	v_lshlrev_b32_e32 v1, 8, v1
	v_lshl_add_u32 v53, v53, 10, 0x2000
	v_lshlrev_b32_e32 v51, 23, v51
	v_and_or_b32 v1, 0x8000, v1, v53
	v_lshl_or_b32 v51, v1, 16, v51
.LBB268_873:                            ;   in Loop: Header=BB268_513 Depth=1
	s_or_b32 exec_lo, exec_lo, s23
.LBB268_874:                            ;   in Loop: Header=BB268_513 Depth=1
	s_or_b32 exec_lo, exec_lo, s22
.LBB268_875:                            ;   in Loop: Header=BB268_513 Depth=1
	s_or_b32 exec_lo, exec_lo, s19
	v_mov_b32_e32 v1, v10
	v_cmp_ne_u16_sdwa s1, v10, v2 src0_sel:BYTE_0 src1_sel:DWORD
	v_mov_b32_e32 v53, 0
	v_mov_b32_e32 v54, 0
	s_and_saveexec_b32 s19, s1
	s_cbranch_execz .LBB268_883
; %bb.876:                              ;   in Loop: Header=BB268_513 Depth=1
	v_cmp_ne_u16_sdwa s1, v10, v28 src0_sel:BYTE_0 src1_sel:DWORD
	v_mov_b32_e32 v54, 0x8000
	s_and_saveexec_b32 s22, s1
	s_cbranch_execz .LBB268_882
; %bb.877:                              ;   in Loop: Header=BB268_513 Depth=1
	v_and_b32_e32 v56, 0x7f, v10
	v_mov_b32_e32 v54, 0x7c01
	s_mov_b32 s23, exec_lo
	v_cmpx_ne_u32_e32 0x7f, v56
	s_cbranch_execz .LBB268_881
; %bb.878:                              ;   in Loop: Header=BB268_513 Depth=1
	v_and_b32_e32 v54, 7, v10
	v_lshrrev_b32_e32 v55, 3, v56
	s_mov_b32 s24, exec_lo
	v_cmpx_gt_u32_e32 8, v56
; %bb.879:                              ;   in Loop: Header=BB268_513 Depth=1
	v_ffbh_u32_e32 v54, v54
	v_min_u32_e32 v56, 32, v54
	v_subrev_nc_u32_e32 v54, 28, v56
	v_lshlrev_b64 v[54:55], v54, v[1:2]
	v_sub_nc_u32_e32 v55, 29, v56
	v_and_b32_e32 v54, 7, v54
; %bb.880:                              ;   in Loop: Header=BB268_513 Depth=1
	s_or_b32 exec_lo, exec_lo, s24
	v_lshlrev_b32_e32 v56, 8, v10
	v_lshl_add_u32 v55, v55, 10, 0x2000
	v_lshlrev_b32_e32 v54, 7, v54
	v_and_b32_e32 v56, 0x8000, v56
	v_and_b32_e32 v55, 0xfc00, v55
	v_or3_b32 v54, v56, v55, v54
.LBB268_881:                            ;   in Loop: Header=BB268_513 Depth=1
	s_or_b32 exec_lo, exec_lo, s23
.LBB268_882:                            ;   in Loop: Header=BB268_513 Depth=1
	s_or_b32 exec_lo, exec_lo, s22
.LBB268_883:                            ;   in Loop: Header=BB268_513 Depth=1
	s_or_b32 exec_lo, exec_lo, s19
	v_lshrrev_b16 v1, 8, v1
	v_mov_b32_e32 v55, 0
	s_mov_b32 s19, exec_lo
	v_cmpx_ne_u16_e32 0, v1
	s_cbranch_execz .LBB268_891
; %bb.884:                              ;   in Loop: Header=BB268_513 Depth=1
	v_bfrev_b32_e32 v55, 1
	s_mov_b32 s22, exec_lo
	v_cmpx_ne_u16_e32 0x80, v1
	s_cbranch_execz .LBB268_890
; %bb.885:                              ;   in Loop: Header=BB268_513 Depth=1
	v_and_b32_sdwa v57, v1, v29 dst_sel:DWORD dst_unused:UNUSED_PAD src0_sel:WORD_0 src1_sel:DWORD
	v_mov_b32_e32 v55, 0x7c010000
	s_mov_b32 s23, exec_lo
	v_cmpx_ne_u32_e32 0x7f, v57
	s_cbranch_execz .LBB268_889
; %bb.886:                              ;   in Loop: Header=BB268_513 Depth=1
	v_and_b32_sdwa v55, v1, v30 dst_sel:DWORD dst_unused:UNUSED_PAD src0_sel:WORD_0 src1_sel:DWORD
	v_lshrrev_b32_e32 v56, 3, v57
	s_mov_b32 s24, exec_lo
	v_cmpx_gt_u32_e32 8, v57
; %bb.887:                              ;   in Loop: Header=BB268_513 Depth=1
	v_ffbh_u32_e32 v55, v55
	v_min_u32_e32 v57, 32, v55
	v_subrev_nc_u32_e32 v55, 28, v57
	v_lshlrev_b64 v[55:56], v55, v[1:2]
	v_sub_nc_u32_e32 v56, 29, v57
	v_and_b32_e32 v55, 7, v55
; %bb.888:                              ;   in Loop: Header=BB268_513 Depth=1
	s_or_b32 exec_lo, exec_lo, s24
	v_lshlrev_b32_sdwa v1, v31, v1 dst_sel:DWORD dst_unused:UNUSED_PAD src0_sel:DWORD src1_sel:WORD_0
	v_lshl_add_u32 v56, v56, 10, 0x2000
	v_lshlrev_b32_e32 v55, 23, v55
	v_and_or_b32 v1, 0x8000, v1, v56
	v_lshl_or_b32 v55, v1, 16, v55
.LBB268_889:                            ;   in Loop: Header=BB268_513 Depth=1
	s_or_b32 exec_lo, exec_lo, s23
.LBB268_890:                            ;   in Loop: Header=BB268_513 Depth=1
	s_or_b32 exec_lo, exec_lo, s22
.LBB268_891:                            ;   in Loop: Header=BB268_513 Depth=1
	s_or_b32 exec_lo, exec_lo, s19
	v_lshrrev_b32_e32 v1, 16, v10
	v_cmp_ne_u16_sdwa s1, v1, v2 src0_sel:BYTE_0 src1_sel:DWORD
	s_and_saveexec_b32 s19, s1
	s_cbranch_execz .LBB268_899
; %bb.892:                              ;   in Loop: Header=BB268_513 Depth=1
	v_cmp_ne_u16_sdwa s1, v1, v28 src0_sel:BYTE_0 src1_sel:DWORD
	v_mov_b32_e32 v53, 0x8000
	s_and_saveexec_b32 s22, s1
	s_cbranch_execz .LBB268_898
; %bb.893:                              ;   in Loop: Header=BB268_513 Depth=1
	v_bfe_u32 v57, v10, 16, 7
	v_mov_b32_e32 v53, 0x7c01
	s_mov_b32 s23, exec_lo
	v_cmpx_ne_u32_e32 0x7f, v57
	s_cbranch_execz .LBB268_897
; %bb.894:                              ;   in Loop: Header=BB268_513 Depth=1
	v_and_b32_e32 v53, 7, v1
	v_lshrrev_b32_e32 v56, 3, v57
	s_mov_b32 s24, exec_lo
	v_cmpx_gt_u32_e32 8, v57
; %bb.895:                              ;   in Loop: Header=BB268_513 Depth=1
	v_ffbh_u32_e32 v53, v53
	v_min_u32_e32 v53, 32, v53
	v_subrev_nc_u32_e32 v56, 28, v53
	v_lshlrev_b64 v[57:58], v56, v[1:2]
	v_sub_nc_u32_e32 v56, 29, v53
	v_and_b32_e32 v53, 7, v57
; %bb.896:                              ;   in Loop: Header=BB268_513 Depth=1
	s_or_b32 exec_lo, exec_lo, s24
	v_lshlrev_b32_e32 v1, 8, v1
	v_lshl_add_u32 v56, v56, 10, 0x2000
	v_lshlrev_b32_e32 v53, 7, v53
	v_and_b32_e32 v1, 0x8000, v1
	v_and_b32_e32 v56, 0xfc00, v56
	v_or3_b32 v53, v1, v56, v53
.LBB268_897:                            ;   in Loop: Header=BB268_513 Depth=1
	s_or_b32 exec_lo, exec_lo, s23
.LBB268_898:                            ;   in Loop: Header=BB268_513 Depth=1
	s_or_b32 exec_lo, exec_lo, s22
.LBB268_899:                            ;   in Loop: Header=BB268_513 Depth=1
	s_or_b32 exec_lo, exec_lo, s19
	v_cmp_lt_u64_e64 s1, s[4:5], v[9:10]
	v_mov_b32_e32 v9, 0
	s_and_saveexec_b32 s19, s1
	s_cbranch_execz .LBB268_907
; %bb.900:                              ;   in Loop: Header=BB268_513 Depth=1
	v_lshrrev_b32_e32 v1, 24, v10
	v_bfrev_b32_e32 v9, 1
	s_mov_b32 s22, exec_lo
	v_cmpx_ne_u32_e32 0x80, v1
	s_cbranch_execz .LBB268_906
; %bb.901:                              ;   in Loop: Header=BB268_513 Depth=1
	v_and_b32_e32 v56, 0x7f, v1
	v_mov_b32_e32 v9, 0x7c010000
	s_mov_b32 s23, exec_lo
	v_cmpx_ne_u32_e32 0x7f, v56
	s_cbranch_execz .LBB268_905
; %bb.902:                              ;   in Loop: Header=BB268_513 Depth=1
	v_and_b32_e32 v9, 7, v1
	v_lshrrev_b32_e32 v10, 3, v56
	s_mov_b32 s24, exec_lo
	v_cmpx_gt_u32_e32 8, v56
; %bb.903:                              ;   in Loop: Header=BB268_513 Depth=1
	v_ffbh_u32_e32 v9, v9
	v_min_u32_e32 v56, 32, v9
	v_subrev_nc_u32_e32 v9, 28, v56
	v_lshlrev_b64 v[9:10], v9, v[1:2]
	v_sub_nc_u32_e32 v10, 29, v56
	v_and_b32_e32 v9, 7, v9
; %bb.904:                              ;   in Loop: Header=BB268_513 Depth=1
	s_or_b32 exec_lo, exec_lo, s24
	v_lshlrev_b32_e32 v1, 8, v1
	v_lshl_add_u32 v10, v10, 10, 0x2000
	v_lshlrev_b32_e32 v9, 23, v9
	v_and_or_b32 v1, 0x8000, v1, v10
	v_lshl_or_b32 v9, v1, 16, v9
.LBB268_905:                            ;   in Loop: Header=BB268_513 Depth=1
	s_or_b32 exec_lo, exec_lo, s23
.LBB268_906:                            ;   in Loop: Header=BB268_513 Depth=1
	s_or_b32 exec_lo, exec_lo, s22
.LBB268_907:                            ;   in Loop: Header=BB268_513 Depth=1
	s_or_b32 exec_lo, exec_lo, s19
	v_or_b32_e32 v1, v51, v52
	s_waitcnt vmcnt(0)
	v_fma_mixlo_f16 v10, v48, v51, 0 op_sel:[0,1,0] op_sel_hi:[0,1,0]
	v_or_b32_e32 v50, v49, v50
	v_fma_mixlo_f16 v49, v48, v49, 0 op_sel:[0,1,0] op_sel_hi:[0,1,0]
	v_or_b32_e32 v52, v55, v54
	v_or_b32_e32 v53, v9, v53
	v_fma_mixlo_f16 v54, v48, v1, 0 op_sel_hi:[0,1,0]
	v_lshlrev_b32_e32 v1, 16, v10
	v_lshlrev_b32_e32 v51, 16, v49
	v_fma_mixlo_f16 v10, v48, v50, 0 op_sel_hi:[0,1,0]
	v_fma_mixlo_f16 v49, v48, v55, 0 op_sel:[0,1,0] op_sel_hi:[0,1,0]
	v_fma_mixlo_f16 v52, v48, v52, 0 op_sel_hi:[0,1,0]
	v_fma_mixlo_f16 v9, v48, v9, 0 op_sel:[0,1,0] op_sel_hi:[0,1,0]
	v_fma_mixlo_f16 v48, v48, v53, 0 op_sel_hi:[0,1,0]
	v_and_b32_e32 v50, 0xffff, v54
	v_and_b32_e32 v55, 0xffff, v10
	v_lshlrev_b32_e32 v10, 16, v49
	v_and_b32_e32 v49, 0xffff, v52
	v_lshlrev_b32_e32 v9, 16, v9
	v_and_b32_e32 v48, 0xffff, v48
	v_or_b32_e32 v52, v1, v50
	v_or_b32_e32 v56, v51, v55
	;; [unrolled: 1-line block ×4, first 2 shown]
	s_and_saveexec_b32 s19, s0
	s_cbranch_execz .LBB268_909
; %bb.908:                              ;   in Loop: Header=BB268_513 Depth=1
	v_add_nc_u32_e32 v52, -6, v27
	v_cmp_gt_i32_e64 s1, s11, v33
	v_add_nc_u32_e32 v53, -5, v27
	v_cndmask_b32_e64 v54, 0, v55, s1
	v_cmp_gt_i32_e64 s1, s11, v52
	v_add_nc_u32_e32 v52, -4, v27
	v_add_nc_u32_e32 v55, -2, v27
	v_cndmask_b32_e64 v51, 0, v51, s1
	v_cmp_gt_i32_e64 s1, s11, v53
	v_add_nc_u32_e32 v53, -3, v27
	v_or_b32_e32 v56, v51, v54
	v_cndmask_b32_e64 v50, 0, v50, s1
	v_cmp_gt_i32_e64 s1, s11, v52
	v_add_nc_u32_e32 v52, -1, v27
	v_cndmask_b32_e64 v1, 0, v1, s1
	v_cmp_gt_i32_e64 s1, s11, v53
	v_cndmask_b32_e64 v49, 0, v49, s1
	v_cmp_gt_i32_e64 s1, s11, v55
	;; [unrolled: 2-line block ×3, first 2 shown]
	v_or_b32_e32 v52, v1, v50
	v_or_b32_e32 v54, v10, v49
	v_cndmask_b32_e64 v48, 0, v48, s1
	v_cmp_gt_i32_e64 s1, s11, v27
	v_cndmask_b32_e64 v9, 0, v9, s1
	v_or_b32_e32 v53, v9, v48
.LBB268_909:                            ;   in Loop: Header=BB268_513 Depth=1
	s_or_b32 exec_lo, exec_lo, s19
	;;#ASMSTART
	v_pk_mul_f16 v1, v39, v56;

	;;#ASMEND
	;;#ASMSTART
	v_pk_mul_f16 v9, v38, v52;

	;;#ASMEND
	;;#ASMSTART
	v_pk_mul_f16 v10, v37, v54;

	;;#ASMEND
	;;#ASMSTART
	v_pk_mul_f16 v48, v36, v53;

	;;#ASMEND
	;;#ASMSTART
	v_pk_add_f16 v1, v1, v9;

	;;#ASMEND
	;;#ASMSTART
	v_pk_add_f16 v1, v1, v10;

	;;#ASMEND
	;; [unrolled: 4-line block ×3, first 2 shown]
	v_and_b32_e32 v9, 0xffff, v1
	v_lshrrev_b32_e32 v1, 16, v1
	;;#ASMSTART
	v_cvt_f32_f16 v9, v9;
	;;#ASMEND
	;;#ASMSTART
	v_cvt_f32_f16 v10, v1;
	;;#ASMEND
	global_load_dwordx2 v[7:8], v[7:8], off offset:1536
	v_mov_b32_e32 v49, 0
	v_mov_b32_e32 v50, 0
	global_load_dword v48, v49, s[14:15]
	s_waitcnt vmcnt(1)
	v_cmp_ne_u16_sdwa s1, v7, v2 src0_sel:BYTE_0 src1_sel:DWORD
	s_and_saveexec_b32 s19, s1
	s_cbranch_execz .LBB268_917
; %bb.910:                              ;   in Loop: Header=BB268_513 Depth=1
	v_cmp_ne_u16_sdwa s1, v7, v28 src0_sel:BYTE_0 src1_sel:DWORD
	v_mov_b32_e32 v50, 0x8000
	s_and_saveexec_b32 s22, s1
	s_cbranch_execz .LBB268_916
; %bb.911:                              ;   in Loop: Header=BB268_513 Depth=1
	v_and_b32_e32 v51, 0x7f, v7
	v_mov_b32_e32 v50, 0x7c01
	s_mov_b32 s23, exec_lo
	v_cmpx_ne_u32_e32 0x7f, v51
	s_cbranch_execz .LBB268_915
; %bb.912:                              ;   in Loop: Header=BB268_513 Depth=1
	v_and_b32_e32 v1, 7, v7
	v_lshrrev_b32_e32 v50, 3, v51
	s_mov_b32 s24, exec_lo
	v_cmpx_gt_u32_e32 8, v51
; %bb.913:                              ;   in Loop: Header=BB268_513 Depth=1
	v_ffbh_u32_e32 v1, v1
	v_min_u32_e32 v1, 32, v1
	v_subrev_nc_u32_e32 v50, 28, v1
	v_lshlrev_b64 v[51:52], v50, v[7:8]
	v_sub_nc_u32_e32 v50, 29, v1
	v_and_b32_e32 v1, 7, v51
; %bb.914:                              ;   in Loop: Header=BB268_513 Depth=1
	s_or_b32 exec_lo, exec_lo, s24
	v_lshlrev_b32_e32 v51, 8, v7
	v_lshl_add_u32 v50, v50, 10, 0x2000
	v_lshlrev_b32_e32 v1, 7, v1
	v_and_b32_e32 v51, 0x8000, v51
	v_and_b32_e32 v50, 0xfc00, v50
	v_or3_b32 v50, v51, v50, v1
.LBB268_915:                            ;   in Loop: Header=BB268_513 Depth=1
	s_or_b32 exec_lo, exec_lo, s23
.LBB268_916:                            ;   in Loop: Header=BB268_513 Depth=1
	s_or_b32 exec_lo, exec_lo, s22
.LBB268_917:                            ;   in Loop: Header=BB268_513 Depth=1
	s_or_b32 exec_lo, exec_lo, s19
	v_lshrrev_b16 v1, 8, v7
	s_mov_b32 s19, exec_lo
	v_cmpx_ne_u16_e32 0, v1
	s_cbranch_execz .LBB268_925
; %bb.918:                              ;   in Loop: Header=BB268_513 Depth=1
	v_bfrev_b32_e32 v49, 1
	s_mov_b32 s22, exec_lo
	v_cmpx_ne_u16_e32 0x80, v1
	s_cbranch_execz .LBB268_924
; %bb.919:                              ;   in Loop: Header=BB268_513 Depth=1
	v_and_b32_sdwa v52, v1, v29 dst_sel:DWORD dst_unused:UNUSED_PAD src0_sel:WORD_0 src1_sel:DWORD
	v_mov_b32_e32 v49, 0x7c010000
	s_mov_b32 s23, exec_lo
	v_cmpx_ne_u32_e32 0x7f, v52
	s_cbranch_execz .LBB268_923
; %bb.920:                              ;   in Loop: Header=BB268_513 Depth=1
	v_and_b32_sdwa v49, v1, v30 dst_sel:DWORD dst_unused:UNUSED_PAD src0_sel:WORD_0 src1_sel:DWORD
	v_lshrrev_b32_e32 v51, 3, v52
	s_mov_b32 s24, exec_lo
	v_cmpx_gt_u32_e32 8, v52
; %bb.921:                              ;   in Loop: Header=BB268_513 Depth=1
	v_ffbh_u32_e32 v49, v49
	v_min_u32_e32 v49, 32, v49
	v_subrev_nc_u32_e32 v51, 28, v49
	v_lshlrev_b64 v[52:53], v51, v[1:2]
	v_sub_nc_u32_e32 v51, 29, v49
	v_and_b32_e32 v49, 7, v52
; %bb.922:                              ;   in Loop: Header=BB268_513 Depth=1
	s_or_b32 exec_lo, exec_lo, s24
	v_lshlrev_b32_sdwa v1, v31, v1 dst_sel:DWORD dst_unused:UNUSED_PAD src0_sel:DWORD src1_sel:WORD_0
	v_lshl_add_u32 v51, v51, 10, 0x2000
	v_lshlrev_b32_e32 v49, 23, v49
	v_and_or_b32 v1, 0x8000, v1, v51
	v_lshl_or_b32 v49, v1, 16, v49
.LBB268_923:                            ;   in Loop: Header=BB268_513 Depth=1
	s_or_b32 exec_lo, exec_lo, s23
.LBB268_924:                            ;   in Loop: Header=BB268_513 Depth=1
	s_or_b32 exec_lo, exec_lo, s22
.LBB268_925:                            ;   in Loop: Header=BB268_513 Depth=1
	s_or_b32 exec_lo, exec_lo, s19
	v_lshrrev_b32_e32 v1, 16, v7
	v_mov_b32_e32 v51, 0
	v_mov_b32_e32 v52, 0
	v_cmp_ne_u16_sdwa s1, v1, v2 src0_sel:BYTE_0 src1_sel:DWORD
	s_and_saveexec_b32 s19, s1
	s_cbranch_execz .LBB268_933
; %bb.926:                              ;   in Loop: Header=BB268_513 Depth=1
	v_cmp_ne_u16_sdwa s1, v1, v28 src0_sel:BYTE_0 src1_sel:DWORD
	v_mov_b32_e32 v52, 0x8000
	s_and_saveexec_b32 s22, s1
	s_cbranch_execz .LBB268_932
; %bb.927:                              ;   in Loop: Header=BB268_513 Depth=1
	v_bfe_u32 v54, v7, 16, 7
	v_mov_b32_e32 v52, 0x7c01
	s_mov_b32 s23, exec_lo
	v_cmpx_ne_u32_e32 0x7f, v54
	s_cbranch_execz .LBB268_931
; %bb.928:                              ;   in Loop: Header=BB268_513 Depth=1
	v_and_b32_e32 v52, 7, v1
	v_lshrrev_b32_e32 v53, 3, v54
	s_mov_b32 s24, exec_lo
	v_cmpx_gt_u32_e32 8, v54
; %bb.929:                              ;   in Loop: Header=BB268_513 Depth=1
	v_ffbh_u32_e32 v52, v52
	v_min_u32_e32 v54, 32, v52
	v_subrev_nc_u32_e32 v52, 28, v54
	v_lshlrev_b64 v[52:53], v52, v[1:2]
	v_sub_nc_u32_e32 v53, 29, v54
	v_and_b32_e32 v52, 7, v52
; %bb.930:                              ;   in Loop: Header=BB268_513 Depth=1
	s_or_b32 exec_lo, exec_lo, s24
	v_lshlrev_b32_e32 v1, 8, v1
	v_lshl_add_u32 v53, v53, 10, 0x2000
	v_lshlrev_b32_e32 v52, 7, v52
	v_and_b32_e32 v1, 0x8000, v1
	v_and_b32_e32 v53, 0xfc00, v53
	v_or3_b32 v52, v1, v53, v52
.LBB268_931:                            ;   in Loop: Header=BB268_513 Depth=1
	s_or_b32 exec_lo, exec_lo, s23
.LBB268_932:                            ;   in Loop: Header=BB268_513 Depth=1
	s_or_b32 exec_lo, exec_lo, s22
.LBB268_933:                            ;   in Loop: Header=BB268_513 Depth=1
	s_or_b32 exec_lo, exec_lo, s19
	s_mov_b32 s19, exec_lo
	v_cmpx_lt_u32_e32 0xffffff, v7
	s_cbranch_execz .LBB268_941
; %bb.934:                              ;   in Loop: Header=BB268_513 Depth=1
	v_lshrrev_b32_e32 v1, 24, v7
	v_bfrev_b32_e32 v51, 1
	s_mov_b32 s22, exec_lo
	v_cmpx_ne_u32_e32 0x80, v1
	s_cbranch_execz .LBB268_940
; %bb.935:                              ;   in Loop: Header=BB268_513 Depth=1
	v_and_b32_e32 v54, 0x7f, v1
	v_mov_b32_e32 v51, 0x7c010000
	s_mov_b32 s23, exec_lo
	v_cmpx_ne_u32_e32 0x7f, v54
	s_cbranch_execz .LBB268_939
; %bb.936:                              ;   in Loop: Header=BB268_513 Depth=1
	v_and_b32_e32 v51, 7, v1
	v_lshrrev_b32_e32 v53, 3, v54
	s_mov_b32 s24, exec_lo
	v_cmpx_gt_u32_e32 8, v54
; %bb.937:                              ;   in Loop: Header=BB268_513 Depth=1
	v_ffbh_u32_e32 v51, v51
	v_min_u32_e32 v51, 32, v51
	v_subrev_nc_u32_e32 v53, 28, v51
	v_lshlrev_b64 v[54:55], v53, v[1:2]
	v_sub_nc_u32_e32 v53, 29, v51
	v_and_b32_e32 v51, 7, v54
; %bb.938:                              ;   in Loop: Header=BB268_513 Depth=1
	s_or_b32 exec_lo, exec_lo, s24
	v_lshlrev_b32_e32 v1, 8, v1
	v_lshl_add_u32 v53, v53, 10, 0x2000
	v_lshlrev_b32_e32 v51, 23, v51
	v_and_or_b32 v1, 0x8000, v1, v53
	v_lshl_or_b32 v51, v1, 16, v51
.LBB268_939:                            ;   in Loop: Header=BB268_513 Depth=1
	s_or_b32 exec_lo, exec_lo, s23
.LBB268_940:                            ;   in Loop: Header=BB268_513 Depth=1
	s_or_b32 exec_lo, exec_lo, s22
.LBB268_941:                            ;   in Loop: Header=BB268_513 Depth=1
	s_or_b32 exec_lo, exec_lo, s19
	v_mov_b32_e32 v1, v8
	v_cmp_ne_u16_sdwa s1, v8, v2 src0_sel:BYTE_0 src1_sel:DWORD
	v_mov_b32_e32 v53, 0
	v_mov_b32_e32 v54, 0
	s_and_saveexec_b32 s19, s1
	s_cbranch_execz .LBB268_949
; %bb.942:                              ;   in Loop: Header=BB268_513 Depth=1
	v_cmp_ne_u16_sdwa s1, v8, v28 src0_sel:BYTE_0 src1_sel:DWORD
	v_mov_b32_e32 v54, 0x8000
	s_and_saveexec_b32 s22, s1
	s_cbranch_execz .LBB268_948
; %bb.943:                              ;   in Loop: Header=BB268_513 Depth=1
	v_and_b32_e32 v56, 0x7f, v8
	v_mov_b32_e32 v54, 0x7c01
	s_mov_b32 s23, exec_lo
	v_cmpx_ne_u32_e32 0x7f, v56
	s_cbranch_execz .LBB268_947
; %bb.944:                              ;   in Loop: Header=BB268_513 Depth=1
	v_and_b32_e32 v54, 7, v8
	v_lshrrev_b32_e32 v55, 3, v56
	s_mov_b32 s24, exec_lo
	v_cmpx_gt_u32_e32 8, v56
; %bb.945:                              ;   in Loop: Header=BB268_513 Depth=1
	v_ffbh_u32_e32 v54, v54
	v_min_u32_e32 v56, 32, v54
	v_subrev_nc_u32_e32 v54, 28, v56
	v_lshlrev_b64 v[54:55], v54, v[1:2]
	v_sub_nc_u32_e32 v55, 29, v56
	v_and_b32_e32 v54, 7, v54
; %bb.946:                              ;   in Loop: Header=BB268_513 Depth=1
	s_or_b32 exec_lo, exec_lo, s24
	v_lshlrev_b32_e32 v56, 8, v8
	v_lshl_add_u32 v55, v55, 10, 0x2000
	v_lshlrev_b32_e32 v54, 7, v54
	v_and_b32_e32 v56, 0x8000, v56
	v_and_b32_e32 v55, 0xfc00, v55
	v_or3_b32 v54, v56, v55, v54
.LBB268_947:                            ;   in Loop: Header=BB268_513 Depth=1
	s_or_b32 exec_lo, exec_lo, s23
.LBB268_948:                            ;   in Loop: Header=BB268_513 Depth=1
	s_or_b32 exec_lo, exec_lo, s22
.LBB268_949:                            ;   in Loop: Header=BB268_513 Depth=1
	s_or_b32 exec_lo, exec_lo, s19
	v_lshrrev_b16 v1, 8, v1
	v_mov_b32_e32 v55, 0
	s_mov_b32 s19, exec_lo
	v_cmpx_ne_u16_e32 0, v1
	s_cbranch_execz .LBB268_957
; %bb.950:                              ;   in Loop: Header=BB268_513 Depth=1
	v_bfrev_b32_e32 v55, 1
	s_mov_b32 s22, exec_lo
	v_cmpx_ne_u16_e32 0x80, v1
	s_cbranch_execz .LBB268_956
; %bb.951:                              ;   in Loop: Header=BB268_513 Depth=1
	v_and_b32_sdwa v57, v1, v29 dst_sel:DWORD dst_unused:UNUSED_PAD src0_sel:WORD_0 src1_sel:DWORD
	v_mov_b32_e32 v55, 0x7c010000
	s_mov_b32 s23, exec_lo
	v_cmpx_ne_u32_e32 0x7f, v57
	s_cbranch_execz .LBB268_955
; %bb.952:                              ;   in Loop: Header=BB268_513 Depth=1
	v_and_b32_sdwa v55, v1, v30 dst_sel:DWORD dst_unused:UNUSED_PAD src0_sel:WORD_0 src1_sel:DWORD
	v_lshrrev_b32_e32 v56, 3, v57
	s_mov_b32 s24, exec_lo
	v_cmpx_gt_u32_e32 8, v57
; %bb.953:                              ;   in Loop: Header=BB268_513 Depth=1
	v_ffbh_u32_e32 v55, v55
	v_min_u32_e32 v57, 32, v55
	v_subrev_nc_u32_e32 v55, 28, v57
	v_lshlrev_b64 v[55:56], v55, v[1:2]
	v_sub_nc_u32_e32 v56, 29, v57
	v_and_b32_e32 v55, 7, v55
; %bb.954:                              ;   in Loop: Header=BB268_513 Depth=1
	s_or_b32 exec_lo, exec_lo, s24
	v_lshlrev_b32_sdwa v1, v31, v1 dst_sel:DWORD dst_unused:UNUSED_PAD src0_sel:DWORD src1_sel:WORD_0
	v_lshl_add_u32 v56, v56, 10, 0x2000
	v_lshlrev_b32_e32 v55, 23, v55
	v_and_or_b32 v1, 0x8000, v1, v56
	v_lshl_or_b32 v55, v1, 16, v55
.LBB268_955:                            ;   in Loop: Header=BB268_513 Depth=1
	s_or_b32 exec_lo, exec_lo, s23
.LBB268_956:                            ;   in Loop: Header=BB268_513 Depth=1
	s_or_b32 exec_lo, exec_lo, s22
.LBB268_957:                            ;   in Loop: Header=BB268_513 Depth=1
	s_or_b32 exec_lo, exec_lo, s19
	v_lshrrev_b32_e32 v1, 16, v8
	v_cmp_ne_u16_sdwa s1, v1, v2 src0_sel:BYTE_0 src1_sel:DWORD
	s_and_saveexec_b32 s19, s1
	s_cbranch_execz .LBB268_965
; %bb.958:                              ;   in Loop: Header=BB268_513 Depth=1
	v_cmp_ne_u16_sdwa s1, v1, v28 src0_sel:BYTE_0 src1_sel:DWORD
	v_mov_b32_e32 v53, 0x8000
	s_and_saveexec_b32 s22, s1
	s_cbranch_execz .LBB268_964
; %bb.959:                              ;   in Loop: Header=BB268_513 Depth=1
	v_bfe_u32 v57, v8, 16, 7
	v_mov_b32_e32 v53, 0x7c01
	s_mov_b32 s23, exec_lo
	v_cmpx_ne_u32_e32 0x7f, v57
	s_cbranch_execz .LBB268_963
; %bb.960:                              ;   in Loop: Header=BB268_513 Depth=1
	v_and_b32_e32 v53, 7, v1
	v_lshrrev_b32_e32 v56, 3, v57
	s_mov_b32 s24, exec_lo
	v_cmpx_gt_u32_e32 8, v57
; %bb.961:                              ;   in Loop: Header=BB268_513 Depth=1
	v_ffbh_u32_e32 v53, v53
	v_min_u32_e32 v53, 32, v53
	v_subrev_nc_u32_e32 v56, 28, v53
	v_lshlrev_b64 v[57:58], v56, v[1:2]
	v_sub_nc_u32_e32 v56, 29, v53
	v_and_b32_e32 v53, 7, v57
; %bb.962:                              ;   in Loop: Header=BB268_513 Depth=1
	s_or_b32 exec_lo, exec_lo, s24
	v_lshlrev_b32_e32 v1, 8, v1
	v_lshl_add_u32 v56, v56, 10, 0x2000
	v_lshlrev_b32_e32 v53, 7, v53
	v_and_b32_e32 v1, 0x8000, v1
	v_and_b32_e32 v56, 0xfc00, v56
	v_or3_b32 v53, v1, v56, v53
.LBB268_963:                            ;   in Loop: Header=BB268_513 Depth=1
	s_or_b32 exec_lo, exec_lo, s23
.LBB268_964:                            ;   in Loop: Header=BB268_513 Depth=1
	s_or_b32 exec_lo, exec_lo, s22
.LBB268_965:                            ;   in Loop: Header=BB268_513 Depth=1
	s_or_b32 exec_lo, exec_lo, s19
	v_cmp_lt_u64_e64 s1, s[4:5], v[7:8]
	v_mov_b32_e32 v7, 0
	s_and_saveexec_b32 s19, s1
	s_cbranch_execz .LBB268_973
; %bb.966:                              ;   in Loop: Header=BB268_513 Depth=1
	v_lshrrev_b32_e32 v1, 24, v8
	v_bfrev_b32_e32 v7, 1
	s_mov_b32 s22, exec_lo
	v_cmpx_ne_u32_e32 0x80, v1
	s_cbranch_execz .LBB268_972
; %bb.967:                              ;   in Loop: Header=BB268_513 Depth=1
	v_and_b32_e32 v56, 0x7f, v1
	v_mov_b32_e32 v7, 0x7c010000
	s_mov_b32 s23, exec_lo
	v_cmpx_ne_u32_e32 0x7f, v56
	s_cbranch_execz .LBB268_971
; %bb.968:                              ;   in Loop: Header=BB268_513 Depth=1
	v_and_b32_e32 v7, 7, v1
	v_lshrrev_b32_e32 v8, 3, v56
	s_mov_b32 s24, exec_lo
	v_cmpx_gt_u32_e32 8, v56
; %bb.969:                              ;   in Loop: Header=BB268_513 Depth=1
	v_ffbh_u32_e32 v7, v7
	v_min_u32_e32 v56, 32, v7
	v_subrev_nc_u32_e32 v7, 28, v56
	v_lshlrev_b64 v[7:8], v7, v[1:2]
	v_sub_nc_u32_e32 v8, 29, v56
	v_and_b32_e32 v7, 7, v7
; %bb.970:                              ;   in Loop: Header=BB268_513 Depth=1
	s_or_b32 exec_lo, exec_lo, s24
	v_lshlrev_b32_e32 v1, 8, v1
	v_lshl_add_u32 v8, v8, 10, 0x2000
	v_lshlrev_b32_e32 v7, 23, v7
	v_and_or_b32 v1, 0x8000, v1, v8
	v_lshl_or_b32 v7, v1, 16, v7
.LBB268_971:                            ;   in Loop: Header=BB268_513 Depth=1
	s_or_b32 exec_lo, exec_lo, s23
.LBB268_972:                            ;   in Loop: Header=BB268_513 Depth=1
	s_or_b32 exec_lo, exec_lo, s22
.LBB268_973:                            ;   in Loop: Header=BB268_513 Depth=1
	s_or_b32 exec_lo, exec_lo, s19
	v_or_b32_e32 v1, v51, v52
	s_waitcnt vmcnt(0)
	v_fma_mixlo_f16 v8, v48, v51, 0 op_sel:[0,1,0] op_sel_hi:[0,1,0]
	v_or_b32_e32 v50, v49, v50
	v_fma_mixlo_f16 v49, v48, v49, 0 op_sel:[0,1,0] op_sel_hi:[0,1,0]
	v_or_b32_e32 v52, v55, v54
	v_or_b32_e32 v53, v7, v53
	v_fma_mixlo_f16 v54, v48, v1, 0 op_sel_hi:[0,1,0]
	v_lshlrev_b32_e32 v1, 16, v8
	v_lshlrev_b32_e32 v51, 16, v49
	v_fma_mixlo_f16 v8, v48, v50, 0 op_sel_hi:[0,1,0]
	v_fma_mixlo_f16 v49, v48, v55, 0 op_sel:[0,1,0] op_sel_hi:[0,1,0]
	v_fma_mixlo_f16 v52, v48, v52, 0 op_sel_hi:[0,1,0]
	v_fma_mixlo_f16 v7, v48, v7, 0 op_sel:[0,1,0] op_sel_hi:[0,1,0]
	v_fma_mixlo_f16 v48, v48, v53, 0 op_sel_hi:[0,1,0]
	v_and_b32_e32 v50, 0xffff, v54
	v_and_b32_e32 v55, 0xffff, v8
	v_lshlrev_b32_e32 v8, 16, v49
	v_and_b32_e32 v49, 0xffff, v52
	v_lshlrev_b32_e32 v7, 16, v7
	v_and_b32_e32 v48, 0xffff, v48
	v_or_b32_e32 v52, v1, v50
	v_or_b32_e32 v56, v51, v55
	;; [unrolled: 1-line block ×4, first 2 shown]
	s_and_saveexec_b32 s19, s0
	s_cbranch_execz .LBB268_975
; %bb.974:                              ;   in Loop: Header=BB268_513 Depth=1
	v_add_nc_u32_e32 v52, -6, v27
	v_cmp_gt_i32_e64 s1, s11, v33
	v_add_nc_u32_e32 v53, -5, v27
	v_cndmask_b32_e64 v54, 0, v55, s1
	v_cmp_gt_i32_e64 s1, s11, v52
	v_add_nc_u32_e32 v52, -4, v27
	v_add_nc_u32_e32 v55, -2, v27
	v_cndmask_b32_e64 v51, 0, v51, s1
	v_cmp_gt_i32_e64 s1, s11, v53
	v_add_nc_u32_e32 v53, -3, v27
	v_or_b32_e32 v56, v51, v54
	v_cndmask_b32_e64 v50, 0, v50, s1
	v_cmp_gt_i32_e64 s1, s11, v52
	v_add_nc_u32_e32 v52, -1, v27
	v_cndmask_b32_e64 v1, 0, v1, s1
	v_cmp_gt_i32_e64 s1, s11, v53
	v_cndmask_b32_e64 v49, 0, v49, s1
	v_cmp_gt_i32_e64 s1, s11, v55
	;; [unrolled: 2-line block ×3, first 2 shown]
	v_or_b32_e32 v52, v1, v50
	v_or_b32_e32 v54, v8, v49
	v_cndmask_b32_e64 v48, 0, v48, s1
	v_cmp_gt_i32_e64 s1, s11, v27
	v_cndmask_b32_e64 v7, 0, v7, s1
	v_or_b32_e32 v53, v7, v48
.LBB268_975:                            ;   in Loop: Header=BB268_513 Depth=1
	s_or_b32 exec_lo, exec_lo, s19
	;;#ASMSTART
	v_pk_mul_f16 v1, v39, v56;

	;;#ASMEND
	;;#ASMSTART
	v_pk_mul_f16 v7, v38, v52;

	;;#ASMEND
	;; [unrolled: 4-line block ×4, first 2 shown]
	;;#ASMSTART
	v_pk_add_f16 v1, v1, v7;

	;;#ASMEND
	;;#ASMSTART
	v_pk_add_f16 v1, v1, v8;

	;;#ASMEND
	;;#ASMSTART
	v_pk_add_f16 v1, v1, v48;

	;;#ASMEND
	v_and_b32_e32 v7, 0xffff, v1
	v_lshrrev_b32_e32 v1, 16, v1
	;;#ASMSTART
	v_cvt_f32_f16 v7, v7;
	;;#ASMEND
	;;#ASMSTART
	v_cvt_f32_f16 v8, v1;
	;;#ASMEND
	s_and_saveexec_b32 s19, vcc_lo
	s_cbranch_execz .LBB268_512
; %bb.976:                              ;   in Loop: Header=BB268_513 Depth=1
	v_add_co_u32 v5, s1, v5, v26
	v_add_co_ci_u32_e64 v6, null, 0, v6, s1
	v_mov_b32_e32 v49, 0
	v_mov_b32_e32 v50, 0
	global_load_dwordx2 v[5:6], v[5:6], off
	global_load_dword v48, v49, s[14:15]
	s_waitcnt vmcnt(1)
	v_cmp_ne_u16_sdwa s1, v5, v2 src0_sel:BYTE_0 src1_sel:DWORD
	s_and_saveexec_b32 s22, s1
	s_cbranch_execz .LBB268_984
; %bb.977:                              ;   in Loop: Header=BB268_513 Depth=1
	v_cmp_ne_u16_sdwa s1, v5, v28 src0_sel:BYTE_0 src1_sel:DWORD
	v_mov_b32_e32 v50, 0x8000
	s_and_saveexec_b32 s23, s1
	s_cbranch_execz .LBB268_983
; %bb.978:                              ;   in Loop: Header=BB268_513 Depth=1
	v_and_b32_e32 v51, 0x7f, v5
	v_mov_b32_e32 v50, 0x7c01
	s_mov_b32 s24, exec_lo
	v_cmpx_ne_u32_e32 0x7f, v51
	s_cbranch_execz .LBB268_982
; %bb.979:                              ;   in Loop: Header=BB268_513 Depth=1
	v_and_b32_e32 v1, 7, v5
	v_lshrrev_b32_e32 v50, 3, v51
	s_mov_b32 s25, exec_lo
	v_cmpx_gt_u32_e32 8, v51
; %bb.980:                              ;   in Loop: Header=BB268_513 Depth=1
	v_ffbh_u32_e32 v1, v1
	v_min_u32_e32 v1, 32, v1
	v_subrev_nc_u32_e32 v50, 28, v1
	v_lshlrev_b64 v[51:52], v50, v[5:6]
	v_sub_nc_u32_e32 v50, 29, v1
	v_and_b32_e32 v1, 7, v51
; %bb.981:                              ;   in Loop: Header=BB268_513 Depth=1
	s_or_b32 exec_lo, exec_lo, s25
	v_lshlrev_b32_e32 v51, 8, v5
	v_lshl_add_u32 v50, v50, 10, 0x2000
	v_lshlrev_b32_e32 v1, 7, v1
	v_and_b32_e32 v51, 0x8000, v51
	v_and_b32_e32 v50, 0xfc00, v50
	v_or3_b32 v50, v51, v50, v1
.LBB268_982:                            ;   in Loop: Header=BB268_513 Depth=1
	s_or_b32 exec_lo, exec_lo, s24
.LBB268_983:                            ;   in Loop: Header=BB268_513 Depth=1
	s_or_b32 exec_lo, exec_lo, s23
.LBB268_984:                            ;   in Loop: Header=BB268_513 Depth=1
	s_or_b32 exec_lo, exec_lo, s22
	v_lshrrev_b16 v1, 8, v5
	s_mov_b32 s22, exec_lo
	v_cmpx_ne_u16_e32 0, v1
	s_cbranch_execz .LBB268_992
; %bb.985:                              ;   in Loop: Header=BB268_513 Depth=1
	v_bfrev_b32_e32 v49, 1
	s_mov_b32 s23, exec_lo
	v_cmpx_ne_u16_e32 0x80, v1
	s_cbranch_execz .LBB268_991
; %bb.986:                              ;   in Loop: Header=BB268_513 Depth=1
	v_and_b32_sdwa v52, v1, v29 dst_sel:DWORD dst_unused:UNUSED_PAD src0_sel:WORD_0 src1_sel:DWORD
	v_mov_b32_e32 v49, 0x7c010000
	s_mov_b32 s24, exec_lo
	v_cmpx_ne_u32_e32 0x7f, v52
	s_cbranch_execz .LBB268_990
; %bb.987:                              ;   in Loop: Header=BB268_513 Depth=1
	v_and_b32_sdwa v49, v1, v30 dst_sel:DWORD dst_unused:UNUSED_PAD src0_sel:WORD_0 src1_sel:DWORD
	v_lshrrev_b32_e32 v51, 3, v52
	s_mov_b32 s25, exec_lo
	v_cmpx_gt_u32_e32 8, v52
; %bb.988:                              ;   in Loop: Header=BB268_513 Depth=1
	v_ffbh_u32_e32 v49, v49
	v_min_u32_e32 v49, 32, v49
	v_subrev_nc_u32_e32 v51, 28, v49
	v_lshlrev_b64 v[52:53], v51, v[1:2]
	v_sub_nc_u32_e32 v51, 29, v49
	v_and_b32_e32 v49, 7, v52
; %bb.989:                              ;   in Loop: Header=BB268_513 Depth=1
	s_or_b32 exec_lo, exec_lo, s25
	v_lshlrev_b32_sdwa v1, v31, v1 dst_sel:DWORD dst_unused:UNUSED_PAD src0_sel:DWORD src1_sel:WORD_0
	v_lshl_add_u32 v51, v51, 10, 0x2000
	v_lshlrev_b32_e32 v49, 23, v49
	v_and_or_b32 v1, 0x8000, v1, v51
	v_lshl_or_b32 v49, v1, 16, v49
.LBB268_990:                            ;   in Loop: Header=BB268_513 Depth=1
	s_or_b32 exec_lo, exec_lo, s24
.LBB268_991:                            ;   in Loop: Header=BB268_513 Depth=1
	s_or_b32 exec_lo, exec_lo, s23
.LBB268_992:                            ;   in Loop: Header=BB268_513 Depth=1
	s_or_b32 exec_lo, exec_lo, s22
	v_lshrrev_b32_e32 v1, 16, v5
	v_mov_b32_e32 v51, 0
	v_mov_b32_e32 v52, 0
	v_cmp_ne_u16_sdwa s1, v1, v2 src0_sel:BYTE_0 src1_sel:DWORD
	s_and_saveexec_b32 s22, s1
	s_cbranch_execz .LBB268_1000
; %bb.993:                              ;   in Loop: Header=BB268_513 Depth=1
	v_cmp_ne_u16_sdwa s1, v1, v28 src0_sel:BYTE_0 src1_sel:DWORD
	v_mov_b32_e32 v52, 0x8000
	s_and_saveexec_b32 s23, s1
	s_cbranch_execz .LBB268_999
; %bb.994:                              ;   in Loop: Header=BB268_513 Depth=1
	v_bfe_u32 v54, v5, 16, 7
	v_mov_b32_e32 v52, 0x7c01
	s_mov_b32 s24, exec_lo
	v_cmpx_ne_u32_e32 0x7f, v54
	s_cbranch_execz .LBB268_998
; %bb.995:                              ;   in Loop: Header=BB268_513 Depth=1
	v_and_b32_e32 v52, 7, v1
	v_lshrrev_b32_e32 v53, 3, v54
	s_mov_b32 s25, exec_lo
	v_cmpx_gt_u32_e32 8, v54
; %bb.996:                              ;   in Loop: Header=BB268_513 Depth=1
	v_ffbh_u32_e32 v52, v52
	v_min_u32_e32 v54, 32, v52
	v_subrev_nc_u32_e32 v52, 28, v54
	v_lshlrev_b64 v[52:53], v52, v[1:2]
	v_sub_nc_u32_e32 v53, 29, v54
	v_and_b32_e32 v52, 7, v52
; %bb.997:                              ;   in Loop: Header=BB268_513 Depth=1
	s_or_b32 exec_lo, exec_lo, s25
	v_lshlrev_b32_e32 v1, 8, v1
	v_lshl_add_u32 v53, v53, 10, 0x2000
	v_lshlrev_b32_e32 v52, 7, v52
	v_and_b32_e32 v1, 0x8000, v1
	v_and_b32_e32 v53, 0xfc00, v53
	v_or3_b32 v52, v1, v53, v52
.LBB268_998:                            ;   in Loop: Header=BB268_513 Depth=1
	s_or_b32 exec_lo, exec_lo, s24
.LBB268_999:                            ;   in Loop: Header=BB268_513 Depth=1
	s_or_b32 exec_lo, exec_lo, s23
.LBB268_1000:                           ;   in Loop: Header=BB268_513 Depth=1
	s_or_b32 exec_lo, exec_lo, s22
	s_mov_b32 s22, exec_lo
	v_cmpx_lt_u32_e32 0xffffff, v5
	s_cbranch_execz .LBB268_1008
; %bb.1001:                             ;   in Loop: Header=BB268_513 Depth=1
	v_lshrrev_b32_e32 v1, 24, v5
	v_bfrev_b32_e32 v51, 1
	s_mov_b32 s23, exec_lo
	v_cmpx_ne_u32_e32 0x80, v1
	s_cbranch_execz .LBB268_1007
; %bb.1002:                             ;   in Loop: Header=BB268_513 Depth=1
	v_and_b32_e32 v54, 0x7f, v1
	v_mov_b32_e32 v51, 0x7c010000
	s_mov_b32 s24, exec_lo
	v_cmpx_ne_u32_e32 0x7f, v54
	s_cbranch_execz .LBB268_1006
; %bb.1003:                             ;   in Loop: Header=BB268_513 Depth=1
	v_and_b32_e32 v51, 7, v1
	v_lshrrev_b32_e32 v53, 3, v54
	s_mov_b32 s25, exec_lo
	v_cmpx_gt_u32_e32 8, v54
; %bb.1004:                             ;   in Loop: Header=BB268_513 Depth=1
	v_ffbh_u32_e32 v51, v51
	v_min_u32_e32 v51, 32, v51
	v_subrev_nc_u32_e32 v53, 28, v51
	v_lshlrev_b64 v[54:55], v53, v[1:2]
	v_sub_nc_u32_e32 v53, 29, v51
	v_and_b32_e32 v51, 7, v54
; %bb.1005:                             ;   in Loop: Header=BB268_513 Depth=1
	s_or_b32 exec_lo, exec_lo, s25
	v_lshlrev_b32_e32 v1, 8, v1
	v_lshl_add_u32 v53, v53, 10, 0x2000
	v_lshlrev_b32_e32 v51, 23, v51
	v_and_or_b32 v1, 0x8000, v1, v53
	v_lshl_or_b32 v51, v1, 16, v51
.LBB268_1006:                           ;   in Loop: Header=BB268_513 Depth=1
	s_or_b32 exec_lo, exec_lo, s24
.LBB268_1007:                           ;   in Loop: Header=BB268_513 Depth=1
	s_or_b32 exec_lo, exec_lo, s23
.LBB268_1008:                           ;   in Loop: Header=BB268_513 Depth=1
	s_or_b32 exec_lo, exec_lo, s22
	v_mov_b32_e32 v1, v6
	v_cmp_ne_u16_sdwa s1, v6, v2 src0_sel:BYTE_0 src1_sel:DWORD
	v_mov_b32_e32 v53, 0
	v_mov_b32_e32 v54, 0
	s_and_saveexec_b32 s22, s1
	s_cbranch_execz .LBB268_1016
; %bb.1009:                             ;   in Loop: Header=BB268_513 Depth=1
	v_cmp_ne_u16_sdwa s1, v6, v28 src0_sel:BYTE_0 src1_sel:DWORD
	v_mov_b32_e32 v54, 0x8000
	s_and_saveexec_b32 s23, s1
	s_cbranch_execz .LBB268_1015
; %bb.1010:                             ;   in Loop: Header=BB268_513 Depth=1
	v_and_b32_e32 v56, 0x7f, v6
	v_mov_b32_e32 v54, 0x7c01
	s_mov_b32 s24, exec_lo
	v_cmpx_ne_u32_e32 0x7f, v56
	s_cbranch_execz .LBB268_1014
; %bb.1011:                             ;   in Loop: Header=BB268_513 Depth=1
	v_and_b32_e32 v54, 7, v6
	v_lshrrev_b32_e32 v55, 3, v56
	s_mov_b32 s25, exec_lo
	v_cmpx_gt_u32_e32 8, v56
; %bb.1012:                             ;   in Loop: Header=BB268_513 Depth=1
	v_ffbh_u32_e32 v54, v54
	v_min_u32_e32 v56, 32, v54
	v_subrev_nc_u32_e32 v54, 28, v56
	v_lshlrev_b64 v[54:55], v54, v[1:2]
	v_sub_nc_u32_e32 v55, 29, v56
	v_and_b32_e32 v54, 7, v54
; %bb.1013:                             ;   in Loop: Header=BB268_513 Depth=1
	s_or_b32 exec_lo, exec_lo, s25
	v_lshlrev_b32_e32 v56, 8, v6
	v_lshl_add_u32 v55, v55, 10, 0x2000
	v_lshlrev_b32_e32 v54, 7, v54
	v_and_b32_e32 v56, 0x8000, v56
	v_and_b32_e32 v55, 0xfc00, v55
	v_or3_b32 v54, v56, v55, v54
.LBB268_1014:                           ;   in Loop: Header=BB268_513 Depth=1
	s_or_b32 exec_lo, exec_lo, s24
.LBB268_1015:                           ;   in Loop: Header=BB268_513 Depth=1
	s_or_b32 exec_lo, exec_lo, s23
.LBB268_1016:                           ;   in Loop: Header=BB268_513 Depth=1
	s_or_b32 exec_lo, exec_lo, s22
	v_lshrrev_b16 v1, 8, v1
	v_mov_b32_e32 v55, 0
	s_mov_b32 s22, exec_lo
	v_cmpx_ne_u16_e32 0, v1
	s_cbranch_execz .LBB268_1024
; %bb.1017:                             ;   in Loop: Header=BB268_513 Depth=1
	v_bfrev_b32_e32 v55, 1
	s_mov_b32 s23, exec_lo
	v_cmpx_ne_u16_e32 0x80, v1
	s_cbranch_execz .LBB268_1023
; %bb.1018:                             ;   in Loop: Header=BB268_513 Depth=1
	v_and_b32_sdwa v57, v1, v29 dst_sel:DWORD dst_unused:UNUSED_PAD src0_sel:WORD_0 src1_sel:DWORD
	v_mov_b32_e32 v55, 0x7c010000
	s_mov_b32 s24, exec_lo
	v_cmpx_ne_u32_e32 0x7f, v57
	s_cbranch_execz .LBB268_1022
; %bb.1019:                             ;   in Loop: Header=BB268_513 Depth=1
	v_and_b32_sdwa v55, v1, v30 dst_sel:DWORD dst_unused:UNUSED_PAD src0_sel:WORD_0 src1_sel:DWORD
	v_lshrrev_b32_e32 v56, 3, v57
	s_mov_b32 s25, exec_lo
	v_cmpx_gt_u32_e32 8, v57
; %bb.1020:                             ;   in Loop: Header=BB268_513 Depth=1
	v_ffbh_u32_e32 v55, v55
	v_min_u32_e32 v57, 32, v55
	v_subrev_nc_u32_e32 v55, 28, v57
	v_lshlrev_b64 v[55:56], v55, v[1:2]
	v_sub_nc_u32_e32 v56, 29, v57
	v_and_b32_e32 v55, 7, v55
; %bb.1021:                             ;   in Loop: Header=BB268_513 Depth=1
	s_or_b32 exec_lo, exec_lo, s25
	v_lshlrev_b32_sdwa v1, v31, v1 dst_sel:DWORD dst_unused:UNUSED_PAD src0_sel:DWORD src1_sel:WORD_0
	v_lshl_add_u32 v56, v56, 10, 0x2000
	v_lshlrev_b32_e32 v55, 23, v55
	v_and_or_b32 v1, 0x8000, v1, v56
	v_lshl_or_b32 v55, v1, 16, v55
.LBB268_1022:                           ;   in Loop: Header=BB268_513 Depth=1
	s_or_b32 exec_lo, exec_lo, s24
.LBB268_1023:                           ;   in Loop: Header=BB268_513 Depth=1
	s_or_b32 exec_lo, exec_lo, s23
.LBB268_1024:                           ;   in Loop: Header=BB268_513 Depth=1
	s_or_b32 exec_lo, exec_lo, s22
	v_lshrrev_b32_e32 v1, 16, v6
	v_cmp_ne_u16_sdwa s1, v1, v2 src0_sel:BYTE_0 src1_sel:DWORD
	s_and_saveexec_b32 s22, s1
	s_cbranch_execz .LBB268_1032
; %bb.1025:                             ;   in Loop: Header=BB268_513 Depth=1
	v_cmp_ne_u16_sdwa s1, v1, v28 src0_sel:BYTE_0 src1_sel:DWORD
	v_mov_b32_e32 v53, 0x8000
	s_and_saveexec_b32 s23, s1
	s_cbranch_execz .LBB268_1031
; %bb.1026:                             ;   in Loop: Header=BB268_513 Depth=1
	v_bfe_u32 v57, v6, 16, 7
	v_mov_b32_e32 v53, 0x7c01
	s_mov_b32 s24, exec_lo
	v_cmpx_ne_u32_e32 0x7f, v57
	s_cbranch_execz .LBB268_1030
; %bb.1027:                             ;   in Loop: Header=BB268_513 Depth=1
	v_and_b32_e32 v53, 7, v1
	v_lshrrev_b32_e32 v56, 3, v57
	s_mov_b32 s25, exec_lo
	v_cmpx_gt_u32_e32 8, v57
; %bb.1028:                             ;   in Loop: Header=BB268_513 Depth=1
	v_ffbh_u32_e32 v53, v53
	v_min_u32_e32 v53, 32, v53
	v_subrev_nc_u32_e32 v56, 28, v53
	v_lshlrev_b64 v[57:58], v56, v[1:2]
	v_sub_nc_u32_e32 v56, 29, v53
	v_and_b32_e32 v53, 7, v57
; %bb.1029:                             ;   in Loop: Header=BB268_513 Depth=1
	s_or_b32 exec_lo, exec_lo, s25
	v_lshlrev_b32_e32 v1, 8, v1
	v_lshl_add_u32 v56, v56, 10, 0x2000
	v_lshlrev_b32_e32 v53, 7, v53
	v_and_b32_e32 v1, 0x8000, v1
	v_and_b32_e32 v56, 0xfc00, v56
	v_or3_b32 v53, v1, v56, v53
.LBB268_1030:                           ;   in Loop: Header=BB268_513 Depth=1
	s_or_b32 exec_lo, exec_lo, s24
.LBB268_1031:                           ;   in Loop: Header=BB268_513 Depth=1
	s_or_b32 exec_lo, exec_lo, s23
.LBB268_1032:                           ;   in Loop: Header=BB268_513 Depth=1
	s_or_b32 exec_lo, exec_lo, s22
	v_cmp_lt_u64_e64 s1, s[4:5], v[5:6]
	v_mov_b32_e32 v5, 0
	s_and_saveexec_b32 s22, s1
	s_cbranch_execz .LBB268_1040
; %bb.1033:                             ;   in Loop: Header=BB268_513 Depth=1
	v_lshrrev_b32_e32 v1, 24, v6
	v_bfrev_b32_e32 v5, 1
	s_mov_b32 s23, exec_lo
	v_cmpx_ne_u32_e32 0x80, v1
	s_cbranch_execz .LBB268_1039
; %bb.1034:                             ;   in Loop: Header=BB268_513 Depth=1
	v_and_b32_e32 v56, 0x7f, v1
	v_mov_b32_e32 v5, 0x7c010000
	s_mov_b32 s24, exec_lo
	v_cmpx_ne_u32_e32 0x7f, v56
	s_cbranch_execz .LBB268_1038
; %bb.1035:                             ;   in Loop: Header=BB268_513 Depth=1
	v_and_b32_e32 v5, 7, v1
	v_lshrrev_b32_e32 v6, 3, v56
	s_mov_b32 s25, exec_lo
	v_cmpx_gt_u32_e32 8, v56
; %bb.1036:                             ;   in Loop: Header=BB268_513 Depth=1
	v_ffbh_u32_e32 v5, v5
	v_min_u32_e32 v56, 32, v5
	v_subrev_nc_u32_e32 v5, 28, v56
	v_lshlrev_b64 v[5:6], v5, v[1:2]
	v_sub_nc_u32_e32 v6, 29, v56
	v_and_b32_e32 v5, 7, v5
; %bb.1037:                             ;   in Loop: Header=BB268_513 Depth=1
	s_or_b32 exec_lo, exec_lo, s25
	v_lshlrev_b32_e32 v1, 8, v1
	v_lshl_add_u32 v6, v6, 10, 0x2000
	v_lshlrev_b32_e32 v5, 23, v5
	v_and_or_b32 v1, 0x8000, v1, v6
	v_lshl_or_b32 v5, v1, 16, v5
.LBB268_1038:                           ;   in Loop: Header=BB268_513 Depth=1
	s_or_b32 exec_lo, exec_lo, s24
.LBB268_1039:                           ;   in Loop: Header=BB268_513 Depth=1
	s_or_b32 exec_lo, exec_lo, s23
.LBB268_1040:                           ;   in Loop: Header=BB268_513 Depth=1
	s_or_b32 exec_lo, exec_lo, s22
	v_or_b32_e32 v1, v51, v52
	s_waitcnt vmcnt(0)
	v_fma_mixlo_f16 v6, v48, v51, 0 op_sel:[0,1,0] op_sel_hi:[0,1,0]
	v_or_b32_e32 v50, v49, v50
	v_fma_mixlo_f16 v49, v48, v49, 0 op_sel:[0,1,0] op_sel_hi:[0,1,0]
	v_or_b32_e32 v52, v55, v54
	v_or_b32_e32 v53, v5, v53
	v_fma_mixlo_f16 v54, v48, v1, 0 op_sel_hi:[0,1,0]
	v_lshlrev_b32_e32 v1, 16, v6
	v_lshlrev_b32_e32 v51, 16, v49
	v_fma_mixlo_f16 v6, v48, v50, 0 op_sel_hi:[0,1,0]
	v_fma_mixlo_f16 v49, v48, v55, 0 op_sel:[0,1,0] op_sel_hi:[0,1,0]
	v_fma_mixlo_f16 v52, v48, v52, 0 op_sel_hi:[0,1,0]
	v_fma_mixlo_f16 v5, v48, v5, 0 op_sel:[0,1,0] op_sel_hi:[0,1,0]
	v_fma_mixlo_f16 v48, v48, v53, 0 op_sel_hi:[0,1,0]
	v_and_b32_e32 v50, 0xffff, v54
	v_and_b32_e32 v56, 0xffff, v6
	v_lshlrev_b32_e32 v6, 16, v49
	v_and_b32_e32 v49, 0xffff, v52
	v_lshlrev_b32_e32 v5, 16, v5
	v_and_b32_e32 v48, 0xffff, v48
	v_or_b32_e32 v54, v1, v50
	v_or_b32_e32 v55, v51, v56
	;; [unrolled: 1-line block ×4, first 2 shown]
	s_and_saveexec_b32 s1, s0
	s_cbranch_execz .LBB268_511
; %bb.1041:                             ;   in Loop: Header=BB268_513 Depth=1
	v_add_nc_u32_e32 v52, -6, v27
	v_cmp_gt_i32_e64 s0, s11, v33
	v_add_nc_u32_e32 v53, -5, v27
	v_add_nc_u32_e32 v54, -2, v27
	v_cndmask_b32_e64 v33, 0, v56, s0
	v_cmp_gt_i32_e64 s0, s11, v52
	v_add_nc_u32_e32 v52, -4, v27
	v_cndmask_b32_e64 v51, 0, v51, s0
	v_cmp_gt_i32_e64 s0, s11, v53
	v_add_nc_u32_e32 v53, -3, v27
	v_or_b32_e32 v55, v51, v33
	v_cndmask_b32_e64 v50, 0, v50, s0
	v_cmp_gt_i32_e64 s0, s11, v52
	v_add_nc_u32_e32 v52, -1, v27
	v_cndmask_b32_e64 v1, 0, v1, s0
	v_cmp_gt_i32_e64 s0, s11, v53
	v_cndmask_b32_e64 v49, 0, v49, s0
	v_cmp_gt_i32_e64 s0, s11, v54
	v_or_b32_e32 v54, v1, v50
	v_cndmask_b32_e64 v6, 0, v6, s0
	v_cmp_gt_i32_e64 s0, s11, v52
	v_or_b32_e32 v53, v6, v49
	v_cndmask_b32_e64 v48, 0, v48, s0
	v_cmp_gt_i32_e64 s0, s11, v27
	v_cndmask_b32_e64 v5, 0, v5, s0
	v_or_b32_e32 v52, v5, v48
	s_branch .LBB268_511
.LBB268_1042:
	s_or_b32 exec_lo, exec_lo, s18
.LBB268_1043:
	s_or_b32 exec_lo, exec_lo, s12
	ds_bpermute_b32 v1, v15, v23
	ds_bpermute_b32 v2, v15, v24
	;; [unrolled: 1-line block ×8, first 2 shown]
	s_movk_i32 s0, 0x1e0
	v_cmp_eq_u32_e32 vcc_lo, 0, v12
	v_and_b32_e32 v12, 0x3c0, v0
	v_mad_u32_u24 v9, v13, s0, 0x110
	s_mov_b32 s1, exec_lo
	s_waitcnt lgkmcnt(0)
	s_barrier
	buffer_gl0_inv
	v_add_f32_e32 v8, v23, v1
	v_add_f32_e32 v7, v24, v2
	;; [unrolled: 1-line block ×8, first 2 shown]
	v_cmpx_eq_u32_e32 64, v12
	s_cbranch_execz .LBB268_1048
; %bb.1044:
	v_add_nc_u32_e32 v10, 0xfffffc40, v9
	s_and_saveexec_b32 s0, vcc_lo
	s_cbranch_execz .LBB268_1046
; %bb.1045:
	v_lshl_add_u32 v12, v14, 2, v10
	ds_write2_b32 v12, v8, v7 offset1:16
	ds_write2_b32 v12, v6, v5 offset0:32 offset1:48
	ds_write2_b32 v12, v4, v3 offset0:64 offset1:80
	ds_write_b32 v12, v2 offset:384
.LBB268_1046:
	s_or_b32 exec_lo, exec_lo, s0
	v_or_b32_e32 v12, 0x70, v14
	v_cmp_gt_u32_e64 s0, 0x78, v12
	s_and_b32 s0, vcc_lo, s0
	s_and_b32 exec_lo, exec_lo, s0
; %bb.1047:
	v_lshl_add_u32 v10, v12, 2, v10
	ds_write_b32 v10, v1
.LBB268_1048:
	s_or_b32 exec_lo, exec_lo, s1
	s_mov_b32 s1, exec_lo
	s_waitcnt lgkmcnt(0)
	s_barrier
	buffer_gl0_inv
	v_cmpx_gt_u32_e32 64, v0
	s_cbranch_execz .LBB268_1060
; %bb.1049:
	s_and_saveexec_b32 s0, vcc_lo
	s_cbranch_execnz .LBB268_1095
; %bb.1050:
	s_or_b32 exec_lo, exec_lo, s0
	s_and_saveexec_b32 s0, vcc_lo
	s_cbranch_execnz .LBB268_1096
.LBB268_1051:
	s_or_b32 exec_lo, exec_lo, s0
	s_and_saveexec_b32 s0, vcc_lo
	s_cbranch_execnz .LBB268_1097
.LBB268_1052:
	s_or_b32 exec_lo, exec_lo, s0
	s_and_saveexec_b32 s0, vcc_lo
	s_cbranch_execnz .LBB268_1098
.LBB268_1053:
	s_or_b32 exec_lo, exec_lo, s0
	s_and_saveexec_b32 s0, vcc_lo
	s_cbranch_execnz .LBB268_1099
.LBB268_1054:
	s_or_b32 exec_lo, exec_lo, s0
	s_and_saveexec_b32 s0, vcc_lo
	s_cbranch_execnz .LBB268_1100
.LBB268_1055:
	s_or_b32 exec_lo, exec_lo, s0
	s_and_saveexec_b32 s0, vcc_lo
	s_cbranch_execz .LBB268_1057
.LBB268_1056:
	v_lshl_add_u32 v10, v14, 2, v9
	ds_read_b32 v10, v10 offset:384
	s_waitcnt lgkmcnt(0)
	v_add_f32_e32 v2, v2, v10
.LBB268_1057:
	s_or_b32 exec_lo, exec_lo, s0
	v_or_b32_e32 v10, 0x70, v14
	v_cmp_gt_u32_e64 s0, 0x78, v10
	s_and_b32 s2, vcc_lo, s0
	s_and_saveexec_b32 s0, s2
	s_cbranch_execz .LBB268_1059
; %bb.1058:
	v_lshl_add_u32 v10, v14, 2, v9
	ds_read_b32 v10, v10 offset:448
	s_waitcnt lgkmcnt(0)
	v_add_f32_e32 v1, v1, v10
.LBB268_1059:
	s_or_b32 exec_lo, exec_lo, s0
.LBB268_1060:
	s_or_b32 exec_lo, exec_lo, s1
	v_and_b32_e32 v10, 0x3e0, v0
	s_mov_b32 s1, exec_lo
	s_barrier
	buffer_gl0_inv
	v_cmpx_eq_u32_e32 32, v10
	s_cbranch_execz .LBB268_1065
; %bb.1061:
	v_lshl_add_u32 v10, v14, 2, 0x110
	s_and_saveexec_b32 s0, vcc_lo
	s_cbranch_execz .LBB268_1063
; %bb.1062:
	ds_write2_b32 v10, v8, v7 offset1:16
	ds_write2_b32 v10, v6, v5 offset0:32 offset1:48
	ds_write2_b32 v10, v4, v3 offset0:64 offset1:80
	ds_write_b32 v10, v2 offset:384
.LBB268_1063:
	s_or_b32 exec_lo, exec_lo, s0
	v_or_b32_e32 v12, 0x70, v14
	v_cmp_gt_u32_e64 s0, 0x78, v12
	s_and_b32 s0, vcc_lo, s0
	s_and_b32 exec_lo, exec_lo, s0
; %bb.1064:
	ds_write_b32 v10, v1 offset:448
.LBB268_1065:
	s_or_b32 exec_lo, exec_lo, s1
	v_cmp_gt_u32_e64 s0, 32, v0
	s_waitcnt lgkmcnt(0)
	s_barrier
	buffer_gl0_inv
	s_and_saveexec_b32 s2, s0
	s_cbranch_execz .LBB268_1077
; %bb.1066:
	v_lshl_add_u32 v0, v14, 2, v9
	s_and_saveexec_b32 s1, vcc_lo
	s_cbranch_execnz .LBB268_1101
; %bb.1067:
	s_or_b32 exec_lo, exec_lo, s1
	s_and_saveexec_b32 s1, vcc_lo
	s_cbranch_execnz .LBB268_1102
.LBB268_1068:
	s_or_b32 exec_lo, exec_lo, s1
	s_and_saveexec_b32 s1, vcc_lo
	s_cbranch_execnz .LBB268_1103
.LBB268_1069:
	s_or_b32 exec_lo, exec_lo, s1
	s_and_saveexec_b32 s1, vcc_lo
	s_cbranch_execnz .LBB268_1104
.LBB268_1070:
	s_or_b32 exec_lo, exec_lo, s1
	s_and_saveexec_b32 s1, vcc_lo
	s_cbranch_execnz .LBB268_1105
.LBB268_1071:
	s_or_b32 exec_lo, exec_lo, s1
	s_and_saveexec_b32 s1, vcc_lo
	s_cbranch_execnz .LBB268_1106
.LBB268_1072:
	s_or_b32 exec_lo, exec_lo, s1
	s_and_saveexec_b32 s1, vcc_lo
	s_cbranch_execz .LBB268_1074
.LBB268_1073:
	ds_read_b32 v9, v0 offset:384
	s_waitcnt lgkmcnt(0)
	v_add_f32_e32 v2, v2, v9
.LBB268_1074:
	s_or_b32 exec_lo, exec_lo, s1
	v_or_b32_e32 v9, 0x70, v14
	v_cmp_gt_u32_e64 s1, 0x78, v9
	s_and_b32 s3, vcc_lo, s1
	s_and_saveexec_b32 s1, s3
	s_cbranch_execz .LBB268_1076
; %bb.1075:
	ds_read_b32 v0, v0 offset:448
	s_waitcnt lgkmcnt(0)
	v_add_f32_e32 v1, v1, v0
.LBB268_1076:
	s_or_b32 exec_lo, exec_lo, s1
.LBB268_1077:
	s_or_b32 exec_lo, exec_lo, s2
	s_barrier
	buffer_gl0_inv
	s_and_saveexec_b32 s1, s0
	s_cbranch_execz .LBB268_1094
; %bb.1078:
	s_mul_i32 s0, s10, s7
	s_mul_i32 s2, s7, s6
	;; [unrolled: 1-line block ×3, first 2 shown]
	v_lshlrev_b32_e32 v0, 1, v11
	s_mulk_i32 s0, 0x78
	s_ashr_i32 s1, s0, 31
	s_lshl_b64 s[0:1], s[0:1], 1
	s_add_u32 s4, s20, s0
	s_addc_u32 s5, s21, s1
	s_ashr_i32 s3, s2, 31
	s_lshl_b64 s[0:1], s[2:3], 1
	s_mul_i32 s2, s8, 0x78
	s_add_u32 s4, s4, s0
	s_addc_u32 s5, s5, s1
	s_ashr_i32 s3, s2, 31
	s_lshl_b64 s[0:1], s[2:3], 1
	s_add_u32 s2, s4, s0
	s_addc_u32 s3, s5, s1
	s_and_saveexec_b32 s0, vcc_lo
	s_cbranch_execz .LBB268_1080
; %bb.1079:
	;;#ASMSTART
	v_cvt_f16_f32 v8, v8;

	;;#ASMEND
	global_store_short v0, v8, s[2:3]
.LBB268_1080:
	s_or_b32 exec_lo, exec_lo, s0
	v_or_b32_e32 v8, 16, v11
	v_cmp_gt_u32_e64 s0, 0x78, v8
	s_and_b32 s1, vcc_lo, s0
	s_and_saveexec_b32 s0, s1
	s_cbranch_execz .LBB268_1082
; %bb.1081:
	;;#ASMSTART
	v_cvt_f16_f32 v7, v7;

	;;#ASMEND
	global_store_short v0, v7, s[2:3] offset:32
.LBB268_1082:
	s_or_b32 exec_lo, exec_lo, s0
	v_or_b32_e32 v7, 32, v11
	v_cmp_gt_u32_e64 s0, 0x78, v7
	s_and_b32 s1, vcc_lo, s0
	s_and_saveexec_b32 s0, s1
	s_cbranch_execz .LBB268_1084
; %bb.1083:
	;;#ASMSTART
	v_cvt_f16_f32 v6, v6;

	;;#ASMEND
	global_store_short v0, v6, s[2:3] offset:64
.LBB268_1084:
	;; [unrolled: 13-line block ×6, first 2 shown]
	s_or_b32 exec_lo, exec_lo, s0
	v_or_b32_e32 v2, 0x70, v11
	v_cmp_gt_u32_e64 s0, 0x78, v2
	s_and_b32 s0, vcc_lo, s0
	s_and_b32 exec_lo, exec_lo, s0
	s_cbranch_execz .LBB268_1094
; %bb.1093:
	;;#ASMSTART
	v_cvt_f16_f32 v1, v1;

	;;#ASMEND
	global_store_short v0, v1, s[2:3] offset:224
.LBB268_1094:
	s_endpgm
.LBB268_1095:
	v_lshl_add_u32 v10, v14, 2, v9
	ds_read_b32 v10, v10
	s_waitcnt lgkmcnt(0)
	v_add_f32_e32 v8, v8, v10
	s_or_b32 exec_lo, exec_lo, s0
	s_and_saveexec_b32 s0, vcc_lo
	s_cbranch_execz .LBB268_1051
.LBB268_1096:
	v_lshl_add_u32 v10, v14, 2, v9
	ds_read_b32 v10, v10 offset:64
	s_waitcnt lgkmcnt(0)
	v_add_f32_e32 v7, v7, v10
	s_or_b32 exec_lo, exec_lo, s0
	s_and_saveexec_b32 s0, vcc_lo
	s_cbranch_execz .LBB268_1052
.LBB268_1097:
	v_lshl_add_u32 v10, v14, 2, v9
	ds_read_b32 v10, v10 offset:128
	s_waitcnt lgkmcnt(0)
	v_add_f32_e32 v6, v6, v10
	s_or_b32 exec_lo, exec_lo, s0
	s_and_saveexec_b32 s0, vcc_lo
	s_cbranch_execz .LBB268_1053
.LBB268_1098:
	v_lshl_add_u32 v10, v14, 2, v9
	ds_read_b32 v10, v10 offset:192
	s_waitcnt lgkmcnt(0)
	v_add_f32_e32 v5, v5, v10
	s_or_b32 exec_lo, exec_lo, s0
	s_and_saveexec_b32 s0, vcc_lo
	s_cbranch_execz .LBB268_1054
.LBB268_1099:
	v_lshl_add_u32 v10, v14, 2, v9
	ds_read_b32 v10, v10 offset:256
	s_waitcnt lgkmcnt(0)
	v_add_f32_e32 v4, v4, v10
	s_or_b32 exec_lo, exec_lo, s0
	s_and_saveexec_b32 s0, vcc_lo
	s_cbranch_execz .LBB268_1055
.LBB268_1100:
	v_lshl_add_u32 v10, v14, 2, v9
	ds_read_b32 v10, v10 offset:320
	s_waitcnt lgkmcnt(0)
	v_add_f32_e32 v3, v3, v10
	s_or_b32 exec_lo, exec_lo, s0
	s_and_saveexec_b32 s0, vcc_lo
	s_cbranch_execnz .LBB268_1056
	s_branch .LBB268_1057
.LBB268_1101:
	ds_read_b32 v9, v0
	s_waitcnt lgkmcnt(0)
	v_add_f32_e32 v8, v8, v9
	s_or_b32 exec_lo, exec_lo, s1
	s_and_saveexec_b32 s1, vcc_lo
	s_cbranch_execz .LBB268_1068
.LBB268_1102:
	ds_read_b32 v9, v0 offset:64
	s_waitcnt lgkmcnt(0)
	v_add_f32_e32 v7, v7, v9
	s_or_b32 exec_lo, exec_lo, s1
	s_and_saveexec_b32 s1, vcc_lo
	s_cbranch_execz .LBB268_1069
.LBB268_1103:
	ds_read_b32 v9, v0 offset:128
	s_waitcnt lgkmcnt(0)
	v_add_f32_e32 v6, v6, v9
	s_or_b32 exec_lo, exec_lo, s1
	s_and_saveexec_b32 s1, vcc_lo
	s_cbranch_execz .LBB268_1070
.LBB268_1104:
	ds_read_b32 v9, v0 offset:192
	s_waitcnt lgkmcnt(0)
	v_add_f32_e32 v5, v5, v9
	s_or_b32 exec_lo, exec_lo, s1
	s_and_saveexec_b32 s1, vcc_lo
	s_cbranch_execz .LBB268_1071
.LBB268_1105:
	ds_read_b32 v9, v0 offset:256
	s_waitcnt lgkmcnt(0)
	v_add_f32_e32 v4, v4, v9
	s_or_b32 exec_lo, exec_lo, s1
	s_and_saveexec_b32 s1, vcc_lo
	s_cbranch_execz .LBB268_1072
.LBB268_1106:
	ds_read_b32 v9, v0 offset:320
	s_waitcnt lgkmcnt(0)
	v_add_f32_e32 v3, v3, v9
	s_or_b32 exec_lo, exec_lo, s1
	s_and_saveexec_b32 s1, vcc_lo
	s_cbranch_execnz .LBB268_1073
	s_branch .LBB268_1074
	.section	.rodata,"a",@progbits
	.p2align	6, 0x0
	.amdhsa_kernel _ZN4vllm25paged_attention_v1_kernelIthLi120ELi16ELi128ELNS_18Fp8KVCacheDataTypeE1ELb0EEEvPT_PKS2_PKT0_S8_ifPKiSA_iPKfiiiSC_SC_iiiii
		.amdhsa_group_segment_fixed_size 272
		.amdhsa_private_segment_fixed_size 0
		.amdhsa_kernarg_size 384
		.amdhsa_user_sgpr_count 6
		.amdhsa_user_sgpr_private_segment_buffer 1
		.amdhsa_user_sgpr_dispatch_ptr 0
		.amdhsa_user_sgpr_queue_ptr 0
		.amdhsa_user_sgpr_kernarg_segment_ptr 1
		.amdhsa_user_sgpr_dispatch_id 0
		.amdhsa_user_sgpr_flat_scratch_init 0
		.amdhsa_user_sgpr_private_segment_size 0
		.amdhsa_wavefront_size32 1
		.amdhsa_uses_dynamic_stack 0
		.amdhsa_system_sgpr_private_segment_wavefront_offset 0
		.amdhsa_system_sgpr_workgroup_id_x 1
		.amdhsa_system_sgpr_workgroup_id_y 1
		.amdhsa_system_sgpr_workgroup_id_z 1
		.amdhsa_system_sgpr_workgroup_info 0
		.amdhsa_system_vgpr_workitem_id 0
		.amdhsa_next_free_vgpr 126
		.amdhsa_next_free_sgpr 35
		.amdhsa_reserve_vcc 1
		.amdhsa_reserve_flat_scratch 0
		.amdhsa_float_round_mode_32 0
		.amdhsa_float_round_mode_16_64 0
		.amdhsa_float_denorm_mode_32 3
		.amdhsa_float_denorm_mode_16_64 3
		.amdhsa_dx10_clamp 1
		.amdhsa_ieee_mode 1
		.amdhsa_fp16_overflow 0
		.amdhsa_workgroup_processor_mode 1
		.amdhsa_memory_ordered 1
		.amdhsa_forward_progress 1
		.amdhsa_shared_vgpr_count 0
		.amdhsa_exception_fp_ieee_invalid_op 0
		.amdhsa_exception_fp_denorm_src 0
		.amdhsa_exception_fp_ieee_div_zero 0
		.amdhsa_exception_fp_ieee_overflow 0
		.amdhsa_exception_fp_ieee_underflow 0
		.amdhsa_exception_fp_ieee_inexact 0
		.amdhsa_exception_int_div_zero 0
	.end_amdhsa_kernel
	.section	.text._ZN4vllm25paged_attention_v1_kernelIthLi120ELi16ELi128ELNS_18Fp8KVCacheDataTypeE1ELb0EEEvPT_PKS2_PKT0_S8_ifPKiSA_iPKfiiiSC_SC_iiiii,"axG",@progbits,_ZN4vllm25paged_attention_v1_kernelIthLi120ELi16ELi128ELNS_18Fp8KVCacheDataTypeE1ELb0EEEvPT_PKS2_PKT0_S8_ifPKiSA_iPKfiiiSC_SC_iiiii,comdat
.Lfunc_end268:
	.size	_ZN4vllm25paged_attention_v1_kernelIthLi120ELi16ELi128ELNS_18Fp8KVCacheDataTypeE1ELb0EEEvPT_PKS2_PKT0_S8_ifPKiSA_iPKfiiiSC_SC_iiiii, .Lfunc_end268-_ZN4vllm25paged_attention_v1_kernelIthLi120ELi16ELi128ELNS_18Fp8KVCacheDataTypeE1ELb0EEEvPT_PKS2_PKT0_S8_ifPKiSA_iPKfiiiSC_SC_iiiii
                                        ; -- End function
	.set _ZN4vllm25paged_attention_v1_kernelIthLi120ELi16ELi128ELNS_18Fp8KVCacheDataTypeE1ELb0EEEvPT_PKS2_PKT0_S8_ifPKiSA_iPKfiiiSC_SC_iiiii.num_vgpr, 126
	.set _ZN4vllm25paged_attention_v1_kernelIthLi120ELi16ELi128ELNS_18Fp8KVCacheDataTypeE1ELb0EEEvPT_PKS2_PKT0_S8_ifPKiSA_iPKfiiiSC_SC_iiiii.num_agpr, 0
	.set _ZN4vllm25paged_attention_v1_kernelIthLi120ELi16ELi128ELNS_18Fp8KVCacheDataTypeE1ELb0EEEvPT_PKS2_PKT0_S8_ifPKiSA_iPKfiiiSC_SC_iiiii.numbered_sgpr, 35
	.set _ZN4vllm25paged_attention_v1_kernelIthLi120ELi16ELi128ELNS_18Fp8KVCacheDataTypeE1ELb0EEEvPT_PKS2_PKT0_S8_ifPKiSA_iPKfiiiSC_SC_iiiii.num_named_barrier, 0
	.set _ZN4vllm25paged_attention_v1_kernelIthLi120ELi16ELi128ELNS_18Fp8KVCacheDataTypeE1ELb0EEEvPT_PKS2_PKT0_S8_ifPKiSA_iPKfiiiSC_SC_iiiii.private_seg_size, 0
	.set _ZN4vllm25paged_attention_v1_kernelIthLi120ELi16ELi128ELNS_18Fp8KVCacheDataTypeE1ELb0EEEvPT_PKS2_PKT0_S8_ifPKiSA_iPKfiiiSC_SC_iiiii.uses_vcc, 1
	.set _ZN4vllm25paged_attention_v1_kernelIthLi120ELi16ELi128ELNS_18Fp8KVCacheDataTypeE1ELb0EEEvPT_PKS2_PKT0_S8_ifPKiSA_iPKfiiiSC_SC_iiiii.uses_flat_scratch, 0
	.set _ZN4vllm25paged_attention_v1_kernelIthLi120ELi16ELi128ELNS_18Fp8KVCacheDataTypeE1ELb0EEEvPT_PKS2_PKT0_S8_ifPKiSA_iPKfiiiSC_SC_iiiii.has_dyn_sized_stack, 0
	.set _ZN4vllm25paged_attention_v1_kernelIthLi120ELi16ELi128ELNS_18Fp8KVCacheDataTypeE1ELb0EEEvPT_PKS2_PKT0_S8_ifPKiSA_iPKfiiiSC_SC_iiiii.has_recursion, 0
	.set _ZN4vllm25paged_attention_v1_kernelIthLi120ELi16ELi128ELNS_18Fp8KVCacheDataTypeE1ELb0EEEvPT_PKS2_PKT0_S8_ifPKiSA_iPKfiiiSC_SC_iiiii.has_indirect_call, 0
	.section	.AMDGPU.csdata,"",@progbits
; Kernel info:
; codeLenInByte = 35612
; TotalNumSgprs: 37
; NumVgprs: 126
; ScratchSize: 0
; MemoryBound: 0
; FloatMode: 240
; IeeeMode: 1
; LDSByteSize: 272 bytes/workgroup (compile time only)
; SGPRBlocks: 0
; VGPRBlocks: 15
; NumSGPRsForWavesPerEU: 37
; NumVGPRsForWavesPerEU: 126
; Occupancy: 8
; WaveLimiterHint : 1
; COMPUTE_PGM_RSRC2:SCRATCH_EN: 0
; COMPUTE_PGM_RSRC2:USER_SGPR: 6
; COMPUTE_PGM_RSRC2:TRAP_HANDLER: 0
; COMPUTE_PGM_RSRC2:TGID_X_EN: 1
; COMPUTE_PGM_RSRC2:TGID_Y_EN: 1
; COMPUTE_PGM_RSRC2:TGID_Z_EN: 1
; COMPUTE_PGM_RSRC2:TIDIG_COMP_CNT: 0
	.section	.text._ZN4vllm25paged_attention_v1_kernelIthLi128ELi16ELi128ELNS_18Fp8KVCacheDataTypeE1ELb0EEEvPT_PKS2_PKT0_S8_ifPKiSA_iPKfiiiSC_SC_iiiii,"axG",@progbits,_ZN4vllm25paged_attention_v1_kernelIthLi128ELi16ELi128ELNS_18Fp8KVCacheDataTypeE1ELb0EEEvPT_PKS2_PKT0_S8_ifPKiSA_iPKfiiiSC_SC_iiiii,comdat
	.protected	_ZN4vllm25paged_attention_v1_kernelIthLi128ELi16ELi128ELNS_18Fp8KVCacheDataTypeE1ELb0EEEvPT_PKS2_PKT0_S8_ifPKiSA_iPKfiiiSC_SC_iiiii ; -- Begin function _ZN4vllm25paged_attention_v1_kernelIthLi128ELi16ELi128ELNS_18Fp8KVCacheDataTypeE1ELb0EEEvPT_PKS2_PKT0_S8_ifPKiSA_iPKfiiiSC_SC_iiiii
	.globl	_ZN4vllm25paged_attention_v1_kernelIthLi128ELi16ELi128ELNS_18Fp8KVCacheDataTypeE1ELb0EEEvPT_PKS2_PKT0_S8_ifPKiSA_iPKfiiiSC_SC_iiiii
	.p2align	8
	.type	_ZN4vllm25paged_attention_v1_kernelIthLi128ELi16ELi128ELNS_18Fp8KVCacheDataTypeE1ELb0EEEvPT_PKS2_PKT0_S8_ifPKiSA_iPKfiiiSC_SC_iiiii,@function
_ZN4vllm25paged_attention_v1_kernelIthLi128ELi16ELi128ELNS_18Fp8KVCacheDataTypeE1ELb0EEEvPT_PKS2_PKT0_S8_ifPKiSA_iPKfiiiSC_SC_iiiii: ; @_ZN4vllm25paged_attention_v1_kernelIthLi128ELi16ELi128ELNS_18Fp8KVCacheDataTypeE1ELb0EEEvPT_PKS2_PKT0_S8_ifPKiSA_iPKfiiiSC_SC_iiiii
; %bb.0:
	s_clause 0x2
	s_load_dword s9, s[4:5], 0x80
	s_load_dwordx2 s[0:1], s[4:5], 0x30
	s_load_dwordx2 s[28:29], s[4:5], 0x20
	s_mov_b32 s10, s7
	s_ashr_i32 s11, s7, 31
	s_lshl_b64 s[2:3], s[10:11], 2
	s_waitcnt lgkmcnt(0)
	s_add_u32 s0, s0, s2
	s_addc_u32 s1, s1, s3
	s_abs_i32 s2, s28
	s_abs_i32 s11, s9
	v_cvt_f32_u32_e32 v1, s2
	s_sub_i32 s7, 0, s2
	v_rcp_iflag_f32_e32 v1, v1
	v_mul_f32_e32 v1, 0x4f7ffffe, v1
	v_cvt_u32_f32_e32 v1, v1
	v_readfirstlane_b32 s3, v1
	s_mul_i32 s7, s7, s3
	s_mul_hi_u32 s7, s3, s7
	s_add_i32 s3, s3, s7
	s_xor_b32 s7, s9, s28
	s_mul_hi_u32 s3, s11, s3
	s_ashr_i32 s7, s7, 31
	s_mul_i32 s12, s3, s2
	s_mov_b32 s28, 0
	s_sub_i32 s11, s11, s12
	s_add_i32 s12, s3, 1
	s_sub_i32 s13, s11, s2
	s_cmp_ge_u32 s11, s2
	s_cselect_b32 s3, s12, s3
	s_cselect_b32 s11, s13, s11
	s_add_i32 s12, s3, 1
	s_cmp_ge_u32 s11, s2
	s_cselect_b32 s2, s12, s3
	s_abs_i32 s13, s6
	s_xor_b32 s2, s2, s7
	s_sub_i32 s15, s2, s7
	s_load_dwordx2 s[2:3], s[4:5], 0x40
	s_abs_i32 s12, s15
	v_cvt_f32_u32_e32 v1, s12
	s_sub_i32 s11, 0, s12
	v_rcp_iflag_f32_e32 v1, v1
	v_mul_f32_e32 v1, 0x4f7ffffe, v1
	v_cvt_u32_f32_e32 v1, v1
	v_readfirstlane_b32 s7, v1
	s_mul_i32 s11, s11, s7
	s_mul_hi_u32 s11, s7, s11
	s_add_i32 s7, s7, s11
	s_waitcnt lgkmcnt(0)
	s_cmp_eq_u64 s[2:3], 0
	s_mul_hi_u32 s14, s13, s7
	s_cbranch_scc1 .LBB269_2
; %bb.1:
	s_ashr_i32 s7, s6, 31
	s_lshl_b64 s[16:17], s[6:7], 2
	s_add_u32 s2, s2, s16
	s_addc_u32 s3, s3, s17
	s_load_dword s28, s[2:3], 0x0
.LBB269_2:
	s_load_dword s11, s[0:1], 0x0
	s_load_dwordx4 s[16:19], s[4:5], 0x48
	v_lshrrev_b32_e32 v11, 1, v0
	v_and_b32_e32 v12, 1, v0
	v_cmp_gt_u32_e64 s0, 32, v0
	v_lshlrev_b32_e32 v10, 3, v0
	s_ashr_i32 s1, s6, 31
	s_ashr_i32 s2, s15, 31
	s_lshl_b32 s6, s6, 7
	s_and_saveexec_b32 s3, s0
	s_cbranch_execz .LBB269_4
; %bb.3:
	s_load_dwordx2 s[20:21], s[4:5], 0x8
	s_waitcnt lgkmcnt(0)
	s_mul_i32 s22, s16, s10
	v_lshlrev_b32_e32 v3, 3, v11
	s_ashr_i32 s23, s22, 31
	s_lshl_b64 s[22:23], s[22:23], 1
	v_lshl_add_u32 v3, v12, 7, v3
	s_add_u32 s15, s20, s22
	s_addc_u32 s16, s21, s23
	s_ashr_i32 s7, s6, 31
	s_lshl_b64 s[20:21], s[6:7], 1
	s_add_u32 s20, s15, s20
	s_addc_u32 s21, s16, s21
	global_load_dwordx2 v[1:2], v10, s[20:21]
	s_waitcnt vmcnt(0)
	ds_write_b64 v3, v[1:2]
.LBB269_4:
	s_or_b32 exec_lo, exec_lo, s3
	s_waitcnt lgkmcnt(0)
	s_add_i32 s3, s11, 15
	s_clause 0x1
	s_load_dwordx2 s[22:23], s[4:5], 0x28
	s_load_dword s15, s[4:5], 0x38
	s_ashr_i32 s7, s3, 31
	s_xor_b32 s1, s1, s2
	s_lshr_b32 s7, s7, 28
	s_mul_i32 s2, s14, s12
	s_add_i32 s3, s3, s7
	s_sub_i32 s2, s13, s2
	s_ashr_i32 s16, s3, 4
	s_add_i32 s3, s14, 1
	s_sub_i32 s7, s2, s12
	s_cmp_ge_u32 s2, s12
	v_lshrrev_b32_e32 v13, 5, v0
	s_cselect_b32 s3, s3, s14
	s_cselect_b32 s2, s7, s2
	s_add_i32 s7, s3, 1
	s_cmp_ge_u32 s2, s12
	v_mbcnt_lo_u32_b32 v15, -1, 0
	s_cselect_b32 s2, s7, s3
	s_mov_b32 s3, exec_lo
	s_xor_b32 s2, s2, s1
	s_waitcnt lgkmcnt(0)
	s_mul_i32 s24, s15, s10
	s_sub_i32 s2, s2, s1
	v_cmp_gt_i32_e64 s1, s16, v13
	s_ashr_i32 s25, s24, 31
	s_barrier
	buffer_gl0_inv
                                        ; implicit-def: $vgpr2
                                        ; implicit-def: $vgpr16
	v_cmpx_le_i32_e64 s16, v13
	s_xor_b32 s3, exec_lo, s3
; %bb.5:
	v_mov_b32_e32 v2, 0
	v_mbcnt_lo_u32_b32 v15, -1, 0
	v_mov_b32_e32 v16, 32
; %bb.6:
	s_or_saveexec_b32 s19, s3
	s_clause 0x3
	s_load_dwordx2 s[20:21], s[4:5], 0x0
	s_load_dwordx2 s[26:27], s[4:5], 0x18
	s_load_dword s7, s[4:5], 0x88
	s_load_dwordx4 s[12:15], s[4:5], 0x58
	v_mov_b32_e32 v17, 0xff7fffff
	v_lshrrev_b32_e32 v14, 3, v0
	s_mul_i32 s18, s2, s18
	s_xor_b32 exec_lo, exec_lo, s19
	s_cbranch_execz .LBB269_524
; %bb.7:
	s_load_dwordx2 s[4:5], s[4:5], 0x10
	v_bfe_u32 v1, v0, 1, 4
	s_ashr_i32 s3, s18, 31
	v_lshlrev_b32_e32 v4, 2, v12
	v_and_b32_e32 v5, 0x7c, v14
	v_mov_b32_e32 v2, 0
	v_lshlrev_b32_e32 v3, 2, v1
	v_lshlrev_b32_e32 v6, 4, v1
	v_lshl_or_b32 v19, v13, 4, v1
	v_lshlrev_b32_e32 v18, 7, v12
	v_cmp_neq_f32_e64 s2, s28, 0
	v_lshl_or_b32 v3, v13, 6, v3
	v_mov_b32_e32 v17, 0xff7fffff
	v_mov_b32_e32 v16, 32
	;; [unrolled: 1-line block ×4, first 2 shown]
	v_add_nc_u32_e32 v20, 0x120, v3
	v_mov_b32_e32 v23, 7
	v_mov_b32_e32 v24, 8
	;; [unrolled: 1-line block ×3, first 2 shown]
	s_waitcnt lgkmcnt(0)
	s_add_u32 s4, s4, s18
	s_addc_u32 s3, s5, s3
	v_add_co_u32 v1, s4, s4, v6
	v_add_co_ci_u32_e64 v6, null, s3, 0, s4
	s_lshl_b64 s[30:31], s[24:25], 2
	s_sub_i32 s5, 1, s11
	s_add_u32 s4, s22, s30
	v_add_co_u32 v3, s3, v1, v4
	s_addc_u32 s30, s23, s31
	v_add_co_ci_u32_e64 v4, null, 0, v6, s3
	v_add_co_u32 v5, s3, s4, v5
	v_add_co_ci_u32_e64 v6, null, s30, 0, s3
	s_mov_b32 s31, s17
	s_mov_b32 s30, 0
	v_cmp_eq_u32_e32 vcc_lo, 0, v12
	s_branch .LBB269_9
.LBB269_8:                              ;   in Loop: Header=BB269_9 Depth=1
	s_or_b32 exec_lo, exec_lo, s4
	v_add_nc_u32_e32 v25, 4, v25
	v_add_co_u32 v5, s4, v5, 16
	v_add_nc_u32_e32 v19, 64, v19
	v_add_nc_u32_e32 v20, 0x100, v20
	v_cmp_le_i32_e64 s3, s16, v25
	v_add_co_ci_u32_e64 v6, null, 0, v6, s4
	s_or_b32 s30, s3, s30
	s_andn2_b32 exec_lo, exec_lo, s30
	s_cbranch_execz .LBB269_523
.LBB269_9:                              ; =>This Inner Loop Header: Depth=1
	global_load_dword v1, v[5:6], off
	v_mov_b32_e32 v27, 0
	s_waitcnt vmcnt(0) lgkmcnt(0)
	v_mad_i64_i32 v[7:8], null, v1, s31, v[3:4]
	global_load_dword v9, v[7:8], off
	global_load_dword v26, v2, s[12:13]
	s_waitcnt vmcnt(1)
	v_cmp_ne_u16_sdwa s3, v9, v2 src0_sel:BYTE_0 src1_sel:DWORD
	s_and_saveexec_b32 s4, s3
	s_cbranch_execz .LBB269_17
; %bb.10:                               ;   in Loop: Header=BB269_9 Depth=1
	v_cmp_ne_u16_sdwa s3, v9, v21 src0_sel:BYTE_0 src1_sel:DWORD
	v_mov_b32_e32 v27, 0x8000
	s_and_saveexec_b32 s33, s3
	s_cbranch_execz .LBB269_16
; %bb.11:                               ;   in Loop: Header=BB269_9 Depth=1
	v_and_b32_e32 v28, 0x7f, v9
	v_mov_b32_e32 v27, 0x7c01
	s_mov_b32 s34, exec_lo
	v_cmpx_ne_u32_e32 0x7f, v28
	s_cbranch_execz .LBB269_15
; %bb.12:                               ;   in Loop: Header=BB269_9 Depth=1
	v_and_b32_e32 v1, 7, v9
	v_lshrrev_b32_e32 v27, 3, v28
	s_mov_b32 s35, exec_lo
	v_cmpx_gt_u32_e32 8, v28
; %bb.13:                               ;   in Loop: Header=BB269_9 Depth=1
	v_ffbh_u32_e32 v1, v1
	v_min_u32_e32 v1, 32, v1
	v_subrev_nc_u32_e32 v27, 28, v1
	v_lshlrev_b64 v[28:29], v27, v[9:10]
	v_sub_nc_u32_e32 v27, 29, v1
	v_and_b32_e32 v1, 7, v28
; %bb.14:                               ;   in Loop: Header=BB269_9 Depth=1
	s_or_b32 exec_lo, exec_lo, s35
	v_lshlrev_b32_e32 v28, 8, v9
	v_lshl_add_u32 v27, v27, 10, 0x2000
	v_lshlrev_b32_e32 v1, 7, v1
	v_and_b32_e32 v28, 0x8000, v28
	v_and_b32_e32 v27, 0xfc00, v27
	v_or3_b32 v27, v28, v27, v1
.LBB269_15:                             ;   in Loop: Header=BB269_9 Depth=1
	s_or_b32 exec_lo, exec_lo, s34
.LBB269_16:                             ;   in Loop: Header=BB269_9 Depth=1
	s_or_b32 exec_lo, exec_lo, s33
.LBB269_17:                             ;   in Loop: Header=BB269_9 Depth=1
	s_or_b32 exec_lo, exec_lo, s4
	v_lshrrev_b16 v1, 8, v9
	v_mov_b32_e32 v28, 0
	s_mov_b32 s4, exec_lo
	v_cmpx_ne_u16_e32 0, v1
	s_cbranch_execz .LBB269_25
; %bb.18:                               ;   in Loop: Header=BB269_9 Depth=1
	v_bfrev_b32_e32 v28, 1
	s_mov_b32 s33, exec_lo
	v_cmpx_ne_u16_e32 0x80, v1
	s_cbranch_execz .LBB269_24
; %bb.19:                               ;   in Loop: Header=BB269_9 Depth=1
	v_and_b32_sdwa v30, v1, v22 dst_sel:DWORD dst_unused:UNUSED_PAD src0_sel:WORD_0 src1_sel:DWORD
	v_mov_b32_e32 v28, 0x7c010000
	s_mov_b32 s34, exec_lo
	v_cmpx_ne_u32_e32 0x7f, v30
	s_cbranch_execz .LBB269_23
; %bb.20:                               ;   in Loop: Header=BB269_9 Depth=1
	v_and_b32_sdwa v28, v1, v23 dst_sel:DWORD dst_unused:UNUSED_PAD src0_sel:WORD_0 src1_sel:DWORD
	v_lshrrev_b32_e32 v29, 3, v30
	s_mov_b32 s35, exec_lo
	v_cmpx_gt_u32_e32 8, v30
; %bb.21:                               ;   in Loop: Header=BB269_9 Depth=1
	v_ffbh_u32_e32 v28, v28
	v_min_u32_e32 v30, 32, v28
	v_subrev_nc_u32_e32 v28, 28, v30
	v_lshlrev_b64 v[28:29], v28, v[1:2]
	v_sub_nc_u32_e32 v29, 29, v30
	v_and_b32_e32 v28, 7, v28
; %bb.22:                               ;   in Loop: Header=BB269_9 Depth=1
	s_or_b32 exec_lo, exec_lo, s35
	v_lshlrev_b32_sdwa v1, v24, v1 dst_sel:DWORD dst_unused:UNUSED_PAD src0_sel:DWORD src1_sel:WORD_0
	v_lshl_add_u32 v29, v29, 10, 0x2000
	v_lshlrev_b32_e32 v28, 23, v28
	v_and_or_b32 v1, 0x8000, v1, v29
	v_lshl_or_b32 v28, v1, 16, v28
.LBB269_23:                             ;   in Loop: Header=BB269_9 Depth=1
	s_or_b32 exec_lo, exec_lo, s34
.LBB269_24:                             ;   in Loop: Header=BB269_9 Depth=1
	s_or_b32 exec_lo, exec_lo, s33
.LBB269_25:                             ;   in Loop: Header=BB269_9 Depth=1
	s_or_b32 exec_lo, exec_lo, s4
	v_lshrrev_b32_e32 v1, 16, v9
	v_mov_b32_e32 v29, 0
	v_mov_b32_e32 v30, 0
	v_cmp_ne_u16_sdwa s3, v1, v2 src0_sel:BYTE_0 src1_sel:DWORD
	s_and_saveexec_b32 s4, s3
	s_cbranch_execz .LBB269_33
; %bb.26:                               ;   in Loop: Header=BB269_9 Depth=1
	v_cmp_ne_u16_sdwa s3, v1, v21 src0_sel:BYTE_0 src1_sel:DWORD
	v_mov_b32_e32 v30, 0x8000
	s_and_saveexec_b32 s33, s3
	s_cbranch_execz .LBB269_32
; %bb.27:                               ;   in Loop: Header=BB269_9 Depth=1
	v_bfe_u32 v32, v9, 16, 7
	v_mov_b32_e32 v30, 0x7c01
	s_mov_b32 s34, exec_lo
	v_cmpx_ne_u32_e32 0x7f, v32
	s_cbranch_execz .LBB269_31
; %bb.28:                               ;   in Loop: Header=BB269_9 Depth=1
	v_and_b32_e32 v30, 7, v1
	v_lshrrev_b32_e32 v31, 3, v32
	s_mov_b32 s35, exec_lo
	v_cmpx_gt_u32_e32 8, v32
; %bb.29:                               ;   in Loop: Header=BB269_9 Depth=1
	v_ffbh_u32_e32 v30, v30
	v_min_u32_e32 v32, 32, v30
	v_subrev_nc_u32_e32 v30, 28, v32
	v_lshlrev_b64 v[30:31], v30, v[1:2]
	v_sub_nc_u32_e32 v31, 29, v32
	v_and_b32_e32 v30, 7, v30
; %bb.30:                               ;   in Loop: Header=BB269_9 Depth=1
	s_or_b32 exec_lo, exec_lo, s35
	v_lshlrev_b32_e32 v1, 8, v1
	v_lshl_add_u32 v31, v31, 10, 0x2000
	v_lshlrev_b32_e32 v30, 7, v30
	v_and_b32_e32 v1, 0x8000, v1
	v_and_b32_e32 v31, 0xfc00, v31
	v_or3_b32 v30, v1, v31, v30
.LBB269_31:                             ;   in Loop: Header=BB269_9 Depth=1
	s_or_b32 exec_lo, exec_lo, s34
.LBB269_32:                             ;   in Loop: Header=BB269_9 Depth=1
	s_or_b32 exec_lo, exec_lo, s33
.LBB269_33:                             ;   in Loop: Header=BB269_9 Depth=1
	s_or_b32 exec_lo, exec_lo, s4
	s_mov_b32 s4, exec_lo
	v_cmpx_lt_u32_e32 0xffffff, v9
	s_cbranch_execz .LBB269_41
; %bb.34:                               ;   in Loop: Header=BB269_9 Depth=1
	v_lshrrev_b32_e32 v1, 24, v9
	v_bfrev_b32_e32 v29, 1
	s_mov_b32 s33, exec_lo
	v_cmpx_ne_u32_e32 0x80, v1
	s_cbranch_execz .LBB269_40
; %bb.35:                               ;   in Loop: Header=BB269_9 Depth=1
	v_and_b32_e32 v31, 0x7f, v1
	v_mov_b32_e32 v29, 0x7c010000
	s_mov_b32 s34, exec_lo
	v_cmpx_ne_u32_e32 0x7f, v31
	s_cbranch_execz .LBB269_39
; %bb.36:                               ;   in Loop: Header=BB269_9 Depth=1
	v_and_b32_e32 v9, 7, v1
	v_lshrrev_b32_e32 v29, 3, v31
	s_mov_b32 s35, exec_lo
	v_cmpx_gt_u32_e32 8, v31
; %bb.37:                               ;   in Loop: Header=BB269_9 Depth=1
	v_ffbh_u32_e32 v9, v9
	v_min_u32_e32 v9, 32, v9
	v_subrev_nc_u32_e32 v29, 28, v9
	v_lshlrev_b64 v[31:32], v29, v[1:2]
	v_sub_nc_u32_e32 v29, 29, v9
	v_and_b32_e32 v9, 7, v31
; %bb.38:                               ;   in Loop: Header=BB269_9 Depth=1
	s_or_b32 exec_lo, exec_lo, s35
	v_lshlrev_b32_e32 v1, 8, v1
	v_lshl_add_u32 v29, v29, 10, 0x2000
	v_lshlrev_b32_e32 v9, 23, v9
	v_and_or_b32 v1, 0x8000, v1, v29
	v_lshl_or_b32 v29, v1, 16, v9
.LBB269_39:                             ;   in Loop: Header=BB269_9 Depth=1
	s_or_b32 exec_lo, exec_lo, s34
.LBB269_40:                             ;   in Loop: Header=BB269_9 Depth=1
	s_or_b32 exec_lo, exec_lo, s33
.LBB269_41:                             ;   in Loop: Header=BB269_9 Depth=1
	s_or_b32 exec_lo, exec_lo, s4
	global_load_dword v9, v[7:8], off offset:8
	v_mov_b32_e32 v31, 0
	v_mov_b32_e32 v32, 0
	s_waitcnt vmcnt(0)
	v_cmp_ne_u16_sdwa s3, v9, v2 src0_sel:BYTE_0 src1_sel:DWORD
	s_and_saveexec_b32 s4, s3
	s_cbranch_execz .LBB269_49
; %bb.42:                               ;   in Loop: Header=BB269_9 Depth=1
	v_cmp_ne_u16_sdwa s3, v9, v21 src0_sel:BYTE_0 src1_sel:DWORD
	v_mov_b32_e32 v32, 0x8000
	s_and_saveexec_b32 s33, s3
	s_cbranch_execz .LBB269_48
; %bb.43:                               ;   in Loop: Header=BB269_9 Depth=1
	v_and_b32_e32 v33, 0x7f, v9
	v_mov_b32_e32 v32, 0x7c01
	s_mov_b32 s34, exec_lo
	v_cmpx_ne_u32_e32 0x7f, v33
	s_cbranch_execz .LBB269_47
; %bb.44:                               ;   in Loop: Header=BB269_9 Depth=1
	v_and_b32_e32 v1, 7, v9
	v_lshrrev_b32_e32 v32, 3, v33
	s_mov_b32 s35, exec_lo
	v_cmpx_gt_u32_e32 8, v33
; %bb.45:                               ;   in Loop: Header=BB269_9 Depth=1
	v_ffbh_u32_e32 v1, v1
	v_min_u32_e32 v1, 32, v1
	v_subrev_nc_u32_e32 v32, 28, v1
	v_lshlrev_b64 v[33:34], v32, v[9:10]
	v_sub_nc_u32_e32 v32, 29, v1
	v_and_b32_e32 v1, 7, v33
; %bb.46:                               ;   in Loop: Header=BB269_9 Depth=1
	s_or_b32 exec_lo, exec_lo, s35
	v_lshlrev_b32_e32 v33, 8, v9
	v_lshl_add_u32 v32, v32, 10, 0x2000
	v_lshlrev_b32_e32 v1, 7, v1
	v_and_b32_e32 v33, 0x8000, v33
	v_and_b32_e32 v32, 0xfc00, v32
	v_or3_b32 v32, v33, v32, v1
.LBB269_47:                             ;   in Loop: Header=BB269_9 Depth=1
	s_or_b32 exec_lo, exec_lo, s34
.LBB269_48:                             ;   in Loop: Header=BB269_9 Depth=1
	s_or_b32 exec_lo, exec_lo, s33
.LBB269_49:                             ;   in Loop: Header=BB269_9 Depth=1
	s_or_b32 exec_lo, exec_lo, s4
	v_lshrrev_b16 v1, 8, v9
	s_mov_b32 s4, exec_lo
	v_cmpx_ne_u16_e32 0, v1
	s_cbranch_execz .LBB269_57
; %bb.50:                               ;   in Loop: Header=BB269_9 Depth=1
	v_bfrev_b32_e32 v31, 1
	s_mov_b32 s33, exec_lo
	v_cmpx_ne_u16_e32 0x80, v1
	s_cbranch_execz .LBB269_56
; %bb.51:                               ;   in Loop: Header=BB269_9 Depth=1
	v_and_b32_sdwa v34, v1, v22 dst_sel:DWORD dst_unused:UNUSED_PAD src0_sel:WORD_0 src1_sel:DWORD
	v_mov_b32_e32 v31, 0x7c010000
	s_mov_b32 s34, exec_lo
	v_cmpx_ne_u32_e32 0x7f, v34
	s_cbranch_execz .LBB269_55
; %bb.52:                               ;   in Loop: Header=BB269_9 Depth=1
	v_and_b32_sdwa v31, v1, v23 dst_sel:DWORD dst_unused:UNUSED_PAD src0_sel:WORD_0 src1_sel:DWORD
	v_lshrrev_b32_e32 v33, 3, v34
	s_mov_b32 s35, exec_lo
	v_cmpx_gt_u32_e32 8, v34
; %bb.53:                               ;   in Loop: Header=BB269_9 Depth=1
	v_ffbh_u32_e32 v31, v31
	v_min_u32_e32 v31, 32, v31
	v_subrev_nc_u32_e32 v33, 28, v31
	v_lshlrev_b64 v[34:35], v33, v[1:2]
	v_sub_nc_u32_e32 v33, 29, v31
	v_and_b32_e32 v31, 7, v34
; %bb.54:                               ;   in Loop: Header=BB269_9 Depth=1
	s_or_b32 exec_lo, exec_lo, s35
	v_lshlrev_b32_sdwa v1, v24, v1 dst_sel:DWORD dst_unused:UNUSED_PAD src0_sel:DWORD src1_sel:WORD_0
	v_lshl_add_u32 v33, v33, 10, 0x2000
	v_lshlrev_b32_e32 v31, 23, v31
	v_and_or_b32 v1, 0x8000, v1, v33
	v_lshl_or_b32 v31, v1, 16, v31
.LBB269_55:                             ;   in Loop: Header=BB269_9 Depth=1
	s_or_b32 exec_lo, exec_lo, s34
.LBB269_56:                             ;   in Loop: Header=BB269_9 Depth=1
	s_or_b32 exec_lo, exec_lo, s33
.LBB269_57:                             ;   in Loop: Header=BB269_9 Depth=1
	s_or_b32 exec_lo, exec_lo, s4
	v_lshrrev_b32_e32 v1, 16, v9
	v_mov_b32_e32 v33, 0
	v_mov_b32_e32 v34, 0
	v_cmp_ne_u16_sdwa s3, v1, v2 src0_sel:BYTE_0 src1_sel:DWORD
	s_and_saveexec_b32 s4, s3
	s_cbranch_execz .LBB269_65
; %bb.58:                               ;   in Loop: Header=BB269_9 Depth=1
	v_cmp_ne_u16_sdwa s3, v1, v21 src0_sel:BYTE_0 src1_sel:DWORD
	v_mov_b32_e32 v34, 0x8000
	s_and_saveexec_b32 s33, s3
	s_cbranch_execz .LBB269_64
; %bb.59:                               ;   in Loop: Header=BB269_9 Depth=1
	v_bfe_u32 v36, v9, 16, 7
	v_mov_b32_e32 v34, 0x7c01
	s_mov_b32 s34, exec_lo
	v_cmpx_ne_u32_e32 0x7f, v36
	s_cbranch_execz .LBB269_63
; %bb.60:                               ;   in Loop: Header=BB269_9 Depth=1
	v_and_b32_e32 v34, 7, v1
	v_lshrrev_b32_e32 v35, 3, v36
	s_mov_b32 s35, exec_lo
	v_cmpx_gt_u32_e32 8, v36
; %bb.61:                               ;   in Loop: Header=BB269_9 Depth=1
	v_ffbh_u32_e32 v34, v34
	v_min_u32_e32 v36, 32, v34
	v_subrev_nc_u32_e32 v34, 28, v36
	v_lshlrev_b64 v[34:35], v34, v[1:2]
	v_sub_nc_u32_e32 v35, 29, v36
	v_and_b32_e32 v34, 7, v34
; %bb.62:                               ;   in Loop: Header=BB269_9 Depth=1
	s_or_b32 exec_lo, exec_lo, s35
	v_lshlrev_b32_e32 v1, 8, v1
	v_lshl_add_u32 v35, v35, 10, 0x2000
	v_lshlrev_b32_e32 v34, 7, v34
	v_and_b32_e32 v1, 0x8000, v1
	v_and_b32_e32 v35, 0xfc00, v35
	v_or3_b32 v34, v1, v35, v34
.LBB269_63:                             ;   in Loop: Header=BB269_9 Depth=1
	s_or_b32 exec_lo, exec_lo, s34
.LBB269_64:                             ;   in Loop: Header=BB269_9 Depth=1
	s_or_b32 exec_lo, exec_lo, s33
.LBB269_65:                             ;   in Loop: Header=BB269_9 Depth=1
	s_or_b32 exec_lo, exec_lo, s4
	s_mov_b32 s4, exec_lo
	v_cmpx_lt_u32_e32 0xffffff, v9
	s_cbranch_execz .LBB269_73
; %bb.66:                               ;   in Loop: Header=BB269_9 Depth=1
	v_lshrrev_b32_e32 v1, 24, v9
	v_bfrev_b32_e32 v33, 1
	s_mov_b32 s33, exec_lo
	v_cmpx_ne_u32_e32 0x80, v1
	s_cbranch_execz .LBB269_72
; %bb.67:                               ;   in Loop: Header=BB269_9 Depth=1
	v_and_b32_e32 v35, 0x7f, v1
	v_mov_b32_e32 v33, 0x7c010000
	s_mov_b32 s34, exec_lo
	v_cmpx_ne_u32_e32 0x7f, v35
	s_cbranch_execz .LBB269_71
; %bb.68:                               ;   in Loop: Header=BB269_9 Depth=1
	v_and_b32_e32 v9, 7, v1
	v_lshrrev_b32_e32 v33, 3, v35
	s_mov_b32 s35, exec_lo
	v_cmpx_gt_u32_e32 8, v35
; %bb.69:                               ;   in Loop: Header=BB269_9 Depth=1
	v_ffbh_u32_e32 v9, v9
	v_min_u32_e32 v9, 32, v9
	v_subrev_nc_u32_e32 v33, 28, v9
	v_lshlrev_b64 v[35:36], v33, v[1:2]
	v_sub_nc_u32_e32 v33, 29, v9
	v_and_b32_e32 v9, 7, v35
; %bb.70:                               ;   in Loop: Header=BB269_9 Depth=1
	s_or_b32 exec_lo, exec_lo, s35
	v_lshlrev_b32_e32 v1, 8, v1
	v_lshl_add_u32 v33, v33, 10, 0x2000
	v_lshlrev_b32_e32 v9, 23, v9
	v_and_or_b32 v1, 0x8000, v1, v33
	v_lshl_or_b32 v33, v1, 16, v9
.LBB269_71:                             ;   in Loop: Header=BB269_9 Depth=1
	s_or_b32 exec_lo, exec_lo, s34
.LBB269_72:                             ;   in Loop: Header=BB269_9 Depth=1
	s_or_b32 exec_lo, exec_lo, s33
.LBB269_73:                             ;   in Loop: Header=BB269_9 Depth=1
	s_or_b32 exec_lo, exec_lo, s4
	global_load_dword v9, v[7:8], off offset:256
	v_mov_b32_e32 v35, 0
	v_mov_b32_e32 v36, 0
	s_waitcnt vmcnt(0)
	v_cmp_ne_u16_sdwa s3, v9, v2 src0_sel:BYTE_0 src1_sel:DWORD
	s_and_saveexec_b32 s4, s3
	s_cbranch_execz .LBB269_81
; %bb.74:                               ;   in Loop: Header=BB269_9 Depth=1
	v_cmp_ne_u16_sdwa s3, v9, v21 src0_sel:BYTE_0 src1_sel:DWORD
	v_mov_b32_e32 v36, 0x8000
	s_and_saveexec_b32 s33, s3
	s_cbranch_execz .LBB269_80
; %bb.75:                               ;   in Loop: Header=BB269_9 Depth=1
	v_and_b32_e32 v37, 0x7f, v9
	v_mov_b32_e32 v36, 0x7c01
	s_mov_b32 s34, exec_lo
	v_cmpx_ne_u32_e32 0x7f, v37
	s_cbranch_execz .LBB269_79
; %bb.76:                               ;   in Loop: Header=BB269_9 Depth=1
	v_and_b32_e32 v1, 7, v9
	v_lshrrev_b32_e32 v36, 3, v37
	s_mov_b32 s35, exec_lo
	v_cmpx_gt_u32_e32 8, v37
; %bb.77:                               ;   in Loop: Header=BB269_9 Depth=1
	v_ffbh_u32_e32 v1, v1
	v_min_u32_e32 v1, 32, v1
	v_subrev_nc_u32_e32 v36, 28, v1
	v_lshlrev_b64 v[37:38], v36, v[9:10]
	v_sub_nc_u32_e32 v36, 29, v1
	v_and_b32_e32 v1, 7, v37
; %bb.78:                               ;   in Loop: Header=BB269_9 Depth=1
	s_or_b32 exec_lo, exec_lo, s35
	v_lshlrev_b32_e32 v37, 8, v9
	v_lshl_add_u32 v36, v36, 10, 0x2000
	v_lshlrev_b32_e32 v1, 7, v1
	v_and_b32_e32 v37, 0x8000, v37
	v_and_b32_e32 v36, 0xfc00, v36
	v_or3_b32 v36, v37, v36, v1
.LBB269_79:                             ;   in Loop: Header=BB269_9 Depth=1
	s_or_b32 exec_lo, exec_lo, s34
.LBB269_80:                             ;   in Loop: Header=BB269_9 Depth=1
	s_or_b32 exec_lo, exec_lo, s33
.LBB269_81:                             ;   in Loop: Header=BB269_9 Depth=1
	s_or_b32 exec_lo, exec_lo, s4
	v_lshrrev_b16 v1, 8, v9
	s_mov_b32 s4, exec_lo
	v_cmpx_ne_u16_e32 0, v1
	s_cbranch_execz .LBB269_89
; %bb.82:                               ;   in Loop: Header=BB269_9 Depth=1
	v_bfrev_b32_e32 v35, 1
	s_mov_b32 s33, exec_lo
	v_cmpx_ne_u16_e32 0x80, v1
	s_cbranch_execz .LBB269_88
; %bb.83:                               ;   in Loop: Header=BB269_9 Depth=1
	v_and_b32_sdwa v38, v1, v22 dst_sel:DWORD dst_unused:UNUSED_PAD src0_sel:WORD_0 src1_sel:DWORD
	v_mov_b32_e32 v35, 0x7c010000
	s_mov_b32 s34, exec_lo
	v_cmpx_ne_u32_e32 0x7f, v38
	s_cbranch_execz .LBB269_87
; %bb.84:                               ;   in Loop: Header=BB269_9 Depth=1
	v_and_b32_sdwa v35, v1, v23 dst_sel:DWORD dst_unused:UNUSED_PAD src0_sel:WORD_0 src1_sel:DWORD
	v_lshrrev_b32_e32 v37, 3, v38
	s_mov_b32 s35, exec_lo
	v_cmpx_gt_u32_e32 8, v38
; %bb.85:                               ;   in Loop: Header=BB269_9 Depth=1
	v_ffbh_u32_e32 v35, v35
	v_min_u32_e32 v35, 32, v35
	v_subrev_nc_u32_e32 v37, 28, v35
	v_lshlrev_b64 v[38:39], v37, v[1:2]
	v_sub_nc_u32_e32 v37, 29, v35
	v_and_b32_e32 v35, 7, v38
; %bb.86:                               ;   in Loop: Header=BB269_9 Depth=1
	s_or_b32 exec_lo, exec_lo, s35
	v_lshlrev_b32_sdwa v1, v24, v1 dst_sel:DWORD dst_unused:UNUSED_PAD src0_sel:DWORD src1_sel:WORD_0
	v_lshl_add_u32 v37, v37, 10, 0x2000
	v_lshlrev_b32_e32 v35, 23, v35
	v_and_or_b32 v1, 0x8000, v1, v37
	v_lshl_or_b32 v35, v1, 16, v35
.LBB269_87:                             ;   in Loop: Header=BB269_9 Depth=1
	s_or_b32 exec_lo, exec_lo, s34
.LBB269_88:                             ;   in Loop: Header=BB269_9 Depth=1
	s_or_b32 exec_lo, exec_lo, s33
.LBB269_89:                             ;   in Loop: Header=BB269_9 Depth=1
	s_or_b32 exec_lo, exec_lo, s4
	v_lshrrev_b32_e32 v1, 16, v9
	v_mov_b32_e32 v37, 0
	v_mov_b32_e32 v38, 0
	v_cmp_ne_u16_sdwa s3, v1, v2 src0_sel:BYTE_0 src1_sel:DWORD
	s_and_saveexec_b32 s4, s3
	s_cbranch_execz .LBB269_97
; %bb.90:                               ;   in Loop: Header=BB269_9 Depth=1
	v_cmp_ne_u16_sdwa s3, v1, v21 src0_sel:BYTE_0 src1_sel:DWORD
	v_mov_b32_e32 v38, 0x8000
	s_and_saveexec_b32 s33, s3
	s_cbranch_execz .LBB269_96
; %bb.91:                               ;   in Loop: Header=BB269_9 Depth=1
	v_bfe_u32 v40, v9, 16, 7
	v_mov_b32_e32 v38, 0x7c01
	s_mov_b32 s34, exec_lo
	v_cmpx_ne_u32_e32 0x7f, v40
	s_cbranch_execz .LBB269_95
; %bb.92:                               ;   in Loop: Header=BB269_9 Depth=1
	v_and_b32_e32 v38, 7, v1
	v_lshrrev_b32_e32 v39, 3, v40
	s_mov_b32 s35, exec_lo
	v_cmpx_gt_u32_e32 8, v40
; %bb.93:                               ;   in Loop: Header=BB269_9 Depth=1
	v_ffbh_u32_e32 v38, v38
	v_min_u32_e32 v40, 32, v38
	v_subrev_nc_u32_e32 v38, 28, v40
	v_lshlrev_b64 v[38:39], v38, v[1:2]
	v_sub_nc_u32_e32 v39, 29, v40
	v_and_b32_e32 v38, 7, v38
; %bb.94:                               ;   in Loop: Header=BB269_9 Depth=1
	s_or_b32 exec_lo, exec_lo, s35
	v_lshlrev_b32_e32 v1, 8, v1
	v_lshl_add_u32 v39, v39, 10, 0x2000
	v_lshlrev_b32_e32 v38, 7, v38
	v_and_b32_e32 v1, 0x8000, v1
	v_and_b32_e32 v39, 0xfc00, v39
	v_or3_b32 v38, v1, v39, v38
.LBB269_95:                             ;   in Loop: Header=BB269_9 Depth=1
	s_or_b32 exec_lo, exec_lo, s34
.LBB269_96:                             ;   in Loop: Header=BB269_9 Depth=1
	s_or_b32 exec_lo, exec_lo, s33
.LBB269_97:                             ;   in Loop: Header=BB269_9 Depth=1
	s_or_b32 exec_lo, exec_lo, s4
	s_mov_b32 s4, exec_lo
	v_cmpx_lt_u32_e32 0xffffff, v9
	s_cbranch_execz .LBB269_105
; %bb.98:                               ;   in Loop: Header=BB269_9 Depth=1
	v_lshrrev_b32_e32 v1, 24, v9
	v_bfrev_b32_e32 v37, 1
	s_mov_b32 s33, exec_lo
	v_cmpx_ne_u32_e32 0x80, v1
	s_cbranch_execz .LBB269_104
; %bb.99:                               ;   in Loop: Header=BB269_9 Depth=1
	v_and_b32_e32 v39, 0x7f, v1
	v_mov_b32_e32 v37, 0x7c010000
	s_mov_b32 s34, exec_lo
	v_cmpx_ne_u32_e32 0x7f, v39
	s_cbranch_execz .LBB269_103
; %bb.100:                              ;   in Loop: Header=BB269_9 Depth=1
	v_and_b32_e32 v9, 7, v1
	v_lshrrev_b32_e32 v37, 3, v39
	s_mov_b32 s35, exec_lo
	v_cmpx_gt_u32_e32 8, v39
; %bb.101:                              ;   in Loop: Header=BB269_9 Depth=1
	v_ffbh_u32_e32 v9, v9
	v_min_u32_e32 v9, 32, v9
	v_subrev_nc_u32_e32 v37, 28, v9
	v_lshlrev_b64 v[39:40], v37, v[1:2]
	v_sub_nc_u32_e32 v37, 29, v9
	v_and_b32_e32 v9, 7, v39
; %bb.102:                              ;   in Loop: Header=BB269_9 Depth=1
	s_or_b32 exec_lo, exec_lo, s35
	v_lshlrev_b32_e32 v1, 8, v1
	v_lshl_add_u32 v37, v37, 10, 0x2000
	v_lshlrev_b32_e32 v9, 23, v9
	v_and_or_b32 v1, 0x8000, v1, v37
	v_lshl_or_b32 v37, v1, 16, v9
.LBB269_103:                            ;   in Loop: Header=BB269_9 Depth=1
	s_or_b32 exec_lo, exec_lo, s34
.LBB269_104:                            ;   in Loop: Header=BB269_9 Depth=1
	s_or_b32 exec_lo, exec_lo, s33
.LBB269_105:                            ;   in Loop: Header=BB269_9 Depth=1
	s_or_b32 exec_lo, exec_lo, s4
	global_load_dword v9, v[7:8], off offset:264
	v_mov_b32_e32 v39, 0
	v_mov_b32_e32 v40, 0
	s_waitcnt vmcnt(0)
	v_cmp_ne_u16_sdwa s3, v9, v2 src0_sel:BYTE_0 src1_sel:DWORD
	s_and_saveexec_b32 s4, s3
	s_cbranch_execz .LBB269_113
; %bb.106:                              ;   in Loop: Header=BB269_9 Depth=1
	v_cmp_ne_u16_sdwa s3, v9, v21 src0_sel:BYTE_0 src1_sel:DWORD
	v_mov_b32_e32 v40, 0x8000
	s_and_saveexec_b32 s33, s3
	s_cbranch_execz .LBB269_112
; %bb.107:                              ;   in Loop: Header=BB269_9 Depth=1
	v_and_b32_e32 v41, 0x7f, v9
	v_mov_b32_e32 v40, 0x7c01
	s_mov_b32 s34, exec_lo
	v_cmpx_ne_u32_e32 0x7f, v41
	s_cbranch_execz .LBB269_111
; %bb.108:                              ;   in Loop: Header=BB269_9 Depth=1
	v_and_b32_e32 v1, 7, v9
	v_lshrrev_b32_e32 v40, 3, v41
	s_mov_b32 s35, exec_lo
	v_cmpx_gt_u32_e32 8, v41
; %bb.109:                              ;   in Loop: Header=BB269_9 Depth=1
	v_ffbh_u32_e32 v1, v1
	v_min_u32_e32 v1, 32, v1
	v_subrev_nc_u32_e32 v40, 28, v1
	v_lshlrev_b64 v[41:42], v40, v[9:10]
	v_sub_nc_u32_e32 v40, 29, v1
	v_and_b32_e32 v1, 7, v41
; %bb.110:                              ;   in Loop: Header=BB269_9 Depth=1
	s_or_b32 exec_lo, exec_lo, s35
	v_lshlrev_b32_e32 v41, 8, v9
	v_lshl_add_u32 v40, v40, 10, 0x2000
	v_lshlrev_b32_e32 v1, 7, v1
	v_and_b32_e32 v41, 0x8000, v41
	v_and_b32_e32 v40, 0xfc00, v40
	v_or3_b32 v40, v41, v40, v1
.LBB269_111:                            ;   in Loop: Header=BB269_9 Depth=1
	s_or_b32 exec_lo, exec_lo, s34
.LBB269_112:                            ;   in Loop: Header=BB269_9 Depth=1
	s_or_b32 exec_lo, exec_lo, s33
.LBB269_113:                            ;   in Loop: Header=BB269_9 Depth=1
	s_or_b32 exec_lo, exec_lo, s4
	v_lshrrev_b16 v1, 8, v9
	s_mov_b32 s4, exec_lo
	v_cmpx_ne_u16_e32 0, v1
	s_cbranch_execz .LBB269_121
; %bb.114:                              ;   in Loop: Header=BB269_9 Depth=1
	v_bfrev_b32_e32 v39, 1
	s_mov_b32 s33, exec_lo
	v_cmpx_ne_u16_e32 0x80, v1
	s_cbranch_execz .LBB269_120
; %bb.115:                              ;   in Loop: Header=BB269_9 Depth=1
	v_and_b32_sdwa v42, v1, v22 dst_sel:DWORD dst_unused:UNUSED_PAD src0_sel:WORD_0 src1_sel:DWORD
	v_mov_b32_e32 v39, 0x7c010000
	s_mov_b32 s34, exec_lo
	v_cmpx_ne_u32_e32 0x7f, v42
	s_cbranch_execz .LBB269_119
; %bb.116:                              ;   in Loop: Header=BB269_9 Depth=1
	v_and_b32_sdwa v39, v1, v23 dst_sel:DWORD dst_unused:UNUSED_PAD src0_sel:WORD_0 src1_sel:DWORD
	v_lshrrev_b32_e32 v41, 3, v42
	s_mov_b32 s35, exec_lo
	v_cmpx_gt_u32_e32 8, v42
; %bb.117:                              ;   in Loop: Header=BB269_9 Depth=1
	v_ffbh_u32_e32 v39, v39
	v_min_u32_e32 v39, 32, v39
	v_subrev_nc_u32_e32 v41, 28, v39
	v_lshlrev_b64 v[42:43], v41, v[1:2]
	v_sub_nc_u32_e32 v41, 29, v39
	v_and_b32_e32 v39, 7, v42
; %bb.118:                              ;   in Loop: Header=BB269_9 Depth=1
	s_or_b32 exec_lo, exec_lo, s35
	v_lshlrev_b32_sdwa v1, v24, v1 dst_sel:DWORD dst_unused:UNUSED_PAD src0_sel:DWORD src1_sel:WORD_0
	v_lshl_add_u32 v41, v41, 10, 0x2000
	v_lshlrev_b32_e32 v39, 23, v39
	v_and_or_b32 v1, 0x8000, v1, v41
	v_lshl_or_b32 v39, v1, 16, v39
.LBB269_119:                            ;   in Loop: Header=BB269_9 Depth=1
	s_or_b32 exec_lo, exec_lo, s34
.LBB269_120:                            ;   in Loop: Header=BB269_9 Depth=1
	s_or_b32 exec_lo, exec_lo, s33
.LBB269_121:                            ;   in Loop: Header=BB269_9 Depth=1
	s_or_b32 exec_lo, exec_lo, s4
	v_lshrrev_b32_e32 v1, 16, v9
	v_mov_b32_e32 v41, 0
	v_mov_b32_e32 v42, 0
	v_cmp_ne_u16_sdwa s3, v1, v2 src0_sel:BYTE_0 src1_sel:DWORD
	s_and_saveexec_b32 s4, s3
	s_cbranch_execz .LBB269_129
; %bb.122:                              ;   in Loop: Header=BB269_9 Depth=1
	v_cmp_ne_u16_sdwa s3, v1, v21 src0_sel:BYTE_0 src1_sel:DWORD
	v_mov_b32_e32 v42, 0x8000
	s_and_saveexec_b32 s33, s3
	s_cbranch_execz .LBB269_128
; %bb.123:                              ;   in Loop: Header=BB269_9 Depth=1
	v_bfe_u32 v44, v9, 16, 7
	v_mov_b32_e32 v42, 0x7c01
	s_mov_b32 s34, exec_lo
	v_cmpx_ne_u32_e32 0x7f, v44
	s_cbranch_execz .LBB269_127
; %bb.124:                              ;   in Loop: Header=BB269_9 Depth=1
	v_and_b32_e32 v42, 7, v1
	v_lshrrev_b32_e32 v43, 3, v44
	s_mov_b32 s35, exec_lo
	v_cmpx_gt_u32_e32 8, v44
; %bb.125:                              ;   in Loop: Header=BB269_9 Depth=1
	v_ffbh_u32_e32 v42, v42
	v_min_u32_e32 v44, 32, v42
	v_subrev_nc_u32_e32 v42, 28, v44
	v_lshlrev_b64 v[42:43], v42, v[1:2]
	v_sub_nc_u32_e32 v43, 29, v44
	v_and_b32_e32 v42, 7, v42
; %bb.126:                              ;   in Loop: Header=BB269_9 Depth=1
	s_or_b32 exec_lo, exec_lo, s35
	v_lshlrev_b32_e32 v1, 8, v1
	v_lshl_add_u32 v43, v43, 10, 0x2000
	v_lshlrev_b32_e32 v42, 7, v42
	v_and_b32_e32 v1, 0x8000, v1
	v_and_b32_e32 v43, 0xfc00, v43
	v_or3_b32 v42, v1, v43, v42
.LBB269_127:                            ;   in Loop: Header=BB269_9 Depth=1
	s_or_b32 exec_lo, exec_lo, s34
.LBB269_128:                            ;   in Loop: Header=BB269_9 Depth=1
	s_or_b32 exec_lo, exec_lo, s33
.LBB269_129:                            ;   in Loop: Header=BB269_9 Depth=1
	s_or_b32 exec_lo, exec_lo, s4
	s_mov_b32 s4, exec_lo
	v_cmpx_lt_u32_e32 0xffffff, v9
	s_cbranch_execz .LBB269_137
; %bb.130:                              ;   in Loop: Header=BB269_9 Depth=1
	v_lshrrev_b32_e32 v1, 24, v9
	v_bfrev_b32_e32 v41, 1
	s_mov_b32 s33, exec_lo
	v_cmpx_ne_u32_e32 0x80, v1
	s_cbranch_execz .LBB269_136
; %bb.131:                              ;   in Loop: Header=BB269_9 Depth=1
	v_and_b32_e32 v43, 0x7f, v1
	v_mov_b32_e32 v41, 0x7c010000
	s_mov_b32 s34, exec_lo
	v_cmpx_ne_u32_e32 0x7f, v43
	s_cbranch_execz .LBB269_135
; %bb.132:                              ;   in Loop: Header=BB269_9 Depth=1
	v_and_b32_e32 v9, 7, v1
	v_lshrrev_b32_e32 v41, 3, v43
	s_mov_b32 s35, exec_lo
	v_cmpx_gt_u32_e32 8, v43
; %bb.133:                              ;   in Loop: Header=BB269_9 Depth=1
	v_ffbh_u32_e32 v9, v9
	v_min_u32_e32 v9, 32, v9
	v_subrev_nc_u32_e32 v41, 28, v9
	v_lshlrev_b64 v[43:44], v41, v[1:2]
	v_sub_nc_u32_e32 v41, 29, v9
	v_and_b32_e32 v9, 7, v43
; %bb.134:                              ;   in Loop: Header=BB269_9 Depth=1
	s_or_b32 exec_lo, exec_lo, s35
	v_lshlrev_b32_e32 v1, 8, v1
	v_lshl_add_u32 v41, v41, 10, 0x2000
	v_lshlrev_b32_e32 v9, 23, v9
	v_and_or_b32 v1, 0x8000, v1, v41
	v_lshl_or_b32 v41, v1, 16, v9
.LBB269_135:                            ;   in Loop: Header=BB269_9 Depth=1
	s_or_b32 exec_lo, exec_lo, s34
.LBB269_136:                            ;   in Loop: Header=BB269_9 Depth=1
	s_or_b32 exec_lo, exec_lo, s33
.LBB269_137:                            ;   in Loop: Header=BB269_9 Depth=1
	s_or_b32 exec_lo, exec_lo, s4
	global_load_dword v9, v[7:8], off offset:512
	v_mov_b32_e32 v43, 0
	v_mov_b32_e32 v44, 0
	s_waitcnt vmcnt(0)
	v_cmp_ne_u16_sdwa s3, v9, v2 src0_sel:BYTE_0 src1_sel:DWORD
	s_and_saveexec_b32 s4, s3
	s_cbranch_execz .LBB269_145
; %bb.138:                              ;   in Loop: Header=BB269_9 Depth=1
	v_cmp_ne_u16_sdwa s3, v9, v21 src0_sel:BYTE_0 src1_sel:DWORD
	v_mov_b32_e32 v44, 0x8000
	s_and_saveexec_b32 s33, s3
	s_cbranch_execz .LBB269_144
; %bb.139:                              ;   in Loop: Header=BB269_9 Depth=1
	v_and_b32_e32 v45, 0x7f, v9
	v_mov_b32_e32 v44, 0x7c01
	s_mov_b32 s34, exec_lo
	v_cmpx_ne_u32_e32 0x7f, v45
	s_cbranch_execz .LBB269_143
; %bb.140:                              ;   in Loop: Header=BB269_9 Depth=1
	v_and_b32_e32 v1, 7, v9
	v_lshrrev_b32_e32 v44, 3, v45
	s_mov_b32 s35, exec_lo
	v_cmpx_gt_u32_e32 8, v45
; %bb.141:                              ;   in Loop: Header=BB269_9 Depth=1
	v_ffbh_u32_e32 v1, v1
	v_min_u32_e32 v1, 32, v1
	v_subrev_nc_u32_e32 v44, 28, v1
	v_lshlrev_b64 v[45:46], v44, v[9:10]
	v_sub_nc_u32_e32 v44, 29, v1
	v_and_b32_e32 v1, 7, v45
; %bb.142:                              ;   in Loop: Header=BB269_9 Depth=1
	s_or_b32 exec_lo, exec_lo, s35
	v_lshlrev_b32_e32 v45, 8, v9
	v_lshl_add_u32 v44, v44, 10, 0x2000
	v_lshlrev_b32_e32 v1, 7, v1
	v_and_b32_e32 v45, 0x8000, v45
	v_and_b32_e32 v44, 0xfc00, v44
	v_or3_b32 v44, v45, v44, v1
.LBB269_143:                            ;   in Loop: Header=BB269_9 Depth=1
	s_or_b32 exec_lo, exec_lo, s34
.LBB269_144:                            ;   in Loop: Header=BB269_9 Depth=1
	s_or_b32 exec_lo, exec_lo, s33
.LBB269_145:                            ;   in Loop: Header=BB269_9 Depth=1
	s_or_b32 exec_lo, exec_lo, s4
	v_lshrrev_b16 v1, 8, v9
	s_mov_b32 s4, exec_lo
	v_cmpx_ne_u16_e32 0, v1
	s_cbranch_execz .LBB269_153
; %bb.146:                              ;   in Loop: Header=BB269_9 Depth=1
	v_bfrev_b32_e32 v43, 1
	s_mov_b32 s33, exec_lo
	v_cmpx_ne_u16_e32 0x80, v1
	s_cbranch_execz .LBB269_152
; %bb.147:                              ;   in Loop: Header=BB269_9 Depth=1
	v_and_b32_sdwa v46, v1, v22 dst_sel:DWORD dst_unused:UNUSED_PAD src0_sel:WORD_0 src1_sel:DWORD
	v_mov_b32_e32 v43, 0x7c010000
	s_mov_b32 s34, exec_lo
	v_cmpx_ne_u32_e32 0x7f, v46
	s_cbranch_execz .LBB269_151
; %bb.148:                              ;   in Loop: Header=BB269_9 Depth=1
	v_and_b32_sdwa v43, v1, v23 dst_sel:DWORD dst_unused:UNUSED_PAD src0_sel:WORD_0 src1_sel:DWORD
	v_lshrrev_b32_e32 v45, 3, v46
	s_mov_b32 s35, exec_lo
	v_cmpx_gt_u32_e32 8, v46
; %bb.149:                              ;   in Loop: Header=BB269_9 Depth=1
	v_ffbh_u32_e32 v43, v43
	v_min_u32_e32 v43, 32, v43
	v_subrev_nc_u32_e32 v45, 28, v43
	v_lshlrev_b64 v[46:47], v45, v[1:2]
	v_sub_nc_u32_e32 v45, 29, v43
	v_and_b32_e32 v43, 7, v46
; %bb.150:                              ;   in Loop: Header=BB269_9 Depth=1
	s_or_b32 exec_lo, exec_lo, s35
	v_lshlrev_b32_sdwa v1, v24, v1 dst_sel:DWORD dst_unused:UNUSED_PAD src0_sel:DWORD src1_sel:WORD_0
	v_lshl_add_u32 v45, v45, 10, 0x2000
	v_lshlrev_b32_e32 v43, 23, v43
	v_and_or_b32 v1, 0x8000, v1, v45
	v_lshl_or_b32 v43, v1, 16, v43
.LBB269_151:                            ;   in Loop: Header=BB269_9 Depth=1
	s_or_b32 exec_lo, exec_lo, s34
.LBB269_152:                            ;   in Loop: Header=BB269_9 Depth=1
	s_or_b32 exec_lo, exec_lo, s33
.LBB269_153:                            ;   in Loop: Header=BB269_9 Depth=1
	s_or_b32 exec_lo, exec_lo, s4
	v_lshrrev_b32_e32 v1, 16, v9
	v_mov_b32_e32 v45, 0
	v_mov_b32_e32 v46, 0
	v_cmp_ne_u16_sdwa s3, v1, v2 src0_sel:BYTE_0 src1_sel:DWORD
	s_and_saveexec_b32 s4, s3
	s_cbranch_execz .LBB269_161
; %bb.154:                              ;   in Loop: Header=BB269_9 Depth=1
	v_cmp_ne_u16_sdwa s3, v1, v21 src0_sel:BYTE_0 src1_sel:DWORD
	v_mov_b32_e32 v46, 0x8000
	s_and_saveexec_b32 s33, s3
	s_cbranch_execz .LBB269_160
; %bb.155:                              ;   in Loop: Header=BB269_9 Depth=1
	v_bfe_u32 v48, v9, 16, 7
	v_mov_b32_e32 v46, 0x7c01
	s_mov_b32 s34, exec_lo
	v_cmpx_ne_u32_e32 0x7f, v48
	s_cbranch_execz .LBB269_159
; %bb.156:                              ;   in Loop: Header=BB269_9 Depth=1
	v_and_b32_e32 v46, 7, v1
	v_lshrrev_b32_e32 v47, 3, v48
	s_mov_b32 s35, exec_lo
	v_cmpx_gt_u32_e32 8, v48
; %bb.157:                              ;   in Loop: Header=BB269_9 Depth=1
	v_ffbh_u32_e32 v46, v46
	v_min_u32_e32 v48, 32, v46
	v_subrev_nc_u32_e32 v46, 28, v48
	v_lshlrev_b64 v[46:47], v46, v[1:2]
	v_sub_nc_u32_e32 v47, 29, v48
	v_and_b32_e32 v46, 7, v46
; %bb.158:                              ;   in Loop: Header=BB269_9 Depth=1
	s_or_b32 exec_lo, exec_lo, s35
	v_lshlrev_b32_e32 v1, 8, v1
	v_lshl_add_u32 v47, v47, 10, 0x2000
	v_lshlrev_b32_e32 v46, 7, v46
	v_and_b32_e32 v1, 0x8000, v1
	v_and_b32_e32 v47, 0xfc00, v47
	v_or3_b32 v46, v1, v47, v46
.LBB269_159:                            ;   in Loop: Header=BB269_9 Depth=1
	s_or_b32 exec_lo, exec_lo, s34
.LBB269_160:                            ;   in Loop: Header=BB269_9 Depth=1
	s_or_b32 exec_lo, exec_lo, s33
.LBB269_161:                            ;   in Loop: Header=BB269_9 Depth=1
	s_or_b32 exec_lo, exec_lo, s4
	s_mov_b32 s4, exec_lo
	v_cmpx_lt_u32_e32 0xffffff, v9
	s_cbranch_execz .LBB269_169
; %bb.162:                              ;   in Loop: Header=BB269_9 Depth=1
	v_lshrrev_b32_e32 v1, 24, v9
	v_bfrev_b32_e32 v45, 1
	s_mov_b32 s33, exec_lo
	v_cmpx_ne_u32_e32 0x80, v1
	s_cbranch_execz .LBB269_168
; %bb.163:                              ;   in Loop: Header=BB269_9 Depth=1
	v_and_b32_e32 v47, 0x7f, v1
	v_mov_b32_e32 v45, 0x7c010000
	s_mov_b32 s34, exec_lo
	v_cmpx_ne_u32_e32 0x7f, v47
	s_cbranch_execz .LBB269_167
; %bb.164:                              ;   in Loop: Header=BB269_9 Depth=1
	v_and_b32_e32 v9, 7, v1
	v_lshrrev_b32_e32 v45, 3, v47
	s_mov_b32 s35, exec_lo
	v_cmpx_gt_u32_e32 8, v47
; %bb.165:                              ;   in Loop: Header=BB269_9 Depth=1
	v_ffbh_u32_e32 v9, v9
	v_min_u32_e32 v9, 32, v9
	v_subrev_nc_u32_e32 v45, 28, v9
	v_lshlrev_b64 v[47:48], v45, v[1:2]
	v_sub_nc_u32_e32 v45, 29, v9
	v_and_b32_e32 v9, 7, v47
; %bb.166:                              ;   in Loop: Header=BB269_9 Depth=1
	s_or_b32 exec_lo, exec_lo, s35
	v_lshlrev_b32_e32 v1, 8, v1
	v_lshl_add_u32 v45, v45, 10, 0x2000
	v_lshlrev_b32_e32 v9, 23, v9
	v_and_or_b32 v1, 0x8000, v1, v45
	v_lshl_or_b32 v45, v1, 16, v9
.LBB269_167:                            ;   in Loop: Header=BB269_9 Depth=1
	s_or_b32 exec_lo, exec_lo, s34
.LBB269_168:                            ;   in Loop: Header=BB269_9 Depth=1
	s_or_b32 exec_lo, exec_lo, s33
.LBB269_169:                            ;   in Loop: Header=BB269_9 Depth=1
	s_or_b32 exec_lo, exec_lo, s4
	global_load_dword v9, v[7:8], off offset:520
	v_mov_b32_e32 v47, 0
	v_mov_b32_e32 v48, 0
	s_waitcnt vmcnt(0)
	v_cmp_ne_u16_sdwa s3, v9, v2 src0_sel:BYTE_0 src1_sel:DWORD
	s_and_saveexec_b32 s4, s3
	s_cbranch_execz .LBB269_177
; %bb.170:                              ;   in Loop: Header=BB269_9 Depth=1
	v_cmp_ne_u16_sdwa s3, v9, v21 src0_sel:BYTE_0 src1_sel:DWORD
	v_mov_b32_e32 v48, 0x8000
	s_and_saveexec_b32 s33, s3
	s_cbranch_execz .LBB269_176
; %bb.171:                              ;   in Loop: Header=BB269_9 Depth=1
	v_and_b32_e32 v49, 0x7f, v9
	v_mov_b32_e32 v48, 0x7c01
	s_mov_b32 s34, exec_lo
	v_cmpx_ne_u32_e32 0x7f, v49
	s_cbranch_execz .LBB269_175
; %bb.172:                              ;   in Loop: Header=BB269_9 Depth=1
	v_and_b32_e32 v1, 7, v9
	v_lshrrev_b32_e32 v48, 3, v49
	s_mov_b32 s35, exec_lo
	v_cmpx_gt_u32_e32 8, v49
; %bb.173:                              ;   in Loop: Header=BB269_9 Depth=1
	v_ffbh_u32_e32 v1, v1
	v_min_u32_e32 v1, 32, v1
	v_subrev_nc_u32_e32 v48, 28, v1
	v_lshlrev_b64 v[49:50], v48, v[9:10]
	v_sub_nc_u32_e32 v48, 29, v1
	v_and_b32_e32 v1, 7, v49
; %bb.174:                              ;   in Loop: Header=BB269_9 Depth=1
	s_or_b32 exec_lo, exec_lo, s35
	v_lshlrev_b32_e32 v49, 8, v9
	v_lshl_add_u32 v48, v48, 10, 0x2000
	v_lshlrev_b32_e32 v1, 7, v1
	v_and_b32_e32 v49, 0x8000, v49
	v_and_b32_e32 v48, 0xfc00, v48
	v_or3_b32 v48, v49, v48, v1
.LBB269_175:                            ;   in Loop: Header=BB269_9 Depth=1
	s_or_b32 exec_lo, exec_lo, s34
.LBB269_176:                            ;   in Loop: Header=BB269_9 Depth=1
	s_or_b32 exec_lo, exec_lo, s33
.LBB269_177:                            ;   in Loop: Header=BB269_9 Depth=1
	s_or_b32 exec_lo, exec_lo, s4
	v_lshrrev_b16 v1, 8, v9
	s_mov_b32 s4, exec_lo
	v_cmpx_ne_u16_e32 0, v1
	s_cbranch_execz .LBB269_185
; %bb.178:                              ;   in Loop: Header=BB269_9 Depth=1
	v_bfrev_b32_e32 v47, 1
	s_mov_b32 s33, exec_lo
	v_cmpx_ne_u16_e32 0x80, v1
	s_cbranch_execz .LBB269_184
; %bb.179:                              ;   in Loop: Header=BB269_9 Depth=1
	v_and_b32_sdwa v50, v1, v22 dst_sel:DWORD dst_unused:UNUSED_PAD src0_sel:WORD_0 src1_sel:DWORD
	v_mov_b32_e32 v47, 0x7c010000
	s_mov_b32 s34, exec_lo
	v_cmpx_ne_u32_e32 0x7f, v50
	s_cbranch_execz .LBB269_183
; %bb.180:                              ;   in Loop: Header=BB269_9 Depth=1
	v_and_b32_sdwa v47, v1, v23 dst_sel:DWORD dst_unused:UNUSED_PAD src0_sel:WORD_0 src1_sel:DWORD
	v_lshrrev_b32_e32 v49, 3, v50
	s_mov_b32 s35, exec_lo
	v_cmpx_gt_u32_e32 8, v50
; %bb.181:                              ;   in Loop: Header=BB269_9 Depth=1
	v_ffbh_u32_e32 v47, v47
	v_min_u32_e32 v47, 32, v47
	v_subrev_nc_u32_e32 v49, 28, v47
	v_lshlrev_b64 v[50:51], v49, v[1:2]
	v_sub_nc_u32_e32 v49, 29, v47
	v_and_b32_e32 v47, 7, v50
; %bb.182:                              ;   in Loop: Header=BB269_9 Depth=1
	s_or_b32 exec_lo, exec_lo, s35
	v_lshlrev_b32_sdwa v1, v24, v1 dst_sel:DWORD dst_unused:UNUSED_PAD src0_sel:DWORD src1_sel:WORD_0
	v_lshl_add_u32 v49, v49, 10, 0x2000
	v_lshlrev_b32_e32 v47, 23, v47
	v_and_or_b32 v1, 0x8000, v1, v49
	v_lshl_or_b32 v47, v1, 16, v47
.LBB269_183:                            ;   in Loop: Header=BB269_9 Depth=1
	s_or_b32 exec_lo, exec_lo, s34
.LBB269_184:                            ;   in Loop: Header=BB269_9 Depth=1
	s_or_b32 exec_lo, exec_lo, s33
.LBB269_185:                            ;   in Loop: Header=BB269_9 Depth=1
	s_or_b32 exec_lo, exec_lo, s4
	v_lshrrev_b32_e32 v1, 16, v9
	v_mov_b32_e32 v49, 0
	v_mov_b32_e32 v50, 0
	v_cmp_ne_u16_sdwa s3, v1, v2 src0_sel:BYTE_0 src1_sel:DWORD
	s_and_saveexec_b32 s4, s3
	s_cbranch_execz .LBB269_193
; %bb.186:                              ;   in Loop: Header=BB269_9 Depth=1
	v_cmp_ne_u16_sdwa s3, v1, v21 src0_sel:BYTE_0 src1_sel:DWORD
	v_mov_b32_e32 v50, 0x8000
	s_and_saveexec_b32 s33, s3
	s_cbranch_execz .LBB269_192
; %bb.187:                              ;   in Loop: Header=BB269_9 Depth=1
	v_bfe_u32 v52, v9, 16, 7
	v_mov_b32_e32 v50, 0x7c01
	s_mov_b32 s34, exec_lo
	v_cmpx_ne_u32_e32 0x7f, v52
	s_cbranch_execz .LBB269_191
; %bb.188:                              ;   in Loop: Header=BB269_9 Depth=1
	v_and_b32_e32 v50, 7, v1
	v_lshrrev_b32_e32 v51, 3, v52
	s_mov_b32 s35, exec_lo
	v_cmpx_gt_u32_e32 8, v52
; %bb.189:                              ;   in Loop: Header=BB269_9 Depth=1
	v_ffbh_u32_e32 v50, v50
	v_min_u32_e32 v52, 32, v50
	v_subrev_nc_u32_e32 v50, 28, v52
	v_lshlrev_b64 v[50:51], v50, v[1:2]
	v_sub_nc_u32_e32 v51, 29, v52
	v_and_b32_e32 v50, 7, v50
; %bb.190:                              ;   in Loop: Header=BB269_9 Depth=1
	s_or_b32 exec_lo, exec_lo, s35
	v_lshlrev_b32_e32 v1, 8, v1
	v_lshl_add_u32 v51, v51, 10, 0x2000
	v_lshlrev_b32_e32 v50, 7, v50
	v_and_b32_e32 v1, 0x8000, v1
	v_and_b32_e32 v51, 0xfc00, v51
	v_or3_b32 v50, v1, v51, v50
.LBB269_191:                            ;   in Loop: Header=BB269_9 Depth=1
	s_or_b32 exec_lo, exec_lo, s34
.LBB269_192:                            ;   in Loop: Header=BB269_9 Depth=1
	s_or_b32 exec_lo, exec_lo, s33
.LBB269_193:                            ;   in Loop: Header=BB269_9 Depth=1
	s_or_b32 exec_lo, exec_lo, s4
	s_mov_b32 s4, exec_lo
	v_cmpx_lt_u32_e32 0xffffff, v9
	s_cbranch_execz .LBB269_201
; %bb.194:                              ;   in Loop: Header=BB269_9 Depth=1
	v_lshrrev_b32_e32 v1, 24, v9
	v_bfrev_b32_e32 v49, 1
	s_mov_b32 s33, exec_lo
	v_cmpx_ne_u32_e32 0x80, v1
	s_cbranch_execz .LBB269_200
; %bb.195:                              ;   in Loop: Header=BB269_9 Depth=1
	v_and_b32_e32 v51, 0x7f, v1
	v_mov_b32_e32 v49, 0x7c010000
	s_mov_b32 s34, exec_lo
	v_cmpx_ne_u32_e32 0x7f, v51
	s_cbranch_execz .LBB269_199
; %bb.196:                              ;   in Loop: Header=BB269_9 Depth=1
	v_and_b32_e32 v9, 7, v1
	v_lshrrev_b32_e32 v49, 3, v51
	s_mov_b32 s35, exec_lo
	v_cmpx_gt_u32_e32 8, v51
; %bb.197:                              ;   in Loop: Header=BB269_9 Depth=1
	v_ffbh_u32_e32 v9, v9
	v_min_u32_e32 v9, 32, v9
	v_subrev_nc_u32_e32 v49, 28, v9
	v_lshlrev_b64 v[51:52], v49, v[1:2]
	v_sub_nc_u32_e32 v49, 29, v9
	v_and_b32_e32 v9, 7, v51
; %bb.198:                              ;   in Loop: Header=BB269_9 Depth=1
	s_or_b32 exec_lo, exec_lo, s35
	v_lshlrev_b32_e32 v1, 8, v1
	v_lshl_add_u32 v49, v49, 10, 0x2000
	v_lshlrev_b32_e32 v9, 23, v9
	v_and_or_b32 v1, 0x8000, v1, v49
	v_lshl_or_b32 v49, v1, 16, v9
.LBB269_199:                            ;   in Loop: Header=BB269_9 Depth=1
	s_or_b32 exec_lo, exec_lo, s34
.LBB269_200:                            ;   in Loop: Header=BB269_9 Depth=1
	s_or_b32 exec_lo, exec_lo, s33
.LBB269_201:                            ;   in Loop: Header=BB269_9 Depth=1
	s_or_b32 exec_lo, exec_lo, s4
	global_load_dword v9, v[7:8], off offset:768
	v_mov_b32_e32 v51, 0
	v_mov_b32_e32 v52, 0
	s_waitcnt vmcnt(0)
	v_cmp_ne_u16_sdwa s3, v9, v2 src0_sel:BYTE_0 src1_sel:DWORD
	s_and_saveexec_b32 s4, s3
	s_cbranch_execz .LBB269_209
; %bb.202:                              ;   in Loop: Header=BB269_9 Depth=1
	v_cmp_ne_u16_sdwa s3, v9, v21 src0_sel:BYTE_0 src1_sel:DWORD
	v_mov_b32_e32 v52, 0x8000
	s_and_saveexec_b32 s33, s3
	s_cbranch_execz .LBB269_208
; %bb.203:                              ;   in Loop: Header=BB269_9 Depth=1
	v_and_b32_e32 v53, 0x7f, v9
	v_mov_b32_e32 v52, 0x7c01
	s_mov_b32 s34, exec_lo
	v_cmpx_ne_u32_e32 0x7f, v53
	s_cbranch_execz .LBB269_207
; %bb.204:                              ;   in Loop: Header=BB269_9 Depth=1
	v_and_b32_e32 v1, 7, v9
	v_lshrrev_b32_e32 v52, 3, v53
	s_mov_b32 s35, exec_lo
	v_cmpx_gt_u32_e32 8, v53
; %bb.205:                              ;   in Loop: Header=BB269_9 Depth=1
	v_ffbh_u32_e32 v1, v1
	v_min_u32_e32 v1, 32, v1
	v_subrev_nc_u32_e32 v52, 28, v1
	v_lshlrev_b64 v[53:54], v52, v[9:10]
	v_sub_nc_u32_e32 v52, 29, v1
	v_and_b32_e32 v1, 7, v53
; %bb.206:                              ;   in Loop: Header=BB269_9 Depth=1
	s_or_b32 exec_lo, exec_lo, s35
	v_lshlrev_b32_e32 v53, 8, v9
	v_lshl_add_u32 v52, v52, 10, 0x2000
	v_lshlrev_b32_e32 v1, 7, v1
	v_and_b32_e32 v53, 0x8000, v53
	v_and_b32_e32 v52, 0xfc00, v52
	v_or3_b32 v52, v53, v52, v1
.LBB269_207:                            ;   in Loop: Header=BB269_9 Depth=1
	s_or_b32 exec_lo, exec_lo, s34
.LBB269_208:                            ;   in Loop: Header=BB269_9 Depth=1
	s_or_b32 exec_lo, exec_lo, s33
.LBB269_209:                            ;   in Loop: Header=BB269_9 Depth=1
	s_or_b32 exec_lo, exec_lo, s4
	v_lshrrev_b16 v1, 8, v9
	s_mov_b32 s4, exec_lo
	v_cmpx_ne_u16_e32 0, v1
	s_cbranch_execz .LBB269_217
; %bb.210:                              ;   in Loop: Header=BB269_9 Depth=1
	v_bfrev_b32_e32 v51, 1
	s_mov_b32 s33, exec_lo
	v_cmpx_ne_u16_e32 0x80, v1
	s_cbranch_execz .LBB269_216
; %bb.211:                              ;   in Loop: Header=BB269_9 Depth=1
	v_and_b32_sdwa v54, v1, v22 dst_sel:DWORD dst_unused:UNUSED_PAD src0_sel:WORD_0 src1_sel:DWORD
	v_mov_b32_e32 v51, 0x7c010000
	s_mov_b32 s34, exec_lo
	v_cmpx_ne_u32_e32 0x7f, v54
	s_cbranch_execz .LBB269_215
; %bb.212:                              ;   in Loop: Header=BB269_9 Depth=1
	v_and_b32_sdwa v51, v1, v23 dst_sel:DWORD dst_unused:UNUSED_PAD src0_sel:WORD_0 src1_sel:DWORD
	v_lshrrev_b32_e32 v53, 3, v54
	s_mov_b32 s35, exec_lo
	v_cmpx_gt_u32_e32 8, v54
; %bb.213:                              ;   in Loop: Header=BB269_9 Depth=1
	v_ffbh_u32_e32 v51, v51
	v_min_u32_e32 v51, 32, v51
	v_subrev_nc_u32_e32 v53, 28, v51
	v_lshlrev_b64 v[54:55], v53, v[1:2]
	v_sub_nc_u32_e32 v53, 29, v51
	v_and_b32_e32 v51, 7, v54
; %bb.214:                              ;   in Loop: Header=BB269_9 Depth=1
	s_or_b32 exec_lo, exec_lo, s35
	v_lshlrev_b32_sdwa v1, v24, v1 dst_sel:DWORD dst_unused:UNUSED_PAD src0_sel:DWORD src1_sel:WORD_0
	v_lshl_add_u32 v53, v53, 10, 0x2000
	v_lshlrev_b32_e32 v51, 23, v51
	v_and_or_b32 v1, 0x8000, v1, v53
	v_lshl_or_b32 v51, v1, 16, v51
.LBB269_215:                            ;   in Loop: Header=BB269_9 Depth=1
	s_or_b32 exec_lo, exec_lo, s34
.LBB269_216:                            ;   in Loop: Header=BB269_9 Depth=1
	s_or_b32 exec_lo, exec_lo, s33
.LBB269_217:                            ;   in Loop: Header=BB269_9 Depth=1
	s_or_b32 exec_lo, exec_lo, s4
	v_lshrrev_b32_e32 v1, 16, v9
	v_mov_b32_e32 v53, 0
	v_mov_b32_e32 v54, 0
	v_cmp_ne_u16_sdwa s3, v1, v2 src0_sel:BYTE_0 src1_sel:DWORD
	s_and_saveexec_b32 s4, s3
	s_cbranch_execz .LBB269_225
; %bb.218:                              ;   in Loop: Header=BB269_9 Depth=1
	v_cmp_ne_u16_sdwa s3, v1, v21 src0_sel:BYTE_0 src1_sel:DWORD
	v_mov_b32_e32 v54, 0x8000
	s_and_saveexec_b32 s33, s3
	s_cbranch_execz .LBB269_224
; %bb.219:                              ;   in Loop: Header=BB269_9 Depth=1
	v_bfe_u32 v56, v9, 16, 7
	v_mov_b32_e32 v54, 0x7c01
	s_mov_b32 s34, exec_lo
	v_cmpx_ne_u32_e32 0x7f, v56
	s_cbranch_execz .LBB269_223
; %bb.220:                              ;   in Loop: Header=BB269_9 Depth=1
	v_and_b32_e32 v54, 7, v1
	v_lshrrev_b32_e32 v55, 3, v56
	s_mov_b32 s35, exec_lo
	v_cmpx_gt_u32_e32 8, v56
; %bb.221:                              ;   in Loop: Header=BB269_9 Depth=1
	v_ffbh_u32_e32 v54, v54
	v_min_u32_e32 v56, 32, v54
	v_subrev_nc_u32_e32 v54, 28, v56
	v_lshlrev_b64 v[54:55], v54, v[1:2]
	v_sub_nc_u32_e32 v55, 29, v56
	v_and_b32_e32 v54, 7, v54
; %bb.222:                              ;   in Loop: Header=BB269_9 Depth=1
	s_or_b32 exec_lo, exec_lo, s35
	v_lshlrev_b32_e32 v1, 8, v1
	v_lshl_add_u32 v55, v55, 10, 0x2000
	v_lshlrev_b32_e32 v54, 7, v54
	v_and_b32_e32 v1, 0x8000, v1
	v_and_b32_e32 v55, 0xfc00, v55
	v_or3_b32 v54, v1, v55, v54
.LBB269_223:                            ;   in Loop: Header=BB269_9 Depth=1
	s_or_b32 exec_lo, exec_lo, s34
.LBB269_224:                            ;   in Loop: Header=BB269_9 Depth=1
	s_or_b32 exec_lo, exec_lo, s33
.LBB269_225:                            ;   in Loop: Header=BB269_9 Depth=1
	s_or_b32 exec_lo, exec_lo, s4
	s_mov_b32 s4, exec_lo
	v_cmpx_lt_u32_e32 0xffffff, v9
	s_cbranch_execz .LBB269_233
; %bb.226:                              ;   in Loop: Header=BB269_9 Depth=1
	v_lshrrev_b32_e32 v1, 24, v9
	v_bfrev_b32_e32 v53, 1
	s_mov_b32 s33, exec_lo
	v_cmpx_ne_u32_e32 0x80, v1
	s_cbranch_execz .LBB269_232
; %bb.227:                              ;   in Loop: Header=BB269_9 Depth=1
	v_and_b32_e32 v55, 0x7f, v1
	v_mov_b32_e32 v53, 0x7c010000
	s_mov_b32 s34, exec_lo
	v_cmpx_ne_u32_e32 0x7f, v55
	s_cbranch_execz .LBB269_231
; %bb.228:                              ;   in Loop: Header=BB269_9 Depth=1
	v_and_b32_e32 v9, 7, v1
	v_lshrrev_b32_e32 v53, 3, v55
	s_mov_b32 s35, exec_lo
	v_cmpx_gt_u32_e32 8, v55
; %bb.229:                              ;   in Loop: Header=BB269_9 Depth=1
	v_ffbh_u32_e32 v9, v9
	v_min_u32_e32 v9, 32, v9
	v_subrev_nc_u32_e32 v53, 28, v9
	v_lshlrev_b64 v[55:56], v53, v[1:2]
	v_sub_nc_u32_e32 v53, 29, v9
	v_and_b32_e32 v9, 7, v55
; %bb.230:                              ;   in Loop: Header=BB269_9 Depth=1
	s_or_b32 exec_lo, exec_lo, s35
	v_lshlrev_b32_e32 v1, 8, v1
	v_lshl_add_u32 v53, v53, 10, 0x2000
	v_lshlrev_b32_e32 v9, 23, v9
	v_and_or_b32 v1, 0x8000, v1, v53
	v_lshl_or_b32 v53, v1, 16, v9
.LBB269_231:                            ;   in Loop: Header=BB269_9 Depth=1
	s_or_b32 exec_lo, exec_lo, s34
.LBB269_232:                            ;   in Loop: Header=BB269_9 Depth=1
	s_or_b32 exec_lo, exec_lo, s33
.LBB269_233:                            ;   in Loop: Header=BB269_9 Depth=1
	s_or_b32 exec_lo, exec_lo, s4
	global_load_dword v9, v[7:8], off offset:776
	v_mov_b32_e32 v55, 0
	v_mov_b32_e32 v56, 0
	s_waitcnt vmcnt(0)
	v_cmp_ne_u16_sdwa s3, v9, v2 src0_sel:BYTE_0 src1_sel:DWORD
	s_and_saveexec_b32 s4, s3
	s_cbranch_execz .LBB269_241
; %bb.234:                              ;   in Loop: Header=BB269_9 Depth=1
	v_cmp_ne_u16_sdwa s3, v9, v21 src0_sel:BYTE_0 src1_sel:DWORD
	v_mov_b32_e32 v56, 0x8000
	s_and_saveexec_b32 s33, s3
	s_cbranch_execz .LBB269_240
; %bb.235:                              ;   in Loop: Header=BB269_9 Depth=1
	v_and_b32_e32 v57, 0x7f, v9
	v_mov_b32_e32 v56, 0x7c01
	s_mov_b32 s34, exec_lo
	v_cmpx_ne_u32_e32 0x7f, v57
	s_cbranch_execz .LBB269_239
; %bb.236:                              ;   in Loop: Header=BB269_9 Depth=1
	v_and_b32_e32 v1, 7, v9
	v_lshrrev_b32_e32 v56, 3, v57
	s_mov_b32 s35, exec_lo
	v_cmpx_gt_u32_e32 8, v57
; %bb.237:                              ;   in Loop: Header=BB269_9 Depth=1
	v_ffbh_u32_e32 v1, v1
	v_min_u32_e32 v1, 32, v1
	v_subrev_nc_u32_e32 v56, 28, v1
	v_lshlrev_b64 v[57:58], v56, v[9:10]
	v_sub_nc_u32_e32 v56, 29, v1
	v_and_b32_e32 v1, 7, v57
; %bb.238:                              ;   in Loop: Header=BB269_9 Depth=1
	s_or_b32 exec_lo, exec_lo, s35
	v_lshlrev_b32_e32 v57, 8, v9
	v_lshl_add_u32 v56, v56, 10, 0x2000
	v_lshlrev_b32_e32 v1, 7, v1
	v_and_b32_e32 v57, 0x8000, v57
	v_and_b32_e32 v56, 0xfc00, v56
	v_or3_b32 v56, v57, v56, v1
.LBB269_239:                            ;   in Loop: Header=BB269_9 Depth=1
	s_or_b32 exec_lo, exec_lo, s34
.LBB269_240:                            ;   in Loop: Header=BB269_9 Depth=1
	s_or_b32 exec_lo, exec_lo, s33
.LBB269_241:                            ;   in Loop: Header=BB269_9 Depth=1
	s_or_b32 exec_lo, exec_lo, s4
	v_lshrrev_b16 v1, 8, v9
	s_mov_b32 s4, exec_lo
	v_cmpx_ne_u16_e32 0, v1
	s_cbranch_execz .LBB269_249
; %bb.242:                              ;   in Loop: Header=BB269_9 Depth=1
	v_bfrev_b32_e32 v55, 1
	s_mov_b32 s33, exec_lo
	v_cmpx_ne_u16_e32 0x80, v1
	s_cbranch_execz .LBB269_248
; %bb.243:                              ;   in Loop: Header=BB269_9 Depth=1
	v_and_b32_sdwa v58, v1, v22 dst_sel:DWORD dst_unused:UNUSED_PAD src0_sel:WORD_0 src1_sel:DWORD
	v_mov_b32_e32 v55, 0x7c010000
	s_mov_b32 s34, exec_lo
	v_cmpx_ne_u32_e32 0x7f, v58
	s_cbranch_execz .LBB269_247
; %bb.244:                              ;   in Loop: Header=BB269_9 Depth=1
	v_and_b32_sdwa v55, v1, v23 dst_sel:DWORD dst_unused:UNUSED_PAD src0_sel:WORD_0 src1_sel:DWORD
	v_lshrrev_b32_e32 v57, 3, v58
	s_mov_b32 s35, exec_lo
	v_cmpx_gt_u32_e32 8, v58
; %bb.245:                              ;   in Loop: Header=BB269_9 Depth=1
	v_ffbh_u32_e32 v55, v55
	v_min_u32_e32 v55, 32, v55
	v_subrev_nc_u32_e32 v57, 28, v55
	v_lshlrev_b64 v[58:59], v57, v[1:2]
	v_sub_nc_u32_e32 v57, 29, v55
	v_and_b32_e32 v55, 7, v58
; %bb.246:                              ;   in Loop: Header=BB269_9 Depth=1
	s_or_b32 exec_lo, exec_lo, s35
	v_lshlrev_b32_sdwa v1, v24, v1 dst_sel:DWORD dst_unused:UNUSED_PAD src0_sel:DWORD src1_sel:WORD_0
	v_lshl_add_u32 v57, v57, 10, 0x2000
	v_lshlrev_b32_e32 v55, 23, v55
	v_and_or_b32 v1, 0x8000, v1, v57
	v_lshl_or_b32 v55, v1, 16, v55
.LBB269_247:                            ;   in Loop: Header=BB269_9 Depth=1
	s_or_b32 exec_lo, exec_lo, s34
.LBB269_248:                            ;   in Loop: Header=BB269_9 Depth=1
	s_or_b32 exec_lo, exec_lo, s33
.LBB269_249:                            ;   in Loop: Header=BB269_9 Depth=1
	s_or_b32 exec_lo, exec_lo, s4
	v_lshrrev_b32_e32 v1, 16, v9
	v_mov_b32_e32 v57, 0
	v_mov_b32_e32 v58, 0
	v_cmp_ne_u16_sdwa s3, v1, v2 src0_sel:BYTE_0 src1_sel:DWORD
	s_and_saveexec_b32 s4, s3
	s_cbranch_execz .LBB269_257
; %bb.250:                              ;   in Loop: Header=BB269_9 Depth=1
	v_cmp_ne_u16_sdwa s3, v1, v21 src0_sel:BYTE_0 src1_sel:DWORD
	v_mov_b32_e32 v58, 0x8000
	s_and_saveexec_b32 s33, s3
	s_cbranch_execz .LBB269_256
; %bb.251:                              ;   in Loop: Header=BB269_9 Depth=1
	v_bfe_u32 v60, v9, 16, 7
	v_mov_b32_e32 v58, 0x7c01
	s_mov_b32 s34, exec_lo
	v_cmpx_ne_u32_e32 0x7f, v60
	s_cbranch_execz .LBB269_255
; %bb.252:                              ;   in Loop: Header=BB269_9 Depth=1
	v_and_b32_e32 v58, 7, v1
	v_lshrrev_b32_e32 v59, 3, v60
	s_mov_b32 s35, exec_lo
	v_cmpx_gt_u32_e32 8, v60
; %bb.253:                              ;   in Loop: Header=BB269_9 Depth=1
	v_ffbh_u32_e32 v58, v58
	v_min_u32_e32 v60, 32, v58
	v_subrev_nc_u32_e32 v58, 28, v60
	v_lshlrev_b64 v[58:59], v58, v[1:2]
	v_sub_nc_u32_e32 v59, 29, v60
	v_and_b32_e32 v58, 7, v58
; %bb.254:                              ;   in Loop: Header=BB269_9 Depth=1
	s_or_b32 exec_lo, exec_lo, s35
	v_lshlrev_b32_e32 v1, 8, v1
	v_lshl_add_u32 v59, v59, 10, 0x2000
	v_lshlrev_b32_e32 v58, 7, v58
	v_and_b32_e32 v1, 0x8000, v1
	v_and_b32_e32 v59, 0xfc00, v59
	v_or3_b32 v58, v1, v59, v58
.LBB269_255:                            ;   in Loop: Header=BB269_9 Depth=1
	s_or_b32 exec_lo, exec_lo, s34
.LBB269_256:                            ;   in Loop: Header=BB269_9 Depth=1
	s_or_b32 exec_lo, exec_lo, s33
.LBB269_257:                            ;   in Loop: Header=BB269_9 Depth=1
	s_or_b32 exec_lo, exec_lo, s4
	s_mov_b32 s4, exec_lo
	v_cmpx_lt_u32_e32 0xffffff, v9
	s_cbranch_execz .LBB269_265
; %bb.258:                              ;   in Loop: Header=BB269_9 Depth=1
	v_lshrrev_b32_e32 v1, 24, v9
	v_bfrev_b32_e32 v57, 1
	s_mov_b32 s33, exec_lo
	v_cmpx_ne_u32_e32 0x80, v1
	s_cbranch_execz .LBB269_264
; %bb.259:                              ;   in Loop: Header=BB269_9 Depth=1
	v_and_b32_e32 v59, 0x7f, v1
	v_mov_b32_e32 v57, 0x7c010000
	s_mov_b32 s34, exec_lo
	v_cmpx_ne_u32_e32 0x7f, v59
	s_cbranch_execz .LBB269_263
; %bb.260:                              ;   in Loop: Header=BB269_9 Depth=1
	v_and_b32_e32 v9, 7, v1
	v_lshrrev_b32_e32 v57, 3, v59
	s_mov_b32 s35, exec_lo
	v_cmpx_gt_u32_e32 8, v59
; %bb.261:                              ;   in Loop: Header=BB269_9 Depth=1
	v_ffbh_u32_e32 v9, v9
	v_min_u32_e32 v9, 32, v9
	v_subrev_nc_u32_e32 v57, 28, v9
	v_lshlrev_b64 v[59:60], v57, v[1:2]
	v_sub_nc_u32_e32 v57, 29, v9
	v_and_b32_e32 v9, 7, v59
; %bb.262:                              ;   in Loop: Header=BB269_9 Depth=1
	s_or_b32 exec_lo, exec_lo, s35
	v_lshlrev_b32_e32 v1, 8, v1
	v_lshl_add_u32 v57, v57, 10, 0x2000
	v_lshlrev_b32_e32 v9, 23, v9
	v_and_or_b32 v1, 0x8000, v1, v57
	v_lshl_or_b32 v57, v1, 16, v9
.LBB269_263:                            ;   in Loop: Header=BB269_9 Depth=1
	s_or_b32 exec_lo, exec_lo, s34
.LBB269_264:                            ;   in Loop: Header=BB269_9 Depth=1
	s_or_b32 exec_lo, exec_lo, s33
.LBB269_265:                            ;   in Loop: Header=BB269_9 Depth=1
	s_or_b32 exec_lo, exec_lo, s4
	global_load_dword v9, v[7:8], off offset:1024
	v_mov_b32_e32 v59, 0
	v_mov_b32_e32 v60, 0
	s_waitcnt vmcnt(0)
	v_cmp_ne_u16_sdwa s3, v9, v2 src0_sel:BYTE_0 src1_sel:DWORD
	s_and_saveexec_b32 s4, s3
	s_cbranch_execz .LBB269_273
; %bb.266:                              ;   in Loop: Header=BB269_9 Depth=1
	v_cmp_ne_u16_sdwa s3, v9, v21 src0_sel:BYTE_0 src1_sel:DWORD
	v_mov_b32_e32 v60, 0x8000
	s_and_saveexec_b32 s33, s3
	s_cbranch_execz .LBB269_272
; %bb.267:                              ;   in Loop: Header=BB269_9 Depth=1
	v_and_b32_e32 v61, 0x7f, v9
	v_mov_b32_e32 v60, 0x7c01
	s_mov_b32 s34, exec_lo
	v_cmpx_ne_u32_e32 0x7f, v61
	s_cbranch_execz .LBB269_271
; %bb.268:                              ;   in Loop: Header=BB269_9 Depth=1
	v_and_b32_e32 v1, 7, v9
	v_lshrrev_b32_e32 v60, 3, v61
	s_mov_b32 s35, exec_lo
	v_cmpx_gt_u32_e32 8, v61
; %bb.269:                              ;   in Loop: Header=BB269_9 Depth=1
	v_ffbh_u32_e32 v1, v1
	v_min_u32_e32 v1, 32, v1
	v_subrev_nc_u32_e32 v60, 28, v1
	v_lshlrev_b64 v[61:62], v60, v[9:10]
	v_sub_nc_u32_e32 v60, 29, v1
	v_and_b32_e32 v1, 7, v61
; %bb.270:                              ;   in Loop: Header=BB269_9 Depth=1
	s_or_b32 exec_lo, exec_lo, s35
	v_lshlrev_b32_e32 v61, 8, v9
	v_lshl_add_u32 v60, v60, 10, 0x2000
	v_lshlrev_b32_e32 v1, 7, v1
	v_and_b32_e32 v61, 0x8000, v61
	v_and_b32_e32 v60, 0xfc00, v60
	v_or3_b32 v60, v61, v60, v1
.LBB269_271:                            ;   in Loop: Header=BB269_9 Depth=1
	s_or_b32 exec_lo, exec_lo, s34
.LBB269_272:                            ;   in Loop: Header=BB269_9 Depth=1
	s_or_b32 exec_lo, exec_lo, s33
.LBB269_273:                            ;   in Loop: Header=BB269_9 Depth=1
	s_or_b32 exec_lo, exec_lo, s4
	v_lshrrev_b16 v1, 8, v9
	s_mov_b32 s4, exec_lo
	v_cmpx_ne_u16_e32 0, v1
	s_cbranch_execz .LBB269_281
; %bb.274:                              ;   in Loop: Header=BB269_9 Depth=1
	v_bfrev_b32_e32 v59, 1
	s_mov_b32 s33, exec_lo
	v_cmpx_ne_u16_e32 0x80, v1
	s_cbranch_execz .LBB269_280
; %bb.275:                              ;   in Loop: Header=BB269_9 Depth=1
	v_and_b32_sdwa v62, v1, v22 dst_sel:DWORD dst_unused:UNUSED_PAD src0_sel:WORD_0 src1_sel:DWORD
	v_mov_b32_e32 v59, 0x7c010000
	s_mov_b32 s34, exec_lo
	v_cmpx_ne_u32_e32 0x7f, v62
	s_cbranch_execz .LBB269_279
; %bb.276:                              ;   in Loop: Header=BB269_9 Depth=1
	v_and_b32_sdwa v59, v1, v23 dst_sel:DWORD dst_unused:UNUSED_PAD src0_sel:WORD_0 src1_sel:DWORD
	v_lshrrev_b32_e32 v61, 3, v62
	s_mov_b32 s35, exec_lo
	v_cmpx_gt_u32_e32 8, v62
; %bb.277:                              ;   in Loop: Header=BB269_9 Depth=1
	v_ffbh_u32_e32 v59, v59
	v_min_u32_e32 v59, 32, v59
	v_subrev_nc_u32_e32 v61, 28, v59
	v_lshlrev_b64 v[62:63], v61, v[1:2]
	v_sub_nc_u32_e32 v61, 29, v59
	v_and_b32_e32 v59, 7, v62
; %bb.278:                              ;   in Loop: Header=BB269_9 Depth=1
	s_or_b32 exec_lo, exec_lo, s35
	v_lshlrev_b32_sdwa v1, v24, v1 dst_sel:DWORD dst_unused:UNUSED_PAD src0_sel:DWORD src1_sel:WORD_0
	v_lshl_add_u32 v61, v61, 10, 0x2000
	v_lshlrev_b32_e32 v59, 23, v59
	v_and_or_b32 v1, 0x8000, v1, v61
	v_lshl_or_b32 v59, v1, 16, v59
.LBB269_279:                            ;   in Loop: Header=BB269_9 Depth=1
	s_or_b32 exec_lo, exec_lo, s34
.LBB269_280:                            ;   in Loop: Header=BB269_9 Depth=1
	s_or_b32 exec_lo, exec_lo, s33
.LBB269_281:                            ;   in Loop: Header=BB269_9 Depth=1
	s_or_b32 exec_lo, exec_lo, s4
	v_lshrrev_b32_e32 v1, 16, v9
	v_mov_b32_e32 v61, 0
	v_mov_b32_e32 v62, 0
	v_cmp_ne_u16_sdwa s3, v1, v2 src0_sel:BYTE_0 src1_sel:DWORD
	s_and_saveexec_b32 s4, s3
	s_cbranch_execz .LBB269_289
; %bb.282:                              ;   in Loop: Header=BB269_9 Depth=1
	v_cmp_ne_u16_sdwa s3, v1, v21 src0_sel:BYTE_0 src1_sel:DWORD
	v_mov_b32_e32 v62, 0x8000
	s_and_saveexec_b32 s33, s3
	s_cbranch_execz .LBB269_288
; %bb.283:                              ;   in Loop: Header=BB269_9 Depth=1
	v_bfe_u32 v64, v9, 16, 7
	v_mov_b32_e32 v62, 0x7c01
	s_mov_b32 s34, exec_lo
	v_cmpx_ne_u32_e32 0x7f, v64
	s_cbranch_execz .LBB269_287
; %bb.284:                              ;   in Loop: Header=BB269_9 Depth=1
	v_and_b32_e32 v62, 7, v1
	v_lshrrev_b32_e32 v63, 3, v64
	s_mov_b32 s35, exec_lo
	v_cmpx_gt_u32_e32 8, v64
; %bb.285:                              ;   in Loop: Header=BB269_9 Depth=1
	v_ffbh_u32_e32 v62, v62
	v_min_u32_e32 v64, 32, v62
	v_subrev_nc_u32_e32 v62, 28, v64
	v_lshlrev_b64 v[62:63], v62, v[1:2]
	v_sub_nc_u32_e32 v63, 29, v64
	v_and_b32_e32 v62, 7, v62
; %bb.286:                              ;   in Loop: Header=BB269_9 Depth=1
	s_or_b32 exec_lo, exec_lo, s35
	v_lshlrev_b32_e32 v1, 8, v1
	v_lshl_add_u32 v63, v63, 10, 0x2000
	v_lshlrev_b32_e32 v62, 7, v62
	v_and_b32_e32 v1, 0x8000, v1
	v_and_b32_e32 v63, 0xfc00, v63
	v_or3_b32 v62, v1, v63, v62
.LBB269_287:                            ;   in Loop: Header=BB269_9 Depth=1
	s_or_b32 exec_lo, exec_lo, s34
.LBB269_288:                            ;   in Loop: Header=BB269_9 Depth=1
	s_or_b32 exec_lo, exec_lo, s33
.LBB269_289:                            ;   in Loop: Header=BB269_9 Depth=1
	s_or_b32 exec_lo, exec_lo, s4
	s_mov_b32 s4, exec_lo
	v_cmpx_lt_u32_e32 0xffffff, v9
	s_cbranch_execz .LBB269_297
; %bb.290:                              ;   in Loop: Header=BB269_9 Depth=1
	v_lshrrev_b32_e32 v1, 24, v9
	v_bfrev_b32_e32 v61, 1
	s_mov_b32 s33, exec_lo
	v_cmpx_ne_u32_e32 0x80, v1
	s_cbranch_execz .LBB269_296
; %bb.291:                              ;   in Loop: Header=BB269_9 Depth=1
	v_and_b32_e32 v63, 0x7f, v1
	v_mov_b32_e32 v61, 0x7c010000
	s_mov_b32 s34, exec_lo
	v_cmpx_ne_u32_e32 0x7f, v63
	s_cbranch_execz .LBB269_295
; %bb.292:                              ;   in Loop: Header=BB269_9 Depth=1
	v_and_b32_e32 v9, 7, v1
	v_lshrrev_b32_e32 v61, 3, v63
	s_mov_b32 s35, exec_lo
	v_cmpx_gt_u32_e32 8, v63
; %bb.293:                              ;   in Loop: Header=BB269_9 Depth=1
	v_ffbh_u32_e32 v9, v9
	v_min_u32_e32 v9, 32, v9
	v_subrev_nc_u32_e32 v61, 28, v9
	v_lshlrev_b64 v[63:64], v61, v[1:2]
	v_sub_nc_u32_e32 v61, 29, v9
	v_and_b32_e32 v9, 7, v63
; %bb.294:                              ;   in Loop: Header=BB269_9 Depth=1
	s_or_b32 exec_lo, exec_lo, s35
	v_lshlrev_b32_e32 v1, 8, v1
	v_lshl_add_u32 v61, v61, 10, 0x2000
	v_lshlrev_b32_e32 v9, 23, v9
	v_and_or_b32 v1, 0x8000, v1, v61
	v_lshl_or_b32 v61, v1, 16, v9
.LBB269_295:                            ;   in Loop: Header=BB269_9 Depth=1
	s_or_b32 exec_lo, exec_lo, s34
.LBB269_296:                            ;   in Loop: Header=BB269_9 Depth=1
	s_or_b32 exec_lo, exec_lo, s33
.LBB269_297:                            ;   in Loop: Header=BB269_9 Depth=1
	s_or_b32 exec_lo, exec_lo, s4
	global_load_dword v9, v[7:8], off offset:1032
	v_mov_b32_e32 v63, 0
	v_mov_b32_e32 v64, 0
	s_waitcnt vmcnt(0)
	v_cmp_ne_u16_sdwa s3, v9, v2 src0_sel:BYTE_0 src1_sel:DWORD
	s_and_saveexec_b32 s4, s3
	s_cbranch_execz .LBB269_305
; %bb.298:                              ;   in Loop: Header=BB269_9 Depth=1
	v_cmp_ne_u16_sdwa s3, v9, v21 src0_sel:BYTE_0 src1_sel:DWORD
	v_mov_b32_e32 v64, 0x8000
	s_and_saveexec_b32 s33, s3
	s_cbranch_execz .LBB269_304
; %bb.299:                              ;   in Loop: Header=BB269_9 Depth=1
	v_and_b32_e32 v65, 0x7f, v9
	v_mov_b32_e32 v64, 0x7c01
	s_mov_b32 s34, exec_lo
	v_cmpx_ne_u32_e32 0x7f, v65
	s_cbranch_execz .LBB269_303
; %bb.300:                              ;   in Loop: Header=BB269_9 Depth=1
	v_and_b32_e32 v1, 7, v9
	v_lshrrev_b32_e32 v64, 3, v65
	s_mov_b32 s35, exec_lo
	v_cmpx_gt_u32_e32 8, v65
; %bb.301:                              ;   in Loop: Header=BB269_9 Depth=1
	v_ffbh_u32_e32 v1, v1
	v_min_u32_e32 v1, 32, v1
	v_subrev_nc_u32_e32 v64, 28, v1
	v_lshlrev_b64 v[65:66], v64, v[9:10]
	v_sub_nc_u32_e32 v64, 29, v1
	v_and_b32_e32 v1, 7, v65
; %bb.302:                              ;   in Loop: Header=BB269_9 Depth=1
	s_or_b32 exec_lo, exec_lo, s35
	v_lshlrev_b32_e32 v65, 8, v9
	v_lshl_add_u32 v64, v64, 10, 0x2000
	v_lshlrev_b32_e32 v1, 7, v1
	v_and_b32_e32 v65, 0x8000, v65
	v_and_b32_e32 v64, 0xfc00, v64
	v_or3_b32 v64, v65, v64, v1
.LBB269_303:                            ;   in Loop: Header=BB269_9 Depth=1
	s_or_b32 exec_lo, exec_lo, s34
.LBB269_304:                            ;   in Loop: Header=BB269_9 Depth=1
	s_or_b32 exec_lo, exec_lo, s33
.LBB269_305:                            ;   in Loop: Header=BB269_9 Depth=1
	s_or_b32 exec_lo, exec_lo, s4
	v_lshrrev_b16 v1, 8, v9
	s_mov_b32 s4, exec_lo
	v_cmpx_ne_u16_e32 0, v1
	s_cbranch_execz .LBB269_313
; %bb.306:                              ;   in Loop: Header=BB269_9 Depth=1
	v_bfrev_b32_e32 v63, 1
	s_mov_b32 s33, exec_lo
	v_cmpx_ne_u16_e32 0x80, v1
	s_cbranch_execz .LBB269_312
; %bb.307:                              ;   in Loop: Header=BB269_9 Depth=1
	v_and_b32_sdwa v66, v1, v22 dst_sel:DWORD dst_unused:UNUSED_PAD src0_sel:WORD_0 src1_sel:DWORD
	v_mov_b32_e32 v63, 0x7c010000
	s_mov_b32 s34, exec_lo
	v_cmpx_ne_u32_e32 0x7f, v66
	s_cbranch_execz .LBB269_311
; %bb.308:                              ;   in Loop: Header=BB269_9 Depth=1
	v_and_b32_sdwa v63, v1, v23 dst_sel:DWORD dst_unused:UNUSED_PAD src0_sel:WORD_0 src1_sel:DWORD
	v_lshrrev_b32_e32 v65, 3, v66
	s_mov_b32 s35, exec_lo
	v_cmpx_gt_u32_e32 8, v66
; %bb.309:                              ;   in Loop: Header=BB269_9 Depth=1
	v_ffbh_u32_e32 v63, v63
	v_min_u32_e32 v63, 32, v63
	v_subrev_nc_u32_e32 v65, 28, v63
	v_lshlrev_b64 v[66:67], v65, v[1:2]
	v_sub_nc_u32_e32 v65, 29, v63
	v_and_b32_e32 v63, 7, v66
; %bb.310:                              ;   in Loop: Header=BB269_9 Depth=1
	s_or_b32 exec_lo, exec_lo, s35
	v_lshlrev_b32_sdwa v1, v24, v1 dst_sel:DWORD dst_unused:UNUSED_PAD src0_sel:DWORD src1_sel:WORD_0
	v_lshl_add_u32 v65, v65, 10, 0x2000
	v_lshlrev_b32_e32 v63, 23, v63
	v_and_or_b32 v1, 0x8000, v1, v65
	v_lshl_or_b32 v63, v1, 16, v63
.LBB269_311:                            ;   in Loop: Header=BB269_9 Depth=1
	s_or_b32 exec_lo, exec_lo, s34
.LBB269_312:                            ;   in Loop: Header=BB269_9 Depth=1
	s_or_b32 exec_lo, exec_lo, s33
.LBB269_313:                            ;   in Loop: Header=BB269_9 Depth=1
	s_or_b32 exec_lo, exec_lo, s4
	v_lshrrev_b32_e32 v1, 16, v9
	v_mov_b32_e32 v65, 0
	v_mov_b32_e32 v66, 0
	v_cmp_ne_u16_sdwa s3, v1, v2 src0_sel:BYTE_0 src1_sel:DWORD
	s_and_saveexec_b32 s4, s3
	s_cbranch_execz .LBB269_321
; %bb.314:                              ;   in Loop: Header=BB269_9 Depth=1
	v_cmp_ne_u16_sdwa s3, v1, v21 src0_sel:BYTE_0 src1_sel:DWORD
	v_mov_b32_e32 v66, 0x8000
	s_and_saveexec_b32 s33, s3
	s_cbranch_execz .LBB269_320
; %bb.315:                              ;   in Loop: Header=BB269_9 Depth=1
	v_bfe_u32 v68, v9, 16, 7
	v_mov_b32_e32 v66, 0x7c01
	s_mov_b32 s34, exec_lo
	v_cmpx_ne_u32_e32 0x7f, v68
	s_cbranch_execz .LBB269_319
; %bb.316:                              ;   in Loop: Header=BB269_9 Depth=1
	v_and_b32_e32 v66, 7, v1
	v_lshrrev_b32_e32 v67, 3, v68
	s_mov_b32 s35, exec_lo
	v_cmpx_gt_u32_e32 8, v68
; %bb.317:                              ;   in Loop: Header=BB269_9 Depth=1
	v_ffbh_u32_e32 v66, v66
	v_min_u32_e32 v68, 32, v66
	v_subrev_nc_u32_e32 v66, 28, v68
	v_lshlrev_b64 v[66:67], v66, v[1:2]
	v_sub_nc_u32_e32 v67, 29, v68
	v_and_b32_e32 v66, 7, v66
; %bb.318:                              ;   in Loop: Header=BB269_9 Depth=1
	s_or_b32 exec_lo, exec_lo, s35
	v_lshlrev_b32_e32 v1, 8, v1
	v_lshl_add_u32 v67, v67, 10, 0x2000
	v_lshlrev_b32_e32 v66, 7, v66
	v_and_b32_e32 v1, 0x8000, v1
	v_and_b32_e32 v67, 0xfc00, v67
	v_or3_b32 v66, v1, v67, v66
.LBB269_319:                            ;   in Loop: Header=BB269_9 Depth=1
	s_or_b32 exec_lo, exec_lo, s34
.LBB269_320:                            ;   in Loop: Header=BB269_9 Depth=1
	s_or_b32 exec_lo, exec_lo, s33
.LBB269_321:                            ;   in Loop: Header=BB269_9 Depth=1
	s_or_b32 exec_lo, exec_lo, s4
	s_mov_b32 s4, exec_lo
	v_cmpx_lt_u32_e32 0xffffff, v9
	s_cbranch_execz .LBB269_329
; %bb.322:                              ;   in Loop: Header=BB269_9 Depth=1
	v_lshrrev_b32_e32 v1, 24, v9
	v_bfrev_b32_e32 v65, 1
	s_mov_b32 s33, exec_lo
	v_cmpx_ne_u32_e32 0x80, v1
	s_cbranch_execz .LBB269_328
; %bb.323:                              ;   in Loop: Header=BB269_9 Depth=1
	v_and_b32_e32 v67, 0x7f, v1
	v_mov_b32_e32 v65, 0x7c010000
	s_mov_b32 s34, exec_lo
	v_cmpx_ne_u32_e32 0x7f, v67
	s_cbranch_execz .LBB269_327
; %bb.324:                              ;   in Loop: Header=BB269_9 Depth=1
	v_and_b32_e32 v9, 7, v1
	v_lshrrev_b32_e32 v65, 3, v67
	s_mov_b32 s35, exec_lo
	v_cmpx_gt_u32_e32 8, v67
; %bb.325:                              ;   in Loop: Header=BB269_9 Depth=1
	v_ffbh_u32_e32 v9, v9
	v_min_u32_e32 v9, 32, v9
	v_subrev_nc_u32_e32 v65, 28, v9
	v_lshlrev_b64 v[67:68], v65, v[1:2]
	v_sub_nc_u32_e32 v65, 29, v9
	v_and_b32_e32 v9, 7, v67
; %bb.326:                              ;   in Loop: Header=BB269_9 Depth=1
	s_or_b32 exec_lo, exec_lo, s35
	v_lshlrev_b32_e32 v1, 8, v1
	v_lshl_add_u32 v65, v65, 10, 0x2000
	v_lshlrev_b32_e32 v9, 23, v9
	v_and_or_b32 v1, 0x8000, v1, v65
	v_lshl_or_b32 v65, v1, 16, v9
.LBB269_327:                            ;   in Loop: Header=BB269_9 Depth=1
	s_or_b32 exec_lo, exec_lo, s34
.LBB269_328:                            ;   in Loop: Header=BB269_9 Depth=1
	s_or_b32 exec_lo, exec_lo, s33
.LBB269_329:                            ;   in Loop: Header=BB269_9 Depth=1
	s_or_b32 exec_lo, exec_lo, s4
	global_load_dword v9, v[7:8], off offset:1280
	v_mov_b32_e32 v67, 0
	v_mov_b32_e32 v68, 0
	s_waitcnt vmcnt(0)
	v_cmp_ne_u16_sdwa s3, v9, v2 src0_sel:BYTE_0 src1_sel:DWORD
	s_and_saveexec_b32 s4, s3
	s_cbranch_execz .LBB269_337
; %bb.330:                              ;   in Loop: Header=BB269_9 Depth=1
	v_cmp_ne_u16_sdwa s3, v9, v21 src0_sel:BYTE_0 src1_sel:DWORD
	v_mov_b32_e32 v68, 0x8000
	s_and_saveexec_b32 s33, s3
	s_cbranch_execz .LBB269_336
; %bb.331:                              ;   in Loop: Header=BB269_9 Depth=1
	v_and_b32_e32 v69, 0x7f, v9
	v_mov_b32_e32 v68, 0x7c01
	s_mov_b32 s34, exec_lo
	v_cmpx_ne_u32_e32 0x7f, v69
	s_cbranch_execz .LBB269_335
; %bb.332:                              ;   in Loop: Header=BB269_9 Depth=1
	v_and_b32_e32 v1, 7, v9
	v_lshrrev_b32_e32 v68, 3, v69
	s_mov_b32 s35, exec_lo
	v_cmpx_gt_u32_e32 8, v69
; %bb.333:                              ;   in Loop: Header=BB269_9 Depth=1
	v_ffbh_u32_e32 v1, v1
	v_min_u32_e32 v1, 32, v1
	v_subrev_nc_u32_e32 v68, 28, v1
	v_lshlrev_b64 v[69:70], v68, v[9:10]
	v_sub_nc_u32_e32 v68, 29, v1
	v_and_b32_e32 v1, 7, v69
; %bb.334:                              ;   in Loop: Header=BB269_9 Depth=1
	s_or_b32 exec_lo, exec_lo, s35
	v_lshlrev_b32_e32 v69, 8, v9
	v_lshl_add_u32 v68, v68, 10, 0x2000
	v_lshlrev_b32_e32 v1, 7, v1
	v_and_b32_e32 v69, 0x8000, v69
	v_and_b32_e32 v68, 0xfc00, v68
	v_or3_b32 v68, v69, v68, v1
.LBB269_335:                            ;   in Loop: Header=BB269_9 Depth=1
	s_or_b32 exec_lo, exec_lo, s34
.LBB269_336:                            ;   in Loop: Header=BB269_9 Depth=1
	s_or_b32 exec_lo, exec_lo, s33
.LBB269_337:                            ;   in Loop: Header=BB269_9 Depth=1
	s_or_b32 exec_lo, exec_lo, s4
	v_lshrrev_b16 v1, 8, v9
	s_mov_b32 s4, exec_lo
	v_cmpx_ne_u16_e32 0, v1
	s_cbranch_execz .LBB269_345
; %bb.338:                              ;   in Loop: Header=BB269_9 Depth=1
	v_bfrev_b32_e32 v67, 1
	s_mov_b32 s33, exec_lo
	v_cmpx_ne_u16_e32 0x80, v1
	s_cbranch_execz .LBB269_344
; %bb.339:                              ;   in Loop: Header=BB269_9 Depth=1
	v_and_b32_sdwa v70, v1, v22 dst_sel:DWORD dst_unused:UNUSED_PAD src0_sel:WORD_0 src1_sel:DWORD
	v_mov_b32_e32 v67, 0x7c010000
	s_mov_b32 s34, exec_lo
	v_cmpx_ne_u32_e32 0x7f, v70
	s_cbranch_execz .LBB269_343
; %bb.340:                              ;   in Loop: Header=BB269_9 Depth=1
	v_and_b32_sdwa v67, v1, v23 dst_sel:DWORD dst_unused:UNUSED_PAD src0_sel:WORD_0 src1_sel:DWORD
	v_lshrrev_b32_e32 v69, 3, v70
	s_mov_b32 s35, exec_lo
	v_cmpx_gt_u32_e32 8, v70
; %bb.341:                              ;   in Loop: Header=BB269_9 Depth=1
	v_ffbh_u32_e32 v67, v67
	v_min_u32_e32 v67, 32, v67
	v_subrev_nc_u32_e32 v69, 28, v67
	v_lshlrev_b64 v[70:71], v69, v[1:2]
	v_sub_nc_u32_e32 v69, 29, v67
	v_and_b32_e32 v67, 7, v70
; %bb.342:                              ;   in Loop: Header=BB269_9 Depth=1
	s_or_b32 exec_lo, exec_lo, s35
	v_lshlrev_b32_sdwa v1, v24, v1 dst_sel:DWORD dst_unused:UNUSED_PAD src0_sel:DWORD src1_sel:WORD_0
	v_lshl_add_u32 v69, v69, 10, 0x2000
	v_lshlrev_b32_e32 v67, 23, v67
	v_and_or_b32 v1, 0x8000, v1, v69
	v_lshl_or_b32 v67, v1, 16, v67
.LBB269_343:                            ;   in Loop: Header=BB269_9 Depth=1
	s_or_b32 exec_lo, exec_lo, s34
.LBB269_344:                            ;   in Loop: Header=BB269_9 Depth=1
	s_or_b32 exec_lo, exec_lo, s33
.LBB269_345:                            ;   in Loop: Header=BB269_9 Depth=1
	s_or_b32 exec_lo, exec_lo, s4
	v_lshrrev_b32_e32 v1, 16, v9
	v_mov_b32_e32 v69, 0
	v_mov_b32_e32 v70, 0
	v_cmp_ne_u16_sdwa s3, v1, v2 src0_sel:BYTE_0 src1_sel:DWORD
	s_and_saveexec_b32 s4, s3
	s_cbranch_execz .LBB269_353
; %bb.346:                              ;   in Loop: Header=BB269_9 Depth=1
	v_cmp_ne_u16_sdwa s3, v1, v21 src0_sel:BYTE_0 src1_sel:DWORD
	v_mov_b32_e32 v70, 0x8000
	s_and_saveexec_b32 s33, s3
	s_cbranch_execz .LBB269_352
; %bb.347:                              ;   in Loop: Header=BB269_9 Depth=1
	v_bfe_u32 v72, v9, 16, 7
	v_mov_b32_e32 v70, 0x7c01
	s_mov_b32 s34, exec_lo
	v_cmpx_ne_u32_e32 0x7f, v72
	s_cbranch_execz .LBB269_351
; %bb.348:                              ;   in Loop: Header=BB269_9 Depth=1
	v_and_b32_e32 v70, 7, v1
	v_lshrrev_b32_e32 v71, 3, v72
	s_mov_b32 s35, exec_lo
	v_cmpx_gt_u32_e32 8, v72
; %bb.349:                              ;   in Loop: Header=BB269_9 Depth=1
	v_ffbh_u32_e32 v70, v70
	v_min_u32_e32 v72, 32, v70
	v_subrev_nc_u32_e32 v70, 28, v72
	v_lshlrev_b64 v[70:71], v70, v[1:2]
	v_sub_nc_u32_e32 v71, 29, v72
	v_and_b32_e32 v70, 7, v70
; %bb.350:                              ;   in Loop: Header=BB269_9 Depth=1
	s_or_b32 exec_lo, exec_lo, s35
	v_lshlrev_b32_e32 v1, 8, v1
	v_lshl_add_u32 v71, v71, 10, 0x2000
	v_lshlrev_b32_e32 v70, 7, v70
	v_and_b32_e32 v1, 0x8000, v1
	v_and_b32_e32 v71, 0xfc00, v71
	v_or3_b32 v70, v1, v71, v70
.LBB269_351:                            ;   in Loop: Header=BB269_9 Depth=1
	s_or_b32 exec_lo, exec_lo, s34
.LBB269_352:                            ;   in Loop: Header=BB269_9 Depth=1
	s_or_b32 exec_lo, exec_lo, s33
.LBB269_353:                            ;   in Loop: Header=BB269_9 Depth=1
	s_or_b32 exec_lo, exec_lo, s4
	s_mov_b32 s4, exec_lo
	v_cmpx_lt_u32_e32 0xffffff, v9
	s_cbranch_execz .LBB269_361
; %bb.354:                              ;   in Loop: Header=BB269_9 Depth=1
	v_lshrrev_b32_e32 v1, 24, v9
	v_bfrev_b32_e32 v69, 1
	s_mov_b32 s33, exec_lo
	v_cmpx_ne_u32_e32 0x80, v1
	s_cbranch_execz .LBB269_360
; %bb.355:                              ;   in Loop: Header=BB269_9 Depth=1
	v_and_b32_e32 v71, 0x7f, v1
	v_mov_b32_e32 v69, 0x7c010000
	s_mov_b32 s34, exec_lo
	v_cmpx_ne_u32_e32 0x7f, v71
	s_cbranch_execz .LBB269_359
; %bb.356:                              ;   in Loop: Header=BB269_9 Depth=1
	v_and_b32_e32 v9, 7, v1
	v_lshrrev_b32_e32 v69, 3, v71
	s_mov_b32 s35, exec_lo
	v_cmpx_gt_u32_e32 8, v71
; %bb.357:                              ;   in Loop: Header=BB269_9 Depth=1
	v_ffbh_u32_e32 v9, v9
	v_min_u32_e32 v9, 32, v9
	v_subrev_nc_u32_e32 v69, 28, v9
	v_lshlrev_b64 v[71:72], v69, v[1:2]
	v_sub_nc_u32_e32 v69, 29, v9
	v_and_b32_e32 v9, 7, v71
; %bb.358:                              ;   in Loop: Header=BB269_9 Depth=1
	s_or_b32 exec_lo, exec_lo, s35
	v_lshlrev_b32_e32 v1, 8, v1
	v_lshl_add_u32 v69, v69, 10, 0x2000
	v_lshlrev_b32_e32 v9, 23, v9
	v_and_or_b32 v1, 0x8000, v1, v69
	v_lshl_or_b32 v69, v1, 16, v9
.LBB269_359:                            ;   in Loop: Header=BB269_9 Depth=1
	s_or_b32 exec_lo, exec_lo, s34
.LBB269_360:                            ;   in Loop: Header=BB269_9 Depth=1
	s_or_b32 exec_lo, exec_lo, s33
.LBB269_361:                            ;   in Loop: Header=BB269_9 Depth=1
	s_or_b32 exec_lo, exec_lo, s4
	global_load_dword v9, v[7:8], off offset:1288
	v_mov_b32_e32 v71, 0
	v_mov_b32_e32 v72, 0
	s_waitcnt vmcnt(0)
	v_cmp_ne_u16_sdwa s3, v9, v2 src0_sel:BYTE_0 src1_sel:DWORD
	s_and_saveexec_b32 s4, s3
	s_cbranch_execz .LBB269_369
; %bb.362:                              ;   in Loop: Header=BB269_9 Depth=1
	v_cmp_ne_u16_sdwa s3, v9, v21 src0_sel:BYTE_0 src1_sel:DWORD
	v_mov_b32_e32 v72, 0x8000
	s_and_saveexec_b32 s33, s3
	s_cbranch_execz .LBB269_368
; %bb.363:                              ;   in Loop: Header=BB269_9 Depth=1
	v_and_b32_e32 v73, 0x7f, v9
	v_mov_b32_e32 v72, 0x7c01
	s_mov_b32 s34, exec_lo
	v_cmpx_ne_u32_e32 0x7f, v73
	s_cbranch_execz .LBB269_367
; %bb.364:                              ;   in Loop: Header=BB269_9 Depth=1
	v_and_b32_e32 v1, 7, v9
	v_lshrrev_b32_e32 v72, 3, v73
	s_mov_b32 s35, exec_lo
	v_cmpx_gt_u32_e32 8, v73
; %bb.365:                              ;   in Loop: Header=BB269_9 Depth=1
	v_ffbh_u32_e32 v1, v1
	v_min_u32_e32 v1, 32, v1
	v_subrev_nc_u32_e32 v72, 28, v1
	v_lshlrev_b64 v[73:74], v72, v[9:10]
	v_sub_nc_u32_e32 v72, 29, v1
	v_and_b32_e32 v1, 7, v73
; %bb.366:                              ;   in Loop: Header=BB269_9 Depth=1
	s_or_b32 exec_lo, exec_lo, s35
	v_lshlrev_b32_e32 v73, 8, v9
	v_lshl_add_u32 v72, v72, 10, 0x2000
	v_lshlrev_b32_e32 v1, 7, v1
	v_and_b32_e32 v73, 0x8000, v73
	v_and_b32_e32 v72, 0xfc00, v72
	v_or3_b32 v72, v73, v72, v1
.LBB269_367:                            ;   in Loop: Header=BB269_9 Depth=1
	s_or_b32 exec_lo, exec_lo, s34
.LBB269_368:                            ;   in Loop: Header=BB269_9 Depth=1
	s_or_b32 exec_lo, exec_lo, s33
.LBB269_369:                            ;   in Loop: Header=BB269_9 Depth=1
	s_or_b32 exec_lo, exec_lo, s4
	v_lshrrev_b16 v1, 8, v9
	s_mov_b32 s4, exec_lo
	v_cmpx_ne_u16_e32 0, v1
	s_cbranch_execz .LBB269_377
; %bb.370:                              ;   in Loop: Header=BB269_9 Depth=1
	v_bfrev_b32_e32 v71, 1
	s_mov_b32 s33, exec_lo
	v_cmpx_ne_u16_e32 0x80, v1
	s_cbranch_execz .LBB269_376
; %bb.371:                              ;   in Loop: Header=BB269_9 Depth=1
	v_and_b32_sdwa v74, v1, v22 dst_sel:DWORD dst_unused:UNUSED_PAD src0_sel:WORD_0 src1_sel:DWORD
	v_mov_b32_e32 v71, 0x7c010000
	s_mov_b32 s34, exec_lo
	v_cmpx_ne_u32_e32 0x7f, v74
	s_cbranch_execz .LBB269_375
; %bb.372:                              ;   in Loop: Header=BB269_9 Depth=1
	v_and_b32_sdwa v71, v1, v23 dst_sel:DWORD dst_unused:UNUSED_PAD src0_sel:WORD_0 src1_sel:DWORD
	v_lshrrev_b32_e32 v73, 3, v74
	s_mov_b32 s35, exec_lo
	v_cmpx_gt_u32_e32 8, v74
; %bb.373:                              ;   in Loop: Header=BB269_9 Depth=1
	v_ffbh_u32_e32 v71, v71
	v_min_u32_e32 v71, 32, v71
	v_subrev_nc_u32_e32 v73, 28, v71
	v_lshlrev_b64 v[74:75], v73, v[1:2]
	v_sub_nc_u32_e32 v73, 29, v71
	v_and_b32_e32 v71, 7, v74
; %bb.374:                              ;   in Loop: Header=BB269_9 Depth=1
	s_or_b32 exec_lo, exec_lo, s35
	v_lshlrev_b32_sdwa v1, v24, v1 dst_sel:DWORD dst_unused:UNUSED_PAD src0_sel:DWORD src1_sel:WORD_0
	v_lshl_add_u32 v73, v73, 10, 0x2000
	v_lshlrev_b32_e32 v71, 23, v71
	v_and_or_b32 v1, 0x8000, v1, v73
	v_lshl_or_b32 v71, v1, 16, v71
.LBB269_375:                            ;   in Loop: Header=BB269_9 Depth=1
	s_or_b32 exec_lo, exec_lo, s34
.LBB269_376:                            ;   in Loop: Header=BB269_9 Depth=1
	s_or_b32 exec_lo, exec_lo, s33
.LBB269_377:                            ;   in Loop: Header=BB269_9 Depth=1
	s_or_b32 exec_lo, exec_lo, s4
	v_lshrrev_b32_e32 v1, 16, v9
	v_mov_b32_e32 v73, 0
	v_mov_b32_e32 v74, 0
	v_cmp_ne_u16_sdwa s3, v1, v2 src0_sel:BYTE_0 src1_sel:DWORD
	s_and_saveexec_b32 s4, s3
	s_cbranch_execz .LBB269_385
; %bb.378:                              ;   in Loop: Header=BB269_9 Depth=1
	v_cmp_ne_u16_sdwa s3, v1, v21 src0_sel:BYTE_0 src1_sel:DWORD
	v_mov_b32_e32 v74, 0x8000
	s_and_saveexec_b32 s33, s3
	s_cbranch_execz .LBB269_384
; %bb.379:                              ;   in Loop: Header=BB269_9 Depth=1
	v_bfe_u32 v76, v9, 16, 7
	v_mov_b32_e32 v74, 0x7c01
	s_mov_b32 s34, exec_lo
	v_cmpx_ne_u32_e32 0x7f, v76
	s_cbranch_execz .LBB269_383
; %bb.380:                              ;   in Loop: Header=BB269_9 Depth=1
	v_and_b32_e32 v74, 7, v1
	v_lshrrev_b32_e32 v75, 3, v76
	s_mov_b32 s35, exec_lo
	v_cmpx_gt_u32_e32 8, v76
; %bb.381:                              ;   in Loop: Header=BB269_9 Depth=1
	v_ffbh_u32_e32 v74, v74
	v_min_u32_e32 v76, 32, v74
	v_subrev_nc_u32_e32 v74, 28, v76
	v_lshlrev_b64 v[74:75], v74, v[1:2]
	v_sub_nc_u32_e32 v75, 29, v76
	v_and_b32_e32 v74, 7, v74
; %bb.382:                              ;   in Loop: Header=BB269_9 Depth=1
	s_or_b32 exec_lo, exec_lo, s35
	v_lshlrev_b32_e32 v1, 8, v1
	v_lshl_add_u32 v75, v75, 10, 0x2000
	v_lshlrev_b32_e32 v74, 7, v74
	v_and_b32_e32 v1, 0x8000, v1
	v_and_b32_e32 v75, 0xfc00, v75
	v_or3_b32 v74, v1, v75, v74
.LBB269_383:                            ;   in Loop: Header=BB269_9 Depth=1
	s_or_b32 exec_lo, exec_lo, s34
.LBB269_384:                            ;   in Loop: Header=BB269_9 Depth=1
	s_or_b32 exec_lo, exec_lo, s33
.LBB269_385:                            ;   in Loop: Header=BB269_9 Depth=1
	s_or_b32 exec_lo, exec_lo, s4
	s_mov_b32 s4, exec_lo
	v_cmpx_lt_u32_e32 0xffffff, v9
	s_cbranch_execz .LBB269_393
; %bb.386:                              ;   in Loop: Header=BB269_9 Depth=1
	v_lshrrev_b32_e32 v1, 24, v9
	v_bfrev_b32_e32 v73, 1
	s_mov_b32 s33, exec_lo
	v_cmpx_ne_u32_e32 0x80, v1
	s_cbranch_execz .LBB269_392
; %bb.387:                              ;   in Loop: Header=BB269_9 Depth=1
	v_and_b32_e32 v75, 0x7f, v1
	v_mov_b32_e32 v73, 0x7c010000
	s_mov_b32 s34, exec_lo
	v_cmpx_ne_u32_e32 0x7f, v75
	s_cbranch_execz .LBB269_391
; %bb.388:                              ;   in Loop: Header=BB269_9 Depth=1
	v_and_b32_e32 v9, 7, v1
	v_lshrrev_b32_e32 v73, 3, v75
	s_mov_b32 s35, exec_lo
	v_cmpx_gt_u32_e32 8, v75
; %bb.389:                              ;   in Loop: Header=BB269_9 Depth=1
	v_ffbh_u32_e32 v9, v9
	v_min_u32_e32 v9, 32, v9
	v_subrev_nc_u32_e32 v73, 28, v9
	v_lshlrev_b64 v[75:76], v73, v[1:2]
	v_sub_nc_u32_e32 v73, 29, v9
	v_and_b32_e32 v9, 7, v75
; %bb.390:                              ;   in Loop: Header=BB269_9 Depth=1
	s_or_b32 exec_lo, exec_lo, s35
	v_lshlrev_b32_e32 v1, 8, v1
	v_lshl_add_u32 v73, v73, 10, 0x2000
	v_lshlrev_b32_e32 v9, 23, v9
	v_and_or_b32 v1, 0x8000, v1, v73
	v_lshl_or_b32 v73, v1, 16, v9
.LBB269_391:                            ;   in Loop: Header=BB269_9 Depth=1
	s_or_b32 exec_lo, exec_lo, s34
.LBB269_392:                            ;   in Loop: Header=BB269_9 Depth=1
	s_or_b32 exec_lo, exec_lo, s33
.LBB269_393:                            ;   in Loop: Header=BB269_9 Depth=1
	s_or_b32 exec_lo, exec_lo, s4
	global_load_dword v9, v[7:8], off offset:1536
	v_mov_b32_e32 v75, 0
	v_mov_b32_e32 v76, 0
	s_waitcnt vmcnt(0)
	v_cmp_ne_u16_sdwa s3, v9, v2 src0_sel:BYTE_0 src1_sel:DWORD
	s_and_saveexec_b32 s4, s3
	s_cbranch_execz .LBB269_401
; %bb.394:                              ;   in Loop: Header=BB269_9 Depth=1
	v_cmp_ne_u16_sdwa s3, v9, v21 src0_sel:BYTE_0 src1_sel:DWORD
	v_mov_b32_e32 v76, 0x8000
	s_and_saveexec_b32 s33, s3
	s_cbranch_execz .LBB269_400
; %bb.395:                              ;   in Loop: Header=BB269_9 Depth=1
	v_and_b32_e32 v77, 0x7f, v9
	v_mov_b32_e32 v76, 0x7c01
	s_mov_b32 s34, exec_lo
	v_cmpx_ne_u32_e32 0x7f, v77
	s_cbranch_execz .LBB269_399
; %bb.396:                              ;   in Loop: Header=BB269_9 Depth=1
	v_and_b32_e32 v1, 7, v9
	v_lshrrev_b32_e32 v76, 3, v77
	s_mov_b32 s35, exec_lo
	v_cmpx_gt_u32_e32 8, v77
; %bb.397:                              ;   in Loop: Header=BB269_9 Depth=1
	v_ffbh_u32_e32 v1, v1
	v_min_u32_e32 v1, 32, v1
	v_subrev_nc_u32_e32 v76, 28, v1
	v_lshlrev_b64 v[77:78], v76, v[9:10]
	v_sub_nc_u32_e32 v76, 29, v1
	v_and_b32_e32 v1, 7, v77
; %bb.398:                              ;   in Loop: Header=BB269_9 Depth=1
	s_or_b32 exec_lo, exec_lo, s35
	v_lshlrev_b32_e32 v77, 8, v9
	v_lshl_add_u32 v76, v76, 10, 0x2000
	v_lshlrev_b32_e32 v1, 7, v1
	v_and_b32_e32 v77, 0x8000, v77
	v_and_b32_e32 v76, 0xfc00, v76
	v_or3_b32 v76, v77, v76, v1
.LBB269_399:                            ;   in Loop: Header=BB269_9 Depth=1
	s_or_b32 exec_lo, exec_lo, s34
.LBB269_400:                            ;   in Loop: Header=BB269_9 Depth=1
	s_or_b32 exec_lo, exec_lo, s33
.LBB269_401:                            ;   in Loop: Header=BB269_9 Depth=1
	s_or_b32 exec_lo, exec_lo, s4
	v_lshrrev_b16 v1, 8, v9
	s_mov_b32 s4, exec_lo
	v_cmpx_ne_u16_e32 0, v1
	s_cbranch_execz .LBB269_409
; %bb.402:                              ;   in Loop: Header=BB269_9 Depth=1
	v_bfrev_b32_e32 v75, 1
	s_mov_b32 s33, exec_lo
	v_cmpx_ne_u16_e32 0x80, v1
	s_cbranch_execz .LBB269_408
; %bb.403:                              ;   in Loop: Header=BB269_9 Depth=1
	v_and_b32_sdwa v78, v1, v22 dst_sel:DWORD dst_unused:UNUSED_PAD src0_sel:WORD_0 src1_sel:DWORD
	v_mov_b32_e32 v75, 0x7c010000
	s_mov_b32 s34, exec_lo
	v_cmpx_ne_u32_e32 0x7f, v78
	s_cbranch_execz .LBB269_407
; %bb.404:                              ;   in Loop: Header=BB269_9 Depth=1
	v_and_b32_sdwa v75, v1, v23 dst_sel:DWORD dst_unused:UNUSED_PAD src0_sel:WORD_0 src1_sel:DWORD
	v_lshrrev_b32_e32 v77, 3, v78
	s_mov_b32 s35, exec_lo
	v_cmpx_gt_u32_e32 8, v78
; %bb.405:                              ;   in Loop: Header=BB269_9 Depth=1
	v_ffbh_u32_e32 v75, v75
	v_min_u32_e32 v75, 32, v75
	v_subrev_nc_u32_e32 v77, 28, v75
	v_lshlrev_b64 v[78:79], v77, v[1:2]
	v_sub_nc_u32_e32 v77, 29, v75
	v_and_b32_e32 v75, 7, v78
; %bb.406:                              ;   in Loop: Header=BB269_9 Depth=1
	s_or_b32 exec_lo, exec_lo, s35
	v_lshlrev_b32_sdwa v1, v24, v1 dst_sel:DWORD dst_unused:UNUSED_PAD src0_sel:DWORD src1_sel:WORD_0
	v_lshl_add_u32 v77, v77, 10, 0x2000
	v_lshlrev_b32_e32 v75, 23, v75
	v_and_or_b32 v1, 0x8000, v1, v77
	v_lshl_or_b32 v75, v1, 16, v75
.LBB269_407:                            ;   in Loop: Header=BB269_9 Depth=1
	s_or_b32 exec_lo, exec_lo, s34
.LBB269_408:                            ;   in Loop: Header=BB269_9 Depth=1
	s_or_b32 exec_lo, exec_lo, s33
.LBB269_409:                            ;   in Loop: Header=BB269_9 Depth=1
	s_or_b32 exec_lo, exec_lo, s4
	v_lshrrev_b32_e32 v1, 16, v9
	v_mov_b32_e32 v77, 0
	v_mov_b32_e32 v78, 0
	v_cmp_ne_u16_sdwa s3, v1, v2 src0_sel:BYTE_0 src1_sel:DWORD
	s_and_saveexec_b32 s4, s3
	s_cbranch_execz .LBB269_417
; %bb.410:                              ;   in Loop: Header=BB269_9 Depth=1
	v_cmp_ne_u16_sdwa s3, v1, v21 src0_sel:BYTE_0 src1_sel:DWORD
	v_mov_b32_e32 v78, 0x8000
	s_and_saveexec_b32 s33, s3
	s_cbranch_execz .LBB269_416
; %bb.411:                              ;   in Loop: Header=BB269_9 Depth=1
	v_bfe_u32 v80, v9, 16, 7
	v_mov_b32_e32 v78, 0x7c01
	s_mov_b32 s34, exec_lo
	v_cmpx_ne_u32_e32 0x7f, v80
	s_cbranch_execz .LBB269_415
; %bb.412:                              ;   in Loop: Header=BB269_9 Depth=1
	v_and_b32_e32 v78, 7, v1
	v_lshrrev_b32_e32 v79, 3, v80
	s_mov_b32 s35, exec_lo
	v_cmpx_gt_u32_e32 8, v80
; %bb.413:                              ;   in Loop: Header=BB269_9 Depth=1
	v_ffbh_u32_e32 v78, v78
	v_min_u32_e32 v80, 32, v78
	v_subrev_nc_u32_e32 v78, 28, v80
	v_lshlrev_b64 v[78:79], v78, v[1:2]
	v_sub_nc_u32_e32 v79, 29, v80
	v_and_b32_e32 v78, 7, v78
; %bb.414:                              ;   in Loop: Header=BB269_9 Depth=1
	s_or_b32 exec_lo, exec_lo, s35
	v_lshlrev_b32_e32 v1, 8, v1
	v_lshl_add_u32 v79, v79, 10, 0x2000
	v_lshlrev_b32_e32 v78, 7, v78
	v_and_b32_e32 v1, 0x8000, v1
	v_and_b32_e32 v79, 0xfc00, v79
	v_or3_b32 v78, v1, v79, v78
.LBB269_415:                            ;   in Loop: Header=BB269_9 Depth=1
	s_or_b32 exec_lo, exec_lo, s34
.LBB269_416:                            ;   in Loop: Header=BB269_9 Depth=1
	s_or_b32 exec_lo, exec_lo, s33
.LBB269_417:                            ;   in Loop: Header=BB269_9 Depth=1
	s_or_b32 exec_lo, exec_lo, s4
	s_mov_b32 s4, exec_lo
	v_cmpx_lt_u32_e32 0xffffff, v9
	s_cbranch_execz .LBB269_425
; %bb.418:                              ;   in Loop: Header=BB269_9 Depth=1
	v_lshrrev_b32_e32 v1, 24, v9
	v_bfrev_b32_e32 v77, 1
	s_mov_b32 s33, exec_lo
	v_cmpx_ne_u32_e32 0x80, v1
	s_cbranch_execz .LBB269_424
; %bb.419:                              ;   in Loop: Header=BB269_9 Depth=1
	v_and_b32_e32 v79, 0x7f, v1
	v_mov_b32_e32 v77, 0x7c010000
	s_mov_b32 s34, exec_lo
	v_cmpx_ne_u32_e32 0x7f, v79
	s_cbranch_execz .LBB269_423
; %bb.420:                              ;   in Loop: Header=BB269_9 Depth=1
	v_and_b32_e32 v9, 7, v1
	v_lshrrev_b32_e32 v77, 3, v79
	s_mov_b32 s35, exec_lo
	v_cmpx_gt_u32_e32 8, v79
; %bb.421:                              ;   in Loop: Header=BB269_9 Depth=1
	v_ffbh_u32_e32 v9, v9
	v_min_u32_e32 v9, 32, v9
	v_subrev_nc_u32_e32 v77, 28, v9
	v_lshlrev_b64 v[79:80], v77, v[1:2]
	v_sub_nc_u32_e32 v77, 29, v9
	v_and_b32_e32 v9, 7, v79
; %bb.422:                              ;   in Loop: Header=BB269_9 Depth=1
	s_or_b32 exec_lo, exec_lo, s35
	v_lshlrev_b32_e32 v1, 8, v1
	v_lshl_add_u32 v77, v77, 10, 0x2000
	v_lshlrev_b32_e32 v9, 23, v9
	v_and_or_b32 v1, 0x8000, v1, v77
	v_lshl_or_b32 v77, v1, 16, v9
.LBB269_423:                            ;   in Loop: Header=BB269_9 Depth=1
	s_or_b32 exec_lo, exec_lo, s34
.LBB269_424:                            ;   in Loop: Header=BB269_9 Depth=1
	s_or_b32 exec_lo, exec_lo, s33
.LBB269_425:                            ;   in Loop: Header=BB269_9 Depth=1
	s_or_b32 exec_lo, exec_lo, s4
	global_load_dword v9, v[7:8], off offset:1544
	v_mov_b32_e32 v79, 0
	v_mov_b32_e32 v80, 0
	s_waitcnt vmcnt(0)
	v_cmp_ne_u16_sdwa s3, v9, v2 src0_sel:BYTE_0 src1_sel:DWORD
	s_and_saveexec_b32 s4, s3
	s_cbranch_execz .LBB269_433
; %bb.426:                              ;   in Loop: Header=BB269_9 Depth=1
	v_cmp_ne_u16_sdwa s3, v9, v21 src0_sel:BYTE_0 src1_sel:DWORD
	v_mov_b32_e32 v80, 0x8000
	s_and_saveexec_b32 s33, s3
	s_cbranch_execz .LBB269_432
; %bb.427:                              ;   in Loop: Header=BB269_9 Depth=1
	v_and_b32_e32 v81, 0x7f, v9
	v_mov_b32_e32 v80, 0x7c01
	s_mov_b32 s34, exec_lo
	v_cmpx_ne_u32_e32 0x7f, v81
	s_cbranch_execz .LBB269_431
; %bb.428:                              ;   in Loop: Header=BB269_9 Depth=1
	v_and_b32_e32 v1, 7, v9
	v_lshrrev_b32_e32 v80, 3, v81
	s_mov_b32 s35, exec_lo
	v_cmpx_gt_u32_e32 8, v81
; %bb.429:                              ;   in Loop: Header=BB269_9 Depth=1
	v_ffbh_u32_e32 v1, v1
	v_min_u32_e32 v1, 32, v1
	v_subrev_nc_u32_e32 v80, 28, v1
	v_lshlrev_b64 v[81:82], v80, v[9:10]
	v_sub_nc_u32_e32 v80, 29, v1
	v_and_b32_e32 v1, 7, v81
; %bb.430:                              ;   in Loop: Header=BB269_9 Depth=1
	s_or_b32 exec_lo, exec_lo, s35
	v_lshlrev_b32_e32 v81, 8, v9
	v_lshl_add_u32 v80, v80, 10, 0x2000
	v_lshlrev_b32_e32 v1, 7, v1
	v_and_b32_e32 v81, 0x8000, v81
	v_and_b32_e32 v80, 0xfc00, v80
	v_or3_b32 v80, v81, v80, v1
.LBB269_431:                            ;   in Loop: Header=BB269_9 Depth=1
	s_or_b32 exec_lo, exec_lo, s34
.LBB269_432:                            ;   in Loop: Header=BB269_9 Depth=1
	s_or_b32 exec_lo, exec_lo, s33
.LBB269_433:                            ;   in Loop: Header=BB269_9 Depth=1
	s_or_b32 exec_lo, exec_lo, s4
	v_lshrrev_b16 v1, 8, v9
	s_mov_b32 s4, exec_lo
	v_cmpx_ne_u16_e32 0, v1
	s_cbranch_execz .LBB269_441
; %bb.434:                              ;   in Loop: Header=BB269_9 Depth=1
	v_bfrev_b32_e32 v79, 1
	s_mov_b32 s33, exec_lo
	v_cmpx_ne_u16_e32 0x80, v1
	s_cbranch_execz .LBB269_440
; %bb.435:                              ;   in Loop: Header=BB269_9 Depth=1
	v_and_b32_sdwa v82, v1, v22 dst_sel:DWORD dst_unused:UNUSED_PAD src0_sel:WORD_0 src1_sel:DWORD
	v_mov_b32_e32 v79, 0x7c010000
	s_mov_b32 s34, exec_lo
	v_cmpx_ne_u32_e32 0x7f, v82
	s_cbranch_execz .LBB269_439
; %bb.436:                              ;   in Loop: Header=BB269_9 Depth=1
	v_and_b32_sdwa v79, v1, v23 dst_sel:DWORD dst_unused:UNUSED_PAD src0_sel:WORD_0 src1_sel:DWORD
	v_lshrrev_b32_e32 v81, 3, v82
	s_mov_b32 s35, exec_lo
	v_cmpx_gt_u32_e32 8, v82
; %bb.437:                              ;   in Loop: Header=BB269_9 Depth=1
	v_ffbh_u32_e32 v79, v79
	v_min_u32_e32 v79, 32, v79
	v_subrev_nc_u32_e32 v81, 28, v79
	v_lshlrev_b64 v[82:83], v81, v[1:2]
	v_sub_nc_u32_e32 v81, 29, v79
	v_and_b32_e32 v79, 7, v82
; %bb.438:                              ;   in Loop: Header=BB269_9 Depth=1
	s_or_b32 exec_lo, exec_lo, s35
	v_lshlrev_b32_sdwa v1, v24, v1 dst_sel:DWORD dst_unused:UNUSED_PAD src0_sel:DWORD src1_sel:WORD_0
	v_lshl_add_u32 v81, v81, 10, 0x2000
	v_lshlrev_b32_e32 v79, 23, v79
	v_and_or_b32 v1, 0x8000, v1, v81
	v_lshl_or_b32 v79, v1, 16, v79
.LBB269_439:                            ;   in Loop: Header=BB269_9 Depth=1
	s_or_b32 exec_lo, exec_lo, s34
.LBB269_440:                            ;   in Loop: Header=BB269_9 Depth=1
	s_or_b32 exec_lo, exec_lo, s33
.LBB269_441:                            ;   in Loop: Header=BB269_9 Depth=1
	s_or_b32 exec_lo, exec_lo, s4
	v_lshrrev_b32_e32 v1, 16, v9
	v_mov_b32_e32 v81, 0
	v_mov_b32_e32 v82, 0
	v_cmp_ne_u16_sdwa s3, v1, v2 src0_sel:BYTE_0 src1_sel:DWORD
	s_and_saveexec_b32 s4, s3
	s_cbranch_execz .LBB269_449
; %bb.442:                              ;   in Loop: Header=BB269_9 Depth=1
	v_cmp_ne_u16_sdwa s3, v1, v21 src0_sel:BYTE_0 src1_sel:DWORD
	v_mov_b32_e32 v82, 0x8000
	s_and_saveexec_b32 s33, s3
	s_cbranch_execz .LBB269_448
; %bb.443:                              ;   in Loop: Header=BB269_9 Depth=1
	v_bfe_u32 v84, v9, 16, 7
	v_mov_b32_e32 v82, 0x7c01
	s_mov_b32 s34, exec_lo
	v_cmpx_ne_u32_e32 0x7f, v84
	s_cbranch_execz .LBB269_447
; %bb.444:                              ;   in Loop: Header=BB269_9 Depth=1
	v_and_b32_e32 v82, 7, v1
	v_lshrrev_b32_e32 v83, 3, v84
	s_mov_b32 s35, exec_lo
	v_cmpx_gt_u32_e32 8, v84
; %bb.445:                              ;   in Loop: Header=BB269_9 Depth=1
	v_ffbh_u32_e32 v82, v82
	v_min_u32_e32 v84, 32, v82
	v_subrev_nc_u32_e32 v82, 28, v84
	v_lshlrev_b64 v[82:83], v82, v[1:2]
	v_sub_nc_u32_e32 v83, 29, v84
	v_and_b32_e32 v82, 7, v82
; %bb.446:                              ;   in Loop: Header=BB269_9 Depth=1
	s_or_b32 exec_lo, exec_lo, s35
	v_lshlrev_b32_e32 v1, 8, v1
	v_lshl_add_u32 v83, v83, 10, 0x2000
	v_lshlrev_b32_e32 v82, 7, v82
	v_and_b32_e32 v1, 0x8000, v1
	v_and_b32_e32 v83, 0xfc00, v83
	v_or3_b32 v82, v1, v83, v82
.LBB269_447:                            ;   in Loop: Header=BB269_9 Depth=1
	s_or_b32 exec_lo, exec_lo, s34
.LBB269_448:                            ;   in Loop: Header=BB269_9 Depth=1
	s_or_b32 exec_lo, exec_lo, s33
.LBB269_449:                            ;   in Loop: Header=BB269_9 Depth=1
	s_or_b32 exec_lo, exec_lo, s4
	s_mov_b32 s4, exec_lo
	v_cmpx_lt_u32_e32 0xffffff, v9
	s_cbranch_execz .LBB269_457
; %bb.450:                              ;   in Loop: Header=BB269_9 Depth=1
	v_lshrrev_b32_e32 v1, 24, v9
	v_bfrev_b32_e32 v81, 1
	s_mov_b32 s33, exec_lo
	v_cmpx_ne_u32_e32 0x80, v1
	s_cbranch_execz .LBB269_456
; %bb.451:                              ;   in Loop: Header=BB269_9 Depth=1
	v_and_b32_e32 v83, 0x7f, v1
	v_mov_b32_e32 v81, 0x7c010000
	s_mov_b32 s34, exec_lo
	v_cmpx_ne_u32_e32 0x7f, v83
	s_cbranch_execz .LBB269_455
; %bb.452:                              ;   in Loop: Header=BB269_9 Depth=1
	v_and_b32_e32 v9, 7, v1
	v_lshrrev_b32_e32 v81, 3, v83
	s_mov_b32 s35, exec_lo
	v_cmpx_gt_u32_e32 8, v83
; %bb.453:                              ;   in Loop: Header=BB269_9 Depth=1
	v_ffbh_u32_e32 v9, v9
	v_min_u32_e32 v9, 32, v9
	v_subrev_nc_u32_e32 v81, 28, v9
	v_lshlrev_b64 v[83:84], v81, v[1:2]
	v_sub_nc_u32_e32 v81, 29, v9
	v_and_b32_e32 v9, 7, v83
; %bb.454:                              ;   in Loop: Header=BB269_9 Depth=1
	s_or_b32 exec_lo, exec_lo, s35
	v_lshlrev_b32_e32 v1, 8, v1
	v_lshl_add_u32 v81, v81, 10, 0x2000
	v_lshlrev_b32_e32 v9, 23, v9
	v_and_or_b32 v1, 0x8000, v1, v81
	v_lshl_or_b32 v81, v1, 16, v9
.LBB269_455:                            ;   in Loop: Header=BB269_9 Depth=1
	s_or_b32 exec_lo, exec_lo, s34
.LBB269_456:                            ;   in Loop: Header=BB269_9 Depth=1
	s_or_b32 exec_lo, exec_lo, s33
.LBB269_457:                            ;   in Loop: Header=BB269_9 Depth=1
	s_or_b32 exec_lo, exec_lo, s4
	global_load_dword v9, v[7:8], off offset:1792
	v_mov_b32_e32 v83, 0
	v_mov_b32_e32 v84, 0
	s_waitcnt vmcnt(0)
	v_cmp_ne_u16_sdwa s3, v9, v2 src0_sel:BYTE_0 src1_sel:DWORD
	s_and_saveexec_b32 s4, s3
	s_cbranch_execz .LBB269_465
; %bb.458:                              ;   in Loop: Header=BB269_9 Depth=1
	v_cmp_ne_u16_sdwa s3, v9, v21 src0_sel:BYTE_0 src1_sel:DWORD
	v_mov_b32_e32 v84, 0x8000
	s_and_saveexec_b32 s33, s3
	s_cbranch_execz .LBB269_464
; %bb.459:                              ;   in Loop: Header=BB269_9 Depth=1
	v_and_b32_e32 v85, 0x7f, v9
	v_mov_b32_e32 v84, 0x7c01
	s_mov_b32 s34, exec_lo
	v_cmpx_ne_u32_e32 0x7f, v85
	s_cbranch_execz .LBB269_463
; %bb.460:                              ;   in Loop: Header=BB269_9 Depth=1
	v_and_b32_e32 v1, 7, v9
	v_lshrrev_b32_e32 v84, 3, v85
	s_mov_b32 s35, exec_lo
	v_cmpx_gt_u32_e32 8, v85
; %bb.461:                              ;   in Loop: Header=BB269_9 Depth=1
	v_ffbh_u32_e32 v1, v1
	v_min_u32_e32 v1, 32, v1
	v_subrev_nc_u32_e32 v84, 28, v1
	v_lshlrev_b64 v[85:86], v84, v[9:10]
	v_sub_nc_u32_e32 v84, 29, v1
	v_and_b32_e32 v1, 7, v85
; %bb.462:                              ;   in Loop: Header=BB269_9 Depth=1
	s_or_b32 exec_lo, exec_lo, s35
	v_lshlrev_b32_e32 v85, 8, v9
	v_lshl_add_u32 v84, v84, 10, 0x2000
	v_lshlrev_b32_e32 v1, 7, v1
	v_and_b32_e32 v85, 0x8000, v85
	v_and_b32_e32 v84, 0xfc00, v84
	v_or3_b32 v84, v85, v84, v1
.LBB269_463:                            ;   in Loop: Header=BB269_9 Depth=1
	s_or_b32 exec_lo, exec_lo, s34
.LBB269_464:                            ;   in Loop: Header=BB269_9 Depth=1
	s_or_b32 exec_lo, exec_lo, s33
.LBB269_465:                            ;   in Loop: Header=BB269_9 Depth=1
	s_or_b32 exec_lo, exec_lo, s4
	v_lshrrev_b16 v1, 8, v9
	s_mov_b32 s4, exec_lo
	v_cmpx_ne_u16_e32 0, v1
	s_cbranch_execz .LBB269_473
; %bb.466:                              ;   in Loop: Header=BB269_9 Depth=1
	v_bfrev_b32_e32 v83, 1
	s_mov_b32 s33, exec_lo
	v_cmpx_ne_u16_e32 0x80, v1
	s_cbranch_execz .LBB269_472
; %bb.467:                              ;   in Loop: Header=BB269_9 Depth=1
	v_and_b32_sdwa v86, v1, v22 dst_sel:DWORD dst_unused:UNUSED_PAD src0_sel:WORD_0 src1_sel:DWORD
	v_mov_b32_e32 v83, 0x7c010000
	s_mov_b32 s34, exec_lo
	v_cmpx_ne_u32_e32 0x7f, v86
	s_cbranch_execz .LBB269_471
; %bb.468:                              ;   in Loop: Header=BB269_9 Depth=1
	v_and_b32_sdwa v83, v1, v23 dst_sel:DWORD dst_unused:UNUSED_PAD src0_sel:WORD_0 src1_sel:DWORD
	v_lshrrev_b32_e32 v85, 3, v86
	s_mov_b32 s35, exec_lo
	v_cmpx_gt_u32_e32 8, v86
; %bb.469:                              ;   in Loop: Header=BB269_9 Depth=1
	v_ffbh_u32_e32 v83, v83
	v_min_u32_e32 v83, 32, v83
	v_subrev_nc_u32_e32 v85, 28, v83
	v_lshlrev_b64 v[86:87], v85, v[1:2]
	v_sub_nc_u32_e32 v85, 29, v83
	v_and_b32_e32 v83, 7, v86
; %bb.470:                              ;   in Loop: Header=BB269_9 Depth=1
	s_or_b32 exec_lo, exec_lo, s35
	v_lshlrev_b32_sdwa v1, v24, v1 dst_sel:DWORD dst_unused:UNUSED_PAD src0_sel:DWORD src1_sel:WORD_0
	v_lshl_add_u32 v85, v85, 10, 0x2000
	v_lshlrev_b32_e32 v83, 23, v83
	v_and_or_b32 v1, 0x8000, v1, v85
	v_lshl_or_b32 v83, v1, 16, v83
.LBB269_471:                            ;   in Loop: Header=BB269_9 Depth=1
	s_or_b32 exec_lo, exec_lo, s34
.LBB269_472:                            ;   in Loop: Header=BB269_9 Depth=1
	s_or_b32 exec_lo, exec_lo, s33
.LBB269_473:                            ;   in Loop: Header=BB269_9 Depth=1
	s_or_b32 exec_lo, exec_lo, s4
	v_lshrrev_b32_e32 v1, 16, v9
	v_mov_b32_e32 v85, 0
	v_mov_b32_e32 v86, 0
	v_cmp_ne_u16_sdwa s3, v1, v2 src0_sel:BYTE_0 src1_sel:DWORD
	s_and_saveexec_b32 s4, s3
	s_cbranch_execz .LBB269_481
; %bb.474:                              ;   in Loop: Header=BB269_9 Depth=1
	v_cmp_ne_u16_sdwa s3, v1, v21 src0_sel:BYTE_0 src1_sel:DWORD
	v_mov_b32_e32 v86, 0x8000
	s_and_saveexec_b32 s33, s3
	s_cbranch_execz .LBB269_480
; %bb.475:                              ;   in Loop: Header=BB269_9 Depth=1
	v_bfe_u32 v88, v9, 16, 7
	v_mov_b32_e32 v86, 0x7c01
	s_mov_b32 s34, exec_lo
	v_cmpx_ne_u32_e32 0x7f, v88
	s_cbranch_execz .LBB269_479
; %bb.476:                              ;   in Loop: Header=BB269_9 Depth=1
	v_and_b32_e32 v86, 7, v1
	v_lshrrev_b32_e32 v87, 3, v88
	s_mov_b32 s35, exec_lo
	v_cmpx_gt_u32_e32 8, v88
; %bb.477:                              ;   in Loop: Header=BB269_9 Depth=1
	v_ffbh_u32_e32 v86, v86
	v_min_u32_e32 v88, 32, v86
	v_subrev_nc_u32_e32 v86, 28, v88
	v_lshlrev_b64 v[86:87], v86, v[1:2]
	v_sub_nc_u32_e32 v87, 29, v88
	v_and_b32_e32 v86, 7, v86
; %bb.478:                              ;   in Loop: Header=BB269_9 Depth=1
	s_or_b32 exec_lo, exec_lo, s35
	v_lshlrev_b32_e32 v1, 8, v1
	v_lshl_add_u32 v87, v87, 10, 0x2000
	v_lshlrev_b32_e32 v86, 7, v86
	v_and_b32_e32 v1, 0x8000, v1
	v_and_b32_e32 v87, 0xfc00, v87
	v_or3_b32 v86, v1, v87, v86
.LBB269_479:                            ;   in Loop: Header=BB269_9 Depth=1
	s_or_b32 exec_lo, exec_lo, s34
.LBB269_480:                            ;   in Loop: Header=BB269_9 Depth=1
	s_or_b32 exec_lo, exec_lo, s33
.LBB269_481:                            ;   in Loop: Header=BB269_9 Depth=1
	s_or_b32 exec_lo, exec_lo, s4
	s_mov_b32 s4, exec_lo
	v_cmpx_lt_u32_e32 0xffffff, v9
	s_cbranch_execz .LBB269_489
; %bb.482:                              ;   in Loop: Header=BB269_9 Depth=1
	v_lshrrev_b32_e32 v1, 24, v9
	v_bfrev_b32_e32 v85, 1
	s_mov_b32 s33, exec_lo
	v_cmpx_ne_u32_e32 0x80, v1
	s_cbranch_execz .LBB269_488
; %bb.483:                              ;   in Loop: Header=BB269_9 Depth=1
	v_and_b32_e32 v87, 0x7f, v1
	v_mov_b32_e32 v85, 0x7c010000
	s_mov_b32 s34, exec_lo
	v_cmpx_ne_u32_e32 0x7f, v87
	s_cbranch_execz .LBB269_487
; %bb.484:                              ;   in Loop: Header=BB269_9 Depth=1
	v_and_b32_e32 v9, 7, v1
	v_lshrrev_b32_e32 v85, 3, v87
	s_mov_b32 s35, exec_lo
	v_cmpx_gt_u32_e32 8, v87
; %bb.485:                              ;   in Loop: Header=BB269_9 Depth=1
	v_ffbh_u32_e32 v9, v9
	v_min_u32_e32 v9, 32, v9
	v_subrev_nc_u32_e32 v85, 28, v9
	v_lshlrev_b64 v[87:88], v85, v[1:2]
	v_sub_nc_u32_e32 v85, 29, v9
	v_and_b32_e32 v9, 7, v87
; %bb.486:                              ;   in Loop: Header=BB269_9 Depth=1
	s_or_b32 exec_lo, exec_lo, s35
	v_lshlrev_b32_e32 v1, 8, v1
	v_lshl_add_u32 v85, v85, 10, 0x2000
	v_lshlrev_b32_e32 v9, 23, v9
	v_and_or_b32 v1, 0x8000, v1, v85
	v_lshl_or_b32 v85, v1, 16, v9
.LBB269_487:                            ;   in Loop: Header=BB269_9 Depth=1
	s_or_b32 exec_lo, exec_lo, s34
.LBB269_488:                            ;   in Loop: Header=BB269_9 Depth=1
	s_or_b32 exec_lo, exec_lo, s33
.LBB269_489:                            ;   in Loop: Header=BB269_9 Depth=1
	s_or_b32 exec_lo, exec_lo, s4
	global_load_dword v7, v[7:8], off offset:1800
	v_mov_b32_e32 v8, 0
	v_mov_b32_e32 v9, 0
	s_waitcnt vmcnt(0)
	v_cmp_ne_u16_sdwa s3, v7, v2 src0_sel:BYTE_0 src1_sel:DWORD
	s_and_saveexec_b32 s4, s3
	s_cbranch_execz .LBB269_497
; %bb.490:                              ;   in Loop: Header=BB269_9 Depth=1
	v_cmp_ne_u16_sdwa s3, v7, v21 src0_sel:BYTE_0 src1_sel:DWORD
	v_mov_b32_e32 v9, 0x8000
	s_and_saveexec_b32 s33, s3
	s_cbranch_execz .LBB269_496
; %bb.491:                              ;   in Loop: Header=BB269_9 Depth=1
	v_and_b32_e32 v87, 0x7f, v7
	v_mov_b32_e32 v9, 0x7c01
	s_mov_b32 s34, exec_lo
	v_cmpx_ne_u32_e32 0x7f, v87
	s_cbranch_execz .LBB269_495
; %bb.492:                              ;   in Loop: Header=BB269_9 Depth=1
	v_and_b32_e32 v1, 7, v7
	v_lshrrev_b32_e32 v9, 3, v87
	s_mov_b32 s35, exec_lo
	v_cmpx_gt_u32_e32 8, v87
; %bb.493:                              ;   in Loop: Header=BB269_9 Depth=1
	v_ffbh_u32_e32 v1, v1
	v_min_u32_e32 v1, 32, v1
	v_subrev_nc_u32_e32 v9, 28, v1
	v_lshlrev_b64 v[87:88], v9, v[7:8]
	v_sub_nc_u32_e32 v9, 29, v1
	v_and_b32_e32 v1, 7, v87
; %bb.494:                              ;   in Loop: Header=BB269_9 Depth=1
	s_or_b32 exec_lo, exec_lo, s35
	v_lshlrev_b32_e32 v87, 8, v7
	v_lshl_add_u32 v9, v9, 10, 0x2000
	v_lshlrev_b32_e32 v1, 7, v1
	v_and_b32_e32 v87, 0x8000, v87
	v_and_b32_e32 v9, 0xfc00, v9
	v_or3_b32 v9, v87, v9, v1
.LBB269_495:                            ;   in Loop: Header=BB269_9 Depth=1
	s_or_b32 exec_lo, exec_lo, s34
.LBB269_496:                            ;   in Loop: Header=BB269_9 Depth=1
	s_or_b32 exec_lo, exec_lo, s33
.LBB269_497:                            ;   in Loop: Header=BB269_9 Depth=1
	s_or_b32 exec_lo, exec_lo, s4
	v_lshrrev_b16 v1, 8, v7
	s_mov_b32 s4, exec_lo
	v_cmpx_ne_u16_e32 0, v1
	s_cbranch_execz .LBB269_505
; %bb.498:                              ;   in Loop: Header=BB269_9 Depth=1
	v_bfrev_b32_e32 v8, 1
	s_mov_b32 s33, exec_lo
	v_cmpx_ne_u16_e32 0x80, v1
	s_cbranch_execz .LBB269_504
; %bb.499:                              ;   in Loop: Header=BB269_9 Depth=1
	v_and_b32_sdwa v88, v1, v22 dst_sel:DWORD dst_unused:UNUSED_PAD src0_sel:WORD_0 src1_sel:DWORD
	v_mov_b32_e32 v8, 0x7c010000
	s_mov_b32 s34, exec_lo
	v_cmpx_ne_u32_e32 0x7f, v88
	s_cbranch_execz .LBB269_503
; %bb.500:                              ;   in Loop: Header=BB269_9 Depth=1
	v_and_b32_sdwa v8, v1, v23 dst_sel:DWORD dst_unused:UNUSED_PAD src0_sel:WORD_0 src1_sel:DWORD
	v_lshrrev_b32_e32 v87, 3, v88
	s_mov_b32 s35, exec_lo
	v_cmpx_gt_u32_e32 8, v88
; %bb.501:                              ;   in Loop: Header=BB269_9 Depth=1
	v_ffbh_u32_e32 v8, v8
	v_min_u32_e32 v8, 32, v8
	v_subrev_nc_u32_e32 v87, 28, v8
	v_lshlrev_b64 v[88:89], v87, v[1:2]
	v_sub_nc_u32_e32 v87, 29, v8
	v_and_b32_e32 v8, 7, v88
; %bb.502:                              ;   in Loop: Header=BB269_9 Depth=1
	s_or_b32 exec_lo, exec_lo, s35
	v_lshlrev_b32_sdwa v1, v24, v1 dst_sel:DWORD dst_unused:UNUSED_PAD src0_sel:DWORD src1_sel:WORD_0
	v_lshl_add_u32 v87, v87, 10, 0x2000
	v_lshlrev_b32_e32 v8, 23, v8
	v_and_or_b32 v1, 0x8000, v1, v87
	v_lshl_or_b32 v8, v1, 16, v8
.LBB269_503:                            ;   in Loop: Header=BB269_9 Depth=1
	s_or_b32 exec_lo, exec_lo, s34
.LBB269_504:                            ;   in Loop: Header=BB269_9 Depth=1
	s_or_b32 exec_lo, exec_lo, s33
.LBB269_505:                            ;   in Loop: Header=BB269_9 Depth=1
	s_or_b32 exec_lo, exec_lo, s4
	v_lshrrev_b32_e32 v1, 16, v7
	v_mov_b32_e32 v87, 0
	v_mov_b32_e32 v88, 0
	v_cmp_ne_u16_sdwa s3, v1, v2 src0_sel:BYTE_0 src1_sel:DWORD
	s_and_saveexec_b32 s4, s3
	s_cbranch_execz .LBB269_513
; %bb.506:                              ;   in Loop: Header=BB269_9 Depth=1
	v_cmp_ne_u16_sdwa s3, v1, v21 src0_sel:BYTE_0 src1_sel:DWORD
	v_mov_b32_e32 v88, 0x8000
	s_and_saveexec_b32 s33, s3
	s_cbranch_execz .LBB269_512
; %bb.507:                              ;   in Loop: Header=BB269_9 Depth=1
	v_bfe_u32 v90, v7, 16, 7
	v_mov_b32_e32 v88, 0x7c01
	s_mov_b32 s34, exec_lo
	v_cmpx_ne_u32_e32 0x7f, v90
	s_cbranch_execz .LBB269_511
; %bb.508:                              ;   in Loop: Header=BB269_9 Depth=1
	v_and_b32_e32 v88, 7, v1
	v_lshrrev_b32_e32 v89, 3, v90
	s_mov_b32 s35, exec_lo
	v_cmpx_gt_u32_e32 8, v90
; %bb.509:                              ;   in Loop: Header=BB269_9 Depth=1
	v_ffbh_u32_e32 v88, v88
	v_min_u32_e32 v90, 32, v88
	v_subrev_nc_u32_e32 v88, 28, v90
	v_lshlrev_b64 v[88:89], v88, v[1:2]
	v_sub_nc_u32_e32 v89, 29, v90
	v_and_b32_e32 v88, 7, v88
; %bb.510:                              ;   in Loop: Header=BB269_9 Depth=1
	s_or_b32 exec_lo, exec_lo, s35
	v_lshlrev_b32_e32 v1, 8, v1
	v_lshl_add_u32 v89, v89, 10, 0x2000
	v_lshlrev_b32_e32 v88, 7, v88
	v_and_b32_e32 v1, 0x8000, v1
	v_and_b32_e32 v89, 0xfc00, v89
	v_or3_b32 v88, v1, v89, v88
.LBB269_511:                            ;   in Loop: Header=BB269_9 Depth=1
	s_or_b32 exec_lo, exec_lo, s34
.LBB269_512:                            ;   in Loop: Header=BB269_9 Depth=1
	s_or_b32 exec_lo, exec_lo, s33
.LBB269_513:                            ;   in Loop: Header=BB269_9 Depth=1
	s_or_b32 exec_lo, exec_lo, s4
	s_mov_b32 s4, exec_lo
	v_cmpx_lt_u32_e32 0xffffff, v7
	s_cbranch_execz .LBB269_521
; %bb.514:                              ;   in Loop: Header=BB269_9 Depth=1
	v_lshrrev_b32_e32 v1, 24, v7
	v_bfrev_b32_e32 v87, 1
	s_mov_b32 s33, exec_lo
	v_cmpx_ne_u32_e32 0x80, v1
	s_cbranch_execz .LBB269_520
; %bb.515:                              ;   in Loop: Header=BB269_9 Depth=1
	v_and_b32_e32 v89, 0x7f, v1
	v_mov_b32_e32 v87, 0x7c010000
	s_mov_b32 s34, exec_lo
	v_cmpx_ne_u32_e32 0x7f, v89
	s_cbranch_execz .LBB269_519
; %bb.516:                              ;   in Loop: Header=BB269_9 Depth=1
	v_and_b32_e32 v7, 7, v1
	v_lshrrev_b32_e32 v87, 3, v89
	s_mov_b32 s35, exec_lo
	v_cmpx_gt_u32_e32 8, v89
; %bb.517:                              ;   in Loop: Header=BB269_9 Depth=1
	v_ffbh_u32_e32 v7, v7
	v_min_u32_e32 v7, 32, v7
	v_subrev_nc_u32_e32 v87, 28, v7
	v_lshlrev_b64 v[89:90], v87, v[1:2]
	v_sub_nc_u32_e32 v87, 29, v7
	v_and_b32_e32 v7, 7, v89
; %bb.518:                              ;   in Loop: Header=BB269_9 Depth=1
	s_or_b32 exec_lo, exec_lo, s35
	v_lshlrev_b32_e32 v1, 8, v1
	v_lshl_add_u32 v87, v87, 10, 0x2000
	v_lshlrev_b32_e32 v7, 23, v7
	v_and_or_b32 v1, 0x8000, v1, v87
	v_lshl_or_b32 v87, v1, 16, v7
.LBB269_519:                            ;   in Loop: Header=BB269_9 Depth=1
	s_or_b32 exec_lo, exec_lo, s34
.LBB269_520:                            ;   in Loop: Header=BB269_9 Depth=1
	s_or_b32 exec_lo, exec_lo, s33
.LBB269_521:                            ;   in Loop: Header=BB269_9 Depth=1
	s_or_b32 exec_lo, exec_lo, s4
	ds_read_b64 v[89:90], v18
	v_or_b32_e32 v1, v28, v27
	v_or_b32_e32 v7, v29, v30
	v_fma_mixlo_f16 v27, v26, v28, 0 op_sel:[0,1,0] op_sel_hi:[0,1,0]
	v_fma_mixlo_f16 v28, v26, v29, 0 op_sel:[0,1,0] op_sel_hi:[0,1,0]
	v_or_b32_e32 v48, v47, v48
	v_fma_mixlo_f16 v1, v26, v1, 0 op_sel_hi:[0,1,0]
	v_fma_mixlo_f16 v7, v26, v7, 0 op_sel_hi:[0,1,0]
	v_and_b32_e32 v27, 0xffff, v27
	v_and_b32_e32 v28, 0xffff, v28
	v_or_b32_e32 v50, v49, v50
	v_and_b32_e32 v1, 0xffff, v1
	v_and_b32_e32 v7, 0xffff, v7
	v_fma_mixlo_f16 v47, v26, v47, 0 op_sel:[0,1,0] op_sel_hi:[0,1,0]
	v_fma_mixlo_f16 v49, v26, v49, 0 op_sel:[0,1,0] op_sel_hi:[0,1,0]
	v_fma_mixlo_f16 v48, v26, v48, 0 op_sel_hi:[0,1,0]
	v_fma_mixlo_f16 v50, v26, v50, 0 op_sel_hi:[0,1,0]
	v_or_b32_e32 v64, v63, v64
	v_or_b32_e32 v66, v65, v66
	v_and_b32_e32 v91, 0xffff, v49
	s_waitcnt lgkmcnt(0)
	v_and_b32_e32 v29, 0xffff, v89
	v_lshrrev_b32_e32 v30, 16, v89
	v_lshrrev_b32_e32 v89, 16, v90
	v_and_b32_e32 v90, 0xffff, v90
	;;#ASMSTART
	v_cvt_f32_f16 v113, v29;
	;;#ASMEND
	;;#ASMSTART
	v_cvt_f32_f16 v111, v30;
	;;#ASMEND
	;; [unrolled: 3-line block ×8, first 2 shown]
	ds_read_b64 v[27:28], v18 offset:8
	v_or_b32_e32 v1, v31, v32
	v_or_b32_e32 v7, v33, v34
	v_fma_mixlo_f16 v29, v26, v31, 0 op_sel:[0,1,0] op_sel_hi:[0,1,0]
	v_fma_mixlo_f16 v30, v26, v33, 0 op_sel:[0,1,0] op_sel_hi:[0,1,0]
	v_and_b32_e32 v48, 0xffff, v48
	v_fma_mixlo_f16 v1, v26, v1, 0 op_sel_hi:[0,1,0]
	v_fma_mixlo_f16 v7, v26, v7, 0 op_sel_hi:[0,1,0]
	v_and_b32_e32 v29, 0xffff, v29
	v_and_b32_e32 v30, 0xffff, v30
	;; [unrolled: 1-line block ×5, first 2 shown]
	v_fma_mixlo_f16 v63, v26, v63, 0 op_sel:[0,1,0] op_sel_hi:[0,1,0]
	v_fma_mixlo_f16 v65, v26, v65, 0 op_sel:[0,1,0] op_sel_hi:[0,1,0]
	v_fma_mixlo_f16 v64, v26, v64, 0 op_sel_hi:[0,1,0]
	v_fma_mixlo_f16 v66, v26, v66, 0 op_sel_hi:[0,1,0]
	v_or_b32_e32 v68, v67, v68
	v_and_b32_e32 v63, 0xffff, v63
	v_or_b32_e32 v70, v69, v70
	s_waitcnt lgkmcnt(0)
	v_and_b32_e32 v31, 0xffff, v27
	v_lshrrev_b32_e32 v27, 16, v27
	v_lshrrev_b32_e32 v32, 16, v28
	v_and_b32_e32 v28, 0xffff, v28
	;;#ASMSTART
	v_cvt_f32_f16 v117, v31;
	;;#ASMEND
	;;#ASMSTART
	v_cvt_f32_f16 v118, v27;
	;;#ASMEND
	;; [unrolled: 3-line block ×8, first 2 shown]
	ds_read_b64 v[27:28], v18 offset:16
	v_or_b32_e32 v1, v35, v36
	v_or_b32_e32 v7, v37, v38
	v_fma_mixlo_f16 v29, v26, v35, 0 op_sel:[0,1,0] op_sel_hi:[0,1,0]
	v_fma_mixlo_f16 v30, v26, v37, 0 op_sel:[0,1,0] op_sel_hi:[0,1,0]
	v_and_b32_e32 v64, 0xffff, v64
	v_fma_mixlo_f16 v1, v26, v1, 0 op_sel_hi:[0,1,0]
	v_fma_mixlo_f16 v7, v26, v7, 0 op_sel_hi:[0,1,0]
	v_and_b32_e32 v29, 0xffff, v29
	v_and_b32_e32 v30, 0xffff, v30
	v_fma_mixlo_f16 v67, v26, v67, 0 op_sel:[0,1,0] op_sel_hi:[0,1,0]
	v_and_b32_e32 v1, 0xffff, v1
	v_and_b32_e32 v7, 0xffff, v7
	v_fma_mixlo_f16 v68, v26, v68, 0 op_sel_hi:[0,1,0]
	v_fma_mixlo_f16 v70, v26, v70, 0 op_sel_hi:[0,1,0]
	v_fma_mixlo_f16 v69, v26, v69, 0 op_sel:[0,1,0] op_sel_hi:[0,1,0]
	v_or_b32_e32 v72, v71, v72
	v_or_b32_e32 v74, v73, v74
	v_and_b32_e32 v68, 0xffff, v68
	v_and_b32_e32 v70, 0xffff, v70
	s_waitcnt lgkmcnt(0)
	v_and_b32_e32 v31, 0xffff, v27
	v_lshrrev_b32_e32 v27, 16, v27
	v_lshrrev_b32_e32 v32, 16, v28
	v_and_b32_e32 v28, 0xffff, v28
	;;#ASMSTART
	v_cvt_f32_f16 v100, v31;
	;;#ASMEND
	;;#ASMSTART
	v_cvt_f32_f16 v99, v27;
	;;#ASMEND
	;; [unrolled: 3-line block ×8, first 2 shown]
	ds_read_b64 v[27:28], v18 offset:24
	v_or_b32_e32 v1, v39, v40
	v_or_b32_e32 v7, v41, v42
	v_fma_mixlo_f16 v29, v26, v39, 0 op_sel:[0,1,0] op_sel_hi:[0,1,0]
	v_fma_mixlo_f16 v30, v26, v41, 0 op_sel:[0,1,0] op_sel_hi:[0,1,0]
	v_or_b32_e32 v39, v43, v44
	v_fma_mixlo_f16 v1, v26, v1, 0 op_sel_hi:[0,1,0]
	v_fma_mixlo_f16 v7, v26, v7, 0 op_sel_hi:[0,1,0]
	v_and_b32_e32 v29, 0xffff, v29
	v_and_b32_e32 v32, 0xffff, v30
	v_or_b32_e32 v40, v45, v46
	v_and_b32_e32 v30, 0xffff, v1
	v_and_b32_e32 v31, 0xffff, v7
	v_fma_mixlo_f16 v41, v26, v43, 0 op_sel:[0,1,0] op_sel_hi:[0,1,0]
	v_fma_mixlo_f16 v42, v26, v45, 0 op_sel:[0,1,0] op_sel_hi:[0,1,0]
	v_fma_mixlo_f16 v39, v26, v39, 0 op_sel_hi:[0,1,0]
	v_fma_mixlo_f16 v40, v26, v40, 0 op_sel_hi:[0,1,0]
	v_fma_mixlo_f16 v71, v26, v71, 0 op_sel:[0,1,0] op_sel_hi:[0,1,0]
	v_and_b32_e32 v41, 0xffff, v41
	v_and_b32_e32 v44, 0xffff, v42
	s_waitcnt lgkmcnt(0)
	v_and_b32_e32 v1, 0xffff, v27
	v_lshrrev_b32_e32 v27, 16, v27
	v_lshrrev_b32_e32 v37, 16, v28
	v_and_b32_e32 v38, 0xffff, v28
	;;#ASMSTART
	v_cvt_f32_f16 v1, v1;
	;;#ASMEND
	;;#ASMSTART
	v_cvt_f32_f16 v7, v27;
	;;#ASMEND
	;; [unrolled: 3-line block ×8, first 2 shown]
	ds_read_b64 v[37:38], v18 offset:32
	v_and_b32_e32 v39, 0xffff, v39
	v_and_b32_e32 v45, 0xffff, v40
	v_fma_mixlo_f16 v73, v26, v73, 0 op_sel:[0,1,0] op_sel_hi:[0,1,0]
	v_fma_mixlo_f16 v72, v26, v72, 0 op_sel_hi:[0,1,0]
	v_fma_mixlo_f16 v74, v26, v74, 0 op_sel_hi:[0,1,0]
	v_or_b32_e32 v76, v75, v76
	v_or_b32_e32 v78, v77, v78
	v_fma_mixlo_f16 v75, v26, v75, 0 op_sel:[0,1,0] op_sel_hi:[0,1,0]
	v_fma_mixlo_f16 v77, v26, v77, 0 op_sel:[0,1,0] op_sel_hi:[0,1,0]
	v_or_b32_e32 v82, v81, v82
	v_fma_mixlo_f16 v76, v26, v76, 0 op_sel_hi:[0,1,0]
	v_fma_mixlo_f16 v78, v26, v78, 0 op_sel_hi:[0,1,0]
	v_or_b32_e32 v80, v79, v80
	v_fma_mixlo_f16 v79, v26, v79, 0 op_sel:[0,1,0] op_sel_hi:[0,1,0]
	v_fma_mixlo_f16 v82, v26, v82, 0 op_sel_hi:[0,1,0]
	v_and_b32_e32 v76, 0xffff, v76
	v_fma_mixlo_f16 v81, v26, v81, 0 op_sel:[0,1,0] op_sel_hi:[0,1,0]
	v_fma_mixlo_f16 v80, v26, v80, 0 op_sel_hi:[0,1,0]
	v_and_b32_e32 v79, 0xffff, v79
	s_waitcnt lgkmcnt(0)
	v_and_b32_e32 v42, 0xffff, v37
	v_lshrrev_b32_e32 v43, 16, v37
	v_lshrrev_b32_e32 v46, 16, v38
	v_and_b32_e32 v89, 0xffff, v38
	;;#ASMSTART
	v_cvt_f32_f16 v37, v42;
	;;#ASMEND
	;;#ASMSTART
	v_cvt_f32_f16 v38, v43;
	;;#ASMEND
	;; [unrolled: 3-line block ×8, first 2 shown]
	ds_read_b64 v[45:46], v18 offset:40
	v_and_b32_e32 v89, 0xffff, v47
	v_and_b32_e32 v81, 0xffff, v81
	v_or_b32_e32 v86, v85, v86
	v_fma_mixlo_f16 v85, v26, v85, 0 op_sel:[0,1,0] op_sel_hi:[0,1,0]
	v_fma_mixlo_f16 v86, v26, v86, 0 op_sel_hi:[0,1,0]
	s_waitcnt lgkmcnt(0)
	v_and_b32_e32 v47, 0xffff, v45
	v_lshrrev_b32_e32 v92, 16, v46
	v_and_b32_e32 v50, 0xffff, v46
	v_lshrrev_b32_e32 v45, 16, v45
	;;#ASMSTART
	v_cvt_f32_f16 v46, v47;
	;;#ASMEND
	;;#ASMSTART
	v_cvt_f32_f16 v47, v45;
	;;#ASMEND
	;; [unrolled: 3-line block ×8, first 2 shown]
	ds_read_b64 v[92:93], v18 offset:48
	v_or_b32_e32 v45, v51, v52
	v_or_b32_e32 v52, v53, v54
	v_fma_mixlo_f16 v51, v26, v51, 0 op_sel:[0,1,0] op_sel_hi:[0,1,0]
	v_fma_mixlo_f16 v53, v26, v53, 0 op_sel:[0,1,0] op_sel_hi:[0,1,0]
	v_fma_mixlo_f16 v45, v26, v45, 0 op_sel_hi:[0,1,0]
	v_fma_mixlo_f16 v52, v26, v52, 0 op_sel_hi:[0,1,0]
	v_and_b32_e32 v51, 0xffff, v51
	v_and_b32_e32 v53, 0xffff, v53
	;; [unrolled: 1-line block ×4, first 2 shown]
	s_waitcnt lgkmcnt(0)
	v_and_b32_e32 v54, 0xffff, v92
	v_lshrrev_b32_e32 v92, 16, v92
	v_lshrrev_b32_e32 v94, 16, v93
	v_and_b32_e32 v93, 0xffff, v93
	;;#ASMSTART
	v_cvt_f32_f16 v97, v54;
	;;#ASMEND
	;;#ASMSTART
	v_cvt_f32_f16 v54, v92;
	;;#ASMEND
	;; [unrolled: 3-line block ×8, first 2 shown]
	ds_read_b64 v[51:52], v18 offset:56
	v_or_b32_e32 v45, v55, v56
	v_or_b32_e32 v53, v57, v58
	v_fma_mixlo_f16 v55, v26, v55, 0 op_sel:[0,1,0] op_sel_hi:[0,1,0]
	v_fma_mixlo_f16 v56, v26, v57, 0 op_sel:[0,1,0] op_sel_hi:[0,1,0]
	v_fma_mixlo_f16 v45, v26, v45, 0 op_sel_hi:[0,1,0]
	v_fma_mixlo_f16 v53, v26, v53, 0 op_sel_hi:[0,1,0]
	v_and_b32_e32 v57, 0xffff, v55
	v_and_b32_e32 v106, 0xffff, v56
	;; [unrolled: 1-line block ×4, first 2 shown]
	s_waitcnt lgkmcnt(0)
	v_and_b32_e32 v55, 0xffff, v51
	v_lshrrev_b32_e32 v103, 16, v52
	v_lshrrev_b32_e32 v51, 16, v51
	v_and_b32_e32 v52, 0xffff, v52
	;;#ASMSTART
	v_cvt_f32_f16 v56, v55;
	;;#ASMEND
	;;#ASMSTART
	v_cvt_f32_f16 v55, v51;
	;;#ASMEND
	;; [unrolled: 3-line block ×8, first 2 shown]
	ds_read_b64 v[123:124], v18 offset:64
	v_or_b32_e32 v45, v59, v60
	v_or_b32_e32 v51, v61, v62
	v_fma_mixlo_f16 v52, v26, v59, 0 op_sel:[0,1,0] op_sel_hi:[0,1,0]
	v_fma_mixlo_f16 v53, v26, v61, 0 op_sel:[0,1,0] op_sel_hi:[0,1,0]
	v_fma_mixlo_f16 v45, v26, v45, 0 op_sel_hi:[0,1,0]
	v_fma_mixlo_f16 v51, v26, v51, 0 op_sel_hi:[0,1,0]
	v_and_b32_e32 v61, 0xffff, v52
	v_and_b32_e32 v125, 0xffff, v53
	v_mul_f32_e32 v52, v117, v119
	v_and_b32_e32 v62, 0xffff, v45
	v_and_b32_e32 v126, 0xffff, v51
	v_mul_f32_e32 v53, v118, v120
	v_mul_f32_e32 v51, v115, v116
	;; [unrolled: 1-line block ×3, first 2 shown]
	v_and_b32_e32 v121, 0xffff, v65
	v_fmac_f32_e32 v52, v113, v114
	v_fmac_f32_e32 v53, v111, v112
	v_and_b32_e32 v122, 0xffff, v66
	s_waitcnt lgkmcnt(0)
	v_and_b32_e32 v59, 0xffff, v123
	v_lshrrev_b32_e32 v117, 16, v123
	v_lshrrev_b32_e32 v115, 16, v124
	v_and_b32_e32 v118, 0xffff, v124
	;;#ASMSTART
	v_cvt_f32_f16 v60, v59;
	;;#ASMEND
	;;#ASMSTART
	v_cvt_f32_f16 v59, v117;
	;;#ASMEND
	;; [unrolled: 3-line block ×8, first 2 shown]
	ds_read_b64 v[119:120], v18 offset:72
	v_fmac_f32_e32 v51, v107, v109
	v_fmac_f32_e32 v45, v108, v110
	;; [unrolled: 1-line block ×4, first 2 shown]
	v_and_b32_e32 v123, 0xffff, v74
	v_and_b32_e32 v102, 0xffff, v75
	v_fmac_f32_e32 v45, v34, v36
	v_fmac_f32_e32 v51, v33, v35
	;; [unrolled: 1-line block ×4, first 2 shown]
	v_and_b32_e32 v27, 0xffff, v82
	v_fmac_f32_e32 v45, v29, v31
	v_fmac_f32_e32 v51, v30, v32
	;; [unrolled: 1-line block ×4, first 2 shown]
	v_and_b32_e32 v7, 0xffff, v80
	v_fmac_f32_e32 v45, v41, v43
	v_fmac_f32_e32 v51, v42, v44
	;; [unrolled: 1-line block ×3, first 2 shown]
	s_waitcnt lgkmcnt(0)
	v_and_b32_e32 v65, 0xffff, v119
	v_lshrrev_b32_e32 v113, 16, v119
	v_lshrrev_b32_e32 v119, 16, v120
	v_and_b32_e32 v112, 0xffff, v120
	;;#ASMSTART
	v_cvt_f32_f16 v66, v65;
	;;#ASMEND
	;;#ASMSTART
	v_cvt_f32_f16 v65, v113;
	;;#ASMEND
	;; [unrolled: 3-line block ×8, first 2 shown]
	ds_read_b64 v[63:64], v18 offset:80
	v_and_b32_e32 v121, 0xffff, v67
	v_and_b32_e32 v122, 0xffff, v69
	v_fmac_f32_e32 v53, v47, v49
	v_fmac_f32_e32 v45, v50, v90
	v_fmac_f32_e32 v52, v97, v98
	v_fmac_f32_e32 v51, v89, v91
	v_and_b32_e32 v43, 0xffff, v86
	v_fmac_f32_e32 v53, v54, v92
	v_fmac_f32_e32 v45, v93, v95
	v_fmac_f32_e32 v52, v56, v104
	v_fmac_f32_e32 v51, v94, v96
	;; [unrolled: 5-line block ×3, first 2 shown]
	v_or_b32_e32 v46, v87, v88
	v_fmac_f32_e32 v53, v59, v61
	v_fmac_f32_e32 v45, v62, v117
	s_waitcnt lgkmcnt(0)
	v_and_b32_e32 v67, 0xffff, v63
	v_lshrrev_b32_e32 v63, 16, v63
	v_lshrrev_b32_e32 v109, 16, v64
	v_and_b32_e32 v64, 0xffff, v64
	;;#ASMSTART
	v_cvt_f32_f16 v107, v67;
	;;#ASMEND
	;;#ASMSTART
	v_cvt_f32_f16 v67, v63;
	;;#ASMEND
	;;#ASMSTART
	v_cvt_f32_f16 v108, v68;
	;;#ASMEND
	;;#ASMSTART
	v_cvt_f32_f16 v68, v121;
	;;#ASMEND
	;;#ASMSTART
	v_cvt_f32_f16 v69, v64;
	;;#ASMEND
	;;#ASMSTART
	v_cvt_f32_f16 v63, v109;
	;;#ASMEND
	;;#ASMSTART
	v_cvt_f32_f16 v70, v70;
	;;#ASMEND
	;;#ASMSTART
	v_cvt_f32_f16 v64, v122;
	;;#ASMEND
	ds_read_b64 v[109:110], v18 offset:88
	v_or_b32_e32 v121, v83, v84
	v_and_b32_e32 v84, 0xffff, v71
	v_and_b32_e32 v122, 0xffff, v73
	v_and_b32_e32 v73, 0xffff, v72
	v_fmac_f32_e32 v52, v66, v114
	v_fma_mixlo_f16 v75, v26, v121, 0 op_sel_hi:[0,1,0]
	v_and_b32_e32 v121, 0xffff, v78
	v_fmac_f32_e32 v53, v65, v111
	v_fma_mixlo_f16 v83, v26, v83, 0 op_sel:[0,1,0] op_sel_hi:[0,1,0]
	v_fmac_f32_e32 v51, v115, v118
	v_fmac_f32_e32 v45, v112, v119
	;; [unrolled: 1-line block ×4, first 2 shown]
	v_and_b32_e32 v40, 0xffff, v75
	v_fmac_f32_e32 v51, v113, v120
	v_fmac_f32_e32 v45, v69, v70
	s_waitcnt lgkmcnt(0)
	v_and_b32_e32 v71, 0xffff, v109
	v_lshrrev_b32_e32 v72, 16, v109
	v_lshrrev_b32_e32 v100, 16, v110
	v_and_b32_e32 v99, 0xffff, v110
	;;#ASMSTART
	v_cvt_f32_f16 v71, v71;
	;;#ASMEND
	;;#ASMSTART
	v_cvt_f32_f16 v72, v72;
	;;#ASMEND
	;; [unrolled: 3-line block ×8, first 2 shown]
	ds_read_b64 v[109:110], v18 offset:96
	v_and_b32_e32 v122, 0xffff, v77
	v_fmac_f32_e32 v52, v71, v74
	v_fmac_f32_e32 v53, v72, v84
	;; [unrolled: 1-line block ×5, first 2 shown]
	s_waitcnt lgkmcnt(0)
	v_and_b32_e32 v34, 0xffff, v109
	v_lshrrev_b32_e32 v36, 16, v109
	v_lshrrev_b32_e32 v33, 16, v110
	v_and_b32_e32 v78, 0xffff, v110
	;;#ASMSTART
	v_cvt_f32_f16 v35, v34;
	;;#ASMEND
	;;#ASMSTART
	v_cvt_f32_f16 v36, v36;
	;;#ASMEND
	;;#ASMSTART
	v_cvt_f32_f16 v76, v76;
	;;#ASMEND
	;;#ASMSTART
	v_cvt_f32_f16 v77, v102;
	;;#ASMEND
	;;#ASMSTART
	v_cvt_f32_f16 v78, v78;
	;;#ASMEND
	;;#ASMSTART
	v_cvt_f32_f16 v102, v33;
	;;#ASMEND
	;;#ASMSTART
	v_cvt_f32_f16 v109, v121;
	;;#ASMEND
	;;#ASMSTART
	v_cvt_f32_f16 v110, v122;
	;;#ASMEND
	ds_read_b64 v[33:34], v18 offset:104
	v_fmac_f32_e32 v52, v35, v76
	v_fmac_f32_e32 v53, v36, v77
	;; [unrolled: 1-line block ×4, first 2 shown]
	v_fma_mixlo_f16 v35, v26, v46, 0 op_sel_hi:[0,1,0]
	s_waitcnt lgkmcnt(0)
	v_and_b32_e32 v1, 0xffff, v33
	v_lshrrev_b32_e32 v28, 16, v33
	v_lshrrev_b32_e32 v33, 16, v34
	v_and_b32_e32 v32, 0xffff, v34
	;;#ASMSTART
	v_cvt_f32_f16 v1, v1;
	;;#ASMEND
	;;#ASMSTART
	v_cvt_f32_f16 v29, v28;
	;;#ASMEND
	;; [unrolled: 3-line block ×8, first 2 shown]
	ds_read_b64 v[27:28], v18 offset:112
	v_or_b32_e32 v7, v8, v9
	v_fma_mixlo_f16 v9, v26, v8, 0 op_sel:[0,1,0] op_sel_hi:[0,1,0]
	v_fmac_f32_e32 v52, v1, v30
	v_fmac_f32_e32 v53, v29, v31
	;; [unrolled: 1-line block ×3, first 2 shown]
	v_fma_mixlo_f16 v38, v26, v7, 0 op_sel_hi:[0,1,0]
	v_fma_mixlo_f16 v1, v26, v87, 0 op_sel:[0,1,0] op_sel_hi:[0,1,0]
	v_and_b32_e32 v29, 0xffff, v9
	v_fmac_f32_e32 v51, v33, v37
	s_waitcnt lgkmcnt(0)
	v_and_b32_e32 v7, 0xffff, v27
	v_lshrrev_b32_e32 v8, 16, v27
	;;#ASMSTART
	v_cvt_f32_f16 v27, v7;
	;;#ASMEND
	;;#ASMSTART
	v_cvt_f32_f16 v39, v8;
	;;#ASMEND
	v_and_b32_e32 v7, 0xffff, v83
	v_and_b32_e32 v8, 0xffff, v28
	v_lshrrev_b32_e32 v42, 16, v28
	;;#ASMSTART
	v_cvt_f32_f16 v40, v40;
	;;#ASMEND
	;;#ASMSTART
	v_cvt_f32_f16 v28, v7;
	;;#ASMEND
	;; [unrolled: 3-line block ×6, first 2 shown]
	ds_read_b64 v[7:8], v18 offset:120
	v_fmac_f32_e32 v52, v27, v40
	v_fmac_f32_e32 v53, v39, v28
	v_fmac_f32_e32 v45, v41, v43
	v_and_b32_e32 v28, 0xffff, v38
	v_fmac_f32_e32 v51, v42, v44
	s_waitcnt lgkmcnt(0)
	v_and_b32_e32 v26, 0xffff, v7
	v_lshrrev_b32_e32 v27, 16, v7
	;;#ASMSTART
	v_cvt_f32_f16 v7, v26;
	;;#ASMEND
	;;#ASMSTART
	v_cvt_f32_f16 v9, v27;
	;;#ASMEND
	;; [unrolled: 3-line block ×4, first 2 shown]
	v_fmac_f32_e32 v52, v7, v26
	v_fmac_f32_e32 v53, v9, v27
	v_xor_b32_e32 v9, 1, v15
	v_and_b32_e32 v28, 0xffff, v8
	v_lshrrev_b32_e32 v8, 16, v8
	v_and_b32_e32 v29, 0xffff, v35
	;;#ASMSTART
	v_cvt_f32_f16 v7, v28;
	;;#ASMEND
	;;#ASMSTART
	v_cvt_f32_f16 v8, v8;
	;;#ASMEND
	;; [unrolled: 3-line block ×3, first 2 shown]
	v_and_b32_e32 v27, 0xffff, v1
	v_fmac_f32_e32 v45, v7, v26
	v_add_f32_e32 v1, v52, v53
	v_cmp_gt_i32_e64 s3, 32, v9
	;;#ASMSTART
	v_cvt_f32_f16 v7, v27;
	;;#ASMEND
	v_fmac_f32_e32 v51, v8, v7
	v_add_f32_e32 v1, v1, v45
	v_cndmask_b32_e64 v7, v15, v9, s3
	v_add_f32_e32 v1, v51, v1
	v_lshlrev_b32_e32 v7, 2, v7
	ds_bpermute_b32 v7, v7, v1
	s_and_saveexec_b32 s4, vcc_lo
	s_cbranch_execz .LBB269_8
; %bb.522:                              ;   in Loop: Header=BB269_9 Depth=1
	v_add_nc_u32_e32 v8, s5, v19
	s_waitcnt lgkmcnt(0)
	v_add_f32_e32 v1, v1, v7
	v_cmp_gt_i32_e64 s3, s11, v19
	v_cvt_f32_i32_e32 v8, v8
	v_mul_f32_e32 v8, s28, v8
	v_cndmask_b32_e64 v7, 0, v8, s2
	v_max_f32_e32 v8, v17, v17
	v_fmac_f32_e32 v7, s29, v1
	v_max_f32_e32 v1, v8, v7
	v_cndmask_b32_e64 v7, 0, v7, s3
	v_cndmask_b32_e64 v17, v17, v1, s3
	ds_write_b32 v20, v7
	s_branch .LBB269_8
.LBB269_523:
	s_or_b32 exec_lo, exec_lo, s30
.LBB269_524:
	s_or_b32 exec_lo, exec_lo, s19
	v_xor_b32_e32 v1, 16, v15
	v_xor_b32_e32 v4, 8, v15
	v_max_f32_e32 v5, v17, v17
	v_xor_b32_e32 v6, 4, v15
	v_cmp_lt_i32_e32 vcc_lo, v1, v16
	v_cndmask_b32_e32 v1, v15, v1, vcc_lo
	v_cmp_lt_i32_e32 vcc_lo, v4, v16
	v_lshlrev_b32_e32 v3, 2, v1
	v_cndmask_b32_e32 v4, v15, v4, vcc_lo
	v_cmp_lt_i32_e32 vcc_lo, v6, v16
	ds_bpermute_b32 v1, v3, v17
	v_lshlrev_b32_e32 v4, 2, v4
	v_cndmask_b32_e32 v6, v15, v6, vcc_lo
	v_and_b32_e32 v17, 31, v0
	s_waitcnt lgkmcnt(0)
	v_max_f32_e32 v1, v1, v1
	v_max_f32_e32 v1, v5, v1
	ds_bpermute_b32 v5, v4, v1
	s_waitcnt lgkmcnt(0)
	v_max_f32_e32 v7, v5, v5
	v_lshlrev_b32_e32 v5, 2, v6
	v_max_f32_e32 v1, v1, v7
	v_xor_b32_e32 v7, 2, v15
	ds_bpermute_b32 v6, v5, v1
	v_cmp_lt_i32_e32 vcc_lo, v7, v16
	v_cndmask_b32_e32 v8, v15, v7, vcc_lo
	v_cmp_eq_u32_e32 vcc_lo, 0, v17
	s_waitcnt lgkmcnt(0)
	v_max_f32_e32 v6, v6, v6
	v_max_f32_e32 v7, v1, v6
	v_lshlrev_b32_e32 v1, 2, v8
	v_lshlrev_b32_e32 v6, 2, v13
	ds_bpermute_b32 v8, v1, v7
	s_and_saveexec_b32 s2, vcc_lo
	s_cbranch_execz .LBB269_526
; %bb.525:
	s_waitcnt lgkmcnt(0)
	v_max_f32_e32 v8, v8, v8
	v_max_f32_e32 v7, v7, v7
	;; [unrolled: 1-line block ×3, first 2 shown]
	ds_write_b32 v6, v7 offset:256
.LBB269_526:
	s_or_b32 exec_lo, exec_lo, s2
	v_cmp_gt_u32_e64 s2, 4, v17
	s_waitcnt lgkmcnt(0)
	v_mov_b32_e32 v8, 0xff7fffff
	v_lshlrev_b32_e32 v7, 2, v17
	s_barrier
	buffer_gl0_inv
	s_and_saveexec_b32 s3, s2
; %bb.527:
	ds_read_b32 v8, v7 offset:256
; %bb.528:
	s_or_b32 exec_lo, exec_lo, s3
	s_waitcnt lgkmcnt(0)
	ds_bpermute_b32 v9, v1, v8
	v_xor_b32_e32 v18, 1, v15
	v_max_f32_e32 v8, v8, v8
	v_lshlrev_b32_e32 v2, 2, v2
	v_cmp_lt_i32_e64 s3, v18, v16
	v_cndmask_b32_e64 v16, v15, v18, s3
	s_lshl_b32 s3, s16, 4
	s_min_i32 s5, s3, s11
	v_lshlrev_b32_e32 v16, 2, v16
	v_cmp_gt_i32_e64 s3, s5, v0
	s_waitcnt lgkmcnt(0)
	v_max_f32_e32 v9, v9, v9
	v_max_f32_e32 v8, v8, v9
	ds_bpermute_b32 v9, v16, v8
	s_waitcnt lgkmcnt(0)
	v_max_f32_e32 v9, v9, v9
	v_max_f32_e32 v8, v8, v9
	ds_bpermute_b32 v9, v2, v8
	v_mov_b32_e32 v8, 0
	v_lshl_add_u32 v2, v0, 2, 0x120
	s_and_saveexec_b32 s12, s3
	s_cbranch_execz .LBB269_532
; %bb.529:
	v_lshl_add_u32 v18, v0, 2, 0x120
	v_mov_b32_e32 v8, 0
	v_mov_b32_e32 v19, v0
	s_mov_b32 s13, 0
	.p2align	6
.LBB269_530:                            ; =>This Inner Loop Header: Depth=1
	ds_read_b32 v20, v18
	v_add_nc_u32_e32 v19, 0x80, v19
	v_cmp_le_i32_e64 s4, s5, v19
	s_or_b32 s13, s4, s13
	s_waitcnt lgkmcnt(0)
	v_sub_f32_e32 v20, v20, v9
	v_mul_f32_e32 v20, 0x3fb8aa3b, v20
	v_exp_f32_e32 v20, v20
	ds_write_b32 v18, v20
	v_add_f32_e32 v8, v8, v20
	v_add_nc_u32_e32 v18, 0x200, v18
	s_andn2_b32 exec_lo, exec_lo, s13
	s_cbranch_execnz .LBB269_530
; %bb.531:
	s_or_b32 exec_lo, exec_lo, s13
.LBB269_532:
	s_or_b32 exec_lo, exec_lo, s12
	ds_bpermute_b32 v3, v3, v8
	s_waitcnt lgkmcnt(0)
	v_add_f32_e32 v3, v8, v3
	ds_bpermute_b32 v4, v4, v3
	s_waitcnt lgkmcnt(0)
	v_add_f32_e32 v3, v3, v4
	;; [unrolled: 3-line block ×5, first 2 shown]
	s_and_saveexec_b32 s4, vcc_lo
; %bb.533:
	ds_write_b32 v6, v3 offset:272
; %bb.534:
	s_or_b32 exec_lo, exec_lo, s4
	s_waitcnt lgkmcnt(0)
	s_barrier
	buffer_gl0_inv
	s_and_saveexec_b32 s4, s2
; %bb.535:
	ds_read_b32 v3, v7 offset:272
; %bb.536:
	s_or_b32 exec_lo, exec_lo, s4
	s_waitcnt lgkmcnt(0)
	ds_bpermute_b32 v1, v1, v3
	v_lshlrev_b32_e32 v4, 2, v15
	s_waitcnt lgkmcnt(0)
	v_add_f32_e32 v1, v3, v1
	ds_bpermute_b32 v3, v16, v1
	s_waitcnt lgkmcnt(0)
	v_add_f32_e32 v1, v1, v3
	v_and_b32_e32 v3, 0xffffff80, v4
	ds_bpermute_b32 v1, v3, v1
	s_and_saveexec_b32 s2, s3
	s_cbranch_execz .LBB269_539
; %bb.537:
	s_waitcnt lgkmcnt(0)
	v_add_f32_e32 v1, 0x358637bd, v1
	s_mov_b32 s3, 0
	v_div_scale_f32 v3, null, v1, v1, 1.0
	v_div_scale_f32 v6, vcc_lo, 1.0, v1, 1.0
	v_rcp_f32_e32 v4, v3
	v_fma_f32 v5, -v3, v4, 1.0
	v_fmac_f32_e32 v4, v5, v4
	v_mul_f32_e32 v5, v6, v4
	v_fma_f32 v7, -v3, v5, v6
	v_fmac_f32_e32 v5, v7, v4
	v_fma_f32 v3, -v3, v5, v6
	v_div_fmas_f32 v3, v3, v4, v5
	v_div_fixup_f32 v1, v3, v1, 1.0
	v_mov_b32_e32 v3, v0
.LBB269_538:                            ; =>This Inner Loop Header: Depth=1
	ds_read_b32 v4, v2
	v_add_nc_u32_e32 v3, 0x80, v3
	v_cmp_le_i32_e32 vcc_lo, s5, v3
	s_or_b32 s3, vcc_lo, s3
	s_waitcnt lgkmcnt(0)
	v_mul_f32_e32 v4, v1, v4
	ds_write_b32 v2, v4
	v_add_nc_u32_e32 v2, 0x200, v2
	s_andn2_b32 exec_lo, exec_lo, s3
	s_cbranch_execnz .LBB269_538
.LBB269_539:
	s_or_b32 exec_lo, exec_lo, s2
	v_mov_b32_e32 v23, 0
	v_mov_b32_e32 v24, 0
	;; [unrolled: 1-line block ×8, first 2 shown]
	s_waitcnt lgkmcnt(0)
	s_barrier
	buffer_gl0_inv
	s_and_saveexec_b32 s4, s1
	s_cbranch_execz .LBB269_1071
; %bb.540:
	v_lshlrev_b32_e32 v3, 5, v12
	v_and_b32_e32 v4, 0xf8, v10
	v_and_b32_e32 v1, 8, v10
	v_lshlrev_b32_e32 v5, 4, v13
	s_ashr_i32 s1, s18, 31
	s_add_u32 s2, s26, s18
	s_addc_u32 s1, s27, s1
	v_lshl_or_b32 v6, v13, 6, v3
	v_add_co_u32 v3, s2, s2, v4
	v_or3_b32 v25, v5, v1, 7
	v_and_b32_e32 v1, 0x7c, v14
	v_add_co_ci_u32_e64 v4, null, s1, 0, s2
	s_lshl_b64 s[2:3], s[24:25], 2
	s_add_i32 s12, s16, -1
	s_add_u32 s1, s22, s2
	s_addc_u32 s2, s23, s3
	v_add_co_u32 v5, s1, s1, v1
	v_mov_b32_e32 v2, 0
	v_add_nc_u32_e32 v14, 0x120, v6
	v_add_co_ci_u32_e64 v6, null, s2, 0, s1
	v_mov_b32_e32 v26, 0x80
	v_mov_b32_e32 v27, 0x7f
	;; [unrolled: 1-line block ×13, first 2 shown]
	s_mov_b32 s2, -1
	s_mov_b32 s5, s17
	s_mov_b32 s3, 0xffffff
	s_mov_b32 s13, 0
	s_branch .LBB269_542
.LBB269_541:                            ;   in Loop: Header=BB269_542 Depth=1
	s_or_b32 exec_lo, exec_lo, s1
	v_add_f32_e32 v9, v9, v10
	v_add_f32_e32 v10, v52, v53
	v_add_nc_u32_e32 v30, 4, v30
	v_add_f32_e32 v31, v50, v51
	v_add_f32_e32 v32, v48, v49
	;; [unrolled: 1-line block ×3, first 2 shown]
	;;#ASMSTART
	v_pk_mul_f16 v9, v42, v54;

	;;#ASMEND
	;;#ASMSTART
	v_pk_mul_f16 v1, v40, v1;

	;;#ASMEND
	;; [unrolled: 4-line block ×4, first 2 shown]
	;;#ASMSTART
	v_pk_add_f16 v1, v9, v1;

	;;#ASMEND
	;;#ASMSTART
	v_pk_add_f16 v1, v1, v8;

	;;#ASMEND
	;; [unrolled: 4-line block ×3, first 2 shown]
	v_and_b32_e32 v9, 0xffff, v1
	v_add_f32_e32 v19, v19, v10
	v_lshrrev_b32_e32 v10, 16, v1
	;;#ASMSTART
	v_cvt_f32_f16 v9, v9;
	;;#ASMEND
	v_add_f32_e32 v1, v46, v47
	v_add_f32_e32 v7, v44, v45
	;; [unrolled: 1-line block ×3, first 2 shown]
	;;#ASMSTART
	v_cvt_f32_f16 v10, v10;
	;;#ASMEND
	v_add_f32_e32 v9, v9, v10
	v_cmp_le_i32_e32 vcc_lo, s16, v30
	v_add_co_u32 v5, s1, v5, 16
	v_add_f32_e32 v20, v20, v31
	v_add_f32_e32 v21, v21, v32
	v_add_f32_e32 v22, v22, v1
	v_add_f32_e32 v24, v24, v7
	v_add_f32_e32 v23, v23, v8
	v_add_f32_e32 v15, v15, v9
	v_add_nc_u32_e32 v25, 64, v25
	v_add_nc_u32_e32 v14, 0x100, v14
	v_add_co_ci_u32_e64 v6, null, 0, v6, s1
	s_or_b32 s13, vcc_lo, s13
	s_andn2_b32 exec_lo, exec_lo, s13
	s_cbranch_execz .LBB269_1070
.LBB269_542:                            ; =>This Inner Loop Header: Depth=1
	global_load_dword v1, v[5:6], off
	ds_read2_b64 v[31:34], v14 offset1:1
	ds_read2_b64 v[44:47], v14 offset0:2 offset1:3
	s_waitcnt lgkmcnt(1)
	;;#ASMSTART
	v_cvt_f16_f32 v38, v31;

	;;#ASMEND
	;;#ASMSTART
	v_cvt_f16_f32 v39, v32;

	;;#ASMEND
	;; [unrolled: 4-line block ×4, first 2 shown]
	s_waitcnt lgkmcnt(0)
	;;#ASMSTART
	v_cvt_f16_f32 v44, v44;

	;;#ASMEND
	;;#ASMSTART
	v_cvt_f16_f32 v41, v45;

	;;#ASMEND
	;; [unrolled: 4-line block ×4, first 2 shown]
	v_mov_b32_e32 v33, 0
	s_waitcnt vmcnt(0)
	v_mad_i64_i32 v[7:8], null, v1, s5, v[3:4]
	global_load_dwordx2 v[9:10], v[7:8], off
	global_load_dword v32, v2, s[14:15]
	s_waitcnt vmcnt(1)
	v_cmp_ne_u16_sdwa s17, v9, v2 src0_sel:BYTE_0 src1_sel:DWORD
	s_and_saveexec_b32 s1, s17
	s_cbranch_execz .LBB269_550
; %bb.543:                              ;   in Loop: Header=BB269_542 Depth=1
	v_cmp_ne_u16_sdwa s18, v9, v26 src0_sel:BYTE_0 src1_sel:DWORD
	v_mov_b32_e32 v33, 0x8000
	s_and_saveexec_b32 s17, s18
	s_cbranch_execz .LBB269_549
; %bb.544:                              ;   in Loop: Header=BB269_542 Depth=1
	v_and_b32_e32 v34, 0x7f, v9
	v_mov_b32_e32 v33, 0x7c01
	s_mov_b32 s18, exec_lo
	v_cmpx_ne_u32_e32 0x7f, v34
	s_cbranch_execz .LBB269_548
; %bb.545:                              ;   in Loop: Header=BB269_542 Depth=1
	v_and_b32_e32 v1, 7, v9
	v_lshrrev_b32_e32 v31, 3, v34
	s_mov_b32 s19, exec_lo
	v_cmpx_gt_u32_e32 8, v34
; %bb.546:                              ;   in Loop: Header=BB269_542 Depth=1
	v_ffbh_u32_e32 v1, v1
	v_min_u32_e32 v1, 32, v1
	v_subrev_nc_u32_e32 v31, 28, v1
	v_lshlrev_b64 v[33:34], v31, v[9:10]
	v_sub_nc_u32_e32 v31, 29, v1
	v_and_b32_e32 v1, 7, v33
; %bb.547:                              ;   in Loop: Header=BB269_542 Depth=1
	s_or_b32 exec_lo, exec_lo, s19
	v_lshlrev_b32_e32 v33, 8, v9
	v_lshl_add_u32 v31, v31, 10, 0x2000
	v_lshlrev_b32_e32 v1, 7, v1
	v_and_b32_e32 v33, 0x8000, v33
	v_and_b32_e32 v31, 0xfc00, v31
	v_or3_b32 v33, v33, v31, v1
.LBB269_548:                            ;   in Loop: Header=BB269_542 Depth=1
	s_or_b32 exec_lo, exec_lo, s18
.LBB269_549:                            ;   in Loop: Header=BB269_542 Depth=1
	s_or_b32 exec_lo, exec_lo, s17
.LBB269_550:                            ;   in Loop: Header=BB269_542 Depth=1
	s_or_b32 exec_lo, exec_lo, s1
	v_lshrrev_b16 v1, 8, v9
	v_mov_b32_e32 v31, 0
	v_mov_b32_e32 v34, 0
	s_mov_b32 s1, exec_lo
	v_cmpx_ne_u16_e32 0, v1
	s_cbranch_execz .LBB269_558
; %bb.551:                              ;   in Loop: Header=BB269_542 Depth=1
	v_bfrev_b32_e32 v34, 1
	s_mov_b32 s17, exec_lo
	v_cmpx_ne_u16_e32 0x80, v1
	s_cbranch_execz .LBB269_557
; %bb.552:                              ;   in Loop: Header=BB269_542 Depth=1
	v_and_b32_sdwa v36, v1, v27 dst_sel:DWORD dst_unused:UNUSED_PAD src0_sel:WORD_0 src1_sel:DWORD
	v_mov_b32_e32 v34, 0x7c010000
	s_mov_b32 s18, exec_lo
	v_cmpx_ne_u32_e32 0x7f, v36
	s_cbranch_execz .LBB269_556
; %bb.553:                              ;   in Loop: Header=BB269_542 Depth=1
	v_and_b32_sdwa v34, v1, v28 dst_sel:DWORD dst_unused:UNUSED_PAD src0_sel:WORD_0 src1_sel:DWORD
	v_lshrrev_b32_e32 v35, 3, v36
	s_mov_b32 s19, exec_lo
	v_cmpx_gt_u32_e32 8, v36
; %bb.554:                              ;   in Loop: Header=BB269_542 Depth=1
	v_ffbh_u32_e32 v34, v34
	v_min_u32_e32 v36, 32, v34
	v_subrev_nc_u32_e32 v34, 28, v36
	v_lshlrev_b64 v[34:35], v34, v[1:2]
	v_sub_nc_u32_e32 v35, 29, v36
	v_and_b32_e32 v34, 7, v34
; %bb.555:                              ;   in Loop: Header=BB269_542 Depth=1
	s_or_b32 exec_lo, exec_lo, s19
	v_lshlrev_b32_sdwa v1, v29, v1 dst_sel:DWORD dst_unused:UNUSED_PAD src0_sel:DWORD src1_sel:WORD_0
	v_lshl_add_u32 v35, v35, 10, 0x2000
	v_lshlrev_b32_e32 v34, 23, v34
	v_and_or_b32 v1, 0x8000, v1, v35
	v_lshl_or_b32 v34, v1, 16, v34
.LBB269_556:                            ;   in Loop: Header=BB269_542 Depth=1
	s_or_b32 exec_lo, exec_lo, s18
.LBB269_557:                            ;   in Loop: Header=BB269_542 Depth=1
	s_or_b32 exec_lo, exec_lo, s17
.LBB269_558:                            ;   in Loop: Header=BB269_542 Depth=1
	s_or_b32 exec_lo, exec_lo, s1
	v_lshrrev_b32_e32 v1, 16, v9
	v_cmp_ne_u16_sdwa s17, v1, v2 src0_sel:BYTE_0 src1_sel:DWORD
	s_and_saveexec_b32 s1, s17
	s_cbranch_execz .LBB269_566
; %bb.559:                              ;   in Loop: Header=BB269_542 Depth=1
	v_cmp_ne_u16_sdwa s18, v1, v26 src0_sel:BYTE_0 src1_sel:DWORD
	v_mov_b32_e32 v31, 0x8000
	s_and_saveexec_b32 s17, s18
	s_cbranch_execz .LBB269_565
; %bb.560:                              ;   in Loop: Header=BB269_542 Depth=1
	v_bfe_u32 v36, v9, 16, 7
	v_mov_b32_e32 v31, 0x7c01
	s_mov_b32 s18, exec_lo
	v_cmpx_ne_u32_e32 0x7f, v36
	s_cbranch_execz .LBB269_564
; %bb.561:                              ;   in Loop: Header=BB269_542 Depth=1
	v_and_b32_e32 v31, 7, v1
	v_lshrrev_b32_e32 v35, 3, v36
	s_mov_b32 s19, exec_lo
	v_cmpx_gt_u32_e32 8, v36
; %bb.562:                              ;   in Loop: Header=BB269_542 Depth=1
	v_ffbh_u32_e32 v31, v31
	v_min_u32_e32 v31, 32, v31
	v_subrev_nc_u32_e32 v35, 28, v31
	v_lshlrev_b64 v[36:37], v35, v[1:2]
	v_sub_nc_u32_e32 v35, 29, v31
	v_and_b32_e32 v31, 7, v36
; %bb.563:                              ;   in Loop: Header=BB269_542 Depth=1
	s_or_b32 exec_lo, exec_lo, s19
	v_lshlrev_b32_e32 v1, 8, v1
	v_lshl_add_u32 v35, v35, 10, 0x2000
	v_lshlrev_b32_e32 v31, 7, v31
	v_and_b32_e32 v1, 0x8000, v1
	v_and_b32_e32 v35, 0xfc00, v35
	v_or3_b32 v31, v1, v35, v31
.LBB269_564:                            ;   in Loop: Header=BB269_542 Depth=1
	s_or_b32 exec_lo, exec_lo, s18
.LBB269_565:                            ;   in Loop: Header=BB269_542 Depth=1
	s_or_b32 exec_lo, exec_lo, s17
.LBB269_566:                            ;   in Loop: Header=BB269_542 Depth=1
	s_or_b32 exec_lo, exec_lo, s1
	v_mov_b32_e32 v35, 0
	v_mov_b32_e32 v36, 0
	s_mov_b32 s1, exec_lo
	v_cmpx_lt_u32_e32 0xffffff, v9
	s_cbranch_execz .LBB269_574
; %bb.567:                              ;   in Loop: Header=BB269_542 Depth=1
	v_lshrrev_b32_e32 v1, 24, v9
	v_bfrev_b32_e32 v36, 1
	s_mov_b32 s17, exec_lo
	v_cmpx_ne_u32_e32 0x80, v1
	s_cbranch_execz .LBB269_573
; %bb.568:                              ;   in Loop: Header=BB269_542 Depth=1
	v_and_b32_e32 v46, 0x7f, v1
	v_mov_b32_e32 v36, 0x7c010000
	s_mov_b32 s18, exec_lo
	v_cmpx_ne_u32_e32 0x7f, v46
	s_cbranch_execz .LBB269_572
; %bb.569:                              ;   in Loop: Header=BB269_542 Depth=1
	v_and_b32_e32 v36, 7, v1
	v_lshrrev_b32_e32 v37, 3, v46
	s_mov_b32 s19, exec_lo
	v_cmpx_gt_u32_e32 8, v46
; %bb.570:                              ;   in Loop: Header=BB269_542 Depth=1
	v_ffbh_u32_e32 v36, v36
	v_min_u32_e32 v46, 32, v36
	v_subrev_nc_u32_e32 v36, 28, v46
	v_lshlrev_b64 v[36:37], v36, v[1:2]
	v_sub_nc_u32_e32 v37, 29, v46
	v_and_b32_e32 v36, 7, v36
; %bb.571:                              ;   in Loop: Header=BB269_542 Depth=1
	s_or_b32 exec_lo, exec_lo, s19
	v_lshlrev_b32_e32 v1, 8, v1
	v_lshl_add_u32 v37, v37, 10, 0x2000
	v_lshlrev_b32_e32 v36, 23, v36
	v_and_or_b32 v1, 0x8000, v1, v37
	v_lshl_or_b32 v36, v1, 16, v36
.LBB269_572:                            ;   in Loop: Header=BB269_542 Depth=1
	s_or_b32 exec_lo, exec_lo, s18
.LBB269_573:                            ;   in Loop: Header=BB269_542 Depth=1
	s_or_b32 exec_lo, exec_lo, s17
.LBB269_574:                            ;   in Loop: Header=BB269_542 Depth=1
	s_or_b32 exec_lo, exec_lo, s1
	v_mov_b32_e32 v1, v10
	v_cmp_ne_u16_sdwa s17, v10, v2 src0_sel:BYTE_0 src1_sel:DWORD
	s_and_saveexec_b32 s1, s17
	s_cbranch_execz .LBB269_582
; %bb.575:                              ;   in Loop: Header=BB269_542 Depth=1
	v_cmp_ne_u16_sdwa s18, v10, v26 src0_sel:BYTE_0 src1_sel:DWORD
	v_mov_b32_e32 v35, 0x8000
	s_and_saveexec_b32 s17, s18
	s_cbranch_execz .LBB269_581
; %bb.576:                              ;   in Loop: Header=BB269_542 Depth=1
	v_and_b32_e32 v46, 0x7f, v10
	v_mov_b32_e32 v35, 0x7c01
	s_mov_b32 s18, exec_lo
	v_cmpx_ne_u32_e32 0x7f, v46
	s_cbranch_execz .LBB269_580
; %bb.577:                              ;   in Loop: Header=BB269_542 Depth=1
	v_and_b32_e32 v35, 7, v10
	v_lshrrev_b32_e32 v37, 3, v46
	s_mov_b32 s19, exec_lo
	v_cmpx_gt_u32_e32 8, v46
; %bb.578:                              ;   in Loop: Header=BB269_542 Depth=1
	v_ffbh_u32_e32 v35, v35
	v_min_u32_e32 v35, 32, v35
	v_subrev_nc_u32_e32 v37, 28, v35
	v_lshlrev_b64 v[46:47], v37, v[1:2]
	v_sub_nc_u32_e32 v37, 29, v35
	v_and_b32_e32 v35, 7, v46
; %bb.579:                              ;   in Loop: Header=BB269_542 Depth=1
	s_or_b32 exec_lo, exec_lo, s19
	v_lshlrev_b32_e32 v46, 8, v10
	v_lshl_add_u32 v37, v37, 10, 0x2000
	v_lshlrev_b32_e32 v35, 7, v35
	v_and_b32_e32 v46, 0x8000, v46
	v_and_b32_e32 v37, 0xfc00, v37
	v_or3_b32 v35, v46, v37, v35
.LBB269_580:                            ;   in Loop: Header=BB269_542 Depth=1
	s_or_b32 exec_lo, exec_lo, s18
.LBB269_581:                            ;   in Loop: Header=BB269_542 Depth=1
	s_or_b32 exec_lo, exec_lo, s17
.LBB269_582:                            ;   in Loop: Header=BB269_542 Depth=1
	s_or_b32 exec_lo, exec_lo, s1
	v_lshrrev_b16 v1, 8, v1
	v_mov_b32_e32 v46, 0
	v_mov_b32_e32 v37, 0
	s_mov_b32 s1, exec_lo
	v_cmpx_ne_u16_e32 0, v1
	s_cbranch_execz .LBB269_590
; %bb.583:                              ;   in Loop: Header=BB269_542 Depth=1
	v_bfrev_b32_e32 v37, 1
	s_mov_b32 s17, exec_lo
	v_cmpx_ne_u16_e32 0x80, v1
	s_cbranch_execz .LBB269_589
; %bb.584:                              ;   in Loop: Header=BB269_542 Depth=1
	v_and_b32_sdwa v48, v1, v27 dst_sel:DWORD dst_unused:UNUSED_PAD src0_sel:WORD_0 src1_sel:DWORD
	v_mov_b32_e32 v37, 0x7c010000
	s_mov_b32 s18, exec_lo
	v_cmpx_ne_u32_e32 0x7f, v48
	s_cbranch_execz .LBB269_588
; %bb.585:                              ;   in Loop: Header=BB269_542 Depth=1
	v_and_b32_sdwa v37, v1, v28 dst_sel:DWORD dst_unused:UNUSED_PAD src0_sel:WORD_0 src1_sel:DWORD
	v_lshrrev_b32_e32 v47, 3, v48
	s_mov_b32 s19, exec_lo
	v_cmpx_gt_u32_e32 8, v48
; %bb.586:                              ;   in Loop: Header=BB269_542 Depth=1
	v_ffbh_u32_e32 v37, v37
	v_min_u32_e32 v37, 32, v37
	v_subrev_nc_u32_e32 v47, 28, v37
	v_lshlrev_b64 v[48:49], v47, v[1:2]
	v_sub_nc_u32_e32 v47, 29, v37
	v_and_b32_e32 v37, 7, v48
; %bb.587:                              ;   in Loop: Header=BB269_542 Depth=1
	s_or_b32 exec_lo, exec_lo, s19
	v_lshlrev_b32_sdwa v1, v29, v1 dst_sel:DWORD dst_unused:UNUSED_PAD src0_sel:DWORD src1_sel:WORD_0
	v_lshl_add_u32 v47, v47, 10, 0x2000
	v_lshlrev_b32_e32 v37, 23, v37
	v_and_or_b32 v1, 0x8000, v1, v47
	v_lshl_or_b32 v37, v1, 16, v37
.LBB269_588:                            ;   in Loop: Header=BB269_542 Depth=1
	s_or_b32 exec_lo, exec_lo, s18
.LBB269_589:                            ;   in Loop: Header=BB269_542 Depth=1
	s_or_b32 exec_lo, exec_lo, s17
.LBB269_590:                            ;   in Loop: Header=BB269_542 Depth=1
	s_or_b32 exec_lo, exec_lo, s1
	v_lshrrev_b32_e32 v1, 16, v10
	v_cmp_ne_u16_sdwa s17, v1, v2 src0_sel:BYTE_0 src1_sel:DWORD
	s_and_saveexec_b32 s1, s17
	s_cbranch_execz .LBB269_598
; %bb.591:                              ;   in Loop: Header=BB269_542 Depth=1
	v_cmp_ne_u16_sdwa s18, v1, v26 src0_sel:BYTE_0 src1_sel:DWORD
	v_mov_b32_e32 v46, 0x8000
	s_and_saveexec_b32 s17, s18
	s_cbranch_execz .LBB269_597
; %bb.592:                              ;   in Loop: Header=BB269_542 Depth=1
	v_bfe_u32 v48, v10, 16, 7
	v_mov_b32_e32 v46, 0x7c01
	s_mov_b32 s18, exec_lo
	v_cmpx_ne_u32_e32 0x7f, v48
	s_cbranch_execz .LBB269_596
; %bb.593:                              ;   in Loop: Header=BB269_542 Depth=1
	v_and_b32_e32 v46, 7, v1
	v_lshrrev_b32_e32 v47, 3, v48
	s_mov_b32 s19, exec_lo
	v_cmpx_gt_u32_e32 8, v48
; %bb.594:                              ;   in Loop: Header=BB269_542 Depth=1
	v_ffbh_u32_e32 v46, v46
	v_min_u32_e32 v48, 32, v46
	v_subrev_nc_u32_e32 v46, 28, v48
	v_lshlrev_b64 v[46:47], v46, v[1:2]
	v_sub_nc_u32_e32 v47, 29, v48
	v_and_b32_e32 v46, 7, v46
; %bb.595:                              ;   in Loop: Header=BB269_542 Depth=1
	s_or_b32 exec_lo, exec_lo, s19
	v_lshlrev_b32_e32 v1, 8, v1
	v_lshl_add_u32 v47, v47, 10, 0x2000
	v_lshlrev_b32_e32 v46, 7, v46
	v_and_b32_e32 v1, 0x8000, v1
	v_and_b32_e32 v47, 0xfc00, v47
	v_or3_b32 v46, v1, v47, v46
.LBB269_596:                            ;   in Loop: Header=BB269_542 Depth=1
	s_or_b32 exec_lo, exec_lo, s18
.LBB269_597:                            ;   in Loop: Header=BB269_542 Depth=1
	s_or_b32 exec_lo, exec_lo, s17
.LBB269_598:                            ;   in Loop: Header=BB269_542 Depth=1
	s_or_b32 exec_lo, exec_lo, s1
	v_cmp_lt_u64_e32 vcc_lo, s[2:3], v[9:10]
	v_mov_b32_e32 v9, 0
	s_and_saveexec_b32 s1, vcc_lo
	s_cbranch_execz .LBB269_606
; %bb.599:                              ;   in Loop: Header=BB269_542 Depth=1
	v_lshrrev_b32_e32 v1, 24, v10
	v_bfrev_b32_e32 v9, 1
	s_mov_b32 s17, exec_lo
	v_cmpx_ne_u32_e32 0x80, v1
	s_cbranch_execz .LBB269_605
; %bb.600:                              ;   in Loop: Header=BB269_542 Depth=1
	v_and_b32_e32 v47, 0x7f, v1
	v_mov_b32_e32 v9, 0x7c010000
	s_mov_b32 s18, exec_lo
	v_cmpx_ne_u32_e32 0x7f, v47
	s_cbranch_execz .LBB269_604
; %bb.601:                              ;   in Loop: Header=BB269_542 Depth=1
	v_and_b32_e32 v9, 7, v1
	v_lshrrev_b32_e32 v10, 3, v47
	s_mov_b32 s19, exec_lo
	v_cmpx_gt_u32_e32 8, v47
; %bb.602:                              ;   in Loop: Header=BB269_542 Depth=1
	v_ffbh_u32_e32 v9, v9
	v_min_u32_e32 v47, 32, v9
	v_subrev_nc_u32_e32 v9, 28, v47
	v_lshlrev_b64 v[9:10], v9, v[1:2]
	v_sub_nc_u32_e32 v10, 29, v47
	v_and_b32_e32 v9, 7, v9
; %bb.603:                              ;   in Loop: Header=BB269_542 Depth=1
	s_or_b32 exec_lo, exec_lo, s19
	v_lshlrev_b32_e32 v1, 8, v1
	v_lshl_add_u32 v10, v10, 10, 0x2000
	v_lshlrev_b32_e32 v9, 23, v9
	v_and_or_b32 v1, 0x8000, v1, v10
	v_lshl_or_b32 v9, v1, 16, v9
.LBB269_604:                            ;   in Loop: Header=BB269_542 Depth=1
	s_or_b32 exec_lo, exec_lo, s18
.LBB269_605:                            ;   in Loop: Header=BB269_542 Depth=1
	s_or_b32 exec_lo, exec_lo, s17
.LBB269_606:                            ;   in Loop: Header=BB269_542 Depth=1
	s_or_b32 exec_lo, exec_lo, s1
	v_or_b32_e32 v1, v36, v31
	s_waitcnt vmcnt(0)
	v_fma_mixlo_f16 v10, v32, v36, 0 op_sel:[0,1,0] op_sel_hi:[0,1,0]
	v_or_b32_e32 v33, v34, v33
	v_fma_mixlo_f16 v34, v32, v34, 0 op_sel:[0,1,0] op_sel_hi:[0,1,0]
	v_or_b32_e32 v35, v37, v35
	v_fma_mixlo_f16 v1, v32, v1, 0 op_sel_hi:[0,1,0]
	v_or_b32_e32 v36, v9, v46
	v_fma_mixlo_f16 v9, v32, v9, 0 op_sel:[0,1,0] op_sel_hi:[0,1,0]
	v_lshlrev_b32_e32 v52, 16, v34
	v_fma_mixlo_f16 v34, v32, v35, 0 op_sel_hi:[0,1,0]
	v_and_b32_e32 v49, 0xffff, v1
	v_fma_mixlo_f16 v1, v32, v33, 0 op_sel_hi:[0,1,0]
	v_fma_mixlo_f16 v33, v32, v37, 0 op_sel:[0,1,0] op_sel_hi:[0,1,0]
	v_fma_mixlo_f16 v32, v32, v36, 0 op_sel_hi:[0,1,0]
	v_lshlrev_b32_e32 v10, 16, v10
	v_and_b32_e32 v53, 0xffff, v34
	v_and_b32_e32 v54, 0xffff, v1
	v_lshlrev_b32_e32 v50, 16, v33
	v_lshlrev_b32_e32 v47, 16, v9
	v_and_b32_e32 v51, 0xffff, v32
	v_add_nc_u32_e32 v31, -7, v25
	v_cmp_eq_u32_e32 vcc_lo, s12, v30
	v_or_b32_e32 v1, v10, v49
	v_or_b32_e32 v9, v52, v54
	v_or_b32_e32 v46, v50, v53
	v_or_b32_e32 v48, v47, v51
	v_add_nc_u32_e32 v37, -6, v25
	v_add_nc_u32_e32 v36, -5, v25
	;; [unrolled: 1-line block ×6, first 2 shown]
	s_and_saveexec_b32 s17, vcc_lo
	s_cbranch_execz .LBB269_608
; %bb.607:                              ;   in Loop: Header=BB269_542 Depth=1
	v_cmp_gt_i32_e64 s1, s11, v31
	v_cndmask_b32_e64 v1, 0, v54, s1
	v_cmp_gt_i32_e64 s1, s11, v37
	v_cndmask_b32_e64 v9, 0, v52, s1
	v_cmp_gt_i32_e64 s1, s11, v36
	v_or_b32_e32 v9, v9, v1
	v_cndmask_b32_e64 v46, 0, v49, s1
	v_cmp_gt_i32_e64 s1, s11, v35
	v_cndmask_b32_e64 v10, 0, v10, s1
	v_cmp_gt_i32_e64 s1, s11, v34
	v_or_b32_e32 v1, v10, v46
	v_cndmask_b32_e64 v48, 0, v53, s1
	v_cmp_gt_i32_e64 s1, s11, v33
	v_cndmask_b32_e64 v49, 0, v50, s1
	v_cmp_gt_i32_e64 s1, s11, v32
	v_or_b32_e32 v46, v49, v48
	v_cndmask_b32_e64 v50, 0, v51, s1
	v_cmp_gt_i32_e64 s1, s11, v25
	v_cndmask_b32_e64 v47, 0, v47, s1
	v_or_b32_e32 v48, v47, v50
.LBB269_608:                            ;   in Loop: Header=BB269_542 Depth=1
	s_or_b32 exec_lo, exec_lo, s17
	v_and_b32_e32 v10, 0xffff, v38
	v_and_b32_e32 v38, 0xffff, v42
	;; [unrolled: 1-line block ×4, first 2 shown]
	v_lshl_or_b32 v42, v39, 16, v10
	v_lshl_or_b32 v40, v40, 16, v38
	;;#ASMSTART
	v_pk_mul_f16 v9, v42, v9;

	;;#ASMEND
	;;#ASMSTART
	v_pk_mul_f16 v1, v40, v1;

	;;#ASMEND
	v_lshl_or_b32 v39, v41, 16, v44
	v_lshl_or_b32 v38, v43, 16, v45
	;;#ASMSTART
	v_pk_mul_f16 v10, v39, v46;

	;;#ASMEND
	;;#ASMSTART
	v_pk_mul_f16 v41, v38, v48;

	;;#ASMEND
	;;#ASMSTART
	v_pk_add_f16 v1, v9, v1;

	;;#ASMEND
	;;#ASMSTART
	v_pk_add_f16 v1, v1, v10;
	;; [unrolled: 4-line block ×3, first 2 shown]

	;;#ASMEND
	v_and_b32_e32 v9, 0xffff, v1
	v_lshrrev_b32_e32 v1, 16, v1
	;;#ASMSTART
	v_cvt_f32_f16 v41, v9;
	;;#ASMEND
	;;#ASMSTART
	v_cvt_f32_f16 v43, v1;
	;;#ASMEND
	global_load_dwordx2 v[9:10], v[7:8], off offset:256
	v_mov_b32_e32 v45, 0
	v_mov_b32_e32 v46, 0
	global_load_dword v44, v45, s[14:15]
	s_waitcnt vmcnt(1)
	v_cmp_ne_u16_sdwa s1, v9, v2 src0_sel:BYTE_0 src1_sel:DWORD
	s_and_saveexec_b32 s17, s1
	s_cbranch_execz .LBB269_616
; %bb.609:                              ;   in Loop: Header=BB269_542 Depth=1
	v_cmp_ne_u16_sdwa s1, v9, v26 src0_sel:BYTE_0 src1_sel:DWORD
	v_mov_b32_e32 v46, 0x8000
	s_and_saveexec_b32 s18, s1
	s_cbranch_execz .LBB269_615
; %bb.610:                              ;   in Loop: Header=BB269_542 Depth=1
	v_and_b32_e32 v47, 0x7f, v9
	v_mov_b32_e32 v46, 0x7c01
	s_mov_b32 s19, exec_lo
	v_cmpx_ne_u32_e32 0x7f, v47
	s_cbranch_execz .LBB269_614
; %bb.611:                              ;   in Loop: Header=BB269_542 Depth=1
	v_and_b32_e32 v1, 7, v9
	v_lshrrev_b32_e32 v46, 3, v47
	s_mov_b32 s22, exec_lo
	v_cmpx_gt_u32_e32 8, v47
; %bb.612:                              ;   in Loop: Header=BB269_542 Depth=1
	v_ffbh_u32_e32 v1, v1
	v_min_u32_e32 v1, 32, v1
	v_subrev_nc_u32_e32 v46, 28, v1
	v_lshlrev_b64 v[47:48], v46, v[9:10]
	v_sub_nc_u32_e32 v46, 29, v1
	v_and_b32_e32 v1, 7, v47
; %bb.613:                              ;   in Loop: Header=BB269_542 Depth=1
	s_or_b32 exec_lo, exec_lo, s22
	v_lshlrev_b32_e32 v47, 8, v9
	v_lshl_add_u32 v46, v46, 10, 0x2000
	v_lshlrev_b32_e32 v1, 7, v1
	v_and_b32_e32 v47, 0x8000, v47
	v_and_b32_e32 v46, 0xfc00, v46
	v_or3_b32 v46, v47, v46, v1
.LBB269_614:                            ;   in Loop: Header=BB269_542 Depth=1
	s_or_b32 exec_lo, exec_lo, s19
.LBB269_615:                            ;   in Loop: Header=BB269_542 Depth=1
	s_or_b32 exec_lo, exec_lo, s18
.LBB269_616:                            ;   in Loop: Header=BB269_542 Depth=1
	s_or_b32 exec_lo, exec_lo, s17
	v_lshrrev_b16 v1, 8, v9
	s_mov_b32 s17, exec_lo
	v_cmpx_ne_u16_e32 0, v1
	s_cbranch_execz .LBB269_624
; %bb.617:                              ;   in Loop: Header=BB269_542 Depth=1
	v_bfrev_b32_e32 v45, 1
	s_mov_b32 s18, exec_lo
	v_cmpx_ne_u16_e32 0x80, v1
	s_cbranch_execz .LBB269_623
; %bb.618:                              ;   in Loop: Header=BB269_542 Depth=1
	v_and_b32_sdwa v48, v1, v27 dst_sel:DWORD dst_unused:UNUSED_PAD src0_sel:WORD_0 src1_sel:DWORD
	v_mov_b32_e32 v45, 0x7c010000
	s_mov_b32 s19, exec_lo
	v_cmpx_ne_u32_e32 0x7f, v48
	s_cbranch_execz .LBB269_622
; %bb.619:                              ;   in Loop: Header=BB269_542 Depth=1
	v_and_b32_sdwa v45, v1, v28 dst_sel:DWORD dst_unused:UNUSED_PAD src0_sel:WORD_0 src1_sel:DWORD
	v_lshrrev_b32_e32 v47, 3, v48
	s_mov_b32 s22, exec_lo
	v_cmpx_gt_u32_e32 8, v48
; %bb.620:                              ;   in Loop: Header=BB269_542 Depth=1
	v_ffbh_u32_e32 v45, v45
	v_min_u32_e32 v45, 32, v45
	v_subrev_nc_u32_e32 v47, 28, v45
	v_lshlrev_b64 v[48:49], v47, v[1:2]
	v_sub_nc_u32_e32 v47, 29, v45
	v_and_b32_e32 v45, 7, v48
; %bb.621:                              ;   in Loop: Header=BB269_542 Depth=1
	s_or_b32 exec_lo, exec_lo, s22
	v_lshlrev_b32_sdwa v1, v29, v1 dst_sel:DWORD dst_unused:UNUSED_PAD src0_sel:DWORD src1_sel:WORD_0
	v_lshl_add_u32 v47, v47, 10, 0x2000
	v_lshlrev_b32_e32 v45, 23, v45
	v_and_or_b32 v1, 0x8000, v1, v47
	v_lshl_or_b32 v45, v1, 16, v45
.LBB269_622:                            ;   in Loop: Header=BB269_542 Depth=1
	s_or_b32 exec_lo, exec_lo, s19
.LBB269_623:                            ;   in Loop: Header=BB269_542 Depth=1
	s_or_b32 exec_lo, exec_lo, s18
.LBB269_624:                            ;   in Loop: Header=BB269_542 Depth=1
	s_or_b32 exec_lo, exec_lo, s17
	v_lshrrev_b32_e32 v1, 16, v9
	v_mov_b32_e32 v47, 0
	v_mov_b32_e32 v48, 0
	v_cmp_ne_u16_sdwa s1, v1, v2 src0_sel:BYTE_0 src1_sel:DWORD
	s_and_saveexec_b32 s17, s1
	s_cbranch_execz .LBB269_632
; %bb.625:                              ;   in Loop: Header=BB269_542 Depth=1
	v_cmp_ne_u16_sdwa s1, v1, v26 src0_sel:BYTE_0 src1_sel:DWORD
	v_mov_b32_e32 v48, 0x8000
	s_and_saveexec_b32 s18, s1
	s_cbranch_execz .LBB269_631
; %bb.626:                              ;   in Loop: Header=BB269_542 Depth=1
	v_bfe_u32 v50, v9, 16, 7
	v_mov_b32_e32 v48, 0x7c01
	s_mov_b32 s19, exec_lo
	v_cmpx_ne_u32_e32 0x7f, v50
	s_cbranch_execz .LBB269_630
; %bb.627:                              ;   in Loop: Header=BB269_542 Depth=1
	v_and_b32_e32 v48, 7, v1
	v_lshrrev_b32_e32 v49, 3, v50
	s_mov_b32 s22, exec_lo
	v_cmpx_gt_u32_e32 8, v50
; %bb.628:                              ;   in Loop: Header=BB269_542 Depth=1
	v_ffbh_u32_e32 v48, v48
	v_min_u32_e32 v50, 32, v48
	v_subrev_nc_u32_e32 v48, 28, v50
	v_lshlrev_b64 v[48:49], v48, v[1:2]
	v_sub_nc_u32_e32 v49, 29, v50
	v_and_b32_e32 v48, 7, v48
; %bb.629:                              ;   in Loop: Header=BB269_542 Depth=1
	s_or_b32 exec_lo, exec_lo, s22
	v_lshlrev_b32_e32 v1, 8, v1
	v_lshl_add_u32 v49, v49, 10, 0x2000
	v_lshlrev_b32_e32 v48, 7, v48
	v_and_b32_e32 v1, 0x8000, v1
	v_and_b32_e32 v49, 0xfc00, v49
	v_or3_b32 v48, v1, v49, v48
.LBB269_630:                            ;   in Loop: Header=BB269_542 Depth=1
	s_or_b32 exec_lo, exec_lo, s19
.LBB269_631:                            ;   in Loop: Header=BB269_542 Depth=1
	s_or_b32 exec_lo, exec_lo, s18
.LBB269_632:                            ;   in Loop: Header=BB269_542 Depth=1
	s_or_b32 exec_lo, exec_lo, s17
	s_mov_b32 s17, exec_lo
	v_cmpx_lt_u32_e32 0xffffff, v9
	s_cbranch_execz .LBB269_640
; %bb.633:                              ;   in Loop: Header=BB269_542 Depth=1
	v_lshrrev_b32_e32 v1, 24, v9
	v_bfrev_b32_e32 v47, 1
	s_mov_b32 s18, exec_lo
	v_cmpx_ne_u32_e32 0x80, v1
	s_cbranch_execz .LBB269_639
; %bb.634:                              ;   in Loop: Header=BB269_542 Depth=1
	v_and_b32_e32 v50, 0x7f, v1
	v_mov_b32_e32 v47, 0x7c010000
	s_mov_b32 s19, exec_lo
	v_cmpx_ne_u32_e32 0x7f, v50
	s_cbranch_execz .LBB269_638
; %bb.635:                              ;   in Loop: Header=BB269_542 Depth=1
	v_and_b32_e32 v47, 7, v1
	v_lshrrev_b32_e32 v49, 3, v50
	s_mov_b32 s22, exec_lo
	v_cmpx_gt_u32_e32 8, v50
; %bb.636:                              ;   in Loop: Header=BB269_542 Depth=1
	v_ffbh_u32_e32 v47, v47
	v_min_u32_e32 v47, 32, v47
	v_subrev_nc_u32_e32 v49, 28, v47
	v_lshlrev_b64 v[50:51], v49, v[1:2]
	v_sub_nc_u32_e32 v49, 29, v47
	v_and_b32_e32 v47, 7, v50
; %bb.637:                              ;   in Loop: Header=BB269_542 Depth=1
	s_or_b32 exec_lo, exec_lo, s22
	v_lshlrev_b32_e32 v1, 8, v1
	v_lshl_add_u32 v49, v49, 10, 0x2000
	v_lshlrev_b32_e32 v47, 23, v47
	v_and_or_b32 v1, 0x8000, v1, v49
	v_lshl_or_b32 v47, v1, 16, v47
.LBB269_638:                            ;   in Loop: Header=BB269_542 Depth=1
	s_or_b32 exec_lo, exec_lo, s19
.LBB269_639:                            ;   in Loop: Header=BB269_542 Depth=1
	s_or_b32 exec_lo, exec_lo, s18
.LBB269_640:                            ;   in Loop: Header=BB269_542 Depth=1
	s_or_b32 exec_lo, exec_lo, s17
	v_mov_b32_e32 v1, v10
	v_cmp_ne_u16_sdwa s1, v10, v2 src0_sel:BYTE_0 src1_sel:DWORD
	v_mov_b32_e32 v49, 0
	v_mov_b32_e32 v50, 0
	s_and_saveexec_b32 s17, s1
	s_cbranch_execz .LBB269_648
; %bb.641:                              ;   in Loop: Header=BB269_542 Depth=1
	v_cmp_ne_u16_sdwa s1, v10, v26 src0_sel:BYTE_0 src1_sel:DWORD
	v_mov_b32_e32 v50, 0x8000
	s_and_saveexec_b32 s18, s1
	s_cbranch_execz .LBB269_647
; %bb.642:                              ;   in Loop: Header=BB269_542 Depth=1
	v_and_b32_e32 v52, 0x7f, v10
	v_mov_b32_e32 v50, 0x7c01
	s_mov_b32 s19, exec_lo
	v_cmpx_ne_u32_e32 0x7f, v52
	s_cbranch_execz .LBB269_646
; %bb.643:                              ;   in Loop: Header=BB269_542 Depth=1
	v_and_b32_e32 v50, 7, v10
	v_lshrrev_b32_e32 v51, 3, v52
	s_mov_b32 s22, exec_lo
	v_cmpx_gt_u32_e32 8, v52
; %bb.644:                              ;   in Loop: Header=BB269_542 Depth=1
	v_ffbh_u32_e32 v50, v50
	v_min_u32_e32 v52, 32, v50
	v_subrev_nc_u32_e32 v50, 28, v52
	v_lshlrev_b64 v[50:51], v50, v[1:2]
	v_sub_nc_u32_e32 v51, 29, v52
	v_and_b32_e32 v50, 7, v50
; %bb.645:                              ;   in Loop: Header=BB269_542 Depth=1
	s_or_b32 exec_lo, exec_lo, s22
	v_lshlrev_b32_e32 v52, 8, v10
	v_lshl_add_u32 v51, v51, 10, 0x2000
	v_lshlrev_b32_e32 v50, 7, v50
	v_and_b32_e32 v52, 0x8000, v52
	v_and_b32_e32 v51, 0xfc00, v51
	v_or3_b32 v50, v52, v51, v50
.LBB269_646:                            ;   in Loop: Header=BB269_542 Depth=1
	s_or_b32 exec_lo, exec_lo, s19
.LBB269_647:                            ;   in Loop: Header=BB269_542 Depth=1
	s_or_b32 exec_lo, exec_lo, s18
.LBB269_648:                            ;   in Loop: Header=BB269_542 Depth=1
	s_or_b32 exec_lo, exec_lo, s17
	v_lshrrev_b16 v1, 8, v1
	v_mov_b32_e32 v51, 0
	s_mov_b32 s17, exec_lo
	v_cmpx_ne_u16_e32 0, v1
	s_cbranch_execz .LBB269_656
; %bb.649:                              ;   in Loop: Header=BB269_542 Depth=1
	v_bfrev_b32_e32 v51, 1
	s_mov_b32 s18, exec_lo
	v_cmpx_ne_u16_e32 0x80, v1
	s_cbranch_execz .LBB269_655
; %bb.650:                              ;   in Loop: Header=BB269_542 Depth=1
	v_and_b32_sdwa v53, v1, v27 dst_sel:DWORD dst_unused:UNUSED_PAD src0_sel:WORD_0 src1_sel:DWORD
	v_mov_b32_e32 v51, 0x7c010000
	s_mov_b32 s19, exec_lo
	v_cmpx_ne_u32_e32 0x7f, v53
	s_cbranch_execz .LBB269_654
; %bb.651:                              ;   in Loop: Header=BB269_542 Depth=1
	v_and_b32_sdwa v51, v1, v28 dst_sel:DWORD dst_unused:UNUSED_PAD src0_sel:WORD_0 src1_sel:DWORD
	v_lshrrev_b32_e32 v52, 3, v53
	s_mov_b32 s22, exec_lo
	v_cmpx_gt_u32_e32 8, v53
; %bb.652:                              ;   in Loop: Header=BB269_542 Depth=1
	v_ffbh_u32_e32 v51, v51
	v_min_u32_e32 v53, 32, v51
	v_subrev_nc_u32_e32 v51, 28, v53
	v_lshlrev_b64 v[51:52], v51, v[1:2]
	v_sub_nc_u32_e32 v52, 29, v53
	v_and_b32_e32 v51, 7, v51
; %bb.653:                              ;   in Loop: Header=BB269_542 Depth=1
	s_or_b32 exec_lo, exec_lo, s22
	v_lshlrev_b32_sdwa v1, v29, v1 dst_sel:DWORD dst_unused:UNUSED_PAD src0_sel:DWORD src1_sel:WORD_0
	v_lshl_add_u32 v52, v52, 10, 0x2000
	v_lshlrev_b32_e32 v51, 23, v51
	v_and_or_b32 v1, 0x8000, v1, v52
	v_lshl_or_b32 v51, v1, 16, v51
.LBB269_654:                            ;   in Loop: Header=BB269_542 Depth=1
	s_or_b32 exec_lo, exec_lo, s19
.LBB269_655:                            ;   in Loop: Header=BB269_542 Depth=1
	s_or_b32 exec_lo, exec_lo, s18
.LBB269_656:                            ;   in Loop: Header=BB269_542 Depth=1
	s_or_b32 exec_lo, exec_lo, s17
	v_lshrrev_b32_e32 v1, 16, v10
	v_cmp_ne_u16_sdwa s1, v1, v2 src0_sel:BYTE_0 src1_sel:DWORD
	s_and_saveexec_b32 s17, s1
	s_cbranch_execz .LBB269_664
; %bb.657:                              ;   in Loop: Header=BB269_542 Depth=1
	v_cmp_ne_u16_sdwa s1, v1, v26 src0_sel:BYTE_0 src1_sel:DWORD
	v_mov_b32_e32 v49, 0x8000
	s_and_saveexec_b32 s18, s1
	s_cbranch_execz .LBB269_663
; %bb.658:                              ;   in Loop: Header=BB269_542 Depth=1
	v_bfe_u32 v53, v10, 16, 7
	v_mov_b32_e32 v49, 0x7c01
	s_mov_b32 s19, exec_lo
	v_cmpx_ne_u32_e32 0x7f, v53
	s_cbranch_execz .LBB269_662
; %bb.659:                              ;   in Loop: Header=BB269_542 Depth=1
	v_and_b32_e32 v49, 7, v1
	v_lshrrev_b32_e32 v52, 3, v53
	s_mov_b32 s22, exec_lo
	v_cmpx_gt_u32_e32 8, v53
; %bb.660:                              ;   in Loop: Header=BB269_542 Depth=1
	v_ffbh_u32_e32 v49, v49
	v_min_u32_e32 v49, 32, v49
	v_subrev_nc_u32_e32 v52, 28, v49
	v_lshlrev_b64 v[53:54], v52, v[1:2]
	v_sub_nc_u32_e32 v52, 29, v49
	v_and_b32_e32 v49, 7, v53
; %bb.661:                              ;   in Loop: Header=BB269_542 Depth=1
	s_or_b32 exec_lo, exec_lo, s22
	v_lshlrev_b32_e32 v1, 8, v1
	v_lshl_add_u32 v52, v52, 10, 0x2000
	v_lshlrev_b32_e32 v49, 7, v49
	v_and_b32_e32 v1, 0x8000, v1
	v_and_b32_e32 v52, 0xfc00, v52
	v_or3_b32 v49, v1, v52, v49
.LBB269_662:                            ;   in Loop: Header=BB269_542 Depth=1
	s_or_b32 exec_lo, exec_lo, s19
.LBB269_663:                            ;   in Loop: Header=BB269_542 Depth=1
	s_or_b32 exec_lo, exec_lo, s18
.LBB269_664:                            ;   in Loop: Header=BB269_542 Depth=1
	s_or_b32 exec_lo, exec_lo, s17
	v_cmp_lt_u64_e64 s1, s[2:3], v[9:10]
	v_mov_b32_e32 v9, 0
	s_and_saveexec_b32 s17, s1
	s_cbranch_execz .LBB269_672
; %bb.665:                              ;   in Loop: Header=BB269_542 Depth=1
	v_lshrrev_b32_e32 v1, 24, v10
	v_bfrev_b32_e32 v9, 1
	s_mov_b32 s18, exec_lo
	v_cmpx_ne_u32_e32 0x80, v1
	s_cbranch_execz .LBB269_671
; %bb.666:                              ;   in Loop: Header=BB269_542 Depth=1
	v_and_b32_e32 v52, 0x7f, v1
	v_mov_b32_e32 v9, 0x7c010000
	s_mov_b32 s19, exec_lo
	v_cmpx_ne_u32_e32 0x7f, v52
	s_cbranch_execz .LBB269_670
; %bb.667:                              ;   in Loop: Header=BB269_542 Depth=1
	v_and_b32_e32 v9, 7, v1
	v_lshrrev_b32_e32 v10, 3, v52
	s_mov_b32 s22, exec_lo
	v_cmpx_gt_u32_e32 8, v52
; %bb.668:                              ;   in Loop: Header=BB269_542 Depth=1
	v_ffbh_u32_e32 v9, v9
	v_min_u32_e32 v52, 32, v9
	v_subrev_nc_u32_e32 v9, 28, v52
	v_lshlrev_b64 v[9:10], v9, v[1:2]
	v_sub_nc_u32_e32 v10, 29, v52
	v_and_b32_e32 v9, 7, v9
; %bb.669:                              ;   in Loop: Header=BB269_542 Depth=1
	s_or_b32 exec_lo, exec_lo, s22
	v_lshlrev_b32_e32 v1, 8, v1
	v_lshl_add_u32 v10, v10, 10, 0x2000
	v_lshlrev_b32_e32 v9, 23, v9
	v_and_or_b32 v1, 0x8000, v1, v10
	v_lshl_or_b32 v9, v1, 16, v9
.LBB269_670:                            ;   in Loop: Header=BB269_542 Depth=1
	s_or_b32 exec_lo, exec_lo, s19
.LBB269_671:                            ;   in Loop: Header=BB269_542 Depth=1
	s_or_b32 exec_lo, exec_lo, s18
.LBB269_672:                            ;   in Loop: Header=BB269_542 Depth=1
	s_or_b32 exec_lo, exec_lo, s17
	v_or_b32_e32 v1, v47, v48
	s_waitcnt vmcnt(0)
	v_fma_mixlo_f16 v10, v44, v47, 0 op_sel:[0,1,0] op_sel_hi:[0,1,0]
	v_or_b32_e32 v47, v45, v46
	v_fma_mixlo_f16 v45, v44, v45, 0 op_sel:[0,1,0] op_sel_hi:[0,1,0]
	v_or_b32_e32 v48, v51, v50
	v_or_b32_e32 v49, v9, v49
	v_fma_mixlo_f16 v50, v44, v1, 0 op_sel_hi:[0,1,0]
	v_fma_mixlo_f16 v9, v44, v9, 0 op_sel:[0,1,0] op_sel_hi:[0,1,0]
	v_lshlrev_b32_e32 v46, 16, v45
	v_fma_mixlo_f16 v45, v44, v47, 0 op_sel_hi:[0,1,0]
	v_fma_mixlo_f16 v47, v44, v51, 0 op_sel:[0,1,0] op_sel_hi:[0,1,0]
	v_fma_mixlo_f16 v48, v44, v48, 0 op_sel_hi:[0,1,0]
	v_fma_mixlo_f16 v49, v44, v49, 0 op_sel_hi:[0,1,0]
	v_lshlrev_b32_e32 v1, 16, v10
	v_and_b32_e32 v10, 0xffff, v50
	v_and_b32_e32 v52, 0xffff, v45
	v_lshlrev_b32_e32 v44, 16, v47
	v_and_b32_e32 v48, 0xffff, v48
	v_lshlrev_b32_e32 v9, 16, v9
	v_and_b32_e32 v45, 0xffff, v49
	v_or_b32_e32 v47, v1, v10
	v_or_b32_e32 v51, v46, v52
	;; [unrolled: 1-line block ×4, first 2 shown]
	s_and_saveexec_b32 s17, vcc_lo
	s_cbranch_execz .LBB269_674
; %bb.673:                              ;   in Loop: Header=BB269_542 Depth=1
	v_cmp_gt_i32_e64 s1, s11, v31
	v_cndmask_b32_e64 v47, 0, v52, s1
	v_cmp_gt_i32_e64 s1, s11, v37
	v_cndmask_b32_e64 v46, 0, v46, s1
	v_cmp_gt_i32_e64 s1, s11, v36
	v_or_b32_e32 v51, v46, v47
	v_cndmask_b32_e64 v10, 0, v10, s1
	v_cmp_gt_i32_e64 s1, s11, v35
	v_cndmask_b32_e64 v1, 0, v1, s1
	v_cmp_gt_i32_e64 s1, s11, v34
	v_or_b32_e32 v47, v1, v10
	;; [unrolled: 5-line block ×3, first 2 shown]
	v_cndmask_b32_e64 v45, 0, v45, s1
	v_cmp_gt_i32_e64 s1, s11, v25
	v_cndmask_b32_e64 v9, 0, v9, s1
	v_or_b32_e32 v49, v9, v45
.LBB269_674:                            ;   in Loop: Header=BB269_542 Depth=1
	s_or_b32 exec_lo, exec_lo, s17
	;;#ASMSTART
	v_pk_mul_f16 v1, v42, v51;

	;;#ASMEND
	;;#ASMSTART
	v_pk_mul_f16 v9, v40, v47;

	;;#ASMEND
	;; [unrolled: 4-line block ×4, first 2 shown]
	;;#ASMSTART
	v_pk_add_f16 v1, v1, v9;

	;;#ASMEND
	;;#ASMSTART
	v_pk_add_f16 v1, v1, v10;

	;;#ASMEND
	;; [unrolled: 4-line block ×3, first 2 shown]
	v_and_b32_e32 v9, 0xffff, v1
	v_lshrrev_b32_e32 v1, 16, v1
	;;#ASMSTART
	v_cvt_f32_f16 v44, v9;
	;;#ASMEND
	;;#ASMSTART
	v_cvt_f32_f16 v45, v1;
	;;#ASMEND
	global_load_dwordx2 v[9:10], v[7:8], off offset:512
	v_mov_b32_e32 v47, 0
	v_mov_b32_e32 v48, 0
	global_load_dword v46, v47, s[14:15]
	s_waitcnt vmcnt(1)
	v_cmp_ne_u16_sdwa s1, v9, v2 src0_sel:BYTE_0 src1_sel:DWORD
	s_and_saveexec_b32 s17, s1
	s_cbranch_execz .LBB269_682
; %bb.675:                              ;   in Loop: Header=BB269_542 Depth=1
	v_cmp_ne_u16_sdwa s1, v9, v26 src0_sel:BYTE_0 src1_sel:DWORD
	v_mov_b32_e32 v48, 0x8000
	s_and_saveexec_b32 s18, s1
	s_cbranch_execz .LBB269_681
; %bb.676:                              ;   in Loop: Header=BB269_542 Depth=1
	v_and_b32_e32 v49, 0x7f, v9
	v_mov_b32_e32 v48, 0x7c01
	s_mov_b32 s19, exec_lo
	v_cmpx_ne_u32_e32 0x7f, v49
	s_cbranch_execz .LBB269_680
; %bb.677:                              ;   in Loop: Header=BB269_542 Depth=1
	v_and_b32_e32 v1, 7, v9
	v_lshrrev_b32_e32 v48, 3, v49
	s_mov_b32 s22, exec_lo
	v_cmpx_gt_u32_e32 8, v49
; %bb.678:                              ;   in Loop: Header=BB269_542 Depth=1
	v_ffbh_u32_e32 v1, v1
	v_min_u32_e32 v1, 32, v1
	v_subrev_nc_u32_e32 v48, 28, v1
	v_lshlrev_b64 v[49:50], v48, v[9:10]
	v_sub_nc_u32_e32 v48, 29, v1
	v_and_b32_e32 v1, 7, v49
; %bb.679:                              ;   in Loop: Header=BB269_542 Depth=1
	s_or_b32 exec_lo, exec_lo, s22
	v_lshlrev_b32_e32 v49, 8, v9
	v_lshl_add_u32 v48, v48, 10, 0x2000
	v_lshlrev_b32_e32 v1, 7, v1
	v_and_b32_e32 v49, 0x8000, v49
	v_and_b32_e32 v48, 0xfc00, v48
	v_or3_b32 v48, v49, v48, v1
.LBB269_680:                            ;   in Loop: Header=BB269_542 Depth=1
	s_or_b32 exec_lo, exec_lo, s19
.LBB269_681:                            ;   in Loop: Header=BB269_542 Depth=1
	s_or_b32 exec_lo, exec_lo, s18
.LBB269_682:                            ;   in Loop: Header=BB269_542 Depth=1
	s_or_b32 exec_lo, exec_lo, s17
	v_lshrrev_b16 v1, 8, v9
	s_mov_b32 s17, exec_lo
	v_cmpx_ne_u16_e32 0, v1
	s_cbranch_execz .LBB269_690
; %bb.683:                              ;   in Loop: Header=BB269_542 Depth=1
	v_bfrev_b32_e32 v47, 1
	s_mov_b32 s18, exec_lo
	v_cmpx_ne_u16_e32 0x80, v1
	s_cbranch_execz .LBB269_689
; %bb.684:                              ;   in Loop: Header=BB269_542 Depth=1
	v_and_b32_sdwa v50, v1, v27 dst_sel:DWORD dst_unused:UNUSED_PAD src0_sel:WORD_0 src1_sel:DWORD
	v_mov_b32_e32 v47, 0x7c010000
	s_mov_b32 s19, exec_lo
	v_cmpx_ne_u32_e32 0x7f, v50
	s_cbranch_execz .LBB269_688
; %bb.685:                              ;   in Loop: Header=BB269_542 Depth=1
	v_and_b32_sdwa v47, v1, v28 dst_sel:DWORD dst_unused:UNUSED_PAD src0_sel:WORD_0 src1_sel:DWORD
	v_lshrrev_b32_e32 v49, 3, v50
	s_mov_b32 s22, exec_lo
	v_cmpx_gt_u32_e32 8, v50
; %bb.686:                              ;   in Loop: Header=BB269_542 Depth=1
	v_ffbh_u32_e32 v47, v47
	v_min_u32_e32 v47, 32, v47
	v_subrev_nc_u32_e32 v49, 28, v47
	v_lshlrev_b64 v[50:51], v49, v[1:2]
	v_sub_nc_u32_e32 v49, 29, v47
	v_and_b32_e32 v47, 7, v50
; %bb.687:                              ;   in Loop: Header=BB269_542 Depth=1
	s_or_b32 exec_lo, exec_lo, s22
	v_lshlrev_b32_sdwa v1, v29, v1 dst_sel:DWORD dst_unused:UNUSED_PAD src0_sel:DWORD src1_sel:WORD_0
	v_lshl_add_u32 v49, v49, 10, 0x2000
	v_lshlrev_b32_e32 v47, 23, v47
	v_and_or_b32 v1, 0x8000, v1, v49
	v_lshl_or_b32 v47, v1, 16, v47
.LBB269_688:                            ;   in Loop: Header=BB269_542 Depth=1
	s_or_b32 exec_lo, exec_lo, s19
.LBB269_689:                            ;   in Loop: Header=BB269_542 Depth=1
	s_or_b32 exec_lo, exec_lo, s18
.LBB269_690:                            ;   in Loop: Header=BB269_542 Depth=1
	s_or_b32 exec_lo, exec_lo, s17
	v_lshrrev_b32_e32 v1, 16, v9
	v_mov_b32_e32 v49, 0
	v_mov_b32_e32 v50, 0
	v_cmp_ne_u16_sdwa s1, v1, v2 src0_sel:BYTE_0 src1_sel:DWORD
	s_and_saveexec_b32 s17, s1
	s_cbranch_execz .LBB269_698
; %bb.691:                              ;   in Loop: Header=BB269_542 Depth=1
	v_cmp_ne_u16_sdwa s1, v1, v26 src0_sel:BYTE_0 src1_sel:DWORD
	v_mov_b32_e32 v50, 0x8000
	s_and_saveexec_b32 s18, s1
	s_cbranch_execz .LBB269_697
; %bb.692:                              ;   in Loop: Header=BB269_542 Depth=1
	v_bfe_u32 v52, v9, 16, 7
	v_mov_b32_e32 v50, 0x7c01
	s_mov_b32 s19, exec_lo
	v_cmpx_ne_u32_e32 0x7f, v52
	s_cbranch_execz .LBB269_696
; %bb.693:                              ;   in Loop: Header=BB269_542 Depth=1
	v_and_b32_e32 v50, 7, v1
	v_lshrrev_b32_e32 v51, 3, v52
	s_mov_b32 s22, exec_lo
	v_cmpx_gt_u32_e32 8, v52
; %bb.694:                              ;   in Loop: Header=BB269_542 Depth=1
	v_ffbh_u32_e32 v50, v50
	v_min_u32_e32 v52, 32, v50
	v_subrev_nc_u32_e32 v50, 28, v52
	v_lshlrev_b64 v[50:51], v50, v[1:2]
	v_sub_nc_u32_e32 v51, 29, v52
	v_and_b32_e32 v50, 7, v50
; %bb.695:                              ;   in Loop: Header=BB269_542 Depth=1
	s_or_b32 exec_lo, exec_lo, s22
	v_lshlrev_b32_e32 v1, 8, v1
	v_lshl_add_u32 v51, v51, 10, 0x2000
	v_lshlrev_b32_e32 v50, 7, v50
	v_and_b32_e32 v1, 0x8000, v1
	v_and_b32_e32 v51, 0xfc00, v51
	v_or3_b32 v50, v1, v51, v50
.LBB269_696:                            ;   in Loop: Header=BB269_542 Depth=1
	s_or_b32 exec_lo, exec_lo, s19
.LBB269_697:                            ;   in Loop: Header=BB269_542 Depth=1
	s_or_b32 exec_lo, exec_lo, s18
.LBB269_698:                            ;   in Loop: Header=BB269_542 Depth=1
	s_or_b32 exec_lo, exec_lo, s17
	s_mov_b32 s17, exec_lo
	v_cmpx_lt_u32_e32 0xffffff, v9
	s_cbranch_execz .LBB269_706
; %bb.699:                              ;   in Loop: Header=BB269_542 Depth=1
	v_lshrrev_b32_e32 v1, 24, v9
	v_bfrev_b32_e32 v49, 1
	s_mov_b32 s18, exec_lo
	v_cmpx_ne_u32_e32 0x80, v1
	s_cbranch_execz .LBB269_705
; %bb.700:                              ;   in Loop: Header=BB269_542 Depth=1
	v_and_b32_e32 v52, 0x7f, v1
	v_mov_b32_e32 v49, 0x7c010000
	s_mov_b32 s19, exec_lo
	v_cmpx_ne_u32_e32 0x7f, v52
	s_cbranch_execz .LBB269_704
; %bb.701:                              ;   in Loop: Header=BB269_542 Depth=1
	v_and_b32_e32 v49, 7, v1
	v_lshrrev_b32_e32 v51, 3, v52
	s_mov_b32 s22, exec_lo
	v_cmpx_gt_u32_e32 8, v52
; %bb.702:                              ;   in Loop: Header=BB269_542 Depth=1
	v_ffbh_u32_e32 v49, v49
	v_min_u32_e32 v49, 32, v49
	v_subrev_nc_u32_e32 v51, 28, v49
	v_lshlrev_b64 v[52:53], v51, v[1:2]
	v_sub_nc_u32_e32 v51, 29, v49
	v_and_b32_e32 v49, 7, v52
; %bb.703:                              ;   in Loop: Header=BB269_542 Depth=1
	s_or_b32 exec_lo, exec_lo, s22
	v_lshlrev_b32_e32 v1, 8, v1
	v_lshl_add_u32 v51, v51, 10, 0x2000
	v_lshlrev_b32_e32 v49, 23, v49
	v_and_or_b32 v1, 0x8000, v1, v51
	v_lshl_or_b32 v49, v1, 16, v49
.LBB269_704:                            ;   in Loop: Header=BB269_542 Depth=1
	s_or_b32 exec_lo, exec_lo, s19
.LBB269_705:                            ;   in Loop: Header=BB269_542 Depth=1
	s_or_b32 exec_lo, exec_lo, s18
.LBB269_706:                            ;   in Loop: Header=BB269_542 Depth=1
	s_or_b32 exec_lo, exec_lo, s17
	v_mov_b32_e32 v1, v10
	v_cmp_ne_u16_sdwa s1, v10, v2 src0_sel:BYTE_0 src1_sel:DWORD
	v_mov_b32_e32 v51, 0
	v_mov_b32_e32 v52, 0
	s_and_saveexec_b32 s17, s1
	s_cbranch_execz .LBB269_714
; %bb.707:                              ;   in Loop: Header=BB269_542 Depth=1
	v_cmp_ne_u16_sdwa s1, v10, v26 src0_sel:BYTE_0 src1_sel:DWORD
	v_mov_b32_e32 v52, 0x8000
	s_and_saveexec_b32 s18, s1
	s_cbranch_execz .LBB269_713
; %bb.708:                              ;   in Loop: Header=BB269_542 Depth=1
	v_and_b32_e32 v54, 0x7f, v10
	v_mov_b32_e32 v52, 0x7c01
	s_mov_b32 s19, exec_lo
	v_cmpx_ne_u32_e32 0x7f, v54
	s_cbranch_execz .LBB269_712
; %bb.709:                              ;   in Loop: Header=BB269_542 Depth=1
	v_and_b32_e32 v52, 7, v10
	v_lshrrev_b32_e32 v53, 3, v54
	s_mov_b32 s22, exec_lo
	v_cmpx_gt_u32_e32 8, v54
; %bb.710:                              ;   in Loop: Header=BB269_542 Depth=1
	v_ffbh_u32_e32 v52, v52
	v_min_u32_e32 v54, 32, v52
	v_subrev_nc_u32_e32 v52, 28, v54
	v_lshlrev_b64 v[52:53], v52, v[1:2]
	v_sub_nc_u32_e32 v53, 29, v54
	v_and_b32_e32 v52, 7, v52
; %bb.711:                              ;   in Loop: Header=BB269_542 Depth=1
	s_or_b32 exec_lo, exec_lo, s22
	v_lshlrev_b32_e32 v54, 8, v10
	v_lshl_add_u32 v53, v53, 10, 0x2000
	v_lshlrev_b32_e32 v52, 7, v52
	v_and_b32_e32 v54, 0x8000, v54
	v_and_b32_e32 v53, 0xfc00, v53
	v_or3_b32 v52, v54, v53, v52
.LBB269_712:                            ;   in Loop: Header=BB269_542 Depth=1
	s_or_b32 exec_lo, exec_lo, s19
.LBB269_713:                            ;   in Loop: Header=BB269_542 Depth=1
	s_or_b32 exec_lo, exec_lo, s18
.LBB269_714:                            ;   in Loop: Header=BB269_542 Depth=1
	s_or_b32 exec_lo, exec_lo, s17
	v_lshrrev_b16 v1, 8, v1
	v_mov_b32_e32 v53, 0
	s_mov_b32 s17, exec_lo
	v_cmpx_ne_u16_e32 0, v1
	s_cbranch_execz .LBB269_722
; %bb.715:                              ;   in Loop: Header=BB269_542 Depth=1
	v_bfrev_b32_e32 v53, 1
	s_mov_b32 s18, exec_lo
	v_cmpx_ne_u16_e32 0x80, v1
	s_cbranch_execz .LBB269_721
; %bb.716:                              ;   in Loop: Header=BB269_542 Depth=1
	v_and_b32_sdwa v55, v1, v27 dst_sel:DWORD dst_unused:UNUSED_PAD src0_sel:WORD_0 src1_sel:DWORD
	v_mov_b32_e32 v53, 0x7c010000
	s_mov_b32 s19, exec_lo
	v_cmpx_ne_u32_e32 0x7f, v55
	s_cbranch_execz .LBB269_720
; %bb.717:                              ;   in Loop: Header=BB269_542 Depth=1
	v_and_b32_sdwa v53, v1, v28 dst_sel:DWORD dst_unused:UNUSED_PAD src0_sel:WORD_0 src1_sel:DWORD
	v_lshrrev_b32_e32 v54, 3, v55
	s_mov_b32 s22, exec_lo
	v_cmpx_gt_u32_e32 8, v55
; %bb.718:                              ;   in Loop: Header=BB269_542 Depth=1
	v_ffbh_u32_e32 v53, v53
	v_min_u32_e32 v55, 32, v53
	v_subrev_nc_u32_e32 v53, 28, v55
	v_lshlrev_b64 v[53:54], v53, v[1:2]
	v_sub_nc_u32_e32 v54, 29, v55
	v_and_b32_e32 v53, 7, v53
; %bb.719:                              ;   in Loop: Header=BB269_542 Depth=1
	s_or_b32 exec_lo, exec_lo, s22
	v_lshlrev_b32_sdwa v1, v29, v1 dst_sel:DWORD dst_unused:UNUSED_PAD src0_sel:DWORD src1_sel:WORD_0
	v_lshl_add_u32 v54, v54, 10, 0x2000
	v_lshlrev_b32_e32 v53, 23, v53
	v_and_or_b32 v1, 0x8000, v1, v54
	v_lshl_or_b32 v53, v1, 16, v53
.LBB269_720:                            ;   in Loop: Header=BB269_542 Depth=1
	s_or_b32 exec_lo, exec_lo, s19
.LBB269_721:                            ;   in Loop: Header=BB269_542 Depth=1
	s_or_b32 exec_lo, exec_lo, s18
.LBB269_722:                            ;   in Loop: Header=BB269_542 Depth=1
	s_or_b32 exec_lo, exec_lo, s17
	v_lshrrev_b32_e32 v1, 16, v10
	v_cmp_ne_u16_sdwa s1, v1, v2 src0_sel:BYTE_0 src1_sel:DWORD
	s_and_saveexec_b32 s17, s1
	s_cbranch_execz .LBB269_730
; %bb.723:                              ;   in Loop: Header=BB269_542 Depth=1
	v_cmp_ne_u16_sdwa s1, v1, v26 src0_sel:BYTE_0 src1_sel:DWORD
	v_mov_b32_e32 v51, 0x8000
	s_and_saveexec_b32 s18, s1
	s_cbranch_execz .LBB269_729
; %bb.724:                              ;   in Loop: Header=BB269_542 Depth=1
	v_bfe_u32 v55, v10, 16, 7
	v_mov_b32_e32 v51, 0x7c01
	s_mov_b32 s19, exec_lo
	v_cmpx_ne_u32_e32 0x7f, v55
	s_cbranch_execz .LBB269_728
; %bb.725:                              ;   in Loop: Header=BB269_542 Depth=1
	v_and_b32_e32 v51, 7, v1
	v_lshrrev_b32_e32 v54, 3, v55
	s_mov_b32 s22, exec_lo
	v_cmpx_gt_u32_e32 8, v55
; %bb.726:                              ;   in Loop: Header=BB269_542 Depth=1
	v_ffbh_u32_e32 v51, v51
	v_min_u32_e32 v51, 32, v51
	v_subrev_nc_u32_e32 v54, 28, v51
	v_lshlrev_b64 v[55:56], v54, v[1:2]
	v_sub_nc_u32_e32 v54, 29, v51
	v_and_b32_e32 v51, 7, v55
; %bb.727:                              ;   in Loop: Header=BB269_542 Depth=1
	s_or_b32 exec_lo, exec_lo, s22
	v_lshlrev_b32_e32 v1, 8, v1
	v_lshl_add_u32 v54, v54, 10, 0x2000
	v_lshlrev_b32_e32 v51, 7, v51
	v_and_b32_e32 v1, 0x8000, v1
	v_and_b32_e32 v54, 0xfc00, v54
	v_or3_b32 v51, v1, v54, v51
.LBB269_728:                            ;   in Loop: Header=BB269_542 Depth=1
	s_or_b32 exec_lo, exec_lo, s19
.LBB269_729:                            ;   in Loop: Header=BB269_542 Depth=1
	s_or_b32 exec_lo, exec_lo, s18
.LBB269_730:                            ;   in Loop: Header=BB269_542 Depth=1
	s_or_b32 exec_lo, exec_lo, s17
	v_cmp_lt_u64_e64 s1, s[2:3], v[9:10]
	v_mov_b32_e32 v9, 0
	s_and_saveexec_b32 s17, s1
	s_cbranch_execz .LBB269_738
; %bb.731:                              ;   in Loop: Header=BB269_542 Depth=1
	v_lshrrev_b32_e32 v1, 24, v10
	v_bfrev_b32_e32 v9, 1
	s_mov_b32 s18, exec_lo
	v_cmpx_ne_u32_e32 0x80, v1
	s_cbranch_execz .LBB269_737
; %bb.732:                              ;   in Loop: Header=BB269_542 Depth=1
	v_and_b32_e32 v54, 0x7f, v1
	v_mov_b32_e32 v9, 0x7c010000
	s_mov_b32 s19, exec_lo
	v_cmpx_ne_u32_e32 0x7f, v54
	s_cbranch_execz .LBB269_736
; %bb.733:                              ;   in Loop: Header=BB269_542 Depth=1
	v_and_b32_e32 v9, 7, v1
	v_lshrrev_b32_e32 v10, 3, v54
	s_mov_b32 s22, exec_lo
	v_cmpx_gt_u32_e32 8, v54
; %bb.734:                              ;   in Loop: Header=BB269_542 Depth=1
	v_ffbh_u32_e32 v9, v9
	v_min_u32_e32 v54, 32, v9
	v_subrev_nc_u32_e32 v9, 28, v54
	v_lshlrev_b64 v[9:10], v9, v[1:2]
	v_sub_nc_u32_e32 v10, 29, v54
	v_and_b32_e32 v9, 7, v9
; %bb.735:                              ;   in Loop: Header=BB269_542 Depth=1
	s_or_b32 exec_lo, exec_lo, s22
	v_lshlrev_b32_e32 v1, 8, v1
	v_lshl_add_u32 v10, v10, 10, 0x2000
	v_lshlrev_b32_e32 v9, 23, v9
	v_and_or_b32 v1, 0x8000, v1, v10
	v_lshl_or_b32 v9, v1, 16, v9
.LBB269_736:                            ;   in Loop: Header=BB269_542 Depth=1
	s_or_b32 exec_lo, exec_lo, s19
.LBB269_737:                            ;   in Loop: Header=BB269_542 Depth=1
	s_or_b32 exec_lo, exec_lo, s18
.LBB269_738:                            ;   in Loop: Header=BB269_542 Depth=1
	s_or_b32 exec_lo, exec_lo, s17
	v_or_b32_e32 v1, v49, v50
	s_waitcnt vmcnt(0)
	v_fma_mixlo_f16 v10, v46, v49, 0 op_sel:[0,1,0] op_sel_hi:[0,1,0]
	v_or_b32_e32 v49, v47, v48
	v_fma_mixlo_f16 v47, v46, v47, 0 op_sel:[0,1,0] op_sel_hi:[0,1,0]
	v_or_b32_e32 v50, v53, v52
	v_or_b32_e32 v51, v9, v51
	v_fma_mixlo_f16 v52, v46, v1, 0 op_sel_hi:[0,1,0]
	v_fma_mixlo_f16 v9, v46, v9, 0 op_sel:[0,1,0] op_sel_hi:[0,1,0]
	v_lshlrev_b32_e32 v48, 16, v47
	v_fma_mixlo_f16 v47, v46, v49, 0 op_sel_hi:[0,1,0]
	v_fma_mixlo_f16 v49, v46, v53, 0 op_sel:[0,1,0] op_sel_hi:[0,1,0]
	v_fma_mixlo_f16 v50, v46, v50, 0 op_sel_hi:[0,1,0]
	v_fma_mixlo_f16 v51, v46, v51, 0 op_sel_hi:[0,1,0]
	v_lshlrev_b32_e32 v1, 16, v10
	v_and_b32_e32 v10, 0xffff, v52
	v_and_b32_e32 v54, 0xffff, v47
	v_lshlrev_b32_e32 v46, 16, v49
	v_and_b32_e32 v50, 0xffff, v50
	v_lshlrev_b32_e32 v9, 16, v9
	v_and_b32_e32 v47, 0xffff, v51
	v_or_b32_e32 v49, v1, v10
	v_or_b32_e32 v53, v48, v54
	;; [unrolled: 1-line block ×4, first 2 shown]
	s_and_saveexec_b32 s17, vcc_lo
	s_cbranch_execz .LBB269_740
; %bb.739:                              ;   in Loop: Header=BB269_542 Depth=1
	v_cmp_gt_i32_e64 s1, s11, v31
	v_cndmask_b32_e64 v49, 0, v54, s1
	v_cmp_gt_i32_e64 s1, s11, v37
	v_cndmask_b32_e64 v48, 0, v48, s1
	v_cmp_gt_i32_e64 s1, s11, v36
	v_or_b32_e32 v53, v48, v49
	v_cndmask_b32_e64 v10, 0, v10, s1
	v_cmp_gt_i32_e64 s1, s11, v35
	v_cndmask_b32_e64 v1, 0, v1, s1
	v_cmp_gt_i32_e64 s1, s11, v34
	v_or_b32_e32 v49, v1, v10
	;; [unrolled: 5-line block ×3, first 2 shown]
	v_cndmask_b32_e64 v47, 0, v47, s1
	v_cmp_gt_i32_e64 s1, s11, v25
	v_cndmask_b32_e64 v9, 0, v9, s1
	v_or_b32_e32 v51, v9, v47
.LBB269_740:                            ;   in Loop: Header=BB269_542 Depth=1
	s_or_b32 exec_lo, exec_lo, s17
	;;#ASMSTART
	v_pk_mul_f16 v1, v42, v53;

	;;#ASMEND
	;;#ASMSTART
	v_pk_mul_f16 v9, v40, v49;

	;;#ASMEND
	;;#ASMSTART
	v_pk_mul_f16 v10, v39, v52;

	;;#ASMEND
	;;#ASMSTART
	v_pk_mul_f16 v46, v38, v51;

	;;#ASMEND
	;;#ASMSTART
	v_pk_add_f16 v1, v1, v9;

	;;#ASMEND
	;;#ASMSTART
	v_pk_add_f16 v1, v1, v10;

	;;#ASMEND
	;; [unrolled: 4-line block ×3, first 2 shown]
	v_and_b32_e32 v9, 0xffff, v1
	v_lshrrev_b32_e32 v1, 16, v1
	;;#ASMSTART
	v_cvt_f32_f16 v46, v9;
	;;#ASMEND
	;;#ASMSTART
	v_cvt_f32_f16 v47, v1;
	;;#ASMEND
	global_load_dwordx2 v[9:10], v[7:8], off offset:768
	v_mov_b32_e32 v49, 0
	v_mov_b32_e32 v50, 0
	global_load_dword v48, v49, s[14:15]
	s_waitcnt vmcnt(1)
	v_cmp_ne_u16_sdwa s1, v9, v2 src0_sel:BYTE_0 src1_sel:DWORD
	s_and_saveexec_b32 s17, s1
	s_cbranch_execz .LBB269_748
; %bb.741:                              ;   in Loop: Header=BB269_542 Depth=1
	v_cmp_ne_u16_sdwa s1, v9, v26 src0_sel:BYTE_0 src1_sel:DWORD
	v_mov_b32_e32 v50, 0x8000
	s_and_saveexec_b32 s18, s1
	s_cbranch_execz .LBB269_747
; %bb.742:                              ;   in Loop: Header=BB269_542 Depth=1
	v_and_b32_e32 v51, 0x7f, v9
	v_mov_b32_e32 v50, 0x7c01
	s_mov_b32 s19, exec_lo
	v_cmpx_ne_u32_e32 0x7f, v51
	s_cbranch_execz .LBB269_746
; %bb.743:                              ;   in Loop: Header=BB269_542 Depth=1
	v_and_b32_e32 v1, 7, v9
	v_lshrrev_b32_e32 v50, 3, v51
	s_mov_b32 s22, exec_lo
	v_cmpx_gt_u32_e32 8, v51
; %bb.744:                              ;   in Loop: Header=BB269_542 Depth=1
	v_ffbh_u32_e32 v1, v1
	v_min_u32_e32 v1, 32, v1
	v_subrev_nc_u32_e32 v50, 28, v1
	v_lshlrev_b64 v[51:52], v50, v[9:10]
	v_sub_nc_u32_e32 v50, 29, v1
	v_and_b32_e32 v1, 7, v51
; %bb.745:                              ;   in Loop: Header=BB269_542 Depth=1
	s_or_b32 exec_lo, exec_lo, s22
	v_lshlrev_b32_e32 v51, 8, v9
	v_lshl_add_u32 v50, v50, 10, 0x2000
	v_lshlrev_b32_e32 v1, 7, v1
	v_and_b32_e32 v51, 0x8000, v51
	v_and_b32_e32 v50, 0xfc00, v50
	v_or3_b32 v50, v51, v50, v1
.LBB269_746:                            ;   in Loop: Header=BB269_542 Depth=1
	s_or_b32 exec_lo, exec_lo, s19
.LBB269_747:                            ;   in Loop: Header=BB269_542 Depth=1
	s_or_b32 exec_lo, exec_lo, s18
.LBB269_748:                            ;   in Loop: Header=BB269_542 Depth=1
	s_or_b32 exec_lo, exec_lo, s17
	v_lshrrev_b16 v1, 8, v9
	s_mov_b32 s17, exec_lo
	v_cmpx_ne_u16_e32 0, v1
	s_cbranch_execz .LBB269_756
; %bb.749:                              ;   in Loop: Header=BB269_542 Depth=1
	v_bfrev_b32_e32 v49, 1
	s_mov_b32 s18, exec_lo
	v_cmpx_ne_u16_e32 0x80, v1
	s_cbranch_execz .LBB269_755
; %bb.750:                              ;   in Loop: Header=BB269_542 Depth=1
	v_and_b32_sdwa v52, v1, v27 dst_sel:DWORD dst_unused:UNUSED_PAD src0_sel:WORD_0 src1_sel:DWORD
	v_mov_b32_e32 v49, 0x7c010000
	s_mov_b32 s19, exec_lo
	v_cmpx_ne_u32_e32 0x7f, v52
	s_cbranch_execz .LBB269_754
; %bb.751:                              ;   in Loop: Header=BB269_542 Depth=1
	v_and_b32_sdwa v49, v1, v28 dst_sel:DWORD dst_unused:UNUSED_PAD src0_sel:WORD_0 src1_sel:DWORD
	v_lshrrev_b32_e32 v51, 3, v52
	s_mov_b32 s22, exec_lo
	v_cmpx_gt_u32_e32 8, v52
; %bb.752:                              ;   in Loop: Header=BB269_542 Depth=1
	v_ffbh_u32_e32 v49, v49
	v_min_u32_e32 v49, 32, v49
	v_subrev_nc_u32_e32 v51, 28, v49
	v_lshlrev_b64 v[52:53], v51, v[1:2]
	v_sub_nc_u32_e32 v51, 29, v49
	v_and_b32_e32 v49, 7, v52
; %bb.753:                              ;   in Loop: Header=BB269_542 Depth=1
	s_or_b32 exec_lo, exec_lo, s22
	v_lshlrev_b32_sdwa v1, v29, v1 dst_sel:DWORD dst_unused:UNUSED_PAD src0_sel:DWORD src1_sel:WORD_0
	v_lshl_add_u32 v51, v51, 10, 0x2000
	v_lshlrev_b32_e32 v49, 23, v49
	v_and_or_b32 v1, 0x8000, v1, v51
	v_lshl_or_b32 v49, v1, 16, v49
.LBB269_754:                            ;   in Loop: Header=BB269_542 Depth=1
	s_or_b32 exec_lo, exec_lo, s19
.LBB269_755:                            ;   in Loop: Header=BB269_542 Depth=1
	s_or_b32 exec_lo, exec_lo, s18
.LBB269_756:                            ;   in Loop: Header=BB269_542 Depth=1
	s_or_b32 exec_lo, exec_lo, s17
	v_lshrrev_b32_e32 v1, 16, v9
	v_mov_b32_e32 v51, 0
	v_mov_b32_e32 v52, 0
	v_cmp_ne_u16_sdwa s1, v1, v2 src0_sel:BYTE_0 src1_sel:DWORD
	s_and_saveexec_b32 s17, s1
	s_cbranch_execz .LBB269_764
; %bb.757:                              ;   in Loop: Header=BB269_542 Depth=1
	v_cmp_ne_u16_sdwa s1, v1, v26 src0_sel:BYTE_0 src1_sel:DWORD
	v_mov_b32_e32 v52, 0x8000
	s_and_saveexec_b32 s18, s1
	s_cbranch_execz .LBB269_763
; %bb.758:                              ;   in Loop: Header=BB269_542 Depth=1
	v_bfe_u32 v54, v9, 16, 7
	v_mov_b32_e32 v52, 0x7c01
	s_mov_b32 s19, exec_lo
	v_cmpx_ne_u32_e32 0x7f, v54
	s_cbranch_execz .LBB269_762
; %bb.759:                              ;   in Loop: Header=BB269_542 Depth=1
	v_and_b32_e32 v52, 7, v1
	v_lshrrev_b32_e32 v53, 3, v54
	s_mov_b32 s22, exec_lo
	v_cmpx_gt_u32_e32 8, v54
; %bb.760:                              ;   in Loop: Header=BB269_542 Depth=1
	v_ffbh_u32_e32 v52, v52
	v_min_u32_e32 v54, 32, v52
	v_subrev_nc_u32_e32 v52, 28, v54
	v_lshlrev_b64 v[52:53], v52, v[1:2]
	v_sub_nc_u32_e32 v53, 29, v54
	v_and_b32_e32 v52, 7, v52
; %bb.761:                              ;   in Loop: Header=BB269_542 Depth=1
	s_or_b32 exec_lo, exec_lo, s22
	v_lshlrev_b32_e32 v1, 8, v1
	v_lshl_add_u32 v53, v53, 10, 0x2000
	v_lshlrev_b32_e32 v52, 7, v52
	v_and_b32_e32 v1, 0x8000, v1
	v_and_b32_e32 v53, 0xfc00, v53
	v_or3_b32 v52, v1, v53, v52
.LBB269_762:                            ;   in Loop: Header=BB269_542 Depth=1
	s_or_b32 exec_lo, exec_lo, s19
.LBB269_763:                            ;   in Loop: Header=BB269_542 Depth=1
	s_or_b32 exec_lo, exec_lo, s18
.LBB269_764:                            ;   in Loop: Header=BB269_542 Depth=1
	s_or_b32 exec_lo, exec_lo, s17
	s_mov_b32 s17, exec_lo
	v_cmpx_lt_u32_e32 0xffffff, v9
	s_cbranch_execz .LBB269_772
; %bb.765:                              ;   in Loop: Header=BB269_542 Depth=1
	v_lshrrev_b32_e32 v1, 24, v9
	v_bfrev_b32_e32 v51, 1
	s_mov_b32 s18, exec_lo
	v_cmpx_ne_u32_e32 0x80, v1
	s_cbranch_execz .LBB269_771
; %bb.766:                              ;   in Loop: Header=BB269_542 Depth=1
	v_and_b32_e32 v54, 0x7f, v1
	v_mov_b32_e32 v51, 0x7c010000
	s_mov_b32 s19, exec_lo
	v_cmpx_ne_u32_e32 0x7f, v54
	s_cbranch_execz .LBB269_770
; %bb.767:                              ;   in Loop: Header=BB269_542 Depth=1
	v_and_b32_e32 v51, 7, v1
	v_lshrrev_b32_e32 v53, 3, v54
	s_mov_b32 s22, exec_lo
	v_cmpx_gt_u32_e32 8, v54
; %bb.768:                              ;   in Loop: Header=BB269_542 Depth=1
	v_ffbh_u32_e32 v51, v51
	v_min_u32_e32 v51, 32, v51
	v_subrev_nc_u32_e32 v53, 28, v51
	v_lshlrev_b64 v[54:55], v53, v[1:2]
	v_sub_nc_u32_e32 v53, 29, v51
	v_and_b32_e32 v51, 7, v54
; %bb.769:                              ;   in Loop: Header=BB269_542 Depth=1
	s_or_b32 exec_lo, exec_lo, s22
	v_lshlrev_b32_e32 v1, 8, v1
	v_lshl_add_u32 v53, v53, 10, 0x2000
	v_lshlrev_b32_e32 v51, 23, v51
	v_and_or_b32 v1, 0x8000, v1, v53
	v_lshl_or_b32 v51, v1, 16, v51
.LBB269_770:                            ;   in Loop: Header=BB269_542 Depth=1
	s_or_b32 exec_lo, exec_lo, s19
.LBB269_771:                            ;   in Loop: Header=BB269_542 Depth=1
	s_or_b32 exec_lo, exec_lo, s18
.LBB269_772:                            ;   in Loop: Header=BB269_542 Depth=1
	s_or_b32 exec_lo, exec_lo, s17
	v_mov_b32_e32 v1, v10
	v_cmp_ne_u16_sdwa s1, v10, v2 src0_sel:BYTE_0 src1_sel:DWORD
	v_mov_b32_e32 v53, 0
	v_mov_b32_e32 v54, 0
	s_and_saveexec_b32 s17, s1
	s_cbranch_execz .LBB269_780
; %bb.773:                              ;   in Loop: Header=BB269_542 Depth=1
	v_cmp_ne_u16_sdwa s1, v10, v26 src0_sel:BYTE_0 src1_sel:DWORD
	v_mov_b32_e32 v54, 0x8000
	s_and_saveexec_b32 s18, s1
	s_cbranch_execz .LBB269_779
; %bb.774:                              ;   in Loop: Header=BB269_542 Depth=1
	v_and_b32_e32 v56, 0x7f, v10
	v_mov_b32_e32 v54, 0x7c01
	s_mov_b32 s19, exec_lo
	v_cmpx_ne_u32_e32 0x7f, v56
	s_cbranch_execz .LBB269_778
; %bb.775:                              ;   in Loop: Header=BB269_542 Depth=1
	v_and_b32_e32 v54, 7, v10
	v_lshrrev_b32_e32 v55, 3, v56
	s_mov_b32 s22, exec_lo
	v_cmpx_gt_u32_e32 8, v56
; %bb.776:                              ;   in Loop: Header=BB269_542 Depth=1
	v_ffbh_u32_e32 v54, v54
	v_min_u32_e32 v56, 32, v54
	v_subrev_nc_u32_e32 v54, 28, v56
	v_lshlrev_b64 v[54:55], v54, v[1:2]
	v_sub_nc_u32_e32 v55, 29, v56
	v_and_b32_e32 v54, 7, v54
; %bb.777:                              ;   in Loop: Header=BB269_542 Depth=1
	s_or_b32 exec_lo, exec_lo, s22
	v_lshlrev_b32_e32 v56, 8, v10
	v_lshl_add_u32 v55, v55, 10, 0x2000
	v_lshlrev_b32_e32 v54, 7, v54
	v_and_b32_e32 v56, 0x8000, v56
	v_and_b32_e32 v55, 0xfc00, v55
	v_or3_b32 v54, v56, v55, v54
.LBB269_778:                            ;   in Loop: Header=BB269_542 Depth=1
	s_or_b32 exec_lo, exec_lo, s19
.LBB269_779:                            ;   in Loop: Header=BB269_542 Depth=1
	s_or_b32 exec_lo, exec_lo, s18
.LBB269_780:                            ;   in Loop: Header=BB269_542 Depth=1
	s_or_b32 exec_lo, exec_lo, s17
	v_lshrrev_b16 v1, 8, v1
	v_mov_b32_e32 v55, 0
	s_mov_b32 s17, exec_lo
	v_cmpx_ne_u16_e32 0, v1
	s_cbranch_execz .LBB269_788
; %bb.781:                              ;   in Loop: Header=BB269_542 Depth=1
	v_bfrev_b32_e32 v55, 1
	s_mov_b32 s18, exec_lo
	v_cmpx_ne_u16_e32 0x80, v1
	s_cbranch_execz .LBB269_787
; %bb.782:                              ;   in Loop: Header=BB269_542 Depth=1
	v_and_b32_sdwa v57, v1, v27 dst_sel:DWORD dst_unused:UNUSED_PAD src0_sel:WORD_0 src1_sel:DWORD
	v_mov_b32_e32 v55, 0x7c010000
	s_mov_b32 s19, exec_lo
	v_cmpx_ne_u32_e32 0x7f, v57
	s_cbranch_execz .LBB269_786
; %bb.783:                              ;   in Loop: Header=BB269_542 Depth=1
	v_and_b32_sdwa v55, v1, v28 dst_sel:DWORD dst_unused:UNUSED_PAD src0_sel:WORD_0 src1_sel:DWORD
	v_lshrrev_b32_e32 v56, 3, v57
	s_mov_b32 s22, exec_lo
	v_cmpx_gt_u32_e32 8, v57
; %bb.784:                              ;   in Loop: Header=BB269_542 Depth=1
	v_ffbh_u32_e32 v55, v55
	v_min_u32_e32 v57, 32, v55
	v_subrev_nc_u32_e32 v55, 28, v57
	v_lshlrev_b64 v[55:56], v55, v[1:2]
	v_sub_nc_u32_e32 v56, 29, v57
	v_and_b32_e32 v55, 7, v55
; %bb.785:                              ;   in Loop: Header=BB269_542 Depth=1
	s_or_b32 exec_lo, exec_lo, s22
	v_lshlrev_b32_sdwa v1, v29, v1 dst_sel:DWORD dst_unused:UNUSED_PAD src0_sel:DWORD src1_sel:WORD_0
	v_lshl_add_u32 v56, v56, 10, 0x2000
	v_lshlrev_b32_e32 v55, 23, v55
	v_and_or_b32 v1, 0x8000, v1, v56
	v_lshl_or_b32 v55, v1, 16, v55
.LBB269_786:                            ;   in Loop: Header=BB269_542 Depth=1
	s_or_b32 exec_lo, exec_lo, s19
.LBB269_787:                            ;   in Loop: Header=BB269_542 Depth=1
	s_or_b32 exec_lo, exec_lo, s18
.LBB269_788:                            ;   in Loop: Header=BB269_542 Depth=1
	s_or_b32 exec_lo, exec_lo, s17
	v_lshrrev_b32_e32 v1, 16, v10
	v_cmp_ne_u16_sdwa s1, v1, v2 src0_sel:BYTE_0 src1_sel:DWORD
	s_and_saveexec_b32 s17, s1
	s_cbranch_execz .LBB269_796
; %bb.789:                              ;   in Loop: Header=BB269_542 Depth=1
	v_cmp_ne_u16_sdwa s1, v1, v26 src0_sel:BYTE_0 src1_sel:DWORD
	v_mov_b32_e32 v53, 0x8000
	s_and_saveexec_b32 s18, s1
	s_cbranch_execz .LBB269_795
; %bb.790:                              ;   in Loop: Header=BB269_542 Depth=1
	v_bfe_u32 v57, v10, 16, 7
	v_mov_b32_e32 v53, 0x7c01
	s_mov_b32 s19, exec_lo
	v_cmpx_ne_u32_e32 0x7f, v57
	s_cbranch_execz .LBB269_794
; %bb.791:                              ;   in Loop: Header=BB269_542 Depth=1
	v_and_b32_e32 v53, 7, v1
	v_lshrrev_b32_e32 v56, 3, v57
	s_mov_b32 s22, exec_lo
	v_cmpx_gt_u32_e32 8, v57
; %bb.792:                              ;   in Loop: Header=BB269_542 Depth=1
	v_ffbh_u32_e32 v53, v53
	v_min_u32_e32 v53, 32, v53
	v_subrev_nc_u32_e32 v56, 28, v53
	v_lshlrev_b64 v[57:58], v56, v[1:2]
	v_sub_nc_u32_e32 v56, 29, v53
	v_and_b32_e32 v53, 7, v57
; %bb.793:                              ;   in Loop: Header=BB269_542 Depth=1
	s_or_b32 exec_lo, exec_lo, s22
	v_lshlrev_b32_e32 v1, 8, v1
	v_lshl_add_u32 v56, v56, 10, 0x2000
	v_lshlrev_b32_e32 v53, 7, v53
	v_and_b32_e32 v1, 0x8000, v1
	v_and_b32_e32 v56, 0xfc00, v56
	v_or3_b32 v53, v1, v56, v53
.LBB269_794:                            ;   in Loop: Header=BB269_542 Depth=1
	s_or_b32 exec_lo, exec_lo, s19
.LBB269_795:                            ;   in Loop: Header=BB269_542 Depth=1
	s_or_b32 exec_lo, exec_lo, s18
.LBB269_796:                            ;   in Loop: Header=BB269_542 Depth=1
	s_or_b32 exec_lo, exec_lo, s17
	v_cmp_lt_u64_e64 s1, s[2:3], v[9:10]
	v_mov_b32_e32 v9, 0
	s_and_saveexec_b32 s17, s1
	s_cbranch_execz .LBB269_804
; %bb.797:                              ;   in Loop: Header=BB269_542 Depth=1
	v_lshrrev_b32_e32 v1, 24, v10
	v_bfrev_b32_e32 v9, 1
	s_mov_b32 s18, exec_lo
	v_cmpx_ne_u32_e32 0x80, v1
	s_cbranch_execz .LBB269_803
; %bb.798:                              ;   in Loop: Header=BB269_542 Depth=1
	v_and_b32_e32 v56, 0x7f, v1
	v_mov_b32_e32 v9, 0x7c010000
	s_mov_b32 s19, exec_lo
	v_cmpx_ne_u32_e32 0x7f, v56
	s_cbranch_execz .LBB269_802
; %bb.799:                              ;   in Loop: Header=BB269_542 Depth=1
	v_and_b32_e32 v9, 7, v1
	v_lshrrev_b32_e32 v10, 3, v56
	s_mov_b32 s22, exec_lo
	v_cmpx_gt_u32_e32 8, v56
; %bb.800:                              ;   in Loop: Header=BB269_542 Depth=1
	v_ffbh_u32_e32 v9, v9
	v_min_u32_e32 v56, 32, v9
	v_subrev_nc_u32_e32 v9, 28, v56
	v_lshlrev_b64 v[9:10], v9, v[1:2]
	v_sub_nc_u32_e32 v10, 29, v56
	v_and_b32_e32 v9, 7, v9
; %bb.801:                              ;   in Loop: Header=BB269_542 Depth=1
	s_or_b32 exec_lo, exec_lo, s22
	v_lshlrev_b32_e32 v1, 8, v1
	v_lshl_add_u32 v10, v10, 10, 0x2000
	v_lshlrev_b32_e32 v9, 23, v9
	v_and_or_b32 v1, 0x8000, v1, v10
	v_lshl_or_b32 v9, v1, 16, v9
.LBB269_802:                            ;   in Loop: Header=BB269_542 Depth=1
	s_or_b32 exec_lo, exec_lo, s19
.LBB269_803:                            ;   in Loop: Header=BB269_542 Depth=1
	s_or_b32 exec_lo, exec_lo, s18
.LBB269_804:                            ;   in Loop: Header=BB269_542 Depth=1
	s_or_b32 exec_lo, exec_lo, s17
	v_or_b32_e32 v1, v51, v52
	s_waitcnt vmcnt(0)
	v_fma_mixlo_f16 v10, v48, v51, 0 op_sel:[0,1,0] op_sel_hi:[0,1,0]
	v_or_b32_e32 v51, v49, v50
	v_fma_mixlo_f16 v49, v48, v49, 0 op_sel:[0,1,0] op_sel_hi:[0,1,0]
	v_or_b32_e32 v52, v55, v54
	v_or_b32_e32 v53, v9, v53
	v_fma_mixlo_f16 v54, v48, v1, 0 op_sel_hi:[0,1,0]
	v_fma_mixlo_f16 v9, v48, v9, 0 op_sel:[0,1,0] op_sel_hi:[0,1,0]
	v_lshlrev_b32_e32 v50, 16, v49
	v_fma_mixlo_f16 v49, v48, v51, 0 op_sel_hi:[0,1,0]
	v_fma_mixlo_f16 v51, v48, v55, 0 op_sel:[0,1,0] op_sel_hi:[0,1,0]
	v_fma_mixlo_f16 v52, v48, v52, 0 op_sel_hi:[0,1,0]
	v_fma_mixlo_f16 v53, v48, v53, 0 op_sel_hi:[0,1,0]
	v_lshlrev_b32_e32 v1, 16, v10
	v_and_b32_e32 v10, 0xffff, v54
	v_and_b32_e32 v56, 0xffff, v49
	v_lshlrev_b32_e32 v48, 16, v51
	v_and_b32_e32 v52, 0xffff, v52
	v_lshlrev_b32_e32 v9, 16, v9
	v_and_b32_e32 v49, 0xffff, v53
	v_or_b32_e32 v51, v1, v10
	v_or_b32_e32 v55, v50, v56
	v_or_b32_e32 v54, v48, v52
	v_or_b32_e32 v53, v9, v49
	s_and_saveexec_b32 s17, vcc_lo
	s_cbranch_execz .LBB269_806
; %bb.805:                              ;   in Loop: Header=BB269_542 Depth=1
	v_cmp_gt_i32_e64 s1, s11, v31
	v_cndmask_b32_e64 v51, 0, v56, s1
	v_cmp_gt_i32_e64 s1, s11, v37
	v_cndmask_b32_e64 v50, 0, v50, s1
	v_cmp_gt_i32_e64 s1, s11, v36
	v_or_b32_e32 v55, v50, v51
	v_cndmask_b32_e64 v10, 0, v10, s1
	v_cmp_gt_i32_e64 s1, s11, v35
	v_cndmask_b32_e64 v1, 0, v1, s1
	v_cmp_gt_i32_e64 s1, s11, v34
	v_or_b32_e32 v51, v1, v10
	v_cndmask_b32_e64 v52, 0, v52, s1
	v_cmp_gt_i32_e64 s1, s11, v33
	v_cndmask_b32_e64 v48, 0, v48, s1
	v_cmp_gt_i32_e64 s1, s11, v32
	v_or_b32_e32 v54, v48, v52
	v_cndmask_b32_e64 v49, 0, v49, s1
	v_cmp_gt_i32_e64 s1, s11, v25
	v_cndmask_b32_e64 v9, 0, v9, s1
	v_or_b32_e32 v53, v9, v49
.LBB269_806:                            ;   in Loop: Header=BB269_542 Depth=1
	s_or_b32 exec_lo, exec_lo, s17
	;;#ASMSTART
	v_pk_mul_f16 v1, v42, v55;

	;;#ASMEND
	;;#ASMSTART
	v_pk_mul_f16 v9, v40, v51;

	;;#ASMEND
	;;#ASMSTART
	v_pk_mul_f16 v10, v39, v54;

	;;#ASMEND
	;;#ASMSTART
	v_pk_mul_f16 v48, v38, v53;

	;;#ASMEND
	;;#ASMSTART
	v_pk_add_f16 v1, v1, v9;

	;;#ASMEND
	;;#ASMSTART
	v_pk_add_f16 v1, v1, v10;

	;;#ASMEND
	;; [unrolled: 4-line block ×3, first 2 shown]
	v_and_b32_e32 v9, 0xffff, v1
	v_lshrrev_b32_e32 v1, 16, v1
	;;#ASMSTART
	v_cvt_f32_f16 v48, v9;
	;;#ASMEND
	;;#ASMSTART
	v_cvt_f32_f16 v49, v1;
	;;#ASMEND
	global_load_dwordx2 v[9:10], v[7:8], off offset:1024
	v_mov_b32_e32 v51, 0
	v_mov_b32_e32 v52, 0
	global_load_dword v50, v51, s[14:15]
	s_waitcnt vmcnt(1)
	v_cmp_ne_u16_sdwa s1, v9, v2 src0_sel:BYTE_0 src1_sel:DWORD
	s_and_saveexec_b32 s17, s1
	s_cbranch_execz .LBB269_814
; %bb.807:                              ;   in Loop: Header=BB269_542 Depth=1
	v_cmp_ne_u16_sdwa s1, v9, v26 src0_sel:BYTE_0 src1_sel:DWORD
	v_mov_b32_e32 v52, 0x8000
	s_and_saveexec_b32 s18, s1
	s_cbranch_execz .LBB269_813
; %bb.808:                              ;   in Loop: Header=BB269_542 Depth=1
	v_and_b32_e32 v53, 0x7f, v9
	v_mov_b32_e32 v52, 0x7c01
	s_mov_b32 s19, exec_lo
	v_cmpx_ne_u32_e32 0x7f, v53
	s_cbranch_execz .LBB269_812
; %bb.809:                              ;   in Loop: Header=BB269_542 Depth=1
	v_and_b32_e32 v1, 7, v9
	v_lshrrev_b32_e32 v52, 3, v53
	s_mov_b32 s22, exec_lo
	v_cmpx_gt_u32_e32 8, v53
; %bb.810:                              ;   in Loop: Header=BB269_542 Depth=1
	v_ffbh_u32_e32 v1, v1
	v_min_u32_e32 v1, 32, v1
	v_subrev_nc_u32_e32 v52, 28, v1
	v_lshlrev_b64 v[53:54], v52, v[9:10]
	v_sub_nc_u32_e32 v52, 29, v1
	v_and_b32_e32 v1, 7, v53
; %bb.811:                              ;   in Loop: Header=BB269_542 Depth=1
	s_or_b32 exec_lo, exec_lo, s22
	v_lshlrev_b32_e32 v53, 8, v9
	v_lshl_add_u32 v52, v52, 10, 0x2000
	v_lshlrev_b32_e32 v1, 7, v1
	v_and_b32_e32 v53, 0x8000, v53
	v_and_b32_e32 v52, 0xfc00, v52
	v_or3_b32 v52, v53, v52, v1
.LBB269_812:                            ;   in Loop: Header=BB269_542 Depth=1
	s_or_b32 exec_lo, exec_lo, s19
.LBB269_813:                            ;   in Loop: Header=BB269_542 Depth=1
	s_or_b32 exec_lo, exec_lo, s18
.LBB269_814:                            ;   in Loop: Header=BB269_542 Depth=1
	s_or_b32 exec_lo, exec_lo, s17
	v_lshrrev_b16 v1, 8, v9
	s_mov_b32 s17, exec_lo
	v_cmpx_ne_u16_e32 0, v1
	s_cbranch_execz .LBB269_822
; %bb.815:                              ;   in Loop: Header=BB269_542 Depth=1
	v_bfrev_b32_e32 v51, 1
	s_mov_b32 s18, exec_lo
	v_cmpx_ne_u16_e32 0x80, v1
	s_cbranch_execz .LBB269_821
; %bb.816:                              ;   in Loop: Header=BB269_542 Depth=1
	v_and_b32_sdwa v54, v1, v27 dst_sel:DWORD dst_unused:UNUSED_PAD src0_sel:WORD_0 src1_sel:DWORD
	v_mov_b32_e32 v51, 0x7c010000
	s_mov_b32 s19, exec_lo
	v_cmpx_ne_u32_e32 0x7f, v54
	s_cbranch_execz .LBB269_820
; %bb.817:                              ;   in Loop: Header=BB269_542 Depth=1
	v_and_b32_sdwa v51, v1, v28 dst_sel:DWORD dst_unused:UNUSED_PAD src0_sel:WORD_0 src1_sel:DWORD
	v_lshrrev_b32_e32 v53, 3, v54
	s_mov_b32 s22, exec_lo
	v_cmpx_gt_u32_e32 8, v54
; %bb.818:                              ;   in Loop: Header=BB269_542 Depth=1
	v_ffbh_u32_e32 v51, v51
	v_min_u32_e32 v51, 32, v51
	v_subrev_nc_u32_e32 v53, 28, v51
	v_lshlrev_b64 v[54:55], v53, v[1:2]
	v_sub_nc_u32_e32 v53, 29, v51
	v_and_b32_e32 v51, 7, v54
; %bb.819:                              ;   in Loop: Header=BB269_542 Depth=1
	s_or_b32 exec_lo, exec_lo, s22
	v_lshlrev_b32_sdwa v1, v29, v1 dst_sel:DWORD dst_unused:UNUSED_PAD src0_sel:DWORD src1_sel:WORD_0
	v_lshl_add_u32 v53, v53, 10, 0x2000
	v_lshlrev_b32_e32 v51, 23, v51
	v_and_or_b32 v1, 0x8000, v1, v53
	v_lshl_or_b32 v51, v1, 16, v51
.LBB269_820:                            ;   in Loop: Header=BB269_542 Depth=1
	s_or_b32 exec_lo, exec_lo, s19
.LBB269_821:                            ;   in Loop: Header=BB269_542 Depth=1
	s_or_b32 exec_lo, exec_lo, s18
.LBB269_822:                            ;   in Loop: Header=BB269_542 Depth=1
	s_or_b32 exec_lo, exec_lo, s17
	v_lshrrev_b32_e32 v1, 16, v9
	v_mov_b32_e32 v53, 0
	v_mov_b32_e32 v54, 0
	v_cmp_ne_u16_sdwa s1, v1, v2 src0_sel:BYTE_0 src1_sel:DWORD
	s_and_saveexec_b32 s17, s1
	s_cbranch_execz .LBB269_830
; %bb.823:                              ;   in Loop: Header=BB269_542 Depth=1
	v_cmp_ne_u16_sdwa s1, v1, v26 src0_sel:BYTE_0 src1_sel:DWORD
	v_mov_b32_e32 v54, 0x8000
	s_and_saveexec_b32 s18, s1
	s_cbranch_execz .LBB269_829
; %bb.824:                              ;   in Loop: Header=BB269_542 Depth=1
	v_bfe_u32 v56, v9, 16, 7
	v_mov_b32_e32 v54, 0x7c01
	s_mov_b32 s19, exec_lo
	v_cmpx_ne_u32_e32 0x7f, v56
	s_cbranch_execz .LBB269_828
; %bb.825:                              ;   in Loop: Header=BB269_542 Depth=1
	v_and_b32_e32 v54, 7, v1
	v_lshrrev_b32_e32 v55, 3, v56
	s_mov_b32 s22, exec_lo
	v_cmpx_gt_u32_e32 8, v56
; %bb.826:                              ;   in Loop: Header=BB269_542 Depth=1
	v_ffbh_u32_e32 v54, v54
	v_min_u32_e32 v56, 32, v54
	v_subrev_nc_u32_e32 v54, 28, v56
	v_lshlrev_b64 v[54:55], v54, v[1:2]
	v_sub_nc_u32_e32 v55, 29, v56
	v_and_b32_e32 v54, 7, v54
; %bb.827:                              ;   in Loop: Header=BB269_542 Depth=1
	s_or_b32 exec_lo, exec_lo, s22
	v_lshlrev_b32_e32 v1, 8, v1
	v_lshl_add_u32 v55, v55, 10, 0x2000
	v_lshlrev_b32_e32 v54, 7, v54
	v_and_b32_e32 v1, 0x8000, v1
	v_and_b32_e32 v55, 0xfc00, v55
	v_or3_b32 v54, v1, v55, v54
.LBB269_828:                            ;   in Loop: Header=BB269_542 Depth=1
	s_or_b32 exec_lo, exec_lo, s19
.LBB269_829:                            ;   in Loop: Header=BB269_542 Depth=1
	s_or_b32 exec_lo, exec_lo, s18
.LBB269_830:                            ;   in Loop: Header=BB269_542 Depth=1
	s_or_b32 exec_lo, exec_lo, s17
	s_mov_b32 s17, exec_lo
	v_cmpx_lt_u32_e32 0xffffff, v9
	s_cbranch_execz .LBB269_838
; %bb.831:                              ;   in Loop: Header=BB269_542 Depth=1
	v_lshrrev_b32_e32 v1, 24, v9
	v_bfrev_b32_e32 v53, 1
	s_mov_b32 s18, exec_lo
	v_cmpx_ne_u32_e32 0x80, v1
	s_cbranch_execz .LBB269_837
; %bb.832:                              ;   in Loop: Header=BB269_542 Depth=1
	v_and_b32_e32 v56, 0x7f, v1
	v_mov_b32_e32 v53, 0x7c010000
	s_mov_b32 s19, exec_lo
	v_cmpx_ne_u32_e32 0x7f, v56
	s_cbranch_execz .LBB269_836
; %bb.833:                              ;   in Loop: Header=BB269_542 Depth=1
	v_and_b32_e32 v53, 7, v1
	v_lshrrev_b32_e32 v55, 3, v56
	s_mov_b32 s22, exec_lo
	v_cmpx_gt_u32_e32 8, v56
; %bb.834:                              ;   in Loop: Header=BB269_542 Depth=1
	v_ffbh_u32_e32 v53, v53
	v_min_u32_e32 v53, 32, v53
	v_subrev_nc_u32_e32 v55, 28, v53
	v_lshlrev_b64 v[56:57], v55, v[1:2]
	v_sub_nc_u32_e32 v55, 29, v53
	v_and_b32_e32 v53, 7, v56
; %bb.835:                              ;   in Loop: Header=BB269_542 Depth=1
	s_or_b32 exec_lo, exec_lo, s22
	v_lshlrev_b32_e32 v1, 8, v1
	v_lshl_add_u32 v55, v55, 10, 0x2000
	v_lshlrev_b32_e32 v53, 23, v53
	v_and_or_b32 v1, 0x8000, v1, v55
	v_lshl_or_b32 v53, v1, 16, v53
.LBB269_836:                            ;   in Loop: Header=BB269_542 Depth=1
	s_or_b32 exec_lo, exec_lo, s19
.LBB269_837:                            ;   in Loop: Header=BB269_542 Depth=1
	s_or_b32 exec_lo, exec_lo, s18
.LBB269_838:                            ;   in Loop: Header=BB269_542 Depth=1
	s_or_b32 exec_lo, exec_lo, s17
	v_mov_b32_e32 v1, v10
	v_cmp_ne_u16_sdwa s1, v10, v2 src0_sel:BYTE_0 src1_sel:DWORD
	v_mov_b32_e32 v55, 0
	v_mov_b32_e32 v56, 0
	s_and_saveexec_b32 s17, s1
	s_cbranch_execz .LBB269_846
; %bb.839:                              ;   in Loop: Header=BB269_542 Depth=1
	v_cmp_ne_u16_sdwa s1, v10, v26 src0_sel:BYTE_0 src1_sel:DWORD
	v_mov_b32_e32 v56, 0x8000
	s_and_saveexec_b32 s18, s1
	s_cbranch_execz .LBB269_845
; %bb.840:                              ;   in Loop: Header=BB269_542 Depth=1
	v_and_b32_e32 v58, 0x7f, v10
	v_mov_b32_e32 v56, 0x7c01
	s_mov_b32 s19, exec_lo
	v_cmpx_ne_u32_e32 0x7f, v58
	s_cbranch_execz .LBB269_844
; %bb.841:                              ;   in Loop: Header=BB269_542 Depth=1
	v_and_b32_e32 v56, 7, v10
	v_lshrrev_b32_e32 v57, 3, v58
	s_mov_b32 s22, exec_lo
	v_cmpx_gt_u32_e32 8, v58
; %bb.842:                              ;   in Loop: Header=BB269_542 Depth=1
	v_ffbh_u32_e32 v56, v56
	v_min_u32_e32 v58, 32, v56
	v_subrev_nc_u32_e32 v56, 28, v58
	v_lshlrev_b64 v[56:57], v56, v[1:2]
	v_sub_nc_u32_e32 v57, 29, v58
	v_and_b32_e32 v56, 7, v56
; %bb.843:                              ;   in Loop: Header=BB269_542 Depth=1
	s_or_b32 exec_lo, exec_lo, s22
	v_lshlrev_b32_e32 v58, 8, v10
	v_lshl_add_u32 v57, v57, 10, 0x2000
	v_lshlrev_b32_e32 v56, 7, v56
	v_and_b32_e32 v58, 0x8000, v58
	v_and_b32_e32 v57, 0xfc00, v57
	v_or3_b32 v56, v58, v57, v56
.LBB269_844:                            ;   in Loop: Header=BB269_542 Depth=1
	s_or_b32 exec_lo, exec_lo, s19
.LBB269_845:                            ;   in Loop: Header=BB269_542 Depth=1
	s_or_b32 exec_lo, exec_lo, s18
.LBB269_846:                            ;   in Loop: Header=BB269_542 Depth=1
	s_or_b32 exec_lo, exec_lo, s17
	v_lshrrev_b16 v1, 8, v1
	v_mov_b32_e32 v57, 0
	s_mov_b32 s17, exec_lo
	v_cmpx_ne_u16_e32 0, v1
	s_cbranch_execz .LBB269_854
; %bb.847:                              ;   in Loop: Header=BB269_542 Depth=1
	v_bfrev_b32_e32 v57, 1
	s_mov_b32 s18, exec_lo
	v_cmpx_ne_u16_e32 0x80, v1
	s_cbranch_execz .LBB269_853
; %bb.848:                              ;   in Loop: Header=BB269_542 Depth=1
	v_and_b32_sdwa v59, v1, v27 dst_sel:DWORD dst_unused:UNUSED_PAD src0_sel:WORD_0 src1_sel:DWORD
	v_mov_b32_e32 v57, 0x7c010000
	s_mov_b32 s19, exec_lo
	v_cmpx_ne_u32_e32 0x7f, v59
	s_cbranch_execz .LBB269_852
; %bb.849:                              ;   in Loop: Header=BB269_542 Depth=1
	v_and_b32_sdwa v57, v1, v28 dst_sel:DWORD dst_unused:UNUSED_PAD src0_sel:WORD_0 src1_sel:DWORD
	v_lshrrev_b32_e32 v58, 3, v59
	s_mov_b32 s22, exec_lo
	v_cmpx_gt_u32_e32 8, v59
; %bb.850:                              ;   in Loop: Header=BB269_542 Depth=1
	v_ffbh_u32_e32 v57, v57
	v_min_u32_e32 v59, 32, v57
	v_subrev_nc_u32_e32 v57, 28, v59
	v_lshlrev_b64 v[57:58], v57, v[1:2]
	v_sub_nc_u32_e32 v58, 29, v59
	v_and_b32_e32 v57, 7, v57
; %bb.851:                              ;   in Loop: Header=BB269_542 Depth=1
	s_or_b32 exec_lo, exec_lo, s22
	v_lshlrev_b32_sdwa v1, v29, v1 dst_sel:DWORD dst_unused:UNUSED_PAD src0_sel:DWORD src1_sel:WORD_0
	v_lshl_add_u32 v58, v58, 10, 0x2000
	v_lshlrev_b32_e32 v57, 23, v57
	v_and_or_b32 v1, 0x8000, v1, v58
	v_lshl_or_b32 v57, v1, 16, v57
.LBB269_852:                            ;   in Loop: Header=BB269_542 Depth=1
	s_or_b32 exec_lo, exec_lo, s19
.LBB269_853:                            ;   in Loop: Header=BB269_542 Depth=1
	s_or_b32 exec_lo, exec_lo, s18
.LBB269_854:                            ;   in Loop: Header=BB269_542 Depth=1
	s_or_b32 exec_lo, exec_lo, s17
	v_lshrrev_b32_e32 v1, 16, v10
	v_cmp_ne_u16_sdwa s1, v1, v2 src0_sel:BYTE_0 src1_sel:DWORD
	s_and_saveexec_b32 s17, s1
	s_cbranch_execz .LBB269_862
; %bb.855:                              ;   in Loop: Header=BB269_542 Depth=1
	v_cmp_ne_u16_sdwa s1, v1, v26 src0_sel:BYTE_0 src1_sel:DWORD
	v_mov_b32_e32 v55, 0x8000
	s_and_saveexec_b32 s18, s1
	s_cbranch_execz .LBB269_861
; %bb.856:                              ;   in Loop: Header=BB269_542 Depth=1
	v_bfe_u32 v59, v10, 16, 7
	v_mov_b32_e32 v55, 0x7c01
	s_mov_b32 s19, exec_lo
	v_cmpx_ne_u32_e32 0x7f, v59
	s_cbranch_execz .LBB269_860
; %bb.857:                              ;   in Loop: Header=BB269_542 Depth=1
	v_and_b32_e32 v55, 7, v1
	v_lshrrev_b32_e32 v58, 3, v59
	s_mov_b32 s22, exec_lo
	v_cmpx_gt_u32_e32 8, v59
; %bb.858:                              ;   in Loop: Header=BB269_542 Depth=1
	v_ffbh_u32_e32 v55, v55
	v_min_u32_e32 v55, 32, v55
	v_subrev_nc_u32_e32 v58, 28, v55
	v_lshlrev_b64 v[59:60], v58, v[1:2]
	v_sub_nc_u32_e32 v58, 29, v55
	v_and_b32_e32 v55, 7, v59
; %bb.859:                              ;   in Loop: Header=BB269_542 Depth=1
	s_or_b32 exec_lo, exec_lo, s22
	v_lshlrev_b32_e32 v1, 8, v1
	v_lshl_add_u32 v58, v58, 10, 0x2000
	v_lshlrev_b32_e32 v55, 7, v55
	v_and_b32_e32 v1, 0x8000, v1
	v_and_b32_e32 v58, 0xfc00, v58
	v_or3_b32 v55, v1, v58, v55
.LBB269_860:                            ;   in Loop: Header=BB269_542 Depth=1
	s_or_b32 exec_lo, exec_lo, s19
.LBB269_861:                            ;   in Loop: Header=BB269_542 Depth=1
	s_or_b32 exec_lo, exec_lo, s18
.LBB269_862:                            ;   in Loop: Header=BB269_542 Depth=1
	s_or_b32 exec_lo, exec_lo, s17
	v_cmp_lt_u64_e64 s1, s[2:3], v[9:10]
	v_mov_b32_e32 v9, 0
	s_and_saveexec_b32 s17, s1
	s_cbranch_execz .LBB269_870
; %bb.863:                              ;   in Loop: Header=BB269_542 Depth=1
	v_lshrrev_b32_e32 v1, 24, v10
	v_bfrev_b32_e32 v9, 1
	s_mov_b32 s18, exec_lo
	v_cmpx_ne_u32_e32 0x80, v1
	s_cbranch_execz .LBB269_869
; %bb.864:                              ;   in Loop: Header=BB269_542 Depth=1
	v_and_b32_e32 v58, 0x7f, v1
	v_mov_b32_e32 v9, 0x7c010000
	s_mov_b32 s19, exec_lo
	v_cmpx_ne_u32_e32 0x7f, v58
	s_cbranch_execz .LBB269_868
; %bb.865:                              ;   in Loop: Header=BB269_542 Depth=1
	v_and_b32_e32 v9, 7, v1
	v_lshrrev_b32_e32 v10, 3, v58
	s_mov_b32 s22, exec_lo
	v_cmpx_gt_u32_e32 8, v58
; %bb.866:                              ;   in Loop: Header=BB269_542 Depth=1
	v_ffbh_u32_e32 v9, v9
	v_min_u32_e32 v58, 32, v9
	v_subrev_nc_u32_e32 v9, 28, v58
	v_lshlrev_b64 v[9:10], v9, v[1:2]
	v_sub_nc_u32_e32 v10, 29, v58
	v_and_b32_e32 v9, 7, v9
; %bb.867:                              ;   in Loop: Header=BB269_542 Depth=1
	s_or_b32 exec_lo, exec_lo, s22
	v_lshlrev_b32_e32 v1, 8, v1
	v_lshl_add_u32 v10, v10, 10, 0x2000
	v_lshlrev_b32_e32 v9, 23, v9
	v_and_or_b32 v1, 0x8000, v1, v10
	v_lshl_or_b32 v9, v1, 16, v9
.LBB269_868:                            ;   in Loop: Header=BB269_542 Depth=1
	s_or_b32 exec_lo, exec_lo, s19
.LBB269_869:                            ;   in Loop: Header=BB269_542 Depth=1
	s_or_b32 exec_lo, exec_lo, s18
.LBB269_870:                            ;   in Loop: Header=BB269_542 Depth=1
	s_or_b32 exec_lo, exec_lo, s17
	v_or_b32_e32 v1, v53, v54
	s_waitcnt vmcnt(0)
	v_fma_mixlo_f16 v10, v50, v53, 0 op_sel:[0,1,0] op_sel_hi:[0,1,0]
	v_or_b32_e32 v53, v51, v52
	v_fma_mixlo_f16 v51, v50, v51, 0 op_sel:[0,1,0] op_sel_hi:[0,1,0]
	v_or_b32_e32 v54, v57, v56
	v_or_b32_e32 v55, v9, v55
	v_fma_mixlo_f16 v56, v50, v1, 0 op_sel_hi:[0,1,0]
	v_fma_mixlo_f16 v9, v50, v9, 0 op_sel:[0,1,0] op_sel_hi:[0,1,0]
	v_lshlrev_b32_e32 v52, 16, v51
	v_fma_mixlo_f16 v51, v50, v53, 0 op_sel_hi:[0,1,0]
	v_fma_mixlo_f16 v53, v50, v57, 0 op_sel:[0,1,0] op_sel_hi:[0,1,0]
	v_fma_mixlo_f16 v54, v50, v54, 0 op_sel_hi:[0,1,0]
	v_fma_mixlo_f16 v55, v50, v55, 0 op_sel_hi:[0,1,0]
	v_lshlrev_b32_e32 v1, 16, v10
	v_and_b32_e32 v10, 0xffff, v56
	v_and_b32_e32 v58, 0xffff, v51
	v_lshlrev_b32_e32 v50, 16, v53
	v_and_b32_e32 v54, 0xffff, v54
	v_lshlrev_b32_e32 v9, 16, v9
	v_and_b32_e32 v51, 0xffff, v55
	v_or_b32_e32 v53, v1, v10
	v_or_b32_e32 v57, v52, v58
	;; [unrolled: 1-line block ×4, first 2 shown]
	s_and_saveexec_b32 s17, vcc_lo
	s_cbranch_execz .LBB269_872
; %bb.871:                              ;   in Loop: Header=BB269_542 Depth=1
	v_cmp_gt_i32_e64 s1, s11, v31
	v_cndmask_b32_e64 v53, 0, v58, s1
	v_cmp_gt_i32_e64 s1, s11, v37
	v_cndmask_b32_e64 v52, 0, v52, s1
	v_cmp_gt_i32_e64 s1, s11, v36
	v_or_b32_e32 v57, v52, v53
	v_cndmask_b32_e64 v10, 0, v10, s1
	v_cmp_gt_i32_e64 s1, s11, v35
	v_cndmask_b32_e64 v1, 0, v1, s1
	v_cmp_gt_i32_e64 s1, s11, v34
	v_or_b32_e32 v53, v1, v10
	v_cndmask_b32_e64 v54, 0, v54, s1
	v_cmp_gt_i32_e64 s1, s11, v33
	v_cndmask_b32_e64 v50, 0, v50, s1
	v_cmp_gt_i32_e64 s1, s11, v32
	v_or_b32_e32 v56, v50, v54
	v_cndmask_b32_e64 v51, 0, v51, s1
	v_cmp_gt_i32_e64 s1, s11, v25
	v_cndmask_b32_e64 v9, 0, v9, s1
	v_or_b32_e32 v55, v9, v51
.LBB269_872:                            ;   in Loop: Header=BB269_542 Depth=1
	s_or_b32 exec_lo, exec_lo, s17
	;;#ASMSTART
	v_pk_mul_f16 v1, v42, v57;

	;;#ASMEND
	;;#ASMSTART
	v_pk_mul_f16 v9, v40, v53;

	;;#ASMEND
	;; [unrolled: 4-line block ×4, first 2 shown]
	;;#ASMSTART
	v_pk_add_f16 v1, v1, v9;

	;;#ASMEND
	;;#ASMSTART
	v_pk_add_f16 v1, v1, v10;

	;;#ASMEND
	;;#ASMSTART
	v_pk_add_f16 v1, v1, v50;

	;;#ASMEND
	v_and_b32_e32 v9, 0xffff, v1
	v_lshrrev_b32_e32 v1, 16, v1
	;;#ASMSTART
	v_cvt_f32_f16 v50, v9;
	;;#ASMEND
	;;#ASMSTART
	v_cvt_f32_f16 v51, v1;
	;;#ASMEND
	global_load_dwordx2 v[9:10], v[7:8], off offset:1280
	v_mov_b32_e32 v53, 0
	v_mov_b32_e32 v54, 0
	global_load_dword v52, v53, s[14:15]
	s_waitcnt vmcnt(1)
	v_cmp_ne_u16_sdwa s1, v9, v2 src0_sel:BYTE_0 src1_sel:DWORD
	s_and_saveexec_b32 s17, s1
	s_cbranch_execz .LBB269_880
; %bb.873:                              ;   in Loop: Header=BB269_542 Depth=1
	v_cmp_ne_u16_sdwa s1, v9, v26 src0_sel:BYTE_0 src1_sel:DWORD
	v_mov_b32_e32 v54, 0x8000
	s_and_saveexec_b32 s18, s1
	s_cbranch_execz .LBB269_879
; %bb.874:                              ;   in Loop: Header=BB269_542 Depth=1
	v_and_b32_e32 v55, 0x7f, v9
	v_mov_b32_e32 v54, 0x7c01
	s_mov_b32 s19, exec_lo
	v_cmpx_ne_u32_e32 0x7f, v55
	s_cbranch_execz .LBB269_878
; %bb.875:                              ;   in Loop: Header=BB269_542 Depth=1
	v_and_b32_e32 v1, 7, v9
	v_lshrrev_b32_e32 v54, 3, v55
	s_mov_b32 s22, exec_lo
	v_cmpx_gt_u32_e32 8, v55
; %bb.876:                              ;   in Loop: Header=BB269_542 Depth=1
	v_ffbh_u32_e32 v1, v1
	v_min_u32_e32 v1, 32, v1
	v_subrev_nc_u32_e32 v54, 28, v1
	v_lshlrev_b64 v[55:56], v54, v[9:10]
	v_sub_nc_u32_e32 v54, 29, v1
	v_and_b32_e32 v1, 7, v55
; %bb.877:                              ;   in Loop: Header=BB269_542 Depth=1
	s_or_b32 exec_lo, exec_lo, s22
	v_lshlrev_b32_e32 v55, 8, v9
	v_lshl_add_u32 v54, v54, 10, 0x2000
	v_lshlrev_b32_e32 v1, 7, v1
	v_and_b32_e32 v55, 0x8000, v55
	v_and_b32_e32 v54, 0xfc00, v54
	v_or3_b32 v54, v55, v54, v1
.LBB269_878:                            ;   in Loop: Header=BB269_542 Depth=1
	s_or_b32 exec_lo, exec_lo, s19
.LBB269_879:                            ;   in Loop: Header=BB269_542 Depth=1
	s_or_b32 exec_lo, exec_lo, s18
.LBB269_880:                            ;   in Loop: Header=BB269_542 Depth=1
	s_or_b32 exec_lo, exec_lo, s17
	v_lshrrev_b16 v1, 8, v9
	s_mov_b32 s17, exec_lo
	v_cmpx_ne_u16_e32 0, v1
	s_cbranch_execz .LBB269_888
; %bb.881:                              ;   in Loop: Header=BB269_542 Depth=1
	v_bfrev_b32_e32 v53, 1
	s_mov_b32 s18, exec_lo
	v_cmpx_ne_u16_e32 0x80, v1
	s_cbranch_execz .LBB269_887
; %bb.882:                              ;   in Loop: Header=BB269_542 Depth=1
	v_and_b32_sdwa v56, v1, v27 dst_sel:DWORD dst_unused:UNUSED_PAD src0_sel:WORD_0 src1_sel:DWORD
	v_mov_b32_e32 v53, 0x7c010000
	s_mov_b32 s19, exec_lo
	v_cmpx_ne_u32_e32 0x7f, v56
	s_cbranch_execz .LBB269_886
; %bb.883:                              ;   in Loop: Header=BB269_542 Depth=1
	v_and_b32_sdwa v53, v1, v28 dst_sel:DWORD dst_unused:UNUSED_PAD src0_sel:WORD_0 src1_sel:DWORD
	v_lshrrev_b32_e32 v55, 3, v56
	s_mov_b32 s22, exec_lo
	v_cmpx_gt_u32_e32 8, v56
; %bb.884:                              ;   in Loop: Header=BB269_542 Depth=1
	v_ffbh_u32_e32 v53, v53
	v_min_u32_e32 v53, 32, v53
	v_subrev_nc_u32_e32 v55, 28, v53
	v_lshlrev_b64 v[56:57], v55, v[1:2]
	v_sub_nc_u32_e32 v55, 29, v53
	v_and_b32_e32 v53, 7, v56
; %bb.885:                              ;   in Loop: Header=BB269_542 Depth=1
	s_or_b32 exec_lo, exec_lo, s22
	v_lshlrev_b32_sdwa v1, v29, v1 dst_sel:DWORD dst_unused:UNUSED_PAD src0_sel:DWORD src1_sel:WORD_0
	v_lshl_add_u32 v55, v55, 10, 0x2000
	v_lshlrev_b32_e32 v53, 23, v53
	v_and_or_b32 v1, 0x8000, v1, v55
	v_lshl_or_b32 v53, v1, 16, v53
.LBB269_886:                            ;   in Loop: Header=BB269_542 Depth=1
	s_or_b32 exec_lo, exec_lo, s19
.LBB269_887:                            ;   in Loop: Header=BB269_542 Depth=1
	s_or_b32 exec_lo, exec_lo, s18
.LBB269_888:                            ;   in Loop: Header=BB269_542 Depth=1
	s_or_b32 exec_lo, exec_lo, s17
	v_lshrrev_b32_e32 v1, 16, v9
	v_mov_b32_e32 v55, 0
	v_mov_b32_e32 v56, 0
	v_cmp_ne_u16_sdwa s1, v1, v2 src0_sel:BYTE_0 src1_sel:DWORD
	s_and_saveexec_b32 s17, s1
	s_cbranch_execz .LBB269_896
; %bb.889:                              ;   in Loop: Header=BB269_542 Depth=1
	v_cmp_ne_u16_sdwa s1, v1, v26 src0_sel:BYTE_0 src1_sel:DWORD
	v_mov_b32_e32 v56, 0x8000
	s_and_saveexec_b32 s18, s1
	s_cbranch_execz .LBB269_895
; %bb.890:                              ;   in Loop: Header=BB269_542 Depth=1
	v_bfe_u32 v58, v9, 16, 7
	v_mov_b32_e32 v56, 0x7c01
	s_mov_b32 s19, exec_lo
	v_cmpx_ne_u32_e32 0x7f, v58
	s_cbranch_execz .LBB269_894
; %bb.891:                              ;   in Loop: Header=BB269_542 Depth=1
	v_and_b32_e32 v56, 7, v1
	v_lshrrev_b32_e32 v57, 3, v58
	s_mov_b32 s22, exec_lo
	v_cmpx_gt_u32_e32 8, v58
; %bb.892:                              ;   in Loop: Header=BB269_542 Depth=1
	v_ffbh_u32_e32 v56, v56
	v_min_u32_e32 v58, 32, v56
	v_subrev_nc_u32_e32 v56, 28, v58
	v_lshlrev_b64 v[56:57], v56, v[1:2]
	v_sub_nc_u32_e32 v57, 29, v58
	v_and_b32_e32 v56, 7, v56
; %bb.893:                              ;   in Loop: Header=BB269_542 Depth=1
	s_or_b32 exec_lo, exec_lo, s22
	v_lshlrev_b32_e32 v1, 8, v1
	v_lshl_add_u32 v57, v57, 10, 0x2000
	v_lshlrev_b32_e32 v56, 7, v56
	v_and_b32_e32 v1, 0x8000, v1
	v_and_b32_e32 v57, 0xfc00, v57
	v_or3_b32 v56, v1, v57, v56
.LBB269_894:                            ;   in Loop: Header=BB269_542 Depth=1
	s_or_b32 exec_lo, exec_lo, s19
.LBB269_895:                            ;   in Loop: Header=BB269_542 Depth=1
	s_or_b32 exec_lo, exec_lo, s18
.LBB269_896:                            ;   in Loop: Header=BB269_542 Depth=1
	s_or_b32 exec_lo, exec_lo, s17
	s_mov_b32 s17, exec_lo
	v_cmpx_lt_u32_e32 0xffffff, v9
	s_cbranch_execz .LBB269_904
; %bb.897:                              ;   in Loop: Header=BB269_542 Depth=1
	v_lshrrev_b32_e32 v1, 24, v9
	v_bfrev_b32_e32 v55, 1
	s_mov_b32 s18, exec_lo
	v_cmpx_ne_u32_e32 0x80, v1
	s_cbranch_execz .LBB269_903
; %bb.898:                              ;   in Loop: Header=BB269_542 Depth=1
	v_and_b32_e32 v58, 0x7f, v1
	v_mov_b32_e32 v55, 0x7c010000
	s_mov_b32 s19, exec_lo
	v_cmpx_ne_u32_e32 0x7f, v58
	s_cbranch_execz .LBB269_902
; %bb.899:                              ;   in Loop: Header=BB269_542 Depth=1
	v_and_b32_e32 v55, 7, v1
	v_lshrrev_b32_e32 v57, 3, v58
	s_mov_b32 s22, exec_lo
	v_cmpx_gt_u32_e32 8, v58
; %bb.900:                              ;   in Loop: Header=BB269_542 Depth=1
	v_ffbh_u32_e32 v55, v55
	v_min_u32_e32 v55, 32, v55
	v_subrev_nc_u32_e32 v57, 28, v55
	v_lshlrev_b64 v[58:59], v57, v[1:2]
	v_sub_nc_u32_e32 v57, 29, v55
	v_and_b32_e32 v55, 7, v58
; %bb.901:                              ;   in Loop: Header=BB269_542 Depth=1
	s_or_b32 exec_lo, exec_lo, s22
	v_lshlrev_b32_e32 v1, 8, v1
	v_lshl_add_u32 v57, v57, 10, 0x2000
	v_lshlrev_b32_e32 v55, 23, v55
	v_and_or_b32 v1, 0x8000, v1, v57
	v_lshl_or_b32 v55, v1, 16, v55
.LBB269_902:                            ;   in Loop: Header=BB269_542 Depth=1
	s_or_b32 exec_lo, exec_lo, s19
.LBB269_903:                            ;   in Loop: Header=BB269_542 Depth=1
	s_or_b32 exec_lo, exec_lo, s18
.LBB269_904:                            ;   in Loop: Header=BB269_542 Depth=1
	s_or_b32 exec_lo, exec_lo, s17
	v_mov_b32_e32 v1, v10
	v_cmp_ne_u16_sdwa s1, v10, v2 src0_sel:BYTE_0 src1_sel:DWORD
	v_mov_b32_e32 v57, 0
	v_mov_b32_e32 v58, 0
	s_and_saveexec_b32 s17, s1
	s_cbranch_execz .LBB269_912
; %bb.905:                              ;   in Loop: Header=BB269_542 Depth=1
	v_cmp_ne_u16_sdwa s1, v10, v26 src0_sel:BYTE_0 src1_sel:DWORD
	v_mov_b32_e32 v58, 0x8000
	s_and_saveexec_b32 s18, s1
	s_cbranch_execz .LBB269_911
; %bb.906:                              ;   in Loop: Header=BB269_542 Depth=1
	v_and_b32_e32 v60, 0x7f, v10
	v_mov_b32_e32 v58, 0x7c01
	s_mov_b32 s19, exec_lo
	v_cmpx_ne_u32_e32 0x7f, v60
	s_cbranch_execz .LBB269_910
; %bb.907:                              ;   in Loop: Header=BB269_542 Depth=1
	v_and_b32_e32 v58, 7, v10
	v_lshrrev_b32_e32 v59, 3, v60
	s_mov_b32 s22, exec_lo
	v_cmpx_gt_u32_e32 8, v60
; %bb.908:                              ;   in Loop: Header=BB269_542 Depth=1
	v_ffbh_u32_e32 v58, v58
	v_min_u32_e32 v60, 32, v58
	v_subrev_nc_u32_e32 v58, 28, v60
	v_lshlrev_b64 v[58:59], v58, v[1:2]
	v_sub_nc_u32_e32 v59, 29, v60
	v_and_b32_e32 v58, 7, v58
; %bb.909:                              ;   in Loop: Header=BB269_542 Depth=1
	s_or_b32 exec_lo, exec_lo, s22
	v_lshlrev_b32_e32 v60, 8, v10
	v_lshl_add_u32 v59, v59, 10, 0x2000
	v_lshlrev_b32_e32 v58, 7, v58
	v_and_b32_e32 v60, 0x8000, v60
	v_and_b32_e32 v59, 0xfc00, v59
	v_or3_b32 v58, v60, v59, v58
.LBB269_910:                            ;   in Loop: Header=BB269_542 Depth=1
	s_or_b32 exec_lo, exec_lo, s19
.LBB269_911:                            ;   in Loop: Header=BB269_542 Depth=1
	s_or_b32 exec_lo, exec_lo, s18
.LBB269_912:                            ;   in Loop: Header=BB269_542 Depth=1
	s_or_b32 exec_lo, exec_lo, s17
	v_lshrrev_b16 v1, 8, v1
	v_mov_b32_e32 v59, 0
	s_mov_b32 s17, exec_lo
	v_cmpx_ne_u16_e32 0, v1
	s_cbranch_execz .LBB269_920
; %bb.913:                              ;   in Loop: Header=BB269_542 Depth=1
	v_bfrev_b32_e32 v59, 1
	s_mov_b32 s18, exec_lo
	v_cmpx_ne_u16_e32 0x80, v1
	s_cbranch_execz .LBB269_919
; %bb.914:                              ;   in Loop: Header=BB269_542 Depth=1
	v_and_b32_sdwa v61, v1, v27 dst_sel:DWORD dst_unused:UNUSED_PAD src0_sel:WORD_0 src1_sel:DWORD
	v_mov_b32_e32 v59, 0x7c010000
	s_mov_b32 s19, exec_lo
	v_cmpx_ne_u32_e32 0x7f, v61
	s_cbranch_execz .LBB269_918
; %bb.915:                              ;   in Loop: Header=BB269_542 Depth=1
	v_and_b32_sdwa v59, v1, v28 dst_sel:DWORD dst_unused:UNUSED_PAD src0_sel:WORD_0 src1_sel:DWORD
	v_lshrrev_b32_e32 v60, 3, v61
	s_mov_b32 s22, exec_lo
	v_cmpx_gt_u32_e32 8, v61
; %bb.916:                              ;   in Loop: Header=BB269_542 Depth=1
	v_ffbh_u32_e32 v59, v59
	v_min_u32_e32 v61, 32, v59
	v_subrev_nc_u32_e32 v59, 28, v61
	v_lshlrev_b64 v[59:60], v59, v[1:2]
	v_sub_nc_u32_e32 v60, 29, v61
	v_and_b32_e32 v59, 7, v59
; %bb.917:                              ;   in Loop: Header=BB269_542 Depth=1
	s_or_b32 exec_lo, exec_lo, s22
	v_lshlrev_b32_sdwa v1, v29, v1 dst_sel:DWORD dst_unused:UNUSED_PAD src0_sel:DWORD src1_sel:WORD_0
	v_lshl_add_u32 v60, v60, 10, 0x2000
	v_lshlrev_b32_e32 v59, 23, v59
	v_and_or_b32 v1, 0x8000, v1, v60
	v_lshl_or_b32 v59, v1, 16, v59
.LBB269_918:                            ;   in Loop: Header=BB269_542 Depth=1
	s_or_b32 exec_lo, exec_lo, s19
.LBB269_919:                            ;   in Loop: Header=BB269_542 Depth=1
	s_or_b32 exec_lo, exec_lo, s18
.LBB269_920:                            ;   in Loop: Header=BB269_542 Depth=1
	s_or_b32 exec_lo, exec_lo, s17
	v_lshrrev_b32_e32 v1, 16, v10
	v_cmp_ne_u16_sdwa s1, v1, v2 src0_sel:BYTE_0 src1_sel:DWORD
	s_and_saveexec_b32 s17, s1
	s_cbranch_execz .LBB269_928
; %bb.921:                              ;   in Loop: Header=BB269_542 Depth=1
	v_cmp_ne_u16_sdwa s1, v1, v26 src0_sel:BYTE_0 src1_sel:DWORD
	v_mov_b32_e32 v57, 0x8000
	s_and_saveexec_b32 s18, s1
	s_cbranch_execz .LBB269_927
; %bb.922:                              ;   in Loop: Header=BB269_542 Depth=1
	v_bfe_u32 v61, v10, 16, 7
	v_mov_b32_e32 v57, 0x7c01
	s_mov_b32 s19, exec_lo
	v_cmpx_ne_u32_e32 0x7f, v61
	s_cbranch_execz .LBB269_926
; %bb.923:                              ;   in Loop: Header=BB269_542 Depth=1
	v_and_b32_e32 v57, 7, v1
	v_lshrrev_b32_e32 v60, 3, v61
	s_mov_b32 s22, exec_lo
	v_cmpx_gt_u32_e32 8, v61
; %bb.924:                              ;   in Loop: Header=BB269_542 Depth=1
	v_ffbh_u32_e32 v57, v57
	v_min_u32_e32 v57, 32, v57
	v_subrev_nc_u32_e32 v60, 28, v57
	v_lshlrev_b64 v[61:62], v60, v[1:2]
	v_sub_nc_u32_e32 v60, 29, v57
	v_and_b32_e32 v57, 7, v61
; %bb.925:                              ;   in Loop: Header=BB269_542 Depth=1
	s_or_b32 exec_lo, exec_lo, s22
	v_lshlrev_b32_e32 v1, 8, v1
	v_lshl_add_u32 v60, v60, 10, 0x2000
	v_lshlrev_b32_e32 v57, 7, v57
	v_and_b32_e32 v1, 0x8000, v1
	v_and_b32_e32 v60, 0xfc00, v60
	v_or3_b32 v57, v1, v60, v57
.LBB269_926:                            ;   in Loop: Header=BB269_542 Depth=1
	s_or_b32 exec_lo, exec_lo, s19
.LBB269_927:                            ;   in Loop: Header=BB269_542 Depth=1
	s_or_b32 exec_lo, exec_lo, s18
.LBB269_928:                            ;   in Loop: Header=BB269_542 Depth=1
	s_or_b32 exec_lo, exec_lo, s17
	v_cmp_lt_u64_e64 s1, s[2:3], v[9:10]
	v_mov_b32_e32 v9, 0
	s_and_saveexec_b32 s17, s1
	s_cbranch_execz .LBB269_936
; %bb.929:                              ;   in Loop: Header=BB269_542 Depth=1
	v_lshrrev_b32_e32 v1, 24, v10
	v_bfrev_b32_e32 v9, 1
	s_mov_b32 s18, exec_lo
	v_cmpx_ne_u32_e32 0x80, v1
	s_cbranch_execz .LBB269_935
; %bb.930:                              ;   in Loop: Header=BB269_542 Depth=1
	v_and_b32_e32 v60, 0x7f, v1
	v_mov_b32_e32 v9, 0x7c010000
	s_mov_b32 s19, exec_lo
	v_cmpx_ne_u32_e32 0x7f, v60
	s_cbranch_execz .LBB269_934
; %bb.931:                              ;   in Loop: Header=BB269_542 Depth=1
	v_and_b32_e32 v9, 7, v1
	v_lshrrev_b32_e32 v10, 3, v60
	s_mov_b32 s22, exec_lo
	v_cmpx_gt_u32_e32 8, v60
; %bb.932:                              ;   in Loop: Header=BB269_542 Depth=1
	v_ffbh_u32_e32 v9, v9
	v_min_u32_e32 v60, 32, v9
	v_subrev_nc_u32_e32 v9, 28, v60
	v_lshlrev_b64 v[9:10], v9, v[1:2]
	v_sub_nc_u32_e32 v10, 29, v60
	v_and_b32_e32 v9, 7, v9
; %bb.933:                              ;   in Loop: Header=BB269_542 Depth=1
	s_or_b32 exec_lo, exec_lo, s22
	v_lshlrev_b32_e32 v1, 8, v1
	v_lshl_add_u32 v10, v10, 10, 0x2000
	v_lshlrev_b32_e32 v9, 23, v9
	v_and_or_b32 v1, 0x8000, v1, v10
	v_lshl_or_b32 v9, v1, 16, v9
.LBB269_934:                            ;   in Loop: Header=BB269_542 Depth=1
	s_or_b32 exec_lo, exec_lo, s19
.LBB269_935:                            ;   in Loop: Header=BB269_542 Depth=1
	s_or_b32 exec_lo, exec_lo, s18
.LBB269_936:                            ;   in Loop: Header=BB269_542 Depth=1
	s_or_b32 exec_lo, exec_lo, s17
	v_or_b32_e32 v1, v55, v56
	s_waitcnt vmcnt(0)
	v_fma_mixlo_f16 v10, v52, v55, 0 op_sel:[0,1,0] op_sel_hi:[0,1,0]
	v_or_b32_e32 v55, v53, v54
	v_fma_mixlo_f16 v53, v52, v53, 0 op_sel:[0,1,0] op_sel_hi:[0,1,0]
	v_or_b32_e32 v56, v59, v58
	v_or_b32_e32 v57, v9, v57
	v_fma_mixlo_f16 v58, v52, v1, 0 op_sel_hi:[0,1,0]
	v_fma_mixlo_f16 v9, v52, v9, 0 op_sel:[0,1,0] op_sel_hi:[0,1,0]
	v_lshlrev_b32_e32 v54, 16, v53
	v_fma_mixlo_f16 v53, v52, v55, 0 op_sel_hi:[0,1,0]
	v_fma_mixlo_f16 v55, v52, v59, 0 op_sel:[0,1,0] op_sel_hi:[0,1,0]
	v_fma_mixlo_f16 v56, v52, v56, 0 op_sel_hi:[0,1,0]
	v_fma_mixlo_f16 v57, v52, v57, 0 op_sel_hi:[0,1,0]
	v_lshlrev_b32_e32 v1, 16, v10
	v_and_b32_e32 v10, 0xffff, v58
	v_and_b32_e32 v60, 0xffff, v53
	v_lshlrev_b32_e32 v52, 16, v55
	v_and_b32_e32 v56, 0xffff, v56
	v_lshlrev_b32_e32 v9, 16, v9
	v_and_b32_e32 v53, 0xffff, v57
	v_or_b32_e32 v55, v1, v10
	v_or_b32_e32 v59, v54, v60
	;; [unrolled: 1-line block ×4, first 2 shown]
	s_and_saveexec_b32 s17, vcc_lo
	s_cbranch_execz .LBB269_938
; %bb.937:                              ;   in Loop: Header=BB269_542 Depth=1
	v_cmp_gt_i32_e64 s1, s11, v31
	v_cndmask_b32_e64 v55, 0, v60, s1
	v_cmp_gt_i32_e64 s1, s11, v37
	v_cndmask_b32_e64 v54, 0, v54, s1
	v_cmp_gt_i32_e64 s1, s11, v36
	v_or_b32_e32 v59, v54, v55
	v_cndmask_b32_e64 v10, 0, v10, s1
	v_cmp_gt_i32_e64 s1, s11, v35
	v_cndmask_b32_e64 v1, 0, v1, s1
	v_cmp_gt_i32_e64 s1, s11, v34
	v_or_b32_e32 v55, v1, v10
	;; [unrolled: 5-line block ×3, first 2 shown]
	v_cndmask_b32_e64 v53, 0, v53, s1
	v_cmp_gt_i32_e64 s1, s11, v25
	v_cndmask_b32_e64 v9, 0, v9, s1
	v_or_b32_e32 v57, v9, v53
.LBB269_938:                            ;   in Loop: Header=BB269_542 Depth=1
	s_or_b32 exec_lo, exec_lo, s17
	;;#ASMSTART
	v_pk_mul_f16 v1, v42, v59;

	;;#ASMEND
	;;#ASMSTART
	v_pk_mul_f16 v9, v40, v55;

	;;#ASMEND
	;; [unrolled: 4-line block ×4, first 2 shown]
	;;#ASMSTART
	v_pk_add_f16 v1, v1, v9;

	;;#ASMEND
	;;#ASMSTART
	v_pk_add_f16 v1, v1, v10;

	;;#ASMEND
	;; [unrolled: 4-line block ×3, first 2 shown]
	v_and_b32_e32 v9, 0xffff, v1
	v_lshrrev_b32_e32 v1, 16, v1
	;;#ASMSTART
	v_cvt_f32_f16 v52, v9;
	;;#ASMEND
	;;#ASMSTART
	v_cvt_f32_f16 v53, v1;
	;;#ASMEND
	global_load_dwordx2 v[9:10], v[7:8], off offset:1536
	v_mov_b32_e32 v55, 0
	v_mov_b32_e32 v56, 0
	global_load_dword v54, v55, s[14:15]
	s_waitcnt vmcnt(1)
	v_cmp_ne_u16_sdwa s1, v9, v2 src0_sel:BYTE_0 src1_sel:DWORD
	s_and_saveexec_b32 s17, s1
	s_cbranch_execz .LBB269_946
; %bb.939:                              ;   in Loop: Header=BB269_542 Depth=1
	v_cmp_ne_u16_sdwa s1, v9, v26 src0_sel:BYTE_0 src1_sel:DWORD
	v_mov_b32_e32 v56, 0x8000
	s_and_saveexec_b32 s18, s1
	s_cbranch_execz .LBB269_945
; %bb.940:                              ;   in Loop: Header=BB269_542 Depth=1
	v_and_b32_e32 v57, 0x7f, v9
	v_mov_b32_e32 v56, 0x7c01
	s_mov_b32 s19, exec_lo
	v_cmpx_ne_u32_e32 0x7f, v57
	s_cbranch_execz .LBB269_944
; %bb.941:                              ;   in Loop: Header=BB269_542 Depth=1
	v_and_b32_e32 v1, 7, v9
	v_lshrrev_b32_e32 v56, 3, v57
	s_mov_b32 s22, exec_lo
	v_cmpx_gt_u32_e32 8, v57
; %bb.942:                              ;   in Loop: Header=BB269_542 Depth=1
	v_ffbh_u32_e32 v1, v1
	v_min_u32_e32 v1, 32, v1
	v_subrev_nc_u32_e32 v56, 28, v1
	v_lshlrev_b64 v[57:58], v56, v[9:10]
	v_sub_nc_u32_e32 v56, 29, v1
	v_and_b32_e32 v1, 7, v57
; %bb.943:                              ;   in Loop: Header=BB269_542 Depth=1
	s_or_b32 exec_lo, exec_lo, s22
	v_lshlrev_b32_e32 v57, 8, v9
	v_lshl_add_u32 v56, v56, 10, 0x2000
	v_lshlrev_b32_e32 v1, 7, v1
	v_and_b32_e32 v57, 0x8000, v57
	v_and_b32_e32 v56, 0xfc00, v56
	v_or3_b32 v56, v57, v56, v1
.LBB269_944:                            ;   in Loop: Header=BB269_542 Depth=1
	s_or_b32 exec_lo, exec_lo, s19
.LBB269_945:                            ;   in Loop: Header=BB269_542 Depth=1
	s_or_b32 exec_lo, exec_lo, s18
.LBB269_946:                            ;   in Loop: Header=BB269_542 Depth=1
	s_or_b32 exec_lo, exec_lo, s17
	v_lshrrev_b16 v1, 8, v9
	s_mov_b32 s17, exec_lo
	v_cmpx_ne_u16_e32 0, v1
	s_cbranch_execz .LBB269_954
; %bb.947:                              ;   in Loop: Header=BB269_542 Depth=1
	v_bfrev_b32_e32 v55, 1
	s_mov_b32 s18, exec_lo
	v_cmpx_ne_u16_e32 0x80, v1
	s_cbranch_execz .LBB269_953
; %bb.948:                              ;   in Loop: Header=BB269_542 Depth=1
	v_and_b32_sdwa v58, v1, v27 dst_sel:DWORD dst_unused:UNUSED_PAD src0_sel:WORD_0 src1_sel:DWORD
	v_mov_b32_e32 v55, 0x7c010000
	s_mov_b32 s19, exec_lo
	v_cmpx_ne_u32_e32 0x7f, v58
	s_cbranch_execz .LBB269_952
; %bb.949:                              ;   in Loop: Header=BB269_542 Depth=1
	v_and_b32_sdwa v55, v1, v28 dst_sel:DWORD dst_unused:UNUSED_PAD src0_sel:WORD_0 src1_sel:DWORD
	v_lshrrev_b32_e32 v57, 3, v58
	s_mov_b32 s22, exec_lo
	v_cmpx_gt_u32_e32 8, v58
; %bb.950:                              ;   in Loop: Header=BB269_542 Depth=1
	v_ffbh_u32_e32 v55, v55
	v_min_u32_e32 v55, 32, v55
	v_subrev_nc_u32_e32 v57, 28, v55
	v_lshlrev_b64 v[58:59], v57, v[1:2]
	v_sub_nc_u32_e32 v57, 29, v55
	v_and_b32_e32 v55, 7, v58
; %bb.951:                              ;   in Loop: Header=BB269_542 Depth=1
	s_or_b32 exec_lo, exec_lo, s22
	v_lshlrev_b32_sdwa v1, v29, v1 dst_sel:DWORD dst_unused:UNUSED_PAD src0_sel:DWORD src1_sel:WORD_0
	v_lshl_add_u32 v57, v57, 10, 0x2000
	v_lshlrev_b32_e32 v55, 23, v55
	v_and_or_b32 v1, 0x8000, v1, v57
	v_lshl_or_b32 v55, v1, 16, v55
.LBB269_952:                            ;   in Loop: Header=BB269_542 Depth=1
	s_or_b32 exec_lo, exec_lo, s19
.LBB269_953:                            ;   in Loop: Header=BB269_542 Depth=1
	s_or_b32 exec_lo, exec_lo, s18
.LBB269_954:                            ;   in Loop: Header=BB269_542 Depth=1
	s_or_b32 exec_lo, exec_lo, s17
	v_lshrrev_b32_e32 v1, 16, v9
	v_mov_b32_e32 v57, 0
	v_mov_b32_e32 v58, 0
	v_cmp_ne_u16_sdwa s1, v1, v2 src0_sel:BYTE_0 src1_sel:DWORD
	s_and_saveexec_b32 s17, s1
	s_cbranch_execz .LBB269_962
; %bb.955:                              ;   in Loop: Header=BB269_542 Depth=1
	v_cmp_ne_u16_sdwa s1, v1, v26 src0_sel:BYTE_0 src1_sel:DWORD
	v_mov_b32_e32 v58, 0x8000
	s_and_saveexec_b32 s18, s1
	s_cbranch_execz .LBB269_961
; %bb.956:                              ;   in Loop: Header=BB269_542 Depth=1
	v_bfe_u32 v60, v9, 16, 7
	v_mov_b32_e32 v58, 0x7c01
	s_mov_b32 s19, exec_lo
	v_cmpx_ne_u32_e32 0x7f, v60
	s_cbranch_execz .LBB269_960
; %bb.957:                              ;   in Loop: Header=BB269_542 Depth=1
	v_and_b32_e32 v58, 7, v1
	v_lshrrev_b32_e32 v59, 3, v60
	s_mov_b32 s22, exec_lo
	v_cmpx_gt_u32_e32 8, v60
; %bb.958:                              ;   in Loop: Header=BB269_542 Depth=1
	v_ffbh_u32_e32 v58, v58
	v_min_u32_e32 v60, 32, v58
	v_subrev_nc_u32_e32 v58, 28, v60
	v_lshlrev_b64 v[58:59], v58, v[1:2]
	v_sub_nc_u32_e32 v59, 29, v60
	v_and_b32_e32 v58, 7, v58
; %bb.959:                              ;   in Loop: Header=BB269_542 Depth=1
	s_or_b32 exec_lo, exec_lo, s22
	v_lshlrev_b32_e32 v1, 8, v1
	v_lshl_add_u32 v59, v59, 10, 0x2000
	v_lshlrev_b32_e32 v58, 7, v58
	v_and_b32_e32 v1, 0x8000, v1
	v_and_b32_e32 v59, 0xfc00, v59
	v_or3_b32 v58, v1, v59, v58
.LBB269_960:                            ;   in Loop: Header=BB269_542 Depth=1
	s_or_b32 exec_lo, exec_lo, s19
.LBB269_961:                            ;   in Loop: Header=BB269_542 Depth=1
	s_or_b32 exec_lo, exec_lo, s18
.LBB269_962:                            ;   in Loop: Header=BB269_542 Depth=1
	s_or_b32 exec_lo, exec_lo, s17
	s_mov_b32 s17, exec_lo
	v_cmpx_lt_u32_e32 0xffffff, v9
	s_cbranch_execz .LBB269_970
; %bb.963:                              ;   in Loop: Header=BB269_542 Depth=1
	v_lshrrev_b32_e32 v1, 24, v9
	v_bfrev_b32_e32 v57, 1
	s_mov_b32 s18, exec_lo
	v_cmpx_ne_u32_e32 0x80, v1
	s_cbranch_execz .LBB269_969
; %bb.964:                              ;   in Loop: Header=BB269_542 Depth=1
	v_and_b32_e32 v60, 0x7f, v1
	v_mov_b32_e32 v57, 0x7c010000
	s_mov_b32 s19, exec_lo
	v_cmpx_ne_u32_e32 0x7f, v60
	s_cbranch_execz .LBB269_968
; %bb.965:                              ;   in Loop: Header=BB269_542 Depth=1
	v_and_b32_e32 v57, 7, v1
	v_lshrrev_b32_e32 v59, 3, v60
	s_mov_b32 s22, exec_lo
	v_cmpx_gt_u32_e32 8, v60
; %bb.966:                              ;   in Loop: Header=BB269_542 Depth=1
	v_ffbh_u32_e32 v57, v57
	v_min_u32_e32 v57, 32, v57
	v_subrev_nc_u32_e32 v59, 28, v57
	v_lshlrev_b64 v[60:61], v59, v[1:2]
	v_sub_nc_u32_e32 v59, 29, v57
	v_and_b32_e32 v57, 7, v60
; %bb.967:                              ;   in Loop: Header=BB269_542 Depth=1
	s_or_b32 exec_lo, exec_lo, s22
	v_lshlrev_b32_e32 v1, 8, v1
	v_lshl_add_u32 v59, v59, 10, 0x2000
	v_lshlrev_b32_e32 v57, 23, v57
	v_and_or_b32 v1, 0x8000, v1, v59
	v_lshl_or_b32 v57, v1, 16, v57
.LBB269_968:                            ;   in Loop: Header=BB269_542 Depth=1
	s_or_b32 exec_lo, exec_lo, s19
.LBB269_969:                            ;   in Loop: Header=BB269_542 Depth=1
	s_or_b32 exec_lo, exec_lo, s18
.LBB269_970:                            ;   in Loop: Header=BB269_542 Depth=1
	s_or_b32 exec_lo, exec_lo, s17
	v_mov_b32_e32 v1, v10
	v_cmp_ne_u16_sdwa s1, v10, v2 src0_sel:BYTE_0 src1_sel:DWORD
	v_mov_b32_e32 v59, 0
	v_mov_b32_e32 v60, 0
	s_and_saveexec_b32 s17, s1
	s_cbranch_execz .LBB269_978
; %bb.971:                              ;   in Loop: Header=BB269_542 Depth=1
	v_cmp_ne_u16_sdwa s1, v10, v26 src0_sel:BYTE_0 src1_sel:DWORD
	v_mov_b32_e32 v60, 0x8000
	s_and_saveexec_b32 s18, s1
	s_cbranch_execz .LBB269_977
; %bb.972:                              ;   in Loop: Header=BB269_542 Depth=1
	v_and_b32_e32 v62, 0x7f, v10
	v_mov_b32_e32 v60, 0x7c01
	s_mov_b32 s19, exec_lo
	v_cmpx_ne_u32_e32 0x7f, v62
	s_cbranch_execz .LBB269_976
; %bb.973:                              ;   in Loop: Header=BB269_542 Depth=1
	v_and_b32_e32 v60, 7, v10
	v_lshrrev_b32_e32 v61, 3, v62
	s_mov_b32 s22, exec_lo
	v_cmpx_gt_u32_e32 8, v62
; %bb.974:                              ;   in Loop: Header=BB269_542 Depth=1
	v_ffbh_u32_e32 v60, v60
	v_min_u32_e32 v62, 32, v60
	v_subrev_nc_u32_e32 v60, 28, v62
	v_lshlrev_b64 v[60:61], v60, v[1:2]
	v_sub_nc_u32_e32 v61, 29, v62
	v_and_b32_e32 v60, 7, v60
; %bb.975:                              ;   in Loop: Header=BB269_542 Depth=1
	s_or_b32 exec_lo, exec_lo, s22
	v_lshlrev_b32_e32 v62, 8, v10
	v_lshl_add_u32 v61, v61, 10, 0x2000
	v_lshlrev_b32_e32 v60, 7, v60
	v_and_b32_e32 v62, 0x8000, v62
	v_and_b32_e32 v61, 0xfc00, v61
	v_or3_b32 v60, v62, v61, v60
.LBB269_976:                            ;   in Loop: Header=BB269_542 Depth=1
	s_or_b32 exec_lo, exec_lo, s19
.LBB269_977:                            ;   in Loop: Header=BB269_542 Depth=1
	s_or_b32 exec_lo, exec_lo, s18
.LBB269_978:                            ;   in Loop: Header=BB269_542 Depth=1
	s_or_b32 exec_lo, exec_lo, s17
	v_lshrrev_b16 v1, 8, v1
	v_mov_b32_e32 v61, 0
	s_mov_b32 s17, exec_lo
	v_cmpx_ne_u16_e32 0, v1
	s_cbranch_execz .LBB269_986
; %bb.979:                              ;   in Loop: Header=BB269_542 Depth=1
	v_bfrev_b32_e32 v61, 1
	s_mov_b32 s18, exec_lo
	v_cmpx_ne_u16_e32 0x80, v1
	s_cbranch_execz .LBB269_985
; %bb.980:                              ;   in Loop: Header=BB269_542 Depth=1
	v_and_b32_sdwa v63, v1, v27 dst_sel:DWORD dst_unused:UNUSED_PAD src0_sel:WORD_0 src1_sel:DWORD
	v_mov_b32_e32 v61, 0x7c010000
	s_mov_b32 s19, exec_lo
	v_cmpx_ne_u32_e32 0x7f, v63
	s_cbranch_execz .LBB269_984
; %bb.981:                              ;   in Loop: Header=BB269_542 Depth=1
	v_and_b32_sdwa v61, v1, v28 dst_sel:DWORD dst_unused:UNUSED_PAD src0_sel:WORD_0 src1_sel:DWORD
	v_lshrrev_b32_e32 v62, 3, v63
	s_mov_b32 s22, exec_lo
	v_cmpx_gt_u32_e32 8, v63
; %bb.982:                              ;   in Loop: Header=BB269_542 Depth=1
	v_ffbh_u32_e32 v61, v61
	v_min_u32_e32 v63, 32, v61
	v_subrev_nc_u32_e32 v61, 28, v63
	v_lshlrev_b64 v[61:62], v61, v[1:2]
	v_sub_nc_u32_e32 v62, 29, v63
	v_and_b32_e32 v61, 7, v61
; %bb.983:                              ;   in Loop: Header=BB269_542 Depth=1
	s_or_b32 exec_lo, exec_lo, s22
	v_lshlrev_b32_sdwa v1, v29, v1 dst_sel:DWORD dst_unused:UNUSED_PAD src0_sel:DWORD src1_sel:WORD_0
	v_lshl_add_u32 v62, v62, 10, 0x2000
	v_lshlrev_b32_e32 v61, 23, v61
	v_and_or_b32 v1, 0x8000, v1, v62
	v_lshl_or_b32 v61, v1, 16, v61
.LBB269_984:                            ;   in Loop: Header=BB269_542 Depth=1
	s_or_b32 exec_lo, exec_lo, s19
.LBB269_985:                            ;   in Loop: Header=BB269_542 Depth=1
	s_or_b32 exec_lo, exec_lo, s18
.LBB269_986:                            ;   in Loop: Header=BB269_542 Depth=1
	s_or_b32 exec_lo, exec_lo, s17
	v_lshrrev_b32_e32 v1, 16, v10
	v_cmp_ne_u16_sdwa s1, v1, v2 src0_sel:BYTE_0 src1_sel:DWORD
	s_and_saveexec_b32 s17, s1
	s_cbranch_execz .LBB269_994
; %bb.987:                              ;   in Loop: Header=BB269_542 Depth=1
	v_cmp_ne_u16_sdwa s1, v1, v26 src0_sel:BYTE_0 src1_sel:DWORD
	v_mov_b32_e32 v59, 0x8000
	s_and_saveexec_b32 s18, s1
	s_cbranch_execz .LBB269_993
; %bb.988:                              ;   in Loop: Header=BB269_542 Depth=1
	v_bfe_u32 v63, v10, 16, 7
	v_mov_b32_e32 v59, 0x7c01
	s_mov_b32 s19, exec_lo
	v_cmpx_ne_u32_e32 0x7f, v63
	s_cbranch_execz .LBB269_992
; %bb.989:                              ;   in Loop: Header=BB269_542 Depth=1
	v_and_b32_e32 v59, 7, v1
	v_lshrrev_b32_e32 v62, 3, v63
	s_mov_b32 s22, exec_lo
	v_cmpx_gt_u32_e32 8, v63
; %bb.990:                              ;   in Loop: Header=BB269_542 Depth=1
	v_ffbh_u32_e32 v59, v59
	v_min_u32_e32 v59, 32, v59
	v_subrev_nc_u32_e32 v62, 28, v59
	v_lshlrev_b64 v[63:64], v62, v[1:2]
	v_sub_nc_u32_e32 v62, 29, v59
	v_and_b32_e32 v59, 7, v63
; %bb.991:                              ;   in Loop: Header=BB269_542 Depth=1
	s_or_b32 exec_lo, exec_lo, s22
	v_lshlrev_b32_e32 v1, 8, v1
	v_lshl_add_u32 v62, v62, 10, 0x2000
	v_lshlrev_b32_e32 v59, 7, v59
	v_and_b32_e32 v1, 0x8000, v1
	v_and_b32_e32 v62, 0xfc00, v62
	v_or3_b32 v59, v1, v62, v59
.LBB269_992:                            ;   in Loop: Header=BB269_542 Depth=1
	s_or_b32 exec_lo, exec_lo, s19
.LBB269_993:                            ;   in Loop: Header=BB269_542 Depth=1
	s_or_b32 exec_lo, exec_lo, s18
.LBB269_994:                            ;   in Loop: Header=BB269_542 Depth=1
	s_or_b32 exec_lo, exec_lo, s17
	v_cmp_lt_u64_e64 s1, s[2:3], v[9:10]
	v_mov_b32_e32 v9, 0
	s_and_saveexec_b32 s17, s1
	s_cbranch_execz .LBB269_1002
; %bb.995:                              ;   in Loop: Header=BB269_542 Depth=1
	v_lshrrev_b32_e32 v1, 24, v10
	v_bfrev_b32_e32 v9, 1
	s_mov_b32 s18, exec_lo
	v_cmpx_ne_u32_e32 0x80, v1
	s_cbranch_execz .LBB269_1001
; %bb.996:                              ;   in Loop: Header=BB269_542 Depth=1
	v_and_b32_e32 v62, 0x7f, v1
	v_mov_b32_e32 v9, 0x7c010000
	s_mov_b32 s19, exec_lo
	v_cmpx_ne_u32_e32 0x7f, v62
	s_cbranch_execz .LBB269_1000
; %bb.997:                              ;   in Loop: Header=BB269_542 Depth=1
	v_and_b32_e32 v9, 7, v1
	v_lshrrev_b32_e32 v10, 3, v62
	s_mov_b32 s22, exec_lo
	v_cmpx_gt_u32_e32 8, v62
; %bb.998:                              ;   in Loop: Header=BB269_542 Depth=1
	v_ffbh_u32_e32 v9, v9
	v_min_u32_e32 v62, 32, v9
	v_subrev_nc_u32_e32 v9, 28, v62
	v_lshlrev_b64 v[9:10], v9, v[1:2]
	v_sub_nc_u32_e32 v10, 29, v62
	v_and_b32_e32 v9, 7, v9
; %bb.999:                              ;   in Loop: Header=BB269_542 Depth=1
	s_or_b32 exec_lo, exec_lo, s22
	v_lshlrev_b32_e32 v1, 8, v1
	v_lshl_add_u32 v10, v10, 10, 0x2000
	v_lshlrev_b32_e32 v9, 23, v9
	v_and_or_b32 v1, 0x8000, v1, v10
	v_lshl_or_b32 v9, v1, 16, v9
.LBB269_1000:                           ;   in Loop: Header=BB269_542 Depth=1
	s_or_b32 exec_lo, exec_lo, s19
.LBB269_1001:                           ;   in Loop: Header=BB269_542 Depth=1
	s_or_b32 exec_lo, exec_lo, s18
.LBB269_1002:                           ;   in Loop: Header=BB269_542 Depth=1
	s_or_b32 exec_lo, exec_lo, s17
	v_or_b32_e32 v1, v57, v58
	s_waitcnt vmcnt(0)
	v_fma_mixlo_f16 v10, v54, v57, 0 op_sel:[0,1,0] op_sel_hi:[0,1,0]
	v_or_b32_e32 v57, v55, v56
	v_fma_mixlo_f16 v55, v54, v55, 0 op_sel:[0,1,0] op_sel_hi:[0,1,0]
	v_or_b32_e32 v58, v61, v60
	v_or_b32_e32 v59, v9, v59
	v_fma_mixlo_f16 v60, v54, v1, 0 op_sel_hi:[0,1,0]
	v_fma_mixlo_f16 v9, v54, v9, 0 op_sel:[0,1,0] op_sel_hi:[0,1,0]
	v_lshlrev_b32_e32 v56, 16, v55
	v_fma_mixlo_f16 v55, v54, v57, 0 op_sel_hi:[0,1,0]
	v_fma_mixlo_f16 v57, v54, v61, 0 op_sel:[0,1,0] op_sel_hi:[0,1,0]
	v_fma_mixlo_f16 v58, v54, v58, 0 op_sel_hi:[0,1,0]
	v_fma_mixlo_f16 v59, v54, v59, 0 op_sel_hi:[0,1,0]
	v_lshlrev_b32_e32 v1, 16, v10
	v_and_b32_e32 v10, 0xffff, v60
	v_and_b32_e32 v62, 0xffff, v55
	v_lshlrev_b32_e32 v54, 16, v57
	v_and_b32_e32 v58, 0xffff, v58
	v_lshlrev_b32_e32 v9, 16, v9
	v_and_b32_e32 v55, 0xffff, v59
	v_or_b32_e32 v57, v1, v10
	v_or_b32_e32 v61, v56, v62
	;; [unrolled: 1-line block ×4, first 2 shown]
	s_and_saveexec_b32 s17, vcc_lo
	s_cbranch_execz .LBB269_1004
; %bb.1003:                             ;   in Loop: Header=BB269_542 Depth=1
	v_cmp_gt_i32_e64 s1, s11, v31
	v_cndmask_b32_e64 v57, 0, v62, s1
	v_cmp_gt_i32_e64 s1, s11, v37
	v_cndmask_b32_e64 v56, 0, v56, s1
	v_cmp_gt_i32_e64 s1, s11, v36
	v_or_b32_e32 v61, v56, v57
	v_cndmask_b32_e64 v10, 0, v10, s1
	v_cmp_gt_i32_e64 s1, s11, v35
	v_cndmask_b32_e64 v1, 0, v1, s1
	v_cmp_gt_i32_e64 s1, s11, v34
	v_or_b32_e32 v57, v1, v10
	;; [unrolled: 5-line block ×3, first 2 shown]
	v_cndmask_b32_e64 v55, 0, v55, s1
	v_cmp_gt_i32_e64 s1, s11, v25
	v_cndmask_b32_e64 v9, 0, v9, s1
	v_or_b32_e32 v59, v9, v55
.LBB269_1004:                           ;   in Loop: Header=BB269_542 Depth=1
	s_or_b32 exec_lo, exec_lo, s17
	;;#ASMSTART
	v_pk_mul_f16 v1, v42, v61;

	;;#ASMEND
	;;#ASMSTART
	v_pk_mul_f16 v9, v40, v57;

	;;#ASMEND
	;;#ASMSTART
	v_pk_mul_f16 v10, v39, v60;

	;;#ASMEND
	;;#ASMSTART
	v_pk_mul_f16 v54, v38, v59;

	;;#ASMEND
	;;#ASMSTART
	v_pk_add_f16 v1, v1, v9;

	;;#ASMEND
	;;#ASMSTART
	v_pk_add_f16 v1, v1, v10;

	;;#ASMEND
	;; [unrolled: 4-line block ×3, first 2 shown]
	v_and_b32_e32 v9, 0xffff, v1
	v_lshrrev_b32_e32 v1, 16, v1
	;;#ASMSTART
	v_cvt_f32_f16 v9, v9;
	;;#ASMEND
	;;#ASMSTART
	v_cvt_f32_f16 v10, v1;
	;;#ASMEND
	global_load_dwordx2 v[7:8], v[7:8], off offset:1792
	v_mov_b32_e32 v55, 0
	v_mov_b32_e32 v56, 0
	global_load_dword v54, v55, s[14:15]
	s_waitcnt vmcnt(1)
	v_cmp_ne_u16_sdwa s1, v7, v2 src0_sel:BYTE_0 src1_sel:DWORD
	s_and_saveexec_b32 s17, s1
	s_cbranch_execz .LBB269_1012
; %bb.1005:                             ;   in Loop: Header=BB269_542 Depth=1
	v_cmp_ne_u16_sdwa s1, v7, v26 src0_sel:BYTE_0 src1_sel:DWORD
	v_mov_b32_e32 v56, 0x8000
	s_and_saveexec_b32 s18, s1
	s_cbranch_execz .LBB269_1011
; %bb.1006:                             ;   in Loop: Header=BB269_542 Depth=1
	v_and_b32_e32 v57, 0x7f, v7
	v_mov_b32_e32 v56, 0x7c01
	s_mov_b32 s19, exec_lo
	v_cmpx_ne_u32_e32 0x7f, v57
	s_cbranch_execz .LBB269_1010
; %bb.1007:                             ;   in Loop: Header=BB269_542 Depth=1
	v_and_b32_e32 v1, 7, v7
	v_lshrrev_b32_e32 v56, 3, v57
	s_mov_b32 s22, exec_lo
	v_cmpx_gt_u32_e32 8, v57
; %bb.1008:                             ;   in Loop: Header=BB269_542 Depth=1
	v_ffbh_u32_e32 v1, v1
	v_min_u32_e32 v1, 32, v1
	v_subrev_nc_u32_e32 v56, 28, v1
	v_lshlrev_b64 v[57:58], v56, v[7:8]
	v_sub_nc_u32_e32 v56, 29, v1
	v_and_b32_e32 v1, 7, v57
; %bb.1009:                             ;   in Loop: Header=BB269_542 Depth=1
	s_or_b32 exec_lo, exec_lo, s22
	v_lshlrev_b32_e32 v57, 8, v7
	v_lshl_add_u32 v56, v56, 10, 0x2000
	v_lshlrev_b32_e32 v1, 7, v1
	v_and_b32_e32 v57, 0x8000, v57
	v_and_b32_e32 v56, 0xfc00, v56
	v_or3_b32 v56, v57, v56, v1
.LBB269_1010:                           ;   in Loop: Header=BB269_542 Depth=1
	s_or_b32 exec_lo, exec_lo, s19
.LBB269_1011:                           ;   in Loop: Header=BB269_542 Depth=1
	s_or_b32 exec_lo, exec_lo, s18
.LBB269_1012:                           ;   in Loop: Header=BB269_542 Depth=1
	s_or_b32 exec_lo, exec_lo, s17
	v_lshrrev_b16 v1, 8, v7
	s_mov_b32 s17, exec_lo
	v_cmpx_ne_u16_e32 0, v1
	s_cbranch_execz .LBB269_1020
; %bb.1013:                             ;   in Loop: Header=BB269_542 Depth=1
	v_bfrev_b32_e32 v55, 1
	s_mov_b32 s18, exec_lo
	v_cmpx_ne_u16_e32 0x80, v1
	s_cbranch_execz .LBB269_1019
; %bb.1014:                             ;   in Loop: Header=BB269_542 Depth=1
	v_and_b32_sdwa v58, v1, v27 dst_sel:DWORD dst_unused:UNUSED_PAD src0_sel:WORD_0 src1_sel:DWORD
	v_mov_b32_e32 v55, 0x7c010000
	s_mov_b32 s19, exec_lo
	v_cmpx_ne_u32_e32 0x7f, v58
	s_cbranch_execz .LBB269_1018
; %bb.1015:                             ;   in Loop: Header=BB269_542 Depth=1
	v_and_b32_sdwa v55, v1, v28 dst_sel:DWORD dst_unused:UNUSED_PAD src0_sel:WORD_0 src1_sel:DWORD
	v_lshrrev_b32_e32 v57, 3, v58
	s_mov_b32 s22, exec_lo
	v_cmpx_gt_u32_e32 8, v58
; %bb.1016:                             ;   in Loop: Header=BB269_542 Depth=1
	v_ffbh_u32_e32 v55, v55
	v_min_u32_e32 v55, 32, v55
	v_subrev_nc_u32_e32 v57, 28, v55
	v_lshlrev_b64 v[58:59], v57, v[1:2]
	v_sub_nc_u32_e32 v57, 29, v55
	v_and_b32_e32 v55, 7, v58
; %bb.1017:                             ;   in Loop: Header=BB269_542 Depth=1
	s_or_b32 exec_lo, exec_lo, s22
	v_lshlrev_b32_sdwa v1, v29, v1 dst_sel:DWORD dst_unused:UNUSED_PAD src0_sel:DWORD src1_sel:WORD_0
	v_lshl_add_u32 v57, v57, 10, 0x2000
	v_lshlrev_b32_e32 v55, 23, v55
	v_and_or_b32 v1, 0x8000, v1, v57
	v_lshl_or_b32 v55, v1, 16, v55
.LBB269_1018:                           ;   in Loop: Header=BB269_542 Depth=1
	s_or_b32 exec_lo, exec_lo, s19
.LBB269_1019:                           ;   in Loop: Header=BB269_542 Depth=1
	s_or_b32 exec_lo, exec_lo, s18
.LBB269_1020:                           ;   in Loop: Header=BB269_542 Depth=1
	s_or_b32 exec_lo, exec_lo, s17
	v_lshrrev_b32_e32 v1, 16, v7
	v_mov_b32_e32 v57, 0
	v_mov_b32_e32 v58, 0
	v_cmp_ne_u16_sdwa s1, v1, v2 src0_sel:BYTE_0 src1_sel:DWORD
	s_and_saveexec_b32 s17, s1
	s_cbranch_execz .LBB269_1028
; %bb.1021:                             ;   in Loop: Header=BB269_542 Depth=1
	v_cmp_ne_u16_sdwa s1, v1, v26 src0_sel:BYTE_0 src1_sel:DWORD
	v_mov_b32_e32 v58, 0x8000
	s_and_saveexec_b32 s18, s1
	s_cbranch_execz .LBB269_1027
; %bb.1022:                             ;   in Loop: Header=BB269_542 Depth=1
	v_bfe_u32 v60, v7, 16, 7
	v_mov_b32_e32 v58, 0x7c01
	s_mov_b32 s19, exec_lo
	v_cmpx_ne_u32_e32 0x7f, v60
	s_cbranch_execz .LBB269_1026
; %bb.1023:                             ;   in Loop: Header=BB269_542 Depth=1
	v_and_b32_e32 v58, 7, v1
	v_lshrrev_b32_e32 v59, 3, v60
	s_mov_b32 s22, exec_lo
	v_cmpx_gt_u32_e32 8, v60
; %bb.1024:                             ;   in Loop: Header=BB269_542 Depth=1
	v_ffbh_u32_e32 v58, v58
	v_min_u32_e32 v60, 32, v58
	v_subrev_nc_u32_e32 v58, 28, v60
	v_lshlrev_b64 v[58:59], v58, v[1:2]
	v_sub_nc_u32_e32 v59, 29, v60
	v_and_b32_e32 v58, 7, v58
; %bb.1025:                             ;   in Loop: Header=BB269_542 Depth=1
	s_or_b32 exec_lo, exec_lo, s22
	v_lshlrev_b32_e32 v1, 8, v1
	v_lshl_add_u32 v59, v59, 10, 0x2000
	v_lshlrev_b32_e32 v58, 7, v58
	v_and_b32_e32 v1, 0x8000, v1
	v_and_b32_e32 v59, 0xfc00, v59
	v_or3_b32 v58, v1, v59, v58
.LBB269_1026:                           ;   in Loop: Header=BB269_542 Depth=1
	s_or_b32 exec_lo, exec_lo, s19
.LBB269_1027:                           ;   in Loop: Header=BB269_542 Depth=1
	s_or_b32 exec_lo, exec_lo, s18
.LBB269_1028:                           ;   in Loop: Header=BB269_542 Depth=1
	s_or_b32 exec_lo, exec_lo, s17
	s_mov_b32 s17, exec_lo
	v_cmpx_lt_u32_e32 0xffffff, v7
	s_cbranch_execz .LBB269_1036
; %bb.1029:                             ;   in Loop: Header=BB269_542 Depth=1
	v_lshrrev_b32_e32 v1, 24, v7
	v_bfrev_b32_e32 v57, 1
	s_mov_b32 s18, exec_lo
	v_cmpx_ne_u32_e32 0x80, v1
	s_cbranch_execz .LBB269_1035
; %bb.1030:                             ;   in Loop: Header=BB269_542 Depth=1
	v_and_b32_e32 v60, 0x7f, v1
	v_mov_b32_e32 v57, 0x7c010000
	s_mov_b32 s19, exec_lo
	v_cmpx_ne_u32_e32 0x7f, v60
	s_cbranch_execz .LBB269_1034
; %bb.1031:                             ;   in Loop: Header=BB269_542 Depth=1
	v_and_b32_e32 v57, 7, v1
	v_lshrrev_b32_e32 v59, 3, v60
	s_mov_b32 s22, exec_lo
	v_cmpx_gt_u32_e32 8, v60
; %bb.1032:                             ;   in Loop: Header=BB269_542 Depth=1
	v_ffbh_u32_e32 v57, v57
	v_min_u32_e32 v57, 32, v57
	v_subrev_nc_u32_e32 v59, 28, v57
	v_lshlrev_b64 v[60:61], v59, v[1:2]
	v_sub_nc_u32_e32 v59, 29, v57
	v_and_b32_e32 v57, 7, v60
; %bb.1033:                             ;   in Loop: Header=BB269_542 Depth=1
	s_or_b32 exec_lo, exec_lo, s22
	v_lshlrev_b32_e32 v1, 8, v1
	v_lshl_add_u32 v59, v59, 10, 0x2000
	v_lshlrev_b32_e32 v57, 23, v57
	v_and_or_b32 v1, 0x8000, v1, v59
	v_lshl_or_b32 v57, v1, 16, v57
.LBB269_1034:                           ;   in Loop: Header=BB269_542 Depth=1
	s_or_b32 exec_lo, exec_lo, s19
.LBB269_1035:                           ;   in Loop: Header=BB269_542 Depth=1
	s_or_b32 exec_lo, exec_lo, s18
.LBB269_1036:                           ;   in Loop: Header=BB269_542 Depth=1
	s_or_b32 exec_lo, exec_lo, s17
	v_mov_b32_e32 v1, v8
	v_cmp_ne_u16_sdwa s1, v8, v2 src0_sel:BYTE_0 src1_sel:DWORD
	v_mov_b32_e32 v59, 0
	v_mov_b32_e32 v60, 0
	s_and_saveexec_b32 s17, s1
	s_cbranch_execz .LBB269_1044
; %bb.1037:                             ;   in Loop: Header=BB269_542 Depth=1
	v_cmp_ne_u16_sdwa s1, v8, v26 src0_sel:BYTE_0 src1_sel:DWORD
	v_mov_b32_e32 v60, 0x8000
	s_and_saveexec_b32 s18, s1
	s_cbranch_execz .LBB269_1043
; %bb.1038:                             ;   in Loop: Header=BB269_542 Depth=1
	v_and_b32_e32 v62, 0x7f, v8
	v_mov_b32_e32 v60, 0x7c01
	s_mov_b32 s19, exec_lo
	v_cmpx_ne_u32_e32 0x7f, v62
	s_cbranch_execz .LBB269_1042
; %bb.1039:                             ;   in Loop: Header=BB269_542 Depth=1
	v_and_b32_e32 v60, 7, v8
	v_lshrrev_b32_e32 v61, 3, v62
	s_mov_b32 s22, exec_lo
	v_cmpx_gt_u32_e32 8, v62
; %bb.1040:                             ;   in Loop: Header=BB269_542 Depth=1
	v_ffbh_u32_e32 v60, v60
	v_min_u32_e32 v62, 32, v60
	v_subrev_nc_u32_e32 v60, 28, v62
	v_lshlrev_b64 v[60:61], v60, v[1:2]
	v_sub_nc_u32_e32 v61, 29, v62
	v_and_b32_e32 v60, 7, v60
; %bb.1041:                             ;   in Loop: Header=BB269_542 Depth=1
	s_or_b32 exec_lo, exec_lo, s22
	v_lshlrev_b32_e32 v62, 8, v8
	v_lshl_add_u32 v61, v61, 10, 0x2000
	v_lshlrev_b32_e32 v60, 7, v60
	v_and_b32_e32 v62, 0x8000, v62
	v_and_b32_e32 v61, 0xfc00, v61
	v_or3_b32 v60, v62, v61, v60
.LBB269_1042:                           ;   in Loop: Header=BB269_542 Depth=1
	s_or_b32 exec_lo, exec_lo, s19
.LBB269_1043:                           ;   in Loop: Header=BB269_542 Depth=1
	s_or_b32 exec_lo, exec_lo, s18
.LBB269_1044:                           ;   in Loop: Header=BB269_542 Depth=1
	s_or_b32 exec_lo, exec_lo, s17
	v_lshrrev_b16 v1, 8, v1
	v_mov_b32_e32 v61, 0
	s_mov_b32 s17, exec_lo
	v_cmpx_ne_u16_e32 0, v1
	s_cbranch_execz .LBB269_1052
; %bb.1045:                             ;   in Loop: Header=BB269_542 Depth=1
	v_bfrev_b32_e32 v61, 1
	s_mov_b32 s18, exec_lo
	v_cmpx_ne_u16_e32 0x80, v1
	s_cbranch_execz .LBB269_1051
; %bb.1046:                             ;   in Loop: Header=BB269_542 Depth=1
	v_and_b32_sdwa v63, v1, v27 dst_sel:DWORD dst_unused:UNUSED_PAD src0_sel:WORD_0 src1_sel:DWORD
	v_mov_b32_e32 v61, 0x7c010000
	s_mov_b32 s19, exec_lo
	v_cmpx_ne_u32_e32 0x7f, v63
	s_cbranch_execz .LBB269_1050
; %bb.1047:                             ;   in Loop: Header=BB269_542 Depth=1
	v_and_b32_sdwa v61, v1, v28 dst_sel:DWORD dst_unused:UNUSED_PAD src0_sel:WORD_0 src1_sel:DWORD
	v_lshrrev_b32_e32 v62, 3, v63
	s_mov_b32 s22, exec_lo
	v_cmpx_gt_u32_e32 8, v63
; %bb.1048:                             ;   in Loop: Header=BB269_542 Depth=1
	v_ffbh_u32_e32 v61, v61
	v_min_u32_e32 v63, 32, v61
	v_subrev_nc_u32_e32 v61, 28, v63
	v_lshlrev_b64 v[61:62], v61, v[1:2]
	v_sub_nc_u32_e32 v62, 29, v63
	v_and_b32_e32 v61, 7, v61
; %bb.1049:                             ;   in Loop: Header=BB269_542 Depth=1
	s_or_b32 exec_lo, exec_lo, s22
	v_lshlrev_b32_sdwa v1, v29, v1 dst_sel:DWORD dst_unused:UNUSED_PAD src0_sel:DWORD src1_sel:WORD_0
	v_lshl_add_u32 v62, v62, 10, 0x2000
	v_lshlrev_b32_e32 v61, 23, v61
	v_and_or_b32 v1, 0x8000, v1, v62
	v_lshl_or_b32 v61, v1, 16, v61
.LBB269_1050:                           ;   in Loop: Header=BB269_542 Depth=1
	s_or_b32 exec_lo, exec_lo, s19
.LBB269_1051:                           ;   in Loop: Header=BB269_542 Depth=1
	s_or_b32 exec_lo, exec_lo, s18
.LBB269_1052:                           ;   in Loop: Header=BB269_542 Depth=1
	s_or_b32 exec_lo, exec_lo, s17
	v_lshrrev_b32_e32 v1, 16, v8
	v_cmp_ne_u16_sdwa s1, v1, v2 src0_sel:BYTE_0 src1_sel:DWORD
	s_and_saveexec_b32 s17, s1
	s_cbranch_execz .LBB269_1060
; %bb.1053:                             ;   in Loop: Header=BB269_542 Depth=1
	v_cmp_ne_u16_sdwa s1, v1, v26 src0_sel:BYTE_0 src1_sel:DWORD
	v_mov_b32_e32 v59, 0x8000
	s_and_saveexec_b32 s18, s1
	s_cbranch_execz .LBB269_1059
; %bb.1054:                             ;   in Loop: Header=BB269_542 Depth=1
	v_bfe_u32 v63, v8, 16, 7
	v_mov_b32_e32 v59, 0x7c01
	s_mov_b32 s19, exec_lo
	v_cmpx_ne_u32_e32 0x7f, v63
	s_cbranch_execz .LBB269_1058
; %bb.1055:                             ;   in Loop: Header=BB269_542 Depth=1
	v_and_b32_e32 v59, 7, v1
	v_lshrrev_b32_e32 v62, 3, v63
	s_mov_b32 s22, exec_lo
	v_cmpx_gt_u32_e32 8, v63
; %bb.1056:                             ;   in Loop: Header=BB269_542 Depth=1
	v_ffbh_u32_e32 v59, v59
	v_min_u32_e32 v59, 32, v59
	v_subrev_nc_u32_e32 v62, 28, v59
	v_lshlrev_b64 v[63:64], v62, v[1:2]
	v_sub_nc_u32_e32 v62, 29, v59
	v_and_b32_e32 v59, 7, v63
; %bb.1057:                             ;   in Loop: Header=BB269_542 Depth=1
	s_or_b32 exec_lo, exec_lo, s22
	v_lshlrev_b32_e32 v1, 8, v1
	v_lshl_add_u32 v62, v62, 10, 0x2000
	v_lshlrev_b32_e32 v59, 7, v59
	v_and_b32_e32 v1, 0x8000, v1
	v_and_b32_e32 v62, 0xfc00, v62
	v_or3_b32 v59, v1, v62, v59
.LBB269_1058:                           ;   in Loop: Header=BB269_542 Depth=1
	s_or_b32 exec_lo, exec_lo, s19
.LBB269_1059:                           ;   in Loop: Header=BB269_542 Depth=1
	s_or_b32 exec_lo, exec_lo, s18
.LBB269_1060:                           ;   in Loop: Header=BB269_542 Depth=1
	s_or_b32 exec_lo, exec_lo, s17
	v_cmp_lt_u64_e64 s1, s[2:3], v[7:8]
	v_mov_b32_e32 v7, 0
	s_and_saveexec_b32 s17, s1
	s_cbranch_execz .LBB269_1068
; %bb.1061:                             ;   in Loop: Header=BB269_542 Depth=1
	v_lshrrev_b32_e32 v1, 24, v8
	v_bfrev_b32_e32 v7, 1
	s_mov_b32 s18, exec_lo
	v_cmpx_ne_u32_e32 0x80, v1
	s_cbranch_execz .LBB269_1067
; %bb.1062:                             ;   in Loop: Header=BB269_542 Depth=1
	v_and_b32_e32 v62, 0x7f, v1
	v_mov_b32_e32 v7, 0x7c010000
	s_mov_b32 s19, exec_lo
	v_cmpx_ne_u32_e32 0x7f, v62
	s_cbranch_execz .LBB269_1066
; %bb.1063:                             ;   in Loop: Header=BB269_542 Depth=1
	v_and_b32_e32 v7, 7, v1
	v_lshrrev_b32_e32 v8, 3, v62
	s_mov_b32 s22, exec_lo
	v_cmpx_gt_u32_e32 8, v62
; %bb.1064:                             ;   in Loop: Header=BB269_542 Depth=1
	v_ffbh_u32_e32 v7, v7
	v_min_u32_e32 v62, 32, v7
	v_subrev_nc_u32_e32 v7, 28, v62
	v_lshlrev_b64 v[7:8], v7, v[1:2]
	v_sub_nc_u32_e32 v8, 29, v62
	v_and_b32_e32 v7, 7, v7
; %bb.1065:                             ;   in Loop: Header=BB269_542 Depth=1
	s_or_b32 exec_lo, exec_lo, s22
	v_lshlrev_b32_e32 v1, 8, v1
	v_lshl_add_u32 v8, v8, 10, 0x2000
	v_lshlrev_b32_e32 v7, 23, v7
	v_and_or_b32 v1, 0x8000, v1, v8
	v_lshl_or_b32 v7, v1, 16, v7
.LBB269_1066:                           ;   in Loop: Header=BB269_542 Depth=1
	s_or_b32 exec_lo, exec_lo, s19
.LBB269_1067:                           ;   in Loop: Header=BB269_542 Depth=1
	s_or_b32 exec_lo, exec_lo, s18
.LBB269_1068:                           ;   in Loop: Header=BB269_542 Depth=1
	s_or_b32 exec_lo, exec_lo, s17
	v_or_b32_e32 v1, v57, v58
	s_waitcnt vmcnt(0)
	v_fma_mixlo_f16 v8, v54, v57, 0 op_sel:[0,1,0] op_sel_hi:[0,1,0]
	v_or_b32_e32 v56, v55, v56
	v_fma_mixlo_f16 v57, v54, v55, 0 op_sel:[0,1,0] op_sel_hi:[0,1,0]
	v_or_b32_e32 v58, v61, v60
	v_fma_mixlo_f16 v1, v54, v1, 0 op_sel_hi:[0,1,0]
	v_or_b32_e32 v59, v7, v59
	v_lshlrev_b32_e32 v55, 16, v8
	v_lshlrev_b32_e32 v60, 16, v57
	v_fma_mixlo_f16 v8, v54, v56, 0 op_sel_hi:[0,1,0]
	v_and_b32_e32 v57, 0xffff, v1
	v_fma_mixlo_f16 v1, v54, v61, 0 op_sel:[0,1,0] op_sel_hi:[0,1,0]
	v_fma_mixlo_f16 v56, v54, v58, 0 op_sel_hi:[0,1,0]
	v_fma_mixlo_f16 v7, v54, v7, 0 op_sel:[0,1,0] op_sel_hi:[0,1,0]
	v_fma_mixlo_f16 v54, v54, v59, 0 op_sel_hi:[0,1,0]
	v_and_b32_e32 v62, 0xffff, v8
	v_lshlrev_b32_e32 v58, 16, v1
	v_and_b32_e32 v61, 0xffff, v56
	v_lshlrev_b32_e32 v56, 16, v7
	v_and_b32_e32 v59, 0xffff, v54
	v_or_b32_e32 v1, v55, v57
	v_or_b32_e32 v54, v60, v62
	;; [unrolled: 1-line block ×4, first 2 shown]
	s_and_saveexec_b32 s1, vcc_lo
	s_cbranch_execz .LBB269_541
; %bb.1069:                             ;   in Loop: Header=BB269_542 Depth=1
	v_cmp_gt_i32_e32 vcc_lo, s11, v31
	v_cndmask_b32_e32 v1, 0, v62, vcc_lo
	v_cmp_gt_i32_e32 vcc_lo, s11, v37
	v_cndmask_b32_e32 v7, 0, v60, vcc_lo
	v_cmp_gt_i32_e32 vcc_lo, s11, v36
	v_or_b32_e32 v54, v7, v1
	v_cndmask_b32_e32 v8, 0, v57, vcc_lo
	v_cmp_gt_i32_e32 vcc_lo, s11, v35
	v_cndmask_b32_e32 v31, 0, v55, vcc_lo
	v_cmp_gt_i32_e32 vcc_lo, s11, v34
	v_or_b32_e32 v1, v31, v8
	;; [unrolled: 5-line block ×3, first 2 shown]
	v_cndmask_b32_e32 v32, 0, v59, vcc_lo
	v_cmp_gt_i32_e32 vcc_lo, s11, v25
	v_cndmask_b32_e32 v35, 0, v56, vcc_lo
	v_or_b32_e32 v7, v35, v32
	s_branch .LBB269_541
.LBB269_1070:
	s_or_b32 exec_lo, exec_lo, s13
.LBB269_1071:
	s_or_b32 exec_lo, exec_lo, s4
	ds_bpermute_b32 v1, v16, v23
	ds_bpermute_b32 v2, v16, v24
	;; [unrolled: 1-line block ×8, first 2 shown]
	v_lshrrev_b32_e32 v9, 1, v17
	v_lshlrev_b32_e32 v13, 9, v13
	v_and_b32_e32 v17, 0x3c1, v0
	s_mov_b32 s1, exec_lo
	s_waitcnt lgkmcnt(0)
	v_lshl_add_u32 v10, v9, 2, 0x120
	s_barrier
	buffer_gl0_inv
	v_add_f32_e32 v8, v23, v1
	v_add_f32_e32 v7, v24, v2
	;; [unrolled: 1-line block ×8, first 2 shown]
	v_cmpx_eq_u32_e32 64, v17
	s_cbranch_execz .LBB269_1073
; %bb.1072:
	v_add_nc_u32_e32 v14, v10, v13
	v_add_nc_u32_e32 v15, 0xfffffc00, v14
	v_add_nc_u32_e32 v18, 0xfffffcc0, v14
	v_add_nc_u32_e32 v16, 0xfffffc40, v14
	v_add_nc_u32_e32 v19, 0xfffffd00, v14
	v_add_nc_u32_e32 v17, 0xfffffc80, v14
	v_add_nc_u32_e32 v20, 0xfffffd40, v14
	v_add_nc_u32_e32 v21, 0xfffffd80, v14
	v_add_nc_u32_e32 v14, 0xfffffdc0, v14
	ds_write_b32 v15, v8
	ds_write_b32 v16, v7
	ds_write_b32 v17, v6
	ds_write_b32 v18, v5
	ds_write_b32 v19, v4
	ds_write_b32 v20, v3
	ds_write_b32 v21, v2
	ds_write_b32 v14, v1
.LBB269_1073:
	s_or_b32 exec_lo, exec_lo, s1
	v_lshlrev_b32_e32 v9, 2, v9
	s_mov_b32 s2, exec_lo
	v_cmp_eq_u32_e32 vcc_lo, 0, v12
	s_waitcnt lgkmcnt(0)
	s_barrier
	v_add3_u32 v9, 0x120, v13, v9
	buffer_gl0_inv
	v_cmpx_gt_u32_e32 64, v0
	s_cbranch_execz .LBB269_1084
; %bb.1074:
	s_and_saveexec_b32 s1, vcc_lo
	s_cbranch_execnz .LBB269_1100
; %bb.1075:
	s_or_b32 exec_lo, exec_lo, s1
	s_and_saveexec_b32 s1, vcc_lo
	s_cbranch_execnz .LBB269_1101
.LBB269_1076:
	s_or_b32 exec_lo, exec_lo, s1
	s_and_saveexec_b32 s1, vcc_lo
	s_cbranch_execnz .LBB269_1102
.LBB269_1077:
	s_or_b32 exec_lo, exec_lo, s1
	s_and_saveexec_b32 s1, vcc_lo
	s_cbranch_execnz .LBB269_1103
.LBB269_1078:
	s_or_b32 exec_lo, exec_lo, s1
	s_and_saveexec_b32 s1, vcc_lo
	s_cbranch_execnz .LBB269_1104
.LBB269_1079:
	s_or_b32 exec_lo, exec_lo, s1
	s_and_saveexec_b32 s1, vcc_lo
	s_cbranch_execnz .LBB269_1105
.LBB269_1080:
	s_or_b32 exec_lo, exec_lo, s1
	s_and_saveexec_b32 s1, vcc_lo
	s_cbranch_execnz .LBB269_1106
.LBB269_1081:
	s_or_b32 exec_lo, exec_lo, s1
	s_and_saveexec_b32 s1, vcc_lo
	s_cbranch_execz .LBB269_1083
.LBB269_1082:
	ds_read_b32 v12, v9 offset:448
	s_waitcnt lgkmcnt(0)
	v_add_f32_e32 v1, v1, v12
.LBB269_1083:
	s_or_b32 exec_lo, exec_lo, s1
.LBB269_1084:
	s_or_b32 exec_lo, exec_lo, s2
	v_and_b32_e32 v0, 0x3e1, v0
	s_mov_b32 s2, exec_lo
	s_barrier
	buffer_gl0_inv
	v_cmpx_eq_u32_e32 32, v0
	s_cbranch_execz .LBB269_1086
; %bb.1085:
	ds_write2_b32 v10, v8, v7 offset1:16
	ds_write2_b32 v10, v6, v5 offset0:32 offset1:48
	ds_write2_b32 v10, v4, v3 offset0:64 offset1:80
	ds_write2_b32 v10, v2, v1 offset0:96 offset1:112
.LBB269_1086:
	s_or_b32 exec_lo, exec_lo, s2
	s_waitcnt lgkmcnt(0)
	s_barrier
	buffer_gl0_inv
	s_and_saveexec_b32 s1, s0
	s_cbranch_execz .LBB269_1097
; %bb.1087:
	s_and_saveexec_b32 s0, vcc_lo
	s_cbranch_execnz .LBB269_1107
; %bb.1088:
	s_or_b32 exec_lo, exec_lo, s0
	s_and_saveexec_b32 s0, vcc_lo
	s_cbranch_execnz .LBB269_1108
.LBB269_1089:
	s_or_b32 exec_lo, exec_lo, s0
	s_and_saveexec_b32 s0, vcc_lo
	s_cbranch_execnz .LBB269_1109
.LBB269_1090:
	s_or_b32 exec_lo, exec_lo, s0
	s_and_saveexec_b32 s0, vcc_lo
	s_cbranch_execnz .LBB269_1110
.LBB269_1091:
	s_or_b32 exec_lo, exec_lo, s0
	s_and_saveexec_b32 s0, vcc_lo
	s_cbranch_execnz .LBB269_1111
.LBB269_1092:
	s_or_b32 exec_lo, exec_lo, s0
	s_and_saveexec_b32 s0, vcc_lo
	s_cbranch_execnz .LBB269_1112
.LBB269_1093:
	s_or_b32 exec_lo, exec_lo, s0
	s_and_saveexec_b32 s0, vcc_lo
	s_cbranch_execnz .LBB269_1113
.LBB269_1094:
	s_or_b32 exec_lo, exec_lo, s0
	s_and_saveexec_b32 s0, vcc_lo
	s_cbranch_execz .LBB269_1096
.LBB269_1095:
	ds_read_b32 v9, v9 offset:448
	s_waitcnt lgkmcnt(0)
	v_add_f32_e32 v1, v1, v9
.LBB269_1096:
	s_or_b32 exec_lo, exec_lo, s0
.LBB269_1097:
	s_or_b32 exec_lo, exec_lo, s1
	s_barrier
	buffer_gl0_inv
	s_mov_b32 s0, exec_lo
	v_cmpx_eq_u32_e32 0, v0
	s_cbranch_execz .LBB269_1099
; %bb.1098:
	s_mul_i32 s0, s10, s7
	s_mul_i32 s2, s7, s6
	;; [unrolled: 1-line block ×3, first 2 shown]
	v_lshlrev_b32_e32 v0, 1, v11
	s_lshl_b32 s0, s0, 7
	;;#ASMSTART
	v_cvt_f16_f32 v8, v8;

	;;#ASMEND
	s_ashr_i32 s1, s0, 31
	s_lshl_b64 s[0:1], s[0:1], 1
	s_add_u32 s4, s20, s0
	s_addc_u32 s5, s21, s1
	s_ashr_i32 s3, s2, 31
	s_lshl_b64 s[0:1], s[2:3], 1
	s_add_u32 s2, s4, s0
	s_addc_u32 s3, s5, s1
	s_lshl_b32 s0, s8, 7
	s_ashr_i32 s1, s0, 31
	s_lshl_b64 s[0:1], s[0:1], 1
	s_add_u32 s0, s2, s0
	s_addc_u32 s1, s3, s1
	global_store_short v0, v8, s[0:1]
	;;#ASMSTART
	v_cvt_f16_f32 v7, v7;

	;;#ASMEND
	global_store_short v0, v7, s[0:1] offset:32
	;;#ASMSTART
	v_cvt_f16_f32 v6, v6;

	;;#ASMEND
	global_store_short v0, v6, s[0:1] offset:64
	;; [unrolled: 5-line block ×7, first 2 shown]
.LBB269_1099:
	s_endpgm
.LBB269_1100:
	ds_read_b32 v12, v9
	s_waitcnt lgkmcnt(0)
	v_add_f32_e32 v8, v8, v12
	s_or_b32 exec_lo, exec_lo, s1
	s_and_saveexec_b32 s1, vcc_lo
	s_cbranch_execz .LBB269_1076
.LBB269_1101:
	ds_read_b32 v12, v9 offset:64
	s_waitcnt lgkmcnt(0)
	v_add_f32_e32 v7, v7, v12
	s_or_b32 exec_lo, exec_lo, s1
	s_and_saveexec_b32 s1, vcc_lo
	s_cbranch_execz .LBB269_1077
.LBB269_1102:
	ds_read_b32 v12, v9 offset:128
	s_waitcnt lgkmcnt(0)
	v_add_f32_e32 v6, v6, v12
	s_or_b32 exec_lo, exec_lo, s1
	s_and_saveexec_b32 s1, vcc_lo
	s_cbranch_execz .LBB269_1078
.LBB269_1103:
	ds_read_b32 v12, v9 offset:192
	s_waitcnt lgkmcnt(0)
	v_add_f32_e32 v5, v5, v12
	s_or_b32 exec_lo, exec_lo, s1
	s_and_saveexec_b32 s1, vcc_lo
	s_cbranch_execz .LBB269_1079
.LBB269_1104:
	ds_read_b32 v12, v9 offset:256
	s_waitcnt lgkmcnt(0)
	v_add_f32_e32 v4, v4, v12
	s_or_b32 exec_lo, exec_lo, s1
	s_and_saveexec_b32 s1, vcc_lo
	s_cbranch_execz .LBB269_1080
.LBB269_1105:
	ds_read_b32 v12, v9 offset:320
	s_waitcnt lgkmcnt(0)
	v_add_f32_e32 v3, v3, v12
	s_or_b32 exec_lo, exec_lo, s1
	s_and_saveexec_b32 s1, vcc_lo
	s_cbranch_execz .LBB269_1081
.LBB269_1106:
	ds_read_b32 v12, v9 offset:384
	s_waitcnt lgkmcnt(0)
	v_add_f32_e32 v2, v2, v12
	s_or_b32 exec_lo, exec_lo, s1
	s_and_saveexec_b32 s1, vcc_lo
	s_cbranch_execnz .LBB269_1082
	s_branch .LBB269_1083
.LBB269_1107:
	ds_read_b32 v10, v9
	s_waitcnt lgkmcnt(0)
	v_add_f32_e32 v8, v8, v10
	s_or_b32 exec_lo, exec_lo, s0
	s_and_saveexec_b32 s0, vcc_lo
	s_cbranch_execz .LBB269_1089
.LBB269_1108:
	ds_read_b32 v10, v9 offset:64
	s_waitcnt lgkmcnt(0)
	v_add_f32_e32 v7, v7, v10
	s_or_b32 exec_lo, exec_lo, s0
	s_and_saveexec_b32 s0, vcc_lo
	s_cbranch_execz .LBB269_1090
.LBB269_1109:
	ds_read_b32 v10, v9 offset:128
	s_waitcnt lgkmcnt(0)
	v_add_f32_e32 v6, v6, v10
	s_or_b32 exec_lo, exec_lo, s0
	s_and_saveexec_b32 s0, vcc_lo
	s_cbranch_execz .LBB269_1091
.LBB269_1110:
	ds_read_b32 v10, v9 offset:192
	s_waitcnt lgkmcnt(0)
	v_add_f32_e32 v5, v5, v10
	s_or_b32 exec_lo, exec_lo, s0
	s_and_saveexec_b32 s0, vcc_lo
	s_cbranch_execz .LBB269_1092
.LBB269_1111:
	ds_read_b32 v10, v9 offset:256
	s_waitcnt lgkmcnt(0)
	v_add_f32_e32 v4, v4, v10
	s_or_b32 exec_lo, exec_lo, s0
	s_and_saveexec_b32 s0, vcc_lo
	s_cbranch_execz .LBB269_1093
.LBB269_1112:
	ds_read_b32 v10, v9 offset:320
	s_waitcnt lgkmcnt(0)
	v_add_f32_e32 v3, v3, v10
	s_or_b32 exec_lo, exec_lo, s0
	s_and_saveexec_b32 s0, vcc_lo
	s_cbranch_execz .LBB269_1094
.LBB269_1113:
	ds_read_b32 v10, v9 offset:384
	s_waitcnt lgkmcnt(0)
	v_add_f32_e32 v2, v2, v10
	s_or_b32 exec_lo, exec_lo, s0
	s_and_saveexec_b32 s0, vcc_lo
	s_cbranch_execnz .LBB269_1095
	s_branch .LBB269_1096
	.section	.rodata,"a",@progbits
	.p2align	6, 0x0
	.amdhsa_kernel _ZN4vllm25paged_attention_v1_kernelIthLi128ELi16ELi128ELNS_18Fp8KVCacheDataTypeE1ELb0EEEvPT_PKS2_PKT0_S8_ifPKiSA_iPKfiiiSC_SC_iiiii
		.amdhsa_group_segment_fixed_size 288
		.amdhsa_private_segment_fixed_size 0
		.amdhsa_kernarg_size 384
		.amdhsa_user_sgpr_count 6
		.amdhsa_user_sgpr_private_segment_buffer 1
		.amdhsa_user_sgpr_dispatch_ptr 0
		.amdhsa_user_sgpr_queue_ptr 0
		.amdhsa_user_sgpr_kernarg_segment_ptr 1
		.amdhsa_user_sgpr_dispatch_id 0
		.amdhsa_user_sgpr_flat_scratch_init 0
		.amdhsa_user_sgpr_private_segment_size 0
		.amdhsa_wavefront_size32 1
		.amdhsa_uses_dynamic_stack 0
		.amdhsa_system_sgpr_private_segment_wavefront_offset 0
		.amdhsa_system_sgpr_workgroup_id_x 1
		.amdhsa_system_sgpr_workgroup_id_y 1
		.amdhsa_system_sgpr_workgroup_id_z 1
		.amdhsa_system_sgpr_workgroup_info 0
		.amdhsa_system_vgpr_workitem_id 0
		.amdhsa_next_free_vgpr 127
		.amdhsa_next_free_sgpr 36
		.amdhsa_reserve_vcc 1
		.amdhsa_reserve_flat_scratch 0
		.amdhsa_float_round_mode_32 0
		.amdhsa_float_round_mode_16_64 0
		.amdhsa_float_denorm_mode_32 3
		.amdhsa_float_denorm_mode_16_64 3
		.amdhsa_dx10_clamp 1
		.amdhsa_ieee_mode 1
		.amdhsa_fp16_overflow 0
		.amdhsa_workgroup_processor_mode 1
		.amdhsa_memory_ordered 1
		.amdhsa_forward_progress 1
		.amdhsa_shared_vgpr_count 0
		.amdhsa_exception_fp_ieee_invalid_op 0
		.amdhsa_exception_fp_denorm_src 0
		.amdhsa_exception_fp_ieee_div_zero 0
		.amdhsa_exception_fp_ieee_overflow 0
		.amdhsa_exception_fp_ieee_underflow 0
		.amdhsa_exception_fp_ieee_inexact 0
		.amdhsa_exception_int_div_zero 0
	.end_amdhsa_kernel
	.section	.text._ZN4vllm25paged_attention_v1_kernelIthLi128ELi16ELi128ELNS_18Fp8KVCacheDataTypeE1ELb0EEEvPT_PKS2_PKT0_S8_ifPKiSA_iPKfiiiSC_SC_iiiii,"axG",@progbits,_ZN4vllm25paged_attention_v1_kernelIthLi128ELi16ELi128ELNS_18Fp8KVCacheDataTypeE1ELb0EEEvPT_PKS2_PKT0_S8_ifPKiSA_iPKfiiiSC_SC_iiiii,comdat
.Lfunc_end269:
	.size	_ZN4vllm25paged_attention_v1_kernelIthLi128ELi16ELi128ELNS_18Fp8KVCacheDataTypeE1ELb0EEEvPT_PKS2_PKT0_S8_ifPKiSA_iPKfiiiSC_SC_iiiii, .Lfunc_end269-_ZN4vllm25paged_attention_v1_kernelIthLi128ELi16ELi128ELNS_18Fp8KVCacheDataTypeE1ELb0EEEvPT_PKS2_PKT0_S8_ifPKiSA_iPKfiiiSC_SC_iiiii
                                        ; -- End function
	.set _ZN4vllm25paged_attention_v1_kernelIthLi128ELi16ELi128ELNS_18Fp8KVCacheDataTypeE1ELb0EEEvPT_PKS2_PKT0_S8_ifPKiSA_iPKfiiiSC_SC_iiiii.num_vgpr, 127
	.set _ZN4vllm25paged_attention_v1_kernelIthLi128ELi16ELi128ELNS_18Fp8KVCacheDataTypeE1ELb0EEEvPT_PKS2_PKT0_S8_ifPKiSA_iPKfiiiSC_SC_iiiii.num_agpr, 0
	.set _ZN4vllm25paged_attention_v1_kernelIthLi128ELi16ELi128ELNS_18Fp8KVCacheDataTypeE1ELb0EEEvPT_PKS2_PKT0_S8_ifPKiSA_iPKfiiiSC_SC_iiiii.numbered_sgpr, 36
	.set _ZN4vllm25paged_attention_v1_kernelIthLi128ELi16ELi128ELNS_18Fp8KVCacheDataTypeE1ELb0EEEvPT_PKS2_PKT0_S8_ifPKiSA_iPKfiiiSC_SC_iiiii.num_named_barrier, 0
	.set _ZN4vllm25paged_attention_v1_kernelIthLi128ELi16ELi128ELNS_18Fp8KVCacheDataTypeE1ELb0EEEvPT_PKS2_PKT0_S8_ifPKiSA_iPKfiiiSC_SC_iiiii.private_seg_size, 0
	.set _ZN4vllm25paged_attention_v1_kernelIthLi128ELi16ELi128ELNS_18Fp8KVCacheDataTypeE1ELb0EEEvPT_PKS2_PKT0_S8_ifPKiSA_iPKfiiiSC_SC_iiiii.uses_vcc, 1
	.set _ZN4vllm25paged_attention_v1_kernelIthLi128ELi16ELi128ELNS_18Fp8KVCacheDataTypeE1ELb0EEEvPT_PKS2_PKT0_S8_ifPKiSA_iPKfiiiSC_SC_iiiii.uses_flat_scratch, 0
	.set _ZN4vllm25paged_attention_v1_kernelIthLi128ELi16ELi128ELNS_18Fp8KVCacheDataTypeE1ELb0EEEvPT_PKS2_PKT0_S8_ifPKiSA_iPKfiiiSC_SC_iiiii.has_dyn_sized_stack, 0
	.set _ZN4vllm25paged_attention_v1_kernelIthLi128ELi16ELi128ELNS_18Fp8KVCacheDataTypeE1ELb0EEEvPT_PKS2_PKT0_S8_ifPKiSA_iPKfiiiSC_SC_iiiii.has_recursion, 0
	.set _ZN4vllm25paged_attention_v1_kernelIthLi128ELi16ELi128ELNS_18Fp8KVCacheDataTypeE1ELb0EEEvPT_PKS2_PKT0_S8_ifPKiSA_iPKfiiiSC_SC_iiiii.has_indirect_call, 0
	.section	.AMDGPU.csdata,"",@progbits
; Kernel info:
; codeLenInByte = 35960
; TotalNumSgprs: 38
; NumVgprs: 127
; ScratchSize: 0
; MemoryBound: 0
; FloatMode: 240
; IeeeMode: 1
; LDSByteSize: 288 bytes/workgroup (compile time only)
; SGPRBlocks: 0
; VGPRBlocks: 15
; NumSGPRsForWavesPerEU: 38
; NumVGPRsForWavesPerEU: 127
; Occupancy: 8
; WaveLimiterHint : 1
; COMPUTE_PGM_RSRC2:SCRATCH_EN: 0
; COMPUTE_PGM_RSRC2:USER_SGPR: 6
; COMPUTE_PGM_RSRC2:TRAP_HANDLER: 0
; COMPUTE_PGM_RSRC2:TGID_X_EN: 1
; COMPUTE_PGM_RSRC2:TGID_Y_EN: 1
; COMPUTE_PGM_RSRC2:TGID_Z_EN: 1
; COMPUTE_PGM_RSRC2:TIDIG_COMP_CNT: 0
	.text
	.p2align	2                               ; -- Begin function _ZN4vllm22paged_attention_kernelIthLi192ELi16ELi128ELNS_18Fp8KVCacheDataTypeE1ELb0ELi0EEEvPfS2_PT_PKS3_PKT0_S9_ifPKiSB_iPKfiiiSD_SD_iiiii
	.type	_ZN4vllm22paged_attention_kernelIthLi192ELi16ELi128ELNS_18Fp8KVCacheDataTypeE1ELb0ELi0EEEvPfS2_PT_PKS3_PKT0_S9_ifPKiSB_iPKfiiiSD_SD_iiiii,@function
_ZN4vllm22paged_attention_kernelIthLi192ELi16ELi128ELNS_18Fp8KVCacheDataTypeE1ELb0ELi0EEEvPfS2_PT_PKS3_PKT0_S9_ifPKiSB_iPKfiiiSD_SD_iiiii: ; @_ZN4vllm22paged_attention_kernelIthLi192ELi16ELi128ELNS_18Fp8KVCacheDataTypeE1ELb0ELi0EEEvPfS2_PT_PKS3_PKT0_S9_ifPKiSB_iPKfiiiSD_SD_iiiii
; %bb.0:
	s_waitcnt vmcnt(0) expcnt(0) lgkmcnt(0)
	buffer_store_dword v40, off, s[0:3], s32 offset:188 ; 4-byte Folded Spill
	buffer_store_dword v41, off, s[0:3], s32 offset:184 ; 4-byte Folded Spill
	;; [unrolled: 1-line block ×47, first 2 shown]
	buffer_store_dword v127, off, s[0:3], s32 ; 4-byte Folded Spill
	s_mov_b32 s10, s13
	s_ashr_i32 s11, s13, 31
	buffer_store_dword v9, off, s[0:3], s32 offset:204 ; 4-byte Folded Spill
	s_lshl_b64 s[4:5], s[10:11], 2
	buffer_store_dword v1, off, s[0:3], s32 offset:212 ; 4-byte Folded Spill
	buffer_store_dword v0, off, s[0:3], s32 offset:216 ; 4-byte Folded Spill
	v_add_co_u32 v0, vcc_lo, v12, s4
	v_add_co_ci_u32_e64 v1, null, s5, v13, vcc_lo
	s_clause 0x1
	s_load_dword s4, s[8:9], 0x10
	s_load_dword s5, s[8:9], 0x0
	v_mov_b32_e32 v27, v6
	flat_load_dword v29, v[0:1]
	v_sub_nc_u32_e32 v0, 0, v8
	v_mov_b32_e32 v26, v7
	s_mov_b32 s16, s15
	v_max_i32_e32 v0, v8, v0
	v_cvt_f32_u32_e32 v1, v0
	v_sub_nc_u32_e32 v6, 0, v0
	v_rcp_iflag_f32_e32 v1, v1
	s_waitcnt lgkmcnt(0)
	s_lshr_b32 s4, s4, 16
	s_cmp_lg_u32 s4, 0
	s_cselect_b32 s4, -1, 0
	s_cmp_lg_u32 s4, 0
	s_addc_u32 s11, s5, 0
	v_mul_f32_e32 v1, 0x4f7ffffe, v1
	s_abs_i32 s4, s11
	s_mov_b32 s5, exec_lo
	v_cvt_u32_f32_e32 v1, v1
	v_mul_lo_u32 v6, v6, v1
	v_mul_hi_u32 v6, v1, v6
	v_add_nc_u32_e32 v1, v1, v6
	v_mul_hi_u32 v1, s4, v1
	v_mul_lo_u32 v6, v1, v0
	v_add_nc_u32_e32 v7, 1, v1
	v_sub_nc_u32_e32 v6, s4, v6
	s_abs_i32 s4, s12
	v_sub_nc_u32_e32 v9, v6, v0
	v_cmp_ge_u32_e32 vcc_lo, v6, v0
	v_cndmask_b32_e32 v1, v1, v7, vcc_lo
	v_cndmask_b32_e32 v6, v6, v9, vcc_lo
	v_xor_b32_e32 v7, s11, v8
	v_add_nc_u32_e32 v8, 1, v1
	v_cmp_ge_u32_e32 vcc_lo, v6, v0
	v_ashrrev_i32_e32 v7, 31, v7
	v_cndmask_b32_e32 v0, v1, v8, vcc_lo
	v_xor_b32_e32 v0, v0, v7
	v_sub_nc_u32_e32 v1, v0, v7
	v_sub_nc_u32_e32 v0, 0, v1
	v_max_i32_e32 v0, v1, v0
	v_cvt_f32_u32_e32 v6, v0
	v_sub_nc_u32_e32 v7, 0, v0
	v_rcp_iflag_f32_e32 v6, v6
	v_mul_f32_e32 v6, 0x4f7ffffe, v6
	v_cvt_u32_f32_e32 v6, v6
	v_mul_lo_u32 v7, v7, v6
	v_mul_hi_u32 v7, v6, v7
	v_add_nc_u32_e32 v6, v6, v7
	v_mad_u64_u32 v[12:13], null, s4, v6, 0
	v_mov_b32_e32 v6, 0
	buffer_store_dword v6, off, s[0:3], s32 offset:200 ; 4-byte Folded Spill
	v_cmpx_ne_u64_e32 0, v[15:16]
	s_cbranch_execz .LBB270_2
; %bb.1:
	s_ashr_i32 s13, s12, 31
	s_lshl_b64 s[6:7], s[12:13], 2
	v_add_co_u32 v6, vcc_lo, v15, s6
	v_add_co_ci_u32_e64 v7, null, s7, v16, vcc_lo
	flat_load_dword v6, v[6:7]
	s_waitcnt vmcnt(0) lgkmcnt(0)
	buffer_store_dword v6, off, s[0:3], s32 offset:200 ; 4-byte Folded Spill
.LBB270_2:
	s_or_b32 exec_lo, exec_lo, s5
	v_and_b32_e32 v30, 0x3ff, v31
	v_ashrrev_i32_e32 v1, 31, v1
	v_bfe_u32 v6, v31, 1, 9
	v_and_b32_e32 v40, 1, v31
	s_ashr_i32 s5, s12, 31
	v_lshlrev_b32_e32 v28, 3, v30
	s_mulk_i32 s12, 0xc0
	s_mov_b32 s6, exec_lo
	buffer_store_dword v6, off, s[0:3], s32 offset:208 ; 4-byte Folded Spill
	v_cmpx_gt_u32_e32 48, v30
	s_cbranch_execz .LBB270_4
; %bb.3:
	v_mul_lo_u32 v6, v17, s10
	s_ashr_i32 s13, s12, 31
	s_lshl_b64 s[18:19], s[12:13], 1
	v_ashrrev_i32_e32 v7, 31, v6
	v_lshlrev_b64 v[6:7], 1, v[6:7]
	v_add_co_u32 v2, vcc_lo, v2, v6
	v_add_co_ci_u32_e64 v3, null, v3, v7, vcc_lo
	buffer_load_dword v6, off, s[0:3], s32 offset:208 ; 4-byte Folded Reload
	v_add_co_u32 v2, vcc_lo, v2, s18
	v_add_co_ci_u32_e64 v3, null, s19, v3, vcc_lo
	v_add_co_u32 v2, vcc_lo, v2, v28
	v_add_co_ci_u32_e64 v3, null, 0, v3, vcc_lo
	flat_load_dwordx2 v[2:3], v[2:3]
	s_waitcnt vmcnt(1)
	v_lshlrev_b32_e32 v6, 3, v6
	v_mad_u32_u24 v6, 0xc0, v40, v6
	s_waitcnt vmcnt(0) lgkmcnt(0)
	ds_write_b64 v6, v[2:3]
.LBB270_4:
	s_or_b32 exec_lo, exec_lo, s6
	v_mul_lo_u32 v2, v13, v0
	s_waitcnt vmcnt(0)
	v_add_nc_u32_e32 v3, 15, v29
	v_add_nc_u32_e32 v6, 1, v13
	v_xor_b32_e32 v1, s5, v1
	v_lshrrev_b32_e32 v64, 5, v30
	v_mbcnt_lo_u32_b32 v35, -1, 0
	v_ashrrev_i32_e32 v7, 31, v3
	s_waitcnt lgkmcnt(0)
	s_waitcnt_vscnt null, 0x0
	v_sub_nc_u32_e32 v2, s4, v2
	s_barrier
	buffer_gl0_inv
	v_lshrrev_b32_e32 v7, 28, v7
                                        ; implicit-def: $vgpr9
	v_sub_nc_u32_e32 v8, v2, v0
	v_cmp_ge_u32_e32 vcc_lo, v2, v0
	v_add_nc_u32_e32 v3, v3, v7
	v_cndmask_b32_e32 v6, v13, v6, vcc_lo
	v_cndmask_b32_e32 v2, v2, v8, vcc_lo
	v_ashrrev_i32_e32 v31, 4, v3
                                        ; implicit-def: $vgpr13
	v_add_nc_u32_e32 v8, 1, v6
	v_cmp_ge_u32_e32 vcc_lo, v2, v0
	v_mul_lo_u32 v2, v14, s10
	v_cmp_ge_i32_e64 s4, v64, v31
	v_cndmask_b32_e32 v0, v6, v8, vcc_lo
	v_ashrrev_i32_e32 v3, 31, v2
	v_xor_b32_e32 v0, v0, v1
	v_sub_nc_u32_e32 v0, v0, v1
	s_and_saveexec_b32 s5, s4
	s_xor_b32 s5, exec_lo, s5
; %bb.5:
	v_mov_b32_e32 v13, 0
	v_mbcnt_lo_u32_b32 v35, -1, 0
	v_mov_b32_e32 v9, 32
                                        ; implicit-def: $vgpr1
                                        ; kill: killed $vgpr1
                                        ; implicit-def: $vgpr1
                                        ; kill: killed $vgpr1
                                        ; implicit-def: $vgpr20
                                        ; implicit-def: $vgpr4
                                        ; implicit-def: $vgpr5
; %bb.6:
	s_or_saveexec_b32 s15, s5
	s_clause 0x1
	s_load_dword s18, s[8:9], 0x14
	s_load_dword s13, s[8:9], 0x8
	v_mul_lo_u32 v32, v0, v19
	v_lshlrev_b64 v[33:34], 2, v[2:3]
	v_mov_b32_e32 v38, 0xff7fffff
	v_lshrrev_b32_e32 v19, 3, v30
	v_ashrrev_i32_e32 v48, 31, v32
	s_xor_b32 exec_lo, exec_lo, s15
	s_cbranch_execz .LBB270_780
; %bb.7:
	v_bfe_u32 v0, v30, 1, 4
	v_add_co_u32 v2, vcc_lo, v4, v32
	v_add_co_ci_u32_e64 v3, null, v5, v48, vcc_lo
	v_lshlrev_b32_e32 v1, 4, v0
	buffer_store_dword v28, off, s[0:3], s32 offset:248 ; 4-byte Folded Spill
	buffer_store_dword v27, off, s[0:3], s32 offset:244 ; 4-byte Folded Spill
	;; [unrolled: 1-line block ×6, first 2 shown]
	v_lshlrev_b32_e32 v39, 2, v40
	v_add_co_u32 v1, vcc_lo, v2, v1
	v_add_co_ci_u32_e64 v2, null, 0, v3, vcc_lo
	v_lshlrev_b32_e32 v3, 2, v0
	s_ashr_i32 s17, s16, 31
	v_mov_b32_e32 v13, 0
	buffer_store_dword v1, off, s[0:3], s32 offset:192 ; 4-byte Folded Spill
	buffer_store_dword v2, off, s[0:3], s32 offset:196 ; 4-byte Folded Spill
	buffer_load_dword v1, off, s[0:3], s32 offset:200 ; 4-byte Folded Reload
	buffer_store_dword v40, off, s[0:3], s32 offset:224 ; 4-byte Folded Spill
	buffer_store_dword v19, off, s[0:3], s32 offset:260 ; 4-byte Folded Spill
	v_mul_u32_u24_e32 v48, 0xc0, v40
	v_or_b32_e32 v49, 8, v39
	s_lshl_b64 s[8:9], s[16:17], 2
	v_lshl_or_b32 v50, v64, 4, v0
	v_lshl_or_b32 v51, v64, 6, v3
	v_mov_b32_e32 v38, 0xff7fffff
	v_mov_b32_e32 v52, 0x80
	;; [unrolled: 1-line block ×5, first 2 shown]
	s_getpc_b64 s[20:21]
	s_add_u32 s20, s20, llvm.amdgcn.dynlds.offset.table@rel32@lo+4
	s_addc_u32 s21, s21, llvm.amdgcn.dynlds.offset.table@rel32@hi+12
	s_add_u32 s8, s20, s8
	s_mov_b32 s17, 0
	s_addc_u32 s9, s21, s9
	v_cmp_eq_u32_e32 vcc_lo, 0, v40
	s_waitcnt vmcnt(0)
	v_cmp_neq_f32_e64 s5, 0, v1
	v_and_b32_e32 v1, 0x7c, v19
	v_add_co_u32 v1, s6, v1, v33
	buffer_store_dword v33, off, s[0:3], s32 offset:252 ; 4-byte Folded Spill
	buffer_store_dword v34, off, s[0:3], s32 offset:256 ; 4-byte Folded Spill
	;; [unrolled: 1-line block ×5, first 2 shown]
	v_add_co_ci_u32_e64 v2, null, 0, v34, s6
	v_add_co_u32 v14, s6, v10, v1
	v_add_co_ci_u32_e64 v15, null, v11, v2, s6
	s_branch .LBB270_9
.LBB270_8:                              ;   in Loop: Header=BB270_9 Depth=1
	s_or_b32 exec_lo, exec_lo, s7
	v_add_nc_u32_e32 v64, 4, v64
	v_add_co_u32 v14, s7, v14, 16
	v_add_co_ci_u32_e64 v15, null, 0, v15, s7
	v_cmp_ge_i32_e64 s6, v64, v31
	v_add_nc_u32_e32 v50, 64, v50
	v_add_nc_u32_e32 v51, 0x100, v51
	s_or_b32 s17, s6, s17
	s_andn2_b32 exec_lo, exec_lo, s17
	s_cbranch_execz .LBB270_779
.LBB270_9:                              ; =>This Inner Loop Header: Depth=1
	flat_load_dword v0, v[14:15]
	s_waitcnt lgkmcnt(0)
	s_clause 0x1
	buffer_load_dword v1, off, s[0:3], s32 offset:192
	buffer_load_dword v2, off, s[0:3], s32 offset:196
	v_mov_b32_e32 v66, 0
	s_waitcnt vmcnt(0) lgkmcnt(0)
	v_mad_i64_i32 v[16:17], null, v0, v18, v[1:2]
	v_add_co_u32 v24, s6, v16, v39
	v_add_co_ci_u32_e64 v25, null, 0, v17, s6
	flat_load_dword v8, v[24:25]
	flat_load_dword v65, v[20:21]
	s_waitcnt vmcnt(1) lgkmcnt(1)
	v_cmp_ne_u16_sdwa s6, v8, v13 src0_sel:BYTE_0 src1_sel:DWORD
	s_and_saveexec_b32 s7, s6
	s_cbranch_execz .LBB270_17
; %bb.10:                               ;   in Loop: Header=BB270_9 Depth=1
	v_cmp_ne_u16_sdwa s6, v8, v52 src0_sel:BYTE_0 src1_sel:DWORD
	v_mov_b32_e32 v66, 0x8000
	s_and_saveexec_b32 s19, s6
	s_cbranch_execz .LBB270_16
; %bb.11:                               ;   in Loop: Header=BB270_9 Depth=1
	v_and_b32_e32 v2, 0x7f, v8
	v_mov_b32_e32 v66, 0x7c01
	s_mov_b32 s20, exec_lo
	v_cmpx_ne_u32_e32 0x7f, v2
	s_cbranch_execz .LBB270_15
; %bb.12:                               ;   in Loop: Header=BB270_9 Depth=1
	v_and_b32_e32 v0, 7, v8
	v_lshrrev_b32_e32 v1, 3, v2
	s_mov_b32 s21, exec_lo
	v_cmpx_gt_u32_e32 8, v2
; %bb.13:                               ;   in Loop: Header=BB270_9 Depth=1
	v_ffbh_u32_e32 v0, v0
	v_min_u32_e32 v2, 32, v0
	v_subrev_nc_u32_e32 v0, 28, v2
	v_lshlrev_b64 v[0:1], v0, v[8:9]
	v_sub_nc_u32_e32 v1, 29, v2
	v_and_b32_e32 v0, 7, v0
; %bb.14:                               ;   in Loop: Header=BB270_9 Depth=1
	s_or_b32 exec_lo, exec_lo, s21
	v_lshlrev_b32_e32 v2, 8, v8
	v_lshl_add_u32 v1, v1, 10, 0x2000
	v_lshlrev_b32_e32 v0, 7, v0
	v_and_b32_e32 v2, 0x8000, v2
	v_and_b32_e32 v1, 0xfc00, v1
	v_or3_b32 v66, v2, v1, v0
.LBB270_15:                             ;   in Loop: Header=BB270_9 Depth=1
	s_or_b32 exec_lo, exec_lo, s20
.LBB270_16:                             ;   in Loop: Header=BB270_9 Depth=1
	s_or_b32 exec_lo, exec_lo, s19
.LBB270_17:                             ;   in Loop: Header=BB270_9 Depth=1
	s_or_b32 exec_lo, exec_lo, s7
	v_lshrrev_b16 v12, 8, v8
	v_mov_b32_e32 v67, 0
	s_mov_b32 s7, exec_lo
	v_cmpx_ne_u16_e32 0, v12
	s_cbranch_execz .LBB270_25
; %bb.18:                               ;   in Loop: Header=BB270_9 Depth=1
	v_bfrev_b32_e32 v67, 1
	s_mov_b32 s19, exec_lo
	v_cmpx_ne_u16_e32 0x80, v12
	s_cbranch_execz .LBB270_24
; %bb.19:                               ;   in Loop: Header=BB270_9 Depth=1
	v_and_b32_sdwa v2, v12, v53 dst_sel:DWORD dst_unused:UNUSED_PAD src0_sel:WORD_0 src1_sel:DWORD
	v_mov_b32_e32 v67, 0x7c010000
	s_mov_b32 s20, exec_lo
	v_cmpx_ne_u32_e32 0x7f, v2
	s_cbranch_execz .LBB270_23
; %bb.20:                               ;   in Loop: Header=BB270_9 Depth=1
	v_and_b32_sdwa v0, v12, v54 dst_sel:DWORD dst_unused:UNUSED_PAD src0_sel:WORD_0 src1_sel:DWORD
	v_lshrrev_b32_e32 v1, 3, v2
	s_mov_b32 s21, exec_lo
	v_cmpx_gt_u32_e32 8, v2
; %bb.21:                               ;   in Loop: Header=BB270_9 Depth=1
	v_ffbh_u32_e32 v0, v0
	v_min_u32_e32 v2, 32, v0
	v_subrev_nc_u32_e32 v0, 28, v2
	v_lshlrev_b64 v[0:1], v0, v[12:13]
	v_sub_nc_u32_e32 v1, 29, v2
	v_and_b32_e32 v0, 7, v0
; %bb.22:                               ;   in Loop: Header=BB270_9 Depth=1
	s_or_b32 exec_lo, exec_lo, s21
	v_lshlrev_b32_sdwa v2, v55, v12 dst_sel:DWORD dst_unused:UNUSED_PAD src0_sel:DWORD src1_sel:WORD_0
	v_lshl_add_u32 v1, v1, 10, 0x2000
	v_lshlrev_b32_e32 v0, 23, v0
	v_and_or_b32 v1, 0x8000, v2, v1
	v_lshl_or_b32 v67, v1, 16, v0
.LBB270_23:                             ;   in Loop: Header=BB270_9 Depth=1
	s_or_b32 exec_lo, exec_lo, s20
.LBB270_24:                             ;   in Loop: Header=BB270_9 Depth=1
	s_or_b32 exec_lo, exec_lo, s19
.LBB270_25:                             ;   in Loop: Header=BB270_9 Depth=1
	s_or_b32 exec_lo, exec_lo, s7
	v_lshrrev_b32_e32 v12, 16, v8
	v_mov_b32_e32 v68, 0
	v_mov_b32_e32 v69, 0
	v_cmp_ne_u16_sdwa s6, v12, v13 src0_sel:BYTE_0 src1_sel:DWORD
	s_and_saveexec_b32 s7, s6
	s_cbranch_execz .LBB270_33
; %bb.26:                               ;   in Loop: Header=BB270_9 Depth=1
	v_cmp_ne_u16_sdwa s6, v12, v52 src0_sel:BYTE_0 src1_sel:DWORD
	v_mov_b32_e32 v69, 0x8000
	s_and_saveexec_b32 s19, s6
	s_cbranch_execz .LBB270_32
; %bb.27:                               ;   in Loop: Header=BB270_9 Depth=1
	v_bfe_u32 v2, v8, 16, 7
	v_mov_b32_e32 v69, 0x7c01
	s_mov_b32 s20, exec_lo
	v_cmpx_ne_u32_e32 0x7f, v2
	s_cbranch_execz .LBB270_31
; %bb.28:                               ;   in Loop: Header=BB270_9 Depth=1
	v_and_b32_e32 v0, 7, v12
	v_lshrrev_b32_e32 v1, 3, v2
	s_mov_b32 s21, exec_lo
	v_cmpx_gt_u32_e32 8, v2
; %bb.29:                               ;   in Loop: Header=BB270_9 Depth=1
	v_ffbh_u32_e32 v0, v0
	v_min_u32_e32 v2, 32, v0
	v_subrev_nc_u32_e32 v0, 28, v2
	v_lshlrev_b64 v[0:1], v0, v[12:13]
	v_sub_nc_u32_e32 v1, 29, v2
	v_and_b32_e32 v0, 7, v0
; %bb.30:                               ;   in Loop: Header=BB270_9 Depth=1
	s_or_b32 exec_lo, exec_lo, s21
	v_lshlrev_b32_e32 v2, 8, v12
	v_lshl_add_u32 v1, v1, 10, 0x2000
	v_lshlrev_b32_e32 v0, 7, v0
	v_and_b32_e32 v2, 0x8000, v2
	v_and_b32_e32 v1, 0xfc00, v1
	v_or3_b32 v69, v2, v1, v0
.LBB270_31:                             ;   in Loop: Header=BB270_9 Depth=1
	s_or_b32 exec_lo, exec_lo, s20
.LBB270_32:                             ;   in Loop: Header=BB270_9 Depth=1
	s_or_b32 exec_lo, exec_lo, s19
.LBB270_33:                             ;   in Loop: Header=BB270_9 Depth=1
	s_or_b32 exec_lo, exec_lo, s7
	s_mov_b32 s7, exec_lo
	v_cmpx_lt_u32_e32 0xffffff, v8
	s_cbranch_execz .LBB270_41
; %bb.34:                               ;   in Loop: Header=BB270_9 Depth=1
	v_lshrrev_b32_e32 v12, 24, v8
	v_bfrev_b32_e32 v68, 1
	s_mov_b32 s19, exec_lo
	v_cmpx_ne_u32_e32 0x80, v12
	s_cbranch_execz .LBB270_40
; %bb.35:                               ;   in Loop: Header=BB270_9 Depth=1
	v_and_b32_e32 v2, 0x7f, v12
	v_mov_b32_e32 v68, 0x7c010000
	s_mov_b32 s20, exec_lo
	v_cmpx_ne_u32_e32 0x7f, v2
	s_cbranch_execz .LBB270_39
; %bb.36:                               ;   in Loop: Header=BB270_9 Depth=1
	v_and_b32_e32 v0, 7, v12
	v_lshrrev_b32_e32 v1, 3, v2
	s_mov_b32 s21, exec_lo
	v_cmpx_gt_u32_e32 8, v2
; %bb.37:                               ;   in Loop: Header=BB270_9 Depth=1
	v_ffbh_u32_e32 v0, v0
	v_min_u32_e32 v2, 32, v0
	v_subrev_nc_u32_e32 v0, 28, v2
	v_lshlrev_b64 v[0:1], v0, v[12:13]
	v_sub_nc_u32_e32 v1, 29, v2
	v_and_b32_e32 v0, 7, v0
; %bb.38:                               ;   in Loop: Header=BB270_9 Depth=1
	s_or_b32 exec_lo, exec_lo, s21
	v_lshlrev_b32_e32 v2, 8, v12
	v_lshl_add_u32 v1, v1, 10, 0x2000
	v_lshlrev_b32_e32 v0, 23, v0
	v_and_or_b32 v1, 0x8000, v2, v1
	v_lshl_or_b32 v68, v1, 16, v0
.LBB270_39:                             ;   in Loop: Header=BB270_9 Depth=1
	s_or_b32 exec_lo, exec_lo, s20
.LBB270_40:                             ;   in Loop: Header=BB270_9 Depth=1
	s_or_b32 exec_lo, exec_lo, s19
.LBB270_41:                             ;   in Loop: Header=BB270_9 Depth=1
	s_or_b32 exec_lo, exec_lo, s7
	flat_load_dword v8, v[24:25] offset:8
	v_mov_b32_e32 v70, 0
	v_mov_b32_e32 v71, 0
	s_waitcnt vmcnt(0) lgkmcnt(0)
	v_cmp_ne_u16_sdwa s6, v8, v13 src0_sel:BYTE_0 src1_sel:DWORD
	s_and_saveexec_b32 s7, s6
	s_cbranch_execz .LBB270_49
; %bb.42:                               ;   in Loop: Header=BB270_9 Depth=1
	v_cmp_ne_u16_sdwa s6, v8, v52 src0_sel:BYTE_0 src1_sel:DWORD
	v_mov_b32_e32 v71, 0x8000
	s_and_saveexec_b32 s19, s6
	s_cbranch_execz .LBB270_48
; %bb.43:                               ;   in Loop: Header=BB270_9 Depth=1
	v_and_b32_e32 v2, 0x7f, v8
	v_mov_b32_e32 v71, 0x7c01
	s_mov_b32 s20, exec_lo
	v_cmpx_ne_u32_e32 0x7f, v2
	s_cbranch_execz .LBB270_47
; %bb.44:                               ;   in Loop: Header=BB270_9 Depth=1
	v_and_b32_e32 v0, 7, v8
	v_lshrrev_b32_e32 v1, 3, v2
	s_mov_b32 s21, exec_lo
	v_cmpx_gt_u32_e32 8, v2
; %bb.45:                               ;   in Loop: Header=BB270_9 Depth=1
	v_ffbh_u32_e32 v0, v0
	v_min_u32_e32 v2, 32, v0
	v_subrev_nc_u32_e32 v0, 28, v2
	v_lshlrev_b64 v[0:1], v0, v[8:9]
	v_sub_nc_u32_e32 v1, 29, v2
	v_and_b32_e32 v0, 7, v0
; %bb.46:                               ;   in Loop: Header=BB270_9 Depth=1
	s_or_b32 exec_lo, exec_lo, s21
	v_lshlrev_b32_e32 v2, 8, v8
	v_lshl_add_u32 v1, v1, 10, 0x2000
	v_lshlrev_b32_e32 v0, 7, v0
	v_and_b32_e32 v2, 0x8000, v2
	v_and_b32_e32 v1, 0xfc00, v1
	v_or3_b32 v71, v2, v1, v0
.LBB270_47:                             ;   in Loop: Header=BB270_9 Depth=1
	s_or_b32 exec_lo, exec_lo, s20
.LBB270_48:                             ;   in Loop: Header=BB270_9 Depth=1
	s_or_b32 exec_lo, exec_lo, s19
.LBB270_49:                             ;   in Loop: Header=BB270_9 Depth=1
	s_or_b32 exec_lo, exec_lo, s7
	v_lshrrev_b16 v12, 8, v8
	s_mov_b32 s7, exec_lo
	v_cmpx_ne_u16_e32 0, v12
	s_cbranch_execz .LBB270_57
; %bb.50:                               ;   in Loop: Header=BB270_9 Depth=1
	v_bfrev_b32_e32 v70, 1
	s_mov_b32 s19, exec_lo
	v_cmpx_ne_u16_e32 0x80, v12
	s_cbranch_execz .LBB270_56
; %bb.51:                               ;   in Loop: Header=BB270_9 Depth=1
	v_and_b32_sdwa v2, v12, v53 dst_sel:DWORD dst_unused:UNUSED_PAD src0_sel:WORD_0 src1_sel:DWORD
	v_mov_b32_e32 v70, 0x7c010000
	s_mov_b32 s20, exec_lo
	v_cmpx_ne_u32_e32 0x7f, v2
	s_cbranch_execz .LBB270_55
; %bb.52:                               ;   in Loop: Header=BB270_9 Depth=1
	v_and_b32_sdwa v0, v12, v54 dst_sel:DWORD dst_unused:UNUSED_PAD src0_sel:WORD_0 src1_sel:DWORD
	v_lshrrev_b32_e32 v1, 3, v2
	s_mov_b32 s21, exec_lo
	v_cmpx_gt_u32_e32 8, v2
; %bb.53:                               ;   in Loop: Header=BB270_9 Depth=1
	v_ffbh_u32_e32 v0, v0
	v_min_u32_e32 v2, 32, v0
	v_subrev_nc_u32_e32 v0, 28, v2
	v_lshlrev_b64 v[0:1], v0, v[12:13]
	v_sub_nc_u32_e32 v1, 29, v2
	v_and_b32_e32 v0, 7, v0
; %bb.54:                               ;   in Loop: Header=BB270_9 Depth=1
	s_or_b32 exec_lo, exec_lo, s21
	v_lshlrev_b32_sdwa v2, v55, v12 dst_sel:DWORD dst_unused:UNUSED_PAD src0_sel:DWORD src1_sel:WORD_0
	v_lshl_add_u32 v1, v1, 10, 0x2000
	v_lshlrev_b32_e32 v0, 23, v0
	v_and_or_b32 v1, 0x8000, v2, v1
	v_lshl_or_b32 v70, v1, 16, v0
.LBB270_55:                             ;   in Loop: Header=BB270_9 Depth=1
	s_or_b32 exec_lo, exec_lo, s20
.LBB270_56:                             ;   in Loop: Header=BB270_9 Depth=1
	s_or_b32 exec_lo, exec_lo, s19
.LBB270_57:                             ;   in Loop: Header=BB270_9 Depth=1
	s_or_b32 exec_lo, exec_lo, s7
	v_lshrrev_b32_e32 v12, 16, v8
	v_mov_b32_e32 v80, 0
	v_mov_b32_e32 v81, 0
	v_cmp_ne_u16_sdwa s6, v12, v13 src0_sel:BYTE_0 src1_sel:DWORD
	s_and_saveexec_b32 s7, s6
	s_cbranch_execz .LBB270_65
; %bb.58:                               ;   in Loop: Header=BB270_9 Depth=1
	v_cmp_ne_u16_sdwa s6, v12, v52 src0_sel:BYTE_0 src1_sel:DWORD
	v_mov_b32_e32 v81, 0x8000
	s_and_saveexec_b32 s19, s6
	s_cbranch_execz .LBB270_64
; %bb.59:                               ;   in Loop: Header=BB270_9 Depth=1
	v_bfe_u32 v2, v8, 16, 7
	v_mov_b32_e32 v81, 0x7c01
	s_mov_b32 s20, exec_lo
	v_cmpx_ne_u32_e32 0x7f, v2
	s_cbranch_execz .LBB270_63
; %bb.60:                               ;   in Loop: Header=BB270_9 Depth=1
	v_and_b32_e32 v0, 7, v12
	v_lshrrev_b32_e32 v1, 3, v2
	s_mov_b32 s21, exec_lo
	v_cmpx_gt_u32_e32 8, v2
; %bb.61:                               ;   in Loop: Header=BB270_9 Depth=1
	v_ffbh_u32_e32 v0, v0
	v_min_u32_e32 v2, 32, v0
	v_subrev_nc_u32_e32 v0, 28, v2
	v_lshlrev_b64 v[0:1], v0, v[12:13]
	v_sub_nc_u32_e32 v1, 29, v2
	v_and_b32_e32 v0, 7, v0
; %bb.62:                               ;   in Loop: Header=BB270_9 Depth=1
	s_or_b32 exec_lo, exec_lo, s21
	v_lshlrev_b32_e32 v2, 8, v12
	v_lshl_add_u32 v1, v1, 10, 0x2000
	v_lshlrev_b32_e32 v0, 7, v0
	v_and_b32_e32 v2, 0x8000, v2
	v_and_b32_e32 v1, 0xfc00, v1
	v_or3_b32 v81, v2, v1, v0
.LBB270_63:                             ;   in Loop: Header=BB270_9 Depth=1
	s_or_b32 exec_lo, exec_lo, s20
.LBB270_64:                             ;   in Loop: Header=BB270_9 Depth=1
	s_or_b32 exec_lo, exec_lo, s19
.LBB270_65:                             ;   in Loop: Header=BB270_9 Depth=1
	s_or_b32 exec_lo, exec_lo, s7
	s_mov_b32 s7, exec_lo
	v_cmpx_lt_u32_e32 0xffffff, v8
	s_cbranch_execz .LBB270_73
; %bb.66:                               ;   in Loop: Header=BB270_9 Depth=1
	v_lshrrev_b32_e32 v12, 24, v8
	v_bfrev_b32_e32 v80, 1
	s_mov_b32 s19, exec_lo
	v_cmpx_ne_u32_e32 0x80, v12
	s_cbranch_execz .LBB270_72
; %bb.67:                               ;   in Loop: Header=BB270_9 Depth=1
	v_and_b32_e32 v2, 0x7f, v12
	v_mov_b32_e32 v80, 0x7c010000
	s_mov_b32 s20, exec_lo
	v_cmpx_ne_u32_e32 0x7f, v2
	s_cbranch_execz .LBB270_71
; %bb.68:                               ;   in Loop: Header=BB270_9 Depth=1
	v_and_b32_e32 v0, 7, v12
	v_lshrrev_b32_e32 v1, 3, v2
	s_mov_b32 s21, exec_lo
	v_cmpx_gt_u32_e32 8, v2
; %bb.69:                               ;   in Loop: Header=BB270_9 Depth=1
	v_ffbh_u32_e32 v0, v0
	v_min_u32_e32 v2, 32, v0
	v_subrev_nc_u32_e32 v0, 28, v2
	v_lshlrev_b64 v[0:1], v0, v[12:13]
	v_sub_nc_u32_e32 v1, 29, v2
	v_and_b32_e32 v0, 7, v0
; %bb.70:                               ;   in Loop: Header=BB270_9 Depth=1
	s_or_b32 exec_lo, exec_lo, s21
	v_lshlrev_b32_e32 v2, 8, v12
	v_lshl_add_u32 v1, v1, 10, 0x2000
	v_lshlrev_b32_e32 v0, 23, v0
	v_and_or_b32 v1, 0x8000, v2, v1
	v_lshl_or_b32 v80, v1, 16, v0
.LBB270_71:                             ;   in Loop: Header=BB270_9 Depth=1
	s_or_b32 exec_lo, exec_lo, s20
.LBB270_72:                             ;   in Loop: Header=BB270_9 Depth=1
	s_or_b32 exec_lo, exec_lo, s19
.LBB270_73:                             ;   in Loop: Header=BB270_9 Depth=1
	s_or_b32 exec_lo, exec_lo, s7
	flat_load_dword v8, v[24:25] offset:256
	v_mov_b32_e32 v82, 0
	v_mov_b32_e32 v83, 0
	s_waitcnt vmcnt(0) lgkmcnt(0)
	v_cmp_ne_u16_sdwa s6, v8, v13 src0_sel:BYTE_0 src1_sel:DWORD
	s_and_saveexec_b32 s7, s6
	s_cbranch_execz .LBB270_81
; %bb.74:                               ;   in Loop: Header=BB270_9 Depth=1
	v_cmp_ne_u16_sdwa s6, v8, v52 src0_sel:BYTE_0 src1_sel:DWORD
	v_mov_b32_e32 v83, 0x8000
	s_and_saveexec_b32 s19, s6
	s_cbranch_execz .LBB270_80
; %bb.75:                               ;   in Loop: Header=BB270_9 Depth=1
	v_and_b32_e32 v2, 0x7f, v8
	v_mov_b32_e32 v83, 0x7c01
	s_mov_b32 s20, exec_lo
	v_cmpx_ne_u32_e32 0x7f, v2
	s_cbranch_execz .LBB270_79
; %bb.76:                               ;   in Loop: Header=BB270_9 Depth=1
	v_and_b32_e32 v0, 7, v8
	v_lshrrev_b32_e32 v1, 3, v2
	s_mov_b32 s21, exec_lo
	v_cmpx_gt_u32_e32 8, v2
; %bb.77:                               ;   in Loop: Header=BB270_9 Depth=1
	v_ffbh_u32_e32 v0, v0
	v_min_u32_e32 v2, 32, v0
	v_subrev_nc_u32_e32 v0, 28, v2
	v_lshlrev_b64 v[0:1], v0, v[8:9]
	v_sub_nc_u32_e32 v1, 29, v2
	v_and_b32_e32 v0, 7, v0
; %bb.78:                               ;   in Loop: Header=BB270_9 Depth=1
	s_or_b32 exec_lo, exec_lo, s21
	v_lshlrev_b32_e32 v2, 8, v8
	v_lshl_add_u32 v1, v1, 10, 0x2000
	v_lshlrev_b32_e32 v0, 7, v0
	v_and_b32_e32 v2, 0x8000, v2
	v_and_b32_e32 v1, 0xfc00, v1
	v_or3_b32 v83, v2, v1, v0
.LBB270_79:                             ;   in Loop: Header=BB270_9 Depth=1
	s_or_b32 exec_lo, exec_lo, s20
.LBB270_80:                             ;   in Loop: Header=BB270_9 Depth=1
	s_or_b32 exec_lo, exec_lo, s19
.LBB270_81:                             ;   in Loop: Header=BB270_9 Depth=1
	s_or_b32 exec_lo, exec_lo, s7
	v_lshrrev_b16 v12, 8, v8
	s_mov_b32 s7, exec_lo
	v_cmpx_ne_u16_e32 0, v12
	s_cbranch_execz .LBB270_89
; %bb.82:                               ;   in Loop: Header=BB270_9 Depth=1
	v_bfrev_b32_e32 v82, 1
	s_mov_b32 s19, exec_lo
	v_cmpx_ne_u16_e32 0x80, v12
	s_cbranch_execz .LBB270_88
; %bb.83:                               ;   in Loop: Header=BB270_9 Depth=1
	v_and_b32_sdwa v2, v12, v53 dst_sel:DWORD dst_unused:UNUSED_PAD src0_sel:WORD_0 src1_sel:DWORD
	v_mov_b32_e32 v82, 0x7c010000
	s_mov_b32 s20, exec_lo
	v_cmpx_ne_u32_e32 0x7f, v2
	s_cbranch_execz .LBB270_87
; %bb.84:                               ;   in Loop: Header=BB270_9 Depth=1
	v_and_b32_sdwa v0, v12, v54 dst_sel:DWORD dst_unused:UNUSED_PAD src0_sel:WORD_0 src1_sel:DWORD
	v_lshrrev_b32_e32 v1, 3, v2
	s_mov_b32 s21, exec_lo
	v_cmpx_gt_u32_e32 8, v2
; %bb.85:                               ;   in Loop: Header=BB270_9 Depth=1
	v_ffbh_u32_e32 v0, v0
	v_min_u32_e32 v2, 32, v0
	v_subrev_nc_u32_e32 v0, 28, v2
	v_lshlrev_b64 v[0:1], v0, v[12:13]
	v_sub_nc_u32_e32 v1, 29, v2
	v_and_b32_e32 v0, 7, v0
; %bb.86:                               ;   in Loop: Header=BB270_9 Depth=1
	s_or_b32 exec_lo, exec_lo, s21
	v_lshlrev_b32_sdwa v2, v55, v12 dst_sel:DWORD dst_unused:UNUSED_PAD src0_sel:DWORD src1_sel:WORD_0
	v_lshl_add_u32 v1, v1, 10, 0x2000
	v_lshlrev_b32_e32 v0, 23, v0
	v_and_or_b32 v1, 0x8000, v2, v1
	v_lshl_or_b32 v82, v1, 16, v0
.LBB270_87:                             ;   in Loop: Header=BB270_9 Depth=1
	s_or_b32 exec_lo, exec_lo, s20
.LBB270_88:                             ;   in Loop: Header=BB270_9 Depth=1
	s_or_b32 exec_lo, exec_lo, s19
.LBB270_89:                             ;   in Loop: Header=BB270_9 Depth=1
	s_or_b32 exec_lo, exec_lo, s7
	v_lshrrev_b32_e32 v12, 16, v8
	v_mov_b32_e32 v84, 0
	v_mov_b32_e32 v85, 0
	v_cmp_ne_u16_sdwa s6, v12, v13 src0_sel:BYTE_0 src1_sel:DWORD
	s_and_saveexec_b32 s7, s6
	s_cbranch_execz .LBB270_97
; %bb.90:                               ;   in Loop: Header=BB270_9 Depth=1
	v_cmp_ne_u16_sdwa s6, v12, v52 src0_sel:BYTE_0 src1_sel:DWORD
	v_mov_b32_e32 v85, 0x8000
	s_and_saveexec_b32 s19, s6
	s_cbranch_execz .LBB270_96
; %bb.91:                               ;   in Loop: Header=BB270_9 Depth=1
	v_bfe_u32 v2, v8, 16, 7
	v_mov_b32_e32 v85, 0x7c01
	s_mov_b32 s20, exec_lo
	v_cmpx_ne_u32_e32 0x7f, v2
	s_cbranch_execz .LBB270_95
; %bb.92:                               ;   in Loop: Header=BB270_9 Depth=1
	v_and_b32_e32 v0, 7, v12
	v_lshrrev_b32_e32 v1, 3, v2
	s_mov_b32 s21, exec_lo
	v_cmpx_gt_u32_e32 8, v2
; %bb.93:                               ;   in Loop: Header=BB270_9 Depth=1
	v_ffbh_u32_e32 v0, v0
	v_min_u32_e32 v2, 32, v0
	v_subrev_nc_u32_e32 v0, 28, v2
	v_lshlrev_b64 v[0:1], v0, v[12:13]
	v_sub_nc_u32_e32 v1, 29, v2
	v_and_b32_e32 v0, 7, v0
; %bb.94:                               ;   in Loop: Header=BB270_9 Depth=1
	s_or_b32 exec_lo, exec_lo, s21
	v_lshlrev_b32_e32 v2, 8, v12
	v_lshl_add_u32 v1, v1, 10, 0x2000
	v_lshlrev_b32_e32 v0, 7, v0
	v_and_b32_e32 v2, 0x8000, v2
	v_and_b32_e32 v1, 0xfc00, v1
	v_or3_b32 v85, v2, v1, v0
.LBB270_95:                             ;   in Loop: Header=BB270_9 Depth=1
	s_or_b32 exec_lo, exec_lo, s20
.LBB270_96:                             ;   in Loop: Header=BB270_9 Depth=1
	s_or_b32 exec_lo, exec_lo, s19
.LBB270_97:                             ;   in Loop: Header=BB270_9 Depth=1
	s_or_b32 exec_lo, exec_lo, s7
	s_mov_b32 s7, exec_lo
	v_cmpx_lt_u32_e32 0xffffff, v8
	s_cbranch_execz .LBB270_105
; %bb.98:                               ;   in Loop: Header=BB270_9 Depth=1
	v_lshrrev_b32_e32 v12, 24, v8
	v_bfrev_b32_e32 v84, 1
	s_mov_b32 s19, exec_lo
	v_cmpx_ne_u32_e32 0x80, v12
	s_cbranch_execz .LBB270_104
; %bb.99:                               ;   in Loop: Header=BB270_9 Depth=1
	v_and_b32_e32 v2, 0x7f, v12
	v_mov_b32_e32 v84, 0x7c010000
	s_mov_b32 s20, exec_lo
	v_cmpx_ne_u32_e32 0x7f, v2
	s_cbranch_execz .LBB270_103
; %bb.100:                              ;   in Loop: Header=BB270_9 Depth=1
	v_and_b32_e32 v0, 7, v12
	v_lshrrev_b32_e32 v1, 3, v2
	s_mov_b32 s21, exec_lo
	v_cmpx_gt_u32_e32 8, v2
; %bb.101:                              ;   in Loop: Header=BB270_9 Depth=1
	v_ffbh_u32_e32 v0, v0
	v_min_u32_e32 v2, 32, v0
	v_subrev_nc_u32_e32 v0, 28, v2
	v_lshlrev_b64 v[0:1], v0, v[12:13]
	v_sub_nc_u32_e32 v1, 29, v2
	v_and_b32_e32 v0, 7, v0
; %bb.102:                              ;   in Loop: Header=BB270_9 Depth=1
	s_or_b32 exec_lo, exec_lo, s21
	v_lshlrev_b32_e32 v2, 8, v12
	v_lshl_add_u32 v1, v1, 10, 0x2000
	v_lshlrev_b32_e32 v0, 23, v0
	v_and_or_b32 v1, 0x8000, v2, v1
	v_lshl_or_b32 v84, v1, 16, v0
.LBB270_103:                            ;   in Loop: Header=BB270_9 Depth=1
	s_or_b32 exec_lo, exec_lo, s20
.LBB270_104:                            ;   in Loop: Header=BB270_9 Depth=1
	s_or_b32 exec_lo, exec_lo, s19
.LBB270_105:                            ;   in Loop: Header=BB270_9 Depth=1
	s_or_b32 exec_lo, exec_lo, s7
	flat_load_dword v8, v[24:25] offset:264
	v_mov_b32_e32 v86, 0
	v_mov_b32_e32 v87, 0
	s_waitcnt vmcnt(0) lgkmcnt(0)
	v_cmp_ne_u16_sdwa s6, v8, v13 src0_sel:BYTE_0 src1_sel:DWORD
	s_and_saveexec_b32 s7, s6
	s_cbranch_execz .LBB270_113
; %bb.106:                              ;   in Loop: Header=BB270_9 Depth=1
	v_cmp_ne_u16_sdwa s6, v8, v52 src0_sel:BYTE_0 src1_sel:DWORD
	v_mov_b32_e32 v87, 0x8000
	s_and_saveexec_b32 s19, s6
	s_cbranch_execz .LBB270_112
; %bb.107:                              ;   in Loop: Header=BB270_9 Depth=1
	v_and_b32_e32 v2, 0x7f, v8
	v_mov_b32_e32 v87, 0x7c01
	s_mov_b32 s20, exec_lo
	v_cmpx_ne_u32_e32 0x7f, v2
	s_cbranch_execz .LBB270_111
; %bb.108:                              ;   in Loop: Header=BB270_9 Depth=1
	v_and_b32_e32 v0, 7, v8
	v_lshrrev_b32_e32 v1, 3, v2
	s_mov_b32 s21, exec_lo
	v_cmpx_gt_u32_e32 8, v2
; %bb.109:                              ;   in Loop: Header=BB270_9 Depth=1
	v_ffbh_u32_e32 v0, v0
	v_min_u32_e32 v2, 32, v0
	v_subrev_nc_u32_e32 v0, 28, v2
	v_lshlrev_b64 v[0:1], v0, v[8:9]
	v_sub_nc_u32_e32 v1, 29, v2
	v_and_b32_e32 v0, 7, v0
; %bb.110:                              ;   in Loop: Header=BB270_9 Depth=1
	s_or_b32 exec_lo, exec_lo, s21
	v_lshlrev_b32_e32 v2, 8, v8
	v_lshl_add_u32 v1, v1, 10, 0x2000
	v_lshlrev_b32_e32 v0, 7, v0
	v_and_b32_e32 v2, 0x8000, v2
	v_and_b32_e32 v1, 0xfc00, v1
	v_or3_b32 v87, v2, v1, v0
.LBB270_111:                            ;   in Loop: Header=BB270_9 Depth=1
	s_or_b32 exec_lo, exec_lo, s20
.LBB270_112:                            ;   in Loop: Header=BB270_9 Depth=1
	s_or_b32 exec_lo, exec_lo, s19
.LBB270_113:                            ;   in Loop: Header=BB270_9 Depth=1
	s_or_b32 exec_lo, exec_lo, s7
	v_lshrrev_b16 v12, 8, v8
	s_mov_b32 s7, exec_lo
	v_cmpx_ne_u16_e32 0, v12
	s_cbranch_execz .LBB270_121
; %bb.114:                              ;   in Loop: Header=BB270_9 Depth=1
	v_bfrev_b32_e32 v86, 1
	s_mov_b32 s19, exec_lo
	v_cmpx_ne_u16_e32 0x80, v12
	s_cbranch_execz .LBB270_120
; %bb.115:                              ;   in Loop: Header=BB270_9 Depth=1
	v_and_b32_sdwa v2, v12, v53 dst_sel:DWORD dst_unused:UNUSED_PAD src0_sel:WORD_0 src1_sel:DWORD
	v_mov_b32_e32 v86, 0x7c010000
	s_mov_b32 s20, exec_lo
	v_cmpx_ne_u32_e32 0x7f, v2
	s_cbranch_execz .LBB270_119
; %bb.116:                              ;   in Loop: Header=BB270_9 Depth=1
	v_and_b32_sdwa v0, v12, v54 dst_sel:DWORD dst_unused:UNUSED_PAD src0_sel:WORD_0 src1_sel:DWORD
	v_lshrrev_b32_e32 v1, 3, v2
	s_mov_b32 s21, exec_lo
	v_cmpx_gt_u32_e32 8, v2
; %bb.117:                              ;   in Loop: Header=BB270_9 Depth=1
	v_ffbh_u32_e32 v0, v0
	v_min_u32_e32 v2, 32, v0
	v_subrev_nc_u32_e32 v0, 28, v2
	v_lshlrev_b64 v[0:1], v0, v[12:13]
	v_sub_nc_u32_e32 v1, 29, v2
	v_and_b32_e32 v0, 7, v0
; %bb.118:                              ;   in Loop: Header=BB270_9 Depth=1
	s_or_b32 exec_lo, exec_lo, s21
	v_lshlrev_b32_sdwa v2, v55, v12 dst_sel:DWORD dst_unused:UNUSED_PAD src0_sel:DWORD src1_sel:WORD_0
	v_lshl_add_u32 v1, v1, 10, 0x2000
	v_lshlrev_b32_e32 v0, 23, v0
	v_and_or_b32 v1, 0x8000, v2, v1
	v_lshl_or_b32 v86, v1, 16, v0
.LBB270_119:                            ;   in Loop: Header=BB270_9 Depth=1
	s_or_b32 exec_lo, exec_lo, s20
.LBB270_120:                            ;   in Loop: Header=BB270_9 Depth=1
	s_or_b32 exec_lo, exec_lo, s19
.LBB270_121:                            ;   in Loop: Header=BB270_9 Depth=1
	s_or_b32 exec_lo, exec_lo, s7
	v_lshrrev_b32_e32 v12, 16, v8
	v_mov_b32_e32 v96, 0
	v_mov_b32_e32 v97, 0
	v_cmp_ne_u16_sdwa s6, v12, v13 src0_sel:BYTE_0 src1_sel:DWORD
	s_and_saveexec_b32 s7, s6
	s_cbranch_execz .LBB270_129
; %bb.122:                              ;   in Loop: Header=BB270_9 Depth=1
	v_cmp_ne_u16_sdwa s6, v12, v52 src0_sel:BYTE_0 src1_sel:DWORD
	v_mov_b32_e32 v97, 0x8000
	s_and_saveexec_b32 s19, s6
	s_cbranch_execz .LBB270_128
; %bb.123:                              ;   in Loop: Header=BB270_9 Depth=1
	v_bfe_u32 v2, v8, 16, 7
	v_mov_b32_e32 v97, 0x7c01
	s_mov_b32 s20, exec_lo
	v_cmpx_ne_u32_e32 0x7f, v2
	s_cbranch_execz .LBB270_127
; %bb.124:                              ;   in Loop: Header=BB270_9 Depth=1
	v_and_b32_e32 v0, 7, v12
	v_lshrrev_b32_e32 v1, 3, v2
	s_mov_b32 s21, exec_lo
	v_cmpx_gt_u32_e32 8, v2
; %bb.125:                              ;   in Loop: Header=BB270_9 Depth=1
	v_ffbh_u32_e32 v0, v0
	v_min_u32_e32 v2, 32, v0
	v_subrev_nc_u32_e32 v0, 28, v2
	v_lshlrev_b64 v[0:1], v0, v[12:13]
	v_sub_nc_u32_e32 v1, 29, v2
	v_and_b32_e32 v0, 7, v0
; %bb.126:                              ;   in Loop: Header=BB270_9 Depth=1
	s_or_b32 exec_lo, exec_lo, s21
	v_lshlrev_b32_e32 v2, 8, v12
	v_lshl_add_u32 v1, v1, 10, 0x2000
	v_lshlrev_b32_e32 v0, 7, v0
	v_and_b32_e32 v2, 0x8000, v2
	v_and_b32_e32 v1, 0xfc00, v1
	v_or3_b32 v97, v2, v1, v0
.LBB270_127:                            ;   in Loop: Header=BB270_9 Depth=1
	s_or_b32 exec_lo, exec_lo, s20
.LBB270_128:                            ;   in Loop: Header=BB270_9 Depth=1
	s_or_b32 exec_lo, exec_lo, s19
.LBB270_129:                            ;   in Loop: Header=BB270_9 Depth=1
	s_or_b32 exec_lo, exec_lo, s7
	s_mov_b32 s7, exec_lo
	v_cmpx_lt_u32_e32 0xffffff, v8
	s_cbranch_execz .LBB270_137
; %bb.130:                              ;   in Loop: Header=BB270_9 Depth=1
	v_lshrrev_b32_e32 v12, 24, v8
	v_bfrev_b32_e32 v96, 1
	s_mov_b32 s19, exec_lo
	v_cmpx_ne_u32_e32 0x80, v12
	s_cbranch_execz .LBB270_136
; %bb.131:                              ;   in Loop: Header=BB270_9 Depth=1
	v_and_b32_e32 v2, 0x7f, v12
	v_mov_b32_e32 v96, 0x7c010000
	s_mov_b32 s20, exec_lo
	v_cmpx_ne_u32_e32 0x7f, v2
	s_cbranch_execz .LBB270_135
; %bb.132:                              ;   in Loop: Header=BB270_9 Depth=1
	v_and_b32_e32 v0, 7, v12
	v_lshrrev_b32_e32 v1, 3, v2
	s_mov_b32 s21, exec_lo
	v_cmpx_gt_u32_e32 8, v2
; %bb.133:                              ;   in Loop: Header=BB270_9 Depth=1
	v_ffbh_u32_e32 v0, v0
	v_min_u32_e32 v2, 32, v0
	v_subrev_nc_u32_e32 v0, 28, v2
	v_lshlrev_b64 v[0:1], v0, v[12:13]
	v_sub_nc_u32_e32 v1, 29, v2
	v_and_b32_e32 v0, 7, v0
; %bb.134:                              ;   in Loop: Header=BB270_9 Depth=1
	s_or_b32 exec_lo, exec_lo, s21
	v_lshlrev_b32_e32 v2, 8, v12
	v_lshl_add_u32 v1, v1, 10, 0x2000
	v_lshlrev_b32_e32 v0, 23, v0
	v_and_or_b32 v1, 0x8000, v2, v1
	v_lshl_or_b32 v96, v1, 16, v0
.LBB270_135:                            ;   in Loop: Header=BB270_9 Depth=1
	s_or_b32 exec_lo, exec_lo, s20
.LBB270_136:                            ;   in Loop: Header=BB270_9 Depth=1
	s_or_b32 exec_lo, exec_lo, s19
.LBB270_137:                            ;   in Loop: Header=BB270_9 Depth=1
	s_or_b32 exec_lo, exec_lo, s7
	flat_load_dword v8, v[24:25] offset:512
	v_mov_b32_e32 v98, 0
	v_mov_b32_e32 v99, 0
	s_waitcnt vmcnt(0) lgkmcnt(0)
	v_cmp_ne_u16_sdwa s6, v8, v13 src0_sel:BYTE_0 src1_sel:DWORD
	s_and_saveexec_b32 s7, s6
	s_cbranch_execz .LBB270_145
; %bb.138:                              ;   in Loop: Header=BB270_9 Depth=1
	v_cmp_ne_u16_sdwa s6, v8, v52 src0_sel:BYTE_0 src1_sel:DWORD
	v_mov_b32_e32 v99, 0x8000
	s_and_saveexec_b32 s19, s6
	s_cbranch_execz .LBB270_144
; %bb.139:                              ;   in Loop: Header=BB270_9 Depth=1
	v_and_b32_e32 v2, 0x7f, v8
	v_mov_b32_e32 v99, 0x7c01
	s_mov_b32 s20, exec_lo
	v_cmpx_ne_u32_e32 0x7f, v2
	s_cbranch_execz .LBB270_143
; %bb.140:                              ;   in Loop: Header=BB270_9 Depth=1
	v_and_b32_e32 v0, 7, v8
	v_lshrrev_b32_e32 v1, 3, v2
	s_mov_b32 s21, exec_lo
	v_cmpx_gt_u32_e32 8, v2
; %bb.141:                              ;   in Loop: Header=BB270_9 Depth=1
	v_ffbh_u32_e32 v0, v0
	v_min_u32_e32 v2, 32, v0
	v_subrev_nc_u32_e32 v0, 28, v2
	v_lshlrev_b64 v[0:1], v0, v[8:9]
	v_sub_nc_u32_e32 v1, 29, v2
	v_and_b32_e32 v0, 7, v0
; %bb.142:                              ;   in Loop: Header=BB270_9 Depth=1
	s_or_b32 exec_lo, exec_lo, s21
	v_lshlrev_b32_e32 v2, 8, v8
	v_lshl_add_u32 v1, v1, 10, 0x2000
	v_lshlrev_b32_e32 v0, 7, v0
	v_and_b32_e32 v2, 0x8000, v2
	v_and_b32_e32 v1, 0xfc00, v1
	v_or3_b32 v99, v2, v1, v0
.LBB270_143:                            ;   in Loop: Header=BB270_9 Depth=1
	s_or_b32 exec_lo, exec_lo, s20
.LBB270_144:                            ;   in Loop: Header=BB270_9 Depth=1
	s_or_b32 exec_lo, exec_lo, s19
.LBB270_145:                            ;   in Loop: Header=BB270_9 Depth=1
	s_or_b32 exec_lo, exec_lo, s7
	v_lshrrev_b16 v12, 8, v8
	s_mov_b32 s7, exec_lo
	v_cmpx_ne_u16_e32 0, v12
	s_cbranch_execz .LBB270_153
; %bb.146:                              ;   in Loop: Header=BB270_9 Depth=1
	v_bfrev_b32_e32 v98, 1
	s_mov_b32 s19, exec_lo
	v_cmpx_ne_u16_e32 0x80, v12
	s_cbranch_execz .LBB270_152
; %bb.147:                              ;   in Loop: Header=BB270_9 Depth=1
	v_and_b32_sdwa v2, v12, v53 dst_sel:DWORD dst_unused:UNUSED_PAD src0_sel:WORD_0 src1_sel:DWORD
	v_mov_b32_e32 v98, 0x7c010000
	s_mov_b32 s20, exec_lo
	v_cmpx_ne_u32_e32 0x7f, v2
	s_cbranch_execz .LBB270_151
; %bb.148:                              ;   in Loop: Header=BB270_9 Depth=1
	v_and_b32_sdwa v0, v12, v54 dst_sel:DWORD dst_unused:UNUSED_PAD src0_sel:WORD_0 src1_sel:DWORD
	v_lshrrev_b32_e32 v1, 3, v2
	s_mov_b32 s21, exec_lo
	v_cmpx_gt_u32_e32 8, v2
; %bb.149:                              ;   in Loop: Header=BB270_9 Depth=1
	v_ffbh_u32_e32 v0, v0
	v_min_u32_e32 v2, 32, v0
	v_subrev_nc_u32_e32 v0, 28, v2
	v_lshlrev_b64 v[0:1], v0, v[12:13]
	v_sub_nc_u32_e32 v1, 29, v2
	v_and_b32_e32 v0, 7, v0
; %bb.150:                              ;   in Loop: Header=BB270_9 Depth=1
	s_or_b32 exec_lo, exec_lo, s21
	v_lshlrev_b32_sdwa v2, v55, v12 dst_sel:DWORD dst_unused:UNUSED_PAD src0_sel:DWORD src1_sel:WORD_0
	v_lshl_add_u32 v1, v1, 10, 0x2000
	v_lshlrev_b32_e32 v0, 23, v0
	v_and_or_b32 v1, 0x8000, v2, v1
	v_lshl_or_b32 v98, v1, 16, v0
.LBB270_151:                            ;   in Loop: Header=BB270_9 Depth=1
	s_or_b32 exec_lo, exec_lo, s20
.LBB270_152:                            ;   in Loop: Header=BB270_9 Depth=1
	s_or_b32 exec_lo, exec_lo, s19
.LBB270_153:                            ;   in Loop: Header=BB270_9 Depth=1
	s_or_b32 exec_lo, exec_lo, s7
	v_lshrrev_b32_e32 v12, 16, v8
	v_mov_b32_e32 v100, 0
	v_mov_b32_e32 v101, 0
	v_cmp_ne_u16_sdwa s6, v12, v13 src0_sel:BYTE_0 src1_sel:DWORD
	s_and_saveexec_b32 s7, s6
	s_cbranch_execz .LBB270_161
; %bb.154:                              ;   in Loop: Header=BB270_9 Depth=1
	v_cmp_ne_u16_sdwa s6, v12, v52 src0_sel:BYTE_0 src1_sel:DWORD
	v_mov_b32_e32 v101, 0x8000
	s_and_saveexec_b32 s19, s6
	s_cbranch_execz .LBB270_160
; %bb.155:                              ;   in Loop: Header=BB270_9 Depth=1
	v_bfe_u32 v2, v8, 16, 7
	v_mov_b32_e32 v101, 0x7c01
	s_mov_b32 s20, exec_lo
	v_cmpx_ne_u32_e32 0x7f, v2
	s_cbranch_execz .LBB270_159
; %bb.156:                              ;   in Loop: Header=BB270_9 Depth=1
	v_and_b32_e32 v0, 7, v12
	v_lshrrev_b32_e32 v1, 3, v2
	s_mov_b32 s21, exec_lo
	v_cmpx_gt_u32_e32 8, v2
; %bb.157:                              ;   in Loop: Header=BB270_9 Depth=1
	v_ffbh_u32_e32 v0, v0
	v_min_u32_e32 v2, 32, v0
	v_subrev_nc_u32_e32 v0, 28, v2
	v_lshlrev_b64 v[0:1], v0, v[12:13]
	v_sub_nc_u32_e32 v1, 29, v2
	v_and_b32_e32 v0, 7, v0
; %bb.158:                              ;   in Loop: Header=BB270_9 Depth=1
	s_or_b32 exec_lo, exec_lo, s21
	v_lshlrev_b32_e32 v2, 8, v12
	v_lshl_add_u32 v1, v1, 10, 0x2000
	v_lshlrev_b32_e32 v0, 7, v0
	v_and_b32_e32 v2, 0x8000, v2
	v_and_b32_e32 v1, 0xfc00, v1
	v_or3_b32 v101, v2, v1, v0
.LBB270_159:                            ;   in Loop: Header=BB270_9 Depth=1
	s_or_b32 exec_lo, exec_lo, s20
.LBB270_160:                            ;   in Loop: Header=BB270_9 Depth=1
	s_or_b32 exec_lo, exec_lo, s19
.LBB270_161:                            ;   in Loop: Header=BB270_9 Depth=1
	s_or_b32 exec_lo, exec_lo, s7
	s_mov_b32 s7, exec_lo
	v_cmpx_lt_u32_e32 0xffffff, v8
	s_cbranch_execz .LBB270_169
; %bb.162:                              ;   in Loop: Header=BB270_9 Depth=1
	v_lshrrev_b32_e32 v12, 24, v8
	v_bfrev_b32_e32 v100, 1
	s_mov_b32 s19, exec_lo
	v_cmpx_ne_u32_e32 0x80, v12
	s_cbranch_execz .LBB270_168
; %bb.163:                              ;   in Loop: Header=BB270_9 Depth=1
	v_and_b32_e32 v2, 0x7f, v12
	v_mov_b32_e32 v100, 0x7c010000
	s_mov_b32 s20, exec_lo
	v_cmpx_ne_u32_e32 0x7f, v2
	s_cbranch_execz .LBB270_167
; %bb.164:                              ;   in Loop: Header=BB270_9 Depth=1
	v_and_b32_e32 v0, 7, v12
	v_lshrrev_b32_e32 v1, 3, v2
	s_mov_b32 s21, exec_lo
	v_cmpx_gt_u32_e32 8, v2
; %bb.165:                              ;   in Loop: Header=BB270_9 Depth=1
	v_ffbh_u32_e32 v0, v0
	v_min_u32_e32 v2, 32, v0
	v_subrev_nc_u32_e32 v0, 28, v2
	v_lshlrev_b64 v[0:1], v0, v[12:13]
	v_sub_nc_u32_e32 v1, 29, v2
	v_and_b32_e32 v0, 7, v0
; %bb.166:                              ;   in Loop: Header=BB270_9 Depth=1
	s_or_b32 exec_lo, exec_lo, s21
	v_lshlrev_b32_e32 v2, 8, v12
	v_lshl_add_u32 v1, v1, 10, 0x2000
	v_lshlrev_b32_e32 v0, 23, v0
	v_and_or_b32 v1, 0x8000, v2, v1
	v_lshl_or_b32 v100, v1, 16, v0
.LBB270_167:                            ;   in Loop: Header=BB270_9 Depth=1
	s_or_b32 exec_lo, exec_lo, s20
.LBB270_168:                            ;   in Loop: Header=BB270_9 Depth=1
	s_or_b32 exec_lo, exec_lo, s19
.LBB270_169:                            ;   in Loop: Header=BB270_9 Depth=1
	s_or_b32 exec_lo, exec_lo, s7
	flat_load_dword v8, v[24:25] offset:520
	v_mov_b32_e32 v102, 0
	v_mov_b32_e32 v103, 0
	s_waitcnt vmcnt(0) lgkmcnt(0)
	v_cmp_ne_u16_sdwa s6, v8, v13 src0_sel:BYTE_0 src1_sel:DWORD
	s_and_saveexec_b32 s7, s6
	s_cbranch_execz .LBB270_177
; %bb.170:                              ;   in Loop: Header=BB270_9 Depth=1
	v_cmp_ne_u16_sdwa s6, v8, v52 src0_sel:BYTE_0 src1_sel:DWORD
	v_mov_b32_e32 v103, 0x8000
	s_and_saveexec_b32 s19, s6
	s_cbranch_execz .LBB270_176
; %bb.171:                              ;   in Loop: Header=BB270_9 Depth=1
	v_and_b32_e32 v2, 0x7f, v8
	v_mov_b32_e32 v103, 0x7c01
	s_mov_b32 s20, exec_lo
	v_cmpx_ne_u32_e32 0x7f, v2
	s_cbranch_execz .LBB270_175
; %bb.172:                              ;   in Loop: Header=BB270_9 Depth=1
	v_and_b32_e32 v0, 7, v8
	v_lshrrev_b32_e32 v1, 3, v2
	s_mov_b32 s21, exec_lo
	v_cmpx_gt_u32_e32 8, v2
; %bb.173:                              ;   in Loop: Header=BB270_9 Depth=1
	v_ffbh_u32_e32 v0, v0
	v_min_u32_e32 v2, 32, v0
	v_subrev_nc_u32_e32 v0, 28, v2
	v_lshlrev_b64 v[0:1], v0, v[8:9]
	v_sub_nc_u32_e32 v1, 29, v2
	v_and_b32_e32 v0, 7, v0
; %bb.174:                              ;   in Loop: Header=BB270_9 Depth=1
	s_or_b32 exec_lo, exec_lo, s21
	v_lshlrev_b32_e32 v2, 8, v8
	v_lshl_add_u32 v1, v1, 10, 0x2000
	v_lshlrev_b32_e32 v0, 7, v0
	v_and_b32_e32 v2, 0x8000, v2
	v_and_b32_e32 v1, 0xfc00, v1
	v_or3_b32 v103, v2, v1, v0
.LBB270_175:                            ;   in Loop: Header=BB270_9 Depth=1
	s_or_b32 exec_lo, exec_lo, s20
.LBB270_176:                            ;   in Loop: Header=BB270_9 Depth=1
	s_or_b32 exec_lo, exec_lo, s19
.LBB270_177:                            ;   in Loop: Header=BB270_9 Depth=1
	s_or_b32 exec_lo, exec_lo, s7
	v_lshrrev_b16 v12, 8, v8
	s_mov_b32 s7, exec_lo
	v_cmpx_ne_u16_e32 0, v12
	s_cbranch_execz .LBB270_185
; %bb.178:                              ;   in Loop: Header=BB270_9 Depth=1
	v_bfrev_b32_e32 v102, 1
	s_mov_b32 s19, exec_lo
	v_cmpx_ne_u16_e32 0x80, v12
	s_cbranch_execz .LBB270_184
; %bb.179:                              ;   in Loop: Header=BB270_9 Depth=1
	v_and_b32_sdwa v2, v12, v53 dst_sel:DWORD dst_unused:UNUSED_PAD src0_sel:WORD_0 src1_sel:DWORD
	v_mov_b32_e32 v102, 0x7c010000
	s_mov_b32 s20, exec_lo
	v_cmpx_ne_u32_e32 0x7f, v2
	s_cbranch_execz .LBB270_183
; %bb.180:                              ;   in Loop: Header=BB270_9 Depth=1
	v_and_b32_sdwa v0, v12, v54 dst_sel:DWORD dst_unused:UNUSED_PAD src0_sel:WORD_0 src1_sel:DWORD
	v_lshrrev_b32_e32 v1, 3, v2
	s_mov_b32 s21, exec_lo
	v_cmpx_gt_u32_e32 8, v2
; %bb.181:                              ;   in Loop: Header=BB270_9 Depth=1
	v_ffbh_u32_e32 v0, v0
	v_min_u32_e32 v2, 32, v0
	v_subrev_nc_u32_e32 v0, 28, v2
	v_lshlrev_b64 v[0:1], v0, v[12:13]
	v_sub_nc_u32_e32 v1, 29, v2
	v_and_b32_e32 v0, 7, v0
; %bb.182:                              ;   in Loop: Header=BB270_9 Depth=1
	s_or_b32 exec_lo, exec_lo, s21
	v_lshlrev_b32_sdwa v2, v55, v12 dst_sel:DWORD dst_unused:UNUSED_PAD src0_sel:DWORD src1_sel:WORD_0
	v_lshl_add_u32 v1, v1, 10, 0x2000
	v_lshlrev_b32_e32 v0, 23, v0
	v_and_or_b32 v1, 0x8000, v2, v1
	v_lshl_or_b32 v102, v1, 16, v0
.LBB270_183:                            ;   in Loop: Header=BB270_9 Depth=1
	s_or_b32 exec_lo, exec_lo, s20
.LBB270_184:                            ;   in Loop: Header=BB270_9 Depth=1
	s_or_b32 exec_lo, exec_lo, s19
.LBB270_185:                            ;   in Loop: Header=BB270_9 Depth=1
	s_or_b32 exec_lo, exec_lo, s7
	v_lshrrev_b32_e32 v12, 16, v8
	v_mov_b32_e32 v112, 0
	v_mov_b32_e32 v113, 0
	v_cmp_ne_u16_sdwa s6, v12, v13 src0_sel:BYTE_0 src1_sel:DWORD
	s_and_saveexec_b32 s7, s6
	s_cbranch_execz .LBB270_193
; %bb.186:                              ;   in Loop: Header=BB270_9 Depth=1
	v_cmp_ne_u16_sdwa s6, v12, v52 src0_sel:BYTE_0 src1_sel:DWORD
	v_mov_b32_e32 v113, 0x8000
	s_and_saveexec_b32 s19, s6
	s_cbranch_execz .LBB270_192
; %bb.187:                              ;   in Loop: Header=BB270_9 Depth=1
	v_bfe_u32 v2, v8, 16, 7
	v_mov_b32_e32 v113, 0x7c01
	s_mov_b32 s20, exec_lo
	v_cmpx_ne_u32_e32 0x7f, v2
	s_cbranch_execz .LBB270_191
; %bb.188:                              ;   in Loop: Header=BB270_9 Depth=1
	v_and_b32_e32 v0, 7, v12
	v_lshrrev_b32_e32 v1, 3, v2
	s_mov_b32 s21, exec_lo
	v_cmpx_gt_u32_e32 8, v2
; %bb.189:                              ;   in Loop: Header=BB270_9 Depth=1
	v_ffbh_u32_e32 v0, v0
	v_min_u32_e32 v2, 32, v0
	v_subrev_nc_u32_e32 v0, 28, v2
	v_lshlrev_b64 v[0:1], v0, v[12:13]
	v_sub_nc_u32_e32 v1, 29, v2
	v_and_b32_e32 v0, 7, v0
; %bb.190:                              ;   in Loop: Header=BB270_9 Depth=1
	s_or_b32 exec_lo, exec_lo, s21
	v_lshlrev_b32_e32 v2, 8, v12
	v_lshl_add_u32 v1, v1, 10, 0x2000
	v_lshlrev_b32_e32 v0, 7, v0
	v_and_b32_e32 v2, 0x8000, v2
	v_and_b32_e32 v1, 0xfc00, v1
	v_or3_b32 v113, v2, v1, v0
.LBB270_191:                            ;   in Loop: Header=BB270_9 Depth=1
	s_or_b32 exec_lo, exec_lo, s20
.LBB270_192:                            ;   in Loop: Header=BB270_9 Depth=1
	s_or_b32 exec_lo, exec_lo, s19
.LBB270_193:                            ;   in Loop: Header=BB270_9 Depth=1
	s_or_b32 exec_lo, exec_lo, s7
	s_mov_b32 s7, exec_lo
	v_cmpx_lt_u32_e32 0xffffff, v8
	s_cbranch_execz .LBB270_201
; %bb.194:                              ;   in Loop: Header=BB270_9 Depth=1
	v_lshrrev_b32_e32 v12, 24, v8
	v_bfrev_b32_e32 v112, 1
	s_mov_b32 s19, exec_lo
	v_cmpx_ne_u32_e32 0x80, v12
	s_cbranch_execz .LBB270_200
; %bb.195:                              ;   in Loop: Header=BB270_9 Depth=1
	v_and_b32_e32 v2, 0x7f, v12
	v_mov_b32_e32 v112, 0x7c010000
	s_mov_b32 s20, exec_lo
	v_cmpx_ne_u32_e32 0x7f, v2
	s_cbranch_execz .LBB270_199
; %bb.196:                              ;   in Loop: Header=BB270_9 Depth=1
	v_and_b32_e32 v0, 7, v12
	v_lshrrev_b32_e32 v1, 3, v2
	s_mov_b32 s21, exec_lo
	v_cmpx_gt_u32_e32 8, v2
; %bb.197:                              ;   in Loop: Header=BB270_9 Depth=1
	v_ffbh_u32_e32 v0, v0
	v_min_u32_e32 v2, 32, v0
	v_subrev_nc_u32_e32 v0, 28, v2
	v_lshlrev_b64 v[0:1], v0, v[12:13]
	v_sub_nc_u32_e32 v1, 29, v2
	v_and_b32_e32 v0, 7, v0
; %bb.198:                              ;   in Loop: Header=BB270_9 Depth=1
	s_or_b32 exec_lo, exec_lo, s21
	v_lshlrev_b32_e32 v2, 8, v12
	v_lshl_add_u32 v1, v1, 10, 0x2000
	v_lshlrev_b32_e32 v0, 23, v0
	v_and_or_b32 v1, 0x8000, v2, v1
	v_lshl_or_b32 v112, v1, 16, v0
.LBB270_199:                            ;   in Loop: Header=BB270_9 Depth=1
	s_or_b32 exec_lo, exec_lo, s20
.LBB270_200:                            ;   in Loop: Header=BB270_9 Depth=1
	s_or_b32 exec_lo, exec_lo, s19
.LBB270_201:                            ;   in Loop: Header=BB270_9 Depth=1
	s_or_b32 exec_lo, exec_lo, s7
	flat_load_dword v8, v[24:25] offset:768
	v_mov_b32_e32 v114, 0
	v_mov_b32_e32 v115, 0
	s_waitcnt vmcnt(0) lgkmcnt(0)
	v_cmp_ne_u16_sdwa s6, v8, v13 src0_sel:BYTE_0 src1_sel:DWORD
	s_and_saveexec_b32 s7, s6
	s_cbranch_execz .LBB270_209
; %bb.202:                              ;   in Loop: Header=BB270_9 Depth=1
	v_cmp_ne_u16_sdwa s6, v8, v52 src0_sel:BYTE_0 src1_sel:DWORD
	v_mov_b32_e32 v115, 0x8000
	s_and_saveexec_b32 s19, s6
	s_cbranch_execz .LBB270_208
; %bb.203:                              ;   in Loop: Header=BB270_9 Depth=1
	v_and_b32_e32 v2, 0x7f, v8
	v_mov_b32_e32 v115, 0x7c01
	s_mov_b32 s20, exec_lo
	v_cmpx_ne_u32_e32 0x7f, v2
	s_cbranch_execz .LBB270_207
; %bb.204:                              ;   in Loop: Header=BB270_9 Depth=1
	v_and_b32_e32 v0, 7, v8
	v_lshrrev_b32_e32 v1, 3, v2
	s_mov_b32 s21, exec_lo
	v_cmpx_gt_u32_e32 8, v2
; %bb.205:                              ;   in Loop: Header=BB270_9 Depth=1
	v_ffbh_u32_e32 v0, v0
	v_min_u32_e32 v2, 32, v0
	v_subrev_nc_u32_e32 v0, 28, v2
	v_lshlrev_b64 v[0:1], v0, v[8:9]
	v_sub_nc_u32_e32 v1, 29, v2
	v_and_b32_e32 v0, 7, v0
; %bb.206:                              ;   in Loop: Header=BB270_9 Depth=1
	s_or_b32 exec_lo, exec_lo, s21
	v_lshlrev_b32_e32 v2, 8, v8
	v_lshl_add_u32 v1, v1, 10, 0x2000
	v_lshlrev_b32_e32 v0, 7, v0
	v_and_b32_e32 v2, 0x8000, v2
	v_and_b32_e32 v1, 0xfc00, v1
	v_or3_b32 v115, v2, v1, v0
.LBB270_207:                            ;   in Loop: Header=BB270_9 Depth=1
	s_or_b32 exec_lo, exec_lo, s20
.LBB270_208:                            ;   in Loop: Header=BB270_9 Depth=1
	s_or_b32 exec_lo, exec_lo, s19
.LBB270_209:                            ;   in Loop: Header=BB270_9 Depth=1
	s_or_b32 exec_lo, exec_lo, s7
	v_lshrrev_b16 v12, 8, v8
	s_mov_b32 s7, exec_lo
	v_cmpx_ne_u16_e32 0, v12
	s_cbranch_execz .LBB270_217
; %bb.210:                              ;   in Loop: Header=BB270_9 Depth=1
	v_bfrev_b32_e32 v114, 1
	s_mov_b32 s19, exec_lo
	v_cmpx_ne_u16_e32 0x80, v12
	s_cbranch_execz .LBB270_216
; %bb.211:                              ;   in Loop: Header=BB270_9 Depth=1
	v_and_b32_sdwa v2, v12, v53 dst_sel:DWORD dst_unused:UNUSED_PAD src0_sel:WORD_0 src1_sel:DWORD
	v_mov_b32_e32 v114, 0x7c010000
	s_mov_b32 s20, exec_lo
	v_cmpx_ne_u32_e32 0x7f, v2
	s_cbranch_execz .LBB270_215
; %bb.212:                              ;   in Loop: Header=BB270_9 Depth=1
	v_and_b32_sdwa v0, v12, v54 dst_sel:DWORD dst_unused:UNUSED_PAD src0_sel:WORD_0 src1_sel:DWORD
	v_lshrrev_b32_e32 v1, 3, v2
	s_mov_b32 s21, exec_lo
	v_cmpx_gt_u32_e32 8, v2
; %bb.213:                              ;   in Loop: Header=BB270_9 Depth=1
	v_ffbh_u32_e32 v0, v0
	v_min_u32_e32 v2, 32, v0
	v_subrev_nc_u32_e32 v0, 28, v2
	v_lshlrev_b64 v[0:1], v0, v[12:13]
	v_sub_nc_u32_e32 v1, 29, v2
	v_and_b32_e32 v0, 7, v0
; %bb.214:                              ;   in Loop: Header=BB270_9 Depth=1
	s_or_b32 exec_lo, exec_lo, s21
	v_lshlrev_b32_sdwa v2, v55, v12 dst_sel:DWORD dst_unused:UNUSED_PAD src0_sel:DWORD src1_sel:WORD_0
	v_lshl_add_u32 v1, v1, 10, 0x2000
	v_lshlrev_b32_e32 v0, 23, v0
	v_and_or_b32 v1, 0x8000, v2, v1
	v_lshl_or_b32 v114, v1, 16, v0
.LBB270_215:                            ;   in Loop: Header=BB270_9 Depth=1
	s_or_b32 exec_lo, exec_lo, s20
.LBB270_216:                            ;   in Loop: Header=BB270_9 Depth=1
	s_or_b32 exec_lo, exec_lo, s19
.LBB270_217:                            ;   in Loop: Header=BB270_9 Depth=1
	s_or_b32 exec_lo, exec_lo, s7
	v_lshrrev_b32_e32 v12, 16, v8
	v_mov_b32_e32 v116, 0
	v_mov_b32_e32 v117, 0
	v_cmp_ne_u16_sdwa s6, v12, v13 src0_sel:BYTE_0 src1_sel:DWORD
	s_and_saveexec_b32 s7, s6
	s_cbranch_execz .LBB270_225
; %bb.218:                              ;   in Loop: Header=BB270_9 Depth=1
	v_cmp_ne_u16_sdwa s6, v12, v52 src0_sel:BYTE_0 src1_sel:DWORD
	v_mov_b32_e32 v117, 0x8000
	s_and_saveexec_b32 s19, s6
	s_cbranch_execz .LBB270_224
; %bb.219:                              ;   in Loop: Header=BB270_9 Depth=1
	v_bfe_u32 v2, v8, 16, 7
	v_mov_b32_e32 v117, 0x7c01
	s_mov_b32 s20, exec_lo
	v_cmpx_ne_u32_e32 0x7f, v2
	s_cbranch_execz .LBB270_223
; %bb.220:                              ;   in Loop: Header=BB270_9 Depth=1
	v_and_b32_e32 v0, 7, v12
	v_lshrrev_b32_e32 v1, 3, v2
	s_mov_b32 s21, exec_lo
	v_cmpx_gt_u32_e32 8, v2
; %bb.221:                              ;   in Loop: Header=BB270_9 Depth=1
	v_ffbh_u32_e32 v0, v0
	v_min_u32_e32 v2, 32, v0
	v_subrev_nc_u32_e32 v0, 28, v2
	v_lshlrev_b64 v[0:1], v0, v[12:13]
	v_sub_nc_u32_e32 v1, 29, v2
	v_and_b32_e32 v0, 7, v0
; %bb.222:                              ;   in Loop: Header=BB270_9 Depth=1
	s_or_b32 exec_lo, exec_lo, s21
	v_lshlrev_b32_e32 v2, 8, v12
	v_lshl_add_u32 v1, v1, 10, 0x2000
	v_lshlrev_b32_e32 v0, 7, v0
	v_and_b32_e32 v2, 0x8000, v2
	v_and_b32_e32 v1, 0xfc00, v1
	v_or3_b32 v117, v2, v1, v0
.LBB270_223:                            ;   in Loop: Header=BB270_9 Depth=1
	s_or_b32 exec_lo, exec_lo, s20
.LBB270_224:                            ;   in Loop: Header=BB270_9 Depth=1
	s_or_b32 exec_lo, exec_lo, s19
.LBB270_225:                            ;   in Loop: Header=BB270_9 Depth=1
	s_or_b32 exec_lo, exec_lo, s7
	s_mov_b32 s7, exec_lo
	v_cmpx_lt_u32_e32 0xffffff, v8
	s_cbranch_execz .LBB270_233
; %bb.226:                              ;   in Loop: Header=BB270_9 Depth=1
	v_lshrrev_b32_e32 v12, 24, v8
	v_bfrev_b32_e32 v116, 1
	s_mov_b32 s19, exec_lo
	v_cmpx_ne_u32_e32 0x80, v12
	s_cbranch_execz .LBB270_232
; %bb.227:                              ;   in Loop: Header=BB270_9 Depth=1
	v_and_b32_e32 v2, 0x7f, v12
	v_mov_b32_e32 v116, 0x7c010000
	s_mov_b32 s20, exec_lo
	v_cmpx_ne_u32_e32 0x7f, v2
	s_cbranch_execz .LBB270_231
; %bb.228:                              ;   in Loop: Header=BB270_9 Depth=1
	v_and_b32_e32 v0, 7, v12
	v_lshrrev_b32_e32 v1, 3, v2
	s_mov_b32 s21, exec_lo
	v_cmpx_gt_u32_e32 8, v2
; %bb.229:                              ;   in Loop: Header=BB270_9 Depth=1
	v_ffbh_u32_e32 v0, v0
	v_min_u32_e32 v2, 32, v0
	v_subrev_nc_u32_e32 v0, 28, v2
	v_lshlrev_b64 v[0:1], v0, v[12:13]
	v_sub_nc_u32_e32 v1, 29, v2
	v_and_b32_e32 v0, 7, v0
; %bb.230:                              ;   in Loop: Header=BB270_9 Depth=1
	s_or_b32 exec_lo, exec_lo, s21
	v_lshlrev_b32_e32 v2, 8, v12
	v_lshl_add_u32 v1, v1, 10, 0x2000
	v_lshlrev_b32_e32 v0, 23, v0
	v_and_or_b32 v1, 0x8000, v2, v1
	v_lshl_or_b32 v116, v1, 16, v0
.LBB270_231:                            ;   in Loop: Header=BB270_9 Depth=1
	s_or_b32 exec_lo, exec_lo, s20
.LBB270_232:                            ;   in Loop: Header=BB270_9 Depth=1
	s_or_b32 exec_lo, exec_lo, s19
.LBB270_233:                            ;   in Loop: Header=BB270_9 Depth=1
	s_or_b32 exec_lo, exec_lo, s7
	flat_load_dword v8, v[24:25] offset:776
	v_mov_b32_e32 v118, 0
	v_mov_b32_e32 v119, 0
	s_waitcnt vmcnt(0) lgkmcnt(0)
	v_cmp_ne_u16_sdwa s6, v8, v13 src0_sel:BYTE_0 src1_sel:DWORD
	s_and_saveexec_b32 s7, s6
	s_cbranch_execz .LBB270_241
; %bb.234:                              ;   in Loop: Header=BB270_9 Depth=1
	v_cmp_ne_u16_sdwa s6, v8, v52 src0_sel:BYTE_0 src1_sel:DWORD
	v_mov_b32_e32 v119, 0x8000
	s_and_saveexec_b32 s19, s6
	s_cbranch_execz .LBB270_240
; %bb.235:                              ;   in Loop: Header=BB270_9 Depth=1
	v_and_b32_e32 v2, 0x7f, v8
	v_mov_b32_e32 v119, 0x7c01
	s_mov_b32 s20, exec_lo
	v_cmpx_ne_u32_e32 0x7f, v2
	s_cbranch_execz .LBB270_239
; %bb.236:                              ;   in Loop: Header=BB270_9 Depth=1
	v_and_b32_e32 v0, 7, v8
	v_lshrrev_b32_e32 v1, 3, v2
	s_mov_b32 s21, exec_lo
	v_cmpx_gt_u32_e32 8, v2
; %bb.237:                              ;   in Loop: Header=BB270_9 Depth=1
	v_ffbh_u32_e32 v0, v0
	v_min_u32_e32 v2, 32, v0
	v_subrev_nc_u32_e32 v0, 28, v2
	v_lshlrev_b64 v[0:1], v0, v[8:9]
	v_sub_nc_u32_e32 v1, 29, v2
	v_and_b32_e32 v0, 7, v0
; %bb.238:                              ;   in Loop: Header=BB270_9 Depth=1
	s_or_b32 exec_lo, exec_lo, s21
	v_lshlrev_b32_e32 v2, 8, v8
	v_lshl_add_u32 v1, v1, 10, 0x2000
	v_lshlrev_b32_e32 v0, 7, v0
	v_and_b32_e32 v2, 0x8000, v2
	v_and_b32_e32 v1, 0xfc00, v1
	v_or3_b32 v119, v2, v1, v0
.LBB270_239:                            ;   in Loop: Header=BB270_9 Depth=1
	s_or_b32 exec_lo, exec_lo, s20
.LBB270_240:                            ;   in Loop: Header=BB270_9 Depth=1
	s_or_b32 exec_lo, exec_lo, s19
.LBB270_241:                            ;   in Loop: Header=BB270_9 Depth=1
	s_or_b32 exec_lo, exec_lo, s7
	v_lshrrev_b16 v12, 8, v8
	s_mov_b32 s7, exec_lo
	v_cmpx_ne_u16_e32 0, v12
	s_cbranch_execz .LBB270_249
; %bb.242:                              ;   in Loop: Header=BB270_9 Depth=1
	v_bfrev_b32_e32 v118, 1
	s_mov_b32 s19, exec_lo
	v_cmpx_ne_u16_e32 0x80, v12
	s_cbranch_execz .LBB270_248
; %bb.243:                              ;   in Loop: Header=BB270_9 Depth=1
	v_and_b32_sdwa v2, v12, v53 dst_sel:DWORD dst_unused:UNUSED_PAD src0_sel:WORD_0 src1_sel:DWORD
	v_mov_b32_e32 v118, 0x7c010000
	s_mov_b32 s20, exec_lo
	v_cmpx_ne_u32_e32 0x7f, v2
	s_cbranch_execz .LBB270_247
; %bb.244:                              ;   in Loop: Header=BB270_9 Depth=1
	v_and_b32_sdwa v0, v12, v54 dst_sel:DWORD dst_unused:UNUSED_PAD src0_sel:WORD_0 src1_sel:DWORD
	v_lshrrev_b32_e32 v1, 3, v2
	s_mov_b32 s21, exec_lo
	v_cmpx_gt_u32_e32 8, v2
; %bb.245:                              ;   in Loop: Header=BB270_9 Depth=1
	v_ffbh_u32_e32 v0, v0
	v_min_u32_e32 v2, 32, v0
	v_subrev_nc_u32_e32 v0, 28, v2
	v_lshlrev_b64 v[0:1], v0, v[12:13]
	v_sub_nc_u32_e32 v1, 29, v2
	v_and_b32_e32 v0, 7, v0
; %bb.246:                              ;   in Loop: Header=BB270_9 Depth=1
	s_or_b32 exec_lo, exec_lo, s21
	v_lshlrev_b32_sdwa v2, v55, v12 dst_sel:DWORD dst_unused:UNUSED_PAD src0_sel:DWORD src1_sel:WORD_0
	v_lshl_add_u32 v1, v1, 10, 0x2000
	v_lshlrev_b32_e32 v0, 23, v0
	v_and_or_b32 v1, 0x8000, v2, v1
	v_lshl_or_b32 v118, v1, 16, v0
.LBB270_247:                            ;   in Loop: Header=BB270_9 Depth=1
	s_or_b32 exec_lo, exec_lo, s20
.LBB270_248:                            ;   in Loop: Header=BB270_9 Depth=1
	s_or_b32 exec_lo, exec_lo, s19
.LBB270_249:                            ;   in Loop: Header=BB270_9 Depth=1
	s_or_b32 exec_lo, exec_lo, s7
	v_lshrrev_b32_e32 v12, 16, v8
	v_mov_b32_e32 v40, 0
	v_mov_b32_e32 v41, 0
	v_cmp_ne_u16_sdwa s6, v12, v13 src0_sel:BYTE_0 src1_sel:DWORD
	s_and_saveexec_b32 s7, s6
	s_cbranch_execz .LBB270_257
; %bb.250:                              ;   in Loop: Header=BB270_9 Depth=1
	v_cmp_ne_u16_sdwa s6, v12, v52 src0_sel:BYTE_0 src1_sel:DWORD
	v_mov_b32_e32 v41, 0x8000
	s_and_saveexec_b32 s19, s6
	s_cbranch_execz .LBB270_256
; %bb.251:                              ;   in Loop: Header=BB270_9 Depth=1
	v_bfe_u32 v2, v8, 16, 7
	v_mov_b32_e32 v41, 0x7c01
	s_mov_b32 s20, exec_lo
	v_cmpx_ne_u32_e32 0x7f, v2
	s_cbranch_execz .LBB270_255
; %bb.252:                              ;   in Loop: Header=BB270_9 Depth=1
	v_and_b32_e32 v0, 7, v12
	v_lshrrev_b32_e32 v1, 3, v2
	s_mov_b32 s21, exec_lo
	v_cmpx_gt_u32_e32 8, v2
; %bb.253:                              ;   in Loop: Header=BB270_9 Depth=1
	v_ffbh_u32_e32 v0, v0
	v_min_u32_e32 v2, 32, v0
	v_subrev_nc_u32_e32 v0, 28, v2
	v_lshlrev_b64 v[0:1], v0, v[12:13]
	v_sub_nc_u32_e32 v1, 29, v2
	v_and_b32_e32 v0, 7, v0
; %bb.254:                              ;   in Loop: Header=BB270_9 Depth=1
	s_or_b32 exec_lo, exec_lo, s21
	v_lshlrev_b32_e32 v2, 8, v12
	v_lshl_add_u32 v1, v1, 10, 0x2000
	v_lshlrev_b32_e32 v0, 7, v0
	v_and_b32_e32 v2, 0x8000, v2
	v_and_b32_e32 v1, 0xfc00, v1
	v_or3_b32 v41, v2, v1, v0
.LBB270_255:                            ;   in Loop: Header=BB270_9 Depth=1
	s_or_b32 exec_lo, exec_lo, s20
.LBB270_256:                            ;   in Loop: Header=BB270_9 Depth=1
	s_or_b32 exec_lo, exec_lo, s19
.LBB270_257:                            ;   in Loop: Header=BB270_9 Depth=1
	s_or_b32 exec_lo, exec_lo, s7
	s_mov_b32 s7, exec_lo
	v_cmpx_lt_u32_e32 0xffffff, v8
	s_cbranch_execz .LBB270_265
; %bb.258:                              ;   in Loop: Header=BB270_9 Depth=1
	v_lshrrev_b32_e32 v12, 24, v8
	v_bfrev_b32_e32 v40, 1
	s_mov_b32 s19, exec_lo
	v_cmpx_ne_u32_e32 0x80, v12
	s_cbranch_execz .LBB270_264
; %bb.259:                              ;   in Loop: Header=BB270_9 Depth=1
	v_and_b32_e32 v2, 0x7f, v12
	v_mov_b32_e32 v40, 0x7c010000
	s_mov_b32 s20, exec_lo
	v_cmpx_ne_u32_e32 0x7f, v2
	s_cbranch_execz .LBB270_263
; %bb.260:                              ;   in Loop: Header=BB270_9 Depth=1
	v_and_b32_e32 v0, 7, v12
	v_lshrrev_b32_e32 v1, 3, v2
	s_mov_b32 s21, exec_lo
	v_cmpx_gt_u32_e32 8, v2
; %bb.261:                              ;   in Loop: Header=BB270_9 Depth=1
	v_ffbh_u32_e32 v0, v0
	v_min_u32_e32 v2, 32, v0
	v_subrev_nc_u32_e32 v0, 28, v2
	v_lshlrev_b64 v[0:1], v0, v[12:13]
	v_sub_nc_u32_e32 v1, 29, v2
	v_and_b32_e32 v0, 7, v0
; %bb.262:                              ;   in Loop: Header=BB270_9 Depth=1
	s_or_b32 exec_lo, exec_lo, s21
	v_lshlrev_b32_e32 v2, 8, v12
	v_lshl_add_u32 v1, v1, 10, 0x2000
	v_lshlrev_b32_e32 v0, 23, v0
	v_and_or_b32 v1, 0x8000, v2, v1
	v_lshl_or_b32 v40, v1, 16, v0
.LBB270_263:                            ;   in Loop: Header=BB270_9 Depth=1
	s_or_b32 exec_lo, exec_lo, s20
.LBB270_264:                            ;   in Loop: Header=BB270_9 Depth=1
	s_or_b32 exec_lo, exec_lo, s19
.LBB270_265:                            ;   in Loop: Header=BB270_9 Depth=1
	s_or_b32 exec_lo, exec_lo, s7
	flat_load_dword v8, v[24:25] offset:1024
	v_mov_b32_e32 v42, 0
	v_mov_b32_e32 v43, 0
	s_waitcnt vmcnt(0) lgkmcnt(0)
	v_cmp_ne_u16_sdwa s6, v8, v13 src0_sel:BYTE_0 src1_sel:DWORD
	s_and_saveexec_b32 s7, s6
	s_cbranch_execz .LBB270_273
; %bb.266:                              ;   in Loop: Header=BB270_9 Depth=1
	v_cmp_ne_u16_sdwa s6, v8, v52 src0_sel:BYTE_0 src1_sel:DWORD
	v_mov_b32_e32 v43, 0x8000
	s_and_saveexec_b32 s19, s6
	s_cbranch_execz .LBB270_272
; %bb.267:                              ;   in Loop: Header=BB270_9 Depth=1
	v_and_b32_e32 v2, 0x7f, v8
	v_mov_b32_e32 v43, 0x7c01
	s_mov_b32 s20, exec_lo
	v_cmpx_ne_u32_e32 0x7f, v2
	s_cbranch_execz .LBB270_271
; %bb.268:                              ;   in Loop: Header=BB270_9 Depth=1
	v_and_b32_e32 v0, 7, v8
	v_lshrrev_b32_e32 v1, 3, v2
	s_mov_b32 s21, exec_lo
	v_cmpx_gt_u32_e32 8, v2
; %bb.269:                              ;   in Loop: Header=BB270_9 Depth=1
	v_ffbh_u32_e32 v0, v0
	v_min_u32_e32 v2, 32, v0
	v_subrev_nc_u32_e32 v0, 28, v2
	v_lshlrev_b64 v[0:1], v0, v[8:9]
	v_sub_nc_u32_e32 v1, 29, v2
	v_and_b32_e32 v0, 7, v0
; %bb.270:                              ;   in Loop: Header=BB270_9 Depth=1
	s_or_b32 exec_lo, exec_lo, s21
	v_lshlrev_b32_e32 v2, 8, v8
	v_lshl_add_u32 v1, v1, 10, 0x2000
	v_lshlrev_b32_e32 v0, 7, v0
	v_and_b32_e32 v2, 0x8000, v2
	v_and_b32_e32 v1, 0xfc00, v1
	v_or3_b32 v43, v2, v1, v0
.LBB270_271:                            ;   in Loop: Header=BB270_9 Depth=1
	s_or_b32 exec_lo, exec_lo, s20
.LBB270_272:                            ;   in Loop: Header=BB270_9 Depth=1
	s_or_b32 exec_lo, exec_lo, s19
.LBB270_273:                            ;   in Loop: Header=BB270_9 Depth=1
	s_or_b32 exec_lo, exec_lo, s7
	v_lshrrev_b16 v12, 8, v8
	s_mov_b32 s7, exec_lo
	v_cmpx_ne_u16_e32 0, v12
	s_cbranch_execz .LBB270_281
; %bb.274:                              ;   in Loop: Header=BB270_9 Depth=1
	v_bfrev_b32_e32 v42, 1
	s_mov_b32 s19, exec_lo
	v_cmpx_ne_u16_e32 0x80, v12
	s_cbranch_execz .LBB270_280
; %bb.275:                              ;   in Loop: Header=BB270_9 Depth=1
	v_and_b32_sdwa v2, v12, v53 dst_sel:DWORD dst_unused:UNUSED_PAD src0_sel:WORD_0 src1_sel:DWORD
	v_mov_b32_e32 v42, 0x7c010000
	s_mov_b32 s20, exec_lo
	v_cmpx_ne_u32_e32 0x7f, v2
	s_cbranch_execz .LBB270_279
; %bb.276:                              ;   in Loop: Header=BB270_9 Depth=1
	v_and_b32_sdwa v0, v12, v54 dst_sel:DWORD dst_unused:UNUSED_PAD src0_sel:WORD_0 src1_sel:DWORD
	v_lshrrev_b32_e32 v1, 3, v2
	s_mov_b32 s21, exec_lo
	v_cmpx_gt_u32_e32 8, v2
; %bb.277:                              ;   in Loop: Header=BB270_9 Depth=1
	v_ffbh_u32_e32 v0, v0
	v_min_u32_e32 v2, 32, v0
	v_subrev_nc_u32_e32 v0, 28, v2
	v_lshlrev_b64 v[0:1], v0, v[12:13]
	v_sub_nc_u32_e32 v1, 29, v2
	v_and_b32_e32 v0, 7, v0
; %bb.278:                              ;   in Loop: Header=BB270_9 Depth=1
	s_or_b32 exec_lo, exec_lo, s21
	v_lshlrev_b32_sdwa v2, v55, v12 dst_sel:DWORD dst_unused:UNUSED_PAD src0_sel:DWORD src1_sel:WORD_0
	v_lshl_add_u32 v1, v1, 10, 0x2000
	v_lshlrev_b32_e32 v0, 23, v0
	v_and_or_b32 v1, 0x8000, v2, v1
	v_lshl_or_b32 v42, v1, 16, v0
.LBB270_279:                            ;   in Loop: Header=BB270_9 Depth=1
	s_or_b32 exec_lo, exec_lo, s20
.LBB270_280:                            ;   in Loop: Header=BB270_9 Depth=1
	s_or_b32 exec_lo, exec_lo, s19
.LBB270_281:                            ;   in Loop: Header=BB270_9 Depth=1
	s_or_b32 exec_lo, exec_lo, s7
	v_lshrrev_b32_e32 v12, 16, v8
	v_mov_b32_e32 v44, 0
	v_mov_b32_e32 v45, 0
	v_cmp_ne_u16_sdwa s6, v12, v13 src0_sel:BYTE_0 src1_sel:DWORD
	s_and_saveexec_b32 s7, s6
	s_cbranch_execz .LBB270_289
; %bb.282:                              ;   in Loop: Header=BB270_9 Depth=1
	v_cmp_ne_u16_sdwa s6, v12, v52 src0_sel:BYTE_0 src1_sel:DWORD
	v_mov_b32_e32 v45, 0x8000
	s_and_saveexec_b32 s19, s6
	s_cbranch_execz .LBB270_288
; %bb.283:                              ;   in Loop: Header=BB270_9 Depth=1
	v_bfe_u32 v2, v8, 16, 7
	v_mov_b32_e32 v45, 0x7c01
	s_mov_b32 s20, exec_lo
	v_cmpx_ne_u32_e32 0x7f, v2
	s_cbranch_execz .LBB270_287
; %bb.284:                              ;   in Loop: Header=BB270_9 Depth=1
	v_and_b32_e32 v0, 7, v12
	v_lshrrev_b32_e32 v1, 3, v2
	s_mov_b32 s21, exec_lo
	v_cmpx_gt_u32_e32 8, v2
; %bb.285:                              ;   in Loop: Header=BB270_9 Depth=1
	v_ffbh_u32_e32 v0, v0
	v_min_u32_e32 v2, 32, v0
	v_subrev_nc_u32_e32 v0, 28, v2
	v_lshlrev_b64 v[0:1], v0, v[12:13]
	v_sub_nc_u32_e32 v1, 29, v2
	v_and_b32_e32 v0, 7, v0
; %bb.286:                              ;   in Loop: Header=BB270_9 Depth=1
	s_or_b32 exec_lo, exec_lo, s21
	v_lshlrev_b32_e32 v2, 8, v12
	v_lshl_add_u32 v1, v1, 10, 0x2000
	v_lshlrev_b32_e32 v0, 7, v0
	v_and_b32_e32 v2, 0x8000, v2
	v_and_b32_e32 v1, 0xfc00, v1
	v_or3_b32 v45, v2, v1, v0
.LBB270_287:                            ;   in Loop: Header=BB270_9 Depth=1
	s_or_b32 exec_lo, exec_lo, s20
.LBB270_288:                            ;   in Loop: Header=BB270_9 Depth=1
	s_or_b32 exec_lo, exec_lo, s19
.LBB270_289:                            ;   in Loop: Header=BB270_9 Depth=1
	s_or_b32 exec_lo, exec_lo, s7
	s_mov_b32 s7, exec_lo
	v_cmpx_lt_u32_e32 0xffffff, v8
	s_cbranch_execz .LBB270_297
; %bb.290:                              ;   in Loop: Header=BB270_9 Depth=1
	v_lshrrev_b32_e32 v12, 24, v8
	v_bfrev_b32_e32 v44, 1
	s_mov_b32 s19, exec_lo
	v_cmpx_ne_u32_e32 0x80, v12
	s_cbranch_execz .LBB270_296
; %bb.291:                              ;   in Loop: Header=BB270_9 Depth=1
	v_and_b32_e32 v2, 0x7f, v12
	v_mov_b32_e32 v44, 0x7c010000
	s_mov_b32 s20, exec_lo
	v_cmpx_ne_u32_e32 0x7f, v2
	s_cbranch_execz .LBB270_295
; %bb.292:                              ;   in Loop: Header=BB270_9 Depth=1
	v_and_b32_e32 v0, 7, v12
	v_lshrrev_b32_e32 v1, 3, v2
	s_mov_b32 s21, exec_lo
	v_cmpx_gt_u32_e32 8, v2
; %bb.293:                              ;   in Loop: Header=BB270_9 Depth=1
	v_ffbh_u32_e32 v0, v0
	v_min_u32_e32 v2, 32, v0
	v_subrev_nc_u32_e32 v0, 28, v2
	v_lshlrev_b64 v[0:1], v0, v[12:13]
	v_sub_nc_u32_e32 v1, 29, v2
	v_and_b32_e32 v0, 7, v0
; %bb.294:                              ;   in Loop: Header=BB270_9 Depth=1
	s_or_b32 exec_lo, exec_lo, s21
	v_lshlrev_b32_e32 v2, 8, v12
	v_lshl_add_u32 v1, v1, 10, 0x2000
	v_lshlrev_b32_e32 v0, 23, v0
	v_and_or_b32 v1, 0x8000, v2, v1
	v_lshl_or_b32 v44, v1, 16, v0
.LBB270_295:                            ;   in Loop: Header=BB270_9 Depth=1
	s_or_b32 exec_lo, exec_lo, s20
.LBB270_296:                            ;   in Loop: Header=BB270_9 Depth=1
	s_or_b32 exec_lo, exec_lo, s19
.LBB270_297:                            ;   in Loop: Header=BB270_9 Depth=1
	s_or_b32 exec_lo, exec_lo, s7
	flat_load_dword v8, v[24:25] offset:1032
	v_mov_b32_e32 v46, 0
	v_mov_b32_e32 v47, 0
	s_waitcnt vmcnt(0) lgkmcnt(0)
	v_cmp_ne_u16_sdwa s6, v8, v13 src0_sel:BYTE_0 src1_sel:DWORD
	s_and_saveexec_b32 s7, s6
	s_cbranch_execz .LBB270_305
; %bb.298:                              ;   in Loop: Header=BB270_9 Depth=1
	v_cmp_ne_u16_sdwa s6, v8, v52 src0_sel:BYTE_0 src1_sel:DWORD
	v_mov_b32_e32 v47, 0x8000
	s_and_saveexec_b32 s19, s6
	s_cbranch_execz .LBB270_304
; %bb.299:                              ;   in Loop: Header=BB270_9 Depth=1
	v_and_b32_e32 v2, 0x7f, v8
	v_mov_b32_e32 v47, 0x7c01
	s_mov_b32 s20, exec_lo
	v_cmpx_ne_u32_e32 0x7f, v2
	s_cbranch_execz .LBB270_303
; %bb.300:                              ;   in Loop: Header=BB270_9 Depth=1
	v_and_b32_e32 v0, 7, v8
	v_lshrrev_b32_e32 v1, 3, v2
	s_mov_b32 s21, exec_lo
	v_cmpx_gt_u32_e32 8, v2
; %bb.301:                              ;   in Loop: Header=BB270_9 Depth=1
	v_ffbh_u32_e32 v0, v0
	v_min_u32_e32 v2, 32, v0
	v_subrev_nc_u32_e32 v0, 28, v2
	v_lshlrev_b64 v[0:1], v0, v[8:9]
	v_sub_nc_u32_e32 v1, 29, v2
	v_and_b32_e32 v0, 7, v0
; %bb.302:                              ;   in Loop: Header=BB270_9 Depth=1
	s_or_b32 exec_lo, exec_lo, s21
	v_lshlrev_b32_e32 v2, 8, v8
	v_lshl_add_u32 v1, v1, 10, 0x2000
	v_lshlrev_b32_e32 v0, 7, v0
	v_and_b32_e32 v2, 0x8000, v2
	v_and_b32_e32 v1, 0xfc00, v1
	v_or3_b32 v47, v2, v1, v0
.LBB270_303:                            ;   in Loop: Header=BB270_9 Depth=1
	s_or_b32 exec_lo, exec_lo, s20
.LBB270_304:                            ;   in Loop: Header=BB270_9 Depth=1
	s_or_b32 exec_lo, exec_lo, s19
.LBB270_305:                            ;   in Loop: Header=BB270_9 Depth=1
	s_or_b32 exec_lo, exec_lo, s7
	v_lshrrev_b16 v12, 8, v8
	s_mov_b32 s7, exec_lo
	v_cmpx_ne_u16_e32 0, v12
	s_cbranch_execz .LBB270_313
; %bb.306:                              ;   in Loop: Header=BB270_9 Depth=1
	v_bfrev_b32_e32 v46, 1
	s_mov_b32 s19, exec_lo
	v_cmpx_ne_u16_e32 0x80, v12
	s_cbranch_execz .LBB270_312
; %bb.307:                              ;   in Loop: Header=BB270_9 Depth=1
	v_and_b32_sdwa v2, v12, v53 dst_sel:DWORD dst_unused:UNUSED_PAD src0_sel:WORD_0 src1_sel:DWORD
	v_mov_b32_e32 v46, 0x7c010000
	s_mov_b32 s20, exec_lo
	v_cmpx_ne_u32_e32 0x7f, v2
	s_cbranch_execz .LBB270_311
; %bb.308:                              ;   in Loop: Header=BB270_9 Depth=1
	v_and_b32_sdwa v0, v12, v54 dst_sel:DWORD dst_unused:UNUSED_PAD src0_sel:WORD_0 src1_sel:DWORD
	v_lshrrev_b32_e32 v1, 3, v2
	s_mov_b32 s21, exec_lo
	v_cmpx_gt_u32_e32 8, v2
; %bb.309:                              ;   in Loop: Header=BB270_9 Depth=1
	v_ffbh_u32_e32 v0, v0
	v_min_u32_e32 v2, 32, v0
	v_subrev_nc_u32_e32 v0, 28, v2
	v_lshlrev_b64 v[0:1], v0, v[12:13]
	v_sub_nc_u32_e32 v1, 29, v2
	v_and_b32_e32 v0, 7, v0
; %bb.310:                              ;   in Loop: Header=BB270_9 Depth=1
	s_or_b32 exec_lo, exec_lo, s21
	v_lshlrev_b32_sdwa v2, v55, v12 dst_sel:DWORD dst_unused:UNUSED_PAD src0_sel:DWORD src1_sel:WORD_0
	v_lshl_add_u32 v1, v1, 10, 0x2000
	v_lshlrev_b32_e32 v0, 23, v0
	v_and_or_b32 v1, 0x8000, v2, v1
	v_lshl_or_b32 v46, v1, 16, v0
.LBB270_311:                            ;   in Loop: Header=BB270_9 Depth=1
	s_or_b32 exec_lo, exec_lo, s20
.LBB270_312:                            ;   in Loop: Header=BB270_9 Depth=1
	s_or_b32 exec_lo, exec_lo, s19
.LBB270_313:                            ;   in Loop: Header=BB270_9 Depth=1
	s_or_b32 exec_lo, exec_lo, s7
	v_lshrrev_b32_e32 v12, 16, v8
	v_mov_b32_e32 v56, 0
	v_mov_b32_e32 v57, 0
	v_cmp_ne_u16_sdwa s6, v12, v13 src0_sel:BYTE_0 src1_sel:DWORD
	s_and_saveexec_b32 s7, s6
	s_cbranch_execz .LBB270_321
; %bb.314:                              ;   in Loop: Header=BB270_9 Depth=1
	v_cmp_ne_u16_sdwa s6, v12, v52 src0_sel:BYTE_0 src1_sel:DWORD
	v_mov_b32_e32 v57, 0x8000
	s_and_saveexec_b32 s19, s6
	s_cbranch_execz .LBB270_320
; %bb.315:                              ;   in Loop: Header=BB270_9 Depth=1
	v_bfe_u32 v2, v8, 16, 7
	v_mov_b32_e32 v57, 0x7c01
	s_mov_b32 s20, exec_lo
	v_cmpx_ne_u32_e32 0x7f, v2
	s_cbranch_execz .LBB270_319
; %bb.316:                              ;   in Loop: Header=BB270_9 Depth=1
	v_and_b32_e32 v0, 7, v12
	v_lshrrev_b32_e32 v1, 3, v2
	s_mov_b32 s21, exec_lo
	v_cmpx_gt_u32_e32 8, v2
; %bb.317:                              ;   in Loop: Header=BB270_9 Depth=1
	v_ffbh_u32_e32 v0, v0
	v_min_u32_e32 v2, 32, v0
	v_subrev_nc_u32_e32 v0, 28, v2
	v_lshlrev_b64 v[0:1], v0, v[12:13]
	v_sub_nc_u32_e32 v1, 29, v2
	v_and_b32_e32 v0, 7, v0
; %bb.318:                              ;   in Loop: Header=BB270_9 Depth=1
	s_or_b32 exec_lo, exec_lo, s21
	v_lshlrev_b32_e32 v2, 8, v12
	v_lshl_add_u32 v1, v1, 10, 0x2000
	v_lshlrev_b32_e32 v0, 7, v0
	v_and_b32_e32 v2, 0x8000, v2
	v_and_b32_e32 v1, 0xfc00, v1
	v_or3_b32 v57, v2, v1, v0
.LBB270_319:                            ;   in Loop: Header=BB270_9 Depth=1
	s_or_b32 exec_lo, exec_lo, s20
.LBB270_320:                            ;   in Loop: Header=BB270_9 Depth=1
	s_or_b32 exec_lo, exec_lo, s19
.LBB270_321:                            ;   in Loop: Header=BB270_9 Depth=1
	s_or_b32 exec_lo, exec_lo, s7
	s_mov_b32 s7, exec_lo
	v_cmpx_lt_u32_e32 0xffffff, v8
	s_cbranch_execz .LBB270_329
; %bb.322:                              ;   in Loop: Header=BB270_9 Depth=1
	v_lshrrev_b32_e32 v12, 24, v8
	v_bfrev_b32_e32 v56, 1
	s_mov_b32 s19, exec_lo
	v_cmpx_ne_u32_e32 0x80, v12
	s_cbranch_execz .LBB270_328
; %bb.323:                              ;   in Loop: Header=BB270_9 Depth=1
	v_and_b32_e32 v2, 0x7f, v12
	v_mov_b32_e32 v56, 0x7c010000
	s_mov_b32 s20, exec_lo
	v_cmpx_ne_u32_e32 0x7f, v2
	s_cbranch_execz .LBB270_327
; %bb.324:                              ;   in Loop: Header=BB270_9 Depth=1
	v_and_b32_e32 v0, 7, v12
	v_lshrrev_b32_e32 v1, 3, v2
	s_mov_b32 s21, exec_lo
	v_cmpx_gt_u32_e32 8, v2
; %bb.325:                              ;   in Loop: Header=BB270_9 Depth=1
	v_ffbh_u32_e32 v0, v0
	v_min_u32_e32 v2, 32, v0
	v_subrev_nc_u32_e32 v0, 28, v2
	v_lshlrev_b64 v[0:1], v0, v[12:13]
	v_sub_nc_u32_e32 v1, 29, v2
	v_and_b32_e32 v0, 7, v0
; %bb.326:                              ;   in Loop: Header=BB270_9 Depth=1
	s_or_b32 exec_lo, exec_lo, s21
	v_lshlrev_b32_e32 v2, 8, v12
	v_lshl_add_u32 v1, v1, 10, 0x2000
	v_lshlrev_b32_e32 v0, 23, v0
	v_and_or_b32 v1, 0x8000, v2, v1
	v_lshl_or_b32 v56, v1, 16, v0
.LBB270_327:                            ;   in Loop: Header=BB270_9 Depth=1
	s_or_b32 exec_lo, exec_lo, s20
.LBB270_328:                            ;   in Loop: Header=BB270_9 Depth=1
	s_or_b32 exec_lo, exec_lo, s19
.LBB270_329:                            ;   in Loop: Header=BB270_9 Depth=1
	s_or_b32 exec_lo, exec_lo, s7
	flat_load_dword v8, v[24:25] offset:1280
	v_mov_b32_e32 v58, 0
	v_mov_b32_e32 v59, 0
	s_waitcnt vmcnt(0) lgkmcnt(0)
	v_cmp_ne_u16_sdwa s6, v8, v13 src0_sel:BYTE_0 src1_sel:DWORD
	s_and_saveexec_b32 s7, s6
	s_cbranch_execz .LBB270_337
; %bb.330:                              ;   in Loop: Header=BB270_9 Depth=1
	v_cmp_ne_u16_sdwa s6, v8, v52 src0_sel:BYTE_0 src1_sel:DWORD
	v_mov_b32_e32 v59, 0x8000
	s_and_saveexec_b32 s19, s6
	s_cbranch_execz .LBB270_336
; %bb.331:                              ;   in Loop: Header=BB270_9 Depth=1
	v_and_b32_e32 v2, 0x7f, v8
	v_mov_b32_e32 v59, 0x7c01
	s_mov_b32 s20, exec_lo
	v_cmpx_ne_u32_e32 0x7f, v2
	s_cbranch_execz .LBB270_335
; %bb.332:                              ;   in Loop: Header=BB270_9 Depth=1
	v_and_b32_e32 v0, 7, v8
	v_lshrrev_b32_e32 v1, 3, v2
	s_mov_b32 s21, exec_lo
	v_cmpx_gt_u32_e32 8, v2
; %bb.333:                              ;   in Loop: Header=BB270_9 Depth=1
	v_ffbh_u32_e32 v0, v0
	v_min_u32_e32 v2, 32, v0
	v_subrev_nc_u32_e32 v0, 28, v2
	v_lshlrev_b64 v[0:1], v0, v[8:9]
	v_sub_nc_u32_e32 v1, 29, v2
	v_and_b32_e32 v0, 7, v0
; %bb.334:                              ;   in Loop: Header=BB270_9 Depth=1
	s_or_b32 exec_lo, exec_lo, s21
	v_lshlrev_b32_e32 v2, 8, v8
	v_lshl_add_u32 v1, v1, 10, 0x2000
	v_lshlrev_b32_e32 v0, 7, v0
	v_and_b32_e32 v2, 0x8000, v2
	v_and_b32_e32 v1, 0xfc00, v1
	v_or3_b32 v59, v2, v1, v0
.LBB270_335:                            ;   in Loop: Header=BB270_9 Depth=1
	s_or_b32 exec_lo, exec_lo, s20
.LBB270_336:                            ;   in Loop: Header=BB270_9 Depth=1
	s_or_b32 exec_lo, exec_lo, s19
.LBB270_337:                            ;   in Loop: Header=BB270_9 Depth=1
	s_or_b32 exec_lo, exec_lo, s7
	v_lshrrev_b16 v12, 8, v8
	s_mov_b32 s7, exec_lo
	v_cmpx_ne_u16_e32 0, v12
	s_cbranch_execz .LBB270_345
; %bb.338:                              ;   in Loop: Header=BB270_9 Depth=1
	v_bfrev_b32_e32 v58, 1
	s_mov_b32 s19, exec_lo
	v_cmpx_ne_u16_e32 0x80, v12
	s_cbranch_execz .LBB270_344
; %bb.339:                              ;   in Loop: Header=BB270_9 Depth=1
	v_and_b32_sdwa v2, v12, v53 dst_sel:DWORD dst_unused:UNUSED_PAD src0_sel:WORD_0 src1_sel:DWORD
	v_mov_b32_e32 v58, 0x7c010000
	s_mov_b32 s20, exec_lo
	v_cmpx_ne_u32_e32 0x7f, v2
	s_cbranch_execz .LBB270_343
; %bb.340:                              ;   in Loop: Header=BB270_9 Depth=1
	v_and_b32_sdwa v0, v12, v54 dst_sel:DWORD dst_unused:UNUSED_PAD src0_sel:WORD_0 src1_sel:DWORD
	v_lshrrev_b32_e32 v1, 3, v2
	s_mov_b32 s21, exec_lo
	v_cmpx_gt_u32_e32 8, v2
; %bb.341:                              ;   in Loop: Header=BB270_9 Depth=1
	v_ffbh_u32_e32 v0, v0
	v_min_u32_e32 v2, 32, v0
	v_subrev_nc_u32_e32 v0, 28, v2
	v_lshlrev_b64 v[0:1], v0, v[12:13]
	v_sub_nc_u32_e32 v1, 29, v2
	v_and_b32_e32 v0, 7, v0
; %bb.342:                              ;   in Loop: Header=BB270_9 Depth=1
	s_or_b32 exec_lo, exec_lo, s21
	v_lshlrev_b32_sdwa v2, v55, v12 dst_sel:DWORD dst_unused:UNUSED_PAD src0_sel:DWORD src1_sel:WORD_0
	v_lshl_add_u32 v1, v1, 10, 0x2000
	v_lshlrev_b32_e32 v0, 23, v0
	v_and_or_b32 v1, 0x8000, v2, v1
	v_lshl_or_b32 v58, v1, 16, v0
.LBB270_343:                            ;   in Loop: Header=BB270_9 Depth=1
	s_or_b32 exec_lo, exec_lo, s20
.LBB270_344:                            ;   in Loop: Header=BB270_9 Depth=1
	s_or_b32 exec_lo, exec_lo, s19
.LBB270_345:                            ;   in Loop: Header=BB270_9 Depth=1
	s_or_b32 exec_lo, exec_lo, s7
	v_lshrrev_b32_e32 v12, 16, v8
	v_mov_b32_e32 v60, 0
	v_mov_b32_e32 v61, 0
	v_cmp_ne_u16_sdwa s6, v12, v13 src0_sel:BYTE_0 src1_sel:DWORD
	s_and_saveexec_b32 s7, s6
	s_cbranch_execz .LBB270_353
; %bb.346:                              ;   in Loop: Header=BB270_9 Depth=1
	v_cmp_ne_u16_sdwa s6, v12, v52 src0_sel:BYTE_0 src1_sel:DWORD
	v_mov_b32_e32 v61, 0x8000
	s_and_saveexec_b32 s19, s6
	s_cbranch_execz .LBB270_352
; %bb.347:                              ;   in Loop: Header=BB270_9 Depth=1
	v_bfe_u32 v2, v8, 16, 7
	v_mov_b32_e32 v61, 0x7c01
	s_mov_b32 s20, exec_lo
	v_cmpx_ne_u32_e32 0x7f, v2
	s_cbranch_execz .LBB270_351
; %bb.348:                              ;   in Loop: Header=BB270_9 Depth=1
	v_and_b32_e32 v0, 7, v12
	v_lshrrev_b32_e32 v1, 3, v2
	s_mov_b32 s21, exec_lo
	v_cmpx_gt_u32_e32 8, v2
; %bb.349:                              ;   in Loop: Header=BB270_9 Depth=1
	v_ffbh_u32_e32 v0, v0
	v_min_u32_e32 v2, 32, v0
	v_subrev_nc_u32_e32 v0, 28, v2
	v_lshlrev_b64 v[0:1], v0, v[12:13]
	v_sub_nc_u32_e32 v1, 29, v2
	v_and_b32_e32 v0, 7, v0
; %bb.350:                              ;   in Loop: Header=BB270_9 Depth=1
	s_or_b32 exec_lo, exec_lo, s21
	v_lshlrev_b32_e32 v2, 8, v12
	v_lshl_add_u32 v1, v1, 10, 0x2000
	v_lshlrev_b32_e32 v0, 7, v0
	v_and_b32_e32 v2, 0x8000, v2
	v_and_b32_e32 v1, 0xfc00, v1
	v_or3_b32 v61, v2, v1, v0
.LBB270_351:                            ;   in Loop: Header=BB270_9 Depth=1
	s_or_b32 exec_lo, exec_lo, s20
.LBB270_352:                            ;   in Loop: Header=BB270_9 Depth=1
	s_or_b32 exec_lo, exec_lo, s19
.LBB270_353:                            ;   in Loop: Header=BB270_9 Depth=1
	s_or_b32 exec_lo, exec_lo, s7
	s_mov_b32 s7, exec_lo
	v_cmpx_lt_u32_e32 0xffffff, v8
	s_cbranch_execz .LBB270_361
; %bb.354:                              ;   in Loop: Header=BB270_9 Depth=1
	v_lshrrev_b32_e32 v12, 24, v8
	v_bfrev_b32_e32 v60, 1
	s_mov_b32 s19, exec_lo
	v_cmpx_ne_u32_e32 0x80, v12
	s_cbranch_execz .LBB270_360
; %bb.355:                              ;   in Loop: Header=BB270_9 Depth=1
	v_and_b32_e32 v2, 0x7f, v12
	v_mov_b32_e32 v60, 0x7c010000
	s_mov_b32 s20, exec_lo
	v_cmpx_ne_u32_e32 0x7f, v2
	s_cbranch_execz .LBB270_359
; %bb.356:                              ;   in Loop: Header=BB270_9 Depth=1
	v_and_b32_e32 v0, 7, v12
	v_lshrrev_b32_e32 v1, 3, v2
	s_mov_b32 s21, exec_lo
	v_cmpx_gt_u32_e32 8, v2
; %bb.357:                              ;   in Loop: Header=BB270_9 Depth=1
	v_ffbh_u32_e32 v0, v0
	v_min_u32_e32 v2, 32, v0
	v_subrev_nc_u32_e32 v0, 28, v2
	v_lshlrev_b64 v[0:1], v0, v[12:13]
	v_sub_nc_u32_e32 v1, 29, v2
	v_and_b32_e32 v0, 7, v0
; %bb.358:                              ;   in Loop: Header=BB270_9 Depth=1
	s_or_b32 exec_lo, exec_lo, s21
	v_lshlrev_b32_e32 v2, 8, v12
	v_lshl_add_u32 v1, v1, 10, 0x2000
	v_lshlrev_b32_e32 v0, 23, v0
	v_and_or_b32 v1, 0x8000, v2, v1
	v_lshl_or_b32 v60, v1, 16, v0
.LBB270_359:                            ;   in Loop: Header=BB270_9 Depth=1
	s_or_b32 exec_lo, exec_lo, s20
.LBB270_360:                            ;   in Loop: Header=BB270_9 Depth=1
	s_or_b32 exec_lo, exec_lo, s19
.LBB270_361:                            ;   in Loop: Header=BB270_9 Depth=1
	s_or_b32 exec_lo, exec_lo, s7
	flat_load_dword v8, v[24:25] offset:1288
	v_mov_b32_e32 v72, 0
	v_mov_b32_e32 v73, 0
	s_waitcnt vmcnt(0) lgkmcnt(0)
	v_cmp_ne_u16_sdwa s6, v8, v13 src0_sel:BYTE_0 src1_sel:DWORD
	s_and_saveexec_b32 s7, s6
	s_cbranch_execz .LBB270_369
; %bb.362:                              ;   in Loop: Header=BB270_9 Depth=1
	v_cmp_ne_u16_sdwa s6, v8, v52 src0_sel:BYTE_0 src1_sel:DWORD
	v_mov_b32_e32 v73, 0x8000
	s_and_saveexec_b32 s19, s6
	s_cbranch_execz .LBB270_368
; %bb.363:                              ;   in Loop: Header=BB270_9 Depth=1
	v_and_b32_e32 v2, 0x7f, v8
	v_mov_b32_e32 v73, 0x7c01
	s_mov_b32 s20, exec_lo
	v_cmpx_ne_u32_e32 0x7f, v2
	s_cbranch_execz .LBB270_367
; %bb.364:                              ;   in Loop: Header=BB270_9 Depth=1
	v_and_b32_e32 v0, 7, v8
	v_lshrrev_b32_e32 v1, 3, v2
	s_mov_b32 s21, exec_lo
	v_cmpx_gt_u32_e32 8, v2
; %bb.365:                              ;   in Loop: Header=BB270_9 Depth=1
	v_ffbh_u32_e32 v0, v0
	v_min_u32_e32 v2, 32, v0
	v_subrev_nc_u32_e32 v0, 28, v2
	v_lshlrev_b64 v[0:1], v0, v[8:9]
	v_sub_nc_u32_e32 v1, 29, v2
	v_and_b32_e32 v0, 7, v0
; %bb.366:                              ;   in Loop: Header=BB270_9 Depth=1
	s_or_b32 exec_lo, exec_lo, s21
	v_lshlrev_b32_e32 v2, 8, v8
	v_lshl_add_u32 v1, v1, 10, 0x2000
	v_lshlrev_b32_e32 v0, 7, v0
	v_and_b32_e32 v2, 0x8000, v2
	v_and_b32_e32 v1, 0xfc00, v1
	v_or3_b32 v73, v2, v1, v0
.LBB270_367:                            ;   in Loop: Header=BB270_9 Depth=1
	s_or_b32 exec_lo, exec_lo, s20
.LBB270_368:                            ;   in Loop: Header=BB270_9 Depth=1
	s_or_b32 exec_lo, exec_lo, s19
.LBB270_369:                            ;   in Loop: Header=BB270_9 Depth=1
	s_or_b32 exec_lo, exec_lo, s7
	v_lshrrev_b16 v12, 8, v8
	s_mov_b32 s7, exec_lo
	v_cmpx_ne_u16_e32 0, v12
	s_cbranch_execz .LBB270_377
; %bb.370:                              ;   in Loop: Header=BB270_9 Depth=1
	v_bfrev_b32_e32 v72, 1
	s_mov_b32 s19, exec_lo
	v_cmpx_ne_u16_e32 0x80, v12
	s_cbranch_execz .LBB270_376
; %bb.371:                              ;   in Loop: Header=BB270_9 Depth=1
	v_and_b32_sdwa v2, v12, v53 dst_sel:DWORD dst_unused:UNUSED_PAD src0_sel:WORD_0 src1_sel:DWORD
	v_mov_b32_e32 v72, 0x7c010000
	s_mov_b32 s20, exec_lo
	v_cmpx_ne_u32_e32 0x7f, v2
	s_cbranch_execz .LBB270_375
; %bb.372:                              ;   in Loop: Header=BB270_9 Depth=1
	v_and_b32_sdwa v0, v12, v54 dst_sel:DWORD dst_unused:UNUSED_PAD src0_sel:WORD_0 src1_sel:DWORD
	v_lshrrev_b32_e32 v1, 3, v2
	s_mov_b32 s21, exec_lo
	v_cmpx_gt_u32_e32 8, v2
; %bb.373:                              ;   in Loop: Header=BB270_9 Depth=1
	v_ffbh_u32_e32 v0, v0
	v_min_u32_e32 v2, 32, v0
	v_subrev_nc_u32_e32 v0, 28, v2
	v_lshlrev_b64 v[0:1], v0, v[12:13]
	v_sub_nc_u32_e32 v1, 29, v2
	v_and_b32_e32 v0, 7, v0
; %bb.374:                              ;   in Loop: Header=BB270_9 Depth=1
	s_or_b32 exec_lo, exec_lo, s21
	v_lshlrev_b32_sdwa v2, v55, v12 dst_sel:DWORD dst_unused:UNUSED_PAD src0_sel:DWORD src1_sel:WORD_0
	v_lshl_add_u32 v1, v1, 10, 0x2000
	v_lshlrev_b32_e32 v0, 23, v0
	v_and_or_b32 v1, 0x8000, v2, v1
	v_lshl_or_b32 v72, v1, 16, v0
.LBB270_375:                            ;   in Loop: Header=BB270_9 Depth=1
	s_or_b32 exec_lo, exec_lo, s20
.LBB270_376:                            ;   in Loop: Header=BB270_9 Depth=1
	s_or_b32 exec_lo, exec_lo, s19
.LBB270_377:                            ;   in Loop: Header=BB270_9 Depth=1
	s_or_b32 exec_lo, exec_lo, s7
	v_lshrrev_b32_e32 v12, 16, v8
	v_mov_b32_e32 v78, 0
	v_mov_b32_e32 v79, 0
	v_cmp_ne_u16_sdwa s6, v12, v13 src0_sel:BYTE_0 src1_sel:DWORD
	s_and_saveexec_b32 s7, s6
	s_cbranch_execz .LBB270_385
; %bb.378:                              ;   in Loop: Header=BB270_9 Depth=1
	v_cmp_ne_u16_sdwa s6, v12, v52 src0_sel:BYTE_0 src1_sel:DWORD
	v_mov_b32_e32 v79, 0x8000
	s_and_saveexec_b32 s19, s6
	s_cbranch_execz .LBB270_384
; %bb.379:                              ;   in Loop: Header=BB270_9 Depth=1
	v_bfe_u32 v2, v8, 16, 7
	v_mov_b32_e32 v79, 0x7c01
	s_mov_b32 s20, exec_lo
	v_cmpx_ne_u32_e32 0x7f, v2
	s_cbranch_execz .LBB270_383
; %bb.380:                              ;   in Loop: Header=BB270_9 Depth=1
	v_and_b32_e32 v0, 7, v12
	v_lshrrev_b32_e32 v1, 3, v2
	s_mov_b32 s21, exec_lo
	v_cmpx_gt_u32_e32 8, v2
; %bb.381:                              ;   in Loop: Header=BB270_9 Depth=1
	v_ffbh_u32_e32 v0, v0
	v_min_u32_e32 v2, 32, v0
	v_subrev_nc_u32_e32 v0, 28, v2
	v_lshlrev_b64 v[0:1], v0, v[12:13]
	v_sub_nc_u32_e32 v1, 29, v2
	v_and_b32_e32 v0, 7, v0
; %bb.382:                              ;   in Loop: Header=BB270_9 Depth=1
	s_or_b32 exec_lo, exec_lo, s21
	v_lshlrev_b32_e32 v2, 8, v12
	v_lshl_add_u32 v1, v1, 10, 0x2000
	v_lshlrev_b32_e32 v0, 7, v0
	v_and_b32_e32 v2, 0x8000, v2
	v_and_b32_e32 v1, 0xfc00, v1
	v_or3_b32 v79, v2, v1, v0
.LBB270_383:                            ;   in Loop: Header=BB270_9 Depth=1
	s_or_b32 exec_lo, exec_lo, s20
.LBB270_384:                            ;   in Loop: Header=BB270_9 Depth=1
	s_or_b32 exec_lo, exec_lo, s19
.LBB270_385:                            ;   in Loop: Header=BB270_9 Depth=1
	s_or_b32 exec_lo, exec_lo, s7
	s_mov_b32 s7, exec_lo
	v_cmpx_lt_u32_e32 0xffffff, v8
	s_cbranch_execz .LBB270_393
; %bb.386:                              ;   in Loop: Header=BB270_9 Depth=1
	v_lshrrev_b32_e32 v12, 24, v8
	v_bfrev_b32_e32 v78, 1
	s_mov_b32 s19, exec_lo
	v_cmpx_ne_u32_e32 0x80, v12
	s_cbranch_execz .LBB270_392
; %bb.387:                              ;   in Loop: Header=BB270_9 Depth=1
	v_and_b32_e32 v2, 0x7f, v12
	v_mov_b32_e32 v78, 0x7c010000
	s_mov_b32 s20, exec_lo
	v_cmpx_ne_u32_e32 0x7f, v2
	s_cbranch_execz .LBB270_391
; %bb.388:                              ;   in Loop: Header=BB270_9 Depth=1
	v_and_b32_e32 v0, 7, v12
	v_lshrrev_b32_e32 v1, 3, v2
	s_mov_b32 s21, exec_lo
	v_cmpx_gt_u32_e32 8, v2
; %bb.389:                              ;   in Loop: Header=BB270_9 Depth=1
	v_ffbh_u32_e32 v0, v0
	v_min_u32_e32 v2, 32, v0
	v_subrev_nc_u32_e32 v0, 28, v2
	v_lshlrev_b64 v[0:1], v0, v[12:13]
	v_sub_nc_u32_e32 v1, 29, v2
	v_and_b32_e32 v0, 7, v0
; %bb.390:                              ;   in Loop: Header=BB270_9 Depth=1
	s_or_b32 exec_lo, exec_lo, s21
	v_lshlrev_b32_e32 v2, 8, v12
	v_lshl_add_u32 v1, v1, 10, 0x2000
	v_lshlrev_b32_e32 v0, 23, v0
	v_and_or_b32 v1, 0x8000, v2, v1
	v_lshl_or_b32 v78, v1, 16, v0
.LBB270_391:                            ;   in Loop: Header=BB270_9 Depth=1
	s_or_b32 exec_lo, exec_lo, s20
.LBB270_392:                            ;   in Loop: Header=BB270_9 Depth=1
	s_or_b32 exec_lo, exec_lo, s19
.LBB270_393:                            ;   in Loop: Header=BB270_9 Depth=1
	s_or_b32 exec_lo, exec_lo, s7
	flat_load_dword v8, v[24:25] offset:1536
	v_mov_b32_e32 v92, 0
	v_mov_b32_e32 v93, 0
	s_waitcnt vmcnt(0) lgkmcnt(0)
	v_cmp_ne_u16_sdwa s6, v8, v13 src0_sel:BYTE_0 src1_sel:DWORD
	s_and_saveexec_b32 s7, s6
	s_cbranch_execz .LBB270_401
; %bb.394:                              ;   in Loop: Header=BB270_9 Depth=1
	v_cmp_ne_u16_sdwa s6, v8, v52 src0_sel:BYTE_0 src1_sel:DWORD
	v_mov_b32_e32 v93, 0x8000
	s_and_saveexec_b32 s19, s6
	s_cbranch_execz .LBB270_400
; %bb.395:                              ;   in Loop: Header=BB270_9 Depth=1
	v_and_b32_e32 v2, 0x7f, v8
	v_mov_b32_e32 v93, 0x7c01
	s_mov_b32 s20, exec_lo
	v_cmpx_ne_u32_e32 0x7f, v2
	s_cbranch_execz .LBB270_399
; %bb.396:                              ;   in Loop: Header=BB270_9 Depth=1
	v_and_b32_e32 v0, 7, v8
	v_lshrrev_b32_e32 v1, 3, v2
	s_mov_b32 s21, exec_lo
	v_cmpx_gt_u32_e32 8, v2
; %bb.397:                              ;   in Loop: Header=BB270_9 Depth=1
	v_ffbh_u32_e32 v0, v0
	v_min_u32_e32 v2, 32, v0
	v_subrev_nc_u32_e32 v0, 28, v2
	v_lshlrev_b64 v[0:1], v0, v[8:9]
	v_sub_nc_u32_e32 v1, 29, v2
	v_and_b32_e32 v0, 7, v0
; %bb.398:                              ;   in Loop: Header=BB270_9 Depth=1
	s_or_b32 exec_lo, exec_lo, s21
	v_lshlrev_b32_e32 v2, 8, v8
	v_lshl_add_u32 v1, v1, 10, 0x2000
	v_lshlrev_b32_e32 v0, 7, v0
	v_and_b32_e32 v2, 0x8000, v2
	v_and_b32_e32 v1, 0xfc00, v1
	v_or3_b32 v93, v2, v1, v0
.LBB270_399:                            ;   in Loop: Header=BB270_9 Depth=1
	s_or_b32 exec_lo, exec_lo, s20
.LBB270_400:                            ;   in Loop: Header=BB270_9 Depth=1
	s_or_b32 exec_lo, exec_lo, s19
.LBB270_401:                            ;   in Loop: Header=BB270_9 Depth=1
	s_or_b32 exec_lo, exec_lo, s7
	v_lshrrev_b16 v12, 8, v8
	s_mov_b32 s7, exec_lo
	v_cmpx_ne_u16_e32 0, v12
	s_cbranch_execz .LBB270_409
; %bb.402:                              ;   in Loop: Header=BB270_9 Depth=1
	v_bfrev_b32_e32 v92, 1
	s_mov_b32 s19, exec_lo
	v_cmpx_ne_u16_e32 0x80, v12
	s_cbranch_execz .LBB270_408
; %bb.403:                              ;   in Loop: Header=BB270_9 Depth=1
	v_and_b32_sdwa v2, v12, v53 dst_sel:DWORD dst_unused:UNUSED_PAD src0_sel:WORD_0 src1_sel:DWORD
	v_mov_b32_e32 v92, 0x7c010000
	s_mov_b32 s20, exec_lo
	v_cmpx_ne_u32_e32 0x7f, v2
	s_cbranch_execz .LBB270_407
; %bb.404:                              ;   in Loop: Header=BB270_9 Depth=1
	v_and_b32_sdwa v0, v12, v54 dst_sel:DWORD dst_unused:UNUSED_PAD src0_sel:WORD_0 src1_sel:DWORD
	v_lshrrev_b32_e32 v1, 3, v2
	s_mov_b32 s21, exec_lo
	v_cmpx_gt_u32_e32 8, v2
; %bb.405:                              ;   in Loop: Header=BB270_9 Depth=1
	v_ffbh_u32_e32 v0, v0
	v_min_u32_e32 v2, 32, v0
	v_subrev_nc_u32_e32 v0, 28, v2
	v_lshlrev_b64 v[0:1], v0, v[12:13]
	v_sub_nc_u32_e32 v1, 29, v2
	v_and_b32_e32 v0, 7, v0
; %bb.406:                              ;   in Loop: Header=BB270_9 Depth=1
	s_or_b32 exec_lo, exec_lo, s21
	v_lshlrev_b32_sdwa v2, v55, v12 dst_sel:DWORD dst_unused:UNUSED_PAD src0_sel:DWORD src1_sel:WORD_0
	v_lshl_add_u32 v1, v1, 10, 0x2000
	v_lshlrev_b32_e32 v0, 23, v0
	v_and_or_b32 v1, 0x8000, v2, v1
	v_lshl_or_b32 v92, v1, 16, v0
.LBB270_407:                            ;   in Loop: Header=BB270_9 Depth=1
	s_or_b32 exec_lo, exec_lo, s20
.LBB270_408:                            ;   in Loop: Header=BB270_9 Depth=1
	s_or_b32 exec_lo, exec_lo, s19
.LBB270_409:                            ;   in Loop: Header=BB270_9 Depth=1
	s_or_b32 exec_lo, exec_lo, s7
	v_lshrrev_b32_e32 v12, 16, v8
	v_mov_b32_e32 v106, 0
	v_mov_b32_e32 v107, 0
	v_cmp_ne_u16_sdwa s6, v12, v13 src0_sel:BYTE_0 src1_sel:DWORD
	s_and_saveexec_b32 s7, s6
	s_cbranch_execz .LBB270_417
; %bb.410:                              ;   in Loop: Header=BB270_9 Depth=1
	v_cmp_ne_u16_sdwa s6, v12, v52 src0_sel:BYTE_0 src1_sel:DWORD
	v_mov_b32_e32 v107, 0x8000
	s_and_saveexec_b32 s19, s6
	s_cbranch_execz .LBB270_416
; %bb.411:                              ;   in Loop: Header=BB270_9 Depth=1
	v_bfe_u32 v2, v8, 16, 7
	v_mov_b32_e32 v107, 0x7c01
	s_mov_b32 s20, exec_lo
	v_cmpx_ne_u32_e32 0x7f, v2
	s_cbranch_execz .LBB270_415
; %bb.412:                              ;   in Loop: Header=BB270_9 Depth=1
	v_and_b32_e32 v0, 7, v12
	v_lshrrev_b32_e32 v1, 3, v2
	s_mov_b32 s21, exec_lo
	v_cmpx_gt_u32_e32 8, v2
; %bb.413:                              ;   in Loop: Header=BB270_9 Depth=1
	v_ffbh_u32_e32 v0, v0
	v_min_u32_e32 v2, 32, v0
	v_subrev_nc_u32_e32 v0, 28, v2
	v_lshlrev_b64 v[0:1], v0, v[12:13]
	v_sub_nc_u32_e32 v1, 29, v2
	v_and_b32_e32 v0, 7, v0
; %bb.414:                              ;   in Loop: Header=BB270_9 Depth=1
	s_or_b32 exec_lo, exec_lo, s21
	v_lshlrev_b32_e32 v2, 8, v12
	v_lshl_add_u32 v1, v1, 10, 0x2000
	v_lshlrev_b32_e32 v0, 7, v0
	v_and_b32_e32 v2, 0x8000, v2
	v_and_b32_e32 v1, 0xfc00, v1
	v_or3_b32 v107, v2, v1, v0
.LBB270_415:                            ;   in Loop: Header=BB270_9 Depth=1
	s_or_b32 exec_lo, exec_lo, s20
.LBB270_416:                            ;   in Loop: Header=BB270_9 Depth=1
	s_or_b32 exec_lo, exec_lo, s19
.LBB270_417:                            ;   in Loop: Header=BB270_9 Depth=1
	s_or_b32 exec_lo, exec_lo, s7
	s_mov_b32 s7, exec_lo
	v_cmpx_lt_u32_e32 0xffffff, v8
	s_cbranch_execz .LBB270_425
; %bb.418:                              ;   in Loop: Header=BB270_9 Depth=1
	v_lshrrev_b32_e32 v12, 24, v8
	v_bfrev_b32_e32 v106, 1
	s_mov_b32 s19, exec_lo
	v_cmpx_ne_u32_e32 0x80, v12
	s_cbranch_execz .LBB270_424
; %bb.419:                              ;   in Loop: Header=BB270_9 Depth=1
	v_and_b32_e32 v2, 0x7f, v12
	v_mov_b32_e32 v106, 0x7c010000
	s_mov_b32 s20, exec_lo
	v_cmpx_ne_u32_e32 0x7f, v2
	s_cbranch_execz .LBB270_423
; %bb.420:                              ;   in Loop: Header=BB270_9 Depth=1
	v_and_b32_e32 v0, 7, v12
	v_lshrrev_b32_e32 v1, 3, v2
	s_mov_b32 s21, exec_lo
	v_cmpx_gt_u32_e32 8, v2
; %bb.421:                              ;   in Loop: Header=BB270_9 Depth=1
	v_ffbh_u32_e32 v0, v0
	v_min_u32_e32 v2, 32, v0
	v_subrev_nc_u32_e32 v0, 28, v2
	v_lshlrev_b64 v[0:1], v0, v[12:13]
	v_sub_nc_u32_e32 v1, 29, v2
	v_and_b32_e32 v0, 7, v0
; %bb.422:                              ;   in Loop: Header=BB270_9 Depth=1
	s_or_b32 exec_lo, exec_lo, s21
	v_lshlrev_b32_e32 v2, 8, v12
	v_lshl_add_u32 v1, v1, 10, 0x2000
	v_lshlrev_b32_e32 v0, 23, v0
	v_and_or_b32 v1, 0x8000, v2, v1
	v_lshl_or_b32 v106, v1, 16, v0
.LBB270_423:                            ;   in Loop: Header=BB270_9 Depth=1
	s_or_b32 exec_lo, exec_lo, s20
.LBB270_424:                            ;   in Loop: Header=BB270_9 Depth=1
	s_or_b32 exec_lo, exec_lo, s19
.LBB270_425:                            ;   in Loop: Header=BB270_9 Depth=1
	s_or_b32 exec_lo, exec_lo, s7
	flat_load_dword v8, v[24:25] offset:1544
	v_mov_b32_e32 v120, 0
	v_mov_b32_e32 v121, 0
	s_waitcnt vmcnt(0) lgkmcnt(0)
	v_cmp_ne_u16_sdwa s6, v8, v13 src0_sel:BYTE_0 src1_sel:DWORD
	s_and_saveexec_b32 s7, s6
	s_cbranch_execz .LBB270_433
; %bb.426:                              ;   in Loop: Header=BB270_9 Depth=1
	v_cmp_ne_u16_sdwa s6, v8, v52 src0_sel:BYTE_0 src1_sel:DWORD
	v_mov_b32_e32 v121, 0x8000
	s_and_saveexec_b32 s19, s6
	s_cbranch_execz .LBB270_432
; %bb.427:                              ;   in Loop: Header=BB270_9 Depth=1
	v_and_b32_e32 v2, 0x7f, v8
	v_mov_b32_e32 v121, 0x7c01
	s_mov_b32 s20, exec_lo
	v_cmpx_ne_u32_e32 0x7f, v2
	s_cbranch_execz .LBB270_431
; %bb.428:                              ;   in Loop: Header=BB270_9 Depth=1
	v_and_b32_e32 v0, 7, v8
	v_lshrrev_b32_e32 v1, 3, v2
	s_mov_b32 s21, exec_lo
	v_cmpx_gt_u32_e32 8, v2
; %bb.429:                              ;   in Loop: Header=BB270_9 Depth=1
	v_ffbh_u32_e32 v0, v0
	v_min_u32_e32 v2, 32, v0
	v_subrev_nc_u32_e32 v0, 28, v2
	v_lshlrev_b64 v[0:1], v0, v[8:9]
	v_sub_nc_u32_e32 v1, 29, v2
	v_and_b32_e32 v0, 7, v0
; %bb.430:                              ;   in Loop: Header=BB270_9 Depth=1
	s_or_b32 exec_lo, exec_lo, s21
	v_lshlrev_b32_e32 v2, 8, v8
	v_lshl_add_u32 v1, v1, 10, 0x2000
	v_lshlrev_b32_e32 v0, 7, v0
	v_and_b32_e32 v2, 0x8000, v2
	v_and_b32_e32 v1, 0xfc00, v1
	v_or3_b32 v121, v2, v1, v0
.LBB270_431:                            ;   in Loop: Header=BB270_9 Depth=1
	s_or_b32 exec_lo, exec_lo, s20
.LBB270_432:                            ;   in Loop: Header=BB270_9 Depth=1
	s_or_b32 exec_lo, exec_lo, s19
.LBB270_433:                            ;   in Loop: Header=BB270_9 Depth=1
	s_or_b32 exec_lo, exec_lo, s7
	v_lshrrev_b16 v12, 8, v8
	s_mov_b32 s7, exec_lo
	v_cmpx_ne_u16_e32 0, v12
	s_cbranch_execz .LBB270_441
; %bb.434:                              ;   in Loop: Header=BB270_9 Depth=1
	v_bfrev_b32_e32 v120, 1
	s_mov_b32 s19, exec_lo
	v_cmpx_ne_u16_e32 0x80, v12
	s_cbranch_execz .LBB270_440
; %bb.435:                              ;   in Loop: Header=BB270_9 Depth=1
	v_and_b32_sdwa v2, v12, v53 dst_sel:DWORD dst_unused:UNUSED_PAD src0_sel:WORD_0 src1_sel:DWORD
	v_mov_b32_e32 v120, 0x7c010000
	s_mov_b32 s20, exec_lo
	v_cmpx_ne_u32_e32 0x7f, v2
	s_cbranch_execz .LBB270_439
; %bb.436:                              ;   in Loop: Header=BB270_9 Depth=1
	v_and_b32_sdwa v0, v12, v54 dst_sel:DWORD dst_unused:UNUSED_PAD src0_sel:WORD_0 src1_sel:DWORD
	v_lshrrev_b32_e32 v1, 3, v2
	s_mov_b32 s21, exec_lo
	v_cmpx_gt_u32_e32 8, v2
; %bb.437:                              ;   in Loop: Header=BB270_9 Depth=1
	v_ffbh_u32_e32 v0, v0
	v_min_u32_e32 v2, 32, v0
	v_subrev_nc_u32_e32 v0, 28, v2
	v_lshlrev_b64 v[0:1], v0, v[12:13]
	v_sub_nc_u32_e32 v1, 29, v2
	v_and_b32_e32 v0, 7, v0
; %bb.438:                              ;   in Loop: Header=BB270_9 Depth=1
	s_or_b32 exec_lo, exec_lo, s21
	v_lshlrev_b32_sdwa v2, v55, v12 dst_sel:DWORD dst_unused:UNUSED_PAD src0_sel:DWORD src1_sel:WORD_0
	v_lshl_add_u32 v1, v1, 10, 0x2000
	v_lshlrev_b32_e32 v0, 23, v0
	v_and_or_b32 v1, 0x8000, v2, v1
	v_lshl_or_b32 v120, v1, 16, v0
.LBB270_439:                            ;   in Loop: Header=BB270_9 Depth=1
	s_or_b32 exec_lo, exec_lo, s20
.LBB270_440:                            ;   in Loop: Header=BB270_9 Depth=1
	s_or_b32 exec_lo, exec_lo, s19
.LBB270_441:                            ;   in Loop: Header=BB270_9 Depth=1
	s_or_b32 exec_lo, exec_lo, s7
	v_lshrrev_b32_e32 v12, 16, v8
	v_mov_b32_e32 v126, 0
	v_mov_b32_e32 v127, 0
	v_cmp_ne_u16_sdwa s6, v12, v13 src0_sel:BYTE_0 src1_sel:DWORD
	s_and_saveexec_b32 s7, s6
	s_cbranch_execz .LBB270_449
; %bb.442:                              ;   in Loop: Header=BB270_9 Depth=1
	v_cmp_ne_u16_sdwa s6, v12, v52 src0_sel:BYTE_0 src1_sel:DWORD
	v_mov_b32_e32 v127, 0x8000
	s_and_saveexec_b32 s19, s6
	s_cbranch_execz .LBB270_448
; %bb.443:                              ;   in Loop: Header=BB270_9 Depth=1
	v_bfe_u32 v2, v8, 16, 7
	v_mov_b32_e32 v127, 0x7c01
	s_mov_b32 s20, exec_lo
	v_cmpx_ne_u32_e32 0x7f, v2
	s_cbranch_execz .LBB270_447
; %bb.444:                              ;   in Loop: Header=BB270_9 Depth=1
	v_and_b32_e32 v0, 7, v12
	v_lshrrev_b32_e32 v1, 3, v2
	s_mov_b32 s21, exec_lo
	v_cmpx_gt_u32_e32 8, v2
; %bb.445:                              ;   in Loop: Header=BB270_9 Depth=1
	v_ffbh_u32_e32 v0, v0
	v_min_u32_e32 v2, 32, v0
	v_subrev_nc_u32_e32 v0, 28, v2
	v_lshlrev_b64 v[0:1], v0, v[12:13]
	v_sub_nc_u32_e32 v1, 29, v2
	v_and_b32_e32 v0, 7, v0
; %bb.446:                              ;   in Loop: Header=BB270_9 Depth=1
	s_or_b32 exec_lo, exec_lo, s21
	v_lshlrev_b32_e32 v2, 8, v12
	v_lshl_add_u32 v1, v1, 10, 0x2000
	v_lshlrev_b32_e32 v0, 7, v0
	v_and_b32_e32 v2, 0x8000, v2
	v_and_b32_e32 v1, 0xfc00, v1
	v_or3_b32 v127, v2, v1, v0
.LBB270_447:                            ;   in Loop: Header=BB270_9 Depth=1
	s_or_b32 exec_lo, exec_lo, s20
.LBB270_448:                            ;   in Loop: Header=BB270_9 Depth=1
	s_or_b32 exec_lo, exec_lo, s19
.LBB270_449:                            ;   in Loop: Header=BB270_9 Depth=1
	s_or_b32 exec_lo, exec_lo, s7
	s_mov_b32 s7, exec_lo
	v_cmpx_lt_u32_e32 0xffffff, v8
	s_cbranch_execz .LBB270_457
; %bb.450:                              ;   in Loop: Header=BB270_9 Depth=1
	v_lshrrev_b32_e32 v12, 24, v8
	v_bfrev_b32_e32 v126, 1
	s_mov_b32 s19, exec_lo
	v_cmpx_ne_u32_e32 0x80, v12
	s_cbranch_execz .LBB270_456
; %bb.451:                              ;   in Loop: Header=BB270_9 Depth=1
	v_and_b32_e32 v2, 0x7f, v12
	v_mov_b32_e32 v126, 0x7c010000
	s_mov_b32 s20, exec_lo
	v_cmpx_ne_u32_e32 0x7f, v2
	s_cbranch_execz .LBB270_455
; %bb.452:                              ;   in Loop: Header=BB270_9 Depth=1
	v_and_b32_e32 v0, 7, v12
	v_lshrrev_b32_e32 v1, 3, v2
	s_mov_b32 s21, exec_lo
	v_cmpx_gt_u32_e32 8, v2
; %bb.453:                              ;   in Loop: Header=BB270_9 Depth=1
	v_ffbh_u32_e32 v0, v0
	v_min_u32_e32 v2, 32, v0
	v_subrev_nc_u32_e32 v0, 28, v2
	v_lshlrev_b64 v[0:1], v0, v[12:13]
	v_sub_nc_u32_e32 v1, 29, v2
	v_and_b32_e32 v0, 7, v0
; %bb.454:                              ;   in Loop: Header=BB270_9 Depth=1
	s_or_b32 exec_lo, exec_lo, s21
	v_lshlrev_b32_e32 v2, 8, v12
	v_lshl_add_u32 v1, v1, 10, 0x2000
	v_lshlrev_b32_e32 v0, 23, v0
	v_and_or_b32 v1, 0x8000, v2, v1
	v_lshl_or_b32 v126, v1, 16, v0
.LBB270_455:                            ;   in Loop: Header=BB270_9 Depth=1
	s_or_b32 exec_lo, exec_lo, s20
.LBB270_456:                            ;   in Loop: Header=BB270_9 Depth=1
	s_or_b32 exec_lo, exec_lo, s19
.LBB270_457:                            ;   in Loop: Header=BB270_9 Depth=1
	s_or_b32 exec_lo, exec_lo, s7
	flat_load_dword v8, v[24:25] offset:1792
	v_mov_b32_e32 v7, 0
	v_mov_b32_e32 v6, 0
	s_waitcnt vmcnt(0) lgkmcnt(0)
	v_cmp_ne_u16_sdwa s6, v8, v13 src0_sel:BYTE_0 src1_sel:DWORD
	s_and_saveexec_b32 s7, s6
	s_cbranch_execz .LBB270_465
; %bb.458:                              ;   in Loop: Header=BB270_9 Depth=1
	v_cmp_ne_u16_sdwa s6, v8, v52 src0_sel:BYTE_0 src1_sel:DWORD
	v_mov_b32_e32 v6, 0x8000
	s_and_saveexec_b32 s19, s6
	s_cbranch_execz .LBB270_464
; %bb.459:                              ;   in Loop: Header=BB270_9 Depth=1
	v_and_b32_e32 v2, 0x7f, v8
	v_mov_b32_e32 v6, 0x7c01
	s_mov_b32 s20, exec_lo
	v_cmpx_ne_u32_e32 0x7f, v2
	s_cbranch_execz .LBB270_463
; %bb.460:                              ;   in Loop: Header=BB270_9 Depth=1
	v_and_b32_e32 v0, 7, v8
	v_lshrrev_b32_e32 v1, 3, v2
	s_mov_b32 s21, exec_lo
	v_cmpx_gt_u32_e32 8, v2
; %bb.461:                              ;   in Loop: Header=BB270_9 Depth=1
	v_ffbh_u32_e32 v0, v0
	v_min_u32_e32 v2, 32, v0
	v_subrev_nc_u32_e32 v0, 28, v2
	v_lshlrev_b64 v[0:1], v0, v[8:9]
	v_sub_nc_u32_e32 v1, 29, v2
	v_and_b32_e32 v0, 7, v0
; %bb.462:                              ;   in Loop: Header=BB270_9 Depth=1
	s_or_b32 exec_lo, exec_lo, s21
	v_lshlrev_b32_e32 v2, 8, v8
	v_lshl_add_u32 v1, v1, 10, 0x2000
	v_lshlrev_b32_e32 v0, 7, v0
	v_and_b32_e32 v2, 0x8000, v2
	v_and_b32_e32 v1, 0xfc00, v1
	v_or3_b32 v6, v2, v1, v0
.LBB270_463:                            ;   in Loop: Header=BB270_9 Depth=1
	s_or_b32 exec_lo, exec_lo, s20
.LBB270_464:                            ;   in Loop: Header=BB270_9 Depth=1
	s_or_b32 exec_lo, exec_lo, s19
.LBB270_465:                            ;   in Loop: Header=BB270_9 Depth=1
	s_or_b32 exec_lo, exec_lo, s7
	v_lshrrev_b16 v12, 8, v8
	s_mov_b32 s7, exec_lo
	v_cmpx_ne_u16_e32 0, v12
	s_cbranch_execz .LBB270_473
; %bb.466:                              ;   in Loop: Header=BB270_9 Depth=1
	v_bfrev_b32_e32 v7, 1
	s_mov_b32 s19, exec_lo
	v_cmpx_ne_u16_e32 0x80, v12
	s_cbranch_execz .LBB270_472
; %bb.467:                              ;   in Loop: Header=BB270_9 Depth=1
	v_and_b32_sdwa v2, v12, v53 dst_sel:DWORD dst_unused:UNUSED_PAD src0_sel:WORD_0 src1_sel:DWORD
	v_mov_b32_e32 v7, 0x7c010000
	s_mov_b32 s20, exec_lo
	v_cmpx_ne_u32_e32 0x7f, v2
	s_cbranch_execz .LBB270_471
; %bb.468:                              ;   in Loop: Header=BB270_9 Depth=1
	v_and_b32_sdwa v0, v12, v54 dst_sel:DWORD dst_unused:UNUSED_PAD src0_sel:WORD_0 src1_sel:DWORD
	v_lshrrev_b32_e32 v1, 3, v2
	s_mov_b32 s21, exec_lo
	v_cmpx_gt_u32_e32 8, v2
; %bb.469:                              ;   in Loop: Header=BB270_9 Depth=1
	v_ffbh_u32_e32 v0, v0
	v_min_u32_e32 v2, 32, v0
	v_subrev_nc_u32_e32 v0, 28, v2
	v_lshlrev_b64 v[0:1], v0, v[12:13]
	v_sub_nc_u32_e32 v1, 29, v2
	v_and_b32_e32 v0, 7, v0
; %bb.470:                              ;   in Loop: Header=BB270_9 Depth=1
	s_or_b32 exec_lo, exec_lo, s21
	v_lshlrev_b32_sdwa v2, v55, v12 dst_sel:DWORD dst_unused:UNUSED_PAD src0_sel:DWORD src1_sel:WORD_0
	v_lshl_add_u32 v1, v1, 10, 0x2000
	v_lshlrev_b32_e32 v0, 23, v0
	v_and_or_b32 v1, 0x8000, v2, v1
	v_lshl_or_b32 v7, v1, 16, v0
.LBB270_471:                            ;   in Loop: Header=BB270_9 Depth=1
	s_or_b32 exec_lo, exec_lo, s20
.LBB270_472:                            ;   in Loop: Header=BB270_9 Depth=1
	s_or_b32 exec_lo, exec_lo, s19
.LBB270_473:                            ;   in Loop: Header=BB270_9 Depth=1
	s_or_b32 exec_lo, exec_lo, s7
	v_lshrrev_b32_e32 v12, 16, v8
	v_mov_b32_e32 v28, 0
	v_mov_b32_e32 v32, 0
	v_cmp_ne_u16_sdwa s6, v12, v13 src0_sel:BYTE_0 src1_sel:DWORD
	s_and_saveexec_b32 s7, s6
	s_cbranch_execz .LBB270_481
; %bb.474:                              ;   in Loop: Header=BB270_9 Depth=1
	v_cmp_ne_u16_sdwa s6, v12, v52 src0_sel:BYTE_0 src1_sel:DWORD
	v_mov_b32_e32 v32, 0x8000
	s_and_saveexec_b32 s19, s6
	s_cbranch_execz .LBB270_480
; %bb.475:                              ;   in Loop: Header=BB270_9 Depth=1
	v_bfe_u32 v2, v8, 16, 7
	v_mov_b32_e32 v32, 0x7c01
	s_mov_b32 s20, exec_lo
	v_cmpx_ne_u32_e32 0x7f, v2
	s_cbranch_execz .LBB270_479
; %bb.476:                              ;   in Loop: Header=BB270_9 Depth=1
	v_and_b32_e32 v0, 7, v12
	v_lshrrev_b32_e32 v1, 3, v2
	s_mov_b32 s21, exec_lo
	v_cmpx_gt_u32_e32 8, v2
; %bb.477:                              ;   in Loop: Header=BB270_9 Depth=1
	v_ffbh_u32_e32 v0, v0
	v_min_u32_e32 v2, 32, v0
	v_subrev_nc_u32_e32 v0, 28, v2
	v_lshlrev_b64 v[0:1], v0, v[12:13]
	v_sub_nc_u32_e32 v1, 29, v2
	v_and_b32_e32 v0, 7, v0
; %bb.478:                              ;   in Loop: Header=BB270_9 Depth=1
	s_or_b32 exec_lo, exec_lo, s21
	v_lshlrev_b32_e32 v2, 8, v12
	v_lshl_add_u32 v1, v1, 10, 0x2000
	v_lshlrev_b32_e32 v0, 7, v0
	v_and_b32_e32 v2, 0x8000, v2
	v_and_b32_e32 v1, 0xfc00, v1
	v_or3_b32 v32, v2, v1, v0
.LBB270_479:                            ;   in Loop: Header=BB270_9 Depth=1
	s_or_b32 exec_lo, exec_lo, s20
.LBB270_480:                            ;   in Loop: Header=BB270_9 Depth=1
	s_or_b32 exec_lo, exec_lo, s19
.LBB270_481:                            ;   in Loop: Header=BB270_9 Depth=1
	s_or_b32 exec_lo, exec_lo, s7
	s_mov_b32 s7, exec_lo
	v_cmpx_lt_u32_e32 0xffffff, v8
	s_cbranch_execz .LBB270_489
; %bb.482:                              ;   in Loop: Header=BB270_9 Depth=1
	v_lshrrev_b32_e32 v12, 24, v8
	v_bfrev_b32_e32 v28, 1
	s_mov_b32 s19, exec_lo
	v_cmpx_ne_u32_e32 0x80, v12
	s_cbranch_execz .LBB270_488
; %bb.483:                              ;   in Loop: Header=BB270_9 Depth=1
	v_and_b32_e32 v2, 0x7f, v12
	v_mov_b32_e32 v28, 0x7c010000
	s_mov_b32 s20, exec_lo
	v_cmpx_ne_u32_e32 0x7f, v2
	s_cbranch_execz .LBB270_487
; %bb.484:                              ;   in Loop: Header=BB270_9 Depth=1
	v_and_b32_e32 v0, 7, v12
	v_lshrrev_b32_e32 v1, 3, v2
	s_mov_b32 s21, exec_lo
	v_cmpx_gt_u32_e32 8, v2
; %bb.485:                              ;   in Loop: Header=BB270_9 Depth=1
	v_ffbh_u32_e32 v0, v0
	v_min_u32_e32 v2, 32, v0
	v_subrev_nc_u32_e32 v0, 28, v2
	v_lshlrev_b64 v[0:1], v0, v[12:13]
	v_sub_nc_u32_e32 v1, 29, v2
	v_and_b32_e32 v0, 7, v0
; %bb.486:                              ;   in Loop: Header=BB270_9 Depth=1
	s_or_b32 exec_lo, exec_lo, s21
	v_lshlrev_b32_e32 v2, 8, v12
	v_lshl_add_u32 v1, v1, 10, 0x2000
	v_lshlrev_b32_e32 v0, 23, v0
	v_and_or_b32 v1, 0x8000, v2, v1
	v_lshl_or_b32 v28, v1, 16, v0
.LBB270_487:                            ;   in Loop: Header=BB270_9 Depth=1
	s_or_b32 exec_lo, exec_lo, s20
.LBB270_488:                            ;   in Loop: Header=BB270_9 Depth=1
	s_or_b32 exec_lo, exec_lo, s19
.LBB270_489:                            ;   in Loop: Header=BB270_9 Depth=1
	s_or_b32 exec_lo, exec_lo, s7
	flat_load_dword v8, v[24:25] offset:1800
	v_mov_b32_e32 v2, 0
	v_mov_b32_e32 v3, 0
	s_waitcnt vmcnt(0) lgkmcnt(0)
	v_cmp_ne_u16_sdwa s6, v8, v13 src0_sel:BYTE_0 src1_sel:DWORD
	s_and_saveexec_b32 s7, s6
	s_cbranch_execz .LBB270_497
; %bb.490:                              ;   in Loop: Header=BB270_9 Depth=1
	v_cmp_ne_u16_sdwa s6, v8, v52 src0_sel:BYTE_0 src1_sel:DWORD
	v_mov_b32_e32 v3, 0x8000
	s_and_saveexec_b32 s19, s6
	s_cbranch_execz .LBB270_496
; %bb.491:                              ;   in Loop: Header=BB270_9 Depth=1
	v_and_b32_e32 v10, 0x7f, v8
	v_mov_b32_e32 v3, 0x7c01
	s_mov_b32 s20, exec_lo
	v_cmpx_ne_u32_e32 0x7f, v10
	s_cbranch_execz .LBB270_495
; %bb.492:                              ;   in Loop: Header=BB270_9 Depth=1
	v_and_b32_e32 v0, 7, v8
	v_lshrrev_b32_e32 v1, 3, v10
	s_mov_b32 s21, exec_lo
	v_cmpx_gt_u32_e32 8, v10
; %bb.493:                              ;   in Loop: Header=BB270_9 Depth=1
	v_ffbh_u32_e32 v0, v0
	v_min_u32_e32 v3, 32, v0
	v_subrev_nc_u32_e32 v0, 28, v3
	v_lshlrev_b64 v[0:1], v0, v[8:9]
	v_sub_nc_u32_e32 v1, 29, v3
	v_and_b32_e32 v0, 7, v0
; %bb.494:                              ;   in Loop: Header=BB270_9 Depth=1
	s_or_b32 exec_lo, exec_lo, s21
	v_lshlrev_b32_e32 v3, 8, v8
	v_lshl_add_u32 v1, v1, 10, 0x2000
	v_lshlrev_b32_e32 v0, 7, v0
	v_and_b32_e32 v3, 0x8000, v3
	v_and_b32_e32 v1, 0xfc00, v1
	v_or3_b32 v3, v3, v1, v0
.LBB270_495:                            ;   in Loop: Header=BB270_9 Depth=1
	s_or_b32 exec_lo, exec_lo, s20
.LBB270_496:                            ;   in Loop: Header=BB270_9 Depth=1
	s_or_b32 exec_lo, exec_lo, s19
.LBB270_497:                            ;   in Loop: Header=BB270_9 Depth=1
	s_or_b32 exec_lo, exec_lo, s7
	v_lshrrev_b16 v12, 8, v8
	s_mov_b32 s7, exec_lo
	v_cmpx_ne_u16_e32 0, v12
	s_cbranch_execz .LBB270_505
; %bb.498:                              ;   in Loop: Header=BB270_9 Depth=1
	v_bfrev_b32_e32 v2, 1
	s_mov_b32 s19, exec_lo
	v_cmpx_ne_u16_e32 0x80, v12
	s_cbranch_execz .LBB270_504
; %bb.499:                              ;   in Loop: Header=BB270_9 Depth=1
	v_and_b32_sdwa v10, v12, v53 dst_sel:DWORD dst_unused:UNUSED_PAD src0_sel:WORD_0 src1_sel:DWORD
	v_mov_b32_e32 v2, 0x7c010000
	s_mov_b32 s20, exec_lo
	v_cmpx_ne_u32_e32 0x7f, v10
	s_cbranch_execz .LBB270_503
; %bb.500:                              ;   in Loop: Header=BB270_9 Depth=1
	v_and_b32_sdwa v0, v12, v54 dst_sel:DWORD dst_unused:UNUSED_PAD src0_sel:WORD_0 src1_sel:DWORD
	v_lshrrev_b32_e32 v1, 3, v10
	s_mov_b32 s21, exec_lo
	v_cmpx_gt_u32_e32 8, v10
; %bb.501:                              ;   in Loop: Header=BB270_9 Depth=1
	v_ffbh_u32_e32 v0, v0
	v_min_u32_e32 v2, 32, v0
	v_subrev_nc_u32_e32 v0, 28, v2
	v_lshlrev_b64 v[0:1], v0, v[12:13]
	v_sub_nc_u32_e32 v1, 29, v2
	v_and_b32_e32 v0, 7, v0
; %bb.502:                              ;   in Loop: Header=BB270_9 Depth=1
	s_or_b32 exec_lo, exec_lo, s21
	v_lshlrev_b32_sdwa v2, v55, v12 dst_sel:DWORD dst_unused:UNUSED_PAD src0_sel:DWORD src1_sel:WORD_0
	v_lshl_add_u32 v1, v1, 10, 0x2000
	v_lshlrev_b32_e32 v0, 23, v0
	v_and_or_b32 v1, 0x8000, v2, v1
	v_lshl_or_b32 v2, v1, 16, v0
.LBB270_503:                            ;   in Loop: Header=BB270_9 Depth=1
	s_or_b32 exec_lo, exec_lo, s20
.LBB270_504:                            ;   in Loop: Header=BB270_9 Depth=1
	s_or_b32 exec_lo, exec_lo, s19
.LBB270_505:                            ;   in Loop: Header=BB270_9 Depth=1
	s_or_b32 exec_lo, exec_lo, s7
	v_lshrrev_b32_e32 v12, 16, v8
	v_mov_b32_e32 v11, 0
	v_mov_b32_e32 v10, 0
	v_cmp_ne_u16_sdwa s6, v12, v13 src0_sel:BYTE_0 src1_sel:DWORD
	s_and_saveexec_b32 s7, s6
	s_cbranch_execz .LBB270_513
; %bb.506:                              ;   in Loop: Header=BB270_9 Depth=1
	v_cmp_ne_u16_sdwa s6, v12, v52 src0_sel:BYTE_0 src1_sel:DWORD
	v_mov_b32_e32 v10, 0x8000
	s_and_saveexec_b32 s19, s6
	s_cbranch_execz .LBB270_512
; %bb.507:                              ;   in Loop: Header=BB270_9 Depth=1
	v_bfe_u32 v19, v8, 16, 7
	v_mov_b32_e32 v10, 0x7c01
	s_mov_b32 s20, exec_lo
	v_cmpx_ne_u32_e32 0x7f, v19
	s_cbranch_execz .LBB270_511
; %bb.508:                              ;   in Loop: Header=BB270_9 Depth=1
	v_and_b32_e32 v0, 7, v12
	v_lshrrev_b32_e32 v1, 3, v19
	s_mov_b32 s21, exec_lo
	v_cmpx_gt_u32_e32 8, v19
; %bb.509:                              ;   in Loop: Header=BB270_9 Depth=1
	v_ffbh_u32_e32 v0, v0
	v_min_u32_e32 v10, 32, v0
	v_subrev_nc_u32_e32 v0, 28, v10
	v_lshlrev_b64 v[0:1], v0, v[12:13]
	v_sub_nc_u32_e32 v1, 29, v10
	v_and_b32_e32 v0, 7, v0
; %bb.510:                              ;   in Loop: Header=BB270_9 Depth=1
	s_or_b32 exec_lo, exec_lo, s21
	v_lshlrev_b32_e32 v10, 8, v12
	v_lshl_add_u32 v1, v1, 10, 0x2000
	v_lshlrev_b32_e32 v0, 7, v0
	v_and_b32_e32 v10, 0x8000, v10
	v_and_b32_e32 v1, 0xfc00, v1
	v_or3_b32 v10, v10, v1, v0
.LBB270_511:                            ;   in Loop: Header=BB270_9 Depth=1
	s_or_b32 exec_lo, exec_lo, s20
.LBB270_512:                            ;   in Loop: Header=BB270_9 Depth=1
	s_or_b32 exec_lo, exec_lo, s19
.LBB270_513:                            ;   in Loop: Header=BB270_9 Depth=1
	s_or_b32 exec_lo, exec_lo, s7
	s_mov_b32 s7, exec_lo
	v_cmpx_lt_u32_e32 0xffffff, v8
	s_cbranch_execz .LBB270_521
; %bb.514:                              ;   in Loop: Header=BB270_9 Depth=1
	v_lshrrev_b32_e32 v12, 24, v8
	v_bfrev_b32_e32 v11, 1
	s_mov_b32 s19, exec_lo
	v_cmpx_ne_u32_e32 0x80, v12
	s_cbranch_execz .LBB270_520
; %bb.515:                              ;   in Loop: Header=BB270_9 Depth=1
	v_and_b32_e32 v8, 0x7f, v12
	v_mov_b32_e32 v11, 0x7c010000
	s_mov_b32 s20, exec_lo
	v_cmpx_ne_u32_e32 0x7f, v8
	s_cbranch_execz .LBB270_519
; %bb.516:                              ;   in Loop: Header=BB270_9 Depth=1
	v_and_b32_e32 v0, 7, v12
	v_lshrrev_b32_e32 v1, 3, v8
	s_mov_b32 s21, exec_lo
	v_cmpx_gt_u32_e32 8, v8
; %bb.517:                              ;   in Loop: Header=BB270_9 Depth=1
	v_ffbh_u32_e32 v0, v0
	v_min_u32_e32 v8, 32, v0
	v_subrev_nc_u32_e32 v0, 28, v8
	v_lshlrev_b64 v[0:1], v0, v[12:13]
	v_sub_nc_u32_e32 v1, 29, v8
	v_and_b32_e32 v0, 7, v0
; %bb.518:                              ;   in Loop: Header=BB270_9 Depth=1
	s_or_b32 exec_lo, exec_lo, s21
	v_lshlrev_b32_e32 v8, 8, v12
	v_lshl_add_u32 v1, v1, 10, 0x2000
	v_lshlrev_b32_e32 v0, 23, v0
	v_and_or_b32 v1, 0x8000, v8, v1
	v_lshl_or_b32 v11, v1, 16, v0
.LBB270_519:                            ;   in Loop: Header=BB270_9 Depth=1
	s_or_b32 exec_lo, exec_lo, s20
.LBB270_520:                            ;   in Loop: Header=BB270_9 Depth=1
	s_or_b32 exec_lo, exec_lo, s19
.LBB270_521:                            ;   in Loop: Header=BB270_9 Depth=1
	s_or_b32 exec_lo, exec_lo, s7
	v_add_co_u32 v19, s6, 0x800, v16
	v_add_co_ci_u32_e64 v26, null, 0, v17, s6
	v_add_co_u32 v0, s6, v19, v39
	v_add_co_ci_u32_e64 v1, null, 0, v26, s6
	flat_load_dword v8, v[0:1]
	v_mov_b32_e32 v0, 0
	v_mov_b32_e32 v1, 0
	s_waitcnt vmcnt(0) lgkmcnt(0)
	v_cmp_ne_u16_sdwa s6, v8, v13 src0_sel:BYTE_0 src1_sel:DWORD
	s_and_saveexec_b32 s7, s6
	s_cbranch_execz .LBB270_529
; %bb.522:                              ;   in Loop: Header=BB270_9 Depth=1
	v_cmp_ne_u16_sdwa s6, v8, v52 src0_sel:BYTE_0 src1_sel:DWORD
	v_mov_b32_e32 v1, 0x8000
	s_and_saveexec_b32 s19, s6
	s_cbranch_execz .LBB270_528
; %bb.523:                              ;   in Loop: Header=BB270_9 Depth=1
	v_and_b32_e32 v24, 0x7f, v8
	v_mov_b32_e32 v1, 0x7c01
	s_mov_b32 s20, exec_lo
	v_cmpx_ne_u32_e32 0x7f, v24
	s_cbranch_execz .LBB270_527
; %bb.524:                              ;   in Loop: Header=BB270_9 Depth=1
	v_and_b32_e32 v1, 7, v8
	v_lshrrev_b32_e32 v12, 3, v24
	s_mov_b32 s21, exec_lo
	v_cmpx_gt_u32_e32 8, v24
; %bb.525:                              ;   in Loop: Header=BB270_9 Depth=1
	v_ffbh_u32_e32 v1, v1
	v_min_u32_e32 v1, 32, v1
	v_subrev_nc_u32_e32 v12, 28, v1
	v_lshlrev_b64 v[24:25], v12, v[8:9]
	v_sub_nc_u32_e32 v12, 29, v1
	v_and_b32_e32 v1, 7, v24
; %bb.526:                              ;   in Loop: Header=BB270_9 Depth=1
	s_or_b32 exec_lo, exec_lo, s21
	v_lshlrev_b32_e32 v24, 8, v8
	v_lshl_add_u32 v12, v12, 10, 0x2000
	v_lshlrev_b32_e32 v1, 7, v1
	v_and_b32_e32 v24, 0x8000, v24
	v_and_b32_e32 v12, 0xfc00, v12
	v_or3_b32 v1, v24, v12, v1
.LBB270_527:                            ;   in Loop: Header=BB270_9 Depth=1
	s_or_b32 exec_lo, exec_lo, s20
.LBB270_528:                            ;   in Loop: Header=BB270_9 Depth=1
	s_or_b32 exec_lo, exec_lo, s19
.LBB270_529:                            ;   in Loop: Header=BB270_9 Depth=1
	s_or_b32 exec_lo, exec_lo, s7
	v_lshrrev_b16 v12, 8, v8
	s_mov_b32 s7, exec_lo
	v_cmpx_ne_u16_e32 0, v12
	s_cbranch_execz .LBB270_537
; %bb.530:                              ;   in Loop: Header=BB270_9 Depth=1
	v_bfrev_b32_e32 v0, 1
	s_mov_b32 s19, exec_lo
	v_cmpx_ne_u16_e32 0x80, v12
	s_cbranch_execz .LBB270_536
; %bb.531:                              ;   in Loop: Header=BB270_9 Depth=1
	v_and_b32_sdwa v25, v12, v53 dst_sel:DWORD dst_unused:UNUSED_PAD src0_sel:WORD_0 src1_sel:DWORD
	v_mov_b32_e32 v0, 0x7c010000
	s_mov_b32 s20, exec_lo
	v_cmpx_ne_u32_e32 0x7f, v25
	s_cbranch_execz .LBB270_535
; %bb.532:                              ;   in Loop: Header=BB270_9 Depth=1
	v_and_b32_sdwa v0, v12, v54 dst_sel:DWORD dst_unused:UNUSED_PAD src0_sel:WORD_0 src1_sel:DWORD
	v_lshrrev_b32_e32 v24, 3, v25
	s_mov_b32 s21, exec_lo
	v_cmpx_gt_u32_e32 8, v25
; %bb.533:                              ;   in Loop: Header=BB270_9 Depth=1
	v_ffbh_u32_e32 v0, v0
	v_min_u32_e32 v0, 32, v0
	v_subrev_nc_u32_e32 v24, 28, v0
	v_lshlrev_b64 v[33:34], v24, v[12:13]
	v_sub_nc_u32_e32 v24, 29, v0
	v_and_b32_e32 v0, 7, v33
; %bb.534:                              ;   in Loop: Header=BB270_9 Depth=1
	s_or_b32 exec_lo, exec_lo, s21
	v_lshlrev_b32_sdwa v12, v55, v12 dst_sel:DWORD dst_unused:UNUSED_PAD src0_sel:DWORD src1_sel:WORD_0
	v_lshl_add_u32 v24, v24, 10, 0x2000
	v_lshlrev_b32_e32 v0, 23, v0
	v_and_or_b32 v12, 0x8000, v12, v24
	v_lshl_or_b32 v0, v12, 16, v0
.LBB270_535:                            ;   in Loop: Header=BB270_9 Depth=1
	s_or_b32 exec_lo, exec_lo, s20
.LBB270_536:                            ;   in Loop: Header=BB270_9 Depth=1
	s_or_b32 exec_lo, exec_lo, s19
.LBB270_537:                            ;   in Loop: Header=BB270_9 Depth=1
	s_or_b32 exec_lo, exec_lo, s7
	v_lshrrev_b32_e32 v12, 16, v8
	v_mov_b32_e32 v24, 0
	v_mov_b32_e32 v25, 0
	v_cmp_ne_u16_sdwa s6, v12, v13 src0_sel:BYTE_0 src1_sel:DWORD
	s_and_saveexec_b32 s7, s6
	s_cbranch_execz .LBB270_545
; %bb.538:                              ;   in Loop: Header=BB270_9 Depth=1
	v_cmp_ne_u16_sdwa s6, v12, v52 src0_sel:BYTE_0 src1_sel:DWORD
	v_mov_b32_e32 v25, 0x8000
	s_and_saveexec_b32 s19, s6
	s_cbranch_execz .LBB270_544
; %bb.539:                              ;   in Loop: Header=BB270_9 Depth=1
	v_bfe_u32 v30, v8, 16, 7
	v_mov_b32_e32 v25, 0x7c01
	s_mov_b32 s20, exec_lo
	v_cmpx_ne_u32_e32 0x7f, v30
	s_cbranch_execz .LBB270_543
; %bb.540:                              ;   in Loop: Header=BB270_9 Depth=1
	v_and_b32_e32 v25, 7, v12
	v_lshrrev_b32_e32 v27, 3, v30
	s_mov_b32 s21, exec_lo
	v_cmpx_gt_u32_e32 8, v30
; %bb.541:                              ;   in Loop: Header=BB270_9 Depth=1
	v_ffbh_u32_e32 v25, v25
	v_min_u32_e32 v25, 32, v25
	v_subrev_nc_u32_e32 v27, 28, v25
	v_lshlrev_b64 v[33:34], v27, v[12:13]
	v_sub_nc_u32_e32 v27, 29, v25
	v_and_b32_e32 v25, 7, v33
; %bb.542:                              ;   in Loop: Header=BB270_9 Depth=1
	s_or_b32 exec_lo, exec_lo, s21
	v_lshlrev_b32_e32 v12, 8, v12
	v_lshl_add_u32 v27, v27, 10, 0x2000
	v_lshlrev_b32_e32 v25, 7, v25
	v_and_b32_e32 v12, 0x8000, v12
	v_and_b32_e32 v27, 0xfc00, v27
	v_or3_b32 v25, v12, v27, v25
.LBB270_543:                            ;   in Loop: Header=BB270_9 Depth=1
	s_or_b32 exec_lo, exec_lo, s20
.LBB270_544:                            ;   in Loop: Header=BB270_9 Depth=1
	s_or_b32 exec_lo, exec_lo, s19
.LBB270_545:                            ;   in Loop: Header=BB270_9 Depth=1
	s_or_b32 exec_lo, exec_lo, s7
	s_mov_b32 s7, exec_lo
	v_cmpx_lt_u32_e32 0xffffff, v8
	s_cbranch_execz .LBB270_553
; %bb.546:                              ;   in Loop: Header=BB270_9 Depth=1
	v_lshrrev_b32_e32 v12, 24, v8
	v_bfrev_b32_e32 v24, 1
	s_mov_b32 s19, exec_lo
	v_cmpx_ne_u32_e32 0x80, v12
	s_cbranch_execz .LBB270_552
; %bb.547:                              ;   in Loop: Header=BB270_9 Depth=1
	v_and_b32_e32 v27, 0x7f, v12
	v_mov_b32_e32 v24, 0x7c010000
	s_mov_b32 s20, exec_lo
	v_cmpx_ne_u32_e32 0x7f, v27
	s_cbranch_execz .LBB270_551
; %bb.548:                              ;   in Loop: Header=BB270_9 Depth=1
	v_and_b32_e32 v8, 7, v12
	v_lshrrev_b32_e32 v24, 3, v27
	s_mov_b32 s21, exec_lo
	v_cmpx_gt_u32_e32 8, v27
; %bb.549:                              ;   in Loop: Header=BB270_9 Depth=1
	v_ffbh_u32_e32 v8, v8
	v_min_u32_e32 v8, 32, v8
	v_subrev_nc_u32_e32 v24, 28, v8
	v_lshlrev_b64 v[33:34], v24, v[12:13]
	v_sub_nc_u32_e32 v24, 29, v8
	v_and_b32_e32 v8, 7, v33
; %bb.550:                              ;   in Loop: Header=BB270_9 Depth=1
	s_or_b32 exec_lo, exec_lo, s21
	v_lshlrev_b32_e32 v12, 8, v12
	v_lshl_add_u32 v24, v24, 10, 0x2000
	v_lshlrev_b32_e32 v8, 23, v8
	v_and_or_b32 v12, 0x8000, v12, v24
	v_lshl_or_b32 v24, v12, 16, v8
.LBB270_551:                            ;   in Loop: Header=BB270_9 Depth=1
	s_or_b32 exec_lo, exec_lo, s20
.LBB270_552:                            ;   in Loop: Header=BB270_9 Depth=1
	s_or_b32 exec_lo, exec_lo, s19
.LBB270_553:                            ;   in Loop: Header=BB270_9 Depth=1
	s_or_b32 exec_lo, exec_lo, s7
	v_add_co_u32 v33, s6, v19, v49
	v_add_co_ci_u32_e64 v34, null, 0, v26, s6
	v_mov_b32_e32 v19, 0
	v_mov_b32_e32 v26, 0
	flat_load_dword v8, v[33:34]
	s_waitcnt vmcnt(0) lgkmcnt(0)
	v_cmp_ne_u16_sdwa s6, v8, v13 src0_sel:BYTE_0 src1_sel:DWORD
	s_and_saveexec_b32 s7, s6
	s_cbranch_execz .LBB270_561
; %bb.554:                              ;   in Loop: Header=BB270_9 Depth=1
	v_cmp_ne_u16_sdwa s6, v8, v52 src0_sel:BYTE_0 src1_sel:DWORD
	v_mov_b32_e32 v26, 0x8000
	s_and_saveexec_b32 s19, s6
	s_cbranch_execz .LBB270_560
; %bb.555:                              ;   in Loop: Header=BB270_9 Depth=1
	v_and_b32_e32 v27, 0x7f, v8
	v_mov_b32_e32 v26, 0x7c01
	s_mov_b32 s20, exec_lo
	v_cmpx_ne_u32_e32 0x7f, v27
	s_cbranch_execz .LBB270_559
; %bb.556:                              ;   in Loop: Header=BB270_9 Depth=1
	v_and_b32_e32 v12, 7, v8
	v_lshrrev_b32_e32 v26, 3, v27
	s_mov_b32 s21, exec_lo
	v_cmpx_gt_u32_e32 8, v27
; %bb.557:                              ;   in Loop: Header=BB270_9 Depth=1
	v_ffbh_u32_e32 v12, v12
	v_min_u32_e32 v12, 32, v12
	v_subrev_nc_u32_e32 v26, 28, v12
	v_lshlrev_b64 v[33:34], v26, v[8:9]
	v_sub_nc_u32_e32 v26, 29, v12
	v_and_b32_e32 v12, 7, v33
; %bb.558:                              ;   in Loop: Header=BB270_9 Depth=1
	s_or_b32 exec_lo, exec_lo, s21
	v_lshlrev_b32_e32 v27, 8, v8
	v_lshl_add_u32 v26, v26, 10, 0x2000
	v_lshlrev_b32_e32 v12, 7, v12
	v_and_b32_e32 v27, 0x8000, v27
	v_and_b32_e32 v26, 0xfc00, v26
	v_or3_b32 v26, v27, v26, v12
.LBB270_559:                            ;   in Loop: Header=BB270_9 Depth=1
	s_or_b32 exec_lo, exec_lo, s20
.LBB270_560:                            ;   in Loop: Header=BB270_9 Depth=1
	s_or_b32 exec_lo, exec_lo, s19
.LBB270_561:                            ;   in Loop: Header=BB270_9 Depth=1
	s_or_b32 exec_lo, exec_lo, s7
	v_lshrrev_b16 v12, 8, v8
	s_mov_b32 s7, exec_lo
	v_cmpx_ne_u16_e32 0, v12
	s_cbranch_execz .LBB270_569
; %bb.562:                              ;   in Loop: Header=BB270_9 Depth=1
	v_bfrev_b32_e32 v19, 1
	s_mov_b32 s19, exec_lo
	v_cmpx_ne_u16_e32 0x80, v12
	s_cbranch_execz .LBB270_568
; %bb.563:                              ;   in Loop: Header=BB270_9 Depth=1
	v_and_b32_sdwa v30, v12, v53 dst_sel:DWORD dst_unused:UNUSED_PAD src0_sel:WORD_0 src1_sel:DWORD
	v_mov_b32_e32 v19, 0x7c010000
	s_mov_b32 s20, exec_lo
	v_cmpx_ne_u32_e32 0x7f, v30
	s_cbranch_execz .LBB270_567
; %bb.564:                              ;   in Loop: Header=BB270_9 Depth=1
	v_and_b32_sdwa v19, v12, v54 dst_sel:DWORD dst_unused:UNUSED_PAD src0_sel:WORD_0 src1_sel:DWORD
	v_lshrrev_b32_e32 v27, 3, v30
	s_mov_b32 s21, exec_lo
	v_cmpx_gt_u32_e32 8, v30
; %bb.565:                              ;   in Loop: Header=BB270_9 Depth=1
	v_ffbh_u32_e32 v19, v19
	v_min_u32_e32 v19, 32, v19
	v_subrev_nc_u32_e32 v27, 28, v19
	v_lshlrev_b64 v[33:34], v27, v[12:13]
	v_sub_nc_u32_e32 v27, 29, v19
	v_and_b32_e32 v19, 7, v33
; %bb.566:                              ;   in Loop: Header=BB270_9 Depth=1
	s_or_b32 exec_lo, exec_lo, s21
	v_lshlrev_b32_sdwa v12, v55, v12 dst_sel:DWORD dst_unused:UNUSED_PAD src0_sel:DWORD src1_sel:WORD_0
	v_lshl_add_u32 v27, v27, 10, 0x2000
	v_lshlrev_b32_e32 v19, 23, v19
	v_and_or_b32 v12, 0x8000, v12, v27
	v_lshl_or_b32 v19, v12, 16, v19
.LBB270_567:                            ;   in Loop: Header=BB270_9 Depth=1
	s_or_b32 exec_lo, exec_lo, s20
.LBB270_568:                            ;   in Loop: Header=BB270_9 Depth=1
	s_or_b32 exec_lo, exec_lo, s19
.LBB270_569:                            ;   in Loop: Header=BB270_9 Depth=1
	s_or_b32 exec_lo, exec_lo, s7
	v_lshrrev_b32_e32 v12, 16, v8
	v_mov_b32_e32 v30, 0
	v_mov_b32_e32 v34, 0
	v_cmp_ne_u16_sdwa s6, v12, v13 src0_sel:BYTE_0 src1_sel:DWORD
	s_and_saveexec_b32 s7, s6
	s_cbranch_execz .LBB270_577
; %bb.570:                              ;   in Loop: Header=BB270_9 Depth=1
	v_cmp_ne_u16_sdwa s6, v12, v52 src0_sel:BYTE_0 src1_sel:DWORD
	v_mov_b32_e32 v34, 0x8000
	s_and_saveexec_b32 s19, s6
	s_cbranch_execz .LBB270_576
; %bb.571:                              ;   in Loop: Header=BB270_9 Depth=1
	v_bfe_u32 v36, v8, 16, 7
	v_mov_b32_e32 v34, 0x7c01
	s_mov_b32 s20, exec_lo
	v_cmpx_ne_u32_e32 0x7f, v36
	s_cbranch_execz .LBB270_575
; %bb.572:                              ;   in Loop: Header=BB270_9 Depth=1
	v_and_b32_e32 v27, 7, v12
	v_lshrrev_b32_e32 v33, 3, v36
	s_mov_b32 s21, exec_lo
	v_cmpx_gt_u32_e32 8, v36
; %bb.573:                              ;   in Loop: Header=BB270_9 Depth=1
	v_ffbh_u32_e32 v27, v27
	v_min_u32_e32 v27, 32, v27
	v_subrev_nc_u32_e32 v33, 28, v27
	v_lshlrev_b64 v[36:37], v33, v[12:13]
	v_sub_nc_u32_e32 v33, 29, v27
	v_and_b32_e32 v27, 7, v36
; %bb.574:                              ;   in Loop: Header=BB270_9 Depth=1
	s_or_b32 exec_lo, exec_lo, s21
	v_lshlrev_b32_e32 v12, 8, v12
	v_lshl_add_u32 v33, v33, 10, 0x2000
	v_lshlrev_b32_e32 v27, 7, v27
	v_and_b32_e32 v12, 0x8000, v12
	v_and_b32_e32 v33, 0xfc00, v33
	v_or3_b32 v34, v12, v33, v27
.LBB270_575:                            ;   in Loop: Header=BB270_9 Depth=1
	s_or_b32 exec_lo, exec_lo, s20
.LBB270_576:                            ;   in Loop: Header=BB270_9 Depth=1
	s_or_b32 exec_lo, exec_lo, s19
.LBB270_577:                            ;   in Loop: Header=BB270_9 Depth=1
	s_or_b32 exec_lo, exec_lo, s7
	s_mov_b32 s7, exec_lo
	v_cmpx_lt_u32_e32 0xffffff, v8
	s_cbranch_execz .LBB270_585
; %bb.578:                              ;   in Loop: Header=BB270_9 Depth=1
	v_lshrrev_b32_e32 v12, 24, v8
	v_bfrev_b32_e32 v30, 1
	s_mov_b32 s19, exec_lo
	v_cmpx_ne_u32_e32 0x80, v12
	s_cbranch_execz .LBB270_584
; %bb.579:                              ;   in Loop: Header=BB270_9 Depth=1
	v_and_b32_e32 v33, 0x7f, v12
	v_mov_b32_e32 v30, 0x7c010000
	s_mov_b32 s20, exec_lo
	v_cmpx_ne_u32_e32 0x7f, v33
	s_cbranch_execz .LBB270_583
; %bb.580:                              ;   in Loop: Header=BB270_9 Depth=1
	v_and_b32_e32 v8, 7, v12
	v_lshrrev_b32_e32 v27, 3, v33
	s_mov_b32 s21, exec_lo
	v_cmpx_gt_u32_e32 8, v33
; %bb.581:                              ;   in Loop: Header=BB270_9 Depth=1
	v_ffbh_u32_e32 v8, v8
	v_min_u32_e32 v8, 32, v8
	v_subrev_nc_u32_e32 v27, 28, v8
	v_lshlrev_b64 v[36:37], v27, v[12:13]
	v_sub_nc_u32_e32 v27, 29, v8
	v_and_b32_e32 v8, 7, v36
; %bb.582:                              ;   in Loop: Header=BB270_9 Depth=1
	s_or_b32 exec_lo, exec_lo, s21
	v_lshlrev_b32_e32 v12, 8, v12
	v_lshl_add_u32 v27, v27, 10, 0x2000
	v_lshlrev_b32_e32 v8, 23, v8
	v_and_or_b32 v12, 0x8000, v12, v27
	v_lshl_or_b32 v30, v12, 16, v8
.LBB270_583:                            ;   in Loop: Header=BB270_9 Depth=1
	s_or_b32 exec_lo, exec_lo, s20
.LBB270_584:                            ;   in Loop: Header=BB270_9 Depth=1
	s_or_b32 exec_lo, exec_lo, s19
.LBB270_585:                            ;   in Loop: Header=BB270_9 Depth=1
	s_or_b32 exec_lo, exec_lo, s7
	v_add_co_u32 v33, s6, 0x900, v16
	v_add_co_ci_u32_e64 v37, null, 0, v17, s6
	v_mov_b32_e32 v108, 0
	v_add_co_u32 v62, s6, v33, v39
	v_add_co_ci_u32_e64 v63, null, 0, v37, s6
	v_mov_b32_e32 v109, 0
	flat_load_dword v8, v[62:63]
	s_waitcnt vmcnt(0) lgkmcnt(0)
	v_cmp_ne_u16_sdwa s6, v8, v13 src0_sel:BYTE_0 src1_sel:DWORD
	s_and_saveexec_b32 s7, s6
	s_cbranch_execz .LBB270_593
; %bb.586:                              ;   in Loop: Header=BB270_9 Depth=1
	v_cmp_ne_u16_sdwa s6, v8, v52 src0_sel:BYTE_0 src1_sel:DWORD
	v_mov_b32_e32 v109, 0x8000
	s_and_saveexec_b32 s19, s6
	s_cbranch_execz .LBB270_592
; %bb.587:                              ;   in Loop: Header=BB270_9 Depth=1
	v_and_b32_e32 v36, 0x7f, v8
	v_mov_b32_e32 v109, 0x7c01
	s_mov_b32 s20, exec_lo
	v_cmpx_ne_u32_e32 0x7f, v36
	s_cbranch_execz .LBB270_591
; %bb.588:                              ;   in Loop: Header=BB270_9 Depth=1
	v_and_b32_e32 v12, 7, v8
	v_lshrrev_b32_e32 v27, 3, v36
	s_mov_b32 s21, exec_lo
	v_cmpx_gt_u32_e32 8, v36
; %bb.589:                              ;   in Loop: Header=BB270_9 Depth=1
	v_ffbh_u32_e32 v12, v12
	v_min_u32_e32 v12, 32, v12
	v_subrev_nc_u32_e32 v27, 28, v12
	v_lshlrev_b64 v[62:63], v27, v[8:9]
	v_sub_nc_u32_e32 v27, 29, v12
	v_and_b32_e32 v12, 7, v62
; %bb.590:                              ;   in Loop: Header=BB270_9 Depth=1
	s_or_b32 exec_lo, exec_lo, s21
	v_lshlrev_b32_e32 v36, 8, v8
	v_lshl_add_u32 v27, v27, 10, 0x2000
	v_lshlrev_b32_e32 v12, 7, v12
	v_and_b32_e32 v36, 0x8000, v36
	v_and_b32_e32 v27, 0xfc00, v27
	v_or3_b32 v109, v36, v27, v12
.LBB270_591:                            ;   in Loop: Header=BB270_9 Depth=1
	s_or_b32 exec_lo, exec_lo, s20
.LBB270_592:                            ;   in Loop: Header=BB270_9 Depth=1
	s_or_b32 exec_lo, exec_lo, s19
.LBB270_593:                            ;   in Loop: Header=BB270_9 Depth=1
	s_or_b32 exec_lo, exec_lo, s7
	v_lshrrev_b16 v12, 8, v8
	s_mov_b32 s7, exec_lo
	v_cmpx_ne_u16_e32 0, v12
	s_cbranch_execz .LBB270_601
; %bb.594:                              ;   in Loop: Header=BB270_9 Depth=1
	v_bfrev_b32_e32 v108, 1
	s_mov_b32 s19, exec_lo
	v_cmpx_ne_u16_e32 0x80, v12
	s_cbranch_execz .LBB270_600
; %bb.595:                              ;   in Loop: Header=BB270_9 Depth=1
	v_and_b32_sdwa v62, v12, v53 dst_sel:DWORD dst_unused:UNUSED_PAD src0_sel:WORD_0 src1_sel:DWORD
	v_mov_b32_e32 v108, 0x7c010000
	s_mov_b32 s20, exec_lo
	v_cmpx_ne_u32_e32 0x7f, v62
	s_cbranch_execz .LBB270_599
; %bb.596:                              ;   in Loop: Header=BB270_9 Depth=1
	v_and_b32_sdwa v27, v12, v54 dst_sel:DWORD dst_unused:UNUSED_PAD src0_sel:WORD_0 src1_sel:DWORD
	v_lshrrev_b32_e32 v36, 3, v62
	s_mov_b32 s21, exec_lo
	v_cmpx_gt_u32_e32 8, v62
; %bb.597:                              ;   in Loop: Header=BB270_9 Depth=1
	v_ffbh_u32_e32 v27, v27
	v_min_u32_e32 v27, 32, v27
	v_subrev_nc_u32_e32 v36, 28, v27
	v_lshlrev_b64 v[62:63], v36, v[12:13]
	v_sub_nc_u32_e32 v36, 29, v27
	v_and_b32_e32 v27, 7, v62
; %bb.598:                              ;   in Loop: Header=BB270_9 Depth=1
	s_or_b32 exec_lo, exec_lo, s21
	v_lshlrev_b32_sdwa v12, v55, v12 dst_sel:DWORD dst_unused:UNUSED_PAD src0_sel:DWORD src1_sel:WORD_0
	v_lshl_add_u32 v36, v36, 10, 0x2000
	v_lshlrev_b32_e32 v27, 23, v27
	v_and_or_b32 v12, 0x8000, v12, v36
	v_lshl_or_b32 v108, v12, 16, v27
.LBB270_599:                            ;   in Loop: Header=BB270_9 Depth=1
	s_or_b32 exec_lo, exec_lo, s20
.LBB270_600:                            ;   in Loop: Header=BB270_9 Depth=1
	s_or_b32 exec_lo, exec_lo, s19
.LBB270_601:                            ;   in Loop: Header=BB270_9 Depth=1
	s_or_b32 exec_lo, exec_lo, s7
	v_lshrrev_b32_e32 v12, 16, v8
	v_mov_b32_e32 v122, 0
	v_mov_b32_e32 v123, 0
	v_cmp_ne_u16_sdwa s6, v12, v13 src0_sel:BYTE_0 src1_sel:DWORD
	s_and_saveexec_b32 s7, s6
	s_cbranch_execz .LBB270_609
; %bb.602:                              ;   in Loop: Header=BB270_9 Depth=1
	v_cmp_ne_u16_sdwa s6, v12, v52 src0_sel:BYTE_0 src1_sel:DWORD
	v_mov_b32_e32 v123, 0x8000
	s_and_saveexec_b32 s19, s6
	s_cbranch_execz .LBB270_608
; %bb.603:                              ;   in Loop: Header=BB270_9 Depth=1
	v_bfe_u32 v62, v8, 16, 7
	v_mov_b32_e32 v123, 0x7c01
	s_mov_b32 s20, exec_lo
	v_cmpx_ne_u32_e32 0x7f, v62
	s_cbranch_execz .LBB270_607
; %bb.604:                              ;   in Loop: Header=BB270_9 Depth=1
	v_and_b32_e32 v27, 7, v12
	v_lshrrev_b32_e32 v36, 3, v62
	s_mov_b32 s21, exec_lo
	v_cmpx_gt_u32_e32 8, v62
; %bb.605:                              ;   in Loop: Header=BB270_9 Depth=1
	v_ffbh_u32_e32 v27, v27
	v_min_u32_e32 v27, 32, v27
	v_subrev_nc_u32_e32 v36, 28, v27
	v_lshlrev_b64 v[62:63], v36, v[12:13]
	v_sub_nc_u32_e32 v36, 29, v27
	v_and_b32_e32 v27, 7, v62
; %bb.606:                              ;   in Loop: Header=BB270_9 Depth=1
	s_or_b32 exec_lo, exec_lo, s21
	v_lshlrev_b32_e32 v12, 8, v12
	v_lshl_add_u32 v36, v36, 10, 0x2000
	v_lshlrev_b32_e32 v27, 7, v27
	v_and_b32_e32 v12, 0x8000, v12
	v_and_b32_e32 v36, 0xfc00, v36
	v_or3_b32 v123, v12, v36, v27
.LBB270_607:                            ;   in Loop: Header=BB270_9 Depth=1
	s_or_b32 exec_lo, exec_lo, s20
.LBB270_608:                            ;   in Loop: Header=BB270_9 Depth=1
	s_or_b32 exec_lo, exec_lo, s19
.LBB270_609:                            ;   in Loop: Header=BB270_9 Depth=1
	s_or_b32 exec_lo, exec_lo, s7
	s_mov_b32 s7, exec_lo
	v_cmpx_lt_u32_e32 0xffffff, v8
	s_cbranch_execz .LBB270_617
; %bb.610:                              ;   in Loop: Header=BB270_9 Depth=1
	v_lshrrev_b32_e32 v12, 24, v8
	v_bfrev_b32_e32 v122, 1
	s_mov_b32 s19, exec_lo
	v_cmpx_ne_u32_e32 0x80, v12
	s_cbranch_execz .LBB270_616
; %bb.611:                              ;   in Loop: Header=BB270_9 Depth=1
	v_and_b32_e32 v36, 0x7f, v12
	v_mov_b32_e32 v122, 0x7c010000
	s_mov_b32 s20, exec_lo
	v_cmpx_ne_u32_e32 0x7f, v36
	s_cbranch_execz .LBB270_615
; %bb.612:                              ;   in Loop: Header=BB270_9 Depth=1
	v_and_b32_e32 v8, 7, v12
	v_lshrrev_b32_e32 v27, 3, v36
	s_mov_b32 s21, exec_lo
	v_cmpx_gt_u32_e32 8, v36
; %bb.613:                              ;   in Loop: Header=BB270_9 Depth=1
	v_ffbh_u32_e32 v8, v8
	v_min_u32_e32 v8, 32, v8
	v_subrev_nc_u32_e32 v27, 28, v8
	v_lshlrev_b64 v[62:63], v27, v[12:13]
	v_sub_nc_u32_e32 v27, 29, v8
	v_and_b32_e32 v8, 7, v62
; %bb.614:                              ;   in Loop: Header=BB270_9 Depth=1
	s_or_b32 exec_lo, exec_lo, s21
	v_lshlrev_b32_e32 v12, 8, v12
	v_lshl_add_u32 v27, v27, 10, 0x2000
	v_lshlrev_b32_e32 v8, 23, v8
	v_and_or_b32 v12, 0x8000, v12, v27
	v_lshl_or_b32 v122, v12, 16, v8
.LBB270_615:                            ;   in Loop: Header=BB270_9 Depth=1
	s_or_b32 exec_lo, exec_lo, s20
.LBB270_616:                            ;   in Loop: Header=BB270_9 Depth=1
	s_or_b32 exec_lo, exec_lo, s19
.LBB270_617:                            ;   in Loop: Header=BB270_9 Depth=1
	s_or_b32 exec_lo, exec_lo, s7
	v_add_co_u32 v36, s6, v33, v49
	v_add_co_ci_u32_e64 v37, null, 0, v37, s6
	v_mov_b32_e32 v94, 0
	v_mov_b32_e32 v95, 0
	flat_load_dword v8, v[36:37]
	s_waitcnt vmcnt(0) lgkmcnt(0)
	v_cmp_ne_u16_sdwa s6, v8, v13 src0_sel:BYTE_0 src1_sel:DWORD
	s_and_saveexec_b32 s7, s6
	s_cbranch_execz .LBB270_625
; %bb.618:                              ;   in Loop: Header=BB270_9 Depth=1
	v_cmp_ne_u16_sdwa s6, v8, v52 src0_sel:BYTE_0 src1_sel:DWORD
	v_mov_b32_e32 v95, 0x8000
	s_and_saveexec_b32 s19, s6
	s_cbranch_execz .LBB270_624
; %bb.619:                              ;   in Loop: Header=BB270_9 Depth=1
	v_and_b32_e32 v33, 0x7f, v8
	v_mov_b32_e32 v95, 0x7c01
	s_mov_b32 s20, exec_lo
	v_cmpx_ne_u32_e32 0x7f, v33
	s_cbranch_execz .LBB270_623
; %bb.620:                              ;   in Loop: Header=BB270_9 Depth=1
	v_and_b32_e32 v12, 7, v8
	v_lshrrev_b32_e32 v27, 3, v33
	s_mov_b32 s21, exec_lo
	v_cmpx_gt_u32_e32 8, v33
; %bb.621:                              ;   in Loop: Header=BB270_9 Depth=1
	v_ffbh_u32_e32 v12, v12
	v_min_u32_e32 v12, 32, v12
	v_subrev_nc_u32_e32 v27, 28, v12
	v_lshlrev_b64 v[36:37], v27, v[8:9]
	v_sub_nc_u32_e32 v27, 29, v12
	v_and_b32_e32 v12, 7, v36
; %bb.622:                              ;   in Loop: Header=BB270_9 Depth=1
	s_or_b32 exec_lo, exec_lo, s21
	v_lshlrev_b32_e32 v33, 8, v8
	v_lshl_add_u32 v27, v27, 10, 0x2000
	v_lshlrev_b32_e32 v12, 7, v12
	v_and_b32_e32 v33, 0x8000, v33
	v_and_b32_e32 v27, 0xfc00, v27
	v_or3_b32 v95, v33, v27, v12
.LBB270_623:                            ;   in Loop: Header=BB270_9 Depth=1
	s_or_b32 exec_lo, exec_lo, s20
.LBB270_624:                            ;   in Loop: Header=BB270_9 Depth=1
	s_or_b32 exec_lo, exec_lo, s19
.LBB270_625:                            ;   in Loop: Header=BB270_9 Depth=1
	s_or_b32 exec_lo, exec_lo, s7
	v_lshrrev_b16 v12, 8, v8
	s_mov_b32 s7, exec_lo
	v_cmpx_ne_u16_e32 0, v12
	s_cbranch_execz .LBB270_633
; %bb.626:                              ;   in Loop: Header=BB270_9 Depth=1
	v_bfrev_b32_e32 v94, 1
	s_mov_b32 s19, exec_lo
	v_cmpx_ne_u16_e32 0x80, v12
	s_cbranch_execz .LBB270_632
; %bb.627:                              ;   in Loop: Header=BB270_9 Depth=1
	v_and_b32_sdwa v36, v12, v53 dst_sel:DWORD dst_unused:UNUSED_PAD src0_sel:WORD_0 src1_sel:DWORD
	v_mov_b32_e32 v94, 0x7c010000
	s_mov_b32 s20, exec_lo
	v_cmpx_ne_u32_e32 0x7f, v36
	s_cbranch_execz .LBB270_631
; %bb.628:                              ;   in Loop: Header=BB270_9 Depth=1
	v_and_b32_sdwa v27, v12, v54 dst_sel:DWORD dst_unused:UNUSED_PAD src0_sel:WORD_0 src1_sel:DWORD
	v_lshrrev_b32_e32 v33, 3, v36
	s_mov_b32 s21, exec_lo
	v_cmpx_gt_u32_e32 8, v36
; %bb.629:                              ;   in Loop: Header=BB270_9 Depth=1
	v_ffbh_u32_e32 v27, v27
	v_min_u32_e32 v27, 32, v27
	v_subrev_nc_u32_e32 v33, 28, v27
	v_lshlrev_b64 v[36:37], v33, v[12:13]
	v_sub_nc_u32_e32 v33, 29, v27
	v_and_b32_e32 v27, 7, v36
; %bb.630:                              ;   in Loop: Header=BB270_9 Depth=1
	s_or_b32 exec_lo, exec_lo, s21
	v_lshlrev_b32_sdwa v12, v55, v12 dst_sel:DWORD dst_unused:UNUSED_PAD src0_sel:DWORD src1_sel:WORD_0
	v_lshl_add_u32 v33, v33, 10, 0x2000
	v_lshlrev_b32_e32 v27, 23, v27
	v_and_or_b32 v12, 0x8000, v12, v33
	v_lshl_or_b32 v94, v12, 16, v27
.LBB270_631:                            ;   in Loop: Header=BB270_9 Depth=1
	s_or_b32 exec_lo, exec_lo, s20
.LBB270_632:                            ;   in Loop: Header=BB270_9 Depth=1
	s_or_b32 exec_lo, exec_lo, s19
.LBB270_633:                            ;   in Loop: Header=BB270_9 Depth=1
	s_or_b32 exec_lo, exec_lo, s7
	v_lshrrev_b32_e32 v12, 16, v8
	v_mov_b32_e32 v110, 0
	v_mov_b32_e32 v111, 0
	v_cmp_ne_u16_sdwa s6, v12, v13 src0_sel:BYTE_0 src1_sel:DWORD
	s_and_saveexec_b32 s7, s6
	s_cbranch_execz .LBB270_641
; %bb.634:                              ;   in Loop: Header=BB270_9 Depth=1
	v_cmp_ne_u16_sdwa s6, v12, v52 src0_sel:BYTE_0 src1_sel:DWORD
	v_mov_b32_e32 v111, 0x8000
	s_and_saveexec_b32 s19, s6
	s_cbranch_execz .LBB270_640
; %bb.635:                              ;   in Loop: Header=BB270_9 Depth=1
	v_bfe_u32 v36, v8, 16, 7
	v_mov_b32_e32 v111, 0x7c01
	s_mov_b32 s20, exec_lo
	v_cmpx_ne_u32_e32 0x7f, v36
	s_cbranch_execz .LBB270_639
; %bb.636:                              ;   in Loop: Header=BB270_9 Depth=1
	v_and_b32_e32 v27, 7, v12
	v_lshrrev_b32_e32 v33, 3, v36
	s_mov_b32 s21, exec_lo
	v_cmpx_gt_u32_e32 8, v36
; %bb.637:                              ;   in Loop: Header=BB270_9 Depth=1
	v_ffbh_u32_e32 v27, v27
	v_min_u32_e32 v27, 32, v27
	v_subrev_nc_u32_e32 v33, 28, v27
	v_lshlrev_b64 v[36:37], v33, v[12:13]
	v_sub_nc_u32_e32 v33, 29, v27
	v_and_b32_e32 v27, 7, v36
; %bb.638:                              ;   in Loop: Header=BB270_9 Depth=1
	s_or_b32 exec_lo, exec_lo, s21
	v_lshlrev_b32_e32 v12, 8, v12
	v_lshl_add_u32 v33, v33, 10, 0x2000
	v_lshlrev_b32_e32 v27, 7, v27
	v_and_b32_e32 v12, 0x8000, v12
	v_and_b32_e32 v33, 0xfc00, v33
	v_or3_b32 v111, v12, v33, v27
.LBB270_639:                            ;   in Loop: Header=BB270_9 Depth=1
	s_or_b32 exec_lo, exec_lo, s20
.LBB270_640:                            ;   in Loop: Header=BB270_9 Depth=1
	s_or_b32 exec_lo, exec_lo, s19
.LBB270_641:                            ;   in Loop: Header=BB270_9 Depth=1
	s_or_b32 exec_lo, exec_lo, s7
	s_mov_b32 s7, exec_lo
	v_cmpx_lt_u32_e32 0xffffff, v8
	s_cbranch_execz .LBB270_649
; %bb.642:                              ;   in Loop: Header=BB270_9 Depth=1
	v_lshrrev_b32_e32 v12, 24, v8
	v_bfrev_b32_e32 v110, 1
	s_mov_b32 s19, exec_lo
	v_cmpx_ne_u32_e32 0x80, v12
	s_cbranch_execz .LBB270_648
; %bb.643:                              ;   in Loop: Header=BB270_9 Depth=1
	v_and_b32_e32 v33, 0x7f, v12
	v_mov_b32_e32 v110, 0x7c010000
	s_mov_b32 s20, exec_lo
	v_cmpx_ne_u32_e32 0x7f, v33
	s_cbranch_execz .LBB270_647
; %bb.644:                              ;   in Loop: Header=BB270_9 Depth=1
	v_and_b32_e32 v8, 7, v12
	v_lshrrev_b32_e32 v27, 3, v33
	s_mov_b32 s21, exec_lo
	v_cmpx_gt_u32_e32 8, v33
; %bb.645:                              ;   in Loop: Header=BB270_9 Depth=1
	v_ffbh_u32_e32 v8, v8
	v_min_u32_e32 v8, 32, v8
	v_subrev_nc_u32_e32 v27, 28, v8
	v_lshlrev_b64 v[36:37], v27, v[12:13]
	v_sub_nc_u32_e32 v27, 29, v8
	v_and_b32_e32 v8, 7, v36
; %bb.646:                              ;   in Loop: Header=BB270_9 Depth=1
	s_or_b32 exec_lo, exec_lo, s21
	v_lshlrev_b32_e32 v12, 8, v12
	v_lshl_add_u32 v27, v27, 10, 0x2000
	v_lshlrev_b32_e32 v8, 23, v8
	v_and_or_b32 v12, 0x8000, v12, v27
	v_lshl_or_b32 v110, v12, 16, v8
.LBB270_647:                            ;   in Loop: Header=BB270_9 Depth=1
	s_or_b32 exec_lo, exec_lo, s20
.LBB270_648:                            ;   in Loop: Header=BB270_9 Depth=1
	s_or_b32 exec_lo, exec_lo, s19
.LBB270_649:                            ;   in Loop: Header=BB270_9 Depth=1
	s_or_b32 exec_lo, exec_lo, s7
	v_add_co_u32 v33, s6, 0xa00, v16
	v_add_co_ci_u32_e64 v37, null, 0, v17, s6
	v_mov_b32_e32 v88, 0
	v_add_co_u32 v62, s6, v33, v39
	v_add_co_ci_u32_e64 v63, null, 0, v37, s6
	v_mov_b32_e32 v89, 0
	flat_load_dword v8, v[62:63]
	s_waitcnt vmcnt(0) lgkmcnt(0)
	v_cmp_ne_u16_sdwa s6, v8, v13 src0_sel:BYTE_0 src1_sel:DWORD
	s_and_saveexec_b32 s7, s6
	s_cbranch_execz .LBB270_657
; %bb.650:                              ;   in Loop: Header=BB270_9 Depth=1
	v_cmp_ne_u16_sdwa s6, v8, v52 src0_sel:BYTE_0 src1_sel:DWORD
	v_mov_b32_e32 v89, 0x8000
	s_and_saveexec_b32 s19, s6
	s_cbranch_execz .LBB270_656
; %bb.651:                              ;   in Loop: Header=BB270_9 Depth=1
	v_and_b32_e32 v36, 0x7f, v8
	v_mov_b32_e32 v89, 0x7c01
	s_mov_b32 s20, exec_lo
	v_cmpx_ne_u32_e32 0x7f, v36
	s_cbranch_execz .LBB270_655
; %bb.652:                              ;   in Loop: Header=BB270_9 Depth=1
	v_and_b32_e32 v12, 7, v8
	v_lshrrev_b32_e32 v27, 3, v36
	s_mov_b32 s21, exec_lo
	v_cmpx_gt_u32_e32 8, v36
; %bb.653:                              ;   in Loop: Header=BB270_9 Depth=1
	v_ffbh_u32_e32 v12, v12
	v_min_u32_e32 v12, 32, v12
	v_subrev_nc_u32_e32 v27, 28, v12
	v_lshlrev_b64 v[62:63], v27, v[8:9]
	v_sub_nc_u32_e32 v27, 29, v12
	v_and_b32_e32 v12, 7, v62
; %bb.654:                              ;   in Loop: Header=BB270_9 Depth=1
	s_or_b32 exec_lo, exec_lo, s21
	v_lshlrev_b32_e32 v36, 8, v8
	v_lshl_add_u32 v27, v27, 10, 0x2000
	v_lshlrev_b32_e32 v12, 7, v12
	v_and_b32_e32 v36, 0x8000, v36
	v_and_b32_e32 v27, 0xfc00, v27
	v_or3_b32 v89, v36, v27, v12
.LBB270_655:                            ;   in Loop: Header=BB270_9 Depth=1
	s_or_b32 exec_lo, exec_lo, s20
.LBB270_656:                            ;   in Loop: Header=BB270_9 Depth=1
	s_or_b32 exec_lo, exec_lo, s19
.LBB270_657:                            ;   in Loop: Header=BB270_9 Depth=1
	s_or_b32 exec_lo, exec_lo, s7
	v_lshrrev_b16 v12, 8, v8
	s_mov_b32 s7, exec_lo
	v_cmpx_ne_u16_e32 0, v12
	s_cbranch_execz .LBB270_665
; %bb.658:                              ;   in Loop: Header=BB270_9 Depth=1
	v_bfrev_b32_e32 v88, 1
	s_mov_b32 s19, exec_lo
	v_cmpx_ne_u16_e32 0x80, v12
	s_cbranch_execz .LBB270_664
; %bb.659:                              ;   in Loop: Header=BB270_9 Depth=1
	v_and_b32_sdwa v62, v12, v53 dst_sel:DWORD dst_unused:UNUSED_PAD src0_sel:WORD_0 src1_sel:DWORD
	v_mov_b32_e32 v88, 0x7c010000
	s_mov_b32 s20, exec_lo
	v_cmpx_ne_u32_e32 0x7f, v62
	s_cbranch_execz .LBB270_663
; %bb.660:                              ;   in Loop: Header=BB270_9 Depth=1
	v_and_b32_sdwa v27, v12, v54 dst_sel:DWORD dst_unused:UNUSED_PAD src0_sel:WORD_0 src1_sel:DWORD
	v_lshrrev_b32_e32 v36, 3, v62
	s_mov_b32 s21, exec_lo
	v_cmpx_gt_u32_e32 8, v62
; %bb.661:                              ;   in Loop: Header=BB270_9 Depth=1
	v_ffbh_u32_e32 v27, v27
	v_min_u32_e32 v27, 32, v27
	v_subrev_nc_u32_e32 v36, 28, v27
	v_lshlrev_b64 v[62:63], v36, v[12:13]
	v_sub_nc_u32_e32 v36, 29, v27
	v_and_b32_e32 v27, 7, v62
; %bb.662:                              ;   in Loop: Header=BB270_9 Depth=1
	s_or_b32 exec_lo, exec_lo, s21
	v_lshlrev_b32_sdwa v12, v55, v12 dst_sel:DWORD dst_unused:UNUSED_PAD src0_sel:DWORD src1_sel:WORD_0
	v_lshl_add_u32 v36, v36, 10, 0x2000
	v_lshlrev_b32_e32 v27, 23, v27
	v_and_or_b32 v12, 0x8000, v12, v36
	v_lshl_or_b32 v88, v12, 16, v27
.LBB270_663:                            ;   in Loop: Header=BB270_9 Depth=1
	s_or_b32 exec_lo, exec_lo, s20
.LBB270_664:                            ;   in Loop: Header=BB270_9 Depth=1
	s_or_b32 exec_lo, exec_lo, s19
.LBB270_665:                            ;   in Loop: Header=BB270_9 Depth=1
	s_or_b32 exec_lo, exec_lo, s7
	v_lshrrev_b32_e32 v12, 16, v8
	v_mov_b32_e32 v104, 0
	v_mov_b32_e32 v105, 0
	v_cmp_ne_u16_sdwa s6, v12, v13 src0_sel:BYTE_0 src1_sel:DWORD
	s_and_saveexec_b32 s7, s6
	s_cbranch_execz .LBB270_673
; %bb.666:                              ;   in Loop: Header=BB270_9 Depth=1
	v_cmp_ne_u16_sdwa s6, v12, v52 src0_sel:BYTE_0 src1_sel:DWORD
	v_mov_b32_e32 v105, 0x8000
	s_and_saveexec_b32 s19, s6
	s_cbranch_execz .LBB270_672
; %bb.667:                              ;   in Loop: Header=BB270_9 Depth=1
	v_bfe_u32 v62, v8, 16, 7
	v_mov_b32_e32 v105, 0x7c01
	s_mov_b32 s20, exec_lo
	v_cmpx_ne_u32_e32 0x7f, v62
	s_cbranch_execz .LBB270_671
; %bb.668:                              ;   in Loop: Header=BB270_9 Depth=1
	v_and_b32_e32 v27, 7, v12
	v_lshrrev_b32_e32 v36, 3, v62
	s_mov_b32 s21, exec_lo
	v_cmpx_gt_u32_e32 8, v62
; %bb.669:                              ;   in Loop: Header=BB270_9 Depth=1
	v_ffbh_u32_e32 v27, v27
	v_min_u32_e32 v27, 32, v27
	v_subrev_nc_u32_e32 v36, 28, v27
	v_lshlrev_b64 v[62:63], v36, v[12:13]
	v_sub_nc_u32_e32 v36, 29, v27
	v_and_b32_e32 v27, 7, v62
; %bb.670:                              ;   in Loop: Header=BB270_9 Depth=1
	s_or_b32 exec_lo, exec_lo, s21
	v_lshlrev_b32_e32 v12, 8, v12
	v_lshl_add_u32 v36, v36, 10, 0x2000
	v_lshlrev_b32_e32 v27, 7, v27
	v_and_b32_e32 v12, 0x8000, v12
	v_and_b32_e32 v36, 0xfc00, v36
	v_or3_b32 v105, v12, v36, v27
.LBB270_671:                            ;   in Loop: Header=BB270_9 Depth=1
	s_or_b32 exec_lo, exec_lo, s20
.LBB270_672:                            ;   in Loop: Header=BB270_9 Depth=1
	s_or_b32 exec_lo, exec_lo, s19
.LBB270_673:                            ;   in Loop: Header=BB270_9 Depth=1
	s_or_b32 exec_lo, exec_lo, s7
	s_mov_b32 s7, exec_lo
	v_cmpx_lt_u32_e32 0xffffff, v8
	s_cbranch_execz .LBB270_681
; %bb.674:                              ;   in Loop: Header=BB270_9 Depth=1
	v_lshrrev_b32_e32 v12, 24, v8
	v_bfrev_b32_e32 v104, 1
	s_mov_b32 s19, exec_lo
	v_cmpx_ne_u32_e32 0x80, v12
	s_cbranch_execz .LBB270_680
; %bb.675:                              ;   in Loop: Header=BB270_9 Depth=1
	v_and_b32_e32 v36, 0x7f, v12
	v_mov_b32_e32 v104, 0x7c010000
	s_mov_b32 s20, exec_lo
	v_cmpx_ne_u32_e32 0x7f, v36
	s_cbranch_execz .LBB270_679
; %bb.676:                              ;   in Loop: Header=BB270_9 Depth=1
	v_and_b32_e32 v8, 7, v12
	v_lshrrev_b32_e32 v27, 3, v36
	s_mov_b32 s21, exec_lo
	v_cmpx_gt_u32_e32 8, v36
; %bb.677:                              ;   in Loop: Header=BB270_9 Depth=1
	v_ffbh_u32_e32 v8, v8
	v_min_u32_e32 v8, 32, v8
	v_subrev_nc_u32_e32 v27, 28, v8
	v_lshlrev_b64 v[62:63], v27, v[12:13]
	v_sub_nc_u32_e32 v27, 29, v8
	v_and_b32_e32 v8, 7, v62
; %bb.678:                              ;   in Loop: Header=BB270_9 Depth=1
	s_or_b32 exec_lo, exec_lo, s21
	v_lshlrev_b32_e32 v12, 8, v12
	v_lshl_add_u32 v27, v27, 10, 0x2000
	v_lshlrev_b32_e32 v8, 23, v8
	v_and_or_b32 v12, 0x8000, v12, v27
	v_lshl_or_b32 v104, v12, 16, v8
.LBB270_679:                            ;   in Loop: Header=BB270_9 Depth=1
	s_or_b32 exec_lo, exec_lo, s20
.LBB270_680:                            ;   in Loop: Header=BB270_9 Depth=1
	s_or_b32 exec_lo, exec_lo, s19
.LBB270_681:                            ;   in Loop: Header=BB270_9 Depth=1
	s_or_b32 exec_lo, exec_lo, s7
	v_add_co_u32 v36, s6, v33, v49
	v_add_co_ci_u32_e64 v37, null, 0, v37, s6
	v_mov_b32_e32 v74, 0
	v_mov_b32_e32 v75, 0
	flat_load_dword v8, v[36:37]
	s_waitcnt vmcnt(0) lgkmcnt(0)
	v_cmp_ne_u16_sdwa s6, v8, v13 src0_sel:BYTE_0 src1_sel:DWORD
	s_and_saveexec_b32 s7, s6
	s_cbranch_execz .LBB270_689
; %bb.682:                              ;   in Loop: Header=BB270_9 Depth=1
	v_cmp_ne_u16_sdwa s6, v8, v52 src0_sel:BYTE_0 src1_sel:DWORD
	v_mov_b32_e32 v75, 0x8000
	s_and_saveexec_b32 s19, s6
	s_cbranch_execz .LBB270_688
; %bb.683:                              ;   in Loop: Header=BB270_9 Depth=1
	v_and_b32_e32 v33, 0x7f, v8
	v_mov_b32_e32 v75, 0x7c01
	s_mov_b32 s20, exec_lo
	v_cmpx_ne_u32_e32 0x7f, v33
	s_cbranch_execz .LBB270_687
; %bb.684:                              ;   in Loop: Header=BB270_9 Depth=1
	v_and_b32_e32 v12, 7, v8
	v_lshrrev_b32_e32 v27, 3, v33
	s_mov_b32 s21, exec_lo
	v_cmpx_gt_u32_e32 8, v33
; %bb.685:                              ;   in Loop: Header=BB270_9 Depth=1
	v_ffbh_u32_e32 v12, v12
	v_min_u32_e32 v12, 32, v12
	v_subrev_nc_u32_e32 v27, 28, v12
	v_lshlrev_b64 v[36:37], v27, v[8:9]
	v_sub_nc_u32_e32 v27, 29, v12
	v_and_b32_e32 v12, 7, v36
; %bb.686:                              ;   in Loop: Header=BB270_9 Depth=1
	s_or_b32 exec_lo, exec_lo, s21
	v_lshlrev_b32_e32 v33, 8, v8
	v_lshl_add_u32 v27, v27, 10, 0x2000
	v_lshlrev_b32_e32 v12, 7, v12
	v_and_b32_e32 v33, 0x8000, v33
	v_and_b32_e32 v27, 0xfc00, v27
	v_or3_b32 v75, v33, v27, v12
.LBB270_687:                            ;   in Loop: Header=BB270_9 Depth=1
	s_or_b32 exec_lo, exec_lo, s20
.LBB270_688:                            ;   in Loop: Header=BB270_9 Depth=1
	s_or_b32 exec_lo, exec_lo, s19
.LBB270_689:                            ;   in Loop: Header=BB270_9 Depth=1
	s_or_b32 exec_lo, exec_lo, s7
	v_lshrrev_b16 v12, 8, v8
	s_mov_b32 s7, exec_lo
	v_cmpx_ne_u16_e32 0, v12
	s_cbranch_execz .LBB270_697
; %bb.690:                              ;   in Loop: Header=BB270_9 Depth=1
	v_bfrev_b32_e32 v74, 1
	s_mov_b32 s19, exec_lo
	v_cmpx_ne_u16_e32 0x80, v12
	s_cbranch_execz .LBB270_696
; %bb.691:                              ;   in Loop: Header=BB270_9 Depth=1
	v_and_b32_sdwa v36, v12, v53 dst_sel:DWORD dst_unused:UNUSED_PAD src0_sel:WORD_0 src1_sel:DWORD
	v_mov_b32_e32 v74, 0x7c010000
	s_mov_b32 s20, exec_lo
	v_cmpx_ne_u32_e32 0x7f, v36
	s_cbranch_execz .LBB270_695
; %bb.692:                              ;   in Loop: Header=BB270_9 Depth=1
	v_and_b32_sdwa v27, v12, v54 dst_sel:DWORD dst_unused:UNUSED_PAD src0_sel:WORD_0 src1_sel:DWORD
	v_lshrrev_b32_e32 v33, 3, v36
	s_mov_b32 s21, exec_lo
	v_cmpx_gt_u32_e32 8, v36
; %bb.693:                              ;   in Loop: Header=BB270_9 Depth=1
	v_ffbh_u32_e32 v27, v27
	v_min_u32_e32 v27, 32, v27
	v_subrev_nc_u32_e32 v33, 28, v27
	v_lshlrev_b64 v[36:37], v33, v[12:13]
	v_sub_nc_u32_e32 v33, 29, v27
	v_and_b32_e32 v27, 7, v36
; %bb.694:                              ;   in Loop: Header=BB270_9 Depth=1
	s_or_b32 exec_lo, exec_lo, s21
	v_lshlrev_b32_sdwa v12, v55, v12 dst_sel:DWORD dst_unused:UNUSED_PAD src0_sel:DWORD src1_sel:WORD_0
	v_lshl_add_u32 v33, v33, 10, 0x2000
	v_lshlrev_b32_e32 v27, 23, v27
	v_and_or_b32 v12, 0x8000, v12, v33
	v_lshl_or_b32 v74, v12, 16, v27
.LBB270_695:                            ;   in Loop: Header=BB270_9 Depth=1
	s_or_b32 exec_lo, exec_lo, s20
.LBB270_696:                            ;   in Loop: Header=BB270_9 Depth=1
	s_or_b32 exec_lo, exec_lo, s19
.LBB270_697:                            ;   in Loop: Header=BB270_9 Depth=1
	s_or_b32 exec_lo, exec_lo, s7
	v_lshrrev_b32_e32 v12, 16, v8
	v_mov_b32_e32 v90, 0
	v_mov_b32_e32 v91, 0
	v_cmp_ne_u16_sdwa s6, v12, v13 src0_sel:BYTE_0 src1_sel:DWORD
	s_and_saveexec_b32 s7, s6
	s_cbranch_execz .LBB270_705
; %bb.698:                              ;   in Loop: Header=BB270_9 Depth=1
	v_cmp_ne_u16_sdwa s6, v12, v52 src0_sel:BYTE_0 src1_sel:DWORD
	v_mov_b32_e32 v91, 0x8000
	s_and_saveexec_b32 s19, s6
	s_cbranch_execz .LBB270_704
; %bb.699:                              ;   in Loop: Header=BB270_9 Depth=1
	v_bfe_u32 v36, v8, 16, 7
	v_mov_b32_e32 v91, 0x7c01
	s_mov_b32 s20, exec_lo
	v_cmpx_ne_u32_e32 0x7f, v36
	s_cbranch_execz .LBB270_703
; %bb.700:                              ;   in Loop: Header=BB270_9 Depth=1
	v_and_b32_e32 v27, 7, v12
	v_lshrrev_b32_e32 v33, 3, v36
	s_mov_b32 s21, exec_lo
	v_cmpx_gt_u32_e32 8, v36
; %bb.701:                              ;   in Loop: Header=BB270_9 Depth=1
	v_ffbh_u32_e32 v27, v27
	v_min_u32_e32 v27, 32, v27
	v_subrev_nc_u32_e32 v33, 28, v27
	v_lshlrev_b64 v[36:37], v33, v[12:13]
	v_sub_nc_u32_e32 v33, 29, v27
	v_and_b32_e32 v27, 7, v36
; %bb.702:                              ;   in Loop: Header=BB270_9 Depth=1
	s_or_b32 exec_lo, exec_lo, s21
	v_lshlrev_b32_e32 v12, 8, v12
	v_lshl_add_u32 v33, v33, 10, 0x2000
	v_lshlrev_b32_e32 v27, 7, v27
	v_and_b32_e32 v12, 0x8000, v12
	v_and_b32_e32 v33, 0xfc00, v33
	v_or3_b32 v91, v12, v33, v27
.LBB270_703:                            ;   in Loop: Header=BB270_9 Depth=1
	s_or_b32 exec_lo, exec_lo, s20
.LBB270_704:                            ;   in Loop: Header=BB270_9 Depth=1
	s_or_b32 exec_lo, exec_lo, s19
.LBB270_705:                            ;   in Loop: Header=BB270_9 Depth=1
	s_or_b32 exec_lo, exec_lo, s7
	s_mov_b32 s7, exec_lo
	v_cmpx_lt_u32_e32 0xffffff, v8
	s_cbranch_execz .LBB270_713
; %bb.706:                              ;   in Loop: Header=BB270_9 Depth=1
	v_lshrrev_b32_e32 v12, 24, v8
	v_bfrev_b32_e32 v90, 1
	s_mov_b32 s19, exec_lo
	v_cmpx_ne_u32_e32 0x80, v12
	s_cbranch_execz .LBB270_712
; %bb.707:                              ;   in Loop: Header=BB270_9 Depth=1
	v_and_b32_e32 v33, 0x7f, v12
	v_mov_b32_e32 v90, 0x7c010000
	s_mov_b32 s20, exec_lo
	v_cmpx_ne_u32_e32 0x7f, v33
	s_cbranch_execz .LBB270_711
; %bb.708:                              ;   in Loop: Header=BB270_9 Depth=1
	v_and_b32_e32 v8, 7, v12
	v_lshrrev_b32_e32 v27, 3, v33
	s_mov_b32 s21, exec_lo
	v_cmpx_gt_u32_e32 8, v33
; %bb.709:                              ;   in Loop: Header=BB270_9 Depth=1
	v_ffbh_u32_e32 v8, v8
	v_min_u32_e32 v8, 32, v8
	v_subrev_nc_u32_e32 v27, 28, v8
	v_lshlrev_b64 v[36:37], v27, v[12:13]
	v_sub_nc_u32_e32 v27, 29, v8
	v_and_b32_e32 v8, 7, v36
; %bb.710:                              ;   in Loop: Header=BB270_9 Depth=1
	s_or_b32 exec_lo, exec_lo, s21
	v_lshlrev_b32_e32 v12, 8, v12
	v_lshl_add_u32 v27, v27, 10, 0x2000
	v_lshlrev_b32_e32 v8, 23, v8
	v_and_or_b32 v12, 0x8000, v12, v27
	v_lshl_or_b32 v90, v12, 16, v8
.LBB270_711:                            ;   in Loop: Header=BB270_9 Depth=1
	s_or_b32 exec_lo, exec_lo, s20
.LBB270_712:                            ;   in Loop: Header=BB270_9 Depth=1
	s_or_b32 exec_lo, exec_lo, s19
.LBB270_713:                            ;   in Loop: Header=BB270_9 Depth=1
	s_or_b32 exec_lo, exec_lo, s7
	v_add_co_u32 v33, s6, 0xb00, v16
	v_add_co_ci_u32_e64 v37, null, 0, v17, s6
	v_add_co_u32 v16, s6, v33, v39
	v_add_co_ci_u32_e64 v17, null, 0, v37, s6
	flat_load_dword v8, v[16:17]
	v_mov_b32_e32 v16, 0
	v_mov_b32_e32 v17, 0
	s_waitcnt vmcnt(0) lgkmcnt(0)
	v_cmp_ne_u16_sdwa s6, v8, v13 src0_sel:BYTE_0 src1_sel:DWORD
	s_and_saveexec_b32 s7, s6
	s_cbranch_execz .LBB270_721
; %bb.714:                              ;   in Loop: Header=BB270_9 Depth=1
	v_cmp_ne_u16_sdwa s6, v8, v52 src0_sel:BYTE_0 src1_sel:DWORD
	v_mov_b32_e32 v17, 0x8000
	s_and_saveexec_b32 s19, s6
	s_cbranch_execz .LBB270_720
; %bb.715:                              ;   in Loop: Header=BB270_9 Depth=1
	v_and_b32_e32 v27, 0x7f, v8
	v_mov_b32_e32 v17, 0x7c01
	s_mov_b32 s20, exec_lo
	v_cmpx_ne_u32_e32 0x7f, v27
	s_cbranch_execz .LBB270_719
; %bb.716:                              ;   in Loop: Header=BB270_9 Depth=1
	v_and_b32_e32 v12, 7, v8
	v_lshrrev_b32_e32 v17, 3, v27
	s_mov_b32 s21, exec_lo
	v_cmpx_gt_u32_e32 8, v27
; %bb.717:                              ;   in Loop: Header=BB270_9 Depth=1
	v_ffbh_u32_e32 v12, v12
	v_min_u32_e32 v12, 32, v12
	v_subrev_nc_u32_e32 v17, 28, v12
	v_lshlrev_b64 v[62:63], v17, v[8:9]
	v_sub_nc_u32_e32 v17, 29, v12
	v_and_b32_e32 v12, 7, v62
; %bb.718:                              ;   in Loop: Header=BB270_9 Depth=1
	s_or_b32 exec_lo, exec_lo, s21
	v_lshlrev_b32_e32 v27, 8, v8
	v_lshl_add_u32 v17, v17, 10, 0x2000
	v_lshlrev_b32_e32 v12, 7, v12
	v_and_b32_e32 v27, 0x8000, v27
	v_and_b32_e32 v17, 0xfc00, v17
	v_or3_b32 v17, v27, v17, v12
.LBB270_719:                            ;   in Loop: Header=BB270_9 Depth=1
	s_or_b32 exec_lo, exec_lo, s20
.LBB270_720:                            ;   in Loop: Header=BB270_9 Depth=1
	s_or_b32 exec_lo, exec_lo, s19
.LBB270_721:                            ;   in Loop: Header=BB270_9 Depth=1
	s_or_b32 exec_lo, exec_lo, s7
	v_lshrrev_b16 v12, 8, v8
	s_mov_b32 s7, exec_lo
	v_cmpx_ne_u16_e32 0, v12
	s_cbranch_execz .LBB270_729
; %bb.722:                              ;   in Loop: Header=BB270_9 Depth=1
	v_bfrev_b32_e32 v16, 1
	s_mov_b32 s19, exec_lo
	v_cmpx_ne_u16_e32 0x80, v12
	s_cbranch_execz .LBB270_728
; %bb.723:                              ;   in Loop: Header=BB270_9 Depth=1
	v_and_b32_sdwa v36, v12, v53 dst_sel:DWORD dst_unused:UNUSED_PAD src0_sel:WORD_0 src1_sel:DWORD
	v_mov_b32_e32 v16, 0x7c010000
	s_mov_b32 s20, exec_lo
	v_cmpx_ne_u32_e32 0x7f, v36
	s_cbranch_execz .LBB270_727
; %bb.724:                              ;   in Loop: Header=BB270_9 Depth=1
	v_and_b32_sdwa v16, v12, v54 dst_sel:DWORD dst_unused:UNUSED_PAD src0_sel:WORD_0 src1_sel:DWORD
	v_lshrrev_b32_e32 v27, 3, v36
	s_mov_b32 s21, exec_lo
	v_cmpx_gt_u32_e32 8, v36
; %bb.725:                              ;   in Loop: Header=BB270_9 Depth=1
	v_ffbh_u32_e32 v16, v16
	v_min_u32_e32 v16, 32, v16
	v_subrev_nc_u32_e32 v27, 28, v16
	v_lshlrev_b64 v[62:63], v27, v[12:13]
	v_sub_nc_u32_e32 v27, 29, v16
	v_and_b32_e32 v16, 7, v62
; %bb.726:                              ;   in Loop: Header=BB270_9 Depth=1
	s_or_b32 exec_lo, exec_lo, s21
	v_lshlrev_b32_sdwa v12, v55, v12 dst_sel:DWORD dst_unused:UNUSED_PAD src0_sel:DWORD src1_sel:WORD_0
	v_lshl_add_u32 v27, v27, 10, 0x2000
	v_lshlrev_b32_e32 v16, 23, v16
	v_and_or_b32 v12, 0x8000, v12, v27
	v_lshl_or_b32 v16, v12, 16, v16
.LBB270_727:                            ;   in Loop: Header=BB270_9 Depth=1
	s_or_b32 exec_lo, exec_lo, s20
.LBB270_728:                            ;   in Loop: Header=BB270_9 Depth=1
	s_or_b32 exec_lo, exec_lo, s19
.LBB270_729:                            ;   in Loop: Header=BB270_9 Depth=1
	s_or_b32 exec_lo, exec_lo, s7
	v_lshrrev_b32_e32 v12, 16, v8
	v_mov_b32_e32 v76, 0
	v_mov_b32_e32 v77, 0
	v_cmp_ne_u16_sdwa s6, v12, v13 src0_sel:BYTE_0 src1_sel:DWORD
	s_and_saveexec_b32 s7, s6
	s_cbranch_execz .LBB270_737
; %bb.730:                              ;   in Loop: Header=BB270_9 Depth=1
	v_cmp_ne_u16_sdwa s6, v12, v52 src0_sel:BYTE_0 src1_sel:DWORD
	v_mov_b32_e32 v77, 0x8000
	s_and_saveexec_b32 s19, s6
	s_cbranch_execz .LBB270_736
; %bb.731:                              ;   in Loop: Header=BB270_9 Depth=1
	v_bfe_u32 v62, v8, 16, 7
	v_mov_b32_e32 v77, 0x7c01
	s_mov_b32 s20, exec_lo
	v_cmpx_ne_u32_e32 0x7f, v62
	s_cbranch_execz .LBB270_735
; %bb.732:                              ;   in Loop: Header=BB270_9 Depth=1
	v_and_b32_e32 v27, 7, v12
	v_lshrrev_b32_e32 v36, 3, v62
	s_mov_b32 s21, exec_lo
	v_cmpx_gt_u32_e32 8, v62
; %bb.733:                              ;   in Loop: Header=BB270_9 Depth=1
	v_ffbh_u32_e32 v27, v27
	v_min_u32_e32 v27, 32, v27
	v_subrev_nc_u32_e32 v36, 28, v27
	v_lshlrev_b64 v[62:63], v36, v[12:13]
	v_sub_nc_u32_e32 v36, 29, v27
	v_and_b32_e32 v27, 7, v62
; %bb.734:                              ;   in Loop: Header=BB270_9 Depth=1
	s_or_b32 exec_lo, exec_lo, s21
	v_lshlrev_b32_e32 v12, 8, v12
	v_lshl_add_u32 v36, v36, 10, 0x2000
	v_lshlrev_b32_e32 v27, 7, v27
	v_and_b32_e32 v12, 0x8000, v12
	v_and_b32_e32 v36, 0xfc00, v36
	v_or3_b32 v77, v12, v36, v27
.LBB270_735:                            ;   in Loop: Header=BB270_9 Depth=1
	s_or_b32 exec_lo, exec_lo, s20
.LBB270_736:                            ;   in Loop: Header=BB270_9 Depth=1
	s_or_b32 exec_lo, exec_lo, s19
.LBB270_737:                            ;   in Loop: Header=BB270_9 Depth=1
	s_or_b32 exec_lo, exec_lo, s7
	s_mov_b32 s7, exec_lo
	v_cmpx_lt_u32_e32 0xffffff, v8
	s_cbranch_execz .LBB270_745
; %bb.738:                              ;   in Loop: Header=BB270_9 Depth=1
	v_lshrrev_b32_e32 v12, 24, v8
	v_bfrev_b32_e32 v76, 1
	s_mov_b32 s19, exec_lo
	v_cmpx_ne_u32_e32 0x80, v12
	s_cbranch_execz .LBB270_744
; %bb.739:                              ;   in Loop: Header=BB270_9 Depth=1
	v_and_b32_e32 v36, 0x7f, v12
	v_mov_b32_e32 v76, 0x7c010000
	s_mov_b32 s20, exec_lo
	v_cmpx_ne_u32_e32 0x7f, v36
	s_cbranch_execz .LBB270_743
; %bb.740:                              ;   in Loop: Header=BB270_9 Depth=1
	v_and_b32_e32 v8, 7, v12
	v_lshrrev_b32_e32 v27, 3, v36
	s_mov_b32 s21, exec_lo
	v_cmpx_gt_u32_e32 8, v36
; %bb.741:                              ;   in Loop: Header=BB270_9 Depth=1
	v_ffbh_u32_e32 v8, v8
	v_min_u32_e32 v8, 32, v8
	v_subrev_nc_u32_e32 v27, 28, v8
	v_lshlrev_b64 v[62:63], v27, v[12:13]
	v_sub_nc_u32_e32 v27, 29, v8
	v_and_b32_e32 v8, 7, v62
; %bb.742:                              ;   in Loop: Header=BB270_9 Depth=1
	s_or_b32 exec_lo, exec_lo, s21
	v_lshlrev_b32_e32 v12, 8, v12
	v_lshl_add_u32 v27, v27, 10, 0x2000
	v_lshlrev_b32_e32 v8, 23, v8
	v_and_or_b32 v12, 0x8000, v12, v27
	v_lshl_or_b32 v76, v12, 16, v8
.LBB270_743:                            ;   in Loop: Header=BB270_9 Depth=1
	s_or_b32 exec_lo, exec_lo, s20
.LBB270_744:                            ;   in Loop: Header=BB270_9 Depth=1
	s_or_b32 exec_lo, exec_lo, s19
.LBB270_745:                            ;   in Loop: Header=BB270_9 Depth=1
	s_or_b32 exec_lo, exec_lo, s7
	v_add_co_u32 v36, s6, v33, v49
	v_add_co_ci_u32_e64 v37, null, 0, v37, s6
	v_mov_b32_e32 v33, 0
	flat_load_dword v8, v[36:37]
	v_mov_b32_e32 v37, 0
	s_waitcnt vmcnt(0) lgkmcnt(0)
	v_cmp_ne_u16_sdwa s6, v8, v13 src0_sel:BYTE_0 src1_sel:DWORD
	s_and_saveexec_b32 s7, s6
	s_cbranch_execz .LBB270_753
; %bb.746:                              ;   in Loop: Header=BB270_9 Depth=1
	v_cmp_ne_u16_sdwa s6, v8, v52 src0_sel:BYTE_0 src1_sel:DWORD
	v_mov_b32_e32 v37, 0x8000
	s_and_saveexec_b32 s19, s6
	s_cbranch_execz .LBB270_752
; %bb.747:                              ;   in Loop: Header=BB270_9 Depth=1
	v_and_b32_e32 v36, 0x7f, v8
	v_mov_b32_e32 v37, 0x7c01
	s_mov_b32 s20, exec_lo
	v_cmpx_ne_u32_e32 0x7f, v36
	s_cbranch_execz .LBB270_751
; %bb.748:                              ;   in Loop: Header=BB270_9 Depth=1
	v_and_b32_e32 v12, 7, v8
	v_lshrrev_b32_e32 v27, 3, v36
	s_mov_b32 s21, exec_lo
	v_cmpx_gt_u32_e32 8, v36
; %bb.749:                              ;   in Loop: Header=BB270_9 Depth=1
	v_ffbh_u32_e32 v12, v12
	v_min_u32_e32 v12, 32, v12
	v_subrev_nc_u32_e32 v27, 28, v12
	v_lshlrev_b64 v[36:37], v27, v[8:9]
	v_sub_nc_u32_e32 v27, 29, v12
	v_and_b32_e32 v12, 7, v36
; %bb.750:                              ;   in Loop: Header=BB270_9 Depth=1
	s_or_b32 exec_lo, exec_lo, s21
	v_lshlrev_b32_e32 v36, 8, v8
	v_lshl_add_u32 v27, v27, 10, 0x2000
	v_lshlrev_b32_e32 v12, 7, v12
	v_and_b32_e32 v36, 0x8000, v36
	v_and_b32_e32 v27, 0xfc00, v27
	v_or3_b32 v37, v36, v27, v12
.LBB270_751:                            ;   in Loop: Header=BB270_9 Depth=1
	s_or_b32 exec_lo, exec_lo, s20
.LBB270_752:                            ;   in Loop: Header=BB270_9 Depth=1
	s_or_b32 exec_lo, exec_lo, s19
.LBB270_753:                            ;   in Loop: Header=BB270_9 Depth=1
	s_or_b32 exec_lo, exec_lo, s7
	v_lshrrev_b16 v12, 8, v8
	s_mov_b32 s7, exec_lo
	v_cmpx_ne_u16_e32 0, v12
	s_cbranch_execz .LBB270_761
; %bb.754:                              ;   in Loop: Header=BB270_9 Depth=1
	v_bfrev_b32_e32 v33, 1
	s_mov_b32 s19, exec_lo
	v_cmpx_ne_u16_e32 0x80, v12
	s_cbranch_execz .LBB270_760
; %bb.755:                              ;   in Loop: Header=BB270_9 Depth=1
	v_and_b32_sdwa v36, v12, v53 dst_sel:DWORD dst_unused:UNUSED_PAD src0_sel:WORD_0 src1_sel:DWORD
	v_mov_b32_e32 v33, 0x7c010000
	s_mov_b32 s20, exec_lo
	v_cmpx_ne_u32_e32 0x7f, v36
	s_cbranch_execz .LBB270_759
; %bb.756:                              ;   in Loop: Header=BB270_9 Depth=1
	v_and_b32_sdwa v27, v12, v54 dst_sel:DWORD dst_unused:UNUSED_PAD src0_sel:WORD_0 src1_sel:DWORD
	v_lshrrev_b32_e32 v33, 3, v36
	s_mov_b32 s21, exec_lo
	v_cmpx_gt_u32_e32 8, v36
; %bb.757:                              ;   in Loop: Header=BB270_9 Depth=1
	v_ffbh_u32_e32 v27, v27
	v_min_u32_e32 v27, 32, v27
	v_subrev_nc_u32_e32 v33, 28, v27
	v_lshlrev_b64 v[62:63], v33, v[12:13]
	v_sub_nc_u32_e32 v33, 29, v27
	v_and_b32_e32 v27, 7, v62
; %bb.758:                              ;   in Loop: Header=BB270_9 Depth=1
	s_or_b32 exec_lo, exec_lo, s21
	v_lshlrev_b32_sdwa v12, v55, v12 dst_sel:DWORD dst_unused:UNUSED_PAD src0_sel:DWORD src1_sel:WORD_0
	v_lshl_add_u32 v33, v33, 10, 0x2000
	v_lshlrev_b32_e32 v27, 23, v27
	v_and_or_b32 v12, 0x8000, v12, v33
	v_lshl_or_b32 v33, v12, 16, v27
.LBB270_759:                            ;   in Loop: Header=BB270_9 Depth=1
	s_or_b32 exec_lo, exec_lo, s20
.LBB270_760:                            ;   in Loop: Header=BB270_9 Depth=1
	s_or_b32 exec_lo, exec_lo, s19
.LBB270_761:                            ;   in Loop: Header=BB270_9 Depth=1
	s_or_b32 exec_lo, exec_lo, s7
	v_lshrrev_b32_e32 v12, 16, v8
	v_mov_b32_e32 v27, 0
	v_mov_b32_e32 v36, 0
	v_cmp_ne_u16_sdwa s6, v12, v13 src0_sel:BYTE_0 src1_sel:DWORD
	s_and_saveexec_b32 s7, s6
	s_cbranch_execz .LBB270_769
; %bb.762:                              ;   in Loop: Header=BB270_9 Depth=1
	v_cmp_ne_u16_sdwa s6, v12, v52 src0_sel:BYTE_0 src1_sel:DWORD
	v_mov_b32_e32 v36, 0x8000
	s_and_saveexec_b32 s19, s6
	s_cbranch_execz .LBB270_768
; %bb.763:                              ;   in Loop: Header=BB270_9 Depth=1
	v_bfe_u32 v63, v8, 16, 7
	v_mov_b32_e32 v36, 0x7c01
	s_mov_b32 s20, exec_lo
	v_cmpx_ne_u32_e32 0x7f, v63
	s_cbranch_execz .LBB270_767
; %bb.764:                              ;   in Loop: Header=BB270_9 Depth=1
	v_and_b32_e32 v36, 7, v12
	v_lshrrev_b32_e32 v62, 3, v63
	s_mov_b32 s21, exec_lo
	v_cmpx_gt_u32_e32 8, v63
; %bb.765:                              ;   in Loop: Header=BB270_9 Depth=1
	v_ffbh_u32_e32 v36, v36
	v_min_u32_e32 v36, 32, v36
	v_subrev_nc_u32_e32 v62, 28, v36
	v_lshlrev_b64 v[124:125], v62, v[12:13]
	v_sub_nc_u32_e32 v62, 29, v36
	v_and_b32_e32 v36, 7, v124
; %bb.766:                              ;   in Loop: Header=BB270_9 Depth=1
	s_or_b32 exec_lo, exec_lo, s21
	v_lshlrev_b32_e32 v12, 8, v12
	v_lshl_add_u32 v62, v62, 10, 0x2000
	v_lshlrev_b32_e32 v36, 7, v36
	v_and_b32_e32 v12, 0x8000, v12
	v_and_b32_e32 v62, 0xfc00, v62
	v_or3_b32 v36, v12, v62, v36
.LBB270_767:                            ;   in Loop: Header=BB270_9 Depth=1
	s_or_b32 exec_lo, exec_lo, s20
.LBB270_768:                            ;   in Loop: Header=BB270_9 Depth=1
	s_or_b32 exec_lo, exec_lo, s19
.LBB270_769:                            ;   in Loop: Header=BB270_9 Depth=1
	s_or_b32 exec_lo, exec_lo, s7
	s_mov_b32 s7, exec_lo
	v_cmpx_lt_u32_e32 0xffffff, v8
	s_cbranch_execz .LBB270_777
; %bb.770:                              ;   in Loop: Header=BB270_9 Depth=1
	v_lshrrev_b32_e32 v12, 24, v8
	v_bfrev_b32_e32 v27, 1
	s_mov_b32 s19, exec_lo
	v_cmpx_ne_u32_e32 0x80, v12
	s_cbranch_execz .LBB270_776
; %bb.771:                              ;   in Loop: Header=BB270_9 Depth=1
	v_and_b32_e32 v62, 0x7f, v12
	v_mov_b32_e32 v27, 0x7c010000
	s_mov_b32 s20, exec_lo
	v_cmpx_ne_u32_e32 0x7f, v62
	s_cbranch_execz .LBB270_775
; %bb.772:                              ;   in Loop: Header=BB270_9 Depth=1
	v_and_b32_e32 v8, 7, v12
	v_lshrrev_b32_e32 v27, 3, v62
	s_mov_b32 s21, exec_lo
	v_cmpx_gt_u32_e32 8, v62
; %bb.773:                              ;   in Loop: Header=BB270_9 Depth=1
	v_ffbh_u32_e32 v8, v8
	v_min_u32_e32 v8, 32, v8
	v_subrev_nc_u32_e32 v27, 28, v8
	v_lshlrev_b64 v[62:63], v27, v[12:13]
	v_sub_nc_u32_e32 v27, 29, v8
	v_and_b32_e32 v8, 7, v62
; %bb.774:                              ;   in Loop: Header=BB270_9 Depth=1
	s_or_b32 exec_lo, exec_lo, s21
	v_lshlrev_b32_e32 v12, 8, v12
	v_lshl_add_u32 v27, v27, 10, 0x2000
	v_lshlrev_b32_e32 v8, 23, v8
	v_and_or_b32 v12, 0x8000, v12, v27
	v_lshl_or_b32 v27, v12, 16, v8
.LBB270_775:                            ;   in Loop: Header=BB270_9 Depth=1
	s_or_b32 exec_lo, exec_lo, s20
.LBB270_776:                            ;   in Loop: Header=BB270_9 Depth=1
	s_or_b32 exec_lo, exec_lo, s19
.LBB270_777:                            ;   in Loop: Header=BB270_9 Depth=1
	s_or_b32 exec_lo, exec_lo, s7
	v_or_b32_e32 v8, v16, v17
	v_or_b32_e32 v3, v2, v3
	v_fma_mixlo_f16 v62, v65, v16, 0 op_sel:[0,1,0] op_sel_hi:[0,1,0]
	v_fma_mixlo_f16 v16, v65, v76, 0 op_sel:[0,1,0] op_sel_hi:[0,1,0]
	v_or_b32_e32 v1, v0, v1
	v_fma_mixlo_f16 v63, v65, v8, 0 op_sel_hi:[0,1,0]
	v_or_b32_e32 v8, v76, v77
	v_fma_mixlo_f16 v76, v65, v74, 0 op_sel:[0,1,0] op_sel_hi:[0,1,0]
	v_fma_mixlo_f16 v124, v65, v19, 0 op_sel:[0,1,0] op_sel_hi:[0,1,0]
	;; [unrolled: 1-line block ×3, first 2 shown]
	v_fma_mixlo_f16 v17, v65, v8, 0 op_sel_hi:[0,1,0]
	v_or_b32_e32 v8, v74, v75
	v_fma_mixlo_f16 v74, v65, v90, 0 op_sel:[0,1,0] op_sel_hi:[0,1,0]
	v_and_b32_e32 v0, 0xffff, v0
	v_fma_mixlo_f16 v77, v65, v8, 0 op_sel_hi:[0,1,0]
	v_or_b32_e32 v8, v90, v91
	v_fma_mixlo_f16 v90, v65, v88, 0 op_sel:[0,1,0] op_sel_hi:[0,1,0]
	v_fma_mixlo_f16 v75, v65, v8, 0 op_sel_hi:[0,1,0]
	v_or_b32_e32 v8, v88, v89
	v_fma_mixlo_f16 v88, v65, v104, 0 op_sel:[0,1,0] op_sel_hi:[0,1,0]
	;; [unrolled: 3-line block ×7, first 2 shown]
	v_fma_mixlo_f16 v109, v65, v8, 0 op_sel_hi:[0,1,0]
	v_or_b32_e32 v8, v19, v26
	v_fma_mixlo_f16 v19, v65, v1, 0 op_sel_hi:[0,1,0]
	v_or_b32_e32 v1, v24, v25
	v_fma_mixlo_f16 v26, v65, v24, 0 op_sel:[0,1,0] op_sel_hi:[0,1,0]
	v_fma_mixlo_f16 v24, v65, v33, 0 op_sel:[0,1,0] op_sel_hi:[0,1,0]
	v_fma_mixlo_f16 v125, v65, v8, 0 op_sel_hi:[0,1,0]
	v_or_b32_e32 v8, v30, v34
	v_fma_mixlo_f16 v30, v65, v3, 0 op_sel_hi:[0,1,0]
	v_or_b32_e32 v3, v7, v6
	v_or_b32_e32 v6, v28, v32
	v_fma_mixlo_f16 v34, v65, v2, 0 op_sel:[0,1,0] op_sel_hi:[0,1,0]
	v_fma_mixlo_f16 v123, v65, v8, 0 op_sel_hi:[0,1,0]
	v_or_b32_e32 v8, v120, v121
	v_or_b32_e32 v2, v11, v10
	v_fma_mixlo_f16 v1, v65, v1, 0 op_sel_hi:[0,1,0]
	v_fma_mixlo_f16 v11, v65, v11, 0 op_sel:[0,1,0] op_sel_hi:[0,1,0]
	v_fma_mixlo_f16 v3, v65, v3, 0 op_sel_hi:[0,1,0]
	v_fma_mixlo_f16 v121, v65, v8, 0 op_sel_hi:[0,1,0]
	v_or_b32_e32 v8, v126, v127
	v_fma_mixlo_f16 v10, v65, v2, 0 op_sel_hi:[0,1,0]
	v_fma_mixlo_f16 v2, v65, v7, 0 op_sel:[0,1,0] op_sel_hi:[0,1,0]
	v_fma_mixlo_f16 v7, v65, v6, 0 op_sel_hi:[0,1,0]
	v_fma_mixlo_f16 v6, v65, v28, 0 op_sel:[0,1,0] op_sel_hi:[0,1,0]
	v_fma_mixlo_f16 v32, v65, v8, 0 op_sel_hi:[0,1,0]
	v_or_b32_e32 v8, v92, v93
	v_fma_mixlo_f16 v28, v65, v126, 0 op_sel:[0,1,0] op_sel_hi:[0,1,0]
	v_fma_mixlo_f16 v126, v65, v92, 0 op_sel:[0,1,0] op_sel_hi:[0,1,0]
	;; [unrolled: 1-line block ×4, first 2 shown]
	v_fma_mixlo_f16 v127, v65, v8, 0 op_sel_hi:[0,1,0]
	v_or_b32_e32 v8, v106, v107
	v_fma_mixlo_f16 v106, v65, v72, 0 op_sel:[0,1,0] op_sel_hi:[0,1,0]
	v_and_b32_e32 v3, 0xffff, v3
	v_and_b32_e32 v2, 0xffff, v2
	;; [unrolled: 1-line block ×3, first 2 shown]
	v_fma_mixlo_f16 v93, v65, v8, 0 op_sel_hi:[0,1,0]
	v_or_b32_e32 v8, v72, v73
	v_fma_mixlo_f16 v72, v65, v78, 0 op_sel:[0,1,0] op_sel_hi:[0,1,0]
	v_fma_mixlo_f16 v107, v65, v8, 0 op_sel_hi:[0,1,0]
	v_or_b32_e32 v8, v78, v79
	v_fma_mixlo_f16 v78, v65, v58, 0 op_sel:[0,1,0] op_sel_hi:[0,1,0]
	;; [unrolled: 3-line block ×23, first 2 shown]
	v_fma_mixlo_f16 v81, v65, v8, 0 op_sel_hi:[0,1,0]
	v_or_b32_e32 v8, v68, v69
	v_fma_mixlo_f16 v67, v65, v8, 0 op_sel_hi:[0,1,0]
	v_or_b32_e32 v8, v33, v37
	;; [unrolled: 2-line block ×3, first 2 shown]
	ds_read_b64 v[36:37], v48
	v_fma_mixlo_f16 v12, v65, v8, 0 op_sel_hi:[0,1,0]
	v_fma_mixlo_f16 v8, v65, v27, 0 op_sel:[0,1,0] op_sel_hi:[0,1,0]
	s_waitcnt lgkmcnt(0)
	v_lshrrev_b32_e32 v4, 16, v36
	v_and_b32_e32 v5, 0xffff, v36
	;;#ASMSTART
	v_cvt_f32_f16 v27, v5;
	;;#ASMEND
	;;#ASMSTART
	v_cvt_f32_f16 v33, v4;
	;;#ASMEND
	v_and_b32_e32 v4, 0xffff, v81
	;;#ASMSTART
	v_cvt_f32_f16 v68, v4;
	;;#ASMEND
	v_and_b32_e32 v4, 0xffff, v80
	;;#ASMSTART
	v_cvt_f32_f16 v69, v4;
	;;#ASMEND
	v_lshrrev_b32_e32 v4, 16, v37
	v_and_b32_e32 v5, 0xffff, v37
	;;#ASMSTART
	v_cvt_f32_f16 v80, v5;
	;;#ASMEND
	;;#ASMSTART
	v_cvt_f32_f16 v81, v4;
	;;#ASMEND
	v_and_b32_e32 v4, 0xffff, v67
	;;#ASMSTART
	v_cvt_f32_f16 v9, v4;
	;;#ASMEND
	v_and_b32_e32 v4, 0xffff, v66
	;;#ASMSTART
	v_cvt_f32_f16 v4, v4;
	;;#ASMEND
	ds_read_b64 v[36:37], v48 offset:8
	v_and_b32_e32 v66, 0xffff, v84
	s_waitcnt lgkmcnt(0)
	v_lshrrev_b32_e32 v65, 16, v36
	v_and_b32_e32 v5, 0xffff, v36
	;;#ASMSTART
	v_cvt_f32_f16 v5, v5;
	;;#ASMEND
	;;#ASMSTART
	v_cvt_f32_f16 v36, v65;
	;;#ASMEND
	v_and_b32_e32 v65, 0xffff, v85
	;;#ASMSTART
	v_cvt_f32_f16 v65, v65;
	;;#ASMEND
	;;#ASMSTART
	v_cvt_f32_f16 v66, v66;
	;;#ASMEND
	v_mul_f32_e32 v65, v5, v65
	v_mul_f32_e32 v66, v36, v66
	v_and_b32_e32 v5, 0xffff, v37
	v_and_b32_e32 v36, 0xffff, v70
	;;#ASMSTART
	v_cvt_f32_f16 v5, v5;
	;;#ASMEND
	v_fmac_f32_e32 v65, v27, v68
	v_fmac_f32_e32 v66, v33, v69
	v_lshrrev_b32_e32 v27, 16, v37
	v_and_b32_e32 v33, 0xffff, v71
	;;#ASMSTART
	v_cvt_f32_f16 v27, v27;
	;;#ASMEND
	;;#ASMSTART
	v_cvt_f32_f16 v33, v33;
	;;#ASMEND
	;; [unrolled: 3-line block ×3, first 2 shown]
	v_mul_f32_e32 v68, v27, v36
	ds_read_b64 v[36:37], v48 offset:16
	v_mul_f32_e32 v67, v5, v33
	v_and_b32_e32 v27, 0xffff, v96
	v_fmac_f32_e32 v68, v81, v4
	v_fmac_f32_e32 v67, v80, v9
	v_and_b32_e32 v9, 0xffff, v97
	s_waitcnt lgkmcnt(0)
	v_lshrrev_b32_e32 v5, 16, v36
	v_and_b32_e32 v4, 0xffff, v36
	;;#ASMSTART
	v_cvt_f32_f16 v4, v4;
	;;#ASMEND
	;;#ASMSTART
	v_cvt_f32_f16 v5, v5;
	;;#ASMEND
	;;#ASMSTART
	v_cvt_f32_f16 v9, v9;
	;;#ASMEND
	;;#ASMSTART
	v_cvt_f32_f16 v27, v27;
	;;#ASMEND
	v_fmac_f32_e32 v65, v4, v9
	v_fmac_f32_e32 v66, v5, v27
	v_lshrrev_b32_e32 v5, 16, v37
	v_and_b32_e32 v4, 0xffff, v37
	v_and_b32_e32 v9, 0xffff, v83
	v_and_b32_e32 v27, 0xffff, v82
	;;#ASMSTART
	v_cvt_f32_f16 v4, v4;
	;;#ASMEND
	;;#ASMSTART
	v_cvt_f32_f16 v5, v5;
	;;#ASMEND
	;;#ASMSTART
	v_cvt_f32_f16 v9, v9;
	;;#ASMEND
	;;#ASMSTART
	v_cvt_f32_f16 v27, v27;
	;;#ASMEND
	ds_read_b64 v[36:37], v48 offset:24
	v_fmac_f32_e32 v67, v4, v9
	v_fmac_f32_e32 v68, v5, v27
	v_and_b32_e32 v9, 0xffff, v101
	v_and_b32_e32 v27, 0xffff, v100
	s_waitcnt lgkmcnt(0)
	v_lshrrev_b32_e32 v5, 16, v36
	v_and_b32_e32 v4, 0xffff, v36
	;;#ASMSTART
	v_cvt_f32_f16 v4, v4;
	;;#ASMEND
	;;#ASMSTART
	v_cvt_f32_f16 v5, v5;
	;;#ASMEND
	;;#ASMSTART
	v_cvt_f32_f16 v9, v9;
	;;#ASMEND
	;;#ASMSTART
	v_cvt_f32_f16 v27, v27;
	;;#ASMEND
	v_fmac_f32_e32 v65, v4, v9
	v_fmac_f32_e32 v66, v5, v27
	v_lshrrev_b32_e32 v5, 16, v37
	v_and_b32_e32 v4, 0xffff, v37
	v_and_b32_e32 v9, 0xffff, v87
	v_and_b32_e32 v27, 0xffff, v86
	;;#ASMSTART
	v_cvt_f32_f16 v4, v4;
	;;#ASMEND
	;;#ASMSTART
	v_cvt_f32_f16 v5, v5;
	;;#ASMEND
	;;#ASMSTART
	v_cvt_f32_f16 v9, v9;
	;;#ASMEND
	;;#ASMSTART
	v_cvt_f32_f16 v27, v27;
	;;#ASMEND
	ds_read_b64 v[36:37], v48 offset:32
	v_fmac_f32_e32 v67, v4, v9
	v_fmac_f32_e32 v68, v5, v27
	v_and_b32_e32 v9, 0xffff, v113
	;; [unrolled: 38-line block ×11, first 2 shown]
	v_and_b32_e32 v27, 0xffff, v120
	s_waitcnt lgkmcnt(0)
	v_lshrrev_b32_e32 v5, 16, v36
	v_and_b32_e32 v4, 0xffff, v36
	;;#ASMSTART
	v_cvt_f32_f16 v4, v4;
	;;#ASMEND
	;;#ASMSTART
	v_cvt_f32_f16 v5, v5;
	;;#ASMEND
	;; [unrolled: 3-line block ×4, first 2 shown]
	v_fmac_f32_e32 v65, v4, v9
	v_fmac_f32_e32 v66, v5, v27
	v_lshrrev_b32_e32 v5, 16, v37
	v_and_b32_e32 v4, 0xffff, v37
	v_and_b32_e32 v9, 0xffff, v32
	;; [unrolled: 1-line block ×3, first 2 shown]
	;;#ASMSTART
	v_cvt_f32_f16 v4, v4;
	;;#ASMEND
	;;#ASMSTART
	v_cvt_f32_f16 v5, v5;
	;;#ASMEND
	;; [unrolled: 3-line block ×4, first 2 shown]
	v_fmac_f32_e32 v68, v5, v27
	ds_read_b64 v[27:28], v48 offset:112
	v_fmac_f32_e32 v67, v4, v9
	s_waitcnt lgkmcnt(0)
	v_lshrrev_b32_e32 v5, 16, v27
	v_and_b32_e32 v4, 0xffff, v27
	;;#ASMSTART
	v_cvt_f32_f16 v4, v4;
	;;#ASMEND
	;;#ASMSTART
	v_cvt_f32_f16 v5, v5;
	;;#ASMEND
	;; [unrolled: 3-line block ×4, first 2 shown]
	v_fmac_f32_e32 v65, v4, v3
	v_fmac_f32_e32 v66, v5, v2
	v_lshrrev_b32_e32 v3, 16, v28
	v_and_b32_e32 v2, 0xffff, v28
	;;#ASMSTART
	v_cvt_f32_f16 v2, v2;
	;;#ASMEND
	;;#ASMSTART
	v_cvt_f32_f16 v3, v3;
	;;#ASMEND
	v_and_b32_e32 v4, 0xffff, v7
	v_and_b32_e32 v5, 0xffff, v6
	;;#ASMSTART
	v_cvt_f32_f16 v4, v4;
	;;#ASMEND
	;;#ASMSTART
	v_cvt_f32_f16 v5, v5;
	;;#ASMEND
	v_fmac_f32_e32 v67, v2, v4
	v_fmac_f32_e32 v68, v3, v5
	ds_read_b64 v[2:3], v48 offset:120
	v_and_b32_e32 v5, 0xffff, v30
	v_and_b32_e32 v6, 0xffff, v34
	s_waitcnt lgkmcnt(0)
	v_lshrrev_b32_e32 v4, 16, v2
	v_and_b32_e32 v2, 0xffff, v2
	;;#ASMSTART
	v_cvt_f32_f16 v2, v2;
	;;#ASMEND
	;;#ASMSTART
	v_cvt_f32_f16 v4, v4;
	;;#ASMEND
	;; [unrolled: 3-line block ×4, first 2 shown]
	v_fmac_f32_e32 v65, v2, v5
	v_fmac_f32_e32 v66, v4, v6
	v_lshrrev_b32_e32 v4, 16, v3
	v_and_b32_e32 v2, 0xffff, v3
	;;#ASMSTART
	v_cvt_f32_f16 v2, v2;
	;;#ASMEND
	;;#ASMSTART
	v_cvt_f32_f16 v3, v4;
	;;#ASMEND
	v_and_b32_e32 v4, 0xffff, v10
	v_and_b32_e32 v5, 0xffff, v11
	;;#ASMSTART
	v_cvt_f32_f16 v4, v4;
	;;#ASMEND
	;;#ASMSTART
	v_cvt_f32_f16 v5, v5;
	;;#ASMEND
	v_fmac_f32_e32 v67, v2, v4
	v_fmac_f32_e32 v68, v3, v5
	ds_read_b64 v[2:3], v48 offset:128
	v_and_b32_e32 v5, 0xffff, v19
	s_waitcnt lgkmcnt(0)
	v_lshrrev_b32_e32 v4, 16, v2
	v_and_b32_e32 v2, 0xffff, v2
	;;#ASMSTART
	v_cvt_f32_f16 v2, v2;
	;;#ASMEND
	;;#ASMSTART
	v_cvt_f32_f16 v4, v4;
	;;#ASMEND
	;; [unrolled: 3-line block ×4, first 2 shown]
	v_fmac_f32_e32 v65, v2, v5
	v_fmac_f32_e32 v66, v4, v0
	v_lshrrev_b32_e32 v2, 16, v3
	v_and_b32_e32 v0, 0xffff, v3
	;;#ASMSTART
	v_cvt_f32_f16 v0, v0;
	;;#ASMEND
	;;#ASMSTART
	v_cvt_f32_f16 v2, v2;
	;;#ASMEND
	;;#ASMSTART
	v_cvt_f32_f16 v1, v1;
	;;#ASMEND
	v_and_b32_e32 v3, 0xffff, v26
	;;#ASMSTART
	v_cvt_f32_f16 v3, v3;
	;;#ASMEND
	v_fmac_f32_e32 v67, v0, v1
	ds_read_b64 v[0:1], v48 offset:136
	v_fmac_f32_e32 v68, v2, v3
	v_and_b32_e32 v3, 0xffff, v125
	v_and_b32_e32 v4, 0xffff, v124
	s_waitcnt lgkmcnt(0)
	v_lshrrev_b32_e32 v2, 16, v0
	v_and_b32_e32 v0, 0xffff, v0
	;;#ASMSTART
	v_cvt_f32_f16 v0, v0;
	;;#ASMEND
	;;#ASMSTART
	v_cvt_f32_f16 v2, v2;
	;;#ASMEND
	;;#ASMSTART
	v_cvt_f32_f16 v3, v3;
	;;#ASMEND
	;;#ASMSTART
	v_cvt_f32_f16 v4, v4;
	;;#ASMEND
	v_fmac_f32_e32 v65, v0, v3
	v_fmac_f32_e32 v66, v2, v4
	v_lshrrev_b32_e32 v2, 16, v1
	v_and_b32_e32 v0, 0xffff, v1
	;;#ASMSTART
	v_cvt_f32_f16 v0, v0;
	;;#ASMEND
	;;#ASMSTART
	v_cvt_f32_f16 v1, v2;
	;;#ASMEND
	v_and_b32_e32 v2, 0xffff, v123
	v_and_b32_e32 v3, 0xffff, v122
	;;#ASMSTART
	v_cvt_f32_f16 v2, v2;
	;;#ASMEND
	;;#ASMSTART
	v_cvt_f32_f16 v3, v3;
	;;#ASMEND
	v_fmac_f32_e32 v67, v0, v2
	v_fmac_f32_e32 v68, v1, v3
	ds_read_b64 v[0:1], v48 offset:144
	v_and_b32_e32 v3, 0xffff, v111
	v_and_b32_e32 v4, 0xffff, v110
	s_waitcnt lgkmcnt(0)
	v_lshrrev_b32_e32 v2, 16, v0
	v_and_b32_e32 v0, 0xffff, v0
	;;#ASMSTART
	v_cvt_f32_f16 v0, v0;
	;;#ASMEND
	;;#ASMSTART
	v_cvt_f32_f16 v2, v2;
	;;#ASMEND
	;;#ASMSTART
	v_cvt_f32_f16 v3, v3;
	;;#ASMEND
	;;#ASMSTART
	v_cvt_f32_f16 v4, v4;
	;;#ASMEND
	v_fmac_f32_e32 v65, v0, v3
	v_fmac_f32_e32 v66, v2, v4
	v_lshrrev_b32_e32 v2, 16, v1
	v_and_b32_e32 v0, 0xffff, v1
	;;#ASMSTART
	v_cvt_f32_f16 v0, v0;
	;;#ASMEND
	;;#ASMSTART
	v_cvt_f32_f16 v1, v2;
	;;#ASMEND
	v_and_b32_e32 v2, 0xffff, v109
	v_and_b32_e32 v3, 0xffff, v108
	;;#ASMSTART
	v_cvt_f32_f16 v2, v2;
	;;#ASMEND
	;;#ASMSTART
	v_cvt_f32_f16 v3, v3;
	;;#ASMEND
	v_fmac_f32_e32 v67, v0, v2
	v_fmac_f32_e32 v68, v1, v3
	ds_read_b64 v[0:1], v48 offset:152
	;; [unrolled: 38-line block ×6, first 2 shown]
	v_and_b32_e32 v3, 0xffff, v25
	v_and_b32_e32 v4, 0xffff, v24
	s_waitcnt lgkmcnt(0)
	v_lshrrev_b32_e32 v2, 16, v0
	v_and_b32_e32 v0, 0xffff, v0
	;;#ASMSTART
	v_cvt_f32_f16 v0, v0;
	;;#ASMEND
	;;#ASMSTART
	v_cvt_f32_f16 v2, v2;
	;;#ASMEND
	;; [unrolled: 3-line block ×4, first 2 shown]
	v_fmac_f32_e32 v65, v0, v3
	v_fmac_f32_e32 v66, v2, v4
	v_lshrrev_b32_e32 v2, 16, v1
	v_and_b32_e32 v0, 0xffff, v1
	;;#ASMSTART
	v_cvt_f32_f16 v0, v0;
	;;#ASMEND
	;;#ASMSTART
	v_cvt_f32_f16 v1, v2;
	;;#ASMEND
	v_and_b32_e32 v2, 0xffff, v12
	v_and_b32_e32 v3, 0xffff, v8
	;;#ASMSTART
	v_cvt_f32_f16 v2, v2;
	;;#ASMEND
	;;#ASMSTART
	v_cvt_f32_f16 v3, v3;
	;;#ASMEND
	v_fmac_f32_e32 v68, v1, v3
	v_xor_b32_e32 v1, 1, v35
	v_fmac_f32_e32 v67, v0, v2
	v_add_f32_e32 v0, v65, v66
	v_cmp_gt_i32_e64 s6, 32, v1
	v_add_f32_e32 v0, v0, v67
	v_cndmask_b32_e64 v1, v35, v1, s6
	v_add_f32_e32 v0, v68, v0
	v_lshlrev_b32_e32 v1, 2, v1
	ds_bpermute_b32 v1, v1, v0
	s_and_saveexec_b32 s7, vcc_lo
	s_cbranch_execz .LBB270_8
; %bb.778:                              ;   in Loop: Header=BB270_9 Depth=1
	buffer_load_dword v3, off, s[0:3], s32 offset:200 ; 4-byte Folded Reload
	v_sub_nc_u32_e32 v2, 1, v29
	s_waitcnt lgkmcnt(0)
	v_add_f32_e32 v0, v0, v1
	s_load_dword s19, s[8:9], 0x0
	v_cmp_lt_i32_e64 s6, v50, v29
	v_add_nc_u32_e32 v2, v2, v50
	v_cvt_f32_i32_e32 v2, v2
	s_waitcnt vmcnt(0)
	v_mul_f32_e32 v2, v3, v2
	v_cndmask_b32_e64 v1, 0, v2, s5
	buffer_load_dword v2, off, s[0:3], s32 offset:204 ; 4-byte Folded Reload
	s_waitcnt vmcnt(0)
	v_fmac_f32_e32 v1, v2, v0
	v_max_f32_e32 v0, v38, v38
	s_waitcnt lgkmcnt(0)
	v_add_nc_u32_e32 v2, s19, v51
	v_max_f32_e32 v0, v0, v1
	v_cndmask_b32_e64 v1, 0, v1, s6
	v_cndmask_b32_e64 v38, v38, v0, s6
	ds_write_b32 v2, v1
	s_branch .LBB270_8
.LBB270_779:
	s_or_b32 exec_lo, exec_lo, s17
	s_clause 0xc
	buffer_load_dword v30, off, s[0:3], s32 offset:220
	buffer_load_dword v40, off, s[0:3], s32 offset:224
	;; [unrolled: 1-line block ×13, first 2 shown]
	v_mov_b32_e32 v9, 32
.LBB270_780:
	s_or_b32 exec_lo, exec_lo, s15
	v_xor_b32_e32 v0, 16, v35
	s_waitcnt lgkmcnt(0)
	v_xor_b32_e32 v1, 8, v35
	v_max_f32_e32 v4, v38, v38
	v_xor_b32_e32 v5, 2, v35
	s_waitcnt vmcnt(12)
	v_and_b32_e32 v14, 31, v30
	v_cmp_lt_i32_e32 vcc_lo, v0, v9
	s_lshr_b32 s8, s18, 16
	v_cndmask_b32_e32 v0, v35, v0, vcc_lo
	v_cmp_lt_i32_e32 vcc_lo, v1, v9
	v_lshlrev_b32_e32 v2, 2, v0
	v_cndmask_b32_e32 v1, v35, v1, vcc_lo
	ds_bpermute_b32 v0, v2, v38
	v_lshlrev_b32_e32 v3, 2, v1
	s_waitcnt lgkmcnt(0)
	v_max_f32_e32 v0, v0, v0
	v_max_f32_e32 v0, v4, v0
	v_xor_b32_e32 v4, 4, v35
	ds_bpermute_b32 v1, v3, v0
	v_cmp_lt_i32_e32 vcc_lo, v4, v9
	v_cndmask_b32_e32 v4, v35, v4, vcc_lo
	v_cmp_lt_i32_e32 vcc_lo, v5, v9
	v_lshlrev_b32_e32 v4, 2, v4
	v_cndmask_b32_e32 v5, v35, v5, vcc_lo
	v_cmp_eq_u32_e32 vcc_lo, 0, v14
	s_waitcnt lgkmcnt(0)
	v_max_f32_e32 v1, v1, v1
	v_max_f32_e32 v0, v0, v1
	ds_bpermute_b32 v1, v4, v0
	s_waitcnt lgkmcnt(0)
	v_max_f32_e32 v1, v1, v1
	v_max_f32_e32 v0, v0, v1
	v_lshlrev_b32_e32 v1, 2, v5
	s_waitcnt vmcnt(10)
	v_lshlrev_b32_e32 v5, 2, v64
	ds_bpermute_b32 v6, v1, v0
	s_and_saveexec_b32 s5, vcc_lo
	s_cbranch_execz .LBB270_782
; %bb.781:
	s_waitcnt lgkmcnt(0)
	v_max_f32_e32 v6, v6, v6
	v_max_f32_e32 v0, v0, v0
	;; [unrolled: 1-line block ×3, first 2 shown]
	ds_write_b32 v5, v0 offset:384
.LBB270_782:
	s_or_b32 exec_lo, exec_lo, s5
	v_cmp_gt_u32_e64 s5, 4, v14
	v_mov_b32_e32 v0, 0xff7fffff
	s_waitcnt lgkmcnt(0)
	v_lshlrev_b32_e32 v6, 2, v14
	s_waitcnt vmcnt(0)
	s_waitcnt_vscnt null, 0x0
	s_barrier
	buffer_gl0_inv
	s_and_saveexec_b32 s6, s5
; %bb.783:
	ds_read_b32 v0, v6 offset:384
; %bb.784:
	s_or_b32 exec_lo, exec_lo, s6
	s_waitcnt lgkmcnt(0)
	ds_bpermute_b32 v7, v1, v0
	v_xor_b32_e32 v8, 1, v35
	v_max_f32_e32 v0, v0, v0
	v_cmp_lt_i32_e64 s6, v8, v9
	v_cndmask_b32_e64 v8, v35, v8, s6
	v_lshlrev_b32_e32 v15, 2, v8
	v_mov_b32_e32 v8, 0
	s_waitcnt lgkmcnt(0)
	v_max_f32_e32 v7, v7, v7
	v_max_f32_e32 v0, v0, v7
	ds_bpermute_b32 v7, v15, v0
	s_waitcnt lgkmcnt(0)
	v_max_f32_e32 v7, v7, v7
	v_max_f32_e32 v0, v0, v7
	v_lshlrev_b32_e32 v7, 2, v13
	ds_bpermute_b32 v7, v7, v0
	v_lshlrev_b32_e32 v0, 4, v31
	v_min_i32_e32 v0, v0, v29
	v_cmp_lt_i32_e64 s6, v30, v0
	s_and_saveexec_b32 s9, s6
	s_cbranch_execz .LBB270_788
; %bb.785:
	s_getpc_b64 s[18:19]
	s_add_u32 s18, s18, llvm.amdgcn.dynlds.offset.table@rel32@lo+4
	s_addc_u32 s19, s19, llvm.amdgcn.dynlds.offset.table@rel32@hi+12
	s_ashr_i32 s17, s16, 31
	v_mov_b32_e32 v8, 0
	s_lshl_b64 s[20:21], s[16:17], 2
	v_mov_b32_e32 v13, v30
	s_add_u32 s18, s18, s20
	s_addc_u32 s19, s19, s21
	s_mov_b32 s15, 0
	s_load_dword s7, s[18:19], 0x0
	s_waitcnt lgkmcnt(0)
	v_lshl_add_u32 v9, v30, 2, s7
	.p2align	6
.LBB270_786:                            ; =>This Inner Loop Header: Depth=1
	ds_read_b32 v12, v9
	v_add_nc_u32_e32 v13, 0x80, v13
	v_cmp_ge_i32_e64 s7, v13, v0
	s_or_b32 s15, s7, s15
	s_waitcnt lgkmcnt(0)
	v_sub_f32_e32 v12, v12, v7
	v_mul_f32_e32 v12, 0x3fb8aa3b, v12
	v_exp_f32_e32 v12, v12
	ds_write_b32 v9, v12
	v_add_f32_e32 v8, v8, v12
	v_add_nc_u32_e32 v9, 0x200, v9
	s_andn2_b32 exec_lo, exec_lo, s15
	s_cbranch_execnz .LBB270_786
; %bb.787:
	s_or_b32 exec_lo, exec_lo, s15
.LBB270_788:
	s_or_b32 exec_lo, exec_lo, s9
	ds_bpermute_b32 v2, v2, v8
	s_waitcnt lgkmcnt(0)
	v_add_f32_e32 v2, v8, v2
	ds_bpermute_b32 v3, v3, v2
	s_waitcnt lgkmcnt(0)
	v_add_f32_e32 v2, v2, v3
	;; [unrolled: 3-line block ×5, first 2 shown]
	s_and_saveexec_b32 s7, vcc_lo
; %bb.789:
	ds_write_b32 v5, v2 offset:400
; %bb.790:
	s_or_b32 exec_lo, exec_lo, s7
	s_waitcnt lgkmcnt(0)
	s_barrier
	buffer_gl0_inv
	s_and_saveexec_b32 s7, s5
; %bb.791:
	ds_read_b32 v2, v6 offset:400
; %bb.792:
	s_or_b32 exec_lo, exec_lo, s7
	s_waitcnt lgkmcnt(0)
	ds_bpermute_b32 v1, v1, v2
	v_lshlrev_b32_e32 v3, 2, v35
	s_waitcnt lgkmcnt(0)
	v_add_f32_e32 v1, v2, v1
	ds_bpermute_b32 v2, v15, v1
	s_waitcnt lgkmcnt(0)
	v_add_f32_e32 v1, v1, v2
	v_and_b32_e32 v2, 0xffffff80, v3
	ds_bpermute_b32 v1, v2, v1
	s_and_saveexec_b32 s5, s6
	s_cbranch_execz .LBB270_795
; %bb.793:
	s_waitcnt lgkmcnt(0)
	v_add_f32_e32 v2, 0x358637bd, v1
	s_getpc_b64 s[6:7]
	s_add_u32 s6, s6, llvm.amdgcn.dynlds.offset.table@rel32@lo+4
	s_addc_u32 s7, s7, llvm.amdgcn.dynlds.offset.table@rel32@hi+12
	s_ashr_i32 s17, s16, 31
	s_lshl_b64 s[18:19], s[16:17], 2
	v_div_scale_f32 v1, null, v2, v2, 1.0
	v_div_scale_f32 v5, vcc_lo, 1.0, v2, 1.0
	s_add_u32 s6, s6, s18
	v_rcp_f32_e32 v3, v1
	s_addc_u32 s7, s7, s19
	s_load_dword s6, s[6:7], 0x0
	v_fma_f32 v4, -v1, v3, 1.0
	v_fmac_f32_e32 v3, v4, v3
	v_mul_f32_e32 v4, v5, v3
	v_fma_f32 v6, -v1, v4, v5
	v_fmac_f32_e32 v4, v6, v3
	v_fma_f32 v1, -v1, v4, v5
	v_div_fmas_f32 v3, v1, v3, v4
	s_waitcnt lgkmcnt(0)
	v_lshl_add_u32 v1, v30, 2, s6
	s_mov_b32 s6, 0
	v_div_fixup_f32 v2, v3, v2, 1.0
	v_mov_b32_e32 v3, v30
.LBB270_794:                            ; =>This Inner Loop Header: Depth=1
	ds_read_b32 v4, v1
	v_add_nc_u32_e32 v3, 0x80, v3
	v_cmp_ge_i32_e32 vcc_lo, v3, v0
	s_or_b32 s6, vcc_lo, s6
	s_waitcnt lgkmcnt(0)
	v_mul_f32_e32 v4, v2, v4
	ds_write_b32 v1, v4
	v_add_nc_u32_e32 v1, 0x200, v1
	s_andn2_b32 exec_lo, exec_lo, s6
	s_cbranch_execnz .LBB270_794
.LBB270_795:
	s_or_b32 exec_lo, exec_lo, s5
	s_waitcnt lgkmcnt(0)
	s_barrier
	buffer_gl0_inv
	s_and_saveexec_b32 s5, s4
	s_xor_b32 s4, exec_lo, s5
; %bb.796:
	s_ashr_i32 s17, s16, 31
                                        ; implicit-def: $vgpr29
                                        ; implicit-def: $vgpr31
                                        ; implicit-def: $vgpr27
                                        ; implicit-def: $vgpr26
                                        ; implicit-def: $vgpr10
                                        ; implicit-def: $vgpr11
                                        ; implicit-def: $vgpr18
                                        ; implicit-def: $vgpr22_vgpr23
                                        ; implicit-def: $vgpr32
                                        ; implicit-def: $vgpr48
                                        ; implicit-def: $vgpr19
                                        ; implicit-def: $vgpr33_vgpr34
                                        ; implicit-def: $vgpr28
; %bb.797:
	s_or_saveexec_b32 s5, s4
	v_mov_b32_e32 v4, s16
	v_mov_b32_e32 v37, 0
	;; [unrolled: 1-line block ×14, first 2 shown]
	s_xor_b32 exec_lo, exec_lo, s5
	s_cbranch_execz .LBB270_1593
; %bb.798:
	s_ashr_i32 s17, s16, 31
	s_getpc_b64 s[6:7]
	s_add_u32 s6, s6, llvm.amdgcn.dynlds.offset.table@rel32@lo+4
	s_addc_u32 s7, s7, llvm.amdgcn.dynlds.offset.table@rel32@hi+12
	s_lshl_b64 s[18:19], s[16:17], 2
	v_add_co_u32 v1, vcc_lo, v27, v32
	s_add_u32 s6, s6, s18
	s_addc_u32 s7, s7, s19
	v_and_b32_e32 v3, 0xf8, v28
	s_load_dword s4, s[6:7], 0x0
	v_and_b32_e32 v8, 1, v30
	v_add_co_ci_u32_e64 v2, null, v26, v48, vcc_lo
	v_and_b32_e32 v7, 0x7c, v19
	v_add_co_u32 v5, vcc_lo, v1, v3
	v_lshlrev_b32_e32 v1, 5, v8
	v_add_co_ci_u32_e64 v6, null, 0, v2, vcc_lo
	v_add_co_u32 v2, vcc_lo, v7, v33
	v_and_b32_e32 v0, 8, v28
	v_add_co_ci_u32_e64 v3, null, 0, v34, vcc_lo
	v_lshlrev_b32_e32 v9, 4, v64
	v_lshl_or_b32 v1, v64, 6, v1
	v_add_co_u32 v7, vcc_lo, v10, v2
	v_add_nc_u32_e32 v32, -1, v31
	v_mov_b32_e32 v4, 0
	v_mov_b32_e32 v119, v30
	v_add_co_ci_u32_e64 v8, null, v11, v3, vcc_lo
	v_or3_b32 v19, v9, v0, 7
	s_waitcnt lgkmcnt(0)
	v_add_nc_u32_e32 v33, s4, v1
	v_mov_b32_e32 v34, 0x80
	v_mov_b32_e32 v48, 0x7f
	;; [unrolled: 1-line block ×18, first 2 shown]
	s_mov_b32 s6, -1
	s_mov_b32 s7, 0xffffff
	s_mov_b32 s9, 0
	s_branch .LBB270_800
.LBB270_799:                            ;   in Loop: Header=BB270_800 Depth=1
	s_or_b32 exec_lo, exec_lo, s4
	v_add_f32_e32 v0, v0, v1
	v_add_f32_e32 v1, v99, v100
	;; [unrolled: 1-line block ×6, first 2 shown]
	;;#ASMSTART
	v_pk_mul_f16 v0, v68, v10;

	;;#ASMEND
	v_add_f32_e32 v24, v24, v1
	;;#ASMSTART
	v_pk_mul_f16 v1, v65, v2;

	;;#ASMEND
	;;#ASMSTART
	v_pk_mul_f16 v2, v55, v9;

	;;#ASMEND
	;; [unrolled: 4-line block ×3, first 2 shown]
	;;#ASMSTART
	v_pk_add_f16 v0, v0, v1;

	;;#ASMEND
	;;#ASMSTART
	v_pk_add_f16 v0, v0, v2;

	;;#ASMEND
	;; [unrolled: 4-line block ×3, first 2 shown]
	v_and_b32_e32 v3, 0xffff, v0
	v_add_nc_u32_e32 v51, 4, v51
	v_lshrrev_b32_e32 v9, 16, v0
	;;#ASMSTART
	v_cvt_f32_f16 v3, v3;
	;;#ASMEND
	v_add_f32_e32 v16, v16, v11
	v_add_f32_e32 v17, v17, v12
	v_add_f32_e32 v20, v20, v26
	v_add_f32_e32 v11, v97, v98
	v_add_f32_e32 v12, v87, v96
	v_add_f32_e32 v26, v85, v86
	v_add_f32_e32 v0, v83, v84
	v_add_f32_e32 v1, v81, v82
	v_add_f32_e32 v2, v67, v70
	;;#ASMSTART
	v_cvt_f32_f16 v9, v9;
	;;#ASMEND
	v_add_f32_e32 v3, v3, v9
	v_cmp_ge_i32_e32 vcc_lo, v51, v31
	v_add_co_u32 v7, s4, v7, 16
	v_add_f32_e32 v25, v25, v11
	v_add_f32_e32 v35, v35, v12
	;; [unrolled: 1-line block ×7, first 2 shown]
	v_add_co_ci_u32_e64 v8, null, 0, v8, s4
	v_add_nc_u32_e32 v19, 64, v19
	v_add_nc_u32_e32 v33, 0x100, v33
	s_or_b32 s9, vcc_lo, s9
	s_andn2_b32 exec_lo, exec_lo, s9
	s_cbranch_execz .LBB270_1592
.LBB270_800:                            ; =>This Inner Loop Header: Depth=1
	flat_load_dword v9, v[7:8]
	ds_read2_b64 v[0:3], v33 offset1:1
	ds_read2_b64 v[64:67], v33 offset0:2 offset1:3
	s_waitcnt lgkmcnt(1)
	;;#ASMSTART
	v_cvt_f16_f32 v0, v0;

	;;#ASMEND
	;;#ASMSTART
	v_cvt_f16_f32 v1, v1;

	;;#ASMEND
	;; [unrolled: 4-line block ×4, first 2 shown]
	s_waitcnt lgkmcnt(0)
	;;#ASMSTART
	v_cvt_f16_f32 v55, v64;

	;;#ASMEND
	;;#ASMSTART
	v_cvt_f16_f32 v28, v65;

	;;#ASMEND
	;; [unrolled: 4-line block ×4, first 2 shown]
	v_mov_b32_e32 v64, 0
	s_waitcnt vmcnt(0)
	v_mad_i64_i32 v[9:10], null, v9, v18, v[5:6]
	flat_load_dwordx2 v[11:12], v[9:10]
	flat_load_dword v53, v[22:23]
	s_waitcnt vmcnt(1) lgkmcnt(1)
	v_cmp_ne_u16_sdwa s15, v11, v4 src0_sel:BYTE_0 src1_sel:DWORD
	s_and_saveexec_b32 s4, s15
	s_cbranch_execz .LBB270_808
; %bb.801:                              ;   in Loop: Header=BB270_800 Depth=1
	v_cmp_ne_u16_sdwa s18, v11, v34 src0_sel:BYTE_0 src1_sel:DWORD
	v_mov_b32_e32 v64, 0x8000
	s_and_saveexec_b32 s15, s18
	s_cbranch_execz .LBB270_807
; %bb.802:                              ;   in Loop: Header=BB270_800 Depth=1
	v_and_b32_e32 v27, 0x7f, v11
	v_mov_b32_e32 v64, 0x7c01
	s_mov_b32 s18, exec_lo
	v_cmpx_ne_u32_e32 0x7f, v27
	s_cbranch_execz .LBB270_806
; %bb.803:                              ;   in Loop: Header=BB270_800 Depth=1
	v_and_b32_e32 v2, 7, v11
	v_lshrrev_b32_e32 v3, 3, v27
	s_mov_b32 s19, exec_lo
	v_cmpx_gt_u32_e32 8, v27
; %bb.804:                              ;   in Loop: Header=BB270_800 Depth=1
	v_ffbh_u32_e32 v2, v2
	v_min_u32_e32 v27, 32, v2
	v_subrev_nc_u32_e32 v2, 28, v27
	v_lshlrev_b64 v[2:3], v2, v[11:12]
	v_sub_nc_u32_e32 v3, 29, v27
	v_and_b32_e32 v2, 7, v2
; %bb.805:                              ;   in Loop: Header=BB270_800 Depth=1
	s_or_b32 exec_lo, exec_lo, s19
	v_lshlrev_b32_e32 v27, 8, v11
	v_lshl_add_u32 v3, v3, 10, 0x2000
	v_lshlrev_b32_e32 v2, 7, v2
	v_and_b32_e32 v27, 0x8000, v27
	v_and_b32_e32 v3, 0xfc00, v3
	v_or3_b32 v64, v27, v3, v2
.LBB270_806:                            ;   in Loop: Header=BB270_800 Depth=1
	s_or_b32 exec_lo, exec_lo, s18
.LBB270_807:                            ;   in Loop: Header=BB270_800 Depth=1
	s_or_b32 exec_lo, exec_lo, s15
.LBB270_808:                            ;   in Loop: Header=BB270_800 Depth=1
	s_or_b32 exec_lo, exec_lo, s4
	v_lshrrev_b16 v3, 8, v11
	v_mov_b32_e32 v52, 0
	v_mov_b32_e32 v66, 0
	s_mov_b32 s4, exec_lo
	v_cmpx_ne_u16_e32 0, v3
	s_cbranch_execz .LBB270_816
; %bb.809:                              ;   in Loop: Header=BB270_800 Depth=1
	v_bfrev_b32_e32 v66, 1
	s_mov_b32 s15, exec_lo
	v_cmpx_ne_u16_e32 0x80, v3
	s_cbranch_execz .LBB270_815
; %bb.810:                              ;   in Loop: Header=BB270_800 Depth=1
	v_and_b32_sdwa v67, v3, v48 dst_sel:DWORD dst_unused:UNUSED_PAD src0_sel:WORD_0 src1_sel:DWORD
	v_mov_b32_e32 v66, 0x7c010000
	s_mov_b32 s18, exec_lo
	v_cmpx_ne_u32_e32 0x7f, v67
	s_cbranch_execz .LBB270_814
; %bb.811:                              ;   in Loop: Header=BB270_800 Depth=1
	v_and_b32_sdwa v2, v3, v49 dst_sel:DWORD dst_unused:UNUSED_PAD src0_sel:WORD_0 src1_sel:DWORD
	v_lshrrev_b32_e32 v27, 3, v67
	s_mov_b32 s19, exec_lo
	v_cmpx_gt_u32_e32 8, v67
; %bb.812:                              ;   in Loop: Header=BB270_800 Depth=1
	v_ffbh_u32_e32 v2, v2
	v_min_u32_e32 v2, 32, v2
	v_subrev_nc_u32_e32 v27, 28, v2
	v_lshlrev_b64 v[66:67], v27, v[3:4]
	v_sub_nc_u32_e32 v27, 29, v2
	v_and_b32_e32 v2, 7, v66
; %bb.813:                              ;   in Loop: Header=BB270_800 Depth=1
	s_or_b32 exec_lo, exec_lo, s19
	v_lshlrev_b32_sdwa v3, v50, v3 dst_sel:DWORD dst_unused:UNUSED_PAD src0_sel:DWORD src1_sel:WORD_0
	v_lshl_add_u32 v27, v27, 10, 0x2000
	v_lshlrev_b32_e32 v2, 23, v2
	v_and_or_b32 v3, 0x8000, v3, v27
	v_lshl_or_b32 v66, v3, 16, v2
.LBB270_814:                            ;   in Loop: Header=BB270_800 Depth=1
	s_or_b32 exec_lo, exec_lo, s18
.LBB270_815:                            ;   in Loop: Header=BB270_800 Depth=1
	s_or_b32 exec_lo, exec_lo, s15
.LBB270_816:                            ;   in Loop: Header=BB270_800 Depth=1
	s_or_b32 exec_lo, exec_lo, s4
	v_lshrrev_b32_e32 v2, 16, v11
	v_cmp_ne_u16_sdwa s15, v2, v4 src0_sel:BYTE_0 src1_sel:DWORD
	s_and_saveexec_b32 s4, s15
	s_cbranch_execz .LBB270_824
; %bb.817:                              ;   in Loop: Header=BB270_800 Depth=1
	v_cmp_ne_u16_sdwa s18, v2, v34 src0_sel:BYTE_0 src1_sel:DWORD
	v_mov_b32_e32 v52, 0x8000
	s_and_saveexec_b32 s15, s18
	s_cbranch_execz .LBB270_823
; %bb.818:                              ;   in Loop: Header=BB270_800 Depth=1
	v_bfe_u32 v67, v11, 16, 7
	v_mov_b32_e32 v52, 0x7c01
	s_mov_b32 s18, exec_lo
	v_cmpx_ne_u32_e32 0x7f, v67
	s_cbranch_execz .LBB270_822
; %bb.819:                              ;   in Loop: Header=BB270_800 Depth=1
	v_and_b32_e32 v3, 7, v2
	v_lshrrev_b32_e32 v27, 3, v67
	s_mov_b32 s19, exec_lo
	v_cmpx_gt_u32_e32 8, v67
; %bb.820:                              ;   in Loop: Header=BB270_800 Depth=1
	v_ffbh_u32_e32 v3, v3
	v_min_u32_e32 v3, 32, v3
	v_subrev_nc_u32_e32 v27, 28, v3
	v_lshlrev_b64 v[67:68], v27, v[2:3]
	v_sub_nc_u32_e32 v27, 29, v3
	v_and_b32_e32 v3, 7, v67
; %bb.821:                              ;   in Loop: Header=BB270_800 Depth=1
	s_or_b32 exec_lo, exec_lo, s19
	v_lshlrev_b32_e32 v2, 8, v2
	v_lshl_add_u32 v27, v27, 10, 0x2000
	v_lshlrev_b32_e32 v3, 7, v3
	v_and_b32_e32 v2, 0x8000, v2
	v_and_b32_e32 v27, 0xfc00, v27
	v_or3_b32 v52, v2, v27, v3
.LBB270_822:                            ;   in Loop: Header=BB270_800 Depth=1
	s_or_b32 exec_lo, exec_lo, s18
.LBB270_823:                            ;   in Loop: Header=BB270_800 Depth=1
	s_or_b32 exec_lo, exec_lo, s15
.LBB270_824:                            ;   in Loop: Header=BB270_800 Depth=1
	s_or_b32 exec_lo, exec_lo, s4
	v_mov_b32_e32 v67, 0
	v_mov_b32_e32 v68, 0
	s_mov_b32 s4, exec_lo
	v_cmpx_lt_u32_e32 0xffffff, v11
	s_cbranch_execz .LBB270_832
; %bb.825:                              ;   in Loop: Header=BB270_800 Depth=1
	v_lshrrev_b32_e32 v3, 24, v11
	v_bfrev_b32_e32 v68, 1
	s_mov_b32 s15, exec_lo
	v_cmpx_ne_u32_e32 0x80, v3
	s_cbranch_execz .LBB270_831
; %bb.826:                              ;   in Loop: Header=BB270_800 Depth=1
	v_and_b32_e32 v69, 0x7f, v3
	v_mov_b32_e32 v68, 0x7c010000
	s_mov_b32 s18, exec_lo
	v_cmpx_ne_u32_e32 0x7f, v69
	s_cbranch_execz .LBB270_830
; %bb.827:                              ;   in Loop: Header=BB270_800 Depth=1
	v_and_b32_e32 v2, 7, v3
	v_lshrrev_b32_e32 v27, 3, v69
	s_mov_b32 s19, exec_lo
	v_cmpx_gt_u32_e32 8, v69
; %bb.828:                              ;   in Loop: Header=BB270_800 Depth=1
	v_ffbh_u32_e32 v2, v2
	v_min_u32_e32 v2, 32, v2
	v_subrev_nc_u32_e32 v27, 28, v2
	v_lshlrev_b64 v[68:69], v27, v[3:4]
	v_sub_nc_u32_e32 v27, 29, v2
	v_and_b32_e32 v2, 7, v68
; %bb.829:                              ;   in Loop: Header=BB270_800 Depth=1
	s_or_b32 exec_lo, exec_lo, s19
	v_lshlrev_b32_e32 v3, 8, v3
	v_lshl_add_u32 v27, v27, 10, 0x2000
	v_lshlrev_b32_e32 v2, 23, v2
	v_and_or_b32 v3, 0x8000, v3, v27
	v_lshl_or_b32 v68, v3, 16, v2
.LBB270_830:                            ;   in Loop: Header=BB270_800 Depth=1
	s_or_b32 exec_lo, exec_lo, s18
.LBB270_831:                            ;   in Loop: Header=BB270_800 Depth=1
	s_or_b32 exec_lo, exec_lo, s15
.LBB270_832:                            ;   in Loop: Header=BB270_800 Depth=1
	s_or_b32 exec_lo, exec_lo, s4
	v_mov_b32_e32 v3, v12
	v_cmp_ne_u16_sdwa s15, v12, v4 src0_sel:BYTE_0 src1_sel:DWORD
	s_and_saveexec_b32 s4, s15
	s_cbranch_execz .LBB270_840
; %bb.833:                              ;   in Loop: Header=BB270_800 Depth=1
	v_cmp_ne_u16_sdwa s18, v12, v34 src0_sel:BYTE_0 src1_sel:DWORD
	v_mov_b32_e32 v67, 0x8000
	s_and_saveexec_b32 s15, s18
	s_cbranch_execz .LBB270_839
; %bb.834:                              ;   in Loop: Header=BB270_800 Depth=1
	v_and_b32_e32 v69, 0x7f, v12
	v_mov_b32_e32 v67, 0x7c01
	s_mov_b32 s18, exec_lo
	v_cmpx_ne_u32_e32 0x7f, v69
	s_cbranch_execz .LBB270_838
; %bb.835:                              ;   in Loop: Header=BB270_800 Depth=1
	v_and_b32_e32 v2, 7, v12
	v_lshrrev_b32_e32 v27, 3, v69
	s_mov_b32 s19, exec_lo
	v_cmpx_gt_u32_e32 8, v69
; %bb.836:                              ;   in Loop: Header=BB270_800 Depth=1
	v_ffbh_u32_e32 v2, v2
	v_min_u32_e32 v2, 32, v2
	v_subrev_nc_u32_e32 v27, 28, v2
	v_lshlrev_b64 v[69:70], v27, v[3:4]
	v_sub_nc_u32_e32 v27, 29, v2
	v_and_b32_e32 v2, 7, v69
; %bb.837:                              ;   in Loop: Header=BB270_800 Depth=1
	s_or_b32 exec_lo, exec_lo, s19
	v_lshlrev_b32_e32 v67, 8, v12
	v_lshl_add_u32 v27, v27, 10, 0x2000
	v_lshlrev_b32_e32 v2, 7, v2
	v_and_b32_e32 v67, 0x8000, v67
	v_and_b32_e32 v27, 0xfc00, v27
	v_or3_b32 v67, v67, v27, v2
.LBB270_838:                            ;   in Loop: Header=BB270_800 Depth=1
	s_or_b32 exec_lo, exec_lo, s18
.LBB270_839:                            ;   in Loop: Header=BB270_800 Depth=1
	s_or_b32 exec_lo, exec_lo, s15
.LBB270_840:                            ;   in Loop: Header=BB270_800 Depth=1
	s_or_b32 exec_lo, exec_lo, s4
	v_lshrrev_b16 v3, 8, v3
	v_mov_b32_e32 v69, 0
	v_mov_b32_e32 v27, 0
	s_mov_b32 s4, exec_lo
	v_cmpx_ne_u16_e32 0, v3
	s_cbranch_execz .LBB270_848
; %bb.841:                              ;   in Loop: Header=BB270_800 Depth=1
	v_bfrev_b32_e32 v27, 1
	s_mov_b32 s15, exec_lo
	v_cmpx_ne_u16_e32 0x80, v3
	s_cbranch_execz .LBB270_847
; %bb.842:                              ;   in Loop: Header=BB270_800 Depth=1
	v_and_b32_sdwa v70, v3, v48 dst_sel:DWORD dst_unused:UNUSED_PAD src0_sel:WORD_0 src1_sel:DWORD
	v_mov_b32_e32 v27, 0x7c010000
	s_mov_b32 s18, exec_lo
	v_cmpx_ne_u32_e32 0x7f, v70
	s_cbranch_execz .LBB270_846
; %bb.843:                              ;   in Loop: Header=BB270_800 Depth=1
	v_and_b32_sdwa v2, v3, v49 dst_sel:DWORD dst_unused:UNUSED_PAD src0_sel:WORD_0 src1_sel:DWORD
	v_lshrrev_b32_e32 v27, 3, v70
	s_mov_b32 s19, exec_lo
	v_cmpx_gt_u32_e32 8, v70
; %bb.844:                              ;   in Loop: Header=BB270_800 Depth=1
	v_ffbh_u32_e32 v2, v2
	v_min_u32_e32 v2, 32, v2
	v_subrev_nc_u32_e32 v27, 28, v2
	v_lshlrev_b64 v[70:71], v27, v[3:4]
	v_sub_nc_u32_e32 v27, 29, v2
	v_and_b32_e32 v2, 7, v70
; %bb.845:                              ;   in Loop: Header=BB270_800 Depth=1
	s_or_b32 exec_lo, exec_lo, s19
	v_lshlrev_b32_sdwa v3, v50, v3 dst_sel:DWORD dst_unused:UNUSED_PAD src0_sel:DWORD src1_sel:WORD_0
	v_lshl_add_u32 v27, v27, 10, 0x2000
	v_lshlrev_b32_e32 v2, 23, v2
	v_and_or_b32 v3, 0x8000, v3, v27
	v_lshl_or_b32 v27, v3, 16, v2
.LBB270_846:                            ;   in Loop: Header=BB270_800 Depth=1
	s_or_b32 exec_lo, exec_lo, s18
.LBB270_847:                            ;   in Loop: Header=BB270_800 Depth=1
	s_or_b32 exec_lo, exec_lo, s15
.LBB270_848:                            ;   in Loop: Header=BB270_800 Depth=1
	s_or_b32 exec_lo, exec_lo, s4
	v_lshrrev_b32_e32 v2, 16, v12
	v_cmp_ne_u16_sdwa s15, v2, v4 src0_sel:BYTE_0 src1_sel:DWORD
	s_and_saveexec_b32 s4, s15
	s_cbranch_execz .LBB270_856
; %bb.849:                              ;   in Loop: Header=BB270_800 Depth=1
	v_cmp_ne_u16_sdwa s18, v2, v34 src0_sel:BYTE_0 src1_sel:DWORD
	v_mov_b32_e32 v69, 0x8000
	s_and_saveexec_b32 s15, s18
	s_cbranch_execz .LBB270_855
; %bb.850:                              ;   in Loop: Header=BB270_800 Depth=1
	v_bfe_u32 v70, v12, 16, 7
	v_mov_b32_e32 v69, 0x7c01
	s_mov_b32 s18, exec_lo
	v_cmpx_ne_u32_e32 0x7f, v70
	s_cbranch_execz .LBB270_854
; %bb.851:                              ;   in Loop: Header=BB270_800 Depth=1
	v_and_b32_e32 v3, 7, v2
	v_lshrrev_b32_e32 v69, 3, v70
	s_mov_b32 s19, exec_lo
	v_cmpx_gt_u32_e32 8, v70
; %bb.852:                              ;   in Loop: Header=BB270_800 Depth=1
	v_ffbh_u32_e32 v3, v3
	v_min_u32_e32 v3, 32, v3
	v_subrev_nc_u32_e32 v69, 28, v3
	v_lshlrev_b64 v[70:71], v69, v[2:3]
	v_sub_nc_u32_e32 v69, 29, v3
	v_and_b32_e32 v3, 7, v70
; %bb.853:                              ;   in Loop: Header=BB270_800 Depth=1
	s_or_b32 exec_lo, exec_lo, s19
	v_lshlrev_b32_e32 v2, 8, v2
	v_lshl_add_u32 v69, v69, 10, 0x2000
	v_lshlrev_b32_e32 v3, 7, v3
	v_and_b32_e32 v2, 0x8000, v2
	v_and_b32_e32 v69, 0xfc00, v69
	v_or3_b32 v69, v2, v69, v3
.LBB270_854:                            ;   in Loop: Header=BB270_800 Depth=1
	s_or_b32 exec_lo, exec_lo, s18
.LBB270_855:                            ;   in Loop: Header=BB270_800 Depth=1
	s_or_b32 exec_lo, exec_lo, s15
.LBB270_856:                            ;   in Loop: Header=BB270_800 Depth=1
	s_or_b32 exec_lo, exec_lo, s4
	v_mov_b32_e32 v2, 0
	s_mov_b32 s4, exec_lo
	v_cmpx_lt_u64_e64 s[6:7], v[11:12]
	s_cbranch_execz .LBB270_864
; %bb.857:                              ;   in Loop: Header=BB270_800 Depth=1
	v_lshrrev_b32_e32 v3, 24, v12
	v_bfrev_b32_e32 v2, 1
	s_mov_b32 s15, exec_lo
	v_cmpx_ne_u32_e32 0x80, v3
	s_cbranch_execz .LBB270_863
; %bb.858:                              ;   in Loop: Header=BB270_800 Depth=1
	v_and_b32_e32 v12, 0x7f, v3
	v_mov_b32_e32 v2, 0x7c010000
	s_mov_b32 s18, exec_lo
	v_cmpx_ne_u32_e32 0x7f, v12
	s_cbranch_execz .LBB270_862
; %bb.859:                              ;   in Loop: Header=BB270_800 Depth=1
	v_and_b32_e32 v2, 7, v3
	v_lshrrev_b32_e32 v11, 3, v12
	s_mov_b32 s19, exec_lo
	v_cmpx_gt_u32_e32 8, v12
; %bb.860:                              ;   in Loop: Header=BB270_800 Depth=1
	v_ffbh_u32_e32 v2, v2
	v_min_u32_e32 v2, 32, v2
	v_subrev_nc_u32_e32 v11, 28, v2
	v_lshlrev_b64 v[70:71], v11, v[3:4]
	v_sub_nc_u32_e32 v11, 29, v2
	v_and_b32_e32 v2, 7, v70
; %bb.861:                              ;   in Loop: Header=BB270_800 Depth=1
	s_or_b32 exec_lo, exec_lo, s19
	v_lshlrev_b32_e32 v3, 8, v3
	v_lshl_add_u32 v11, v11, 10, 0x2000
	v_lshlrev_b32_e32 v2, 23, v2
	v_and_or_b32 v3, 0x8000, v3, v11
	v_lshl_or_b32 v2, v3, 16, v2
.LBB270_862:                            ;   in Loop: Header=BB270_800 Depth=1
	s_or_b32 exec_lo, exec_lo, s18
.LBB270_863:                            ;   in Loop: Header=BB270_800 Depth=1
	s_or_b32 exec_lo, exec_lo, s15
.LBB270_864:                            ;   in Loop: Header=BB270_800 Depth=1
	s_or_b32 exec_lo, exec_lo, s4
	v_or_b32_e32 v3, v68, v52
	s_waitcnt vmcnt(0) lgkmcnt(0)
	v_fma_mixlo_f16 v11, v53, v68, 0 op_sel:[0,1,0] op_sel_hi:[0,1,0]
	v_or_b32_e32 v12, v66, v64
	v_or_b32_e32 v67, v27, v67
	;; [unrolled: 1-line block ×3, first 2 shown]
	v_fma_mixlo_f16 v64, v53, v66, 0 op_sel:[0,1,0] op_sel_hi:[0,1,0]
	v_fma_mixlo_f16 v66, v53, v3, 0 op_sel_hi:[0,1,0]
	v_lshlrev_b32_e32 v3, 16, v11
	v_fma_mixlo_f16 v11, v53, v12, 0 op_sel_hi:[0,1,0]
	v_fma_mixlo_f16 v12, v53, v27, 0 op_sel:[0,1,0] op_sel_hi:[0,1,0]
	v_fma_mixlo_f16 v27, v53, v67, 0 op_sel_hi:[0,1,0]
	v_fma_mixlo_f16 v2, v53, v2, 0 op_sel:[0,1,0] op_sel_hi:[0,1,0]
	v_fma_mixlo_f16 v53, v53, v69, 0 op_sel_hi:[0,1,0]
	v_lshlrev_b32_e32 v82, 16, v64
	v_and_b32_e32 v68, 0xffff, v66
	v_and_b32_e32 v84, 0xffff, v11
	v_lshlrev_b32_e32 v70, 16, v12
	v_and_b32_e32 v83, 0xffff, v27
	v_lshlrev_b32_e32 v27, 16, v2
	v_and_b32_e32 v81, 0xffff, v53
	v_add_nc_u32_e32 v52, -7, v19
	v_cmp_eq_u32_e32 vcc_lo, v32, v51
	v_or_b32_e32 v2, v3, v68
	v_or_b32_e32 v11, v82, v84
	;; [unrolled: 1-line block ×4, first 2 shown]
	v_add_nc_u32_e32 v80, -6, v19
	v_add_nc_u32_e32 v71, -5, v19
	v_add_nc_u32_e32 v69, -4, v19
	v_add_nc_u32_e32 v66, -3, v19
	v_add_nc_u32_e32 v64, -2, v19
	v_add_nc_u32_e32 v53, -1, v19
	s_and_saveexec_b32 s15, vcc_lo
	s_cbranch_execz .LBB270_866
; %bb.865:                              ;   in Loop: Header=BB270_800 Depth=1
	v_cmp_lt_i32_e64 s4, v52, v29
	v_cndmask_b32_e64 v2, 0, v84, s4
	v_cmp_lt_i32_e64 s4, v80, v29
	v_cndmask_b32_e64 v11, 0, v82, s4
	v_cmp_lt_i32_e64 s4, v71, v29
	v_or_b32_e32 v11, v2, v11
	v_cndmask_b32_e64 v12, 0, v68, s4
	v_cmp_lt_i32_e64 s4, v69, v29
	v_cndmask_b32_e64 v3, 0, v3, s4
	v_cmp_lt_i32_e64 s4, v66, v29
	v_or_b32_e32 v2, v12, v3
	;; [unrolled: 5-line block ×3, first 2 shown]
	v_cndmask_b32_e64 v70, 0, v81, s4
	v_cmp_lt_i32_e64 s4, v19, v29
	v_cndmask_b32_e64 v27, 0, v27, s4
	v_or_b32_e32 v67, v70, v27
.LBB270_866:                            ;   in Loop: Header=BB270_800 Depth=1
	s_or_b32 exec_lo, exec_lo, s15
	v_and_b32_e32 v0, 0xffff, v0
	v_and_b32_e32 v3, 0xffff, v54
	;; [unrolled: 1-line block ×4, first 2 shown]
	v_lshl_or_b32 v68, v1, 16, v0
	;;#ASMSTART
	v_pk_mul_f16 v0, v68, v11;

	;;#ASMEND
	v_lshl_or_b32 v65, v26, 16, v3
	v_lshl_or_b32 v55, v28, 16, v27
	v_lshl_or_b32 v54, v30, 16, v54
	;;#ASMSTART
	v_pk_mul_f16 v1, v65, v2;

	;;#ASMEND
	;;#ASMSTART
	v_pk_mul_f16 v2, v55, v12;

	;;#ASMEND
	;; [unrolled: 4-line block ×3, first 2 shown]
	;;#ASMSTART
	v_pk_add_f16 v0, v0, v1;

	;;#ASMEND
	;;#ASMSTART
	v_pk_add_f16 v0, v0, v2;

	;;#ASMEND
	;; [unrolled: 4-line block ×3, first 2 shown]
	v_and_b32_e32 v1, 0xffff, v0
	v_lshrrev_b32_e32 v0, 16, v0
	;;#ASMSTART
	v_cvt_f32_f16 v67, v1;
	;;#ASMEND
	;;#ASMSTART
	v_cvt_f32_f16 v70, v0;
	;;#ASMEND
	flat_load_dwordx2 v[11:12], v[9:10] offset:256
	flat_load_dword v0, v[22:23]
	v_mov_b32_e32 v1, 0
	v_mov_b32_e32 v26, 0
	s_waitcnt vmcnt(1) lgkmcnt(1)
	v_cmp_ne_u16_sdwa s4, v11, v4 src0_sel:BYTE_0 src1_sel:DWORD
	s_and_saveexec_b32 s15, s4
	s_cbranch_execz .LBB270_874
; %bb.867:                              ;   in Loop: Header=BB270_800 Depth=1
	v_cmp_ne_u16_sdwa s4, v11, v34 src0_sel:BYTE_0 src1_sel:DWORD
	v_mov_b32_e32 v26, 0x8000
	s_and_saveexec_b32 s18, s4
	s_cbranch_execz .LBB270_873
; %bb.868:                              ;   in Loop: Header=BB270_800 Depth=1
	v_and_b32_e32 v27, 0x7f, v11
	v_mov_b32_e32 v26, 0x7c01
	s_mov_b32 s19, exec_lo
	v_cmpx_ne_u32_e32 0x7f, v27
	s_cbranch_execz .LBB270_872
; %bb.869:                              ;   in Loop: Header=BB270_800 Depth=1
	v_and_b32_e32 v2, 7, v11
	v_lshrrev_b32_e32 v3, 3, v27
	s_mov_b32 s20, exec_lo
	v_cmpx_gt_u32_e32 8, v27
; %bb.870:                              ;   in Loop: Header=BB270_800 Depth=1
	v_ffbh_u32_e32 v2, v2
	v_min_u32_e32 v26, 32, v2
	v_subrev_nc_u32_e32 v2, 28, v26
	v_lshlrev_b64 v[2:3], v2, v[11:12]
	v_sub_nc_u32_e32 v3, 29, v26
	v_and_b32_e32 v2, 7, v2
; %bb.871:                              ;   in Loop: Header=BB270_800 Depth=1
	s_or_b32 exec_lo, exec_lo, s20
	v_lshlrev_b32_e32 v26, 8, v11
	v_lshl_add_u32 v3, v3, 10, 0x2000
	v_lshlrev_b32_e32 v2, 7, v2
	v_and_b32_e32 v26, 0x8000, v26
	v_and_b32_e32 v3, 0xfc00, v3
	v_or3_b32 v26, v26, v3, v2
.LBB270_872:                            ;   in Loop: Header=BB270_800 Depth=1
	s_or_b32 exec_lo, exec_lo, s19
.LBB270_873:                            ;   in Loop: Header=BB270_800 Depth=1
	s_or_b32 exec_lo, exec_lo, s18
.LBB270_874:                            ;   in Loop: Header=BB270_800 Depth=1
	s_or_b32 exec_lo, exec_lo, s15
	v_lshrrev_b16 v3, 8, v11
	s_mov_b32 s15, exec_lo
	v_cmpx_ne_u16_e32 0, v3
	s_cbranch_execz .LBB270_882
; %bb.875:                              ;   in Loop: Header=BB270_800 Depth=1
	v_bfrev_b32_e32 v1, 1
	s_mov_b32 s18, exec_lo
	v_cmpx_ne_u16_e32 0x80, v3
	s_cbranch_execz .LBB270_881
; %bb.876:                              ;   in Loop: Header=BB270_800 Depth=1
	v_and_b32_sdwa v27, v3, v48 dst_sel:DWORD dst_unused:UNUSED_PAD src0_sel:WORD_0 src1_sel:DWORD
	v_mov_b32_e32 v1, 0x7c010000
	s_mov_b32 s19, exec_lo
	v_cmpx_ne_u32_e32 0x7f, v27
	s_cbranch_execz .LBB270_880
; %bb.877:                              ;   in Loop: Header=BB270_800 Depth=1
	v_and_b32_sdwa v1, v3, v49 dst_sel:DWORD dst_unused:UNUSED_PAD src0_sel:WORD_0 src1_sel:DWORD
	v_lshrrev_b32_e32 v2, 3, v27
	s_mov_b32 s20, exec_lo
	v_cmpx_gt_u32_e32 8, v27
; %bb.878:                              ;   in Loop: Header=BB270_800 Depth=1
	v_ffbh_u32_e32 v1, v1
	v_min_u32_e32 v27, 32, v1
	v_subrev_nc_u32_e32 v1, 28, v27
	v_lshlrev_b64 v[1:2], v1, v[3:4]
	v_sub_nc_u32_e32 v2, 29, v27
	v_and_b32_e32 v1, 7, v1
; %bb.879:                              ;   in Loop: Header=BB270_800 Depth=1
	s_or_b32 exec_lo, exec_lo, s20
	v_lshlrev_b32_sdwa v3, v50, v3 dst_sel:DWORD dst_unused:UNUSED_PAD src0_sel:DWORD src1_sel:WORD_0
	v_lshl_add_u32 v2, v2, 10, 0x2000
	v_lshlrev_b32_e32 v1, 23, v1
	v_and_or_b32 v2, 0x8000, v3, v2
	v_lshl_or_b32 v1, v2, 16, v1
.LBB270_880:                            ;   in Loop: Header=BB270_800 Depth=1
	s_or_b32 exec_lo, exec_lo, s19
.LBB270_881:                            ;   in Loop: Header=BB270_800 Depth=1
	s_or_b32 exec_lo, exec_lo, s18
.LBB270_882:                            ;   in Loop: Header=BB270_800 Depth=1
	s_or_b32 exec_lo, exec_lo, s15
	v_lshrrev_b32_e32 v2, 16, v11
	v_mov_b32_e32 v28, 0
	v_mov_b32_e32 v30, 0
	v_cmp_ne_u16_sdwa s4, v2, v4 src0_sel:BYTE_0 src1_sel:DWORD
	s_and_saveexec_b32 s15, s4
	s_cbranch_execz .LBB270_890
; %bb.883:                              ;   in Loop: Header=BB270_800 Depth=1
	v_cmp_ne_u16_sdwa s4, v2, v34 src0_sel:BYTE_0 src1_sel:DWORD
	v_mov_b32_e32 v30, 0x8000
	s_and_saveexec_b32 s18, s4
	s_cbranch_execz .LBB270_889
; %bb.884:                              ;   in Loop: Header=BB270_800 Depth=1
	v_bfe_u32 v81, v11, 16, 7
	v_mov_b32_e32 v30, 0x7c01
	s_mov_b32 s19, exec_lo
	v_cmpx_ne_u32_e32 0x7f, v81
	s_cbranch_execz .LBB270_888
; %bb.885:                              ;   in Loop: Header=BB270_800 Depth=1
	v_and_b32_e32 v3, 7, v2
	v_lshrrev_b32_e32 v27, 3, v81
	s_mov_b32 s20, exec_lo
	v_cmpx_gt_u32_e32 8, v81
; %bb.886:                              ;   in Loop: Header=BB270_800 Depth=1
	v_ffbh_u32_e32 v3, v3
	v_min_u32_e32 v3, 32, v3
	v_subrev_nc_u32_e32 v27, 28, v3
	v_lshlrev_b64 v[81:82], v27, v[2:3]
	v_sub_nc_u32_e32 v27, 29, v3
	v_and_b32_e32 v3, 7, v81
; %bb.887:                              ;   in Loop: Header=BB270_800 Depth=1
	s_or_b32 exec_lo, exec_lo, s20
	v_lshlrev_b32_e32 v2, 8, v2
	v_lshl_add_u32 v27, v27, 10, 0x2000
	v_lshlrev_b32_e32 v3, 7, v3
	v_and_b32_e32 v2, 0x8000, v2
	v_and_b32_e32 v27, 0xfc00, v27
	v_or3_b32 v30, v2, v27, v3
.LBB270_888:                            ;   in Loop: Header=BB270_800 Depth=1
	s_or_b32 exec_lo, exec_lo, s19
.LBB270_889:                            ;   in Loop: Header=BB270_800 Depth=1
	s_or_b32 exec_lo, exec_lo, s18
.LBB270_890:                            ;   in Loop: Header=BB270_800 Depth=1
	s_or_b32 exec_lo, exec_lo, s15
	s_mov_b32 s15, exec_lo
	v_cmpx_lt_u32_e32 0xffffff, v11
	s_cbranch_execz .LBB270_898
; %bb.891:                              ;   in Loop: Header=BB270_800 Depth=1
	v_lshrrev_b32_e32 v3, 24, v11
	v_bfrev_b32_e32 v28, 1
	s_mov_b32 s18, exec_lo
	v_cmpx_ne_u32_e32 0x80, v3
	s_cbranch_execz .LBB270_897
; %bb.892:                              ;   in Loop: Header=BB270_800 Depth=1
	v_and_b32_e32 v81, 0x7f, v3
	v_mov_b32_e32 v28, 0x7c010000
	s_mov_b32 s19, exec_lo
	v_cmpx_ne_u32_e32 0x7f, v81
	s_cbranch_execz .LBB270_896
; %bb.893:                              ;   in Loop: Header=BB270_800 Depth=1
	v_and_b32_e32 v2, 7, v3
	v_lshrrev_b32_e32 v27, 3, v81
	s_mov_b32 s20, exec_lo
	v_cmpx_gt_u32_e32 8, v81
; %bb.894:                              ;   in Loop: Header=BB270_800 Depth=1
	v_ffbh_u32_e32 v2, v2
	v_min_u32_e32 v2, 32, v2
	v_subrev_nc_u32_e32 v27, 28, v2
	v_lshlrev_b64 v[81:82], v27, v[3:4]
	v_sub_nc_u32_e32 v27, 29, v2
	v_and_b32_e32 v2, 7, v81
; %bb.895:                              ;   in Loop: Header=BB270_800 Depth=1
	s_or_b32 exec_lo, exec_lo, s20
	v_lshlrev_b32_e32 v3, 8, v3
	v_lshl_add_u32 v27, v27, 10, 0x2000
	v_lshlrev_b32_e32 v2, 23, v2
	v_and_or_b32 v3, 0x8000, v3, v27
	v_lshl_or_b32 v28, v3, 16, v2
.LBB270_896:                            ;   in Loop: Header=BB270_800 Depth=1
	s_or_b32 exec_lo, exec_lo, s19
.LBB270_897:                            ;   in Loop: Header=BB270_800 Depth=1
	s_or_b32 exec_lo, exec_lo, s18
.LBB270_898:                            ;   in Loop: Header=BB270_800 Depth=1
	s_or_b32 exec_lo, exec_lo, s15
	v_mov_b32_e32 v3, v12
	v_cmp_ne_u16_sdwa s4, v12, v4 src0_sel:BYTE_0 src1_sel:DWORD
	v_mov_b32_e32 v81, 0
	v_mov_b32_e32 v82, 0
	s_and_saveexec_b32 s15, s4
	s_cbranch_execz .LBB270_906
; %bb.899:                              ;   in Loop: Header=BB270_800 Depth=1
	v_cmp_ne_u16_sdwa s4, v12, v34 src0_sel:BYTE_0 src1_sel:DWORD
	v_mov_b32_e32 v82, 0x8000
	s_and_saveexec_b32 s18, s4
	s_cbranch_execz .LBB270_905
; %bb.900:                              ;   in Loop: Header=BB270_800 Depth=1
	v_and_b32_e32 v83, 0x7f, v12
	v_mov_b32_e32 v82, 0x7c01
	s_mov_b32 s19, exec_lo
	v_cmpx_ne_u32_e32 0x7f, v83
	s_cbranch_execz .LBB270_904
; %bb.901:                              ;   in Loop: Header=BB270_800 Depth=1
	v_and_b32_e32 v2, 7, v12
	v_lshrrev_b32_e32 v27, 3, v83
	s_mov_b32 s20, exec_lo
	v_cmpx_gt_u32_e32 8, v83
; %bb.902:                              ;   in Loop: Header=BB270_800 Depth=1
	v_ffbh_u32_e32 v2, v2
	v_min_u32_e32 v2, 32, v2
	v_subrev_nc_u32_e32 v27, 28, v2
	v_lshlrev_b64 v[82:83], v27, v[3:4]
	v_sub_nc_u32_e32 v27, 29, v2
	v_and_b32_e32 v2, 7, v82
; %bb.903:                              ;   in Loop: Header=BB270_800 Depth=1
	s_or_b32 exec_lo, exec_lo, s20
	v_lshlrev_b32_e32 v82, 8, v12
	v_lshl_add_u32 v27, v27, 10, 0x2000
	v_lshlrev_b32_e32 v2, 7, v2
	v_and_b32_e32 v82, 0x8000, v82
	v_and_b32_e32 v27, 0xfc00, v27
	v_or3_b32 v82, v82, v27, v2
.LBB270_904:                            ;   in Loop: Header=BB270_800 Depth=1
	s_or_b32 exec_lo, exec_lo, s19
.LBB270_905:                            ;   in Loop: Header=BB270_800 Depth=1
	s_or_b32 exec_lo, exec_lo, s18
.LBB270_906:                            ;   in Loop: Header=BB270_800 Depth=1
	s_or_b32 exec_lo, exec_lo, s15
	v_lshrrev_b16 v3, 8, v3
	v_mov_b32_e32 v27, 0
	s_mov_b32 s15, exec_lo
	v_cmpx_ne_u16_e32 0, v3
	s_cbranch_execz .LBB270_914
; %bb.907:                              ;   in Loop: Header=BB270_800 Depth=1
	v_bfrev_b32_e32 v27, 1
	s_mov_b32 s18, exec_lo
	v_cmpx_ne_u16_e32 0x80, v3
	s_cbranch_execz .LBB270_913
; %bb.908:                              ;   in Loop: Header=BB270_800 Depth=1
	v_and_b32_sdwa v83, v3, v48 dst_sel:DWORD dst_unused:UNUSED_PAD src0_sel:WORD_0 src1_sel:DWORD
	v_mov_b32_e32 v27, 0x7c010000
	s_mov_b32 s19, exec_lo
	v_cmpx_ne_u32_e32 0x7f, v83
	s_cbranch_execz .LBB270_912
; %bb.909:                              ;   in Loop: Header=BB270_800 Depth=1
	v_and_b32_sdwa v2, v3, v49 dst_sel:DWORD dst_unused:UNUSED_PAD src0_sel:WORD_0 src1_sel:DWORD
	v_lshrrev_b32_e32 v27, 3, v83
	s_mov_b32 s20, exec_lo
	v_cmpx_gt_u32_e32 8, v83
; %bb.910:                              ;   in Loop: Header=BB270_800 Depth=1
	v_ffbh_u32_e32 v2, v2
	v_min_u32_e32 v2, 32, v2
	v_subrev_nc_u32_e32 v27, 28, v2
	v_lshlrev_b64 v[83:84], v27, v[3:4]
	v_sub_nc_u32_e32 v27, 29, v2
	v_and_b32_e32 v2, 7, v83
; %bb.911:                              ;   in Loop: Header=BB270_800 Depth=1
	s_or_b32 exec_lo, exec_lo, s20
	v_lshlrev_b32_sdwa v3, v50, v3 dst_sel:DWORD dst_unused:UNUSED_PAD src0_sel:DWORD src1_sel:WORD_0
	v_lshl_add_u32 v27, v27, 10, 0x2000
	v_lshlrev_b32_e32 v2, 23, v2
	v_and_or_b32 v3, 0x8000, v3, v27
	v_lshl_or_b32 v27, v3, 16, v2
.LBB270_912:                            ;   in Loop: Header=BB270_800 Depth=1
	s_or_b32 exec_lo, exec_lo, s19
.LBB270_913:                            ;   in Loop: Header=BB270_800 Depth=1
	s_or_b32 exec_lo, exec_lo, s18
.LBB270_914:                            ;   in Loop: Header=BB270_800 Depth=1
	s_or_b32 exec_lo, exec_lo, s15
	v_lshrrev_b32_e32 v2, 16, v12
	v_cmp_ne_u16_sdwa s4, v2, v4 src0_sel:BYTE_0 src1_sel:DWORD
	s_and_saveexec_b32 s15, s4
	s_cbranch_execz .LBB270_922
; %bb.915:                              ;   in Loop: Header=BB270_800 Depth=1
	v_cmp_ne_u16_sdwa s4, v2, v34 src0_sel:BYTE_0 src1_sel:DWORD
	v_mov_b32_e32 v81, 0x8000
	s_and_saveexec_b32 s18, s4
	s_cbranch_execz .LBB270_921
; %bb.916:                              ;   in Loop: Header=BB270_800 Depth=1
	v_bfe_u32 v83, v12, 16, 7
	v_mov_b32_e32 v81, 0x7c01
	s_mov_b32 s19, exec_lo
	v_cmpx_ne_u32_e32 0x7f, v83
	s_cbranch_execz .LBB270_920
; %bb.917:                              ;   in Loop: Header=BB270_800 Depth=1
	v_and_b32_e32 v3, 7, v2
	v_lshrrev_b32_e32 v81, 3, v83
	s_mov_b32 s20, exec_lo
	v_cmpx_gt_u32_e32 8, v83
; %bb.918:                              ;   in Loop: Header=BB270_800 Depth=1
	v_ffbh_u32_e32 v3, v3
	v_min_u32_e32 v3, 32, v3
	v_subrev_nc_u32_e32 v81, 28, v3
	v_lshlrev_b64 v[83:84], v81, v[2:3]
	v_sub_nc_u32_e32 v81, 29, v3
	v_and_b32_e32 v3, 7, v83
; %bb.919:                              ;   in Loop: Header=BB270_800 Depth=1
	s_or_b32 exec_lo, exec_lo, s20
	v_lshlrev_b32_e32 v2, 8, v2
	v_lshl_add_u32 v81, v81, 10, 0x2000
	v_lshlrev_b32_e32 v3, 7, v3
	v_and_b32_e32 v2, 0x8000, v2
	v_and_b32_e32 v81, 0xfc00, v81
	v_or3_b32 v81, v2, v81, v3
.LBB270_920:                            ;   in Loop: Header=BB270_800 Depth=1
	s_or_b32 exec_lo, exec_lo, s19
.LBB270_921:                            ;   in Loop: Header=BB270_800 Depth=1
	s_or_b32 exec_lo, exec_lo, s18
.LBB270_922:                            ;   in Loop: Header=BB270_800 Depth=1
	s_or_b32 exec_lo, exec_lo, s15
	v_mov_b32_e32 v2, 0
	s_mov_b32 s15, exec_lo
	v_cmpx_lt_u64_e64 s[6:7], v[11:12]
	s_cbranch_execz .LBB270_930
; %bb.923:                              ;   in Loop: Header=BB270_800 Depth=1
	v_lshrrev_b32_e32 v3, 24, v12
	v_bfrev_b32_e32 v2, 1
	s_mov_b32 s18, exec_lo
	v_cmpx_ne_u32_e32 0x80, v3
	s_cbranch_execz .LBB270_929
; %bb.924:                              ;   in Loop: Header=BB270_800 Depth=1
	v_and_b32_e32 v12, 0x7f, v3
	v_mov_b32_e32 v2, 0x7c010000
	s_mov_b32 s19, exec_lo
	v_cmpx_ne_u32_e32 0x7f, v12
	s_cbranch_execz .LBB270_928
; %bb.925:                              ;   in Loop: Header=BB270_800 Depth=1
	v_and_b32_e32 v2, 7, v3
	v_lshrrev_b32_e32 v11, 3, v12
	s_mov_b32 s20, exec_lo
	v_cmpx_gt_u32_e32 8, v12
; %bb.926:                              ;   in Loop: Header=BB270_800 Depth=1
	v_ffbh_u32_e32 v2, v2
	v_min_u32_e32 v2, 32, v2
	v_subrev_nc_u32_e32 v11, 28, v2
	v_lshlrev_b64 v[83:84], v11, v[3:4]
	v_sub_nc_u32_e32 v11, 29, v2
	v_and_b32_e32 v2, 7, v83
; %bb.927:                              ;   in Loop: Header=BB270_800 Depth=1
	s_or_b32 exec_lo, exec_lo, s20
	v_lshlrev_b32_e32 v3, 8, v3
	v_lshl_add_u32 v11, v11, 10, 0x2000
	v_lshlrev_b32_e32 v2, 23, v2
	v_and_or_b32 v3, 0x8000, v3, v11
	v_lshl_or_b32 v2, v3, 16, v2
.LBB270_928:                            ;   in Loop: Header=BB270_800 Depth=1
	s_or_b32 exec_lo, exec_lo, s19
.LBB270_929:                            ;   in Loop: Header=BB270_800 Depth=1
	s_or_b32 exec_lo, exec_lo, s18
.LBB270_930:                            ;   in Loop: Header=BB270_800 Depth=1
	s_or_b32 exec_lo, exec_lo, s15
	v_or_b32_e32 v3, v28, v30
	s_waitcnt vmcnt(0) lgkmcnt(0)
	v_fma_mixlo_f16 v11, v0, v28, 0 op_sel:[0,1,0] op_sel_hi:[0,1,0]
	v_or_b32_e32 v26, v1, v26
	v_or_b32_e32 v28, v27, v82
	;; [unrolled: 1-line block ×3, first 2 shown]
	v_fma_mixlo_f16 v12, v0, v1, 0 op_sel:[0,1,0] op_sel_hi:[0,1,0]
	v_fma_mixlo_f16 v3, v0, v3, 0 op_sel_hi:[0,1,0]
	v_lshlrev_b32_e32 v1, 16, v11
	v_fma_mixlo_f16 v11, v0, v26, 0 op_sel_hi:[0,1,0]
	v_fma_mixlo_f16 v26, v0, v27, 0 op_sel:[0,1,0] op_sel_hi:[0,1,0]
	v_fma_mixlo_f16 v27, v0, v28, 0 op_sel_hi:[0,1,0]
	v_fma_mixlo_f16 v28, v0, v2, 0 op_sel:[0,1,0] op_sel_hi:[0,1,0]
	v_fma_mixlo_f16 v30, v0, v30, 0 op_sel_hi:[0,1,0]
	v_lshlrev_b32_e32 v12, 16, v12
	v_and_b32_e32 v3, 0xffff, v3
	v_and_b32_e32 v82, 0xffff, v11
	v_lshlrev_b32_e32 v2, 16, v26
	v_and_b32_e32 v27, 0xffff, v27
	v_lshlrev_b32_e32 v0, 16, v28
	v_and_b32_e32 v11, 0xffff, v30
	v_or_b32_e32 v26, v1, v3
	v_or_b32_e32 v81, v12, v82
	;; [unrolled: 1-line block ×4, first 2 shown]
	s_and_saveexec_b32 s15, vcc_lo
	s_cbranch_execz .LBB270_932
; %bb.931:                              ;   in Loop: Header=BB270_800 Depth=1
	v_cmp_lt_i32_e64 s4, v52, v29
	v_cndmask_b32_e64 v26, 0, v82, s4
	v_cmp_lt_i32_e64 s4, v80, v29
	v_cndmask_b32_e64 v12, 0, v12, s4
	v_cmp_lt_i32_e64 s4, v71, v29
	v_or_b32_e32 v81, v26, v12
	v_cndmask_b32_e64 v3, 0, v3, s4
	v_cmp_lt_i32_e64 s4, v69, v29
	v_cndmask_b32_e64 v1, 0, v1, s4
	v_cmp_lt_i32_e64 s4, v66, v29
	v_or_b32_e32 v26, v3, v1
	v_cndmask_b32_e64 v27, 0, v27, s4
	v_cmp_lt_i32_e64 s4, v64, v29
	v_cndmask_b32_e64 v2, 0, v2, s4
	v_cmp_lt_i32_e64 s4, v53, v29
	v_or_b32_e32 v30, v27, v2
	v_cndmask_b32_e64 v11, 0, v11, s4
	v_cmp_lt_i32_e64 s4, v19, v29
	v_cndmask_b32_e64 v0, 0, v0, s4
	v_or_b32_e32 v28, v11, v0
.LBB270_932:                            ;   in Loop: Header=BB270_800 Depth=1
	s_or_b32 exec_lo, exec_lo, s15
	;;#ASMSTART
	v_pk_mul_f16 v0, v68, v81;

	;;#ASMEND
	;;#ASMSTART
	v_pk_mul_f16 v1, v65, v26;

	;;#ASMEND
	;; [unrolled: 4-line block ×4, first 2 shown]
	;;#ASMSTART
	v_pk_add_f16 v0, v0, v1;

	;;#ASMEND
	;;#ASMSTART
	v_pk_add_f16 v0, v0, v2;

	;;#ASMEND
	;; [unrolled: 4-line block ×3, first 2 shown]
	v_and_b32_e32 v1, 0xffff, v0
	v_lshrrev_b32_e32 v0, 16, v0
	;;#ASMSTART
	v_cvt_f32_f16 v81, v1;
	;;#ASMEND
	;;#ASMSTART
	v_cvt_f32_f16 v82, v0;
	;;#ASMEND
	flat_load_dwordx2 v[11:12], v[9:10] offset:512
	flat_load_dword v0, v[22:23]
	v_mov_b32_e32 v1, 0
	v_mov_b32_e32 v26, 0
	s_waitcnt vmcnt(1) lgkmcnt(1)
	v_cmp_ne_u16_sdwa s4, v11, v4 src0_sel:BYTE_0 src1_sel:DWORD
	s_and_saveexec_b32 s15, s4
	s_cbranch_execz .LBB270_940
; %bb.933:                              ;   in Loop: Header=BB270_800 Depth=1
	v_cmp_ne_u16_sdwa s4, v11, v34 src0_sel:BYTE_0 src1_sel:DWORD
	v_mov_b32_e32 v26, 0x8000
	s_and_saveexec_b32 s18, s4
	s_cbranch_execz .LBB270_939
; %bb.934:                              ;   in Loop: Header=BB270_800 Depth=1
	v_and_b32_e32 v27, 0x7f, v11
	v_mov_b32_e32 v26, 0x7c01
	s_mov_b32 s19, exec_lo
	v_cmpx_ne_u32_e32 0x7f, v27
	s_cbranch_execz .LBB270_938
; %bb.935:                              ;   in Loop: Header=BB270_800 Depth=1
	v_and_b32_e32 v2, 7, v11
	v_lshrrev_b32_e32 v3, 3, v27
	s_mov_b32 s20, exec_lo
	v_cmpx_gt_u32_e32 8, v27
; %bb.936:                              ;   in Loop: Header=BB270_800 Depth=1
	v_ffbh_u32_e32 v2, v2
	v_min_u32_e32 v26, 32, v2
	v_subrev_nc_u32_e32 v2, 28, v26
	v_lshlrev_b64 v[2:3], v2, v[11:12]
	v_sub_nc_u32_e32 v3, 29, v26
	v_and_b32_e32 v2, 7, v2
; %bb.937:                              ;   in Loop: Header=BB270_800 Depth=1
	s_or_b32 exec_lo, exec_lo, s20
	v_lshlrev_b32_e32 v26, 8, v11
	v_lshl_add_u32 v3, v3, 10, 0x2000
	v_lshlrev_b32_e32 v2, 7, v2
	v_and_b32_e32 v26, 0x8000, v26
	v_and_b32_e32 v3, 0xfc00, v3
	v_or3_b32 v26, v26, v3, v2
.LBB270_938:                            ;   in Loop: Header=BB270_800 Depth=1
	s_or_b32 exec_lo, exec_lo, s19
.LBB270_939:                            ;   in Loop: Header=BB270_800 Depth=1
	s_or_b32 exec_lo, exec_lo, s18
.LBB270_940:                            ;   in Loop: Header=BB270_800 Depth=1
	s_or_b32 exec_lo, exec_lo, s15
	v_lshrrev_b16 v3, 8, v11
	s_mov_b32 s15, exec_lo
	v_cmpx_ne_u16_e32 0, v3
	s_cbranch_execz .LBB270_948
; %bb.941:                              ;   in Loop: Header=BB270_800 Depth=1
	v_bfrev_b32_e32 v1, 1
	s_mov_b32 s18, exec_lo
	v_cmpx_ne_u16_e32 0x80, v3
	s_cbranch_execz .LBB270_947
; %bb.942:                              ;   in Loop: Header=BB270_800 Depth=1
	v_and_b32_sdwa v27, v3, v48 dst_sel:DWORD dst_unused:UNUSED_PAD src0_sel:WORD_0 src1_sel:DWORD
	v_mov_b32_e32 v1, 0x7c010000
	s_mov_b32 s19, exec_lo
	v_cmpx_ne_u32_e32 0x7f, v27
	s_cbranch_execz .LBB270_946
; %bb.943:                              ;   in Loop: Header=BB270_800 Depth=1
	v_and_b32_sdwa v1, v3, v49 dst_sel:DWORD dst_unused:UNUSED_PAD src0_sel:WORD_0 src1_sel:DWORD
	v_lshrrev_b32_e32 v2, 3, v27
	s_mov_b32 s20, exec_lo
	v_cmpx_gt_u32_e32 8, v27
; %bb.944:                              ;   in Loop: Header=BB270_800 Depth=1
	v_ffbh_u32_e32 v1, v1
	v_min_u32_e32 v27, 32, v1
	v_subrev_nc_u32_e32 v1, 28, v27
	v_lshlrev_b64 v[1:2], v1, v[3:4]
	v_sub_nc_u32_e32 v2, 29, v27
	v_and_b32_e32 v1, 7, v1
; %bb.945:                              ;   in Loop: Header=BB270_800 Depth=1
	s_or_b32 exec_lo, exec_lo, s20
	v_lshlrev_b32_sdwa v3, v50, v3 dst_sel:DWORD dst_unused:UNUSED_PAD src0_sel:DWORD src1_sel:WORD_0
	v_lshl_add_u32 v2, v2, 10, 0x2000
	v_lshlrev_b32_e32 v1, 23, v1
	v_and_or_b32 v2, 0x8000, v3, v2
	v_lshl_or_b32 v1, v2, 16, v1
.LBB270_946:                            ;   in Loop: Header=BB270_800 Depth=1
	s_or_b32 exec_lo, exec_lo, s19
.LBB270_947:                            ;   in Loop: Header=BB270_800 Depth=1
	s_or_b32 exec_lo, exec_lo, s18
.LBB270_948:                            ;   in Loop: Header=BB270_800 Depth=1
	s_or_b32 exec_lo, exec_lo, s15
	v_lshrrev_b32_e32 v2, 16, v11
	v_mov_b32_e32 v28, 0
	v_mov_b32_e32 v30, 0
	v_cmp_ne_u16_sdwa s4, v2, v4 src0_sel:BYTE_0 src1_sel:DWORD
	s_and_saveexec_b32 s15, s4
	s_cbranch_execz .LBB270_956
; %bb.949:                              ;   in Loop: Header=BB270_800 Depth=1
	v_cmp_ne_u16_sdwa s4, v2, v34 src0_sel:BYTE_0 src1_sel:DWORD
	v_mov_b32_e32 v30, 0x8000
	s_and_saveexec_b32 s18, s4
	s_cbranch_execz .LBB270_955
; %bb.950:                              ;   in Loop: Header=BB270_800 Depth=1
	v_bfe_u32 v83, v11, 16, 7
	v_mov_b32_e32 v30, 0x7c01
	s_mov_b32 s19, exec_lo
	v_cmpx_ne_u32_e32 0x7f, v83
	s_cbranch_execz .LBB270_954
; %bb.951:                              ;   in Loop: Header=BB270_800 Depth=1
	v_and_b32_e32 v3, 7, v2
	v_lshrrev_b32_e32 v27, 3, v83
	s_mov_b32 s20, exec_lo
	v_cmpx_gt_u32_e32 8, v83
; %bb.952:                              ;   in Loop: Header=BB270_800 Depth=1
	v_ffbh_u32_e32 v3, v3
	v_min_u32_e32 v3, 32, v3
	v_subrev_nc_u32_e32 v27, 28, v3
	v_lshlrev_b64 v[83:84], v27, v[2:3]
	v_sub_nc_u32_e32 v27, 29, v3
	v_and_b32_e32 v3, 7, v83
; %bb.953:                              ;   in Loop: Header=BB270_800 Depth=1
	s_or_b32 exec_lo, exec_lo, s20
	v_lshlrev_b32_e32 v2, 8, v2
	v_lshl_add_u32 v27, v27, 10, 0x2000
	v_lshlrev_b32_e32 v3, 7, v3
	v_and_b32_e32 v2, 0x8000, v2
	v_and_b32_e32 v27, 0xfc00, v27
	v_or3_b32 v30, v2, v27, v3
.LBB270_954:                            ;   in Loop: Header=BB270_800 Depth=1
	s_or_b32 exec_lo, exec_lo, s19
.LBB270_955:                            ;   in Loop: Header=BB270_800 Depth=1
	s_or_b32 exec_lo, exec_lo, s18
.LBB270_956:                            ;   in Loop: Header=BB270_800 Depth=1
	s_or_b32 exec_lo, exec_lo, s15
	s_mov_b32 s15, exec_lo
	v_cmpx_lt_u32_e32 0xffffff, v11
	s_cbranch_execz .LBB270_964
; %bb.957:                              ;   in Loop: Header=BB270_800 Depth=1
	v_lshrrev_b32_e32 v3, 24, v11
	v_bfrev_b32_e32 v28, 1
	s_mov_b32 s18, exec_lo
	v_cmpx_ne_u32_e32 0x80, v3
	s_cbranch_execz .LBB270_963
; %bb.958:                              ;   in Loop: Header=BB270_800 Depth=1
	v_and_b32_e32 v83, 0x7f, v3
	v_mov_b32_e32 v28, 0x7c010000
	s_mov_b32 s19, exec_lo
	v_cmpx_ne_u32_e32 0x7f, v83
	s_cbranch_execz .LBB270_962
; %bb.959:                              ;   in Loop: Header=BB270_800 Depth=1
	v_and_b32_e32 v2, 7, v3
	v_lshrrev_b32_e32 v27, 3, v83
	s_mov_b32 s20, exec_lo
	v_cmpx_gt_u32_e32 8, v83
; %bb.960:                              ;   in Loop: Header=BB270_800 Depth=1
	v_ffbh_u32_e32 v2, v2
	v_min_u32_e32 v2, 32, v2
	v_subrev_nc_u32_e32 v27, 28, v2
	v_lshlrev_b64 v[83:84], v27, v[3:4]
	v_sub_nc_u32_e32 v27, 29, v2
	v_and_b32_e32 v2, 7, v83
; %bb.961:                              ;   in Loop: Header=BB270_800 Depth=1
	s_or_b32 exec_lo, exec_lo, s20
	v_lshlrev_b32_e32 v3, 8, v3
	v_lshl_add_u32 v27, v27, 10, 0x2000
	v_lshlrev_b32_e32 v2, 23, v2
	v_and_or_b32 v3, 0x8000, v3, v27
	v_lshl_or_b32 v28, v3, 16, v2
.LBB270_962:                            ;   in Loop: Header=BB270_800 Depth=1
	s_or_b32 exec_lo, exec_lo, s19
.LBB270_963:                            ;   in Loop: Header=BB270_800 Depth=1
	s_or_b32 exec_lo, exec_lo, s18
.LBB270_964:                            ;   in Loop: Header=BB270_800 Depth=1
	s_or_b32 exec_lo, exec_lo, s15
	v_mov_b32_e32 v3, v12
	v_cmp_ne_u16_sdwa s4, v12, v4 src0_sel:BYTE_0 src1_sel:DWORD
	v_mov_b32_e32 v83, 0
	v_mov_b32_e32 v84, 0
	s_and_saveexec_b32 s15, s4
	s_cbranch_execz .LBB270_972
; %bb.965:                              ;   in Loop: Header=BB270_800 Depth=1
	v_cmp_ne_u16_sdwa s4, v12, v34 src0_sel:BYTE_0 src1_sel:DWORD
	v_mov_b32_e32 v84, 0x8000
	s_and_saveexec_b32 s18, s4
	s_cbranch_execz .LBB270_971
; %bb.966:                              ;   in Loop: Header=BB270_800 Depth=1
	v_and_b32_e32 v85, 0x7f, v12
	v_mov_b32_e32 v84, 0x7c01
	s_mov_b32 s19, exec_lo
	v_cmpx_ne_u32_e32 0x7f, v85
	s_cbranch_execz .LBB270_970
; %bb.967:                              ;   in Loop: Header=BB270_800 Depth=1
	v_and_b32_e32 v2, 7, v12
	v_lshrrev_b32_e32 v27, 3, v85
	s_mov_b32 s20, exec_lo
	v_cmpx_gt_u32_e32 8, v85
; %bb.968:                              ;   in Loop: Header=BB270_800 Depth=1
	v_ffbh_u32_e32 v2, v2
	v_min_u32_e32 v2, 32, v2
	v_subrev_nc_u32_e32 v27, 28, v2
	v_lshlrev_b64 v[84:85], v27, v[3:4]
	v_sub_nc_u32_e32 v27, 29, v2
	v_and_b32_e32 v2, 7, v84
; %bb.969:                              ;   in Loop: Header=BB270_800 Depth=1
	s_or_b32 exec_lo, exec_lo, s20
	v_lshlrev_b32_e32 v84, 8, v12
	v_lshl_add_u32 v27, v27, 10, 0x2000
	v_lshlrev_b32_e32 v2, 7, v2
	v_and_b32_e32 v84, 0x8000, v84
	v_and_b32_e32 v27, 0xfc00, v27
	v_or3_b32 v84, v84, v27, v2
.LBB270_970:                            ;   in Loop: Header=BB270_800 Depth=1
	s_or_b32 exec_lo, exec_lo, s19
.LBB270_971:                            ;   in Loop: Header=BB270_800 Depth=1
	s_or_b32 exec_lo, exec_lo, s18
.LBB270_972:                            ;   in Loop: Header=BB270_800 Depth=1
	s_or_b32 exec_lo, exec_lo, s15
	v_lshrrev_b16 v3, 8, v3
	v_mov_b32_e32 v27, 0
	s_mov_b32 s15, exec_lo
	v_cmpx_ne_u16_e32 0, v3
	s_cbranch_execz .LBB270_980
; %bb.973:                              ;   in Loop: Header=BB270_800 Depth=1
	v_bfrev_b32_e32 v27, 1
	s_mov_b32 s18, exec_lo
	v_cmpx_ne_u16_e32 0x80, v3
	s_cbranch_execz .LBB270_979
; %bb.974:                              ;   in Loop: Header=BB270_800 Depth=1
	v_and_b32_sdwa v85, v3, v48 dst_sel:DWORD dst_unused:UNUSED_PAD src0_sel:WORD_0 src1_sel:DWORD
	v_mov_b32_e32 v27, 0x7c010000
	s_mov_b32 s19, exec_lo
	v_cmpx_ne_u32_e32 0x7f, v85
	s_cbranch_execz .LBB270_978
; %bb.975:                              ;   in Loop: Header=BB270_800 Depth=1
	v_and_b32_sdwa v2, v3, v49 dst_sel:DWORD dst_unused:UNUSED_PAD src0_sel:WORD_0 src1_sel:DWORD
	v_lshrrev_b32_e32 v27, 3, v85
	s_mov_b32 s20, exec_lo
	v_cmpx_gt_u32_e32 8, v85
; %bb.976:                              ;   in Loop: Header=BB270_800 Depth=1
	v_ffbh_u32_e32 v2, v2
	v_min_u32_e32 v2, 32, v2
	v_subrev_nc_u32_e32 v27, 28, v2
	v_lshlrev_b64 v[85:86], v27, v[3:4]
	v_sub_nc_u32_e32 v27, 29, v2
	v_and_b32_e32 v2, 7, v85
; %bb.977:                              ;   in Loop: Header=BB270_800 Depth=1
	s_or_b32 exec_lo, exec_lo, s20
	v_lshlrev_b32_sdwa v3, v50, v3 dst_sel:DWORD dst_unused:UNUSED_PAD src0_sel:DWORD src1_sel:WORD_0
	v_lshl_add_u32 v27, v27, 10, 0x2000
	v_lshlrev_b32_e32 v2, 23, v2
	v_and_or_b32 v3, 0x8000, v3, v27
	v_lshl_or_b32 v27, v3, 16, v2
.LBB270_978:                            ;   in Loop: Header=BB270_800 Depth=1
	s_or_b32 exec_lo, exec_lo, s19
.LBB270_979:                            ;   in Loop: Header=BB270_800 Depth=1
	s_or_b32 exec_lo, exec_lo, s18
.LBB270_980:                            ;   in Loop: Header=BB270_800 Depth=1
	s_or_b32 exec_lo, exec_lo, s15
	v_lshrrev_b32_e32 v2, 16, v12
	v_cmp_ne_u16_sdwa s4, v2, v4 src0_sel:BYTE_0 src1_sel:DWORD
	s_and_saveexec_b32 s15, s4
	s_cbranch_execz .LBB270_988
; %bb.981:                              ;   in Loop: Header=BB270_800 Depth=1
	v_cmp_ne_u16_sdwa s4, v2, v34 src0_sel:BYTE_0 src1_sel:DWORD
	v_mov_b32_e32 v83, 0x8000
	s_and_saveexec_b32 s18, s4
	s_cbranch_execz .LBB270_987
; %bb.982:                              ;   in Loop: Header=BB270_800 Depth=1
	v_bfe_u32 v85, v12, 16, 7
	v_mov_b32_e32 v83, 0x7c01
	s_mov_b32 s19, exec_lo
	v_cmpx_ne_u32_e32 0x7f, v85
	s_cbranch_execz .LBB270_986
; %bb.983:                              ;   in Loop: Header=BB270_800 Depth=1
	v_and_b32_e32 v3, 7, v2
	v_lshrrev_b32_e32 v83, 3, v85
	s_mov_b32 s20, exec_lo
	v_cmpx_gt_u32_e32 8, v85
; %bb.984:                              ;   in Loop: Header=BB270_800 Depth=1
	v_ffbh_u32_e32 v3, v3
	v_min_u32_e32 v3, 32, v3
	v_subrev_nc_u32_e32 v83, 28, v3
	v_lshlrev_b64 v[85:86], v83, v[2:3]
	v_sub_nc_u32_e32 v83, 29, v3
	v_and_b32_e32 v3, 7, v85
; %bb.985:                              ;   in Loop: Header=BB270_800 Depth=1
	s_or_b32 exec_lo, exec_lo, s20
	v_lshlrev_b32_e32 v2, 8, v2
	v_lshl_add_u32 v83, v83, 10, 0x2000
	v_lshlrev_b32_e32 v3, 7, v3
	v_and_b32_e32 v2, 0x8000, v2
	v_and_b32_e32 v83, 0xfc00, v83
	v_or3_b32 v83, v2, v83, v3
.LBB270_986:                            ;   in Loop: Header=BB270_800 Depth=1
	s_or_b32 exec_lo, exec_lo, s19
.LBB270_987:                            ;   in Loop: Header=BB270_800 Depth=1
	s_or_b32 exec_lo, exec_lo, s18
.LBB270_988:                            ;   in Loop: Header=BB270_800 Depth=1
	s_or_b32 exec_lo, exec_lo, s15
	v_mov_b32_e32 v2, 0
	s_mov_b32 s15, exec_lo
	v_cmpx_lt_u64_e64 s[6:7], v[11:12]
	s_cbranch_execz .LBB270_996
; %bb.989:                              ;   in Loop: Header=BB270_800 Depth=1
	v_lshrrev_b32_e32 v3, 24, v12
	v_bfrev_b32_e32 v2, 1
	s_mov_b32 s18, exec_lo
	v_cmpx_ne_u32_e32 0x80, v3
	s_cbranch_execz .LBB270_995
; %bb.990:                              ;   in Loop: Header=BB270_800 Depth=1
	v_and_b32_e32 v12, 0x7f, v3
	v_mov_b32_e32 v2, 0x7c010000
	s_mov_b32 s19, exec_lo
	v_cmpx_ne_u32_e32 0x7f, v12
	s_cbranch_execz .LBB270_994
; %bb.991:                              ;   in Loop: Header=BB270_800 Depth=1
	v_and_b32_e32 v2, 7, v3
	v_lshrrev_b32_e32 v11, 3, v12
	s_mov_b32 s20, exec_lo
	v_cmpx_gt_u32_e32 8, v12
; %bb.992:                              ;   in Loop: Header=BB270_800 Depth=1
	v_ffbh_u32_e32 v2, v2
	v_min_u32_e32 v2, 32, v2
	v_subrev_nc_u32_e32 v11, 28, v2
	v_lshlrev_b64 v[85:86], v11, v[3:4]
	v_sub_nc_u32_e32 v11, 29, v2
	v_and_b32_e32 v2, 7, v85
; %bb.993:                              ;   in Loop: Header=BB270_800 Depth=1
	s_or_b32 exec_lo, exec_lo, s20
	v_lshlrev_b32_e32 v3, 8, v3
	v_lshl_add_u32 v11, v11, 10, 0x2000
	v_lshlrev_b32_e32 v2, 23, v2
	v_and_or_b32 v3, 0x8000, v3, v11
	v_lshl_or_b32 v2, v3, 16, v2
.LBB270_994:                            ;   in Loop: Header=BB270_800 Depth=1
	s_or_b32 exec_lo, exec_lo, s19
.LBB270_995:                            ;   in Loop: Header=BB270_800 Depth=1
	s_or_b32 exec_lo, exec_lo, s18
.LBB270_996:                            ;   in Loop: Header=BB270_800 Depth=1
	s_or_b32 exec_lo, exec_lo, s15
	v_or_b32_e32 v3, v28, v30
	s_waitcnt vmcnt(0) lgkmcnt(0)
	v_fma_mixlo_f16 v11, v0, v28, 0 op_sel:[0,1,0] op_sel_hi:[0,1,0]
	v_or_b32_e32 v26, v1, v26
	v_or_b32_e32 v28, v27, v84
	;; [unrolled: 1-line block ×3, first 2 shown]
	v_fma_mixlo_f16 v12, v0, v1, 0 op_sel:[0,1,0] op_sel_hi:[0,1,0]
	v_fma_mixlo_f16 v3, v0, v3, 0 op_sel_hi:[0,1,0]
	v_lshlrev_b32_e32 v1, 16, v11
	v_fma_mixlo_f16 v11, v0, v26, 0 op_sel_hi:[0,1,0]
	v_fma_mixlo_f16 v26, v0, v27, 0 op_sel:[0,1,0] op_sel_hi:[0,1,0]
	v_fma_mixlo_f16 v27, v0, v28, 0 op_sel_hi:[0,1,0]
	v_fma_mixlo_f16 v28, v0, v2, 0 op_sel:[0,1,0] op_sel_hi:[0,1,0]
	v_fma_mixlo_f16 v30, v0, v30, 0 op_sel_hi:[0,1,0]
	v_lshlrev_b32_e32 v12, 16, v12
	v_and_b32_e32 v3, 0xffff, v3
	v_and_b32_e32 v84, 0xffff, v11
	v_lshlrev_b32_e32 v2, 16, v26
	v_and_b32_e32 v27, 0xffff, v27
	v_lshlrev_b32_e32 v0, 16, v28
	v_and_b32_e32 v11, 0xffff, v30
	v_or_b32_e32 v26, v1, v3
	v_or_b32_e32 v83, v12, v84
	;; [unrolled: 1-line block ×4, first 2 shown]
	s_and_saveexec_b32 s15, vcc_lo
	s_cbranch_execz .LBB270_998
; %bb.997:                              ;   in Loop: Header=BB270_800 Depth=1
	v_cmp_lt_i32_e64 s4, v52, v29
	v_cndmask_b32_e64 v26, 0, v84, s4
	v_cmp_lt_i32_e64 s4, v80, v29
	v_cndmask_b32_e64 v12, 0, v12, s4
	v_cmp_lt_i32_e64 s4, v71, v29
	v_or_b32_e32 v83, v26, v12
	v_cndmask_b32_e64 v3, 0, v3, s4
	v_cmp_lt_i32_e64 s4, v69, v29
	v_cndmask_b32_e64 v1, 0, v1, s4
	v_cmp_lt_i32_e64 s4, v66, v29
	v_or_b32_e32 v26, v3, v1
	;; [unrolled: 5-line block ×3, first 2 shown]
	v_cndmask_b32_e64 v11, 0, v11, s4
	v_cmp_lt_i32_e64 s4, v19, v29
	v_cndmask_b32_e64 v0, 0, v0, s4
	v_or_b32_e32 v28, v11, v0
.LBB270_998:                            ;   in Loop: Header=BB270_800 Depth=1
	s_or_b32 exec_lo, exec_lo, s15
	;;#ASMSTART
	v_pk_mul_f16 v0, v68, v83;

	;;#ASMEND
	;;#ASMSTART
	v_pk_mul_f16 v1, v65, v26;

	;;#ASMEND
	;; [unrolled: 4-line block ×4, first 2 shown]
	;;#ASMSTART
	v_pk_add_f16 v0, v0, v1;

	;;#ASMEND
	;;#ASMSTART
	v_pk_add_f16 v0, v0, v2;

	;;#ASMEND
	;; [unrolled: 4-line block ×3, first 2 shown]
	v_and_b32_e32 v1, 0xffff, v0
	v_lshrrev_b32_e32 v0, 16, v0
	;;#ASMSTART
	v_cvt_f32_f16 v83, v1;
	;;#ASMEND
	;;#ASMSTART
	v_cvt_f32_f16 v84, v0;
	;;#ASMEND
	flat_load_dwordx2 v[11:12], v[9:10] offset:768
	flat_load_dword v0, v[22:23]
	v_mov_b32_e32 v1, 0
	v_mov_b32_e32 v26, 0
	s_waitcnt vmcnt(1) lgkmcnt(1)
	v_cmp_ne_u16_sdwa s4, v11, v4 src0_sel:BYTE_0 src1_sel:DWORD
	s_and_saveexec_b32 s15, s4
	s_cbranch_execz .LBB270_1006
; %bb.999:                              ;   in Loop: Header=BB270_800 Depth=1
	v_cmp_ne_u16_sdwa s4, v11, v34 src0_sel:BYTE_0 src1_sel:DWORD
	v_mov_b32_e32 v26, 0x8000
	s_and_saveexec_b32 s18, s4
	s_cbranch_execz .LBB270_1005
; %bb.1000:                             ;   in Loop: Header=BB270_800 Depth=1
	v_and_b32_e32 v27, 0x7f, v11
	v_mov_b32_e32 v26, 0x7c01
	s_mov_b32 s19, exec_lo
	v_cmpx_ne_u32_e32 0x7f, v27
	s_cbranch_execz .LBB270_1004
; %bb.1001:                             ;   in Loop: Header=BB270_800 Depth=1
	v_and_b32_e32 v2, 7, v11
	v_lshrrev_b32_e32 v3, 3, v27
	s_mov_b32 s20, exec_lo
	v_cmpx_gt_u32_e32 8, v27
; %bb.1002:                             ;   in Loop: Header=BB270_800 Depth=1
	v_ffbh_u32_e32 v2, v2
	v_min_u32_e32 v26, 32, v2
	v_subrev_nc_u32_e32 v2, 28, v26
	v_lshlrev_b64 v[2:3], v2, v[11:12]
	v_sub_nc_u32_e32 v3, 29, v26
	v_and_b32_e32 v2, 7, v2
; %bb.1003:                             ;   in Loop: Header=BB270_800 Depth=1
	s_or_b32 exec_lo, exec_lo, s20
	v_lshlrev_b32_e32 v26, 8, v11
	v_lshl_add_u32 v3, v3, 10, 0x2000
	v_lshlrev_b32_e32 v2, 7, v2
	v_and_b32_e32 v26, 0x8000, v26
	v_and_b32_e32 v3, 0xfc00, v3
	v_or3_b32 v26, v26, v3, v2
.LBB270_1004:                           ;   in Loop: Header=BB270_800 Depth=1
	s_or_b32 exec_lo, exec_lo, s19
.LBB270_1005:                           ;   in Loop: Header=BB270_800 Depth=1
	s_or_b32 exec_lo, exec_lo, s18
.LBB270_1006:                           ;   in Loop: Header=BB270_800 Depth=1
	s_or_b32 exec_lo, exec_lo, s15
	v_lshrrev_b16 v3, 8, v11
	s_mov_b32 s15, exec_lo
	v_cmpx_ne_u16_e32 0, v3
	s_cbranch_execz .LBB270_1014
; %bb.1007:                             ;   in Loop: Header=BB270_800 Depth=1
	v_bfrev_b32_e32 v1, 1
	s_mov_b32 s18, exec_lo
	v_cmpx_ne_u16_e32 0x80, v3
	s_cbranch_execz .LBB270_1013
; %bb.1008:                             ;   in Loop: Header=BB270_800 Depth=1
	v_and_b32_sdwa v27, v3, v48 dst_sel:DWORD dst_unused:UNUSED_PAD src0_sel:WORD_0 src1_sel:DWORD
	v_mov_b32_e32 v1, 0x7c010000
	s_mov_b32 s19, exec_lo
	v_cmpx_ne_u32_e32 0x7f, v27
	s_cbranch_execz .LBB270_1012
; %bb.1009:                             ;   in Loop: Header=BB270_800 Depth=1
	v_and_b32_sdwa v1, v3, v49 dst_sel:DWORD dst_unused:UNUSED_PAD src0_sel:WORD_0 src1_sel:DWORD
	v_lshrrev_b32_e32 v2, 3, v27
	s_mov_b32 s20, exec_lo
	v_cmpx_gt_u32_e32 8, v27
; %bb.1010:                             ;   in Loop: Header=BB270_800 Depth=1
	v_ffbh_u32_e32 v1, v1
	v_min_u32_e32 v27, 32, v1
	v_subrev_nc_u32_e32 v1, 28, v27
	v_lshlrev_b64 v[1:2], v1, v[3:4]
	v_sub_nc_u32_e32 v2, 29, v27
	v_and_b32_e32 v1, 7, v1
; %bb.1011:                             ;   in Loop: Header=BB270_800 Depth=1
	s_or_b32 exec_lo, exec_lo, s20
	v_lshlrev_b32_sdwa v3, v50, v3 dst_sel:DWORD dst_unused:UNUSED_PAD src0_sel:DWORD src1_sel:WORD_0
	v_lshl_add_u32 v2, v2, 10, 0x2000
	v_lshlrev_b32_e32 v1, 23, v1
	v_and_or_b32 v2, 0x8000, v3, v2
	v_lshl_or_b32 v1, v2, 16, v1
.LBB270_1012:                           ;   in Loop: Header=BB270_800 Depth=1
	s_or_b32 exec_lo, exec_lo, s19
.LBB270_1013:                           ;   in Loop: Header=BB270_800 Depth=1
	s_or_b32 exec_lo, exec_lo, s18
.LBB270_1014:                           ;   in Loop: Header=BB270_800 Depth=1
	s_or_b32 exec_lo, exec_lo, s15
	v_lshrrev_b32_e32 v2, 16, v11
	v_mov_b32_e32 v28, 0
	v_mov_b32_e32 v30, 0
	v_cmp_ne_u16_sdwa s4, v2, v4 src0_sel:BYTE_0 src1_sel:DWORD
	s_and_saveexec_b32 s15, s4
	s_cbranch_execz .LBB270_1022
; %bb.1015:                             ;   in Loop: Header=BB270_800 Depth=1
	v_cmp_ne_u16_sdwa s4, v2, v34 src0_sel:BYTE_0 src1_sel:DWORD
	v_mov_b32_e32 v30, 0x8000
	s_and_saveexec_b32 s18, s4
	s_cbranch_execz .LBB270_1021
; %bb.1016:                             ;   in Loop: Header=BB270_800 Depth=1
	v_bfe_u32 v85, v11, 16, 7
	v_mov_b32_e32 v30, 0x7c01
	s_mov_b32 s19, exec_lo
	v_cmpx_ne_u32_e32 0x7f, v85
	s_cbranch_execz .LBB270_1020
; %bb.1017:                             ;   in Loop: Header=BB270_800 Depth=1
	v_and_b32_e32 v3, 7, v2
	v_lshrrev_b32_e32 v27, 3, v85
	s_mov_b32 s20, exec_lo
	v_cmpx_gt_u32_e32 8, v85
; %bb.1018:                             ;   in Loop: Header=BB270_800 Depth=1
	v_ffbh_u32_e32 v3, v3
	v_min_u32_e32 v3, 32, v3
	v_subrev_nc_u32_e32 v27, 28, v3
	v_lshlrev_b64 v[85:86], v27, v[2:3]
	v_sub_nc_u32_e32 v27, 29, v3
	v_and_b32_e32 v3, 7, v85
; %bb.1019:                             ;   in Loop: Header=BB270_800 Depth=1
	s_or_b32 exec_lo, exec_lo, s20
	v_lshlrev_b32_e32 v2, 8, v2
	v_lshl_add_u32 v27, v27, 10, 0x2000
	v_lshlrev_b32_e32 v3, 7, v3
	v_and_b32_e32 v2, 0x8000, v2
	v_and_b32_e32 v27, 0xfc00, v27
	v_or3_b32 v30, v2, v27, v3
.LBB270_1020:                           ;   in Loop: Header=BB270_800 Depth=1
	s_or_b32 exec_lo, exec_lo, s19
.LBB270_1021:                           ;   in Loop: Header=BB270_800 Depth=1
	s_or_b32 exec_lo, exec_lo, s18
.LBB270_1022:                           ;   in Loop: Header=BB270_800 Depth=1
	s_or_b32 exec_lo, exec_lo, s15
	s_mov_b32 s15, exec_lo
	v_cmpx_lt_u32_e32 0xffffff, v11
	s_cbranch_execz .LBB270_1030
; %bb.1023:                             ;   in Loop: Header=BB270_800 Depth=1
	v_lshrrev_b32_e32 v3, 24, v11
	v_bfrev_b32_e32 v28, 1
	s_mov_b32 s18, exec_lo
	v_cmpx_ne_u32_e32 0x80, v3
	s_cbranch_execz .LBB270_1029
; %bb.1024:                             ;   in Loop: Header=BB270_800 Depth=1
	v_and_b32_e32 v85, 0x7f, v3
	v_mov_b32_e32 v28, 0x7c010000
	s_mov_b32 s19, exec_lo
	v_cmpx_ne_u32_e32 0x7f, v85
	s_cbranch_execz .LBB270_1028
; %bb.1025:                             ;   in Loop: Header=BB270_800 Depth=1
	v_and_b32_e32 v2, 7, v3
	v_lshrrev_b32_e32 v27, 3, v85
	s_mov_b32 s20, exec_lo
	v_cmpx_gt_u32_e32 8, v85
; %bb.1026:                             ;   in Loop: Header=BB270_800 Depth=1
	v_ffbh_u32_e32 v2, v2
	v_min_u32_e32 v2, 32, v2
	v_subrev_nc_u32_e32 v27, 28, v2
	v_lshlrev_b64 v[85:86], v27, v[3:4]
	v_sub_nc_u32_e32 v27, 29, v2
	v_and_b32_e32 v2, 7, v85
; %bb.1027:                             ;   in Loop: Header=BB270_800 Depth=1
	s_or_b32 exec_lo, exec_lo, s20
	v_lshlrev_b32_e32 v3, 8, v3
	v_lshl_add_u32 v27, v27, 10, 0x2000
	v_lshlrev_b32_e32 v2, 23, v2
	v_and_or_b32 v3, 0x8000, v3, v27
	v_lshl_or_b32 v28, v3, 16, v2
.LBB270_1028:                           ;   in Loop: Header=BB270_800 Depth=1
	s_or_b32 exec_lo, exec_lo, s19
.LBB270_1029:                           ;   in Loop: Header=BB270_800 Depth=1
	s_or_b32 exec_lo, exec_lo, s18
.LBB270_1030:                           ;   in Loop: Header=BB270_800 Depth=1
	s_or_b32 exec_lo, exec_lo, s15
	v_mov_b32_e32 v3, v12
	v_cmp_ne_u16_sdwa s4, v12, v4 src0_sel:BYTE_0 src1_sel:DWORD
	v_mov_b32_e32 v85, 0
	v_mov_b32_e32 v86, 0
	s_and_saveexec_b32 s15, s4
	s_cbranch_execz .LBB270_1038
; %bb.1031:                             ;   in Loop: Header=BB270_800 Depth=1
	v_cmp_ne_u16_sdwa s4, v12, v34 src0_sel:BYTE_0 src1_sel:DWORD
	v_mov_b32_e32 v86, 0x8000
	s_and_saveexec_b32 s18, s4
	s_cbranch_execz .LBB270_1037
; %bb.1032:                             ;   in Loop: Header=BB270_800 Depth=1
	v_and_b32_e32 v87, 0x7f, v12
	v_mov_b32_e32 v86, 0x7c01
	s_mov_b32 s19, exec_lo
	v_cmpx_ne_u32_e32 0x7f, v87
	s_cbranch_execz .LBB270_1036
; %bb.1033:                             ;   in Loop: Header=BB270_800 Depth=1
	v_and_b32_e32 v2, 7, v12
	v_lshrrev_b32_e32 v27, 3, v87
	s_mov_b32 s20, exec_lo
	v_cmpx_gt_u32_e32 8, v87
; %bb.1034:                             ;   in Loop: Header=BB270_800 Depth=1
	v_ffbh_u32_e32 v2, v2
	v_min_u32_e32 v2, 32, v2
	v_subrev_nc_u32_e32 v27, 28, v2
	v_lshlrev_b64 v[86:87], v27, v[3:4]
	v_sub_nc_u32_e32 v27, 29, v2
	v_and_b32_e32 v2, 7, v86
; %bb.1035:                             ;   in Loop: Header=BB270_800 Depth=1
	s_or_b32 exec_lo, exec_lo, s20
	v_lshlrev_b32_e32 v86, 8, v12
	v_lshl_add_u32 v27, v27, 10, 0x2000
	v_lshlrev_b32_e32 v2, 7, v2
	v_and_b32_e32 v86, 0x8000, v86
	v_and_b32_e32 v27, 0xfc00, v27
	v_or3_b32 v86, v86, v27, v2
.LBB270_1036:                           ;   in Loop: Header=BB270_800 Depth=1
	s_or_b32 exec_lo, exec_lo, s19
.LBB270_1037:                           ;   in Loop: Header=BB270_800 Depth=1
	s_or_b32 exec_lo, exec_lo, s18
.LBB270_1038:                           ;   in Loop: Header=BB270_800 Depth=1
	s_or_b32 exec_lo, exec_lo, s15
	v_lshrrev_b16 v3, 8, v3
	v_mov_b32_e32 v27, 0
	s_mov_b32 s15, exec_lo
	v_cmpx_ne_u16_e32 0, v3
	s_cbranch_execz .LBB270_1046
; %bb.1039:                             ;   in Loop: Header=BB270_800 Depth=1
	v_bfrev_b32_e32 v27, 1
	s_mov_b32 s18, exec_lo
	v_cmpx_ne_u16_e32 0x80, v3
	s_cbranch_execz .LBB270_1045
; %bb.1040:                             ;   in Loop: Header=BB270_800 Depth=1
	v_and_b32_sdwa v87, v3, v48 dst_sel:DWORD dst_unused:UNUSED_PAD src0_sel:WORD_0 src1_sel:DWORD
	v_mov_b32_e32 v27, 0x7c010000
	s_mov_b32 s19, exec_lo
	v_cmpx_ne_u32_e32 0x7f, v87
	s_cbranch_execz .LBB270_1044
; %bb.1041:                             ;   in Loop: Header=BB270_800 Depth=1
	v_and_b32_sdwa v2, v3, v49 dst_sel:DWORD dst_unused:UNUSED_PAD src0_sel:WORD_0 src1_sel:DWORD
	v_lshrrev_b32_e32 v27, 3, v87
	s_mov_b32 s20, exec_lo
	v_cmpx_gt_u32_e32 8, v87
; %bb.1042:                             ;   in Loop: Header=BB270_800 Depth=1
	v_ffbh_u32_e32 v2, v2
	v_min_u32_e32 v2, 32, v2
	v_subrev_nc_u32_e32 v27, 28, v2
	v_lshlrev_b64 v[96:97], v27, v[3:4]
	v_sub_nc_u32_e32 v27, 29, v2
	v_and_b32_e32 v2, 7, v96
; %bb.1043:                             ;   in Loop: Header=BB270_800 Depth=1
	s_or_b32 exec_lo, exec_lo, s20
	v_lshlrev_b32_sdwa v3, v50, v3 dst_sel:DWORD dst_unused:UNUSED_PAD src0_sel:DWORD src1_sel:WORD_0
	v_lshl_add_u32 v27, v27, 10, 0x2000
	v_lshlrev_b32_e32 v2, 23, v2
	v_and_or_b32 v3, 0x8000, v3, v27
	v_lshl_or_b32 v27, v3, 16, v2
.LBB270_1044:                           ;   in Loop: Header=BB270_800 Depth=1
	s_or_b32 exec_lo, exec_lo, s19
.LBB270_1045:                           ;   in Loop: Header=BB270_800 Depth=1
	s_or_b32 exec_lo, exec_lo, s18
.LBB270_1046:                           ;   in Loop: Header=BB270_800 Depth=1
	s_or_b32 exec_lo, exec_lo, s15
	v_lshrrev_b32_e32 v2, 16, v12
	v_cmp_ne_u16_sdwa s4, v2, v4 src0_sel:BYTE_0 src1_sel:DWORD
	s_and_saveexec_b32 s15, s4
	s_cbranch_execz .LBB270_1054
; %bb.1047:                             ;   in Loop: Header=BB270_800 Depth=1
	v_cmp_ne_u16_sdwa s4, v2, v34 src0_sel:BYTE_0 src1_sel:DWORD
	v_mov_b32_e32 v85, 0x8000
	s_and_saveexec_b32 s18, s4
	s_cbranch_execz .LBB270_1053
; %bb.1048:                             ;   in Loop: Header=BB270_800 Depth=1
	v_bfe_u32 v87, v12, 16, 7
	v_mov_b32_e32 v85, 0x7c01
	s_mov_b32 s19, exec_lo
	v_cmpx_ne_u32_e32 0x7f, v87
	s_cbranch_execz .LBB270_1052
; %bb.1049:                             ;   in Loop: Header=BB270_800 Depth=1
	v_and_b32_e32 v3, 7, v2
	v_lshrrev_b32_e32 v85, 3, v87
	s_mov_b32 s20, exec_lo
	v_cmpx_gt_u32_e32 8, v87
; %bb.1050:                             ;   in Loop: Header=BB270_800 Depth=1
	v_ffbh_u32_e32 v3, v3
	v_min_u32_e32 v3, 32, v3
	v_subrev_nc_u32_e32 v85, 28, v3
	v_lshlrev_b64 v[96:97], v85, v[2:3]
	v_sub_nc_u32_e32 v85, 29, v3
	v_and_b32_e32 v3, 7, v96
; %bb.1051:                             ;   in Loop: Header=BB270_800 Depth=1
	s_or_b32 exec_lo, exec_lo, s20
	v_lshlrev_b32_e32 v2, 8, v2
	v_lshl_add_u32 v85, v85, 10, 0x2000
	v_lshlrev_b32_e32 v3, 7, v3
	v_and_b32_e32 v2, 0x8000, v2
	v_and_b32_e32 v85, 0xfc00, v85
	v_or3_b32 v85, v2, v85, v3
.LBB270_1052:                           ;   in Loop: Header=BB270_800 Depth=1
	s_or_b32 exec_lo, exec_lo, s19
.LBB270_1053:                           ;   in Loop: Header=BB270_800 Depth=1
	s_or_b32 exec_lo, exec_lo, s18
.LBB270_1054:                           ;   in Loop: Header=BB270_800 Depth=1
	s_or_b32 exec_lo, exec_lo, s15
	v_mov_b32_e32 v2, 0
	s_mov_b32 s15, exec_lo
	v_cmpx_lt_u64_e64 s[6:7], v[11:12]
	s_cbranch_execz .LBB270_1062
; %bb.1055:                             ;   in Loop: Header=BB270_800 Depth=1
	v_lshrrev_b32_e32 v3, 24, v12
	v_bfrev_b32_e32 v2, 1
	s_mov_b32 s18, exec_lo
	v_cmpx_ne_u32_e32 0x80, v3
	s_cbranch_execz .LBB270_1061
; %bb.1056:                             ;   in Loop: Header=BB270_800 Depth=1
	v_and_b32_e32 v12, 0x7f, v3
	v_mov_b32_e32 v2, 0x7c010000
	s_mov_b32 s19, exec_lo
	v_cmpx_ne_u32_e32 0x7f, v12
	s_cbranch_execz .LBB270_1060
; %bb.1057:                             ;   in Loop: Header=BB270_800 Depth=1
	v_and_b32_e32 v2, 7, v3
	v_lshrrev_b32_e32 v11, 3, v12
	s_mov_b32 s20, exec_lo
	v_cmpx_gt_u32_e32 8, v12
; %bb.1058:                             ;   in Loop: Header=BB270_800 Depth=1
	v_ffbh_u32_e32 v2, v2
	v_min_u32_e32 v2, 32, v2
	v_subrev_nc_u32_e32 v11, 28, v2
	v_lshlrev_b64 v[96:97], v11, v[3:4]
	v_sub_nc_u32_e32 v11, 29, v2
	v_and_b32_e32 v2, 7, v96
; %bb.1059:                             ;   in Loop: Header=BB270_800 Depth=1
	s_or_b32 exec_lo, exec_lo, s20
	v_lshlrev_b32_e32 v3, 8, v3
	v_lshl_add_u32 v11, v11, 10, 0x2000
	v_lshlrev_b32_e32 v2, 23, v2
	v_and_or_b32 v3, 0x8000, v3, v11
	v_lshl_or_b32 v2, v3, 16, v2
.LBB270_1060:                           ;   in Loop: Header=BB270_800 Depth=1
	s_or_b32 exec_lo, exec_lo, s19
.LBB270_1061:                           ;   in Loop: Header=BB270_800 Depth=1
	s_or_b32 exec_lo, exec_lo, s18
.LBB270_1062:                           ;   in Loop: Header=BB270_800 Depth=1
	s_or_b32 exec_lo, exec_lo, s15
	v_or_b32_e32 v3, v28, v30
	s_waitcnt vmcnt(0) lgkmcnt(0)
	v_fma_mixlo_f16 v11, v0, v28, 0 op_sel:[0,1,0] op_sel_hi:[0,1,0]
	v_or_b32_e32 v26, v1, v26
	v_or_b32_e32 v28, v27, v86
	;; [unrolled: 1-line block ×3, first 2 shown]
	v_fma_mixlo_f16 v12, v0, v1, 0 op_sel:[0,1,0] op_sel_hi:[0,1,0]
	v_fma_mixlo_f16 v3, v0, v3, 0 op_sel_hi:[0,1,0]
	v_lshlrev_b32_e32 v1, 16, v11
	v_fma_mixlo_f16 v11, v0, v26, 0 op_sel_hi:[0,1,0]
	v_fma_mixlo_f16 v26, v0, v27, 0 op_sel:[0,1,0] op_sel_hi:[0,1,0]
	v_fma_mixlo_f16 v27, v0, v28, 0 op_sel_hi:[0,1,0]
	v_fma_mixlo_f16 v28, v0, v2, 0 op_sel:[0,1,0] op_sel_hi:[0,1,0]
	v_fma_mixlo_f16 v30, v0, v30, 0 op_sel_hi:[0,1,0]
	v_lshlrev_b32_e32 v12, 16, v12
	v_and_b32_e32 v3, 0xffff, v3
	v_and_b32_e32 v86, 0xffff, v11
	v_lshlrev_b32_e32 v2, 16, v26
	v_and_b32_e32 v27, 0xffff, v27
	v_lshlrev_b32_e32 v0, 16, v28
	v_and_b32_e32 v11, 0xffff, v30
	v_or_b32_e32 v26, v1, v3
	v_or_b32_e32 v85, v12, v86
	;; [unrolled: 1-line block ×4, first 2 shown]
	s_and_saveexec_b32 s15, vcc_lo
	s_cbranch_execz .LBB270_1064
; %bb.1063:                             ;   in Loop: Header=BB270_800 Depth=1
	v_cmp_lt_i32_e64 s4, v52, v29
	v_cndmask_b32_e64 v26, 0, v86, s4
	v_cmp_lt_i32_e64 s4, v80, v29
	v_cndmask_b32_e64 v12, 0, v12, s4
	v_cmp_lt_i32_e64 s4, v71, v29
	v_or_b32_e32 v85, v26, v12
	v_cndmask_b32_e64 v3, 0, v3, s4
	v_cmp_lt_i32_e64 s4, v69, v29
	v_cndmask_b32_e64 v1, 0, v1, s4
	v_cmp_lt_i32_e64 s4, v66, v29
	v_or_b32_e32 v26, v3, v1
	;; [unrolled: 5-line block ×3, first 2 shown]
	v_cndmask_b32_e64 v11, 0, v11, s4
	v_cmp_lt_i32_e64 s4, v19, v29
	v_cndmask_b32_e64 v0, 0, v0, s4
	v_or_b32_e32 v28, v11, v0
.LBB270_1064:                           ;   in Loop: Header=BB270_800 Depth=1
	s_or_b32 exec_lo, exec_lo, s15
	;;#ASMSTART
	v_pk_mul_f16 v0, v68, v85;

	;;#ASMEND
	;;#ASMSTART
	v_pk_mul_f16 v1, v65, v26;

	;;#ASMEND
	;; [unrolled: 4-line block ×4, first 2 shown]
	;;#ASMSTART
	v_pk_add_f16 v0, v0, v1;

	;;#ASMEND
	;;#ASMSTART
	v_pk_add_f16 v0, v0, v2;

	;;#ASMEND
	;; [unrolled: 4-line block ×3, first 2 shown]
	v_and_b32_e32 v1, 0xffff, v0
	v_lshrrev_b32_e32 v0, 16, v0
	;;#ASMSTART
	v_cvt_f32_f16 v85, v1;
	;;#ASMEND
	;;#ASMSTART
	v_cvt_f32_f16 v86, v0;
	;;#ASMEND
	flat_load_dwordx2 v[11:12], v[9:10] offset:1024
	flat_load_dword v0, v[22:23]
	v_mov_b32_e32 v1, 0
	v_mov_b32_e32 v26, 0
	s_waitcnt vmcnt(1) lgkmcnt(1)
	v_cmp_ne_u16_sdwa s4, v11, v4 src0_sel:BYTE_0 src1_sel:DWORD
	s_and_saveexec_b32 s15, s4
	s_cbranch_execz .LBB270_1072
; %bb.1065:                             ;   in Loop: Header=BB270_800 Depth=1
	v_cmp_ne_u16_sdwa s4, v11, v34 src0_sel:BYTE_0 src1_sel:DWORD
	v_mov_b32_e32 v26, 0x8000
	s_and_saveexec_b32 s18, s4
	s_cbranch_execz .LBB270_1071
; %bb.1066:                             ;   in Loop: Header=BB270_800 Depth=1
	v_and_b32_e32 v27, 0x7f, v11
	v_mov_b32_e32 v26, 0x7c01
	s_mov_b32 s19, exec_lo
	v_cmpx_ne_u32_e32 0x7f, v27
	s_cbranch_execz .LBB270_1070
; %bb.1067:                             ;   in Loop: Header=BB270_800 Depth=1
	v_and_b32_e32 v2, 7, v11
	v_lshrrev_b32_e32 v3, 3, v27
	s_mov_b32 s20, exec_lo
	v_cmpx_gt_u32_e32 8, v27
; %bb.1068:                             ;   in Loop: Header=BB270_800 Depth=1
	v_ffbh_u32_e32 v2, v2
	v_min_u32_e32 v26, 32, v2
	v_subrev_nc_u32_e32 v2, 28, v26
	v_lshlrev_b64 v[2:3], v2, v[11:12]
	v_sub_nc_u32_e32 v3, 29, v26
	v_and_b32_e32 v2, 7, v2
; %bb.1069:                             ;   in Loop: Header=BB270_800 Depth=1
	s_or_b32 exec_lo, exec_lo, s20
	v_lshlrev_b32_e32 v26, 8, v11
	v_lshl_add_u32 v3, v3, 10, 0x2000
	v_lshlrev_b32_e32 v2, 7, v2
	v_and_b32_e32 v26, 0x8000, v26
	v_and_b32_e32 v3, 0xfc00, v3
	v_or3_b32 v26, v26, v3, v2
.LBB270_1070:                           ;   in Loop: Header=BB270_800 Depth=1
	s_or_b32 exec_lo, exec_lo, s19
.LBB270_1071:                           ;   in Loop: Header=BB270_800 Depth=1
	s_or_b32 exec_lo, exec_lo, s18
.LBB270_1072:                           ;   in Loop: Header=BB270_800 Depth=1
	s_or_b32 exec_lo, exec_lo, s15
	v_lshrrev_b16 v3, 8, v11
	s_mov_b32 s15, exec_lo
	v_cmpx_ne_u16_e32 0, v3
	s_cbranch_execz .LBB270_1080
; %bb.1073:                             ;   in Loop: Header=BB270_800 Depth=1
	v_bfrev_b32_e32 v1, 1
	s_mov_b32 s18, exec_lo
	v_cmpx_ne_u16_e32 0x80, v3
	s_cbranch_execz .LBB270_1079
; %bb.1074:                             ;   in Loop: Header=BB270_800 Depth=1
	v_and_b32_sdwa v27, v3, v48 dst_sel:DWORD dst_unused:UNUSED_PAD src0_sel:WORD_0 src1_sel:DWORD
	v_mov_b32_e32 v1, 0x7c010000
	s_mov_b32 s19, exec_lo
	v_cmpx_ne_u32_e32 0x7f, v27
	s_cbranch_execz .LBB270_1078
; %bb.1075:                             ;   in Loop: Header=BB270_800 Depth=1
	v_and_b32_sdwa v1, v3, v49 dst_sel:DWORD dst_unused:UNUSED_PAD src0_sel:WORD_0 src1_sel:DWORD
	v_lshrrev_b32_e32 v2, 3, v27
	s_mov_b32 s20, exec_lo
	v_cmpx_gt_u32_e32 8, v27
; %bb.1076:                             ;   in Loop: Header=BB270_800 Depth=1
	v_ffbh_u32_e32 v1, v1
	v_min_u32_e32 v27, 32, v1
	v_subrev_nc_u32_e32 v1, 28, v27
	v_lshlrev_b64 v[1:2], v1, v[3:4]
	v_sub_nc_u32_e32 v2, 29, v27
	v_and_b32_e32 v1, 7, v1
; %bb.1077:                             ;   in Loop: Header=BB270_800 Depth=1
	s_or_b32 exec_lo, exec_lo, s20
	v_lshlrev_b32_sdwa v3, v50, v3 dst_sel:DWORD dst_unused:UNUSED_PAD src0_sel:DWORD src1_sel:WORD_0
	v_lshl_add_u32 v2, v2, 10, 0x2000
	v_lshlrev_b32_e32 v1, 23, v1
	v_and_or_b32 v2, 0x8000, v3, v2
	v_lshl_or_b32 v1, v2, 16, v1
.LBB270_1078:                           ;   in Loop: Header=BB270_800 Depth=1
	s_or_b32 exec_lo, exec_lo, s19
.LBB270_1079:                           ;   in Loop: Header=BB270_800 Depth=1
	s_or_b32 exec_lo, exec_lo, s18
.LBB270_1080:                           ;   in Loop: Header=BB270_800 Depth=1
	s_or_b32 exec_lo, exec_lo, s15
	v_lshrrev_b32_e32 v2, 16, v11
	v_mov_b32_e32 v28, 0
	v_mov_b32_e32 v30, 0
	v_cmp_ne_u16_sdwa s4, v2, v4 src0_sel:BYTE_0 src1_sel:DWORD
	s_and_saveexec_b32 s15, s4
	s_cbranch_execz .LBB270_1088
; %bb.1081:                             ;   in Loop: Header=BB270_800 Depth=1
	v_cmp_ne_u16_sdwa s4, v2, v34 src0_sel:BYTE_0 src1_sel:DWORD
	v_mov_b32_e32 v30, 0x8000
	s_and_saveexec_b32 s18, s4
	s_cbranch_execz .LBB270_1087
; %bb.1082:                             ;   in Loop: Header=BB270_800 Depth=1
	v_bfe_u32 v87, v11, 16, 7
	v_mov_b32_e32 v30, 0x7c01
	s_mov_b32 s19, exec_lo
	v_cmpx_ne_u32_e32 0x7f, v87
	s_cbranch_execz .LBB270_1086
; %bb.1083:                             ;   in Loop: Header=BB270_800 Depth=1
	v_and_b32_e32 v3, 7, v2
	v_lshrrev_b32_e32 v27, 3, v87
	s_mov_b32 s20, exec_lo
	v_cmpx_gt_u32_e32 8, v87
; %bb.1084:                             ;   in Loop: Header=BB270_800 Depth=1
	v_ffbh_u32_e32 v3, v3
	v_min_u32_e32 v3, 32, v3
	v_subrev_nc_u32_e32 v27, 28, v3
	v_lshlrev_b64 v[96:97], v27, v[2:3]
	v_sub_nc_u32_e32 v27, 29, v3
	v_and_b32_e32 v3, 7, v96
; %bb.1085:                             ;   in Loop: Header=BB270_800 Depth=1
	s_or_b32 exec_lo, exec_lo, s20
	v_lshlrev_b32_e32 v2, 8, v2
	v_lshl_add_u32 v27, v27, 10, 0x2000
	v_lshlrev_b32_e32 v3, 7, v3
	v_and_b32_e32 v2, 0x8000, v2
	v_and_b32_e32 v27, 0xfc00, v27
	v_or3_b32 v30, v2, v27, v3
.LBB270_1086:                           ;   in Loop: Header=BB270_800 Depth=1
	s_or_b32 exec_lo, exec_lo, s19
.LBB270_1087:                           ;   in Loop: Header=BB270_800 Depth=1
	s_or_b32 exec_lo, exec_lo, s18
.LBB270_1088:                           ;   in Loop: Header=BB270_800 Depth=1
	s_or_b32 exec_lo, exec_lo, s15
	s_mov_b32 s15, exec_lo
	v_cmpx_lt_u32_e32 0xffffff, v11
	s_cbranch_execz .LBB270_1096
; %bb.1089:                             ;   in Loop: Header=BB270_800 Depth=1
	v_lshrrev_b32_e32 v3, 24, v11
	v_bfrev_b32_e32 v28, 1
	s_mov_b32 s18, exec_lo
	v_cmpx_ne_u32_e32 0x80, v3
	s_cbranch_execz .LBB270_1095
; %bb.1090:                             ;   in Loop: Header=BB270_800 Depth=1
	v_and_b32_e32 v87, 0x7f, v3
	v_mov_b32_e32 v28, 0x7c010000
	s_mov_b32 s19, exec_lo
	v_cmpx_ne_u32_e32 0x7f, v87
	s_cbranch_execz .LBB270_1094
; %bb.1091:                             ;   in Loop: Header=BB270_800 Depth=1
	v_and_b32_e32 v2, 7, v3
	v_lshrrev_b32_e32 v27, 3, v87
	s_mov_b32 s20, exec_lo
	v_cmpx_gt_u32_e32 8, v87
; %bb.1092:                             ;   in Loop: Header=BB270_800 Depth=1
	v_ffbh_u32_e32 v2, v2
	v_min_u32_e32 v2, 32, v2
	v_subrev_nc_u32_e32 v27, 28, v2
	v_lshlrev_b64 v[96:97], v27, v[3:4]
	v_sub_nc_u32_e32 v27, 29, v2
	v_and_b32_e32 v2, 7, v96
; %bb.1093:                             ;   in Loop: Header=BB270_800 Depth=1
	s_or_b32 exec_lo, exec_lo, s20
	v_lshlrev_b32_e32 v3, 8, v3
	v_lshl_add_u32 v27, v27, 10, 0x2000
	v_lshlrev_b32_e32 v2, 23, v2
	v_and_or_b32 v3, 0x8000, v3, v27
	v_lshl_or_b32 v28, v3, 16, v2
.LBB270_1094:                           ;   in Loop: Header=BB270_800 Depth=1
	s_or_b32 exec_lo, exec_lo, s19
.LBB270_1095:                           ;   in Loop: Header=BB270_800 Depth=1
	s_or_b32 exec_lo, exec_lo, s18
.LBB270_1096:                           ;   in Loop: Header=BB270_800 Depth=1
	s_or_b32 exec_lo, exec_lo, s15
	v_mov_b32_e32 v3, v12
	v_cmp_ne_u16_sdwa s4, v12, v4 src0_sel:BYTE_0 src1_sel:DWORD
	v_mov_b32_e32 v87, 0
	v_mov_b32_e32 v96, 0
	s_and_saveexec_b32 s15, s4
	s_cbranch_execz .LBB270_1104
; %bb.1097:                             ;   in Loop: Header=BB270_800 Depth=1
	v_cmp_ne_u16_sdwa s4, v12, v34 src0_sel:BYTE_0 src1_sel:DWORD
	v_mov_b32_e32 v96, 0x8000
	s_and_saveexec_b32 s18, s4
	s_cbranch_execz .LBB270_1103
; %bb.1098:                             ;   in Loop: Header=BB270_800 Depth=1
	v_and_b32_e32 v97, 0x7f, v12
	v_mov_b32_e32 v96, 0x7c01
	s_mov_b32 s19, exec_lo
	v_cmpx_ne_u32_e32 0x7f, v97
	s_cbranch_execz .LBB270_1102
; %bb.1099:                             ;   in Loop: Header=BB270_800 Depth=1
	v_and_b32_e32 v2, 7, v12
	v_lshrrev_b32_e32 v27, 3, v97
	s_mov_b32 s20, exec_lo
	v_cmpx_gt_u32_e32 8, v97
; %bb.1100:                             ;   in Loop: Header=BB270_800 Depth=1
	v_ffbh_u32_e32 v2, v2
	v_min_u32_e32 v2, 32, v2
	v_subrev_nc_u32_e32 v27, 28, v2
	v_lshlrev_b64 v[96:97], v27, v[3:4]
	v_sub_nc_u32_e32 v27, 29, v2
	v_and_b32_e32 v2, 7, v96
; %bb.1101:                             ;   in Loop: Header=BB270_800 Depth=1
	s_or_b32 exec_lo, exec_lo, s20
	v_lshlrev_b32_e32 v96, 8, v12
	v_lshl_add_u32 v27, v27, 10, 0x2000
	v_lshlrev_b32_e32 v2, 7, v2
	v_and_b32_e32 v96, 0x8000, v96
	v_and_b32_e32 v27, 0xfc00, v27
	v_or3_b32 v96, v96, v27, v2
.LBB270_1102:                           ;   in Loop: Header=BB270_800 Depth=1
	s_or_b32 exec_lo, exec_lo, s19
.LBB270_1103:                           ;   in Loop: Header=BB270_800 Depth=1
	s_or_b32 exec_lo, exec_lo, s18
.LBB270_1104:                           ;   in Loop: Header=BB270_800 Depth=1
	s_or_b32 exec_lo, exec_lo, s15
	v_lshrrev_b16 v3, 8, v3
	v_mov_b32_e32 v27, 0
	s_mov_b32 s15, exec_lo
	v_cmpx_ne_u16_e32 0, v3
	s_cbranch_execz .LBB270_1112
; %bb.1105:                             ;   in Loop: Header=BB270_800 Depth=1
	v_bfrev_b32_e32 v27, 1
	s_mov_b32 s18, exec_lo
	v_cmpx_ne_u16_e32 0x80, v3
	s_cbranch_execz .LBB270_1111
; %bb.1106:                             ;   in Loop: Header=BB270_800 Depth=1
	v_and_b32_sdwa v97, v3, v48 dst_sel:DWORD dst_unused:UNUSED_PAD src0_sel:WORD_0 src1_sel:DWORD
	v_mov_b32_e32 v27, 0x7c010000
	s_mov_b32 s19, exec_lo
	v_cmpx_ne_u32_e32 0x7f, v97
	s_cbranch_execz .LBB270_1110
; %bb.1107:                             ;   in Loop: Header=BB270_800 Depth=1
	v_and_b32_sdwa v2, v3, v49 dst_sel:DWORD dst_unused:UNUSED_PAD src0_sel:WORD_0 src1_sel:DWORD
	v_lshrrev_b32_e32 v27, 3, v97
	s_mov_b32 s20, exec_lo
	v_cmpx_gt_u32_e32 8, v97
; %bb.1108:                             ;   in Loop: Header=BB270_800 Depth=1
	v_ffbh_u32_e32 v2, v2
	v_min_u32_e32 v2, 32, v2
	v_subrev_nc_u32_e32 v27, 28, v2
	v_lshlrev_b64 v[97:98], v27, v[3:4]
	v_sub_nc_u32_e32 v27, 29, v2
	v_and_b32_e32 v2, 7, v97
; %bb.1109:                             ;   in Loop: Header=BB270_800 Depth=1
	s_or_b32 exec_lo, exec_lo, s20
	v_lshlrev_b32_sdwa v3, v50, v3 dst_sel:DWORD dst_unused:UNUSED_PAD src0_sel:DWORD src1_sel:WORD_0
	v_lshl_add_u32 v27, v27, 10, 0x2000
	v_lshlrev_b32_e32 v2, 23, v2
	v_and_or_b32 v3, 0x8000, v3, v27
	v_lshl_or_b32 v27, v3, 16, v2
.LBB270_1110:                           ;   in Loop: Header=BB270_800 Depth=1
	s_or_b32 exec_lo, exec_lo, s19
.LBB270_1111:                           ;   in Loop: Header=BB270_800 Depth=1
	s_or_b32 exec_lo, exec_lo, s18
.LBB270_1112:                           ;   in Loop: Header=BB270_800 Depth=1
	s_or_b32 exec_lo, exec_lo, s15
	v_lshrrev_b32_e32 v2, 16, v12
	v_cmp_ne_u16_sdwa s4, v2, v4 src0_sel:BYTE_0 src1_sel:DWORD
	s_and_saveexec_b32 s15, s4
	s_cbranch_execz .LBB270_1120
; %bb.1113:                             ;   in Loop: Header=BB270_800 Depth=1
	v_cmp_ne_u16_sdwa s4, v2, v34 src0_sel:BYTE_0 src1_sel:DWORD
	v_mov_b32_e32 v87, 0x8000
	s_and_saveexec_b32 s18, s4
	s_cbranch_execz .LBB270_1119
; %bb.1114:                             ;   in Loop: Header=BB270_800 Depth=1
	v_bfe_u32 v97, v12, 16, 7
	v_mov_b32_e32 v87, 0x7c01
	s_mov_b32 s19, exec_lo
	v_cmpx_ne_u32_e32 0x7f, v97
	s_cbranch_execz .LBB270_1118
; %bb.1115:                             ;   in Loop: Header=BB270_800 Depth=1
	v_and_b32_e32 v3, 7, v2
	v_lshrrev_b32_e32 v87, 3, v97
	s_mov_b32 s20, exec_lo
	v_cmpx_gt_u32_e32 8, v97
; %bb.1116:                             ;   in Loop: Header=BB270_800 Depth=1
	v_ffbh_u32_e32 v3, v3
	v_min_u32_e32 v3, 32, v3
	v_subrev_nc_u32_e32 v87, 28, v3
	v_lshlrev_b64 v[97:98], v87, v[2:3]
	v_sub_nc_u32_e32 v87, 29, v3
	v_and_b32_e32 v3, 7, v97
; %bb.1117:                             ;   in Loop: Header=BB270_800 Depth=1
	s_or_b32 exec_lo, exec_lo, s20
	v_lshlrev_b32_e32 v2, 8, v2
	v_lshl_add_u32 v87, v87, 10, 0x2000
	v_lshlrev_b32_e32 v3, 7, v3
	v_and_b32_e32 v2, 0x8000, v2
	v_and_b32_e32 v87, 0xfc00, v87
	v_or3_b32 v87, v2, v87, v3
.LBB270_1118:                           ;   in Loop: Header=BB270_800 Depth=1
	s_or_b32 exec_lo, exec_lo, s19
.LBB270_1119:                           ;   in Loop: Header=BB270_800 Depth=1
	s_or_b32 exec_lo, exec_lo, s18
.LBB270_1120:                           ;   in Loop: Header=BB270_800 Depth=1
	s_or_b32 exec_lo, exec_lo, s15
	v_mov_b32_e32 v2, 0
	s_mov_b32 s15, exec_lo
	v_cmpx_lt_u64_e64 s[6:7], v[11:12]
	s_cbranch_execz .LBB270_1128
; %bb.1121:                             ;   in Loop: Header=BB270_800 Depth=1
	v_lshrrev_b32_e32 v3, 24, v12
	v_bfrev_b32_e32 v2, 1
	s_mov_b32 s18, exec_lo
	v_cmpx_ne_u32_e32 0x80, v3
	s_cbranch_execz .LBB270_1127
; %bb.1122:                             ;   in Loop: Header=BB270_800 Depth=1
	v_and_b32_e32 v12, 0x7f, v3
	v_mov_b32_e32 v2, 0x7c010000
	s_mov_b32 s19, exec_lo
	v_cmpx_ne_u32_e32 0x7f, v12
	s_cbranch_execz .LBB270_1126
; %bb.1123:                             ;   in Loop: Header=BB270_800 Depth=1
	v_and_b32_e32 v2, 7, v3
	v_lshrrev_b32_e32 v11, 3, v12
	s_mov_b32 s20, exec_lo
	v_cmpx_gt_u32_e32 8, v12
; %bb.1124:                             ;   in Loop: Header=BB270_800 Depth=1
	v_ffbh_u32_e32 v2, v2
	v_min_u32_e32 v2, 32, v2
	v_subrev_nc_u32_e32 v11, 28, v2
	v_lshlrev_b64 v[97:98], v11, v[3:4]
	v_sub_nc_u32_e32 v11, 29, v2
	v_and_b32_e32 v2, 7, v97
; %bb.1125:                             ;   in Loop: Header=BB270_800 Depth=1
	s_or_b32 exec_lo, exec_lo, s20
	v_lshlrev_b32_e32 v3, 8, v3
	v_lshl_add_u32 v11, v11, 10, 0x2000
	v_lshlrev_b32_e32 v2, 23, v2
	v_and_or_b32 v3, 0x8000, v3, v11
	v_lshl_or_b32 v2, v3, 16, v2
.LBB270_1126:                           ;   in Loop: Header=BB270_800 Depth=1
	s_or_b32 exec_lo, exec_lo, s19
.LBB270_1127:                           ;   in Loop: Header=BB270_800 Depth=1
	s_or_b32 exec_lo, exec_lo, s18
.LBB270_1128:                           ;   in Loop: Header=BB270_800 Depth=1
	s_or_b32 exec_lo, exec_lo, s15
	v_or_b32_e32 v3, v28, v30
	s_waitcnt vmcnt(0) lgkmcnt(0)
	v_fma_mixlo_f16 v11, v0, v28, 0 op_sel:[0,1,0] op_sel_hi:[0,1,0]
	v_or_b32_e32 v26, v1, v26
	v_or_b32_e32 v28, v27, v96
	;; [unrolled: 1-line block ×3, first 2 shown]
	v_fma_mixlo_f16 v12, v0, v1, 0 op_sel:[0,1,0] op_sel_hi:[0,1,0]
	v_fma_mixlo_f16 v3, v0, v3, 0 op_sel_hi:[0,1,0]
	v_lshlrev_b32_e32 v1, 16, v11
	v_fma_mixlo_f16 v11, v0, v26, 0 op_sel_hi:[0,1,0]
	v_fma_mixlo_f16 v26, v0, v27, 0 op_sel:[0,1,0] op_sel_hi:[0,1,0]
	v_fma_mixlo_f16 v27, v0, v28, 0 op_sel_hi:[0,1,0]
	v_fma_mixlo_f16 v28, v0, v2, 0 op_sel:[0,1,0] op_sel_hi:[0,1,0]
	v_fma_mixlo_f16 v30, v0, v30, 0 op_sel_hi:[0,1,0]
	v_lshlrev_b32_e32 v12, 16, v12
	v_and_b32_e32 v3, 0xffff, v3
	v_and_b32_e32 v96, 0xffff, v11
	v_lshlrev_b32_e32 v2, 16, v26
	v_and_b32_e32 v27, 0xffff, v27
	v_lshlrev_b32_e32 v0, 16, v28
	v_and_b32_e32 v11, 0xffff, v30
	v_or_b32_e32 v26, v1, v3
	v_or_b32_e32 v87, v12, v96
	;; [unrolled: 1-line block ×4, first 2 shown]
	s_and_saveexec_b32 s15, vcc_lo
	s_cbranch_execz .LBB270_1130
; %bb.1129:                             ;   in Loop: Header=BB270_800 Depth=1
	v_cmp_lt_i32_e64 s4, v52, v29
	v_cndmask_b32_e64 v26, 0, v96, s4
	v_cmp_lt_i32_e64 s4, v80, v29
	v_cndmask_b32_e64 v12, 0, v12, s4
	v_cmp_lt_i32_e64 s4, v71, v29
	v_or_b32_e32 v87, v26, v12
	v_cndmask_b32_e64 v3, 0, v3, s4
	v_cmp_lt_i32_e64 s4, v69, v29
	v_cndmask_b32_e64 v1, 0, v1, s4
	v_cmp_lt_i32_e64 s4, v66, v29
	v_or_b32_e32 v26, v3, v1
	;; [unrolled: 5-line block ×3, first 2 shown]
	v_cndmask_b32_e64 v11, 0, v11, s4
	v_cmp_lt_i32_e64 s4, v19, v29
	v_cndmask_b32_e64 v0, 0, v0, s4
	v_or_b32_e32 v28, v11, v0
.LBB270_1130:                           ;   in Loop: Header=BB270_800 Depth=1
	s_or_b32 exec_lo, exec_lo, s15
	;;#ASMSTART
	v_pk_mul_f16 v0, v68, v87;

	;;#ASMEND
	;;#ASMSTART
	v_pk_mul_f16 v1, v65, v26;

	;;#ASMEND
	;; [unrolled: 4-line block ×4, first 2 shown]
	;;#ASMSTART
	v_pk_add_f16 v0, v0, v1;

	;;#ASMEND
	;;#ASMSTART
	v_pk_add_f16 v0, v0, v2;

	;;#ASMEND
	;;#ASMSTART
	v_pk_add_f16 v0, v0, v3;

	;;#ASMEND
	v_and_b32_e32 v1, 0xffff, v0
	v_lshrrev_b32_e32 v0, 16, v0
	;;#ASMSTART
	v_cvt_f32_f16 v87, v1;
	;;#ASMEND
	;;#ASMSTART
	v_cvt_f32_f16 v96, v0;
	;;#ASMEND
	flat_load_dwordx2 v[11:12], v[9:10] offset:1280
	flat_load_dword v0, v[22:23]
	v_mov_b32_e32 v1, 0
	v_mov_b32_e32 v26, 0
	s_waitcnt vmcnt(1) lgkmcnt(1)
	v_cmp_ne_u16_sdwa s4, v11, v4 src0_sel:BYTE_0 src1_sel:DWORD
	s_and_saveexec_b32 s15, s4
	s_cbranch_execz .LBB270_1138
; %bb.1131:                             ;   in Loop: Header=BB270_800 Depth=1
	v_cmp_ne_u16_sdwa s4, v11, v34 src0_sel:BYTE_0 src1_sel:DWORD
	v_mov_b32_e32 v26, 0x8000
	s_and_saveexec_b32 s18, s4
	s_cbranch_execz .LBB270_1137
; %bb.1132:                             ;   in Loop: Header=BB270_800 Depth=1
	v_and_b32_e32 v27, 0x7f, v11
	v_mov_b32_e32 v26, 0x7c01
	s_mov_b32 s19, exec_lo
	v_cmpx_ne_u32_e32 0x7f, v27
	s_cbranch_execz .LBB270_1136
; %bb.1133:                             ;   in Loop: Header=BB270_800 Depth=1
	v_and_b32_e32 v2, 7, v11
	v_lshrrev_b32_e32 v3, 3, v27
	s_mov_b32 s20, exec_lo
	v_cmpx_gt_u32_e32 8, v27
; %bb.1134:                             ;   in Loop: Header=BB270_800 Depth=1
	v_ffbh_u32_e32 v2, v2
	v_min_u32_e32 v26, 32, v2
	v_subrev_nc_u32_e32 v2, 28, v26
	v_lshlrev_b64 v[2:3], v2, v[11:12]
	v_sub_nc_u32_e32 v3, 29, v26
	v_and_b32_e32 v2, 7, v2
; %bb.1135:                             ;   in Loop: Header=BB270_800 Depth=1
	s_or_b32 exec_lo, exec_lo, s20
	v_lshlrev_b32_e32 v26, 8, v11
	v_lshl_add_u32 v3, v3, 10, 0x2000
	v_lshlrev_b32_e32 v2, 7, v2
	v_and_b32_e32 v26, 0x8000, v26
	v_and_b32_e32 v3, 0xfc00, v3
	v_or3_b32 v26, v26, v3, v2
.LBB270_1136:                           ;   in Loop: Header=BB270_800 Depth=1
	s_or_b32 exec_lo, exec_lo, s19
.LBB270_1137:                           ;   in Loop: Header=BB270_800 Depth=1
	s_or_b32 exec_lo, exec_lo, s18
.LBB270_1138:                           ;   in Loop: Header=BB270_800 Depth=1
	s_or_b32 exec_lo, exec_lo, s15
	v_lshrrev_b16 v3, 8, v11
	s_mov_b32 s15, exec_lo
	v_cmpx_ne_u16_e32 0, v3
	s_cbranch_execz .LBB270_1146
; %bb.1139:                             ;   in Loop: Header=BB270_800 Depth=1
	v_bfrev_b32_e32 v1, 1
	s_mov_b32 s18, exec_lo
	v_cmpx_ne_u16_e32 0x80, v3
	s_cbranch_execz .LBB270_1145
; %bb.1140:                             ;   in Loop: Header=BB270_800 Depth=1
	v_and_b32_sdwa v27, v3, v48 dst_sel:DWORD dst_unused:UNUSED_PAD src0_sel:WORD_0 src1_sel:DWORD
	v_mov_b32_e32 v1, 0x7c010000
	s_mov_b32 s19, exec_lo
	v_cmpx_ne_u32_e32 0x7f, v27
	s_cbranch_execz .LBB270_1144
; %bb.1141:                             ;   in Loop: Header=BB270_800 Depth=1
	v_and_b32_sdwa v1, v3, v49 dst_sel:DWORD dst_unused:UNUSED_PAD src0_sel:WORD_0 src1_sel:DWORD
	v_lshrrev_b32_e32 v2, 3, v27
	s_mov_b32 s20, exec_lo
	v_cmpx_gt_u32_e32 8, v27
; %bb.1142:                             ;   in Loop: Header=BB270_800 Depth=1
	v_ffbh_u32_e32 v1, v1
	v_min_u32_e32 v27, 32, v1
	v_subrev_nc_u32_e32 v1, 28, v27
	v_lshlrev_b64 v[1:2], v1, v[3:4]
	v_sub_nc_u32_e32 v2, 29, v27
	v_and_b32_e32 v1, 7, v1
; %bb.1143:                             ;   in Loop: Header=BB270_800 Depth=1
	s_or_b32 exec_lo, exec_lo, s20
	v_lshlrev_b32_sdwa v3, v50, v3 dst_sel:DWORD dst_unused:UNUSED_PAD src0_sel:DWORD src1_sel:WORD_0
	v_lshl_add_u32 v2, v2, 10, 0x2000
	v_lshlrev_b32_e32 v1, 23, v1
	v_and_or_b32 v2, 0x8000, v3, v2
	v_lshl_or_b32 v1, v2, 16, v1
.LBB270_1144:                           ;   in Loop: Header=BB270_800 Depth=1
	s_or_b32 exec_lo, exec_lo, s19
.LBB270_1145:                           ;   in Loop: Header=BB270_800 Depth=1
	s_or_b32 exec_lo, exec_lo, s18
.LBB270_1146:                           ;   in Loop: Header=BB270_800 Depth=1
	s_or_b32 exec_lo, exec_lo, s15
	v_lshrrev_b32_e32 v2, 16, v11
	v_mov_b32_e32 v28, 0
	v_mov_b32_e32 v30, 0
	v_cmp_ne_u16_sdwa s4, v2, v4 src0_sel:BYTE_0 src1_sel:DWORD
	s_and_saveexec_b32 s15, s4
	s_cbranch_execz .LBB270_1154
; %bb.1147:                             ;   in Loop: Header=BB270_800 Depth=1
	v_cmp_ne_u16_sdwa s4, v2, v34 src0_sel:BYTE_0 src1_sel:DWORD
	v_mov_b32_e32 v30, 0x8000
	s_and_saveexec_b32 s18, s4
	s_cbranch_execz .LBB270_1153
; %bb.1148:                             ;   in Loop: Header=BB270_800 Depth=1
	v_bfe_u32 v97, v11, 16, 7
	v_mov_b32_e32 v30, 0x7c01
	s_mov_b32 s19, exec_lo
	v_cmpx_ne_u32_e32 0x7f, v97
	s_cbranch_execz .LBB270_1152
; %bb.1149:                             ;   in Loop: Header=BB270_800 Depth=1
	v_and_b32_e32 v3, 7, v2
	v_lshrrev_b32_e32 v27, 3, v97
	s_mov_b32 s20, exec_lo
	v_cmpx_gt_u32_e32 8, v97
; %bb.1150:                             ;   in Loop: Header=BB270_800 Depth=1
	v_ffbh_u32_e32 v3, v3
	v_min_u32_e32 v3, 32, v3
	v_subrev_nc_u32_e32 v27, 28, v3
	v_lshlrev_b64 v[97:98], v27, v[2:3]
	v_sub_nc_u32_e32 v27, 29, v3
	v_and_b32_e32 v3, 7, v97
; %bb.1151:                             ;   in Loop: Header=BB270_800 Depth=1
	s_or_b32 exec_lo, exec_lo, s20
	v_lshlrev_b32_e32 v2, 8, v2
	v_lshl_add_u32 v27, v27, 10, 0x2000
	v_lshlrev_b32_e32 v3, 7, v3
	v_and_b32_e32 v2, 0x8000, v2
	v_and_b32_e32 v27, 0xfc00, v27
	v_or3_b32 v30, v2, v27, v3
.LBB270_1152:                           ;   in Loop: Header=BB270_800 Depth=1
	s_or_b32 exec_lo, exec_lo, s19
.LBB270_1153:                           ;   in Loop: Header=BB270_800 Depth=1
	s_or_b32 exec_lo, exec_lo, s18
.LBB270_1154:                           ;   in Loop: Header=BB270_800 Depth=1
	s_or_b32 exec_lo, exec_lo, s15
	s_mov_b32 s15, exec_lo
	v_cmpx_lt_u32_e32 0xffffff, v11
	s_cbranch_execz .LBB270_1162
; %bb.1155:                             ;   in Loop: Header=BB270_800 Depth=1
	v_lshrrev_b32_e32 v3, 24, v11
	v_bfrev_b32_e32 v28, 1
	s_mov_b32 s18, exec_lo
	v_cmpx_ne_u32_e32 0x80, v3
	s_cbranch_execz .LBB270_1161
; %bb.1156:                             ;   in Loop: Header=BB270_800 Depth=1
	v_and_b32_e32 v97, 0x7f, v3
	v_mov_b32_e32 v28, 0x7c010000
	s_mov_b32 s19, exec_lo
	v_cmpx_ne_u32_e32 0x7f, v97
	s_cbranch_execz .LBB270_1160
; %bb.1157:                             ;   in Loop: Header=BB270_800 Depth=1
	v_and_b32_e32 v2, 7, v3
	v_lshrrev_b32_e32 v27, 3, v97
	s_mov_b32 s20, exec_lo
	v_cmpx_gt_u32_e32 8, v97
; %bb.1158:                             ;   in Loop: Header=BB270_800 Depth=1
	v_ffbh_u32_e32 v2, v2
	v_min_u32_e32 v2, 32, v2
	v_subrev_nc_u32_e32 v27, 28, v2
	v_lshlrev_b64 v[97:98], v27, v[3:4]
	v_sub_nc_u32_e32 v27, 29, v2
	v_and_b32_e32 v2, 7, v97
; %bb.1159:                             ;   in Loop: Header=BB270_800 Depth=1
	s_or_b32 exec_lo, exec_lo, s20
	v_lshlrev_b32_e32 v3, 8, v3
	v_lshl_add_u32 v27, v27, 10, 0x2000
	v_lshlrev_b32_e32 v2, 23, v2
	v_and_or_b32 v3, 0x8000, v3, v27
	v_lshl_or_b32 v28, v3, 16, v2
.LBB270_1160:                           ;   in Loop: Header=BB270_800 Depth=1
	s_or_b32 exec_lo, exec_lo, s19
.LBB270_1161:                           ;   in Loop: Header=BB270_800 Depth=1
	s_or_b32 exec_lo, exec_lo, s18
.LBB270_1162:                           ;   in Loop: Header=BB270_800 Depth=1
	s_or_b32 exec_lo, exec_lo, s15
	v_mov_b32_e32 v3, v12
	v_cmp_ne_u16_sdwa s4, v12, v4 src0_sel:BYTE_0 src1_sel:DWORD
	v_mov_b32_e32 v97, 0
	v_mov_b32_e32 v98, 0
	s_and_saveexec_b32 s15, s4
	s_cbranch_execz .LBB270_1170
; %bb.1163:                             ;   in Loop: Header=BB270_800 Depth=1
	v_cmp_ne_u16_sdwa s4, v12, v34 src0_sel:BYTE_0 src1_sel:DWORD
	v_mov_b32_e32 v98, 0x8000
	s_and_saveexec_b32 s18, s4
	s_cbranch_execz .LBB270_1169
; %bb.1164:                             ;   in Loop: Header=BB270_800 Depth=1
	v_and_b32_e32 v99, 0x7f, v12
	v_mov_b32_e32 v98, 0x7c01
	s_mov_b32 s19, exec_lo
	v_cmpx_ne_u32_e32 0x7f, v99
	s_cbranch_execz .LBB270_1168
; %bb.1165:                             ;   in Loop: Header=BB270_800 Depth=1
	v_and_b32_e32 v2, 7, v12
	v_lshrrev_b32_e32 v27, 3, v99
	s_mov_b32 s20, exec_lo
	v_cmpx_gt_u32_e32 8, v99
; %bb.1166:                             ;   in Loop: Header=BB270_800 Depth=1
	v_ffbh_u32_e32 v2, v2
	v_min_u32_e32 v2, 32, v2
	v_subrev_nc_u32_e32 v27, 28, v2
	v_lshlrev_b64 v[98:99], v27, v[3:4]
	v_sub_nc_u32_e32 v27, 29, v2
	v_and_b32_e32 v2, 7, v98
; %bb.1167:                             ;   in Loop: Header=BB270_800 Depth=1
	s_or_b32 exec_lo, exec_lo, s20
	v_lshlrev_b32_e32 v98, 8, v12
	v_lshl_add_u32 v27, v27, 10, 0x2000
	v_lshlrev_b32_e32 v2, 7, v2
	v_and_b32_e32 v98, 0x8000, v98
	v_and_b32_e32 v27, 0xfc00, v27
	v_or3_b32 v98, v98, v27, v2
.LBB270_1168:                           ;   in Loop: Header=BB270_800 Depth=1
	s_or_b32 exec_lo, exec_lo, s19
.LBB270_1169:                           ;   in Loop: Header=BB270_800 Depth=1
	s_or_b32 exec_lo, exec_lo, s18
.LBB270_1170:                           ;   in Loop: Header=BB270_800 Depth=1
	s_or_b32 exec_lo, exec_lo, s15
	v_lshrrev_b16 v3, 8, v3
	v_mov_b32_e32 v27, 0
	s_mov_b32 s15, exec_lo
	v_cmpx_ne_u16_e32 0, v3
	s_cbranch_execz .LBB270_1178
; %bb.1171:                             ;   in Loop: Header=BB270_800 Depth=1
	v_bfrev_b32_e32 v27, 1
	s_mov_b32 s18, exec_lo
	v_cmpx_ne_u16_e32 0x80, v3
	s_cbranch_execz .LBB270_1177
; %bb.1172:                             ;   in Loop: Header=BB270_800 Depth=1
	v_and_b32_sdwa v99, v3, v48 dst_sel:DWORD dst_unused:UNUSED_PAD src0_sel:WORD_0 src1_sel:DWORD
	v_mov_b32_e32 v27, 0x7c010000
	s_mov_b32 s19, exec_lo
	v_cmpx_ne_u32_e32 0x7f, v99
	s_cbranch_execz .LBB270_1176
; %bb.1173:                             ;   in Loop: Header=BB270_800 Depth=1
	v_and_b32_sdwa v2, v3, v49 dst_sel:DWORD dst_unused:UNUSED_PAD src0_sel:WORD_0 src1_sel:DWORD
	v_lshrrev_b32_e32 v27, 3, v99
	s_mov_b32 s20, exec_lo
	v_cmpx_gt_u32_e32 8, v99
; %bb.1174:                             ;   in Loop: Header=BB270_800 Depth=1
	v_ffbh_u32_e32 v2, v2
	v_min_u32_e32 v2, 32, v2
	v_subrev_nc_u32_e32 v27, 28, v2
	v_lshlrev_b64 v[99:100], v27, v[3:4]
	v_sub_nc_u32_e32 v27, 29, v2
	v_and_b32_e32 v2, 7, v99
; %bb.1175:                             ;   in Loop: Header=BB270_800 Depth=1
	s_or_b32 exec_lo, exec_lo, s20
	v_lshlrev_b32_sdwa v3, v50, v3 dst_sel:DWORD dst_unused:UNUSED_PAD src0_sel:DWORD src1_sel:WORD_0
	v_lshl_add_u32 v27, v27, 10, 0x2000
	v_lshlrev_b32_e32 v2, 23, v2
	v_and_or_b32 v3, 0x8000, v3, v27
	v_lshl_or_b32 v27, v3, 16, v2
.LBB270_1176:                           ;   in Loop: Header=BB270_800 Depth=1
	s_or_b32 exec_lo, exec_lo, s19
.LBB270_1177:                           ;   in Loop: Header=BB270_800 Depth=1
	s_or_b32 exec_lo, exec_lo, s18
.LBB270_1178:                           ;   in Loop: Header=BB270_800 Depth=1
	s_or_b32 exec_lo, exec_lo, s15
	v_lshrrev_b32_e32 v2, 16, v12
	v_cmp_ne_u16_sdwa s4, v2, v4 src0_sel:BYTE_0 src1_sel:DWORD
	s_and_saveexec_b32 s15, s4
	s_cbranch_execz .LBB270_1186
; %bb.1179:                             ;   in Loop: Header=BB270_800 Depth=1
	v_cmp_ne_u16_sdwa s4, v2, v34 src0_sel:BYTE_0 src1_sel:DWORD
	v_mov_b32_e32 v97, 0x8000
	s_and_saveexec_b32 s18, s4
	s_cbranch_execz .LBB270_1185
; %bb.1180:                             ;   in Loop: Header=BB270_800 Depth=1
	v_bfe_u32 v99, v12, 16, 7
	v_mov_b32_e32 v97, 0x7c01
	s_mov_b32 s19, exec_lo
	v_cmpx_ne_u32_e32 0x7f, v99
	s_cbranch_execz .LBB270_1184
; %bb.1181:                             ;   in Loop: Header=BB270_800 Depth=1
	v_and_b32_e32 v3, 7, v2
	v_lshrrev_b32_e32 v97, 3, v99
	s_mov_b32 s20, exec_lo
	v_cmpx_gt_u32_e32 8, v99
; %bb.1182:                             ;   in Loop: Header=BB270_800 Depth=1
	v_ffbh_u32_e32 v3, v3
	v_min_u32_e32 v3, 32, v3
	v_subrev_nc_u32_e32 v97, 28, v3
	v_lshlrev_b64 v[99:100], v97, v[2:3]
	v_sub_nc_u32_e32 v97, 29, v3
	v_and_b32_e32 v3, 7, v99
; %bb.1183:                             ;   in Loop: Header=BB270_800 Depth=1
	s_or_b32 exec_lo, exec_lo, s20
	v_lshlrev_b32_e32 v2, 8, v2
	v_lshl_add_u32 v97, v97, 10, 0x2000
	v_lshlrev_b32_e32 v3, 7, v3
	v_and_b32_e32 v2, 0x8000, v2
	v_and_b32_e32 v97, 0xfc00, v97
	v_or3_b32 v97, v2, v97, v3
.LBB270_1184:                           ;   in Loop: Header=BB270_800 Depth=1
	s_or_b32 exec_lo, exec_lo, s19
.LBB270_1185:                           ;   in Loop: Header=BB270_800 Depth=1
	s_or_b32 exec_lo, exec_lo, s18
.LBB270_1186:                           ;   in Loop: Header=BB270_800 Depth=1
	s_or_b32 exec_lo, exec_lo, s15
	v_mov_b32_e32 v2, 0
	s_mov_b32 s15, exec_lo
	v_cmpx_lt_u64_e64 s[6:7], v[11:12]
	s_cbranch_execz .LBB270_1194
; %bb.1187:                             ;   in Loop: Header=BB270_800 Depth=1
	v_lshrrev_b32_e32 v3, 24, v12
	v_bfrev_b32_e32 v2, 1
	s_mov_b32 s18, exec_lo
	v_cmpx_ne_u32_e32 0x80, v3
	s_cbranch_execz .LBB270_1193
; %bb.1188:                             ;   in Loop: Header=BB270_800 Depth=1
	v_and_b32_e32 v12, 0x7f, v3
	v_mov_b32_e32 v2, 0x7c010000
	s_mov_b32 s19, exec_lo
	v_cmpx_ne_u32_e32 0x7f, v12
	s_cbranch_execz .LBB270_1192
; %bb.1189:                             ;   in Loop: Header=BB270_800 Depth=1
	v_and_b32_e32 v2, 7, v3
	v_lshrrev_b32_e32 v11, 3, v12
	s_mov_b32 s20, exec_lo
	v_cmpx_gt_u32_e32 8, v12
; %bb.1190:                             ;   in Loop: Header=BB270_800 Depth=1
	v_ffbh_u32_e32 v2, v2
	v_min_u32_e32 v2, 32, v2
	v_subrev_nc_u32_e32 v11, 28, v2
	v_lshlrev_b64 v[99:100], v11, v[3:4]
	v_sub_nc_u32_e32 v11, 29, v2
	v_and_b32_e32 v2, 7, v99
; %bb.1191:                             ;   in Loop: Header=BB270_800 Depth=1
	s_or_b32 exec_lo, exec_lo, s20
	v_lshlrev_b32_e32 v3, 8, v3
	v_lshl_add_u32 v11, v11, 10, 0x2000
	v_lshlrev_b32_e32 v2, 23, v2
	v_and_or_b32 v3, 0x8000, v3, v11
	v_lshl_or_b32 v2, v3, 16, v2
.LBB270_1192:                           ;   in Loop: Header=BB270_800 Depth=1
	s_or_b32 exec_lo, exec_lo, s19
.LBB270_1193:                           ;   in Loop: Header=BB270_800 Depth=1
	s_or_b32 exec_lo, exec_lo, s18
.LBB270_1194:                           ;   in Loop: Header=BB270_800 Depth=1
	s_or_b32 exec_lo, exec_lo, s15
	v_or_b32_e32 v3, v28, v30
	s_waitcnt vmcnt(0) lgkmcnt(0)
	v_fma_mixlo_f16 v11, v0, v28, 0 op_sel:[0,1,0] op_sel_hi:[0,1,0]
	v_or_b32_e32 v26, v1, v26
	v_or_b32_e32 v28, v27, v98
	;; [unrolled: 1-line block ×3, first 2 shown]
	v_fma_mixlo_f16 v12, v0, v1, 0 op_sel:[0,1,0] op_sel_hi:[0,1,0]
	v_fma_mixlo_f16 v3, v0, v3, 0 op_sel_hi:[0,1,0]
	v_lshlrev_b32_e32 v1, 16, v11
	v_fma_mixlo_f16 v11, v0, v26, 0 op_sel_hi:[0,1,0]
	v_fma_mixlo_f16 v26, v0, v27, 0 op_sel:[0,1,0] op_sel_hi:[0,1,0]
	v_fma_mixlo_f16 v27, v0, v28, 0 op_sel_hi:[0,1,0]
	v_fma_mixlo_f16 v28, v0, v2, 0 op_sel:[0,1,0] op_sel_hi:[0,1,0]
	v_fma_mixlo_f16 v30, v0, v30, 0 op_sel_hi:[0,1,0]
	v_lshlrev_b32_e32 v12, 16, v12
	v_and_b32_e32 v3, 0xffff, v3
	v_and_b32_e32 v98, 0xffff, v11
	v_lshlrev_b32_e32 v2, 16, v26
	v_and_b32_e32 v27, 0xffff, v27
	v_lshlrev_b32_e32 v0, 16, v28
	v_and_b32_e32 v11, 0xffff, v30
	v_or_b32_e32 v26, v1, v3
	v_or_b32_e32 v97, v12, v98
	v_or_b32_e32 v30, v2, v27
	v_or_b32_e32 v28, v0, v11
	s_and_saveexec_b32 s15, vcc_lo
	s_cbranch_execz .LBB270_1196
; %bb.1195:                             ;   in Loop: Header=BB270_800 Depth=1
	v_cmp_lt_i32_e64 s4, v52, v29
	v_cndmask_b32_e64 v26, 0, v98, s4
	v_cmp_lt_i32_e64 s4, v80, v29
	v_cndmask_b32_e64 v12, 0, v12, s4
	v_cmp_lt_i32_e64 s4, v71, v29
	v_or_b32_e32 v97, v26, v12
	v_cndmask_b32_e64 v3, 0, v3, s4
	v_cmp_lt_i32_e64 s4, v69, v29
	v_cndmask_b32_e64 v1, 0, v1, s4
	v_cmp_lt_i32_e64 s4, v66, v29
	v_or_b32_e32 v26, v3, v1
	;; [unrolled: 5-line block ×3, first 2 shown]
	v_cndmask_b32_e64 v11, 0, v11, s4
	v_cmp_lt_i32_e64 s4, v19, v29
	v_cndmask_b32_e64 v0, 0, v0, s4
	v_or_b32_e32 v28, v11, v0
.LBB270_1196:                           ;   in Loop: Header=BB270_800 Depth=1
	s_or_b32 exec_lo, exec_lo, s15
	;;#ASMSTART
	v_pk_mul_f16 v0, v68, v97;

	;;#ASMEND
	;;#ASMSTART
	v_pk_mul_f16 v1, v65, v26;

	;;#ASMEND
	;; [unrolled: 4-line block ×4, first 2 shown]
	;;#ASMSTART
	v_pk_add_f16 v0, v0, v1;

	;;#ASMEND
	;;#ASMSTART
	v_pk_add_f16 v0, v0, v2;

	;;#ASMEND
	;; [unrolled: 4-line block ×3, first 2 shown]
	v_and_b32_e32 v1, 0xffff, v0
	v_lshrrev_b32_e32 v0, 16, v0
	;;#ASMSTART
	v_cvt_f32_f16 v97, v1;
	;;#ASMEND
	;;#ASMSTART
	v_cvt_f32_f16 v98, v0;
	;;#ASMEND
	flat_load_dwordx2 v[11:12], v[9:10] offset:1536
	flat_load_dword v0, v[22:23]
	v_mov_b32_e32 v1, 0
	v_mov_b32_e32 v26, 0
	s_waitcnt vmcnt(1) lgkmcnt(1)
	v_cmp_ne_u16_sdwa s4, v11, v4 src0_sel:BYTE_0 src1_sel:DWORD
	s_and_saveexec_b32 s15, s4
	s_cbranch_execz .LBB270_1204
; %bb.1197:                             ;   in Loop: Header=BB270_800 Depth=1
	v_cmp_ne_u16_sdwa s4, v11, v34 src0_sel:BYTE_0 src1_sel:DWORD
	v_mov_b32_e32 v26, 0x8000
	s_and_saveexec_b32 s18, s4
	s_cbranch_execz .LBB270_1203
; %bb.1198:                             ;   in Loop: Header=BB270_800 Depth=1
	v_and_b32_e32 v27, 0x7f, v11
	v_mov_b32_e32 v26, 0x7c01
	s_mov_b32 s19, exec_lo
	v_cmpx_ne_u32_e32 0x7f, v27
	s_cbranch_execz .LBB270_1202
; %bb.1199:                             ;   in Loop: Header=BB270_800 Depth=1
	v_and_b32_e32 v2, 7, v11
	v_lshrrev_b32_e32 v3, 3, v27
	s_mov_b32 s20, exec_lo
	v_cmpx_gt_u32_e32 8, v27
; %bb.1200:                             ;   in Loop: Header=BB270_800 Depth=1
	v_ffbh_u32_e32 v2, v2
	v_min_u32_e32 v26, 32, v2
	v_subrev_nc_u32_e32 v2, 28, v26
	v_lshlrev_b64 v[2:3], v2, v[11:12]
	v_sub_nc_u32_e32 v3, 29, v26
	v_and_b32_e32 v2, 7, v2
; %bb.1201:                             ;   in Loop: Header=BB270_800 Depth=1
	s_or_b32 exec_lo, exec_lo, s20
	v_lshlrev_b32_e32 v26, 8, v11
	v_lshl_add_u32 v3, v3, 10, 0x2000
	v_lshlrev_b32_e32 v2, 7, v2
	v_and_b32_e32 v26, 0x8000, v26
	v_and_b32_e32 v3, 0xfc00, v3
	v_or3_b32 v26, v26, v3, v2
.LBB270_1202:                           ;   in Loop: Header=BB270_800 Depth=1
	s_or_b32 exec_lo, exec_lo, s19
.LBB270_1203:                           ;   in Loop: Header=BB270_800 Depth=1
	s_or_b32 exec_lo, exec_lo, s18
.LBB270_1204:                           ;   in Loop: Header=BB270_800 Depth=1
	s_or_b32 exec_lo, exec_lo, s15
	v_lshrrev_b16 v3, 8, v11
	s_mov_b32 s15, exec_lo
	v_cmpx_ne_u16_e32 0, v3
	s_cbranch_execz .LBB270_1212
; %bb.1205:                             ;   in Loop: Header=BB270_800 Depth=1
	v_bfrev_b32_e32 v1, 1
	s_mov_b32 s18, exec_lo
	v_cmpx_ne_u16_e32 0x80, v3
	s_cbranch_execz .LBB270_1211
; %bb.1206:                             ;   in Loop: Header=BB270_800 Depth=1
	v_and_b32_sdwa v27, v3, v48 dst_sel:DWORD dst_unused:UNUSED_PAD src0_sel:WORD_0 src1_sel:DWORD
	v_mov_b32_e32 v1, 0x7c010000
	s_mov_b32 s19, exec_lo
	v_cmpx_ne_u32_e32 0x7f, v27
	s_cbranch_execz .LBB270_1210
; %bb.1207:                             ;   in Loop: Header=BB270_800 Depth=1
	v_and_b32_sdwa v1, v3, v49 dst_sel:DWORD dst_unused:UNUSED_PAD src0_sel:WORD_0 src1_sel:DWORD
	v_lshrrev_b32_e32 v2, 3, v27
	s_mov_b32 s20, exec_lo
	v_cmpx_gt_u32_e32 8, v27
; %bb.1208:                             ;   in Loop: Header=BB270_800 Depth=1
	v_ffbh_u32_e32 v1, v1
	v_min_u32_e32 v27, 32, v1
	v_subrev_nc_u32_e32 v1, 28, v27
	v_lshlrev_b64 v[1:2], v1, v[3:4]
	v_sub_nc_u32_e32 v2, 29, v27
	v_and_b32_e32 v1, 7, v1
; %bb.1209:                             ;   in Loop: Header=BB270_800 Depth=1
	s_or_b32 exec_lo, exec_lo, s20
	v_lshlrev_b32_sdwa v3, v50, v3 dst_sel:DWORD dst_unused:UNUSED_PAD src0_sel:DWORD src1_sel:WORD_0
	v_lshl_add_u32 v2, v2, 10, 0x2000
	v_lshlrev_b32_e32 v1, 23, v1
	v_and_or_b32 v2, 0x8000, v3, v2
	v_lshl_or_b32 v1, v2, 16, v1
.LBB270_1210:                           ;   in Loop: Header=BB270_800 Depth=1
	s_or_b32 exec_lo, exec_lo, s19
.LBB270_1211:                           ;   in Loop: Header=BB270_800 Depth=1
	s_or_b32 exec_lo, exec_lo, s18
.LBB270_1212:                           ;   in Loop: Header=BB270_800 Depth=1
	s_or_b32 exec_lo, exec_lo, s15
	v_lshrrev_b32_e32 v2, 16, v11
	v_mov_b32_e32 v28, 0
	v_mov_b32_e32 v30, 0
	v_cmp_ne_u16_sdwa s4, v2, v4 src0_sel:BYTE_0 src1_sel:DWORD
	s_and_saveexec_b32 s15, s4
	s_cbranch_execz .LBB270_1220
; %bb.1213:                             ;   in Loop: Header=BB270_800 Depth=1
	v_cmp_ne_u16_sdwa s4, v2, v34 src0_sel:BYTE_0 src1_sel:DWORD
	v_mov_b32_e32 v30, 0x8000
	s_and_saveexec_b32 s18, s4
	s_cbranch_execz .LBB270_1219
; %bb.1214:                             ;   in Loop: Header=BB270_800 Depth=1
	v_bfe_u32 v99, v11, 16, 7
	v_mov_b32_e32 v30, 0x7c01
	s_mov_b32 s19, exec_lo
	v_cmpx_ne_u32_e32 0x7f, v99
	s_cbranch_execz .LBB270_1218
; %bb.1215:                             ;   in Loop: Header=BB270_800 Depth=1
	v_and_b32_e32 v3, 7, v2
	v_lshrrev_b32_e32 v27, 3, v99
	s_mov_b32 s20, exec_lo
	v_cmpx_gt_u32_e32 8, v99
; %bb.1216:                             ;   in Loop: Header=BB270_800 Depth=1
	v_ffbh_u32_e32 v3, v3
	v_min_u32_e32 v3, 32, v3
	v_subrev_nc_u32_e32 v27, 28, v3
	v_lshlrev_b64 v[99:100], v27, v[2:3]
	v_sub_nc_u32_e32 v27, 29, v3
	v_and_b32_e32 v3, 7, v99
; %bb.1217:                             ;   in Loop: Header=BB270_800 Depth=1
	s_or_b32 exec_lo, exec_lo, s20
	v_lshlrev_b32_e32 v2, 8, v2
	v_lshl_add_u32 v27, v27, 10, 0x2000
	v_lshlrev_b32_e32 v3, 7, v3
	v_and_b32_e32 v2, 0x8000, v2
	v_and_b32_e32 v27, 0xfc00, v27
	v_or3_b32 v30, v2, v27, v3
.LBB270_1218:                           ;   in Loop: Header=BB270_800 Depth=1
	s_or_b32 exec_lo, exec_lo, s19
.LBB270_1219:                           ;   in Loop: Header=BB270_800 Depth=1
	s_or_b32 exec_lo, exec_lo, s18
.LBB270_1220:                           ;   in Loop: Header=BB270_800 Depth=1
	s_or_b32 exec_lo, exec_lo, s15
	s_mov_b32 s15, exec_lo
	v_cmpx_lt_u32_e32 0xffffff, v11
	s_cbranch_execz .LBB270_1228
; %bb.1221:                             ;   in Loop: Header=BB270_800 Depth=1
	v_lshrrev_b32_e32 v3, 24, v11
	v_bfrev_b32_e32 v28, 1
	s_mov_b32 s18, exec_lo
	v_cmpx_ne_u32_e32 0x80, v3
	s_cbranch_execz .LBB270_1227
; %bb.1222:                             ;   in Loop: Header=BB270_800 Depth=1
	v_and_b32_e32 v99, 0x7f, v3
	v_mov_b32_e32 v28, 0x7c010000
	s_mov_b32 s19, exec_lo
	v_cmpx_ne_u32_e32 0x7f, v99
	s_cbranch_execz .LBB270_1226
; %bb.1223:                             ;   in Loop: Header=BB270_800 Depth=1
	v_and_b32_e32 v2, 7, v3
	v_lshrrev_b32_e32 v27, 3, v99
	s_mov_b32 s20, exec_lo
	v_cmpx_gt_u32_e32 8, v99
; %bb.1224:                             ;   in Loop: Header=BB270_800 Depth=1
	v_ffbh_u32_e32 v2, v2
	v_min_u32_e32 v2, 32, v2
	v_subrev_nc_u32_e32 v27, 28, v2
	v_lshlrev_b64 v[99:100], v27, v[3:4]
	v_sub_nc_u32_e32 v27, 29, v2
	v_and_b32_e32 v2, 7, v99
; %bb.1225:                             ;   in Loop: Header=BB270_800 Depth=1
	s_or_b32 exec_lo, exec_lo, s20
	v_lshlrev_b32_e32 v3, 8, v3
	v_lshl_add_u32 v27, v27, 10, 0x2000
	v_lshlrev_b32_e32 v2, 23, v2
	v_and_or_b32 v3, 0x8000, v3, v27
	v_lshl_or_b32 v28, v3, 16, v2
.LBB270_1226:                           ;   in Loop: Header=BB270_800 Depth=1
	s_or_b32 exec_lo, exec_lo, s19
.LBB270_1227:                           ;   in Loop: Header=BB270_800 Depth=1
	s_or_b32 exec_lo, exec_lo, s18
.LBB270_1228:                           ;   in Loop: Header=BB270_800 Depth=1
	s_or_b32 exec_lo, exec_lo, s15
	v_mov_b32_e32 v3, v12
	v_cmp_ne_u16_sdwa s4, v12, v4 src0_sel:BYTE_0 src1_sel:DWORD
	v_mov_b32_e32 v99, 0
	v_mov_b32_e32 v100, 0
	s_and_saveexec_b32 s15, s4
	s_cbranch_execz .LBB270_1236
; %bb.1229:                             ;   in Loop: Header=BB270_800 Depth=1
	v_cmp_ne_u16_sdwa s4, v12, v34 src0_sel:BYTE_0 src1_sel:DWORD
	v_mov_b32_e32 v100, 0x8000
	s_and_saveexec_b32 s18, s4
	s_cbranch_execz .LBB270_1235
; %bb.1230:                             ;   in Loop: Header=BB270_800 Depth=1
	v_and_b32_e32 v101, 0x7f, v12
	v_mov_b32_e32 v100, 0x7c01
	s_mov_b32 s19, exec_lo
	v_cmpx_ne_u32_e32 0x7f, v101
	s_cbranch_execz .LBB270_1234
; %bb.1231:                             ;   in Loop: Header=BB270_800 Depth=1
	v_and_b32_e32 v2, 7, v12
	v_lshrrev_b32_e32 v27, 3, v101
	s_mov_b32 s20, exec_lo
	v_cmpx_gt_u32_e32 8, v101
; %bb.1232:                             ;   in Loop: Header=BB270_800 Depth=1
	v_ffbh_u32_e32 v2, v2
	v_min_u32_e32 v2, 32, v2
	v_subrev_nc_u32_e32 v27, 28, v2
	v_lshlrev_b64 v[100:101], v27, v[3:4]
	v_sub_nc_u32_e32 v27, 29, v2
	v_and_b32_e32 v2, 7, v100
; %bb.1233:                             ;   in Loop: Header=BB270_800 Depth=1
	s_or_b32 exec_lo, exec_lo, s20
	v_lshlrev_b32_e32 v100, 8, v12
	v_lshl_add_u32 v27, v27, 10, 0x2000
	v_lshlrev_b32_e32 v2, 7, v2
	v_and_b32_e32 v100, 0x8000, v100
	v_and_b32_e32 v27, 0xfc00, v27
	v_or3_b32 v100, v100, v27, v2
.LBB270_1234:                           ;   in Loop: Header=BB270_800 Depth=1
	s_or_b32 exec_lo, exec_lo, s19
.LBB270_1235:                           ;   in Loop: Header=BB270_800 Depth=1
	s_or_b32 exec_lo, exec_lo, s18
.LBB270_1236:                           ;   in Loop: Header=BB270_800 Depth=1
	s_or_b32 exec_lo, exec_lo, s15
	v_lshrrev_b16 v3, 8, v3
	v_mov_b32_e32 v27, 0
	s_mov_b32 s15, exec_lo
	v_cmpx_ne_u16_e32 0, v3
	s_cbranch_execz .LBB270_1244
; %bb.1237:                             ;   in Loop: Header=BB270_800 Depth=1
	v_bfrev_b32_e32 v27, 1
	s_mov_b32 s18, exec_lo
	v_cmpx_ne_u16_e32 0x80, v3
	s_cbranch_execz .LBB270_1243
; %bb.1238:                             ;   in Loop: Header=BB270_800 Depth=1
	v_and_b32_sdwa v101, v3, v48 dst_sel:DWORD dst_unused:UNUSED_PAD src0_sel:WORD_0 src1_sel:DWORD
	v_mov_b32_e32 v27, 0x7c010000
	s_mov_b32 s19, exec_lo
	v_cmpx_ne_u32_e32 0x7f, v101
	s_cbranch_execz .LBB270_1242
; %bb.1239:                             ;   in Loop: Header=BB270_800 Depth=1
	v_and_b32_sdwa v2, v3, v49 dst_sel:DWORD dst_unused:UNUSED_PAD src0_sel:WORD_0 src1_sel:DWORD
	v_lshrrev_b32_e32 v27, 3, v101
	s_mov_b32 s20, exec_lo
	v_cmpx_gt_u32_e32 8, v101
; %bb.1240:                             ;   in Loop: Header=BB270_800 Depth=1
	v_ffbh_u32_e32 v2, v2
	v_min_u32_e32 v2, 32, v2
	v_subrev_nc_u32_e32 v27, 28, v2
	v_lshlrev_b64 v[101:102], v27, v[3:4]
	v_sub_nc_u32_e32 v27, 29, v2
	v_and_b32_e32 v2, 7, v101
; %bb.1241:                             ;   in Loop: Header=BB270_800 Depth=1
	s_or_b32 exec_lo, exec_lo, s20
	v_lshlrev_b32_sdwa v3, v50, v3 dst_sel:DWORD dst_unused:UNUSED_PAD src0_sel:DWORD src1_sel:WORD_0
	v_lshl_add_u32 v27, v27, 10, 0x2000
	v_lshlrev_b32_e32 v2, 23, v2
	v_and_or_b32 v3, 0x8000, v3, v27
	v_lshl_or_b32 v27, v3, 16, v2
.LBB270_1242:                           ;   in Loop: Header=BB270_800 Depth=1
	s_or_b32 exec_lo, exec_lo, s19
.LBB270_1243:                           ;   in Loop: Header=BB270_800 Depth=1
	s_or_b32 exec_lo, exec_lo, s18
.LBB270_1244:                           ;   in Loop: Header=BB270_800 Depth=1
	s_or_b32 exec_lo, exec_lo, s15
	v_lshrrev_b32_e32 v2, 16, v12
	v_cmp_ne_u16_sdwa s4, v2, v4 src0_sel:BYTE_0 src1_sel:DWORD
	s_and_saveexec_b32 s15, s4
	s_cbranch_execz .LBB270_1252
; %bb.1245:                             ;   in Loop: Header=BB270_800 Depth=1
	v_cmp_ne_u16_sdwa s4, v2, v34 src0_sel:BYTE_0 src1_sel:DWORD
	v_mov_b32_e32 v99, 0x8000
	s_and_saveexec_b32 s18, s4
	s_cbranch_execz .LBB270_1251
; %bb.1246:                             ;   in Loop: Header=BB270_800 Depth=1
	v_bfe_u32 v101, v12, 16, 7
	v_mov_b32_e32 v99, 0x7c01
	s_mov_b32 s19, exec_lo
	v_cmpx_ne_u32_e32 0x7f, v101
	s_cbranch_execz .LBB270_1250
; %bb.1247:                             ;   in Loop: Header=BB270_800 Depth=1
	v_and_b32_e32 v3, 7, v2
	v_lshrrev_b32_e32 v99, 3, v101
	s_mov_b32 s20, exec_lo
	v_cmpx_gt_u32_e32 8, v101
; %bb.1248:                             ;   in Loop: Header=BB270_800 Depth=1
	v_ffbh_u32_e32 v3, v3
	v_min_u32_e32 v3, 32, v3
	v_subrev_nc_u32_e32 v99, 28, v3
	v_lshlrev_b64 v[101:102], v99, v[2:3]
	v_sub_nc_u32_e32 v99, 29, v3
	v_and_b32_e32 v3, 7, v101
; %bb.1249:                             ;   in Loop: Header=BB270_800 Depth=1
	s_or_b32 exec_lo, exec_lo, s20
	v_lshlrev_b32_e32 v2, 8, v2
	v_lshl_add_u32 v99, v99, 10, 0x2000
	v_lshlrev_b32_e32 v3, 7, v3
	v_and_b32_e32 v2, 0x8000, v2
	v_and_b32_e32 v99, 0xfc00, v99
	v_or3_b32 v99, v2, v99, v3
.LBB270_1250:                           ;   in Loop: Header=BB270_800 Depth=1
	s_or_b32 exec_lo, exec_lo, s19
.LBB270_1251:                           ;   in Loop: Header=BB270_800 Depth=1
	s_or_b32 exec_lo, exec_lo, s18
.LBB270_1252:                           ;   in Loop: Header=BB270_800 Depth=1
	s_or_b32 exec_lo, exec_lo, s15
	v_mov_b32_e32 v2, 0
	s_mov_b32 s15, exec_lo
	v_cmpx_lt_u64_e64 s[6:7], v[11:12]
	s_cbranch_execz .LBB270_1260
; %bb.1253:                             ;   in Loop: Header=BB270_800 Depth=1
	v_lshrrev_b32_e32 v3, 24, v12
	v_bfrev_b32_e32 v2, 1
	s_mov_b32 s18, exec_lo
	v_cmpx_ne_u32_e32 0x80, v3
	s_cbranch_execz .LBB270_1259
; %bb.1254:                             ;   in Loop: Header=BB270_800 Depth=1
	v_and_b32_e32 v12, 0x7f, v3
	v_mov_b32_e32 v2, 0x7c010000
	s_mov_b32 s19, exec_lo
	v_cmpx_ne_u32_e32 0x7f, v12
	s_cbranch_execz .LBB270_1258
; %bb.1255:                             ;   in Loop: Header=BB270_800 Depth=1
	v_and_b32_e32 v2, 7, v3
	v_lshrrev_b32_e32 v11, 3, v12
	s_mov_b32 s20, exec_lo
	v_cmpx_gt_u32_e32 8, v12
; %bb.1256:                             ;   in Loop: Header=BB270_800 Depth=1
	v_ffbh_u32_e32 v2, v2
	v_min_u32_e32 v2, 32, v2
	v_subrev_nc_u32_e32 v11, 28, v2
	v_lshlrev_b64 v[101:102], v11, v[3:4]
	v_sub_nc_u32_e32 v11, 29, v2
	v_and_b32_e32 v2, 7, v101
; %bb.1257:                             ;   in Loop: Header=BB270_800 Depth=1
	s_or_b32 exec_lo, exec_lo, s20
	v_lshlrev_b32_e32 v3, 8, v3
	v_lshl_add_u32 v11, v11, 10, 0x2000
	v_lshlrev_b32_e32 v2, 23, v2
	v_and_or_b32 v3, 0x8000, v3, v11
	v_lshl_or_b32 v2, v3, 16, v2
.LBB270_1258:                           ;   in Loop: Header=BB270_800 Depth=1
	s_or_b32 exec_lo, exec_lo, s19
.LBB270_1259:                           ;   in Loop: Header=BB270_800 Depth=1
	s_or_b32 exec_lo, exec_lo, s18
.LBB270_1260:                           ;   in Loop: Header=BB270_800 Depth=1
	s_or_b32 exec_lo, exec_lo, s15
	v_or_b32_e32 v3, v28, v30
	s_waitcnt vmcnt(0) lgkmcnt(0)
	v_fma_mixlo_f16 v11, v0, v28, 0 op_sel:[0,1,0] op_sel_hi:[0,1,0]
	v_or_b32_e32 v26, v1, v26
	v_or_b32_e32 v28, v27, v100
	;; [unrolled: 1-line block ×3, first 2 shown]
	v_fma_mixlo_f16 v12, v0, v1, 0 op_sel:[0,1,0] op_sel_hi:[0,1,0]
	v_fma_mixlo_f16 v3, v0, v3, 0 op_sel_hi:[0,1,0]
	v_lshlrev_b32_e32 v1, 16, v11
	v_fma_mixlo_f16 v11, v0, v26, 0 op_sel_hi:[0,1,0]
	v_fma_mixlo_f16 v26, v0, v27, 0 op_sel:[0,1,0] op_sel_hi:[0,1,0]
	v_fma_mixlo_f16 v27, v0, v28, 0 op_sel_hi:[0,1,0]
	v_fma_mixlo_f16 v28, v0, v2, 0 op_sel:[0,1,0] op_sel_hi:[0,1,0]
	v_fma_mixlo_f16 v30, v0, v30, 0 op_sel_hi:[0,1,0]
	v_lshlrev_b32_e32 v12, 16, v12
	v_and_b32_e32 v3, 0xffff, v3
	v_and_b32_e32 v100, 0xffff, v11
	v_lshlrev_b32_e32 v2, 16, v26
	v_and_b32_e32 v27, 0xffff, v27
	v_lshlrev_b32_e32 v0, 16, v28
	v_and_b32_e32 v11, 0xffff, v30
	v_or_b32_e32 v26, v1, v3
	v_or_b32_e32 v99, v12, v100
	;; [unrolled: 1-line block ×4, first 2 shown]
	s_and_saveexec_b32 s15, vcc_lo
	s_cbranch_execz .LBB270_1262
; %bb.1261:                             ;   in Loop: Header=BB270_800 Depth=1
	v_cmp_lt_i32_e64 s4, v52, v29
	v_cndmask_b32_e64 v26, 0, v100, s4
	v_cmp_lt_i32_e64 s4, v80, v29
	v_cndmask_b32_e64 v12, 0, v12, s4
	v_cmp_lt_i32_e64 s4, v71, v29
	v_or_b32_e32 v99, v26, v12
	v_cndmask_b32_e64 v3, 0, v3, s4
	v_cmp_lt_i32_e64 s4, v69, v29
	v_cndmask_b32_e64 v1, 0, v1, s4
	v_cmp_lt_i32_e64 s4, v66, v29
	v_or_b32_e32 v26, v3, v1
	;; [unrolled: 5-line block ×3, first 2 shown]
	v_cndmask_b32_e64 v11, 0, v11, s4
	v_cmp_lt_i32_e64 s4, v19, v29
	v_cndmask_b32_e64 v0, 0, v0, s4
	v_or_b32_e32 v28, v11, v0
.LBB270_1262:                           ;   in Loop: Header=BB270_800 Depth=1
	s_or_b32 exec_lo, exec_lo, s15
	;;#ASMSTART
	v_pk_mul_f16 v0, v68, v99;

	;;#ASMEND
	;;#ASMSTART
	v_pk_mul_f16 v1, v65, v26;

	;;#ASMEND
	;; [unrolled: 4-line block ×4, first 2 shown]
	;;#ASMSTART
	v_pk_add_f16 v0, v0, v1;

	;;#ASMEND
	;;#ASMSTART
	v_pk_add_f16 v0, v0, v2;

	;;#ASMEND
	;; [unrolled: 4-line block ×3, first 2 shown]
	v_and_b32_e32 v1, 0xffff, v0
	v_lshrrev_b32_e32 v0, 16, v0
	;;#ASMSTART
	v_cvt_f32_f16 v99, v1;
	;;#ASMEND
	;;#ASMSTART
	v_cvt_f32_f16 v100, v0;
	;;#ASMEND
	flat_load_dwordx2 v[11:12], v[9:10] offset:1792
	flat_load_dword v0, v[22:23]
	v_mov_b32_e32 v1, 0
	v_mov_b32_e32 v26, 0
	s_waitcnt vmcnt(1) lgkmcnt(1)
	v_cmp_ne_u16_sdwa s4, v11, v4 src0_sel:BYTE_0 src1_sel:DWORD
	s_and_saveexec_b32 s15, s4
	s_cbranch_execz .LBB270_1270
; %bb.1263:                             ;   in Loop: Header=BB270_800 Depth=1
	v_cmp_ne_u16_sdwa s4, v11, v34 src0_sel:BYTE_0 src1_sel:DWORD
	v_mov_b32_e32 v26, 0x8000
	s_and_saveexec_b32 s18, s4
	s_cbranch_execz .LBB270_1269
; %bb.1264:                             ;   in Loop: Header=BB270_800 Depth=1
	v_and_b32_e32 v27, 0x7f, v11
	v_mov_b32_e32 v26, 0x7c01
	s_mov_b32 s19, exec_lo
	v_cmpx_ne_u32_e32 0x7f, v27
	s_cbranch_execz .LBB270_1268
; %bb.1265:                             ;   in Loop: Header=BB270_800 Depth=1
	v_and_b32_e32 v2, 7, v11
	v_lshrrev_b32_e32 v3, 3, v27
	s_mov_b32 s20, exec_lo
	v_cmpx_gt_u32_e32 8, v27
; %bb.1266:                             ;   in Loop: Header=BB270_800 Depth=1
	v_ffbh_u32_e32 v2, v2
	v_min_u32_e32 v26, 32, v2
	v_subrev_nc_u32_e32 v2, 28, v26
	v_lshlrev_b64 v[2:3], v2, v[11:12]
	v_sub_nc_u32_e32 v3, 29, v26
	v_and_b32_e32 v2, 7, v2
; %bb.1267:                             ;   in Loop: Header=BB270_800 Depth=1
	s_or_b32 exec_lo, exec_lo, s20
	v_lshlrev_b32_e32 v26, 8, v11
	v_lshl_add_u32 v3, v3, 10, 0x2000
	v_lshlrev_b32_e32 v2, 7, v2
	v_and_b32_e32 v26, 0x8000, v26
	v_and_b32_e32 v3, 0xfc00, v3
	v_or3_b32 v26, v26, v3, v2
.LBB270_1268:                           ;   in Loop: Header=BB270_800 Depth=1
	s_or_b32 exec_lo, exec_lo, s19
.LBB270_1269:                           ;   in Loop: Header=BB270_800 Depth=1
	s_or_b32 exec_lo, exec_lo, s18
.LBB270_1270:                           ;   in Loop: Header=BB270_800 Depth=1
	s_or_b32 exec_lo, exec_lo, s15
	v_lshrrev_b16 v3, 8, v11
	s_mov_b32 s15, exec_lo
	v_cmpx_ne_u16_e32 0, v3
	s_cbranch_execz .LBB270_1278
; %bb.1271:                             ;   in Loop: Header=BB270_800 Depth=1
	v_bfrev_b32_e32 v1, 1
	s_mov_b32 s18, exec_lo
	v_cmpx_ne_u16_e32 0x80, v3
	s_cbranch_execz .LBB270_1277
; %bb.1272:                             ;   in Loop: Header=BB270_800 Depth=1
	v_and_b32_sdwa v27, v3, v48 dst_sel:DWORD dst_unused:UNUSED_PAD src0_sel:WORD_0 src1_sel:DWORD
	v_mov_b32_e32 v1, 0x7c010000
	s_mov_b32 s19, exec_lo
	v_cmpx_ne_u32_e32 0x7f, v27
	s_cbranch_execz .LBB270_1276
; %bb.1273:                             ;   in Loop: Header=BB270_800 Depth=1
	v_and_b32_sdwa v1, v3, v49 dst_sel:DWORD dst_unused:UNUSED_PAD src0_sel:WORD_0 src1_sel:DWORD
	v_lshrrev_b32_e32 v2, 3, v27
	s_mov_b32 s20, exec_lo
	v_cmpx_gt_u32_e32 8, v27
; %bb.1274:                             ;   in Loop: Header=BB270_800 Depth=1
	v_ffbh_u32_e32 v1, v1
	v_min_u32_e32 v27, 32, v1
	v_subrev_nc_u32_e32 v1, 28, v27
	v_lshlrev_b64 v[1:2], v1, v[3:4]
	v_sub_nc_u32_e32 v2, 29, v27
	v_and_b32_e32 v1, 7, v1
; %bb.1275:                             ;   in Loop: Header=BB270_800 Depth=1
	s_or_b32 exec_lo, exec_lo, s20
	v_lshlrev_b32_sdwa v3, v50, v3 dst_sel:DWORD dst_unused:UNUSED_PAD src0_sel:DWORD src1_sel:WORD_0
	v_lshl_add_u32 v2, v2, 10, 0x2000
	v_lshlrev_b32_e32 v1, 23, v1
	v_and_or_b32 v2, 0x8000, v3, v2
	v_lshl_or_b32 v1, v2, 16, v1
.LBB270_1276:                           ;   in Loop: Header=BB270_800 Depth=1
	s_or_b32 exec_lo, exec_lo, s19
.LBB270_1277:                           ;   in Loop: Header=BB270_800 Depth=1
	s_or_b32 exec_lo, exec_lo, s18
.LBB270_1278:                           ;   in Loop: Header=BB270_800 Depth=1
	s_or_b32 exec_lo, exec_lo, s15
	v_lshrrev_b32_e32 v2, 16, v11
	v_mov_b32_e32 v28, 0
	v_mov_b32_e32 v30, 0
	v_cmp_ne_u16_sdwa s4, v2, v4 src0_sel:BYTE_0 src1_sel:DWORD
	s_and_saveexec_b32 s15, s4
	s_cbranch_execz .LBB270_1286
; %bb.1279:                             ;   in Loop: Header=BB270_800 Depth=1
	v_cmp_ne_u16_sdwa s4, v2, v34 src0_sel:BYTE_0 src1_sel:DWORD
	v_mov_b32_e32 v30, 0x8000
	s_and_saveexec_b32 s18, s4
	s_cbranch_execz .LBB270_1285
; %bb.1280:                             ;   in Loop: Header=BB270_800 Depth=1
	v_bfe_u32 v101, v11, 16, 7
	v_mov_b32_e32 v30, 0x7c01
	s_mov_b32 s19, exec_lo
	v_cmpx_ne_u32_e32 0x7f, v101
	s_cbranch_execz .LBB270_1284
; %bb.1281:                             ;   in Loop: Header=BB270_800 Depth=1
	v_and_b32_e32 v3, 7, v2
	v_lshrrev_b32_e32 v27, 3, v101
	s_mov_b32 s20, exec_lo
	v_cmpx_gt_u32_e32 8, v101
; %bb.1282:                             ;   in Loop: Header=BB270_800 Depth=1
	v_ffbh_u32_e32 v3, v3
	v_min_u32_e32 v3, 32, v3
	v_subrev_nc_u32_e32 v27, 28, v3
	v_lshlrev_b64 v[101:102], v27, v[2:3]
	v_sub_nc_u32_e32 v27, 29, v3
	v_and_b32_e32 v3, 7, v101
; %bb.1283:                             ;   in Loop: Header=BB270_800 Depth=1
	s_or_b32 exec_lo, exec_lo, s20
	v_lshlrev_b32_e32 v2, 8, v2
	v_lshl_add_u32 v27, v27, 10, 0x2000
	v_lshlrev_b32_e32 v3, 7, v3
	v_and_b32_e32 v2, 0x8000, v2
	v_and_b32_e32 v27, 0xfc00, v27
	v_or3_b32 v30, v2, v27, v3
.LBB270_1284:                           ;   in Loop: Header=BB270_800 Depth=1
	s_or_b32 exec_lo, exec_lo, s19
.LBB270_1285:                           ;   in Loop: Header=BB270_800 Depth=1
	s_or_b32 exec_lo, exec_lo, s18
.LBB270_1286:                           ;   in Loop: Header=BB270_800 Depth=1
	s_or_b32 exec_lo, exec_lo, s15
	s_mov_b32 s15, exec_lo
	v_cmpx_lt_u32_e32 0xffffff, v11
	s_cbranch_execz .LBB270_1294
; %bb.1287:                             ;   in Loop: Header=BB270_800 Depth=1
	v_lshrrev_b32_e32 v3, 24, v11
	v_bfrev_b32_e32 v28, 1
	s_mov_b32 s18, exec_lo
	v_cmpx_ne_u32_e32 0x80, v3
	s_cbranch_execz .LBB270_1293
; %bb.1288:                             ;   in Loop: Header=BB270_800 Depth=1
	v_and_b32_e32 v101, 0x7f, v3
	v_mov_b32_e32 v28, 0x7c010000
	s_mov_b32 s19, exec_lo
	v_cmpx_ne_u32_e32 0x7f, v101
	s_cbranch_execz .LBB270_1292
; %bb.1289:                             ;   in Loop: Header=BB270_800 Depth=1
	v_and_b32_e32 v2, 7, v3
	v_lshrrev_b32_e32 v27, 3, v101
	s_mov_b32 s20, exec_lo
	v_cmpx_gt_u32_e32 8, v101
; %bb.1290:                             ;   in Loop: Header=BB270_800 Depth=1
	v_ffbh_u32_e32 v2, v2
	v_min_u32_e32 v2, 32, v2
	v_subrev_nc_u32_e32 v27, 28, v2
	v_lshlrev_b64 v[101:102], v27, v[3:4]
	v_sub_nc_u32_e32 v27, 29, v2
	v_and_b32_e32 v2, 7, v101
; %bb.1291:                             ;   in Loop: Header=BB270_800 Depth=1
	s_or_b32 exec_lo, exec_lo, s20
	v_lshlrev_b32_e32 v3, 8, v3
	v_lshl_add_u32 v27, v27, 10, 0x2000
	v_lshlrev_b32_e32 v2, 23, v2
	v_and_or_b32 v3, 0x8000, v3, v27
	v_lshl_or_b32 v28, v3, 16, v2
.LBB270_1292:                           ;   in Loop: Header=BB270_800 Depth=1
	s_or_b32 exec_lo, exec_lo, s19
.LBB270_1293:                           ;   in Loop: Header=BB270_800 Depth=1
	s_or_b32 exec_lo, exec_lo, s18
.LBB270_1294:                           ;   in Loop: Header=BB270_800 Depth=1
	s_or_b32 exec_lo, exec_lo, s15
	v_mov_b32_e32 v3, v12
	v_cmp_ne_u16_sdwa s4, v12, v4 src0_sel:BYTE_0 src1_sel:DWORD
	v_mov_b32_e32 v101, 0
	v_mov_b32_e32 v102, 0
	s_and_saveexec_b32 s15, s4
	s_cbranch_execz .LBB270_1302
; %bb.1295:                             ;   in Loop: Header=BB270_800 Depth=1
	v_cmp_ne_u16_sdwa s4, v12, v34 src0_sel:BYTE_0 src1_sel:DWORD
	v_mov_b32_e32 v102, 0x8000
	s_and_saveexec_b32 s18, s4
	s_cbranch_execz .LBB270_1301
; %bb.1296:                             ;   in Loop: Header=BB270_800 Depth=1
	v_and_b32_e32 v103, 0x7f, v12
	v_mov_b32_e32 v102, 0x7c01
	s_mov_b32 s19, exec_lo
	v_cmpx_ne_u32_e32 0x7f, v103
	s_cbranch_execz .LBB270_1300
; %bb.1297:                             ;   in Loop: Header=BB270_800 Depth=1
	v_and_b32_e32 v2, 7, v12
	v_lshrrev_b32_e32 v27, 3, v103
	s_mov_b32 s20, exec_lo
	v_cmpx_gt_u32_e32 8, v103
; %bb.1298:                             ;   in Loop: Header=BB270_800 Depth=1
	v_ffbh_u32_e32 v2, v2
	v_min_u32_e32 v2, 32, v2
	v_subrev_nc_u32_e32 v27, 28, v2
	v_lshlrev_b64 v[102:103], v27, v[3:4]
	v_sub_nc_u32_e32 v27, 29, v2
	v_and_b32_e32 v2, 7, v102
; %bb.1299:                             ;   in Loop: Header=BB270_800 Depth=1
	s_or_b32 exec_lo, exec_lo, s20
	v_lshlrev_b32_e32 v102, 8, v12
	v_lshl_add_u32 v27, v27, 10, 0x2000
	v_lshlrev_b32_e32 v2, 7, v2
	v_and_b32_e32 v102, 0x8000, v102
	v_and_b32_e32 v27, 0xfc00, v27
	v_or3_b32 v102, v102, v27, v2
.LBB270_1300:                           ;   in Loop: Header=BB270_800 Depth=1
	s_or_b32 exec_lo, exec_lo, s19
.LBB270_1301:                           ;   in Loop: Header=BB270_800 Depth=1
	s_or_b32 exec_lo, exec_lo, s18
.LBB270_1302:                           ;   in Loop: Header=BB270_800 Depth=1
	s_or_b32 exec_lo, exec_lo, s15
	v_lshrrev_b16 v3, 8, v3
	v_mov_b32_e32 v27, 0
	s_mov_b32 s15, exec_lo
	v_cmpx_ne_u16_e32 0, v3
	s_cbranch_execz .LBB270_1310
; %bb.1303:                             ;   in Loop: Header=BB270_800 Depth=1
	v_bfrev_b32_e32 v27, 1
	s_mov_b32 s18, exec_lo
	v_cmpx_ne_u16_e32 0x80, v3
	s_cbranch_execz .LBB270_1309
; %bb.1304:                             ;   in Loop: Header=BB270_800 Depth=1
	v_and_b32_sdwa v103, v3, v48 dst_sel:DWORD dst_unused:UNUSED_PAD src0_sel:WORD_0 src1_sel:DWORD
	v_mov_b32_e32 v27, 0x7c010000
	s_mov_b32 s19, exec_lo
	v_cmpx_ne_u32_e32 0x7f, v103
	s_cbranch_execz .LBB270_1308
; %bb.1305:                             ;   in Loop: Header=BB270_800 Depth=1
	v_and_b32_sdwa v2, v3, v49 dst_sel:DWORD dst_unused:UNUSED_PAD src0_sel:WORD_0 src1_sel:DWORD
	v_lshrrev_b32_e32 v27, 3, v103
	s_mov_b32 s20, exec_lo
	v_cmpx_gt_u32_e32 8, v103
; %bb.1306:                             ;   in Loop: Header=BB270_800 Depth=1
	v_ffbh_u32_e32 v2, v2
	v_min_u32_e32 v2, 32, v2
	v_subrev_nc_u32_e32 v27, 28, v2
	v_lshlrev_b64 v[112:113], v27, v[3:4]
	v_sub_nc_u32_e32 v27, 29, v2
	v_and_b32_e32 v2, 7, v112
; %bb.1307:                             ;   in Loop: Header=BB270_800 Depth=1
	s_or_b32 exec_lo, exec_lo, s20
	v_lshlrev_b32_sdwa v3, v50, v3 dst_sel:DWORD dst_unused:UNUSED_PAD src0_sel:DWORD src1_sel:WORD_0
	v_lshl_add_u32 v27, v27, 10, 0x2000
	v_lshlrev_b32_e32 v2, 23, v2
	v_and_or_b32 v3, 0x8000, v3, v27
	v_lshl_or_b32 v27, v3, 16, v2
.LBB270_1308:                           ;   in Loop: Header=BB270_800 Depth=1
	s_or_b32 exec_lo, exec_lo, s19
.LBB270_1309:                           ;   in Loop: Header=BB270_800 Depth=1
	s_or_b32 exec_lo, exec_lo, s18
.LBB270_1310:                           ;   in Loop: Header=BB270_800 Depth=1
	s_or_b32 exec_lo, exec_lo, s15
	v_lshrrev_b32_e32 v2, 16, v12
	v_cmp_ne_u16_sdwa s4, v2, v4 src0_sel:BYTE_0 src1_sel:DWORD
	s_and_saveexec_b32 s15, s4
	s_cbranch_execz .LBB270_1318
; %bb.1311:                             ;   in Loop: Header=BB270_800 Depth=1
	v_cmp_ne_u16_sdwa s4, v2, v34 src0_sel:BYTE_0 src1_sel:DWORD
	v_mov_b32_e32 v101, 0x8000
	s_and_saveexec_b32 s18, s4
	s_cbranch_execz .LBB270_1317
; %bb.1312:                             ;   in Loop: Header=BB270_800 Depth=1
	v_bfe_u32 v103, v12, 16, 7
	v_mov_b32_e32 v101, 0x7c01
	s_mov_b32 s19, exec_lo
	v_cmpx_ne_u32_e32 0x7f, v103
	s_cbranch_execz .LBB270_1316
; %bb.1313:                             ;   in Loop: Header=BB270_800 Depth=1
	v_and_b32_e32 v3, 7, v2
	v_lshrrev_b32_e32 v101, 3, v103
	s_mov_b32 s20, exec_lo
	v_cmpx_gt_u32_e32 8, v103
; %bb.1314:                             ;   in Loop: Header=BB270_800 Depth=1
	v_ffbh_u32_e32 v3, v3
	v_min_u32_e32 v3, 32, v3
	v_subrev_nc_u32_e32 v101, 28, v3
	v_lshlrev_b64 v[112:113], v101, v[2:3]
	v_sub_nc_u32_e32 v101, 29, v3
	v_and_b32_e32 v3, 7, v112
; %bb.1315:                             ;   in Loop: Header=BB270_800 Depth=1
	s_or_b32 exec_lo, exec_lo, s20
	v_lshlrev_b32_e32 v2, 8, v2
	v_lshl_add_u32 v101, v101, 10, 0x2000
	v_lshlrev_b32_e32 v3, 7, v3
	v_and_b32_e32 v2, 0x8000, v2
	v_and_b32_e32 v101, 0xfc00, v101
	v_or3_b32 v101, v2, v101, v3
.LBB270_1316:                           ;   in Loop: Header=BB270_800 Depth=1
	s_or_b32 exec_lo, exec_lo, s19
.LBB270_1317:                           ;   in Loop: Header=BB270_800 Depth=1
	s_or_b32 exec_lo, exec_lo, s18
.LBB270_1318:                           ;   in Loop: Header=BB270_800 Depth=1
	s_or_b32 exec_lo, exec_lo, s15
	v_mov_b32_e32 v2, 0
	s_mov_b32 s15, exec_lo
	v_cmpx_lt_u64_e64 s[6:7], v[11:12]
	s_cbranch_execz .LBB270_1326
; %bb.1319:                             ;   in Loop: Header=BB270_800 Depth=1
	v_lshrrev_b32_e32 v3, 24, v12
	v_bfrev_b32_e32 v2, 1
	s_mov_b32 s18, exec_lo
	v_cmpx_ne_u32_e32 0x80, v3
	s_cbranch_execz .LBB270_1325
; %bb.1320:                             ;   in Loop: Header=BB270_800 Depth=1
	v_and_b32_e32 v12, 0x7f, v3
	v_mov_b32_e32 v2, 0x7c010000
	s_mov_b32 s19, exec_lo
	v_cmpx_ne_u32_e32 0x7f, v12
	s_cbranch_execz .LBB270_1324
; %bb.1321:                             ;   in Loop: Header=BB270_800 Depth=1
	v_and_b32_e32 v2, 7, v3
	v_lshrrev_b32_e32 v11, 3, v12
	s_mov_b32 s20, exec_lo
	v_cmpx_gt_u32_e32 8, v12
; %bb.1322:                             ;   in Loop: Header=BB270_800 Depth=1
	v_ffbh_u32_e32 v2, v2
	v_min_u32_e32 v2, 32, v2
	v_subrev_nc_u32_e32 v11, 28, v2
	v_lshlrev_b64 v[112:113], v11, v[3:4]
	v_sub_nc_u32_e32 v11, 29, v2
	v_and_b32_e32 v2, 7, v112
; %bb.1323:                             ;   in Loop: Header=BB270_800 Depth=1
	s_or_b32 exec_lo, exec_lo, s20
	v_lshlrev_b32_e32 v3, 8, v3
	v_lshl_add_u32 v11, v11, 10, 0x2000
	v_lshlrev_b32_e32 v2, 23, v2
	v_and_or_b32 v3, 0x8000, v3, v11
	v_lshl_or_b32 v2, v3, 16, v2
.LBB270_1324:                           ;   in Loop: Header=BB270_800 Depth=1
	s_or_b32 exec_lo, exec_lo, s19
.LBB270_1325:                           ;   in Loop: Header=BB270_800 Depth=1
	s_or_b32 exec_lo, exec_lo, s18
.LBB270_1326:                           ;   in Loop: Header=BB270_800 Depth=1
	s_or_b32 exec_lo, exec_lo, s15
	v_or_b32_e32 v3, v28, v30
	s_waitcnt vmcnt(0) lgkmcnt(0)
	v_fma_mixlo_f16 v11, v0, v28, 0 op_sel:[0,1,0] op_sel_hi:[0,1,0]
	v_or_b32_e32 v26, v1, v26
	v_or_b32_e32 v28, v27, v102
	v_or_b32_e32 v30, v2, v101
	v_fma_mixlo_f16 v12, v0, v1, 0 op_sel:[0,1,0] op_sel_hi:[0,1,0]
	v_fma_mixlo_f16 v3, v0, v3, 0 op_sel_hi:[0,1,0]
	v_lshlrev_b32_e32 v1, 16, v11
	v_fma_mixlo_f16 v11, v0, v26, 0 op_sel_hi:[0,1,0]
	v_fma_mixlo_f16 v26, v0, v27, 0 op_sel:[0,1,0] op_sel_hi:[0,1,0]
	v_fma_mixlo_f16 v27, v0, v28, 0 op_sel_hi:[0,1,0]
	v_fma_mixlo_f16 v28, v0, v2, 0 op_sel:[0,1,0] op_sel_hi:[0,1,0]
	v_fma_mixlo_f16 v30, v0, v30, 0 op_sel_hi:[0,1,0]
	v_lshlrev_b32_e32 v12, 16, v12
	v_and_b32_e32 v3, 0xffff, v3
	v_and_b32_e32 v102, 0xffff, v11
	v_lshlrev_b32_e32 v2, 16, v26
	v_and_b32_e32 v27, 0xffff, v27
	v_lshlrev_b32_e32 v0, 16, v28
	v_and_b32_e32 v11, 0xffff, v30
	v_or_b32_e32 v26, v1, v3
	v_or_b32_e32 v101, v12, v102
	;; [unrolled: 1-line block ×4, first 2 shown]
	s_and_saveexec_b32 s15, vcc_lo
	s_cbranch_execz .LBB270_1328
; %bb.1327:                             ;   in Loop: Header=BB270_800 Depth=1
	v_cmp_lt_i32_e64 s4, v52, v29
	v_cndmask_b32_e64 v26, 0, v102, s4
	v_cmp_lt_i32_e64 s4, v80, v29
	v_cndmask_b32_e64 v12, 0, v12, s4
	v_cmp_lt_i32_e64 s4, v71, v29
	v_or_b32_e32 v101, v26, v12
	v_cndmask_b32_e64 v3, 0, v3, s4
	v_cmp_lt_i32_e64 s4, v69, v29
	v_cndmask_b32_e64 v1, 0, v1, s4
	v_cmp_lt_i32_e64 s4, v66, v29
	v_or_b32_e32 v26, v3, v1
	;; [unrolled: 5-line block ×3, first 2 shown]
	v_cndmask_b32_e64 v11, 0, v11, s4
	v_cmp_lt_i32_e64 s4, v19, v29
	v_cndmask_b32_e64 v0, 0, v0, s4
	v_or_b32_e32 v28, v11, v0
.LBB270_1328:                           ;   in Loop: Header=BB270_800 Depth=1
	s_or_b32 exec_lo, exec_lo, s15
	v_add_co_u32 v9, s4, 0x800, v9
	;;#ASMSTART
	v_pk_mul_f16 v0, v68, v101;

	;;#ASMEND
	v_add_co_ci_u32_e64 v10, null, 0, v10, s4
	;;#ASMSTART
	v_pk_mul_f16 v1, v65, v26;

	;;#ASMEND
	;;#ASMSTART
	v_pk_mul_f16 v2, v55, v30;

	;;#ASMEND
	;; [unrolled: 4-line block ×3, first 2 shown]
	;;#ASMSTART
	v_pk_add_f16 v0, v0, v1;

	;;#ASMEND
	;;#ASMSTART
	v_pk_add_f16 v0, v0, v2;

	;;#ASMEND
	;; [unrolled: 4-line block ×3, first 2 shown]
	v_lshrrev_b32_e32 v1, 16, v0
	v_and_b32_e32 v0, 0xffff, v0
	;;#ASMSTART
	v_cvt_f32_f16 v0, v0;
	;;#ASMEND
	;;#ASMSTART
	v_cvt_f32_f16 v1, v1;
	;;#ASMEND
	flat_load_dwordx2 v[11:12], v[9:10]
	flat_load_dword v26, v[22:23]
	v_mov_b32_e32 v28, 0
	v_mov_b32_e32 v30, 0
	s_waitcnt vmcnt(1) lgkmcnt(1)
	v_cmp_ne_u16_sdwa s4, v11, v4 src0_sel:BYTE_0 src1_sel:DWORD
	s_and_saveexec_b32 s15, s4
	s_cbranch_execz .LBB270_1336
; %bb.1329:                             ;   in Loop: Header=BB270_800 Depth=1
	v_cmp_ne_u16_sdwa s4, v11, v34 src0_sel:BYTE_0 src1_sel:DWORD
	v_mov_b32_e32 v30, 0x8000
	s_and_saveexec_b32 s18, s4
	s_cbranch_execz .LBB270_1335
; %bb.1330:                             ;   in Loop: Header=BB270_800 Depth=1
	v_and_b32_e32 v27, 0x7f, v11
	v_mov_b32_e32 v30, 0x7c01
	s_mov_b32 s19, exec_lo
	v_cmpx_ne_u32_e32 0x7f, v27
	s_cbranch_execz .LBB270_1334
; %bb.1331:                             ;   in Loop: Header=BB270_800 Depth=1
	v_and_b32_e32 v2, 7, v11
	v_lshrrev_b32_e32 v3, 3, v27
	s_mov_b32 s20, exec_lo
	v_cmpx_gt_u32_e32 8, v27
; %bb.1332:                             ;   in Loop: Header=BB270_800 Depth=1
	v_ffbh_u32_e32 v2, v2
	v_min_u32_e32 v27, 32, v2
	v_subrev_nc_u32_e32 v2, 28, v27
	v_lshlrev_b64 v[2:3], v2, v[11:12]
	v_sub_nc_u32_e32 v3, 29, v27
	v_and_b32_e32 v2, 7, v2
; %bb.1333:                             ;   in Loop: Header=BB270_800 Depth=1
	s_or_b32 exec_lo, exec_lo, s20
	v_lshlrev_b32_e32 v27, 8, v11
	v_lshl_add_u32 v3, v3, 10, 0x2000
	v_lshlrev_b32_e32 v2, 7, v2
	v_and_b32_e32 v27, 0x8000, v27
	v_and_b32_e32 v3, 0xfc00, v3
	v_or3_b32 v30, v27, v3, v2
.LBB270_1334:                           ;   in Loop: Header=BB270_800 Depth=1
	s_or_b32 exec_lo, exec_lo, s19
.LBB270_1335:                           ;   in Loop: Header=BB270_800 Depth=1
	s_or_b32 exec_lo, exec_lo, s18
.LBB270_1336:                           ;   in Loop: Header=BB270_800 Depth=1
	s_or_b32 exec_lo, exec_lo, s15
	v_lshrrev_b16 v3, 8, v11
	s_mov_b32 s15, exec_lo
	v_cmpx_ne_u16_e32 0, v3
	s_cbranch_execz .LBB270_1344
; %bb.1337:                             ;   in Loop: Header=BB270_800 Depth=1
	v_bfrev_b32_e32 v28, 1
	s_mov_b32 s18, exec_lo
	v_cmpx_ne_u16_e32 0x80, v3
	s_cbranch_execz .LBB270_1343
; %bb.1338:                             ;   in Loop: Header=BB270_800 Depth=1
	v_and_b32_sdwa v101, v3, v48 dst_sel:DWORD dst_unused:UNUSED_PAD src0_sel:WORD_0 src1_sel:DWORD
	v_mov_b32_e32 v28, 0x7c010000
	s_mov_b32 s19, exec_lo
	v_cmpx_ne_u32_e32 0x7f, v101
	s_cbranch_execz .LBB270_1342
; %bb.1339:                             ;   in Loop: Header=BB270_800 Depth=1
	v_and_b32_sdwa v2, v3, v49 dst_sel:DWORD dst_unused:UNUSED_PAD src0_sel:WORD_0 src1_sel:DWORD
	v_lshrrev_b32_e32 v27, 3, v101
	s_mov_b32 s20, exec_lo
	v_cmpx_gt_u32_e32 8, v101
; %bb.1340:                             ;   in Loop: Header=BB270_800 Depth=1
	v_ffbh_u32_e32 v2, v2
	v_min_u32_e32 v2, 32, v2
	v_subrev_nc_u32_e32 v27, 28, v2
	v_lshlrev_b64 v[101:102], v27, v[3:4]
	v_sub_nc_u32_e32 v27, 29, v2
	v_and_b32_e32 v2, 7, v101
; %bb.1341:                             ;   in Loop: Header=BB270_800 Depth=1
	s_or_b32 exec_lo, exec_lo, s20
	v_lshlrev_b32_sdwa v3, v50, v3 dst_sel:DWORD dst_unused:UNUSED_PAD src0_sel:DWORD src1_sel:WORD_0
	v_lshl_add_u32 v27, v27, 10, 0x2000
	v_lshlrev_b32_e32 v2, 23, v2
	v_and_or_b32 v3, 0x8000, v3, v27
	v_lshl_or_b32 v28, v3, 16, v2
.LBB270_1342:                           ;   in Loop: Header=BB270_800 Depth=1
	s_or_b32 exec_lo, exec_lo, s19
.LBB270_1343:                           ;   in Loop: Header=BB270_800 Depth=1
	s_or_b32 exec_lo, exec_lo, s18
.LBB270_1344:                           ;   in Loop: Header=BB270_800 Depth=1
	s_or_b32 exec_lo, exec_lo, s15
	v_lshrrev_b32_e32 v2, 16, v11
	v_mov_b32_e32 v101, 0
	v_mov_b32_e32 v102, 0
	v_cmp_ne_u16_sdwa s4, v2, v4 src0_sel:BYTE_0 src1_sel:DWORD
	s_and_saveexec_b32 s15, s4
	s_cbranch_execz .LBB270_1352
; %bb.1345:                             ;   in Loop: Header=BB270_800 Depth=1
	v_cmp_ne_u16_sdwa s4, v2, v34 src0_sel:BYTE_0 src1_sel:DWORD
	v_mov_b32_e32 v102, 0x8000
	s_and_saveexec_b32 s18, s4
	s_cbranch_execz .LBB270_1351
; %bb.1346:                             ;   in Loop: Header=BB270_800 Depth=1
	v_bfe_u32 v103, v11, 16, 7
	v_mov_b32_e32 v102, 0x7c01
	s_mov_b32 s19, exec_lo
	v_cmpx_ne_u32_e32 0x7f, v103
	s_cbranch_execz .LBB270_1350
; %bb.1347:                             ;   in Loop: Header=BB270_800 Depth=1
	v_and_b32_e32 v3, 7, v2
	v_lshrrev_b32_e32 v27, 3, v103
	s_mov_b32 s20, exec_lo
	v_cmpx_gt_u32_e32 8, v103
; %bb.1348:                             ;   in Loop: Header=BB270_800 Depth=1
	v_ffbh_u32_e32 v3, v3
	v_min_u32_e32 v3, 32, v3
	v_subrev_nc_u32_e32 v27, 28, v3
	v_lshlrev_b64 v[102:103], v27, v[2:3]
	v_sub_nc_u32_e32 v27, 29, v3
	v_and_b32_e32 v3, 7, v102
; %bb.1349:                             ;   in Loop: Header=BB270_800 Depth=1
	s_or_b32 exec_lo, exec_lo, s20
	v_lshlrev_b32_e32 v2, 8, v2
	v_lshl_add_u32 v27, v27, 10, 0x2000
	v_lshlrev_b32_e32 v3, 7, v3
	v_and_b32_e32 v2, 0x8000, v2
	v_and_b32_e32 v27, 0xfc00, v27
	v_or3_b32 v102, v2, v27, v3
.LBB270_1350:                           ;   in Loop: Header=BB270_800 Depth=1
	s_or_b32 exec_lo, exec_lo, s19
.LBB270_1351:                           ;   in Loop: Header=BB270_800 Depth=1
	s_or_b32 exec_lo, exec_lo, s18
.LBB270_1352:                           ;   in Loop: Header=BB270_800 Depth=1
	s_or_b32 exec_lo, exec_lo, s15
	s_mov_b32 s15, exec_lo
	v_cmpx_lt_u32_e32 0xffffff, v11
	s_cbranch_execz .LBB270_1360
; %bb.1353:                             ;   in Loop: Header=BB270_800 Depth=1
	v_lshrrev_b32_e32 v3, 24, v11
	v_bfrev_b32_e32 v101, 1
	s_mov_b32 s18, exec_lo
	v_cmpx_ne_u32_e32 0x80, v3
	s_cbranch_execz .LBB270_1359
; %bb.1354:                             ;   in Loop: Header=BB270_800 Depth=1
	v_and_b32_e32 v103, 0x7f, v3
	v_mov_b32_e32 v101, 0x7c010000
	s_mov_b32 s19, exec_lo
	v_cmpx_ne_u32_e32 0x7f, v103
	s_cbranch_execz .LBB270_1358
; %bb.1355:                             ;   in Loop: Header=BB270_800 Depth=1
	v_and_b32_e32 v2, 7, v3
	v_lshrrev_b32_e32 v27, 3, v103
	s_mov_b32 s20, exec_lo
	v_cmpx_gt_u32_e32 8, v103
; %bb.1356:                             ;   in Loop: Header=BB270_800 Depth=1
	v_ffbh_u32_e32 v2, v2
	v_min_u32_e32 v2, 32, v2
	v_subrev_nc_u32_e32 v27, 28, v2
	v_lshlrev_b64 v[112:113], v27, v[3:4]
	v_sub_nc_u32_e32 v27, 29, v2
	v_and_b32_e32 v2, 7, v112
; %bb.1357:                             ;   in Loop: Header=BB270_800 Depth=1
	s_or_b32 exec_lo, exec_lo, s20
	v_lshlrev_b32_e32 v3, 8, v3
	v_lshl_add_u32 v27, v27, 10, 0x2000
	v_lshlrev_b32_e32 v2, 23, v2
	v_and_or_b32 v3, 0x8000, v3, v27
	v_lshl_or_b32 v101, v3, 16, v2
.LBB270_1358:                           ;   in Loop: Header=BB270_800 Depth=1
	s_or_b32 exec_lo, exec_lo, s19
.LBB270_1359:                           ;   in Loop: Header=BB270_800 Depth=1
	s_or_b32 exec_lo, exec_lo, s18
.LBB270_1360:                           ;   in Loop: Header=BB270_800 Depth=1
	s_or_b32 exec_lo, exec_lo, s15
	v_mov_b32_e32 v3, v12
	v_cmp_ne_u16_sdwa s4, v12, v4 src0_sel:BYTE_0 src1_sel:DWORD
	v_mov_b32_e32 v103, 0
	v_mov_b32_e32 v112, 0
	s_and_saveexec_b32 s15, s4
	s_cbranch_execz .LBB270_1368
; %bb.1361:                             ;   in Loop: Header=BB270_800 Depth=1
	v_cmp_ne_u16_sdwa s4, v12, v34 src0_sel:BYTE_0 src1_sel:DWORD
	v_mov_b32_e32 v112, 0x8000
	s_and_saveexec_b32 s18, s4
	s_cbranch_execz .LBB270_1367
; %bb.1362:                             ;   in Loop: Header=BB270_800 Depth=1
	v_and_b32_e32 v113, 0x7f, v12
	v_mov_b32_e32 v112, 0x7c01
	s_mov_b32 s19, exec_lo
	v_cmpx_ne_u32_e32 0x7f, v113
	s_cbranch_execz .LBB270_1366
; %bb.1363:                             ;   in Loop: Header=BB270_800 Depth=1
	v_and_b32_e32 v2, 7, v12
	v_lshrrev_b32_e32 v27, 3, v113
	s_mov_b32 s20, exec_lo
	v_cmpx_gt_u32_e32 8, v113
; %bb.1364:                             ;   in Loop: Header=BB270_800 Depth=1
	v_ffbh_u32_e32 v2, v2
	v_min_u32_e32 v2, 32, v2
	v_subrev_nc_u32_e32 v27, 28, v2
	v_lshlrev_b64 v[112:113], v27, v[3:4]
	v_sub_nc_u32_e32 v27, 29, v2
	v_and_b32_e32 v2, 7, v112
; %bb.1365:                             ;   in Loop: Header=BB270_800 Depth=1
	s_or_b32 exec_lo, exec_lo, s20
	v_lshlrev_b32_e32 v112, 8, v12
	v_lshl_add_u32 v27, v27, 10, 0x2000
	v_lshlrev_b32_e32 v2, 7, v2
	v_and_b32_e32 v112, 0x8000, v112
	v_and_b32_e32 v27, 0xfc00, v27
	v_or3_b32 v112, v112, v27, v2
.LBB270_1366:                           ;   in Loop: Header=BB270_800 Depth=1
	s_or_b32 exec_lo, exec_lo, s19
.LBB270_1367:                           ;   in Loop: Header=BB270_800 Depth=1
	s_or_b32 exec_lo, exec_lo, s18
.LBB270_1368:                           ;   in Loop: Header=BB270_800 Depth=1
	s_or_b32 exec_lo, exec_lo, s15
	v_lshrrev_b16 v3, 8, v3
	v_mov_b32_e32 v27, 0
	s_mov_b32 s15, exec_lo
	v_cmpx_ne_u16_e32 0, v3
	s_cbranch_execz .LBB270_1376
; %bb.1369:                             ;   in Loop: Header=BB270_800 Depth=1
	v_bfrev_b32_e32 v27, 1
	s_mov_b32 s18, exec_lo
	v_cmpx_ne_u16_e32 0x80, v3
	s_cbranch_execz .LBB270_1375
; %bb.1370:                             ;   in Loop: Header=BB270_800 Depth=1
	v_and_b32_sdwa v113, v3, v48 dst_sel:DWORD dst_unused:UNUSED_PAD src0_sel:WORD_0 src1_sel:DWORD
	v_mov_b32_e32 v27, 0x7c010000
	s_mov_b32 s19, exec_lo
	v_cmpx_ne_u32_e32 0x7f, v113
	s_cbranch_execz .LBB270_1374
; %bb.1371:                             ;   in Loop: Header=BB270_800 Depth=1
	v_and_b32_sdwa v2, v3, v49 dst_sel:DWORD dst_unused:UNUSED_PAD src0_sel:WORD_0 src1_sel:DWORD
	v_lshrrev_b32_e32 v27, 3, v113
	s_mov_b32 s20, exec_lo
	v_cmpx_gt_u32_e32 8, v113
; %bb.1372:                             ;   in Loop: Header=BB270_800 Depth=1
	v_ffbh_u32_e32 v2, v2
	v_min_u32_e32 v2, 32, v2
	v_subrev_nc_u32_e32 v27, 28, v2
	v_lshlrev_b64 v[113:114], v27, v[3:4]
	v_sub_nc_u32_e32 v27, 29, v2
	v_and_b32_e32 v2, 7, v113
; %bb.1373:                             ;   in Loop: Header=BB270_800 Depth=1
	s_or_b32 exec_lo, exec_lo, s20
	v_lshlrev_b32_sdwa v3, v50, v3 dst_sel:DWORD dst_unused:UNUSED_PAD src0_sel:DWORD src1_sel:WORD_0
	v_lshl_add_u32 v27, v27, 10, 0x2000
	v_lshlrev_b32_e32 v2, 23, v2
	v_and_or_b32 v3, 0x8000, v3, v27
	v_lshl_or_b32 v27, v3, 16, v2
.LBB270_1374:                           ;   in Loop: Header=BB270_800 Depth=1
	s_or_b32 exec_lo, exec_lo, s19
.LBB270_1375:                           ;   in Loop: Header=BB270_800 Depth=1
	s_or_b32 exec_lo, exec_lo, s18
.LBB270_1376:                           ;   in Loop: Header=BB270_800 Depth=1
	s_or_b32 exec_lo, exec_lo, s15
	v_lshrrev_b32_e32 v2, 16, v12
	v_cmp_ne_u16_sdwa s4, v2, v4 src0_sel:BYTE_0 src1_sel:DWORD
	s_and_saveexec_b32 s15, s4
	s_cbranch_execz .LBB270_1384
; %bb.1377:                             ;   in Loop: Header=BB270_800 Depth=1
	v_cmp_ne_u16_sdwa s4, v2, v34 src0_sel:BYTE_0 src1_sel:DWORD
	v_mov_b32_e32 v103, 0x8000
	s_and_saveexec_b32 s18, s4
	s_cbranch_execz .LBB270_1383
; %bb.1378:                             ;   in Loop: Header=BB270_800 Depth=1
	v_bfe_u32 v113, v12, 16, 7
	v_mov_b32_e32 v103, 0x7c01
	s_mov_b32 s19, exec_lo
	v_cmpx_ne_u32_e32 0x7f, v113
	s_cbranch_execz .LBB270_1382
; %bb.1379:                             ;   in Loop: Header=BB270_800 Depth=1
	v_and_b32_e32 v3, 7, v2
	v_lshrrev_b32_e32 v103, 3, v113
	s_mov_b32 s20, exec_lo
	v_cmpx_gt_u32_e32 8, v113
; %bb.1380:                             ;   in Loop: Header=BB270_800 Depth=1
	v_ffbh_u32_e32 v3, v3
	v_min_u32_e32 v3, 32, v3
	v_subrev_nc_u32_e32 v103, 28, v3
	v_lshlrev_b64 v[113:114], v103, v[2:3]
	v_sub_nc_u32_e32 v103, 29, v3
	v_and_b32_e32 v3, 7, v113
; %bb.1381:                             ;   in Loop: Header=BB270_800 Depth=1
	s_or_b32 exec_lo, exec_lo, s20
	v_lshlrev_b32_e32 v2, 8, v2
	v_lshl_add_u32 v103, v103, 10, 0x2000
	v_lshlrev_b32_e32 v3, 7, v3
	v_and_b32_e32 v2, 0x8000, v2
	v_and_b32_e32 v103, 0xfc00, v103
	v_or3_b32 v103, v2, v103, v3
.LBB270_1382:                           ;   in Loop: Header=BB270_800 Depth=1
	s_or_b32 exec_lo, exec_lo, s19
.LBB270_1383:                           ;   in Loop: Header=BB270_800 Depth=1
	s_or_b32 exec_lo, exec_lo, s18
.LBB270_1384:                           ;   in Loop: Header=BB270_800 Depth=1
	s_or_b32 exec_lo, exec_lo, s15
	v_mov_b32_e32 v2, 0
	s_mov_b32 s15, exec_lo
	v_cmpx_lt_u64_e64 s[6:7], v[11:12]
	s_cbranch_execz .LBB270_1392
; %bb.1385:                             ;   in Loop: Header=BB270_800 Depth=1
	v_lshrrev_b32_e32 v3, 24, v12
	v_bfrev_b32_e32 v2, 1
	s_mov_b32 s18, exec_lo
	v_cmpx_ne_u32_e32 0x80, v3
	s_cbranch_execz .LBB270_1391
; %bb.1386:                             ;   in Loop: Header=BB270_800 Depth=1
	v_and_b32_e32 v12, 0x7f, v3
	v_mov_b32_e32 v2, 0x7c010000
	s_mov_b32 s19, exec_lo
	v_cmpx_ne_u32_e32 0x7f, v12
	s_cbranch_execz .LBB270_1390
; %bb.1387:                             ;   in Loop: Header=BB270_800 Depth=1
	v_and_b32_e32 v2, 7, v3
	v_lshrrev_b32_e32 v11, 3, v12
	s_mov_b32 s20, exec_lo
	v_cmpx_gt_u32_e32 8, v12
; %bb.1388:                             ;   in Loop: Header=BB270_800 Depth=1
	v_ffbh_u32_e32 v2, v2
	v_min_u32_e32 v2, 32, v2
	v_subrev_nc_u32_e32 v11, 28, v2
	v_lshlrev_b64 v[113:114], v11, v[3:4]
	v_sub_nc_u32_e32 v11, 29, v2
	v_and_b32_e32 v2, 7, v113
; %bb.1389:                             ;   in Loop: Header=BB270_800 Depth=1
	s_or_b32 exec_lo, exec_lo, s20
	v_lshlrev_b32_e32 v3, 8, v3
	v_lshl_add_u32 v11, v11, 10, 0x2000
	v_lshlrev_b32_e32 v2, 23, v2
	v_and_or_b32 v3, 0x8000, v3, v11
	v_lshl_or_b32 v2, v3, 16, v2
.LBB270_1390:                           ;   in Loop: Header=BB270_800 Depth=1
	s_or_b32 exec_lo, exec_lo, s19
.LBB270_1391:                           ;   in Loop: Header=BB270_800 Depth=1
	s_or_b32 exec_lo, exec_lo, s18
.LBB270_1392:                           ;   in Loop: Header=BB270_800 Depth=1
	s_or_b32 exec_lo, exec_lo, s15
	v_or_b32_e32 v3, v101, v102
	v_or_b32_e32 v12, v28, v30
	;; [unrolled: 1-line block ×4, first 2 shown]
	s_waitcnt vmcnt(0) lgkmcnt(0)
	v_fma_mixlo_f16 v11, v26, v101, 0 op_sel:[0,1,0] op_sel_hi:[0,1,0]
	v_fma_mixlo_f16 v28, v26, v28, 0 op_sel:[0,1,0] op_sel_hi:[0,1,0]
	v_fma_mixlo_f16 v101, v26, v3, 0 op_sel_hi:[0,1,0]
	v_fma_mixlo_f16 v12, v26, v12, 0 op_sel_hi:[0,1,0]
	v_fma_mixlo_f16 v27, v26, v27, 0 op_sel:[0,1,0] op_sel_hi:[0,1,0]
	v_fma_mixlo_f16 v30, v26, v30, 0 op_sel_hi:[0,1,0]
	v_fma_mixlo_f16 v2, v26, v2, 0 op_sel:[0,1,0] op_sel_hi:[0,1,0]
	v_fma_mixlo_f16 v26, v26, v102, 0 op_sel_hi:[0,1,0]
	v_lshlrev_b32_e32 v3, 16, v11
	v_lshlrev_b32_e32 v28, 16, v28
	v_and_b32_e32 v11, 0xffff, v101
	v_and_b32_e32 v112, 0xffff, v12
	v_lshlrev_b32_e32 v12, 16, v27
	v_and_b32_e32 v30, 0xffff, v30
	v_lshlrev_b32_e32 v2, 16, v2
	v_and_b32_e32 v26, 0xffff, v26
	v_or_b32_e32 v27, v3, v11
	v_or_b32_e32 v103, v28, v112
	;; [unrolled: 1-line block ×4, first 2 shown]
	s_and_saveexec_b32 s15, vcc_lo
	s_cbranch_execz .LBB270_1394
; %bb.1393:                             ;   in Loop: Header=BB270_800 Depth=1
	v_cmp_lt_i32_e64 s4, v52, v29
	v_cndmask_b32_e64 v27, 0, v112, s4
	v_cmp_lt_i32_e64 s4, v80, v29
	v_cndmask_b32_e64 v28, 0, v28, s4
	v_cmp_lt_i32_e64 s4, v71, v29
	v_or_b32_e32 v103, v27, v28
	v_cndmask_b32_e64 v11, 0, v11, s4
	v_cmp_lt_i32_e64 s4, v69, v29
	v_cndmask_b32_e64 v3, 0, v3, s4
	v_cmp_lt_i32_e64 s4, v66, v29
	v_or_b32_e32 v27, v11, v3
	;; [unrolled: 5-line block ×3, first 2 shown]
	v_cndmask_b32_e64 v26, 0, v26, s4
	v_cmp_lt_i32_e64 s4, v19, v29
	v_cndmask_b32_e64 v2, 0, v2, s4
	v_or_b32_e32 v101, v26, v2
.LBB270_1394:                           ;   in Loop: Header=BB270_800 Depth=1
	s_or_b32 exec_lo, exec_lo, s15
	;;#ASMSTART
	v_pk_mul_f16 v2, v68, v103;

	;;#ASMEND
	;;#ASMSTART
	v_pk_mul_f16 v3, v65, v27;

	;;#ASMEND
	;; [unrolled: 4-line block ×4, first 2 shown]
	;;#ASMSTART
	v_pk_add_f16 v2, v2, v3;

	;;#ASMEND
	;;#ASMSTART
	v_pk_add_f16 v2, v2, v11;

	;;#ASMEND
	;; [unrolled: 4-line block ×3, first 2 shown]
	v_and_b32_e32 v3, 0xffff, v2
	v_lshrrev_b32_e32 v2, 16, v2
	;;#ASMSTART
	v_cvt_f32_f16 v26, v3;
	;;#ASMEND
	;;#ASMSTART
	v_cvt_f32_f16 v28, v2;
	;;#ASMEND
	flat_load_dwordx2 v[11:12], v[9:10] offset:256
	flat_load_dword v30, v[22:23]
	v_mov_b32_e32 v101, 0
	v_mov_b32_e32 v102, 0
	s_waitcnt vmcnt(1) lgkmcnt(1)
	v_cmp_ne_u16_sdwa s4, v11, v4 src0_sel:BYTE_0 src1_sel:DWORD
	s_and_saveexec_b32 s15, s4
	s_cbranch_execz .LBB270_1402
; %bb.1395:                             ;   in Loop: Header=BB270_800 Depth=1
	v_cmp_ne_u16_sdwa s4, v11, v34 src0_sel:BYTE_0 src1_sel:DWORD
	v_mov_b32_e32 v102, 0x8000
	s_and_saveexec_b32 s18, s4
	s_cbranch_execz .LBB270_1401
; %bb.1396:                             ;   in Loop: Header=BB270_800 Depth=1
	v_and_b32_e32 v27, 0x7f, v11
	v_mov_b32_e32 v102, 0x7c01
	s_mov_b32 s19, exec_lo
	v_cmpx_ne_u32_e32 0x7f, v27
	s_cbranch_execz .LBB270_1400
; %bb.1397:                             ;   in Loop: Header=BB270_800 Depth=1
	v_and_b32_e32 v2, 7, v11
	v_lshrrev_b32_e32 v3, 3, v27
	s_mov_b32 s20, exec_lo
	v_cmpx_gt_u32_e32 8, v27
; %bb.1398:                             ;   in Loop: Header=BB270_800 Depth=1
	v_ffbh_u32_e32 v2, v2
	v_min_u32_e32 v27, 32, v2
	v_subrev_nc_u32_e32 v2, 28, v27
	v_lshlrev_b64 v[2:3], v2, v[11:12]
	v_sub_nc_u32_e32 v3, 29, v27
	v_and_b32_e32 v2, 7, v2
; %bb.1399:                             ;   in Loop: Header=BB270_800 Depth=1
	s_or_b32 exec_lo, exec_lo, s20
	v_lshlrev_b32_e32 v27, 8, v11
	v_lshl_add_u32 v3, v3, 10, 0x2000
	v_lshlrev_b32_e32 v2, 7, v2
	v_and_b32_e32 v27, 0x8000, v27
	v_and_b32_e32 v3, 0xfc00, v3
	v_or3_b32 v102, v27, v3, v2
.LBB270_1400:                           ;   in Loop: Header=BB270_800 Depth=1
	s_or_b32 exec_lo, exec_lo, s19
.LBB270_1401:                           ;   in Loop: Header=BB270_800 Depth=1
	s_or_b32 exec_lo, exec_lo, s18
.LBB270_1402:                           ;   in Loop: Header=BB270_800 Depth=1
	s_or_b32 exec_lo, exec_lo, s15
	v_lshrrev_b16 v3, 8, v11
	s_mov_b32 s15, exec_lo
	v_cmpx_ne_u16_e32 0, v3
	s_cbranch_execz .LBB270_1410
; %bb.1403:                             ;   in Loop: Header=BB270_800 Depth=1
	v_bfrev_b32_e32 v101, 1
	s_mov_b32 s18, exec_lo
	v_cmpx_ne_u16_e32 0x80, v3
	s_cbranch_execz .LBB270_1409
; %bb.1404:                             ;   in Loop: Header=BB270_800 Depth=1
	v_and_b32_sdwa v103, v3, v48 dst_sel:DWORD dst_unused:UNUSED_PAD src0_sel:WORD_0 src1_sel:DWORD
	v_mov_b32_e32 v101, 0x7c010000
	s_mov_b32 s19, exec_lo
	v_cmpx_ne_u32_e32 0x7f, v103
	s_cbranch_execz .LBB270_1408
; %bb.1405:                             ;   in Loop: Header=BB270_800 Depth=1
	v_and_b32_sdwa v2, v3, v49 dst_sel:DWORD dst_unused:UNUSED_PAD src0_sel:WORD_0 src1_sel:DWORD
	v_lshrrev_b32_e32 v27, 3, v103
	s_mov_b32 s20, exec_lo
	v_cmpx_gt_u32_e32 8, v103
; %bb.1406:                             ;   in Loop: Header=BB270_800 Depth=1
	v_ffbh_u32_e32 v2, v2
	v_min_u32_e32 v2, 32, v2
	v_subrev_nc_u32_e32 v27, 28, v2
	v_lshlrev_b64 v[112:113], v27, v[3:4]
	v_sub_nc_u32_e32 v27, 29, v2
	v_and_b32_e32 v2, 7, v112
; %bb.1407:                             ;   in Loop: Header=BB270_800 Depth=1
	s_or_b32 exec_lo, exec_lo, s20
	v_lshlrev_b32_sdwa v3, v50, v3 dst_sel:DWORD dst_unused:UNUSED_PAD src0_sel:DWORD src1_sel:WORD_0
	v_lshl_add_u32 v27, v27, 10, 0x2000
	v_lshlrev_b32_e32 v2, 23, v2
	v_and_or_b32 v3, 0x8000, v3, v27
	v_lshl_or_b32 v101, v3, 16, v2
.LBB270_1408:                           ;   in Loop: Header=BB270_800 Depth=1
	s_or_b32 exec_lo, exec_lo, s19
.LBB270_1409:                           ;   in Loop: Header=BB270_800 Depth=1
	s_or_b32 exec_lo, exec_lo, s18
.LBB270_1410:                           ;   in Loop: Header=BB270_800 Depth=1
	s_or_b32 exec_lo, exec_lo, s15
	v_lshrrev_b32_e32 v2, 16, v11
	v_mov_b32_e32 v103, 0
	v_mov_b32_e32 v112, 0
	v_cmp_ne_u16_sdwa s4, v2, v4 src0_sel:BYTE_0 src1_sel:DWORD
	s_and_saveexec_b32 s15, s4
	s_cbranch_execz .LBB270_1418
; %bb.1411:                             ;   in Loop: Header=BB270_800 Depth=1
	v_cmp_ne_u16_sdwa s4, v2, v34 src0_sel:BYTE_0 src1_sel:DWORD
	v_mov_b32_e32 v112, 0x8000
	s_and_saveexec_b32 s18, s4
	s_cbranch_execz .LBB270_1417
; %bb.1412:                             ;   in Loop: Header=BB270_800 Depth=1
	v_bfe_u32 v113, v11, 16, 7
	v_mov_b32_e32 v112, 0x7c01
	s_mov_b32 s19, exec_lo
	v_cmpx_ne_u32_e32 0x7f, v113
	s_cbranch_execz .LBB270_1416
; %bb.1413:                             ;   in Loop: Header=BB270_800 Depth=1
	v_and_b32_e32 v3, 7, v2
	v_lshrrev_b32_e32 v27, 3, v113
	s_mov_b32 s20, exec_lo
	v_cmpx_gt_u32_e32 8, v113
; %bb.1414:                             ;   in Loop: Header=BB270_800 Depth=1
	v_ffbh_u32_e32 v3, v3
	v_min_u32_e32 v3, 32, v3
	v_subrev_nc_u32_e32 v27, 28, v3
	v_lshlrev_b64 v[112:113], v27, v[2:3]
	v_sub_nc_u32_e32 v27, 29, v3
	v_and_b32_e32 v3, 7, v112
; %bb.1415:                             ;   in Loop: Header=BB270_800 Depth=1
	s_or_b32 exec_lo, exec_lo, s20
	v_lshlrev_b32_e32 v2, 8, v2
	v_lshl_add_u32 v27, v27, 10, 0x2000
	v_lshlrev_b32_e32 v3, 7, v3
	v_and_b32_e32 v2, 0x8000, v2
	v_and_b32_e32 v27, 0xfc00, v27
	v_or3_b32 v112, v2, v27, v3
.LBB270_1416:                           ;   in Loop: Header=BB270_800 Depth=1
	s_or_b32 exec_lo, exec_lo, s19
.LBB270_1417:                           ;   in Loop: Header=BB270_800 Depth=1
	s_or_b32 exec_lo, exec_lo, s18
.LBB270_1418:                           ;   in Loop: Header=BB270_800 Depth=1
	s_or_b32 exec_lo, exec_lo, s15
	s_mov_b32 s15, exec_lo
	v_cmpx_lt_u32_e32 0xffffff, v11
	s_cbranch_execz .LBB270_1426
; %bb.1419:                             ;   in Loop: Header=BB270_800 Depth=1
	v_lshrrev_b32_e32 v3, 24, v11
	v_bfrev_b32_e32 v103, 1
	s_mov_b32 s18, exec_lo
	v_cmpx_ne_u32_e32 0x80, v3
	s_cbranch_execz .LBB270_1425
; %bb.1420:                             ;   in Loop: Header=BB270_800 Depth=1
	v_and_b32_e32 v113, 0x7f, v3
	v_mov_b32_e32 v103, 0x7c010000
	s_mov_b32 s19, exec_lo
	v_cmpx_ne_u32_e32 0x7f, v113
	s_cbranch_execz .LBB270_1424
; %bb.1421:                             ;   in Loop: Header=BB270_800 Depth=1
	v_and_b32_e32 v2, 7, v3
	v_lshrrev_b32_e32 v27, 3, v113
	s_mov_b32 s20, exec_lo
	v_cmpx_gt_u32_e32 8, v113
; %bb.1422:                             ;   in Loop: Header=BB270_800 Depth=1
	v_ffbh_u32_e32 v2, v2
	v_min_u32_e32 v2, 32, v2
	v_subrev_nc_u32_e32 v27, 28, v2
	v_lshlrev_b64 v[113:114], v27, v[3:4]
	v_sub_nc_u32_e32 v27, 29, v2
	v_and_b32_e32 v2, 7, v113
; %bb.1423:                             ;   in Loop: Header=BB270_800 Depth=1
	s_or_b32 exec_lo, exec_lo, s20
	v_lshlrev_b32_e32 v3, 8, v3
	v_lshl_add_u32 v27, v27, 10, 0x2000
	v_lshlrev_b32_e32 v2, 23, v2
	v_and_or_b32 v3, 0x8000, v3, v27
	v_lshl_or_b32 v103, v3, 16, v2
.LBB270_1424:                           ;   in Loop: Header=BB270_800 Depth=1
	s_or_b32 exec_lo, exec_lo, s19
.LBB270_1425:                           ;   in Loop: Header=BB270_800 Depth=1
	s_or_b32 exec_lo, exec_lo, s18
.LBB270_1426:                           ;   in Loop: Header=BB270_800 Depth=1
	s_or_b32 exec_lo, exec_lo, s15
	v_mov_b32_e32 v3, v12
	v_cmp_ne_u16_sdwa s4, v12, v4 src0_sel:BYTE_0 src1_sel:DWORD
	v_mov_b32_e32 v113, 0
	v_mov_b32_e32 v114, 0
	s_and_saveexec_b32 s15, s4
	s_cbranch_execz .LBB270_1434
; %bb.1427:                             ;   in Loop: Header=BB270_800 Depth=1
	v_cmp_ne_u16_sdwa s4, v12, v34 src0_sel:BYTE_0 src1_sel:DWORD
	v_mov_b32_e32 v114, 0x8000
	s_and_saveexec_b32 s18, s4
	s_cbranch_execz .LBB270_1433
; %bb.1428:                             ;   in Loop: Header=BB270_800 Depth=1
	v_and_b32_e32 v115, 0x7f, v12
	v_mov_b32_e32 v114, 0x7c01
	s_mov_b32 s19, exec_lo
	v_cmpx_ne_u32_e32 0x7f, v115
	s_cbranch_execz .LBB270_1432
; %bb.1429:                             ;   in Loop: Header=BB270_800 Depth=1
	v_and_b32_e32 v2, 7, v12
	v_lshrrev_b32_e32 v27, 3, v115
	s_mov_b32 s20, exec_lo
	v_cmpx_gt_u32_e32 8, v115
; %bb.1430:                             ;   in Loop: Header=BB270_800 Depth=1
	v_ffbh_u32_e32 v2, v2
	v_min_u32_e32 v2, 32, v2
	v_subrev_nc_u32_e32 v27, 28, v2
	v_lshlrev_b64 v[114:115], v27, v[3:4]
	v_sub_nc_u32_e32 v27, 29, v2
	v_and_b32_e32 v2, 7, v114
; %bb.1431:                             ;   in Loop: Header=BB270_800 Depth=1
	s_or_b32 exec_lo, exec_lo, s20
	v_lshlrev_b32_e32 v114, 8, v12
	v_lshl_add_u32 v27, v27, 10, 0x2000
	v_lshlrev_b32_e32 v2, 7, v2
	v_and_b32_e32 v114, 0x8000, v114
	v_and_b32_e32 v27, 0xfc00, v27
	v_or3_b32 v114, v114, v27, v2
.LBB270_1432:                           ;   in Loop: Header=BB270_800 Depth=1
	s_or_b32 exec_lo, exec_lo, s19
.LBB270_1433:                           ;   in Loop: Header=BB270_800 Depth=1
	s_or_b32 exec_lo, exec_lo, s18
.LBB270_1434:                           ;   in Loop: Header=BB270_800 Depth=1
	s_or_b32 exec_lo, exec_lo, s15
	v_lshrrev_b16 v3, 8, v3
	v_mov_b32_e32 v27, 0
	s_mov_b32 s15, exec_lo
	v_cmpx_ne_u16_e32 0, v3
	s_cbranch_execz .LBB270_1442
; %bb.1435:                             ;   in Loop: Header=BB270_800 Depth=1
	v_bfrev_b32_e32 v27, 1
	s_mov_b32 s18, exec_lo
	v_cmpx_ne_u16_e32 0x80, v3
	s_cbranch_execz .LBB270_1441
; %bb.1436:                             ;   in Loop: Header=BB270_800 Depth=1
	v_and_b32_sdwa v115, v3, v48 dst_sel:DWORD dst_unused:UNUSED_PAD src0_sel:WORD_0 src1_sel:DWORD
	v_mov_b32_e32 v27, 0x7c010000
	s_mov_b32 s19, exec_lo
	v_cmpx_ne_u32_e32 0x7f, v115
	s_cbranch_execz .LBB270_1440
; %bb.1437:                             ;   in Loop: Header=BB270_800 Depth=1
	v_and_b32_sdwa v2, v3, v49 dst_sel:DWORD dst_unused:UNUSED_PAD src0_sel:WORD_0 src1_sel:DWORD
	v_lshrrev_b32_e32 v27, 3, v115
	s_mov_b32 s20, exec_lo
	v_cmpx_gt_u32_e32 8, v115
; %bb.1438:                             ;   in Loop: Header=BB270_800 Depth=1
	v_ffbh_u32_e32 v2, v2
	v_min_u32_e32 v2, 32, v2
	v_subrev_nc_u32_e32 v27, 28, v2
	v_lshlrev_b64 v[115:116], v27, v[3:4]
	v_sub_nc_u32_e32 v27, 29, v2
	v_and_b32_e32 v2, 7, v115
; %bb.1439:                             ;   in Loop: Header=BB270_800 Depth=1
	s_or_b32 exec_lo, exec_lo, s20
	v_lshlrev_b32_sdwa v3, v50, v3 dst_sel:DWORD dst_unused:UNUSED_PAD src0_sel:DWORD src1_sel:WORD_0
	v_lshl_add_u32 v27, v27, 10, 0x2000
	v_lshlrev_b32_e32 v2, 23, v2
	v_and_or_b32 v3, 0x8000, v3, v27
	v_lshl_or_b32 v27, v3, 16, v2
.LBB270_1440:                           ;   in Loop: Header=BB270_800 Depth=1
	s_or_b32 exec_lo, exec_lo, s19
.LBB270_1441:                           ;   in Loop: Header=BB270_800 Depth=1
	s_or_b32 exec_lo, exec_lo, s18
.LBB270_1442:                           ;   in Loop: Header=BB270_800 Depth=1
	s_or_b32 exec_lo, exec_lo, s15
	v_lshrrev_b32_e32 v2, 16, v12
	v_cmp_ne_u16_sdwa s4, v2, v4 src0_sel:BYTE_0 src1_sel:DWORD
	s_and_saveexec_b32 s15, s4
	s_cbranch_execz .LBB270_1450
; %bb.1443:                             ;   in Loop: Header=BB270_800 Depth=1
	v_cmp_ne_u16_sdwa s4, v2, v34 src0_sel:BYTE_0 src1_sel:DWORD
	v_mov_b32_e32 v113, 0x8000
	s_and_saveexec_b32 s18, s4
	s_cbranch_execz .LBB270_1449
; %bb.1444:                             ;   in Loop: Header=BB270_800 Depth=1
	v_bfe_u32 v115, v12, 16, 7
	v_mov_b32_e32 v113, 0x7c01
	s_mov_b32 s19, exec_lo
	v_cmpx_ne_u32_e32 0x7f, v115
	s_cbranch_execz .LBB270_1448
; %bb.1445:                             ;   in Loop: Header=BB270_800 Depth=1
	v_and_b32_e32 v3, 7, v2
	v_lshrrev_b32_e32 v113, 3, v115
	s_mov_b32 s20, exec_lo
	v_cmpx_gt_u32_e32 8, v115
; %bb.1446:                             ;   in Loop: Header=BB270_800 Depth=1
	v_ffbh_u32_e32 v3, v3
	v_min_u32_e32 v3, 32, v3
	v_subrev_nc_u32_e32 v113, 28, v3
	v_lshlrev_b64 v[115:116], v113, v[2:3]
	v_sub_nc_u32_e32 v113, 29, v3
	v_and_b32_e32 v3, 7, v115
; %bb.1447:                             ;   in Loop: Header=BB270_800 Depth=1
	s_or_b32 exec_lo, exec_lo, s20
	v_lshlrev_b32_e32 v2, 8, v2
	v_lshl_add_u32 v113, v113, 10, 0x2000
	v_lshlrev_b32_e32 v3, 7, v3
	v_and_b32_e32 v2, 0x8000, v2
	v_and_b32_e32 v113, 0xfc00, v113
	v_or3_b32 v113, v2, v113, v3
.LBB270_1448:                           ;   in Loop: Header=BB270_800 Depth=1
	s_or_b32 exec_lo, exec_lo, s19
.LBB270_1449:                           ;   in Loop: Header=BB270_800 Depth=1
	s_or_b32 exec_lo, exec_lo, s18
.LBB270_1450:                           ;   in Loop: Header=BB270_800 Depth=1
	s_or_b32 exec_lo, exec_lo, s15
	v_mov_b32_e32 v2, 0
	s_mov_b32 s15, exec_lo
	v_cmpx_lt_u64_e64 s[6:7], v[11:12]
	s_cbranch_execz .LBB270_1458
; %bb.1451:                             ;   in Loop: Header=BB270_800 Depth=1
	v_lshrrev_b32_e32 v3, 24, v12
	v_bfrev_b32_e32 v2, 1
	s_mov_b32 s18, exec_lo
	v_cmpx_ne_u32_e32 0x80, v3
	s_cbranch_execz .LBB270_1457
; %bb.1452:                             ;   in Loop: Header=BB270_800 Depth=1
	v_and_b32_e32 v12, 0x7f, v3
	v_mov_b32_e32 v2, 0x7c010000
	s_mov_b32 s19, exec_lo
	v_cmpx_ne_u32_e32 0x7f, v12
	s_cbranch_execz .LBB270_1456
; %bb.1453:                             ;   in Loop: Header=BB270_800 Depth=1
	v_and_b32_e32 v2, 7, v3
	v_lshrrev_b32_e32 v11, 3, v12
	s_mov_b32 s20, exec_lo
	v_cmpx_gt_u32_e32 8, v12
; %bb.1454:                             ;   in Loop: Header=BB270_800 Depth=1
	v_ffbh_u32_e32 v2, v2
	v_min_u32_e32 v2, 32, v2
	v_subrev_nc_u32_e32 v11, 28, v2
	v_lshlrev_b64 v[115:116], v11, v[3:4]
	v_sub_nc_u32_e32 v11, 29, v2
	v_and_b32_e32 v2, 7, v115
; %bb.1455:                             ;   in Loop: Header=BB270_800 Depth=1
	s_or_b32 exec_lo, exec_lo, s20
	v_lshlrev_b32_e32 v3, 8, v3
	v_lshl_add_u32 v11, v11, 10, 0x2000
	v_lshlrev_b32_e32 v2, 23, v2
	v_and_or_b32 v3, 0x8000, v3, v11
	v_lshl_or_b32 v2, v3, 16, v2
.LBB270_1456:                           ;   in Loop: Header=BB270_800 Depth=1
	s_or_b32 exec_lo, exec_lo, s19
.LBB270_1457:                           ;   in Loop: Header=BB270_800 Depth=1
	s_or_b32 exec_lo, exec_lo, s18
.LBB270_1458:                           ;   in Loop: Header=BB270_800 Depth=1
	s_or_b32 exec_lo, exec_lo, s15
	v_or_b32_e32 v3, v103, v112
	v_or_b32_e32 v12, v101, v102
	;; [unrolled: 1-line block ×4, first 2 shown]
	s_waitcnt vmcnt(0) lgkmcnt(0)
	v_fma_mixlo_f16 v11, v30, v103, 0 op_sel:[0,1,0] op_sel_hi:[0,1,0]
	v_fma_mixlo_f16 v101, v30, v101, 0 op_sel:[0,1,0] op_sel_hi:[0,1,0]
	v_fma_mixlo_f16 v103, v30, v3, 0 op_sel_hi:[0,1,0]
	v_fma_mixlo_f16 v12, v30, v12, 0 op_sel_hi:[0,1,0]
	v_fma_mixlo_f16 v27, v30, v27, 0 op_sel:[0,1,0] op_sel_hi:[0,1,0]
	v_fma_mixlo_f16 v102, v30, v102, 0 op_sel_hi:[0,1,0]
	v_fma_mixlo_f16 v2, v30, v2, 0 op_sel:[0,1,0] op_sel_hi:[0,1,0]
	v_fma_mixlo_f16 v30, v30, v112, 0 op_sel_hi:[0,1,0]
	v_lshlrev_b32_e32 v3, 16, v11
	v_lshlrev_b32_e32 v101, 16, v101
	v_and_b32_e32 v11, 0xffff, v103
	v_and_b32_e32 v114, 0xffff, v12
	v_lshlrev_b32_e32 v12, 16, v27
	v_and_b32_e32 v102, 0xffff, v102
	v_lshlrev_b32_e32 v2, 16, v2
	v_and_b32_e32 v27, 0xffff, v30
	v_or_b32_e32 v30, v3, v11
	v_or_b32_e32 v113, v101, v114
	v_or_b32_e32 v112, v12, v102
	v_or_b32_e32 v103, v2, v27
	s_and_saveexec_b32 s15, vcc_lo
	s_cbranch_execz .LBB270_1460
; %bb.1459:                             ;   in Loop: Header=BB270_800 Depth=1
	v_cmp_lt_i32_e64 s4, v52, v29
	v_cndmask_b32_e64 v30, 0, v114, s4
	v_cmp_lt_i32_e64 s4, v80, v29
	v_cndmask_b32_e64 v101, 0, v101, s4
	v_cmp_lt_i32_e64 s4, v71, v29
	v_or_b32_e32 v113, v30, v101
	v_cndmask_b32_e64 v11, 0, v11, s4
	v_cmp_lt_i32_e64 s4, v69, v29
	v_cndmask_b32_e64 v3, 0, v3, s4
	v_cmp_lt_i32_e64 s4, v66, v29
	v_or_b32_e32 v30, v11, v3
	;; [unrolled: 5-line block ×3, first 2 shown]
	v_cndmask_b32_e64 v27, 0, v27, s4
	v_cmp_lt_i32_e64 s4, v19, v29
	v_cndmask_b32_e64 v2, 0, v2, s4
	v_or_b32_e32 v103, v27, v2
.LBB270_1460:                           ;   in Loop: Header=BB270_800 Depth=1
	s_or_b32 exec_lo, exec_lo, s15
	;;#ASMSTART
	v_pk_mul_f16 v2, v68, v113;

	;;#ASMEND
	;;#ASMSTART
	v_pk_mul_f16 v3, v65, v30;

	;;#ASMEND
	;; [unrolled: 4-line block ×4, first 2 shown]
	;;#ASMSTART
	v_pk_add_f16 v2, v2, v3;

	;;#ASMEND
	;;#ASMSTART
	v_pk_add_f16 v2, v2, v11;

	;;#ASMEND
	;; [unrolled: 4-line block ×3, first 2 shown]
	v_and_b32_e32 v3, 0xffff, v2
	v_lshrrev_b32_e32 v2, 16, v2
	;;#ASMSTART
	v_cvt_f32_f16 v30, v3;
	;;#ASMEND
	;;#ASMSTART
	v_cvt_f32_f16 v101, v2;
	;;#ASMEND
	flat_load_dwordx2 v[11:12], v[9:10] offset:512
	flat_load_dword v102, v[22:23]
	v_mov_b32_e32 v103, 0
	v_mov_b32_e32 v112, 0
	s_waitcnt vmcnt(1) lgkmcnt(1)
	v_cmp_ne_u16_sdwa s4, v11, v4 src0_sel:BYTE_0 src1_sel:DWORD
	s_and_saveexec_b32 s15, s4
	s_cbranch_execz .LBB270_1468
; %bb.1461:                             ;   in Loop: Header=BB270_800 Depth=1
	v_cmp_ne_u16_sdwa s4, v11, v34 src0_sel:BYTE_0 src1_sel:DWORD
	v_mov_b32_e32 v112, 0x8000
	s_and_saveexec_b32 s18, s4
	s_cbranch_execz .LBB270_1467
; %bb.1462:                             ;   in Loop: Header=BB270_800 Depth=1
	v_and_b32_e32 v27, 0x7f, v11
	v_mov_b32_e32 v112, 0x7c01
	s_mov_b32 s19, exec_lo
	v_cmpx_ne_u32_e32 0x7f, v27
	s_cbranch_execz .LBB270_1466
; %bb.1463:                             ;   in Loop: Header=BB270_800 Depth=1
	v_and_b32_e32 v2, 7, v11
	v_lshrrev_b32_e32 v3, 3, v27
	s_mov_b32 s20, exec_lo
	v_cmpx_gt_u32_e32 8, v27
; %bb.1464:                             ;   in Loop: Header=BB270_800 Depth=1
	v_ffbh_u32_e32 v2, v2
	v_min_u32_e32 v27, 32, v2
	v_subrev_nc_u32_e32 v2, 28, v27
	v_lshlrev_b64 v[2:3], v2, v[11:12]
	v_sub_nc_u32_e32 v3, 29, v27
	v_and_b32_e32 v2, 7, v2
; %bb.1465:                             ;   in Loop: Header=BB270_800 Depth=1
	s_or_b32 exec_lo, exec_lo, s20
	v_lshlrev_b32_e32 v27, 8, v11
	v_lshl_add_u32 v3, v3, 10, 0x2000
	v_lshlrev_b32_e32 v2, 7, v2
	v_and_b32_e32 v27, 0x8000, v27
	v_and_b32_e32 v3, 0xfc00, v3
	v_or3_b32 v112, v27, v3, v2
.LBB270_1466:                           ;   in Loop: Header=BB270_800 Depth=1
	s_or_b32 exec_lo, exec_lo, s19
.LBB270_1467:                           ;   in Loop: Header=BB270_800 Depth=1
	s_or_b32 exec_lo, exec_lo, s18
.LBB270_1468:                           ;   in Loop: Header=BB270_800 Depth=1
	s_or_b32 exec_lo, exec_lo, s15
	v_lshrrev_b16 v3, 8, v11
	s_mov_b32 s15, exec_lo
	v_cmpx_ne_u16_e32 0, v3
	s_cbranch_execz .LBB270_1476
; %bb.1469:                             ;   in Loop: Header=BB270_800 Depth=1
	v_bfrev_b32_e32 v103, 1
	s_mov_b32 s18, exec_lo
	v_cmpx_ne_u16_e32 0x80, v3
	s_cbranch_execz .LBB270_1475
; %bb.1470:                             ;   in Loop: Header=BB270_800 Depth=1
	v_and_b32_sdwa v113, v3, v48 dst_sel:DWORD dst_unused:UNUSED_PAD src0_sel:WORD_0 src1_sel:DWORD
	v_mov_b32_e32 v103, 0x7c010000
	s_mov_b32 s19, exec_lo
	v_cmpx_ne_u32_e32 0x7f, v113
	s_cbranch_execz .LBB270_1474
; %bb.1471:                             ;   in Loop: Header=BB270_800 Depth=1
	v_and_b32_sdwa v2, v3, v49 dst_sel:DWORD dst_unused:UNUSED_PAD src0_sel:WORD_0 src1_sel:DWORD
	v_lshrrev_b32_e32 v27, 3, v113
	s_mov_b32 s20, exec_lo
	v_cmpx_gt_u32_e32 8, v113
; %bb.1472:                             ;   in Loop: Header=BB270_800 Depth=1
	v_ffbh_u32_e32 v2, v2
	v_min_u32_e32 v2, 32, v2
	v_subrev_nc_u32_e32 v27, 28, v2
	v_lshlrev_b64 v[113:114], v27, v[3:4]
	v_sub_nc_u32_e32 v27, 29, v2
	v_and_b32_e32 v2, 7, v113
; %bb.1473:                             ;   in Loop: Header=BB270_800 Depth=1
	s_or_b32 exec_lo, exec_lo, s20
	v_lshlrev_b32_sdwa v3, v50, v3 dst_sel:DWORD dst_unused:UNUSED_PAD src0_sel:DWORD src1_sel:WORD_0
	v_lshl_add_u32 v27, v27, 10, 0x2000
	v_lshlrev_b32_e32 v2, 23, v2
	v_and_or_b32 v3, 0x8000, v3, v27
	v_lshl_or_b32 v103, v3, 16, v2
.LBB270_1474:                           ;   in Loop: Header=BB270_800 Depth=1
	s_or_b32 exec_lo, exec_lo, s19
.LBB270_1475:                           ;   in Loop: Header=BB270_800 Depth=1
	s_or_b32 exec_lo, exec_lo, s18
.LBB270_1476:                           ;   in Loop: Header=BB270_800 Depth=1
	s_or_b32 exec_lo, exec_lo, s15
	v_lshrrev_b32_e32 v2, 16, v11
	v_mov_b32_e32 v113, 0
	v_mov_b32_e32 v114, 0
	v_cmp_ne_u16_sdwa s4, v2, v4 src0_sel:BYTE_0 src1_sel:DWORD
	s_and_saveexec_b32 s15, s4
	s_cbranch_execz .LBB270_1484
; %bb.1477:                             ;   in Loop: Header=BB270_800 Depth=1
	v_cmp_ne_u16_sdwa s4, v2, v34 src0_sel:BYTE_0 src1_sel:DWORD
	v_mov_b32_e32 v114, 0x8000
	s_and_saveexec_b32 s18, s4
	s_cbranch_execz .LBB270_1483
; %bb.1478:                             ;   in Loop: Header=BB270_800 Depth=1
	v_bfe_u32 v115, v11, 16, 7
	v_mov_b32_e32 v114, 0x7c01
	s_mov_b32 s19, exec_lo
	v_cmpx_ne_u32_e32 0x7f, v115
	s_cbranch_execz .LBB270_1482
; %bb.1479:                             ;   in Loop: Header=BB270_800 Depth=1
	v_and_b32_e32 v3, 7, v2
	v_lshrrev_b32_e32 v27, 3, v115
	s_mov_b32 s20, exec_lo
	v_cmpx_gt_u32_e32 8, v115
; %bb.1480:                             ;   in Loop: Header=BB270_800 Depth=1
	v_ffbh_u32_e32 v3, v3
	v_min_u32_e32 v3, 32, v3
	v_subrev_nc_u32_e32 v27, 28, v3
	v_lshlrev_b64 v[114:115], v27, v[2:3]
	v_sub_nc_u32_e32 v27, 29, v3
	v_and_b32_e32 v3, 7, v114
; %bb.1481:                             ;   in Loop: Header=BB270_800 Depth=1
	s_or_b32 exec_lo, exec_lo, s20
	v_lshlrev_b32_e32 v2, 8, v2
	v_lshl_add_u32 v27, v27, 10, 0x2000
	v_lshlrev_b32_e32 v3, 7, v3
	v_and_b32_e32 v2, 0x8000, v2
	v_and_b32_e32 v27, 0xfc00, v27
	v_or3_b32 v114, v2, v27, v3
.LBB270_1482:                           ;   in Loop: Header=BB270_800 Depth=1
	s_or_b32 exec_lo, exec_lo, s19
.LBB270_1483:                           ;   in Loop: Header=BB270_800 Depth=1
	s_or_b32 exec_lo, exec_lo, s18
.LBB270_1484:                           ;   in Loop: Header=BB270_800 Depth=1
	s_or_b32 exec_lo, exec_lo, s15
	s_mov_b32 s15, exec_lo
	v_cmpx_lt_u32_e32 0xffffff, v11
	s_cbranch_execz .LBB270_1492
; %bb.1485:                             ;   in Loop: Header=BB270_800 Depth=1
	v_lshrrev_b32_e32 v3, 24, v11
	v_bfrev_b32_e32 v113, 1
	s_mov_b32 s18, exec_lo
	v_cmpx_ne_u32_e32 0x80, v3
	s_cbranch_execz .LBB270_1491
; %bb.1486:                             ;   in Loop: Header=BB270_800 Depth=1
	v_and_b32_e32 v115, 0x7f, v3
	v_mov_b32_e32 v113, 0x7c010000
	s_mov_b32 s19, exec_lo
	v_cmpx_ne_u32_e32 0x7f, v115
	s_cbranch_execz .LBB270_1490
; %bb.1487:                             ;   in Loop: Header=BB270_800 Depth=1
	v_and_b32_e32 v2, 7, v3
	v_lshrrev_b32_e32 v27, 3, v115
	s_mov_b32 s20, exec_lo
	v_cmpx_gt_u32_e32 8, v115
; %bb.1488:                             ;   in Loop: Header=BB270_800 Depth=1
	v_ffbh_u32_e32 v2, v2
	v_min_u32_e32 v2, 32, v2
	v_subrev_nc_u32_e32 v27, 28, v2
	v_lshlrev_b64 v[115:116], v27, v[3:4]
	v_sub_nc_u32_e32 v27, 29, v2
	v_and_b32_e32 v2, 7, v115
; %bb.1489:                             ;   in Loop: Header=BB270_800 Depth=1
	s_or_b32 exec_lo, exec_lo, s20
	v_lshlrev_b32_e32 v3, 8, v3
	v_lshl_add_u32 v27, v27, 10, 0x2000
	v_lshlrev_b32_e32 v2, 23, v2
	v_and_or_b32 v3, 0x8000, v3, v27
	v_lshl_or_b32 v113, v3, 16, v2
.LBB270_1490:                           ;   in Loop: Header=BB270_800 Depth=1
	s_or_b32 exec_lo, exec_lo, s19
.LBB270_1491:                           ;   in Loop: Header=BB270_800 Depth=1
	s_or_b32 exec_lo, exec_lo, s18
.LBB270_1492:                           ;   in Loop: Header=BB270_800 Depth=1
	s_or_b32 exec_lo, exec_lo, s15
	v_mov_b32_e32 v3, v12
	v_cmp_ne_u16_sdwa s4, v12, v4 src0_sel:BYTE_0 src1_sel:DWORD
	v_mov_b32_e32 v115, 0
	v_mov_b32_e32 v116, 0
	s_and_saveexec_b32 s15, s4
	s_cbranch_execz .LBB270_1500
; %bb.1493:                             ;   in Loop: Header=BB270_800 Depth=1
	v_cmp_ne_u16_sdwa s4, v12, v34 src0_sel:BYTE_0 src1_sel:DWORD
	v_mov_b32_e32 v116, 0x8000
	s_and_saveexec_b32 s18, s4
	s_cbranch_execz .LBB270_1499
; %bb.1494:                             ;   in Loop: Header=BB270_800 Depth=1
	v_and_b32_e32 v117, 0x7f, v12
	v_mov_b32_e32 v116, 0x7c01
	s_mov_b32 s19, exec_lo
	v_cmpx_ne_u32_e32 0x7f, v117
	s_cbranch_execz .LBB270_1498
; %bb.1495:                             ;   in Loop: Header=BB270_800 Depth=1
	v_and_b32_e32 v2, 7, v12
	v_lshrrev_b32_e32 v27, 3, v117
	s_mov_b32 s20, exec_lo
	v_cmpx_gt_u32_e32 8, v117
; %bb.1496:                             ;   in Loop: Header=BB270_800 Depth=1
	v_ffbh_u32_e32 v2, v2
	v_min_u32_e32 v2, 32, v2
	v_subrev_nc_u32_e32 v27, 28, v2
	v_lshlrev_b64 v[116:117], v27, v[3:4]
	v_sub_nc_u32_e32 v27, 29, v2
	v_and_b32_e32 v2, 7, v116
; %bb.1497:                             ;   in Loop: Header=BB270_800 Depth=1
	s_or_b32 exec_lo, exec_lo, s20
	v_lshlrev_b32_e32 v116, 8, v12
	v_lshl_add_u32 v27, v27, 10, 0x2000
	v_lshlrev_b32_e32 v2, 7, v2
	v_and_b32_e32 v116, 0x8000, v116
	v_and_b32_e32 v27, 0xfc00, v27
	v_or3_b32 v116, v116, v27, v2
.LBB270_1498:                           ;   in Loop: Header=BB270_800 Depth=1
	s_or_b32 exec_lo, exec_lo, s19
.LBB270_1499:                           ;   in Loop: Header=BB270_800 Depth=1
	s_or_b32 exec_lo, exec_lo, s18
.LBB270_1500:                           ;   in Loop: Header=BB270_800 Depth=1
	s_or_b32 exec_lo, exec_lo, s15
	v_lshrrev_b16 v3, 8, v3
	v_mov_b32_e32 v27, 0
	s_mov_b32 s15, exec_lo
	v_cmpx_ne_u16_e32 0, v3
	s_cbranch_execz .LBB270_1508
; %bb.1501:                             ;   in Loop: Header=BB270_800 Depth=1
	v_bfrev_b32_e32 v27, 1
	s_mov_b32 s18, exec_lo
	v_cmpx_ne_u16_e32 0x80, v3
	s_cbranch_execz .LBB270_1507
; %bb.1502:                             ;   in Loop: Header=BB270_800 Depth=1
	v_and_b32_sdwa v117, v3, v48 dst_sel:DWORD dst_unused:UNUSED_PAD src0_sel:WORD_0 src1_sel:DWORD
	v_mov_b32_e32 v27, 0x7c010000
	s_mov_b32 s19, exec_lo
	v_cmpx_ne_u32_e32 0x7f, v117
	s_cbranch_execz .LBB270_1506
; %bb.1503:                             ;   in Loop: Header=BB270_800 Depth=1
	v_and_b32_sdwa v2, v3, v49 dst_sel:DWORD dst_unused:UNUSED_PAD src0_sel:WORD_0 src1_sel:DWORD
	v_lshrrev_b32_e32 v27, 3, v117
	s_mov_b32 s20, exec_lo
	v_cmpx_gt_u32_e32 8, v117
; %bb.1504:                             ;   in Loop: Header=BB270_800 Depth=1
	v_ffbh_u32_e32 v2, v2
	v_min_u32_e32 v2, 32, v2
	v_subrev_nc_u32_e32 v27, 28, v2
	v_lshlrev_b64 v[117:118], v27, v[3:4]
	v_sub_nc_u32_e32 v27, 29, v2
	v_and_b32_e32 v2, 7, v117
; %bb.1505:                             ;   in Loop: Header=BB270_800 Depth=1
	s_or_b32 exec_lo, exec_lo, s20
	v_lshlrev_b32_sdwa v3, v50, v3 dst_sel:DWORD dst_unused:UNUSED_PAD src0_sel:DWORD src1_sel:WORD_0
	v_lshl_add_u32 v27, v27, 10, 0x2000
	v_lshlrev_b32_e32 v2, 23, v2
	v_and_or_b32 v3, 0x8000, v3, v27
	v_lshl_or_b32 v27, v3, 16, v2
.LBB270_1506:                           ;   in Loop: Header=BB270_800 Depth=1
	s_or_b32 exec_lo, exec_lo, s19
.LBB270_1507:                           ;   in Loop: Header=BB270_800 Depth=1
	s_or_b32 exec_lo, exec_lo, s18
.LBB270_1508:                           ;   in Loop: Header=BB270_800 Depth=1
	s_or_b32 exec_lo, exec_lo, s15
	v_lshrrev_b32_e32 v2, 16, v12
	v_cmp_ne_u16_sdwa s4, v2, v4 src0_sel:BYTE_0 src1_sel:DWORD
	s_and_saveexec_b32 s15, s4
	s_cbranch_execz .LBB270_1516
; %bb.1509:                             ;   in Loop: Header=BB270_800 Depth=1
	v_cmp_ne_u16_sdwa s4, v2, v34 src0_sel:BYTE_0 src1_sel:DWORD
	v_mov_b32_e32 v115, 0x8000
	s_and_saveexec_b32 s18, s4
	s_cbranch_execz .LBB270_1515
; %bb.1510:                             ;   in Loop: Header=BB270_800 Depth=1
	v_bfe_u32 v117, v12, 16, 7
	v_mov_b32_e32 v115, 0x7c01
	s_mov_b32 s19, exec_lo
	v_cmpx_ne_u32_e32 0x7f, v117
	s_cbranch_execz .LBB270_1514
; %bb.1511:                             ;   in Loop: Header=BB270_800 Depth=1
	v_and_b32_e32 v3, 7, v2
	v_lshrrev_b32_e32 v115, 3, v117
	s_mov_b32 s20, exec_lo
	v_cmpx_gt_u32_e32 8, v117
; %bb.1512:                             ;   in Loop: Header=BB270_800 Depth=1
	v_ffbh_u32_e32 v3, v3
	v_min_u32_e32 v3, 32, v3
	v_subrev_nc_u32_e32 v115, 28, v3
	v_lshlrev_b64 v[117:118], v115, v[2:3]
	v_sub_nc_u32_e32 v115, 29, v3
	v_and_b32_e32 v3, 7, v117
; %bb.1513:                             ;   in Loop: Header=BB270_800 Depth=1
	s_or_b32 exec_lo, exec_lo, s20
	v_lshlrev_b32_e32 v2, 8, v2
	v_lshl_add_u32 v115, v115, 10, 0x2000
	v_lshlrev_b32_e32 v3, 7, v3
	v_and_b32_e32 v2, 0x8000, v2
	v_and_b32_e32 v115, 0xfc00, v115
	v_or3_b32 v115, v2, v115, v3
.LBB270_1514:                           ;   in Loop: Header=BB270_800 Depth=1
	s_or_b32 exec_lo, exec_lo, s19
.LBB270_1515:                           ;   in Loop: Header=BB270_800 Depth=1
	s_or_b32 exec_lo, exec_lo, s18
.LBB270_1516:                           ;   in Loop: Header=BB270_800 Depth=1
	s_or_b32 exec_lo, exec_lo, s15
	v_mov_b32_e32 v2, 0
	s_mov_b32 s15, exec_lo
	v_cmpx_lt_u64_e64 s[6:7], v[11:12]
	s_cbranch_execz .LBB270_1524
; %bb.1517:                             ;   in Loop: Header=BB270_800 Depth=1
	v_lshrrev_b32_e32 v3, 24, v12
	v_bfrev_b32_e32 v2, 1
	s_mov_b32 s18, exec_lo
	v_cmpx_ne_u32_e32 0x80, v3
	s_cbranch_execz .LBB270_1523
; %bb.1518:                             ;   in Loop: Header=BB270_800 Depth=1
	v_and_b32_e32 v12, 0x7f, v3
	v_mov_b32_e32 v2, 0x7c010000
	s_mov_b32 s19, exec_lo
	v_cmpx_ne_u32_e32 0x7f, v12
	s_cbranch_execz .LBB270_1522
; %bb.1519:                             ;   in Loop: Header=BB270_800 Depth=1
	v_and_b32_e32 v2, 7, v3
	v_lshrrev_b32_e32 v11, 3, v12
	s_mov_b32 s20, exec_lo
	v_cmpx_gt_u32_e32 8, v12
; %bb.1520:                             ;   in Loop: Header=BB270_800 Depth=1
	v_ffbh_u32_e32 v2, v2
	v_min_u32_e32 v2, 32, v2
	v_subrev_nc_u32_e32 v11, 28, v2
	v_lshlrev_b64 v[117:118], v11, v[3:4]
	v_sub_nc_u32_e32 v11, 29, v2
	v_and_b32_e32 v2, 7, v117
; %bb.1521:                             ;   in Loop: Header=BB270_800 Depth=1
	s_or_b32 exec_lo, exec_lo, s20
	v_lshlrev_b32_e32 v3, 8, v3
	v_lshl_add_u32 v11, v11, 10, 0x2000
	v_lshlrev_b32_e32 v2, 23, v2
	v_and_or_b32 v3, 0x8000, v3, v11
	v_lshl_or_b32 v2, v3, 16, v2
.LBB270_1522:                           ;   in Loop: Header=BB270_800 Depth=1
	s_or_b32 exec_lo, exec_lo, s19
.LBB270_1523:                           ;   in Loop: Header=BB270_800 Depth=1
	s_or_b32 exec_lo, exec_lo, s18
.LBB270_1524:                           ;   in Loop: Header=BB270_800 Depth=1
	s_or_b32 exec_lo, exec_lo, s15
	v_or_b32_e32 v3, v113, v114
	v_or_b32_e32 v12, v103, v112
	;; [unrolled: 1-line block ×4, first 2 shown]
	s_waitcnt vmcnt(0) lgkmcnt(0)
	v_fma_mixlo_f16 v11, v102, v113, 0 op_sel:[0,1,0] op_sel_hi:[0,1,0]
	v_fma_mixlo_f16 v103, v102, v103, 0 op_sel:[0,1,0] op_sel_hi:[0,1,0]
	v_fma_mixlo_f16 v113, v102, v3, 0 op_sel_hi:[0,1,0]
	v_fma_mixlo_f16 v12, v102, v12, 0 op_sel_hi:[0,1,0]
	v_fma_mixlo_f16 v27, v102, v27, 0 op_sel:[0,1,0] op_sel_hi:[0,1,0]
	v_fma_mixlo_f16 v112, v102, v112, 0 op_sel_hi:[0,1,0]
	v_fma_mixlo_f16 v2, v102, v2, 0 op_sel:[0,1,0] op_sel_hi:[0,1,0]
	v_fma_mixlo_f16 v102, v102, v114, 0 op_sel_hi:[0,1,0]
	v_lshlrev_b32_e32 v3, 16, v11
	v_lshlrev_b32_e32 v103, 16, v103
	v_and_b32_e32 v11, 0xffff, v113
	v_and_b32_e32 v116, 0xffff, v12
	v_lshlrev_b32_e32 v12, 16, v27
	v_and_b32_e32 v112, 0xffff, v112
	v_lshlrev_b32_e32 v2, 16, v2
	v_and_b32_e32 v27, 0xffff, v102
	v_or_b32_e32 v102, v3, v11
	v_or_b32_e32 v115, v103, v116
	;; [unrolled: 1-line block ×4, first 2 shown]
	s_and_saveexec_b32 s15, vcc_lo
	s_cbranch_execz .LBB270_1526
; %bb.1525:                             ;   in Loop: Header=BB270_800 Depth=1
	v_cmp_lt_i32_e64 s4, v52, v29
	v_cndmask_b32_e64 v102, 0, v116, s4
	v_cmp_lt_i32_e64 s4, v80, v29
	v_cndmask_b32_e64 v103, 0, v103, s4
	v_cmp_lt_i32_e64 s4, v71, v29
	v_or_b32_e32 v115, v102, v103
	v_cndmask_b32_e64 v11, 0, v11, s4
	v_cmp_lt_i32_e64 s4, v69, v29
	v_cndmask_b32_e64 v3, 0, v3, s4
	v_cmp_lt_i32_e64 s4, v66, v29
	v_or_b32_e32 v102, v11, v3
	;; [unrolled: 5-line block ×3, first 2 shown]
	v_cndmask_b32_e64 v27, 0, v27, s4
	v_cmp_lt_i32_e64 s4, v19, v29
	v_cndmask_b32_e64 v2, 0, v2, s4
	v_or_b32_e32 v113, v27, v2
.LBB270_1526:                           ;   in Loop: Header=BB270_800 Depth=1
	s_or_b32 exec_lo, exec_lo, s15
	;;#ASMSTART
	v_pk_mul_f16 v2, v68, v115;

	;;#ASMEND
	;;#ASMSTART
	v_pk_mul_f16 v3, v65, v102;

	;;#ASMEND
	;; [unrolled: 4-line block ×4, first 2 shown]
	;;#ASMSTART
	v_pk_add_f16 v2, v2, v3;

	;;#ASMEND
	;;#ASMSTART
	v_pk_add_f16 v2, v2, v11;

	;;#ASMEND
	;; [unrolled: 4-line block ×3, first 2 shown]
	v_and_b32_e32 v3, 0xffff, v2
	v_lshrrev_b32_e32 v2, 16, v2
	;;#ASMSTART
	v_cvt_f32_f16 v11, v3;
	;;#ASMEND
	;;#ASMSTART
	v_cvt_f32_f16 v12, v2;
	;;#ASMEND
	flat_load_dwordx2 v[9:10], v[9:10] offset:768
	flat_load_dword v102, v[22:23]
	v_mov_b32_e32 v103, 0
	v_mov_b32_e32 v112, 0
	s_waitcnt vmcnt(1) lgkmcnt(1)
	v_cmp_ne_u16_sdwa s4, v9, v4 src0_sel:BYTE_0 src1_sel:DWORD
	s_and_saveexec_b32 s15, s4
	s_cbranch_execz .LBB270_1534
; %bb.1527:                             ;   in Loop: Header=BB270_800 Depth=1
	v_cmp_ne_u16_sdwa s4, v9, v34 src0_sel:BYTE_0 src1_sel:DWORD
	v_mov_b32_e32 v112, 0x8000
	s_and_saveexec_b32 s18, s4
	s_cbranch_execz .LBB270_1533
; %bb.1528:                             ;   in Loop: Header=BB270_800 Depth=1
	v_and_b32_e32 v27, 0x7f, v9
	v_mov_b32_e32 v112, 0x7c01
	s_mov_b32 s19, exec_lo
	v_cmpx_ne_u32_e32 0x7f, v27
	s_cbranch_execz .LBB270_1532
; %bb.1529:                             ;   in Loop: Header=BB270_800 Depth=1
	v_and_b32_e32 v2, 7, v9
	v_lshrrev_b32_e32 v3, 3, v27
	s_mov_b32 s20, exec_lo
	v_cmpx_gt_u32_e32 8, v27
; %bb.1530:                             ;   in Loop: Header=BB270_800 Depth=1
	v_ffbh_u32_e32 v2, v2
	v_min_u32_e32 v27, 32, v2
	v_subrev_nc_u32_e32 v2, 28, v27
	v_lshlrev_b64 v[2:3], v2, v[9:10]
	v_sub_nc_u32_e32 v3, 29, v27
	v_and_b32_e32 v2, 7, v2
; %bb.1531:                             ;   in Loop: Header=BB270_800 Depth=1
	s_or_b32 exec_lo, exec_lo, s20
	v_lshlrev_b32_e32 v27, 8, v9
	v_lshl_add_u32 v3, v3, 10, 0x2000
	v_lshlrev_b32_e32 v2, 7, v2
	v_and_b32_e32 v27, 0x8000, v27
	v_and_b32_e32 v3, 0xfc00, v3
	v_or3_b32 v112, v27, v3, v2
.LBB270_1532:                           ;   in Loop: Header=BB270_800 Depth=1
	s_or_b32 exec_lo, exec_lo, s19
.LBB270_1533:                           ;   in Loop: Header=BB270_800 Depth=1
	s_or_b32 exec_lo, exec_lo, s18
.LBB270_1534:                           ;   in Loop: Header=BB270_800 Depth=1
	s_or_b32 exec_lo, exec_lo, s15
	v_lshrrev_b16 v3, 8, v9
	s_mov_b32 s15, exec_lo
	v_cmpx_ne_u16_e32 0, v3
	s_cbranch_execz .LBB270_1542
; %bb.1535:                             ;   in Loop: Header=BB270_800 Depth=1
	v_bfrev_b32_e32 v103, 1
	s_mov_b32 s18, exec_lo
	v_cmpx_ne_u16_e32 0x80, v3
	s_cbranch_execz .LBB270_1541
; %bb.1536:                             ;   in Loop: Header=BB270_800 Depth=1
	v_and_b32_sdwa v113, v3, v48 dst_sel:DWORD dst_unused:UNUSED_PAD src0_sel:WORD_0 src1_sel:DWORD
	v_mov_b32_e32 v103, 0x7c010000
	s_mov_b32 s19, exec_lo
	v_cmpx_ne_u32_e32 0x7f, v113
	s_cbranch_execz .LBB270_1540
; %bb.1537:                             ;   in Loop: Header=BB270_800 Depth=1
	v_and_b32_sdwa v2, v3, v49 dst_sel:DWORD dst_unused:UNUSED_PAD src0_sel:WORD_0 src1_sel:DWORD
	v_lshrrev_b32_e32 v27, 3, v113
	s_mov_b32 s20, exec_lo
	v_cmpx_gt_u32_e32 8, v113
; %bb.1538:                             ;   in Loop: Header=BB270_800 Depth=1
	v_ffbh_u32_e32 v2, v2
	v_min_u32_e32 v2, 32, v2
	v_subrev_nc_u32_e32 v27, 28, v2
	v_lshlrev_b64 v[113:114], v27, v[3:4]
	v_sub_nc_u32_e32 v27, 29, v2
	v_and_b32_e32 v2, 7, v113
; %bb.1539:                             ;   in Loop: Header=BB270_800 Depth=1
	s_or_b32 exec_lo, exec_lo, s20
	v_lshlrev_b32_sdwa v3, v50, v3 dst_sel:DWORD dst_unused:UNUSED_PAD src0_sel:DWORD src1_sel:WORD_0
	v_lshl_add_u32 v27, v27, 10, 0x2000
	v_lshlrev_b32_e32 v2, 23, v2
	v_and_or_b32 v3, 0x8000, v3, v27
	v_lshl_or_b32 v103, v3, 16, v2
.LBB270_1540:                           ;   in Loop: Header=BB270_800 Depth=1
	s_or_b32 exec_lo, exec_lo, s19
.LBB270_1541:                           ;   in Loop: Header=BB270_800 Depth=1
	s_or_b32 exec_lo, exec_lo, s18
.LBB270_1542:                           ;   in Loop: Header=BB270_800 Depth=1
	s_or_b32 exec_lo, exec_lo, s15
	v_lshrrev_b32_e32 v2, 16, v9
	v_mov_b32_e32 v113, 0
	v_mov_b32_e32 v114, 0
	v_cmp_ne_u16_sdwa s4, v2, v4 src0_sel:BYTE_0 src1_sel:DWORD
	s_and_saveexec_b32 s15, s4
	s_cbranch_execz .LBB270_1550
; %bb.1543:                             ;   in Loop: Header=BB270_800 Depth=1
	v_cmp_ne_u16_sdwa s4, v2, v34 src0_sel:BYTE_0 src1_sel:DWORD
	v_mov_b32_e32 v114, 0x8000
	s_and_saveexec_b32 s18, s4
	s_cbranch_execz .LBB270_1549
; %bb.1544:                             ;   in Loop: Header=BB270_800 Depth=1
	v_bfe_u32 v115, v9, 16, 7
	v_mov_b32_e32 v114, 0x7c01
	s_mov_b32 s19, exec_lo
	v_cmpx_ne_u32_e32 0x7f, v115
	s_cbranch_execz .LBB270_1548
; %bb.1545:                             ;   in Loop: Header=BB270_800 Depth=1
	v_and_b32_e32 v3, 7, v2
	v_lshrrev_b32_e32 v27, 3, v115
	s_mov_b32 s20, exec_lo
	v_cmpx_gt_u32_e32 8, v115
; %bb.1546:                             ;   in Loop: Header=BB270_800 Depth=1
	v_ffbh_u32_e32 v3, v3
	v_min_u32_e32 v3, 32, v3
	v_subrev_nc_u32_e32 v27, 28, v3
	v_lshlrev_b64 v[114:115], v27, v[2:3]
	v_sub_nc_u32_e32 v27, 29, v3
	v_and_b32_e32 v3, 7, v114
; %bb.1547:                             ;   in Loop: Header=BB270_800 Depth=1
	s_or_b32 exec_lo, exec_lo, s20
	v_lshlrev_b32_e32 v2, 8, v2
	v_lshl_add_u32 v27, v27, 10, 0x2000
	v_lshlrev_b32_e32 v3, 7, v3
	v_and_b32_e32 v2, 0x8000, v2
	v_and_b32_e32 v27, 0xfc00, v27
	v_or3_b32 v114, v2, v27, v3
.LBB270_1548:                           ;   in Loop: Header=BB270_800 Depth=1
	s_or_b32 exec_lo, exec_lo, s19
.LBB270_1549:                           ;   in Loop: Header=BB270_800 Depth=1
	s_or_b32 exec_lo, exec_lo, s18
.LBB270_1550:                           ;   in Loop: Header=BB270_800 Depth=1
	s_or_b32 exec_lo, exec_lo, s15
	s_mov_b32 s15, exec_lo
	v_cmpx_lt_u32_e32 0xffffff, v9
	s_cbranch_execz .LBB270_1558
; %bb.1551:                             ;   in Loop: Header=BB270_800 Depth=1
	v_lshrrev_b32_e32 v3, 24, v9
	v_bfrev_b32_e32 v113, 1
	s_mov_b32 s18, exec_lo
	v_cmpx_ne_u32_e32 0x80, v3
	s_cbranch_execz .LBB270_1557
; %bb.1552:                             ;   in Loop: Header=BB270_800 Depth=1
	v_and_b32_e32 v115, 0x7f, v3
	v_mov_b32_e32 v113, 0x7c010000
	s_mov_b32 s19, exec_lo
	v_cmpx_ne_u32_e32 0x7f, v115
	s_cbranch_execz .LBB270_1556
; %bb.1553:                             ;   in Loop: Header=BB270_800 Depth=1
	v_and_b32_e32 v2, 7, v3
	v_lshrrev_b32_e32 v27, 3, v115
	s_mov_b32 s20, exec_lo
	v_cmpx_gt_u32_e32 8, v115
; %bb.1554:                             ;   in Loop: Header=BB270_800 Depth=1
	v_ffbh_u32_e32 v2, v2
	v_min_u32_e32 v2, 32, v2
	v_subrev_nc_u32_e32 v27, 28, v2
	v_lshlrev_b64 v[115:116], v27, v[3:4]
	v_sub_nc_u32_e32 v27, 29, v2
	v_and_b32_e32 v2, 7, v115
; %bb.1555:                             ;   in Loop: Header=BB270_800 Depth=1
	s_or_b32 exec_lo, exec_lo, s20
	v_lshlrev_b32_e32 v3, 8, v3
	v_lshl_add_u32 v27, v27, 10, 0x2000
	v_lshlrev_b32_e32 v2, 23, v2
	v_and_or_b32 v3, 0x8000, v3, v27
	v_lshl_or_b32 v113, v3, 16, v2
.LBB270_1556:                           ;   in Loop: Header=BB270_800 Depth=1
	s_or_b32 exec_lo, exec_lo, s19
.LBB270_1557:                           ;   in Loop: Header=BB270_800 Depth=1
	s_or_b32 exec_lo, exec_lo, s18
.LBB270_1558:                           ;   in Loop: Header=BB270_800 Depth=1
	s_or_b32 exec_lo, exec_lo, s15
	v_mov_b32_e32 v3, v10
	v_cmp_ne_u16_sdwa s4, v10, v4 src0_sel:BYTE_0 src1_sel:DWORD
	v_mov_b32_e32 v115, 0
	v_mov_b32_e32 v116, 0
	s_and_saveexec_b32 s15, s4
	s_cbranch_execz .LBB270_1566
; %bb.1559:                             ;   in Loop: Header=BB270_800 Depth=1
	v_cmp_ne_u16_sdwa s4, v10, v34 src0_sel:BYTE_0 src1_sel:DWORD
	v_mov_b32_e32 v116, 0x8000
	s_and_saveexec_b32 s18, s4
	s_cbranch_execz .LBB270_1565
; %bb.1560:                             ;   in Loop: Header=BB270_800 Depth=1
	v_and_b32_e32 v117, 0x7f, v10
	v_mov_b32_e32 v116, 0x7c01
	s_mov_b32 s19, exec_lo
	v_cmpx_ne_u32_e32 0x7f, v117
	s_cbranch_execz .LBB270_1564
; %bb.1561:                             ;   in Loop: Header=BB270_800 Depth=1
	v_and_b32_e32 v2, 7, v10
	v_lshrrev_b32_e32 v27, 3, v117
	s_mov_b32 s20, exec_lo
	v_cmpx_gt_u32_e32 8, v117
; %bb.1562:                             ;   in Loop: Header=BB270_800 Depth=1
	v_ffbh_u32_e32 v2, v2
	v_min_u32_e32 v2, 32, v2
	v_subrev_nc_u32_e32 v27, 28, v2
	v_lshlrev_b64 v[116:117], v27, v[3:4]
	v_sub_nc_u32_e32 v27, 29, v2
	v_and_b32_e32 v2, 7, v116
; %bb.1563:                             ;   in Loop: Header=BB270_800 Depth=1
	s_or_b32 exec_lo, exec_lo, s20
	v_lshlrev_b32_e32 v116, 8, v10
	v_lshl_add_u32 v27, v27, 10, 0x2000
	v_lshlrev_b32_e32 v2, 7, v2
	v_and_b32_e32 v116, 0x8000, v116
	v_and_b32_e32 v27, 0xfc00, v27
	v_or3_b32 v116, v116, v27, v2
.LBB270_1564:                           ;   in Loop: Header=BB270_800 Depth=1
	s_or_b32 exec_lo, exec_lo, s19
.LBB270_1565:                           ;   in Loop: Header=BB270_800 Depth=1
	s_or_b32 exec_lo, exec_lo, s18
.LBB270_1566:                           ;   in Loop: Header=BB270_800 Depth=1
	s_or_b32 exec_lo, exec_lo, s15
	v_lshrrev_b16 v3, 8, v3
	v_mov_b32_e32 v27, 0
	s_mov_b32 s15, exec_lo
	v_cmpx_ne_u16_e32 0, v3
	s_cbranch_execz .LBB270_1574
; %bb.1567:                             ;   in Loop: Header=BB270_800 Depth=1
	v_bfrev_b32_e32 v27, 1
	s_mov_b32 s18, exec_lo
	v_cmpx_ne_u16_e32 0x80, v3
	s_cbranch_execz .LBB270_1573
; %bb.1568:                             ;   in Loop: Header=BB270_800 Depth=1
	v_and_b32_sdwa v117, v3, v48 dst_sel:DWORD dst_unused:UNUSED_PAD src0_sel:WORD_0 src1_sel:DWORD
	v_mov_b32_e32 v27, 0x7c010000
	s_mov_b32 s19, exec_lo
	v_cmpx_ne_u32_e32 0x7f, v117
	s_cbranch_execz .LBB270_1572
; %bb.1569:                             ;   in Loop: Header=BB270_800 Depth=1
	v_and_b32_sdwa v2, v3, v49 dst_sel:DWORD dst_unused:UNUSED_PAD src0_sel:WORD_0 src1_sel:DWORD
	v_lshrrev_b32_e32 v27, 3, v117
	s_mov_b32 s20, exec_lo
	v_cmpx_gt_u32_e32 8, v117
; %bb.1570:                             ;   in Loop: Header=BB270_800 Depth=1
	v_ffbh_u32_e32 v2, v2
	v_min_u32_e32 v2, 32, v2
	v_subrev_nc_u32_e32 v27, 28, v2
	v_lshlrev_b64 v[117:118], v27, v[3:4]
	v_sub_nc_u32_e32 v27, 29, v2
	v_and_b32_e32 v2, 7, v117
; %bb.1571:                             ;   in Loop: Header=BB270_800 Depth=1
	s_or_b32 exec_lo, exec_lo, s20
	v_lshlrev_b32_sdwa v3, v50, v3 dst_sel:DWORD dst_unused:UNUSED_PAD src0_sel:DWORD src1_sel:WORD_0
	v_lshl_add_u32 v27, v27, 10, 0x2000
	v_lshlrev_b32_e32 v2, 23, v2
	v_and_or_b32 v3, 0x8000, v3, v27
	v_lshl_or_b32 v27, v3, 16, v2
.LBB270_1572:                           ;   in Loop: Header=BB270_800 Depth=1
	s_or_b32 exec_lo, exec_lo, s19
.LBB270_1573:                           ;   in Loop: Header=BB270_800 Depth=1
	s_or_b32 exec_lo, exec_lo, s18
.LBB270_1574:                           ;   in Loop: Header=BB270_800 Depth=1
	s_or_b32 exec_lo, exec_lo, s15
	v_lshrrev_b32_e32 v2, 16, v10
	v_cmp_ne_u16_sdwa s4, v2, v4 src0_sel:BYTE_0 src1_sel:DWORD
	s_and_saveexec_b32 s15, s4
	s_cbranch_execz .LBB270_1582
; %bb.1575:                             ;   in Loop: Header=BB270_800 Depth=1
	v_cmp_ne_u16_sdwa s4, v2, v34 src0_sel:BYTE_0 src1_sel:DWORD
	v_mov_b32_e32 v115, 0x8000
	s_and_saveexec_b32 s18, s4
	s_cbranch_execz .LBB270_1581
; %bb.1576:                             ;   in Loop: Header=BB270_800 Depth=1
	v_bfe_u32 v117, v10, 16, 7
	v_mov_b32_e32 v115, 0x7c01
	s_mov_b32 s19, exec_lo
	v_cmpx_ne_u32_e32 0x7f, v117
	s_cbranch_execz .LBB270_1580
; %bb.1577:                             ;   in Loop: Header=BB270_800 Depth=1
	v_and_b32_e32 v3, 7, v2
	v_lshrrev_b32_e32 v115, 3, v117
	s_mov_b32 s20, exec_lo
	v_cmpx_gt_u32_e32 8, v117
; %bb.1578:                             ;   in Loop: Header=BB270_800 Depth=1
	v_ffbh_u32_e32 v3, v3
	v_min_u32_e32 v3, 32, v3
	v_subrev_nc_u32_e32 v115, 28, v3
	v_lshlrev_b64 v[117:118], v115, v[2:3]
	v_sub_nc_u32_e32 v115, 29, v3
	v_and_b32_e32 v3, 7, v117
; %bb.1579:                             ;   in Loop: Header=BB270_800 Depth=1
	s_or_b32 exec_lo, exec_lo, s20
	v_lshlrev_b32_e32 v2, 8, v2
	v_lshl_add_u32 v115, v115, 10, 0x2000
	v_lshlrev_b32_e32 v3, 7, v3
	v_and_b32_e32 v2, 0x8000, v2
	v_and_b32_e32 v115, 0xfc00, v115
	v_or3_b32 v115, v2, v115, v3
.LBB270_1580:                           ;   in Loop: Header=BB270_800 Depth=1
	s_or_b32 exec_lo, exec_lo, s19
.LBB270_1581:                           ;   in Loop: Header=BB270_800 Depth=1
	s_or_b32 exec_lo, exec_lo, s18
.LBB270_1582:                           ;   in Loop: Header=BB270_800 Depth=1
	s_or_b32 exec_lo, exec_lo, s15
	v_mov_b32_e32 v2, 0
	s_mov_b32 s15, exec_lo
	v_cmpx_lt_u64_e64 s[6:7], v[9:10]
	s_cbranch_execz .LBB270_1590
; %bb.1583:                             ;   in Loop: Header=BB270_800 Depth=1
	v_lshrrev_b32_e32 v3, 24, v10
	v_bfrev_b32_e32 v2, 1
	s_mov_b32 s18, exec_lo
	v_cmpx_ne_u32_e32 0x80, v3
	s_cbranch_execz .LBB270_1589
; %bb.1584:                             ;   in Loop: Header=BB270_800 Depth=1
	v_and_b32_e32 v10, 0x7f, v3
	v_mov_b32_e32 v2, 0x7c010000
	s_mov_b32 s19, exec_lo
	v_cmpx_ne_u32_e32 0x7f, v10
	s_cbranch_execz .LBB270_1588
; %bb.1585:                             ;   in Loop: Header=BB270_800 Depth=1
	v_and_b32_e32 v2, 7, v3
	v_lshrrev_b32_e32 v9, 3, v10
	s_mov_b32 s20, exec_lo
	v_cmpx_gt_u32_e32 8, v10
; %bb.1586:                             ;   in Loop: Header=BB270_800 Depth=1
	v_ffbh_u32_e32 v2, v2
	v_min_u32_e32 v2, 32, v2
	v_subrev_nc_u32_e32 v9, 28, v2
	v_lshlrev_b64 v[117:118], v9, v[3:4]
	v_sub_nc_u32_e32 v9, 29, v2
	v_and_b32_e32 v2, 7, v117
; %bb.1587:                             ;   in Loop: Header=BB270_800 Depth=1
	s_or_b32 exec_lo, exec_lo, s20
	v_lshlrev_b32_e32 v3, 8, v3
	v_lshl_add_u32 v9, v9, 10, 0x2000
	v_lshlrev_b32_e32 v2, 23, v2
	v_and_or_b32 v3, 0x8000, v3, v9
	v_lshl_or_b32 v2, v3, 16, v2
.LBB270_1588:                           ;   in Loop: Header=BB270_800 Depth=1
	s_or_b32 exec_lo, exec_lo, s19
.LBB270_1589:                           ;   in Loop: Header=BB270_800 Depth=1
	s_or_b32 exec_lo, exec_lo, s18
.LBB270_1590:                           ;   in Loop: Header=BB270_800 Depth=1
	s_or_b32 exec_lo, exec_lo, s15
	v_or_b32_e32 v3, v113, v114
	s_waitcnt vmcnt(0) lgkmcnt(0)
	v_fma_mixlo_f16 v9, v102, v113, 0 op_sel:[0,1,0] op_sel_hi:[0,1,0]
	v_or_b32_e32 v10, v103, v112
	v_fma_mixlo_f16 v112, v102, v103, 0 op_sel:[0,1,0] op_sel_hi:[0,1,0]
	v_or_b32_e32 v113, v27, v116
	v_fma_mixlo_f16 v3, v102, v3, 0 op_sel_hi:[0,1,0]
	v_or_b32_e32 v115, v2, v115
	v_lshlrev_b32_e32 v103, 16, v9
	v_lshlrev_b32_e32 v114, 16, v112
	v_fma_mixlo_f16 v9, v102, v10, 0 op_sel_hi:[0,1,0]
	v_and_b32_e32 v112, 0xffff, v3
	v_fma_mixlo_f16 v3, v102, v27, 0 op_sel:[0,1,0] op_sel_hi:[0,1,0]
	v_fma_mixlo_f16 v10, v102, v113, 0 op_sel_hi:[0,1,0]
	v_fma_mixlo_f16 v2, v102, v2, 0 op_sel:[0,1,0] op_sel_hi:[0,1,0]
	v_fma_mixlo_f16 v113, v102, v115, 0 op_sel_hi:[0,1,0]
	v_and_b32_e32 v116, 0xffff, v9
	v_lshlrev_b32_e32 v102, 16, v3
	v_and_b32_e32 v115, 0xffff, v10
	v_lshlrev_b32_e32 v27, 16, v2
	v_and_b32_e32 v113, 0xffff, v113
	v_or_b32_e32 v2, v103, v112
	v_or_b32_e32 v10, v114, v116
	;; [unrolled: 1-line block ×4, first 2 shown]
	s_and_saveexec_b32 s4, vcc_lo
	s_cbranch_execz .LBB270_799
; %bb.1591:                             ;   in Loop: Header=BB270_800 Depth=1
	v_cmp_lt_i32_e32 vcc_lo, v52, v29
	v_cndmask_b32_e32 v2, 0, v116, vcc_lo
	v_cmp_lt_i32_e32 vcc_lo, v80, v29
	v_cndmask_b32_e32 v3, 0, v114, vcc_lo
	v_cmp_lt_i32_e32 vcc_lo, v71, v29
	v_or_b32_e32 v10, v2, v3
	v_cndmask_b32_e32 v9, 0, v112, vcc_lo
	v_cmp_lt_i32_e32 vcc_lo, v69, v29
	v_cndmask_b32_e32 v52, 0, v103, vcc_lo
	v_cmp_lt_i32_e32 vcc_lo, v66, v29
	v_or_b32_e32 v2, v9, v52
	;; [unrolled: 5-line block ×3, first 2 shown]
	v_cndmask_b32_e32 v53, 0, v113, vcc_lo
	v_cmp_lt_i32_e32 vcc_lo, v19, v29
	v_cndmask_b32_e32 v27, 0, v27, vcc_lo
	v_or_b32_e32 v3, v53, v27
	s_branch .LBB270_799
.LBB270_1592:
	s_or_b32 exec_lo, exec_lo, s9
	v_mov_b32_e32 v4, s16
	v_mov_b32_e32 v5, s17
	;; [unrolled: 1-line block ×4, first 2 shown]
.LBB270_1593:
	s_or_b32 exec_lo, exec_lo, s5
	v_lshlrev_b64 v[0:1], 2, v[4:5]
	s_getpc_b64 s[4:5]
	s_add_u32 s4, s4, llvm.amdgcn.dynlds.offset.table@rel32@lo+4
	s_addc_u32 s5, s5, llvm.amdgcn.dynlds.offset.table@rel32@hi+12
	s_barrier
	buffer_gl0_inv
	ds_bpermute_b32 v2, v15, v38
	v_add_co_u32 v0, vcc_lo, s4, v0
	v_add_co_ci_u32_e64 v1, null, s5, v1, vcc_lo
	ds_bpermute_b32 v3, v15, v36
	ds_bpermute_b32 v4, v15, v35
	;; [unrolled: 1-line block ×3, first 2 shown]
	global_load_dword v12, v[0:1], off
	ds_bpermute_b32 v0, v15, v37
	ds_bpermute_b32 v1, v15, v39
	;; [unrolled: 1-line block ×8, first 2 shown]
	v_lshrrev_b32_e32 v14, 1, v14
	v_mul_u32_u24_e32 v15, 0x300, v64
	v_and_b32_e32 v28, 0x3c1, v30
	s_waitcnt lgkmcnt(11)
	v_add_f32_e32 v9, v38, v2
	s_mov_b32 s4, exec_lo
	s_waitcnt lgkmcnt(10)
	v_add_f32_e32 v8, v36, v3
	s_waitcnt lgkmcnt(9)
	v_add_f32_e32 v7, v35, v4
	;; [unrolled: 2-line block ×11, first 2 shown]
	s_waitcnt vmcnt(0)
	v_lshl_add_u32 v13, v14, 2, v12
	v_cmpx_eq_u32_e32 64, v28
	s_cbranch_execz .LBB270_1595
; %bb.1594:
	v_add_nc_u32_e32 v16, v13, v15
	v_add_nc_u32_e32 v17, 0xfffffa00, v16
	;; [unrolled: 1-line block ×8, first 2 shown]
	ds_write_b32 v17, v11
	ds_write_b32 v18, v10
	;; [unrolled: 1-line block ×7, first 2 shown]
	v_add_nc_u32_e32 v17, 0xfffffbc0, v16
	v_add_nc_u32_e32 v18, 0xfffffc00, v16
	;; [unrolled: 1-line block ×5, first 2 shown]
	ds_write_b32 v17, v4
	ds_write_b32 v18, v3
	;; [unrolled: 1-line block ×5, first 2 shown]
.LBB270_1595:
	s_or_b32 exec_lo, exec_lo, s4
	v_lshlrev_b32_e32 v14, 2, v14
	s_mov_b32 s5, exec_lo
	v_cmp_eq_u32_e32 vcc_lo, 0, v40
	s_waitcnt lgkmcnt(0)
	s_barrier
	v_add3_u32 v12, v12, v15, v14
	buffer_gl0_inv
	v_cmpx_gt_u32_e32 64, v30
	s_cbranch_execz .LBB270_1610
; %bb.1596:
	s_and_saveexec_b32 s4, vcc_lo
	s_cbranch_execnz .LBB270_1630
; %bb.1597:
	s_or_b32 exec_lo, exec_lo, s4
	s_and_saveexec_b32 s4, vcc_lo
	s_cbranch_execnz .LBB270_1631
.LBB270_1598:
	s_or_b32 exec_lo, exec_lo, s4
	s_and_saveexec_b32 s4, vcc_lo
	s_cbranch_execnz .LBB270_1632
.LBB270_1599:
	s_or_b32 exec_lo, exec_lo, s4
	s_and_saveexec_b32 s4, vcc_lo
	s_cbranch_execnz .LBB270_1633
.LBB270_1600:
	s_or_b32 exec_lo, exec_lo, s4
	s_and_saveexec_b32 s4, vcc_lo
	s_cbranch_execnz .LBB270_1634
.LBB270_1601:
	s_or_b32 exec_lo, exec_lo, s4
	s_and_saveexec_b32 s4, vcc_lo
	s_cbranch_execnz .LBB270_1635
.LBB270_1602:
	s_or_b32 exec_lo, exec_lo, s4
	s_and_saveexec_b32 s4, vcc_lo
	s_cbranch_execnz .LBB270_1636
.LBB270_1603:
	s_or_b32 exec_lo, exec_lo, s4
	s_and_saveexec_b32 s4, vcc_lo
	s_cbranch_execnz .LBB270_1637
.LBB270_1604:
	s_or_b32 exec_lo, exec_lo, s4
	s_and_saveexec_b32 s4, vcc_lo
	s_cbranch_execnz .LBB270_1638
.LBB270_1605:
	s_or_b32 exec_lo, exec_lo, s4
	s_and_saveexec_b32 s4, vcc_lo
	s_cbranch_execnz .LBB270_1639
.LBB270_1606:
	s_or_b32 exec_lo, exec_lo, s4
	s_and_saveexec_b32 s4, vcc_lo
	s_cbranch_execnz .LBB270_1640
.LBB270_1607:
	s_or_b32 exec_lo, exec_lo, s4
	s_and_saveexec_b32 s4, vcc_lo
	s_cbranch_execz .LBB270_1609
.LBB270_1608:
	ds_read_b32 v14, v12 offset:704
	s_waitcnt lgkmcnt(0)
	v_add_f32_e32 v0, v14, v0
.LBB270_1609:
	s_or_b32 exec_lo, exec_lo, s4
.LBB270_1610:
	s_or_b32 exec_lo, exec_lo, s5
	v_and_b32_e32 v14, 0x3e1, v30
	s_mov_b32 s5, exec_lo
	s_barrier
	buffer_gl0_inv
	v_cmpx_eq_u32_e32 32, v14
	s_cbranch_execz .LBB270_1612
; %bb.1611:
	ds_write2_b32 v13, v11, v10 offset1:16
	ds_write2_b32 v13, v9, v8 offset0:32 offset1:48
	ds_write2_b32 v13, v7, v6 offset0:64 offset1:80
	;; [unrolled: 1-line block ×5, first 2 shown]
.LBB270_1612:
	s_or_b32 exec_lo, exec_lo, s5
	s_mov_b32 s5, exec_lo
	s_waitcnt lgkmcnt(0)
	s_barrier
	buffer_gl0_inv
	v_cmpx_gt_u32_e32 32, v30
	s_cbranch_execz .LBB270_1627
; %bb.1613:
	s_and_saveexec_b32 s4, vcc_lo
	s_cbranch_execnz .LBB270_1641
; %bb.1614:
	s_or_b32 exec_lo, exec_lo, s4
	s_and_saveexec_b32 s4, vcc_lo
	s_cbranch_execnz .LBB270_1642
.LBB270_1615:
	s_or_b32 exec_lo, exec_lo, s4
	s_and_saveexec_b32 s4, vcc_lo
	s_cbranch_execnz .LBB270_1643
.LBB270_1616:
	s_or_b32 exec_lo, exec_lo, s4
	s_and_saveexec_b32 s4, vcc_lo
	s_cbranch_execnz .LBB270_1644
.LBB270_1617:
	s_or_b32 exec_lo, exec_lo, s4
	s_and_saveexec_b32 s4, vcc_lo
	s_cbranch_execnz .LBB270_1645
.LBB270_1618:
	s_or_b32 exec_lo, exec_lo, s4
	s_and_saveexec_b32 s4, vcc_lo
	s_cbranch_execnz .LBB270_1646
.LBB270_1619:
	s_or_b32 exec_lo, exec_lo, s4
	s_and_saveexec_b32 s4, vcc_lo
	s_cbranch_execnz .LBB270_1647
.LBB270_1620:
	s_or_b32 exec_lo, exec_lo, s4
	s_and_saveexec_b32 s4, vcc_lo
	s_cbranch_execnz .LBB270_1648
.LBB270_1621:
	s_or_b32 exec_lo, exec_lo, s4
	s_and_saveexec_b32 s4, vcc_lo
	s_cbranch_execnz .LBB270_1649
.LBB270_1622:
	s_or_b32 exec_lo, exec_lo, s4
	s_and_saveexec_b32 s4, vcc_lo
	s_cbranch_execnz .LBB270_1650
.LBB270_1623:
	s_or_b32 exec_lo, exec_lo, s4
	s_and_saveexec_b32 s4, vcc_lo
	s_cbranch_execnz .LBB270_1651
.LBB270_1624:
	s_or_b32 exec_lo, exec_lo, s4
	s_and_saveexec_b32 s4, vcc_lo
	s_cbranch_execz .LBB270_1626
.LBB270_1625:
	ds_read_b32 v12, v12 offset:704
	s_waitcnt lgkmcnt(0)
	v_add_f32_e32 v0, v12, v0
.LBB270_1626:
	s_or_b32 exec_lo, exec_lo, s4
.LBB270_1627:
	s_or_b32 exec_lo, exec_lo, s5
	s_mov_b32 s4, exec_lo
	s_barrier
	buffer_gl0_inv
	v_cmpx_eq_u32_e32 0, v14
	s_cbranch_execz .LBB270_1629
; %bb.1628:
	s_clause 0x2
	buffer_load_dword v13, off, s[0:3], s32 offset:216
	buffer_load_dword v12, off, s[0:3], s32 offset:208
	;; [unrolled: 1-line block ×3, first 2 shown]
	s_and_b32 s5, 0xffff, s8
	s_mul_i32 s6, s14, 0xc0
	s_cmp_lg_u32 s5, 0
	;;#ASMSTART
	v_cvt_f16_f32 v11, v11;

	;;#ASMEND
	s_cselect_b32 s5, -1, 0
	s_cmp_lg_u32 s5, 0
	s_addc_u32 s5, s13, 0
	s_mul_i32 s7, s5, s10
	s_mul_i32 s10, s12, s5
	;; [unrolled: 1-line block ×3, first 2 shown]
	s_ashr_i32 s11, s10, 31
	s_mulk_i32 s8, 0xc0
	s_ashr_i32 s7, s6, 31
	s_ashr_i32 s9, s8, 31
	s_lshl_b64 s[6:7], s[6:7], 1
	s_lshl_b64 s[8:9], s[8:9], 1
	s_waitcnt vmcnt(2)
	v_add_co_u32 v13, vcc_lo, v13, s8
	s_waitcnt vmcnt(0)
	v_add_co_ci_u32_e64 v14, null, s9, v14, vcc_lo
	s_lshl_b64 s[8:9], s[10:11], 1
	v_lshlrev_b32_e32 v12, 1, v12
	v_add_co_u32 v13, vcc_lo, v13, s8
	v_add_co_ci_u32_e64 v14, null, s9, v14, vcc_lo
	v_add_co_u32 v13, vcc_lo, v13, s6
	v_add_co_ci_u32_e64 v14, null, s7, v14, vcc_lo
	;; [unrolled: 2-line block ×3, first 2 shown]
	flat_store_short v[12:13], v11
	;;#ASMSTART
	v_cvt_f16_f32 v10, v10;

	;;#ASMEND
	flat_store_short v[12:13], v10 offset:32
	;;#ASMSTART
	v_cvt_f16_f32 v9, v9;

	;;#ASMEND
	flat_store_short v[12:13], v9 offset:64
	;; [unrolled: 5-line block ×11, first 2 shown]
.LBB270_1629:
	s_or_b32 exec_lo, exec_lo, s4
	s_clause 0x2f
	buffer_load_dword v127, off, s[0:3], s32
	buffer_load_dword v126, off, s[0:3], s32 offset:4
	buffer_load_dword v125, off, s[0:3], s32 offset:8
	;; [unrolled: 1-line block ×47, first 2 shown]
	s_waitcnt vmcnt(0) lgkmcnt(0)
	s_setpc_b64 s[30:31]
.LBB270_1630:
	ds_read_b32 v14, v12
	s_waitcnt lgkmcnt(0)
	v_add_f32_e32 v11, v14, v11
	s_or_b32 exec_lo, exec_lo, s4
	s_and_saveexec_b32 s4, vcc_lo
	s_cbranch_execz .LBB270_1598
.LBB270_1631:
	ds_read_b32 v14, v12 offset:64
	s_waitcnt lgkmcnt(0)
	v_add_f32_e32 v10, v14, v10
	s_or_b32 exec_lo, exec_lo, s4
	s_and_saveexec_b32 s4, vcc_lo
	s_cbranch_execz .LBB270_1599
.LBB270_1632:
	ds_read_b32 v14, v12 offset:128
	s_waitcnt lgkmcnt(0)
	v_add_f32_e32 v9, v14, v9
	s_or_b32 exec_lo, exec_lo, s4
	s_and_saveexec_b32 s4, vcc_lo
	s_cbranch_execz .LBB270_1600
.LBB270_1633:
	ds_read_b32 v14, v12 offset:192
	s_waitcnt lgkmcnt(0)
	v_add_f32_e32 v8, v14, v8
	s_or_b32 exec_lo, exec_lo, s4
	s_and_saveexec_b32 s4, vcc_lo
	s_cbranch_execz .LBB270_1601
.LBB270_1634:
	ds_read_b32 v14, v12 offset:256
	s_waitcnt lgkmcnt(0)
	v_add_f32_e32 v7, v14, v7
	s_or_b32 exec_lo, exec_lo, s4
	s_and_saveexec_b32 s4, vcc_lo
	s_cbranch_execz .LBB270_1602
.LBB270_1635:
	ds_read_b32 v14, v12 offset:320
	s_waitcnt lgkmcnt(0)
	v_add_f32_e32 v6, v14, v6
	s_or_b32 exec_lo, exec_lo, s4
	s_and_saveexec_b32 s4, vcc_lo
	s_cbranch_execz .LBB270_1603
.LBB270_1636:
	ds_read_b32 v14, v12 offset:384
	s_waitcnt lgkmcnt(0)
	v_add_f32_e32 v5, v14, v5
	s_or_b32 exec_lo, exec_lo, s4
	s_and_saveexec_b32 s4, vcc_lo
	s_cbranch_execz .LBB270_1604
.LBB270_1637:
	ds_read_b32 v14, v12 offset:448
	s_waitcnt lgkmcnt(0)
	v_add_f32_e32 v4, v14, v4
	s_or_b32 exec_lo, exec_lo, s4
	s_and_saveexec_b32 s4, vcc_lo
	s_cbranch_execz .LBB270_1605
.LBB270_1638:
	ds_read_b32 v14, v12 offset:512
	s_waitcnt lgkmcnt(0)
	v_add_f32_e32 v3, v14, v3
	s_or_b32 exec_lo, exec_lo, s4
	s_and_saveexec_b32 s4, vcc_lo
	s_cbranch_execz .LBB270_1606
.LBB270_1639:
	ds_read_b32 v14, v12 offset:576
	s_waitcnt lgkmcnt(0)
	v_add_f32_e32 v2, v14, v2
	s_or_b32 exec_lo, exec_lo, s4
	s_and_saveexec_b32 s4, vcc_lo
	s_cbranch_execz .LBB270_1607
.LBB270_1640:
	ds_read_b32 v14, v12 offset:640
	s_waitcnt lgkmcnt(0)
	v_add_f32_e32 v1, v14, v1
	s_or_b32 exec_lo, exec_lo, s4
	s_and_saveexec_b32 s4, vcc_lo
	s_cbranch_execnz .LBB270_1608
	s_branch .LBB270_1609
.LBB270_1641:
	ds_read_b32 v13, v12
	s_waitcnt lgkmcnt(0)
	v_add_f32_e32 v11, v13, v11
	s_or_b32 exec_lo, exec_lo, s4
	s_and_saveexec_b32 s4, vcc_lo
	s_cbranch_execz .LBB270_1615
.LBB270_1642:
	ds_read_b32 v13, v12 offset:64
	s_waitcnt lgkmcnt(0)
	v_add_f32_e32 v10, v13, v10
	s_or_b32 exec_lo, exec_lo, s4
	s_and_saveexec_b32 s4, vcc_lo
	s_cbranch_execz .LBB270_1616
.LBB270_1643:
	ds_read_b32 v13, v12 offset:128
	s_waitcnt lgkmcnt(0)
	v_add_f32_e32 v9, v13, v9
	s_or_b32 exec_lo, exec_lo, s4
	s_and_saveexec_b32 s4, vcc_lo
	s_cbranch_execz .LBB270_1617
.LBB270_1644:
	ds_read_b32 v13, v12 offset:192
	s_waitcnt lgkmcnt(0)
	v_add_f32_e32 v8, v13, v8
	s_or_b32 exec_lo, exec_lo, s4
	s_and_saveexec_b32 s4, vcc_lo
	s_cbranch_execz .LBB270_1618
.LBB270_1645:
	ds_read_b32 v13, v12 offset:256
	s_waitcnt lgkmcnt(0)
	v_add_f32_e32 v7, v13, v7
	s_or_b32 exec_lo, exec_lo, s4
	s_and_saveexec_b32 s4, vcc_lo
	s_cbranch_execz .LBB270_1619
.LBB270_1646:
	ds_read_b32 v13, v12 offset:320
	s_waitcnt lgkmcnt(0)
	v_add_f32_e32 v6, v13, v6
	s_or_b32 exec_lo, exec_lo, s4
	s_and_saveexec_b32 s4, vcc_lo
	s_cbranch_execz .LBB270_1620
.LBB270_1647:
	ds_read_b32 v13, v12 offset:384
	s_waitcnt lgkmcnt(0)
	v_add_f32_e32 v5, v13, v5
	s_or_b32 exec_lo, exec_lo, s4
	s_and_saveexec_b32 s4, vcc_lo
	s_cbranch_execz .LBB270_1621
.LBB270_1648:
	ds_read_b32 v13, v12 offset:448
	s_waitcnt lgkmcnt(0)
	v_add_f32_e32 v4, v13, v4
	s_or_b32 exec_lo, exec_lo, s4
	s_and_saveexec_b32 s4, vcc_lo
	s_cbranch_execz .LBB270_1622
.LBB270_1649:
	ds_read_b32 v13, v12 offset:512
	s_waitcnt lgkmcnt(0)
	v_add_f32_e32 v3, v13, v3
	s_or_b32 exec_lo, exec_lo, s4
	s_and_saveexec_b32 s4, vcc_lo
	s_cbranch_execz .LBB270_1623
.LBB270_1650:
	ds_read_b32 v13, v12 offset:576
	s_waitcnt lgkmcnt(0)
	v_add_f32_e32 v2, v13, v2
	s_or_b32 exec_lo, exec_lo, s4
	s_and_saveexec_b32 s4, vcc_lo
	s_cbranch_execz .LBB270_1624
.LBB270_1651:
	ds_read_b32 v13, v12 offset:640
	s_waitcnt lgkmcnt(0)
	v_add_f32_e32 v1, v13, v1
	s_or_b32 exec_lo, exec_lo, s4
	s_and_saveexec_b32 s4, vcc_lo
	s_cbranch_execnz .LBB270_1625
	s_branch .LBB270_1626
.Lfunc_end270:
	.size	_ZN4vllm22paged_attention_kernelIthLi192ELi16ELi128ELNS_18Fp8KVCacheDataTypeE1ELb0ELi0EEEvPfS2_PT_PKS3_PKT0_S9_ifPKiSB_iPKfiiiSD_SD_iiiii, .Lfunc_end270-_ZN4vllm22paged_attention_kernelIthLi192ELi16ELi128ELNS_18Fp8KVCacheDataTypeE1ELb0ELi0EEEvPfS2_PT_PKS3_PKT0_S9_ifPKiSB_iPKfiiiSD_SD_iiiii
                                        ; -- End function
	.set .L_ZN4vllm22paged_attention_kernelIthLi192ELi16ELi128ELNS_18Fp8KVCacheDataTypeE1ELb0ELi0EEEvPfS2_PT_PKS3_PKT0_S9_ifPKiSB_iPKfiiiSD_SD_iiiii.num_vgpr, 128
	.set .L_ZN4vllm22paged_attention_kernelIthLi192ELi16ELi128ELNS_18Fp8KVCacheDataTypeE1ELb0ELi0EEEvPfS2_PT_PKS3_PKT0_S9_ifPKiSB_iPKfiiiSD_SD_iiiii.num_agpr, 0
	.set .L_ZN4vllm22paged_attention_kernelIthLi192ELi16ELi128ELNS_18Fp8KVCacheDataTypeE1ELb0ELi0EEEvPfS2_PT_PKS3_PKT0_S9_ifPKiSB_iPKfiiiSD_SD_iiiii.numbered_sgpr, 33
	.set .L_ZN4vllm22paged_attention_kernelIthLi192ELi16ELi128ELNS_18Fp8KVCacheDataTypeE1ELb0ELi0EEEvPfS2_PT_PKS3_PKT0_S9_ifPKiSB_iPKfiiiSD_SD_iiiii.num_named_barrier, 0
	.set .L_ZN4vllm22paged_attention_kernelIthLi192ELi16ELi128ELNS_18Fp8KVCacheDataTypeE1ELb0ELi0EEEvPfS2_PT_PKS3_PKT0_S9_ifPKiSB_iPKfiiiSD_SD_iiiii.private_seg_size, 276
	.set .L_ZN4vllm22paged_attention_kernelIthLi192ELi16ELi128ELNS_18Fp8KVCacheDataTypeE1ELb0ELi0EEEvPfS2_PT_PKS3_PKT0_S9_ifPKiSB_iPKfiiiSD_SD_iiiii.uses_vcc, 1
	.set .L_ZN4vllm22paged_attention_kernelIthLi192ELi16ELi128ELNS_18Fp8KVCacheDataTypeE1ELb0ELi0EEEvPfS2_PT_PKS3_PKT0_S9_ifPKiSB_iPKfiiiSD_SD_iiiii.uses_flat_scratch, 0
	.set .L_ZN4vllm22paged_attention_kernelIthLi192ELi16ELi128ELNS_18Fp8KVCacheDataTypeE1ELb0ELi0EEEvPfS2_PT_PKS3_PKT0_S9_ifPKiSB_iPKfiiiSD_SD_iiiii.has_dyn_sized_stack, 0
	.set .L_ZN4vllm22paged_attention_kernelIthLi192ELi16ELi128ELNS_18Fp8KVCacheDataTypeE1ELb0ELi0EEEvPfS2_PT_PKS3_PKT0_S9_ifPKiSB_iPKfiiiSD_SD_iiiii.has_recursion, 0
	.set .L_ZN4vllm22paged_attention_kernelIthLi192ELi16ELi128ELNS_18Fp8KVCacheDataTypeE1ELb0ELi0EEEvPfS2_PT_PKS3_PKT0_S9_ifPKiSB_iPKfiiiSD_SD_iiiii.has_indirect_call, 0
	.section	.AMDGPU.csdata,"",@progbits
; Function info:
; codeLenInByte = 54516
; TotalNumSgprs: 35
; NumVgprs: 128
; ScratchSize: 276
; MemoryBound: 0
	.section	.text._ZN4vllm25paged_attention_v1_kernelIthLi192ELi16ELi128ELNS_18Fp8KVCacheDataTypeE1ELb0EEEvPT_PKS2_PKT0_S8_ifPKiSA_iPKfiiiSC_SC_iiiii,"axG",@progbits,_ZN4vllm25paged_attention_v1_kernelIthLi192ELi16ELi128ELNS_18Fp8KVCacheDataTypeE1ELb0EEEvPT_PKS2_PKT0_S8_ifPKiSA_iPKfiiiSC_SC_iiiii,comdat
	.protected	_ZN4vllm25paged_attention_v1_kernelIthLi192ELi16ELi128ELNS_18Fp8KVCacheDataTypeE1ELb0EEEvPT_PKS2_PKT0_S8_ifPKiSA_iPKfiiiSC_SC_iiiii ; -- Begin function _ZN4vllm25paged_attention_v1_kernelIthLi192ELi16ELi128ELNS_18Fp8KVCacheDataTypeE1ELb0EEEvPT_PKS2_PKT0_S8_ifPKiSA_iPKfiiiSC_SC_iiiii
	.globl	_ZN4vllm25paged_attention_v1_kernelIthLi192ELi16ELi128ELNS_18Fp8KVCacheDataTypeE1ELb0EEEvPT_PKS2_PKT0_S8_ifPKiSA_iPKfiiiSC_SC_iiiii
	.p2align	8
	.type	_ZN4vllm25paged_attention_v1_kernelIthLi192ELi16ELi128ELNS_18Fp8KVCacheDataTypeE1ELb0EEEvPT_PKS2_PKT0_S8_ifPKiSA_iPKfiiiSC_SC_iiiii,@function
_ZN4vllm25paged_attention_v1_kernelIthLi192ELi16ELi128ELNS_18Fp8KVCacheDataTypeE1ELb0EEEvPT_PKS2_PKT0_S8_ifPKiSA_iPKfiiiSC_SC_iiiii: ; @_ZN4vllm25paged_attention_v1_kernelIthLi192ELi16ELi128ELNS_18Fp8KVCacheDataTypeE1ELb0EEEvPT_PKS2_PKT0_S8_ifPKiSA_iPKfiiiSC_SC_iiiii
; %bb.0:
	s_clause 0x5
	s_load_dwordx8 s[16:23], s[4:5], 0x0
	s_load_dwordx4 s[36:39], s[4:5], 0x20
	s_load_dwordx2 s[10:11], s[4:5], 0x30
	s_load_dword s13, s[4:5], 0x38
	s_load_dwordx2 s[34:35], s[4:5], 0x40
	s_load_dwordx8 s[24:31], s[4:5], 0x48
	s_add_u32 s0, s0, s9
	s_addc_u32 s1, s1, 0
	v_mov_b32_e32 v31, v0
	s_mov_b32 s14, s8
	s_add_u32 s8, s4, 0x80
	s_addc_u32 s9, s5, 0
	s_getpc_b64 s[4:5]
	s_add_u32 s4, s4, _ZN4vllm22paged_attention_kernelIthLi192ELi16ELi128ELNS_18Fp8KVCacheDataTypeE1ELb0ELi0EEEvPfS2_PT_PKS3_PKT0_S9_ifPKiSB_iPKfiiiSD_SD_iiiii@rel32@lo+4
	s_addc_u32 s5, s5, _ZN4vllm22paged_attention_kernelIthLi192ELi16ELi128ELNS_18Fp8KVCacheDataTypeE1ELb0ELi0EEEvPfS2_PT_PKS3_PKT0_S9_ifPKiSB_iPKfiiiSD_SD_iiiii@rel32@hi+12
	s_mov_b32 s12, s6
	s_mov_b32 s15, 40
	;; [unrolled: 1-line block ×3, first 2 shown]
	s_waitcnt lgkmcnt(0)
	v_mov_b32_e32 v0, s16
	v_mov_b32_e32 v1, s17
	;; [unrolled: 1-line block ×24, first 2 shown]
	s_mov_b32 s13, s7
	s_swappc_b64 s[30:31], s[4:5]
	s_endpgm
	.section	.rodata,"a",@progbits
	.p2align	6, 0x0
	.amdhsa_kernel _ZN4vllm25paged_attention_v1_kernelIthLi192ELi16ELi128ELNS_18Fp8KVCacheDataTypeE1ELb0EEEvPT_PKS2_PKT0_S8_ifPKiSA_iPKfiiiSC_SC_iiiii
		.amdhsa_group_segment_fixed_size 416
		.amdhsa_private_segment_fixed_size 276
		.amdhsa_kernarg_size 384
		.amdhsa_user_sgpr_count 6
		.amdhsa_user_sgpr_private_segment_buffer 1
		.amdhsa_user_sgpr_dispatch_ptr 0
		.amdhsa_user_sgpr_queue_ptr 0
		.amdhsa_user_sgpr_kernarg_segment_ptr 1
		.amdhsa_user_sgpr_dispatch_id 0
		.amdhsa_user_sgpr_flat_scratch_init 0
		.amdhsa_user_sgpr_private_segment_size 0
		.amdhsa_wavefront_size32 1
		.amdhsa_uses_dynamic_stack 0
		.amdhsa_system_sgpr_private_segment_wavefront_offset 1
		.amdhsa_system_sgpr_workgroup_id_x 1
		.amdhsa_system_sgpr_workgroup_id_y 1
		.amdhsa_system_sgpr_workgroup_id_z 1
		.amdhsa_system_sgpr_workgroup_info 0
		.amdhsa_system_vgpr_workitem_id 0
		.amdhsa_next_free_vgpr 128
		.amdhsa_next_free_sgpr 40
		.amdhsa_reserve_vcc 1
		.amdhsa_reserve_flat_scratch 0
		.amdhsa_float_round_mode_32 0
		.amdhsa_float_round_mode_16_64 0
		.amdhsa_float_denorm_mode_32 3
		.amdhsa_float_denorm_mode_16_64 3
		.amdhsa_dx10_clamp 1
		.amdhsa_ieee_mode 1
		.amdhsa_fp16_overflow 0
		.amdhsa_workgroup_processor_mode 1
		.amdhsa_memory_ordered 1
		.amdhsa_forward_progress 1
		.amdhsa_shared_vgpr_count 0
		.amdhsa_exception_fp_ieee_invalid_op 0
		.amdhsa_exception_fp_denorm_src 0
		.amdhsa_exception_fp_ieee_div_zero 0
		.amdhsa_exception_fp_ieee_overflow 0
		.amdhsa_exception_fp_ieee_underflow 0
		.amdhsa_exception_fp_ieee_inexact 0
		.amdhsa_exception_int_div_zero 0
	.end_amdhsa_kernel
	.section	.text._ZN4vllm25paged_attention_v1_kernelIthLi192ELi16ELi128ELNS_18Fp8KVCacheDataTypeE1ELb0EEEvPT_PKS2_PKT0_S8_ifPKiSA_iPKfiiiSC_SC_iiiii,"axG",@progbits,_ZN4vllm25paged_attention_v1_kernelIthLi192ELi16ELi128ELNS_18Fp8KVCacheDataTypeE1ELb0EEEvPT_PKS2_PKT0_S8_ifPKiSA_iPKfiiiSC_SC_iiiii,comdat
.Lfunc_end271:
	.size	_ZN4vllm25paged_attention_v1_kernelIthLi192ELi16ELi128ELNS_18Fp8KVCacheDataTypeE1ELb0EEEvPT_PKS2_PKT0_S8_ifPKiSA_iPKfiiiSC_SC_iiiii, .Lfunc_end271-_ZN4vllm25paged_attention_v1_kernelIthLi192ELi16ELi128ELNS_18Fp8KVCacheDataTypeE1ELb0EEEvPT_PKS2_PKT0_S8_ifPKiSA_iPKfiiiSC_SC_iiiii
                                        ; -- End function
	.set _ZN4vllm25paged_attention_v1_kernelIthLi192ELi16ELi128ELNS_18Fp8KVCacheDataTypeE1ELb0EEEvPT_PKS2_PKT0_S8_ifPKiSA_iPKfiiiSC_SC_iiiii.num_vgpr, max(32, .L_ZN4vllm22paged_attention_kernelIthLi192ELi16ELi128ELNS_18Fp8KVCacheDataTypeE1ELb0ELi0EEEvPfS2_PT_PKS3_PKT0_S9_ifPKiSB_iPKfiiiSD_SD_iiiii.num_vgpr)
	.set _ZN4vllm25paged_attention_v1_kernelIthLi192ELi16ELi128ELNS_18Fp8KVCacheDataTypeE1ELb0EEEvPT_PKS2_PKT0_S8_ifPKiSA_iPKfiiiSC_SC_iiiii.num_agpr, max(0, .L_ZN4vllm22paged_attention_kernelIthLi192ELi16ELi128ELNS_18Fp8KVCacheDataTypeE1ELb0ELi0EEEvPfS2_PT_PKS3_PKT0_S9_ifPKiSB_iPKfiiiSD_SD_iiiii.num_agpr)
	.set _ZN4vllm25paged_attention_v1_kernelIthLi192ELi16ELi128ELNS_18Fp8KVCacheDataTypeE1ELb0EEEvPT_PKS2_PKT0_S8_ifPKiSA_iPKfiiiSC_SC_iiiii.numbered_sgpr, max(40, .L_ZN4vllm22paged_attention_kernelIthLi192ELi16ELi128ELNS_18Fp8KVCacheDataTypeE1ELb0ELi0EEEvPfS2_PT_PKS3_PKT0_S9_ifPKiSB_iPKfiiiSD_SD_iiiii.numbered_sgpr)
	.set _ZN4vllm25paged_attention_v1_kernelIthLi192ELi16ELi128ELNS_18Fp8KVCacheDataTypeE1ELb0EEEvPT_PKS2_PKT0_S8_ifPKiSA_iPKfiiiSC_SC_iiiii.num_named_barrier, max(0, .L_ZN4vllm22paged_attention_kernelIthLi192ELi16ELi128ELNS_18Fp8KVCacheDataTypeE1ELb0ELi0EEEvPfS2_PT_PKS3_PKT0_S9_ifPKiSB_iPKfiiiSD_SD_iiiii.num_named_barrier)
	.set _ZN4vllm25paged_attention_v1_kernelIthLi192ELi16ELi128ELNS_18Fp8KVCacheDataTypeE1ELb0EEEvPT_PKS2_PKT0_S8_ifPKiSA_iPKfiiiSC_SC_iiiii.private_seg_size, 0+max(.L_ZN4vllm22paged_attention_kernelIthLi192ELi16ELi128ELNS_18Fp8KVCacheDataTypeE1ELb0ELi0EEEvPfS2_PT_PKS3_PKT0_S9_ifPKiSB_iPKfiiiSD_SD_iiiii.private_seg_size)
	.set _ZN4vllm25paged_attention_v1_kernelIthLi192ELi16ELi128ELNS_18Fp8KVCacheDataTypeE1ELb0EEEvPT_PKS2_PKT0_S8_ifPKiSA_iPKfiiiSC_SC_iiiii.uses_vcc, or(1, .L_ZN4vllm22paged_attention_kernelIthLi192ELi16ELi128ELNS_18Fp8KVCacheDataTypeE1ELb0ELi0EEEvPfS2_PT_PKS3_PKT0_S9_ifPKiSB_iPKfiiiSD_SD_iiiii.uses_vcc)
	.set _ZN4vllm25paged_attention_v1_kernelIthLi192ELi16ELi128ELNS_18Fp8KVCacheDataTypeE1ELb0EEEvPT_PKS2_PKT0_S8_ifPKiSA_iPKfiiiSC_SC_iiiii.uses_flat_scratch, or(0, .L_ZN4vllm22paged_attention_kernelIthLi192ELi16ELi128ELNS_18Fp8KVCacheDataTypeE1ELb0ELi0EEEvPfS2_PT_PKS3_PKT0_S9_ifPKiSB_iPKfiiiSD_SD_iiiii.uses_flat_scratch)
	.set _ZN4vllm25paged_attention_v1_kernelIthLi192ELi16ELi128ELNS_18Fp8KVCacheDataTypeE1ELb0EEEvPT_PKS2_PKT0_S8_ifPKiSA_iPKfiiiSC_SC_iiiii.has_dyn_sized_stack, or(0, .L_ZN4vllm22paged_attention_kernelIthLi192ELi16ELi128ELNS_18Fp8KVCacheDataTypeE1ELb0ELi0EEEvPfS2_PT_PKS3_PKT0_S9_ifPKiSB_iPKfiiiSD_SD_iiiii.has_dyn_sized_stack)
	.set _ZN4vllm25paged_attention_v1_kernelIthLi192ELi16ELi128ELNS_18Fp8KVCacheDataTypeE1ELb0EEEvPT_PKS2_PKT0_S8_ifPKiSA_iPKfiiiSC_SC_iiiii.has_recursion, or(0, .L_ZN4vllm22paged_attention_kernelIthLi192ELi16ELi128ELNS_18Fp8KVCacheDataTypeE1ELb0ELi0EEEvPfS2_PT_PKS3_PKT0_S9_ifPKiSB_iPKfiiiSD_SD_iiiii.has_recursion)
	.set _ZN4vllm25paged_attention_v1_kernelIthLi192ELi16ELi128ELNS_18Fp8KVCacheDataTypeE1ELb0EEEvPT_PKS2_PKT0_S8_ifPKiSA_iPKfiiiSC_SC_iiiii.has_indirect_call, or(0, .L_ZN4vllm22paged_attention_kernelIthLi192ELi16ELi128ELNS_18Fp8KVCacheDataTypeE1ELb0ELi0EEEvPfS2_PT_PKS3_PKT0_S9_ifPKiSB_iPKfiiiSD_SD_iiiii.has_indirect_call)
	.section	.AMDGPU.csdata,"",@progbits
; Kernel info:
; codeLenInByte = 224
; TotalNumSgprs: 42
; NumVgprs: 128
; ScratchSize: 276
; MemoryBound: 0
; FloatMode: 240
; IeeeMode: 1
; LDSByteSize: 416 bytes/workgroup (compile time only)
; SGPRBlocks: 0
; VGPRBlocks: 15
; NumSGPRsForWavesPerEU: 42
; NumVGPRsForWavesPerEU: 128
; Occupancy: 8
; WaveLimiterHint : 1
; COMPUTE_PGM_RSRC2:SCRATCH_EN: 1
; COMPUTE_PGM_RSRC2:USER_SGPR: 6
; COMPUTE_PGM_RSRC2:TRAP_HANDLER: 0
; COMPUTE_PGM_RSRC2:TGID_X_EN: 1
; COMPUTE_PGM_RSRC2:TGID_Y_EN: 1
; COMPUTE_PGM_RSRC2:TGID_Z_EN: 1
; COMPUTE_PGM_RSRC2:TIDIG_COMP_CNT: 0
	.text
	.p2align	2                               ; -- Begin function _ZN4vllm22paged_attention_kernelIthLi256ELi16ELi128ELNS_18Fp8KVCacheDataTypeE1ELb0ELi0EEEvPfS2_PT_PKS3_PKT0_S9_ifPKiSB_iPKfiiiSD_SD_iiiii
	.type	_ZN4vllm22paged_attention_kernelIthLi256ELi16ELi128ELNS_18Fp8KVCacheDataTypeE1ELb0ELi0EEEvPfS2_PT_PKS3_PKT0_S9_ifPKiSB_iPKfiiiSD_SD_iiiii,@function
_ZN4vllm22paged_attention_kernelIthLi256ELi16ELi128ELNS_18Fp8KVCacheDataTypeE1ELb0ELi0EEEvPfS2_PT_PKS3_PKT0_S9_ifPKiSB_iPKfiiiSD_SD_iiiii: ; @_ZN4vllm22paged_attention_kernelIthLi256ELi16ELi128ELNS_18Fp8KVCacheDataTypeE1ELb0ELi0EEEvPfS2_PT_PKS3_PKT0_S9_ifPKiSB_iPKfiiiSD_SD_iiiii
; %bb.0:
	s_waitcnt vmcnt(0) expcnt(0) lgkmcnt(0)
	buffer_store_dword v40, off, s[0:3], s32 offset:188 ; 4-byte Folded Spill
	buffer_store_dword v41, off, s[0:3], s32 offset:184 ; 4-byte Folded Spill
	buffer_store_dword v42, off, s[0:3], s32 offset:180 ; 4-byte Folded Spill
	buffer_store_dword v43, off, s[0:3], s32 offset:176 ; 4-byte Folded Spill
	buffer_store_dword v44, off, s[0:3], s32 offset:172 ; 4-byte Folded Spill
	buffer_store_dword v45, off, s[0:3], s32 offset:168 ; 4-byte Folded Spill
	buffer_store_dword v46, off, s[0:3], s32 offset:164 ; 4-byte Folded Spill
	buffer_store_dword v47, off, s[0:3], s32 offset:160 ; 4-byte Folded Spill
	buffer_store_dword v56, off, s[0:3], s32 offset:156 ; 4-byte Folded Spill
	buffer_store_dword v57, off, s[0:3], s32 offset:152 ; 4-byte Folded Spill
	buffer_store_dword v58, off, s[0:3], s32 offset:148 ; 4-byte Folded Spill
	buffer_store_dword v59, off, s[0:3], s32 offset:144 ; 4-byte Folded Spill
	buffer_store_dword v60, off, s[0:3], s32 offset:140 ; 4-byte Folded Spill
	buffer_store_dword v61, off, s[0:3], s32 offset:136 ; 4-byte Folded Spill
	buffer_store_dword v62, off, s[0:3], s32 offset:132 ; 4-byte Folded Spill
	buffer_store_dword v63, off, s[0:3], s32 offset:128 ; 4-byte Folded Spill
	buffer_store_dword v72, off, s[0:3], s32 offset:124 ; 4-byte Folded Spill
	buffer_store_dword v73, off, s[0:3], s32 offset:120 ; 4-byte Folded Spill
	buffer_store_dword v74, off, s[0:3], s32 offset:116 ; 4-byte Folded Spill
	buffer_store_dword v75, off, s[0:3], s32 offset:112 ; 4-byte Folded Spill
	buffer_store_dword v76, off, s[0:3], s32 offset:108 ; 4-byte Folded Spill
	buffer_store_dword v77, off, s[0:3], s32 offset:104 ; 4-byte Folded Spill
	buffer_store_dword v78, off, s[0:3], s32 offset:100 ; 4-byte Folded Spill
	buffer_store_dword v79, off, s[0:3], s32 offset:96 ; 4-byte Folded Spill
	buffer_store_dword v88, off, s[0:3], s32 offset:92 ; 4-byte Folded Spill
	buffer_store_dword v89, off, s[0:3], s32 offset:88 ; 4-byte Folded Spill
	buffer_store_dword v90, off, s[0:3], s32 offset:84 ; 4-byte Folded Spill
	buffer_store_dword v91, off, s[0:3], s32 offset:80 ; 4-byte Folded Spill
	buffer_store_dword v92, off, s[0:3], s32 offset:76 ; 4-byte Folded Spill
	buffer_store_dword v93, off, s[0:3], s32 offset:72 ; 4-byte Folded Spill
	buffer_store_dword v94, off, s[0:3], s32 offset:68 ; 4-byte Folded Spill
	buffer_store_dword v95, off, s[0:3], s32 offset:64 ; 4-byte Folded Spill
	buffer_store_dword v104, off, s[0:3], s32 offset:60 ; 4-byte Folded Spill
	buffer_store_dword v105, off, s[0:3], s32 offset:56 ; 4-byte Folded Spill
	buffer_store_dword v106, off, s[0:3], s32 offset:52 ; 4-byte Folded Spill
	buffer_store_dword v107, off, s[0:3], s32 offset:48 ; 4-byte Folded Spill
	buffer_store_dword v108, off, s[0:3], s32 offset:44 ; 4-byte Folded Spill
	buffer_store_dword v109, off, s[0:3], s32 offset:40 ; 4-byte Folded Spill
	buffer_store_dword v110, off, s[0:3], s32 offset:36 ; 4-byte Folded Spill
	buffer_store_dword v111, off, s[0:3], s32 offset:32 ; 4-byte Folded Spill
	buffer_store_dword v120, off, s[0:3], s32 offset:28 ; 4-byte Folded Spill
	buffer_store_dword v121, off, s[0:3], s32 offset:24 ; 4-byte Folded Spill
	buffer_store_dword v122, off, s[0:3], s32 offset:20 ; 4-byte Folded Spill
	buffer_store_dword v123, off, s[0:3], s32 offset:16 ; 4-byte Folded Spill
	buffer_store_dword v124, off, s[0:3], s32 offset:12 ; 4-byte Folded Spill
	buffer_store_dword v125, off, s[0:3], s32 offset:8 ; 4-byte Folded Spill
	buffer_store_dword v126, off, s[0:3], s32 offset:4 ; 4-byte Folded Spill
	buffer_store_dword v127, off, s[0:3], s32 ; 4-byte Folded Spill
	s_mov_b32 s10, s13
	s_ashr_i32 s11, s13, 31
	buffer_store_dword v20, off, s[0:3], s32 offset:340 ; 4-byte Folded Spill
	buffer_store_dword v21, off, s[0:3], s32 offset:344 ; 4-byte Folded Spill
	;; [unrolled: 1-line block ×10, first 2 shown]
	s_lshl_b64 s[4:5], s[10:11], 2
	s_mov_b32 s16, s15
	v_add_co_u32 v0, vcc_lo, v12, s4
	v_add_co_ci_u32_e64 v1, null, s5, v13, vcc_lo
	s_clause 0x1
	s_load_dword s4, s[8:9], 0x10
	s_load_dword s5, s[8:9], 0x0
	flat_load_dword v29, v[0:1]
	v_sub_nc_u32_e32 v0, 0, v8
	v_max_i32_e32 v0, v8, v0
	v_cvt_f32_u32_e32 v1, v0
	v_sub_nc_u32_e32 v6, 0, v0
	v_rcp_iflag_f32_e32 v1, v1
	s_waitcnt lgkmcnt(0)
	s_lshr_b32 s4, s4, 16
	s_cmp_lg_u32 s4, 0
	s_cselect_b32 s4, -1, 0
	s_cmp_lg_u32 s4, 0
	s_addc_u32 s11, s5, 0
	v_mul_f32_e32 v1, 0x4f7ffffe, v1
	s_abs_i32 s4, s11
	s_abs_i32 s5, s12
	v_cvt_u32_f32_e32 v1, v1
	v_mul_lo_u32 v6, v6, v1
	v_mul_hi_u32 v6, v1, v6
	v_add_nc_u32_e32 v1, v1, v6
	v_mul_hi_u32 v1, s4, v1
	v_mul_lo_u32 v6, v1, v0
	v_add_nc_u32_e32 v7, 1, v1
	v_sub_nc_u32_e32 v6, s4, v6
	s_mov_b32 s4, exec_lo
	v_sub_nc_u32_e32 v9, v6, v0
	v_cmp_ge_u32_e32 vcc_lo, v6, v0
	v_cndmask_b32_e32 v1, v1, v7, vcc_lo
	v_cndmask_b32_e32 v6, v6, v9, vcc_lo
	v_xor_b32_e32 v7, s11, v8
	v_add_nc_u32_e32 v8, 1, v1
	v_cmp_ge_u32_e32 vcc_lo, v6, v0
	v_ashrrev_i32_e32 v7, 31, v7
	v_cndmask_b32_e32 v0, v1, v8, vcc_lo
	v_xor_b32_e32 v0, v0, v7
	v_sub_nc_u32_e32 v1, v0, v7
	v_sub_nc_u32_e32 v0, 0, v1
	v_max_i32_e32 v0, v1, v0
	v_cvt_f32_u32_e32 v6, v0
	v_sub_nc_u32_e32 v7, 0, v0
	v_rcp_iflag_f32_e32 v6, v6
	v_mul_f32_e32 v6, 0x4f7ffffe, v6
	v_cvt_u32_f32_e32 v6, v6
	v_mul_lo_u32 v7, v7, v6
	v_mul_hi_u32 v7, v6, v7
	v_add_nc_u32_e32 v6, v6, v7
	v_mad_u64_u32 v[12:13], null, s5, v6, 0
	v_mov_b32_e32 v6, 0
	buffer_store_dword v6, off, s[0:3], s32 offset:360 ; 4-byte Folded Spill
	v_cmpx_ne_u64_e32 0, v[15:16]
	s_cbranch_execz .LBB272_2
; %bb.1:
	s_ashr_i32 s13, s12, 31
	s_lshl_b64 s[6:7], s[12:13], 2
	v_add_co_u32 v6, vcc_lo, v15, s6
	v_add_co_ci_u32_e64 v7, null, s7, v16, vcc_lo
	flat_load_dword v6, v[6:7]
	s_waitcnt vmcnt(0) lgkmcnt(0)
	buffer_store_dword v6, off, s[0:3], s32 offset:360 ; 4-byte Folded Spill
.LBB272_2:
	s_or_b32 exec_lo, exec_lo, s4
	v_bfe_u32 v6, v31, 1, 9
	v_and_b32_e32 v52, 0x3ff, v31
	v_ashrrev_i32_e32 v1, 31, v1
	s_ashr_i32 s6, s12, 31
	s_lshl_b32 s12, s12, 8
	buffer_store_dword v6, off, s[0:3], s32 offset:376 ; 4-byte Folded Spill
	v_and_b32_e32 v6, 1, v31
	v_cmp_gt_u32_e64 s4, 64, v52
	buffer_store_dword v6, off, s[0:3], s32 offset:372 ; 4-byte Folded Spill
	v_lshlrev_b32_e32 v6, 3, v52
	buffer_store_dword v6, off, s[0:3], s32 offset:424 ; 4-byte Folded Spill
	s_and_saveexec_b32 s7, s4
	s_cbranch_execz .LBB272_4
; %bb.3:
	v_mul_lo_u32 v6, v17, s10
	s_ashr_i32 s13, s12, 31
	s_lshl_b64 s[18:19], s[12:13], 1
	v_ashrrev_i32_e32 v7, 31, v6
	v_lshlrev_b64 v[6:7], 1, v[6:7]
	v_add_co_u32 v2, vcc_lo, v2, v6
	v_add_co_ci_u32_e64 v3, null, v3, v7, vcc_lo
	v_lshlrev_b32_e32 v6, 3, v52
	v_add_co_u32 v2, vcc_lo, v2, s18
	v_add_co_ci_u32_e64 v3, null, s19, v3, vcc_lo
	buffer_load_dword v7, off, s[0:3], s32 offset:372 ; 4-byte Folded Reload
	v_add_co_u32 v2, vcc_lo, v2, v6
	buffer_load_dword v6, off, s[0:3], s32 offset:376 ; 4-byte Folded Reload
	v_add_co_ci_u32_e64 v3, null, 0, v3, vcc_lo
	flat_load_dwordx2 v[2:3], v[2:3]
	s_waitcnt vmcnt(1)
	v_lshlrev_b32_e32 v6, 3, v6
	v_lshl_add_u32 v6, v7, 8, v6
	s_waitcnt vmcnt(0) lgkmcnt(0)
	ds_write_b64 v6, v[2:3]
.LBB272_4:
	s_or_b32 exec_lo, exec_lo, s7
	v_mul_lo_u32 v2, v13, v0
	s_waitcnt vmcnt(0)
	v_add_nc_u32_e32 v3, 15, v29
	v_add_nc_u32_e32 v6, 1, v13
	v_xor_b32_e32 v1, s6, v1
                                        ; implicit-def: $vgpr10
	v_ashrrev_i32_e32 v7, 31, v3
	v_sub_nc_u32_e32 v2, s5, v2
	v_lshrrev_b32_e32 v7, 28, v7
	v_sub_nc_u32_e32 v8, v2, v0
	v_cmp_ge_u32_e32 vcc_lo, v2, v0
	v_add_nc_u32_e32 v3, v3, v7
	v_cndmask_b32_e32 v6, v13, v6, vcc_lo
	v_cndmask_b32_e32 v2, v2, v8, vcc_lo
	v_ashrrev_i32_e32 v7, 4, v3
                                        ; implicit-def: $vgpr13
	v_add_nc_u32_e32 v8, 1, v6
	v_cmp_ge_u32_e32 vcc_lo, v2, v0
	v_mul_lo_u32 v2, v14, s10
	v_cndmask_b32_e32 v0, v6, v8, vcc_lo
	v_lshrrev_b32_e32 v6, 5, v52
	buffer_store_dword v6, off, s[0:3], s32 offset:368 ; 4-byte Folded Spill
	buffer_store_dword v7, off, s[0:3], s32 offset:268 ; 4-byte Folded Spill
	v_xor_b32_e32 v0, v0, v1
	v_ashrrev_i32_e32 v3, 31, v2
	v_cmp_ge_i32_e64 s5, v6, v7
	v_sub_nc_u32_e32 v0, v0, v1
	v_mbcnt_lo_u32_b32 v1, -1, 0
	buffer_store_dword v1, off, s[0:3], s32 offset:336 ; 4-byte Folded Spill
	s_waitcnt lgkmcnt(0)
	s_waitcnt_vscnt null, 0x0
	s_barrier
	buffer_gl0_inv
	s_and_saveexec_b32 s6, s5
	s_xor_b32 s6, exec_lo, s6
	s_cbranch_execz .LBB272_6
; %bb.5:
	v_mbcnt_lo_u32_b32 v1, -1, 0
	v_mov_b32_e32 v13, 0
	v_mov_b32_e32 v10, 32
                                        ; implicit-def: $vgpr4
                                        ; implicit-def: $vgpr5
	buffer_store_dword v1, off, s[0:3], s32 offset:336 ; 4-byte Folded Spill
                                        ; implicit-def: $vgpr1
                                        ; kill: killed $vgpr1
                                        ; implicit-def: $vgpr1
                                        ; kill: killed $vgpr1
                                        ; implicit-def: $vgpr1
	buffer_store_dword v1, off, s[0:3], s32 offset:340 ; 4-byte Folded Spill
	buffer_store_dword v2, off, s[0:3], s32 offset:344 ; 4-byte Folded Spill
.LBB272_6:
	s_or_saveexec_b32 s13, s6
	v_mul_lo_u32 v0, v0, v19
	s_clause 0x1
	s_load_dword s15, s[8:9], 0x14
	s_load_dword s9, s[8:9], 0x8
	v_mov_b32_e32 v7, 0xff7fffff
	buffer_store_dword v0, off, s[0:3], s32 offset:400 ; 4-byte Folded Spill
	v_ashrrev_i32_e32 v0, 31, v0
	buffer_store_dword v0, off, s[0:3], s32 offset:404 ; 4-byte Folded Spill
	v_lshlrev_b64 v[0:1], 2, v[2:3]
	buffer_store_dword v0, off, s[0:3], s32 offset:388 ; 4-byte Folded Spill
	buffer_store_dword v1, off, s[0:3], s32 offset:392 ; 4-byte Folded Spill
	v_lshrrev_b32_e32 v0, 3, v52
	buffer_store_dword v0, off, s[0:3], s32 offset:396 ; 4-byte Folded Spill
	s_xor_b32 exec_lo, exec_lo, s13
	s_cbranch_execz .LBB272_1036
; %bb.7:
	s_clause 0x1
	buffer_load_dword v2, off, s[0:3], s32 offset:400
	buffer_load_dword v3, off, s[0:3], s32 offset:404
	v_bfe_u32 v0, v52, 1, 4
	buffer_store_dword v52, off, s[0:3], s32 offset:428 ; 4-byte Folded Spill
	s_ashr_i32 s17, s16, 31
	v_mov_b32_e32 v13, 0
	s_lshl_b64 s[18:19], s[16:17], 2
	v_lshlrev_b32_e32 v1, 4, v0
	v_mov_b32_e32 v52, 0x80
	s_getpc_b64 s[20:21]
	s_add_u32 s20, s20, llvm.amdgcn.dynlds.offset.table@rel32@lo+4
	s_addc_u32 s21, s21, llvm.amdgcn.dynlds.offset.table@rel32@hi+12
	s_add_u32 s18, s20, s18
	s_mov_b32 s17, 0
	s_addc_u32 s19, s21, s19
	s_waitcnt vmcnt(1)
	v_add_co_u32 v2, vcc_lo, v4, v2
	s_waitcnt vmcnt(0)
	v_add_co_ci_u32_e64 v3, null, v5, v3, vcc_lo
	v_add_co_u32 v1, vcc_lo, v2, v1
	v_add_co_ci_u32_e64 v2, null, 0, v3, vcc_lo
	buffer_store_dword v1, off, s[0:3], s32 offset:352 ; 4-byte Folded Spill
	buffer_store_dword v2, off, s[0:3], s32 offset:356 ; 4-byte Folded Spill
	buffer_load_dword v1, off, s[0:3], s32 offset:372 ; 4-byte Folded Reload
	s_waitcnt vmcnt(0)
	v_lshlrev_b32_e32 v2, 2, v1
	v_lshlrev_b32_e32 v48, 8, v1
	v_cmp_eq_u32_e32 vcc_lo, 0, v1
	buffer_load_dword v1, off, s[0:3], s32 offset:360 ; 4-byte Folded Reload
	buffer_store_dword v2, off, s[0:3], s32 offset:192 ; 4-byte Folded Spill
	v_or_b32_e32 v2, 8, v2
	buffer_store_dword v2, off, s[0:3], s32 offset:196 ; 4-byte Folded Spill
	s_waitcnt vmcnt(0)
	v_cmp_neq_f32_e64 s6, 0, v1
	s_clause 0x3
	buffer_load_dword v1, off, s[0:3], s32 offset:396
	buffer_load_dword v2, off, s[0:3], s32 offset:388
	;; [unrolled: 1-line block ×4, first 2 shown]
	s_waitcnt vmcnt(3)
	v_and_b32_e32 v1, 0x7c, v1
	s_waitcnt vmcnt(2)
	v_add_co_u32 v1, s7, v1, v2
	s_waitcnt vmcnt(1)
	v_add_co_ci_u32_e64 v2, null, 0, v3, s7
	v_lshlrev_b32_e32 v3, 2, v0
	s_waitcnt vmcnt(0)
	v_add_co_u32 v14, s7, v4, v1
	buffer_load_dword v1, off, s[0:3], s32 offset:380 ; 4-byte Folded Reload
	s_waitcnt vmcnt(0)
	v_add_co_ci_u32_e64 v15, null, v1, v2, s7
	buffer_load_dword v1, off, s[0:3], s32 offset:368 ; 4-byte Folded Reload
	s_waitcnt vmcnt(0)
	v_lshl_or_b32 v0, v1, 4, v0
	v_mov_b32_e32 v5, v1
	buffer_store_dword v0, off, s[0:3], s32 offset:260 ; 4-byte Folded Spill
	v_lshl_or_b32 v0, v1, 6, v3
	buffer_store_dword v0, off, s[0:3], s32 offset:264 ; 4-byte Folded Spill
	v_mov_b32_e32 v0, 0xff7fffff
	buffer_store_dword v0, off, s[0:3], s32 offset:348 ; 4-byte Folded Spill
	s_branch .LBB272_9
.LBB272_8:                              ;   in Loop: Header=BB272_9 Depth=1
	s_or_b32 exec_lo, exec_lo, s8
	buffer_load_dword v0, off, s[0:3], s32 offset:268 ; 4-byte Folded Reload
	s_waitcnt vmcnt(1)
	v_add_nc_u32_e32 v5, 4, v5
	v_add_co_u32 v14, s8, v14, 16
	v_add_co_ci_u32_e64 v15, null, 0, v15, s8
	s_waitcnt vmcnt(0)
	v_cmp_ge_i32_e64 s7, v5, v0
	buffer_load_dword v0, off, s[0:3], s32 offset:260 ; 4-byte Folded Reload
	s_or_b32 s17, s7, s17
	s_waitcnt vmcnt(0)
	v_add_nc_u32_e32 v0, 64, v0
	buffer_store_dword v0, off, s[0:3], s32 offset:260 ; 4-byte Folded Spill
	buffer_load_dword v0, off, s[0:3], s32 offset:264 ; 4-byte Folded Reload
	s_waitcnt vmcnt(0)
	v_add_nc_u32_e32 v0, 0x100, v0
	buffer_store_dword v0, off, s[0:3], s32 offset:264 ; 4-byte Folded Spill
	s_andn2_b32 exec_lo, exec_lo, s17
	s_cbranch_execz .LBB272_1035
.LBB272_9:                              ; =>This Inner Loop Header: Depth=1
	buffer_store_dword v5, off, s[0:3], s32 offset:276 ; 4-byte Folded Spill
	flat_load_dword v0, v[14:15]
	s_waitcnt lgkmcnt(0)
	s_clause 0x2
	buffer_load_dword v1, off, s[0:3], s32 offset:272
	buffer_load_dword v2, off, s[0:3], s32 offset:352
	;; [unrolled: 1-line block ×3, first 2 shown]
	s_waitcnt vmcnt(0) lgkmcnt(0)
	v_mad_i64_i32 v[16:17], null, v0, v1, v[2:3]
	buffer_load_dword v0, off, s[0:3], s32 offset:192 ; 4-byte Folded Reload
	s_waitcnt vmcnt(0)
	v_add_co_u32 v24, s7, v16, v0
	v_add_co_ci_u32_e64 v25, null, 0, v17, s7
	flat_load_dword v8, v[24:25]
	s_clause 0x1
	buffer_load_dword v0, off, s[0:3], s32 offset:340
	buffer_load_dword v1, off, s[0:3], s32 offset:344
	s_waitcnt vmcnt(2) lgkmcnt(0)
	v_cmp_ne_u16_sdwa s7, v8, v13 src0_sel:BYTE_0 src1_sel:DWORD
	s_waitcnt vmcnt(0)
	flat_load_dword v65, v[0:1]
	v_mov_b32_e32 v0, 0
	buffer_store_dword v0, off, s[0:3], s32 offset:200 ; 4-byte Folded Spill
	s_and_saveexec_b32 s8, s7
	s_cbranch_execz .LBB272_17
; %bb.10:                               ;   in Loop: Header=BB272_9 Depth=1
	v_cmp_ne_u16_sdwa s7, v8, v52 src0_sel:BYTE_0 src1_sel:DWORD
	v_mov_b32_e32 v0, 0x8000
	buffer_store_dword v0, off, s[0:3], s32 offset:200 ; 4-byte Folded Spill
	s_and_saveexec_b32 s20, s7
	s_cbranch_execz .LBB272_16
; %bb.11:                               ;   in Loop: Header=BB272_9 Depth=1
	v_and_b32_e32 v2, 0x7f, v8
	v_mov_b32_e32 v0, 0x7c01
	s_mov_b32 s21, exec_lo
	buffer_store_dword v0, off, s[0:3], s32 offset:200 ; 4-byte Folded Spill
	v_cmpx_ne_u32_e32 0x7f, v2
	s_cbranch_execz .LBB272_15
; %bb.12:                               ;   in Loop: Header=BB272_9 Depth=1
	v_and_b32_e32 v0, 7, v8
	v_lshrrev_b32_e32 v1, 3, v2
	s_mov_b32 s22, exec_lo
	v_cmpx_gt_u32_e32 8, v2
; %bb.13:                               ;   in Loop: Header=BB272_9 Depth=1
	v_ffbh_u32_e32 v0, v0
	v_min_u32_e32 v2, 32, v0
	v_subrev_nc_u32_e32 v0, 28, v2
	v_lshlrev_b64 v[0:1], v0, v[8:9]
	v_sub_nc_u32_e32 v1, 29, v2
	v_and_b32_e32 v0, 7, v0
; %bb.14:                               ;   in Loop: Header=BB272_9 Depth=1
	s_or_b32 exec_lo, exec_lo, s22
	v_lshlrev_b32_e32 v2, 8, v8
	v_lshl_add_u32 v1, v1, 10, 0x2000
	v_lshlrev_b32_e32 v0, 7, v0
	v_and_b32_e32 v2, 0x8000, v2
	v_and_b32_e32 v1, 0xfc00, v1
	v_or3_b32 v0, v2, v1, v0
	buffer_store_dword v0, off, s[0:3], s32 offset:200 ; 4-byte Folded Spill
.LBB272_15:                             ;   in Loop: Header=BB272_9 Depth=1
	s_or_b32 exec_lo, exec_lo, s21
.LBB272_16:                             ;   in Loop: Header=BB272_9 Depth=1
	s_or_b32 exec_lo, exec_lo, s20
.LBB272_17:                             ;   in Loop: Header=BB272_9 Depth=1
	s_or_b32 exec_lo, exec_lo, s8
	v_lshrrev_b16 v12, 8, v8
	v_mov_b32_e32 v68, 0
	s_mov_b32 s8, exec_lo
	v_cmpx_ne_u16_e32 0, v12
	s_cbranch_execz .LBB272_25
; %bb.18:                               ;   in Loop: Header=BB272_9 Depth=1
	v_bfrev_b32_e32 v68, 1
	s_mov_b32 s20, exec_lo
	v_cmpx_ne_u16_e32 0x80, v12
	s_cbranch_execz .LBB272_24
; %bb.19:                               ;   in Loop: Header=BB272_9 Depth=1
	v_mov_b32_e32 v0, 0x7f
	v_mov_b32_e32 v68, 0x7c010000
	s_mov_b32 s21, exec_lo
	v_and_b32_sdwa v2, v12, v0 dst_sel:DWORD dst_unused:UNUSED_PAD src0_sel:WORD_0 src1_sel:DWORD
	v_cmpx_ne_u32_e32 0x7f, v2
	s_cbranch_execz .LBB272_23
; %bb.20:                               ;   in Loop: Header=BB272_9 Depth=1
	v_mov_b32_e32 v0, 7
	v_lshrrev_b32_e32 v1, 3, v2
	s_mov_b32 s22, exec_lo
	v_and_b32_sdwa v0, v12, v0 dst_sel:DWORD dst_unused:UNUSED_PAD src0_sel:WORD_0 src1_sel:DWORD
	v_cmpx_gt_u32_e32 8, v2
; %bb.21:                               ;   in Loop: Header=BB272_9 Depth=1
	v_ffbh_u32_e32 v0, v0
	v_min_u32_e32 v2, 32, v0
	v_subrev_nc_u32_e32 v0, 28, v2
	v_lshlrev_b64 v[0:1], v0, v[12:13]
	v_sub_nc_u32_e32 v1, 29, v2
	v_and_b32_e32 v0, 7, v0
; %bb.22:                               ;   in Loop: Header=BB272_9 Depth=1
	s_or_b32 exec_lo, exec_lo, s22
	v_mov_b32_e32 v2, 8
	v_lshl_add_u32 v1, v1, 10, 0x2000
	v_lshlrev_b32_e32 v0, 23, v0
	v_lshlrev_b32_sdwa v2, v2, v12 dst_sel:DWORD dst_unused:UNUSED_PAD src0_sel:DWORD src1_sel:WORD_0
	v_and_or_b32 v1, 0x8000, v2, v1
	v_lshl_or_b32 v68, v1, 16, v0
.LBB272_23:                             ;   in Loop: Header=BB272_9 Depth=1
	s_or_b32 exec_lo, exec_lo, s21
.LBB272_24:                             ;   in Loop: Header=BB272_9 Depth=1
	s_or_b32 exec_lo, exec_lo, s20
.LBB272_25:                             ;   in Loop: Header=BB272_9 Depth=1
	s_or_b32 exec_lo, exec_lo, s8
	v_lshrrev_b32_e32 v12, 16, v8
	v_mov_b32_e32 v64, 0
	v_mov_b32_e32 v0, 0
	v_cmp_ne_u16_sdwa s7, v12, v13 src0_sel:BYTE_0 src1_sel:DWORD
	buffer_store_dword v0, off, s[0:3], s32 offset:204 ; 4-byte Folded Spill
	s_and_saveexec_b32 s8, s7
	s_cbranch_execz .LBB272_33
; %bb.26:                               ;   in Loop: Header=BB272_9 Depth=1
	v_cmp_ne_u16_sdwa s7, v12, v52 src0_sel:BYTE_0 src1_sel:DWORD
	v_mov_b32_e32 v0, 0x8000
	buffer_store_dword v0, off, s[0:3], s32 offset:204 ; 4-byte Folded Spill
	s_and_saveexec_b32 s20, s7
	s_cbranch_execz .LBB272_32
; %bb.27:                               ;   in Loop: Header=BB272_9 Depth=1
	v_bfe_u32 v2, v8, 16, 7
	v_mov_b32_e32 v0, 0x7c01
	s_mov_b32 s21, exec_lo
	buffer_store_dword v0, off, s[0:3], s32 offset:204 ; 4-byte Folded Spill
	v_cmpx_ne_u32_e32 0x7f, v2
	s_cbranch_execz .LBB272_31
; %bb.28:                               ;   in Loop: Header=BB272_9 Depth=1
	v_and_b32_e32 v0, 7, v12
	v_lshrrev_b32_e32 v1, 3, v2
	s_mov_b32 s22, exec_lo
	v_cmpx_gt_u32_e32 8, v2
; %bb.29:                               ;   in Loop: Header=BB272_9 Depth=1
	v_ffbh_u32_e32 v0, v0
	v_min_u32_e32 v2, 32, v0
	v_subrev_nc_u32_e32 v0, 28, v2
	v_lshlrev_b64 v[0:1], v0, v[12:13]
	v_sub_nc_u32_e32 v1, 29, v2
	v_and_b32_e32 v0, 7, v0
; %bb.30:                               ;   in Loop: Header=BB272_9 Depth=1
	s_or_b32 exec_lo, exec_lo, s22
	v_lshlrev_b32_e32 v2, 8, v12
	v_lshl_add_u32 v1, v1, 10, 0x2000
	v_lshlrev_b32_e32 v0, 7, v0
	v_and_b32_e32 v2, 0x8000, v2
	v_and_b32_e32 v1, 0xfc00, v1
	v_or3_b32 v0, v2, v1, v0
	buffer_store_dword v0, off, s[0:3], s32 offset:204 ; 4-byte Folded Spill
.LBB272_31:                             ;   in Loop: Header=BB272_9 Depth=1
	s_or_b32 exec_lo, exec_lo, s21
.LBB272_32:                             ;   in Loop: Header=BB272_9 Depth=1
	s_or_b32 exec_lo, exec_lo, s20
.LBB272_33:                             ;   in Loop: Header=BB272_9 Depth=1
	s_or_b32 exec_lo, exec_lo, s8
	s_mov_b32 s8, exec_lo
	v_cmpx_lt_u32_e32 0xffffff, v8
	s_cbranch_execz .LBB272_41
; %bb.34:                               ;   in Loop: Header=BB272_9 Depth=1
	v_lshrrev_b32_e32 v12, 24, v8
	v_bfrev_b32_e32 v64, 1
	s_mov_b32 s20, exec_lo
	v_cmpx_ne_u32_e32 0x80, v12
	s_cbranch_execz .LBB272_40
; %bb.35:                               ;   in Loop: Header=BB272_9 Depth=1
	v_and_b32_e32 v2, 0x7f, v12
	v_mov_b32_e32 v64, 0x7c010000
	s_mov_b32 s21, exec_lo
	v_cmpx_ne_u32_e32 0x7f, v2
	s_cbranch_execz .LBB272_39
; %bb.36:                               ;   in Loop: Header=BB272_9 Depth=1
	v_and_b32_e32 v0, 7, v12
	v_lshrrev_b32_e32 v1, 3, v2
	s_mov_b32 s22, exec_lo
	v_cmpx_gt_u32_e32 8, v2
; %bb.37:                               ;   in Loop: Header=BB272_9 Depth=1
	v_ffbh_u32_e32 v0, v0
	v_min_u32_e32 v2, 32, v0
	v_subrev_nc_u32_e32 v0, 28, v2
	v_lshlrev_b64 v[0:1], v0, v[12:13]
	v_sub_nc_u32_e32 v1, 29, v2
	v_and_b32_e32 v0, 7, v0
; %bb.38:                               ;   in Loop: Header=BB272_9 Depth=1
	s_or_b32 exec_lo, exec_lo, s22
	v_lshlrev_b32_e32 v2, 8, v12
	v_lshl_add_u32 v1, v1, 10, 0x2000
	v_lshlrev_b32_e32 v0, 23, v0
	v_and_or_b32 v1, 0x8000, v2, v1
	v_lshl_or_b32 v64, v1, 16, v0
.LBB272_39:                             ;   in Loop: Header=BB272_9 Depth=1
	s_or_b32 exec_lo, exec_lo, s21
.LBB272_40:                             ;   in Loop: Header=BB272_9 Depth=1
	s_or_b32 exec_lo, exec_lo, s20
.LBB272_41:                             ;   in Loop: Header=BB272_9 Depth=1
	s_or_b32 exec_lo, exec_lo, s8
	flat_load_dword v8, v[24:25] offset:8
	v_mov_b32_e32 v121, 0
	v_mov_b32_e32 v0, 0
	buffer_store_dword v0, off, s[0:3], s32 offset:208 ; 4-byte Folded Spill
	s_waitcnt vmcnt(0) lgkmcnt(0)
	v_cmp_ne_u16_sdwa s7, v8, v13 src0_sel:BYTE_0 src1_sel:DWORD
	s_and_saveexec_b32 s8, s7
	s_cbranch_execz .LBB272_49
; %bb.42:                               ;   in Loop: Header=BB272_9 Depth=1
	v_cmp_ne_u16_sdwa s7, v8, v52 src0_sel:BYTE_0 src1_sel:DWORD
	v_mov_b32_e32 v0, 0x8000
	buffer_store_dword v0, off, s[0:3], s32 offset:208 ; 4-byte Folded Spill
	s_and_saveexec_b32 s20, s7
	s_cbranch_execz .LBB272_48
; %bb.43:                               ;   in Loop: Header=BB272_9 Depth=1
	v_and_b32_e32 v2, 0x7f, v8
	v_mov_b32_e32 v0, 0x7c01
	s_mov_b32 s21, exec_lo
	buffer_store_dword v0, off, s[0:3], s32 offset:208 ; 4-byte Folded Spill
	v_cmpx_ne_u32_e32 0x7f, v2
	s_cbranch_execz .LBB272_47
; %bb.44:                               ;   in Loop: Header=BB272_9 Depth=1
	v_and_b32_e32 v0, 7, v8
	v_lshrrev_b32_e32 v1, 3, v2
	s_mov_b32 s22, exec_lo
	v_cmpx_gt_u32_e32 8, v2
; %bb.45:                               ;   in Loop: Header=BB272_9 Depth=1
	v_ffbh_u32_e32 v0, v0
	v_min_u32_e32 v2, 32, v0
	v_subrev_nc_u32_e32 v0, 28, v2
	v_lshlrev_b64 v[0:1], v0, v[8:9]
	v_sub_nc_u32_e32 v1, 29, v2
	v_and_b32_e32 v0, 7, v0
; %bb.46:                               ;   in Loop: Header=BB272_9 Depth=1
	s_or_b32 exec_lo, exec_lo, s22
	v_lshlrev_b32_e32 v2, 8, v8
	v_lshl_add_u32 v1, v1, 10, 0x2000
	v_lshlrev_b32_e32 v0, 7, v0
	v_and_b32_e32 v2, 0x8000, v2
	v_and_b32_e32 v1, 0xfc00, v1
	v_or3_b32 v0, v2, v1, v0
	buffer_store_dword v0, off, s[0:3], s32 offset:208 ; 4-byte Folded Spill
.LBB272_47:                             ;   in Loop: Header=BB272_9 Depth=1
	s_or_b32 exec_lo, exec_lo, s21
.LBB272_48:                             ;   in Loop: Header=BB272_9 Depth=1
	s_or_b32 exec_lo, exec_lo, s20
.LBB272_49:                             ;   in Loop: Header=BB272_9 Depth=1
	s_or_b32 exec_lo, exec_lo, s8
	v_lshrrev_b16 v12, 8, v8
	s_mov_b32 s8, exec_lo
	v_cmpx_ne_u16_e32 0, v12
	s_cbranch_execz .LBB272_57
; %bb.50:                               ;   in Loop: Header=BB272_9 Depth=1
	v_bfrev_b32_e32 v121, 1
	s_mov_b32 s20, exec_lo
	v_cmpx_ne_u16_e32 0x80, v12
	s_cbranch_execz .LBB272_56
; %bb.51:                               ;   in Loop: Header=BB272_9 Depth=1
	v_mov_b32_e32 v0, 0x7f
	v_mov_b32_e32 v121, 0x7c010000
	s_mov_b32 s21, exec_lo
	v_and_b32_sdwa v2, v12, v0 dst_sel:DWORD dst_unused:UNUSED_PAD src0_sel:WORD_0 src1_sel:DWORD
	v_cmpx_ne_u32_e32 0x7f, v2
	s_cbranch_execz .LBB272_55
; %bb.52:                               ;   in Loop: Header=BB272_9 Depth=1
	v_mov_b32_e32 v0, 7
	v_lshrrev_b32_e32 v1, 3, v2
	s_mov_b32 s22, exec_lo
	v_and_b32_sdwa v0, v12, v0 dst_sel:DWORD dst_unused:UNUSED_PAD src0_sel:WORD_0 src1_sel:DWORD
	v_cmpx_gt_u32_e32 8, v2
; %bb.53:                               ;   in Loop: Header=BB272_9 Depth=1
	v_ffbh_u32_e32 v0, v0
	v_min_u32_e32 v2, 32, v0
	v_subrev_nc_u32_e32 v0, 28, v2
	v_lshlrev_b64 v[0:1], v0, v[12:13]
	v_sub_nc_u32_e32 v1, 29, v2
	v_and_b32_e32 v0, 7, v0
; %bb.54:                               ;   in Loop: Header=BB272_9 Depth=1
	s_or_b32 exec_lo, exec_lo, s22
	v_mov_b32_e32 v2, 8
	v_lshl_add_u32 v1, v1, 10, 0x2000
	v_lshlrev_b32_e32 v0, 23, v0
	v_lshlrev_b32_sdwa v2, v2, v12 dst_sel:DWORD dst_unused:UNUSED_PAD src0_sel:DWORD src1_sel:WORD_0
	v_and_or_b32 v1, 0x8000, v2, v1
	v_lshl_or_b32 v121, v1, 16, v0
.LBB272_55:                             ;   in Loop: Header=BB272_9 Depth=1
	s_or_b32 exec_lo, exec_lo, s21
.LBB272_56:                             ;   in Loop: Header=BB272_9 Depth=1
	s_or_b32 exec_lo, exec_lo, s20
.LBB272_57:                             ;   in Loop: Header=BB272_9 Depth=1
	s_or_b32 exec_lo, exec_lo, s8
	v_lshrrev_b32_e32 v12, 16, v8
	v_mov_b32_e32 v80, 0
	v_mov_b32_e32 v0, 0
	v_cmp_ne_u16_sdwa s7, v12, v13 src0_sel:BYTE_0 src1_sel:DWORD
	buffer_store_dword v0, off, s[0:3], s32 offset:212 ; 4-byte Folded Spill
	s_and_saveexec_b32 s8, s7
	s_cbranch_execz .LBB272_65
; %bb.58:                               ;   in Loop: Header=BB272_9 Depth=1
	v_cmp_ne_u16_sdwa s7, v12, v52 src0_sel:BYTE_0 src1_sel:DWORD
	v_mov_b32_e32 v0, 0x8000
	buffer_store_dword v0, off, s[0:3], s32 offset:212 ; 4-byte Folded Spill
	s_and_saveexec_b32 s20, s7
	s_cbranch_execz .LBB272_64
; %bb.59:                               ;   in Loop: Header=BB272_9 Depth=1
	v_bfe_u32 v2, v8, 16, 7
	v_mov_b32_e32 v0, 0x7c01
	s_mov_b32 s21, exec_lo
	buffer_store_dword v0, off, s[0:3], s32 offset:212 ; 4-byte Folded Spill
	v_cmpx_ne_u32_e32 0x7f, v2
	s_cbranch_execz .LBB272_63
; %bb.60:                               ;   in Loop: Header=BB272_9 Depth=1
	v_and_b32_e32 v0, 7, v12
	v_lshrrev_b32_e32 v1, 3, v2
	s_mov_b32 s22, exec_lo
	v_cmpx_gt_u32_e32 8, v2
; %bb.61:                               ;   in Loop: Header=BB272_9 Depth=1
	v_ffbh_u32_e32 v0, v0
	v_min_u32_e32 v2, 32, v0
	v_subrev_nc_u32_e32 v0, 28, v2
	v_lshlrev_b64 v[0:1], v0, v[12:13]
	v_sub_nc_u32_e32 v1, 29, v2
	v_and_b32_e32 v0, 7, v0
; %bb.62:                               ;   in Loop: Header=BB272_9 Depth=1
	s_or_b32 exec_lo, exec_lo, s22
	v_lshlrev_b32_e32 v2, 8, v12
	v_lshl_add_u32 v1, v1, 10, 0x2000
	v_lshlrev_b32_e32 v0, 7, v0
	v_and_b32_e32 v2, 0x8000, v2
	v_and_b32_e32 v1, 0xfc00, v1
	v_or3_b32 v0, v2, v1, v0
	buffer_store_dword v0, off, s[0:3], s32 offset:212 ; 4-byte Folded Spill
.LBB272_63:                             ;   in Loop: Header=BB272_9 Depth=1
	s_or_b32 exec_lo, exec_lo, s21
.LBB272_64:                             ;   in Loop: Header=BB272_9 Depth=1
	s_or_b32 exec_lo, exec_lo, s20
.LBB272_65:                             ;   in Loop: Header=BB272_9 Depth=1
	s_or_b32 exec_lo, exec_lo, s8
	s_mov_b32 s8, exec_lo
	v_cmpx_lt_u32_e32 0xffffff, v8
	s_cbranch_execz .LBB272_73
; %bb.66:                               ;   in Loop: Header=BB272_9 Depth=1
	v_lshrrev_b32_e32 v12, 24, v8
	v_bfrev_b32_e32 v80, 1
	s_mov_b32 s20, exec_lo
	v_cmpx_ne_u32_e32 0x80, v12
	s_cbranch_execz .LBB272_72
; %bb.67:                               ;   in Loop: Header=BB272_9 Depth=1
	v_and_b32_e32 v2, 0x7f, v12
	v_mov_b32_e32 v80, 0x7c010000
	s_mov_b32 s21, exec_lo
	v_cmpx_ne_u32_e32 0x7f, v2
	s_cbranch_execz .LBB272_71
; %bb.68:                               ;   in Loop: Header=BB272_9 Depth=1
	v_and_b32_e32 v0, 7, v12
	v_lshrrev_b32_e32 v1, 3, v2
	s_mov_b32 s22, exec_lo
	v_cmpx_gt_u32_e32 8, v2
; %bb.69:                               ;   in Loop: Header=BB272_9 Depth=1
	v_ffbh_u32_e32 v0, v0
	v_min_u32_e32 v2, 32, v0
	v_subrev_nc_u32_e32 v0, 28, v2
	v_lshlrev_b64 v[0:1], v0, v[12:13]
	v_sub_nc_u32_e32 v1, 29, v2
	v_and_b32_e32 v0, 7, v0
; %bb.70:                               ;   in Loop: Header=BB272_9 Depth=1
	s_or_b32 exec_lo, exec_lo, s22
	v_lshlrev_b32_e32 v2, 8, v12
	v_lshl_add_u32 v1, v1, 10, 0x2000
	v_lshlrev_b32_e32 v0, 23, v0
	v_and_or_b32 v1, 0x8000, v2, v1
	v_lshl_or_b32 v80, v1, 16, v0
.LBB272_71:                             ;   in Loop: Header=BB272_9 Depth=1
	s_or_b32 exec_lo, exec_lo, s21
.LBB272_72:                             ;   in Loop: Header=BB272_9 Depth=1
	s_or_b32 exec_lo, exec_lo, s20
.LBB272_73:                             ;   in Loop: Header=BB272_9 Depth=1
	s_or_b32 exec_lo, exec_lo, s8
	flat_load_dword v8, v[24:25] offset:256
	v_mov_b32_e32 v82, 0
	v_mov_b32_e32 v0, 0
	buffer_store_dword v0, off, s[0:3], s32 offset:216 ; 4-byte Folded Spill
	s_waitcnt vmcnt(0) lgkmcnt(0)
	v_cmp_ne_u16_sdwa s7, v8, v13 src0_sel:BYTE_0 src1_sel:DWORD
	s_and_saveexec_b32 s8, s7
	s_cbranch_execz .LBB272_81
; %bb.74:                               ;   in Loop: Header=BB272_9 Depth=1
	v_cmp_ne_u16_sdwa s7, v8, v52 src0_sel:BYTE_0 src1_sel:DWORD
	v_mov_b32_e32 v0, 0x8000
	buffer_store_dword v0, off, s[0:3], s32 offset:216 ; 4-byte Folded Spill
	s_and_saveexec_b32 s20, s7
	s_cbranch_execz .LBB272_80
; %bb.75:                               ;   in Loop: Header=BB272_9 Depth=1
	v_and_b32_e32 v2, 0x7f, v8
	v_mov_b32_e32 v0, 0x7c01
	s_mov_b32 s21, exec_lo
	buffer_store_dword v0, off, s[0:3], s32 offset:216 ; 4-byte Folded Spill
	v_cmpx_ne_u32_e32 0x7f, v2
	s_cbranch_execz .LBB272_79
; %bb.76:                               ;   in Loop: Header=BB272_9 Depth=1
	v_and_b32_e32 v0, 7, v8
	v_lshrrev_b32_e32 v1, 3, v2
	s_mov_b32 s22, exec_lo
	v_cmpx_gt_u32_e32 8, v2
; %bb.77:                               ;   in Loop: Header=BB272_9 Depth=1
	v_ffbh_u32_e32 v0, v0
	v_min_u32_e32 v2, 32, v0
	v_subrev_nc_u32_e32 v0, 28, v2
	v_lshlrev_b64 v[0:1], v0, v[8:9]
	v_sub_nc_u32_e32 v1, 29, v2
	v_and_b32_e32 v0, 7, v0
; %bb.78:                               ;   in Loop: Header=BB272_9 Depth=1
	s_or_b32 exec_lo, exec_lo, s22
	v_lshlrev_b32_e32 v2, 8, v8
	v_lshl_add_u32 v1, v1, 10, 0x2000
	v_lshlrev_b32_e32 v0, 7, v0
	v_and_b32_e32 v2, 0x8000, v2
	v_and_b32_e32 v1, 0xfc00, v1
	v_or3_b32 v0, v2, v1, v0
	buffer_store_dword v0, off, s[0:3], s32 offset:216 ; 4-byte Folded Spill
.LBB272_79:                             ;   in Loop: Header=BB272_9 Depth=1
	s_or_b32 exec_lo, exec_lo, s21
.LBB272_80:                             ;   in Loop: Header=BB272_9 Depth=1
	s_or_b32 exec_lo, exec_lo, s20
.LBB272_81:                             ;   in Loop: Header=BB272_9 Depth=1
	s_or_b32 exec_lo, exec_lo, s8
	v_lshrrev_b16 v12, 8, v8
	s_mov_b32 s8, exec_lo
	v_cmpx_ne_u16_e32 0, v12
	s_cbranch_execz .LBB272_89
; %bb.82:                               ;   in Loop: Header=BB272_9 Depth=1
	v_bfrev_b32_e32 v82, 1
	s_mov_b32 s20, exec_lo
	v_cmpx_ne_u16_e32 0x80, v12
	s_cbranch_execz .LBB272_88
; %bb.83:                               ;   in Loop: Header=BB272_9 Depth=1
	v_mov_b32_e32 v0, 0x7f
	v_mov_b32_e32 v82, 0x7c010000
	s_mov_b32 s21, exec_lo
	v_and_b32_sdwa v2, v12, v0 dst_sel:DWORD dst_unused:UNUSED_PAD src0_sel:WORD_0 src1_sel:DWORD
	v_cmpx_ne_u32_e32 0x7f, v2
	s_cbranch_execz .LBB272_87
; %bb.84:                               ;   in Loop: Header=BB272_9 Depth=1
	v_mov_b32_e32 v0, 7
	v_lshrrev_b32_e32 v1, 3, v2
	s_mov_b32 s22, exec_lo
	v_and_b32_sdwa v0, v12, v0 dst_sel:DWORD dst_unused:UNUSED_PAD src0_sel:WORD_0 src1_sel:DWORD
	v_cmpx_gt_u32_e32 8, v2
; %bb.85:                               ;   in Loop: Header=BB272_9 Depth=1
	v_ffbh_u32_e32 v0, v0
	v_min_u32_e32 v2, 32, v0
	v_subrev_nc_u32_e32 v0, 28, v2
	v_lshlrev_b64 v[0:1], v0, v[12:13]
	v_sub_nc_u32_e32 v1, 29, v2
	v_and_b32_e32 v0, 7, v0
; %bb.86:                               ;   in Loop: Header=BB272_9 Depth=1
	s_or_b32 exec_lo, exec_lo, s22
	v_mov_b32_e32 v2, 8
	v_lshl_add_u32 v1, v1, 10, 0x2000
	v_lshlrev_b32_e32 v0, 23, v0
	v_lshlrev_b32_sdwa v2, v2, v12 dst_sel:DWORD dst_unused:UNUSED_PAD src0_sel:DWORD src1_sel:WORD_0
	v_and_or_b32 v1, 0x8000, v2, v1
	v_lshl_or_b32 v82, v1, 16, v0
.LBB272_87:                             ;   in Loop: Header=BB272_9 Depth=1
	s_or_b32 exec_lo, exec_lo, s21
.LBB272_88:                             ;   in Loop: Header=BB272_9 Depth=1
	s_or_b32 exec_lo, exec_lo, s20
.LBB272_89:                             ;   in Loop: Header=BB272_9 Depth=1
	s_or_b32 exec_lo, exec_lo, s8
	v_lshrrev_b32_e32 v12, 16, v8
	v_mov_b32_e32 v84, 0
	v_mov_b32_e32 v0, 0
	v_cmp_ne_u16_sdwa s7, v12, v13 src0_sel:BYTE_0 src1_sel:DWORD
	buffer_store_dword v0, off, s[0:3], s32 offset:220 ; 4-byte Folded Spill
	s_and_saveexec_b32 s8, s7
	s_cbranch_execz .LBB272_97
; %bb.90:                               ;   in Loop: Header=BB272_9 Depth=1
	v_cmp_ne_u16_sdwa s7, v12, v52 src0_sel:BYTE_0 src1_sel:DWORD
	v_mov_b32_e32 v0, 0x8000
	buffer_store_dword v0, off, s[0:3], s32 offset:220 ; 4-byte Folded Spill
	s_and_saveexec_b32 s20, s7
	s_cbranch_execz .LBB272_96
; %bb.91:                               ;   in Loop: Header=BB272_9 Depth=1
	v_bfe_u32 v2, v8, 16, 7
	v_mov_b32_e32 v0, 0x7c01
	s_mov_b32 s21, exec_lo
	buffer_store_dword v0, off, s[0:3], s32 offset:220 ; 4-byte Folded Spill
	v_cmpx_ne_u32_e32 0x7f, v2
	s_cbranch_execz .LBB272_95
; %bb.92:                               ;   in Loop: Header=BB272_9 Depth=1
	v_and_b32_e32 v0, 7, v12
	v_lshrrev_b32_e32 v1, 3, v2
	s_mov_b32 s22, exec_lo
	v_cmpx_gt_u32_e32 8, v2
; %bb.93:                               ;   in Loop: Header=BB272_9 Depth=1
	v_ffbh_u32_e32 v0, v0
	v_min_u32_e32 v2, 32, v0
	v_subrev_nc_u32_e32 v0, 28, v2
	v_lshlrev_b64 v[0:1], v0, v[12:13]
	v_sub_nc_u32_e32 v1, 29, v2
	v_and_b32_e32 v0, 7, v0
; %bb.94:                               ;   in Loop: Header=BB272_9 Depth=1
	s_or_b32 exec_lo, exec_lo, s22
	v_lshlrev_b32_e32 v2, 8, v12
	v_lshl_add_u32 v1, v1, 10, 0x2000
	v_lshlrev_b32_e32 v0, 7, v0
	v_and_b32_e32 v2, 0x8000, v2
	v_and_b32_e32 v1, 0xfc00, v1
	v_or3_b32 v0, v2, v1, v0
	buffer_store_dword v0, off, s[0:3], s32 offset:220 ; 4-byte Folded Spill
.LBB272_95:                             ;   in Loop: Header=BB272_9 Depth=1
	s_or_b32 exec_lo, exec_lo, s21
.LBB272_96:                             ;   in Loop: Header=BB272_9 Depth=1
	s_or_b32 exec_lo, exec_lo, s20
.LBB272_97:                             ;   in Loop: Header=BB272_9 Depth=1
	s_or_b32 exec_lo, exec_lo, s8
	s_mov_b32 s8, exec_lo
	v_cmpx_lt_u32_e32 0xffffff, v8
	s_cbranch_execz .LBB272_105
; %bb.98:                               ;   in Loop: Header=BB272_9 Depth=1
	v_lshrrev_b32_e32 v12, 24, v8
	v_bfrev_b32_e32 v84, 1
	s_mov_b32 s20, exec_lo
	v_cmpx_ne_u32_e32 0x80, v12
	s_cbranch_execz .LBB272_104
; %bb.99:                               ;   in Loop: Header=BB272_9 Depth=1
	v_and_b32_e32 v2, 0x7f, v12
	v_mov_b32_e32 v84, 0x7c010000
	s_mov_b32 s21, exec_lo
	v_cmpx_ne_u32_e32 0x7f, v2
	s_cbranch_execz .LBB272_103
; %bb.100:                              ;   in Loop: Header=BB272_9 Depth=1
	v_and_b32_e32 v0, 7, v12
	v_lshrrev_b32_e32 v1, 3, v2
	s_mov_b32 s22, exec_lo
	v_cmpx_gt_u32_e32 8, v2
; %bb.101:                              ;   in Loop: Header=BB272_9 Depth=1
	v_ffbh_u32_e32 v0, v0
	v_min_u32_e32 v2, 32, v0
	v_subrev_nc_u32_e32 v0, 28, v2
	v_lshlrev_b64 v[0:1], v0, v[12:13]
	v_sub_nc_u32_e32 v1, 29, v2
	v_and_b32_e32 v0, 7, v0
; %bb.102:                              ;   in Loop: Header=BB272_9 Depth=1
	s_or_b32 exec_lo, exec_lo, s22
	v_lshlrev_b32_e32 v2, 8, v12
	v_lshl_add_u32 v1, v1, 10, 0x2000
	v_lshlrev_b32_e32 v0, 23, v0
	v_and_or_b32 v1, 0x8000, v2, v1
	v_lshl_or_b32 v84, v1, 16, v0
.LBB272_103:                            ;   in Loop: Header=BB272_9 Depth=1
	s_or_b32 exec_lo, exec_lo, s21
.LBB272_104:                            ;   in Loop: Header=BB272_9 Depth=1
	s_or_b32 exec_lo, exec_lo, s20
.LBB272_105:                            ;   in Loop: Header=BB272_9 Depth=1
	s_or_b32 exec_lo, exec_lo, s8
	flat_load_dword v8, v[24:25] offset:264
	v_mov_b32_e32 v86, 0
	v_mov_b32_e32 v0, 0
	buffer_store_dword v0, off, s[0:3], s32 offset:224 ; 4-byte Folded Spill
	s_waitcnt vmcnt(0) lgkmcnt(0)
	v_cmp_ne_u16_sdwa s7, v8, v13 src0_sel:BYTE_0 src1_sel:DWORD
	s_and_saveexec_b32 s8, s7
	s_cbranch_execz .LBB272_113
; %bb.106:                              ;   in Loop: Header=BB272_9 Depth=1
	v_cmp_ne_u16_sdwa s7, v8, v52 src0_sel:BYTE_0 src1_sel:DWORD
	v_mov_b32_e32 v0, 0x8000
	buffer_store_dword v0, off, s[0:3], s32 offset:224 ; 4-byte Folded Spill
	s_and_saveexec_b32 s20, s7
	s_cbranch_execz .LBB272_112
; %bb.107:                              ;   in Loop: Header=BB272_9 Depth=1
	v_and_b32_e32 v2, 0x7f, v8
	v_mov_b32_e32 v0, 0x7c01
	s_mov_b32 s21, exec_lo
	buffer_store_dword v0, off, s[0:3], s32 offset:224 ; 4-byte Folded Spill
	v_cmpx_ne_u32_e32 0x7f, v2
	s_cbranch_execz .LBB272_111
; %bb.108:                              ;   in Loop: Header=BB272_9 Depth=1
	v_and_b32_e32 v0, 7, v8
	v_lshrrev_b32_e32 v1, 3, v2
	s_mov_b32 s22, exec_lo
	v_cmpx_gt_u32_e32 8, v2
; %bb.109:                              ;   in Loop: Header=BB272_9 Depth=1
	v_ffbh_u32_e32 v0, v0
	v_min_u32_e32 v2, 32, v0
	v_subrev_nc_u32_e32 v0, 28, v2
	v_lshlrev_b64 v[0:1], v0, v[8:9]
	v_sub_nc_u32_e32 v1, 29, v2
	v_and_b32_e32 v0, 7, v0
; %bb.110:                              ;   in Loop: Header=BB272_9 Depth=1
	s_or_b32 exec_lo, exec_lo, s22
	v_lshlrev_b32_e32 v2, 8, v8
	v_lshl_add_u32 v1, v1, 10, 0x2000
	v_lshlrev_b32_e32 v0, 7, v0
	v_and_b32_e32 v2, 0x8000, v2
	v_and_b32_e32 v1, 0xfc00, v1
	v_or3_b32 v0, v2, v1, v0
	buffer_store_dword v0, off, s[0:3], s32 offset:224 ; 4-byte Folded Spill
.LBB272_111:                            ;   in Loop: Header=BB272_9 Depth=1
	s_or_b32 exec_lo, exec_lo, s21
.LBB272_112:                            ;   in Loop: Header=BB272_9 Depth=1
	s_or_b32 exec_lo, exec_lo, s20
.LBB272_113:                            ;   in Loop: Header=BB272_9 Depth=1
	s_or_b32 exec_lo, exec_lo, s8
	v_lshrrev_b16 v12, 8, v8
	s_mov_b32 s8, exec_lo
	v_cmpx_ne_u16_e32 0, v12
	s_cbranch_execz .LBB272_121
; %bb.114:                              ;   in Loop: Header=BB272_9 Depth=1
	v_bfrev_b32_e32 v86, 1
	s_mov_b32 s20, exec_lo
	v_cmpx_ne_u16_e32 0x80, v12
	s_cbranch_execz .LBB272_120
; %bb.115:                              ;   in Loop: Header=BB272_9 Depth=1
	v_mov_b32_e32 v0, 0x7f
	v_mov_b32_e32 v86, 0x7c010000
	s_mov_b32 s21, exec_lo
	v_and_b32_sdwa v2, v12, v0 dst_sel:DWORD dst_unused:UNUSED_PAD src0_sel:WORD_0 src1_sel:DWORD
	v_cmpx_ne_u32_e32 0x7f, v2
	s_cbranch_execz .LBB272_119
; %bb.116:                              ;   in Loop: Header=BB272_9 Depth=1
	v_mov_b32_e32 v0, 7
	v_lshrrev_b32_e32 v1, 3, v2
	s_mov_b32 s22, exec_lo
	v_and_b32_sdwa v0, v12, v0 dst_sel:DWORD dst_unused:UNUSED_PAD src0_sel:WORD_0 src1_sel:DWORD
	v_cmpx_gt_u32_e32 8, v2
; %bb.117:                              ;   in Loop: Header=BB272_9 Depth=1
	v_ffbh_u32_e32 v0, v0
	v_min_u32_e32 v2, 32, v0
	v_subrev_nc_u32_e32 v0, 28, v2
	v_lshlrev_b64 v[0:1], v0, v[12:13]
	v_sub_nc_u32_e32 v1, 29, v2
	v_and_b32_e32 v0, 7, v0
; %bb.118:                              ;   in Loop: Header=BB272_9 Depth=1
	s_or_b32 exec_lo, exec_lo, s22
	v_mov_b32_e32 v2, 8
	v_lshl_add_u32 v1, v1, 10, 0x2000
	v_lshlrev_b32_e32 v0, 23, v0
	v_lshlrev_b32_sdwa v2, v2, v12 dst_sel:DWORD dst_unused:UNUSED_PAD src0_sel:DWORD src1_sel:WORD_0
	v_and_or_b32 v1, 0x8000, v2, v1
	v_lshl_or_b32 v86, v1, 16, v0
.LBB272_119:                            ;   in Loop: Header=BB272_9 Depth=1
	s_or_b32 exec_lo, exec_lo, s21
.LBB272_120:                            ;   in Loop: Header=BB272_9 Depth=1
	s_or_b32 exec_lo, exec_lo, s20
.LBB272_121:                            ;   in Loop: Header=BB272_9 Depth=1
	s_or_b32 exec_lo, exec_lo, s8
	v_lshrrev_b32_e32 v12, 16, v8
	v_mov_b32_e32 v96, 0
	v_mov_b32_e32 v0, 0
	v_cmp_ne_u16_sdwa s7, v12, v13 src0_sel:BYTE_0 src1_sel:DWORD
	buffer_store_dword v0, off, s[0:3], s32 offset:228 ; 4-byte Folded Spill
	s_and_saveexec_b32 s8, s7
	s_cbranch_execz .LBB272_129
; %bb.122:                              ;   in Loop: Header=BB272_9 Depth=1
	v_cmp_ne_u16_sdwa s7, v12, v52 src0_sel:BYTE_0 src1_sel:DWORD
	v_mov_b32_e32 v0, 0x8000
	buffer_store_dword v0, off, s[0:3], s32 offset:228 ; 4-byte Folded Spill
	s_and_saveexec_b32 s20, s7
	s_cbranch_execz .LBB272_128
; %bb.123:                              ;   in Loop: Header=BB272_9 Depth=1
	v_bfe_u32 v2, v8, 16, 7
	v_mov_b32_e32 v0, 0x7c01
	s_mov_b32 s21, exec_lo
	buffer_store_dword v0, off, s[0:3], s32 offset:228 ; 4-byte Folded Spill
	v_cmpx_ne_u32_e32 0x7f, v2
	s_cbranch_execz .LBB272_127
; %bb.124:                              ;   in Loop: Header=BB272_9 Depth=1
	v_and_b32_e32 v0, 7, v12
	v_lshrrev_b32_e32 v1, 3, v2
	s_mov_b32 s22, exec_lo
	v_cmpx_gt_u32_e32 8, v2
; %bb.125:                              ;   in Loop: Header=BB272_9 Depth=1
	v_ffbh_u32_e32 v0, v0
	v_min_u32_e32 v2, 32, v0
	v_subrev_nc_u32_e32 v0, 28, v2
	v_lshlrev_b64 v[0:1], v0, v[12:13]
	v_sub_nc_u32_e32 v1, 29, v2
	v_and_b32_e32 v0, 7, v0
; %bb.126:                              ;   in Loop: Header=BB272_9 Depth=1
	s_or_b32 exec_lo, exec_lo, s22
	v_lshlrev_b32_e32 v2, 8, v12
	v_lshl_add_u32 v1, v1, 10, 0x2000
	v_lshlrev_b32_e32 v0, 7, v0
	v_and_b32_e32 v2, 0x8000, v2
	v_and_b32_e32 v1, 0xfc00, v1
	v_or3_b32 v0, v2, v1, v0
	buffer_store_dword v0, off, s[0:3], s32 offset:228 ; 4-byte Folded Spill
.LBB272_127:                            ;   in Loop: Header=BB272_9 Depth=1
	s_or_b32 exec_lo, exec_lo, s21
.LBB272_128:                            ;   in Loop: Header=BB272_9 Depth=1
	s_or_b32 exec_lo, exec_lo, s20
.LBB272_129:                            ;   in Loop: Header=BB272_9 Depth=1
	s_or_b32 exec_lo, exec_lo, s8
	s_mov_b32 s8, exec_lo
	v_cmpx_lt_u32_e32 0xffffff, v8
	s_cbranch_execz .LBB272_137
; %bb.130:                              ;   in Loop: Header=BB272_9 Depth=1
	v_lshrrev_b32_e32 v12, 24, v8
	v_bfrev_b32_e32 v96, 1
	s_mov_b32 s20, exec_lo
	v_cmpx_ne_u32_e32 0x80, v12
	s_cbranch_execz .LBB272_136
; %bb.131:                              ;   in Loop: Header=BB272_9 Depth=1
	v_and_b32_e32 v2, 0x7f, v12
	v_mov_b32_e32 v96, 0x7c010000
	s_mov_b32 s21, exec_lo
	v_cmpx_ne_u32_e32 0x7f, v2
	s_cbranch_execz .LBB272_135
; %bb.132:                              ;   in Loop: Header=BB272_9 Depth=1
	v_and_b32_e32 v0, 7, v12
	v_lshrrev_b32_e32 v1, 3, v2
	s_mov_b32 s22, exec_lo
	v_cmpx_gt_u32_e32 8, v2
; %bb.133:                              ;   in Loop: Header=BB272_9 Depth=1
	v_ffbh_u32_e32 v0, v0
	v_min_u32_e32 v2, 32, v0
	v_subrev_nc_u32_e32 v0, 28, v2
	v_lshlrev_b64 v[0:1], v0, v[12:13]
	v_sub_nc_u32_e32 v1, 29, v2
	v_and_b32_e32 v0, 7, v0
; %bb.134:                              ;   in Loop: Header=BB272_9 Depth=1
	s_or_b32 exec_lo, exec_lo, s22
	v_lshlrev_b32_e32 v2, 8, v12
	v_lshl_add_u32 v1, v1, 10, 0x2000
	v_lshlrev_b32_e32 v0, 23, v0
	v_and_or_b32 v1, 0x8000, v2, v1
	v_lshl_or_b32 v96, v1, 16, v0
.LBB272_135:                            ;   in Loop: Header=BB272_9 Depth=1
	s_or_b32 exec_lo, exec_lo, s21
.LBB272_136:                            ;   in Loop: Header=BB272_9 Depth=1
	s_or_b32 exec_lo, exec_lo, s20
.LBB272_137:                            ;   in Loop: Header=BB272_9 Depth=1
	s_or_b32 exec_lo, exec_lo, s8
	flat_load_dword v8, v[24:25] offset:512
	v_mov_b32_e32 v98, 0
	v_mov_b32_e32 v0, 0
	buffer_store_dword v0, off, s[0:3], s32 offset:232 ; 4-byte Folded Spill
	s_waitcnt vmcnt(0) lgkmcnt(0)
	v_cmp_ne_u16_sdwa s7, v8, v13 src0_sel:BYTE_0 src1_sel:DWORD
	s_and_saveexec_b32 s8, s7
	s_cbranch_execz .LBB272_145
; %bb.138:                              ;   in Loop: Header=BB272_9 Depth=1
	v_cmp_ne_u16_sdwa s7, v8, v52 src0_sel:BYTE_0 src1_sel:DWORD
	v_mov_b32_e32 v0, 0x8000
	buffer_store_dword v0, off, s[0:3], s32 offset:232 ; 4-byte Folded Spill
	s_and_saveexec_b32 s20, s7
	s_cbranch_execz .LBB272_144
; %bb.139:                              ;   in Loop: Header=BB272_9 Depth=1
	v_and_b32_e32 v2, 0x7f, v8
	v_mov_b32_e32 v0, 0x7c01
	s_mov_b32 s21, exec_lo
	buffer_store_dword v0, off, s[0:3], s32 offset:232 ; 4-byte Folded Spill
	v_cmpx_ne_u32_e32 0x7f, v2
	s_cbranch_execz .LBB272_143
; %bb.140:                              ;   in Loop: Header=BB272_9 Depth=1
	v_and_b32_e32 v0, 7, v8
	v_lshrrev_b32_e32 v1, 3, v2
	s_mov_b32 s22, exec_lo
	v_cmpx_gt_u32_e32 8, v2
; %bb.141:                              ;   in Loop: Header=BB272_9 Depth=1
	v_ffbh_u32_e32 v0, v0
	v_min_u32_e32 v2, 32, v0
	v_subrev_nc_u32_e32 v0, 28, v2
	v_lshlrev_b64 v[0:1], v0, v[8:9]
	v_sub_nc_u32_e32 v1, 29, v2
	v_and_b32_e32 v0, 7, v0
; %bb.142:                              ;   in Loop: Header=BB272_9 Depth=1
	s_or_b32 exec_lo, exec_lo, s22
	v_lshlrev_b32_e32 v2, 8, v8
	v_lshl_add_u32 v1, v1, 10, 0x2000
	v_lshlrev_b32_e32 v0, 7, v0
	v_and_b32_e32 v2, 0x8000, v2
	v_and_b32_e32 v1, 0xfc00, v1
	v_or3_b32 v0, v2, v1, v0
	buffer_store_dword v0, off, s[0:3], s32 offset:232 ; 4-byte Folded Spill
.LBB272_143:                            ;   in Loop: Header=BB272_9 Depth=1
	s_or_b32 exec_lo, exec_lo, s21
.LBB272_144:                            ;   in Loop: Header=BB272_9 Depth=1
	s_or_b32 exec_lo, exec_lo, s20
.LBB272_145:                            ;   in Loop: Header=BB272_9 Depth=1
	s_or_b32 exec_lo, exec_lo, s8
	v_lshrrev_b16 v12, 8, v8
	s_mov_b32 s8, exec_lo
	v_cmpx_ne_u16_e32 0, v12
	s_cbranch_execz .LBB272_153
; %bb.146:                              ;   in Loop: Header=BB272_9 Depth=1
	v_bfrev_b32_e32 v98, 1
	s_mov_b32 s20, exec_lo
	v_cmpx_ne_u16_e32 0x80, v12
	s_cbranch_execz .LBB272_152
; %bb.147:                              ;   in Loop: Header=BB272_9 Depth=1
	v_mov_b32_e32 v0, 0x7f
	v_mov_b32_e32 v98, 0x7c010000
	s_mov_b32 s21, exec_lo
	v_and_b32_sdwa v2, v12, v0 dst_sel:DWORD dst_unused:UNUSED_PAD src0_sel:WORD_0 src1_sel:DWORD
	v_cmpx_ne_u32_e32 0x7f, v2
	s_cbranch_execz .LBB272_151
; %bb.148:                              ;   in Loop: Header=BB272_9 Depth=1
	v_mov_b32_e32 v0, 7
	v_lshrrev_b32_e32 v1, 3, v2
	s_mov_b32 s22, exec_lo
	v_and_b32_sdwa v0, v12, v0 dst_sel:DWORD dst_unused:UNUSED_PAD src0_sel:WORD_0 src1_sel:DWORD
	v_cmpx_gt_u32_e32 8, v2
; %bb.149:                              ;   in Loop: Header=BB272_9 Depth=1
	v_ffbh_u32_e32 v0, v0
	v_min_u32_e32 v2, 32, v0
	v_subrev_nc_u32_e32 v0, 28, v2
	v_lshlrev_b64 v[0:1], v0, v[12:13]
	v_sub_nc_u32_e32 v1, 29, v2
	v_and_b32_e32 v0, 7, v0
; %bb.150:                              ;   in Loop: Header=BB272_9 Depth=1
	s_or_b32 exec_lo, exec_lo, s22
	v_mov_b32_e32 v2, 8
	v_lshl_add_u32 v1, v1, 10, 0x2000
	v_lshlrev_b32_e32 v0, 23, v0
	v_lshlrev_b32_sdwa v2, v2, v12 dst_sel:DWORD dst_unused:UNUSED_PAD src0_sel:DWORD src1_sel:WORD_0
	v_and_or_b32 v1, 0x8000, v2, v1
	v_lshl_or_b32 v98, v1, 16, v0
.LBB272_151:                            ;   in Loop: Header=BB272_9 Depth=1
	s_or_b32 exec_lo, exec_lo, s21
.LBB272_152:                            ;   in Loop: Header=BB272_9 Depth=1
	s_or_b32 exec_lo, exec_lo, s20
.LBB272_153:                            ;   in Loop: Header=BB272_9 Depth=1
	s_or_b32 exec_lo, exec_lo, s8
	v_lshrrev_b32_e32 v12, 16, v8
	v_mov_b32_e32 v100, 0
	v_mov_b32_e32 v0, 0
	v_cmp_ne_u16_sdwa s7, v12, v13 src0_sel:BYTE_0 src1_sel:DWORD
	buffer_store_dword v0, off, s[0:3], s32 offset:236 ; 4-byte Folded Spill
	s_and_saveexec_b32 s8, s7
	s_cbranch_execz .LBB272_161
; %bb.154:                              ;   in Loop: Header=BB272_9 Depth=1
	v_cmp_ne_u16_sdwa s7, v12, v52 src0_sel:BYTE_0 src1_sel:DWORD
	v_mov_b32_e32 v0, 0x8000
	buffer_store_dword v0, off, s[0:3], s32 offset:236 ; 4-byte Folded Spill
	s_and_saveexec_b32 s20, s7
	s_cbranch_execz .LBB272_160
; %bb.155:                              ;   in Loop: Header=BB272_9 Depth=1
	v_bfe_u32 v2, v8, 16, 7
	v_mov_b32_e32 v0, 0x7c01
	s_mov_b32 s21, exec_lo
	buffer_store_dword v0, off, s[0:3], s32 offset:236 ; 4-byte Folded Spill
	v_cmpx_ne_u32_e32 0x7f, v2
	s_cbranch_execz .LBB272_159
; %bb.156:                              ;   in Loop: Header=BB272_9 Depth=1
	v_and_b32_e32 v0, 7, v12
	v_lshrrev_b32_e32 v1, 3, v2
	s_mov_b32 s22, exec_lo
	v_cmpx_gt_u32_e32 8, v2
; %bb.157:                              ;   in Loop: Header=BB272_9 Depth=1
	v_ffbh_u32_e32 v0, v0
	v_min_u32_e32 v2, 32, v0
	v_subrev_nc_u32_e32 v0, 28, v2
	v_lshlrev_b64 v[0:1], v0, v[12:13]
	v_sub_nc_u32_e32 v1, 29, v2
	v_and_b32_e32 v0, 7, v0
; %bb.158:                              ;   in Loop: Header=BB272_9 Depth=1
	s_or_b32 exec_lo, exec_lo, s22
	v_lshlrev_b32_e32 v2, 8, v12
	v_lshl_add_u32 v1, v1, 10, 0x2000
	v_lshlrev_b32_e32 v0, 7, v0
	v_and_b32_e32 v2, 0x8000, v2
	v_and_b32_e32 v1, 0xfc00, v1
	v_or3_b32 v0, v2, v1, v0
	buffer_store_dword v0, off, s[0:3], s32 offset:236 ; 4-byte Folded Spill
.LBB272_159:                            ;   in Loop: Header=BB272_9 Depth=1
	s_or_b32 exec_lo, exec_lo, s21
.LBB272_160:                            ;   in Loop: Header=BB272_9 Depth=1
	s_or_b32 exec_lo, exec_lo, s20
.LBB272_161:                            ;   in Loop: Header=BB272_9 Depth=1
	s_or_b32 exec_lo, exec_lo, s8
	s_mov_b32 s8, exec_lo
	v_cmpx_lt_u32_e32 0xffffff, v8
	s_cbranch_execz .LBB272_169
; %bb.162:                              ;   in Loop: Header=BB272_9 Depth=1
	v_lshrrev_b32_e32 v12, 24, v8
	v_bfrev_b32_e32 v100, 1
	s_mov_b32 s20, exec_lo
	v_cmpx_ne_u32_e32 0x80, v12
	s_cbranch_execz .LBB272_168
; %bb.163:                              ;   in Loop: Header=BB272_9 Depth=1
	v_and_b32_e32 v2, 0x7f, v12
	v_mov_b32_e32 v100, 0x7c010000
	s_mov_b32 s21, exec_lo
	v_cmpx_ne_u32_e32 0x7f, v2
	s_cbranch_execz .LBB272_167
; %bb.164:                              ;   in Loop: Header=BB272_9 Depth=1
	v_and_b32_e32 v0, 7, v12
	v_lshrrev_b32_e32 v1, 3, v2
	s_mov_b32 s22, exec_lo
	v_cmpx_gt_u32_e32 8, v2
; %bb.165:                              ;   in Loop: Header=BB272_9 Depth=1
	v_ffbh_u32_e32 v0, v0
	v_min_u32_e32 v2, 32, v0
	v_subrev_nc_u32_e32 v0, 28, v2
	v_lshlrev_b64 v[0:1], v0, v[12:13]
	v_sub_nc_u32_e32 v1, 29, v2
	v_and_b32_e32 v0, 7, v0
; %bb.166:                              ;   in Loop: Header=BB272_9 Depth=1
	s_or_b32 exec_lo, exec_lo, s22
	v_lshlrev_b32_e32 v2, 8, v12
	v_lshl_add_u32 v1, v1, 10, 0x2000
	v_lshlrev_b32_e32 v0, 23, v0
	v_and_or_b32 v1, 0x8000, v2, v1
	v_lshl_or_b32 v100, v1, 16, v0
.LBB272_167:                            ;   in Loop: Header=BB272_9 Depth=1
	s_or_b32 exec_lo, exec_lo, s21
.LBB272_168:                            ;   in Loop: Header=BB272_9 Depth=1
	s_or_b32 exec_lo, exec_lo, s20
.LBB272_169:                            ;   in Loop: Header=BB272_9 Depth=1
	s_or_b32 exec_lo, exec_lo, s8
	flat_load_dword v8, v[24:25] offset:520
	v_mov_b32_e32 v102, 0
	v_mov_b32_e32 v0, 0
	buffer_store_dword v0, off, s[0:3], s32 offset:240 ; 4-byte Folded Spill
	s_waitcnt vmcnt(0) lgkmcnt(0)
	v_cmp_ne_u16_sdwa s7, v8, v13 src0_sel:BYTE_0 src1_sel:DWORD
	s_and_saveexec_b32 s8, s7
	s_cbranch_execz .LBB272_177
; %bb.170:                              ;   in Loop: Header=BB272_9 Depth=1
	v_cmp_ne_u16_sdwa s7, v8, v52 src0_sel:BYTE_0 src1_sel:DWORD
	v_mov_b32_e32 v0, 0x8000
	buffer_store_dword v0, off, s[0:3], s32 offset:240 ; 4-byte Folded Spill
	s_and_saveexec_b32 s20, s7
	s_cbranch_execz .LBB272_176
; %bb.171:                              ;   in Loop: Header=BB272_9 Depth=1
	v_and_b32_e32 v2, 0x7f, v8
	v_mov_b32_e32 v0, 0x7c01
	s_mov_b32 s21, exec_lo
	buffer_store_dword v0, off, s[0:3], s32 offset:240 ; 4-byte Folded Spill
	v_cmpx_ne_u32_e32 0x7f, v2
	s_cbranch_execz .LBB272_175
; %bb.172:                              ;   in Loop: Header=BB272_9 Depth=1
	v_and_b32_e32 v0, 7, v8
	v_lshrrev_b32_e32 v1, 3, v2
	s_mov_b32 s22, exec_lo
	v_cmpx_gt_u32_e32 8, v2
; %bb.173:                              ;   in Loop: Header=BB272_9 Depth=1
	v_ffbh_u32_e32 v0, v0
	v_min_u32_e32 v2, 32, v0
	v_subrev_nc_u32_e32 v0, 28, v2
	v_lshlrev_b64 v[0:1], v0, v[8:9]
	v_sub_nc_u32_e32 v1, 29, v2
	v_and_b32_e32 v0, 7, v0
; %bb.174:                              ;   in Loop: Header=BB272_9 Depth=1
	s_or_b32 exec_lo, exec_lo, s22
	v_lshlrev_b32_e32 v2, 8, v8
	v_lshl_add_u32 v1, v1, 10, 0x2000
	v_lshlrev_b32_e32 v0, 7, v0
	v_and_b32_e32 v2, 0x8000, v2
	v_and_b32_e32 v1, 0xfc00, v1
	v_or3_b32 v0, v2, v1, v0
	buffer_store_dword v0, off, s[0:3], s32 offset:240 ; 4-byte Folded Spill
.LBB272_175:                            ;   in Loop: Header=BB272_9 Depth=1
	s_or_b32 exec_lo, exec_lo, s21
.LBB272_176:                            ;   in Loop: Header=BB272_9 Depth=1
	s_or_b32 exec_lo, exec_lo, s20
.LBB272_177:                            ;   in Loop: Header=BB272_9 Depth=1
	s_or_b32 exec_lo, exec_lo, s8
	v_lshrrev_b16 v12, 8, v8
	s_mov_b32 s8, exec_lo
	v_cmpx_ne_u16_e32 0, v12
	s_cbranch_execz .LBB272_185
; %bb.178:                              ;   in Loop: Header=BB272_9 Depth=1
	v_bfrev_b32_e32 v102, 1
	s_mov_b32 s20, exec_lo
	v_cmpx_ne_u16_e32 0x80, v12
	s_cbranch_execz .LBB272_184
; %bb.179:                              ;   in Loop: Header=BB272_9 Depth=1
	v_mov_b32_e32 v0, 0x7f
	v_mov_b32_e32 v102, 0x7c010000
	s_mov_b32 s21, exec_lo
	v_and_b32_sdwa v2, v12, v0 dst_sel:DWORD dst_unused:UNUSED_PAD src0_sel:WORD_0 src1_sel:DWORD
	v_cmpx_ne_u32_e32 0x7f, v2
	s_cbranch_execz .LBB272_183
; %bb.180:                              ;   in Loop: Header=BB272_9 Depth=1
	v_mov_b32_e32 v0, 7
	v_lshrrev_b32_e32 v1, 3, v2
	s_mov_b32 s22, exec_lo
	v_and_b32_sdwa v0, v12, v0 dst_sel:DWORD dst_unused:UNUSED_PAD src0_sel:WORD_0 src1_sel:DWORD
	v_cmpx_gt_u32_e32 8, v2
; %bb.181:                              ;   in Loop: Header=BB272_9 Depth=1
	v_ffbh_u32_e32 v0, v0
	v_min_u32_e32 v2, 32, v0
	v_subrev_nc_u32_e32 v0, 28, v2
	v_lshlrev_b64 v[0:1], v0, v[12:13]
	v_sub_nc_u32_e32 v1, 29, v2
	v_and_b32_e32 v0, 7, v0
; %bb.182:                              ;   in Loop: Header=BB272_9 Depth=1
	s_or_b32 exec_lo, exec_lo, s22
	v_mov_b32_e32 v2, 8
	v_lshl_add_u32 v1, v1, 10, 0x2000
	v_lshlrev_b32_e32 v0, 23, v0
	v_lshlrev_b32_sdwa v2, v2, v12 dst_sel:DWORD dst_unused:UNUSED_PAD src0_sel:DWORD src1_sel:WORD_0
	v_and_or_b32 v1, 0x8000, v2, v1
	v_lshl_or_b32 v102, v1, 16, v0
.LBB272_183:                            ;   in Loop: Header=BB272_9 Depth=1
	s_or_b32 exec_lo, exec_lo, s21
.LBB272_184:                            ;   in Loop: Header=BB272_9 Depth=1
	s_or_b32 exec_lo, exec_lo, s20
.LBB272_185:                            ;   in Loop: Header=BB272_9 Depth=1
	s_or_b32 exec_lo, exec_lo, s8
	v_lshrrev_b32_e32 v12, 16, v8
	v_mov_b32_e32 v112, 0
	v_mov_b32_e32 v0, 0
	v_cmp_ne_u16_sdwa s7, v12, v13 src0_sel:BYTE_0 src1_sel:DWORD
	buffer_store_dword v0, off, s[0:3], s32 offset:244 ; 4-byte Folded Spill
	s_and_saveexec_b32 s8, s7
	s_cbranch_execz .LBB272_193
; %bb.186:                              ;   in Loop: Header=BB272_9 Depth=1
	v_cmp_ne_u16_sdwa s7, v12, v52 src0_sel:BYTE_0 src1_sel:DWORD
	v_mov_b32_e32 v0, 0x8000
	buffer_store_dword v0, off, s[0:3], s32 offset:244 ; 4-byte Folded Spill
	s_and_saveexec_b32 s20, s7
	s_cbranch_execz .LBB272_192
; %bb.187:                              ;   in Loop: Header=BB272_9 Depth=1
	v_bfe_u32 v2, v8, 16, 7
	v_mov_b32_e32 v0, 0x7c01
	s_mov_b32 s21, exec_lo
	buffer_store_dword v0, off, s[0:3], s32 offset:244 ; 4-byte Folded Spill
	v_cmpx_ne_u32_e32 0x7f, v2
	s_cbranch_execz .LBB272_191
; %bb.188:                              ;   in Loop: Header=BB272_9 Depth=1
	v_and_b32_e32 v0, 7, v12
	v_lshrrev_b32_e32 v1, 3, v2
	s_mov_b32 s22, exec_lo
	v_cmpx_gt_u32_e32 8, v2
; %bb.189:                              ;   in Loop: Header=BB272_9 Depth=1
	v_ffbh_u32_e32 v0, v0
	v_min_u32_e32 v2, 32, v0
	v_subrev_nc_u32_e32 v0, 28, v2
	v_lshlrev_b64 v[0:1], v0, v[12:13]
	v_sub_nc_u32_e32 v1, 29, v2
	v_and_b32_e32 v0, 7, v0
; %bb.190:                              ;   in Loop: Header=BB272_9 Depth=1
	s_or_b32 exec_lo, exec_lo, s22
	v_lshlrev_b32_e32 v2, 8, v12
	v_lshl_add_u32 v1, v1, 10, 0x2000
	v_lshlrev_b32_e32 v0, 7, v0
	v_and_b32_e32 v2, 0x8000, v2
	v_and_b32_e32 v1, 0xfc00, v1
	v_or3_b32 v0, v2, v1, v0
	buffer_store_dword v0, off, s[0:3], s32 offset:244 ; 4-byte Folded Spill
.LBB272_191:                            ;   in Loop: Header=BB272_9 Depth=1
	s_or_b32 exec_lo, exec_lo, s21
.LBB272_192:                            ;   in Loop: Header=BB272_9 Depth=1
	s_or_b32 exec_lo, exec_lo, s20
.LBB272_193:                            ;   in Loop: Header=BB272_9 Depth=1
	s_or_b32 exec_lo, exec_lo, s8
	s_mov_b32 s8, exec_lo
	v_cmpx_lt_u32_e32 0xffffff, v8
	s_cbranch_execz .LBB272_201
; %bb.194:                              ;   in Loop: Header=BB272_9 Depth=1
	v_lshrrev_b32_e32 v12, 24, v8
	v_bfrev_b32_e32 v112, 1
	s_mov_b32 s20, exec_lo
	v_cmpx_ne_u32_e32 0x80, v12
	s_cbranch_execz .LBB272_200
; %bb.195:                              ;   in Loop: Header=BB272_9 Depth=1
	v_and_b32_e32 v2, 0x7f, v12
	v_mov_b32_e32 v112, 0x7c010000
	s_mov_b32 s21, exec_lo
	v_cmpx_ne_u32_e32 0x7f, v2
	s_cbranch_execz .LBB272_199
; %bb.196:                              ;   in Loop: Header=BB272_9 Depth=1
	v_and_b32_e32 v0, 7, v12
	v_lshrrev_b32_e32 v1, 3, v2
	s_mov_b32 s22, exec_lo
	v_cmpx_gt_u32_e32 8, v2
; %bb.197:                              ;   in Loop: Header=BB272_9 Depth=1
	v_ffbh_u32_e32 v0, v0
	v_min_u32_e32 v2, 32, v0
	v_subrev_nc_u32_e32 v0, 28, v2
	v_lshlrev_b64 v[0:1], v0, v[12:13]
	v_sub_nc_u32_e32 v1, 29, v2
	v_and_b32_e32 v0, 7, v0
; %bb.198:                              ;   in Loop: Header=BB272_9 Depth=1
	s_or_b32 exec_lo, exec_lo, s22
	v_lshlrev_b32_e32 v2, 8, v12
	v_lshl_add_u32 v1, v1, 10, 0x2000
	v_lshlrev_b32_e32 v0, 23, v0
	v_and_or_b32 v1, 0x8000, v2, v1
	v_lshl_or_b32 v112, v1, 16, v0
.LBB272_199:                            ;   in Loop: Header=BB272_9 Depth=1
	s_or_b32 exec_lo, exec_lo, s21
.LBB272_200:                            ;   in Loop: Header=BB272_9 Depth=1
	s_or_b32 exec_lo, exec_lo, s20
.LBB272_201:                            ;   in Loop: Header=BB272_9 Depth=1
	s_or_b32 exec_lo, exec_lo, s8
	flat_load_dword v8, v[24:25] offset:768
	v_mov_b32_e32 v114, 0
	v_mov_b32_e32 v0, 0
	buffer_store_dword v0, off, s[0:3], s32 offset:248 ; 4-byte Folded Spill
	s_waitcnt vmcnt(0) lgkmcnt(0)
	v_cmp_ne_u16_sdwa s7, v8, v13 src0_sel:BYTE_0 src1_sel:DWORD
	s_and_saveexec_b32 s8, s7
	s_cbranch_execz .LBB272_209
; %bb.202:                              ;   in Loop: Header=BB272_9 Depth=1
	v_cmp_ne_u16_sdwa s7, v8, v52 src0_sel:BYTE_0 src1_sel:DWORD
	v_mov_b32_e32 v0, 0x8000
	buffer_store_dword v0, off, s[0:3], s32 offset:248 ; 4-byte Folded Spill
	s_and_saveexec_b32 s20, s7
	s_cbranch_execz .LBB272_208
; %bb.203:                              ;   in Loop: Header=BB272_9 Depth=1
	v_and_b32_e32 v2, 0x7f, v8
	v_mov_b32_e32 v0, 0x7c01
	s_mov_b32 s21, exec_lo
	buffer_store_dword v0, off, s[0:3], s32 offset:248 ; 4-byte Folded Spill
	v_cmpx_ne_u32_e32 0x7f, v2
	s_cbranch_execz .LBB272_207
; %bb.204:                              ;   in Loop: Header=BB272_9 Depth=1
	v_and_b32_e32 v0, 7, v8
	v_lshrrev_b32_e32 v1, 3, v2
	s_mov_b32 s22, exec_lo
	v_cmpx_gt_u32_e32 8, v2
; %bb.205:                              ;   in Loop: Header=BB272_9 Depth=1
	v_ffbh_u32_e32 v0, v0
	v_min_u32_e32 v2, 32, v0
	v_subrev_nc_u32_e32 v0, 28, v2
	v_lshlrev_b64 v[0:1], v0, v[8:9]
	v_sub_nc_u32_e32 v1, 29, v2
	v_and_b32_e32 v0, 7, v0
; %bb.206:                              ;   in Loop: Header=BB272_9 Depth=1
	s_or_b32 exec_lo, exec_lo, s22
	v_lshlrev_b32_e32 v2, 8, v8
	v_lshl_add_u32 v1, v1, 10, 0x2000
	v_lshlrev_b32_e32 v0, 7, v0
	v_and_b32_e32 v2, 0x8000, v2
	v_and_b32_e32 v1, 0xfc00, v1
	v_or3_b32 v0, v2, v1, v0
	buffer_store_dword v0, off, s[0:3], s32 offset:248 ; 4-byte Folded Spill
.LBB272_207:                            ;   in Loop: Header=BB272_9 Depth=1
	s_or_b32 exec_lo, exec_lo, s21
.LBB272_208:                            ;   in Loop: Header=BB272_9 Depth=1
	s_or_b32 exec_lo, exec_lo, s20
.LBB272_209:                            ;   in Loop: Header=BB272_9 Depth=1
	s_or_b32 exec_lo, exec_lo, s8
	v_lshrrev_b16 v12, 8, v8
	s_mov_b32 s8, exec_lo
	v_cmpx_ne_u16_e32 0, v12
	s_cbranch_execz .LBB272_217
; %bb.210:                              ;   in Loop: Header=BB272_9 Depth=1
	v_bfrev_b32_e32 v114, 1
	s_mov_b32 s20, exec_lo
	v_cmpx_ne_u16_e32 0x80, v12
	s_cbranch_execz .LBB272_216
; %bb.211:                              ;   in Loop: Header=BB272_9 Depth=1
	v_mov_b32_e32 v0, 0x7f
	v_mov_b32_e32 v114, 0x7c010000
	s_mov_b32 s21, exec_lo
	v_and_b32_sdwa v2, v12, v0 dst_sel:DWORD dst_unused:UNUSED_PAD src0_sel:WORD_0 src1_sel:DWORD
	v_cmpx_ne_u32_e32 0x7f, v2
	s_cbranch_execz .LBB272_215
; %bb.212:                              ;   in Loop: Header=BB272_9 Depth=1
	v_mov_b32_e32 v0, 7
	v_lshrrev_b32_e32 v1, 3, v2
	s_mov_b32 s22, exec_lo
	v_and_b32_sdwa v0, v12, v0 dst_sel:DWORD dst_unused:UNUSED_PAD src0_sel:WORD_0 src1_sel:DWORD
	v_cmpx_gt_u32_e32 8, v2
; %bb.213:                              ;   in Loop: Header=BB272_9 Depth=1
	v_ffbh_u32_e32 v0, v0
	v_min_u32_e32 v2, 32, v0
	v_subrev_nc_u32_e32 v0, 28, v2
	v_lshlrev_b64 v[0:1], v0, v[12:13]
	v_sub_nc_u32_e32 v1, 29, v2
	v_and_b32_e32 v0, 7, v0
; %bb.214:                              ;   in Loop: Header=BB272_9 Depth=1
	s_or_b32 exec_lo, exec_lo, s22
	v_mov_b32_e32 v2, 8
	v_lshl_add_u32 v1, v1, 10, 0x2000
	v_lshlrev_b32_e32 v0, 23, v0
	v_lshlrev_b32_sdwa v2, v2, v12 dst_sel:DWORD dst_unused:UNUSED_PAD src0_sel:DWORD src1_sel:WORD_0
	v_and_or_b32 v1, 0x8000, v2, v1
	v_lshl_or_b32 v114, v1, 16, v0
.LBB272_215:                            ;   in Loop: Header=BB272_9 Depth=1
	s_or_b32 exec_lo, exec_lo, s21
.LBB272_216:                            ;   in Loop: Header=BB272_9 Depth=1
	s_or_b32 exec_lo, exec_lo, s20
.LBB272_217:                            ;   in Loop: Header=BB272_9 Depth=1
	s_or_b32 exec_lo, exec_lo, s8
	v_lshrrev_b32_e32 v12, 16, v8
	v_mov_b32_e32 v116, 0
	v_mov_b32_e32 v0, 0
	v_cmp_ne_u16_sdwa s7, v12, v13 src0_sel:BYTE_0 src1_sel:DWORD
	buffer_store_dword v0, off, s[0:3], s32 offset:252 ; 4-byte Folded Spill
	s_and_saveexec_b32 s8, s7
	s_cbranch_execz .LBB272_225
; %bb.218:                              ;   in Loop: Header=BB272_9 Depth=1
	v_cmp_ne_u16_sdwa s7, v12, v52 src0_sel:BYTE_0 src1_sel:DWORD
	v_mov_b32_e32 v0, 0x8000
	buffer_store_dword v0, off, s[0:3], s32 offset:252 ; 4-byte Folded Spill
	s_and_saveexec_b32 s20, s7
	s_cbranch_execz .LBB272_224
; %bb.219:                              ;   in Loop: Header=BB272_9 Depth=1
	v_bfe_u32 v2, v8, 16, 7
	v_mov_b32_e32 v0, 0x7c01
	s_mov_b32 s21, exec_lo
	buffer_store_dword v0, off, s[0:3], s32 offset:252 ; 4-byte Folded Spill
	v_cmpx_ne_u32_e32 0x7f, v2
	s_cbranch_execz .LBB272_223
; %bb.220:                              ;   in Loop: Header=BB272_9 Depth=1
	v_and_b32_e32 v0, 7, v12
	v_lshrrev_b32_e32 v1, 3, v2
	s_mov_b32 s22, exec_lo
	v_cmpx_gt_u32_e32 8, v2
; %bb.221:                              ;   in Loop: Header=BB272_9 Depth=1
	v_ffbh_u32_e32 v0, v0
	v_min_u32_e32 v2, 32, v0
	v_subrev_nc_u32_e32 v0, 28, v2
	v_lshlrev_b64 v[0:1], v0, v[12:13]
	v_sub_nc_u32_e32 v1, 29, v2
	v_and_b32_e32 v0, 7, v0
; %bb.222:                              ;   in Loop: Header=BB272_9 Depth=1
	s_or_b32 exec_lo, exec_lo, s22
	v_lshlrev_b32_e32 v2, 8, v12
	v_lshl_add_u32 v1, v1, 10, 0x2000
	v_lshlrev_b32_e32 v0, 7, v0
	v_and_b32_e32 v2, 0x8000, v2
	v_and_b32_e32 v1, 0xfc00, v1
	v_or3_b32 v0, v2, v1, v0
	buffer_store_dword v0, off, s[0:3], s32 offset:252 ; 4-byte Folded Spill
.LBB272_223:                            ;   in Loop: Header=BB272_9 Depth=1
	s_or_b32 exec_lo, exec_lo, s21
.LBB272_224:                            ;   in Loop: Header=BB272_9 Depth=1
	s_or_b32 exec_lo, exec_lo, s20
.LBB272_225:                            ;   in Loop: Header=BB272_9 Depth=1
	s_or_b32 exec_lo, exec_lo, s8
	s_mov_b32 s8, exec_lo
	v_cmpx_lt_u32_e32 0xffffff, v8
	s_cbranch_execz .LBB272_233
; %bb.226:                              ;   in Loop: Header=BB272_9 Depth=1
	v_lshrrev_b32_e32 v12, 24, v8
	v_bfrev_b32_e32 v116, 1
	s_mov_b32 s20, exec_lo
	v_cmpx_ne_u32_e32 0x80, v12
	s_cbranch_execz .LBB272_232
; %bb.227:                              ;   in Loop: Header=BB272_9 Depth=1
	v_and_b32_e32 v2, 0x7f, v12
	v_mov_b32_e32 v116, 0x7c010000
	s_mov_b32 s21, exec_lo
	v_cmpx_ne_u32_e32 0x7f, v2
	s_cbranch_execz .LBB272_231
; %bb.228:                              ;   in Loop: Header=BB272_9 Depth=1
	v_and_b32_e32 v0, 7, v12
	v_lshrrev_b32_e32 v1, 3, v2
	s_mov_b32 s22, exec_lo
	v_cmpx_gt_u32_e32 8, v2
; %bb.229:                              ;   in Loop: Header=BB272_9 Depth=1
	v_ffbh_u32_e32 v0, v0
	v_min_u32_e32 v2, 32, v0
	v_subrev_nc_u32_e32 v0, 28, v2
	v_lshlrev_b64 v[0:1], v0, v[12:13]
	v_sub_nc_u32_e32 v1, 29, v2
	v_and_b32_e32 v0, 7, v0
; %bb.230:                              ;   in Loop: Header=BB272_9 Depth=1
	s_or_b32 exec_lo, exec_lo, s22
	v_lshlrev_b32_e32 v2, 8, v12
	v_lshl_add_u32 v1, v1, 10, 0x2000
	v_lshlrev_b32_e32 v0, 23, v0
	v_and_or_b32 v1, 0x8000, v2, v1
	v_lshl_or_b32 v116, v1, 16, v0
.LBB272_231:                            ;   in Loop: Header=BB272_9 Depth=1
	s_or_b32 exec_lo, exec_lo, s21
.LBB272_232:                            ;   in Loop: Header=BB272_9 Depth=1
	s_or_b32 exec_lo, exec_lo, s20
.LBB272_233:                            ;   in Loop: Header=BB272_9 Depth=1
	s_or_b32 exec_lo, exec_lo, s8
	flat_load_dword v8, v[24:25] offset:776
	v_mov_b32_e32 v118, 0
	v_mov_b32_e32 v0, 0
	buffer_store_dword v0, off, s[0:3], s32 offset:256 ; 4-byte Folded Spill
	s_waitcnt vmcnt(0) lgkmcnt(0)
	v_cmp_ne_u16_sdwa s7, v8, v13 src0_sel:BYTE_0 src1_sel:DWORD
	s_and_saveexec_b32 s8, s7
	s_cbranch_execz .LBB272_241
; %bb.234:                              ;   in Loop: Header=BB272_9 Depth=1
	v_cmp_ne_u16_sdwa s7, v8, v52 src0_sel:BYTE_0 src1_sel:DWORD
	v_mov_b32_e32 v0, 0x8000
	buffer_store_dword v0, off, s[0:3], s32 offset:256 ; 4-byte Folded Spill
	s_and_saveexec_b32 s20, s7
	s_cbranch_execz .LBB272_240
; %bb.235:                              ;   in Loop: Header=BB272_9 Depth=1
	v_and_b32_e32 v2, 0x7f, v8
	v_mov_b32_e32 v0, 0x7c01
	s_mov_b32 s21, exec_lo
	buffer_store_dword v0, off, s[0:3], s32 offset:256 ; 4-byte Folded Spill
	v_cmpx_ne_u32_e32 0x7f, v2
	s_cbranch_execz .LBB272_239
; %bb.236:                              ;   in Loop: Header=BB272_9 Depth=1
	v_and_b32_e32 v0, 7, v8
	v_lshrrev_b32_e32 v1, 3, v2
	s_mov_b32 s22, exec_lo
	v_cmpx_gt_u32_e32 8, v2
; %bb.237:                              ;   in Loop: Header=BB272_9 Depth=1
	v_ffbh_u32_e32 v0, v0
	v_min_u32_e32 v2, 32, v0
	v_subrev_nc_u32_e32 v0, 28, v2
	v_lshlrev_b64 v[0:1], v0, v[8:9]
	v_sub_nc_u32_e32 v1, 29, v2
	v_and_b32_e32 v0, 7, v0
; %bb.238:                              ;   in Loop: Header=BB272_9 Depth=1
	s_or_b32 exec_lo, exec_lo, s22
	v_lshlrev_b32_e32 v2, 8, v8
	v_lshl_add_u32 v1, v1, 10, 0x2000
	v_lshlrev_b32_e32 v0, 7, v0
	v_and_b32_e32 v2, 0x8000, v2
	v_and_b32_e32 v1, 0xfc00, v1
	v_or3_b32 v0, v2, v1, v0
	buffer_store_dword v0, off, s[0:3], s32 offset:256 ; 4-byte Folded Spill
.LBB272_239:                            ;   in Loop: Header=BB272_9 Depth=1
	s_or_b32 exec_lo, exec_lo, s21
.LBB272_240:                            ;   in Loop: Header=BB272_9 Depth=1
	s_or_b32 exec_lo, exec_lo, s20
.LBB272_241:                            ;   in Loop: Header=BB272_9 Depth=1
	s_or_b32 exec_lo, exec_lo, s8
	v_lshrrev_b16 v12, 8, v8
	s_mov_b32 s8, exec_lo
	v_cmpx_ne_u16_e32 0, v12
	s_cbranch_execz .LBB272_249
; %bb.242:                              ;   in Loop: Header=BB272_9 Depth=1
	v_bfrev_b32_e32 v118, 1
	s_mov_b32 s20, exec_lo
	v_cmpx_ne_u16_e32 0x80, v12
	s_cbranch_execz .LBB272_248
; %bb.243:                              ;   in Loop: Header=BB272_9 Depth=1
	v_mov_b32_e32 v0, 0x7f
	v_mov_b32_e32 v118, 0x7c010000
	s_mov_b32 s21, exec_lo
	v_and_b32_sdwa v2, v12, v0 dst_sel:DWORD dst_unused:UNUSED_PAD src0_sel:WORD_0 src1_sel:DWORD
	v_cmpx_ne_u32_e32 0x7f, v2
	s_cbranch_execz .LBB272_247
; %bb.244:                              ;   in Loop: Header=BB272_9 Depth=1
	v_mov_b32_e32 v0, 7
	v_lshrrev_b32_e32 v1, 3, v2
	s_mov_b32 s22, exec_lo
	v_and_b32_sdwa v0, v12, v0 dst_sel:DWORD dst_unused:UNUSED_PAD src0_sel:WORD_0 src1_sel:DWORD
	v_cmpx_gt_u32_e32 8, v2
; %bb.245:                              ;   in Loop: Header=BB272_9 Depth=1
	v_ffbh_u32_e32 v0, v0
	v_min_u32_e32 v2, 32, v0
	v_subrev_nc_u32_e32 v0, 28, v2
	v_lshlrev_b64 v[0:1], v0, v[12:13]
	v_sub_nc_u32_e32 v1, 29, v2
	v_and_b32_e32 v0, 7, v0
; %bb.246:                              ;   in Loop: Header=BB272_9 Depth=1
	s_or_b32 exec_lo, exec_lo, s22
	v_mov_b32_e32 v2, 8
	v_lshl_add_u32 v1, v1, 10, 0x2000
	v_lshlrev_b32_e32 v0, 23, v0
	v_lshlrev_b32_sdwa v2, v2, v12 dst_sel:DWORD dst_unused:UNUSED_PAD src0_sel:DWORD src1_sel:WORD_0
	v_and_or_b32 v1, 0x8000, v2, v1
	v_lshl_or_b32 v118, v1, 16, v0
.LBB272_247:                            ;   in Loop: Header=BB272_9 Depth=1
	s_or_b32 exec_lo, exec_lo, s21
.LBB272_248:                            ;   in Loop: Header=BB272_9 Depth=1
	s_or_b32 exec_lo, exec_lo, s20
.LBB272_249:                            ;   in Loop: Header=BB272_9 Depth=1
	s_or_b32 exec_lo, exec_lo, s8
	v_lshrrev_b32_e32 v12, 16, v8
	v_mov_b32_e32 v40, 0
	v_mov_b32_e32 v41, 0
	v_cmp_ne_u16_sdwa s7, v12, v13 src0_sel:BYTE_0 src1_sel:DWORD
	s_and_saveexec_b32 s8, s7
	s_cbranch_execz .LBB272_257
; %bb.250:                              ;   in Loop: Header=BB272_9 Depth=1
	v_cmp_ne_u16_sdwa s7, v12, v52 src0_sel:BYTE_0 src1_sel:DWORD
	v_mov_b32_e32 v41, 0x8000
	s_and_saveexec_b32 s20, s7
	s_cbranch_execz .LBB272_256
; %bb.251:                              ;   in Loop: Header=BB272_9 Depth=1
	v_bfe_u32 v2, v8, 16, 7
	v_mov_b32_e32 v41, 0x7c01
	s_mov_b32 s21, exec_lo
	v_cmpx_ne_u32_e32 0x7f, v2
	s_cbranch_execz .LBB272_255
; %bb.252:                              ;   in Loop: Header=BB272_9 Depth=1
	v_and_b32_e32 v0, 7, v12
	v_lshrrev_b32_e32 v1, 3, v2
	s_mov_b32 s22, exec_lo
	v_cmpx_gt_u32_e32 8, v2
; %bb.253:                              ;   in Loop: Header=BB272_9 Depth=1
	v_ffbh_u32_e32 v0, v0
	v_min_u32_e32 v2, 32, v0
	v_subrev_nc_u32_e32 v0, 28, v2
	v_lshlrev_b64 v[0:1], v0, v[12:13]
	v_sub_nc_u32_e32 v1, 29, v2
	v_and_b32_e32 v0, 7, v0
; %bb.254:                              ;   in Loop: Header=BB272_9 Depth=1
	s_or_b32 exec_lo, exec_lo, s22
	v_lshlrev_b32_e32 v2, 8, v12
	v_lshl_add_u32 v1, v1, 10, 0x2000
	v_lshlrev_b32_e32 v0, 7, v0
	v_and_b32_e32 v2, 0x8000, v2
	v_and_b32_e32 v1, 0xfc00, v1
	v_or3_b32 v41, v2, v1, v0
.LBB272_255:                            ;   in Loop: Header=BB272_9 Depth=1
	s_or_b32 exec_lo, exec_lo, s21
.LBB272_256:                            ;   in Loop: Header=BB272_9 Depth=1
	s_or_b32 exec_lo, exec_lo, s20
.LBB272_257:                            ;   in Loop: Header=BB272_9 Depth=1
	s_or_b32 exec_lo, exec_lo, s8
	s_mov_b32 s8, exec_lo
	v_cmpx_lt_u32_e32 0xffffff, v8
	s_cbranch_execz .LBB272_265
; %bb.258:                              ;   in Loop: Header=BB272_9 Depth=1
	v_lshrrev_b32_e32 v12, 24, v8
	v_bfrev_b32_e32 v40, 1
	s_mov_b32 s20, exec_lo
	v_cmpx_ne_u32_e32 0x80, v12
	s_cbranch_execz .LBB272_264
; %bb.259:                              ;   in Loop: Header=BB272_9 Depth=1
	v_and_b32_e32 v2, 0x7f, v12
	v_mov_b32_e32 v40, 0x7c010000
	s_mov_b32 s21, exec_lo
	v_cmpx_ne_u32_e32 0x7f, v2
	s_cbranch_execz .LBB272_263
; %bb.260:                              ;   in Loop: Header=BB272_9 Depth=1
	v_and_b32_e32 v0, 7, v12
	v_lshrrev_b32_e32 v1, 3, v2
	s_mov_b32 s22, exec_lo
	v_cmpx_gt_u32_e32 8, v2
; %bb.261:                              ;   in Loop: Header=BB272_9 Depth=1
	v_ffbh_u32_e32 v0, v0
	v_min_u32_e32 v2, 32, v0
	v_subrev_nc_u32_e32 v0, 28, v2
	v_lshlrev_b64 v[0:1], v0, v[12:13]
	v_sub_nc_u32_e32 v1, 29, v2
	v_and_b32_e32 v0, 7, v0
; %bb.262:                              ;   in Loop: Header=BB272_9 Depth=1
	s_or_b32 exec_lo, exec_lo, s22
	v_lshlrev_b32_e32 v2, 8, v12
	v_lshl_add_u32 v1, v1, 10, 0x2000
	v_lshlrev_b32_e32 v0, 23, v0
	v_and_or_b32 v1, 0x8000, v2, v1
	v_lshl_or_b32 v40, v1, 16, v0
.LBB272_263:                            ;   in Loop: Header=BB272_9 Depth=1
	s_or_b32 exec_lo, exec_lo, s21
.LBB272_264:                            ;   in Loop: Header=BB272_9 Depth=1
	s_or_b32 exec_lo, exec_lo, s20
.LBB272_265:                            ;   in Loop: Header=BB272_9 Depth=1
	s_or_b32 exec_lo, exec_lo, s8
	flat_load_dword v8, v[24:25] offset:1024
	v_mov_b32_e32 v42, 0
	v_mov_b32_e32 v43, 0
	s_waitcnt vmcnt(0) lgkmcnt(0)
	v_cmp_ne_u16_sdwa s7, v8, v13 src0_sel:BYTE_0 src1_sel:DWORD
	s_and_saveexec_b32 s8, s7
	s_cbranch_execz .LBB272_273
; %bb.266:                              ;   in Loop: Header=BB272_9 Depth=1
	v_cmp_ne_u16_sdwa s7, v8, v52 src0_sel:BYTE_0 src1_sel:DWORD
	v_mov_b32_e32 v43, 0x8000
	s_and_saveexec_b32 s20, s7
	s_cbranch_execz .LBB272_272
; %bb.267:                              ;   in Loop: Header=BB272_9 Depth=1
	v_and_b32_e32 v2, 0x7f, v8
	v_mov_b32_e32 v43, 0x7c01
	s_mov_b32 s21, exec_lo
	v_cmpx_ne_u32_e32 0x7f, v2
	s_cbranch_execz .LBB272_271
; %bb.268:                              ;   in Loop: Header=BB272_9 Depth=1
	v_and_b32_e32 v0, 7, v8
	v_lshrrev_b32_e32 v1, 3, v2
	s_mov_b32 s22, exec_lo
	v_cmpx_gt_u32_e32 8, v2
; %bb.269:                              ;   in Loop: Header=BB272_9 Depth=1
	v_ffbh_u32_e32 v0, v0
	v_min_u32_e32 v2, 32, v0
	v_subrev_nc_u32_e32 v0, 28, v2
	v_lshlrev_b64 v[0:1], v0, v[8:9]
	v_sub_nc_u32_e32 v1, 29, v2
	v_and_b32_e32 v0, 7, v0
; %bb.270:                              ;   in Loop: Header=BB272_9 Depth=1
	s_or_b32 exec_lo, exec_lo, s22
	v_lshlrev_b32_e32 v2, 8, v8
	v_lshl_add_u32 v1, v1, 10, 0x2000
	v_lshlrev_b32_e32 v0, 7, v0
	v_and_b32_e32 v2, 0x8000, v2
	v_and_b32_e32 v1, 0xfc00, v1
	v_or3_b32 v43, v2, v1, v0
.LBB272_271:                            ;   in Loop: Header=BB272_9 Depth=1
	s_or_b32 exec_lo, exec_lo, s21
.LBB272_272:                            ;   in Loop: Header=BB272_9 Depth=1
	s_or_b32 exec_lo, exec_lo, s20
.LBB272_273:                            ;   in Loop: Header=BB272_9 Depth=1
	s_or_b32 exec_lo, exec_lo, s8
	v_lshrrev_b16 v12, 8, v8
	s_mov_b32 s8, exec_lo
	v_cmpx_ne_u16_e32 0, v12
	s_cbranch_execz .LBB272_281
; %bb.274:                              ;   in Loop: Header=BB272_9 Depth=1
	v_bfrev_b32_e32 v42, 1
	s_mov_b32 s20, exec_lo
	v_cmpx_ne_u16_e32 0x80, v12
	s_cbranch_execz .LBB272_280
; %bb.275:                              ;   in Loop: Header=BB272_9 Depth=1
	v_mov_b32_e32 v0, 0x7f
	v_mov_b32_e32 v42, 0x7c010000
	s_mov_b32 s21, exec_lo
	v_and_b32_sdwa v2, v12, v0 dst_sel:DWORD dst_unused:UNUSED_PAD src0_sel:WORD_0 src1_sel:DWORD
	v_cmpx_ne_u32_e32 0x7f, v2
	s_cbranch_execz .LBB272_279
; %bb.276:                              ;   in Loop: Header=BB272_9 Depth=1
	v_mov_b32_e32 v0, 7
	v_lshrrev_b32_e32 v1, 3, v2
	s_mov_b32 s22, exec_lo
	v_and_b32_sdwa v0, v12, v0 dst_sel:DWORD dst_unused:UNUSED_PAD src0_sel:WORD_0 src1_sel:DWORD
	v_cmpx_gt_u32_e32 8, v2
; %bb.277:                              ;   in Loop: Header=BB272_9 Depth=1
	v_ffbh_u32_e32 v0, v0
	v_min_u32_e32 v2, 32, v0
	v_subrev_nc_u32_e32 v0, 28, v2
	v_lshlrev_b64 v[0:1], v0, v[12:13]
	v_sub_nc_u32_e32 v1, 29, v2
	v_and_b32_e32 v0, 7, v0
; %bb.278:                              ;   in Loop: Header=BB272_9 Depth=1
	s_or_b32 exec_lo, exec_lo, s22
	v_mov_b32_e32 v2, 8
	v_lshl_add_u32 v1, v1, 10, 0x2000
	v_lshlrev_b32_e32 v0, 23, v0
	v_lshlrev_b32_sdwa v2, v2, v12 dst_sel:DWORD dst_unused:UNUSED_PAD src0_sel:DWORD src1_sel:WORD_0
	v_and_or_b32 v1, 0x8000, v2, v1
	v_lshl_or_b32 v42, v1, 16, v0
.LBB272_279:                            ;   in Loop: Header=BB272_9 Depth=1
	s_or_b32 exec_lo, exec_lo, s21
.LBB272_280:                            ;   in Loop: Header=BB272_9 Depth=1
	s_or_b32 exec_lo, exec_lo, s20
.LBB272_281:                            ;   in Loop: Header=BB272_9 Depth=1
	s_or_b32 exec_lo, exec_lo, s8
	v_lshrrev_b32_e32 v12, 16, v8
	v_mov_b32_e32 v44, 0
	v_mov_b32_e32 v45, 0
	v_cmp_ne_u16_sdwa s7, v12, v13 src0_sel:BYTE_0 src1_sel:DWORD
	s_and_saveexec_b32 s8, s7
	s_cbranch_execz .LBB272_289
; %bb.282:                              ;   in Loop: Header=BB272_9 Depth=1
	v_cmp_ne_u16_sdwa s7, v12, v52 src0_sel:BYTE_0 src1_sel:DWORD
	v_mov_b32_e32 v45, 0x8000
	s_and_saveexec_b32 s20, s7
	s_cbranch_execz .LBB272_288
; %bb.283:                              ;   in Loop: Header=BB272_9 Depth=1
	v_bfe_u32 v2, v8, 16, 7
	v_mov_b32_e32 v45, 0x7c01
	s_mov_b32 s21, exec_lo
	v_cmpx_ne_u32_e32 0x7f, v2
	s_cbranch_execz .LBB272_287
; %bb.284:                              ;   in Loop: Header=BB272_9 Depth=1
	v_and_b32_e32 v0, 7, v12
	v_lshrrev_b32_e32 v1, 3, v2
	s_mov_b32 s22, exec_lo
	v_cmpx_gt_u32_e32 8, v2
; %bb.285:                              ;   in Loop: Header=BB272_9 Depth=1
	v_ffbh_u32_e32 v0, v0
	v_min_u32_e32 v2, 32, v0
	v_subrev_nc_u32_e32 v0, 28, v2
	v_lshlrev_b64 v[0:1], v0, v[12:13]
	v_sub_nc_u32_e32 v1, 29, v2
	v_and_b32_e32 v0, 7, v0
; %bb.286:                              ;   in Loop: Header=BB272_9 Depth=1
	s_or_b32 exec_lo, exec_lo, s22
	v_lshlrev_b32_e32 v2, 8, v12
	v_lshl_add_u32 v1, v1, 10, 0x2000
	v_lshlrev_b32_e32 v0, 7, v0
	v_and_b32_e32 v2, 0x8000, v2
	v_and_b32_e32 v1, 0xfc00, v1
	v_or3_b32 v45, v2, v1, v0
.LBB272_287:                            ;   in Loop: Header=BB272_9 Depth=1
	s_or_b32 exec_lo, exec_lo, s21
.LBB272_288:                            ;   in Loop: Header=BB272_9 Depth=1
	s_or_b32 exec_lo, exec_lo, s20
.LBB272_289:                            ;   in Loop: Header=BB272_9 Depth=1
	s_or_b32 exec_lo, exec_lo, s8
	s_mov_b32 s8, exec_lo
	v_cmpx_lt_u32_e32 0xffffff, v8
	s_cbranch_execz .LBB272_297
; %bb.290:                              ;   in Loop: Header=BB272_9 Depth=1
	v_lshrrev_b32_e32 v12, 24, v8
	v_bfrev_b32_e32 v44, 1
	s_mov_b32 s20, exec_lo
	v_cmpx_ne_u32_e32 0x80, v12
	s_cbranch_execz .LBB272_296
; %bb.291:                              ;   in Loop: Header=BB272_9 Depth=1
	v_and_b32_e32 v2, 0x7f, v12
	v_mov_b32_e32 v44, 0x7c010000
	s_mov_b32 s21, exec_lo
	v_cmpx_ne_u32_e32 0x7f, v2
	s_cbranch_execz .LBB272_295
; %bb.292:                              ;   in Loop: Header=BB272_9 Depth=1
	v_and_b32_e32 v0, 7, v12
	v_lshrrev_b32_e32 v1, 3, v2
	s_mov_b32 s22, exec_lo
	v_cmpx_gt_u32_e32 8, v2
; %bb.293:                              ;   in Loop: Header=BB272_9 Depth=1
	v_ffbh_u32_e32 v0, v0
	v_min_u32_e32 v2, 32, v0
	v_subrev_nc_u32_e32 v0, 28, v2
	v_lshlrev_b64 v[0:1], v0, v[12:13]
	v_sub_nc_u32_e32 v1, 29, v2
	v_and_b32_e32 v0, 7, v0
; %bb.294:                              ;   in Loop: Header=BB272_9 Depth=1
	s_or_b32 exec_lo, exec_lo, s22
	v_lshlrev_b32_e32 v2, 8, v12
	v_lshl_add_u32 v1, v1, 10, 0x2000
	v_lshlrev_b32_e32 v0, 23, v0
	v_and_or_b32 v1, 0x8000, v2, v1
	v_lshl_or_b32 v44, v1, 16, v0
.LBB272_295:                            ;   in Loop: Header=BB272_9 Depth=1
	s_or_b32 exec_lo, exec_lo, s21
.LBB272_296:                            ;   in Loop: Header=BB272_9 Depth=1
	s_or_b32 exec_lo, exec_lo, s20
.LBB272_297:                            ;   in Loop: Header=BB272_9 Depth=1
	s_or_b32 exec_lo, exec_lo, s8
	flat_load_dword v8, v[24:25] offset:1032
	v_mov_b32_e32 v46, 0
	v_mov_b32_e32 v47, 0
	s_waitcnt vmcnt(0) lgkmcnt(0)
	v_cmp_ne_u16_sdwa s7, v8, v13 src0_sel:BYTE_0 src1_sel:DWORD
	s_and_saveexec_b32 s8, s7
	s_cbranch_execz .LBB272_305
; %bb.298:                              ;   in Loop: Header=BB272_9 Depth=1
	v_cmp_ne_u16_sdwa s7, v8, v52 src0_sel:BYTE_0 src1_sel:DWORD
	v_mov_b32_e32 v47, 0x8000
	s_and_saveexec_b32 s20, s7
	s_cbranch_execz .LBB272_304
; %bb.299:                              ;   in Loop: Header=BB272_9 Depth=1
	v_and_b32_e32 v2, 0x7f, v8
	v_mov_b32_e32 v47, 0x7c01
	s_mov_b32 s21, exec_lo
	v_cmpx_ne_u32_e32 0x7f, v2
	s_cbranch_execz .LBB272_303
; %bb.300:                              ;   in Loop: Header=BB272_9 Depth=1
	v_and_b32_e32 v0, 7, v8
	v_lshrrev_b32_e32 v1, 3, v2
	s_mov_b32 s22, exec_lo
	v_cmpx_gt_u32_e32 8, v2
; %bb.301:                              ;   in Loop: Header=BB272_9 Depth=1
	v_ffbh_u32_e32 v0, v0
	v_min_u32_e32 v2, 32, v0
	v_subrev_nc_u32_e32 v0, 28, v2
	v_lshlrev_b64 v[0:1], v0, v[8:9]
	v_sub_nc_u32_e32 v1, 29, v2
	v_and_b32_e32 v0, 7, v0
; %bb.302:                              ;   in Loop: Header=BB272_9 Depth=1
	s_or_b32 exec_lo, exec_lo, s22
	v_lshlrev_b32_e32 v2, 8, v8
	v_lshl_add_u32 v1, v1, 10, 0x2000
	v_lshlrev_b32_e32 v0, 7, v0
	v_and_b32_e32 v2, 0x8000, v2
	v_and_b32_e32 v1, 0xfc00, v1
	v_or3_b32 v47, v2, v1, v0
.LBB272_303:                            ;   in Loop: Header=BB272_9 Depth=1
	s_or_b32 exec_lo, exec_lo, s21
.LBB272_304:                            ;   in Loop: Header=BB272_9 Depth=1
	s_or_b32 exec_lo, exec_lo, s20
.LBB272_305:                            ;   in Loop: Header=BB272_9 Depth=1
	s_or_b32 exec_lo, exec_lo, s8
	v_lshrrev_b16 v12, 8, v8
	s_mov_b32 s8, exec_lo
	v_cmpx_ne_u16_e32 0, v12
	s_cbranch_execz .LBB272_313
; %bb.306:                              ;   in Loop: Header=BB272_9 Depth=1
	v_bfrev_b32_e32 v46, 1
	s_mov_b32 s20, exec_lo
	v_cmpx_ne_u16_e32 0x80, v12
	s_cbranch_execz .LBB272_312
; %bb.307:                              ;   in Loop: Header=BB272_9 Depth=1
	v_mov_b32_e32 v0, 0x7f
	v_mov_b32_e32 v46, 0x7c010000
	s_mov_b32 s21, exec_lo
	v_and_b32_sdwa v2, v12, v0 dst_sel:DWORD dst_unused:UNUSED_PAD src0_sel:WORD_0 src1_sel:DWORD
	v_cmpx_ne_u32_e32 0x7f, v2
	s_cbranch_execz .LBB272_311
; %bb.308:                              ;   in Loop: Header=BB272_9 Depth=1
	v_mov_b32_e32 v0, 7
	v_lshrrev_b32_e32 v1, 3, v2
	s_mov_b32 s22, exec_lo
	v_and_b32_sdwa v0, v12, v0 dst_sel:DWORD dst_unused:UNUSED_PAD src0_sel:WORD_0 src1_sel:DWORD
	v_cmpx_gt_u32_e32 8, v2
; %bb.309:                              ;   in Loop: Header=BB272_9 Depth=1
	v_ffbh_u32_e32 v0, v0
	v_min_u32_e32 v2, 32, v0
	v_subrev_nc_u32_e32 v0, 28, v2
	v_lshlrev_b64 v[0:1], v0, v[12:13]
	v_sub_nc_u32_e32 v1, 29, v2
	v_and_b32_e32 v0, 7, v0
; %bb.310:                              ;   in Loop: Header=BB272_9 Depth=1
	s_or_b32 exec_lo, exec_lo, s22
	v_mov_b32_e32 v2, 8
	v_lshl_add_u32 v1, v1, 10, 0x2000
	v_lshlrev_b32_e32 v0, 23, v0
	v_lshlrev_b32_sdwa v2, v2, v12 dst_sel:DWORD dst_unused:UNUSED_PAD src0_sel:DWORD src1_sel:WORD_0
	v_and_or_b32 v1, 0x8000, v2, v1
	v_lshl_or_b32 v46, v1, 16, v0
.LBB272_311:                            ;   in Loop: Header=BB272_9 Depth=1
	s_or_b32 exec_lo, exec_lo, s21
.LBB272_312:                            ;   in Loop: Header=BB272_9 Depth=1
	s_or_b32 exec_lo, exec_lo, s20
.LBB272_313:                            ;   in Loop: Header=BB272_9 Depth=1
	s_or_b32 exec_lo, exec_lo, s8
	v_lshrrev_b32_e32 v12, 16, v8
	v_mov_b32_e32 v56, 0
	v_mov_b32_e32 v57, 0
	v_cmp_ne_u16_sdwa s7, v12, v13 src0_sel:BYTE_0 src1_sel:DWORD
	s_and_saveexec_b32 s8, s7
	s_cbranch_execz .LBB272_321
; %bb.314:                              ;   in Loop: Header=BB272_9 Depth=1
	v_cmp_ne_u16_sdwa s7, v12, v52 src0_sel:BYTE_0 src1_sel:DWORD
	v_mov_b32_e32 v57, 0x8000
	s_and_saveexec_b32 s20, s7
	s_cbranch_execz .LBB272_320
; %bb.315:                              ;   in Loop: Header=BB272_9 Depth=1
	v_bfe_u32 v2, v8, 16, 7
	v_mov_b32_e32 v57, 0x7c01
	s_mov_b32 s21, exec_lo
	v_cmpx_ne_u32_e32 0x7f, v2
	s_cbranch_execz .LBB272_319
; %bb.316:                              ;   in Loop: Header=BB272_9 Depth=1
	v_and_b32_e32 v0, 7, v12
	v_lshrrev_b32_e32 v1, 3, v2
	s_mov_b32 s22, exec_lo
	v_cmpx_gt_u32_e32 8, v2
; %bb.317:                              ;   in Loop: Header=BB272_9 Depth=1
	v_ffbh_u32_e32 v0, v0
	v_min_u32_e32 v2, 32, v0
	v_subrev_nc_u32_e32 v0, 28, v2
	v_lshlrev_b64 v[0:1], v0, v[12:13]
	v_sub_nc_u32_e32 v1, 29, v2
	v_and_b32_e32 v0, 7, v0
; %bb.318:                              ;   in Loop: Header=BB272_9 Depth=1
	s_or_b32 exec_lo, exec_lo, s22
	v_lshlrev_b32_e32 v2, 8, v12
	v_lshl_add_u32 v1, v1, 10, 0x2000
	v_lshlrev_b32_e32 v0, 7, v0
	v_and_b32_e32 v2, 0x8000, v2
	v_and_b32_e32 v1, 0xfc00, v1
	v_or3_b32 v57, v2, v1, v0
.LBB272_319:                            ;   in Loop: Header=BB272_9 Depth=1
	s_or_b32 exec_lo, exec_lo, s21
.LBB272_320:                            ;   in Loop: Header=BB272_9 Depth=1
	s_or_b32 exec_lo, exec_lo, s20
.LBB272_321:                            ;   in Loop: Header=BB272_9 Depth=1
	s_or_b32 exec_lo, exec_lo, s8
	s_mov_b32 s8, exec_lo
	v_cmpx_lt_u32_e32 0xffffff, v8
	s_cbranch_execz .LBB272_329
; %bb.322:                              ;   in Loop: Header=BB272_9 Depth=1
	v_lshrrev_b32_e32 v12, 24, v8
	v_bfrev_b32_e32 v56, 1
	s_mov_b32 s20, exec_lo
	v_cmpx_ne_u32_e32 0x80, v12
	s_cbranch_execz .LBB272_328
; %bb.323:                              ;   in Loop: Header=BB272_9 Depth=1
	v_and_b32_e32 v2, 0x7f, v12
	v_mov_b32_e32 v56, 0x7c010000
	s_mov_b32 s21, exec_lo
	v_cmpx_ne_u32_e32 0x7f, v2
	s_cbranch_execz .LBB272_327
; %bb.324:                              ;   in Loop: Header=BB272_9 Depth=1
	v_and_b32_e32 v0, 7, v12
	v_lshrrev_b32_e32 v1, 3, v2
	s_mov_b32 s22, exec_lo
	v_cmpx_gt_u32_e32 8, v2
; %bb.325:                              ;   in Loop: Header=BB272_9 Depth=1
	v_ffbh_u32_e32 v0, v0
	v_min_u32_e32 v2, 32, v0
	v_subrev_nc_u32_e32 v0, 28, v2
	v_lshlrev_b64 v[0:1], v0, v[12:13]
	v_sub_nc_u32_e32 v1, 29, v2
	v_and_b32_e32 v0, 7, v0
; %bb.326:                              ;   in Loop: Header=BB272_9 Depth=1
	s_or_b32 exec_lo, exec_lo, s22
	v_lshlrev_b32_e32 v2, 8, v12
	v_lshl_add_u32 v1, v1, 10, 0x2000
	v_lshlrev_b32_e32 v0, 23, v0
	v_and_or_b32 v1, 0x8000, v2, v1
	v_lshl_or_b32 v56, v1, 16, v0
.LBB272_327:                            ;   in Loop: Header=BB272_9 Depth=1
	s_or_b32 exec_lo, exec_lo, s21
.LBB272_328:                            ;   in Loop: Header=BB272_9 Depth=1
	s_or_b32 exec_lo, exec_lo, s20
.LBB272_329:                            ;   in Loop: Header=BB272_9 Depth=1
	s_or_b32 exec_lo, exec_lo, s8
	flat_load_dword v8, v[24:25] offset:1280
	v_mov_b32_e32 v58, 0
	v_mov_b32_e32 v59, 0
	s_waitcnt vmcnt(0) lgkmcnt(0)
	v_cmp_ne_u16_sdwa s7, v8, v13 src0_sel:BYTE_0 src1_sel:DWORD
	s_and_saveexec_b32 s8, s7
	s_cbranch_execz .LBB272_337
; %bb.330:                              ;   in Loop: Header=BB272_9 Depth=1
	v_cmp_ne_u16_sdwa s7, v8, v52 src0_sel:BYTE_0 src1_sel:DWORD
	v_mov_b32_e32 v59, 0x8000
	s_and_saveexec_b32 s20, s7
	s_cbranch_execz .LBB272_336
; %bb.331:                              ;   in Loop: Header=BB272_9 Depth=1
	v_and_b32_e32 v2, 0x7f, v8
	v_mov_b32_e32 v59, 0x7c01
	s_mov_b32 s21, exec_lo
	v_cmpx_ne_u32_e32 0x7f, v2
	s_cbranch_execz .LBB272_335
; %bb.332:                              ;   in Loop: Header=BB272_9 Depth=1
	v_and_b32_e32 v0, 7, v8
	v_lshrrev_b32_e32 v1, 3, v2
	s_mov_b32 s22, exec_lo
	v_cmpx_gt_u32_e32 8, v2
; %bb.333:                              ;   in Loop: Header=BB272_9 Depth=1
	v_ffbh_u32_e32 v0, v0
	v_min_u32_e32 v2, 32, v0
	v_subrev_nc_u32_e32 v0, 28, v2
	v_lshlrev_b64 v[0:1], v0, v[8:9]
	v_sub_nc_u32_e32 v1, 29, v2
	v_and_b32_e32 v0, 7, v0
; %bb.334:                              ;   in Loop: Header=BB272_9 Depth=1
	s_or_b32 exec_lo, exec_lo, s22
	v_lshlrev_b32_e32 v2, 8, v8
	v_lshl_add_u32 v1, v1, 10, 0x2000
	v_lshlrev_b32_e32 v0, 7, v0
	v_and_b32_e32 v2, 0x8000, v2
	v_and_b32_e32 v1, 0xfc00, v1
	v_or3_b32 v59, v2, v1, v0
.LBB272_335:                            ;   in Loop: Header=BB272_9 Depth=1
	s_or_b32 exec_lo, exec_lo, s21
.LBB272_336:                            ;   in Loop: Header=BB272_9 Depth=1
	s_or_b32 exec_lo, exec_lo, s20
.LBB272_337:                            ;   in Loop: Header=BB272_9 Depth=1
	s_or_b32 exec_lo, exec_lo, s8
	v_lshrrev_b16 v12, 8, v8
	s_mov_b32 s8, exec_lo
	v_cmpx_ne_u16_e32 0, v12
	s_cbranch_execz .LBB272_345
; %bb.338:                              ;   in Loop: Header=BB272_9 Depth=1
	v_bfrev_b32_e32 v58, 1
	s_mov_b32 s20, exec_lo
	v_cmpx_ne_u16_e32 0x80, v12
	s_cbranch_execz .LBB272_344
; %bb.339:                              ;   in Loop: Header=BB272_9 Depth=1
	v_mov_b32_e32 v0, 0x7f
	v_mov_b32_e32 v58, 0x7c010000
	s_mov_b32 s21, exec_lo
	v_and_b32_sdwa v2, v12, v0 dst_sel:DWORD dst_unused:UNUSED_PAD src0_sel:WORD_0 src1_sel:DWORD
	v_cmpx_ne_u32_e32 0x7f, v2
	s_cbranch_execz .LBB272_343
; %bb.340:                              ;   in Loop: Header=BB272_9 Depth=1
	v_mov_b32_e32 v0, 7
	v_lshrrev_b32_e32 v1, 3, v2
	s_mov_b32 s22, exec_lo
	v_and_b32_sdwa v0, v12, v0 dst_sel:DWORD dst_unused:UNUSED_PAD src0_sel:WORD_0 src1_sel:DWORD
	v_cmpx_gt_u32_e32 8, v2
; %bb.341:                              ;   in Loop: Header=BB272_9 Depth=1
	v_ffbh_u32_e32 v0, v0
	v_min_u32_e32 v2, 32, v0
	v_subrev_nc_u32_e32 v0, 28, v2
	v_lshlrev_b64 v[0:1], v0, v[12:13]
	v_sub_nc_u32_e32 v1, 29, v2
	v_and_b32_e32 v0, 7, v0
; %bb.342:                              ;   in Loop: Header=BB272_9 Depth=1
	s_or_b32 exec_lo, exec_lo, s22
	v_mov_b32_e32 v2, 8
	v_lshl_add_u32 v1, v1, 10, 0x2000
	v_lshlrev_b32_e32 v0, 23, v0
	v_lshlrev_b32_sdwa v2, v2, v12 dst_sel:DWORD dst_unused:UNUSED_PAD src0_sel:DWORD src1_sel:WORD_0
	v_and_or_b32 v1, 0x8000, v2, v1
	v_lshl_or_b32 v58, v1, 16, v0
.LBB272_343:                            ;   in Loop: Header=BB272_9 Depth=1
	s_or_b32 exec_lo, exec_lo, s21
.LBB272_344:                            ;   in Loop: Header=BB272_9 Depth=1
	s_or_b32 exec_lo, exec_lo, s20
.LBB272_345:                            ;   in Loop: Header=BB272_9 Depth=1
	s_or_b32 exec_lo, exec_lo, s8
	v_lshrrev_b32_e32 v12, 16, v8
	v_mov_b32_e32 v60, 0
	v_mov_b32_e32 v61, 0
	v_cmp_ne_u16_sdwa s7, v12, v13 src0_sel:BYTE_0 src1_sel:DWORD
	s_and_saveexec_b32 s8, s7
	s_cbranch_execz .LBB272_353
; %bb.346:                              ;   in Loop: Header=BB272_9 Depth=1
	v_cmp_ne_u16_sdwa s7, v12, v52 src0_sel:BYTE_0 src1_sel:DWORD
	v_mov_b32_e32 v61, 0x8000
	s_and_saveexec_b32 s20, s7
	s_cbranch_execz .LBB272_352
; %bb.347:                              ;   in Loop: Header=BB272_9 Depth=1
	v_bfe_u32 v2, v8, 16, 7
	v_mov_b32_e32 v61, 0x7c01
	s_mov_b32 s21, exec_lo
	v_cmpx_ne_u32_e32 0x7f, v2
	s_cbranch_execz .LBB272_351
; %bb.348:                              ;   in Loop: Header=BB272_9 Depth=1
	v_and_b32_e32 v0, 7, v12
	v_lshrrev_b32_e32 v1, 3, v2
	s_mov_b32 s22, exec_lo
	v_cmpx_gt_u32_e32 8, v2
; %bb.349:                              ;   in Loop: Header=BB272_9 Depth=1
	v_ffbh_u32_e32 v0, v0
	v_min_u32_e32 v2, 32, v0
	v_subrev_nc_u32_e32 v0, 28, v2
	v_lshlrev_b64 v[0:1], v0, v[12:13]
	v_sub_nc_u32_e32 v1, 29, v2
	v_and_b32_e32 v0, 7, v0
; %bb.350:                              ;   in Loop: Header=BB272_9 Depth=1
	s_or_b32 exec_lo, exec_lo, s22
	v_lshlrev_b32_e32 v2, 8, v12
	v_lshl_add_u32 v1, v1, 10, 0x2000
	v_lshlrev_b32_e32 v0, 7, v0
	v_and_b32_e32 v2, 0x8000, v2
	v_and_b32_e32 v1, 0xfc00, v1
	v_or3_b32 v61, v2, v1, v0
.LBB272_351:                            ;   in Loop: Header=BB272_9 Depth=1
	s_or_b32 exec_lo, exec_lo, s21
.LBB272_352:                            ;   in Loop: Header=BB272_9 Depth=1
	s_or_b32 exec_lo, exec_lo, s20
.LBB272_353:                            ;   in Loop: Header=BB272_9 Depth=1
	s_or_b32 exec_lo, exec_lo, s8
	s_mov_b32 s8, exec_lo
	v_cmpx_lt_u32_e32 0xffffff, v8
	s_cbranch_execz .LBB272_361
; %bb.354:                              ;   in Loop: Header=BB272_9 Depth=1
	v_lshrrev_b32_e32 v12, 24, v8
	v_bfrev_b32_e32 v60, 1
	s_mov_b32 s20, exec_lo
	v_cmpx_ne_u32_e32 0x80, v12
	s_cbranch_execz .LBB272_360
; %bb.355:                              ;   in Loop: Header=BB272_9 Depth=1
	v_and_b32_e32 v2, 0x7f, v12
	v_mov_b32_e32 v60, 0x7c010000
	s_mov_b32 s21, exec_lo
	v_cmpx_ne_u32_e32 0x7f, v2
	s_cbranch_execz .LBB272_359
; %bb.356:                              ;   in Loop: Header=BB272_9 Depth=1
	v_and_b32_e32 v0, 7, v12
	v_lshrrev_b32_e32 v1, 3, v2
	s_mov_b32 s22, exec_lo
	v_cmpx_gt_u32_e32 8, v2
; %bb.357:                              ;   in Loop: Header=BB272_9 Depth=1
	v_ffbh_u32_e32 v0, v0
	v_min_u32_e32 v2, 32, v0
	v_subrev_nc_u32_e32 v0, 28, v2
	v_lshlrev_b64 v[0:1], v0, v[12:13]
	v_sub_nc_u32_e32 v1, 29, v2
	v_and_b32_e32 v0, 7, v0
; %bb.358:                              ;   in Loop: Header=BB272_9 Depth=1
	s_or_b32 exec_lo, exec_lo, s22
	v_lshlrev_b32_e32 v2, 8, v12
	v_lshl_add_u32 v1, v1, 10, 0x2000
	v_lshlrev_b32_e32 v0, 23, v0
	v_and_or_b32 v1, 0x8000, v2, v1
	v_lshl_or_b32 v60, v1, 16, v0
.LBB272_359:                            ;   in Loop: Header=BB272_9 Depth=1
	s_or_b32 exec_lo, exec_lo, s21
.LBB272_360:                            ;   in Loop: Header=BB272_9 Depth=1
	s_or_b32 exec_lo, exec_lo, s20
.LBB272_361:                            ;   in Loop: Header=BB272_9 Depth=1
	s_or_b32 exec_lo, exec_lo, s8
	flat_load_dword v8, v[24:25] offset:1288
	v_mov_b32_e32 v62, 0
	v_mov_b32_e32 v63, 0
	s_waitcnt vmcnt(0) lgkmcnt(0)
	v_cmp_ne_u16_sdwa s7, v8, v13 src0_sel:BYTE_0 src1_sel:DWORD
	s_and_saveexec_b32 s8, s7
	s_cbranch_execz .LBB272_369
; %bb.362:                              ;   in Loop: Header=BB272_9 Depth=1
	v_cmp_ne_u16_sdwa s7, v8, v52 src0_sel:BYTE_0 src1_sel:DWORD
	v_mov_b32_e32 v63, 0x8000
	s_and_saveexec_b32 s20, s7
	s_cbranch_execz .LBB272_368
; %bb.363:                              ;   in Loop: Header=BB272_9 Depth=1
	v_and_b32_e32 v2, 0x7f, v8
	v_mov_b32_e32 v63, 0x7c01
	s_mov_b32 s21, exec_lo
	v_cmpx_ne_u32_e32 0x7f, v2
	s_cbranch_execz .LBB272_367
; %bb.364:                              ;   in Loop: Header=BB272_9 Depth=1
	v_and_b32_e32 v0, 7, v8
	v_lshrrev_b32_e32 v1, 3, v2
	s_mov_b32 s22, exec_lo
	v_cmpx_gt_u32_e32 8, v2
; %bb.365:                              ;   in Loop: Header=BB272_9 Depth=1
	v_ffbh_u32_e32 v0, v0
	v_min_u32_e32 v2, 32, v0
	v_subrev_nc_u32_e32 v0, 28, v2
	v_lshlrev_b64 v[0:1], v0, v[8:9]
	v_sub_nc_u32_e32 v1, 29, v2
	v_and_b32_e32 v0, 7, v0
; %bb.366:                              ;   in Loop: Header=BB272_9 Depth=1
	s_or_b32 exec_lo, exec_lo, s22
	v_lshlrev_b32_e32 v2, 8, v8
	v_lshl_add_u32 v1, v1, 10, 0x2000
	v_lshlrev_b32_e32 v0, 7, v0
	v_and_b32_e32 v2, 0x8000, v2
	v_and_b32_e32 v1, 0xfc00, v1
	v_or3_b32 v63, v2, v1, v0
.LBB272_367:                            ;   in Loop: Header=BB272_9 Depth=1
	s_or_b32 exec_lo, exec_lo, s21
.LBB272_368:                            ;   in Loop: Header=BB272_9 Depth=1
	s_or_b32 exec_lo, exec_lo, s20
.LBB272_369:                            ;   in Loop: Header=BB272_9 Depth=1
	s_or_b32 exec_lo, exec_lo, s8
	v_lshrrev_b16 v12, 8, v8
	s_mov_b32 s8, exec_lo
	v_cmpx_ne_u16_e32 0, v12
	s_cbranch_execz .LBB272_377
; %bb.370:                              ;   in Loop: Header=BB272_9 Depth=1
	v_bfrev_b32_e32 v62, 1
	s_mov_b32 s20, exec_lo
	v_cmpx_ne_u16_e32 0x80, v12
	s_cbranch_execz .LBB272_376
; %bb.371:                              ;   in Loop: Header=BB272_9 Depth=1
	v_mov_b32_e32 v0, 0x7f
	v_mov_b32_e32 v62, 0x7c010000
	s_mov_b32 s21, exec_lo
	v_and_b32_sdwa v2, v12, v0 dst_sel:DWORD dst_unused:UNUSED_PAD src0_sel:WORD_0 src1_sel:DWORD
	v_cmpx_ne_u32_e32 0x7f, v2
	s_cbranch_execz .LBB272_375
; %bb.372:                              ;   in Loop: Header=BB272_9 Depth=1
	v_mov_b32_e32 v0, 7
	v_lshrrev_b32_e32 v1, 3, v2
	s_mov_b32 s22, exec_lo
	v_and_b32_sdwa v0, v12, v0 dst_sel:DWORD dst_unused:UNUSED_PAD src0_sel:WORD_0 src1_sel:DWORD
	v_cmpx_gt_u32_e32 8, v2
; %bb.373:                              ;   in Loop: Header=BB272_9 Depth=1
	v_ffbh_u32_e32 v0, v0
	v_min_u32_e32 v2, 32, v0
	v_subrev_nc_u32_e32 v0, 28, v2
	v_lshlrev_b64 v[0:1], v0, v[12:13]
	v_sub_nc_u32_e32 v1, 29, v2
	v_and_b32_e32 v0, 7, v0
; %bb.374:                              ;   in Loop: Header=BB272_9 Depth=1
	s_or_b32 exec_lo, exec_lo, s22
	v_mov_b32_e32 v2, 8
	v_lshl_add_u32 v1, v1, 10, 0x2000
	v_lshlrev_b32_e32 v0, 23, v0
	v_lshlrev_b32_sdwa v2, v2, v12 dst_sel:DWORD dst_unused:UNUSED_PAD src0_sel:DWORD src1_sel:WORD_0
	v_and_or_b32 v1, 0x8000, v2, v1
	v_lshl_or_b32 v62, v1, 16, v0
.LBB272_375:                            ;   in Loop: Header=BB272_9 Depth=1
	s_or_b32 exec_lo, exec_lo, s21
.LBB272_376:                            ;   in Loop: Header=BB272_9 Depth=1
	s_or_b32 exec_lo, exec_lo, s20
.LBB272_377:                            ;   in Loop: Header=BB272_9 Depth=1
	s_or_b32 exec_lo, exec_lo, s8
	v_lshrrev_b32_e32 v12, 16, v8
	v_mov_b32_e32 v72, 0
	v_mov_b32_e32 v73, 0
	v_cmp_ne_u16_sdwa s7, v12, v13 src0_sel:BYTE_0 src1_sel:DWORD
	s_and_saveexec_b32 s8, s7
	s_cbranch_execz .LBB272_385
; %bb.378:                              ;   in Loop: Header=BB272_9 Depth=1
	v_cmp_ne_u16_sdwa s7, v12, v52 src0_sel:BYTE_0 src1_sel:DWORD
	v_mov_b32_e32 v73, 0x8000
	s_and_saveexec_b32 s20, s7
	s_cbranch_execz .LBB272_384
; %bb.379:                              ;   in Loop: Header=BB272_9 Depth=1
	v_bfe_u32 v2, v8, 16, 7
	v_mov_b32_e32 v73, 0x7c01
	s_mov_b32 s21, exec_lo
	v_cmpx_ne_u32_e32 0x7f, v2
	s_cbranch_execz .LBB272_383
; %bb.380:                              ;   in Loop: Header=BB272_9 Depth=1
	v_and_b32_e32 v0, 7, v12
	v_lshrrev_b32_e32 v1, 3, v2
	s_mov_b32 s22, exec_lo
	v_cmpx_gt_u32_e32 8, v2
; %bb.381:                              ;   in Loop: Header=BB272_9 Depth=1
	v_ffbh_u32_e32 v0, v0
	v_min_u32_e32 v2, 32, v0
	v_subrev_nc_u32_e32 v0, 28, v2
	v_lshlrev_b64 v[0:1], v0, v[12:13]
	v_sub_nc_u32_e32 v1, 29, v2
	v_and_b32_e32 v0, 7, v0
; %bb.382:                              ;   in Loop: Header=BB272_9 Depth=1
	s_or_b32 exec_lo, exec_lo, s22
	v_lshlrev_b32_e32 v2, 8, v12
	v_lshl_add_u32 v1, v1, 10, 0x2000
	v_lshlrev_b32_e32 v0, 7, v0
	v_and_b32_e32 v2, 0x8000, v2
	v_and_b32_e32 v1, 0xfc00, v1
	v_or3_b32 v73, v2, v1, v0
.LBB272_383:                            ;   in Loop: Header=BB272_9 Depth=1
	s_or_b32 exec_lo, exec_lo, s21
.LBB272_384:                            ;   in Loop: Header=BB272_9 Depth=1
	s_or_b32 exec_lo, exec_lo, s20
.LBB272_385:                            ;   in Loop: Header=BB272_9 Depth=1
	s_or_b32 exec_lo, exec_lo, s8
	s_mov_b32 s8, exec_lo
	v_cmpx_lt_u32_e32 0xffffff, v8
	s_cbranch_execz .LBB272_393
; %bb.386:                              ;   in Loop: Header=BB272_9 Depth=1
	v_lshrrev_b32_e32 v12, 24, v8
	v_bfrev_b32_e32 v72, 1
	s_mov_b32 s20, exec_lo
	v_cmpx_ne_u32_e32 0x80, v12
	s_cbranch_execz .LBB272_392
; %bb.387:                              ;   in Loop: Header=BB272_9 Depth=1
	v_and_b32_e32 v2, 0x7f, v12
	v_mov_b32_e32 v72, 0x7c010000
	s_mov_b32 s21, exec_lo
	v_cmpx_ne_u32_e32 0x7f, v2
	s_cbranch_execz .LBB272_391
; %bb.388:                              ;   in Loop: Header=BB272_9 Depth=1
	v_and_b32_e32 v0, 7, v12
	v_lshrrev_b32_e32 v1, 3, v2
	s_mov_b32 s22, exec_lo
	v_cmpx_gt_u32_e32 8, v2
; %bb.389:                              ;   in Loop: Header=BB272_9 Depth=1
	v_ffbh_u32_e32 v0, v0
	v_min_u32_e32 v2, 32, v0
	v_subrev_nc_u32_e32 v0, 28, v2
	v_lshlrev_b64 v[0:1], v0, v[12:13]
	v_sub_nc_u32_e32 v1, 29, v2
	v_and_b32_e32 v0, 7, v0
; %bb.390:                              ;   in Loop: Header=BB272_9 Depth=1
	s_or_b32 exec_lo, exec_lo, s22
	v_lshlrev_b32_e32 v2, 8, v12
	v_lshl_add_u32 v1, v1, 10, 0x2000
	v_lshlrev_b32_e32 v0, 23, v0
	v_and_or_b32 v1, 0x8000, v2, v1
	v_lshl_or_b32 v72, v1, 16, v0
.LBB272_391:                            ;   in Loop: Header=BB272_9 Depth=1
	s_or_b32 exec_lo, exec_lo, s21
.LBB272_392:                            ;   in Loop: Header=BB272_9 Depth=1
	s_or_b32 exec_lo, exec_lo, s20
.LBB272_393:                            ;   in Loop: Header=BB272_9 Depth=1
	s_or_b32 exec_lo, exec_lo, s8
	flat_load_dword v8, v[24:25] offset:1536
	v_mov_b32_e32 v74, 0
	v_mov_b32_e32 v75, 0
	s_waitcnt vmcnt(0) lgkmcnt(0)
	v_cmp_ne_u16_sdwa s7, v8, v13 src0_sel:BYTE_0 src1_sel:DWORD
	s_and_saveexec_b32 s8, s7
	s_cbranch_execz .LBB272_401
; %bb.394:                              ;   in Loop: Header=BB272_9 Depth=1
	v_cmp_ne_u16_sdwa s7, v8, v52 src0_sel:BYTE_0 src1_sel:DWORD
	v_mov_b32_e32 v75, 0x8000
	s_and_saveexec_b32 s20, s7
	s_cbranch_execz .LBB272_400
; %bb.395:                              ;   in Loop: Header=BB272_9 Depth=1
	v_and_b32_e32 v2, 0x7f, v8
	v_mov_b32_e32 v75, 0x7c01
	s_mov_b32 s21, exec_lo
	v_cmpx_ne_u32_e32 0x7f, v2
	s_cbranch_execz .LBB272_399
; %bb.396:                              ;   in Loop: Header=BB272_9 Depth=1
	v_and_b32_e32 v0, 7, v8
	v_lshrrev_b32_e32 v1, 3, v2
	s_mov_b32 s22, exec_lo
	v_cmpx_gt_u32_e32 8, v2
; %bb.397:                              ;   in Loop: Header=BB272_9 Depth=1
	v_ffbh_u32_e32 v0, v0
	v_min_u32_e32 v2, 32, v0
	v_subrev_nc_u32_e32 v0, 28, v2
	v_lshlrev_b64 v[0:1], v0, v[8:9]
	v_sub_nc_u32_e32 v1, 29, v2
	v_and_b32_e32 v0, 7, v0
; %bb.398:                              ;   in Loop: Header=BB272_9 Depth=1
	s_or_b32 exec_lo, exec_lo, s22
	v_lshlrev_b32_e32 v2, 8, v8
	v_lshl_add_u32 v1, v1, 10, 0x2000
	v_lshlrev_b32_e32 v0, 7, v0
	v_and_b32_e32 v2, 0x8000, v2
	v_and_b32_e32 v1, 0xfc00, v1
	v_or3_b32 v75, v2, v1, v0
.LBB272_399:                            ;   in Loop: Header=BB272_9 Depth=1
	s_or_b32 exec_lo, exec_lo, s21
.LBB272_400:                            ;   in Loop: Header=BB272_9 Depth=1
	s_or_b32 exec_lo, exec_lo, s20
.LBB272_401:                            ;   in Loop: Header=BB272_9 Depth=1
	s_or_b32 exec_lo, exec_lo, s8
	v_lshrrev_b16 v12, 8, v8
	s_mov_b32 s8, exec_lo
	v_cmpx_ne_u16_e32 0, v12
	s_cbranch_execz .LBB272_409
; %bb.402:                              ;   in Loop: Header=BB272_9 Depth=1
	v_bfrev_b32_e32 v74, 1
	s_mov_b32 s20, exec_lo
	v_cmpx_ne_u16_e32 0x80, v12
	s_cbranch_execz .LBB272_408
; %bb.403:                              ;   in Loop: Header=BB272_9 Depth=1
	v_mov_b32_e32 v0, 0x7f
	v_mov_b32_e32 v74, 0x7c010000
	s_mov_b32 s21, exec_lo
	v_and_b32_sdwa v2, v12, v0 dst_sel:DWORD dst_unused:UNUSED_PAD src0_sel:WORD_0 src1_sel:DWORD
	v_cmpx_ne_u32_e32 0x7f, v2
	s_cbranch_execz .LBB272_407
; %bb.404:                              ;   in Loop: Header=BB272_9 Depth=1
	v_mov_b32_e32 v0, 7
	v_lshrrev_b32_e32 v1, 3, v2
	s_mov_b32 s22, exec_lo
	v_and_b32_sdwa v0, v12, v0 dst_sel:DWORD dst_unused:UNUSED_PAD src0_sel:WORD_0 src1_sel:DWORD
	v_cmpx_gt_u32_e32 8, v2
; %bb.405:                              ;   in Loop: Header=BB272_9 Depth=1
	v_ffbh_u32_e32 v0, v0
	v_min_u32_e32 v2, 32, v0
	v_subrev_nc_u32_e32 v0, 28, v2
	v_lshlrev_b64 v[0:1], v0, v[12:13]
	v_sub_nc_u32_e32 v1, 29, v2
	v_and_b32_e32 v0, 7, v0
; %bb.406:                              ;   in Loop: Header=BB272_9 Depth=1
	s_or_b32 exec_lo, exec_lo, s22
	v_mov_b32_e32 v2, 8
	v_lshl_add_u32 v1, v1, 10, 0x2000
	v_lshlrev_b32_e32 v0, 23, v0
	v_lshlrev_b32_sdwa v2, v2, v12 dst_sel:DWORD dst_unused:UNUSED_PAD src0_sel:DWORD src1_sel:WORD_0
	v_and_or_b32 v1, 0x8000, v2, v1
	v_lshl_or_b32 v74, v1, 16, v0
.LBB272_407:                            ;   in Loop: Header=BB272_9 Depth=1
	s_or_b32 exec_lo, exec_lo, s21
.LBB272_408:                            ;   in Loop: Header=BB272_9 Depth=1
	s_or_b32 exec_lo, exec_lo, s20
.LBB272_409:                            ;   in Loop: Header=BB272_9 Depth=1
	s_or_b32 exec_lo, exec_lo, s8
	v_lshrrev_b32_e32 v12, 16, v8
	v_mov_b32_e32 v76, 0
	v_mov_b32_e32 v77, 0
	v_cmp_ne_u16_sdwa s7, v12, v13 src0_sel:BYTE_0 src1_sel:DWORD
	s_and_saveexec_b32 s8, s7
	s_cbranch_execz .LBB272_417
; %bb.410:                              ;   in Loop: Header=BB272_9 Depth=1
	v_cmp_ne_u16_sdwa s7, v12, v52 src0_sel:BYTE_0 src1_sel:DWORD
	v_mov_b32_e32 v77, 0x8000
	s_and_saveexec_b32 s20, s7
	s_cbranch_execz .LBB272_416
; %bb.411:                              ;   in Loop: Header=BB272_9 Depth=1
	v_bfe_u32 v2, v8, 16, 7
	v_mov_b32_e32 v77, 0x7c01
	s_mov_b32 s21, exec_lo
	v_cmpx_ne_u32_e32 0x7f, v2
	s_cbranch_execz .LBB272_415
; %bb.412:                              ;   in Loop: Header=BB272_9 Depth=1
	v_and_b32_e32 v0, 7, v12
	v_lshrrev_b32_e32 v1, 3, v2
	s_mov_b32 s22, exec_lo
	v_cmpx_gt_u32_e32 8, v2
; %bb.413:                              ;   in Loop: Header=BB272_9 Depth=1
	v_ffbh_u32_e32 v0, v0
	v_min_u32_e32 v2, 32, v0
	v_subrev_nc_u32_e32 v0, 28, v2
	v_lshlrev_b64 v[0:1], v0, v[12:13]
	v_sub_nc_u32_e32 v1, 29, v2
	v_and_b32_e32 v0, 7, v0
; %bb.414:                              ;   in Loop: Header=BB272_9 Depth=1
	s_or_b32 exec_lo, exec_lo, s22
	v_lshlrev_b32_e32 v2, 8, v12
	v_lshl_add_u32 v1, v1, 10, 0x2000
	v_lshlrev_b32_e32 v0, 7, v0
	v_and_b32_e32 v2, 0x8000, v2
	v_and_b32_e32 v1, 0xfc00, v1
	v_or3_b32 v77, v2, v1, v0
.LBB272_415:                            ;   in Loop: Header=BB272_9 Depth=1
	s_or_b32 exec_lo, exec_lo, s21
.LBB272_416:                            ;   in Loop: Header=BB272_9 Depth=1
	s_or_b32 exec_lo, exec_lo, s20
.LBB272_417:                            ;   in Loop: Header=BB272_9 Depth=1
	s_or_b32 exec_lo, exec_lo, s8
	s_mov_b32 s8, exec_lo
	v_cmpx_lt_u32_e32 0xffffff, v8
	s_cbranch_execz .LBB272_425
; %bb.418:                              ;   in Loop: Header=BB272_9 Depth=1
	v_lshrrev_b32_e32 v12, 24, v8
	v_bfrev_b32_e32 v76, 1
	s_mov_b32 s20, exec_lo
	v_cmpx_ne_u32_e32 0x80, v12
	s_cbranch_execz .LBB272_424
; %bb.419:                              ;   in Loop: Header=BB272_9 Depth=1
	v_and_b32_e32 v2, 0x7f, v12
	v_mov_b32_e32 v76, 0x7c010000
	s_mov_b32 s21, exec_lo
	v_cmpx_ne_u32_e32 0x7f, v2
	s_cbranch_execz .LBB272_423
; %bb.420:                              ;   in Loop: Header=BB272_9 Depth=1
	v_and_b32_e32 v0, 7, v12
	v_lshrrev_b32_e32 v1, 3, v2
	s_mov_b32 s22, exec_lo
	v_cmpx_gt_u32_e32 8, v2
; %bb.421:                              ;   in Loop: Header=BB272_9 Depth=1
	v_ffbh_u32_e32 v0, v0
	v_min_u32_e32 v2, 32, v0
	v_subrev_nc_u32_e32 v0, 28, v2
	v_lshlrev_b64 v[0:1], v0, v[12:13]
	v_sub_nc_u32_e32 v1, 29, v2
	v_and_b32_e32 v0, 7, v0
; %bb.422:                              ;   in Loop: Header=BB272_9 Depth=1
	s_or_b32 exec_lo, exec_lo, s22
	v_lshlrev_b32_e32 v2, 8, v12
	v_lshl_add_u32 v1, v1, 10, 0x2000
	v_lshlrev_b32_e32 v0, 23, v0
	v_and_or_b32 v1, 0x8000, v2, v1
	v_lshl_or_b32 v76, v1, 16, v0
.LBB272_423:                            ;   in Loop: Header=BB272_9 Depth=1
	s_or_b32 exec_lo, exec_lo, s21
.LBB272_424:                            ;   in Loop: Header=BB272_9 Depth=1
	s_or_b32 exec_lo, exec_lo, s20
.LBB272_425:                            ;   in Loop: Header=BB272_9 Depth=1
	s_or_b32 exec_lo, exec_lo, s8
	flat_load_dword v8, v[24:25] offset:1544
	v_mov_b32_e32 v78, 0
	v_mov_b32_e32 v79, 0
	s_waitcnt vmcnt(0) lgkmcnt(0)
	v_cmp_ne_u16_sdwa s7, v8, v13 src0_sel:BYTE_0 src1_sel:DWORD
	s_and_saveexec_b32 s8, s7
	s_cbranch_execz .LBB272_433
; %bb.426:                              ;   in Loop: Header=BB272_9 Depth=1
	v_cmp_ne_u16_sdwa s7, v8, v52 src0_sel:BYTE_0 src1_sel:DWORD
	v_mov_b32_e32 v79, 0x8000
	s_and_saveexec_b32 s20, s7
	s_cbranch_execz .LBB272_432
; %bb.427:                              ;   in Loop: Header=BB272_9 Depth=1
	v_and_b32_e32 v2, 0x7f, v8
	v_mov_b32_e32 v79, 0x7c01
	s_mov_b32 s21, exec_lo
	v_cmpx_ne_u32_e32 0x7f, v2
	s_cbranch_execz .LBB272_431
; %bb.428:                              ;   in Loop: Header=BB272_9 Depth=1
	v_and_b32_e32 v0, 7, v8
	v_lshrrev_b32_e32 v1, 3, v2
	s_mov_b32 s22, exec_lo
	v_cmpx_gt_u32_e32 8, v2
; %bb.429:                              ;   in Loop: Header=BB272_9 Depth=1
	v_ffbh_u32_e32 v0, v0
	v_min_u32_e32 v2, 32, v0
	v_subrev_nc_u32_e32 v0, 28, v2
	v_lshlrev_b64 v[0:1], v0, v[8:9]
	v_sub_nc_u32_e32 v1, 29, v2
	v_and_b32_e32 v0, 7, v0
; %bb.430:                              ;   in Loop: Header=BB272_9 Depth=1
	s_or_b32 exec_lo, exec_lo, s22
	v_lshlrev_b32_e32 v2, 8, v8
	v_lshl_add_u32 v1, v1, 10, 0x2000
	v_lshlrev_b32_e32 v0, 7, v0
	v_and_b32_e32 v2, 0x8000, v2
	v_and_b32_e32 v1, 0xfc00, v1
	v_or3_b32 v79, v2, v1, v0
.LBB272_431:                            ;   in Loop: Header=BB272_9 Depth=1
	s_or_b32 exec_lo, exec_lo, s21
.LBB272_432:                            ;   in Loop: Header=BB272_9 Depth=1
	s_or_b32 exec_lo, exec_lo, s20
.LBB272_433:                            ;   in Loop: Header=BB272_9 Depth=1
	s_or_b32 exec_lo, exec_lo, s8
	v_lshrrev_b16 v12, 8, v8
	s_mov_b32 s8, exec_lo
	v_cmpx_ne_u16_e32 0, v12
	s_cbranch_execz .LBB272_441
; %bb.434:                              ;   in Loop: Header=BB272_9 Depth=1
	v_bfrev_b32_e32 v78, 1
	s_mov_b32 s20, exec_lo
	v_cmpx_ne_u16_e32 0x80, v12
	s_cbranch_execz .LBB272_440
; %bb.435:                              ;   in Loop: Header=BB272_9 Depth=1
	v_mov_b32_e32 v0, 0x7f
	v_mov_b32_e32 v78, 0x7c010000
	s_mov_b32 s21, exec_lo
	v_and_b32_sdwa v2, v12, v0 dst_sel:DWORD dst_unused:UNUSED_PAD src0_sel:WORD_0 src1_sel:DWORD
	v_cmpx_ne_u32_e32 0x7f, v2
	s_cbranch_execz .LBB272_439
; %bb.436:                              ;   in Loop: Header=BB272_9 Depth=1
	v_mov_b32_e32 v0, 7
	v_lshrrev_b32_e32 v1, 3, v2
	s_mov_b32 s22, exec_lo
	v_and_b32_sdwa v0, v12, v0 dst_sel:DWORD dst_unused:UNUSED_PAD src0_sel:WORD_0 src1_sel:DWORD
	v_cmpx_gt_u32_e32 8, v2
; %bb.437:                              ;   in Loop: Header=BB272_9 Depth=1
	v_ffbh_u32_e32 v0, v0
	v_min_u32_e32 v2, 32, v0
	v_subrev_nc_u32_e32 v0, 28, v2
	v_lshlrev_b64 v[0:1], v0, v[12:13]
	v_sub_nc_u32_e32 v1, 29, v2
	v_and_b32_e32 v0, 7, v0
; %bb.438:                              ;   in Loop: Header=BB272_9 Depth=1
	s_or_b32 exec_lo, exec_lo, s22
	v_mov_b32_e32 v2, 8
	v_lshl_add_u32 v1, v1, 10, 0x2000
	v_lshlrev_b32_e32 v0, 23, v0
	v_lshlrev_b32_sdwa v2, v2, v12 dst_sel:DWORD dst_unused:UNUSED_PAD src0_sel:DWORD src1_sel:WORD_0
	v_and_or_b32 v1, 0x8000, v2, v1
	v_lshl_or_b32 v78, v1, 16, v0
.LBB272_439:                            ;   in Loop: Header=BB272_9 Depth=1
	s_or_b32 exec_lo, exec_lo, s21
.LBB272_440:                            ;   in Loop: Header=BB272_9 Depth=1
	s_or_b32 exec_lo, exec_lo, s20
.LBB272_441:                            ;   in Loop: Header=BB272_9 Depth=1
	s_or_b32 exec_lo, exec_lo, s8
	v_lshrrev_b32_e32 v12, 16, v8
	v_mov_b32_e32 v88, 0
	v_mov_b32_e32 v89, 0
	v_cmp_ne_u16_sdwa s7, v12, v13 src0_sel:BYTE_0 src1_sel:DWORD
	s_and_saveexec_b32 s8, s7
	s_cbranch_execz .LBB272_449
; %bb.442:                              ;   in Loop: Header=BB272_9 Depth=1
	v_cmp_ne_u16_sdwa s7, v12, v52 src0_sel:BYTE_0 src1_sel:DWORD
	v_mov_b32_e32 v89, 0x8000
	s_and_saveexec_b32 s20, s7
	s_cbranch_execz .LBB272_448
; %bb.443:                              ;   in Loop: Header=BB272_9 Depth=1
	v_bfe_u32 v2, v8, 16, 7
	v_mov_b32_e32 v89, 0x7c01
	s_mov_b32 s21, exec_lo
	v_cmpx_ne_u32_e32 0x7f, v2
	s_cbranch_execz .LBB272_447
; %bb.444:                              ;   in Loop: Header=BB272_9 Depth=1
	v_and_b32_e32 v0, 7, v12
	v_lshrrev_b32_e32 v1, 3, v2
	s_mov_b32 s22, exec_lo
	v_cmpx_gt_u32_e32 8, v2
; %bb.445:                              ;   in Loop: Header=BB272_9 Depth=1
	v_ffbh_u32_e32 v0, v0
	v_min_u32_e32 v2, 32, v0
	v_subrev_nc_u32_e32 v0, 28, v2
	v_lshlrev_b64 v[0:1], v0, v[12:13]
	v_sub_nc_u32_e32 v1, 29, v2
	v_and_b32_e32 v0, 7, v0
; %bb.446:                              ;   in Loop: Header=BB272_9 Depth=1
	s_or_b32 exec_lo, exec_lo, s22
	v_lshlrev_b32_e32 v2, 8, v12
	v_lshl_add_u32 v1, v1, 10, 0x2000
	v_lshlrev_b32_e32 v0, 7, v0
	v_and_b32_e32 v2, 0x8000, v2
	v_and_b32_e32 v1, 0xfc00, v1
	v_or3_b32 v89, v2, v1, v0
.LBB272_447:                            ;   in Loop: Header=BB272_9 Depth=1
	s_or_b32 exec_lo, exec_lo, s21
.LBB272_448:                            ;   in Loop: Header=BB272_9 Depth=1
	s_or_b32 exec_lo, exec_lo, s20
.LBB272_449:                            ;   in Loop: Header=BB272_9 Depth=1
	s_or_b32 exec_lo, exec_lo, s8
	s_mov_b32 s8, exec_lo
	v_cmpx_lt_u32_e32 0xffffff, v8
	s_cbranch_execz .LBB272_457
; %bb.450:                              ;   in Loop: Header=BB272_9 Depth=1
	v_lshrrev_b32_e32 v12, 24, v8
	v_bfrev_b32_e32 v88, 1
	s_mov_b32 s20, exec_lo
	v_cmpx_ne_u32_e32 0x80, v12
	s_cbranch_execz .LBB272_456
; %bb.451:                              ;   in Loop: Header=BB272_9 Depth=1
	v_and_b32_e32 v2, 0x7f, v12
	v_mov_b32_e32 v88, 0x7c010000
	s_mov_b32 s21, exec_lo
	v_cmpx_ne_u32_e32 0x7f, v2
	s_cbranch_execz .LBB272_455
; %bb.452:                              ;   in Loop: Header=BB272_9 Depth=1
	v_and_b32_e32 v0, 7, v12
	v_lshrrev_b32_e32 v1, 3, v2
	s_mov_b32 s22, exec_lo
	v_cmpx_gt_u32_e32 8, v2
; %bb.453:                              ;   in Loop: Header=BB272_9 Depth=1
	v_ffbh_u32_e32 v0, v0
	v_min_u32_e32 v2, 32, v0
	v_subrev_nc_u32_e32 v0, 28, v2
	v_lshlrev_b64 v[0:1], v0, v[12:13]
	v_sub_nc_u32_e32 v1, 29, v2
	v_and_b32_e32 v0, 7, v0
; %bb.454:                              ;   in Loop: Header=BB272_9 Depth=1
	s_or_b32 exec_lo, exec_lo, s22
	v_lshlrev_b32_e32 v2, 8, v12
	v_lshl_add_u32 v1, v1, 10, 0x2000
	v_lshlrev_b32_e32 v0, 23, v0
	v_and_or_b32 v1, 0x8000, v2, v1
	v_lshl_or_b32 v88, v1, 16, v0
.LBB272_455:                            ;   in Loop: Header=BB272_9 Depth=1
	s_or_b32 exec_lo, exec_lo, s21
.LBB272_456:                            ;   in Loop: Header=BB272_9 Depth=1
	s_or_b32 exec_lo, exec_lo, s20
.LBB272_457:                            ;   in Loop: Header=BB272_9 Depth=1
	s_or_b32 exec_lo, exec_lo, s8
	flat_load_dword v8, v[24:25] offset:1792
	v_mov_b32_e32 v90, 0
	v_mov_b32_e32 v91, 0
	s_waitcnt vmcnt(0) lgkmcnt(0)
	v_cmp_ne_u16_sdwa s7, v8, v13 src0_sel:BYTE_0 src1_sel:DWORD
	s_and_saveexec_b32 s8, s7
	s_cbranch_execz .LBB272_465
; %bb.458:                              ;   in Loop: Header=BB272_9 Depth=1
	v_cmp_ne_u16_sdwa s7, v8, v52 src0_sel:BYTE_0 src1_sel:DWORD
	v_mov_b32_e32 v91, 0x8000
	s_and_saveexec_b32 s20, s7
	s_cbranch_execz .LBB272_464
; %bb.459:                              ;   in Loop: Header=BB272_9 Depth=1
	v_and_b32_e32 v2, 0x7f, v8
	v_mov_b32_e32 v91, 0x7c01
	s_mov_b32 s21, exec_lo
	v_cmpx_ne_u32_e32 0x7f, v2
	s_cbranch_execz .LBB272_463
; %bb.460:                              ;   in Loop: Header=BB272_9 Depth=1
	v_and_b32_e32 v0, 7, v8
	v_lshrrev_b32_e32 v1, 3, v2
	s_mov_b32 s22, exec_lo
	v_cmpx_gt_u32_e32 8, v2
; %bb.461:                              ;   in Loop: Header=BB272_9 Depth=1
	v_ffbh_u32_e32 v0, v0
	v_min_u32_e32 v2, 32, v0
	v_subrev_nc_u32_e32 v0, 28, v2
	v_lshlrev_b64 v[0:1], v0, v[8:9]
	v_sub_nc_u32_e32 v1, 29, v2
	v_and_b32_e32 v0, 7, v0
; %bb.462:                              ;   in Loop: Header=BB272_9 Depth=1
	s_or_b32 exec_lo, exec_lo, s22
	v_lshlrev_b32_e32 v2, 8, v8
	v_lshl_add_u32 v1, v1, 10, 0x2000
	v_lshlrev_b32_e32 v0, 7, v0
	v_and_b32_e32 v2, 0x8000, v2
	v_and_b32_e32 v1, 0xfc00, v1
	v_or3_b32 v91, v2, v1, v0
.LBB272_463:                            ;   in Loop: Header=BB272_9 Depth=1
	s_or_b32 exec_lo, exec_lo, s21
.LBB272_464:                            ;   in Loop: Header=BB272_9 Depth=1
	s_or_b32 exec_lo, exec_lo, s20
.LBB272_465:                            ;   in Loop: Header=BB272_9 Depth=1
	s_or_b32 exec_lo, exec_lo, s8
	v_lshrrev_b16 v12, 8, v8
	s_mov_b32 s8, exec_lo
	v_cmpx_ne_u16_e32 0, v12
	s_cbranch_execz .LBB272_473
; %bb.466:                              ;   in Loop: Header=BB272_9 Depth=1
	v_bfrev_b32_e32 v90, 1
	s_mov_b32 s20, exec_lo
	v_cmpx_ne_u16_e32 0x80, v12
	s_cbranch_execz .LBB272_472
; %bb.467:                              ;   in Loop: Header=BB272_9 Depth=1
	v_mov_b32_e32 v0, 0x7f
	v_mov_b32_e32 v90, 0x7c010000
	s_mov_b32 s21, exec_lo
	v_and_b32_sdwa v2, v12, v0 dst_sel:DWORD dst_unused:UNUSED_PAD src0_sel:WORD_0 src1_sel:DWORD
	v_cmpx_ne_u32_e32 0x7f, v2
	s_cbranch_execz .LBB272_471
; %bb.468:                              ;   in Loop: Header=BB272_9 Depth=1
	v_mov_b32_e32 v0, 7
	v_lshrrev_b32_e32 v1, 3, v2
	s_mov_b32 s22, exec_lo
	v_and_b32_sdwa v0, v12, v0 dst_sel:DWORD dst_unused:UNUSED_PAD src0_sel:WORD_0 src1_sel:DWORD
	v_cmpx_gt_u32_e32 8, v2
; %bb.469:                              ;   in Loop: Header=BB272_9 Depth=1
	v_ffbh_u32_e32 v0, v0
	v_min_u32_e32 v2, 32, v0
	v_subrev_nc_u32_e32 v0, 28, v2
	v_lshlrev_b64 v[0:1], v0, v[12:13]
	v_sub_nc_u32_e32 v1, 29, v2
	v_and_b32_e32 v0, 7, v0
; %bb.470:                              ;   in Loop: Header=BB272_9 Depth=1
	s_or_b32 exec_lo, exec_lo, s22
	v_mov_b32_e32 v2, 8
	v_lshl_add_u32 v1, v1, 10, 0x2000
	v_lshlrev_b32_e32 v0, 23, v0
	v_lshlrev_b32_sdwa v2, v2, v12 dst_sel:DWORD dst_unused:UNUSED_PAD src0_sel:DWORD src1_sel:WORD_0
	v_and_or_b32 v1, 0x8000, v2, v1
	v_lshl_or_b32 v90, v1, 16, v0
.LBB272_471:                            ;   in Loop: Header=BB272_9 Depth=1
	s_or_b32 exec_lo, exec_lo, s21
.LBB272_472:                            ;   in Loop: Header=BB272_9 Depth=1
	s_or_b32 exec_lo, exec_lo, s20
.LBB272_473:                            ;   in Loop: Header=BB272_9 Depth=1
	s_or_b32 exec_lo, exec_lo, s8
	v_lshrrev_b32_e32 v12, 16, v8
	v_mov_b32_e32 v92, 0
	v_mov_b32_e32 v93, 0
	v_cmp_ne_u16_sdwa s7, v12, v13 src0_sel:BYTE_0 src1_sel:DWORD
	s_and_saveexec_b32 s8, s7
	s_cbranch_execz .LBB272_481
; %bb.474:                              ;   in Loop: Header=BB272_9 Depth=1
	v_cmp_ne_u16_sdwa s7, v12, v52 src0_sel:BYTE_0 src1_sel:DWORD
	v_mov_b32_e32 v93, 0x8000
	s_and_saveexec_b32 s20, s7
	s_cbranch_execz .LBB272_480
; %bb.475:                              ;   in Loop: Header=BB272_9 Depth=1
	v_bfe_u32 v2, v8, 16, 7
	v_mov_b32_e32 v93, 0x7c01
	s_mov_b32 s21, exec_lo
	v_cmpx_ne_u32_e32 0x7f, v2
	s_cbranch_execz .LBB272_479
; %bb.476:                              ;   in Loop: Header=BB272_9 Depth=1
	v_and_b32_e32 v0, 7, v12
	v_lshrrev_b32_e32 v1, 3, v2
	s_mov_b32 s22, exec_lo
	v_cmpx_gt_u32_e32 8, v2
; %bb.477:                              ;   in Loop: Header=BB272_9 Depth=1
	v_ffbh_u32_e32 v0, v0
	v_min_u32_e32 v2, 32, v0
	v_subrev_nc_u32_e32 v0, 28, v2
	v_lshlrev_b64 v[0:1], v0, v[12:13]
	v_sub_nc_u32_e32 v1, 29, v2
	v_and_b32_e32 v0, 7, v0
; %bb.478:                              ;   in Loop: Header=BB272_9 Depth=1
	s_or_b32 exec_lo, exec_lo, s22
	v_lshlrev_b32_e32 v2, 8, v12
	v_lshl_add_u32 v1, v1, 10, 0x2000
	v_lshlrev_b32_e32 v0, 7, v0
	v_and_b32_e32 v2, 0x8000, v2
	v_and_b32_e32 v1, 0xfc00, v1
	v_or3_b32 v93, v2, v1, v0
.LBB272_479:                            ;   in Loop: Header=BB272_9 Depth=1
	s_or_b32 exec_lo, exec_lo, s21
.LBB272_480:                            ;   in Loop: Header=BB272_9 Depth=1
	s_or_b32 exec_lo, exec_lo, s20
.LBB272_481:                            ;   in Loop: Header=BB272_9 Depth=1
	s_or_b32 exec_lo, exec_lo, s8
	s_mov_b32 s8, exec_lo
	v_cmpx_lt_u32_e32 0xffffff, v8
	s_cbranch_execz .LBB272_489
; %bb.482:                              ;   in Loop: Header=BB272_9 Depth=1
	v_lshrrev_b32_e32 v12, 24, v8
	v_bfrev_b32_e32 v92, 1
	s_mov_b32 s20, exec_lo
	v_cmpx_ne_u32_e32 0x80, v12
	s_cbranch_execz .LBB272_488
; %bb.483:                              ;   in Loop: Header=BB272_9 Depth=1
	v_and_b32_e32 v2, 0x7f, v12
	v_mov_b32_e32 v92, 0x7c010000
	s_mov_b32 s21, exec_lo
	v_cmpx_ne_u32_e32 0x7f, v2
	s_cbranch_execz .LBB272_487
; %bb.484:                              ;   in Loop: Header=BB272_9 Depth=1
	v_and_b32_e32 v0, 7, v12
	v_lshrrev_b32_e32 v1, 3, v2
	s_mov_b32 s22, exec_lo
	v_cmpx_gt_u32_e32 8, v2
; %bb.485:                              ;   in Loop: Header=BB272_9 Depth=1
	v_ffbh_u32_e32 v0, v0
	v_min_u32_e32 v2, 32, v0
	v_subrev_nc_u32_e32 v0, 28, v2
	v_lshlrev_b64 v[0:1], v0, v[12:13]
	v_sub_nc_u32_e32 v1, 29, v2
	v_and_b32_e32 v0, 7, v0
; %bb.486:                              ;   in Loop: Header=BB272_9 Depth=1
	s_or_b32 exec_lo, exec_lo, s22
	v_lshlrev_b32_e32 v2, 8, v12
	v_lshl_add_u32 v1, v1, 10, 0x2000
	v_lshlrev_b32_e32 v0, 23, v0
	v_and_or_b32 v1, 0x8000, v2, v1
	v_lshl_or_b32 v92, v1, 16, v0
.LBB272_487:                            ;   in Loop: Header=BB272_9 Depth=1
	s_or_b32 exec_lo, exec_lo, s21
.LBB272_488:                            ;   in Loop: Header=BB272_9 Depth=1
	s_or_b32 exec_lo, exec_lo, s20
.LBB272_489:                            ;   in Loop: Header=BB272_9 Depth=1
	s_or_b32 exec_lo, exec_lo, s8
	flat_load_dword v8, v[24:25] offset:1800
	v_mov_b32_e32 v25, 0
	v_mov_b32_e32 v106, 0
	s_waitcnt vmcnt(0) lgkmcnt(0)
	v_cmp_ne_u16_sdwa s7, v8, v13 src0_sel:BYTE_0 src1_sel:DWORD
	s_and_saveexec_b32 s8, s7
	s_cbranch_execz .LBB272_497
; %bb.490:                              ;   in Loop: Header=BB272_9 Depth=1
	v_cmp_ne_u16_sdwa s7, v8, v52 src0_sel:BYTE_0 src1_sel:DWORD
	v_mov_b32_e32 v106, 0x8000
	s_and_saveexec_b32 s20, s7
	s_cbranch_execz .LBB272_496
; %bb.491:                              ;   in Loop: Header=BB272_9 Depth=1
	v_and_b32_e32 v2, 0x7f, v8
	v_mov_b32_e32 v106, 0x7c01
	s_mov_b32 s21, exec_lo
	v_cmpx_ne_u32_e32 0x7f, v2
	s_cbranch_execz .LBB272_495
; %bb.492:                              ;   in Loop: Header=BB272_9 Depth=1
	v_and_b32_e32 v0, 7, v8
	v_lshrrev_b32_e32 v1, 3, v2
	s_mov_b32 s22, exec_lo
	v_cmpx_gt_u32_e32 8, v2
; %bb.493:                              ;   in Loop: Header=BB272_9 Depth=1
	v_ffbh_u32_e32 v0, v0
	v_min_u32_e32 v2, 32, v0
	v_subrev_nc_u32_e32 v0, 28, v2
	v_lshlrev_b64 v[0:1], v0, v[8:9]
	v_sub_nc_u32_e32 v1, 29, v2
	v_and_b32_e32 v0, 7, v0
; %bb.494:                              ;   in Loop: Header=BB272_9 Depth=1
	s_or_b32 exec_lo, exec_lo, s22
	v_lshlrev_b32_e32 v2, 8, v8
	v_lshl_add_u32 v1, v1, 10, 0x2000
	v_lshlrev_b32_e32 v0, 7, v0
	v_and_b32_e32 v2, 0x8000, v2
	v_and_b32_e32 v1, 0xfc00, v1
	v_or3_b32 v106, v2, v1, v0
.LBB272_495:                            ;   in Loop: Header=BB272_9 Depth=1
	s_or_b32 exec_lo, exec_lo, s21
.LBB272_496:                            ;   in Loop: Header=BB272_9 Depth=1
	s_or_b32 exec_lo, exec_lo, s20
.LBB272_497:                            ;   in Loop: Header=BB272_9 Depth=1
	s_or_b32 exec_lo, exec_lo, s8
	v_lshrrev_b16 v12, 8, v8
	s_mov_b32 s8, exec_lo
	v_cmpx_ne_u16_e32 0, v12
	s_cbranch_execz .LBB272_505
; %bb.498:                              ;   in Loop: Header=BB272_9 Depth=1
	v_bfrev_b32_e32 v25, 1
	s_mov_b32 s20, exec_lo
	v_cmpx_ne_u16_e32 0x80, v12
	s_cbranch_execz .LBB272_504
; %bb.499:                              ;   in Loop: Header=BB272_9 Depth=1
	v_mov_b32_e32 v0, 0x7f
	v_mov_b32_e32 v25, 0x7c010000
	s_mov_b32 s21, exec_lo
	v_and_b32_sdwa v2, v12, v0 dst_sel:DWORD dst_unused:UNUSED_PAD src0_sel:WORD_0 src1_sel:DWORD
	v_cmpx_ne_u32_e32 0x7f, v2
	s_cbranch_execz .LBB272_503
; %bb.500:                              ;   in Loop: Header=BB272_9 Depth=1
	v_mov_b32_e32 v0, 7
	v_lshrrev_b32_e32 v1, 3, v2
	s_mov_b32 s22, exec_lo
	v_and_b32_sdwa v0, v12, v0 dst_sel:DWORD dst_unused:UNUSED_PAD src0_sel:WORD_0 src1_sel:DWORD
	v_cmpx_gt_u32_e32 8, v2
; %bb.501:                              ;   in Loop: Header=BB272_9 Depth=1
	v_ffbh_u32_e32 v0, v0
	v_min_u32_e32 v2, 32, v0
	v_subrev_nc_u32_e32 v0, 28, v2
	v_lshlrev_b64 v[0:1], v0, v[12:13]
	v_sub_nc_u32_e32 v1, 29, v2
	v_and_b32_e32 v0, 7, v0
; %bb.502:                              ;   in Loop: Header=BB272_9 Depth=1
	s_or_b32 exec_lo, exec_lo, s22
	v_mov_b32_e32 v2, 8
	v_lshl_add_u32 v1, v1, 10, 0x2000
	v_lshlrev_b32_e32 v0, 23, v0
	v_lshlrev_b32_sdwa v2, v2, v12 dst_sel:DWORD dst_unused:UNUSED_PAD src0_sel:DWORD src1_sel:WORD_0
	v_and_or_b32 v1, 0x8000, v2, v1
	v_lshl_or_b32 v25, v1, 16, v0
.LBB272_503:                            ;   in Loop: Header=BB272_9 Depth=1
	s_or_b32 exec_lo, exec_lo, s21
.LBB272_504:                            ;   in Loop: Header=BB272_9 Depth=1
	s_or_b32 exec_lo, exec_lo, s20
.LBB272_505:                            ;   in Loop: Header=BB272_9 Depth=1
	s_or_b32 exec_lo, exec_lo, s8
	v_lshrrev_b32_e32 v12, 16, v8
	v_mov_b32_e32 v110, 0
	v_mov_b32_e32 v111, 0
	v_cmp_ne_u16_sdwa s7, v12, v13 src0_sel:BYTE_0 src1_sel:DWORD
	s_and_saveexec_b32 s8, s7
	s_cbranch_execz .LBB272_513
; %bb.506:                              ;   in Loop: Header=BB272_9 Depth=1
	v_cmp_ne_u16_sdwa s7, v12, v52 src0_sel:BYTE_0 src1_sel:DWORD
	v_mov_b32_e32 v111, 0x8000
	s_and_saveexec_b32 s20, s7
	s_cbranch_execz .LBB272_512
; %bb.507:                              ;   in Loop: Header=BB272_9 Depth=1
	v_bfe_u32 v2, v8, 16, 7
	v_mov_b32_e32 v111, 0x7c01
	s_mov_b32 s21, exec_lo
	v_cmpx_ne_u32_e32 0x7f, v2
	s_cbranch_execz .LBB272_511
; %bb.508:                              ;   in Loop: Header=BB272_9 Depth=1
	v_and_b32_e32 v0, 7, v12
	v_lshrrev_b32_e32 v1, 3, v2
	s_mov_b32 s22, exec_lo
	v_cmpx_gt_u32_e32 8, v2
; %bb.509:                              ;   in Loop: Header=BB272_9 Depth=1
	v_ffbh_u32_e32 v0, v0
	v_min_u32_e32 v2, 32, v0
	v_subrev_nc_u32_e32 v0, 28, v2
	v_lshlrev_b64 v[0:1], v0, v[12:13]
	v_sub_nc_u32_e32 v1, 29, v2
	v_and_b32_e32 v0, 7, v0
; %bb.510:                              ;   in Loop: Header=BB272_9 Depth=1
	s_or_b32 exec_lo, exec_lo, s22
	v_lshlrev_b32_e32 v2, 8, v12
	v_lshl_add_u32 v1, v1, 10, 0x2000
	v_lshlrev_b32_e32 v0, 7, v0
	v_and_b32_e32 v2, 0x8000, v2
	v_and_b32_e32 v1, 0xfc00, v1
	v_or3_b32 v111, v2, v1, v0
.LBB272_511:                            ;   in Loop: Header=BB272_9 Depth=1
	s_or_b32 exec_lo, exec_lo, s21
.LBB272_512:                            ;   in Loop: Header=BB272_9 Depth=1
	s_or_b32 exec_lo, exec_lo, s20
.LBB272_513:                            ;   in Loop: Header=BB272_9 Depth=1
	s_or_b32 exec_lo, exec_lo, s8
	s_mov_b32 s8, exec_lo
	v_cmpx_lt_u32_e32 0xffffff, v8
	s_cbranch_execz .LBB272_521
; %bb.514:                              ;   in Loop: Header=BB272_9 Depth=1
	v_lshrrev_b32_e32 v12, 24, v8
	v_bfrev_b32_e32 v110, 1
	s_mov_b32 s20, exec_lo
	v_cmpx_ne_u32_e32 0x80, v12
	s_cbranch_execz .LBB272_520
; %bb.515:                              ;   in Loop: Header=BB272_9 Depth=1
	v_and_b32_e32 v2, 0x7f, v12
	v_mov_b32_e32 v110, 0x7c010000
	s_mov_b32 s21, exec_lo
	v_cmpx_ne_u32_e32 0x7f, v2
	s_cbranch_execz .LBB272_519
; %bb.516:                              ;   in Loop: Header=BB272_9 Depth=1
	v_and_b32_e32 v0, 7, v12
	v_lshrrev_b32_e32 v1, 3, v2
	s_mov_b32 s22, exec_lo
	v_cmpx_gt_u32_e32 8, v2
; %bb.517:                              ;   in Loop: Header=BB272_9 Depth=1
	v_ffbh_u32_e32 v0, v0
	v_min_u32_e32 v2, 32, v0
	v_subrev_nc_u32_e32 v0, 28, v2
	v_lshlrev_b64 v[0:1], v0, v[12:13]
	v_sub_nc_u32_e32 v1, 29, v2
	v_and_b32_e32 v0, 7, v0
; %bb.518:                              ;   in Loop: Header=BB272_9 Depth=1
	s_or_b32 exec_lo, exec_lo, s22
	v_lshlrev_b32_e32 v2, 8, v12
	v_lshl_add_u32 v1, v1, 10, 0x2000
	v_lshlrev_b32_e32 v0, 23, v0
	v_and_or_b32 v1, 0x8000, v2, v1
	v_lshl_or_b32 v110, v1, 16, v0
.LBB272_519:                            ;   in Loop: Header=BB272_9 Depth=1
	s_or_b32 exec_lo, exec_lo, s21
.LBB272_520:                            ;   in Loop: Header=BB272_9 Depth=1
	s_or_b32 exec_lo, exec_lo, s20
.LBB272_521:                            ;   in Loop: Header=BB272_9 Depth=1
	s_or_b32 exec_lo, exec_lo, s8
	buffer_load_dword v1, off, s[0:3], s32 offset:192 ; 4-byte Folded Reload
	v_add_co_u32 v0, s7, 0x800, v16
	v_add_co_ci_u32_e64 v2, null, 0, v17, s7
	v_mov_b32_e32 v124, 0
	v_mov_b32_e32 v125, 0
	s_waitcnt vmcnt(0)
	v_add_co_u32 v3, s7, v0, v1
	v_add_co_ci_u32_e64 v4, null, 0, v2, s7
	flat_load_dword v8, v[3:4]
	s_waitcnt vmcnt(0) lgkmcnt(0)
	v_cmp_ne_u16_sdwa s7, v8, v13 src0_sel:BYTE_0 src1_sel:DWORD
	s_and_saveexec_b32 s8, s7
	s_cbranch_execz .LBB272_529
; %bb.522:                              ;   in Loop: Header=BB272_9 Depth=1
	v_cmp_ne_u16_sdwa s7, v8, v52 src0_sel:BYTE_0 src1_sel:DWORD
	v_mov_b32_e32 v125, 0x8000
	s_and_saveexec_b32 s20, s7
	s_cbranch_execz .LBB272_528
; %bb.523:                              ;   in Loop: Header=BB272_9 Depth=1
	v_and_b32_e32 v4, 0x7f, v8
	v_mov_b32_e32 v125, 0x7c01
	s_mov_b32 s21, exec_lo
	v_cmpx_ne_u32_e32 0x7f, v4
	s_cbranch_execz .LBB272_527
; %bb.524:                              ;   in Loop: Header=BB272_9 Depth=1
	v_and_b32_e32 v1, 7, v8
	v_lshrrev_b32_e32 v3, 3, v4
	s_mov_b32 s22, exec_lo
	v_cmpx_gt_u32_e32 8, v4
; %bb.525:                              ;   in Loop: Header=BB272_9 Depth=1
	v_ffbh_u32_e32 v1, v1
	v_min_u32_e32 v1, 32, v1
	v_subrev_nc_u32_e32 v3, 28, v1
	v_lshlrev_b64 v[4:5], v3, v[8:9]
	v_sub_nc_u32_e32 v3, 29, v1
	v_and_b32_e32 v1, 7, v4
; %bb.526:                              ;   in Loop: Header=BB272_9 Depth=1
	s_or_b32 exec_lo, exec_lo, s22
	v_lshlrev_b32_e32 v4, 8, v8
	v_lshl_add_u32 v3, v3, 10, 0x2000
	v_lshlrev_b32_e32 v1, 7, v1
	v_and_b32_e32 v4, 0x8000, v4
	v_and_b32_e32 v3, 0xfc00, v3
	v_or3_b32 v125, v4, v3, v1
.LBB272_527:                            ;   in Loop: Header=BB272_9 Depth=1
	s_or_b32 exec_lo, exec_lo, s21
.LBB272_528:                            ;   in Loop: Header=BB272_9 Depth=1
	s_or_b32 exec_lo, exec_lo, s20
.LBB272_529:                            ;   in Loop: Header=BB272_9 Depth=1
	s_or_b32 exec_lo, exec_lo, s8
	v_lshrrev_b16 v12, 8, v8
	s_mov_b32 s8, exec_lo
	v_cmpx_ne_u16_e32 0, v12
	s_cbranch_execz .LBB272_537
; %bb.530:                              ;   in Loop: Header=BB272_9 Depth=1
	v_bfrev_b32_e32 v124, 1
	s_mov_b32 s20, exec_lo
	v_cmpx_ne_u16_e32 0x80, v12
	s_cbranch_execz .LBB272_536
; %bb.531:                              ;   in Loop: Header=BB272_9 Depth=1
	v_mov_b32_e32 v1, 0x7f
	v_mov_b32_e32 v124, 0x7c010000
	s_mov_b32 s21, exec_lo
	v_and_b32_sdwa v4, v12, v1 dst_sel:DWORD dst_unused:UNUSED_PAD src0_sel:WORD_0 src1_sel:DWORD
	v_cmpx_ne_u32_e32 0x7f, v4
	s_cbranch_execz .LBB272_535
; %bb.532:                              ;   in Loop: Header=BB272_9 Depth=1
	v_mov_b32_e32 v1, 7
	v_lshrrev_b32_e32 v3, 3, v4
	s_mov_b32 s22, exec_lo
	v_and_b32_sdwa v1, v12, v1 dst_sel:DWORD dst_unused:UNUSED_PAD src0_sel:WORD_0 src1_sel:DWORD
	v_cmpx_gt_u32_e32 8, v4
; %bb.533:                              ;   in Loop: Header=BB272_9 Depth=1
	v_ffbh_u32_e32 v1, v1
	v_min_u32_e32 v1, 32, v1
	v_subrev_nc_u32_e32 v3, 28, v1
	v_lshlrev_b64 v[4:5], v3, v[12:13]
	v_sub_nc_u32_e32 v3, 29, v1
	v_and_b32_e32 v1, 7, v4
; %bb.534:                              ;   in Loop: Header=BB272_9 Depth=1
	s_or_b32 exec_lo, exec_lo, s22
	v_mov_b32_e32 v4, 8
	v_lshl_add_u32 v3, v3, 10, 0x2000
	v_lshlrev_b32_e32 v1, 23, v1
	v_lshlrev_b32_sdwa v4, v4, v12 dst_sel:DWORD dst_unused:UNUSED_PAD src0_sel:DWORD src1_sel:WORD_0
	v_and_or_b32 v3, 0x8000, v4, v3
	v_lshl_or_b32 v124, v3, 16, v1
.LBB272_535:                            ;   in Loop: Header=BB272_9 Depth=1
	s_or_b32 exec_lo, exec_lo, s21
.LBB272_536:                            ;   in Loop: Header=BB272_9 Depth=1
	s_or_b32 exec_lo, exec_lo, s20
.LBB272_537:                            ;   in Loop: Header=BB272_9 Depth=1
	s_or_b32 exec_lo, exec_lo, s8
	v_lshrrev_b32_e32 v12, 16, v8
	v_mov_b32_e32 v1, 0
	v_mov_b32_e32 v19, 0
	v_cmp_ne_u16_sdwa s7, v12, v13 src0_sel:BYTE_0 src1_sel:DWORD
	s_and_saveexec_b32 s8, s7
	s_cbranch_execz .LBB272_545
; %bb.538:                              ;   in Loop: Header=BB272_9 Depth=1
	v_cmp_ne_u16_sdwa s7, v12, v52 src0_sel:BYTE_0 src1_sel:DWORD
	v_mov_b32_e32 v19, 0x8000
	s_and_saveexec_b32 s20, s7
	s_cbranch_execz .LBB272_544
; %bb.539:                              ;   in Loop: Header=BB272_9 Depth=1
	v_bfe_u32 v5, v8, 16, 7
	v_mov_b32_e32 v19, 0x7c01
	s_mov_b32 s21, exec_lo
	v_cmpx_ne_u32_e32 0x7f, v5
	s_cbranch_execz .LBB272_543
; %bb.540:                              ;   in Loop: Header=BB272_9 Depth=1
	v_and_b32_e32 v3, 7, v12
	v_lshrrev_b32_e32 v4, 3, v5
	s_mov_b32 s22, exec_lo
	v_cmpx_gt_u32_e32 8, v5
; %bb.541:                              ;   in Loop: Header=BB272_9 Depth=1
	v_ffbh_u32_e32 v3, v3
	v_min_u32_e32 v5, 32, v3
	v_subrev_nc_u32_e32 v3, 28, v5
	v_lshlrev_b64 v[3:4], v3, v[12:13]
	v_sub_nc_u32_e32 v4, 29, v5
	v_and_b32_e32 v3, 7, v3
; %bb.542:                              ;   in Loop: Header=BB272_9 Depth=1
	s_or_b32 exec_lo, exec_lo, s22
	v_lshlrev_b32_e32 v5, 8, v12
	v_lshl_add_u32 v4, v4, 10, 0x2000
	v_lshlrev_b32_e32 v3, 7, v3
	v_and_b32_e32 v5, 0x8000, v5
	v_and_b32_e32 v4, 0xfc00, v4
	v_or3_b32 v19, v5, v4, v3
.LBB272_543:                            ;   in Loop: Header=BB272_9 Depth=1
	s_or_b32 exec_lo, exec_lo, s21
.LBB272_544:                            ;   in Loop: Header=BB272_9 Depth=1
	s_or_b32 exec_lo, exec_lo, s20
.LBB272_545:                            ;   in Loop: Header=BB272_9 Depth=1
	s_or_b32 exec_lo, exec_lo, s8
	s_mov_b32 s8, exec_lo
	v_cmpx_lt_u32_e32 0xffffff, v8
	s_cbranch_execz .LBB272_553
; %bb.546:                              ;   in Loop: Header=BB272_9 Depth=1
	v_lshrrev_b32_e32 v12, 24, v8
	v_bfrev_b32_e32 v1, 1
	s_mov_b32 s20, exec_lo
	v_cmpx_ne_u32_e32 0x80, v12
	s_cbranch_execz .LBB272_552
; %bb.547:                              ;   in Loop: Header=BB272_9 Depth=1
	v_and_b32_e32 v4, 0x7f, v12
	v_mov_b32_e32 v1, 0x7c010000
	s_mov_b32 s21, exec_lo
	v_cmpx_ne_u32_e32 0x7f, v4
	s_cbranch_execz .LBB272_551
; %bb.548:                              ;   in Loop: Header=BB272_9 Depth=1
	v_and_b32_e32 v1, 7, v12
	v_lshrrev_b32_e32 v3, 3, v4
	s_mov_b32 s22, exec_lo
	v_cmpx_gt_u32_e32 8, v4
; %bb.549:                              ;   in Loop: Header=BB272_9 Depth=1
	v_ffbh_u32_e32 v1, v1
	v_min_u32_e32 v1, 32, v1
	v_subrev_nc_u32_e32 v3, 28, v1
	v_lshlrev_b64 v[4:5], v3, v[12:13]
	v_sub_nc_u32_e32 v3, 29, v1
	v_and_b32_e32 v1, 7, v4
; %bb.550:                              ;   in Loop: Header=BB272_9 Depth=1
	s_or_b32 exec_lo, exec_lo, s22
	v_lshlrev_b32_e32 v4, 8, v12
	v_lshl_add_u32 v3, v3, 10, 0x2000
	v_lshlrev_b32_e32 v1, 23, v1
	v_and_or_b32 v3, 0x8000, v4, v3
	v_lshl_or_b32 v1, v3, 16, v1
.LBB272_551:                            ;   in Loop: Header=BB272_9 Depth=1
	s_or_b32 exec_lo, exec_lo, s21
.LBB272_552:                            ;   in Loop: Header=BB272_9 Depth=1
	s_or_b32 exec_lo, exec_lo, s20
.LBB272_553:                            ;   in Loop: Header=BB272_9 Depth=1
	s_or_b32 exec_lo, exec_lo, s8
	buffer_load_dword v3, off, s[0:3], s32 offset:196 ; 4-byte Folded Reload
	v_mov_b32_e32 v34, 0
	v_mov_b32_e32 v30, 0
	s_waitcnt vmcnt(0)
	v_add_co_u32 v3, s7, v0, v3
	v_add_co_ci_u32_e64 v4, null, 0, v2, s7
	flat_load_dword v8, v[3:4]
	s_waitcnt vmcnt(0) lgkmcnt(0)
	v_cmp_ne_u16_sdwa s7, v8, v13 src0_sel:BYTE_0 src1_sel:DWORD
	s_and_saveexec_b32 s8, s7
	s_cbranch_execz .LBB272_561
; %bb.554:                              ;   in Loop: Header=BB272_9 Depth=1
	v_cmp_ne_u16_sdwa s7, v8, v52 src0_sel:BYTE_0 src1_sel:DWORD
	v_mov_b32_e32 v30, 0x8000
	s_and_saveexec_b32 s20, s7
	s_cbranch_execz .LBB272_560
; %bb.555:                              ;   in Loop: Header=BB272_9 Depth=1
	v_and_b32_e32 v3, 0x7f, v8
	v_mov_b32_e32 v30, 0x7c01
	s_mov_b32 s21, exec_lo
	v_cmpx_ne_u32_e32 0x7f, v3
	s_cbranch_execz .LBB272_559
; %bb.556:                              ;   in Loop: Header=BB272_9 Depth=1
	v_and_b32_e32 v0, 7, v8
	v_lshrrev_b32_e32 v2, 3, v3
	s_mov_b32 s22, exec_lo
	v_cmpx_gt_u32_e32 8, v3
; %bb.557:                              ;   in Loop: Header=BB272_9 Depth=1
	v_ffbh_u32_e32 v0, v0
	v_min_u32_e32 v0, 32, v0
	v_subrev_nc_u32_e32 v2, 28, v0
	v_lshlrev_b64 v[3:4], v2, v[8:9]
	v_sub_nc_u32_e32 v2, 29, v0
	v_and_b32_e32 v0, 7, v3
; %bb.558:                              ;   in Loop: Header=BB272_9 Depth=1
	s_or_b32 exec_lo, exec_lo, s22
	v_lshlrev_b32_e32 v3, 8, v8
	v_lshl_add_u32 v2, v2, 10, 0x2000
	v_lshlrev_b32_e32 v0, 7, v0
	v_and_b32_e32 v3, 0x8000, v3
	v_and_b32_e32 v2, 0xfc00, v2
	v_or3_b32 v30, v3, v2, v0
.LBB272_559:                            ;   in Loop: Header=BB272_9 Depth=1
	s_or_b32 exec_lo, exec_lo, s21
.LBB272_560:                            ;   in Loop: Header=BB272_9 Depth=1
	s_or_b32 exec_lo, exec_lo, s20
.LBB272_561:                            ;   in Loop: Header=BB272_9 Depth=1
	s_or_b32 exec_lo, exec_lo, s8
	v_lshrrev_b16 v12, 8, v8
	s_mov_b32 s8, exec_lo
	v_cmpx_ne_u16_e32 0, v12
	s_cbranch_execz .LBB272_569
; %bb.562:                              ;   in Loop: Header=BB272_9 Depth=1
	v_bfrev_b32_e32 v34, 1
	s_mov_b32 s20, exec_lo
	v_cmpx_ne_u16_e32 0x80, v12
	s_cbranch_execz .LBB272_568
; %bb.563:                              ;   in Loop: Header=BB272_9 Depth=1
	v_mov_b32_e32 v0, 0x7f
	v_mov_b32_e32 v34, 0x7c010000
	s_mov_b32 s21, exec_lo
	v_and_b32_sdwa v3, v12, v0 dst_sel:DWORD dst_unused:UNUSED_PAD src0_sel:WORD_0 src1_sel:DWORD
	v_cmpx_ne_u32_e32 0x7f, v3
	s_cbranch_execz .LBB272_567
; %bb.564:                              ;   in Loop: Header=BB272_9 Depth=1
	v_mov_b32_e32 v0, 7
	v_lshrrev_b32_e32 v2, 3, v3
	s_mov_b32 s22, exec_lo
	v_and_b32_sdwa v0, v12, v0 dst_sel:DWORD dst_unused:UNUSED_PAD src0_sel:WORD_0 src1_sel:DWORD
	v_cmpx_gt_u32_e32 8, v3
; %bb.565:                              ;   in Loop: Header=BB272_9 Depth=1
	v_ffbh_u32_e32 v0, v0
	v_min_u32_e32 v0, 32, v0
	v_subrev_nc_u32_e32 v2, 28, v0
	v_lshlrev_b64 v[3:4], v2, v[12:13]
	v_sub_nc_u32_e32 v2, 29, v0
	v_and_b32_e32 v0, 7, v3
; %bb.566:                              ;   in Loop: Header=BB272_9 Depth=1
	s_or_b32 exec_lo, exec_lo, s22
	v_mov_b32_e32 v3, 8
	v_lshl_add_u32 v2, v2, 10, 0x2000
	v_lshlrev_b32_e32 v0, 23, v0
	v_lshlrev_b32_sdwa v3, v3, v12 dst_sel:DWORD dst_unused:UNUSED_PAD src0_sel:DWORD src1_sel:WORD_0
	v_and_or_b32 v2, 0x8000, v3, v2
	v_lshl_or_b32 v34, v2, 16, v0
.LBB272_567:                            ;   in Loop: Header=BB272_9 Depth=1
	s_or_b32 exec_lo, exec_lo, s21
.LBB272_568:                            ;   in Loop: Header=BB272_9 Depth=1
	s_or_b32 exec_lo, exec_lo, s20
.LBB272_569:                            ;   in Loop: Header=BB272_9 Depth=1
	s_or_b32 exec_lo, exec_lo, s8
	v_lshrrev_b32_e32 v12, 16, v8
	v_mov_b32_e32 v2, 0
	v_mov_b32_e32 v33, 0
	v_cmp_ne_u16_sdwa s7, v12, v13 src0_sel:BYTE_0 src1_sel:DWORD
	s_and_saveexec_b32 s8, s7
	s_cbranch_execz .LBB272_577
; %bb.570:                              ;   in Loop: Header=BB272_9 Depth=1
	v_cmp_ne_u16_sdwa s7, v12, v52 src0_sel:BYTE_0 src1_sel:DWORD
	v_mov_b32_e32 v33, 0x8000
	s_and_saveexec_b32 s20, s7
	s_cbranch_execz .LBB272_576
; %bb.571:                              ;   in Loop: Header=BB272_9 Depth=1
	v_bfe_u32 v4, v8, 16, 7
	v_mov_b32_e32 v33, 0x7c01
	s_mov_b32 s21, exec_lo
	v_cmpx_ne_u32_e32 0x7f, v4
	s_cbranch_execz .LBB272_575
; %bb.572:                              ;   in Loop: Header=BB272_9 Depth=1
	v_and_b32_e32 v0, 7, v12
	v_lshrrev_b32_e32 v3, 3, v4
	s_mov_b32 s22, exec_lo
	v_cmpx_gt_u32_e32 8, v4
; %bb.573:                              ;   in Loop: Header=BB272_9 Depth=1
	v_ffbh_u32_e32 v0, v0
	v_min_u32_e32 v0, 32, v0
	v_subrev_nc_u32_e32 v3, 28, v0
	v_lshlrev_b64 v[4:5], v3, v[12:13]
	v_sub_nc_u32_e32 v3, 29, v0
	v_and_b32_e32 v0, 7, v4
; %bb.574:                              ;   in Loop: Header=BB272_9 Depth=1
	s_or_b32 exec_lo, exec_lo, s22
	v_lshlrev_b32_e32 v4, 8, v12
	v_lshl_add_u32 v3, v3, 10, 0x2000
	v_lshlrev_b32_e32 v0, 7, v0
	v_and_b32_e32 v4, 0x8000, v4
	v_and_b32_e32 v3, 0xfc00, v3
	v_or3_b32 v33, v4, v3, v0
.LBB272_575:                            ;   in Loop: Header=BB272_9 Depth=1
	s_or_b32 exec_lo, exec_lo, s21
.LBB272_576:                            ;   in Loop: Header=BB272_9 Depth=1
	s_or_b32 exec_lo, exec_lo, s20
.LBB272_577:                            ;   in Loop: Header=BB272_9 Depth=1
	s_or_b32 exec_lo, exec_lo, s8
	s_mov_b32 s8, exec_lo
	v_cmpx_lt_u32_e32 0xffffff, v8
	s_cbranch_execz .LBB272_585
; %bb.578:                              ;   in Loop: Header=BB272_9 Depth=1
	v_lshrrev_b32_e32 v12, 24, v8
	v_bfrev_b32_e32 v2, 1
	s_mov_b32 s20, exec_lo
	v_cmpx_ne_u32_e32 0x80, v12
	s_cbranch_execz .LBB272_584
; %bb.579:                              ;   in Loop: Header=BB272_9 Depth=1
	v_and_b32_e32 v3, 0x7f, v12
	v_mov_b32_e32 v2, 0x7c010000
	s_mov_b32 s21, exec_lo
	v_cmpx_ne_u32_e32 0x7f, v3
	s_cbranch_execz .LBB272_583
; %bb.580:                              ;   in Loop: Header=BB272_9 Depth=1
	v_and_b32_e32 v0, 7, v12
	v_lshrrev_b32_e32 v2, 3, v3
	s_mov_b32 s22, exec_lo
	v_cmpx_gt_u32_e32 8, v3
; %bb.581:                              ;   in Loop: Header=BB272_9 Depth=1
	v_ffbh_u32_e32 v0, v0
	v_min_u32_e32 v0, 32, v0
	v_subrev_nc_u32_e32 v2, 28, v0
	v_lshlrev_b64 v[3:4], v2, v[12:13]
	v_sub_nc_u32_e32 v2, 29, v0
	v_and_b32_e32 v0, 7, v3
; %bb.582:                              ;   in Loop: Header=BB272_9 Depth=1
	s_or_b32 exec_lo, exec_lo, s22
	v_lshlrev_b32_e32 v3, 8, v12
	v_lshl_add_u32 v2, v2, 10, 0x2000
	v_lshlrev_b32_e32 v0, 23, v0
	v_and_or_b32 v2, 0x8000, v3, v2
	v_lshl_or_b32 v2, v2, 16, v0
.LBB272_583:                            ;   in Loop: Header=BB272_9 Depth=1
	s_or_b32 exec_lo, exec_lo, s21
.LBB272_584:                            ;   in Loop: Header=BB272_9 Depth=1
	s_or_b32 exec_lo, exec_lo, s20
.LBB272_585:                            ;   in Loop: Header=BB272_9 Depth=1
	s_or_b32 exec_lo, exec_lo, s8
	buffer_load_dword v4, off, s[0:3], s32 offset:192 ; 4-byte Folded Reload
	v_add_co_u32 v0, s7, 0x900, v16
	v_add_co_ci_u32_e64 v3, null, 0, v17, s7
	v_mov_b32_e32 v31, 0
	s_waitcnt vmcnt(0)
	v_add_co_u32 v4, s7, v0, v4
	v_add_co_ci_u32_e64 v5, null, 0, v3, s7
	flat_load_dword v8, v[4:5]
	v_mov_b32_e32 v5, 0
	s_waitcnt vmcnt(0) lgkmcnt(0)
	v_cmp_ne_u16_sdwa s7, v8, v13 src0_sel:BYTE_0 src1_sel:DWORD
	s_and_saveexec_b32 s8, s7
	s_cbranch_execz .LBB272_593
; %bb.586:                              ;   in Loop: Header=BB272_9 Depth=1
	v_cmp_ne_u16_sdwa s7, v8, v52 src0_sel:BYTE_0 src1_sel:DWORD
	v_mov_b32_e32 v31, 0x8000
	s_and_saveexec_b32 s20, s7
	s_cbranch_execz .LBB272_592
; %bb.587:                              ;   in Loop: Header=BB272_9 Depth=1
	v_and_b32_e32 v7, 0x7f, v8
	v_mov_b32_e32 v31, 0x7c01
	s_mov_b32 s21, exec_lo
	v_cmpx_ne_u32_e32 0x7f, v7
	s_cbranch_execz .LBB272_591
; %bb.588:                              ;   in Loop: Header=BB272_9 Depth=1
	v_and_b32_e32 v4, 7, v8
	v_lshrrev_b32_e32 v6, 3, v7
	s_mov_b32 s22, exec_lo
	v_cmpx_gt_u32_e32 8, v7
; %bb.589:                              ;   in Loop: Header=BB272_9 Depth=1
	v_ffbh_u32_e32 v4, v4
	v_min_u32_e32 v4, 32, v4
	v_subrev_nc_u32_e32 v6, 28, v4
	v_lshlrev_b64 v[9:10], v6, v[8:9]
	v_sub_nc_u32_e32 v6, 29, v4
	v_and_b32_e32 v4, 7, v9
; %bb.590:                              ;   in Loop: Header=BB272_9 Depth=1
	s_or_b32 exec_lo, exec_lo, s22
	v_lshlrev_b32_e32 v7, 8, v8
	v_lshl_add_u32 v6, v6, 10, 0x2000
	v_lshlrev_b32_e32 v4, 7, v4
	v_and_b32_e32 v7, 0x8000, v7
	v_and_b32_e32 v6, 0xfc00, v6
	v_or3_b32 v31, v7, v6, v4
.LBB272_591:                            ;   in Loop: Header=BB272_9 Depth=1
	s_or_b32 exec_lo, exec_lo, s21
.LBB272_592:                            ;   in Loop: Header=BB272_9 Depth=1
	s_or_b32 exec_lo, exec_lo, s20
.LBB272_593:                            ;   in Loop: Header=BB272_9 Depth=1
	s_or_b32 exec_lo, exec_lo, s8
	v_lshrrev_b16 v12, 8, v8
	s_mov_b32 s8, exec_lo
	v_cmpx_ne_u16_e32 0, v12
	s_cbranch_execz .LBB272_601
; %bb.594:                              ;   in Loop: Header=BB272_9 Depth=1
	v_bfrev_b32_e32 v5, 1
	s_mov_b32 s20, exec_lo
	v_cmpx_ne_u16_e32 0x80, v12
	s_cbranch_execz .LBB272_600
; %bb.595:                              ;   in Loop: Header=BB272_9 Depth=1
	v_mov_b32_e32 v4, 0x7f
	v_mov_b32_e32 v5, 0x7c010000
	s_mov_b32 s21, exec_lo
	v_and_b32_sdwa v6, v12, v4 dst_sel:DWORD dst_unused:UNUSED_PAD src0_sel:WORD_0 src1_sel:DWORD
	v_cmpx_ne_u32_e32 0x7f, v6
	s_cbranch_execz .LBB272_599
; %bb.596:                              ;   in Loop: Header=BB272_9 Depth=1
	v_mov_b32_e32 v4, 7
	v_lshrrev_b32_e32 v5, 3, v6
	s_mov_b32 s22, exec_lo
	v_and_b32_sdwa v4, v12, v4 dst_sel:DWORD dst_unused:UNUSED_PAD src0_sel:WORD_0 src1_sel:DWORD
	v_cmpx_gt_u32_e32 8, v6
; %bb.597:                              ;   in Loop: Header=BB272_9 Depth=1
	v_ffbh_u32_e32 v4, v4
	v_min_u32_e32 v6, 32, v4
	v_subrev_nc_u32_e32 v4, 28, v6
	v_lshlrev_b64 v[4:5], v4, v[12:13]
	v_sub_nc_u32_e32 v5, 29, v6
	v_and_b32_e32 v4, 7, v4
; %bb.598:                              ;   in Loop: Header=BB272_9 Depth=1
	s_or_b32 exec_lo, exec_lo, s22
	v_mov_b32_e32 v6, 8
	v_lshl_add_u32 v5, v5, 10, 0x2000
	v_lshlrev_b32_e32 v4, 23, v4
	v_lshlrev_b32_sdwa v6, v6, v12 dst_sel:DWORD dst_unused:UNUSED_PAD src0_sel:DWORD src1_sel:WORD_0
	v_and_or_b32 v5, 0x8000, v6, v5
	v_lshl_or_b32 v5, v5, 16, v4
.LBB272_599:                            ;   in Loop: Header=BB272_9 Depth=1
	s_or_b32 exec_lo, exec_lo, s21
.LBB272_600:                            ;   in Loop: Header=BB272_9 Depth=1
	s_or_b32 exec_lo, exec_lo, s20
.LBB272_601:                            ;   in Loop: Header=BB272_9 Depth=1
	s_or_b32 exec_lo, exec_lo, s8
	v_lshrrev_b32_e32 v12, 16, v8
	v_mov_b32_e32 v54, 0
	v_mov_b32_e32 v55, 0
	v_cmp_ne_u16_sdwa s7, v12, v13 src0_sel:BYTE_0 src1_sel:DWORD
	s_and_saveexec_b32 s8, s7
	s_cbranch_execz .LBB272_609
; %bb.602:                              ;   in Loop: Header=BB272_9 Depth=1
	v_cmp_ne_u16_sdwa s7, v12, v52 src0_sel:BYTE_0 src1_sel:DWORD
	v_mov_b32_e32 v55, 0x8000
	s_and_saveexec_b32 s20, s7
	s_cbranch_execz .LBB272_608
; %bb.603:                              ;   in Loop: Header=BB272_9 Depth=1
	v_bfe_u32 v7, v8, 16, 7
	v_mov_b32_e32 v55, 0x7c01
	s_mov_b32 s21, exec_lo
	v_cmpx_ne_u32_e32 0x7f, v7
	s_cbranch_execz .LBB272_607
; %bb.604:                              ;   in Loop: Header=BB272_9 Depth=1
	v_and_b32_e32 v4, 7, v12
	v_lshrrev_b32_e32 v6, 3, v7
	s_mov_b32 s22, exec_lo
	v_cmpx_gt_u32_e32 8, v7
; %bb.605:                              ;   in Loop: Header=BB272_9 Depth=1
	v_ffbh_u32_e32 v4, v4
	v_min_u32_e32 v4, 32, v4
	v_subrev_nc_u32_e32 v6, 28, v4
	v_lshlrev_b64 v[9:10], v6, v[12:13]
	v_sub_nc_u32_e32 v6, 29, v4
	v_and_b32_e32 v4, 7, v9
; %bb.606:                              ;   in Loop: Header=BB272_9 Depth=1
	s_or_b32 exec_lo, exec_lo, s22
	v_lshlrev_b32_e32 v7, 8, v12
	v_lshl_add_u32 v6, v6, 10, 0x2000
	v_lshlrev_b32_e32 v4, 7, v4
	v_and_b32_e32 v7, 0x8000, v7
	v_and_b32_e32 v6, 0xfc00, v6
	v_or3_b32 v55, v7, v6, v4
.LBB272_607:                            ;   in Loop: Header=BB272_9 Depth=1
	s_or_b32 exec_lo, exec_lo, s21
.LBB272_608:                            ;   in Loop: Header=BB272_9 Depth=1
	s_or_b32 exec_lo, exec_lo, s20
.LBB272_609:                            ;   in Loop: Header=BB272_9 Depth=1
	s_or_b32 exec_lo, exec_lo, s8
	s_mov_b32 s8, exec_lo
	v_cmpx_lt_u32_e32 0xffffff, v8
	s_cbranch_execz .LBB272_617
; %bb.610:                              ;   in Loop: Header=BB272_9 Depth=1
	v_lshrrev_b32_e32 v12, 24, v8
	v_bfrev_b32_e32 v54, 1
	s_mov_b32 s20, exec_lo
	v_cmpx_ne_u32_e32 0x80, v12
	s_cbranch_execz .LBB272_616
; %bb.611:                              ;   in Loop: Header=BB272_9 Depth=1
	v_and_b32_e32 v7, 0x7f, v12
	v_mov_b32_e32 v54, 0x7c010000
	s_mov_b32 s21, exec_lo
	v_cmpx_ne_u32_e32 0x7f, v7
	s_cbranch_execz .LBB272_615
; %bb.612:                              ;   in Loop: Header=BB272_9 Depth=1
	v_and_b32_e32 v4, 7, v12
	v_lshrrev_b32_e32 v6, 3, v7
	s_mov_b32 s22, exec_lo
	v_cmpx_gt_u32_e32 8, v7
; %bb.613:                              ;   in Loop: Header=BB272_9 Depth=1
	v_ffbh_u32_e32 v4, v4
	v_min_u32_e32 v4, 32, v4
	v_subrev_nc_u32_e32 v6, 28, v4
	v_lshlrev_b64 v[7:8], v6, v[12:13]
	v_sub_nc_u32_e32 v6, 29, v4
	v_and_b32_e32 v4, 7, v7
; %bb.614:                              ;   in Loop: Header=BB272_9 Depth=1
	s_or_b32 exec_lo, exec_lo, s22
	v_lshlrev_b32_e32 v7, 8, v12
	v_lshl_add_u32 v6, v6, 10, 0x2000
	v_lshlrev_b32_e32 v4, 23, v4
	v_and_or_b32 v6, 0x8000, v7, v6
	v_lshl_or_b32 v54, v6, 16, v4
.LBB272_615:                            ;   in Loop: Header=BB272_9 Depth=1
	s_or_b32 exec_lo, exec_lo, s21
.LBB272_616:                            ;   in Loop: Header=BB272_9 Depth=1
	s_or_b32 exec_lo, exec_lo, s20
.LBB272_617:                            ;   in Loop: Header=BB272_9 Depth=1
	s_or_b32 exec_lo, exec_lo, s8
	buffer_load_dword v4, off, s[0:3], s32 offset:196 ; 4-byte Folded Reload
	v_mov_b32_e32 v66, 0
	v_mov_b32_e32 v69, 0
	s_waitcnt vmcnt(0)
	v_add_co_u32 v6, s7, v0, v4
	v_add_co_ci_u32_e64 v7, null, 0, v3, s7
	flat_load_dword v8, v[6:7]
	s_waitcnt vmcnt(0) lgkmcnt(0)
	v_cmp_ne_u16_sdwa s7, v8, v13 src0_sel:BYTE_0 src1_sel:DWORD
	s_and_saveexec_b32 s8, s7
	s_cbranch_execz .LBB272_625
; %bb.618:                              ;   in Loop: Header=BB272_9 Depth=1
	v_cmp_ne_u16_sdwa s7, v8, v52 src0_sel:BYTE_0 src1_sel:DWORD
	v_mov_b32_e32 v69, 0x8000
	s_and_saveexec_b32 s20, s7
	s_cbranch_execz .LBB272_624
; %bb.619:                              ;   in Loop: Header=BB272_9 Depth=1
	v_and_b32_e32 v4, 0x7f, v8
	v_mov_b32_e32 v69, 0x7c01
	s_mov_b32 s21, exec_lo
	v_cmpx_ne_u32_e32 0x7f, v4
	s_cbranch_execz .LBB272_623
; %bb.620:                              ;   in Loop: Header=BB272_9 Depth=1
	v_and_b32_e32 v0, 7, v8
	v_lshrrev_b32_e32 v3, 3, v4
	s_mov_b32 s22, exec_lo
	v_cmpx_gt_u32_e32 8, v4
; %bb.621:                              ;   in Loop: Header=BB272_9 Depth=1
	v_ffbh_u32_e32 v0, v0
	v_min_u32_e32 v0, 32, v0
	v_subrev_nc_u32_e32 v3, 28, v0
	v_lshlrev_b64 v[6:7], v3, v[8:9]
	v_sub_nc_u32_e32 v3, 29, v0
	v_and_b32_e32 v0, 7, v6
; %bb.622:                              ;   in Loop: Header=BB272_9 Depth=1
	s_or_b32 exec_lo, exec_lo, s22
	v_lshlrev_b32_e32 v4, 8, v8
	v_lshl_add_u32 v3, v3, 10, 0x2000
	v_lshlrev_b32_e32 v0, 7, v0
	v_and_b32_e32 v4, 0x8000, v4
	v_and_b32_e32 v3, 0xfc00, v3
	v_or3_b32 v69, v4, v3, v0
.LBB272_623:                            ;   in Loop: Header=BB272_9 Depth=1
	s_or_b32 exec_lo, exec_lo, s21
.LBB272_624:                            ;   in Loop: Header=BB272_9 Depth=1
	s_or_b32 exec_lo, exec_lo, s20
.LBB272_625:                            ;   in Loop: Header=BB272_9 Depth=1
	s_or_b32 exec_lo, exec_lo, s8
	v_lshrrev_b16 v12, 8, v8
	s_mov_b32 s8, exec_lo
	v_cmpx_ne_u16_e32 0, v12
	s_cbranch_execz .LBB272_633
; %bb.626:                              ;   in Loop: Header=BB272_9 Depth=1
	v_bfrev_b32_e32 v66, 1
	s_mov_b32 s20, exec_lo
	v_cmpx_ne_u16_e32 0x80, v12
	s_cbranch_execz .LBB272_632
; %bb.627:                              ;   in Loop: Header=BB272_9 Depth=1
	v_mov_b32_e32 v0, 0x7f
	v_mov_b32_e32 v66, 0x7c010000
	s_mov_b32 s21, exec_lo
	v_and_b32_sdwa v4, v12, v0 dst_sel:DWORD dst_unused:UNUSED_PAD src0_sel:WORD_0 src1_sel:DWORD
	v_cmpx_ne_u32_e32 0x7f, v4
	s_cbranch_execz .LBB272_631
; %bb.628:                              ;   in Loop: Header=BB272_9 Depth=1
	v_mov_b32_e32 v0, 7
	v_lshrrev_b32_e32 v3, 3, v4
	s_mov_b32 s22, exec_lo
	v_and_b32_sdwa v0, v12, v0 dst_sel:DWORD dst_unused:UNUSED_PAD src0_sel:WORD_0 src1_sel:DWORD
	v_cmpx_gt_u32_e32 8, v4
; %bb.629:                              ;   in Loop: Header=BB272_9 Depth=1
	v_ffbh_u32_e32 v0, v0
	v_min_u32_e32 v0, 32, v0
	v_subrev_nc_u32_e32 v3, 28, v0
	v_lshlrev_b64 v[6:7], v3, v[12:13]
	v_sub_nc_u32_e32 v3, 29, v0
	v_and_b32_e32 v0, 7, v6
; %bb.630:                              ;   in Loop: Header=BB272_9 Depth=1
	s_or_b32 exec_lo, exec_lo, s22
	v_mov_b32_e32 v4, 8
	v_lshl_add_u32 v3, v3, 10, 0x2000
	v_lshlrev_b32_e32 v0, 23, v0
	v_lshlrev_b32_sdwa v4, v4, v12 dst_sel:DWORD dst_unused:UNUSED_PAD src0_sel:DWORD src1_sel:WORD_0
	v_and_or_b32 v3, 0x8000, v4, v3
	v_lshl_or_b32 v66, v3, 16, v0
.LBB272_631:                            ;   in Loop: Header=BB272_9 Depth=1
	s_or_b32 exec_lo, exec_lo, s21
.LBB272_632:                            ;   in Loop: Header=BB272_9 Depth=1
	s_or_b32 exec_lo, exec_lo, s20
.LBB272_633:                            ;   in Loop: Header=BB272_9 Depth=1
	s_or_b32 exec_lo, exec_lo, s8
	v_lshrrev_b32_e32 v12, 16, v8
	v_mov_b32_e32 v87, 0
	v_mov_b32_e32 v97, 0
	v_cmp_ne_u16_sdwa s7, v12, v13 src0_sel:BYTE_0 src1_sel:DWORD
	s_and_saveexec_b32 s8, s7
	s_cbranch_execz .LBB272_641
; %bb.634:                              ;   in Loop: Header=BB272_9 Depth=1
	v_cmp_ne_u16_sdwa s7, v12, v52 src0_sel:BYTE_0 src1_sel:DWORD
	v_mov_b32_e32 v97, 0x8000
	s_and_saveexec_b32 s20, s7
	s_cbranch_execz .LBB272_640
; %bb.635:                              ;   in Loop: Header=BB272_9 Depth=1
	v_bfe_u32 v4, v8, 16, 7
	v_mov_b32_e32 v97, 0x7c01
	s_mov_b32 s21, exec_lo
	v_cmpx_ne_u32_e32 0x7f, v4
	s_cbranch_execz .LBB272_639
; %bb.636:                              ;   in Loop: Header=BB272_9 Depth=1
	v_and_b32_e32 v0, 7, v12
	v_lshrrev_b32_e32 v3, 3, v4
	s_mov_b32 s22, exec_lo
	v_cmpx_gt_u32_e32 8, v4
; %bb.637:                              ;   in Loop: Header=BB272_9 Depth=1
	v_ffbh_u32_e32 v0, v0
	v_min_u32_e32 v0, 32, v0
	v_subrev_nc_u32_e32 v3, 28, v0
	v_lshlrev_b64 v[6:7], v3, v[12:13]
	v_sub_nc_u32_e32 v3, 29, v0
	v_and_b32_e32 v0, 7, v6
; %bb.638:                              ;   in Loop: Header=BB272_9 Depth=1
	s_or_b32 exec_lo, exec_lo, s22
	v_lshlrev_b32_e32 v4, 8, v12
	v_lshl_add_u32 v3, v3, 10, 0x2000
	v_lshlrev_b32_e32 v0, 7, v0
	v_and_b32_e32 v4, 0x8000, v4
	v_and_b32_e32 v3, 0xfc00, v3
	v_or3_b32 v97, v4, v3, v0
.LBB272_639:                            ;   in Loop: Header=BB272_9 Depth=1
	s_or_b32 exec_lo, exec_lo, s21
.LBB272_640:                            ;   in Loop: Header=BB272_9 Depth=1
	s_or_b32 exec_lo, exec_lo, s20
.LBB272_641:                            ;   in Loop: Header=BB272_9 Depth=1
	s_or_b32 exec_lo, exec_lo, s8
	s_mov_b32 s8, exec_lo
	v_cmpx_lt_u32_e32 0xffffff, v8
	s_cbranch_execz .LBB272_649
; %bb.642:                              ;   in Loop: Header=BB272_9 Depth=1
	v_lshrrev_b32_e32 v12, 24, v8
	v_bfrev_b32_e32 v87, 1
	s_mov_b32 s20, exec_lo
	v_cmpx_ne_u32_e32 0x80, v12
	s_cbranch_execz .LBB272_648
; %bb.643:                              ;   in Loop: Header=BB272_9 Depth=1
	v_and_b32_e32 v4, 0x7f, v12
	v_mov_b32_e32 v87, 0x7c010000
	s_mov_b32 s21, exec_lo
	v_cmpx_ne_u32_e32 0x7f, v4
	s_cbranch_execz .LBB272_647
; %bb.644:                              ;   in Loop: Header=BB272_9 Depth=1
	v_and_b32_e32 v0, 7, v12
	v_lshrrev_b32_e32 v3, 3, v4
	s_mov_b32 s22, exec_lo
	v_cmpx_gt_u32_e32 8, v4
; %bb.645:                              ;   in Loop: Header=BB272_9 Depth=1
	v_ffbh_u32_e32 v0, v0
	v_min_u32_e32 v0, 32, v0
	v_subrev_nc_u32_e32 v3, 28, v0
	v_lshlrev_b64 v[6:7], v3, v[12:13]
	v_sub_nc_u32_e32 v3, 29, v0
	v_and_b32_e32 v0, 7, v6
; %bb.646:                              ;   in Loop: Header=BB272_9 Depth=1
	s_or_b32 exec_lo, exec_lo, s22
	v_lshlrev_b32_e32 v4, 8, v12
	v_lshl_add_u32 v3, v3, 10, 0x2000
	v_lshlrev_b32_e32 v0, 23, v0
	v_and_or_b32 v3, 0x8000, v4, v3
	v_lshl_or_b32 v87, v3, 16, v0
.LBB272_647:                            ;   in Loop: Header=BB272_9 Depth=1
	s_or_b32 exec_lo, exec_lo, s21
.LBB272_648:                            ;   in Loop: Header=BB272_9 Depth=1
	s_or_b32 exec_lo, exec_lo, s20
.LBB272_649:                            ;   in Loop: Header=BB272_9 Depth=1
	s_or_b32 exec_lo, exec_lo, s8
	buffer_load_dword v4, off, s[0:3], s32 offset:192 ; 4-byte Folded Reload
	v_add_co_u32 v0, s7, 0xa00, v16
	v_add_co_ci_u32_e64 v3, null, 0, v17, s7
	v_mov_b32_e32 v83, 0
	v_mov_b32_e32 v85, 0
	s_waitcnt vmcnt(0)
	v_add_co_u32 v6, s7, v0, v4
	v_add_co_ci_u32_e64 v7, null, 0, v3, s7
	flat_load_dword v8, v[6:7]
	s_waitcnt vmcnt(0) lgkmcnt(0)
	v_cmp_ne_u16_sdwa s7, v8, v13 src0_sel:BYTE_0 src1_sel:DWORD
	s_and_saveexec_b32 s8, s7
	s_cbranch_execz .LBB272_657
; %bb.650:                              ;   in Loop: Header=BB272_9 Depth=1
	v_cmp_ne_u16_sdwa s7, v8, v52 src0_sel:BYTE_0 src1_sel:DWORD
	v_mov_b32_e32 v85, 0x8000
	s_and_saveexec_b32 s20, s7
	s_cbranch_execz .LBB272_656
; %bb.651:                              ;   in Loop: Header=BB272_9 Depth=1
	v_and_b32_e32 v7, 0x7f, v8
	v_mov_b32_e32 v85, 0x7c01
	s_mov_b32 s21, exec_lo
	v_cmpx_ne_u32_e32 0x7f, v7
	s_cbranch_execz .LBB272_655
; %bb.652:                              ;   in Loop: Header=BB272_9 Depth=1
	v_and_b32_e32 v4, 7, v8
	v_lshrrev_b32_e32 v6, 3, v7
	s_mov_b32 s22, exec_lo
	v_cmpx_gt_u32_e32 8, v7
; %bb.653:                              ;   in Loop: Header=BB272_9 Depth=1
	v_ffbh_u32_e32 v4, v4
	v_min_u32_e32 v4, 32, v4
	v_subrev_nc_u32_e32 v6, 28, v4
	v_lshlrev_b64 v[9:10], v6, v[8:9]
	v_sub_nc_u32_e32 v6, 29, v4
	v_and_b32_e32 v4, 7, v9
; %bb.654:                              ;   in Loop: Header=BB272_9 Depth=1
	s_or_b32 exec_lo, exec_lo, s22
	v_lshlrev_b32_e32 v7, 8, v8
	v_lshl_add_u32 v6, v6, 10, 0x2000
	v_lshlrev_b32_e32 v4, 7, v4
	v_and_b32_e32 v7, 0x8000, v7
	v_and_b32_e32 v6, 0xfc00, v6
	v_or3_b32 v85, v7, v6, v4
.LBB272_655:                            ;   in Loop: Header=BB272_9 Depth=1
	s_or_b32 exec_lo, exec_lo, s21
.LBB272_656:                            ;   in Loop: Header=BB272_9 Depth=1
	s_or_b32 exec_lo, exec_lo, s20
.LBB272_657:                            ;   in Loop: Header=BB272_9 Depth=1
	s_or_b32 exec_lo, exec_lo, s8
	v_lshrrev_b16 v12, 8, v8
	s_mov_b32 s8, exec_lo
	v_cmpx_ne_u16_e32 0, v12
	s_cbranch_execz .LBB272_665
; %bb.658:                              ;   in Loop: Header=BB272_9 Depth=1
	v_bfrev_b32_e32 v83, 1
	s_mov_b32 s20, exec_lo
	v_cmpx_ne_u16_e32 0x80, v12
	s_cbranch_execz .LBB272_664
; %bb.659:                              ;   in Loop: Header=BB272_9 Depth=1
	v_mov_b32_e32 v4, 0x7f
	v_mov_b32_e32 v83, 0x7c010000
	s_mov_b32 s21, exec_lo
	v_and_b32_sdwa v7, v12, v4 dst_sel:DWORD dst_unused:UNUSED_PAD src0_sel:WORD_0 src1_sel:DWORD
	v_cmpx_ne_u32_e32 0x7f, v7
	s_cbranch_execz .LBB272_663
; %bb.660:                              ;   in Loop: Header=BB272_9 Depth=1
	v_mov_b32_e32 v4, 7
	v_lshrrev_b32_e32 v6, 3, v7
	s_mov_b32 s22, exec_lo
	v_and_b32_sdwa v4, v12, v4 dst_sel:DWORD dst_unused:UNUSED_PAD src0_sel:WORD_0 src1_sel:DWORD
	v_cmpx_gt_u32_e32 8, v7
; %bb.661:                              ;   in Loop: Header=BB272_9 Depth=1
	v_ffbh_u32_e32 v4, v4
	v_min_u32_e32 v4, 32, v4
	v_subrev_nc_u32_e32 v6, 28, v4
	v_lshlrev_b64 v[9:10], v6, v[12:13]
	v_sub_nc_u32_e32 v6, 29, v4
	v_and_b32_e32 v4, 7, v9
; %bb.662:                              ;   in Loop: Header=BB272_9 Depth=1
	s_or_b32 exec_lo, exec_lo, s22
	v_mov_b32_e32 v7, 8
	v_lshl_add_u32 v6, v6, 10, 0x2000
	v_lshlrev_b32_e32 v4, 23, v4
	v_lshlrev_b32_sdwa v7, v7, v12 dst_sel:DWORD dst_unused:UNUSED_PAD src0_sel:DWORD src1_sel:WORD_0
	v_and_or_b32 v6, 0x8000, v7, v6
	v_lshl_or_b32 v83, v6, 16, v4
.LBB272_663:                            ;   in Loop: Header=BB272_9 Depth=1
	s_or_b32 exec_lo, exec_lo, s21
.LBB272_664:                            ;   in Loop: Header=BB272_9 Depth=1
	s_or_b32 exec_lo, exec_lo, s20
.LBB272_665:                            ;   in Loop: Header=BB272_9 Depth=1
	s_or_b32 exec_lo, exec_lo, s8
	v_lshrrev_b32_e32 v12, 16, v8
	v_mov_b32_e32 v103, 0
	v_mov_b32_e32 v113, 0
	v_cmp_ne_u16_sdwa s7, v12, v13 src0_sel:BYTE_0 src1_sel:DWORD
	s_and_saveexec_b32 s8, s7
	s_cbranch_execz .LBB272_673
; %bb.666:                              ;   in Loop: Header=BB272_9 Depth=1
	v_cmp_ne_u16_sdwa s7, v12, v52 src0_sel:BYTE_0 src1_sel:DWORD
	v_mov_b32_e32 v113, 0x8000
	s_and_saveexec_b32 s20, s7
	s_cbranch_execz .LBB272_672
; %bb.667:                              ;   in Loop: Header=BB272_9 Depth=1
	v_bfe_u32 v7, v8, 16, 7
	v_mov_b32_e32 v113, 0x7c01
	s_mov_b32 s21, exec_lo
	v_cmpx_ne_u32_e32 0x7f, v7
	s_cbranch_execz .LBB272_671
; %bb.668:                              ;   in Loop: Header=BB272_9 Depth=1
	v_and_b32_e32 v4, 7, v12
	v_lshrrev_b32_e32 v6, 3, v7
	s_mov_b32 s22, exec_lo
	v_cmpx_gt_u32_e32 8, v7
; %bb.669:                              ;   in Loop: Header=BB272_9 Depth=1
	v_ffbh_u32_e32 v4, v4
	v_min_u32_e32 v4, 32, v4
	v_subrev_nc_u32_e32 v6, 28, v4
	v_lshlrev_b64 v[9:10], v6, v[12:13]
	v_sub_nc_u32_e32 v6, 29, v4
	v_and_b32_e32 v4, 7, v9
; %bb.670:                              ;   in Loop: Header=BB272_9 Depth=1
	s_or_b32 exec_lo, exec_lo, s22
	v_lshlrev_b32_e32 v7, 8, v12
	v_lshl_add_u32 v6, v6, 10, 0x2000
	v_lshlrev_b32_e32 v4, 7, v4
	v_and_b32_e32 v7, 0x8000, v7
	v_and_b32_e32 v6, 0xfc00, v6
	v_or3_b32 v113, v7, v6, v4
.LBB272_671:                            ;   in Loop: Header=BB272_9 Depth=1
	s_or_b32 exec_lo, exec_lo, s21
.LBB272_672:                            ;   in Loop: Header=BB272_9 Depth=1
	s_or_b32 exec_lo, exec_lo, s20
.LBB272_673:                            ;   in Loop: Header=BB272_9 Depth=1
	s_or_b32 exec_lo, exec_lo, s8
	s_mov_b32 s8, exec_lo
	v_cmpx_lt_u32_e32 0xffffff, v8
	s_cbranch_execz .LBB272_681
; %bb.674:                              ;   in Loop: Header=BB272_9 Depth=1
	v_lshrrev_b32_e32 v12, 24, v8
	v_bfrev_b32_e32 v103, 1
	s_mov_b32 s20, exec_lo
	v_cmpx_ne_u32_e32 0x80, v12
	s_cbranch_execz .LBB272_680
; %bb.675:                              ;   in Loop: Header=BB272_9 Depth=1
	v_and_b32_e32 v7, 0x7f, v12
	v_mov_b32_e32 v103, 0x7c010000
	s_mov_b32 s21, exec_lo
	v_cmpx_ne_u32_e32 0x7f, v7
	s_cbranch_execz .LBB272_679
; %bb.676:                              ;   in Loop: Header=BB272_9 Depth=1
	v_and_b32_e32 v4, 7, v12
	v_lshrrev_b32_e32 v6, 3, v7
	s_mov_b32 s22, exec_lo
	v_cmpx_gt_u32_e32 8, v7
; %bb.677:                              ;   in Loop: Header=BB272_9 Depth=1
	v_ffbh_u32_e32 v4, v4
	v_min_u32_e32 v4, 32, v4
	v_subrev_nc_u32_e32 v6, 28, v4
	v_lshlrev_b64 v[7:8], v6, v[12:13]
	v_sub_nc_u32_e32 v6, 29, v4
	v_and_b32_e32 v4, 7, v7
; %bb.678:                              ;   in Loop: Header=BB272_9 Depth=1
	s_or_b32 exec_lo, exec_lo, s22
	v_lshlrev_b32_e32 v7, 8, v12
	v_lshl_add_u32 v6, v6, 10, 0x2000
	v_lshlrev_b32_e32 v4, 23, v4
	v_and_or_b32 v6, 0x8000, v7, v6
	v_lshl_or_b32 v103, v6, 16, v4
.LBB272_679:                            ;   in Loop: Header=BB272_9 Depth=1
	s_or_b32 exec_lo, exec_lo, s21
.LBB272_680:                            ;   in Loop: Header=BB272_9 Depth=1
	s_or_b32 exec_lo, exec_lo, s20
.LBB272_681:                            ;   in Loop: Header=BB272_9 Depth=1
	s_or_b32 exec_lo, exec_lo, s8
	buffer_load_dword v4, off, s[0:3], s32 offset:196 ; 4-byte Folded Reload
	v_mov_b32_e32 v39, 0
	v_mov_b32_e32 v53, 0
	s_waitcnt vmcnt(0)
	v_add_co_u32 v6, s7, v0, v4
	v_add_co_ci_u32_e64 v7, null, 0, v3, s7
	flat_load_dword v8, v[6:7]
	s_waitcnt vmcnt(0) lgkmcnt(0)
	v_cmp_ne_u16_sdwa s7, v8, v13 src0_sel:BYTE_0 src1_sel:DWORD
	s_and_saveexec_b32 s8, s7
	s_cbranch_execz .LBB272_689
; %bb.682:                              ;   in Loop: Header=BB272_9 Depth=1
	v_cmp_ne_u16_sdwa s7, v8, v52 src0_sel:BYTE_0 src1_sel:DWORD
	v_mov_b32_e32 v53, 0x8000
	s_and_saveexec_b32 s20, s7
	s_cbranch_execz .LBB272_688
; %bb.683:                              ;   in Loop: Header=BB272_9 Depth=1
	v_and_b32_e32 v4, 0x7f, v8
	v_mov_b32_e32 v53, 0x7c01
	s_mov_b32 s21, exec_lo
	v_cmpx_ne_u32_e32 0x7f, v4
	s_cbranch_execz .LBB272_687
; %bb.684:                              ;   in Loop: Header=BB272_9 Depth=1
	v_and_b32_e32 v0, 7, v8
	v_lshrrev_b32_e32 v3, 3, v4
	s_mov_b32 s22, exec_lo
	v_cmpx_gt_u32_e32 8, v4
; %bb.685:                              ;   in Loop: Header=BB272_9 Depth=1
	v_ffbh_u32_e32 v0, v0
	v_min_u32_e32 v0, 32, v0
	v_subrev_nc_u32_e32 v3, 28, v0
	v_lshlrev_b64 v[6:7], v3, v[8:9]
	v_sub_nc_u32_e32 v3, 29, v0
	v_and_b32_e32 v0, 7, v6
; %bb.686:                              ;   in Loop: Header=BB272_9 Depth=1
	s_or_b32 exec_lo, exec_lo, s22
	v_lshlrev_b32_e32 v4, 8, v8
	v_lshl_add_u32 v3, v3, 10, 0x2000
	v_lshlrev_b32_e32 v0, 7, v0
	v_and_b32_e32 v4, 0x8000, v4
	v_and_b32_e32 v3, 0xfc00, v3
	v_or3_b32 v53, v4, v3, v0
.LBB272_687:                            ;   in Loop: Header=BB272_9 Depth=1
	s_or_b32 exec_lo, exec_lo, s21
.LBB272_688:                            ;   in Loop: Header=BB272_9 Depth=1
	s_or_b32 exec_lo, exec_lo, s20
.LBB272_689:                            ;   in Loop: Header=BB272_9 Depth=1
	s_or_b32 exec_lo, exec_lo, s8
	v_lshrrev_b16 v12, 8, v8
	s_mov_b32 s8, exec_lo
	v_cmpx_ne_u16_e32 0, v12
	s_cbranch_execz .LBB272_697
; %bb.690:                              ;   in Loop: Header=BB272_9 Depth=1
	v_bfrev_b32_e32 v39, 1
	s_mov_b32 s20, exec_lo
	v_cmpx_ne_u16_e32 0x80, v12
	s_cbranch_execz .LBB272_696
; %bb.691:                              ;   in Loop: Header=BB272_9 Depth=1
	v_mov_b32_e32 v0, 0x7f
	v_mov_b32_e32 v39, 0x7c010000
	s_mov_b32 s21, exec_lo
	v_and_b32_sdwa v4, v12, v0 dst_sel:DWORD dst_unused:UNUSED_PAD src0_sel:WORD_0 src1_sel:DWORD
	v_cmpx_ne_u32_e32 0x7f, v4
	s_cbranch_execz .LBB272_695
; %bb.692:                              ;   in Loop: Header=BB272_9 Depth=1
	v_mov_b32_e32 v0, 7
	v_lshrrev_b32_e32 v3, 3, v4
	s_mov_b32 s22, exec_lo
	v_and_b32_sdwa v0, v12, v0 dst_sel:DWORD dst_unused:UNUSED_PAD src0_sel:WORD_0 src1_sel:DWORD
	v_cmpx_gt_u32_e32 8, v4
; %bb.693:                              ;   in Loop: Header=BB272_9 Depth=1
	v_ffbh_u32_e32 v0, v0
	v_min_u32_e32 v0, 32, v0
	v_subrev_nc_u32_e32 v3, 28, v0
	v_lshlrev_b64 v[6:7], v3, v[12:13]
	v_sub_nc_u32_e32 v3, 29, v0
	v_and_b32_e32 v0, 7, v6
; %bb.694:                              ;   in Loop: Header=BB272_9 Depth=1
	s_or_b32 exec_lo, exec_lo, s22
	v_mov_b32_e32 v4, 8
	v_lshl_add_u32 v3, v3, 10, 0x2000
	v_lshlrev_b32_e32 v0, 23, v0
	v_lshlrev_b32_sdwa v4, v4, v12 dst_sel:DWORD dst_unused:UNUSED_PAD src0_sel:DWORD src1_sel:WORD_0
	v_and_or_b32 v3, 0x8000, v4, v3
	v_lshl_or_b32 v39, v3, 16, v0
.LBB272_695:                            ;   in Loop: Header=BB272_9 Depth=1
	s_or_b32 exec_lo, exec_lo, s21
.LBB272_696:                            ;   in Loop: Header=BB272_9 Depth=1
	s_or_b32 exec_lo, exec_lo, s20
.LBB272_697:                            ;   in Loop: Header=BB272_9 Depth=1
	s_or_b32 exec_lo, exec_lo, s8
	v_lshrrev_b32_e32 v12, 16, v8
	v_mov_b32_e32 v99, 0
	v_mov_b32_e32 v101, 0
	v_cmp_ne_u16_sdwa s7, v12, v13 src0_sel:BYTE_0 src1_sel:DWORD
	s_and_saveexec_b32 s8, s7
	s_cbranch_execz .LBB272_705
; %bb.698:                              ;   in Loop: Header=BB272_9 Depth=1
	v_cmp_ne_u16_sdwa s7, v12, v52 src0_sel:BYTE_0 src1_sel:DWORD
	v_mov_b32_e32 v101, 0x8000
	s_and_saveexec_b32 s20, s7
	s_cbranch_execz .LBB272_704
; %bb.699:                              ;   in Loop: Header=BB272_9 Depth=1
	v_bfe_u32 v4, v8, 16, 7
	v_mov_b32_e32 v101, 0x7c01
	s_mov_b32 s21, exec_lo
	v_cmpx_ne_u32_e32 0x7f, v4
	s_cbranch_execz .LBB272_703
; %bb.700:                              ;   in Loop: Header=BB272_9 Depth=1
	v_and_b32_e32 v0, 7, v12
	v_lshrrev_b32_e32 v3, 3, v4
	s_mov_b32 s22, exec_lo
	v_cmpx_gt_u32_e32 8, v4
; %bb.701:                              ;   in Loop: Header=BB272_9 Depth=1
	v_ffbh_u32_e32 v0, v0
	v_min_u32_e32 v0, 32, v0
	v_subrev_nc_u32_e32 v3, 28, v0
	v_lshlrev_b64 v[6:7], v3, v[12:13]
	v_sub_nc_u32_e32 v3, 29, v0
	v_and_b32_e32 v0, 7, v6
; %bb.702:                              ;   in Loop: Header=BB272_9 Depth=1
	s_or_b32 exec_lo, exec_lo, s22
	v_lshlrev_b32_e32 v4, 8, v12
	v_lshl_add_u32 v3, v3, 10, 0x2000
	v_lshlrev_b32_e32 v0, 7, v0
	v_and_b32_e32 v4, 0x8000, v4
	v_and_b32_e32 v3, 0xfc00, v3
	v_or3_b32 v101, v4, v3, v0
.LBB272_703:                            ;   in Loop: Header=BB272_9 Depth=1
	s_or_b32 exec_lo, exec_lo, s21
.LBB272_704:                            ;   in Loop: Header=BB272_9 Depth=1
	s_or_b32 exec_lo, exec_lo, s20
.LBB272_705:                            ;   in Loop: Header=BB272_9 Depth=1
	s_or_b32 exec_lo, exec_lo, s8
	s_mov_b32 s8, exec_lo
	v_cmpx_lt_u32_e32 0xffffff, v8
	s_cbranch_execz .LBB272_713
; %bb.706:                              ;   in Loop: Header=BB272_9 Depth=1
	v_lshrrev_b32_e32 v12, 24, v8
	v_bfrev_b32_e32 v99, 1
	s_mov_b32 s20, exec_lo
	v_cmpx_ne_u32_e32 0x80, v12
	s_cbranch_execz .LBB272_712
; %bb.707:                              ;   in Loop: Header=BB272_9 Depth=1
	v_and_b32_e32 v4, 0x7f, v12
	v_mov_b32_e32 v99, 0x7c010000
	s_mov_b32 s21, exec_lo
	v_cmpx_ne_u32_e32 0x7f, v4
	s_cbranch_execz .LBB272_711
; %bb.708:                              ;   in Loop: Header=BB272_9 Depth=1
	v_and_b32_e32 v0, 7, v12
	v_lshrrev_b32_e32 v3, 3, v4
	s_mov_b32 s22, exec_lo
	v_cmpx_gt_u32_e32 8, v4
; %bb.709:                              ;   in Loop: Header=BB272_9 Depth=1
	v_ffbh_u32_e32 v0, v0
	v_min_u32_e32 v0, 32, v0
	v_subrev_nc_u32_e32 v3, 28, v0
	v_lshlrev_b64 v[6:7], v3, v[12:13]
	v_sub_nc_u32_e32 v3, 29, v0
	v_and_b32_e32 v0, 7, v6
; %bb.710:                              ;   in Loop: Header=BB272_9 Depth=1
	s_or_b32 exec_lo, exec_lo, s22
	v_lshlrev_b32_e32 v4, 8, v12
	v_lshl_add_u32 v3, v3, 10, 0x2000
	v_lshlrev_b32_e32 v0, 23, v0
	v_and_or_b32 v3, 0x8000, v4, v3
	v_lshl_or_b32 v99, v3, 16, v0
.LBB272_711:                            ;   in Loop: Header=BB272_9 Depth=1
	s_or_b32 exec_lo, exec_lo, s21
.LBB272_712:                            ;   in Loop: Header=BB272_9 Depth=1
	s_or_b32 exec_lo, exec_lo, s20
.LBB272_713:                            ;   in Loop: Header=BB272_9 Depth=1
	s_or_b32 exec_lo, exec_lo, s8
	buffer_load_dword v4, off, s[0:3], s32 offset:192 ; 4-byte Folded Reload
	v_add_co_u32 v0, s7, 0xb00, v16
	v_add_co_ci_u32_e64 v3, null, 0, v17, s7
	v_mov_b32_e32 v20, 0
	v_mov_b32_e32 v21, 0
	s_waitcnt vmcnt(0)
	v_add_co_u32 v6, s7, v0, v4
	v_add_co_ci_u32_e64 v7, null, 0, v3, s7
	flat_load_dword v8, v[6:7]
	s_waitcnt vmcnt(0) lgkmcnt(0)
	v_cmp_ne_u16_sdwa s7, v8, v13 src0_sel:BYTE_0 src1_sel:DWORD
	s_and_saveexec_b32 s8, s7
	s_cbranch_execz .LBB272_721
; %bb.714:                              ;   in Loop: Header=BB272_9 Depth=1
	v_cmp_ne_u16_sdwa s7, v8, v52 src0_sel:BYTE_0 src1_sel:DWORD
	v_mov_b32_e32 v21, 0x8000
	s_and_saveexec_b32 s20, s7
	s_cbranch_execz .LBB272_720
; %bb.715:                              ;   in Loop: Header=BB272_9 Depth=1
	v_and_b32_e32 v7, 0x7f, v8
	v_mov_b32_e32 v21, 0x7c01
	s_mov_b32 s21, exec_lo
	v_cmpx_ne_u32_e32 0x7f, v7
	s_cbranch_execz .LBB272_719
; %bb.716:                              ;   in Loop: Header=BB272_9 Depth=1
	v_and_b32_e32 v4, 7, v8
	v_lshrrev_b32_e32 v6, 3, v7
	s_mov_b32 s22, exec_lo
	v_cmpx_gt_u32_e32 8, v7
; %bb.717:                              ;   in Loop: Header=BB272_9 Depth=1
	v_ffbh_u32_e32 v4, v4
	v_min_u32_e32 v4, 32, v4
	v_subrev_nc_u32_e32 v6, 28, v4
	v_lshlrev_b64 v[9:10], v6, v[8:9]
	v_sub_nc_u32_e32 v6, 29, v4
	v_and_b32_e32 v4, 7, v9
; %bb.718:                              ;   in Loop: Header=BB272_9 Depth=1
	s_or_b32 exec_lo, exec_lo, s22
	v_lshlrev_b32_e32 v7, 8, v8
	v_lshl_add_u32 v6, v6, 10, 0x2000
	v_lshlrev_b32_e32 v4, 7, v4
	v_and_b32_e32 v7, 0x8000, v7
	v_and_b32_e32 v6, 0xfc00, v6
	v_or3_b32 v21, v7, v6, v4
.LBB272_719:                            ;   in Loop: Header=BB272_9 Depth=1
	s_or_b32 exec_lo, exec_lo, s21
.LBB272_720:                            ;   in Loop: Header=BB272_9 Depth=1
	s_or_b32 exec_lo, exec_lo, s20
.LBB272_721:                            ;   in Loop: Header=BB272_9 Depth=1
	s_or_b32 exec_lo, exec_lo, s8
	v_lshrrev_b16 v12, 8, v8
	s_mov_b32 s8, exec_lo
	v_cmpx_ne_u16_e32 0, v12
	s_cbranch_execz .LBB272_729
; %bb.722:                              ;   in Loop: Header=BB272_9 Depth=1
	v_bfrev_b32_e32 v20, 1
	s_mov_b32 s20, exec_lo
	v_cmpx_ne_u16_e32 0x80, v12
	s_cbranch_execz .LBB272_728
; %bb.723:                              ;   in Loop: Header=BB272_9 Depth=1
	v_mov_b32_e32 v4, 0x7f
	v_mov_b32_e32 v20, 0x7c010000
	s_mov_b32 s21, exec_lo
	v_and_b32_sdwa v7, v12, v4 dst_sel:DWORD dst_unused:UNUSED_PAD src0_sel:WORD_0 src1_sel:DWORD
	v_cmpx_ne_u32_e32 0x7f, v7
	s_cbranch_execz .LBB272_727
; %bb.724:                              ;   in Loop: Header=BB272_9 Depth=1
	v_mov_b32_e32 v4, 7
	v_lshrrev_b32_e32 v6, 3, v7
	s_mov_b32 s22, exec_lo
	v_and_b32_sdwa v4, v12, v4 dst_sel:DWORD dst_unused:UNUSED_PAD src0_sel:WORD_0 src1_sel:DWORD
	v_cmpx_gt_u32_e32 8, v7
; %bb.725:                              ;   in Loop: Header=BB272_9 Depth=1
	v_ffbh_u32_e32 v4, v4
	v_min_u32_e32 v4, 32, v4
	v_subrev_nc_u32_e32 v6, 28, v4
	v_lshlrev_b64 v[9:10], v6, v[12:13]
	v_sub_nc_u32_e32 v6, 29, v4
	v_and_b32_e32 v4, 7, v9
; %bb.726:                              ;   in Loop: Header=BB272_9 Depth=1
	s_or_b32 exec_lo, exec_lo, s22
	v_mov_b32_e32 v7, 8
	v_lshl_add_u32 v6, v6, 10, 0x2000
	v_lshlrev_b32_e32 v4, 23, v4
	v_lshlrev_b32_sdwa v7, v7, v12 dst_sel:DWORD dst_unused:UNUSED_PAD src0_sel:DWORD src1_sel:WORD_0
	v_and_or_b32 v6, 0x8000, v7, v6
	v_lshl_or_b32 v20, v6, 16, v4
.LBB272_727:                            ;   in Loop: Header=BB272_9 Depth=1
	s_or_b32 exec_lo, exec_lo, s21
.LBB272_728:                            ;   in Loop: Header=BB272_9 Depth=1
	s_or_b32 exec_lo, exec_lo, s20
.LBB272_729:                            ;   in Loop: Header=BB272_9 Depth=1
	s_or_b32 exec_lo, exec_lo, s8
	v_lshrrev_b32_e32 v12, 16, v8
	v_mov_b32_e32 v71, 0
	v_mov_b32_e32 v81, 0
	v_cmp_ne_u16_sdwa s7, v12, v13 src0_sel:BYTE_0 src1_sel:DWORD
	s_and_saveexec_b32 s8, s7
	s_cbranch_execz .LBB272_737
; %bb.730:                              ;   in Loop: Header=BB272_9 Depth=1
	v_cmp_ne_u16_sdwa s7, v12, v52 src0_sel:BYTE_0 src1_sel:DWORD
	v_mov_b32_e32 v81, 0x8000
	s_and_saveexec_b32 s20, s7
	s_cbranch_execz .LBB272_736
; %bb.731:                              ;   in Loop: Header=BB272_9 Depth=1
	v_bfe_u32 v7, v8, 16, 7
	v_mov_b32_e32 v81, 0x7c01
	s_mov_b32 s21, exec_lo
	v_cmpx_ne_u32_e32 0x7f, v7
	s_cbranch_execz .LBB272_735
; %bb.732:                              ;   in Loop: Header=BB272_9 Depth=1
	v_and_b32_e32 v4, 7, v12
	v_lshrrev_b32_e32 v6, 3, v7
	s_mov_b32 s22, exec_lo
	v_cmpx_gt_u32_e32 8, v7
; %bb.733:                              ;   in Loop: Header=BB272_9 Depth=1
	v_ffbh_u32_e32 v4, v4
	v_min_u32_e32 v4, 32, v4
	v_subrev_nc_u32_e32 v6, 28, v4
	v_lshlrev_b64 v[9:10], v6, v[12:13]
	v_sub_nc_u32_e32 v6, 29, v4
	v_and_b32_e32 v4, 7, v9
; %bb.734:                              ;   in Loop: Header=BB272_9 Depth=1
	s_or_b32 exec_lo, exec_lo, s22
	v_lshlrev_b32_e32 v7, 8, v12
	v_lshl_add_u32 v6, v6, 10, 0x2000
	v_lshlrev_b32_e32 v4, 7, v4
	v_and_b32_e32 v7, 0x8000, v7
	v_and_b32_e32 v6, 0xfc00, v6
	v_or3_b32 v81, v7, v6, v4
.LBB272_735:                            ;   in Loop: Header=BB272_9 Depth=1
	s_or_b32 exec_lo, exec_lo, s21
.LBB272_736:                            ;   in Loop: Header=BB272_9 Depth=1
	s_or_b32 exec_lo, exec_lo, s20
.LBB272_737:                            ;   in Loop: Header=BB272_9 Depth=1
	s_or_b32 exec_lo, exec_lo, s8
	s_mov_b32 s8, exec_lo
	v_cmpx_lt_u32_e32 0xffffff, v8
	s_cbranch_execz .LBB272_745
; %bb.738:                              ;   in Loop: Header=BB272_9 Depth=1
	v_lshrrev_b32_e32 v12, 24, v8
	v_bfrev_b32_e32 v71, 1
	s_mov_b32 s20, exec_lo
	v_cmpx_ne_u32_e32 0x80, v12
	s_cbranch_execz .LBB272_744
; %bb.739:                              ;   in Loop: Header=BB272_9 Depth=1
	v_and_b32_e32 v7, 0x7f, v12
	v_mov_b32_e32 v71, 0x7c010000
	s_mov_b32 s21, exec_lo
	v_cmpx_ne_u32_e32 0x7f, v7
	s_cbranch_execz .LBB272_743
; %bb.740:                              ;   in Loop: Header=BB272_9 Depth=1
	v_and_b32_e32 v4, 7, v12
	v_lshrrev_b32_e32 v6, 3, v7
	s_mov_b32 s22, exec_lo
	v_cmpx_gt_u32_e32 8, v7
; %bb.741:                              ;   in Loop: Header=BB272_9 Depth=1
	v_ffbh_u32_e32 v4, v4
	v_min_u32_e32 v4, 32, v4
	v_subrev_nc_u32_e32 v6, 28, v4
	v_lshlrev_b64 v[7:8], v6, v[12:13]
	v_sub_nc_u32_e32 v6, 29, v4
	v_and_b32_e32 v4, 7, v7
; %bb.742:                              ;   in Loop: Header=BB272_9 Depth=1
	s_or_b32 exec_lo, exec_lo, s22
	v_lshlrev_b32_e32 v7, 8, v12
	v_lshl_add_u32 v6, v6, 10, 0x2000
	v_lshlrev_b32_e32 v4, 23, v4
	v_and_or_b32 v6, 0x8000, v7, v6
	v_lshl_or_b32 v71, v6, 16, v4
.LBB272_743:                            ;   in Loop: Header=BB272_9 Depth=1
	s_or_b32 exec_lo, exec_lo, s21
.LBB272_744:                            ;   in Loop: Header=BB272_9 Depth=1
	s_or_b32 exec_lo, exec_lo, s20
.LBB272_745:                            ;   in Loop: Header=BB272_9 Depth=1
	s_or_b32 exec_lo, exec_lo, s8
	buffer_load_dword v4, off, s[0:3], s32 offset:196 ; 4-byte Folded Reload
	v_mov_b32_e32 v9, 0
	s_waitcnt vmcnt(0)
	v_add_co_u32 v6, s7, v0, v4
	v_add_co_ci_u32_e64 v7, null, 0, v3, s7
	v_mov_b32_e32 v4, 0
	flat_load_dword v8, v[6:7]
	s_waitcnt vmcnt(0) lgkmcnt(0)
	v_cmp_ne_u16_sdwa s7, v8, v13 src0_sel:BYTE_0 src1_sel:DWORD
	s_and_saveexec_b32 s8, s7
	s_cbranch_execz .LBB272_753
; %bb.746:                              ;   in Loop: Header=BB272_9 Depth=1
	v_cmp_ne_u16_sdwa s7, v8, v52 src0_sel:BYTE_0 src1_sel:DWORD
	v_mov_b32_e32 v9, 0x8000
	s_and_saveexec_b32 s20, s7
	s_cbranch_execz .LBB272_752
; %bb.747:                              ;   in Loop: Header=BB272_9 Depth=1
	v_and_b32_e32 v6, 0x7f, v8
	v_mov_b32_e32 v9, 0x7c01
	s_mov_b32 s21, exec_lo
	v_cmpx_ne_u32_e32 0x7f, v6
	s_cbranch_execz .LBB272_751
; %bb.748:                              ;   in Loop: Header=BB272_9 Depth=1
	v_and_b32_e32 v0, 7, v8
	v_lshrrev_b32_e32 v3, 3, v6
	s_mov_b32 s22, exec_lo
	v_cmpx_gt_u32_e32 8, v6
; %bb.749:                              ;   in Loop: Header=BB272_9 Depth=1
	v_ffbh_u32_e32 v0, v0
	v_min_u32_e32 v0, 32, v0
	v_subrev_nc_u32_e32 v3, 28, v0
	v_lshlrev_b64 v[6:7], v3, v[8:9]
	v_sub_nc_u32_e32 v3, 29, v0
	v_and_b32_e32 v0, 7, v6
; %bb.750:                              ;   in Loop: Header=BB272_9 Depth=1
	s_or_b32 exec_lo, exec_lo, s22
	v_lshlrev_b32_e32 v6, 8, v8
	v_lshl_add_u32 v3, v3, 10, 0x2000
	v_lshlrev_b32_e32 v0, 7, v0
	v_and_b32_e32 v6, 0x8000, v6
	v_and_b32_e32 v3, 0xfc00, v3
	v_or3_b32 v9, v6, v3, v0
.LBB272_751:                            ;   in Loop: Header=BB272_9 Depth=1
	s_or_b32 exec_lo, exec_lo, s21
.LBB272_752:                            ;   in Loop: Header=BB272_9 Depth=1
	s_or_b32 exec_lo, exec_lo, s20
.LBB272_753:                            ;   in Loop: Header=BB272_9 Depth=1
	s_or_b32 exec_lo, exec_lo, s8
	v_lshrrev_b16 v12, 8, v8
	s_mov_b32 s8, exec_lo
	v_cmpx_ne_u16_e32 0, v12
	s_cbranch_execz .LBB272_761
; %bb.754:                              ;   in Loop: Header=BB272_9 Depth=1
	v_bfrev_b32_e32 v4, 1
	s_mov_b32 s20, exec_lo
	v_cmpx_ne_u16_e32 0x80, v12
	s_cbranch_execz .LBB272_760
; %bb.755:                              ;   in Loop: Header=BB272_9 Depth=1
	v_mov_b32_e32 v0, 0x7f
	v_mov_b32_e32 v4, 0x7c010000
	s_mov_b32 s21, exec_lo
	v_and_b32_sdwa v6, v12, v0 dst_sel:DWORD dst_unused:UNUSED_PAD src0_sel:WORD_0 src1_sel:DWORD
	v_cmpx_ne_u32_e32 0x7f, v6
	s_cbranch_execz .LBB272_759
; %bb.756:                              ;   in Loop: Header=BB272_9 Depth=1
	v_mov_b32_e32 v0, 7
	v_lshrrev_b32_e32 v3, 3, v6
	s_mov_b32 s22, exec_lo
	v_and_b32_sdwa v0, v12, v0 dst_sel:DWORD dst_unused:UNUSED_PAD src0_sel:WORD_0 src1_sel:DWORD
	v_cmpx_gt_u32_e32 8, v6
; %bb.757:                              ;   in Loop: Header=BB272_9 Depth=1
	v_ffbh_u32_e32 v0, v0
	v_min_u32_e32 v0, 32, v0
	v_subrev_nc_u32_e32 v3, 28, v0
	v_lshlrev_b64 v[6:7], v3, v[12:13]
	v_sub_nc_u32_e32 v3, 29, v0
	v_and_b32_e32 v0, 7, v6
; %bb.758:                              ;   in Loop: Header=BB272_9 Depth=1
	s_or_b32 exec_lo, exec_lo, s22
	v_mov_b32_e32 v4, 8
	v_lshl_add_u32 v3, v3, 10, 0x2000
	v_lshlrev_b32_e32 v0, 23, v0
	v_lshlrev_b32_sdwa v4, v4, v12 dst_sel:DWORD dst_unused:UNUSED_PAD src0_sel:DWORD src1_sel:WORD_0
	v_and_or_b32 v3, 0x8000, v4, v3
	v_lshl_or_b32 v4, v3, 16, v0
.LBB272_759:                            ;   in Loop: Header=BB272_9 Depth=1
	s_or_b32 exec_lo, exec_lo, s21
.LBB272_760:                            ;   in Loop: Header=BB272_9 Depth=1
	s_or_b32 exec_lo, exec_lo, s20
.LBB272_761:                            ;   in Loop: Header=BB272_9 Depth=1
	s_or_b32 exec_lo, exec_lo, s8
	v_lshrrev_b32_e32 v12, 16, v8
	v_mov_b32_e32 v35, 0
	v_mov_b32_e32 v49, 0
	v_cmp_ne_u16_sdwa s7, v12, v13 src0_sel:BYTE_0 src1_sel:DWORD
	s_and_saveexec_b32 s8, s7
	s_cbranch_execz .LBB272_769
; %bb.762:                              ;   in Loop: Header=BB272_9 Depth=1
	v_cmp_ne_u16_sdwa s7, v12, v52 src0_sel:BYTE_0 src1_sel:DWORD
	v_mov_b32_e32 v49, 0x8000
	s_and_saveexec_b32 s20, s7
	s_cbranch_execz .LBB272_768
; %bb.763:                              ;   in Loop: Header=BB272_9 Depth=1
	v_bfe_u32 v6, v8, 16, 7
	v_mov_b32_e32 v49, 0x7c01
	s_mov_b32 s21, exec_lo
	v_cmpx_ne_u32_e32 0x7f, v6
	s_cbranch_execz .LBB272_767
; %bb.764:                              ;   in Loop: Header=BB272_9 Depth=1
	v_and_b32_e32 v0, 7, v12
	v_lshrrev_b32_e32 v3, 3, v6
	s_mov_b32 s22, exec_lo
	v_cmpx_gt_u32_e32 8, v6
; %bb.765:                              ;   in Loop: Header=BB272_9 Depth=1
	v_ffbh_u32_e32 v0, v0
	v_min_u32_e32 v0, 32, v0
	v_subrev_nc_u32_e32 v3, 28, v0
	v_lshlrev_b64 v[6:7], v3, v[12:13]
	v_sub_nc_u32_e32 v3, 29, v0
	v_and_b32_e32 v0, 7, v6
; %bb.766:                              ;   in Loop: Header=BB272_9 Depth=1
	s_or_b32 exec_lo, exec_lo, s22
	v_lshlrev_b32_e32 v6, 8, v12
	v_lshl_add_u32 v3, v3, 10, 0x2000
	v_lshlrev_b32_e32 v0, 7, v0
	v_and_b32_e32 v6, 0x8000, v6
	v_and_b32_e32 v3, 0xfc00, v3
	v_or3_b32 v49, v6, v3, v0
.LBB272_767:                            ;   in Loop: Header=BB272_9 Depth=1
	s_or_b32 exec_lo, exec_lo, s21
.LBB272_768:                            ;   in Loop: Header=BB272_9 Depth=1
	s_or_b32 exec_lo, exec_lo, s20
.LBB272_769:                            ;   in Loop: Header=BB272_9 Depth=1
	s_or_b32 exec_lo, exec_lo, s8
	s_mov_b32 s8, exec_lo
	v_cmpx_lt_u32_e32 0xffffff, v8
	s_cbranch_execz .LBB272_777
; %bb.770:                              ;   in Loop: Header=BB272_9 Depth=1
	v_lshrrev_b32_e32 v12, 24, v8
	v_bfrev_b32_e32 v35, 1
	s_mov_b32 s20, exec_lo
	v_cmpx_ne_u32_e32 0x80, v12
	s_cbranch_execz .LBB272_776
; %bb.771:                              ;   in Loop: Header=BB272_9 Depth=1
	v_and_b32_e32 v6, 0x7f, v12
	v_mov_b32_e32 v35, 0x7c010000
	s_mov_b32 s21, exec_lo
	v_cmpx_ne_u32_e32 0x7f, v6
	s_cbranch_execz .LBB272_775
; %bb.772:                              ;   in Loop: Header=BB272_9 Depth=1
	v_and_b32_e32 v0, 7, v12
	v_lshrrev_b32_e32 v3, 3, v6
	s_mov_b32 s22, exec_lo
	v_cmpx_gt_u32_e32 8, v6
; %bb.773:                              ;   in Loop: Header=BB272_9 Depth=1
	v_ffbh_u32_e32 v0, v0
	v_min_u32_e32 v0, 32, v0
	v_subrev_nc_u32_e32 v3, 28, v0
	v_lshlrev_b64 v[6:7], v3, v[12:13]
	v_sub_nc_u32_e32 v3, 29, v0
	v_and_b32_e32 v0, 7, v6
; %bb.774:                              ;   in Loop: Header=BB272_9 Depth=1
	s_or_b32 exec_lo, exec_lo, s22
	v_lshlrev_b32_e32 v6, 8, v12
	v_lshl_add_u32 v3, v3, 10, 0x2000
	v_lshlrev_b32_e32 v0, 23, v0
	v_and_or_b32 v3, 0x8000, v6, v3
	v_lshl_or_b32 v35, v3, 16, v0
.LBB272_775:                            ;   in Loop: Header=BB272_9 Depth=1
	s_or_b32 exec_lo, exec_lo, s21
.LBB272_776:                            ;   in Loop: Header=BB272_9 Depth=1
	s_or_b32 exec_lo, exec_lo, s20
.LBB272_777:                            ;   in Loop: Header=BB272_9 Depth=1
	s_or_b32 exec_lo, exec_lo, s8
	buffer_load_dword v3, off, s[0:3], s32 offset:192 ; 4-byte Folded Reload
	v_add_co_u32 v0, s7, 0xc00, v16
	v_add_co_ci_u32_e64 v6, null, 0, v17, s7
	v_mov_b32_e32 v18, 0
	s_waitcnt vmcnt(0)
	v_add_co_u32 v7, s7, v0, v3
	v_add_co_ci_u32_e64 v8, null, 0, v6, s7
	v_mov_b32_e32 v3, 0
	flat_load_dword v8, v[7:8]
	s_waitcnt vmcnt(0) lgkmcnt(0)
	v_cmp_ne_u16_sdwa s7, v8, v13 src0_sel:BYTE_0 src1_sel:DWORD
	s_and_saveexec_b32 s8, s7
	s_cbranch_execz .LBB272_785
; %bb.778:                              ;   in Loop: Header=BB272_9 Depth=1
	v_cmp_ne_u16_sdwa s7, v8, v52 src0_sel:BYTE_0 src1_sel:DWORD
	v_mov_b32_e32 v18, 0x8000
	s_and_saveexec_b32 s20, s7
	s_cbranch_execz .LBB272_784
; %bb.779:                              ;   in Loop: Header=BB272_9 Depth=1
	v_and_b32_e32 v11, 0x7f, v8
	v_mov_b32_e32 v18, 0x7c01
	s_mov_b32 s21, exec_lo
	v_cmpx_ne_u32_e32 0x7f, v11
	s_cbranch_execz .LBB272_783
; %bb.780:                              ;   in Loop: Header=BB272_9 Depth=1
	v_and_b32_e32 v7, 7, v8
	v_lshrrev_b32_e32 v10, 3, v11
	s_mov_b32 s22, exec_lo
	v_cmpx_gt_u32_e32 8, v11
; %bb.781:                              ;   in Loop: Header=BB272_9 Depth=1
	v_ffbh_u32_e32 v7, v7
	v_min_u32_e32 v7, 32, v7
	v_subrev_nc_u32_e32 v10, 28, v7
	v_lshlrev_b64 v[11:12], v10, v[8:9]
	v_sub_nc_u32_e32 v10, 29, v7
	v_and_b32_e32 v7, 7, v11
; %bb.782:                              ;   in Loop: Header=BB272_9 Depth=1
	s_or_b32 exec_lo, exec_lo, s22
	v_lshlrev_b32_e32 v11, 8, v8
	v_lshl_add_u32 v10, v10, 10, 0x2000
	v_lshlrev_b32_e32 v7, 7, v7
	v_and_b32_e32 v11, 0x8000, v11
	v_and_b32_e32 v10, 0xfc00, v10
	v_or3_b32 v18, v11, v10, v7
.LBB272_783:                            ;   in Loop: Header=BB272_9 Depth=1
	s_or_b32 exec_lo, exec_lo, s21
.LBB272_784:                            ;   in Loop: Header=BB272_9 Depth=1
	s_or_b32 exec_lo, exec_lo, s20
.LBB272_785:                            ;   in Loop: Header=BB272_9 Depth=1
	s_or_b32 exec_lo, exec_lo, s8
	v_lshrrev_b16 v12, 8, v8
	s_mov_b32 s8, exec_lo
	v_cmpx_ne_u16_e32 0, v12
	s_cbranch_execz .LBB272_793
; %bb.786:                              ;   in Loop: Header=BB272_9 Depth=1
	v_bfrev_b32_e32 v3, 1
	s_mov_b32 s20, exec_lo
	v_cmpx_ne_u16_e32 0x80, v12
	s_cbranch_execz .LBB272_792
; %bb.787:                              ;   in Loop: Header=BB272_9 Depth=1
	v_mov_b32_e32 v3, 0x7f
	s_mov_b32 s21, exec_lo
	v_and_b32_sdwa v10, v12, v3 dst_sel:DWORD dst_unused:UNUSED_PAD src0_sel:WORD_0 src1_sel:DWORD
	v_mov_b32_e32 v3, 0x7c010000
	v_cmpx_ne_u32_e32 0x7f, v10
	s_cbranch_execz .LBB272_791
; %bb.788:                              ;   in Loop: Header=BB272_9 Depth=1
	v_mov_b32_e32 v3, 7
	v_lshrrev_b32_e32 v7, 3, v10
	s_mov_b32 s22, exec_lo
	v_and_b32_sdwa v3, v12, v3 dst_sel:DWORD dst_unused:UNUSED_PAD src0_sel:WORD_0 src1_sel:DWORD
	v_cmpx_gt_u32_e32 8, v10
; %bb.789:                              ;   in Loop: Header=BB272_9 Depth=1
	v_ffbh_u32_e32 v3, v3
	v_min_u32_e32 v3, 32, v3
	v_subrev_nc_u32_e32 v7, 28, v3
	v_lshlrev_b64 v[10:11], v7, v[12:13]
	v_sub_nc_u32_e32 v7, 29, v3
	v_and_b32_e32 v3, 7, v10
; %bb.790:                              ;   in Loop: Header=BB272_9 Depth=1
	s_or_b32 exec_lo, exec_lo, s22
	v_mov_b32_e32 v10, 8
	v_lshl_add_u32 v7, v7, 10, 0x2000
	v_lshlrev_b32_e32 v3, 23, v3
	v_lshlrev_b32_sdwa v10, v10, v12 dst_sel:DWORD dst_unused:UNUSED_PAD src0_sel:DWORD src1_sel:WORD_0
	v_and_or_b32 v7, 0x8000, v10, v7
	v_lshl_or_b32 v3, v7, 16, v3
.LBB272_791:                            ;   in Loop: Header=BB272_9 Depth=1
	s_or_b32 exec_lo, exec_lo, s21
.LBB272_792:                            ;   in Loop: Header=BB272_9 Depth=1
	s_or_b32 exec_lo, exec_lo, s20
.LBB272_793:                            ;   in Loop: Header=BB272_9 Depth=1
	s_or_b32 exec_lo, exec_lo, s8
	v_lshrrev_b32_e32 v12, 16, v8
	v_mov_b32_e32 v38, 0
	v_mov_b32_e32 v37, 0
	v_cmp_ne_u16_sdwa s7, v12, v13 src0_sel:BYTE_0 src1_sel:DWORD
	s_and_saveexec_b32 s8, s7
	s_cbranch_execz .LBB272_801
; %bb.794:                              ;   in Loop: Header=BB272_9 Depth=1
	v_cmp_ne_u16_sdwa s7, v12, v52 src0_sel:BYTE_0 src1_sel:DWORD
	v_mov_b32_e32 v37, 0x8000
	s_and_saveexec_b32 s20, s7
	s_cbranch_execz .LBB272_800
; %bb.795:                              ;   in Loop: Header=BB272_9 Depth=1
	v_bfe_u32 v11, v8, 16, 7
	v_mov_b32_e32 v37, 0x7c01
	s_mov_b32 s21, exec_lo
	v_cmpx_ne_u32_e32 0x7f, v11
	s_cbranch_execz .LBB272_799
; %bb.796:                              ;   in Loop: Header=BB272_9 Depth=1
	v_and_b32_e32 v7, 7, v12
	v_lshrrev_b32_e32 v10, 3, v11
	s_mov_b32 s22, exec_lo
	v_cmpx_gt_u32_e32 8, v11
; %bb.797:                              ;   in Loop: Header=BB272_9 Depth=1
	v_ffbh_u32_e32 v7, v7
	v_min_u32_e32 v7, 32, v7
	v_subrev_nc_u32_e32 v10, 28, v7
	v_lshlrev_b64 v[26:27], v10, v[12:13]
	v_sub_nc_u32_e32 v10, 29, v7
	v_and_b32_e32 v7, 7, v26
; %bb.798:                              ;   in Loop: Header=BB272_9 Depth=1
	s_or_b32 exec_lo, exec_lo, s22
	v_lshlrev_b32_e32 v11, 8, v12
	v_lshl_add_u32 v10, v10, 10, 0x2000
	v_lshlrev_b32_e32 v7, 7, v7
	v_and_b32_e32 v11, 0x8000, v11
	v_and_b32_e32 v10, 0xfc00, v10
	v_or3_b32 v37, v11, v10, v7
.LBB272_799:                            ;   in Loop: Header=BB272_9 Depth=1
	s_or_b32 exec_lo, exec_lo, s21
.LBB272_800:                            ;   in Loop: Header=BB272_9 Depth=1
	s_or_b32 exec_lo, exec_lo, s20
.LBB272_801:                            ;   in Loop: Header=BB272_9 Depth=1
	s_or_b32 exec_lo, exec_lo, s8
	s_mov_b32 s8, exec_lo
	v_cmpx_lt_u32_e32 0xffffff, v8
	s_cbranch_execz .LBB272_809
; %bb.802:                              ;   in Loop: Header=BB272_9 Depth=1
	v_lshrrev_b32_e32 v12, 24, v8
	v_bfrev_b32_e32 v38, 1
	s_mov_b32 s20, exec_lo
	v_cmpx_ne_u32_e32 0x80, v12
	s_cbranch_execz .LBB272_808
; %bb.803:                              ;   in Loop: Header=BB272_9 Depth=1
	v_and_b32_e32 v10, 0x7f, v12
	v_mov_b32_e32 v38, 0x7c010000
	s_mov_b32 s21, exec_lo
	v_cmpx_ne_u32_e32 0x7f, v10
	s_cbranch_execz .LBB272_807
; %bb.804:                              ;   in Loop: Header=BB272_9 Depth=1
	v_and_b32_e32 v7, 7, v12
	v_lshrrev_b32_e32 v8, 3, v10
	s_mov_b32 s22, exec_lo
	v_cmpx_gt_u32_e32 8, v10
; %bb.805:                              ;   in Loop: Header=BB272_9 Depth=1
	v_ffbh_u32_e32 v7, v7
	v_min_u32_e32 v10, 32, v7
	v_subrev_nc_u32_e32 v7, 28, v10
	v_lshlrev_b64 v[7:8], v7, v[12:13]
	v_sub_nc_u32_e32 v8, 29, v10
	v_and_b32_e32 v7, 7, v7
; %bb.806:                              ;   in Loop: Header=BB272_9 Depth=1
	s_or_b32 exec_lo, exec_lo, s22
	v_lshlrev_b32_e32 v10, 8, v12
	v_lshl_add_u32 v8, v8, 10, 0x2000
	v_lshlrev_b32_e32 v7, 23, v7
	v_and_or_b32 v8, 0x8000, v10, v8
	v_lshl_or_b32 v38, v8, 16, v7
.LBB272_807:                            ;   in Loop: Header=BB272_9 Depth=1
	s_or_b32 exec_lo, exec_lo, s21
.LBB272_808:                            ;   in Loop: Header=BB272_9 Depth=1
	s_or_b32 exec_lo, exec_lo, s20
.LBB272_809:                            ;   in Loop: Header=BB272_9 Depth=1
	s_or_b32 exec_lo, exec_lo, s8
	buffer_load_dword v7, off, s[0:3], s32 offset:196 ; 4-byte Folded Reload
	v_mov_b32_e32 v10, 0
	v_mov_b32_e32 v11, 0
	s_waitcnt vmcnt(0)
	v_add_co_u32 v7, s7, v0, v7
	v_add_co_ci_u32_e64 v8, null, 0, v6, s7
	flat_load_dword v8, v[7:8]
	s_waitcnt vmcnt(0) lgkmcnt(0)
	v_cmp_ne_u16_sdwa s7, v8, v13 src0_sel:BYTE_0 src1_sel:DWORD
	s_and_saveexec_b32 s8, s7
	s_cbranch_execz .LBB272_817
; %bb.810:                              ;   in Loop: Header=BB272_9 Depth=1
	v_cmp_ne_u16_sdwa s7, v8, v52 src0_sel:BYTE_0 src1_sel:DWORD
	v_mov_b32_e32 v11, 0x8000
	s_and_saveexec_b32 s20, s7
	s_cbranch_execz .LBB272_816
; %bb.811:                              ;   in Loop: Header=BB272_9 Depth=1
	v_and_b32_e32 v7, 0x7f, v8
	v_mov_b32_e32 v11, 0x7c01
	s_mov_b32 s21, exec_lo
	v_cmpx_ne_u32_e32 0x7f, v7
	s_cbranch_execz .LBB272_815
; %bb.812:                              ;   in Loop: Header=BB272_9 Depth=1
	v_and_b32_e32 v0, 7, v8
	v_lshrrev_b32_e32 v6, 3, v7
	s_mov_b32 s22, exec_lo
	v_cmpx_gt_u32_e32 8, v7
; %bb.813:                              ;   in Loop: Header=BB272_9 Depth=1
	v_ffbh_u32_e32 v0, v0
	v_min_u32_e32 v0, 32, v0
	v_subrev_nc_u32_e32 v6, 28, v0
	v_lshlrev_b64 v[11:12], v6, v[8:9]
	v_sub_nc_u32_e32 v6, 29, v0
	v_and_b32_e32 v0, 7, v11
; %bb.814:                              ;   in Loop: Header=BB272_9 Depth=1
	s_or_b32 exec_lo, exec_lo, s22
	v_lshlrev_b32_e32 v7, 8, v8
	v_lshl_add_u32 v6, v6, 10, 0x2000
	v_lshlrev_b32_e32 v0, 7, v0
	v_and_b32_e32 v7, 0x8000, v7
	v_and_b32_e32 v6, 0xfc00, v6
	v_or3_b32 v11, v7, v6, v0
.LBB272_815:                            ;   in Loop: Header=BB272_9 Depth=1
	s_or_b32 exec_lo, exec_lo, s21
.LBB272_816:                            ;   in Loop: Header=BB272_9 Depth=1
	s_or_b32 exec_lo, exec_lo, s20
.LBB272_817:                            ;   in Loop: Header=BB272_9 Depth=1
	s_or_b32 exec_lo, exec_lo, s8
	v_lshrrev_b16 v12, 8, v8
	s_mov_b32 s8, exec_lo
	v_cmpx_ne_u16_e32 0, v12
	s_cbranch_execz .LBB272_825
; %bb.818:                              ;   in Loop: Header=BB272_9 Depth=1
	v_bfrev_b32_e32 v10, 1
	s_mov_b32 s20, exec_lo
	v_cmpx_ne_u16_e32 0x80, v12
	s_cbranch_execz .LBB272_824
; %bb.819:                              ;   in Loop: Header=BB272_9 Depth=1
	v_mov_b32_e32 v0, 0x7f
	v_mov_b32_e32 v10, 0x7c010000
	s_mov_b32 s21, exec_lo
	v_and_b32_sdwa v7, v12, v0 dst_sel:DWORD dst_unused:UNUSED_PAD src0_sel:WORD_0 src1_sel:DWORD
	v_cmpx_ne_u32_e32 0x7f, v7
	s_cbranch_execz .LBB272_823
; %bb.820:                              ;   in Loop: Header=BB272_9 Depth=1
	v_mov_b32_e32 v0, 7
	v_lshrrev_b32_e32 v6, 3, v7
	s_mov_b32 s22, exec_lo
	v_and_b32_sdwa v0, v12, v0 dst_sel:DWORD dst_unused:UNUSED_PAD src0_sel:WORD_0 src1_sel:DWORD
	v_cmpx_gt_u32_e32 8, v7
; %bb.821:                              ;   in Loop: Header=BB272_9 Depth=1
	v_ffbh_u32_e32 v0, v0
	v_min_u32_e32 v0, 32, v0
	v_subrev_nc_u32_e32 v6, 28, v0
	v_lshlrev_b64 v[26:27], v6, v[12:13]
	v_sub_nc_u32_e32 v6, 29, v0
	v_and_b32_e32 v0, 7, v26
; %bb.822:                              ;   in Loop: Header=BB272_9 Depth=1
	s_or_b32 exec_lo, exec_lo, s22
	v_mov_b32_e32 v7, 8
	v_lshl_add_u32 v6, v6, 10, 0x2000
	v_lshlrev_b32_e32 v0, 23, v0
	v_lshlrev_b32_sdwa v7, v7, v12 dst_sel:DWORD dst_unused:UNUSED_PAD src0_sel:DWORD src1_sel:WORD_0
	v_and_or_b32 v6, 0x8000, v7, v6
	v_lshl_or_b32 v10, v6, 16, v0
.LBB272_823:                            ;   in Loop: Header=BB272_9 Depth=1
	s_or_b32 exec_lo, exec_lo, s21
.LBB272_824:                            ;   in Loop: Header=BB272_9 Depth=1
	s_or_b32 exec_lo, exec_lo, s20
.LBB272_825:                            ;   in Loop: Header=BB272_9 Depth=1
	s_or_b32 exec_lo, exec_lo, s8
	v_lshrrev_b32_e32 v12, 16, v8
	v_mov_b32_e32 v27, 0
	v_mov_b32_e32 v36, 0
	v_cmp_ne_u16_sdwa s7, v12, v13 src0_sel:BYTE_0 src1_sel:DWORD
	s_and_saveexec_b32 s8, s7
	s_cbranch_execz .LBB272_833
; %bb.826:                              ;   in Loop: Header=BB272_9 Depth=1
	v_cmp_ne_u16_sdwa s7, v12, v52 src0_sel:BYTE_0 src1_sel:DWORD
	v_mov_b32_e32 v36, 0x8000
	s_and_saveexec_b32 s20, s7
	s_cbranch_execz .LBB272_832
; %bb.827:                              ;   in Loop: Header=BB272_9 Depth=1
	v_bfe_u32 v7, v8, 16, 7
	v_mov_b32_e32 v36, 0x7c01
	s_mov_b32 s21, exec_lo
	v_cmpx_ne_u32_e32 0x7f, v7
	s_cbranch_execz .LBB272_831
; %bb.828:                              ;   in Loop: Header=BB272_9 Depth=1
	v_and_b32_e32 v0, 7, v12
	v_lshrrev_b32_e32 v6, 3, v7
	s_mov_b32 s22, exec_lo
	v_cmpx_gt_u32_e32 8, v7
; %bb.829:                              ;   in Loop: Header=BB272_9 Depth=1
	v_ffbh_u32_e32 v0, v0
	v_min_u32_e32 v0, 32, v0
	v_subrev_nc_u32_e32 v6, 28, v0
	v_lshlrev_b64 v[94:95], v6, v[12:13]
	v_sub_nc_u32_e32 v6, 29, v0
	v_and_b32_e32 v0, 7, v94
; %bb.830:                              ;   in Loop: Header=BB272_9 Depth=1
	s_or_b32 exec_lo, exec_lo, s22
	v_lshlrev_b32_e32 v7, 8, v12
	v_lshl_add_u32 v6, v6, 10, 0x2000
	v_lshlrev_b32_e32 v0, 7, v0
	v_and_b32_e32 v7, 0x8000, v7
	v_and_b32_e32 v6, 0xfc00, v6
	v_or3_b32 v36, v7, v6, v0
.LBB272_831:                            ;   in Loop: Header=BB272_9 Depth=1
	s_or_b32 exec_lo, exec_lo, s21
.LBB272_832:                            ;   in Loop: Header=BB272_9 Depth=1
	s_or_b32 exec_lo, exec_lo, s20
.LBB272_833:                            ;   in Loop: Header=BB272_9 Depth=1
	s_or_b32 exec_lo, exec_lo, s8
	s_mov_b32 s8, exec_lo
	v_cmpx_lt_u32_e32 0xffffff, v8
	s_cbranch_execz .LBB272_841
; %bb.834:                              ;   in Loop: Header=BB272_9 Depth=1
	v_lshrrev_b32_e32 v12, 24, v8
	v_bfrev_b32_e32 v27, 1
	s_mov_b32 s20, exec_lo
	v_cmpx_ne_u32_e32 0x80, v12
	s_cbranch_execz .LBB272_840
; %bb.835:                              ;   in Loop: Header=BB272_9 Depth=1
	v_and_b32_e32 v7, 0x7f, v12
	v_mov_b32_e32 v27, 0x7c010000
	s_mov_b32 s21, exec_lo
	v_cmpx_ne_u32_e32 0x7f, v7
	s_cbranch_execz .LBB272_839
; %bb.836:                              ;   in Loop: Header=BB272_9 Depth=1
	v_and_b32_e32 v0, 7, v12
	v_lshrrev_b32_e32 v6, 3, v7
	s_mov_b32 s22, exec_lo
	v_cmpx_gt_u32_e32 8, v7
; %bb.837:                              ;   in Loop: Header=BB272_9 Depth=1
	v_ffbh_u32_e32 v0, v0
	v_min_u32_e32 v0, 32, v0
	v_subrev_nc_u32_e32 v6, 28, v0
	v_lshlrev_b64 v[7:8], v6, v[12:13]
	v_sub_nc_u32_e32 v6, 29, v0
	v_and_b32_e32 v0, 7, v7
; %bb.838:                              ;   in Loop: Header=BB272_9 Depth=1
	s_or_b32 exec_lo, exec_lo, s22
	v_lshlrev_b32_e32 v7, 8, v12
	v_lshl_add_u32 v6, v6, 10, 0x2000
	v_lshlrev_b32_e32 v0, 23, v0
	v_and_or_b32 v6, 0x8000, v7, v6
	v_lshl_or_b32 v27, v6, 16, v0
.LBB272_839:                            ;   in Loop: Header=BB272_9 Depth=1
	s_or_b32 exec_lo, exec_lo, s21
.LBB272_840:                            ;   in Loop: Header=BB272_9 Depth=1
	s_or_b32 exec_lo, exec_lo, s20
.LBB272_841:                            ;   in Loop: Header=BB272_9 Depth=1
	s_or_b32 exec_lo, exec_lo, s8
	buffer_load_dword v0, off, s[0:3], s32 offset:192 ; 4-byte Folded Reload
	v_add_co_u32 v7, s7, 0xd00, v16
	v_add_co_ci_u32_e64 v24, null, 0, v17, s7
	v_mov_b32_e32 v6, 0
	s_waitcnt vmcnt(0)
	v_add_co_u32 v94, s7, v7, v0
	v_add_co_ci_u32_e64 v95, null, 0, v24, s7
	v_mov_b32_e32 v0, 0
	flat_load_dword v8, v[94:95]
	s_waitcnt vmcnt(0) lgkmcnt(0)
	v_cmp_ne_u16_sdwa s7, v8, v13 src0_sel:BYTE_0 src1_sel:DWORD
	s_and_saveexec_b32 s8, s7
	s_cbranch_execz .LBB272_849
; %bb.842:                              ;   in Loop: Header=BB272_9 Depth=1
	v_cmp_ne_u16_sdwa s7, v8, v52 src0_sel:BYTE_0 src1_sel:DWORD
	v_mov_b32_e32 v6, 0x8000
	s_and_saveexec_b32 s20, s7
	s_cbranch_execz .LBB272_848
; %bb.843:                              ;   in Loop: Header=BB272_9 Depth=1
	v_and_b32_e32 v26, 0x7f, v8
	v_mov_b32_e32 v6, 0x7c01
	s_mov_b32 s21, exec_lo
	v_cmpx_ne_u32_e32 0x7f, v26
	s_cbranch_execz .LBB272_847
; %bb.844:                              ;   in Loop: Header=BB272_9 Depth=1
	v_and_b32_e32 v6, 7, v8
	v_lshrrev_b32_e32 v12, 3, v26
	s_mov_b32 s22, exec_lo
	v_cmpx_gt_u32_e32 8, v26
; %bb.845:                              ;   in Loop: Header=BB272_9 Depth=1
	v_ffbh_u32_e32 v6, v6
	v_min_u32_e32 v6, 32, v6
	v_subrev_nc_u32_e32 v12, 28, v6
	v_lshlrev_b64 v[94:95], v12, v[8:9]
	v_sub_nc_u32_e32 v12, 29, v6
	v_and_b32_e32 v6, 7, v94
; %bb.846:                              ;   in Loop: Header=BB272_9 Depth=1
	s_or_b32 exec_lo, exec_lo, s22
	v_lshlrev_b32_e32 v26, 8, v8
	v_lshl_add_u32 v12, v12, 10, 0x2000
	v_lshlrev_b32_e32 v6, 7, v6
	v_and_b32_e32 v26, 0x8000, v26
	v_and_b32_e32 v12, 0xfc00, v12
	v_or3_b32 v6, v26, v12, v6
.LBB272_847:                            ;   in Loop: Header=BB272_9 Depth=1
	s_or_b32 exec_lo, exec_lo, s21
.LBB272_848:                            ;   in Loop: Header=BB272_9 Depth=1
	s_or_b32 exec_lo, exec_lo, s20
.LBB272_849:                            ;   in Loop: Header=BB272_9 Depth=1
	s_or_b32 exec_lo, exec_lo, s8
	v_lshrrev_b16 v12, 8, v8
	s_mov_b32 s8, exec_lo
	v_cmpx_ne_u16_e32 0, v12
	s_cbranch_execz .LBB272_857
; %bb.850:                              ;   in Loop: Header=BB272_9 Depth=1
	v_bfrev_b32_e32 v0, 1
	s_mov_b32 s20, exec_lo
	v_cmpx_ne_u16_e32 0x80, v12
	s_cbranch_execz .LBB272_856
; %bb.851:                              ;   in Loop: Header=BB272_9 Depth=1
	v_mov_b32_e32 v0, 0x7f
	s_mov_b32 s21, exec_lo
	v_and_b32_sdwa v28, v12, v0 dst_sel:DWORD dst_unused:UNUSED_PAD src0_sel:WORD_0 src1_sel:DWORD
	v_mov_b32_e32 v0, 0x7c010000
	v_cmpx_ne_u32_e32 0x7f, v28
	s_cbranch_execz .LBB272_855
; %bb.852:                              ;   in Loop: Header=BB272_9 Depth=1
	v_mov_b32_e32 v0, 7
	v_lshrrev_b32_e32 v26, 3, v28
	s_mov_b32 s22, exec_lo
	v_and_b32_sdwa v0, v12, v0 dst_sel:DWORD dst_unused:UNUSED_PAD src0_sel:WORD_0 src1_sel:DWORD
	v_cmpx_gt_u32_e32 8, v28
; %bb.853:                              ;   in Loop: Header=BB272_9 Depth=1
	v_ffbh_u32_e32 v0, v0
	v_min_u32_e32 v0, 32, v0
	v_subrev_nc_u32_e32 v26, 28, v0
	v_lshlrev_b64 v[94:95], v26, v[12:13]
	v_sub_nc_u32_e32 v26, 29, v0
	v_and_b32_e32 v0, 7, v94
; %bb.854:                              ;   in Loop: Header=BB272_9 Depth=1
	s_or_b32 exec_lo, exec_lo, s22
	v_mov_b32_e32 v28, 8
	v_lshl_add_u32 v26, v26, 10, 0x2000
	v_lshlrev_b32_e32 v0, 23, v0
	v_lshlrev_b32_sdwa v12, v28, v12 dst_sel:DWORD dst_unused:UNUSED_PAD src0_sel:DWORD src1_sel:WORD_0
	v_and_or_b32 v12, 0x8000, v12, v26
	v_lshl_or_b32 v0, v12, 16, v0
.LBB272_855:                            ;   in Loop: Header=BB272_9 Depth=1
	s_or_b32 exec_lo, exec_lo, s21
.LBB272_856:                            ;   in Loop: Header=BB272_9 Depth=1
	s_or_b32 exec_lo, exec_lo, s20
.LBB272_857:                            ;   in Loop: Header=BB272_9 Depth=1
	s_or_b32 exec_lo, exec_lo, s8
	v_lshrrev_b32_e32 v12, 16, v8
	v_mov_b32_e32 v26, 0
	v_mov_b32_e32 v28, 0
	v_cmp_ne_u16_sdwa s7, v12, v13 src0_sel:BYTE_0 src1_sel:DWORD
	s_and_saveexec_b32 s8, s7
	s_cbranch_execz .LBB272_865
; %bb.858:                              ;   in Loop: Header=BB272_9 Depth=1
	v_cmp_ne_u16_sdwa s7, v12, v52 src0_sel:BYTE_0 src1_sel:DWORD
	v_mov_b32_e32 v28, 0x8000
	s_and_saveexec_b32 s20, s7
	s_cbranch_execz .LBB272_864
; %bb.859:                              ;   in Loop: Header=BB272_9 Depth=1
	v_bfe_u32 v51, v8, 16, 7
	v_mov_b32_e32 v28, 0x7c01
	s_mov_b32 s21, exec_lo
	v_cmpx_ne_u32_e32 0x7f, v51
	s_cbranch_execz .LBB272_863
; %bb.860:                              ;   in Loop: Header=BB272_9 Depth=1
	v_and_b32_e32 v28, 7, v12
	v_lshrrev_b32_e32 v32, 3, v51
	s_mov_b32 s22, exec_lo
	v_cmpx_gt_u32_e32 8, v51
; %bb.861:                              ;   in Loop: Header=BB272_9 Depth=1
	v_ffbh_u32_e32 v28, v28
	v_min_u32_e32 v28, 32, v28
	v_subrev_nc_u32_e32 v32, 28, v28
	v_lshlrev_b64 v[94:95], v32, v[12:13]
	v_sub_nc_u32_e32 v32, 29, v28
	v_and_b32_e32 v28, 7, v94
; %bb.862:                              ;   in Loop: Header=BB272_9 Depth=1
	s_or_b32 exec_lo, exec_lo, s22
	v_lshlrev_b32_e32 v12, 8, v12
	v_lshl_add_u32 v32, v32, 10, 0x2000
	v_lshlrev_b32_e32 v28, 7, v28
	v_and_b32_e32 v12, 0x8000, v12
	v_and_b32_e32 v32, 0xfc00, v32
	v_or3_b32 v28, v12, v32, v28
.LBB272_863:                            ;   in Loop: Header=BB272_9 Depth=1
	s_or_b32 exec_lo, exec_lo, s21
.LBB272_864:                            ;   in Loop: Header=BB272_9 Depth=1
	s_or_b32 exec_lo, exec_lo, s20
.LBB272_865:                            ;   in Loop: Header=BB272_9 Depth=1
	s_or_b32 exec_lo, exec_lo, s8
	s_mov_b32 s8, exec_lo
	v_cmpx_lt_u32_e32 0xffffff, v8
	s_cbranch_execz .LBB272_873
; %bb.866:                              ;   in Loop: Header=BB272_9 Depth=1
	v_lshrrev_b32_e32 v12, 24, v8
	v_bfrev_b32_e32 v26, 1
	s_mov_b32 s20, exec_lo
	v_cmpx_ne_u32_e32 0x80, v12
	s_cbranch_execz .LBB272_872
; %bb.867:                              ;   in Loop: Header=BB272_9 Depth=1
	v_and_b32_e32 v32, 0x7f, v12
	v_mov_b32_e32 v26, 0x7c010000
	s_mov_b32 s21, exec_lo
	v_cmpx_ne_u32_e32 0x7f, v32
	s_cbranch_execz .LBB272_871
; %bb.868:                              ;   in Loop: Header=BB272_9 Depth=1
	v_and_b32_e32 v8, 7, v12
	v_lshrrev_b32_e32 v26, 3, v32
	s_mov_b32 s22, exec_lo
	v_cmpx_gt_u32_e32 8, v32
; %bb.869:                              ;   in Loop: Header=BB272_9 Depth=1
	v_ffbh_u32_e32 v8, v8
	v_min_u32_e32 v8, 32, v8
	v_subrev_nc_u32_e32 v26, 28, v8
	v_lshlrev_b64 v[94:95], v26, v[12:13]
	v_sub_nc_u32_e32 v26, 29, v8
	v_and_b32_e32 v8, 7, v94
; %bb.870:                              ;   in Loop: Header=BB272_9 Depth=1
	s_or_b32 exec_lo, exec_lo, s22
	v_lshlrev_b32_e32 v12, 8, v12
	v_lshl_add_u32 v26, v26, 10, 0x2000
	v_lshlrev_b32_e32 v8, 23, v8
	v_and_or_b32 v12, 0x8000, v12, v26
	v_lshl_or_b32 v26, v12, 16, v8
.LBB272_871:                            ;   in Loop: Header=BB272_9 Depth=1
	s_or_b32 exec_lo, exec_lo, s21
.LBB272_872:                            ;   in Loop: Header=BB272_9 Depth=1
	s_or_b32 exec_lo, exec_lo, s20
.LBB272_873:                            ;   in Loop: Header=BB272_9 Depth=1
	s_or_b32 exec_lo, exec_lo, s8
	buffer_load_dword v8, off, s[0:3], s32 offset:196 ; 4-byte Folded Reload
	v_mov_b32_e32 v32, 0
	s_waitcnt vmcnt(0)
	v_add_co_u32 v7, s7, v7, v8
	v_add_co_ci_u32_e64 v8, null, 0, v24, s7
	flat_load_dword v8, v[7:8]
	v_mov_b32_e32 v7, 0
	s_waitcnt vmcnt(0) lgkmcnt(0)
	v_cmp_ne_u16_sdwa s7, v8, v13 src0_sel:BYTE_0 src1_sel:DWORD
	s_and_saveexec_b32 s8, s7
	s_cbranch_execz .LBB272_881
; %bb.874:                              ;   in Loop: Header=BB272_9 Depth=1
	v_cmp_ne_u16_sdwa s7, v8, v52 src0_sel:BYTE_0 src1_sel:DWORD
	v_mov_b32_e32 v32, 0x8000
	s_and_saveexec_b32 s20, s7
	s_cbranch_execz .LBB272_880
; %bb.875:                              ;   in Loop: Header=BB272_9 Depth=1
	v_and_b32_e32 v51, 0x7f, v8
	v_mov_b32_e32 v32, 0x7c01
	s_mov_b32 s21, exec_lo
	v_cmpx_ne_u32_e32 0x7f, v51
	s_cbranch_execz .LBB272_879
; %bb.876:                              ;   in Loop: Header=BB272_9 Depth=1
	v_and_b32_e32 v12, 7, v8
	v_lshrrev_b32_e32 v24, 3, v51
	s_mov_b32 s22, exec_lo
	v_cmpx_gt_u32_e32 8, v51
; %bb.877:                              ;   in Loop: Header=BB272_9 Depth=1
	v_ffbh_u32_e32 v12, v12
	v_min_u32_e32 v12, 32, v12
	v_subrev_nc_u32_e32 v24, 28, v12
	v_lshlrev_b64 v[94:95], v24, v[8:9]
	v_sub_nc_u32_e32 v24, 29, v12
	v_and_b32_e32 v12, 7, v94
; %bb.878:                              ;   in Loop: Header=BB272_9 Depth=1
	s_or_b32 exec_lo, exec_lo, s22
	v_lshlrev_b32_e32 v32, 8, v8
	v_lshl_add_u32 v24, v24, 10, 0x2000
	v_lshlrev_b32_e32 v12, 7, v12
	v_and_b32_e32 v32, 0x8000, v32
	v_and_b32_e32 v24, 0xfc00, v24
	v_or3_b32 v32, v32, v24, v12
.LBB272_879:                            ;   in Loop: Header=BB272_9 Depth=1
	s_or_b32 exec_lo, exec_lo, s21
.LBB272_880:                            ;   in Loop: Header=BB272_9 Depth=1
	s_or_b32 exec_lo, exec_lo, s20
.LBB272_881:                            ;   in Loop: Header=BB272_9 Depth=1
	s_or_b32 exec_lo, exec_lo, s8
	v_lshrrev_b16 v12, 8, v8
	s_mov_b32 s8, exec_lo
	v_cmpx_ne_u16_e32 0, v12
	s_cbranch_execz .LBB272_889
; %bb.882:                              ;   in Loop: Header=BB272_9 Depth=1
	v_bfrev_b32_e32 v7, 1
	s_mov_b32 s20, exec_lo
	v_cmpx_ne_u16_e32 0x80, v12
	s_cbranch_execz .LBB272_888
; %bb.883:                              ;   in Loop: Header=BB272_9 Depth=1
	v_mov_b32_e32 v7, 0x7f
	s_mov_b32 s21, exec_lo
	v_and_b32_sdwa v51, v12, v7 dst_sel:DWORD dst_unused:UNUSED_PAD src0_sel:WORD_0 src1_sel:DWORD
	v_mov_b32_e32 v7, 0x7c010000
	v_cmpx_ne_u32_e32 0x7f, v51
	s_cbranch_execz .LBB272_887
; %bb.884:                              ;   in Loop: Header=BB272_9 Depth=1
	v_mov_b32_e32 v7, 7
	v_lshrrev_b32_e32 v24, 3, v51
	s_mov_b32 s22, exec_lo
	v_and_b32_sdwa v7, v12, v7 dst_sel:DWORD dst_unused:UNUSED_PAD src0_sel:WORD_0 src1_sel:DWORD
	v_cmpx_gt_u32_e32 8, v51
; %bb.885:                              ;   in Loop: Header=BB272_9 Depth=1
	v_ffbh_u32_e32 v7, v7
	v_min_u32_e32 v7, 32, v7
	v_subrev_nc_u32_e32 v24, 28, v7
	v_lshlrev_b64 v[94:95], v24, v[12:13]
	v_sub_nc_u32_e32 v24, 29, v7
	v_and_b32_e32 v7, 7, v94
; %bb.886:                              ;   in Loop: Header=BB272_9 Depth=1
	s_or_b32 exec_lo, exec_lo, s22
	v_mov_b32_e32 v50, 8
	v_lshl_add_u32 v24, v24, 10, 0x2000
	v_lshlrev_b32_e32 v7, 23, v7
	v_lshlrev_b32_sdwa v12, v50, v12 dst_sel:DWORD dst_unused:UNUSED_PAD src0_sel:DWORD src1_sel:WORD_0
	v_and_or_b32 v12, 0x8000, v12, v24
	v_lshl_or_b32 v7, v12, 16, v7
.LBB272_887:                            ;   in Loop: Header=BB272_9 Depth=1
	s_or_b32 exec_lo, exec_lo, s21
.LBB272_888:                            ;   in Loop: Header=BB272_9 Depth=1
	s_or_b32 exec_lo, exec_lo, s20
.LBB272_889:                            ;   in Loop: Header=BB272_9 Depth=1
	s_or_b32 exec_lo, exec_lo, s8
	v_lshrrev_b32_e32 v12, 16, v8
	v_mov_b32_e32 v67, 0
	v_mov_b32_e32 v115, 0
	v_cmp_ne_u16_sdwa s7, v12, v13 src0_sel:BYTE_0 src1_sel:DWORD
	s_and_saveexec_b32 s8, s7
	s_cbranch_execz .LBB272_897
; %bb.890:                              ;   in Loop: Header=BB272_9 Depth=1
	v_cmp_ne_u16_sdwa s7, v12, v52 src0_sel:BYTE_0 src1_sel:DWORD
	v_mov_b32_e32 v115, 0x8000
	s_and_saveexec_b32 s20, s7
	s_cbranch_execz .LBB272_896
; %bb.891:                              ;   in Loop: Header=BB272_9 Depth=1
	v_bfe_u32 v70, v8, 16, 7
	v_mov_b32_e32 v115, 0x7c01
	s_mov_b32 s21, exec_lo
	v_cmpx_ne_u32_e32 0x7f, v70
	s_cbranch_execz .LBB272_895
; %bb.892:                              ;   in Loop: Header=BB272_9 Depth=1
	v_and_b32_e32 v24, 7, v12
	v_lshrrev_b32_e32 v51, 3, v70
	s_mov_b32 s22, exec_lo
	v_cmpx_gt_u32_e32 8, v70
; %bb.893:                              ;   in Loop: Header=BB272_9 Depth=1
	v_ffbh_u32_e32 v24, v24
	v_min_u32_e32 v24, 32, v24
	v_subrev_nc_u32_e32 v51, 28, v24
	v_lshlrev_b64 v[94:95], v51, v[12:13]
	v_sub_nc_u32_e32 v51, 29, v24
	v_and_b32_e32 v24, 7, v94
; %bb.894:                              ;   in Loop: Header=BB272_9 Depth=1
	s_or_b32 exec_lo, exec_lo, s22
	v_lshlrev_b32_e32 v12, 8, v12
	v_lshl_add_u32 v51, v51, 10, 0x2000
	v_lshlrev_b32_e32 v24, 7, v24
	v_and_b32_e32 v12, 0x8000, v12
	v_and_b32_e32 v51, 0xfc00, v51
	v_or3_b32 v115, v12, v51, v24
.LBB272_895:                            ;   in Loop: Header=BB272_9 Depth=1
	s_or_b32 exec_lo, exec_lo, s21
.LBB272_896:                            ;   in Loop: Header=BB272_9 Depth=1
	s_or_b32 exec_lo, exec_lo, s20
.LBB272_897:                            ;   in Loop: Header=BB272_9 Depth=1
	s_or_b32 exec_lo, exec_lo, s8
	s_mov_b32 s8, exec_lo
	v_cmpx_lt_u32_e32 0xffffff, v8
	s_cbranch_execz .LBB272_905
; %bb.898:                              ;   in Loop: Header=BB272_9 Depth=1
	v_lshrrev_b32_e32 v12, 24, v8
	v_bfrev_b32_e32 v67, 1
	s_mov_b32 s20, exec_lo
	v_cmpx_ne_u32_e32 0x80, v12
	s_cbranch_execz .LBB272_904
; %bb.899:                              ;   in Loop: Header=BB272_9 Depth=1
	v_and_b32_e32 v51, 0x7f, v12
	v_mov_b32_e32 v67, 0x7c010000
	s_mov_b32 s21, exec_lo
	v_cmpx_ne_u32_e32 0x7f, v51
	s_cbranch_execz .LBB272_903
; %bb.900:                              ;   in Loop: Header=BB272_9 Depth=1
	v_and_b32_e32 v8, 7, v12
	v_lshrrev_b32_e32 v24, 3, v51
	s_mov_b32 s22, exec_lo
	v_cmpx_gt_u32_e32 8, v51
; %bb.901:                              ;   in Loop: Header=BB272_9 Depth=1
	v_ffbh_u32_e32 v8, v8
	v_min_u32_e32 v8, 32, v8
	v_subrev_nc_u32_e32 v24, 28, v8
	v_lshlrev_b64 v[94:95], v24, v[12:13]
	v_sub_nc_u32_e32 v24, 29, v8
	v_and_b32_e32 v8, 7, v94
; %bb.902:                              ;   in Loop: Header=BB272_9 Depth=1
	s_or_b32 exec_lo, exec_lo, s22
	v_lshlrev_b32_e32 v12, 8, v12
	v_lshl_add_u32 v24, v24, 10, 0x2000
	v_lshlrev_b32_e32 v8, 23, v8
	v_and_or_b32 v12, 0x8000, v12, v24
	v_lshl_or_b32 v67, v12, 16, v8
.LBB272_903:                            ;   in Loop: Header=BB272_9 Depth=1
	s_or_b32 exec_lo, exec_lo, s21
.LBB272_904:                            ;   in Loop: Header=BB272_9 Depth=1
	s_or_b32 exec_lo, exec_lo, s20
.LBB272_905:                            ;   in Loop: Header=BB272_9 Depth=1
	s_or_b32 exec_lo, exec_lo, s8
	buffer_load_dword v8, off, s[0:3], s32 offset:192 ; 4-byte Folded Reload
	v_add_co_u32 v51, s7, 0xe00, v16
	v_add_co_ci_u32_e64 v104, null, 0, v17, s7
	v_mov_b32_e32 v117, 0
	s_waitcnt vmcnt(0)
	v_add_co_u32 v94, s7, v51, v8
	v_add_co_ci_u32_e64 v95, null, 0, v104, s7
	flat_load_dword v8, v[94:95]
	v_mov_b32_e32 v94, 0
	s_waitcnt vmcnt(0) lgkmcnt(0)
	v_cmp_ne_u16_sdwa s7, v8, v13 src0_sel:BYTE_0 src1_sel:DWORD
	s_and_saveexec_b32 s8, s7
	s_cbranch_execz .LBB272_913
; %bb.906:                              ;   in Loop: Header=BB272_9 Depth=1
	v_cmp_ne_u16_sdwa s7, v8, v52 src0_sel:BYTE_0 src1_sel:DWORD
	v_mov_b32_e32 v94, 0x8000
	s_and_saveexec_b32 s20, s7
	s_cbranch_execz .LBB272_912
; %bb.907:                              ;   in Loop: Header=BB272_9 Depth=1
	v_and_b32_e32 v70, 0x7f, v8
	v_mov_b32_e32 v94, 0x7c01
	s_mov_b32 s21, exec_lo
	v_cmpx_ne_u32_e32 0x7f, v70
	s_cbranch_execz .LBB272_911
; %bb.908:                              ;   in Loop: Header=BB272_9 Depth=1
	v_and_b32_e32 v12, 7, v8
	v_lshrrev_b32_e32 v24, 3, v70
	s_mov_b32 s22, exec_lo
	v_cmpx_gt_u32_e32 8, v70
; %bb.909:                              ;   in Loop: Header=BB272_9 Depth=1
	v_ffbh_u32_e32 v12, v12
	v_min_u32_e32 v12, 32, v12
	v_subrev_nc_u32_e32 v24, 28, v12
	v_lshlrev_b64 v[94:95], v24, v[8:9]
	v_sub_nc_u32_e32 v24, 29, v12
	v_and_b32_e32 v12, 7, v94
; %bb.910:                              ;   in Loop: Header=BB272_9 Depth=1
	s_or_b32 exec_lo, exec_lo, s22
	v_lshlrev_b32_e32 v70, 8, v8
	v_lshl_add_u32 v24, v24, 10, 0x2000
	v_lshlrev_b32_e32 v12, 7, v12
	v_and_b32_e32 v70, 0x8000, v70
	v_and_b32_e32 v24, 0xfc00, v24
	v_or3_b32 v94, v70, v24, v12
.LBB272_911:                            ;   in Loop: Header=BB272_9 Depth=1
	s_or_b32 exec_lo, exec_lo, s21
.LBB272_912:                            ;   in Loop: Header=BB272_9 Depth=1
	s_or_b32 exec_lo, exec_lo, s20
.LBB272_913:                            ;   in Loop: Header=BB272_9 Depth=1
	s_or_b32 exec_lo, exec_lo, s8
	v_lshrrev_b16 v12, 8, v8
	s_mov_b32 s8, exec_lo
	v_cmpx_ne_u16_e32 0, v12
	s_cbranch_execz .LBB272_921
; %bb.914:                              ;   in Loop: Header=BB272_9 Depth=1
	v_bfrev_b32_e32 v117, 1
	s_mov_b32 s20, exec_lo
	v_cmpx_ne_u16_e32 0x80, v12
	s_cbranch_execz .LBB272_920
; %bb.915:                              ;   in Loop: Header=BB272_9 Depth=1
	v_mov_b32_e32 v24, 0x7f
	v_mov_b32_e32 v117, 0x7c010000
	s_mov_b32 s21, exec_lo
	v_and_b32_sdwa v95, v12, v24 dst_sel:DWORD dst_unused:UNUSED_PAD src0_sel:WORD_0 src1_sel:DWORD
	v_cmpx_ne_u32_e32 0x7f, v95
	s_cbranch_execz .LBB272_919
; %bb.916:                              ;   in Loop: Header=BB272_9 Depth=1
	v_mov_b32_e32 v24, 7
	v_lshrrev_b32_e32 v70, 3, v95
	s_mov_b32 s22, exec_lo
	v_and_b32_sdwa v24, v12, v24 dst_sel:DWORD dst_unused:UNUSED_PAD src0_sel:WORD_0 src1_sel:DWORD
	v_cmpx_gt_u32_e32 8, v95
; %bb.917:                              ;   in Loop: Header=BB272_9 Depth=1
	v_ffbh_u32_e32 v24, v24
	v_min_u32_e32 v24, 32, v24
	v_subrev_nc_u32_e32 v70, 28, v24
	v_lshlrev_b64 v[107:108], v70, v[12:13]
	v_sub_nc_u32_e32 v70, 29, v24
	v_and_b32_e32 v24, 7, v107
; %bb.918:                              ;   in Loop: Header=BB272_9 Depth=1
	s_or_b32 exec_lo, exec_lo, s22
	v_mov_b32_e32 v50, 8
	v_lshl_add_u32 v70, v70, 10, 0x2000
	v_lshlrev_b32_e32 v24, 23, v24
	v_lshlrev_b32_sdwa v12, v50, v12 dst_sel:DWORD dst_unused:UNUSED_PAD src0_sel:DWORD src1_sel:WORD_0
	v_and_or_b32 v12, 0x8000, v12, v70
	v_lshl_or_b32 v117, v12, 16, v24
.LBB272_919:                            ;   in Loop: Header=BB272_9 Depth=1
	s_or_b32 exec_lo, exec_lo, s21
.LBB272_920:                            ;   in Loop: Header=BB272_9 Depth=1
	s_or_b32 exec_lo, exec_lo, s20
.LBB272_921:                            ;   in Loop: Header=BB272_9 Depth=1
	s_or_b32 exec_lo, exec_lo, s8
	v_lshrrev_b32_e32 v12, 16, v8
	v_mov_b32_e32 v95, 0
	v_mov_b32_e32 v24, 0
	v_cmp_ne_u16_sdwa s7, v12, v13 src0_sel:BYTE_0 src1_sel:DWORD
	s_and_saveexec_b32 s8, s7
	s_cbranch_execz .LBB272_929
; %bb.922:                              ;   in Loop: Header=BB272_9 Depth=1
	v_cmp_ne_u16_sdwa s7, v12, v52 src0_sel:BYTE_0 src1_sel:DWORD
	v_mov_b32_e32 v24, 0x8000
	s_and_saveexec_b32 s20, s7
	s_cbranch_execz .LBB272_928
; %bb.923:                              ;   in Loop: Header=BB272_9 Depth=1
	v_bfe_u32 v105, v8, 16, 7
	v_mov_b32_e32 v24, 0x7c01
	s_mov_b32 s21, exec_lo
	v_cmpx_ne_u32_e32 0x7f, v105
	s_cbranch_execz .LBB272_927
; %bb.924:                              ;   in Loop: Header=BB272_9 Depth=1
	v_and_b32_e32 v24, 7, v12
	v_lshrrev_b32_e32 v70, 3, v105
	s_mov_b32 s22, exec_lo
	v_cmpx_gt_u32_e32 8, v105
; %bb.925:                              ;   in Loop: Header=BB272_9 Depth=1
	v_ffbh_u32_e32 v24, v24
	v_min_u32_e32 v24, 32, v24
	v_subrev_nc_u32_e32 v70, 28, v24
	v_lshlrev_b64 v[107:108], v70, v[12:13]
	v_sub_nc_u32_e32 v70, 29, v24
	v_and_b32_e32 v24, 7, v107
; %bb.926:                              ;   in Loop: Header=BB272_9 Depth=1
	s_or_b32 exec_lo, exec_lo, s22
	v_lshlrev_b32_e32 v12, 8, v12
	v_lshl_add_u32 v70, v70, 10, 0x2000
	v_lshlrev_b32_e32 v24, 7, v24
	v_and_b32_e32 v12, 0x8000, v12
	v_and_b32_e32 v70, 0xfc00, v70
	v_or3_b32 v24, v12, v70, v24
.LBB272_927:                            ;   in Loop: Header=BB272_9 Depth=1
	s_or_b32 exec_lo, exec_lo, s21
.LBB272_928:                            ;   in Loop: Header=BB272_9 Depth=1
	s_or_b32 exec_lo, exec_lo, s20
.LBB272_929:                            ;   in Loop: Header=BB272_9 Depth=1
	s_or_b32 exec_lo, exec_lo, s8
	s_mov_b32 s8, exec_lo
	v_cmpx_lt_u32_e32 0xffffff, v8
	s_cbranch_execz .LBB272_937
; %bb.930:                              ;   in Loop: Header=BB272_9 Depth=1
	v_lshrrev_b32_e32 v12, 24, v8
	v_bfrev_b32_e32 v95, 1
	s_mov_b32 s20, exec_lo
	v_cmpx_ne_u32_e32 0x80, v12
	s_cbranch_execz .LBB272_936
; %bb.931:                              ;   in Loop: Header=BB272_9 Depth=1
	v_and_b32_e32 v105, 0x7f, v12
	v_mov_b32_e32 v95, 0x7c010000
	s_mov_b32 s21, exec_lo
	v_cmpx_ne_u32_e32 0x7f, v105
	s_cbranch_execz .LBB272_935
; %bb.932:                              ;   in Loop: Header=BB272_9 Depth=1
	v_and_b32_e32 v8, 7, v12
	v_lshrrev_b32_e32 v70, 3, v105
	s_mov_b32 s22, exec_lo
	v_cmpx_gt_u32_e32 8, v105
; %bb.933:                              ;   in Loop: Header=BB272_9 Depth=1
	v_ffbh_u32_e32 v8, v8
	v_min_u32_e32 v8, 32, v8
	v_subrev_nc_u32_e32 v70, 28, v8
	v_lshlrev_b64 v[107:108], v70, v[12:13]
	v_sub_nc_u32_e32 v70, 29, v8
	v_and_b32_e32 v8, 7, v107
; %bb.934:                              ;   in Loop: Header=BB272_9 Depth=1
	s_or_b32 exec_lo, exec_lo, s22
	v_lshlrev_b32_e32 v12, 8, v12
	v_lshl_add_u32 v70, v70, 10, 0x2000
	v_lshlrev_b32_e32 v8, 23, v8
	v_and_or_b32 v12, 0x8000, v12, v70
	v_lshl_or_b32 v95, v12, 16, v8
.LBB272_935:                            ;   in Loop: Header=BB272_9 Depth=1
	s_or_b32 exec_lo, exec_lo, s21
.LBB272_936:                            ;   in Loop: Header=BB272_9 Depth=1
	s_or_b32 exec_lo, exec_lo, s20
.LBB272_937:                            ;   in Loop: Header=BB272_9 Depth=1
	s_or_b32 exec_lo, exec_lo, s8
	buffer_load_dword v8, off, s[0:3], s32 offset:196 ; 4-byte Folded Reload
	v_mov_b32_e32 v105, 0
	s_waitcnt vmcnt(0)
	v_add_co_u32 v107, s7, v51, v8
	v_add_co_ci_u32_e64 v108, null, 0, v104, s7
	v_mov_b32_e32 v104, 0
	flat_load_dword v8, v[107:108]
	s_waitcnt vmcnt(0) lgkmcnt(0)
	v_cmp_ne_u16_sdwa s7, v8, v13 src0_sel:BYTE_0 src1_sel:DWORD
	s_and_saveexec_b32 s8, s7
	s_cbranch_execz .LBB272_945
; %bb.938:                              ;   in Loop: Header=BB272_9 Depth=1
	v_cmp_ne_u16_sdwa s7, v8, v52 src0_sel:BYTE_0 src1_sel:DWORD
	v_mov_b32_e32 v105, 0x8000
	s_and_saveexec_b32 s20, s7
	s_cbranch_execz .LBB272_944
; %bb.939:                              ;   in Loop: Header=BB272_9 Depth=1
	v_and_b32_e32 v70, 0x7f, v8
	v_mov_b32_e32 v105, 0x7c01
	s_mov_b32 s21, exec_lo
	v_cmpx_ne_u32_e32 0x7f, v70
	s_cbranch_execz .LBB272_943
; %bb.940:                              ;   in Loop: Header=BB272_9 Depth=1
	v_and_b32_e32 v12, 7, v8
	v_lshrrev_b32_e32 v51, 3, v70
	s_mov_b32 s22, exec_lo
	v_cmpx_gt_u32_e32 8, v70
; %bb.941:                              ;   in Loop: Header=BB272_9 Depth=1
	v_ffbh_u32_e32 v12, v12
	v_min_u32_e32 v12, 32, v12
	v_subrev_nc_u32_e32 v51, 28, v12
	v_lshlrev_b64 v[107:108], v51, v[8:9]
	v_sub_nc_u32_e32 v51, 29, v12
	v_and_b32_e32 v12, 7, v107
; %bb.942:                              ;   in Loop: Header=BB272_9 Depth=1
	s_or_b32 exec_lo, exec_lo, s22
	v_lshlrev_b32_e32 v70, 8, v8
	v_lshl_add_u32 v51, v51, 10, 0x2000
	v_lshlrev_b32_e32 v12, 7, v12
	v_and_b32_e32 v70, 0x8000, v70
	v_and_b32_e32 v51, 0xfc00, v51
	v_or3_b32 v105, v70, v51, v12
.LBB272_943:                            ;   in Loop: Header=BB272_9 Depth=1
	s_or_b32 exec_lo, exec_lo, s21
.LBB272_944:                            ;   in Loop: Header=BB272_9 Depth=1
	s_or_b32 exec_lo, exec_lo, s20
.LBB272_945:                            ;   in Loop: Header=BB272_9 Depth=1
	s_or_b32 exec_lo, exec_lo, s8
	v_lshrrev_b16 v12, 8, v8
	s_mov_b32 s8, exec_lo
	v_cmpx_ne_u16_e32 0, v12
	s_cbranch_execz .LBB272_953
; %bb.946:                              ;   in Loop: Header=BB272_9 Depth=1
	v_bfrev_b32_e32 v104, 1
	s_mov_b32 s20, exec_lo
	v_cmpx_ne_u16_e32 0x80, v12
	s_cbranch_execz .LBB272_952
; %bb.947:                              ;   in Loop: Header=BB272_9 Depth=1
	v_mov_b32_e32 v50, 0x7f
	v_mov_b32_e32 v104, 0x7c010000
	s_mov_b32 s21, exec_lo
	v_and_b32_sdwa v107, v12, v50 dst_sel:DWORD dst_unused:UNUSED_PAD src0_sel:WORD_0 src1_sel:DWORD
	v_cmpx_ne_u32_e32 0x7f, v107
	s_cbranch_execz .LBB272_951
; %bb.948:                              ;   in Loop: Header=BB272_9 Depth=1
	v_mov_b32_e32 v50, 7
	v_lshrrev_b32_e32 v70, 3, v107
	s_mov_b32 s22, exec_lo
	v_and_b32_sdwa v51, v12, v50 dst_sel:DWORD dst_unused:UNUSED_PAD src0_sel:WORD_0 src1_sel:DWORD
	v_cmpx_gt_u32_e32 8, v107
; %bb.949:                              ;   in Loop: Header=BB272_9 Depth=1
	v_ffbh_u32_e32 v51, v51
	v_min_u32_e32 v51, 32, v51
	v_subrev_nc_u32_e32 v70, 28, v51
	v_lshlrev_b64 v[107:108], v70, v[12:13]
	v_sub_nc_u32_e32 v70, 29, v51
	v_and_b32_e32 v51, 7, v107
; %bb.950:                              ;   in Loop: Header=BB272_9 Depth=1
	s_or_b32 exec_lo, exec_lo, s22
	v_mov_b32_e32 v50, 8
	v_lshl_add_u32 v70, v70, 10, 0x2000
	v_lshlrev_b32_e32 v51, 23, v51
	v_lshlrev_b32_sdwa v12, v50, v12 dst_sel:DWORD dst_unused:UNUSED_PAD src0_sel:DWORD src1_sel:WORD_0
	v_and_or_b32 v12, 0x8000, v12, v70
	v_lshl_or_b32 v104, v12, 16, v51
.LBB272_951:                            ;   in Loop: Header=BB272_9 Depth=1
	s_or_b32 exec_lo, exec_lo, s21
.LBB272_952:                            ;   in Loop: Header=BB272_9 Depth=1
	s_or_b32 exec_lo, exec_lo, s20
.LBB272_953:                            ;   in Loop: Header=BB272_9 Depth=1
	s_or_b32 exec_lo, exec_lo, s8
	v_lshrrev_b32_e32 v12, 16, v8
	v_mov_b32_e32 v51, 0
	v_mov_b32_e32 v107, 0
	v_cmp_ne_u16_sdwa s7, v12, v13 src0_sel:BYTE_0 src1_sel:DWORD
	s_and_saveexec_b32 s8, s7
	s_cbranch_execz .LBB272_961
; %bb.954:                              ;   in Loop: Header=BB272_9 Depth=1
	v_cmp_ne_u16_sdwa s7, v12, v52 src0_sel:BYTE_0 src1_sel:DWORD
	v_mov_b32_e32 v107, 0x8000
	s_and_saveexec_b32 s20, s7
	s_cbranch_execz .LBB272_960
; %bb.955:                              ;   in Loop: Header=BB272_9 Depth=1
	v_bfe_u32 v108, v8, 16, 7
	v_mov_b32_e32 v107, 0x7c01
	s_mov_b32 s21, exec_lo
	v_cmpx_ne_u32_e32 0x7f, v108
	s_cbranch_execz .LBB272_959
; %bb.956:                              ;   in Loop: Header=BB272_9 Depth=1
	v_and_b32_e32 v70, 7, v12
	v_lshrrev_b32_e32 v107, 3, v108
	s_mov_b32 s22, exec_lo
	v_cmpx_gt_u32_e32 8, v108
; %bb.957:                              ;   in Loop: Header=BB272_9 Depth=1
	v_ffbh_u32_e32 v70, v70
	v_min_u32_e32 v70, 32, v70
	v_subrev_nc_u32_e32 v119, 28, v70
	v_sub_nc_u32_e32 v107, 29, v70
	v_lshlrev_b64 v[108:109], v119, v[12:13]
	v_and_b32_e32 v70, 7, v108
; %bb.958:                              ;   in Loop: Header=BB272_9 Depth=1
	s_or_b32 exec_lo, exec_lo, s22
	v_lshlrev_b32_e32 v12, 8, v12
	v_lshl_add_u32 v119, v107, 10, 0x2000
	v_lshlrev_b32_e32 v70, 7, v70
	v_and_b32_e32 v12, 0x8000, v12
	v_and_b32_e32 v119, 0xfc00, v119
	v_or3_b32 v107, v12, v119, v70
.LBB272_959:                            ;   in Loop: Header=BB272_9 Depth=1
	s_or_b32 exec_lo, exec_lo, s21
.LBB272_960:                            ;   in Loop: Header=BB272_9 Depth=1
	s_or_b32 exec_lo, exec_lo, s20
.LBB272_961:                            ;   in Loop: Header=BB272_9 Depth=1
	s_or_b32 exec_lo, exec_lo, s8
	s_mov_b32 s8, exec_lo
	v_cmpx_lt_u32_e32 0xffffff, v8
	s_cbranch_execz .LBB272_969
; %bb.962:                              ;   in Loop: Header=BB272_9 Depth=1
	v_lshrrev_b32_e32 v12, 24, v8
	v_bfrev_b32_e32 v51, 1
	s_mov_b32 s20, exec_lo
	v_cmpx_ne_u32_e32 0x80, v12
	s_cbranch_execz .LBB272_968
; %bb.963:                              ;   in Loop: Header=BB272_9 Depth=1
	v_and_b32_e32 v70, 0x7f, v12
	v_mov_b32_e32 v51, 0x7c010000
	s_mov_b32 s21, exec_lo
	v_cmpx_ne_u32_e32 0x7f, v70
	s_cbranch_execz .LBB272_967
; %bb.964:                              ;   in Loop: Header=BB272_9 Depth=1
	v_and_b32_e32 v8, 7, v12
	v_lshrrev_b32_e32 v51, 3, v70
	s_mov_b32 s22, exec_lo
	v_cmpx_gt_u32_e32 8, v70
; %bb.965:                              ;   in Loop: Header=BB272_9 Depth=1
	v_ffbh_u32_e32 v8, v8
	v_min_u32_e32 v8, 32, v8
	v_subrev_nc_u32_e32 v51, 28, v8
	v_lshlrev_b64 v[108:109], v51, v[12:13]
	v_sub_nc_u32_e32 v51, 29, v8
	v_and_b32_e32 v8, 7, v108
; %bb.966:                              ;   in Loop: Header=BB272_9 Depth=1
	s_or_b32 exec_lo, exec_lo, s22
	v_lshlrev_b32_e32 v12, 8, v12
	v_lshl_add_u32 v51, v51, 10, 0x2000
	v_lshlrev_b32_e32 v8, 23, v8
	v_and_or_b32 v12, 0x8000, v12, v51
	v_lshl_or_b32 v51, v12, 16, v8
.LBB272_967:                            ;   in Loop: Header=BB272_9 Depth=1
	s_or_b32 exec_lo, exec_lo, s21
.LBB272_968:                            ;   in Loop: Header=BB272_9 Depth=1
	s_or_b32 exec_lo, exec_lo, s20
.LBB272_969:                            ;   in Loop: Header=BB272_9 Depth=1
	s_or_b32 exec_lo, exec_lo, s8
	buffer_load_dword v8, off, s[0:3], s32 offset:192 ; 4-byte Folded Reload
	v_add_co_u32 v120, s7, 0xf00, v16
	v_add_co_ci_u32_e64 v122, null, 0, v17, s7
	s_waitcnt vmcnt(0)
	v_add_co_u32 v16, s7, v120, v8
	v_add_co_ci_u32_e64 v17, null, 0, v122, s7
	flat_load_dword v8, v[16:17]
	v_mov_b32_e32 v16, 0
	v_mov_b32_e32 v17, 0
	s_waitcnt vmcnt(0) lgkmcnt(0)
	v_cmp_ne_u16_sdwa s7, v8, v13 src0_sel:BYTE_0 src1_sel:DWORD
	s_and_saveexec_b32 s8, s7
	s_cbranch_execz .LBB272_977
; %bb.970:                              ;   in Loop: Header=BB272_9 Depth=1
	v_cmp_ne_u16_sdwa s7, v8, v52 src0_sel:BYTE_0 src1_sel:DWORD
	v_mov_b32_e32 v17, 0x8000
	s_and_saveexec_b32 s20, s7
	s_cbranch_execz .LBB272_976
; %bb.971:                              ;   in Loop: Header=BB272_9 Depth=1
	v_and_b32_e32 v70, 0x7f, v8
	v_mov_b32_e32 v17, 0x7c01
	s_mov_b32 s21, exec_lo
	v_cmpx_ne_u32_e32 0x7f, v70
	s_cbranch_execz .LBB272_975
; %bb.972:                              ;   in Loop: Header=BB272_9 Depth=1
	v_and_b32_e32 v12, 7, v8
	v_lshrrev_b32_e32 v17, 3, v70
	s_mov_b32 s22, exec_lo
	v_cmpx_gt_u32_e32 8, v70
; %bb.973:                              ;   in Loop: Header=BB272_9 Depth=1
	v_ffbh_u32_e32 v12, v12
	v_min_u32_e32 v12, 32, v12
	v_subrev_nc_u32_e32 v17, 28, v12
	v_lshlrev_b64 v[108:109], v17, v[8:9]
	v_sub_nc_u32_e32 v17, 29, v12
	v_and_b32_e32 v12, 7, v108
; %bb.974:                              ;   in Loop: Header=BB272_9 Depth=1
	s_or_b32 exec_lo, exec_lo, s22
	v_lshlrev_b32_e32 v70, 8, v8
	v_lshl_add_u32 v17, v17, 10, 0x2000
	v_lshlrev_b32_e32 v12, 7, v12
	v_and_b32_e32 v70, 0x8000, v70
	v_and_b32_e32 v17, 0xfc00, v17
	v_or3_b32 v17, v70, v17, v12
.LBB272_975:                            ;   in Loop: Header=BB272_9 Depth=1
	s_or_b32 exec_lo, exec_lo, s21
.LBB272_976:                            ;   in Loop: Header=BB272_9 Depth=1
	s_or_b32 exec_lo, exec_lo, s20
.LBB272_977:                            ;   in Loop: Header=BB272_9 Depth=1
	s_or_b32 exec_lo, exec_lo, s8
	v_lshrrev_b16 v12, 8, v8
	s_mov_b32 s8, exec_lo
	v_cmpx_ne_u16_e32 0, v12
	s_cbranch_execz .LBB272_985
; %bb.978:                              ;   in Loop: Header=BB272_9 Depth=1
	v_bfrev_b32_e32 v16, 1
	s_mov_b32 s20, exec_lo
	v_cmpx_ne_u16_e32 0x80, v12
	s_cbranch_execz .LBB272_984
; %bb.979:                              ;   in Loop: Header=BB272_9 Depth=1
	v_mov_b32_e32 v16, 0x7f
	s_mov_b32 s21, exec_lo
	v_and_b32_sdwa v108, v12, v16 dst_sel:DWORD dst_unused:UNUSED_PAD src0_sel:WORD_0 src1_sel:DWORD
	v_mov_b32_e32 v16, 0x7c010000
	v_cmpx_ne_u32_e32 0x7f, v108
	s_cbranch_execz .LBB272_983
; %bb.980:                              ;   in Loop: Header=BB272_9 Depth=1
	v_mov_b32_e32 v16, 7
	v_lshrrev_b32_e32 v70, 3, v108
	s_mov_b32 s22, exec_lo
	v_and_b32_sdwa v16, v12, v16 dst_sel:DWORD dst_unused:UNUSED_PAD src0_sel:WORD_0 src1_sel:DWORD
	v_cmpx_gt_u32_e32 8, v108
; %bb.981:                              ;   in Loop: Header=BB272_9 Depth=1
	v_ffbh_u32_e32 v16, v16
	v_min_u32_e32 v16, 32, v16
	v_subrev_nc_u32_e32 v70, 28, v16
	v_lshlrev_b64 v[108:109], v70, v[12:13]
	v_sub_nc_u32_e32 v70, 29, v16
	v_and_b32_e32 v16, 7, v108
; %bb.982:                              ;   in Loop: Header=BB272_9 Depth=1
	s_or_b32 exec_lo, exec_lo, s22
	v_mov_b32_e32 v50, 8
	v_lshl_add_u32 v70, v70, 10, 0x2000
	v_lshlrev_b32_e32 v16, 23, v16
	v_lshlrev_b32_sdwa v12, v50, v12 dst_sel:DWORD dst_unused:UNUSED_PAD src0_sel:DWORD src1_sel:WORD_0
	v_and_or_b32 v12, 0x8000, v12, v70
	v_lshl_or_b32 v16, v12, 16, v16
.LBB272_983:                            ;   in Loop: Header=BB272_9 Depth=1
	s_or_b32 exec_lo, exec_lo, s21
.LBB272_984:                            ;   in Loop: Header=BB272_9 Depth=1
	s_or_b32 exec_lo, exec_lo, s20
.LBB272_985:                            ;   in Loop: Header=BB272_9 Depth=1
	s_or_b32 exec_lo, exec_lo, s8
	v_lshrrev_b32_e32 v12, 16, v8
	v_mov_b32_e32 v108, 0
	v_mov_b32_e32 v109, 0
	v_cmp_ne_u16_sdwa s7, v12, v13 src0_sel:BYTE_0 src1_sel:DWORD
	s_and_saveexec_b32 s8, s7
	s_cbranch_execz .LBB272_993
; %bb.986:                              ;   in Loop: Header=BB272_9 Depth=1
	v_cmp_ne_u16_sdwa s7, v12, v52 src0_sel:BYTE_0 src1_sel:DWORD
	v_mov_b32_e32 v109, 0x8000
	s_and_saveexec_b32 s20, s7
	s_cbranch_execz .LBB272_992
; %bb.987:                              ;   in Loop: Header=BB272_9 Depth=1
	v_bfe_u32 v123, v8, 16, 7
	v_mov_b32_e32 v109, 0x7c01
	s_mov_b32 s21, exec_lo
	v_cmpx_ne_u32_e32 0x7f, v123
	s_cbranch_execz .LBB272_991
; %bb.988:                              ;   in Loop: Header=BB272_9 Depth=1
	v_and_b32_e32 v70, 7, v12
	v_lshrrev_b32_e32 v109, 3, v123
	s_mov_b32 s22, exec_lo
	v_cmpx_gt_u32_e32 8, v123
; %bb.989:                              ;   in Loop: Header=BB272_9 Depth=1
	v_ffbh_u32_e32 v70, v70
	v_min_u32_e32 v70, 32, v70
	v_subrev_nc_u32_e32 v119, 28, v70
	v_sub_nc_u32_e32 v109, 29, v70
	v_lshlrev_b64 v[126:127], v119, v[12:13]
	v_and_b32_e32 v70, 7, v126
; %bb.990:                              ;   in Loop: Header=BB272_9 Depth=1
	s_or_b32 exec_lo, exec_lo, s22
	v_lshlrev_b32_e32 v12, 8, v12
	v_lshl_add_u32 v119, v109, 10, 0x2000
	v_lshlrev_b32_e32 v70, 7, v70
	v_and_b32_e32 v12, 0x8000, v12
	v_and_b32_e32 v119, 0xfc00, v119
	v_or3_b32 v109, v12, v119, v70
.LBB272_991:                            ;   in Loop: Header=BB272_9 Depth=1
	s_or_b32 exec_lo, exec_lo, s21
.LBB272_992:                            ;   in Loop: Header=BB272_9 Depth=1
	s_or_b32 exec_lo, exec_lo, s20
.LBB272_993:                            ;   in Loop: Header=BB272_9 Depth=1
	s_or_b32 exec_lo, exec_lo, s8
	s_mov_b32 s8, exec_lo
	v_cmpx_lt_u32_e32 0xffffff, v8
	s_cbranch_execz .LBB272_1001
; %bb.994:                              ;   in Loop: Header=BB272_9 Depth=1
	v_lshrrev_b32_e32 v12, 24, v8
	v_bfrev_b32_e32 v108, 1
	s_mov_b32 s20, exec_lo
	v_cmpx_ne_u32_e32 0x80, v12
	s_cbranch_execz .LBB272_1000
; %bb.995:                              ;   in Loop: Header=BB272_9 Depth=1
	v_and_b32_e32 v123, 0x7f, v12
	v_mov_b32_e32 v108, 0x7c010000
	s_mov_b32 s21, exec_lo
	v_cmpx_ne_u32_e32 0x7f, v123
	s_cbranch_execz .LBB272_999
; %bb.996:                              ;   in Loop: Header=BB272_9 Depth=1
	v_and_b32_e32 v8, 7, v12
	v_lshrrev_b32_e32 v70, 3, v123
	s_mov_b32 s22, exec_lo
	v_cmpx_gt_u32_e32 8, v123
; %bb.997:                              ;   in Loop: Header=BB272_9 Depth=1
	v_ffbh_u32_e32 v8, v8
	v_min_u32_e32 v8, 32, v8
	v_subrev_nc_u32_e32 v70, 28, v8
	v_lshlrev_b64 v[126:127], v70, v[12:13]
	v_sub_nc_u32_e32 v70, 29, v8
	v_and_b32_e32 v8, 7, v126
; %bb.998:                              ;   in Loop: Header=BB272_9 Depth=1
	s_or_b32 exec_lo, exec_lo, s22
	v_lshlrev_b32_e32 v12, 8, v12
	v_lshl_add_u32 v70, v70, 10, 0x2000
	v_lshlrev_b32_e32 v8, 23, v8
	v_and_or_b32 v12, 0x8000, v12, v70
	v_lshl_or_b32 v108, v12, 16, v8
.LBB272_999:                            ;   in Loop: Header=BB272_9 Depth=1
	s_or_b32 exec_lo, exec_lo, s21
.LBB272_1000:                           ;   in Loop: Header=BB272_9 Depth=1
	s_or_b32 exec_lo, exec_lo, s20
.LBB272_1001:                           ;   in Loop: Header=BB272_9 Depth=1
	s_or_b32 exec_lo, exec_lo, s8
	buffer_load_dword v8, off, s[0:3], s32 offset:196 ; 4-byte Folded Reload
	v_mov_b32_e32 v123, 0
	s_waitcnt vmcnt(0)
	v_add_co_u32 v126, s7, v120, v8
	v_add_co_ci_u32_e64 v127, null, 0, v122, s7
	v_mov_b32_e32 v122, 0
	flat_load_dword v8, v[126:127]
	s_waitcnt vmcnt(0) lgkmcnt(0)
	v_cmp_ne_u16_sdwa s7, v8, v13 src0_sel:BYTE_0 src1_sel:DWORD
	s_and_saveexec_b32 s8, s7
	s_cbranch_execz .LBB272_1009
; %bb.1002:                             ;   in Loop: Header=BB272_9 Depth=1
	v_cmp_ne_u16_sdwa s7, v8, v52 src0_sel:BYTE_0 src1_sel:DWORD
	v_mov_b32_e32 v123, 0x8000
	s_and_saveexec_b32 s20, s7
	s_cbranch_execz .LBB272_1008
; %bb.1003:                             ;   in Loop: Header=BB272_9 Depth=1
	v_and_b32_e32 v120, 0x7f, v8
	v_mov_b32_e32 v123, 0x7c01
	s_mov_b32 s21, exec_lo
	v_cmpx_ne_u32_e32 0x7f, v120
	s_cbranch_execz .LBB272_1007
; %bb.1004:                             ;   in Loop: Header=BB272_9 Depth=1
	v_and_b32_e32 v12, 7, v8
	v_lshrrev_b32_e32 v70, 3, v120
	s_mov_b32 s22, exec_lo
	v_cmpx_gt_u32_e32 8, v120
; %bb.1005:                             ;   in Loop: Header=BB272_9 Depth=1
	v_ffbh_u32_e32 v12, v12
	v_min_u32_e32 v12, 32, v12
	v_subrev_nc_u32_e32 v70, 28, v12
	v_lshlrev_b64 v[126:127], v70, v[8:9]
	v_sub_nc_u32_e32 v70, 29, v12
	v_and_b32_e32 v12, 7, v126
; %bb.1006:                             ;   in Loop: Header=BB272_9 Depth=1
	s_or_b32 exec_lo, exec_lo, s22
	v_lshlrev_b32_e32 v119, 8, v8
	v_lshl_add_u32 v70, v70, 10, 0x2000
	v_lshlrev_b32_e32 v12, 7, v12
	v_and_b32_e32 v119, 0x8000, v119
	v_and_b32_e32 v70, 0xfc00, v70
	v_or3_b32 v123, v119, v70, v12
.LBB272_1007:                           ;   in Loop: Header=BB272_9 Depth=1
	s_or_b32 exec_lo, exec_lo, s21
.LBB272_1008:                           ;   in Loop: Header=BB272_9 Depth=1
	s_or_b32 exec_lo, exec_lo, s20
.LBB272_1009:                           ;   in Loop: Header=BB272_9 Depth=1
	s_or_b32 exec_lo, exec_lo, s8
	v_lshrrev_b16 v12, 8, v8
	s_mov_b32 s8, exec_lo
	v_cmpx_ne_u16_e32 0, v12
	s_cbranch_execz .LBB272_1017
; %bb.1010:                             ;   in Loop: Header=BB272_9 Depth=1
	v_bfrev_b32_e32 v122, 1
	s_mov_b32 s20, exec_lo
	v_cmpx_ne_u16_e32 0x80, v12
	s_cbranch_execz .LBB272_1016
; %bb.1011:                             ;   in Loop: Header=BB272_9 Depth=1
	v_mov_b32_e32 v50, 0x7f
	v_mov_b32_e32 v122, 0x7c010000
	s_mov_b32 s21, exec_lo
	v_and_b32_sdwa v126, v12, v50 dst_sel:DWORD dst_unused:UNUSED_PAD src0_sel:WORD_0 src1_sel:DWORD
	v_cmpx_ne_u32_e32 0x7f, v126
	s_cbranch_execz .LBB272_1015
; %bb.1012:                             ;   in Loop: Header=BB272_9 Depth=1
	v_mov_b32_e32 v50, 7
	v_lshrrev_b32_e32 v120, 3, v126
	s_mov_b32 s22, exec_lo
	v_and_b32_sdwa v70, v12, v50 dst_sel:DWORD dst_unused:UNUSED_PAD src0_sel:WORD_0 src1_sel:DWORD
	v_cmpx_gt_u32_e32 8, v126
; %bb.1013:                             ;   in Loop: Header=BB272_9 Depth=1
	v_ffbh_u32_e32 v70, v70
	v_min_u32_e32 v70, 32, v70
	v_subrev_nc_u32_e32 v119, 28, v70
	v_sub_nc_u32_e32 v120, 29, v70
	v_lshlrev_b64 v[126:127], v119, v[12:13]
	v_and_b32_e32 v70, 7, v126
; %bb.1014:                             ;   in Loop: Header=BB272_9 Depth=1
	s_or_b32 exec_lo, exec_lo, s22
	v_mov_b32_e32 v50, 8
	v_lshl_add_u32 v119, v120, 10, 0x2000
	v_lshlrev_b32_e32 v70, 23, v70
	v_lshlrev_b32_sdwa v12, v50, v12 dst_sel:DWORD dst_unused:UNUSED_PAD src0_sel:DWORD src1_sel:WORD_0
	v_and_or_b32 v12, 0x8000, v12, v119
	v_lshl_or_b32 v122, v12, 16, v70
.LBB272_1015:                           ;   in Loop: Header=BB272_9 Depth=1
	s_or_b32 exec_lo, exec_lo, s21
.LBB272_1016:                           ;   in Loop: Header=BB272_9 Depth=1
	s_or_b32 exec_lo, exec_lo, s20
.LBB272_1017:                           ;   in Loop: Header=BB272_9 Depth=1
	s_or_b32 exec_lo, exec_lo, s8
	v_lshrrev_b32_e32 v12, 16, v8
	v_mov_b32_e32 v70, 0
	v_mov_b32_e32 v126, 0
	v_cmp_ne_u16_sdwa s7, v12, v13 src0_sel:BYTE_0 src1_sel:DWORD
	s_and_saveexec_b32 s8, s7
	s_cbranch_execz .LBB272_1025
; %bb.1018:                             ;   in Loop: Header=BB272_9 Depth=1
	v_cmp_ne_u16_sdwa s7, v12, v52 src0_sel:BYTE_0 src1_sel:DWORD
	v_mov_b32_e32 v126, 0x8000
	s_and_saveexec_b32 s20, s7
	s_cbranch_execz .LBB272_1024
; %bb.1019:                             ;   in Loop: Header=BB272_9 Depth=1
	v_bfe_u32 v127, v8, 16, 7
	v_mov_b32_e32 v126, 0x7c01
	s_mov_b32 s21, exec_lo
	v_cmpx_ne_u32_e32 0x7f, v127
	s_cbranch_execz .LBB272_1023
; %bb.1020:                             ;   in Loop: Header=BB272_9 Depth=1
	v_and_b32_e32 v120, 7, v12
	v_lshrrev_b32_e32 v126, 3, v127
	s_mov_b32 s22, exec_lo
	v_cmpx_gt_u32_e32 8, v127
; %bb.1021:                             ;   in Loop: Header=BB272_9 Depth=1
	v_ffbh_u32_e32 v119, v120
	v_min_u32_e32 v126, 32, v119
	v_subrev_nc_u32_e32 v119, 28, v126
	v_sub_nc_u32_e32 v126, 29, v126
	v_lshlrev_b64 v[119:120], v119, v[12:13]
	v_and_b32_e32 v120, 7, v119
; %bb.1022:                             ;   in Loop: Header=BB272_9 Depth=1
	s_or_b32 exec_lo, exec_lo, s22
	v_lshlrev_b32_e32 v12, 8, v12
	v_lshl_add_u32 v119, v126, 10, 0x2000
	v_lshlrev_b32_e32 v120, 7, v120
	v_and_b32_e32 v12, 0x8000, v12
	v_and_b32_e32 v119, 0xfc00, v119
	v_or3_b32 v126, v12, v119, v120
.LBB272_1023:                           ;   in Loop: Header=BB272_9 Depth=1
	s_or_b32 exec_lo, exec_lo, s21
.LBB272_1024:                           ;   in Loop: Header=BB272_9 Depth=1
	s_or_b32 exec_lo, exec_lo, s20
.LBB272_1025:                           ;   in Loop: Header=BB272_9 Depth=1
	s_or_b32 exec_lo, exec_lo, s8
	s_mov_b32 s8, exec_lo
	v_cmpx_lt_u32_e32 0xffffff, v8
	s_cbranch_execz .LBB272_1033
; %bb.1026:                             ;   in Loop: Header=BB272_9 Depth=1
	v_lshrrev_b32_e32 v12, 24, v8
	v_bfrev_b32_e32 v70, 1
	s_mov_b32 s20, exec_lo
	v_cmpx_ne_u32_e32 0x80, v12
	s_cbranch_execz .LBB272_1032
; %bb.1027:                             ;   in Loop: Header=BB272_9 Depth=1
	v_and_b32_e32 v120, 0x7f, v12
	v_mov_b32_e32 v70, 0x7c010000
	s_mov_b32 s21, exec_lo
	v_cmpx_ne_u32_e32 0x7f, v120
	s_cbranch_execz .LBB272_1031
; %bb.1028:                             ;   in Loop: Header=BB272_9 Depth=1
	v_and_b32_e32 v8, 7, v12
	v_lshrrev_b32_e32 v70, 3, v120
	s_mov_b32 s22, exec_lo
	v_cmpx_gt_u32_e32 8, v120
; %bb.1029:                             ;   in Loop: Header=BB272_9 Depth=1
	v_ffbh_u32_e32 v8, v8
	v_min_u32_e32 v8, 32, v8
	v_subrev_nc_u32_e32 v70, 28, v8
	v_lshlrev_b64 v[119:120], v70, v[12:13]
	v_sub_nc_u32_e32 v70, 29, v8
	v_and_b32_e32 v8, 7, v119
; %bb.1030:                             ;   in Loop: Header=BB272_9 Depth=1
	s_or_b32 exec_lo, exec_lo, s22
	v_lshlrev_b32_e32 v12, 8, v12
	v_lshl_add_u32 v70, v70, 10, 0x2000
	v_lshlrev_b32_e32 v8, 23, v8
	v_and_or_b32 v12, 0x8000, v12, v70
	v_lshl_or_b32 v70, v12, 16, v8
.LBB272_1031:                           ;   in Loop: Header=BB272_9 Depth=1
	s_or_b32 exec_lo, exec_lo, s21
.LBB272_1032:                           ;   in Loop: Header=BB272_9 Depth=1
	s_or_b32 exec_lo, exec_lo, s20
.LBB272_1033:                           ;   in Loop: Header=BB272_9 Depth=1
	s_or_b32 exec_lo, exec_lo, s8
	v_or_b32_e32 v8, v16, v17
	v_fma_mixlo_f16 v12, v65, v16, 0 op_sel:[0,1,0] op_sel_hi:[0,1,0]
	v_or_b32_e32 v6, v0, v6
	v_fma_mixlo_f16 v16, v65, v0, 0 op_sel:[0,1,0] op_sel_hi:[0,1,0]
	v_or_b32_e32 v0, v26, v28
	v_fma_mixlo_f16 v8, v65, v8, 0 op_sel_hi:[0,1,0]
	v_fma_mixlo_f16 v28, v65, v10, 0 op_sel:[0,1,0] op_sel_hi:[0,1,0]
	buffer_store_dword v12, off, s[0:3], s32 offset:288 ; 4-byte Folded Spill
	v_fma_mixlo_f16 v12, v65, v104, 0 op_sel:[0,1,0] op_sel_hi:[0,1,0]
	v_fma_mixlo_f16 v17, v65, v0, 0 op_sel_hi:[0,1,0]
	buffer_store_dword v8, off, s[0:3], s32 offset:292 ; 4-byte Folded Spill
	v_or_b32_e32 v8, v108, v109
	v_or_b32_e32 v0, v10, v11
	buffer_store_dword v12, off, s[0:3], s32 offset:304 ; 4-byte Folded Spill
	v_fma_mixlo_f16 v12, v65, v117, 0 op_sel:[0,1,0] op_sel_hi:[0,1,0]
	v_fma_mixlo_f16 v11, v65, v27, 0 op_sel:[0,1,0] op_sel_hi:[0,1,0]
	v_fma_mixlo_f16 v8, v65, v8, 0 op_sel_hi:[0,1,0]
	v_fma_mixlo_f16 v109, v65, v82, 0 op_sel:[0,1,0] op_sel_hi:[0,1,0]
	v_fma_mixlo_f16 v26, v65, v26, 0 op_sel:[0,1,0] op_sel_hi:[0,1,0]
	buffer_store_dword v12, off, s[0:3], s32 offset:320 ; 4-byte Folded Spill
	buffer_store_dword v8, off, s[0:3], s32 offset:284 ; 4-byte Folded Spill
	v_fma_mixlo_f16 v8, v65, v108, 0 op_sel:[0,1,0] op_sel_hi:[0,1,0]
	buffer_store_dword v8, off, s[0:3], s32 offset:280 ; 4-byte Folded Spill
	v_or_b32_e32 v8, v104, v105
	v_fma_mixlo_f16 v104, v65, v98, 0 op_sel:[0,1,0] op_sel_hi:[0,1,0]
	v_fma_mixlo_f16 v8, v65, v8, 0 op_sel_hi:[0,1,0]
	buffer_store_dword v8, off, s[0:3], s32 offset:308 ; 4-byte Folded Spill
	v_or_b32_e32 v8, v51, v107
	v_fma_mixlo_f16 v107, v65, v86, 0 op_sel:[0,1,0] op_sel_hi:[0,1,0]
	v_fma_mixlo_f16 v8, v65, v8, 0 op_sel_hi:[0,1,0]
	buffer_store_dword v8, off, s[0:3], s32 offset:300 ; 4-byte Folded Spill
	v_fma_mixlo_f16 v8, v65, v51, 0 op_sel:[0,1,0] op_sel_hi:[0,1,0]
	buffer_store_dword v8, off, s[0:3], s32 offset:296 ; 4-byte Folded Spill
	v_or_b32_e32 v8, v117, v94
	v_fma_mixlo_f16 v117, v65, v25, 0 op_sel:[0,1,0] op_sel_hi:[0,1,0]
	v_fma_mixlo_f16 v94, v65, v102, 0 op_sel:[0,1,0] op_sel_hi:[0,1,0]
	v_fma_mixlo_f16 v8, v65, v8, 0 op_sel_hi:[0,1,0]
	buffer_store_dword v8, off, s[0:3], s32 offset:324 ; 4-byte Folded Spill
	v_or_b32_e32 v8, v95, v24
	v_fma_mixlo_f16 v24, v65, v7, 0 op_sel:[0,1,0] op_sel_hi:[0,1,0]
	v_fma_mixlo_f16 v8, v65, v8, 0 op_sel_hi:[0,1,0]
	buffer_store_dword v8, off, s[0:3], s32 offset:316 ; 4-byte Folded Spill
	v_fma_mixlo_f16 v8, v65, v95, 0 op_sel:[0,1,0] op_sel_hi:[0,1,0]
	buffer_store_dword v8, off, s[0:3], s32 offset:312 ; 4-byte Folded Spill
	v_or_b32_e32 v8, v7, v32
	v_fma_mixlo_f16 v32, v65, v0, 0 op_sel_hi:[0,1,0]
	v_or_b32_e32 v0, v27, v36
	v_or_b32_e32 v7, v67, v115
	v_fma_mixlo_f16 v27, v65, v3, 0 op_sel:[0,1,0] op_sel_hi:[0,1,0]
	v_fma_mixlo_f16 v127, v65, v8, 0 op_sel_hi:[0,1,0]
	v_fma_mixlo_f16 v8, v65, v124, 0 op_sel:[0,1,0] op_sel_hi:[0,1,0]
	v_fma_mixlo_f16 v10, v65, v0, 0 op_sel_hi:[0,1,0]
	v_or_b32_e32 v0, v3, v18
	v_fma_mixlo_f16 v7, v65, v7, 0 op_sel_hi:[0,1,0]
	v_fma_mixlo_f16 v18, v65, v4, 0 op_sel:[0,1,0] op_sel_hi:[0,1,0]
	v_and_b32_e32 v8, 0xffff, v8
	buffer_load_dword v3, off, s[0:3], s32 offset:204 ; 4-byte Folded Reload
	v_fma_mixlo_f16 v36, v65, v0, 0 op_sel_hi:[0,1,0]
	v_or_b32_e32 v0, v38, v37
	buffer_store_dword v7, off, s[0:3], s32 offset:332 ; 4-byte Folded Spill
	v_fma_mixlo_f16 v7, v65, v67, 0 op_sel:[0,1,0] op_sel_hi:[0,1,0]
	v_fma_mixlo_f16 v37, v65, v0, 0 op_sel_hi:[0,1,0]
	v_or_b32_e32 v0, v4, v9
	buffer_store_dword v7, off, s[0:3], s32 offset:328 ; 4-byte Folded Spill
	v_fma_mixlo_f16 v7, v65, v6, 0 op_sel_hi:[0,1,0]
	v_fma_mixlo_f16 v6, v65, v38, 0 op_sel:[0,1,0] op_sel_hi:[0,1,0]
	v_fma_mixlo_f16 v9, v65, v35, 0 op_sel:[0,1,0] op_sel_hi:[0,1,0]
	v_fma_mixlo_f16 v38, v65, v0, 0 op_sel_hi:[0,1,0]
	v_or_b32_e32 v0, v35, v49
	v_fma_mixlo_f16 v35, v65, v20, 0 op_sel:[0,1,0] op_sel_hi:[0,1,0]
	v_fma_mixlo_f16 v4, v65, v0, 0 op_sel_hi:[0,1,0]
	v_or_b32_e32 v0, v20, v21
	v_fma_mixlo_f16 v21, v65, v71, 0 op_sel:[0,1,0] op_sel_hi:[0,1,0]
	v_and_b32_e32 v4, 0xffff, v4
	v_fma_mixlo_f16 v49, v65, v0, 0 op_sel_hi:[0,1,0]
	v_or_b32_e32 v0, v71, v81
	v_fma_mixlo_f16 v71, v65, v39, 0 op_sel:[0,1,0] op_sel_hi:[0,1,0]
	v_fma_mixlo_f16 v20, v65, v0, 0 op_sel_hi:[0,1,0]
	v_or_b32_e32 v0, v39, v53
	v_fma_mixlo_f16 v53, v65, v99, 0 op_sel:[0,1,0] op_sel_hi:[0,1,0]
	;; [unrolled: 3-line block ×9, first 2 shown]
	v_and_b32_e32 v5, 0xffff, v5
	v_fma_mixlo_f16 v31, v65, v0, 0 op_sel_hi:[0,1,0]
	v_or_b32_e32 v0, v34, v30
	v_fma_mixlo_f16 v55, v65, v0, 0 op_sel_hi:[0,1,0]
	v_or_b32_e32 v0, v2, v33
	v_fma_mixlo_f16 v33, v65, v2, 0 op_sel:[0,1,0] op_sel_hi:[0,1,0]
	v_fma_mixlo_f16 v2, v65, v80, 0 op_sel:[0,1,0] op_sel_hi:[0,1,0]
	v_fma_mixlo_f16 v34, v65, v0, 0 op_sel_hi:[0,1,0]
	v_or_b32_e32 v0, v124, v125
	v_fma_mixlo_f16 v124, v65, v1, 0 op_sel:[0,1,0] op_sel_hi:[0,1,0]
	v_and_b32_e32 v2, 0xffff, v2
	v_fma_mixlo_f16 v12, v65, v0, 0 op_sel_hi:[0,1,0]
	v_or_b32_e32 v0, v1, v19
	v_fma_mixlo_f16 v1, v65, v121, 0 op_sel:[0,1,0] op_sel_hi:[0,1,0]
	v_and_b32_e32 v12, 0xffff, v12
	;; [unrolled: 4-line block ×4, first 2 shown]
	v_fma_mixlo_f16 v111, v65, v0, 0 op_sel_hi:[0,1,0]
	v_or_b32_e32 v0, v90, v91
	v_fma_mixlo_f16 v90, v65, v92, 0 op_sel:[0,1,0] op_sel_hi:[0,1,0]
	v_fma_mixlo_f16 v66, v65, v0, 0 op_sel_hi:[0,1,0]
	v_or_b32_e32 v0, v92, v93
	v_fma_mixlo_f16 v92, v65, v78, 0 op_sel:[0,1,0] op_sel_hi:[0,1,0]
	;; [unrolled: 3-line block ×14, first 2 shown]
	v_fma_mixlo_f16 v43, v65, v0, 0 op_sel_hi:[0,1,0]
	buffer_load_dword v0, off, s[0:3], s32 offset:256 ; 4-byte Folded Reload
	s_waitcnt vmcnt(0)
	v_or_b32_e32 v0, v118, v0
	v_fma_mixlo_f16 v118, v65, v40, 0 op_sel:[0,1,0] op_sel_hi:[0,1,0]
	v_fma_mixlo_f16 v45, v65, v0, 0 op_sel_hi:[0,1,0]
	v_or_b32_e32 v0, v40, v41
	v_fma_mixlo_f16 v41, v65, v114, 0 op_sel:[0,1,0] op_sel_hi:[0,1,0]
	v_fma_mixlo_f16 v119, v65, v0, 0 op_sel_hi:[0,1,0]
	buffer_load_dword v0, off, s[0:3], s32 offset:248 ; 4-byte Folded Reload
	s_waitcnt vmcnt(0)
	v_or_b32_e32 v0, v114, v0
	v_fma_mixlo_f16 v114, v65, v116, 0 op_sel:[0,1,0] op_sel_hi:[0,1,0]
	v_fma_mixlo_f16 v67, v65, v0, 0 op_sel_hi:[0,1,0]
	buffer_load_dword v0, off, s[0:3], s32 offset:252 ; 4-byte Folded Reload
	s_waitcnt vmcnt(0)
	v_or_b32_e32 v0, v116, v0
	v_fma_mixlo_f16 v40, v65, v0, 0 op_sel_hi:[0,1,0]
	buffer_load_dword v0, off, s[0:3], s32 offset:240 ; 4-byte Folded Reload
	s_waitcnt vmcnt(0)
	v_or_b32_e32 v0, v102, v0
	v_fma_mixlo_f16 v102, v65, v112, 0 op_sel:[0,1,0] op_sel_hi:[0,1,0]
	v_fma_mixlo_f16 v95, v65, v0, 0 op_sel_hi:[0,1,0]
	buffer_load_dword v0, off, s[0:3], s32 offset:244 ; 4-byte Folded Reload
	s_waitcnt vmcnt(0)
	v_or_b32_e32 v0, v112, v0
	;; [unrolled: 9-line block ×5, first 2 shown]
	v_fma_mixlo_f16 v84, v65, v64, 0 op_sel:[0,1,0] op_sel_hi:[0,1,0]
	v_fma_mixlo_f16 v96, v65, v0, 0 op_sel_hi:[0,1,0]
	buffer_load_dword v0, off, s[0:3], s32 offset:208 ; 4-byte Folded Reload
	s_waitcnt vmcnt(0)
	v_or_b32_e32 v0, v121, v0
	v_fma_mixlo_f16 v19, v65, v0, 0 op_sel_hi:[0,1,0]
	buffer_load_dword v0, off, s[0:3], s32 offset:212 ; 4-byte Folded Reload
	v_and_b32_e32 v19, 0xffff, v19
	s_waitcnt vmcnt(0)
	v_or_b32_e32 v0, v80, v0
	v_or_b32_e32 v80, v64, v3
	v_fma_mixlo_f16 v3, v65, v122, 0 op_sel:[0,1,0] op_sel_hi:[0,1,0]
	v_fma_mixlo_f16 v30, v65, v0, 0 op_sel_hi:[0,1,0]
	buffer_load_dword v0, off, s[0:3], s32 offset:200 ; 4-byte Folded Reload
	v_fma_mixlo_f16 v121, v65, v80, 0 op_sel_hi:[0,1,0]
	v_or_b32_e32 v80, v122, v123
	v_or_b32_e32 v122, v70, v126
	buffer_store_dword v3, off, s[0:3], s32 offset:204 ; 4-byte Folded Spill
	v_and_b32_e32 v30, 0xffff, v30
	v_fma_mixlo_f16 v80, v65, v80, 0 op_sel_hi:[0,1,0]
	v_fma_mixlo_f16 v3, v65, v122, 0 op_sel_hi:[0,1,0]
	ds_read_b64 v[122:123], v48
	buffer_store_dword v3, off, s[0:3], s32 offset:200 ; 4-byte Folded Spill
	s_waitcnt lgkmcnt(0)
	v_lshrrev_b32_e32 v3, 16, v122
	v_and_b32_e32 v50, 0xffff, v122
	s_waitcnt vmcnt(0)
	v_or_b32_e32 v51, v68, v0
	v_fma_mixlo_f16 v0, v65, v68, 0 op_sel:[0,1,0] op_sel_hi:[0,1,0]
	v_fma_mixlo_f16 v51, v65, v51, 0 op_sel_hi:[0,1,0]
	v_fma_mixlo_f16 v65, v65, v70, 0 op_sel:[0,1,0] op_sel_hi:[0,1,0]
	;;#ASMSTART
	v_cvt_f32_f16 v70, v50;
	;;#ASMEND
	;;#ASMSTART
	v_cvt_f32_f16 v126, v3;
	;;#ASMEND
	v_and_b32_e32 v0, 0xffff, v0
	v_and_b32_e32 v3, 0xffff, v51
	;;#ASMSTART
	v_cvt_f32_f16 v51, v3;
	;;#ASMEND
	v_lshrrev_b32_e32 v3, 16, v123
	;;#ASMSTART
	v_cvt_f32_f16 v0, v0;
	;;#ASMEND
	v_and_b32_e32 v50, 0xffff, v123
	;;#ASMSTART
	v_cvt_f32_f16 v123, v50;
	;;#ASMEND
	;;#ASMSTART
	v_cvt_f32_f16 v68, v3;
	;;#ASMEND
	v_and_b32_e32 v3, 0xffff, v121
	;;#ASMSTART
	v_cvt_f32_f16 v3, v3;
	;;#ASMEND
	v_and_b32_e32 v50, 0xffff, v84
	;;#ASMSTART
	v_cvt_f32_f16 v84, v50;
	;;#ASMEND
	ds_read_b64 v[121:122], v48 offset:8
	s_waitcnt lgkmcnt(0)
	v_lshrrev_b32_e32 v50, 16, v121
	v_and_b32_e32 v64, 0xffff, v121
	;;#ASMSTART
	v_cvt_f32_f16 v121, v64;
	;;#ASMEND
	;;#ASMSTART
	v_cvt_f32_f16 v50, v50;
	;;#ASMEND
	;; [unrolled: 3-line block ×4, first 2 shown]
	v_mul_f32_e32 v1, v121, v19
	v_mul_f32_e32 v19, v50, v64
	v_lshrrev_b32_e32 v50, 16, v122
	v_fmac_f32_e32 v1, v70, v51
	v_fmac_f32_e32 v19, v126, v0
	v_and_b32_e32 v0, 0xffff, v122
	;;#ASMSTART
	v_cvt_f32_f16 v0, v0;
	;;#ASMEND
	;;#ASMSTART
	v_cvt_f32_f16 v50, v50;
	;;#ASMEND
	;; [unrolled: 3-line block ×4, first 2 shown]
	ds_read_b64 v[121:122], v48 offset:16
	v_mul_f32_e32 v2, v0, v30
	v_mul_f32_e32 v30, v50, v51
	v_and_b32_e32 v50, 0xffff, v120
	v_and_b32_e32 v51, 0xffff, v109
	v_fmac_f32_e32 v2, v123, v3
	v_fmac_f32_e32 v30, v68, v84
	s_waitcnt lgkmcnt(0)
	v_lshrrev_b32_e32 v3, 16, v121
	v_and_b32_e32 v0, 0xffff, v121
	;;#ASMSTART
	v_cvt_f32_f16 v0, v0;
	;;#ASMEND
	;;#ASMSTART
	v_cvt_f32_f16 v3, v3;
	;;#ASMEND
	;;#ASMSTART
	v_cvt_f32_f16 v50, v50;
	;;#ASMEND
	;;#ASMSTART
	v_cvt_f32_f16 v51, v51;
	;;#ASMEND
	v_fmac_f32_e32 v1, v0, v50
	v_fmac_f32_e32 v19, v3, v51
	v_lshrrev_b32_e32 v3, 16, v122
	v_and_b32_e32 v0, 0xffff, v122
	v_and_b32_e32 v50, 0xffff, v96
	v_and_b32_e32 v51, 0xffff, v82
	;;#ASMSTART
	v_cvt_f32_f16 v0, v0;
	;;#ASMEND
	;;#ASMSTART
	v_cvt_f32_f16 v3, v3;
	;;#ASMEND
	;;#ASMSTART
	v_cvt_f32_f16 v50, v50;
	;;#ASMEND
	;;#ASMSTART
	v_cvt_f32_f16 v51, v51;
	;;#ASMEND
	ds_read_b64 v[120:121], v48 offset:24
	v_fmac_f32_e32 v2, v0, v50
	v_fmac_f32_e32 v30, v3, v51
	v_and_b32_e32 v50, 0xffff, v108
	v_and_b32_e32 v51, 0xffff, v107
	s_waitcnt lgkmcnt(0)
	v_lshrrev_b32_e32 v3, 16, v120
	v_and_b32_e32 v0, 0xffff, v120
	;;#ASMSTART
	v_cvt_f32_f16 v0, v0;
	;;#ASMEND
	;;#ASMSTART
	v_cvt_f32_f16 v3, v3;
	;;#ASMEND
	;;#ASMSTART
	v_cvt_f32_f16 v50, v50;
	;;#ASMEND
	;;#ASMSTART
	v_cvt_f32_f16 v51, v51;
	;;#ASMEND
	v_fmac_f32_e32 v1, v0, v50
	v_fmac_f32_e32 v19, v3, v51
	v_lshrrev_b32_e32 v3, 16, v121
	v_and_b32_e32 v0, 0xffff, v121
	v_and_b32_e32 v50, 0xffff, v100
	v_and_b32_e32 v51, 0xffff, v86
	;;#ASMSTART
	v_cvt_f32_f16 v0, v0;
	;;#ASMEND
	;;#ASMSTART
	v_cvt_f32_f16 v3, v3;
	;;#ASMEND
	;;#ASMSTART
	v_cvt_f32_f16 v50, v50;
	;;#ASMEND
	;;#ASMSTART
	v_cvt_f32_f16 v51, v51;
	;;#ASMEND
	ds_read_b64 v[107:108], v48 offset:32
	v_fmac_f32_e32 v2, v0, v50
	v_fmac_f32_e32 v30, v3, v51
	v_and_b32_e32 v50, 0xffff, v105
	v_and_b32_e32 v51, 0xffff, v104
	;; [unrolled: 38-line block ×12, first 2 shown]
	s_waitcnt lgkmcnt(0)
	v_lshrrev_b32_e32 v3, 16, v118
	v_and_b32_e32 v0, 0xffff, v118
	;;#ASMSTART
	v_cvt_f32_f16 v0, v0;
	;;#ASMEND
	;;#ASMSTART
	v_cvt_f32_f16 v3, v3;
	;;#ASMEND
	;; [unrolled: 3-line block ×4, first 2 shown]
	v_fmac_f32_e32 v1, v0, v50
	v_fmac_f32_e32 v19, v3, v51
	v_lshrrev_b32_e32 v3, 16, v119
	v_and_b32_e32 v0, 0xffff, v119
	v_and_b32_e32 v50, 0xffff, v91
	;; [unrolled: 1-line block ×3, first 2 shown]
	;;#ASMSTART
	v_cvt_f32_f16 v0, v0;
	;;#ASMEND
	;;#ASMSTART
	v_cvt_f32_f16 v3, v3;
	;;#ASMEND
	;; [unrolled: 3-line block ×4, first 2 shown]
	ds_read_b64 v[66:67], v48 offset:120
	v_fmac_f32_e32 v2, v0, v50
	v_fmac_f32_e32 v30, v3, v51
	v_and_b32_e32 v50, 0xffff, v117
	s_waitcnt lgkmcnt(0)
	v_lshrrev_b32_e32 v3, 16, v66
	v_and_b32_e32 v0, 0xffff, v66
	;;#ASMSTART
	v_cvt_f32_f16 v0, v0;
	;;#ASMEND
	;;#ASMSTART
	v_cvt_f32_f16 v3, v3;
	;;#ASMEND
	;; [unrolled: 3-line block ×4, first 2 shown]
	v_fmac_f32_e32 v1, v0, v25
	v_fmac_f32_e32 v19, v3, v50
	v_lshrrev_b32_e32 v3, 16, v67
	v_and_b32_e32 v0, 0xffff, v67
	v_and_b32_e32 v25, 0xffff, v111
	;; [unrolled: 1-line block ×3, first 2 shown]
	;;#ASMSTART
	v_cvt_f32_f16 v0, v0;
	;;#ASMEND
	;;#ASMSTART
	v_cvt_f32_f16 v3, v3;
	;;#ASMEND
	;; [unrolled: 3-line block ×4, first 2 shown]
	ds_read_b64 v[66:67], v48 offset:128
	v_fmac_f32_e32 v2, v0, v25
	v_fmac_f32_e32 v30, v3, v50
	s_waitcnt lgkmcnt(0)
	v_lshrrev_b32_e32 v3, 16, v66
	v_and_b32_e32 v0, 0xffff, v66
	;;#ASMSTART
	v_cvt_f32_f16 v0, v0;
	;;#ASMEND
	;;#ASMSTART
	v_cvt_f32_f16 v3, v3;
	;;#ASMEND
	;; [unrolled: 3-line block ×4, first 2 shown]
	v_fmac_f32_e32 v1, v0, v12
	v_fmac_f32_e32 v19, v3, v8
	v_lshrrev_b32_e32 v3, 16, v67
	v_and_b32_e32 v0, 0xffff, v67
	v_and_b32_e32 v8, 0xffff, v125
	;; [unrolled: 1-line block ×3, first 2 shown]
	;;#ASMSTART
	v_cvt_f32_f16 v0, v0;
	;;#ASMEND
	;;#ASMSTART
	v_cvt_f32_f16 v3, v3;
	;;#ASMEND
	;;#ASMSTART
	v_cvt_f32_f16 v8, v8;
	;;#ASMEND
	;;#ASMSTART
	v_cvt_f32_f16 v12, v12;
	;;#ASMEND
	ds_read_b64 v[66:67], v48 offset:136
	v_fmac_f32_e32 v2, v0, v8
	v_fmac_f32_e32 v30, v3, v12
	v_and_b32_e32 v8, 0xffff, v55
	v_and_b32_e32 v12, 0xffff, v54
	s_waitcnt lgkmcnt(0)
	v_lshrrev_b32_e32 v3, 16, v66
	v_and_b32_e32 v0, 0xffff, v66
	;;#ASMSTART
	v_cvt_f32_f16 v0, v0;
	;;#ASMEND
	;;#ASMSTART
	v_cvt_f32_f16 v3, v3;
	;;#ASMEND
	;; [unrolled: 3-line block ×4, first 2 shown]
	v_fmac_f32_e32 v1, v0, v8
	v_fmac_f32_e32 v19, v3, v12
	v_lshrrev_b32_e32 v3, 16, v67
	v_and_b32_e32 v0, 0xffff, v67
	v_and_b32_e32 v8, 0xffff, v34
	;; [unrolled: 1-line block ×3, first 2 shown]
	;;#ASMSTART
	v_cvt_f32_f16 v0, v0;
	;;#ASMEND
	;;#ASMSTART
	v_cvt_f32_f16 v3, v3;
	;;#ASMEND
	;;#ASMSTART
	v_cvt_f32_f16 v8, v8;
	;;#ASMEND
	;;#ASMSTART
	v_cvt_f32_f16 v12, v12;
	;;#ASMEND
	ds_read_b64 v[33:34], v48 offset:144
	v_fmac_f32_e32 v2, v0, v8
	v_fmac_f32_e32 v30, v3, v12
	v_and_b32_e32 v8, 0xffff, v115
	v_and_b32_e32 v12, 0xffff, v87
	s_waitcnt lgkmcnt(0)
	v_lshrrev_b32_e32 v3, 16, v33
	v_and_b32_e32 v0, 0xffff, v33
	;;#ASMSTART
	v_cvt_f32_f16 v0, v0;
	;;#ASMEND
	;;#ASMSTART
	v_cvt_f32_f16 v3, v3;
	;;#ASMEND
	;; [unrolled: 3-line block ×4, first 2 shown]
	v_fmac_f32_e32 v1, v0, v8
	v_fmac_f32_e32 v19, v3, v12
	v_lshrrev_b32_e32 v3, 16, v34
	v_and_b32_e32 v0, 0xffff, v34
	v_and_b32_e32 v8, 0xffff, v31
	;;#ASMSTART
	v_cvt_f32_f16 v0, v0;
	;;#ASMEND
	;;#ASMSTART
	v_cvt_f32_f16 v3, v3;
	;;#ASMEND
	;;#ASMSTART
	v_cvt_f32_f16 v8, v8;
	;;#ASMEND
	;;#ASMSTART
	v_cvt_f32_f16 v5, v5;
	;;#ASMEND
	ds_read_b64 v[33:34], v48 offset:152
	v_fmac_f32_e32 v2, v0, v8
	v_fmac_f32_e32 v30, v3, v5
	v_and_b32_e32 v5, 0xffff, v113
	v_and_b32_e32 v8, 0xffff, v103
	s_waitcnt lgkmcnt(0)
	v_lshrrev_b32_e32 v3, 16, v33
	v_and_b32_e32 v0, 0xffff, v33
	;;#ASMSTART
	v_cvt_f32_f16 v0, v0;
	;;#ASMEND
	;;#ASMSTART
	v_cvt_f32_f16 v3, v3;
	;;#ASMEND
	;;#ASMSTART
	v_cvt_f32_f16 v5, v5;
	;;#ASMEND
	;;#ASMSTART
	v_cvt_f32_f16 v8, v8;
	;;#ASMEND
	v_fmac_f32_e32 v1, v0, v5
	v_fmac_f32_e32 v19, v3, v8
	v_lshrrev_b32_e32 v3, 16, v34
	v_and_b32_e32 v0, 0xffff, v34
	v_and_b32_e32 v5, 0xffff, v97
	v_and_b32_e32 v8, 0xffff, v69
	;;#ASMSTART
	v_cvt_f32_f16 v0, v0;
	;;#ASMEND
	;;#ASMSTART
	v_cvt_f32_f16 v3, v3;
	;;#ASMEND
	;;#ASMSTART
	v_cvt_f32_f16 v5, v5;
	;;#ASMEND
	;;#ASMSTART
	v_cvt_f32_f16 v8, v8;
	;;#ASMEND
	ds_read_b64 v[33:34], v48 offset:160
	v_fmac_f32_e32 v2, v0, v5
	v_fmac_f32_e32 v30, v3, v8
	v_and_b32_e32 v5, 0xffff, v101
	v_and_b32_e32 v8, 0xffff, v99
	s_waitcnt lgkmcnt(0)
	v_lshrrev_b32_e32 v3, 16, v33
	v_and_b32_e32 v0, 0xffff, v33
	;;#ASMSTART
	v_cvt_f32_f16 v0, v0;
	;;#ASMEND
	;;#ASMSTART
	v_cvt_f32_f16 v3, v3;
	;;#ASMEND
	;;#ASMSTART
	v_cvt_f32_f16 v5, v5;
	;;#ASMEND
	;;#ASMSTART
	v_cvt_f32_f16 v8, v8;
	;;#ASMEND
	v_fmac_f32_e32 v1, v0, v5
	v_fmac_f32_e32 v19, v3, v8
	v_lshrrev_b32_e32 v3, 16, v34
	v_and_b32_e32 v0, 0xffff, v34
	v_and_b32_e32 v5, 0xffff, v85
	v_and_b32_e32 v8, 0xffff, v83
	;;#ASMSTART
	v_cvt_f32_f16 v0, v0;
	;;#ASMEND
	;;#ASMSTART
	v_cvt_f32_f16 v3, v3;
	;;#ASMEND
	;;#ASMSTART
	v_cvt_f32_f16 v5, v5;
	;;#ASMEND
	;;#ASMSTART
	v_cvt_f32_f16 v8, v8;
	;;#ASMEND
	ds_read_b64 v[33:34], v48 offset:168
	v_fmac_f32_e32 v2, v0, v5
	v_fmac_f32_e32 v30, v3, v8
	v_and_b32_e32 v5, 0xffff, v81
	v_and_b32_e32 v8, 0xffff, v71
	s_waitcnt lgkmcnt(0)
	v_lshrrev_b32_e32 v3, 16, v33
	v_and_b32_e32 v0, 0xffff, v33
	;;#ASMSTART
	v_cvt_f32_f16 v0, v0;
	;;#ASMEND
	;;#ASMSTART
	v_cvt_f32_f16 v3, v3;
	;;#ASMEND
	;;#ASMSTART
	v_cvt_f32_f16 v5, v5;
	;;#ASMEND
	;;#ASMSTART
	v_cvt_f32_f16 v8, v8;
	;;#ASMEND
	v_fmac_f32_e32 v1, v0, v5
	v_fmac_f32_e32 v19, v3, v8
	v_lshrrev_b32_e32 v3, 16, v34
	v_and_b32_e32 v0, 0xffff, v34
	v_and_b32_e32 v5, 0xffff, v39
	v_and_b32_e32 v8, 0xffff, v53
	;;#ASMSTART
	v_cvt_f32_f16 v0, v0;
	;;#ASMEND
	;;#ASMSTART
	v_cvt_f32_f16 v3, v3;
	;;#ASMEND
	;;#ASMSTART
	v_cvt_f32_f16 v5, v5;
	;;#ASMEND
	;;#ASMSTART
	v_cvt_f32_f16 v8, v8;
	;;#ASMEND
	ds_read_b64 v[33:34], v48 offset:176
	v_fmac_f32_e32 v2, v0, v5
	v_fmac_f32_e32 v30, v3, v8
	v_and_b32_e32 v5, 0xffff, v49
	v_and_b32_e32 v8, 0xffff, v35
	s_waitcnt lgkmcnt(0)
	v_lshrrev_b32_e32 v3, 16, v33
	v_and_b32_e32 v0, 0xffff, v33
	;;#ASMSTART
	v_cvt_f32_f16 v0, v0;
	;;#ASMEND
	;;#ASMSTART
	v_cvt_f32_f16 v3, v3;
	;;#ASMEND
	;;#ASMSTART
	v_cvt_f32_f16 v5, v5;
	;;#ASMEND
	;;#ASMSTART
	v_cvt_f32_f16 v8, v8;
	;;#ASMEND
	v_fmac_f32_e32 v1, v0, v5
	v_fmac_f32_e32 v19, v3, v8
	v_lshrrev_b32_e32 v3, 16, v34
	v_and_b32_e32 v0, 0xffff, v34
	v_and_b32_e32 v5, 0xffff, v20
	v_and_b32_e32 v8, 0xffff, v21
	;;#ASMSTART
	v_cvt_f32_f16 v0, v0;
	;;#ASMEND
	;;#ASMSTART
	v_cvt_f32_f16 v3, v3;
	;;#ASMEND
	;;#ASMSTART
	v_cvt_f32_f16 v5, v5;
	;;#ASMEND
	;;#ASMSTART
	v_cvt_f32_f16 v8, v8;
	;;#ASMEND
	ds_read_b64 v[20:21], v48 offset:184
	v_fmac_f32_e32 v2, v0, v5
	v_fmac_f32_e32 v30, v3, v8
	v_and_b32_e32 v5, 0xffff, v38
	v_and_b32_e32 v8, 0xffff, v18
	s_waitcnt lgkmcnt(0)
	v_lshrrev_b32_e32 v3, 16, v20
	v_and_b32_e32 v0, 0xffff, v20
	;;#ASMSTART
	v_cvt_f32_f16 v0, v0;
	;;#ASMEND
	;;#ASMSTART
	v_cvt_f32_f16 v3, v3;
	;;#ASMEND
	;;#ASMSTART
	v_cvt_f32_f16 v5, v5;
	;;#ASMEND
	;;#ASMSTART
	v_cvt_f32_f16 v8, v8;
	;;#ASMEND
	v_fmac_f32_e32 v1, v0, v5
	v_fmac_f32_e32 v19, v3, v8
	v_lshrrev_b32_e32 v3, 16, v21
	v_and_b32_e32 v0, 0xffff, v21
	v_and_b32_e32 v5, 0xffff, v9
	;;#ASMSTART
	v_cvt_f32_f16 v0, v0;
	;;#ASMEND
	;;#ASMSTART
	v_cvt_f32_f16 v3, v3;
	;;#ASMEND
	;; [unrolled: 3-line block ×4, first 2 shown]
	v_fmac_f32_e32 v2, v0, v4
	v_fmac_f32_e32 v30, v3, v5
	ds_read_b64 v[4:5], v48 offset:192
	v_and_b32_e32 v8, 0xffff, v27
	s_waitcnt lgkmcnt(0)
	v_lshrrev_b32_e32 v3, 16, v4
	v_and_b32_e32 v0, 0xffff, v4
	v_and_b32_e32 v4, 0xffff, v36
	;;#ASMSTART
	v_cvt_f32_f16 v0, v0;
	;;#ASMEND
	;;#ASMSTART
	v_cvt_f32_f16 v3, v3;
	;;#ASMEND
	;; [unrolled: 3-line block ×4, first 2 shown]
	v_fmac_f32_e32 v1, v0, v4
	v_fmac_f32_e32 v19, v3, v8
	v_lshrrev_b32_e32 v3, 16, v5
	v_and_b32_e32 v0, 0xffff, v5
	v_and_b32_e32 v4, 0xffff, v37
	;;#ASMSTART
	v_cvt_f32_f16 v0, v0;
	;;#ASMEND
	;;#ASMSTART
	v_cvt_f32_f16 v3, v3;
	;;#ASMEND
	;;#ASMSTART
	v_cvt_f32_f16 v4, v4;
	;;#ASMEND
	v_and_b32_e32 v5, 0xffff, v6
	;;#ASMSTART
	v_cvt_f32_f16 v5, v5;
	;;#ASMEND
	v_fmac_f32_e32 v2, v0, v4
	v_fmac_f32_e32 v30, v3, v5
	ds_read_b64 v[3:4], v48 offset:200
	v_and_b32_e32 v6, 0xffff, v28
	s_waitcnt lgkmcnt(0)
	v_lshrrev_b32_e32 v5, 16, v3
	v_and_b32_e32 v0, 0xffff, v3
	;;#ASMSTART
	v_cvt_f32_f16 v0, v0;
	;;#ASMEND
	;;#ASMSTART
	v_cvt_f32_f16 v3, v5;
	;;#ASMEND
	v_and_b32_e32 v5, 0xffff, v32
	;;#ASMSTART
	v_cvt_f32_f16 v5, v5;
	;;#ASMEND
	;;#ASMSTART
	v_cvt_f32_f16 v6, v6;
	;;#ASMEND
	v_fmac_f32_e32 v1, v0, v5
	v_fmac_f32_e32 v19, v3, v6
	v_lshrrev_b32_e32 v3, 16, v4
	v_and_b32_e32 v0, 0xffff, v4
	v_and_b32_e32 v4, 0xffff, v10
	;;#ASMSTART
	v_cvt_f32_f16 v0, v0;
	;;#ASMEND
	;;#ASMSTART
	v_cvt_f32_f16 v3, v3;
	;;#ASMEND
	;;#ASMSTART
	v_cvt_f32_f16 v4, v4;
	;;#ASMEND
	v_and_b32_e32 v5, 0xffff, v11
	;;#ASMSTART
	v_cvt_f32_f16 v5, v5;
	;;#ASMEND
	v_fmac_f32_e32 v2, v0, v4
	v_fmac_f32_e32 v30, v3, v5
	ds_read_b64 v[3:4], v48 offset:208
	v_and_b32_e32 v6, 0xffff, v16
	s_waitcnt lgkmcnt(0)
	v_lshrrev_b32_e32 v5, 16, v3
	v_and_b32_e32 v0, 0xffff, v3
	;;#ASMSTART
	v_cvt_f32_f16 v0, v0;
	;;#ASMEND
	;;#ASMSTART
	v_cvt_f32_f16 v3, v5;
	;;#ASMEND
	v_and_b32_e32 v5, 0xffff, v7
	;;#ASMSTART
	v_cvt_f32_f16 v5, v5;
	;;#ASMEND
	;;#ASMSTART
	v_cvt_f32_f16 v6, v6;
	;;#ASMEND
	;; [unrolled: 38-line block ×3, first 2 shown]
	v_fmac_f32_e32 v1, v0, v5
	v_fmac_f32_e32 v19, v3, v6
	v_lshrrev_b32_e32 v3, 16, v4
	v_and_b32_e32 v0, 0xffff, v4
	;;#ASMSTART
	v_cvt_f32_f16 v0, v0;
	;;#ASMEND
	;;#ASMSTART
	v_cvt_f32_f16 v3, v3;
	;;#ASMEND
	buffer_load_dword v4, off, s[0:3], s32 offset:332 ; 4-byte Folded Reload
	s_waitcnt vmcnt(0)
	v_and_b32_e32 v4, 0xffff, v4
	;;#ASMSTART
	v_cvt_f32_f16 v4, v4;
	;;#ASMEND
	buffer_load_dword v5, off, s[0:3], s32 offset:328 ; 4-byte Folded Reload
	v_fmac_f32_e32 v2, v0, v4
	s_waitcnt vmcnt(0)
	v_and_b32_e32 v5, 0xffff, v5
	;;#ASMSTART
	v_cvt_f32_f16 v5, v5;
	;;#ASMEND
	v_fmac_f32_e32 v30, v3, v5
	ds_read_b64 v[3:4], v48 offset:224
	s_waitcnt lgkmcnt(0)
	v_lshrrev_b32_e32 v5, 16, v3
	v_and_b32_e32 v0, 0xffff, v3
	;;#ASMSTART
	v_cvt_f32_f16 v0, v0;
	;;#ASMEND
	;;#ASMSTART
	v_cvt_f32_f16 v3, v5;
	;;#ASMEND
	buffer_load_dword v5, off, s[0:3], s32 offset:324 ; 4-byte Folded Reload
	s_waitcnt vmcnt(0)
	v_and_b32_e32 v5, 0xffff, v5
	;;#ASMSTART
	v_cvt_f32_f16 v5, v5;
	;;#ASMEND
	buffer_load_dword v6, off, s[0:3], s32 offset:320 ; 4-byte Folded Reload
	v_fmac_f32_e32 v1, v0, v5
	v_and_b32_e32 v0, 0xffff, v4
	s_waitcnt vmcnt(0)
	v_and_b32_e32 v6, 0xffff, v6
	;;#ASMSTART
	v_cvt_f32_f16 v6, v6;
	;;#ASMEND
	v_fmac_f32_e32 v19, v3, v6
	v_lshrrev_b32_e32 v3, 16, v4
	;;#ASMSTART
	v_cvt_f32_f16 v0, v0;
	;;#ASMEND
	;;#ASMSTART
	v_cvt_f32_f16 v3, v3;
	;;#ASMEND
	buffer_load_dword v4, off, s[0:3], s32 offset:316 ; 4-byte Folded Reload
	s_waitcnt vmcnt(0)
	v_and_b32_e32 v4, 0xffff, v4
	;;#ASMSTART
	v_cvt_f32_f16 v4, v4;
	;;#ASMEND
	buffer_load_dword v5, off, s[0:3], s32 offset:312 ; 4-byte Folded Reload
	v_fmac_f32_e32 v2, v0, v4
	s_waitcnt vmcnt(0)
	v_and_b32_e32 v5, 0xffff, v5
	;;#ASMSTART
	v_cvt_f32_f16 v5, v5;
	;;#ASMEND
	v_fmac_f32_e32 v30, v3, v5
	ds_read_b64 v[3:4], v48 offset:232
	s_waitcnt lgkmcnt(0)
	v_lshrrev_b32_e32 v5, 16, v3
	v_and_b32_e32 v0, 0xffff, v3
	;;#ASMSTART
	v_cvt_f32_f16 v0, v0;
	;;#ASMEND
	;;#ASMSTART
	v_cvt_f32_f16 v3, v5;
	;;#ASMEND
	buffer_load_dword v5, off, s[0:3], s32 offset:308 ; 4-byte Folded Reload
	s_waitcnt vmcnt(0)
	v_and_b32_e32 v5, 0xffff, v5
	;;#ASMSTART
	v_cvt_f32_f16 v5, v5;
	;;#ASMEND
	buffer_load_dword v6, off, s[0:3], s32 offset:304 ; 4-byte Folded Reload
	v_fmac_f32_e32 v1, v0, v5
	v_and_b32_e32 v0, 0xffff, v4
	s_waitcnt vmcnt(0)
	v_and_b32_e32 v6, 0xffff, v6
	;;#ASMSTART
	v_cvt_f32_f16 v6, v6;
	;;#ASMEND
	v_fmac_f32_e32 v19, v3, v6
	v_lshrrev_b32_e32 v3, 16, v4
	;; [unrolled: 46-line block ×3, first 2 shown]
	;;#ASMSTART
	v_cvt_f32_f16 v0, v0;
	;;#ASMEND
	;;#ASMSTART
	v_cvt_f32_f16 v3, v3;
	;;#ASMEND
	buffer_load_dword v4, off, s[0:3], s32 offset:284 ; 4-byte Folded Reload
	s_waitcnt vmcnt(0)
	v_and_b32_e32 v4, 0xffff, v4
	;;#ASMSTART
	v_cvt_f32_f16 v4, v4;
	;;#ASMEND
	buffer_load_dword v5, off, s[0:3], s32 offset:280 ; 4-byte Folded Reload
	v_fmac_f32_e32 v2, v0, v4
	s_waitcnt vmcnt(0)
	v_and_b32_e32 v5, 0xffff, v5
	;;#ASMSTART
	v_cvt_f32_f16 v5, v5;
	;;#ASMEND
	v_fmac_f32_e32 v30, v3, v5
	ds_read_b64 v[3:4], v48 offset:248
	s_waitcnt lgkmcnt(0)
	v_lshrrev_b32_e32 v5, 16, v3
	v_and_b32_e32 v0, 0xffff, v3
	;;#ASMSTART
	v_cvt_f32_f16 v0, v0;
	;;#ASMEND
	;;#ASMSTART
	v_cvt_f32_f16 v3, v5;
	;;#ASMEND
	v_and_b32_e32 v5, 0xffff, v80
	;;#ASMSTART
	v_cvt_f32_f16 v5, v5;
	;;#ASMEND
	buffer_load_dword v6, off, s[0:3], s32 offset:204 ; 4-byte Folded Reload
	v_fmac_f32_e32 v1, v0, v5
	v_and_b32_e32 v0, 0xffff, v4
	v_and_b32_e32 v5, 0xffff, v65
	s_waitcnt vmcnt(0)
	v_and_b32_e32 v6, 0xffff, v6
	;;#ASMSTART
	v_cvt_f32_f16 v6, v6;
	;;#ASMEND
	v_fmac_f32_e32 v19, v3, v6
	v_lshrrev_b32_e32 v3, 16, v4
	;;#ASMSTART
	v_cvt_f32_f16 v0, v0;
	;;#ASMEND
	;;#ASMSTART
	v_cvt_f32_f16 v3, v3;
	;;#ASMEND
	buffer_load_dword v4, off, s[0:3], s32 offset:200 ; 4-byte Folded Reload
	s_waitcnt vmcnt(0)
	v_and_b32_e32 v4, 0xffff, v4
	;;#ASMSTART
	v_cvt_f32_f16 v4, v4;
	;;#ASMEND
	v_fmac_f32_e32 v2, v0, v4
	v_add_f32_e32 v0, v1, v19
	;;#ASMSTART
	v_cvt_f32_f16 v5, v5;
	;;#ASMEND
	v_fmac_f32_e32 v30, v3, v5
	v_add_f32_e32 v0, v0, v2
	buffer_load_dword v2, off, s[0:3], s32 offset:336 ; 4-byte Folded Reload
	v_add_f32_e32 v0, v30, v0
	s_waitcnt vmcnt(0)
	v_xor_b32_e32 v1, 1, v2
	v_cmp_gt_i32_e64 s7, 32, v1
	v_cndmask_b32_e64 v1, v2, v1, s7
	v_lshlrev_b32_e32 v1, 2, v1
	ds_bpermute_b32 v1, v1, v0
	s_mov_b32 s8, exec_lo
	buffer_load_dword v5, off, s[0:3], s32 offset:276 ; 4-byte Folded Reload
	s_and_b32 s7, s8, vcc_lo
	s_mov_b32 exec_lo, s7
	s_cbranch_execz .LBB272_8
; %bb.1034:                             ;   in Loop: Header=BB272_9 Depth=1
	s_clause 0x1
	buffer_load_dword v4, off, s[0:3], s32 offset:260
	buffer_load_dword v3, off, s[0:3], s32 offset:360
	v_sub_nc_u32_e32 v2, 1, v29
	s_waitcnt lgkmcnt(0)
	v_add_f32_e32 v0, v0, v1
	s_load_dword s20, s[18:19], 0x0
	s_waitcnt vmcnt(1)
	v_add_nc_u32_e32 v2, v2, v4
	v_cmp_lt_i32_e64 s7, v4, v29
	v_cvt_f32_i32_e32 v2, v2
	s_waitcnt vmcnt(0)
	v_mul_f32_e32 v2, v3, v2
	buffer_load_dword v3, off, s[0:3], s32 offset:348 ; 4-byte Folded Reload
	v_cndmask_b32_e64 v1, 0, v2, s6
	buffer_load_dword v2, off, s[0:3], s32 offset:364 ; 4-byte Folded Reload
	s_waitcnt vmcnt(0)
	v_fmac_f32_e32 v1, v2, v0
	buffer_load_dword v2, off, s[0:3], s32 offset:264 ; 4-byte Folded Reload
	v_max_f32_e32 v0, v3, v3
	v_max_f32_e32 v0, v0, v1
	v_cndmask_b32_e64 v1, 0, v1, s7
	v_cndmask_b32_e64 v3, v3, v0, s7
	buffer_store_dword v3, off, s[0:3], s32 offset:348 ; 4-byte Folded Spill
	s_waitcnt vmcnt(0) lgkmcnt(0)
	v_add_nc_u32_e32 v2, s20, v2
	ds_write_b32 v2, v1
	s_branch .LBB272_8
.LBB272_1035:
	s_or_b32 exec_lo, exec_lo, s17
	s_clause 0x1
	buffer_load_dword v52, off, s[0:3], s32 offset:428
	buffer_load_dword v7, off, s[0:3], s32 offset:348
	v_mov_b32_e32 v10, 32
.LBB272_1036:
	s_or_b32 exec_lo, exec_lo, s13
	buffer_load_dword v6, off, s[0:3], s32 offset:336 ; 4-byte Folded Reload
	s_waitcnt vmcnt(1)
	v_max_f32_e32 v4, v7, v7
	v_and_b32_e32 v14, 31, v52
	s_waitcnt lgkmcnt(0)
	s_lshr_b32 s13, s15, 16
	s_waitcnt vmcnt(0)
	v_xor_b32_e32 v0, 16, v6
	v_xor_b32_e32 v1, 8, v6
	;; [unrolled: 1-line block ×3, first 2 shown]
	v_cmp_lt_i32_e32 vcc_lo, v0, v10
	v_cndmask_b32_e32 v0, v6, v0, vcc_lo
	v_cmp_lt_i32_e32 vcc_lo, v1, v10
	v_lshlrev_b32_e32 v2, 2, v0
	v_cndmask_b32_e32 v1, v6, v1, vcc_lo
	ds_bpermute_b32 v0, v2, v7
	v_lshlrev_b32_e32 v3, 2, v1
	s_waitcnt lgkmcnt(0)
	v_max_f32_e32 v0, v0, v0
	v_max_f32_e32 v0, v4, v0
	v_xor_b32_e32 v4, 4, v6
	ds_bpermute_b32 v1, v3, v0
	v_cmp_lt_i32_e32 vcc_lo, v4, v10
	v_cndmask_b32_e32 v4, v6, v4, vcc_lo
	v_cmp_lt_i32_e32 vcc_lo, v5, v10
	v_lshlrev_b32_e32 v4, 2, v4
	v_cndmask_b32_e32 v5, v6, v5, vcc_lo
	v_cmp_eq_u32_e32 vcc_lo, 0, v14
	s_waitcnt lgkmcnt(0)
	v_max_f32_e32 v1, v1, v1
	v_max_f32_e32 v0, v0, v1
	ds_bpermute_b32 v1, v4, v0
	s_waitcnt lgkmcnt(0)
	v_max_f32_e32 v1, v1, v1
	v_max_f32_e32 v0, v0, v1
	v_lshlrev_b32_e32 v1, 2, v5
	buffer_load_dword v5, off, s[0:3], s32 offset:368 ; 4-byte Folded Reload
	ds_bpermute_b32 v6, v1, v0
	s_waitcnt vmcnt(0)
	v_lshlrev_b32_e32 v5, 2, v5
	s_and_saveexec_b32 s6, vcc_lo
	s_cbranch_execz .LBB272_1038
; %bb.1037:
	s_waitcnt lgkmcnt(0)
	v_max_f32_e32 v6, v6, v6
	v_max_f32_e32 v0, v0, v0
	;; [unrolled: 1-line block ×3, first 2 shown]
	ds_write_b32 v5, v0 offset:512
.LBB272_1038:
	s_or_b32 exec_lo, exec_lo, s6
	v_cmp_gt_u32_e64 s6, 4, v14
	v_mov_b32_e32 v0, 0xff7fffff
	s_waitcnt lgkmcnt(0)
	v_lshlrev_b32_e32 v6, 2, v14
	s_waitcnt_vscnt null, 0x0
	s_barrier
	buffer_gl0_inv
	s_and_saveexec_b32 s7, s6
; %bb.1039:
	ds_read_b32 v0, v6 offset:512
; %bb.1040:
	s_or_b32 exec_lo, exec_lo, s7
	buffer_load_dword v9, off, s[0:3], s32 offset:336 ; 4-byte Folded Reload
	s_waitcnt lgkmcnt(0)
	ds_bpermute_b32 v7, v1, v0
	v_max_f32_e32 v0, v0, v0
	s_waitcnt lgkmcnt(0)
	v_max_f32_e32 v7, v7, v7
	v_max_f32_e32 v0, v0, v7
	s_waitcnt vmcnt(0)
	v_xor_b32_e32 v8, 1, v9
	v_cmp_lt_i32_e64 s7, v8, v10
	v_cndmask_b32_e64 v8, v9, v8, s7
	v_lshlrev_b32_e32 v15, 2, v8
	v_mov_b32_e32 v8, 0
	ds_bpermute_b32 v7, v15, v0
	s_waitcnt lgkmcnt(0)
	v_max_f32_e32 v7, v7, v7
	v_max_f32_e32 v0, v0, v7
	v_lshlrev_b32_e32 v7, 2, v13
	ds_bpermute_b32 v7, v7, v0
	buffer_load_dword v0, off, s[0:3], s32 offset:268 ; 4-byte Folded Reload
	s_waitcnt vmcnt(0)
	v_lshlrev_b32_e32 v0, 4, v0
	v_min_i32_e32 v0, v0, v29
	v_cmp_lt_i32_e64 s7, v52, v0
	s_and_saveexec_b32 s15, s7
	s_cbranch_execz .LBB272_1044
; %bb.1041:
	s_getpc_b64 s[18:19]
	s_add_u32 s18, s18, llvm.amdgcn.dynlds.offset.table@rel32@lo+4
	s_addc_u32 s19, s19, llvm.amdgcn.dynlds.offset.table@rel32@hi+12
	s_ashr_i32 s17, s16, 31
	v_mov_b32_e32 v8, 0
	s_lshl_b64 s[20:21], s[16:17], 2
	v_mov_b32_e32 v10, v52
	s_add_u32 s18, s18, s20
	s_addc_u32 s19, s19, s21
	s_mov_b32 s17, 0
	s_load_dword s8, s[18:19], 0x0
	s_waitcnt lgkmcnt(0)
	v_lshl_add_u32 v9, v52, 2, s8
	.p2align	6
.LBB272_1042:                           ; =>This Inner Loop Header: Depth=1
	ds_read_b32 v11, v9
	v_add_nc_u32_e32 v10, 0x80, v10
	v_cmp_ge_i32_e64 s8, v10, v0
	s_or_b32 s17, s8, s17
	s_waitcnt lgkmcnt(0)
	v_sub_f32_e32 v11, v11, v7
	v_mul_f32_e32 v11, 0x3fb8aa3b, v11
	v_exp_f32_e32 v11, v11
	ds_write_b32 v9, v11
	v_add_f32_e32 v8, v8, v11
	v_add_nc_u32_e32 v9, 0x200, v9
	s_andn2_b32 exec_lo, exec_lo, s17
	s_cbranch_execnz .LBB272_1042
; %bb.1043:
	s_or_b32 exec_lo, exec_lo, s17
.LBB272_1044:
	s_or_b32 exec_lo, exec_lo, s15
	ds_bpermute_b32 v2, v2, v8
	s_waitcnt lgkmcnt(0)
	v_add_f32_e32 v2, v8, v2
	ds_bpermute_b32 v3, v3, v2
	s_waitcnt lgkmcnt(0)
	v_add_f32_e32 v2, v2, v3
	;; [unrolled: 3-line block ×5, first 2 shown]
	s_and_saveexec_b32 s8, vcc_lo
; %bb.1045:
	ds_write_b32 v5, v2 offset:528
; %bb.1046:
	s_or_b32 exec_lo, exec_lo, s8
	s_waitcnt lgkmcnt(0)
	s_barrier
	buffer_gl0_inv
	s_and_saveexec_b32 s8, s6
; %bb.1047:
	ds_read_b32 v2, v6 offset:528
; %bb.1048:
	s_or_b32 exec_lo, exec_lo, s8
	buffer_load_dword v3, off, s[0:3], s32 offset:336 ; 4-byte Folded Reload
	s_waitcnt lgkmcnt(0)
	ds_bpermute_b32 v1, v1, v2
	s_waitcnt lgkmcnt(0)
	v_add_f32_e32 v1, v2, v1
	ds_bpermute_b32 v2, v15, v1
	s_waitcnt lgkmcnt(0)
	v_add_f32_e32 v1, v1, v2
	s_waitcnt vmcnt(0)
	v_lshlrev_b32_e32 v3, 2, v3
	v_and_b32_e32 v2, 0xffffff80, v3
	ds_bpermute_b32 v1, v2, v1
	s_and_saveexec_b32 s6, s7
	s_cbranch_execz .LBB272_1051
; %bb.1049:
	s_waitcnt lgkmcnt(0)
	v_add_f32_e32 v2, 0x358637bd, v1
	s_getpc_b64 s[18:19]
	s_add_u32 s18, s18, llvm.amdgcn.dynlds.offset.table@rel32@lo+4
	s_addc_u32 s19, s19, llvm.amdgcn.dynlds.offset.table@rel32@hi+12
	s_ashr_i32 s17, s16, 31
	s_lshl_b64 s[20:21], s[16:17], 2
	v_div_scale_f32 v1, null, v2, v2, 1.0
	v_div_scale_f32 v5, vcc_lo, 1.0, v2, 1.0
	s_add_u32 s18, s18, s20
	v_rcp_f32_e32 v3, v1
	s_addc_u32 s19, s19, s21
	s_load_dword s7, s[18:19], 0x0
	v_fma_f32 v4, -v1, v3, 1.0
	v_fmac_f32_e32 v3, v4, v3
	v_mul_f32_e32 v4, v5, v3
	v_fma_f32 v6, -v1, v4, v5
	v_fmac_f32_e32 v4, v6, v3
	v_fma_f32 v1, -v1, v4, v5
	v_div_fmas_f32 v3, v1, v3, v4
	s_waitcnt lgkmcnt(0)
	v_lshl_add_u32 v1, v52, 2, s7
	s_mov_b32 s7, 0
	v_div_fixup_f32 v2, v3, v2, 1.0
	v_mov_b32_e32 v3, v52
.LBB272_1050:                           ; =>This Inner Loop Header: Depth=1
	ds_read_b32 v4, v1
	v_add_nc_u32_e32 v3, 0x80, v3
	v_cmp_ge_i32_e32 vcc_lo, v3, v0
	s_or_b32 s7, vcc_lo, s7
	s_waitcnt lgkmcnt(0)
	v_mul_f32_e32 v4, v2, v4
	ds_write_b32 v1, v4
	v_add_nc_u32_e32 v1, 0x200, v1
	s_andn2_b32 exec_lo, exec_lo, s7
	s_cbranch_execnz .LBB272_1050
.LBB272_1051:
	s_or_b32 exec_lo, exec_lo, s6
	s_waitcnt lgkmcnt(0)
	s_barrier
	buffer_gl0_inv
	s_and_saveexec_b32 s6, s5
	s_xor_b32 s5, exec_lo, s6
; %bb.1052:
                                        ; implicit-def: $vgpr0
                                        ; kill: killed $vgpr0
	s_ashr_i32 s17, s16, 31
                                        ; implicit-def: $vgpr0
                                        ; kill: killed $vgpr0
                                        ; implicit-def: $vgpr29
                                        ; implicit-def: $vgpr22_vgpr23
                                        ; implicit-def: $vgpr0
                                        ; kill: killed $vgpr0
                                        ; implicit-def: $vgpr0
                                        ; kill: killed $vgpr0
	;; [unrolled: 2-line block ×7, first 2 shown]
                                        ; implicit-def: $vgpr0_vgpr1
                                        ; kill: killed $vgpr0_vgpr1
                                        ; implicit-def: $vgpr0
                                        ; kill: killed $vgpr0
; %bb.1053:
	s_or_saveexec_b32 s8, s5
	v_mov_b32_e32 v4, s16
	v_mov_b32_e32 v49, 0
	;; [unrolled: 1-line block ×18, first 2 shown]
	s_xor_b32 exec_lo, exec_lo, s8
	s_cbranch_execz .LBB272_2113
; %bb.1054:
	s_clause 0x2
	buffer_load_dword v3, off, s[0:3], s32 offset:424
	buffer_load_dword v1, off, s[0:3], s32 offset:420
	;; [unrolled: 1-line block ×3, first 2 shown]
	s_ashr_i32 s17, s16, 31
	s_getpc_b64 s[6:7]
	s_add_u32 s6, s6, llvm.amdgcn.dynlds.offset.table@rel32@lo+4
	s_addc_u32 s7, s7, llvm.amdgcn.dynlds.offset.table@rel32@hi+12
	s_lshl_b64 s[18:19], s[16:17], 2
	v_and_b32_e32 v8, 1, v52
	s_add_u32 s6, s6, s18
	s_addc_u32 s7, s7, s19
	v_mov_b32_e32 v58, v52
	v_mov_b32_e32 v34, 0x80
	;; [unrolled: 1-line block ×21, first 2 shown]
	s_mov_b32 s15, 0
	s_waitcnt vmcnt(2)
	v_and_b32_e32 v0, 8, v3
	s_waitcnt vmcnt(0)
	v_add_co_u32 v1, vcc_lo, v1, v2
	s_clause 0x1
	buffer_load_dword v2, off, s[0:3], s32 offset:416
	buffer_load_dword v4, off, s[0:3], s32 offset:404
	v_and_b32_e32 v3, 0xf8, v3
	s_load_dword s5, s[6:7], 0x0
	s_mov_b32 s6, -1
	s_mov_b32 s7, 0xffffff
	buffer_load_dword v5, off, s[0:3], s32 offset:396 ; 4-byte Folded Reload
	s_waitcnt vmcnt(1)
	v_add_co_ci_u32_e64 v2, null, v2, v4, vcc_lo
	buffer_load_dword v4, off, s[0:3], s32 offset:268 ; 4-byte Folded Reload
	s_waitcnt vmcnt(1)
	v_and_b32_e32 v7, 0x7c, v5
	v_add_co_u32 v5, vcc_lo, v1, v3
	v_lshlrev_b32_e32 v1, 5, v8
	v_add_co_ci_u32_e64 v6, null, 0, v2, vcc_lo
	s_clause 0x2
	buffer_load_dword v2, off, s[0:3], s32 offset:388
	buffer_load_dword v3, off, s[0:3], s32 offset:392
	;; [unrolled: 1-line block ×3, first 2 shown]
	s_waitcnt vmcnt(3)
	v_add_nc_u32_e32 v32, -1, v4
	v_mov_b32_e32 v4, 0
	s_waitcnt vmcnt(2)
	v_add_co_u32 v2, vcc_lo, v7, v2
	buffer_load_dword v7, off, s[0:3], s32 offset:384 ; 4-byte Folded Reload
	s_waitcnt vmcnt(2)
	v_add_co_ci_u32_e64 v3, null, 0, v3, vcc_lo
	s_waitcnt vmcnt(0)
	v_add_co_u32 v7, vcc_lo, v7, v2
	buffer_load_dword v2, off, s[0:3], s32 offset:380 ; 4-byte Folded Reload
	v_lshlrev_b32_e32 v9, 4, v55
	v_lshl_or_b32 v1, v55, 6, v1
	v_or3_b32 v19, v9, v0, 7
	s_waitcnt lgkmcnt(0)
	v_add_nc_u32_e32 v33, s5, v1
	s_waitcnt vmcnt(0)
	v_add_co_ci_u32_e64 v8, null, v2, v3, vcc_lo
	s_branch .LBB272_1056
.LBB272_1055:                           ;   in Loop: Header=BB272_1056 Depth=1
	s_or_b32 exec_lo, exec_lo, s5
	v_add_f32_e32 v0, v0, v1
	v_add_f32_e32 v1, v115, v116
	;; [unrolled: 1-line block ×4, first 2 shown]
	v_add_nc_u32_e32 v55, 4, v55
	v_add_f32_e32 v25, v25, v0
	v_add_f32_e32 v0, v113, v114
	;; [unrolled: 1-line block ×7, first 2 shown]
	;;#ASMSTART
	v_pk_mul_f16 v0, v69, v10;

	;;#ASMEND
	v_add_f32_e32 v37, v37, v1
	;;#ASMSTART
	v_pk_mul_f16 v1, v67, v2;

	;;#ASMEND
	;;#ASMSTART
	v_pk_mul_f16 v2, v66, v9;

	;;#ASMEND
	;; [unrolled: 4-line block ×3, first 2 shown]
	;;#ASMSTART
	v_pk_add_f16 v0, v0, v1;

	;;#ASMEND
	;;#ASMSTART
	v_pk_add_f16 v0, v0, v2;

	;;#ASMEND
	;; [unrolled: 4-line block ×3, first 2 shown]
	v_and_b32_e32 v3, 0xffff, v0
	v_lshrrev_b32_e32 v9, 16, v0
	v_add_f32_e32 v0, v87, v96
	;;#ASMSTART
	v_cvt_f32_f16 v3, v3;
	;;#ASMEND
	;;#ASMSTART
	v_cvt_f32_f16 v9, v9;
	;;#ASMEND
	v_add_f32_e32 v30, v30, v31
	v_add_f32_e32 v27, v27, v28
	v_add_f32_e32 v50, v50, v0
	buffer_load_dword v0, off, s[0:3], s32 offset:268 ; 4-byte Folded Reload
	v_add_f32_e32 v17, v17, v12
	v_add_f32_e32 v24, v24, v11
	;; [unrolled: 1-line block ×8, first 2 shown]
	v_add_co_u32 v7, s5, v7, 16
	v_add_f32_e32 v20, v20, v30
	v_add_f32_e32 v21, v21, v27
	v_add_f32_e32 v38, v38, v11
	v_add_f32_e32 v39, v39, v12
	v_add_f32_e32 v48, v48, v18
	v_add_f32_e32 v51, v51, v1
	v_add_f32_e32 v49, v49, v2
	v_add_f32_e32 v13, v13, v3
	v_add_co_ci_u32_e64 v8, null, 0, v8, s5
	v_add_nc_u32_e32 v19, 64, v19
	v_add_nc_u32_e32 v33, 0x100, v33
	s_waitcnt vmcnt(0)
	v_cmp_ge_i32_e32 vcc_lo, v55, v0
	s_or_b32 s15, vcc_lo, s15
	s_andn2_b32 exec_lo, exec_lo, s15
	s_cbranch_execz .LBB272_2112
.LBB272_1056:                           ; =>This Inner Loop Header: Depth=1
	flat_load_dword v9, v[7:8]
	ds_read2_b64 v[0:3], v33 offset1:1
	ds_read2_b64 v[64:67], v33 offset0:2 offset1:3
	s_waitcnt lgkmcnt(1)
	;;#ASMSTART
	v_cvt_f16_f32 v0, v0;

	;;#ASMEND
	buffer_load_dword v10, off, s[0:3], s32 offset:272 ; 4-byte Folded Reload
	;;#ASMSTART
	v_cvt_f16_f32 v1, v1;

	;;#ASMEND
	;;#ASMSTART
	v_cvt_f16_f32 v28, v2;

	;;#ASMEND
	;; [unrolled: 4-line block ×3, first 2 shown]
	s_waitcnt lgkmcnt(0)
	;;#ASMSTART
	v_cvt_f16_f32 v30, v64;

	;;#ASMEND
	;;#ASMSTART
	v_cvt_f16_f32 v26, v65;

	;;#ASMEND
	;; [unrolled: 4-line block ×4, first 2 shown]
	v_mov_b32_e32 v66, 0
	s_waitcnt vmcnt(0)
	v_mad_i64_i32 v[9:10], null, v9, v10, v[5:6]
	flat_load_dwordx2 v[11:12], v[9:10]
	flat_load_dword v65, v[22:23]
	s_waitcnt vmcnt(1) lgkmcnt(1)
	v_cmp_ne_u16_sdwa s18, v11, v4 src0_sel:BYTE_0 src1_sel:DWORD
	s_and_saveexec_b32 s5, s18
	s_cbranch_execz .LBB272_1064
; %bb.1057:                             ;   in Loop: Header=BB272_1056 Depth=1
	v_cmp_ne_u16_sdwa s19, v11, v34 src0_sel:BYTE_0 src1_sel:DWORD
	v_mov_b32_e32 v66, 0x8000
	s_and_saveexec_b32 s18, s19
	s_cbranch_execz .LBB272_1063
; %bb.1058:                             ;   in Loop: Header=BB272_1056 Depth=1
	v_and_b32_e32 v64, 0x7f, v11
	v_mov_b32_e32 v66, 0x7c01
	s_mov_b32 s19, exec_lo
	v_cmpx_ne_u32_e32 0x7f, v64
	s_cbranch_execz .LBB272_1062
; %bb.1059:                             ;   in Loop: Header=BB272_1056 Depth=1
	v_and_b32_e32 v2, 7, v11
	v_lshrrev_b32_e32 v3, 3, v64
	s_mov_b32 s20, exec_lo
	v_cmpx_gt_u32_e32 8, v64
; %bb.1060:                             ;   in Loop: Header=BB272_1056 Depth=1
	v_ffbh_u32_e32 v2, v2
	v_min_u32_e32 v64, 32, v2
	v_subrev_nc_u32_e32 v2, 28, v64
	v_lshlrev_b64 v[2:3], v2, v[11:12]
	v_sub_nc_u32_e32 v3, 29, v64
	v_and_b32_e32 v2, 7, v2
; %bb.1061:                             ;   in Loop: Header=BB272_1056 Depth=1
	s_or_b32 exec_lo, exec_lo, s20
	v_lshlrev_b32_e32 v64, 8, v11
	v_lshl_add_u32 v3, v3, 10, 0x2000
	v_lshlrev_b32_e32 v2, 7, v2
	v_and_b32_e32 v64, 0x8000, v64
	v_and_b32_e32 v3, 0xfc00, v3
	v_or3_b32 v66, v64, v3, v2
.LBB272_1062:                           ;   in Loop: Header=BB272_1056 Depth=1
	s_or_b32 exec_lo, exec_lo, s19
.LBB272_1063:                           ;   in Loop: Header=BB272_1056 Depth=1
	s_or_b32 exec_lo, exec_lo, s18
.LBB272_1064:                           ;   in Loop: Header=BB272_1056 Depth=1
	s_or_b32 exec_lo, exec_lo, s5
	v_lshrrev_b16 v3, 8, v11
	v_mov_b32_e32 v64, 0
	v_mov_b32_e32 v67, 0
	s_mov_b32 s5, exec_lo
	v_cmpx_ne_u16_e32 0, v3
	s_cbranch_execz .LBB272_1072
; %bb.1065:                             ;   in Loop: Header=BB272_1056 Depth=1
	v_bfrev_b32_e32 v67, 1
	s_mov_b32 s18, exec_lo
	v_cmpx_ne_u16_e32 0x80, v3
	s_cbranch_execz .LBB272_1071
; %bb.1066:                             ;   in Loop: Header=BB272_1056 Depth=1
	v_and_b32_sdwa v68, v3, v52 dst_sel:DWORD dst_unused:UNUSED_PAD src0_sel:WORD_0 src1_sel:DWORD
	v_mov_b32_e32 v67, 0x7c010000
	s_mov_b32 s19, exec_lo
	v_cmpx_ne_u32_e32 0x7f, v68
	s_cbranch_execz .LBB272_1070
; %bb.1067:                             ;   in Loop: Header=BB272_1056 Depth=1
	v_and_b32_sdwa v2, v3, v53 dst_sel:DWORD dst_unused:UNUSED_PAD src0_sel:WORD_0 src1_sel:DWORD
	v_lshrrev_b32_e32 v67, 3, v68
	s_mov_b32 s20, exec_lo
	v_cmpx_gt_u32_e32 8, v68
; %bb.1068:                             ;   in Loop: Header=BB272_1056 Depth=1
	v_ffbh_u32_e32 v2, v2
	v_min_u32_e32 v2, 32, v2
	v_subrev_nc_u32_e32 v67, 28, v2
	v_lshlrev_b64 v[68:69], v67, v[3:4]
	v_sub_nc_u32_e32 v67, 29, v2
	v_and_b32_e32 v2, 7, v68
; %bb.1069:                             ;   in Loop: Header=BB272_1056 Depth=1
	s_or_b32 exec_lo, exec_lo, s20
	v_lshlrev_b32_sdwa v3, v54, v3 dst_sel:DWORD dst_unused:UNUSED_PAD src0_sel:DWORD src1_sel:WORD_0
	v_lshl_add_u32 v67, v67, 10, 0x2000
	v_lshlrev_b32_e32 v2, 23, v2
	v_and_or_b32 v3, 0x8000, v3, v67
	v_lshl_or_b32 v67, v3, 16, v2
.LBB272_1070:                           ;   in Loop: Header=BB272_1056 Depth=1
	s_or_b32 exec_lo, exec_lo, s19
.LBB272_1071:                           ;   in Loop: Header=BB272_1056 Depth=1
	s_or_b32 exec_lo, exec_lo, s18
.LBB272_1072:                           ;   in Loop: Header=BB272_1056 Depth=1
	s_or_b32 exec_lo, exec_lo, s5
	v_lshrrev_b32_e32 v2, 16, v11
	v_cmp_ne_u16_sdwa s18, v2, v4 src0_sel:BYTE_0 src1_sel:DWORD
	s_and_saveexec_b32 s5, s18
	s_cbranch_execz .LBB272_1080
; %bb.1073:                             ;   in Loop: Header=BB272_1056 Depth=1
	v_cmp_ne_u16_sdwa s19, v2, v34 src0_sel:BYTE_0 src1_sel:DWORD
	v_mov_b32_e32 v64, 0x8000
	s_and_saveexec_b32 s18, s19
	s_cbranch_execz .LBB272_1079
; %bb.1074:                             ;   in Loop: Header=BB272_1056 Depth=1
	v_bfe_u32 v68, v11, 16, 7
	v_mov_b32_e32 v64, 0x7c01
	s_mov_b32 s19, exec_lo
	v_cmpx_ne_u32_e32 0x7f, v68
	s_cbranch_execz .LBB272_1078
; %bb.1075:                             ;   in Loop: Header=BB272_1056 Depth=1
	v_and_b32_e32 v3, 7, v2
	v_lshrrev_b32_e32 v64, 3, v68
	s_mov_b32 s20, exec_lo
	v_cmpx_gt_u32_e32 8, v68
; %bb.1076:                             ;   in Loop: Header=BB272_1056 Depth=1
	v_ffbh_u32_e32 v3, v3
	v_min_u32_e32 v3, 32, v3
	v_subrev_nc_u32_e32 v64, 28, v3
	v_lshlrev_b64 v[68:69], v64, v[2:3]
	v_sub_nc_u32_e32 v64, 29, v3
	v_and_b32_e32 v3, 7, v68
; %bb.1077:                             ;   in Loop: Header=BB272_1056 Depth=1
	s_or_b32 exec_lo, exec_lo, s20
	v_lshlrev_b32_e32 v2, 8, v2
	v_lshl_add_u32 v64, v64, 10, 0x2000
	v_lshlrev_b32_e32 v3, 7, v3
	v_and_b32_e32 v2, 0x8000, v2
	v_and_b32_e32 v64, 0xfc00, v64
	v_or3_b32 v64, v2, v64, v3
.LBB272_1078:                           ;   in Loop: Header=BB272_1056 Depth=1
	s_or_b32 exec_lo, exec_lo, s19
.LBB272_1079:                           ;   in Loop: Header=BB272_1056 Depth=1
	s_or_b32 exec_lo, exec_lo, s18
.LBB272_1080:                           ;   in Loop: Header=BB272_1056 Depth=1
	s_or_b32 exec_lo, exec_lo, s5
	v_mov_b32_e32 v68, 0
	v_mov_b32_e32 v69, 0
	s_mov_b32 s5, exec_lo
	v_cmpx_lt_u32_e32 0xffffff, v11
	s_cbranch_execz .LBB272_1088
; %bb.1081:                             ;   in Loop: Header=BB272_1056 Depth=1
	v_lshrrev_b32_e32 v3, 24, v11
	v_bfrev_b32_e32 v69, 1
	s_mov_b32 s18, exec_lo
	v_cmpx_ne_u32_e32 0x80, v3
	s_cbranch_execz .LBB272_1087
; %bb.1082:                             ;   in Loop: Header=BB272_1056 Depth=1
	v_and_b32_e32 v70, 0x7f, v3
	v_mov_b32_e32 v69, 0x7c010000
	s_mov_b32 s19, exec_lo
	v_cmpx_ne_u32_e32 0x7f, v70
	s_cbranch_execz .LBB272_1086
; %bb.1083:                             ;   in Loop: Header=BB272_1056 Depth=1
	v_and_b32_e32 v2, 7, v3
	v_lshrrev_b32_e32 v69, 3, v70
	s_mov_b32 s20, exec_lo
	v_cmpx_gt_u32_e32 8, v70
; %bb.1084:                             ;   in Loop: Header=BB272_1056 Depth=1
	v_ffbh_u32_e32 v2, v2
	v_min_u32_e32 v2, 32, v2
	v_subrev_nc_u32_e32 v69, 28, v2
	v_lshlrev_b64 v[70:71], v69, v[3:4]
	v_sub_nc_u32_e32 v69, 29, v2
	v_and_b32_e32 v2, 7, v70
; %bb.1085:                             ;   in Loop: Header=BB272_1056 Depth=1
	s_or_b32 exec_lo, exec_lo, s20
	v_lshlrev_b32_e32 v3, 8, v3
	v_lshl_add_u32 v69, v69, 10, 0x2000
	v_lshlrev_b32_e32 v2, 23, v2
	v_and_or_b32 v3, 0x8000, v3, v69
	v_lshl_or_b32 v69, v3, 16, v2
.LBB272_1086:                           ;   in Loop: Header=BB272_1056 Depth=1
	s_or_b32 exec_lo, exec_lo, s19
.LBB272_1087:                           ;   in Loop: Header=BB272_1056 Depth=1
	s_or_b32 exec_lo, exec_lo, s18
.LBB272_1088:                           ;   in Loop: Header=BB272_1056 Depth=1
	s_or_b32 exec_lo, exec_lo, s5
	v_mov_b32_e32 v3, v12
	v_cmp_ne_u16_sdwa s18, v12, v4 src0_sel:BYTE_0 src1_sel:DWORD
	s_and_saveexec_b32 s5, s18
	s_cbranch_execz .LBB272_1096
; %bb.1089:                             ;   in Loop: Header=BB272_1056 Depth=1
	v_cmp_ne_u16_sdwa s19, v12, v34 src0_sel:BYTE_0 src1_sel:DWORD
	v_mov_b32_e32 v68, 0x8000
	s_and_saveexec_b32 s18, s19
	s_cbranch_execz .LBB272_1095
; %bb.1090:                             ;   in Loop: Header=BB272_1056 Depth=1
	v_and_b32_e32 v70, 0x7f, v12
	v_mov_b32_e32 v68, 0x7c01
	s_mov_b32 s19, exec_lo
	v_cmpx_ne_u32_e32 0x7f, v70
	s_cbranch_execz .LBB272_1094
; %bb.1091:                             ;   in Loop: Header=BB272_1056 Depth=1
	v_and_b32_e32 v2, 7, v12
	v_lshrrev_b32_e32 v68, 3, v70
	s_mov_b32 s20, exec_lo
	v_cmpx_gt_u32_e32 8, v70
; %bb.1092:                             ;   in Loop: Header=BB272_1056 Depth=1
	v_ffbh_u32_e32 v2, v2
	v_min_u32_e32 v2, 32, v2
	v_subrev_nc_u32_e32 v68, 28, v2
	v_lshlrev_b64 v[70:71], v68, v[3:4]
	v_sub_nc_u32_e32 v68, 29, v2
	v_and_b32_e32 v2, 7, v70
; %bb.1093:                             ;   in Loop: Header=BB272_1056 Depth=1
	s_or_b32 exec_lo, exec_lo, s20
	v_lshlrev_b32_e32 v70, 8, v12
	v_lshl_add_u32 v68, v68, 10, 0x2000
	v_lshlrev_b32_e32 v2, 7, v2
	v_and_b32_e32 v70, 0x8000, v70
	v_and_b32_e32 v68, 0xfc00, v68
	v_or3_b32 v68, v70, v68, v2
.LBB272_1094:                           ;   in Loop: Header=BB272_1056 Depth=1
	s_or_b32 exec_lo, exec_lo, s19
.LBB272_1095:                           ;   in Loop: Header=BB272_1056 Depth=1
	s_or_b32 exec_lo, exec_lo, s18
.LBB272_1096:                           ;   in Loop: Header=BB272_1056 Depth=1
	s_or_b32 exec_lo, exec_lo, s5
	v_lshrrev_b16 v3, 8, v3
	v_mov_b32_e32 v71, 0
	v_mov_b32_e32 v70, 0
	s_mov_b32 s5, exec_lo
	v_cmpx_ne_u16_e32 0, v3
	s_cbranch_execz .LBB272_1104
; %bb.1097:                             ;   in Loop: Header=BB272_1056 Depth=1
	v_bfrev_b32_e32 v70, 1
	s_mov_b32 s18, exec_lo
	v_cmpx_ne_u16_e32 0x80, v3
	s_cbranch_execz .LBB272_1103
; %bb.1098:                             ;   in Loop: Header=BB272_1056 Depth=1
	v_and_b32_sdwa v80, v3, v52 dst_sel:DWORD dst_unused:UNUSED_PAD src0_sel:WORD_0 src1_sel:DWORD
	v_mov_b32_e32 v70, 0x7c010000
	s_mov_b32 s19, exec_lo
	v_cmpx_ne_u32_e32 0x7f, v80
	s_cbranch_execz .LBB272_1102
; %bb.1099:                             ;   in Loop: Header=BB272_1056 Depth=1
	v_and_b32_sdwa v2, v3, v53 dst_sel:DWORD dst_unused:UNUSED_PAD src0_sel:WORD_0 src1_sel:DWORD
	v_lshrrev_b32_e32 v70, 3, v80
	s_mov_b32 s20, exec_lo
	v_cmpx_gt_u32_e32 8, v80
; %bb.1100:                             ;   in Loop: Header=BB272_1056 Depth=1
	v_ffbh_u32_e32 v2, v2
	v_min_u32_e32 v2, 32, v2
	v_subrev_nc_u32_e32 v70, 28, v2
	v_lshlrev_b64 v[80:81], v70, v[3:4]
	v_sub_nc_u32_e32 v70, 29, v2
	v_and_b32_e32 v2, 7, v80
; %bb.1101:                             ;   in Loop: Header=BB272_1056 Depth=1
	s_or_b32 exec_lo, exec_lo, s20
	v_lshlrev_b32_sdwa v3, v54, v3 dst_sel:DWORD dst_unused:UNUSED_PAD src0_sel:DWORD src1_sel:WORD_0
	v_lshl_add_u32 v70, v70, 10, 0x2000
	v_lshlrev_b32_e32 v2, 23, v2
	v_and_or_b32 v3, 0x8000, v3, v70
	v_lshl_or_b32 v70, v3, 16, v2
.LBB272_1102:                           ;   in Loop: Header=BB272_1056 Depth=1
	s_or_b32 exec_lo, exec_lo, s19
.LBB272_1103:                           ;   in Loop: Header=BB272_1056 Depth=1
	s_or_b32 exec_lo, exec_lo, s18
.LBB272_1104:                           ;   in Loop: Header=BB272_1056 Depth=1
	s_or_b32 exec_lo, exec_lo, s5
	v_lshrrev_b32_e32 v2, 16, v12
	v_cmp_ne_u16_sdwa s18, v2, v4 src0_sel:BYTE_0 src1_sel:DWORD
	s_and_saveexec_b32 s5, s18
	s_cbranch_execz .LBB272_1112
; %bb.1105:                             ;   in Loop: Header=BB272_1056 Depth=1
	v_cmp_ne_u16_sdwa s19, v2, v34 src0_sel:BYTE_0 src1_sel:DWORD
	v_mov_b32_e32 v71, 0x8000
	s_and_saveexec_b32 s18, s19
	s_cbranch_execz .LBB272_1111
; %bb.1106:                             ;   in Loop: Header=BB272_1056 Depth=1
	v_bfe_u32 v80, v12, 16, 7
	v_mov_b32_e32 v71, 0x7c01
	s_mov_b32 s19, exec_lo
	v_cmpx_ne_u32_e32 0x7f, v80
	s_cbranch_execz .LBB272_1110
; %bb.1107:                             ;   in Loop: Header=BB272_1056 Depth=1
	v_and_b32_e32 v3, 7, v2
	v_lshrrev_b32_e32 v71, 3, v80
	s_mov_b32 s20, exec_lo
	v_cmpx_gt_u32_e32 8, v80
; %bb.1108:                             ;   in Loop: Header=BB272_1056 Depth=1
	v_ffbh_u32_e32 v3, v3
	v_min_u32_e32 v3, 32, v3
	v_subrev_nc_u32_e32 v71, 28, v3
	v_lshlrev_b64 v[80:81], v71, v[2:3]
	v_sub_nc_u32_e32 v71, 29, v3
	v_and_b32_e32 v3, 7, v80
; %bb.1109:                             ;   in Loop: Header=BB272_1056 Depth=1
	s_or_b32 exec_lo, exec_lo, s20
	v_lshlrev_b32_e32 v2, 8, v2
	v_lshl_add_u32 v71, v71, 10, 0x2000
	v_lshlrev_b32_e32 v3, 7, v3
	v_and_b32_e32 v2, 0x8000, v2
	v_and_b32_e32 v71, 0xfc00, v71
	v_or3_b32 v71, v2, v71, v3
.LBB272_1110:                           ;   in Loop: Header=BB272_1056 Depth=1
	s_or_b32 exec_lo, exec_lo, s19
.LBB272_1111:                           ;   in Loop: Header=BB272_1056 Depth=1
	s_or_b32 exec_lo, exec_lo, s18
.LBB272_1112:                           ;   in Loop: Header=BB272_1056 Depth=1
	s_or_b32 exec_lo, exec_lo, s5
	v_mov_b32_e32 v2, 0
	s_mov_b32 s5, exec_lo
	v_cmpx_lt_u64_e64 s[6:7], v[11:12]
	s_cbranch_execz .LBB272_1120
; %bb.1113:                             ;   in Loop: Header=BB272_1056 Depth=1
	v_lshrrev_b32_e32 v3, 24, v12
	v_bfrev_b32_e32 v2, 1
	s_mov_b32 s18, exec_lo
	v_cmpx_ne_u32_e32 0x80, v3
	s_cbranch_execz .LBB272_1119
; %bb.1114:                             ;   in Loop: Header=BB272_1056 Depth=1
	v_and_b32_e32 v12, 0x7f, v3
	v_mov_b32_e32 v2, 0x7c010000
	s_mov_b32 s19, exec_lo
	v_cmpx_ne_u32_e32 0x7f, v12
	s_cbranch_execz .LBB272_1118
; %bb.1115:                             ;   in Loop: Header=BB272_1056 Depth=1
	v_and_b32_e32 v2, 7, v3
	v_lshrrev_b32_e32 v11, 3, v12
	s_mov_b32 s20, exec_lo
	v_cmpx_gt_u32_e32 8, v12
; %bb.1116:                             ;   in Loop: Header=BB272_1056 Depth=1
	v_ffbh_u32_e32 v2, v2
	v_min_u32_e32 v2, 32, v2
	v_subrev_nc_u32_e32 v11, 28, v2
	v_lshlrev_b64 v[80:81], v11, v[3:4]
	v_sub_nc_u32_e32 v11, 29, v2
	v_and_b32_e32 v2, 7, v80
; %bb.1117:                             ;   in Loop: Header=BB272_1056 Depth=1
	s_or_b32 exec_lo, exec_lo, s20
	v_lshlrev_b32_e32 v3, 8, v3
	v_lshl_add_u32 v11, v11, 10, 0x2000
	v_lshlrev_b32_e32 v2, 23, v2
	v_and_or_b32 v3, 0x8000, v3, v11
	v_lshl_or_b32 v2, v3, 16, v2
.LBB272_1118:                           ;   in Loop: Header=BB272_1056 Depth=1
	s_or_b32 exec_lo, exec_lo, s19
.LBB272_1119:                           ;   in Loop: Header=BB272_1056 Depth=1
	s_or_b32 exec_lo, exec_lo, s18
.LBB272_1120:                           ;   in Loop: Header=BB272_1056 Depth=1
	s_or_b32 exec_lo, exec_lo, s5
	v_or_b32_e32 v3, v69, v64
	s_waitcnt vmcnt(0) lgkmcnt(0)
	v_fma_mixlo_f16 v11, v65, v69, 0 op_sel:[0,1,0] op_sel_hi:[0,1,0]
	v_or_b32_e32 v12, v67, v66
	v_or_b32_e32 v68, v70, v68
	;; [unrolled: 1-line block ×3, first 2 shown]
	v_fma_mixlo_f16 v66, v65, v67, 0 op_sel:[0,1,0] op_sel_hi:[0,1,0]
	v_fma_mixlo_f16 v67, v65, v3, 0 op_sel_hi:[0,1,0]
	v_lshlrev_b32_e32 v3, 16, v11
	v_fma_mixlo_f16 v11, v65, v12, 0 op_sel_hi:[0,1,0]
	v_fma_mixlo_f16 v12, v65, v70, 0 op_sel:[0,1,0] op_sel_hi:[0,1,0]
	v_fma_mixlo_f16 v68, v65, v68, 0 op_sel_hi:[0,1,0]
	v_fma_mixlo_f16 v2, v65, v2, 0 op_sel:[0,1,0] op_sel_hi:[0,1,0]
	v_fma_mixlo_f16 v69, v65, v69, 0 op_sel_hi:[0,1,0]
	v_lshlrev_b32_e32 v85, 16, v66
	v_and_b32_e32 v66, 0xffff, v67
	v_and_b32_e32 v86, 0xffff, v11
	v_lshlrev_b32_e32 v67, 16, v12
	v_and_b32_e32 v70, 0xffff, v68
	v_lshlrev_b32_e32 v65, 16, v2
	v_and_b32_e32 v69, 0xffff, v69
	v_add_nc_u32_e32 v64, -7, v19
	v_cmp_eq_u32_e32 vcc_lo, v32, v55
	v_or_b32_e32 v2, v3, v66
	v_or_b32_e32 v11, v85, v86
	;; [unrolled: 1-line block ×4, first 2 shown]
	v_add_nc_u32_e32 v84, -6, v19
	v_add_nc_u32_e32 v83, -5, v19
	;; [unrolled: 1-line block ×6, first 2 shown]
	s_and_saveexec_b32 s18, vcc_lo
	s_cbranch_execz .LBB272_1122
; %bb.1121:                             ;   in Loop: Header=BB272_1056 Depth=1
	v_cmp_lt_i32_e64 s5, v64, v29
	v_cndmask_b32_e64 v2, 0, v86, s5
	v_cmp_lt_i32_e64 s5, v84, v29
	v_cndmask_b32_e64 v11, 0, v85, s5
	v_cmp_lt_i32_e64 s5, v83, v29
	v_or_b32_e32 v11, v2, v11
	v_cndmask_b32_e64 v12, 0, v66, s5
	v_cmp_lt_i32_e64 s5, v82, v29
	v_cndmask_b32_e64 v3, 0, v3, s5
	v_cmp_lt_i32_e64 s5, v81, v29
	v_or_b32_e32 v2, v12, v3
	v_cndmask_b32_e64 v66, 0, v70, s5
	v_cmp_lt_i32_e64 s5, v80, v29
	v_cndmask_b32_e64 v67, 0, v67, s5
	v_cmp_lt_i32_e64 s5, v71, v29
	v_or_b32_e32 v12, v66, v67
	v_cndmask_b32_e64 v68, 0, v69, s5
	v_cmp_lt_i32_e64 s5, v19, v29
	v_cndmask_b32_e64 v65, 0, v65, s5
	v_or_b32_e32 v68, v68, v65
.LBB272_1122:                           ;   in Loop: Header=BB272_1056 Depth=1
	s_or_b32 exec_lo, exec_lo, s18
	v_and_b32_e32 v0, 0xffff, v0
	v_and_b32_e32 v3, 0xffff, v28
	;; [unrolled: 1-line block ×4, first 2 shown]
	v_lshl_or_b32 v69, v1, 16, v0
	;;#ASMSTART
	v_pk_mul_f16 v0, v69, v11;

	;;#ASMEND
	v_lshl_or_b32 v67, v18, 16, v3
	v_lshl_or_b32 v66, v26, 16, v28
	;; [unrolled: 1-line block ×3, first 2 shown]
	;;#ASMSTART
	v_pk_mul_f16 v1, v67, v2;

	;;#ASMEND
	;;#ASMSTART
	v_pk_mul_f16 v2, v66, v12;

	;;#ASMEND
	;; [unrolled: 4-line block ×3, first 2 shown]
	;;#ASMSTART
	v_pk_add_f16 v0, v0, v1;

	;;#ASMEND
	;;#ASMSTART
	v_pk_add_f16 v0, v0, v2;

	;;#ASMEND
	;; [unrolled: 4-line block ×3, first 2 shown]
	v_and_b32_e32 v1, 0xffff, v0
	v_lshrrev_b32_e32 v0, 16, v0
	;;#ASMSTART
	v_cvt_f32_f16 v68, v1;
	;;#ASMEND
	;;#ASMSTART
	v_cvt_f32_f16 v70, v0;
	;;#ASMEND
	flat_load_dwordx2 v[11:12], v[9:10] offset:256
	flat_load_dword v0, v[22:23]
	v_mov_b32_e32 v1, 0
	v_mov_b32_e32 v18, 0
	s_waitcnt vmcnt(1) lgkmcnt(1)
	v_cmp_ne_u16_sdwa s5, v11, v4 src0_sel:BYTE_0 src1_sel:DWORD
	s_and_saveexec_b32 s18, s5
	s_cbranch_execz .LBB272_1130
; %bb.1123:                             ;   in Loop: Header=BB272_1056 Depth=1
	v_cmp_ne_u16_sdwa s5, v11, v34 src0_sel:BYTE_0 src1_sel:DWORD
	v_mov_b32_e32 v18, 0x8000
	s_and_saveexec_b32 s19, s5
	s_cbranch_execz .LBB272_1129
; %bb.1124:                             ;   in Loop: Header=BB272_1056 Depth=1
	v_and_b32_e32 v26, 0x7f, v11
	v_mov_b32_e32 v18, 0x7c01
	s_mov_b32 s20, exec_lo
	v_cmpx_ne_u32_e32 0x7f, v26
	s_cbranch_execz .LBB272_1128
; %bb.1125:                             ;   in Loop: Header=BB272_1056 Depth=1
	v_and_b32_e32 v2, 7, v11
	v_lshrrev_b32_e32 v3, 3, v26
	s_mov_b32 s21, exec_lo
	v_cmpx_gt_u32_e32 8, v26
; %bb.1126:                             ;   in Loop: Header=BB272_1056 Depth=1
	v_ffbh_u32_e32 v2, v2
	v_min_u32_e32 v18, 32, v2
	v_subrev_nc_u32_e32 v2, 28, v18
	v_lshlrev_b64 v[2:3], v2, v[11:12]
	v_sub_nc_u32_e32 v3, 29, v18
	v_and_b32_e32 v2, 7, v2
; %bb.1127:                             ;   in Loop: Header=BB272_1056 Depth=1
	s_or_b32 exec_lo, exec_lo, s21
	v_lshlrev_b32_e32 v18, 8, v11
	v_lshl_add_u32 v3, v3, 10, 0x2000
	v_lshlrev_b32_e32 v2, 7, v2
	v_and_b32_e32 v18, 0x8000, v18
	v_and_b32_e32 v3, 0xfc00, v3
	v_or3_b32 v18, v18, v3, v2
.LBB272_1128:                           ;   in Loop: Header=BB272_1056 Depth=1
	s_or_b32 exec_lo, exec_lo, s20
.LBB272_1129:                           ;   in Loop: Header=BB272_1056 Depth=1
	s_or_b32 exec_lo, exec_lo, s19
.LBB272_1130:                           ;   in Loop: Header=BB272_1056 Depth=1
	s_or_b32 exec_lo, exec_lo, s18
	v_lshrrev_b16 v3, 8, v11
	s_mov_b32 s18, exec_lo
	v_cmpx_ne_u16_e32 0, v3
	s_cbranch_execz .LBB272_1138
; %bb.1131:                             ;   in Loop: Header=BB272_1056 Depth=1
	v_bfrev_b32_e32 v1, 1
	s_mov_b32 s19, exec_lo
	v_cmpx_ne_u16_e32 0x80, v3
	s_cbranch_execz .LBB272_1137
; %bb.1132:                             ;   in Loop: Header=BB272_1056 Depth=1
	v_and_b32_sdwa v26, v3, v52 dst_sel:DWORD dst_unused:UNUSED_PAD src0_sel:WORD_0 src1_sel:DWORD
	v_mov_b32_e32 v1, 0x7c010000
	s_mov_b32 s20, exec_lo
	v_cmpx_ne_u32_e32 0x7f, v26
	s_cbranch_execz .LBB272_1136
; %bb.1133:                             ;   in Loop: Header=BB272_1056 Depth=1
	v_and_b32_sdwa v1, v3, v53 dst_sel:DWORD dst_unused:UNUSED_PAD src0_sel:WORD_0 src1_sel:DWORD
	v_lshrrev_b32_e32 v2, 3, v26
	s_mov_b32 s21, exec_lo
	v_cmpx_gt_u32_e32 8, v26
; %bb.1134:                             ;   in Loop: Header=BB272_1056 Depth=1
	v_ffbh_u32_e32 v1, v1
	v_min_u32_e32 v26, 32, v1
	v_subrev_nc_u32_e32 v1, 28, v26
	v_lshlrev_b64 v[1:2], v1, v[3:4]
	v_sub_nc_u32_e32 v2, 29, v26
	v_and_b32_e32 v1, 7, v1
; %bb.1135:                             ;   in Loop: Header=BB272_1056 Depth=1
	s_or_b32 exec_lo, exec_lo, s21
	v_lshlrev_b32_sdwa v3, v54, v3 dst_sel:DWORD dst_unused:UNUSED_PAD src0_sel:DWORD src1_sel:WORD_0
	v_lshl_add_u32 v2, v2, 10, 0x2000
	v_lshlrev_b32_e32 v1, 23, v1
	v_and_or_b32 v2, 0x8000, v3, v2
	v_lshl_or_b32 v1, v2, 16, v1
.LBB272_1136:                           ;   in Loop: Header=BB272_1056 Depth=1
	s_or_b32 exec_lo, exec_lo, s20
.LBB272_1137:                           ;   in Loop: Header=BB272_1056 Depth=1
	s_or_b32 exec_lo, exec_lo, s19
.LBB272_1138:                           ;   in Loop: Header=BB272_1056 Depth=1
	s_or_b32 exec_lo, exec_lo, s18
	v_lshrrev_b32_e32 v2, 16, v11
	v_mov_b32_e32 v26, 0
	v_mov_b32_e32 v27, 0
	v_cmp_ne_u16_sdwa s5, v2, v4 src0_sel:BYTE_0 src1_sel:DWORD
	s_and_saveexec_b32 s18, s5
	s_cbranch_execz .LBB272_1146
; %bb.1139:                             ;   in Loop: Header=BB272_1056 Depth=1
	v_cmp_ne_u16_sdwa s5, v2, v34 src0_sel:BYTE_0 src1_sel:DWORD
	v_mov_b32_e32 v27, 0x8000
	s_and_saveexec_b32 s19, s5
	s_cbranch_execz .LBB272_1145
; %bb.1140:                             ;   in Loop: Header=BB272_1056 Depth=1
	v_bfe_u32 v28, v11, 16, 7
	v_mov_b32_e32 v27, 0x7c01
	s_mov_b32 s20, exec_lo
	v_cmpx_ne_u32_e32 0x7f, v28
	s_cbranch_execz .LBB272_1144
; %bb.1141:                             ;   in Loop: Header=BB272_1056 Depth=1
	v_and_b32_e32 v3, 7, v2
	v_lshrrev_b32_e32 v27, 3, v28
	s_mov_b32 s21, exec_lo
	v_cmpx_gt_u32_e32 8, v28
; %bb.1142:                             ;   in Loop: Header=BB272_1056 Depth=1
	v_ffbh_u32_e32 v3, v3
	v_min_u32_e32 v3, 32, v3
	v_subrev_nc_u32_e32 v27, 28, v3
	v_lshlrev_b64 v[30:31], v27, v[2:3]
	v_sub_nc_u32_e32 v27, 29, v3
	v_and_b32_e32 v3, 7, v30
; %bb.1143:                             ;   in Loop: Header=BB272_1056 Depth=1
	s_or_b32 exec_lo, exec_lo, s21
	v_lshlrev_b32_e32 v2, 8, v2
	v_lshl_add_u32 v27, v27, 10, 0x2000
	v_lshlrev_b32_e32 v3, 7, v3
	v_and_b32_e32 v2, 0x8000, v2
	v_and_b32_e32 v27, 0xfc00, v27
	v_or3_b32 v27, v2, v27, v3
.LBB272_1144:                           ;   in Loop: Header=BB272_1056 Depth=1
	s_or_b32 exec_lo, exec_lo, s20
.LBB272_1145:                           ;   in Loop: Header=BB272_1056 Depth=1
	s_or_b32 exec_lo, exec_lo, s19
.LBB272_1146:                           ;   in Loop: Header=BB272_1056 Depth=1
	s_or_b32 exec_lo, exec_lo, s18
	s_mov_b32 s18, exec_lo
	v_cmpx_lt_u32_e32 0xffffff, v11
	s_cbranch_execz .LBB272_1154
; %bb.1147:                             ;   in Loop: Header=BB272_1056 Depth=1
	v_lshrrev_b32_e32 v3, 24, v11
	v_bfrev_b32_e32 v26, 1
	s_mov_b32 s19, exec_lo
	v_cmpx_ne_u32_e32 0x80, v3
	s_cbranch_execz .LBB272_1153
; %bb.1148:                             ;   in Loop: Header=BB272_1056 Depth=1
	v_and_b32_e32 v28, 0x7f, v3
	v_mov_b32_e32 v26, 0x7c010000
	s_mov_b32 s20, exec_lo
	v_cmpx_ne_u32_e32 0x7f, v28
	s_cbranch_execz .LBB272_1152
; %bb.1149:                             ;   in Loop: Header=BB272_1056 Depth=1
	v_and_b32_e32 v2, 7, v3
	v_lshrrev_b32_e32 v26, 3, v28
	s_mov_b32 s21, exec_lo
	v_cmpx_gt_u32_e32 8, v28
; %bb.1150:                             ;   in Loop: Header=BB272_1056 Depth=1
	v_ffbh_u32_e32 v2, v2
	v_min_u32_e32 v2, 32, v2
	v_subrev_nc_u32_e32 v26, 28, v2
	v_lshlrev_b64 v[30:31], v26, v[3:4]
	v_sub_nc_u32_e32 v26, 29, v2
	v_and_b32_e32 v2, 7, v30
; %bb.1151:                             ;   in Loop: Header=BB272_1056 Depth=1
	s_or_b32 exec_lo, exec_lo, s21
	v_lshlrev_b32_e32 v3, 8, v3
	v_lshl_add_u32 v26, v26, 10, 0x2000
	v_lshlrev_b32_e32 v2, 23, v2
	v_and_or_b32 v3, 0x8000, v3, v26
	v_lshl_or_b32 v26, v3, 16, v2
.LBB272_1152:                           ;   in Loop: Header=BB272_1056 Depth=1
	s_or_b32 exec_lo, exec_lo, s20
.LBB272_1153:                           ;   in Loop: Header=BB272_1056 Depth=1
	s_or_b32 exec_lo, exec_lo, s19
.LBB272_1154:                           ;   in Loop: Header=BB272_1056 Depth=1
	s_or_b32 exec_lo, exec_lo, s18
	v_mov_b32_e32 v3, v12
	v_cmp_ne_u16_sdwa s5, v12, v4 src0_sel:BYTE_0 src1_sel:DWORD
	v_mov_b32_e32 v28, 0
	v_mov_b32_e32 v30, 0
	s_and_saveexec_b32 s18, s5
	s_cbranch_execz .LBB272_1162
; %bb.1155:                             ;   in Loop: Header=BB272_1056 Depth=1
	v_cmp_ne_u16_sdwa s5, v12, v34 src0_sel:BYTE_0 src1_sel:DWORD
	v_mov_b32_e32 v30, 0x8000
	s_and_saveexec_b32 s19, s5
	s_cbranch_execz .LBB272_1161
; %bb.1156:                             ;   in Loop: Header=BB272_1056 Depth=1
	v_and_b32_e32 v31, 0x7f, v12
	v_mov_b32_e32 v30, 0x7c01
	s_mov_b32 s20, exec_lo
	v_cmpx_ne_u32_e32 0x7f, v31
	s_cbranch_execz .LBB272_1160
; %bb.1157:                             ;   in Loop: Header=BB272_1056 Depth=1
	v_and_b32_e32 v2, 7, v12
	v_lshrrev_b32_e32 v30, 3, v31
	s_mov_b32 s21, exec_lo
	v_cmpx_gt_u32_e32 8, v31
; %bb.1158:                             ;   in Loop: Header=BB272_1056 Depth=1
	v_ffbh_u32_e32 v2, v2
	v_min_u32_e32 v2, 32, v2
	v_subrev_nc_u32_e32 v30, 28, v2
	v_lshlrev_b64 v[85:86], v30, v[3:4]
	v_sub_nc_u32_e32 v30, 29, v2
	v_and_b32_e32 v2, 7, v85
; %bb.1159:                             ;   in Loop: Header=BB272_1056 Depth=1
	s_or_b32 exec_lo, exec_lo, s21
	v_lshlrev_b32_e32 v31, 8, v12
	v_lshl_add_u32 v30, v30, 10, 0x2000
	v_lshlrev_b32_e32 v2, 7, v2
	v_and_b32_e32 v31, 0x8000, v31
	v_and_b32_e32 v30, 0xfc00, v30
	v_or3_b32 v30, v31, v30, v2
.LBB272_1160:                           ;   in Loop: Header=BB272_1056 Depth=1
	s_or_b32 exec_lo, exec_lo, s20
.LBB272_1161:                           ;   in Loop: Header=BB272_1056 Depth=1
	s_or_b32 exec_lo, exec_lo, s19
.LBB272_1162:                           ;   in Loop: Header=BB272_1056 Depth=1
	s_or_b32 exec_lo, exec_lo, s18
	v_lshrrev_b16 v3, 8, v3
	v_mov_b32_e32 v31, 0
	s_mov_b32 s18, exec_lo
	v_cmpx_ne_u16_e32 0, v3
	s_cbranch_execz .LBB272_1170
; %bb.1163:                             ;   in Loop: Header=BB272_1056 Depth=1
	v_bfrev_b32_e32 v31, 1
	s_mov_b32 s19, exec_lo
	v_cmpx_ne_u16_e32 0x80, v3
	s_cbranch_execz .LBB272_1169
; %bb.1164:                             ;   in Loop: Header=BB272_1056 Depth=1
	v_and_b32_sdwa v85, v3, v52 dst_sel:DWORD dst_unused:UNUSED_PAD src0_sel:WORD_0 src1_sel:DWORD
	v_mov_b32_e32 v31, 0x7c010000
	s_mov_b32 s20, exec_lo
	v_cmpx_ne_u32_e32 0x7f, v85
	s_cbranch_execz .LBB272_1168
; %bb.1165:                             ;   in Loop: Header=BB272_1056 Depth=1
	v_and_b32_sdwa v2, v3, v53 dst_sel:DWORD dst_unused:UNUSED_PAD src0_sel:WORD_0 src1_sel:DWORD
	v_lshrrev_b32_e32 v31, 3, v85
	s_mov_b32 s21, exec_lo
	v_cmpx_gt_u32_e32 8, v85
; %bb.1166:                             ;   in Loop: Header=BB272_1056 Depth=1
	v_ffbh_u32_e32 v2, v2
	v_min_u32_e32 v2, 32, v2
	v_subrev_nc_u32_e32 v31, 28, v2
	v_lshlrev_b64 v[85:86], v31, v[3:4]
	v_sub_nc_u32_e32 v31, 29, v2
	v_and_b32_e32 v2, 7, v85
; %bb.1167:                             ;   in Loop: Header=BB272_1056 Depth=1
	s_or_b32 exec_lo, exec_lo, s21
	v_lshlrev_b32_sdwa v3, v54, v3 dst_sel:DWORD dst_unused:UNUSED_PAD src0_sel:DWORD src1_sel:WORD_0
	v_lshl_add_u32 v31, v31, 10, 0x2000
	v_lshlrev_b32_e32 v2, 23, v2
	v_and_or_b32 v3, 0x8000, v3, v31
	v_lshl_or_b32 v31, v3, 16, v2
.LBB272_1168:                           ;   in Loop: Header=BB272_1056 Depth=1
	s_or_b32 exec_lo, exec_lo, s20
.LBB272_1169:                           ;   in Loop: Header=BB272_1056 Depth=1
	s_or_b32 exec_lo, exec_lo, s19
.LBB272_1170:                           ;   in Loop: Header=BB272_1056 Depth=1
	s_or_b32 exec_lo, exec_lo, s18
	v_lshrrev_b32_e32 v2, 16, v12
	v_cmp_ne_u16_sdwa s5, v2, v4 src0_sel:BYTE_0 src1_sel:DWORD
	s_and_saveexec_b32 s18, s5
	s_cbranch_execz .LBB272_1178
; %bb.1171:                             ;   in Loop: Header=BB272_1056 Depth=1
	v_cmp_ne_u16_sdwa s5, v2, v34 src0_sel:BYTE_0 src1_sel:DWORD
	v_mov_b32_e32 v28, 0x8000
	s_and_saveexec_b32 s19, s5
	s_cbranch_execz .LBB272_1177
; %bb.1172:                             ;   in Loop: Header=BB272_1056 Depth=1
	v_bfe_u32 v85, v12, 16, 7
	v_mov_b32_e32 v28, 0x7c01
	s_mov_b32 s20, exec_lo
	v_cmpx_ne_u32_e32 0x7f, v85
	s_cbranch_execz .LBB272_1176
; %bb.1173:                             ;   in Loop: Header=BB272_1056 Depth=1
	v_and_b32_e32 v3, 7, v2
	v_lshrrev_b32_e32 v28, 3, v85
	s_mov_b32 s21, exec_lo
	v_cmpx_gt_u32_e32 8, v85
; %bb.1174:                             ;   in Loop: Header=BB272_1056 Depth=1
	v_ffbh_u32_e32 v3, v3
	v_min_u32_e32 v3, 32, v3
	v_subrev_nc_u32_e32 v28, 28, v3
	v_lshlrev_b64 v[85:86], v28, v[2:3]
	v_sub_nc_u32_e32 v28, 29, v3
	v_and_b32_e32 v3, 7, v85
; %bb.1175:                             ;   in Loop: Header=BB272_1056 Depth=1
	s_or_b32 exec_lo, exec_lo, s21
	v_lshlrev_b32_e32 v2, 8, v2
	v_lshl_add_u32 v28, v28, 10, 0x2000
	v_lshlrev_b32_e32 v3, 7, v3
	v_and_b32_e32 v2, 0x8000, v2
	v_and_b32_e32 v28, 0xfc00, v28
	v_or3_b32 v28, v2, v28, v3
.LBB272_1176:                           ;   in Loop: Header=BB272_1056 Depth=1
	s_or_b32 exec_lo, exec_lo, s20
.LBB272_1177:                           ;   in Loop: Header=BB272_1056 Depth=1
	s_or_b32 exec_lo, exec_lo, s19
.LBB272_1178:                           ;   in Loop: Header=BB272_1056 Depth=1
	s_or_b32 exec_lo, exec_lo, s18
	v_mov_b32_e32 v2, 0
	s_mov_b32 s18, exec_lo
	v_cmpx_lt_u64_e64 s[6:7], v[11:12]
	s_cbranch_execz .LBB272_1186
; %bb.1179:                             ;   in Loop: Header=BB272_1056 Depth=1
	v_lshrrev_b32_e32 v3, 24, v12
	v_bfrev_b32_e32 v2, 1
	s_mov_b32 s19, exec_lo
	v_cmpx_ne_u32_e32 0x80, v3
	s_cbranch_execz .LBB272_1185
; %bb.1180:                             ;   in Loop: Header=BB272_1056 Depth=1
	v_and_b32_e32 v12, 0x7f, v3
	v_mov_b32_e32 v2, 0x7c010000
	s_mov_b32 s20, exec_lo
	v_cmpx_ne_u32_e32 0x7f, v12
	s_cbranch_execz .LBB272_1184
; %bb.1181:                             ;   in Loop: Header=BB272_1056 Depth=1
	v_and_b32_e32 v2, 7, v3
	v_lshrrev_b32_e32 v11, 3, v12
	s_mov_b32 s21, exec_lo
	v_cmpx_gt_u32_e32 8, v12
; %bb.1182:                             ;   in Loop: Header=BB272_1056 Depth=1
	v_ffbh_u32_e32 v2, v2
	v_min_u32_e32 v2, 32, v2
	v_subrev_nc_u32_e32 v11, 28, v2
	v_lshlrev_b64 v[85:86], v11, v[3:4]
	v_sub_nc_u32_e32 v11, 29, v2
	v_and_b32_e32 v2, 7, v85
; %bb.1183:                             ;   in Loop: Header=BB272_1056 Depth=1
	s_or_b32 exec_lo, exec_lo, s21
	v_lshlrev_b32_e32 v3, 8, v3
	v_lshl_add_u32 v11, v11, 10, 0x2000
	v_lshlrev_b32_e32 v2, 23, v2
	v_and_or_b32 v3, 0x8000, v3, v11
	v_lshl_or_b32 v2, v3, 16, v2
.LBB272_1184:                           ;   in Loop: Header=BB272_1056 Depth=1
	s_or_b32 exec_lo, exec_lo, s20
.LBB272_1185:                           ;   in Loop: Header=BB272_1056 Depth=1
	s_or_b32 exec_lo, exec_lo, s19
.LBB272_1186:                           ;   in Loop: Header=BB272_1056 Depth=1
	s_or_b32 exec_lo, exec_lo, s18
	v_or_b32_e32 v3, v26, v27
	s_waitcnt vmcnt(0) lgkmcnt(0)
	v_fma_mixlo_f16 v11, v0, v26, 0 op_sel:[0,1,0] op_sel_hi:[0,1,0]
	v_or_b32_e32 v18, v1, v18
	v_or_b32_e32 v26, v31, v30
	;; [unrolled: 1-line block ×3, first 2 shown]
	v_fma_mixlo_f16 v12, v0, v1, 0 op_sel:[0,1,0] op_sel_hi:[0,1,0]
	v_fma_mixlo_f16 v3, v0, v3, 0 op_sel_hi:[0,1,0]
	v_lshlrev_b32_e32 v1, 16, v11
	v_fma_mixlo_f16 v11, v0, v18, 0 op_sel_hi:[0,1,0]
	v_fma_mixlo_f16 v18, v0, v31, 0 op_sel:[0,1,0] op_sel_hi:[0,1,0]
	v_fma_mixlo_f16 v26, v0, v26, 0 op_sel_hi:[0,1,0]
	v_fma_mixlo_f16 v28, v0, v2, 0 op_sel:[0,1,0] op_sel_hi:[0,1,0]
	v_fma_mixlo_f16 v27, v0, v27, 0 op_sel_hi:[0,1,0]
	v_lshlrev_b32_e32 v12, 16, v12
	v_and_b32_e32 v3, 0xffff, v3
	v_and_b32_e32 v31, 0xffff, v11
	v_lshlrev_b32_e32 v2, 16, v18
	v_and_b32_e32 v26, 0xffff, v26
	v_lshlrev_b32_e32 v0, 16, v28
	v_and_b32_e32 v11, 0xffff, v27
	v_or_b32_e32 v18, v1, v3
	v_or_b32_e32 v30, v12, v31
	;; [unrolled: 1-line block ×4, first 2 shown]
	s_and_saveexec_b32 s18, vcc_lo
	s_cbranch_execz .LBB272_1188
; %bb.1187:                             ;   in Loop: Header=BB272_1056 Depth=1
	v_cmp_lt_i32_e64 s5, v64, v29
	v_cndmask_b32_e64 v18, 0, v31, s5
	v_cmp_lt_i32_e64 s5, v84, v29
	v_cndmask_b32_e64 v12, 0, v12, s5
	v_cmp_lt_i32_e64 s5, v83, v29
	v_or_b32_e32 v30, v18, v12
	v_cndmask_b32_e64 v3, 0, v3, s5
	v_cmp_lt_i32_e64 s5, v82, v29
	v_cndmask_b32_e64 v1, 0, v1, s5
	v_cmp_lt_i32_e64 s5, v81, v29
	v_or_b32_e32 v18, v3, v1
	;; [unrolled: 5-line block ×3, first 2 shown]
	v_cndmask_b32_e64 v11, 0, v11, s5
	v_cmp_lt_i32_e64 s5, v19, v29
	v_cndmask_b32_e64 v0, 0, v0, s5
	v_or_b32_e32 v27, v11, v0
.LBB272_1188:                           ;   in Loop: Header=BB272_1056 Depth=1
	s_or_b32 exec_lo, exec_lo, s18
	;;#ASMSTART
	v_pk_mul_f16 v0, v69, v30;

	;;#ASMEND
	;;#ASMSTART
	v_pk_mul_f16 v1, v67, v18;

	;;#ASMEND
	;; [unrolled: 4-line block ×4, first 2 shown]
	;;#ASMSTART
	v_pk_add_f16 v0, v0, v1;

	;;#ASMEND
	;;#ASMSTART
	v_pk_add_f16 v0, v0, v2;

	;;#ASMEND
	;; [unrolled: 4-line block ×3, first 2 shown]
	v_and_b32_e32 v1, 0xffff, v0
	v_lshrrev_b32_e32 v0, 16, v0
	;;#ASMSTART
	v_cvt_f32_f16 v85, v1;
	;;#ASMEND
	;;#ASMSTART
	v_cvt_f32_f16 v86, v0;
	;;#ASMEND
	flat_load_dwordx2 v[11:12], v[9:10] offset:512
	flat_load_dword v0, v[22:23]
	v_mov_b32_e32 v1, 0
	v_mov_b32_e32 v18, 0
	s_waitcnt vmcnt(1) lgkmcnt(1)
	v_cmp_ne_u16_sdwa s5, v11, v4 src0_sel:BYTE_0 src1_sel:DWORD
	s_and_saveexec_b32 s18, s5
	s_cbranch_execz .LBB272_1196
; %bb.1189:                             ;   in Loop: Header=BB272_1056 Depth=1
	v_cmp_ne_u16_sdwa s5, v11, v34 src0_sel:BYTE_0 src1_sel:DWORD
	v_mov_b32_e32 v18, 0x8000
	s_and_saveexec_b32 s19, s5
	s_cbranch_execz .LBB272_1195
; %bb.1190:                             ;   in Loop: Header=BB272_1056 Depth=1
	v_and_b32_e32 v26, 0x7f, v11
	v_mov_b32_e32 v18, 0x7c01
	s_mov_b32 s20, exec_lo
	v_cmpx_ne_u32_e32 0x7f, v26
	s_cbranch_execz .LBB272_1194
; %bb.1191:                             ;   in Loop: Header=BB272_1056 Depth=1
	v_and_b32_e32 v2, 7, v11
	v_lshrrev_b32_e32 v3, 3, v26
	s_mov_b32 s21, exec_lo
	v_cmpx_gt_u32_e32 8, v26
; %bb.1192:                             ;   in Loop: Header=BB272_1056 Depth=1
	v_ffbh_u32_e32 v2, v2
	v_min_u32_e32 v18, 32, v2
	v_subrev_nc_u32_e32 v2, 28, v18
	v_lshlrev_b64 v[2:3], v2, v[11:12]
	v_sub_nc_u32_e32 v3, 29, v18
	v_and_b32_e32 v2, 7, v2
; %bb.1193:                             ;   in Loop: Header=BB272_1056 Depth=1
	s_or_b32 exec_lo, exec_lo, s21
	v_lshlrev_b32_e32 v18, 8, v11
	v_lshl_add_u32 v3, v3, 10, 0x2000
	v_lshlrev_b32_e32 v2, 7, v2
	v_and_b32_e32 v18, 0x8000, v18
	v_and_b32_e32 v3, 0xfc00, v3
	v_or3_b32 v18, v18, v3, v2
.LBB272_1194:                           ;   in Loop: Header=BB272_1056 Depth=1
	s_or_b32 exec_lo, exec_lo, s20
.LBB272_1195:                           ;   in Loop: Header=BB272_1056 Depth=1
	s_or_b32 exec_lo, exec_lo, s19
.LBB272_1196:                           ;   in Loop: Header=BB272_1056 Depth=1
	s_or_b32 exec_lo, exec_lo, s18
	v_lshrrev_b16 v3, 8, v11
	s_mov_b32 s18, exec_lo
	v_cmpx_ne_u16_e32 0, v3
	s_cbranch_execz .LBB272_1204
; %bb.1197:                             ;   in Loop: Header=BB272_1056 Depth=1
	v_bfrev_b32_e32 v1, 1
	s_mov_b32 s19, exec_lo
	v_cmpx_ne_u16_e32 0x80, v3
	s_cbranch_execz .LBB272_1203
; %bb.1198:                             ;   in Loop: Header=BB272_1056 Depth=1
	v_and_b32_sdwa v26, v3, v52 dst_sel:DWORD dst_unused:UNUSED_PAD src0_sel:WORD_0 src1_sel:DWORD
	v_mov_b32_e32 v1, 0x7c010000
	s_mov_b32 s20, exec_lo
	v_cmpx_ne_u32_e32 0x7f, v26
	s_cbranch_execz .LBB272_1202
; %bb.1199:                             ;   in Loop: Header=BB272_1056 Depth=1
	v_and_b32_sdwa v1, v3, v53 dst_sel:DWORD dst_unused:UNUSED_PAD src0_sel:WORD_0 src1_sel:DWORD
	v_lshrrev_b32_e32 v2, 3, v26
	s_mov_b32 s21, exec_lo
	v_cmpx_gt_u32_e32 8, v26
; %bb.1200:                             ;   in Loop: Header=BB272_1056 Depth=1
	v_ffbh_u32_e32 v1, v1
	v_min_u32_e32 v26, 32, v1
	v_subrev_nc_u32_e32 v1, 28, v26
	v_lshlrev_b64 v[1:2], v1, v[3:4]
	v_sub_nc_u32_e32 v2, 29, v26
	v_and_b32_e32 v1, 7, v1
; %bb.1201:                             ;   in Loop: Header=BB272_1056 Depth=1
	s_or_b32 exec_lo, exec_lo, s21
	v_lshlrev_b32_sdwa v3, v54, v3 dst_sel:DWORD dst_unused:UNUSED_PAD src0_sel:DWORD src1_sel:WORD_0
	v_lshl_add_u32 v2, v2, 10, 0x2000
	v_lshlrev_b32_e32 v1, 23, v1
	v_and_or_b32 v2, 0x8000, v3, v2
	v_lshl_or_b32 v1, v2, 16, v1
.LBB272_1202:                           ;   in Loop: Header=BB272_1056 Depth=1
	s_or_b32 exec_lo, exec_lo, s20
.LBB272_1203:                           ;   in Loop: Header=BB272_1056 Depth=1
	s_or_b32 exec_lo, exec_lo, s19
.LBB272_1204:                           ;   in Loop: Header=BB272_1056 Depth=1
	s_or_b32 exec_lo, exec_lo, s18
	v_lshrrev_b32_e32 v2, 16, v11
	v_mov_b32_e32 v26, 0
	v_mov_b32_e32 v27, 0
	v_cmp_ne_u16_sdwa s5, v2, v4 src0_sel:BYTE_0 src1_sel:DWORD
	s_and_saveexec_b32 s18, s5
	s_cbranch_execz .LBB272_1212
; %bb.1205:                             ;   in Loop: Header=BB272_1056 Depth=1
	v_cmp_ne_u16_sdwa s5, v2, v34 src0_sel:BYTE_0 src1_sel:DWORD
	v_mov_b32_e32 v27, 0x8000
	s_and_saveexec_b32 s19, s5
	s_cbranch_execz .LBB272_1211
; %bb.1206:                             ;   in Loop: Header=BB272_1056 Depth=1
	v_bfe_u32 v28, v11, 16, 7
	v_mov_b32_e32 v27, 0x7c01
	s_mov_b32 s20, exec_lo
	v_cmpx_ne_u32_e32 0x7f, v28
	s_cbranch_execz .LBB272_1210
; %bb.1207:                             ;   in Loop: Header=BB272_1056 Depth=1
	v_and_b32_e32 v3, 7, v2
	v_lshrrev_b32_e32 v27, 3, v28
	s_mov_b32 s21, exec_lo
	v_cmpx_gt_u32_e32 8, v28
; %bb.1208:                             ;   in Loop: Header=BB272_1056 Depth=1
	v_ffbh_u32_e32 v3, v3
	v_min_u32_e32 v3, 32, v3
	v_subrev_nc_u32_e32 v27, 28, v3
	v_lshlrev_b64 v[30:31], v27, v[2:3]
	v_sub_nc_u32_e32 v27, 29, v3
	v_and_b32_e32 v3, 7, v30
; %bb.1209:                             ;   in Loop: Header=BB272_1056 Depth=1
	s_or_b32 exec_lo, exec_lo, s21
	v_lshlrev_b32_e32 v2, 8, v2
	v_lshl_add_u32 v27, v27, 10, 0x2000
	v_lshlrev_b32_e32 v3, 7, v3
	v_and_b32_e32 v2, 0x8000, v2
	v_and_b32_e32 v27, 0xfc00, v27
	v_or3_b32 v27, v2, v27, v3
.LBB272_1210:                           ;   in Loop: Header=BB272_1056 Depth=1
	s_or_b32 exec_lo, exec_lo, s20
.LBB272_1211:                           ;   in Loop: Header=BB272_1056 Depth=1
	s_or_b32 exec_lo, exec_lo, s19
.LBB272_1212:                           ;   in Loop: Header=BB272_1056 Depth=1
	s_or_b32 exec_lo, exec_lo, s18
	s_mov_b32 s18, exec_lo
	v_cmpx_lt_u32_e32 0xffffff, v11
	s_cbranch_execz .LBB272_1220
; %bb.1213:                             ;   in Loop: Header=BB272_1056 Depth=1
	v_lshrrev_b32_e32 v3, 24, v11
	v_bfrev_b32_e32 v26, 1
	s_mov_b32 s19, exec_lo
	v_cmpx_ne_u32_e32 0x80, v3
	s_cbranch_execz .LBB272_1219
; %bb.1214:                             ;   in Loop: Header=BB272_1056 Depth=1
	v_and_b32_e32 v28, 0x7f, v3
	v_mov_b32_e32 v26, 0x7c010000
	s_mov_b32 s20, exec_lo
	v_cmpx_ne_u32_e32 0x7f, v28
	s_cbranch_execz .LBB272_1218
; %bb.1215:                             ;   in Loop: Header=BB272_1056 Depth=1
	v_and_b32_e32 v2, 7, v3
	v_lshrrev_b32_e32 v26, 3, v28
	s_mov_b32 s21, exec_lo
	v_cmpx_gt_u32_e32 8, v28
; %bb.1216:                             ;   in Loop: Header=BB272_1056 Depth=1
	v_ffbh_u32_e32 v2, v2
	v_min_u32_e32 v2, 32, v2
	v_subrev_nc_u32_e32 v26, 28, v2
	v_lshlrev_b64 v[30:31], v26, v[3:4]
	v_sub_nc_u32_e32 v26, 29, v2
	v_and_b32_e32 v2, 7, v30
; %bb.1217:                             ;   in Loop: Header=BB272_1056 Depth=1
	s_or_b32 exec_lo, exec_lo, s21
	v_lshlrev_b32_e32 v3, 8, v3
	v_lshl_add_u32 v26, v26, 10, 0x2000
	v_lshlrev_b32_e32 v2, 23, v2
	v_and_or_b32 v3, 0x8000, v3, v26
	v_lshl_or_b32 v26, v3, 16, v2
.LBB272_1218:                           ;   in Loop: Header=BB272_1056 Depth=1
	s_or_b32 exec_lo, exec_lo, s20
.LBB272_1219:                           ;   in Loop: Header=BB272_1056 Depth=1
	s_or_b32 exec_lo, exec_lo, s19
.LBB272_1220:                           ;   in Loop: Header=BB272_1056 Depth=1
	s_or_b32 exec_lo, exec_lo, s18
	v_mov_b32_e32 v3, v12
	v_cmp_ne_u16_sdwa s5, v12, v4 src0_sel:BYTE_0 src1_sel:DWORD
	v_mov_b32_e32 v28, 0
	v_mov_b32_e32 v30, 0
	s_and_saveexec_b32 s18, s5
	s_cbranch_execz .LBB272_1228
; %bb.1221:                             ;   in Loop: Header=BB272_1056 Depth=1
	v_cmp_ne_u16_sdwa s5, v12, v34 src0_sel:BYTE_0 src1_sel:DWORD
	v_mov_b32_e32 v30, 0x8000
	s_and_saveexec_b32 s19, s5
	s_cbranch_execz .LBB272_1227
; %bb.1222:                             ;   in Loop: Header=BB272_1056 Depth=1
	v_and_b32_e32 v31, 0x7f, v12
	v_mov_b32_e32 v30, 0x7c01
	s_mov_b32 s20, exec_lo
	v_cmpx_ne_u32_e32 0x7f, v31
	s_cbranch_execz .LBB272_1226
; %bb.1223:                             ;   in Loop: Header=BB272_1056 Depth=1
	v_and_b32_e32 v2, 7, v12
	v_lshrrev_b32_e32 v30, 3, v31
	s_mov_b32 s21, exec_lo
	v_cmpx_gt_u32_e32 8, v31
; %bb.1224:                             ;   in Loop: Header=BB272_1056 Depth=1
	v_ffbh_u32_e32 v2, v2
	v_min_u32_e32 v2, 32, v2
	v_subrev_nc_u32_e32 v30, 28, v2
	v_lshlrev_b64 v[96:97], v30, v[3:4]
	v_sub_nc_u32_e32 v30, 29, v2
	v_and_b32_e32 v2, 7, v96
; %bb.1225:                             ;   in Loop: Header=BB272_1056 Depth=1
	s_or_b32 exec_lo, exec_lo, s21
	v_lshlrev_b32_e32 v31, 8, v12
	v_lshl_add_u32 v30, v30, 10, 0x2000
	v_lshlrev_b32_e32 v2, 7, v2
	v_and_b32_e32 v31, 0x8000, v31
	v_and_b32_e32 v30, 0xfc00, v30
	v_or3_b32 v30, v31, v30, v2
.LBB272_1226:                           ;   in Loop: Header=BB272_1056 Depth=1
	s_or_b32 exec_lo, exec_lo, s20
.LBB272_1227:                           ;   in Loop: Header=BB272_1056 Depth=1
	s_or_b32 exec_lo, exec_lo, s19
.LBB272_1228:                           ;   in Loop: Header=BB272_1056 Depth=1
	s_or_b32 exec_lo, exec_lo, s18
	v_lshrrev_b16 v3, 8, v3
	v_mov_b32_e32 v31, 0
	s_mov_b32 s18, exec_lo
	v_cmpx_ne_u16_e32 0, v3
	s_cbranch_execz .LBB272_1236
; %bb.1229:                             ;   in Loop: Header=BB272_1056 Depth=1
	v_bfrev_b32_e32 v31, 1
	s_mov_b32 s19, exec_lo
	v_cmpx_ne_u16_e32 0x80, v3
	s_cbranch_execz .LBB272_1235
; %bb.1230:                             ;   in Loop: Header=BB272_1056 Depth=1
	v_and_b32_sdwa v87, v3, v52 dst_sel:DWORD dst_unused:UNUSED_PAD src0_sel:WORD_0 src1_sel:DWORD
	v_mov_b32_e32 v31, 0x7c010000
	s_mov_b32 s20, exec_lo
	v_cmpx_ne_u32_e32 0x7f, v87
	s_cbranch_execz .LBB272_1234
; %bb.1231:                             ;   in Loop: Header=BB272_1056 Depth=1
	v_and_b32_sdwa v2, v3, v53 dst_sel:DWORD dst_unused:UNUSED_PAD src0_sel:WORD_0 src1_sel:DWORD
	v_lshrrev_b32_e32 v31, 3, v87
	s_mov_b32 s21, exec_lo
	v_cmpx_gt_u32_e32 8, v87
; %bb.1232:                             ;   in Loop: Header=BB272_1056 Depth=1
	v_ffbh_u32_e32 v2, v2
	v_min_u32_e32 v2, 32, v2
	v_subrev_nc_u32_e32 v31, 28, v2
	v_lshlrev_b64 v[96:97], v31, v[3:4]
	v_sub_nc_u32_e32 v31, 29, v2
	v_and_b32_e32 v2, 7, v96
; %bb.1233:                             ;   in Loop: Header=BB272_1056 Depth=1
	s_or_b32 exec_lo, exec_lo, s21
	v_lshlrev_b32_sdwa v3, v54, v3 dst_sel:DWORD dst_unused:UNUSED_PAD src0_sel:DWORD src1_sel:WORD_0
	v_lshl_add_u32 v31, v31, 10, 0x2000
	v_lshlrev_b32_e32 v2, 23, v2
	v_and_or_b32 v3, 0x8000, v3, v31
	v_lshl_or_b32 v31, v3, 16, v2
.LBB272_1234:                           ;   in Loop: Header=BB272_1056 Depth=1
	s_or_b32 exec_lo, exec_lo, s20
.LBB272_1235:                           ;   in Loop: Header=BB272_1056 Depth=1
	s_or_b32 exec_lo, exec_lo, s19
.LBB272_1236:                           ;   in Loop: Header=BB272_1056 Depth=1
	s_or_b32 exec_lo, exec_lo, s18
	v_lshrrev_b32_e32 v2, 16, v12
	v_cmp_ne_u16_sdwa s5, v2, v4 src0_sel:BYTE_0 src1_sel:DWORD
	s_and_saveexec_b32 s18, s5
	s_cbranch_execz .LBB272_1244
; %bb.1237:                             ;   in Loop: Header=BB272_1056 Depth=1
	v_cmp_ne_u16_sdwa s5, v2, v34 src0_sel:BYTE_0 src1_sel:DWORD
	v_mov_b32_e32 v28, 0x8000
	s_and_saveexec_b32 s19, s5
	s_cbranch_execz .LBB272_1243
; %bb.1238:                             ;   in Loop: Header=BB272_1056 Depth=1
	v_bfe_u32 v87, v12, 16, 7
	v_mov_b32_e32 v28, 0x7c01
	s_mov_b32 s20, exec_lo
	v_cmpx_ne_u32_e32 0x7f, v87
	s_cbranch_execz .LBB272_1242
; %bb.1239:                             ;   in Loop: Header=BB272_1056 Depth=1
	v_and_b32_e32 v3, 7, v2
	v_lshrrev_b32_e32 v28, 3, v87
	s_mov_b32 s21, exec_lo
	v_cmpx_gt_u32_e32 8, v87
; %bb.1240:                             ;   in Loop: Header=BB272_1056 Depth=1
	v_ffbh_u32_e32 v3, v3
	v_min_u32_e32 v3, 32, v3
	v_subrev_nc_u32_e32 v28, 28, v3
	v_lshlrev_b64 v[96:97], v28, v[2:3]
	v_sub_nc_u32_e32 v28, 29, v3
	v_and_b32_e32 v3, 7, v96
; %bb.1241:                             ;   in Loop: Header=BB272_1056 Depth=1
	s_or_b32 exec_lo, exec_lo, s21
	v_lshlrev_b32_e32 v2, 8, v2
	v_lshl_add_u32 v28, v28, 10, 0x2000
	v_lshlrev_b32_e32 v3, 7, v3
	v_and_b32_e32 v2, 0x8000, v2
	v_and_b32_e32 v28, 0xfc00, v28
	v_or3_b32 v28, v2, v28, v3
.LBB272_1242:                           ;   in Loop: Header=BB272_1056 Depth=1
	s_or_b32 exec_lo, exec_lo, s20
.LBB272_1243:                           ;   in Loop: Header=BB272_1056 Depth=1
	s_or_b32 exec_lo, exec_lo, s19
.LBB272_1244:                           ;   in Loop: Header=BB272_1056 Depth=1
	s_or_b32 exec_lo, exec_lo, s18
	v_mov_b32_e32 v2, 0
	s_mov_b32 s18, exec_lo
	v_cmpx_lt_u64_e64 s[6:7], v[11:12]
	s_cbranch_execz .LBB272_1252
; %bb.1245:                             ;   in Loop: Header=BB272_1056 Depth=1
	v_lshrrev_b32_e32 v3, 24, v12
	v_bfrev_b32_e32 v2, 1
	s_mov_b32 s19, exec_lo
	v_cmpx_ne_u32_e32 0x80, v3
	s_cbranch_execz .LBB272_1251
; %bb.1246:                             ;   in Loop: Header=BB272_1056 Depth=1
	v_and_b32_e32 v12, 0x7f, v3
	v_mov_b32_e32 v2, 0x7c010000
	s_mov_b32 s20, exec_lo
	v_cmpx_ne_u32_e32 0x7f, v12
	s_cbranch_execz .LBB272_1250
; %bb.1247:                             ;   in Loop: Header=BB272_1056 Depth=1
	v_and_b32_e32 v2, 7, v3
	v_lshrrev_b32_e32 v11, 3, v12
	s_mov_b32 s21, exec_lo
	v_cmpx_gt_u32_e32 8, v12
; %bb.1248:                             ;   in Loop: Header=BB272_1056 Depth=1
	v_ffbh_u32_e32 v2, v2
	v_min_u32_e32 v2, 32, v2
	v_subrev_nc_u32_e32 v11, 28, v2
	v_lshlrev_b64 v[96:97], v11, v[3:4]
	v_sub_nc_u32_e32 v11, 29, v2
	v_and_b32_e32 v2, 7, v96
; %bb.1249:                             ;   in Loop: Header=BB272_1056 Depth=1
	s_or_b32 exec_lo, exec_lo, s21
	v_lshlrev_b32_e32 v3, 8, v3
	v_lshl_add_u32 v11, v11, 10, 0x2000
	v_lshlrev_b32_e32 v2, 23, v2
	v_and_or_b32 v3, 0x8000, v3, v11
	v_lshl_or_b32 v2, v3, 16, v2
.LBB272_1250:                           ;   in Loop: Header=BB272_1056 Depth=1
	s_or_b32 exec_lo, exec_lo, s20
.LBB272_1251:                           ;   in Loop: Header=BB272_1056 Depth=1
	s_or_b32 exec_lo, exec_lo, s19
.LBB272_1252:                           ;   in Loop: Header=BB272_1056 Depth=1
	s_or_b32 exec_lo, exec_lo, s18
	v_or_b32_e32 v3, v26, v27
	s_waitcnt vmcnt(0) lgkmcnt(0)
	v_fma_mixlo_f16 v11, v0, v26, 0 op_sel:[0,1,0] op_sel_hi:[0,1,0]
	v_or_b32_e32 v18, v1, v18
	v_or_b32_e32 v26, v31, v30
	;; [unrolled: 1-line block ×3, first 2 shown]
	v_fma_mixlo_f16 v12, v0, v1, 0 op_sel:[0,1,0] op_sel_hi:[0,1,0]
	v_fma_mixlo_f16 v3, v0, v3, 0 op_sel_hi:[0,1,0]
	v_lshlrev_b32_e32 v1, 16, v11
	v_fma_mixlo_f16 v11, v0, v18, 0 op_sel_hi:[0,1,0]
	v_fma_mixlo_f16 v18, v0, v31, 0 op_sel:[0,1,0] op_sel_hi:[0,1,0]
	v_fma_mixlo_f16 v26, v0, v26, 0 op_sel_hi:[0,1,0]
	v_fma_mixlo_f16 v28, v0, v2, 0 op_sel:[0,1,0] op_sel_hi:[0,1,0]
	v_fma_mixlo_f16 v27, v0, v27, 0 op_sel_hi:[0,1,0]
	v_lshlrev_b32_e32 v12, 16, v12
	v_and_b32_e32 v3, 0xffff, v3
	v_and_b32_e32 v31, 0xffff, v11
	v_lshlrev_b32_e32 v2, 16, v18
	v_and_b32_e32 v26, 0xffff, v26
	v_lshlrev_b32_e32 v0, 16, v28
	v_and_b32_e32 v11, 0xffff, v27
	v_or_b32_e32 v18, v1, v3
	v_or_b32_e32 v30, v12, v31
	;; [unrolled: 1-line block ×4, first 2 shown]
	s_and_saveexec_b32 s18, vcc_lo
	s_cbranch_execz .LBB272_1254
; %bb.1253:                             ;   in Loop: Header=BB272_1056 Depth=1
	v_cmp_lt_i32_e64 s5, v64, v29
	v_cndmask_b32_e64 v18, 0, v31, s5
	v_cmp_lt_i32_e64 s5, v84, v29
	v_cndmask_b32_e64 v12, 0, v12, s5
	v_cmp_lt_i32_e64 s5, v83, v29
	v_or_b32_e32 v30, v18, v12
	v_cndmask_b32_e64 v3, 0, v3, s5
	v_cmp_lt_i32_e64 s5, v82, v29
	v_cndmask_b32_e64 v1, 0, v1, s5
	v_cmp_lt_i32_e64 s5, v81, v29
	v_or_b32_e32 v18, v3, v1
	;; [unrolled: 5-line block ×3, first 2 shown]
	v_cndmask_b32_e64 v11, 0, v11, s5
	v_cmp_lt_i32_e64 s5, v19, v29
	v_cndmask_b32_e64 v0, 0, v0, s5
	v_or_b32_e32 v27, v11, v0
.LBB272_1254:                           ;   in Loop: Header=BB272_1056 Depth=1
	s_or_b32 exec_lo, exec_lo, s18
	;;#ASMSTART
	v_pk_mul_f16 v0, v69, v30;

	;;#ASMEND
	;;#ASMSTART
	v_pk_mul_f16 v1, v67, v18;

	;;#ASMEND
	;; [unrolled: 4-line block ×4, first 2 shown]
	;;#ASMSTART
	v_pk_add_f16 v0, v0, v1;

	;;#ASMEND
	;;#ASMSTART
	v_pk_add_f16 v0, v0, v2;

	;;#ASMEND
	;; [unrolled: 4-line block ×3, first 2 shown]
	v_and_b32_e32 v1, 0xffff, v0
	v_lshrrev_b32_e32 v0, 16, v0
	;;#ASMSTART
	v_cvt_f32_f16 v87, v1;
	;;#ASMEND
	;;#ASMSTART
	v_cvt_f32_f16 v96, v0;
	;;#ASMEND
	flat_load_dwordx2 v[11:12], v[9:10] offset:768
	flat_load_dword v0, v[22:23]
	v_mov_b32_e32 v1, 0
	v_mov_b32_e32 v18, 0
	s_waitcnt vmcnt(1) lgkmcnt(1)
	v_cmp_ne_u16_sdwa s5, v11, v4 src0_sel:BYTE_0 src1_sel:DWORD
	s_and_saveexec_b32 s18, s5
	s_cbranch_execz .LBB272_1262
; %bb.1255:                             ;   in Loop: Header=BB272_1056 Depth=1
	v_cmp_ne_u16_sdwa s5, v11, v34 src0_sel:BYTE_0 src1_sel:DWORD
	v_mov_b32_e32 v18, 0x8000
	s_and_saveexec_b32 s19, s5
	s_cbranch_execz .LBB272_1261
; %bb.1256:                             ;   in Loop: Header=BB272_1056 Depth=1
	v_and_b32_e32 v26, 0x7f, v11
	v_mov_b32_e32 v18, 0x7c01
	s_mov_b32 s20, exec_lo
	v_cmpx_ne_u32_e32 0x7f, v26
	s_cbranch_execz .LBB272_1260
; %bb.1257:                             ;   in Loop: Header=BB272_1056 Depth=1
	v_and_b32_e32 v2, 7, v11
	v_lshrrev_b32_e32 v3, 3, v26
	s_mov_b32 s21, exec_lo
	v_cmpx_gt_u32_e32 8, v26
; %bb.1258:                             ;   in Loop: Header=BB272_1056 Depth=1
	v_ffbh_u32_e32 v2, v2
	v_min_u32_e32 v18, 32, v2
	v_subrev_nc_u32_e32 v2, 28, v18
	v_lshlrev_b64 v[2:3], v2, v[11:12]
	v_sub_nc_u32_e32 v3, 29, v18
	v_and_b32_e32 v2, 7, v2
; %bb.1259:                             ;   in Loop: Header=BB272_1056 Depth=1
	s_or_b32 exec_lo, exec_lo, s21
	v_lshlrev_b32_e32 v18, 8, v11
	v_lshl_add_u32 v3, v3, 10, 0x2000
	v_lshlrev_b32_e32 v2, 7, v2
	v_and_b32_e32 v18, 0x8000, v18
	v_and_b32_e32 v3, 0xfc00, v3
	v_or3_b32 v18, v18, v3, v2
.LBB272_1260:                           ;   in Loop: Header=BB272_1056 Depth=1
	s_or_b32 exec_lo, exec_lo, s20
.LBB272_1261:                           ;   in Loop: Header=BB272_1056 Depth=1
	s_or_b32 exec_lo, exec_lo, s19
.LBB272_1262:                           ;   in Loop: Header=BB272_1056 Depth=1
	s_or_b32 exec_lo, exec_lo, s18
	v_lshrrev_b16 v3, 8, v11
	s_mov_b32 s18, exec_lo
	v_cmpx_ne_u16_e32 0, v3
	s_cbranch_execz .LBB272_1270
; %bb.1263:                             ;   in Loop: Header=BB272_1056 Depth=1
	v_bfrev_b32_e32 v1, 1
	s_mov_b32 s19, exec_lo
	v_cmpx_ne_u16_e32 0x80, v3
	s_cbranch_execz .LBB272_1269
; %bb.1264:                             ;   in Loop: Header=BB272_1056 Depth=1
	v_and_b32_sdwa v26, v3, v52 dst_sel:DWORD dst_unused:UNUSED_PAD src0_sel:WORD_0 src1_sel:DWORD
	v_mov_b32_e32 v1, 0x7c010000
	s_mov_b32 s20, exec_lo
	v_cmpx_ne_u32_e32 0x7f, v26
	s_cbranch_execz .LBB272_1268
; %bb.1265:                             ;   in Loop: Header=BB272_1056 Depth=1
	v_and_b32_sdwa v1, v3, v53 dst_sel:DWORD dst_unused:UNUSED_PAD src0_sel:WORD_0 src1_sel:DWORD
	v_lshrrev_b32_e32 v2, 3, v26
	s_mov_b32 s21, exec_lo
	v_cmpx_gt_u32_e32 8, v26
; %bb.1266:                             ;   in Loop: Header=BB272_1056 Depth=1
	v_ffbh_u32_e32 v1, v1
	v_min_u32_e32 v26, 32, v1
	v_subrev_nc_u32_e32 v1, 28, v26
	v_lshlrev_b64 v[1:2], v1, v[3:4]
	v_sub_nc_u32_e32 v2, 29, v26
	v_and_b32_e32 v1, 7, v1
; %bb.1267:                             ;   in Loop: Header=BB272_1056 Depth=1
	s_or_b32 exec_lo, exec_lo, s21
	v_lshlrev_b32_sdwa v3, v54, v3 dst_sel:DWORD dst_unused:UNUSED_PAD src0_sel:DWORD src1_sel:WORD_0
	v_lshl_add_u32 v2, v2, 10, 0x2000
	v_lshlrev_b32_e32 v1, 23, v1
	v_and_or_b32 v2, 0x8000, v3, v2
	v_lshl_or_b32 v1, v2, 16, v1
.LBB272_1268:                           ;   in Loop: Header=BB272_1056 Depth=1
	s_or_b32 exec_lo, exec_lo, s20
.LBB272_1269:                           ;   in Loop: Header=BB272_1056 Depth=1
	s_or_b32 exec_lo, exec_lo, s19
.LBB272_1270:                           ;   in Loop: Header=BB272_1056 Depth=1
	s_or_b32 exec_lo, exec_lo, s18
	v_lshrrev_b32_e32 v2, 16, v11
	v_mov_b32_e32 v26, 0
	v_mov_b32_e32 v27, 0
	v_cmp_ne_u16_sdwa s5, v2, v4 src0_sel:BYTE_0 src1_sel:DWORD
	s_and_saveexec_b32 s18, s5
	s_cbranch_execz .LBB272_1278
; %bb.1271:                             ;   in Loop: Header=BB272_1056 Depth=1
	v_cmp_ne_u16_sdwa s5, v2, v34 src0_sel:BYTE_0 src1_sel:DWORD
	v_mov_b32_e32 v27, 0x8000
	s_and_saveexec_b32 s19, s5
	s_cbranch_execz .LBB272_1277
; %bb.1272:                             ;   in Loop: Header=BB272_1056 Depth=1
	v_bfe_u32 v28, v11, 16, 7
	v_mov_b32_e32 v27, 0x7c01
	s_mov_b32 s20, exec_lo
	v_cmpx_ne_u32_e32 0x7f, v28
	s_cbranch_execz .LBB272_1276
; %bb.1273:                             ;   in Loop: Header=BB272_1056 Depth=1
	v_and_b32_e32 v3, 7, v2
	v_lshrrev_b32_e32 v27, 3, v28
	s_mov_b32 s21, exec_lo
	v_cmpx_gt_u32_e32 8, v28
; %bb.1274:                             ;   in Loop: Header=BB272_1056 Depth=1
	v_ffbh_u32_e32 v3, v3
	v_min_u32_e32 v3, 32, v3
	v_subrev_nc_u32_e32 v27, 28, v3
	v_lshlrev_b64 v[30:31], v27, v[2:3]
	v_sub_nc_u32_e32 v27, 29, v3
	v_and_b32_e32 v3, 7, v30
; %bb.1275:                             ;   in Loop: Header=BB272_1056 Depth=1
	s_or_b32 exec_lo, exec_lo, s21
	v_lshlrev_b32_e32 v2, 8, v2
	v_lshl_add_u32 v27, v27, 10, 0x2000
	v_lshlrev_b32_e32 v3, 7, v3
	v_and_b32_e32 v2, 0x8000, v2
	v_and_b32_e32 v27, 0xfc00, v27
	v_or3_b32 v27, v2, v27, v3
.LBB272_1276:                           ;   in Loop: Header=BB272_1056 Depth=1
	s_or_b32 exec_lo, exec_lo, s20
.LBB272_1277:                           ;   in Loop: Header=BB272_1056 Depth=1
	s_or_b32 exec_lo, exec_lo, s19
.LBB272_1278:                           ;   in Loop: Header=BB272_1056 Depth=1
	s_or_b32 exec_lo, exec_lo, s18
	s_mov_b32 s18, exec_lo
	v_cmpx_lt_u32_e32 0xffffff, v11
	s_cbranch_execz .LBB272_1286
; %bb.1279:                             ;   in Loop: Header=BB272_1056 Depth=1
	v_lshrrev_b32_e32 v3, 24, v11
	v_bfrev_b32_e32 v26, 1
	s_mov_b32 s19, exec_lo
	v_cmpx_ne_u32_e32 0x80, v3
	s_cbranch_execz .LBB272_1285
; %bb.1280:                             ;   in Loop: Header=BB272_1056 Depth=1
	v_and_b32_e32 v28, 0x7f, v3
	v_mov_b32_e32 v26, 0x7c010000
	s_mov_b32 s20, exec_lo
	v_cmpx_ne_u32_e32 0x7f, v28
	s_cbranch_execz .LBB272_1284
; %bb.1281:                             ;   in Loop: Header=BB272_1056 Depth=1
	v_and_b32_e32 v2, 7, v3
	v_lshrrev_b32_e32 v26, 3, v28
	s_mov_b32 s21, exec_lo
	v_cmpx_gt_u32_e32 8, v28
; %bb.1282:                             ;   in Loop: Header=BB272_1056 Depth=1
	v_ffbh_u32_e32 v2, v2
	v_min_u32_e32 v2, 32, v2
	v_subrev_nc_u32_e32 v26, 28, v2
	v_lshlrev_b64 v[30:31], v26, v[3:4]
	v_sub_nc_u32_e32 v26, 29, v2
	v_and_b32_e32 v2, 7, v30
; %bb.1283:                             ;   in Loop: Header=BB272_1056 Depth=1
	s_or_b32 exec_lo, exec_lo, s21
	v_lshlrev_b32_e32 v3, 8, v3
	v_lshl_add_u32 v26, v26, 10, 0x2000
	v_lshlrev_b32_e32 v2, 23, v2
	v_and_or_b32 v3, 0x8000, v3, v26
	v_lshl_or_b32 v26, v3, 16, v2
.LBB272_1284:                           ;   in Loop: Header=BB272_1056 Depth=1
	s_or_b32 exec_lo, exec_lo, s20
.LBB272_1285:                           ;   in Loop: Header=BB272_1056 Depth=1
	s_or_b32 exec_lo, exec_lo, s19
.LBB272_1286:                           ;   in Loop: Header=BB272_1056 Depth=1
	s_or_b32 exec_lo, exec_lo, s18
	v_mov_b32_e32 v3, v12
	v_cmp_ne_u16_sdwa s5, v12, v4 src0_sel:BYTE_0 src1_sel:DWORD
	v_mov_b32_e32 v28, 0
	v_mov_b32_e32 v30, 0
	s_and_saveexec_b32 s18, s5
	s_cbranch_execz .LBB272_1294
; %bb.1287:                             ;   in Loop: Header=BB272_1056 Depth=1
	v_cmp_ne_u16_sdwa s5, v12, v34 src0_sel:BYTE_0 src1_sel:DWORD
	v_mov_b32_e32 v30, 0x8000
	s_and_saveexec_b32 s19, s5
	s_cbranch_execz .LBB272_1293
; %bb.1288:                             ;   in Loop: Header=BB272_1056 Depth=1
	v_and_b32_e32 v31, 0x7f, v12
	v_mov_b32_e32 v30, 0x7c01
	s_mov_b32 s20, exec_lo
	v_cmpx_ne_u32_e32 0x7f, v31
	s_cbranch_execz .LBB272_1292
; %bb.1289:                             ;   in Loop: Header=BB272_1056 Depth=1
	v_and_b32_e32 v2, 7, v12
	v_lshrrev_b32_e32 v30, 3, v31
	s_mov_b32 s21, exec_lo
	v_cmpx_gt_u32_e32 8, v31
; %bb.1290:                             ;   in Loop: Header=BB272_1056 Depth=1
	v_ffbh_u32_e32 v2, v2
	v_min_u32_e32 v2, 32, v2
	v_subrev_nc_u32_e32 v30, 28, v2
	v_lshlrev_b64 v[97:98], v30, v[3:4]
	v_sub_nc_u32_e32 v30, 29, v2
	v_and_b32_e32 v2, 7, v97
; %bb.1291:                             ;   in Loop: Header=BB272_1056 Depth=1
	s_or_b32 exec_lo, exec_lo, s21
	v_lshlrev_b32_e32 v31, 8, v12
	v_lshl_add_u32 v30, v30, 10, 0x2000
	v_lshlrev_b32_e32 v2, 7, v2
	v_and_b32_e32 v31, 0x8000, v31
	v_and_b32_e32 v30, 0xfc00, v30
	v_or3_b32 v30, v31, v30, v2
.LBB272_1292:                           ;   in Loop: Header=BB272_1056 Depth=1
	s_or_b32 exec_lo, exec_lo, s20
.LBB272_1293:                           ;   in Loop: Header=BB272_1056 Depth=1
	s_or_b32 exec_lo, exec_lo, s19
.LBB272_1294:                           ;   in Loop: Header=BB272_1056 Depth=1
	s_or_b32 exec_lo, exec_lo, s18
	v_lshrrev_b16 v3, 8, v3
	v_mov_b32_e32 v31, 0
	s_mov_b32 s18, exec_lo
	v_cmpx_ne_u16_e32 0, v3
	s_cbranch_execz .LBB272_1302
; %bb.1295:                             ;   in Loop: Header=BB272_1056 Depth=1
	v_bfrev_b32_e32 v31, 1
	s_mov_b32 s19, exec_lo
	v_cmpx_ne_u16_e32 0x80, v3
	s_cbranch_execz .LBB272_1301
; %bb.1296:                             ;   in Loop: Header=BB272_1056 Depth=1
	v_and_b32_sdwa v97, v3, v52 dst_sel:DWORD dst_unused:UNUSED_PAD src0_sel:WORD_0 src1_sel:DWORD
	v_mov_b32_e32 v31, 0x7c010000
	s_mov_b32 s20, exec_lo
	v_cmpx_ne_u32_e32 0x7f, v97
	s_cbranch_execz .LBB272_1300
; %bb.1297:                             ;   in Loop: Header=BB272_1056 Depth=1
	v_and_b32_sdwa v2, v3, v53 dst_sel:DWORD dst_unused:UNUSED_PAD src0_sel:WORD_0 src1_sel:DWORD
	v_lshrrev_b32_e32 v31, 3, v97
	s_mov_b32 s21, exec_lo
	v_cmpx_gt_u32_e32 8, v97
; %bb.1298:                             ;   in Loop: Header=BB272_1056 Depth=1
	v_ffbh_u32_e32 v2, v2
	v_min_u32_e32 v2, 32, v2
	v_subrev_nc_u32_e32 v31, 28, v2
	v_lshlrev_b64 v[97:98], v31, v[3:4]
	v_sub_nc_u32_e32 v31, 29, v2
	v_and_b32_e32 v2, 7, v97
; %bb.1299:                             ;   in Loop: Header=BB272_1056 Depth=1
	s_or_b32 exec_lo, exec_lo, s21
	v_lshlrev_b32_sdwa v3, v54, v3 dst_sel:DWORD dst_unused:UNUSED_PAD src0_sel:DWORD src1_sel:WORD_0
	v_lshl_add_u32 v31, v31, 10, 0x2000
	v_lshlrev_b32_e32 v2, 23, v2
	v_and_or_b32 v3, 0x8000, v3, v31
	v_lshl_or_b32 v31, v3, 16, v2
.LBB272_1300:                           ;   in Loop: Header=BB272_1056 Depth=1
	s_or_b32 exec_lo, exec_lo, s20
.LBB272_1301:                           ;   in Loop: Header=BB272_1056 Depth=1
	s_or_b32 exec_lo, exec_lo, s19
.LBB272_1302:                           ;   in Loop: Header=BB272_1056 Depth=1
	s_or_b32 exec_lo, exec_lo, s18
	v_lshrrev_b32_e32 v2, 16, v12
	v_cmp_ne_u16_sdwa s5, v2, v4 src0_sel:BYTE_0 src1_sel:DWORD
	s_and_saveexec_b32 s18, s5
	s_cbranch_execz .LBB272_1310
; %bb.1303:                             ;   in Loop: Header=BB272_1056 Depth=1
	v_cmp_ne_u16_sdwa s5, v2, v34 src0_sel:BYTE_0 src1_sel:DWORD
	v_mov_b32_e32 v28, 0x8000
	s_and_saveexec_b32 s19, s5
	s_cbranch_execz .LBB272_1309
; %bb.1304:                             ;   in Loop: Header=BB272_1056 Depth=1
	v_bfe_u32 v97, v12, 16, 7
	v_mov_b32_e32 v28, 0x7c01
	s_mov_b32 s20, exec_lo
	v_cmpx_ne_u32_e32 0x7f, v97
	s_cbranch_execz .LBB272_1308
; %bb.1305:                             ;   in Loop: Header=BB272_1056 Depth=1
	v_and_b32_e32 v3, 7, v2
	v_lshrrev_b32_e32 v28, 3, v97
	s_mov_b32 s21, exec_lo
	v_cmpx_gt_u32_e32 8, v97
; %bb.1306:                             ;   in Loop: Header=BB272_1056 Depth=1
	v_ffbh_u32_e32 v3, v3
	v_min_u32_e32 v3, 32, v3
	v_subrev_nc_u32_e32 v28, 28, v3
	v_lshlrev_b64 v[97:98], v28, v[2:3]
	v_sub_nc_u32_e32 v28, 29, v3
	v_and_b32_e32 v3, 7, v97
; %bb.1307:                             ;   in Loop: Header=BB272_1056 Depth=1
	s_or_b32 exec_lo, exec_lo, s21
	v_lshlrev_b32_e32 v2, 8, v2
	v_lshl_add_u32 v28, v28, 10, 0x2000
	v_lshlrev_b32_e32 v3, 7, v3
	v_and_b32_e32 v2, 0x8000, v2
	v_and_b32_e32 v28, 0xfc00, v28
	v_or3_b32 v28, v2, v28, v3
.LBB272_1308:                           ;   in Loop: Header=BB272_1056 Depth=1
	s_or_b32 exec_lo, exec_lo, s20
.LBB272_1309:                           ;   in Loop: Header=BB272_1056 Depth=1
	s_or_b32 exec_lo, exec_lo, s19
.LBB272_1310:                           ;   in Loop: Header=BB272_1056 Depth=1
	s_or_b32 exec_lo, exec_lo, s18
	v_mov_b32_e32 v2, 0
	s_mov_b32 s18, exec_lo
	v_cmpx_lt_u64_e64 s[6:7], v[11:12]
	s_cbranch_execz .LBB272_1318
; %bb.1311:                             ;   in Loop: Header=BB272_1056 Depth=1
	v_lshrrev_b32_e32 v3, 24, v12
	v_bfrev_b32_e32 v2, 1
	s_mov_b32 s19, exec_lo
	v_cmpx_ne_u32_e32 0x80, v3
	s_cbranch_execz .LBB272_1317
; %bb.1312:                             ;   in Loop: Header=BB272_1056 Depth=1
	v_and_b32_e32 v12, 0x7f, v3
	v_mov_b32_e32 v2, 0x7c010000
	s_mov_b32 s20, exec_lo
	v_cmpx_ne_u32_e32 0x7f, v12
	s_cbranch_execz .LBB272_1316
; %bb.1313:                             ;   in Loop: Header=BB272_1056 Depth=1
	v_and_b32_e32 v2, 7, v3
	v_lshrrev_b32_e32 v11, 3, v12
	s_mov_b32 s21, exec_lo
	v_cmpx_gt_u32_e32 8, v12
; %bb.1314:                             ;   in Loop: Header=BB272_1056 Depth=1
	v_ffbh_u32_e32 v2, v2
	v_min_u32_e32 v2, 32, v2
	v_subrev_nc_u32_e32 v11, 28, v2
	v_lshlrev_b64 v[97:98], v11, v[3:4]
	v_sub_nc_u32_e32 v11, 29, v2
	v_and_b32_e32 v2, 7, v97
; %bb.1315:                             ;   in Loop: Header=BB272_1056 Depth=1
	s_or_b32 exec_lo, exec_lo, s21
	v_lshlrev_b32_e32 v3, 8, v3
	v_lshl_add_u32 v11, v11, 10, 0x2000
	v_lshlrev_b32_e32 v2, 23, v2
	v_and_or_b32 v3, 0x8000, v3, v11
	v_lshl_or_b32 v2, v3, 16, v2
.LBB272_1316:                           ;   in Loop: Header=BB272_1056 Depth=1
	s_or_b32 exec_lo, exec_lo, s20
.LBB272_1317:                           ;   in Loop: Header=BB272_1056 Depth=1
	s_or_b32 exec_lo, exec_lo, s19
.LBB272_1318:                           ;   in Loop: Header=BB272_1056 Depth=1
	s_or_b32 exec_lo, exec_lo, s18
	v_or_b32_e32 v3, v26, v27
	s_waitcnt vmcnt(0) lgkmcnt(0)
	v_fma_mixlo_f16 v11, v0, v26, 0 op_sel:[0,1,0] op_sel_hi:[0,1,0]
	v_or_b32_e32 v18, v1, v18
	v_or_b32_e32 v26, v31, v30
	;; [unrolled: 1-line block ×3, first 2 shown]
	v_fma_mixlo_f16 v12, v0, v1, 0 op_sel:[0,1,0] op_sel_hi:[0,1,0]
	v_fma_mixlo_f16 v3, v0, v3, 0 op_sel_hi:[0,1,0]
	v_lshlrev_b32_e32 v1, 16, v11
	v_fma_mixlo_f16 v11, v0, v18, 0 op_sel_hi:[0,1,0]
	v_fma_mixlo_f16 v18, v0, v31, 0 op_sel:[0,1,0] op_sel_hi:[0,1,0]
	v_fma_mixlo_f16 v26, v0, v26, 0 op_sel_hi:[0,1,0]
	v_fma_mixlo_f16 v28, v0, v2, 0 op_sel:[0,1,0] op_sel_hi:[0,1,0]
	v_fma_mixlo_f16 v27, v0, v27, 0 op_sel_hi:[0,1,0]
	v_lshlrev_b32_e32 v12, 16, v12
	v_and_b32_e32 v3, 0xffff, v3
	v_and_b32_e32 v31, 0xffff, v11
	v_lshlrev_b32_e32 v2, 16, v18
	v_and_b32_e32 v26, 0xffff, v26
	v_lshlrev_b32_e32 v0, 16, v28
	v_and_b32_e32 v11, 0xffff, v27
	v_or_b32_e32 v18, v1, v3
	v_or_b32_e32 v30, v12, v31
	;; [unrolled: 1-line block ×4, first 2 shown]
	s_and_saveexec_b32 s18, vcc_lo
	s_cbranch_execz .LBB272_1320
; %bb.1319:                             ;   in Loop: Header=BB272_1056 Depth=1
	v_cmp_lt_i32_e64 s5, v64, v29
	v_cndmask_b32_e64 v18, 0, v31, s5
	v_cmp_lt_i32_e64 s5, v84, v29
	v_cndmask_b32_e64 v12, 0, v12, s5
	v_cmp_lt_i32_e64 s5, v83, v29
	v_or_b32_e32 v30, v18, v12
	v_cndmask_b32_e64 v3, 0, v3, s5
	v_cmp_lt_i32_e64 s5, v82, v29
	v_cndmask_b32_e64 v1, 0, v1, s5
	v_cmp_lt_i32_e64 s5, v81, v29
	v_or_b32_e32 v18, v3, v1
	;; [unrolled: 5-line block ×3, first 2 shown]
	v_cndmask_b32_e64 v11, 0, v11, s5
	v_cmp_lt_i32_e64 s5, v19, v29
	v_cndmask_b32_e64 v0, 0, v0, s5
	v_or_b32_e32 v27, v11, v0
.LBB272_1320:                           ;   in Loop: Header=BB272_1056 Depth=1
	s_or_b32 exec_lo, exec_lo, s18
	;;#ASMSTART
	v_pk_mul_f16 v0, v69, v30;

	;;#ASMEND
	;;#ASMSTART
	v_pk_mul_f16 v1, v67, v18;

	;;#ASMEND
	;; [unrolled: 4-line block ×4, first 2 shown]
	;;#ASMSTART
	v_pk_add_f16 v0, v0, v1;

	;;#ASMEND
	;;#ASMSTART
	v_pk_add_f16 v0, v0, v2;

	;;#ASMEND
	;; [unrolled: 4-line block ×3, first 2 shown]
	v_and_b32_e32 v1, 0xffff, v0
	v_lshrrev_b32_e32 v0, 16, v0
	;;#ASMSTART
	v_cvt_f32_f16 v97, v1;
	;;#ASMEND
	;;#ASMSTART
	v_cvt_f32_f16 v98, v0;
	;;#ASMEND
	flat_load_dwordx2 v[11:12], v[9:10] offset:1024
	flat_load_dword v0, v[22:23]
	v_mov_b32_e32 v1, 0
	v_mov_b32_e32 v18, 0
	s_waitcnt vmcnt(1) lgkmcnt(1)
	v_cmp_ne_u16_sdwa s5, v11, v4 src0_sel:BYTE_0 src1_sel:DWORD
	s_and_saveexec_b32 s18, s5
	s_cbranch_execz .LBB272_1328
; %bb.1321:                             ;   in Loop: Header=BB272_1056 Depth=1
	v_cmp_ne_u16_sdwa s5, v11, v34 src0_sel:BYTE_0 src1_sel:DWORD
	v_mov_b32_e32 v18, 0x8000
	s_and_saveexec_b32 s19, s5
	s_cbranch_execz .LBB272_1327
; %bb.1322:                             ;   in Loop: Header=BB272_1056 Depth=1
	v_and_b32_e32 v26, 0x7f, v11
	v_mov_b32_e32 v18, 0x7c01
	s_mov_b32 s20, exec_lo
	v_cmpx_ne_u32_e32 0x7f, v26
	s_cbranch_execz .LBB272_1326
; %bb.1323:                             ;   in Loop: Header=BB272_1056 Depth=1
	v_and_b32_e32 v2, 7, v11
	v_lshrrev_b32_e32 v3, 3, v26
	s_mov_b32 s21, exec_lo
	v_cmpx_gt_u32_e32 8, v26
; %bb.1324:                             ;   in Loop: Header=BB272_1056 Depth=1
	v_ffbh_u32_e32 v2, v2
	v_min_u32_e32 v18, 32, v2
	v_subrev_nc_u32_e32 v2, 28, v18
	v_lshlrev_b64 v[2:3], v2, v[11:12]
	v_sub_nc_u32_e32 v3, 29, v18
	v_and_b32_e32 v2, 7, v2
; %bb.1325:                             ;   in Loop: Header=BB272_1056 Depth=1
	s_or_b32 exec_lo, exec_lo, s21
	v_lshlrev_b32_e32 v18, 8, v11
	v_lshl_add_u32 v3, v3, 10, 0x2000
	v_lshlrev_b32_e32 v2, 7, v2
	v_and_b32_e32 v18, 0x8000, v18
	v_and_b32_e32 v3, 0xfc00, v3
	v_or3_b32 v18, v18, v3, v2
.LBB272_1326:                           ;   in Loop: Header=BB272_1056 Depth=1
	s_or_b32 exec_lo, exec_lo, s20
.LBB272_1327:                           ;   in Loop: Header=BB272_1056 Depth=1
	s_or_b32 exec_lo, exec_lo, s19
.LBB272_1328:                           ;   in Loop: Header=BB272_1056 Depth=1
	s_or_b32 exec_lo, exec_lo, s18
	v_lshrrev_b16 v3, 8, v11
	s_mov_b32 s18, exec_lo
	v_cmpx_ne_u16_e32 0, v3
	s_cbranch_execz .LBB272_1336
; %bb.1329:                             ;   in Loop: Header=BB272_1056 Depth=1
	v_bfrev_b32_e32 v1, 1
	s_mov_b32 s19, exec_lo
	v_cmpx_ne_u16_e32 0x80, v3
	s_cbranch_execz .LBB272_1335
; %bb.1330:                             ;   in Loop: Header=BB272_1056 Depth=1
	v_and_b32_sdwa v26, v3, v52 dst_sel:DWORD dst_unused:UNUSED_PAD src0_sel:WORD_0 src1_sel:DWORD
	v_mov_b32_e32 v1, 0x7c010000
	s_mov_b32 s20, exec_lo
	v_cmpx_ne_u32_e32 0x7f, v26
	s_cbranch_execz .LBB272_1334
; %bb.1331:                             ;   in Loop: Header=BB272_1056 Depth=1
	v_and_b32_sdwa v1, v3, v53 dst_sel:DWORD dst_unused:UNUSED_PAD src0_sel:WORD_0 src1_sel:DWORD
	v_lshrrev_b32_e32 v2, 3, v26
	s_mov_b32 s21, exec_lo
	v_cmpx_gt_u32_e32 8, v26
; %bb.1332:                             ;   in Loop: Header=BB272_1056 Depth=1
	v_ffbh_u32_e32 v1, v1
	v_min_u32_e32 v26, 32, v1
	v_subrev_nc_u32_e32 v1, 28, v26
	v_lshlrev_b64 v[1:2], v1, v[3:4]
	v_sub_nc_u32_e32 v2, 29, v26
	v_and_b32_e32 v1, 7, v1
; %bb.1333:                             ;   in Loop: Header=BB272_1056 Depth=1
	s_or_b32 exec_lo, exec_lo, s21
	v_lshlrev_b32_sdwa v3, v54, v3 dst_sel:DWORD dst_unused:UNUSED_PAD src0_sel:DWORD src1_sel:WORD_0
	v_lshl_add_u32 v2, v2, 10, 0x2000
	v_lshlrev_b32_e32 v1, 23, v1
	v_and_or_b32 v2, 0x8000, v3, v2
	v_lshl_or_b32 v1, v2, 16, v1
.LBB272_1334:                           ;   in Loop: Header=BB272_1056 Depth=1
	s_or_b32 exec_lo, exec_lo, s20
.LBB272_1335:                           ;   in Loop: Header=BB272_1056 Depth=1
	s_or_b32 exec_lo, exec_lo, s19
.LBB272_1336:                           ;   in Loop: Header=BB272_1056 Depth=1
	s_or_b32 exec_lo, exec_lo, s18
	v_lshrrev_b32_e32 v2, 16, v11
	v_mov_b32_e32 v26, 0
	v_mov_b32_e32 v27, 0
	v_cmp_ne_u16_sdwa s5, v2, v4 src0_sel:BYTE_0 src1_sel:DWORD
	s_and_saveexec_b32 s18, s5
	s_cbranch_execz .LBB272_1344
; %bb.1337:                             ;   in Loop: Header=BB272_1056 Depth=1
	v_cmp_ne_u16_sdwa s5, v2, v34 src0_sel:BYTE_0 src1_sel:DWORD
	v_mov_b32_e32 v27, 0x8000
	s_and_saveexec_b32 s19, s5
	s_cbranch_execz .LBB272_1343
; %bb.1338:                             ;   in Loop: Header=BB272_1056 Depth=1
	v_bfe_u32 v28, v11, 16, 7
	v_mov_b32_e32 v27, 0x7c01
	s_mov_b32 s20, exec_lo
	v_cmpx_ne_u32_e32 0x7f, v28
	s_cbranch_execz .LBB272_1342
; %bb.1339:                             ;   in Loop: Header=BB272_1056 Depth=1
	v_and_b32_e32 v3, 7, v2
	v_lshrrev_b32_e32 v27, 3, v28
	s_mov_b32 s21, exec_lo
	v_cmpx_gt_u32_e32 8, v28
; %bb.1340:                             ;   in Loop: Header=BB272_1056 Depth=1
	v_ffbh_u32_e32 v3, v3
	v_min_u32_e32 v3, 32, v3
	v_subrev_nc_u32_e32 v27, 28, v3
	v_lshlrev_b64 v[30:31], v27, v[2:3]
	v_sub_nc_u32_e32 v27, 29, v3
	v_and_b32_e32 v3, 7, v30
; %bb.1341:                             ;   in Loop: Header=BB272_1056 Depth=1
	s_or_b32 exec_lo, exec_lo, s21
	v_lshlrev_b32_e32 v2, 8, v2
	v_lshl_add_u32 v27, v27, 10, 0x2000
	v_lshlrev_b32_e32 v3, 7, v3
	v_and_b32_e32 v2, 0x8000, v2
	v_and_b32_e32 v27, 0xfc00, v27
	v_or3_b32 v27, v2, v27, v3
.LBB272_1342:                           ;   in Loop: Header=BB272_1056 Depth=1
	s_or_b32 exec_lo, exec_lo, s20
.LBB272_1343:                           ;   in Loop: Header=BB272_1056 Depth=1
	s_or_b32 exec_lo, exec_lo, s19
.LBB272_1344:                           ;   in Loop: Header=BB272_1056 Depth=1
	s_or_b32 exec_lo, exec_lo, s18
	s_mov_b32 s18, exec_lo
	v_cmpx_lt_u32_e32 0xffffff, v11
	s_cbranch_execz .LBB272_1352
; %bb.1345:                             ;   in Loop: Header=BB272_1056 Depth=1
	v_lshrrev_b32_e32 v3, 24, v11
	v_bfrev_b32_e32 v26, 1
	s_mov_b32 s19, exec_lo
	v_cmpx_ne_u32_e32 0x80, v3
	s_cbranch_execz .LBB272_1351
; %bb.1346:                             ;   in Loop: Header=BB272_1056 Depth=1
	v_and_b32_e32 v28, 0x7f, v3
	v_mov_b32_e32 v26, 0x7c010000
	s_mov_b32 s20, exec_lo
	v_cmpx_ne_u32_e32 0x7f, v28
	s_cbranch_execz .LBB272_1350
; %bb.1347:                             ;   in Loop: Header=BB272_1056 Depth=1
	v_and_b32_e32 v2, 7, v3
	v_lshrrev_b32_e32 v26, 3, v28
	s_mov_b32 s21, exec_lo
	v_cmpx_gt_u32_e32 8, v28
; %bb.1348:                             ;   in Loop: Header=BB272_1056 Depth=1
	v_ffbh_u32_e32 v2, v2
	v_min_u32_e32 v2, 32, v2
	v_subrev_nc_u32_e32 v26, 28, v2
	v_lshlrev_b64 v[30:31], v26, v[3:4]
	v_sub_nc_u32_e32 v26, 29, v2
	v_and_b32_e32 v2, 7, v30
; %bb.1349:                             ;   in Loop: Header=BB272_1056 Depth=1
	s_or_b32 exec_lo, exec_lo, s21
	v_lshlrev_b32_e32 v3, 8, v3
	v_lshl_add_u32 v26, v26, 10, 0x2000
	v_lshlrev_b32_e32 v2, 23, v2
	v_and_or_b32 v3, 0x8000, v3, v26
	v_lshl_or_b32 v26, v3, 16, v2
.LBB272_1350:                           ;   in Loop: Header=BB272_1056 Depth=1
	s_or_b32 exec_lo, exec_lo, s20
.LBB272_1351:                           ;   in Loop: Header=BB272_1056 Depth=1
	s_or_b32 exec_lo, exec_lo, s19
.LBB272_1352:                           ;   in Loop: Header=BB272_1056 Depth=1
	s_or_b32 exec_lo, exec_lo, s18
	v_mov_b32_e32 v3, v12
	v_cmp_ne_u16_sdwa s5, v12, v4 src0_sel:BYTE_0 src1_sel:DWORD
	v_mov_b32_e32 v28, 0
	v_mov_b32_e32 v30, 0
	s_and_saveexec_b32 s18, s5
	s_cbranch_execz .LBB272_1360
; %bb.1353:                             ;   in Loop: Header=BB272_1056 Depth=1
	v_cmp_ne_u16_sdwa s5, v12, v34 src0_sel:BYTE_0 src1_sel:DWORD
	v_mov_b32_e32 v30, 0x8000
	s_and_saveexec_b32 s19, s5
	s_cbranch_execz .LBB272_1359
; %bb.1354:                             ;   in Loop: Header=BB272_1056 Depth=1
	v_and_b32_e32 v31, 0x7f, v12
	v_mov_b32_e32 v30, 0x7c01
	s_mov_b32 s20, exec_lo
	v_cmpx_ne_u32_e32 0x7f, v31
	s_cbranch_execz .LBB272_1358
; %bb.1355:                             ;   in Loop: Header=BB272_1056 Depth=1
	v_and_b32_e32 v2, 7, v12
	v_lshrrev_b32_e32 v30, 3, v31
	s_mov_b32 s21, exec_lo
	v_cmpx_gt_u32_e32 8, v31
; %bb.1356:                             ;   in Loop: Header=BB272_1056 Depth=1
	v_ffbh_u32_e32 v2, v2
	v_min_u32_e32 v2, 32, v2
	v_subrev_nc_u32_e32 v30, 28, v2
	v_lshlrev_b64 v[99:100], v30, v[3:4]
	v_sub_nc_u32_e32 v30, 29, v2
	v_and_b32_e32 v2, 7, v99
; %bb.1357:                             ;   in Loop: Header=BB272_1056 Depth=1
	s_or_b32 exec_lo, exec_lo, s21
	v_lshlrev_b32_e32 v31, 8, v12
	v_lshl_add_u32 v30, v30, 10, 0x2000
	v_lshlrev_b32_e32 v2, 7, v2
	v_and_b32_e32 v31, 0x8000, v31
	v_and_b32_e32 v30, 0xfc00, v30
	v_or3_b32 v30, v31, v30, v2
.LBB272_1358:                           ;   in Loop: Header=BB272_1056 Depth=1
	s_or_b32 exec_lo, exec_lo, s20
.LBB272_1359:                           ;   in Loop: Header=BB272_1056 Depth=1
	s_or_b32 exec_lo, exec_lo, s19
.LBB272_1360:                           ;   in Loop: Header=BB272_1056 Depth=1
	s_or_b32 exec_lo, exec_lo, s18
	v_lshrrev_b16 v3, 8, v3
	v_mov_b32_e32 v31, 0
	s_mov_b32 s18, exec_lo
	v_cmpx_ne_u16_e32 0, v3
	s_cbranch_execz .LBB272_1368
; %bb.1361:                             ;   in Loop: Header=BB272_1056 Depth=1
	v_bfrev_b32_e32 v31, 1
	s_mov_b32 s19, exec_lo
	v_cmpx_ne_u16_e32 0x80, v3
	s_cbranch_execz .LBB272_1367
; %bb.1362:                             ;   in Loop: Header=BB272_1056 Depth=1
	v_and_b32_sdwa v99, v3, v52 dst_sel:DWORD dst_unused:UNUSED_PAD src0_sel:WORD_0 src1_sel:DWORD
	v_mov_b32_e32 v31, 0x7c010000
	s_mov_b32 s20, exec_lo
	v_cmpx_ne_u32_e32 0x7f, v99
	s_cbranch_execz .LBB272_1366
; %bb.1363:                             ;   in Loop: Header=BB272_1056 Depth=1
	v_and_b32_sdwa v2, v3, v53 dst_sel:DWORD dst_unused:UNUSED_PAD src0_sel:WORD_0 src1_sel:DWORD
	v_lshrrev_b32_e32 v31, 3, v99
	s_mov_b32 s21, exec_lo
	v_cmpx_gt_u32_e32 8, v99
; %bb.1364:                             ;   in Loop: Header=BB272_1056 Depth=1
	v_ffbh_u32_e32 v2, v2
	v_min_u32_e32 v2, 32, v2
	v_subrev_nc_u32_e32 v31, 28, v2
	v_lshlrev_b64 v[99:100], v31, v[3:4]
	v_sub_nc_u32_e32 v31, 29, v2
	v_and_b32_e32 v2, 7, v99
; %bb.1365:                             ;   in Loop: Header=BB272_1056 Depth=1
	s_or_b32 exec_lo, exec_lo, s21
	v_lshlrev_b32_sdwa v3, v54, v3 dst_sel:DWORD dst_unused:UNUSED_PAD src0_sel:DWORD src1_sel:WORD_0
	v_lshl_add_u32 v31, v31, 10, 0x2000
	v_lshlrev_b32_e32 v2, 23, v2
	v_and_or_b32 v3, 0x8000, v3, v31
	v_lshl_or_b32 v31, v3, 16, v2
.LBB272_1366:                           ;   in Loop: Header=BB272_1056 Depth=1
	s_or_b32 exec_lo, exec_lo, s20
.LBB272_1367:                           ;   in Loop: Header=BB272_1056 Depth=1
	s_or_b32 exec_lo, exec_lo, s19
.LBB272_1368:                           ;   in Loop: Header=BB272_1056 Depth=1
	s_or_b32 exec_lo, exec_lo, s18
	v_lshrrev_b32_e32 v2, 16, v12
	v_cmp_ne_u16_sdwa s5, v2, v4 src0_sel:BYTE_0 src1_sel:DWORD
	s_and_saveexec_b32 s18, s5
	s_cbranch_execz .LBB272_1376
; %bb.1369:                             ;   in Loop: Header=BB272_1056 Depth=1
	v_cmp_ne_u16_sdwa s5, v2, v34 src0_sel:BYTE_0 src1_sel:DWORD
	v_mov_b32_e32 v28, 0x8000
	s_and_saveexec_b32 s19, s5
	s_cbranch_execz .LBB272_1375
; %bb.1370:                             ;   in Loop: Header=BB272_1056 Depth=1
	v_bfe_u32 v99, v12, 16, 7
	v_mov_b32_e32 v28, 0x7c01
	s_mov_b32 s20, exec_lo
	v_cmpx_ne_u32_e32 0x7f, v99
	s_cbranch_execz .LBB272_1374
; %bb.1371:                             ;   in Loop: Header=BB272_1056 Depth=1
	v_and_b32_e32 v3, 7, v2
	v_lshrrev_b32_e32 v28, 3, v99
	s_mov_b32 s21, exec_lo
	v_cmpx_gt_u32_e32 8, v99
; %bb.1372:                             ;   in Loop: Header=BB272_1056 Depth=1
	v_ffbh_u32_e32 v3, v3
	v_min_u32_e32 v3, 32, v3
	v_subrev_nc_u32_e32 v28, 28, v3
	v_lshlrev_b64 v[99:100], v28, v[2:3]
	v_sub_nc_u32_e32 v28, 29, v3
	v_and_b32_e32 v3, 7, v99
; %bb.1373:                             ;   in Loop: Header=BB272_1056 Depth=1
	s_or_b32 exec_lo, exec_lo, s21
	v_lshlrev_b32_e32 v2, 8, v2
	v_lshl_add_u32 v28, v28, 10, 0x2000
	v_lshlrev_b32_e32 v3, 7, v3
	v_and_b32_e32 v2, 0x8000, v2
	v_and_b32_e32 v28, 0xfc00, v28
	v_or3_b32 v28, v2, v28, v3
.LBB272_1374:                           ;   in Loop: Header=BB272_1056 Depth=1
	s_or_b32 exec_lo, exec_lo, s20
.LBB272_1375:                           ;   in Loop: Header=BB272_1056 Depth=1
	s_or_b32 exec_lo, exec_lo, s19
.LBB272_1376:                           ;   in Loop: Header=BB272_1056 Depth=1
	s_or_b32 exec_lo, exec_lo, s18
	v_mov_b32_e32 v2, 0
	s_mov_b32 s18, exec_lo
	v_cmpx_lt_u64_e64 s[6:7], v[11:12]
	s_cbranch_execz .LBB272_1384
; %bb.1377:                             ;   in Loop: Header=BB272_1056 Depth=1
	v_lshrrev_b32_e32 v3, 24, v12
	v_bfrev_b32_e32 v2, 1
	s_mov_b32 s19, exec_lo
	v_cmpx_ne_u32_e32 0x80, v3
	s_cbranch_execz .LBB272_1383
; %bb.1378:                             ;   in Loop: Header=BB272_1056 Depth=1
	v_and_b32_e32 v12, 0x7f, v3
	v_mov_b32_e32 v2, 0x7c010000
	s_mov_b32 s20, exec_lo
	v_cmpx_ne_u32_e32 0x7f, v12
	s_cbranch_execz .LBB272_1382
; %bb.1379:                             ;   in Loop: Header=BB272_1056 Depth=1
	v_and_b32_e32 v2, 7, v3
	v_lshrrev_b32_e32 v11, 3, v12
	s_mov_b32 s21, exec_lo
	v_cmpx_gt_u32_e32 8, v12
; %bb.1380:                             ;   in Loop: Header=BB272_1056 Depth=1
	v_ffbh_u32_e32 v2, v2
	v_min_u32_e32 v2, 32, v2
	v_subrev_nc_u32_e32 v11, 28, v2
	v_lshlrev_b64 v[99:100], v11, v[3:4]
	v_sub_nc_u32_e32 v11, 29, v2
	v_and_b32_e32 v2, 7, v99
; %bb.1381:                             ;   in Loop: Header=BB272_1056 Depth=1
	s_or_b32 exec_lo, exec_lo, s21
	v_lshlrev_b32_e32 v3, 8, v3
	v_lshl_add_u32 v11, v11, 10, 0x2000
	v_lshlrev_b32_e32 v2, 23, v2
	v_and_or_b32 v3, 0x8000, v3, v11
	v_lshl_or_b32 v2, v3, 16, v2
.LBB272_1382:                           ;   in Loop: Header=BB272_1056 Depth=1
	s_or_b32 exec_lo, exec_lo, s20
.LBB272_1383:                           ;   in Loop: Header=BB272_1056 Depth=1
	s_or_b32 exec_lo, exec_lo, s19
.LBB272_1384:                           ;   in Loop: Header=BB272_1056 Depth=1
	s_or_b32 exec_lo, exec_lo, s18
	v_or_b32_e32 v3, v26, v27
	s_waitcnt vmcnt(0) lgkmcnt(0)
	v_fma_mixlo_f16 v11, v0, v26, 0 op_sel:[0,1,0] op_sel_hi:[0,1,0]
	v_or_b32_e32 v18, v1, v18
	v_or_b32_e32 v26, v31, v30
	;; [unrolled: 1-line block ×3, first 2 shown]
	v_fma_mixlo_f16 v12, v0, v1, 0 op_sel:[0,1,0] op_sel_hi:[0,1,0]
	v_fma_mixlo_f16 v3, v0, v3, 0 op_sel_hi:[0,1,0]
	v_lshlrev_b32_e32 v1, 16, v11
	v_fma_mixlo_f16 v11, v0, v18, 0 op_sel_hi:[0,1,0]
	v_fma_mixlo_f16 v18, v0, v31, 0 op_sel:[0,1,0] op_sel_hi:[0,1,0]
	v_fma_mixlo_f16 v26, v0, v26, 0 op_sel_hi:[0,1,0]
	v_fma_mixlo_f16 v28, v0, v2, 0 op_sel:[0,1,0] op_sel_hi:[0,1,0]
	v_fma_mixlo_f16 v27, v0, v27, 0 op_sel_hi:[0,1,0]
	v_lshlrev_b32_e32 v12, 16, v12
	v_and_b32_e32 v3, 0xffff, v3
	v_and_b32_e32 v31, 0xffff, v11
	v_lshlrev_b32_e32 v2, 16, v18
	v_and_b32_e32 v26, 0xffff, v26
	v_lshlrev_b32_e32 v0, 16, v28
	v_and_b32_e32 v11, 0xffff, v27
	v_or_b32_e32 v18, v1, v3
	v_or_b32_e32 v30, v12, v31
	;; [unrolled: 1-line block ×4, first 2 shown]
	s_and_saveexec_b32 s18, vcc_lo
	s_cbranch_execz .LBB272_1386
; %bb.1385:                             ;   in Loop: Header=BB272_1056 Depth=1
	v_cmp_lt_i32_e64 s5, v64, v29
	v_cndmask_b32_e64 v18, 0, v31, s5
	v_cmp_lt_i32_e64 s5, v84, v29
	v_cndmask_b32_e64 v12, 0, v12, s5
	v_cmp_lt_i32_e64 s5, v83, v29
	v_or_b32_e32 v30, v18, v12
	v_cndmask_b32_e64 v3, 0, v3, s5
	v_cmp_lt_i32_e64 s5, v82, v29
	v_cndmask_b32_e64 v1, 0, v1, s5
	v_cmp_lt_i32_e64 s5, v81, v29
	v_or_b32_e32 v18, v3, v1
	;; [unrolled: 5-line block ×3, first 2 shown]
	v_cndmask_b32_e64 v11, 0, v11, s5
	v_cmp_lt_i32_e64 s5, v19, v29
	v_cndmask_b32_e64 v0, 0, v0, s5
	v_or_b32_e32 v27, v11, v0
.LBB272_1386:                           ;   in Loop: Header=BB272_1056 Depth=1
	s_or_b32 exec_lo, exec_lo, s18
	;;#ASMSTART
	v_pk_mul_f16 v0, v69, v30;

	;;#ASMEND
	;;#ASMSTART
	v_pk_mul_f16 v1, v67, v18;

	;;#ASMEND
	;; [unrolled: 4-line block ×4, first 2 shown]
	;;#ASMSTART
	v_pk_add_f16 v0, v0, v1;

	;;#ASMEND
	;;#ASMSTART
	v_pk_add_f16 v0, v0, v2;

	;;#ASMEND
	;; [unrolled: 4-line block ×3, first 2 shown]
	v_and_b32_e32 v1, 0xffff, v0
	v_lshrrev_b32_e32 v0, 16, v0
	;;#ASMSTART
	v_cvt_f32_f16 v99, v1;
	;;#ASMEND
	;;#ASMSTART
	v_cvt_f32_f16 v100, v0;
	;;#ASMEND
	flat_load_dwordx2 v[11:12], v[9:10] offset:1280
	flat_load_dword v0, v[22:23]
	v_mov_b32_e32 v1, 0
	v_mov_b32_e32 v18, 0
	s_waitcnt vmcnt(1) lgkmcnt(1)
	v_cmp_ne_u16_sdwa s5, v11, v4 src0_sel:BYTE_0 src1_sel:DWORD
	s_and_saveexec_b32 s18, s5
	s_cbranch_execz .LBB272_1394
; %bb.1387:                             ;   in Loop: Header=BB272_1056 Depth=1
	v_cmp_ne_u16_sdwa s5, v11, v34 src0_sel:BYTE_0 src1_sel:DWORD
	v_mov_b32_e32 v18, 0x8000
	s_and_saveexec_b32 s19, s5
	s_cbranch_execz .LBB272_1393
; %bb.1388:                             ;   in Loop: Header=BB272_1056 Depth=1
	v_and_b32_e32 v26, 0x7f, v11
	v_mov_b32_e32 v18, 0x7c01
	s_mov_b32 s20, exec_lo
	v_cmpx_ne_u32_e32 0x7f, v26
	s_cbranch_execz .LBB272_1392
; %bb.1389:                             ;   in Loop: Header=BB272_1056 Depth=1
	v_and_b32_e32 v2, 7, v11
	v_lshrrev_b32_e32 v3, 3, v26
	s_mov_b32 s21, exec_lo
	v_cmpx_gt_u32_e32 8, v26
; %bb.1390:                             ;   in Loop: Header=BB272_1056 Depth=1
	v_ffbh_u32_e32 v2, v2
	v_min_u32_e32 v18, 32, v2
	v_subrev_nc_u32_e32 v2, 28, v18
	v_lshlrev_b64 v[2:3], v2, v[11:12]
	v_sub_nc_u32_e32 v3, 29, v18
	v_and_b32_e32 v2, 7, v2
; %bb.1391:                             ;   in Loop: Header=BB272_1056 Depth=1
	s_or_b32 exec_lo, exec_lo, s21
	v_lshlrev_b32_e32 v18, 8, v11
	v_lshl_add_u32 v3, v3, 10, 0x2000
	v_lshlrev_b32_e32 v2, 7, v2
	v_and_b32_e32 v18, 0x8000, v18
	v_and_b32_e32 v3, 0xfc00, v3
	v_or3_b32 v18, v18, v3, v2
.LBB272_1392:                           ;   in Loop: Header=BB272_1056 Depth=1
	s_or_b32 exec_lo, exec_lo, s20
.LBB272_1393:                           ;   in Loop: Header=BB272_1056 Depth=1
	s_or_b32 exec_lo, exec_lo, s19
.LBB272_1394:                           ;   in Loop: Header=BB272_1056 Depth=1
	s_or_b32 exec_lo, exec_lo, s18
	v_lshrrev_b16 v3, 8, v11
	s_mov_b32 s18, exec_lo
	v_cmpx_ne_u16_e32 0, v3
	s_cbranch_execz .LBB272_1402
; %bb.1395:                             ;   in Loop: Header=BB272_1056 Depth=1
	v_bfrev_b32_e32 v1, 1
	s_mov_b32 s19, exec_lo
	v_cmpx_ne_u16_e32 0x80, v3
	s_cbranch_execz .LBB272_1401
; %bb.1396:                             ;   in Loop: Header=BB272_1056 Depth=1
	v_and_b32_sdwa v26, v3, v52 dst_sel:DWORD dst_unused:UNUSED_PAD src0_sel:WORD_0 src1_sel:DWORD
	v_mov_b32_e32 v1, 0x7c010000
	s_mov_b32 s20, exec_lo
	v_cmpx_ne_u32_e32 0x7f, v26
	s_cbranch_execz .LBB272_1400
; %bb.1397:                             ;   in Loop: Header=BB272_1056 Depth=1
	v_and_b32_sdwa v1, v3, v53 dst_sel:DWORD dst_unused:UNUSED_PAD src0_sel:WORD_0 src1_sel:DWORD
	v_lshrrev_b32_e32 v2, 3, v26
	s_mov_b32 s21, exec_lo
	v_cmpx_gt_u32_e32 8, v26
; %bb.1398:                             ;   in Loop: Header=BB272_1056 Depth=1
	v_ffbh_u32_e32 v1, v1
	v_min_u32_e32 v26, 32, v1
	v_subrev_nc_u32_e32 v1, 28, v26
	v_lshlrev_b64 v[1:2], v1, v[3:4]
	v_sub_nc_u32_e32 v2, 29, v26
	v_and_b32_e32 v1, 7, v1
; %bb.1399:                             ;   in Loop: Header=BB272_1056 Depth=1
	s_or_b32 exec_lo, exec_lo, s21
	v_lshlrev_b32_sdwa v3, v54, v3 dst_sel:DWORD dst_unused:UNUSED_PAD src0_sel:DWORD src1_sel:WORD_0
	v_lshl_add_u32 v2, v2, 10, 0x2000
	v_lshlrev_b32_e32 v1, 23, v1
	v_and_or_b32 v2, 0x8000, v3, v2
	v_lshl_or_b32 v1, v2, 16, v1
.LBB272_1400:                           ;   in Loop: Header=BB272_1056 Depth=1
	s_or_b32 exec_lo, exec_lo, s20
.LBB272_1401:                           ;   in Loop: Header=BB272_1056 Depth=1
	s_or_b32 exec_lo, exec_lo, s19
.LBB272_1402:                           ;   in Loop: Header=BB272_1056 Depth=1
	s_or_b32 exec_lo, exec_lo, s18
	v_lshrrev_b32_e32 v2, 16, v11
	v_mov_b32_e32 v26, 0
	v_mov_b32_e32 v27, 0
	v_cmp_ne_u16_sdwa s5, v2, v4 src0_sel:BYTE_0 src1_sel:DWORD
	s_and_saveexec_b32 s18, s5
	s_cbranch_execz .LBB272_1410
; %bb.1403:                             ;   in Loop: Header=BB272_1056 Depth=1
	v_cmp_ne_u16_sdwa s5, v2, v34 src0_sel:BYTE_0 src1_sel:DWORD
	v_mov_b32_e32 v27, 0x8000
	s_and_saveexec_b32 s19, s5
	s_cbranch_execz .LBB272_1409
; %bb.1404:                             ;   in Loop: Header=BB272_1056 Depth=1
	v_bfe_u32 v28, v11, 16, 7
	v_mov_b32_e32 v27, 0x7c01
	s_mov_b32 s20, exec_lo
	v_cmpx_ne_u32_e32 0x7f, v28
	s_cbranch_execz .LBB272_1408
; %bb.1405:                             ;   in Loop: Header=BB272_1056 Depth=1
	v_and_b32_e32 v3, 7, v2
	v_lshrrev_b32_e32 v27, 3, v28
	s_mov_b32 s21, exec_lo
	v_cmpx_gt_u32_e32 8, v28
; %bb.1406:                             ;   in Loop: Header=BB272_1056 Depth=1
	v_ffbh_u32_e32 v3, v3
	v_min_u32_e32 v3, 32, v3
	v_subrev_nc_u32_e32 v27, 28, v3
	v_lshlrev_b64 v[30:31], v27, v[2:3]
	v_sub_nc_u32_e32 v27, 29, v3
	v_and_b32_e32 v3, 7, v30
; %bb.1407:                             ;   in Loop: Header=BB272_1056 Depth=1
	s_or_b32 exec_lo, exec_lo, s21
	v_lshlrev_b32_e32 v2, 8, v2
	v_lshl_add_u32 v27, v27, 10, 0x2000
	v_lshlrev_b32_e32 v3, 7, v3
	v_and_b32_e32 v2, 0x8000, v2
	v_and_b32_e32 v27, 0xfc00, v27
	v_or3_b32 v27, v2, v27, v3
.LBB272_1408:                           ;   in Loop: Header=BB272_1056 Depth=1
	s_or_b32 exec_lo, exec_lo, s20
.LBB272_1409:                           ;   in Loop: Header=BB272_1056 Depth=1
	s_or_b32 exec_lo, exec_lo, s19
.LBB272_1410:                           ;   in Loop: Header=BB272_1056 Depth=1
	s_or_b32 exec_lo, exec_lo, s18
	s_mov_b32 s18, exec_lo
	v_cmpx_lt_u32_e32 0xffffff, v11
	s_cbranch_execz .LBB272_1418
; %bb.1411:                             ;   in Loop: Header=BB272_1056 Depth=1
	v_lshrrev_b32_e32 v3, 24, v11
	v_bfrev_b32_e32 v26, 1
	s_mov_b32 s19, exec_lo
	v_cmpx_ne_u32_e32 0x80, v3
	s_cbranch_execz .LBB272_1417
; %bb.1412:                             ;   in Loop: Header=BB272_1056 Depth=1
	v_and_b32_e32 v28, 0x7f, v3
	v_mov_b32_e32 v26, 0x7c010000
	s_mov_b32 s20, exec_lo
	v_cmpx_ne_u32_e32 0x7f, v28
	s_cbranch_execz .LBB272_1416
; %bb.1413:                             ;   in Loop: Header=BB272_1056 Depth=1
	v_and_b32_e32 v2, 7, v3
	v_lshrrev_b32_e32 v26, 3, v28
	s_mov_b32 s21, exec_lo
	v_cmpx_gt_u32_e32 8, v28
; %bb.1414:                             ;   in Loop: Header=BB272_1056 Depth=1
	v_ffbh_u32_e32 v2, v2
	v_min_u32_e32 v2, 32, v2
	v_subrev_nc_u32_e32 v26, 28, v2
	v_lshlrev_b64 v[30:31], v26, v[3:4]
	v_sub_nc_u32_e32 v26, 29, v2
	v_and_b32_e32 v2, 7, v30
; %bb.1415:                             ;   in Loop: Header=BB272_1056 Depth=1
	s_or_b32 exec_lo, exec_lo, s21
	v_lshlrev_b32_e32 v3, 8, v3
	v_lshl_add_u32 v26, v26, 10, 0x2000
	v_lshlrev_b32_e32 v2, 23, v2
	v_and_or_b32 v3, 0x8000, v3, v26
	v_lshl_or_b32 v26, v3, 16, v2
.LBB272_1416:                           ;   in Loop: Header=BB272_1056 Depth=1
	s_or_b32 exec_lo, exec_lo, s20
.LBB272_1417:                           ;   in Loop: Header=BB272_1056 Depth=1
	s_or_b32 exec_lo, exec_lo, s19
.LBB272_1418:                           ;   in Loop: Header=BB272_1056 Depth=1
	s_or_b32 exec_lo, exec_lo, s18
	v_mov_b32_e32 v3, v12
	v_cmp_ne_u16_sdwa s5, v12, v4 src0_sel:BYTE_0 src1_sel:DWORD
	v_mov_b32_e32 v28, 0
	v_mov_b32_e32 v30, 0
	s_and_saveexec_b32 s18, s5
	s_cbranch_execz .LBB272_1426
; %bb.1419:                             ;   in Loop: Header=BB272_1056 Depth=1
	v_cmp_ne_u16_sdwa s5, v12, v34 src0_sel:BYTE_0 src1_sel:DWORD
	v_mov_b32_e32 v30, 0x8000
	s_and_saveexec_b32 s19, s5
	s_cbranch_execz .LBB272_1425
; %bb.1420:                             ;   in Loop: Header=BB272_1056 Depth=1
	v_and_b32_e32 v31, 0x7f, v12
	v_mov_b32_e32 v30, 0x7c01
	s_mov_b32 s20, exec_lo
	v_cmpx_ne_u32_e32 0x7f, v31
	s_cbranch_execz .LBB272_1424
; %bb.1421:                             ;   in Loop: Header=BB272_1056 Depth=1
	v_and_b32_e32 v2, 7, v12
	v_lshrrev_b32_e32 v30, 3, v31
	s_mov_b32 s21, exec_lo
	v_cmpx_gt_u32_e32 8, v31
; %bb.1422:                             ;   in Loop: Header=BB272_1056 Depth=1
	v_ffbh_u32_e32 v2, v2
	v_min_u32_e32 v2, 32, v2
	v_subrev_nc_u32_e32 v30, 28, v2
	v_lshlrev_b64 v[101:102], v30, v[3:4]
	v_sub_nc_u32_e32 v30, 29, v2
	v_and_b32_e32 v2, 7, v101
; %bb.1423:                             ;   in Loop: Header=BB272_1056 Depth=1
	s_or_b32 exec_lo, exec_lo, s21
	v_lshlrev_b32_e32 v31, 8, v12
	v_lshl_add_u32 v30, v30, 10, 0x2000
	v_lshlrev_b32_e32 v2, 7, v2
	v_and_b32_e32 v31, 0x8000, v31
	v_and_b32_e32 v30, 0xfc00, v30
	v_or3_b32 v30, v31, v30, v2
.LBB272_1424:                           ;   in Loop: Header=BB272_1056 Depth=1
	s_or_b32 exec_lo, exec_lo, s20
.LBB272_1425:                           ;   in Loop: Header=BB272_1056 Depth=1
	s_or_b32 exec_lo, exec_lo, s19
.LBB272_1426:                           ;   in Loop: Header=BB272_1056 Depth=1
	s_or_b32 exec_lo, exec_lo, s18
	v_lshrrev_b16 v3, 8, v3
	v_mov_b32_e32 v31, 0
	s_mov_b32 s18, exec_lo
	v_cmpx_ne_u16_e32 0, v3
	s_cbranch_execz .LBB272_1434
; %bb.1427:                             ;   in Loop: Header=BB272_1056 Depth=1
	v_bfrev_b32_e32 v31, 1
	s_mov_b32 s19, exec_lo
	v_cmpx_ne_u16_e32 0x80, v3
	s_cbranch_execz .LBB272_1433
; %bb.1428:                             ;   in Loop: Header=BB272_1056 Depth=1
	v_and_b32_sdwa v101, v3, v52 dst_sel:DWORD dst_unused:UNUSED_PAD src0_sel:WORD_0 src1_sel:DWORD
	v_mov_b32_e32 v31, 0x7c010000
	s_mov_b32 s20, exec_lo
	v_cmpx_ne_u32_e32 0x7f, v101
	s_cbranch_execz .LBB272_1432
; %bb.1429:                             ;   in Loop: Header=BB272_1056 Depth=1
	v_and_b32_sdwa v2, v3, v53 dst_sel:DWORD dst_unused:UNUSED_PAD src0_sel:WORD_0 src1_sel:DWORD
	v_lshrrev_b32_e32 v31, 3, v101
	s_mov_b32 s21, exec_lo
	v_cmpx_gt_u32_e32 8, v101
; %bb.1430:                             ;   in Loop: Header=BB272_1056 Depth=1
	v_ffbh_u32_e32 v2, v2
	v_min_u32_e32 v2, 32, v2
	v_subrev_nc_u32_e32 v31, 28, v2
	v_lshlrev_b64 v[101:102], v31, v[3:4]
	v_sub_nc_u32_e32 v31, 29, v2
	v_and_b32_e32 v2, 7, v101
; %bb.1431:                             ;   in Loop: Header=BB272_1056 Depth=1
	s_or_b32 exec_lo, exec_lo, s21
	v_lshlrev_b32_sdwa v3, v54, v3 dst_sel:DWORD dst_unused:UNUSED_PAD src0_sel:DWORD src1_sel:WORD_0
	v_lshl_add_u32 v31, v31, 10, 0x2000
	v_lshlrev_b32_e32 v2, 23, v2
	v_and_or_b32 v3, 0x8000, v3, v31
	v_lshl_or_b32 v31, v3, 16, v2
.LBB272_1432:                           ;   in Loop: Header=BB272_1056 Depth=1
	s_or_b32 exec_lo, exec_lo, s20
.LBB272_1433:                           ;   in Loop: Header=BB272_1056 Depth=1
	s_or_b32 exec_lo, exec_lo, s19
.LBB272_1434:                           ;   in Loop: Header=BB272_1056 Depth=1
	s_or_b32 exec_lo, exec_lo, s18
	v_lshrrev_b32_e32 v2, 16, v12
	v_cmp_ne_u16_sdwa s5, v2, v4 src0_sel:BYTE_0 src1_sel:DWORD
	s_and_saveexec_b32 s18, s5
	s_cbranch_execz .LBB272_1442
; %bb.1435:                             ;   in Loop: Header=BB272_1056 Depth=1
	v_cmp_ne_u16_sdwa s5, v2, v34 src0_sel:BYTE_0 src1_sel:DWORD
	v_mov_b32_e32 v28, 0x8000
	s_and_saveexec_b32 s19, s5
	s_cbranch_execz .LBB272_1441
; %bb.1436:                             ;   in Loop: Header=BB272_1056 Depth=1
	v_bfe_u32 v101, v12, 16, 7
	v_mov_b32_e32 v28, 0x7c01
	s_mov_b32 s20, exec_lo
	v_cmpx_ne_u32_e32 0x7f, v101
	s_cbranch_execz .LBB272_1440
; %bb.1437:                             ;   in Loop: Header=BB272_1056 Depth=1
	v_and_b32_e32 v3, 7, v2
	v_lshrrev_b32_e32 v28, 3, v101
	s_mov_b32 s21, exec_lo
	v_cmpx_gt_u32_e32 8, v101
; %bb.1438:                             ;   in Loop: Header=BB272_1056 Depth=1
	v_ffbh_u32_e32 v3, v3
	v_min_u32_e32 v3, 32, v3
	v_subrev_nc_u32_e32 v28, 28, v3
	v_lshlrev_b64 v[101:102], v28, v[2:3]
	v_sub_nc_u32_e32 v28, 29, v3
	v_and_b32_e32 v3, 7, v101
; %bb.1439:                             ;   in Loop: Header=BB272_1056 Depth=1
	s_or_b32 exec_lo, exec_lo, s21
	v_lshlrev_b32_e32 v2, 8, v2
	v_lshl_add_u32 v28, v28, 10, 0x2000
	v_lshlrev_b32_e32 v3, 7, v3
	v_and_b32_e32 v2, 0x8000, v2
	v_and_b32_e32 v28, 0xfc00, v28
	v_or3_b32 v28, v2, v28, v3
.LBB272_1440:                           ;   in Loop: Header=BB272_1056 Depth=1
	s_or_b32 exec_lo, exec_lo, s20
.LBB272_1441:                           ;   in Loop: Header=BB272_1056 Depth=1
	s_or_b32 exec_lo, exec_lo, s19
.LBB272_1442:                           ;   in Loop: Header=BB272_1056 Depth=1
	s_or_b32 exec_lo, exec_lo, s18
	v_mov_b32_e32 v2, 0
	s_mov_b32 s18, exec_lo
	v_cmpx_lt_u64_e64 s[6:7], v[11:12]
	s_cbranch_execz .LBB272_1450
; %bb.1443:                             ;   in Loop: Header=BB272_1056 Depth=1
	v_lshrrev_b32_e32 v3, 24, v12
	v_bfrev_b32_e32 v2, 1
	s_mov_b32 s19, exec_lo
	v_cmpx_ne_u32_e32 0x80, v3
	s_cbranch_execz .LBB272_1449
; %bb.1444:                             ;   in Loop: Header=BB272_1056 Depth=1
	v_and_b32_e32 v12, 0x7f, v3
	v_mov_b32_e32 v2, 0x7c010000
	s_mov_b32 s20, exec_lo
	v_cmpx_ne_u32_e32 0x7f, v12
	s_cbranch_execz .LBB272_1448
; %bb.1445:                             ;   in Loop: Header=BB272_1056 Depth=1
	v_and_b32_e32 v2, 7, v3
	v_lshrrev_b32_e32 v11, 3, v12
	s_mov_b32 s21, exec_lo
	v_cmpx_gt_u32_e32 8, v12
; %bb.1446:                             ;   in Loop: Header=BB272_1056 Depth=1
	v_ffbh_u32_e32 v2, v2
	v_min_u32_e32 v2, 32, v2
	v_subrev_nc_u32_e32 v11, 28, v2
	v_lshlrev_b64 v[101:102], v11, v[3:4]
	v_sub_nc_u32_e32 v11, 29, v2
	v_and_b32_e32 v2, 7, v101
; %bb.1447:                             ;   in Loop: Header=BB272_1056 Depth=1
	s_or_b32 exec_lo, exec_lo, s21
	v_lshlrev_b32_e32 v3, 8, v3
	v_lshl_add_u32 v11, v11, 10, 0x2000
	v_lshlrev_b32_e32 v2, 23, v2
	v_and_or_b32 v3, 0x8000, v3, v11
	v_lshl_or_b32 v2, v3, 16, v2
.LBB272_1448:                           ;   in Loop: Header=BB272_1056 Depth=1
	s_or_b32 exec_lo, exec_lo, s20
.LBB272_1449:                           ;   in Loop: Header=BB272_1056 Depth=1
	s_or_b32 exec_lo, exec_lo, s19
.LBB272_1450:                           ;   in Loop: Header=BB272_1056 Depth=1
	s_or_b32 exec_lo, exec_lo, s18
	v_or_b32_e32 v3, v26, v27
	s_waitcnt vmcnt(0) lgkmcnt(0)
	v_fma_mixlo_f16 v11, v0, v26, 0 op_sel:[0,1,0] op_sel_hi:[0,1,0]
	v_or_b32_e32 v18, v1, v18
	v_or_b32_e32 v26, v31, v30
	;; [unrolled: 1-line block ×3, first 2 shown]
	v_fma_mixlo_f16 v12, v0, v1, 0 op_sel:[0,1,0] op_sel_hi:[0,1,0]
	v_fma_mixlo_f16 v3, v0, v3, 0 op_sel_hi:[0,1,0]
	v_lshlrev_b32_e32 v1, 16, v11
	v_fma_mixlo_f16 v11, v0, v18, 0 op_sel_hi:[0,1,0]
	v_fma_mixlo_f16 v18, v0, v31, 0 op_sel:[0,1,0] op_sel_hi:[0,1,0]
	v_fma_mixlo_f16 v26, v0, v26, 0 op_sel_hi:[0,1,0]
	v_fma_mixlo_f16 v28, v0, v2, 0 op_sel:[0,1,0] op_sel_hi:[0,1,0]
	v_fma_mixlo_f16 v27, v0, v27, 0 op_sel_hi:[0,1,0]
	v_lshlrev_b32_e32 v12, 16, v12
	v_and_b32_e32 v3, 0xffff, v3
	v_and_b32_e32 v31, 0xffff, v11
	v_lshlrev_b32_e32 v2, 16, v18
	v_and_b32_e32 v26, 0xffff, v26
	v_lshlrev_b32_e32 v0, 16, v28
	v_and_b32_e32 v11, 0xffff, v27
	v_or_b32_e32 v18, v1, v3
	v_or_b32_e32 v30, v12, v31
	;; [unrolled: 1-line block ×4, first 2 shown]
	s_and_saveexec_b32 s18, vcc_lo
	s_cbranch_execz .LBB272_1452
; %bb.1451:                             ;   in Loop: Header=BB272_1056 Depth=1
	v_cmp_lt_i32_e64 s5, v64, v29
	v_cndmask_b32_e64 v18, 0, v31, s5
	v_cmp_lt_i32_e64 s5, v84, v29
	v_cndmask_b32_e64 v12, 0, v12, s5
	v_cmp_lt_i32_e64 s5, v83, v29
	v_or_b32_e32 v30, v18, v12
	v_cndmask_b32_e64 v3, 0, v3, s5
	v_cmp_lt_i32_e64 s5, v82, v29
	v_cndmask_b32_e64 v1, 0, v1, s5
	v_cmp_lt_i32_e64 s5, v81, v29
	v_or_b32_e32 v18, v3, v1
	;; [unrolled: 5-line block ×3, first 2 shown]
	v_cndmask_b32_e64 v11, 0, v11, s5
	v_cmp_lt_i32_e64 s5, v19, v29
	v_cndmask_b32_e64 v0, 0, v0, s5
	v_or_b32_e32 v27, v11, v0
.LBB272_1452:                           ;   in Loop: Header=BB272_1056 Depth=1
	s_or_b32 exec_lo, exec_lo, s18
	;;#ASMSTART
	v_pk_mul_f16 v0, v69, v30;

	;;#ASMEND
	;;#ASMSTART
	v_pk_mul_f16 v1, v67, v18;

	;;#ASMEND
	;; [unrolled: 4-line block ×4, first 2 shown]
	;;#ASMSTART
	v_pk_add_f16 v0, v0, v1;

	;;#ASMEND
	;;#ASMSTART
	v_pk_add_f16 v0, v0, v2;

	;;#ASMEND
	;; [unrolled: 4-line block ×3, first 2 shown]
	v_and_b32_e32 v1, 0xffff, v0
	v_lshrrev_b32_e32 v0, 16, v0
	;;#ASMSTART
	v_cvt_f32_f16 v101, v1;
	;;#ASMEND
	;;#ASMSTART
	v_cvt_f32_f16 v102, v0;
	;;#ASMEND
	flat_load_dwordx2 v[11:12], v[9:10] offset:1536
	flat_load_dword v0, v[22:23]
	v_mov_b32_e32 v1, 0
	v_mov_b32_e32 v18, 0
	s_waitcnt vmcnt(1) lgkmcnt(1)
	v_cmp_ne_u16_sdwa s5, v11, v4 src0_sel:BYTE_0 src1_sel:DWORD
	s_and_saveexec_b32 s18, s5
	s_cbranch_execz .LBB272_1460
; %bb.1453:                             ;   in Loop: Header=BB272_1056 Depth=1
	v_cmp_ne_u16_sdwa s5, v11, v34 src0_sel:BYTE_0 src1_sel:DWORD
	v_mov_b32_e32 v18, 0x8000
	s_and_saveexec_b32 s19, s5
	s_cbranch_execz .LBB272_1459
; %bb.1454:                             ;   in Loop: Header=BB272_1056 Depth=1
	v_and_b32_e32 v26, 0x7f, v11
	v_mov_b32_e32 v18, 0x7c01
	s_mov_b32 s20, exec_lo
	v_cmpx_ne_u32_e32 0x7f, v26
	s_cbranch_execz .LBB272_1458
; %bb.1455:                             ;   in Loop: Header=BB272_1056 Depth=1
	v_and_b32_e32 v2, 7, v11
	v_lshrrev_b32_e32 v3, 3, v26
	s_mov_b32 s21, exec_lo
	v_cmpx_gt_u32_e32 8, v26
; %bb.1456:                             ;   in Loop: Header=BB272_1056 Depth=1
	v_ffbh_u32_e32 v2, v2
	v_min_u32_e32 v18, 32, v2
	v_subrev_nc_u32_e32 v2, 28, v18
	v_lshlrev_b64 v[2:3], v2, v[11:12]
	v_sub_nc_u32_e32 v3, 29, v18
	v_and_b32_e32 v2, 7, v2
; %bb.1457:                             ;   in Loop: Header=BB272_1056 Depth=1
	s_or_b32 exec_lo, exec_lo, s21
	v_lshlrev_b32_e32 v18, 8, v11
	v_lshl_add_u32 v3, v3, 10, 0x2000
	v_lshlrev_b32_e32 v2, 7, v2
	v_and_b32_e32 v18, 0x8000, v18
	v_and_b32_e32 v3, 0xfc00, v3
	v_or3_b32 v18, v18, v3, v2
.LBB272_1458:                           ;   in Loop: Header=BB272_1056 Depth=1
	s_or_b32 exec_lo, exec_lo, s20
.LBB272_1459:                           ;   in Loop: Header=BB272_1056 Depth=1
	s_or_b32 exec_lo, exec_lo, s19
.LBB272_1460:                           ;   in Loop: Header=BB272_1056 Depth=1
	s_or_b32 exec_lo, exec_lo, s18
	v_lshrrev_b16 v3, 8, v11
	s_mov_b32 s18, exec_lo
	v_cmpx_ne_u16_e32 0, v3
	s_cbranch_execz .LBB272_1468
; %bb.1461:                             ;   in Loop: Header=BB272_1056 Depth=1
	v_bfrev_b32_e32 v1, 1
	s_mov_b32 s19, exec_lo
	v_cmpx_ne_u16_e32 0x80, v3
	s_cbranch_execz .LBB272_1467
; %bb.1462:                             ;   in Loop: Header=BB272_1056 Depth=1
	v_and_b32_sdwa v26, v3, v52 dst_sel:DWORD dst_unused:UNUSED_PAD src0_sel:WORD_0 src1_sel:DWORD
	v_mov_b32_e32 v1, 0x7c010000
	s_mov_b32 s20, exec_lo
	v_cmpx_ne_u32_e32 0x7f, v26
	s_cbranch_execz .LBB272_1466
; %bb.1463:                             ;   in Loop: Header=BB272_1056 Depth=1
	v_and_b32_sdwa v1, v3, v53 dst_sel:DWORD dst_unused:UNUSED_PAD src0_sel:WORD_0 src1_sel:DWORD
	v_lshrrev_b32_e32 v2, 3, v26
	s_mov_b32 s21, exec_lo
	v_cmpx_gt_u32_e32 8, v26
; %bb.1464:                             ;   in Loop: Header=BB272_1056 Depth=1
	v_ffbh_u32_e32 v1, v1
	v_min_u32_e32 v26, 32, v1
	v_subrev_nc_u32_e32 v1, 28, v26
	v_lshlrev_b64 v[1:2], v1, v[3:4]
	v_sub_nc_u32_e32 v2, 29, v26
	v_and_b32_e32 v1, 7, v1
; %bb.1465:                             ;   in Loop: Header=BB272_1056 Depth=1
	s_or_b32 exec_lo, exec_lo, s21
	v_lshlrev_b32_sdwa v3, v54, v3 dst_sel:DWORD dst_unused:UNUSED_PAD src0_sel:DWORD src1_sel:WORD_0
	v_lshl_add_u32 v2, v2, 10, 0x2000
	v_lshlrev_b32_e32 v1, 23, v1
	v_and_or_b32 v2, 0x8000, v3, v2
	v_lshl_or_b32 v1, v2, 16, v1
.LBB272_1466:                           ;   in Loop: Header=BB272_1056 Depth=1
	s_or_b32 exec_lo, exec_lo, s20
.LBB272_1467:                           ;   in Loop: Header=BB272_1056 Depth=1
	s_or_b32 exec_lo, exec_lo, s19
.LBB272_1468:                           ;   in Loop: Header=BB272_1056 Depth=1
	s_or_b32 exec_lo, exec_lo, s18
	v_lshrrev_b32_e32 v2, 16, v11
	v_mov_b32_e32 v26, 0
	v_mov_b32_e32 v27, 0
	v_cmp_ne_u16_sdwa s5, v2, v4 src0_sel:BYTE_0 src1_sel:DWORD
	s_and_saveexec_b32 s18, s5
	s_cbranch_execz .LBB272_1476
; %bb.1469:                             ;   in Loop: Header=BB272_1056 Depth=1
	v_cmp_ne_u16_sdwa s5, v2, v34 src0_sel:BYTE_0 src1_sel:DWORD
	v_mov_b32_e32 v27, 0x8000
	s_and_saveexec_b32 s19, s5
	s_cbranch_execz .LBB272_1475
; %bb.1470:                             ;   in Loop: Header=BB272_1056 Depth=1
	v_bfe_u32 v28, v11, 16, 7
	v_mov_b32_e32 v27, 0x7c01
	s_mov_b32 s20, exec_lo
	v_cmpx_ne_u32_e32 0x7f, v28
	s_cbranch_execz .LBB272_1474
; %bb.1471:                             ;   in Loop: Header=BB272_1056 Depth=1
	v_and_b32_e32 v3, 7, v2
	v_lshrrev_b32_e32 v27, 3, v28
	s_mov_b32 s21, exec_lo
	v_cmpx_gt_u32_e32 8, v28
; %bb.1472:                             ;   in Loop: Header=BB272_1056 Depth=1
	v_ffbh_u32_e32 v3, v3
	v_min_u32_e32 v3, 32, v3
	v_subrev_nc_u32_e32 v27, 28, v3
	v_lshlrev_b64 v[30:31], v27, v[2:3]
	v_sub_nc_u32_e32 v27, 29, v3
	v_and_b32_e32 v3, 7, v30
; %bb.1473:                             ;   in Loop: Header=BB272_1056 Depth=1
	s_or_b32 exec_lo, exec_lo, s21
	v_lshlrev_b32_e32 v2, 8, v2
	v_lshl_add_u32 v27, v27, 10, 0x2000
	v_lshlrev_b32_e32 v3, 7, v3
	v_and_b32_e32 v2, 0x8000, v2
	v_and_b32_e32 v27, 0xfc00, v27
	v_or3_b32 v27, v2, v27, v3
.LBB272_1474:                           ;   in Loop: Header=BB272_1056 Depth=1
	s_or_b32 exec_lo, exec_lo, s20
.LBB272_1475:                           ;   in Loop: Header=BB272_1056 Depth=1
	s_or_b32 exec_lo, exec_lo, s19
.LBB272_1476:                           ;   in Loop: Header=BB272_1056 Depth=1
	s_or_b32 exec_lo, exec_lo, s18
	s_mov_b32 s18, exec_lo
	v_cmpx_lt_u32_e32 0xffffff, v11
	s_cbranch_execz .LBB272_1484
; %bb.1477:                             ;   in Loop: Header=BB272_1056 Depth=1
	v_lshrrev_b32_e32 v3, 24, v11
	v_bfrev_b32_e32 v26, 1
	s_mov_b32 s19, exec_lo
	v_cmpx_ne_u32_e32 0x80, v3
	s_cbranch_execz .LBB272_1483
; %bb.1478:                             ;   in Loop: Header=BB272_1056 Depth=1
	v_and_b32_e32 v28, 0x7f, v3
	v_mov_b32_e32 v26, 0x7c010000
	s_mov_b32 s20, exec_lo
	v_cmpx_ne_u32_e32 0x7f, v28
	s_cbranch_execz .LBB272_1482
; %bb.1479:                             ;   in Loop: Header=BB272_1056 Depth=1
	v_and_b32_e32 v2, 7, v3
	v_lshrrev_b32_e32 v26, 3, v28
	s_mov_b32 s21, exec_lo
	v_cmpx_gt_u32_e32 8, v28
; %bb.1480:                             ;   in Loop: Header=BB272_1056 Depth=1
	v_ffbh_u32_e32 v2, v2
	v_min_u32_e32 v2, 32, v2
	v_subrev_nc_u32_e32 v26, 28, v2
	v_lshlrev_b64 v[30:31], v26, v[3:4]
	v_sub_nc_u32_e32 v26, 29, v2
	v_and_b32_e32 v2, 7, v30
; %bb.1481:                             ;   in Loop: Header=BB272_1056 Depth=1
	s_or_b32 exec_lo, exec_lo, s21
	v_lshlrev_b32_e32 v3, 8, v3
	v_lshl_add_u32 v26, v26, 10, 0x2000
	v_lshlrev_b32_e32 v2, 23, v2
	v_and_or_b32 v3, 0x8000, v3, v26
	v_lshl_or_b32 v26, v3, 16, v2
.LBB272_1482:                           ;   in Loop: Header=BB272_1056 Depth=1
	s_or_b32 exec_lo, exec_lo, s20
.LBB272_1483:                           ;   in Loop: Header=BB272_1056 Depth=1
	s_or_b32 exec_lo, exec_lo, s19
.LBB272_1484:                           ;   in Loop: Header=BB272_1056 Depth=1
	s_or_b32 exec_lo, exec_lo, s18
	v_mov_b32_e32 v3, v12
	v_cmp_ne_u16_sdwa s5, v12, v4 src0_sel:BYTE_0 src1_sel:DWORD
	v_mov_b32_e32 v28, 0
	v_mov_b32_e32 v30, 0
	s_and_saveexec_b32 s18, s5
	s_cbranch_execz .LBB272_1492
; %bb.1485:                             ;   in Loop: Header=BB272_1056 Depth=1
	v_cmp_ne_u16_sdwa s5, v12, v34 src0_sel:BYTE_0 src1_sel:DWORD
	v_mov_b32_e32 v30, 0x8000
	s_and_saveexec_b32 s19, s5
	s_cbranch_execz .LBB272_1491
; %bb.1486:                             ;   in Loop: Header=BB272_1056 Depth=1
	v_and_b32_e32 v31, 0x7f, v12
	v_mov_b32_e32 v30, 0x7c01
	s_mov_b32 s20, exec_lo
	v_cmpx_ne_u32_e32 0x7f, v31
	s_cbranch_execz .LBB272_1490
; %bb.1487:                             ;   in Loop: Header=BB272_1056 Depth=1
	v_and_b32_e32 v2, 7, v12
	v_lshrrev_b32_e32 v30, 3, v31
	s_mov_b32 s21, exec_lo
	v_cmpx_gt_u32_e32 8, v31
; %bb.1488:                             ;   in Loop: Header=BB272_1056 Depth=1
	v_ffbh_u32_e32 v2, v2
	v_min_u32_e32 v2, 32, v2
	v_subrev_nc_u32_e32 v30, 28, v2
	v_lshlrev_b64 v[112:113], v30, v[3:4]
	v_sub_nc_u32_e32 v30, 29, v2
	v_and_b32_e32 v2, 7, v112
; %bb.1489:                             ;   in Loop: Header=BB272_1056 Depth=1
	s_or_b32 exec_lo, exec_lo, s21
	v_lshlrev_b32_e32 v31, 8, v12
	v_lshl_add_u32 v30, v30, 10, 0x2000
	v_lshlrev_b32_e32 v2, 7, v2
	v_and_b32_e32 v31, 0x8000, v31
	v_and_b32_e32 v30, 0xfc00, v30
	v_or3_b32 v30, v31, v30, v2
.LBB272_1490:                           ;   in Loop: Header=BB272_1056 Depth=1
	s_or_b32 exec_lo, exec_lo, s20
.LBB272_1491:                           ;   in Loop: Header=BB272_1056 Depth=1
	s_or_b32 exec_lo, exec_lo, s19
.LBB272_1492:                           ;   in Loop: Header=BB272_1056 Depth=1
	s_or_b32 exec_lo, exec_lo, s18
	v_lshrrev_b16 v3, 8, v3
	v_mov_b32_e32 v31, 0
	s_mov_b32 s18, exec_lo
	v_cmpx_ne_u16_e32 0, v3
	s_cbranch_execz .LBB272_1500
; %bb.1493:                             ;   in Loop: Header=BB272_1056 Depth=1
	v_bfrev_b32_e32 v31, 1
	s_mov_b32 s19, exec_lo
	v_cmpx_ne_u16_e32 0x80, v3
	s_cbranch_execz .LBB272_1499
; %bb.1494:                             ;   in Loop: Header=BB272_1056 Depth=1
	v_and_b32_sdwa v103, v3, v52 dst_sel:DWORD dst_unused:UNUSED_PAD src0_sel:WORD_0 src1_sel:DWORD
	v_mov_b32_e32 v31, 0x7c010000
	s_mov_b32 s20, exec_lo
	v_cmpx_ne_u32_e32 0x7f, v103
	s_cbranch_execz .LBB272_1498
; %bb.1495:                             ;   in Loop: Header=BB272_1056 Depth=1
	v_and_b32_sdwa v2, v3, v53 dst_sel:DWORD dst_unused:UNUSED_PAD src0_sel:WORD_0 src1_sel:DWORD
	v_lshrrev_b32_e32 v31, 3, v103
	s_mov_b32 s21, exec_lo
	v_cmpx_gt_u32_e32 8, v103
; %bb.1496:                             ;   in Loop: Header=BB272_1056 Depth=1
	v_ffbh_u32_e32 v2, v2
	v_min_u32_e32 v2, 32, v2
	v_subrev_nc_u32_e32 v31, 28, v2
	v_lshlrev_b64 v[112:113], v31, v[3:4]
	v_sub_nc_u32_e32 v31, 29, v2
	v_and_b32_e32 v2, 7, v112
; %bb.1497:                             ;   in Loop: Header=BB272_1056 Depth=1
	s_or_b32 exec_lo, exec_lo, s21
	v_lshlrev_b32_sdwa v3, v54, v3 dst_sel:DWORD dst_unused:UNUSED_PAD src0_sel:DWORD src1_sel:WORD_0
	v_lshl_add_u32 v31, v31, 10, 0x2000
	v_lshlrev_b32_e32 v2, 23, v2
	v_and_or_b32 v3, 0x8000, v3, v31
	v_lshl_or_b32 v31, v3, 16, v2
.LBB272_1498:                           ;   in Loop: Header=BB272_1056 Depth=1
	s_or_b32 exec_lo, exec_lo, s20
.LBB272_1499:                           ;   in Loop: Header=BB272_1056 Depth=1
	s_or_b32 exec_lo, exec_lo, s19
.LBB272_1500:                           ;   in Loop: Header=BB272_1056 Depth=1
	s_or_b32 exec_lo, exec_lo, s18
	v_lshrrev_b32_e32 v2, 16, v12
	v_cmp_ne_u16_sdwa s5, v2, v4 src0_sel:BYTE_0 src1_sel:DWORD
	s_and_saveexec_b32 s18, s5
	s_cbranch_execz .LBB272_1508
; %bb.1501:                             ;   in Loop: Header=BB272_1056 Depth=1
	v_cmp_ne_u16_sdwa s5, v2, v34 src0_sel:BYTE_0 src1_sel:DWORD
	v_mov_b32_e32 v28, 0x8000
	s_and_saveexec_b32 s19, s5
	s_cbranch_execz .LBB272_1507
; %bb.1502:                             ;   in Loop: Header=BB272_1056 Depth=1
	v_bfe_u32 v103, v12, 16, 7
	v_mov_b32_e32 v28, 0x7c01
	s_mov_b32 s20, exec_lo
	v_cmpx_ne_u32_e32 0x7f, v103
	s_cbranch_execz .LBB272_1506
; %bb.1503:                             ;   in Loop: Header=BB272_1056 Depth=1
	v_and_b32_e32 v3, 7, v2
	v_lshrrev_b32_e32 v28, 3, v103
	s_mov_b32 s21, exec_lo
	v_cmpx_gt_u32_e32 8, v103
; %bb.1504:                             ;   in Loop: Header=BB272_1056 Depth=1
	v_ffbh_u32_e32 v3, v3
	v_min_u32_e32 v3, 32, v3
	v_subrev_nc_u32_e32 v28, 28, v3
	v_lshlrev_b64 v[112:113], v28, v[2:3]
	v_sub_nc_u32_e32 v28, 29, v3
	v_and_b32_e32 v3, 7, v112
; %bb.1505:                             ;   in Loop: Header=BB272_1056 Depth=1
	s_or_b32 exec_lo, exec_lo, s21
	v_lshlrev_b32_e32 v2, 8, v2
	v_lshl_add_u32 v28, v28, 10, 0x2000
	v_lshlrev_b32_e32 v3, 7, v3
	v_and_b32_e32 v2, 0x8000, v2
	v_and_b32_e32 v28, 0xfc00, v28
	v_or3_b32 v28, v2, v28, v3
.LBB272_1506:                           ;   in Loop: Header=BB272_1056 Depth=1
	s_or_b32 exec_lo, exec_lo, s20
.LBB272_1507:                           ;   in Loop: Header=BB272_1056 Depth=1
	s_or_b32 exec_lo, exec_lo, s19
.LBB272_1508:                           ;   in Loop: Header=BB272_1056 Depth=1
	s_or_b32 exec_lo, exec_lo, s18
	v_mov_b32_e32 v2, 0
	s_mov_b32 s18, exec_lo
	v_cmpx_lt_u64_e64 s[6:7], v[11:12]
	s_cbranch_execz .LBB272_1516
; %bb.1509:                             ;   in Loop: Header=BB272_1056 Depth=1
	v_lshrrev_b32_e32 v3, 24, v12
	v_bfrev_b32_e32 v2, 1
	s_mov_b32 s19, exec_lo
	v_cmpx_ne_u32_e32 0x80, v3
	s_cbranch_execz .LBB272_1515
; %bb.1510:                             ;   in Loop: Header=BB272_1056 Depth=1
	v_and_b32_e32 v12, 0x7f, v3
	v_mov_b32_e32 v2, 0x7c010000
	s_mov_b32 s20, exec_lo
	v_cmpx_ne_u32_e32 0x7f, v12
	s_cbranch_execz .LBB272_1514
; %bb.1511:                             ;   in Loop: Header=BB272_1056 Depth=1
	v_and_b32_e32 v2, 7, v3
	v_lshrrev_b32_e32 v11, 3, v12
	s_mov_b32 s21, exec_lo
	v_cmpx_gt_u32_e32 8, v12
; %bb.1512:                             ;   in Loop: Header=BB272_1056 Depth=1
	v_ffbh_u32_e32 v2, v2
	v_min_u32_e32 v2, 32, v2
	v_subrev_nc_u32_e32 v11, 28, v2
	v_lshlrev_b64 v[112:113], v11, v[3:4]
	v_sub_nc_u32_e32 v11, 29, v2
	v_and_b32_e32 v2, 7, v112
; %bb.1513:                             ;   in Loop: Header=BB272_1056 Depth=1
	s_or_b32 exec_lo, exec_lo, s21
	v_lshlrev_b32_e32 v3, 8, v3
	v_lshl_add_u32 v11, v11, 10, 0x2000
	v_lshlrev_b32_e32 v2, 23, v2
	v_and_or_b32 v3, 0x8000, v3, v11
	v_lshl_or_b32 v2, v3, 16, v2
.LBB272_1514:                           ;   in Loop: Header=BB272_1056 Depth=1
	s_or_b32 exec_lo, exec_lo, s20
.LBB272_1515:                           ;   in Loop: Header=BB272_1056 Depth=1
	s_or_b32 exec_lo, exec_lo, s19
.LBB272_1516:                           ;   in Loop: Header=BB272_1056 Depth=1
	s_or_b32 exec_lo, exec_lo, s18
	v_or_b32_e32 v3, v26, v27
	s_waitcnt vmcnt(0) lgkmcnt(0)
	v_fma_mixlo_f16 v11, v0, v26, 0 op_sel:[0,1,0] op_sel_hi:[0,1,0]
	v_or_b32_e32 v18, v1, v18
	v_or_b32_e32 v26, v31, v30
	v_or_b32_e32 v27, v2, v28
	v_fma_mixlo_f16 v12, v0, v1, 0 op_sel:[0,1,0] op_sel_hi:[0,1,0]
	v_fma_mixlo_f16 v3, v0, v3, 0 op_sel_hi:[0,1,0]
	v_lshlrev_b32_e32 v1, 16, v11
	v_fma_mixlo_f16 v11, v0, v18, 0 op_sel_hi:[0,1,0]
	v_fma_mixlo_f16 v18, v0, v31, 0 op_sel:[0,1,0] op_sel_hi:[0,1,0]
	v_fma_mixlo_f16 v26, v0, v26, 0 op_sel_hi:[0,1,0]
	v_fma_mixlo_f16 v28, v0, v2, 0 op_sel:[0,1,0] op_sel_hi:[0,1,0]
	v_fma_mixlo_f16 v27, v0, v27, 0 op_sel_hi:[0,1,0]
	v_lshlrev_b32_e32 v12, 16, v12
	v_and_b32_e32 v3, 0xffff, v3
	v_and_b32_e32 v31, 0xffff, v11
	v_lshlrev_b32_e32 v2, 16, v18
	v_and_b32_e32 v26, 0xffff, v26
	v_lshlrev_b32_e32 v0, 16, v28
	v_and_b32_e32 v11, 0xffff, v27
	v_or_b32_e32 v18, v1, v3
	v_or_b32_e32 v30, v12, v31
	;; [unrolled: 1-line block ×4, first 2 shown]
	s_and_saveexec_b32 s18, vcc_lo
	s_cbranch_execz .LBB272_1518
; %bb.1517:                             ;   in Loop: Header=BB272_1056 Depth=1
	v_cmp_lt_i32_e64 s5, v64, v29
	v_cndmask_b32_e64 v18, 0, v31, s5
	v_cmp_lt_i32_e64 s5, v84, v29
	v_cndmask_b32_e64 v12, 0, v12, s5
	v_cmp_lt_i32_e64 s5, v83, v29
	v_or_b32_e32 v30, v18, v12
	v_cndmask_b32_e64 v3, 0, v3, s5
	v_cmp_lt_i32_e64 s5, v82, v29
	v_cndmask_b32_e64 v1, 0, v1, s5
	v_cmp_lt_i32_e64 s5, v81, v29
	v_or_b32_e32 v18, v3, v1
	;; [unrolled: 5-line block ×3, first 2 shown]
	v_cndmask_b32_e64 v11, 0, v11, s5
	v_cmp_lt_i32_e64 s5, v19, v29
	v_cndmask_b32_e64 v0, 0, v0, s5
	v_or_b32_e32 v27, v11, v0
.LBB272_1518:                           ;   in Loop: Header=BB272_1056 Depth=1
	s_or_b32 exec_lo, exec_lo, s18
	;;#ASMSTART
	v_pk_mul_f16 v0, v69, v30;

	;;#ASMEND
	;;#ASMSTART
	v_pk_mul_f16 v1, v67, v18;

	;;#ASMEND
	;; [unrolled: 4-line block ×4, first 2 shown]
	;;#ASMSTART
	v_pk_add_f16 v0, v0, v1;

	;;#ASMEND
	;;#ASMSTART
	v_pk_add_f16 v0, v0, v2;

	;;#ASMEND
	;; [unrolled: 4-line block ×3, first 2 shown]
	v_and_b32_e32 v1, 0xffff, v0
	v_lshrrev_b32_e32 v0, 16, v0
	;;#ASMSTART
	v_cvt_f32_f16 v103, v1;
	;;#ASMEND
	;;#ASMSTART
	v_cvt_f32_f16 v112, v0;
	;;#ASMEND
	flat_load_dwordx2 v[11:12], v[9:10] offset:1792
	flat_load_dword v0, v[22:23]
	v_mov_b32_e32 v1, 0
	v_mov_b32_e32 v18, 0
	s_waitcnt vmcnt(1) lgkmcnt(1)
	v_cmp_ne_u16_sdwa s5, v11, v4 src0_sel:BYTE_0 src1_sel:DWORD
	s_and_saveexec_b32 s18, s5
	s_cbranch_execz .LBB272_1526
; %bb.1519:                             ;   in Loop: Header=BB272_1056 Depth=1
	v_cmp_ne_u16_sdwa s5, v11, v34 src0_sel:BYTE_0 src1_sel:DWORD
	v_mov_b32_e32 v18, 0x8000
	s_and_saveexec_b32 s19, s5
	s_cbranch_execz .LBB272_1525
; %bb.1520:                             ;   in Loop: Header=BB272_1056 Depth=1
	v_and_b32_e32 v26, 0x7f, v11
	v_mov_b32_e32 v18, 0x7c01
	s_mov_b32 s20, exec_lo
	v_cmpx_ne_u32_e32 0x7f, v26
	s_cbranch_execz .LBB272_1524
; %bb.1521:                             ;   in Loop: Header=BB272_1056 Depth=1
	v_and_b32_e32 v2, 7, v11
	v_lshrrev_b32_e32 v3, 3, v26
	s_mov_b32 s21, exec_lo
	v_cmpx_gt_u32_e32 8, v26
; %bb.1522:                             ;   in Loop: Header=BB272_1056 Depth=1
	v_ffbh_u32_e32 v2, v2
	v_min_u32_e32 v18, 32, v2
	v_subrev_nc_u32_e32 v2, 28, v18
	v_lshlrev_b64 v[2:3], v2, v[11:12]
	v_sub_nc_u32_e32 v3, 29, v18
	v_and_b32_e32 v2, 7, v2
; %bb.1523:                             ;   in Loop: Header=BB272_1056 Depth=1
	s_or_b32 exec_lo, exec_lo, s21
	v_lshlrev_b32_e32 v18, 8, v11
	v_lshl_add_u32 v3, v3, 10, 0x2000
	v_lshlrev_b32_e32 v2, 7, v2
	v_and_b32_e32 v18, 0x8000, v18
	v_and_b32_e32 v3, 0xfc00, v3
	v_or3_b32 v18, v18, v3, v2
.LBB272_1524:                           ;   in Loop: Header=BB272_1056 Depth=1
	s_or_b32 exec_lo, exec_lo, s20
.LBB272_1525:                           ;   in Loop: Header=BB272_1056 Depth=1
	s_or_b32 exec_lo, exec_lo, s19
.LBB272_1526:                           ;   in Loop: Header=BB272_1056 Depth=1
	s_or_b32 exec_lo, exec_lo, s18
	v_lshrrev_b16 v3, 8, v11
	s_mov_b32 s18, exec_lo
	v_cmpx_ne_u16_e32 0, v3
	s_cbranch_execz .LBB272_1534
; %bb.1527:                             ;   in Loop: Header=BB272_1056 Depth=1
	v_bfrev_b32_e32 v1, 1
	s_mov_b32 s19, exec_lo
	v_cmpx_ne_u16_e32 0x80, v3
	s_cbranch_execz .LBB272_1533
; %bb.1528:                             ;   in Loop: Header=BB272_1056 Depth=1
	v_and_b32_sdwa v26, v3, v52 dst_sel:DWORD dst_unused:UNUSED_PAD src0_sel:WORD_0 src1_sel:DWORD
	v_mov_b32_e32 v1, 0x7c010000
	s_mov_b32 s20, exec_lo
	v_cmpx_ne_u32_e32 0x7f, v26
	s_cbranch_execz .LBB272_1532
; %bb.1529:                             ;   in Loop: Header=BB272_1056 Depth=1
	v_and_b32_sdwa v1, v3, v53 dst_sel:DWORD dst_unused:UNUSED_PAD src0_sel:WORD_0 src1_sel:DWORD
	v_lshrrev_b32_e32 v2, 3, v26
	s_mov_b32 s21, exec_lo
	v_cmpx_gt_u32_e32 8, v26
; %bb.1530:                             ;   in Loop: Header=BB272_1056 Depth=1
	v_ffbh_u32_e32 v1, v1
	v_min_u32_e32 v26, 32, v1
	v_subrev_nc_u32_e32 v1, 28, v26
	v_lshlrev_b64 v[1:2], v1, v[3:4]
	v_sub_nc_u32_e32 v2, 29, v26
	v_and_b32_e32 v1, 7, v1
; %bb.1531:                             ;   in Loop: Header=BB272_1056 Depth=1
	s_or_b32 exec_lo, exec_lo, s21
	v_lshlrev_b32_sdwa v3, v54, v3 dst_sel:DWORD dst_unused:UNUSED_PAD src0_sel:DWORD src1_sel:WORD_0
	v_lshl_add_u32 v2, v2, 10, 0x2000
	v_lshlrev_b32_e32 v1, 23, v1
	v_and_or_b32 v2, 0x8000, v3, v2
	v_lshl_or_b32 v1, v2, 16, v1
.LBB272_1532:                           ;   in Loop: Header=BB272_1056 Depth=1
	s_or_b32 exec_lo, exec_lo, s20
.LBB272_1533:                           ;   in Loop: Header=BB272_1056 Depth=1
	s_or_b32 exec_lo, exec_lo, s19
.LBB272_1534:                           ;   in Loop: Header=BB272_1056 Depth=1
	s_or_b32 exec_lo, exec_lo, s18
	v_lshrrev_b32_e32 v2, 16, v11
	v_mov_b32_e32 v26, 0
	v_mov_b32_e32 v27, 0
	v_cmp_ne_u16_sdwa s5, v2, v4 src0_sel:BYTE_0 src1_sel:DWORD
	s_and_saveexec_b32 s18, s5
	s_cbranch_execz .LBB272_1542
; %bb.1535:                             ;   in Loop: Header=BB272_1056 Depth=1
	v_cmp_ne_u16_sdwa s5, v2, v34 src0_sel:BYTE_0 src1_sel:DWORD
	v_mov_b32_e32 v27, 0x8000
	s_and_saveexec_b32 s19, s5
	s_cbranch_execz .LBB272_1541
; %bb.1536:                             ;   in Loop: Header=BB272_1056 Depth=1
	v_bfe_u32 v28, v11, 16, 7
	v_mov_b32_e32 v27, 0x7c01
	s_mov_b32 s20, exec_lo
	v_cmpx_ne_u32_e32 0x7f, v28
	s_cbranch_execz .LBB272_1540
; %bb.1537:                             ;   in Loop: Header=BB272_1056 Depth=1
	v_and_b32_e32 v3, 7, v2
	v_lshrrev_b32_e32 v27, 3, v28
	s_mov_b32 s21, exec_lo
	v_cmpx_gt_u32_e32 8, v28
; %bb.1538:                             ;   in Loop: Header=BB272_1056 Depth=1
	v_ffbh_u32_e32 v3, v3
	v_min_u32_e32 v3, 32, v3
	v_subrev_nc_u32_e32 v27, 28, v3
	v_lshlrev_b64 v[30:31], v27, v[2:3]
	v_sub_nc_u32_e32 v27, 29, v3
	v_and_b32_e32 v3, 7, v30
; %bb.1539:                             ;   in Loop: Header=BB272_1056 Depth=1
	s_or_b32 exec_lo, exec_lo, s21
	v_lshlrev_b32_e32 v2, 8, v2
	v_lshl_add_u32 v27, v27, 10, 0x2000
	v_lshlrev_b32_e32 v3, 7, v3
	v_and_b32_e32 v2, 0x8000, v2
	v_and_b32_e32 v27, 0xfc00, v27
	v_or3_b32 v27, v2, v27, v3
.LBB272_1540:                           ;   in Loop: Header=BB272_1056 Depth=1
	s_or_b32 exec_lo, exec_lo, s20
.LBB272_1541:                           ;   in Loop: Header=BB272_1056 Depth=1
	s_or_b32 exec_lo, exec_lo, s19
.LBB272_1542:                           ;   in Loop: Header=BB272_1056 Depth=1
	s_or_b32 exec_lo, exec_lo, s18
	s_mov_b32 s18, exec_lo
	v_cmpx_lt_u32_e32 0xffffff, v11
	s_cbranch_execz .LBB272_1550
; %bb.1543:                             ;   in Loop: Header=BB272_1056 Depth=1
	v_lshrrev_b32_e32 v3, 24, v11
	v_bfrev_b32_e32 v26, 1
	s_mov_b32 s19, exec_lo
	v_cmpx_ne_u32_e32 0x80, v3
	s_cbranch_execz .LBB272_1549
; %bb.1544:                             ;   in Loop: Header=BB272_1056 Depth=1
	v_and_b32_e32 v28, 0x7f, v3
	v_mov_b32_e32 v26, 0x7c010000
	s_mov_b32 s20, exec_lo
	v_cmpx_ne_u32_e32 0x7f, v28
	s_cbranch_execz .LBB272_1548
; %bb.1545:                             ;   in Loop: Header=BB272_1056 Depth=1
	v_and_b32_e32 v2, 7, v3
	v_lshrrev_b32_e32 v26, 3, v28
	s_mov_b32 s21, exec_lo
	v_cmpx_gt_u32_e32 8, v28
; %bb.1546:                             ;   in Loop: Header=BB272_1056 Depth=1
	v_ffbh_u32_e32 v2, v2
	v_min_u32_e32 v2, 32, v2
	v_subrev_nc_u32_e32 v26, 28, v2
	v_lshlrev_b64 v[30:31], v26, v[3:4]
	v_sub_nc_u32_e32 v26, 29, v2
	v_and_b32_e32 v2, 7, v30
; %bb.1547:                             ;   in Loop: Header=BB272_1056 Depth=1
	s_or_b32 exec_lo, exec_lo, s21
	v_lshlrev_b32_e32 v3, 8, v3
	v_lshl_add_u32 v26, v26, 10, 0x2000
	v_lshlrev_b32_e32 v2, 23, v2
	v_and_or_b32 v3, 0x8000, v3, v26
	v_lshl_or_b32 v26, v3, 16, v2
.LBB272_1548:                           ;   in Loop: Header=BB272_1056 Depth=1
	s_or_b32 exec_lo, exec_lo, s20
.LBB272_1549:                           ;   in Loop: Header=BB272_1056 Depth=1
	s_or_b32 exec_lo, exec_lo, s19
.LBB272_1550:                           ;   in Loop: Header=BB272_1056 Depth=1
	s_or_b32 exec_lo, exec_lo, s18
	v_mov_b32_e32 v3, v12
	v_cmp_ne_u16_sdwa s5, v12, v4 src0_sel:BYTE_0 src1_sel:DWORD
	v_mov_b32_e32 v28, 0
	v_mov_b32_e32 v30, 0
	s_and_saveexec_b32 s18, s5
	s_cbranch_execz .LBB272_1558
; %bb.1551:                             ;   in Loop: Header=BB272_1056 Depth=1
	v_cmp_ne_u16_sdwa s5, v12, v34 src0_sel:BYTE_0 src1_sel:DWORD
	v_mov_b32_e32 v30, 0x8000
	s_and_saveexec_b32 s19, s5
	s_cbranch_execz .LBB272_1557
; %bb.1552:                             ;   in Loop: Header=BB272_1056 Depth=1
	v_and_b32_e32 v31, 0x7f, v12
	v_mov_b32_e32 v30, 0x7c01
	s_mov_b32 s20, exec_lo
	v_cmpx_ne_u32_e32 0x7f, v31
	s_cbranch_execz .LBB272_1556
; %bb.1553:                             ;   in Loop: Header=BB272_1056 Depth=1
	v_and_b32_e32 v2, 7, v12
	v_lshrrev_b32_e32 v30, 3, v31
	s_mov_b32 s21, exec_lo
	v_cmpx_gt_u32_e32 8, v31
; %bb.1554:                             ;   in Loop: Header=BB272_1056 Depth=1
	v_ffbh_u32_e32 v2, v2
	v_min_u32_e32 v2, 32, v2
	v_subrev_nc_u32_e32 v30, 28, v2
	v_lshlrev_b64 v[113:114], v30, v[3:4]
	v_sub_nc_u32_e32 v30, 29, v2
	v_and_b32_e32 v2, 7, v113
; %bb.1555:                             ;   in Loop: Header=BB272_1056 Depth=1
	s_or_b32 exec_lo, exec_lo, s21
	v_lshlrev_b32_e32 v31, 8, v12
	v_lshl_add_u32 v30, v30, 10, 0x2000
	v_lshlrev_b32_e32 v2, 7, v2
	v_and_b32_e32 v31, 0x8000, v31
	v_and_b32_e32 v30, 0xfc00, v30
	v_or3_b32 v30, v31, v30, v2
.LBB272_1556:                           ;   in Loop: Header=BB272_1056 Depth=1
	s_or_b32 exec_lo, exec_lo, s20
.LBB272_1557:                           ;   in Loop: Header=BB272_1056 Depth=1
	s_or_b32 exec_lo, exec_lo, s19
.LBB272_1558:                           ;   in Loop: Header=BB272_1056 Depth=1
	s_or_b32 exec_lo, exec_lo, s18
	v_lshrrev_b16 v3, 8, v3
	v_mov_b32_e32 v31, 0
	s_mov_b32 s18, exec_lo
	v_cmpx_ne_u16_e32 0, v3
	s_cbranch_execz .LBB272_1566
; %bb.1559:                             ;   in Loop: Header=BB272_1056 Depth=1
	v_bfrev_b32_e32 v31, 1
	s_mov_b32 s19, exec_lo
	v_cmpx_ne_u16_e32 0x80, v3
	s_cbranch_execz .LBB272_1565
; %bb.1560:                             ;   in Loop: Header=BB272_1056 Depth=1
	v_and_b32_sdwa v113, v3, v52 dst_sel:DWORD dst_unused:UNUSED_PAD src0_sel:WORD_0 src1_sel:DWORD
	v_mov_b32_e32 v31, 0x7c010000
	s_mov_b32 s20, exec_lo
	v_cmpx_ne_u32_e32 0x7f, v113
	s_cbranch_execz .LBB272_1564
; %bb.1561:                             ;   in Loop: Header=BB272_1056 Depth=1
	v_and_b32_sdwa v2, v3, v53 dst_sel:DWORD dst_unused:UNUSED_PAD src0_sel:WORD_0 src1_sel:DWORD
	v_lshrrev_b32_e32 v31, 3, v113
	s_mov_b32 s21, exec_lo
	v_cmpx_gt_u32_e32 8, v113
; %bb.1562:                             ;   in Loop: Header=BB272_1056 Depth=1
	v_ffbh_u32_e32 v2, v2
	v_min_u32_e32 v2, 32, v2
	v_subrev_nc_u32_e32 v31, 28, v2
	v_lshlrev_b64 v[113:114], v31, v[3:4]
	v_sub_nc_u32_e32 v31, 29, v2
	v_and_b32_e32 v2, 7, v113
; %bb.1563:                             ;   in Loop: Header=BB272_1056 Depth=1
	s_or_b32 exec_lo, exec_lo, s21
	v_lshlrev_b32_sdwa v3, v54, v3 dst_sel:DWORD dst_unused:UNUSED_PAD src0_sel:DWORD src1_sel:WORD_0
	v_lshl_add_u32 v31, v31, 10, 0x2000
	v_lshlrev_b32_e32 v2, 23, v2
	v_and_or_b32 v3, 0x8000, v3, v31
	v_lshl_or_b32 v31, v3, 16, v2
.LBB272_1564:                           ;   in Loop: Header=BB272_1056 Depth=1
	s_or_b32 exec_lo, exec_lo, s20
.LBB272_1565:                           ;   in Loop: Header=BB272_1056 Depth=1
	s_or_b32 exec_lo, exec_lo, s19
.LBB272_1566:                           ;   in Loop: Header=BB272_1056 Depth=1
	s_or_b32 exec_lo, exec_lo, s18
	v_lshrrev_b32_e32 v2, 16, v12
	v_cmp_ne_u16_sdwa s5, v2, v4 src0_sel:BYTE_0 src1_sel:DWORD
	s_and_saveexec_b32 s18, s5
	s_cbranch_execz .LBB272_1574
; %bb.1567:                             ;   in Loop: Header=BB272_1056 Depth=1
	v_cmp_ne_u16_sdwa s5, v2, v34 src0_sel:BYTE_0 src1_sel:DWORD
	v_mov_b32_e32 v28, 0x8000
	s_and_saveexec_b32 s19, s5
	s_cbranch_execz .LBB272_1573
; %bb.1568:                             ;   in Loop: Header=BB272_1056 Depth=1
	v_bfe_u32 v113, v12, 16, 7
	v_mov_b32_e32 v28, 0x7c01
	s_mov_b32 s20, exec_lo
	v_cmpx_ne_u32_e32 0x7f, v113
	s_cbranch_execz .LBB272_1572
; %bb.1569:                             ;   in Loop: Header=BB272_1056 Depth=1
	v_and_b32_e32 v3, 7, v2
	v_lshrrev_b32_e32 v28, 3, v113
	s_mov_b32 s21, exec_lo
	v_cmpx_gt_u32_e32 8, v113
; %bb.1570:                             ;   in Loop: Header=BB272_1056 Depth=1
	v_ffbh_u32_e32 v3, v3
	v_min_u32_e32 v3, 32, v3
	v_subrev_nc_u32_e32 v28, 28, v3
	v_lshlrev_b64 v[113:114], v28, v[2:3]
	v_sub_nc_u32_e32 v28, 29, v3
	v_and_b32_e32 v3, 7, v113
; %bb.1571:                             ;   in Loop: Header=BB272_1056 Depth=1
	s_or_b32 exec_lo, exec_lo, s21
	v_lshlrev_b32_e32 v2, 8, v2
	v_lshl_add_u32 v28, v28, 10, 0x2000
	v_lshlrev_b32_e32 v3, 7, v3
	v_and_b32_e32 v2, 0x8000, v2
	v_and_b32_e32 v28, 0xfc00, v28
	v_or3_b32 v28, v2, v28, v3
.LBB272_1572:                           ;   in Loop: Header=BB272_1056 Depth=1
	s_or_b32 exec_lo, exec_lo, s20
.LBB272_1573:                           ;   in Loop: Header=BB272_1056 Depth=1
	s_or_b32 exec_lo, exec_lo, s19
.LBB272_1574:                           ;   in Loop: Header=BB272_1056 Depth=1
	s_or_b32 exec_lo, exec_lo, s18
	v_mov_b32_e32 v2, 0
	s_mov_b32 s18, exec_lo
	v_cmpx_lt_u64_e64 s[6:7], v[11:12]
	s_cbranch_execz .LBB272_1582
; %bb.1575:                             ;   in Loop: Header=BB272_1056 Depth=1
	v_lshrrev_b32_e32 v3, 24, v12
	v_bfrev_b32_e32 v2, 1
	s_mov_b32 s19, exec_lo
	v_cmpx_ne_u32_e32 0x80, v3
	s_cbranch_execz .LBB272_1581
; %bb.1576:                             ;   in Loop: Header=BB272_1056 Depth=1
	v_and_b32_e32 v12, 0x7f, v3
	v_mov_b32_e32 v2, 0x7c010000
	s_mov_b32 s20, exec_lo
	v_cmpx_ne_u32_e32 0x7f, v12
	s_cbranch_execz .LBB272_1580
; %bb.1577:                             ;   in Loop: Header=BB272_1056 Depth=1
	v_and_b32_e32 v2, 7, v3
	v_lshrrev_b32_e32 v11, 3, v12
	s_mov_b32 s21, exec_lo
	v_cmpx_gt_u32_e32 8, v12
; %bb.1578:                             ;   in Loop: Header=BB272_1056 Depth=1
	v_ffbh_u32_e32 v2, v2
	v_min_u32_e32 v2, 32, v2
	v_subrev_nc_u32_e32 v11, 28, v2
	v_lshlrev_b64 v[113:114], v11, v[3:4]
	v_sub_nc_u32_e32 v11, 29, v2
	v_and_b32_e32 v2, 7, v113
; %bb.1579:                             ;   in Loop: Header=BB272_1056 Depth=1
	s_or_b32 exec_lo, exec_lo, s21
	v_lshlrev_b32_e32 v3, 8, v3
	v_lshl_add_u32 v11, v11, 10, 0x2000
	v_lshlrev_b32_e32 v2, 23, v2
	v_and_or_b32 v3, 0x8000, v3, v11
	v_lshl_or_b32 v2, v3, 16, v2
.LBB272_1580:                           ;   in Loop: Header=BB272_1056 Depth=1
	s_or_b32 exec_lo, exec_lo, s20
.LBB272_1581:                           ;   in Loop: Header=BB272_1056 Depth=1
	s_or_b32 exec_lo, exec_lo, s19
.LBB272_1582:                           ;   in Loop: Header=BB272_1056 Depth=1
	s_or_b32 exec_lo, exec_lo, s18
	v_or_b32_e32 v3, v26, v27
	s_waitcnt vmcnt(0) lgkmcnt(0)
	v_fma_mixlo_f16 v11, v0, v26, 0 op_sel:[0,1,0] op_sel_hi:[0,1,0]
	v_or_b32_e32 v18, v1, v18
	v_or_b32_e32 v26, v31, v30
	;; [unrolled: 1-line block ×3, first 2 shown]
	v_fma_mixlo_f16 v12, v0, v1, 0 op_sel:[0,1,0] op_sel_hi:[0,1,0]
	v_fma_mixlo_f16 v3, v0, v3, 0 op_sel_hi:[0,1,0]
	v_lshlrev_b32_e32 v1, 16, v11
	v_fma_mixlo_f16 v11, v0, v18, 0 op_sel_hi:[0,1,0]
	v_fma_mixlo_f16 v18, v0, v31, 0 op_sel:[0,1,0] op_sel_hi:[0,1,0]
	v_fma_mixlo_f16 v26, v0, v26, 0 op_sel_hi:[0,1,0]
	v_fma_mixlo_f16 v28, v0, v2, 0 op_sel:[0,1,0] op_sel_hi:[0,1,0]
	v_fma_mixlo_f16 v27, v0, v27, 0 op_sel_hi:[0,1,0]
	v_lshlrev_b32_e32 v12, 16, v12
	v_and_b32_e32 v3, 0xffff, v3
	v_and_b32_e32 v31, 0xffff, v11
	v_lshlrev_b32_e32 v2, 16, v18
	v_and_b32_e32 v26, 0xffff, v26
	v_lshlrev_b32_e32 v0, 16, v28
	v_and_b32_e32 v11, 0xffff, v27
	v_or_b32_e32 v18, v1, v3
	v_or_b32_e32 v30, v12, v31
	;; [unrolled: 1-line block ×4, first 2 shown]
	s_and_saveexec_b32 s18, vcc_lo
	s_cbranch_execz .LBB272_1584
; %bb.1583:                             ;   in Loop: Header=BB272_1056 Depth=1
	v_cmp_lt_i32_e64 s5, v64, v29
	v_cndmask_b32_e64 v18, 0, v31, s5
	v_cmp_lt_i32_e64 s5, v84, v29
	v_cndmask_b32_e64 v12, 0, v12, s5
	v_cmp_lt_i32_e64 s5, v83, v29
	v_or_b32_e32 v30, v18, v12
	v_cndmask_b32_e64 v3, 0, v3, s5
	v_cmp_lt_i32_e64 s5, v82, v29
	v_cndmask_b32_e64 v1, 0, v1, s5
	v_cmp_lt_i32_e64 s5, v81, v29
	v_or_b32_e32 v18, v3, v1
	;; [unrolled: 5-line block ×3, first 2 shown]
	v_cndmask_b32_e64 v11, 0, v11, s5
	v_cmp_lt_i32_e64 s5, v19, v29
	v_cndmask_b32_e64 v0, 0, v0, s5
	v_or_b32_e32 v27, v11, v0
.LBB272_1584:                           ;   in Loop: Header=BB272_1056 Depth=1
	s_or_b32 exec_lo, exec_lo, s18
	v_add_co_u32 v9, s5, 0x800, v9
	;;#ASMSTART
	v_pk_mul_f16 v0, v69, v30;

	;;#ASMEND
	v_add_co_ci_u32_e64 v10, null, 0, v10, s5
	;;#ASMSTART
	v_pk_mul_f16 v1, v67, v18;

	;;#ASMEND
	;;#ASMSTART
	v_pk_mul_f16 v2, v66, v28;

	;;#ASMEND
	;; [unrolled: 4-line block ×3, first 2 shown]
	;;#ASMSTART
	v_pk_add_f16 v0, v0, v1;

	;;#ASMEND
	;;#ASMSTART
	v_pk_add_f16 v0, v0, v2;

	;;#ASMEND
	;; [unrolled: 4-line block ×3, first 2 shown]
	v_lshrrev_b32_e32 v1, 16, v0
	v_and_b32_e32 v0, 0xffff, v0
	;;#ASMSTART
	v_cvt_f32_f16 v113, v0;
	;;#ASMEND
	;;#ASMSTART
	v_cvt_f32_f16 v114, v1;
	;;#ASMEND
	flat_load_dwordx2 v[11:12], v[9:10]
	flat_load_dword v0, v[22:23]
	v_mov_b32_e32 v1, 0
	v_mov_b32_e32 v18, 0
	s_waitcnt vmcnt(1) lgkmcnt(1)
	v_cmp_ne_u16_sdwa s5, v11, v4 src0_sel:BYTE_0 src1_sel:DWORD
	s_and_saveexec_b32 s18, s5
	s_cbranch_execz .LBB272_1592
; %bb.1585:                             ;   in Loop: Header=BB272_1056 Depth=1
	v_cmp_ne_u16_sdwa s5, v11, v34 src0_sel:BYTE_0 src1_sel:DWORD
	v_mov_b32_e32 v18, 0x8000
	s_and_saveexec_b32 s19, s5
	s_cbranch_execz .LBB272_1591
; %bb.1586:                             ;   in Loop: Header=BB272_1056 Depth=1
	v_and_b32_e32 v26, 0x7f, v11
	v_mov_b32_e32 v18, 0x7c01
	s_mov_b32 s20, exec_lo
	v_cmpx_ne_u32_e32 0x7f, v26
	s_cbranch_execz .LBB272_1590
; %bb.1587:                             ;   in Loop: Header=BB272_1056 Depth=1
	v_and_b32_e32 v2, 7, v11
	v_lshrrev_b32_e32 v3, 3, v26
	s_mov_b32 s21, exec_lo
	v_cmpx_gt_u32_e32 8, v26
; %bb.1588:                             ;   in Loop: Header=BB272_1056 Depth=1
	v_ffbh_u32_e32 v2, v2
	v_min_u32_e32 v18, 32, v2
	v_subrev_nc_u32_e32 v2, 28, v18
	v_lshlrev_b64 v[2:3], v2, v[11:12]
	v_sub_nc_u32_e32 v3, 29, v18
	v_and_b32_e32 v2, 7, v2
; %bb.1589:                             ;   in Loop: Header=BB272_1056 Depth=1
	s_or_b32 exec_lo, exec_lo, s21
	v_lshlrev_b32_e32 v18, 8, v11
	v_lshl_add_u32 v3, v3, 10, 0x2000
	v_lshlrev_b32_e32 v2, 7, v2
	v_and_b32_e32 v18, 0x8000, v18
	v_and_b32_e32 v3, 0xfc00, v3
	v_or3_b32 v18, v18, v3, v2
.LBB272_1590:                           ;   in Loop: Header=BB272_1056 Depth=1
	s_or_b32 exec_lo, exec_lo, s20
.LBB272_1591:                           ;   in Loop: Header=BB272_1056 Depth=1
	s_or_b32 exec_lo, exec_lo, s19
.LBB272_1592:                           ;   in Loop: Header=BB272_1056 Depth=1
	s_or_b32 exec_lo, exec_lo, s18
	v_lshrrev_b16 v3, 8, v11
	s_mov_b32 s18, exec_lo
	v_cmpx_ne_u16_e32 0, v3
	s_cbranch_execz .LBB272_1600
; %bb.1593:                             ;   in Loop: Header=BB272_1056 Depth=1
	v_bfrev_b32_e32 v1, 1
	s_mov_b32 s19, exec_lo
	v_cmpx_ne_u16_e32 0x80, v3
	s_cbranch_execz .LBB272_1599
; %bb.1594:                             ;   in Loop: Header=BB272_1056 Depth=1
	v_and_b32_sdwa v26, v3, v52 dst_sel:DWORD dst_unused:UNUSED_PAD src0_sel:WORD_0 src1_sel:DWORD
	v_mov_b32_e32 v1, 0x7c010000
	s_mov_b32 s20, exec_lo
	v_cmpx_ne_u32_e32 0x7f, v26
	s_cbranch_execz .LBB272_1598
; %bb.1595:                             ;   in Loop: Header=BB272_1056 Depth=1
	v_and_b32_sdwa v1, v3, v53 dst_sel:DWORD dst_unused:UNUSED_PAD src0_sel:WORD_0 src1_sel:DWORD
	v_lshrrev_b32_e32 v2, 3, v26
	s_mov_b32 s21, exec_lo
	v_cmpx_gt_u32_e32 8, v26
; %bb.1596:                             ;   in Loop: Header=BB272_1056 Depth=1
	v_ffbh_u32_e32 v1, v1
	v_min_u32_e32 v26, 32, v1
	v_subrev_nc_u32_e32 v1, 28, v26
	v_lshlrev_b64 v[1:2], v1, v[3:4]
	v_sub_nc_u32_e32 v2, 29, v26
	v_and_b32_e32 v1, 7, v1
; %bb.1597:                             ;   in Loop: Header=BB272_1056 Depth=1
	s_or_b32 exec_lo, exec_lo, s21
	v_lshlrev_b32_sdwa v3, v54, v3 dst_sel:DWORD dst_unused:UNUSED_PAD src0_sel:DWORD src1_sel:WORD_0
	v_lshl_add_u32 v2, v2, 10, 0x2000
	v_lshlrev_b32_e32 v1, 23, v1
	v_and_or_b32 v2, 0x8000, v3, v2
	v_lshl_or_b32 v1, v2, 16, v1
.LBB272_1598:                           ;   in Loop: Header=BB272_1056 Depth=1
	s_or_b32 exec_lo, exec_lo, s20
.LBB272_1599:                           ;   in Loop: Header=BB272_1056 Depth=1
	s_or_b32 exec_lo, exec_lo, s19
.LBB272_1600:                           ;   in Loop: Header=BB272_1056 Depth=1
	s_or_b32 exec_lo, exec_lo, s18
	v_lshrrev_b32_e32 v2, 16, v11
	v_mov_b32_e32 v26, 0
	v_mov_b32_e32 v27, 0
	v_cmp_ne_u16_sdwa s5, v2, v4 src0_sel:BYTE_0 src1_sel:DWORD
	s_and_saveexec_b32 s18, s5
	s_cbranch_execz .LBB272_1608
; %bb.1601:                             ;   in Loop: Header=BB272_1056 Depth=1
	v_cmp_ne_u16_sdwa s5, v2, v34 src0_sel:BYTE_0 src1_sel:DWORD
	v_mov_b32_e32 v27, 0x8000
	s_and_saveexec_b32 s19, s5
	s_cbranch_execz .LBB272_1607
; %bb.1602:                             ;   in Loop: Header=BB272_1056 Depth=1
	v_bfe_u32 v28, v11, 16, 7
	v_mov_b32_e32 v27, 0x7c01
	s_mov_b32 s20, exec_lo
	v_cmpx_ne_u32_e32 0x7f, v28
	s_cbranch_execz .LBB272_1606
; %bb.1603:                             ;   in Loop: Header=BB272_1056 Depth=1
	v_and_b32_e32 v3, 7, v2
	v_lshrrev_b32_e32 v27, 3, v28
	s_mov_b32 s21, exec_lo
	v_cmpx_gt_u32_e32 8, v28
; %bb.1604:                             ;   in Loop: Header=BB272_1056 Depth=1
	v_ffbh_u32_e32 v3, v3
	v_min_u32_e32 v3, 32, v3
	v_subrev_nc_u32_e32 v27, 28, v3
	v_lshlrev_b64 v[30:31], v27, v[2:3]
	v_sub_nc_u32_e32 v27, 29, v3
	v_and_b32_e32 v3, 7, v30
; %bb.1605:                             ;   in Loop: Header=BB272_1056 Depth=1
	s_or_b32 exec_lo, exec_lo, s21
	v_lshlrev_b32_e32 v2, 8, v2
	v_lshl_add_u32 v27, v27, 10, 0x2000
	v_lshlrev_b32_e32 v3, 7, v3
	v_and_b32_e32 v2, 0x8000, v2
	v_and_b32_e32 v27, 0xfc00, v27
	v_or3_b32 v27, v2, v27, v3
.LBB272_1606:                           ;   in Loop: Header=BB272_1056 Depth=1
	s_or_b32 exec_lo, exec_lo, s20
.LBB272_1607:                           ;   in Loop: Header=BB272_1056 Depth=1
	s_or_b32 exec_lo, exec_lo, s19
.LBB272_1608:                           ;   in Loop: Header=BB272_1056 Depth=1
	s_or_b32 exec_lo, exec_lo, s18
	s_mov_b32 s18, exec_lo
	v_cmpx_lt_u32_e32 0xffffff, v11
	s_cbranch_execz .LBB272_1616
; %bb.1609:                             ;   in Loop: Header=BB272_1056 Depth=1
	v_lshrrev_b32_e32 v3, 24, v11
	v_bfrev_b32_e32 v26, 1
	s_mov_b32 s19, exec_lo
	v_cmpx_ne_u32_e32 0x80, v3
	s_cbranch_execz .LBB272_1615
; %bb.1610:                             ;   in Loop: Header=BB272_1056 Depth=1
	v_and_b32_e32 v28, 0x7f, v3
	v_mov_b32_e32 v26, 0x7c010000
	s_mov_b32 s20, exec_lo
	v_cmpx_ne_u32_e32 0x7f, v28
	s_cbranch_execz .LBB272_1614
; %bb.1611:                             ;   in Loop: Header=BB272_1056 Depth=1
	v_and_b32_e32 v2, 7, v3
	v_lshrrev_b32_e32 v26, 3, v28
	s_mov_b32 s21, exec_lo
	v_cmpx_gt_u32_e32 8, v28
; %bb.1612:                             ;   in Loop: Header=BB272_1056 Depth=1
	v_ffbh_u32_e32 v2, v2
	v_min_u32_e32 v2, 32, v2
	v_subrev_nc_u32_e32 v26, 28, v2
	v_lshlrev_b64 v[30:31], v26, v[3:4]
	v_sub_nc_u32_e32 v26, 29, v2
	v_and_b32_e32 v2, 7, v30
; %bb.1613:                             ;   in Loop: Header=BB272_1056 Depth=1
	s_or_b32 exec_lo, exec_lo, s21
	v_lshlrev_b32_e32 v3, 8, v3
	v_lshl_add_u32 v26, v26, 10, 0x2000
	v_lshlrev_b32_e32 v2, 23, v2
	v_and_or_b32 v3, 0x8000, v3, v26
	v_lshl_or_b32 v26, v3, 16, v2
.LBB272_1614:                           ;   in Loop: Header=BB272_1056 Depth=1
	s_or_b32 exec_lo, exec_lo, s20
.LBB272_1615:                           ;   in Loop: Header=BB272_1056 Depth=1
	s_or_b32 exec_lo, exec_lo, s19
.LBB272_1616:                           ;   in Loop: Header=BB272_1056 Depth=1
	s_or_b32 exec_lo, exec_lo, s18
	v_mov_b32_e32 v3, v12
	v_cmp_ne_u16_sdwa s5, v12, v4 src0_sel:BYTE_0 src1_sel:DWORD
	v_mov_b32_e32 v28, 0
	v_mov_b32_e32 v30, 0
	s_and_saveexec_b32 s18, s5
	s_cbranch_execz .LBB272_1624
; %bb.1617:                             ;   in Loop: Header=BB272_1056 Depth=1
	v_cmp_ne_u16_sdwa s5, v12, v34 src0_sel:BYTE_0 src1_sel:DWORD
	v_mov_b32_e32 v30, 0x8000
	s_and_saveexec_b32 s19, s5
	s_cbranch_execz .LBB272_1623
; %bb.1618:                             ;   in Loop: Header=BB272_1056 Depth=1
	v_and_b32_e32 v31, 0x7f, v12
	v_mov_b32_e32 v30, 0x7c01
	s_mov_b32 s20, exec_lo
	v_cmpx_ne_u32_e32 0x7f, v31
	s_cbranch_execz .LBB272_1622
; %bb.1619:                             ;   in Loop: Header=BB272_1056 Depth=1
	v_and_b32_e32 v2, 7, v12
	v_lshrrev_b32_e32 v30, 3, v31
	s_mov_b32 s21, exec_lo
	v_cmpx_gt_u32_e32 8, v31
; %bb.1620:                             ;   in Loop: Header=BB272_1056 Depth=1
	v_ffbh_u32_e32 v2, v2
	v_min_u32_e32 v2, 32, v2
	v_subrev_nc_u32_e32 v30, 28, v2
	v_lshlrev_b64 v[115:116], v30, v[3:4]
	v_sub_nc_u32_e32 v30, 29, v2
	v_and_b32_e32 v2, 7, v115
; %bb.1621:                             ;   in Loop: Header=BB272_1056 Depth=1
	s_or_b32 exec_lo, exec_lo, s21
	v_lshlrev_b32_e32 v31, 8, v12
	v_lshl_add_u32 v30, v30, 10, 0x2000
	v_lshlrev_b32_e32 v2, 7, v2
	v_and_b32_e32 v31, 0x8000, v31
	v_and_b32_e32 v30, 0xfc00, v30
	v_or3_b32 v30, v31, v30, v2
.LBB272_1622:                           ;   in Loop: Header=BB272_1056 Depth=1
	s_or_b32 exec_lo, exec_lo, s20
.LBB272_1623:                           ;   in Loop: Header=BB272_1056 Depth=1
	s_or_b32 exec_lo, exec_lo, s19
.LBB272_1624:                           ;   in Loop: Header=BB272_1056 Depth=1
	s_or_b32 exec_lo, exec_lo, s18
	v_lshrrev_b16 v3, 8, v3
	v_mov_b32_e32 v31, 0
	s_mov_b32 s18, exec_lo
	v_cmpx_ne_u16_e32 0, v3
	s_cbranch_execz .LBB272_1632
; %bb.1625:                             ;   in Loop: Header=BB272_1056 Depth=1
	v_bfrev_b32_e32 v31, 1
	s_mov_b32 s19, exec_lo
	v_cmpx_ne_u16_e32 0x80, v3
	s_cbranch_execz .LBB272_1631
; %bb.1626:                             ;   in Loop: Header=BB272_1056 Depth=1
	v_and_b32_sdwa v115, v3, v52 dst_sel:DWORD dst_unused:UNUSED_PAD src0_sel:WORD_0 src1_sel:DWORD
	v_mov_b32_e32 v31, 0x7c010000
	s_mov_b32 s20, exec_lo
	v_cmpx_ne_u32_e32 0x7f, v115
	s_cbranch_execz .LBB272_1630
; %bb.1627:                             ;   in Loop: Header=BB272_1056 Depth=1
	v_and_b32_sdwa v2, v3, v53 dst_sel:DWORD dst_unused:UNUSED_PAD src0_sel:WORD_0 src1_sel:DWORD
	v_lshrrev_b32_e32 v31, 3, v115
	s_mov_b32 s21, exec_lo
	v_cmpx_gt_u32_e32 8, v115
; %bb.1628:                             ;   in Loop: Header=BB272_1056 Depth=1
	v_ffbh_u32_e32 v2, v2
	v_min_u32_e32 v2, 32, v2
	v_subrev_nc_u32_e32 v31, 28, v2
	v_lshlrev_b64 v[115:116], v31, v[3:4]
	v_sub_nc_u32_e32 v31, 29, v2
	v_and_b32_e32 v2, 7, v115
; %bb.1629:                             ;   in Loop: Header=BB272_1056 Depth=1
	s_or_b32 exec_lo, exec_lo, s21
	v_lshlrev_b32_sdwa v3, v54, v3 dst_sel:DWORD dst_unused:UNUSED_PAD src0_sel:DWORD src1_sel:WORD_0
	v_lshl_add_u32 v31, v31, 10, 0x2000
	v_lshlrev_b32_e32 v2, 23, v2
	v_and_or_b32 v3, 0x8000, v3, v31
	v_lshl_or_b32 v31, v3, 16, v2
.LBB272_1630:                           ;   in Loop: Header=BB272_1056 Depth=1
	s_or_b32 exec_lo, exec_lo, s20
.LBB272_1631:                           ;   in Loop: Header=BB272_1056 Depth=1
	s_or_b32 exec_lo, exec_lo, s19
.LBB272_1632:                           ;   in Loop: Header=BB272_1056 Depth=1
	s_or_b32 exec_lo, exec_lo, s18
	v_lshrrev_b32_e32 v2, 16, v12
	v_cmp_ne_u16_sdwa s5, v2, v4 src0_sel:BYTE_0 src1_sel:DWORD
	s_and_saveexec_b32 s18, s5
	s_cbranch_execz .LBB272_1640
; %bb.1633:                             ;   in Loop: Header=BB272_1056 Depth=1
	v_cmp_ne_u16_sdwa s5, v2, v34 src0_sel:BYTE_0 src1_sel:DWORD
	v_mov_b32_e32 v28, 0x8000
	s_and_saveexec_b32 s19, s5
	s_cbranch_execz .LBB272_1639
; %bb.1634:                             ;   in Loop: Header=BB272_1056 Depth=1
	v_bfe_u32 v115, v12, 16, 7
	v_mov_b32_e32 v28, 0x7c01
	s_mov_b32 s20, exec_lo
	v_cmpx_ne_u32_e32 0x7f, v115
	s_cbranch_execz .LBB272_1638
; %bb.1635:                             ;   in Loop: Header=BB272_1056 Depth=1
	v_and_b32_e32 v3, 7, v2
	v_lshrrev_b32_e32 v28, 3, v115
	s_mov_b32 s21, exec_lo
	v_cmpx_gt_u32_e32 8, v115
; %bb.1636:                             ;   in Loop: Header=BB272_1056 Depth=1
	v_ffbh_u32_e32 v3, v3
	v_min_u32_e32 v3, 32, v3
	v_subrev_nc_u32_e32 v28, 28, v3
	v_lshlrev_b64 v[115:116], v28, v[2:3]
	v_sub_nc_u32_e32 v28, 29, v3
	v_and_b32_e32 v3, 7, v115
; %bb.1637:                             ;   in Loop: Header=BB272_1056 Depth=1
	s_or_b32 exec_lo, exec_lo, s21
	v_lshlrev_b32_e32 v2, 8, v2
	v_lshl_add_u32 v28, v28, 10, 0x2000
	v_lshlrev_b32_e32 v3, 7, v3
	v_and_b32_e32 v2, 0x8000, v2
	v_and_b32_e32 v28, 0xfc00, v28
	v_or3_b32 v28, v2, v28, v3
.LBB272_1638:                           ;   in Loop: Header=BB272_1056 Depth=1
	s_or_b32 exec_lo, exec_lo, s20
.LBB272_1639:                           ;   in Loop: Header=BB272_1056 Depth=1
	s_or_b32 exec_lo, exec_lo, s19
.LBB272_1640:                           ;   in Loop: Header=BB272_1056 Depth=1
	s_or_b32 exec_lo, exec_lo, s18
	v_mov_b32_e32 v2, 0
	s_mov_b32 s18, exec_lo
	v_cmpx_lt_u64_e64 s[6:7], v[11:12]
	s_cbranch_execz .LBB272_1648
; %bb.1641:                             ;   in Loop: Header=BB272_1056 Depth=1
	v_lshrrev_b32_e32 v3, 24, v12
	v_bfrev_b32_e32 v2, 1
	s_mov_b32 s19, exec_lo
	v_cmpx_ne_u32_e32 0x80, v3
	s_cbranch_execz .LBB272_1647
; %bb.1642:                             ;   in Loop: Header=BB272_1056 Depth=1
	v_and_b32_e32 v12, 0x7f, v3
	v_mov_b32_e32 v2, 0x7c010000
	s_mov_b32 s20, exec_lo
	v_cmpx_ne_u32_e32 0x7f, v12
	s_cbranch_execz .LBB272_1646
; %bb.1643:                             ;   in Loop: Header=BB272_1056 Depth=1
	v_and_b32_e32 v2, 7, v3
	v_lshrrev_b32_e32 v11, 3, v12
	s_mov_b32 s21, exec_lo
	v_cmpx_gt_u32_e32 8, v12
; %bb.1644:                             ;   in Loop: Header=BB272_1056 Depth=1
	v_ffbh_u32_e32 v2, v2
	v_min_u32_e32 v2, 32, v2
	v_subrev_nc_u32_e32 v11, 28, v2
	v_lshlrev_b64 v[115:116], v11, v[3:4]
	v_sub_nc_u32_e32 v11, 29, v2
	v_and_b32_e32 v2, 7, v115
; %bb.1645:                             ;   in Loop: Header=BB272_1056 Depth=1
	s_or_b32 exec_lo, exec_lo, s21
	v_lshlrev_b32_e32 v3, 8, v3
	v_lshl_add_u32 v11, v11, 10, 0x2000
	v_lshlrev_b32_e32 v2, 23, v2
	v_and_or_b32 v3, 0x8000, v3, v11
	v_lshl_or_b32 v2, v3, 16, v2
.LBB272_1646:                           ;   in Loop: Header=BB272_1056 Depth=1
	s_or_b32 exec_lo, exec_lo, s20
.LBB272_1647:                           ;   in Loop: Header=BB272_1056 Depth=1
	s_or_b32 exec_lo, exec_lo, s19
.LBB272_1648:                           ;   in Loop: Header=BB272_1056 Depth=1
	s_or_b32 exec_lo, exec_lo, s18
	v_or_b32_e32 v3, v26, v27
	s_waitcnt vmcnt(0) lgkmcnt(0)
	v_fma_mixlo_f16 v11, v0, v26, 0 op_sel:[0,1,0] op_sel_hi:[0,1,0]
	v_or_b32_e32 v18, v1, v18
	v_or_b32_e32 v26, v31, v30
	;; [unrolled: 1-line block ×3, first 2 shown]
	v_fma_mixlo_f16 v12, v0, v1, 0 op_sel:[0,1,0] op_sel_hi:[0,1,0]
	v_fma_mixlo_f16 v3, v0, v3, 0 op_sel_hi:[0,1,0]
	v_lshlrev_b32_e32 v1, 16, v11
	v_fma_mixlo_f16 v11, v0, v18, 0 op_sel_hi:[0,1,0]
	v_fma_mixlo_f16 v18, v0, v31, 0 op_sel:[0,1,0] op_sel_hi:[0,1,0]
	v_fma_mixlo_f16 v26, v0, v26, 0 op_sel_hi:[0,1,0]
	v_fma_mixlo_f16 v28, v0, v2, 0 op_sel:[0,1,0] op_sel_hi:[0,1,0]
	v_fma_mixlo_f16 v27, v0, v27, 0 op_sel_hi:[0,1,0]
	v_lshlrev_b32_e32 v12, 16, v12
	v_and_b32_e32 v3, 0xffff, v3
	v_and_b32_e32 v31, 0xffff, v11
	v_lshlrev_b32_e32 v2, 16, v18
	v_and_b32_e32 v26, 0xffff, v26
	v_lshlrev_b32_e32 v0, 16, v28
	v_and_b32_e32 v11, 0xffff, v27
	v_or_b32_e32 v18, v1, v3
	v_or_b32_e32 v30, v12, v31
	;; [unrolled: 1-line block ×4, first 2 shown]
	s_and_saveexec_b32 s18, vcc_lo
	s_cbranch_execz .LBB272_1650
; %bb.1649:                             ;   in Loop: Header=BB272_1056 Depth=1
	v_cmp_lt_i32_e64 s5, v64, v29
	v_cndmask_b32_e64 v18, 0, v31, s5
	v_cmp_lt_i32_e64 s5, v84, v29
	v_cndmask_b32_e64 v12, 0, v12, s5
	v_cmp_lt_i32_e64 s5, v83, v29
	v_or_b32_e32 v30, v18, v12
	v_cndmask_b32_e64 v3, 0, v3, s5
	v_cmp_lt_i32_e64 s5, v82, v29
	v_cndmask_b32_e64 v1, 0, v1, s5
	v_cmp_lt_i32_e64 s5, v81, v29
	v_or_b32_e32 v18, v3, v1
	;; [unrolled: 5-line block ×3, first 2 shown]
	v_cndmask_b32_e64 v11, 0, v11, s5
	v_cmp_lt_i32_e64 s5, v19, v29
	v_cndmask_b32_e64 v0, 0, v0, s5
	v_or_b32_e32 v27, v11, v0
.LBB272_1650:                           ;   in Loop: Header=BB272_1056 Depth=1
	s_or_b32 exec_lo, exec_lo, s18
	;;#ASMSTART
	v_pk_mul_f16 v0, v69, v30;

	;;#ASMEND
	;;#ASMSTART
	v_pk_mul_f16 v1, v67, v18;

	;;#ASMEND
	;; [unrolled: 4-line block ×4, first 2 shown]
	;;#ASMSTART
	v_pk_add_f16 v0, v0, v1;

	;;#ASMEND
	;;#ASMSTART
	v_pk_add_f16 v0, v0, v2;

	;;#ASMEND
	;; [unrolled: 4-line block ×3, first 2 shown]
	v_and_b32_e32 v1, 0xffff, v0
	v_lshrrev_b32_e32 v0, 16, v0
	;;#ASMSTART
	v_cvt_f32_f16 v115, v1;
	;;#ASMEND
	;;#ASMSTART
	v_cvt_f32_f16 v116, v0;
	;;#ASMEND
	flat_load_dwordx2 v[11:12], v[9:10] offset:256
	flat_load_dword v0, v[22:23]
	v_mov_b32_e32 v1, 0
	v_mov_b32_e32 v18, 0
	s_waitcnt vmcnt(1) lgkmcnt(1)
	v_cmp_ne_u16_sdwa s5, v11, v4 src0_sel:BYTE_0 src1_sel:DWORD
	s_and_saveexec_b32 s18, s5
	s_cbranch_execz .LBB272_1658
; %bb.1651:                             ;   in Loop: Header=BB272_1056 Depth=1
	v_cmp_ne_u16_sdwa s5, v11, v34 src0_sel:BYTE_0 src1_sel:DWORD
	v_mov_b32_e32 v18, 0x8000
	s_and_saveexec_b32 s19, s5
	s_cbranch_execz .LBB272_1657
; %bb.1652:                             ;   in Loop: Header=BB272_1056 Depth=1
	v_and_b32_e32 v26, 0x7f, v11
	v_mov_b32_e32 v18, 0x7c01
	s_mov_b32 s20, exec_lo
	v_cmpx_ne_u32_e32 0x7f, v26
	s_cbranch_execz .LBB272_1656
; %bb.1653:                             ;   in Loop: Header=BB272_1056 Depth=1
	v_and_b32_e32 v2, 7, v11
	v_lshrrev_b32_e32 v3, 3, v26
	s_mov_b32 s21, exec_lo
	v_cmpx_gt_u32_e32 8, v26
; %bb.1654:                             ;   in Loop: Header=BB272_1056 Depth=1
	v_ffbh_u32_e32 v2, v2
	v_min_u32_e32 v18, 32, v2
	v_subrev_nc_u32_e32 v2, 28, v18
	v_lshlrev_b64 v[2:3], v2, v[11:12]
	v_sub_nc_u32_e32 v3, 29, v18
	v_and_b32_e32 v2, 7, v2
; %bb.1655:                             ;   in Loop: Header=BB272_1056 Depth=1
	s_or_b32 exec_lo, exec_lo, s21
	v_lshlrev_b32_e32 v18, 8, v11
	v_lshl_add_u32 v3, v3, 10, 0x2000
	v_lshlrev_b32_e32 v2, 7, v2
	v_and_b32_e32 v18, 0x8000, v18
	v_and_b32_e32 v3, 0xfc00, v3
	v_or3_b32 v18, v18, v3, v2
.LBB272_1656:                           ;   in Loop: Header=BB272_1056 Depth=1
	s_or_b32 exec_lo, exec_lo, s20
.LBB272_1657:                           ;   in Loop: Header=BB272_1056 Depth=1
	s_or_b32 exec_lo, exec_lo, s19
.LBB272_1658:                           ;   in Loop: Header=BB272_1056 Depth=1
	s_or_b32 exec_lo, exec_lo, s18
	v_lshrrev_b16 v3, 8, v11
	s_mov_b32 s18, exec_lo
	v_cmpx_ne_u16_e32 0, v3
	s_cbranch_execz .LBB272_1666
; %bb.1659:                             ;   in Loop: Header=BB272_1056 Depth=1
	v_bfrev_b32_e32 v1, 1
	s_mov_b32 s19, exec_lo
	v_cmpx_ne_u16_e32 0x80, v3
	s_cbranch_execz .LBB272_1665
; %bb.1660:                             ;   in Loop: Header=BB272_1056 Depth=1
	v_and_b32_sdwa v26, v3, v52 dst_sel:DWORD dst_unused:UNUSED_PAD src0_sel:WORD_0 src1_sel:DWORD
	v_mov_b32_e32 v1, 0x7c010000
	s_mov_b32 s20, exec_lo
	v_cmpx_ne_u32_e32 0x7f, v26
	s_cbranch_execz .LBB272_1664
; %bb.1661:                             ;   in Loop: Header=BB272_1056 Depth=1
	v_and_b32_sdwa v1, v3, v53 dst_sel:DWORD dst_unused:UNUSED_PAD src0_sel:WORD_0 src1_sel:DWORD
	v_lshrrev_b32_e32 v2, 3, v26
	s_mov_b32 s21, exec_lo
	v_cmpx_gt_u32_e32 8, v26
; %bb.1662:                             ;   in Loop: Header=BB272_1056 Depth=1
	v_ffbh_u32_e32 v1, v1
	v_min_u32_e32 v26, 32, v1
	v_subrev_nc_u32_e32 v1, 28, v26
	v_lshlrev_b64 v[1:2], v1, v[3:4]
	v_sub_nc_u32_e32 v2, 29, v26
	v_and_b32_e32 v1, 7, v1
; %bb.1663:                             ;   in Loop: Header=BB272_1056 Depth=1
	s_or_b32 exec_lo, exec_lo, s21
	v_lshlrev_b32_sdwa v3, v54, v3 dst_sel:DWORD dst_unused:UNUSED_PAD src0_sel:DWORD src1_sel:WORD_0
	v_lshl_add_u32 v2, v2, 10, 0x2000
	v_lshlrev_b32_e32 v1, 23, v1
	v_and_or_b32 v2, 0x8000, v3, v2
	v_lshl_or_b32 v1, v2, 16, v1
.LBB272_1664:                           ;   in Loop: Header=BB272_1056 Depth=1
	s_or_b32 exec_lo, exec_lo, s20
.LBB272_1665:                           ;   in Loop: Header=BB272_1056 Depth=1
	s_or_b32 exec_lo, exec_lo, s19
.LBB272_1666:                           ;   in Loop: Header=BB272_1056 Depth=1
	s_or_b32 exec_lo, exec_lo, s18
	v_lshrrev_b32_e32 v2, 16, v11
	v_mov_b32_e32 v26, 0
	v_mov_b32_e32 v27, 0
	v_cmp_ne_u16_sdwa s5, v2, v4 src0_sel:BYTE_0 src1_sel:DWORD
	s_and_saveexec_b32 s18, s5
	s_cbranch_execz .LBB272_1674
; %bb.1667:                             ;   in Loop: Header=BB272_1056 Depth=1
	v_cmp_ne_u16_sdwa s5, v2, v34 src0_sel:BYTE_0 src1_sel:DWORD
	v_mov_b32_e32 v27, 0x8000
	s_and_saveexec_b32 s19, s5
	s_cbranch_execz .LBB272_1673
; %bb.1668:                             ;   in Loop: Header=BB272_1056 Depth=1
	v_bfe_u32 v28, v11, 16, 7
	v_mov_b32_e32 v27, 0x7c01
	s_mov_b32 s20, exec_lo
	v_cmpx_ne_u32_e32 0x7f, v28
	s_cbranch_execz .LBB272_1672
; %bb.1669:                             ;   in Loop: Header=BB272_1056 Depth=1
	v_and_b32_e32 v3, 7, v2
	v_lshrrev_b32_e32 v27, 3, v28
	s_mov_b32 s21, exec_lo
	v_cmpx_gt_u32_e32 8, v28
; %bb.1670:                             ;   in Loop: Header=BB272_1056 Depth=1
	v_ffbh_u32_e32 v3, v3
	v_min_u32_e32 v3, 32, v3
	v_subrev_nc_u32_e32 v27, 28, v3
	v_lshlrev_b64 v[30:31], v27, v[2:3]
	v_sub_nc_u32_e32 v27, 29, v3
	v_and_b32_e32 v3, 7, v30
; %bb.1671:                             ;   in Loop: Header=BB272_1056 Depth=1
	s_or_b32 exec_lo, exec_lo, s21
	v_lshlrev_b32_e32 v2, 8, v2
	v_lshl_add_u32 v27, v27, 10, 0x2000
	v_lshlrev_b32_e32 v3, 7, v3
	v_and_b32_e32 v2, 0x8000, v2
	v_and_b32_e32 v27, 0xfc00, v27
	v_or3_b32 v27, v2, v27, v3
.LBB272_1672:                           ;   in Loop: Header=BB272_1056 Depth=1
	s_or_b32 exec_lo, exec_lo, s20
.LBB272_1673:                           ;   in Loop: Header=BB272_1056 Depth=1
	s_or_b32 exec_lo, exec_lo, s19
.LBB272_1674:                           ;   in Loop: Header=BB272_1056 Depth=1
	s_or_b32 exec_lo, exec_lo, s18
	s_mov_b32 s18, exec_lo
	v_cmpx_lt_u32_e32 0xffffff, v11
	s_cbranch_execz .LBB272_1682
; %bb.1675:                             ;   in Loop: Header=BB272_1056 Depth=1
	v_lshrrev_b32_e32 v3, 24, v11
	v_bfrev_b32_e32 v26, 1
	s_mov_b32 s19, exec_lo
	v_cmpx_ne_u32_e32 0x80, v3
	s_cbranch_execz .LBB272_1681
; %bb.1676:                             ;   in Loop: Header=BB272_1056 Depth=1
	v_and_b32_e32 v28, 0x7f, v3
	v_mov_b32_e32 v26, 0x7c010000
	s_mov_b32 s20, exec_lo
	v_cmpx_ne_u32_e32 0x7f, v28
	s_cbranch_execz .LBB272_1680
; %bb.1677:                             ;   in Loop: Header=BB272_1056 Depth=1
	v_and_b32_e32 v2, 7, v3
	v_lshrrev_b32_e32 v26, 3, v28
	s_mov_b32 s21, exec_lo
	v_cmpx_gt_u32_e32 8, v28
; %bb.1678:                             ;   in Loop: Header=BB272_1056 Depth=1
	v_ffbh_u32_e32 v2, v2
	v_min_u32_e32 v2, 32, v2
	v_subrev_nc_u32_e32 v26, 28, v2
	v_lshlrev_b64 v[30:31], v26, v[3:4]
	v_sub_nc_u32_e32 v26, 29, v2
	v_and_b32_e32 v2, 7, v30
; %bb.1679:                             ;   in Loop: Header=BB272_1056 Depth=1
	s_or_b32 exec_lo, exec_lo, s21
	v_lshlrev_b32_e32 v3, 8, v3
	v_lshl_add_u32 v26, v26, 10, 0x2000
	v_lshlrev_b32_e32 v2, 23, v2
	v_and_or_b32 v3, 0x8000, v3, v26
	v_lshl_or_b32 v26, v3, 16, v2
.LBB272_1680:                           ;   in Loop: Header=BB272_1056 Depth=1
	s_or_b32 exec_lo, exec_lo, s20
.LBB272_1681:                           ;   in Loop: Header=BB272_1056 Depth=1
	s_or_b32 exec_lo, exec_lo, s19
.LBB272_1682:                           ;   in Loop: Header=BB272_1056 Depth=1
	s_or_b32 exec_lo, exec_lo, s18
	v_mov_b32_e32 v3, v12
	v_cmp_ne_u16_sdwa s5, v12, v4 src0_sel:BYTE_0 src1_sel:DWORD
	v_mov_b32_e32 v28, 0
	v_mov_b32_e32 v30, 0
	s_and_saveexec_b32 s18, s5
	s_cbranch_execz .LBB272_1690
; %bb.1683:                             ;   in Loop: Header=BB272_1056 Depth=1
	v_cmp_ne_u16_sdwa s5, v12, v34 src0_sel:BYTE_0 src1_sel:DWORD
	v_mov_b32_e32 v30, 0x8000
	s_and_saveexec_b32 s19, s5
	s_cbranch_execz .LBB272_1689
; %bb.1684:                             ;   in Loop: Header=BB272_1056 Depth=1
	v_and_b32_e32 v31, 0x7f, v12
	v_mov_b32_e32 v30, 0x7c01
	s_mov_b32 s20, exec_lo
	v_cmpx_ne_u32_e32 0x7f, v31
	s_cbranch_execz .LBB272_1688
; %bb.1685:                             ;   in Loop: Header=BB272_1056 Depth=1
	v_and_b32_e32 v2, 7, v12
	v_lshrrev_b32_e32 v30, 3, v31
	s_mov_b32 s21, exec_lo
	v_cmpx_gt_u32_e32 8, v31
; %bb.1686:                             ;   in Loop: Header=BB272_1056 Depth=1
	v_ffbh_u32_e32 v2, v2
	v_min_u32_e32 v2, 32, v2
	v_subrev_nc_u32_e32 v30, 28, v2
	v_lshlrev_b64 v[117:118], v30, v[3:4]
	v_sub_nc_u32_e32 v30, 29, v2
	v_and_b32_e32 v2, 7, v117
; %bb.1687:                             ;   in Loop: Header=BB272_1056 Depth=1
	s_or_b32 exec_lo, exec_lo, s21
	v_lshlrev_b32_e32 v31, 8, v12
	v_lshl_add_u32 v30, v30, 10, 0x2000
	v_lshlrev_b32_e32 v2, 7, v2
	v_and_b32_e32 v31, 0x8000, v31
	v_and_b32_e32 v30, 0xfc00, v30
	v_or3_b32 v30, v31, v30, v2
.LBB272_1688:                           ;   in Loop: Header=BB272_1056 Depth=1
	s_or_b32 exec_lo, exec_lo, s20
.LBB272_1689:                           ;   in Loop: Header=BB272_1056 Depth=1
	s_or_b32 exec_lo, exec_lo, s19
.LBB272_1690:                           ;   in Loop: Header=BB272_1056 Depth=1
	s_or_b32 exec_lo, exec_lo, s18
	v_lshrrev_b16 v3, 8, v3
	v_mov_b32_e32 v31, 0
	s_mov_b32 s18, exec_lo
	v_cmpx_ne_u16_e32 0, v3
	s_cbranch_execz .LBB272_1698
; %bb.1691:                             ;   in Loop: Header=BB272_1056 Depth=1
	v_bfrev_b32_e32 v31, 1
	s_mov_b32 s19, exec_lo
	v_cmpx_ne_u16_e32 0x80, v3
	s_cbranch_execz .LBB272_1697
; %bb.1692:                             ;   in Loop: Header=BB272_1056 Depth=1
	v_and_b32_sdwa v117, v3, v52 dst_sel:DWORD dst_unused:UNUSED_PAD src0_sel:WORD_0 src1_sel:DWORD
	v_mov_b32_e32 v31, 0x7c010000
	s_mov_b32 s20, exec_lo
	v_cmpx_ne_u32_e32 0x7f, v117
	s_cbranch_execz .LBB272_1696
; %bb.1693:                             ;   in Loop: Header=BB272_1056 Depth=1
	v_and_b32_sdwa v2, v3, v53 dst_sel:DWORD dst_unused:UNUSED_PAD src0_sel:WORD_0 src1_sel:DWORD
	v_lshrrev_b32_e32 v31, 3, v117
	s_mov_b32 s21, exec_lo
	v_cmpx_gt_u32_e32 8, v117
; %bb.1694:                             ;   in Loop: Header=BB272_1056 Depth=1
	v_ffbh_u32_e32 v2, v2
	v_min_u32_e32 v2, 32, v2
	v_subrev_nc_u32_e32 v31, 28, v2
	v_lshlrev_b64 v[117:118], v31, v[3:4]
	v_sub_nc_u32_e32 v31, 29, v2
	v_and_b32_e32 v2, 7, v117
; %bb.1695:                             ;   in Loop: Header=BB272_1056 Depth=1
	s_or_b32 exec_lo, exec_lo, s21
	v_lshlrev_b32_sdwa v3, v54, v3 dst_sel:DWORD dst_unused:UNUSED_PAD src0_sel:DWORD src1_sel:WORD_0
	v_lshl_add_u32 v31, v31, 10, 0x2000
	v_lshlrev_b32_e32 v2, 23, v2
	v_and_or_b32 v3, 0x8000, v3, v31
	v_lshl_or_b32 v31, v3, 16, v2
.LBB272_1696:                           ;   in Loop: Header=BB272_1056 Depth=1
	s_or_b32 exec_lo, exec_lo, s20
.LBB272_1697:                           ;   in Loop: Header=BB272_1056 Depth=1
	s_or_b32 exec_lo, exec_lo, s19
.LBB272_1698:                           ;   in Loop: Header=BB272_1056 Depth=1
	s_or_b32 exec_lo, exec_lo, s18
	v_lshrrev_b32_e32 v2, 16, v12
	v_cmp_ne_u16_sdwa s5, v2, v4 src0_sel:BYTE_0 src1_sel:DWORD
	s_and_saveexec_b32 s18, s5
	s_cbranch_execz .LBB272_1706
; %bb.1699:                             ;   in Loop: Header=BB272_1056 Depth=1
	v_cmp_ne_u16_sdwa s5, v2, v34 src0_sel:BYTE_0 src1_sel:DWORD
	v_mov_b32_e32 v28, 0x8000
	s_and_saveexec_b32 s19, s5
	s_cbranch_execz .LBB272_1705
; %bb.1700:                             ;   in Loop: Header=BB272_1056 Depth=1
	v_bfe_u32 v117, v12, 16, 7
	v_mov_b32_e32 v28, 0x7c01
	s_mov_b32 s20, exec_lo
	v_cmpx_ne_u32_e32 0x7f, v117
	s_cbranch_execz .LBB272_1704
; %bb.1701:                             ;   in Loop: Header=BB272_1056 Depth=1
	v_and_b32_e32 v3, 7, v2
	v_lshrrev_b32_e32 v28, 3, v117
	s_mov_b32 s21, exec_lo
	v_cmpx_gt_u32_e32 8, v117
; %bb.1702:                             ;   in Loop: Header=BB272_1056 Depth=1
	v_ffbh_u32_e32 v3, v3
	v_min_u32_e32 v3, 32, v3
	v_subrev_nc_u32_e32 v28, 28, v3
	v_lshlrev_b64 v[117:118], v28, v[2:3]
	v_sub_nc_u32_e32 v28, 29, v3
	v_and_b32_e32 v3, 7, v117
; %bb.1703:                             ;   in Loop: Header=BB272_1056 Depth=1
	s_or_b32 exec_lo, exec_lo, s21
	v_lshlrev_b32_e32 v2, 8, v2
	v_lshl_add_u32 v28, v28, 10, 0x2000
	v_lshlrev_b32_e32 v3, 7, v3
	v_and_b32_e32 v2, 0x8000, v2
	v_and_b32_e32 v28, 0xfc00, v28
	v_or3_b32 v28, v2, v28, v3
.LBB272_1704:                           ;   in Loop: Header=BB272_1056 Depth=1
	s_or_b32 exec_lo, exec_lo, s20
.LBB272_1705:                           ;   in Loop: Header=BB272_1056 Depth=1
	s_or_b32 exec_lo, exec_lo, s19
.LBB272_1706:                           ;   in Loop: Header=BB272_1056 Depth=1
	s_or_b32 exec_lo, exec_lo, s18
	v_mov_b32_e32 v2, 0
	s_mov_b32 s18, exec_lo
	v_cmpx_lt_u64_e64 s[6:7], v[11:12]
	s_cbranch_execz .LBB272_1714
; %bb.1707:                             ;   in Loop: Header=BB272_1056 Depth=1
	v_lshrrev_b32_e32 v3, 24, v12
	v_bfrev_b32_e32 v2, 1
	s_mov_b32 s19, exec_lo
	v_cmpx_ne_u32_e32 0x80, v3
	s_cbranch_execz .LBB272_1713
; %bb.1708:                             ;   in Loop: Header=BB272_1056 Depth=1
	v_and_b32_e32 v12, 0x7f, v3
	v_mov_b32_e32 v2, 0x7c010000
	s_mov_b32 s20, exec_lo
	v_cmpx_ne_u32_e32 0x7f, v12
	s_cbranch_execz .LBB272_1712
; %bb.1709:                             ;   in Loop: Header=BB272_1056 Depth=1
	v_and_b32_e32 v2, 7, v3
	v_lshrrev_b32_e32 v11, 3, v12
	s_mov_b32 s21, exec_lo
	v_cmpx_gt_u32_e32 8, v12
; %bb.1710:                             ;   in Loop: Header=BB272_1056 Depth=1
	v_ffbh_u32_e32 v2, v2
	v_min_u32_e32 v2, 32, v2
	v_subrev_nc_u32_e32 v11, 28, v2
	v_lshlrev_b64 v[117:118], v11, v[3:4]
	v_sub_nc_u32_e32 v11, 29, v2
	v_and_b32_e32 v2, 7, v117
; %bb.1711:                             ;   in Loop: Header=BB272_1056 Depth=1
	s_or_b32 exec_lo, exec_lo, s21
	v_lshlrev_b32_e32 v3, 8, v3
	v_lshl_add_u32 v11, v11, 10, 0x2000
	v_lshlrev_b32_e32 v2, 23, v2
	v_and_or_b32 v3, 0x8000, v3, v11
	v_lshl_or_b32 v2, v3, 16, v2
.LBB272_1712:                           ;   in Loop: Header=BB272_1056 Depth=1
	s_or_b32 exec_lo, exec_lo, s20
.LBB272_1713:                           ;   in Loop: Header=BB272_1056 Depth=1
	s_or_b32 exec_lo, exec_lo, s19
.LBB272_1714:                           ;   in Loop: Header=BB272_1056 Depth=1
	s_or_b32 exec_lo, exec_lo, s18
	v_or_b32_e32 v3, v26, v27
	s_waitcnt vmcnt(0) lgkmcnt(0)
	v_fma_mixlo_f16 v11, v0, v26, 0 op_sel:[0,1,0] op_sel_hi:[0,1,0]
	v_or_b32_e32 v18, v1, v18
	v_or_b32_e32 v26, v31, v30
	;; [unrolled: 1-line block ×3, first 2 shown]
	v_fma_mixlo_f16 v12, v0, v1, 0 op_sel:[0,1,0] op_sel_hi:[0,1,0]
	v_fma_mixlo_f16 v3, v0, v3, 0 op_sel_hi:[0,1,0]
	v_lshlrev_b32_e32 v1, 16, v11
	v_fma_mixlo_f16 v11, v0, v18, 0 op_sel_hi:[0,1,0]
	v_fma_mixlo_f16 v18, v0, v31, 0 op_sel:[0,1,0] op_sel_hi:[0,1,0]
	v_fma_mixlo_f16 v26, v0, v26, 0 op_sel_hi:[0,1,0]
	v_fma_mixlo_f16 v28, v0, v2, 0 op_sel:[0,1,0] op_sel_hi:[0,1,0]
	v_fma_mixlo_f16 v27, v0, v27, 0 op_sel_hi:[0,1,0]
	v_lshlrev_b32_e32 v12, 16, v12
	v_and_b32_e32 v3, 0xffff, v3
	v_and_b32_e32 v31, 0xffff, v11
	v_lshlrev_b32_e32 v2, 16, v18
	v_and_b32_e32 v26, 0xffff, v26
	v_lshlrev_b32_e32 v0, 16, v28
	v_and_b32_e32 v11, 0xffff, v27
	v_or_b32_e32 v18, v1, v3
	v_or_b32_e32 v30, v12, v31
	;; [unrolled: 1-line block ×4, first 2 shown]
	s_and_saveexec_b32 s18, vcc_lo
	s_cbranch_execz .LBB272_1716
; %bb.1715:                             ;   in Loop: Header=BB272_1056 Depth=1
	v_cmp_lt_i32_e64 s5, v64, v29
	v_cndmask_b32_e64 v18, 0, v31, s5
	v_cmp_lt_i32_e64 s5, v84, v29
	v_cndmask_b32_e64 v12, 0, v12, s5
	v_cmp_lt_i32_e64 s5, v83, v29
	v_or_b32_e32 v30, v18, v12
	v_cndmask_b32_e64 v3, 0, v3, s5
	v_cmp_lt_i32_e64 s5, v82, v29
	v_cndmask_b32_e64 v1, 0, v1, s5
	v_cmp_lt_i32_e64 s5, v81, v29
	v_or_b32_e32 v18, v3, v1
	;; [unrolled: 5-line block ×3, first 2 shown]
	v_cndmask_b32_e64 v11, 0, v11, s5
	v_cmp_lt_i32_e64 s5, v19, v29
	v_cndmask_b32_e64 v0, 0, v0, s5
	v_or_b32_e32 v27, v11, v0
.LBB272_1716:                           ;   in Loop: Header=BB272_1056 Depth=1
	s_or_b32 exec_lo, exec_lo, s18
	;;#ASMSTART
	v_pk_mul_f16 v0, v69, v30;

	;;#ASMEND
	;;#ASMSTART
	v_pk_mul_f16 v1, v67, v18;

	;;#ASMEND
	;; [unrolled: 4-line block ×4, first 2 shown]
	;;#ASMSTART
	v_pk_add_f16 v0, v0, v1;

	;;#ASMEND
	;;#ASMSTART
	v_pk_add_f16 v0, v0, v2;

	;;#ASMEND
	;; [unrolled: 4-line block ×3, first 2 shown]
	v_and_b32_e32 v1, 0xffff, v0
	v_lshrrev_b32_e32 v2, 16, v0
	;;#ASMSTART
	v_cvt_f32_f16 v0, v1;
	;;#ASMEND
	;;#ASMSTART
	v_cvt_f32_f16 v1, v2;
	;;#ASMEND
	flat_load_dwordx2 v[11:12], v[9:10] offset:512
	flat_load_dword v18, v[22:23]
	v_mov_b32_e32 v26, 0
	v_mov_b32_e32 v27, 0
	s_waitcnt vmcnt(1) lgkmcnt(1)
	v_cmp_ne_u16_sdwa s5, v11, v4 src0_sel:BYTE_0 src1_sel:DWORD
	s_and_saveexec_b32 s18, s5
	s_cbranch_execz .LBB272_1724
; %bb.1717:                             ;   in Loop: Header=BB272_1056 Depth=1
	v_cmp_ne_u16_sdwa s5, v11, v34 src0_sel:BYTE_0 src1_sel:DWORD
	v_mov_b32_e32 v27, 0x8000
	s_and_saveexec_b32 s19, s5
	s_cbranch_execz .LBB272_1723
; %bb.1718:                             ;   in Loop: Header=BB272_1056 Depth=1
	v_and_b32_e32 v28, 0x7f, v11
	v_mov_b32_e32 v27, 0x7c01
	s_mov_b32 s20, exec_lo
	v_cmpx_ne_u32_e32 0x7f, v28
	s_cbranch_execz .LBB272_1722
; %bb.1719:                             ;   in Loop: Header=BB272_1056 Depth=1
	v_and_b32_e32 v2, 7, v11
	v_lshrrev_b32_e32 v3, 3, v28
	s_mov_b32 s21, exec_lo
	v_cmpx_gt_u32_e32 8, v28
; %bb.1720:                             ;   in Loop: Header=BB272_1056 Depth=1
	v_ffbh_u32_e32 v2, v2
	v_min_u32_e32 v27, 32, v2
	v_subrev_nc_u32_e32 v2, 28, v27
	v_lshlrev_b64 v[2:3], v2, v[11:12]
	v_sub_nc_u32_e32 v3, 29, v27
	v_and_b32_e32 v2, 7, v2
; %bb.1721:                             ;   in Loop: Header=BB272_1056 Depth=1
	s_or_b32 exec_lo, exec_lo, s21
	v_lshlrev_b32_e32 v27, 8, v11
	v_lshl_add_u32 v3, v3, 10, 0x2000
	v_lshlrev_b32_e32 v2, 7, v2
	v_and_b32_e32 v27, 0x8000, v27
	v_and_b32_e32 v3, 0xfc00, v3
	v_or3_b32 v27, v27, v3, v2
.LBB272_1722:                           ;   in Loop: Header=BB272_1056 Depth=1
	s_or_b32 exec_lo, exec_lo, s20
.LBB272_1723:                           ;   in Loop: Header=BB272_1056 Depth=1
	s_or_b32 exec_lo, exec_lo, s19
.LBB272_1724:                           ;   in Loop: Header=BB272_1056 Depth=1
	s_or_b32 exec_lo, exec_lo, s18
	v_lshrrev_b16 v3, 8, v11
	s_mov_b32 s18, exec_lo
	v_cmpx_ne_u16_e32 0, v3
	s_cbranch_execz .LBB272_1732
; %bb.1725:                             ;   in Loop: Header=BB272_1056 Depth=1
	v_bfrev_b32_e32 v26, 1
	s_mov_b32 s19, exec_lo
	v_cmpx_ne_u16_e32 0x80, v3
	s_cbranch_execz .LBB272_1731
; %bb.1726:                             ;   in Loop: Header=BB272_1056 Depth=1
	v_and_b32_sdwa v28, v3, v52 dst_sel:DWORD dst_unused:UNUSED_PAD src0_sel:WORD_0 src1_sel:DWORD
	v_mov_b32_e32 v26, 0x7c010000
	s_mov_b32 s20, exec_lo
	v_cmpx_ne_u32_e32 0x7f, v28
	s_cbranch_execz .LBB272_1730
; %bb.1727:                             ;   in Loop: Header=BB272_1056 Depth=1
	v_and_b32_sdwa v2, v3, v53 dst_sel:DWORD dst_unused:UNUSED_PAD src0_sel:WORD_0 src1_sel:DWORD
	v_lshrrev_b32_e32 v26, 3, v28
	s_mov_b32 s21, exec_lo
	v_cmpx_gt_u32_e32 8, v28
; %bb.1728:                             ;   in Loop: Header=BB272_1056 Depth=1
	v_ffbh_u32_e32 v2, v2
	v_min_u32_e32 v2, 32, v2
	v_subrev_nc_u32_e32 v26, 28, v2
	v_lshlrev_b64 v[30:31], v26, v[3:4]
	v_sub_nc_u32_e32 v26, 29, v2
	v_and_b32_e32 v2, 7, v30
; %bb.1729:                             ;   in Loop: Header=BB272_1056 Depth=1
	s_or_b32 exec_lo, exec_lo, s21
	v_lshlrev_b32_sdwa v3, v54, v3 dst_sel:DWORD dst_unused:UNUSED_PAD src0_sel:DWORD src1_sel:WORD_0
	v_lshl_add_u32 v26, v26, 10, 0x2000
	v_lshlrev_b32_e32 v2, 23, v2
	v_and_or_b32 v3, 0x8000, v3, v26
	v_lshl_or_b32 v26, v3, 16, v2
.LBB272_1730:                           ;   in Loop: Header=BB272_1056 Depth=1
	s_or_b32 exec_lo, exec_lo, s20
.LBB272_1731:                           ;   in Loop: Header=BB272_1056 Depth=1
	s_or_b32 exec_lo, exec_lo, s19
.LBB272_1732:                           ;   in Loop: Header=BB272_1056 Depth=1
	s_or_b32 exec_lo, exec_lo, s18
	v_lshrrev_b32_e32 v2, 16, v11
	v_mov_b32_e32 v28, 0
	v_mov_b32_e32 v30, 0
	v_cmp_ne_u16_sdwa s5, v2, v4 src0_sel:BYTE_0 src1_sel:DWORD
	s_and_saveexec_b32 s18, s5
	s_cbranch_execz .LBB272_1740
; %bb.1733:                             ;   in Loop: Header=BB272_1056 Depth=1
	v_cmp_ne_u16_sdwa s5, v2, v34 src0_sel:BYTE_0 src1_sel:DWORD
	v_mov_b32_e32 v30, 0x8000
	s_and_saveexec_b32 s19, s5
	s_cbranch_execz .LBB272_1739
; %bb.1734:                             ;   in Loop: Header=BB272_1056 Depth=1
	v_bfe_u32 v31, v11, 16, 7
	v_mov_b32_e32 v30, 0x7c01
	s_mov_b32 s20, exec_lo
	v_cmpx_ne_u32_e32 0x7f, v31
	s_cbranch_execz .LBB272_1738
; %bb.1735:                             ;   in Loop: Header=BB272_1056 Depth=1
	v_and_b32_e32 v3, 7, v2
	v_lshrrev_b32_e32 v30, 3, v31
	s_mov_b32 s21, exec_lo
	v_cmpx_gt_u32_e32 8, v31
; %bb.1736:                             ;   in Loop: Header=BB272_1056 Depth=1
	v_ffbh_u32_e32 v3, v3
	v_min_u32_e32 v3, 32, v3
	v_subrev_nc_u32_e32 v30, 28, v3
	v_lshlrev_b64 v[117:118], v30, v[2:3]
	v_sub_nc_u32_e32 v30, 29, v3
	v_and_b32_e32 v3, 7, v117
; %bb.1737:                             ;   in Loop: Header=BB272_1056 Depth=1
	s_or_b32 exec_lo, exec_lo, s21
	v_lshlrev_b32_e32 v2, 8, v2
	v_lshl_add_u32 v30, v30, 10, 0x2000
	v_lshlrev_b32_e32 v3, 7, v3
	v_and_b32_e32 v2, 0x8000, v2
	v_and_b32_e32 v30, 0xfc00, v30
	v_or3_b32 v30, v2, v30, v3
.LBB272_1738:                           ;   in Loop: Header=BB272_1056 Depth=1
	s_or_b32 exec_lo, exec_lo, s20
.LBB272_1739:                           ;   in Loop: Header=BB272_1056 Depth=1
	s_or_b32 exec_lo, exec_lo, s19
.LBB272_1740:                           ;   in Loop: Header=BB272_1056 Depth=1
	s_or_b32 exec_lo, exec_lo, s18
	s_mov_b32 s18, exec_lo
	v_cmpx_lt_u32_e32 0xffffff, v11
	s_cbranch_execz .LBB272_1748
; %bb.1741:                             ;   in Loop: Header=BB272_1056 Depth=1
	v_lshrrev_b32_e32 v3, 24, v11
	v_bfrev_b32_e32 v28, 1
	s_mov_b32 s19, exec_lo
	v_cmpx_ne_u32_e32 0x80, v3
	s_cbranch_execz .LBB272_1747
; %bb.1742:                             ;   in Loop: Header=BB272_1056 Depth=1
	v_and_b32_e32 v31, 0x7f, v3
	v_mov_b32_e32 v28, 0x7c010000
	s_mov_b32 s20, exec_lo
	v_cmpx_ne_u32_e32 0x7f, v31
	s_cbranch_execz .LBB272_1746
; %bb.1743:                             ;   in Loop: Header=BB272_1056 Depth=1
	v_and_b32_e32 v2, 7, v3
	v_lshrrev_b32_e32 v28, 3, v31
	s_mov_b32 s21, exec_lo
	v_cmpx_gt_u32_e32 8, v31
; %bb.1744:                             ;   in Loop: Header=BB272_1056 Depth=1
	v_ffbh_u32_e32 v2, v2
	v_min_u32_e32 v2, 32, v2
	v_subrev_nc_u32_e32 v28, 28, v2
	v_lshlrev_b64 v[117:118], v28, v[3:4]
	v_sub_nc_u32_e32 v28, 29, v2
	v_and_b32_e32 v2, 7, v117
; %bb.1745:                             ;   in Loop: Header=BB272_1056 Depth=1
	s_or_b32 exec_lo, exec_lo, s21
	v_lshlrev_b32_e32 v3, 8, v3
	v_lshl_add_u32 v28, v28, 10, 0x2000
	v_lshlrev_b32_e32 v2, 23, v2
	v_and_or_b32 v3, 0x8000, v3, v28
	v_lshl_or_b32 v28, v3, 16, v2
.LBB272_1746:                           ;   in Loop: Header=BB272_1056 Depth=1
	s_or_b32 exec_lo, exec_lo, s20
.LBB272_1747:                           ;   in Loop: Header=BB272_1056 Depth=1
	s_or_b32 exec_lo, exec_lo, s19
.LBB272_1748:                           ;   in Loop: Header=BB272_1056 Depth=1
	s_or_b32 exec_lo, exec_lo, s18
	v_mov_b32_e32 v3, v12
	v_cmp_ne_u16_sdwa s5, v12, v4 src0_sel:BYTE_0 src1_sel:DWORD
	v_mov_b32_e32 v31, 0
	v_mov_b32_e32 v117, 0
	s_and_saveexec_b32 s18, s5
	s_cbranch_execz .LBB272_1756
; %bb.1749:                             ;   in Loop: Header=BB272_1056 Depth=1
	v_cmp_ne_u16_sdwa s5, v12, v34 src0_sel:BYTE_0 src1_sel:DWORD
	v_mov_b32_e32 v117, 0x8000
	s_and_saveexec_b32 s19, s5
	s_cbranch_execz .LBB272_1755
; %bb.1750:                             ;   in Loop: Header=BB272_1056 Depth=1
	v_and_b32_e32 v118, 0x7f, v12
	v_mov_b32_e32 v117, 0x7c01
	s_mov_b32 s20, exec_lo
	v_cmpx_ne_u32_e32 0x7f, v118
	s_cbranch_execz .LBB272_1754
; %bb.1751:                             ;   in Loop: Header=BB272_1056 Depth=1
	v_and_b32_e32 v2, 7, v12
	v_lshrrev_b32_e32 v117, 3, v118
	s_mov_b32 s21, exec_lo
	v_cmpx_gt_u32_e32 8, v118
; %bb.1752:                             ;   in Loop: Header=BB272_1056 Depth=1
	v_ffbh_u32_e32 v2, v2
	v_min_u32_e32 v2, 32, v2
	v_subrev_nc_u32_e32 v117, 28, v2
	v_lshlrev_b64 v[118:119], v117, v[3:4]
	v_sub_nc_u32_e32 v117, 29, v2
	v_and_b32_e32 v2, 7, v118
; %bb.1753:                             ;   in Loop: Header=BB272_1056 Depth=1
	s_or_b32 exec_lo, exec_lo, s21
	v_lshlrev_b32_e32 v118, 8, v12
	v_lshl_add_u32 v117, v117, 10, 0x2000
	v_lshlrev_b32_e32 v2, 7, v2
	v_and_b32_e32 v118, 0x8000, v118
	v_and_b32_e32 v117, 0xfc00, v117
	v_or3_b32 v117, v118, v117, v2
.LBB272_1754:                           ;   in Loop: Header=BB272_1056 Depth=1
	s_or_b32 exec_lo, exec_lo, s20
.LBB272_1755:                           ;   in Loop: Header=BB272_1056 Depth=1
	s_or_b32 exec_lo, exec_lo, s19
.LBB272_1756:                           ;   in Loop: Header=BB272_1056 Depth=1
	s_or_b32 exec_lo, exec_lo, s18
	v_lshrrev_b16 v3, 8, v3
	v_mov_b32_e32 v118, 0
	s_mov_b32 s18, exec_lo
	v_cmpx_ne_u16_e32 0, v3
	s_cbranch_execz .LBB272_1764
; %bb.1757:                             ;   in Loop: Header=BB272_1056 Depth=1
	v_bfrev_b32_e32 v118, 1
	s_mov_b32 s19, exec_lo
	v_cmpx_ne_u16_e32 0x80, v3
	s_cbranch_execz .LBB272_1763
; %bb.1758:                             ;   in Loop: Header=BB272_1056 Depth=1
	v_and_b32_sdwa v119, v3, v52 dst_sel:DWORD dst_unused:UNUSED_PAD src0_sel:WORD_0 src1_sel:DWORD
	v_mov_b32_e32 v118, 0x7c010000
	s_mov_b32 s20, exec_lo
	v_cmpx_ne_u32_e32 0x7f, v119
	s_cbranch_execz .LBB272_1762
; %bb.1759:                             ;   in Loop: Header=BB272_1056 Depth=1
	v_and_b32_sdwa v2, v3, v53 dst_sel:DWORD dst_unused:UNUSED_PAD src0_sel:WORD_0 src1_sel:DWORD
	v_lshrrev_b32_e32 v118, 3, v119
	s_mov_b32 s21, exec_lo
	v_cmpx_gt_u32_e32 8, v119
; %bb.1760:                             ;   in Loop: Header=BB272_1056 Depth=1
	v_ffbh_u32_e32 v2, v2
	v_min_u32_e32 v2, 32, v2
	v_subrev_nc_u32_e32 v118, 28, v2
	v_lshlrev_b64 v[40:41], v118, v[3:4]
	v_sub_nc_u32_e32 v118, 29, v2
	v_and_b32_e32 v2, 7, v40
; %bb.1761:                             ;   in Loop: Header=BB272_1056 Depth=1
	s_or_b32 exec_lo, exec_lo, s21
	v_lshlrev_b32_sdwa v3, v54, v3 dst_sel:DWORD dst_unused:UNUSED_PAD src0_sel:DWORD src1_sel:WORD_0
	v_lshl_add_u32 v118, v118, 10, 0x2000
	v_lshlrev_b32_e32 v2, 23, v2
	v_and_or_b32 v3, 0x8000, v3, v118
	v_lshl_or_b32 v118, v3, 16, v2
.LBB272_1762:                           ;   in Loop: Header=BB272_1056 Depth=1
	s_or_b32 exec_lo, exec_lo, s20
.LBB272_1763:                           ;   in Loop: Header=BB272_1056 Depth=1
	s_or_b32 exec_lo, exec_lo, s19
.LBB272_1764:                           ;   in Loop: Header=BB272_1056 Depth=1
	s_or_b32 exec_lo, exec_lo, s18
	v_lshrrev_b32_e32 v2, 16, v12
	v_cmp_ne_u16_sdwa s5, v2, v4 src0_sel:BYTE_0 src1_sel:DWORD
	s_and_saveexec_b32 s18, s5
	s_cbranch_execz .LBB272_1772
; %bb.1765:                             ;   in Loop: Header=BB272_1056 Depth=1
	v_cmp_ne_u16_sdwa s5, v2, v34 src0_sel:BYTE_0 src1_sel:DWORD
	v_mov_b32_e32 v31, 0x8000
	s_and_saveexec_b32 s19, s5
	s_cbranch_execz .LBB272_1771
; %bb.1766:                             ;   in Loop: Header=BB272_1056 Depth=1
	v_bfe_u32 v119, v12, 16, 7
	v_mov_b32_e32 v31, 0x7c01
	s_mov_b32 s20, exec_lo
	v_cmpx_ne_u32_e32 0x7f, v119
	s_cbranch_execz .LBB272_1770
; %bb.1767:                             ;   in Loop: Header=BB272_1056 Depth=1
	v_and_b32_e32 v3, 7, v2
	v_lshrrev_b32_e32 v31, 3, v119
	s_mov_b32 s21, exec_lo
	v_cmpx_gt_u32_e32 8, v119
; %bb.1768:                             ;   in Loop: Header=BB272_1056 Depth=1
	v_ffbh_u32_e32 v3, v3
	v_min_u32_e32 v3, 32, v3
	v_subrev_nc_u32_e32 v31, 28, v3
	v_lshlrev_b64 v[40:41], v31, v[2:3]
	v_sub_nc_u32_e32 v31, 29, v3
	v_and_b32_e32 v3, 7, v40
; %bb.1769:                             ;   in Loop: Header=BB272_1056 Depth=1
	s_or_b32 exec_lo, exec_lo, s21
	v_lshlrev_b32_e32 v2, 8, v2
	v_lshl_add_u32 v31, v31, 10, 0x2000
	v_lshlrev_b32_e32 v3, 7, v3
	v_and_b32_e32 v2, 0x8000, v2
	v_and_b32_e32 v31, 0xfc00, v31
	v_or3_b32 v31, v2, v31, v3
.LBB272_1770:                           ;   in Loop: Header=BB272_1056 Depth=1
	s_or_b32 exec_lo, exec_lo, s20
.LBB272_1771:                           ;   in Loop: Header=BB272_1056 Depth=1
	s_or_b32 exec_lo, exec_lo, s19
.LBB272_1772:                           ;   in Loop: Header=BB272_1056 Depth=1
	s_or_b32 exec_lo, exec_lo, s18
	v_mov_b32_e32 v2, 0
	s_mov_b32 s18, exec_lo
	v_cmpx_lt_u64_e64 s[6:7], v[11:12]
	s_cbranch_execz .LBB272_1780
; %bb.1773:                             ;   in Loop: Header=BB272_1056 Depth=1
	v_lshrrev_b32_e32 v3, 24, v12
	v_bfrev_b32_e32 v2, 1
	s_mov_b32 s19, exec_lo
	v_cmpx_ne_u32_e32 0x80, v3
	s_cbranch_execz .LBB272_1779
; %bb.1774:                             ;   in Loop: Header=BB272_1056 Depth=1
	v_and_b32_e32 v12, 0x7f, v3
	v_mov_b32_e32 v2, 0x7c010000
	s_mov_b32 s20, exec_lo
	v_cmpx_ne_u32_e32 0x7f, v12
	s_cbranch_execz .LBB272_1778
; %bb.1775:                             ;   in Loop: Header=BB272_1056 Depth=1
	v_and_b32_e32 v2, 7, v3
	v_lshrrev_b32_e32 v11, 3, v12
	s_mov_b32 s21, exec_lo
	v_cmpx_gt_u32_e32 8, v12
; %bb.1776:                             ;   in Loop: Header=BB272_1056 Depth=1
	v_ffbh_u32_e32 v2, v2
	v_min_u32_e32 v2, 32, v2
	v_subrev_nc_u32_e32 v11, 28, v2
	v_lshlrev_b64 v[40:41], v11, v[3:4]
	v_sub_nc_u32_e32 v11, 29, v2
	v_and_b32_e32 v2, 7, v40
; %bb.1777:                             ;   in Loop: Header=BB272_1056 Depth=1
	s_or_b32 exec_lo, exec_lo, s21
	v_lshlrev_b32_e32 v3, 8, v3
	v_lshl_add_u32 v11, v11, 10, 0x2000
	v_lshlrev_b32_e32 v2, 23, v2
	v_and_or_b32 v3, 0x8000, v3, v11
	v_lshl_or_b32 v2, v3, 16, v2
.LBB272_1778:                           ;   in Loop: Header=BB272_1056 Depth=1
	s_or_b32 exec_lo, exec_lo, s20
.LBB272_1779:                           ;   in Loop: Header=BB272_1056 Depth=1
	s_or_b32 exec_lo, exec_lo, s19
.LBB272_1780:                           ;   in Loop: Header=BB272_1056 Depth=1
	s_or_b32 exec_lo, exec_lo, s18
	v_or_b32_e32 v3, v28, v30
	s_waitcnt vmcnt(0) lgkmcnt(0)
	v_fma_mixlo_f16 v11, v18, v28, 0 op_sel:[0,1,0] op_sel_hi:[0,1,0]
	v_or_b32_e32 v12, v26, v27
	v_or_b32_e32 v27, v118, v117
	;; [unrolled: 1-line block ×3, first 2 shown]
	v_fma_mixlo_f16 v28, v18, v3, 0 op_sel_hi:[0,1,0]
	v_fma_mixlo_f16 v26, v18, v26, 0 op_sel:[0,1,0] op_sel_hi:[0,1,0]
	v_lshlrev_b32_e32 v3, 16, v11
	v_fma_mixlo_f16 v12, v18, v12, 0 op_sel_hi:[0,1,0]
	v_fma_mixlo_f16 v27, v18, v27, 0 op_sel_hi:[0,1,0]
	v_and_b32_e32 v11, 0xffff, v28
	v_fma_mixlo_f16 v28, v18, v118, 0 op_sel:[0,1,0] op_sel_hi:[0,1,0]
	v_fma_mixlo_f16 v2, v18, v2, 0 op_sel:[0,1,0] op_sel_hi:[0,1,0]
	v_fma_mixlo_f16 v18, v18, v30, 0 op_sel_hi:[0,1,0]
	v_lshlrev_b32_e32 v26, 16, v26
	v_and_b32_e32 v118, 0xffff, v12
	v_lshlrev_b32_e32 v12, 16, v28
	v_and_b32_e32 v28, 0xffff, v27
	;; [unrolled: 2-line block ×3, first 2 shown]
	v_or_b32_e32 v27, v3, v11
	v_or_b32_e32 v117, v26, v118
	;; [unrolled: 1-line block ×4, first 2 shown]
	s_and_saveexec_b32 s18, vcc_lo
	s_cbranch_execz .LBB272_1782
; %bb.1781:                             ;   in Loop: Header=BB272_1056 Depth=1
	v_cmp_lt_i32_e64 s5, v64, v29
	v_cndmask_b32_e64 v27, 0, v118, s5
	v_cmp_lt_i32_e64 s5, v84, v29
	v_cndmask_b32_e64 v26, 0, v26, s5
	v_cmp_lt_i32_e64 s5, v83, v29
	v_or_b32_e32 v117, v27, v26
	v_cndmask_b32_e64 v11, 0, v11, s5
	v_cmp_lt_i32_e64 s5, v82, v29
	v_cndmask_b32_e64 v3, 0, v3, s5
	v_cmp_lt_i32_e64 s5, v81, v29
	v_or_b32_e32 v27, v11, v3
	;; [unrolled: 5-line block ×3, first 2 shown]
	v_cndmask_b32_e64 v18, 0, v18, s5
	v_cmp_lt_i32_e64 s5, v19, v29
	v_cndmask_b32_e64 v2, 0, v2, s5
	v_or_b32_e32 v30, v18, v2
.LBB272_1782:                           ;   in Loop: Header=BB272_1056 Depth=1
	s_or_b32 exec_lo, exec_lo, s18
	;;#ASMSTART
	v_pk_mul_f16 v2, v69, v117;

	;;#ASMEND
	;;#ASMSTART
	v_pk_mul_f16 v3, v67, v27;

	;;#ASMEND
	;; [unrolled: 4-line block ×4, first 2 shown]
	;;#ASMSTART
	v_pk_add_f16 v2, v2, v3;

	;;#ASMEND
	;;#ASMSTART
	v_pk_add_f16 v2, v2, v11;

	;;#ASMEND
	;; [unrolled: 4-line block ×3, first 2 shown]
	v_and_b32_e32 v3, 0xffff, v2
	v_lshrrev_b32_e32 v2, 16, v2
	;;#ASMSTART
	v_cvt_f32_f16 v18, v3;
	;;#ASMEND
	;;#ASMSTART
	v_cvt_f32_f16 v26, v2;
	;;#ASMEND
	flat_load_dwordx2 v[11:12], v[9:10] offset:768
	flat_load_dword v27, v[22:23]
	v_mov_b32_e32 v28, 0
	v_mov_b32_e32 v30, 0
	s_waitcnt vmcnt(1) lgkmcnt(1)
	v_cmp_ne_u16_sdwa s5, v11, v4 src0_sel:BYTE_0 src1_sel:DWORD
	s_and_saveexec_b32 s18, s5
	s_cbranch_execz .LBB272_1790
; %bb.1783:                             ;   in Loop: Header=BB272_1056 Depth=1
	v_cmp_ne_u16_sdwa s5, v11, v34 src0_sel:BYTE_0 src1_sel:DWORD
	v_mov_b32_e32 v30, 0x8000
	s_and_saveexec_b32 s19, s5
	s_cbranch_execz .LBB272_1789
; %bb.1784:                             ;   in Loop: Header=BB272_1056 Depth=1
	v_and_b32_e32 v31, 0x7f, v11
	v_mov_b32_e32 v30, 0x7c01
	s_mov_b32 s20, exec_lo
	v_cmpx_ne_u32_e32 0x7f, v31
	s_cbranch_execz .LBB272_1788
; %bb.1785:                             ;   in Loop: Header=BB272_1056 Depth=1
	v_and_b32_e32 v2, 7, v11
	v_lshrrev_b32_e32 v3, 3, v31
	s_mov_b32 s21, exec_lo
	v_cmpx_gt_u32_e32 8, v31
; %bb.1786:                             ;   in Loop: Header=BB272_1056 Depth=1
	v_ffbh_u32_e32 v2, v2
	v_min_u32_e32 v30, 32, v2
	v_subrev_nc_u32_e32 v2, 28, v30
	v_lshlrev_b64 v[2:3], v2, v[11:12]
	v_sub_nc_u32_e32 v3, 29, v30
	v_and_b32_e32 v2, 7, v2
; %bb.1787:                             ;   in Loop: Header=BB272_1056 Depth=1
	s_or_b32 exec_lo, exec_lo, s21
	v_lshlrev_b32_e32 v30, 8, v11
	v_lshl_add_u32 v3, v3, 10, 0x2000
	v_lshlrev_b32_e32 v2, 7, v2
	v_and_b32_e32 v30, 0x8000, v30
	v_and_b32_e32 v3, 0xfc00, v3
	v_or3_b32 v30, v30, v3, v2
.LBB272_1788:                           ;   in Loop: Header=BB272_1056 Depth=1
	s_or_b32 exec_lo, exec_lo, s20
.LBB272_1789:                           ;   in Loop: Header=BB272_1056 Depth=1
	s_or_b32 exec_lo, exec_lo, s19
.LBB272_1790:                           ;   in Loop: Header=BB272_1056 Depth=1
	s_or_b32 exec_lo, exec_lo, s18
	v_lshrrev_b16 v3, 8, v11
	s_mov_b32 s18, exec_lo
	v_cmpx_ne_u16_e32 0, v3
	s_cbranch_execz .LBB272_1798
; %bb.1791:                             ;   in Loop: Header=BB272_1056 Depth=1
	v_bfrev_b32_e32 v28, 1
	s_mov_b32 s19, exec_lo
	v_cmpx_ne_u16_e32 0x80, v3
	s_cbranch_execz .LBB272_1797
; %bb.1792:                             ;   in Loop: Header=BB272_1056 Depth=1
	v_and_b32_sdwa v31, v3, v52 dst_sel:DWORD dst_unused:UNUSED_PAD src0_sel:WORD_0 src1_sel:DWORD
	v_mov_b32_e32 v28, 0x7c010000
	s_mov_b32 s20, exec_lo
	v_cmpx_ne_u32_e32 0x7f, v31
	s_cbranch_execz .LBB272_1796
; %bb.1793:                             ;   in Loop: Header=BB272_1056 Depth=1
	v_and_b32_sdwa v2, v3, v53 dst_sel:DWORD dst_unused:UNUSED_PAD src0_sel:WORD_0 src1_sel:DWORD
	v_lshrrev_b32_e32 v28, 3, v31
	s_mov_b32 s21, exec_lo
	v_cmpx_gt_u32_e32 8, v31
; %bb.1794:                             ;   in Loop: Header=BB272_1056 Depth=1
	v_ffbh_u32_e32 v2, v2
	v_min_u32_e32 v2, 32, v2
	v_subrev_nc_u32_e32 v28, 28, v2
	v_lshlrev_b64 v[117:118], v28, v[3:4]
	v_sub_nc_u32_e32 v28, 29, v2
	v_and_b32_e32 v2, 7, v117
; %bb.1795:                             ;   in Loop: Header=BB272_1056 Depth=1
	s_or_b32 exec_lo, exec_lo, s21
	v_lshlrev_b32_sdwa v3, v54, v3 dst_sel:DWORD dst_unused:UNUSED_PAD src0_sel:DWORD src1_sel:WORD_0
	v_lshl_add_u32 v28, v28, 10, 0x2000
	v_lshlrev_b32_e32 v2, 23, v2
	v_and_or_b32 v3, 0x8000, v3, v28
	v_lshl_or_b32 v28, v3, 16, v2
.LBB272_1796:                           ;   in Loop: Header=BB272_1056 Depth=1
	s_or_b32 exec_lo, exec_lo, s20
.LBB272_1797:                           ;   in Loop: Header=BB272_1056 Depth=1
	s_or_b32 exec_lo, exec_lo, s19
.LBB272_1798:                           ;   in Loop: Header=BB272_1056 Depth=1
	s_or_b32 exec_lo, exec_lo, s18
	v_lshrrev_b32_e32 v2, 16, v11
	v_mov_b32_e32 v31, 0
	v_mov_b32_e32 v117, 0
	v_cmp_ne_u16_sdwa s5, v2, v4 src0_sel:BYTE_0 src1_sel:DWORD
	s_and_saveexec_b32 s18, s5
	s_cbranch_execz .LBB272_1806
; %bb.1799:                             ;   in Loop: Header=BB272_1056 Depth=1
	v_cmp_ne_u16_sdwa s5, v2, v34 src0_sel:BYTE_0 src1_sel:DWORD
	v_mov_b32_e32 v117, 0x8000
	s_and_saveexec_b32 s19, s5
	s_cbranch_execz .LBB272_1805
; %bb.1800:                             ;   in Loop: Header=BB272_1056 Depth=1
	v_bfe_u32 v118, v11, 16, 7
	v_mov_b32_e32 v117, 0x7c01
	s_mov_b32 s20, exec_lo
	v_cmpx_ne_u32_e32 0x7f, v118
	s_cbranch_execz .LBB272_1804
; %bb.1801:                             ;   in Loop: Header=BB272_1056 Depth=1
	v_and_b32_e32 v3, 7, v2
	v_lshrrev_b32_e32 v117, 3, v118
	s_mov_b32 s21, exec_lo
	v_cmpx_gt_u32_e32 8, v118
; %bb.1802:                             ;   in Loop: Header=BB272_1056 Depth=1
	v_ffbh_u32_e32 v3, v3
	v_min_u32_e32 v3, 32, v3
	v_subrev_nc_u32_e32 v117, 28, v3
	v_lshlrev_b64 v[118:119], v117, v[2:3]
	v_sub_nc_u32_e32 v117, 29, v3
	v_and_b32_e32 v3, 7, v118
; %bb.1803:                             ;   in Loop: Header=BB272_1056 Depth=1
	s_or_b32 exec_lo, exec_lo, s21
	v_lshlrev_b32_e32 v2, 8, v2
	v_lshl_add_u32 v117, v117, 10, 0x2000
	v_lshlrev_b32_e32 v3, 7, v3
	v_and_b32_e32 v2, 0x8000, v2
	v_and_b32_e32 v117, 0xfc00, v117
	v_or3_b32 v117, v2, v117, v3
.LBB272_1804:                           ;   in Loop: Header=BB272_1056 Depth=1
	s_or_b32 exec_lo, exec_lo, s20
.LBB272_1805:                           ;   in Loop: Header=BB272_1056 Depth=1
	s_or_b32 exec_lo, exec_lo, s19
.LBB272_1806:                           ;   in Loop: Header=BB272_1056 Depth=1
	s_or_b32 exec_lo, exec_lo, s18
	s_mov_b32 s18, exec_lo
	v_cmpx_lt_u32_e32 0xffffff, v11
	s_cbranch_execz .LBB272_1814
; %bb.1807:                             ;   in Loop: Header=BB272_1056 Depth=1
	v_lshrrev_b32_e32 v3, 24, v11
	v_bfrev_b32_e32 v31, 1
	s_mov_b32 s19, exec_lo
	v_cmpx_ne_u32_e32 0x80, v3
	s_cbranch_execz .LBB272_1813
; %bb.1808:                             ;   in Loop: Header=BB272_1056 Depth=1
	v_and_b32_e32 v118, 0x7f, v3
	v_mov_b32_e32 v31, 0x7c010000
	s_mov_b32 s20, exec_lo
	v_cmpx_ne_u32_e32 0x7f, v118
	s_cbranch_execz .LBB272_1812
; %bb.1809:                             ;   in Loop: Header=BB272_1056 Depth=1
	v_and_b32_e32 v2, 7, v3
	v_lshrrev_b32_e32 v31, 3, v118
	s_mov_b32 s21, exec_lo
	v_cmpx_gt_u32_e32 8, v118
; %bb.1810:                             ;   in Loop: Header=BB272_1056 Depth=1
	v_ffbh_u32_e32 v2, v2
	v_min_u32_e32 v2, 32, v2
	v_subrev_nc_u32_e32 v31, 28, v2
	v_lshlrev_b64 v[118:119], v31, v[3:4]
	v_sub_nc_u32_e32 v31, 29, v2
	v_and_b32_e32 v2, 7, v118
; %bb.1811:                             ;   in Loop: Header=BB272_1056 Depth=1
	s_or_b32 exec_lo, exec_lo, s21
	v_lshlrev_b32_e32 v3, 8, v3
	v_lshl_add_u32 v31, v31, 10, 0x2000
	v_lshlrev_b32_e32 v2, 23, v2
	v_and_or_b32 v3, 0x8000, v3, v31
	v_lshl_or_b32 v31, v3, 16, v2
.LBB272_1812:                           ;   in Loop: Header=BB272_1056 Depth=1
	s_or_b32 exec_lo, exec_lo, s20
.LBB272_1813:                           ;   in Loop: Header=BB272_1056 Depth=1
	s_or_b32 exec_lo, exec_lo, s19
.LBB272_1814:                           ;   in Loop: Header=BB272_1056 Depth=1
	s_or_b32 exec_lo, exec_lo, s18
	v_mov_b32_e32 v3, v12
	v_cmp_ne_u16_sdwa s5, v12, v4 src0_sel:BYTE_0 src1_sel:DWORD
	v_mov_b32_e32 v118, 0
	v_mov_b32_e32 v119, 0
	s_and_saveexec_b32 s18, s5
	s_cbranch_execz .LBB272_1822
; %bb.1815:                             ;   in Loop: Header=BB272_1056 Depth=1
	v_cmp_ne_u16_sdwa s5, v12, v34 src0_sel:BYTE_0 src1_sel:DWORD
	v_mov_b32_e32 v119, 0x8000
	s_and_saveexec_b32 s19, s5
	s_cbranch_execz .LBB272_1821
; %bb.1816:                             ;   in Loop: Header=BB272_1056 Depth=1
	v_and_b32_e32 v40, 0x7f, v12
	v_mov_b32_e32 v119, 0x7c01
	s_mov_b32 s20, exec_lo
	v_cmpx_ne_u32_e32 0x7f, v40
	s_cbranch_execz .LBB272_1820
; %bb.1817:                             ;   in Loop: Header=BB272_1056 Depth=1
	v_and_b32_e32 v2, 7, v12
	v_lshrrev_b32_e32 v119, 3, v40
	s_mov_b32 s21, exec_lo
	v_cmpx_gt_u32_e32 8, v40
; %bb.1818:                             ;   in Loop: Header=BB272_1056 Depth=1
	v_ffbh_u32_e32 v2, v2
	v_min_u32_e32 v2, 32, v2
	v_subrev_nc_u32_e32 v119, 28, v2
	v_lshlrev_b64 v[40:41], v119, v[3:4]
	v_sub_nc_u32_e32 v119, 29, v2
	v_and_b32_e32 v2, 7, v40
; %bb.1819:                             ;   in Loop: Header=BB272_1056 Depth=1
	s_or_b32 exec_lo, exec_lo, s21
	v_lshlrev_b32_e32 v40, 8, v12
	v_lshl_add_u32 v119, v119, 10, 0x2000
	v_lshlrev_b32_e32 v2, 7, v2
	v_and_b32_e32 v40, 0x8000, v40
	v_and_b32_e32 v119, 0xfc00, v119
	v_or3_b32 v119, v40, v119, v2
.LBB272_1820:                           ;   in Loop: Header=BB272_1056 Depth=1
	s_or_b32 exec_lo, exec_lo, s20
.LBB272_1821:                           ;   in Loop: Header=BB272_1056 Depth=1
	s_or_b32 exec_lo, exec_lo, s19
.LBB272_1822:                           ;   in Loop: Header=BB272_1056 Depth=1
	s_or_b32 exec_lo, exec_lo, s18
	v_lshrrev_b16 v3, 8, v3
	v_mov_b32_e32 v40, 0
	s_mov_b32 s18, exec_lo
	v_cmpx_ne_u16_e32 0, v3
	s_cbranch_execz .LBB272_1830
; %bb.1823:                             ;   in Loop: Header=BB272_1056 Depth=1
	v_bfrev_b32_e32 v40, 1
	s_mov_b32 s19, exec_lo
	v_cmpx_ne_u16_e32 0x80, v3
	s_cbranch_execz .LBB272_1829
; %bb.1824:                             ;   in Loop: Header=BB272_1056 Depth=1
	v_and_b32_sdwa v41, v3, v52 dst_sel:DWORD dst_unused:UNUSED_PAD src0_sel:WORD_0 src1_sel:DWORD
	v_mov_b32_e32 v40, 0x7c010000
	s_mov_b32 s20, exec_lo
	v_cmpx_ne_u32_e32 0x7f, v41
	s_cbranch_execz .LBB272_1828
; %bb.1825:                             ;   in Loop: Header=BB272_1056 Depth=1
	v_and_b32_sdwa v2, v3, v53 dst_sel:DWORD dst_unused:UNUSED_PAD src0_sel:WORD_0 src1_sel:DWORD
	v_lshrrev_b32_e32 v40, 3, v41
	s_mov_b32 s21, exec_lo
	v_cmpx_gt_u32_e32 8, v41
; %bb.1826:                             ;   in Loop: Header=BB272_1056 Depth=1
	v_ffbh_u32_e32 v2, v2
	v_min_u32_e32 v2, 32, v2
	v_subrev_nc_u32_e32 v40, 28, v2
	v_lshlrev_b64 v[41:42], v40, v[3:4]
	v_sub_nc_u32_e32 v40, 29, v2
	v_and_b32_e32 v2, 7, v41
; %bb.1827:                             ;   in Loop: Header=BB272_1056 Depth=1
	s_or_b32 exec_lo, exec_lo, s21
	v_lshlrev_b32_sdwa v3, v54, v3 dst_sel:DWORD dst_unused:UNUSED_PAD src0_sel:DWORD src1_sel:WORD_0
	v_lshl_add_u32 v40, v40, 10, 0x2000
	v_lshlrev_b32_e32 v2, 23, v2
	v_and_or_b32 v3, 0x8000, v3, v40
	v_lshl_or_b32 v40, v3, 16, v2
.LBB272_1828:                           ;   in Loop: Header=BB272_1056 Depth=1
	s_or_b32 exec_lo, exec_lo, s20
.LBB272_1829:                           ;   in Loop: Header=BB272_1056 Depth=1
	s_or_b32 exec_lo, exec_lo, s19
.LBB272_1830:                           ;   in Loop: Header=BB272_1056 Depth=1
	s_or_b32 exec_lo, exec_lo, s18
	v_lshrrev_b32_e32 v2, 16, v12
	v_cmp_ne_u16_sdwa s5, v2, v4 src0_sel:BYTE_0 src1_sel:DWORD
	s_and_saveexec_b32 s18, s5
	s_cbranch_execz .LBB272_1838
; %bb.1831:                             ;   in Loop: Header=BB272_1056 Depth=1
	v_cmp_ne_u16_sdwa s5, v2, v34 src0_sel:BYTE_0 src1_sel:DWORD
	v_mov_b32_e32 v118, 0x8000
	s_and_saveexec_b32 s19, s5
	s_cbranch_execz .LBB272_1837
; %bb.1832:                             ;   in Loop: Header=BB272_1056 Depth=1
	v_bfe_u32 v41, v12, 16, 7
	v_mov_b32_e32 v118, 0x7c01
	s_mov_b32 s20, exec_lo
	v_cmpx_ne_u32_e32 0x7f, v41
	s_cbranch_execz .LBB272_1836
; %bb.1833:                             ;   in Loop: Header=BB272_1056 Depth=1
	v_and_b32_e32 v3, 7, v2
	v_lshrrev_b32_e32 v118, 3, v41
	s_mov_b32 s21, exec_lo
	v_cmpx_gt_u32_e32 8, v41
; %bb.1834:                             ;   in Loop: Header=BB272_1056 Depth=1
	v_ffbh_u32_e32 v3, v3
	v_min_u32_e32 v3, 32, v3
	v_subrev_nc_u32_e32 v118, 28, v3
	v_lshlrev_b64 v[41:42], v118, v[2:3]
	v_sub_nc_u32_e32 v118, 29, v3
	v_and_b32_e32 v3, 7, v41
; %bb.1835:                             ;   in Loop: Header=BB272_1056 Depth=1
	s_or_b32 exec_lo, exec_lo, s21
	v_lshlrev_b32_e32 v2, 8, v2
	v_lshl_add_u32 v118, v118, 10, 0x2000
	v_lshlrev_b32_e32 v3, 7, v3
	v_and_b32_e32 v2, 0x8000, v2
	v_and_b32_e32 v118, 0xfc00, v118
	v_or3_b32 v118, v2, v118, v3
.LBB272_1836:                           ;   in Loop: Header=BB272_1056 Depth=1
	s_or_b32 exec_lo, exec_lo, s20
.LBB272_1837:                           ;   in Loop: Header=BB272_1056 Depth=1
	s_or_b32 exec_lo, exec_lo, s19
.LBB272_1838:                           ;   in Loop: Header=BB272_1056 Depth=1
	s_or_b32 exec_lo, exec_lo, s18
	v_mov_b32_e32 v2, 0
	s_mov_b32 s18, exec_lo
	v_cmpx_lt_u64_e64 s[6:7], v[11:12]
	s_cbranch_execz .LBB272_1846
; %bb.1839:                             ;   in Loop: Header=BB272_1056 Depth=1
	v_lshrrev_b32_e32 v3, 24, v12
	v_bfrev_b32_e32 v2, 1
	s_mov_b32 s19, exec_lo
	v_cmpx_ne_u32_e32 0x80, v3
	s_cbranch_execz .LBB272_1845
; %bb.1840:                             ;   in Loop: Header=BB272_1056 Depth=1
	v_and_b32_e32 v12, 0x7f, v3
	v_mov_b32_e32 v2, 0x7c010000
	s_mov_b32 s20, exec_lo
	v_cmpx_ne_u32_e32 0x7f, v12
	s_cbranch_execz .LBB272_1844
; %bb.1841:                             ;   in Loop: Header=BB272_1056 Depth=1
	v_and_b32_e32 v2, 7, v3
	v_lshrrev_b32_e32 v11, 3, v12
	s_mov_b32 s21, exec_lo
	v_cmpx_gt_u32_e32 8, v12
; %bb.1842:                             ;   in Loop: Header=BB272_1056 Depth=1
	v_ffbh_u32_e32 v2, v2
	v_min_u32_e32 v2, 32, v2
	v_subrev_nc_u32_e32 v11, 28, v2
	v_lshlrev_b64 v[41:42], v11, v[3:4]
	v_sub_nc_u32_e32 v11, 29, v2
	v_and_b32_e32 v2, 7, v41
; %bb.1843:                             ;   in Loop: Header=BB272_1056 Depth=1
	s_or_b32 exec_lo, exec_lo, s21
	v_lshlrev_b32_e32 v3, 8, v3
	v_lshl_add_u32 v11, v11, 10, 0x2000
	v_lshlrev_b32_e32 v2, 23, v2
	v_and_or_b32 v3, 0x8000, v3, v11
	v_lshl_or_b32 v2, v3, 16, v2
.LBB272_1844:                           ;   in Loop: Header=BB272_1056 Depth=1
	s_or_b32 exec_lo, exec_lo, s20
.LBB272_1845:                           ;   in Loop: Header=BB272_1056 Depth=1
	s_or_b32 exec_lo, exec_lo, s19
.LBB272_1846:                           ;   in Loop: Header=BB272_1056 Depth=1
	s_or_b32 exec_lo, exec_lo, s18
	v_or_b32_e32 v3, v31, v117
	s_waitcnt vmcnt(0) lgkmcnt(0)
	v_fma_mixlo_f16 v11, v27, v31, 0 op_sel:[0,1,0] op_sel_hi:[0,1,0]
	v_or_b32_e32 v12, v28, v30
	v_or_b32_e32 v30, v40, v119
	;; [unrolled: 1-line block ×3, first 2 shown]
	v_fma_mixlo_f16 v31, v27, v3, 0 op_sel_hi:[0,1,0]
	v_fma_mixlo_f16 v28, v27, v28, 0 op_sel:[0,1,0] op_sel_hi:[0,1,0]
	v_lshlrev_b32_e32 v3, 16, v11
	v_fma_mixlo_f16 v12, v27, v12, 0 op_sel_hi:[0,1,0]
	v_fma_mixlo_f16 v30, v27, v30, 0 op_sel_hi:[0,1,0]
	v_and_b32_e32 v11, 0xffff, v31
	v_fma_mixlo_f16 v31, v27, v40, 0 op_sel:[0,1,0] op_sel_hi:[0,1,0]
	v_fma_mixlo_f16 v2, v27, v2, 0 op_sel:[0,1,0] op_sel_hi:[0,1,0]
	v_fma_mixlo_f16 v27, v27, v117, 0 op_sel_hi:[0,1,0]
	v_lshlrev_b32_e32 v28, 16, v28
	v_and_b32_e32 v40, 0xffff, v12
	v_lshlrev_b32_e32 v12, 16, v31
	v_and_b32_e32 v31, 0xffff, v30
	;; [unrolled: 2-line block ×3, first 2 shown]
	v_or_b32_e32 v30, v3, v11
	v_or_b32_e32 v119, v28, v40
	;; [unrolled: 1-line block ×4, first 2 shown]
	s_and_saveexec_b32 s18, vcc_lo
	s_cbranch_execz .LBB272_1848
; %bb.1847:                             ;   in Loop: Header=BB272_1056 Depth=1
	v_cmp_lt_i32_e64 s5, v64, v29
	v_cndmask_b32_e64 v30, 0, v40, s5
	v_cmp_lt_i32_e64 s5, v84, v29
	v_cndmask_b32_e64 v28, 0, v28, s5
	v_cmp_lt_i32_e64 s5, v83, v29
	v_or_b32_e32 v119, v30, v28
	v_cndmask_b32_e64 v11, 0, v11, s5
	v_cmp_lt_i32_e64 s5, v82, v29
	v_cndmask_b32_e64 v3, 0, v3, s5
	v_cmp_lt_i32_e64 s5, v81, v29
	v_or_b32_e32 v30, v11, v3
	;; [unrolled: 5-line block ×3, first 2 shown]
	v_cndmask_b32_e64 v27, 0, v27, s5
	v_cmp_lt_i32_e64 s5, v19, v29
	v_cndmask_b32_e64 v2, 0, v2, s5
	v_or_b32_e32 v117, v27, v2
.LBB272_1848:                           ;   in Loop: Header=BB272_1056 Depth=1
	s_or_b32 exec_lo, exec_lo, s18
	;;#ASMSTART
	v_pk_mul_f16 v2, v69, v119;

	;;#ASMEND
	;;#ASMSTART
	v_pk_mul_f16 v3, v67, v30;

	;;#ASMEND
	;; [unrolled: 4-line block ×4, first 2 shown]
	;;#ASMSTART
	v_pk_add_f16 v2, v2, v3;

	;;#ASMEND
	;;#ASMSTART
	v_pk_add_f16 v2, v2, v11;

	;;#ASMEND
	;; [unrolled: 4-line block ×3, first 2 shown]
	v_and_b32_e32 v3, 0xffff, v2
	v_lshrrev_b32_e32 v2, 16, v2
	;;#ASMSTART
	v_cvt_f32_f16 v27, v3;
	;;#ASMEND
	;;#ASMSTART
	v_cvt_f32_f16 v28, v2;
	;;#ASMEND
	flat_load_dwordx2 v[11:12], v[9:10] offset:1024
	flat_load_dword v30, v[22:23]
	v_mov_b32_e32 v31, 0
	v_mov_b32_e32 v117, 0
	s_waitcnt vmcnt(1) lgkmcnt(1)
	v_cmp_ne_u16_sdwa s5, v11, v4 src0_sel:BYTE_0 src1_sel:DWORD
	s_and_saveexec_b32 s18, s5
	s_cbranch_execz .LBB272_1856
; %bb.1849:                             ;   in Loop: Header=BB272_1056 Depth=1
	v_cmp_ne_u16_sdwa s5, v11, v34 src0_sel:BYTE_0 src1_sel:DWORD
	v_mov_b32_e32 v117, 0x8000
	s_and_saveexec_b32 s19, s5
	s_cbranch_execz .LBB272_1855
; %bb.1850:                             ;   in Loop: Header=BB272_1056 Depth=1
	v_and_b32_e32 v118, 0x7f, v11
	v_mov_b32_e32 v117, 0x7c01
	s_mov_b32 s20, exec_lo
	v_cmpx_ne_u32_e32 0x7f, v118
	s_cbranch_execz .LBB272_1854
; %bb.1851:                             ;   in Loop: Header=BB272_1056 Depth=1
	v_and_b32_e32 v2, 7, v11
	v_lshrrev_b32_e32 v3, 3, v118
	s_mov_b32 s21, exec_lo
	v_cmpx_gt_u32_e32 8, v118
; %bb.1852:                             ;   in Loop: Header=BB272_1056 Depth=1
	v_ffbh_u32_e32 v2, v2
	v_min_u32_e32 v117, 32, v2
	v_subrev_nc_u32_e32 v2, 28, v117
	v_lshlrev_b64 v[2:3], v2, v[11:12]
	v_sub_nc_u32_e32 v3, 29, v117
	v_and_b32_e32 v2, 7, v2
; %bb.1853:                             ;   in Loop: Header=BB272_1056 Depth=1
	s_or_b32 exec_lo, exec_lo, s21
	v_lshlrev_b32_e32 v117, 8, v11
	v_lshl_add_u32 v3, v3, 10, 0x2000
	v_lshlrev_b32_e32 v2, 7, v2
	v_and_b32_e32 v117, 0x8000, v117
	v_and_b32_e32 v3, 0xfc00, v3
	v_or3_b32 v117, v117, v3, v2
.LBB272_1854:                           ;   in Loop: Header=BB272_1056 Depth=1
	s_or_b32 exec_lo, exec_lo, s20
.LBB272_1855:                           ;   in Loop: Header=BB272_1056 Depth=1
	s_or_b32 exec_lo, exec_lo, s19
.LBB272_1856:                           ;   in Loop: Header=BB272_1056 Depth=1
	s_or_b32 exec_lo, exec_lo, s18
	v_lshrrev_b16 v3, 8, v11
	s_mov_b32 s18, exec_lo
	v_cmpx_ne_u16_e32 0, v3
	s_cbranch_execz .LBB272_1864
; %bb.1857:                             ;   in Loop: Header=BB272_1056 Depth=1
	v_bfrev_b32_e32 v31, 1
	s_mov_b32 s19, exec_lo
	v_cmpx_ne_u16_e32 0x80, v3
	s_cbranch_execz .LBB272_1863
; %bb.1858:                             ;   in Loop: Header=BB272_1056 Depth=1
	v_and_b32_sdwa v118, v3, v52 dst_sel:DWORD dst_unused:UNUSED_PAD src0_sel:WORD_0 src1_sel:DWORD
	v_mov_b32_e32 v31, 0x7c010000
	s_mov_b32 s20, exec_lo
	v_cmpx_ne_u32_e32 0x7f, v118
	s_cbranch_execz .LBB272_1862
; %bb.1859:                             ;   in Loop: Header=BB272_1056 Depth=1
	v_and_b32_sdwa v2, v3, v53 dst_sel:DWORD dst_unused:UNUSED_PAD src0_sel:WORD_0 src1_sel:DWORD
	v_lshrrev_b32_e32 v31, 3, v118
	s_mov_b32 s21, exec_lo
	v_cmpx_gt_u32_e32 8, v118
; %bb.1860:                             ;   in Loop: Header=BB272_1056 Depth=1
	v_ffbh_u32_e32 v2, v2
	v_min_u32_e32 v2, 32, v2
	v_subrev_nc_u32_e32 v31, 28, v2
	v_lshlrev_b64 v[118:119], v31, v[3:4]
	v_sub_nc_u32_e32 v31, 29, v2
	v_and_b32_e32 v2, 7, v118
; %bb.1861:                             ;   in Loop: Header=BB272_1056 Depth=1
	s_or_b32 exec_lo, exec_lo, s21
	v_lshlrev_b32_sdwa v3, v54, v3 dst_sel:DWORD dst_unused:UNUSED_PAD src0_sel:DWORD src1_sel:WORD_0
	v_lshl_add_u32 v31, v31, 10, 0x2000
	v_lshlrev_b32_e32 v2, 23, v2
	v_and_or_b32 v3, 0x8000, v3, v31
	v_lshl_or_b32 v31, v3, 16, v2
.LBB272_1862:                           ;   in Loop: Header=BB272_1056 Depth=1
	s_or_b32 exec_lo, exec_lo, s20
.LBB272_1863:                           ;   in Loop: Header=BB272_1056 Depth=1
	s_or_b32 exec_lo, exec_lo, s19
.LBB272_1864:                           ;   in Loop: Header=BB272_1056 Depth=1
	s_or_b32 exec_lo, exec_lo, s18
	v_lshrrev_b32_e32 v2, 16, v11
	v_mov_b32_e32 v118, 0
	v_mov_b32_e32 v119, 0
	v_cmp_ne_u16_sdwa s5, v2, v4 src0_sel:BYTE_0 src1_sel:DWORD
	s_and_saveexec_b32 s18, s5
	s_cbranch_execz .LBB272_1872
; %bb.1865:                             ;   in Loop: Header=BB272_1056 Depth=1
	v_cmp_ne_u16_sdwa s5, v2, v34 src0_sel:BYTE_0 src1_sel:DWORD
	v_mov_b32_e32 v119, 0x8000
	s_and_saveexec_b32 s19, s5
	s_cbranch_execz .LBB272_1871
; %bb.1866:                             ;   in Loop: Header=BB272_1056 Depth=1
	v_bfe_u32 v40, v11, 16, 7
	v_mov_b32_e32 v119, 0x7c01
	s_mov_b32 s20, exec_lo
	v_cmpx_ne_u32_e32 0x7f, v40
	s_cbranch_execz .LBB272_1870
; %bb.1867:                             ;   in Loop: Header=BB272_1056 Depth=1
	v_and_b32_e32 v3, 7, v2
	v_lshrrev_b32_e32 v119, 3, v40
	s_mov_b32 s21, exec_lo
	v_cmpx_gt_u32_e32 8, v40
; %bb.1868:                             ;   in Loop: Header=BB272_1056 Depth=1
	v_ffbh_u32_e32 v3, v3
	v_min_u32_e32 v3, 32, v3
	v_subrev_nc_u32_e32 v119, 28, v3
	v_lshlrev_b64 v[40:41], v119, v[2:3]
	v_sub_nc_u32_e32 v119, 29, v3
	v_and_b32_e32 v3, 7, v40
; %bb.1869:                             ;   in Loop: Header=BB272_1056 Depth=1
	s_or_b32 exec_lo, exec_lo, s21
	v_lshlrev_b32_e32 v2, 8, v2
	v_lshl_add_u32 v119, v119, 10, 0x2000
	v_lshlrev_b32_e32 v3, 7, v3
	v_and_b32_e32 v2, 0x8000, v2
	v_and_b32_e32 v119, 0xfc00, v119
	v_or3_b32 v119, v2, v119, v3
.LBB272_1870:                           ;   in Loop: Header=BB272_1056 Depth=1
	s_or_b32 exec_lo, exec_lo, s20
.LBB272_1871:                           ;   in Loop: Header=BB272_1056 Depth=1
	s_or_b32 exec_lo, exec_lo, s19
.LBB272_1872:                           ;   in Loop: Header=BB272_1056 Depth=1
	s_or_b32 exec_lo, exec_lo, s18
	s_mov_b32 s18, exec_lo
	v_cmpx_lt_u32_e32 0xffffff, v11
	s_cbranch_execz .LBB272_1880
; %bb.1873:                             ;   in Loop: Header=BB272_1056 Depth=1
	v_lshrrev_b32_e32 v3, 24, v11
	v_bfrev_b32_e32 v118, 1
	s_mov_b32 s19, exec_lo
	v_cmpx_ne_u32_e32 0x80, v3
	s_cbranch_execz .LBB272_1879
; %bb.1874:                             ;   in Loop: Header=BB272_1056 Depth=1
	v_and_b32_e32 v40, 0x7f, v3
	v_mov_b32_e32 v118, 0x7c010000
	s_mov_b32 s20, exec_lo
	v_cmpx_ne_u32_e32 0x7f, v40
	s_cbranch_execz .LBB272_1878
; %bb.1875:                             ;   in Loop: Header=BB272_1056 Depth=1
	v_and_b32_e32 v2, 7, v3
	v_lshrrev_b32_e32 v118, 3, v40
	s_mov_b32 s21, exec_lo
	v_cmpx_gt_u32_e32 8, v40
; %bb.1876:                             ;   in Loop: Header=BB272_1056 Depth=1
	v_ffbh_u32_e32 v2, v2
	v_min_u32_e32 v2, 32, v2
	v_subrev_nc_u32_e32 v118, 28, v2
	v_lshlrev_b64 v[40:41], v118, v[3:4]
	v_sub_nc_u32_e32 v118, 29, v2
	v_and_b32_e32 v2, 7, v40
; %bb.1877:                             ;   in Loop: Header=BB272_1056 Depth=1
	s_or_b32 exec_lo, exec_lo, s21
	v_lshlrev_b32_e32 v3, 8, v3
	v_lshl_add_u32 v118, v118, 10, 0x2000
	v_lshlrev_b32_e32 v2, 23, v2
	v_and_or_b32 v3, 0x8000, v3, v118
	v_lshl_or_b32 v118, v3, 16, v2
.LBB272_1878:                           ;   in Loop: Header=BB272_1056 Depth=1
	s_or_b32 exec_lo, exec_lo, s20
.LBB272_1879:                           ;   in Loop: Header=BB272_1056 Depth=1
	s_or_b32 exec_lo, exec_lo, s19
.LBB272_1880:                           ;   in Loop: Header=BB272_1056 Depth=1
	s_or_b32 exec_lo, exec_lo, s18
	v_mov_b32_e32 v3, v12
	v_cmp_ne_u16_sdwa s5, v12, v4 src0_sel:BYTE_0 src1_sel:DWORD
	v_mov_b32_e32 v40, 0
	v_mov_b32_e32 v41, 0
	s_and_saveexec_b32 s18, s5
	s_cbranch_execz .LBB272_1888
; %bb.1881:                             ;   in Loop: Header=BB272_1056 Depth=1
	v_cmp_ne_u16_sdwa s5, v12, v34 src0_sel:BYTE_0 src1_sel:DWORD
	v_mov_b32_e32 v41, 0x8000
	s_and_saveexec_b32 s19, s5
	s_cbranch_execz .LBB272_1887
; %bb.1882:                             ;   in Loop: Header=BB272_1056 Depth=1
	v_and_b32_e32 v42, 0x7f, v12
	v_mov_b32_e32 v41, 0x7c01
	s_mov_b32 s20, exec_lo
	v_cmpx_ne_u32_e32 0x7f, v42
	s_cbranch_execz .LBB272_1886
; %bb.1883:                             ;   in Loop: Header=BB272_1056 Depth=1
	v_and_b32_e32 v2, 7, v12
	v_lshrrev_b32_e32 v41, 3, v42
	s_mov_b32 s21, exec_lo
	v_cmpx_gt_u32_e32 8, v42
; %bb.1884:                             ;   in Loop: Header=BB272_1056 Depth=1
	v_ffbh_u32_e32 v2, v2
	v_min_u32_e32 v2, 32, v2
	v_subrev_nc_u32_e32 v41, 28, v2
	v_lshlrev_b64 v[42:43], v41, v[3:4]
	v_sub_nc_u32_e32 v41, 29, v2
	v_and_b32_e32 v2, 7, v42
; %bb.1885:                             ;   in Loop: Header=BB272_1056 Depth=1
	s_or_b32 exec_lo, exec_lo, s21
	v_lshlrev_b32_e32 v42, 8, v12
	v_lshl_add_u32 v41, v41, 10, 0x2000
	v_lshlrev_b32_e32 v2, 7, v2
	v_and_b32_e32 v42, 0x8000, v42
	v_and_b32_e32 v41, 0xfc00, v41
	v_or3_b32 v41, v42, v41, v2
.LBB272_1886:                           ;   in Loop: Header=BB272_1056 Depth=1
	s_or_b32 exec_lo, exec_lo, s20
.LBB272_1887:                           ;   in Loop: Header=BB272_1056 Depth=1
	s_or_b32 exec_lo, exec_lo, s19
.LBB272_1888:                           ;   in Loop: Header=BB272_1056 Depth=1
	s_or_b32 exec_lo, exec_lo, s18
	v_lshrrev_b16 v3, 8, v3
	v_mov_b32_e32 v42, 0
	s_mov_b32 s18, exec_lo
	v_cmpx_ne_u16_e32 0, v3
	s_cbranch_execz .LBB272_1896
; %bb.1889:                             ;   in Loop: Header=BB272_1056 Depth=1
	v_bfrev_b32_e32 v42, 1
	s_mov_b32 s19, exec_lo
	v_cmpx_ne_u16_e32 0x80, v3
	s_cbranch_execz .LBB272_1895
; %bb.1890:                             ;   in Loop: Header=BB272_1056 Depth=1
	v_and_b32_sdwa v43, v3, v52 dst_sel:DWORD dst_unused:UNUSED_PAD src0_sel:WORD_0 src1_sel:DWORD
	v_mov_b32_e32 v42, 0x7c010000
	s_mov_b32 s20, exec_lo
	v_cmpx_ne_u32_e32 0x7f, v43
	s_cbranch_execz .LBB272_1894
; %bb.1891:                             ;   in Loop: Header=BB272_1056 Depth=1
	v_and_b32_sdwa v2, v3, v53 dst_sel:DWORD dst_unused:UNUSED_PAD src0_sel:WORD_0 src1_sel:DWORD
	v_lshrrev_b32_e32 v42, 3, v43
	s_mov_b32 s21, exec_lo
	v_cmpx_gt_u32_e32 8, v43
; %bb.1892:                             ;   in Loop: Header=BB272_1056 Depth=1
	v_ffbh_u32_e32 v2, v2
	v_min_u32_e32 v2, 32, v2
	v_subrev_nc_u32_e32 v42, 28, v2
	v_lshlrev_b64 v[43:44], v42, v[3:4]
	v_sub_nc_u32_e32 v42, 29, v2
	v_and_b32_e32 v2, 7, v43
; %bb.1893:                             ;   in Loop: Header=BB272_1056 Depth=1
	s_or_b32 exec_lo, exec_lo, s21
	v_lshlrev_b32_sdwa v3, v54, v3 dst_sel:DWORD dst_unused:UNUSED_PAD src0_sel:DWORD src1_sel:WORD_0
	v_lshl_add_u32 v42, v42, 10, 0x2000
	v_lshlrev_b32_e32 v2, 23, v2
	v_and_or_b32 v3, 0x8000, v3, v42
	v_lshl_or_b32 v42, v3, 16, v2
.LBB272_1894:                           ;   in Loop: Header=BB272_1056 Depth=1
	s_or_b32 exec_lo, exec_lo, s20
.LBB272_1895:                           ;   in Loop: Header=BB272_1056 Depth=1
	s_or_b32 exec_lo, exec_lo, s19
.LBB272_1896:                           ;   in Loop: Header=BB272_1056 Depth=1
	s_or_b32 exec_lo, exec_lo, s18
	v_lshrrev_b32_e32 v2, 16, v12
	v_cmp_ne_u16_sdwa s5, v2, v4 src0_sel:BYTE_0 src1_sel:DWORD
	s_and_saveexec_b32 s18, s5
	s_cbranch_execz .LBB272_1904
; %bb.1897:                             ;   in Loop: Header=BB272_1056 Depth=1
	v_cmp_ne_u16_sdwa s5, v2, v34 src0_sel:BYTE_0 src1_sel:DWORD
	v_mov_b32_e32 v40, 0x8000
	s_and_saveexec_b32 s19, s5
	s_cbranch_execz .LBB272_1903
; %bb.1898:                             ;   in Loop: Header=BB272_1056 Depth=1
	v_bfe_u32 v43, v12, 16, 7
	v_mov_b32_e32 v40, 0x7c01
	s_mov_b32 s20, exec_lo
	v_cmpx_ne_u32_e32 0x7f, v43
	s_cbranch_execz .LBB272_1902
; %bb.1899:                             ;   in Loop: Header=BB272_1056 Depth=1
	v_and_b32_e32 v3, 7, v2
	v_lshrrev_b32_e32 v40, 3, v43
	s_mov_b32 s21, exec_lo
	v_cmpx_gt_u32_e32 8, v43
; %bb.1900:                             ;   in Loop: Header=BB272_1056 Depth=1
	v_ffbh_u32_e32 v3, v3
	v_min_u32_e32 v3, 32, v3
	v_subrev_nc_u32_e32 v40, 28, v3
	v_lshlrev_b64 v[43:44], v40, v[2:3]
	v_sub_nc_u32_e32 v40, 29, v3
	v_and_b32_e32 v3, 7, v43
; %bb.1901:                             ;   in Loop: Header=BB272_1056 Depth=1
	s_or_b32 exec_lo, exec_lo, s21
	v_lshlrev_b32_e32 v2, 8, v2
	v_lshl_add_u32 v40, v40, 10, 0x2000
	v_lshlrev_b32_e32 v3, 7, v3
	v_and_b32_e32 v2, 0x8000, v2
	v_and_b32_e32 v40, 0xfc00, v40
	v_or3_b32 v40, v2, v40, v3
.LBB272_1902:                           ;   in Loop: Header=BB272_1056 Depth=1
	s_or_b32 exec_lo, exec_lo, s20
.LBB272_1903:                           ;   in Loop: Header=BB272_1056 Depth=1
	s_or_b32 exec_lo, exec_lo, s19
.LBB272_1904:                           ;   in Loop: Header=BB272_1056 Depth=1
	s_or_b32 exec_lo, exec_lo, s18
	v_mov_b32_e32 v2, 0
	s_mov_b32 s18, exec_lo
	v_cmpx_lt_u64_e64 s[6:7], v[11:12]
	s_cbranch_execz .LBB272_1912
; %bb.1905:                             ;   in Loop: Header=BB272_1056 Depth=1
	v_lshrrev_b32_e32 v3, 24, v12
	v_bfrev_b32_e32 v2, 1
	s_mov_b32 s19, exec_lo
	v_cmpx_ne_u32_e32 0x80, v3
	s_cbranch_execz .LBB272_1911
; %bb.1906:                             ;   in Loop: Header=BB272_1056 Depth=1
	v_and_b32_e32 v12, 0x7f, v3
	v_mov_b32_e32 v2, 0x7c010000
	s_mov_b32 s20, exec_lo
	v_cmpx_ne_u32_e32 0x7f, v12
	s_cbranch_execz .LBB272_1910
; %bb.1907:                             ;   in Loop: Header=BB272_1056 Depth=1
	v_and_b32_e32 v2, 7, v3
	v_lshrrev_b32_e32 v11, 3, v12
	s_mov_b32 s21, exec_lo
	v_cmpx_gt_u32_e32 8, v12
; %bb.1908:                             ;   in Loop: Header=BB272_1056 Depth=1
	v_ffbh_u32_e32 v2, v2
	v_min_u32_e32 v2, 32, v2
	v_subrev_nc_u32_e32 v11, 28, v2
	v_lshlrev_b64 v[43:44], v11, v[3:4]
	v_sub_nc_u32_e32 v11, 29, v2
	v_and_b32_e32 v2, 7, v43
; %bb.1909:                             ;   in Loop: Header=BB272_1056 Depth=1
	s_or_b32 exec_lo, exec_lo, s21
	v_lshlrev_b32_e32 v3, 8, v3
	v_lshl_add_u32 v11, v11, 10, 0x2000
	v_lshlrev_b32_e32 v2, 23, v2
	v_and_or_b32 v3, 0x8000, v3, v11
	v_lshl_or_b32 v2, v3, 16, v2
.LBB272_1910:                           ;   in Loop: Header=BB272_1056 Depth=1
	s_or_b32 exec_lo, exec_lo, s20
.LBB272_1911:                           ;   in Loop: Header=BB272_1056 Depth=1
	s_or_b32 exec_lo, exec_lo, s19
.LBB272_1912:                           ;   in Loop: Header=BB272_1056 Depth=1
	s_or_b32 exec_lo, exec_lo, s18
	v_or_b32_e32 v3, v118, v119
	s_waitcnt vmcnt(0) lgkmcnt(0)
	v_fma_mixlo_f16 v11, v30, v118, 0 op_sel:[0,1,0] op_sel_hi:[0,1,0]
	v_or_b32_e32 v12, v31, v117
	v_or_b32_e32 v117, v42, v41
	;; [unrolled: 1-line block ×3, first 2 shown]
	v_fma_mixlo_f16 v118, v30, v3, 0 op_sel_hi:[0,1,0]
	v_fma_mixlo_f16 v31, v30, v31, 0 op_sel:[0,1,0] op_sel_hi:[0,1,0]
	v_lshlrev_b32_e32 v3, 16, v11
	v_fma_mixlo_f16 v12, v30, v12, 0 op_sel_hi:[0,1,0]
	v_fma_mixlo_f16 v117, v30, v117, 0 op_sel_hi:[0,1,0]
	v_and_b32_e32 v11, 0xffff, v118
	v_fma_mixlo_f16 v118, v30, v42, 0 op_sel:[0,1,0] op_sel_hi:[0,1,0]
	v_fma_mixlo_f16 v2, v30, v2, 0 op_sel:[0,1,0] op_sel_hi:[0,1,0]
	v_fma_mixlo_f16 v30, v30, v119, 0 op_sel_hi:[0,1,0]
	v_lshlrev_b32_e32 v31, 16, v31
	v_and_b32_e32 v42, 0xffff, v12
	v_lshlrev_b32_e32 v12, 16, v118
	v_and_b32_e32 v118, 0xffff, v117
	;; [unrolled: 2-line block ×3, first 2 shown]
	v_or_b32_e32 v117, v3, v11
	v_or_b32_e32 v41, v31, v42
	;; [unrolled: 1-line block ×4, first 2 shown]
	s_and_saveexec_b32 s18, vcc_lo
	s_cbranch_execz .LBB272_1914
; %bb.1913:                             ;   in Loop: Header=BB272_1056 Depth=1
	v_cmp_lt_i32_e64 s5, v64, v29
	v_cndmask_b32_e64 v117, 0, v42, s5
	v_cmp_lt_i32_e64 s5, v84, v29
	v_cndmask_b32_e64 v31, 0, v31, s5
	v_cmp_lt_i32_e64 s5, v83, v29
	v_or_b32_e32 v41, v117, v31
	v_cndmask_b32_e64 v11, 0, v11, s5
	v_cmp_lt_i32_e64 s5, v82, v29
	v_cndmask_b32_e64 v3, 0, v3, s5
	v_cmp_lt_i32_e64 s5, v81, v29
	v_or_b32_e32 v117, v11, v3
	v_cndmask_b32_e64 v118, 0, v118, s5
	v_cmp_lt_i32_e64 s5, v80, v29
	v_cndmask_b32_e64 v12, 0, v12, s5
	v_cmp_lt_i32_e64 s5, v71, v29
	v_or_b32_e32 v40, v118, v12
	v_cndmask_b32_e64 v30, 0, v30, s5
	v_cmp_lt_i32_e64 s5, v19, v29
	v_cndmask_b32_e64 v2, 0, v2, s5
	v_or_b32_e32 v119, v30, v2
.LBB272_1914:                           ;   in Loop: Header=BB272_1056 Depth=1
	s_or_b32 exec_lo, exec_lo, s18
	;;#ASMSTART
	v_pk_mul_f16 v2, v69, v41;

	;;#ASMEND
	;;#ASMSTART
	v_pk_mul_f16 v3, v67, v117;

	;;#ASMEND
	;; [unrolled: 4-line block ×4, first 2 shown]
	;;#ASMSTART
	v_pk_add_f16 v2, v2, v3;

	;;#ASMEND
	;;#ASMSTART
	v_pk_add_f16 v2, v2, v11;

	;;#ASMEND
	;; [unrolled: 4-line block ×3, first 2 shown]
	v_and_b32_e32 v3, 0xffff, v2
	v_lshrrev_b32_e32 v2, 16, v2
	;;#ASMSTART
	v_cvt_f32_f16 v30, v3;
	;;#ASMEND
	;;#ASMSTART
	v_cvt_f32_f16 v31, v2;
	;;#ASMEND
	flat_load_dwordx2 v[11:12], v[9:10] offset:1280
	flat_load_dword v117, v[22:23]
	v_mov_b32_e32 v118, 0
	v_mov_b32_e32 v119, 0
	s_waitcnt vmcnt(1) lgkmcnt(1)
	v_cmp_ne_u16_sdwa s5, v11, v4 src0_sel:BYTE_0 src1_sel:DWORD
	s_and_saveexec_b32 s18, s5
	s_cbranch_execz .LBB272_1922
; %bb.1915:                             ;   in Loop: Header=BB272_1056 Depth=1
	v_cmp_ne_u16_sdwa s5, v11, v34 src0_sel:BYTE_0 src1_sel:DWORD
	v_mov_b32_e32 v119, 0x8000
	s_and_saveexec_b32 s19, s5
	s_cbranch_execz .LBB272_1921
; %bb.1916:                             ;   in Loop: Header=BB272_1056 Depth=1
	v_and_b32_e32 v40, 0x7f, v11
	v_mov_b32_e32 v119, 0x7c01
	s_mov_b32 s20, exec_lo
	v_cmpx_ne_u32_e32 0x7f, v40
	s_cbranch_execz .LBB272_1920
; %bb.1917:                             ;   in Loop: Header=BB272_1056 Depth=1
	v_and_b32_e32 v2, 7, v11
	v_lshrrev_b32_e32 v3, 3, v40
	s_mov_b32 s21, exec_lo
	v_cmpx_gt_u32_e32 8, v40
; %bb.1918:                             ;   in Loop: Header=BB272_1056 Depth=1
	v_ffbh_u32_e32 v2, v2
	v_min_u32_e32 v119, 32, v2
	v_subrev_nc_u32_e32 v2, 28, v119
	v_lshlrev_b64 v[2:3], v2, v[11:12]
	v_sub_nc_u32_e32 v3, 29, v119
	v_and_b32_e32 v2, 7, v2
; %bb.1919:                             ;   in Loop: Header=BB272_1056 Depth=1
	s_or_b32 exec_lo, exec_lo, s21
	v_lshlrev_b32_e32 v119, 8, v11
	v_lshl_add_u32 v3, v3, 10, 0x2000
	v_lshlrev_b32_e32 v2, 7, v2
	v_and_b32_e32 v119, 0x8000, v119
	v_and_b32_e32 v3, 0xfc00, v3
	v_or3_b32 v119, v119, v3, v2
.LBB272_1920:                           ;   in Loop: Header=BB272_1056 Depth=1
	s_or_b32 exec_lo, exec_lo, s20
.LBB272_1921:                           ;   in Loop: Header=BB272_1056 Depth=1
	s_or_b32 exec_lo, exec_lo, s19
.LBB272_1922:                           ;   in Loop: Header=BB272_1056 Depth=1
	s_or_b32 exec_lo, exec_lo, s18
	v_lshrrev_b16 v3, 8, v11
	s_mov_b32 s18, exec_lo
	v_cmpx_ne_u16_e32 0, v3
	s_cbranch_execz .LBB272_1930
; %bb.1923:                             ;   in Loop: Header=BB272_1056 Depth=1
	v_bfrev_b32_e32 v118, 1
	s_mov_b32 s19, exec_lo
	v_cmpx_ne_u16_e32 0x80, v3
	s_cbranch_execz .LBB272_1929
; %bb.1924:                             ;   in Loop: Header=BB272_1056 Depth=1
	v_and_b32_sdwa v40, v3, v52 dst_sel:DWORD dst_unused:UNUSED_PAD src0_sel:WORD_0 src1_sel:DWORD
	v_mov_b32_e32 v118, 0x7c010000
	s_mov_b32 s20, exec_lo
	v_cmpx_ne_u32_e32 0x7f, v40
	s_cbranch_execz .LBB272_1928
; %bb.1925:                             ;   in Loop: Header=BB272_1056 Depth=1
	v_and_b32_sdwa v2, v3, v53 dst_sel:DWORD dst_unused:UNUSED_PAD src0_sel:WORD_0 src1_sel:DWORD
	v_lshrrev_b32_e32 v118, 3, v40
	s_mov_b32 s21, exec_lo
	v_cmpx_gt_u32_e32 8, v40
; %bb.1926:                             ;   in Loop: Header=BB272_1056 Depth=1
	v_ffbh_u32_e32 v2, v2
	v_min_u32_e32 v2, 32, v2
	v_subrev_nc_u32_e32 v118, 28, v2
	v_lshlrev_b64 v[40:41], v118, v[3:4]
	v_sub_nc_u32_e32 v118, 29, v2
	v_and_b32_e32 v2, 7, v40
; %bb.1927:                             ;   in Loop: Header=BB272_1056 Depth=1
	s_or_b32 exec_lo, exec_lo, s21
	v_lshlrev_b32_sdwa v3, v54, v3 dst_sel:DWORD dst_unused:UNUSED_PAD src0_sel:DWORD src1_sel:WORD_0
	v_lshl_add_u32 v118, v118, 10, 0x2000
	v_lshlrev_b32_e32 v2, 23, v2
	v_and_or_b32 v3, 0x8000, v3, v118
	v_lshl_or_b32 v118, v3, 16, v2
.LBB272_1928:                           ;   in Loop: Header=BB272_1056 Depth=1
	s_or_b32 exec_lo, exec_lo, s20
.LBB272_1929:                           ;   in Loop: Header=BB272_1056 Depth=1
	s_or_b32 exec_lo, exec_lo, s19
.LBB272_1930:                           ;   in Loop: Header=BB272_1056 Depth=1
	s_or_b32 exec_lo, exec_lo, s18
	v_lshrrev_b32_e32 v2, 16, v11
	v_mov_b32_e32 v40, 0
	v_mov_b32_e32 v41, 0
	v_cmp_ne_u16_sdwa s5, v2, v4 src0_sel:BYTE_0 src1_sel:DWORD
	s_and_saveexec_b32 s18, s5
	s_cbranch_execz .LBB272_1938
; %bb.1931:                             ;   in Loop: Header=BB272_1056 Depth=1
	v_cmp_ne_u16_sdwa s5, v2, v34 src0_sel:BYTE_0 src1_sel:DWORD
	v_mov_b32_e32 v41, 0x8000
	s_and_saveexec_b32 s19, s5
	s_cbranch_execz .LBB272_1937
; %bb.1932:                             ;   in Loop: Header=BB272_1056 Depth=1
	v_bfe_u32 v42, v11, 16, 7
	v_mov_b32_e32 v41, 0x7c01
	s_mov_b32 s20, exec_lo
	v_cmpx_ne_u32_e32 0x7f, v42
	s_cbranch_execz .LBB272_1936
; %bb.1933:                             ;   in Loop: Header=BB272_1056 Depth=1
	v_and_b32_e32 v3, 7, v2
	v_lshrrev_b32_e32 v41, 3, v42
	s_mov_b32 s21, exec_lo
	v_cmpx_gt_u32_e32 8, v42
; %bb.1934:                             ;   in Loop: Header=BB272_1056 Depth=1
	v_ffbh_u32_e32 v3, v3
	v_min_u32_e32 v3, 32, v3
	v_subrev_nc_u32_e32 v41, 28, v3
	v_lshlrev_b64 v[42:43], v41, v[2:3]
	v_sub_nc_u32_e32 v41, 29, v3
	v_and_b32_e32 v3, 7, v42
; %bb.1935:                             ;   in Loop: Header=BB272_1056 Depth=1
	s_or_b32 exec_lo, exec_lo, s21
	v_lshlrev_b32_e32 v2, 8, v2
	v_lshl_add_u32 v41, v41, 10, 0x2000
	v_lshlrev_b32_e32 v3, 7, v3
	v_and_b32_e32 v2, 0x8000, v2
	v_and_b32_e32 v41, 0xfc00, v41
	v_or3_b32 v41, v2, v41, v3
.LBB272_1936:                           ;   in Loop: Header=BB272_1056 Depth=1
	s_or_b32 exec_lo, exec_lo, s20
.LBB272_1937:                           ;   in Loop: Header=BB272_1056 Depth=1
	s_or_b32 exec_lo, exec_lo, s19
.LBB272_1938:                           ;   in Loop: Header=BB272_1056 Depth=1
	s_or_b32 exec_lo, exec_lo, s18
	s_mov_b32 s18, exec_lo
	v_cmpx_lt_u32_e32 0xffffff, v11
	s_cbranch_execz .LBB272_1946
; %bb.1939:                             ;   in Loop: Header=BB272_1056 Depth=1
	v_lshrrev_b32_e32 v3, 24, v11
	v_bfrev_b32_e32 v40, 1
	s_mov_b32 s19, exec_lo
	v_cmpx_ne_u32_e32 0x80, v3
	s_cbranch_execz .LBB272_1945
; %bb.1940:                             ;   in Loop: Header=BB272_1056 Depth=1
	v_and_b32_e32 v42, 0x7f, v3
	v_mov_b32_e32 v40, 0x7c010000
	s_mov_b32 s20, exec_lo
	v_cmpx_ne_u32_e32 0x7f, v42
	s_cbranch_execz .LBB272_1944
; %bb.1941:                             ;   in Loop: Header=BB272_1056 Depth=1
	v_and_b32_e32 v2, 7, v3
	v_lshrrev_b32_e32 v40, 3, v42
	s_mov_b32 s21, exec_lo
	v_cmpx_gt_u32_e32 8, v42
; %bb.1942:                             ;   in Loop: Header=BB272_1056 Depth=1
	v_ffbh_u32_e32 v2, v2
	v_min_u32_e32 v2, 32, v2
	v_subrev_nc_u32_e32 v40, 28, v2
	v_lshlrev_b64 v[42:43], v40, v[3:4]
	v_sub_nc_u32_e32 v40, 29, v2
	v_and_b32_e32 v2, 7, v42
; %bb.1943:                             ;   in Loop: Header=BB272_1056 Depth=1
	s_or_b32 exec_lo, exec_lo, s21
	v_lshlrev_b32_e32 v3, 8, v3
	v_lshl_add_u32 v40, v40, 10, 0x2000
	v_lshlrev_b32_e32 v2, 23, v2
	v_and_or_b32 v3, 0x8000, v3, v40
	v_lshl_or_b32 v40, v3, 16, v2
.LBB272_1944:                           ;   in Loop: Header=BB272_1056 Depth=1
	s_or_b32 exec_lo, exec_lo, s20
.LBB272_1945:                           ;   in Loop: Header=BB272_1056 Depth=1
	s_or_b32 exec_lo, exec_lo, s19
.LBB272_1946:                           ;   in Loop: Header=BB272_1056 Depth=1
	s_or_b32 exec_lo, exec_lo, s18
	v_mov_b32_e32 v3, v12
	v_cmp_ne_u16_sdwa s5, v12, v4 src0_sel:BYTE_0 src1_sel:DWORD
	v_mov_b32_e32 v42, 0
	v_mov_b32_e32 v43, 0
	s_and_saveexec_b32 s18, s5
	s_cbranch_execz .LBB272_1954
; %bb.1947:                             ;   in Loop: Header=BB272_1056 Depth=1
	v_cmp_ne_u16_sdwa s5, v12, v34 src0_sel:BYTE_0 src1_sel:DWORD
	v_mov_b32_e32 v43, 0x8000
	s_and_saveexec_b32 s19, s5
	s_cbranch_execz .LBB272_1953
; %bb.1948:                             ;   in Loop: Header=BB272_1056 Depth=1
	v_and_b32_e32 v44, 0x7f, v12
	v_mov_b32_e32 v43, 0x7c01
	s_mov_b32 s20, exec_lo
	v_cmpx_ne_u32_e32 0x7f, v44
	s_cbranch_execz .LBB272_1952
; %bb.1949:                             ;   in Loop: Header=BB272_1056 Depth=1
	v_and_b32_e32 v2, 7, v12
	v_lshrrev_b32_e32 v43, 3, v44
	s_mov_b32 s21, exec_lo
	v_cmpx_gt_u32_e32 8, v44
; %bb.1950:                             ;   in Loop: Header=BB272_1056 Depth=1
	v_ffbh_u32_e32 v2, v2
	v_min_u32_e32 v2, 32, v2
	v_subrev_nc_u32_e32 v43, 28, v2
	v_lshlrev_b64 v[44:45], v43, v[3:4]
	v_sub_nc_u32_e32 v43, 29, v2
	v_and_b32_e32 v2, 7, v44
; %bb.1951:                             ;   in Loop: Header=BB272_1056 Depth=1
	s_or_b32 exec_lo, exec_lo, s21
	v_lshlrev_b32_e32 v44, 8, v12
	v_lshl_add_u32 v43, v43, 10, 0x2000
	v_lshlrev_b32_e32 v2, 7, v2
	v_and_b32_e32 v44, 0x8000, v44
	v_and_b32_e32 v43, 0xfc00, v43
	v_or3_b32 v43, v44, v43, v2
.LBB272_1952:                           ;   in Loop: Header=BB272_1056 Depth=1
	s_or_b32 exec_lo, exec_lo, s20
.LBB272_1953:                           ;   in Loop: Header=BB272_1056 Depth=1
	s_or_b32 exec_lo, exec_lo, s19
.LBB272_1954:                           ;   in Loop: Header=BB272_1056 Depth=1
	s_or_b32 exec_lo, exec_lo, s18
	v_lshrrev_b16 v3, 8, v3
	v_mov_b32_e32 v44, 0
	s_mov_b32 s18, exec_lo
	v_cmpx_ne_u16_e32 0, v3
	s_cbranch_execz .LBB272_1962
; %bb.1955:                             ;   in Loop: Header=BB272_1056 Depth=1
	v_bfrev_b32_e32 v44, 1
	s_mov_b32 s19, exec_lo
	v_cmpx_ne_u16_e32 0x80, v3
	s_cbranch_execz .LBB272_1961
; %bb.1956:                             ;   in Loop: Header=BB272_1056 Depth=1
	v_and_b32_sdwa v45, v3, v52 dst_sel:DWORD dst_unused:UNUSED_PAD src0_sel:WORD_0 src1_sel:DWORD
	v_mov_b32_e32 v44, 0x7c010000
	s_mov_b32 s20, exec_lo
	v_cmpx_ne_u32_e32 0x7f, v45
	s_cbranch_execz .LBB272_1960
; %bb.1957:                             ;   in Loop: Header=BB272_1056 Depth=1
	v_and_b32_sdwa v2, v3, v53 dst_sel:DWORD dst_unused:UNUSED_PAD src0_sel:WORD_0 src1_sel:DWORD
	v_lshrrev_b32_e32 v44, 3, v45
	s_mov_b32 s21, exec_lo
	v_cmpx_gt_u32_e32 8, v45
; %bb.1958:                             ;   in Loop: Header=BB272_1056 Depth=1
	v_ffbh_u32_e32 v2, v2
	v_min_u32_e32 v2, 32, v2
	v_subrev_nc_u32_e32 v44, 28, v2
	v_lshlrev_b64 v[45:46], v44, v[3:4]
	v_sub_nc_u32_e32 v44, 29, v2
	v_and_b32_e32 v2, 7, v45
; %bb.1959:                             ;   in Loop: Header=BB272_1056 Depth=1
	s_or_b32 exec_lo, exec_lo, s21
	v_lshlrev_b32_sdwa v3, v54, v3 dst_sel:DWORD dst_unused:UNUSED_PAD src0_sel:DWORD src1_sel:WORD_0
	v_lshl_add_u32 v44, v44, 10, 0x2000
	v_lshlrev_b32_e32 v2, 23, v2
	v_and_or_b32 v3, 0x8000, v3, v44
	v_lshl_or_b32 v44, v3, 16, v2
.LBB272_1960:                           ;   in Loop: Header=BB272_1056 Depth=1
	s_or_b32 exec_lo, exec_lo, s20
.LBB272_1961:                           ;   in Loop: Header=BB272_1056 Depth=1
	s_or_b32 exec_lo, exec_lo, s19
.LBB272_1962:                           ;   in Loop: Header=BB272_1056 Depth=1
	s_or_b32 exec_lo, exec_lo, s18
	v_lshrrev_b32_e32 v2, 16, v12
	v_cmp_ne_u16_sdwa s5, v2, v4 src0_sel:BYTE_0 src1_sel:DWORD
	s_and_saveexec_b32 s18, s5
	s_cbranch_execz .LBB272_1970
; %bb.1963:                             ;   in Loop: Header=BB272_1056 Depth=1
	v_cmp_ne_u16_sdwa s5, v2, v34 src0_sel:BYTE_0 src1_sel:DWORD
	v_mov_b32_e32 v42, 0x8000
	s_and_saveexec_b32 s19, s5
	s_cbranch_execz .LBB272_1969
; %bb.1964:                             ;   in Loop: Header=BB272_1056 Depth=1
	v_bfe_u32 v45, v12, 16, 7
	v_mov_b32_e32 v42, 0x7c01
	s_mov_b32 s20, exec_lo
	v_cmpx_ne_u32_e32 0x7f, v45
	s_cbranch_execz .LBB272_1968
; %bb.1965:                             ;   in Loop: Header=BB272_1056 Depth=1
	v_and_b32_e32 v3, 7, v2
	v_lshrrev_b32_e32 v42, 3, v45
	s_mov_b32 s21, exec_lo
	v_cmpx_gt_u32_e32 8, v45
; %bb.1966:                             ;   in Loop: Header=BB272_1056 Depth=1
	v_ffbh_u32_e32 v3, v3
	v_min_u32_e32 v3, 32, v3
	v_subrev_nc_u32_e32 v42, 28, v3
	v_lshlrev_b64 v[45:46], v42, v[2:3]
	v_sub_nc_u32_e32 v42, 29, v3
	v_and_b32_e32 v3, 7, v45
; %bb.1967:                             ;   in Loop: Header=BB272_1056 Depth=1
	s_or_b32 exec_lo, exec_lo, s21
	v_lshlrev_b32_e32 v2, 8, v2
	v_lshl_add_u32 v42, v42, 10, 0x2000
	v_lshlrev_b32_e32 v3, 7, v3
	v_and_b32_e32 v2, 0x8000, v2
	v_and_b32_e32 v42, 0xfc00, v42
	v_or3_b32 v42, v2, v42, v3
.LBB272_1968:                           ;   in Loop: Header=BB272_1056 Depth=1
	s_or_b32 exec_lo, exec_lo, s20
.LBB272_1969:                           ;   in Loop: Header=BB272_1056 Depth=1
	s_or_b32 exec_lo, exec_lo, s19
.LBB272_1970:                           ;   in Loop: Header=BB272_1056 Depth=1
	s_or_b32 exec_lo, exec_lo, s18
	v_mov_b32_e32 v2, 0
	s_mov_b32 s18, exec_lo
	v_cmpx_lt_u64_e64 s[6:7], v[11:12]
	s_cbranch_execz .LBB272_1978
; %bb.1971:                             ;   in Loop: Header=BB272_1056 Depth=1
	v_lshrrev_b32_e32 v3, 24, v12
	v_bfrev_b32_e32 v2, 1
	s_mov_b32 s19, exec_lo
	v_cmpx_ne_u32_e32 0x80, v3
	s_cbranch_execz .LBB272_1977
; %bb.1972:                             ;   in Loop: Header=BB272_1056 Depth=1
	v_and_b32_e32 v12, 0x7f, v3
	v_mov_b32_e32 v2, 0x7c010000
	s_mov_b32 s20, exec_lo
	v_cmpx_ne_u32_e32 0x7f, v12
	s_cbranch_execz .LBB272_1976
; %bb.1973:                             ;   in Loop: Header=BB272_1056 Depth=1
	v_and_b32_e32 v2, 7, v3
	v_lshrrev_b32_e32 v11, 3, v12
	s_mov_b32 s21, exec_lo
	v_cmpx_gt_u32_e32 8, v12
; %bb.1974:                             ;   in Loop: Header=BB272_1056 Depth=1
	v_ffbh_u32_e32 v2, v2
	v_min_u32_e32 v2, 32, v2
	v_subrev_nc_u32_e32 v11, 28, v2
	v_lshlrev_b64 v[45:46], v11, v[3:4]
	v_sub_nc_u32_e32 v11, 29, v2
	v_and_b32_e32 v2, 7, v45
; %bb.1975:                             ;   in Loop: Header=BB272_1056 Depth=1
	s_or_b32 exec_lo, exec_lo, s21
	v_lshlrev_b32_e32 v3, 8, v3
	v_lshl_add_u32 v11, v11, 10, 0x2000
	v_lshlrev_b32_e32 v2, 23, v2
	v_and_or_b32 v3, 0x8000, v3, v11
	v_lshl_or_b32 v2, v3, 16, v2
.LBB272_1976:                           ;   in Loop: Header=BB272_1056 Depth=1
	s_or_b32 exec_lo, exec_lo, s20
.LBB272_1977:                           ;   in Loop: Header=BB272_1056 Depth=1
	s_or_b32 exec_lo, exec_lo, s19
.LBB272_1978:                           ;   in Loop: Header=BB272_1056 Depth=1
	s_or_b32 exec_lo, exec_lo, s18
	v_or_b32_e32 v3, v40, v41
	s_waitcnt vmcnt(0) lgkmcnt(0)
	v_fma_mixlo_f16 v11, v117, v40, 0 op_sel:[0,1,0] op_sel_hi:[0,1,0]
	v_or_b32_e32 v12, v118, v119
	v_or_b32_e32 v119, v44, v43
	;; [unrolled: 1-line block ×3, first 2 shown]
	v_fma_mixlo_f16 v40, v117, v3, 0 op_sel_hi:[0,1,0]
	v_fma_mixlo_f16 v118, v117, v118, 0 op_sel:[0,1,0] op_sel_hi:[0,1,0]
	v_lshlrev_b32_e32 v3, 16, v11
	v_fma_mixlo_f16 v12, v117, v12, 0 op_sel_hi:[0,1,0]
	v_fma_mixlo_f16 v119, v117, v119, 0 op_sel_hi:[0,1,0]
	v_and_b32_e32 v11, 0xffff, v40
	v_fma_mixlo_f16 v40, v117, v44, 0 op_sel:[0,1,0] op_sel_hi:[0,1,0]
	v_fma_mixlo_f16 v2, v117, v2, 0 op_sel:[0,1,0] op_sel_hi:[0,1,0]
	v_fma_mixlo_f16 v117, v117, v41, 0 op_sel_hi:[0,1,0]
	v_lshlrev_b32_e32 v118, 16, v118
	v_and_b32_e32 v44, 0xffff, v12
	v_lshlrev_b32_e32 v12, 16, v40
	v_and_b32_e32 v40, 0xffff, v119
	;; [unrolled: 2-line block ×3, first 2 shown]
	v_or_b32_e32 v119, v3, v11
	v_or_b32_e32 v43, v118, v44
	;; [unrolled: 1-line block ×4, first 2 shown]
	s_and_saveexec_b32 s18, vcc_lo
	s_cbranch_execz .LBB272_1980
; %bb.1979:                             ;   in Loop: Header=BB272_1056 Depth=1
	v_cmp_lt_i32_e64 s5, v64, v29
	v_cndmask_b32_e64 v119, 0, v44, s5
	v_cmp_lt_i32_e64 s5, v84, v29
	v_cndmask_b32_e64 v118, 0, v118, s5
	v_cmp_lt_i32_e64 s5, v83, v29
	v_or_b32_e32 v43, v119, v118
	v_cndmask_b32_e64 v11, 0, v11, s5
	v_cmp_lt_i32_e64 s5, v82, v29
	v_cndmask_b32_e64 v3, 0, v3, s5
	v_cmp_lt_i32_e64 s5, v81, v29
	v_or_b32_e32 v119, v11, v3
	v_cndmask_b32_e64 v40, 0, v40, s5
	v_cmp_lt_i32_e64 s5, v80, v29
	v_cndmask_b32_e64 v12, 0, v12, s5
	v_cmp_lt_i32_e64 s5, v71, v29
	v_or_b32_e32 v42, v40, v12
	v_cndmask_b32_e64 v117, 0, v117, s5
	v_cmp_lt_i32_e64 s5, v19, v29
	v_cndmask_b32_e64 v2, 0, v2, s5
	v_or_b32_e32 v41, v117, v2
.LBB272_1980:                           ;   in Loop: Header=BB272_1056 Depth=1
	s_or_b32 exec_lo, exec_lo, s18
	;;#ASMSTART
	v_pk_mul_f16 v2, v69, v43;

	;;#ASMEND
	;;#ASMSTART
	v_pk_mul_f16 v3, v67, v119;

	;;#ASMEND
	;; [unrolled: 4-line block ×4, first 2 shown]
	;;#ASMSTART
	v_pk_add_f16 v2, v2, v3;

	;;#ASMEND
	;;#ASMSTART
	v_pk_add_f16 v2, v2, v11;

	;;#ASMEND
	;;#ASMSTART
	v_pk_add_f16 v2, v2, v12;

	;;#ASMEND
	v_and_b32_e32 v3, 0xffff, v2
	v_lshrrev_b32_e32 v2, 16, v2
	;;#ASMSTART
	v_cvt_f32_f16 v117, v3;
	;;#ASMEND
	;;#ASMSTART
	v_cvt_f32_f16 v118, v2;
	;;#ASMEND
	flat_load_dwordx2 v[11:12], v[9:10] offset:1536
	flat_load_dword v119, v[22:23]
	v_mov_b32_e32 v40, 0
	v_mov_b32_e32 v41, 0
	s_waitcnt vmcnt(1) lgkmcnt(1)
	v_cmp_ne_u16_sdwa s5, v11, v4 src0_sel:BYTE_0 src1_sel:DWORD
	s_and_saveexec_b32 s18, s5
	s_cbranch_execz .LBB272_1988
; %bb.1981:                             ;   in Loop: Header=BB272_1056 Depth=1
	v_cmp_ne_u16_sdwa s5, v11, v34 src0_sel:BYTE_0 src1_sel:DWORD
	v_mov_b32_e32 v41, 0x8000
	s_and_saveexec_b32 s19, s5
	s_cbranch_execz .LBB272_1987
; %bb.1982:                             ;   in Loop: Header=BB272_1056 Depth=1
	v_and_b32_e32 v42, 0x7f, v11
	v_mov_b32_e32 v41, 0x7c01
	s_mov_b32 s20, exec_lo
	v_cmpx_ne_u32_e32 0x7f, v42
	s_cbranch_execz .LBB272_1986
; %bb.1983:                             ;   in Loop: Header=BB272_1056 Depth=1
	v_and_b32_e32 v2, 7, v11
	v_lshrrev_b32_e32 v3, 3, v42
	s_mov_b32 s21, exec_lo
	v_cmpx_gt_u32_e32 8, v42
; %bb.1984:                             ;   in Loop: Header=BB272_1056 Depth=1
	v_ffbh_u32_e32 v2, v2
	v_min_u32_e32 v41, 32, v2
	v_subrev_nc_u32_e32 v2, 28, v41
	v_lshlrev_b64 v[2:3], v2, v[11:12]
	v_sub_nc_u32_e32 v3, 29, v41
	v_and_b32_e32 v2, 7, v2
; %bb.1985:                             ;   in Loop: Header=BB272_1056 Depth=1
	s_or_b32 exec_lo, exec_lo, s21
	v_lshlrev_b32_e32 v41, 8, v11
	v_lshl_add_u32 v3, v3, 10, 0x2000
	v_lshlrev_b32_e32 v2, 7, v2
	v_and_b32_e32 v41, 0x8000, v41
	v_and_b32_e32 v3, 0xfc00, v3
	v_or3_b32 v41, v41, v3, v2
.LBB272_1986:                           ;   in Loop: Header=BB272_1056 Depth=1
	s_or_b32 exec_lo, exec_lo, s20
.LBB272_1987:                           ;   in Loop: Header=BB272_1056 Depth=1
	s_or_b32 exec_lo, exec_lo, s19
.LBB272_1988:                           ;   in Loop: Header=BB272_1056 Depth=1
	s_or_b32 exec_lo, exec_lo, s18
	v_lshrrev_b16 v3, 8, v11
	s_mov_b32 s18, exec_lo
	v_cmpx_ne_u16_e32 0, v3
	s_cbranch_execz .LBB272_1996
; %bb.1989:                             ;   in Loop: Header=BB272_1056 Depth=1
	v_bfrev_b32_e32 v40, 1
	s_mov_b32 s19, exec_lo
	v_cmpx_ne_u16_e32 0x80, v3
	s_cbranch_execz .LBB272_1995
; %bb.1990:                             ;   in Loop: Header=BB272_1056 Depth=1
	v_and_b32_sdwa v42, v3, v52 dst_sel:DWORD dst_unused:UNUSED_PAD src0_sel:WORD_0 src1_sel:DWORD
	v_mov_b32_e32 v40, 0x7c010000
	s_mov_b32 s20, exec_lo
	v_cmpx_ne_u32_e32 0x7f, v42
	s_cbranch_execz .LBB272_1994
; %bb.1991:                             ;   in Loop: Header=BB272_1056 Depth=1
	v_and_b32_sdwa v2, v3, v53 dst_sel:DWORD dst_unused:UNUSED_PAD src0_sel:WORD_0 src1_sel:DWORD
	v_lshrrev_b32_e32 v40, 3, v42
	s_mov_b32 s21, exec_lo
	v_cmpx_gt_u32_e32 8, v42
; %bb.1992:                             ;   in Loop: Header=BB272_1056 Depth=1
	v_ffbh_u32_e32 v2, v2
	v_min_u32_e32 v2, 32, v2
	v_subrev_nc_u32_e32 v40, 28, v2
	v_lshlrev_b64 v[42:43], v40, v[3:4]
	v_sub_nc_u32_e32 v40, 29, v2
	v_and_b32_e32 v2, 7, v42
; %bb.1993:                             ;   in Loop: Header=BB272_1056 Depth=1
	s_or_b32 exec_lo, exec_lo, s21
	v_lshlrev_b32_sdwa v3, v54, v3 dst_sel:DWORD dst_unused:UNUSED_PAD src0_sel:DWORD src1_sel:WORD_0
	v_lshl_add_u32 v40, v40, 10, 0x2000
	v_lshlrev_b32_e32 v2, 23, v2
	v_and_or_b32 v3, 0x8000, v3, v40
	v_lshl_or_b32 v40, v3, 16, v2
.LBB272_1994:                           ;   in Loop: Header=BB272_1056 Depth=1
	s_or_b32 exec_lo, exec_lo, s20
.LBB272_1995:                           ;   in Loop: Header=BB272_1056 Depth=1
	s_or_b32 exec_lo, exec_lo, s19
.LBB272_1996:                           ;   in Loop: Header=BB272_1056 Depth=1
	s_or_b32 exec_lo, exec_lo, s18
	v_lshrrev_b32_e32 v2, 16, v11
	v_mov_b32_e32 v42, 0
	v_mov_b32_e32 v43, 0
	v_cmp_ne_u16_sdwa s5, v2, v4 src0_sel:BYTE_0 src1_sel:DWORD
	s_and_saveexec_b32 s18, s5
	s_cbranch_execz .LBB272_2004
; %bb.1997:                             ;   in Loop: Header=BB272_1056 Depth=1
	v_cmp_ne_u16_sdwa s5, v2, v34 src0_sel:BYTE_0 src1_sel:DWORD
	v_mov_b32_e32 v43, 0x8000
	s_and_saveexec_b32 s19, s5
	s_cbranch_execz .LBB272_2003
; %bb.1998:                             ;   in Loop: Header=BB272_1056 Depth=1
	v_bfe_u32 v44, v11, 16, 7
	v_mov_b32_e32 v43, 0x7c01
	s_mov_b32 s20, exec_lo
	v_cmpx_ne_u32_e32 0x7f, v44
	s_cbranch_execz .LBB272_2002
; %bb.1999:                             ;   in Loop: Header=BB272_1056 Depth=1
	v_and_b32_e32 v3, 7, v2
	v_lshrrev_b32_e32 v43, 3, v44
	s_mov_b32 s21, exec_lo
	v_cmpx_gt_u32_e32 8, v44
; %bb.2000:                             ;   in Loop: Header=BB272_1056 Depth=1
	v_ffbh_u32_e32 v3, v3
	v_min_u32_e32 v3, 32, v3
	v_subrev_nc_u32_e32 v43, 28, v3
	v_lshlrev_b64 v[44:45], v43, v[2:3]
	v_sub_nc_u32_e32 v43, 29, v3
	v_and_b32_e32 v3, 7, v44
; %bb.2001:                             ;   in Loop: Header=BB272_1056 Depth=1
	s_or_b32 exec_lo, exec_lo, s21
	v_lshlrev_b32_e32 v2, 8, v2
	v_lshl_add_u32 v43, v43, 10, 0x2000
	v_lshlrev_b32_e32 v3, 7, v3
	v_and_b32_e32 v2, 0x8000, v2
	v_and_b32_e32 v43, 0xfc00, v43
	v_or3_b32 v43, v2, v43, v3
.LBB272_2002:                           ;   in Loop: Header=BB272_1056 Depth=1
	s_or_b32 exec_lo, exec_lo, s20
.LBB272_2003:                           ;   in Loop: Header=BB272_1056 Depth=1
	s_or_b32 exec_lo, exec_lo, s19
.LBB272_2004:                           ;   in Loop: Header=BB272_1056 Depth=1
	s_or_b32 exec_lo, exec_lo, s18
	s_mov_b32 s18, exec_lo
	v_cmpx_lt_u32_e32 0xffffff, v11
	s_cbranch_execz .LBB272_2012
; %bb.2005:                             ;   in Loop: Header=BB272_1056 Depth=1
	v_lshrrev_b32_e32 v3, 24, v11
	v_bfrev_b32_e32 v42, 1
	s_mov_b32 s19, exec_lo
	v_cmpx_ne_u32_e32 0x80, v3
	s_cbranch_execz .LBB272_2011
; %bb.2006:                             ;   in Loop: Header=BB272_1056 Depth=1
	v_and_b32_e32 v44, 0x7f, v3
	v_mov_b32_e32 v42, 0x7c010000
	s_mov_b32 s20, exec_lo
	v_cmpx_ne_u32_e32 0x7f, v44
	s_cbranch_execz .LBB272_2010
; %bb.2007:                             ;   in Loop: Header=BB272_1056 Depth=1
	v_and_b32_e32 v2, 7, v3
	v_lshrrev_b32_e32 v42, 3, v44
	s_mov_b32 s21, exec_lo
	v_cmpx_gt_u32_e32 8, v44
; %bb.2008:                             ;   in Loop: Header=BB272_1056 Depth=1
	v_ffbh_u32_e32 v2, v2
	v_min_u32_e32 v2, 32, v2
	v_subrev_nc_u32_e32 v42, 28, v2
	v_lshlrev_b64 v[44:45], v42, v[3:4]
	v_sub_nc_u32_e32 v42, 29, v2
	v_and_b32_e32 v2, 7, v44
; %bb.2009:                             ;   in Loop: Header=BB272_1056 Depth=1
	s_or_b32 exec_lo, exec_lo, s21
	v_lshlrev_b32_e32 v3, 8, v3
	v_lshl_add_u32 v42, v42, 10, 0x2000
	v_lshlrev_b32_e32 v2, 23, v2
	v_and_or_b32 v3, 0x8000, v3, v42
	v_lshl_or_b32 v42, v3, 16, v2
.LBB272_2010:                           ;   in Loop: Header=BB272_1056 Depth=1
	s_or_b32 exec_lo, exec_lo, s20
.LBB272_2011:                           ;   in Loop: Header=BB272_1056 Depth=1
	s_or_b32 exec_lo, exec_lo, s19
.LBB272_2012:                           ;   in Loop: Header=BB272_1056 Depth=1
	s_or_b32 exec_lo, exec_lo, s18
	v_mov_b32_e32 v3, v12
	v_cmp_ne_u16_sdwa s5, v12, v4 src0_sel:BYTE_0 src1_sel:DWORD
	v_mov_b32_e32 v44, 0
	v_mov_b32_e32 v45, 0
	s_and_saveexec_b32 s18, s5
	s_cbranch_execz .LBB272_2020
; %bb.2013:                             ;   in Loop: Header=BB272_1056 Depth=1
	v_cmp_ne_u16_sdwa s5, v12, v34 src0_sel:BYTE_0 src1_sel:DWORD
	v_mov_b32_e32 v45, 0x8000
	s_and_saveexec_b32 s19, s5
	s_cbranch_execz .LBB272_2019
; %bb.2014:                             ;   in Loop: Header=BB272_1056 Depth=1
	v_and_b32_e32 v46, 0x7f, v12
	v_mov_b32_e32 v45, 0x7c01
	s_mov_b32 s20, exec_lo
	v_cmpx_ne_u32_e32 0x7f, v46
	s_cbranch_execz .LBB272_2018
; %bb.2015:                             ;   in Loop: Header=BB272_1056 Depth=1
	v_and_b32_e32 v2, 7, v12
	v_lshrrev_b32_e32 v45, 3, v46
	s_mov_b32 s21, exec_lo
	v_cmpx_gt_u32_e32 8, v46
; %bb.2016:                             ;   in Loop: Header=BB272_1056 Depth=1
	v_ffbh_u32_e32 v2, v2
	v_min_u32_e32 v2, 32, v2
	v_subrev_nc_u32_e32 v45, 28, v2
	v_lshlrev_b64 v[46:47], v45, v[3:4]
	v_sub_nc_u32_e32 v45, 29, v2
	v_and_b32_e32 v2, 7, v46
; %bb.2017:                             ;   in Loop: Header=BB272_1056 Depth=1
	s_or_b32 exec_lo, exec_lo, s21
	v_lshlrev_b32_e32 v46, 8, v12
	v_lshl_add_u32 v45, v45, 10, 0x2000
	v_lshlrev_b32_e32 v2, 7, v2
	v_and_b32_e32 v46, 0x8000, v46
	v_and_b32_e32 v45, 0xfc00, v45
	v_or3_b32 v45, v46, v45, v2
.LBB272_2018:                           ;   in Loop: Header=BB272_1056 Depth=1
	s_or_b32 exec_lo, exec_lo, s20
.LBB272_2019:                           ;   in Loop: Header=BB272_1056 Depth=1
	s_or_b32 exec_lo, exec_lo, s19
.LBB272_2020:                           ;   in Loop: Header=BB272_1056 Depth=1
	s_or_b32 exec_lo, exec_lo, s18
	v_lshrrev_b16 v3, 8, v3
	v_mov_b32_e32 v46, 0
	s_mov_b32 s18, exec_lo
	v_cmpx_ne_u16_e32 0, v3
	s_cbranch_execz .LBB272_2028
; %bb.2021:                             ;   in Loop: Header=BB272_1056 Depth=1
	v_bfrev_b32_e32 v46, 1
	s_mov_b32 s19, exec_lo
	v_cmpx_ne_u16_e32 0x80, v3
	s_cbranch_execz .LBB272_2027
; %bb.2022:                             ;   in Loop: Header=BB272_1056 Depth=1
	v_and_b32_sdwa v47, v3, v52 dst_sel:DWORD dst_unused:UNUSED_PAD src0_sel:WORD_0 src1_sel:DWORD
	v_mov_b32_e32 v46, 0x7c010000
	s_mov_b32 s20, exec_lo
	v_cmpx_ne_u32_e32 0x7f, v47
	s_cbranch_execz .LBB272_2026
; %bb.2023:                             ;   in Loop: Header=BB272_1056 Depth=1
	v_and_b32_sdwa v2, v3, v53 dst_sel:DWORD dst_unused:UNUSED_PAD src0_sel:WORD_0 src1_sel:DWORD
	v_lshrrev_b32_e32 v46, 3, v47
	s_mov_b32 s21, exec_lo
	v_cmpx_gt_u32_e32 8, v47
; %bb.2024:                             ;   in Loop: Header=BB272_1056 Depth=1
	v_ffbh_u32_e32 v2, v2
	v_min_u32_e32 v2, 32, v2
	v_subrev_nc_u32_e32 v46, 28, v2
	v_lshlrev_b64 v[56:57], v46, v[3:4]
	v_sub_nc_u32_e32 v46, 29, v2
	v_and_b32_e32 v2, 7, v56
; %bb.2025:                             ;   in Loop: Header=BB272_1056 Depth=1
	s_or_b32 exec_lo, exec_lo, s21
	v_lshlrev_b32_sdwa v3, v54, v3 dst_sel:DWORD dst_unused:UNUSED_PAD src0_sel:DWORD src1_sel:WORD_0
	v_lshl_add_u32 v46, v46, 10, 0x2000
	v_lshlrev_b32_e32 v2, 23, v2
	v_and_or_b32 v3, 0x8000, v3, v46
	v_lshl_or_b32 v46, v3, 16, v2
.LBB272_2026:                           ;   in Loop: Header=BB272_1056 Depth=1
	s_or_b32 exec_lo, exec_lo, s20
.LBB272_2027:                           ;   in Loop: Header=BB272_1056 Depth=1
	s_or_b32 exec_lo, exec_lo, s19
.LBB272_2028:                           ;   in Loop: Header=BB272_1056 Depth=1
	s_or_b32 exec_lo, exec_lo, s18
	v_lshrrev_b32_e32 v2, 16, v12
	v_cmp_ne_u16_sdwa s5, v2, v4 src0_sel:BYTE_0 src1_sel:DWORD
	s_and_saveexec_b32 s18, s5
	s_cbranch_execz .LBB272_2036
; %bb.2029:                             ;   in Loop: Header=BB272_1056 Depth=1
	v_cmp_ne_u16_sdwa s5, v2, v34 src0_sel:BYTE_0 src1_sel:DWORD
	v_mov_b32_e32 v44, 0x8000
	s_and_saveexec_b32 s19, s5
	s_cbranch_execz .LBB272_2035
; %bb.2030:                             ;   in Loop: Header=BB272_1056 Depth=1
	v_bfe_u32 v47, v12, 16, 7
	v_mov_b32_e32 v44, 0x7c01
	s_mov_b32 s20, exec_lo
	v_cmpx_ne_u32_e32 0x7f, v47
	s_cbranch_execz .LBB272_2034
; %bb.2031:                             ;   in Loop: Header=BB272_1056 Depth=1
	v_and_b32_e32 v3, 7, v2
	v_lshrrev_b32_e32 v44, 3, v47
	s_mov_b32 s21, exec_lo
	v_cmpx_gt_u32_e32 8, v47
; %bb.2032:                             ;   in Loop: Header=BB272_1056 Depth=1
	v_ffbh_u32_e32 v3, v3
	v_min_u32_e32 v3, 32, v3
	v_subrev_nc_u32_e32 v44, 28, v3
	v_lshlrev_b64 v[56:57], v44, v[2:3]
	v_sub_nc_u32_e32 v44, 29, v3
	v_and_b32_e32 v3, 7, v56
; %bb.2033:                             ;   in Loop: Header=BB272_1056 Depth=1
	s_or_b32 exec_lo, exec_lo, s21
	v_lshlrev_b32_e32 v2, 8, v2
	v_lshl_add_u32 v44, v44, 10, 0x2000
	v_lshlrev_b32_e32 v3, 7, v3
	v_and_b32_e32 v2, 0x8000, v2
	v_and_b32_e32 v44, 0xfc00, v44
	v_or3_b32 v44, v2, v44, v3
.LBB272_2034:                           ;   in Loop: Header=BB272_1056 Depth=1
	s_or_b32 exec_lo, exec_lo, s20
.LBB272_2035:                           ;   in Loop: Header=BB272_1056 Depth=1
	s_or_b32 exec_lo, exec_lo, s19
.LBB272_2036:                           ;   in Loop: Header=BB272_1056 Depth=1
	s_or_b32 exec_lo, exec_lo, s18
	v_mov_b32_e32 v2, 0
	s_mov_b32 s18, exec_lo
	v_cmpx_lt_u64_e64 s[6:7], v[11:12]
	s_cbranch_execz .LBB272_2044
; %bb.2037:                             ;   in Loop: Header=BB272_1056 Depth=1
	v_lshrrev_b32_e32 v3, 24, v12
	v_bfrev_b32_e32 v2, 1
	s_mov_b32 s19, exec_lo
	v_cmpx_ne_u32_e32 0x80, v3
	s_cbranch_execz .LBB272_2043
; %bb.2038:                             ;   in Loop: Header=BB272_1056 Depth=1
	v_and_b32_e32 v12, 0x7f, v3
	v_mov_b32_e32 v2, 0x7c010000
	s_mov_b32 s20, exec_lo
	v_cmpx_ne_u32_e32 0x7f, v12
	s_cbranch_execz .LBB272_2042
; %bb.2039:                             ;   in Loop: Header=BB272_1056 Depth=1
	v_and_b32_e32 v2, 7, v3
	v_lshrrev_b32_e32 v11, 3, v12
	s_mov_b32 s21, exec_lo
	v_cmpx_gt_u32_e32 8, v12
; %bb.2040:                             ;   in Loop: Header=BB272_1056 Depth=1
	v_ffbh_u32_e32 v2, v2
	v_min_u32_e32 v2, 32, v2
	v_subrev_nc_u32_e32 v11, 28, v2
	v_lshlrev_b64 v[56:57], v11, v[3:4]
	v_sub_nc_u32_e32 v11, 29, v2
	v_and_b32_e32 v2, 7, v56
; %bb.2041:                             ;   in Loop: Header=BB272_1056 Depth=1
	s_or_b32 exec_lo, exec_lo, s21
	v_lshlrev_b32_e32 v3, 8, v3
	v_lshl_add_u32 v11, v11, 10, 0x2000
	v_lshlrev_b32_e32 v2, 23, v2
	v_and_or_b32 v3, 0x8000, v3, v11
	v_lshl_or_b32 v2, v3, 16, v2
.LBB272_2042:                           ;   in Loop: Header=BB272_1056 Depth=1
	s_or_b32 exec_lo, exec_lo, s20
.LBB272_2043:                           ;   in Loop: Header=BB272_1056 Depth=1
	s_or_b32 exec_lo, exec_lo, s19
.LBB272_2044:                           ;   in Loop: Header=BB272_1056 Depth=1
	s_or_b32 exec_lo, exec_lo, s18
	v_or_b32_e32 v3, v42, v43
	s_waitcnt vmcnt(0) lgkmcnt(0)
	v_fma_mixlo_f16 v11, v119, v42, 0 op_sel:[0,1,0] op_sel_hi:[0,1,0]
	v_or_b32_e32 v12, v40, v41
	v_or_b32_e32 v41, v46, v45
	;; [unrolled: 1-line block ×3, first 2 shown]
	v_fma_mixlo_f16 v42, v119, v3, 0 op_sel_hi:[0,1,0]
	v_fma_mixlo_f16 v40, v119, v40, 0 op_sel:[0,1,0] op_sel_hi:[0,1,0]
	v_lshlrev_b32_e32 v3, 16, v11
	v_fma_mixlo_f16 v12, v119, v12, 0 op_sel_hi:[0,1,0]
	v_fma_mixlo_f16 v41, v119, v41, 0 op_sel_hi:[0,1,0]
	v_and_b32_e32 v11, 0xffff, v42
	v_fma_mixlo_f16 v42, v119, v46, 0 op_sel:[0,1,0] op_sel_hi:[0,1,0]
	v_fma_mixlo_f16 v2, v119, v2, 0 op_sel:[0,1,0] op_sel_hi:[0,1,0]
	v_fma_mixlo_f16 v119, v119, v43, 0 op_sel_hi:[0,1,0]
	v_lshlrev_b32_e32 v40, 16, v40
	v_and_b32_e32 v46, 0xffff, v12
	v_lshlrev_b32_e32 v12, 16, v42
	v_and_b32_e32 v42, 0xffff, v41
	v_lshlrev_b32_e32 v2, 16, v2
	v_and_b32_e32 v119, 0xffff, v119
	v_or_b32_e32 v41, v3, v11
	v_or_b32_e32 v45, v40, v46
	;; [unrolled: 1-line block ×4, first 2 shown]
	s_and_saveexec_b32 s18, vcc_lo
	s_cbranch_execz .LBB272_2046
; %bb.2045:                             ;   in Loop: Header=BB272_1056 Depth=1
	v_cmp_lt_i32_e64 s5, v64, v29
	v_cndmask_b32_e64 v41, 0, v46, s5
	v_cmp_lt_i32_e64 s5, v84, v29
	v_cndmask_b32_e64 v40, 0, v40, s5
	v_cmp_lt_i32_e64 s5, v83, v29
	v_or_b32_e32 v45, v41, v40
	v_cndmask_b32_e64 v11, 0, v11, s5
	v_cmp_lt_i32_e64 s5, v82, v29
	v_cndmask_b32_e64 v3, 0, v3, s5
	v_cmp_lt_i32_e64 s5, v81, v29
	v_or_b32_e32 v41, v11, v3
	;; [unrolled: 5-line block ×3, first 2 shown]
	v_cndmask_b32_e64 v119, 0, v119, s5
	v_cmp_lt_i32_e64 s5, v19, v29
	v_cndmask_b32_e64 v2, 0, v2, s5
	v_or_b32_e32 v43, v119, v2
.LBB272_2046:                           ;   in Loop: Header=BB272_1056 Depth=1
	s_or_b32 exec_lo, exec_lo, s18
	;;#ASMSTART
	v_pk_mul_f16 v2, v69, v45;

	;;#ASMEND
	;;#ASMSTART
	v_pk_mul_f16 v3, v67, v41;

	;;#ASMEND
	;; [unrolled: 4-line block ×4, first 2 shown]
	;;#ASMSTART
	v_pk_add_f16 v2, v2, v3;

	;;#ASMEND
	;;#ASMSTART
	v_pk_add_f16 v2, v2, v11;

	;;#ASMEND
	;; [unrolled: 4-line block ×3, first 2 shown]
	v_and_b32_e32 v3, 0xffff, v2
	v_lshrrev_b32_e32 v2, 16, v2
	;;#ASMSTART
	v_cvt_f32_f16 v11, v3;
	;;#ASMEND
	;;#ASMSTART
	v_cvt_f32_f16 v12, v2;
	;;#ASMEND
	flat_load_dwordx2 v[9:10], v[9:10] offset:1792
	flat_load_dword v119, v[22:23]
	v_mov_b32_e32 v40, 0
	v_mov_b32_e32 v41, 0
	s_waitcnt vmcnt(1) lgkmcnt(1)
	v_cmp_ne_u16_sdwa s5, v9, v4 src0_sel:BYTE_0 src1_sel:DWORD
	s_and_saveexec_b32 s18, s5
	s_cbranch_execz .LBB272_2054
; %bb.2047:                             ;   in Loop: Header=BB272_1056 Depth=1
	v_cmp_ne_u16_sdwa s5, v9, v34 src0_sel:BYTE_0 src1_sel:DWORD
	v_mov_b32_e32 v41, 0x8000
	s_and_saveexec_b32 s19, s5
	s_cbranch_execz .LBB272_2053
; %bb.2048:                             ;   in Loop: Header=BB272_1056 Depth=1
	v_and_b32_e32 v42, 0x7f, v9
	v_mov_b32_e32 v41, 0x7c01
	s_mov_b32 s20, exec_lo
	v_cmpx_ne_u32_e32 0x7f, v42
	s_cbranch_execz .LBB272_2052
; %bb.2049:                             ;   in Loop: Header=BB272_1056 Depth=1
	v_and_b32_e32 v2, 7, v9
	v_lshrrev_b32_e32 v3, 3, v42
	s_mov_b32 s21, exec_lo
	v_cmpx_gt_u32_e32 8, v42
; %bb.2050:                             ;   in Loop: Header=BB272_1056 Depth=1
	v_ffbh_u32_e32 v2, v2
	v_min_u32_e32 v41, 32, v2
	v_subrev_nc_u32_e32 v2, 28, v41
	v_lshlrev_b64 v[2:3], v2, v[9:10]
	v_sub_nc_u32_e32 v3, 29, v41
	v_and_b32_e32 v2, 7, v2
; %bb.2051:                             ;   in Loop: Header=BB272_1056 Depth=1
	s_or_b32 exec_lo, exec_lo, s21
	v_lshlrev_b32_e32 v41, 8, v9
	v_lshl_add_u32 v3, v3, 10, 0x2000
	v_lshlrev_b32_e32 v2, 7, v2
	v_and_b32_e32 v41, 0x8000, v41
	v_and_b32_e32 v3, 0xfc00, v3
	v_or3_b32 v41, v41, v3, v2
.LBB272_2052:                           ;   in Loop: Header=BB272_1056 Depth=1
	s_or_b32 exec_lo, exec_lo, s20
.LBB272_2053:                           ;   in Loop: Header=BB272_1056 Depth=1
	s_or_b32 exec_lo, exec_lo, s19
.LBB272_2054:                           ;   in Loop: Header=BB272_1056 Depth=1
	s_or_b32 exec_lo, exec_lo, s18
	v_lshrrev_b16 v3, 8, v9
	s_mov_b32 s18, exec_lo
	v_cmpx_ne_u16_e32 0, v3
	s_cbranch_execz .LBB272_2062
; %bb.2055:                             ;   in Loop: Header=BB272_1056 Depth=1
	v_bfrev_b32_e32 v40, 1
	s_mov_b32 s19, exec_lo
	v_cmpx_ne_u16_e32 0x80, v3
	s_cbranch_execz .LBB272_2061
; %bb.2056:                             ;   in Loop: Header=BB272_1056 Depth=1
	v_and_b32_sdwa v42, v3, v52 dst_sel:DWORD dst_unused:UNUSED_PAD src0_sel:WORD_0 src1_sel:DWORD
	v_mov_b32_e32 v40, 0x7c010000
	s_mov_b32 s20, exec_lo
	v_cmpx_ne_u32_e32 0x7f, v42
	s_cbranch_execz .LBB272_2060
; %bb.2057:                             ;   in Loop: Header=BB272_1056 Depth=1
	v_and_b32_sdwa v2, v3, v53 dst_sel:DWORD dst_unused:UNUSED_PAD src0_sel:WORD_0 src1_sel:DWORD
	v_lshrrev_b32_e32 v40, 3, v42
	s_mov_b32 s21, exec_lo
	v_cmpx_gt_u32_e32 8, v42
; %bb.2058:                             ;   in Loop: Header=BB272_1056 Depth=1
	v_ffbh_u32_e32 v2, v2
	v_min_u32_e32 v2, 32, v2
	v_subrev_nc_u32_e32 v40, 28, v2
	v_lshlrev_b64 v[42:43], v40, v[3:4]
	v_sub_nc_u32_e32 v40, 29, v2
	v_and_b32_e32 v2, 7, v42
; %bb.2059:                             ;   in Loop: Header=BB272_1056 Depth=1
	s_or_b32 exec_lo, exec_lo, s21
	v_lshlrev_b32_sdwa v3, v54, v3 dst_sel:DWORD dst_unused:UNUSED_PAD src0_sel:DWORD src1_sel:WORD_0
	v_lshl_add_u32 v40, v40, 10, 0x2000
	v_lshlrev_b32_e32 v2, 23, v2
	v_and_or_b32 v3, 0x8000, v3, v40
	v_lshl_or_b32 v40, v3, 16, v2
.LBB272_2060:                           ;   in Loop: Header=BB272_1056 Depth=1
	s_or_b32 exec_lo, exec_lo, s20
.LBB272_2061:                           ;   in Loop: Header=BB272_1056 Depth=1
	s_or_b32 exec_lo, exec_lo, s19
.LBB272_2062:                           ;   in Loop: Header=BB272_1056 Depth=1
	s_or_b32 exec_lo, exec_lo, s18
	v_lshrrev_b32_e32 v2, 16, v9
	v_mov_b32_e32 v42, 0
	v_mov_b32_e32 v43, 0
	v_cmp_ne_u16_sdwa s5, v2, v4 src0_sel:BYTE_0 src1_sel:DWORD
	s_and_saveexec_b32 s18, s5
	s_cbranch_execz .LBB272_2070
; %bb.2063:                             ;   in Loop: Header=BB272_1056 Depth=1
	v_cmp_ne_u16_sdwa s5, v2, v34 src0_sel:BYTE_0 src1_sel:DWORD
	v_mov_b32_e32 v43, 0x8000
	s_and_saveexec_b32 s19, s5
	s_cbranch_execz .LBB272_2069
; %bb.2064:                             ;   in Loop: Header=BB272_1056 Depth=1
	v_bfe_u32 v44, v9, 16, 7
	v_mov_b32_e32 v43, 0x7c01
	s_mov_b32 s20, exec_lo
	v_cmpx_ne_u32_e32 0x7f, v44
	s_cbranch_execz .LBB272_2068
; %bb.2065:                             ;   in Loop: Header=BB272_1056 Depth=1
	v_and_b32_e32 v3, 7, v2
	v_lshrrev_b32_e32 v43, 3, v44
	s_mov_b32 s21, exec_lo
	v_cmpx_gt_u32_e32 8, v44
; %bb.2066:                             ;   in Loop: Header=BB272_1056 Depth=1
	v_ffbh_u32_e32 v3, v3
	v_min_u32_e32 v3, 32, v3
	v_subrev_nc_u32_e32 v43, 28, v3
	v_lshlrev_b64 v[44:45], v43, v[2:3]
	v_sub_nc_u32_e32 v43, 29, v3
	v_and_b32_e32 v3, 7, v44
; %bb.2067:                             ;   in Loop: Header=BB272_1056 Depth=1
	s_or_b32 exec_lo, exec_lo, s21
	v_lshlrev_b32_e32 v2, 8, v2
	v_lshl_add_u32 v43, v43, 10, 0x2000
	v_lshlrev_b32_e32 v3, 7, v3
	v_and_b32_e32 v2, 0x8000, v2
	v_and_b32_e32 v43, 0xfc00, v43
	v_or3_b32 v43, v2, v43, v3
.LBB272_2068:                           ;   in Loop: Header=BB272_1056 Depth=1
	s_or_b32 exec_lo, exec_lo, s20
.LBB272_2069:                           ;   in Loop: Header=BB272_1056 Depth=1
	s_or_b32 exec_lo, exec_lo, s19
.LBB272_2070:                           ;   in Loop: Header=BB272_1056 Depth=1
	s_or_b32 exec_lo, exec_lo, s18
	s_mov_b32 s18, exec_lo
	v_cmpx_lt_u32_e32 0xffffff, v9
	s_cbranch_execz .LBB272_2078
; %bb.2071:                             ;   in Loop: Header=BB272_1056 Depth=1
	v_lshrrev_b32_e32 v3, 24, v9
	v_bfrev_b32_e32 v42, 1
	s_mov_b32 s19, exec_lo
	v_cmpx_ne_u32_e32 0x80, v3
	s_cbranch_execz .LBB272_2077
; %bb.2072:                             ;   in Loop: Header=BB272_1056 Depth=1
	v_and_b32_e32 v44, 0x7f, v3
	v_mov_b32_e32 v42, 0x7c010000
	s_mov_b32 s20, exec_lo
	v_cmpx_ne_u32_e32 0x7f, v44
	s_cbranch_execz .LBB272_2076
; %bb.2073:                             ;   in Loop: Header=BB272_1056 Depth=1
	v_and_b32_e32 v2, 7, v3
	v_lshrrev_b32_e32 v42, 3, v44
	s_mov_b32 s21, exec_lo
	v_cmpx_gt_u32_e32 8, v44
; %bb.2074:                             ;   in Loop: Header=BB272_1056 Depth=1
	v_ffbh_u32_e32 v2, v2
	v_min_u32_e32 v2, 32, v2
	v_subrev_nc_u32_e32 v42, 28, v2
	v_lshlrev_b64 v[44:45], v42, v[3:4]
	v_sub_nc_u32_e32 v42, 29, v2
	v_and_b32_e32 v2, 7, v44
; %bb.2075:                             ;   in Loop: Header=BB272_1056 Depth=1
	s_or_b32 exec_lo, exec_lo, s21
	v_lshlrev_b32_e32 v3, 8, v3
	v_lshl_add_u32 v42, v42, 10, 0x2000
	v_lshlrev_b32_e32 v2, 23, v2
	v_and_or_b32 v3, 0x8000, v3, v42
	v_lshl_or_b32 v42, v3, 16, v2
.LBB272_2076:                           ;   in Loop: Header=BB272_1056 Depth=1
	s_or_b32 exec_lo, exec_lo, s20
.LBB272_2077:                           ;   in Loop: Header=BB272_1056 Depth=1
	s_or_b32 exec_lo, exec_lo, s19
.LBB272_2078:                           ;   in Loop: Header=BB272_1056 Depth=1
	s_or_b32 exec_lo, exec_lo, s18
	v_mov_b32_e32 v3, v10
	v_cmp_ne_u16_sdwa s5, v10, v4 src0_sel:BYTE_0 src1_sel:DWORD
	v_mov_b32_e32 v44, 0
	v_mov_b32_e32 v45, 0
	s_and_saveexec_b32 s18, s5
	s_cbranch_execz .LBB272_2086
; %bb.2079:                             ;   in Loop: Header=BB272_1056 Depth=1
	v_cmp_ne_u16_sdwa s5, v10, v34 src0_sel:BYTE_0 src1_sel:DWORD
	v_mov_b32_e32 v45, 0x8000
	s_and_saveexec_b32 s19, s5
	s_cbranch_execz .LBB272_2085
; %bb.2080:                             ;   in Loop: Header=BB272_1056 Depth=1
	v_and_b32_e32 v46, 0x7f, v10
	v_mov_b32_e32 v45, 0x7c01
	s_mov_b32 s20, exec_lo
	v_cmpx_ne_u32_e32 0x7f, v46
	s_cbranch_execz .LBB272_2084
; %bb.2081:                             ;   in Loop: Header=BB272_1056 Depth=1
	v_and_b32_e32 v2, 7, v10
	v_lshrrev_b32_e32 v45, 3, v46
	s_mov_b32 s21, exec_lo
	v_cmpx_gt_u32_e32 8, v46
; %bb.2082:                             ;   in Loop: Header=BB272_1056 Depth=1
	v_ffbh_u32_e32 v2, v2
	v_min_u32_e32 v2, 32, v2
	v_subrev_nc_u32_e32 v45, 28, v2
	v_lshlrev_b64 v[46:47], v45, v[3:4]
	v_sub_nc_u32_e32 v45, 29, v2
	v_and_b32_e32 v2, 7, v46
; %bb.2083:                             ;   in Loop: Header=BB272_1056 Depth=1
	s_or_b32 exec_lo, exec_lo, s21
	v_lshlrev_b32_e32 v46, 8, v10
	v_lshl_add_u32 v45, v45, 10, 0x2000
	v_lshlrev_b32_e32 v2, 7, v2
	v_and_b32_e32 v46, 0x8000, v46
	v_and_b32_e32 v45, 0xfc00, v45
	v_or3_b32 v45, v46, v45, v2
.LBB272_2084:                           ;   in Loop: Header=BB272_1056 Depth=1
	s_or_b32 exec_lo, exec_lo, s20
.LBB272_2085:                           ;   in Loop: Header=BB272_1056 Depth=1
	s_or_b32 exec_lo, exec_lo, s19
.LBB272_2086:                           ;   in Loop: Header=BB272_1056 Depth=1
	s_or_b32 exec_lo, exec_lo, s18
	v_lshrrev_b16 v3, 8, v3
	v_mov_b32_e32 v46, 0
	s_mov_b32 s18, exec_lo
	v_cmpx_ne_u16_e32 0, v3
	s_cbranch_execz .LBB272_2094
; %bb.2087:                             ;   in Loop: Header=BB272_1056 Depth=1
	v_bfrev_b32_e32 v46, 1
	s_mov_b32 s19, exec_lo
	v_cmpx_ne_u16_e32 0x80, v3
	s_cbranch_execz .LBB272_2093
; %bb.2088:                             ;   in Loop: Header=BB272_1056 Depth=1
	v_and_b32_sdwa v47, v3, v52 dst_sel:DWORD dst_unused:UNUSED_PAD src0_sel:WORD_0 src1_sel:DWORD
	v_mov_b32_e32 v46, 0x7c010000
	s_mov_b32 s20, exec_lo
	v_cmpx_ne_u32_e32 0x7f, v47
	s_cbranch_execz .LBB272_2092
; %bb.2089:                             ;   in Loop: Header=BB272_1056 Depth=1
	v_and_b32_sdwa v2, v3, v53 dst_sel:DWORD dst_unused:UNUSED_PAD src0_sel:WORD_0 src1_sel:DWORD
	v_lshrrev_b32_e32 v46, 3, v47
	s_mov_b32 s21, exec_lo
	v_cmpx_gt_u32_e32 8, v47
; %bb.2090:                             ;   in Loop: Header=BB272_1056 Depth=1
	v_ffbh_u32_e32 v2, v2
	v_min_u32_e32 v2, 32, v2
	v_subrev_nc_u32_e32 v46, 28, v2
	v_lshlrev_b64 v[56:57], v46, v[3:4]
	v_sub_nc_u32_e32 v46, 29, v2
	v_and_b32_e32 v2, 7, v56
; %bb.2091:                             ;   in Loop: Header=BB272_1056 Depth=1
	s_or_b32 exec_lo, exec_lo, s21
	v_lshlrev_b32_sdwa v3, v54, v3 dst_sel:DWORD dst_unused:UNUSED_PAD src0_sel:DWORD src1_sel:WORD_0
	v_lshl_add_u32 v46, v46, 10, 0x2000
	v_lshlrev_b32_e32 v2, 23, v2
	v_and_or_b32 v3, 0x8000, v3, v46
	v_lshl_or_b32 v46, v3, 16, v2
.LBB272_2092:                           ;   in Loop: Header=BB272_1056 Depth=1
	s_or_b32 exec_lo, exec_lo, s20
.LBB272_2093:                           ;   in Loop: Header=BB272_1056 Depth=1
	s_or_b32 exec_lo, exec_lo, s19
.LBB272_2094:                           ;   in Loop: Header=BB272_1056 Depth=1
	s_or_b32 exec_lo, exec_lo, s18
	v_lshrrev_b32_e32 v2, 16, v10
	v_cmp_ne_u16_sdwa s5, v2, v4 src0_sel:BYTE_0 src1_sel:DWORD
	s_and_saveexec_b32 s18, s5
	s_cbranch_execz .LBB272_2102
; %bb.2095:                             ;   in Loop: Header=BB272_1056 Depth=1
	v_cmp_ne_u16_sdwa s5, v2, v34 src0_sel:BYTE_0 src1_sel:DWORD
	v_mov_b32_e32 v44, 0x8000
	s_and_saveexec_b32 s19, s5
	s_cbranch_execz .LBB272_2101
; %bb.2096:                             ;   in Loop: Header=BB272_1056 Depth=1
	v_bfe_u32 v47, v10, 16, 7
	v_mov_b32_e32 v44, 0x7c01
	s_mov_b32 s20, exec_lo
	v_cmpx_ne_u32_e32 0x7f, v47
	s_cbranch_execz .LBB272_2100
; %bb.2097:                             ;   in Loop: Header=BB272_1056 Depth=1
	v_and_b32_e32 v3, 7, v2
	v_lshrrev_b32_e32 v44, 3, v47
	s_mov_b32 s21, exec_lo
	v_cmpx_gt_u32_e32 8, v47
; %bb.2098:                             ;   in Loop: Header=BB272_1056 Depth=1
	v_ffbh_u32_e32 v3, v3
	v_min_u32_e32 v3, 32, v3
	v_subrev_nc_u32_e32 v44, 28, v3
	v_lshlrev_b64 v[56:57], v44, v[2:3]
	v_sub_nc_u32_e32 v44, 29, v3
	v_and_b32_e32 v3, 7, v56
; %bb.2099:                             ;   in Loop: Header=BB272_1056 Depth=1
	s_or_b32 exec_lo, exec_lo, s21
	v_lshlrev_b32_e32 v2, 8, v2
	v_lshl_add_u32 v44, v44, 10, 0x2000
	v_lshlrev_b32_e32 v3, 7, v3
	v_and_b32_e32 v2, 0x8000, v2
	v_and_b32_e32 v44, 0xfc00, v44
	v_or3_b32 v44, v2, v44, v3
.LBB272_2100:                           ;   in Loop: Header=BB272_1056 Depth=1
	s_or_b32 exec_lo, exec_lo, s20
.LBB272_2101:                           ;   in Loop: Header=BB272_1056 Depth=1
	s_or_b32 exec_lo, exec_lo, s19
.LBB272_2102:                           ;   in Loop: Header=BB272_1056 Depth=1
	s_or_b32 exec_lo, exec_lo, s18
	v_mov_b32_e32 v2, 0
	s_mov_b32 s18, exec_lo
	v_cmpx_lt_u64_e64 s[6:7], v[9:10]
	s_cbranch_execz .LBB272_2110
; %bb.2103:                             ;   in Loop: Header=BB272_1056 Depth=1
	v_lshrrev_b32_e32 v3, 24, v10
	v_bfrev_b32_e32 v2, 1
	s_mov_b32 s19, exec_lo
	v_cmpx_ne_u32_e32 0x80, v3
	s_cbranch_execz .LBB272_2109
; %bb.2104:                             ;   in Loop: Header=BB272_1056 Depth=1
	v_and_b32_e32 v10, 0x7f, v3
	v_mov_b32_e32 v2, 0x7c010000
	s_mov_b32 s20, exec_lo
	v_cmpx_ne_u32_e32 0x7f, v10
	s_cbranch_execz .LBB272_2108
; %bb.2105:                             ;   in Loop: Header=BB272_1056 Depth=1
	v_and_b32_e32 v2, 7, v3
	v_lshrrev_b32_e32 v9, 3, v10
	s_mov_b32 s21, exec_lo
	v_cmpx_gt_u32_e32 8, v10
; %bb.2106:                             ;   in Loop: Header=BB272_1056 Depth=1
	v_ffbh_u32_e32 v2, v2
	v_min_u32_e32 v2, 32, v2
	v_subrev_nc_u32_e32 v9, 28, v2
	v_lshlrev_b64 v[56:57], v9, v[3:4]
	v_sub_nc_u32_e32 v9, 29, v2
	v_and_b32_e32 v2, 7, v56
; %bb.2107:                             ;   in Loop: Header=BB272_1056 Depth=1
	s_or_b32 exec_lo, exec_lo, s21
	v_lshlrev_b32_e32 v3, 8, v3
	v_lshl_add_u32 v9, v9, 10, 0x2000
	v_lshlrev_b32_e32 v2, 23, v2
	v_and_or_b32 v3, 0x8000, v3, v9
	v_lshl_or_b32 v2, v3, 16, v2
.LBB272_2108:                           ;   in Loop: Header=BB272_1056 Depth=1
	s_or_b32 exec_lo, exec_lo, s20
.LBB272_2109:                           ;   in Loop: Header=BB272_1056 Depth=1
	s_or_b32 exec_lo, exec_lo, s19
.LBB272_2110:                           ;   in Loop: Header=BB272_1056 Depth=1
	s_or_b32 exec_lo, exec_lo, s18
	v_or_b32_e32 v3, v42, v43
	s_waitcnt vmcnt(0) lgkmcnt(0)
	v_fma_mixlo_f16 v9, v119, v42, 0 op_sel:[0,1,0] op_sel_hi:[0,1,0]
	v_or_b32_e32 v10, v40, v41
	v_fma_mixlo_f16 v41, v119, v40, 0 op_sel:[0,1,0] op_sel_hi:[0,1,0]
	v_or_b32_e32 v42, v46, v45
	v_fma_mixlo_f16 v3, v119, v3, 0 op_sel_hi:[0,1,0]
	v_or_b32_e32 v43, v2, v44
	v_lshlrev_b32_e32 v40, 16, v9
	v_lshlrev_b32_e32 v44, 16, v41
	v_fma_mixlo_f16 v9, v119, v10, 0 op_sel_hi:[0,1,0]
	v_and_b32_e32 v41, 0xffff, v3
	v_fma_mixlo_f16 v3, v119, v46, 0 op_sel:[0,1,0] op_sel_hi:[0,1,0]
	v_fma_mixlo_f16 v10, v119, v42, 0 op_sel_hi:[0,1,0]
	v_fma_mixlo_f16 v2, v119, v2, 0 op_sel:[0,1,0] op_sel_hi:[0,1,0]
	v_fma_mixlo_f16 v43, v119, v43, 0 op_sel_hi:[0,1,0]
	v_and_b32_e32 v46, 0xffff, v9
	v_lshlrev_b32_e32 v42, 16, v3
	v_and_b32_e32 v45, 0xffff, v10
	v_lshlrev_b32_e32 v119, 16, v2
	v_and_b32_e32 v43, 0xffff, v43
	v_or_b32_e32 v2, v40, v41
	v_or_b32_e32 v10, v44, v46
	;; [unrolled: 1-line block ×4, first 2 shown]
	s_and_saveexec_b32 s5, vcc_lo
	s_cbranch_execz .LBB272_1055
; %bb.2111:                             ;   in Loop: Header=BB272_1056 Depth=1
	v_cmp_lt_i32_e32 vcc_lo, v64, v29
	v_cndmask_b32_e32 v2, 0, v46, vcc_lo
	v_cmp_lt_i32_e32 vcc_lo, v84, v29
	v_cndmask_b32_e32 v3, 0, v44, vcc_lo
	v_cmp_lt_i32_e32 vcc_lo, v83, v29
	v_or_b32_e32 v10, v2, v3
	v_cndmask_b32_e32 v9, 0, v41, vcc_lo
	v_cmp_lt_i32_e32 vcc_lo, v82, v29
	v_cndmask_b32_e32 v64, 0, v40, vcc_lo
	v_cmp_lt_i32_e32 vcc_lo, v81, v29
	v_or_b32_e32 v2, v9, v64
	v_cndmask_b32_e32 v81, 0, v45, vcc_lo
	v_cmp_lt_i32_e32 vcc_lo, v80, v29
	v_cndmask_b32_e32 v80, 0, v42, vcc_lo
	v_cmp_lt_i32_e32 vcc_lo, v71, v29
	v_or_b32_e32 v9, v81, v80
	v_cndmask_b32_e32 v71, 0, v43, vcc_lo
	v_cmp_lt_i32_e32 vcc_lo, v19, v29
	v_cndmask_b32_e32 v82, 0, v119, vcc_lo
	v_or_b32_e32 v3, v71, v82
	s_branch .LBB272_1055
.LBB272_2112:
	s_or_b32 exec_lo, exec_lo, s15
	v_mov_b32_e32 v4, s16
	v_mov_b32_e32 v5, s17
	;; [unrolled: 1-line block ×3, first 2 shown]
.LBB272_2113:
	s_or_b32 exec_lo, exec_lo, s8
	v_lshlrev_b64 v[0:1], 2, v[4:5]
	s_getpc_b64 s[6:7]
	s_add_u32 s6, s6, llvm.amdgcn.dynlds.offset.table@rel32@lo+4
	s_addc_u32 s7, s7, llvm.amdgcn.dynlds.offset.table@rel32@hi+12
	s_barrier
	buffer_gl0_inv
	buffer_load_dword v8, off, s[0:3], s32 offset:368 ; 4-byte Folded Reload
	v_add_co_u32 v0, vcc_lo, s6, v0
	v_add_co_ci_u32_e64 v1, null, s7, v1, vcc_lo
	ds_bpermute_b32 v2, v15, v50
	ds_bpermute_b32 v3, v15, v48
	;; [unrolled: 1-line block ×3, first 2 shown]
	global_load_dword v19, v[0:1], off
	ds_bpermute_b32 v0, v15, v49
	ds_bpermute_b32 v1, v15, v51
	;; [unrolled: 1-line block ×13, first 2 shown]
	v_lshrrev_b32_e32 v22, 1, v14
	v_and_b32_e32 v34, 0x3c1, v52
	s_mov_b32 s5, exec_lo
	s_waitcnt lgkmcnt(15)
	v_add_f32_e32 v14, v50, v2
	s_waitcnt lgkmcnt(14)
	v_add_f32_e32 v12, v48, v3
	;; [unrolled: 2-line block ×14, first 2 shown]
	s_waitcnt vmcnt(1)
	v_lshlrev_b32_e32 v23, 10, v8
	v_add_f32_e32 v8, v36, v7
	v_add_f32_e32 v7, v35, v26
	s_waitcnt vmcnt(0)
	v_lshl_add_u32 v16, v22, 2, v19
	v_cmpx_eq_u32_e32 64, v34
	s_cbranch_execz .LBB272_2115
; %bb.2114:
	v_add_nc_u32_e32 v13, v16, v23
	v_add_nc_u32_e32 v17, 0xfffff800, v13
	;; [unrolled: 1-line block ×7, first 2 shown]
	ds_write_b32 v17, v18
	ds_write_b32 v20, v15
	;; [unrolled: 1-line block ×6, first 2 shown]
	v_add_nc_u32_e32 v17, 0xfffff980, v13
	v_add_nc_u32_e32 v20, 0xfffff9c0, v13
	;; [unrolled: 1-line block ×5, first 2 shown]
	ds_write_b32 v17, v9
	ds_write_b32 v20, v8
	;; [unrolled: 1-line block ×5, first 2 shown]
	v_add_nc_u32_e32 v17, 0xfffffac0, v13
	v_add_nc_u32_e32 v20, 0xfffffb00, v13
	;; [unrolled: 1-line block ×5, first 2 shown]
	ds_write_b32 v17, v4
	ds_write_b32 v20, v3
	;; [unrolled: 1-line block ×5, first 2 shown]
.LBB272_2115:
	s_or_b32 exec_lo, exec_lo, s5
	buffer_load_dword v17, off, s[0:3], s32 offset:372 ; 4-byte Folded Reload
	v_lshlrev_b32_e32 v13, 2, v22
	s_waitcnt vmcnt(0) lgkmcnt(0)
	s_barrier
	buffer_gl0_inv
	v_add3_u32 v13, v19, v23, v13
	v_cmp_eq_u32_e32 vcc_lo, 0, v17
	s_and_saveexec_b32 s5, s4
	s_cbranch_execz .LBB272_2134
; %bb.2116:
	s_and_saveexec_b32 s4, vcc_lo
	s_cbranch_execnz .LBB272_2158
; %bb.2117:
	s_or_b32 exec_lo, exec_lo, s4
	s_and_saveexec_b32 s4, vcc_lo
	s_cbranch_execnz .LBB272_2159
.LBB272_2118:
	s_or_b32 exec_lo, exec_lo, s4
	s_and_saveexec_b32 s4, vcc_lo
	s_cbranch_execnz .LBB272_2160
.LBB272_2119:
	s_or_b32 exec_lo, exec_lo, s4
	s_and_saveexec_b32 s4, vcc_lo
	s_cbranch_execnz .LBB272_2161
.LBB272_2120:
	s_or_b32 exec_lo, exec_lo, s4
	s_and_saveexec_b32 s4, vcc_lo
	s_cbranch_execnz .LBB272_2162
.LBB272_2121:
	s_or_b32 exec_lo, exec_lo, s4
	s_and_saveexec_b32 s4, vcc_lo
	s_cbranch_execnz .LBB272_2163
.LBB272_2122:
	s_or_b32 exec_lo, exec_lo, s4
	s_and_saveexec_b32 s4, vcc_lo
	s_cbranch_execnz .LBB272_2164
.LBB272_2123:
	s_or_b32 exec_lo, exec_lo, s4
	s_and_saveexec_b32 s4, vcc_lo
	s_cbranch_execnz .LBB272_2165
.LBB272_2124:
	s_or_b32 exec_lo, exec_lo, s4
	s_and_saveexec_b32 s4, vcc_lo
	s_cbranch_execnz .LBB272_2166
.LBB272_2125:
	s_or_b32 exec_lo, exec_lo, s4
	s_and_saveexec_b32 s4, vcc_lo
	s_cbranch_execnz .LBB272_2167
.LBB272_2126:
	s_or_b32 exec_lo, exec_lo, s4
	s_and_saveexec_b32 s4, vcc_lo
	s_cbranch_execnz .LBB272_2168
.LBB272_2127:
	s_or_b32 exec_lo, exec_lo, s4
	s_and_saveexec_b32 s4, vcc_lo
	s_cbranch_execnz .LBB272_2169
.LBB272_2128:
	s_or_b32 exec_lo, exec_lo, s4
	s_and_saveexec_b32 s4, vcc_lo
	s_cbranch_execnz .LBB272_2170
.LBB272_2129:
	s_or_b32 exec_lo, exec_lo, s4
	s_and_saveexec_b32 s4, vcc_lo
	s_cbranch_execnz .LBB272_2171
.LBB272_2130:
	s_or_b32 exec_lo, exec_lo, s4
	s_and_saveexec_b32 s4, vcc_lo
	s_cbranch_execnz .LBB272_2172
.LBB272_2131:
	s_or_b32 exec_lo, exec_lo, s4
	s_and_saveexec_b32 s4, vcc_lo
	s_cbranch_execz .LBB272_2133
.LBB272_2132:
	ds_read_b32 v17, v13 offset:960
	s_waitcnt lgkmcnt(0)
	v_add_f32_e32 v0, v17, v0
.LBB272_2133:
	s_or_b32 exec_lo, exec_lo, s4
.LBB272_2134:
	s_or_b32 exec_lo, exec_lo, s5
	v_and_b32_e32 v17, 0x3e1, v52
	s_mov_b32 s5, exec_lo
	s_barrier
	buffer_gl0_inv
	v_cmpx_eq_u32_e32 32, v17
	s_cbranch_execz .LBB272_2136
; %bb.2135:
	ds_write2_b32 v16, v18, v15 offset1:16
	ds_write2_b32 v16, v14, v12 offset0:32 offset1:48
	ds_write2_b32 v16, v11, v10 offset0:64 offset1:80
	;; [unrolled: 1-line block ×7, first 2 shown]
.LBB272_2136:
	s_or_b32 exec_lo, exec_lo, s5
	s_mov_b32 s5, exec_lo
	s_waitcnt lgkmcnt(0)
	s_barrier
	buffer_gl0_inv
	v_cmpx_gt_u32_e32 32, v52
	s_cbranch_execz .LBB272_2155
; %bb.2137:
	s_and_saveexec_b32 s4, vcc_lo
	s_cbranch_execnz .LBB272_2173
; %bb.2138:
	s_or_b32 exec_lo, exec_lo, s4
	s_and_saveexec_b32 s4, vcc_lo
	s_cbranch_execnz .LBB272_2174
.LBB272_2139:
	s_or_b32 exec_lo, exec_lo, s4
	s_and_saveexec_b32 s4, vcc_lo
	s_cbranch_execnz .LBB272_2175
.LBB272_2140:
	s_or_b32 exec_lo, exec_lo, s4
	s_and_saveexec_b32 s4, vcc_lo
	s_cbranch_execnz .LBB272_2176
.LBB272_2141:
	s_or_b32 exec_lo, exec_lo, s4
	s_and_saveexec_b32 s4, vcc_lo
	s_cbranch_execnz .LBB272_2177
.LBB272_2142:
	s_or_b32 exec_lo, exec_lo, s4
	s_and_saveexec_b32 s4, vcc_lo
	s_cbranch_execnz .LBB272_2178
.LBB272_2143:
	s_or_b32 exec_lo, exec_lo, s4
	s_and_saveexec_b32 s4, vcc_lo
	s_cbranch_execnz .LBB272_2179
.LBB272_2144:
	s_or_b32 exec_lo, exec_lo, s4
	s_and_saveexec_b32 s4, vcc_lo
	s_cbranch_execnz .LBB272_2180
.LBB272_2145:
	s_or_b32 exec_lo, exec_lo, s4
	s_and_saveexec_b32 s4, vcc_lo
	s_cbranch_execnz .LBB272_2181
.LBB272_2146:
	s_or_b32 exec_lo, exec_lo, s4
	s_and_saveexec_b32 s4, vcc_lo
	s_cbranch_execnz .LBB272_2182
.LBB272_2147:
	s_or_b32 exec_lo, exec_lo, s4
	s_and_saveexec_b32 s4, vcc_lo
	s_cbranch_execnz .LBB272_2183
.LBB272_2148:
	s_or_b32 exec_lo, exec_lo, s4
	s_and_saveexec_b32 s4, vcc_lo
	s_cbranch_execnz .LBB272_2184
.LBB272_2149:
	s_or_b32 exec_lo, exec_lo, s4
	s_and_saveexec_b32 s4, vcc_lo
	s_cbranch_execnz .LBB272_2185
.LBB272_2150:
	s_or_b32 exec_lo, exec_lo, s4
	s_and_saveexec_b32 s4, vcc_lo
	s_cbranch_execnz .LBB272_2186
.LBB272_2151:
	s_or_b32 exec_lo, exec_lo, s4
	s_and_saveexec_b32 s4, vcc_lo
	s_cbranch_execnz .LBB272_2187
.LBB272_2152:
	s_or_b32 exec_lo, exec_lo, s4
	s_and_saveexec_b32 s4, vcc_lo
	s_cbranch_execz .LBB272_2154
.LBB272_2153:
	ds_read_b32 v13, v13 offset:960
	s_waitcnt lgkmcnt(0)
	v_add_f32_e32 v0, v13, v0
.LBB272_2154:
	s_or_b32 exec_lo, exec_lo, s4
.LBB272_2155:
	s_or_b32 exec_lo, exec_lo, s5
	s_mov_b32 s4, exec_lo
	s_barrier
	buffer_gl0_inv
	v_cmpx_eq_u32_e32 0, v17
	s_cbranch_execz .LBB272_2157
; %bb.2156:
	s_clause 0x2
	buffer_load_dword v16, off, s[0:3], s32 offset:412
	buffer_load_dword v13, off, s[0:3], s32 offset:376
	;; [unrolled: 1-line block ×3, first 2 shown]
	s_and_b32 s5, 0xffff, s13
	s_cmp_lg_u32 s5, 0
	s_cselect_b32 s5, -1, 0
	s_cmp_lg_u32 s5, 0
	s_addc_u32 s5, s9, 0
	s_lshl_b32 s6, s14, 8
	s_mul_i32 s7, s10, s5
	s_mul_i32 s8, s12, s5
	;; [unrolled: 1-line block ×3, first 2 shown]
	s_ashr_i32 s9, s8, 31
	s_lshl_b32 s10, s7, 8
	s_lshl_b64 s[8:9], s[8:9], 1
	s_ashr_i32 s11, s10, 31
	s_ashr_i32 s7, s6, 31
	s_lshl_b64 s[10:11], s[10:11], 1
	s_lshl_b64 s[6:7], s[6:7], 1
	s_waitcnt vmcnt(2)
	v_add_co_u32 v16, vcc_lo, v16, s10
	s_waitcnt vmcnt(0)
	v_add_co_ci_u32_e64 v17, null, s11, v17, vcc_lo
	v_lshlrev_b32_e32 v13, 1, v13
	v_add_co_u32 v16, vcc_lo, v16, s8
	v_add_co_ci_u32_e64 v17, null, s9, v17, vcc_lo
	v_add_co_u32 v16, vcc_lo, v16, s6
	v_add_co_ci_u32_e64 v17, null, s7, v17, vcc_lo
	;; [unrolled: 2-line block ×3, first 2 shown]
	;;#ASMSTART
	v_cvt_f16_f32 v13, v18;

	;;#ASMEND
	flat_store_short v[16:17], v13
	;;#ASMSTART
	v_cvt_f16_f32 v13, v15;

	;;#ASMEND
	flat_store_short v[16:17], v13 offset:32
	;;#ASMSTART
	v_cvt_f16_f32 v13, v14;

	;;#ASMEND
	flat_store_short v[16:17], v13 offset:64
	;; [unrolled: 5-line block ×15, first 2 shown]
.LBB272_2157:
	s_or_b32 exec_lo, exec_lo, s4
	s_clause 0x2f
	buffer_load_dword v127, off, s[0:3], s32
	buffer_load_dword v126, off, s[0:3], s32 offset:4
	buffer_load_dword v125, off, s[0:3], s32 offset:8
	;; [unrolled: 1-line block ×47, first 2 shown]
	s_waitcnt vmcnt(0) lgkmcnt(0)
	s_setpc_b64 s[30:31]
.LBB272_2158:
	ds_read_b32 v17, v13
	s_waitcnt lgkmcnt(0)
	v_add_f32_e32 v18, v17, v18
	s_or_b32 exec_lo, exec_lo, s4
	s_and_saveexec_b32 s4, vcc_lo
	s_cbranch_execz .LBB272_2118
.LBB272_2159:
	ds_read_b32 v17, v13 offset:64
	s_waitcnt lgkmcnt(0)
	v_add_f32_e32 v15, v17, v15
	s_or_b32 exec_lo, exec_lo, s4
	s_and_saveexec_b32 s4, vcc_lo
	s_cbranch_execz .LBB272_2119
.LBB272_2160:
	ds_read_b32 v17, v13 offset:128
	s_waitcnt lgkmcnt(0)
	v_add_f32_e32 v14, v17, v14
	s_or_b32 exec_lo, exec_lo, s4
	s_and_saveexec_b32 s4, vcc_lo
	s_cbranch_execz .LBB272_2120
.LBB272_2161:
	ds_read_b32 v17, v13 offset:192
	s_waitcnt lgkmcnt(0)
	v_add_f32_e32 v12, v17, v12
	s_or_b32 exec_lo, exec_lo, s4
	s_and_saveexec_b32 s4, vcc_lo
	s_cbranch_execz .LBB272_2121
.LBB272_2162:
	ds_read_b32 v17, v13 offset:256
	s_waitcnt lgkmcnt(0)
	v_add_f32_e32 v11, v17, v11
	s_or_b32 exec_lo, exec_lo, s4
	s_and_saveexec_b32 s4, vcc_lo
	s_cbranch_execz .LBB272_2122
.LBB272_2163:
	ds_read_b32 v17, v13 offset:320
	s_waitcnt lgkmcnt(0)
	v_add_f32_e32 v10, v17, v10
	s_or_b32 exec_lo, exec_lo, s4
	s_and_saveexec_b32 s4, vcc_lo
	s_cbranch_execz .LBB272_2123
.LBB272_2164:
	ds_read_b32 v17, v13 offset:384
	s_waitcnt lgkmcnt(0)
	v_add_f32_e32 v9, v17, v9
	s_or_b32 exec_lo, exec_lo, s4
	s_and_saveexec_b32 s4, vcc_lo
	s_cbranch_execz .LBB272_2124
.LBB272_2165:
	ds_read_b32 v17, v13 offset:448
	s_waitcnt lgkmcnt(0)
	v_add_f32_e32 v8, v17, v8
	s_or_b32 exec_lo, exec_lo, s4
	s_and_saveexec_b32 s4, vcc_lo
	s_cbranch_execz .LBB272_2125
.LBB272_2166:
	ds_read_b32 v17, v13 offset:512
	s_waitcnt lgkmcnt(0)
	v_add_f32_e32 v7, v17, v7
	s_or_b32 exec_lo, exec_lo, s4
	s_and_saveexec_b32 s4, vcc_lo
	s_cbranch_execz .LBB272_2126
.LBB272_2167:
	ds_read_b32 v17, v13 offset:576
	s_waitcnt lgkmcnt(0)
	v_add_f32_e32 v6, v17, v6
	s_or_b32 exec_lo, exec_lo, s4
	s_and_saveexec_b32 s4, vcc_lo
	s_cbranch_execz .LBB272_2127
.LBB272_2168:
	ds_read_b32 v17, v13 offset:640
	s_waitcnt lgkmcnt(0)
	v_add_f32_e32 v5, v17, v5
	s_or_b32 exec_lo, exec_lo, s4
	s_and_saveexec_b32 s4, vcc_lo
	s_cbranch_execz .LBB272_2128
.LBB272_2169:
	ds_read_b32 v17, v13 offset:704
	s_waitcnt lgkmcnt(0)
	v_add_f32_e32 v4, v17, v4
	s_or_b32 exec_lo, exec_lo, s4
	s_and_saveexec_b32 s4, vcc_lo
	s_cbranch_execz .LBB272_2129
.LBB272_2170:
	ds_read_b32 v17, v13 offset:768
	s_waitcnt lgkmcnt(0)
	v_add_f32_e32 v3, v17, v3
	s_or_b32 exec_lo, exec_lo, s4
	s_and_saveexec_b32 s4, vcc_lo
	s_cbranch_execz .LBB272_2130
.LBB272_2171:
	ds_read_b32 v17, v13 offset:832
	s_waitcnt lgkmcnt(0)
	v_add_f32_e32 v2, v17, v2
	s_or_b32 exec_lo, exec_lo, s4
	s_and_saveexec_b32 s4, vcc_lo
	s_cbranch_execz .LBB272_2131
.LBB272_2172:
	ds_read_b32 v17, v13 offset:896
	s_waitcnt lgkmcnt(0)
	v_add_f32_e32 v1, v17, v1
	s_or_b32 exec_lo, exec_lo, s4
	s_and_saveexec_b32 s4, vcc_lo
	s_cbranch_execnz .LBB272_2132
	s_branch .LBB272_2133
.LBB272_2173:
	ds_read_b32 v16, v13
	s_waitcnt lgkmcnt(0)
	v_add_f32_e32 v18, v16, v18
	s_or_b32 exec_lo, exec_lo, s4
	s_and_saveexec_b32 s4, vcc_lo
	s_cbranch_execz .LBB272_2139
.LBB272_2174:
	ds_read_b32 v16, v13 offset:64
	s_waitcnt lgkmcnt(0)
	v_add_f32_e32 v15, v16, v15
	s_or_b32 exec_lo, exec_lo, s4
	s_and_saveexec_b32 s4, vcc_lo
	s_cbranch_execz .LBB272_2140
.LBB272_2175:
	ds_read_b32 v16, v13 offset:128
	s_waitcnt lgkmcnt(0)
	v_add_f32_e32 v14, v16, v14
	s_or_b32 exec_lo, exec_lo, s4
	s_and_saveexec_b32 s4, vcc_lo
	s_cbranch_execz .LBB272_2141
.LBB272_2176:
	ds_read_b32 v16, v13 offset:192
	s_waitcnt lgkmcnt(0)
	v_add_f32_e32 v12, v16, v12
	s_or_b32 exec_lo, exec_lo, s4
	s_and_saveexec_b32 s4, vcc_lo
	s_cbranch_execz .LBB272_2142
.LBB272_2177:
	ds_read_b32 v16, v13 offset:256
	s_waitcnt lgkmcnt(0)
	v_add_f32_e32 v11, v16, v11
	s_or_b32 exec_lo, exec_lo, s4
	s_and_saveexec_b32 s4, vcc_lo
	s_cbranch_execz .LBB272_2143
.LBB272_2178:
	ds_read_b32 v16, v13 offset:320
	s_waitcnt lgkmcnt(0)
	v_add_f32_e32 v10, v16, v10
	s_or_b32 exec_lo, exec_lo, s4
	s_and_saveexec_b32 s4, vcc_lo
	s_cbranch_execz .LBB272_2144
.LBB272_2179:
	ds_read_b32 v16, v13 offset:384
	s_waitcnt lgkmcnt(0)
	v_add_f32_e32 v9, v16, v9
	s_or_b32 exec_lo, exec_lo, s4
	s_and_saveexec_b32 s4, vcc_lo
	s_cbranch_execz .LBB272_2145
.LBB272_2180:
	ds_read_b32 v16, v13 offset:448
	s_waitcnt lgkmcnt(0)
	v_add_f32_e32 v8, v16, v8
	s_or_b32 exec_lo, exec_lo, s4
	s_and_saveexec_b32 s4, vcc_lo
	s_cbranch_execz .LBB272_2146
.LBB272_2181:
	ds_read_b32 v16, v13 offset:512
	s_waitcnt lgkmcnt(0)
	v_add_f32_e32 v7, v16, v7
	s_or_b32 exec_lo, exec_lo, s4
	s_and_saveexec_b32 s4, vcc_lo
	s_cbranch_execz .LBB272_2147
.LBB272_2182:
	ds_read_b32 v16, v13 offset:576
	s_waitcnt lgkmcnt(0)
	v_add_f32_e32 v6, v16, v6
	s_or_b32 exec_lo, exec_lo, s4
	s_and_saveexec_b32 s4, vcc_lo
	s_cbranch_execz .LBB272_2148
.LBB272_2183:
	ds_read_b32 v16, v13 offset:640
	s_waitcnt lgkmcnt(0)
	v_add_f32_e32 v5, v16, v5
	s_or_b32 exec_lo, exec_lo, s4
	s_and_saveexec_b32 s4, vcc_lo
	s_cbranch_execz .LBB272_2149
.LBB272_2184:
	ds_read_b32 v16, v13 offset:704
	s_waitcnt lgkmcnt(0)
	v_add_f32_e32 v4, v16, v4
	s_or_b32 exec_lo, exec_lo, s4
	s_and_saveexec_b32 s4, vcc_lo
	s_cbranch_execz .LBB272_2150
.LBB272_2185:
	ds_read_b32 v16, v13 offset:768
	s_waitcnt lgkmcnt(0)
	v_add_f32_e32 v3, v16, v3
	s_or_b32 exec_lo, exec_lo, s4
	s_and_saveexec_b32 s4, vcc_lo
	s_cbranch_execz .LBB272_2151
.LBB272_2186:
	ds_read_b32 v16, v13 offset:832
	s_waitcnt lgkmcnt(0)
	v_add_f32_e32 v2, v16, v2
	s_or_b32 exec_lo, exec_lo, s4
	s_and_saveexec_b32 s4, vcc_lo
	s_cbranch_execz .LBB272_2152
.LBB272_2187:
	ds_read_b32 v16, v13 offset:896
	s_waitcnt lgkmcnt(0)
	v_add_f32_e32 v1, v16, v1
	s_or_b32 exec_lo, exec_lo, s4
	s_and_saveexec_b32 s4, vcc_lo
	s_cbranch_execnz .LBB272_2153
	s_branch .LBB272_2154
.Lfunc_end272:
	.size	_ZN4vllm22paged_attention_kernelIthLi256ELi16ELi128ELNS_18Fp8KVCacheDataTypeE1ELb0ELi0EEEvPfS2_PT_PKS3_PKT0_S9_ifPKiSB_iPKfiiiSD_SD_iiiii, .Lfunc_end272-_ZN4vllm22paged_attention_kernelIthLi256ELi16ELi128ELNS_18Fp8KVCacheDataTypeE1ELb0ELi0EEEvPfS2_PT_PKS3_PKT0_S9_ifPKiSB_iPKfiiiSD_SD_iiiii
                                        ; -- End function
	.set .L_ZN4vllm22paged_attention_kernelIthLi256ELi16ELi128ELNS_18Fp8KVCacheDataTypeE1ELb0ELi0EEEvPfS2_PT_PKS3_PKT0_S9_ifPKiSB_iPKfiiiSD_SD_iiiii.num_vgpr, 128
	.set .L_ZN4vllm22paged_attention_kernelIthLi256ELi16ELi128ELNS_18Fp8KVCacheDataTypeE1ELb0ELi0EEEvPfS2_PT_PKS3_PKT0_S9_ifPKiSB_iPKfiiiSD_SD_iiiii.num_agpr, 0
	.set .L_ZN4vllm22paged_attention_kernelIthLi256ELi16ELi128ELNS_18Fp8KVCacheDataTypeE1ELb0ELi0EEEvPfS2_PT_PKS3_PKT0_S9_ifPKiSB_iPKfiiiSD_SD_iiiii.numbered_sgpr, 33
	.set .L_ZN4vllm22paged_attention_kernelIthLi256ELi16ELi128ELNS_18Fp8KVCacheDataTypeE1ELb0ELi0EEEvPfS2_PT_PKS3_PKT0_S9_ifPKiSB_iPKfiiiSD_SD_iiiii.num_named_barrier, 0
	.set .L_ZN4vllm22paged_attention_kernelIthLi256ELi16ELi128ELNS_18Fp8KVCacheDataTypeE1ELb0ELi0EEEvPfS2_PT_PKS3_PKT0_S9_ifPKiSB_iPKfiiiSD_SD_iiiii.private_seg_size, 436
	.set .L_ZN4vllm22paged_attention_kernelIthLi256ELi16ELi128ELNS_18Fp8KVCacheDataTypeE1ELb0ELi0EEEvPfS2_PT_PKS3_PKT0_S9_ifPKiSB_iPKfiiiSD_SD_iiiii.uses_vcc, 1
	.set .L_ZN4vllm22paged_attention_kernelIthLi256ELi16ELi128ELNS_18Fp8KVCacheDataTypeE1ELb0ELi0EEEvPfS2_PT_PKS3_PKT0_S9_ifPKiSB_iPKfiiiSD_SD_iiiii.uses_flat_scratch, 0
	.set .L_ZN4vllm22paged_attention_kernelIthLi256ELi16ELi128ELNS_18Fp8KVCacheDataTypeE1ELb0ELi0EEEvPfS2_PT_PKS3_PKT0_S9_ifPKiSB_iPKfiiiSD_SD_iiiii.has_dyn_sized_stack, 0
	.set .L_ZN4vllm22paged_attention_kernelIthLi256ELi16ELi128ELNS_18Fp8KVCacheDataTypeE1ELb0ELi0EEEvPfS2_PT_PKS3_PKT0_S9_ifPKiSB_iPKfiiiSD_SD_iiiii.has_recursion, 0
	.set .L_ZN4vllm22paged_attention_kernelIthLi256ELi16ELi128ELNS_18Fp8KVCacheDataTypeE1ELb0ELi0EEEvPfS2_PT_PKS3_PKT0_S9_ifPKiSB_iPKfiiiSD_SD_iiiii.has_indirect_call, 0
	.section	.AMDGPU.csdata,"",@progbits
; Function info:
; codeLenInByte = 73624
; TotalNumSgprs: 35
; NumVgprs: 128
; ScratchSize: 436
; MemoryBound: 0
	.section	.text._ZN4vllm25paged_attention_v1_kernelIthLi256ELi16ELi128ELNS_18Fp8KVCacheDataTypeE1ELb0EEEvPT_PKS2_PKT0_S8_ifPKiSA_iPKfiiiSC_SC_iiiii,"axG",@progbits,_ZN4vllm25paged_attention_v1_kernelIthLi256ELi16ELi128ELNS_18Fp8KVCacheDataTypeE1ELb0EEEvPT_PKS2_PKT0_S8_ifPKiSA_iPKfiiiSC_SC_iiiii,comdat
	.protected	_ZN4vllm25paged_attention_v1_kernelIthLi256ELi16ELi128ELNS_18Fp8KVCacheDataTypeE1ELb0EEEvPT_PKS2_PKT0_S8_ifPKiSA_iPKfiiiSC_SC_iiiii ; -- Begin function _ZN4vllm25paged_attention_v1_kernelIthLi256ELi16ELi128ELNS_18Fp8KVCacheDataTypeE1ELb0EEEvPT_PKS2_PKT0_S8_ifPKiSA_iPKfiiiSC_SC_iiiii
	.globl	_ZN4vllm25paged_attention_v1_kernelIthLi256ELi16ELi128ELNS_18Fp8KVCacheDataTypeE1ELb0EEEvPT_PKS2_PKT0_S8_ifPKiSA_iPKfiiiSC_SC_iiiii
	.p2align	8
	.type	_ZN4vllm25paged_attention_v1_kernelIthLi256ELi16ELi128ELNS_18Fp8KVCacheDataTypeE1ELb0EEEvPT_PKS2_PKT0_S8_ifPKiSA_iPKfiiiSC_SC_iiiii,@function
_ZN4vllm25paged_attention_v1_kernelIthLi256ELi16ELi128ELNS_18Fp8KVCacheDataTypeE1ELb0EEEvPT_PKS2_PKT0_S8_ifPKiSA_iPKfiiiSC_SC_iiiii: ; @_ZN4vllm25paged_attention_v1_kernelIthLi256ELi16ELi128ELNS_18Fp8KVCacheDataTypeE1ELb0EEEvPT_PKS2_PKT0_S8_ifPKiSA_iPKfiiiSC_SC_iiiii
; %bb.0:
	s_clause 0x5
	s_load_dwordx8 s[16:23], s[4:5], 0x0
	s_load_dwordx4 s[36:39], s[4:5], 0x20
	s_load_dwordx2 s[10:11], s[4:5], 0x30
	s_load_dword s13, s[4:5], 0x38
	s_load_dwordx2 s[34:35], s[4:5], 0x40
	s_load_dwordx8 s[24:31], s[4:5], 0x48
	s_add_u32 s0, s0, s9
	s_addc_u32 s1, s1, 0
	v_mov_b32_e32 v31, v0
	s_mov_b32 s14, s8
	s_add_u32 s8, s4, 0x80
	s_addc_u32 s9, s5, 0
	s_getpc_b64 s[4:5]
	s_add_u32 s4, s4, _ZN4vllm22paged_attention_kernelIthLi256ELi16ELi128ELNS_18Fp8KVCacheDataTypeE1ELb0ELi0EEEvPfS2_PT_PKS3_PKT0_S9_ifPKiSB_iPKfiiiSD_SD_iiiii@rel32@lo+4
	s_addc_u32 s5, s5, _ZN4vllm22paged_attention_kernelIthLi256ELi16ELi128ELNS_18Fp8KVCacheDataTypeE1ELb0ELi0EEEvPfS2_PT_PKS3_PKT0_S9_ifPKiSB_iPKfiiiSD_SD_iiiii@rel32@hi+12
	s_mov_b32 s12, s6
	s_mov_b32 s15, 44
	;; [unrolled: 1-line block ×3, first 2 shown]
	s_waitcnt lgkmcnt(0)
	v_mov_b32_e32 v0, s16
	v_mov_b32_e32 v1, s17
	v_mov_b32_e32 v2, s18
	v_mov_b32_e32 v3, s19
	v_mov_b32_e32 v4, s20
	v_mov_b32_e32 v5, s21
	v_mov_b32_e32 v6, s22
	v_mov_b32_e32 v7, s23
	v_mov_b32_e32 v8, s36
	v_mov_b32_e32 v9, s37
	v_mov_b32_e32 v10, s38
	v_mov_b32_e32 v11, s39
	v_mov_b32_e32 v12, s10
	v_mov_b32_e32 v13, s11
	v_mov_b32_e32 v14, s13
	v_mov_b32_e32 v15, s34
	v_mov_b32_e32 v16, s35
	v_mov_b32_e32 v17, s24
	v_mov_b32_e32 v18, s25
	v_mov_b32_e32 v19, s26
	v_mov_b32_e32 v20, s28
	v_mov_b32_e32 v21, s29
	v_mov_b32_e32 v22, s30
	v_mov_b32_e32 v23, s31
	s_mov_b32 s13, s7
	s_swappc_b64 s[30:31], s[4:5]
	s_endpgm
	.section	.rodata,"a",@progbits
	.p2align	6, 0x0
	.amdhsa_kernel _ZN4vllm25paged_attention_v1_kernelIthLi256ELi16ELi128ELNS_18Fp8KVCacheDataTypeE1ELb0EEEvPT_PKS2_PKT0_S8_ifPKiSA_iPKfiiiSC_SC_iiiii
		.amdhsa_group_segment_fixed_size 544
		.amdhsa_private_segment_fixed_size 436
		.amdhsa_kernarg_size 384
		.amdhsa_user_sgpr_count 6
		.amdhsa_user_sgpr_private_segment_buffer 1
		.amdhsa_user_sgpr_dispatch_ptr 0
		.amdhsa_user_sgpr_queue_ptr 0
		.amdhsa_user_sgpr_kernarg_segment_ptr 1
		.amdhsa_user_sgpr_dispatch_id 0
		.amdhsa_user_sgpr_flat_scratch_init 0
		.amdhsa_user_sgpr_private_segment_size 0
		.amdhsa_wavefront_size32 1
		.amdhsa_uses_dynamic_stack 0
		.amdhsa_system_sgpr_private_segment_wavefront_offset 1
		.amdhsa_system_sgpr_workgroup_id_x 1
		.amdhsa_system_sgpr_workgroup_id_y 1
		.amdhsa_system_sgpr_workgroup_id_z 1
		.amdhsa_system_sgpr_workgroup_info 0
		.amdhsa_system_vgpr_workitem_id 0
		.amdhsa_next_free_vgpr 128
		.amdhsa_next_free_sgpr 40
		.amdhsa_reserve_vcc 1
		.amdhsa_reserve_flat_scratch 0
		.amdhsa_float_round_mode_32 0
		.amdhsa_float_round_mode_16_64 0
		.amdhsa_float_denorm_mode_32 3
		.amdhsa_float_denorm_mode_16_64 3
		.amdhsa_dx10_clamp 1
		.amdhsa_ieee_mode 1
		.amdhsa_fp16_overflow 0
		.amdhsa_workgroup_processor_mode 1
		.amdhsa_memory_ordered 1
		.amdhsa_forward_progress 1
		.amdhsa_shared_vgpr_count 0
		.amdhsa_exception_fp_ieee_invalid_op 0
		.amdhsa_exception_fp_denorm_src 0
		.amdhsa_exception_fp_ieee_div_zero 0
		.amdhsa_exception_fp_ieee_overflow 0
		.amdhsa_exception_fp_ieee_underflow 0
		.amdhsa_exception_fp_ieee_inexact 0
		.amdhsa_exception_int_div_zero 0
	.end_amdhsa_kernel
	.section	.text._ZN4vllm25paged_attention_v1_kernelIthLi256ELi16ELi128ELNS_18Fp8KVCacheDataTypeE1ELb0EEEvPT_PKS2_PKT0_S8_ifPKiSA_iPKfiiiSC_SC_iiiii,"axG",@progbits,_ZN4vllm25paged_attention_v1_kernelIthLi256ELi16ELi128ELNS_18Fp8KVCacheDataTypeE1ELb0EEEvPT_PKS2_PKT0_S8_ifPKiSA_iPKfiiiSC_SC_iiiii,comdat
.Lfunc_end273:
	.size	_ZN4vllm25paged_attention_v1_kernelIthLi256ELi16ELi128ELNS_18Fp8KVCacheDataTypeE1ELb0EEEvPT_PKS2_PKT0_S8_ifPKiSA_iPKfiiiSC_SC_iiiii, .Lfunc_end273-_ZN4vllm25paged_attention_v1_kernelIthLi256ELi16ELi128ELNS_18Fp8KVCacheDataTypeE1ELb0EEEvPT_PKS2_PKT0_S8_ifPKiSA_iPKfiiiSC_SC_iiiii
                                        ; -- End function
	.set _ZN4vllm25paged_attention_v1_kernelIthLi256ELi16ELi128ELNS_18Fp8KVCacheDataTypeE1ELb0EEEvPT_PKS2_PKT0_S8_ifPKiSA_iPKfiiiSC_SC_iiiii.num_vgpr, max(32, .L_ZN4vllm22paged_attention_kernelIthLi256ELi16ELi128ELNS_18Fp8KVCacheDataTypeE1ELb0ELi0EEEvPfS2_PT_PKS3_PKT0_S9_ifPKiSB_iPKfiiiSD_SD_iiiii.num_vgpr)
	.set _ZN4vllm25paged_attention_v1_kernelIthLi256ELi16ELi128ELNS_18Fp8KVCacheDataTypeE1ELb0EEEvPT_PKS2_PKT0_S8_ifPKiSA_iPKfiiiSC_SC_iiiii.num_agpr, max(0, .L_ZN4vllm22paged_attention_kernelIthLi256ELi16ELi128ELNS_18Fp8KVCacheDataTypeE1ELb0ELi0EEEvPfS2_PT_PKS3_PKT0_S9_ifPKiSB_iPKfiiiSD_SD_iiiii.num_agpr)
	.set _ZN4vllm25paged_attention_v1_kernelIthLi256ELi16ELi128ELNS_18Fp8KVCacheDataTypeE1ELb0EEEvPT_PKS2_PKT0_S8_ifPKiSA_iPKfiiiSC_SC_iiiii.numbered_sgpr, max(40, .L_ZN4vllm22paged_attention_kernelIthLi256ELi16ELi128ELNS_18Fp8KVCacheDataTypeE1ELb0ELi0EEEvPfS2_PT_PKS3_PKT0_S9_ifPKiSB_iPKfiiiSD_SD_iiiii.numbered_sgpr)
	.set _ZN4vllm25paged_attention_v1_kernelIthLi256ELi16ELi128ELNS_18Fp8KVCacheDataTypeE1ELb0EEEvPT_PKS2_PKT0_S8_ifPKiSA_iPKfiiiSC_SC_iiiii.num_named_barrier, max(0, .L_ZN4vllm22paged_attention_kernelIthLi256ELi16ELi128ELNS_18Fp8KVCacheDataTypeE1ELb0ELi0EEEvPfS2_PT_PKS3_PKT0_S9_ifPKiSB_iPKfiiiSD_SD_iiiii.num_named_barrier)
	.set _ZN4vllm25paged_attention_v1_kernelIthLi256ELi16ELi128ELNS_18Fp8KVCacheDataTypeE1ELb0EEEvPT_PKS2_PKT0_S8_ifPKiSA_iPKfiiiSC_SC_iiiii.private_seg_size, 0+max(.L_ZN4vllm22paged_attention_kernelIthLi256ELi16ELi128ELNS_18Fp8KVCacheDataTypeE1ELb0ELi0EEEvPfS2_PT_PKS3_PKT0_S9_ifPKiSB_iPKfiiiSD_SD_iiiii.private_seg_size)
	.set _ZN4vllm25paged_attention_v1_kernelIthLi256ELi16ELi128ELNS_18Fp8KVCacheDataTypeE1ELb0EEEvPT_PKS2_PKT0_S8_ifPKiSA_iPKfiiiSC_SC_iiiii.uses_vcc, or(1, .L_ZN4vllm22paged_attention_kernelIthLi256ELi16ELi128ELNS_18Fp8KVCacheDataTypeE1ELb0ELi0EEEvPfS2_PT_PKS3_PKT0_S9_ifPKiSB_iPKfiiiSD_SD_iiiii.uses_vcc)
	.set _ZN4vllm25paged_attention_v1_kernelIthLi256ELi16ELi128ELNS_18Fp8KVCacheDataTypeE1ELb0EEEvPT_PKS2_PKT0_S8_ifPKiSA_iPKfiiiSC_SC_iiiii.uses_flat_scratch, or(0, .L_ZN4vllm22paged_attention_kernelIthLi256ELi16ELi128ELNS_18Fp8KVCacheDataTypeE1ELb0ELi0EEEvPfS2_PT_PKS3_PKT0_S9_ifPKiSB_iPKfiiiSD_SD_iiiii.uses_flat_scratch)
	.set _ZN4vllm25paged_attention_v1_kernelIthLi256ELi16ELi128ELNS_18Fp8KVCacheDataTypeE1ELb0EEEvPT_PKS2_PKT0_S8_ifPKiSA_iPKfiiiSC_SC_iiiii.has_dyn_sized_stack, or(0, .L_ZN4vllm22paged_attention_kernelIthLi256ELi16ELi128ELNS_18Fp8KVCacheDataTypeE1ELb0ELi0EEEvPfS2_PT_PKS3_PKT0_S9_ifPKiSB_iPKfiiiSD_SD_iiiii.has_dyn_sized_stack)
	.set _ZN4vllm25paged_attention_v1_kernelIthLi256ELi16ELi128ELNS_18Fp8KVCacheDataTypeE1ELb0EEEvPT_PKS2_PKT0_S8_ifPKiSA_iPKfiiiSC_SC_iiiii.has_recursion, or(0, .L_ZN4vllm22paged_attention_kernelIthLi256ELi16ELi128ELNS_18Fp8KVCacheDataTypeE1ELb0ELi0EEEvPfS2_PT_PKS3_PKT0_S9_ifPKiSB_iPKfiiiSD_SD_iiiii.has_recursion)
	.set _ZN4vllm25paged_attention_v1_kernelIthLi256ELi16ELi128ELNS_18Fp8KVCacheDataTypeE1ELb0EEEvPT_PKS2_PKT0_S8_ifPKiSA_iPKfiiiSC_SC_iiiii.has_indirect_call, or(0, .L_ZN4vllm22paged_attention_kernelIthLi256ELi16ELi128ELNS_18Fp8KVCacheDataTypeE1ELb0ELi0EEEvPfS2_PT_PKS3_PKT0_S9_ifPKiSB_iPKfiiiSD_SD_iiiii.has_indirect_call)
	.section	.AMDGPU.csdata,"",@progbits
; Kernel info:
; codeLenInByte = 224
; TotalNumSgprs: 42
; NumVgprs: 128
; ScratchSize: 436
; MemoryBound: 0
; FloatMode: 240
; IeeeMode: 1
; LDSByteSize: 544 bytes/workgroup (compile time only)
; SGPRBlocks: 0
; VGPRBlocks: 15
; NumSGPRsForWavesPerEU: 42
; NumVGPRsForWavesPerEU: 128
; Occupancy: 8
; WaveLimiterHint : 1
; COMPUTE_PGM_RSRC2:SCRATCH_EN: 1
; COMPUTE_PGM_RSRC2:USER_SGPR: 6
; COMPUTE_PGM_RSRC2:TRAP_HANDLER: 0
; COMPUTE_PGM_RSRC2:TGID_X_EN: 1
; COMPUTE_PGM_RSRC2:TGID_Y_EN: 1
; COMPUTE_PGM_RSRC2:TGID_Z_EN: 1
; COMPUTE_PGM_RSRC2:TIDIG_COMP_CNT: 0
	.section	.text._ZN4vllm25paged_attention_v1_kernelIthLi32ELi32ELi128ELNS_18Fp8KVCacheDataTypeE1ELb1EEEvPT_PKS2_PKT0_S8_ifPKiSA_iPKfiiiSC_SC_iiiii,"axG",@progbits,_ZN4vllm25paged_attention_v1_kernelIthLi32ELi32ELi128ELNS_18Fp8KVCacheDataTypeE1ELb1EEEvPT_PKS2_PKT0_S8_ifPKiSA_iPKfiiiSC_SC_iiiii,comdat
	.protected	_ZN4vllm25paged_attention_v1_kernelIthLi32ELi32ELi128ELNS_18Fp8KVCacheDataTypeE1ELb1EEEvPT_PKS2_PKT0_S8_ifPKiSA_iPKfiiiSC_SC_iiiii ; -- Begin function _ZN4vllm25paged_attention_v1_kernelIthLi32ELi32ELi128ELNS_18Fp8KVCacheDataTypeE1ELb1EEEvPT_PKS2_PKT0_S8_ifPKiSA_iPKfiiiSC_SC_iiiii
	.globl	_ZN4vllm25paged_attention_v1_kernelIthLi32ELi32ELi128ELNS_18Fp8KVCacheDataTypeE1ELb1EEEvPT_PKS2_PKT0_S8_ifPKiSA_iPKfiiiSC_SC_iiiii
	.p2align	8
	.type	_ZN4vllm25paged_attention_v1_kernelIthLi32ELi32ELi128ELNS_18Fp8KVCacheDataTypeE1ELb1EEEvPT_PKS2_PKT0_S8_ifPKiSA_iPKfiiiSC_SC_iiiii,@function
_ZN4vllm25paged_attention_v1_kernelIthLi32ELi32ELi128ELNS_18Fp8KVCacheDataTypeE1ELb1EEEvPT_PKS2_PKT0_S8_ifPKiSA_iPKfiiiSC_SC_iiiii: ; @_ZN4vllm25paged_attention_v1_kernelIthLi32ELi32ELi128ELNS_18Fp8KVCacheDataTypeE1ELb1EEEvPT_PKS2_PKT0_S8_ifPKiSA_iPKfiiiSC_SC_iiiii
; %bb.0:
	s_clause 0x2
	s_load_dword s9, s[4:5], 0x80
	s_load_dwordx2 s[0:1], s[4:5], 0x30
	s_load_dwordx2 s[2:3], s[4:5], 0x20
	s_mov_b32 s10, s7
	s_ashr_i32 s11, s7, 31
	s_mov_b32 s35, 0
	s_lshl_b64 s[12:13], s[10:11], 2
	s_waitcnt lgkmcnt(0)
	s_add_u32 s0, s0, s12
	s_addc_u32 s1, s1, s13
	s_abs_i32 s7, s2
	s_abs_i32 s13, s9
	v_cvt_f32_u32_e32 v1, s7
	s_sub_i32 s12, 0, s7
	v_rcp_iflag_f32_e32 v1, v1
	v_mul_f32_e32 v1, 0x4f7ffffe, v1
	v_cvt_u32_f32_e32 v1, v1
	v_readfirstlane_b32 s11, v1
	s_mul_i32 s12, s12, s11
	s_mul_hi_u32 s12, s11, s12
	s_add_i32 s11, s11, s12
	s_xor_b32 s12, s9, s2
	s_mul_hi_u32 s11, s13, s11
	s_ashr_i32 s12, s12, 31
	s_mul_i32 s14, s11, s7
	s_sub_i32 s13, s13, s14
	s_add_i32 s14, s11, 1
	s_sub_i32 s15, s13, s7
	s_cmp_ge_u32 s13, s7
	s_cselect_b32 s11, s14, s11
	s_cselect_b32 s13, s15, s13
	s_add_i32 s14, s11, 1
	s_cmp_ge_u32 s13, s7
	s_cselect_b32 s7, s14, s11
	s_xor_b32 s7, s7, s12
	s_sub_i32 s20, s7, s12
	s_load_dwordx2 s[12:13], s[4:5], 0x40
	s_abs_i32 s11, s20
	v_cvt_f32_u32_e32 v1, s11
	s_sub_i32 s14, 0, s11
	v_rcp_iflag_f32_e32 v1, v1
	v_mul_f32_e32 v1, 0x4f7ffffe, v1
	v_cvt_u32_f32_e32 v1, v1
	v_readfirstlane_b32 s7, v1
	s_mul_i32 s14, s14, s7
	s_mul_hi_u32 s15, s7, s14
	s_abs_i32 s14, s6
	s_add_i32 s7, s7, s15
	s_waitcnt lgkmcnt(0)
	s_cmp_eq_u64 s[12:13], 0
	s_mul_hi_u32 s15, s14, s7
	s_cbranch_scc1 .LBB274_2
; %bb.1:
	s_ashr_i32 s7, s6, 31
	s_lshl_b64 s[16:17], s[6:7], 2
	s_add_u32 s12, s12, s16
	s_addc_u32 s13, s13, s17
	s_load_dword s35, s[12:13], 0x0
.LBB274_2:
	s_load_dword s33, s[0:1], 0x0
	s_load_dwordx4 s[16:19], s[4:5], 0x48
	s_ashr_i32 s0, s6, 31
	s_ashr_i32 s1, s20, 31
	s_lshl_b32 s24, s6, 5
	s_mov_b32 s7, exec_lo
	v_cmpx_gt_u32_e32 4, v0
	s_cbranch_execz .LBB274_4
; %bb.3:
	s_load_dwordx2 s[12:13], s[4:5], 0x8
	s_waitcnt lgkmcnt(0)
	s_mul_i32 s20, s16, s10
	v_lshlrev_b32_e32 v5, 4, v0
	s_ashr_i32 s21, s20, 31
	s_lshl_b64 s[20:21], s[20:21], 1
	s_add_u32 s16, s12, s20
	s_addc_u32 s19, s13, s21
	s_ashr_i32 s25, s24, 31
	s_lshl_b64 s[12:13], s[24:25], 1
	s_add_u32 s12, s16, s12
	s_addc_u32 s13, s19, s13
	global_load_dwordx4 v[1:4], v5, s[12:13]
	s_waitcnt vmcnt(0)
	ds_write_b128 v5, v[1:4]
.LBB274_4:
	s_or_b32 exec_lo, exec_lo, s7
	s_load_dwordx4 s[20:23], s[4:5], 0x68
	s_mul_i32 s7, s15, s11
	s_xor_b32 s1, s0, s1
	s_sub_i32 s0, s14, s7
	s_add_i32 s7, s15, 1
	s_sub_i32 s12, s0, s11
	s_cmp_ge_u32 s0, s11
	s_waitcnt lgkmcnt(0)
	s_cselect_b32 s7, s7, s15
	s_cselect_b32 s0, s12, s0
	s_add_i32 s12, s7, 1
	s_cmp_ge_u32 s0, s11
	s_load_dword s0, s[4:5], 0x78
	s_cselect_b32 s7, s12, s7
	s_mov_b32 s12, -1
	s_xor_b32 s7, s7, s1
	s_barrier
	s_sub_i32 s1, s7, s1
	s_waitcnt lgkmcnt(0)
	buffer_gl0_inv
                                        ; implicit-def: $sgpr25
	s_abs_i32 s16, s23
	v_cvt_f32_u32_e32 v1, s16
	s_sub_i32 s7, 0, s16
	v_rcp_iflag_f32_e32 v1, v1
	v_mul_f32_e32 v1, 0x4f7ffffe, v1
	v_cvt_u32_f32_e32 v1, v1
	v_readfirstlane_b32 s19, v1
	s_mul_i32 s11, s7, s19
	s_add_i32 s7, s33, -1
	s_mul_hi_u32 s13, s19, s11
	s_abs_i32 s11, s7
	s_add_i32 s19, s19, s13
	s_cmp_lt_i32 s0, 0
	s_mul_hi_u32 s34, s11, s19
	s_cbranch_scc0 .LBB274_6
; %bb.5:
	s_mul_i32 s2, s20, s2
	s_mov_b32 s12, 0
	s_add_i32 s2, s1, s2
	s_mul_i32 s2, s2, s0
	s_sub_i32 s25, 1, s2
.LBB274_6:
	s_load_dwordx2 s[26:27], s[4:5], 0x28
	s_ashr_i32 s2, s7, 31
	s_andn2_b32 vcc_lo, exec_lo, s12
	s_ashr_i32 s23, s23, 31
	s_cbranch_vccnz .LBB274_8
; %bb.7:
	s_mul_i32 s7, s9, s20
	s_add_i32 s6, s7, s6
	s_mul_i32 s0, s6, s0
	s_add_i32 s25, s0, 1
.LBB274_8:
	s_clause 0x2
	s_load_dword s0, s[4:5], 0x38
	s_load_dwordx2 s[6:7], s[4:5], 0x0
	s_load_dwordx2 s[30:31], s[4:5], 0x18
	s_mul_i32 s12, s34, s16
	s_xor_b32 s2, s2, s23
	s_sub_i32 s36, s11, s12
	s_add_i32 s20, s34, 1
	s_clause 0x1
	s_load_dword s11, s[4:5], 0x88
	s_load_dwordx4 s[12:15], s[4:5], 0x58
	v_lshrrev_b32_e32 v11, 5, v0
	v_and_b32_e32 v12, 31, v0
	v_mov_b32_e32 v16, 0xff7fffff
	v_lshrrev_b32_e32 v14, 3, v0
	s_mul_i32 s18, s1, s18
	v_lshlrev_b32_e32 v13, 5, v11
	v_lshlrev_b32_e32 v15, 2, v12
	s_waitcnt lgkmcnt(0)
	s_mul_i32 s28, s0, s10
	s_sub_i32 s0, s36, s16
	s_ashr_i32 s29, s28, 31
	s_cmp_ge_u32 s36, s16
	s_cselect_b32 s20, s20, s34
	s_cselect_b32 s0, s0, s36
	s_add_i32 s34, s20, 1
	s_cmp_ge_u32 s0, s16
	s_cselect_b32 s0, s34, s20
	s_add_i32 s20, s33, 31
	s_ashr_i32 s34, s20, 31
	s_lshr_b32 s34, s34, 27
	s_add_i32 s20, s20, s34
	s_xor_b32 s34, s0, s2
	s_ashr_i32 s20, s20, 5
	s_sub_i32 s34, s34, s2
	v_cmp_gt_i32_e64 s0, s20, v11
	s_and_saveexec_b32 s36, s0
	s_cbranch_execz .LBB274_272
; %bb.9:
	s_load_dwordx2 s[4:5], s[4:5], 0x10
	s_sub_i32 s37, s34, s21
	s_ashr_i32 s1, s18, 31
	v_lshlrev_b32_e32 v3, 4, v12
	v_subrev_nc_u32_e32 v4, s33, v12
	v_and_b32_e32 v5, 0x7c, v14
	v_lshl_or_b32 v6, v11, 7, v15
	v_mov_b32_e32 v2, 0
	v_cmp_neq_f32_e64 vcc_lo, s35, 0
	v_add_nc_u32_e32 v23, 1, v4
	v_lshlrev_b32_e32 v17, 5, v11
	v_mov_b32_e32 v18, 0xff7fffff
	v_mov_b32_e32 v19, 0x80
	;; [unrolled: 1-line block ×6, first 2 shown]
	v_add_nc_u32_e32 v24, 0x60, v6
	v_mov_b32_e32 v26, v11
	s_mov_b32 s39, s17
	s_waitcnt lgkmcnt(0)
	s_add_u32 s2, s4, s18
	s_addc_u32 s1, s5, s1
	s_abs_i32 s38, s22
	v_add_co_u32 v3, s2, s2, v3
	v_cvt_f32_u32_e32 v1, s38
	s_sub_i32 s4, 0, s38
	v_add_co_ci_u32_e64 v4, null, s1, 0, s2
	s_mov_b32 s40, 0
	v_rcp_iflag_f32_e32 v1, v1
	v_mul_f32_e32 v1, 0x4f7ffffe, v1
	v_cvt_u32_f32_e32 v1, v1
	v_mul_lo_u32 v7, s4, v1
	s_lshl_b64 s[4:5], s[28:29], 2
	s_add_u32 s1, s26, s4
	s_addc_u32 s2, s27, s5
	v_add_co_u32 v5, s1, s1, v5
	v_add_co_ci_u32_e64 v6, null, s2, 0, s1
	v_mul_hi_u32 v7, v1, v7
	s_mov_b32 s4, -1
	s_mov_b32 s5, 0xffffff
	v_add_nc_u32_e32 v25, v1, v7
	s_branch .LBB274_15
.LBB274_10:                             ;   in Loop: Header=BB274_15 Depth=1
	s_or_b32 exec_lo, exec_lo, s44
	v_lshlrev_b32_e32 v1, 8, v1
	v_lshl_add_u32 v8, v8, 10, 0x2000
	v_lshlrev_b32_e32 v7, 23, v7
	v_and_or_b32 v1, 0x8000, v1, v8
	v_lshl_or_b32 v7, v1, 16, v7
.LBB274_11:                             ;   in Loop: Header=BB274_15 Depth=1
	s_or_b32 exec_lo, exec_lo, s43
.LBB274_12:                             ;   in Loop: Header=BB274_15 Depth=1
	s_or_b32 exec_lo, exec_lo, s42
.LBB274_13:                             ;   in Loop: Header=BB274_15 Depth=1
	s_or_b32 exec_lo, exec_lo, s41
	ds_read_b128 v[60:63], v2
	v_or_b32_e32 v29, v28, v29
	v_or_b32_e32 v1, v30, v31
	v_fma_mixlo_f16 v8, v27, v30, 0 op_sel:[0,1,0] op_sel_hi:[0,1,0]
	v_or_b32_e32 v30, v34, v33
	v_or_b32_e32 v32, v36, v32
	v_fma_mixlo_f16 v28, v27, v28, 0 op_sel:[0,1,0] op_sel_hi:[0,1,0]
	v_fma_mixlo_f16 v29, v27, v29, 0 op_sel_hi:[0,1,0]
	v_fma_mixlo_f16 v1, v27, v1, 0 op_sel_hi:[0,1,0]
	;; [unrolled: 1-line block ×3, first 2 shown]
	v_fma_mixlo_f16 v31, v27, v34, 0 op_sel:[0,1,0] op_sel_hi:[0,1,0]
	v_fma_mixlo_f16 v33, v27, v36, 0 op_sel:[0,1,0] op_sel_hi:[0,1,0]
	v_fma_mixlo_f16 v32, v27, v32, 0 op_sel_hi:[0,1,0]
	v_and_b32_e32 v28, 0xffff, v28
	v_and_b32_e32 v29, 0xffff, v29
	;; [unrolled: 1-line block ×5, first 2 shown]
	v_or_b32_e32 v44, v45, v44
	v_or_b32_e32 v35, v37, v35
	s_waitcnt lgkmcnt(0)
	v_and_b32_e32 v34, 0xffff, v60
	v_lshrrev_b32_e32 v36, 16, v60
	v_lshrrev_b32_e32 v1, 16, v61
	v_and_b32_e32 v61, 0xffff, v61
	;;#ASMSTART
	v_cvt_f32_f16 v57, v34;
	;;#ASMEND
	;;#ASMSTART
	v_cvt_f32_f16 v58, v36;
	;;#ASMEND
	;; [unrolled: 3-line block ×4, first 2 shown]
	v_and_b32_e32 v28, 0xffff, v62
	v_lshrrev_b32_e32 v29, 16, v62
	v_and_b32_e32 v34, 0xffff, v30
	;;#ASMSTART
	v_cvt_f32_f16 v61, v61;
	;;#ASMEND
	;;#ASMSTART
	v_cvt_f32_f16 v1, v1;
	;;#ASMEND
	;;#ASMSTART
	v_cvt_f32_f16 v66, v64;
	;;#ASMEND
	;;#ASMSTART
	v_cvt_f32_f16 v30, v8;
	;;#ASMEND
	;;#ASMSTART
	v_cvt_f32_f16 v8, v28;
	;;#ASMEND
	;;#ASMSTART
	v_cvt_f32_f16 v28, v29;
	;;#ASMEND
	;;#ASMSTART
	v_cvt_f32_f16 v29, v34;
	;;#ASMEND
	v_and_b32_e32 v34, 0xffff, v63
	v_lshrrev_b32_e32 v36, 16, v63
	v_and_b32_e32 v62, 0xffff, v32
	v_and_b32_e32 v63, 0xffff, v33
	;;#ASMSTART
	v_cvt_f32_f16 v31, v31;
	;;#ASMEND
	;;#ASMSTART
	v_cvt_f32_f16 v32, v34;
	;;#ASMEND
	;; [unrolled: 3-line block ×5, first 2 shown]
	ds_read_b128 v[62:65], v2 offset:16
	v_or_b32_e32 v38, v40, v38
	v_fma_mixlo_f16 v67, v27, v44, 0 op_sel_hi:[0,1,0]
	v_fma_mixlo_f16 v44, v27, v40, 0 op_sel:[0,1,0] op_sel_hi:[0,1,0]
	v_or_b32_e32 v39, v41, v39
	v_or_b32_e32 v40, v43, v42
	v_fma_mixlo_f16 v37, v27, v37, 0 op_sel:[0,1,0] op_sel_hi:[0,1,0]
	v_fma_mixlo_f16 v35, v27, v35, 0 op_sel_hi:[0,1,0]
	v_fma_mixlo_f16 v38, v27, v38, 0 op_sel_hi:[0,1,0]
	v_fma_mixlo_f16 v41, v27, v41, 0 op_sel:[0,1,0] op_sel_hi:[0,1,0]
	v_fma_mixlo_f16 v39, v27, v39, 0 op_sel_hi:[0,1,0]
	v_fma_mixlo_f16 v42, v27, v40, 0 op_sel_hi:[0,1,0]
	v_fma_mixlo_f16 v43, v27, v43, 0 op_sel:[0,1,0] op_sel_hi:[0,1,0]
	v_and_b32_e32 v35, 0xffff, v35
	v_and_b32_e32 v37, 0xffff, v37
	;; [unrolled: 1-line block ×3, first 2 shown]
	v_or_b32_e32 v46, v49, v46
	v_or_b32_e32 v48, v47, v48
	;; [unrolled: 1-line block ×3, first 2 shown]
	v_fma_mixlo_f16 v45, v27, v45, 0 op_sel:[0,1,0] op_sel_hi:[0,1,0]
	s_waitcnt lgkmcnt(0)
	v_and_b32_e32 v68, 0xffff, v62
	v_lshrrev_b32_e32 v40, 16, v62
	;;#ASMSTART
	v_cvt_f32_f16 v62, v68;
	;;#ASMEND
	v_and_b32_e32 v69, 0xffff, v63
	v_lshrrev_b32_e32 v70, 16, v63
	;;#ASMSTART
	v_cvt_f32_f16 v63, v40;
	;;#ASMEND
	;;#ASMSTART
	v_cvt_f32_f16 v35, v35;
	;;#ASMEND
	;; [unrolled: 3-line block ×3, first 2 shown]
	v_and_b32_e32 v37, 0xffff, v38
	;;#ASMSTART
	v_cvt_f32_f16 v69, v69;
	;;#ASMEND
	;;#ASMSTART
	v_cvt_f32_f16 v40, v70;
	;;#ASMEND
	v_and_b32_e32 v38, 0xffff, v44
	v_and_b32_e32 v44, 0xffff, v64
	v_lshrrev_b32_e32 v72, 16, v64
	;;#ASMSTART
	v_cvt_f32_f16 v64, v37;
	;;#ASMEND
	v_and_b32_e32 v37, 0xffff, v41
	v_and_b32_e32 v41, 0xffff, v42
	;; [unrolled: 1-line block ×3, first 2 shown]
	;;#ASMSTART
	v_cvt_f32_f16 v70, v38;
	;;#ASMEND
	;;#ASMSTART
	v_cvt_f32_f16 v71, v44;
	;;#ASMEND
	;; [unrolled: 3-line block ×4, first 2 shown]
	v_and_b32_e32 v38, 0xffff, v65
	v_lshrrev_b32_e32 v39, 16, v65
	;;#ASMSTART
	v_cvt_f32_f16 v65, v37;
	;;#ASMEND
	;;#ASMSTART
	v_cvt_f32_f16 v74, v38;
	;;#ASMEND
	;; [unrolled: 3-line block ×5, first 2 shown]
	ds_read_b128 v[41:44], v2 offset:32
	v_or_b32_e32 v38, v54, v52
	v_or_b32_e32 v39, v56, v53
	v_mul_f32_e32 v37, v62, v35
	v_or_b32_e32 v9, v10, v9
	v_fma_mixlo_f16 v49, v27, v49, 0 op_sel:[0,1,0] op_sel_hi:[0,1,0]
	v_fma_mixlo_f16 v53, v27, v38, 0 op_sel_hi:[0,1,0]
	v_fma_mixlo_f16 v38, v27, v39, 0 op_sel_hi:[0,1,0]
	v_mul_f32_e32 v39, v63, v68
	v_fma_mixlo_f16 v46, v27, v46, 0 op_sel_hi:[0,1,0]
	v_fma_mixlo_f16 v47, v27, v47, 0 op_sel:[0,1,0] op_sel_hi:[0,1,0]
	v_fma_mixlo_f16 v48, v27, v48, 0 op_sel_hi:[0,1,0]
	v_fma_mixlo_f16 v51, v27, v51, 0 op_sel_hi:[0,1,0]
	v_fma_mixlo_f16 v50, v27, v50, 0 op_sel:[0,1,0] op_sel_hi:[0,1,0]
	v_fma_mixlo_f16 v52, v27, v54, 0 op_sel:[0,1,0] op_sel_hi:[0,1,0]
	;; [unrolled: 1-line block ×3, first 2 shown]
	v_mul_f32_e32 v10, v69, v64
	v_fma_mixlo_f16 v62, v27, v9, 0 op_sel_hi:[0,1,0]
	v_fma_mixlo_f16 v9, v27, v56, 0 op_sel:[0,1,0] op_sel_hi:[0,1,0]
	v_fmac_f32_e32 v37, v57, v59
	s_waitcnt lgkmcnt(0)
	v_and_b32_e32 v56, 0xffff, v41
	v_fmac_f32_e32 v39, v58, v60
	v_lshrrev_b32_e32 v41, 16, v41
	v_and_b32_e32 v57, 0xffff, v67
	v_and_b32_e32 v58, 0xffff, v45
	;; [unrolled: 1-line block ×3, first 2 shown]
	v_lshrrev_b32_e32 v42, 16, v42
	;;#ASMSTART
	v_cvt_f32_f16 v56, v56;
	;;#ASMEND
	;;#ASMSTART
	v_cvt_f32_f16 v45, v41;
	;;#ASMEND
	;; [unrolled: 3-line block ×6, first 2 shown]
	v_and_b32_e32 v41, 0xffff, v46
	v_and_b32_e32 v42, 0xffff, v49
	;; [unrolled: 1-line block ×3, first 2 shown]
	v_lshrrev_b32_e32 v43, 16, v43
	v_fmac_f32_e32 v10, v61, v66
	v_and_b32_e32 v63, 0xffff, v48
	;;#ASMSTART
	v_cvt_f32_f16 v46, v41;
	;;#ASMEND
	;;#ASMSTART
	v_cvt_f32_f16 v48, v42;
	;;#ASMEND
	;; [unrolled: 3-line block ×4, first 2 shown]
	v_and_b32_e32 v41, 0xffff, v47
	v_and_b32_e32 v42, 0xffff, v44
	v_lshrrev_b32_e32 v43, 16, v44
	v_and_b32_e32 v44, 0xffff, v51
	v_and_b32_e32 v66, 0xffff, v50
	;;#ASMSTART
	v_cvt_f32_f16 v63, v63;
	;;#ASMEND
	;;#ASMSTART
	v_cvt_f32_f16 v47, v41;
	;;#ASMEND
	;; [unrolled: 3-line block ×6, first 2 shown]
	ds_read_b128 v[41:44], v2 offset:48
	v_or_b32_e32 v55, v7, v55
	v_fma_mixlo_f16 v7, v27, v7, 0 op_sel:[0,1,0] op_sel_hi:[0,1,0]
	v_mul_f32_e32 v65, v72, v65
	v_fmac_f32_e32 v37, v56, v57
	v_fmac_f32_e32 v39, v45, v58
	v_fma_mixlo_f16 v55, v27, v55, 0 op_sel_hi:[0,1,0]
	v_mul_f32_e32 v27, v40, v70
	v_mul_f32_e32 v40, v71, v73
	v_fmac_f32_e32 v65, v28, v31
	v_and_b32_e32 v28, 0xffff, v62
	v_fmac_f32_e32 v10, v59, v46
	v_fmac_f32_e32 v27, v1, v30
	;; [unrolled: 1-line block ×3, first 2 shown]
	v_and_b32_e32 v29, 0xffff, v54
	v_and_b32_e32 v30, 0xffff, v53
	v_mul_f32_e32 v67, v74, v76
	v_fmac_f32_e32 v27, v60, v48
	v_fmac_f32_e32 v40, v49, v63
	v_and_b32_e32 v31, 0xffff, v52
	s_waitcnt lgkmcnt(0)
	v_and_b32_e32 v1, 0xffff, v41
	v_lshrrev_b32_e32 v8, 16, v41
	;;#ASMSTART
	v_cvt_f32_f16 v1, v1;
	;;#ASMEND
	;;#ASMSTART
	v_cvt_f32_f16 v8, v8;
	;;#ASMEND
	;;#ASMSTART
	v_cvt_f32_f16 v28, v28;
	;;#ASMEND
	;;#ASMSTART
	v_cvt_f32_f16 v29, v29;
	;;#ASMEND
	v_fmac_f32_e32 v37, v1, v28
	v_fmac_f32_e32 v39, v8, v29
	v_and_b32_e32 v1, 0xffff, v42
	v_lshrrev_b32_e32 v28, 16, v42
	;;#ASMSTART
	v_cvt_f32_f16 v1, v1;
	;;#ASMEND
	;;#ASMSTART
	v_cvt_f32_f16 v8, v28;
	;;#ASMEND
	;; [unrolled: 3-line block ×3, first 2 shown]
	v_fmac_f32_e32 v10, v1, v28
	v_add_f32_e32 v1, v37, v39
	;;#ASMSTART
	v_cvt_f32_f16 v29, v31;
	;;#ASMEND
	v_fmac_f32_e32 v27, v8, v29
	v_and_b32_e32 v8, 0xffff, v43
	v_mul_f32_e32 v68, v75, v77
	v_add_f32_e32 v1, v1, v10
	v_fmac_f32_e32 v67, v32, v34
	v_fmac_f32_e32 v65, v61, v47
	v_lshrrev_b32_e32 v28, 16, v43
	v_and_b32_e32 v29, 0xffff, v38
	v_and_b32_e32 v30, 0xffff, v9
	;;#ASMSTART
	v_cvt_f32_f16 v8, v8;
	;;#ASMEND
	;;#ASMSTART
	v_cvt_f32_f16 v9, v28;
	;;#ASMEND
	;;#ASMSTART
	v_cvt_f32_f16 v10, v29;
	;;#ASMEND
	v_fmac_f32_e32 v40, v8, v10
	v_add_f32_e32 v1, v27, v1
	v_add_nc_u32_e32 v35, v23, v17
	v_fmac_f32_e32 v68, v33, v36
	v_fmac_f32_e32 v67, v50, v64
	;;#ASMSTART
	v_cvt_f32_f16 v28, v30;
	;;#ASMEND
	v_fmac_f32_e32 v65, v9, v28
	v_add_f32_e32 v1, v1, v40
	v_and_b32_e32 v8, 0xffff, v44
	v_lshrrev_b32_e32 v10, 16, v44
	v_cvt_f32_i32_e32 v35, v35
	v_fmac_f32_e32 v68, v51, v66
	v_and_b32_e32 v27, 0xffff, v55
	;;#ASMSTART
	v_cvt_f32_f16 v8, v8;
	;;#ASMEND
	;;#ASMSTART
	v_cvt_f32_f16 v9, v10;
	;;#ASMEND
	;; [unrolled: 3-line block ×3, first 2 shown]
	v_fmac_f32_e32 v67, v8, v10
	v_add_f32_e32 v1, v65, v1
	v_and_b32_e32 v27, 0xffff, v7
	v_mul_f32_e32 v7, s35, v35
	;;#ASMSTART
	v_cvt_f32_f16 v8, v27;
	;;#ASMEND
	v_fmac_f32_e32 v68, v9, v8
	v_add_f32_e32 v1, v1, v67
	v_add_nc_u32_e32 v8, v12, v17
	v_cndmask_b32_e32 v7, 0, v7, vcc_lo
	v_add_f32_e32 v1, v68, v1
	v_cmp_gt_i32_e64 s1, s33, v8
	v_fmac_f32_e32 v7, s3, v1
	v_max_f32_e32 v1, v16, v16
	v_max_f32_e32 v1, v1, v7
	v_cndmask_b32_e64 v7, 0, v7, s1
	v_cndmask_b32_e64 v16, v16, v1, s1
	ds_write_b32 v24, v7
.LBB274_14:                             ;   in Loop: Header=BB274_15 Depth=1
	s_or_b32 exec_lo, exec_lo, s2
	v_add_nc_u32_e32 v26, 4, v26
	v_add_co_u32 v5, s2, v5, 16
	v_add_co_ci_u32_e64 v6, null, 0, v6, s2
	v_cmp_le_i32_e64 s1, s20, v26
	v_add_nc_u32_e32 v17, 0x80, v17
	v_add_nc_u32_e32 v24, 0x200, v24
	s_or_b32 s40, s1, s40
	s_andn2_b32 exec_lo, exec_lo, s40
	s_cbranch_execz .LBB274_271
.LBB274_15:                             ; =>This Inner Loop Header: Depth=1
	v_mul_hi_u32 v1, v17, s19
	v_mul_lo_u32 v7, v1, s16
	v_add_nc_u32_e32 v8, 1, v1
	v_sub_nc_u32_e32 v7, v17, v7
	v_subrev_nc_u32_e32 v9, s16, v7
	v_cmp_le_u32_e64 s1, s16, v7
	v_cndmask_b32_e64 v1, v1, v8, s1
	v_cndmask_b32_e64 v7, v7, v9, s1
	v_add_nc_u32_e32 v8, 1, v1
	v_cmp_le_u32_e64 s1, s16, v7
	v_cndmask_b32_e64 v1, v1, v8, s1
	v_xor_b32_e32 v1, s23, v1
	v_subrev_nc_u32_e32 v1, s23, v1
	v_add_nc_u32_e32 v7, s25, v1
	v_cmp_ge_i32_e64 s2, s37, v1
	v_sub_nc_u32_e32 v8, 0, v7
	v_max_i32_e32 v8, v7, v8
	v_ashrrev_i32_e32 v7, 31, v7
	v_mul_hi_u32 v9, v8, v25
	v_mul_lo_u32 v9, v9, s38
	v_sub_nc_u32_e32 v8, v8, v9
	v_subrev_nc_u32_e32 v9, s38, v8
	v_cmp_le_u32_e64 s1, s38, v8
	v_cndmask_b32_e64 v8, v8, v9, s1
	v_subrev_nc_u32_e32 v9, s38, v8
	v_cmp_le_u32_e64 s1, s38, v8
	v_cndmask_b32_e64 v8, v8, v9, s1
	v_xor_b32_e32 v8, v8, v7
	v_sub_nc_u32_e32 v7, v8, v7
	v_cmp_ne_u32_e64 s1, 0, v7
	s_and_b32 s1, s1, s2
	s_and_saveexec_b32 s2, s1
	s_xor_b32 s1, exec_lo, s2
; %bb.16:                               ;   in Loop: Header=BB274_15 Depth=1
	ds_write_b32 v24, v18
; %bb.17:                               ;   in Loop: Header=BB274_15 Depth=1
	s_andn2_saveexec_b32 s2, s1
	s_cbranch_execz .LBB274_14
; %bb.18:                               ;   in Loop: Header=BB274_15 Depth=1
	global_load_dword v1, v[5:6], off
	v_mov_b32_e32 v28, 0
	v_mov_b32_e32 v29, 0
	global_load_dword v27, v28, s[12:13]
	s_waitcnt vmcnt(1)
	v_mad_i64_i32 v[7:8], null, v1, s39, v[3:4]
	global_load_dwordx2 v[9:10], v[7:8], off
	s_waitcnt vmcnt(0)
	v_cmp_ne_u16_sdwa s1, v9, v2 src0_sel:BYTE_0 src1_sel:DWORD
	s_and_saveexec_b32 s41, s1
	s_cbranch_execz .LBB274_26
; %bb.19:                               ;   in Loop: Header=BB274_15 Depth=1
	v_cmp_ne_u16_sdwa s1, v9, v19 src0_sel:BYTE_0 src1_sel:DWORD
	v_mov_b32_e32 v29, 0x8000
	s_and_saveexec_b32 s42, s1
	s_cbranch_execz .LBB274_25
; %bb.20:                               ;   in Loop: Header=BB274_15 Depth=1
	v_and_b32_e32 v30, 0x7f, v9
	v_mov_b32_e32 v29, 0x7c01
	s_mov_b32 s43, exec_lo
	v_cmpx_ne_u32_e32 0x7f, v30
	s_cbranch_execz .LBB274_24
; %bb.21:                               ;   in Loop: Header=BB274_15 Depth=1
	v_and_b32_e32 v1, 7, v9
	v_lshrrev_b32_e32 v29, 3, v30
	s_mov_b32 s44, exec_lo
	v_cmpx_gt_u32_e32 8, v30
; %bb.22:                               ;   in Loop: Header=BB274_15 Depth=1
	v_ffbh_u32_e32 v1, v1
	v_min_u32_e32 v1, 32, v1
	v_subrev_nc_u32_e32 v29, 28, v1
	v_lshlrev_b64 v[30:31], v29, v[9:10]
	v_sub_nc_u32_e32 v29, 29, v1
	v_and_b32_e32 v1, 7, v30
; %bb.23:                               ;   in Loop: Header=BB274_15 Depth=1
	s_or_b32 exec_lo, exec_lo, s44
	v_lshlrev_b32_e32 v30, 8, v9
	v_lshl_add_u32 v29, v29, 10, 0x2000
	v_lshlrev_b32_e32 v1, 7, v1
	v_and_b32_e32 v30, 0x8000, v30
	v_and_b32_e32 v29, 0xfc00, v29
	v_or3_b32 v29, v30, v29, v1
.LBB274_24:                             ;   in Loop: Header=BB274_15 Depth=1
	s_or_b32 exec_lo, exec_lo, s43
.LBB274_25:                             ;   in Loop: Header=BB274_15 Depth=1
	s_or_b32 exec_lo, exec_lo, s42
.LBB274_26:                             ;   in Loop: Header=BB274_15 Depth=1
	s_or_b32 exec_lo, exec_lo, s41
	v_lshrrev_b16 v1, 8, v9
	s_mov_b32 s41, exec_lo
	v_cmpx_ne_u16_e32 0, v1
	s_cbranch_execz .LBB274_34
; %bb.27:                               ;   in Loop: Header=BB274_15 Depth=1
	v_bfrev_b32_e32 v28, 1
	s_mov_b32 s42, exec_lo
	v_cmpx_ne_u16_e32 0x80, v1
	s_cbranch_execz .LBB274_33
; %bb.28:                               ;   in Loop: Header=BB274_15 Depth=1
	v_and_b32_sdwa v31, v1, v20 dst_sel:DWORD dst_unused:UNUSED_PAD src0_sel:WORD_0 src1_sel:DWORD
	v_mov_b32_e32 v28, 0x7c010000
	s_mov_b32 s43, exec_lo
	v_cmpx_ne_u32_e32 0x7f, v31
	s_cbranch_execz .LBB274_32
; %bb.29:                               ;   in Loop: Header=BB274_15 Depth=1
	v_and_b32_sdwa v28, v1, v21 dst_sel:DWORD dst_unused:UNUSED_PAD src0_sel:WORD_0 src1_sel:DWORD
	v_lshrrev_b32_e32 v30, 3, v31
	s_mov_b32 s44, exec_lo
	v_cmpx_gt_u32_e32 8, v31
; %bb.30:                               ;   in Loop: Header=BB274_15 Depth=1
	v_ffbh_u32_e32 v28, v28
	v_min_u32_e32 v28, 32, v28
	v_subrev_nc_u32_e32 v30, 28, v28
	v_lshlrev_b64 v[31:32], v30, v[1:2]
	v_sub_nc_u32_e32 v30, 29, v28
	v_and_b32_e32 v28, 7, v31
; %bb.31:                               ;   in Loop: Header=BB274_15 Depth=1
	s_or_b32 exec_lo, exec_lo, s44
	v_lshlrev_b32_sdwa v1, v22, v1 dst_sel:DWORD dst_unused:UNUSED_PAD src0_sel:DWORD src1_sel:WORD_0
	v_lshl_add_u32 v30, v30, 10, 0x2000
	v_lshlrev_b32_e32 v28, 23, v28
	v_and_or_b32 v1, 0x8000, v1, v30
	v_lshl_or_b32 v28, v1, 16, v28
.LBB274_32:                             ;   in Loop: Header=BB274_15 Depth=1
	s_or_b32 exec_lo, exec_lo, s43
.LBB274_33:                             ;   in Loop: Header=BB274_15 Depth=1
	s_or_b32 exec_lo, exec_lo, s42
.LBB274_34:                             ;   in Loop: Header=BB274_15 Depth=1
	s_or_b32 exec_lo, exec_lo, s41
	v_lshrrev_b32_e32 v1, 16, v9
	v_mov_b32_e32 v30, 0
	v_mov_b32_e32 v31, 0
	v_cmp_ne_u16_sdwa s1, v1, v2 src0_sel:BYTE_0 src1_sel:DWORD
	s_and_saveexec_b32 s41, s1
	s_cbranch_execz .LBB274_42
; %bb.35:                               ;   in Loop: Header=BB274_15 Depth=1
	v_cmp_ne_u16_sdwa s1, v1, v19 src0_sel:BYTE_0 src1_sel:DWORD
	v_mov_b32_e32 v31, 0x8000
	s_and_saveexec_b32 s42, s1
	s_cbranch_execz .LBB274_41
; %bb.36:                               ;   in Loop: Header=BB274_15 Depth=1
	v_bfe_u32 v33, v9, 16, 7
	v_mov_b32_e32 v31, 0x7c01
	s_mov_b32 s43, exec_lo
	v_cmpx_ne_u32_e32 0x7f, v33
	s_cbranch_execz .LBB274_40
; %bb.37:                               ;   in Loop: Header=BB274_15 Depth=1
	v_and_b32_e32 v31, 7, v1
	v_lshrrev_b32_e32 v32, 3, v33
	s_mov_b32 s44, exec_lo
	v_cmpx_gt_u32_e32 8, v33
; %bb.38:                               ;   in Loop: Header=BB274_15 Depth=1
	v_ffbh_u32_e32 v31, v31
	v_min_u32_e32 v33, 32, v31
	v_subrev_nc_u32_e32 v31, 28, v33
	v_lshlrev_b64 v[31:32], v31, v[1:2]
	v_sub_nc_u32_e32 v32, 29, v33
	v_and_b32_e32 v31, 7, v31
; %bb.39:                               ;   in Loop: Header=BB274_15 Depth=1
	s_or_b32 exec_lo, exec_lo, s44
	v_lshlrev_b32_e32 v1, 8, v1
	v_lshl_add_u32 v32, v32, 10, 0x2000
	v_lshlrev_b32_e32 v31, 7, v31
	v_and_b32_e32 v1, 0x8000, v1
	v_and_b32_e32 v32, 0xfc00, v32
	v_or3_b32 v31, v1, v32, v31
.LBB274_40:                             ;   in Loop: Header=BB274_15 Depth=1
	s_or_b32 exec_lo, exec_lo, s43
.LBB274_41:                             ;   in Loop: Header=BB274_15 Depth=1
	s_or_b32 exec_lo, exec_lo, s42
.LBB274_42:                             ;   in Loop: Header=BB274_15 Depth=1
	s_or_b32 exec_lo, exec_lo, s41
	s_mov_b32 s41, exec_lo
	v_cmpx_lt_u32_e32 0xffffff, v9
	s_cbranch_execz .LBB274_50
; %bb.43:                               ;   in Loop: Header=BB274_15 Depth=1
	v_lshrrev_b32_e32 v1, 24, v9
	v_bfrev_b32_e32 v30, 1
	s_mov_b32 s42, exec_lo
	v_cmpx_ne_u32_e32 0x80, v1
	s_cbranch_execz .LBB274_49
; %bb.44:                               ;   in Loop: Header=BB274_15 Depth=1
	v_and_b32_e32 v33, 0x7f, v1
	v_mov_b32_e32 v30, 0x7c010000
	s_mov_b32 s43, exec_lo
	v_cmpx_ne_u32_e32 0x7f, v33
	s_cbranch_execz .LBB274_48
; %bb.45:                               ;   in Loop: Header=BB274_15 Depth=1
	v_and_b32_e32 v30, 7, v1
	v_lshrrev_b32_e32 v32, 3, v33
	s_mov_b32 s44, exec_lo
	v_cmpx_gt_u32_e32 8, v33
; %bb.46:                               ;   in Loop: Header=BB274_15 Depth=1
	v_ffbh_u32_e32 v30, v30
	v_min_u32_e32 v30, 32, v30
	v_subrev_nc_u32_e32 v32, 28, v30
	v_lshlrev_b64 v[33:34], v32, v[1:2]
	v_sub_nc_u32_e32 v32, 29, v30
	v_and_b32_e32 v30, 7, v33
; %bb.47:                               ;   in Loop: Header=BB274_15 Depth=1
	s_or_b32 exec_lo, exec_lo, s44
	v_lshlrev_b32_e32 v1, 8, v1
	v_lshl_add_u32 v32, v32, 10, 0x2000
	v_lshlrev_b32_e32 v30, 23, v30
	v_and_or_b32 v1, 0x8000, v1, v32
	v_lshl_or_b32 v30, v1, 16, v30
.LBB274_48:                             ;   in Loop: Header=BB274_15 Depth=1
	s_or_b32 exec_lo, exec_lo, s43
.LBB274_49:                             ;   in Loop: Header=BB274_15 Depth=1
	s_or_b32 exec_lo, exec_lo, s42
.LBB274_50:                             ;   in Loop: Header=BB274_15 Depth=1
	s_or_b32 exec_lo, exec_lo, s41
	v_mov_b32_e32 v1, v10
	v_cmp_ne_u16_sdwa s1, v10, v2 src0_sel:BYTE_0 src1_sel:DWORD
	v_mov_b32_e32 v32, 0
	v_mov_b32_e32 v33, 0
	s_and_saveexec_b32 s41, s1
	s_cbranch_execz .LBB274_58
; %bb.51:                               ;   in Loop: Header=BB274_15 Depth=1
	v_cmp_ne_u16_sdwa s1, v10, v19 src0_sel:BYTE_0 src1_sel:DWORD
	v_mov_b32_e32 v33, 0x8000
	s_and_saveexec_b32 s42, s1
	s_cbranch_execz .LBB274_57
; %bb.52:                               ;   in Loop: Header=BB274_15 Depth=1
	v_and_b32_e32 v35, 0x7f, v10
	v_mov_b32_e32 v33, 0x7c01
	s_mov_b32 s43, exec_lo
	v_cmpx_ne_u32_e32 0x7f, v35
	s_cbranch_execz .LBB274_56
; %bb.53:                               ;   in Loop: Header=BB274_15 Depth=1
	v_and_b32_e32 v33, 7, v10
	v_lshrrev_b32_e32 v34, 3, v35
	s_mov_b32 s44, exec_lo
	v_cmpx_gt_u32_e32 8, v35
; %bb.54:                               ;   in Loop: Header=BB274_15 Depth=1
	v_ffbh_u32_e32 v33, v33
	v_min_u32_e32 v35, 32, v33
	v_subrev_nc_u32_e32 v33, 28, v35
	v_lshlrev_b64 v[33:34], v33, v[1:2]
	v_sub_nc_u32_e32 v34, 29, v35
	v_and_b32_e32 v33, 7, v33
; %bb.55:                               ;   in Loop: Header=BB274_15 Depth=1
	s_or_b32 exec_lo, exec_lo, s44
	v_lshlrev_b32_e32 v35, 8, v10
	v_lshl_add_u32 v34, v34, 10, 0x2000
	v_lshlrev_b32_e32 v33, 7, v33
	v_and_b32_e32 v35, 0x8000, v35
	v_and_b32_e32 v34, 0xfc00, v34
	v_or3_b32 v33, v35, v34, v33
.LBB274_56:                             ;   in Loop: Header=BB274_15 Depth=1
	s_or_b32 exec_lo, exec_lo, s43
.LBB274_57:                             ;   in Loop: Header=BB274_15 Depth=1
	s_or_b32 exec_lo, exec_lo, s42
.LBB274_58:                             ;   in Loop: Header=BB274_15 Depth=1
	s_or_b32 exec_lo, exec_lo, s41
	v_lshrrev_b16 v1, 8, v1
	v_mov_b32_e32 v34, 0
	s_mov_b32 s41, exec_lo
	v_cmpx_ne_u16_e32 0, v1
	s_cbranch_execz .LBB274_66
; %bb.59:                               ;   in Loop: Header=BB274_15 Depth=1
	v_bfrev_b32_e32 v34, 1
	s_mov_b32 s42, exec_lo
	v_cmpx_ne_u16_e32 0x80, v1
	s_cbranch_execz .LBB274_65
; %bb.60:                               ;   in Loop: Header=BB274_15 Depth=1
	v_and_b32_sdwa v36, v1, v20 dst_sel:DWORD dst_unused:UNUSED_PAD src0_sel:WORD_0 src1_sel:DWORD
	v_mov_b32_e32 v34, 0x7c010000
	s_mov_b32 s43, exec_lo
	v_cmpx_ne_u32_e32 0x7f, v36
	s_cbranch_execz .LBB274_64
; %bb.61:                               ;   in Loop: Header=BB274_15 Depth=1
	v_and_b32_sdwa v34, v1, v21 dst_sel:DWORD dst_unused:UNUSED_PAD src0_sel:WORD_0 src1_sel:DWORD
	v_lshrrev_b32_e32 v35, 3, v36
	s_mov_b32 s44, exec_lo
	v_cmpx_gt_u32_e32 8, v36
; %bb.62:                               ;   in Loop: Header=BB274_15 Depth=1
	v_ffbh_u32_e32 v34, v34
	v_min_u32_e32 v36, 32, v34
	v_subrev_nc_u32_e32 v34, 28, v36
	v_lshlrev_b64 v[34:35], v34, v[1:2]
	v_sub_nc_u32_e32 v35, 29, v36
	v_and_b32_e32 v34, 7, v34
; %bb.63:                               ;   in Loop: Header=BB274_15 Depth=1
	s_or_b32 exec_lo, exec_lo, s44
	v_lshlrev_b32_sdwa v1, v22, v1 dst_sel:DWORD dst_unused:UNUSED_PAD src0_sel:DWORD src1_sel:WORD_0
	v_lshl_add_u32 v35, v35, 10, 0x2000
	v_lshlrev_b32_e32 v34, 23, v34
	v_and_or_b32 v1, 0x8000, v1, v35
	v_lshl_or_b32 v34, v1, 16, v34
.LBB274_64:                             ;   in Loop: Header=BB274_15 Depth=1
	s_or_b32 exec_lo, exec_lo, s43
.LBB274_65:                             ;   in Loop: Header=BB274_15 Depth=1
	s_or_b32 exec_lo, exec_lo, s42
.LBB274_66:                             ;   in Loop: Header=BB274_15 Depth=1
	s_or_b32 exec_lo, exec_lo, s41
	v_lshrrev_b32_e32 v1, 16, v10
	v_cmp_ne_u16_sdwa s1, v1, v2 src0_sel:BYTE_0 src1_sel:DWORD
	s_and_saveexec_b32 s41, s1
	s_cbranch_execz .LBB274_74
; %bb.67:                               ;   in Loop: Header=BB274_15 Depth=1
	v_cmp_ne_u16_sdwa s1, v1, v19 src0_sel:BYTE_0 src1_sel:DWORD
	v_mov_b32_e32 v32, 0x8000
	s_and_saveexec_b32 s42, s1
	s_cbranch_execz .LBB274_73
; %bb.68:                               ;   in Loop: Header=BB274_15 Depth=1
	v_bfe_u32 v36, v10, 16, 7
	v_mov_b32_e32 v32, 0x7c01
	s_mov_b32 s43, exec_lo
	v_cmpx_ne_u32_e32 0x7f, v36
	s_cbranch_execz .LBB274_72
; %bb.69:                               ;   in Loop: Header=BB274_15 Depth=1
	v_and_b32_e32 v32, 7, v1
	v_lshrrev_b32_e32 v35, 3, v36
	s_mov_b32 s44, exec_lo
	v_cmpx_gt_u32_e32 8, v36
; %bb.70:                               ;   in Loop: Header=BB274_15 Depth=1
	v_ffbh_u32_e32 v32, v32
	v_min_u32_e32 v32, 32, v32
	v_subrev_nc_u32_e32 v35, 28, v32
	v_lshlrev_b64 v[36:37], v35, v[1:2]
	v_sub_nc_u32_e32 v35, 29, v32
	v_and_b32_e32 v32, 7, v36
; %bb.71:                               ;   in Loop: Header=BB274_15 Depth=1
	s_or_b32 exec_lo, exec_lo, s44
	v_lshlrev_b32_e32 v1, 8, v1
	v_lshl_add_u32 v35, v35, 10, 0x2000
	v_lshlrev_b32_e32 v32, 7, v32
	v_and_b32_e32 v1, 0x8000, v1
	v_and_b32_e32 v35, 0xfc00, v35
	v_or3_b32 v32, v1, v35, v32
.LBB274_72:                             ;   in Loop: Header=BB274_15 Depth=1
	s_or_b32 exec_lo, exec_lo, s43
.LBB274_73:                             ;   in Loop: Header=BB274_15 Depth=1
	s_or_b32 exec_lo, exec_lo, s42
.LBB274_74:                             ;   in Loop: Header=BB274_15 Depth=1
	s_or_b32 exec_lo, exec_lo, s41
	v_mov_b32_e32 v35, 0
	v_mov_b32_e32 v36, 0
	s_mov_b32 s41, exec_lo
	v_cmpx_lt_u64_e64 s[4:5], v[9:10]
	s_cbranch_execz .LBB274_82
; %bb.75:                               ;   in Loop: Header=BB274_15 Depth=1
	v_lshrrev_b32_e32 v1, 24, v10
	v_bfrev_b32_e32 v36, 1
	s_mov_b32 s42, exec_lo
	v_cmpx_ne_u32_e32 0x80, v1
	s_cbranch_execz .LBB274_81
; %bb.76:                               ;   in Loop: Header=BB274_15 Depth=1
	v_and_b32_e32 v37, 0x7f, v1
	v_mov_b32_e32 v36, 0x7c010000
	s_mov_b32 s43, exec_lo
	v_cmpx_ne_u32_e32 0x7f, v37
	s_cbranch_execz .LBB274_80
; %bb.77:                               ;   in Loop: Header=BB274_15 Depth=1
	v_and_b32_e32 v9, 7, v1
	v_lshrrev_b32_e32 v10, 3, v37
	s_mov_b32 s44, exec_lo
	v_cmpx_gt_u32_e32 8, v37
; %bb.78:                               ;   in Loop: Header=BB274_15 Depth=1
	v_ffbh_u32_e32 v9, v9
	v_min_u32_e32 v36, 32, v9
	v_subrev_nc_u32_e32 v9, 28, v36
	v_lshlrev_b64 v[9:10], v9, v[1:2]
	v_sub_nc_u32_e32 v10, 29, v36
	v_and_b32_e32 v9, 7, v9
; %bb.79:                               ;   in Loop: Header=BB274_15 Depth=1
	s_or_b32 exec_lo, exec_lo, s44
	v_lshlrev_b32_e32 v1, 8, v1
	v_lshl_add_u32 v10, v10, 10, 0x2000
	v_lshlrev_b32_e32 v9, 23, v9
	v_and_or_b32 v1, 0x8000, v1, v10
	v_lshl_or_b32 v36, v1, 16, v9
.LBB274_80:                             ;   in Loop: Header=BB274_15 Depth=1
	s_or_b32 exec_lo, exec_lo, s43
.LBB274_81:                             ;   in Loop: Header=BB274_15 Depth=1
	s_or_b32 exec_lo, exec_lo, s42
.LBB274_82:                             ;   in Loop: Header=BB274_15 Depth=1
	s_or_b32 exec_lo, exec_lo, s41
	global_load_dwordx2 v[9:10], v[7:8], off offset:8
	s_waitcnt vmcnt(0)
	v_cmp_ne_u16_sdwa s1, v9, v2 src0_sel:BYTE_0 src1_sel:DWORD
	s_and_saveexec_b32 s41, s1
	s_cbranch_execz .LBB274_90
; %bb.83:                               ;   in Loop: Header=BB274_15 Depth=1
	v_cmp_ne_u16_sdwa s1, v9, v19 src0_sel:BYTE_0 src1_sel:DWORD
	v_mov_b32_e32 v35, 0x8000
	s_and_saveexec_b32 s42, s1
	s_cbranch_execz .LBB274_89
; %bb.84:                               ;   in Loop: Header=BB274_15 Depth=1
	v_and_b32_e32 v37, 0x7f, v9
	v_mov_b32_e32 v35, 0x7c01
	s_mov_b32 s43, exec_lo
	v_cmpx_ne_u32_e32 0x7f, v37
	s_cbranch_execz .LBB274_88
; %bb.85:                               ;   in Loop: Header=BB274_15 Depth=1
	v_and_b32_e32 v1, 7, v9
	v_lshrrev_b32_e32 v35, 3, v37
	s_mov_b32 s44, exec_lo
	v_cmpx_gt_u32_e32 8, v37
; %bb.86:                               ;   in Loop: Header=BB274_15 Depth=1
	v_ffbh_u32_e32 v1, v1
	v_min_u32_e32 v1, 32, v1
	v_subrev_nc_u32_e32 v35, 28, v1
	v_lshlrev_b64 v[37:38], v35, v[9:10]
	v_sub_nc_u32_e32 v35, 29, v1
	v_and_b32_e32 v1, 7, v37
; %bb.87:                               ;   in Loop: Header=BB274_15 Depth=1
	s_or_b32 exec_lo, exec_lo, s44
	v_lshlrev_b32_e32 v37, 8, v9
	v_lshl_add_u32 v35, v35, 10, 0x2000
	v_lshlrev_b32_e32 v1, 7, v1
	v_and_b32_e32 v37, 0x8000, v37
	v_and_b32_e32 v35, 0xfc00, v35
	v_or3_b32 v35, v37, v35, v1
.LBB274_88:                             ;   in Loop: Header=BB274_15 Depth=1
	s_or_b32 exec_lo, exec_lo, s43
.LBB274_89:                             ;   in Loop: Header=BB274_15 Depth=1
	s_or_b32 exec_lo, exec_lo, s42
.LBB274_90:                             ;   in Loop: Header=BB274_15 Depth=1
	s_or_b32 exec_lo, exec_lo, s41
	v_lshrrev_b16 v1, 8, v9
	v_mov_b32_e32 v38, 0
	v_mov_b32_e32 v37, 0
	s_mov_b32 s41, exec_lo
	v_cmpx_ne_u16_e32 0, v1
	s_cbranch_execz .LBB274_98
; %bb.91:                               ;   in Loop: Header=BB274_15 Depth=1
	v_bfrev_b32_e32 v37, 1
	s_mov_b32 s42, exec_lo
	v_cmpx_ne_u16_e32 0x80, v1
	s_cbranch_execz .LBB274_97
; %bb.92:                               ;   in Loop: Header=BB274_15 Depth=1
	v_and_b32_sdwa v40, v1, v20 dst_sel:DWORD dst_unused:UNUSED_PAD src0_sel:WORD_0 src1_sel:DWORD
	v_mov_b32_e32 v37, 0x7c010000
	s_mov_b32 s43, exec_lo
	v_cmpx_ne_u32_e32 0x7f, v40
	s_cbranch_execz .LBB274_96
; %bb.93:                               ;   in Loop: Header=BB274_15 Depth=1
	v_and_b32_sdwa v37, v1, v21 dst_sel:DWORD dst_unused:UNUSED_PAD src0_sel:WORD_0 src1_sel:DWORD
	v_lshrrev_b32_e32 v39, 3, v40
	s_mov_b32 s44, exec_lo
	v_cmpx_gt_u32_e32 8, v40
; %bb.94:                               ;   in Loop: Header=BB274_15 Depth=1
	v_ffbh_u32_e32 v37, v37
	v_min_u32_e32 v37, 32, v37
	v_subrev_nc_u32_e32 v39, 28, v37
	v_lshlrev_b64 v[40:41], v39, v[1:2]
	v_sub_nc_u32_e32 v39, 29, v37
	v_and_b32_e32 v37, 7, v40
; %bb.95:                               ;   in Loop: Header=BB274_15 Depth=1
	s_or_b32 exec_lo, exec_lo, s44
	v_lshlrev_b32_sdwa v1, v22, v1 dst_sel:DWORD dst_unused:UNUSED_PAD src0_sel:DWORD src1_sel:WORD_0
	v_lshl_add_u32 v39, v39, 10, 0x2000
	v_lshlrev_b32_e32 v37, 23, v37
	v_and_or_b32 v1, 0x8000, v1, v39
	v_lshl_or_b32 v37, v1, 16, v37
.LBB274_96:                             ;   in Loop: Header=BB274_15 Depth=1
	s_or_b32 exec_lo, exec_lo, s43
.LBB274_97:                             ;   in Loop: Header=BB274_15 Depth=1
	s_or_b32 exec_lo, exec_lo, s42
.LBB274_98:                             ;   in Loop: Header=BB274_15 Depth=1
	s_or_b32 exec_lo, exec_lo, s41
	v_lshrrev_b32_e32 v1, 16, v9
	v_cmp_ne_u16_sdwa s1, v1, v2 src0_sel:BYTE_0 src1_sel:DWORD
	s_and_saveexec_b32 s41, s1
	s_cbranch_execz .LBB274_106
; %bb.99:                               ;   in Loop: Header=BB274_15 Depth=1
	v_cmp_ne_u16_sdwa s1, v1, v19 src0_sel:BYTE_0 src1_sel:DWORD
	v_mov_b32_e32 v38, 0x8000
	s_and_saveexec_b32 s42, s1
	s_cbranch_execz .LBB274_105
; %bb.100:                              ;   in Loop: Header=BB274_15 Depth=1
	v_bfe_u32 v40, v9, 16, 7
	v_mov_b32_e32 v38, 0x7c01
	s_mov_b32 s43, exec_lo
	v_cmpx_ne_u32_e32 0x7f, v40
	s_cbranch_execz .LBB274_104
; %bb.101:                              ;   in Loop: Header=BB274_15 Depth=1
	v_and_b32_e32 v38, 7, v1
	v_lshrrev_b32_e32 v39, 3, v40
	s_mov_b32 s44, exec_lo
	v_cmpx_gt_u32_e32 8, v40
; %bb.102:                              ;   in Loop: Header=BB274_15 Depth=1
	v_ffbh_u32_e32 v38, v38
	v_min_u32_e32 v40, 32, v38
	v_subrev_nc_u32_e32 v38, 28, v40
	v_lshlrev_b64 v[38:39], v38, v[1:2]
	v_sub_nc_u32_e32 v39, 29, v40
	v_and_b32_e32 v38, 7, v38
; %bb.103:                              ;   in Loop: Header=BB274_15 Depth=1
	s_or_b32 exec_lo, exec_lo, s44
	v_lshlrev_b32_e32 v1, 8, v1
	v_lshl_add_u32 v39, v39, 10, 0x2000
	v_lshlrev_b32_e32 v38, 7, v38
	v_and_b32_e32 v1, 0x8000, v1
	v_and_b32_e32 v39, 0xfc00, v39
	v_or3_b32 v38, v1, v39, v38
.LBB274_104:                            ;   in Loop: Header=BB274_15 Depth=1
	s_or_b32 exec_lo, exec_lo, s43
.LBB274_105:                            ;   in Loop: Header=BB274_15 Depth=1
	s_or_b32 exec_lo, exec_lo, s42
.LBB274_106:                            ;   in Loop: Header=BB274_15 Depth=1
	s_or_b32 exec_lo, exec_lo, s41
	v_mov_b32_e32 v39, 0
	v_mov_b32_e32 v40, 0
	s_mov_b32 s41, exec_lo
	v_cmpx_lt_u32_e32 0xffffff, v9
	s_cbranch_execz .LBB274_114
; %bb.107:                              ;   in Loop: Header=BB274_15 Depth=1
	v_lshrrev_b32_e32 v1, 24, v9
	v_bfrev_b32_e32 v40, 1
	s_mov_b32 s42, exec_lo
	v_cmpx_ne_u32_e32 0x80, v1
	s_cbranch_execz .LBB274_113
; %bb.108:                              ;   in Loop: Header=BB274_15 Depth=1
	v_and_b32_e32 v42, 0x7f, v1
	v_mov_b32_e32 v40, 0x7c010000
	s_mov_b32 s43, exec_lo
	v_cmpx_ne_u32_e32 0x7f, v42
	s_cbranch_execz .LBB274_112
; %bb.109:                              ;   in Loop: Header=BB274_15 Depth=1
	v_and_b32_e32 v40, 7, v1
	v_lshrrev_b32_e32 v41, 3, v42
	s_mov_b32 s44, exec_lo
	v_cmpx_gt_u32_e32 8, v42
; %bb.110:                              ;   in Loop: Header=BB274_15 Depth=1
	v_ffbh_u32_e32 v40, v40
	v_min_u32_e32 v42, 32, v40
	v_subrev_nc_u32_e32 v40, 28, v42
	v_lshlrev_b64 v[40:41], v40, v[1:2]
	v_sub_nc_u32_e32 v41, 29, v42
	v_and_b32_e32 v40, 7, v40
; %bb.111:                              ;   in Loop: Header=BB274_15 Depth=1
	s_or_b32 exec_lo, exec_lo, s44
	v_lshlrev_b32_e32 v1, 8, v1
	v_lshl_add_u32 v41, v41, 10, 0x2000
	v_lshlrev_b32_e32 v40, 23, v40
	v_and_or_b32 v1, 0x8000, v1, v41
	v_lshl_or_b32 v40, v1, 16, v40
.LBB274_112:                            ;   in Loop: Header=BB274_15 Depth=1
	s_or_b32 exec_lo, exec_lo, s43
.LBB274_113:                            ;   in Loop: Header=BB274_15 Depth=1
	s_or_b32 exec_lo, exec_lo, s42
.LBB274_114:                            ;   in Loop: Header=BB274_15 Depth=1
	s_or_b32 exec_lo, exec_lo, s41
	v_mov_b32_e32 v1, v10
	v_cmp_ne_u16_sdwa s1, v10, v2 src0_sel:BYTE_0 src1_sel:DWORD
	s_and_saveexec_b32 s41, s1
	s_cbranch_execz .LBB274_122
; %bb.115:                              ;   in Loop: Header=BB274_15 Depth=1
	v_cmp_ne_u16_sdwa s1, v10, v19 src0_sel:BYTE_0 src1_sel:DWORD
	v_mov_b32_e32 v39, 0x8000
	s_and_saveexec_b32 s42, s1
	s_cbranch_execz .LBB274_121
; %bb.116:                              ;   in Loop: Header=BB274_15 Depth=1
	v_and_b32_e32 v42, 0x7f, v10
	v_mov_b32_e32 v39, 0x7c01
	s_mov_b32 s43, exec_lo
	v_cmpx_ne_u32_e32 0x7f, v42
	s_cbranch_execz .LBB274_120
; %bb.117:                              ;   in Loop: Header=BB274_15 Depth=1
	v_and_b32_e32 v39, 7, v10
	v_lshrrev_b32_e32 v41, 3, v42
	s_mov_b32 s44, exec_lo
	v_cmpx_gt_u32_e32 8, v42
; %bb.118:                              ;   in Loop: Header=BB274_15 Depth=1
	v_ffbh_u32_e32 v39, v39
	v_min_u32_e32 v39, 32, v39
	v_subrev_nc_u32_e32 v41, 28, v39
	v_lshlrev_b64 v[42:43], v41, v[1:2]
	v_sub_nc_u32_e32 v41, 29, v39
	v_and_b32_e32 v39, 7, v42
; %bb.119:                              ;   in Loop: Header=BB274_15 Depth=1
	s_or_b32 exec_lo, exec_lo, s44
	v_lshlrev_b32_e32 v42, 8, v10
	v_lshl_add_u32 v41, v41, 10, 0x2000
	v_lshlrev_b32_e32 v39, 7, v39
	v_and_b32_e32 v42, 0x8000, v42
	v_and_b32_e32 v41, 0xfc00, v41
	v_or3_b32 v39, v42, v41, v39
.LBB274_120:                            ;   in Loop: Header=BB274_15 Depth=1
	s_or_b32 exec_lo, exec_lo, s43
.LBB274_121:                            ;   in Loop: Header=BB274_15 Depth=1
	s_or_b32 exec_lo, exec_lo, s42
.LBB274_122:                            ;   in Loop: Header=BB274_15 Depth=1
	s_or_b32 exec_lo, exec_lo, s41
	v_lshrrev_b16 v1, 8, v1
	v_mov_b32_e32 v42, 0
	v_mov_b32_e32 v41, 0
	s_mov_b32 s41, exec_lo
	v_cmpx_ne_u16_e32 0, v1
	s_cbranch_execz .LBB274_130
; %bb.123:                              ;   in Loop: Header=BB274_15 Depth=1
	v_bfrev_b32_e32 v41, 1
	s_mov_b32 s42, exec_lo
	v_cmpx_ne_u16_e32 0x80, v1
	s_cbranch_execz .LBB274_129
; %bb.124:                              ;   in Loop: Header=BB274_15 Depth=1
	v_and_b32_sdwa v44, v1, v20 dst_sel:DWORD dst_unused:UNUSED_PAD src0_sel:WORD_0 src1_sel:DWORD
	v_mov_b32_e32 v41, 0x7c010000
	s_mov_b32 s43, exec_lo
	v_cmpx_ne_u32_e32 0x7f, v44
	s_cbranch_execz .LBB274_128
; %bb.125:                              ;   in Loop: Header=BB274_15 Depth=1
	v_and_b32_sdwa v41, v1, v21 dst_sel:DWORD dst_unused:UNUSED_PAD src0_sel:WORD_0 src1_sel:DWORD
	v_lshrrev_b32_e32 v43, 3, v44
	s_mov_b32 s44, exec_lo
	v_cmpx_gt_u32_e32 8, v44
; %bb.126:                              ;   in Loop: Header=BB274_15 Depth=1
	v_ffbh_u32_e32 v41, v41
	v_min_u32_e32 v41, 32, v41
	v_subrev_nc_u32_e32 v43, 28, v41
	v_lshlrev_b64 v[44:45], v43, v[1:2]
	v_sub_nc_u32_e32 v43, 29, v41
	v_and_b32_e32 v41, 7, v44
; %bb.127:                              ;   in Loop: Header=BB274_15 Depth=1
	s_or_b32 exec_lo, exec_lo, s44
	v_lshlrev_b32_sdwa v1, v22, v1 dst_sel:DWORD dst_unused:UNUSED_PAD src0_sel:DWORD src1_sel:WORD_0
	v_lshl_add_u32 v43, v43, 10, 0x2000
	v_lshlrev_b32_e32 v41, 23, v41
	v_and_or_b32 v1, 0x8000, v1, v43
	v_lshl_or_b32 v41, v1, 16, v41
.LBB274_128:                            ;   in Loop: Header=BB274_15 Depth=1
	s_or_b32 exec_lo, exec_lo, s43
.LBB274_129:                            ;   in Loop: Header=BB274_15 Depth=1
	s_or_b32 exec_lo, exec_lo, s42
.LBB274_130:                            ;   in Loop: Header=BB274_15 Depth=1
	s_or_b32 exec_lo, exec_lo, s41
	v_lshrrev_b32_e32 v1, 16, v10
	v_cmp_ne_u16_sdwa s1, v1, v2 src0_sel:BYTE_0 src1_sel:DWORD
	s_and_saveexec_b32 s41, s1
	s_cbranch_execz .LBB274_138
; %bb.131:                              ;   in Loop: Header=BB274_15 Depth=1
	v_cmp_ne_u16_sdwa s1, v1, v19 src0_sel:BYTE_0 src1_sel:DWORD
	v_mov_b32_e32 v42, 0x8000
	s_and_saveexec_b32 s42, s1
	s_cbranch_execz .LBB274_137
; %bb.132:                              ;   in Loop: Header=BB274_15 Depth=1
	v_bfe_u32 v44, v10, 16, 7
	v_mov_b32_e32 v42, 0x7c01
	s_mov_b32 s43, exec_lo
	v_cmpx_ne_u32_e32 0x7f, v44
	s_cbranch_execz .LBB274_136
; %bb.133:                              ;   in Loop: Header=BB274_15 Depth=1
	v_and_b32_e32 v42, 7, v1
	v_lshrrev_b32_e32 v43, 3, v44
	s_mov_b32 s44, exec_lo
	v_cmpx_gt_u32_e32 8, v44
; %bb.134:                              ;   in Loop: Header=BB274_15 Depth=1
	v_ffbh_u32_e32 v42, v42
	v_min_u32_e32 v44, 32, v42
	v_subrev_nc_u32_e32 v42, 28, v44
	v_lshlrev_b64 v[42:43], v42, v[1:2]
	v_sub_nc_u32_e32 v43, 29, v44
	v_and_b32_e32 v42, 7, v42
; %bb.135:                              ;   in Loop: Header=BB274_15 Depth=1
	s_or_b32 exec_lo, exec_lo, s44
	v_lshlrev_b32_e32 v1, 8, v1
	v_lshl_add_u32 v43, v43, 10, 0x2000
	v_lshlrev_b32_e32 v42, 7, v42
	v_and_b32_e32 v1, 0x8000, v1
	v_and_b32_e32 v43, 0xfc00, v43
	v_or3_b32 v42, v1, v43, v42
.LBB274_136:                            ;   in Loop: Header=BB274_15 Depth=1
	s_or_b32 exec_lo, exec_lo, s43
.LBB274_137:                            ;   in Loop: Header=BB274_15 Depth=1
	s_or_b32 exec_lo, exec_lo, s42
.LBB274_138:                            ;   in Loop: Header=BB274_15 Depth=1
	s_or_b32 exec_lo, exec_lo, s41
	v_mov_b32_e32 v44, 0
	v_mov_b32_e32 v43, 0
	s_mov_b32 s41, exec_lo
	v_cmpx_lt_u64_e64 s[4:5], v[9:10]
	s_cbranch_execz .LBB274_146
; %bb.139:                              ;   in Loop: Header=BB274_15 Depth=1
	v_lshrrev_b32_e32 v1, 24, v10
	v_bfrev_b32_e32 v43, 1
	s_mov_b32 s42, exec_lo
	v_cmpx_ne_u32_e32 0x80, v1
	s_cbranch_execz .LBB274_145
; %bb.140:                              ;   in Loop: Header=BB274_15 Depth=1
	v_and_b32_e32 v45, 0x7f, v1
	v_mov_b32_e32 v43, 0x7c010000
	s_mov_b32 s43, exec_lo
	v_cmpx_ne_u32_e32 0x7f, v45
	s_cbranch_execz .LBB274_144
; %bb.141:                              ;   in Loop: Header=BB274_15 Depth=1
	v_and_b32_e32 v9, 7, v1
	v_lshrrev_b32_e32 v10, 3, v45
	s_mov_b32 s44, exec_lo
	v_cmpx_gt_u32_e32 8, v45
; %bb.142:                              ;   in Loop: Header=BB274_15 Depth=1
	v_ffbh_u32_e32 v9, v9
	v_min_u32_e32 v43, 32, v9
	v_subrev_nc_u32_e32 v9, 28, v43
	v_lshlrev_b64 v[9:10], v9, v[1:2]
	v_sub_nc_u32_e32 v10, 29, v43
	v_and_b32_e32 v9, 7, v9
; %bb.143:                              ;   in Loop: Header=BB274_15 Depth=1
	s_or_b32 exec_lo, exec_lo, s44
	v_lshlrev_b32_e32 v1, 8, v1
	v_lshl_add_u32 v10, v10, 10, 0x2000
	v_lshlrev_b32_e32 v9, 23, v9
	v_and_or_b32 v1, 0x8000, v1, v10
	v_lshl_or_b32 v43, v1, 16, v9
.LBB274_144:                            ;   in Loop: Header=BB274_15 Depth=1
	s_or_b32 exec_lo, exec_lo, s43
.LBB274_145:                            ;   in Loop: Header=BB274_15 Depth=1
	s_or_b32 exec_lo, exec_lo, s42
.LBB274_146:                            ;   in Loop: Header=BB274_15 Depth=1
	s_or_b32 exec_lo, exec_lo, s41
	global_load_dwordx2 v[9:10], v[7:8], off offset:512
	s_waitcnt vmcnt(0)
	v_cmp_ne_u16_sdwa s1, v9, v2 src0_sel:BYTE_0 src1_sel:DWORD
	s_and_saveexec_b32 s41, s1
	s_cbranch_execz .LBB274_154
; %bb.147:                              ;   in Loop: Header=BB274_15 Depth=1
	v_cmp_ne_u16_sdwa s1, v9, v19 src0_sel:BYTE_0 src1_sel:DWORD
	v_mov_b32_e32 v44, 0x8000
	s_and_saveexec_b32 s42, s1
	s_cbranch_execz .LBB274_153
; %bb.148:                              ;   in Loop: Header=BB274_15 Depth=1
	v_and_b32_e32 v45, 0x7f, v9
	v_mov_b32_e32 v44, 0x7c01
	s_mov_b32 s43, exec_lo
	v_cmpx_ne_u32_e32 0x7f, v45
	s_cbranch_execz .LBB274_152
; %bb.149:                              ;   in Loop: Header=BB274_15 Depth=1
	v_and_b32_e32 v1, 7, v9
	v_lshrrev_b32_e32 v44, 3, v45
	s_mov_b32 s44, exec_lo
	v_cmpx_gt_u32_e32 8, v45
; %bb.150:                              ;   in Loop: Header=BB274_15 Depth=1
	v_ffbh_u32_e32 v1, v1
	v_min_u32_e32 v1, 32, v1
	v_subrev_nc_u32_e32 v44, 28, v1
	v_lshlrev_b64 v[45:46], v44, v[9:10]
	v_sub_nc_u32_e32 v44, 29, v1
	v_and_b32_e32 v1, 7, v45
; %bb.151:                              ;   in Loop: Header=BB274_15 Depth=1
	s_or_b32 exec_lo, exec_lo, s44
	v_lshlrev_b32_e32 v45, 8, v9
	v_lshl_add_u32 v44, v44, 10, 0x2000
	v_lshlrev_b32_e32 v1, 7, v1
	v_and_b32_e32 v45, 0x8000, v45
	v_and_b32_e32 v44, 0xfc00, v44
	v_or3_b32 v44, v45, v44, v1
.LBB274_152:                            ;   in Loop: Header=BB274_15 Depth=1
	s_or_b32 exec_lo, exec_lo, s43
.LBB274_153:                            ;   in Loop: Header=BB274_15 Depth=1
	s_or_b32 exec_lo, exec_lo, s42
.LBB274_154:                            ;   in Loop: Header=BB274_15 Depth=1
	s_or_b32 exec_lo, exec_lo, s41
	v_lshrrev_b16 v1, 8, v9
	v_mov_b32_e32 v46, 0
	v_mov_b32_e32 v45, 0
	s_mov_b32 s41, exec_lo
	v_cmpx_ne_u16_e32 0, v1
	s_cbranch_execz .LBB274_162
; %bb.155:                              ;   in Loop: Header=BB274_15 Depth=1
	v_bfrev_b32_e32 v45, 1
	s_mov_b32 s42, exec_lo
	v_cmpx_ne_u16_e32 0x80, v1
	s_cbranch_execz .LBB274_161
; %bb.156:                              ;   in Loop: Header=BB274_15 Depth=1
	v_and_b32_sdwa v48, v1, v20 dst_sel:DWORD dst_unused:UNUSED_PAD src0_sel:WORD_0 src1_sel:DWORD
	v_mov_b32_e32 v45, 0x7c010000
	s_mov_b32 s43, exec_lo
	v_cmpx_ne_u32_e32 0x7f, v48
	s_cbranch_execz .LBB274_160
; %bb.157:                              ;   in Loop: Header=BB274_15 Depth=1
	v_and_b32_sdwa v45, v1, v21 dst_sel:DWORD dst_unused:UNUSED_PAD src0_sel:WORD_0 src1_sel:DWORD
	v_lshrrev_b32_e32 v47, 3, v48
	s_mov_b32 s44, exec_lo
	v_cmpx_gt_u32_e32 8, v48
; %bb.158:                              ;   in Loop: Header=BB274_15 Depth=1
	v_ffbh_u32_e32 v45, v45
	v_min_u32_e32 v45, 32, v45
	v_subrev_nc_u32_e32 v47, 28, v45
	v_lshlrev_b64 v[48:49], v47, v[1:2]
	v_sub_nc_u32_e32 v47, 29, v45
	v_and_b32_e32 v45, 7, v48
; %bb.159:                              ;   in Loop: Header=BB274_15 Depth=1
	s_or_b32 exec_lo, exec_lo, s44
	v_lshlrev_b32_sdwa v1, v22, v1 dst_sel:DWORD dst_unused:UNUSED_PAD src0_sel:DWORD src1_sel:WORD_0
	v_lshl_add_u32 v47, v47, 10, 0x2000
	v_lshlrev_b32_e32 v45, 23, v45
	v_and_or_b32 v1, 0x8000, v1, v47
	v_lshl_or_b32 v45, v1, 16, v45
.LBB274_160:                            ;   in Loop: Header=BB274_15 Depth=1
	s_or_b32 exec_lo, exec_lo, s43
.LBB274_161:                            ;   in Loop: Header=BB274_15 Depth=1
	s_or_b32 exec_lo, exec_lo, s42
.LBB274_162:                            ;   in Loop: Header=BB274_15 Depth=1
	s_or_b32 exec_lo, exec_lo, s41
	v_lshrrev_b32_e32 v1, 16, v9
	v_cmp_ne_u16_sdwa s1, v1, v2 src0_sel:BYTE_0 src1_sel:DWORD
	s_and_saveexec_b32 s41, s1
	s_cbranch_execz .LBB274_170
; %bb.163:                              ;   in Loop: Header=BB274_15 Depth=1
	v_cmp_ne_u16_sdwa s1, v1, v19 src0_sel:BYTE_0 src1_sel:DWORD
	v_mov_b32_e32 v46, 0x8000
	s_and_saveexec_b32 s42, s1
	s_cbranch_execz .LBB274_169
; %bb.164:                              ;   in Loop: Header=BB274_15 Depth=1
	v_bfe_u32 v48, v9, 16, 7
	v_mov_b32_e32 v46, 0x7c01
	s_mov_b32 s43, exec_lo
	v_cmpx_ne_u32_e32 0x7f, v48
	s_cbranch_execz .LBB274_168
; %bb.165:                              ;   in Loop: Header=BB274_15 Depth=1
	v_and_b32_e32 v46, 7, v1
	v_lshrrev_b32_e32 v47, 3, v48
	s_mov_b32 s44, exec_lo
	v_cmpx_gt_u32_e32 8, v48
; %bb.166:                              ;   in Loop: Header=BB274_15 Depth=1
	v_ffbh_u32_e32 v46, v46
	v_min_u32_e32 v48, 32, v46
	v_subrev_nc_u32_e32 v46, 28, v48
	v_lshlrev_b64 v[46:47], v46, v[1:2]
	v_sub_nc_u32_e32 v47, 29, v48
	v_and_b32_e32 v46, 7, v46
; %bb.167:                              ;   in Loop: Header=BB274_15 Depth=1
	s_or_b32 exec_lo, exec_lo, s44
	v_lshlrev_b32_e32 v1, 8, v1
	v_lshl_add_u32 v47, v47, 10, 0x2000
	v_lshlrev_b32_e32 v46, 7, v46
	v_and_b32_e32 v1, 0x8000, v1
	v_and_b32_e32 v47, 0xfc00, v47
	v_or3_b32 v46, v1, v47, v46
.LBB274_168:                            ;   in Loop: Header=BB274_15 Depth=1
	s_or_b32 exec_lo, exec_lo, s43
.LBB274_169:                            ;   in Loop: Header=BB274_15 Depth=1
	s_or_b32 exec_lo, exec_lo, s42
.LBB274_170:                            ;   in Loop: Header=BB274_15 Depth=1
	s_or_b32 exec_lo, exec_lo, s41
	v_mov_b32_e32 v48, 0
	v_mov_b32_e32 v49, 0
	s_mov_b32 s41, exec_lo
	v_cmpx_lt_u32_e32 0xffffff, v9
	s_cbranch_execz .LBB274_178
; %bb.171:                              ;   in Loop: Header=BB274_15 Depth=1
	v_lshrrev_b32_e32 v1, 24, v9
	v_bfrev_b32_e32 v49, 1
	s_mov_b32 s42, exec_lo
	v_cmpx_ne_u32_e32 0x80, v1
	s_cbranch_execz .LBB274_177
; %bb.172:                              ;   in Loop: Header=BB274_15 Depth=1
	v_and_b32_e32 v50, 0x7f, v1
	v_mov_b32_e32 v49, 0x7c010000
	s_mov_b32 s43, exec_lo
	v_cmpx_ne_u32_e32 0x7f, v50
	s_cbranch_execz .LBB274_176
; %bb.173:                              ;   in Loop: Header=BB274_15 Depth=1
	v_and_b32_e32 v47, 7, v1
	v_lshrrev_b32_e32 v49, 3, v50
	s_mov_b32 s44, exec_lo
	v_cmpx_gt_u32_e32 8, v50
; %bb.174:                              ;   in Loop: Header=BB274_15 Depth=1
	v_ffbh_u32_e32 v47, v47
	v_min_u32_e32 v47, 32, v47
	v_subrev_nc_u32_e32 v49, 28, v47
	v_lshlrev_b64 v[50:51], v49, v[1:2]
	v_sub_nc_u32_e32 v49, 29, v47
	v_and_b32_e32 v47, 7, v50
; %bb.175:                              ;   in Loop: Header=BB274_15 Depth=1
	s_or_b32 exec_lo, exec_lo, s44
	v_lshlrev_b32_e32 v1, 8, v1
	v_lshl_add_u32 v49, v49, 10, 0x2000
	v_lshlrev_b32_e32 v47, 23, v47
	v_and_or_b32 v1, 0x8000, v1, v49
	v_lshl_or_b32 v49, v1, 16, v47
.LBB274_176:                            ;   in Loop: Header=BB274_15 Depth=1
	s_or_b32 exec_lo, exec_lo, s43
.LBB274_177:                            ;   in Loop: Header=BB274_15 Depth=1
	s_or_b32 exec_lo, exec_lo, s42
.LBB274_178:                            ;   in Loop: Header=BB274_15 Depth=1
	s_or_b32 exec_lo, exec_lo, s41
	v_mov_b32_e32 v1, v10
	v_cmp_ne_u16_sdwa s1, v10, v2 src0_sel:BYTE_0 src1_sel:DWORD
	s_and_saveexec_b32 s41, s1
	s_cbranch_execz .LBB274_186
; %bb.179:                              ;   in Loop: Header=BB274_15 Depth=1
	v_cmp_ne_u16_sdwa s1, v10, v19 src0_sel:BYTE_0 src1_sel:DWORD
	v_mov_b32_e32 v48, 0x8000
	s_and_saveexec_b32 s42, s1
	s_cbranch_execz .LBB274_185
; %bb.180:                              ;   in Loop: Header=BB274_15 Depth=1
	v_and_b32_e32 v50, 0x7f, v10
	v_mov_b32_e32 v48, 0x7c01
	s_mov_b32 s43, exec_lo
	v_cmpx_ne_u32_e32 0x7f, v50
	s_cbranch_execz .LBB274_184
; %bb.181:                              ;   in Loop: Header=BB274_15 Depth=1
	v_and_b32_e32 v47, 7, v10
	v_lshrrev_b32_e32 v48, 3, v50
	s_mov_b32 s44, exec_lo
	v_cmpx_gt_u32_e32 8, v50
; %bb.182:                              ;   in Loop: Header=BB274_15 Depth=1
	v_ffbh_u32_e32 v47, v47
	v_min_u32_e32 v50, 32, v47
	v_subrev_nc_u32_e32 v47, 28, v50
	v_lshlrev_b64 v[47:48], v47, v[1:2]
	v_sub_nc_u32_e32 v48, 29, v50
	v_and_b32_e32 v47, 7, v47
; %bb.183:                              ;   in Loop: Header=BB274_15 Depth=1
	s_or_b32 exec_lo, exec_lo, s44
	v_lshlrev_b32_e32 v50, 8, v10
	v_lshl_add_u32 v48, v48, 10, 0x2000
	v_lshlrev_b32_e32 v47, 7, v47
	v_and_b32_e32 v50, 0x8000, v50
	v_and_b32_e32 v48, 0xfc00, v48
	v_or3_b32 v48, v50, v48, v47
.LBB274_184:                            ;   in Loop: Header=BB274_15 Depth=1
	s_or_b32 exec_lo, exec_lo, s43
.LBB274_185:                            ;   in Loop: Header=BB274_15 Depth=1
	s_or_b32 exec_lo, exec_lo, s42
.LBB274_186:                            ;   in Loop: Header=BB274_15 Depth=1
	s_or_b32 exec_lo, exec_lo, s41
	v_lshrrev_b16 v1, 8, v1
	v_mov_b32_e32 v51, 0
	v_mov_b32_e32 v47, 0
	s_mov_b32 s41, exec_lo
	v_cmpx_ne_u16_e32 0, v1
	s_cbranch_execz .LBB274_194
; %bb.187:                              ;   in Loop: Header=BB274_15 Depth=1
	v_bfrev_b32_e32 v47, 1
	s_mov_b32 s42, exec_lo
	v_cmpx_ne_u16_e32 0x80, v1
	s_cbranch_execz .LBB274_193
; %bb.188:                              ;   in Loop: Header=BB274_15 Depth=1
	v_and_b32_sdwa v52, v1, v20 dst_sel:DWORD dst_unused:UNUSED_PAD src0_sel:WORD_0 src1_sel:DWORD
	v_mov_b32_e32 v47, 0x7c010000
	s_mov_b32 s43, exec_lo
	v_cmpx_ne_u32_e32 0x7f, v52
	s_cbranch_execz .LBB274_192
; %bb.189:                              ;   in Loop: Header=BB274_15 Depth=1
	v_and_b32_sdwa v47, v1, v21 dst_sel:DWORD dst_unused:UNUSED_PAD src0_sel:WORD_0 src1_sel:DWORD
	v_lshrrev_b32_e32 v50, 3, v52
	s_mov_b32 s44, exec_lo
	v_cmpx_gt_u32_e32 8, v52
; %bb.190:                              ;   in Loop: Header=BB274_15 Depth=1
	v_ffbh_u32_e32 v47, v47
	v_min_u32_e32 v47, 32, v47
	v_subrev_nc_u32_e32 v50, 28, v47
	v_lshlrev_b64 v[52:53], v50, v[1:2]
	v_sub_nc_u32_e32 v50, 29, v47
	v_and_b32_e32 v47, 7, v52
; %bb.191:                              ;   in Loop: Header=BB274_15 Depth=1
	s_or_b32 exec_lo, exec_lo, s44
	v_lshlrev_b32_sdwa v1, v22, v1 dst_sel:DWORD dst_unused:UNUSED_PAD src0_sel:DWORD src1_sel:WORD_0
	v_lshl_add_u32 v50, v50, 10, 0x2000
	v_lshlrev_b32_e32 v47, 23, v47
	v_and_or_b32 v1, 0x8000, v1, v50
	v_lshl_or_b32 v47, v1, 16, v47
.LBB274_192:                            ;   in Loop: Header=BB274_15 Depth=1
	s_or_b32 exec_lo, exec_lo, s43
.LBB274_193:                            ;   in Loop: Header=BB274_15 Depth=1
	s_or_b32 exec_lo, exec_lo, s42
.LBB274_194:                            ;   in Loop: Header=BB274_15 Depth=1
	s_or_b32 exec_lo, exec_lo, s41
	v_lshrrev_b32_e32 v1, 16, v10
	v_cmp_ne_u16_sdwa s1, v1, v2 src0_sel:BYTE_0 src1_sel:DWORD
	s_and_saveexec_b32 s41, s1
	s_cbranch_execz .LBB274_202
; %bb.195:                              ;   in Loop: Header=BB274_15 Depth=1
	v_cmp_ne_u16_sdwa s1, v1, v19 src0_sel:BYTE_0 src1_sel:DWORD
	v_mov_b32_e32 v51, 0x8000
	s_and_saveexec_b32 s42, s1
	s_cbranch_execz .LBB274_201
; %bb.196:                              ;   in Loop: Header=BB274_15 Depth=1
	v_bfe_u32 v52, v10, 16, 7
	v_mov_b32_e32 v51, 0x7c01
	s_mov_b32 s43, exec_lo
	v_cmpx_ne_u32_e32 0x7f, v52
	s_cbranch_execz .LBB274_200
; %bb.197:                              ;   in Loop: Header=BB274_15 Depth=1
	v_and_b32_e32 v50, 7, v1
	v_lshrrev_b32_e32 v51, 3, v52
	s_mov_b32 s44, exec_lo
	v_cmpx_gt_u32_e32 8, v52
; %bb.198:                              ;   in Loop: Header=BB274_15 Depth=1
	v_ffbh_u32_e32 v50, v50
	v_min_u32_e32 v52, 32, v50
	v_subrev_nc_u32_e32 v50, 28, v52
	v_lshlrev_b64 v[50:51], v50, v[1:2]
	v_sub_nc_u32_e32 v51, 29, v52
	v_and_b32_e32 v50, 7, v50
; %bb.199:                              ;   in Loop: Header=BB274_15 Depth=1
	s_or_b32 exec_lo, exec_lo, s44
	v_lshlrev_b32_e32 v1, 8, v1
	v_lshl_add_u32 v51, v51, 10, 0x2000
	v_lshlrev_b32_e32 v50, 7, v50
	v_and_b32_e32 v1, 0x8000, v1
	v_and_b32_e32 v51, 0xfc00, v51
	v_or3_b32 v51, v1, v51, v50
.LBB274_200:                            ;   in Loop: Header=BB274_15 Depth=1
	s_or_b32 exec_lo, exec_lo, s43
.LBB274_201:                            ;   in Loop: Header=BB274_15 Depth=1
	s_or_b32 exec_lo, exec_lo, s42
.LBB274_202:                            ;   in Loop: Header=BB274_15 Depth=1
	s_or_b32 exec_lo, exec_lo, s41
	v_cmp_lt_u64_e64 s1, s[4:5], v[9:10]
	v_mov_b32_e32 v9, 0
	v_mov_b32_e32 v50, 0
	s_and_saveexec_b32 s41, s1
	s_cbranch_execz .LBB274_210
; %bb.203:                              ;   in Loop: Header=BB274_15 Depth=1
	v_lshrrev_b32_e32 v1, 24, v10
	v_bfrev_b32_e32 v50, 1
	s_mov_b32 s42, exec_lo
	v_cmpx_ne_u32_e32 0x80, v1
	s_cbranch_execz .LBB274_209
; %bb.204:                              ;   in Loop: Header=BB274_15 Depth=1
	v_and_b32_e32 v52, 0x7f, v1
	v_mov_b32_e32 v50, 0x7c010000
	s_mov_b32 s43, exec_lo
	v_cmpx_ne_u32_e32 0x7f, v52
	s_cbranch_execz .LBB274_208
; %bb.205:                              ;   in Loop: Header=BB274_15 Depth=1
	v_and_b32_e32 v10, 7, v1
	v_lshrrev_b32_e32 v50, 3, v52
	s_mov_b32 s44, exec_lo
	v_cmpx_gt_u32_e32 8, v52
; %bb.206:                              ;   in Loop: Header=BB274_15 Depth=1
	v_ffbh_u32_e32 v10, v10
	v_min_u32_e32 v10, 32, v10
	v_subrev_nc_u32_e32 v50, 28, v10
	v_lshlrev_b64 v[52:53], v50, v[1:2]
	v_sub_nc_u32_e32 v50, 29, v10
	v_and_b32_e32 v10, 7, v52
; %bb.207:                              ;   in Loop: Header=BB274_15 Depth=1
	s_or_b32 exec_lo, exec_lo, s44
	v_lshlrev_b32_e32 v1, 8, v1
	v_lshl_add_u32 v50, v50, 10, 0x2000
	v_lshlrev_b32_e32 v10, 23, v10
	v_and_or_b32 v1, 0x8000, v1, v50
	v_lshl_or_b32 v50, v1, 16, v10
.LBB274_208:                            ;   in Loop: Header=BB274_15 Depth=1
	s_or_b32 exec_lo, exec_lo, s43
.LBB274_209:                            ;   in Loop: Header=BB274_15 Depth=1
	s_or_b32 exec_lo, exec_lo, s42
.LBB274_210:                            ;   in Loop: Header=BB274_15 Depth=1
	s_or_b32 exec_lo, exec_lo, s41
	global_load_dwordx2 v[7:8], v[7:8], off offset:520
	s_waitcnt vmcnt(0)
	v_cmp_ne_u16_sdwa s1, v7, v2 src0_sel:BYTE_0 src1_sel:DWORD
	s_and_saveexec_b32 s41, s1
	s_cbranch_execz .LBB274_218
; %bb.211:                              ;   in Loop: Header=BB274_15 Depth=1
	v_cmp_ne_u16_sdwa s1, v7, v19 src0_sel:BYTE_0 src1_sel:DWORD
	v_mov_b32_e32 v9, 0x8000
	s_and_saveexec_b32 s42, s1
	s_cbranch_execz .LBB274_217
; %bb.212:                              ;   in Loop: Header=BB274_15 Depth=1
	v_and_b32_e32 v10, 0x7f, v7
	v_mov_b32_e32 v9, 0x7c01
	s_mov_b32 s43, exec_lo
	v_cmpx_ne_u32_e32 0x7f, v10
	s_cbranch_execz .LBB274_216
; %bb.213:                              ;   in Loop: Header=BB274_15 Depth=1
	v_and_b32_e32 v1, 7, v7
	v_lshrrev_b32_e32 v9, 3, v10
	s_mov_b32 s44, exec_lo
	v_cmpx_gt_u32_e32 8, v10
; %bb.214:                              ;   in Loop: Header=BB274_15 Depth=1
	v_ffbh_u32_e32 v1, v1
	v_min_u32_e32 v1, 32, v1
	v_subrev_nc_u32_e32 v9, 28, v1
	v_lshlrev_b64 v[52:53], v9, v[7:8]
	v_sub_nc_u32_e32 v9, 29, v1
	v_and_b32_e32 v1, 7, v52
; %bb.215:                              ;   in Loop: Header=BB274_15 Depth=1
	s_or_b32 exec_lo, exec_lo, s44
	v_lshlrev_b32_e32 v10, 8, v7
	v_lshl_add_u32 v9, v9, 10, 0x2000
	v_lshlrev_b32_e32 v1, 7, v1
	v_and_b32_e32 v10, 0x8000, v10
	v_and_b32_e32 v9, 0xfc00, v9
	v_or3_b32 v9, v10, v9, v1
.LBB274_216:                            ;   in Loop: Header=BB274_15 Depth=1
	s_or_b32 exec_lo, exec_lo, s43
.LBB274_217:                            ;   in Loop: Header=BB274_15 Depth=1
	s_or_b32 exec_lo, exec_lo, s42
.LBB274_218:                            ;   in Loop: Header=BB274_15 Depth=1
	s_or_b32 exec_lo, exec_lo, s41
	v_lshrrev_b16 v1, 8, v7
	v_mov_b32_e32 v52, 0
	v_mov_b32_e32 v10, 0
	s_mov_b32 s41, exec_lo
	v_cmpx_ne_u16_e32 0, v1
	s_cbranch_execz .LBB274_226
; %bb.219:                              ;   in Loop: Header=BB274_15 Depth=1
	v_bfrev_b32_e32 v10, 1
	s_mov_b32 s42, exec_lo
	v_cmpx_ne_u16_e32 0x80, v1
	s_cbranch_execz .LBB274_225
; %bb.220:                              ;   in Loop: Header=BB274_15 Depth=1
	v_and_b32_sdwa v54, v1, v20 dst_sel:DWORD dst_unused:UNUSED_PAD src0_sel:WORD_0 src1_sel:DWORD
	v_mov_b32_e32 v10, 0x7c010000
	s_mov_b32 s43, exec_lo
	v_cmpx_ne_u32_e32 0x7f, v54
	s_cbranch_execz .LBB274_224
; %bb.221:                              ;   in Loop: Header=BB274_15 Depth=1
	v_and_b32_sdwa v10, v1, v21 dst_sel:DWORD dst_unused:UNUSED_PAD src0_sel:WORD_0 src1_sel:DWORD
	v_lshrrev_b32_e32 v53, 3, v54
	s_mov_b32 s44, exec_lo
	v_cmpx_gt_u32_e32 8, v54
; %bb.222:                              ;   in Loop: Header=BB274_15 Depth=1
	v_ffbh_u32_e32 v10, v10
	v_min_u32_e32 v10, 32, v10
	v_subrev_nc_u32_e32 v53, 28, v10
	v_lshlrev_b64 v[54:55], v53, v[1:2]
	v_sub_nc_u32_e32 v53, 29, v10
	v_and_b32_e32 v10, 7, v54
; %bb.223:                              ;   in Loop: Header=BB274_15 Depth=1
	s_or_b32 exec_lo, exec_lo, s44
	v_lshlrev_b32_sdwa v1, v22, v1 dst_sel:DWORD dst_unused:UNUSED_PAD src0_sel:DWORD src1_sel:WORD_0
	v_lshl_add_u32 v53, v53, 10, 0x2000
	v_lshlrev_b32_e32 v10, 23, v10
	v_and_or_b32 v1, 0x8000, v1, v53
	v_lshl_or_b32 v10, v1, 16, v10
.LBB274_224:                            ;   in Loop: Header=BB274_15 Depth=1
	s_or_b32 exec_lo, exec_lo, s43
.LBB274_225:                            ;   in Loop: Header=BB274_15 Depth=1
	s_or_b32 exec_lo, exec_lo, s42
.LBB274_226:                            ;   in Loop: Header=BB274_15 Depth=1
	s_or_b32 exec_lo, exec_lo, s41
	v_lshrrev_b32_e32 v1, 16, v7
	v_cmp_ne_u16_sdwa s1, v1, v2 src0_sel:BYTE_0 src1_sel:DWORD
	s_and_saveexec_b32 s41, s1
	s_cbranch_execz .LBB274_234
; %bb.227:                              ;   in Loop: Header=BB274_15 Depth=1
	v_cmp_ne_u16_sdwa s1, v1, v19 src0_sel:BYTE_0 src1_sel:DWORD
	v_mov_b32_e32 v52, 0x8000
	s_and_saveexec_b32 s42, s1
	s_cbranch_execz .LBB274_233
; %bb.228:                              ;   in Loop: Header=BB274_15 Depth=1
	v_bfe_u32 v54, v7, 16, 7
	v_mov_b32_e32 v52, 0x7c01
	s_mov_b32 s43, exec_lo
	v_cmpx_ne_u32_e32 0x7f, v54
	s_cbranch_execz .LBB274_232
; %bb.229:                              ;   in Loop: Header=BB274_15 Depth=1
	v_and_b32_e32 v52, 7, v1
	v_lshrrev_b32_e32 v53, 3, v54
	s_mov_b32 s44, exec_lo
	v_cmpx_gt_u32_e32 8, v54
; %bb.230:                              ;   in Loop: Header=BB274_15 Depth=1
	v_ffbh_u32_e32 v52, v52
	v_min_u32_e32 v54, 32, v52
	v_subrev_nc_u32_e32 v52, 28, v54
	v_lshlrev_b64 v[52:53], v52, v[1:2]
	v_sub_nc_u32_e32 v53, 29, v54
	v_and_b32_e32 v52, 7, v52
; %bb.231:                              ;   in Loop: Header=BB274_15 Depth=1
	s_or_b32 exec_lo, exec_lo, s44
	v_lshlrev_b32_e32 v1, 8, v1
	v_lshl_add_u32 v53, v53, 10, 0x2000
	v_lshlrev_b32_e32 v52, 7, v52
	v_and_b32_e32 v1, 0x8000, v1
	v_and_b32_e32 v53, 0xfc00, v53
	v_or3_b32 v52, v1, v53, v52
.LBB274_232:                            ;   in Loop: Header=BB274_15 Depth=1
	s_or_b32 exec_lo, exec_lo, s43
.LBB274_233:                            ;   in Loop: Header=BB274_15 Depth=1
	s_or_b32 exec_lo, exec_lo, s42
.LBB274_234:                            ;   in Loop: Header=BB274_15 Depth=1
	s_or_b32 exec_lo, exec_lo, s41
	v_mov_b32_e32 v53, 0
	v_mov_b32_e32 v54, 0
	s_mov_b32 s41, exec_lo
	v_cmpx_lt_u32_e32 0xffffff, v7
	s_cbranch_execz .LBB274_242
; %bb.235:                              ;   in Loop: Header=BB274_15 Depth=1
	v_lshrrev_b32_e32 v1, 24, v7
	v_bfrev_b32_e32 v54, 1
	s_mov_b32 s42, exec_lo
	v_cmpx_ne_u32_e32 0x80, v1
	s_cbranch_execz .LBB274_241
; %bb.236:                              ;   in Loop: Header=BB274_15 Depth=1
	v_and_b32_e32 v56, 0x7f, v1
	v_mov_b32_e32 v54, 0x7c010000
	s_mov_b32 s43, exec_lo
	v_cmpx_ne_u32_e32 0x7f, v56
	s_cbranch_execz .LBB274_240
; %bb.237:                              ;   in Loop: Header=BB274_15 Depth=1
	v_and_b32_e32 v54, 7, v1
	v_lshrrev_b32_e32 v55, 3, v56
	s_mov_b32 s44, exec_lo
	v_cmpx_gt_u32_e32 8, v56
; %bb.238:                              ;   in Loop: Header=BB274_15 Depth=1
	v_ffbh_u32_e32 v54, v54
	v_min_u32_e32 v56, 32, v54
	v_subrev_nc_u32_e32 v54, 28, v56
	v_lshlrev_b64 v[54:55], v54, v[1:2]
	v_sub_nc_u32_e32 v55, 29, v56
	v_and_b32_e32 v54, 7, v54
; %bb.239:                              ;   in Loop: Header=BB274_15 Depth=1
	s_or_b32 exec_lo, exec_lo, s44
	v_lshlrev_b32_e32 v1, 8, v1
	v_lshl_add_u32 v55, v55, 10, 0x2000
	v_lshlrev_b32_e32 v54, 23, v54
	v_and_or_b32 v1, 0x8000, v1, v55
	v_lshl_or_b32 v54, v1, 16, v54
.LBB274_240:                            ;   in Loop: Header=BB274_15 Depth=1
	s_or_b32 exec_lo, exec_lo, s43
.LBB274_241:                            ;   in Loop: Header=BB274_15 Depth=1
	s_or_b32 exec_lo, exec_lo, s42
.LBB274_242:                            ;   in Loop: Header=BB274_15 Depth=1
	s_or_b32 exec_lo, exec_lo, s41
	v_mov_b32_e32 v1, v8
	v_cmp_ne_u16_sdwa s1, v8, v2 src0_sel:BYTE_0 src1_sel:DWORD
	s_and_saveexec_b32 s41, s1
	s_cbranch_execz .LBB274_250
; %bb.243:                              ;   in Loop: Header=BB274_15 Depth=1
	v_cmp_ne_u16_sdwa s1, v8, v19 src0_sel:BYTE_0 src1_sel:DWORD
	v_mov_b32_e32 v53, 0x8000
	s_and_saveexec_b32 s42, s1
	s_cbranch_execz .LBB274_249
; %bb.244:                              ;   in Loop: Header=BB274_15 Depth=1
	v_and_b32_e32 v56, 0x7f, v8
	v_mov_b32_e32 v53, 0x7c01
	s_mov_b32 s43, exec_lo
	v_cmpx_ne_u32_e32 0x7f, v56
	s_cbranch_execz .LBB274_248
; %bb.245:                              ;   in Loop: Header=BB274_15 Depth=1
	v_and_b32_e32 v53, 7, v8
	v_lshrrev_b32_e32 v55, 3, v56
	s_mov_b32 s44, exec_lo
	v_cmpx_gt_u32_e32 8, v56
; %bb.246:                              ;   in Loop: Header=BB274_15 Depth=1
	v_ffbh_u32_e32 v53, v53
	v_min_u32_e32 v53, 32, v53
	v_subrev_nc_u32_e32 v55, 28, v53
	v_lshlrev_b64 v[56:57], v55, v[1:2]
	v_sub_nc_u32_e32 v55, 29, v53
	v_and_b32_e32 v53, 7, v56
; %bb.247:                              ;   in Loop: Header=BB274_15 Depth=1
	s_or_b32 exec_lo, exec_lo, s44
	v_lshlrev_b32_e32 v56, 8, v8
	v_lshl_add_u32 v55, v55, 10, 0x2000
	v_lshlrev_b32_e32 v53, 7, v53
	v_and_b32_e32 v56, 0x8000, v56
	v_and_b32_e32 v55, 0xfc00, v55
	v_or3_b32 v53, v56, v55, v53
.LBB274_248:                            ;   in Loop: Header=BB274_15 Depth=1
	s_or_b32 exec_lo, exec_lo, s43
.LBB274_249:                            ;   in Loop: Header=BB274_15 Depth=1
	s_or_b32 exec_lo, exec_lo, s42
.LBB274_250:                            ;   in Loop: Header=BB274_15 Depth=1
	s_or_b32 exec_lo, exec_lo, s41
	v_lshrrev_b16 v1, 8, v1
	v_mov_b32_e32 v55, 0
	v_mov_b32_e32 v56, 0
	s_mov_b32 s41, exec_lo
	v_cmpx_ne_u16_e32 0, v1
	s_cbranch_execz .LBB274_258
; %bb.251:                              ;   in Loop: Header=BB274_15 Depth=1
	v_bfrev_b32_e32 v56, 1
	s_mov_b32 s42, exec_lo
	v_cmpx_ne_u16_e32 0x80, v1
	s_cbranch_execz .LBB274_257
; %bb.252:                              ;   in Loop: Header=BB274_15 Depth=1
	v_and_b32_sdwa v58, v1, v20 dst_sel:DWORD dst_unused:UNUSED_PAD src0_sel:WORD_0 src1_sel:DWORD
	v_mov_b32_e32 v56, 0x7c010000
	s_mov_b32 s43, exec_lo
	v_cmpx_ne_u32_e32 0x7f, v58
	s_cbranch_execz .LBB274_256
; %bb.253:                              ;   in Loop: Header=BB274_15 Depth=1
	v_and_b32_sdwa v56, v1, v21 dst_sel:DWORD dst_unused:UNUSED_PAD src0_sel:WORD_0 src1_sel:DWORD
	v_lshrrev_b32_e32 v57, 3, v58
	s_mov_b32 s44, exec_lo
	v_cmpx_gt_u32_e32 8, v58
; %bb.254:                              ;   in Loop: Header=BB274_15 Depth=1
	v_ffbh_u32_e32 v56, v56
	v_min_u32_e32 v58, 32, v56
	v_subrev_nc_u32_e32 v56, 28, v58
	v_lshlrev_b64 v[56:57], v56, v[1:2]
	v_sub_nc_u32_e32 v57, 29, v58
	v_and_b32_e32 v56, 7, v56
; %bb.255:                              ;   in Loop: Header=BB274_15 Depth=1
	s_or_b32 exec_lo, exec_lo, s44
	v_lshlrev_b32_sdwa v1, v22, v1 dst_sel:DWORD dst_unused:UNUSED_PAD src0_sel:DWORD src1_sel:WORD_0
	v_lshl_add_u32 v57, v57, 10, 0x2000
	v_lshlrev_b32_e32 v56, 23, v56
	v_and_or_b32 v1, 0x8000, v1, v57
	v_lshl_or_b32 v56, v1, 16, v56
.LBB274_256:                            ;   in Loop: Header=BB274_15 Depth=1
	s_or_b32 exec_lo, exec_lo, s43
.LBB274_257:                            ;   in Loop: Header=BB274_15 Depth=1
	s_or_b32 exec_lo, exec_lo, s42
.LBB274_258:                            ;   in Loop: Header=BB274_15 Depth=1
	s_or_b32 exec_lo, exec_lo, s41
	v_lshrrev_b32_e32 v1, 16, v8
	v_cmp_ne_u16_sdwa s1, v1, v2 src0_sel:BYTE_0 src1_sel:DWORD
	s_and_saveexec_b32 s41, s1
	s_cbranch_execz .LBB274_266
; %bb.259:                              ;   in Loop: Header=BB274_15 Depth=1
	v_cmp_ne_u16_sdwa s1, v1, v19 src0_sel:BYTE_0 src1_sel:DWORD
	v_mov_b32_e32 v55, 0x8000
	s_and_saveexec_b32 s42, s1
	s_cbranch_execz .LBB274_265
; %bb.260:                              ;   in Loop: Header=BB274_15 Depth=1
	v_bfe_u32 v58, v8, 16, 7
	v_mov_b32_e32 v55, 0x7c01
	s_mov_b32 s43, exec_lo
	v_cmpx_ne_u32_e32 0x7f, v58
	s_cbranch_execz .LBB274_264
; %bb.261:                              ;   in Loop: Header=BB274_15 Depth=1
	v_and_b32_e32 v55, 7, v1
	v_lshrrev_b32_e32 v57, 3, v58
	s_mov_b32 s44, exec_lo
	v_cmpx_gt_u32_e32 8, v58
; %bb.262:                              ;   in Loop: Header=BB274_15 Depth=1
	v_ffbh_u32_e32 v55, v55
	v_min_u32_e32 v55, 32, v55
	v_subrev_nc_u32_e32 v57, 28, v55
	v_lshlrev_b64 v[58:59], v57, v[1:2]
	v_sub_nc_u32_e32 v57, 29, v55
	v_and_b32_e32 v55, 7, v58
; %bb.263:                              ;   in Loop: Header=BB274_15 Depth=1
	s_or_b32 exec_lo, exec_lo, s44
	v_lshlrev_b32_e32 v1, 8, v1
	v_lshl_add_u32 v57, v57, 10, 0x2000
	v_lshlrev_b32_e32 v55, 7, v55
	v_and_b32_e32 v1, 0x8000, v1
	v_and_b32_e32 v57, 0xfc00, v57
	v_or3_b32 v55, v1, v57, v55
.LBB274_264:                            ;   in Loop: Header=BB274_15 Depth=1
	s_or_b32 exec_lo, exec_lo, s43
.LBB274_265:                            ;   in Loop: Header=BB274_15 Depth=1
	s_or_b32 exec_lo, exec_lo, s42
.LBB274_266:                            ;   in Loop: Header=BB274_15 Depth=1
	s_or_b32 exec_lo, exec_lo, s41
	v_cmp_lt_u64_e64 s1, s[4:5], v[7:8]
	v_mov_b32_e32 v7, 0
	s_and_saveexec_b32 s41, s1
	s_cbranch_execz .LBB274_13
; %bb.267:                              ;   in Loop: Header=BB274_15 Depth=1
	v_lshrrev_b32_e32 v1, 24, v8
	v_bfrev_b32_e32 v7, 1
	s_mov_b32 s42, exec_lo
	v_cmpx_ne_u32_e32 0x80, v1
	s_cbranch_execz .LBB274_12
; %bb.268:                              ;   in Loop: Header=BB274_15 Depth=1
	v_and_b32_e32 v57, 0x7f, v1
	v_mov_b32_e32 v7, 0x7c010000
	s_mov_b32 s43, exec_lo
	v_cmpx_ne_u32_e32 0x7f, v57
	s_cbranch_execz .LBB274_11
; %bb.269:                              ;   in Loop: Header=BB274_15 Depth=1
	v_and_b32_e32 v7, 7, v1
	v_lshrrev_b32_e32 v8, 3, v57
	s_mov_b32 s44, exec_lo
	v_cmpx_gt_u32_e32 8, v57
	s_cbranch_execz .LBB274_10
; %bb.270:                              ;   in Loop: Header=BB274_15 Depth=1
	v_ffbh_u32_e32 v7, v7
	v_min_u32_e32 v57, 32, v7
	v_subrev_nc_u32_e32 v7, 28, v57
	v_lshlrev_b64 v[7:8], v7, v[1:2]
	v_sub_nc_u32_e32 v8, 29, v57
	v_and_b32_e32 v7, 7, v7
	s_branch .LBB274_10
.LBB274_271:
	s_or_b32 exec_lo, exec_lo, s40
.LBB274_272:
	s_or_b32 exec_lo, exec_lo, s36
	v_mbcnt_lo_u32_b32 v2, -1, 0
	v_max_f32_e32 v5, v16, v16
	v_xor_b32_e32 v1, 16, v2
	v_xor_b32_e32 v4, 8, v2
	v_cmp_gt_i32_e32 vcc_lo, 32, v1
	v_cndmask_b32_e32 v1, v2, v1, vcc_lo
	v_cmp_gt_i32_e32 vcc_lo, 32, v4
	v_lshlrev_b32_e32 v1, 2, v1
	v_cndmask_b32_e32 v4, v2, v4, vcc_lo
	ds_bpermute_b32 v3, v1, v16
	s_waitcnt lgkmcnt(0)
	v_max_f32_e32 v6, v3, v3
	v_lshlrev_b32_e32 v3, 2, v4
	v_max_f32_e32 v5, v5, v6
	v_xor_b32_e32 v6, 4, v2
	ds_bpermute_b32 v4, v3, v5
	v_cmp_gt_i32_e32 vcc_lo, 32, v6
	v_cndmask_b32_e32 v6, v2, v6, vcc_lo
	s_waitcnt lgkmcnt(0)
	v_max_f32_e32 v7, v4, v4
	v_lshlrev_b32_e32 v4, 2, v6
	v_max_f32_e32 v5, v5, v7
	v_xor_b32_e32 v7, 2, v2
	ds_bpermute_b32 v6, v4, v5
	v_cmp_gt_i32_e32 vcc_lo, 32, v7
	v_cndmask_b32_e32 v7, v2, v7, vcc_lo
	v_lshlrev_b32_e32 v16, 2, v7
	v_xor_b32_e32 v7, 1, v2
	v_cmp_gt_i32_e32 vcc_lo, 32, v7
	s_waitcnt lgkmcnt(0)
	v_max_f32_e32 v6, v6, v6
	v_cndmask_b32_e32 v7, v2, v7, vcc_lo
	v_cmp_eq_u32_e32 vcc_lo, 0, v12
	v_max_f32_e32 v5, v5, v6
	v_lshlrev_b32_e32 v17, 2, v7
	ds_bpermute_b32 v6, v16, v5
	s_waitcnt lgkmcnt(0)
	v_max_f32_e32 v6, v6, v6
	v_max_f32_e32 v2, v5, v6
	v_lshlrev_b32_e32 v5, 2, v11
	ds_bpermute_b32 v6, v17, v2
	s_and_saveexec_b32 s1, vcc_lo
	s_cbranch_execz .LBB274_274
; %bb.273:
	s_waitcnt lgkmcnt(0)
	v_max_f32_e32 v6, v6, v6
	v_max_f32_e32 v2, v2, v2
	;; [unrolled: 1-line block ×3, first 2 shown]
	ds_write_b32 v5, v2 offset:64
.LBB274_274:
	s_or_b32 exec_lo, exec_lo, s1
	v_cmp_gt_u32_e64 s1, 4, v12
	v_mov_b32_e32 v2, 0xff7fffff
	s_waitcnt lgkmcnt(0)
	s_barrier
	buffer_gl0_inv
	s_and_saveexec_b32 s2, s1
; %bb.275:
	ds_read_b32 v2, v15 offset:64
; %bb.276:
	s_or_b32 exec_lo, exec_lo, s2
	s_waitcnt lgkmcnt(0)
	ds_bpermute_b32 v6, v16, v2
	v_max_f32_e32 v2, v2, v2
	s_lshl_b32 s2, s20, 5
	s_min_i32 s4, s2, s33
	v_cmp_gt_i32_e64 s2, s4, v0
	s_waitcnt lgkmcnt(0)
	v_max_f32_e32 v6, v6, v6
	v_max_f32_e32 v2, v2, v6
	ds_bpermute_b32 v6, v17, v2
	s_waitcnt lgkmcnt(0)
	v_max_f32_e32 v6, v6, v6
	v_max_f32_e32 v2, v2, v6
	v_mov_b32_e32 v6, 0
	ds_bpermute_b32 v7, v6, v2
	v_lshl_add_u32 v2, v0, 2, 0x60
	s_and_saveexec_b32 s5, s2
	s_cbranch_execz .LBB274_280
; %bb.277:
	v_lshl_add_u32 v8, v0, 2, 0x60
	v_mov_b32_e32 v6, 0
	v_mov_b32_e32 v9, v0
	s_mov_b32 s12, 0
	.p2align	6
.LBB274_278:                            ; =>This Inner Loop Header: Depth=1
	ds_read_b32 v10, v8
	v_add_nc_u32_e32 v9, 0x80, v9
	v_cmp_le_i32_e64 s3, s4, v9
	s_or_b32 s12, s3, s12
	s_waitcnt lgkmcnt(0)
	v_sub_f32_e32 v10, v10, v7
	v_mul_f32_e32 v10, 0x3fb8aa3b, v10
	v_exp_f32_e32 v10, v10
	ds_write_b32 v8, v10
	v_add_f32_e32 v6, v6, v10
	v_add_nc_u32_e32 v8, 0x200, v8
	s_andn2_b32 exec_lo, exec_lo, s12
	s_cbranch_execnz .LBB274_278
; %bb.279:
	s_or_b32 exec_lo, exec_lo, s12
.LBB274_280:
	s_or_b32 exec_lo, exec_lo, s5
	ds_bpermute_b32 v1, v1, v6
	s_waitcnt lgkmcnt(0)
	v_add_f32_e32 v1, v6, v1
	ds_bpermute_b32 v3, v3, v1
	s_waitcnt lgkmcnt(0)
	v_add_f32_e32 v1, v1, v3
	;; [unrolled: 3-line block ×5, first 2 shown]
	s_and_saveexec_b32 s3, vcc_lo
; %bb.281:
	ds_write_b32 v5, v1 offset:80
; %bb.282:
	s_or_b32 exec_lo, exec_lo, s3
	s_waitcnt lgkmcnt(0)
	s_barrier
	buffer_gl0_inv
	s_and_saveexec_b32 s3, s1
; %bb.283:
	ds_read_b32 v1, v15 offset:80
; %bb.284:
	s_or_b32 exec_lo, exec_lo, s3
	s_waitcnt lgkmcnt(0)
	ds_bpermute_b32 v3, v16, v1
	s_waitcnt lgkmcnt(0)
	v_add_f32_e32 v1, v1, v3
	ds_bpermute_b32 v3, v17, v1
	s_waitcnt lgkmcnt(0)
	v_add_f32_e32 v1, v1, v3
	v_mov_b32_e32 v3, 0
	ds_bpermute_b32 v1, v3, v1
	s_and_saveexec_b32 s1, s2
	s_cbranch_execz .LBB274_287
; %bb.285:
	s_waitcnt lgkmcnt(0)
	v_add_f32_e32 v1, 0x358637bd, v1
	s_mov_b32 s2, 0
	v_div_scale_f32 v3, null, v1, v1, 1.0
	v_div_scale_f32 v6, vcc_lo, 1.0, v1, 1.0
	v_rcp_f32_e32 v4, v3
	v_fma_f32 v5, -v3, v4, 1.0
	v_fmac_f32_e32 v4, v5, v4
	v_mul_f32_e32 v5, v6, v4
	v_fma_f32 v7, -v3, v5, v6
	v_fmac_f32_e32 v5, v7, v4
	v_fma_f32 v3, -v3, v5, v6
	v_div_fmas_f32 v3, v3, v4, v5
	v_div_fixup_f32 v1, v3, v1, 1.0
	v_mov_b32_e32 v3, v0
.LBB274_286:                            ; =>This Inner Loop Header: Depth=1
	ds_read_b32 v4, v2
	v_add_nc_u32_e32 v3, 0x80, v3
	v_cmp_le_i32_e32 vcc_lo, s4, v3
	s_or_b32 s2, vcc_lo, s2
	s_waitcnt lgkmcnt(0)
	v_mul_f32_e32 v4, v1, v4
	ds_write_b32 v2, v4
	v_add_nc_u32_e32 v2, 0x200, v2
	s_andn2_b32 exec_lo, exec_lo, s2
	s_cbranch_execnz .LBB274_286
.LBB274_287:
	s_or_b32 exec_lo, exec_lo, s1
	v_mov_b32_e32 v21, 0
	v_and_b32_e32 v15, 3, v0
	v_mov_b32_e32 v20, 0
	v_mov_b32_e32 v19, 0
	;; [unrolled: 1-line block ×3, first 2 shown]
	s_waitcnt lgkmcnt(0)
	s_barrier
	buffer_gl0_inv
	s_and_saveexec_b32 s1, s0
	s_cbranch_execz .LBB274_557
; %bb.288:
	s_sub_i32 s4, s34, s21
	s_ashr_i32 s0, s18, 31
	s_add_u32 s18, s30, s18
	s_addc_u32 s0, s31, s0
	s_abs_i32 s5, s22
	v_lshlrev_b32_e32 v3, 3, v0
	v_cvt_f32_u32_e32 v1, s5
	s_sub_i32 s2, 0, s5
	v_lshlrev_b32_e32 v5, 5, v15
	v_and_b32_e32 v4, 0x7c, v14
	s_add_i32 s13, s20, -1
	v_rcp_iflag_f32_e32 v1, v1
	v_and_b32_e32 v7, 0xf8, v3
	v_lshl_or_b32 v8, v11, 7, v5
	v_and_b32_e32 v25, 24, v3
	v_mov_b32_e32 v2, 0
	v_mov_b32_e32 v14, 0x80
	;; [unrolled: 1-line block ×6, first 2 shown]
	v_mul_f32_e32 v1, 0x4f7ffffe, v1
	v_mov_b32_e32 v19, 0
	v_mov_b32_e32 v20, 0
	;; [unrolled: 1-line block ×3, first 2 shown]
	v_add_nc_u32_e32 v26, 0x60, v8
	v_cvt_u32_f32_e32 v1, v1
	v_mov_b32_e32 v28, v11
	s_mov_b32 s12, s17
	s_mov_b32 s17, 0
	v_mul_lo_u32 v6, s2, v1
	s_lshl_b64 s[2:3], s[28:29], 2
	s_add_u32 s2, s26, s2
	s_addc_u32 s3, s27, s3
	v_add_co_u32 v3, s2, s2, v4
	v_add_co_ci_u32_e64 v4, null, s3, 0, s2
	v_mul_hi_u32 v9, v1, v6
	v_add_co_u32 v5, s2, s18, v7
	v_add_co_ci_u32_e64 v6, null, s0, 0, s2
	s_mov_b32 s2, -1
	s_mov_b32 s3, 0xffffff
	v_add_nc_u32_e32 v27, v1, v9
	s_branch .LBB274_291
.LBB274_289:                            ;   in Loop: Header=BB274_291 Depth=1
	s_or_b32 exec_lo, exec_lo, s0
	;;#ASMSTART
	v_pk_mul_f16 v29, v42, v47;

	;;#ASMEND
	;;#ASMSTART
	v_pk_mul_f16 v8, v41, v8;

	;;#ASMEND
	;; [unrolled: 4-line block ×4, first 2 shown]
	;;#ASMSTART
	v_pk_add_f16 v8, v29, v8;

	;;#ASMEND
	;;#ASMSTART
	v_pk_add_f16 v7, v8, v7;

	;;#ASMEND
	;; [unrolled: 4-line block ×3, first 2 shown]
	v_and_b32_e32 v29, 0xffff, v1
	v_lshrrev_b32_e32 v30, 16, v1
	v_add_f32_e32 v1, v9, v10
	;;#ASMSTART
	v_cvt_f32_f16 v9, v29;
	;;#ASMEND
	v_add_f32_e32 v7, v43, v44
	v_add_f32_e32 v8, v37, v38
	;;#ASMSTART
	v_cvt_f32_f16 v10, v30;
	;;#ASMEND
	v_add_f32_e32 v9, v9, v10
	v_add_f32_e32 v19, v19, v1
	;; [unrolled: 1-line block ×5, first 2 shown]
.LBB274_290:                            ;   in Loop: Header=BB274_291 Depth=1
	s_or_b32 exec_lo, exec_lo, s18
	v_add_nc_u32_e32 v28, 4, v28
	v_add_co_u32 v3, s0, v3, 16
	v_add_co_ci_u32_e64 v4, null, 0, v4, s0
	v_cmp_le_i32_e32 vcc_lo, s20, v28
	v_add_nc_u32_e32 v13, 0x80, v13
	v_add_nc_u32_e32 v26, 0x200, v26
	s_or_b32 s17, vcc_lo, s17
	s_andn2_b32 exec_lo, exec_lo, s17
	s_cbranch_execz .LBB274_556
.LBB274_291:                            ; =>This Inner Loop Header: Depth=1
	v_mul_hi_u32 v1, v13, s19
	v_mul_lo_u32 v7, v1, s16
	v_add_nc_u32_e32 v8, 1, v1
	v_sub_nc_u32_e32 v7, v13, v7
	v_subrev_nc_u32_e32 v9, s16, v7
	v_cmp_le_u32_e32 vcc_lo, s16, v7
	v_cndmask_b32_e32 v1, v1, v8, vcc_lo
	v_cndmask_b32_e32 v7, v7, v9, vcc_lo
	v_add_nc_u32_e32 v8, 1, v1
	v_cmp_le_u32_e32 vcc_lo, s16, v7
	v_cndmask_b32_e32 v1, v1, v8, vcc_lo
	v_xor_b32_e32 v1, s23, v1
	v_subrev_nc_u32_e32 v1, s23, v1
	v_add_nc_u32_e32 v7, s25, v1
	v_cmp_lt_i32_e64 s0, s4, v1
	v_sub_nc_u32_e32 v8, 0, v7
	v_max_i32_e32 v8, v7, v8
	v_ashrrev_i32_e32 v7, 31, v7
	v_mul_hi_u32 v9, v8, v27
	v_mul_lo_u32 v9, v9, s5
	v_sub_nc_u32_e32 v8, v8, v9
	v_subrev_nc_u32_e32 v9, s5, v8
	v_cmp_le_u32_e32 vcc_lo, s5, v8
	v_cndmask_b32_e32 v8, v8, v9, vcc_lo
	v_subrev_nc_u32_e32 v9, s5, v8
	v_cmp_le_u32_e32 vcc_lo, s5, v8
	v_cndmask_b32_e32 v8, v8, v9, vcc_lo
	v_xor_b32_e32 v8, v8, v7
	v_sub_nc_u32_e32 v7, v8, v7
	v_cmp_eq_u32_e32 vcc_lo, 0, v7
	s_or_b32 s0, vcc_lo, s0
	s_and_saveexec_b32 s18, s0
	s_cbranch_execz .LBB274_290
; %bb.292:                              ;   in Loop: Header=BB274_291 Depth=1
	global_load_dword v1, v[3:4], off
	ds_read2_b64 v[29:32], v26 offset1:1
	ds_read2_b64 v[33:36], v26 offset0:2 offset1:3
	s_waitcnt lgkmcnt(1)
	;;#ASMSTART
	v_cvt_f16_f32 v37, v29;

	;;#ASMEND
	;;#ASMSTART
	v_cvt_f16_f32 v38, v30;

	;;#ASMEND
	;; [unrolled: 4-line block ×4, first 2 shown]
	s_waitcnt lgkmcnt(0)
	;;#ASMSTART
	v_cvt_f16_f32 v42, v33;

	;;#ASMEND
	;;#ASMSTART
	v_cvt_f16_f32 v40, v34;

	;;#ASMEND
	;;#ASMSTART
	v_cvt_f16_f32 v44, v35;

	;;#ASMEND
	;;#ASMSTART
	v_cvt_f16_f32 v43, v36;

	;;#ASMEND
	v_mov_b32_e32 v31, 0
	v_mov_b32_e32 v32, 0
	global_load_dword v30, v31, s[14:15]
	s_waitcnt vmcnt(1)
	v_mad_i64_i32 v[7:8], null, v1, s12, v[5:6]
	global_load_dwordx2 v[9:10], v[7:8], off
	s_waitcnt vmcnt(0)
	v_cmp_ne_u16_sdwa s21, v9, v2 src0_sel:BYTE_0 src1_sel:DWORD
	s_and_saveexec_b32 s0, s21
	s_cbranch_execz .LBB274_300
; %bb.293:                              ;   in Loop: Header=BB274_291 Depth=1
	v_cmp_ne_u16_sdwa s22, v9, v14 src0_sel:BYTE_0 src1_sel:DWORD
	v_mov_b32_e32 v32, 0x8000
	s_and_saveexec_b32 s21, s22
	s_cbranch_execz .LBB274_299
; %bb.294:                              ;   in Loop: Header=BB274_291 Depth=1
	v_and_b32_e32 v33, 0x7f, v9
	v_mov_b32_e32 v32, 0x7c01
	s_mov_b32 s22, exec_lo
	v_cmpx_ne_u32_e32 0x7f, v33
	s_cbranch_execz .LBB274_298
; %bb.295:                              ;   in Loop: Header=BB274_291 Depth=1
	v_and_b32_e32 v1, 7, v9
	v_lshrrev_b32_e32 v29, 3, v33
	s_mov_b32 s26, exec_lo
	v_cmpx_gt_u32_e32 8, v33
; %bb.296:                              ;   in Loop: Header=BB274_291 Depth=1
	v_ffbh_u32_e32 v1, v1
	v_min_u32_e32 v1, 32, v1
	v_subrev_nc_u32_e32 v29, 28, v1
	v_lshlrev_b64 v[32:33], v29, v[9:10]
	v_sub_nc_u32_e32 v29, 29, v1
	v_and_b32_e32 v1, 7, v32
; %bb.297:                              ;   in Loop: Header=BB274_291 Depth=1
	s_or_b32 exec_lo, exec_lo, s26
	v_lshlrev_b32_e32 v32, 8, v9
	v_lshl_add_u32 v29, v29, 10, 0x2000
	v_lshlrev_b32_e32 v1, 7, v1
	v_and_b32_e32 v32, 0x8000, v32
	v_and_b32_e32 v29, 0xfc00, v29
	v_or3_b32 v32, v32, v29, v1
.LBB274_298:                            ;   in Loop: Header=BB274_291 Depth=1
	s_or_b32 exec_lo, exec_lo, s22
.LBB274_299:                            ;   in Loop: Header=BB274_291 Depth=1
	s_or_b32 exec_lo, exec_lo, s21
.LBB274_300:                            ;   in Loop: Header=BB274_291 Depth=1
	s_or_b32 exec_lo, exec_lo, s0
	v_lshrrev_b16 v1, 8, v9
	s_mov_b32 s0, exec_lo
	v_cmpx_ne_u16_e32 0, v1
	s_cbranch_execz .LBB274_308
; %bb.301:                              ;   in Loop: Header=BB274_291 Depth=1
	v_bfrev_b32_e32 v31, 1
	s_mov_b32 s21, exec_lo
	v_cmpx_ne_u16_e32 0x80, v1
	s_cbranch_execz .LBB274_307
; %bb.302:                              ;   in Loop: Header=BB274_291 Depth=1
	v_and_b32_sdwa v33, v1, v22 dst_sel:DWORD dst_unused:UNUSED_PAD src0_sel:WORD_0 src1_sel:DWORD
	v_mov_b32_e32 v31, 0x7c010000
	s_mov_b32 s22, exec_lo
	v_cmpx_ne_u32_e32 0x7f, v33
	s_cbranch_execz .LBB274_306
; %bb.303:                              ;   in Loop: Header=BB274_291 Depth=1
	v_and_b32_sdwa v29, v1, v23 dst_sel:DWORD dst_unused:UNUSED_PAD src0_sel:WORD_0 src1_sel:DWORD
	v_lshrrev_b32_e32 v31, 3, v33
	s_mov_b32 s26, exec_lo
	v_cmpx_gt_u32_e32 8, v33
; %bb.304:                              ;   in Loop: Header=BB274_291 Depth=1
	v_ffbh_u32_e32 v29, v29
	v_min_u32_e32 v29, 32, v29
	v_subrev_nc_u32_e32 v31, 28, v29
	v_lshlrev_b64 v[33:34], v31, v[1:2]
	v_sub_nc_u32_e32 v31, 29, v29
	v_and_b32_e32 v29, 7, v33
; %bb.305:                              ;   in Loop: Header=BB274_291 Depth=1
	s_or_b32 exec_lo, exec_lo, s26
	v_lshlrev_b32_sdwa v1, v24, v1 dst_sel:DWORD dst_unused:UNUSED_PAD src0_sel:DWORD src1_sel:WORD_0
	v_lshl_add_u32 v31, v31, 10, 0x2000
	v_lshlrev_b32_e32 v29, 23, v29
	v_and_or_b32 v1, 0x8000, v1, v31
	v_lshl_or_b32 v31, v1, 16, v29
.LBB274_306:                            ;   in Loop: Header=BB274_291 Depth=1
	s_or_b32 exec_lo, exec_lo, s22
.LBB274_307:                            ;   in Loop: Header=BB274_291 Depth=1
	s_or_b32 exec_lo, exec_lo, s21
.LBB274_308:                            ;   in Loop: Header=BB274_291 Depth=1
	s_or_b32 exec_lo, exec_lo, s0
	v_lshrrev_b32_e32 v1, 16, v9
	v_mov_b32_e32 v33, 0
	v_mov_b32_e32 v29, 0
	v_cmp_ne_u16_sdwa s21, v1, v2 src0_sel:BYTE_0 src1_sel:DWORD
	s_and_saveexec_b32 s0, s21
	s_cbranch_execz .LBB274_316
; %bb.309:                              ;   in Loop: Header=BB274_291 Depth=1
	v_cmp_ne_u16_sdwa s22, v1, v14 src0_sel:BYTE_0 src1_sel:DWORD
	v_mov_b32_e32 v29, 0x8000
	s_and_saveexec_b32 s21, s22
	s_cbranch_execz .LBB274_315
; %bb.310:                              ;   in Loop: Header=BB274_291 Depth=1
	v_bfe_u32 v35, v9, 16, 7
	v_mov_b32_e32 v29, 0x7c01
	s_mov_b32 s22, exec_lo
	v_cmpx_ne_u32_e32 0x7f, v35
	s_cbranch_execz .LBB274_314
; %bb.311:                              ;   in Loop: Header=BB274_291 Depth=1
	v_and_b32_e32 v29, 7, v1
	v_lshrrev_b32_e32 v34, 3, v35
	s_mov_b32 s26, exec_lo
	v_cmpx_gt_u32_e32 8, v35
; %bb.312:                              ;   in Loop: Header=BB274_291 Depth=1
	v_ffbh_u32_e32 v29, v29
	v_min_u32_e32 v29, 32, v29
	v_subrev_nc_u32_e32 v34, 28, v29
	v_lshlrev_b64 v[35:36], v34, v[1:2]
	v_sub_nc_u32_e32 v34, 29, v29
	v_and_b32_e32 v29, 7, v35
; %bb.313:                              ;   in Loop: Header=BB274_291 Depth=1
	s_or_b32 exec_lo, exec_lo, s26
	v_lshlrev_b32_e32 v1, 8, v1
	v_lshl_add_u32 v34, v34, 10, 0x2000
	v_lshlrev_b32_e32 v29, 7, v29
	v_and_b32_e32 v1, 0x8000, v1
	v_and_b32_e32 v34, 0xfc00, v34
	v_or3_b32 v29, v1, v34, v29
.LBB274_314:                            ;   in Loop: Header=BB274_291 Depth=1
	s_or_b32 exec_lo, exec_lo, s22
.LBB274_315:                            ;   in Loop: Header=BB274_291 Depth=1
	s_or_b32 exec_lo, exec_lo, s21
.LBB274_316:                            ;   in Loop: Header=BB274_291 Depth=1
	s_or_b32 exec_lo, exec_lo, s0
	s_mov_b32 s0, exec_lo
	v_cmpx_lt_u32_e32 0xffffff, v9
	s_cbranch_execz .LBB274_324
; %bb.317:                              ;   in Loop: Header=BB274_291 Depth=1
	v_lshrrev_b32_e32 v1, 24, v9
	v_bfrev_b32_e32 v33, 1
	s_mov_b32 s21, exec_lo
	v_cmpx_ne_u32_e32 0x80, v1
	s_cbranch_execz .LBB274_323
; %bb.318:                              ;   in Loop: Header=BB274_291 Depth=1
	v_and_b32_e32 v35, 0x7f, v1
	v_mov_b32_e32 v33, 0x7c010000
	s_mov_b32 s22, exec_lo
	v_cmpx_ne_u32_e32 0x7f, v35
	s_cbranch_execz .LBB274_322
; %bb.319:                              ;   in Loop: Header=BB274_291 Depth=1
	v_and_b32_e32 v33, 7, v1
	v_lshrrev_b32_e32 v34, 3, v35
	s_mov_b32 s26, exec_lo
	v_cmpx_gt_u32_e32 8, v35
; %bb.320:                              ;   in Loop: Header=BB274_291 Depth=1
	v_ffbh_u32_e32 v33, v33
	v_min_u32_e32 v35, 32, v33
	v_subrev_nc_u32_e32 v33, 28, v35
	v_lshlrev_b64 v[33:34], v33, v[1:2]
	v_sub_nc_u32_e32 v34, 29, v35
	v_and_b32_e32 v33, 7, v33
; %bb.321:                              ;   in Loop: Header=BB274_291 Depth=1
	s_or_b32 exec_lo, exec_lo, s26
	v_lshlrev_b32_e32 v1, 8, v1
	v_lshl_add_u32 v34, v34, 10, 0x2000
	v_lshlrev_b32_e32 v33, 23, v33
	v_and_or_b32 v1, 0x8000, v1, v34
	v_lshl_or_b32 v33, v1, 16, v33
.LBB274_322:                            ;   in Loop: Header=BB274_291 Depth=1
	s_or_b32 exec_lo, exec_lo, s22
.LBB274_323:                            ;   in Loop: Header=BB274_291 Depth=1
	s_or_b32 exec_lo, exec_lo, s21
.LBB274_324:                            ;   in Loop: Header=BB274_291 Depth=1
	s_or_b32 exec_lo, exec_lo, s0
	v_mov_b32_e32 v1, v10
	v_cmp_ne_u16_sdwa s21, v10, v2 src0_sel:BYTE_0 src1_sel:DWORD
	v_mov_b32_e32 v34, 0
	v_mov_b32_e32 v35, 0
	s_and_saveexec_b32 s0, s21
	s_cbranch_execz .LBB274_332
; %bb.325:                              ;   in Loop: Header=BB274_291 Depth=1
	v_cmp_ne_u16_sdwa s22, v10, v14 src0_sel:BYTE_0 src1_sel:DWORD
	v_mov_b32_e32 v35, 0x8000
	s_and_saveexec_b32 s21, s22
	s_cbranch_execz .LBB274_331
; %bb.326:                              ;   in Loop: Header=BB274_291 Depth=1
	v_and_b32_e32 v45, 0x7f, v10
	v_mov_b32_e32 v35, 0x7c01
	s_mov_b32 s22, exec_lo
	v_cmpx_ne_u32_e32 0x7f, v45
	s_cbranch_execz .LBB274_330
; %bb.327:                              ;   in Loop: Header=BB274_291 Depth=1
	v_and_b32_e32 v35, 7, v10
	v_lshrrev_b32_e32 v36, 3, v45
	s_mov_b32 s26, exec_lo
	v_cmpx_gt_u32_e32 8, v45
; %bb.328:                              ;   in Loop: Header=BB274_291 Depth=1
	v_ffbh_u32_e32 v35, v35
	v_min_u32_e32 v45, 32, v35
	v_subrev_nc_u32_e32 v35, 28, v45
	v_lshlrev_b64 v[35:36], v35, v[1:2]
	v_sub_nc_u32_e32 v36, 29, v45
	v_and_b32_e32 v35, 7, v35
; %bb.329:                              ;   in Loop: Header=BB274_291 Depth=1
	s_or_b32 exec_lo, exec_lo, s26
	v_lshlrev_b32_e32 v45, 8, v10
	v_lshl_add_u32 v36, v36, 10, 0x2000
	v_lshlrev_b32_e32 v35, 7, v35
	v_and_b32_e32 v45, 0x8000, v45
	v_and_b32_e32 v36, 0xfc00, v36
	v_or3_b32 v35, v45, v36, v35
.LBB274_330:                            ;   in Loop: Header=BB274_291 Depth=1
	s_or_b32 exec_lo, exec_lo, s22
.LBB274_331:                            ;   in Loop: Header=BB274_291 Depth=1
	s_or_b32 exec_lo, exec_lo, s21
.LBB274_332:                            ;   in Loop: Header=BB274_291 Depth=1
	s_or_b32 exec_lo, exec_lo, s0
	v_lshrrev_b16 v1, 8, v1
	v_mov_b32_e32 v36, 0
	s_mov_b32 s0, exec_lo
	v_cmpx_ne_u16_e32 0, v1
	s_cbranch_execz .LBB274_340
; %bb.333:                              ;   in Loop: Header=BB274_291 Depth=1
	v_bfrev_b32_e32 v36, 1
	s_mov_b32 s21, exec_lo
	v_cmpx_ne_u16_e32 0x80, v1
	s_cbranch_execz .LBB274_339
; %bb.334:                              ;   in Loop: Header=BB274_291 Depth=1
	v_and_b32_sdwa v46, v1, v22 dst_sel:DWORD dst_unused:UNUSED_PAD src0_sel:WORD_0 src1_sel:DWORD
	v_mov_b32_e32 v36, 0x7c010000
	s_mov_b32 s22, exec_lo
	v_cmpx_ne_u32_e32 0x7f, v46
	s_cbranch_execz .LBB274_338
; %bb.335:                              ;   in Loop: Header=BB274_291 Depth=1
	v_and_b32_sdwa v36, v1, v23 dst_sel:DWORD dst_unused:UNUSED_PAD src0_sel:WORD_0 src1_sel:DWORD
	v_lshrrev_b32_e32 v45, 3, v46
	s_mov_b32 s26, exec_lo
	v_cmpx_gt_u32_e32 8, v46
; %bb.336:                              ;   in Loop: Header=BB274_291 Depth=1
	v_ffbh_u32_e32 v36, v36
	v_min_u32_e32 v36, 32, v36
	v_subrev_nc_u32_e32 v45, 28, v36
	v_lshlrev_b64 v[46:47], v45, v[1:2]
	v_sub_nc_u32_e32 v45, 29, v36
	v_and_b32_e32 v36, 7, v46
; %bb.337:                              ;   in Loop: Header=BB274_291 Depth=1
	s_or_b32 exec_lo, exec_lo, s26
	v_lshlrev_b32_sdwa v1, v24, v1 dst_sel:DWORD dst_unused:UNUSED_PAD src0_sel:DWORD src1_sel:WORD_0
	v_lshl_add_u32 v45, v45, 10, 0x2000
	v_lshlrev_b32_e32 v36, 23, v36
	v_and_or_b32 v1, 0x8000, v1, v45
	v_lshl_or_b32 v36, v1, 16, v36
.LBB274_338:                            ;   in Loop: Header=BB274_291 Depth=1
	s_or_b32 exec_lo, exec_lo, s22
.LBB274_339:                            ;   in Loop: Header=BB274_291 Depth=1
	s_or_b32 exec_lo, exec_lo, s21
.LBB274_340:                            ;   in Loop: Header=BB274_291 Depth=1
	s_or_b32 exec_lo, exec_lo, s0
	v_lshrrev_b32_e32 v1, 16, v10
	v_cmp_ne_u16_sdwa s21, v1, v2 src0_sel:BYTE_0 src1_sel:DWORD
	s_and_saveexec_b32 s0, s21
	s_cbranch_execz .LBB274_348
; %bb.341:                              ;   in Loop: Header=BB274_291 Depth=1
	v_cmp_ne_u16_sdwa s22, v1, v14 src0_sel:BYTE_0 src1_sel:DWORD
	v_mov_b32_e32 v34, 0x8000
	s_and_saveexec_b32 s21, s22
	s_cbranch_execz .LBB274_347
; %bb.342:                              ;   in Loop: Header=BB274_291 Depth=1
	v_bfe_u32 v46, v10, 16, 7
	v_mov_b32_e32 v34, 0x7c01
	s_mov_b32 s22, exec_lo
	v_cmpx_ne_u32_e32 0x7f, v46
	s_cbranch_execz .LBB274_346
; %bb.343:                              ;   in Loop: Header=BB274_291 Depth=1
	v_and_b32_e32 v34, 7, v1
	v_lshrrev_b32_e32 v45, 3, v46
	s_mov_b32 s26, exec_lo
	v_cmpx_gt_u32_e32 8, v46
; %bb.344:                              ;   in Loop: Header=BB274_291 Depth=1
	v_ffbh_u32_e32 v34, v34
	v_min_u32_e32 v34, 32, v34
	v_subrev_nc_u32_e32 v45, 28, v34
	v_lshlrev_b64 v[46:47], v45, v[1:2]
	v_sub_nc_u32_e32 v45, 29, v34
	v_and_b32_e32 v34, 7, v46
; %bb.345:                              ;   in Loop: Header=BB274_291 Depth=1
	s_or_b32 exec_lo, exec_lo, s26
	v_lshlrev_b32_e32 v1, 8, v1
	v_lshl_add_u32 v45, v45, 10, 0x2000
	v_lshlrev_b32_e32 v34, 7, v34
	v_and_b32_e32 v1, 0x8000, v1
	v_and_b32_e32 v45, 0xfc00, v45
	v_or3_b32 v34, v1, v45, v34
.LBB274_346:                            ;   in Loop: Header=BB274_291 Depth=1
	s_or_b32 exec_lo, exec_lo, s22
.LBB274_347:                            ;   in Loop: Header=BB274_291 Depth=1
	s_or_b32 exec_lo, exec_lo, s21
.LBB274_348:                            ;   in Loop: Header=BB274_291 Depth=1
	s_or_b32 exec_lo, exec_lo, s0
	v_cmp_lt_u64_e32 vcc_lo, s[2:3], v[9:10]
	v_mov_b32_e32 v9, 0
	s_and_saveexec_b32 s0, vcc_lo
	s_cbranch_execz .LBB274_356
; %bb.349:                              ;   in Loop: Header=BB274_291 Depth=1
	v_lshrrev_b32_e32 v1, 24, v10
	v_bfrev_b32_e32 v9, 1
	s_mov_b32 s21, exec_lo
	v_cmpx_ne_u32_e32 0x80, v1
	s_cbranch_execz .LBB274_355
; %bb.350:                              ;   in Loop: Header=BB274_291 Depth=1
	v_and_b32_e32 v45, 0x7f, v1
	v_mov_b32_e32 v9, 0x7c010000
	s_mov_b32 s22, exec_lo
	v_cmpx_ne_u32_e32 0x7f, v45
	s_cbranch_execz .LBB274_354
; %bb.351:                              ;   in Loop: Header=BB274_291 Depth=1
	v_and_b32_e32 v9, 7, v1
	v_lshrrev_b32_e32 v10, 3, v45
	s_mov_b32 s26, exec_lo
	v_cmpx_gt_u32_e32 8, v45
; %bb.352:                              ;   in Loop: Header=BB274_291 Depth=1
	v_ffbh_u32_e32 v9, v9
	v_min_u32_e32 v45, 32, v9
	v_subrev_nc_u32_e32 v9, 28, v45
	v_lshlrev_b64 v[9:10], v9, v[1:2]
	v_sub_nc_u32_e32 v10, 29, v45
	v_and_b32_e32 v9, 7, v9
; %bb.353:                              ;   in Loop: Header=BB274_291 Depth=1
	s_or_b32 exec_lo, exec_lo, s26
	v_lshlrev_b32_e32 v1, 8, v1
	v_lshl_add_u32 v10, v10, 10, 0x2000
	v_lshlrev_b32_e32 v9, 23, v9
	v_and_or_b32 v1, 0x8000, v1, v10
	v_lshl_or_b32 v9, v1, 16, v9
.LBB274_354:                            ;   in Loop: Header=BB274_291 Depth=1
	s_or_b32 exec_lo, exec_lo, s22
.LBB274_355:                            ;   in Loop: Header=BB274_291 Depth=1
	s_or_b32 exec_lo, exec_lo, s21
.LBB274_356:                            ;   in Loop: Header=BB274_291 Depth=1
	s_or_b32 exec_lo, exec_lo, s0
	v_or_b32_e32 v1, v33, v29
	v_fma_mixlo_f16 v10, v30, v33, 0 op_sel:[0,1,0] op_sel_hi:[0,1,0]
	v_or_b32_e32 v32, v31, v32
	v_fma_mixlo_f16 v31, v30, v31, 0 op_sel:[0,1,0] op_sel_hi:[0,1,0]
	v_or_b32_e32 v33, v36, v35
	v_fma_mixlo_f16 v1, v30, v1, 0 op_sel_hi:[0,1,0]
	v_or_b32_e32 v34, v9, v34
	v_fma_mixlo_f16 v9, v30, v9, 0 op_sel:[0,1,0] op_sel_hi:[0,1,0]
	v_lshlrev_b32_e32 v51, 16, v31
	v_fma_mixlo_f16 v31, v30, v36, 0 op_sel:[0,1,0] op_sel_hi:[0,1,0]
	v_and_b32_e32 v48, 0xffff, v1
	v_fma_mixlo_f16 v1, v30, v32, 0 op_sel_hi:[0,1,0]
	v_fma_mixlo_f16 v32, v30, v33, 0 op_sel_hi:[0,1,0]
	;; [unrolled: 1-line block ×3, first 2 shown]
	v_add_nc_u32_e32 v29, v25, v13
	v_lshlrev_b32_e32 v10, 16, v10
	v_and_b32_e32 v53, 0xffff, v1
	v_lshlrev_b32_e32 v49, 16, v31
	v_and_b32_e32 v52, 0xffff, v32
	;; [unrolled: 2-line block ×3, first 2 shown]
	v_cmp_eq_u32_e32 vcc_lo, s13, v28
	v_or_b32_e32 v1, v10, v48
	v_or_b32_e32 v9, v51, v53
	;; [unrolled: 1-line block ×4, first 2 shown]
	v_add_nc_u32_e32 v36, 1, v29
	v_add_nc_u32_e32 v35, 2, v29
	;; [unrolled: 1-line block ×7, first 2 shown]
	s_and_saveexec_b32 s21, vcc_lo
	s_cbranch_execz .LBB274_358
; %bb.357:                              ;   in Loop: Header=BB274_291 Depth=1
	v_cmp_gt_i32_e64 s0, s33, v29
	v_cndmask_b32_e64 v1, 0, v53, s0
	v_cmp_gt_i32_e64 s0, s33, v36
	v_cndmask_b32_e64 v9, 0, v51, s0
	v_cmp_gt_i32_e64 s0, s33, v35
	v_or_b32_e32 v9, v9, v1
	v_cndmask_b32_e64 v45, 0, v48, s0
	v_cmp_gt_i32_e64 s0, s33, v34
	v_cndmask_b32_e64 v10, 0, v10, s0
	v_cmp_gt_i32_e64 s0, s33, v33
	v_or_b32_e32 v1, v10, v45
	;; [unrolled: 5-line block ×3, first 2 shown]
	v_cndmask_b32_e64 v49, 0, v50, s0
	v_cmp_gt_i32_e64 s0, s33, v30
	v_cndmask_b32_e64 v46, 0, v46, s0
	v_or_b32_e32 v47, v46, v49
.LBB274_358:                            ;   in Loop: Header=BB274_291 Depth=1
	s_or_b32 exec_lo, exec_lo, s21
	v_and_b32_e32 v10, 0xffff, v37
	v_and_b32_e32 v37, 0xffff, v41
	;; [unrolled: 1-line block ×4, first 2 shown]
	v_lshl_or_b32 v42, v38, 16, v10
	v_lshl_or_b32 v41, v39, 16, v37
	;;#ASMSTART
	v_pk_mul_f16 v9, v42, v9;

	;;#ASMEND
	;;#ASMSTART
	v_pk_mul_f16 v1, v41, v1;

	;;#ASMEND
	v_lshl_or_b32 v40, v40, 16, v46
	v_lshl_or_b32 v39, v43, 16, v44
	;;#ASMSTART
	v_pk_mul_f16 v10, v40, v45;

	;;#ASMEND
	;;#ASMSTART
	v_pk_mul_f16 v37, v39, v47;

	;;#ASMEND
	;;#ASMSTART
	v_pk_add_f16 v1, v9, v1;

	;;#ASMEND
	;;#ASMSTART
	v_pk_add_f16 v1, v1, v10;
	;; [unrolled: 4-line block ×3, first 2 shown]

	;;#ASMEND
	v_and_b32_e32 v9, 0xffff, v1
	v_lshrrev_b32_e32 v1, 16, v1
	;;#ASMSTART
	v_cvt_f32_f16 v37, v9;
	;;#ASMEND
	;;#ASMSTART
	v_cvt_f32_f16 v38, v1;
	;;#ASMEND
	global_load_dwordx2 v[9:10], v[7:8], off offset:256
	v_mov_b32_e32 v44, 0
	v_mov_b32_e32 v45, 0
	global_load_dword v43, v44, s[14:15]
	s_waitcnt vmcnt(1)
	v_cmp_ne_u16_sdwa s0, v9, v2 src0_sel:BYTE_0 src1_sel:DWORD
	s_and_saveexec_b32 s21, s0
	s_cbranch_execz .LBB274_366
; %bb.359:                              ;   in Loop: Header=BB274_291 Depth=1
	v_cmp_ne_u16_sdwa s0, v9, v14 src0_sel:BYTE_0 src1_sel:DWORD
	v_mov_b32_e32 v45, 0x8000
	s_and_saveexec_b32 s22, s0
	s_cbranch_execz .LBB274_365
; %bb.360:                              ;   in Loop: Header=BB274_291 Depth=1
	v_and_b32_e32 v46, 0x7f, v9
	v_mov_b32_e32 v45, 0x7c01
	s_mov_b32 s26, exec_lo
	v_cmpx_ne_u32_e32 0x7f, v46
	s_cbranch_execz .LBB274_364
; %bb.361:                              ;   in Loop: Header=BB274_291 Depth=1
	v_and_b32_e32 v1, 7, v9
	v_lshrrev_b32_e32 v45, 3, v46
	s_mov_b32 s27, exec_lo
	v_cmpx_gt_u32_e32 8, v46
; %bb.362:                              ;   in Loop: Header=BB274_291 Depth=1
	v_ffbh_u32_e32 v1, v1
	v_min_u32_e32 v1, 32, v1
	v_subrev_nc_u32_e32 v45, 28, v1
	v_lshlrev_b64 v[46:47], v45, v[9:10]
	v_sub_nc_u32_e32 v45, 29, v1
	v_and_b32_e32 v1, 7, v46
; %bb.363:                              ;   in Loop: Header=BB274_291 Depth=1
	s_or_b32 exec_lo, exec_lo, s27
	v_lshlrev_b32_e32 v46, 8, v9
	v_lshl_add_u32 v45, v45, 10, 0x2000
	v_lshlrev_b32_e32 v1, 7, v1
	v_and_b32_e32 v46, 0x8000, v46
	v_and_b32_e32 v45, 0xfc00, v45
	v_or3_b32 v45, v46, v45, v1
.LBB274_364:                            ;   in Loop: Header=BB274_291 Depth=1
	s_or_b32 exec_lo, exec_lo, s26
.LBB274_365:                            ;   in Loop: Header=BB274_291 Depth=1
	s_or_b32 exec_lo, exec_lo, s22
.LBB274_366:                            ;   in Loop: Header=BB274_291 Depth=1
	s_or_b32 exec_lo, exec_lo, s21
	v_lshrrev_b16 v1, 8, v9
	s_mov_b32 s21, exec_lo
	v_cmpx_ne_u16_e32 0, v1
	s_cbranch_execz .LBB274_374
; %bb.367:                              ;   in Loop: Header=BB274_291 Depth=1
	v_bfrev_b32_e32 v44, 1
	s_mov_b32 s22, exec_lo
	v_cmpx_ne_u16_e32 0x80, v1
	s_cbranch_execz .LBB274_373
; %bb.368:                              ;   in Loop: Header=BB274_291 Depth=1
	v_and_b32_sdwa v47, v1, v22 dst_sel:DWORD dst_unused:UNUSED_PAD src0_sel:WORD_0 src1_sel:DWORD
	v_mov_b32_e32 v44, 0x7c010000
	s_mov_b32 s26, exec_lo
	v_cmpx_ne_u32_e32 0x7f, v47
	s_cbranch_execz .LBB274_372
; %bb.369:                              ;   in Loop: Header=BB274_291 Depth=1
	v_and_b32_sdwa v44, v1, v23 dst_sel:DWORD dst_unused:UNUSED_PAD src0_sel:WORD_0 src1_sel:DWORD
	v_lshrrev_b32_e32 v46, 3, v47
	s_mov_b32 s27, exec_lo
	v_cmpx_gt_u32_e32 8, v47
; %bb.370:                              ;   in Loop: Header=BB274_291 Depth=1
	v_ffbh_u32_e32 v44, v44
	v_min_u32_e32 v44, 32, v44
	v_subrev_nc_u32_e32 v46, 28, v44
	v_lshlrev_b64 v[47:48], v46, v[1:2]
	v_sub_nc_u32_e32 v46, 29, v44
	v_and_b32_e32 v44, 7, v47
; %bb.371:                              ;   in Loop: Header=BB274_291 Depth=1
	s_or_b32 exec_lo, exec_lo, s27
	v_lshlrev_b32_sdwa v1, v24, v1 dst_sel:DWORD dst_unused:UNUSED_PAD src0_sel:DWORD src1_sel:WORD_0
	v_lshl_add_u32 v46, v46, 10, 0x2000
	v_lshlrev_b32_e32 v44, 23, v44
	v_and_or_b32 v1, 0x8000, v1, v46
	v_lshl_or_b32 v44, v1, 16, v44
.LBB274_372:                            ;   in Loop: Header=BB274_291 Depth=1
	s_or_b32 exec_lo, exec_lo, s26
.LBB274_373:                            ;   in Loop: Header=BB274_291 Depth=1
	s_or_b32 exec_lo, exec_lo, s22
.LBB274_374:                            ;   in Loop: Header=BB274_291 Depth=1
	s_or_b32 exec_lo, exec_lo, s21
	v_lshrrev_b32_e32 v1, 16, v9
	v_mov_b32_e32 v46, 0
	v_mov_b32_e32 v47, 0
	v_cmp_ne_u16_sdwa s0, v1, v2 src0_sel:BYTE_0 src1_sel:DWORD
	s_and_saveexec_b32 s21, s0
	s_cbranch_execz .LBB274_382
; %bb.375:                              ;   in Loop: Header=BB274_291 Depth=1
	v_cmp_ne_u16_sdwa s0, v1, v14 src0_sel:BYTE_0 src1_sel:DWORD
	v_mov_b32_e32 v47, 0x8000
	s_and_saveexec_b32 s22, s0
	s_cbranch_execz .LBB274_381
; %bb.376:                              ;   in Loop: Header=BB274_291 Depth=1
	v_bfe_u32 v49, v9, 16, 7
	v_mov_b32_e32 v47, 0x7c01
	s_mov_b32 s26, exec_lo
	v_cmpx_ne_u32_e32 0x7f, v49
	s_cbranch_execz .LBB274_380
; %bb.377:                              ;   in Loop: Header=BB274_291 Depth=1
	v_and_b32_e32 v47, 7, v1
	v_lshrrev_b32_e32 v48, 3, v49
	s_mov_b32 s27, exec_lo
	v_cmpx_gt_u32_e32 8, v49
; %bb.378:                              ;   in Loop: Header=BB274_291 Depth=1
	v_ffbh_u32_e32 v47, v47
	v_min_u32_e32 v49, 32, v47
	v_subrev_nc_u32_e32 v47, 28, v49
	v_lshlrev_b64 v[47:48], v47, v[1:2]
	v_sub_nc_u32_e32 v48, 29, v49
	v_and_b32_e32 v47, 7, v47
; %bb.379:                              ;   in Loop: Header=BB274_291 Depth=1
	s_or_b32 exec_lo, exec_lo, s27
	v_lshlrev_b32_e32 v1, 8, v1
	v_lshl_add_u32 v48, v48, 10, 0x2000
	v_lshlrev_b32_e32 v47, 7, v47
	v_and_b32_e32 v1, 0x8000, v1
	v_and_b32_e32 v48, 0xfc00, v48
	v_or3_b32 v47, v1, v48, v47
.LBB274_380:                            ;   in Loop: Header=BB274_291 Depth=1
	s_or_b32 exec_lo, exec_lo, s26
.LBB274_381:                            ;   in Loop: Header=BB274_291 Depth=1
	s_or_b32 exec_lo, exec_lo, s22
.LBB274_382:                            ;   in Loop: Header=BB274_291 Depth=1
	s_or_b32 exec_lo, exec_lo, s21
	s_mov_b32 s21, exec_lo
	v_cmpx_lt_u32_e32 0xffffff, v9
	s_cbranch_execz .LBB274_390
; %bb.383:                              ;   in Loop: Header=BB274_291 Depth=1
	v_lshrrev_b32_e32 v1, 24, v9
	v_bfrev_b32_e32 v46, 1
	s_mov_b32 s22, exec_lo
	v_cmpx_ne_u32_e32 0x80, v1
	s_cbranch_execz .LBB274_389
; %bb.384:                              ;   in Loop: Header=BB274_291 Depth=1
	v_and_b32_e32 v49, 0x7f, v1
	v_mov_b32_e32 v46, 0x7c010000
	s_mov_b32 s26, exec_lo
	v_cmpx_ne_u32_e32 0x7f, v49
	s_cbranch_execz .LBB274_388
; %bb.385:                              ;   in Loop: Header=BB274_291 Depth=1
	v_and_b32_e32 v46, 7, v1
	v_lshrrev_b32_e32 v48, 3, v49
	s_mov_b32 s27, exec_lo
	v_cmpx_gt_u32_e32 8, v49
; %bb.386:                              ;   in Loop: Header=BB274_291 Depth=1
	v_ffbh_u32_e32 v46, v46
	v_min_u32_e32 v46, 32, v46
	v_subrev_nc_u32_e32 v48, 28, v46
	v_lshlrev_b64 v[49:50], v48, v[1:2]
	v_sub_nc_u32_e32 v48, 29, v46
	v_and_b32_e32 v46, 7, v49
; %bb.387:                              ;   in Loop: Header=BB274_291 Depth=1
	s_or_b32 exec_lo, exec_lo, s27
	v_lshlrev_b32_e32 v1, 8, v1
	v_lshl_add_u32 v48, v48, 10, 0x2000
	v_lshlrev_b32_e32 v46, 23, v46
	v_and_or_b32 v1, 0x8000, v1, v48
	v_lshl_or_b32 v46, v1, 16, v46
.LBB274_388:                            ;   in Loop: Header=BB274_291 Depth=1
	s_or_b32 exec_lo, exec_lo, s26
.LBB274_389:                            ;   in Loop: Header=BB274_291 Depth=1
	s_or_b32 exec_lo, exec_lo, s22
.LBB274_390:                            ;   in Loop: Header=BB274_291 Depth=1
	s_or_b32 exec_lo, exec_lo, s21
	v_mov_b32_e32 v1, v10
	v_cmp_ne_u16_sdwa s0, v10, v2 src0_sel:BYTE_0 src1_sel:DWORD
	v_mov_b32_e32 v48, 0
	v_mov_b32_e32 v49, 0
	s_and_saveexec_b32 s21, s0
	s_cbranch_execz .LBB274_398
; %bb.391:                              ;   in Loop: Header=BB274_291 Depth=1
	v_cmp_ne_u16_sdwa s0, v10, v14 src0_sel:BYTE_0 src1_sel:DWORD
	v_mov_b32_e32 v49, 0x8000
	s_and_saveexec_b32 s22, s0
	s_cbranch_execz .LBB274_397
; %bb.392:                              ;   in Loop: Header=BB274_291 Depth=1
	v_and_b32_e32 v51, 0x7f, v10
	v_mov_b32_e32 v49, 0x7c01
	s_mov_b32 s26, exec_lo
	v_cmpx_ne_u32_e32 0x7f, v51
	s_cbranch_execz .LBB274_396
; %bb.393:                              ;   in Loop: Header=BB274_291 Depth=1
	v_and_b32_e32 v49, 7, v10
	v_lshrrev_b32_e32 v50, 3, v51
	s_mov_b32 s27, exec_lo
	v_cmpx_gt_u32_e32 8, v51
; %bb.394:                              ;   in Loop: Header=BB274_291 Depth=1
	v_ffbh_u32_e32 v49, v49
	v_min_u32_e32 v51, 32, v49
	v_subrev_nc_u32_e32 v49, 28, v51
	v_lshlrev_b64 v[49:50], v49, v[1:2]
	v_sub_nc_u32_e32 v50, 29, v51
	v_and_b32_e32 v49, 7, v49
; %bb.395:                              ;   in Loop: Header=BB274_291 Depth=1
	s_or_b32 exec_lo, exec_lo, s27
	v_lshlrev_b32_e32 v51, 8, v10
	v_lshl_add_u32 v50, v50, 10, 0x2000
	v_lshlrev_b32_e32 v49, 7, v49
	v_and_b32_e32 v51, 0x8000, v51
	v_and_b32_e32 v50, 0xfc00, v50
	v_or3_b32 v49, v51, v50, v49
.LBB274_396:                            ;   in Loop: Header=BB274_291 Depth=1
	s_or_b32 exec_lo, exec_lo, s26
.LBB274_397:                            ;   in Loop: Header=BB274_291 Depth=1
	s_or_b32 exec_lo, exec_lo, s22
.LBB274_398:                            ;   in Loop: Header=BB274_291 Depth=1
	s_or_b32 exec_lo, exec_lo, s21
	v_lshrrev_b16 v1, 8, v1
	v_mov_b32_e32 v50, 0
	s_mov_b32 s21, exec_lo
	v_cmpx_ne_u16_e32 0, v1
	s_cbranch_execz .LBB274_406
; %bb.399:                              ;   in Loop: Header=BB274_291 Depth=1
	v_bfrev_b32_e32 v50, 1
	s_mov_b32 s22, exec_lo
	v_cmpx_ne_u16_e32 0x80, v1
	s_cbranch_execz .LBB274_405
; %bb.400:                              ;   in Loop: Header=BB274_291 Depth=1
	v_and_b32_sdwa v52, v1, v22 dst_sel:DWORD dst_unused:UNUSED_PAD src0_sel:WORD_0 src1_sel:DWORD
	v_mov_b32_e32 v50, 0x7c010000
	s_mov_b32 s26, exec_lo
	v_cmpx_ne_u32_e32 0x7f, v52
	s_cbranch_execz .LBB274_404
; %bb.401:                              ;   in Loop: Header=BB274_291 Depth=1
	v_and_b32_sdwa v50, v1, v23 dst_sel:DWORD dst_unused:UNUSED_PAD src0_sel:WORD_0 src1_sel:DWORD
	v_lshrrev_b32_e32 v51, 3, v52
	s_mov_b32 s27, exec_lo
	v_cmpx_gt_u32_e32 8, v52
; %bb.402:                              ;   in Loop: Header=BB274_291 Depth=1
	v_ffbh_u32_e32 v50, v50
	v_min_u32_e32 v52, 32, v50
	v_subrev_nc_u32_e32 v50, 28, v52
	v_lshlrev_b64 v[50:51], v50, v[1:2]
	v_sub_nc_u32_e32 v51, 29, v52
	v_and_b32_e32 v50, 7, v50
; %bb.403:                              ;   in Loop: Header=BB274_291 Depth=1
	s_or_b32 exec_lo, exec_lo, s27
	v_lshlrev_b32_sdwa v1, v24, v1 dst_sel:DWORD dst_unused:UNUSED_PAD src0_sel:DWORD src1_sel:WORD_0
	v_lshl_add_u32 v51, v51, 10, 0x2000
	v_lshlrev_b32_e32 v50, 23, v50
	v_and_or_b32 v1, 0x8000, v1, v51
	v_lshl_or_b32 v50, v1, 16, v50
.LBB274_404:                            ;   in Loop: Header=BB274_291 Depth=1
	s_or_b32 exec_lo, exec_lo, s26
.LBB274_405:                            ;   in Loop: Header=BB274_291 Depth=1
	s_or_b32 exec_lo, exec_lo, s22
.LBB274_406:                            ;   in Loop: Header=BB274_291 Depth=1
	s_or_b32 exec_lo, exec_lo, s21
	v_lshrrev_b32_e32 v1, 16, v10
	v_cmp_ne_u16_sdwa s0, v1, v2 src0_sel:BYTE_0 src1_sel:DWORD
	s_and_saveexec_b32 s21, s0
	s_cbranch_execz .LBB274_414
; %bb.407:                              ;   in Loop: Header=BB274_291 Depth=1
	v_cmp_ne_u16_sdwa s0, v1, v14 src0_sel:BYTE_0 src1_sel:DWORD
	v_mov_b32_e32 v48, 0x8000
	s_and_saveexec_b32 s22, s0
	s_cbranch_execz .LBB274_413
; %bb.408:                              ;   in Loop: Header=BB274_291 Depth=1
	v_bfe_u32 v52, v10, 16, 7
	v_mov_b32_e32 v48, 0x7c01
	s_mov_b32 s26, exec_lo
	v_cmpx_ne_u32_e32 0x7f, v52
	s_cbranch_execz .LBB274_412
; %bb.409:                              ;   in Loop: Header=BB274_291 Depth=1
	v_and_b32_e32 v48, 7, v1
	v_lshrrev_b32_e32 v51, 3, v52
	s_mov_b32 s27, exec_lo
	v_cmpx_gt_u32_e32 8, v52
; %bb.410:                              ;   in Loop: Header=BB274_291 Depth=1
	v_ffbh_u32_e32 v48, v48
	v_min_u32_e32 v48, 32, v48
	v_subrev_nc_u32_e32 v51, 28, v48
	v_lshlrev_b64 v[52:53], v51, v[1:2]
	v_sub_nc_u32_e32 v51, 29, v48
	v_and_b32_e32 v48, 7, v52
; %bb.411:                              ;   in Loop: Header=BB274_291 Depth=1
	s_or_b32 exec_lo, exec_lo, s27
	v_lshlrev_b32_e32 v1, 8, v1
	v_lshl_add_u32 v51, v51, 10, 0x2000
	v_lshlrev_b32_e32 v48, 7, v48
	v_and_b32_e32 v1, 0x8000, v1
	v_and_b32_e32 v51, 0xfc00, v51
	v_or3_b32 v48, v1, v51, v48
.LBB274_412:                            ;   in Loop: Header=BB274_291 Depth=1
	s_or_b32 exec_lo, exec_lo, s26
.LBB274_413:                            ;   in Loop: Header=BB274_291 Depth=1
	s_or_b32 exec_lo, exec_lo, s22
.LBB274_414:                            ;   in Loop: Header=BB274_291 Depth=1
	s_or_b32 exec_lo, exec_lo, s21
	v_cmp_lt_u64_e64 s0, s[2:3], v[9:10]
	v_mov_b32_e32 v9, 0
	s_and_saveexec_b32 s21, s0
	s_cbranch_execz .LBB274_422
; %bb.415:                              ;   in Loop: Header=BB274_291 Depth=1
	v_lshrrev_b32_e32 v1, 24, v10
	v_bfrev_b32_e32 v9, 1
	s_mov_b32 s22, exec_lo
	v_cmpx_ne_u32_e32 0x80, v1
	s_cbranch_execz .LBB274_421
; %bb.416:                              ;   in Loop: Header=BB274_291 Depth=1
	v_and_b32_e32 v51, 0x7f, v1
	v_mov_b32_e32 v9, 0x7c010000
	s_mov_b32 s26, exec_lo
	v_cmpx_ne_u32_e32 0x7f, v51
	s_cbranch_execz .LBB274_420
; %bb.417:                              ;   in Loop: Header=BB274_291 Depth=1
	v_and_b32_e32 v9, 7, v1
	v_lshrrev_b32_e32 v10, 3, v51
	s_mov_b32 s27, exec_lo
	v_cmpx_gt_u32_e32 8, v51
; %bb.418:                              ;   in Loop: Header=BB274_291 Depth=1
	v_ffbh_u32_e32 v9, v9
	v_min_u32_e32 v51, 32, v9
	v_subrev_nc_u32_e32 v9, 28, v51
	v_lshlrev_b64 v[9:10], v9, v[1:2]
	v_sub_nc_u32_e32 v10, 29, v51
	v_and_b32_e32 v9, 7, v9
; %bb.419:                              ;   in Loop: Header=BB274_291 Depth=1
	s_or_b32 exec_lo, exec_lo, s27
	v_lshlrev_b32_e32 v1, 8, v1
	v_lshl_add_u32 v10, v10, 10, 0x2000
	v_lshlrev_b32_e32 v9, 23, v9
	v_and_or_b32 v1, 0x8000, v1, v10
	v_lshl_or_b32 v9, v1, 16, v9
.LBB274_420:                            ;   in Loop: Header=BB274_291 Depth=1
	s_or_b32 exec_lo, exec_lo, s26
.LBB274_421:                            ;   in Loop: Header=BB274_291 Depth=1
	s_or_b32 exec_lo, exec_lo, s22
.LBB274_422:                            ;   in Loop: Header=BB274_291 Depth=1
	s_or_b32 exec_lo, exec_lo, s21
	v_or_b32_e32 v1, v46, v47
	s_waitcnt vmcnt(0)
	v_fma_mixlo_f16 v10, v43, v46, 0 op_sel:[0,1,0] op_sel_hi:[0,1,0]
	v_or_b32_e32 v46, v44, v45
	v_fma_mixlo_f16 v44, v43, v44, 0 op_sel:[0,1,0] op_sel_hi:[0,1,0]
	v_or_b32_e32 v47, v50, v49
	v_or_b32_e32 v48, v9, v48
	v_fma_mixlo_f16 v49, v43, v1, 0 op_sel_hi:[0,1,0]
	v_fma_mixlo_f16 v9, v43, v9, 0 op_sel:[0,1,0] op_sel_hi:[0,1,0]
	v_lshlrev_b32_e32 v45, 16, v44
	v_fma_mixlo_f16 v44, v43, v46, 0 op_sel_hi:[0,1,0]
	v_fma_mixlo_f16 v46, v43, v50, 0 op_sel:[0,1,0] op_sel_hi:[0,1,0]
	v_fma_mixlo_f16 v47, v43, v47, 0 op_sel_hi:[0,1,0]
	v_fma_mixlo_f16 v48, v43, v48, 0 op_sel_hi:[0,1,0]
	v_lshlrev_b32_e32 v1, 16, v10
	v_and_b32_e32 v10, 0xffff, v49
	v_and_b32_e32 v51, 0xffff, v44
	v_lshlrev_b32_e32 v43, 16, v46
	v_and_b32_e32 v47, 0xffff, v47
	v_lshlrev_b32_e32 v9, 16, v9
	v_and_b32_e32 v44, 0xffff, v48
	v_or_b32_e32 v46, v1, v10
	v_or_b32_e32 v50, v45, v51
	v_or_b32_e32 v49, v43, v47
	v_or_b32_e32 v48, v9, v44
	s_and_saveexec_b32 s21, vcc_lo
	s_cbranch_execz .LBB274_424
; %bb.423:                              ;   in Loop: Header=BB274_291 Depth=1
	v_cmp_gt_i32_e64 s0, s33, v29
	v_cndmask_b32_e64 v46, 0, v51, s0
	v_cmp_gt_i32_e64 s0, s33, v36
	v_cndmask_b32_e64 v45, 0, v45, s0
	v_cmp_gt_i32_e64 s0, s33, v35
	v_or_b32_e32 v50, v45, v46
	v_cndmask_b32_e64 v10, 0, v10, s0
	v_cmp_gt_i32_e64 s0, s33, v34
	v_cndmask_b32_e64 v1, 0, v1, s0
	v_cmp_gt_i32_e64 s0, s33, v33
	v_or_b32_e32 v46, v1, v10
	;; [unrolled: 5-line block ×3, first 2 shown]
	v_cndmask_b32_e64 v44, 0, v44, s0
	v_cmp_gt_i32_e64 s0, s33, v30
	v_cndmask_b32_e64 v9, 0, v9, s0
	v_or_b32_e32 v48, v9, v44
.LBB274_424:                            ;   in Loop: Header=BB274_291 Depth=1
	s_or_b32 exec_lo, exec_lo, s21
	;;#ASMSTART
	v_pk_mul_f16 v1, v42, v50;

	;;#ASMEND
	;;#ASMSTART
	v_pk_mul_f16 v9, v41, v46;

	;;#ASMEND
	;; [unrolled: 4-line block ×4, first 2 shown]
	;;#ASMSTART
	v_pk_add_f16 v1, v1, v9;

	;;#ASMEND
	;;#ASMSTART
	v_pk_add_f16 v1, v1, v10;

	;;#ASMEND
	;; [unrolled: 4-line block ×3, first 2 shown]
	v_and_b32_e32 v9, 0xffff, v1
	v_lshrrev_b32_e32 v1, 16, v1
	;;#ASMSTART
	v_cvt_f32_f16 v43, v9;
	;;#ASMEND
	;;#ASMSTART
	v_cvt_f32_f16 v44, v1;
	;;#ASMEND
	global_load_dwordx2 v[9:10], v[7:8], off offset:512
	v_mov_b32_e32 v46, 0
	v_mov_b32_e32 v47, 0
	global_load_dword v45, v46, s[14:15]
	s_waitcnt vmcnt(1)
	v_cmp_ne_u16_sdwa s0, v9, v2 src0_sel:BYTE_0 src1_sel:DWORD
	s_and_saveexec_b32 s21, s0
	s_cbranch_execz .LBB274_432
; %bb.425:                              ;   in Loop: Header=BB274_291 Depth=1
	v_cmp_ne_u16_sdwa s0, v9, v14 src0_sel:BYTE_0 src1_sel:DWORD
	v_mov_b32_e32 v47, 0x8000
	s_and_saveexec_b32 s22, s0
	s_cbranch_execz .LBB274_431
; %bb.426:                              ;   in Loop: Header=BB274_291 Depth=1
	v_and_b32_e32 v48, 0x7f, v9
	v_mov_b32_e32 v47, 0x7c01
	s_mov_b32 s26, exec_lo
	v_cmpx_ne_u32_e32 0x7f, v48
	s_cbranch_execz .LBB274_430
; %bb.427:                              ;   in Loop: Header=BB274_291 Depth=1
	v_and_b32_e32 v1, 7, v9
	v_lshrrev_b32_e32 v47, 3, v48
	s_mov_b32 s27, exec_lo
	v_cmpx_gt_u32_e32 8, v48
; %bb.428:                              ;   in Loop: Header=BB274_291 Depth=1
	v_ffbh_u32_e32 v1, v1
	v_min_u32_e32 v1, 32, v1
	v_subrev_nc_u32_e32 v47, 28, v1
	v_lshlrev_b64 v[48:49], v47, v[9:10]
	v_sub_nc_u32_e32 v47, 29, v1
	v_and_b32_e32 v1, 7, v48
; %bb.429:                              ;   in Loop: Header=BB274_291 Depth=1
	s_or_b32 exec_lo, exec_lo, s27
	v_lshlrev_b32_e32 v48, 8, v9
	v_lshl_add_u32 v47, v47, 10, 0x2000
	v_lshlrev_b32_e32 v1, 7, v1
	v_and_b32_e32 v48, 0x8000, v48
	v_and_b32_e32 v47, 0xfc00, v47
	v_or3_b32 v47, v48, v47, v1
.LBB274_430:                            ;   in Loop: Header=BB274_291 Depth=1
	s_or_b32 exec_lo, exec_lo, s26
.LBB274_431:                            ;   in Loop: Header=BB274_291 Depth=1
	s_or_b32 exec_lo, exec_lo, s22
.LBB274_432:                            ;   in Loop: Header=BB274_291 Depth=1
	s_or_b32 exec_lo, exec_lo, s21
	v_lshrrev_b16 v1, 8, v9
	s_mov_b32 s21, exec_lo
	v_cmpx_ne_u16_e32 0, v1
	s_cbranch_execz .LBB274_440
; %bb.433:                              ;   in Loop: Header=BB274_291 Depth=1
	v_bfrev_b32_e32 v46, 1
	s_mov_b32 s22, exec_lo
	v_cmpx_ne_u16_e32 0x80, v1
	s_cbranch_execz .LBB274_439
; %bb.434:                              ;   in Loop: Header=BB274_291 Depth=1
	v_and_b32_sdwa v49, v1, v22 dst_sel:DWORD dst_unused:UNUSED_PAD src0_sel:WORD_0 src1_sel:DWORD
	v_mov_b32_e32 v46, 0x7c010000
	s_mov_b32 s26, exec_lo
	v_cmpx_ne_u32_e32 0x7f, v49
	s_cbranch_execz .LBB274_438
; %bb.435:                              ;   in Loop: Header=BB274_291 Depth=1
	v_and_b32_sdwa v46, v1, v23 dst_sel:DWORD dst_unused:UNUSED_PAD src0_sel:WORD_0 src1_sel:DWORD
	v_lshrrev_b32_e32 v48, 3, v49
	s_mov_b32 s27, exec_lo
	v_cmpx_gt_u32_e32 8, v49
; %bb.436:                              ;   in Loop: Header=BB274_291 Depth=1
	v_ffbh_u32_e32 v46, v46
	v_min_u32_e32 v46, 32, v46
	v_subrev_nc_u32_e32 v48, 28, v46
	v_lshlrev_b64 v[49:50], v48, v[1:2]
	v_sub_nc_u32_e32 v48, 29, v46
	v_and_b32_e32 v46, 7, v49
; %bb.437:                              ;   in Loop: Header=BB274_291 Depth=1
	s_or_b32 exec_lo, exec_lo, s27
	v_lshlrev_b32_sdwa v1, v24, v1 dst_sel:DWORD dst_unused:UNUSED_PAD src0_sel:DWORD src1_sel:WORD_0
	v_lshl_add_u32 v48, v48, 10, 0x2000
	v_lshlrev_b32_e32 v46, 23, v46
	v_and_or_b32 v1, 0x8000, v1, v48
	v_lshl_or_b32 v46, v1, 16, v46
.LBB274_438:                            ;   in Loop: Header=BB274_291 Depth=1
	s_or_b32 exec_lo, exec_lo, s26
.LBB274_439:                            ;   in Loop: Header=BB274_291 Depth=1
	s_or_b32 exec_lo, exec_lo, s22
.LBB274_440:                            ;   in Loop: Header=BB274_291 Depth=1
	s_or_b32 exec_lo, exec_lo, s21
	v_lshrrev_b32_e32 v1, 16, v9
	v_mov_b32_e32 v48, 0
	v_mov_b32_e32 v49, 0
	v_cmp_ne_u16_sdwa s0, v1, v2 src0_sel:BYTE_0 src1_sel:DWORD
	s_and_saveexec_b32 s21, s0
	s_cbranch_execz .LBB274_448
; %bb.441:                              ;   in Loop: Header=BB274_291 Depth=1
	v_cmp_ne_u16_sdwa s0, v1, v14 src0_sel:BYTE_0 src1_sel:DWORD
	v_mov_b32_e32 v49, 0x8000
	s_and_saveexec_b32 s22, s0
	s_cbranch_execz .LBB274_447
; %bb.442:                              ;   in Loop: Header=BB274_291 Depth=1
	v_bfe_u32 v51, v9, 16, 7
	v_mov_b32_e32 v49, 0x7c01
	s_mov_b32 s26, exec_lo
	v_cmpx_ne_u32_e32 0x7f, v51
	s_cbranch_execz .LBB274_446
; %bb.443:                              ;   in Loop: Header=BB274_291 Depth=1
	v_and_b32_e32 v49, 7, v1
	v_lshrrev_b32_e32 v50, 3, v51
	s_mov_b32 s27, exec_lo
	v_cmpx_gt_u32_e32 8, v51
; %bb.444:                              ;   in Loop: Header=BB274_291 Depth=1
	v_ffbh_u32_e32 v49, v49
	v_min_u32_e32 v51, 32, v49
	v_subrev_nc_u32_e32 v49, 28, v51
	v_lshlrev_b64 v[49:50], v49, v[1:2]
	v_sub_nc_u32_e32 v50, 29, v51
	v_and_b32_e32 v49, 7, v49
; %bb.445:                              ;   in Loop: Header=BB274_291 Depth=1
	s_or_b32 exec_lo, exec_lo, s27
	v_lshlrev_b32_e32 v1, 8, v1
	v_lshl_add_u32 v50, v50, 10, 0x2000
	v_lshlrev_b32_e32 v49, 7, v49
	v_and_b32_e32 v1, 0x8000, v1
	v_and_b32_e32 v50, 0xfc00, v50
	v_or3_b32 v49, v1, v50, v49
.LBB274_446:                            ;   in Loop: Header=BB274_291 Depth=1
	s_or_b32 exec_lo, exec_lo, s26
.LBB274_447:                            ;   in Loop: Header=BB274_291 Depth=1
	s_or_b32 exec_lo, exec_lo, s22
.LBB274_448:                            ;   in Loop: Header=BB274_291 Depth=1
	s_or_b32 exec_lo, exec_lo, s21
	s_mov_b32 s21, exec_lo
	v_cmpx_lt_u32_e32 0xffffff, v9
	s_cbranch_execz .LBB274_456
; %bb.449:                              ;   in Loop: Header=BB274_291 Depth=1
	v_lshrrev_b32_e32 v1, 24, v9
	v_bfrev_b32_e32 v48, 1
	s_mov_b32 s22, exec_lo
	v_cmpx_ne_u32_e32 0x80, v1
	s_cbranch_execz .LBB274_455
; %bb.450:                              ;   in Loop: Header=BB274_291 Depth=1
	v_and_b32_e32 v51, 0x7f, v1
	v_mov_b32_e32 v48, 0x7c010000
	s_mov_b32 s26, exec_lo
	v_cmpx_ne_u32_e32 0x7f, v51
	s_cbranch_execz .LBB274_454
; %bb.451:                              ;   in Loop: Header=BB274_291 Depth=1
	v_and_b32_e32 v48, 7, v1
	v_lshrrev_b32_e32 v50, 3, v51
	s_mov_b32 s27, exec_lo
	v_cmpx_gt_u32_e32 8, v51
; %bb.452:                              ;   in Loop: Header=BB274_291 Depth=1
	v_ffbh_u32_e32 v48, v48
	v_min_u32_e32 v48, 32, v48
	v_subrev_nc_u32_e32 v50, 28, v48
	v_lshlrev_b64 v[51:52], v50, v[1:2]
	v_sub_nc_u32_e32 v50, 29, v48
	v_and_b32_e32 v48, 7, v51
; %bb.453:                              ;   in Loop: Header=BB274_291 Depth=1
	s_or_b32 exec_lo, exec_lo, s27
	v_lshlrev_b32_e32 v1, 8, v1
	v_lshl_add_u32 v50, v50, 10, 0x2000
	v_lshlrev_b32_e32 v48, 23, v48
	v_and_or_b32 v1, 0x8000, v1, v50
	v_lshl_or_b32 v48, v1, 16, v48
.LBB274_454:                            ;   in Loop: Header=BB274_291 Depth=1
	s_or_b32 exec_lo, exec_lo, s26
.LBB274_455:                            ;   in Loop: Header=BB274_291 Depth=1
	s_or_b32 exec_lo, exec_lo, s22
.LBB274_456:                            ;   in Loop: Header=BB274_291 Depth=1
	s_or_b32 exec_lo, exec_lo, s21
	v_mov_b32_e32 v1, v10
	v_cmp_ne_u16_sdwa s0, v10, v2 src0_sel:BYTE_0 src1_sel:DWORD
	v_mov_b32_e32 v50, 0
	v_mov_b32_e32 v51, 0
	s_and_saveexec_b32 s21, s0
	s_cbranch_execz .LBB274_464
; %bb.457:                              ;   in Loop: Header=BB274_291 Depth=1
	v_cmp_ne_u16_sdwa s0, v10, v14 src0_sel:BYTE_0 src1_sel:DWORD
	v_mov_b32_e32 v51, 0x8000
	s_and_saveexec_b32 s22, s0
	s_cbranch_execz .LBB274_463
; %bb.458:                              ;   in Loop: Header=BB274_291 Depth=1
	v_and_b32_e32 v53, 0x7f, v10
	v_mov_b32_e32 v51, 0x7c01
	s_mov_b32 s26, exec_lo
	v_cmpx_ne_u32_e32 0x7f, v53
	s_cbranch_execz .LBB274_462
; %bb.459:                              ;   in Loop: Header=BB274_291 Depth=1
	v_and_b32_e32 v51, 7, v10
	v_lshrrev_b32_e32 v52, 3, v53
	s_mov_b32 s27, exec_lo
	v_cmpx_gt_u32_e32 8, v53
; %bb.460:                              ;   in Loop: Header=BB274_291 Depth=1
	v_ffbh_u32_e32 v51, v51
	v_min_u32_e32 v53, 32, v51
	v_subrev_nc_u32_e32 v51, 28, v53
	v_lshlrev_b64 v[51:52], v51, v[1:2]
	v_sub_nc_u32_e32 v52, 29, v53
	v_and_b32_e32 v51, 7, v51
; %bb.461:                              ;   in Loop: Header=BB274_291 Depth=1
	s_or_b32 exec_lo, exec_lo, s27
	v_lshlrev_b32_e32 v53, 8, v10
	v_lshl_add_u32 v52, v52, 10, 0x2000
	v_lshlrev_b32_e32 v51, 7, v51
	v_and_b32_e32 v53, 0x8000, v53
	v_and_b32_e32 v52, 0xfc00, v52
	v_or3_b32 v51, v53, v52, v51
.LBB274_462:                            ;   in Loop: Header=BB274_291 Depth=1
	s_or_b32 exec_lo, exec_lo, s26
.LBB274_463:                            ;   in Loop: Header=BB274_291 Depth=1
	s_or_b32 exec_lo, exec_lo, s22
.LBB274_464:                            ;   in Loop: Header=BB274_291 Depth=1
	s_or_b32 exec_lo, exec_lo, s21
	v_lshrrev_b16 v1, 8, v1
	v_mov_b32_e32 v52, 0
	s_mov_b32 s21, exec_lo
	v_cmpx_ne_u16_e32 0, v1
	s_cbranch_execz .LBB274_472
; %bb.465:                              ;   in Loop: Header=BB274_291 Depth=1
	v_bfrev_b32_e32 v52, 1
	s_mov_b32 s22, exec_lo
	v_cmpx_ne_u16_e32 0x80, v1
	s_cbranch_execz .LBB274_471
; %bb.466:                              ;   in Loop: Header=BB274_291 Depth=1
	v_and_b32_sdwa v54, v1, v22 dst_sel:DWORD dst_unused:UNUSED_PAD src0_sel:WORD_0 src1_sel:DWORD
	v_mov_b32_e32 v52, 0x7c010000
	s_mov_b32 s26, exec_lo
	v_cmpx_ne_u32_e32 0x7f, v54
	s_cbranch_execz .LBB274_470
; %bb.467:                              ;   in Loop: Header=BB274_291 Depth=1
	v_and_b32_sdwa v52, v1, v23 dst_sel:DWORD dst_unused:UNUSED_PAD src0_sel:WORD_0 src1_sel:DWORD
	v_lshrrev_b32_e32 v53, 3, v54
	s_mov_b32 s27, exec_lo
	v_cmpx_gt_u32_e32 8, v54
; %bb.468:                              ;   in Loop: Header=BB274_291 Depth=1
	v_ffbh_u32_e32 v52, v52
	v_min_u32_e32 v54, 32, v52
	v_subrev_nc_u32_e32 v52, 28, v54
	v_lshlrev_b64 v[52:53], v52, v[1:2]
	v_sub_nc_u32_e32 v53, 29, v54
	v_and_b32_e32 v52, 7, v52
; %bb.469:                              ;   in Loop: Header=BB274_291 Depth=1
	s_or_b32 exec_lo, exec_lo, s27
	v_lshlrev_b32_sdwa v1, v24, v1 dst_sel:DWORD dst_unused:UNUSED_PAD src0_sel:DWORD src1_sel:WORD_0
	v_lshl_add_u32 v53, v53, 10, 0x2000
	v_lshlrev_b32_e32 v52, 23, v52
	v_and_or_b32 v1, 0x8000, v1, v53
	v_lshl_or_b32 v52, v1, 16, v52
.LBB274_470:                            ;   in Loop: Header=BB274_291 Depth=1
	s_or_b32 exec_lo, exec_lo, s26
.LBB274_471:                            ;   in Loop: Header=BB274_291 Depth=1
	s_or_b32 exec_lo, exec_lo, s22
.LBB274_472:                            ;   in Loop: Header=BB274_291 Depth=1
	s_or_b32 exec_lo, exec_lo, s21
	v_lshrrev_b32_e32 v1, 16, v10
	v_cmp_ne_u16_sdwa s0, v1, v2 src0_sel:BYTE_0 src1_sel:DWORD
	s_and_saveexec_b32 s21, s0
	s_cbranch_execz .LBB274_480
; %bb.473:                              ;   in Loop: Header=BB274_291 Depth=1
	v_cmp_ne_u16_sdwa s0, v1, v14 src0_sel:BYTE_0 src1_sel:DWORD
	v_mov_b32_e32 v50, 0x8000
	s_and_saveexec_b32 s22, s0
	s_cbranch_execz .LBB274_479
; %bb.474:                              ;   in Loop: Header=BB274_291 Depth=1
	v_bfe_u32 v54, v10, 16, 7
	v_mov_b32_e32 v50, 0x7c01
	s_mov_b32 s26, exec_lo
	v_cmpx_ne_u32_e32 0x7f, v54
	s_cbranch_execz .LBB274_478
; %bb.475:                              ;   in Loop: Header=BB274_291 Depth=1
	v_and_b32_e32 v50, 7, v1
	v_lshrrev_b32_e32 v53, 3, v54
	s_mov_b32 s27, exec_lo
	v_cmpx_gt_u32_e32 8, v54
; %bb.476:                              ;   in Loop: Header=BB274_291 Depth=1
	v_ffbh_u32_e32 v50, v50
	v_min_u32_e32 v50, 32, v50
	v_subrev_nc_u32_e32 v53, 28, v50
	v_lshlrev_b64 v[54:55], v53, v[1:2]
	v_sub_nc_u32_e32 v53, 29, v50
	v_and_b32_e32 v50, 7, v54
; %bb.477:                              ;   in Loop: Header=BB274_291 Depth=1
	s_or_b32 exec_lo, exec_lo, s27
	v_lshlrev_b32_e32 v1, 8, v1
	v_lshl_add_u32 v53, v53, 10, 0x2000
	v_lshlrev_b32_e32 v50, 7, v50
	v_and_b32_e32 v1, 0x8000, v1
	v_and_b32_e32 v53, 0xfc00, v53
	v_or3_b32 v50, v1, v53, v50
.LBB274_478:                            ;   in Loop: Header=BB274_291 Depth=1
	s_or_b32 exec_lo, exec_lo, s26
.LBB274_479:                            ;   in Loop: Header=BB274_291 Depth=1
	s_or_b32 exec_lo, exec_lo, s22
.LBB274_480:                            ;   in Loop: Header=BB274_291 Depth=1
	s_or_b32 exec_lo, exec_lo, s21
	v_cmp_lt_u64_e64 s0, s[2:3], v[9:10]
	v_mov_b32_e32 v9, 0
	s_and_saveexec_b32 s21, s0
	s_cbranch_execz .LBB274_488
; %bb.481:                              ;   in Loop: Header=BB274_291 Depth=1
	v_lshrrev_b32_e32 v1, 24, v10
	v_bfrev_b32_e32 v9, 1
	s_mov_b32 s22, exec_lo
	v_cmpx_ne_u32_e32 0x80, v1
	s_cbranch_execz .LBB274_487
; %bb.482:                              ;   in Loop: Header=BB274_291 Depth=1
	v_and_b32_e32 v53, 0x7f, v1
	v_mov_b32_e32 v9, 0x7c010000
	s_mov_b32 s26, exec_lo
	v_cmpx_ne_u32_e32 0x7f, v53
	s_cbranch_execz .LBB274_486
; %bb.483:                              ;   in Loop: Header=BB274_291 Depth=1
	v_and_b32_e32 v9, 7, v1
	v_lshrrev_b32_e32 v10, 3, v53
	s_mov_b32 s27, exec_lo
	v_cmpx_gt_u32_e32 8, v53
; %bb.484:                              ;   in Loop: Header=BB274_291 Depth=1
	v_ffbh_u32_e32 v9, v9
	v_min_u32_e32 v53, 32, v9
	v_subrev_nc_u32_e32 v9, 28, v53
	v_lshlrev_b64 v[9:10], v9, v[1:2]
	v_sub_nc_u32_e32 v10, 29, v53
	v_and_b32_e32 v9, 7, v9
; %bb.485:                              ;   in Loop: Header=BB274_291 Depth=1
	s_or_b32 exec_lo, exec_lo, s27
	v_lshlrev_b32_e32 v1, 8, v1
	v_lshl_add_u32 v10, v10, 10, 0x2000
	v_lshlrev_b32_e32 v9, 23, v9
	v_and_or_b32 v1, 0x8000, v1, v10
	v_lshl_or_b32 v9, v1, 16, v9
.LBB274_486:                            ;   in Loop: Header=BB274_291 Depth=1
	s_or_b32 exec_lo, exec_lo, s26
.LBB274_487:                            ;   in Loop: Header=BB274_291 Depth=1
	s_or_b32 exec_lo, exec_lo, s22
.LBB274_488:                            ;   in Loop: Header=BB274_291 Depth=1
	s_or_b32 exec_lo, exec_lo, s21
	v_or_b32_e32 v1, v48, v49
	s_waitcnt vmcnt(0)
	v_fma_mixlo_f16 v10, v45, v48, 0 op_sel:[0,1,0] op_sel_hi:[0,1,0]
	v_or_b32_e32 v48, v46, v47
	v_fma_mixlo_f16 v46, v45, v46, 0 op_sel:[0,1,0] op_sel_hi:[0,1,0]
	v_or_b32_e32 v49, v52, v51
	v_or_b32_e32 v50, v9, v50
	v_fma_mixlo_f16 v51, v45, v1, 0 op_sel_hi:[0,1,0]
	v_fma_mixlo_f16 v9, v45, v9, 0 op_sel:[0,1,0] op_sel_hi:[0,1,0]
	v_lshlrev_b32_e32 v47, 16, v46
	v_fma_mixlo_f16 v46, v45, v48, 0 op_sel_hi:[0,1,0]
	v_fma_mixlo_f16 v48, v45, v52, 0 op_sel:[0,1,0] op_sel_hi:[0,1,0]
	v_fma_mixlo_f16 v49, v45, v49, 0 op_sel_hi:[0,1,0]
	v_fma_mixlo_f16 v50, v45, v50, 0 op_sel_hi:[0,1,0]
	v_lshlrev_b32_e32 v1, 16, v10
	v_and_b32_e32 v10, 0xffff, v51
	v_and_b32_e32 v53, 0xffff, v46
	v_lshlrev_b32_e32 v45, 16, v48
	v_and_b32_e32 v49, 0xffff, v49
	v_lshlrev_b32_e32 v9, 16, v9
	v_and_b32_e32 v46, 0xffff, v50
	v_or_b32_e32 v48, v1, v10
	v_or_b32_e32 v52, v47, v53
	;; [unrolled: 1-line block ×4, first 2 shown]
	s_and_saveexec_b32 s21, vcc_lo
	s_cbranch_execz .LBB274_490
; %bb.489:                              ;   in Loop: Header=BB274_291 Depth=1
	v_cmp_gt_i32_e64 s0, s33, v29
	v_cndmask_b32_e64 v48, 0, v53, s0
	v_cmp_gt_i32_e64 s0, s33, v36
	v_cndmask_b32_e64 v47, 0, v47, s0
	v_cmp_gt_i32_e64 s0, s33, v35
	v_or_b32_e32 v52, v47, v48
	v_cndmask_b32_e64 v10, 0, v10, s0
	v_cmp_gt_i32_e64 s0, s33, v34
	v_cndmask_b32_e64 v1, 0, v1, s0
	v_cmp_gt_i32_e64 s0, s33, v33
	v_or_b32_e32 v48, v1, v10
	v_cndmask_b32_e64 v49, 0, v49, s0
	v_cmp_gt_i32_e64 s0, s33, v32
	v_cndmask_b32_e64 v45, 0, v45, s0
	v_cmp_gt_i32_e64 s0, s33, v31
	v_or_b32_e32 v51, v45, v49
	v_cndmask_b32_e64 v46, 0, v46, s0
	v_cmp_gt_i32_e64 s0, s33, v30
	v_cndmask_b32_e64 v9, 0, v9, s0
	v_or_b32_e32 v50, v9, v46
.LBB274_490:                            ;   in Loop: Header=BB274_291 Depth=1
	s_or_b32 exec_lo, exec_lo, s21
	;;#ASMSTART
	v_pk_mul_f16 v1, v42, v52;

	;;#ASMEND
	;;#ASMSTART
	v_pk_mul_f16 v9, v41, v48;

	;;#ASMEND
	;; [unrolled: 4-line block ×4, first 2 shown]
	;;#ASMSTART
	v_pk_add_f16 v1, v1, v9;

	;;#ASMEND
	;;#ASMSTART
	v_pk_add_f16 v1, v1, v10;

	;;#ASMEND
	;; [unrolled: 4-line block ×3, first 2 shown]
	v_and_b32_e32 v9, 0xffff, v1
	v_lshrrev_b32_e32 v1, 16, v1
	;;#ASMSTART
	v_cvt_f32_f16 v9, v9;
	;;#ASMEND
	;;#ASMSTART
	v_cvt_f32_f16 v10, v1;
	;;#ASMEND
	global_load_dwordx2 v[7:8], v[7:8], off offset:768
	v_mov_b32_e32 v46, 0
	v_mov_b32_e32 v47, 0
	global_load_dword v45, v46, s[14:15]
	s_waitcnt vmcnt(1)
	v_cmp_ne_u16_sdwa s0, v7, v2 src0_sel:BYTE_0 src1_sel:DWORD
	s_and_saveexec_b32 s21, s0
	s_cbranch_execz .LBB274_498
; %bb.491:                              ;   in Loop: Header=BB274_291 Depth=1
	v_cmp_ne_u16_sdwa s0, v7, v14 src0_sel:BYTE_0 src1_sel:DWORD
	v_mov_b32_e32 v47, 0x8000
	s_and_saveexec_b32 s22, s0
	s_cbranch_execz .LBB274_497
; %bb.492:                              ;   in Loop: Header=BB274_291 Depth=1
	v_and_b32_e32 v48, 0x7f, v7
	v_mov_b32_e32 v47, 0x7c01
	s_mov_b32 s26, exec_lo
	v_cmpx_ne_u32_e32 0x7f, v48
	s_cbranch_execz .LBB274_496
; %bb.493:                              ;   in Loop: Header=BB274_291 Depth=1
	v_and_b32_e32 v1, 7, v7
	v_lshrrev_b32_e32 v47, 3, v48
	s_mov_b32 s27, exec_lo
	v_cmpx_gt_u32_e32 8, v48
; %bb.494:                              ;   in Loop: Header=BB274_291 Depth=1
	v_ffbh_u32_e32 v1, v1
	v_min_u32_e32 v1, 32, v1
	v_subrev_nc_u32_e32 v47, 28, v1
	v_lshlrev_b64 v[48:49], v47, v[7:8]
	v_sub_nc_u32_e32 v47, 29, v1
	v_and_b32_e32 v1, 7, v48
; %bb.495:                              ;   in Loop: Header=BB274_291 Depth=1
	s_or_b32 exec_lo, exec_lo, s27
	v_lshlrev_b32_e32 v48, 8, v7
	v_lshl_add_u32 v47, v47, 10, 0x2000
	v_lshlrev_b32_e32 v1, 7, v1
	v_and_b32_e32 v48, 0x8000, v48
	v_and_b32_e32 v47, 0xfc00, v47
	v_or3_b32 v47, v48, v47, v1
.LBB274_496:                            ;   in Loop: Header=BB274_291 Depth=1
	s_or_b32 exec_lo, exec_lo, s26
.LBB274_497:                            ;   in Loop: Header=BB274_291 Depth=1
	s_or_b32 exec_lo, exec_lo, s22
.LBB274_498:                            ;   in Loop: Header=BB274_291 Depth=1
	s_or_b32 exec_lo, exec_lo, s21
	v_lshrrev_b16 v1, 8, v7
	s_mov_b32 s21, exec_lo
	v_cmpx_ne_u16_e32 0, v1
	s_cbranch_execz .LBB274_506
; %bb.499:                              ;   in Loop: Header=BB274_291 Depth=1
	v_bfrev_b32_e32 v46, 1
	s_mov_b32 s22, exec_lo
	v_cmpx_ne_u16_e32 0x80, v1
	s_cbranch_execz .LBB274_505
; %bb.500:                              ;   in Loop: Header=BB274_291 Depth=1
	v_and_b32_sdwa v49, v1, v22 dst_sel:DWORD dst_unused:UNUSED_PAD src0_sel:WORD_0 src1_sel:DWORD
	v_mov_b32_e32 v46, 0x7c010000
	s_mov_b32 s26, exec_lo
	v_cmpx_ne_u32_e32 0x7f, v49
	s_cbranch_execz .LBB274_504
; %bb.501:                              ;   in Loop: Header=BB274_291 Depth=1
	v_and_b32_sdwa v46, v1, v23 dst_sel:DWORD dst_unused:UNUSED_PAD src0_sel:WORD_0 src1_sel:DWORD
	v_lshrrev_b32_e32 v48, 3, v49
	s_mov_b32 s27, exec_lo
	v_cmpx_gt_u32_e32 8, v49
; %bb.502:                              ;   in Loop: Header=BB274_291 Depth=1
	v_ffbh_u32_e32 v46, v46
	v_min_u32_e32 v46, 32, v46
	v_subrev_nc_u32_e32 v48, 28, v46
	v_lshlrev_b64 v[49:50], v48, v[1:2]
	v_sub_nc_u32_e32 v48, 29, v46
	v_and_b32_e32 v46, 7, v49
; %bb.503:                              ;   in Loop: Header=BB274_291 Depth=1
	s_or_b32 exec_lo, exec_lo, s27
	v_lshlrev_b32_sdwa v1, v24, v1 dst_sel:DWORD dst_unused:UNUSED_PAD src0_sel:DWORD src1_sel:WORD_0
	v_lshl_add_u32 v48, v48, 10, 0x2000
	v_lshlrev_b32_e32 v46, 23, v46
	v_and_or_b32 v1, 0x8000, v1, v48
	v_lshl_or_b32 v46, v1, 16, v46
.LBB274_504:                            ;   in Loop: Header=BB274_291 Depth=1
	s_or_b32 exec_lo, exec_lo, s26
.LBB274_505:                            ;   in Loop: Header=BB274_291 Depth=1
	s_or_b32 exec_lo, exec_lo, s22
.LBB274_506:                            ;   in Loop: Header=BB274_291 Depth=1
	s_or_b32 exec_lo, exec_lo, s21
	v_lshrrev_b32_e32 v1, 16, v7
	v_mov_b32_e32 v48, 0
	v_mov_b32_e32 v49, 0
	v_cmp_ne_u16_sdwa s0, v1, v2 src0_sel:BYTE_0 src1_sel:DWORD
	s_and_saveexec_b32 s21, s0
	s_cbranch_execz .LBB274_514
; %bb.507:                              ;   in Loop: Header=BB274_291 Depth=1
	v_cmp_ne_u16_sdwa s0, v1, v14 src0_sel:BYTE_0 src1_sel:DWORD
	v_mov_b32_e32 v49, 0x8000
	s_and_saveexec_b32 s22, s0
	s_cbranch_execz .LBB274_513
; %bb.508:                              ;   in Loop: Header=BB274_291 Depth=1
	v_bfe_u32 v51, v7, 16, 7
	v_mov_b32_e32 v49, 0x7c01
	s_mov_b32 s26, exec_lo
	v_cmpx_ne_u32_e32 0x7f, v51
	s_cbranch_execz .LBB274_512
; %bb.509:                              ;   in Loop: Header=BB274_291 Depth=1
	v_and_b32_e32 v49, 7, v1
	v_lshrrev_b32_e32 v50, 3, v51
	s_mov_b32 s27, exec_lo
	v_cmpx_gt_u32_e32 8, v51
; %bb.510:                              ;   in Loop: Header=BB274_291 Depth=1
	v_ffbh_u32_e32 v49, v49
	v_min_u32_e32 v51, 32, v49
	v_subrev_nc_u32_e32 v49, 28, v51
	v_lshlrev_b64 v[49:50], v49, v[1:2]
	v_sub_nc_u32_e32 v50, 29, v51
	v_and_b32_e32 v49, 7, v49
; %bb.511:                              ;   in Loop: Header=BB274_291 Depth=1
	s_or_b32 exec_lo, exec_lo, s27
	v_lshlrev_b32_e32 v1, 8, v1
	v_lshl_add_u32 v50, v50, 10, 0x2000
	v_lshlrev_b32_e32 v49, 7, v49
	v_and_b32_e32 v1, 0x8000, v1
	v_and_b32_e32 v50, 0xfc00, v50
	v_or3_b32 v49, v1, v50, v49
.LBB274_512:                            ;   in Loop: Header=BB274_291 Depth=1
	s_or_b32 exec_lo, exec_lo, s26
.LBB274_513:                            ;   in Loop: Header=BB274_291 Depth=1
	s_or_b32 exec_lo, exec_lo, s22
.LBB274_514:                            ;   in Loop: Header=BB274_291 Depth=1
	s_or_b32 exec_lo, exec_lo, s21
	s_mov_b32 s21, exec_lo
	v_cmpx_lt_u32_e32 0xffffff, v7
	s_cbranch_execz .LBB274_522
; %bb.515:                              ;   in Loop: Header=BB274_291 Depth=1
	v_lshrrev_b32_e32 v1, 24, v7
	v_bfrev_b32_e32 v48, 1
	s_mov_b32 s22, exec_lo
	v_cmpx_ne_u32_e32 0x80, v1
	s_cbranch_execz .LBB274_521
; %bb.516:                              ;   in Loop: Header=BB274_291 Depth=1
	v_and_b32_e32 v51, 0x7f, v1
	v_mov_b32_e32 v48, 0x7c010000
	s_mov_b32 s26, exec_lo
	v_cmpx_ne_u32_e32 0x7f, v51
	s_cbranch_execz .LBB274_520
; %bb.517:                              ;   in Loop: Header=BB274_291 Depth=1
	v_and_b32_e32 v48, 7, v1
	v_lshrrev_b32_e32 v50, 3, v51
	s_mov_b32 s27, exec_lo
	v_cmpx_gt_u32_e32 8, v51
; %bb.518:                              ;   in Loop: Header=BB274_291 Depth=1
	v_ffbh_u32_e32 v48, v48
	v_min_u32_e32 v48, 32, v48
	v_subrev_nc_u32_e32 v50, 28, v48
	v_lshlrev_b64 v[51:52], v50, v[1:2]
	v_sub_nc_u32_e32 v50, 29, v48
	v_and_b32_e32 v48, 7, v51
; %bb.519:                              ;   in Loop: Header=BB274_291 Depth=1
	s_or_b32 exec_lo, exec_lo, s27
	v_lshlrev_b32_e32 v1, 8, v1
	v_lshl_add_u32 v50, v50, 10, 0x2000
	v_lshlrev_b32_e32 v48, 23, v48
	v_and_or_b32 v1, 0x8000, v1, v50
	v_lshl_or_b32 v48, v1, 16, v48
.LBB274_520:                            ;   in Loop: Header=BB274_291 Depth=1
	s_or_b32 exec_lo, exec_lo, s26
.LBB274_521:                            ;   in Loop: Header=BB274_291 Depth=1
	s_or_b32 exec_lo, exec_lo, s22
.LBB274_522:                            ;   in Loop: Header=BB274_291 Depth=1
	s_or_b32 exec_lo, exec_lo, s21
	v_mov_b32_e32 v1, v8
	v_cmp_ne_u16_sdwa s0, v8, v2 src0_sel:BYTE_0 src1_sel:DWORD
	v_mov_b32_e32 v50, 0
	v_mov_b32_e32 v51, 0
	s_and_saveexec_b32 s21, s0
	s_cbranch_execz .LBB274_530
; %bb.523:                              ;   in Loop: Header=BB274_291 Depth=1
	v_cmp_ne_u16_sdwa s0, v8, v14 src0_sel:BYTE_0 src1_sel:DWORD
	v_mov_b32_e32 v51, 0x8000
	s_and_saveexec_b32 s22, s0
	s_cbranch_execz .LBB274_529
; %bb.524:                              ;   in Loop: Header=BB274_291 Depth=1
	v_and_b32_e32 v53, 0x7f, v8
	v_mov_b32_e32 v51, 0x7c01
	s_mov_b32 s26, exec_lo
	v_cmpx_ne_u32_e32 0x7f, v53
	s_cbranch_execz .LBB274_528
; %bb.525:                              ;   in Loop: Header=BB274_291 Depth=1
	v_and_b32_e32 v51, 7, v8
	v_lshrrev_b32_e32 v52, 3, v53
	s_mov_b32 s27, exec_lo
	v_cmpx_gt_u32_e32 8, v53
; %bb.526:                              ;   in Loop: Header=BB274_291 Depth=1
	v_ffbh_u32_e32 v51, v51
	v_min_u32_e32 v53, 32, v51
	v_subrev_nc_u32_e32 v51, 28, v53
	v_lshlrev_b64 v[51:52], v51, v[1:2]
	v_sub_nc_u32_e32 v52, 29, v53
	v_and_b32_e32 v51, 7, v51
; %bb.527:                              ;   in Loop: Header=BB274_291 Depth=1
	s_or_b32 exec_lo, exec_lo, s27
	v_lshlrev_b32_e32 v53, 8, v8
	v_lshl_add_u32 v52, v52, 10, 0x2000
	v_lshlrev_b32_e32 v51, 7, v51
	v_and_b32_e32 v53, 0x8000, v53
	v_and_b32_e32 v52, 0xfc00, v52
	v_or3_b32 v51, v53, v52, v51
.LBB274_528:                            ;   in Loop: Header=BB274_291 Depth=1
	s_or_b32 exec_lo, exec_lo, s26
.LBB274_529:                            ;   in Loop: Header=BB274_291 Depth=1
	s_or_b32 exec_lo, exec_lo, s22
.LBB274_530:                            ;   in Loop: Header=BB274_291 Depth=1
	s_or_b32 exec_lo, exec_lo, s21
	v_lshrrev_b16 v1, 8, v1
	v_mov_b32_e32 v52, 0
	s_mov_b32 s21, exec_lo
	v_cmpx_ne_u16_e32 0, v1
	s_cbranch_execz .LBB274_538
; %bb.531:                              ;   in Loop: Header=BB274_291 Depth=1
	v_bfrev_b32_e32 v52, 1
	s_mov_b32 s22, exec_lo
	v_cmpx_ne_u16_e32 0x80, v1
	s_cbranch_execz .LBB274_537
; %bb.532:                              ;   in Loop: Header=BB274_291 Depth=1
	v_and_b32_sdwa v54, v1, v22 dst_sel:DWORD dst_unused:UNUSED_PAD src0_sel:WORD_0 src1_sel:DWORD
	v_mov_b32_e32 v52, 0x7c010000
	s_mov_b32 s26, exec_lo
	v_cmpx_ne_u32_e32 0x7f, v54
	s_cbranch_execz .LBB274_536
; %bb.533:                              ;   in Loop: Header=BB274_291 Depth=1
	v_and_b32_sdwa v52, v1, v23 dst_sel:DWORD dst_unused:UNUSED_PAD src0_sel:WORD_0 src1_sel:DWORD
	v_lshrrev_b32_e32 v53, 3, v54
	s_mov_b32 s27, exec_lo
	v_cmpx_gt_u32_e32 8, v54
; %bb.534:                              ;   in Loop: Header=BB274_291 Depth=1
	v_ffbh_u32_e32 v52, v52
	v_min_u32_e32 v54, 32, v52
	v_subrev_nc_u32_e32 v52, 28, v54
	v_lshlrev_b64 v[52:53], v52, v[1:2]
	v_sub_nc_u32_e32 v53, 29, v54
	v_and_b32_e32 v52, 7, v52
; %bb.535:                              ;   in Loop: Header=BB274_291 Depth=1
	s_or_b32 exec_lo, exec_lo, s27
	v_lshlrev_b32_sdwa v1, v24, v1 dst_sel:DWORD dst_unused:UNUSED_PAD src0_sel:DWORD src1_sel:WORD_0
	v_lshl_add_u32 v53, v53, 10, 0x2000
	v_lshlrev_b32_e32 v52, 23, v52
	v_and_or_b32 v1, 0x8000, v1, v53
	v_lshl_or_b32 v52, v1, 16, v52
.LBB274_536:                            ;   in Loop: Header=BB274_291 Depth=1
	s_or_b32 exec_lo, exec_lo, s26
.LBB274_537:                            ;   in Loop: Header=BB274_291 Depth=1
	s_or_b32 exec_lo, exec_lo, s22
.LBB274_538:                            ;   in Loop: Header=BB274_291 Depth=1
	s_or_b32 exec_lo, exec_lo, s21
	v_lshrrev_b32_e32 v1, 16, v8
	v_cmp_ne_u16_sdwa s0, v1, v2 src0_sel:BYTE_0 src1_sel:DWORD
	s_and_saveexec_b32 s21, s0
	s_cbranch_execz .LBB274_546
; %bb.539:                              ;   in Loop: Header=BB274_291 Depth=1
	v_cmp_ne_u16_sdwa s0, v1, v14 src0_sel:BYTE_0 src1_sel:DWORD
	v_mov_b32_e32 v50, 0x8000
	s_and_saveexec_b32 s22, s0
	s_cbranch_execz .LBB274_545
; %bb.540:                              ;   in Loop: Header=BB274_291 Depth=1
	v_bfe_u32 v54, v8, 16, 7
	v_mov_b32_e32 v50, 0x7c01
	s_mov_b32 s26, exec_lo
	v_cmpx_ne_u32_e32 0x7f, v54
	s_cbranch_execz .LBB274_544
; %bb.541:                              ;   in Loop: Header=BB274_291 Depth=1
	v_and_b32_e32 v50, 7, v1
	v_lshrrev_b32_e32 v53, 3, v54
	s_mov_b32 s27, exec_lo
	v_cmpx_gt_u32_e32 8, v54
; %bb.542:                              ;   in Loop: Header=BB274_291 Depth=1
	v_ffbh_u32_e32 v50, v50
	v_min_u32_e32 v50, 32, v50
	v_subrev_nc_u32_e32 v53, 28, v50
	v_lshlrev_b64 v[54:55], v53, v[1:2]
	v_sub_nc_u32_e32 v53, 29, v50
	v_and_b32_e32 v50, 7, v54
; %bb.543:                              ;   in Loop: Header=BB274_291 Depth=1
	s_or_b32 exec_lo, exec_lo, s27
	v_lshlrev_b32_e32 v1, 8, v1
	v_lshl_add_u32 v53, v53, 10, 0x2000
	v_lshlrev_b32_e32 v50, 7, v50
	v_and_b32_e32 v1, 0x8000, v1
	v_and_b32_e32 v53, 0xfc00, v53
	v_or3_b32 v50, v1, v53, v50
.LBB274_544:                            ;   in Loop: Header=BB274_291 Depth=1
	s_or_b32 exec_lo, exec_lo, s26
.LBB274_545:                            ;   in Loop: Header=BB274_291 Depth=1
	s_or_b32 exec_lo, exec_lo, s22
.LBB274_546:                            ;   in Loop: Header=BB274_291 Depth=1
	s_or_b32 exec_lo, exec_lo, s21
	v_cmp_lt_u64_e64 s0, s[2:3], v[7:8]
	v_mov_b32_e32 v7, 0
	s_and_saveexec_b32 s21, s0
	s_cbranch_execz .LBB274_554
; %bb.547:                              ;   in Loop: Header=BB274_291 Depth=1
	v_lshrrev_b32_e32 v1, 24, v8
	v_bfrev_b32_e32 v7, 1
	s_mov_b32 s22, exec_lo
	v_cmpx_ne_u32_e32 0x80, v1
	s_cbranch_execz .LBB274_553
; %bb.548:                              ;   in Loop: Header=BB274_291 Depth=1
	v_and_b32_e32 v53, 0x7f, v1
	v_mov_b32_e32 v7, 0x7c010000
	s_mov_b32 s26, exec_lo
	v_cmpx_ne_u32_e32 0x7f, v53
	s_cbranch_execz .LBB274_552
; %bb.549:                              ;   in Loop: Header=BB274_291 Depth=1
	v_and_b32_e32 v7, 7, v1
	v_lshrrev_b32_e32 v8, 3, v53
	s_mov_b32 s27, exec_lo
	v_cmpx_gt_u32_e32 8, v53
; %bb.550:                              ;   in Loop: Header=BB274_291 Depth=1
	v_ffbh_u32_e32 v7, v7
	v_min_u32_e32 v53, 32, v7
	v_subrev_nc_u32_e32 v7, 28, v53
	v_lshlrev_b64 v[7:8], v7, v[1:2]
	v_sub_nc_u32_e32 v8, 29, v53
	v_and_b32_e32 v7, 7, v7
; %bb.551:                              ;   in Loop: Header=BB274_291 Depth=1
	s_or_b32 exec_lo, exec_lo, s27
	v_lshlrev_b32_e32 v1, 8, v1
	v_lshl_add_u32 v8, v8, 10, 0x2000
	v_lshlrev_b32_e32 v7, 23, v7
	v_and_or_b32 v1, 0x8000, v1, v8
	v_lshl_or_b32 v7, v1, 16, v7
.LBB274_552:                            ;   in Loop: Header=BB274_291 Depth=1
	s_or_b32 exec_lo, exec_lo, s26
.LBB274_553:                            ;   in Loop: Header=BB274_291 Depth=1
	s_or_b32 exec_lo, exec_lo, s22
.LBB274_554:                            ;   in Loop: Header=BB274_291 Depth=1
	s_or_b32 exec_lo, exec_lo, s21
	v_or_b32_e32 v1, v48, v49
	s_waitcnt vmcnt(0)
	v_fma_mixlo_f16 v8, v45, v48, 0 op_sel:[0,1,0] op_sel_hi:[0,1,0]
	v_or_b32_e32 v47, v46, v47
	v_fma_mixlo_f16 v48, v45, v46, 0 op_sel:[0,1,0] op_sel_hi:[0,1,0]
	v_or_b32_e32 v49, v52, v51
	v_fma_mixlo_f16 v1, v45, v1, 0 op_sel_hi:[0,1,0]
	v_or_b32_e32 v50, v7, v50
	v_lshlrev_b32_e32 v46, 16, v8
	v_lshlrev_b32_e32 v51, 16, v48
	v_fma_mixlo_f16 v8, v45, v47, 0 op_sel_hi:[0,1,0]
	v_and_b32_e32 v48, 0xffff, v1
	v_fma_mixlo_f16 v1, v45, v52, 0 op_sel:[0,1,0] op_sel_hi:[0,1,0]
	v_fma_mixlo_f16 v47, v45, v49, 0 op_sel_hi:[0,1,0]
	v_fma_mixlo_f16 v7, v45, v7, 0 op_sel:[0,1,0] op_sel_hi:[0,1,0]
	v_fma_mixlo_f16 v50, v45, v50, 0 op_sel_hi:[0,1,0]
	v_and_b32_e32 v53, 0xffff, v8
	v_lshlrev_b32_e32 v49, 16, v1
	v_and_b32_e32 v52, 0xffff, v47
	v_lshlrev_b32_e32 v45, 16, v7
	v_and_b32_e32 v50, 0xffff, v50
	v_or_b32_e32 v8, v46, v48
	v_or_b32_e32 v47, v51, v53
	;; [unrolled: 1-line block ×4, first 2 shown]
	s_and_saveexec_b32 s0, vcc_lo
	s_cbranch_execz .LBB274_289
; %bb.555:                              ;   in Loop: Header=BB274_291 Depth=1
	v_cmp_gt_i32_e32 vcc_lo, s33, v29
	v_cndmask_b32_e32 v1, 0, v53, vcc_lo
	v_cmp_gt_i32_e32 vcc_lo, s33, v36
	v_cndmask_b32_e32 v7, 0, v51, vcc_lo
	v_cmp_gt_i32_e32 vcc_lo, s33, v35
	v_or_b32_e32 v47, v7, v1
	v_cndmask_b32_e32 v8, 0, v48, vcc_lo
	v_cmp_gt_i32_e32 vcc_lo, s33, v34
	v_cndmask_b32_e32 v29, 0, v46, vcc_lo
	v_cmp_gt_i32_e32 vcc_lo, s33, v33
	v_or_b32_e32 v8, v29, v8
	;; [unrolled: 5-line block ×3, first 2 shown]
	v_cndmask_b32_e32 v31, 0, v50, vcc_lo
	v_cmp_gt_i32_e32 vcc_lo, s33, v30
	v_cndmask_b32_e32 v30, 0, v45, vcc_lo
	v_or_b32_e32 v1, v30, v31
	s_branch .LBB274_289
.LBB274_556:
	s_or_b32 exec_lo, exec_lo, s17
.LBB274_557:
	s_or_b32 exec_lo, exec_lo, s1
	ds_bpermute_b32 v1, v16, v21
	ds_bpermute_b32 v2, v16, v20
	;; [unrolled: 1-line block ×4, first 2 shown]
	v_lshrrev_b32_e32 v5, 2, v12
	s_mov_b32 s0, exec_lo
	s_waitcnt lgkmcnt(0)
	s_barrier
	buffer_gl0_inv
	v_add_f32_e32 v1, v21, v1
	v_add_f32_e32 v2, v20, v2
	;; [unrolled: 1-line block ×4, first 2 shown]
	v_and_b32_e32 v4, 28, v12
	ds_bpermute_b32 v3, v17, v1
	ds_bpermute_b32 v9, v17, v2
	;; [unrolled: 1-line block ×4, first 2 shown]
	v_and_b32_e32 v12, 0x3c3, v0
	v_add_nc_u32_e32 v6, 0x60, v4
	s_waitcnt lgkmcnt(3)
	v_add_f32_e32 v4, v1, v3
	s_waitcnt lgkmcnt(2)
	v_add_f32_e32 v3, v2, v9
	;; [unrolled: 2-line block ×4, first 2 shown]
	v_cmpx_eq_u32_e32 64, v12
	s_cbranch_execz .LBB274_559
; %bb.558:
	v_lshl_add_u32 v7, v11, 7, v6
	v_add_nc_u32_e32 v8, 0xffffff00, v7
	v_add_nc_u32_e32 v9, 0xffffff20, v7
	;; [unrolled: 1-line block ×4, first 2 shown]
	ds_write_b32 v8, v4
	ds_write_b32 v9, v3
	;; [unrolled: 1-line block ×4, first 2 shown]
.LBB274_559:
	s_or_b32 exec_lo, exec_lo, s0
	v_and_b32_e32 v7, 0x3e0, v0
	v_lshlrev_b32_e32 v5, 2, v5
	s_mov_b32 s1, exec_lo
	v_cmp_eq_u32_e32 vcc_lo, 0, v15
	s_waitcnt lgkmcnt(0)
	v_lshlrev_b32_e32 v7, 2, v7
	s_barrier
	buffer_gl0_inv
	v_add3_u32 v5, 0x60, v7, v5
	v_cmpx_gt_u32_e32 64, v0
	s_cbranch_execz .LBB274_566
; %bb.560:
	s_and_saveexec_b32 s0, vcc_lo
	s_cbranch_execnz .LBB274_578
; %bb.561:
	s_or_b32 exec_lo, exec_lo, s0
	s_and_saveexec_b32 s0, vcc_lo
	s_cbranch_execnz .LBB274_579
.LBB274_562:
	s_or_b32 exec_lo, exec_lo, s0
	s_and_saveexec_b32 s0, vcc_lo
	s_cbranch_execnz .LBB274_580
.LBB274_563:
	s_or_b32 exec_lo, exec_lo, s0
	s_and_saveexec_b32 s0, vcc_lo
	s_cbranch_execz .LBB274_565
.LBB274_564:
	ds_read_b32 v7, v5 offset:96
	s_waitcnt lgkmcnt(0)
	v_add_f32_e32 v1, v1, v7
.LBB274_565:
	s_or_b32 exec_lo, exec_lo, s0
.LBB274_566:
	s_or_b32 exec_lo, exec_lo, s1
	v_and_b32_e32 v7, 0x3e3, v0
	s_mov_b32 s1, exec_lo
	s_barrier
	buffer_gl0_inv
	v_cmpx_eq_u32_e32 32, v7
	s_cbranch_execz .LBB274_568
; %bb.567:
	ds_write2_b32 v6, v4, v3 offset1:8
	ds_write2_b32 v6, v2, v1 offset0:16 offset1:24
.LBB274_568:
	s_or_b32 exec_lo, exec_lo, s1
	s_mov_b32 s1, exec_lo
	s_waitcnt lgkmcnt(0)
	s_barrier
	buffer_gl0_inv
	v_cmpx_gt_u32_e32 32, v0
	s_cbranch_execz .LBB274_575
; %bb.569:
	s_and_saveexec_b32 s0, vcc_lo
	s_cbranch_execnz .LBB274_581
; %bb.570:
	s_or_b32 exec_lo, exec_lo, s0
	s_and_saveexec_b32 s0, vcc_lo
	s_cbranch_execnz .LBB274_582
.LBB274_571:
	s_or_b32 exec_lo, exec_lo, s0
	s_and_saveexec_b32 s0, vcc_lo
	s_cbranch_execnz .LBB274_583
.LBB274_572:
	s_or_b32 exec_lo, exec_lo, s0
	s_and_saveexec_b32 s0, vcc_lo
	s_cbranch_execz .LBB274_574
.LBB274_573:
	ds_read_b32 v5, v5 offset:96
	s_waitcnt lgkmcnt(0)
	v_add_f32_e32 v1, v1, v5
.LBB274_574:
	s_or_b32 exec_lo, exec_lo, s0
.LBB274_575:
	s_or_b32 exec_lo, exec_lo, s1
	s_barrier
	buffer_gl0_inv
	s_mov_b32 s0, exec_lo
	v_cmpx_eq_u32_e32 0, v7
	s_cbranch_execz .LBB274_577
; %bb.576:
	s_mul_i32 s0, s10, s11
	s_mul_i32 s2, s11, s24
	;; [unrolled: 1-line block ×3, first 2 shown]
	v_lshrrev_b32_e32 v0, 1, v0
	s_lshl_b32 s0, s0, 5
	;;#ASMSTART
	v_cvt_f16_f32 v4, v4;

	;;#ASMEND
	s_ashr_i32 s1, s0, 31
	s_lshl_b64 s[0:1], s[0:1], 1
	s_add_u32 s4, s6, s0
	s_addc_u32 s5, s7, s1
	s_ashr_i32 s3, s2, 31
	s_lshl_b64 s[0:1], s[2:3], 1
	s_add_u32 s2, s4, s0
	s_addc_u32 s3, s5, s1
	s_lshl_b32 s0, s8, 5
	s_ashr_i32 s1, s0, 31
	s_lshl_b64 s[0:1], s[0:1], 1
	s_add_u32 s0, s2, s0
	s_addc_u32 s1, s3, s1
	global_store_short v0, v4, s[0:1]
	;;#ASMSTART
	v_cvt_f16_f32 v3, v3;

	;;#ASMEND
	global_store_short v0, v3, s[0:1] offset:16
	;;#ASMSTART
	v_cvt_f16_f32 v2, v2;

	;;#ASMEND
	global_store_short v0, v2, s[0:1] offset:32
	;; [unrolled: 5-line block ×3, first 2 shown]
.LBB274_577:
	s_endpgm
.LBB274_578:
	ds_read_b32 v7, v5
	s_waitcnt lgkmcnt(0)
	v_add_f32_e32 v4, v4, v7
	s_or_b32 exec_lo, exec_lo, s0
	s_and_saveexec_b32 s0, vcc_lo
	s_cbranch_execz .LBB274_562
.LBB274_579:
	ds_read_b32 v7, v5 offset:32
	s_waitcnt lgkmcnt(0)
	v_add_f32_e32 v3, v3, v7
	s_or_b32 exec_lo, exec_lo, s0
	s_and_saveexec_b32 s0, vcc_lo
	s_cbranch_execz .LBB274_563
.LBB274_580:
	ds_read_b32 v7, v5 offset:64
	s_waitcnt lgkmcnt(0)
	v_add_f32_e32 v2, v2, v7
	s_or_b32 exec_lo, exec_lo, s0
	s_and_saveexec_b32 s0, vcc_lo
	s_cbranch_execnz .LBB274_564
	s_branch .LBB274_565
.LBB274_581:
	ds_read_b32 v6, v5
	s_waitcnt lgkmcnt(0)
	v_add_f32_e32 v4, v4, v6
	s_or_b32 exec_lo, exec_lo, s0
	s_and_saveexec_b32 s0, vcc_lo
	s_cbranch_execz .LBB274_571
.LBB274_582:
	ds_read_b32 v6, v5 offset:32
	s_waitcnt lgkmcnt(0)
	v_add_f32_e32 v3, v3, v6
	s_or_b32 exec_lo, exec_lo, s0
	s_and_saveexec_b32 s0, vcc_lo
	s_cbranch_execz .LBB274_572
.LBB274_583:
	ds_read_b32 v6, v5 offset:64
	s_waitcnt lgkmcnt(0)
	v_add_f32_e32 v2, v2, v6
	s_or_b32 exec_lo, exec_lo, s0
	s_and_saveexec_b32 s0, vcc_lo
	s_cbranch_execnz .LBB274_573
	s_branch .LBB274_574
	.section	.rodata,"a",@progbits
	.p2align	6, 0x0
	.amdhsa_kernel _ZN4vllm25paged_attention_v1_kernelIthLi32ELi32ELi128ELNS_18Fp8KVCacheDataTypeE1ELb1EEEvPT_PKS2_PKT0_S8_ifPKiSA_iPKfiiiSC_SC_iiiii
		.amdhsa_group_segment_fixed_size 96
		.amdhsa_private_segment_fixed_size 0
		.amdhsa_kernarg_size 384
		.amdhsa_user_sgpr_count 6
		.amdhsa_user_sgpr_private_segment_buffer 1
		.amdhsa_user_sgpr_dispatch_ptr 0
		.amdhsa_user_sgpr_queue_ptr 0
		.amdhsa_user_sgpr_kernarg_segment_ptr 1
		.amdhsa_user_sgpr_dispatch_id 0
		.amdhsa_user_sgpr_flat_scratch_init 0
		.amdhsa_user_sgpr_private_segment_size 0
		.amdhsa_wavefront_size32 1
		.amdhsa_uses_dynamic_stack 0
		.amdhsa_system_sgpr_private_segment_wavefront_offset 0
		.amdhsa_system_sgpr_workgroup_id_x 1
		.amdhsa_system_sgpr_workgroup_id_y 1
		.amdhsa_system_sgpr_workgroup_id_z 1
		.amdhsa_system_sgpr_workgroup_info 0
		.amdhsa_system_vgpr_workitem_id 0
		.amdhsa_next_free_vgpr 78
		.amdhsa_next_free_sgpr 45
		.amdhsa_reserve_vcc 1
		.amdhsa_reserve_flat_scratch 0
		.amdhsa_float_round_mode_32 0
		.amdhsa_float_round_mode_16_64 0
		.amdhsa_float_denorm_mode_32 3
		.amdhsa_float_denorm_mode_16_64 3
		.amdhsa_dx10_clamp 1
		.amdhsa_ieee_mode 1
		.amdhsa_fp16_overflow 0
		.amdhsa_workgroup_processor_mode 1
		.amdhsa_memory_ordered 1
		.amdhsa_forward_progress 1
		.amdhsa_shared_vgpr_count 0
		.amdhsa_exception_fp_ieee_invalid_op 0
		.amdhsa_exception_fp_denorm_src 0
		.amdhsa_exception_fp_ieee_div_zero 0
		.amdhsa_exception_fp_ieee_overflow 0
		.amdhsa_exception_fp_ieee_underflow 0
		.amdhsa_exception_fp_ieee_inexact 0
		.amdhsa_exception_int_div_zero 0
	.end_amdhsa_kernel
	.section	.text._ZN4vllm25paged_attention_v1_kernelIthLi32ELi32ELi128ELNS_18Fp8KVCacheDataTypeE1ELb1EEEvPT_PKS2_PKT0_S8_ifPKiSA_iPKfiiiSC_SC_iiiii,"axG",@progbits,_ZN4vllm25paged_attention_v1_kernelIthLi32ELi32ELi128ELNS_18Fp8KVCacheDataTypeE1ELb1EEEvPT_PKS2_PKT0_S8_ifPKiSA_iPKfiiiSC_SC_iiiii,comdat
.Lfunc_end274:
	.size	_ZN4vllm25paged_attention_v1_kernelIthLi32ELi32ELi128ELNS_18Fp8KVCacheDataTypeE1ELb1EEEvPT_PKS2_PKT0_S8_ifPKiSA_iPKfiiiSC_SC_iiiii, .Lfunc_end274-_ZN4vllm25paged_attention_v1_kernelIthLi32ELi32ELi128ELNS_18Fp8KVCacheDataTypeE1ELb1EEEvPT_PKS2_PKT0_S8_ifPKiSA_iPKfiiiSC_SC_iiiii
                                        ; -- End function
	.set _ZN4vllm25paged_attention_v1_kernelIthLi32ELi32ELi128ELNS_18Fp8KVCacheDataTypeE1ELb1EEEvPT_PKS2_PKT0_S8_ifPKiSA_iPKfiiiSC_SC_iiiii.num_vgpr, 78
	.set _ZN4vllm25paged_attention_v1_kernelIthLi32ELi32ELi128ELNS_18Fp8KVCacheDataTypeE1ELb1EEEvPT_PKS2_PKT0_S8_ifPKiSA_iPKfiiiSC_SC_iiiii.num_agpr, 0
	.set _ZN4vllm25paged_attention_v1_kernelIthLi32ELi32ELi128ELNS_18Fp8KVCacheDataTypeE1ELb1EEEvPT_PKS2_PKT0_S8_ifPKiSA_iPKfiiiSC_SC_iiiii.numbered_sgpr, 45
	.set _ZN4vllm25paged_attention_v1_kernelIthLi32ELi32ELi128ELNS_18Fp8KVCacheDataTypeE1ELb1EEEvPT_PKS2_PKT0_S8_ifPKiSA_iPKfiiiSC_SC_iiiii.num_named_barrier, 0
	.set _ZN4vllm25paged_attention_v1_kernelIthLi32ELi32ELi128ELNS_18Fp8KVCacheDataTypeE1ELb1EEEvPT_PKS2_PKT0_S8_ifPKiSA_iPKfiiiSC_SC_iiiii.private_seg_size, 0
	.set _ZN4vllm25paged_attention_v1_kernelIthLi32ELi32ELi128ELNS_18Fp8KVCacheDataTypeE1ELb1EEEvPT_PKS2_PKT0_S8_ifPKiSA_iPKfiiiSC_SC_iiiii.uses_vcc, 1
	.set _ZN4vllm25paged_attention_v1_kernelIthLi32ELi32ELi128ELNS_18Fp8KVCacheDataTypeE1ELb1EEEvPT_PKS2_PKT0_S8_ifPKiSA_iPKfiiiSC_SC_iiiii.uses_flat_scratch, 0
	.set _ZN4vllm25paged_attention_v1_kernelIthLi32ELi32ELi128ELNS_18Fp8KVCacheDataTypeE1ELb1EEEvPT_PKS2_PKT0_S8_ifPKiSA_iPKfiiiSC_SC_iiiii.has_dyn_sized_stack, 0
	.set _ZN4vllm25paged_attention_v1_kernelIthLi32ELi32ELi128ELNS_18Fp8KVCacheDataTypeE1ELb1EEEvPT_PKS2_PKT0_S8_ifPKiSA_iPKfiiiSC_SC_iiiii.has_recursion, 0
	.set _ZN4vllm25paged_attention_v1_kernelIthLi32ELi32ELi128ELNS_18Fp8KVCacheDataTypeE1ELb1EEEvPT_PKS2_PKT0_S8_ifPKiSA_iPKfiiiSC_SC_iiiii.has_indirect_call, 0
	.section	.AMDGPU.csdata,"",@progbits
; Kernel info:
; codeLenInByte = 19872
; TotalNumSgprs: 47
; NumVgprs: 78
; ScratchSize: 0
; MemoryBound: 0
; FloatMode: 240
; IeeeMode: 1
; LDSByteSize: 96 bytes/workgroup (compile time only)
; SGPRBlocks: 0
; VGPRBlocks: 9
; NumSGPRsForWavesPerEU: 47
; NumVGPRsForWavesPerEU: 78
; Occupancy: 12
; WaveLimiterHint : 1
; COMPUTE_PGM_RSRC2:SCRATCH_EN: 0
; COMPUTE_PGM_RSRC2:USER_SGPR: 6
; COMPUTE_PGM_RSRC2:TRAP_HANDLER: 0
; COMPUTE_PGM_RSRC2:TGID_X_EN: 1
; COMPUTE_PGM_RSRC2:TGID_Y_EN: 1
; COMPUTE_PGM_RSRC2:TGID_Z_EN: 1
; COMPUTE_PGM_RSRC2:TIDIG_COMP_CNT: 0
	.section	.text._ZN4vllm25paged_attention_v1_kernelIthLi64ELi32ELi128ELNS_18Fp8KVCacheDataTypeE1ELb1EEEvPT_PKS2_PKT0_S8_ifPKiSA_iPKfiiiSC_SC_iiiii,"axG",@progbits,_ZN4vllm25paged_attention_v1_kernelIthLi64ELi32ELi128ELNS_18Fp8KVCacheDataTypeE1ELb1EEEvPT_PKS2_PKT0_S8_ifPKiSA_iPKfiiiSC_SC_iiiii,comdat
	.protected	_ZN4vllm25paged_attention_v1_kernelIthLi64ELi32ELi128ELNS_18Fp8KVCacheDataTypeE1ELb1EEEvPT_PKS2_PKT0_S8_ifPKiSA_iPKfiiiSC_SC_iiiii ; -- Begin function _ZN4vllm25paged_attention_v1_kernelIthLi64ELi32ELi128ELNS_18Fp8KVCacheDataTypeE1ELb1EEEvPT_PKS2_PKT0_S8_ifPKiSA_iPKfiiiSC_SC_iiiii
	.globl	_ZN4vllm25paged_attention_v1_kernelIthLi64ELi32ELi128ELNS_18Fp8KVCacheDataTypeE1ELb1EEEvPT_PKS2_PKT0_S8_ifPKiSA_iPKfiiiSC_SC_iiiii
	.p2align	8
	.type	_ZN4vllm25paged_attention_v1_kernelIthLi64ELi32ELi128ELNS_18Fp8KVCacheDataTypeE1ELb1EEEvPT_PKS2_PKT0_S8_ifPKiSA_iPKfiiiSC_SC_iiiii,@function
_ZN4vllm25paged_attention_v1_kernelIthLi64ELi32ELi128ELNS_18Fp8KVCacheDataTypeE1ELb1EEEvPT_PKS2_PKT0_S8_ifPKiSA_iPKfiiiSC_SC_iiiii: ; @_ZN4vllm25paged_attention_v1_kernelIthLi64ELi32ELi128ELNS_18Fp8KVCacheDataTypeE1ELb1EEEvPT_PKS2_PKT0_S8_ifPKiSA_iPKfiiiSC_SC_iiiii
; %bb.0:
	s_clause 0x2
	s_load_dword s9, s[4:5], 0x80
	s_load_dwordx2 s[0:1], s[4:5], 0x30
	s_load_dwordx2 s[2:3], s[4:5], 0x20
	s_mov_b32 s10, s7
	s_ashr_i32 s11, s7, 31
	s_mov_b32 s35, 0
	s_lshl_b64 s[12:13], s[10:11], 2
	s_waitcnt lgkmcnt(0)
	s_add_u32 s0, s0, s12
	s_addc_u32 s1, s1, s13
	s_abs_i32 s7, s2
	s_abs_i32 s13, s9
	v_cvt_f32_u32_e32 v1, s7
	s_sub_i32 s12, 0, s7
	v_rcp_iflag_f32_e32 v1, v1
	v_mul_f32_e32 v1, 0x4f7ffffe, v1
	v_cvt_u32_f32_e32 v1, v1
	v_readfirstlane_b32 s11, v1
	s_mul_i32 s12, s12, s11
	s_mul_hi_u32 s12, s11, s12
	s_add_i32 s11, s11, s12
	s_xor_b32 s12, s9, s2
	s_mul_hi_u32 s11, s13, s11
	s_ashr_i32 s12, s12, 31
	s_mul_i32 s14, s11, s7
	s_sub_i32 s13, s13, s14
	s_add_i32 s14, s11, 1
	s_sub_i32 s15, s13, s7
	s_cmp_ge_u32 s13, s7
	s_cselect_b32 s11, s14, s11
	s_cselect_b32 s13, s15, s13
	s_add_i32 s14, s11, 1
	s_cmp_ge_u32 s13, s7
	s_cselect_b32 s7, s14, s11
	s_xor_b32 s7, s7, s12
	s_sub_i32 s20, s7, s12
	s_load_dwordx2 s[12:13], s[4:5], 0x40
	s_abs_i32 s11, s20
	v_cvt_f32_u32_e32 v1, s11
	s_sub_i32 s14, 0, s11
	v_rcp_iflag_f32_e32 v1, v1
	v_mul_f32_e32 v1, 0x4f7ffffe, v1
	v_cvt_u32_f32_e32 v1, v1
	v_readfirstlane_b32 s7, v1
	s_mul_i32 s14, s14, s7
	s_mul_hi_u32 s15, s7, s14
	s_abs_i32 s14, s6
	s_add_i32 s7, s7, s15
	s_waitcnt lgkmcnt(0)
	s_cmp_eq_u64 s[12:13], 0
	s_mul_hi_u32 s15, s14, s7
	s_cbranch_scc1 .LBB275_2
; %bb.1:
	s_ashr_i32 s7, s6, 31
	s_lshl_b64 s[16:17], s[6:7], 2
	s_add_u32 s12, s12, s16
	s_addc_u32 s13, s13, s17
	s_load_dword s35, s[12:13], 0x0
.LBB275_2:
	s_load_dword s33, s[0:1], 0x0
	s_load_dwordx4 s[16:19], s[4:5], 0x48
	s_ashr_i32 s0, s6, 31
	s_ashr_i32 s1, s20, 31
	s_lshl_b32 s24, s6, 6
	s_mov_b32 s7, exec_lo
	v_cmpx_gt_u32_e32 8, v0
	s_cbranch_execz .LBB275_4
; %bb.3:
	s_load_dwordx2 s[12:13], s[4:5], 0x8
	s_waitcnt lgkmcnt(0)
	s_mul_i32 s20, s16, s10
	v_lshlrev_b32_e32 v5, 4, v0
	s_ashr_i32 s21, s20, 31
	s_lshl_b64 s[20:21], s[20:21], 1
	s_add_u32 s16, s12, s20
	s_addc_u32 s19, s13, s21
	s_ashr_i32 s25, s24, 31
	s_lshl_b64 s[12:13], s[24:25], 1
	s_add_u32 s12, s16, s12
	s_addc_u32 s13, s19, s13
	global_load_dwordx4 v[1:4], v5, s[12:13]
	s_waitcnt vmcnt(0)
	ds_write_b128 v5, v[1:4]
.LBB275_4:
	s_or_b32 exec_lo, exec_lo, s7
	s_load_dwordx4 s[20:23], s[4:5], 0x68
	s_mul_i32 s7, s15, s11
	s_xor_b32 s1, s0, s1
	s_sub_i32 s0, s14, s7
	s_add_i32 s7, s15, 1
	s_sub_i32 s12, s0, s11
	s_cmp_ge_u32 s0, s11
	s_waitcnt lgkmcnt(0)
	s_cselect_b32 s7, s7, s15
	s_cselect_b32 s0, s12, s0
	s_add_i32 s12, s7, 1
	s_cmp_ge_u32 s0, s11
	s_load_dword s0, s[4:5], 0x78
	s_cselect_b32 s7, s12, s7
	s_mov_b32 s12, -1
	s_xor_b32 s7, s7, s1
	s_barrier
	s_sub_i32 s1, s7, s1
	s_waitcnt lgkmcnt(0)
	buffer_gl0_inv
                                        ; implicit-def: $sgpr25
	s_abs_i32 s16, s23
	v_cvt_f32_u32_e32 v1, s16
	s_sub_i32 s7, 0, s16
	v_rcp_iflag_f32_e32 v1, v1
	v_mul_f32_e32 v1, 0x4f7ffffe, v1
	v_cvt_u32_f32_e32 v1, v1
	v_readfirstlane_b32 s19, v1
	s_mul_i32 s11, s7, s19
	s_add_i32 s7, s33, -1
	s_mul_hi_u32 s13, s19, s11
	s_abs_i32 s11, s7
	s_add_i32 s19, s19, s13
	s_cmp_lt_i32 s0, 0
	s_mul_hi_u32 s34, s11, s19
	s_cbranch_scc0 .LBB275_6
; %bb.5:
	s_mul_i32 s2, s20, s2
	s_mov_b32 s12, 0
	s_add_i32 s2, s1, s2
	s_mul_i32 s2, s2, s0
	s_sub_i32 s25, 1, s2
.LBB275_6:
	s_load_dwordx2 s[26:27], s[4:5], 0x28
	s_ashr_i32 s2, s7, 31
	s_andn2_b32 vcc_lo, exec_lo, s12
	s_ashr_i32 s23, s23, 31
	s_cbranch_vccnz .LBB275_8
; %bb.7:
	s_mul_i32 s7, s9, s20
	s_add_i32 s6, s7, s6
	s_mul_i32 s0, s6, s0
	s_add_i32 s25, s0, 1
.LBB275_8:
	s_clause 0x2
	s_load_dword s0, s[4:5], 0x38
	s_load_dwordx2 s[6:7], s[4:5], 0x0
	s_load_dwordx2 s[30:31], s[4:5], 0x18
	s_mul_i32 s12, s34, s16
	s_xor_b32 s2, s2, s23
	s_sub_i32 s36, s11, s12
	s_add_i32 s20, s34, 1
	s_clause 0x1
	s_load_dword s11, s[4:5], 0x88
	s_load_dwordx4 s[12:15], s[4:5], 0x58
	v_lshrrev_b32_e32 v11, 5, v0
	v_and_b32_e32 v12, 31, v0
	v_mov_b32_e32 v16, 0xff7fffff
	v_lshrrev_b32_e32 v14, 3, v0
	s_mul_i32 s18, s1, s18
	v_lshlrev_b32_e32 v13, 5, v11
	v_lshlrev_b32_e32 v15, 2, v12
	s_waitcnt lgkmcnt(0)
	s_mul_i32 s28, s0, s10
	s_sub_i32 s0, s36, s16
	s_ashr_i32 s29, s28, 31
	s_cmp_ge_u32 s36, s16
	s_cselect_b32 s20, s20, s34
	s_cselect_b32 s0, s0, s36
	s_add_i32 s34, s20, 1
	s_cmp_ge_u32 s0, s16
	s_cselect_b32 s0, s34, s20
	s_add_i32 s20, s33, 31
	s_ashr_i32 s34, s20, 31
	s_lshr_b32 s34, s34, 27
	s_add_i32 s20, s20, s34
	s_xor_b32 s34, s0, s2
	s_ashr_i32 s20, s20, 5
	s_sub_i32 s34, s34, s2
	v_cmp_gt_i32_e64 s0, s20, v11
	s_and_saveexec_b32 s36, s0
	s_cbranch_execz .LBB275_528
; %bb.9:
	s_load_dwordx2 s[4:5], s[4:5], 0x10
	s_sub_i32 s37, s34, s21
	s_ashr_i32 s1, s18, 31
	v_lshlrev_b32_e32 v3, 4, v12
	v_subrev_nc_u32_e32 v4, s33, v12
	v_and_b32_e32 v5, 0x7c, v14
	v_lshl_or_b32 v6, v11, 7, v15
	v_mov_b32_e32 v2, 0
	v_cmp_neq_f32_e64 vcc_lo, s35, 0
	v_add_nc_u32_e32 v23, 1, v4
	v_lshlrev_b32_e32 v17, 5, v11
	v_mov_b32_e32 v18, 0xff7fffff
	v_mov_b32_e32 v19, 0x80
	;; [unrolled: 1-line block ×6, first 2 shown]
	v_add_nc_u32_e32 v24, 0xa0, v6
	v_mov_b32_e32 v26, v11
	s_mov_b32 s39, s17
	s_waitcnt lgkmcnt(0)
	s_add_u32 s2, s4, s18
	s_addc_u32 s1, s5, s1
	s_abs_i32 s38, s22
	v_add_co_u32 v3, s2, s2, v3
	v_cvt_f32_u32_e32 v1, s38
	s_sub_i32 s4, 0, s38
	v_add_co_ci_u32_e64 v4, null, s1, 0, s2
	s_mov_b32 s40, 0
	v_rcp_iflag_f32_e32 v1, v1
	v_mul_f32_e32 v1, 0x4f7ffffe, v1
	v_cvt_u32_f32_e32 v1, v1
	v_mul_lo_u32 v7, s4, v1
	s_lshl_b64 s[4:5], s[28:29], 2
	s_add_u32 s1, s26, s4
	s_addc_u32 s2, s27, s5
	v_add_co_u32 v5, s1, s1, v5
	v_add_co_ci_u32_e64 v6, null, s2, 0, s1
	v_mul_hi_u32 v7, v1, v7
	s_mov_b32 s4, -1
	s_mov_b32 s5, 0xffffff
	v_add_nc_u32_e32 v25, v1, v7
	s_branch .LBB275_15
.LBB275_10:                             ;   in Loop: Header=BB275_15 Depth=1
	s_or_b32 exec_lo, exec_lo, s44
	v_lshlrev_b32_e32 v1, 8, v1
	v_lshl_add_u32 v8, v8, 10, 0x2000
	v_lshlrev_b32_e32 v7, 23, v7
	v_and_or_b32 v1, 0x8000, v1, v8
	v_lshl_or_b32 v88, v1, 16, v7
.LBB275_11:                             ;   in Loop: Header=BB275_15 Depth=1
	s_or_b32 exec_lo, exec_lo, s43
.LBB275_12:                             ;   in Loop: Header=BB275_15 Depth=1
	s_or_b32 exec_lo, exec_lo, s42
.LBB275_13:                             ;   in Loop: Header=BB275_15 Depth=1
	s_or_b32 exec_lo, exec_lo, s41
	ds_read_b128 v[90:93], v2
	v_or_b32_e32 v8, v28, v29
	v_or_b32_e32 v1, v30, v31
	;; [unrolled: 1-line block ×3, first 2 shown]
	v_fma_mixlo_f16 v7, v27, v30, 0 op_sel:[0,1,0] op_sel_hi:[0,1,0]
	v_or_b32_e32 v30, v36, v32
	v_fma_mixlo_f16 v28, v27, v28, 0 op_sel:[0,1,0] op_sel_hi:[0,1,0]
	v_fma_mixlo_f16 v8, v27, v8, 0 op_sel_hi:[0,1,0]
	v_fma_mixlo_f16 v1, v27, v1, 0 op_sel_hi:[0,1,0]
	;; [unrolled: 1-line block ×3, first 2 shown]
	v_fma_mixlo_f16 v94, v27, v34, 0 op_sel:[0,1,0] op_sel_hi:[0,1,0]
	v_fma_mixlo_f16 v36, v27, v36, 0 op_sel:[0,1,0] op_sel_hi:[0,1,0]
	v_fma_mixlo_f16 v95, v27, v30, 0 op_sel_hi:[0,1,0]
	v_and_b32_e32 v28, 0xffff, v28
	v_and_b32_e32 v8, 0xffff, v8
	;; [unrolled: 1-line block ×5, first 2 shown]
	v_or_b32_e32 v35, v37, v35
	v_fma_mixlo_f16 v37, v27, v37, 0 op_sel:[0,1,0] op_sel_hi:[0,1,0]
	s_waitcnt lgkmcnt(0)
	v_and_b32_e32 v29, 0xffff, v90
	v_lshrrev_b32_e32 v30, 16, v90
	v_lshrrev_b32_e32 v32, 16, v91
	v_and_b32_e32 v31, 0xffff, v91
	;;#ASMSTART
	v_cvt_f32_f16 v100, v29;
	;;#ASMEND
	;;#ASMSTART
	v_cvt_f32_f16 v29, v30;
	;;#ASMEND
	;;#ASMSTART
	v_cvt_f32_f16 v101, v8;
	;;#ASMEND
	;;#ASMSTART
	v_cvt_f32_f16 v30, v28;
	;;#ASMEND
	v_and_b32_e32 v8, 0xffff, v92
	v_lshrrev_b32_e32 v28, 16, v92
	v_and_b32_e32 v92, 0xffff, v33
	;;#ASMSTART
	v_cvt_f32_f16 v31, v31;
	;;#ASMEND
	;;#ASMSTART
	v_cvt_f32_f16 v32, v32;
	;;#ASMEND
	;; [unrolled: 3-line block ×7, first 2 shown]
	v_and_b32_e32 v1, 0xffff, v94
	v_and_b32_e32 v7, 0xffff, v93
	v_lshrrev_b32_e32 v8, 16, v93
	v_and_b32_e32 v28, 0xffff, v95
	;;#ASMSTART
	v_cvt_f32_f16 v93, v1;
	;;#ASMEND
	;;#ASMSTART
	v_cvt_f32_f16 v94, v7;
	;;#ASMEND
	;; [unrolled: 3-line block ×5, first 2 shown]
	ds_read_b128 v[102:105], v2 offset:16
	v_or_b32_e32 v7, v40, v38
	v_or_b32_e32 v38, v42, v39
	;; [unrolled: 1-line block ×4, first 2 shown]
	v_fma_mixlo_f16 v35, v27, v35, 0 op_sel_hi:[0,1,0]
	v_fma_mixlo_f16 v36, v27, v40, 0 op_sel:[0,1,0] op_sel_hi:[0,1,0]
	v_fma_mixlo_f16 v7, v27, v7, 0 op_sel_hi:[0,1,0]
	v_fma_mixlo_f16 v38, v27, v38, 0 op_sel_hi:[0,1,0]
	v_fma_mixlo_f16 v40, v27, v42, 0 op_sel:[0,1,0] op_sel_hi:[0,1,0]
	v_fma_mixlo_f16 v39, v27, v39, 0 op_sel_hi:[0,1,0]
	v_fma_mixlo_f16 v42, v27, v46, 0 op_sel:[0,1,0] op_sel_hi:[0,1,0]
	v_fma_mixlo_f16 v8, v27, v89, 0 op_sel:[0,1,0] op_sel_hi:[0,1,0]
	v_fma_mixlo_f16 v28, v27, v1, 0 op_sel_hi:[0,1,0]
	v_or_b32_e32 v1, v78, v82
	v_and_b32_e32 v35, 0xffff, v35
	v_and_b32_e32 v82, 0xffff, v37
	;; [unrolled: 1-line block ×5, first 2 shown]
	s_waitcnt lgkmcnt(0)
	v_and_b32_e32 v43, 0xffff, v102
	v_lshrrev_b32_e32 v46, 16, v102
	v_and_b32_e32 v86, 0xffff, v103
	v_lshrrev_b32_e32 v89, 16, v103
	;;#ASMSTART
	v_cvt_f32_f16 v43, v43;
	;;#ASMEND
	;;#ASMSTART
	v_cvt_f32_f16 v37, v46;
	;;#ASMEND
	;; [unrolled: 3-line block ×6, first 2 shown]
	v_and_b32_e32 v35, 0xffff, v36
	v_and_b32_e32 v36, 0xffff, v104
	v_lshrrev_b32_e32 v89, 16, v104
	;;#ASMSTART
	v_cvt_f32_f16 v38, v7;
	;;#ASMEND
	;;#ASMSTART
	v_cvt_f32_f16 v112, v35;
	;;#ASMEND
	;; [unrolled: 3-line block ×5, first 2 shown]
	v_and_b32_e32 v7, 0xffff, v40
	v_and_b32_e32 v35, 0xffff, v105
	v_lshrrev_b32_e32 v36, 16, v105
	v_and_b32_e32 v40, 0xffff, v42
	;;#ASMSTART
	v_cvt_f32_f16 v102, v7;
	;;#ASMEND
	;;#ASMSTART
	v_cvt_f32_f16 v103, v35;
	;;#ASMEND
	;; [unrolled: 3-line block ×5, first 2 shown]
	ds_read_b128 v[107:110], v2 offset:32
	v_or_b32_e32 v7, v44, v41
	v_fma_mixlo_f16 v36, v27, v1, 0 op_sel_hi:[0,1,0]
	v_or_b32_e32 v1, v48, v45
	v_fma_mixlo_f16 v42, v27, v44, 0 op_sel:[0,1,0] op_sel_hi:[0,1,0]
	v_or_b32_e32 v44, v50, v47
	v_or_b32_e32 v47, v54, v51
	v_fma_mixlo_f16 v45, v27, v7, 0 op_sel_hi:[0,1,0]
	v_mul_f32_e32 v7, v37, v82
	v_fma_mixlo_f16 v40, v27, v48, 0 op_sel:[0,1,0] op_sel_hi:[0,1,0]
	v_fma_mixlo_f16 v41, v27, v1, 0 op_sel_hi:[0,1,0]
	v_mul_f32_e32 v1, v43, v46
	v_fma_mixlo_f16 v43, v27, v44, 0 op_sel_hi:[0,1,0]
	v_fma_mixlo_f16 v44, v27, v54, 0 op_sel:[0,1,0] op_sel_hi:[0,1,0]
	v_fma_mixlo_f16 v113, v27, v50, 0 op_sel:[0,1,0] op_sel_hi:[0,1,0]
	v_fma_mixlo_f16 v37, v27, v47, 0 op_sel_hi:[0,1,0]
	v_fma_mixlo_f16 v35, v27, v78, 0 op_sel:[0,1,0] op_sel_hi:[0,1,0]
	v_fmac_f32_e32 v7, v29, v30
	v_mul_f32_e32 v30, v86, v38
	v_and_b32_e32 v45, 0xffff, v45
	s_waitcnt lgkmcnt(0)
	v_and_b32_e32 v46, 0xffff, v107
	v_lshrrev_b32_e32 v38, 16, v107
	;;#ASMSTART
	v_cvt_f32_f16 v78, v46;
	;;#ASMEND
	v_and_b32_e32 v42, 0xffff, v42
	v_and_b32_e32 v46, 0xffff, v108
	v_lshrrev_b32_e32 v47, 16, v108
	;;#ASMSTART
	v_cvt_f32_f16 v48, v38;
	;;#ASMEND
	;;#ASMSTART
	v_cvt_f32_f16 v86, v45;
	;;#ASMEND
	;; [unrolled: 3-line block ×5, first 2 shown]
	v_and_b32_e32 v38, 0xffff, v41
	v_and_b32_e32 v40, 0xffff, v40
	;; [unrolled: 1-line block ×3, first 2 shown]
	v_lshrrev_b32_e32 v42, 16, v109
	v_and_b32_e32 v43, 0xffff, v43
	v_and_b32_e32 v45, 0xffff, v110
	v_lshrrev_b32_e32 v46, 16, v110
	v_and_b32_e32 v47, 0xffff, v44
	v_or_b32_e32 v39, v81, v83
	;;#ASMSTART
	v_cvt_f32_f16 v82, v38;
	;;#ASMEND
	;;#ASMSTART
	v_cvt_f32_f16 v83, v40;
	;;#ASMEND
	;;#ASMSTART
	v_cvt_f32_f16 v40, v41;
	;;#ASMEND
	;;#ASMSTART
	v_cvt_f32_f16 v41, v42;
	;;#ASMEND
	;;#ASMSTART
	v_cvt_f32_f16 v42, v43;
	;;#ASMEND
	v_and_b32_e32 v38, 0xffff, v113
	v_and_b32_e32 v37, 0xffff, v37
	;;#ASMSTART
	v_cvt_f32_f16 v43, v38;
	;;#ASMEND
	;;#ASMSTART
	v_cvt_f32_f16 v44, v45;
	;;#ASMEND
	;; [unrolled: 3-line block ×5, first 2 shown]
	ds_read_b128 v[107:110], v2 offset:48
	v_or_b32_e32 v87, v77, v87
	v_or_b32_e32 v49, v52, v49
	;; [unrolled: 1-line block ×4, first 2 shown]
	v_fma_mixlo_f16 v52, v27, v52, 0 op_sel:[0,1,0] op_sel_hi:[0,1,0]
	v_fma_mixlo_f16 v37, v27, v87, 0 op_sel_hi:[0,1,0]
	v_fma_mixlo_f16 v87, v27, v56, 0 op_sel:[0,1,0] op_sel_hi:[0,1,0]
	v_or_b32_e32 v56, v62, v59
	v_fma_mixlo_f16 v49, v27, v49, 0 op_sel_hi:[0,1,0]
	v_fmac_f32_e32 v1, v100, v101
	v_mul_f32_e32 v29, v111, v112
	v_fma_mixlo_f16 v53, v27, v53, 0 op_sel_hi:[0,1,0]
	v_fma_mixlo_f16 v100, v27, v55, 0 op_sel_hi:[0,1,0]
	v_fma_mixlo_f16 v111, v27, v62, 0 op_sel:[0,1,0] op_sel_hi:[0,1,0]
	v_fma_mixlo_f16 v58, v27, v58, 0 op_sel:[0,1,0] op_sel_hi:[0,1,0]
	v_fma_mixlo_f16 v101, v27, v56, 0 op_sel_hi:[0,1,0]
	v_and_b32_e32 v49, 0xffff, v49
	v_and_b32_e32 v52, 0xffff, v52
	v_fma_mixlo_f16 v38, v27, v81, 0 op_sel:[0,1,0] op_sel_hi:[0,1,0]
	s_waitcnt lgkmcnt(0)
	v_and_b32_e32 v55, 0xffff, v107
	v_lshrrev_b32_e32 v56, 16, v107
	v_or_b32_e32 v113, v73, v75
	v_fmac_f32_e32 v30, v31, v33
	v_mul_f32_e32 v31, v98, v99
	v_mul_f32_e32 v33, v103, v105
	;;#ASMSTART
	v_cvt_f32_f16 v55, v55;
	;;#ASMEND
	v_and_b32_e32 v75, 0xffff, v108
	v_lshrrev_b32_e32 v81, 16, v108
	;;#ASMSTART
	v_cvt_f32_f16 v56, v56;
	;;#ASMEND
	;;#ASMSTART
	v_cvt_f32_f16 v59, v49;
	;;#ASMEND
	;; [unrolled: 3-line block ×3, first 2 shown]
	v_and_b32_e32 v49, 0xffff, v53
	v_and_b32_e32 v52, 0xffff, v87
	;; [unrolled: 1-line block ×3, first 2 shown]
	v_lshrrev_b32_e32 v99, 16, v109
	v_and_b32_e32 v100, 0xffff, v100
	v_and_b32_e32 v105, 0xffff, v111
	v_fmac_f32_e32 v29, v32, v34
	v_mul_f32_e32 v34, v89, v102
	v_mul_f32_e32 v32, v104, v106
	;;#ASMSTART
	v_cvt_f32_f16 v75, v75;
	;;#ASMEND
	;;#ASMSTART
	v_cvt_f32_f16 v81, v81;
	;;#ASMEND
	;;#ASMSTART
	v_cvt_f32_f16 v87, v49;
	;;#ASMEND
	;;#ASMSTART
	v_cvt_f32_f16 v89, v52;
	;;#ASMEND
	;;#ASMSTART
	v_cvt_f32_f16 v98, v53;
	;;#ASMEND
	;;#ASMSTART
	v_cvt_f32_f16 v99, v99;
	;;#ASMEND
	;;#ASMSTART
	v_cvt_f32_f16 v100, v100;
	;;#ASMEND
	v_and_b32_e32 v49, 0xffff, v58
	v_and_b32_e32 v52, 0xffff, v110
	v_lshrrev_b32_e32 v53, 16, v110
	v_and_b32_e32 v58, 0xffff, v101
	;;#ASMSTART
	v_cvt_f32_f16 v101, v49;
	;;#ASMEND
	;;#ASMSTART
	v_cvt_f32_f16 v102, v52;
	;;#ASMEND
	;; [unrolled: 3-line block ×5, first 2 shown]
	ds_read_b128 v[109:112], v2 offset:64
	v_or_b32_e32 v57, v60, v57
	v_or_b32_e32 v53, v64, v61
	v_or_b32_e32 v63, v65, v63
	v_fma_mixlo_f16 v58, v27, v64, 0 op_sel:[0,1,0] op_sel_hi:[0,1,0]
	v_or_b32_e32 v64, v67, v66
	v_fma_mixlo_f16 v60, v27, v60, 0 op_sel:[0,1,0] op_sel_hi:[0,1,0]
	v_fma_mixlo_f16 v57, v27, v57, 0 op_sel_hi:[0,1,0]
	v_fma_mixlo_f16 v53, v27, v53, 0 op_sel_hi:[0,1,0]
	;; [unrolled: 1-line block ×3, first 2 shown]
	v_fma_mixlo_f16 v66, v27, v67, 0 op_sel:[0,1,0] op_sel_hi:[0,1,0]
	v_fma_mixlo_f16 v65, v27, v65, 0 op_sel:[0,1,0] op_sel_hi:[0,1,0]
	v_fma_mixlo_f16 v64, v27, v64, 0 op_sel_hi:[0,1,0]
	v_and_b32_e32 v57, 0xffff, v57
	v_and_b32_e32 v60, 0xffff, v60
	v_fma_mixlo_f16 v49, v27, v77, 0 op_sel:[0,1,0] op_sel_hi:[0,1,0]
	v_fma_mixlo_f16 v106, v27, v73, 0 op_sel:[0,1,0] op_sel_hi:[0,1,0]
	v_or_b32_e32 v52, v69, v68
	v_fma_mixlo_f16 v108, v27, v69, 0 op_sel:[0,1,0] op_sel_hi:[0,1,0]
	v_or_b32_e32 v61, v70, v72
	s_waitcnt lgkmcnt(0)
	v_and_b32_e32 v67, 0xffff, v109
	v_fmac_f32_e32 v33, v94, v96
	v_fmac_f32_e32 v32, v95, v97
	v_lshrrev_b32_e32 v68, 16, v109
	;;#ASMSTART
	v_cvt_f32_f16 v94, v67;
	;;#ASMEND
	v_and_b32_e32 v67, 0xffff, v110
	v_lshrrev_b32_e32 v69, 16, v110
	;;#ASMSTART
	v_cvt_f32_f16 v73, v68;
	;;#ASMEND
	;;#ASMSTART
	v_cvt_f32_f16 v95, v57;
	;;#ASMEND
	;; [unrolled: 3-line block ×3, first 2 shown]
	v_and_b32_e32 v53, 0xffff, v53
	v_and_b32_e32 v57, 0xffff, v58
	;; [unrolled: 1-line block ×3, first 2 shown]
	v_lshrrev_b32_e32 v60, 16, v111
	v_and_b32_e32 v63, 0xffff, v63
	v_and_b32_e32 v72, 0xffff, v66
	v_fmac_f32_e32 v31, v91, v92
	v_fmac_f32_e32 v34, v90, v93
	;;#ASMSTART
	v_cvt_f32_f16 v90, v67;
	;;#ASMEND
	;;#ASMSTART
	v_cvt_f32_f16 v91, v69;
	;;#ASMEND
	;; [unrolled: 3-line block ×7, first 2 shown]
	v_and_b32_e32 v53, 0xffff, v65
	v_and_b32_e32 v63, 0xffff, v112
	v_lshrrev_b32_e32 v65, 16, v112
	v_and_b32_e32 v64, 0xffff, v64
	;;#ASMSTART
	v_cvt_f32_f16 v66, v53;
	;;#ASMEND
	;;#ASMSTART
	v_cvt_f32_f16 v67, v63;
	;;#ASMEND
	;; [unrolled: 3-line block ×5, first 2 shown]
	ds_read_b128 v[109:112], v2 offset:80
	v_or_b32_e32 v53, v74, v71
	v_fma_mixlo_f16 v107, v27, v113, 0 op_sel_hi:[0,1,0]
	v_fma_mixlo_f16 v71, v27, v52, 0 op_sel_hi:[0,1,0]
	v_fma_mixlo_f16 v96, v27, v70, 0 op_sel:[0,1,0] op_sel_hi:[0,1,0]
	v_or_b32_e32 v52, v80, v76
	v_fma_mixlo_f16 v113, v27, v53, 0 op_sel_hi:[0,1,0]
	v_or_b32_e32 v9, v10, v9
	v_or_b32_e32 v53, v84, v79
	;; [unrolled: 1-line block ×3, first 2 shown]
	v_fma_mixlo_f16 v97, v27, v61, 0 op_sel_hi:[0,1,0]
	v_fma_mixlo_f16 v114, v27, v74, 0 op_sel:[0,1,0] op_sel_hi:[0,1,0]
	v_fma_mixlo_f16 v39, v27, v39, 0 op_sel_hi:[0,1,0]
	v_fma_mixlo_f16 v61, v27, v80, 0 op_sel:[0,1,0] op_sel_hi:[0,1,0]
	;; [unrolled: 2-line block ×4, first 2 shown]
	v_fma_mixlo_f16 v53, v27, v53, 0 op_sel_hi:[0,1,0]
	v_fma_mixlo_f16 v10, v27, v70, 0 op_sel_hi:[0,1,0]
	v_fma_mixlo_f16 v9, v27, v88, 0 op_sel:[0,1,0] op_sel_hi:[0,1,0]
	s_waitcnt lgkmcnt(0)
	v_and_b32_e32 v27, 0xffff, v109
	v_fmac_f32_e32 v7, v48, v50
	v_lshrrev_b32_e32 v50, 16, v109
	;;#ASMSTART
	v_cvt_f32_f16 v48, v27;
	;;#ASMEND
	v_and_b32_e32 v27, 0xffff, v71
	v_fmac_f32_e32 v1, v78, v86
	v_fmac_f32_e32 v30, v51, v82
	;; [unrolled: 1-line block ×3, first 2 shown]
	v_and_b32_e32 v54, 0xffff, v108
	v_and_b32_e32 v70, 0xffff, v110
	v_lshrrev_b32_e32 v71, 16, v110
	;;#ASMSTART
	v_cvt_f32_f16 v50, v50;
	;;#ASMEND
	;;#ASMSTART
	v_cvt_f32_f16 v51, v27;
	;;#ASMEND
	v_and_b32_e32 v27, 0xffff, v107
	v_and_b32_e32 v76, 0xffff, v106
	;; [unrolled: 1-line block ×3, first 2 shown]
	v_lshrrev_b32_e32 v79, 16, v111
	v_and_b32_e32 v80, 0xffff, v97
	v_and_b32_e32 v83, 0xffff, v112
	v_lshrrev_b32_e32 v84, 16, v112
	v_and_b32_e32 v85, 0xffff, v113
	v_and_b32_e32 v86, 0xffff, v114
	;;#ASMSTART
	v_cvt_f32_f16 v54, v54;
	;;#ASMEND
	;;#ASMSTART
	v_cvt_f32_f16 v70, v70;
	;;#ASMEND
	;; [unrolled: 3-line block ×8, first 2 shown]
	v_and_b32_e32 v27, 0xffff, v96
	;;#ASMSTART
	v_cvt_f32_f16 v82, v27;
	;;#ASMEND
	;;#ASMSTART
	v_cvt_f32_f16 v83, v83;
	;;#ASMEND
	;; [unrolled: 3-line block ×5, first 2 shown]
	ds_read_b128 v[106:109], v2 offset:96
	v_fmac_f32_e32 v31, v40, v42
	v_fmac_f32_e32 v34, v41, v43
	v_and_b32_e32 v36, 0xffff, v36
	v_and_b32_e32 v35, 0xffff, v35
	v_fmac_f32_e32 v33, v44, v46
	v_fmac_f32_e32 v32, v45, v47
	v_and_b32_e32 v28, 0xffff, v28
	v_fmac_f32_e32 v7, v56, v62
	v_and_b32_e32 v47, 0xffff, v39
	v_and_b32_e32 v37, 0xffff, v37
	;; [unrolled: 1-line block ×3, first 2 shown]
	v_fmac_f32_e32 v1, v55, v59
	v_fmac_f32_e32 v30, v75, v87
	;; [unrolled: 1-line block ×8, first 2 shown]
	s_waitcnt lgkmcnt(0)
	v_and_b32_e32 v40, 0xffff, v106
	v_lshrrev_b32_e32 v41, 16, v106
	;;#ASMSTART
	v_cvt_f32_f16 v40, v40;
	;;#ASMEND
	v_and_b32_e32 v44, 0xffff, v107
	v_lshrrev_b32_e32 v45, 16, v107
	;;#ASMSTART
	v_cvt_f32_f16 v41, v41;
	;;#ASMEND
	;;#ASMSTART
	v_cvt_f32_f16 v42, v36;
	;;#ASMEND
	;; [unrolled: 3-line block ×3, first 2 shown]
	v_and_b32_e32 v35, 0xffff, v8
	v_and_b32_e32 v36, 0xffff, v108
	;;#ASMSTART
	v_cvt_f32_f16 v44, v44;
	;;#ASMEND
	;;#ASMSTART
	v_cvt_f32_f16 v45, v45;
	;;#ASMEND
	v_lshrrev_b32_e32 v46, 16, v108
	;;#ASMSTART
	v_cvt_f32_f16 v8, v28;
	;;#ASMEND
	;;#ASMSTART
	v_cvt_f32_f16 v28, v35;
	;;#ASMEND
	;; [unrolled: 3-line block ×3, first 2 shown]
	v_and_b32_e32 v35, 0xffff, v38
	v_and_b32_e32 v36, 0xffff, v109
	v_lshrrev_b32_e32 v38, 16, v109
	;;#ASMSTART
	v_cvt_f32_f16 v46, v46;
	;;#ASMEND
	;;#ASMSTART
	v_cvt_f32_f16 v47, v47;
	;;#ASMEND
	;; [unrolled: 3-line block ×7, first 2 shown]
	ds_read_b128 v[35:38], v2 offset:112
	v_fmac_f32_e32 v31, v57, v60
	v_fmac_f32_e32 v1, v48, v51
	;; [unrolled: 1-line block ×11, first 2 shown]
	v_and_b32_e32 v39, 0xffff, v64
	v_fmac_f32_e32 v34, v99, v101
	v_fmac_f32_e32 v33, v102, v104
	;; [unrolled: 1-line block ×3, first 2 shown]
	v_and_b32_e32 v40, 0xffff, v61
	v_add_nc_u32_e32 v27, v23, v17
	v_fmac_f32_e32 v34, v58, v66
	v_fmac_f32_e32 v33, v67, v69
	s_waitcnt lgkmcnt(0)
	v_and_b32_e32 v8, 0xffff, v35
	v_lshrrev_b32_e32 v28, 16, v35
	v_and_b32_e32 v35, 0xffff, v65
	;;#ASMSTART
	v_cvt_f32_f16 v8, v8;
	;;#ASMEND
	;;#ASMSTART
	v_cvt_f32_f16 v28, v28;
	;;#ASMEND
	;; [unrolled: 3-line block ×4, first 2 shown]
	v_fmac_f32_e32 v1, v8, v35
	v_fmac_f32_e32 v7, v28, v39
	v_and_b32_e32 v8, 0xffff, v36
	v_lshrrev_b32_e32 v35, 16, v36
	v_and_b32_e32 v36, 0xffff, v63
	;;#ASMSTART
	v_cvt_f32_f16 v8, v8;
	;;#ASMEND
	;;#ASMSTART
	v_cvt_f32_f16 v28, v35;
	;;#ASMEND
	;; [unrolled: 3-line block ×3, first 2 shown]
	v_fmac_f32_e32 v30, v8, v35
	v_add_f32_e32 v1, v1, v7
	v_fmac_f32_e32 v34, v79, v82
	;;#ASMSTART
	v_cvt_f32_f16 v36, v40;
	;;#ASMEND
	v_fmac_f32_e32 v29, v28, v36
	v_and_b32_e32 v8, 0xffff, v37
	v_add_f32_e32 v1, v1, v30
	v_lshrrev_b32_e32 v28, 16, v37
	v_fmac_f32_e32 v32, v68, v72
	v_fmac_f32_e32 v33, v83, v85
	;; [unrolled: 1-line block ×3, first 2 shown]
	v_and_b32_e32 v35, 0xffff, v53
	;;#ASMSTART
	v_cvt_f32_f16 v7, v8;
	;;#ASMEND
	;;#ASMSTART
	v_cvt_f32_f16 v8, v28;
	;;#ASMEND
	;; [unrolled: 3-line block ×3, first 2 shown]
	v_fmac_f32_e32 v31, v7, v28
	v_add_f32_e32 v1, v29, v1
	v_fmac_f32_e32 v32, v84, v86
	v_fmac_f32_e32 v33, v55, v59
	v_and_b32_e32 v36, 0xffff, v52
	;;#ASMSTART
	v_cvt_f32_f16 v30, v36;
	;;#ASMEND
	v_fmac_f32_e32 v34, v8, v30
	v_add_f32_e32 v1, v1, v31
	v_and_b32_e32 v7, 0xffff, v38
	v_and_b32_e32 v10, 0xffff, v10
	v_cvt_f32_i32_e32 v27, v27
	v_fmac_f32_e32 v32, v56, v62
	v_lshrrev_b32_e32 v28, 16, v38
	;;#ASMSTART
	v_cvt_f32_f16 v7, v7;
	;;#ASMEND
	;;#ASMSTART
	v_cvt_f32_f16 v8, v28;
	;;#ASMEND
	;; [unrolled: 3-line block ×3, first 2 shown]
	v_fmac_f32_e32 v33, v7, v10
	v_add_f32_e32 v1, v34, v1
	v_and_b32_e32 v9, 0xffff, v9
	v_mul_f32_e32 v7, s35, v27
	;;#ASMSTART
	v_cvt_f32_f16 v9, v9;
	;;#ASMEND
	v_fmac_f32_e32 v32, v8, v9
	v_add_f32_e32 v1, v1, v33
	v_add_nc_u32_e32 v8, v12, v17
	v_cndmask_b32_e32 v7, 0, v7, vcc_lo
	v_add_f32_e32 v1, v32, v1
	v_cmp_gt_i32_e64 s1, s33, v8
	v_fmac_f32_e32 v7, s3, v1
	v_max_f32_e32 v1, v16, v16
	v_max_f32_e32 v1, v1, v7
	v_cndmask_b32_e64 v7, 0, v7, s1
	v_cndmask_b32_e64 v16, v16, v1, s1
	ds_write_b32 v24, v7
.LBB275_14:                             ;   in Loop: Header=BB275_15 Depth=1
	s_or_b32 exec_lo, exec_lo, s2
	v_add_nc_u32_e32 v26, 4, v26
	v_add_co_u32 v5, s2, v5, 16
	v_add_co_ci_u32_e64 v6, null, 0, v6, s2
	v_cmp_le_i32_e64 s1, s20, v26
	v_add_nc_u32_e32 v17, 0x80, v17
	v_add_nc_u32_e32 v24, 0x200, v24
	s_or_b32 s40, s1, s40
	s_andn2_b32 exec_lo, exec_lo, s40
	s_cbranch_execz .LBB275_527
.LBB275_15:                             ; =>This Inner Loop Header: Depth=1
	v_mul_hi_u32 v1, v17, s19
	v_mul_lo_u32 v7, v1, s16
	v_add_nc_u32_e32 v8, 1, v1
	v_sub_nc_u32_e32 v7, v17, v7
	v_subrev_nc_u32_e32 v9, s16, v7
	v_cmp_le_u32_e64 s1, s16, v7
	v_cndmask_b32_e64 v1, v1, v8, s1
	v_cndmask_b32_e64 v7, v7, v9, s1
	v_add_nc_u32_e32 v8, 1, v1
	v_cmp_le_u32_e64 s1, s16, v7
	v_cndmask_b32_e64 v1, v1, v8, s1
	v_xor_b32_e32 v1, s23, v1
	v_subrev_nc_u32_e32 v1, s23, v1
	v_add_nc_u32_e32 v7, s25, v1
	v_cmp_ge_i32_e64 s2, s37, v1
	v_sub_nc_u32_e32 v8, 0, v7
	v_max_i32_e32 v8, v7, v8
	v_ashrrev_i32_e32 v7, 31, v7
	v_mul_hi_u32 v9, v8, v25
	v_mul_lo_u32 v9, v9, s38
	v_sub_nc_u32_e32 v8, v8, v9
	v_subrev_nc_u32_e32 v9, s38, v8
	v_cmp_le_u32_e64 s1, s38, v8
	v_cndmask_b32_e64 v8, v8, v9, s1
	v_subrev_nc_u32_e32 v9, s38, v8
	v_cmp_le_u32_e64 s1, s38, v8
	v_cndmask_b32_e64 v8, v8, v9, s1
	v_xor_b32_e32 v8, v8, v7
	v_sub_nc_u32_e32 v7, v8, v7
	v_cmp_ne_u32_e64 s1, 0, v7
	s_and_b32 s1, s1, s2
	s_and_saveexec_b32 s2, s1
	s_xor_b32 s1, exec_lo, s2
; %bb.16:                               ;   in Loop: Header=BB275_15 Depth=1
	ds_write_b32 v24, v18
; %bb.17:                               ;   in Loop: Header=BB275_15 Depth=1
	s_andn2_saveexec_b32 s2, s1
	s_cbranch_execz .LBB275_14
; %bb.18:                               ;   in Loop: Header=BB275_15 Depth=1
	global_load_dword v1, v[5:6], off
	v_mov_b32_e32 v28, 0
	v_mov_b32_e32 v29, 0
	global_load_dword v27, v28, s[12:13]
	s_waitcnt vmcnt(1)
	v_mad_i64_i32 v[7:8], null, v1, s39, v[3:4]
	global_load_dwordx2 v[9:10], v[7:8], off
	s_waitcnt vmcnt(0)
	v_cmp_ne_u16_sdwa s1, v9, v2 src0_sel:BYTE_0 src1_sel:DWORD
	s_and_saveexec_b32 s41, s1
	s_cbranch_execz .LBB275_26
; %bb.19:                               ;   in Loop: Header=BB275_15 Depth=1
	v_cmp_ne_u16_sdwa s1, v9, v19 src0_sel:BYTE_0 src1_sel:DWORD
	v_mov_b32_e32 v29, 0x8000
	s_and_saveexec_b32 s42, s1
	s_cbranch_execz .LBB275_25
; %bb.20:                               ;   in Loop: Header=BB275_15 Depth=1
	v_and_b32_e32 v30, 0x7f, v9
	v_mov_b32_e32 v29, 0x7c01
	s_mov_b32 s43, exec_lo
	v_cmpx_ne_u32_e32 0x7f, v30
	s_cbranch_execz .LBB275_24
; %bb.21:                               ;   in Loop: Header=BB275_15 Depth=1
	v_and_b32_e32 v1, 7, v9
	v_lshrrev_b32_e32 v29, 3, v30
	s_mov_b32 s44, exec_lo
	v_cmpx_gt_u32_e32 8, v30
; %bb.22:                               ;   in Loop: Header=BB275_15 Depth=1
	v_ffbh_u32_e32 v1, v1
	v_min_u32_e32 v1, 32, v1
	v_subrev_nc_u32_e32 v29, 28, v1
	v_lshlrev_b64 v[30:31], v29, v[9:10]
	v_sub_nc_u32_e32 v29, 29, v1
	v_and_b32_e32 v1, 7, v30
; %bb.23:                               ;   in Loop: Header=BB275_15 Depth=1
	s_or_b32 exec_lo, exec_lo, s44
	v_lshlrev_b32_e32 v30, 8, v9
	v_lshl_add_u32 v29, v29, 10, 0x2000
	v_lshlrev_b32_e32 v1, 7, v1
	v_and_b32_e32 v30, 0x8000, v30
	v_and_b32_e32 v29, 0xfc00, v29
	v_or3_b32 v29, v30, v29, v1
.LBB275_24:                             ;   in Loop: Header=BB275_15 Depth=1
	s_or_b32 exec_lo, exec_lo, s43
.LBB275_25:                             ;   in Loop: Header=BB275_15 Depth=1
	s_or_b32 exec_lo, exec_lo, s42
.LBB275_26:                             ;   in Loop: Header=BB275_15 Depth=1
	s_or_b32 exec_lo, exec_lo, s41
	v_lshrrev_b16 v1, 8, v9
	s_mov_b32 s41, exec_lo
	v_cmpx_ne_u16_e32 0, v1
	s_cbranch_execz .LBB275_34
; %bb.27:                               ;   in Loop: Header=BB275_15 Depth=1
	v_bfrev_b32_e32 v28, 1
	s_mov_b32 s42, exec_lo
	v_cmpx_ne_u16_e32 0x80, v1
	s_cbranch_execz .LBB275_33
; %bb.28:                               ;   in Loop: Header=BB275_15 Depth=1
	v_and_b32_sdwa v31, v1, v20 dst_sel:DWORD dst_unused:UNUSED_PAD src0_sel:WORD_0 src1_sel:DWORD
	v_mov_b32_e32 v28, 0x7c010000
	s_mov_b32 s43, exec_lo
	v_cmpx_ne_u32_e32 0x7f, v31
	s_cbranch_execz .LBB275_32
; %bb.29:                               ;   in Loop: Header=BB275_15 Depth=1
	v_and_b32_sdwa v28, v1, v21 dst_sel:DWORD dst_unused:UNUSED_PAD src0_sel:WORD_0 src1_sel:DWORD
	v_lshrrev_b32_e32 v30, 3, v31
	s_mov_b32 s44, exec_lo
	v_cmpx_gt_u32_e32 8, v31
; %bb.30:                               ;   in Loop: Header=BB275_15 Depth=1
	v_ffbh_u32_e32 v28, v28
	v_min_u32_e32 v28, 32, v28
	v_subrev_nc_u32_e32 v30, 28, v28
	v_lshlrev_b64 v[31:32], v30, v[1:2]
	v_sub_nc_u32_e32 v30, 29, v28
	v_and_b32_e32 v28, 7, v31
; %bb.31:                               ;   in Loop: Header=BB275_15 Depth=1
	s_or_b32 exec_lo, exec_lo, s44
	v_lshlrev_b32_sdwa v1, v22, v1 dst_sel:DWORD dst_unused:UNUSED_PAD src0_sel:DWORD src1_sel:WORD_0
	v_lshl_add_u32 v30, v30, 10, 0x2000
	v_lshlrev_b32_e32 v28, 23, v28
	v_and_or_b32 v1, 0x8000, v1, v30
	v_lshl_or_b32 v28, v1, 16, v28
.LBB275_32:                             ;   in Loop: Header=BB275_15 Depth=1
	s_or_b32 exec_lo, exec_lo, s43
.LBB275_33:                             ;   in Loop: Header=BB275_15 Depth=1
	s_or_b32 exec_lo, exec_lo, s42
.LBB275_34:                             ;   in Loop: Header=BB275_15 Depth=1
	s_or_b32 exec_lo, exec_lo, s41
	v_lshrrev_b32_e32 v1, 16, v9
	v_mov_b32_e32 v30, 0
	v_mov_b32_e32 v31, 0
	v_cmp_ne_u16_sdwa s1, v1, v2 src0_sel:BYTE_0 src1_sel:DWORD
	s_and_saveexec_b32 s41, s1
	s_cbranch_execz .LBB275_42
; %bb.35:                               ;   in Loop: Header=BB275_15 Depth=1
	v_cmp_ne_u16_sdwa s1, v1, v19 src0_sel:BYTE_0 src1_sel:DWORD
	v_mov_b32_e32 v31, 0x8000
	s_and_saveexec_b32 s42, s1
	s_cbranch_execz .LBB275_41
; %bb.36:                               ;   in Loop: Header=BB275_15 Depth=1
	v_bfe_u32 v33, v9, 16, 7
	v_mov_b32_e32 v31, 0x7c01
	s_mov_b32 s43, exec_lo
	v_cmpx_ne_u32_e32 0x7f, v33
	s_cbranch_execz .LBB275_40
; %bb.37:                               ;   in Loop: Header=BB275_15 Depth=1
	v_and_b32_e32 v31, 7, v1
	v_lshrrev_b32_e32 v32, 3, v33
	s_mov_b32 s44, exec_lo
	v_cmpx_gt_u32_e32 8, v33
; %bb.38:                               ;   in Loop: Header=BB275_15 Depth=1
	v_ffbh_u32_e32 v31, v31
	v_min_u32_e32 v33, 32, v31
	v_subrev_nc_u32_e32 v31, 28, v33
	v_lshlrev_b64 v[31:32], v31, v[1:2]
	v_sub_nc_u32_e32 v32, 29, v33
	v_and_b32_e32 v31, 7, v31
; %bb.39:                               ;   in Loop: Header=BB275_15 Depth=1
	s_or_b32 exec_lo, exec_lo, s44
	v_lshlrev_b32_e32 v1, 8, v1
	v_lshl_add_u32 v32, v32, 10, 0x2000
	v_lshlrev_b32_e32 v31, 7, v31
	v_and_b32_e32 v1, 0x8000, v1
	v_and_b32_e32 v32, 0xfc00, v32
	v_or3_b32 v31, v1, v32, v31
.LBB275_40:                             ;   in Loop: Header=BB275_15 Depth=1
	s_or_b32 exec_lo, exec_lo, s43
.LBB275_41:                             ;   in Loop: Header=BB275_15 Depth=1
	s_or_b32 exec_lo, exec_lo, s42
.LBB275_42:                             ;   in Loop: Header=BB275_15 Depth=1
	s_or_b32 exec_lo, exec_lo, s41
	s_mov_b32 s41, exec_lo
	v_cmpx_lt_u32_e32 0xffffff, v9
	s_cbranch_execz .LBB275_50
; %bb.43:                               ;   in Loop: Header=BB275_15 Depth=1
	v_lshrrev_b32_e32 v1, 24, v9
	v_bfrev_b32_e32 v30, 1
	s_mov_b32 s42, exec_lo
	v_cmpx_ne_u32_e32 0x80, v1
	s_cbranch_execz .LBB275_49
; %bb.44:                               ;   in Loop: Header=BB275_15 Depth=1
	v_and_b32_e32 v33, 0x7f, v1
	v_mov_b32_e32 v30, 0x7c010000
	s_mov_b32 s43, exec_lo
	v_cmpx_ne_u32_e32 0x7f, v33
	s_cbranch_execz .LBB275_48
; %bb.45:                               ;   in Loop: Header=BB275_15 Depth=1
	v_and_b32_e32 v30, 7, v1
	v_lshrrev_b32_e32 v32, 3, v33
	s_mov_b32 s44, exec_lo
	v_cmpx_gt_u32_e32 8, v33
; %bb.46:                               ;   in Loop: Header=BB275_15 Depth=1
	v_ffbh_u32_e32 v30, v30
	v_min_u32_e32 v30, 32, v30
	v_subrev_nc_u32_e32 v32, 28, v30
	v_lshlrev_b64 v[33:34], v32, v[1:2]
	v_sub_nc_u32_e32 v32, 29, v30
	v_and_b32_e32 v30, 7, v33
; %bb.47:                               ;   in Loop: Header=BB275_15 Depth=1
	s_or_b32 exec_lo, exec_lo, s44
	v_lshlrev_b32_e32 v1, 8, v1
	v_lshl_add_u32 v32, v32, 10, 0x2000
	v_lshlrev_b32_e32 v30, 23, v30
	v_and_or_b32 v1, 0x8000, v1, v32
	v_lshl_or_b32 v30, v1, 16, v30
.LBB275_48:                             ;   in Loop: Header=BB275_15 Depth=1
	s_or_b32 exec_lo, exec_lo, s43
.LBB275_49:                             ;   in Loop: Header=BB275_15 Depth=1
	s_or_b32 exec_lo, exec_lo, s42
.LBB275_50:                             ;   in Loop: Header=BB275_15 Depth=1
	s_or_b32 exec_lo, exec_lo, s41
	v_mov_b32_e32 v1, v10
	v_cmp_ne_u16_sdwa s1, v10, v2 src0_sel:BYTE_0 src1_sel:DWORD
	v_mov_b32_e32 v32, 0
	v_mov_b32_e32 v33, 0
	s_and_saveexec_b32 s41, s1
	s_cbranch_execz .LBB275_58
; %bb.51:                               ;   in Loop: Header=BB275_15 Depth=1
	v_cmp_ne_u16_sdwa s1, v10, v19 src0_sel:BYTE_0 src1_sel:DWORD
	v_mov_b32_e32 v33, 0x8000
	s_and_saveexec_b32 s42, s1
	s_cbranch_execz .LBB275_57
; %bb.52:                               ;   in Loop: Header=BB275_15 Depth=1
	v_and_b32_e32 v35, 0x7f, v10
	v_mov_b32_e32 v33, 0x7c01
	s_mov_b32 s43, exec_lo
	v_cmpx_ne_u32_e32 0x7f, v35
	s_cbranch_execz .LBB275_56
; %bb.53:                               ;   in Loop: Header=BB275_15 Depth=1
	v_and_b32_e32 v33, 7, v10
	v_lshrrev_b32_e32 v34, 3, v35
	s_mov_b32 s44, exec_lo
	v_cmpx_gt_u32_e32 8, v35
; %bb.54:                               ;   in Loop: Header=BB275_15 Depth=1
	v_ffbh_u32_e32 v33, v33
	v_min_u32_e32 v35, 32, v33
	v_subrev_nc_u32_e32 v33, 28, v35
	v_lshlrev_b64 v[33:34], v33, v[1:2]
	v_sub_nc_u32_e32 v34, 29, v35
	v_and_b32_e32 v33, 7, v33
; %bb.55:                               ;   in Loop: Header=BB275_15 Depth=1
	s_or_b32 exec_lo, exec_lo, s44
	v_lshlrev_b32_e32 v35, 8, v10
	v_lshl_add_u32 v34, v34, 10, 0x2000
	v_lshlrev_b32_e32 v33, 7, v33
	v_and_b32_e32 v35, 0x8000, v35
	v_and_b32_e32 v34, 0xfc00, v34
	v_or3_b32 v33, v35, v34, v33
.LBB275_56:                             ;   in Loop: Header=BB275_15 Depth=1
	s_or_b32 exec_lo, exec_lo, s43
.LBB275_57:                             ;   in Loop: Header=BB275_15 Depth=1
	s_or_b32 exec_lo, exec_lo, s42
.LBB275_58:                             ;   in Loop: Header=BB275_15 Depth=1
	s_or_b32 exec_lo, exec_lo, s41
	v_lshrrev_b16 v1, 8, v1
	v_mov_b32_e32 v34, 0
	s_mov_b32 s41, exec_lo
	v_cmpx_ne_u16_e32 0, v1
	s_cbranch_execz .LBB275_66
; %bb.59:                               ;   in Loop: Header=BB275_15 Depth=1
	v_bfrev_b32_e32 v34, 1
	s_mov_b32 s42, exec_lo
	v_cmpx_ne_u16_e32 0x80, v1
	s_cbranch_execz .LBB275_65
; %bb.60:                               ;   in Loop: Header=BB275_15 Depth=1
	v_and_b32_sdwa v36, v1, v20 dst_sel:DWORD dst_unused:UNUSED_PAD src0_sel:WORD_0 src1_sel:DWORD
	v_mov_b32_e32 v34, 0x7c010000
	s_mov_b32 s43, exec_lo
	v_cmpx_ne_u32_e32 0x7f, v36
	s_cbranch_execz .LBB275_64
; %bb.61:                               ;   in Loop: Header=BB275_15 Depth=1
	v_and_b32_sdwa v34, v1, v21 dst_sel:DWORD dst_unused:UNUSED_PAD src0_sel:WORD_0 src1_sel:DWORD
	v_lshrrev_b32_e32 v35, 3, v36
	s_mov_b32 s44, exec_lo
	v_cmpx_gt_u32_e32 8, v36
; %bb.62:                               ;   in Loop: Header=BB275_15 Depth=1
	v_ffbh_u32_e32 v34, v34
	v_min_u32_e32 v36, 32, v34
	v_subrev_nc_u32_e32 v34, 28, v36
	v_lshlrev_b64 v[34:35], v34, v[1:2]
	v_sub_nc_u32_e32 v35, 29, v36
	v_and_b32_e32 v34, 7, v34
; %bb.63:                               ;   in Loop: Header=BB275_15 Depth=1
	s_or_b32 exec_lo, exec_lo, s44
	v_lshlrev_b32_sdwa v1, v22, v1 dst_sel:DWORD dst_unused:UNUSED_PAD src0_sel:DWORD src1_sel:WORD_0
	v_lshl_add_u32 v35, v35, 10, 0x2000
	v_lshlrev_b32_e32 v34, 23, v34
	v_and_or_b32 v1, 0x8000, v1, v35
	v_lshl_or_b32 v34, v1, 16, v34
.LBB275_64:                             ;   in Loop: Header=BB275_15 Depth=1
	s_or_b32 exec_lo, exec_lo, s43
.LBB275_65:                             ;   in Loop: Header=BB275_15 Depth=1
	s_or_b32 exec_lo, exec_lo, s42
.LBB275_66:                             ;   in Loop: Header=BB275_15 Depth=1
	s_or_b32 exec_lo, exec_lo, s41
	v_lshrrev_b32_e32 v1, 16, v10
	v_cmp_ne_u16_sdwa s1, v1, v2 src0_sel:BYTE_0 src1_sel:DWORD
	s_and_saveexec_b32 s41, s1
	s_cbranch_execz .LBB275_74
; %bb.67:                               ;   in Loop: Header=BB275_15 Depth=1
	v_cmp_ne_u16_sdwa s1, v1, v19 src0_sel:BYTE_0 src1_sel:DWORD
	v_mov_b32_e32 v32, 0x8000
	s_and_saveexec_b32 s42, s1
	s_cbranch_execz .LBB275_73
; %bb.68:                               ;   in Loop: Header=BB275_15 Depth=1
	v_bfe_u32 v36, v10, 16, 7
	v_mov_b32_e32 v32, 0x7c01
	s_mov_b32 s43, exec_lo
	v_cmpx_ne_u32_e32 0x7f, v36
	s_cbranch_execz .LBB275_72
; %bb.69:                               ;   in Loop: Header=BB275_15 Depth=1
	v_and_b32_e32 v32, 7, v1
	v_lshrrev_b32_e32 v35, 3, v36
	s_mov_b32 s44, exec_lo
	v_cmpx_gt_u32_e32 8, v36
; %bb.70:                               ;   in Loop: Header=BB275_15 Depth=1
	v_ffbh_u32_e32 v32, v32
	v_min_u32_e32 v32, 32, v32
	v_subrev_nc_u32_e32 v35, 28, v32
	v_lshlrev_b64 v[36:37], v35, v[1:2]
	v_sub_nc_u32_e32 v35, 29, v32
	v_and_b32_e32 v32, 7, v36
; %bb.71:                               ;   in Loop: Header=BB275_15 Depth=1
	s_or_b32 exec_lo, exec_lo, s44
	v_lshlrev_b32_e32 v1, 8, v1
	v_lshl_add_u32 v35, v35, 10, 0x2000
	v_lshlrev_b32_e32 v32, 7, v32
	v_and_b32_e32 v1, 0x8000, v1
	v_and_b32_e32 v35, 0xfc00, v35
	v_or3_b32 v32, v1, v35, v32
.LBB275_72:                             ;   in Loop: Header=BB275_15 Depth=1
	s_or_b32 exec_lo, exec_lo, s43
.LBB275_73:                             ;   in Loop: Header=BB275_15 Depth=1
	s_or_b32 exec_lo, exec_lo, s42
.LBB275_74:                             ;   in Loop: Header=BB275_15 Depth=1
	s_or_b32 exec_lo, exec_lo, s41
	v_mov_b32_e32 v35, 0
	v_mov_b32_e32 v36, 0
	s_mov_b32 s41, exec_lo
	v_cmpx_lt_u64_e64 s[4:5], v[9:10]
	s_cbranch_execz .LBB275_82
; %bb.75:                               ;   in Loop: Header=BB275_15 Depth=1
	v_lshrrev_b32_e32 v1, 24, v10
	v_bfrev_b32_e32 v36, 1
	s_mov_b32 s42, exec_lo
	v_cmpx_ne_u32_e32 0x80, v1
	s_cbranch_execz .LBB275_81
; %bb.76:                               ;   in Loop: Header=BB275_15 Depth=1
	v_and_b32_e32 v37, 0x7f, v1
	v_mov_b32_e32 v36, 0x7c010000
	s_mov_b32 s43, exec_lo
	v_cmpx_ne_u32_e32 0x7f, v37
	s_cbranch_execz .LBB275_80
; %bb.77:                               ;   in Loop: Header=BB275_15 Depth=1
	v_and_b32_e32 v9, 7, v1
	v_lshrrev_b32_e32 v10, 3, v37
	s_mov_b32 s44, exec_lo
	v_cmpx_gt_u32_e32 8, v37
; %bb.78:                               ;   in Loop: Header=BB275_15 Depth=1
	v_ffbh_u32_e32 v9, v9
	v_min_u32_e32 v36, 32, v9
	v_subrev_nc_u32_e32 v9, 28, v36
	v_lshlrev_b64 v[9:10], v9, v[1:2]
	v_sub_nc_u32_e32 v10, 29, v36
	v_and_b32_e32 v9, 7, v9
; %bb.79:                               ;   in Loop: Header=BB275_15 Depth=1
	s_or_b32 exec_lo, exec_lo, s44
	v_lshlrev_b32_e32 v1, 8, v1
	v_lshl_add_u32 v10, v10, 10, 0x2000
	v_lshlrev_b32_e32 v9, 23, v9
	v_and_or_b32 v1, 0x8000, v1, v10
	v_lshl_or_b32 v36, v1, 16, v9
.LBB275_80:                             ;   in Loop: Header=BB275_15 Depth=1
	s_or_b32 exec_lo, exec_lo, s43
.LBB275_81:                             ;   in Loop: Header=BB275_15 Depth=1
	s_or_b32 exec_lo, exec_lo, s42
.LBB275_82:                             ;   in Loop: Header=BB275_15 Depth=1
	s_or_b32 exec_lo, exec_lo, s41
	global_load_dwordx2 v[9:10], v[7:8], off offset:8
	s_waitcnt vmcnt(0)
	v_cmp_ne_u16_sdwa s1, v9, v2 src0_sel:BYTE_0 src1_sel:DWORD
	s_and_saveexec_b32 s41, s1
	s_cbranch_execz .LBB275_90
; %bb.83:                               ;   in Loop: Header=BB275_15 Depth=1
	v_cmp_ne_u16_sdwa s1, v9, v19 src0_sel:BYTE_0 src1_sel:DWORD
	v_mov_b32_e32 v35, 0x8000
	s_and_saveexec_b32 s42, s1
	s_cbranch_execz .LBB275_89
; %bb.84:                               ;   in Loop: Header=BB275_15 Depth=1
	v_and_b32_e32 v37, 0x7f, v9
	v_mov_b32_e32 v35, 0x7c01
	s_mov_b32 s43, exec_lo
	v_cmpx_ne_u32_e32 0x7f, v37
	s_cbranch_execz .LBB275_88
; %bb.85:                               ;   in Loop: Header=BB275_15 Depth=1
	v_and_b32_e32 v1, 7, v9
	v_lshrrev_b32_e32 v35, 3, v37
	s_mov_b32 s44, exec_lo
	v_cmpx_gt_u32_e32 8, v37
; %bb.86:                               ;   in Loop: Header=BB275_15 Depth=1
	v_ffbh_u32_e32 v1, v1
	v_min_u32_e32 v1, 32, v1
	v_subrev_nc_u32_e32 v35, 28, v1
	v_lshlrev_b64 v[37:38], v35, v[9:10]
	v_sub_nc_u32_e32 v35, 29, v1
	v_and_b32_e32 v1, 7, v37
; %bb.87:                               ;   in Loop: Header=BB275_15 Depth=1
	s_or_b32 exec_lo, exec_lo, s44
	v_lshlrev_b32_e32 v37, 8, v9
	v_lshl_add_u32 v35, v35, 10, 0x2000
	v_lshlrev_b32_e32 v1, 7, v1
	v_and_b32_e32 v37, 0x8000, v37
	v_and_b32_e32 v35, 0xfc00, v35
	v_or3_b32 v35, v37, v35, v1
.LBB275_88:                             ;   in Loop: Header=BB275_15 Depth=1
	s_or_b32 exec_lo, exec_lo, s43
.LBB275_89:                             ;   in Loop: Header=BB275_15 Depth=1
	s_or_b32 exec_lo, exec_lo, s42
.LBB275_90:                             ;   in Loop: Header=BB275_15 Depth=1
	s_or_b32 exec_lo, exec_lo, s41
	v_lshrrev_b16 v1, 8, v9
	v_mov_b32_e32 v38, 0
	v_mov_b32_e32 v37, 0
	s_mov_b32 s41, exec_lo
	v_cmpx_ne_u16_e32 0, v1
	s_cbranch_execz .LBB275_98
; %bb.91:                               ;   in Loop: Header=BB275_15 Depth=1
	v_bfrev_b32_e32 v37, 1
	s_mov_b32 s42, exec_lo
	v_cmpx_ne_u16_e32 0x80, v1
	s_cbranch_execz .LBB275_97
; %bb.92:                               ;   in Loop: Header=BB275_15 Depth=1
	v_and_b32_sdwa v40, v1, v20 dst_sel:DWORD dst_unused:UNUSED_PAD src0_sel:WORD_0 src1_sel:DWORD
	v_mov_b32_e32 v37, 0x7c010000
	s_mov_b32 s43, exec_lo
	v_cmpx_ne_u32_e32 0x7f, v40
	s_cbranch_execz .LBB275_96
; %bb.93:                               ;   in Loop: Header=BB275_15 Depth=1
	v_and_b32_sdwa v37, v1, v21 dst_sel:DWORD dst_unused:UNUSED_PAD src0_sel:WORD_0 src1_sel:DWORD
	v_lshrrev_b32_e32 v39, 3, v40
	s_mov_b32 s44, exec_lo
	v_cmpx_gt_u32_e32 8, v40
; %bb.94:                               ;   in Loop: Header=BB275_15 Depth=1
	v_ffbh_u32_e32 v37, v37
	v_min_u32_e32 v37, 32, v37
	v_subrev_nc_u32_e32 v39, 28, v37
	v_lshlrev_b64 v[40:41], v39, v[1:2]
	v_sub_nc_u32_e32 v39, 29, v37
	v_and_b32_e32 v37, 7, v40
; %bb.95:                               ;   in Loop: Header=BB275_15 Depth=1
	s_or_b32 exec_lo, exec_lo, s44
	v_lshlrev_b32_sdwa v1, v22, v1 dst_sel:DWORD dst_unused:UNUSED_PAD src0_sel:DWORD src1_sel:WORD_0
	v_lshl_add_u32 v39, v39, 10, 0x2000
	v_lshlrev_b32_e32 v37, 23, v37
	v_and_or_b32 v1, 0x8000, v1, v39
	v_lshl_or_b32 v37, v1, 16, v37
.LBB275_96:                             ;   in Loop: Header=BB275_15 Depth=1
	s_or_b32 exec_lo, exec_lo, s43
.LBB275_97:                             ;   in Loop: Header=BB275_15 Depth=1
	s_or_b32 exec_lo, exec_lo, s42
.LBB275_98:                             ;   in Loop: Header=BB275_15 Depth=1
	s_or_b32 exec_lo, exec_lo, s41
	v_lshrrev_b32_e32 v1, 16, v9
	v_cmp_ne_u16_sdwa s1, v1, v2 src0_sel:BYTE_0 src1_sel:DWORD
	s_and_saveexec_b32 s41, s1
	s_cbranch_execz .LBB275_106
; %bb.99:                               ;   in Loop: Header=BB275_15 Depth=1
	v_cmp_ne_u16_sdwa s1, v1, v19 src0_sel:BYTE_0 src1_sel:DWORD
	v_mov_b32_e32 v38, 0x8000
	s_and_saveexec_b32 s42, s1
	s_cbranch_execz .LBB275_105
; %bb.100:                              ;   in Loop: Header=BB275_15 Depth=1
	v_bfe_u32 v40, v9, 16, 7
	v_mov_b32_e32 v38, 0x7c01
	s_mov_b32 s43, exec_lo
	v_cmpx_ne_u32_e32 0x7f, v40
	s_cbranch_execz .LBB275_104
; %bb.101:                              ;   in Loop: Header=BB275_15 Depth=1
	v_and_b32_e32 v38, 7, v1
	v_lshrrev_b32_e32 v39, 3, v40
	s_mov_b32 s44, exec_lo
	v_cmpx_gt_u32_e32 8, v40
; %bb.102:                              ;   in Loop: Header=BB275_15 Depth=1
	v_ffbh_u32_e32 v38, v38
	v_min_u32_e32 v40, 32, v38
	v_subrev_nc_u32_e32 v38, 28, v40
	v_lshlrev_b64 v[38:39], v38, v[1:2]
	v_sub_nc_u32_e32 v39, 29, v40
	v_and_b32_e32 v38, 7, v38
; %bb.103:                              ;   in Loop: Header=BB275_15 Depth=1
	s_or_b32 exec_lo, exec_lo, s44
	v_lshlrev_b32_e32 v1, 8, v1
	v_lshl_add_u32 v39, v39, 10, 0x2000
	v_lshlrev_b32_e32 v38, 7, v38
	v_and_b32_e32 v1, 0x8000, v1
	v_and_b32_e32 v39, 0xfc00, v39
	v_or3_b32 v38, v1, v39, v38
.LBB275_104:                            ;   in Loop: Header=BB275_15 Depth=1
	s_or_b32 exec_lo, exec_lo, s43
.LBB275_105:                            ;   in Loop: Header=BB275_15 Depth=1
	s_or_b32 exec_lo, exec_lo, s42
.LBB275_106:                            ;   in Loop: Header=BB275_15 Depth=1
	s_or_b32 exec_lo, exec_lo, s41
	v_mov_b32_e32 v39, 0
	v_mov_b32_e32 v40, 0
	s_mov_b32 s41, exec_lo
	v_cmpx_lt_u32_e32 0xffffff, v9
	s_cbranch_execz .LBB275_114
; %bb.107:                              ;   in Loop: Header=BB275_15 Depth=1
	v_lshrrev_b32_e32 v1, 24, v9
	v_bfrev_b32_e32 v40, 1
	s_mov_b32 s42, exec_lo
	v_cmpx_ne_u32_e32 0x80, v1
	s_cbranch_execz .LBB275_113
; %bb.108:                              ;   in Loop: Header=BB275_15 Depth=1
	v_and_b32_e32 v42, 0x7f, v1
	v_mov_b32_e32 v40, 0x7c010000
	s_mov_b32 s43, exec_lo
	v_cmpx_ne_u32_e32 0x7f, v42
	s_cbranch_execz .LBB275_112
; %bb.109:                              ;   in Loop: Header=BB275_15 Depth=1
	v_and_b32_e32 v40, 7, v1
	v_lshrrev_b32_e32 v41, 3, v42
	s_mov_b32 s44, exec_lo
	v_cmpx_gt_u32_e32 8, v42
; %bb.110:                              ;   in Loop: Header=BB275_15 Depth=1
	v_ffbh_u32_e32 v40, v40
	v_min_u32_e32 v42, 32, v40
	v_subrev_nc_u32_e32 v40, 28, v42
	v_lshlrev_b64 v[40:41], v40, v[1:2]
	v_sub_nc_u32_e32 v41, 29, v42
	v_and_b32_e32 v40, 7, v40
; %bb.111:                              ;   in Loop: Header=BB275_15 Depth=1
	s_or_b32 exec_lo, exec_lo, s44
	v_lshlrev_b32_e32 v1, 8, v1
	v_lshl_add_u32 v41, v41, 10, 0x2000
	v_lshlrev_b32_e32 v40, 23, v40
	v_and_or_b32 v1, 0x8000, v1, v41
	v_lshl_or_b32 v40, v1, 16, v40
.LBB275_112:                            ;   in Loop: Header=BB275_15 Depth=1
	s_or_b32 exec_lo, exec_lo, s43
.LBB275_113:                            ;   in Loop: Header=BB275_15 Depth=1
	s_or_b32 exec_lo, exec_lo, s42
.LBB275_114:                            ;   in Loop: Header=BB275_15 Depth=1
	s_or_b32 exec_lo, exec_lo, s41
	v_mov_b32_e32 v1, v10
	v_cmp_ne_u16_sdwa s1, v10, v2 src0_sel:BYTE_0 src1_sel:DWORD
	s_and_saveexec_b32 s41, s1
	s_cbranch_execz .LBB275_122
; %bb.115:                              ;   in Loop: Header=BB275_15 Depth=1
	v_cmp_ne_u16_sdwa s1, v10, v19 src0_sel:BYTE_0 src1_sel:DWORD
	v_mov_b32_e32 v39, 0x8000
	s_and_saveexec_b32 s42, s1
	s_cbranch_execz .LBB275_121
; %bb.116:                              ;   in Loop: Header=BB275_15 Depth=1
	v_and_b32_e32 v42, 0x7f, v10
	v_mov_b32_e32 v39, 0x7c01
	s_mov_b32 s43, exec_lo
	v_cmpx_ne_u32_e32 0x7f, v42
	s_cbranch_execz .LBB275_120
; %bb.117:                              ;   in Loop: Header=BB275_15 Depth=1
	v_and_b32_e32 v39, 7, v10
	v_lshrrev_b32_e32 v41, 3, v42
	s_mov_b32 s44, exec_lo
	v_cmpx_gt_u32_e32 8, v42
; %bb.118:                              ;   in Loop: Header=BB275_15 Depth=1
	v_ffbh_u32_e32 v39, v39
	v_min_u32_e32 v39, 32, v39
	v_subrev_nc_u32_e32 v41, 28, v39
	v_lshlrev_b64 v[42:43], v41, v[1:2]
	v_sub_nc_u32_e32 v41, 29, v39
	v_and_b32_e32 v39, 7, v42
; %bb.119:                              ;   in Loop: Header=BB275_15 Depth=1
	s_or_b32 exec_lo, exec_lo, s44
	v_lshlrev_b32_e32 v42, 8, v10
	v_lshl_add_u32 v41, v41, 10, 0x2000
	v_lshlrev_b32_e32 v39, 7, v39
	v_and_b32_e32 v42, 0x8000, v42
	v_and_b32_e32 v41, 0xfc00, v41
	v_or3_b32 v39, v42, v41, v39
.LBB275_120:                            ;   in Loop: Header=BB275_15 Depth=1
	s_or_b32 exec_lo, exec_lo, s43
.LBB275_121:                            ;   in Loop: Header=BB275_15 Depth=1
	s_or_b32 exec_lo, exec_lo, s42
.LBB275_122:                            ;   in Loop: Header=BB275_15 Depth=1
	s_or_b32 exec_lo, exec_lo, s41
	v_lshrrev_b16 v1, 8, v1
	v_mov_b32_e32 v43, 0
	v_mov_b32_e32 v42, 0
	s_mov_b32 s41, exec_lo
	v_cmpx_ne_u16_e32 0, v1
	s_cbranch_execz .LBB275_130
; %bb.123:                              ;   in Loop: Header=BB275_15 Depth=1
	v_bfrev_b32_e32 v42, 1
	s_mov_b32 s42, exec_lo
	v_cmpx_ne_u16_e32 0x80, v1
	s_cbranch_execz .LBB275_129
; %bb.124:                              ;   in Loop: Header=BB275_15 Depth=1
	v_and_b32_sdwa v44, v1, v20 dst_sel:DWORD dst_unused:UNUSED_PAD src0_sel:WORD_0 src1_sel:DWORD
	v_mov_b32_e32 v42, 0x7c010000
	s_mov_b32 s43, exec_lo
	v_cmpx_ne_u32_e32 0x7f, v44
	s_cbranch_execz .LBB275_128
; %bb.125:                              ;   in Loop: Header=BB275_15 Depth=1
	v_and_b32_sdwa v41, v1, v21 dst_sel:DWORD dst_unused:UNUSED_PAD src0_sel:WORD_0 src1_sel:DWORD
	v_lshrrev_b32_e32 v42, 3, v44
	s_mov_b32 s44, exec_lo
	v_cmpx_gt_u32_e32 8, v44
; %bb.126:                              ;   in Loop: Header=BB275_15 Depth=1
	v_ffbh_u32_e32 v41, v41
	v_min_u32_e32 v44, 32, v41
	v_subrev_nc_u32_e32 v41, 28, v44
	v_lshlrev_b64 v[41:42], v41, v[1:2]
	v_sub_nc_u32_e32 v42, 29, v44
	v_and_b32_e32 v41, 7, v41
; %bb.127:                              ;   in Loop: Header=BB275_15 Depth=1
	s_or_b32 exec_lo, exec_lo, s44
	v_lshlrev_b32_sdwa v1, v22, v1 dst_sel:DWORD dst_unused:UNUSED_PAD src0_sel:DWORD src1_sel:WORD_0
	v_lshl_add_u32 v42, v42, 10, 0x2000
	v_lshlrev_b32_e32 v41, 23, v41
	v_and_or_b32 v1, 0x8000, v1, v42
	v_lshl_or_b32 v42, v1, 16, v41
.LBB275_128:                            ;   in Loop: Header=BB275_15 Depth=1
	s_or_b32 exec_lo, exec_lo, s43
.LBB275_129:                            ;   in Loop: Header=BB275_15 Depth=1
	s_or_b32 exec_lo, exec_lo, s42
.LBB275_130:                            ;   in Loop: Header=BB275_15 Depth=1
	s_or_b32 exec_lo, exec_lo, s41
	v_lshrrev_b32_e32 v1, 16, v10
	v_cmp_ne_u16_sdwa s1, v1, v2 src0_sel:BYTE_0 src1_sel:DWORD
	s_and_saveexec_b32 s41, s1
	s_cbranch_execz .LBB275_138
; %bb.131:                              ;   in Loop: Header=BB275_15 Depth=1
	v_cmp_ne_u16_sdwa s1, v1, v19 src0_sel:BYTE_0 src1_sel:DWORD
	v_mov_b32_e32 v43, 0x8000
	s_and_saveexec_b32 s42, s1
	s_cbranch_execz .LBB275_137
; %bb.132:                              ;   in Loop: Header=BB275_15 Depth=1
	v_bfe_u32 v44, v10, 16, 7
	v_mov_b32_e32 v43, 0x7c01
	s_mov_b32 s43, exec_lo
	v_cmpx_ne_u32_e32 0x7f, v44
	s_cbranch_execz .LBB275_136
; %bb.133:                              ;   in Loop: Header=BB275_15 Depth=1
	v_and_b32_e32 v41, 7, v1
	v_lshrrev_b32_e32 v43, 3, v44
	s_mov_b32 s44, exec_lo
	v_cmpx_gt_u32_e32 8, v44
; %bb.134:                              ;   in Loop: Header=BB275_15 Depth=1
	v_ffbh_u32_e32 v41, v41
	v_min_u32_e32 v41, 32, v41
	v_subrev_nc_u32_e32 v43, 28, v41
	v_lshlrev_b64 v[44:45], v43, v[1:2]
	v_sub_nc_u32_e32 v43, 29, v41
	v_and_b32_e32 v41, 7, v44
; %bb.135:                              ;   in Loop: Header=BB275_15 Depth=1
	s_or_b32 exec_lo, exec_lo, s44
	v_lshlrev_b32_e32 v1, 8, v1
	v_lshl_add_u32 v43, v43, 10, 0x2000
	v_lshlrev_b32_e32 v41, 7, v41
	v_and_b32_e32 v1, 0x8000, v1
	v_and_b32_e32 v43, 0xfc00, v43
	v_or3_b32 v43, v1, v43, v41
.LBB275_136:                            ;   in Loop: Header=BB275_15 Depth=1
	s_or_b32 exec_lo, exec_lo, s43
.LBB275_137:                            ;   in Loop: Header=BB275_15 Depth=1
	s_or_b32 exec_lo, exec_lo, s42
.LBB275_138:                            ;   in Loop: Header=BB275_15 Depth=1
	s_or_b32 exec_lo, exec_lo, s41
	v_mov_b32_e32 v41, 0
	v_mov_b32_e32 v46, 0
	s_mov_b32 s41, exec_lo
	v_cmpx_lt_u64_e64 s[4:5], v[9:10]
	s_cbranch_execz .LBB275_146
; %bb.139:                              ;   in Loop: Header=BB275_15 Depth=1
	v_lshrrev_b32_e32 v1, 24, v10
	v_bfrev_b32_e32 v46, 1
	s_mov_b32 s42, exec_lo
	v_cmpx_ne_u32_e32 0x80, v1
	s_cbranch_execz .LBB275_145
; %bb.140:                              ;   in Loop: Header=BB275_15 Depth=1
	v_and_b32_e32 v44, 0x7f, v1
	v_mov_b32_e32 v46, 0x7c010000
	s_mov_b32 s43, exec_lo
	v_cmpx_ne_u32_e32 0x7f, v44
	s_cbranch_execz .LBB275_144
; %bb.141:                              ;   in Loop: Header=BB275_15 Depth=1
	v_and_b32_e32 v9, 7, v1
	v_lshrrev_b32_e32 v10, 3, v44
	s_mov_b32 s44, exec_lo
	v_cmpx_gt_u32_e32 8, v44
; %bb.142:                              ;   in Loop: Header=BB275_15 Depth=1
	v_ffbh_u32_e32 v9, v9
	v_min_u32_e32 v44, 32, v9
	v_subrev_nc_u32_e32 v9, 28, v44
	v_lshlrev_b64 v[9:10], v9, v[1:2]
	v_sub_nc_u32_e32 v10, 29, v44
	v_and_b32_e32 v9, 7, v9
; %bb.143:                              ;   in Loop: Header=BB275_15 Depth=1
	s_or_b32 exec_lo, exec_lo, s44
	v_lshlrev_b32_e32 v1, 8, v1
	v_lshl_add_u32 v10, v10, 10, 0x2000
	v_lshlrev_b32_e32 v9, 23, v9
	v_and_or_b32 v1, 0x8000, v1, v10
	v_lshl_or_b32 v46, v1, 16, v9
.LBB275_144:                            ;   in Loop: Header=BB275_15 Depth=1
	s_or_b32 exec_lo, exec_lo, s43
.LBB275_145:                            ;   in Loop: Header=BB275_15 Depth=1
	s_or_b32 exec_lo, exec_lo, s42
.LBB275_146:                            ;   in Loop: Header=BB275_15 Depth=1
	s_or_b32 exec_lo, exec_lo, s41
	global_load_dwordx2 v[9:10], v[7:8], off offset:512
	s_waitcnt vmcnt(0)
	v_cmp_ne_u16_sdwa s1, v9, v2 src0_sel:BYTE_0 src1_sel:DWORD
	s_and_saveexec_b32 s41, s1
	s_cbranch_execz .LBB275_154
; %bb.147:                              ;   in Loop: Header=BB275_15 Depth=1
	v_cmp_ne_u16_sdwa s1, v9, v19 src0_sel:BYTE_0 src1_sel:DWORD
	v_mov_b32_e32 v41, 0x8000
	s_and_saveexec_b32 s42, s1
	s_cbranch_execz .LBB275_153
; %bb.148:                              ;   in Loop: Header=BB275_15 Depth=1
	v_and_b32_e32 v44, 0x7f, v9
	v_mov_b32_e32 v41, 0x7c01
	s_mov_b32 s43, exec_lo
	v_cmpx_ne_u32_e32 0x7f, v44
	s_cbranch_execz .LBB275_152
; %bb.149:                              ;   in Loop: Header=BB275_15 Depth=1
	v_and_b32_e32 v1, 7, v9
	v_lshrrev_b32_e32 v41, 3, v44
	s_mov_b32 s44, exec_lo
	v_cmpx_gt_u32_e32 8, v44
; %bb.150:                              ;   in Loop: Header=BB275_15 Depth=1
	v_ffbh_u32_e32 v1, v1
	v_min_u32_e32 v1, 32, v1
	v_subrev_nc_u32_e32 v41, 28, v1
	v_lshlrev_b64 v[44:45], v41, v[9:10]
	v_sub_nc_u32_e32 v41, 29, v1
	v_and_b32_e32 v1, 7, v44
; %bb.151:                              ;   in Loop: Header=BB275_15 Depth=1
	s_or_b32 exec_lo, exec_lo, s44
	v_lshlrev_b32_e32 v44, 8, v9
	v_lshl_add_u32 v41, v41, 10, 0x2000
	v_lshlrev_b32_e32 v1, 7, v1
	v_and_b32_e32 v44, 0x8000, v44
	v_and_b32_e32 v41, 0xfc00, v41
	v_or3_b32 v41, v44, v41, v1
.LBB275_152:                            ;   in Loop: Header=BB275_15 Depth=1
	s_or_b32 exec_lo, exec_lo, s43
.LBB275_153:                            ;   in Loop: Header=BB275_15 Depth=1
	s_or_b32 exec_lo, exec_lo, s42
.LBB275_154:                            ;   in Loop: Header=BB275_15 Depth=1
	s_or_b32 exec_lo, exec_lo, s41
	v_lshrrev_b16 v1, 8, v9
	v_mov_b32_e32 v45, 0
	v_mov_b32_e32 v44, 0
	s_mov_b32 s41, exec_lo
	v_cmpx_ne_u16_e32 0, v1
	s_cbranch_execz .LBB275_162
; %bb.155:                              ;   in Loop: Header=BB275_15 Depth=1
	v_bfrev_b32_e32 v44, 1
	s_mov_b32 s42, exec_lo
	v_cmpx_ne_u16_e32 0x80, v1
	s_cbranch_execz .LBB275_161
; %bb.156:                              ;   in Loop: Header=BB275_15 Depth=1
	v_and_b32_sdwa v48, v1, v20 dst_sel:DWORD dst_unused:UNUSED_PAD src0_sel:WORD_0 src1_sel:DWORD
	v_mov_b32_e32 v44, 0x7c010000
	s_mov_b32 s43, exec_lo
	v_cmpx_ne_u32_e32 0x7f, v48
	s_cbranch_execz .LBB275_160
; %bb.157:                              ;   in Loop: Header=BB275_15 Depth=1
	v_and_b32_sdwa v44, v1, v21 dst_sel:DWORD dst_unused:UNUSED_PAD src0_sel:WORD_0 src1_sel:DWORD
	v_lshrrev_b32_e32 v47, 3, v48
	s_mov_b32 s44, exec_lo
	v_cmpx_gt_u32_e32 8, v48
; %bb.158:                              ;   in Loop: Header=BB275_15 Depth=1
	v_ffbh_u32_e32 v44, v44
	v_min_u32_e32 v44, 32, v44
	v_subrev_nc_u32_e32 v47, 28, v44
	v_lshlrev_b64 v[48:49], v47, v[1:2]
	v_sub_nc_u32_e32 v47, 29, v44
	v_and_b32_e32 v44, 7, v48
; %bb.159:                              ;   in Loop: Header=BB275_15 Depth=1
	s_or_b32 exec_lo, exec_lo, s44
	v_lshlrev_b32_sdwa v1, v22, v1 dst_sel:DWORD dst_unused:UNUSED_PAD src0_sel:DWORD src1_sel:WORD_0
	v_lshl_add_u32 v47, v47, 10, 0x2000
	v_lshlrev_b32_e32 v44, 23, v44
	v_and_or_b32 v1, 0x8000, v1, v47
	v_lshl_or_b32 v44, v1, 16, v44
.LBB275_160:                            ;   in Loop: Header=BB275_15 Depth=1
	s_or_b32 exec_lo, exec_lo, s43
.LBB275_161:                            ;   in Loop: Header=BB275_15 Depth=1
	s_or_b32 exec_lo, exec_lo, s42
.LBB275_162:                            ;   in Loop: Header=BB275_15 Depth=1
	s_or_b32 exec_lo, exec_lo, s41
	v_lshrrev_b32_e32 v1, 16, v9
	v_cmp_ne_u16_sdwa s1, v1, v2 src0_sel:BYTE_0 src1_sel:DWORD
	s_and_saveexec_b32 s41, s1
	s_cbranch_execz .LBB275_170
; %bb.163:                              ;   in Loop: Header=BB275_15 Depth=1
	v_cmp_ne_u16_sdwa s1, v1, v19 src0_sel:BYTE_0 src1_sel:DWORD
	v_mov_b32_e32 v45, 0x8000
	s_and_saveexec_b32 s42, s1
	s_cbranch_execz .LBB275_169
; %bb.164:                              ;   in Loop: Header=BB275_15 Depth=1
	v_bfe_u32 v48, v9, 16, 7
	v_mov_b32_e32 v45, 0x7c01
	s_mov_b32 s43, exec_lo
	v_cmpx_ne_u32_e32 0x7f, v48
	s_cbranch_execz .LBB275_168
; %bb.165:                              ;   in Loop: Header=BB275_15 Depth=1
	v_and_b32_e32 v45, 7, v1
	v_lshrrev_b32_e32 v47, 3, v48
	s_mov_b32 s44, exec_lo
	v_cmpx_gt_u32_e32 8, v48
; %bb.166:                              ;   in Loop: Header=BB275_15 Depth=1
	v_ffbh_u32_e32 v45, v45
	v_min_u32_e32 v45, 32, v45
	v_subrev_nc_u32_e32 v47, 28, v45
	v_lshlrev_b64 v[48:49], v47, v[1:2]
	v_sub_nc_u32_e32 v47, 29, v45
	v_and_b32_e32 v45, 7, v48
; %bb.167:                              ;   in Loop: Header=BB275_15 Depth=1
	s_or_b32 exec_lo, exec_lo, s44
	v_lshlrev_b32_e32 v1, 8, v1
	v_lshl_add_u32 v47, v47, 10, 0x2000
	v_lshlrev_b32_e32 v45, 7, v45
	v_and_b32_e32 v1, 0x8000, v1
	v_and_b32_e32 v47, 0xfc00, v47
	v_or3_b32 v45, v1, v47, v45
.LBB275_168:                            ;   in Loop: Header=BB275_15 Depth=1
	s_or_b32 exec_lo, exec_lo, s43
.LBB275_169:                            ;   in Loop: Header=BB275_15 Depth=1
	s_or_b32 exec_lo, exec_lo, s42
.LBB275_170:                            ;   in Loop: Header=BB275_15 Depth=1
	s_or_b32 exec_lo, exec_lo, s41
	v_mov_b32_e32 v47, 0
	v_mov_b32_e32 v48, 0
	s_mov_b32 s41, exec_lo
	v_cmpx_lt_u32_e32 0xffffff, v9
	s_cbranch_execz .LBB275_178
; %bb.171:                              ;   in Loop: Header=BB275_15 Depth=1
	v_lshrrev_b32_e32 v1, 24, v9
	v_bfrev_b32_e32 v48, 1
	s_mov_b32 s42, exec_lo
	v_cmpx_ne_u32_e32 0x80, v1
	s_cbranch_execz .LBB275_177
; %bb.172:                              ;   in Loop: Header=BB275_15 Depth=1
	v_and_b32_e32 v50, 0x7f, v1
	v_mov_b32_e32 v48, 0x7c010000
	s_mov_b32 s43, exec_lo
	v_cmpx_ne_u32_e32 0x7f, v50
	s_cbranch_execz .LBB275_176
; %bb.173:                              ;   in Loop: Header=BB275_15 Depth=1
	v_and_b32_e32 v48, 7, v1
	v_lshrrev_b32_e32 v49, 3, v50
	s_mov_b32 s44, exec_lo
	v_cmpx_gt_u32_e32 8, v50
; %bb.174:                              ;   in Loop: Header=BB275_15 Depth=1
	v_ffbh_u32_e32 v48, v48
	v_min_u32_e32 v50, 32, v48
	v_subrev_nc_u32_e32 v48, 28, v50
	v_lshlrev_b64 v[48:49], v48, v[1:2]
	v_sub_nc_u32_e32 v49, 29, v50
	v_and_b32_e32 v48, 7, v48
; %bb.175:                              ;   in Loop: Header=BB275_15 Depth=1
	s_or_b32 exec_lo, exec_lo, s44
	v_lshlrev_b32_e32 v1, 8, v1
	v_lshl_add_u32 v49, v49, 10, 0x2000
	v_lshlrev_b32_e32 v48, 23, v48
	v_and_or_b32 v1, 0x8000, v1, v49
	v_lshl_or_b32 v48, v1, 16, v48
.LBB275_176:                            ;   in Loop: Header=BB275_15 Depth=1
	s_or_b32 exec_lo, exec_lo, s43
.LBB275_177:                            ;   in Loop: Header=BB275_15 Depth=1
	s_or_b32 exec_lo, exec_lo, s42
.LBB275_178:                            ;   in Loop: Header=BB275_15 Depth=1
	s_or_b32 exec_lo, exec_lo, s41
	v_mov_b32_e32 v1, v10
	v_cmp_ne_u16_sdwa s1, v10, v2 src0_sel:BYTE_0 src1_sel:DWORD
	s_and_saveexec_b32 s41, s1
	s_cbranch_execz .LBB275_186
; %bb.179:                              ;   in Loop: Header=BB275_15 Depth=1
	v_cmp_ne_u16_sdwa s1, v10, v19 src0_sel:BYTE_0 src1_sel:DWORD
	v_mov_b32_e32 v47, 0x8000
	s_and_saveexec_b32 s42, s1
	s_cbranch_execz .LBB275_185
; %bb.180:                              ;   in Loop: Header=BB275_15 Depth=1
	v_and_b32_e32 v50, 0x7f, v10
	v_mov_b32_e32 v47, 0x7c01
	s_mov_b32 s43, exec_lo
	v_cmpx_ne_u32_e32 0x7f, v50
	s_cbranch_execz .LBB275_184
; %bb.181:                              ;   in Loop: Header=BB275_15 Depth=1
	v_and_b32_e32 v47, 7, v10
	v_lshrrev_b32_e32 v49, 3, v50
	s_mov_b32 s44, exec_lo
	v_cmpx_gt_u32_e32 8, v50
; %bb.182:                              ;   in Loop: Header=BB275_15 Depth=1
	v_ffbh_u32_e32 v47, v47
	v_min_u32_e32 v47, 32, v47
	v_subrev_nc_u32_e32 v49, 28, v47
	v_lshlrev_b64 v[50:51], v49, v[1:2]
	v_sub_nc_u32_e32 v49, 29, v47
	v_and_b32_e32 v47, 7, v50
; %bb.183:                              ;   in Loop: Header=BB275_15 Depth=1
	s_or_b32 exec_lo, exec_lo, s44
	v_lshlrev_b32_e32 v50, 8, v10
	v_lshl_add_u32 v49, v49, 10, 0x2000
	v_lshlrev_b32_e32 v47, 7, v47
	v_and_b32_e32 v50, 0x8000, v50
	v_and_b32_e32 v49, 0xfc00, v49
	v_or3_b32 v47, v50, v49, v47
.LBB275_184:                            ;   in Loop: Header=BB275_15 Depth=1
	s_or_b32 exec_lo, exec_lo, s43
.LBB275_185:                            ;   in Loop: Header=BB275_15 Depth=1
	s_or_b32 exec_lo, exec_lo, s42
.LBB275_186:                            ;   in Loop: Header=BB275_15 Depth=1
	s_or_b32 exec_lo, exec_lo, s41
	v_lshrrev_b16 v1, 8, v1
	v_mov_b32_e32 v51, 0
	v_mov_b32_e32 v50, 0
	s_mov_b32 s41, exec_lo
	v_cmpx_ne_u16_e32 0, v1
	s_cbranch_execz .LBB275_194
; %bb.187:                              ;   in Loop: Header=BB275_15 Depth=1
	v_bfrev_b32_e32 v50, 1
	s_mov_b32 s42, exec_lo
	v_cmpx_ne_u16_e32 0x80, v1
	s_cbranch_execz .LBB275_193
; %bb.188:                              ;   in Loop: Header=BB275_15 Depth=1
	v_and_b32_sdwa v52, v1, v20 dst_sel:DWORD dst_unused:UNUSED_PAD src0_sel:WORD_0 src1_sel:DWORD
	v_mov_b32_e32 v50, 0x7c010000
	s_mov_b32 s43, exec_lo
	v_cmpx_ne_u32_e32 0x7f, v52
	s_cbranch_execz .LBB275_192
; %bb.189:                              ;   in Loop: Header=BB275_15 Depth=1
	v_and_b32_sdwa v49, v1, v21 dst_sel:DWORD dst_unused:UNUSED_PAD src0_sel:WORD_0 src1_sel:DWORD
	v_lshrrev_b32_e32 v50, 3, v52
	s_mov_b32 s44, exec_lo
	v_cmpx_gt_u32_e32 8, v52
; %bb.190:                              ;   in Loop: Header=BB275_15 Depth=1
	v_ffbh_u32_e32 v49, v49
	v_min_u32_e32 v52, 32, v49
	v_subrev_nc_u32_e32 v49, 28, v52
	v_lshlrev_b64 v[49:50], v49, v[1:2]
	v_sub_nc_u32_e32 v50, 29, v52
	v_and_b32_e32 v49, 7, v49
; %bb.191:                              ;   in Loop: Header=BB275_15 Depth=1
	s_or_b32 exec_lo, exec_lo, s44
	v_lshlrev_b32_sdwa v1, v22, v1 dst_sel:DWORD dst_unused:UNUSED_PAD src0_sel:DWORD src1_sel:WORD_0
	v_lshl_add_u32 v50, v50, 10, 0x2000
	v_lshlrev_b32_e32 v49, 23, v49
	v_and_or_b32 v1, 0x8000, v1, v50
	v_lshl_or_b32 v50, v1, 16, v49
.LBB275_192:                            ;   in Loop: Header=BB275_15 Depth=1
	s_or_b32 exec_lo, exec_lo, s43
.LBB275_193:                            ;   in Loop: Header=BB275_15 Depth=1
	s_or_b32 exec_lo, exec_lo, s42
.LBB275_194:                            ;   in Loop: Header=BB275_15 Depth=1
	s_or_b32 exec_lo, exec_lo, s41
	v_lshrrev_b32_e32 v1, 16, v10
	v_cmp_ne_u16_sdwa s1, v1, v2 src0_sel:BYTE_0 src1_sel:DWORD
	s_and_saveexec_b32 s41, s1
	s_cbranch_execz .LBB275_202
; %bb.195:                              ;   in Loop: Header=BB275_15 Depth=1
	v_cmp_ne_u16_sdwa s1, v1, v19 src0_sel:BYTE_0 src1_sel:DWORD
	v_mov_b32_e32 v51, 0x8000
	s_and_saveexec_b32 s42, s1
	s_cbranch_execz .LBB275_201
; %bb.196:                              ;   in Loop: Header=BB275_15 Depth=1
	v_bfe_u32 v52, v10, 16, 7
	v_mov_b32_e32 v51, 0x7c01
	s_mov_b32 s43, exec_lo
	v_cmpx_ne_u32_e32 0x7f, v52
	s_cbranch_execz .LBB275_200
; %bb.197:                              ;   in Loop: Header=BB275_15 Depth=1
	v_and_b32_e32 v49, 7, v1
	v_lshrrev_b32_e32 v51, 3, v52
	s_mov_b32 s44, exec_lo
	v_cmpx_gt_u32_e32 8, v52
; %bb.198:                              ;   in Loop: Header=BB275_15 Depth=1
	v_ffbh_u32_e32 v49, v49
	v_min_u32_e32 v49, 32, v49
	v_subrev_nc_u32_e32 v51, 28, v49
	v_lshlrev_b64 v[52:53], v51, v[1:2]
	v_sub_nc_u32_e32 v51, 29, v49
	v_and_b32_e32 v49, 7, v52
; %bb.199:                              ;   in Loop: Header=BB275_15 Depth=1
	s_or_b32 exec_lo, exec_lo, s44
	v_lshlrev_b32_e32 v1, 8, v1
	v_lshl_add_u32 v51, v51, 10, 0x2000
	v_lshlrev_b32_e32 v49, 7, v49
	v_and_b32_e32 v1, 0x8000, v1
	v_and_b32_e32 v51, 0xfc00, v51
	v_or3_b32 v51, v1, v51, v49
.LBB275_200:                            ;   in Loop: Header=BB275_15 Depth=1
	s_or_b32 exec_lo, exec_lo, s43
.LBB275_201:                            ;   in Loop: Header=BB275_15 Depth=1
	s_or_b32 exec_lo, exec_lo, s42
.LBB275_202:                            ;   in Loop: Header=BB275_15 Depth=1
	s_or_b32 exec_lo, exec_lo, s41
	v_mov_b32_e32 v49, 0
	v_mov_b32_e32 v54, 0
	s_mov_b32 s41, exec_lo
	v_cmpx_lt_u64_e64 s[4:5], v[9:10]
	s_cbranch_execz .LBB275_210
; %bb.203:                              ;   in Loop: Header=BB275_15 Depth=1
	v_lshrrev_b32_e32 v1, 24, v10
	v_bfrev_b32_e32 v54, 1
	s_mov_b32 s42, exec_lo
	v_cmpx_ne_u32_e32 0x80, v1
	s_cbranch_execz .LBB275_209
; %bb.204:                              ;   in Loop: Header=BB275_15 Depth=1
	v_and_b32_e32 v52, 0x7f, v1
	v_mov_b32_e32 v54, 0x7c010000
	s_mov_b32 s43, exec_lo
	v_cmpx_ne_u32_e32 0x7f, v52
	s_cbranch_execz .LBB275_208
; %bb.205:                              ;   in Loop: Header=BB275_15 Depth=1
	v_and_b32_e32 v9, 7, v1
	v_lshrrev_b32_e32 v10, 3, v52
	s_mov_b32 s44, exec_lo
	v_cmpx_gt_u32_e32 8, v52
; %bb.206:                              ;   in Loop: Header=BB275_15 Depth=1
	v_ffbh_u32_e32 v9, v9
	v_min_u32_e32 v52, 32, v9
	v_subrev_nc_u32_e32 v9, 28, v52
	v_lshlrev_b64 v[9:10], v9, v[1:2]
	v_sub_nc_u32_e32 v10, 29, v52
	v_and_b32_e32 v9, 7, v9
; %bb.207:                              ;   in Loop: Header=BB275_15 Depth=1
	s_or_b32 exec_lo, exec_lo, s44
	v_lshlrev_b32_e32 v1, 8, v1
	v_lshl_add_u32 v10, v10, 10, 0x2000
	v_lshlrev_b32_e32 v9, 23, v9
	v_and_or_b32 v1, 0x8000, v1, v10
	v_lshl_or_b32 v54, v1, 16, v9
.LBB275_208:                            ;   in Loop: Header=BB275_15 Depth=1
	s_or_b32 exec_lo, exec_lo, s43
.LBB275_209:                            ;   in Loop: Header=BB275_15 Depth=1
	s_or_b32 exec_lo, exec_lo, s42
.LBB275_210:                            ;   in Loop: Header=BB275_15 Depth=1
	s_or_b32 exec_lo, exec_lo, s41
	global_load_dwordx2 v[9:10], v[7:8], off offset:520
	s_waitcnt vmcnt(0)
	v_cmp_ne_u16_sdwa s1, v9, v2 src0_sel:BYTE_0 src1_sel:DWORD
	s_and_saveexec_b32 s41, s1
	s_cbranch_execz .LBB275_218
; %bb.211:                              ;   in Loop: Header=BB275_15 Depth=1
	v_cmp_ne_u16_sdwa s1, v9, v19 src0_sel:BYTE_0 src1_sel:DWORD
	v_mov_b32_e32 v49, 0x8000
	s_and_saveexec_b32 s42, s1
	s_cbranch_execz .LBB275_217
; %bb.212:                              ;   in Loop: Header=BB275_15 Depth=1
	v_and_b32_e32 v52, 0x7f, v9
	v_mov_b32_e32 v49, 0x7c01
	s_mov_b32 s43, exec_lo
	v_cmpx_ne_u32_e32 0x7f, v52
	s_cbranch_execz .LBB275_216
; %bb.213:                              ;   in Loop: Header=BB275_15 Depth=1
	v_and_b32_e32 v1, 7, v9
	v_lshrrev_b32_e32 v49, 3, v52
	s_mov_b32 s44, exec_lo
	v_cmpx_gt_u32_e32 8, v52
; %bb.214:                              ;   in Loop: Header=BB275_15 Depth=1
	v_ffbh_u32_e32 v1, v1
	v_min_u32_e32 v1, 32, v1
	v_subrev_nc_u32_e32 v49, 28, v1
	v_lshlrev_b64 v[52:53], v49, v[9:10]
	v_sub_nc_u32_e32 v49, 29, v1
	v_and_b32_e32 v1, 7, v52
; %bb.215:                              ;   in Loop: Header=BB275_15 Depth=1
	s_or_b32 exec_lo, exec_lo, s44
	v_lshlrev_b32_e32 v52, 8, v9
	v_lshl_add_u32 v49, v49, 10, 0x2000
	v_lshlrev_b32_e32 v1, 7, v1
	v_and_b32_e32 v52, 0x8000, v52
	v_and_b32_e32 v49, 0xfc00, v49
	v_or3_b32 v49, v52, v49, v1
.LBB275_216:                            ;   in Loop: Header=BB275_15 Depth=1
	s_or_b32 exec_lo, exec_lo, s43
.LBB275_217:                            ;   in Loop: Header=BB275_15 Depth=1
	s_or_b32 exec_lo, exec_lo, s42
.LBB275_218:                            ;   in Loop: Header=BB275_15 Depth=1
	s_or_b32 exec_lo, exec_lo, s41
	v_lshrrev_b16 v1, 8, v9
	v_mov_b32_e32 v53, 0
	v_mov_b32_e32 v52, 0
	s_mov_b32 s41, exec_lo
	v_cmpx_ne_u16_e32 0, v1
	s_cbranch_execz .LBB275_226
; %bb.219:                              ;   in Loop: Header=BB275_15 Depth=1
	v_bfrev_b32_e32 v52, 1
	s_mov_b32 s42, exec_lo
	v_cmpx_ne_u16_e32 0x80, v1
	s_cbranch_execz .LBB275_225
; %bb.220:                              ;   in Loop: Header=BB275_15 Depth=1
	v_and_b32_sdwa v56, v1, v20 dst_sel:DWORD dst_unused:UNUSED_PAD src0_sel:WORD_0 src1_sel:DWORD
	v_mov_b32_e32 v52, 0x7c010000
	s_mov_b32 s43, exec_lo
	v_cmpx_ne_u32_e32 0x7f, v56
	s_cbranch_execz .LBB275_224
; %bb.221:                              ;   in Loop: Header=BB275_15 Depth=1
	v_and_b32_sdwa v52, v1, v21 dst_sel:DWORD dst_unused:UNUSED_PAD src0_sel:WORD_0 src1_sel:DWORD
	v_lshrrev_b32_e32 v55, 3, v56
	s_mov_b32 s44, exec_lo
	v_cmpx_gt_u32_e32 8, v56
; %bb.222:                              ;   in Loop: Header=BB275_15 Depth=1
	v_ffbh_u32_e32 v52, v52
	v_min_u32_e32 v52, 32, v52
	v_subrev_nc_u32_e32 v55, 28, v52
	v_lshlrev_b64 v[56:57], v55, v[1:2]
	v_sub_nc_u32_e32 v55, 29, v52
	v_and_b32_e32 v52, 7, v56
; %bb.223:                              ;   in Loop: Header=BB275_15 Depth=1
	s_or_b32 exec_lo, exec_lo, s44
	v_lshlrev_b32_sdwa v1, v22, v1 dst_sel:DWORD dst_unused:UNUSED_PAD src0_sel:DWORD src1_sel:WORD_0
	v_lshl_add_u32 v55, v55, 10, 0x2000
	v_lshlrev_b32_e32 v52, 23, v52
	v_and_or_b32 v1, 0x8000, v1, v55
	v_lshl_or_b32 v52, v1, 16, v52
.LBB275_224:                            ;   in Loop: Header=BB275_15 Depth=1
	s_or_b32 exec_lo, exec_lo, s43
.LBB275_225:                            ;   in Loop: Header=BB275_15 Depth=1
	s_or_b32 exec_lo, exec_lo, s42
.LBB275_226:                            ;   in Loop: Header=BB275_15 Depth=1
	s_or_b32 exec_lo, exec_lo, s41
	v_lshrrev_b32_e32 v1, 16, v9
	v_cmp_ne_u16_sdwa s1, v1, v2 src0_sel:BYTE_0 src1_sel:DWORD
	s_and_saveexec_b32 s41, s1
	s_cbranch_execz .LBB275_234
; %bb.227:                              ;   in Loop: Header=BB275_15 Depth=1
	v_cmp_ne_u16_sdwa s1, v1, v19 src0_sel:BYTE_0 src1_sel:DWORD
	v_mov_b32_e32 v53, 0x8000
	s_and_saveexec_b32 s42, s1
	s_cbranch_execz .LBB275_233
; %bb.228:                              ;   in Loop: Header=BB275_15 Depth=1
	v_bfe_u32 v56, v9, 16, 7
	v_mov_b32_e32 v53, 0x7c01
	s_mov_b32 s43, exec_lo
	v_cmpx_ne_u32_e32 0x7f, v56
	s_cbranch_execz .LBB275_232
; %bb.229:                              ;   in Loop: Header=BB275_15 Depth=1
	v_and_b32_e32 v53, 7, v1
	v_lshrrev_b32_e32 v55, 3, v56
	s_mov_b32 s44, exec_lo
	v_cmpx_gt_u32_e32 8, v56
; %bb.230:                              ;   in Loop: Header=BB275_15 Depth=1
	v_ffbh_u32_e32 v53, v53
	v_min_u32_e32 v53, 32, v53
	v_subrev_nc_u32_e32 v55, 28, v53
	v_lshlrev_b64 v[56:57], v55, v[1:2]
	v_sub_nc_u32_e32 v55, 29, v53
	v_and_b32_e32 v53, 7, v56
; %bb.231:                              ;   in Loop: Header=BB275_15 Depth=1
	s_or_b32 exec_lo, exec_lo, s44
	v_lshlrev_b32_e32 v1, 8, v1
	v_lshl_add_u32 v55, v55, 10, 0x2000
	v_lshlrev_b32_e32 v53, 7, v53
	v_and_b32_e32 v1, 0x8000, v1
	v_and_b32_e32 v55, 0xfc00, v55
	v_or3_b32 v53, v1, v55, v53
.LBB275_232:                            ;   in Loop: Header=BB275_15 Depth=1
	s_or_b32 exec_lo, exec_lo, s43
.LBB275_233:                            ;   in Loop: Header=BB275_15 Depth=1
	s_or_b32 exec_lo, exec_lo, s42
.LBB275_234:                            ;   in Loop: Header=BB275_15 Depth=1
	s_or_b32 exec_lo, exec_lo, s41
	v_mov_b32_e32 v55, 0
	v_mov_b32_e32 v56, 0
	s_mov_b32 s41, exec_lo
	v_cmpx_lt_u32_e32 0xffffff, v9
	s_cbranch_execz .LBB275_242
; %bb.235:                              ;   in Loop: Header=BB275_15 Depth=1
	v_lshrrev_b32_e32 v1, 24, v9
	v_bfrev_b32_e32 v56, 1
	s_mov_b32 s42, exec_lo
	v_cmpx_ne_u32_e32 0x80, v1
	s_cbranch_execz .LBB275_241
; %bb.236:                              ;   in Loop: Header=BB275_15 Depth=1
	v_and_b32_e32 v58, 0x7f, v1
	v_mov_b32_e32 v56, 0x7c010000
	s_mov_b32 s43, exec_lo
	v_cmpx_ne_u32_e32 0x7f, v58
	s_cbranch_execz .LBB275_240
; %bb.237:                              ;   in Loop: Header=BB275_15 Depth=1
	v_and_b32_e32 v56, 7, v1
	v_lshrrev_b32_e32 v57, 3, v58
	s_mov_b32 s44, exec_lo
	v_cmpx_gt_u32_e32 8, v58
; %bb.238:                              ;   in Loop: Header=BB275_15 Depth=1
	v_ffbh_u32_e32 v56, v56
	v_min_u32_e32 v58, 32, v56
	v_subrev_nc_u32_e32 v56, 28, v58
	v_lshlrev_b64 v[56:57], v56, v[1:2]
	v_sub_nc_u32_e32 v57, 29, v58
	v_and_b32_e32 v56, 7, v56
; %bb.239:                              ;   in Loop: Header=BB275_15 Depth=1
	s_or_b32 exec_lo, exec_lo, s44
	v_lshlrev_b32_e32 v1, 8, v1
	v_lshl_add_u32 v57, v57, 10, 0x2000
	v_lshlrev_b32_e32 v56, 23, v56
	v_and_or_b32 v1, 0x8000, v1, v57
	v_lshl_or_b32 v56, v1, 16, v56
.LBB275_240:                            ;   in Loop: Header=BB275_15 Depth=1
	s_or_b32 exec_lo, exec_lo, s43
.LBB275_241:                            ;   in Loop: Header=BB275_15 Depth=1
	s_or_b32 exec_lo, exec_lo, s42
.LBB275_242:                            ;   in Loop: Header=BB275_15 Depth=1
	s_or_b32 exec_lo, exec_lo, s41
	v_mov_b32_e32 v1, v10
	v_cmp_ne_u16_sdwa s1, v10, v2 src0_sel:BYTE_0 src1_sel:DWORD
	s_and_saveexec_b32 s41, s1
	s_cbranch_execz .LBB275_250
; %bb.243:                              ;   in Loop: Header=BB275_15 Depth=1
	v_cmp_ne_u16_sdwa s1, v10, v19 src0_sel:BYTE_0 src1_sel:DWORD
	v_mov_b32_e32 v55, 0x8000
	s_and_saveexec_b32 s42, s1
	s_cbranch_execz .LBB275_249
; %bb.244:                              ;   in Loop: Header=BB275_15 Depth=1
	v_and_b32_e32 v58, 0x7f, v10
	v_mov_b32_e32 v55, 0x7c01
	s_mov_b32 s43, exec_lo
	v_cmpx_ne_u32_e32 0x7f, v58
	s_cbranch_execz .LBB275_248
; %bb.245:                              ;   in Loop: Header=BB275_15 Depth=1
	v_and_b32_e32 v55, 7, v10
	v_lshrrev_b32_e32 v57, 3, v58
	s_mov_b32 s44, exec_lo
	v_cmpx_gt_u32_e32 8, v58
; %bb.246:                              ;   in Loop: Header=BB275_15 Depth=1
	v_ffbh_u32_e32 v55, v55
	v_min_u32_e32 v55, 32, v55
	v_subrev_nc_u32_e32 v57, 28, v55
	v_lshlrev_b64 v[58:59], v57, v[1:2]
	v_sub_nc_u32_e32 v57, 29, v55
	v_and_b32_e32 v55, 7, v58
; %bb.247:                              ;   in Loop: Header=BB275_15 Depth=1
	s_or_b32 exec_lo, exec_lo, s44
	v_lshlrev_b32_e32 v58, 8, v10
	v_lshl_add_u32 v57, v57, 10, 0x2000
	v_lshlrev_b32_e32 v55, 7, v55
	v_and_b32_e32 v58, 0x8000, v58
	v_and_b32_e32 v57, 0xfc00, v57
	v_or3_b32 v55, v58, v57, v55
.LBB275_248:                            ;   in Loop: Header=BB275_15 Depth=1
	s_or_b32 exec_lo, exec_lo, s43
.LBB275_249:                            ;   in Loop: Header=BB275_15 Depth=1
	s_or_b32 exec_lo, exec_lo, s42
.LBB275_250:                            ;   in Loop: Header=BB275_15 Depth=1
	s_or_b32 exec_lo, exec_lo, s41
	v_lshrrev_b16 v1, 8, v1
	v_mov_b32_e32 v59, 0
	v_mov_b32_e32 v58, 0
	s_mov_b32 s41, exec_lo
	v_cmpx_ne_u16_e32 0, v1
	s_cbranch_execz .LBB275_258
; %bb.251:                              ;   in Loop: Header=BB275_15 Depth=1
	v_bfrev_b32_e32 v58, 1
	s_mov_b32 s42, exec_lo
	v_cmpx_ne_u16_e32 0x80, v1
	s_cbranch_execz .LBB275_257
; %bb.252:                              ;   in Loop: Header=BB275_15 Depth=1
	v_and_b32_sdwa v60, v1, v20 dst_sel:DWORD dst_unused:UNUSED_PAD src0_sel:WORD_0 src1_sel:DWORD
	v_mov_b32_e32 v58, 0x7c010000
	s_mov_b32 s43, exec_lo
	v_cmpx_ne_u32_e32 0x7f, v60
	s_cbranch_execz .LBB275_256
; %bb.253:                              ;   in Loop: Header=BB275_15 Depth=1
	v_and_b32_sdwa v57, v1, v21 dst_sel:DWORD dst_unused:UNUSED_PAD src0_sel:WORD_0 src1_sel:DWORD
	v_lshrrev_b32_e32 v58, 3, v60
	s_mov_b32 s44, exec_lo
	v_cmpx_gt_u32_e32 8, v60
; %bb.254:                              ;   in Loop: Header=BB275_15 Depth=1
	v_ffbh_u32_e32 v57, v57
	v_min_u32_e32 v60, 32, v57
	v_subrev_nc_u32_e32 v57, 28, v60
	v_lshlrev_b64 v[57:58], v57, v[1:2]
	v_sub_nc_u32_e32 v58, 29, v60
	v_and_b32_e32 v57, 7, v57
; %bb.255:                              ;   in Loop: Header=BB275_15 Depth=1
	s_or_b32 exec_lo, exec_lo, s44
	v_lshlrev_b32_sdwa v1, v22, v1 dst_sel:DWORD dst_unused:UNUSED_PAD src0_sel:DWORD src1_sel:WORD_0
	v_lshl_add_u32 v58, v58, 10, 0x2000
	v_lshlrev_b32_e32 v57, 23, v57
	v_and_or_b32 v1, 0x8000, v1, v58
	v_lshl_or_b32 v58, v1, 16, v57
.LBB275_256:                            ;   in Loop: Header=BB275_15 Depth=1
	s_or_b32 exec_lo, exec_lo, s43
.LBB275_257:                            ;   in Loop: Header=BB275_15 Depth=1
	s_or_b32 exec_lo, exec_lo, s42
.LBB275_258:                            ;   in Loop: Header=BB275_15 Depth=1
	s_or_b32 exec_lo, exec_lo, s41
	v_lshrrev_b32_e32 v1, 16, v10
	v_cmp_ne_u16_sdwa s1, v1, v2 src0_sel:BYTE_0 src1_sel:DWORD
	s_and_saveexec_b32 s41, s1
	s_cbranch_execz .LBB275_266
; %bb.259:                              ;   in Loop: Header=BB275_15 Depth=1
	v_cmp_ne_u16_sdwa s1, v1, v19 src0_sel:BYTE_0 src1_sel:DWORD
	v_mov_b32_e32 v59, 0x8000
	s_and_saveexec_b32 s42, s1
	s_cbranch_execz .LBB275_265
; %bb.260:                              ;   in Loop: Header=BB275_15 Depth=1
	v_bfe_u32 v60, v10, 16, 7
	v_mov_b32_e32 v59, 0x7c01
	s_mov_b32 s43, exec_lo
	v_cmpx_ne_u32_e32 0x7f, v60
	s_cbranch_execz .LBB275_264
; %bb.261:                              ;   in Loop: Header=BB275_15 Depth=1
	v_and_b32_e32 v57, 7, v1
	v_lshrrev_b32_e32 v59, 3, v60
	s_mov_b32 s44, exec_lo
	v_cmpx_gt_u32_e32 8, v60
; %bb.262:                              ;   in Loop: Header=BB275_15 Depth=1
	v_ffbh_u32_e32 v57, v57
	v_min_u32_e32 v57, 32, v57
	v_subrev_nc_u32_e32 v59, 28, v57
	v_lshlrev_b64 v[60:61], v59, v[1:2]
	v_sub_nc_u32_e32 v59, 29, v57
	v_and_b32_e32 v57, 7, v60
; %bb.263:                              ;   in Loop: Header=BB275_15 Depth=1
	s_or_b32 exec_lo, exec_lo, s44
	v_lshlrev_b32_e32 v1, 8, v1
	v_lshl_add_u32 v59, v59, 10, 0x2000
	v_lshlrev_b32_e32 v57, 7, v57
	v_and_b32_e32 v1, 0x8000, v1
	v_and_b32_e32 v59, 0xfc00, v59
	v_or3_b32 v59, v1, v59, v57
.LBB275_264:                            ;   in Loop: Header=BB275_15 Depth=1
	s_or_b32 exec_lo, exec_lo, s43
.LBB275_265:                            ;   in Loop: Header=BB275_15 Depth=1
	s_or_b32 exec_lo, exec_lo, s42
.LBB275_266:                            ;   in Loop: Header=BB275_15 Depth=1
	s_or_b32 exec_lo, exec_lo, s41
	v_mov_b32_e32 v57, 0
	v_mov_b32_e32 v62, 0
	s_mov_b32 s41, exec_lo
	v_cmpx_lt_u64_e64 s[4:5], v[9:10]
	s_cbranch_execz .LBB275_274
; %bb.267:                              ;   in Loop: Header=BB275_15 Depth=1
	v_lshrrev_b32_e32 v1, 24, v10
	v_bfrev_b32_e32 v62, 1
	s_mov_b32 s42, exec_lo
	v_cmpx_ne_u32_e32 0x80, v1
	s_cbranch_execz .LBB275_273
; %bb.268:                              ;   in Loop: Header=BB275_15 Depth=1
	v_and_b32_e32 v60, 0x7f, v1
	v_mov_b32_e32 v62, 0x7c010000
	s_mov_b32 s43, exec_lo
	v_cmpx_ne_u32_e32 0x7f, v60
	s_cbranch_execz .LBB275_272
; %bb.269:                              ;   in Loop: Header=BB275_15 Depth=1
	v_and_b32_e32 v9, 7, v1
	v_lshrrev_b32_e32 v10, 3, v60
	s_mov_b32 s44, exec_lo
	v_cmpx_gt_u32_e32 8, v60
; %bb.270:                              ;   in Loop: Header=BB275_15 Depth=1
	v_ffbh_u32_e32 v9, v9
	v_min_u32_e32 v60, 32, v9
	v_subrev_nc_u32_e32 v9, 28, v60
	v_lshlrev_b64 v[9:10], v9, v[1:2]
	v_sub_nc_u32_e32 v10, 29, v60
	v_and_b32_e32 v9, 7, v9
; %bb.271:                              ;   in Loop: Header=BB275_15 Depth=1
	s_or_b32 exec_lo, exec_lo, s44
	v_lshlrev_b32_e32 v1, 8, v1
	v_lshl_add_u32 v10, v10, 10, 0x2000
	v_lshlrev_b32_e32 v9, 23, v9
	v_and_or_b32 v1, 0x8000, v1, v10
	v_lshl_or_b32 v62, v1, 16, v9
.LBB275_272:                            ;   in Loop: Header=BB275_15 Depth=1
	s_or_b32 exec_lo, exec_lo, s43
.LBB275_273:                            ;   in Loop: Header=BB275_15 Depth=1
	s_or_b32 exec_lo, exec_lo, s42
.LBB275_274:                            ;   in Loop: Header=BB275_15 Depth=1
	s_or_b32 exec_lo, exec_lo, s41
	global_load_dwordx2 v[9:10], v[7:8], off offset:1024
	s_waitcnt vmcnt(0)
	v_cmp_ne_u16_sdwa s1, v9, v2 src0_sel:BYTE_0 src1_sel:DWORD
	s_and_saveexec_b32 s41, s1
	s_cbranch_execz .LBB275_282
; %bb.275:                              ;   in Loop: Header=BB275_15 Depth=1
	v_cmp_ne_u16_sdwa s1, v9, v19 src0_sel:BYTE_0 src1_sel:DWORD
	v_mov_b32_e32 v57, 0x8000
	s_and_saveexec_b32 s42, s1
	s_cbranch_execz .LBB275_281
; %bb.276:                              ;   in Loop: Header=BB275_15 Depth=1
	v_and_b32_e32 v60, 0x7f, v9
	v_mov_b32_e32 v57, 0x7c01
	s_mov_b32 s43, exec_lo
	v_cmpx_ne_u32_e32 0x7f, v60
	s_cbranch_execz .LBB275_280
; %bb.277:                              ;   in Loop: Header=BB275_15 Depth=1
	v_and_b32_e32 v1, 7, v9
	v_lshrrev_b32_e32 v57, 3, v60
	s_mov_b32 s44, exec_lo
	v_cmpx_gt_u32_e32 8, v60
; %bb.278:                              ;   in Loop: Header=BB275_15 Depth=1
	v_ffbh_u32_e32 v1, v1
	v_min_u32_e32 v1, 32, v1
	v_subrev_nc_u32_e32 v57, 28, v1
	v_lshlrev_b64 v[60:61], v57, v[9:10]
	v_sub_nc_u32_e32 v57, 29, v1
	v_and_b32_e32 v1, 7, v60
; %bb.279:                              ;   in Loop: Header=BB275_15 Depth=1
	s_or_b32 exec_lo, exec_lo, s44
	v_lshlrev_b32_e32 v60, 8, v9
	v_lshl_add_u32 v57, v57, 10, 0x2000
	v_lshlrev_b32_e32 v1, 7, v1
	v_and_b32_e32 v60, 0x8000, v60
	v_and_b32_e32 v57, 0xfc00, v57
	v_or3_b32 v57, v60, v57, v1
.LBB275_280:                            ;   in Loop: Header=BB275_15 Depth=1
	s_or_b32 exec_lo, exec_lo, s43
.LBB275_281:                            ;   in Loop: Header=BB275_15 Depth=1
	s_or_b32 exec_lo, exec_lo, s42
.LBB275_282:                            ;   in Loop: Header=BB275_15 Depth=1
	s_or_b32 exec_lo, exec_lo, s41
	v_lshrrev_b16 v1, 8, v9
	v_mov_b32_e32 v61, 0
	v_mov_b32_e32 v60, 0
	s_mov_b32 s41, exec_lo
	v_cmpx_ne_u16_e32 0, v1
	s_cbranch_execz .LBB275_290
; %bb.283:                              ;   in Loop: Header=BB275_15 Depth=1
	v_bfrev_b32_e32 v60, 1
	s_mov_b32 s42, exec_lo
	v_cmpx_ne_u16_e32 0x80, v1
	s_cbranch_execz .LBB275_289
; %bb.284:                              ;   in Loop: Header=BB275_15 Depth=1
	v_and_b32_sdwa v64, v1, v20 dst_sel:DWORD dst_unused:UNUSED_PAD src0_sel:WORD_0 src1_sel:DWORD
	v_mov_b32_e32 v60, 0x7c010000
	s_mov_b32 s43, exec_lo
	v_cmpx_ne_u32_e32 0x7f, v64
	s_cbranch_execz .LBB275_288
; %bb.285:                              ;   in Loop: Header=BB275_15 Depth=1
	v_and_b32_sdwa v60, v1, v21 dst_sel:DWORD dst_unused:UNUSED_PAD src0_sel:WORD_0 src1_sel:DWORD
	v_lshrrev_b32_e32 v63, 3, v64
	s_mov_b32 s44, exec_lo
	v_cmpx_gt_u32_e32 8, v64
; %bb.286:                              ;   in Loop: Header=BB275_15 Depth=1
	v_ffbh_u32_e32 v60, v60
	v_min_u32_e32 v60, 32, v60
	v_subrev_nc_u32_e32 v63, 28, v60
	v_lshlrev_b64 v[64:65], v63, v[1:2]
	v_sub_nc_u32_e32 v63, 29, v60
	v_and_b32_e32 v60, 7, v64
; %bb.287:                              ;   in Loop: Header=BB275_15 Depth=1
	s_or_b32 exec_lo, exec_lo, s44
	v_lshlrev_b32_sdwa v1, v22, v1 dst_sel:DWORD dst_unused:UNUSED_PAD src0_sel:DWORD src1_sel:WORD_0
	v_lshl_add_u32 v63, v63, 10, 0x2000
	v_lshlrev_b32_e32 v60, 23, v60
	v_and_or_b32 v1, 0x8000, v1, v63
	v_lshl_or_b32 v60, v1, 16, v60
.LBB275_288:                            ;   in Loop: Header=BB275_15 Depth=1
	s_or_b32 exec_lo, exec_lo, s43
.LBB275_289:                            ;   in Loop: Header=BB275_15 Depth=1
	s_or_b32 exec_lo, exec_lo, s42
.LBB275_290:                            ;   in Loop: Header=BB275_15 Depth=1
	s_or_b32 exec_lo, exec_lo, s41
	v_lshrrev_b32_e32 v1, 16, v9
	v_cmp_ne_u16_sdwa s1, v1, v2 src0_sel:BYTE_0 src1_sel:DWORD
	s_and_saveexec_b32 s41, s1
	s_cbranch_execz .LBB275_298
; %bb.291:                              ;   in Loop: Header=BB275_15 Depth=1
	v_cmp_ne_u16_sdwa s1, v1, v19 src0_sel:BYTE_0 src1_sel:DWORD
	v_mov_b32_e32 v61, 0x8000
	s_and_saveexec_b32 s42, s1
	s_cbranch_execz .LBB275_297
; %bb.292:                              ;   in Loop: Header=BB275_15 Depth=1
	v_bfe_u32 v64, v9, 16, 7
	v_mov_b32_e32 v61, 0x7c01
	s_mov_b32 s43, exec_lo
	v_cmpx_ne_u32_e32 0x7f, v64
	s_cbranch_execz .LBB275_296
; %bb.293:                              ;   in Loop: Header=BB275_15 Depth=1
	v_and_b32_e32 v61, 7, v1
	v_lshrrev_b32_e32 v63, 3, v64
	s_mov_b32 s44, exec_lo
	v_cmpx_gt_u32_e32 8, v64
; %bb.294:                              ;   in Loop: Header=BB275_15 Depth=1
	v_ffbh_u32_e32 v61, v61
	v_min_u32_e32 v61, 32, v61
	v_subrev_nc_u32_e32 v63, 28, v61
	v_lshlrev_b64 v[64:65], v63, v[1:2]
	v_sub_nc_u32_e32 v63, 29, v61
	v_and_b32_e32 v61, 7, v64
; %bb.295:                              ;   in Loop: Header=BB275_15 Depth=1
	s_or_b32 exec_lo, exec_lo, s44
	v_lshlrev_b32_e32 v1, 8, v1
	v_lshl_add_u32 v63, v63, 10, 0x2000
	v_lshlrev_b32_e32 v61, 7, v61
	v_and_b32_e32 v1, 0x8000, v1
	v_and_b32_e32 v63, 0xfc00, v63
	v_or3_b32 v61, v1, v63, v61
.LBB275_296:                            ;   in Loop: Header=BB275_15 Depth=1
	s_or_b32 exec_lo, exec_lo, s43
.LBB275_297:                            ;   in Loop: Header=BB275_15 Depth=1
	s_or_b32 exec_lo, exec_lo, s42
.LBB275_298:                            ;   in Loop: Header=BB275_15 Depth=1
	s_or_b32 exec_lo, exec_lo, s41
	v_mov_b32_e32 v63, 0
	v_mov_b32_e32 v64, 0
	s_mov_b32 s41, exec_lo
	v_cmpx_lt_u32_e32 0xffffff, v9
	s_cbranch_execz .LBB275_306
; %bb.299:                              ;   in Loop: Header=BB275_15 Depth=1
	v_lshrrev_b32_e32 v1, 24, v9
	v_bfrev_b32_e32 v64, 1
	s_mov_b32 s42, exec_lo
	v_cmpx_ne_u32_e32 0x80, v1
	s_cbranch_execz .LBB275_305
; %bb.300:                              ;   in Loop: Header=BB275_15 Depth=1
	v_and_b32_e32 v66, 0x7f, v1
	v_mov_b32_e32 v64, 0x7c010000
	s_mov_b32 s43, exec_lo
	v_cmpx_ne_u32_e32 0x7f, v66
	s_cbranch_execz .LBB275_304
; %bb.301:                              ;   in Loop: Header=BB275_15 Depth=1
	v_and_b32_e32 v64, 7, v1
	v_lshrrev_b32_e32 v65, 3, v66
	s_mov_b32 s44, exec_lo
	v_cmpx_gt_u32_e32 8, v66
; %bb.302:                              ;   in Loop: Header=BB275_15 Depth=1
	v_ffbh_u32_e32 v64, v64
	v_min_u32_e32 v66, 32, v64
	v_subrev_nc_u32_e32 v64, 28, v66
	v_lshlrev_b64 v[64:65], v64, v[1:2]
	v_sub_nc_u32_e32 v65, 29, v66
	v_and_b32_e32 v64, 7, v64
; %bb.303:                              ;   in Loop: Header=BB275_15 Depth=1
	s_or_b32 exec_lo, exec_lo, s44
	v_lshlrev_b32_e32 v1, 8, v1
	v_lshl_add_u32 v65, v65, 10, 0x2000
	v_lshlrev_b32_e32 v64, 23, v64
	v_and_or_b32 v1, 0x8000, v1, v65
	v_lshl_or_b32 v64, v1, 16, v64
.LBB275_304:                            ;   in Loop: Header=BB275_15 Depth=1
	s_or_b32 exec_lo, exec_lo, s43
.LBB275_305:                            ;   in Loop: Header=BB275_15 Depth=1
	s_or_b32 exec_lo, exec_lo, s42
.LBB275_306:                            ;   in Loop: Header=BB275_15 Depth=1
	s_or_b32 exec_lo, exec_lo, s41
	v_mov_b32_e32 v1, v10
	v_cmp_ne_u16_sdwa s1, v10, v2 src0_sel:BYTE_0 src1_sel:DWORD
	s_and_saveexec_b32 s41, s1
	s_cbranch_execz .LBB275_314
; %bb.307:                              ;   in Loop: Header=BB275_15 Depth=1
	v_cmp_ne_u16_sdwa s1, v10, v19 src0_sel:BYTE_0 src1_sel:DWORD
	v_mov_b32_e32 v63, 0x8000
	s_and_saveexec_b32 s42, s1
	s_cbranch_execz .LBB275_313
; %bb.308:                              ;   in Loop: Header=BB275_15 Depth=1
	v_and_b32_e32 v66, 0x7f, v10
	v_mov_b32_e32 v63, 0x7c01
	s_mov_b32 s43, exec_lo
	v_cmpx_ne_u32_e32 0x7f, v66
	s_cbranch_execz .LBB275_312
; %bb.309:                              ;   in Loop: Header=BB275_15 Depth=1
	v_and_b32_e32 v63, 7, v10
	v_lshrrev_b32_e32 v65, 3, v66
	s_mov_b32 s44, exec_lo
	v_cmpx_gt_u32_e32 8, v66
; %bb.310:                              ;   in Loop: Header=BB275_15 Depth=1
	v_ffbh_u32_e32 v63, v63
	v_min_u32_e32 v63, 32, v63
	v_subrev_nc_u32_e32 v65, 28, v63
	v_lshlrev_b64 v[66:67], v65, v[1:2]
	v_sub_nc_u32_e32 v65, 29, v63
	v_and_b32_e32 v63, 7, v66
; %bb.311:                              ;   in Loop: Header=BB275_15 Depth=1
	s_or_b32 exec_lo, exec_lo, s44
	v_lshlrev_b32_e32 v66, 8, v10
	v_lshl_add_u32 v65, v65, 10, 0x2000
	v_lshlrev_b32_e32 v63, 7, v63
	v_and_b32_e32 v66, 0x8000, v66
	v_and_b32_e32 v65, 0xfc00, v65
	v_or3_b32 v63, v66, v65, v63
.LBB275_312:                            ;   in Loop: Header=BB275_15 Depth=1
	s_or_b32 exec_lo, exec_lo, s43
.LBB275_313:                            ;   in Loop: Header=BB275_15 Depth=1
	s_or_b32 exec_lo, exec_lo, s42
.LBB275_314:                            ;   in Loop: Header=BB275_15 Depth=1
	s_or_b32 exec_lo, exec_lo, s41
	v_lshrrev_b16 v1, 8, v1
	v_mov_b32_e32 v66, 0
	v_mov_b32_e32 v65, 0
	s_mov_b32 s41, exec_lo
	v_cmpx_ne_u16_e32 0, v1
	s_cbranch_execz .LBB275_322
; %bb.315:                              ;   in Loop: Header=BB275_15 Depth=1
	v_bfrev_b32_e32 v65, 1
	s_mov_b32 s42, exec_lo
	v_cmpx_ne_u16_e32 0x80, v1
	s_cbranch_execz .LBB275_321
; %bb.316:                              ;   in Loop: Header=BB275_15 Depth=1
	v_and_b32_sdwa v68, v1, v20 dst_sel:DWORD dst_unused:UNUSED_PAD src0_sel:WORD_0 src1_sel:DWORD
	v_mov_b32_e32 v65, 0x7c010000
	s_mov_b32 s43, exec_lo
	v_cmpx_ne_u32_e32 0x7f, v68
	s_cbranch_execz .LBB275_320
; %bb.317:                              ;   in Loop: Header=BB275_15 Depth=1
	v_and_b32_sdwa v65, v1, v21 dst_sel:DWORD dst_unused:UNUSED_PAD src0_sel:WORD_0 src1_sel:DWORD
	v_lshrrev_b32_e32 v67, 3, v68
	s_mov_b32 s44, exec_lo
	v_cmpx_gt_u32_e32 8, v68
; %bb.318:                              ;   in Loop: Header=BB275_15 Depth=1
	v_ffbh_u32_e32 v65, v65
	v_min_u32_e32 v65, 32, v65
	v_subrev_nc_u32_e32 v67, 28, v65
	v_lshlrev_b64 v[68:69], v67, v[1:2]
	v_sub_nc_u32_e32 v67, 29, v65
	v_and_b32_e32 v65, 7, v68
; %bb.319:                              ;   in Loop: Header=BB275_15 Depth=1
	s_or_b32 exec_lo, exec_lo, s44
	v_lshlrev_b32_sdwa v1, v22, v1 dst_sel:DWORD dst_unused:UNUSED_PAD src0_sel:DWORD src1_sel:WORD_0
	v_lshl_add_u32 v67, v67, 10, 0x2000
	v_lshlrev_b32_e32 v65, 23, v65
	v_and_or_b32 v1, 0x8000, v1, v67
	v_lshl_or_b32 v65, v1, 16, v65
.LBB275_320:                            ;   in Loop: Header=BB275_15 Depth=1
	s_or_b32 exec_lo, exec_lo, s43
.LBB275_321:                            ;   in Loop: Header=BB275_15 Depth=1
	s_or_b32 exec_lo, exec_lo, s42
.LBB275_322:                            ;   in Loop: Header=BB275_15 Depth=1
	s_or_b32 exec_lo, exec_lo, s41
	v_lshrrev_b32_e32 v1, 16, v10
	v_cmp_ne_u16_sdwa s1, v1, v2 src0_sel:BYTE_0 src1_sel:DWORD
	s_and_saveexec_b32 s41, s1
	s_cbranch_execz .LBB275_330
; %bb.323:                              ;   in Loop: Header=BB275_15 Depth=1
	v_cmp_ne_u16_sdwa s1, v1, v19 src0_sel:BYTE_0 src1_sel:DWORD
	v_mov_b32_e32 v66, 0x8000
	s_and_saveexec_b32 s42, s1
	s_cbranch_execz .LBB275_329
; %bb.324:                              ;   in Loop: Header=BB275_15 Depth=1
	v_bfe_u32 v68, v10, 16, 7
	v_mov_b32_e32 v66, 0x7c01
	s_mov_b32 s43, exec_lo
	v_cmpx_ne_u32_e32 0x7f, v68
	s_cbranch_execz .LBB275_328
; %bb.325:                              ;   in Loop: Header=BB275_15 Depth=1
	v_and_b32_e32 v66, 7, v1
	v_lshrrev_b32_e32 v67, 3, v68
	s_mov_b32 s44, exec_lo
	v_cmpx_gt_u32_e32 8, v68
; %bb.326:                              ;   in Loop: Header=BB275_15 Depth=1
	v_ffbh_u32_e32 v66, v66
	v_min_u32_e32 v68, 32, v66
	v_subrev_nc_u32_e32 v66, 28, v68
	v_lshlrev_b64 v[66:67], v66, v[1:2]
	v_sub_nc_u32_e32 v67, 29, v68
	v_and_b32_e32 v66, 7, v66
; %bb.327:                              ;   in Loop: Header=BB275_15 Depth=1
	s_or_b32 exec_lo, exec_lo, s44
	v_lshlrev_b32_e32 v1, 8, v1
	v_lshl_add_u32 v67, v67, 10, 0x2000
	v_lshlrev_b32_e32 v66, 7, v66
	v_and_b32_e32 v1, 0x8000, v1
	v_and_b32_e32 v67, 0xfc00, v67
	v_or3_b32 v66, v1, v67, v66
.LBB275_328:                            ;   in Loop: Header=BB275_15 Depth=1
	s_or_b32 exec_lo, exec_lo, s43
.LBB275_329:                            ;   in Loop: Header=BB275_15 Depth=1
	s_or_b32 exec_lo, exec_lo, s42
.LBB275_330:                            ;   in Loop: Header=BB275_15 Depth=1
	s_or_b32 exec_lo, exec_lo, s41
	v_mov_b32_e32 v68, 0
	v_mov_b32_e32 v67, 0
	s_mov_b32 s41, exec_lo
	v_cmpx_lt_u64_e64 s[4:5], v[9:10]
	s_cbranch_execz .LBB275_338
; %bb.331:                              ;   in Loop: Header=BB275_15 Depth=1
	v_lshrrev_b32_e32 v1, 24, v10
	v_bfrev_b32_e32 v67, 1
	s_mov_b32 s42, exec_lo
	v_cmpx_ne_u32_e32 0x80, v1
	s_cbranch_execz .LBB275_337
; %bb.332:                              ;   in Loop: Header=BB275_15 Depth=1
	v_and_b32_e32 v69, 0x7f, v1
	v_mov_b32_e32 v67, 0x7c010000
	s_mov_b32 s43, exec_lo
	v_cmpx_ne_u32_e32 0x7f, v69
	s_cbranch_execz .LBB275_336
; %bb.333:                              ;   in Loop: Header=BB275_15 Depth=1
	v_and_b32_e32 v9, 7, v1
	v_lshrrev_b32_e32 v10, 3, v69
	s_mov_b32 s44, exec_lo
	v_cmpx_gt_u32_e32 8, v69
; %bb.334:                              ;   in Loop: Header=BB275_15 Depth=1
	v_ffbh_u32_e32 v9, v9
	v_min_u32_e32 v67, 32, v9
	v_subrev_nc_u32_e32 v9, 28, v67
	v_lshlrev_b64 v[9:10], v9, v[1:2]
	v_sub_nc_u32_e32 v10, 29, v67
	v_and_b32_e32 v9, 7, v9
; %bb.335:                              ;   in Loop: Header=BB275_15 Depth=1
	s_or_b32 exec_lo, exec_lo, s44
	v_lshlrev_b32_e32 v1, 8, v1
	v_lshl_add_u32 v10, v10, 10, 0x2000
	v_lshlrev_b32_e32 v9, 23, v9
	v_and_or_b32 v1, 0x8000, v1, v10
	v_lshl_or_b32 v67, v1, 16, v9
.LBB275_336:                            ;   in Loop: Header=BB275_15 Depth=1
	s_or_b32 exec_lo, exec_lo, s43
.LBB275_337:                            ;   in Loop: Header=BB275_15 Depth=1
	s_or_b32 exec_lo, exec_lo, s42
.LBB275_338:                            ;   in Loop: Header=BB275_15 Depth=1
	s_or_b32 exec_lo, exec_lo, s41
	global_load_dwordx2 v[9:10], v[7:8], off offset:1032
	s_waitcnt vmcnt(0)
	v_cmp_ne_u16_sdwa s1, v9, v2 src0_sel:BYTE_0 src1_sel:DWORD
	s_and_saveexec_b32 s41, s1
	s_cbranch_execz .LBB275_346
; %bb.339:                              ;   in Loop: Header=BB275_15 Depth=1
	v_cmp_ne_u16_sdwa s1, v9, v19 src0_sel:BYTE_0 src1_sel:DWORD
	v_mov_b32_e32 v68, 0x8000
	s_and_saveexec_b32 s42, s1
	s_cbranch_execz .LBB275_345
; %bb.340:                              ;   in Loop: Header=BB275_15 Depth=1
	v_and_b32_e32 v69, 0x7f, v9
	v_mov_b32_e32 v68, 0x7c01
	s_mov_b32 s43, exec_lo
	v_cmpx_ne_u32_e32 0x7f, v69
	s_cbranch_execz .LBB275_344
; %bb.341:                              ;   in Loop: Header=BB275_15 Depth=1
	v_and_b32_e32 v1, 7, v9
	v_lshrrev_b32_e32 v68, 3, v69
	s_mov_b32 s44, exec_lo
	v_cmpx_gt_u32_e32 8, v69
; %bb.342:                              ;   in Loop: Header=BB275_15 Depth=1
	v_ffbh_u32_e32 v1, v1
	v_min_u32_e32 v1, 32, v1
	v_subrev_nc_u32_e32 v68, 28, v1
	v_lshlrev_b64 v[69:70], v68, v[9:10]
	v_sub_nc_u32_e32 v68, 29, v1
	v_and_b32_e32 v1, 7, v69
; %bb.343:                              ;   in Loop: Header=BB275_15 Depth=1
	s_or_b32 exec_lo, exec_lo, s44
	v_lshlrev_b32_e32 v69, 8, v9
	v_lshl_add_u32 v68, v68, 10, 0x2000
	v_lshlrev_b32_e32 v1, 7, v1
	v_and_b32_e32 v69, 0x8000, v69
	v_and_b32_e32 v68, 0xfc00, v68
	v_or3_b32 v68, v69, v68, v1
.LBB275_344:                            ;   in Loop: Header=BB275_15 Depth=1
	s_or_b32 exec_lo, exec_lo, s43
.LBB275_345:                            ;   in Loop: Header=BB275_15 Depth=1
	s_or_b32 exec_lo, exec_lo, s42
.LBB275_346:                            ;   in Loop: Header=BB275_15 Depth=1
	s_or_b32 exec_lo, exec_lo, s41
	v_lshrrev_b16 v1, 8, v9
	v_mov_b32_e32 v75, 0
	v_mov_b32_e32 v69, 0
	s_mov_b32 s41, exec_lo
	v_cmpx_ne_u16_e32 0, v1
	s_cbranch_execz .LBB275_354
; %bb.347:                              ;   in Loop: Header=BB275_15 Depth=1
	v_bfrev_b32_e32 v69, 1
	s_mov_b32 s42, exec_lo
	v_cmpx_ne_u16_e32 0x80, v1
	s_cbranch_execz .LBB275_353
; %bb.348:                              ;   in Loop: Header=BB275_15 Depth=1
	v_and_b32_sdwa v71, v1, v20 dst_sel:DWORD dst_unused:UNUSED_PAD src0_sel:WORD_0 src1_sel:DWORD
	v_mov_b32_e32 v69, 0x7c010000
	s_mov_b32 s43, exec_lo
	v_cmpx_ne_u32_e32 0x7f, v71
	s_cbranch_execz .LBB275_352
; %bb.349:                              ;   in Loop: Header=BB275_15 Depth=1
	v_and_b32_sdwa v69, v1, v21 dst_sel:DWORD dst_unused:UNUSED_PAD src0_sel:WORD_0 src1_sel:DWORD
	v_lshrrev_b32_e32 v70, 3, v71
	s_mov_b32 s44, exec_lo
	v_cmpx_gt_u32_e32 8, v71
; %bb.350:                              ;   in Loop: Header=BB275_15 Depth=1
	v_ffbh_u32_e32 v69, v69
	v_min_u32_e32 v71, 32, v69
	v_subrev_nc_u32_e32 v69, 28, v71
	v_lshlrev_b64 v[69:70], v69, v[1:2]
	v_sub_nc_u32_e32 v70, 29, v71
	v_and_b32_e32 v69, 7, v69
; %bb.351:                              ;   in Loop: Header=BB275_15 Depth=1
	s_or_b32 exec_lo, exec_lo, s44
	v_lshlrev_b32_sdwa v1, v22, v1 dst_sel:DWORD dst_unused:UNUSED_PAD src0_sel:DWORD src1_sel:WORD_0
	v_lshl_add_u32 v70, v70, 10, 0x2000
	v_lshlrev_b32_e32 v69, 23, v69
	v_and_or_b32 v1, 0x8000, v1, v70
	v_lshl_or_b32 v69, v1, 16, v69
.LBB275_352:                            ;   in Loop: Header=BB275_15 Depth=1
	s_or_b32 exec_lo, exec_lo, s43
.LBB275_353:                            ;   in Loop: Header=BB275_15 Depth=1
	s_or_b32 exec_lo, exec_lo, s42
.LBB275_354:                            ;   in Loop: Header=BB275_15 Depth=1
	s_or_b32 exec_lo, exec_lo, s41
	v_lshrrev_b32_e32 v1, 16, v9
	v_cmp_ne_u16_sdwa s1, v1, v2 src0_sel:BYTE_0 src1_sel:DWORD
	s_and_saveexec_b32 s41, s1
	s_cbranch_execz .LBB275_362
; %bb.355:                              ;   in Loop: Header=BB275_15 Depth=1
	v_cmp_ne_u16_sdwa s1, v1, v19 src0_sel:BYTE_0 src1_sel:DWORD
	v_mov_b32_e32 v75, 0x8000
	s_and_saveexec_b32 s42, s1
	s_cbranch_execz .LBB275_361
; %bb.356:                              ;   in Loop: Header=BB275_15 Depth=1
	v_bfe_u32 v72, v9, 16, 7
	v_mov_b32_e32 v75, 0x7c01
	s_mov_b32 s43, exec_lo
	v_cmpx_ne_u32_e32 0x7f, v72
	s_cbranch_execz .LBB275_360
; %bb.357:                              ;   in Loop: Header=BB275_15 Depth=1
	v_and_b32_e32 v70, 7, v1
	v_lshrrev_b32_e32 v71, 3, v72
	s_mov_b32 s44, exec_lo
	v_cmpx_gt_u32_e32 8, v72
; %bb.358:                              ;   in Loop: Header=BB275_15 Depth=1
	v_ffbh_u32_e32 v70, v70
	v_min_u32_e32 v72, 32, v70
	v_subrev_nc_u32_e32 v70, 28, v72
	v_lshlrev_b64 v[70:71], v70, v[1:2]
	v_sub_nc_u32_e32 v71, 29, v72
	v_and_b32_e32 v70, 7, v70
; %bb.359:                              ;   in Loop: Header=BB275_15 Depth=1
	s_or_b32 exec_lo, exec_lo, s44
	v_lshlrev_b32_e32 v1, 8, v1
	v_lshl_add_u32 v71, v71, 10, 0x2000
	v_lshlrev_b32_e32 v70, 7, v70
	v_and_b32_e32 v1, 0x8000, v1
	v_and_b32_e32 v71, 0xfc00, v71
	v_or3_b32 v75, v1, v71, v70
.LBB275_360:                            ;   in Loop: Header=BB275_15 Depth=1
	s_or_b32 exec_lo, exec_lo, s43
.LBB275_361:                            ;   in Loop: Header=BB275_15 Depth=1
	s_or_b32 exec_lo, exec_lo, s42
.LBB275_362:                            ;   in Loop: Header=BB275_15 Depth=1
	s_or_b32 exec_lo, exec_lo, s41
	v_mov_b32_e32 v72, 0
	v_mov_b32_e32 v73, 0
	s_mov_b32 s41, exec_lo
	v_cmpx_lt_u32_e32 0xffffff, v9
	s_cbranch_execz .LBB275_370
; %bb.363:                              ;   in Loop: Header=BB275_15 Depth=1
	v_lshrrev_b32_e32 v1, 24, v9
	v_bfrev_b32_e32 v73, 1
	s_mov_b32 s42, exec_lo
	v_cmpx_ne_u32_e32 0x80, v1
	s_cbranch_execz .LBB275_369
; %bb.364:                              ;   in Loop: Header=BB275_15 Depth=1
	v_and_b32_e32 v74, 0x7f, v1
	v_mov_b32_e32 v73, 0x7c010000
	s_mov_b32 s43, exec_lo
	v_cmpx_ne_u32_e32 0x7f, v74
	s_cbranch_execz .LBB275_368
; %bb.365:                              ;   in Loop: Header=BB275_15 Depth=1
	v_and_b32_e32 v70, 7, v1
	v_lshrrev_b32_e32 v71, 3, v74
	s_mov_b32 s44, exec_lo
	v_cmpx_gt_u32_e32 8, v74
; %bb.366:                              ;   in Loop: Header=BB275_15 Depth=1
	v_ffbh_u32_e32 v70, v70
	v_min_u32_e32 v73, 32, v70
	v_subrev_nc_u32_e32 v70, 28, v73
	v_lshlrev_b64 v[70:71], v70, v[1:2]
	v_sub_nc_u32_e32 v71, 29, v73
	v_and_b32_e32 v70, 7, v70
; %bb.367:                              ;   in Loop: Header=BB275_15 Depth=1
	s_or_b32 exec_lo, exec_lo, s44
	v_lshlrev_b32_e32 v1, 8, v1
	v_lshl_add_u32 v71, v71, 10, 0x2000
	v_lshlrev_b32_e32 v70, 23, v70
	v_and_or_b32 v1, 0x8000, v1, v71
	v_lshl_or_b32 v73, v1, 16, v70
.LBB275_368:                            ;   in Loop: Header=BB275_15 Depth=1
	s_or_b32 exec_lo, exec_lo, s43
.LBB275_369:                            ;   in Loop: Header=BB275_15 Depth=1
	s_or_b32 exec_lo, exec_lo, s42
.LBB275_370:                            ;   in Loop: Header=BB275_15 Depth=1
	s_or_b32 exec_lo, exec_lo, s41
	v_mov_b32_e32 v1, v10
	v_cmp_ne_u16_sdwa s1, v10, v2 src0_sel:BYTE_0 src1_sel:DWORD
	s_and_saveexec_b32 s41, s1
	s_cbranch_execz .LBB275_378
; %bb.371:                              ;   in Loop: Header=BB275_15 Depth=1
	v_cmp_ne_u16_sdwa s1, v10, v19 src0_sel:BYTE_0 src1_sel:DWORD
	v_mov_b32_e32 v72, 0x8000
	s_and_saveexec_b32 s42, s1
	s_cbranch_execz .LBB275_377
; %bb.372:                              ;   in Loop: Header=BB275_15 Depth=1
	v_and_b32_e32 v74, 0x7f, v10
	v_mov_b32_e32 v72, 0x7c01
	s_mov_b32 s43, exec_lo
	v_cmpx_ne_u32_e32 0x7f, v74
	s_cbranch_execz .LBB275_376
; %bb.373:                              ;   in Loop: Header=BB275_15 Depth=1
	v_and_b32_e32 v70, 7, v10
	v_lshrrev_b32_e32 v71, 3, v74
	s_mov_b32 s44, exec_lo
	v_cmpx_gt_u32_e32 8, v74
; %bb.374:                              ;   in Loop: Header=BB275_15 Depth=1
	v_ffbh_u32_e32 v70, v70
	v_min_u32_e32 v72, 32, v70
	v_subrev_nc_u32_e32 v70, 28, v72
	v_lshlrev_b64 v[70:71], v70, v[1:2]
	v_sub_nc_u32_e32 v71, 29, v72
	v_and_b32_e32 v70, 7, v70
; %bb.375:                              ;   in Loop: Header=BB275_15 Depth=1
	s_or_b32 exec_lo, exec_lo, s44
	v_lshlrev_b32_e32 v72, 8, v10
	v_lshl_add_u32 v71, v71, 10, 0x2000
	v_lshlrev_b32_e32 v70, 7, v70
	v_and_b32_e32 v72, 0x8000, v72
	v_and_b32_e32 v71, 0xfc00, v71
	v_or3_b32 v72, v72, v71, v70
.LBB275_376:                            ;   in Loop: Header=BB275_15 Depth=1
	s_or_b32 exec_lo, exec_lo, s43
.LBB275_377:                            ;   in Loop: Header=BB275_15 Depth=1
	s_or_b32 exec_lo, exec_lo, s42
.LBB275_378:                            ;   in Loop: Header=BB275_15 Depth=1
	s_or_b32 exec_lo, exec_lo, s41
	v_lshrrev_b16 v1, 8, v1
	v_mov_b32_e32 v71, 0
	v_mov_b32_e32 v70, 0
	s_mov_b32 s41, exec_lo
	v_cmpx_ne_u16_e32 0, v1
	s_cbranch_execz .LBB275_386
; %bb.379:                              ;   in Loop: Header=BB275_15 Depth=1
	v_bfrev_b32_e32 v70, 1
	s_mov_b32 s42, exec_lo
	v_cmpx_ne_u16_e32 0x80, v1
	s_cbranch_execz .LBB275_385
; %bb.380:                              ;   in Loop: Header=BB275_15 Depth=1
	v_and_b32_sdwa v76, v1, v20 dst_sel:DWORD dst_unused:UNUSED_PAD src0_sel:WORD_0 src1_sel:DWORD
	v_mov_b32_e32 v70, 0x7c010000
	s_mov_b32 s43, exec_lo
	v_cmpx_ne_u32_e32 0x7f, v76
	s_cbranch_execz .LBB275_384
; %bb.381:                              ;   in Loop: Header=BB275_15 Depth=1
	v_and_b32_sdwa v70, v1, v21 dst_sel:DWORD dst_unused:UNUSED_PAD src0_sel:WORD_0 src1_sel:DWORD
	v_lshrrev_b32_e32 v74, 3, v76
	s_mov_b32 s44, exec_lo
	v_cmpx_gt_u32_e32 8, v76
; %bb.382:                              ;   in Loop: Header=BB275_15 Depth=1
	v_ffbh_u32_e32 v70, v70
	v_min_u32_e32 v70, 32, v70
	v_subrev_nc_u32_e32 v74, 28, v70
	v_lshlrev_b64 v[76:77], v74, v[1:2]
	v_sub_nc_u32_e32 v74, 29, v70
	v_and_b32_e32 v70, 7, v76
; %bb.383:                              ;   in Loop: Header=BB275_15 Depth=1
	s_or_b32 exec_lo, exec_lo, s44
	v_lshlrev_b32_sdwa v1, v22, v1 dst_sel:DWORD dst_unused:UNUSED_PAD src0_sel:DWORD src1_sel:WORD_0
	v_lshl_add_u32 v74, v74, 10, 0x2000
	v_lshlrev_b32_e32 v70, 23, v70
	v_and_or_b32 v1, 0x8000, v1, v74
	v_lshl_or_b32 v70, v1, 16, v70
.LBB275_384:                            ;   in Loop: Header=BB275_15 Depth=1
	s_or_b32 exec_lo, exec_lo, s43
.LBB275_385:                            ;   in Loop: Header=BB275_15 Depth=1
	s_or_b32 exec_lo, exec_lo, s42
.LBB275_386:                            ;   in Loop: Header=BB275_15 Depth=1
	s_or_b32 exec_lo, exec_lo, s41
	v_lshrrev_b32_e32 v1, 16, v10
	v_cmp_ne_u16_sdwa s1, v1, v2 src0_sel:BYTE_0 src1_sel:DWORD
	s_and_saveexec_b32 s41, s1
	s_cbranch_execz .LBB275_394
; %bb.387:                              ;   in Loop: Header=BB275_15 Depth=1
	v_cmp_ne_u16_sdwa s1, v1, v19 src0_sel:BYTE_0 src1_sel:DWORD
	v_mov_b32_e32 v71, 0x8000
	s_and_saveexec_b32 s42, s1
	s_cbranch_execz .LBB275_393
; %bb.388:                              ;   in Loop: Header=BB275_15 Depth=1
	v_bfe_u32 v76, v10, 16, 7
	v_mov_b32_e32 v71, 0x7c01
	s_mov_b32 s43, exec_lo
	v_cmpx_ne_u32_e32 0x7f, v76
	s_cbranch_execz .LBB275_392
; %bb.389:                              ;   in Loop: Header=BB275_15 Depth=1
	v_and_b32_e32 v71, 7, v1
	v_lshrrev_b32_e32 v74, 3, v76
	s_mov_b32 s44, exec_lo
	v_cmpx_gt_u32_e32 8, v76
; %bb.390:                              ;   in Loop: Header=BB275_15 Depth=1
	v_ffbh_u32_e32 v71, v71
	v_min_u32_e32 v71, 32, v71
	v_subrev_nc_u32_e32 v74, 28, v71
	v_lshlrev_b64 v[76:77], v74, v[1:2]
	v_sub_nc_u32_e32 v74, 29, v71
	v_and_b32_e32 v71, 7, v76
; %bb.391:                              ;   in Loop: Header=BB275_15 Depth=1
	s_or_b32 exec_lo, exec_lo, s44
	v_lshlrev_b32_e32 v1, 8, v1
	v_lshl_add_u32 v74, v74, 10, 0x2000
	v_lshlrev_b32_e32 v71, 7, v71
	v_and_b32_e32 v1, 0x8000, v1
	v_and_b32_e32 v74, 0xfc00, v74
	v_or3_b32 v71, v1, v74, v71
.LBB275_392:                            ;   in Loop: Header=BB275_15 Depth=1
	s_or_b32 exec_lo, exec_lo, s43
.LBB275_393:                            ;   in Loop: Header=BB275_15 Depth=1
	s_or_b32 exec_lo, exec_lo, s42
.LBB275_394:                            ;   in Loop: Header=BB275_15 Depth=1
	s_or_b32 exec_lo, exec_lo, s41
	v_mov_b32_e32 v82, 0
	v_mov_b32_e32 v74, 0
	s_mov_b32 s41, exec_lo
	v_cmpx_lt_u64_e64 s[4:5], v[9:10]
	s_cbranch_execz .LBB275_402
; %bb.395:                              ;   in Loop: Header=BB275_15 Depth=1
	v_lshrrev_b32_e32 v1, 24, v10
	v_bfrev_b32_e32 v74, 1
	s_mov_b32 s42, exec_lo
	v_cmpx_ne_u32_e32 0x80, v1
	s_cbranch_execz .LBB275_401
; %bb.396:                              ;   in Loop: Header=BB275_15 Depth=1
	v_and_b32_e32 v76, 0x7f, v1
	v_mov_b32_e32 v74, 0x7c010000
	s_mov_b32 s43, exec_lo
	v_cmpx_ne_u32_e32 0x7f, v76
	s_cbranch_execz .LBB275_400
; %bb.397:                              ;   in Loop: Header=BB275_15 Depth=1
	v_and_b32_e32 v9, 7, v1
	v_lshrrev_b32_e32 v10, 3, v76
	s_mov_b32 s44, exec_lo
	v_cmpx_gt_u32_e32 8, v76
; %bb.398:                              ;   in Loop: Header=BB275_15 Depth=1
	v_ffbh_u32_e32 v9, v9
	v_min_u32_e32 v74, 32, v9
	v_subrev_nc_u32_e32 v9, 28, v74
	v_lshlrev_b64 v[9:10], v9, v[1:2]
	v_sub_nc_u32_e32 v10, 29, v74
	v_and_b32_e32 v9, 7, v9
; %bb.399:                              ;   in Loop: Header=BB275_15 Depth=1
	s_or_b32 exec_lo, exec_lo, s44
	v_lshlrev_b32_e32 v1, 8, v1
	v_lshl_add_u32 v10, v10, 10, 0x2000
	v_lshlrev_b32_e32 v9, 23, v9
	v_and_or_b32 v1, 0x8000, v1, v10
	v_lshl_or_b32 v74, v1, 16, v9
.LBB275_400:                            ;   in Loop: Header=BB275_15 Depth=1
	s_or_b32 exec_lo, exec_lo, s43
.LBB275_401:                            ;   in Loop: Header=BB275_15 Depth=1
	s_or_b32 exec_lo, exec_lo, s42
.LBB275_402:                            ;   in Loop: Header=BB275_15 Depth=1
	s_or_b32 exec_lo, exec_lo, s41
	global_load_dwordx2 v[9:10], v[7:8], off offset:1536
	s_waitcnt vmcnt(0)
	v_cmp_ne_u16_sdwa s1, v9, v2 src0_sel:BYTE_0 src1_sel:DWORD
	s_and_saveexec_b32 s41, s1
	s_cbranch_execz .LBB275_410
; %bb.403:                              ;   in Loop: Header=BB275_15 Depth=1
	v_cmp_ne_u16_sdwa s1, v9, v19 src0_sel:BYTE_0 src1_sel:DWORD
	v_mov_b32_e32 v82, 0x8000
	s_and_saveexec_b32 s42, s1
	s_cbranch_execz .LBB275_409
; %bb.404:                              ;   in Loop: Header=BB275_15 Depth=1
	v_and_b32_e32 v77, 0x7f, v9
	v_mov_b32_e32 v82, 0x7c01
	s_mov_b32 s43, exec_lo
	v_cmpx_ne_u32_e32 0x7f, v77
	s_cbranch_execz .LBB275_408
; %bb.405:                              ;   in Loop: Header=BB275_15 Depth=1
	v_and_b32_e32 v1, 7, v9
	v_lshrrev_b32_e32 v76, 3, v77
	s_mov_b32 s44, exec_lo
	v_cmpx_gt_u32_e32 8, v77
; %bb.406:                              ;   in Loop: Header=BB275_15 Depth=1
	v_ffbh_u32_e32 v1, v1
	v_min_u32_e32 v1, 32, v1
	v_subrev_nc_u32_e32 v76, 28, v1
	v_lshlrev_b64 v[77:78], v76, v[9:10]
	v_sub_nc_u32_e32 v76, 29, v1
	v_and_b32_e32 v1, 7, v77
; %bb.407:                              ;   in Loop: Header=BB275_15 Depth=1
	s_or_b32 exec_lo, exec_lo, s44
	v_lshlrev_b32_e32 v77, 8, v9
	v_lshl_add_u32 v76, v76, 10, 0x2000
	v_lshlrev_b32_e32 v1, 7, v1
	v_and_b32_e32 v77, 0x8000, v77
	v_and_b32_e32 v76, 0xfc00, v76
	v_or3_b32 v82, v77, v76, v1
.LBB275_408:                            ;   in Loop: Header=BB275_15 Depth=1
	s_or_b32 exec_lo, exec_lo, s43
.LBB275_409:                            ;   in Loop: Header=BB275_15 Depth=1
	s_or_b32 exec_lo, exec_lo, s42
.LBB275_410:                            ;   in Loop: Header=BB275_15 Depth=1
	s_or_b32 exec_lo, exec_lo, s41
	v_lshrrev_b16 v1, 8, v9
	v_mov_b32_e32 v86, 0
	v_mov_b32_e32 v78, 0
	s_mov_b32 s41, exec_lo
	v_cmpx_ne_u16_e32 0, v1
	s_cbranch_execz .LBB275_418
; %bb.411:                              ;   in Loop: Header=BB275_15 Depth=1
	v_bfrev_b32_e32 v78, 1
	s_mov_b32 s42, exec_lo
	v_cmpx_ne_u16_e32 0x80, v1
	s_cbranch_execz .LBB275_417
; %bb.412:                              ;   in Loop: Header=BB275_15 Depth=1
	v_and_b32_sdwa v79, v1, v20 dst_sel:DWORD dst_unused:UNUSED_PAD src0_sel:WORD_0 src1_sel:DWORD
	v_mov_b32_e32 v78, 0x7c010000
	s_mov_b32 s43, exec_lo
	v_cmpx_ne_u32_e32 0x7f, v79
	s_cbranch_execz .LBB275_416
; %bb.413:                              ;   in Loop: Header=BB275_15 Depth=1
	v_and_b32_sdwa v76, v1, v21 dst_sel:DWORD dst_unused:UNUSED_PAD src0_sel:WORD_0 src1_sel:DWORD
	v_lshrrev_b32_e32 v77, 3, v79
	s_mov_b32 s44, exec_lo
	v_cmpx_gt_u32_e32 8, v79
; %bb.414:                              ;   in Loop: Header=BB275_15 Depth=1
	v_ffbh_u32_e32 v76, v76
	v_min_u32_e32 v78, 32, v76
	v_subrev_nc_u32_e32 v76, 28, v78
	v_lshlrev_b64 v[76:77], v76, v[1:2]
	v_sub_nc_u32_e32 v77, 29, v78
	v_and_b32_e32 v76, 7, v76
; %bb.415:                              ;   in Loop: Header=BB275_15 Depth=1
	s_or_b32 exec_lo, exec_lo, s44
	v_lshlrev_b32_sdwa v1, v22, v1 dst_sel:DWORD dst_unused:UNUSED_PAD src0_sel:DWORD src1_sel:WORD_0
	v_lshl_add_u32 v77, v77, 10, 0x2000
	v_lshlrev_b32_e32 v76, 23, v76
	v_and_or_b32 v1, 0x8000, v1, v77
	v_lshl_or_b32 v78, v1, 16, v76
.LBB275_416:                            ;   in Loop: Header=BB275_15 Depth=1
	s_or_b32 exec_lo, exec_lo, s43
.LBB275_417:                            ;   in Loop: Header=BB275_15 Depth=1
	s_or_b32 exec_lo, exec_lo, s42
.LBB275_418:                            ;   in Loop: Header=BB275_15 Depth=1
	s_or_b32 exec_lo, exec_lo, s41
	v_lshrrev_b32_e32 v1, 16, v9
	v_cmp_ne_u16_sdwa s1, v1, v2 src0_sel:BYTE_0 src1_sel:DWORD
	s_and_saveexec_b32 s41, s1
	s_cbranch_execz .LBB275_426
; %bb.419:                              ;   in Loop: Header=BB275_15 Depth=1
	v_cmp_ne_u16_sdwa s1, v1, v19 src0_sel:BYTE_0 src1_sel:DWORD
	v_mov_b32_e32 v86, 0x8000
	s_and_saveexec_b32 s42, s1
	s_cbranch_execz .LBB275_425
; %bb.420:                              ;   in Loop: Header=BB275_15 Depth=1
	v_bfe_u32 v79, v9, 16, 7
	v_mov_b32_e32 v86, 0x7c01
	s_mov_b32 s43, exec_lo
	v_cmpx_ne_u32_e32 0x7f, v79
	s_cbranch_execz .LBB275_424
; %bb.421:                              ;   in Loop: Header=BB275_15 Depth=1
	v_and_b32_e32 v76, 7, v1
	v_lshrrev_b32_e32 v77, 3, v79
	s_mov_b32 s44, exec_lo
	v_cmpx_gt_u32_e32 8, v79
; %bb.422:                              ;   in Loop: Header=BB275_15 Depth=1
	v_ffbh_u32_e32 v76, v76
	v_min_u32_e32 v79, 32, v76
	v_subrev_nc_u32_e32 v76, 28, v79
	v_lshlrev_b64 v[76:77], v76, v[1:2]
	v_sub_nc_u32_e32 v77, 29, v79
	v_and_b32_e32 v76, 7, v76
; %bb.423:                              ;   in Loop: Header=BB275_15 Depth=1
	s_or_b32 exec_lo, exec_lo, s44
	v_lshlrev_b32_e32 v1, 8, v1
	v_lshl_add_u32 v77, v77, 10, 0x2000
	v_lshlrev_b32_e32 v76, 7, v76
	v_and_b32_e32 v1, 0x8000, v1
	v_and_b32_e32 v77, 0xfc00, v77
	v_or3_b32 v86, v1, v77, v76
.LBB275_424:                            ;   in Loop: Header=BB275_15 Depth=1
	s_or_b32 exec_lo, exec_lo, s43
.LBB275_425:                            ;   in Loop: Header=BB275_15 Depth=1
	s_or_b32 exec_lo, exec_lo, s42
.LBB275_426:                            ;   in Loop: Header=BB275_15 Depth=1
	s_or_b32 exec_lo, exec_lo, s41
	v_mov_b32_e32 v83, 0
	v_mov_b32_e32 v89, 0
	s_mov_b32 s41, exec_lo
	v_cmpx_lt_u32_e32 0xffffff, v9
	s_cbranch_execz .LBB275_434
; %bb.427:                              ;   in Loop: Header=BB275_15 Depth=1
	v_lshrrev_b32_e32 v1, 24, v9
	v_bfrev_b32_e32 v89, 1
	s_mov_b32 s42, exec_lo
	v_cmpx_ne_u32_e32 0x80, v1
	s_cbranch_execz .LBB275_433
; %bb.428:                              ;   in Loop: Header=BB275_15 Depth=1
	v_and_b32_e32 v79, 0x7f, v1
	v_mov_b32_e32 v89, 0x7c010000
	s_mov_b32 s43, exec_lo
	v_cmpx_ne_u32_e32 0x7f, v79
	s_cbranch_execz .LBB275_432
; %bb.429:                              ;   in Loop: Header=BB275_15 Depth=1
	v_and_b32_e32 v76, 7, v1
	v_lshrrev_b32_e32 v77, 3, v79
	s_mov_b32 s44, exec_lo
	v_cmpx_gt_u32_e32 8, v79
; %bb.430:                              ;   in Loop: Header=BB275_15 Depth=1
	v_ffbh_u32_e32 v76, v76
	v_min_u32_e32 v79, 32, v76
	v_subrev_nc_u32_e32 v76, 28, v79
	v_lshlrev_b64 v[76:77], v76, v[1:2]
	v_sub_nc_u32_e32 v77, 29, v79
	v_and_b32_e32 v76, 7, v76
; %bb.431:                              ;   in Loop: Header=BB275_15 Depth=1
	s_or_b32 exec_lo, exec_lo, s44
	v_lshlrev_b32_e32 v1, 8, v1
	v_lshl_add_u32 v77, v77, 10, 0x2000
	v_lshlrev_b32_e32 v76, 23, v76
	v_and_or_b32 v1, 0x8000, v1, v77
	v_lshl_or_b32 v89, v1, 16, v76
.LBB275_432:                            ;   in Loop: Header=BB275_15 Depth=1
	s_or_b32 exec_lo, exec_lo, s43
.LBB275_433:                            ;   in Loop: Header=BB275_15 Depth=1
	s_or_b32 exec_lo, exec_lo, s42
.LBB275_434:                            ;   in Loop: Header=BB275_15 Depth=1
	s_or_b32 exec_lo, exec_lo, s41
	v_mov_b32_e32 v1, v10
	v_cmp_ne_u16_sdwa s1, v10, v2 src0_sel:BYTE_0 src1_sel:DWORD
	s_and_saveexec_b32 s41, s1
	s_cbranch_execz .LBB275_442
; %bb.435:                              ;   in Loop: Header=BB275_15 Depth=1
	v_cmp_ne_u16_sdwa s1, v10, v19 src0_sel:BYTE_0 src1_sel:DWORD
	v_mov_b32_e32 v83, 0x8000
	s_and_saveexec_b32 s42, s1
	s_cbranch_execz .LBB275_441
; %bb.436:                              ;   in Loop: Header=BB275_15 Depth=1
	v_and_b32_e32 v79, 0x7f, v10
	v_mov_b32_e32 v83, 0x7c01
	s_mov_b32 s43, exec_lo
	v_cmpx_ne_u32_e32 0x7f, v79
	s_cbranch_execz .LBB275_440
; %bb.437:                              ;   in Loop: Header=BB275_15 Depth=1
	v_and_b32_e32 v76, 7, v10
	v_lshrrev_b32_e32 v77, 3, v79
	s_mov_b32 s44, exec_lo
	v_cmpx_gt_u32_e32 8, v79
; %bb.438:                              ;   in Loop: Header=BB275_15 Depth=1
	v_ffbh_u32_e32 v76, v76
	v_min_u32_e32 v79, 32, v76
	v_subrev_nc_u32_e32 v76, 28, v79
	v_lshlrev_b64 v[76:77], v76, v[1:2]
	v_sub_nc_u32_e32 v77, 29, v79
	v_and_b32_e32 v76, 7, v76
; %bb.439:                              ;   in Loop: Header=BB275_15 Depth=1
	s_or_b32 exec_lo, exec_lo, s44
	v_lshlrev_b32_e32 v79, 8, v10
	v_lshl_add_u32 v77, v77, 10, 0x2000
	v_lshlrev_b32_e32 v76, 7, v76
	v_and_b32_e32 v79, 0x8000, v79
	v_and_b32_e32 v77, 0xfc00, v77
	v_or3_b32 v83, v79, v77, v76
.LBB275_440:                            ;   in Loop: Header=BB275_15 Depth=1
	s_or_b32 exec_lo, exec_lo, s43
.LBB275_441:                            ;   in Loop: Header=BB275_15 Depth=1
	s_or_b32 exec_lo, exec_lo, s42
.LBB275_442:                            ;   in Loop: Header=BB275_15 Depth=1
	s_or_b32 exec_lo, exec_lo, s41
	v_lshrrev_b16 v1, 8, v1
	v_mov_b32_e32 v87, 0
	v_mov_b32_e32 v81, 0
	s_mov_b32 s41, exec_lo
	v_cmpx_ne_u16_e32 0, v1
	s_cbranch_execz .LBB275_450
; %bb.443:                              ;   in Loop: Header=BB275_15 Depth=1
	v_bfrev_b32_e32 v81, 1
	s_mov_b32 s42, exec_lo
	v_cmpx_ne_u16_e32 0x80, v1
	s_cbranch_execz .LBB275_449
; %bb.444:                              ;   in Loop: Header=BB275_15 Depth=1
	v_and_b32_sdwa v79, v1, v20 dst_sel:DWORD dst_unused:UNUSED_PAD src0_sel:WORD_0 src1_sel:DWORD
	v_mov_b32_e32 v81, 0x7c010000
	s_mov_b32 s43, exec_lo
	v_cmpx_ne_u32_e32 0x7f, v79
	s_cbranch_execz .LBB275_448
; %bb.445:                              ;   in Loop: Header=BB275_15 Depth=1
	v_and_b32_sdwa v76, v1, v21 dst_sel:DWORD dst_unused:UNUSED_PAD src0_sel:WORD_0 src1_sel:DWORD
	v_lshrrev_b32_e32 v77, 3, v79
	s_mov_b32 s44, exec_lo
	v_cmpx_gt_u32_e32 8, v79
; %bb.446:                              ;   in Loop: Header=BB275_15 Depth=1
	v_ffbh_u32_e32 v76, v76
	v_min_u32_e32 v79, 32, v76
	v_subrev_nc_u32_e32 v76, 28, v79
	v_lshlrev_b64 v[76:77], v76, v[1:2]
	v_sub_nc_u32_e32 v77, 29, v79
	v_and_b32_e32 v76, 7, v76
; %bb.447:                              ;   in Loop: Header=BB275_15 Depth=1
	s_or_b32 exec_lo, exec_lo, s44
	v_lshlrev_b32_sdwa v1, v22, v1 dst_sel:DWORD dst_unused:UNUSED_PAD src0_sel:DWORD src1_sel:WORD_0
	v_lshl_add_u32 v77, v77, 10, 0x2000
	v_lshlrev_b32_e32 v76, 23, v76
	v_and_or_b32 v1, 0x8000, v1, v77
	v_lshl_or_b32 v81, v1, 16, v76
.LBB275_448:                            ;   in Loop: Header=BB275_15 Depth=1
	s_or_b32 exec_lo, exec_lo, s43
.LBB275_449:                            ;   in Loop: Header=BB275_15 Depth=1
	s_or_b32 exec_lo, exec_lo, s42
.LBB275_450:                            ;   in Loop: Header=BB275_15 Depth=1
	s_or_b32 exec_lo, exec_lo, s41
	v_lshrrev_b32_e32 v1, 16, v10
	v_cmp_ne_u16_sdwa s1, v1, v2 src0_sel:BYTE_0 src1_sel:DWORD
	s_and_saveexec_b32 s41, s1
	s_cbranch_execz .LBB275_458
; %bb.451:                              ;   in Loop: Header=BB275_15 Depth=1
	v_cmp_ne_u16_sdwa s1, v1, v19 src0_sel:BYTE_0 src1_sel:DWORD
	v_mov_b32_e32 v87, 0x8000
	s_and_saveexec_b32 s42, s1
	s_cbranch_execz .LBB275_457
; %bb.452:                              ;   in Loop: Header=BB275_15 Depth=1
	v_bfe_u32 v79, v10, 16, 7
	v_mov_b32_e32 v87, 0x7c01
	s_mov_b32 s43, exec_lo
	v_cmpx_ne_u32_e32 0x7f, v79
	s_cbranch_execz .LBB275_456
; %bb.453:                              ;   in Loop: Header=BB275_15 Depth=1
	v_and_b32_e32 v76, 7, v1
	v_lshrrev_b32_e32 v77, 3, v79
	s_mov_b32 s44, exec_lo
	v_cmpx_gt_u32_e32 8, v79
; %bb.454:                              ;   in Loop: Header=BB275_15 Depth=1
	v_ffbh_u32_e32 v76, v76
	v_min_u32_e32 v79, 32, v76
	v_subrev_nc_u32_e32 v76, 28, v79
	v_lshlrev_b64 v[76:77], v76, v[1:2]
	v_sub_nc_u32_e32 v77, 29, v79
	v_and_b32_e32 v76, 7, v76
; %bb.455:                              ;   in Loop: Header=BB275_15 Depth=1
	s_or_b32 exec_lo, exec_lo, s44
	v_lshlrev_b32_e32 v1, 8, v1
	v_lshl_add_u32 v77, v77, 10, 0x2000
	v_lshlrev_b32_e32 v76, 7, v76
	v_and_b32_e32 v1, 0x8000, v1
	v_and_b32_e32 v77, 0xfc00, v77
	v_or3_b32 v87, v1, v77, v76
.LBB275_456:                            ;   in Loop: Header=BB275_15 Depth=1
	s_or_b32 exec_lo, exec_lo, s43
.LBB275_457:                            ;   in Loop: Header=BB275_15 Depth=1
	s_or_b32 exec_lo, exec_lo, s42
.LBB275_458:                            ;   in Loop: Header=BB275_15 Depth=1
	s_or_b32 exec_lo, exec_lo, s41
	v_cmp_lt_u64_e64 s1, s[4:5], v[9:10]
	v_mov_b32_e32 v9, 0
	v_mov_b32_e32 v77, 0
	s_and_saveexec_b32 s41, s1
	s_cbranch_execz .LBB275_466
; %bb.459:                              ;   in Loop: Header=BB275_15 Depth=1
	v_lshrrev_b32_e32 v1, 24, v10
	v_bfrev_b32_e32 v77, 1
	s_mov_b32 s42, exec_lo
	v_cmpx_ne_u32_e32 0x80, v1
	s_cbranch_execz .LBB275_465
; %bb.460:                              ;   in Loop: Header=BB275_15 Depth=1
	v_and_b32_e32 v79, 0x7f, v1
	v_mov_b32_e32 v77, 0x7c010000
	s_mov_b32 s43, exec_lo
	v_cmpx_ne_u32_e32 0x7f, v79
	s_cbranch_execz .LBB275_464
; %bb.461:                              ;   in Loop: Header=BB275_15 Depth=1
	v_and_b32_e32 v10, 7, v1
	v_lshrrev_b32_e32 v76, 3, v79
	s_mov_b32 s44, exec_lo
	v_cmpx_gt_u32_e32 8, v79
; %bb.462:                              ;   in Loop: Header=BB275_15 Depth=1
	v_ffbh_u32_e32 v10, v10
	v_min_u32_e32 v10, 32, v10
	v_subrev_nc_u32_e32 v76, 28, v10
	v_lshlrev_b64 v[79:80], v76, v[1:2]
	v_sub_nc_u32_e32 v76, 29, v10
	v_and_b32_e32 v10, 7, v79
; %bb.463:                              ;   in Loop: Header=BB275_15 Depth=1
	s_or_b32 exec_lo, exec_lo, s44
	v_lshlrev_b32_e32 v1, 8, v1
	v_lshl_add_u32 v76, v76, 10, 0x2000
	v_lshlrev_b32_e32 v10, 23, v10
	v_and_or_b32 v1, 0x8000, v1, v76
	v_lshl_or_b32 v77, v1, 16, v10
.LBB275_464:                            ;   in Loop: Header=BB275_15 Depth=1
	s_or_b32 exec_lo, exec_lo, s43
.LBB275_465:                            ;   in Loop: Header=BB275_15 Depth=1
	s_or_b32 exec_lo, exec_lo, s42
.LBB275_466:                            ;   in Loop: Header=BB275_15 Depth=1
	s_or_b32 exec_lo, exec_lo, s41
	global_load_dwordx2 v[7:8], v[7:8], off offset:1544
	s_waitcnt vmcnt(0)
	v_cmp_ne_u16_sdwa s1, v7, v2 src0_sel:BYTE_0 src1_sel:DWORD
	s_and_saveexec_b32 s41, s1
	s_cbranch_execz .LBB275_474
; %bb.467:                              ;   in Loop: Header=BB275_15 Depth=1
	v_cmp_ne_u16_sdwa s1, v7, v19 src0_sel:BYTE_0 src1_sel:DWORD
	v_mov_b32_e32 v9, 0x8000
	s_and_saveexec_b32 s42, s1
	s_cbranch_execz .LBB275_473
; %bb.468:                              ;   in Loop: Header=BB275_15 Depth=1
	v_and_b32_e32 v10, 0x7f, v7
	v_mov_b32_e32 v9, 0x7c01
	s_mov_b32 s43, exec_lo
	v_cmpx_ne_u32_e32 0x7f, v10
	s_cbranch_execz .LBB275_472
; %bb.469:                              ;   in Loop: Header=BB275_15 Depth=1
	v_and_b32_e32 v1, 7, v7
	v_lshrrev_b32_e32 v9, 3, v10
	s_mov_b32 s44, exec_lo
	v_cmpx_gt_u32_e32 8, v10
; %bb.470:                              ;   in Loop: Header=BB275_15 Depth=1
	v_ffbh_u32_e32 v1, v1
	v_min_u32_e32 v1, 32, v1
	v_subrev_nc_u32_e32 v9, 28, v1
	v_lshlrev_b64 v[79:80], v9, v[7:8]
	v_sub_nc_u32_e32 v9, 29, v1
	v_and_b32_e32 v1, 7, v79
; %bb.471:                              ;   in Loop: Header=BB275_15 Depth=1
	s_or_b32 exec_lo, exec_lo, s44
	v_lshlrev_b32_e32 v10, 8, v7
	v_lshl_add_u32 v9, v9, 10, 0x2000
	v_lshlrev_b32_e32 v1, 7, v1
	v_and_b32_e32 v10, 0x8000, v10
	v_and_b32_e32 v9, 0xfc00, v9
	v_or3_b32 v9, v10, v9, v1
.LBB275_472:                            ;   in Loop: Header=BB275_15 Depth=1
	s_or_b32 exec_lo, exec_lo, s43
.LBB275_473:                            ;   in Loop: Header=BB275_15 Depth=1
	s_or_b32 exec_lo, exec_lo, s42
.LBB275_474:                            ;   in Loop: Header=BB275_15 Depth=1
	s_or_b32 exec_lo, exec_lo, s41
	v_lshrrev_b16 v1, 8, v7
	v_mov_b32_e32 v76, 0
	v_mov_b32_e32 v10, 0
	s_mov_b32 s41, exec_lo
	v_cmpx_ne_u16_e32 0, v1
	s_cbranch_execz .LBB275_482
; %bb.475:                              ;   in Loop: Header=BB275_15 Depth=1
	v_bfrev_b32_e32 v10, 1
	s_mov_b32 s42, exec_lo
	v_cmpx_ne_u16_e32 0x80, v1
	s_cbranch_execz .LBB275_481
; %bb.476:                              ;   in Loop: Header=BB275_15 Depth=1
	v_and_b32_sdwa v80, v1, v20 dst_sel:DWORD dst_unused:UNUSED_PAD src0_sel:WORD_0 src1_sel:DWORD
	v_mov_b32_e32 v10, 0x7c010000
	s_mov_b32 s43, exec_lo
	v_cmpx_ne_u32_e32 0x7f, v80
	s_cbranch_execz .LBB275_480
; %bb.477:                              ;   in Loop: Header=BB275_15 Depth=1
	v_and_b32_sdwa v10, v1, v21 dst_sel:DWORD dst_unused:UNUSED_PAD src0_sel:WORD_0 src1_sel:DWORD
	v_lshrrev_b32_e32 v79, 3, v80
	s_mov_b32 s44, exec_lo
	v_cmpx_gt_u32_e32 8, v80
; %bb.478:                              ;   in Loop: Header=BB275_15 Depth=1
	v_ffbh_u32_e32 v10, v10
	v_min_u32_e32 v10, 32, v10
	v_subrev_nc_u32_e32 v79, 28, v10
	v_lshlrev_b64 v[84:85], v79, v[1:2]
	v_sub_nc_u32_e32 v79, 29, v10
	v_and_b32_e32 v10, 7, v84
; %bb.479:                              ;   in Loop: Header=BB275_15 Depth=1
	s_or_b32 exec_lo, exec_lo, s44
	v_lshlrev_b32_sdwa v1, v22, v1 dst_sel:DWORD dst_unused:UNUSED_PAD src0_sel:DWORD src1_sel:WORD_0
	v_lshl_add_u32 v79, v79, 10, 0x2000
	v_lshlrev_b32_e32 v10, 23, v10
	v_and_or_b32 v1, 0x8000, v1, v79
	v_lshl_or_b32 v10, v1, 16, v10
.LBB275_480:                            ;   in Loop: Header=BB275_15 Depth=1
	s_or_b32 exec_lo, exec_lo, s43
.LBB275_481:                            ;   in Loop: Header=BB275_15 Depth=1
	s_or_b32 exec_lo, exec_lo, s42
.LBB275_482:                            ;   in Loop: Header=BB275_15 Depth=1
	s_or_b32 exec_lo, exec_lo, s41
	v_lshrrev_b32_e32 v1, 16, v7
	v_cmp_ne_u16_sdwa s1, v1, v2 src0_sel:BYTE_0 src1_sel:DWORD
	s_and_saveexec_b32 s41, s1
	s_cbranch_execz .LBB275_490
; %bb.483:                              ;   in Loop: Header=BB275_15 Depth=1
	v_cmp_ne_u16_sdwa s1, v1, v19 src0_sel:BYTE_0 src1_sel:DWORD
	v_mov_b32_e32 v76, 0x8000
	s_and_saveexec_b32 s42, s1
	s_cbranch_execz .LBB275_489
; %bb.484:                              ;   in Loop: Header=BB275_15 Depth=1
	v_bfe_u32 v80, v7, 16, 7
	v_mov_b32_e32 v76, 0x7c01
	s_mov_b32 s43, exec_lo
	v_cmpx_ne_u32_e32 0x7f, v80
	s_cbranch_execz .LBB275_488
; %bb.485:                              ;   in Loop: Header=BB275_15 Depth=1
	v_and_b32_e32 v76, 7, v1
	v_lshrrev_b32_e32 v79, 3, v80
	s_mov_b32 s44, exec_lo
	v_cmpx_gt_u32_e32 8, v80
; %bb.486:                              ;   in Loop: Header=BB275_15 Depth=1
	v_ffbh_u32_e32 v76, v76
	v_min_u32_e32 v76, 32, v76
	v_subrev_nc_u32_e32 v79, 28, v76
	v_lshlrev_b64 v[84:85], v79, v[1:2]
	v_sub_nc_u32_e32 v79, 29, v76
	v_and_b32_e32 v76, 7, v84
; %bb.487:                              ;   in Loop: Header=BB275_15 Depth=1
	s_or_b32 exec_lo, exec_lo, s44
	v_lshlrev_b32_e32 v1, 8, v1
	v_lshl_add_u32 v79, v79, 10, 0x2000
	v_lshlrev_b32_e32 v76, 7, v76
	v_and_b32_e32 v1, 0x8000, v1
	v_and_b32_e32 v79, 0xfc00, v79
	v_or3_b32 v76, v1, v79, v76
.LBB275_488:                            ;   in Loop: Header=BB275_15 Depth=1
	s_or_b32 exec_lo, exec_lo, s43
.LBB275_489:                            ;   in Loop: Header=BB275_15 Depth=1
	s_or_b32 exec_lo, exec_lo, s42
.LBB275_490:                            ;   in Loop: Header=BB275_15 Depth=1
	s_or_b32 exec_lo, exec_lo, s41
	v_mov_b32_e32 v79, 0
	v_mov_b32_e32 v80, 0
	s_mov_b32 s41, exec_lo
	v_cmpx_lt_u32_e32 0xffffff, v7
	s_cbranch_execz .LBB275_498
; %bb.491:                              ;   in Loop: Header=BB275_15 Depth=1
	v_lshrrev_b32_e32 v1, 24, v7
	v_bfrev_b32_e32 v80, 1
	s_mov_b32 s42, exec_lo
	v_cmpx_ne_u32_e32 0x80, v1
	s_cbranch_execz .LBB275_497
; %bb.492:                              ;   in Loop: Header=BB275_15 Depth=1
	v_and_b32_e32 v85, 0x7f, v1
	v_mov_b32_e32 v80, 0x7c010000
	s_mov_b32 s43, exec_lo
	v_cmpx_ne_u32_e32 0x7f, v85
	s_cbranch_execz .LBB275_496
; %bb.493:                              ;   in Loop: Header=BB275_15 Depth=1
	v_and_b32_e32 v80, 7, v1
	v_lshrrev_b32_e32 v84, 3, v85
	s_mov_b32 s44, exec_lo
	v_cmpx_gt_u32_e32 8, v85
; %bb.494:                              ;   in Loop: Header=BB275_15 Depth=1
	v_ffbh_u32_e32 v80, v80
	v_min_u32_e32 v80, 32, v80
	v_subrev_nc_u32_e32 v84, 28, v80
	v_lshlrev_b64 v[90:91], v84, v[1:2]
	v_sub_nc_u32_e32 v84, 29, v80
	v_and_b32_e32 v80, 7, v90
; %bb.495:                              ;   in Loop: Header=BB275_15 Depth=1
	s_or_b32 exec_lo, exec_lo, s44
	v_lshlrev_b32_e32 v1, 8, v1
	v_lshl_add_u32 v84, v84, 10, 0x2000
	v_lshlrev_b32_e32 v80, 23, v80
	v_and_or_b32 v1, 0x8000, v1, v84
	v_lshl_or_b32 v80, v1, 16, v80
.LBB275_496:                            ;   in Loop: Header=BB275_15 Depth=1
	s_or_b32 exec_lo, exec_lo, s43
.LBB275_497:                            ;   in Loop: Header=BB275_15 Depth=1
	s_or_b32 exec_lo, exec_lo, s42
.LBB275_498:                            ;   in Loop: Header=BB275_15 Depth=1
	s_or_b32 exec_lo, exec_lo, s41
	v_mov_b32_e32 v1, v8
	v_cmp_ne_u16_sdwa s1, v8, v2 src0_sel:BYTE_0 src1_sel:DWORD
	s_and_saveexec_b32 s41, s1
	s_cbranch_execz .LBB275_506
; %bb.499:                              ;   in Loop: Header=BB275_15 Depth=1
	v_cmp_ne_u16_sdwa s1, v8, v19 src0_sel:BYTE_0 src1_sel:DWORD
	v_mov_b32_e32 v79, 0x8000
	s_and_saveexec_b32 s42, s1
	s_cbranch_execz .LBB275_505
; %bb.500:                              ;   in Loop: Header=BB275_15 Depth=1
	v_and_b32_e32 v85, 0x7f, v8
	v_mov_b32_e32 v79, 0x7c01
	s_mov_b32 s43, exec_lo
	v_cmpx_ne_u32_e32 0x7f, v85
	s_cbranch_execz .LBB275_504
; %bb.501:                              ;   in Loop: Header=BB275_15 Depth=1
	v_and_b32_e32 v79, 7, v8
	v_lshrrev_b32_e32 v84, 3, v85
	s_mov_b32 s44, exec_lo
	v_cmpx_gt_u32_e32 8, v85
; %bb.502:                              ;   in Loop: Header=BB275_15 Depth=1
	v_ffbh_u32_e32 v79, v79
	v_min_u32_e32 v79, 32, v79
	v_subrev_nc_u32_e32 v84, 28, v79
	v_lshlrev_b64 v[90:91], v84, v[1:2]
	v_sub_nc_u32_e32 v84, 29, v79
	v_and_b32_e32 v79, 7, v90
; %bb.503:                              ;   in Loop: Header=BB275_15 Depth=1
	s_or_b32 exec_lo, exec_lo, s44
	v_lshlrev_b32_e32 v85, 8, v8
	v_lshl_add_u32 v84, v84, 10, 0x2000
	v_lshlrev_b32_e32 v79, 7, v79
	v_and_b32_e32 v85, 0x8000, v85
	v_and_b32_e32 v84, 0xfc00, v84
	v_or3_b32 v79, v85, v84, v79
.LBB275_504:                            ;   in Loop: Header=BB275_15 Depth=1
	s_or_b32 exec_lo, exec_lo, s43
.LBB275_505:                            ;   in Loop: Header=BB275_15 Depth=1
	s_or_b32 exec_lo, exec_lo, s42
.LBB275_506:                            ;   in Loop: Header=BB275_15 Depth=1
	s_or_b32 exec_lo, exec_lo, s41
	v_lshrrev_b16 v1, 8, v1
	v_mov_b32_e32 v85, 0
	v_mov_b32_e32 v84, 0
	s_mov_b32 s41, exec_lo
	v_cmpx_ne_u16_e32 0, v1
	s_cbranch_execz .LBB275_514
; %bb.507:                              ;   in Loop: Header=BB275_15 Depth=1
	v_bfrev_b32_e32 v84, 1
	s_mov_b32 s42, exec_lo
	v_cmpx_ne_u16_e32 0x80, v1
	s_cbranch_execz .LBB275_513
; %bb.508:                              ;   in Loop: Header=BB275_15 Depth=1
	v_and_b32_sdwa v90, v1, v20 dst_sel:DWORD dst_unused:UNUSED_PAD src0_sel:WORD_0 src1_sel:DWORD
	v_mov_b32_e32 v84, 0x7c010000
	s_mov_b32 s43, exec_lo
	v_cmpx_ne_u32_e32 0x7f, v90
	s_cbranch_execz .LBB275_512
; %bb.509:                              ;   in Loop: Header=BB275_15 Depth=1
	v_and_b32_sdwa v84, v1, v21 dst_sel:DWORD dst_unused:UNUSED_PAD src0_sel:WORD_0 src1_sel:DWORD
	v_lshrrev_b32_e32 v88, 3, v90
	s_mov_b32 s44, exec_lo
	v_cmpx_gt_u32_e32 8, v90
; %bb.510:                              ;   in Loop: Header=BB275_15 Depth=1
	v_ffbh_u32_e32 v84, v84
	v_min_u32_e32 v84, 32, v84
	v_subrev_nc_u32_e32 v88, 28, v84
	v_lshlrev_b64 v[90:91], v88, v[1:2]
	v_sub_nc_u32_e32 v88, 29, v84
	v_and_b32_e32 v84, 7, v90
; %bb.511:                              ;   in Loop: Header=BB275_15 Depth=1
	s_or_b32 exec_lo, exec_lo, s44
	v_lshlrev_b32_sdwa v1, v22, v1 dst_sel:DWORD dst_unused:UNUSED_PAD src0_sel:DWORD src1_sel:WORD_0
	v_lshl_add_u32 v88, v88, 10, 0x2000
	v_lshlrev_b32_e32 v84, 23, v84
	v_and_or_b32 v1, 0x8000, v1, v88
	v_lshl_or_b32 v84, v1, 16, v84
.LBB275_512:                            ;   in Loop: Header=BB275_15 Depth=1
	s_or_b32 exec_lo, exec_lo, s43
.LBB275_513:                            ;   in Loop: Header=BB275_15 Depth=1
	s_or_b32 exec_lo, exec_lo, s42
.LBB275_514:                            ;   in Loop: Header=BB275_15 Depth=1
	s_or_b32 exec_lo, exec_lo, s41
	v_lshrrev_b32_e32 v1, 16, v8
	v_cmp_ne_u16_sdwa s1, v1, v2 src0_sel:BYTE_0 src1_sel:DWORD
	s_and_saveexec_b32 s41, s1
	s_cbranch_execz .LBB275_522
; %bb.515:                              ;   in Loop: Header=BB275_15 Depth=1
	v_cmp_ne_u16_sdwa s1, v1, v19 src0_sel:BYTE_0 src1_sel:DWORD
	v_mov_b32_e32 v85, 0x8000
	s_and_saveexec_b32 s42, s1
	s_cbranch_execz .LBB275_521
; %bb.516:                              ;   in Loop: Header=BB275_15 Depth=1
	v_bfe_u32 v90, v8, 16, 7
	v_mov_b32_e32 v85, 0x7c01
	s_mov_b32 s43, exec_lo
	v_cmpx_ne_u32_e32 0x7f, v90
	s_cbranch_execz .LBB275_520
; %bb.517:                              ;   in Loop: Header=BB275_15 Depth=1
	v_and_b32_e32 v85, 7, v1
	v_lshrrev_b32_e32 v88, 3, v90
	s_mov_b32 s44, exec_lo
	v_cmpx_gt_u32_e32 8, v90
; %bb.518:                              ;   in Loop: Header=BB275_15 Depth=1
	v_ffbh_u32_e32 v85, v85
	v_min_u32_e32 v85, 32, v85
	v_subrev_nc_u32_e32 v88, 28, v85
	v_lshlrev_b64 v[90:91], v88, v[1:2]
	v_sub_nc_u32_e32 v88, 29, v85
	v_and_b32_e32 v85, 7, v90
; %bb.519:                              ;   in Loop: Header=BB275_15 Depth=1
	s_or_b32 exec_lo, exec_lo, s44
	v_lshlrev_b32_e32 v1, 8, v1
	v_lshl_add_u32 v88, v88, 10, 0x2000
	v_lshlrev_b32_e32 v85, 7, v85
	v_and_b32_e32 v1, 0x8000, v1
	v_and_b32_e32 v88, 0xfc00, v88
	v_or3_b32 v85, v1, v88, v85
.LBB275_520:                            ;   in Loop: Header=BB275_15 Depth=1
	s_or_b32 exec_lo, exec_lo, s43
.LBB275_521:                            ;   in Loop: Header=BB275_15 Depth=1
	s_or_b32 exec_lo, exec_lo, s42
.LBB275_522:                            ;   in Loop: Header=BB275_15 Depth=1
	s_or_b32 exec_lo, exec_lo, s41
	v_mov_b32_e32 v88, 0
	s_mov_b32 s41, exec_lo
	v_cmpx_lt_u64_e64 s[4:5], v[7:8]
	s_cbranch_execz .LBB275_13
; %bb.523:                              ;   in Loop: Header=BB275_15 Depth=1
	v_lshrrev_b32_e32 v1, 24, v8
	v_bfrev_b32_e32 v88, 1
	s_mov_b32 s42, exec_lo
	v_cmpx_ne_u32_e32 0x80, v1
	s_cbranch_execz .LBB275_12
; %bb.524:                              ;   in Loop: Header=BB275_15 Depth=1
	v_and_b32_e32 v90, 0x7f, v1
	v_mov_b32_e32 v88, 0x7c010000
	s_mov_b32 s43, exec_lo
	v_cmpx_ne_u32_e32 0x7f, v90
	s_cbranch_execz .LBB275_11
; %bb.525:                              ;   in Loop: Header=BB275_15 Depth=1
	v_and_b32_e32 v7, 7, v1
	v_lshrrev_b32_e32 v8, 3, v90
	s_mov_b32 s44, exec_lo
	v_cmpx_gt_u32_e32 8, v90
	s_cbranch_execz .LBB275_10
; %bb.526:                              ;   in Loop: Header=BB275_15 Depth=1
	v_ffbh_u32_e32 v7, v7
	v_min_u32_e32 v88, 32, v7
	v_subrev_nc_u32_e32 v7, 28, v88
	v_lshlrev_b64 v[7:8], v7, v[1:2]
	v_sub_nc_u32_e32 v8, 29, v88
	v_and_b32_e32 v7, 7, v7
	s_branch .LBB275_10
.LBB275_527:
	s_or_b32 exec_lo, exec_lo, s40
.LBB275_528:
	s_or_b32 exec_lo, exec_lo, s36
	v_mbcnt_lo_u32_b32 v2, -1, 0
	v_max_f32_e32 v5, v16, v16
	v_xor_b32_e32 v1, 16, v2
	v_xor_b32_e32 v4, 8, v2
	v_cmp_gt_i32_e32 vcc_lo, 32, v1
	v_cndmask_b32_e32 v1, v2, v1, vcc_lo
	v_cmp_gt_i32_e32 vcc_lo, 32, v4
	v_lshlrev_b32_e32 v1, 2, v1
	v_cndmask_b32_e32 v4, v2, v4, vcc_lo
	ds_bpermute_b32 v3, v1, v16
	s_waitcnt lgkmcnt(0)
	v_max_f32_e32 v6, v3, v3
	v_lshlrev_b32_e32 v3, 2, v4
	v_max_f32_e32 v5, v5, v6
	v_xor_b32_e32 v6, 4, v2
	ds_bpermute_b32 v4, v3, v5
	v_cmp_gt_i32_e32 vcc_lo, 32, v6
	v_cndmask_b32_e32 v6, v2, v6, vcc_lo
	s_waitcnt lgkmcnt(0)
	v_max_f32_e32 v7, v4, v4
	v_lshlrev_b32_e32 v4, 2, v6
	v_max_f32_e32 v5, v5, v7
	v_xor_b32_e32 v7, 2, v2
	ds_bpermute_b32 v6, v4, v5
	v_cmp_gt_i32_e32 vcc_lo, 32, v7
	v_cndmask_b32_e32 v7, v2, v7, vcc_lo
	v_lshlrev_b32_e32 v17, 2, v7
	v_xor_b32_e32 v7, 1, v2
	v_cmp_gt_i32_e32 vcc_lo, 32, v7
	s_waitcnt lgkmcnt(0)
	v_max_f32_e32 v6, v6, v6
	v_cndmask_b32_e32 v7, v2, v7, vcc_lo
	v_cmp_eq_u32_e32 vcc_lo, 0, v12
	v_max_f32_e32 v5, v5, v6
	v_lshlrev_b32_e32 v16, 2, v7
	ds_bpermute_b32 v6, v17, v5
	s_waitcnt lgkmcnt(0)
	v_max_f32_e32 v6, v6, v6
	v_max_f32_e32 v2, v5, v6
	v_lshlrev_b32_e32 v5, 2, v11
	ds_bpermute_b32 v6, v16, v2
	s_and_saveexec_b32 s1, vcc_lo
	s_cbranch_execz .LBB275_530
; %bb.529:
	s_waitcnt lgkmcnt(0)
	v_max_f32_e32 v6, v6, v6
	v_max_f32_e32 v2, v2, v2
	;; [unrolled: 1-line block ×3, first 2 shown]
	ds_write_b32 v5, v2 offset:128
.LBB275_530:
	s_or_b32 exec_lo, exec_lo, s1
	v_cmp_gt_u32_e64 s1, 4, v12
	v_mov_b32_e32 v2, 0xff7fffff
	s_waitcnt lgkmcnt(0)
	s_barrier
	buffer_gl0_inv
	s_and_saveexec_b32 s2, s1
; %bb.531:
	ds_read_b32 v2, v15 offset:128
; %bb.532:
	s_or_b32 exec_lo, exec_lo, s2
	s_waitcnt lgkmcnt(0)
	ds_bpermute_b32 v6, v17, v2
	v_max_f32_e32 v2, v2, v2
	s_lshl_b32 s2, s20, 5
	s_min_i32 s4, s2, s33
	v_cmp_gt_i32_e64 s2, s4, v0
	s_waitcnt lgkmcnt(0)
	v_max_f32_e32 v6, v6, v6
	v_max_f32_e32 v2, v2, v6
	ds_bpermute_b32 v6, v16, v2
	s_waitcnt lgkmcnt(0)
	v_max_f32_e32 v6, v6, v6
	v_max_f32_e32 v2, v2, v6
	v_mov_b32_e32 v6, 0
	ds_bpermute_b32 v7, v6, v2
	v_lshl_add_u32 v2, v0, 2, 0xa0
	s_and_saveexec_b32 s5, s2
	s_cbranch_execz .LBB275_536
; %bb.533:
	v_lshl_add_u32 v8, v0, 2, 0xa0
	v_mov_b32_e32 v6, 0
	v_mov_b32_e32 v9, v0
	s_mov_b32 s12, 0
	.p2align	6
.LBB275_534:                            ; =>This Inner Loop Header: Depth=1
	ds_read_b32 v10, v8
	v_add_nc_u32_e32 v9, 0x80, v9
	v_cmp_le_i32_e64 s3, s4, v9
	s_or_b32 s12, s3, s12
	s_waitcnt lgkmcnt(0)
	v_sub_f32_e32 v10, v10, v7
	v_mul_f32_e32 v10, 0x3fb8aa3b, v10
	v_exp_f32_e32 v10, v10
	ds_write_b32 v8, v10
	v_add_f32_e32 v6, v6, v10
	v_add_nc_u32_e32 v8, 0x200, v8
	s_andn2_b32 exec_lo, exec_lo, s12
	s_cbranch_execnz .LBB275_534
; %bb.535:
	s_or_b32 exec_lo, exec_lo, s12
.LBB275_536:
	s_or_b32 exec_lo, exec_lo, s5
	ds_bpermute_b32 v1, v1, v6
	s_waitcnt lgkmcnt(0)
	v_add_f32_e32 v1, v6, v1
	ds_bpermute_b32 v3, v3, v1
	s_waitcnt lgkmcnt(0)
	v_add_f32_e32 v1, v1, v3
	;; [unrolled: 3-line block ×5, first 2 shown]
	s_and_saveexec_b32 s3, vcc_lo
; %bb.537:
	ds_write_b32 v5, v1 offset:144
; %bb.538:
	s_or_b32 exec_lo, exec_lo, s3
	s_waitcnt lgkmcnt(0)
	s_barrier
	buffer_gl0_inv
	s_and_saveexec_b32 s3, s1
; %bb.539:
	ds_read_b32 v1, v15 offset:144
; %bb.540:
	s_or_b32 exec_lo, exec_lo, s3
	s_waitcnt lgkmcnt(0)
	ds_bpermute_b32 v3, v17, v1
	s_waitcnt lgkmcnt(0)
	v_add_f32_e32 v1, v1, v3
	ds_bpermute_b32 v3, v16, v1
	s_waitcnt lgkmcnt(0)
	v_add_f32_e32 v1, v1, v3
	v_mov_b32_e32 v3, 0
	ds_bpermute_b32 v1, v3, v1
	s_and_saveexec_b32 s1, s2
	s_cbranch_execz .LBB275_543
; %bb.541:
	s_waitcnt lgkmcnt(0)
	v_add_f32_e32 v1, 0x358637bd, v1
	s_mov_b32 s2, 0
	v_div_scale_f32 v3, null, v1, v1, 1.0
	v_div_scale_f32 v6, vcc_lo, 1.0, v1, 1.0
	v_rcp_f32_e32 v4, v3
	v_fma_f32 v5, -v3, v4, 1.0
	v_fmac_f32_e32 v4, v5, v4
	v_mul_f32_e32 v5, v6, v4
	v_fma_f32 v7, -v3, v5, v6
	v_fmac_f32_e32 v5, v7, v4
	v_fma_f32 v3, -v3, v5, v6
	v_div_fmas_f32 v3, v3, v4, v5
	v_div_fixup_f32 v1, v3, v1, 1.0
	v_mov_b32_e32 v3, v0
.LBB275_542:                            ; =>This Inner Loop Header: Depth=1
	ds_read_b32 v4, v2
	v_add_nc_u32_e32 v3, 0x80, v3
	v_cmp_le_i32_e32 vcc_lo, s4, v3
	s_or_b32 s2, vcc_lo, s2
	s_waitcnt lgkmcnt(0)
	v_mul_f32_e32 v4, v1, v4
	ds_write_b32 v2, v4
	v_add_nc_u32_e32 v2, 0x200, v2
	s_andn2_b32 exec_lo, exec_lo, s2
	s_cbranch_execnz .LBB275_542
.LBB275_543:
	s_or_b32 exec_lo, exec_lo, s1
	v_mov_b32_e32 v25, 0
	v_and_b32_e32 v15, 3, v0
	v_mov_b32_e32 v24, 0
	v_mov_b32_e32 v23, 0
	;; [unrolled: 1-line block ×7, first 2 shown]
	s_waitcnt lgkmcnt(0)
	s_barrier
	buffer_gl0_inv
	s_and_saveexec_b32 s1, s0
	s_cbranch_execz .LBB275_1077
; %bb.544:
	s_sub_i32 s4, s34, s21
	s_ashr_i32 s0, s18, 31
	s_add_u32 s18, s30, s18
	s_addc_u32 s0, s31, s0
	s_abs_i32 s5, s22
	v_lshlrev_b32_e32 v3, 3, v0
	v_cvt_f32_u32_e32 v1, s5
	s_sub_i32 s2, 0, s5
	v_lshlrev_b32_e32 v5, 5, v15
	v_and_b32_e32 v4, 0x7c, v14
	s_add_i32 s13, s20, -1
	v_rcp_iflag_f32_e32 v1, v1
	v_and_b32_e32 v7, 0xf8, v3
	v_lshl_or_b32 v8, v11, 7, v5
	v_and_b32_e32 v29, 24, v3
	v_mov_b32_e32 v2, 0
	v_mov_b32_e32 v14, 0x80
	;; [unrolled: 1-line block ×6, first 2 shown]
	v_mul_f32_e32 v1, 0x4f7ffffe, v1
	v_mov_b32_e32 v19, 0
	v_mov_b32_e32 v20, 0
	;; [unrolled: 1-line block ×4, first 2 shown]
	v_cvt_u32_f32_e32 v1, v1
	v_mov_b32_e32 v23, 0
	v_mov_b32_e32 v24, 0
	;; [unrolled: 1-line block ×3, first 2 shown]
	v_add_nc_u32_e32 v30, 0xa0, v8
	v_mul_lo_u32 v6, s2, v1
	s_lshl_b64 s[2:3], s[28:29], 2
	v_mov_b32_e32 v32, v11
	s_add_u32 s2, s26, s2
	s_addc_u32 s3, s27, s3
	v_add_co_u32 v3, s2, s2, v4
	v_add_co_ci_u32_e64 v4, null, s3, 0, s2
	v_mul_hi_u32 v9, v1, v6
	v_add_co_u32 v5, s2, s18, v7
	v_add_co_ci_u32_e64 v6, null, s0, 0, s2
	s_mov_b32 s2, -1
	s_mov_b32 s12, s17
	s_mov_b32 s3, 0xffffff
	v_add_nc_u32_e32 v31, v1, v9
	s_mov_b32 s17, 0
	s_branch .LBB275_547
.LBB275_545:                            ;   in Loop: Header=BB275_547 Depth=1
	s_or_b32 exec_lo, exec_lo, s0
	v_add_f32_e32 v9, v9, v10
	v_add_f32_e32 v10, v55, v56
	;; [unrolled: 1-line block ×5, first 2 shown]
	;;#ASMSTART
	v_pk_mul_f16 v10, v46, v57;

	;;#ASMEND
	;;#ASMSTART
	v_pk_mul_f16 v8, v45, v8;

	;;#ASMEND
	;; [unrolled: 4-line block ×4, first 2 shown]
	;;#ASMSTART
	v_pk_add_f16 v8, v10, v8;

	;;#ASMEND
	;;#ASMSTART
	v_pk_add_f16 v7, v8, v7;

	;;#ASMEND
	;; [unrolled: 4-line block ×3, first 2 shown]
	v_and_b32_e32 v10, 0xffff, v1
	v_add_f32_e32 v21, v21, v33
	v_lshrrev_b32_e32 v33, 16, v1
	;;#ASMSTART
	v_cvt_f32_f16 v10, v10;
	;;#ASMEND
	v_add_f32_e32 v9, v51, v52
	v_add_f32_e32 v1, v49, v50
	;; [unrolled: 1-line block ×4, first 2 shown]
	;;#ASMSTART
	v_cvt_f32_f16 v33, v33;
	;;#ASMEND
	v_add_f32_e32 v10, v10, v33
	v_add_f32_e32 v22, v22, v9
	;; [unrolled: 1-line block ×6, first 2 shown]
.LBB275_546:                            ;   in Loop: Header=BB275_547 Depth=1
	s_or_b32 exec_lo, exec_lo, s18
	v_add_nc_u32_e32 v32, 4, v32
	v_add_co_u32 v3, s0, v3, 16
	v_add_co_ci_u32_e64 v4, null, 0, v4, s0
	v_cmp_le_i32_e32 vcc_lo, s20, v32
	v_add_nc_u32_e32 v13, 0x80, v13
	v_add_nc_u32_e32 v30, 0x200, v30
	s_or_b32 s17, vcc_lo, s17
	s_andn2_b32 exec_lo, exec_lo, s17
	s_cbranch_execz .LBB275_1076
.LBB275_547:                            ; =>This Inner Loop Header: Depth=1
	v_mul_hi_u32 v1, v13, s19
	v_mul_lo_u32 v7, v1, s16
	v_add_nc_u32_e32 v8, 1, v1
	v_sub_nc_u32_e32 v7, v13, v7
	v_subrev_nc_u32_e32 v9, s16, v7
	v_cmp_le_u32_e32 vcc_lo, s16, v7
	v_cndmask_b32_e32 v1, v1, v8, vcc_lo
	v_cndmask_b32_e32 v7, v7, v9, vcc_lo
	v_add_nc_u32_e32 v8, 1, v1
	v_cmp_le_u32_e32 vcc_lo, s16, v7
	v_cndmask_b32_e32 v1, v1, v8, vcc_lo
	v_xor_b32_e32 v1, s23, v1
	v_subrev_nc_u32_e32 v1, s23, v1
	v_add_nc_u32_e32 v7, s25, v1
	v_cmp_lt_i32_e64 s0, s4, v1
	v_sub_nc_u32_e32 v8, 0, v7
	v_max_i32_e32 v8, v7, v8
	v_ashrrev_i32_e32 v7, 31, v7
	v_mul_hi_u32 v9, v8, v31
	v_mul_lo_u32 v9, v9, s5
	v_sub_nc_u32_e32 v8, v8, v9
	v_subrev_nc_u32_e32 v9, s5, v8
	v_cmp_le_u32_e32 vcc_lo, s5, v8
	v_cndmask_b32_e32 v8, v8, v9, vcc_lo
	v_subrev_nc_u32_e32 v9, s5, v8
	v_cmp_le_u32_e32 vcc_lo, s5, v8
	v_cndmask_b32_e32 v8, v8, v9, vcc_lo
	v_xor_b32_e32 v8, v8, v7
	v_sub_nc_u32_e32 v7, v8, v7
	v_cmp_eq_u32_e32 vcc_lo, 0, v7
	s_or_b32 s0, vcc_lo, s0
	s_and_saveexec_b32 s18, s0
	s_cbranch_execz .LBB275_546
; %bb.548:                              ;   in Loop: Header=BB275_547 Depth=1
	global_load_dword v1, v[3:4], off
	ds_read2_b64 v[33:36], v30 offset1:1
	ds_read2_b64 v[46:49], v30 offset0:2 offset1:3
	s_waitcnt lgkmcnt(1)
	;;#ASMSTART
	v_cvt_f16_f32 v40, v33;

	;;#ASMEND
	;;#ASMSTART
	v_cvt_f16_f32 v42, v34;

	;;#ASMEND
	;; [unrolled: 4-line block ×4, first 2 shown]
	s_waitcnt lgkmcnt(0)
	;;#ASMSTART
	v_cvt_f16_f32 v46, v46;

	;;#ASMEND
	;;#ASMSTART
	v_cvt_f16_f32 v44, v47;

	;;#ASMEND
	;; [unrolled: 4-line block ×4, first 2 shown]
	v_mov_b32_e32 v35, 0
	v_mov_b32_e32 v36, 0
	global_load_dword v34, v35, s[14:15]
	s_waitcnt vmcnt(1)
	v_mad_i64_i32 v[7:8], null, v1, s12, v[5:6]
	global_load_dwordx2 v[9:10], v[7:8], off
	s_waitcnt vmcnt(0)
	v_cmp_ne_u16_sdwa s21, v9, v2 src0_sel:BYTE_0 src1_sel:DWORD
	s_and_saveexec_b32 s0, s21
	s_cbranch_execz .LBB275_556
; %bb.549:                              ;   in Loop: Header=BB275_547 Depth=1
	v_cmp_ne_u16_sdwa s22, v9, v14 src0_sel:BYTE_0 src1_sel:DWORD
	v_mov_b32_e32 v36, 0x8000
	s_and_saveexec_b32 s21, s22
	s_cbranch_execz .LBB275_555
; %bb.550:                              ;   in Loop: Header=BB275_547 Depth=1
	v_and_b32_e32 v37, 0x7f, v9
	v_mov_b32_e32 v36, 0x7c01
	s_mov_b32 s22, exec_lo
	v_cmpx_ne_u32_e32 0x7f, v37
	s_cbranch_execz .LBB275_554
; %bb.551:                              ;   in Loop: Header=BB275_547 Depth=1
	v_and_b32_e32 v1, 7, v9
	v_lshrrev_b32_e32 v33, 3, v37
	s_mov_b32 s26, exec_lo
	v_cmpx_gt_u32_e32 8, v37
; %bb.552:                              ;   in Loop: Header=BB275_547 Depth=1
	v_ffbh_u32_e32 v1, v1
	v_min_u32_e32 v1, 32, v1
	v_subrev_nc_u32_e32 v33, 28, v1
	v_lshlrev_b64 v[36:37], v33, v[9:10]
	v_sub_nc_u32_e32 v33, 29, v1
	v_and_b32_e32 v1, 7, v36
; %bb.553:                              ;   in Loop: Header=BB275_547 Depth=1
	s_or_b32 exec_lo, exec_lo, s26
	v_lshlrev_b32_e32 v36, 8, v9
	v_lshl_add_u32 v33, v33, 10, 0x2000
	v_lshlrev_b32_e32 v1, 7, v1
	v_and_b32_e32 v36, 0x8000, v36
	v_and_b32_e32 v33, 0xfc00, v33
	v_or3_b32 v36, v36, v33, v1
.LBB275_554:                            ;   in Loop: Header=BB275_547 Depth=1
	s_or_b32 exec_lo, exec_lo, s22
.LBB275_555:                            ;   in Loop: Header=BB275_547 Depth=1
	s_or_b32 exec_lo, exec_lo, s21
.LBB275_556:                            ;   in Loop: Header=BB275_547 Depth=1
	s_or_b32 exec_lo, exec_lo, s0
	v_lshrrev_b16 v1, 8, v9
	s_mov_b32 s0, exec_lo
	v_cmpx_ne_u16_e32 0, v1
	s_cbranch_execz .LBB275_564
; %bb.557:                              ;   in Loop: Header=BB275_547 Depth=1
	v_bfrev_b32_e32 v35, 1
	s_mov_b32 s21, exec_lo
	v_cmpx_ne_u16_e32 0x80, v1
	s_cbranch_execz .LBB275_563
; %bb.558:                              ;   in Loop: Header=BB275_547 Depth=1
	v_and_b32_sdwa v37, v1, v26 dst_sel:DWORD dst_unused:UNUSED_PAD src0_sel:WORD_0 src1_sel:DWORD
	v_mov_b32_e32 v35, 0x7c010000
	s_mov_b32 s22, exec_lo
	v_cmpx_ne_u32_e32 0x7f, v37
	s_cbranch_execz .LBB275_562
; %bb.559:                              ;   in Loop: Header=BB275_547 Depth=1
	v_and_b32_sdwa v33, v1, v27 dst_sel:DWORD dst_unused:UNUSED_PAD src0_sel:WORD_0 src1_sel:DWORD
	v_lshrrev_b32_e32 v35, 3, v37
	s_mov_b32 s26, exec_lo
	v_cmpx_gt_u32_e32 8, v37
; %bb.560:                              ;   in Loop: Header=BB275_547 Depth=1
	v_ffbh_u32_e32 v33, v33
	v_min_u32_e32 v33, 32, v33
	v_subrev_nc_u32_e32 v35, 28, v33
	v_lshlrev_b64 v[37:38], v35, v[1:2]
	v_sub_nc_u32_e32 v35, 29, v33
	v_and_b32_e32 v33, 7, v37
; %bb.561:                              ;   in Loop: Header=BB275_547 Depth=1
	s_or_b32 exec_lo, exec_lo, s26
	v_lshlrev_b32_sdwa v1, v28, v1 dst_sel:DWORD dst_unused:UNUSED_PAD src0_sel:DWORD src1_sel:WORD_0
	v_lshl_add_u32 v35, v35, 10, 0x2000
	v_lshlrev_b32_e32 v33, 23, v33
	v_and_or_b32 v1, 0x8000, v1, v35
	v_lshl_or_b32 v35, v1, 16, v33
.LBB275_562:                            ;   in Loop: Header=BB275_547 Depth=1
	s_or_b32 exec_lo, exec_lo, s22
.LBB275_563:                            ;   in Loop: Header=BB275_547 Depth=1
	s_or_b32 exec_lo, exec_lo, s21
.LBB275_564:                            ;   in Loop: Header=BB275_547 Depth=1
	s_or_b32 exec_lo, exec_lo, s0
	v_lshrrev_b32_e32 v1, 16, v9
	v_mov_b32_e32 v37, 0
	v_mov_b32_e32 v33, 0
	v_cmp_ne_u16_sdwa s21, v1, v2 src0_sel:BYTE_0 src1_sel:DWORD
	s_and_saveexec_b32 s0, s21
	s_cbranch_execz .LBB275_572
; %bb.565:                              ;   in Loop: Header=BB275_547 Depth=1
	v_cmp_ne_u16_sdwa s22, v1, v14 src0_sel:BYTE_0 src1_sel:DWORD
	v_mov_b32_e32 v33, 0x8000
	s_and_saveexec_b32 s21, s22
	s_cbranch_execz .LBB275_571
; %bb.566:                              ;   in Loop: Header=BB275_547 Depth=1
	v_bfe_u32 v39, v9, 16, 7
	v_mov_b32_e32 v33, 0x7c01
	s_mov_b32 s22, exec_lo
	v_cmpx_ne_u32_e32 0x7f, v39
	s_cbranch_execz .LBB275_570
; %bb.567:                              ;   in Loop: Header=BB275_547 Depth=1
	v_and_b32_e32 v33, 7, v1
	v_lshrrev_b32_e32 v38, 3, v39
	s_mov_b32 s26, exec_lo
	v_cmpx_gt_u32_e32 8, v39
; %bb.568:                              ;   in Loop: Header=BB275_547 Depth=1
	v_ffbh_u32_e32 v33, v33
	v_min_u32_e32 v33, 32, v33
	v_subrev_nc_u32_e32 v38, 28, v33
	v_lshlrev_b64 v[49:50], v38, v[1:2]
	v_sub_nc_u32_e32 v38, 29, v33
	v_and_b32_e32 v33, 7, v49
; %bb.569:                              ;   in Loop: Header=BB275_547 Depth=1
	s_or_b32 exec_lo, exec_lo, s26
	v_lshlrev_b32_e32 v1, 8, v1
	v_lshl_add_u32 v38, v38, 10, 0x2000
	v_lshlrev_b32_e32 v33, 7, v33
	v_and_b32_e32 v1, 0x8000, v1
	v_and_b32_e32 v38, 0xfc00, v38
	v_or3_b32 v33, v1, v38, v33
.LBB275_570:                            ;   in Loop: Header=BB275_547 Depth=1
	s_or_b32 exec_lo, exec_lo, s22
.LBB275_571:                            ;   in Loop: Header=BB275_547 Depth=1
	s_or_b32 exec_lo, exec_lo, s21
.LBB275_572:                            ;   in Loop: Header=BB275_547 Depth=1
	s_or_b32 exec_lo, exec_lo, s0
	s_mov_b32 s0, exec_lo
	v_cmpx_lt_u32_e32 0xffffff, v9
	s_cbranch_execz .LBB275_580
; %bb.573:                              ;   in Loop: Header=BB275_547 Depth=1
	v_lshrrev_b32_e32 v1, 24, v9
	v_bfrev_b32_e32 v37, 1
	s_mov_b32 s21, exec_lo
	v_cmpx_ne_u32_e32 0x80, v1
	s_cbranch_execz .LBB275_579
; %bb.574:                              ;   in Loop: Header=BB275_547 Depth=1
	v_and_b32_e32 v39, 0x7f, v1
	v_mov_b32_e32 v37, 0x7c010000
	s_mov_b32 s22, exec_lo
	v_cmpx_ne_u32_e32 0x7f, v39
	s_cbranch_execz .LBB275_578
; %bb.575:                              ;   in Loop: Header=BB275_547 Depth=1
	v_and_b32_e32 v37, 7, v1
	v_lshrrev_b32_e32 v38, 3, v39
	s_mov_b32 s26, exec_lo
	v_cmpx_gt_u32_e32 8, v39
; %bb.576:                              ;   in Loop: Header=BB275_547 Depth=1
	v_ffbh_u32_e32 v37, v37
	v_min_u32_e32 v39, 32, v37
	v_subrev_nc_u32_e32 v37, 28, v39
	v_lshlrev_b64 v[37:38], v37, v[1:2]
	v_sub_nc_u32_e32 v38, 29, v39
	v_and_b32_e32 v37, 7, v37
; %bb.577:                              ;   in Loop: Header=BB275_547 Depth=1
	s_or_b32 exec_lo, exec_lo, s26
	v_lshlrev_b32_e32 v1, 8, v1
	v_lshl_add_u32 v38, v38, 10, 0x2000
	v_lshlrev_b32_e32 v37, 23, v37
	v_and_or_b32 v1, 0x8000, v1, v38
	v_lshl_or_b32 v37, v1, 16, v37
.LBB275_578:                            ;   in Loop: Header=BB275_547 Depth=1
	s_or_b32 exec_lo, exec_lo, s22
.LBB275_579:                            ;   in Loop: Header=BB275_547 Depth=1
	s_or_b32 exec_lo, exec_lo, s21
.LBB275_580:                            ;   in Loop: Header=BB275_547 Depth=1
	s_or_b32 exec_lo, exec_lo, s0
	v_mov_b32_e32 v1, v10
	v_cmp_ne_u16_sdwa s21, v10, v2 src0_sel:BYTE_0 src1_sel:DWORD
	v_mov_b32_e32 v38, 0
	v_mov_b32_e32 v39, 0
	s_and_saveexec_b32 s0, s21
	s_cbranch_execz .LBB275_588
; %bb.581:                              ;   in Loop: Header=BB275_547 Depth=1
	v_cmp_ne_u16_sdwa s22, v10, v14 src0_sel:BYTE_0 src1_sel:DWORD
	v_mov_b32_e32 v39, 0x8000
	s_and_saveexec_b32 s21, s22
	s_cbranch_execz .LBB275_587
; %bb.582:                              ;   in Loop: Header=BB275_547 Depth=1
	v_and_b32_e32 v49, 0x7f, v10
	v_mov_b32_e32 v39, 0x7c01
	s_mov_b32 s22, exec_lo
	v_cmpx_ne_u32_e32 0x7f, v49
	s_cbranch_execz .LBB275_586
; %bb.583:                              ;   in Loop: Header=BB275_547 Depth=1
	v_and_b32_e32 v39, 7, v10
	v_lshrrev_b32_e32 v41, 3, v49
	s_mov_b32 s26, exec_lo
	v_cmpx_gt_u32_e32 8, v49
; %bb.584:                              ;   in Loop: Header=BB275_547 Depth=1
	v_ffbh_u32_e32 v39, v39
	v_min_u32_e32 v39, 32, v39
	v_subrev_nc_u32_e32 v41, 28, v39
	v_lshlrev_b64 v[49:50], v41, v[1:2]
	v_sub_nc_u32_e32 v41, 29, v39
	v_and_b32_e32 v39, 7, v49
; %bb.585:                              ;   in Loop: Header=BB275_547 Depth=1
	s_or_b32 exec_lo, exec_lo, s26
	v_lshlrev_b32_e32 v49, 8, v10
	v_lshl_add_u32 v41, v41, 10, 0x2000
	v_lshlrev_b32_e32 v39, 7, v39
	v_and_b32_e32 v49, 0x8000, v49
	v_and_b32_e32 v41, 0xfc00, v41
	v_or3_b32 v39, v49, v41, v39
.LBB275_586:                            ;   in Loop: Header=BB275_547 Depth=1
	s_or_b32 exec_lo, exec_lo, s22
.LBB275_587:                            ;   in Loop: Header=BB275_547 Depth=1
	s_or_b32 exec_lo, exec_lo, s21
.LBB275_588:                            ;   in Loop: Header=BB275_547 Depth=1
	s_or_b32 exec_lo, exec_lo, s0
	v_lshrrev_b16 v1, 8, v1
	v_mov_b32_e32 v41, 0
	s_mov_b32 s0, exec_lo
	v_cmpx_ne_u16_e32 0, v1
	s_cbranch_execz .LBB275_596
; %bb.589:                              ;   in Loop: Header=BB275_547 Depth=1
	v_bfrev_b32_e32 v41, 1
	s_mov_b32 s21, exec_lo
	v_cmpx_ne_u16_e32 0x80, v1
	s_cbranch_execz .LBB275_595
; %bb.590:                              ;   in Loop: Header=BB275_547 Depth=1
	v_and_b32_sdwa v50, v1, v26 dst_sel:DWORD dst_unused:UNUSED_PAD src0_sel:WORD_0 src1_sel:DWORD
	v_mov_b32_e32 v41, 0x7c010000
	s_mov_b32 s22, exec_lo
	v_cmpx_ne_u32_e32 0x7f, v50
	s_cbranch_execz .LBB275_594
; %bb.591:                              ;   in Loop: Header=BB275_547 Depth=1
	v_and_b32_sdwa v41, v1, v27 dst_sel:DWORD dst_unused:UNUSED_PAD src0_sel:WORD_0 src1_sel:DWORD
	v_lshrrev_b32_e32 v49, 3, v50
	s_mov_b32 s26, exec_lo
	v_cmpx_gt_u32_e32 8, v50
; %bb.592:                              ;   in Loop: Header=BB275_547 Depth=1
	v_ffbh_u32_e32 v41, v41
	v_min_u32_e32 v41, 32, v41
	v_subrev_nc_u32_e32 v49, 28, v41
	v_lshlrev_b64 v[50:51], v49, v[1:2]
	v_sub_nc_u32_e32 v49, 29, v41
	v_and_b32_e32 v41, 7, v50
; %bb.593:                              ;   in Loop: Header=BB275_547 Depth=1
	s_or_b32 exec_lo, exec_lo, s26
	v_lshlrev_b32_sdwa v1, v28, v1 dst_sel:DWORD dst_unused:UNUSED_PAD src0_sel:DWORD src1_sel:WORD_0
	v_lshl_add_u32 v49, v49, 10, 0x2000
	v_lshlrev_b32_e32 v41, 23, v41
	v_and_or_b32 v1, 0x8000, v1, v49
	v_lshl_or_b32 v41, v1, 16, v41
.LBB275_594:                            ;   in Loop: Header=BB275_547 Depth=1
	s_or_b32 exec_lo, exec_lo, s22
.LBB275_595:                            ;   in Loop: Header=BB275_547 Depth=1
	s_or_b32 exec_lo, exec_lo, s21
.LBB275_596:                            ;   in Loop: Header=BB275_547 Depth=1
	s_or_b32 exec_lo, exec_lo, s0
	v_lshrrev_b32_e32 v1, 16, v10
	v_cmp_ne_u16_sdwa s21, v1, v2 src0_sel:BYTE_0 src1_sel:DWORD
	s_and_saveexec_b32 s0, s21
	s_cbranch_execz .LBB275_604
; %bb.597:                              ;   in Loop: Header=BB275_547 Depth=1
	v_cmp_ne_u16_sdwa s22, v1, v14 src0_sel:BYTE_0 src1_sel:DWORD
	v_mov_b32_e32 v38, 0x8000
	s_and_saveexec_b32 s21, s22
	s_cbranch_execz .LBB275_603
; %bb.598:                              ;   in Loop: Header=BB275_547 Depth=1
	v_bfe_u32 v50, v10, 16, 7
	v_mov_b32_e32 v38, 0x7c01
	s_mov_b32 s22, exec_lo
	v_cmpx_ne_u32_e32 0x7f, v50
	s_cbranch_execz .LBB275_602
; %bb.599:                              ;   in Loop: Header=BB275_547 Depth=1
	v_and_b32_e32 v38, 7, v1
	v_lshrrev_b32_e32 v49, 3, v50
	s_mov_b32 s26, exec_lo
	v_cmpx_gt_u32_e32 8, v50
; %bb.600:                              ;   in Loop: Header=BB275_547 Depth=1
	v_ffbh_u32_e32 v38, v38
	v_min_u32_e32 v38, 32, v38
	v_subrev_nc_u32_e32 v49, 28, v38
	v_lshlrev_b64 v[50:51], v49, v[1:2]
	v_sub_nc_u32_e32 v49, 29, v38
	v_and_b32_e32 v38, 7, v50
; %bb.601:                              ;   in Loop: Header=BB275_547 Depth=1
	s_or_b32 exec_lo, exec_lo, s26
	v_lshlrev_b32_e32 v1, 8, v1
	v_lshl_add_u32 v49, v49, 10, 0x2000
	v_lshlrev_b32_e32 v38, 7, v38
	v_and_b32_e32 v1, 0x8000, v1
	v_and_b32_e32 v49, 0xfc00, v49
	v_or3_b32 v38, v1, v49, v38
.LBB275_602:                            ;   in Loop: Header=BB275_547 Depth=1
	s_or_b32 exec_lo, exec_lo, s22
.LBB275_603:                            ;   in Loop: Header=BB275_547 Depth=1
	s_or_b32 exec_lo, exec_lo, s21
.LBB275_604:                            ;   in Loop: Header=BB275_547 Depth=1
	s_or_b32 exec_lo, exec_lo, s0
	v_cmp_lt_u64_e32 vcc_lo, s[2:3], v[9:10]
	v_mov_b32_e32 v9, 0
	s_and_saveexec_b32 s0, vcc_lo
	s_cbranch_execz .LBB275_612
; %bb.605:                              ;   in Loop: Header=BB275_547 Depth=1
	v_lshrrev_b32_e32 v1, 24, v10
	v_bfrev_b32_e32 v9, 1
	s_mov_b32 s21, exec_lo
	v_cmpx_ne_u32_e32 0x80, v1
	s_cbranch_execz .LBB275_611
; %bb.606:                              ;   in Loop: Header=BB275_547 Depth=1
	v_and_b32_e32 v49, 0x7f, v1
	v_mov_b32_e32 v9, 0x7c010000
	s_mov_b32 s22, exec_lo
	v_cmpx_ne_u32_e32 0x7f, v49
	s_cbranch_execz .LBB275_610
; %bb.607:                              ;   in Loop: Header=BB275_547 Depth=1
	v_and_b32_e32 v9, 7, v1
	v_lshrrev_b32_e32 v10, 3, v49
	s_mov_b32 s26, exec_lo
	v_cmpx_gt_u32_e32 8, v49
; %bb.608:                              ;   in Loop: Header=BB275_547 Depth=1
	v_ffbh_u32_e32 v9, v9
	v_min_u32_e32 v49, 32, v9
	v_subrev_nc_u32_e32 v9, 28, v49
	v_lshlrev_b64 v[9:10], v9, v[1:2]
	v_sub_nc_u32_e32 v10, 29, v49
	v_and_b32_e32 v9, 7, v9
; %bb.609:                              ;   in Loop: Header=BB275_547 Depth=1
	s_or_b32 exec_lo, exec_lo, s26
	v_lshlrev_b32_e32 v1, 8, v1
	v_lshl_add_u32 v10, v10, 10, 0x2000
	v_lshlrev_b32_e32 v9, 23, v9
	v_and_or_b32 v1, 0x8000, v1, v10
	v_lshl_or_b32 v9, v1, 16, v9
.LBB275_610:                            ;   in Loop: Header=BB275_547 Depth=1
	s_or_b32 exec_lo, exec_lo, s22
.LBB275_611:                            ;   in Loop: Header=BB275_547 Depth=1
	s_or_b32 exec_lo, exec_lo, s21
.LBB275_612:                            ;   in Loop: Header=BB275_547 Depth=1
	s_or_b32 exec_lo, exec_lo, s0
	v_or_b32_e32 v1, v37, v33
	v_fma_mixlo_f16 v10, v34, v37, 0 op_sel:[0,1,0] op_sel_hi:[0,1,0]
	v_or_b32_e32 v36, v35, v36
	v_fma_mixlo_f16 v35, v34, v35, 0 op_sel:[0,1,0] op_sel_hi:[0,1,0]
	v_or_b32_e32 v37, v41, v39
	v_fma_mixlo_f16 v1, v34, v1, 0 op_sel_hi:[0,1,0]
	v_or_b32_e32 v38, v9, v38
	v_fma_mixlo_f16 v9, v34, v9, 0 op_sel:[0,1,0] op_sel_hi:[0,1,0]
	v_lshlrev_b32_e32 v55, 16, v35
	v_fma_mixlo_f16 v35, v34, v41, 0 op_sel:[0,1,0] op_sel_hi:[0,1,0]
	v_and_b32_e32 v52, 0xffff, v1
	v_fma_mixlo_f16 v1, v34, v36, 0 op_sel_hi:[0,1,0]
	v_fma_mixlo_f16 v36, v34, v37, 0 op_sel_hi:[0,1,0]
	;; [unrolled: 1-line block ×3, first 2 shown]
	v_add_nc_u32_e32 v33, v29, v13
	v_lshlrev_b32_e32 v10, 16, v10
	v_and_b32_e32 v57, 0xffff, v1
	v_lshlrev_b32_e32 v53, 16, v35
	v_and_b32_e32 v56, 0xffff, v36
	;; [unrolled: 2-line block ×3, first 2 shown]
	v_cmp_eq_u32_e32 vcc_lo, s13, v32
	v_or_b32_e32 v1, v10, v52
	v_or_b32_e32 v9, v55, v57
	;; [unrolled: 1-line block ×4, first 2 shown]
	v_add_nc_u32_e32 v41, 1, v33
	v_add_nc_u32_e32 v39, 2, v33
	;; [unrolled: 1-line block ×7, first 2 shown]
	s_and_saveexec_b32 s21, vcc_lo
	s_cbranch_execz .LBB275_614
; %bb.613:                              ;   in Loop: Header=BB275_547 Depth=1
	v_cmp_gt_i32_e64 s0, s33, v33
	v_cndmask_b32_e64 v1, 0, v57, s0
	v_cmp_gt_i32_e64 s0, s33, v41
	v_cndmask_b32_e64 v9, 0, v55, s0
	v_cmp_gt_i32_e64 s0, s33, v39
	v_or_b32_e32 v9, v9, v1
	v_cndmask_b32_e64 v49, 0, v52, s0
	v_cmp_gt_i32_e64 s0, s33, v38
	v_cndmask_b32_e64 v10, 0, v10, s0
	v_cmp_gt_i32_e64 s0, s33, v37
	v_or_b32_e32 v1, v10, v49
	;; [unrolled: 5-line block ×3, first 2 shown]
	v_cndmask_b32_e64 v53, 0, v54, s0
	v_cmp_gt_i32_e64 s0, s33, v34
	v_cndmask_b32_e64 v50, 0, v50, s0
	v_or_b32_e32 v51, v50, v53
.LBB275_614:                            ;   in Loop: Header=BB275_547 Depth=1
	s_or_b32 exec_lo, exec_lo, s21
	v_and_b32_e32 v10, 0xffff, v40
	v_and_b32_e32 v40, 0xffff, v45
	;; [unrolled: 1-line block ×4, first 2 shown]
	v_lshl_or_b32 v46, v42, 16, v10
	v_lshl_or_b32 v45, v43, 16, v40
	;;#ASMSTART
	v_pk_mul_f16 v9, v46, v9;

	;;#ASMEND
	;;#ASMSTART
	v_pk_mul_f16 v1, v45, v1;

	;;#ASMEND
	v_lshl_or_b32 v44, v44, 16, v50
	v_lshl_or_b32 v43, v47, 16, v48
	;;#ASMSTART
	v_pk_mul_f16 v10, v44, v49;

	;;#ASMEND
	;;#ASMSTART
	v_pk_mul_f16 v40, v43, v51;

	;;#ASMEND
	;;#ASMSTART
	v_pk_add_f16 v1, v9, v1;

	;;#ASMEND
	;;#ASMSTART
	v_pk_add_f16 v1, v1, v10;
	;; [unrolled: 4-line block ×3, first 2 shown]

	;;#ASMEND
	v_and_b32_e32 v9, 0xffff, v1
	v_lshrrev_b32_e32 v1, 16, v1
	;;#ASMSTART
	v_cvt_f32_f16 v40, v9;
	;;#ASMEND
	;;#ASMSTART
	v_cvt_f32_f16 v42, v1;
	;;#ASMEND
	global_load_dwordx2 v[9:10], v[7:8], off offset:256
	v_mov_b32_e32 v48, 0
	v_mov_b32_e32 v49, 0
	global_load_dword v47, v48, s[14:15]
	s_waitcnt vmcnt(1)
	v_cmp_ne_u16_sdwa s0, v9, v2 src0_sel:BYTE_0 src1_sel:DWORD
	s_and_saveexec_b32 s21, s0
	s_cbranch_execz .LBB275_622
; %bb.615:                              ;   in Loop: Header=BB275_547 Depth=1
	v_cmp_ne_u16_sdwa s0, v9, v14 src0_sel:BYTE_0 src1_sel:DWORD
	v_mov_b32_e32 v49, 0x8000
	s_and_saveexec_b32 s22, s0
	s_cbranch_execz .LBB275_621
; %bb.616:                              ;   in Loop: Header=BB275_547 Depth=1
	v_and_b32_e32 v50, 0x7f, v9
	v_mov_b32_e32 v49, 0x7c01
	s_mov_b32 s26, exec_lo
	v_cmpx_ne_u32_e32 0x7f, v50
	s_cbranch_execz .LBB275_620
; %bb.617:                              ;   in Loop: Header=BB275_547 Depth=1
	v_and_b32_e32 v1, 7, v9
	v_lshrrev_b32_e32 v49, 3, v50
	s_mov_b32 s27, exec_lo
	v_cmpx_gt_u32_e32 8, v50
; %bb.618:                              ;   in Loop: Header=BB275_547 Depth=1
	v_ffbh_u32_e32 v1, v1
	v_min_u32_e32 v1, 32, v1
	v_subrev_nc_u32_e32 v49, 28, v1
	v_lshlrev_b64 v[50:51], v49, v[9:10]
	v_sub_nc_u32_e32 v49, 29, v1
	v_and_b32_e32 v1, 7, v50
; %bb.619:                              ;   in Loop: Header=BB275_547 Depth=1
	s_or_b32 exec_lo, exec_lo, s27
	v_lshlrev_b32_e32 v50, 8, v9
	v_lshl_add_u32 v49, v49, 10, 0x2000
	v_lshlrev_b32_e32 v1, 7, v1
	v_and_b32_e32 v50, 0x8000, v50
	v_and_b32_e32 v49, 0xfc00, v49
	v_or3_b32 v49, v50, v49, v1
.LBB275_620:                            ;   in Loop: Header=BB275_547 Depth=1
	s_or_b32 exec_lo, exec_lo, s26
.LBB275_621:                            ;   in Loop: Header=BB275_547 Depth=1
	s_or_b32 exec_lo, exec_lo, s22
.LBB275_622:                            ;   in Loop: Header=BB275_547 Depth=1
	s_or_b32 exec_lo, exec_lo, s21
	v_lshrrev_b16 v1, 8, v9
	s_mov_b32 s21, exec_lo
	v_cmpx_ne_u16_e32 0, v1
	s_cbranch_execz .LBB275_630
; %bb.623:                              ;   in Loop: Header=BB275_547 Depth=1
	v_bfrev_b32_e32 v48, 1
	s_mov_b32 s22, exec_lo
	v_cmpx_ne_u16_e32 0x80, v1
	s_cbranch_execz .LBB275_629
; %bb.624:                              ;   in Loop: Header=BB275_547 Depth=1
	v_and_b32_sdwa v51, v1, v26 dst_sel:DWORD dst_unused:UNUSED_PAD src0_sel:WORD_0 src1_sel:DWORD
	v_mov_b32_e32 v48, 0x7c010000
	s_mov_b32 s26, exec_lo
	v_cmpx_ne_u32_e32 0x7f, v51
	s_cbranch_execz .LBB275_628
; %bb.625:                              ;   in Loop: Header=BB275_547 Depth=1
	v_and_b32_sdwa v48, v1, v27 dst_sel:DWORD dst_unused:UNUSED_PAD src0_sel:WORD_0 src1_sel:DWORD
	v_lshrrev_b32_e32 v50, 3, v51
	s_mov_b32 s27, exec_lo
	v_cmpx_gt_u32_e32 8, v51
; %bb.626:                              ;   in Loop: Header=BB275_547 Depth=1
	v_ffbh_u32_e32 v48, v48
	v_min_u32_e32 v48, 32, v48
	v_subrev_nc_u32_e32 v50, 28, v48
	v_lshlrev_b64 v[51:52], v50, v[1:2]
	v_sub_nc_u32_e32 v50, 29, v48
	v_and_b32_e32 v48, 7, v51
; %bb.627:                              ;   in Loop: Header=BB275_547 Depth=1
	s_or_b32 exec_lo, exec_lo, s27
	v_lshlrev_b32_sdwa v1, v28, v1 dst_sel:DWORD dst_unused:UNUSED_PAD src0_sel:DWORD src1_sel:WORD_0
	v_lshl_add_u32 v50, v50, 10, 0x2000
	v_lshlrev_b32_e32 v48, 23, v48
	v_and_or_b32 v1, 0x8000, v1, v50
	v_lshl_or_b32 v48, v1, 16, v48
.LBB275_628:                            ;   in Loop: Header=BB275_547 Depth=1
	s_or_b32 exec_lo, exec_lo, s26
.LBB275_629:                            ;   in Loop: Header=BB275_547 Depth=1
	s_or_b32 exec_lo, exec_lo, s22
.LBB275_630:                            ;   in Loop: Header=BB275_547 Depth=1
	s_or_b32 exec_lo, exec_lo, s21
	v_lshrrev_b32_e32 v1, 16, v9
	v_mov_b32_e32 v50, 0
	v_mov_b32_e32 v51, 0
	v_cmp_ne_u16_sdwa s0, v1, v2 src0_sel:BYTE_0 src1_sel:DWORD
	s_and_saveexec_b32 s21, s0
	s_cbranch_execz .LBB275_638
; %bb.631:                              ;   in Loop: Header=BB275_547 Depth=1
	v_cmp_ne_u16_sdwa s0, v1, v14 src0_sel:BYTE_0 src1_sel:DWORD
	v_mov_b32_e32 v51, 0x8000
	s_and_saveexec_b32 s22, s0
	s_cbranch_execz .LBB275_637
; %bb.632:                              ;   in Loop: Header=BB275_547 Depth=1
	v_bfe_u32 v53, v9, 16, 7
	v_mov_b32_e32 v51, 0x7c01
	s_mov_b32 s26, exec_lo
	v_cmpx_ne_u32_e32 0x7f, v53
	s_cbranch_execz .LBB275_636
; %bb.633:                              ;   in Loop: Header=BB275_547 Depth=1
	v_and_b32_e32 v51, 7, v1
	v_lshrrev_b32_e32 v52, 3, v53
	s_mov_b32 s27, exec_lo
	v_cmpx_gt_u32_e32 8, v53
; %bb.634:                              ;   in Loop: Header=BB275_547 Depth=1
	v_ffbh_u32_e32 v51, v51
	v_min_u32_e32 v53, 32, v51
	v_subrev_nc_u32_e32 v51, 28, v53
	v_lshlrev_b64 v[51:52], v51, v[1:2]
	v_sub_nc_u32_e32 v52, 29, v53
	v_and_b32_e32 v51, 7, v51
; %bb.635:                              ;   in Loop: Header=BB275_547 Depth=1
	s_or_b32 exec_lo, exec_lo, s27
	v_lshlrev_b32_e32 v1, 8, v1
	v_lshl_add_u32 v52, v52, 10, 0x2000
	v_lshlrev_b32_e32 v51, 7, v51
	v_and_b32_e32 v1, 0x8000, v1
	v_and_b32_e32 v52, 0xfc00, v52
	v_or3_b32 v51, v1, v52, v51
.LBB275_636:                            ;   in Loop: Header=BB275_547 Depth=1
	s_or_b32 exec_lo, exec_lo, s26
.LBB275_637:                            ;   in Loop: Header=BB275_547 Depth=1
	s_or_b32 exec_lo, exec_lo, s22
.LBB275_638:                            ;   in Loop: Header=BB275_547 Depth=1
	s_or_b32 exec_lo, exec_lo, s21
	s_mov_b32 s21, exec_lo
	v_cmpx_lt_u32_e32 0xffffff, v9
	s_cbranch_execz .LBB275_646
; %bb.639:                              ;   in Loop: Header=BB275_547 Depth=1
	v_lshrrev_b32_e32 v1, 24, v9
	v_bfrev_b32_e32 v50, 1
	s_mov_b32 s22, exec_lo
	v_cmpx_ne_u32_e32 0x80, v1
	s_cbranch_execz .LBB275_645
; %bb.640:                              ;   in Loop: Header=BB275_547 Depth=1
	v_and_b32_e32 v53, 0x7f, v1
	v_mov_b32_e32 v50, 0x7c010000
	s_mov_b32 s26, exec_lo
	v_cmpx_ne_u32_e32 0x7f, v53
	s_cbranch_execz .LBB275_644
; %bb.641:                              ;   in Loop: Header=BB275_547 Depth=1
	v_and_b32_e32 v50, 7, v1
	v_lshrrev_b32_e32 v52, 3, v53
	s_mov_b32 s27, exec_lo
	v_cmpx_gt_u32_e32 8, v53
; %bb.642:                              ;   in Loop: Header=BB275_547 Depth=1
	v_ffbh_u32_e32 v50, v50
	v_min_u32_e32 v50, 32, v50
	v_subrev_nc_u32_e32 v52, 28, v50
	v_lshlrev_b64 v[53:54], v52, v[1:2]
	v_sub_nc_u32_e32 v52, 29, v50
	v_and_b32_e32 v50, 7, v53
; %bb.643:                              ;   in Loop: Header=BB275_547 Depth=1
	s_or_b32 exec_lo, exec_lo, s27
	v_lshlrev_b32_e32 v1, 8, v1
	v_lshl_add_u32 v52, v52, 10, 0x2000
	v_lshlrev_b32_e32 v50, 23, v50
	v_and_or_b32 v1, 0x8000, v1, v52
	v_lshl_or_b32 v50, v1, 16, v50
.LBB275_644:                            ;   in Loop: Header=BB275_547 Depth=1
	s_or_b32 exec_lo, exec_lo, s26
.LBB275_645:                            ;   in Loop: Header=BB275_547 Depth=1
	s_or_b32 exec_lo, exec_lo, s22
.LBB275_646:                            ;   in Loop: Header=BB275_547 Depth=1
	s_or_b32 exec_lo, exec_lo, s21
	v_mov_b32_e32 v1, v10
	v_cmp_ne_u16_sdwa s0, v10, v2 src0_sel:BYTE_0 src1_sel:DWORD
	v_mov_b32_e32 v52, 0
	v_mov_b32_e32 v53, 0
	s_and_saveexec_b32 s21, s0
	s_cbranch_execz .LBB275_654
; %bb.647:                              ;   in Loop: Header=BB275_547 Depth=1
	v_cmp_ne_u16_sdwa s0, v10, v14 src0_sel:BYTE_0 src1_sel:DWORD
	v_mov_b32_e32 v53, 0x8000
	s_and_saveexec_b32 s22, s0
	s_cbranch_execz .LBB275_653
; %bb.648:                              ;   in Loop: Header=BB275_547 Depth=1
	v_and_b32_e32 v55, 0x7f, v10
	v_mov_b32_e32 v53, 0x7c01
	s_mov_b32 s26, exec_lo
	v_cmpx_ne_u32_e32 0x7f, v55
	s_cbranch_execz .LBB275_652
; %bb.649:                              ;   in Loop: Header=BB275_547 Depth=1
	v_and_b32_e32 v53, 7, v10
	v_lshrrev_b32_e32 v54, 3, v55
	s_mov_b32 s27, exec_lo
	v_cmpx_gt_u32_e32 8, v55
; %bb.650:                              ;   in Loop: Header=BB275_547 Depth=1
	v_ffbh_u32_e32 v53, v53
	v_min_u32_e32 v55, 32, v53
	v_subrev_nc_u32_e32 v53, 28, v55
	v_lshlrev_b64 v[53:54], v53, v[1:2]
	v_sub_nc_u32_e32 v54, 29, v55
	v_and_b32_e32 v53, 7, v53
; %bb.651:                              ;   in Loop: Header=BB275_547 Depth=1
	s_or_b32 exec_lo, exec_lo, s27
	v_lshlrev_b32_e32 v55, 8, v10
	v_lshl_add_u32 v54, v54, 10, 0x2000
	v_lshlrev_b32_e32 v53, 7, v53
	v_and_b32_e32 v55, 0x8000, v55
	v_and_b32_e32 v54, 0xfc00, v54
	v_or3_b32 v53, v55, v54, v53
.LBB275_652:                            ;   in Loop: Header=BB275_547 Depth=1
	s_or_b32 exec_lo, exec_lo, s26
.LBB275_653:                            ;   in Loop: Header=BB275_547 Depth=1
	s_or_b32 exec_lo, exec_lo, s22
.LBB275_654:                            ;   in Loop: Header=BB275_547 Depth=1
	s_or_b32 exec_lo, exec_lo, s21
	v_lshrrev_b16 v1, 8, v1
	v_mov_b32_e32 v54, 0
	s_mov_b32 s21, exec_lo
	v_cmpx_ne_u16_e32 0, v1
	s_cbranch_execz .LBB275_662
; %bb.655:                              ;   in Loop: Header=BB275_547 Depth=1
	v_bfrev_b32_e32 v54, 1
	s_mov_b32 s22, exec_lo
	v_cmpx_ne_u16_e32 0x80, v1
	s_cbranch_execz .LBB275_661
; %bb.656:                              ;   in Loop: Header=BB275_547 Depth=1
	v_and_b32_sdwa v56, v1, v26 dst_sel:DWORD dst_unused:UNUSED_PAD src0_sel:WORD_0 src1_sel:DWORD
	v_mov_b32_e32 v54, 0x7c010000
	s_mov_b32 s26, exec_lo
	v_cmpx_ne_u32_e32 0x7f, v56
	s_cbranch_execz .LBB275_660
; %bb.657:                              ;   in Loop: Header=BB275_547 Depth=1
	v_and_b32_sdwa v54, v1, v27 dst_sel:DWORD dst_unused:UNUSED_PAD src0_sel:WORD_0 src1_sel:DWORD
	v_lshrrev_b32_e32 v55, 3, v56
	s_mov_b32 s27, exec_lo
	v_cmpx_gt_u32_e32 8, v56
; %bb.658:                              ;   in Loop: Header=BB275_547 Depth=1
	v_ffbh_u32_e32 v54, v54
	v_min_u32_e32 v56, 32, v54
	v_subrev_nc_u32_e32 v54, 28, v56
	v_lshlrev_b64 v[54:55], v54, v[1:2]
	v_sub_nc_u32_e32 v55, 29, v56
	v_and_b32_e32 v54, 7, v54
; %bb.659:                              ;   in Loop: Header=BB275_547 Depth=1
	s_or_b32 exec_lo, exec_lo, s27
	v_lshlrev_b32_sdwa v1, v28, v1 dst_sel:DWORD dst_unused:UNUSED_PAD src0_sel:DWORD src1_sel:WORD_0
	v_lshl_add_u32 v55, v55, 10, 0x2000
	v_lshlrev_b32_e32 v54, 23, v54
	v_and_or_b32 v1, 0x8000, v1, v55
	v_lshl_or_b32 v54, v1, 16, v54
.LBB275_660:                            ;   in Loop: Header=BB275_547 Depth=1
	s_or_b32 exec_lo, exec_lo, s26
.LBB275_661:                            ;   in Loop: Header=BB275_547 Depth=1
	s_or_b32 exec_lo, exec_lo, s22
.LBB275_662:                            ;   in Loop: Header=BB275_547 Depth=1
	s_or_b32 exec_lo, exec_lo, s21
	v_lshrrev_b32_e32 v1, 16, v10
	v_cmp_ne_u16_sdwa s0, v1, v2 src0_sel:BYTE_0 src1_sel:DWORD
	s_and_saveexec_b32 s21, s0
	s_cbranch_execz .LBB275_670
; %bb.663:                              ;   in Loop: Header=BB275_547 Depth=1
	v_cmp_ne_u16_sdwa s0, v1, v14 src0_sel:BYTE_0 src1_sel:DWORD
	v_mov_b32_e32 v52, 0x8000
	s_and_saveexec_b32 s22, s0
	s_cbranch_execz .LBB275_669
; %bb.664:                              ;   in Loop: Header=BB275_547 Depth=1
	v_bfe_u32 v56, v10, 16, 7
	v_mov_b32_e32 v52, 0x7c01
	s_mov_b32 s26, exec_lo
	v_cmpx_ne_u32_e32 0x7f, v56
	s_cbranch_execz .LBB275_668
; %bb.665:                              ;   in Loop: Header=BB275_547 Depth=1
	v_and_b32_e32 v52, 7, v1
	v_lshrrev_b32_e32 v55, 3, v56
	s_mov_b32 s27, exec_lo
	v_cmpx_gt_u32_e32 8, v56
; %bb.666:                              ;   in Loop: Header=BB275_547 Depth=1
	v_ffbh_u32_e32 v52, v52
	v_min_u32_e32 v52, 32, v52
	v_subrev_nc_u32_e32 v55, 28, v52
	v_lshlrev_b64 v[56:57], v55, v[1:2]
	v_sub_nc_u32_e32 v55, 29, v52
	v_and_b32_e32 v52, 7, v56
; %bb.667:                              ;   in Loop: Header=BB275_547 Depth=1
	s_or_b32 exec_lo, exec_lo, s27
	v_lshlrev_b32_e32 v1, 8, v1
	v_lshl_add_u32 v55, v55, 10, 0x2000
	v_lshlrev_b32_e32 v52, 7, v52
	v_and_b32_e32 v1, 0x8000, v1
	v_and_b32_e32 v55, 0xfc00, v55
	v_or3_b32 v52, v1, v55, v52
.LBB275_668:                            ;   in Loop: Header=BB275_547 Depth=1
	s_or_b32 exec_lo, exec_lo, s26
.LBB275_669:                            ;   in Loop: Header=BB275_547 Depth=1
	s_or_b32 exec_lo, exec_lo, s22
.LBB275_670:                            ;   in Loop: Header=BB275_547 Depth=1
	s_or_b32 exec_lo, exec_lo, s21
	v_cmp_lt_u64_e64 s0, s[2:3], v[9:10]
	v_mov_b32_e32 v9, 0
	s_and_saveexec_b32 s21, s0
	s_cbranch_execz .LBB275_678
; %bb.671:                              ;   in Loop: Header=BB275_547 Depth=1
	v_lshrrev_b32_e32 v1, 24, v10
	v_bfrev_b32_e32 v9, 1
	s_mov_b32 s22, exec_lo
	v_cmpx_ne_u32_e32 0x80, v1
	s_cbranch_execz .LBB275_677
; %bb.672:                              ;   in Loop: Header=BB275_547 Depth=1
	v_and_b32_e32 v55, 0x7f, v1
	v_mov_b32_e32 v9, 0x7c010000
	s_mov_b32 s26, exec_lo
	v_cmpx_ne_u32_e32 0x7f, v55
	s_cbranch_execz .LBB275_676
; %bb.673:                              ;   in Loop: Header=BB275_547 Depth=1
	v_and_b32_e32 v9, 7, v1
	v_lshrrev_b32_e32 v10, 3, v55
	s_mov_b32 s27, exec_lo
	v_cmpx_gt_u32_e32 8, v55
; %bb.674:                              ;   in Loop: Header=BB275_547 Depth=1
	v_ffbh_u32_e32 v9, v9
	v_min_u32_e32 v55, 32, v9
	v_subrev_nc_u32_e32 v9, 28, v55
	v_lshlrev_b64 v[9:10], v9, v[1:2]
	v_sub_nc_u32_e32 v10, 29, v55
	v_and_b32_e32 v9, 7, v9
; %bb.675:                              ;   in Loop: Header=BB275_547 Depth=1
	s_or_b32 exec_lo, exec_lo, s27
	v_lshlrev_b32_e32 v1, 8, v1
	v_lshl_add_u32 v10, v10, 10, 0x2000
	v_lshlrev_b32_e32 v9, 23, v9
	v_and_or_b32 v1, 0x8000, v1, v10
	v_lshl_or_b32 v9, v1, 16, v9
.LBB275_676:                            ;   in Loop: Header=BB275_547 Depth=1
	s_or_b32 exec_lo, exec_lo, s26
.LBB275_677:                            ;   in Loop: Header=BB275_547 Depth=1
	s_or_b32 exec_lo, exec_lo, s22
.LBB275_678:                            ;   in Loop: Header=BB275_547 Depth=1
	s_or_b32 exec_lo, exec_lo, s21
	v_or_b32_e32 v1, v50, v51
	s_waitcnt vmcnt(0)
	v_fma_mixlo_f16 v10, v47, v50, 0 op_sel:[0,1,0] op_sel_hi:[0,1,0]
	v_or_b32_e32 v50, v48, v49
	v_fma_mixlo_f16 v48, v47, v48, 0 op_sel:[0,1,0] op_sel_hi:[0,1,0]
	v_or_b32_e32 v51, v54, v53
	v_or_b32_e32 v52, v9, v52
	v_fma_mixlo_f16 v53, v47, v1, 0 op_sel_hi:[0,1,0]
	v_fma_mixlo_f16 v9, v47, v9, 0 op_sel:[0,1,0] op_sel_hi:[0,1,0]
	v_lshlrev_b32_e32 v49, 16, v48
	v_fma_mixlo_f16 v48, v47, v50, 0 op_sel_hi:[0,1,0]
	v_fma_mixlo_f16 v50, v47, v54, 0 op_sel:[0,1,0] op_sel_hi:[0,1,0]
	v_fma_mixlo_f16 v51, v47, v51, 0 op_sel_hi:[0,1,0]
	v_fma_mixlo_f16 v52, v47, v52, 0 op_sel_hi:[0,1,0]
	v_lshlrev_b32_e32 v1, 16, v10
	v_and_b32_e32 v10, 0xffff, v53
	v_and_b32_e32 v55, 0xffff, v48
	v_lshlrev_b32_e32 v47, 16, v50
	v_and_b32_e32 v51, 0xffff, v51
	v_lshlrev_b32_e32 v9, 16, v9
	v_and_b32_e32 v48, 0xffff, v52
	v_or_b32_e32 v50, v1, v10
	v_or_b32_e32 v54, v49, v55
	;; [unrolled: 1-line block ×4, first 2 shown]
	s_and_saveexec_b32 s21, vcc_lo
	s_cbranch_execz .LBB275_680
; %bb.679:                              ;   in Loop: Header=BB275_547 Depth=1
	v_cmp_gt_i32_e64 s0, s33, v33
	v_cndmask_b32_e64 v50, 0, v55, s0
	v_cmp_gt_i32_e64 s0, s33, v41
	v_cndmask_b32_e64 v49, 0, v49, s0
	v_cmp_gt_i32_e64 s0, s33, v39
	v_or_b32_e32 v54, v49, v50
	v_cndmask_b32_e64 v10, 0, v10, s0
	v_cmp_gt_i32_e64 s0, s33, v38
	v_cndmask_b32_e64 v1, 0, v1, s0
	v_cmp_gt_i32_e64 s0, s33, v37
	v_or_b32_e32 v50, v1, v10
	;; [unrolled: 5-line block ×3, first 2 shown]
	v_cndmask_b32_e64 v48, 0, v48, s0
	v_cmp_gt_i32_e64 s0, s33, v34
	v_cndmask_b32_e64 v9, 0, v9, s0
	v_or_b32_e32 v52, v9, v48
.LBB275_680:                            ;   in Loop: Header=BB275_547 Depth=1
	s_or_b32 exec_lo, exec_lo, s21
	;;#ASMSTART
	v_pk_mul_f16 v1, v46, v54;

	;;#ASMEND
	;;#ASMSTART
	v_pk_mul_f16 v9, v45, v50;

	;;#ASMEND
	;; [unrolled: 4-line block ×4, first 2 shown]
	;;#ASMSTART
	v_pk_add_f16 v1, v1, v9;

	;;#ASMEND
	;;#ASMSTART
	v_pk_add_f16 v1, v1, v10;

	;;#ASMEND
	;; [unrolled: 4-line block ×3, first 2 shown]
	v_and_b32_e32 v9, 0xffff, v1
	v_lshrrev_b32_e32 v1, 16, v1
	;;#ASMSTART
	v_cvt_f32_f16 v47, v9;
	;;#ASMEND
	;;#ASMSTART
	v_cvt_f32_f16 v48, v1;
	;;#ASMEND
	global_load_dwordx2 v[9:10], v[7:8], off offset:512
	v_mov_b32_e32 v50, 0
	v_mov_b32_e32 v51, 0
	global_load_dword v49, v50, s[14:15]
	s_waitcnt vmcnt(1)
	v_cmp_ne_u16_sdwa s0, v9, v2 src0_sel:BYTE_0 src1_sel:DWORD
	s_and_saveexec_b32 s21, s0
	s_cbranch_execz .LBB275_688
; %bb.681:                              ;   in Loop: Header=BB275_547 Depth=1
	v_cmp_ne_u16_sdwa s0, v9, v14 src0_sel:BYTE_0 src1_sel:DWORD
	v_mov_b32_e32 v51, 0x8000
	s_and_saveexec_b32 s22, s0
	s_cbranch_execz .LBB275_687
; %bb.682:                              ;   in Loop: Header=BB275_547 Depth=1
	v_and_b32_e32 v52, 0x7f, v9
	v_mov_b32_e32 v51, 0x7c01
	s_mov_b32 s26, exec_lo
	v_cmpx_ne_u32_e32 0x7f, v52
	s_cbranch_execz .LBB275_686
; %bb.683:                              ;   in Loop: Header=BB275_547 Depth=1
	v_and_b32_e32 v1, 7, v9
	v_lshrrev_b32_e32 v51, 3, v52
	s_mov_b32 s27, exec_lo
	v_cmpx_gt_u32_e32 8, v52
; %bb.684:                              ;   in Loop: Header=BB275_547 Depth=1
	v_ffbh_u32_e32 v1, v1
	v_min_u32_e32 v1, 32, v1
	v_subrev_nc_u32_e32 v51, 28, v1
	v_lshlrev_b64 v[52:53], v51, v[9:10]
	v_sub_nc_u32_e32 v51, 29, v1
	v_and_b32_e32 v1, 7, v52
; %bb.685:                              ;   in Loop: Header=BB275_547 Depth=1
	s_or_b32 exec_lo, exec_lo, s27
	v_lshlrev_b32_e32 v52, 8, v9
	v_lshl_add_u32 v51, v51, 10, 0x2000
	v_lshlrev_b32_e32 v1, 7, v1
	v_and_b32_e32 v52, 0x8000, v52
	v_and_b32_e32 v51, 0xfc00, v51
	v_or3_b32 v51, v52, v51, v1
.LBB275_686:                            ;   in Loop: Header=BB275_547 Depth=1
	s_or_b32 exec_lo, exec_lo, s26
.LBB275_687:                            ;   in Loop: Header=BB275_547 Depth=1
	s_or_b32 exec_lo, exec_lo, s22
.LBB275_688:                            ;   in Loop: Header=BB275_547 Depth=1
	s_or_b32 exec_lo, exec_lo, s21
	v_lshrrev_b16 v1, 8, v9
	s_mov_b32 s21, exec_lo
	v_cmpx_ne_u16_e32 0, v1
	s_cbranch_execz .LBB275_696
; %bb.689:                              ;   in Loop: Header=BB275_547 Depth=1
	v_bfrev_b32_e32 v50, 1
	s_mov_b32 s22, exec_lo
	v_cmpx_ne_u16_e32 0x80, v1
	s_cbranch_execz .LBB275_695
; %bb.690:                              ;   in Loop: Header=BB275_547 Depth=1
	v_and_b32_sdwa v53, v1, v26 dst_sel:DWORD dst_unused:UNUSED_PAD src0_sel:WORD_0 src1_sel:DWORD
	v_mov_b32_e32 v50, 0x7c010000
	s_mov_b32 s26, exec_lo
	v_cmpx_ne_u32_e32 0x7f, v53
	s_cbranch_execz .LBB275_694
; %bb.691:                              ;   in Loop: Header=BB275_547 Depth=1
	v_and_b32_sdwa v50, v1, v27 dst_sel:DWORD dst_unused:UNUSED_PAD src0_sel:WORD_0 src1_sel:DWORD
	v_lshrrev_b32_e32 v52, 3, v53
	s_mov_b32 s27, exec_lo
	v_cmpx_gt_u32_e32 8, v53
; %bb.692:                              ;   in Loop: Header=BB275_547 Depth=1
	v_ffbh_u32_e32 v50, v50
	v_min_u32_e32 v50, 32, v50
	v_subrev_nc_u32_e32 v52, 28, v50
	v_lshlrev_b64 v[53:54], v52, v[1:2]
	v_sub_nc_u32_e32 v52, 29, v50
	v_and_b32_e32 v50, 7, v53
; %bb.693:                              ;   in Loop: Header=BB275_547 Depth=1
	s_or_b32 exec_lo, exec_lo, s27
	v_lshlrev_b32_sdwa v1, v28, v1 dst_sel:DWORD dst_unused:UNUSED_PAD src0_sel:DWORD src1_sel:WORD_0
	v_lshl_add_u32 v52, v52, 10, 0x2000
	v_lshlrev_b32_e32 v50, 23, v50
	v_and_or_b32 v1, 0x8000, v1, v52
	v_lshl_or_b32 v50, v1, 16, v50
.LBB275_694:                            ;   in Loop: Header=BB275_547 Depth=1
	s_or_b32 exec_lo, exec_lo, s26
.LBB275_695:                            ;   in Loop: Header=BB275_547 Depth=1
	s_or_b32 exec_lo, exec_lo, s22
.LBB275_696:                            ;   in Loop: Header=BB275_547 Depth=1
	s_or_b32 exec_lo, exec_lo, s21
	v_lshrrev_b32_e32 v1, 16, v9
	v_mov_b32_e32 v52, 0
	v_mov_b32_e32 v53, 0
	v_cmp_ne_u16_sdwa s0, v1, v2 src0_sel:BYTE_0 src1_sel:DWORD
	s_and_saveexec_b32 s21, s0
	s_cbranch_execz .LBB275_704
; %bb.697:                              ;   in Loop: Header=BB275_547 Depth=1
	v_cmp_ne_u16_sdwa s0, v1, v14 src0_sel:BYTE_0 src1_sel:DWORD
	v_mov_b32_e32 v53, 0x8000
	s_and_saveexec_b32 s22, s0
	s_cbranch_execz .LBB275_703
; %bb.698:                              ;   in Loop: Header=BB275_547 Depth=1
	v_bfe_u32 v55, v9, 16, 7
	v_mov_b32_e32 v53, 0x7c01
	s_mov_b32 s26, exec_lo
	v_cmpx_ne_u32_e32 0x7f, v55
	s_cbranch_execz .LBB275_702
; %bb.699:                              ;   in Loop: Header=BB275_547 Depth=1
	v_and_b32_e32 v53, 7, v1
	v_lshrrev_b32_e32 v54, 3, v55
	s_mov_b32 s27, exec_lo
	v_cmpx_gt_u32_e32 8, v55
; %bb.700:                              ;   in Loop: Header=BB275_547 Depth=1
	v_ffbh_u32_e32 v53, v53
	v_min_u32_e32 v55, 32, v53
	v_subrev_nc_u32_e32 v53, 28, v55
	v_lshlrev_b64 v[53:54], v53, v[1:2]
	v_sub_nc_u32_e32 v54, 29, v55
	v_and_b32_e32 v53, 7, v53
; %bb.701:                              ;   in Loop: Header=BB275_547 Depth=1
	s_or_b32 exec_lo, exec_lo, s27
	v_lshlrev_b32_e32 v1, 8, v1
	v_lshl_add_u32 v54, v54, 10, 0x2000
	v_lshlrev_b32_e32 v53, 7, v53
	v_and_b32_e32 v1, 0x8000, v1
	v_and_b32_e32 v54, 0xfc00, v54
	v_or3_b32 v53, v1, v54, v53
.LBB275_702:                            ;   in Loop: Header=BB275_547 Depth=1
	s_or_b32 exec_lo, exec_lo, s26
.LBB275_703:                            ;   in Loop: Header=BB275_547 Depth=1
	s_or_b32 exec_lo, exec_lo, s22
.LBB275_704:                            ;   in Loop: Header=BB275_547 Depth=1
	s_or_b32 exec_lo, exec_lo, s21
	s_mov_b32 s21, exec_lo
	v_cmpx_lt_u32_e32 0xffffff, v9
	s_cbranch_execz .LBB275_712
; %bb.705:                              ;   in Loop: Header=BB275_547 Depth=1
	v_lshrrev_b32_e32 v1, 24, v9
	v_bfrev_b32_e32 v52, 1
	s_mov_b32 s22, exec_lo
	v_cmpx_ne_u32_e32 0x80, v1
	s_cbranch_execz .LBB275_711
; %bb.706:                              ;   in Loop: Header=BB275_547 Depth=1
	v_and_b32_e32 v55, 0x7f, v1
	v_mov_b32_e32 v52, 0x7c010000
	s_mov_b32 s26, exec_lo
	v_cmpx_ne_u32_e32 0x7f, v55
	s_cbranch_execz .LBB275_710
; %bb.707:                              ;   in Loop: Header=BB275_547 Depth=1
	v_and_b32_e32 v52, 7, v1
	v_lshrrev_b32_e32 v54, 3, v55
	s_mov_b32 s27, exec_lo
	v_cmpx_gt_u32_e32 8, v55
; %bb.708:                              ;   in Loop: Header=BB275_547 Depth=1
	v_ffbh_u32_e32 v52, v52
	v_min_u32_e32 v52, 32, v52
	v_subrev_nc_u32_e32 v54, 28, v52
	v_lshlrev_b64 v[55:56], v54, v[1:2]
	v_sub_nc_u32_e32 v54, 29, v52
	v_and_b32_e32 v52, 7, v55
; %bb.709:                              ;   in Loop: Header=BB275_547 Depth=1
	s_or_b32 exec_lo, exec_lo, s27
	v_lshlrev_b32_e32 v1, 8, v1
	v_lshl_add_u32 v54, v54, 10, 0x2000
	v_lshlrev_b32_e32 v52, 23, v52
	v_and_or_b32 v1, 0x8000, v1, v54
	v_lshl_or_b32 v52, v1, 16, v52
.LBB275_710:                            ;   in Loop: Header=BB275_547 Depth=1
	s_or_b32 exec_lo, exec_lo, s26
.LBB275_711:                            ;   in Loop: Header=BB275_547 Depth=1
	s_or_b32 exec_lo, exec_lo, s22
.LBB275_712:                            ;   in Loop: Header=BB275_547 Depth=1
	s_or_b32 exec_lo, exec_lo, s21
	v_mov_b32_e32 v1, v10
	v_cmp_ne_u16_sdwa s0, v10, v2 src0_sel:BYTE_0 src1_sel:DWORD
	v_mov_b32_e32 v54, 0
	v_mov_b32_e32 v55, 0
	s_and_saveexec_b32 s21, s0
	s_cbranch_execz .LBB275_720
; %bb.713:                              ;   in Loop: Header=BB275_547 Depth=1
	v_cmp_ne_u16_sdwa s0, v10, v14 src0_sel:BYTE_0 src1_sel:DWORD
	v_mov_b32_e32 v55, 0x8000
	s_and_saveexec_b32 s22, s0
	s_cbranch_execz .LBB275_719
; %bb.714:                              ;   in Loop: Header=BB275_547 Depth=1
	v_and_b32_e32 v57, 0x7f, v10
	v_mov_b32_e32 v55, 0x7c01
	s_mov_b32 s26, exec_lo
	v_cmpx_ne_u32_e32 0x7f, v57
	s_cbranch_execz .LBB275_718
; %bb.715:                              ;   in Loop: Header=BB275_547 Depth=1
	v_and_b32_e32 v55, 7, v10
	v_lshrrev_b32_e32 v56, 3, v57
	s_mov_b32 s27, exec_lo
	v_cmpx_gt_u32_e32 8, v57
; %bb.716:                              ;   in Loop: Header=BB275_547 Depth=1
	v_ffbh_u32_e32 v55, v55
	v_min_u32_e32 v57, 32, v55
	v_subrev_nc_u32_e32 v55, 28, v57
	v_lshlrev_b64 v[55:56], v55, v[1:2]
	v_sub_nc_u32_e32 v56, 29, v57
	v_and_b32_e32 v55, 7, v55
; %bb.717:                              ;   in Loop: Header=BB275_547 Depth=1
	s_or_b32 exec_lo, exec_lo, s27
	v_lshlrev_b32_e32 v57, 8, v10
	v_lshl_add_u32 v56, v56, 10, 0x2000
	v_lshlrev_b32_e32 v55, 7, v55
	v_and_b32_e32 v57, 0x8000, v57
	v_and_b32_e32 v56, 0xfc00, v56
	v_or3_b32 v55, v57, v56, v55
.LBB275_718:                            ;   in Loop: Header=BB275_547 Depth=1
	s_or_b32 exec_lo, exec_lo, s26
.LBB275_719:                            ;   in Loop: Header=BB275_547 Depth=1
	s_or_b32 exec_lo, exec_lo, s22
.LBB275_720:                            ;   in Loop: Header=BB275_547 Depth=1
	s_or_b32 exec_lo, exec_lo, s21
	v_lshrrev_b16 v1, 8, v1
	v_mov_b32_e32 v56, 0
	s_mov_b32 s21, exec_lo
	v_cmpx_ne_u16_e32 0, v1
	s_cbranch_execz .LBB275_728
; %bb.721:                              ;   in Loop: Header=BB275_547 Depth=1
	v_bfrev_b32_e32 v56, 1
	s_mov_b32 s22, exec_lo
	v_cmpx_ne_u16_e32 0x80, v1
	s_cbranch_execz .LBB275_727
; %bb.722:                              ;   in Loop: Header=BB275_547 Depth=1
	v_and_b32_sdwa v58, v1, v26 dst_sel:DWORD dst_unused:UNUSED_PAD src0_sel:WORD_0 src1_sel:DWORD
	v_mov_b32_e32 v56, 0x7c010000
	s_mov_b32 s26, exec_lo
	v_cmpx_ne_u32_e32 0x7f, v58
	s_cbranch_execz .LBB275_726
; %bb.723:                              ;   in Loop: Header=BB275_547 Depth=1
	v_and_b32_sdwa v56, v1, v27 dst_sel:DWORD dst_unused:UNUSED_PAD src0_sel:WORD_0 src1_sel:DWORD
	v_lshrrev_b32_e32 v57, 3, v58
	s_mov_b32 s27, exec_lo
	v_cmpx_gt_u32_e32 8, v58
; %bb.724:                              ;   in Loop: Header=BB275_547 Depth=1
	v_ffbh_u32_e32 v56, v56
	v_min_u32_e32 v58, 32, v56
	v_subrev_nc_u32_e32 v56, 28, v58
	v_lshlrev_b64 v[56:57], v56, v[1:2]
	v_sub_nc_u32_e32 v57, 29, v58
	v_and_b32_e32 v56, 7, v56
; %bb.725:                              ;   in Loop: Header=BB275_547 Depth=1
	s_or_b32 exec_lo, exec_lo, s27
	v_lshlrev_b32_sdwa v1, v28, v1 dst_sel:DWORD dst_unused:UNUSED_PAD src0_sel:DWORD src1_sel:WORD_0
	v_lshl_add_u32 v57, v57, 10, 0x2000
	v_lshlrev_b32_e32 v56, 23, v56
	v_and_or_b32 v1, 0x8000, v1, v57
	v_lshl_or_b32 v56, v1, 16, v56
.LBB275_726:                            ;   in Loop: Header=BB275_547 Depth=1
	s_or_b32 exec_lo, exec_lo, s26
.LBB275_727:                            ;   in Loop: Header=BB275_547 Depth=1
	s_or_b32 exec_lo, exec_lo, s22
.LBB275_728:                            ;   in Loop: Header=BB275_547 Depth=1
	s_or_b32 exec_lo, exec_lo, s21
	v_lshrrev_b32_e32 v1, 16, v10
	v_cmp_ne_u16_sdwa s0, v1, v2 src0_sel:BYTE_0 src1_sel:DWORD
	s_and_saveexec_b32 s21, s0
	s_cbranch_execz .LBB275_736
; %bb.729:                              ;   in Loop: Header=BB275_547 Depth=1
	v_cmp_ne_u16_sdwa s0, v1, v14 src0_sel:BYTE_0 src1_sel:DWORD
	v_mov_b32_e32 v54, 0x8000
	s_and_saveexec_b32 s22, s0
	s_cbranch_execz .LBB275_735
; %bb.730:                              ;   in Loop: Header=BB275_547 Depth=1
	v_bfe_u32 v58, v10, 16, 7
	v_mov_b32_e32 v54, 0x7c01
	s_mov_b32 s26, exec_lo
	v_cmpx_ne_u32_e32 0x7f, v58
	s_cbranch_execz .LBB275_734
; %bb.731:                              ;   in Loop: Header=BB275_547 Depth=1
	v_and_b32_e32 v54, 7, v1
	v_lshrrev_b32_e32 v57, 3, v58
	s_mov_b32 s27, exec_lo
	v_cmpx_gt_u32_e32 8, v58
; %bb.732:                              ;   in Loop: Header=BB275_547 Depth=1
	v_ffbh_u32_e32 v54, v54
	v_min_u32_e32 v54, 32, v54
	v_subrev_nc_u32_e32 v57, 28, v54
	v_lshlrev_b64 v[58:59], v57, v[1:2]
	v_sub_nc_u32_e32 v57, 29, v54
	v_and_b32_e32 v54, 7, v58
; %bb.733:                              ;   in Loop: Header=BB275_547 Depth=1
	s_or_b32 exec_lo, exec_lo, s27
	v_lshlrev_b32_e32 v1, 8, v1
	v_lshl_add_u32 v57, v57, 10, 0x2000
	v_lshlrev_b32_e32 v54, 7, v54
	v_and_b32_e32 v1, 0x8000, v1
	v_and_b32_e32 v57, 0xfc00, v57
	v_or3_b32 v54, v1, v57, v54
.LBB275_734:                            ;   in Loop: Header=BB275_547 Depth=1
	s_or_b32 exec_lo, exec_lo, s26
.LBB275_735:                            ;   in Loop: Header=BB275_547 Depth=1
	s_or_b32 exec_lo, exec_lo, s22
.LBB275_736:                            ;   in Loop: Header=BB275_547 Depth=1
	s_or_b32 exec_lo, exec_lo, s21
	v_cmp_lt_u64_e64 s0, s[2:3], v[9:10]
	v_mov_b32_e32 v9, 0
	s_and_saveexec_b32 s21, s0
	s_cbranch_execz .LBB275_744
; %bb.737:                              ;   in Loop: Header=BB275_547 Depth=1
	v_lshrrev_b32_e32 v1, 24, v10
	v_bfrev_b32_e32 v9, 1
	s_mov_b32 s22, exec_lo
	v_cmpx_ne_u32_e32 0x80, v1
	s_cbranch_execz .LBB275_743
; %bb.738:                              ;   in Loop: Header=BB275_547 Depth=1
	v_and_b32_e32 v57, 0x7f, v1
	v_mov_b32_e32 v9, 0x7c010000
	s_mov_b32 s26, exec_lo
	v_cmpx_ne_u32_e32 0x7f, v57
	s_cbranch_execz .LBB275_742
; %bb.739:                              ;   in Loop: Header=BB275_547 Depth=1
	v_and_b32_e32 v9, 7, v1
	v_lshrrev_b32_e32 v10, 3, v57
	s_mov_b32 s27, exec_lo
	v_cmpx_gt_u32_e32 8, v57
; %bb.740:                              ;   in Loop: Header=BB275_547 Depth=1
	v_ffbh_u32_e32 v9, v9
	v_min_u32_e32 v57, 32, v9
	v_subrev_nc_u32_e32 v9, 28, v57
	v_lshlrev_b64 v[9:10], v9, v[1:2]
	v_sub_nc_u32_e32 v10, 29, v57
	v_and_b32_e32 v9, 7, v9
; %bb.741:                              ;   in Loop: Header=BB275_547 Depth=1
	s_or_b32 exec_lo, exec_lo, s27
	v_lshlrev_b32_e32 v1, 8, v1
	v_lshl_add_u32 v10, v10, 10, 0x2000
	v_lshlrev_b32_e32 v9, 23, v9
	v_and_or_b32 v1, 0x8000, v1, v10
	v_lshl_or_b32 v9, v1, 16, v9
.LBB275_742:                            ;   in Loop: Header=BB275_547 Depth=1
	s_or_b32 exec_lo, exec_lo, s26
.LBB275_743:                            ;   in Loop: Header=BB275_547 Depth=1
	s_or_b32 exec_lo, exec_lo, s22
.LBB275_744:                            ;   in Loop: Header=BB275_547 Depth=1
	s_or_b32 exec_lo, exec_lo, s21
	v_or_b32_e32 v1, v52, v53
	s_waitcnt vmcnt(0)
	v_fma_mixlo_f16 v10, v49, v52, 0 op_sel:[0,1,0] op_sel_hi:[0,1,0]
	v_or_b32_e32 v52, v50, v51
	v_fma_mixlo_f16 v50, v49, v50, 0 op_sel:[0,1,0] op_sel_hi:[0,1,0]
	v_or_b32_e32 v53, v56, v55
	v_or_b32_e32 v54, v9, v54
	v_fma_mixlo_f16 v55, v49, v1, 0 op_sel_hi:[0,1,0]
	v_fma_mixlo_f16 v9, v49, v9, 0 op_sel:[0,1,0] op_sel_hi:[0,1,0]
	v_lshlrev_b32_e32 v51, 16, v50
	v_fma_mixlo_f16 v50, v49, v52, 0 op_sel_hi:[0,1,0]
	v_fma_mixlo_f16 v52, v49, v56, 0 op_sel:[0,1,0] op_sel_hi:[0,1,0]
	v_fma_mixlo_f16 v53, v49, v53, 0 op_sel_hi:[0,1,0]
	v_fma_mixlo_f16 v54, v49, v54, 0 op_sel_hi:[0,1,0]
	v_lshlrev_b32_e32 v1, 16, v10
	v_and_b32_e32 v10, 0xffff, v55
	v_and_b32_e32 v57, 0xffff, v50
	v_lshlrev_b32_e32 v49, 16, v52
	v_and_b32_e32 v53, 0xffff, v53
	v_lshlrev_b32_e32 v9, 16, v9
	v_and_b32_e32 v50, 0xffff, v54
	v_or_b32_e32 v52, v1, v10
	v_or_b32_e32 v56, v51, v57
	;; [unrolled: 1-line block ×4, first 2 shown]
	s_and_saveexec_b32 s21, vcc_lo
	s_cbranch_execz .LBB275_746
; %bb.745:                              ;   in Loop: Header=BB275_547 Depth=1
	v_cmp_gt_i32_e64 s0, s33, v33
	v_cndmask_b32_e64 v52, 0, v57, s0
	v_cmp_gt_i32_e64 s0, s33, v41
	v_cndmask_b32_e64 v51, 0, v51, s0
	v_cmp_gt_i32_e64 s0, s33, v39
	v_or_b32_e32 v56, v51, v52
	v_cndmask_b32_e64 v10, 0, v10, s0
	v_cmp_gt_i32_e64 s0, s33, v38
	v_cndmask_b32_e64 v1, 0, v1, s0
	v_cmp_gt_i32_e64 s0, s33, v37
	v_or_b32_e32 v52, v1, v10
	;; [unrolled: 5-line block ×3, first 2 shown]
	v_cndmask_b32_e64 v50, 0, v50, s0
	v_cmp_gt_i32_e64 s0, s33, v34
	v_cndmask_b32_e64 v9, 0, v9, s0
	v_or_b32_e32 v54, v9, v50
.LBB275_746:                            ;   in Loop: Header=BB275_547 Depth=1
	s_or_b32 exec_lo, exec_lo, s21
	;;#ASMSTART
	v_pk_mul_f16 v1, v46, v56;

	;;#ASMEND
	;;#ASMSTART
	v_pk_mul_f16 v9, v45, v52;

	;;#ASMEND
	;; [unrolled: 4-line block ×4, first 2 shown]
	;;#ASMSTART
	v_pk_add_f16 v1, v1, v9;

	;;#ASMEND
	;;#ASMSTART
	v_pk_add_f16 v1, v1, v10;

	;;#ASMEND
	;; [unrolled: 4-line block ×3, first 2 shown]
	v_and_b32_e32 v9, 0xffff, v1
	v_lshrrev_b32_e32 v1, 16, v1
	;;#ASMSTART
	v_cvt_f32_f16 v49, v9;
	;;#ASMEND
	;;#ASMSTART
	v_cvt_f32_f16 v50, v1;
	;;#ASMEND
	global_load_dwordx2 v[9:10], v[7:8], off offset:768
	v_mov_b32_e32 v52, 0
	v_mov_b32_e32 v53, 0
	global_load_dword v51, v52, s[14:15]
	s_waitcnt vmcnt(1)
	v_cmp_ne_u16_sdwa s0, v9, v2 src0_sel:BYTE_0 src1_sel:DWORD
	s_and_saveexec_b32 s21, s0
	s_cbranch_execz .LBB275_754
; %bb.747:                              ;   in Loop: Header=BB275_547 Depth=1
	v_cmp_ne_u16_sdwa s0, v9, v14 src0_sel:BYTE_0 src1_sel:DWORD
	v_mov_b32_e32 v53, 0x8000
	s_and_saveexec_b32 s22, s0
	s_cbranch_execz .LBB275_753
; %bb.748:                              ;   in Loop: Header=BB275_547 Depth=1
	v_and_b32_e32 v54, 0x7f, v9
	v_mov_b32_e32 v53, 0x7c01
	s_mov_b32 s26, exec_lo
	v_cmpx_ne_u32_e32 0x7f, v54
	s_cbranch_execz .LBB275_752
; %bb.749:                              ;   in Loop: Header=BB275_547 Depth=1
	v_and_b32_e32 v1, 7, v9
	v_lshrrev_b32_e32 v53, 3, v54
	s_mov_b32 s27, exec_lo
	v_cmpx_gt_u32_e32 8, v54
; %bb.750:                              ;   in Loop: Header=BB275_547 Depth=1
	v_ffbh_u32_e32 v1, v1
	v_min_u32_e32 v1, 32, v1
	v_subrev_nc_u32_e32 v53, 28, v1
	v_lshlrev_b64 v[54:55], v53, v[9:10]
	v_sub_nc_u32_e32 v53, 29, v1
	v_and_b32_e32 v1, 7, v54
; %bb.751:                              ;   in Loop: Header=BB275_547 Depth=1
	s_or_b32 exec_lo, exec_lo, s27
	v_lshlrev_b32_e32 v54, 8, v9
	v_lshl_add_u32 v53, v53, 10, 0x2000
	v_lshlrev_b32_e32 v1, 7, v1
	v_and_b32_e32 v54, 0x8000, v54
	v_and_b32_e32 v53, 0xfc00, v53
	v_or3_b32 v53, v54, v53, v1
.LBB275_752:                            ;   in Loop: Header=BB275_547 Depth=1
	s_or_b32 exec_lo, exec_lo, s26
.LBB275_753:                            ;   in Loop: Header=BB275_547 Depth=1
	s_or_b32 exec_lo, exec_lo, s22
.LBB275_754:                            ;   in Loop: Header=BB275_547 Depth=1
	s_or_b32 exec_lo, exec_lo, s21
	v_lshrrev_b16 v1, 8, v9
	s_mov_b32 s21, exec_lo
	v_cmpx_ne_u16_e32 0, v1
	s_cbranch_execz .LBB275_762
; %bb.755:                              ;   in Loop: Header=BB275_547 Depth=1
	v_bfrev_b32_e32 v52, 1
	s_mov_b32 s22, exec_lo
	v_cmpx_ne_u16_e32 0x80, v1
	s_cbranch_execz .LBB275_761
; %bb.756:                              ;   in Loop: Header=BB275_547 Depth=1
	v_and_b32_sdwa v55, v1, v26 dst_sel:DWORD dst_unused:UNUSED_PAD src0_sel:WORD_0 src1_sel:DWORD
	v_mov_b32_e32 v52, 0x7c010000
	s_mov_b32 s26, exec_lo
	v_cmpx_ne_u32_e32 0x7f, v55
	s_cbranch_execz .LBB275_760
; %bb.757:                              ;   in Loop: Header=BB275_547 Depth=1
	v_and_b32_sdwa v52, v1, v27 dst_sel:DWORD dst_unused:UNUSED_PAD src0_sel:WORD_0 src1_sel:DWORD
	v_lshrrev_b32_e32 v54, 3, v55
	s_mov_b32 s27, exec_lo
	v_cmpx_gt_u32_e32 8, v55
; %bb.758:                              ;   in Loop: Header=BB275_547 Depth=1
	v_ffbh_u32_e32 v52, v52
	v_min_u32_e32 v52, 32, v52
	v_subrev_nc_u32_e32 v54, 28, v52
	v_lshlrev_b64 v[55:56], v54, v[1:2]
	v_sub_nc_u32_e32 v54, 29, v52
	v_and_b32_e32 v52, 7, v55
; %bb.759:                              ;   in Loop: Header=BB275_547 Depth=1
	s_or_b32 exec_lo, exec_lo, s27
	v_lshlrev_b32_sdwa v1, v28, v1 dst_sel:DWORD dst_unused:UNUSED_PAD src0_sel:DWORD src1_sel:WORD_0
	v_lshl_add_u32 v54, v54, 10, 0x2000
	v_lshlrev_b32_e32 v52, 23, v52
	v_and_or_b32 v1, 0x8000, v1, v54
	v_lshl_or_b32 v52, v1, 16, v52
.LBB275_760:                            ;   in Loop: Header=BB275_547 Depth=1
	s_or_b32 exec_lo, exec_lo, s26
.LBB275_761:                            ;   in Loop: Header=BB275_547 Depth=1
	s_or_b32 exec_lo, exec_lo, s22
.LBB275_762:                            ;   in Loop: Header=BB275_547 Depth=1
	s_or_b32 exec_lo, exec_lo, s21
	v_lshrrev_b32_e32 v1, 16, v9
	v_mov_b32_e32 v54, 0
	v_mov_b32_e32 v55, 0
	v_cmp_ne_u16_sdwa s0, v1, v2 src0_sel:BYTE_0 src1_sel:DWORD
	s_and_saveexec_b32 s21, s0
	s_cbranch_execz .LBB275_770
; %bb.763:                              ;   in Loop: Header=BB275_547 Depth=1
	v_cmp_ne_u16_sdwa s0, v1, v14 src0_sel:BYTE_0 src1_sel:DWORD
	v_mov_b32_e32 v55, 0x8000
	s_and_saveexec_b32 s22, s0
	s_cbranch_execz .LBB275_769
; %bb.764:                              ;   in Loop: Header=BB275_547 Depth=1
	v_bfe_u32 v57, v9, 16, 7
	v_mov_b32_e32 v55, 0x7c01
	s_mov_b32 s26, exec_lo
	v_cmpx_ne_u32_e32 0x7f, v57
	s_cbranch_execz .LBB275_768
; %bb.765:                              ;   in Loop: Header=BB275_547 Depth=1
	v_and_b32_e32 v55, 7, v1
	v_lshrrev_b32_e32 v56, 3, v57
	s_mov_b32 s27, exec_lo
	v_cmpx_gt_u32_e32 8, v57
; %bb.766:                              ;   in Loop: Header=BB275_547 Depth=1
	v_ffbh_u32_e32 v55, v55
	v_min_u32_e32 v57, 32, v55
	v_subrev_nc_u32_e32 v55, 28, v57
	v_lshlrev_b64 v[55:56], v55, v[1:2]
	v_sub_nc_u32_e32 v56, 29, v57
	v_and_b32_e32 v55, 7, v55
; %bb.767:                              ;   in Loop: Header=BB275_547 Depth=1
	s_or_b32 exec_lo, exec_lo, s27
	v_lshlrev_b32_e32 v1, 8, v1
	v_lshl_add_u32 v56, v56, 10, 0x2000
	v_lshlrev_b32_e32 v55, 7, v55
	v_and_b32_e32 v1, 0x8000, v1
	v_and_b32_e32 v56, 0xfc00, v56
	v_or3_b32 v55, v1, v56, v55
.LBB275_768:                            ;   in Loop: Header=BB275_547 Depth=1
	s_or_b32 exec_lo, exec_lo, s26
.LBB275_769:                            ;   in Loop: Header=BB275_547 Depth=1
	s_or_b32 exec_lo, exec_lo, s22
.LBB275_770:                            ;   in Loop: Header=BB275_547 Depth=1
	s_or_b32 exec_lo, exec_lo, s21
	s_mov_b32 s21, exec_lo
	v_cmpx_lt_u32_e32 0xffffff, v9
	s_cbranch_execz .LBB275_778
; %bb.771:                              ;   in Loop: Header=BB275_547 Depth=1
	v_lshrrev_b32_e32 v1, 24, v9
	v_bfrev_b32_e32 v54, 1
	s_mov_b32 s22, exec_lo
	v_cmpx_ne_u32_e32 0x80, v1
	s_cbranch_execz .LBB275_777
; %bb.772:                              ;   in Loop: Header=BB275_547 Depth=1
	v_and_b32_e32 v57, 0x7f, v1
	v_mov_b32_e32 v54, 0x7c010000
	s_mov_b32 s26, exec_lo
	v_cmpx_ne_u32_e32 0x7f, v57
	s_cbranch_execz .LBB275_776
; %bb.773:                              ;   in Loop: Header=BB275_547 Depth=1
	v_and_b32_e32 v54, 7, v1
	v_lshrrev_b32_e32 v56, 3, v57
	s_mov_b32 s27, exec_lo
	v_cmpx_gt_u32_e32 8, v57
; %bb.774:                              ;   in Loop: Header=BB275_547 Depth=1
	v_ffbh_u32_e32 v54, v54
	v_min_u32_e32 v54, 32, v54
	v_subrev_nc_u32_e32 v56, 28, v54
	v_lshlrev_b64 v[57:58], v56, v[1:2]
	v_sub_nc_u32_e32 v56, 29, v54
	v_and_b32_e32 v54, 7, v57
; %bb.775:                              ;   in Loop: Header=BB275_547 Depth=1
	s_or_b32 exec_lo, exec_lo, s27
	v_lshlrev_b32_e32 v1, 8, v1
	v_lshl_add_u32 v56, v56, 10, 0x2000
	v_lshlrev_b32_e32 v54, 23, v54
	v_and_or_b32 v1, 0x8000, v1, v56
	v_lshl_or_b32 v54, v1, 16, v54
.LBB275_776:                            ;   in Loop: Header=BB275_547 Depth=1
	s_or_b32 exec_lo, exec_lo, s26
.LBB275_777:                            ;   in Loop: Header=BB275_547 Depth=1
	s_or_b32 exec_lo, exec_lo, s22
.LBB275_778:                            ;   in Loop: Header=BB275_547 Depth=1
	s_or_b32 exec_lo, exec_lo, s21
	v_mov_b32_e32 v1, v10
	v_cmp_ne_u16_sdwa s0, v10, v2 src0_sel:BYTE_0 src1_sel:DWORD
	v_mov_b32_e32 v56, 0
	v_mov_b32_e32 v57, 0
	s_and_saveexec_b32 s21, s0
	s_cbranch_execz .LBB275_786
; %bb.779:                              ;   in Loop: Header=BB275_547 Depth=1
	v_cmp_ne_u16_sdwa s0, v10, v14 src0_sel:BYTE_0 src1_sel:DWORD
	v_mov_b32_e32 v57, 0x8000
	s_and_saveexec_b32 s22, s0
	s_cbranch_execz .LBB275_785
; %bb.780:                              ;   in Loop: Header=BB275_547 Depth=1
	v_and_b32_e32 v59, 0x7f, v10
	v_mov_b32_e32 v57, 0x7c01
	s_mov_b32 s26, exec_lo
	v_cmpx_ne_u32_e32 0x7f, v59
	s_cbranch_execz .LBB275_784
; %bb.781:                              ;   in Loop: Header=BB275_547 Depth=1
	v_and_b32_e32 v57, 7, v10
	v_lshrrev_b32_e32 v58, 3, v59
	s_mov_b32 s27, exec_lo
	v_cmpx_gt_u32_e32 8, v59
; %bb.782:                              ;   in Loop: Header=BB275_547 Depth=1
	v_ffbh_u32_e32 v57, v57
	v_min_u32_e32 v59, 32, v57
	v_subrev_nc_u32_e32 v57, 28, v59
	v_lshlrev_b64 v[57:58], v57, v[1:2]
	v_sub_nc_u32_e32 v58, 29, v59
	v_and_b32_e32 v57, 7, v57
; %bb.783:                              ;   in Loop: Header=BB275_547 Depth=1
	s_or_b32 exec_lo, exec_lo, s27
	v_lshlrev_b32_e32 v59, 8, v10
	v_lshl_add_u32 v58, v58, 10, 0x2000
	v_lshlrev_b32_e32 v57, 7, v57
	v_and_b32_e32 v59, 0x8000, v59
	v_and_b32_e32 v58, 0xfc00, v58
	v_or3_b32 v57, v59, v58, v57
.LBB275_784:                            ;   in Loop: Header=BB275_547 Depth=1
	s_or_b32 exec_lo, exec_lo, s26
.LBB275_785:                            ;   in Loop: Header=BB275_547 Depth=1
	s_or_b32 exec_lo, exec_lo, s22
.LBB275_786:                            ;   in Loop: Header=BB275_547 Depth=1
	s_or_b32 exec_lo, exec_lo, s21
	v_lshrrev_b16 v1, 8, v1
	v_mov_b32_e32 v58, 0
	s_mov_b32 s21, exec_lo
	v_cmpx_ne_u16_e32 0, v1
	s_cbranch_execz .LBB275_794
; %bb.787:                              ;   in Loop: Header=BB275_547 Depth=1
	v_bfrev_b32_e32 v58, 1
	s_mov_b32 s22, exec_lo
	v_cmpx_ne_u16_e32 0x80, v1
	s_cbranch_execz .LBB275_793
; %bb.788:                              ;   in Loop: Header=BB275_547 Depth=1
	v_and_b32_sdwa v60, v1, v26 dst_sel:DWORD dst_unused:UNUSED_PAD src0_sel:WORD_0 src1_sel:DWORD
	v_mov_b32_e32 v58, 0x7c010000
	s_mov_b32 s26, exec_lo
	v_cmpx_ne_u32_e32 0x7f, v60
	s_cbranch_execz .LBB275_792
; %bb.789:                              ;   in Loop: Header=BB275_547 Depth=1
	v_and_b32_sdwa v58, v1, v27 dst_sel:DWORD dst_unused:UNUSED_PAD src0_sel:WORD_0 src1_sel:DWORD
	v_lshrrev_b32_e32 v59, 3, v60
	s_mov_b32 s27, exec_lo
	v_cmpx_gt_u32_e32 8, v60
; %bb.790:                              ;   in Loop: Header=BB275_547 Depth=1
	v_ffbh_u32_e32 v58, v58
	v_min_u32_e32 v60, 32, v58
	v_subrev_nc_u32_e32 v58, 28, v60
	v_lshlrev_b64 v[58:59], v58, v[1:2]
	v_sub_nc_u32_e32 v59, 29, v60
	v_and_b32_e32 v58, 7, v58
; %bb.791:                              ;   in Loop: Header=BB275_547 Depth=1
	s_or_b32 exec_lo, exec_lo, s27
	v_lshlrev_b32_sdwa v1, v28, v1 dst_sel:DWORD dst_unused:UNUSED_PAD src0_sel:DWORD src1_sel:WORD_0
	v_lshl_add_u32 v59, v59, 10, 0x2000
	v_lshlrev_b32_e32 v58, 23, v58
	v_and_or_b32 v1, 0x8000, v1, v59
	v_lshl_or_b32 v58, v1, 16, v58
.LBB275_792:                            ;   in Loop: Header=BB275_547 Depth=1
	s_or_b32 exec_lo, exec_lo, s26
.LBB275_793:                            ;   in Loop: Header=BB275_547 Depth=1
	s_or_b32 exec_lo, exec_lo, s22
.LBB275_794:                            ;   in Loop: Header=BB275_547 Depth=1
	s_or_b32 exec_lo, exec_lo, s21
	v_lshrrev_b32_e32 v1, 16, v10
	v_cmp_ne_u16_sdwa s0, v1, v2 src0_sel:BYTE_0 src1_sel:DWORD
	s_and_saveexec_b32 s21, s0
	s_cbranch_execz .LBB275_802
; %bb.795:                              ;   in Loop: Header=BB275_547 Depth=1
	v_cmp_ne_u16_sdwa s0, v1, v14 src0_sel:BYTE_0 src1_sel:DWORD
	v_mov_b32_e32 v56, 0x8000
	s_and_saveexec_b32 s22, s0
	s_cbranch_execz .LBB275_801
; %bb.796:                              ;   in Loop: Header=BB275_547 Depth=1
	v_bfe_u32 v60, v10, 16, 7
	v_mov_b32_e32 v56, 0x7c01
	s_mov_b32 s26, exec_lo
	v_cmpx_ne_u32_e32 0x7f, v60
	s_cbranch_execz .LBB275_800
; %bb.797:                              ;   in Loop: Header=BB275_547 Depth=1
	v_and_b32_e32 v56, 7, v1
	v_lshrrev_b32_e32 v59, 3, v60
	s_mov_b32 s27, exec_lo
	v_cmpx_gt_u32_e32 8, v60
; %bb.798:                              ;   in Loop: Header=BB275_547 Depth=1
	v_ffbh_u32_e32 v56, v56
	v_min_u32_e32 v56, 32, v56
	v_subrev_nc_u32_e32 v59, 28, v56
	v_lshlrev_b64 v[60:61], v59, v[1:2]
	v_sub_nc_u32_e32 v59, 29, v56
	v_and_b32_e32 v56, 7, v60
; %bb.799:                              ;   in Loop: Header=BB275_547 Depth=1
	s_or_b32 exec_lo, exec_lo, s27
	v_lshlrev_b32_e32 v1, 8, v1
	v_lshl_add_u32 v59, v59, 10, 0x2000
	v_lshlrev_b32_e32 v56, 7, v56
	v_and_b32_e32 v1, 0x8000, v1
	v_and_b32_e32 v59, 0xfc00, v59
	v_or3_b32 v56, v1, v59, v56
.LBB275_800:                            ;   in Loop: Header=BB275_547 Depth=1
	s_or_b32 exec_lo, exec_lo, s26
.LBB275_801:                            ;   in Loop: Header=BB275_547 Depth=1
	s_or_b32 exec_lo, exec_lo, s22
.LBB275_802:                            ;   in Loop: Header=BB275_547 Depth=1
	s_or_b32 exec_lo, exec_lo, s21
	v_cmp_lt_u64_e64 s0, s[2:3], v[9:10]
	v_mov_b32_e32 v9, 0
	s_and_saveexec_b32 s21, s0
	s_cbranch_execz .LBB275_810
; %bb.803:                              ;   in Loop: Header=BB275_547 Depth=1
	v_lshrrev_b32_e32 v1, 24, v10
	v_bfrev_b32_e32 v9, 1
	s_mov_b32 s22, exec_lo
	v_cmpx_ne_u32_e32 0x80, v1
	s_cbranch_execz .LBB275_809
; %bb.804:                              ;   in Loop: Header=BB275_547 Depth=1
	v_and_b32_e32 v59, 0x7f, v1
	v_mov_b32_e32 v9, 0x7c010000
	s_mov_b32 s26, exec_lo
	v_cmpx_ne_u32_e32 0x7f, v59
	s_cbranch_execz .LBB275_808
; %bb.805:                              ;   in Loop: Header=BB275_547 Depth=1
	v_and_b32_e32 v9, 7, v1
	v_lshrrev_b32_e32 v10, 3, v59
	s_mov_b32 s27, exec_lo
	v_cmpx_gt_u32_e32 8, v59
; %bb.806:                              ;   in Loop: Header=BB275_547 Depth=1
	v_ffbh_u32_e32 v9, v9
	v_min_u32_e32 v59, 32, v9
	v_subrev_nc_u32_e32 v9, 28, v59
	v_lshlrev_b64 v[9:10], v9, v[1:2]
	v_sub_nc_u32_e32 v10, 29, v59
	v_and_b32_e32 v9, 7, v9
; %bb.807:                              ;   in Loop: Header=BB275_547 Depth=1
	s_or_b32 exec_lo, exec_lo, s27
	v_lshlrev_b32_e32 v1, 8, v1
	v_lshl_add_u32 v10, v10, 10, 0x2000
	v_lshlrev_b32_e32 v9, 23, v9
	v_and_or_b32 v1, 0x8000, v1, v10
	v_lshl_or_b32 v9, v1, 16, v9
.LBB275_808:                            ;   in Loop: Header=BB275_547 Depth=1
	s_or_b32 exec_lo, exec_lo, s26
.LBB275_809:                            ;   in Loop: Header=BB275_547 Depth=1
	s_or_b32 exec_lo, exec_lo, s22
.LBB275_810:                            ;   in Loop: Header=BB275_547 Depth=1
	s_or_b32 exec_lo, exec_lo, s21
	v_or_b32_e32 v1, v54, v55
	s_waitcnt vmcnt(0)
	v_fma_mixlo_f16 v10, v51, v54, 0 op_sel:[0,1,0] op_sel_hi:[0,1,0]
	v_or_b32_e32 v54, v52, v53
	v_fma_mixlo_f16 v52, v51, v52, 0 op_sel:[0,1,0] op_sel_hi:[0,1,0]
	v_or_b32_e32 v55, v58, v57
	v_or_b32_e32 v56, v9, v56
	v_fma_mixlo_f16 v57, v51, v1, 0 op_sel_hi:[0,1,0]
	v_fma_mixlo_f16 v9, v51, v9, 0 op_sel:[0,1,0] op_sel_hi:[0,1,0]
	v_lshlrev_b32_e32 v53, 16, v52
	v_fma_mixlo_f16 v52, v51, v54, 0 op_sel_hi:[0,1,0]
	v_fma_mixlo_f16 v54, v51, v58, 0 op_sel:[0,1,0] op_sel_hi:[0,1,0]
	v_fma_mixlo_f16 v55, v51, v55, 0 op_sel_hi:[0,1,0]
	v_fma_mixlo_f16 v56, v51, v56, 0 op_sel_hi:[0,1,0]
	v_lshlrev_b32_e32 v1, 16, v10
	v_and_b32_e32 v10, 0xffff, v57
	v_and_b32_e32 v59, 0xffff, v52
	v_lshlrev_b32_e32 v51, 16, v54
	v_and_b32_e32 v55, 0xffff, v55
	v_lshlrev_b32_e32 v9, 16, v9
	v_and_b32_e32 v52, 0xffff, v56
	v_or_b32_e32 v54, v1, v10
	v_or_b32_e32 v58, v53, v59
	;; [unrolled: 1-line block ×4, first 2 shown]
	s_and_saveexec_b32 s21, vcc_lo
	s_cbranch_execz .LBB275_812
; %bb.811:                              ;   in Loop: Header=BB275_547 Depth=1
	v_cmp_gt_i32_e64 s0, s33, v33
	v_cndmask_b32_e64 v54, 0, v59, s0
	v_cmp_gt_i32_e64 s0, s33, v41
	v_cndmask_b32_e64 v53, 0, v53, s0
	v_cmp_gt_i32_e64 s0, s33, v39
	v_or_b32_e32 v58, v53, v54
	v_cndmask_b32_e64 v10, 0, v10, s0
	v_cmp_gt_i32_e64 s0, s33, v38
	v_cndmask_b32_e64 v1, 0, v1, s0
	v_cmp_gt_i32_e64 s0, s33, v37
	v_or_b32_e32 v54, v1, v10
	;; [unrolled: 5-line block ×3, first 2 shown]
	v_cndmask_b32_e64 v52, 0, v52, s0
	v_cmp_gt_i32_e64 s0, s33, v34
	v_cndmask_b32_e64 v9, 0, v9, s0
	v_or_b32_e32 v56, v9, v52
.LBB275_812:                            ;   in Loop: Header=BB275_547 Depth=1
	s_or_b32 exec_lo, exec_lo, s21
	;;#ASMSTART
	v_pk_mul_f16 v1, v46, v58;

	;;#ASMEND
	;;#ASMSTART
	v_pk_mul_f16 v9, v45, v54;

	;;#ASMEND
	;; [unrolled: 4-line block ×4, first 2 shown]
	;;#ASMSTART
	v_pk_add_f16 v1, v1, v9;

	;;#ASMEND
	;;#ASMSTART
	v_pk_add_f16 v1, v1, v10;

	;;#ASMEND
	;; [unrolled: 4-line block ×3, first 2 shown]
	v_and_b32_e32 v9, 0xffff, v1
	v_lshrrev_b32_e32 v1, 16, v1
	;;#ASMSTART
	v_cvt_f32_f16 v51, v9;
	;;#ASMEND
	;;#ASMSTART
	v_cvt_f32_f16 v52, v1;
	;;#ASMEND
	global_load_dwordx2 v[9:10], v[7:8], off offset:1024
	v_mov_b32_e32 v54, 0
	v_mov_b32_e32 v55, 0
	global_load_dword v53, v54, s[14:15]
	s_waitcnt vmcnt(1)
	v_cmp_ne_u16_sdwa s0, v9, v2 src0_sel:BYTE_0 src1_sel:DWORD
	s_and_saveexec_b32 s21, s0
	s_cbranch_execz .LBB275_820
; %bb.813:                              ;   in Loop: Header=BB275_547 Depth=1
	v_cmp_ne_u16_sdwa s0, v9, v14 src0_sel:BYTE_0 src1_sel:DWORD
	v_mov_b32_e32 v55, 0x8000
	s_and_saveexec_b32 s22, s0
	s_cbranch_execz .LBB275_819
; %bb.814:                              ;   in Loop: Header=BB275_547 Depth=1
	v_and_b32_e32 v56, 0x7f, v9
	v_mov_b32_e32 v55, 0x7c01
	s_mov_b32 s26, exec_lo
	v_cmpx_ne_u32_e32 0x7f, v56
	s_cbranch_execz .LBB275_818
; %bb.815:                              ;   in Loop: Header=BB275_547 Depth=1
	v_and_b32_e32 v1, 7, v9
	v_lshrrev_b32_e32 v55, 3, v56
	s_mov_b32 s27, exec_lo
	v_cmpx_gt_u32_e32 8, v56
; %bb.816:                              ;   in Loop: Header=BB275_547 Depth=1
	v_ffbh_u32_e32 v1, v1
	v_min_u32_e32 v1, 32, v1
	v_subrev_nc_u32_e32 v55, 28, v1
	v_lshlrev_b64 v[56:57], v55, v[9:10]
	v_sub_nc_u32_e32 v55, 29, v1
	v_and_b32_e32 v1, 7, v56
; %bb.817:                              ;   in Loop: Header=BB275_547 Depth=1
	s_or_b32 exec_lo, exec_lo, s27
	v_lshlrev_b32_e32 v56, 8, v9
	v_lshl_add_u32 v55, v55, 10, 0x2000
	v_lshlrev_b32_e32 v1, 7, v1
	v_and_b32_e32 v56, 0x8000, v56
	v_and_b32_e32 v55, 0xfc00, v55
	v_or3_b32 v55, v56, v55, v1
.LBB275_818:                            ;   in Loop: Header=BB275_547 Depth=1
	s_or_b32 exec_lo, exec_lo, s26
.LBB275_819:                            ;   in Loop: Header=BB275_547 Depth=1
	s_or_b32 exec_lo, exec_lo, s22
.LBB275_820:                            ;   in Loop: Header=BB275_547 Depth=1
	s_or_b32 exec_lo, exec_lo, s21
	v_lshrrev_b16 v1, 8, v9
	s_mov_b32 s21, exec_lo
	v_cmpx_ne_u16_e32 0, v1
	s_cbranch_execz .LBB275_828
; %bb.821:                              ;   in Loop: Header=BB275_547 Depth=1
	v_bfrev_b32_e32 v54, 1
	s_mov_b32 s22, exec_lo
	v_cmpx_ne_u16_e32 0x80, v1
	s_cbranch_execz .LBB275_827
; %bb.822:                              ;   in Loop: Header=BB275_547 Depth=1
	v_and_b32_sdwa v57, v1, v26 dst_sel:DWORD dst_unused:UNUSED_PAD src0_sel:WORD_0 src1_sel:DWORD
	v_mov_b32_e32 v54, 0x7c010000
	s_mov_b32 s26, exec_lo
	v_cmpx_ne_u32_e32 0x7f, v57
	s_cbranch_execz .LBB275_826
; %bb.823:                              ;   in Loop: Header=BB275_547 Depth=1
	v_and_b32_sdwa v54, v1, v27 dst_sel:DWORD dst_unused:UNUSED_PAD src0_sel:WORD_0 src1_sel:DWORD
	v_lshrrev_b32_e32 v56, 3, v57
	s_mov_b32 s27, exec_lo
	v_cmpx_gt_u32_e32 8, v57
; %bb.824:                              ;   in Loop: Header=BB275_547 Depth=1
	v_ffbh_u32_e32 v54, v54
	v_min_u32_e32 v54, 32, v54
	v_subrev_nc_u32_e32 v56, 28, v54
	v_lshlrev_b64 v[57:58], v56, v[1:2]
	v_sub_nc_u32_e32 v56, 29, v54
	v_and_b32_e32 v54, 7, v57
; %bb.825:                              ;   in Loop: Header=BB275_547 Depth=1
	s_or_b32 exec_lo, exec_lo, s27
	v_lshlrev_b32_sdwa v1, v28, v1 dst_sel:DWORD dst_unused:UNUSED_PAD src0_sel:DWORD src1_sel:WORD_0
	v_lshl_add_u32 v56, v56, 10, 0x2000
	v_lshlrev_b32_e32 v54, 23, v54
	v_and_or_b32 v1, 0x8000, v1, v56
	v_lshl_or_b32 v54, v1, 16, v54
.LBB275_826:                            ;   in Loop: Header=BB275_547 Depth=1
	s_or_b32 exec_lo, exec_lo, s26
.LBB275_827:                            ;   in Loop: Header=BB275_547 Depth=1
	s_or_b32 exec_lo, exec_lo, s22
.LBB275_828:                            ;   in Loop: Header=BB275_547 Depth=1
	s_or_b32 exec_lo, exec_lo, s21
	v_lshrrev_b32_e32 v1, 16, v9
	v_mov_b32_e32 v56, 0
	v_mov_b32_e32 v57, 0
	v_cmp_ne_u16_sdwa s0, v1, v2 src0_sel:BYTE_0 src1_sel:DWORD
	s_and_saveexec_b32 s21, s0
	s_cbranch_execz .LBB275_836
; %bb.829:                              ;   in Loop: Header=BB275_547 Depth=1
	v_cmp_ne_u16_sdwa s0, v1, v14 src0_sel:BYTE_0 src1_sel:DWORD
	v_mov_b32_e32 v57, 0x8000
	s_and_saveexec_b32 s22, s0
	s_cbranch_execz .LBB275_835
; %bb.830:                              ;   in Loop: Header=BB275_547 Depth=1
	v_bfe_u32 v59, v9, 16, 7
	v_mov_b32_e32 v57, 0x7c01
	s_mov_b32 s26, exec_lo
	v_cmpx_ne_u32_e32 0x7f, v59
	s_cbranch_execz .LBB275_834
; %bb.831:                              ;   in Loop: Header=BB275_547 Depth=1
	v_and_b32_e32 v57, 7, v1
	v_lshrrev_b32_e32 v58, 3, v59
	s_mov_b32 s27, exec_lo
	v_cmpx_gt_u32_e32 8, v59
; %bb.832:                              ;   in Loop: Header=BB275_547 Depth=1
	v_ffbh_u32_e32 v57, v57
	v_min_u32_e32 v59, 32, v57
	v_subrev_nc_u32_e32 v57, 28, v59
	v_lshlrev_b64 v[57:58], v57, v[1:2]
	v_sub_nc_u32_e32 v58, 29, v59
	v_and_b32_e32 v57, 7, v57
; %bb.833:                              ;   in Loop: Header=BB275_547 Depth=1
	s_or_b32 exec_lo, exec_lo, s27
	v_lshlrev_b32_e32 v1, 8, v1
	v_lshl_add_u32 v58, v58, 10, 0x2000
	v_lshlrev_b32_e32 v57, 7, v57
	v_and_b32_e32 v1, 0x8000, v1
	v_and_b32_e32 v58, 0xfc00, v58
	v_or3_b32 v57, v1, v58, v57
.LBB275_834:                            ;   in Loop: Header=BB275_547 Depth=1
	s_or_b32 exec_lo, exec_lo, s26
.LBB275_835:                            ;   in Loop: Header=BB275_547 Depth=1
	s_or_b32 exec_lo, exec_lo, s22
.LBB275_836:                            ;   in Loop: Header=BB275_547 Depth=1
	s_or_b32 exec_lo, exec_lo, s21
	s_mov_b32 s21, exec_lo
	v_cmpx_lt_u32_e32 0xffffff, v9
	s_cbranch_execz .LBB275_844
; %bb.837:                              ;   in Loop: Header=BB275_547 Depth=1
	v_lshrrev_b32_e32 v1, 24, v9
	v_bfrev_b32_e32 v56, 1
	s_mov_b32 s22, exec_lo
	v_cmpx_ne_u32_e32 0x80, v1
	s_cbranch_execz .LBB275_843
; %bb.838:                              ;   in Loop: Header=BB275_547 Depth=1
	v_and_b32_e32 v59, 0x7f, v1
	v_mov_b32_e32 v56, 0x7c010000
	s_mov_b32 s26, exec_lo
	v_cmpx_ne_u32_e32 0x7f, v59
	s_cbranch_execz .LBB275_842
; %bb.839:                              ;   in Loop: Header=BB275_547 Depth=1
	v_and_b32_e32 v56, 7, v1
	v_lshrrev_b32_e32 v58, 3, v59
	s_mov_b32 s27, exec_lo
	v_cmpx_gt_u32_e32 8, v59
; %bb.840:                              ;   in Loop: Header=BB275_547 Depth=1
	v_ffbh_u32_e32 v56, v56
	v_min_u32_e32 v56, 32, v56
	v_subrev_nc_u32_e32 v58, 28, v56
	v_lshlrev_b64 v[59:60], v58, v[1:2]
	v_sub_nc_u32_e32 v58, 29, v56
	v_and_b32_e32 v56, 7, v59
; %bb.841:                              ;   in Loop: Header=BB275_547 Depth=1
	s_or_b32 exec_lo, exec_lo, s27
	v_lshlrev_b32_e32 v1, 8, v1
	v_lshl_add_u32 v58, v58, 10, 0x2000
	v_lshlrev_b32_e32 v56, 23, v56
	v_and_or_b32 v1, 0x8000, v1, v58
	v_lshl_or_b32 v56, v1, 16, v56
.LBB275_842:                            ;   in Loop: Header=BB275_547 Depth=1
	s_or_b32 exec_lo, exec_lo, s26
.LBB275_843:                            ;   in Loop: Header=BB275_547 Depth=1
	s_or_b32 exec_lo, exec_lo, s22
.LBB275_844:                            ;   in Loop: Header=BB275_547 Depth=1
	s_or_b32 exec_lo, exec_lo, s21
	v_mov_b32_e32 v1, v10
	v_cmp_ne_u16_sdwa s0, v10, v2 src0_sel:BYTE_0 src1_sel:DWORD
	v_mov_b32_e32 v58, 0
	v_mov_b32_e32 v59, 0
	s_and_saveexec_b32 s21, s0
	s_cbranch_execz .LBB275_852
; %bb.845:                              ;   in Loop: Header=BB275_547 Depth=1
	v_cmp_ne_u16_sdwa s0, v10, v14 src0_sel:BYTE_0 src1_sel:DWORD
	v_mov_b32_e32 v59, 0x8000
	s_and_saveexec_b32 s22, s0
	s_cbranch_execz .LBB275_851
; %bb.846:                              ;   in Loop: Header=BB275_547 Depth=1
	v_and_b32_e32 v61, 0x7f, v10
	v_mov_b32_e32 v59, 0x7c01
	s_mov_b32 s26, exec_lo
	v_cmpx_ne_u32_e32 0x7f, v61
	s_cbranch_execz .LBB275_850
; %bb.847:                              ;   in Loop: Header=BB275_547 Depth=1
	v_and_b32_e32 v59, 7, v10
	v_lshrrev_b32_e32 v60, 3, v61
	s_mov_b32 s27, exec_lo
	v_cmpx_gt_u32_e32 8, v61
; %bb.848:                              ;   in Loop: Header=BB275_547 Depth=1
	v_ffbh_u32_e32 v59, v59
	v_min_u32_e32 v61, 32, v59
	v_subrev_nc_u32_e32 v59, 28, v61
	v_lshlrev_b64 v[59:60], v59, v[1:2]
	v_sub_nc_u32_e32 v60, 29, v61
	v_and_b32_e32 v59, 7, v59
; %bb.849:                              ;   in Loop: Header=BB275_547 Depth=1
	s_or_b32 exec_lo, exec_lo, s27
	v_lshlrev_b32_e32 v61, 8, v10
	v_lshl_add_u32 v60, v60, 10, 0x2000
	v_lshlrev_b32_e32 v59, 7, v59
	v_and_b32_e32 v61, 0x8000, v61
	v_and_b32_e32 v60, 0xfc00, v60
	v_or3_b32 v59, v61, v60, v59
.LBB275_850:                            ;   in Loop: Header=BB275_547 Depth=1
	s_or_b32 exec_lo, exec_lo, s26
.LBB275_851:                            ;   in Loop: Header=BB275_547 Depth=1
	s_or_b32 exec_lo, exec_lo, s22
.LBB275_852:                            ;   in Loop: Header=BB275_547 Depth=1
	s_or_b32 exec_lo, exec_lo, s21
	v_lshrrev_b16 v1, 8, v1
	v_mov_b32_e32 v60, 0
	s_mov_b32 s21, exec_lo
	v_cmpx_ne_u16_e32 0, v1
	s_cbranch_execz .LBB275_860
; %bb.853:                              ;   in Loop: Header=BB275_547 Depth=1
	v_bfrev_b32_e32 v60, 1
	s_mov_b32 s22, exec_lo
	v_cmpx_ne_u16_e32 0x80, v1
	s_cbranch_execz .LBB275_859
; %bb.854:                              ;   in Loop: Header=BB275_547 Depth=1
	v_and_b32_sdwa v62, v1, v26 dst_sel:DWORD dst_unused:UNUSED_PAD src0_sel:WORD_0 src1_sel:DWORD
	v_mov_b32_e32 v60, 0x7c010000
	s_mov_b32 s26, exec_lo
	v_cmpx_ne_u32_e32 0x7f, v62
	s_cbranch_execz .LBB275_858
; %bb.855:                              ;   in Loop: Header=BB275_547 Depth=1
	v_and_b32_sdwa v60, v1, v27 dst_sel:DWORD dst_unused:UNUSED_PAD src0_sel:WORD_0 src1_sel:DWORD
	v_lshrrev_b32_e32 v61, 3, v62
	s_mov_b32 s27, exec_lo
	v_cmpx_gt_u32_e32 8, v62
; %bb.856:                              ;   in Loop: Header=BB275_547 Depth=1
	v_ffbh_u32_e32 v60, v60
	v_min_u32_e32 v62, 32, v60
	v_subrev_nc_u32_e32 v60, 28, v62
	v_lshlrev_b64 v[60:61], v60, v[1:2]
	v_sub_nc_u32_e32 v61, 29, v62
	v_and_b32_e32 v60, 7, v60
; %bb.857:                              ;   in Loop: Header=BB275_547 Depth=1
	s_or_b32 exec_lo, exec_lo, s27
	v_lshlrev_b32_sdwa v1, v28, v1 dst_sel:DWORD dst_unused:UNUSED_PAD src0_sel:DWORD src1_sel:WORD_0
	v_lshl_add_u32 v61, v61, 10, 0x2000
	v_lshlrev_b32_e32 v60, 23, v60
	v_and_or_b32 v1, 0x8000, v1, v61
	v_lshl_or_b32 v60, v1, 16, v60
.LBB275_858:                            ;   in Loop: Header=BB275_547 Depth=1
	s_or_b32 exec_lo, exec_lo, s26
.LBB275_859:                            ;   in Loop: Header=BB275_547 Depth=1
	s_or_b32 exec_lo, exec_lo, s22
.LBB275_860:                            ;   in Loop: Header=BB275_547 Depth=1
	s_or_b32 exec_lo, exec_lo, s21
	v_lshrrev_b32_e32 v1, 16, v10
	v_cmp_ne_u16_sdwa s0, v1, v2 src0_sel:BYTE_0 src1_sel:DWORD
	s_and_saveexec_b32 s21, s0
	s_cbranch_execz .LBB275_868
; %bb.861:                              ;   in Loop: Header=BB275_547 Depth=1
	v_cmp_ne_u16_sdwa s0, v1, v14 src0_sel:BYTE_0 src1_sel:DWORD
	v_mov_b32_e32 v58, 0x8000
	s_and_saveexec_b32 s22, s0
	s_cbranch_execz .LBB275_867
; %bb.862:                              ;   in Loop: Header=BB275_547 Depth=1
	v_bfe_u32 v62, v10, 16, 7
	v_mov_b32_e32 v58, 0x7c01
	s_mov_b32 s26, exec_lo
	v_cmpx_ne_u32_e32 0x7f, v62
	s_cbranch_execz .LBB275_866
; %bb.863:                              ;   in Loop: Header=BB275_547 Depth=1
	v_and_b32_e32 v58, 7, v1
	v_lshrrev_b32_e32 v61, 3, v62
	s_mov_b32 s27, exec_lo
	v_cmpx_gt_u32_e32 8, v62
; %bb.864:                              ;   in Loop: Header=BB275_547 Depth=1
	v_ffbh_u32_e32 v58, v58
	v_min_u32_e32 v58, 32, v58
	v_subrev_nc_u32_e32 v61, 28, v58
	v_lshlrev_b64 v[62:63], v61, v[1:2]
	v_sub_nc_u32_e32 v61, 29, v58
	v_and_b32_e32 v58, 7, v62
; %bb.865:                              ;   in Loop: Header=BB275_547 Depth=1
	s_or_b32 exec_lo, exec_lo, s27
	v_lshlrev_b32_e32 v1, 8, v1
	v_lshl_add_u32 v61, v61, 10, 0x2000
	v_lshlrev_b32_e32 v58, 7, v58
	v_and_b32_e32 v1, 0x8000, v1
	v_and_b32_e32 v61, 0xfc00, v61
	v_or3_b32 v58, v1, v61, v58
.LBB275_866:                            ;   in Loop: Header=BB275_547 Depth=1
	s_or_b32 exec_lo, exec_lo, s26
.LBB275_867:                            ;   in Loop: Header=BB275_547 Depth=1
	s_or_b32 exec_lo, exec_lo, s22
.LBB275_868:                            ;   in Loop: Header=BB275_547 Depth=1
	s_or_b32 exec_lo, exec_lo, s21
	v_cmp_lt_u64_e64 s0, s[2:3], v[9:10]
	v_mov_b32_e32 v9, 0
	s_and_saveexec_b32 s21, s0
	s_cbranch_execz .LBB275_876
; %bb.869:                              ;   in Loop: Header=BB275_547 Depth=1
	v_lshrrev_b32_e32 v1, 24, v10
	v_bfrev_b32_e32 v9, 1
	s_mov_b32 s22, exec_lo
	v_cmpx_ne_u32_e32 0x80, v1
	s_cbranch_execz .LBB275_875
; %bb.870:                              ;   in Loop: Header=BB275_547 Depth=1
	v_and_b32_e32 v61, 0x7f, v1
	v_mov_b32_e32 v9, 0x7c010000
	s_mov_b32 s26, exec_lo
	v_cmpx_ne_u32_e32 0x7f, v61
	s_cbranch_execz .LBB275_874
; %bb.871:                              ;   in Loop: Header=BB275_547 Depth=1
	v_and_b32_e32 v9, 7, v1
	v_lshrrev_b32_e32 v10, 3, v61
	s_mov_b32 s27, exec_lo
	v_cmpx_gt_u32_e32 8, v61
; %bb.872:                              ;   in Loop: Header=BB275_547 Depth=1
	v_ffbh_u32_e32 v9, v9
	v_min_u32_e32 v61, 32, v9
	v_subrev_nc_u32_e32 v9, 28, v61
	v_lshlrev_b64 v[9:10], v9, v[1:2]
	v_sub_nc_u32_e32 v10, 29, v61
	v_and_b32_e32 v9, 7, v9
; %bb.873:                              ;   in Loop: Header=BB275_547 Depth=1
	s_or_b32 exec_lo, exec_lo, s27
	v_lshlrev_b32_e32 v1, 8, v1
	v_lshl_add_u32 v10, v10, 10, 0x2000
	v_lshlrev_b32_e32 v9, 23, v9
	v_and_or_b32 v1, 0x8000, v1, v10
	v_lshl_or_b32 v9, v1, 16, v9
.LBB275_874:                            ;   in Loop: Header=BB275_547 Depth=1
	s_or_b32 exec_lo, exec_lo, s26
.LBB275_875:                            ;   in Loop: Header=BB275_547 Depth=1
	s_or_b32 exec_lo, exec_lo, s22
.LBB275_876:                            ;   in Loop: Header=BB275_547 Depth=1
	s_or_b32 exec_lo, exec_lo, s21
	v_or_b32_e32 v1, v56, v57
	s_waitcnt vmcnt(0)
	v_fma_mixlo_f16 v10, v53, v56, 0 op_sel:[0,1,0] op_sel_hi:[0,1,0]
	v_or_b32_e32 v56, v54, v55
	v_fma_mixlo_f16 v54, v53, v54, 0 op_sel:[0,1,0] op_sel_hi:[0,1,0]
	v_or_b32_e32 v57, v60, v59
	v_or_b32_e32 v58, v9, v58
	v_fma_mixlo_f16 v59, v53, v1, 0 op_sel_hi:[0,1,0]
	v_fma_mixlo_f16 v9, v53, v9, 0 op_sel:[0,1,0] op_sel_hi:[0,1,0]
	v_lshlrev_b32_e32 v55, 16, v54
	v_fma_mixlo_f16 v54, v53, v56, 0 op_sel_hi:[0,1,0]
	v_fma_mixlo_f16 v56, v53, v60, 0 op_sel:[0,1,0] op_sel_hi:[0,1,0]
	v_fma_mixlo_f16 v57, v53, v57, 0 op_sel_hi:[0,1,0]
	v_fma_mixlo_f16 v58, v53, v58, 0 op_sel_hi:[0,1,0]
	v_lshlrev_b32_e32 v1, 16, v10
	v_and_b32_e32 v10, 0xffff, v59
	v_and_b32_e32 v61, 0xffff, v54
	v_lshlrev_b32_e32 v53, 16, v56
	v_and_b32_e32 v57, 0xffff, v57
	v_lshlrev_b32_e32 v9, 16, v9
	v_and_b32_e32 v54, 0xffff, v58
	v_or_b32_e32 v56, v1, v10
	v_or_b32_e32 v60, v55, v61
	;; [unrolled: 1-line block ×4, first 2 shown]
	s_and_saveexec_b32 s21, vcc_lo
	s_cbranch_execz .LBB275_878
; %bb.877:                              ;   in Loop: Header=BB275_547 Depth=1
	v_cmp_gt_i32_e64 s0, s33, v33
	v_cndmask_b32_e64 v56, 0, v61, s0
	v_cmp_gt_i32_e64 s0, s33, v41
	v_cndmask_b32_e64 v55, 0, v55, s0
	v_cmp_gt_i32_e64 s0, s33, v39
	v_or_b32_e32 v60, v55, v56
	v_cndmask_b32_e64 v10, 0, v10, s0
	v_cmp_gt_i32_e64 s0, s33, v38
	v_cndmask_b32_e64 v1, 0, v1, s0
	v_cmp_gt_i32_e64 s0, s33, v37
	v_or_b32_e32 v56, v1, v10
	;; [unrolled: 5-line block ×3, first 2 shown]
	v_cndmask_b32_e64 v54, 0, v54, s0
	v_cmp_gt_i32_e64 s0, s33, v34
	v_cndmask_b32_e64 v9, 0, v9, s0
	v_or_b32_e32 v58, v9, v54
.LBB275_878:                            ;   in Loop: Header=BB275_547 Depth=1
	s_or_b32 exec_lo, exec_lo, s21
	;;#ASMSTART
	v_pk_mul_f16 v1, v46, v60;

	;;#ASMEND
	;;#ASMSTART
	v_pk_mul_f16 v9, v45, v56;

	;;#ASMEND
	;; [unrolled: 4-line block ×4, first 2 shown]
	;;#ASMSTART
	v_pk_add_f16 v1, v1, v9;

	;;#ASMEND
	;;#ASMSTART
	v_pk_add_f16 v1, v1, v10;

	;;#ASMEND
	;; [unrolled: 4-line block ×3, first 2 shown]
	v_and_b32_e32 v9, 0xffff, v1
	v_lshrrev_b32_e32 v1, 16, v1
	;;#ASMSTART
	v_cvt_f32_f16 v53, v9;
	;;#ASMEND
	;;#ASMSTART
	v_cvt_f32_f16 v54, v1;
	;;#ASMEND
	global_load_dwordx2 v[9:10], v[7:8], off offset:1280
	v_mov_b32_e32 v56, 0
	v_mov_b32_e32 v57, 0
	global_load_dword v55, v56, s[14:15]
	s_waitcnt vmcnt(1)
	v_cmp_ne_u16_sdwa s0, v9, v2 src0_sel:BYTE_0 src1_sel:DWORD
	s_and_saveexec_b32 s21, s0
	s_cbranch_execz .LBB275_886
; %bb.879:                              ;   in Loop: Header=BB275_547 Depth=1
	v_cmp_ne_u16_sdwa s0, v9, v14 src0_sel:BYTE_0 src1_sel:DWORD
	v_mov_b32_e32 v57, 0x8000
	s_and_saveexec_b32 s22, s0
	s_cbranch_execz .LBB275_885
; %bb.880:                              ;   in Loop: Header=BB275_547 Depth=1
	v_and_b32_e32 v58, 0x7f, v9
	v_mov_b32_e32 v57, 0x7c01
	s_mov_b32 s26, exec_lo
	v_cmpx_ne_u32_e32 0x7f, v58
	s_cbranch_execz .LBB275_884
; %bb.881:                              ;   in Loop: Header=BB275_547 Depth=1
	v_and_b32_e32 v1, 7, v9
	v_lshrrev_b32_e32 v57, 3, v58
	s_mov_b32 s27, exec_lo
	v_cmpx_gt_u32_e32 8, v58
; %bb.882:                              ;   in Loop: Header=BB275_547 Depth=1
	v_ffbh_u32_e32 v1, v1
	v_min_u32_e32 v1, 32, v1
	v_subrev_nc_u32_e32 v57, 28, v1
	v_lshlrev_b64 v[58:59], v57, v[9:10]
	v_sub_nc_u32_e32 v57, 29, v1
	v_and_b32_e32 v1, 7, v58
; %bb.883:                              ;   in Loop: Header=BB275_547 Depth=1
	s_or_b32 exec_lo, exec_lo, s27
	v_lshlrev_b32_e32 v58, 8, v9
	v_lshl_add_u32 v57, v57, 10, 0x2000
	v_lshlrev_b32_e32 v1, 7, v1
	v_and_b32_e32 v58, 0x8000, v58
	v_and_b32_e32 v57, 0xfc00, v57
	v_or3_b32 v57, v58, v57, v1
.LBB275_884:                            ;   in Loop: Header=BB275_547 Depth=1
	s_or_b32 exec_lo, exec_lo, s26
.LBB275_885:                            ;   in Loop: Header=BB275_547 Depth=1
	s_or_b32 exec_lo, exec_lo, s22
.LBB275_886:                            ;   in Loop: Header=BB275_547 Depth=1
	s_or_b32 exec_lo, exec_lo, s21
	v_lshrrev_b16 v1, 8, v9
	s_mov_b32 s21, exec_lo
	v_cmpx_ne_u16_e32 0, v1
	s_cbranch_execz .LBB275_894
; %bb.887:                              ;   in Loop: Header=BB275_547 Depth=1
	v_bfrev_b32_e32 v56, 1
	s_mov_b32 s22, exec_lo
	v_cmpx_ne_u16_e32 0x80, v1
	s_cbranch_execz .LBB275_893
; %bb.888:                              ;   in Loop: Header=BB275_547 Depth=1
	v_and_b32_sdwa v59, v1, v26 dst_sel:DWORD dst_unused:UNUSED_PAD src0_sel:WORD_0 src1_sel:DWORD
	v_mov_b32_e32 v56, 0x7c010000
	s_mov_b32 s26, exec_lo
	v_cmpx_ne_u32_e32 0x7f, v59
	s_cbranch_execz .LBB275_892
; %bb.889:                              ;   in Loop: Header=BB275_547 Depth=1
	v_and_b32_sdwa v56, v1, v27 dst_sel:DWORD dst_unused:UNUSED_PAD src0_sel:WORD_0 src1_sel:DWORD
	v_lshrrev_b32_e32 v58, 3, v59
	s_mov_b32 s27, exec_lo
	v_cmpx_gt_u32_e32 8, v59
; %bb.890:                              ;   in Loop: Header=BB275_547 Depth=1
	v_ffbh_u32_e32 v56, v56
	v_min_u32_e32 v56, 32, v56
	v_subrev_nc_u32_e32 v58, 28, v56
	v_lshlrev_b64 v[59:60], v58, v[1:2]
	v_sub_nc_u32_e32 v58, 29, v56
	v_and_b32_e32 v56, 7, v59
; %bb.891:                              ;   in Loop: Header=BB275_547 Depth=1
	s_or_b32 exec_lo, exec_lo, s27
	v_lshlrev_b32_sdwa v1, v28, v1 dst_sel:DWORD dst_unused:UNUSED_PAD src0_sel:DWORD src1_sel:WORD_0
	v_lshl_add_u32 v58, v58, 10, 0x2000
	v_lshlrev_b32_e32 v56, 23, v56
	v_and_or_b32 v1, 0x8000, v1, v58
	v_lshl_or_b32 v56, v1, 16, v56
.LBB275_892:                            ;   in Loop: Header=BB275_547 Depth=1
	s_or_b32 exec_lo, exec_lo, s26
.LBB275_893:                            ;   in Loop: Header=BB275_547 Depth=1
	s_or_b32 exec_lo, exec_lo, s22
.LBB275_894:                            ;   in Loop: Header=BB275_547 Depth=1
	s_or_b32 exec_lo, exec_lo, s21
	v_lshrrev_b32_e32 v1, 16, v9
	v_mov_b32_e32 v58, 0
	v_mov_b32_e32 v59, 0
	v_cmp_ne_u16_sdwa s0, v1, v2 src0_sel:BYTE_0 src1_sel:DWORD
	s_and_saveexec_b32 s21, s0
	s_cbranch_execz .LBB275_902
; %bb.895:                              ;   in Loop: Header=BB275_547 Depth=1
	v_cmp_ne_u16_sdwa s0, v1, v14 src0_sel:BYTE_0 src1_sel:DWORD
	v_mov_b32_e32 v59, 0x8000
	s_and_saveexec_b32 s22, s0
	s_cbranch_execz .LBB275_901
; %bb.896:                              ;   in Loop: Header=BB275_547 Depth=1
	v_bfe_u32 v61, v9, 16, 7
	v_mov_b32_e32 v59, 0x7c01
	s_mov_b32 s26, exec_lo
	v_cmpx_ne_u32_e32 0x7f, v61
	s_cbranch_execz .LBB275_900
; %bb.897:                              ;   in Loop: Header=BB275_547 Depth=1
	v_and_b32_e32 v59, 7, v1
	v_lshrrev_b32_e32 v60, 3, v61
	s_mov_b32 s27, exec_lo
	v_cmpx_gt_u32_e32 8, v61
; %bb.898:                              ;   in Loop: Header=BB275_547 Depth=1
	v_ffbh_u32_e32 v59, v59
	v_min_u32_e32 v61, 32, v59
	v_subrev_nc_u32_e32 v59, 28, v61
	v_lshlrev_b64 v[59:60], v59, v[1:2]
	v_sub_nc_u32_e32 v60, 29, v61
	v_and_b32_e32 v59, 7, v59
; %bb.899:                              ;   in Loop: Header=BB275_547 Depth=1
	s_or_b32 exec_lo, exec_lo, s27
	v_lshlrev_b32_e32 v1, 8, v1
	v_lshl_add_u32 v60, v60, 10, 0x2000
	v_lshlrev_b32_e32 v59, 7, v59
	v_and_b32_e32 v1, 0x8000, v1
	v_and_b32_e32 v60, 0xfc00, v60
	v_or3_b32 v59, v1, v60, v59
.LBB275_900:                            ;   in Loop: Header=BB275_547 Depth=1
	s_or_b32 exec_lo, exec_lo, s26
.LBB275_901:                            ;   in Loop: Header=BB275_547 Depth=1
	s_or_b32 exec_lo, exec_lo, s22
.LBB275_902:                            ;   in Loop: Header=BB275_547 Depth=1
	s_or_b32 exec_lo, exec_lo, s21
	s_mov_b32 s21, exec_lo
	v_cmpx_lt_u32_e32 0xffffff, v9
	s_cbranch_execz .LBB275_910
; %bb.903:                              ;   in Loop: Header=BB275_547 Depth=1
	v_lshrrev_b32_e32 v1, 24, v9
	v_bfrev_b32_e32 v58, 1
	s_mov_b32 s22, exec_lo
	v_cmpx_ne_u32_e32 0x80, v1
	s_cbranch_execz .LBB275_909
; %bb.904:                              ;   in Loop: Header=BB275_547 Depth=1
	v_and_b32_e32 v61, 0x7f, v1
	v_mov_b32_e32 v58, 0x7c010000
	s_mov_b32 s26, exec_lo
	v_cmpx_ne_u32_e32 0x7f, v61
	s_cbranch_execz .LBB275_908
; %bb.905:                              ;   in Loop: Header=BB275_547 Depth=1
	v_and_b32_e32 v58, 7, v1
	v_lshrrev_b32_e32 v60, 3, v61
	s_mov_b32 s27, exec_lo
	v_cmpx_gt_u32_e32 8, v61
; %bb.906:                              ;   in Loop: Header=BB275_547 Depth=1
	v_ffbh_u32_e32 v58, v58
	v_min_u32_e32 v58, 32, v58
	v_subrev_nc_u32_e32 v60, 28, v58
	v_lshlrev_b64 v[61:62], v60, v[1:2]
	v_sub_nc_u32_e32 v60, 29, v58
	v_and_b32_e32 v58, 7, v61
; %bb.907:                              ;   in Loop: Header=BB275_547 Depth=1
	s_or_b32 exec_lo, exec_lo, s27
	v_lshlrev_b32_e32 v1, 8, v1
	v_lshl_add_u32 v60, v60, 10, 0x2000
	v_lshlrev_b32_e32 v58, 23, v58
	v_and_or_b32 v1, 0x8000, v1, v60
	v_lshl_or_b32 v58, v1, 16, v58
.LBB275_908:                            ;   in Loop: Header=BB275_547 Depth=1
	s_or_b32 exec_lo, exec_lo, s26
.LBB275_909:                            ;   in Loop: Header=BB275_547 Depth=1
	s_or_b32 exec_lo, exec_lo, s22
.LBB275_910:                            ;   in Loop: Header=BB275_547 Depth=1
	s_or_b32 exec_lo, exec_lo, s21
	v_mov_b32_e32 v1, v10
	v_cmp_ne_u16_sdwa s0, v10, v2 src0_sel:BYTE_0 src1_sel:DWORD
	v_mov_b32_e32 v60, 0
	v_mov_b32_e32 v61, 0
	s_and_saveexec_b32 s21, s0
	s_cbranch_execz .LBB275_918
; %bb.911:                              ;   in Loop: Header=BB275_547 Depth=1
	v_cmp_ne_u16_sdwa s0, v10, v14 src0_sel:BYTE_0 src1_sel:DWORD
	v_mov_b32_e32 v61, 0x8000
	s_and_saveexec_b32 s22, s0
	s_cbranch_execz .LBB275_917
; %bb.912:                              ;   in Loop: Header=BB275_547 Depth=1
	v_and_b32_e32 v63, 0x7f, v10
	v_mov_b32_e32 v61, 0x7c01
	s_mov_b32 s26, exec_lo
	v_cmpx_ne_u32_e32 0x7f, v63
	s_cbranch_execz .LBB275_916
; %bb.913:                              ;   in Loop: Header=BB275_547 Depth=1
	v_and_b32_e32 v61, 7, v10
	v_lshrrev_b32_e32 v62, 3, v63
	s_mov_b32 s27, exec_lo
	v_cmpx_gt_u32_e32 8, v63
; %bb.914:                              ;   in Loop: Header=BB275_547 Depth=1
	v_ffbh_u32_e32 v61, v61
	v_min_u32_e32 v63, 32, v61
	v_subrev_nc_u32_e32 v61, 28, v63
	v_lshlrev_b64 v[61:62], v61, v[1:2]
	v_sub_nc_u32_e32 v62, 29, v63
	v_and_b32_e32 v61, 7, v61
; %bb.915:                              ;   in Loop: Header=BB275_547 Depth=1
	s_or_b32 exec_lo, exec_lo, s27
	v_lshlrev_b32_e32 v63, 8, v10
	v_lshl_add_u32 v62, v62, 10, 0x2000
	v_lshlrev_b32_e32 v61, 7, v61
	v_and_b32_e32 v63, 0x8000, v63
	v_and_b32_e32 v62, 0xfc00, v62
	v_or3_b32 v61, v63, v62, v61
.LBB275_916:                            ;   in Loop: Header=BB275_547 Depth=1
	s_or_b32 exec_lo, exec_lo, s26
.LBB275_917:                            ;   in Loop: Header=BB275_547 Depth=1
	s_or_b32 exec_lo, exec_lo, s22
.LBB275_918:                            ;   in Loop: Header=BB275_547 Depth=1
	s_or_b32 exec_lo, exec_lo, s21
	v_lshrrev_b16 v1, 8, v1
	v_mov_b32_e32 v62, 0
	s_mov_b32 s21, exec_lo
	v_cmpx_ne_u16_e32 0, v1
	s_cbranch_execz .LBB275_926
; %bb.919:                              ;   in Loop: Header=BB275_547 Depth=1
	v_bfrev_b32_e32 v62, 1
	s_mov_b32 s22, exec_lo
	v_cmpx_ne_u16_e32 0x80, v1
	s_cbranch_execz .LBB275_925
; %bb.920:                              ;   in Loop: Header=BB275_547 Depth=1
	v_and_b32_sdwa v64, v1, v26 dst_sel:DWORD dst_unused:UNUSED_PAD src0_sel:WORD_0 src1_sel:DWORD
	v_mov_b32_e32 v62, 0x7c010000
	s_mov_b32 s26, exec_lo
	v_cmpx_ne_u32_e32 0x7f, v64
	s_cbranch_execz .LBB275_924
; %bb.921:                              ;   in Loop: Header=BB275_547 Depth=1
	v_and_b32_sdwa v62, v1, v27 dst_sel:DWORD dst_unused:UNUSED_PAD src0_sel:WORD_0 src1_sel:DWORD
	v_lshrrev_b32_e32 v63, 3, v64
	s_mov_b32 s27, exec_lo
	v_cmpx_gt_u32_e32 8, v64
; %bb.922:                              ;   in Loop: Header=BB275_547 Depth=1
	v_ffbh_u32_e32 v62, v62
	v_min_u32_e32 v64, 32, v62
	v_subrev_nc_u32_e32 v62, 28, v64
	v_lshlrev_b64 v[62:63], v62, v[1:2]
	v_sub_nc_u32_e32 v63, 29, v64
	v_and_b32_e32 v62, 7, v62
; %bb.923:                              ;   in Loop: Header=BB275_547 Depth=1
	s_or_b32 exec_lo, exec_lo, s27
	v_lshlrev_b32_sdwa v1, v28, v1 dst_sel:DWORD dst_unused:UNUSED_PAD src0_sel:DWORD src1_sel:WORD_0
	v_lshl_add_u32 v63, v63, 10, 0x2000
	v_lshlrev_b32_e32 v62, 23, v62
	v_and_or_b32 v1, 0x8000, v1, v63
	v_lshl_or_b32 v62, v1, 16, v62
.LBB275_924:                            ;   in Loop: Header=BB275_547 Depth=1
	s_or_b32 exec_lo, exec_lo, s26
.LBB275_925:                            ;   in Loop: Header=BB275_547 Depth=1
	s_or_b32 exec_lo, exec_lo, s22
.LBB275_926:                            ;   in Loop: Header=BB275_547 Depth=1
	s_or_b32 exec_lo, exec_lo, s21
	v_lshrrev_b32_e32 v1, 16, v10
	v_cmp_ne_u16_sdwa s0, v1, v2 src0_sel:BYTE_0 src1_sel:DWORD
	s_and_saveexec_b32 s21, s0
	s_cbranch_execz .LBB275_934
; %bb.927:                              ;   in Loop: Header=BB275_547 Depth=1
	v_cmp_ne_u16_sdwa s0, v1, v14 src0_sel:BYTE_0 src1_sel:DWORD
	v_mov_b32_e32 v60, 0x8000
	s_and_saveexec_b32 s22, s0
	s_cbranch_execz .LBB275_933
; %bb.928:                              ;   in Loop: Header=BB275_547 Depth=1
	v_bfe_u32 v64, v10, 16, 7
	v_mov_b32_e32 v60, 0x7c01
	s_mov_b32 s26, exec_lo
	v_cmpx_ne_u32_e32 0x7f, v64
	s_cbranch_execz .LBB275_932
; %bb.929:                              ;   in Loop: Header=BB275_547 Depth=1
	v_and_b32_e32 v60, 7, v1
	v_lshrrev_b32_e32 v63, 3, v64
	s_mov_b32 s27, exec_lo
	v_cmpx_gt_u32_e32 8, v64
; %bb.930:                              ;   in Loop: Header=BB275_547 Depth=1
	v_ffbh_u32_e32 v60, v60
	v_min_u32_e32 v60, 32, v60
	v_subrev_nc_u32_e32 v63, 28, v60
	v_lshlrev_b64 v[64:65], v63, v[1:2]
	v_sub_nc_u32_e32 v63, 29, v60
	v_and_b32_e32 v60, 7, v64
; %bb.931:                              ;   in Loop: Header=BB275_547 Depth=1
	s_or_b32 exec_lo, exec_lo, s27
	v_lshlrev_b32_e32 v1, 8, v1
	v_lshl_add_u32 v63, v63, 10, 0x2000
	v_lshlrev_b32_e32 v60, 7, v60
	v_and_b32_e32 v1, 0x8000, v1
	v_and_b32_e32 v63, 0xfc00, v63
	v_or3_b32 v60, v1, v63, v60
.LBB275_932:                            ;   in Loop: Header=BB275_547 Depth=1
	s_or_b32 exec_lo, exec_lo, s26
.LBB275_933:                            ;   in Loop: Header=BB275_547 Depth=1
	s_or_b32 exec_lo, exec_lo, s22
.LBB275_934:                            ;   in Loop: Header=BB275_547 Depth=1
	s_or_b32 exec_lo, exec_lo, s21
	v_cmp_lt_u64_e64 s0, s[2:3], v[9:10]
	v_mov_b32_e32 v9, 0
	s_and_saveexec_b32 s21, s0
	s_cbranch_execz .LBB275_942
; %bb.935:                              ;   in Loop: Header=BB275_547 Depth=1
	v_lshrrev_b32_e32 v1, 24, v10
	v_bfrev_b32_e32 v9, 1
	s_mov_b32 s22, exec_lo
	v_cmpx_ne_u32_e32 0x80, v1
	s_cbranch_execz .LBB275_941
; %bb.936:                              ;   in Loop: Header=BB275_547 Depth=1
	v_and_b32_e32 v63, 0x7f, v1
	v_mov_b32_e32 v9, 0x7c010000
	s_mov_b32 s26, exec_lo
	v_cmpx_ne_u32_e32 0x7f, v63
	s_cbranch_execz .LBB275_940
; %bb.937:                              ;   in Loop: Header=BB275_547 Depth=1
	v_and_b32_e32 v9, 7, v1
	v_lshrrev_b32_e32 v10, 3, v63
	s_mov_b32 s27, exec_lo
	v_cmpx_gt_u32_e32 8, v63
; %bb.938:                              ;   in Loop: Header=BB275_547 Depth=1
	v_ffbh_u32_e32 v9, v9
	v_min_u32_e32 v63, 32, v9
	v_subrev_nc_u32_e32 v9, 28, v63
	v_lshlrev_b64 v[9:10], v9, v[1:2]
	v_sub_nc_u32_e32 v10, 29, v63
	v_and_b32_e32 v9, 7, v9
; %bb.939:                              ;   in Loop: Header=BB275_547 Depth=1
	s_or_b32 exec_lo, exec_lo, s27
	v_lshlrev_b32_e32 v1, 8, v1
	v_lshl_add_u32 v10, v10, 10, 0x2000
	v_lshlrev_b32_e32 v9, 23, v9
	v_and_or_b32 v1, 0x8000, v1, v10
	v_lshl_or_b32 v9, v1, 16, v9
.LBB275_940:                            ;   in Loop: Header=BB275_547 Depth=1
	s_or_b32 exec_lo, exec_lo, s26
.LBB275_941:                            ;   in Loop: Header=BB275_547 Depth=1
	s_or_b32 exec_lo, exec_lo, s22
.LBB275_942:                            ;   in Loop: Header=BB275_547 Depth=1
	s_or_b32 exec_lo, exec_lo, s21
	v_or_b32_e32 v1, v58, v59
	s_waitcnt vmcnt(0)
	v_fma_mixlo_f16 v10, v55, v58, 0 op_sel:[0,1,0] op_sel_hi:[0,1,0]
	v_or_b32_e32 v58, v56, v57
	v_fma_mixlo_f16 v56, v55, v56, 0 op_sel:[0,1,0] op_sel_hi:[0,1,0]
	v_or_b32_e32 v59, v62, v61
	v_or_b32_e32 v60, v9, v60
	v_fma_mixlo_f16 v61, v55, v1, 0 op_sel_hi:[0,1,0]
	v_fma_mixlo_f16 v9, v55, v9, 0 op_sel:[0,1,0] op_sel_hi:[0,1,0]
	v_lshlrev_b32_e32 v57, 16, v56
	v_fma_mixlo_f16 v56, v55, v58, 0 op_sel_hi:[0,1,0]
	v_fma_mixlo_f16 v58, v55, v62, 0 op_sel:[0,1,0] op_sel_hi:[0,1,0]
	v_fma_mixlo_f16 v59, v55, v59, 0 op_sel_hi:[0,1,0]
	v_fma_mixlo_f16 v60, v55, v60, 0 op_sel_hi:[0,1,0]
	v_lshlrev_b32_e32 v1, 16, v10
	v_and_b32_e32 v10, 0xffff, v61
	v_and_b32_e32 v63, 0xffff, v56
	v_lshlrev_b32_e32 v55, 16, v58
	v_and_b32_e32 v59, 0xffff, v59
	v_lshlrev_b32_e32 v9, 16, v9
	v_and_b32_e32 v56, 0xffff, v60
	v_or_b32_e32 v58, v1, v10
	v_or_b32_e32 v62, v57, v63
	;; [unrolled: 1-line block ×4, first 2 shown]
	s_and_saveexec_b32 s21, vcc_lo
	s_cbranch_execz .LBB275_944
; %bb.943:                              ;   in Loop: Header=BB275_547 Depth=1
	v_cmp_gt_i32_e64 s0, s33, v33
	v_cndmask_b32_e64 v58, 0, v63, s0
	v_cmp_gt_i32_e64 s0, s33, v41
	v_cndmask_b32_e64 v57, 0, v57, s0
	v_cmp_gt_i32_e64 s0, s33, v39
	v_or_b32_e32 v62, v57, v58
	v_cndmask_b32_e64 v10, 0, v10, s0
	v_cmp_gt_i32_e64 s0, s33, v38
	v_cndmask_b32_e64 v1, 0, v1, s0
	v_cmp_gt_i32_e64 s0, s33, v37
	v_or_b32_e32 v58, v1, v10
	;; [unrolled: 5-line block ×3, first 2 shown]
	v_cndmask_b32_e64 v56, 0, v56, s0
	v_cmp_gt_i32_e64 s0, s33, v34
	v_cndmask_b32_e64 v9, 0, v9, s0
	v_or_b32_e32 v60, v9, v56
.LBB275_944:                            ;   in Loop: Header=BB275_547 Depth=1
	s_or_b32 exec_lo, exec_lo, s21
	;;#ASMSTART
	v_pk_mul_f16 v1, v46, v62;

	;;#ASMEND
	;;#ASMSTART
	v_pk_mul_f16 v9, v45, v58;

	;;#ASMEND
	;; [unrolled: 4-line block ×4, first 2 shown]
	;;#ASMSTART
	v_pk_add_f16 v1, v1, v9;

	;;#ASMEND
	;;#ASMSTART
	v_pk_add_f16 v1, v1, v10;

	;;#ASMEND
	;; [unrolled: 4-line block ×3, first 2 shown]
	v_and_b32_e32 v9, 0xffff, v1
	v_lshrrev_b32_e32 v1, 16, v1
	;;#ASMSTART
	v_cvt_f32_f16 v55, v9;
	;;#ASMEND
	;;#ASMSTART
	v_cvt_f32_f16 v56, v1;
	;;#ASMEND
	global_load_dwordx2 v[9:10], v[7:8], off offset:1536
	v_mov_b32_e32 v58, 0
	v_mov_b32_e32 v59, 0
	global_load_dword v57, v58, s[14:15]
	s_waitcnt vmcnt(1)
	v_cmp_ne_u16_sdwa s0, v9, v2 src0_sel:BYTE_0 src1_sel:DWORD
	s_and_saveexec_b32 s21, s0
	s_cbranch_execz .LBB275_952
; %bb.945:                              ;   in Loop: Header=BB275_547 Depth=1
	v_cmp_ne_u16_sdwa s0, v9, v14 src0_sel:BYTE_0 src1_sel:DWORD
	v_mov_b32_e32 v59, 0x8000
	s_and_saveexec_b32 s22, s0
	s_cbranch_execz .LBB275_951
; %bb.946:                              ;   in Loop: Header=BB275_547 Depth=1
	v_and_b32_e32 v60, 0x7f, v9
	v_mov_b32_e32 v59, 0x7c01
	s_mov_b32 s26, exec_lo
	v_cmpx_ne_u32_e32 0x7f, v60
	s_cbranch_execz .LBB275_950
; %bb.947:                              ;   in Loop: Header=BB275_547 Depth=1
	v_and_b32_e32 v1, 7, v9
	v_lshrrev_b32_e32 v59, 3, v60
	s_mov_b32 s27, exec_lo
	v_cmpx_gt_u32_e32 8, v60
; %bb.948:                              ;   in Loop: Header=BB275_547 Depth=1
	v_ffbh_u32_e32 v1, v1
	v_min_u32_e32 v1, 32, v1
	v_subrev_nc_u32_e32 v59, 28, v1
	v_lshlrev_b64 v[60:61], v59, v[9:10]
	v_sub_nc_u32_e32 v59, 29, v1
	v_and_b32_e32 v1, 7, v60
; %bb.949:                              ;   in Loop: Header=BB275_547 Depth=1
	s_or_b32 exec_lo, exec_lo, s27
	v_lshlrev_b32_e32 v60, 8, v9
	v_lshl_add_u32 v59, v59, 10, 0x2000
	v_lshlrev_b32_e32 v1, 7, v1
	v_and_b32_e32 v60, 0x8000, v60
	v_and_b32_e32 v59, 0xfc00, v59
	v_or3_b32 v59, v60, v59, v1
.LBB275_950:                            ;   in Loop: Header=BB275_547 Depth=1
	s_or_b32 exec_lo, exec_lo, s26
.LBB275_951:                            ;   in Loop: Header=BB275_547 Depth=1
	s_or_b32 exec_lo, exec_lo, s22
.LBB275_952:                            ;   in Loop: Header=BB275_547 Depth=1
	s_or_b32 exec_lo, exec_lo, s21
	v_lshrrev_b16 v1, 8, v9
	s_mov_b32 s21, exec_lo
	v_cmpx_ne_u16_e32 0, v1
	s_cbranch_execz .LBB275_960
; %bb.953:                              ;   in Loop: Header=BB275_547 Depth=1
	v_bfrev_b32_e32 v58, 1
	s_mov_b32 s22, exec_lo
	v_cmpx_ne_u16_e32 0x80, v1
	s_cbranch_execz .LBB275_959
; %bb.954:                              ;   in Loop: Header=BB275_547 Depth=1
	v_and_b32_sdwa v61, v1, v26 dst_sel:DWORD dst_unused:UNUSED_PAD src0_sel:WORD_0 src1_sel:DWORD
	v_mov_b32_e32 v58, 0x7c010000
	s_mov_b32 s26, exec_lo
	v_cmpx_ne_u32_e32 0x7f, v61
	s_cbranch_execz .LBB275_958
; %bb.955:                              ;   in Loop: Header=BB275_547 Depth=1
	v_and_b32_sdwa v58, v1, v27 dst_sel:DWORD dst_unused:UNUSED_PAD src0_sel:WORD_0 src1_sel:DWORD
	v_lshrrev_b32_e32 v60, 3, v61
	s_mov_b32 s27, exec_lo
	v_cmpx_gt_u32_e32 8, v61
; %bb.956:                              ;   in Loop: Header=BB275_547 Depth=1
	v_ffbh_u32_e32 v58, v58
	v_min_u32_e32 v58, 32, v58
	v_subrev_nc_u32_e32 v60, 28, v58
	v_lshlrev_b64 v[61:62], v60, v[1:2]
	v_sub_nc_u32_e32 v60, 29, v58
	v_and_b32_e32 v58, 7, v61
; %bb.957:                              ;   in Loop: Header=BB275_547 Depth=1
	s_or_b32 exec_lo, exec_lo, s27
	v_lshlrev_b32_sdwa v1, v28, v1 dst_sel:DWORD dst_unused:UNUSED_PAD src0_sel:DWORD src1_sel:WORD_0
	v_lshl_add_u32 v60, v60, 10, 0x2000
	v_lshlrev_b32_e32 v58, 23, v58
	v_and_or_b32 v1, 0x8000, v1, v60
	v_lshl_or_b32 v58, v1, 16, v58
.LBB275_958:                            ;   in Loop: Header=BB275_547 Depth=1
	s_or_b32 exec_lo, exec_lo, s26
.LBB275_959:                            ;   in Loop: Header=BB275_547 Depth=1
	s_or_b32 exec_lo, exec_lo, s22
.LBB275_960:                            ;   in Loop: Header=BB275_547 Depth=1
	s_or_b32 exec_lo, exec_lo, s21
	v_lshrrev_b32_e32 v1, 16, v9
	v_mov_b32_e32 v60, 0
	v_mov_b32_e32 v61, 0
	v_cmp_ne_u16_sdwa s0, v1, v2 src0_sel:BYTE_0 src1_sel:DWORD
	s_and_saveexec_b32 s21, s0
	s_cbranch_execz .LBB275_968
; %bb.961:                              ;   in Loop: Header=BB275_547 Depth=1
	v_cmp_ne_u16_sdwa s0, v1, v14 src0_sel:BYTE_0 src1_sel:DWORD
	v_mov_b32_e32 v61, 0x8000
	s_and_saveexec_b32 s22, s0
	s_cbranch_execz .LBB275_967
; %bb.962:                              ;   in Loop: Header=BB275_547 Depth=1
	v_bfe_u32 v63, v9, 16, 7
	v_mov_b32_e32 v61, 0x7c01
	s_mov_b32 s26, exec_lo
	v_cmpx_ne_u32_e32 0x7f, v63
	s_cbranch_execz .LBB275_966
; %bb.963:                              ;   in Loop: Header=BB275_547 Depth=1
	v_and_b32_e32 v61, 7, v1
	v_lshrrev_b32_e32 v62, 3, v63
	s_mov_b32 s27, exec_lo
	v_cmpx_gt_u32_e32 8, v63
; %bb.964:                              ;   in Loop: Header=BB275_547 Depth=1
	v_ffbh_u32_e32 v61, v61
	v_min_u32_e32 v63, 32, v61
	v_subrev_nc_u32_e32 v61, 28, v63
	v_lshlrev_b64 v[61:62], v61, v[1:2]
	v_sub_nc_u32_e32 v62, 29, v63
	v_and_b32_e32 v61, 7, v61
; %bb.965:                              ;   in Loop: Header=BB275_547 Depth=1
	s_or_b32 exec_lo, exec_lo, s27
	v_lshlrev_b32_e32 v1, 8, v1
	v_lshl_add_u32 v62, v62, 10, 0x2000
	v_lshlrev_b32_e32 v61, 7, v61
	v_and_b32_e32 v1, 0x8000, v1
	v_and_b32_e32 v62, 0xfc00, v62
	v_or3_b32 v61, v1, v62, v61
.LBB275_966:                            ;   in Loop: Header=BB275_547 Depth=1
	s_or_b32 exec_lo, exec_lo, s26
.LBB275_967:                            ;   in Loop: Header=BB275_547 Depth=1
	s_or_b32 exec_lo, exec_lo, s22
.LBB275_968:                            ;   in Loop: Header=BB275_547 Depth=1
	s_or_b32 exec_lo, exec_lo, s21
	s_mov_b32 s21, exec_lo
	v_cmpx_lt_u32_e32 0xffffff, v9
	s_cbranch_execz .LBB275_976
; %bb.969:                              ;   in Loop: Header=BB275_547 Depth=1
	v_lshrrev_b32_e32 v1, 24, v9
	v_bfrev_b32_e32 v60, 1
	s_mov_b32 s22, exec_lo
	v_cmpx_ne_u32_e32 0x80, v1
	s_cbranch_execz .LBB275_975
; %bb.970:                              ;   in Loop: Header=BB275_547 Depth=1
	v_and_b32_e32 v63, 0x7f, v1
	v_mov_b32_e32 v60, 0x7c010000
	s_mov_b32 s26, exec_lo
	v_cmpx_ne_u32_e32 0x7f, v63
	s_cbranch_execz .LBB275_974
; %bb.971:                              ;   in Loop: Header=BB275_547 Depth=1
	v_and_b32_e32 v60, 7, v1
	v_lshrrev_b32_e32 v62, 3, v63
	s_mov_b32 s27, exec_lo
	v_cmpx_gt_u32_e32 8, v63
; %bb.972:                              ;   in Loop: Header=BB275_547 Depth=1
	v_ffbh_u32_e32 v60, v60
	v_min_u32_e32 v60, 32, v60
	v_subrev_nc_u32_e32 v62, 28, v60
	v_lshlrev_b64 v[63:64], v62, v[1:2]
	v_sub_nc_u32_e32 v62, 29, v60
	v_and_b32_e32 v60, 7, v63
; %bb.973:                              ;   in Loop: Header=BB275_547 Depth=1
	s_or_b32 exec_lo, exec_lo, s27
	v_lshlrev_b32_e32 v1, 8, v1
	v_lshl_add_u32 v62, v62, 10, 0x2000
	v_lshlrev_b32_e32 v60, 23, v60
	v_and_or_b32 v1, 0x8000, v1, v62
	v_lshl_or_b32 v60, v1, 16, v60
.LBB275_974:                            ;   in Loop: Header=BB275_547 Depth=1
	s_or_b32 exec_lo, exec_lo, s26
.LBB275_975:                            ;   in Loop: Header=BB275_547 Depth=1
	s_or_b32 exec_lo, exec_lo, s22
.LBB275_976:                            ;   in Loop: Header=BB275_547 Depth=1
	s_or_b32 exec_lo, exec_lo, s21
	v_mov_b32_e32 v1, v10
	v_cmp_ne_u16_sdwa s0, v10, v2 src0_sel:BYTE_0 src1_sel:DWORD
	v_mov_b32_e32 v62, 0
	v_mov_b32_e32 v63, 0
	s_and_saveexec_b32 s21, s0
	s_cbranch_execz .LBB275_984
; %bb.977:                              ;   in Loop: Header=BB275_547 Depth=1
	v_cmp_ne_u16_sdwa s0, v10, v14 src0_sel:BYTE_0 src1_sel:DWORD
	v_mov_b32_e32 v63, 0x8000
	s_and_saveexec_b32 s22, s0
	s_cbranch_execz .LBB275_983
; %bb.978:                              ;   in Loop: Header=BB275_547 Depth=1
	v_and_b32_e32 v65, 0x7f, v10
	v_mov_b32_e32 v63, 0x7c01
	s_mov_b32 s26, exec_lo
	v_cmpx_ne_u32_e32 0x7f, v65
	s_cbranch_execz .LBB275_982
; %bb.979:                              ;   in Loop: Header=BB275_547 Depth=1
	v_and_b32_e32 v63, 7, v10
	v_lshrrev_b32_e32 v64, 3, v65
	s_mov_b32 s27, exec_lo
	v_cmpx_gt_u32_e32 8, v65
; %bb.980:                              ;   in Loop: Header=BB275_547 Depth=1
	v_ffbh_u32_e32 v63, v63
	v_min_u32_e32 v65, 32, v63
	v_subrev_nc_u32_e32 v63, 28, v65
	v_lshlrev_b64 v[63:64], v63, v[1:2]
	v_sub_nc_u32_e32 v64, 29, v65
	v_and_b32_e32 v63, 7, v63
; %bb.981:                              ;   in Loop: Header=BB275_547 Depth=1
	s_or_b32 exec_lo, exec_lo, s27
	v_lshlrev_b32_e32 v65, 8, v10
	v_lshl_add_u32 v64, v64, 10, 0x2000
	v_lshlrev_b32_e32 v63, 7, v63
	v_and_b32_e32 v65, 0x8000, v65
	v_and_b32_e32 v64, 0xfc00, v64
	v_or3_b32 v63, v65, v64, v63
.LBB275_982:                            ;   in Loop: Header=BB275_547 Depth=1
	s_or_b32 exec_lo, exec_lo, s26
.LBB275_983:                            ;   in Loop: Header=BB275_547 Depth=1
	s_or_b32 exec_lo, exec_lo, s22
.LBB275_984:                            ;   in Loop: Header=BB275_547 Depth=1
	s_or_b32 exec_lo, exec_lo, s21
	v_lshrrev_b16 v1, 8, v1
	v_mov_b32_e32 v64, 0
	s_mov_b32 s21, exec_lo
	v_cmpx_ne_u16_e32 0, v1
	s_cbranch_execz .LBB275_992
; %bb.985:                              ;   in Loop: Header=BB275_547 Depth=1
	v_bfrev_b32_e32 v64, 1
	s_mov_b32 s22, exec_lo
	v_cmpx_ne_u16_e32 0x80, v1
	s_cbranch_execz .LBB275_991
; %bb.986:                              ;   in Loop: Header=BB275_547 Depth=1
	v_and_b32_sdwa v66, v1, v26 dst_sel:DWORD dst_unused:UNUSED_PAD src0_sel:WORD_0 src1_sel:DWORD
	v_mov_b32_e32 v64, 0x7c010000
	s_mov_b32 s26, exec_lo
	v_cmpx_ne_u32_e32 0x7f, v66
	s_cbranch_execz .LBB275_990
; %bb.987:                              ;   in Loop: Header=BB275_547 Depth=1
	v_and_b32_sdwa v64, v1, v27 dst_sel:DWORD dst_unused:UNUSED_PAD src0_sel:WORD_0 src1_sel:DWORD
	v_lshrrev_b32_e32 v65, 3, v66
	s_mov_b32 s27, exec_lo
	v_cmpx_gt_u32_e32 8, v66
; %bb.988:                              ;   in Loop: Header=BB275_547 Depth=1
	v_ffbh_u32_e32 v64, v64
	v_min_u32_e32 v66, 32, v64
	v_subrev_nc_u32_e32 v64, 28, v66
	v_lshlrev_b64 v[64:65], v64, v[1:2]
	v_sub_nc_u32_e32 v65, 29, v66
	v_and_b32_e32 v64, 7, v64
; %bb.989:                              ;   in Loop: Header=BB275_547 Depth=1
	s_or_b32 exec_lo, exec_lo, s27
	v_lshlrev_b32_sdwa v1, v28, v1 dst_sel:DWORD dst_unused:UNUSED_PAD src0_sel:DWORD src1_sel:WORD_0
	v_lshl_add_u32 v65, v65, 10, 0x2000
	v_lshlrev_b32_e32 v64, 23, v64
	v_and_or_b32 v1, 0x8000, v1, v65
	v_lshl_or_b32 v64, v1, 16, v64
.LBB275_990:                            ;   in Loop: Header=BB275_547 Depth=1
	s_or_b32 exec_lo, exec_lo, s26
.LBB275_991:                            ;   in Loop: Header=BB275_547 Depth=1
	s_or_b32 exec_lo, exec_lo, s22
.LBB275_992:                            ;   in Loop: Header=BB275_547 Depth=1
	s_or_b32 exec_lo, exec_lo, s21
	v_lshrrev_b32_e32 v1, 16, v10
	v_cmp_ne_u16_sdwa s0, v1, v2 src0_sel:BYTE_0 src1_sel:DWORD
	s_and_saveexec_b32 s21, s0
	s_cbranch_execz .LBB275_1000
; %bb.993:                              ;   in Loop: Header=BB275_547 Depth=1
	v_cmp_ne_u16_sdwa s0, v1, v14 src0_sel:BYTE_0 src1_sel:DWORD
	v_mov_b32_e32 v62, 0x8000
	s_and_saveexec_b32 s22, s0
	s_cbranch_execz .LBB275_999
; %bb.994:                              ;   in Loop: Header=BB275_547 Depth=1
	v_bfe_u32 v66, v10, 16, 7
	v_mov_b32_e32 v62, 0x7c01
	s_mov_b32 s26, exec_lo
	v_cmpx_ne_u32_e32 0x7f, v66
	s_cbranch_execz .LBB275_998
; %bb.995:                              ;   in Loop: Header=BB275_547 Depth=1
	v_and_b32_e32 v62, 7, v1
	v_lshrrev_b32_e32 v65, 3, v66
	s_mov_b32 s27, exec_lo
	v_cmpx_gt_u32_e32 8, v66
; %bb.996:                              ;   in Loop: Header=BB275_547 Depth=1
	v_ffbh_u32_e32 v62, v62
	v_min_u32_e32 v62, 32, v62
	v_subrev_nc_u32_e32 v65, 28, v62
	v_lshlrev_b64 v[66:67], v65, v[1:2]
	v_sub_nc_u32_e32 v65, 29, v62
	v_and_b32_e32 v62, 7, v66
; %bb.997:                              ;   in Loop: Header=BB275_547 Depth=1
	s_or_b32 exec_lo, exec_lo, s27
	v_lshlrev_b32_e32 v1, 8, v1
	v_lshl_add_u32 v65, v65, 10, 0x2000
	v_lshlrev_b32_e32 v62, 7, v62
	v_and_b32_e32 v1, 0x8000, v1
	v_and_b32_e32 v65, 0xfc00, v65
	v_or3_b32 v62, v1, v65, v62
.LBB275_998:                            ;   in Loop: Header=BB275_547 Depth=1
	s_or_b32 exec_lo, exec_lo, s26
.LBB275_999:                            ;   in Loop: Header=BB275_547 Depth=1
	s_or_b32 exec_lo, exec_lo, s22
.LBB275_1000:                           ;   in Loop: Header=BB275_547 Depth=1
	s_or_b32 exec_lo, exec_lo, s21
	v_cmp_lt_u64_e64 s0, s[2:3], v[9:10]
	v_mov_b32_e32 v9, 0
	s_and_saveexec_b32 s21, s0
	s_cbranch_execz .LBB275_1008
; %bb.1001:                             ;   in Loop: Header=BB275_547 Depth=1
	v_lshrrev_b32_e32 v1, 24, v10
	v_bfrev_b32_e32 v9, 1
	s_mov_b32 s22, exec_lo
	v_cmpx_ne_u32_e32 0x80, v1
	s_cbranch_execz .LBB275_1007
; %bb.1002:                             ;   in Loop: Header=BB275_547 Depth=1
	v_and_b32_e32 v65, 0x7f, v1
	v_mov_b32_e32 v9, 0x7c010000
	s_mov_b32 s26, exec_lo
	v_cmpx_ne_u32_e32 0x7f, v65
	s_cbranch_execz .LBB275_1006
; %bb.1003:                             ;   in Loop: Header=BB275_547 Depth=1
	v_and_b32_e32 v9, 7, v1
	v_lshrrev_b32_e32 v10, 3, v65
	s_mov_b32 s27, exec_lo
	v_cmpx_gt_u32_e32 8, v65
; %bb.1004:                             ;   in Loop: Header=BB275_547 Depth=1
	v_ffbh_u32_e32 v9, v9
	v_min_u32_e32 v65, 32, v9
	v_subrev_nc_u32_e32 v9, 28, v65
	v_lshlrev_b64 v[9:10], v9, v[1:2]
	v_sub_nc_u32_e32 v10, 29, v65
	v_and_b32_e32 v9, 7, v9
; %bb.1005:                             ;   in Loop: Header=BB275_547 Depth=1
	s_or_b32 exec_lo, exec_lo, s27
	v_lshlrev_b32_e32 v1, 8, v1
	v_lshl_add_u32 v10, v10, 10, 0x2000
	v_lshlrev_b32_e32 v9, 23, v9
	v_and_or_b32 v1, 0x8000, v1, v10
	v_lshl_or_b32 v9, v1, 16, v9
.LBB275_1006:                           ;   in Loop: Header=BB275_547 Depth=1
	s_or_b32 exec_lo, exec_lo, s26
.LBB275_1007:                           ;   in Loop: Header=BB275_547 Depth=1
	s_or_b32 exec_lo, exec_lo, s22
.LBB275_1008:                           ;   in Loop: Header=BB275_547 Depth=1
	s_or_b32 exec_lo, exec_lo, s21
	v_or_b32_e32 v1, v60, v61
	s_waitcnt vmcnt(0)
	v_fma_mixlo_f16 v10, v57, v60, 0 op_sel:[0,1,0] op_sel_hi:[0,1,0]
	v_or_b32_e32 v60, v58, v59
	v_fma_mixlo_f16 v58, v57, v58, 0 op_sel:[0,1,0] op_sel_hi:[0,1,0]
	v_or_b32_e32 v61, v64, v63
	v_or_b32_e32 v62, v9, v62
	v_fma_mixlo_f16 v63, v57, v1, 0 op_sel_hi:[0,1,0]
	v_fma_mixlo_f16 v9, v57, v9, 0 op_sel:[0,1,0] op_sel_hi:[0,1,0]
	v_lshlrev_b32_e32 v59, 16, v58
	v_fma_mixlo_f16 v58, v57, v60, 0 op_sel_hi:[0,1,0]
	v_fma_mixlo_f16 v60, v57, v64, 0 op_sel:[0,1,0] op_sel_hi:[0,1,0]
	v_fma_mixlo_f16 v61, v57, v61, 0 op_sel_hi:[0,1,0]
	v_fma_mixlo_f16 v62, v57, v62, 0 op_sel_hi:[0,1,0]
	v_lshlrev_b32_e32 v1, 16, v10
	v_and_b32_e32 v10, 0xffff, v63
	v_and_b32_e32 v65, 0xffff, v58
	v_lshlrev_b32_e32 v57, 16, v60
	v_and_b32_e32 v61, 0xffff, v61
	v_lshlrev_b32_e32 v9, 16, v9
	v_and_b32_e32 v58, 0xffff, v62
	v_or_b32_e32 v60, v1, v10
	v_or_b32_e32 v64, v59, v65
	;; [unrolled: 1-line block ×4, first 2 shown]
	s_and_saveexec_b32 s21, vcc_lo
	s_cbranch_execz .LBB275_1010
; %bb.1009:                             ;   in Loop: Header=BB275_547 Depth=1
	v_cmp_gt_i32_e64 s0, s33, v33
	v_cndmask_b32_e64 v60, 0, v65, s0
	v_cmp_gt_i32_e64 s0, s33, v41
	v_cndmask_b32_e64 v59, 0, v59, s0
	v_cmp_gt_i32_e64 s0, s33, v39
	v_or_b32_e32 v64, v59, v60
	v_cndmask_b32_e64 v10, 0, v10, s0
	v_cmp_gt_i32_e64 s0, s33, v38
	v_cndmask_b32_e64 v1, 0, v1, s0
	v_cmp_gt_i32_e64 s0, s33, v37
	v_or_b32_e32 v60, v1, v10
	;; [unrolled: 5-line block ×3, first 2 shown]
	v_cndmask_b32_e64 v58, 0, v58, s0
	v_cmp_gt_i32_e64 s0, s33, v34
	v_cndmask_b32_e64 v9, 0, v9, s0
	v_or_b32_e32 v62, v9, v58
.LBB275_1010:                           ;   in Loop: Header=BB275_547 Depth=1
	s_or_b32 exec_lo, exec_lo, s21
	;;#ASMSTART
	v_pk_mul_f16 v1, v46, v64;

	;;#ASMEND
	;;#ASMSTART
	v_pk_mul_f16 v9, v45, v60;

	;;#ASMEND
	;; [unrolled: 4-line block ×4, first 2 shown]
	;;#ASMSTART
	v_pk_add_f16 v1, v1, v9;

	;;#ASMEND
	;;#ASMSTART
	v_pk_add_f16 v1, v1, v10;

	;;#ASMEND
	;; [unrolled: 4-line block ×3, first 2 shown]
	v_and_b32_e32 v9, 0xffff, v1
	v_lshrrev_b32_e32 v1, 16, v1
	;;#ASMSTART
	v_cvt_f32_f16 v9, v9;
	;;#ASMEND
	;;#ASMSTART
	v_cvt_f32_f16 v10, v1;
	;;#ASMEND
	global_load_dwordx2 v[7:8], v[7:8], off offset:1792
	v_mov_b32_e32 v58, 0
	v_mov_b32_e32 v59, 0
	global_load_dword v57, v58, s[14:15]
	s_waitcnt vmcnt(1)
	v_cmp_ne_u16_sdwa s0, v7, v2 src0_sel:BYTE_0 src1_sel:DWORD
	s_and_saveexec_b32 s21, s0
	s_cbranch_execz .LBB275_1018
; %bb.1011:                             ;   in Loop: Header=BB275_547 Depth=1
	v_cmp_ne_u16_sdwa s0, v7, v14 src0_sel:BYTE_0 src1_sel:DWORD
	v_mov_b32_e32 v59, 0x8000
	s_and_saveexec_b32 s22, s0
	s_cbranch_execz .LBB275_1017
; %bb.1012:                             ;   in Loop: Header=BB275_547 Depth=1
	v_and_b32_e32 v60, 0x7f, v7
	v_mov_b32_e32 v59, 0x7c01
	s_mov_b32 s26, exec_lo
	v_cmpx_ne_u32_e32 0x7f, v60
	s_cbranch_execz .LBB275_1016
; %bb.1013:                             ;   in Loop: Header=BB275_547 Depth=1
	v_and_b32_e32 v1, 7, v7
	v_lshrrev_b32_e32 v59, 3, v60
	s_mov_b32 s27, exec_lo
	v_cmpx_gt_u32_e32 8, v60
; %bb.1014:                             ;   in Loop: Header=BB275_547 Depth=1
	v_ffbh_u32_e32 v1, v1
	v_min_u32_e32 v1, 32, v1
	v_subrev_nc_u32_e32 v59, 28, v1
	v_lshlrev_b64 v[60:61], v59, v[7:8]
	v_sub_nc_u32_e32 v59, 29, v1
	v_and_b32_e32 v1, 7, v60
; %bb.1015:                             ;   in Loop: Header=BB275_547 Depth=1
	s_or_b32 exec_lo, exec_lo, s27
	v_lshlrev_b32_e32 v60, 8, v7
	v_lshl_add_u32 v59, v59, 10, 0x2000
	v_lshlrev_b32_e32 v1, 7, v1
	v_and_b32_e32 v60, 0x8000, v60
	v_and_b32_e32 v59, 0xfc00, v59
	v_or3_b32 v59, v60, v59, v1
.LBB275_1016:                           ;   in Loop: Header=BB275_547 Depth=1
	s_or_b32 exec_lo, exec_lo, s26
.LBB275_1017:                           ;   in Loop: Header=BB275_547 Depth=1
	s_or_b32 exec_lo, exec_lo, s22
.LBB275_1018:                           ;   in Loop: Header=BB275_547 Depth=1
	s_or_b32 exec_lo, exec_lo, s21
	v_lshrrev_b16 v1, 8, v7
	s_mov_b32 s21, exec_lo
	v_cmpx_ne_u16_e32 0, v1
	s_cbranch_execz .LBB275_1026
; %bb.1019:                             ;   in Loop: Header=BB275_547 Depth=1
	v_bfrev_b32_e32 v58, 1
	s_mov_b32 s22, exec_lo
	v_cmpx_ne_u16_e32 0x80, v1
	s_cbranch_execz .LBB275_1025
; %bb.1020:                             ;   in Loop: Header=BB275_547 Depth=1
	v_and_b32_sdwa v61, v1, v26 dst_sel:DWORD dst_unused:UNUSED_PAD src0_sel:WORD_0 src1_sel:DWORD
	v_mov_b32_e32 v58, 0x7c010000
	s_mov_b32 s26, exec_lo
	v_cmpx_ne_u32_e32 0x7f, v61
	s_cbranch_execz .LBB275_1024
; %bb.1021:                             ;   in Loop: Header=BB275_547 Depth=1
	v_and_b32_sdwa v58, v1, v27 dst_sel:DWORD dst_unused:UNUSED_PAD src0_sel:WORD_0 src1_sel:DWORD
	v_lshrrev_b32_e32 v60, 3, v61
	s_mov_b32 s27, exec_lo
	v_cmpx_gt_u32_e32 8, v61
; %bb.1022:                             ;   in Loop: Header=BB275_547 Depth=1
	v_ffbh_u32_e32 v58, v58
	v_min_u32_e32 v58, 32, v58
	v_subrev_nc_u32_e32 v60, 28, v58
	v_lshlrev_b64 v[61:62], v60, v[1:2]
	v_sub_nc_u32_e32 v60, 29, v58
	v_and_b32_e32 v58, 7, v61
; %bb.1023:                             ;   in Loop: Header=BB275_547 Depth=1
	s_or_b32 exec_lo, exec_lo, s27
	v_lshlrev_b32_sdwa v1, v28, v1 dst_sel:DWORD dst_unused:UNUSED_PAD src0_sel:DWORD src1_sel:WORD_0
	v_lshl_add_u32 v60, v60, 10, 0x2000
	v_lshlrev_b32_e32 v58, 23, v58
	v_and_or_b32 v1, 0x8000, v1, v60
	v_lshl_or_b32 v58, v1, 16, v58
.LBB275_1024:                           ;   in Loop: Header=BB275_547 Depth=1
	s_or_b32 exec_lo, exec_lo, s26
.LBB275_1025:                           ;   in Loop: Header=BB275_547 Depth=1
	s_or_b32 exec_lo, exec_lo, s22
.LBB275_1026:                           ;   in Loop: Header=BB275_547 Depth=1
	s_or_b32 exec_lo, exec_lo, s21
	v_lshrrev_b32_e32 v1, 16, v7
	v_mov_b32_e32 v60, 0
	v_mov_b32_e32 v61, 0
	v_cmp_ne_u16_sdwa s0, v1, v2 src0_sel:BYTE_0 src1_sel:DWORD
	s_and_saveexec_b32 s21, s0
	s_cbranch_execz .LBB275_1034
; %bb.1027:                             ;   in Loop: Header=BB275_547 Depth=1
	v_cmp_ne_u16_sdwa s0, v1, v14 src0_sel:BYTE_0 src1_sel:DWORD
	v_mov_b32_e32 v61, 0x8000
	s_and_saveexec_b32 s22, s0
	s_cbranch_execz .LBB275_1033
; %bb.1028:                             ;   in Loop: Header=BB275_547 Depth=1
	v_bfe_u32 v63, v7, 16, 7
	v_mov_b32_e32 v61, 0x7c01
	s_mov_b32 s26, exec_lo
	v_cmpx_ne_u32_e32 0x7f, v63
	s_cbranch_execz .LBB275_1032
; %bb.1029:                             ;   in Loop: Header=BB275_547 Depth=1
	v_and_b32_e32 v61, 7, v1
	v_lshrrev_b32_e32 v62, 3, v63
	s_mov_b32 s27, exec_lo
	v_cmpx_gt_u32_e32 8, v63
; %bb.1030:                             ;   in Loop: Header=BB275_547 Depth=1
	v_ffbh_u32_e32 v61, v61
	v_min_u32_e32 v63, 32, v61
	v_subrev_nc_u32_e32 v61, 28, v63
	v_lshlrev_b64 v[61:62], v61, v[1:2]
	v_sub_nc_u32_e32 v62, 29, v63
	v_and_b32_e32 v61, 7, v61
; %bb.1031:                             ;   in Loop: Header=BB275_547 Depth=1
	s_or_b32 exec_lo, exec_lo, s27
	v_lshlrev_b32_e32 v1, 8, v1
	v_lshl_add_u32 v62, v62, 10, 0x2000
	v_lshlrev_b32_e32 v61, 7, v61
	v_and_b32_e32 v1, 0x8000, v1
	v_and_b32_e32 v62, 0xfc00, v62
	v_or3_b32 v61, v1, v62, v61
.LBB275_1032:                           ;   in Loop: Header=BB275_547 Depth=1
	s_or_b32 exec_lo, exec_lo, s26
.LBB275_1033:                           ;   in Loop: Header=BB275_547 Depth=1
	s_or_b32 exec_lo, exec_lo, s22
.LBB275_1034:                           ;   in Loop: Header=BB275_547 Depth=1
	s_or_b32 exec_lo, exec_lo, s21
	s_mov_b32 s21, exec_lo
	v_cmpx_lt_u32_e32 0xffffff, v7
	s_cbranch_execz .LBB275_1042
; %bb.1035:                             ;   in Loop: Header=BB275_547 Depth=1
	v_lshrrev_b32_e32 v1, 24, v7
	v_bfrev_b32_e32 v60, 1
	s_mov_b32 s22, exec_lo
	v_cmpx_ne_u32_e32 0x80, v1
	s_cbranch_execz .LBB275_1041
; %bb.1036:                             ;   in Loop: Header=BB275_547 Depth=1
	v_and_b32_e32 v63, 0x7f, v1
	v_mov_b32_e32 v60, 0x7c010000
	s_mov_b32 s26, exec_lo
	v_cmpx_ne_u32_e32 0x7f, v63
	s_cbranch_execz .LBB275_1040
; %bb.1037:                             ;   in Loop: Header=BB275_547 Depth=1
	v_and_b32_e32 v60, 7, v1
	v_lshrrev_b32_e32 v62, 3, v63
	s_mov_b32 s27, exec_lo
	v_cmpx_gt_u32_e32 8, v63
; %bb.1038:                             ;   in Loop: Header=BB275_547 Depth=1
	v_ffbh_u32_e32 v60, v60
	v_min_u32_e32 v60, 32, v60
	v_subrev_nc_u32_e32 v62, 28, v60
	v_lshlrev_b64 v[63:64], v62, v[1:2]
	v_sub_nc_u32_e32 v62, 29, v60
	v_and_b32_e32 v60, 7, v63
; %bb.1039:                             ;   in Loop: Header=BB275_547 Depth=1
	s_or_b32 exec_lo, exec_lo, s27
	v_lshlrev_b32_e32 v1, 8, v1
	v_lshl_add_u32 v62, v62, 10, 0x2000
	v_lshlrev_b32_e32 v60, 23, v60
	v_and_or_b32 v1, 0x8000, v1, v62
	v_lshl_or_b32 v60, v1, 16, v60
.LBB275_1040:                           ;   in Loop: Header=BB275_547 Depth=1
	s_or_b32 exec_lo, exec_lo, s26
.LBB275_1041:                           ;   in Loop: Header=BB275_547 Depth=1
	s_or_b32 exec_lo, exec_lo, s22
.LBB275_1042:                           ;   in Loop: Header=BB275_547 Depth=1
	s_or_b32 exec_lo, exec_lo, s21
	v_mov_b32_e32 v1, v8
	v_cmp_ne_u16_sdwa s0, v8, v2 src0_sel:BYTE_0 src1_sel:DWORD
	v_mov_b32_e32 v62, 0
	v_mov_b32_e32 v63, 0
	s_and_saveexec_b32 s21, s0
	s_cbranch_execz .LBB275_1050
; %bb.1043:                             ;   in Loop: Header=BB275_547 Depth=1
	v_cmp_ne_u16_sdwa s0, v8, v14 src0_sel:BYTE_0 src1_sel:DWORD
	v_mov_b32_e32 v63, 0x8000
	s_and_saveexec_b32 s22, s0
	s_cbranch_execz .LBB275_1049
; %bb.1044:                             ;   in Loop: Header=BB275_547 Depth=1
	v_and_b32_e32 v65, 0x7f, v8
	v_mov_b32_e32 v63, 0x7c01
	s_mov_b32 s26, exec_lo
	v_cmpx_ne_u32_e32 0x7f, v65
	s_cbranch_execz .LBB275_1048
; %bb.1045:                             ;   in Loop: Header=BB275_547 Depth=1
	v_and_b32_e32 v63, 7, v8
	v_lshrrev_b32_e32 v64, 3, v65
	s_mov_b32 s27, exec_lo
	v_cmpx_gt_u32_e32 8, v65
; %bb.1046:                             ;   in Loop: Header=BB275_547 Depth=1
	v_ffbh_u32_e32 v63, v63
	v_min_u32_e32 v65, 32, v63
	v_subrev_nc_u32_e32 v63, 28, v65
	v_lshlrev_b64 v[63:64], v63, v[1:2]
	v_sub_nc_u32_e32 v64, 29, v65
	v_and_b32_e32 v63, 7, v63
; %bb.1047:                             ;   in Loop: Header=BB275_547 Depth=1
	s_or_b32 exec_lo, exec_lo, s27
	v_lshlrev_b32_e32 v65, 8, v8
	v_lshl_add_u32 v64, v64, 10, 0x2000
	v_lshlrev_b32_e32 v63, 7, v63
	v_and_b32_e32 v65, 0x8000, v65
	v_and_b32_e32 v64, 0xfc00, v64
	v_or3_b32 v63, v65, v64, v63
.LBB275_1048:                           ;   in Loop: Header=BB275_547 Depth=1
	s_or_b32 exec_lo, exec_lo, s26
.LBB275_1049:                           ;   in Loop: Header=BB275_547 Depth=1
	s_or_b32 exec_lo, exec_lo, s22
.LBB275_1050:                           ;   in Loop: Header=BB275_547 Depth=1
	s_or_b32 exec_lo, exec_lo, s21
	v_lshrrev_b16 v1, 8, v1
	v_mov_b32_e32 v64, 0
	s_mov_b32 s21, exec_lo
	v_cmpx_ne_u16_e32 0, v1
	s_cbranch_execz .LBB275_1058
; %bb.1051:                             ;   in Loop: Header=BB275_547 Depth=1
	v_bfrev_b32_e32 v64, 1
	s_mov_b32 s22, exec_lo
	v_cmpx_ne_u16_e32 0x80, v1
	s_cbranch_execz .LBB275_1057
; %bb.1052:                             ;   in Loop: Header=BB275_547 Depth=1
	v_and_b32_sdwa v66, v1, v26 dst_sel:DWORD dst_unused:UNUSED_PAD src0_sel:WORD_0 src1_sel:DWORD
	v_mov_b32_e32 v64, 0x7c010000
	s_mov_b32 s26, exec_lo
	v_cmpx_ne_u32_e32 0x7f, v66
	s_cbranch_execz .LBB275_1056
; %bb.1053:                             ;   in Loop: Header=BB275_547 Depth=1
	v_and_b32_sdwa v64, v1, v27 dst_sel:DWORD dst_unused:UNUSED_PAD src0_sel:WORD_0 src1_sel:DWORD
	v_lshrrev_b32_e32 v65, 3, v66
	s_mov_b32 s27, exec_lo
	v_cmpx_gt_u32_e32 8, v66
; %bb.1054:                             ;   in Loop: Header=BB275_547 Depth=1
	v_ffbh_u32_e32 v64, v64
	v_min_u32_e32 v66, 32, v64
	v_subrev_nc_u32_e32 v64, 28, v66
	v_lshlrev_b64 v[64:65], v64, v[1:2]
	v_sub_nc_u32_e32 v65, 29, v66
	v_and_b32_e32 v64, 7, v64
; %bb.1055:                             ;   in Loop: Header=BB275_547 Depth=1
	s_or_b32 exec_lo, exec_lo, s27
	v_lshlrev_b32_sdwa v1, v28, v1 dst_sel:DWORD dst_unused:UNUSED_PAD src0_sel:DWORD src1_sel:WORD_0
	v_lshl_add_u32 v65, v65, 10, 0x2000
	v_lshlrev_b32_e32 v64, 23, v64
	v_and_or_b32 v1, 0x8000, v1, v65
	v_lshl_or_b32 v64, v1, 16, v64
.LBB275_1056:                           ;   in Loop: Header=BB275_547 Depth=1
	s_or_b32 exec_lo, exec_lo, s26
.LBB275_1057:                           ;   in Loop: Header=BB275_547 Depth=1
	s_or_b32 exec_lo, exec_lo, s22
.LBB275_1058:                           ;   in Loop: Header=BB275_547 Depth=1
	s_or_b32 exec_lo, exec_lo, s21
	v_lshrrev_b32_e32 v1, 16, v8
	v_cmp_ne_u16_sdwa s0, v1, v2 src0_sel:BYTE_0 src1_sel:DWORD
	s_and_saveexec_b32 s21, s0
	s_cbranch_execz .LBB275_1066
; %bb.1059:                             ;   in Loop: Header=BB275_547 Depth=1
	v_cmp_ne_u16_sdwa s0, v1, v14 src0_sel:BYTE_0 src1_sel:DWORD
	v_mov_b32_e32 v62, 0x8000
	s_and_saveexec_b32 s22, s0
	s_cbranch_execz .LBB275_1065
; %bb.1060:                             ;   in Loop: Header=BB275_547 Depth=1
	v_bfe_u32 v66, v8, 16, 7
	v_mov_b32_e32 v62, 0x7c01
	s_mov_b32 s26, exec_lo
	v_cmpx_ne_u32_e32 0x7f, v66
	s_cbranch_execz .LBB275_1064
; %bb.1061:                             ;   in Loop: Header=BB275_547 Depth=1
	v_and_b32_e32 v62, 7, v1
	v_lshrrev_b32_e32 v65, 3, v66
	s_mov_b32 s27, exec_lo
	v_cmpx_gt_u32_e32 8, v66
; %bb.1062:                             ;   in Loop: Header=BB275_547 Depth=1
	v_ffbh_u32_e32 v62, v62
	v_min_u32_e32 v62, 32, v62
	v_subrev_nc_u32_e32 v65, 28, v62
	v_lshlrev_b64 v[66:67], v65, v[1:2]
	v_sub_nc_u32_e32 v65, 29, v62
	v_and_b32_e32 v62, 7, v66
; %bb.1063:                             ;   in Loop: Header=BB275_547 Depth=1
	s_or_b32 exec_lo, exec_lo, s27
	v_lshlrev_b32_e32 v1, 8, v1
	v_lshl_add_u32 v65, v65, 10, 0x2000
	v_lshlrev_b32_e32 v62, 7, v62
	v_and_b32_e32 v1, 0x8000, v1
	v_and_b32_e32 v65, 0xfc00, v65
	v_or3_b32 v62, v1, v65, v62
.LBB275_1064:                           ;   in Loop: Header=BB275_547 Depth=1
	s_or_b32 exec_lo, exec_lo, s26
.LBB275_1065:                           ;   in Loop: Header=BB275_547 Depth=1
	s_or_b32 exec_lo, exec_lo, s22
.LBB275_1066:                           ;   in Loop: Header=BB275_547 Depth=1
	s_or_b32 exec_lo, exec_lo, s21
	v_cmp_lt_u64_e64 s0, s[2:3], v[7:8]
	v_mov_b32_e32 v7, 0
	s_and_saveexec_b32 s21, s0
	s_cbranch_execz .LBB275_1074
; %bb.1067:                             ;   in Loop: Header=BB275_547 Depth=1
	v_lshrrev_b32_e32 v1, 24, v8
	v_bfrev_b32_e32 v7, 1
	s_mov_b32 s22, exec_lo
	v_cmpx_ne_u32_e32 0x80, v1
	s_cbranch_execz .LBB275_1073
; %bb.1068:                             ;   in Loop: Header=BB275_547 Depth=1
	v_and_b32_e32 v65, 0x7f, v1
	v_mov_b32_e32 v7, 0x7c010000
	s_mov_b32 s26, exec_lo
	v_cmpx_ne_u32_e32 0x7f, v65
	s_cbranch_execz .LBB275_1072
; %bb.1069:                             ;   in Loop: Header=BB275_547 Depth=1
	v_and_b32_e32 v7, 7, v1
	v_lshrrev_b32_e32 v8, 3, v65
	s_mov_b32 s27, exec_lo
	v_cmpx_gt_u32_e32 8, v65
; %bb.1070:                             ;   in Loop: Header=BB275_547 Depth=1
	v_ffbh_u32_e32 v7, v7
	v_min_u32_e32 v65, 32, v7
	v_subrev_nc_u32_e32 v7, 28, v65
	v_lshlrev_b64 v[7:8], v7, v[1:2]
	v_sub_nc_u32_e32 v8, 29, v65
	v_and_b32_e32 v7, 7, v7
; %bb.1071:                             ;   in Loop: Header=BB275_547 Depth=1
	s_or_b32 exec_lo, exec_lo, s27
	v_lshlrev_b32_e32 v1, 8, v1
	v_lshl_add_u32 v8, v8, 10, 0x2000
	v_lshlrev_b32_e32 v7, 23, v7
	v_and_or_b32 v1, 0x8000, v1, v8
	v_lshl_or_b32 v7, v1, 16, v7
.LBB275_1072:                           ;   in Loop: Header=BB275_547 Depth=1
	s_or_b32 exec_lo, exec_lo, s26
.LBB275_1073:                           ;   in Loop: Header=BB275_547 Depth=1
	s_or_b32 exec_lo, exec_lo, s22
.LBB275_1074:                           ;   in Loop: Header=BB275_547 Depth=1
	s_or_b32 exec_lo, exec_lo, s21
	v_or_b32_e32 v1, v60, v61
	s_waitcnt vmcnt(0)
	v_fma_mixlo_f16 v8, v57, v60, 0 op_sel:[0,1,0] op_sel_hi:[0,1,0]
	v_or_b32_e32 v59, v58, v59
	v_fma_mixlo_f16 v60, v57, v58, 0 op_sel:[0,1,0] op_sel_hi:[0,1,0]
	v_or_b32_e32 v61, v64, v63
	v_fma_mixlo_f16 v1, v57, v1, 0 op_sel_hi:[0,1,0]
	v_or_b32_e32 v62, v7, v62
	v_lshlrev_b32_e32 v58, 16, v8
	v_lshlrev_b32_e32 v63, 16, v60
	v_fma_mixlo_f16 v8, v57, v59, 0 op_sel_hi:[0,1,0]
	v_and_b32_e32 v60, 0xffff, v1
	v_fma_mixlo_f16 v1, v57, v64, 0 op_sel:[0,1,0] op_sel_hi:[0,1,0]
	v_fma_mixlo_f16 v59, v57, v61, 0 op_sel_hi:[0,1,0]
	v_fma_mixlo_f16 v7, v57, v7, 0 op_sel:[0,1,0] op_sel_hi:[0,1,0]
	v_fma_mixlo_f16 v57, v57, v62, 0 op_sel_hi:[0,1,0]
	v_and_b32_e32 v65, 0xffff, v8
	v_lshlrev_b32_e32 v61, 16, v1
	v_and_b32_e32 v64, 0xffff, v59
	v_lshlrev_b32_e32 v59, 16, v7
	v_and_b32_e32 v62, 0xffff, v57
	v_or_b32_e32 v8, v58, v60
	v_or_b32_e32 v57, v63, v65
	;; [unrolled: 1-line block ×4, first 2 shown]
	s_and_saveexec_b32 s0, vcc_lo
	s_cbranch_execz .LBB275_545
; %bb.1075:                             ;   in Loop: Header=BB275_547 Depth=1
	v_cmp_gt_i32_e32 vcc_lo, s33, v33
	v_cndmask_b32_e32 v1, 0, v65, vcc_lo
	v_cmp_gt_i32_e32 vcc_lo, s33, v41
	v_cndmask_b32_e32 v7, 0, v63, vcc_lo
	v_cmp_gt_i32_e32 vcc_lo, s33, v39
	v_or_b32_e32 v57, v7, v1
	v_cndmask_b32_e32 v8, 0, v60, vcc_lo
	v_cmp_gt_i32_e32 vcc_lo, s33, v38
	v_cndmask_b32_e32 v33, 0, v58, vcc_lo
	v_cmp_gt_i32_e32 vcc_lo, s33, v37
	v_or_b32_e32 v8, v33, v8
	;; [unrolled: 5-line block ×3, first 2 shown]
	v_cndmask_b32_e32 v35, 0, v62, vcc_lo
	v_cmp_gt_i32_e32 vcc_lo, s33, v34
	v_cndmask_b32_e32 v34, 0, v59, vcc_lo
	v_or_b32_e32 v1, v34, v35
	s_branch .LBB275_545
.LBB275_1076:
	s_or_b32 exec_lo, exec_lo, s17
.LBB275_1077:
	s_or_b32 exec_lo, exec_lo, s1
	ds_bpermute_b32 v1, v17, v25
	ds_bpermute_b32 v2, v17, v24
	;; [unrolled: 1-line block ×8, first 2 shown]
	v_lshrrev_b32_e32 v9, 2, v12
	v_lshlrev_b32_e32 v11, 8, v11
	s_mov_b32 s0, exec_lo
	s_waitcnt lgkmcnt(0)
	s_barrier
	buffer_gl0_inv
	v_add_f32_e32 v1, v25, v1
	v_add_f32_e32 v2, v24, v2
	;; [unrolled: 1-line block ×8, first 2 shown]
	ds_bpermute_b32 v5, v16, v1
	ds_bpermute_b32 v6, v16, v2
	;; [unrolled: 1-line block ×8, first 2 shown]
	v_and_b32_e32 v7, 28, v12
	v_and_b32_e32 v12, 0x3c3, v0
	v_add_nc_u32_e32 v10, 0xa0, v7
	s_waitcnt lgkmcnt(7)
	v_add_f32_e32 v8, v1, v5
	s_waitcnt lgkmcnt(6)
	v_add_f32_e32 v7, v2, v6
	;; [unrolled: 2-line block ×8, first 2 shown]
	v_cmpx_eq_u32_e32 64, v12
	s_cbranch_execz .LBB275_1079
; %bb.1078:
	v_add_nc_u32_e32 v12, v10, v11
	v_add_nc_u32_e32 v13, 0xfffffe00, v12
	;; [unrolled: 1-line block ×9, first 2 shown]
	ds_write_b32 v13, v8
	ds_write_b32 v14, v7
	;; [unrolled: 1-line block ×8, first 2 shown]
.LBB275_1079:
	s_or_b32 exec_lo, exec_lo, s0
	v_lshlrev_b32_e32 v9, 2, v9
	s_mov_b32 s1, exec_lo
	v_cmp_eq_u32_e32 vcc_lo, 0, v15
	s_waitcnt lgkmcnt(0)
	s_barrier
	v_add3_u32 v9, 0xa0, v11, v9
	buffer_gl0_inv
	v_cmpx_gt_u32_e32 64, v0
	s_cbranch_execz .LBB275_1090
; %bb.1080:
	s_and_saveexec_b32 s0, vcc_lo
	s_cbranch_execnz .LBB275_1106
; %bb.1081:
	s_or_b32 exec_lo, exec_lo, s0
	s_and_saveexec_b32 s0, vcc_lo
	s_cbranch_execnz .LBB275_1107
.LBB275_1082:
	s_or_b32 exec_lo, exec_lo, s0
	s_and_saveexec_b32 s0, vcc_lo
	s_cbranch_execnz .LBB275_1108
.LBB275_1083:
	s_or_b32 exec_lo, exec_lo, s0
	s_and_saveexec_b32 s0, vcc_lo
	s_cbranch_execnz .LBB275_1109
.LBB275_1084:
	s_or_b32 exec_lo, exec_lo, s0
	s_and_saveexec_b32 s0, vcc_lo
	s_cbranch_execnz .LBB275_1110
.LBB275_1085:
	s_or_b32 exec_lo, exec_lo, s0
	s_and_saveexec_b32 s0, vcc_lo
	s_cbranch_execnz .LBB275_1111
.LBB275_1086:
	s_or_b32 exec_lo, exec_lo, s0
	s_and_saveexec_b32 s0, vcc_lo
	s_cbranch_execnz .LBB275_1112
.LBB275_1087:
	s_or_b32 exec_lo, exec_lo, s0
	s_and_saveexec_b32 s0, vcc_lo
	s_cbranch_execz .LBB275_1089
.LBB275_1088:
	ds_read_b32 v11, v9 offset:224
	s_waitcnt lgkmcnt(0)
	v_add_f32_e32 v1, v1, v11
.LBB275_1089:
	s_or_b32 exec_lo, exec_lo, s0
.LBB275_1090:
	s_or_b32 exec_lo, exec_lo, s1
	v_and_b32_e32 v11, 0x3e3, v0
	s_mov_b32 s1, exec_lo
	s_barrier
	buffer_gl0_inv
	v_cmpx_eq_u32_e32 32, v11
	s_cbranch_execz .LBB275_1092
; %bb.1091:
	ds_write2_b32 v10, v8, v7 offset1:8
	ds_write2_b32 v10, v6, v5 offset0:16 offset1:24
	ds_write2_b32 v10, v4, v3 offset0:32 offset1:40
	;; [unrolled: 1-line block ×3, first 2 shown]
.LBB275_1092:
	s_or_b32 exec_lo, exec_lo, s1
	s_mov_b32 s1, exec_lo
	s_waitcnt lgkmcnt(0)
	s_barrier
	buffer_gl0_inv
	v_cmpx_gt_u32_e32 32, v0
	s_cbranch_execz .LBB275_1103
; %bb.1093:
	s_and_saveexec_b32 s0, vcc_lo
	s_cbranch_execnz .LBB275_1113
; %bb.1094:
	s_or_b32 exec_lo, exec_lo, s0
	s_and_saveexec_b32 s0, vcc_lo
	s_cbranch_execnz .LBB275_1114
.LBB275_1095:
	s_or_b32 exec_lo, exec_lo, s0
	s_and_saveexec_b32 s0, vcc_lo
	s_cbranch_execnz .LBB275_1115
.LBB275_1096:
	s_or_b32 exec_lo, exec_lo, s0
	s_and_saveexec_b32 s0, vcc_lo
	s_cbranch_execnz .LBB275_1116
.LBB275_1097:
	s_or_b32 exec_lo, exec_lo, s0
	s_and_saveexec_b32 s0, vcc_lo
	s_cbranch_execnz .LBB275_1117
.LBB275_1098:
	s_or_b32 exec_lo, exec_lo, s0
	s_and_saveexec_b32 s0, vcc_lo
	s_cbranch_execnz .LBB275_1118
.LBB275_1099:
	s_or_b32 exec_lo, exec_lo, s0
	s_and_saveexec_b32 s0, vcc_lo
	s_cbranch_execnz .LBB275_1119
.LBB275_1100:
	s_or_b32 exec_lo, exec_lo, s0
	s_and_saveexec_b32 s0, vcc_lo
	s_cbranch_execz .LBB275_1102
.LBB275_1101:
	ds_read_b32 v9, v9 offset:224
	s_waitcnt lgkmcnt(0)
	v_add_f32_e32 v1, v1, v9
.LBB275_1102:
	s_or_b32 exec_lo, exec_lo, s0
.LBB275_1103:
	s_or_b32 exec_lo, exec_lo, s1
	s_barrier
	buffer_gl0_inv
	s_mov_b32 s0, exec_lo
	v_cmpx_eq_u32_e32 0, v11
	s_cbranch_execz .LBB275_1105
; %bb.1104:
	s_mul_i32 s0, s10, s11
	s_mul_i32 s2, s11, s24
	;; [unrolled: 1-line block ×3, first 2 shown]
	v_lshrrev_b32_e32 v0, 1, v0
	s_lshl_b32 s0, s0, 6
	;;#ASMSTART
	v_cvt_f16_f32 v8, v8;

	;;#ASMEND
	s_ashr_i32 s1, s0, 31
	s_lshl_b64 s[0:1], s[0:1], 1
	s_add_u32 s4, s6, s0
	s_addc_u32 s5, s7, s1
	s_ashr_i32 s3, s2, 31
	s_lshl_b64 s[0:1], s[2:3], 1
	s_add_u32 s2, s4, s0
	s_addc_u32 s3, s5, s1
	s_lshl_b32 s0, s8, 6
	s_ashr_i32 s1, s0, 31
	s_lshl_b64 s[0:1], s[0:1], 1
	s_add_u32 s0, s2, s0
	s_addc_u32 s1, s3, s1
	global_store_short v0, v8, s[0:1]
	;;#ASMSTART
	v_cvt_f16_f32 v7, v7;

	;;#ASMEND
	global_store_short v0, v7, s[0:1] offset:16
	;;#ASMSTART
	v_cvt_f16_f32 v6, v6;

	;;#ASMEND
	global_store_short v0, v6, s[0:1] offset:32
	;; [unrolled: 5-line block ×7, first 2 shown]
.LBB275_1105:
	s_endpgm
.LBB275_1106:
	ds_read_b32 v11, v9
	s_waitcnt lgkmcnt(0)
	v_add_f32_e32 v8, v8, v11
	s_or_b32 exec_lo, exec_lo, s0
	s_and_saveexec_b32 s0, vcc_lo
	s_cbranch_execz .LBB275_1082
.LBB275_1107:
	ds_read_b32 v11, v9 offset:32
	s_waitcnt lgkmcnt(0)
	v_add_f32_e32 v7, v7, v11
	s_or_b32 exec_lo, exec_lo, s0
	s_and_saveexec_b32 s0, vcc_lo
	s_cbranch_execz .LBB275_1083
.LBB275_1108:
	ds_read_b32 v11, v9 offset:64
	s_waitcnt lgkmcnt(0)
	v_add_f32_e32 v6, v6, v11
	s_or_b32 exec_lo, exec_lo, s0
	s_and_saveexec_b32 s0, vcc_lo
	s_cbranch_execz .LBB275_1084
.LBB275_1109:
	ds_read_b32 v11, v9 offset:96
	s_waitcnt lgkmcnt(0)
	v_add_f32_e32 v5, v5, v11
	s_or_b32 exec_lo, exec_lo, s0
	s_and_saveexec_b32 s0, vcc_lo
	s_cbranch_execz .LBB275_1085
.LBB275_1110:
	ds_read_b32 v11, v9 offset:128
	s_waitcnt lgkmcnt(0)
	v_add_f32_e32 v4, v4, v11
	s_or_b32 exec_lo, exec_lo, s0
	s_and_saveexec_b32 s0, vcc_lo
	s_cbranch_execz .LBB275_1086
.LBB275_1111:
	ds_read_b32 v11, v9 offset:160
	s_waitcnt lgkmcnt(0)
	v_add_f32_e32 v3, v3, v11
	s_or_b32 exec_lo, exec_lo, s0
	s_and_saveexec_b32 s0, vcc_lo
	s_cbranch_execz .LBB275_1087
.LBB275_1112:
	ds_read_b32 v11, v9 offset:192
	s_waitcnt lgkmcnt(0)
	v_add_f32_e32 v2, v2, v11
	s_or_b32 exec_lo, exec_lo, s0
	s_and_saveexec_b32 s0, vcc_lo
	s_cbranch_execnz .LBB275_1088
	s_branch .LBB275_1089
.LBB275_1113:
	ds_read_b32 v10, v9
	s_waitcnt lgkmcnt(0)
	v_add_f32_e32 v8, v8, v10
	s_or_b32 exec_lo, exec_lo, s0
	s_and_saveexec_b32 s0, vcc_lo
	s_cbranch_execz .LBB275_1095
.LBB275_1114:
	ds_read_b32 v10, v9 offset:32
	s_waitcnt lgkmcnt(0)
	v_add_f32_e32 v7, v7, v10
	s_or_b32 exec_lo, exec_lo, s0
	s_and_saveexec_b32 s0, vcc_lo
	s_cbranch_execz .LBB275_1096
.LBB275_1115:
	ds_read_b32 v10, v9 offset:64
	s_waitcnt lgkmcnt(0)
	v_add_f32_e32 v6, v6, v10
	s_or_b32 exec_lo, exec_lo, s0
	s_and_saveexec_b32 s0, vcc_lo
	s_cbranch_execz .LBB275_1097
.LBB275_1116:
	ds_read_b32 v10, v9 offset:96
	s_waitcnt lgkmcnt(0)
	v_add_f32_e32 v5, v5, v10
	s_or_b32 exec_lo, exec_lo, s0
	s_and_saveexec_b32 s0, vcc_lo
	s_cbranch_execz .LBB275_1098
.LBB275_1117:
	ds_read_b32 v10, v9 offset:128
	s_waitcnt lgkmcnt(0)
	v_add_f32_e32 v4, v4, v10
	s_or_b32 exec_lo, exec_lo, s0
	s_and_saveexec_b32 s0, vcc_lo
	s_cbranch_execz .LBB275_1099
.LBB275_1118:
	ds_read_b32 v10, v9 offset:160
	s_waitcnt lgkmcnt(0)
	v_add_f32_e32 v3, v3, v10
	s_or_b32 exec_lo, exec_lo, s0
	s_and_saveexec_b32 s0, vcc_lo
	s_cbranch_execz .LBB275_1100
.LBB275_1119:
	ds_read_b32 v10, v9 offset:192
	s_waitcnt lgkmcnt(0)
	v_add_f32_e32 v2, v2, v10
	s_or_b32 exec_lo, exec_lo, s0
	s_and_saveexec_b32 s0, vcc_lo
	s_cbranch_execnz .LBB275_1101
	s_branch .LBB275_1102
	.section	.rodata,"a",@progbits
	.p2align	6, 0x0
	.amdhsa_kernel _ZN4vllm25paged_attention_v1_kernelIthLi64ELi32ELi128ELNS_18Fp8KVCacheDataTypeE1ELb1EEEvPT_PKS2_PKT0_S8_ifPKiSA_iPKfiiiSC_SC_iiiii
		.amdhsa_group_segment_fixed_size 160
		.amdhsa_private_segment_fixed_size 0
		.amdhsa_kernarg_size 384
		.amdhsa_user_sgpr_count 6
		.amdhsa_user_sgpr_private_segment_buffer 1
		.amdhsa_user_sgpr_dispatch_ptr 0
		.amdhsa_user_sgpr_queue_ptr 0
		.amdhsa_user_sgpr_kernarg_segment_ptr 1
		.amdhsa_user_sgpr_dispatch_id 0
		.amdhsa_user_sgpr_flat_scratch_init 0
		.amdhsa_user_sgpr_private_segment_size 0
		.amdhsa_wavefront_size32 1
		.amdhsa_uses_dynamic_stack 0
		.amdhsa_system_sgpr_private_segment_wavefront_offset 0
		.amdhsa_system_sgpr_workgroup_id_x 1
		.amdhsa_system_sgpr_workgroup_id_y 1
		.amdhsa_system_sgpr_workgroup_id_z 1
		.amdhsa_system_sgpr_workgroup_info 0
		.amdhsa_system_vgpr_workitem_id 0
		.amdhsa_next_free_vgpr 115
		.amdhsa_next_free_sgpr 45
		.amdhsa_reserve_vcc 1
		.amdhsa_reserve_flat_scratch 0
		.amdhsa_float_round_mode_32 0
		.amdhsa_float_round_mode_16_64 0
		.amdhsa_float_denorm_mode_32 3
		.amdhsa_float_denorm_mode_16_64 3
		.amdhsa_dx10_clamp 1
		.amdhsa_ieee_mode 1
		.amdhsa_fp16_overflow 0
		.amdhsa_workgroup_processor_mode 1
		.amdhsa_memory_ordered 1
		.amdhsa_forward_progress 1
		.amdhsa_shared_vgpr_count 0
		.amdhsa_exception_fp_ieee_invalid_op 0
		.amdhsa_exception_fp_denorm_src 0
		.amdhsa_exception_fp_ieee_div_zero 0
		.amdhsa_exception_fp_ieee_overflow 0
		.amdhsa_exception_fp_ieee_underflow 0
		.amdhsa_exception_fp_ieee_inexact 0
		.amdhsa_exception_int_div_zero 0
	.end_amdhsa_kernel
	.section	.text._ZN4vllm25paged_attention_v1_kernelIthLi64ELi32ELi128ELNS_18Fp8KVCacheDataTypeE1ELb1EEEvPT_PKS2_PKT0_S8_ifPKiSA_iPKfiiiSC_SC_iiiii,"axG",@progbits,_ZN4vllm25paged_attention_v1_kernelIthLi64ELi32ELi128ELNS_18Fp8KVCacheDataTypeE1ELb1EEEvPT_PKS2_PKT0_S8_ifPKiSA_iPKfiiiSC_SC_iiiii,comdat
.Lfunc_end275:
	.size	_ZN4vllm25paged_attention_v1_kernelIthLi64ELi32ELi128ELNS_18Fp8KVCacheDataTypeE1ELb1EEEvPT_PKS2_PKT0_S8_ifPKiSA_iPKfiiiSC_SC_iiiii, .Lfunc_end275-_ZN4vllm25paged_attention_v1_kernelIthLi64ELi32ELi128ELNS_18Fp8KVCacheDataTypeE1ELb1EEEvPT_PKS2_PKT0_S8_ifPKiSA_iPKfiiiSC_SC_iiiii
                                        ; -- End function
	.set _ZN4vllm25paged_attention_v1_kernelIthLi64ELi32ELi128ELNS_18Fp8KVCacheDataTypeE1ELb1EEEvPT_PKS2_PKT0_S8_ifPKiSA_iPKfiiiSC_SC_iiiii.num_vgpr, 115
	.set _ZN4vllm25paged_attention_v1_kernelIthLi64ELi32ELi128ELNS_18Fp8KVCacheDataTypeE1ELb1EEEvPT_PKS2_PKT0_S8_ifPKiSA_iPKfiiiSC_SC_iiiii.num_agpr, 0
	.set _ZN4vllm25paged_attention_v1_kernelIthLi64ELi32ELi128ELNS_18Fp8KVCacheDataTypeE1ELb1EEEvPT_PKS2_PKT0_S8_ifPKiSA_iPKfiiiSC_SC_iiiii.numbered_sgpr, 45
	.set _ZN4vllm25paged_attention_v1_kernelIthLi64ELi32ELi128ELNS_18Fp8KVCacheDataTypeE1ELb1EEEvPT_PKS2_PKT0_S8_ifPKiSA_iPKfiiiSC_SC_iiiii.num_named_barrier, 0
	.set _ZN4vllm25paged_attention_v1_kernelIthLi64ELi32ELi128ELNS_18Fp8KVCacheDataTypeE1ELb1EEEvPT_PKS2_PKT0_S8_ifPKiSA_iPKfiiiSC_SC_iiiii.private_seg_size, 0
	.set _ZN4vllm25paged_attention_v1_kernelIthLi64ELi32ELi128ELNS_18Fp8KVCacheDataTypeE1ELb1EEEvPT_PKS2_PKT0_S8_ifPKiSA_iPKfiiiSC_SC_iiiii.uses_vcc, 1
	.set _ZN4vllm25paged_attention_v1_kernelIthLi64ELi32ELi128ELNS_18Fp8KVCacheDataTypeE1ELb1EEEvPT_PKS2_PKT0_S8_ifPKiSA_iPKfiiiSC_SC_iiiii.uses_flat_scratch, 0
	.set _ZN4vllm25paged_attention_v1_kernelIthLi64ELi32ELi128ELNS_18Fp8KVCacheDataTypeE1ELb1EEEvPT_PKS2_PKT0_S8_ifPKiSA_iPKfiiiSC_SC_iiiii.has_dyn_sized_stack, 0
	.set _ZN4vllm25paged_attention_v1_kernelIthLi64ELi32ELi128ELNS_18Fp8KVCacheDataTypeE1ELb1EEEvPT_PKS2_PKT0_S8_ifPKiSA_iPKfiiiSC_SC_iiiii.has_recursion, 0
	.set _ZN4vllm25paged_attention_v1_kernelIthLi64ELi32ELi128ELNS_18Fp8KVCacheDataTypeE1ELb1EEEvPT_PKS2_PKT0_S8_ifPKiSA_iPKfiiiSC_SC_iiiii.has_indirect_call, 0
	.section	.AMDGPU.csdata,"",@progbits
; Kernel info:
; codeLenInByte = 36484
; TotalNumSgprs: 47
; NumVgprs: 115
; ScratchSize: 0
; MemoryBound: 0
; FloatMode: 240
; IeeeMode: 1
; LDSByteSize: 160 bytes/workgroup (compile time only)
; SGPRBlocks: 0
; VGPRBlocks: 14
; NumSGPRsForWavesPerEU: 47
; NumVGPRsForWavesPerEU: 115
; Occupancy: 8
; WaveLimiterHint : 1
; COMPUTE_PGM_RSRC2:SCRATCH_EN: 0
; COMPUTE_PGM_RSRC2:USER_SGPR: 6
; COMPUTE_PGM_RSRC2:TRAP_HANDLER: 0
; COMPUTE_PGM_RSRC2:TGID_X_EN: 1
; COMPUTE_PGM_RSRC2:TGID_Y_EN: 1
; COMPUTE_PGM_RSRC2:TGID_Z_EN: 1
; COMPUTE_PGM_RSRC2:TIDIG_COMP_CNT: 0
	.section	.text._ZN4vllm25paged_attention_v1_kernelIthLi80ELi32ELi128ELNS_18Fp8KVCacheDataTypeE1ELb1EEEvPT_PKS2_PKT0_S8_ifPKiSA_iPKfiiiSC_SC_iiiii,"axG",@progbits,_ZN4vllm25paged_attention_v1_kernelIthLi80ELi32ELi128ELNS_18Fp8KVCacheDataTypeE1ELb1EEEvPT_PKS2_PKT0_S8_ifPKiSA_iPKfiiiSC_SC_iiiii,comdat
	.protected	_ZN4vllm25paged_attention_v1_kernelIthLi80ELi32ELi128ELNS_18Fp8KVCacheDataTypeE1ELb1EEEvPT_PKS2_PKT0_S8_ifPKiSA_iPKfiiiSC_SC_iiiii ; -- Begin function _ZN4vllm25paged_attention_v1_kernelIthLi80ELi32ELi128ELNS_18Fp8KVCacheDataTypeE1ELb1EEEvPT_PKS2_PKT0_S8_ifPKiSA_iPKfiiiSC_SC_iiiii
	.globl	_ZN4vllm25paged_attention_v1_kernelIthLi80ELi32ELi128ELNS_18Fp8KVCacheDataTypeE1ELb1EEEvPT_PKS2_PKT0_S8_ifPKiSA_iPKfiiiSC_SC_iiiii
	.p2align	8
	.type	_ZN4vllm25paged_attention_v1_kernelIthLi80ELi32ELi128ELNS_18Fp8KVCacheDataTypeE1ELb1EEEvPT_PKS2_PKT0_S8_ifPKiSA_iPKfiiiSC_SC_iiiii,@function
_ZN4vllm25paged_attention_v1_kernelIthLi80ELi32ELi128ELNS_18Fp8KVCacheDataTypeE1ELb1EEEvPT_PKS2_PKT0_S8_ifPKiSA_iPKfiiiSC_SC_iiiii: ; @_ZN4vllm25paged_attention_v1_kernelIthLi80ELi32ELi128ELNS_18Fp8KVCacheDataTypeE1ELb1EEEvPT_PKS2_PKT0_S8_ifPKiSA_iPKfiiiSC_SC_iiiii
; %bb.0:
	s_mov_b64 s[50:51], s[2:3]
	s_mov_b64 s[48:49], s[0:1]
	s_mov_b32 s10, s7
	s_add_u32 s48, s48, s9
	s_clause 0x2
	s_load_dword s9, s[4:5], 0x80
	s_load_dwordx2 s[0:1], s[4:5], 0x30
	s_load_dwordx2 s[2:3], s[4:5], 0x20
	s_addc_u32 s49, s49, 0
	s_ashr_i32 s11, s7, 31
	s_mov_b32 s35, 0
	s_lshl_b64 s[12:13], s[10:11], 2
	s_waitcnt lgkmcnt(0)
	s_add_u32 s0, s0, s12
	s_addc_u32 s1, s1, s13
	s_abs_i32 s7, s2
	s_abs_i32 s13, s9
	v_cvt_f32_u32_e32 v1, s7
	s_sub_i32 s12, 0, s7
	v_rcp_iflag_f32_e32 v1, v1
	v_mul_f32_e32 v1, 0x4f7ffffe, v1
	v_cvt_u32_f32_e32 v1, v1
	v_readfirstlane_b32 s11, v1
	s_mul_i32 s12, s12, s11
	s_mul_hi_u32 s12, s11, s12
	s_add_i32 s11, s11, s12
	s_xor_b32 s12, s9, s2
	s_mul_hi_u32 s11, s13, s11
	s_ashr_i32 s12, s12, 31
	s_mul_i32 s14, s11, s7
	s_sub_i32 s13, s13, s14
	s_add_i32 s14, s11, 1
	s_sub_i32 s15, s13, s7
	s_cmp_ge_u32 s13, s7
	s_cselect_b32 s11, s14, s11
	s_cselect_b32 s13, s15, s13
	s_add_i32 s14, s11, 1
	s_cmp_ge_u32 s13, s7
	s_cselect_b32 s7, s14, s11
	s_xor_b32 s7, s7, s12
	s_sub_i32 s20, s7, s12
	s_load_dwordx2 s[12:13], s[4:5], 0x40
	s_abs_i32 s11, s20
	v_cvt_f32_u32_e32 v1, s11
	s_sub_i32 s14, 0, s11
	v_rcp_iflag_f32_e32 v1, v1
	v_mul_f32_e32 v1, 0x4f7ffffe, v1
	v_cvt_u32_f32_e32 v1, v1
	v_readfirstlane_b32 s7, v1
	s_mul_i32 s14, s14, s7
	s_mul_hi_u32 s15, s7, s14
	s_abs_i32 s14, s6
	s_add_i32 s7, s7, s15
	s_waitcnt lgkmcnt(0)
	s_cmp_eq_u64 s[12:13], 0
	s_mul_hi_u32 s15, s14, s7
	s_cbranch_scc1 .LBB276_2
; %bb.1:
	s_ashr_i32 s7, s6, 31
	s_lshl_b64 s[16:17], s[6:7], 2
	s_add_u32 s12, s12, s16
	s_addc_u32 s13, s13, s17
	s_load_dword s35, s[12:13], 0x0
.LBB276_2:
	s_load_dword s33, s[0:1], 0x0
	s_load_dwordx4 s[16:19], s[4:5], 0x48
	s_ashr_i32 s0, s6, 31
	s_ashr_i32 s1, s20, 31
	s_mul_i32 s24, s6, 0x50
	s_mov_b32 s7, exec_lo
	v_cmpx_gt_u32_e32 10, v0
	s_cbranch_execz .LBB276_4
; %bb.3:
	s_load_dwordx2 s[12:13], s[4:5], 0x8
	s_waitcnt lgkmcnt(0)
	s_mul_i32 s20, s16, s10
	v_lshlrev_b32_e32 v5, 4, v0
	s_ashr_i32 s21, s20, 31
	s_lshl_b64 s[20:21], s[20:21], 1
	s_add_u32 s16, s12, s20
	s_addc_u32 s19, s13, s21
	s_ashr_i32 s25, s24, 31
	s_lshl_b64 s[12:13], s[24:25], 1
	s_add_u32 s12, s16, s12
	s_addc_u32 s13, s19, s13
	global_load_dwordx4 v[1:4], v5, s[12:13]
	s_waitcnt vmcnt(0)
	ds_write_b128 v5, v[1:4]
.LBB276_4:
	s_or_b32 exec_lo, exec_lo, s7
	s_load_dwordx4 s[20:23], s[4:5], 0x68
	s_mul_i32 s7, s15, s11
	s_xor_b32 s1, s0, s1
	s_sub_i32 s0, s14, s7
	s_add_i32 s7, s15, 1
	s_sub_i32 s12, s0, s11
	s_cmp_ge_u32 s0, s11
	s_waitcnt lgkmcnt(0)
	s_cselect_b32 s7, s7, s15
	s_cselect_b32 s0, s12, s0
	s_add_i32 s12, s7, 1
	s_cmp_ge_u32 s0, s11
	s_load_dword s0, s[4:5], 0x78
	s_cselect_b32 s7, s12, s7
	s_mov_b32 s12, -1
	s_xor_b32 s7, s7, s1
	s_barrier
	s_sub_i32 s1, s7, s1
	s_waitcnt lgkmcnt(0)
	buffer_gl0_inv
                                        ; implicit-def: $sgpr25
	s_abs_i32 s16, s23
	v_cvt_f32_u32_e32 v1, s16
	s_sub_i32 s7, 0, s16
	v_rcp_iflag_f32_e32 v1, v1
	v_mul_f32_e32 v1, 0x4f7ffffe, v1
	v_cvt_u32_f32_e32 v1, v1
	v_readfirstlane_b32 s19, v1
	s_mul_i32 s11, s7, s19
	s_add_i32 s7, s33, -1
	s_mul_hi_u32 s13, s19, s11
	s_abs_i32 s11, s7
	s_add_i32 s19, s19, s13
	s_cmp_lt_i32 s0, 0
	s_mul_hi_u32 s34, s11, s19
	s_cbranch_scc0 .LBB276_6
; %bb.5:
	s_mul_i32 s2, s20, s2
	s_mov_b32 s12, 0
	s_add_i32 s2, s1, s2
	s_mul_i32 s2, s2, s0
	s_sub_i32 s25, 1, s2
.LBB276_6:
	s_load_dwordx2 s[26:27], s[4:5], 0x28
	s_ashr_i32 s2, s7, 31
	s_andn2_b32 vcc_lo, exec_lo, s12
	s_ashr_i32 s23, s23, 31
	s_cbranch_vccnz .LBB276_8
; %bb.7:
	s_mul_i32 s7, s9, s20
	s_add_i32 s6, s7, s6
	s_mul_i32 s0, s6, s0
	s_add_i32 s25, s0, 1
.LBB276_8:
	s_clause 0x2
	s_load_dword s0, s[4:5], 0x38
	s_load_dwordx2 s[6:7], s[4:5], 0x0
	s_load_dwordx2 s[30:31], s[4:5], 0x18
	s_mul_i32 s12, s34, s16
	s_xor_b32 s2, s2, s23
	s_sub_i32 s36, s11, s12
	s_add_i32 s20, s34, 1
	s_clause 0x1
	s_load_dword s11, s[4:5], 0x88
	s_load_dwordx4 s[12:15], s[4:5], 0x58
	v_lshrrev_b32_e32 v1, 5, v0
	v_and_b32_e32 v2, 31, v0
	v_mov_b32_e32 v16, 0xff7fffff
	v_lshrrev_b32_e32 v11, 3, v0
	s_mul_i32 s18, s1, s18
	v_lshlrev_b32_e32 v13, 5, v1
	v_lshlrev_b32_e32 v12, 2, v2
	s_waitcnt lgkmcnt(0)
	s_mul_i32 s28, s0, s10
	s_sub_i32 s0, s36, s16
	s_ashr_i32 s29, s28, 31
	s_cmp_ge_u32 s36, s16
	s_cselect_b32 s20, s20, s34
	s_cselect_b32 s0, s0, s36
	s_add_i32 s34, s20, 1
	s_cmp_ge_u32 s0, s16
	s_cselect_b32 s0, s34, s20
	s_add_i32 s20, s33, 31
	s_ashr_i32 s34, s20, 31
	s_lshr_b32 s34, s34, 27
	s_add_i32 s20, s20, s34
	s_xor_b32 s34, s0, s2
	s_ashr_i32 s20, s20, 5
	s_sub_i32 s34, s34, s2
	v_cmp_gt_i32_e64 s0, s20, v1
	s_and_saveexec_b32 s36, s0
	s_cbranch_execz .LBB276_656
; %bb.9:
	s_load_dwordx2 s[4:5], s[4:5], 0x10
	s_sub_i32 s37, s34, s21
	s_ashr_i32 s1, s18, 31
	v_and_b32_e32 v4, 31, v0
	v_lshrrev_b32_e32 v26, 5, v0
	v_and_b32_e32 v5, 0x7c, v11
	buffer_store_dword v12, off, s[48:51], 0 ; 4-byte Folded Spill
	v_mov_b32_e32 v2, 0
	v_lshlrev_b32_e32 v3, 4, v4
	v_subrev_nc_u32_e32 v4, s33, v4
	v_lshl_or_b32 v6, v26, 7, v12
	v_cmp_neq_f32_e64 vcc_lo, s35, 0
	v_lshlrev_b32_e32 v17, 5, v26
	v_mov_b32_e32 v19, 0x80
	v_add_nc_u32_e32 v12, 1, v4
	v_mov_b32_e32 v14, 0x7f
	v_mov_b32_e32 v15, 7
	;; [unrolled: 1-line block ×4, first 2 shown]
	v_add_nc_u32_e32 v24, 0xc0, v6
	s_waitcnt lgkmcnt(0)
	s_add_u32 s2, s4, s18
	s_addc_u32 s1, s5, s1
	s_abs_i32 s38, s22
	v_add_co_u32 v3, s2, s2, v3
	v_cvt_f32_u32_e32 v1, s38
	s_sub_i32 s4, 0, s38
	v_add_co_ci_u32_e64 v4, null, s1, 0, s2
	s_mov_b32 s39, s17
	v_rcp_iflag_f32_e32 v1, v1
	s_mov_b32 s40, 0
	v_mul_f32_e32 v1, 0x4f7ffffe, v1
	v_cvt_u32_f32_e32 v1, v1
	v_mul_lo_u32 v7, s4, v1
	s_lshl_b64 s[4:5], s[28:29], 2
	s_add_u32 s1, s26, s4
	s_addc_u32 s2, s27, s5
	v_add_co_u32 v5, s1, s1, v5
	v_add_co_ci_u32_e64 v6, null, s2, 0, s1
	v_mul_hi_u32 v7, v1, v7
	s_mov_b32 s4, -1
	s_mov_b32 s5, 0xffffff
	v_add_nc_u32_e32 v25, v1, v7
	s_branch .LBB276_15
.LBB276_10:                             ;   in Loop: Header=BB276_15 Depth=1
	s_or_b32 exec_lo, exec_lo, s44
	v_lshlrev_b32_e32 v1, 8, v1
	v_lshl_add_u32 v8, v8, 10, 0x2000
	v_lshlrev_b32_e32 v7, 23, v7
	v_and_or_b32 v1, 0x8000, v1, v8
	v_lshl_or_b32 v100, v1, 16, v7
.LBB276_11:                             ;   in Loop: Header=BB276_15 Depth=1
	s_or_b32 exec_lo, exec_lo, s43
.LBB276_12:                             ;   in Loop: Header=BB276_15 Depth=1
	s_or_b32 exec_lo, exec_lo, s42
.LBB276_13:                             ;   in Loop: Header=BB276_15 Depth=1
	s_or_b32 exec_lo, exec_lo, s41
	ds_read_b128 v[106:109], v2
	v_or_b32_e32 v8, v28, v29
	v_or_b32_e32 v1, v30, v31
	v_or_b32_e32 v21, v34, v33
	v_or_b32_e32 v23, v36, v32
	v_fma_mixlo_f16 v20, v27, v28, 0 op_sel:[0,1,0] op_sel_hi:[0,1,0]
	v_fma_mixlo_f16 v8, v27, v8, 0 op_sel_hi:[0,1,0]
	v_fma_mixlo_f16 v7, v27, v30, 0 op_sel:[0,1,0] op_sel_hi:[0,1,0]
	v_fma_mixlo_f16 v1, v27, v1, 0 op_sel_hi:[0,1,0]
	v_fma_mixlo_f16 v21, v27, v21, 0 op_sel_hi:[0,1,0]
	v_fma_mixlo_f16 v22, v27, v34, 0 op_sel:[0,1,0] op_sel_hi:[0,1,0]
	v_fma_mixlo_f16 v32, v27, v36, 0 op_sel:[0,1,0] op_sel_hi:[0,1,0]
	v_fma_mixlo_f16 v23, v27, v23, 0 op_sel_hi:[0,1,0]
	v_and_b32_e32 v18, 0xffff, v20
	v_and_b32_e32 v20, 0xffff, v8
	;; [unrolled: 1-line block ×5, first 2 shown]
	v_fma_mixlo_f16 v34, v27, v42, 0 op_sel:[0,1,0] op_sel_hi:[0,1,0]
	v_or_b32_e32 v47, v50, v47
	s_waitcnt lgkmcnt(0)
	v_and_b32_e32 v8, 0xffff, v106
	v_lshrrev_b32_e32 v28, 16, v106
	v_lshrrev_b32_e32 v30, 16, v107
	v_and_b32_e32 v29, 0xffff, v107
	;;#ASMSTART
	v_cvt_f32_f16 v36, v8;
	;;#ASMEND
	;;#ASMSTART
	v_cvt_f32_f16 v8, v28;
	;;#ASMEND
	;;#ASMSTART
	v_cvt_f32_f16 v107, v20;
	;;#ASMEND
	;;#ASMSTART
	v_cvt_f32_f16 v28, v18;
	;;#ASMEND
	v_and_b32_e32 v18, 0xffff, v108
	v_lshrrev_b32_e32 v20, 16, v108
	;;#ASMSTART
	v_cvt_f32_f16 v29, v29;
	;;#ASMEND
	;;#ASMSTART
	v_cvt_f32_f16 v30, v30;
	;;#ASMEND
	;; [unrolled: 3-line block ×7, first 2 shown]
	v_and_b32_e32 v1, 0xffff, v22
	v_and_b32_e32 v7, 0xffff, v109
	v_lshrrev_b32_e32 v18, 16, v109
	v_and_b32_e32 v20, 0xffff, v23
	v_and_b32_e32 v21, 0xffff, v32
	;;#ASMSTART
	v_cvt_f32_f16 v114, v1;
	;;#ASMEND
	;;#ASMSTART
	v_cvt_f32_f16 v115, v7;
	;;#ASMEND
	;; [unrolled: 3-line block ×5, first 2 shown]
	ds_read_b128 v[108:111], v2 offset:16
	v_or_b32_e32 v21, v37, v35
	v_or_b32_e32 v1, v40, v38
	;; [unrolled: 1-line block ×4, first 2 shown]
	v_fma_mixlo_f16 v20, v27, v40, 0 op_sel:[0,1,0] op_sel_hi:[0,1,0]
	v_fma_mixlo_f16 v21, v27, v21, 0 op_sel_hi:[0,1,0]
	v_fma_mixlo_f16 v1, v27, v1, 0 op_sel_hi:[0,1,0]
	v_fma_mixlo_f16 v22, v27, v37, 0 op_sel:[0,1,0] op_sel_hi:[0,1,0]
	v_fma_mixlo_f16 v23, v27, v23, 0 op_sel_hi:[0,1,0]
	v_fma_mixlo_f16 v32, v27, v32, 0 op_sel_hi:[0,1,0]
	v_fma_mixlo_f16 v35, v27, v46, 0 op_sel:[0,1,0] op_sel_hi:[0,1,0]
	v_or_b32_e32 v7, v104, v105
	v_and_b32_e32 v38, 0xffff, v22
	v_and_b32_e32 v1, 0xffff, v1
	;; [unrolled: 1-line block ×4, first 2 shown]
	v_or_b32_e32 v51, v54, v51
	v_fma_mixlo_f16 v50, v27, v50, 0 op_sel:[0,1,0] op_sel_hi:[0,1,0]
	v_or_b32_e32 v65, v68, v65
	s_waitcnt lgkmcnt(0)
	v_and_b32_e32 v18, 0xffff, v108
	v_lshrrev_b32_e32 v37, 16, v108
	;;#ASMSTART
	v_cvt_f32_f16 v105, v18;
	;;#ASMEND
	v_and_b32_e32 v18, 0xffff, v21
	v_and_b32_e32 v39, 0xffff, v109
	v_lshrrev_b32_e32 v40, 16, v109
	;;#ASMSTART
	v_cvt_f32_f16 v21, v37;
	;;#ASMEND
	;;#ASMSTART
	v_cvt_f32_f16 v22, v18;
	;;#ASMEND
	;; [unrolled: 3-line block ×5, first 2 shown]
	v_and_b32_e32 v18, 0xffff, v20
	v_and_b32_e32 v37, 0xffff, v110
	v_lshrrev_b32_e32 v39, 16, v110
	v_and_b32_e32 v40, 0xffff, v23
	;;#ASMSTART
	v_cvt_f32_f16 v20, v1;
	;;#ASMEND
	;;#ASMSTART
	v_cvt_f32_f16 v23, v18;
	;;#ASMEND
	;; [unrolled: 3-line block ×5, first 2 shown]
	v_and_b32_e32 v1, 0xffff, v34
	v_and_b32_e32 v18, 0xffff, v111
	v_lshrrev_b32_e32 v34, 16, v111
	;;#ASMSTART
	v_cvt_f32_f16 v40, v1;
	;;#ASMEND
	;;#ASMSTART
	v_cvt_f32_f16 v42, v18;
	;;#ASMEND
	;; [unrolled: 3-line block ×5, first 2 shown]
	ds_read_b128 v[108:111], v2 offset:32
	v_fma_mixlo_f16 v34, v27, v7, 0 op_sel_hi:[0,1,0]
	v_or_b32_e32 v7, v44, v41
	v_or_b32_e32 v1, v48, v45
	v_fma_mixlo_f16 v35, v27, v48, 0 op_sel:[0,1,0] op_sel_hi:[0,1,0]
	v_fma_mixlo_f16 v44, v27, v44, 0 op_sel:[0,1,0] op_sel_hi:[0,1,0]
	;; [unrolled: 1-line block ×3, first 2 shown]
	v_fma_mixlo_f16 v48, v27, v7, 0 op_sel_hi:[0,1,0]
	v_mul_f32_e32 v7, v21, v119
	v_fma_mixlo_f16 v41, v27, v1, 0 op_sel_hi:[0,1,0]
	v_mul_f32_e32 v1, v105, v22
	v_fma_mixlo_f16 v22, v27, v47, 0 op_sel_hi:[0,1,0]
	v_fma_mixlo_f16 v21, v27, v51, 0 op_sel_hi:[0,1,0]
	v_fma_mixlo_f16 v47, v27, v54, 0 op_sel:[0,1,0] op_sel_hi:[0,1,0]
	v_fmac_f32_e32 v7, v8, v28
	v_mul_f32_e32 v28, v120, v20
	v_mul_f32_e32 v8, v121, v23
	v_and_b32_e32 v23, 0xffff, v44
	v_and_b32_e32 v22, 0xffff, v22
	v_fmac_f32_e32 v1, v36, v107
	s_waitcnt lgkmcnt(0)
	v_and_b32_e32 v18, 0xffff, v108
	v_lshrrev_b32_e32 v20, 16, v108
	;;#ASMSTART
	v_cvt_f32_f16 v123, v18;
	;;#ASMEND
	v_and_b32_e32 v18, 0xffff, v48
	;;#ASMSTART
	v_cvt_f32_f16 v119, v20;
	;;#ASMEND
	;;#ASMSTART
	v_cvt_f32_f16 v126, v18;
	;;#ASMEND
	;; [unrolled: 3-line block ×3, first 2 shown]
	v_and_b32_e32 v20, 0xffff, v35
	v_and_b32_e32 v23, 0xffff, v110
	v_and_b32_e32 v36, 0xffff, v109
	v_lshrrev_b32_e32 v44, 16, v109
	;;#ASMSTART
	v_cvt_f32_f16 v121, v36;
	;;#ASMEND
	;;#ASMSTART
	v_cvt_f32_f16 v122, v44;
	;;#ASMEND
	v_and_b32_e32 v18, 0xffff, v41
	v_lshrrev_b32_e32 v35, 16, v110
	;;#ASMSTART
	v_cvt_f32_f16 v124, v18;
	;;#ASMEND
	;;#ASMSTART
	v_cvt_f32_f16 v125, v20;
	;;#ASMEND
	;; [unrolled: 3-line block ×5, first 2 shown]
	v_and_b32_e32 v20, 0xffff, v111
	v_lshrrev_b32_e32 v22, 16, v111
	v_and_b32_e32 v21, 0xffff, v21
	v_and_b32_e32 v23, 0xffff, v47
	;; [unrolled: 1-line block ×3, first 2 shown]
	;;#ASMSTART
	v_cvt_f32_f16 v107, v18;
	;;#ASMEND
	;;#ASMSTART
	v_cvt_f32_f16 v108, v20;
	;;#ASMEND
	;; [unrolled: 3-line block ×5, first 2 shown]
	ds_read_b128 v[20:23], v2 offset:48
	v_or_b32_e32 v48, v52, v49
	v_or_b32_e32 v41, v56, v53
	;; [unrolled: 1-line block ×4, first 2 shown]
	v_fma_mixlo_f16 v44, v27, v56, 0 op_sel:[0,1,0] op_sel_hi:[0,1,0]
	v_fma_mixlo_f16 v48, v27, v48, 0 op_sel_hi:[0,1,0]
	v_fma_mixlo_f16 v41, v27, v41, 0 op_sel_hi:[0,1,0]
	v_fma_mixlo_f16 v51, v27, v52, 0 op_sel:[0,1,0] op_sel_hi:[0,1,0]
	v_or_b32_e32 v45, v96, v99
	v_or_b32_e32 v47, v102, v103
	v_fma_mixlo_f16 v103, v27, v58, 0 op_sel:[0,1,0] op_sel_hi:[0,1,0]
	v_fma_mixlo_f16 v50, v27, v50, 0 op_sel_hi:[0,1,0]
	v_fma_mixlo_f16 v49, v27, v49, 0 op_sel_hi:[0,1,0]
	v_fma_mixlo_f16 v18, v27, v62, 0 op_sel:[0,1,0] op_sel_hi:[0,1,0]
	v_fmac_f32_e32 v28, v29, v31
	v_fmac_f32_e32 v8, v30, v33
	v_mul_f32_e32 v29, v38, v39
	v_mul_f32_e32 v33, v37, v40
	v_and_b32_e32 v37, 0xffff, v48
	s_waitcnt lgkmcnt(0)
	v_and_b32_e32 v38, 0xffff, v20
	v_lshrrev_b32_e32 v20, 16, v20
	v_and_b32_e32 v39, 0xffff, v21
	v_lshrrev_b32_e32 v21, 16, v21
	v_mul_f32_e32 v31, v42, v46
	;;#ASMSTART
	v_cvt_f32_f16 v52, v38;
	;;#ASMEND
	v_and_b32_e32 v38, 0xffff, v51
	;;#ASMSTART
	v_cvt_f32_f16 v53, v20;
	;;#ASMEND
	;;#ASMSTART
	v_cvt_f32_f16 v55, v37;
	;;#ASMEND
	;; [unrolled: 3-line block ×5, first 2 shown]
	v_and_b32_e32 v20, 0xffff, v41
	v_and_b32_e32 v21, 0xffff, v44
	;; [unrolled: 1-line block ×3, first 2 shown]
	v_lshrrev_b32_e32 v22, 16, v22
	v_fma_mixlo_f16 v35, v27, v96, 0 op_sel:[0,1,0] op_sel_hi:[0,1,0]
	v_fma_mixlo_f16 v36, v27, v45, 0 op_sel_hi:[0,1,0]
	v_or_b32_e32 v45, v98, v101
	;;#ASMSTART
	v_cvt_f32_f16 v101, v20;
	;;#ASMEND
	;;#ASMSTART
	v_cvt_f32_f16 v59, v21;
	;;#ASMEND
	;; [unrolled: 3-line block ×4, first 2 shown]
	v_and_b32_e32 v20, 0xffff, v103
	v_and_b32_e32 v21, 0xffff, v23
	v_lshrrev_b32_e32 v22, 16, v23
	v_and_b32_e32 v23, 0xffff, v50
	v_mul_f32_e32 v30, v43, v127
	v_and_b32_e32 v38, 0xffff, v49
	;;#ASMSTART
	v_cvt_f32_f16 v99, v38;
	;;#ASMEND
	v_and_b32_e32 v18, 0xffff, v18
	;;#ASMSTART
	v_cvt_f32_f16 v103, v20;
	;;#ASMEND
	;;#ASMSTART
	v_cvt_f32_f16 v41, v21;
	;;#ASMEND
	;; [unrolled: 3-line block ×5, first 2 shown]
	ds_read_b128 v[20:23], v2 offset:64
	v_fma_mixlo_f16 v40, v27, v45, 0 op_sel_hi:[0,1,0]
	v_or_b32_e32 v45, v60, v57
	v_fma_mixlo_f16 v37, v27, v47, 0 op_sel_hi:[0,1,0]
	v_or_b32_e32 v18, v64, v61
	v_or_b32_e32 v47, v66, v63
	;; [unrolled: 1-line block ×3, first 2 shown]
	v_fma_mixlo_f16 v49, v27, v60, 0 op_sel:[0,1,0] op_sel_hi:[0,1,0]
	v_fma_mixlo_f16 v50, v27, v45, 0 op_sel_hi:[0,1,0]
	v_fma_mixlo_f16 v61, v27, v64, 0 op_sel:[0,1,0] op_sel_hi:[0,1,0]
	v_fma_mixlo_f16 v18, v27, v18, 0 op_sel_hi:[0,1,0]
	v_fma_mixlo_f16 v57, v27, v47, 0 op_sel_hi:[0,1,0]
	;; [unrolled: 1-line block ×3, first 2 shown]
	v_fma_mixlo_f16 v70, v27, v70, 0 op_sel:[0,1,0] op_sel_hi:[0,1,0]
	v_fma_mixlo_f16 v66, v27, v66, 0 op_sel:[0,1,0] op_sel_hi:[0,1,0]
	v_and_b32_e32 v48, 0xffff, v50
	v_and_b32_e32 v49, 0xffff, v49
	;; [unrolled: 1-line block ×4, first 2 shown]
	v_fma_mixlo_f16 v38, v27, v102, 0 op_sel:[0,1,0] op_sel_hi:[0,1,0]
	s_waitcnt lgkmcnt(0)
	v_and_b32_e32 v45, 0xffff, v20
	v_lshrrev_b32_e32 v20, 16, v20
	v_and_b32_e32 v50, 0xffff, v21
	v_lshrrev_b32_e32 v21, 16, v21
	;;#ASMSTART
	v_cvt_f32_f16 v45, v45;
	;;#ASMEND
	;;#ASMSTART
	v_cvt_f32_f16 v47, v20;
	;;#ASMEND
	;; [unrolled: 3-line block ×6, first 2 shown]
	v_and_b32_e32 v20, 0xffff, v61
	v_and_b32_e32 v21, 0xffff, v22
	v_lshrrev_b32_e32 v22, 16, v22
	;;#ASMSTART
	v_cvt_f32_f16 v57, v18;
	;;#ASMEND
	;;#ASMSTART
	v_cvt_f32_f16 v60, v20;
	;;#ASMEND
	;; [unrolled: 3-line block ×4, first 2 shown]
	v_and_b32_e32 v20, 0xffff, v23
	v_lshrrev_b32_e32 v21, 16, v23
	v_and_b32_e32 v22, 0xffff, v67
	v_and_b32_e32 v23, 0xffff, v70
	v_or_b32_e32 v102, v88, v90
	v_or_b32_e32 v127, v84, v86
	;;#ASMSTART
	v_cvt_f32_f16 v64, v64;
	;;#ASMEND
	v_and_b32_e32 v18, 0xffff, v66
	;;#ASMSTART
	v_cvt_f32_f16 v66, v18;
	;;#ASMEND
	;;#ASMSTART
	v_cvt_f32_f16 v67, v20;
	;;#ASMEND
	;; [unrolled: 3-line block ×5, first 2 shown]
	ds_read_b128 v[20:23], v2 offset:80
	v_or_b32_e32 v18, v72, v69
	v_or_b32_e32 v69, v74, v71
	;; [unrolled: 1-line block ×3, first 2 shown]
	v_fmac_f32_e32 v30, v116, v118
	v_fma_mixlo_f16 v116, v27, v84, 0 op_sel:[0,1,0] op_sel_hi:[0,1,0]
	v_fma_mixlo_f16 v84, v27, v72, 0 op_sel:[0,1,0] op_sel_hi:[0,1,0]
	;; [unrolled: 1-line block ×3, first 2 shown]
	v_fma_mixlo_f16 v65, v27, v65, 0 op_sel_hi:[0,1,0]
	v_fmac_f32_e32 v29, v112, v113
	v_or_b32_e32 v118, v85, v87
	v_fma_mixlo_f16 v18, v27, v18, 0 op_sel_hi:[0,1,0]
	v_fma_mixlo_f16 v87, v27, v69, 0 op_sel_hi:[0,1,0]
	;; [unrolled: 1-line block ×3, first 2 shown]
	v_fma_mixlo_f16 v113, v27, v78, 0 op_sel:[0,1,0] op_sel_hi:[0,1,0]
	v_fmac_f32_e32 v33, v106, v114
	v_fma_mixlo_f16 v106, v27, v74, 0 op_sel:[0,1,0] op_sel_hi:[0,1,0]
	v_and_b32_e32 v72, 0xffff, v72
	v_and_b32_e32 v65, 0xffff, v65
	v_fma_mixlo_f16 v39, v27, v98, 0 op_sel:[0,1,0] op_sel_hi:[0,1,0]
	s_waitcnt lgkmcnt(0)
	v_and_b32_e32 v68, 0xffff, v20
	v_lshrrev_b32_e32 v20, 16, v20
	v_and_b32_e32 v74, 0xffff, v21
	v_lshrrev_b32_e32 v21, 16, v21
	;;#ASMSTART
	v_cvt_f32_f16 v68, v68;
	;;#ASMEND
	;;#ASMSTART
	v_cvt_f32_f16 v69, v20;
	;;#ASMEND
	;; [unrolled: 3-line block ×6, first 2 shown]
	v_and_b32_e32 v20, 0xffff, v84
	v_and_b32_e32 v21, 0xffff, v22
	v_lshrrev_b32_e32 v22, 16, v22
	v_fma_mixlo_f16 v98, v27, v88, 0 op_sel:[0,1,0] op_sel_hi:[0,1,0]
	v_and_b32_e32 v18, 0xffff, v18
	v_and_b32_e32 v65, 0xffff, v87
	;;#ASMSTART
	v_cvt_f32_f16 v78, v18;
	;;#ASMEND
	;;#ASMSTART
	v_cvt_f32_f16 v84, v20;
	;;#ASMEND
	;;#ASMSTART
	v_cvt_f32_f16 v87, v21;
	;;#ASMEND
	;;#ASMSTART
	v_cvt_f32_f16 v88, v22;
	;;#ASMEND
	v_and_b32_e32 v20, 0xffff, v23
	v_lshrrev_b32_e32 v21, 16, v23
	v_and_b32_e32 v22, 0xffff, v112
	v_and_b32_e32 v23, 0xffff, v113
	v_fmac_f32_e32 v31, v115, v117
	v_fma_mixlo_f16 v117, v27, v127, 0 op_sel_hi:[0,1,0]
	v_or_b32_e32 v127, v89, v91
	;;#ASMSTART
	v_cvt_f32_f16 v91, v65;
	;;#ASMEND
	v_and_b32_e32 v18, 0xffff, v106
	;;#ASMSTART
	v_cvt_f32_f16 v106, v18;
	;;#ASMEND
	;;#ASMSTART
	v_cvt_f32_f16 v112, v20;
	;;#ASMEND
	;; [unrolled: 3-line block ×5, first 2 shown]
	ds_read_b128 v[20:23], v2 offset:96
	v_or_b32_e32 v65, v76, v73
	v_or_b32_e32 v18, v80, v77
	;; [unrolled: 1-line block ×4, first 2 shown]
	v_fma_mixlo_f16 v77, v27, v80, 0 op_sel:[0,1,0] op_sel_hi:[0,1,0]
	v_fma_mixlo_f16 v76, v27, v76, 0 op_sel:[0,1,0] op_sel_hi:[0,1,0]
	v_fma_mixlo_f16 v80, v27, v65, 0 op_sel_hi:[0,1,0]
	v_fma_mixlo_f16 v18, v27, v18, 0 op_sel_hi:[0,1,0]
	;; [unrolled: 1-line block ×3, first 2 shown]
	v_fma_mixlo_f16 v83, v27, v83, 0 op_sel:[0,1,0] op_sel_hi:[0,1,0]
	v_fma_mixlo_f16 v81, v27, v81, 0 op_sel:[0,1,0] op_sel_hi:[0,1,0]
	v_fma_mixlo_f16 v73, v27, v73, 0 op_sel_hi:[0,1,0]
	v_fmac_f32_e32 v30, v109, v111
	v_fmac_f32_e32 v7, v119, v120
	;; [unrolled: 1-line block ×4, first 2 shown]
	v_and_b32_e32 v54, 0xffff, v80
	v_and_b32_e32 v76, 0xffff, v76
	v_fmac_f32_e32 v28, v121, v124
	s_waitcnt lgkmcnt(0)
	v_and_b32_e32 v79, 0xffff, v20
	v_lshrrev_b32_e32 v20, 16, v20
	;;#ASMSTART
	v_cvt_f32_f16 v111, v79;
	;;#ASMEND
	v_and_b32_e32 v79, 0xffff, v21
	v_lshrrev_b32_e32 v21, 16, v21
	;;#ASMSTART
	v_cvt_f32_f16 v107, v20;
	;;#ASMEND
	;;#ASMSTART
	v_cvt_f32_f16 v119, v54;
	;;#ASMEND
	;; [unrolled: 3-line block ×5, first 2 shown]
	v_and_b32_e32 v20, 0xffff, v77
	v_and_b32_e32 v21, 0xffff, v22
	v_lshrrev_b32_e32 v22, 16, v22
	v_and_b32_e32 v18, 0xffff, v18
	;;#ASMSTART
	v_cvt_f32_f16 v120, v18;
	;;#ASMEND
	;;#ASMSTART
	v_cvt_f32_f16 v121, v20;
	;;#ASMEND
	;; [unrolled: 3-line block ×4, first 2 shown]
	v_and_b32_e32 v20, 0xffff, v23
	v_lshrrev_b32_e32 v21, 16, v23
	v_and_b32_e32 v22, 0xffff, v82
	v_and_b32_e32 v23, 0xffff, v83
	v_fmac_f32_e32 v8, v122, v125
	v_fma_mixlo_f16 v122, v27, v85, 0 op_sel:[0,1,0] op_sel_hi:[0,1,0]
	v_fma_mixlo_f16 v85, v27, v89, 0 op_sel:[0,1,0] op_sel_hi:[0,1,0]
	v_or_b32_e32 v124, v97, v93
	v_fma_mixlo_f16 v65, v27, v97, 0 op_sel:[0,1,0] op_sel_hi:[0,1,0]
	v_fmac_f32_e32 v29, v104, v105
	v_and_b32_e32 v54, 0xffff, v73
	;;#ASMSTART
	v_cvt_f32_f16 v80, v54;
	;;#ASMEND
	v_and_b32_e32 v18, 0xffff, v81
	;;#ASMSTART
	v_cvt_f32_f16 v89, v18;
	;;#ASMEND
	;;#ASMSTART
	v_cvt_f32_f16 v93, v20;
	;;#ASMEND
	;; [unrolled: 3-line block ×5, first 2 shown]
	ds_read_b128 v[20:23], v2 offset:112
	v_or_b32_e32 v18, v94, v92
	v_fmac_f32_e32 v1, v123, v126
	v_or_b32_e32 v9, v10, v9
	v_or_b32_e32 v54, v100, v95
	v_fma_mixlo_f16 v102, v27, v102, 0 op_sel_hi:[0,1,0]
	v_fma_mixlo_f16 v123, v27, v118, 0 op_sel_hi:[0,1,0]
	;; [unrolled: 1-line block ×5, first 2 shown]
	v_fma_mixlo_f16 v82, v27, v10, 0 op_sel:[0,1,0] op_sel_hi:[0,1,0]
	v_fma_mixlo_f16 v83, v27, v9, 0 op_sel_hi:[0,1,0]
	v_fma_mixlo_f16 v73, v27, v94, 0 op_sel:[0,1,0] op_sel_hi:[0,1,0]
	v_fma_mixlo_f16 v54, v27, v54, 0 op_sel_hi:[0,1,0]
	v_fma_mixlo_f16 v10, v27, v100, 0 op_sel:[0,1,0] op_sel_hi:[0,1,0]
	v_fmac_f32_e32 v1, v52, v55
	v_fmac_f32_e32 v7, v53, v56
	v_and_b32_e32 v53, 0xffff, v116
	v_fmac_f32_e32 v8, v46, v59
	v_fmac_f32_e32 v28, v58, v101
	s_waitcnt lgkmcnt(0)
	v_and_b32_e32 v18, 0xffff, v20
	v_lshrrev_b32_e32 v20, 16, v20
	;;#ASMSTART
	v_cvt_f32_f16 v27, v18;
	;;#ASMEND
	v_and_b32_e32 v18, 0xffff, v117
	v_and_b32_e32 v55, 0xffff, v21
	v_lshrrev_b32_e32 v21, 16, v21
	;;#ASMSTART
	v_cvt_f32_f16 v46, v20;
	;;#ASMEND
	;;#ASMSTART
	v_cvt_f32_f16 v52, v18;
	;;#ASMEND
	;; [unrolled: 3-line block ×5, first 2 shown]
	v_and_b32_e32 v18, 0xffff, v102
	v_and_b32_e32 v20, 0xffff, v98
	;; [unrolled: 1-line block ×3, first 2 shown]
	v_lshrrev_b32_e32 v22, 16, v22
	v_fmac_f32_e32 v29, v62, v99
	v_and_b32_e32 v94, 0xffff, v123
	;;#ASMSTART
	v_cvt_f32_f16 v58, v18;
	;;#ASMEND
	;;#ASMSTART
	v_cvt_f32_f16 v59, v20;
	;;#ASMEND
	;; [unrolled: 3-line block ×4, first 2 shown]
	v_and_b32_e32 v18, 0xffff, v122
	v_and_b32_e32 v20, 0xffff, v23
	v_lshrrev_b32_e32 v21, 16, v23
	v_and_b32_e32 v22, 0xffff, v118
	v_and_b32_e32 v23, 0xffff, v85
	v_fmac_f32_e32 v33, v96, v103
	;;#ASMSTART
	v_cvt_f32_f16 v94, v94;
	;;#ASMEND
	;;#ASMSTART
	v_cvt_f32_f16 v18, v18;
	;;#ASMEND
	;; [unrolled: 3-line block ×6, first 2 shown]
	ds_read_b128 v[20:23], v2 offset:128
	v_fmac_f32_e32 v1, v45, v48
	v_fmac_f32_e32 v7, v47, v49
	;; [unrolled: 1-line block ×4, first 2 shown]
	v_and_b32_e32 v36, 0xffff, v36
	v_and_b32_e32 v42, 0xffff, v35
	;; [unrolled: 1-line block ×4, first 2 shown]
	v_fmac_f32_e32 v28, v50, v57
	v_fmac_f32_e32 v1, v68, v71
	;; [unrolled: 1-line block ×11, first 2 shown]
	s_waitcnt lgkmcnt(0)
	v_and_b32_e32 v41, 0xffff, v20
	v_lshrrev_b32_e32 v20, 16, v20
	v_and_b32_e32 v43, 0xffff, v21
	v_lshrrev_b32_e32 v21, 16, v21
	;;#ASMSTART
	v_cvt_f32_f16 v41, v41;
	;;#ASMEND
	;;#ASMSTART
	v_cvt_f32_f16 v35, v20;
	;;#ASMEND
	;; [unrolled: 3-line block ×6, first 2 shown]
	v_and_b32_e32 v20, 0xffff, v34
	v_and_b32_e32 v21, 0xffff, v32
	;; [unrolled: 1-line block ×3, first 2 shown]
	v_lshrrev_b32_e32 v22, 16, v22
	;;#ASMSTART
	v_cvt_f32_f16 v32, v20;
	;;#ASMEND
	;;#ASMSTART
	v_cvt_f32_f16 v34, v21;
	;;#ASMEND
	;; [unrolled: 3-line block ×4, first 2 shown]
	v_and_b32_e32 v20, 0xffff, v39
	v_and_b32_e32 v21, 0xffff, v23
	v_lshrrev_b32_e32 v22, 16, v23
	v_and_b32_e32 v23, 0xffff, v37
	;;#ASMSTART
	v_cvt_f32_f16 v47, v47;
	;;#ASMEND
	;;#ASMSTART
	v_cvt_f32_f16 v37, v20;
	;;#ASMEND
	;; [unrolled: 3-line block ×6, first 2 shown]
	ds_read_b128 v[20:23], v2 offset:144
	v_fmac_f32_e32 v8, v75, v84
	v_fmac_f32_e32 v1, v27, v52
	;; [unrolled: 1-line block ×11, first 2 shown]
	v_and_b32_e32 v27, 0xffff, v83
	v_and_b32_e32 v32, 0xffff, v82
	v_fmac_f32_e32 v31, v67, v86
	v_fmac_f32_e32 v29, v77, v80
	;; [unrolled: 1-line block ×6, first 2 shown]
	s_waitcnt lgkmcnt(0)
	v_and_b32_e32 v18, 0xffff, v20
	v_lshrrev_b32_e32 v20, 16, v20
	;;#ASMSTART
	v_cvt_f32_f16 v18, v18;
	;;#ASMEND
	;;#ASMSTART
	v_cvt_f32_f16 v20, v20;
	;;#ASMEND
	;; [unrolled: 3-line block ×4, first 2 shown]
	v_fmac_f32_e32 v1, v18, v27
	v_fmac_f32_e32 v7, v20, v32
	v_and_b32_e32 v18, 0xffff, v21
	v_lshrrev_b32_e32 v21, 16, v21
	v_fmac_f32_e32 v29, v62, v94
	v_fmac_f32_e32 v8, v44, v34
	v_and_b32_e32 v27, 0xffff, v81
	;;#ASMSTART
	v_cvt_f32_f16 v18, v18;
	;;#ASMEND
	;;#ASMSTART
	v_cvt_f32_f16 v20, v21;
	;;#ASMEND
	;; [unrolled: 3-line block ×3, first 2 shown]
	v_fmac_f32_e32 v28, v18, v21
	v_add_f32_e32 v1, v1, v7
	v_fmac_f32_e32 v30, v113, v115
	v_fmac_f32_e32 v31, v93, v104
	;; [unrolled: 1-line block ×3, first 2 shown]
	v_and_b32_e32 v34, 0xffff, v65
	;;#ASMSTART
	v_cvt_f32_f16 v27, v34;
	;;#ASMEND
	v_fmac_f32_e32 v8, v20, v27
	v_add_f32_e32 v1, v1, v28
	v_and_b32_e32 v18, 0xffff, v22
	v_lshrrev_b32_e32 v20, 16, v22
	v_fmac_f32_e32 v30, v97, v105
	v_fmac_f32_e32 v31, v85, v96
	v_and_b32_e32 v21, 0xffff, v76
	;;#ASMSTART
	v_cvt_f32_f16 v7, v18;
	;;#ASMEND
	;;#ASMSTART
	v_cvt_f32_f16 v18, v20;
	;;#ASMEND
	;; [unrolled: 3-line block ×3, first 2 shown]
	v_fmac_f32_e32 v29, v7, v20
	v_add_f32_e32 v1, v8, v1
	v_add_nc_u32_e32 v9, v12, v17
	v_fmac_f32_e32 v30, v95, v98
	v_fmac_f32_e32 v31, v38, v48
	v_and_b32_e32 v22, 0xffff, v73
	;;#ASMSTART
	v_cvt_f32_f16 v21, v22;
	;;#ASMEND
	v_fmac_f32_e32 v33, v18, v21
	v_add_f32_e32 v1, v1, v29
	v_and_b32_e32 v7, 0xffff, v23
	v_lshrrev_b32_e32 v8, 16, v23
	v_cvt_f32_i32_e32 v9, v9
	v_fmac_f32_e32 v30, v39, v49
	v_and_b32_e32 v20, 0xffff, v54
	;;#ASMSTART
	v_cvt_f32_f16 v7, v7;
	;;#ASMEND
	;;#ASMSTART
	v_cvt_f32_f16 v8, v8;
	;;#ASMEND
	;; [unrolled: 3-line block ×3, first 2 shown]
	v_fmac_f32_e32 v31, v7, v18
	v_add_f32_e32 v1, v33, v1
	v_and_b32_e32 v10, 0xffff, v10
	v_mul_f32_e32 v7, s35, v9
	;;#ASMSTART
	v_cvt_f32_f16 v9, v10;
	;;#ASMEND
	v_fmac_f32_e32 v30, v8, v9
	v_add_f32_e32 v1, v1, v31
	v_and_b32_e32 v8, 31, v0
	v_cndmask_b32_e32 v7, 0, v7, vcc_lo
	v_add_f32_e32 v1, v30, v1
	v_add_nc_u32_e32 v8, v8, v17
	v_fmac_f32_e32 v7, s3, v1
	v_max_f32_e32 v1, v16, v16
	v_cmp_gt_i32_e64 s1, s33, v8
	v_max_f32_e32 v1, v1, v7
	v_cndmask_b32_e64 v7, 0, v7, s1
	v_cndmask_b32_e64 v16, v16, v1, s1
	ds_write_b32 v24, v7
.LBB276_14:                             ;   in Loop: Header=BB276_15 Depth=1
	s_or_b32 exec_lo, exec_lo, s2
	v_add_nc_u32_e32 v26, 4, v26
	v_add_co_u32 v5, s2, v5, 16
	v_add_co_ci_u32_e64 v6, null, 0, v6, s2
	v_cmp_le_i32_e64 s1, s20, v26
	v_add_nc_u32_e32 v17, 0x80, v17
	v_add_nc_u32_e32 v24, 0x200, v24
	s_or_b32 s40, s1, s40
	s_andn2_b32 exec_lo, exec_lo, s40
	s_cbranch_execz .LBB276_655
.LBB276_15:                             ; =>This Inner Loop Header: Depth=1
	v_mul_hi_u32 v1, v17, s19
	v_mul_lo_u32 v7, v1, s16
	v_add_nc_u32_e32 v8, 1, v1
	v_sub_nc_u32_e32 v7, v17, v7
	v_subrev_nc_u32_e32 v9, s16, v7
	v_cmp_le_u32_e64 s1, s16, v7
	v_cndmask_b32_e64 v1, v1, v8, s1
	v_cndmask_b32_e64 v7, v7, v9, s1
	v_add_nc_u32_e32 v8, 1, v1
	v_cmp_le_u32_e64 s1, s16, v7
	v_cndmask_b32_e64 v1, v1, v8, s1
	v_xor_b32_e32 v1, s23, v1
	v_subrev_nc_u32_e32 v1, s23, v1
	v_add_nc_u32_e32 v7, s25, v1
	v_cmp_ge_i32_e64 s2, s37, v1
	v_sub_nc_u32_e32 v8, 0, v7
	v_max_i32_e32 v8, v7, v8
	v_ashrrev_i32_e32 v7, 31, v7
	v_mul_hi_u32 v9, v8, v25
	v_mul_lo_u32 v9, v9, s38
	v_sub_nc_u32_e32 v8, v8, v9
	v_subrev_nc_u32_e32 v9, s38, v8
	v_cmp_le_u32_e64 s1, s38, v8
	v_cndmask_b32_e64 v8, v8, v9, s1
	v_subrev_nc_u32_e32 v9, s38, v8
	v_cmp_le_u32_e64 s1, s38, v8
	v_cndmask_b32_e64 v8, v8, v9, s1
	v_xor_b32_e32 v8, v8, v7
	v_sub_nc_u32_e32 v7, v8, v7
	v_cmp_ne_u32_e64 s1, 0, v7
	s_and_b32 s1, s1, s2
	s_and_saveexec_b32 s2, s1
	s_xor_b32 s1, exec_lo, s2
; %bb.16:                               ;   in Loop: Header=BB276_15 Depth=1
	v_mov_b32_e32 v1, 0xff7fffff
	ds_write_b32 v24, v1
; %bb.17:                               ;   in Loop: Header=BB276_15 Depth=1
	s_andn2_saveexec_b32 s2, s1
	s_cbranch_execz .LBB276_14
; %bb.18:                               ;   in Loop: Header=BB276_15 Depth=1
	global_load_dword v1, v[5:6], off
	v_mov_b32_e32 v28, 0
	v_mov_b32_e32 v29, 0
	global_load_dword v27, v28, s[12:13]
	s_waitcnt vmcnt(1)
	v_mad_i64_i32 v[7:8], null, v1, s39, v[3:4]
	global_load_dwordx2 v[9:10], v[7:8], off
	s_waitcnt vmcnt(0)
	v_cmp_ne_u16_sdwa s1, v9, v2 src0_sel:BYTE_0 src1_sel:DWORD
	s_and_saveexec_b32 s41, s1
	s_cbranch_execz .LBB276_26
; %bb.19:                               ;   in Loop: Header=BB276_15 Depth=1
	v_cmp_ne_u16_sdwa s1, v9, v19 src0_sel:BYTE_0 src1_sel:DWORD
	v_mov_b32_e32 v29, 0x8000
	s_and_saveexec_b32 s42, s1
	s_cbranch_execz .LBB276_25
; %bb.20:                               ;   in Loop: Header=BB276_15 Depth=1
	v_and_b32_e32 v30, 0x7f, v9
	v_mov_b32_e32 v29, 0x7c01
	s_mov_b32 s43, exec_lo
	v_cmpx_ne_u32_e32 0x7f, v30
	s_cbranch_execz .LBB276_24
; %bb.21:                               ;   in Loop: Header=BB276_15 Depth=1
	v_and_b32_e32 v1, 7, v9
	v_lshrrev_b32_e32 v29, 3, v30
	s_mov_b32 s44, exec_lo
	v_cmpx_gt_u32_e32 8, v30
; %bb.22:                               ;   in Loop: Header=BB276_15 Depth=1
	v_ffbh_u32_e32 v1, v1
	v_min_u32_e32 v1, 32, v1
	v_subrev_nc_u32_e32 v20, 28, v1
	v_sub_nc_u32_e32 v29, 29, v1
	v_lshlrev_b64 v[20:21], v20, v[9:10]
	v_and_b32_e32 v1, 7, v20
; %bb.23:                               ;   in Loop: Header=BB276_15 Depth=1
	s_or_b32 exec_lo, exec_lo, s44
	v_lshlrev_b32_e32 v20, 8, v9
	v_lshl_add_u32 v21, v29, 10, 0x2000
	v_lshlrev_b32_e32 v1, 7, v1
	v_and_b32_e32 v20, 0x8000, v20
	v_and_b32_e32 v21, 0xfc00, v21
	v_or3_b32 v29, v20, v21, v1
.LBB276_24:                             ;   in Loop: Header=BB276_15 Depth=1
	s_or_b32 exec_lo, exec_lo, s43
.LBB276_25:                             ;   in Loop: Header=BB276_15 Depth=1
	s_or_b32 exec_lo, exec_lo, s42
.LBB276_26:                             ;   in Loop: Header=BB276_15 Depth=1
	s_or_b32 exec_lo, exec_lo, s41
	v_lshrrev_b16 v1, 8, v9
	s_mov_b32 s41, exec_lo
	v_cmpx_ne_u16_e32 0, v1
	s_cbranch_execz .LBB276_34
; %bb.27:                               ;   in Loop: Header=BB276_15 Depth=1
	v_bfrev_b32_e32 v28, 1
	s_mov_b32 s42, exec_lo
	v_cmpx_ne_u16_e32 0x80, v1
	s_cbranch_execz .LBB276_33
; %bb.28:                               ;   in Loop: Header=BB276_15 Depth=1
	v_and_b32_sdwa v31, v1, v14 dst_sel:DWORD dst_unused:UNUSED_PAD src0_sel:WORD_0 src1_sel:DWORD
	v_mov_b32_e32 v28, 0x7c010000
	s_mov_b32 s43, exec_lo
	v_cmpx_ne_u32_e32 0x7f, v31
	s_cbranch_execz .LBB276_32
; %bb.29:                               ;   in Loop: Header=BB276_15 Depth=1
	v_and_b32_sdwa v28, v1, v15 dst_sel:DWORD dst_unused:UNUSED_PAD src0_sel:WORD_0 src1_sel:DWORD
	v_lshrrev_b32_e32 v30, 3, v31
	s_mov_b32 s44, exec_lo
	v_cmpx_gt_u32_e32 8, v31
; %bb.30:                               ;   in Loop: Header=BB276_15 Depth=1
	v_ffbh_u32_e32 v20, v28
	v_min_u32_e32 v22, 32, v20
	v_subrev_nc_u32_e32 v20, 28, v22
	v_sub_nc_u32_e32 v30, 29, v22
	v_lshlrev_b64 v[20:21], v20, v[1:2]
	v_and_b32_e32 v28, 7, v20
; %bb.31:                               ;   in Loop: Header=BB276_15 Depth=1
	s_or_b32 exec_lo, exec_lo, s44
	v_lshlrev_b32_sdwa v1, v11, v1 dst_sel:DWORD dst_unused:UNUSED_PAD src0_sel:DWORD src1_sel:WORD_0
	v_lshl_add_u32 v20, v30, 10, 0x2000
	v_and_or_b32 v1, 0x8000, v1, v20
	v_lshlrev_b32_e32 v20, 23, v28
	v_lshl_or_b32 v28, v1, 16, v20
.LBB276_32:                             ;   in Loop: Header=BB276_15 Depth=1
	s_or_b32 exec_lo, exec_lo, s43
.LBB276_33:                             ;   in Loop: Header=BB276_15 Depth=1
	s_or_b32 exec_lo, exec_lo, s42
.LBB276_34:                             ;   in Loop: Header=BB276_15 Depth=1
	s_or_b32 exec_lo, exec_lo, s41
	v_lshrrev_b32_e32 v1, 16, v9
	v_mov_b32_e32 v30, 0
	v_mov_b32_e32 v31, 0
	v_cmp_ne_u16_sdwa s1, v1, v2 src0_sel:BYTE_0 src1_sel:DWORD
	s_and_saveexec_b32 s41, s1
	s_cbranch_execz .LBB276_42
; %bb.35:                               ;   in Loop: Header=BB276_15 Depth=1
	v_cmp_ne_u16_sdwa s1, v1, v19 src0_sel:BYTE_0 src1_sel:DWORD
	v_mov_b32_e32 v31, 0x8000
	s_and_saveexec_b32 s42, s1
	s_cbranch_execz .LBB276_41
; %bb.36:                               ;   in Loop: Header=BB276_15 Depth=1
	v_bfe_u32 v33, v9, 16, 7
	v_mov_b32_e32 v31, 0x7c01
	s_mov_b32 s43, exec_lo
	v_cmpx_ne_u32_e32 0x7f, v33
	s_cbranch_execz .LBB276_40
; %bb.37:                               ;   in Loop: Header=BB276_15 Depth=1
	v_and_b32_e32 v31, 7, v1
	v_lshrrev_b32_e32 v32, 3, v33
	s_mov_b32 s44, exec_lo
	v_cmpx_gt_u32_e32 8, v33
; %bb.38:                               ;   in Loop: Header=BB276_15 Depth=1
	v_ffbh_u32_e32 v20, v31
	v_min_u32_e32 v22, 32, v20
	v_subrev_nc_u32_e32 v20, 28, v22
	v_sub_nc_u32_e32 v32, 29, v22
	v_lshlrev_b64 v[20:21], v20, v[1:2]
	v_and_b32_e32 v31, 7, v20
; %bb.39:                               ;   in Loop: Header=BB276_15 Depth=1
	s_or_b32 exec_lo, exec_lo, s44
	v_lshlrev_b32_e32 v1, 8, v1
	v_lshl_add_u32 v20, v32, 10, 0x2000
	v_lshlrev_b32_e32 v21, 7, v31
	v_and_b32_e32 v1, 0x8000, v1
	v_and_b32_e32 v20, 0xfc00, v20
	v_or3_b32 v31, v1, v20, v21
.LBB276_40:                             ;   in Loop: Header=BB276_15 Depth=1
	s_or_b32 exec_lo, exec_lo, s43
.LBB276_41:                             ;   in Loop: Header=BB276_15 Depth=1
	s_or_b32 exec_lo, exec_lo, s42
.LBB276_42:                             ;   in Loop: Header=BB276_15 Depth=1
	s_or_b32 exec_lo, exec_lo, s41
	s_mov_b32 s41, exec_lo
	v_cmpx_lt_u32_e32 0xffffff, v9
	s_cbranch_execz .LBB276_50
; %bb.43:                               ;   in Loop: Header=BB276_15 Depth=1
	v_lshrrev_b32_e32 v1, 24, v9
	v_bfrev_b32_e32 v30, 1
	s_mov_b32 s42, exec_lo
	v_cmpx_ne_u32_e32 0x80, v1
	s_cbranch_execz .LBB276_49
; %bb.44:                               ;   in Loop: Header=BB276_15 Depth=1
	v_and_b32_e32 v33, 0x7f, v1
	v_mov_b32_e32 v30, 0x7c010000
	s_mov_b32 s43, exec_lo
	v_cmpx_ne_u32_e32 0x7f, v33
	s_cbranch_execz .LBB276_48
; %bb.45:                               ;   in Loop: Header=BB276_15 Depth=1
	v_and_b32_e32 v30, 7, v1
	v_lshrrev_b32_e32 v32, 3, v33
	s_mov_b32 s44, exec_lo
	v_cmpx_gt_u32_e32 8, v33
; %bb.46:                               ;   in Loop: Header=BB276_15 Depth=1
	v_ffbh_u32_e32 v20, v30
	v_min_u32_e32 v22, 32, v20
	v_subrev_nc_u32_e32 v20, 28, v22
	v_sub_nc_u32_e32 v32, 29, v22
	v_lshlrev_b64 v[20:21], v20, v[1:2]
	v_and_b32_e32 v30, 7, v20
; %bb.47:                               ;   in Loop: Header=BB276_15 Depth=1
	s_or_b32 exec_lo, exec_lo, s44
	v_lshlrev_b32_e32 v1, 8, v1
	v_lshl_add_u32 v20, v32, 10, 0x2000
	v_and_or_b32 v1, 0x8000, v1, v20
	v_lshlrev_b32_e32 v20, 23, v30
	v_lshl_or_b32 v30, v1, 16, v20
.LBB276_48:                             ;   in Loop: Header=BB276_15 Depth=1
	s_or_b32 exec_lo, exec_lo, s43
.LBB276_49:                             ;   in Loop: Header=BB276_15 Depth=1
	s_or_b32 exec_lo, exec_lo, s42
.LBB276_50:                             ;   in Loop: Header=BB276_15 Depth=1
	s_or_b32 exec_lo, exec_lo, s41
	v_mov_b32_e32 v1, v10
	v_cmp_ne_u16_sdwa s1, v10, v2 src0_sel:BYTE_0 src1_sel:DWORD
	v_mov_b32_e32 v32, 0
	v_mov_b32_e32 v33, 0
	s_and_saveexec_b32 s41, s1
	s_cbranch_execz .LBB276_58
; %bb.51:                               ;   in Loop: Header=BB276_15 Depth=1
	v_cmp_ne_u16_sdwa s1, v10, v19 src0_sel:BYTE_0 src1_sel:DWORD
	v_mov_b32_e32 v33, 0x8000
	s_and_saveexec_b32 s42, s1
	s_cbranch_execz .LBB276_57
; %bb.52:                               ;   in Loop: Header=BB276_15 Depth=1
	v_and_b32_e32 v35, 0x7f, v10
	v_mov_b32_e32 v33, 0x7c01
	s_mov_b32 s43, exec_lo
	v_cmpx_ne_u32_e32 0x7f, v35
	s_cbranch_execz .LBB276_56
; %bb.53:                               ;   in Loop: Header=BB276_15 Depth=1
	v_and_b32_e32 v33, 7, v10
	v_lshrrev_b32_e32 v34, 3, v35
	s_mov_b32 s44, exec_lo
	v_cmpx_gt_u32_e32 8, v35
; %bb.54:                               ;   in Loop: Header=BB276_15 Depth=1
	v_ffbh_u32_e32 v20, v33
	v_min_u32_e32 v22, 32, v20
	v_subrev_nc_u32_e32 v20, 28, v22
	v_sub_nc_u32_e32 v34, 29, v22
	v_lshlrev_b64 v[20:21], v20, v[1:2]
	v_and_b32_e32 v33, 7, v20
; %bb.55:                               ;   in Loop: Header=BB276_15 Depth=1
	s_or_b32 exec_lo, exec_lo, s44
	v_lshlrev_b32_e32 v20, 8, v10
	v_lshl_add_u32 v21, v34, 10, 0x2000
	v_lshlrev_b32_e32 v22, 7, v33
	v_and_b32_e32 v20, 0x8000, v20
	v_and_b32_e32 v21, 0xfc00, v21
	v_or3_b32 v33, v20, v21, v22
.LBB276_56:                             ;   in Loop: Header=BB276_15 Depth=1
	s_or_b32 exec_lo, exec_lo, s43
.LBB276_57:                             ;   in Loop: Header=BB276_15 Depth=1
	s_or_b32 exec_lo, exec_lo, s42
.LBB276_58:                             ;   in Loop: Header=BB276_15 Depth=1
	s_or_b32 exec_lo, exec_lo, s41
	v_lshrrev_b16 v1, 8, v1
	v_mov_b32_e32 v34, 0
	s_mov_b32 s41, exec_lo
	v_cmpx_ne_u16_e32 0, v1
	s_cbranch_execz .LBB276_66
; %bb.59:                               ;   in Loop: Header=BB276_15 Depth=1
	v_bfrev_b32_e32 v34, 1
	s_mov_b32 s42, exec_lo
	v_cmpx_ne_u16_e32 0x80, v1
	s_cbranch_execz .LBB276_65
; %bb.60:                               ;   in Loop: Header=BB276_15 Depth=1
	v_and_b32_sdwa v36, v1, v14 dst_sel:DWORD dst_unused:UNUSED_PAD src0_sel:WORD_0 src1_sel:DWORD
	v_mov_b32_e32 v34, 0x7c010000
	s_mov_b32 s43, exec_lo
	v_cmpx_ne_u32_e32 0x7f, v36
	s_cbranch_execz .LBB276_64
; %bb.61:                               ;   in Loop: Header=BB276_15 Depth=1
	v_and_b32_sdwa v34, v1, v15 dst_sel:DWORD dst_unused:UNUSED_PAD src0_sel:WORD_0 src1_sel:DWORD
	v_lshrrev_b32_e32 v35, 3, v36
	s_mov_b32 s44, exec_lo
	v_cmpx_gt_u32_e32 8, v36
; %bb.62:                               ;   in Loop: Header=BB276_15 Depth=1
	v_ffbh_u32_e32 v20, v34
	v_min_u32_e32 v22, 32, v20
	v_subrev_nc_u32_e32 v20, 28, v22
	v_sub_nc_u32_e32 v35, 29, v22
	v_lshlrev_b64 v[20:21], v20, v[1:2]
	v_and_b32_e32 v34, 7, v20
; %bb.63:                               ;   in Loop: Header=BB276_15 Depth=1
	s_or_b32 exec_lo, exec_lo, s44
	v_lshlrev_b32_sdwa v1, v11, v1 dst_sel:DWORD dst_unused:UNUSED_PAD src0_sel:DWORD src1_sel:WORD_0
	v_lshl_add_u32 v20, v35, 10, 0x2000
	v_and_or_b32 v1, 0x8000, v1, v20
	v_lshlrev_b32_e32 v20, 23, v34
	v_lshl_or_b32 v34, v1, 16, v20
.LBB276_64:                             ;   in Loop: Header=BB276_15 Depth=1
	s_or_b32 exec_lo, exec_lo, s43
.LBB276_65:                             ;   in Loop: Header=BB276_15 Depth=1
	s_or_b32 exec_lo, exec_lo, s42
.LBB276_66:                             ;   in Loop: Header=BB276_15 Depth=1
	s_or_b32 exec_lo, exec_lo, s41
	v_lshrrev_b32_e32 v1, 16, v10
	v_cmp_ne_u16_sdwa s1, v1, v2 src0_sel:BYTE_0 src1_sel:DWORD
	s_and_saveexec_b32 s41, s1
	s_cbranch_execz .LBB276_74
; %bb.67:                               ;   in Loop: Header=BB276_15 Depth=1
	v_cmp_ne_u16_sdwa s1, v1, v19 src0_sel:BYTE_0 src1_sel:DWORD
	v_mov_b32_e32 v32, 0x8000
	s_and_saveexec_b32 s42, s1
	s_cbranch_execz .LBB276_73
; %bb.68:                               ;   in Loop: Header=BB276_15 Depth=1
	v_bfe_u32 v36, v10, 16, 7
	v_mov_b32_e32 v32, 0x7c01
	s_mov_b32 s43, exec_lo
	v_cmpx_ne_u32_e32 0x7f, v36
	s_cbranch_execz .LBB276_72
; %bb.69:                               ;   in Loop: Header=BB276_15 Depth=1
	v_and_b32_e32 v32, 7, v1
	v_lshrrev_b32_e32 v35, 3, v36
	s_mov_b32 s44, exec_lo
	v_cmpx_gt_u32_e32 8, v36
; %bb.70:                               ;   in Loop: Header=BB276_15 Depth=1
	v_ffbh_u32_e32 v20, v32
	v_min_u32_e32 v22, 32, v20
	v_subrev_nc_u32_e32 v20, 28, v22
	v_sub_nc_u32_e32 v35, 29, v22
	v_lshlrev_b64 v[20:21], v20, v[1:2]
	v_and_b32_e32 v32, 7, v20
; %bb.71:                               ;   in Loop: Header=BB276_15 Depth=1
	s_or_b32 exec_lo, exec_lo, s44
	v_lshlrev_b32_e32 v1, 8, v1
	v_lshl_add_u32 v20, v35, 10, 0x2000
	v_lshlrev_b32_e32 v21, 7, v32
	v_and_b32_e32 v1, 0x8000, v1
	v_and_b32_e32 v20, 0xfc00, v20
	v_or3_b32 v32, v1, v20, v21
.LBB276_72:                             ;   in Loop: Header=BB276_15 Depth=1
	s_or_b32 exec_lo, exec_lo, s43
.LBB276_73:                             ;   in Loop: Header=BB276_15 Depth=1
	s_or_b32 exec_lo, exec_lo, s42
.LBB276_74:                             ;   in Loop: Header=BB276_15 Depth=1
	s_or_b32 exec_lo, exec_lo, s41
	v_mov_b32_e32 v35, 0
	v_mov_b32_e32 v36, 0
	s_mov_b32 s41, exec_lo
	v_cmpx_lt_u64_e64 s[4:5], v[9:10]
	s_cbranch_execz .LBB276_82
; %bb.75:                               ;   in Loop: Header=BB276_15 Depth=1
	v_lshrrev_b32_e32 v1, 24, v10
	v_bfrev_b32_e32 v36, 1
	s_mov_b32 s42, exec_lo
	v_cmpx_ne_u32_e32 0x80, v1
	s_cbranch_execz .LBB276_81
; %bb.76:                               ;   in Loop: Header=BB276_15 Depth=1
	v_and_b32_e32 v37, 0x7f, v1
	v_mov_b32_e32 v36, 0x7c010000
	s_mov_b32 s43, exec_lo
	v_cmpx_ne_u32_e32 0x7f, v37
	s_cbranch_execz .LBB276_80
; %bb.77:                               ;   in Loop: Header=BB276_15 Depth=1
	v_and_b32_e32 v9, 7, v1
	v_lshrrev_b32_e32 v10, 3, v37
	s_mov_b32 s44, exec_lo
	v_cmpx_gt_u32_e32 8, v37
; %bb.78:                               ;   in Loop: Header=BB276_15 Depth=1
	v_ffbh_u32_e32 v9, v9
	v_min_u32_e32 v20, 32, v9
	v_subrev_nc_u32_e32 v9, 28, v20
	v_lshlrev_b64 v[9:10], v9, v[1:2]
	v_sub_nc_u32_e32 v10, 29, v20
	v_and_b32_e32 v9, 7, v9
; %bb.79:                               ;   in Loop: Header=BB276_15 Depth=1
	s_or_b32 exec_lo, exec_lo, s44
	v_lshlrev_b32_e32 v1, 8, v1
	v_lshl_add_u32 v10, v10, 10, 0x2000
	v_lshlrev_b32_e32 v9, 23, v9
	v_and_or_b32 v1, 0x8000, v1, v10
	v_lshl_or_b32 v36, v1, 16, v9
.LBB276_80:                             ;   in Loop: Header=BB276_15 Depth=1
	s_or_b32 exec_lo, exec_lo, s43
.LBB276_81:                             ;   in Loop: Header=BB276_15 Depth=1
	s_or_b32 exec_lo, exec_lo, s42
.LBB276_82:                             ;   in Loop: Header=BB276_15 Depth=1
	s_or_b32 exec_lo, exec_lo, s41
	global_load_dwordx2 v[9:10], v[7:8], off offset:8
	s_waitcnt vmcnt(0)
	v_cmp_ne_u16_sdwa s1, v9, v2 src0_sel:BYTE_0 src1_sel:DWORD
	s_and_saveexec_b32 s41, s1
	s_cbranch_execz .LBB276_90
; %bb.83:                               ;   in Loop: Header=BB276_15 Depth=1
	v_cmp_ne_u16_sdwa s1, v9, v19 src0_sel:BYTE_0 src1_sel:DWORD
	v_mov_b32_e32 v35, 0x8000
	s_and_saveexec_b32 s42, s1
	s_cbranch_execz .LBB276_89
; %bb.84:                               ;   in Loop: Header=BB276_15 Depth=1
	v_and_b32_e32 v37, 0x7f, v9
	v_mov_b32_e32 v35, 0x7c01
	s_mov_b32 s43, exec_lo
	v_cmpx_ne_u32_e32 0x7f, v37
	s_cbranch_execz .LBB276_88
; %bb.85:                               ;   in Loop: Header=BB276_15 Depth=1
	v_and_b32_e32 v1, 7, v9
	v_lshrrev_b32_e32 v35, 3, v37
	s_mov_b32 s44, exec_lo
	v_cmpx_gt_u32_e32 8, v37
; %bb.86:                               ;   in Loop: Header=BB276_15 Depth=1
	v_ffbh_u32_e32 v1, v1
	v_min_u32_e32 v1, 32, v1
	v_subrev_nc_u32_e32 v20, 28, v1
	v_sub_nc_u32_e32 v35, 29, v1
	v_lshlrev_b64 v[20:21], v20, v[9:10]
	v_and_b32_e32 v1, 7, v20
; %bb.87:                               ;   in Loop: Header=BB276_15 Depth=1
	s_or_b32 exec_lo, exec_lo, s44
	v_lshlrev_b32_e32 v20, 8, v9
	v_lshl_add_u32 v21, v35, 10, 0x2000
	v_lshlrev_b32_e32 v1, 7, v1
	v_and_b32_e32 v20, 0x8000, v20
	v_and_b32_e32 v21, 0xfc00, v21
	v_or3_b32 v35, v20, v21, v1
.LBB276_88:                             ;   in Loop: Header=BB276_15 Depth=1
	s_or_b32 exec_lo, exec_lo, s43
.LBB276_89:                             ;   in Loop: Header=BB276_15 Depth=1
	s_or_b32 exec_lo, exec_lo, s42
.LBB276_90:                             ;   in Loop: Header=BB276_15 Depth=1
	s_or_b32 exec_lo, exec_lo, s41
	v_lshrrev_b16 v1, 8, v9
	v_mov_b32_e32 v38, 0
	v_mov_b32_e32 v37, 0
	s_mov_b32 s41, exec_lo
	v_cmpx_ne_u16_e32 0, v1
	s_cbranch_execz .LBB276_98
; %bb.91:                               ;   in Loop: Header=BB276_15 Depth=1
	v_bfrev_b32_e32 v37, 1
	s_mov_b32 s42, exec_lo
	v_cmpx_ne_u16_e32 0x80, v1
	s_cbranch_execz .LBB276_97
; %bb.92:                               ;   in Loop: Header=BB276_15 Depth=1
	v_and_b32_sdwa v40, v1, v14 dst_sel:DWORD dst_unused:UNUSED_PAD src0_sel:WORD_0 src1_sel:DWORD
	v_mov_b32_e32 v37, 0x7c010000
	s_mov_b32 s43, exec_lo
	v_cmpx_ne_u32_e32 0x7f, v40
	s_cbranch_execz .LBB276_96
; %bb.93:                               ;   in Loop: Header=BB276_15 Depth=1
	v_and_b32_sdwa v37, v1, v15 dst_sel:DWORD dst_unused:UNUSED_PAD src0_sel:WORD_0 src1_sel:DWORD
	v_lshrrev_b32_e32 v39, 3, v40
	s_mov_b32 s44, exec_lo
	v_cmpx_gt_u32_e32 8, v40
; %bb.94:                               ;   in Loop: Header=BB276_15 Depth=1
	v_ffbh_u32_e32 v20, v37
	v_min_u32_e32 v22, 32, v20
	v_subrev_nc_u32_e32 v20, 28, v22
	v_sub_nc_u32_e32 v39, 29, v22
	v_lshlrev_b64 v[20:21], v20, v[1:2]
	v_and_b32_e32 v37, 7, v20
; %bb.95:                               ;   in Loop: Header=BB276_15 Depth=1
	s_or_b32 exec_lo, exec_lo, s44
	v_lshlrev_b32_sdwa v1, v11, v1 dst_sel:DWORD dst_unused:UNUSED_PAD src0_sel:DWORD src1_sel:WORD_0
	v_lshl_add_u32 v20, v39, 10, 0x2000
	v_and_or_b32 v1, 0x8000, v1, v20
	v_lshlrev_b32_e32 v20, 23, v37
	v_lshl_or_b32 v37, v1, 16, v20
.LBB276_96:                             ;   in Loop: Header=BB276_15 Depth=1
	s_or_b32 exec_lo, exec_lo, s43
.LBB276_97:                             ;   in Loop: Header=BB276_15 Depth=1
	s_or_b32 exec_lo, exec_lo, s42
.LBB276_98:                             ;   in Loop: Header=BB276_15 Depth=1
	s_or_b32 exec_lo, exec_lo, s41
	v_lshrrev_b32_e32 v1, 16, v9
	v_cmp_ne_u16_sdwa s1, v1, v2 src0_sel:BYTE_0 src1_sel:DWORD
	s_and_saveexec_b32 s41, s1
	s_cbranch_execz .LBB276_106
; %bb.99:                               ;   in Loop: Header=BB276_15 Depth=1
	v_cmp_ne_u16_sdwa s1, v1, v19 src0_sel:BYTE_0 src1_sel:DWORD
	v_mov_b32_e32 v38, 0x8000
	s_and_saveexec_b32 s42, s1
	s_cbranch_execz .LBB276_105
; %bb.100:                              ;   in Loop: Header=BB276_15 Depth=1
	v_bfe_u32 v40, v9, 16, 7
	v_mov_b32_e32 v38, 0x7c01
	s_mov_b32 s43, exec_lo
	v_cmpx_ne_u32_e32 0x7f, v40
	s_cbranch_execz .LBB276_104
; %bb.101:                              ;   in Loop: Header=BB276_15 Depth=1
	v_and_b32_e32 v38, 7, v1
	v_lshrrev_b32_e32 v39, 3, v40
	s_mov_b32 s44, exec_lo
	v_cmpx_gt_u32_e32 8, v40
; %bb.102:                              ;   in Loop: Header=BB276_15 Depth=1
	v_ffbh_u32_e32 v20, v38
	v_min_u32_e32 v22, 32, v20
	v_subrev_nc_u32_e32 v20, 28, v22
	v_sub_nc_u32_e32 v39, 29, v22
	v_lshlrev_b64 v[20:21], v20, v[1:2]
	v_and_b32_e32 v38, 7, v20
; %bb.103:                              ;   in Loop: Header=BB276_15 Depth=1
	s_or_b32 exec_lo, exec_lo, s44
	v_lshlrev_b32_e32 v1, 8, v1
	v_lshl_add_u32 v20, v39, 10, 0x2000
	v_lshlrev_b32_e32 v21, 7, v38
	v_and_b32_e32 v1, 0x8000, v1
	v_and_b32_e32 v20, 0xfc00, v20
	v_or3_b32 v38, v1, v20, v21
.LBB276_104:                            ;   in Loop: Header=BB276_15 Depth=1
	s_or_b32 exec_lo, exec_lo, s43
.LBB276_105:                            ;   in Loop: Header=BB276_15 Depth=1
	s_or_b32 exec_lo, exec_lo, s42
.LBB276_106:                            ;   in Loop: Header=BB276_15 Depth=1
	s_or_b32 exec_lo, exec_lo, s41
	v_mov_b32_e32 v39, 0
	v_mov_b32_e32 v40, 0
	s_mov_b32 s41, exec_lo
	v_cmpx_lt_u32_e32 0xffffff, v9
	s_cbranch_execz .LBB276_114
; %bb.107:                              ;   in Loop: Header=BB276_15 Depth=1
	v_lshrrev_b32_e32 v1, 24, v9
	v_bfrev_b32_e32 v40, 1
	s_mov_b32 s42, exec_lo
	v_cmpx_ne_u32_e32 0x80, v1
	s_cbranch_execz .LBB276_113
; %bb.108:                              ;   in Loop: Header=BB276_15 Depth=1
	v_and_b32_e32 v42, 0x7f, v1
	v_mov_b32_e32 v40, 0x7c010000
	s_mov_b32 s43, exec_lo
	v_cmpx_ne_u32_e32 0x7f, v42
	s_cbranch_execz .LBB276_112
; %bb.109:                              ;   in Loop: Header=BB276_15 Depth=1
	v_and_b32_e32 v40, 7, v1
	v_lshrrev_b32_e32 v41, 3, v42
	s_mov_b32 s44, exec_lo
	v_cmpx_gt_u32_e32 8, v42
; %bb.110:                              ;   in Loop: Header=BB276_15 Depth=1
	v_ffbh_u32_e32 v20, v40
	v_min_u32_e32 v22, 32, v20
	v_subrev_nc_u32_e32 v20, 28, v22
	v_sub_nc_u32_e32 v41, 29, v22
	v_lshlrev_b64 v[20:21], v20, v[1:2]
	v_and_b32_e32 v40, 7, v20
; %bb.111:                              ;   in Loop: Header=BB276_15 Depth=1
	s_or_b32 exec_lo, exec_lo, s44
	v_lshlrev_b32_e32 v1, 8, v1
	v_lshl_add_u32 v20, v41, 10, 0x2000
	v_and_or_b32 v1, 0x8000, v1, v20
	v_lshlrev_b32_e32 v20, 23, v40
	v_lshl_or_b32 v40, v1, 16, v20
.LBB276_112:                            ;   in Loop: Header=BB276_15 Depth=1
	s_or_b32 exec_lo, exec_lo, s43
.LBB276_113:                            ;   in Loop: Header=BB276_15 Depth=1
	s_or_b32 exec_lo, exec_lo, s42
.LBB276_114:                            ;   in Loop: Header=BB276_15 Depth=1
	s_or_b32 exec_lo, exec_lo, s41
	v_mov_b32_e32 v1, v10
	v_cmp_ne_u16_sdwa s1, v10, v2 src0_sel:BYTE_0 src1_sel:DWORD
	s_and_saveexec_b32 s41, s1
	s_cbranch_execz .LBB276_122
; %bb.115:                              ;   in Loop: Header=BB276_15 Depth=1
	v_cmp_ne_u16_sdwa s1, v10, v19 src0_sel:BYTE_0 src1_sel:DWORD
	v_mov_b32_e32 v39, 0x8000
	s_and_saveexec_b32 s42, s1
	s_cbranch_execz .LBB276_121
; %bb.116:                              ;   in Loop: Header=BB276_15 Depth=1
	v_and_b32_e32 v42, 0x7f, v10
	v_mov_b32_e32 v39, 0x7c01
	s_mov_b32 s43, exec_lo
	v_cmpx_ne_u32_e32 0x7f, v42
	s_cbranch_execz .LBB276_120
; %bb.117:                              ;   in Loop: Header=BB276_15 Depth=1
	v_and_b32_e32 v39, 7, v10
	v_lshrrev_b32_e32 v41, 3, v42
	s_mov_b32 s44, exec_lo
	v_cmpx_gt_u32_e32 8, v42
; %bb.118:                              ;   in Loop: Header=BB276_15 Depth=1
	v_ffbh_u32_e32 v20, v39
	v_min_u32_e32 v22, 32, v20
	v_subrev_nc_u32_e32 v20, 28, v22
	v_sub_nc_u32_e32 v41, 29, v22
	v_lshlrev_b64 v[20:21], v20, v[1:2]
	v_and_b32_e32 v39, 7, v20
; %bb.119:                              ;   in Loop: Header=BB276_15 Depth=1
	s_or_b32 exec_lo, exec_lo, s44
	v_lshlrev_b32_e32 v20, 8, v10
	v_lshl_add_u32 v21, v41, 10, 0x2000
	v_lshlrev_b32_e32 v22, 7, v39
	v_and_b32_e32 v20, 0x8000, v20
	v_and_b32_e32 v21, 0xfc00, v21
	v_or3_b32 v39, v20, v21, v22
.LBB276_120:                            ;   in Loop: Header=BB276_15 Depth=1
	s_or_b32 exec_lo, exec_lo, s43
.LBB276_121:                            ;   in Loop: Header=BB276_15 Depth=1
	s_or_b32 exec_lo, exec_lo, s42
.LBB276_122:                            ;   in Loop: Header=BB276_15 Depth=1
	s_or_b32 exec_lo, exec_lo, s41
	v_lshrrev_b16 v1, 8, v1
	v_mov_b32_e32 v43, 0
	v_mov_b32_e32 v42, 0
	s_mov_b32 s41, exec_lo
	v_cmpx_ne_u16_e32 0, v1
	s_cbranch_execz .LBB276_130
; %bb.123:                              ;   in Loop: Header=BB276_15 Depth=1
	v_bfrev_b32_e32 v42, 1
	s_mov_b32 s42, exec_lo
	v_cmpx_ne_u16_e32 0x80, v1
	s_cbranch_execz .LBB276_129
; %bb.124:                              ;   in Loop: Header=BB276_15 Depth=1
	v_and_b32_sdwa v44, v1, v14 dst_sel:DWORD dst_unused:UNUSED_PAD src0_sel:WORD_0 src1_sel:DWORD
	v_mov_b32_e32 v42, 0x7c010000
	s_mov_b32 s43, exec_lo
	v_cmpx_ne_u32_e32 0x7f, v44
	s_cbranch_execz .LBB276_128
; %bb.125:                              ;   in Loop: Header=BB276_15 Depth=1
	v_and_b32_sdwa v41, v1, v15 dst_sel:DWORD dst_unused:UNUSED_PAD src0_sel:WORD_0 src1_sel:DWORD
	v_lshrrev_b32_e32 v42, 3, v44
	s_mov_b32 s44, exec_lo
	v_cmpx_gt_u32_e32 8, v44
; %bb.126:                              ;   in Loop: Header=BB276_15 Depth=1
	v_ffbh_u32_e32 v20, v41
	v_min_u32_e32 v22, 32, v20
	v_subrev_nc_u32_e32 v20, 28, v22
	v_sub_nc_u32_e32 v42, 29, v22
	v_lshlrev_b64 v[20:21], v20, v[1:2]
	v_and_b32_e32 v41, 7, v20
; %bb.127:                              ;   in Loop: Header=BB276_15 Depth=1
	s_or_b32 exec_lo, exec_lo, s44
	v_lshlrev_b32_sdwa v1, v11, v1 dst_sel:DWORD dst_unused:UNUSED_PAD src0_sel:DWORD src1_sel:WORD_0
	v_lshl_add_u32 v20, v42, 10, 0x2000
	v_and_or_b32 v1, 0x8000, v1, v20
	v_lshlrev_b32_e32 v20, 23, v41
	v_lshl_or_b32 v42, v1, 16, v20
.LBB276_128:                            ;   in Loop: Header=BB276_15 Depth=1
	s_or_b32 exec_lo, exec_lo, s43
.LBB276_129:                            ;   in Loop: Header=BB276_15 Depth=1
	s_or_b32 exec_lo, exec_lo, s42
.LBB276_130:                            ;   in Loop: Header=BB276_15 Depth=1
	s_or_b32 exec_lo, exec_lo, s41
	v_lshrrev_b32_e32 v1, 16, v10
	v_cmp_ne_u16_sdwa s1, v1, v2 src0_sel:BYTE_0 src1_sel:DWORD
	s_and_saveexec_b32 s41, s1
	s_cbranch_execz .LBB276_138
; %bb.131:                              ;   in Loop: Header=BB276_15 Depth=1
	v_cmp_ne_u16_sdwa s1, v1, v19 src0_sel:BYTE_0 src1_sel:DWORD
	v_mov_b32_e32 v43, 0x8000
	s_and_saveexec_b32 s42, s1
	s_cbranch_execz .LBB276_137
; %bb.132:                              ;   in Loop: Header=BB276_15 Depth=1
	v_bfe_u32 v44, v10, 16, 7
	v_mov_b32_e32 v43, 0x7c01
	s_mov_b32 s43, exec_lo
	v_cmpx_ne_u32_e32 0x7f, v44
	s_cbranch_execz .LBB276_136
; %bb.133:                              ;   in Loop: Header=BB276_15 Depth=1
	v_and_b32_e32 v41, 7, v1
	v_lshrrev_b32_e32 v43, 3, v44
	s_mov_b32 s44, exec_lo
	v_cmpx_gt_u32_e32 8, v44
; %bb.134:                              ;   in Loop: Header=BB276_15 Depth=1
	v_ffbh_u32_e32 v20, v41
	v_min_u32_e32 v22, 32, v20
	v_subrev_nc_u32_e32 v20, 28, v22
	v_sub_nc_u32_e32 v43, 29, v22
	v_lshlrev_b64 v[20:21], v20, v[1:2]
	v_and_b32_e32 v41, 7, v20
; %bb.135:                              ;   in Loop: Header=BB276_15 Depth=1
	s_or_b32 exec_lo, exec_lo, s44
	v_lshlrev_b32_e32 v1, 8, v1
	v_lshl_add_u32 v20, v43, 10, 0x2000
	v_lshlrev_b32_e32 v21, 7, v41
	v_and_b32_e32 v1, 0x8000, v1
	v_and_b32_e32 v20, 0xfc00, v20
	v_or3_b32 v43, v1, v20, v21
.LBB276_136:                            ;   in Loop: Header=BB276_15 Depth=1
	s_or_b32 exec_lo, exec_lo, s43
.LBB276_137:                            ;   in Loop: Header=BB276_15 Depth=1
	s_or_b32 exec_lo, exec_lo, s42
.LBB276_138:                            ;   in Loop: Header=BB276_15 Depth=1
	s_or_b32 exec_lo, exec_lo, s41
	v_mov_b32_e32 v41, 0
	v_mov_b32_e32 v46, 0
	s_mov_b32 s41, exec_lo
	v_cmpx_lt_u64_e64 s[4:5], v[9:10]
	s_cbranch_execz .LBB276_146
; %bb.139:                              ;   in Loop: Header=BB276_15 Depth=1
	v_lshrrev_b32_e32 v1, 24, v10
	v_bfrev_b32_e32 v46, 1
	s_mov_b32 s42, exec_lo
	v_cmpx_ne_u32_e32 0x80, v1
	s_cbranch_execz .LBB276_145
; %bb.140:                              ;   in Loop: Header=BB276_15 Depth=1
	v_and_b32_e32 v44, 0x7f, v1
	v_mov_b32_e32 v46, 0x7c010000
	s_mov_b32 s43, exec_lo
	v_cmpx_ne_u32_e32 0x7f, v44
	s_cbranch_execz .LBB276_144
; %bb.141:                              ;   in Loop: Header=BB276_15 Depth=1
	v_and_b32_e32 v9, 7, v1
	v_lshrrev_b32_e32 v10, 3, v44
	s_mov_b32 s44, exec_lo
	v_cmpx_gt_u32_e32 8, v44
; %bb.142:                              ;   in Loop: Header=BB276_15 Depth=1
	v_ffbh_u32_e32 v9, v9
	v_min_u32_e32 v20, 32, v9
	v_subrev_nc_u32_e32 v9, 28, v20
	v_lshlrev_b64 v[9:10], v9, v[1:2]
	v_sub_nc_u32_e32 v10, 29, v20
	v_and_b32_e32 v9, 7, v9
; %bb.143:                              ;   in Loop: Header=BB276_15 Depth=1
	s_or_b32 exec_lo, exec_lo, s44
	v_lshlrev_b32_e32 v1, 8, v1
	v_lshl_add_u32 v10, v10, 10, 0x2000
	v_lshlrev_b32_e32 v9, 23, v9
	v_and_or_b32 v1, 0x8000, v1, v10
	v_lshl_or_b32 v46, v1, 16, v9
.LBB276_144:                            ;   in Loop: Header=BB276_15 Depth=1
	s_or_b32 exec_lo, exec_lo, s43
.LBB276_145:                            ;   in Loop: Header=BB276_15 Depth=1
	s_or_b32 exec_lo, exec_lo, s42
.LBB276_146:                            ;   in Loop: Header=BB276_15 Depth=1
	s_or_b32 exec_lo, exec_lo, s41
	global_load_dwordx2 v[9:10], v[7:8], off offset:512
	s_waitcnt vmcnt(0)
	v_cmp_ne_u16_sdwa s1, v9, v2 src0_sel:BYTE_0 src1_sel:DWORD
	s_and_saveexec_b32 s41, s1
	s_cbranch_execz .LBB276_154
; %bb.147:                              ;   in Loop: Header=BB276_15 Depth=1
	v_cmp_ne_u16_sdwa s1, v9, v19 src0_sel:BYTE_0 src1_sel:DWORD
	v_mov_b32_e32 v41, 0x8000
	s_and_saveexec_b32 s42, s1
	s_cbranch_execz .LBB276_153
; %bb.148:                              ;   in Loop: Header=BB276_15 Depth=1
	v_and_b32_e32 v44, 0x7f, v9
	v_mov_b32_e32 v41, 0x7c01
	s_mov_b32 s43, exec_lo
	v_cmpx_ne_u32_e32 0x7f, v44
	s_cbranch_execz .LBB276_152
; %bb.149:                              ;   in Loop: Header=BB276_15 Depth=1
	v_and_b32_e32 v1, 7, v9
	v_lshrrev_b32_e32 v41, 3, v44
	s_mov_b32 s44, exec_lo
	v_cmpx_gt_u32_e32 8, v44
; %bb.150:                              ;   in Loop: Header=BB276_15 Depth=1
	v_ffbh_u32_e32 v1, v1
	v_min_u32_e32 v1, 32, v1
	v_subrev_nc_u32_e32 v20, 28, v1
	v_sub_nc_u32_e32 v41, 29, v1
	v_lshlrev_b64 v[20:21], v20, v[9:10]
	v_and_b32_e32 v1, 7, v20
; %bb.151:                              ;   in Loop: Header=BB276_15 Depth=1
	s_or_b32 exec_lo, exec_lo, s44
	v_lshlrev_b32_e32 v20, 8, v9
	v_lshl_add_u32 v21, v41, 10, 0x2000
	v_lshlrev_b32_e32 v1, 7, v1
	v_and_b32_e32 v20, 0x8000, v20
	v_and_b32_e32 v21, 0xfc00, v21
	v_or3_b32 v41, v20, v21, v1
.LBB276_152:                            ;   in Loop: Header=BB276_15 Depth=1
	s_or_b32 exec_lo, exec_lo, s43
.LBB276_153:                            ;   in Loop: Header=BB276_15 Depth=1
	s_or_b32 exec_lo, exec_lo, s42
.LBB276_154:                            ;   in Loop: Header=BB276_15 Depth=1
	s_or_b32 exec_lo, exec_lo, s41
	v_lshrrev_b16 v1, 8, v9
	v_mov_b32_e32 v45, 0
	v_mov_b32_e32 v44, 0
	s_mov_b32 s41, exec_lo
	v_cmpx_ne_u16_e32 0, v1
	s_cbranch_execz .LBB276_162
; %bb.155:                              ;   in Loop: Header=BB276_15 Depth=1
	v_bfrev_b32_e32 v44, 1
	s_mov_b32 s42, exec_lo
	v_cmpx_ne_u16_e32 0x80, v1
	s_cbranch_execz .LBB276_161
; %bb.156:                              ;   in Loop: Header=BB276_15 Depth=1
	v_and_b32_sdwa v48, v1, v14 dst_sel:DWORD dst_unused:UNUSED_PAD src0_sel:WORD_0 src1_sel:DWORD
	v_mov_b32_e32 v44, 0x7c010000
	s_mov_b32 s43, exec_lo
	v_cmpx_ne_u32_e32 0x7f, v48
	s_cbranch_execz .LBB276_160
; %bb.157:                              ;   in Loop: Header=BB276_15 Depth=1
	v_and_b32_sdwa v44, v1, v15 dst_sel:DWORD dst_unused:UNUSED_PAD src0_sel:WORD_0 src1_sel:DWORD
	v_lshrrev_b32_e32 v47, 3, v48
	s_mov_b32 s44, exec_lo
	v_cmpx_gt_u32_e32 8, v48
; %bb.158:                              ;   in Loop: Header=BB276_15 Depth=1
	v_ffbh_u32_e32 v20, v44
	v_min_u32_e32 v22, 32, v20
	v_subrev_nc_u32_e32 v20, 28, v22
	v_sub_nc_u32_e32 v47, 29, v22
	v_lshlrev_b64 v[20:21], v20, v[1:2]
	v_and_b32_e32 v44, 7, v20
; %bb.159:                              ;   in Loop: Header=BB276_15 Depth=1
	s_or_b32 exec_lo, exec_lo, s44
	v_lshlrev_b32_sdwa v1, v11, v1 dst_sel:DWORD dst_unused:UNUSED_PAD src0_sel:DWORD src1_sel:WORD_0
	v_lshl_add_u32 v20, v47, 10, 0x2000
	v_and_or_b32 v1, 0x8000, v1, v20
	v_lshlrev_b32_e32 v20, 23, v44
	v_lshl_or_b32 v44, v1, 16, v20
.LBB276_160:                            ;   in Loop: Header=BB276_15 Depth=1
	s_or_b32 exec_lo, exec_lo, s43
.LBB276_161:                            ;   in Loop: Header=BB276_15 Depth=1
	s_or_b32 exec_lo, exec_lo, s42
.LBB276_162:                            ;   in Loop: Header=BB276_15 Depth=1
	s_or_b32 exec_lo, exec_lo, s41
	v_lshrrev_b32_e32 v1, 16, v9
	v_cmp_ne_u16_sdwa s1, v1, v2 src0_sel:BYTE_0 src1_sel:DWORD
	s_and_saveexec_b32 s41, s1
	s_cbranch_execz .LBB276_170
; %bb.163:                              ;   in Loop: Header=BB276_15 Depth=1
	v_cmp_ne_u16_sdwa s1, v1, v19 src0_sel:BYTE_0 src1_sel:DWORD
	v_mov_b32_e32 v45, 0x8000
	s_and_saveexec_b32 s42, s1
	s_cbranch_execz .LBB276_169
; %bb.164:                              ;   in Loop: Header=BB276_15 Depth=1
	v_bfe_u32 v48, v9, 16, 7
	v_mov_b32_e32 v45, 0x7c01
	s_mov_b32 s43, exec_lo
	v_cmpx_ne_u32_e32 0x7f, v48
	s_cbranch_execz .LBB276_168
; %bb.165:                              ;   in Loop: Header=BB276_15 Depth=1
	v_and_b32_e32 v45, 7, v1
	v_lshrrev_b32_e32 v47, 3, v48
	s_mov_b32 s44, exec_lo
	v_cmpx_gt_u32_e32 8, v48
; %bb.166:                              ;   in Loop: Header=BB276_15 Depth=1
	v_ffbh_u32_e32 v20, v45
	v_min_u32_e32 v22, 32, v20
	v_subrev_nc_u32_e32 v20, 28, v22
	v_sub_nc_u32_e32 v47, 29, v22
	v_lshlrev_b64 v[20:21], v20, v[1:2]
	v_and_b32_e32 v45, 7, v20
; %bb.167:                              ;   in Loop: Header=BB276_15 Depth=1
	s_or_b32 exec_lo, exec_lo, s44
	v_lshlrev_b32_e32 v1, 8, v1
	v_lshl_add_u32 v20, v47, 10, 0x2000
	v_lshlrev_b32_e32 v21, 7, v45
	v_and_b32_e32 v1, 0x8000, v1
	v_and_b32_e32 v20, 0xfc00, v20
	v_or3_b32 v45, v1, v20, v21
.LBB276_168:                            ;   in Loop: Header=BB276_15 Depth=1
	s_or_b32 exec_lo, exec_lo, s43
.LBB276_169:                            ;   in Loop: Header=BB276_15 Depth=1
	s_or_b32 exec_lo, exec_lo, s42
.LBB276_170:                            ;   in Loop: Header=BB276_15 Depth=1
	s_or_b32 exec_lo, exec_lo, s41
	v_mov_b32_e32 v47, 0
	v_mov_b32_e32 v48, 0
	s_mov_b32 s41, exec_lo
	v_cmpx_lt_u32_e32 0xffffff, v9
	s_cbranch_execz .LBB276_178
; %bb.171:                              ;   in Loop: Header=BB276_15 Depth=1
	v_lshrrev_b32_e32 v1, 24, v9
	v_bfrev_b32_e32 v48, 1
	s_mov_b32 s42, exec_lo
	v_cmpx_ne_u32_e32 0x80, v1
	s_cbranch_execz .LBB276_177
; %bb.172:                              ;   in Loop: Header=BB276_15 Depth=1
	v_and_b32_e32 v50, 0x7f, v1
	v_mov_b32_e32 v48, 0x7c010000
	s_mov_b32 s43, exec_lo
	v_cmpx_ne_u32_e32 0x7f, v50
	s_cbranch_execz .LBB276_176
; %bb.173:                              ;   in Loop: Header=BB276_15 Depth=1
	v_and_b32_e32 v48, 7, v1
	v_lshrrev_b32_e32 v49, 3, v50
	s_mov_b32 s44, exec_lo
	v_cmpx_gt_u32_e32 8, v50
; %bb.174:                              ;   in Loop: Header=BB276_15 Depth=1
	v_ffbh_u32_e32 v20, v48
	v_min_u32_e32 v22, 32, v20
	v_subrev_nc_u32_e32 v20, 28, v22
	v_sub_nc_u32_e32 v49, 29, v22
	v_lshlrev_b64 v[20:21], v20, v[1:2]
	v_and_b32_e32 v48, 7, v20
; %bb.175:                              ;   in Loop: Header=BB276_15 Depth=1
	s_or_b32 exec_lo, exec_lo, s44
	v_lshlrev_b32_e32 v1, 8, v1
	v_lshl_add_u32 v20, v49, 10, 0x2000
	v_and_or_b32 v1, 0x8000, v1, v20
	v_lshlrev_b32_e32 v20, 23, v48
	v_lshl_or_b32 v48, v1, 16, v20
.LBB276_176:                            ;   in Loop: Header=BB276_15 Depth=1
	s_or_b32 exec_lo, exec_lo, s43
.LBB276_177:                            ;   in Loop: Header=BB276_15 Depth=1
	s_or_b32 exec_lo, exec_lo, s42
.LBB276_178:                            ;   in Loop: Header=BB276_15 Depth=1
	s_or_b32 exec_lo, exec_lo, s41
	v_mov_b32_e32 v1, v10
	v_cmp_ne_u16_sdwa s1, v10, v2 src0_sel:BYTE_0 src1_sel:DWORD
	s_and_saveexec_b32 s41, s1
	s_cbranch_execz .LBB276_186
; %bb.179:                              ;   in Loop: Header=BB276_15 Depth=1
	v_cmp_ne_u16_sdwa s1, v10, v19 src0_sel:BYTE_0 src1_sel:DWORD
	v_mov_b32_e32 v47, 0x8000
	s_and_saveexec_b32 s42, s1
	s_cbranch_execz .LBB276_185
; %bb.180:                              ;   in Loop: Header=BB276_15 Depth=1
	v_and_b32_e32 v50, 0x7f, v10
	v_mov_b32_e32 v47, 0x7c01
	s_mov_b32 s43, exec_lo
	v_cmpx_ne_u32_e32 0x7f, v50
	s_cbranch_execz .LBB276_184
; %bb.181:                              ;   in Loop: Header=BB276_15 Depth=1
	v_and_b32_e32 v47, 7, v10
	v_lshrrev_b32_e32 v49, 3, v50
	s_mov_b32 s44, exec_lo
	v_cmpx_gt_u32_e32 8, v50
; %bb.182:                              ;   in Loop: Header=BB276_15 Depth=1
	v_ffbh_u32_e32 v20, v47
	v_min_u32_e32 v22, 32, v20
	v_subrev_nc_u32_e32 v20, 28, v22
	v_sub_nc_u32_e32 v49, 29, v22
	v_lshlrev_b64 v[20:21], v20, v[1:2]
	v_and_b32_e32 v47, 7, v20
; %bb.183:                              ;   in Loop: Header=BB276_15 Depth=1
	s_or_b32 exec_lo, exec_lo, s44
	v_lshlrev_b32_e32 v20, 8, v10
	v_lshl_add_u32 v21, v49, 10, 0x2000
	v_lshlrev_b32_e32 v22, 7, v47
	v_and_b32_e32 v20, 0x8000, v20
	v_and_b32_e32 v21, 0xfc00, v21
	v_or3_b32 v47, v20, v21, v22
.LBB276_184:                            ;   in Loop: Header=BB276_15 Depth=1
	s_or_b32 exec_lo, exec_lo, s43
.LBB276_185:                            ;   in Loop: Header=BB276_15 Depth=1
	s_or_b32 exec_lo, exec_lo, s42
.LBB276_186:                            ;   in Loop: Header=BB276_15 Depth=1
	s_or_b32 exec_lo, exec_lo, s41
	v_lshrrev_b16 v1, 8, v1
	v_mov_b32_e32 v51, 0
	v_mov_b32_e32 v50, 0
	s_mov_b32 s41, exec_lo
	v_cmpx_ne_u16_e32 0, v1
	s_cbranch_execz .LBB276_194
; %bb.187:                              ;   in Loop: Header=BB276_15 Depth=1
	v_bfrev_b32_e32 v50, 1
	s_mov_b32 s42, exec_lo
	v_cmpx_ne_u16_e32 0x80, v1
	s_cbranch_execz .LBB276_193
; %bb.188:                              ;   in Loop: Header=BB276_15 Depth=1
	v_and_b32_sdwa v52, v1, v14 dst_sel:DWORD dst_unused:UNUSED_PAD src0_sel:WORD_0 src1_sel:DWORD
	v_mov_b32_e32 v50, 0x7c010000
	s_mov_b32 s43, exec_lo
	v_cmpx_ne_u32_e32 0x7f, v52
	s_cbranch_execz .LBB276_192
; %bb.189:                              ;   in Loop: Header=BB276_15 Depth=1
	v_and_b32_sdwa v49, v1, v15 dst_sel:DWORD dst_unused:UNUSED_PAD src0_sel:WORD_0 src1_sel:DWORD
	v_lshrrev_b32_e32 v50, 3, v52
	s_mov_b32 s44, exec_lo
	v_cmpx_gt_u32_e32 8, v52
; %bb.190:                              ;   in Loop: Header=BB276_15 Depth=1
	v_ffbh_u32_e32 v20, v49
	v_min_u32_e32 v22, 32, v20
	v_subrev_nc_u32_e32 v20, 28, v22
	v_sub_nc_u32_e32 v50, 29, v22
	v_lshlrev_b64 v[20:21], v20, v[1:2]
	v_and_b32_e32 v49, 7, v20
; %bb.191:                              ;   in Loop: Header=BB276_15 Depth=1
	s_or_b32 exec_lo, exec_lo, s44
	v_lshlrev_b32_sdwa v1, v11, v1 dst_sel:DWORD dst_unused:UNUSED_PAD src0_sel:DWORD src1_sel:WORD_0
	v_lshl_add_u32 v20, v50, 10, 0x2000
	v_and_or_b32 v1, 0x8000, v1, v20
	v_lshlrev_b32_e32 v20, 23, v49
	v_lshl_or_b32 v50, v1, 16, v20
.LBB276_192:                            ;   in Loop: Header=BB276_15 Depth=1
	s_or_b32 exec_lo, exec_lo, s43
.LBB276_193:                            ;   in Loop: Header=BB276_15 Depth=1
	s_or_b32 exec_lo, exec_lo, s42
.LBB276_194:                            ;   in Loop: Header=BB276_15 Depth=1
	s_or_b32 exec_lo, exec_lo, s41
	v_lshrrev_b32_e32 v1, 16, v10
	v_cmp_ne_u16_sdwa s1, v1, v2 src0_sel:BYTE_0 src1_sel:DWORD
	s_and_saveexec_b32 s41, s1
	s_cbranch_execz .LBB276_202
; %bb.195:                              ;   in Loop: Header=BB276_15 Depth=1
	v_cmp_ne_u16_sdwa s1, v1, v19 src0_sel:BYTE_0 src1_sel:DWORD
	v_mov_b32_e32 v51, 0x8000
	s_and_saveexec_b32 s42, s1
	s_cbranch_execz .LBB276_201
; %bb.196:                              ;   in Loop: Header=BB276_15 Depth=1
	v_bfe_u32 v52, v10, 16, 7
	v_mov_b32_e32 v51, 0x7c01
	s_mov_b32 s43, exec_lo
	v_cmpx_ne_u32_e32 0x7f, v52
	s_cbranch_execz .LBB276_200
; %bb.197:                              ;   in Loop: Header=BB276_15 Depth=1
	v_and_b32_e32 v49, 7, v1
	v_lshrrev_b32_e32 v51, 3, v52
	s_mov_b32 s44, exec_lo
	v_cmpx_gt_u32_e32 8, v52
; %bb.198:                              ;   in Loop: Header=BB276_15 Depth=1
	v_ffbh_u32_e32 v20, v49
	v_min_u32_e32 v22, 32, v20
	v_subrev_nc_u32_e32 v20, 28, v22
	v_sub_nc_u32_e32 v51, 29, v22
	v_lshlrev_b64 v[20:21], v20, v[1:2]
	v_and_b32_e32 v49, 7, v20
; %bb.199:                              ;   in Loop: Header=BB276_15 Depth=1
	s_or_b32 exec_lo, exec_lo, s44
	v_lshlrev_b32_e32 v1, 8, v1
	v_lshl_add_u32 v20, v51, 10, 0x2000
	v_lshlrev_b32_e32 v21, 7, v49
	v_and_b32_e32 v1, 0x8000, v1
	v_and_b32_e32 v20, 0xfc00, v20
	v_or3_b32 v51, v1, v20, v21
.LBB276_200:                            ;   in Loop: Header=BB276_15 Depth=1
	s_or_b32 exec_lo, exec_lo, s43
.LBB276_201:                            ;   in Loop: Header=BB276_15 Depth=1
	s_or_b32 exec_lo, exec_lo, s42
.LBB276_202:                            ;   in Loop: Header=BB276_15 Depth=1
	s_or_b32 exec_lo, exec_lo, s41
	v_mov_b32_e32 v49, 0
	v_mov_b32_e32 v54, 0
	s_mov_b32 s41, exec_lo
	v_cmpx_lt_u64_e64 s[4:5], v[9:10]
	s_cbranch_execz .LBB276_210
; %bb.203:                              ;   in Loop: Header=BB276_15 Depth=1
	v_lshrrev_b32_e32 v1, 24, v10
	v_bfrev_b32_e32 v54, 1
	s_mov_b32 s42, exec_lo
	v_cmpx_ne_u32_e32 0x80, v1
	s_cbranch_execz .LBB276_209
; %bb.204:                              ;   in Loop: Header=BB276_15 Depth=1
	v_and_b32_e32 v52, 0x7f, v1
	v_mov_b32_e32 v54, 0x7c010000
	s_mov_b32 s43, exec_lo
	v_cmpx_ne_u32_e32 0x7f, v52
	s_cbranch_execz .LBB276_208
; %bb.205:                              ;   in Loop: Header=BB276_15 Depth=1
	v_and_b32_e32 v9, 7, v1
	v_lshrrev_b32_e32 v10, 3, v52
	s_mov_b32 s44, exec_lo
	v_cmpx_gt_u32_e32 8, v52
; %bb.206:                              ;   in Loop: Header=BB276_15 Depth=1
	v_ffbh_u32_e32 v9, v9
	v_min_u32_e32 v20, 32, v9
	v_subrev_nc_u32_e32 v9, 28, v20
	v_lshlrev_b64 v[9:10], v9, v[1:2]
	v_sub_nc_u32_e32 v10, 29, v20
	v_and_b32_e32 v9, 7, v9
; %bb.207:                              ;   in Loop: Header=BB276_15 Depth=1
	s_or_b32 exec_lo, exec_lo, s44
	v_lshlrev_b32_e32 v1, 8, v1
	v_lshl_add_u32 v10, v10, 10, 0x2000
	v_lshlrev_b32_e32 v9, 23, v9
	v_and_or_b32 v1, 0x8000, v1, v10
	v_lshl_or_b32 v54, v1, 16, v9
.LBB276_208:                            ;   in Loop: Header=BB276_15 Depth=1
	s_or_b32 exec_lo, exec_lo, s43
.LBB276_209:                            ;   in Loop: Header=BB276_15 Depth=1
	s_or_b32 exec_lo, exec_lo, s42
.LBB276_210:                            ;   in Loop: Header=BB276_15 Depth=1
	s_or_b32 exec_lo, exec_lo, s41
	global_load_dwordx2 v[9:10], v[7:8], off offset:520
	s_waitcnt vmcnt(0)
	v_cmp_ne_u16_sdwa s1, v9, v2 src0_sel:BYTE_0 src1_sel:DWORD
	s_and_saveexec_b32 s41, s1
	s_cbranch_execz .LBB276_218
; %bb.211:                              ;   in Loop: Header=BB276_15 Depth=1
	v_cmp_ne_u16_sdwa s1, v9, v19 src0_sel:BYTE_0 src1_sel:DWORD
	v_mov_b32_e32 v49, 0x8000
	s_and_saveexec_b32 s42, s1
	s_cbranch_execz .LBB276_217
; %bb.212:                              ;   in Loop: Header=BB276_15 Depth=1
	v_and_b32_e32 v52, 0x7f, v9
	v_mov_b32_e32 v49, 0x7c01
	s_mov_b32 s43, exec_lo
	v_cmpx_ne_u32_e32 0x7f, v52
	s_cbranch_execz .LBB276_216
; %bb.213:                              ;   in Loop: Header=BB276_15 Depth=1
	v_and_b32_e32 v1, 7, v9
	v_lshrrev_b32_e32 v49, 3, v52
	s_mov_b32 s44, exec_lo
	v_cmpx_gt_u32_e32 8, v52
; %bb.214:                              ;   in Loop: Header=BB276_15 Depth=1
	v_ffbh_u32_e32 v1, v1
	v_min_u32_e32 v1, 32, v1
	v_subrev_nc_u32_e32 v20, 28, v1
	v_sub_nc_u32_e32 v49, 29, v1
	v_lshlrev_b64 v[20:21], v20, v[9:10]
	v_and_b32_e32 v1, 7, v20
; %bb.215:                              ;   in Loop: Header=BB276_15 Depth=1
	s_or_b32 exec_lo, exec_lo, s44
	v_lshlrev_b32_e32 v20, 8, v9
	v_lshl_add_u32 v21, v49, 10, 0x2000
	v_lshlrev_b32_e32 v1, 7, v1
	v_and_b32_e32 v20, 0x8000, v20
	v_and_b32_e32 v21, 0xfc00, v21
	v_or3_b32 v49, v20, v21, v1
.LBB276_216:                            ;   in Loop: Header=BB276_15 Depth=1
	s_or_b32 exec_lo, exec_lo, s43
.LBB276_217:                            ;   in Loop: Header=BB276_15 Depth=1
	s_or_b32 exec_lo, exec_lo, s42
.LBB276_218:                            ;   in Loop: Header=BB276_15 Depth=1
	s_or_b32 exec_lo, exec_lo, s41
	v_lshrrev_b16 v1, 8, v9
	v_mov_b32_e32 v53, 0
	v_mov_b32_e32 v52, 0
	s_mov_b32 s41, exec_lo
	v_cmpx_ne_u16_e32 0, v1
	s_cbranch_execz .LBB276_226
; %bb.219:                              ;   in Loop: Header=BB276_15 Depth=1
	v_bfrev_b32_e32 v52, 1
	s_mov_b32 s42, exec_lo
	v_cmpx_ne_u16_e32 0x80, v1
	s_cbranch_execz .LBB276_225
; %bb.220:                              ;   in Loop: Header=BB276_15 Depth=1
	v_and_b32_sdwa v56, v1, v14 dst_sel:DWORD dst_unused:UNUSED_PAD src0_sel:WORD_0 src1_sel:DWORD
	v_mov_b32_e32 v52, 0x7c010000
	s_mov_b32 s43, exec_lo
	v_cmpx_ne_u32_e32 0x7f, v56
	s_cbranch_execz .LBB276_224
; %bb.221:                              ;   in Loop: Header=BB276_15 Depth=1
	v_and_b32_sdwa v52, v1, v15 dst_sel:DWORD dst_unused:UNUSED_PAD src0_sel:WORD_0 src1_sel:DWORD
	v_lshrrev_b32_e32 v55, 3, v56
	s_mov_b32 s44, exec_lo
	v_cmpx_gt_u32_e32 8, v56
; %bb.222:                              ;   in Loop: Header=BB276_15 Depth=1
	v_ffbh_u32_e32 v20, v52
	v_min_u32_e32 v22, 32, v20
	v_subrev_nc_u32_e32 v20, 28, v22
	v_sub_nc_u32_e32 v55, 29, v22
	v_lshlrev_b64 v[20:21], v20, v[1:2]
	v_and_b32_e32 v52, 7, v20
; %bb.223:                              ;   in Loop: Header=BB276_15 Depth=1
	s_or_b32 exec_lo, exec_lo, s44
	v_lshlrev_b32_sdwa v1, v11, v1 dst_sel:DWORD dst_unused:UNUSED_PAD src0_sel:DWORD src1_sel:WORD_0
	v_lshl_add_u32 v20, v55, 10, 0x2000
	v_and_or_b32 v1, 0x8000, v1, v20
	v_lshlrev_b32_e32 v20, 23, v52
	v_lshl_or_b32 v52, v1, 16, v20
.LBB276_224:                            ;   in Loop: Header=BB276_15 Depth=1
	s_or_b32 exec_lo, exec_lo, s43
.LBB276_225:                            ;   in Loop: Header=BB276_15 Depth=1
	s_or_b32 exec_lo, exec_lo, s42
.LBB276_226:                            ;   in Loop: Header=BB276_15 Depth=1
	s_or_b32 exec_lo, exec_lo, s41
	v_lshrrev_b32_e32 v1, 16, v9
	v_cmp_ne_u16_sdwa s1, v1, v2 src0_sel:BYTE_0 src1_sel:DWORD
	s_and_saveexec_b32 s41, s1
	s_cbranch_execz .LBB276_234
; %bb.227:                              ;   in Loop: Header=BB276_15 Depth=1
	v_cmp_ne_u16_sdwa s1, v1, v19 src0_sel:BYTE_0 src1_sel:DWORD
	v_mov_b32_e32 v53, 0x8000
	s_and_saveexec_b32 s42, s1
	s_cbranch_execz .LBB276_233
; %bb.228:                              ;   in Loop: Header=BB276_15 Depth=1
	v_bfe_u32 v56, v9, 16, 7
	v_mov_b32_e32 v53, 0x7c01
	s_mov_b32 s43, exec_lo
	v_cmpx_ne_u32_e32 0x7f, v56
	s_cbranch_execz .LBB276_232
; %bb.229:                              ;   in Loop: Header=BB276_15 Depth=1
	v_and_b32_e32 v53, 7, v1
	v_lshrrev_b32_e32 v55, 3, v56
	s_mov_b32 s44, exec_lo
	v_cmpx_gt_u32_e32 8, v56
; %bb.230:                              ;   in Loop: Header=BB276_15 Depth=1
	v_ffbh_u32_e32 v20, v53
	v_min_u32_e32 v22, 32, v20
	v_subrev_nc_u32_e32 v20, 28, v22
	v_sub_nc_u32_e32 v55, 29, v22
	v_lshlrev_b64 v[20:21], v20, v[1:2]
	v_and_b32_e32 v53, 7, v20
; %bb.231:                              ;   in Loop: Header=BB276_15 Depth=1
	s_or_b32 exec_lo, exec_lo, s44
	v_lshlrev_b32_e32 v1, 8, v1
	v_lshl_add_u32 v20, v55, 10, 0x2000
	v_lshlrev_b32_e32 v21, 7, v53
	v_and_b32_e32 v1, 0x8000, v1
	v_and_b32_e32 v20, 0xfc00, v20
	v_or3_b32 v53, v1, v20, v21
.LBB276_232:                            ;   in Loop: Header=BB276_15 Depth=1
	s_or_b32 exec_lo, exec_lo, s43
.LBB276_233:                            ;   in Loop: Header=BB276_15 Depth=1
	s_or_b32 exec_lo, exec_lo, s42
.LBB276_234:                            ;   in Loop: Header=BB276_15 Depth=1
	s_or_b32 exec_lo, exec_lo, s41
	v_mov_b32_e32 v55, 0
	v_mov_b32_e32 v56, 0
	s_mov_b32 s41, exec_lo
	v_cmpx_lt_u32_e32 0xffffff, v9
	s_cbranch_execz .LBB276_242
; %bb.235:                              ;   in Loop: Header=BB276_15 Depth=1
	v_lshrrev_b32_e32 v1, 24, v9
	v_bfrev_b32_e32 v56, 1
	s_mov_b32 s42, exec_lo
	v_cmpx_ne_u32_e32 0x80, v1
	s_cbranch_execz .LBB276_241
; %bb.236:                              ;   in Loop: Header=BB276_15 Depth=1
	v_and_b32_e32 v58, 0x7f, v1
	v_mov_b32_e32 v56, 0x7c010000
	s_mov_b32 s43, exec_lo
	v_cmpx_ne_u32_e32 0x7f, v58
	s_cbranch_execz .LBB276_240
; %bb.237:                              ;   in Loop: Header=BB276_15 Depth=1
	v_and_b32_e32 v56, 7, v1
	v_lshrrev_b32_e32 v57, 3, v58
	s_mov_b32 s44, exec_lo
	v_cmpx_gt_u32_e32 8, v58
; %bb.238:                              ;   in Loop: Header=BB276_15 Depth=1
	v_ffbh_u32_e32 v20, v56
	v_min_u32_e32 v22, 32, v20
	v_subrev_nc_u32_e32 v20, 28, v22
	v_sub_nc_u32_e32 v57, 29, v22
	v_lshlrev_b64 v[20:21], v20, v[1:2]
	v_and_b32_e32 v56, 7, v20
; %bb.239:                              ;   in Loop: Header=BB276_15 Depth=1
	s_or_b32 exec_lo, exec_lo, s44
	v_lshlrev_b32_e32 v1, 8, v1
	v_lshl_add_u32 v20, v57, 10, 0x2000
	v_and_or_b32 v1, 0x8000, v1, v20
	v_lshlrev_b32_e32 v20, 23, v56
	v_lshl_or_b32 v56, v1, 16, v20
.LBB276_240:                            ;   in Loop: Header=BB276_15 Depth=1
	s_or_b32 exec_lo, exec_lo, s43
.LBB276_241:                            ;   in Loop: Header=BB276_15 Depth=1
	s_or_b32 exec_lo, exec_lo, s42
.LBB276_242:                            ;   in Loop: Header=BB276_15 Depth=1
	s_or_b32 exec_lo, exec_lo, s41
	v_mov_b32_e32 v1, v10
	v_cmp_ne_u16_sdwa s1, v10, v2 src0_sel:BYTE_0 src1_sel:DWORD
	s_and_saveexec_b32 s41, s1
	s_cbranch_execz .LBB276_250
; %bb.243:                              ;   in Loop: Header=BB276_15 Depth=1
	v_cmp_ne_u16_sdwa s1, v10, v19 src0_sel:BYTE_0 src1_sel:DWORD
	v_mov_b32_e32 v55, 0x8000
	s_and_saveexec_b32 s42, s1
	s_cbranch_execz .LBB276_249
; %bb.244:                              ;   in Loop: Header=BB276_15 Depth=1
	v_and_b32_e32 v58, 0x7f, v10
	v_mov_b32_e32 v55, 0x7c01
	s_mov_b32 s43, exec_lo
	v_cmpx_ne_u32_e32 0x7f, v58
	s_cbranch_execz .LBB276_248
; %bb.245:                              ;   in Loop: Header=BB276_15 Depth=1
	v_and_b32_e32 v55, 7, v10
	v_lshrrev_b32_e32 v57, 3, v58
	s_mov_b32 s44, exec_lo
	v_cmpx_gt_u32_e32 8, v58
; %bb.246:                              ;   in Loop: Header=BB276_15 Depth=1
	v_ffbh_u32_e32 v20, v55
	v_min_u32_e32 v22, 32, v20
	v_subrev_nc_u32_e32 v20, 28, v22
	v_sub_nc_u32_e32 v57, 29, v22
	v_lshlrev_b64 v[20:21], v20, v[1:2]
	v_and_b32_e32 v55, 7, v20
; %bb.247:                              ;   in Loop: Header=BB276_15 Depth=1
	s_or_b32 exec_lo, exec_lo, s44
	v_lshlrev_b32_e32 v20, 8, v10
	v_lshl_add_u32 v21, v57, 10, 0x2000
	v_lshlrev_b32_e32 v22, 7, v55
	v_and_b32_e32 v20, 0x8000, v20
	v_and_b32_e32 v21, 0xfc00, v21
	v_or3_b32 v55, v20, v21, v22
.LBB276_248:                            ;   in Loop: Header=BB276_15 Depth=1
	s_or_b32 exec_lo, exec_lo, s43
.LBB276_249:                            ;   in Loop: Header=BB276_15 Depth=1
	s_or_b32 exec_lo, exec_lo, s42
.LBB276_250:                            ;   in Loop: Header=BB276_15 Depth=1
	s_or_b32 exec_lo, exec_lo, s41
	v_lshrrev_b16 v1, 8, v1
	v_mov_b32_e32 v59, 0
	v_mov_b32_e32 v58, 0
	s_mov_b32 s41, exec_lo
	v_cmpx_ne_u16_e32 0, v1
	s_cbranch_execz .LBB276_258
; %bb.251:                              ;   in Loop: Header=BB276_15 Depth=1
	v_bfrev_b32_e32 v58, 1
	s_mov_b32 s42, exec_lo
	v_cmpx_ne_u16_e32 0x80, v1
	s_cbranch_execz .LBB276_257
; %bb.252:                              ;   in Loop: Header=BB276_15 Depth=1
	v_and_b32_sdwa v60, v1, v14 dst_sel:DWORD dst_unused:UNUSED_PAD src0_sel:WORD_0 src1_sel:DWORD
	v_mov_b32_e32 v58, 0x7c010000
	s_mov_b32 s43, exec_lo
	v_cmpx_ne_u32_e32 0x7f, v60
	s_cbranch_execz .LBB276_256
; %bb.253:                              ;   in Loop: Header=BB276_15 Depth=1
	v_and_b32_sdwa v57, v1, v15 dst_sel:DWORD dst_unused:UNUSED_PAD src0_sel:WORD_0 src1_sel:DWORD
	v_lshrrev_b32_e32 v58, 3, v60
	s_mov_b32 s44, exec_lo
	v_cmpx_gt_u32_e32 8, v60
; %bb.254:                              ;   in Loop: Header=BB276_15 Depth=1
	v_ffbh_u32_e32 v20, v57
	v_min_u32_e32 v22, 32, v20
	v_subrev_nc_u32_e32 v20, 28, v22
	v_sub_nc_u32_e32 v58, 29, v22
	v_lshlrev_b64 v[20:21], v20, v[1:2]
	v_and_b32_e32 v57, 7, v20
; %bb.255:                              ;   in Loop: Header=BB276_15 Depth=1
	s_or_b32 exec_lo, exec_lo, s44
	v_lshlrev_b32_sdwa v1, v11, v1 dst_sel:DWORD dst_unused:UNUSED_PAD src0_sel:DWORD src1_sel:WORD_0
	v_lshl_add_u32 v20, v58, 10, 0x2000
	v_and_or_b32 v1, 0x8000, v1, v20
	v_lshlrev_b32_e32 v20, 23, v57
	v_lshl_or_b32 v58, v1, 16, v20
.LBB276_256:                            ;   in Loop: Header=BB276_15 Depth=1
	s_or_b32 exec_lo, exec_lo, s43
.LBB276_257:                            ;   in Loop: Header=BB276_15 Depth=1
	s_or_b32 exec_lo, exec_lo, s42
.LBB276_258:                            ;   in Loop: Header=BB276_15 Depth=1
	s_or_b32 exec_lo, exec_lo, s41
	v_lshrrev_b32_e32 v1, 16, v10
	v_cmp_ne_u16_sdwa s1, v1, v2 src0_sel:BYTE_0 src1_sel:DWORD
	s_and_saveexec_b32 s41, s1
	s_cbranch_execz .LBB276_266
; %bb.259:                              ;   in Loop: Header=BB276_15 Depth=1
	v_cmp_ne_u16_sdwa s1, v1, v19 src0_sel:BYTE_0 src1_sel:DWORD
	v_mov_b32_e32 v59, 0x8000
	s_and_saveexec_b32 s42, s1
	s_cbranch_execz .LBB276_265
; %bb.260:                              ;   in Loop: Header=BB276_15 Depth=1
	v_bfe_u32 v60, v10, 16, 7
	v_mov_b32_e32 v59, 0x7c01
	s_mov_b32 s43, exec_lo
	v_cmpx_ne_u32_e32 0x7f, v60
	s_cbranch_execz .LBB276_264
; %bb.261:                              ;   in Loop: Header=BB276_15 Depth=1
	v_and_b32_e32 v57, 7, v1
	v_lshrrev_b32_e32 v59, 3, v60
	s_mov_b32 s44, exec_lo
	v_cmpx_gt_u32_e32 8, v60
; %bb.262:                              ;   in Loop: Header=BB276_15 Depth=1
	v_ffbh_u32_e32 v20, v57
	v_min_u32_e32 v22, 32, v20
	v_subrev_nc_u32_e32 v20, 28, v22
	v_sub_nc_u32_e32 v59, 29, v22
	v_lshlrev_b64 v[20:21], v20, v[1:2]
	v_and_b32_e32 v57, 7, v20
; %bb.263:                              ;   in Loop: Header=BB276_15 Depth=1
	s_or_b32 exec_lo, exec_lo, s44
	v_lshlrev_b32_e32 v1, 8, v1
	v_lshl_add_u32 v20, v59, 10, 0x2000
	v_lshlrev_b32_e32 v21, 7, v57
	v_and_b32_e32 v1, 0x8000, v1
	v_and_b32_e32 v20, 0xfc00, v20
	v_or3_b32 v59, v1, v20, v21
.LBB276_264:                            ;   in Loop: Header=BB276_15 Depth=1
	s_or_b32 exec_lo, exec_lo, s43
.LBB276_265:                            ;   in Loop: Header=BB276_15 Depth=1
	s_or_b32 exec_lo, exec_lo, s42
.LBB276_266:                            ;   in Loop: Header=BB276_15 Depth=1
	s_or_b32 exec_lo, exec_lo, s41
	v_mov_b32_e32 v57, 0
	v_mov_b32_e32 v62, 0
	s_mov_b32 s41, exec_lo
	v_cmpx_lt_u64_e64 s[4:5], v[9:10]
	s_cbranch_execz .LBB276_274
; %bb.267:                              ;   in Loop: Header=BB276_15 Depth=1
	v_lshrrev_b32_e32 v1, 24, v10
	v_bfrev_b32_e32 v62, 1
	s_mov_b32 s42, exec_lo
	v_cmpx_ne_u32_e32 0x80, v1
	s_cbranch_execz .LBB276_273
; %bb.268:                              ;   in Loop: Header=BB276_15 Depth=1
	v_and_b32_e32 v60, 0x7f, v1
	v_mov_b32_e32 v62, 0x7c010000
	s_mov_b32 s43, exec_lo
	v_cmpx_ne_u32_e32 0x7f, v60
	s_cbranch_execz .LBB276_272
; %bb.269:                              ;   in Loop: Header=BB276_15 Depth=1
	v_and_b32_e32 v9, 7, v1
	v_lshrrev_b32_e32 v10, 3, v60
	s_mov_b32 s44, exec_lo
	v_cmpx_gt_u32_e32 8, v60
; %bb.270:                              ;   in Loop: Header=BB276_15 Depth=1
	v_ffbh_u32_e32 v9, v9
	v_min_u32_e32 v20, 32, v9
	v_subrev_nc_u32_e32 v9, 28, v20
	v_lshlrev_b64 v[9:10], v9, v[1:2]
	v_sub_nc_u32_e32 v10, 29, v20
	v_and_b32_e32 v9, 7, v9
; %bb.271:                              ;   in Loop: Header=BB276_15 Depth=1
	s_or_b32 exec_lo, exec_lo, s44
	v_lshlrev_b32_e32 v1, 8, v1
	v_lshl_add_u32 v10, v10, 10, 0x2000
	v_lshlrev_b32_e32 v9, 23, v9
	v_and_or_b32 v1, 0x8000, v1, v10
	v_lshl_or_b32 v62, v1, 16, v9
.LBB276_272:                            ;   in Loop: Header=BB276_15 Depth=1
	s_or_b32 exec_lo, exec_lo, s43
.LBB276_273:                            ;   in Loop: Header=BB276_15 Depth=1
	s_or_b32 exec_lo, exec_lo, s42
.LBB276_274:                            ;   in Loop: Header=BB276_15 Depth=1
	s_or_b32 exec_lo, exec_lo, s41
	global_load_dwordx2 v[9:10], v[7:8], off offset:1024
	s_waitcnt vmcnt(0)
	v_cmp_ne_u16_sdwa s1, v9, v2 src0_sel:BYTE_0 src1_sel:DWORD
	s_and_saveexec_b32 s41, s1
	s_cbranch_execz .LBB276_282
; %bb.275:                              ;   in Loop: Header=BB276_15 Depth=1
	v_cmp_ne_u16_sdwa s1, v9, v19 src0_sel:BYTE_0 src1_sel:DWORD
	v_mov_b32_e32 v57, 0x8000
	s_and_saveexec_b32 s42, s1
	s_cbranch_execz .LBB276_281
; %bb.276:                              ;   in Loop: Header=BB276_15 Depth=1
	v_and_b32_e32 v60, 0x7f, v9
	v_mov_b32_e32 v57, 0x7c01
	s_mov_b32 s43, exec_lo
	v_cmpx_ne_u32_e32 0x7f, v60
	s_cbranch_execz .LBB276_280
; %bb.277:                              ;   in Loop: Header=BB276_15 Depth=1
	v_and_b32_e32 v1, 7, v9
	v_lshrrev_b32_e32 v57, 3, v60
	s_mov_b32 s44, exec_lo
	v_cmpx_gt_u32_e32 8, v60
; %bb.278:                              ;   in Loop: Header=BB276_15 Depth=1
	v_ffbh_u32_e32 v1, v1
	v_min_u32_e32 v1, 32, v1
	v_subrev_nc_u32_e32 v20, 28, v1
	v_sub_nc_u32_e32 v57, 29, v1
	v_lshlrev_b64 v[20:21], v20, v[9:10]
	v_and_b32_e32 v1, 7, v20
; %bb.279:                              ;   in Loop: Header=BB276_15 Depth=1
	s_or_b32 exec_lo, exec_lo, s44
	v_lshlrev_b32_e32 v20, 8, v9
	v_lshl_add_u32 v21, v57, 10, 0x2000
	v_lshlrev_b32_e32 v1, 7, v1
	v_and_b32_e32 v20, 0x8000, v20
	v_and_b32_e32 v21, 0xfc00, v21
	v_or3_b32 v57, v20, v21, v1
.LBB276_280:                            ;   in Loop: Header=BB276_15 Depth=1
	s_or_b32 exec_lo, exec_lo, s43
.LBB276_281:                            ;   in Loop: Header=BB276_15 Depth=1
	s_or_b32 exec_lo, exec_lo, s42
.LBB276_282:                            ;   in Loop: Header=BB276_15 Depth=1
	s_or_b32 exec_lo, exec_lo, s41
	v_lshrrev_b16 v1, 8, v9
	v_mov_b32_e32 v61, 0
	v_mov_b32_e32 v60, 0
	s_mov_b32 s41, exec_lo
	v_cmpx_ne_u16_e32 0, v1
	s_cbranch_execz .LBB276_290
; %bb.283:                              ;   in Loop: Header=BB276_15 Depth=1
	v_bfrev_b32_e32 v60, 1
	s_mov_b32 s42, exec_lo
	v_cmpx_ne_u16_e32 0x80, v1
	s_cbranch_execz .LBB276_289
; %bb.284:                              ;   in Loop: Header=BB276_15 Depth=1
	v_and_b32_sdwa v64, v1, v14 dst_sel:DWORD dst_unused:UNUSED_PAD src0_sel:WORD_0 src1_sel:DWORD
	v_mov_b32_e32 v60, 0x7c010000
	s_mov_b32 s43, exec_lo
	v_cmpx_ne_u32_e32 0x7f, v64
	s_cbranch_execz .LBB276_288
; %bb.285:                              ;   in Loop: Header=BB276_15 Depth=1
	v_and_b32_sdwa v60, v1, v15 dst_sel:DWORD dst_unused:UNUSED_PAD src0_sel:WORD_0 src1_sel:DWORD
	v_lshrrev_b32_e32 v63, 3, v64
	s_mov_b32 s44, exec_lo
	v_cmpx_gt_u32_e32 8, v64
; %bb.286:                              ;   in Loop: Header=BB276_15 Depth=1
	v_ffbh_u32_e32 v20, v60
	v_min_u32_e32 v22, 32, v20
	v_subrev_nc_u32_e32 v20, 28, v22
	v_sub_nc_u32_e32 v63, 29, v22
	v_lshlrev_b64 v[20:21], v20, v[1:2]
	v_and_b32_e32 v60, 7, v20
; %bb.287:                              ;   in Loop: Header=BB276_15 Depth=1
	s_or_b32 exec_lo, exec_lo, s44
	v_lshlrev_b32_sdwa v1, v11, v1 dst_sel:DWORD dst_unused:UNUSED_PAD src0_sel:DWORD src1_sel:WORD_0
	v_lshl_add_u32 v20, v63, 10, 0x2000
	v_and_or_b32 v1, 0x8000, v1, v20
	v_lshlrev_b32_e32 v20, 23, v60
	v_lshl_or_b32 v60, v1, 16, v20
.LBB276_288:                            ;   in Loop: Header=BB276_15 Depth=1
	s_or_b32 exec_lo, exec_lo, s43
.LBB276_289:                            ;   in Loop: Header=BB276_15 Depth=1
	s_or_b32 exec_lo, exec_lo, s42
.LBB276_290:                            ;   in Loop: Header=BB276_15 Depth=1
	s_or_b32 exec_lo, exec_lo, s41
	v_lshrrev_b32_e32 v1, 16, v9
	v_cmp_ne_u16_sdwa s1, v1, v2 src0_sel:BYTE_0 src1_sel:DWORD
	s_and_saveexec_b32 s41, s1
	s_cbranch_execz .LBB276_298
; %bb.291:                              ;   in Loop: Header=BB276_15 Depth=1
	v_cmp_ne_u16_sdwa s1, v1, v19 src0_sel:BYTE_0 src1_sel:DWORD
	v_mov_b32_e32 v61, 0x8000
	s_and_saveexec_b32 s42, s1
	s_cbranch_execz .LBB276_297
; %bb.292:                              ;   in Loop: Header=BB276_15 Depth=1
	v_bfe_u32 v64, v9, 16, 7
	v_mov_b32_e32 v61, 0x7c01
	s_mov_b32 s43, exec_lo
	v_cmpx_ne_u32_e32 0x7f, v64
	s_cbranch_execz .LBB276_296
; %bb.293:                              ;   in Loop: Header=BB276_15 Depth=1
	v_and_b32_e32 v61, 7, v1
	v_lshrrev_b32_e32 v63, 3, v64
	s_mov_b32 s44, exec_lo
	v_cmpx_gt_u32_e32 8, v64
; %bb.294:                              ;   in Loop: Header=BB276_15 Depth=1
	v_ffbh_u32_e32 v20, v61
	v_min_u32_e32 v22, 32, v20
	v_subrev_nc_u32_e32 v20, 28, v22
	v_sub_nc_u32_e32 v63, 29, v22
	v_lshlrev_b64 v[20:21], v20, v[1:2]
	v_and_b32_e32 v61, 7, v20
; %bb.295:                              ;   in Loop: Header=BB276_15 Depth=1
	s_or_b32 exec_lo, exec_lo, s44
	v_lshlrev_b32_e32 v1, 8, v1
	v_lshl_add_u32 v20, v63, 10, 0x2000
	v_lshlrev_b32_e32 v21, 7, v61
	v_and_b32_e32 v1, 0x8000, v1
	v_and_b32_e32 v20, 0xfc00, v20
	v_or3_b32 v61, v1, v20, v21
.LBB276_296:                            ;   in Loop: Header=BB276_15 Depth=1
	s_or_b32 exec_lo, exec_lo, s43
.LBB276_297:                            ;   in Loop: Header=BB276_15 Depth=1
	s_or_b32 exec_lo, exec_lo, s42
.LBB276_298:                            ;   in Loop: Header=BB276_15 Depth=1
	s_or_b32 exec_lo, exec_lo, s41
	v_mov_b32_e32 v63, 0
	v_mov_b32_e32 v64, 0
	s_mov_b32 s41, exec_lo
	v_cmpx_lt_u32_e32 0xffffff, v9
	s_cbranch_execz .LBB276_306
; %bb.299:                              ;   in Loop: Header=BB276_15 Depth=1
	v_lshrrev_b32_e32 v1, 24, v9
	v_bfrev_b32_e32 v64, 1
	s_mov_b32 s42, exec_lo
	v_cmpx_ne_u32_e32 0x80, v1
	s_cbranch_execz .LBB276_305
; %bb.300:                              ;   in Loop: Header=BB276_15 Depth=1
	v_and_b32_e32 v66, 0x7f, v1
	v_mov_b32_e32 v64, 0x7c010000
	s_mov_b32 s43, exec_lo
	v_cmpx_ne_u32_e32 0x7f, v66
	s_cbranch_execz .LBB276_304
; %bb.301:                              ;   in Loop: Header=BB276_15 Depth=1
	v_and_b32_e32 v64, 7, v1
	v_lshrrev_b32_e32 v65, 3, v66
	s_mov_b32 s44, exec_lo
	v_cmpx_gt_u32_e32 8, v66
; %bb.302:                              ;   in Loop: Header=BB276_15 Depth=1
	v_ffbh_u32_e32 v20, v64
	v_min_u32_e32 v22, 32, v20
	v_subrev_nc_u32_e32 v20, 28, v22
	v_sub_nc_u32_e32 v65, 29, v22
	v_lshlrev_b64 v[20:21], v20, v[1:2]
	v_and_b32_e32 v64, 7, v20
; %bb.303:                              ;   in Loop: Header=BB276_15 Depth=1
	s_or_b32 exec_lo, exec_lo, s44
	v_lshlrev_b32_e32 v1, 8, v1
	v_lshl_add_u32 v20, v65, 10, 0x2000
	v_and_or_b32 v1, 0x8000, v1, v20
	v_lshlrev_b32_e32 v20, 23, v64
	v_lshl_or_b32 v64, v1, 16, v20
.LBB276_304:                            ;   in Loop: Header=BB276_15 Depth=1
	s_or_b32 exec_lo, exec_lo, s43
.LBB276_305:                            ;   in Loop: Header=BB276_15 Depth=1
	s_or_b32 exec_lo, exec_lo, s42
.LBB276_306:                            ;   in Loop: Header=BB276_15 Depth=1
	s_or_b32 exec_lo, exec_lo, s41
	v_mov_b32_e32 v1, v10
	v_cmp_ne_u16_sdwa s1, v10, v2 src0_sel:BYTE_0 src1_sel:DWORD
	s_and_saveexec_b32 s41, s1
	s_cbranch_execz .LBB276_314
; %bb.307:                              ;   in Loop: Header=BB276_15 Depth=1
	v_cmp_ne_u16_sdwa s1, v10, v19 src0_sel:BYTE_0 src1_sel:DWORD
	v_mov_b32_e32 v63, 0x8000
	s_and_saveexec_b32 s42, s1
	s_cbranch_execz .LBB276_313
; %bb.308:                              ;   in Loop: Header=BB276_15 Depth=1
	v_and_b32_e32 v66, 0x7f, v10
	v_mov_b32_e32 v63, 0x7c01
	s_mov_b32 s43, exec_lo
	v_cmpx_ne_u32_e32 0x7f, v66
	s_cbranch_execz .LBB276_312
; %bb.309:                              ;   in Loop: Header=BB276_15 Depth=1
	v_and_b32_e32 v63, 7, v10
	v_lshrrev_b32_e32 v65, 3, v66
	s_mov_b32 s44, exec_lo
	v_cmpx_gt_u32_e32 8, v66
; %bb.310:                              ;   in Loop: Header=BB276_15 Depth=1
	v_ffbh_u32_e32 v20, v63
	v_min_u32_e32 v22, 32, v20
	v_subrev_nc_u32_e32 v20, 28, v22
	v_sub_nc_u32_e32 v65, 29, v22
	v_lshlrev_b64 v[20:21], v20, v[1:2]
	v_and_b32_e32 v63, 7, v20
; %bb.311:                              ;   in Loop: Header=BB276_15 Depth=1
	s_or_b32 exec_lo, exec_lo, s44
	v_lshlrev_b32_e32 v20, 8, v10
	v_lshl_add_u32 v21, v65, 10, 0x2000
	v_lshlrev_b32_e32 v22, 7, v63
	v_and_b32_e32 v20, 0x8000, v20
	v_and_b32_e32 v21, 0xfc00, v21
	v_or3_b32 v63, v20, v21, v22
.LBB276_312:                            ;   in Loop: Header=BB276_15 Depth=1
	s_or_b32 exec_lo, exec_lo, s43
.LBB276_313:                            ;   in Loop: Header=BB276_15 Depth=1
	s_or_b32 exec_lo, exec_lo, s42
.LBB276_314:                            ;   in Loop: Header=BB276_15 Depth=1
	s_or_b32 exec_lo, exec_lo, s41
	v_lshrrev_b16 v1, 8, v1
	v_mov_b32_e32 v67, 0
	v_mov_b32_e32 v66, 0
	s_mov_b32 s41, exec_lo
	v_cmpx_ne_u16_e32 0, v1
	s_cbranch_execz .LBB276_322
; %bb.315:                              ;   in Loop: Header=BB276_15 Depth=1
	v_bfrev_b32_e32 v66, 1
	s_mov_b32 s42, exec_lo
	v_cmpx_ne_u16_e32 0x80, v1
	s_cbranch_execz .LBB276_321
; %bb.316:                              ;   in Loop: Header=BB276_15 Depth=1
	v_and_b32_sdwa v68, v1, v14 dst_sel:DWORD dst_unused:UNUSED_PAD src0_sel:WORD_0 src1_sel:DWORD
	v_mov_b32_e32 v66, 0x7c010000
	s_mov_b32 s43, exec_lo
	v_cmpx_ne_u32_e32 0x7f, v68
	s_cbranch_execz .LBB276_320
; %bb.317:                              ;   in Loop: Header=BB276_15 Depth=1
	v_and_b32_sdwa v65, v1, v15 dst_sel:DWORD dst_unused:UNUSED_PAD src0_sel:WORD_0 src1_sel:DWORD
	v_lshrrev_b32_e32 v66, 3, v68
	s_mov_b32 s44, exec_lo
	v_cmpx_gt_u32_e32 8, v68
; %bb.318:                              ;   in Loop: Header=BB276_15 Depth=1
	v_ffbh_u32_e32 v20, v65
	v_min_u32_e32 v22, 32, v20
	v_subrev_nc_u32_e32 v20, 28, v22
	v_sub_nc_u32_e32 v66, 29, v22
	v_lshlrev_b64 v[20:21], v20, v[1:2]
	v_and_b32_e32 v65, 7, v20
; %bb.319:                              ;   in Loop: Header=BB276_15 Depth=1
	s_or_b32 exec_lo, exec_lo, s44
	v_lshlrev_b32_sdwa v1, v11, v1 dst_sel:DWORD dst_unused:UNUSED_PAD src0_sel:DWORD src1_sel:WORD_0
	v_lshl_add_u32 v20, v66, 10, 0x2000
	v_and_or_b32 v1, 0x8000, v1, v20
	v_lshlrev_b32_e32 v20, 23, v65
	v_lshl_or_b32 v66, v1, 16, v20
.LBB276_320:                            ;   in Loop: Header=BB276_15 Depth=1
	s_or_b32 exec_lo, exec_lo, s43
.LBB276_321:                            ;   in Loop: Header=BB276_15 Depth=1
	s_or_b32 exec_lo, exec_lo, s42
.LBB276_322:                            ;   in Loop: Header=BB276_15 Depth=1
	s_or_b32 exec_lo, exec_lo, s41
	v_lshrrev_b32_e32 v1, 16, v10
	v_cmp_ne_u16_sdwa s1, v1, v2 src0_sel:BYTE_0 src1_sel:DWORD
	s_and_saveexec_b32 s41, s1
	s_cbranch_execz .LBB276_330
; %bb.323:                              ;   in Loop: Header=BB276_15 Depth=1
	v_cmp_ne_u16_sdwa s1, v1, v19 src0_sel:BYTE_0 src1_sel:DWORD
	v_mov_b32_e32 v67, 0x8000
	s_and_saveexec_b32 s42, s1
	s_cbranch_execz .LBB276_329
; %bb.324:                              ;   in Loop: Header=BB276_15 Depth=1
	v_bfe_u32 v68, v10, 16, 7
	v_mov_b32_e32 v67, 0x7c01
	s_mov_b32 s43, exec_lo
	v_cmpx_ne_u32_e32 0x7f, v68
	s_cbranch_execz .LBB276_328
; %bb.325:                              ;   in Loop: Header=BB276_15 Depth=1
	v_and_b32_e32 v65, 7, v1
	v_lshrrev_b32_e32 v67, 3, v68
	s_mov_b32 s44, exec_lo
	v_cmpx_gt_u32_e32 8, v68
; %bb.326:                              ;   in Loop: Header=BB276_15 Depth=1
	v_ffbh_u32_e32 v20, v65
	v_min_u32_e32 v22, 32, v20
	v_subrev_nc_u32_e32 v20, 28, v22
	v_sub_nc_u32_e32 v67, 29, v22
	v_lshlrev_b64 v[20:21], v20, v[1:2]
	v_and_b32_e32 v65, 7, v20
; %bb.327:                              ;   in Loop: Header=BB276_15 Depth=1
	s_or_b32 exec_lo, exec_lo, s44
	v_lshlrev_b32_e32 v1, 8, v1
	v_lshl_add_u32 v20, v67, 10, 0x2000
	v_lshlrev_b32_e32 v21, 7, v65
	v_and_b32_e32 v1, 0x8000, v1
	v_and_b32_e32 v20, 0xfc00, v20
	v_or3_b32 v67, v1, v20, v21
.LBB276_328:                            ;   in Loop: Header=BB276_15 Depth=1
	s_or_b32 exec_lo, exec_lo, s43
.LBB276_329:                            ;   in Loop: Header=BB276_15 Depth=1
	s_or_b32 exec_lo, exec_lo, s42
.LBB276_330:                            ;   in Loop: Header=BB276_15 Depth=1
	s_or_b32 exec_lo, exec_lo, s41
	v_mov_b32_e32 v65, 0
	v_mov_b32_e32 v70, 0
	s_mov_b32 s41, exec_lo
	v_cmpx_lt_u64_e64 s[4:5], v[9:10]
	s_cbranch_execz .LBB276_338
; %bb.331:                              ;   in Loop: Header=BB276_15 Depth=1
	v_lshrrev_b32_e32 v1, 24, v10
	v_bfrev_b32_e32 v70, 1
	s_mov_b32 s42, exec_lo
	v_cmpx_ne_u32_e32 0x80, v1
	s_cbranch_execz .LBB276_337
; %bb.332:                              ;   in Loop: Header=BB276_15 Depth=1
	v_and_b32_e32 v68, 0x7f, v1
	v_mov_b32_e32 v70, 0x7c010000
	s_mov_b32 s43, exec_lo
	v_cmpx_ne_u32_e32 0x7f, v68
	s_cbranch_execz .LBB276_336
; %bb.333:                              ;   in Loop: Header=BB276_15 Depth=1
	v_and_b32_e32 v9, 7, v1
	v_lshrrev_b32_e32 v10, 3, v68
	s_mov_b32 s44, exec_lo
	v_cmpx_gt_u32_e32 8, v68
; %bb.334:                              ;   in Loop: Header=BB276_15 Depth=1
	v_ffbh_u32_e32 v9, v9
	v_min_u32_e32 v20, 32, v9
	v_subrev_nc_u32_e32 v9, 28, v20
	v_lshlrev_b64 v[9:10], v9, v[1:2]
	v_sub_nc_u32_e32 v10, 29, v20
	v_and_b32_e32 v9, 7, v9
; %bb.335:                              ;   in Loop: Header=BB276_15 Depth=1
	s_or_b32 exec_lo, exec_lo, s44
	v_lshlrev_b32_e32 v1, 8, v1
	v_lshl_add_u32 v10, v10, 10, 0x2000
	v_lshlrev_b32_e32 v9, 23, v9
	v_and_or_b32 v1, 0x8000, v1, v10
	v_lshl_or_b32 v70, v1, 16, v9
.LBB276_336:                            ;   in Loop: Header=BB276_15 Depth=1
	s_or_b32 exec_lo, exec_lo, s43
.LBB276_337:                            ;   in Loop: Header=BB276_15 Depth=1
	s_or_b32 exec_lo, exec_lo, s42
.LBB276_338:                            ;   in Loop: Header=BB276_15 Depth=1
	s_or_b32 exec_lo, exec_lo, s41
	global_load_dwordx2 v[9:10], v[7:8], off offset:1032
	s_waitcnt vmcnt(0)
	v_cmp_ne_u16_sdwa s1, v9, v2 src0_sel:BYTE_0 src1_sel:DWORD
	s_and_saveexec_b32 s41, s1
	s_cbranch_execz .LBB276_346
; %bb.339:                              ;   in Loop: Header=BB276_15 Depth=1
	v_cmp_ne_u16_sdwa s1, v9, v19 src0_sel:BYTE_0 src1_sel:DWORD
	v_mov_b32_e32 v65, 0x8000
	s_and_saveexec_b32 s42, s1
	s_cbranch_execz .LBB276_345
; %bb.340:                              ;   in Loop: Header=BB276_15 Depth=1
	v_and_b32_e32 v68, 0x7f, v9
	v_mov_b32_e32 v65, 0x7c01
	s_mov_b32 s43, exec_lo
	v_cmpx_ne_u32_e32 0x7f, v68
	s_cbranch_execz .LBB276_344
; %bb.341:                              ;   in Loop: Header=BB276_15 Depth=1
	v_and_b32_e32 v1, 7, v9
	v_lshrrev_b32_e32 v65, 3, v68
	s_mov_b32 s44, exec_lo
	v_cmpx_gt_u32_e32 8, v68
; %bb.342:                              ;   in Loop: Header=BB276_15 Depth=1
	v_ffbh_u32_e32 v1, v1
	v_min_u32_e32 v1, 32, v1
	v_subrev_nc_u32_e32 v20, 28, v1
	v_sub_nc_u32_e32 v65, 29, v1
	v_lshlrev_b64 v[20:21], v20, v[9:10]
	v_and_b32_e32 v1, 7, v20
; %bb.343:                              ;   in Loop: Header=BB276_15 Depth=1
	s_or_b32 exec_lo, exec_lo, s44
	v_lshlrev_b32_e32 v20, 8, v9
	v_lshl_add_u32 v21, v65, 10, 0x2000
	v_lshlrev_b32_e32 v1, 7, v1
	v_and_b32_e32 v20, 0x8000, v20
	v_and_b32_e32 v21, 0xfc00, v21
	v_or3_b32 v65, v20, v21, v1
.LBB276_344:                            ;   in Loop: Header=BB276_15 Depth=1
	s_or_b32 exec_lo, exec_lo, s43
.LBB276_345:                            ;   in Loop: Header=BB276_15 Depth=1
	s_or_b32 exec_lo, exec_lo, s42
.LBB276_346:                            ;   in Loop: Header=BB276_15 Depth=1
	s_or_b32 exec_lo, exec_lo, s41
	v_lshrrev_b16 v1, 8, v9
	v_mov_b32_e32 v69, 0
	v_mov_b32_e32 v68, 0
	s_mov_b32 s41, exec_lo
	v_cmpx_ne_u16_e32 0, v1
	s_cbranch_execz .LBB276_354
; %bb.347:                              ;   in Loop: Header=BB276_15 Depth=1
	v_bfrev_b32_e32 v68, 1
	s_mov_b32 s42, exec_lo
	v_cmpx_ne_u16_e32 0x80, v1
	s_cbranch_execz .LBB276_353
; %bb.348:                              ;   in Loop: Header=BB276_15 Depth=1
	v_and_b32_sdwa v72, v1, v14 dst_sel:DWORD dst_unused:UNUSED_PAD src0_sel:WORD_0 src1_sel:DWORD
	v_mov_b32_e32 v68, 0x7c010000
	s_mov_b32 s43, exec_lo
	v_cmpx_ne_u32_e32 0x7f, v72
	s_cbranch_execz .LBB276_352
; %bb.349:                              ;   in Loop: Header=BB276_15 Depth=1
	v_and_b32_sdwa v68, v1, v15 dst_sel:DWORD dst_unused:UNUSED_PAD src0_sel:WORD_0 src1_sel:DWORD
	v_lshrrev_b32_e32 v71, 3, v72
	s_mov_b32 s44, exec_lo
	v_cmpx_gt_u32_e32 8, v72
; %bb.350:                              ;   in Loop: Header=BB276_15 Depth=1
	v_ffbh_u32_e32 v20, v68
	v_min_u32_e32 v22, 32, v20
	v_subrev_nc_u32_e32 v20, 28, v22
	v_sub_nc_u32_e32 v71, 29, v22
	v_lshlrev_b64 v[20:21], v20, v[1:2]
	v_and_b32_e32 v68, 7, v20
; %bb.351:                              ;   in Loop: Header=BB276_15 Depth=1
	s_or_b32 exec_lo, exec_lo, s44
	v_lshlrev_b32_sdwa v1, v11, v1 dst_sel:DWORD dst_unused:UNUSED_PAD src0_sel:DWORD src1_sel:WORD_0
	v_lshl_add_u32 v20, v71, 10, 0x2000
	v_and_or_b32 v1, 0x8000, v1, v20
	v_lshlrev_b32_e32 v20, 23, v68
	v_lshl_or_b32 v68, v1, 16, v20
.LBB276_352:                            ;   in Loop: Header=BB276_15 Depth=1
	s_or_b32 exec_lo, exec_lo, s43
.LBB276_353:                            ;   in Loop: Header=BB276_15 Depth=1
	s_or_b32 exec_lo, exec_lo, s42
.LBB276_354:                            ;   in Loop: Header=BB276_15 Depth=1
	s_or_b32 exec_lo, exec_lo, s41
	v_lshrrev_b32_e32 v1, 16, v9
	v_cmp_ne_u16_sdwa s1, v1, v2 src0_sel:BYTE_0 src1_sel:DWORD
	s_and_saveexec_b32 s41, s1
	s_cbranch_execz .LBB276_362
; %bb.355:                              ;   in Loop: Header=BB276_15 Depth=1
	v_cmp_ne_u16_sdwa s1, v1, v19 src0_sel:BYTE_0 src1_sel:DWORD
	v_mov_b32_e32 v69, 0x8000
	s_and_saveexec_b32 s42, s1
	s_cbranch_execz .LBB276_361
; %bb.356:                              ;   in Loop: Header=BB276_15 Depth=1
	v_bfe_u32 v72, v9, 16, 7
	v_mov_b32_e32 v69, 0x7c01
	s_mov_b32 s43, exec_lo
	v_cmpx_ne_u32_e32 0x7f, v72
	s_cbranch_execz .LBB276_360
; %bb.357:                              ;   in Loop: Header=BB276_15 Depth=1
	v_and_b32_e32 v69, 7, v1
	v_lshrrev_b32_e32 v71, 3, v72
	s_mov_b32 s44, exec_lo
	v_cmpx_gt_u32_e32 8, v72
; %bb.358:                              ;   in Loop: Header=BB276_15 Depth=1
	v_ffbh_u32_e32 v20, v69
	v_min_u32_e32 v22, 32, v20
	v_subrev_nc_u32_e32 v20, 28, v22
	v_sub_nc_u32_e32 v71, 29, v22
	v_lshlrev_b64 v[20:21], v20, v[1:2]
	v_and_b32_e32 v69, 7, v20
; %bb.359:                              ;   in Loop: Header=BB276_15 Depth=1
	s_or_b32 exec_lo, exec_lo, s44
	v_lshlrev_b32_e32 v1, 8, v1
	v_lshl_add_u32 v20, v71, 10, 0x2000
	v_lshlrev_b32_e32 v21, 7, v69
	v_and_b32_e32 v1, 0x8000, v1
	v_and_b32_e32 v20, 0xfc00, v20
	v_or3_b32 v69, v1, v20, v21
.LBB276_360:                            ;   in Loop: Header=BB276_15 Depth=1
	s_or_b32 exec_lo, exec_lo, s43
.LBB276_361:                            ;   in Loop: Header=BB276_15 Depth=1
	s_or_b32 exec_lo, exec_lo, s42
.LBB276_362:                            ;   in Loop: Header=BB276_15 Depth=1
	s_or_b32 exec_lo, exec_lo, s41
	v_mov_b32_e32 v71, 0
	v_mov_b32_e32 v72, 0
	s_mov_b32 s41, exec_lo
	v_cmpx_lt_u32_e32 0xffffff, v9
	s_cbranch_execz .LBB276_370
; %bb.363:                              ;   in Loop: Header=BB276_15 Depth=1
	v_lshrrev_b32_e32 v1, 24, v9
	v_bfrev_b32_e32 v72, 1
	s_mov_b32 s42, exec_lo
	v_cmpx_ne_u32_e32 0x80, v1
	s_cbranch_execz .LBB276_369
; %bb.364:                              ;   in Loop: Header=BB276_15 Depth=1
	v_and_b32_e32 v74, 0x7f, v1
	v_mov_b32_e32 v72, 0x7c010000
	s_mov_b32 s43, exec_lo
	v_cmpx_ne_u32_e32 0x7f, v74
	s_cbranch_execz .LBB276_368
; %bb.365:                              ;   in Loop: Header=BB276_15 Depth=1
	v_and_b32_e32 v72, 7, v1
	v_lshrrev_b32_e32 v73, 3, v74
	s_mov_b32 s44, exec_lo
	v_cmpx_gt_u32_e32 8, v74
; %bb.366:                              ;   in Loop: Header=BB276_15 Depth=1
	v_ffbh_u32_e32 v20, v72
	v_min_u32_e32 v22, 32, v20
	v_subrev_nc_u32_e32 v20, 28, v22
	v_sub_nc_u32_e32 v73, 29, v22
	v_lshlrev_b64 v[20:21], v20, v[1:2]
	v_and_b32_e32 v72, 7, v20
; %bb.367:                              ;   in Loop: Header=BB276_15 Depth=1
	s_or_b32 exec_lo, exec_lo, s44
	v_lshlrev_b32_e32 v1, 8, v1
	v_lshl_add_u32 v20, v73, 10, 0x2000
	v_and_or_b32 v1, 0x8000, v1, v20
	v_lshlrev_b32_e32 v20, 23, v72
	v_lshl_or_b32 v72, v1, 16, v20
.LBB276_368:                            ;   in Loop: Header=BB276_15 Depth=1
	s_or_b32 exec_lo, exec_lo, s43
.LBB276_369:                            ;   in Loop: Header=BB276_15 Depth=1
	s_or_b32 exec_lo, exec_lo, s42
.LBB276_370:                            ;   in Loop: Header=BB276_15 Depth=1
	s_or_b32 exec_lo, exec_lo, s41
	v_mov_b32_e32 v1, v10
	v_cmp_ne_u16_sdwa s1, v10, v2 src0_sel:BYTE_0 src1_sel:DWORD
	s_and_saveexec_b32 s41, s1
	s_cbranch_execz .LBB276_378
; %bb.371:                              ;   in Loop: Header=BB276_15 Depth=1
	v_cmp_ne_u16_sdwa s1, v10, v19 src0_sel:BYTE_0 src1_sel:DWORD
	v_mov_b32_e32 v71, 0x8000
	s_and_saveexec_b32 s42, s1
	s_cbranch_execz .LBB276_377
; %bb.372:                              ;   in Loop: Header=BB276_15 Depth=1
	v_and_b32_e32 v74, 0x7f, v10
	v_mov_b32_e32 v71, 0x7c01
	s_mov_b32 s43, exec_lo
	v_cmpx_ne_u32_e32 0x7f, v74
	s_cbranch_execz .LBB276_376
; %bb.373:                              ;   in Loop: Header=BB276_15 Depth=1
	v_and_b32_e32 v71, 7, v10
	v_lshrrev_b32_e32 v73, 3, v74
	s_mov_b32 s44, exec_lo
	v_cmpx_gt_u32_e32 8, v74
; %bb.374:                              ;   in Loop: Header=BB276_15 Depth=1
	v_ffbh_u32_e32 v20, v71
	v_min_u32_e32 v22, 32, v20
	v_subrev_nc_u32_e32 v20, 28, v22
	v_sub_nc_u32_e32 v73, 29, v22
	v_lshlrev_b64 v[20:21], v20, v[1:2]
	v_and_b32_e32 v71, 7, v20
; %bb.375:                              ;   in Loop: Header=BB276_15 Depth=1
	s_or_b32 exec_lo, exec_lo, s44
	v_lshlrev_b32_e32 v20, 8, v10
	v_lshl_add_u32 v21, v73, 10, 0x2000
	v_lshlrev_b32_e32 v22, 7, v71
	v_and_b32_e32 v20, 0x8000, v20
	v_and_b32_e32 v21, 0xfc00, v21
	v_or3_b32 v71, v20, v21, v22
.LBB276_376:                            ;   in Loop: Header=BB276_15 Depth=1
	s_or_b32 exec_lo, exec_lo, s43
.LBB276_377:                            ;   in Loop: Header=BB276_15 Depth=1
	s_or_b32 exec_lo, exec_lo, s42
.LBB276_378:                            ;   in Loop: Header=BB276_15 Depth=1
	s_or_b32 exec_lo, exec_lo, s41
	v_lshrrev_b16 v1, 8, v1
	v_mov_b32_e32 v75, 0
	v_mov_b32_e32 v74, 0
	s_mov_b32 s41, exec_lo
	v_cmpx_ne_u16_e32 0, v1
	s_cbranch_execz .LBB276_386
; %bb.379:                              ;   in Loop: Header=BB276_15 Depth=1
	v_bfrev_b32_e32 v74, 1
	s_mov_b32 s42, exec_lo
	v_cmpx_ne_u16_e32 0x80, v1
	s_cbranch_execz .LBB276_385
; %bb.380:                              ;   in Loop: Header=BB276_15 Depth=1
	v_and_b32_sdwa v76, v1, v14 dst_sel:DWORD dst_unused:UNUSED_PAD src0_sel:WORD_0 src1_sel:DWORD
	v_mov_b32_e32 v74, 0x7c010000
	s_mov_b32 s43, exec_lo
	v_cmpx_ne_u32_e32 0x7f, v76
	s_cbranch_execz .LBB276_384
; %bb.381:                              ;   in Loop: Header=BB276_15 Depth=1
	v_and_b32_sdwa v73, v1, v15 dst_sel:DWORD dst_unused:UNUSED_PAD src0_sel:WORD_0 src1_sel:DWORD
	v_lshrrev_b32_e32 v74, 3, v76
	s_mov_b32 s44, exec_lo
	v_cmpx_gt_u32_e32 8, v76
; %bb.382:                              ;   in Loop: Header=BB276_15 Depth=1
	v_ffbh_u32_e32 v20, v73
	v_min_u32_e32 v22, 32, v20
	v_subrev_nc_u32_e32 v20, 28, v22
	v_sub_nc_u32_e32 v74, 29, v22
	v_lshlrev_b64 v[20:21], v20, v[1:2]
	v_and_b32_e32 v73, 7, v20
; %bb.383:                              ;   in Loop: Header=BB276_15 Depth=1
	s_or_b32 exec_lo, exec_lo, s44
	v_lshlrev_b32_sdwa v1, v11, v1 dst_sel:DWORD dst_unused:UNUSED_PAD src0_sel:DWORD src1_sel:WORD_0
	v_lshl_add_u32 v20, v74, 10, 0x2000
	v_and_or_b32 v1, 0x8000, v1, v20
	v_lshlrev_b32_e32 v20, 23, v73
	v_lshl_or_b32 v74, v1, 16, v20
.LBB276_384:                            ;   in Loop: Header=BB276_15 Depth=1
	s_or_b32 exec_lo, exec_lo, s43
.LBB276_385:                            ;   in Loop: Header=BB276_15 Depth=1
	s_or_b32 exec_lo, exec_lo, s42
.LBB276_386:                            ;   in Loop: Header=BB276_15 Depth=1
	s_or_b32 exec_lo, exec_lo, s41
	v_lshrrev_b32_e32 v1, 16, v10
	v_cmp_ne_u16_sdwa s1, v1, v2 src0_sel:BYTE_0 src1_sel:DWORD
	s_and_saveexec_b32 s41, s1
	s_cbranch_execz .LBB276_394
; %bb.387:                              ;   in Loop: Header=BB276_15 Depth=1
	v_cmp_ne_u16_sdwa s1, v1, v19 src0_sel:BYTE_0 src1_sel:DWORD
	v_mov_b32_e32 v75, 0x8000
	s_and_saveexec_b32 s42, s1
	s_cbranch_execz .LBB276_393
; %bb.388:                              ;   in Loop: Header=BB276_15 Depth=1
	v_bfe_u32 v76, v10, 16, 7
	v_mov_b32_e32 v75, 0x7c01
	s_mov_b32 s43, exec_lo
	v_cmpx_ne_u32_e32 0x7f, v76
	s_cbranch_execz .LBB276_392
; %bb.389:                              ;   in Loop: Header=BB276_15 Depth=1
	v_and_b32_e32 v73, 7, v1
	v_lshrrev_b32_e32 v75, 3, v76
	s_mov_b32 s44, exec_lo
	v_cmpx_gt_u32_e32 8, v76
; %bb.390:                              ;   in Loop: Header=BB276_15 Depth=1
	v_ffbh_u32_e32 v20, v73
	v_min_u32_e32 v22, 32, v20
	v_subrev_nc_u32_e32 v20, 28, v22
	v_sub_nc_u32_e32 v75, 29, v22
	v_lshlrev_b64 v[20:21], v20, v[1:2]
	v_and_b32_e32 v73, 7, v20
; %bb.391:                              ;   in Loop: Header=BB276_15 Depth=1
	s_or_b32 exec_lo, exec_lo, s44
	v_lshlrev_b32_e32 v1, 8, v1
	v_lshl_add_u32 v20, v75, 10, 0x2000
	v_lshlrev_b32_e32 v21, 7, v73
	v_and_b32_e32 v1, 0x8000, v1
	v_and_b32_e32 v20, 0xfc00, v20
	v_or3_b32 v75, v1, v20, v21
.LBB276_392:                            ;   in Loop: Header=BB276_15 Depth=1
	s_or_b32 exec_lo, exec_lo, s43
.LBB276_393:                            ;   in Loop: Header=BB276_15 Depth=1
	s_or_b32 exec_lo, exec_lo, s42
.LBB276_394:                            ;   in Loop: Header=BB276_15 Depth=1
	s_or_b32 exec_lo, exec_lo, s41
	v_mov_b32_e32 v73, 0
	v_mov_b32_e32 v78, 0
	s_mov_b32 s41, exec_lo
	v_cmpx_lt_u64_e64 s[4:5], v[9:10]
	s_cbranch_execz .LBB276_402
; %bb.395:                              ;   in Loop: Header=BB276_15 Depth=1
	v_lshrrev_b32_e32 v1, 24, v10
	v_bfrev_b32_e32 v78, 1
	s_mov_b32 s42, exec_lo
	v_cmpx_ne_u32_e32 0x80, v1
	s_cbranch_execz .LBB276_401
; %bb.396:                              ;   in Loop: Header=BB276_15 Depth=1
	v_and_b32_e32 v76, 0x7f, v1
	v_mov_b32_e32 v78, 0x7c010000
	s_mov_b32 s43, exec_lo
	v_cmpx_ne_u32_e32 0x7f, v76
	s_cbranch_execz .LBB276_400
; %bb.397:                              ;   in Loop: Header=BB276_15 Depth=1
	v_and_b32_e32 v9, 7, v1
	v_lshrrev_b32_e32 v10, 3, v76
	s_mov_b32 s44, exec_lo
	v_cmpx_gt_u32_e32 8, v76
; %bb.398:                              ;   in Loop: Header=BB276_15 Depth=1
	v_ffbh_u32_e32 v9, v9
	v_min_u32_e32 v20, 32, v9
	v_subrev_nc_u32_e32 v9, 28, v20
	v_lshlrev_b64 v[9:10], v9, v[1:2]
	v_sub_nc_u32_e32 v10, 29, v20
	v_and_b32_e32 v9, 7, v9
; %bb.399:                              ;   in Loop: Header=BB276_15 Depth=1
	s_or_b32 exec_lo, exec_lo, s44
	v_lshlrev_b32_e32 v1, 8, v1
	v_lshl_add_u32 v10, v10, 10, 0x2000
	v_lshlrev_b32_e32 v9, 23, v9
	v_and_or_b32 v1, 0x8000, v1, v10
	v_lshl_or_b32 v78, v1, 16, v9
.LBB276_400:                            ;   in Loop: Header=BB276_15 Depth=1
	s_or_b32 exec_lo, exec_lo, s43
.LBB276_401:                            ;   in Loop: Header=BB276_15 Depth=1
	s_or_b32 exec_lo, exec_lo, s42
.LBB276_402:                            ;   in Loop: Header=BB276_15 Depth=1
	s_or_b32 exec_lo, exec_lo, s41
	global_load_dwordx2 v[9:10], v[7:8], off offset:1536
	s_waitcnt vmcnt(0)
	v_cmp_ne_u16_sdwa s1, v9, v2 src0_sel:BYTE_0 src1_sel:DWORD
	s_and_saveexec_b32 s41, s1
	s_cbranch_execz .LBB276_410
; %bb.403:                              ;   in Loop: Header=BB276_15 Depth=1
	v_cmp_ne_u16_sdwa s1, v9, v19 src0_sel:BYTE_0 src1_sel:DWORD
	v_mov_b32_e32 v73, 0x8000
	s_and_saveexec_b32 s42, s1
	s_cbranch_execz .LBB276_409
; %bb.404:                              ;   in Loop: Header=BB276_15 Depth=1
	v_and_b32_e32 v76, 0x7f, v9
	v_mov_b32_e32 v73, 0x7c01
	s_mov_b32 s43, exec_lo
	v_cmpx_ne_u32_e32 0x7f, v76
	s_cbranch_execz .LBB276_408
; %bb.405:                              ;   in Loop: Header=BB276_15 Depth=1
	v_and_b32_e32 v1, 7, v9
	v_lshrrev_b32_e32 v73, 3, v76
	s_mov_b32 s44, exec_lo
	v_cmpx_gt_u32_e32 8, v76
; %bb.406:                              ;   in Loop: Header=BB276_15 Depth=1
	v_ffbh_u32_e32 v1, v1
	v_min_u32_e32 v1, 32, v1
	v_subrev_nc_u32_e32 v20, 28, v1
	v_sub_nc_u32_e32 v73, 29, v1
	v_lshlrev_b64 v[20:21], v20, v[9:10]
	v_and_b32_e32 v1, 7, v20
; %bb.407:                              ;   in Loop: Header=BB276_15 Depth=1
	s_or_b32 exec_lo, exec_lo, s44
	v_lshlrev_b32_e32 v20, 8, v9
	v_lshl_add_u32 v21, v73, 10, 0x2000
	v_lshlrev_b32_e32 v1, 7, v1
	v_and_b32_e32 v20, 0x8000, v20
	v_and_b32_e32 v21, 0xfc00, v21
	v_or3_b32 v73, v20, v21, v1
.LBB276_408:                            ;   in Loop: Header=BB276_15 Depth=1
	s_or_b32 exec_lo, exec_lo, s43
.LBB276_409:                            ;   in Loop: Header=BB276_15 Depth=1
	s_or_b32 exec_lo, exec_lo, s42
.LBB276_410:                            ;   in Loop: Header=BB276_15 Depth=1
	s_or_b32 exec_lo, exec_lo, s41
	v_lshrrev_b16 v1, 8, v9
	v_mov_b32_e32 v77, 0
	v_mov_b32_e32 v76, 0
	s_mov_b32 s41, exec_lo
	v_cmpx_ne_u16_e32 0, v1
	s_cbranch_execz .LBB276_418
; %bb.411:                              ;   in Loop: Header=BB276_15 Depth=1
	v_bfrev_b32_e32 v76, 1
	s_mov_b32 s42, exec_lo
	v_cmpx_ne_u16_e32 0x80, v1
	s_cbranch_execz .LBB276_417
; %bb.412:                              ;   in Loop: Header=BB276_15 Depth=1
	v_and_b32_sdwa v80, v1, v14 dst_sel:DWORD dst_unused:UNUSED_PAD src0_sel:WORD_0 src1_sel:DWORD
	v_mov_b32_e32 v76, 0x7c010000
	s_mov_b32 s43, exec_lo
	v_cmpx_ne_u32_e32 0x7f, v80
	s_cbranch_execz .LBB276_416
; %bb.413:                              ;   in Loop: Header=BB276_15 Depth=1
	v_and_b32_sdwa v76, v1, v15 dst_sel:DWORD dst_unused:UNUSED_PAD src0_sel:WORD_0 src1_sel:DWORD
	v_lshrrev_b32_e32 v79, 3, v80
	s_mov_b32 s44, exec_lo
	v_cmpx_gt_u32_e32 8, v80
; %bb.414:                              ;   in Loop: Header=BB276_15 Depth=1
	v_ffbh_u32_e32 v20, v76
	v_min_u32_e32 v22, 32, v20
	v_subrev_nc_u32_e32 v20, 28, v22
	v_sub_nc_u32_e32 v79, 29, v22
	v_lshlrev_b64 v[20:21], v20, v[1:2]
	v_and_b32_e32 v76, 7, v20
; %bb.415:                              ;   in Loop: Header=BB276_15 Depth=1
	s_or_b32 exec_lo, exec_lo, s44
	v_lshlrev_b32_sdwa v1, v11, v1 dst_sel:DWORD dst_unused:UNUSED_PAD src0_sel:DWORD src1_sel:WORD_0
	v_lshl_add_u32 v20, v79, 10, 0x2000
	v_and_or_b32 v1, 0x8000, v1, v20
	v_lshlrev_b32_e32 v20, 23, v76
	v_lshl_or_b32 v76, v1, 16, v20
.LBB276_416:                            ;   in Loop: Header=BB276_15 Depth=1
	s_or_b32 exec_lo, exec_lo, s43
.LBB276_417:                            ;   in Loop: Header=BB276_15 Depth=1
	s_or_b32 exec_lo, exec_lo, s42
.LBB276_418:                            ;   in Loop: Header=BB276_15 Depth=1
	s_or_b32 exec_lo, exec_lo, s41
	v_lshrrev_b32_e32 v1, 16, v9
	v_cmp_ne_u16_sdwa s1, v1, v2 src0_sel:BYTE_0 src1_sel:DWORD
	s_and_saveexec_b32 s41, s1
	s_cbranch_execz .LBB276_426
; %bb.419:                              ;   in Loop: Header=BB276_15 Depth=1
	v_cmp_ne_u16_sdwa s1, v1, v19 src0_sel:BYTE_0 src1_sel:DWORD
	v_mov_b32_e32 v77, 0x8000
	s_and_saveexec_b32 s42, s1
	s_cbranch_execz .LBB276_425
; %bb.420:                              ;   in Loop: Header=BB276_15 Depth=1
	v_bfe_u32 v80, v9, 16, 7
	v_mov_b32_e32 v77, 0x7c01
	s_mov_b32 s43, exec_lo
	v_cmpx_ne_u32_e32 0x7f, v80
	s_cbranch_execz .LBB276_424
; %bb.421:                              ;   in Loop: Header=BB276_15 Depth=1
	v_and_b32_e32 v77, 7, v1
	v_lshrrev_b32_e32 v79, 3, v80
	s_mov_b32 s44, exec_lo
	v_cmpx_gt_u32_e32 8, v80
; %bb.422:                              ;   in Loop: Header=BB276_15 Depth=1
	v_ffbh_u32_e32 v20, v77
	v_min_u32_e32 v22, 32, v20
	v_subrev_nc_u32_e32 v20, 28, v22
	v_sub_nc_u32_e32 v79, 29, v22
	v_lshlrev_b64 v[20:21], v20, v[1:2]
	v_and_b32_e32 v77, 7, v20
; %bb.423:                              ;   in Loop: Header=BB276_15 Depth=1
	s_or_b32 exec_lo, exec_lo, s44
	v_lshlrev_b32_e32 v1, 8, v1
	v_lshl_add_u32 v20, v79, 10, 0x2000
	v_lshlrev_b32_e32 v21, 7, v77
	v_and_b32_e32 v1, 0x8000, v1
	v_and_b32_e32 v20, 0xfc00, v20
	v_or3_b32 v77, v1, v20, v21
.LBB276_424:                            ;   in Loop: Header=BB276_15 Depth=1
	s_or_b32 exec_lo, exec_lo, s43
.LBB276_425:                            ;   in Loop: Header=BB276_15 Depth=1
	s_or_b32 exec_lo, exec_lo, s42
.LBB276_426:                            ;   in Loop: Header=BB276_15 Depth=1
	s_or_b32 exec_lo, exec_lo, s41
	v_mov_b32_e32 v79, 0
	v_mov_b32_e32 v80, 0
	s_mov_b32 s41, exec_lo
	v_cmpx_lt_u32_e32 0xffffff, v9
	s_cbranch_execz .LBB276_434
; %bb.427:                              ;   in Loop: Header=BB276_15 Depth=1
	v_lshrrev_b32_e32 v1, 24, v9
	v_bfrev_b32_e32 v80, 1
	s_mov_b32 s42, exec_lo
	v_cmpx_ne_u32_e32 0x80, v1
	s_cbranch_execz .LBB276_433
; %bb.428:                              ;   in Loop: Header=BB276_15 Depth=1
	v_and_b32_e32 v82, 0x7f, v1
	v_mov_b32_e32 v80, 0x7c010000
	s_mov_b32 s43, exec_lo
	v_cmpx_ne_u32_e32 0x7f, v82
	s_cbranch_execz .LBB276_432
; %bb.429:                              ;   in Loop: Header=BB276_15 Depth=1
	v_and_b32_e32 v80, 7, v1
	v_lshrrev_b32_e32 v81, 3, v82
	s_mov_b32 s44, exec_lo
	v_cmpx_gt_u32_e32 8, v82
; %bb.430:                              ;   in Loop: Header=BB276_15 Depth=1
	v_ffbh_u32_e32 v20, v80
	v_min_u32_e32 v22, 32, v20
	v_subrev_nc_u32_e32 v20, 28, v22
	v_sub_nc_u32_e32 v81, 29, v22
	v_lshlrev_b64 v[20:21], v20, v[1:2]
	v_and_b32_e32 v80, 7, v20
; %bb.431:                              ;   in Loop: Header=BB276_15 Depth=1
	s_or_b32 exec_lo, exec_lo, s44
	v_lshlrev_b32_e32 v1, 8, v1
	v_lshl_add_u32 v20, v81, 10, 0x2000
	v_and_or_b32 v1, 0x8000, v1, v20
	v_lshlrev_b32_e32 v20, 23, v80
	v_lshl_or_b32 v80, v1, 16, v20
.LBB276_432:                            ;   in Loop: Header=BB276_15 Depth=1
	s_or_b32 exec_lo, exec_lo, s43
.LBB276_433:                            ;   in Loop: Header=BB276_15 Depth=1
	s_or_b32 exec_lo, exec_lo, s42
.LBB276_434:                            ;   in Loop: Header=BB276_15 Depth=1
	s_or_b32 exec_lo, exec_lo, s41
	v_mov_b32_e32 v1, v10
	v_cmp_ne_u16_sdwa s1, v10, v2 src0_sel:BYTE_0 src1_sel:DWORD
	s_and_saveexec_b32 s41, s1
	s_cbranch_execz .LBB276_442
; %bb.435:                              ;   in Loop: Header=BB276_15 Depth=1
	v_cmp_ne_u16_sdwa s1, v10, v19 src0_sel:BYTE_0 src1_sel:DWORD
	v_mov_b32_e32 v79, 0x8000
	s_and_saveexec_b32 s42, s1
	s_cbranch_execz .LBB276_441
; %bb.436:                              ;   in Loop: Header=BB276_15 Depth=1
	v_and_b32_e32 v82, 0x7f, v10
	v_mov_b32_e32 v79, 0x7c01
	s_mov_b32 s43, exec_lo
	v_cmpx_ne_u32_e32 0x7f, v82
	s_cbranch_execz .LBB276_440
; %bb.437:                              ;   in Loop: Header=BB276_15 Depth=1
	v_and_b32_e32 v79, 7, v10
	v_lshrrev_b32_e32 v81, 3, v82
	s_mov_b32 s44, exec_lo
	v_cmpx_gt_u32_e32 8, v82
; %bb.438:                              ;   in Loop: Header=BB276_15 Depth=1
	v_ffbh_u32_e32 v20, v79
	v_min_u32_e32 v22, 32, v20
	v_subrev_nc_u32_e32 v20, 28, v22
	v_sub_nc_u32_e32 v81, 29, v22
	v_lshlrev_b64 v[20:21], v20, v[1:2]
	v_and_b32_e32 v79, 7, v20
; %bb.439:                              ;   in Loop: Header=BB276_15 Depth=1
	s_or_b32 exec_lo, exec_lo, s44
	v_lshlrev_b32_e32 v20, 8, v10
	v_lshl_add_u32 v21, v81, 10, 0x2000
	v_lshlrev_b32_e32 v22, 7, v79
	v_and_b32_e32 v20, 0x8000, v20
	v_and_b32_e32 v21, 0xfc00, v21
	v_or3_b32 v79, v20, v21, v22
.LBB276_440:                            ;   in Loop: Header=BB276_15 Depth=1
	s_or_b32 exec_lo, exec_lo, s43
.LBB276_441:                            ;   in Loop: Header=BB276_15 Depth=1
	s_or_b32 exec_lo, exec_lo, s42
.LBB276_442:                            ;   in Loop: Header=BB276_15 Depth=1
	s_or_b32 exec_lo, exec_lo, s41
	v_lshrrev_b16 v1, 8, v1
	v_mov_b32_e32 v82, 0
	v_mov_b32_e32 v81, 0
	s_mov_b32 s41, exec_lo
	v_cmpx_ne_u16_e32 0, v1
	s_cbranch_execz .LBB276_450
; %bb.443:                              ;   in Loop: Header=BB276_15 Depth=1
	v_bfrev_b32_e32 v81, 1
	s_mov_b32 s42, exec_lo
	v_cmpx_ne_u16_e32 0x80, v1
	s_cbranch_execz .LBB276_449
; %bb.444:                              ;   in Loop: Header=BB276_15 Depth=1
	v_and_b32_sdwa v84, v1, v14 dst_sel:DWORD dst_unused:UNUSED_PAD src0_sel:WORD_0 src1_sel:DWORD
	v_mov_b32_e32 v81, 0x7c010000
	s_mov_b32 s43, exec_lo
	v_cmpx_ne_u32_e32 0x7f, v84
	s_cbranch_execz .LBB276_448
; %bb.445:                              ;   in Loop: Header=BB276_15 Depth=1
	v_and_b32_sdwa v81, v1, v15 dst_sel:DWORD dst_unused:UNUSED_PAD src0_sel:WORD_0 src1_sel:DWORD
	v_lshrrev_b32_e32 v83, 3, v84
	s_mov_b32 s44, exec_lo
	v_cmpx_gt_u32_e32 8, v84
; %bb.446:                              ;   in Loop: Header=BB276_15 Depth=1
	v_ffbh_u32_e32 v20, v81
	v_min_u32_e32 v22, 32, v20
	v_subrev_nc_u32_e32 v20, 28, v22
	v_sub_nc_u32_e32 v83, 29, v22
	v_lshlrev_b64 v[20:21], v20, v[1:2]
	v_and_b32_e32 v81, 7, v20
; %bb.447:                              ;   in Loop: Header=BB276_15 Depth=1
	s_or_b32 exec_lo, exec_lo, s44
	v_lshlrev_b32_sdwa v1, v11, v1 dst_sel:DWORD dst_unused:UNUSED_PAD src0_sel:DWORD src1_sel:WORD_0
	v_lshl_add_u32 v20, v83, 10, 0x2000
	v_and_or_b32 v1, 0x8000, v1, v20
	v_lshlrev_b32_e32 v20, 23, v81
	v_lshl_or_b32 v81, v1, 16, v20
.LBB276_448:                            ;   in Loop: Header=BB276_15 Depth=1
	s_or_b32 exec_lo, exec_lo, s43
.LBB276_449:                            ;   in Loop: Header=BB276_15 Depth=1
	s_or_b32 exec_lo, exec_lo, s42
.LBB276_450:                            ;   in Loop: Header=BB276_15 Depth=1
	s_or_b32 exec_lo, exec_lo, s41
	v_lshrrev_b32_e32 v1, 16, v10
	v_cmp_ne_u16_sdwa s1, v1, v2 src0_sel:BYTE_0 src1_sel:DWORD
	s_and_saveexec_b32 s41, s1
	s_cbranch_execz .LBB276_458
; %bb.451:                              ;   in Loop: Header=BB276_15 Depth=1
	v_cmp_ne_u16_sdwa s1, v1, v19 src0_sel:BYTE_0 src1_sel:DWORD
	v_mov_b32_e32 v82, 0x8000
	s_and_saveexec_b32 s42, s1
	s_cbranch_execz .LBB276_457
; %bb.452:                              ;   in Loop: Header=BB276_15 Depth=1
	v_bfe_u32 v84, v10, 16, 7
	v_mov_b32_e32 v82, 0x7c01
	s_mov_b32 s43, exec_lo
	v_cmpx_ne_u32_e32 0x7f, v84
	s_cbranch_execz .LBB276_456
; %bb.453:                              ;   in Loop: Header=BB276_15 Depth=1
	v_and_b32_e32 v82, 7, v1
	v_lshrrev_b32_e32 v83, 3, v84
	s_mov_b32 s44, exec_lo
	v_cmpx_gt_u32_e32 8, v84
; %bb.454:                              ;   in Loop: Header=BB276_15 Depth=1
	v_ffbh_u32_e32 v20, v82
	v_min_u32_e32 v22, 32, v20
	v_subrev_nc_u32_e32 v20, 28, v22
	v_sub_nc_u32_e32 v83, 29, v22
	v_lshlrev_b64 v[20:21], v20, v[1:2]
	v_and_b32_e32 v82, 7, v20
; %bb.455:                              ;   in Loop: Header=BB276_15 Depth=1
	s_or_b32 exec_lo, exec_lo, s44
	v_lshlrev_b32_e32 v1, 8, v1
	v_lshl_add_u32 v20, v83, 10, 0x2000
	v_lshlrev_b32_e32 v21, 7, v82
	v_and_b32_e32 v1, 0x8000, v1
	v_and_b32_e32 v20, 0xfc00, v20
	v_or3_b32 v82, v1, v20, v21
.LBB276_456:                            ;   in Loop: Header=BB276_15 Depth=1
	s_or_b32 exec_lo, exec_lo, s43
.LBB276_457:                            ;   in Loop: Header=BB276_15 Depth=1
	s_or_b32 exec_lo, exec_lo, s42
.LBB276_458:                            ;   in Loop: Header=BB276_15 Depth=1
	s_or_b32 exec_lo, exec_lo, s41
	v_mov_b32_e32 v86, 0
	v_mov_b32_e32 v83, 0
	s_mov_b32 s41, exec_lo
	v_cmpx_lt_u64_e64 s[4:5], v[9:10]
	s_cbranch_execz .LBB276_466
; %bb.459:                              ;   in Loop: Header=BB276_15 Depth=1
	v_lshrrev_b32_e32 v1, 24, v10
	v_bfrev_b32_e32 v83, 1
	s_mov_b32 s42, exec_lo
	v_cmpx_ne_u32_e32 0x80, v1
	s_cbranch_execz .LBB276_465
; %bb.460:                              ;   in Loop: Header=BB276_15 Depth=1
	v_and_b32_e32 v84, 0x7f, v1
	v_mov_b32_e32 v83, 0x7c010000
	s_mov_b32 s43, exec_lo
	v_cmpx_ne_u32_e32 0x7f, v84
	s_cbranch_execz .LBB276_464
; %bb.461:                              ;   in Loop: Header=BB276_15 Depth=1
	v_and_b32_e32 v9, 7, v1
	v_lshrrev_b32_e32 v10, 3, v84
	s_mov_b32 s44, exec_lo
	v_cmpx_gt_u32_e32 8, v84
; %bb.462:                              ;   in Loop: Header=BB276_15 Depth=1
	v_ffbh_u32_e32 v9, v9
	v_min_u32_e32 v20, 32, v9
	v_subrev_nc_u32_e32 v9, 28, v20
	v_lshlrev_b64 v[9:10], v9, v[1:2]
	v_sub_nc_u32_e32 v10, 29, v20
	v_and_b32_e32 v9, 7, v9
; %bb.463:                              ;   in Loop: Header=BB276_15 Depth=1
	s_or_b32 exec_lo, exec_lo, s44
	v_lshlrev_b32_e32 v1, 8, v1
	v_lshl_add_u32 v10, v10, 10, 0x2000
	v_lshlrev_b32_e32 v9, 23, v9
	v_and_or_b32 v1, 0x8000, v1, v10
	v_lshl_or_b32 v83, v1, 16, v9
.LBB276_464:                            ;   in Loop: Header=BB276_15 Depth=1
	s_or_b32 exec_lo, exec_lo, s43
.LBB276_465:                            ;   in Loop: Header=BB276_15 Depth=1
	s_or_b32 exec_lo, exec_lo, s42
.LBB276_466:                            ;   in Loop: Header=BB276_15 Depth=1
	s_or_b32 exec_lo, exec_lo, s41
	global_load_dwordx2 v[9:10], v[7:8], off offset:1544
	s_waitcnt vmcnt(0)
	v_cmp_ne_u16_sdwa s1, v9, v2 src0_sel:BYTE_0 src1_sel:DWORD
	s_and_saveexec_b32 s41, s1
	s_cbranch_execz .LBB276_474
; %bb.467:                              ;   in Loop: Header=BB276_15 Depth=1
	v_cmp_ne_u16_sdwa s1, v9, v19 src0_sel:BYTE_0 src1_sel:DWORD
	v_mov_b32_e32 v86, 0x8000
	s_and_saveexec_b32 s42, s1
	s_cbranch_execz .LBB276_473
; %bb.468:                              ;   in Loop: Header=BB276_15 Depth=1
	v_and_b32_e32 v85, 0x7f, v9
	v_mov_b32_e32 v86, 0x7c01
	s_mov_b32 s43, exec_lo
	v_cmpx_ne_u32_e32 0x7f, v85
	s_cbranch_execz .LBB276_472
; %bb.469:                              ;   in Loop: Header=BB276_15 Depth=1
	v_and_b32_e32 v1, 7, v9
	v_lshrrev_b32_e32 v84, 3, v85
	s_mov_b32 s44, exec_lo
	v_cmpx_gt_u32_e32 8, v85
; %bb.470:                              ;   in Loop: Header=BB276_15 Depth=1
	v_ffbh_u32_e32 v1, v1
	v_min_u32_e32 v1, 32, v1
	v_subrev_nc_u32_e32 v20, 28, v1
	v_sub_nc_u32_e32 v84, 29, v1
	v_lshlrev_b64 v[20:21], v20, v[9:10]
	v_and_b32_e32 v1, 7, v20
; %bb.471:                              ;   in Loop: Header=BB276_15 Depth=1
	s_or_b32 exec_lo, exec_lo, s44
	v_lshlrev_b32_e32 v20, 8, v9
	v_lshl_add_u32 v21, v84, 10, 0x2000
	v_lshlrev_b32_e32 v1, 7, v1
	v_and_b32_e32 v20, 0x8000, v20
	v_and_b32_e32 v21, 0xfc00, v21
	v_or3_b32 v86, v20, v21, v1
.LBB276_472:                            ;   in Loop: Header=BB276_15 Depth=1
	s_or_b32 exec_lo, exec_lo, s43
.LBB276_473:                            ;   in Loop: Header=BB276_15 Depth=1
	s_or_b32 exec_lo, exec_lo, s42
.LBB276_474:                            ;   in Loop: Header=BB276_15 Depth=1
	s_or_b32 exec_lo, exec_lo, s41
	v_lshrrev_b16 v1, 8, v9
	v_mov_b32_e32 v90, 0
	v_mov_b32_e32 v84, 0
	s_mov_b32 s41, exec_lo
	v_cmpx_ne_u16_e32 0, v1
	s_cbranch_execz .LBB276_482
; %bb.475:                              ;   in Loop: Header=BB276_15 Depth=1
	v_bfrev_b32_e32 v84, 1
	s_mov_b32 s42, exec_lo
	v_cmpx_ne_u16_e32 0x80, v1
	s_cbranch_execz .LBB276_481
; %bb.476:                              ;   in Loop: Header=BB276_15 Depth=1
	v_and_b32_sdwa v87, v1, v14 dst_sel:DWORD dst_unused:UNUSED_PAD src0_sel:WORD_0 src1_sel:DWORD
	v_mov_b32_e32 v84, 0x7c010000
	s_mov_b32 s43, exec_lo
	v_cmpx_ne_u32_e32 0x7f, v87
	s_cbranch_execz .LBB276_480
; %bb.477:                              ;   in Loop: Header=BB276_15 Depth=1
	v_and_b32_sdwa v84, v1, v15 dst_sel:DWORD dst_unused:UNUSED_PAD src0_sel:WORD_0 src1_sel:DWORD
	v_lshrrev_b32_e32 v85, 3, v87
	s_mov_b32 s44, exec_lo
	v_cmpx_gt_u32_e32 8, v87
; %bb.478:                              ;   in Loop: Header=BB276_15 Depth=1
	v_ffbh_u32_e32 v20, v84
	v_min_u32_e32 v22, 32, v20
	v_subrev_nc_u32_e32 v20, 28, v22
	v_sub_nc_u32_e32 v85, 29, v22
	v_lshlrev_b64 v[20:21], v20, v[1:2]
	v_and_b32_e32 v84, 7, v20
; %bb.479:                              ;   in Loop: Header=BB276_15 Depth=1
	s_or_b32 exec_lo, exec_lo, s44
	v_lshlrev_b32_sdwa v1, v11, v1 dst_sel:DWORD dst_unused:UNUSED_PAD src0_sel:DWORD src1_sel:WORD_0
	v_lshl_add_u32 v20, v85, 10, 0x2000
	v_and_or_b32 v1, 0x8000, v1, v20
	v_lshlrev_b32_e32 v20, 23, v84
	v_lshl_or_b32 v84, v1, 16, v20
.LBB276_480:                            ;   in Loop: Header=BB276_15 Depth=1
	s_or_b32 exec_lo, exec_lo, s43
.LBB276_481:                            ;   in Loop: Header=BB276_15 Depth=1
	s_or_b32 exec_lo, exec_lo, s42
.LBB276_482:                            ;   in Loop: Header=BB276_15 Depth=1
	s_or_b32 exec_lo, exec_lo, s41
	v_lshrrev_b32_e32 v1, 16, v9
	v_cmp_ne_u16_sdwa s1, v1, v2 src0_sel:BYTE_0 src1_sel:DWORD
	s_and_saveexec_b32 s41, s1
	s_cbranch_execz .LBB276_490
; %bb.483:                              ;   in Loop: Header=BB276_15 Depth=1
	v_cmp_ne_u16_sdwa s1, v1, v19 src0_sel:BYTE_0 src1_sel:DWORD
	v_mov_b32_e32 v90, 0x8000
	s_and_saveexec_b32 s42, s1
	s_cbranch_execz .LBB276_489
; %bb.484:                              ;   in Loop: Header=BB276_15 Depth=1
	v_bfe_u32 v88, v9, 16, 7
	v_mov_b32_e32 v90, 0x7c01
	s_mov_b32 s43, exec_lo
	v_cmpx_ne_u32_e32 0x7f, v88
	s_cbranch_execz .LBB276_488
; %bb.485:                              ;   in Loop: Header=BB276_15 Depth=1
	v_and_b32_e32 v85, 7, v1
	v_lshrrev_b32_e32 v87, 3, v88
	s_mov_b32 s44, exec_lo
	v_cmpx_gt_u32_e32 8, v88
; %bb.486:                              ;   in Loop: Header=BB276_15 Depth=1
	v_ffbh_u32_e32 v20, v85
	v_min_u32_e32 v22, 32, v20
	v_subrev_nc_u32_e32 v20, 28, v22
	v_sub_nc_u32_e32 v87, 29, v22
	v_lshlrev_b64 v[20:21], v20, v[1:2]
	v_and_b32_e32 v85, 7, v20
; %bb.487:                              ;   in Loop: Header=BB276_15 Depth=1
	s_or_b32 exec_lo, exec_lo, s44
	v_lshlrev_b32_e32 v1, 8, v1
	v_lshl_add_u32 v20, v87, 10, 0x2000
	v_lshlrev_b32_e32 v21, 7, v85
	v_and_b32_e32 v1, 0x8000, v1
	v_and_b32_e32 v20, 0xfc00, v20
	v_or3_b32 v90, v1, v20, v21
.LBB276_488:                            ;   in Loop: Header=BB276_15 Depth=1
	s_or_b32 exec_lo, exec_lo, s43
.LBB276_489:                            ;   in Loop: Header=BB276_15 Depth=1
	s_or_b32 exec_lo, exec_lo, s42
.LBB276_490:                            ;   in Loop: Header=BB276_15 Depth=1
	s_or_b32 exec_lo, exec_lo, s41
	v_mov_b32_e32 v87, 0
	v_mov_b32_e32 v88, 0
	s_mov_b32 s41, exec_lo
	v_cmpx_lt_u32_e32 0xffffff, v9
	s_cbranch_execz .LBB276_498
; %bb.491:                              ;   in Loop: Header=BB276_15 Depth=1
	v_lshrrev_b32_e32 v1, 24, v9
	v_bfrev_b32_e32 v88, 1
	s_mov_b32 s42, exec_lo
	v_cmpx_ne_u32_e32 0x80, v1
	s_cbranch_execz .LBB276_497
; %bb.492:                              ;   in Loop: Header=BB276_15 Depth=1
	v_and_b32_e32 v89, 0x7f, v1
	v_mov_b32_e32 v88, 0x7c010000
	s_mov_b32 s43, exec_lo
	v_cmpx_ne_u32_e32 0x7f, v89
	s_cbranch_execz .LBB276_496
; %bb.493:                              ;   in Loop: Header=BB276_15 Depth=1
	v_and_b32_e32 v85, 7, v1
	v_lshrrev_b32_e32 v88, 3, v89
	s_mov_b32 s44, exec_lo
	v_cmpx_gt_u32_e32 8, v89
; %bb.494:                              ;   in Loop: Header=BB276_15 Depth=1
	v_ffbh_u32_e32 v20, v85
	v_min_u32_e32 v22, 32, v20
	v_subrev_nc_u32_e32 v20, 28, v22
	v_sub_nc_u32_e32 v88, 29, v22
	v_lshlrev_b64 v[20:21], v20, v[1:2]
	v_and_b32_e32 v85, 7, v20
; %bb.495:                              ;   in Loop: Header=BB276_15 Depth=1
	s_or_b32 exec_lo, exec_lo, s44
	v_lshlrev_b32_e32 v1, 8, v1
	v_lshl_add_u32 v20, v88, 10, 0x2000
	v_and_or_b32 v1, 0x8000, v1, v20
	v_lshlrev_b32_e32 v20, 23, v85
	v_lshl_or_b32 v88, v1, 16, v20
.LBB276_496:                            ;   in Loop: Header=BB276_15 Depth=1
	s_or_b32 exec_lo, exec_lo, s43
.LBB276_497:                            ;   in Loop: Header=BB276_15 Depth=1
	s_or_b32 exec_lo, exec_lo, s42
.LBB276_498:                            ;   in Loop: Header=BB276_15 Depth=1
	s_or_b32 exec_lo, exec_lo, s41
	v_mov_b32_e32 v1, v10
	v_cmp_ne_u16_sdwa s1, v10, v2 src0_sel:BYTE_0 src1_sel:DWORD
	s_and_saveexec_b32 s41, s1
	s_cbranch_execz .LBB276_506
; %bb.499:                              ;   in Loop: Header=BB276_15 Depth=1
	v_cmp_ne_u16_sdwa s1, v10, v19 src0_sel:BYTE_0 src1_sel:DWORD
	v_mov_b32_e32 v87, 0x8000
	s_and_saveexec_b32 s42, s1
	s_cbranch_execz .LBB276_505
; %bb.500:                              ;   in Loop: Header=BB276_15 Depth=1
	v_and_b32_e32 v89, 0x7f, v10
	v_mov_b32_e32 v87, 0x7c01
	s_mov_b32 s43, exec_lo
	v_cmpx_ne_u32_e32 0x7f, v89
	s_cbranch_execz .LBB276_504
; %bb.501:                              ;   in Loop: Header=BB276_15 Depth=1
	v_and_b32_e32 v85, 7, v10
	v_lshrrev_b32_e32 v87, 3, v89
	s_mov_b32 s44, exec_lo
	v_cmpx_gt_u32_e32 8, v89
; %bb.502:                              ;   in Loop: Header=BB276_15 Depth=1
	v_ffbh_u32_e32 v20, v85
	v_min_u32_e32 v22, 32, v20
	v_subrev_nc_u32_e32 v20, 28, v22
	v_sub_nc_u32_e32 v87, 29, v22
	v_lshlrev_b64 v[20:21], v20, v[1:2]
	v_and_b32_e32 v85, 7, v20
; %bb.503:                              ;   in Loop: Header=BB276_15 Depth=1
	s_or_b32 exec_lo, exec_lo, s44
	v_lshlrev_b32_e32 v20, 8, v10
	v_lshl_add_u32 v21, v87, 10, 0x2000
	v_lshlrev_b32_e32 v22, 7, v85
	v_and_b32_e32 v20, 0x8000, v20
	v_and_b32_e32 v21, 0xfc00, v21
	v_or3_b32 v87, v20, v21, v22
.LBB276_504:                            ;   in Loop: Header=BB276_15 Depth=1
	s_or_b32 exec_lo, exec_lo, s43
.LBB276_505:                            ;   in Loop: Header=BB276_15 Depth=1
	s_or_b32 exec_lo, exec_lo, s42
.LBB276_506:                            ;   in Loop: Header=BB276_15 Depth=1
	s_or_b32 exec_lo, exec_lo, s41
	v_lshrrev_b16 v1, 8, v1
	v_mov_b32_e32 v91, 0
	v_mov_b32_e32 v85, 0
	s_mov_b32 s41, exec_lo
	v_cmpx_ne_u16_e32 0, v1
	s_cbranch_execz .LBB276_514
; %bb.507:                              ;   in Loop: Header=BB276_15 Depth=1
	v_bfrev_b32_e32 v85, 1
	s_mov_b32 s42, exec_lo
	v_cmpx_ne_u16_e32 0x80, v1
	s_cbranch_execz .LBB276_513
; %bb.508:                              ;   in Loop: Header=BB276_15 Depth=1
	v_and_b32_sdwa v92, v1, v14 dst_sel:DWORD dst_unused:UNUSED_PAD src0_sel:WORD_0 src1_sel:DWORD
	v_mov_b32_e32 v85, 0x7c010000
	s_mov_b32 s43, exec_lo
	v_cmpx_ne_u32_e32 0x7f, v92
	s_cbranch_execz .LBB276_512
; %bb.509:                              ;   in Loop: Header=BB276_15 Depth=1
	v_and_b32_sdwa v85, v1, v15 dst_sel:DWORD dst_unused:UNUSED_PAD src0_sel:WORD_0 src1_sel:DWORD
	v_lshrrev_b32_e32 v89, 3, v92
	s_mov_b32 s44, exec_lo
	v_cmpx_gt_u32_e32 8, v92
; %bb.510:                              ;   in Loop: Header=BB276_15 Depth=1
	v_ffbh_u32_e32 v20, v85
	v_min_u32_e32 v22, 32, v20
	v_subrev_nc_u32_e32 v20, 28, v22
	v_sub_nc_u32_e32 v89, 29, v22
	v_lshlrev_b64 v[20:21], v20, v[1:2]
	v_and_b32_e32 v85, 7, v20
; %bb.511:                              ;   in Loop: Header=BB276_15 Depth=1
	s_or_b32 exec_lo, exec_lo, s44
	v_lshlrev_b32_sdwa v1, v11, v1 dst_sel:DWORD dst_unused:UNUSED_PAD src0_sel:DWORD src1_sel:WORD_0
	v_lshl_add_u32 v20, v89, 10, 0x2000
	v_and_or_b32 v1, 0x8000, v1, v20
	v_lshlrev_b32_e32 v20, 23, v85
	v_lshl_or_b32 v85, v1, 16, v20
.LBB276_512:                            ;   in Loop: Header=BB276_15 Depth=1
	s_or_b32 exec_lo, exec_lo, s43
.LBB276_513:                            ;   in Loop: Header=BB276_15 Depth=1
	s_or_b32 exec_lo, exec_lo, s42
.LBB276_514:                            ;   in Loop: Header=BB276_15 Depth=1
	s_or_b32 exec_lo, exec_lo, s41
	v_lshrrev_b32_e32 v1, 16, v10
	v_cmp_ne_u16_sdwa s1, v1, v2 src0_sel:BYTE_0 src1_sel:DWORD
	s_and_saveexec_b32 s41, s1
	s_cbranch_execz .LBB276_522
; %bb.515:                              ;   in Loop: Header=BB276_15 Depth=1
	v_cmp_ne_u16_sdwa s1, v1, v19 src0_sel:BYTE_0 src1_sel:DWORD
	v_mov_b32_e32 v91, 0x8000
	s_and_saveexec_b32 s42, s1
	s_cbranch_execz .LBB276_521
; %bb.516:                              ;   in Loop: Header=BB276_15 Depth=1
	v_bfe_u32 v92, v10, 16, 7
	v_mov_b32_e32 v91, 0x7c01
	s_mov_b32 s43, exec_lo
	v_cmpx_ne_u32_e32 0x7f, v92
	s_cbranch_execz .LBB276_520
; %bb.517:                              ;   in Loop: Header=BB276_15 Depth=1
	v_and_b32_e32 v89, 7, v1
	v_lshrrev_b32_e32 v91, 3, v92
	s_mov_b32 s44, exec_lo
	v_cmpx_gt_u32_e32 8, v92
; %bb.518:                              ;   in Loop: Header=BB276_15 Depth=1
	v_ffbh_u32_e32 v20, v89
	v_min_u32_e32 v22, 32, v20
	v_subrev_nc_u32_e32 v20, 28, v22
	v_sub_nc_u32_e32 v91, 29, v22
	v_lshlrev_b64 v[20:21], v20, v[1:2]
	v_and_b32_e32 v89, 7, v20
; %bb.519:                              ;   in Loop: Header=BB276_15 Depth=1
	s_or_b32 exec_lo, exec_lo, s44
	v_lshlrev_b32_e32 v1, 8, v1
	v_lshl_add_u32 v20, v91, 10, 0x2000
	v_lshlrev_b32_e32 v21, 7, v89
	v_and_b32_e32 v1, 0x8000, v1
	v_and_b32_e32 v20, 0xfc00, v20
	v_or3_b32 v91, v1, v20, v21
.LBB276_520:                            ;   in Loop: Header=BB276_15 Depth=1
	s_or_b32 exec_lo, exec_lo, s43
.LBB276_521:                            ;   in Loop: Header=BB276_15 Depth=1
	s_or_b32 exec_lo, exec_lo, s42
.LBB276_522:                            ;   in Loop: Header=BB276_15 Depth=1
	s_or_b32 exec_lo, exec_lo, s41
	v_mov_b32_e32 v99, 0
	v_mov_b32_e32 v89, 0
	s_mov_b32 s41, exec_lo
	v_cmpx_lt_u64_e64 s[4:5], v[9:10]
	s_cbranch_execz .LBB276_530
; %bb.523:                              ;   in Loop: Header=BB276_15 Depth=1
	v_lshrrev_b32_e32 v1, 24, v10
	v_bfrev_b32_e32 v89, 1
	s_mov_b32 s42, exec_lo
	v_cmpx_ne_u32_e32 0x80, v1
	s_cbranch_execz .LBB276_529
; %bb.524:                              ;   in Loop: Header=BB276_15 Depth=1
	v_and_b32_e32 v92, 0x7f, v1
	v_mov_b32_e32 v89, 0x7c010000
	s_mov_b32 s43, exec_lo
	v_cmpx_ne_u32_e32 0x7f, v92
	s_cbranch_execz .LBB276_528
; %bb.525:                              ;   in Loop: Header=BB276_15 Depth=1
	v_and_b32_e32 v9, 7, v1
	v_lshrrev_b32_e32 v10, 3, v92
	s_mov_b32 s44, exec_lo
	v_cmpx_gt_u32_e32 8, v92
; %bb.526:                              ;   in Loop: Header=BB276_15 Depth=1
	v_ffbh_u32_e32 v9, v9
	v_min_u32_e32 v20, 32, v9
	v_subrev_nc_u32_e32 v9, 28, v20
	v_lshlrev_b64 v[9:10], v9, v[1:2]
	v_sub_nc_u32_e32 v10, 29, v20
	v_and_b32_e32 v9, 7, v9
; %bb.527:                              ;   in Loop: Header=BB276_15 Depth=1
	s_or_b32 exec_lo, exec_lo, s44
	v_lshlrev_b32_e32 v1, 8, v1
	v_lshl_add_u32 v10, v10, 10, 0x2000
	v_lshlrev_b32_e32 v9, 23, v9
	v_and_or_b32 v1, 0x8000, v1, v10
	v_lshl_or_b32 v89, v1, 16, v9
.LBB276_528:                            ;   in Loop: Header=BB276_15 Depth=1
	s_or_b32 exec_lo, exec_lo, s43
.LBB276_529:                            ;   in Loop: Header=BB276_15 Depth=1
	s_or_b32 exec_lo, exec_lo, s42
.LBB276_530:                            ;   in Loop: Header=BB276_15 Depth=1
	s_or_b32 exec_lo, exec_lo, s41
	v_add_co_u32 v7, s1, 0x800, v7
	v_add_co_ci_u32_e64 v8, null, 0, v8, s1
	global_load_dwordx2 v[9:10], v[7:8], off
	s_waitcnt vmcnt(0)
	v_cmp_ne_u16_sdwa s1, v9, v2 src0_sel:BYTE_0 src1_sel:DWORD
	s_and_saveexec_b32 s41, s1
	s_cbranch_execz .LBB276_538
; %bb.531:                              ;   in Loop: Header=BB276_15 Depth=1
	v_cmp_ne_u16_sdwa s1, v9, v19 src0_sel:BYTE_0 src1_sel:DWORD
	v_mov_b32_e32 v99, 0x8000
	s_and_saveexec_b32 s42, s1
	s_cbranch_execz .LBB276_537
; %bb.532:                              ;   in Loop: Header=BB276_15 Depth=1
	v_and_b32_e32 v93, 0x7f, v9
	v_mov_b32_e32 v99, 0x7c01
	s_mov_b32 s43, exec_lo
	v_cmpx_ne_u32_e32 0x7f, v93
	s_cbranch_execz .LBB276_536
; %bb.533:                              ;   in Loop: Header=BB276_15 Depth=1
	v_and_b32_e32 v1, 7, v9
	v_lshrrev_b32_e32 v92, 3, v93
	s_mov_b32 s44, exec_lo
	v_cmpx_gt_u32_e32 8, v93
; %bb.534:                              ;   in Loop: Header=BB276_15 Depth=1
	v_ffbh_u32_e32 v1, v1
	v_min_u32_e32 v1, 32, v1
	v_subrev_nc_u32_e32 v20, 28, v1
	v_sub_nc_u32_e32 v92, 29, v1
	v_lshlrev_b64 v[20:21], v20, v[9:10]
	v_and_b32_e32 v1, 7, v20
; %bb.535:                              ;   in Loop: Header=BB276_15 Depth=1
	s_or_b32 exec_lo, exec_lo, s44
	v_lshlrev_b32_e32 v20, 8, v9
	v_lshl_add_u32 v21, v92, 10, 0x2000
	v_lshlrev_b32_e32 v1, 7, v1
	v_and_b32_e32 v20, 0x8000, v20
	v_and_b32_e32 v21, 0xfc00, v21
	v_or3_b32 v99, v20, v21, v1
.LBB276_536:                            ;   in Loop: Header=BB276_15 Depth=1
	s_or_b32 exec_lo, exec_lo, s43
.LBB276_537:                            ;   in Loop: Header=BB276_15 Depth=1
	s_or_b32 exec_lo, exec_lo, s42
.LBB276_538:                            ;   in Loop: Header=BB276_15 Depth=1
	s_or_b32 exec_lo, exec_lo, s41
	v_lshrrev_b16 v1, 8, v9
	v_mov_b32_e32 v105, 0
	v_mov_b32_e32 v96, 0
	s_mov_b32 s41, exec_lo
	v_cmpx_ne_u16_e32 0, v1
	s_cbranch_execz .LBB276_546
; %bb.539:                              ;   in Loop: Header=BB276_15 Depth=1
	v_bfrev_b32_e32 v96, 1
	s_mov_b32 s42, exec_lo
	v_cmpx_ne_u16_e32 0x80, v1
	s_cbranch_execz .LBB276_545
; %bb.540:                              ;   in Loop: Header=BB276_15 Depth=1
	v_and_b32_sdwa v94, v1, v14 dst_sel:DWORD dst_unused:UNUSED_PAD src0_sel:WORD_0 src1_sel:DWORD
	v_mov_b32_e32 v96, 0x7c010000
	s_mov_b32 s43, exec_lo
	v_cmpx_ne_u32_e32 0x7f, v94
	s_cbranch_execz .LBB276_544
; %bb.541:                              ;   in Loop: Header=BB276_15 Depth=1
	v_and_b32_sdwa v92, v1, v15 dst_sel:DWORD dst_unused:UNUSED_PAD src0_sel:WORD_0 src1_sel:DWORD
	v_lshrrev_b32_e32 v93, 3, v94
	s_mov_b32 s44, exec_lo
	v_cmpx_gt_u32_e32 8, v94
; %bb.542:                              ;   in Loop: Header=BB276_15 Depth=1
	v_ffbh_u32_e32 v20, v92
	v_min_u32_e32 v22, 32, v20
	v_subrev_nc_u32_e32 v20, 28, v22
	v_sub_nc_u32_e32 v93, 29, v22
	v_lshlrev_b64 v[20:21], v20, v[1:2]
	v_and_b32_e32 v92, 7, v20
; %bb.543:                              ;   in Loop: Header=BB276_15 Depth=1
	s_or_b32 exec_lo, exec_lo, s44
	v_lshlrev_b32_sdwa v1, v11, v1 dst_sel:DWORD dst_unused:UNUSED_PAD src0_sel:DWORD src1_sel:WORD_0
	v_lshl_add_u32 v20, v93, 10, 0x2000
	v_and_or_b32 v1, 0x8000, v1, v20
	v_lshlrev_b32_e32 v20, 23, v92
	v_lshl_or_b32 v96, v1, 16, v20
.LBB276_544:                            ;   in Loop: Header=BB276_15 Depth=1
	s_or_b32 exec_lo, exec_lo, s43
.LBB276_545:                            ;   in Loop: Header=BB276_15 Depth=1
	s_or_b32 exec_lo, exec_lo, s42
.LBB276_546:                            ;   in Loop: Header=BB276_15 Depth=1
	s_or_b32 exec_lo, exec_lo, s41
	v_lshrrev_b32_e32 v1, 16, v9
	v_cmp_ne_u16_sdwa s1, v1, v2 src0_sel:BYTE_0 src1_sel:DWORD
	s_and_saveexec_b32 s41, s1
	s_cbranch_execz .LBB276_554
; %bb.547:                              ;   in Loop: Header=BB276_15 Depth=1
	v_cmp_ne_u16_sdwa s1, v1, v19 src0_sel:BYTE_0 src1_sel:DWORD
	v_mov_b32_e32 v105, 0x8000
	s_and_saveexec_b32 s42, s1
	s_cbranch_execz .LBB276_553
; %bb.548:                              ;   in Loop: Header=BB276_15 Depth=1
	v_bfe_u32 v94, v9, 16, 7
	v_mov_b32_e32 v105, 0x7c01
	s_mov_b32 s43, exec_lo
	v_cmpx_ne_u32_e32 0x7f, v94
	s_cbranch_execz .LBB276_552
; %bb.549:                              ;   in Loop: Header=BB276_15 Depth=1
	v_and_b32_e32 v92, 7, v1
	v_lshrrev_b32_e32 v93, 3, v94
	s_mov_b32 s44, exec_lo
	v_cmpx_gt_u32_e32 8, v94
; %bb.550:                              ;   in Loop: Header=BB276_15 Depth=1
	v_ffbh_u32_e32 v20, v92
	v_min_u32_e32 v22, 32, v20
	v_subrev_nc_u32_e32 v20, 28, v22
	v_sub_nc_u32_e32 v93, 29, v22
	v_lshlrev_b64 v[20:21], v20, v[1:2]
	v_and_b32_e32 v92, 7, v20
; %bb.551:                              ;   in Loop: Header=BB276_15 Depth=1
	s_or_b32 exec_lo, exec_lo, s44
	v_lshlrev_b32_e32 v1, 8, v1
	v_lshl_add_u32 v20, v93, 10, 0x2000
	v_lshlrev_b32_e32 v21, 7, v92
	v_and_b32_e32 v1, 0x8000, v1
	v_and_b32_e32 v20, 0xfc00, v20
	v_or3_b32 v105, v1, v20, v21
.LBB276_552:                            ;   in Loop: Header=BB276_15 Depth=1
	s_or_b32 exec_lo, exec_lo, s43
.LBB276_553:                            ;   in Loop: Header=BB276_15 Depth=1
	s_or_b32 exec_lo, exec_lo, s42
.LBB276_554:                            ;   in Loop: Header=BB276_15 Depth=1
	s_or_b32 exec_lo, exec_lo, s41
	v_mov_b32_e32 v101, 0
	v_mov_b32_e32 v104, 0
	s_mov_b32 s41, exec_lo
	v_cmpx_lt_u32_e32 0xffffff, v9
	s_cbranch_execz .LBB276_562
; %bb.555:                              ;   in Loop: Header=BB276_15 Depth=1
	v_lshrrev_b32_e32 v1, 24, v9
	v_bfrev_b32_e32 v104, 1
	s_mov_b32 s42, exec_lo
	v_cmpx_ne_u32_e32 0x80, v1
	s_cbranch_execz .LBB276_561
; %bb.556:                              ;   in Loop: Header=BB276_15 Depth=1
	v_and_b32_e32 v94, 0x7f, v1
	v_mov_b32_e32 v104, 0x7c010000
	s_mov_b32 s43, exec_lo
	v_cmpx_ne_u32_e32 0x7f, v94
	s_cbranch_execz .LBB276_560
; %bb.557:                              ;   in Loop: Header=BB276_15 Depth=1
	v_and_b32_e32 v92, 7, v1
	v_lshrrev_b32_e32 v93, 3, v94
	s_mov_b32 s44, exec_lo
	v_cmpx_gt_u32_e32 8, v94
; %bb.558:                              ;   in Loop: Header=BB276_15 Depth=1
	v_ffbh_u32_e32 v20, v92
	v_min_u32_e32 v22, 32, v20
	v_subrev_nc_u32_e32 v20, 28, v22
	v_sub_nc_u32_e32 v93, 29, v22
	v_lshlrev_b64 v[20:21], v20, v[1:2]
	v_and_b32_e32 v92, 7, v20
; %bb.559:                              ;   in Loop: Header=BB276_15 Depth=1
	s_or_b32 exec_lo, exec_lo, s44
	v_lshlrev_b32_e32 v1, 8, v1
	v_lshl_add_u32 v20, v93, 10, 0x2000
	v_and_or_b32 v1, 0x8000, v1, v20
	v_lshlrev_b32_e32 v20, 23, v92
	v_lshl_or_b32 v104, v1, 16, v20
.LBB276_560:                            ;   in Loop: Header=BB276_15 Depth=1
	s_or_b32 exec_lo, exec_lo, s43
.LBB276_561:                            ;   in Loop: Header=BB276_15 Depth=1
	s_or_b32 exec_lo, exec_lo, s42
.LBB276_562:                            ;   in Loop: Header=BB276_15 Depth=1
	s_or_b32 exec_lo, exec_lo, s41
	v_mov_b32_e32 v1, v10
	v_cmp_ne_u16_sdwa s1, v10, v2 src0_sel:BYTE_0 src1_sel:DWORD
	s_and_saveexec_b32 s41, s1
	s_cbranch_execz .LBB276_570
; %bb.563:                              ;   in Loop: Header=BB276_15 Depth=1
	v_cmp_ne_u16_sdwa s1, v10, v19 src0_sel:BYTE_0 src1_sel:DWORD
	v_mov_b32_e32 v101, 0x8000
	s_and_saveexec_b32 s42, s1
	s_cbranch_execz .LBB276_569
; %bb.564:                              ;   in Loop: Header=BB276_15 Depth=1
	v_and_b32_e32 v94, 0x7f, v10
	v_mov_b32_e32 v101, 0x7c01
	s_mov_b32 s43, exec_lo
	v_cmpx_ne_u32_e32 0x7f, v94
	s_cbranch_execz .LBB276_568
; %bb.565:                              ;   in Loop: Header=BB276_15 Depth=1
	v_and_b32_e32 v92, 7, v10
	v_lshrrev_b32_e32 v93, 3, v94
	s_mov_b32 s44, exec_lo
	v_cmpx_gt_u32_e32 8, v94
; %bb.566:                              ;   in Loop: Header=BB276_15 Depth=1
	v_ffbh_u32_e32 v20, v92
	v_min_u32_e32 v22, 32, v20
	v_subrev_nc_u32_e32 v20, 28, v22
	v_sub_nc_u32_e32 v93, 29, v22
	v_lshlrev_b64 v[20:21], v20, v[1:2]
	v_and_b32_e32 v92, 7, v20
; %bb.567:                              ;   in Loop: Header=BB276_15 Depth=1
	s_or_b32 exec_lo, exec_lo, s44
	v_lshlrev_b32_e32 v20, 8, v10
	v_lshl_add_u32 v21, v93, 10, 0x2000
	v_lshlrev_b32_e32 v22, 7, v92
	v_and_b32_e32 v20, 0x8000, v20
	v_and_b32_e32 v21, 0xfc00, v21
	v_or3_b32 v101, v20, v21, v22
.LBB276_568:                            ;   in Loop: Header=BB276_15 Depth=1
	s_or_b32 exec_lo, exec_lo, s43
.LBB276_569:                            ;   in Loop: Header=BB276_15 Depth=1
	s_or_b32 exec_lo, exec_lo, s42
.LBB276_570:                            ;   in Loop: Header=BB276_15 Depth=1
	s_or_b32 exec_lo, exec_lo, s41
	v_lshrrev_b16 v1, 8, v1
	v_mov_b32_e32 v103, 0
	v_mov_b32_e32 v98, 0
	s_mov_b32 s41, exec_lo
	v_cmpx_ne_u16_e32 0, v1
	s_cbranch_execz .LBB276_578
; %bb.571:                              ;   in Loop: Header=BB276_15 Depth=1
	v_bfrev_b32_e32 v98, 1
	s_mov_b32 s42, exec_lo
	v_cmpx_ne_u16_e32 0x80, v1
	s_cbranch_execz .LBB276_577
; %bb.572:                              ;   in Loop: Header=BB276_15 Depth=1
	v_and_b32_sdwa v94, v1, v14 dst_sel:DWORD dst_unused:UNUSED_PAD src0_sel:WORD_0 src1_sel:DWORD
	v_mov_b32_e32 v98, 0x7c010000
	s_mov_b32 s43, exec_lo
	v_cmpx_ne_u32_e32 0x7f, v94
	s_cbranch_execz .LBB276_576
; %bb.573:                              ;   in Loop: Header=BB276_15 Depth=1
	v_and_b32_sdwa v92, v1, v15 dst_sel:DWORD dst_unused:UNUSED_PAD src0_sel:WORD_0 src1_sel:DWORD
	v_lshrrev_b32_e32 v93, 3, v94
	s_mov_b32 s44, exec_lo
	v_cmpx_gt_u32_e32 8, v94
; %bb.574:                              ;   in Loop: Header=BB276_15 Depth=1
	v_ffbh_u32_e32 v20, v92
	v_min_u32_e32 v22, 32, v20
	v_subrev_nc_u32_e32 v20, 28, v22
	v_sub_nc_u32_e32 v93, 29, v22
	v_lshlrev_b64 v[20:21], v20, v[1:2]
	v_and_b32_e32 v92, 7, v20
; %bb.575:                              ;   in Loop: Header=BB276_15 Depth=1
	s_or_b32 exec_lo, exec_lo, s44
	v_lshlrev_b32_sdwa v1, v11, v1 dst_sel:DWORD dst_unused:UNUSED_PAD src0_sel:DWORD src1_sel:WORD_0
	v_lshl_add_u32 v20, v93, 10, 0x2000
	v_and_or_b32 v1, 0x8000, v1, v20
	v_lshlrev_b32_e32 v20, 23, v92
	v_lshl_or_b32 v98, v1, 16, v20
.LBB276_576:                            ;   in Loop: Header=BB276_15 Depth=1
	s_or_b32 exec_lo, exec_lo, s43
.LBB276_577:                            ;   in Loop: Header=BB276_15 Depth=1
	s_or_b32 exec_lo, exec_lo, s42
.LBB276_578:                            ;   in Loop: Header=BB276_15 Depth=1
	s_or_b32 exec_lo, exec_lo, s41
	v_lshrrev_b32_e32 v1, 16, v10
	v_cmp_ne_u16_sdwa s1, v1, v2 src0_sel:BYTE_0 src1_sel:DWORD
	s_and_saveexec_b32 s41, s1
	s_cbranch_execz .LBB276_586
; %bb.579:                              ;   in Loop: Header=BB276_15 Depth=1
	v_cmp_ne_u16_sdwa s1, v1, v19 src0_sel:BYTE_0 src1_sel:DWORD
	v_mov_b32_e32 v103, 0x8000
	s_and_saveexec_b32 s42, s1
	s_cbranch_execz .LBB276_585
; %bb.580:                              ;   in Loop: Header=BB276_15 Depth=1
	v_bfe_u32 v94, v10, 16, 7
	v_mov_b32_e32 v103, 0x7c01
	s_mov_b32 s43, exec_lo
	v_cmpx_ne_u32_e32 0x7f, v94
	s_cbranch_execz .LBB276_584
; %bb.581:                              ;   in Loop: Header=BB276_15 Depth=1
	v_and_b32_e32 v92, 7, v1
	v_lshrrev_b32_e32 v93, 3, v94
	s_mov_b32 s44, exec_lo
	v_cmpx_gt_u32_e32 8, v94
; %bb.582:                              ;   in Loop: Header=BB276_15 Depth=1
	v_ffbh_u32_e32 v20, v92
	v_min_u32_e32 v22, 32, v20
	v_subrev_nc_u32_e32 v20, 28, v22
	v_sub_nc_u32_e32 v93, 29, v22
	v_lshlrev_b64 v[20:21], v20, v[1:2]
	v_and_b32_e32 v92, 7, v20
; %bb.583:                              ;   in Loop: Header=BB276_15 Depth=1
	s_or_b32 exec_lo, exec_lo, s44
	v_lshlrev_b32_e32 v1, 8, v1
	v_lshl_add_u32 v20, v93, 10, 0x2000
	v_lshlrev_b32_e32 v21, 7, v92
	v_and_b32_e32 v1, 0x8000, v1
	v_and_b32_e32 v20, 0xfc00, v20
	v_or3_b32 v103, v1, v20, v21
.LBB276_584:                            ;   in Loop: Header=BB276_15 Depth=1
	s_or_b32 exec_lo, exec_lo, s43
.LBB276_585:                            ;   in Loop: Header=BB276_15 Depth=1
	s_or_b32 exec_lo, exec_lo, s42
.LBB276_586:                            ;   in Loop: Header=BB276_15 Depth=1
	s_or_b32 exec_lo, exec_lo, s41
	v_cmp_lt_u64_e64 s1, s[4:5], v[9:10]
	v_mov_b32_e32 v9, 0
	v_mov_b32_e32 v102, 0
	s_and_saveexec_b32 s41, s1
	s_cbranch_execz .LBB276_594
; %bb.587:                              ;   in Loop: Header=BB276_15 Depth=1
	v_lshrrev_b32_e32 v1, 24, v10
	v_bfrev_b32_e32 v102, 1
	s_mov_b32 s42, exec_lo
	v_cmpx_ne_u32_e32 0x80, v1
	s_cbranch_execz .LBB276_593
; %bb.588:                              ;   in Loop: Header=BB276_15 Depth=1
	v_and_b32_e32 v93, 0x7f, v1
	v_mov_b32_e32 v102, 0x7c010000
	s_mov_b32 s43, exec_lo
	v_cmpx_ne_u32_e32 0x7f, v93
	s_cbranch_execz .LBB276_592
; %bb.589:                              ;   in Loop: Header=BB276_15 Depth=1
	v_and_b32_e32 v10, 7, v1
	v_lshrrev_b32_e32 v92, 3, v93
	s_mov_b32 s44, exec_lo
	v_cmpx_gt_u32_e32 8, v93
; %bb.590:                              ;   in Loop: Header=BB276_15 Depth=1
	v_ffbh_u32_e32 v10, v10
	v_min_u32_e32 v10, 32, v10
	v_subrev_nc_u32_e32 v20, 28, v10
	v_sub_nc_u32_e32 v92, 29, v10
	v_lshlrev_b64 v[20:21], v20, v[1:2]
	v_and_b32_e32 v10, 7, v20
; %bb.591:                              ;   in Loop: Header=BB276_15 Depth=1
	s_or_b32 exec_lo, exec_lo, s44
	v_lshlrev_b32_e32 v1, 8, v1
	v_lshl_add_u32 v20, v92, 10, 0x2000
	v_lshlrev_b32_e32 v10, 23, v10
	v_and_or_b32 v1, 0x8000, v1, v20
	v_lshl_or_b32 v102, v1, 16, v10
.LBB276_592:                            ;   in Loop: Header=BB276_15 Depth=1
	s_or_b32 exec_lo, exec_lo, s43
.LBB276_593:                            ;   in Loop: Header=BB276_15 Depth=1
	s_or_b32 exec_lo, exec_lo, s42
.LBB276_594:                            ;   in Loop: Header=BB276_15 Depth=1
	s_or_b32 exec_lo, exec_lo, s41
	global_load_dwordx2 v[7:8], v[7:8], off offset:8
	s_waitcnt vmcnt(0)
	v_cmp_ne_u16_sdwa s1, v7, v2 src0_sel:BYTE_0 src1_sel:DWORD
	s_and_saveexec_b32 s41, s1
	s_cbranch_execz .LBB276_602
; %bb.595:                              ;   in Loop: Header=BB276_15 Depth=1
	v_cmp_ne_u16_sdwa s1, v7, v19 src0_sel:BYTE_0 src1_sel:DWORD
	v_mov_b32_e32 v9, 0x8000
	s_and_saveexec_b32 s42, s1
	s_cbranch_execz .LBB276_601
; %bb.596:                              ;   in Loop: Header=BB276_15 Depth=1
	v_and_b32_e32 v10, 0x7f, v7
	v_mov_b32_e32 v9, 0x7c01
	s_mov_b32 s43, exec_lo
	v_cmpx_ne_u32_e32 0x7f, v10
	s_cbranch_execz .LBB276_600
; %bb.597:                              ;   in Loop: Header=BB276_15 Depth=1
	v_and_b32_e32 v1, 7, v7
	v_lshrrev_b32_e32 v9, 3, v10
	s_mov_b32 s44, exec_lo
	v_cmpx_gt_u32_e32 8, v10
; %bb.598:                              ;   in Loop: Header=BB276_15 Depth=1
	v_ffbh_u32_e32 v1, v1
	v_min_u32_e32 v1, 32, v1
	v_subrev_nc_u32_e32 v9, 28, v1
	v_lshlrev_b64 v[20:21], v9, v[7:8]
	v_sub_nc_u32_e32 v9, 29, v1
	v_and_b32_e32 v1, 7, v20
; %bb.599:                              ;   in Loop: Header=BB276_15 Depth=1
	s_or_b32 exec_lo, exec_lo, s44
	v_lshlrev_b32_e32 v10, 8, v7
	v_lshl_add_u32 v9, v9, 10, 0x2000
	v_lshlrev_b32_e32 v1, 7, v1
	v_and_b32_e32 v10, 0x8000, v10
	v_and_b32_e32 v9, 0xfc00, v9
	v_or3_b32 v9, v10, v9, v1
.LBB276_600:                            ;   in Loop: Header=BB276_15 Depth=1
	s_or_b32 exec_lo, exec_lo, s43
.LBB276_601:                            ;   in Loop: Header=BB276_15 Depth=1
	s_or_b32 exec_lo, exec_lo, s42
.LBB276_602:                            ;   in Loop: Header=BB276_15 Depth=1
	s_or_b32 exec_lo, exec_lo, s41
	v_lshrrev_b16 v1, 8, v7
	v_mov_b32_e32 v93, 0
	v_mov_b32_e32 v10, 0
	s_mov_b32 s41, exec_lo
	v_cmpx_ne_u16_e32 0, v1
	s_cbranch_execz .LBB276_610
; %bb.603:                              ;   in Loop: Header=BB276_15 Depth=1
	v_bfrev_b32_e32 v10, 1
	s_mov_b32 s42, exec_lo
	v_cmpx_ne_u16_e32 0x80, v1
	s_cbranch_execz .LBB276_609
; %bb.604:                              ;   in Loop: Header=BB276_15 Depth=1
	v_and_b32_sdwa v94, v1, v14 dst_sel:DWORD dst_unused:UNUSED_PAD src0_sel:WORD_0 src1_sel:DWORD
	v_mov_b32_e32 v10, 0x7c010000
	s_mov_b32 s43, exec_lo
	v_cmpx_ne_u32_e32 0x7f, v94
	s_cbranch_execz .LBB276_608
; %bb.605:                              ;   in Loop: Header=BB276_15 Depth=1
	v_and_b32_sdwa v10, v1, v15 dst_sel:DWORD dst_unused:UNUSED_PAD src0_sel:WORD_0 src1_sel:DWORD
	v_lshrrev_b32_e32 v92, 3, v94
	s_mov_b32 s44, exec_lo
	v_cmpx_gt_u32_e32 8, v94
; %bb.606:                              ;   in Loop: Header=BB276_15 Depth=1
	v_ffbh_u32_e32 v10, v10
	v_min_u32_e32 v10, 32, v10
	v_subrev_nc_u32_e32 v20, 28, v10
	v_sub_nc_u32_e32 v92, 29, v10
	v_lshlrev_b64 v[20:21], v20, v[1:2]
	v_and_b32_e32 v10, 7, v20
; %bb.607:                              ;   in Loop: Header=BB276_15 Depth=1
	s_or_b32 exec_lo, exec_lo, s44
	v_lshlrev_b32_sdwa v1, v11, v1 dst_sel:DWORD dst_unused:UNUSED_PAD src0_sel:DWORD src1_sel:WORD_0
	v_lshl_add_u32 v20, v92, 10, 0x2000
	v_lshlrev_b32_e32 v10, 23, v10
	v_and_or_b32 v1, 0x8000, v1, v20
	v_lshl_or_b32 v10, v1, 16, v10
.LBB276_608:                            ;   in Loop: Header=BB276_15 Depth=1
	s_or_b32 exec_lo, exec_lo, s43
.LBB276_609:                            ;   in Loop: Header=BB276_15 Depth=1
	s_or_b32 exec_lo, exec_lo, s42
.LBB276_610:                            ;   in Loop: Header=BB276_15 Depth=1
	s_or_b32 exec_lo, exec_lo, s41
	v_lshrrev_b32_e32 v1, 16, v7
	v_cmp_ne_u16_sdwa s1, v1, v2 src0_sel:BYTE_0 src1_sel:DWORD
	s_and_saveexec_b32 s41, s1
	s_cbranch_execz .LBB276_618
; %bb.611:                              ;   in Loop: Header=BB276_15 Depth=1
	v_cmp_ne_u16_sdwa s1, v1, v19 src0_sel:BYTE_0 src1_sel:DWORD
	v_mov_b32_e32 v93, 0x8000
	s_and_saveexec_b32 s42, s1
	s_cbranch_execz .LBB276_617
; %bb.612:                              ;   in Loop: Header=BB276_15 Depth=1
	v_bfe_u32 v94, v7, 16, 7
	v_mov_b32_e32 v93, 0x7c01
	s_mov_b32 s43, exec_lo
	v_cmpx_ne_u32_e32 0x7f, v94
	s_cbranch_execz .LBB276_616
; %bb.613:                              ;   in Loop: Header=BB276_15 Depth=1
	v_and_b32_e32 v92, 7, v1
	v_lshrrev_b32_e32 v93, 3, v94
	s_mov_b32 s44, exec_lo
	v_cmpx_gt_u32_e32 8, v94
; %bb.614:                              ;   in Loop: Header=BB276_15 Depth=1
	v_ffbh_u32_e32 v20, v92
	v_min_u32_e32 v22, 32, v20
	v_subrev_nc_u32_e32 v20, 28, v22
	v_sub_nc_u32_e32 v93, 29, v22
	v_lshlrev_b64 v[20:21], v20, v[1:2]
	v_and_b32_e32 v92, 7, v20
; %bb.615:                              ;   in Loop: Header=BB276_15 Depth=1
	s_or_b32 exec_lo, exec_lo, s44
	v_lshlrev_b32_e32 v1, 8, v1
	v_lshl_add_u32 v20, v93, 10, 0x2000
	v_lshlrev_b32_e32 v21, 7, v92
	v_and_b32_e32 v1, 0x8000, v1
	v_and_b32_e32 v20, 0xfc00, v20
	v_or3_b32 v93, v1, v20, v21
.LBB276_616:                            ;   in Loop: Header=BB276_15 Depth=1
	s_or_b32 exec_lo, exec_lo, s43
.LBB276_617:                            ;   in Loop: Header=BB276_15 Depth=1
	s_or_b32 exec_lo, exec_lo, s42
.LBB276_618:                            ;   in Loop: Header=BB276_15 Depth=1
	s_or_b32 exec_lo, exec_lo, s41
	v_mov_b32_e32 v92, 0
	v_mov_b32_e32 v97, 0
	s_mov_b32 s41, exec_lo
	v_cmpx_lt_u32_e32 0xffffff, v7
	s_cbranch_execz .LBB276_626
; %bb.619:                              ;   in Loop: Header=BB276_15 Depth=1
	v_lshrrev_b32_e32 v1, 24, v7
	v_bfrev_b32_e32 v97, 1
	s_mov_b32 s42, exec_lo
	v_cmpx_ne_u32_e32 0x80, v1
	s_cbranch_execz .LBB276_625
; %bb.620:                              ;   in Loop: Header=BB276_15 Depth=1
	v_and_b32_e32 v100, 0x7f, v1
	v_mov_b32_e32 v97, 0x7c010000
	s_mov_b32 s43, exec_lo
	v_cmpx_ne_u32_e32 0x7f, v100
	s_cbranch_execz .LBB276_624
; %bb.621:                              ;   in Loop: Header=BB276_15 Depth=1
	v_and_b32_e32 v94, 7, v1
	v_lshrrev_b32_e32 v95, 3, v100
	s_mov_b32 s44, exec_lo
	v_cmpx_gt_u32_e32 8, v100
; %bb.622:                              ;   in Loop: Header=BB276_15 Depth=1
	v_ffbh_u32_e32 v20, v94
	v_min_u32_e32 v22, 32, v20
	v_subrev_nc_u32_e32 v20, 28, v22
	v_sub_nc_u32_e32 v95, 29, v22
	v_lshlrev_b64 v[20:21], v20, v[1:2]
	v_and_b32_e32 v94, 7, v20
; %bb.623:                              ;   in Loop: Header=BB276_15 Depth=1
	s_or_b32 exec_lo, exec_lo, s44
	v_lshlrev_b32_e32 v1, 8, v1
	v_lshl_add_u32 v20, v95, 10, 0x2000
	v_and_or_b32 v1, 0x8000, v1, v20
	v_lshlrev_b32_e32 v20, 23, v94
	v_lshl_or_b32 v97, v1, 16, v20
.LBB276_624:                            ;   in Loop: Header=BB276_15 Depth=1
	s_or_b32 exec_lo, exec_lo, s43
.LBB276_625:                            ;   in Loop: Header=BB276_15 Depth=1
	s_or_b32 exec_lo, exec_lo, s42
.LBB276_626:                            ;   in Loop: Header=BB276_15 Depth=1
	s_or_b32 exec_lo, exec_lo, s41
	v_mov_b32_e32 v1, v8
	v_cmp_ne_u16_sdwa s1, v8, v2 src0_sel:BYTE_0 src1_sel:DWORD
	s_and_saveexec_b32 s41, s1
	s_cbranch_execz .LBB276_634
; %bb.627:                              ;   in Loop: Header=BB276_15 Depth=1
	v_cmp_ne_u16_sdwa s1, v8, v19 src0_sel:BYTE_0 src1_sel:DWORD
	v_mov_b32_e32 v92, 0x8000
	s_and_saveexec_b32 s42, s1
	s_cbranch_execz .LBB276_633
; %bb.628:                              ;   in Loop: Header=BB276_15 Depth=1
	v_and_b32_e32 v95, 0x7f, v8
	v_mov_b32_e32 v92, 0x7c01
	s_mov_b32 s43, exec_lo
	v_cmpx_ne_u32_e32 0x7f, v95
	s_cbranch_execz .LBB276_632
; %bb.629:                              ;   in Loop: Header=BB276_15 Depth=1
	v_and_b32_e32 v92, 7, v8
	v_lshrrev_b32_e32 v94, 3, v95
	s_mov_b32 s44, exec_lo
	v_cmpx_gt_u32_e32 8, v95
; %bb.630:                              ;   in Loop: Header=BB276_15 Depth=1
	v_ffbh_u32_e32 v20, v92
	v_min_u32_e32 v22, 32, v20
	v_subrev_nc_u32_e32 v20, 28, v22
	v_sub_nc_u32_e32 v94, 29, v22
	v_lshlrev_b64 v[20:21], v20, v[1:2]
	v_and_b32_e32 v92, 7, v20
; %bb.631:                              ;   in Loop: Header=BB276_15 Depth=1
	s_or_b32 exec_lo, exec_lo, s44
	v_lshlrev_b32_e32 v20, 8, v8
	v_lshl_add_u32 v21, v94, 10, 0x2000
	v_lshlrev_b32_e32 v22, 7, v92
	v_and_b32_e32 v20, 0x8000, v20
	v_and_b32_e32 v21, 0xfc00, v21
	v_or3_b32 v92, v20, v21, v22
.LBB276_632:                            ;   in Loop: Header=BB276_15 Depth=1
	s_or_b32 exec_lo, exec_lo, s43
.LBB276_633:                            ;   in Loop: Header=BB276_15 Depth=1
	s_or_b32 exec_lo, exec_lo, s42
.LBB276_634:                            ;   in Loop: Header=BB276_15 Depth=1
	s_or_b32 exec_lo, exec_lo, s41
	v_lshrrev_b16 v1, 8, v1
	v_mov_b32_e32 v95, 0
	v_mov_b32_e32 v94, 0
	s_mov_b32 s41, exec_lo
	v_cmpx_ne_u16_e32 0, v1
	s_cbranch_execz .LBB276_642
; %bb.635:                              ;   in Loop: Header=BB276_15 Depth=1
	v_bfrev_b32_e32 v94, 1
	s_mov_b32 s42, exec_lo
	v_cmpx_ne_u16_e32 0x80, v1
	s_cbranch_execz .LBB276_641
; %bb.636:                              ;   in Loop: Header=BB276_15 Depth=1
	v_and_b32_sdwa v106, v1, v14 dst_sel:DWORD dst_unused:UNUSED_PAD src0_sel:WORD_0 src1_sel:DWORD
	v_mov_b32_e32 v94, 0x7c010000
	s_mov_b32 s43, exec_lo
	v_cmpx_ne_u32_e32 0x7f, v106
	s_cbranch_execz .LBB276_640
; %bb.637:                              ;   in Loop: Header=BB276_15 Depth=1
	v_and_b32_sdwa v94, v1, v15 dst_sel:DWORD dst_unused:UNUSED_PAD src0_sel:WORD_0 src1_sel:DWORD
	v_lshrrev_b32_e32 v100, 3, v106
	s_mov_b32 s44, exec_lo
	v_cmpx_gt_u32_e32 8, v106
; %bb.638:                              ;   in Loop: Header=BB276_15 Depth=1
	v_ffbh_u32_e32 v20, v94
	v_min_u32_e32 v22, 32, v20
	v_subrev_nc_u32_e32 v20, 28, v22
	v_sub_nc_u32_e32 v100, 29, v22
	v_lshlrev_b64 v[20:21], v20, v[1:2]
	v_and_b32_e32 v94, 7, v20
; %bb.639:                              ;   in Loop: Header=BB276_15 Depth=1
	s_or_b32 exec_lo, exec_lo, s44
	v_lshlrev_b32_sdwa v1, v11, v1 dst_sel:DWORD dst_unused:UNUSED_PAD src0_sel:DWORD src1_sel:WORD_0
	v_lshl_add_u32 v20, v100, 10, 0x2000
	v_and_or_b32 v1, 0x8000, v1, v20
	v_lshlrev_b32_e32 v20, 23, v94
	v_lshl_or_b32 v94, v1, 16, v20
.LBB276_640:                            ;   in Loop: Header=BB276_15 Depth=1
	s_or_b32 exec_lo, exec_lo, s43
.LBB276_641:                            ;   in Loop: Header=BB276_15 Depth=1
	s_or_b32 exec_lo, exec_lo, s42
.LBB276_642:                            ;   in Loop: Header=BB276_15 Depth=1
	s_or_b32 exec_lo, exec_lo, s41
	v_lshrrev_b32_e32 v1, 16, v8
	v_cmp_ne_u16_sdwa s1, v1, v2 src0_sel:BYTE_0 src1_sel:DWORD
	s_and_saveexec_b32 s41, s1
	s_cbranch_execz .LBB276_650
; %bb.643:                              ;   in Loop: Header=BB276_15 Depth=1
	v_cmp_ne_u16_sdwa s1, v1, v19 src0_sel:BYTE_0 src1_sel:DWORD
	v_mov_b32_e32 v95, 0x8000
	s_and_saveexec_b32 s42, s1
	s_cbranch_execz .LBB276_649
; %bb.644:                              ;   in Loop: Header=BB276_15 Depth=1
	v_bfe_u32 v106, v8, 16, 7
	v_mov_b32_e32 v95, 0x7c01
	s_mov_b32 s43, exec_lo
	v_cmpx_ne_u32_e32 0x7f, v106
	s_cbranch_execz .LBB276_648
; %bb.645:                              ;   in Loop: Header=BB276_15 Depth=1
	v_and_b32_e32 v95, 7, v1
	v_lshrrev_b32_e32 v100, 3, v106
	s_mov_b32 s44, exec_lo
	v_cmpx_gt_u32_e32 8, v106
; %bb.646:                              ;   in Loop: Header=BB276_15 Depth=1
	v_ffbh_u32_e32 v20, v95
	v_min_u32_e32 v22, 32, v20
	v_subrev_nc_u32_e32 v20, 28, v22
	v_sub_nc_u32_e32 v100, 29, v22
	v_lshlrev_b64 v[20:21], v20, v[1:2]
	v_and_b32_e32 v95, 7, v20
; %bb.647:                              ;   in Loop: Header=BB276_15 Depth=1
	s_or_b32 exec_lo, exec_lo, s44
	v_lshlrev_b32_e32 v1, 8, v1
	v_lshl_add_u32 v20, v100, 10, 0x2000
	v_lshlrev_b32_e32 v21, 7, v95
	v_and_b32_e32 v1, 0x8000, v1
	v_and_b32_e32 v20, 0xfc00, v20
	v_or3_b32 v95, v1, v20, v21
.LBB276_648:                            ;   in Loop: Header=BB276_15 Depth=1
	s_or_b32 exec_lo, exec_lo, s43
.LBB276_649:                            ;   in Loop: Header=BB276_15 Depth=1
	s_or_b32 exec_lo, exec_lo, s42
.LBB276_650:                            ;   in Loop: Header=BB276_15 Depth=1
	s_or_b32 exec_lo, exec_lo, s41
	v_mov_b32_e32 v100, 0
	s_mov_b32 s41, exec_lo
	v_cmpx_lt_u64_e64 s[4:5], v[7:8]
	s_cbranch_execz .LBB276_13
; %bb.651:                              ;   in Loop: Header=BB276_15 Depth=1
	v_lshrrev_b32_e32 v1, 24, v8
	v_bfrev_b32_e32 v100, 1
	s_mov_b32 s42, exec_lo
	v_cmpx_ne_u32_e32 0x80, v1
	s_cbranch_execz .LBB276_12
; %bb.652:                              ;   in Loop: Header=BB276_15 Depth=1
	v_and_b32_e32 v106, 0x7f, v1
	v_mov_b32_e32 v100, 0x7c010000
	s_mov_b32 s43, exec_lo
	v_cmpx_ne_u32_e32 0x7f, v106
	s_cbranch_execz .LBB276_11
; %bb.653:                              ;   in Loop: Header=BB276_15 Depth=1
	v_and_b32_e32 v7, 7, v1
	v_lshrrev_b32_e32 v8, 3, v106
	s_mov_b32 s44, exec_lo
	v_cmpx_gt_u32_e32 8, v106
	s_cbranch_execz .LBB276_10
; %bb.654:                              ;   in Loop: Header=BB276_15 Depth=1
	v_ffbh_u32_e32 v7, v7
	v_min_u32_e32 v20, 32, v7
	v_subrev_nc_u32_e32 v7, 28, v20
	v_lshlrev_b64 v[7:8], v7, v[1:2]
	v_sub_nc_u32_e32 v8, 29, v20
	v_and_b32_e32 v7, 7, v7
	s_branch .LBB276_10
.LBB276_655:
	s_or_b32 exec_lo, exec_lo, s40
	buffer_load_dword v12, off, s[48:51], 0 ; 4-byte Folded Reload
	v_lshrrev_b32_e32 v11, 3, v0
.LBB276_656:
	s_or_b32 exec_lo, exec_lo, s36
	v_mbcnt_lo_u32_b32 v2, -1, 0
	v_max_f32_e32 v5, v16, v16
	v_xor_b32_e32 v1, 16, v2
	v_xor_b32_e32 v4, 8, v2
	v_cmp_gt_i32_e32 vcc_lo, 32, v1
	v_cndmask_b32_e32 v1, v2, v1, vcc_lo
	v_cmp_gt_i32_e32 vcc_lo, 32, v4
	v_lshlrev_b32_e32 v1, 2, v1
	v_cndmask_b32_e32 v4, v2, v4, vcc_lo
	ds_bpermute_b32 v3, v1, v16
	s_waitcnt lgkmcnt(0)
	v_max_f32_e32 v6, v3, v3
	v_lshlrev_b32_e32 v3, 2, v4
	v_max_f32_e32 v5, v5, v6
	v_xor_b32_e32 v6, 4, v2
	ds_bpermute_b32 v4, v3, v5
	v_cmp_gt_i32_e32 vcc_lo, 32, v6
	v_cndmask_b32_e32 v6, v2, v6, vcc_lo
	s_waitcnt lgkmcnt(0)
	v_max_f32_e32 v7, v4, v4
	v_lshlrev_b32_e32 v4, 2, v6
	v_max_f32_e32 v5, v5, v7
	v_xor_b32_e32 v7, 2, v2
	ds_bpermute_b32 v6, v4, v5
	v_cmp_gt_i32_e32 vcc_lo, 32, v7
	v_cndmask_b32_e32 v7, v2, v7, vcc_lo
	v_lshlrev_b32_e32 v17, 2, v7
	v_xor_b32_e32 v7, 1, v2
	v_cmp_gt_i32_e32 vcc_lo, 32, v7
	s_waitcnt lgkmcnt(0)
	v_max_f32_e32 v6, v6, v6
	v_cndmask_b32_e32 v7, v2, v7, vcc_lo
	v_max_f32_e32 v5, v5, v6
	v_lshlrev_b32_e32 v16, 2, v7
	ds_bpermute_b32 v6, v17, v5
	s_waitcnt lgkmcnt(0)
	v_max_f32_e32 v6, v6, v6
	v_max_f32_e32 v2, v5, v6
	v_and_b32_e32 v5, 31, v0
	ds_bpermute_b32 v6, v16, v2
	v_cmp_eq_u32_e32 vcc_lo, 0, v5
	v_lshrrev_b32_e32 v5, 5, v0
	v_lshlrev_b32_e32 v5, 2, v5
	s_and_saveexec_b32 s1, vcc_lo
	s_cbranch_execz .LBB276_658
; %bb.657:
	s_waitcnt lgkmcnt(0)
	v_max_f32_e32 v6, v6, v6
	v_max_f32_e32 v2, v2, v2
	;; [unrolled: 1-line block ×3, first 2 shown]
	ds_write_b32 v5, v2 offset:160
.LBB276_658:
	s_or_b32 exec_lo, exec_lo, s1
	v_and_b32_e32 v2, 31, v0
	s_waitcnt vmcnt(0) lgkmcnt(0)
	s_waitcnt_vscnt null, 0x0
	s_barrier
	buffer_gl0_inv
	v_cmp_gt_u32_e64 s1, 4, v2
	v_mov_b32_e32 v2, 0xff7fffff
	s_and_saveexec_b32 s2, s1
; %bb.659:
	ds_read_b32 v2, v12 offset:160
; %bb.660:
	s_or_b32 exec_lo, exec_lo, s2
	s_waitcnt lgkmcnt(0)
	ds_bpermute_b32 v6, v17, v2
	v_max_f32_e32 v2, v2, v2
	s_lshl_b32 s2, s20, 5
	s_min_i32 s4, s2, s33
	v_cmp_gt_i32_e64 s2, s4, v0
	s_waitcnt lgkmcnt(0)
	v_max_f32_e32 v6, v6, v6
	v_max_f32_e32 v2, v2, v6
	ds_bpermute_b32 v6, v16, v2
	s_waitcnt lgkmcnt(0)
	v_max_f32_e32 v6, v6, v6
	v_max_f32_e32 v2, v2, v6
	v_mov_b32_e32 v6, 0
	ds_bpermute_b32 v7, v6, v2
	v_lshl_add_u32 v2, v0, 2, 0xc0
	s_and_saveexec_b32 s5, s2
	s_cbranch_execz .LBB276_664
; %bb.661:
	v_lshl_add_u32 v8, v0, 2, 0xc0
	v_mov_b32_e32 v6, 0
	v_mov_b32_e32 v9, v0
	s_mov_b32 s12, 0
	.p2align	6
.LBB276_662:                            ; =>This Inner Loop Header: Depth=1
	ds_read_b32 v10, v8
	v_add_nc_u32_e32 v9, 0x80, v9
	v_cmp_le_i32_e64 s3, s4, v9
	s_or_b32 s12, s3, s12
	s_waitcnt lgkmcnt(0)
	v_sub_f32_e32 v10, v10, v7
	v_mul_f32_e32 v10, 0x3fb8aa3b, v10
	v_exp_f32_e32 v10, v10
	ds_write_b32 v8, v10
	v_add_f32_e32 v6, v6, v10
	v_add_nc_u32_e32 v8, 0x200, v8
	s_andn2_b32 exec_lo, exec_lo, s12
	s_cbranch_execnz .LBB276_662
; %bb.663:
	s_or_b32 exec_lo, exec_lo, s12
.LBB276_664:
	s_or_b32 exec_lo, exec_lo, s5
	ds_bpermute_b32 v1, v1, v6
	s_waitcnt lgkmcnt(0)
	v_add_f32_e32 v1, v6, v1
	ds_bpermute_b32 v3, v3, v1
	s_waitcnt lgkmcnt(0)
	v_add_f32_e32 v1, v1, v3
	;; [unrolled: 3-line block ×5, first 2 shown]
	s_and_saveexec_b32 s3, vcc_lo
; %bb.665:
	ds_write_b32 v5, v1 offset:176
; %bb.666:
	s_or_b32 exec_lo, exec_lo, s3
	s_waitcnt lgkmcnt(0)
	s_barrier
	buffer_gl0_inv
	s_and_saveexec_b32 s3, s1
; %bb.667:
	ds_read_b32 v1, v12 offset:176
; %bb.668:
	s_or_b32 exec_lo, exec_lo, s3
	s_waitcnt lgkmcnt(0)
	ds_bpermute_b32 v3, v17, v1
	s_waitcnt lgkmcnt(0)
	v_add_f32_e32 v1, v1, v3
	ds_bpermute_b32 v3, v16, v1
	s_waitcnt lgkmcnt(0)
	v_add_f32_e32 v1, v1, v3
	v_mov_b32_e32 v3, 0
	ds_bpermute_b32 v1, v3, v1
	s_and_saveexec_b32 s1, s2
	s_cbranch_execz .LBB276_671
; %bb.669:
	s_waitcnt lgkmcnt(0)
	v_add_f32_e32 v1, 0x358637bd, v1
	s_mov_b32 s2, 0
	v_div_scale_f32 v3, null, v1, v1, 1.0
	v_div_scale_f32 v6, vcc_lo, 1.0, v1, 1.0
	v_rcp_f32_e32 v4, v3
	v_fma_f32 v5, -v3, v4, 1.0
	v_fmac_f32_e32 v4, v5, v4
	v_mul_f32_e32 v5, v6, v4
	v_fma_f32 v7, -v3, v5, v6
	v_fmac_f32_e32 v5, v7, v4
	v_fma_f32 v3, -v3, v5, v6
	v_div_fmas_f32 v3, v3, v4, v5
	v_div_fixup_f32 v1, v3, v1, 1.0
	v_mov_b32_e32 v3, v0
.LBB276_670:                            ; =>This Inner Loop Header: Depth=1
	ds_read_b32 v4, v2
	v_add_nc_u32_e32 v3, 0x80, v3
	v_cmp_le_i32_e32 vcc_lo, s4, v3
	s_or_b32 s2, vcc_lo, s2
	s_waitcnt lgkmcnt(0)
	v_mul_f32_e32 v4, v1, v4
	ds_write_b32 v2, v4
	v_add_nc_u32_e32 v2, 0x200, v2
	s_andn2_b32 exec_lo, exec_lo, s2
	s_cbranch_execnz .LBB276_670
.LBB276_671:
	s_or_b32 exec_lo, exec_lo, s1
	v_mov_b32_e32 v26, 0
	v_and_b32_e32 v15, 3, v0
	v_mov_b32_e32 v27, 0
	v_mov_b32_e32 v25, 0
	;; [unrolled: 1-line block ×9, first 2 shown]
	s_waitcnt lgkmcnt(0)
	s_barrier
	buffer_gl0_inv
	s_and_saveexec_b32 s1, s0
	s_cbranch_execz .LBB276_1337
; %bb.672:
	s_sub_i32 s4, s34, s21
	s_ashr_i32 s0, s18, 31
	s_add_u32 s18, s30, s18
	s_addc_u32 s0, s31, s0
	s_abs_i32 s5, s22
	v_lshlrev_b32_e32 v3, 3, v0
	v_cvt_f32_u32_e32 v1, s5
	s_sub_i32 s2, 0, s5
	v_lshlrev_b32_e32 v5, 5, v15
	v_lshrrev_b32_e32 v34, 5, v0
	v_and_b32_e32 v4, 0x7c, v11
	v_rcp_iflag_f32_e32 v1, v1
	s_add_i32 s13, s20, -1
	v_and_b32_e32 v7, 0xf8, v3
	v_lshl_or_b32 v8, v34, 7, v5
	v_and_b32_e32 v31, 24, v3
	v_mov_b32_e32 v2, 0
	v_mov_b32_e32 v14, 0x80
	;; [unrolled: 1-line block ×5, first 2 shown]
	v_mul_f32_e32 v1, 0x4f7ffffe, v1
	v_mov_b32_e32 v18, 0
	v_mov_b32_e32 v19, 0
	;; [unrolled: 1-line block ×4, first 2 shown]
	v_cvt_u32_f32_e32 v1, v1
	v_mov_b32_e32 v22, 0
	v_mov_b32_e32 v23, 0
	;; [unrolled: 1-line block ×4, first 2 shown]
	v_mul_lo_u32 v6, s2, v1
	s_lshl_b64 s[2:3], s[28:29], 2
	v_add_nc_u32_e32 v32, 0xc0, v8
	s_add_u32 s2, s26, s2
	s_addc_u32 s3, s27, s3
	v_add_co_u32 v3, s2, s2, v4
	v_add_co_ci_u32_e64 v4, null, s3, 0, s2
	v_mul_hi_u32 v9, v1, v6
	v_add_co_u32 v5, s2, s18, v7
	v_add_co_ci_u32_e64 v6, null, s0, 0, s2
	v_mov_b32_e32 v27, 0
	v_mov_b32_e32 v26, 0
	s_mov_b32 s2, -1
	v_add_nc_u32_e32 v33, v1, v9
	s_mov_b32 s12, s17
	s_mov_b32 s3, 0xffffff
	;; [unrolled: 1-line block ×3, first 2 shown]
	s_branch .LBB276_675
.LBB276_673:                            ;   in Loop: Header=BB276_675 Depth=1
	s_or_b32 exec_lo, exec_lo, s0
	v_add_f32_e32 v9, v9, v10
	v_add_f32_e32 v10, v61, v62
	;; [unrolled: 1-line block ×7, first 2 shown]
	;;#ASMSTART
	v_pk_mul_f16 v10, v48, v63;

	;;#ASMEND
	;;#ASMSTART
	v_pk_mul_f16 v8, v46, v8;

	;;#ASMEND
	;; [unrolled: 4-line block ×4, first 2 shown]
	;;#ASMSTART
	v_pk_add_f16 v8, v10, v8;

	;;#ASMEND
	;;#ASMSTART
	v_pk_add_f16 v7, v8, v7;

	;;#ASMEND
	;; [unrolled: 4-line block ×3, first 2 shown]
	v_and_b32_e32 v10, 0xffff, v1
	v_add_f32_e32 v21, v21, v11
	v_lshrrev_b32_e32 v11, 16, v1
	;;#ASMSTART
	v_cvt_f32_f16 v10, v10;
	;;#ASMEND
	v_add_f32_e32 v9, v53, v54
	v_add_f32_e32 v1, v51, v52
	;; [unrolled: 1-line block ×4, first 2 shown]
	;;#ASMSTART
	v_cvt_f32_f16 v11, v11;
	;;#ASMEND
	v_add_f32_e32 v10, v10, v11
	v_add_f32_e32 v22, v22, v12
	;; [unrolled: 1-line block ×8, first 2 shown]
.LBB276_674:                            ;   in Loop: Header=BB276_675 Depth=1
	s_or_b32 exec_lo, exec_lo, s18
	v_add_nc_u32_e32 v34, 4, v34
	v_add_co_u32 v3, s0, v3, 16
	v_add_co_ci_u32_e64 v4, null, 0, v4, s0
	v_cmp_le_i32_e32 vcc_lo, s20, v34
	v_add_nc_u32_e32 v13, 0x80, v13
	v_add_nc_u32_e32 v32, 0x200, v32
	s_or_b32 s17, vcc_lo, s17
	s_andn2_b32 exec_lo, exec_lo, s17
	s_cbranch_execz .LBB276_1336
.LBB276_675:                            ; =>This Inner Loop Header: Depth=1
	v_mul_hi_u32 v1, v13, s19
	v_mul_lo_u32 v7, v1, s16
	v_add_nc_u32_e32 v8, 1, v1
	v_sub_nc_u32_e32 v7, v13, v7
	v_subrev_nc_u32_e32 v9, s16, v7
	v_cmp_le_u32_e32 vcc_lo, s16, v7
	v_cndmask_b32_e32 v1, v1, v8, vcc_lo
	v_cndmask_b32_e32 v7, v7, v9, vcc_lo
	v_add_nc_u32_e32 v8, 1, v1
	v_cmp_le_u32_e32 vcc_lo, s16, v7
	v_cndmask_b32_e32 v1, v1, v8, vcc_lo
	v_xor_b32_e32 v1, s23, v1
	v_subrev_nc_u32_e32 v1, s23, v1
	v_add_nc_u32_e32 v7, s25, v1
	v_cmp_lt_i32_e64 s0, s4, v1
	v_sub_nc_u32_e32 v8, 0, v7
	v_max_i32_e32 v8, v7, v8
	v_ashrrev_i32_e32 v7, 31, v7
	v_mul_hi_u32 v9, v8, v33
	v_mul_lo_u32 v9, v9, s5
	v_sub_nc_u32_e32 v8, v8, v9
	v_subrev_nc_u32_e32 v9, s5, v8
	v_cmp_le_u32_e32 vcc_lo, s5, v8
	v_cndmask_b32_e32 v8, v8, v9, vcc_lo
	v_subrev_nc_u32_e32 v9, s5, v8
	v_cmp_le_u32_e32 vcc_lo, s5, v8
	v_cndmask_b32_e32 v8, v8, v9, vcc_lo
	v_xor_b32_e32 v8, v8, v7
	v_sub_nc_u32_e32 v7, v8, v7
	v_cmp_eq_u32_e32 vcc_lo, 0, v7
	s_or_b32 s0, vcc_lo, s0
	s_and_saveexec_b32 s18, s0
	s_cbranch_execz .LBB276_674
; %bb.676:                              ;   in Loop: Header=BB276_675 Depth=1
	global_load_dword v1, v[3:4], off
	ds_read2_b64 v[8:11], v32 offset1:1
	ds_read2_b64 v[48:51], v32 offset0:2 offset1:3
	v_mov_b32_e32 v37, 0
	v_mov_b32_e32 v39, 0
	s_waitcnt lgkmcnt(1)
	;;#ASMSTART
	v_cvt_f16_f32 v38, v8;

	;;#ASMEND
	;;#ASMSTART
	v_cvt_f16_f32 v40, v9;

	;;#ASMEND
	;; [unrolled: 4-line block ×4, first 2 shown]
	s_waitcnt lgkmcnt(0)
	;;#ASMSTART
	v_cvt_f16_f32 v48, v48;

	;;#ASMEND
	;;#ASMSTART
	v_cvt_f16_f32 v44, v49;

	;;#ASMEND
	;; [unrolled: 4-line block ×4, first 2 shown]
	global_load_dword v36, v37, s[14:15]
	s_waitcnt vmcnt(1)
	v_mad_i64_i32 v[7:8], null, v1, s12, v[5:6]
	global_load_dwordx2 v[9:10], v[7:8], off
	s_waitcnt vmcnt(0)
	v_cmp_ne_u16_sdwa s21, v9, v2 src0_sel:BYTE_0 src1_sel:DWORD
	s_and_saveexec_b32 s0, s21
	s_cbranch_execz .LBB276_684
; %bb.677:                              ;   in Loop: Header=BB276_675 Depth=1
	v_cmp_ne_u16_sdwa s22, v9, v14 src0_sel:BYTE_0 src1_sel:DWORD
	v_mov_b32_e32 v39, 0x8000
	s_and_saveexec_b32 s21, s22
	s_cbranch_execz .LBB276_683
; %bb.678:                              ;   in Loop: Header=BB276_675 Depth=1
	v_and_b32_e32 v41, 0x7f, v9
	v_mov_b32_e32 v39, 0x7c01
	s_mov_b32 s22, exec_lo
	v_cmpx_ne_u32_e32 0x7f, v41
	s_cbranch_execz .LBB276_682
; %bb.679:                              ;   in Loop: Header=BB276_675 Depth=1
	v_and_b32_e32 v1, 7, v9
	v_lshrrev_b32_e32 v35, 3, v41
	s_mov_b32 s26, exec_lo
	v_cmpx_gt_u32_e32 8, v41
; %bb.680:                              ;   in Loop: Header=BB276_675 Depth=1
	v_ffbh_u32_e32 v1, v1
	v_min_u32_e32 v1, 32, v1
	v_subrev_nc_u32_e32 v11, 28, v1
	v_sub_nc_u32_e32 v35, 29, v1
	v_lshlrev_b64 v[11:12], v11, v[9:10]
	v_and_b32_e32 v1, 7, v11
; %bb.681:                              ;   in Loop: Header=BB276_675 Depth=1
	s_or_b32 exec_lo, exec_lo, s26
	v_lshlrev_b32_e32 v11, 8, v9
	v_lshl_add_u32 v12, v35, 10, 0x2000
	v_lshlrev_b32_e32 v1, 7, v1
	v_and_b32_e32 v11, 0x8000, v11
	v_and_b32_e32 v12, 0xfc00, v12
	v_or3_b32 v39, v11, v12, v1
.LBB276_682:                            ;   in Loop: Header=BB276_675 Depth=1
	s_or_b32 exec_lo, exec_lo, s22
.LBB276_683:                            ;   in Loop: Header=BB276_675 Depth=1
	s_or_b32 exec_lo, exec_lo, s21
.LBB276_684:                            ;   in Loop: Header=BB276_675 Depth=1
	s_or_b32 exec_lo, exec_lo, s0
	v_lshrrev_b16 v1, 8, v9
	s_mov_b32 s0, exec_lo
	v_cmpx_ne_u16_e32 0, v1
	s_cbranch_execz .LBB276_692
; %bb.685:                              ;   in Loop: Header=BB276_675 Depth=1
	v_bfrev_b32_e32 v37, 1
	s_mov_b32 s21, exec_lo
	v_cmpx_ne_u16_e32 0x80, v1
	s_cbranch_execz .LBB276_691
; %bb.686:                              ;   in Loop: Header=BB276_675 Depth=1
	v_and_b32_sdwa v41, v1, v28 dst_sel:DWORD dst_unused:UNUSED_PAD src0_sel:WORD_0 src1_sel:DWORD
	v_mov_b32_e32 v37, 0x7c010000
	s_mov_b32 s22, exec_lo
	v_cmpx_ne_u32_e32 0x7f, v41
	s_cbranch_execz .LBB276_690
; %bb.687:                              ;   in Loop: Header=BB276_675 Depth=1
	v_and_b32_sdwa v35, v1, v29 dst_sel:DWORD dst_unused:UNUSED_PAD src0_sel:WORD_0 src1_sel:DWORD
	v_lshrrev_b32_e32 v37, 3, v41
	s_mov_b32 s26, exec_lo
	v_cmpx_gt_u32_e32 8, v41
; %bb.688:                              ;   in Loop: Header=BB276_675 Depth=1
	v_ffbh_u32_e32 v11, v35
	v_min_u32_e32 v35, 32, v11
	v_subrev_nc_u32_e32 v11, 28, v35
	v_sub_nc_u32_e32 v37, 29, v35
	v_lshlrev_b64 v[11:12], v11, v[1:2]
	v_and_b32_e32 v35, 7, v11
; %bb.689:                              ;   in Loop: Header=BB276_675 Depth=1
	s_or_b32 exec_lo, exec_lo, s26
	v_lshlrev_b32_sdwa v1, v30, v1 dst_sel:DWORD dst_unused:UNUSED_PAD src0_sel:DWORD src1_sel:WORD_0
	v_lshl_add_u32 v11, v37, 10, 0x2000
	v_and_or_b32 v1, 0x8000, v1, v11
	v_lshlrev_b32_e32 v11, 23, v35
	v_lshl_or_b32 v37, v1, 16, v11
.LBB276_690:                            ;   in Loop: Header=BB276_675 Depth=1
	s_or_b32 exec_lo, exec_lo, s22
.LBB276_691:                            ;   in Loop: Header=BB276_675 Depth=1
	s_or_b32 exec_lo, exec_lo, s21
.LBB276_692:                            ;   in Loop: Header=BB276_675 Depth=1
	s_or_b32 exec_lo, exec_lo, s0
	v_lshrrev_b32_e32 v1, 16, v9
	v_mov_b32_e32 v41, 0
	v_mov_b32_e32 v35, 0
	v_cmp_ne_u16_sdwa s21, v1, v2 src0_sel:BYTE_0 src1_sel:DWORD
	s_and_saveexec_b32 s0, s21
	s_cbranch_execz .LBB276_700
; %bb.693:                              ;   in Loop: Header=BB276_675 Depth=1
	v_cmp_ne_u16_sdwa s22, v1, v14 src0_sel:BYTE_0 src1_sel:DWORD
	v_mov_b32_e32 v35, 0x8000
	s_and_saveexec_b32 s21, s22
	s_cbranch_execz .LBB276_699
; %bb.694:                              ;   in Loop: Header=BB276_675 Depth=1
	v_bfe_u32 v45, v9, 16, 7
	v_mov_b32_e32 v35, 0x7c01
	s_mov_b32 s22, exec_lo
	v_cmpx_ne_u32_e32 0x7f, v45
	s_cbranch_execz .LBB276_698
; %bb.695:                              ;   in Loop: Header=BB276_675 Depth=1
	v_and_b32_e32 v35, 7, v1
	v_lshrrev_b32_e32 v43, 3, v45
	s_mov_b32 s26, exec_lo
	v_cmpx_gt_u32_e32 8, v45
; %bb.696:                              ;   in Loop: Header=BB276_675 Depth=1
	v_ffbh_u32_e32 v11, v35
	v_min_u32_e32 v35, 32, v11
	v_subrev_nc_u32_e32 v11, 28, v35
	v_sub_nc_u32_e32 v43, 29, v35
	v_lshlrev_b64 v[11:12], v11, v[1:2]
	v_and_b32_e32 v35, 7, v11
; %bb.697:                              ;   in Loop: Header=BB276_675 Depth=1
	s_or_b32 exec_lo, exec_lo, s26
	v_lshlrev_b32_e32 v1, 8, v1
	v_lshl_add_u32 v11, v43, 10, 0x2000
	v_lshlrev_b32_e32 v12, 7, v35
	v_and_b32_e32 v1, 0x8000, v1
	v_and_b32_e32 v11, 0xfc00, v11
	v_or3_b32 v35, v1, v11, v12
.LBB276_698:                            ;   in Loop: Header=BB276_675 Depth=1
	s_or_b32 exec_lo, exec_lo, s22
.LBB276_699:                            ;   in Loop: Header=BB276_675 Depth=1
	s_or_b32 exec_lo, exec_lo, s21
.LBB276_700:                            ;   in Loop: Header=BB276_675 Depth=1
	s_or_b32 exec_lo, exec_lo, s0
	s_mov_b32 s0, exec_lo
	v_cmpx_lt_u32_e32 0xffffff, v9
	s_cbranch_execz .LBB276_708
; %bb.701:                              ;   in Loop: Header=BB276_675 Depth=1
	v_lshrrev_b32_e32 v1, 24, v9
	v_bfrev_b32_e32 v41, 1
	s_mov_b32 s21, exec_lo
	v_cmpx_ne_u32_e32 0x80, v1
	s_cbranch_execz .LBB276_707
; %bb.702:                              ;   in Loop: Header=BB276_675 Depth=1
	v_and_b32_e32 v45, 0x7f, v1
	v_mov_b32_e32 v41, 0x7c010000
	s_mov_b32 s22, exec_lo
	v_cmpx_ne_u32_e32 0x7f, v45
	s_cbranch_execz .LBB276_706
; %bb.703:                              ;   in Loop: Header=BB276_675 Depth=1
	v_and_b32_e32 v41, 7, v1
	v_lshrrev_b32_e32 v43, 3, v45
	s_mov_b32 s26, exec_lo
	v_cmpx_gt_u32_e32 8, v45
; %bb.704:                              ;   in Loop: Header=BB276_675 Depth=1
	v_ffbh_u32_e32 v11, v41
	v_min_u32_e32 v41, 32, v11
	v_subrev_nc_u32_e32 v11, 28, v41
	v_sub_nc_u32_e32 v43, 29, v41
	v_lshlrev_b64 v[11:12], v11, v[1:2]
	v_and_b32_e32 v41, 7, v11
; %bb.705:                              ;   in Loop: Header=BB276_675 Depth=1
	s_or_b32 exec_lo, exec_lo, s26
	v_lshlrev_b32_e32 v1, 8, v1
	v_lshl_add_u32 v11, v43, 10, 0x2000
	v_and_or_b32 v1, 0x8000, v1, v11
	v_lshlrev_b32_e32 v11, 23, v41
	v_lshl_or_b32 v41, v1, 16, v11
.LBB276_706:                            ;   in Loop: Header=BB276_675 Depth=1
	s_or_b32 exec_lo, exec_lo, s22
.LBB276_707:                            ;   in Loop: Header=BB276_675 Depth=1
	s_or_b32 exec_lo, exec_lo, s21
.LBB276_708:                            ;   in Loop: Header=BB276_675 Depth=1
	s_or_b32 exec_lo, exec_lo, s0
	v_mov_b32_e32 v1, v10
	v_cmp_ne_u16_sdwa s21, v10, v2 src0_sel:BYTE_0 src1_sel:DWORD
	v_mov_b32_e32 v43, 0
	v_mov_b32_e32 v45, 0
	s_and_saveexec_b32 s0, s21
	s_cbranch_execz .LBB276_716
; %bb.709:                              ;   in Loop: Header=BB276_675 Depth=1
	v_cmp_ne_u16_sdwa s22, v10, v14 src0_sel:BYTE_0 src1_sel:DWORD
	v_mov_b32_e32 v45, 0x8000
	s_and_saveexec_b32 s21, s22
	s_cbranch_execz .LBB276_715
; %bb.710:                              ;   in Loop: Header=BB276_675 Depth=1
	v_and_b32_e32 v51, 0x7f, v10
	v_mov_b32_e32 v45, 0x7c01
	s_mov_b32 s22, exec_lo
	v_cmpx_ne_u32_e32 0x7f, v51
	s_cbranch_execz .LBB276_714
; %bb.711:                              ;   in Loop: Header=BB276_675 Depth=1
	v_and_b32_e32 v45, 7, v10
	v_lshrrev_b32_e32 v47, 3, v51
	s_mov_b32 s26, exec_lo
	v_cmpx_gt_u32_e32 8, v51
; %bb.712:                              ;   in Loop: Header=BB276_675 Depth=1
	v_ffbh_u32_e32 v11, v45
	v_min_u32_e32 v45, 32, v11
	v_subrev_nc_u32_e32 v11, 28, v45
	v_sub_nc_u32_e32 v47, 29, v45
	v_lshlrev_b64 v[11:12], v11, v[1:2]
	v_and_b32_e32 v45, 7, v11
; %bb.713:                              ;   in Loop: Header=BB276_675 Depth=1
	s_or_b32 exec_lo, exec_lo, s26
	v_lshlrev_b32_e32 v11, 8, v10
	v_lshl_add_u32 v12, v47, 10, 0x2000
	v_lshlrev_b32_e32 v45, 7, v45
	v_and_b32_e32 v11, 0x8000, v11
	v_and_b32_e32 v12, 0xfc00, v12
	v_or3_b32 v45, v11, v12, v45
.LBB276_714:                            ;   in Loop: Header=BB276_675 Depth=1
	s_or_b32 exec_lo, exec_lo, s22
.LBB276_715:                            ;   in Loop: Header=BB276_675 Depth=1
	s_or_b32 exec_lo, exec_lo, s21
.LBB276_716:                            ;   in Loop: Header=BB276_675 Depth=1
	s_or_b32 exec_lo, exec_lo, s0
	v_lshrrev_b16 v1, 8, v1
	v_mov_b32_e32 v47, 0
	s_mov_b32 s0, exec_lo
	v_cmpx_ne_u16_e32 0, v1
	s_cbranch_execz .LBB276_724
; %bb.717:                              ;   in Loop: Header=BB276_675 Depth=1
	v_bfrev_b32_e32 v47, 1
	s_mov_b32 s21, exec_lo
	v_cmpx_ne_u16_e32 0x80, v1
	s_cbranch_execz .LBB276_723
; %bb.718:                              ;   in Loop: Header=BB276_675 Depth=1
	v_and_b32_sdwa v52, v1, v28 dst_sel:DWORD dst_unused:UNUSED_PAD src0_sel:WORD_0 src1_sel:DWORD
	v_mov_b32_e32 v47, 0x7c010000
	s_mov_b32 s22, exec_lo
	v_cmpx_ne_u32_e32 0x7f, v52
	s_cbranch_execz .LBB276_722
; %bb.719:                              ;   in Loop: Header=BB276_675 Depth=1
	v_and_b32_sdwa v47, v1, v29 dst_sel:DWORD dst_unused:UNUSED_PAD src0_sel:WORD_0 src1_sel:DWORD
	v_lshrrev_b32_e32 v51, 3, v52
	s_mov_b32 s26, exec_lo
	v_cmpx_gt_u32_e32 8, v52
; %bb.720:                              ;   in Loop: Header=BB276_675 Depth=1
	v_ffbh_u32_e32 v11, v47
	v_min_u32_e32 v47, 32, v11
	v_subrev_nc_u32_e32 v11, 28, v47
	v_sub_nc_u32_e32 v51, 29, v47
	v_lshlrev_b64 v[11:12], v11, v[1:2]
	v_and_b32_e32 v47, 7, v11
; %bb.721:                              ;   in Loop: Header=BB276_675 Depth=1
	s_or_b32 exec_lo, exec_lo, s26
	v_lshlrev_b32_sdwa v1, v30, v1 dst_sel:DWORD dst_unused:UNUSED_PAD src0_sel:DWORD src1_sel:WORD_0
	v_lshl_add_u32 v11, v51, 10, 0x2000
	v_and_or_b32 v1, 0x8000, v1, v11
	v_lshlrev_b32_e32 v11, 23, v47
	v_lshl_or_b32 v47, v1, 16, v11
.LBB276_722:                            ;   in Loop: Header=BB276_675 Depth=1
	s_or_b32 exec_lo, exec_lo, s22
.LBB276_723:                            ;   in Loop: Header=BB276_675 Depth=1
	s_or_b32 exec_lo, exec_lo, s21
.LBB276_724:                            ;   in Loop: Header=BB276_675 Depth=1
	s_or_b32 exec_lo, exec_lo, s0
	v_lshrrev_b32_e32 v1, 16, v10
	v_cmp_ne_u16_sdwa s21, v1, v2 src0_sel:BYTE_0 src1_sel:DWORD
	s_and_saveexec_b32 s0, s21
	s_cbranch_execz .LBB276_732
; %bb.725:                              ;   in Loop: Header=BB276_675 Depth=1
	v_cmp_ne_u16_sdwa s22, v1, v14 src0_sel:BYTE_0 src1_sel:DWORD
	v_mov_b32_e32 v43, 0x8000
	s_and_saveexec_b32 s21, s22
	s_cbranch_execz .LBB276_731
; %bb.726:                              ;   in Loop: Header=BB276_675 Depth=1
	v_bfe_u32 v52, v10, 16, 7
	v_mov_b32_e32 v43, 0x7c01
	s_mov_b32 s22, exec_lo
	v_cmpx_ne_u32_e32 0x7f, v52
	s_cbranch_execz .LBB276_730
; %bb.727:                              ;   in Loop: Header=BB276_675 Depth=1
	v_and_b32_e32 v43, 7, v1
	v_lshrrev_b32_e32 v51, 3, v52
	s_mov_b32 s26, exec_lo
	v_cmpx_gt_u32_e32 8, v52
; %bb.728:                              ;   in Loop: Header=BB276_675 Depth=1
	v_ffbh_u32_e32 v11, v43
	v_min_u32_e32 v43, 32, v11
	v_subrev_nc_u32_e32 v11, 28, v43
	v_sub_nc_u32_e32 v51, 29, v43
	v_lshlrev_b64 v[11:12], v11, v[1:2]
	v_and_b32_e32 v43, 7, v11
; %bb.729:                              ;   in Loop: Header=BB276_675 Depth=1
	s_or_b32 exec_lo, exec_lo, s26
	v_lshlrev_b32_e32 v1, 8, v1
	v_lshl_add_u32 v11, v51, 10, 0x2000
	v_lshlrev_b32_e32 v12, 7, v43
	v_and_b32_e32 v1, 0x8000, v1
	v_and_b32_e32 v11, 0xfc00, v11
	v_or3_b32 v43, v1, v11, v12
.LBB276_730:                            ;   in Loop: Header=BB276_675 Depth=1
	s_or_b32 exec_lo, exec_lo, s22
.LBB276_731:                            ;   in Loop: Header=BB276_675 Depth=1
	s_or_b32 exec_lo, exec_lo, s21
.LBB276_732:                            ;   in Loop: Header=BB276_675 Depth=1
	s_or_b32 exec_lo, exec_lo, s0
	v_cmp_lt_u64_e32 vcc_lo, s[2:3], v[9:10]
	v_mov_b32_e32 v9, 0
	s_and_saveexec_b32 s0, vcc_lo
	s_cbranch_execz .LBB276_740
; %bb.733:                              ;   in Loop: Header=BB276_675 Depth=1
	v_lshrrev_b32_e32 v1, 24, v10
	v_bfrev_b32_e32 v9, 1
	s_mov_b32 s21, exec_lo
	v_cmpx_ne_u32_e32 0x80, v1
	s_cbranch_execz .LBB276_739
; %bb.734:                              ;   in Loop: Header=BB276_675 Depth=1
	v_and_b32_e32 v51, 0x7f, v1
	v_mov_b32_e32 v9, 0x7c010000
	s_mov_b32 s22, exec_lo
	v_cmpx_ne_u32_e32 0x7f, v51
	s_cbranch_execz .LBB276_738
; %bb.735:                              ;   in Loop: Header=BB276_675 Depth=1
	v_and_b32_e32 v9, 7, v1
	v_lshrrev_b32_e32 v10, 3, v51
	s_mov_b32 s26, exec_lo
	v_cmpx_gt_u32_e32 8, v51
; %bb.736:                              ;   in Loop: Header=BB276_675 Depth=1
	v_ffbh_u32_e32 v9, v9
	v_min_u32_e32 v11, 32, v9
	v_subrev_nc_u32_e32 v9, 28, v11
	v_lshlrev_b64 v[9:10], v9, v[1:2]
	v_sub_nc_u32_e32 v10, 29, v11
	v_and_b32_e32 v9, 7, v9
; %bb.737:                              ;   in Loop: Header=BB276_675 Depth=1
	s_or_b32 exec_lo, exec_lo, s26
	v_lshlrev_b32_e32 v1, 8, v1
	v_lshl_add_u32 v10, v10, 10, 0x2000
	v_lshlrev_b32_e32 v9, 23, v9
	v_and_or_b32 v1, 0x8000, v1, v10
	v_lshl_or_b32 v9, v1, 16, v9
.LBB276_738:                            ;   in Loop: Header=BB276_675 Depth=1
	s_or_b32 exec_lo, exec_lo, s22
.LBB276_739:                            ;   in Loop: Header=BB276_675 Depth=1
	s_or_b32 exec_lo, exec_lo, s21
.LBB276_740:                            ;   in Loop: Header=BB276_675 Depth=1
	s_or_b32 exec_lo, exec_lo, s0
	v_or_b32_e32 v1, v41, v35
	v_or_b32_e32 v11, v37, v39
	v_fma_mixlo_f16 v12, v36, v37, 0 op_sel:[0,1,0] op_sel_hi:[0,1,0]
	v_or_b32_e32 v37, v47, v45
	v_or_b32_e32 v39, v9, v43
	v_fma_mixlo_f16 v1, v36, v1, 0 op_sel_hi:[0,1,0]
	v_fma_mixlo_f16 v10, v36, v41, 0 op_sel:[0,1,0] op_sel_hi:[0,1,0]
	v_lshlrev_b32_e32 v57, 16, v12
	v_fma_mixlo_f16 v12, v36, v37, 0 op_sel_hi:[0,1,0]
	v_fma_mixlo_f16 v9, v36, v9, 0 op_sel:[0,1,0] op_sel_hi:[0,1,0]
	v_and_b32_e32 v54, 0xffff, v1
	v_fma_mixlo_f16 v1, v36, v11, 0 op_sel_hi:[0,1,0]
	v_fma_mixlo_f16 v11, v36, v47, 0 op_sel:[0,1,0] op_sel_hi:[0,1,0]
	v_fma_mixlo_f16 v36, v36, v39, 0 op_sel_hi:[0,1,0]
	v_add_nc_u32_e32 v35, v31, v13
	v_lshlrev_b32_e32 v10, 16, v10
	v_and_b32_e32 v59, 0xffff, v1
	v_lshlrev_b32_e32 v55, 16, v11
	v_and_b32_e32 v58, 0xffff, v12
	;; [unrolled: 2-line block ×3, first 2 shown]
	v_cmp_eq_u32_e32 vcc_lo, s13, v34
	v_or_b32_e32 v1, v10, v54
	v_or_b32_e32 v9, v57, v59
	;; [unrolled: 1-line block ×4, first 2 shown]
	v_add_nc_u32_e32 v47, 1, v35
	v_add_nc_u32_e32 v45, 2, v35
	;; [unrolled: 1-line block ×7, first 2 shown]
	s_and_saveexec_b32 s21, vcc_lo
	s_cbranch_execz .LBB276_742
; %bb.741:                              ;   in Loop: Header=BB276_675 Depth=1
	v_cmp_gt_i32_e64 s0, s33, v35
	v_cndmask_b32_e64 v1, 0, v59, s0
	v_cmp_gt_i32_e64 s0, s33, v47
	v_cndmask_b32_e64 v9, 0, v57, s0
	v_cmp_gt_i32_e64 s0, s33, v45
	v_or_b32_e32 v9, v9, v1
	v_cndmask_b32_e64 v11, 0, v54, s0
	v_cmp_gt_i32_e64 s0, s33, v43
	v_cndmask_b32_e64 v10, 0, v10, s0
	v_cmp_gt_i32_e64 s0, s33, v41
	v_or_b32_e32 v1, v10, v11
	;; [unrolled: 5-line block ×3, first 2 shown]
	v_cndmask_b32_e64 v53, 0, v56, s0
	v_cmp_gt_i32_e64 s0, s33, v36
	v_cndmask_b32_e64 v52, 0, v52, s0
	v_or_b32_e32 v53, v52, v53
.LBB276_742:                            ;   in Loop: Header=BB276_675 Depth=1
	s_or_b32 exec_lo, exec_lo, s21
	v_and_b32_e32 v10, 0xffff, v38
	v_and_b32_e32 v11, 0xffff, v46
	;; [unrolled: 1-line block ×4, first 2 shown]
	v_mov_b32_e32 v50, 0
	v_lshl_or_b32 v48, v40, 16, v10
	v_lshl_or_b32 v46, v42, 16, v11
	;;#ASMSTART
	v_pk_mul_f16 v9, v48, v9;

	;;#ASMEND
	;;#ASMSTART
	v_pk_mul_f16 v1, v46, v1;

	;;#ASMEND
	v_lshl_or_b32 v44, v44, 16, v12
	v_lshl_or_b32 v42, v49, 16, v38
	;;#ASMSTART
	v_pk_mul_f16 v10, v44, v51;

	;;#ASMEND
	;;#ASMSTART
	v_pk_mul_f16 v11, v42, v53;

	;;#ASMEND
	;;#ASMSTART
	v_pk_add_f16 v1, v9, v1;

	;;#ASMEND
	;;#ASMSTART
	v_pk_add_f16 v1, v1, v10;
	;; [unrolled: 4-line block ×3, first 2 shown]

	;;#ASMEND
	v_and_b32_e32 v9, 0xffff, v1
	v_lshrrev_b32_e32 v1, 16, v1
	;;#ASMSTART
	v_cvt_f32_f16 v38, v9;
	;;#ASMEND
	;;#ASMSTART
	v_cvt_f32_f16 v40, v1;
	;;#ASMEND
	global_load_dwordx2 v[9:10], v[7:8], off offset:256
	global_load_dword v49, v50, s[14:15]
	v_mov_b32_e32 v51, 0
	s_waitcnt vmcnt(1)
	v_cmp_ne_u16_sdwa s0, v9, v2 src0_sel:BYTE_0 src1_sel:DWORD
	s_and_saveexec_b32 s21, s0
	s_cbranch_execz .LBB276_750
; %bb.743:                              ;   in Loop: Header=BB276_675 Depth=1
	v_cmp_ne_u16_sdwa s0, v9, v14 src0_sel:BYTE_0 src1_sel:DWORD
	v_mov_b32_e32 v51, 0x8000
	s_and_saveexec_b32 s22, s0
	s_cbranch_execz .LBB276_749
; %bb.744:                              ;   in Loop: Header=BB276_675 Depth=1
	v_and_b32_e32 v52, 0x7f, v9
	v_mov_b32_e32 v51, 0x7c01
	s_mov_b32 s26, exec_lo
	v_cmpx_ne_u32_e32 0x7f, v52
	s_cbranch_execz .LBB276_748
; %bb.745:                              ;   in Loop: Header=BB276_675 Depth=1
	v_and_b32_e32 v1, 7, v9
	v_lshrrev_b32_e32 v51, 3, v52
	s_mov_b32 s27, exec_lo
	v_cmpx_gt_u32_e32 8, v52
; %bb.746:                              ;   in Loop: Header=BB276_675 Depth=1
	v_ffbh_u32_e32 v1, v1
	v_min_u32_e32 v1, 32, v1
	v_subrev_nc_u32_e32 v11, 28, v1
	v_sub_nc_u32_e32 v51, 29, v1
	v_lshlrev_b64 v[11:12], v11, v[9:10]
	v_and_b32_e32 v1, 7, v11
; %bb.747:                              ;   in Loop: Header=BB276_675 Depth=1
	s_or_b32 exec_lo, exec_lo, s27
	v_lshlrev_b32_e32 v11, 8, v9
	v_lshl_add_u32 v12, v51, 10, 0x2000
	v_lshlrev_b32_e32 v1, 7, v1
	v_and_b32_e32 v11, 0x8000, v11
	v_and_b32_e32 v12, 0xfc00, v12
	v_or3_b32 v51, v11, v12, v1
.LBB276_748:                            ;   in Loop: Header=BB276_675 Depth=1
	s_or_b32 exec_lo, exec_lo, s26
.LBB276_749:                            ;   in Loop: Header=BB276_675 Depth=1
	s_or_b32 exec_lo, exec_lo, s22
.LBB276_750:                            ;   in Loop: Header=BB276_675 Depth=1
	s_or_b32 exec_lo, exec_lo, s21
	v_lshrrev_b16 v1, 8, v9
	s_mov_b32 s21, exec_lo
	v_cmpx_ne_u16_e32 0, v1
	s_cbranch_execz .LBB276_758
; %bb.751:                              ;   in Loop: Header=BB276_675 Depth=1
	v_bfrev_b32_e32 v50, 1
	s_mov_b32 s22, exec_lo
	v_cmpx_ne_u16_e32 0x80, v1
	s_cbranch_execz .LBB276_757
; %bb.752:                              ;   in Loop: Header=BB276_675 Depth=1
	v_and_b32_sdwa v53, v1, v28 dst_sel:DWORD dst_unused:UNUSED_PAD src0_sel:WORD_0 src1_sel:DWORD
	v_mov_b32_e32 v50, 0x7c010000
	s_mov_b32 s26, exec_lo
	v_cmpx_ne_u32_e32 0x7f, v53
	s_cbranch_execz .LBB276_756
; %bb.753:                              ;   in Loop: Header=BB276_675 Depth=1
	v_and_b32_sdwa v50, v1, v29 dst_sel:DWORD dst_unused:UNUSED_PAD src0_sel:WORD_0 src1_sel:DWORD
	v_lshrrev_b32_e32 v52, 3, v53
	s_mov_b32 s27, exec_lo
	v_cmpx_gt_u32_e32 8, v53
; %bb.754:                              ;   in Loop: Header=BB276_675 Depth=1
	v_ffbh_u32_e32 v11, v50
	v_min_u32_e32 v50, 32, v11
	v_subrev_nc_u32_e32 v11, 28, v50
	v_sub_nc_u32_e32 v52, 29, v50
	v_lshlrev_b64 v[11:12], v11, v[1:2]
	v_and_b32_e32 v50, 7, v11
; %bb.755:                              ;   in Loop: Header=BB276_675 Depth=1
	s_or_b32 exec_lo, exec_lo, s27
	v_lshlrev_b32_sdwa v1, v30, v1 dst_sel:DWORD dst_unused:UNUSED_PAD src0_sel:DWORD src1_sel:WORD_0
	v_lshl_add_u32 v11, v52, 10, 0x2000
	v_and_or_b32 v1, 0x8000, v1, v11
	v_lshlrev_b32_e32 v11, 23, v50
	v_lshl_or_b32 v50, v1, 16, v11
.LBB276_756:                            ;   in Loop: Header=BB276_675 Depth=1
	s_or_b32 exec_lo, exec_lo, s26
.LBB276_757:                            ;   in Loop: Header=BB276_675 Depth=1
	s_or_b32 exec_lo, exec_lo, s22
.LBB276_758:                            ;   in Loop: Header=BB276_675 Depth=1
	s_or_b32 exec_lo, exec_lo, s21
	v_lshrrev_b32_e32 v1, 16, v9
	v_mov_b32_e32 v52, 0
	v_mov_b32_e32 v53, 0
	v_cmp_ne_u16_sdwa s0, v1, v2 src0_sel:BYTE_0 src1_sel:DWORD
	s_and_saveexec_b32 s21, s0
	s_cbranch_execz .LBB276_766
; %bb.759:                              ;   in Loop: Header=BB276_675 Depth=1
	v_cmp_ne_u16_sdwa s0, v1, v14 src0_sel:BYTE_0 src1_sel:DWORD
	v_mov_b32_e32 v53, 0x8000
	s_and_saveexec_b32 s22, s0
	s_cbranch_execz .LBB276_765
; %bb.760:                              ;   in Loop: Header=BB276_675 Depth=1
	v_bfe_u32 v55, v9, 16, 7
	v_mov_b32_e32 v53, 0x7c01
	s_mov_b32 s26, exec_lo
	v_cmpx_ne_u32_e32 0x7f, v55
	s_cbranch_execz .LBB276_764
; %bb.761:                              ;   in Loop: Header=BB276_675 Depth=1
	v_and_b32_e32 v53, 7, v1
	v_lshrrev_b32_e32 v54, 3, v55
	s_mov_b32 s27, exec_lo
	v_cmpx_gt_u32_e32 8, v55
; %bb.762:                              ;   in Loop: Header=BB276_675 Depth=1
	v_ffbh_u32_e32 v11, v53
	v_min_u32_e32 v53, 32, v11
	v_subrev_nc_u32_e32 v11, 28, v53
	v_sub_nc_u32_e32 v54, 29, v53
	v_lshlrev_b64 v[11:12], v11, v[1:2]
	v_and_b32_e32 v53, 7, v11
; %bb.763:                              ;   in Loop: Header=BB276_675 Depth=1
	s_or_b32 exec_lo, exec_lo, s27
	v_lshlrev_b32_e32 v1, 8, v1
	v_lshl_add_u32 v11, v54, 10, 0x2000
	v_lshlrev_b32_e32 v12, 7, v53
	v_and_b32_e32 v1, 0x8000, v1
	v_and_b32_e32 v11, 0xfc00, v11
	v_or3_b32 v53, v1, v11, v12
.LBB276_764:                            ;   in Loop: Header=BB276_675 Depth=1
	s_or_b32 exec_lo, exec_lo, s26
.LBB276_765:                            ;   in Loop: Header=BB276_675 Depth=1
	s_or_b32 exec_lo, exec_lo, s22
.LBB276_766:                            ;   in Loop: Header=BB276_675 Depth=1
	s_or_b32 exec_lo, exec_lo, s21
	s_mov_b32 s21, exec_lo
	v_cmpx_lt_u32_e32 0xffffff, v9
	s_cbranch_execz .LBB276_774
; %bb.767:                              ;   in Loop: Header=BB276_675 Depth=1
	v_lshrrev_b32_e32 v1, 24, v9
	v_bfrev_b32_e32 v52, 1
	s_mov_b32 s22, exec_lo
	v_cmpx_ne_u32_e32 0x80, v1
	s_cbranch_execz .LBB276_773
; %bb.768:                              ;   in Loop: Header=BB276_675 Depth=1
	v_and_b32_e32 v55, 0x7f, v1
	v_mov_b32_e32 v52, 0x7c010000
	s_mov_b32 s26, exec_lo
	v_cmpx_ne_u32_e32 0x7f, v55
	s_cbranch_execz .LBB276_772
; %bb.769:                              ;   in Loop: Header=BB276_675 Depth=1
	v_and_b32_e32 v52, 7, v1
	v_lshrrev_b32_e32 v54, 3, v55
	s_mov_b32 s27, exec_lo
	v_cmpx_gt_u32_e32 8, v55
; %bb.770:                              ;   in Loop: Header=BB276_675 Depth=1
	v_ffbh_u32_e32 v11, v52
	v_min_u32_e32 v52, 32, v11
	v_subrev_nc_u32_e32 v11, 28, v52
	v_sub_nc_u32_e32 v54, 29, v52
	v_lshlrev_b64 v[11:12], v11, v[1:2]
	v_and_b32_e32 v52, 7, v11
; %bb.771:                              ;   in Loop: Header=BB276_675 Depth=1
	s_or_b32 exec_lo, exec_lo, s27
	v_lshlrev_b32_e32 v1, 8, v1
	v_lshl_add_u32 v11, v54, 10, 0x2000
	v_and_or_b32 v1, 0x8000, v1, v11
	v_lshlrev_b32_e32 v11, 23, v52
	v_lshl_or_b32 v52, v1, 16, v11
.LBB276_772:                            ;   in Loop: Header=BB276_675 Depth=1
	s_or_b32 exec_lo, exec_lo, s26
.LBB276_773:                            ;   in Loop: Header=BB276_675 Depth=1
	s_or_b32 exec_lo, exec_lo, s22
.LBB276_774:                            ;   in Loop: Header=BB276_675 Depth=1
	s_or_b32 exec_lo, exec_lo, s21
	v_mov_b32_e32 v1, v10
	v_cmp_ne_u16_sdwa s0, v10, v2 src0_sel:BYTE_0 src1_sel:DWORD
	v_mov_b32_e32 v54, 0
	v_mov_b32_e32 v55, 0
	s_and_saveexec_b32 s21, s0
	s_cbranch_execz .LBB276_782
; %bb.775:                              ;   in Loop: Header=BB276_675 Depth=1
	v_cmp_ne_u16_sdwa s0, v10, v14 src0_sel:BYTE_0 src1_sel:DWORD
	v_mov_b32_e32 v55, 0x8000
	s_and_saveexec_b32 s22, s0
	s_cbranch_execz .LBB276_781
; %bb.776:                              ;   in Loop: Header=BB276_675 Depth=1
	v_and_b32_e32 v57, 0x7f, v10
	v_mov_b32_e32 v55, 0x7c01
	s_mov_b32 s26, exec_lo
	v_cmpx_ne_u32_e32 0x7f, v57
	s_cbranch_execz .LBB276_780
; %bb.777:                              ;   in Loop: Header=BB276_675 Depth=1
	v_and_b32_e32 v55, 7, v10
	v_lshrrev_b32_e32 v56, 3, v57
	s_mov_b32 s27, exec_lo
	v_cmpx_gt_u32_e32 8, v57
; %bb.778:                              ;   in Loop: Header=BB276_675 Depth=1
	v_ffbh_u32_e32 v11, v55
	v_min_u32_e32 v55, 32, v11
	v_subrev_nc_u32_e32 v11, 28, v55
	v_sub_nc_u32_e32 v56, 29, v55
	v_lshlrev_b64 v[11:12], v11, v[1:2]
	v_and_b32_e32 v55, 7, v11
; %bb.779:                              ;   in Loop: Header=BB276_675 Depth=1
	s_or_b32 exec_lo, exec_lo, s27
	v_lshlrev_b32_e32 v11, 8, v10
	v_lshl_add_u32 v12, v56, 10, 0x2000
	v_lshlrev_b32_e32 v55, 7, v55
	v_and_b32_e32 v11, 0x8000, v11
	v_and_b32_e32 v12, 0xfc00, v12
	v_or3_b32 v55, v11, v12, v55
.LBB276_780:                            ;   in Loop: Header=BB276_675 Depth=1
	s_or_b32 exec_lo, exec_lo, s26
.LBB276_781:                            ;   in Loop: Header=BB276_675 Depth=1
	s_or_b32 exec_lo, exec_lo, s22
.LBB276_782:                            ;   in Loop: Header=BB276_675 Depth=1
	s_or_b32 exec_lo, exec_lo, s21
	v_lshrrev_b16 v1, 8, v1
	v_mov_b32_e32 v56, 0
	s_mov_b32 s21, exec_lo
	v_cmpx_ne_u16_e32 0, v1
	s_cbranch_execz .LBB276_790
; %bb.783:                              ;   in Loop: Header=BB276_675 Depth=1
	v_bfrev_b32_e32 v56, 1
	s_mov_b32 s22, exec_lo
	v_cmpx_ne_u16_e32 0x80, v1
	s_cbranch_execz .LBB276_789
; %bb.784:                              ;   in Loop: Header=BB276_675 Depth=1
	v_and_b32_sdwa v58, v1, v28 dst_sel:DWORD dst_unused:UNUSED_PAD src0_sel:WORD_0 src1_sel:DWORD
	v_mov_b32_e32 v56, 0x7c010000
	s_mov_b32 s26, exec_lo
	v_cmpx_ne_u32_e32 0x7f, v58
	s_cbranch_execz .LBB276_788
; %bb.785:                              ;   in Loop: Header=BB276_675 Depth=1
	v_and_b32_sdwa v56, v1, v29 dst_sel:DWORD dst_unused:UNUSED_PAD src0_sel:WORD_0 src1_sel:DWORD
	v_lshrrev_b32_e32 v57, 3, v58
	s_mov_b32 s27, exec_lo
	v_cmpx_gt_u32_e32 8, v58
; %bb.786:                              ;   in Loop: Header=BB276_675 Depth=1
	v_ffbh_u32_e32 v11, v56
	v_min_u32_e32 v56, 32, v11
	v_subrev_nc_u32_e32 v11, 28, v56
	v_sub_nc_u32_e32 v57, 29, v56
	v_lshlrev_b64 v[11:12], v11, v[1:2]
	v_and_b32_e32 v56, 7, v11
; %bb.787:                              ;   in Loop: Header=BB276_675 Depth=1
	s_or_b32 exec_lo, exec_lo, s27
	v_lshlrev_b32_sdwa v1, v30, v1 dst_sel:DWORD dst_unused:UNUSED_PAD src0_sel:DWORD src1_sel:WORD_0
	v_lshl_add_u32 v11, v57, 10, 0x2000
	v_and_or_b32 v1, 0x8000, v1, v11
	v_lshlrev_b32_e32 v11, 23, v56
	v_lshl_or_b32 v56, v1, 16, v11
.LBB276_788:                            ;   in Loop: Header=BB276_675 Depth=1
	s_or_b32 exec_lo, exec_lo, s26
.LBB276_789:                            ;   in Loop: Header=BB276_675 Depth=1
	s_or_b32 exec_lo, exec_lo, s22
.LBB276_790:                            ;   in Loop: Header=BB276_675 Depth=1
	s_or_b32 exec_lo, exec_lo, s21
	v_lshrrev_b32_e32 v1, 16, v10
	v_cmp_ne_u16_sdwa s0, v1, v2 src0_sel:BYTE_0 src1_sel:DWORD
	s_and_saveexec_b32 s21, s0
	s_cbranch_execz .LBB276_798
; %bb.791:                              ;   in Loop: Header=BB276_675 Depth=1
	v_cmp_ne_u16_sdwa s0, v1, v14 src0_sel:BYTE_0 src1_sel:DWORD
	v_mov_b32_e32 v54, 0x8000
	s_and_saveexec_b32 s22, s0
	s_cbranch_execz .LBB276_797
; %bb.792:                              ;   in Loop: Header=BB276_675 Depth=1
	v_bfe_u32 v58, v10, 16, 7
	v_mov_b32_e32 v54, 0x7c01
	s_mov_b32 s26, exec_lo
	v_cmpx_ne_u32_e32 0x7f, v58
	s_cbranch_execz .LBB276_796
; %bb.793:                              ;   in Loop: Header=BB276_675 Depth=1
	v_and_b32_e32 v54, 7, v1
	v_lshrrev_b32_e32 v57, 3, v58
	s_mov_b32 s27, exec_lo
	v_cmpx_gt_u32_e32 8, v58
; %bb.794:                              ;   in Loop: Header=BB276_675 Depth=1
	v_ffbh_u32_e32 v11, v54
	v_min_u32_e32 v54, 32, v11
	v_subrev_nc_u32_e32 v11, 28, v54
	v_sub_nc_u32_e32 v57, 29, v54
	v_lshlrev_b64 v[11:12], v11, v[1:2]
	v_and_b32_e32 v54, 7, v11
; %bb.795:                              ;   in Loop: Header=BB276_675 Depth=1
	s_or_b32 exec_lo, exec_lo, s27
	v_lshlrev_b32_e32 v1, 8, v1
	v_lshl_add_u32 v11, v57, 10, 0x2000
	v_lshlrev_b32_e32 v12, 7, v54
	v_and_b32_e32 v1, 0x8000, v1
	v_and_b32_e32 v11, 0xfc00, v11
	v_or3_b32 v54, v1, v11, v12
.LBB276_796:                            ;   in Loop: Header=BB276_675 Depth=1
	s_or_b32 exec_lo, exec_lo, s26
.LBB276_797:                            ;   in Loop: Header=BB276_675 Depth=1
	s_or_b32 exec_lo, exec_lo, s22
.LBB276_798:                            ;   in Loop: Header=BB276_675 Depth=1
	s_or_b32 exec_lo, exec_lo, s21
	v_cmp_lt_u64_e64 s0, s[2:3], v[9:10]
	v_mov_b32_e32 v9, 0
	s_and_saveexec_b32 s21, s0
	s_cbranch_execz .LBB276_806
; %bb.799:                              ;   in Loop: Header=BB276_675 Depth=1
	v_lshrrev_b32_e32 v1, 24, v10
	v_bfrev_b32_e32 v9, 1
	s_mov_b32 s22, exec_lo
	v_cmpx_ne_u32_e32 0x80, v1
	s_cbranch_execz .LBB276_805
; %bb.800:                              ;   in Loop: Header=BB276_675 Depth=1
	v_and_b32_e32 v57, 0x7f, v1
	v_mov_b32_e32 v9, 0x7c010000
	s_mov_b32 s26, exec_lo
	v_cmpx_ne_u32_e32 0x7f, v57
	s_cbranch_execz .LBB276_804
; %bb.801:                              ;   in Loop: Header=BB276_675 Depth=1
	v_and_b32_e32 v9, 7, v1
	v_lshrrev_b32_e32 v10, 3, v57
	s_mov_b32 s27, exec_lo
	v_cmpx_gt_u32_e32 8, v57
; %bb.802:                              ;   in Loop: Header=BB276_675 Depth=1
	v_ffbh_u32_e32 v9, v9
	v_min_u32_e32 v11, 32, v9
	v_subrev_nc_u32_e32 v9, 28, v11
	v_lshlrev_b64 v[9:10], v9, v[1:2]
	v_sub_nc_u32_e32 v10, 29, v11
	v_and_b32_e32 v9, 7, v9
; %bb.803:                              ;   in Loop: Header=BB276_675 Depth=1
	s_or_b32 exec_lo, exec_lo, s27
	v_lshlrev_b32_e32 v1, 8, v1
	v_lshl_add_u32 v10, v10, 10, 0x2000
	v_lshlrev_b32_e32 v9, 23, v9
	v_and_or_b32 v1, 0x8000, v1, v10
	v_lshl_or_b32 v9, v1, 16, v9
.LBB276_804:                            ;   in Loop: Header=BB276_675 Depth=1
	s_or_b32 exec_lo, exec_lo, s26
.LBB276_805:                            ;   in Loop: Header=BB276_675 Depth=1
	s_or_b32 exec_lo, exec_lo, s22
.LBB276_806:                            ;   in Loop: Header=BB276_675 Depth=1
	s_or_b32 exec_lo, exec_lo, s21
	v_or_b32_e32 v1, v52, v53
	s_waitcnt vmcnt(0)
	v_fma_mixlo_f16 v10, v49, v52, 0 op_sel:[0,1,0] op_sel_hi:[0,1,0]
	v_or_b32_e32 v11, v50, v51
	v_fma_mixlo_f16 v12, v49, v50, 0 op_sel:[0,1,0] op_sel_hi:[0,1,0]
	v_or_b32_e32 v50, v56, v55
	v_fma_mixlo_f16 v52, v49, v1, 0 op_sel_hi:[0,1,0]
	v_or_b32_e32 v53, v9, v54
	v_lshlrev_b32_e32 v1, 16, v10
	v_lshlrev_b32_e32 v51, 16, v12
	v_fma_mixlo_f16 v11, v49, v11, 0 op_sel_hi:[0,1,0]
	v_and_b32_e32 v10, 0xffff, v52
	v_fma_mixlo_f16 v12, v49, v56, 0 op_sel:[0,1,0] op_sel_hi:[0,1,0]
	v_fma_mixlo_f16 v50, v49, v50, 0 op_sel_hi:[0,1,0]
	v_fma_mixlo_f16 v9, v49, v9, 0 op_sel:[0,1,0] op_sel_hi:[0,1,0]
	v_fma_mixlo_f16 v52, v49, v53, 0 op_sel_hi:[0,1,0]
	v_and_b32_e32 v57, 0xffff, v11
	v_lshlrev_b32_e32 v49, 16, v12
	v_and_b32_e32 v53, 0xffff, v50
	v_lshlrev_b32_e32 v9, 16, v9
	v_and_b32_e32 v50, 0xffff, v52
	v_or_b32_e32 v52, v1, v10
	v_or_b32_e32 v56, v51, v57
	;; [unrolled: 1-line block ×4, first 2 shown]
	s_and_saveexec_b32 s21, vcc_lo
	s_cbranch_execz .LBB276_808
; %bb.807:                              ;   in Loop: Header=BB276_675 Depth=1
	v_cmp_gt_i32_e64 s0, s33, v35
	v_cndmask_b32_e64 v11, 0, v57, s0
	v_cmp_gt_i32_e64 s0, s33, v47
	v_cndmask_b32_e64 v12, 0, v51, s0
	v_cmp_gt_i32_e64 s0, s33, v45
	v_or_b32_e32 v56, v12, v11
	v_cndmask_b32_e64 v10, 0, v10, s0
	v_cmp_gt_i32_e64 s0, s33, v43
	v_cndmask_b32_e64 v1, 0, v1, s0
	v_cmp_gt_i32_e64 s0, s33, v41
	v_or_b32_e32 v52, v1, v10
	;; [unrolled: 5-line block ×3, first 2 shown]
	v_cndmask_b32_e64 v50, 0, v50, s0
	v_cmp_gt_i32_e64 s0, s33, v36
	v_cndmask_b32_e64 v9, 0, v9, s0
	v_or_b32_e32 v54, v9, v50
.LBB276_808:                            ;   in Loop: Header=BB276_675 Depth=1
	s_or_b32 exec_lo, exec_lo, s21
	;;#ASMSTART
	v_pk_mul_f16 v1, v48, v56;

	;;#ASMEND
	;;#ASMSTART
	v_pk_mul_f16 v9, v46, v52;

	;;#ASMEND
	;; [unrolled: 4-line block ×4, first 2 shown]
	;;#ASMSTART
	v_pk_add_f16 v1, v1, v9;

	;;#ASMEND
	;;#ASMSTART
	v_pk_add_f16 v1, v1, v10;

	;;#ASMEND
	;; [unrolled: 4-line block ×3, first 2 shown]
	v_and_b32_e32 v9, 0xffff, v1
	v_lshrrev_b32_e32 v1, 16, v1
	;;#ASMSTART
	v_cvt_f32_f16 v49, v9;
	;;#ASMEND
	;;#ASMSTART
	v_cvt_f32_f16 v50, v1;
	;;#ASMEND
	global_load_dwordx2 v[9:10], v[7:8], off offset:512
	v_mov_b32_e32 v52, 0
	v_mov_b32_e32 v53, 0
	global_load_dword v51, v52, s[14:15]
	s_waitcnt vmcnt(1)
	v_cmp_ne_u16_sdwa s0, v9, v2 src0_sel:BYTE_0 src1_sel:DWORD
	s_and_saveexec_b32 s21, s0
	s_cbranch_execz .LBB276_816
; %bb.809:                              ;   in Loop: Header=BB276_675 Depth=1
	v_cmp_ne_u16_sdwa s0, v9, v14 src0_sel:BYTE_0 src1_sel:DWORD
	v_mov_b32_e32 v53, 0x8000
	s_and_saveexec_b32 s22, s0
	s_cbranch_execz .LBB276_815
; %bb.810:                              ;   in Loop: Header=BB276_675 Depth=1
	v_and_b32_e32 v54, 0x7f, v9
	v_mov_b32_e32 v53, 0x7c01
	s_mov_b32 s26, exec_lo
	v_cmpx_ne_u32_e32 0x7f, v54
	s_cbranch_execz .LBB276_814
; %bb.811:                              ;   in Loop: Header=BB276_675 Depth=1
	v_and_b32_e32 v1, 7, v9
	v_lshrrev_b32_e32 v53, 3, v54
	s_mov_b32 s27, exec_lo
	v_cmpx_gt_u32_e32 8, v54
; %bb.812:                              ;   in Loop: Header=BB276_675 Depth=1
	v_ffbh_u32_e32 v1, v1
	v_min_u32_e32 v1, 32, v1
	v_subrev_nc_u32_e32 v11, 28, v1
	v_sub_nc_u32_e32 v53, 29, v1
	v_lshlrev_b64 v[11:12], v11, v[9:10]
	v_and_b32_e32 v1, 7, v11
; %bb.813:                              ;   in Loop: Header=BB276_675 Depth=1
	s_or_b32 exec_lo, exec_lo, s27
	v_lshlrev_b32_e32 v11, 8, v9
	v_lshl_add_u32 v12, v53, 10, 0x2000
	v_lshlrev_b32_e32 v1, 7, v1
	v_and_b32_e32 v11, 0x8000, v11
	v_and_b32_e32 v12, 0xfc00, v12
	v_or3_b32 v53, v11, v12, v1
.LBB276_814:                            ;   in Loop: Header=BB276_675 Depth=1
	s_or_b32 exec_lo, exec_lo, s26
.LBB276_815:                            ;   in Loop: Header=BB276_675 Depth=1
	s_or_b32 exec_lo, exec_lo, s22
.LBB276_816:                            ;   in Loop: Header=BB276_675 Depth=1
	s_or_b32 exec_lo, exec_lo, s21
	v_lshrrev_b16 v1, 8, v9
	s_mov_b32 s21, exec_lo
	v_cmpx_ne_u16_e32 0, v1
	s_cbranch_execz .LBB276_824
; %bb.817:                              ;   in Loop: Header=BB276_675 Depth=1
	v_bfrev_b32_e32 v52, 1
	s_mov_b32 s22, exec_lo
	v_cmpx_ne_u16_e32 0x80, v1
	s_cbranch_execz .LBB276_823
; %bb.818:                              ;   in Loop: Header=BB276_675 Depth=1
	v_and_b32_sdwa v55, v1, v28 dst_sel:DWORD dst_unused:UNUSED_PAD src0_sel:WORD_0 src1_sel:DWORD
	v_mov_b32_e32 v52, 0x7c010000
	s_mov_b32 s26, exec_lo
	v_cmpx_ne_u32_e32 0x7f, v55
	s_cbranch_execz .LBB276_822
; %bb.819:                              ;   in Loop: Header=BB276_675 Depth=1
	v_and_b32_sdwa v52, v1, v29 dst_sel:DWORD dst_unused:UNUSED_PAD src0_sel:WORD_0 src1_sel:DWORD
	v_lshrrev_b32_e32 v54, 3, v55
	s_mov_b32 s27, exec_lo
	v_cmpx_gt_u32_e32 8, v55
; %bb.820:                              ;   in Loop: Header=BB276_675 Depth=1
	v_ffbh_u32_e32 v11, v52
	v_min_u32_e32 v52, 32, v11
	v_subrev_nc_u32_e32 v11, 28, v52
	v_sub_nc_u32_e32 v54, 29, v52
	v_lshlrev_b64 v[11:12], v11, v[1:2]
	v_and_b32_e32 v52, 7, v11
; %bb.821:                              ;   in Loop: Header=BB276_675 Depth=1
	s_or_b32 exec_lo, exec_lo, s27
	v_lshlrev_b32_sdwa v1, v30, v1 dst_sel:DWORD dst_unused:UNUSED_PAD src0_sel:DWORD src1_sel:WORD_0
	v_lshl_add_u32 v11, v54, 10, 0x2000
	v_and_or_b32 v1, 0x8000, v1, v11
	v_lshlrev_b32_e32 v11, 23, v52
	v_lshl_or_b32 v52, v1, 16, v11
.LBB276_822:                            ;   in Loop: Header=BB276_675 Depth=1
	s_or_b32 exec_lo, exec_lo, s26
.LBB276_823:                            ;   in Loop: Header=BB276_675 Depth=1
	s_or_b32 exec_lo, exec_lo, s22
.LBB276_824:                            ;   in Loop: Header=BB276_675 Depth=1
	s_or_b32 exec_lo, exec_lo, s21
	v_lshrrev_b32_e32 v1, 16, v9
	v_mov_b32_e32 v54, 0
	v_mov_b32_e32 v55, 0
	v_cmp_ne_u16_sdwa s0, v1, v2 src0_sel:BYTE_0 src1_sel:DWORD
	s_and_saveexec_b32 s21, s0
	s_cbranch_execz .LBB276_832
; %bb.825:                              ;   in Loop: Header=BB276_675 Depth=1
	v_cmp_ne_u16_sdwa s0, v1, v14 src0_sel:BYTE_0 src1_sel:DWORD
	v_mov_b32_e32 v55, 0x8000
	s_and_saveexec_b32 s22, s0
	s_cbranch_execz .LBB276_831
; %bb.826:                              ;   in Loop: Header=BB276_675 Depth=1
	v_bfe_u32 v57, v9, 16, 7
	v_mov_b32_e32 v55, 0x7c01
	s_mov_b32 s26, exec_lo
	v_cmpx_ne_u32_e32 0x7f, v57
	s_cbranch_execz .LBB276_830
; %bb.827:                              ;   in Loop: Header=BB276_675 Depth=1
	v_and_b32_e32 v55, 7, v1
	v_lshrrev_b32_e32 v56, 3, v57
	s_mov_b32 s27, exec_lo
	v_cmpx_gt_u32_e32 8, v57
; %bb.828:                              ;   in Loop: Header=BB276_675 Depth=1
	v_ffbh_u32_e32 v11, v55
	v_min_u32_e32 v55, 32, v11
	v_subrev_nc_u32_e32 v11, 28, v55
	v_sub_nc_u32_e32 v56, 29, v55
	v_lshlrev_b64 v[11:12], v11, v[1:2]
	v_and_b32_e32 v55, 7, v11
; %bb.829:                              ;   in Loop: Header=BB276_675 Depth=1
	s_or_b32 exec_lo, exec_lo, s27
	v_lshlrev_b32_e32 v1, 8, v1
	v_lshl_add_u32 v11, v56, 10, 0x2000
	v_lshlrev_b32_e32 v12, 7, v55
	v_and_b32_e32 v1, 0x8000, v1
	v_and_b32_e32 v11, 0xfc00, v11
	v_or3_b32 v55, v1, v11, v12
.LBB276_830:                            ;   in Loop: Header=BB276_675 Depth=1
	s_or_b32 exec_lo, exec_lo, s26
.LBB276_831:                            ;   in Loop: Header=BB276_675 Depth=1
	s_or_b32 exec_lo, exec_lo, s22
.LBB276_832:                            ;   in Loop: Header=BB276_675 Depth=1
	s_or_b32 exec_lo, exec_lo, s21
	s_mov_b32 s21, exec_lo
	v_cmpx_lt_u32_e32 0xffffff, v9
	s_cbranch_execz .LBB276_840
; %bb.833:                              ;   in Loop: Header=BB276_675 Depth=1
	v_lshrrev_b32_e32 v1, 24, v9
	v_bfrev_b32_e32 v54, 1
	s_mov_b32 s22, exec_lo
	v_cmpx_ne_u32_e32 0x80, v1
	s_cbranch_execz .LBB276_839
; %bb.834:                              ;   in Loop: Header=BB276_675 Depth=1
	v_and_b32_e32 v57, 0x7f, v1
	v_mov_b32_e32 v54, 0x7c010000
	s_mov_b32 s26, exec_lo
	v_cmpx_ne_u32_e32 0x7f, v57
	s_cbranch_execz .LBB276_838
; %bb.835:                              ;   in Loop: Header=BB276_675 Depth=1
	v_and_b32_e32 v54, 7, v1
	v_lshrrev_b32_e32 v56, 3, v57
	s_mov_b32 s27, exec_lo
	v_cmpx_gt_u32_e32 8, v57
; %bb.836:                              ;   in Loop: Header=BB276_675 Depth=1
	v_ffbh_u32_e32 v11, v54
	v_min_u32_e32 v54, 32, v11
	v_subrev_nc_u32_e32 v11, 28, v54
	v_sub_nc_u32_e32 v56, 29, v54
	v_lshlrev_b64 v[11:12], v11, v[1:2]
	v_and_b32_e32 v54, 7, v11
; %bb.837:                              ;   in Loop: Header=BB276_675 Depth=1
	s_or_b32 exec_lo, exec_lo, s27
	v_lshlrev_b32_e32 v1, 8, v1
	v_lshl_add_u32 v11, v56, 10, 0x2000
	v_and_or_b32 v1, 0x8000, v1, v11
	v_lshlrev_b32_e32 v11, 23, v54
	v_lshl_or_b32 v54, v1, 16, v11
.LBB276_838:                            ;   in Loop: Header=BB276_675 Depth=1
	s_or_b32 exec_lo, exec_lo, s26
.LBB276_839:                            ;   in Loop: Header=BB276_675 Depth=1
	s_or_b32 exec_lo, exec_lo, s22
.LBB276_840:                            ;   in Loop: Header=BB276_675 Depth=1
	s_or_b32 exec_lo, exec_lo, s21
	v_mov_b32_e32 v1, v10
	v_cmp_ne_u16_sdwa s0, v10, v2 src0_sel:BYTE_0 src1_sel:DWORD
	v_mov_b32_e32 v56, 0
	v_mov_b32_e32 v57, 0
	s_and_saveexec_b32 s21, s0
	s_cbranch_execz .LBB276_848
; %bb.841:                              ;   in Loop: Header=BB276_675 Depth=1
	v_cmp_ne_u16_sdwa s0, v10, v14 src0_sel:BYTE_0 src1_sel:DWORD
	v_mov_b32_e32 v57, 0x8000
	s_and_saveexec_b32 s22, s0
	s_cbranch_execz .LBB276_847
; %bb.842:                              ;   in Loop: Header=BB276_675 Depth=1
	v_and_b32_e32 v59, 0x7f, v10
	v_mov_b32_e32 v57, 0x7c01
	s_mov_b32 s26, exec_lo
	v_cmpx_ne_u32_e32 0x7f, v59
	s_cbranch_execz .LBB276_846
; %bb.843:                              ;   in Loop: Header=BB276_675 Depth=1
	v_and_b32_e32 v57, 7, v10
	v_lshrrev_b32_e32 v58, 3, v59
	s_mov_b32 s27, exec_lo
	v_cmpx_gt_u32_e32 8, v59
; %bb.844:                              ;   in Loop: Header=BB276_675 Depth=1
	v_ffbh_u32_e32 v11, v57
	v_min_u32_e32 v57, 32, v11
	v_subrev_nc_u32_e32 v11, 28, v57
	v_sub_nc_u32_e32 v58, 29, v57
	v_lshlrev_b64 v[11:12], v11, v[1:2]
	v_and_b32_e32 v57, 7, v11
; %bb.845:                              ;   in Loop: Header=BB276_675 Depth=1
	s_or_b32 exec_lo, exec_lo, s27
	v_lshlrev_b32_e32 v11, 8, v10
	v_lshl_add_u32 v12, v58, 10, 0x2000
	v_lshlrev_b32_e32 v57, 7, v57
	v_and_b32_e32 v11, 0x8000, v11
	v_and_b32_e32 v12, 0xfc00, v12
	v_or3_b32 v57, v11, v12, v57
.LBB276_846:                            ;   in Loop: Header=BB276_675 Depth=1
	s_or_b32 exec_lo, exec_lo, s26
.LBB276_847:                            ;   in Loop: Header=BB276_675 Depth=1
	s_or_b32 exec_lo, exec_lo, s22
.LBB276_848:                            ;   in Loop: Header=BB276_675 Depth=1
	s_or_b32 exec_lo, exec_lo, s21
	v_lshrrev_b16 v1, 8, v1
	v_mov_b32_e32 v58, 0
	s_mov_b32 s21, exec_lo
	v_cmpx_ne_u16_e32 0, v1
	s_cbranch_execz .LBB276_856
; %bb.849:                              ;   in Loop: Header=BB276_675 Depth=1
	v_bfrev_b32_e32 v58, 1
	s_mov_b32 s22, exec_lo
	v_cmpx_ne_u16_e32 0x80, v1
	s_cbranch_execz .LBB276_855
; %bb.850:                              ;   in Loop: Header=BB276_675 Depth=1
	v_and_b32_sdwa v60, v1, v28 dst_sel:DWORD dst_unused:UNUSED_PAD src0_sel:WORD_0 src1_sel:DWORD
	v_mov_b32_e32 v58, 0x7c010000
	s_mov_b32 s26, exec_lo
	v_cmpx_ne_u32_e32 0x7f, v60
	s_cbranch_execz .LBB276_854
; %bb.851:                              ;   in Loop: Header=BB276_675 Depth=1
	v_and_b32_sdwa v58, v1, v29 dst_sel:DWORD dst_unused:UNUSED_PAD src0_sel:WORD_0 src1_sel:DWORD
	v_lshrrev_b32_e32 v59, 3, v60
	s_mov_b32 s27, exec_lo
	v_cmpx_gt_u32_e32 8, v60
; %bb.852:                              ;   in Loop: Header=BB276_675 Depth=1
	v_ffbh_u32_e32 v11, v58
	v_min_u32_e32 v58, 32, v11
	v_subrev_nc_u32_e32 v11, 28, v58
	v_sub_nc_u32_e32 v59, 29, v58
	v_lshlrev_b64 v[11:12], v11, v[1:2]
	v_and_b32_e32 v58, 7, v11
; %bb.853:                              ;   in Loop: Header=BB276_675 Depth=1
	s_or_b32 exec_lo, exec_lo, s27
	v_lshlrev_b32_sdwa v1, v30, v1 dst_sel:DWORD dst_unused:UNUSED_PAD src0_sel:DWORD src1_sel:WORD_0
	v_lshl_add_u32 v11, v59, 10, 0x2000
	v_and_or_b32 v1, 0x8000, v1, v11
	v_lshlrev_b32_e32 v11, 23, v58
	v_lshl_or_b32 v58, v1, 16, v11
.LBB276_854:                            ;   in Loop: Header=BB276_675 Depth=1
	s_or_b32 exec_lo, exec_lo, s26
.LBB276_855:                            ;   in Loop: Header=BB276_675 Depth=1
	s_or_b32 exec_lo, exec_lo, s22
.LBB276_856:                            ;   in Loop: Header=BB276_675 Depth=1
	s_or_b32 exec_lo, exec_lo, s21
	v_lshrrev_b32_e32 v1, 16, v10
	v_cmp_ne_u16_sdwa s0, v1, v2 src0_sel:BYTE_0 src1_sel:DWORD
	s_and_saveexec_b32 s21, s0
	s_cbranch_execz .LBB276_864
; %bb.857:                              ;   in Loop: Header=BB276_675 Depth=1
	v_cmp_ne_u16_sdwa s0, v1, v14 src0_sel:BYTE_0 src1_sel:DWORD
	v_mov_b32_e32 v56, 0x8000
	s_and_saveexec_b32 s22, s0
	s_cbranch_execz .LBB276_863
; %bb.858:                              ;   in Loop: Header=BB276_675 Depth=1
	v_bfe_u32 v60, v10, 16, 7
	v_mov_b32_e32 v56, 0x7c01
	s_mov_b32 s26, exec_lo
	v_cmpx_ne_u32_e32 0x7f, v60
	s_cbranch_execz .LBB276_862
; %bb.859:                              ;   in Loop: Header=BB276_675 Depth=1
	v_and_b32_e32 v56, 7, v1
	v_lshrrev_b32_e32 v59, 3, v60
	s_mov_b32 s27, exec_lo
	v_cmpx_gt_u32_e32 8, v60
; %bb.860:                              ;   in Loop: Header=BB276_675 Depth=1
	v_ffbh_u32_e32 v11, v56
	v_min_u32_e32 v56, 32, v11
	v_subrev_nc_u32_e32 v11, 28, v56
	v_sub_nc_u32_e32 v59, 29, v56
	v_lshlrev_b64 v[11:12], v11, v[1:2]
	v_and_b32_e32 v56, 7, v11
; %bb.861:                              ;   in Loop: Header=BB276_675 Depth=1
	s_or_b32 exec_lo, exec_lo, s27
	v_lshlrev_b32_e32 v1, 8, v1
	v_lshl_add_u32 v11, v59, 10, 0x2000
	v_lshlrev_b32_e32 v12, 7, v56
	v_and_b32_e32 v1, 0x8000, v1
	v_and_b32_e32 v11, 0xfc00, v11
	v_or3_b32 v56, v1, v11, v12
.LBB276_862:                            ;   in Loop: Header=BB276_675 Depth=1
	s_or_b32 exec_lo, exec_lo, s26
.LBB276_863:                            ;   in Loop: Header=BB276_675 Depth=1
	s_or_b32 exec_lo, exec_lo, s22
.LBB276_864:                            ;   in Loop: Header=BB276_675 Depth=1
	s_or_b32 exec_lo, exec_lo, s21
	v_cmp_lt_u64_e64 s0, s[2:3], v[9:10]
	v_mov_b32_e32 v9, 0
	s_and_saveexec_b32 s21, s0
	s_cbranch_execz .LBB276_872
; %bb.865:                              ;   in Loop: Header=BB276_675 Depth=1
	v_lshrrev_b32_e32 v1, 24, v10
	v_bfrev_b32_e32 v9, 1
	s_mov_b32 s22, exec_lo
	v_cmpx_ne_u32_e32 0x80, v1
	s_cbranch_execz .LBB276_871
; %bb.866:                              ;   in Loop: Header=BB276_675 Depth=1
	v_and_b32_e32 v59, 0x7f, v1
	v_mov_b32_e32 v9, 0x7c010000
	s_mov_b32 s26, exec_lo
	v_cmpx_ne_u32_e32 0x7f, v59
	s_cbranch_execz .LBB276_870
; %bb.867:                              ;   in Loop: Header=BB276_675 Depth=1
	v_and_b32_e32 v9, 7, v1
	v_lshrrev_b32_e32 v10, 3, v59
	s_mov_b32 s27, exec_lo
	v_cmpx_gt_u32_e32 8, v59
; %bb.868:                              ;   in Loop: Header=BB276_675 Depth=1
	v_ffbh_u32_e32 v9, v9
	v_min_u32_e32 v11, 32, v9
	v_subrev_nc_u32_e32 v9, 28, v11
	v_lshlrev_b64 v[9:10], v9, v[1:2]
	v_sub_nc_u32_e32 v10, 29, v11
	v_and_b32_e32 v9, 7, v9
; %bb.869:                              ;   in Loop: Header=BB276_675 Depth=1
	s_or_b32 exec_lo, exec_lo, s27
	v_lshlrev_b32_e32 v1, 8, v1
	v_lshl_add_u32 v10, v10, 10, 0x2000
	v_lshlrev_b32_e32 v9, 23, v9
	v_and_or_b32 v1, 0x8000, v1, v10
	v_lshl_or_b32 v9, v1, 16, v9
.LBB276_870:                            ;   in Loop: Header=BB276_675 Depth=1
	s_or_b32 exec_lo, exec_lo, s26
.LBB276_871:                            ;   in Loop: Header=BB276_675 Depth=1
	s_or_b32 exec_lo, exec_lo, s22
.LBB276_872:                            ;   in Loop: Header=BB276_675 Depth=1
	s_or_b32 exec_lo, exec_lo, s21
	v_or_b32_e32 v1, v54, v55
	s_waitcnt vmcnt(0)
	v_fma_mixlo_f16 v10, v51, v54, 0 op_sel:[0,1,0] op_sel_hi:[0,1,0]
	v_or_b32_e32 v11, v52, v53
	v_fma_mixlo_f16 v12, v51, v52, 0 op_sel:[0,1,0] op_sel_hi:[0,1,0]
	v_or_b32_e32 v52, v58, v57
	v_fma_mixlo_f16 v54, v51, v1, 0 op_sel_hi:[0,1,0]
	v_or_b32_e32 v55, v9, v56
	v_lshlrev_b32_e32 v1, 16, v10
	v_lshlrev_b32_e32 v53, 16, v12
	v_fma_mixlo_f16 v11, v51, v11, 0 op_sel_hi:[0,1,0]
	v_and_b32_e32 v10, 0xffff, v54
	v_fma_mixlo_f16 v12, v51, v58, 0 op_sel:[0,1,0] op_sel_hi:[0,1,0]
	v_fma_mixlo_f16 v52, v51, v52, 0 op_sel_hi:[0,1,0]
	v_fma_mixlo_f16 v9, v51, v9, 0 op_sel:[0,1,0] op_sel_hi:[0,1,0]
	v_fma_mixlo_f16 v54, v51, v55, 0 op_sel_hi:[0,1,0]
	v_and_b32_e32 v59, 0xffff, v11
	v_lshlrev_b32_e32 v51, 16, v12
	v_and_b32_e32 v55, 0xffff, v52
	v_lshlrev_b32_e32 v9, 16, v9
	v_and_b32_e32 v52, 0xffff, v54
	v_or_b32_e32 v54, v1, v10
	v_or_b32_e32 v58, v53, v59
	;; [unrolled: 1-line block ×4, first 2 shown]
	s_and_saveexec_b32 s21, vcc_lo
	s_cbranch_execz .LBB276_874
; %bb.873:                              ;   in Loop: Header=BB276_675 Depth=1
	v_cmp_gt_i32_e64 s0, s33, v35
	v_cndmask_b32_e64 v11, 0, v59, s0
	v_cmp_gt_i32_e64 s0, s33, v47
	v_cndmask_b32_e64 v12, 0, v53, s0
	v_cmp_gt_i32_e64 s0, s33, v45
	v_or_b32_e32 v58, v12, v11
	v_cndmask_b32_e64 v10, 0, v10, s0
	v_cmp_gt_i32_e64 s0, s33, v43
	v_cndmask_b32_e64 v1, 0, v1, s0
	v_cmp_gt_i32_e64 s0, s33, v41
	v_or_b32_e32 v54, v1, v10
	;; [unrolled: 5-line block ×3, first 2 shown]
	v_cndmask_b32_e64 v52, 0, v52, s0
	v_cmp_gt_i32_e64 s0, s33, v36
	v_cndmask_b32_e64 v9, 0, v9, s0
	v_or_b32_e32 v56, v9, v52
.LBB276_874:                            ;   in Loop: Header=BB276_675 Depth=1
	s_or_b32 exec_lo, exec_lo, s21
	;;#ASMSTART
	v_pk_mul_f16 v1, v48, v58;

	;;#ASMEND
	;;#ASMSTART
	v_pk_mul_f16 v9, v46, v54;

	;;#ASMEND
	;; [unrolled: 4-line block ×4, first 2 shown]
	;;#ASMSTART
	v_pk_add_f16 v1, v1, v9;

	;;#ASMEND
	;;#ASMSTART
	v_pk_add_f16 v1, v1, v10;

	;;#ASMEND
	;; [unrolled: 4-line block ×3, first 2 shown]
	v_and_b32_e32 v9, 0xffff, v1
	v_lshrrev_b32_e32 v1, 16, v1
	;;#ASMSTART
	v_cvt_f32_f16 v51, v9;
	;;#ASMEND
	;;#ASMSTART
	v_cvt_f32_f16 v52, v1;
	;;#ASMEND
	global_load_dwordx2 v[9:10], v[7:8], off offset:768
	v_mov_b32_e32 v54, 0
	v_mov_b32_e32 v55, 0
	global_load_dword v53, v54, s[14:15]
	s_waitcnt vmcnt(1)
	v_cmp_ne_u16_sdwa s0, v9, v2 src0_sel:BYTE_0 src1_sel:DWORD
	s_and_saveexec_b32 s21, s0
	s_cbranch_execz .LBB276_882
; %bb.875:                              ;   in Loop: Header=BB276_675 Depth=1
	v_cmp_ne_u16_sdwa s0, v9, v14 src0_sel:BYTE_0 src1_sel:DWORD
	v_mov_b32_e32 v55, 0x8000
	s_and_saveexec_b32 s22, s0
	s_cbranch_execz .LBB276_881
; %bb.876:                              ;   in Loop: Header=BB276_675 Depth=1
	v_and_b32_e32 v56, 0x7f, v9
	v_mov_b32_e32 v55, 0x7c01
	s_mov_b32 s26, exec_lo
	v_cmpx_ne_u32_e32 0x7f, v56
	s_cbranch_execz .LBB276_880
; %bb.877:                              ;   in Loop: Header=BB276_675 Depth=1
	v_and_b32_e32 v1, 7, v9
	v_lshrrev_b32_e32 v55, 3, v56
	s_mov_b32 s27, exec_lo
	v_cmpx_gt_u32_e32 8, v56
; %bb.878:                              ;   in Loop: Header=BB276_675 Depth=1
	v_ffbh_u32_e32 v1, v1
	v_min_u32_e32 v1, 32, v1
	v_subrev_nc_u32_e32 v11, 28, v1
	v_sub_nc_u32_e32 v55, 29, v1
	v_lshlrev_b64 v[11:12], v11, v[9:10]
	v_and_b32_e32 v1, 7, v11
; %bb.879:                              ;   in Loop: Header=BB276_675 Depth=1
	s_or_b32 exec_lo, exec_lo, s27
	v_lshlrev_b32_e32 v11, 8, v9
	v_lshl_add_u32 v12, v55, 10, 0x2000
	v_lshlrev_b32_e32 v1, 7, v1
	v_and_b32_e32 v11, 0x8000, v11
	v_and_b32_e32 v12, 0xfc00, v12
	v_or3_b32 v55, v11, v12, v1
.LBB276_880:                            ;   in Loop: Header=BB276_675 Depth=1
	s_or_b32 exec_lo, exec_lo, s26
.LBB276_881:                            ;   in Loop: Header=BB276_675 Depth=1
	s_or_b32 exec_lo, exec_lo, s22
.LBB276_882:                            ;   in Loop: Header=BB276_675 Depth=1
	s_or_b32 exec_lo, exec_lo, s21
	v_lshrrev_b16 v1, 8, v9
	s_mov_b32 s21, exec_lo
	v_cmpx_ne_u16_e32 0, v1
	s_cbranch_execz .LBB276_890
; %bb.883:                              ;   in Loop: Header=BB276_675 Depth=1
	v_bfrev_b32_e32 v54, 1
	s_mov_b32 s22, exec_lo
	v_cmpx_ne_u16_e32 0x80, v1
	s_cbranch_execz .LBB276_889
; %bb.884:                              ;   in Loop: Header=BB276_675 Depth=1
	v_and_b32_sdwa v57, v1, v28 dst_sel:DWORD dst_unused:UNUSED_PAD src0_sel:WORD_0 src1_sel:DWORD
	v_mov_b32_e32 v54, 0x7c010000
	s_mov_b32 s26, exec_lo
	v_cmpx_ne_u32_e32 0x7f, v57
	s_cbranch_execz .LBB276_888
; %bb.885:                              ;   in Loop: Header=BB276_675 Depth=1
	v_and_b32_sdwa v54, v1, v29 dst_sel:DWORD dst_unused:UNUSED_PAD src0_sel:WORD_0 src1_sel:DWORD
	v_lshrrev_b32_e32 v56, 3, v57
	s_mov_b32 s27, exec_lo
	v_cmpx_gt_u32_e32 8, v57
; %bb.886:                              ;   in Loop: Header=BB276_675 Depth=1
	v_ffbh_u32_e32 v11, v54
	v_min_u32_e32 v54, 32, v11
	v_subrev_nc_u32_e32 v11, 28, v54
	v_sub_nc_u32_e32 v56, 29, v54
	v_lshlrev_b64 v[11:12], v11, v[1:2]
	v_and_b32_e32 v54, 7, v11
; %bb.887:                              ;   in Loop: Header=BB276_675 Depth=1
	s_or_b32 exec_lo, exec_lo, s27
	v_lshlrev_b32_sdwa v1, v30, v1 dst_sel:DWORD dst_unused:UNUSED_PAD src0_sel:DWORD src1_sel:WORD_0
	v_lshl_add_u32 v11, v56, 10, 0x2000
	v_and_or_b32 v1, 0x8000, v1, v11
	v_lshlrev_b32_e32 v11, 23, v54
	v_lshl_or_b32 v54, v1, 16, v11
.LBB276_888:                            ;   in Loop: Header=BB276_675 Depth=1
	s_or_b32 exec_lo, exec_lo, s26
.LBB276_889:                            ;   in Loop: Header=BB276_675 Depth=1
	s_or_b32 exec_lo, exec_lo, s22
.LBB276_890:                            ;   in Loop: Header=BB276_675 Depth=1
	s_or_b32 exec_lo, exec_lo, s21
	v_lshrrev_b32_e32 v1, 16, v9
	v_mov_b32_e32 v56, 0
	v_mov_b32_e32 v57, 0
	v_cmp_ne_u16_sdwa s0, v1, v2 src0_sel:BYTE_0 src1_sel:DWORD
	s_and_saveexec_b32 s21, s0
	s_cbranch_execz .LBB276_898
; %bb.891:                              ;   in Loop: Header=BB276_675 Depth=1
	v_cmp_ne_u16_sdwa s0, v1, v14 src0_sel:BYTE_0 src1_sel:DWORD
	v_mov_b32_e32 v57, 0x8000
	s_and_saveexec_b32 s22, s0
	s_cbranch_execz .LBB276_897
; %bb.892:                              ;   in Loop: Header=BB276_675 Depth=1
	v_bfe_u32 v59, v9, 16, 7
	v_mov_b32_e32 v57, 0x7c01
	s_mov_b32 s26, exec_lo
	v_cmpx_ne_u32_e32 0x7f, v59
	s_cbranch_execz .LBB276_896
; %bb.893:                              ;   in Loop: Header=BB276_675 Depth=1
	v_and_b32_e32 v57, 7, v1
	v_lshrrev_b32_e32 v58, 3, v59
	s_mov_b32 s27, exec_lo
	v_cmpx_gt_u32_e32 8, v59
; %bb.894:                              ;   in Loop: Header=BB276_675 Depth=1
	v_ffbh_u32_e32 v11, v57
	v_min_u32_e32 v57, 32, v11
	v_subrev_nc_u32_e32 v11, 28, v57
	v_sub_nc_u32_e32 v58, 29, v57
	v_lshlrev_b64 v[11:12], v11, v[1:2]
	v_and_b32_e32 v57, 7, v11
; %bb.895:                              ;   in Loop: Header=BB276_675 Depth=1
	s_or_b32 exec_lo, exec_lo, s27
	v_lshlrev_b32_e32 v1, 8, v1
	v_lshl_add_u32 v11, v58, 10, 0x2000
	v_lshlrev_b32_e32 v12, 7, v57
	v_and_b32_e32 v1, 0x8000, v1
	v_and_b32_e32 v11, 0xfc00, v11
	v_or3_b32 v57, v1, v11, v12
.LBB276_896:                            ;   in Loop: Header=BB276_675 Depth=1
	s_or_b32 exec_lo, exec_lo, s26
.LBB276_897:                            ;   in Loop: Header=BB276_675 Depth=1
	s_or_b32 exec_lo, exec_lo, s22
.LBB276_898:                            ;   in Loop: Header=BB276_675 Depth=1
	s_or_b32 exec_lo, exec_lo, s21
	s_mov_b32 s21, exec_lo
	v_cmpx_lt_u32_e32 0xffffff, v9
	s_cbranch_execz .LBB276_906
; %bb.899:                              ;   in Loop: Header=BB276_675 Depth=1
	v_lshrrev_b32_e32 v1, 24, v9
	v_bfrev_b32_e32 v56, 1
	s_mov_b32 s22, exec_lo
	v_cmpx_ne_u32_e32 0x80, v1
	s_cbranch_execz .LBB276_905
; %bb.900:                              ;   in Loop: Header=BB276_675 Depth=1
	v_and_b32_e32 v59, 0x7f, v1
	v_mov_b32_e32 v56, 0x7c010000
	s_mov_b32 s26, exec_lo
	v_cmpx_ne_u32_e32 0x7f, v59
	s_cbranch_execz .LBB276_904
; %bb.901:                              ;   in Loop: Header=BB276_675 Depth=1
	v_and_b32_e32 v56, 7, v1
	v_lshrrev_b32_e32 v58, 3, v59
	s_mov_b32 s27, exec_lo
	v_cmpx_gt_u32_e32 8, v59
; %bb.902:                              ;   in Loop: Header=BB276_675 Depth=1
	v_ffbh_u32_e32 v11, v56
	v_min_u32_e32 v56, 32, v11
	v_subrev_nc_u32_e32 v11, 28, v56
	v_sub_nc_u32_e32 v58, 29, v56
	v_lshlrev_b64 v[11:12], v11, v[1:2]
	v_and_b32_e32 v56, 7, v11
; %bb.903:                              ;   in Loop: Header=BB276_675 Depth=1
	s_or_b32 exec_lo, exec_lo, s27
	v_lshlrev_b32_e32 v1, 8, v1
	v_lshl_add_u32 v11, v58, 10, 0x2000
	v_and_or_b32 v1, 0x8000, v1, v11
	v_lshlrev_b32_e32 v11, 23, v56
	v_lshl_or_b32 v56, v1, 16, v11
.LBB276_904:                            ;   in Loop: Header=BB276_675 Depth=1
	s_or_b32 exec_lo, exec_lo, s26
.LBB276_905:                            ;   in Loop: Header=BB276_675 Depth=1
	s_or_b32 exec_lo, exec_lo, s22
.LBB276_906:                            ;   in Loop: Header=BB276_675 Depth=1
	s_or_b32 exec_lo, exec_lo, s21
	v_mov_b32_e32 v1, v10
	v_cmp_ne_u16_sdwa s0, v10, v2 src0_sel:BYTE_0 src1_sel:DWORD
	v_mov_b32_e32 v58, 0
	v_mov_b32_e32 v59, 0
	s_and_saveexec_b32 s21, s0
	s_cbranch_execz .LBB276_914
; %bb.907:                              ;   in Loop: Header=BB276_675 Depth=1
	v_cmp_ne_u16_sdwa s0, v10, v14 src0_sel:BYTE_0 src1_sel:DWORD
	v_mov_b32_e32 v59, 0x8000
	s_and_saveexec_b32 s22, s0
	s_cbranch_execz .LBB276_913
; %bb.908:                              ;   in Loop: Header=BB276_675 Depth=1
	v_and_b32_e32 v61, 0x7f, v10
	v_mov_b32_e32 v59, 0x7c01
	s_mov_b32 s26, exec_lo
	v_cmpx_ne_u32_e32 0x7f, v61
	s_cbranch_execz .LBB276_912
; %bb.909:                              ;   in Loop: Header=BB276_675 Depth=1
	v_and_b32_e32 v59, 7, v10
	v_lshrrev_b32_e32 v60, 3, v61
	s_mov_b32 s27, exec_lo
	v_cmpx_gt_u32_e32 8, v61
; %bb.910:                              ;   in Loop: Header=BB276_675 Depth=1
	v_ffbh_u32_e32 v11, v59
	v_min_u32_e32 v59, 32, v11
	v_subrev_nc_u32_e32 v11, 28, v59
	v_sub_nc_u32_e32 v60, 29, v59
	v_lshlrev_b64 v[11:12], v11, v[1:2]
	v_and_b32_e32 v59, 7, v11
; %bb.911:                              ;   in Loop: Header=BB276_675 Depth=1
	s_or_b32 exec_lo, exec_lo, s27
	v_lshlrev_b32_e32 v11, 8, v10
	v_lshl_add_u32 v12, v60, 10, 0x2000
	v_lshlrev_b32_e32 v59, 7, v59
	v_and_b32_e32 v11, 0x8000, v11
	v_and_b32_e32 v12, 0xfc00, v12
	v_or3_b32 v59, v11, v12, v59
.LBB276_912:                            ;   in Loop: Header=BB276_675 Depth=1
	s_or_b32 exec_lo, exec_lo, s26
.LBB276_913:                            ;   in Loop: Header=BB276_675 Depth=1
	s_or_b32 exec_lo, exec_lo, s22
.LBB276_914:                            ;   in Loop: Header=BB276_675 Depth=1
	s_or_b32 exec_lo, exec_lo, s21
	v_lshrrev_b16 v1, 8, v1
	v_mov_b32_e32 v60, 0
	s_mov_b32 s21, exec_lo
	v_cmpx_ne_u16_e32 0, v1
	s_cbranch_execz .LBB276_922
; %bb.915:                              ;   in Loop: Header=BB276_675 Depth=1
	v_bfrev_b32_e32 v60, 1
	s_mov_b32 s22, exec_lo
	v_cmpx_ne_u16_e32 0x80, v1
	s_cbranch_execz .LBB276_921
; %bb.916:                              ;   in Loop: Header=BB276_675 Depth=1
	v_and_b32_sdwa v62, v1, v28 dst_sel:DWORD dst_unused:UNUSED_PAD src0_sel:WORD_0 src1_sel:DWORD
	v_mov_b32_e32 v60, 0x7c010000
	s_mov_b32 s26, exec_lo
	v_cmpx_ne_u32_e32 0x7f, v62
	s_cbranch_execz .LBB276_920
; %bb.917:                              ;   in Loop: Header=BB276_675 Depth=1
	v_and_b32_sdwa v60, v1, v29 dst_sel:DWORD dst_unused:UNUSED_PAD src0_sel:WORD_0 src1_sel:DWORD
	v_lshrrev_b32_e32 v61, 3, v62
	s_mov_b32 s27, exec_lo
	v_cmpx_gt_u32_e32 8, v62
; %bb.918:                              ;   in Loop: Header=BB276_675 Depth=1
	v_ffbh_u32_e32 v11, v60
	v_min_u32_e32 v60, 32, v11
	v_subrev_nc_u32_e32 v11, 28, v60
	v_sub_nc_u32_e32 v61, 29, v60
	v_lshlrev_b64 v[11:12], v11, v[1:2]
	v_and_b32_e32 v60, 7, v11
; %bb.919:                              ;   in Loop: Header=BB276_675 Depth=1
	s_or_b32 exec_lo, exec_lo, s27
	v_lshlrev_b32_sdwa v1, v30, v1 dst_sel:DWORD dst_unused:UNUSED_PAD src0_sel:DWORD src1_sel:WORD_0
	v_lshl_add_u32 v11, v61, 10, 0x2000
	v_and_or_b32 v1, 0x8000, v1, v11
	v_lshlrev_b32_e32 v11, 23, v60
	v_lshl_or_b32 v60, v1, 16, v11
.LBB276_920:                            ;   in Loop: Header=BB276_675 Depth=1
	s_or_b32 exec_lo, exec_lo, s26
.LBB276_921:                            ;   in Loop: Header=BB276_675 Depth=1
	s_or_b32 exec_lo, exec_lo, s22
.LBB276_922:                            ;   in Loop: Header=BB276_675 Depth=1
	s_or_b32 exec_lo, exec_lo, s21
	v_lshrrev_b32_e32 v1, 16, v10
	v_cmp_ne_u16_sdwa s0, v1, v2 src0_sel:BYTE_0 src1_sel:DWORD
	s_and_saveexec_b32 s21, s0
	s_cbranch_execz .LBB276_930
; %bb.923:                              ;   in Loop: Header=BB276_675 Depth=1
	v_cmp_ne_u16_sdwa s0, v1, v14 src0_sel:BYTE_0 src1_sel:DWORD
	v_mov_b32_e32 v58, 0x8000
	s_and_saveexec_b32 s22, s0
	s_cbranch_execz .LBB276_929
; %bb.924:                              ;   in Loop: Header=BB276_675 Depth=1
	v_bfe_u32 v62, v10, 16, 7
	v_mov_b32_e32 v58, 0x7c01
	s_mov_b32 s26, exec_lo
	v_cmpx_ne_u32_e32 0x7f, v62
	s_cbranch_execz .LBB276_928
; %bb.925:                              ;   in Loop: Header=BB276_675 Depth=1
	v_and_b32_e32 v58, 7, v1
	v_lshrrev_b32_e32 v61, 3, v62
	s_mov_b32 s27, exec_lo
	v_cmpx_gt_u32_e32 8, v62
; %bb.926:                              ;   in Loop: Header=BB276_675 Depth=1
	v_ffbh_u32_e32 v11, v58
	v_min_u32_e32 v58, 32, v11
	v_subrev_nc_u32_e32 v11, 28, v58
	v_sub_nc_u32_e32 v61, 29, v58
	v_lshlrev_b64 v[11:12], v11, v[1:2]
	v_and_b32_e32 v58, 7, v11
; %bb.927:                              ;   in Loop: Header=BB276_675 Depth=1
	s_or_b32 exec_lo, exec_lo, s27
	v_lshlrev_b32_e32 v1, 8, v1
	v_lshl_add_u32 v11, v61, 10, 0x2000
	v_lshlrev_b32_e32 v12, 7, v58
	v_and_b32_e32 v1, 0x8000, v1
	v_and_b32_e32 v11, 0xfc00, v11
	v_or3_b32 v58, v1, v11, v12
.LBB276_928:                            ;   in Loop: Header=BB276_675 Depth=1
	s_or_b32 exec_lo, exec_lo, s26
.LBB276_929:                            ;   in Loop: Header=BB276_675 Depth=1
	s_or_b32 exec_lo, exec_lo, s22
.LBB276_930:                            ;   in Loop: Header=BB276_675 Depth=1
	s_or_b32 exec_lo, exec_lo, s21
	v_cmp_lt_u64_e64 s0, s[2:3], v[9:10]
	v_mov_b32_e32 v9, 0
	s_and_saveexec_b32 s21, s0
	s_cbranch_execz .LBB276_938
; %bb.931:                              ;   in Loop: Header=BB276_675 Depth=1
	v_lshrrev_b32_e32 v1, 24, v10
	v_bfrev_b32_e32 v9, 1
	s_mov_b32 s22, exec_lo
	v_cmpx_ne_u32_e32 0x80, v1
	s_cbranch_execz .LBB276_937
; %bb.932:                              ;   in Loop: Header=BB276_675 Depth=1
	v_and_b32_e32 v61, 0x7f, v1
	v_mov_b32_e32 v9, 0x7c010000
	s_mov_b32 s26, exec_lo
	v_cmpx_ne_u32_e32 0x7f, v61
	s_cbranch_execz .LBB276_936
; %bb.933:                              ;   in Loop: Header=BB276_675 Depth=1
	v_and_b32_e32 v9, 7, v1
	v_lshrrev_b32_e32 v10, 3, v61
	s_mov_b32 s27, exec_lo
	v_cmpx_gt_u32_e32 8, v61
; %bb.934:                              ;   in Loop: Header=BB276_675 Depth=1
	v_ffbh_u32_e32 v9, v9
	v_min_u32_e32 v11, 32, v9
	v_subrev_nc_u32_e32 v9, 28, v11
	v_lshlrev_b64 v[9:10], v9, v[1:2]
	v_sub_nc_u32_e32 v10, 29, v11
	v_and_b32_e32 v9, 7, v9
; %bb.935:                              ;   in Loop: Header=BB276_675 Depth=1
	s_or_b32 exec_lo, exec_lo, s27
	v_lshlrev_b32_e32 v1, 8, v1
	v_lshl_add_u32 v10, v10, 10, 0x2000
	v_lshlrev_b32_e32 v9, 23, v9
	v_and_or_b32 v1, 0x8000, v1, v10
	v_lshl_or_b32 v9, v1, 16, v9
.LBB276_936:                            ;   in Loop: Header=BB276_675 Depth=1
	s_or_b32 exec_lo, exec_lo, s26
.LBB276_937:                            ;   in Loop: Header=BB276_675 Depth=1
	s_or_b32 exec_lo, exec_lo, s22
.LBB276_938:                            ;   in Loop: Header=BB276_675 Depth=1
	s_or_b32 exec_lo, exec_lo, s21
	v_or_b32_e32 v1, v56, v57
	s_waitcnt vmcnt(0)
	v_fma_mixlo_f16 v10, v53, v56, 0 op_sel:[0,1,0] op_sel_hi:[0,1,0]
	v_or_b32_e32 v11, v54, v55
	v_fma_mixlo_f16 v12, v53, v54, 0 op_sel:[0,1,0] op_sel_hi:[0,1,0]
	v_or_b32_e32 v54, v60, v59
	v_fma_mixlo_f16 v56, v53, v1, 0 op_sel_hi:[0,1,0]
	v_or_b32_e32 v57, v9, v58
	v_lshlrev_b32_e32 v1, 16, v10
	v_lshlrev_b32_e32 v55, 16, v12
	v_fma_mixlo_f16 v11, v53, v11, 0 op_sel_hi:[0,1,0]
	v_and_b32_e32 v10, 0xffff, v56
	v_fma_mixlo_f16 v12, v53, v60, 0 op_sel:[0,1,0] op_sel_hi:[0,1,0]
	v_fma_mixlo_f16 v54, v53, v54, 0 op_sel_hi:[0,1,0]
	v_fma_mixlo_f16 v9, v53, v9, 0 op_sel:[0,1,0] op_sel_hi:[0,1,0]
	v_fma_mixlo_f16 v56, v53, v57, 0 op_sel_hi:[0,1,0]
	v_and_b32_e32 v61, 0xffff, v11
	v_lshlrev_b32_e32 v53, 16, v12
	v_and_b32_e32 v57, 0xffff, v54
	v_lshlrev_b32_e32 v9, 16, v9
	v_and_b32_e32 v54, 0xffff, v56
	v_or_b32_e32 v56, v1, v10
	v_or_b32_e32 v60, v55, v61
	;; [unrolled: 1-line block ×4, first 2 shown]
	s_and_saveexec_b32 s21, vcc_lo
	s_cbranch_execz .LBB276_940
; %bb.939:                              ;   in Loop: Header=BB276_675 Depth=1
	v_cmp_gt_i32_e64 s0, s33, v35
	v_cndmask_b32_e64 v11, 0, v61, s0
	v_cmp_gt_i32_e64 s0, s33, v47
	v_cndmask_b32_e64 v12, 0, v55, s0
	v_cmp_gt_i32_e64 s0, s33, v45
	v_or_b32_e32 v60, v12, v11
	v_cndmask_b32_e64 v10, 0, v10, s0
	v_cmp_gt_i32_e64 s0, s33, v43
	v_cndmask_b32_e64 v1, 0, v1, s0
	v_cmp_gt_i32_e64 s0, s33, v41
	v_or_b32_e32 v56, v1, v10
	;; [unrolled: 5-line block ×3, first 2 shown]
	v_cndmask_b32_e64 v54, 0, v54, s0
	v_cmp_gt_i32_e64 s0, s33, v36
	v_cndmask_b32_e64 v9, 0, v9, s0
	v_or_b32_e32 v58, v9, v54
.LBB276_940:                            ;   in Loop: Header=BB276_675 Depth=1
	s_or_b32 exec_lo, exec_lo, s21
	;;#ASMSTART
	v_pk_mul_f16 v1, v48, v60;

	;;#ASMEND
	;;#ASMSTART
	v_pk_mul_f16 v9, v46, v56;

	;;#ASMEND
	;; [unrolled: 4-line block ×4, first 2 shown]
	;;#ASMSTART
	v_pk_add_f16 v1, v1, v9;

	;;#ASMEND
	;;#ASMSTART
	v_pk_add_f16 v1, v1, v10;

	;;#ASMEND
	;; [unrolled: 4-line block ×3, first 2 shown]
	v_and_b32_e32 v9, 0xffff, v1
	v_lshrrev_b32_e32 v1, 16, v1
	;;#ASMSTART
	v_cvt_f32_f16 v53, v9;
	;;#ASMEND
	;;#ASMSTART
	v_cvt_f32_f16 v54, v1;
	;;#ASMEND
	global_load_dwordx2 v[9:10], v[7:8], off offset:1024
	v_mov_b32_e32 v56, 0
	v_mov_b32_e32 v57, 0
	global_load_dword v55, v56, s[14:15]
	s_waitcnt vmcnt(1)
	v_cmp_ne_u16_sdwa s0, v9, v2 src0_sel:BYTE_0 src1_sel:DWORD
	s_and_saveexec_b32 s21, s0
	s_cbranch_execz .LBB276_948
; %bb.941:                              ;   in Loop: Header=BB276_675 Depth=1
	v_cmp_ne_u16_sdwa s0, v9, v14 src0_sel:BYTE_0 src1_sel:DWORD
	v_mov_b32_e32 v57, 0x8000
	s_and_saveexec_b32 s22, s0
	s_cbranch_execz .LBB276_947
; %bb.942:                              ;   in Loop: Header=BB276_675 Depth=1
	v_and_b32_e32 v58, 0x7f, v9
	v_mov_b32_e32 v57, 0x7c01
	s_mov_b32 s26, exec_lo
	v_cmpx_ne_u32_e32 0x7f, v58
	s_cbranch_execz .LBB276_946
; %bb.943:                              ;   in Loop: Header=BB276_675 Depth=1
	v_and_b32_e32 v1, 7, v9
	v_lshrrev_b32_e32 v57, 3, v58
	s_mov_b32 s27, exec_lo
	v_cmpx_gt_u32_e32 8, v58
; %bb.944:                              ;   in Loop: Header=BB276_675 Depth=1
	v_ffbh_u32_e32 v1, v1
	v_min_u32_e32 v1, 32, v1
	v_subrev_nc_u32_e32 v11, 28, v1
	v_sub_nc_u32_e32 v57, 29, v1
	v_lshlrev_b64 v[11:12], v11, v[9:10]
	v_and_b32_e32 v1, 7, v11
; %bb.945:                              ;   in Loop: Header=BB276_675 Depth=1
	s_or_b32 exec_lo, exec_lo, s27
	v_lshlrev_b32_e32 v11, 8, v9
	v_lshl_add_u32 v12, v57, 10, 0x2000
	v_lshlrev_b32_e32 v1, 7, v1
	v_and_b32_e32 v11, 0x8000, v11
	v_and_b32_e32 v12, 0xfc00, v12
	v_or3_b32 v57, v11, v12, v1
.LBB276_946:                            ;   in Loop: Header=BB276_675 Depth=1
	s_or_b32 exec_lo, exec_lo, s26
.LBB276_947:                            ;   in Loop: Header=BB276_675 Depth=1
	s_or_b32 exec_lo, exec_lo, s22
.LBB276_948:                            ;   in Loop: Header=BB276_675 Depth=1
	s_or_b32 exec_lo, exec_lo, s21
	v_lshrrev_b16 v1, 8, v9
	s_mov_b32 s21, exec_lo
	v_cmpx_ne_u16_e32 0, v1
	s_cbranch_execz .LBB276_956
; %bb.949:                              ;   in Loop: Header=BB276_675 Depth=1
	v_bfrev_b32_e32 v56, 1
	s_mov_b32 s22, exec_lo
	v_cmpx_ne_u16_e32 0x80, v1
	s_cbranch_execz .LBB276_955
; %bb.950:                              ;   in Loop: Header=BB276_675 Depth=1
	v_and_b32_sdwa v59, v1, v28 dst_sel:DWORD dst_unused:UNUSED_PAD src0_sel:WORD_0 src1_sel:DWORD
	v_mov_b32_e32 v56, 0x7c010000
	s_mov_b32 s26, exec_lo
	v_cmpx_ne_u32_e32 0x7f, v59
	s_cbranch_execz .LBB276_954
; %bb.951:                              ;   in Loop: Header=BB276_675 Depth=1
	v_and_b32_sdwa v56, v1, v29 dst_sel:DWORD dst_unused:UNUSED_PAD src0_sel:WORD_0 src1_sel:DWORD
	v_lshrrev_b32_e32 v58, 3, v59
	s_mov_b32 s27, exec_lo
	v_cmpx_gt_u32_e32 8, v59
; %bb.952:                              ;   in Loop: Header=BB276_675 Depth=1
	v_ffbh_u32_e32 v11, v56
	v_min_u32_e32 v56, 32, v11
	v_subrev_nc_u32_e32 v11, 28, v56
	v_sub_nc_u32_e32 v58, 29, v56
	v_lshlrev_b64 v[11:12], v11, v[1:2]
	v_and_b32_e32 v56, 7, v11
; %bb.953:                              ;   in Loop: Header=BB276_675 Depth=1
	s_or_b32 exec_lo, exec_lo, s27
	v_lshlrev_b32_sdwa v1, v30, v1 dst_sel:DWORD dst_unused:UNUSED_PAD src0_sel:DWORD src1_sel:WORD_0
	v_lshl_add_u32 v11, v58, 10, 0x2000
	v_and_or_b32 v1, 0x8000, v1, v11
	v_lshlrev_b32_e32 v11, 23, v56
	v_lshl_or_b32 v56, v1, 16, v11
.LBB276_954:                            ;   in Loop: Header=BB276_675 Depth=1
	s_or_b32 exec_lo, exec_lo, s26
.LBB276_955:                            ;   in Loop: Header=BB276_675 Depth=1
	s_or_b32 exec_lo, exec_lo, s22
.LBB276_956:                            ;   in Loop: Header=BB276_675 Depth=1
	s_or_b32 exec_lo, exec_lo, s21
	v_lshrrev_b32_e32 v1, 16, v9
	v_mov_b32_e32 v58, 0
	v_mov_b32_e32 v59, 0
	v_cmp_ne_u16_sdwa s0, v1, v2 src0_sel:BYTE_0 src1_sel:DWORD
	s_and_saveexec_b32 s21, s0
	s_cbranch_execz .LBB276_964
; %bb.957:                              ;   in Loop: Header=BB276_675 Depth=1
	v_cmp_ne_u16_sdwa s0, v1, v14 src0_sel:BYTE_0 src1_sel:DWORD
	v_mov_b32_e32 v59, 0x8000
	s_and_saveexec_b32 s22, s0
	s_cbranch_execz .LBB276_963
; %bb.958:                              ;   in Loop: Header=BB276_675 Depth=1
	v_bfe_u32 v61, v9, 16, 7
	v_mov_b32_e32 v59, 0x7c01
	s_mov_b32 s26, exec_lo
	v_cmpx_ne_u32_e32 0x7f, v61
	s_cbranch_execz .LBB276_962
; %bb.959:                              ;   in Loop: Header=BB276_675 Depth=1
	v_and_b32_e32 v59, 7, v1
	v_lshrrev_b32_e32 v60, 3, v61
	s_mov_b32 s27, exec_lo
	v_cmpx_gt_u32_e32 8, v61
; %bb.960:                              ;   in Loop: Header=BB276_675 Depth=1
	v_ffbh_u32_e32 v11, v59
	v_min_u32_e32 v59, 32, v11
	v_subrev_nc_u32_e32 v11, 28, v59
	v_sub_nc_u32_e32 v60, 29, v59
	v_lshlrev_b64 v[11:12], v11, v[1:2]
	v_and_b32_e32 v59, 7, v11
; %bb.961:                              ;   in Loop: Header=BB276_675 Depth=1
	s_or_b32 exec_lo, exec_lo, s27
	v_lshlrev_b32_e32 v1, 8, v1
	v_lshl_add_u32 v11, v60, 10, 0x2000
	v_lshlrev_b32_e32 v12, 7, v59
	v_and_b32_e32 v1, 0x8000, v1
	v_and_b32_e32 v11, 0xfc00, v11
	v_or3_b32 v59, v1, v11, v12
.LBB276_962:                            ;   in Loop: Header=BB276_675 Depth=1
	s_or_b32 exec_lo, exec_lo, s26
.LBB276_963:                            ;   in Loop: Header=BB276_675 Depth=1
	s_or_b32 exec_lo, exec_lo, s22
.LBB276_964:                            ;   in Loop: Header=BB276_675 Depth=1
	s_or_b32 exec_lo, exec_lo, s21
	s_mov_b32 s21, exec_lo
	v_cmpx_lt_u32_e32 0xffffff, v9
	s_cbranch_execz .LBB276_972
; %bb.965:                              ;   in Loop: Header=BB276_675 Depth=1
	v_lshrrev_b32_e32 v1, 24, v9
	v_bfrev_b32_e32 v58, 1
	s_mov_b32 s22, exec_lo
	v_cmpx_ne_u32_e32 0x80, v1
	s_cbranch_execz .LBB276_971
; %bb.966:                              ;   in Loop: Header=BB276_675 Depth=1
	v_and_b32_e32 v61, 0x7f, v1
	v_mov_b32_e32 v58, 0x7c010000
	s_mov_b32 s26, exec_lo
	v_cmpx_ne_u32_e32 0x7f, v61
	s_cbranch_execz .LBB276_970
; %bb.967:                              ;   in Loop: Header=BB276_675 Depth=1
	v_and_b32_e32 v58, 7, v1
	v_lshrrev_b32_e32 v60, 3, v61
	s_mov_b32 s27, exec_lo
	v_cmpx_gt_u32_e32 8, v61
; %bb.968:                              ;   in Loop: Header=BB276_675 Depth=1
	v_ffbh_u32_e32 v11, v58
	v_min_u32_e32 v58, 32, v11
	v_subrev_nc_u32_e32 v11, 28, v58
	v_sub_nc_u32_e32 v60, 29, v58
	v_lshlrev_b64 v[11:12], v11, v[1:2]
	v_and_b32_e32 v58, 7, v11
; %bb.969:                              ;   in Loop: Header=BB276_675 Depth=1
	s_or_b32 exec_lo, exec_lo, s27
	v_lshlrev_b32_e32 v1, 8, v1
	v_lshl_add_u32 v11, v60, 10, 0x2000
	v_and_or_b32 v1, 0x8000, v1, v11
	v_lshlrev_b32_e32 v11, 23, v58
	v_lshl_or_b32 v58, v1, 16, v11
.LBB276_970:                            ;   in Loop: Header=BB276_675 Depth=1
	s_or_b32 exec_lo, exec_lo, s26
.LBB276_971:                            ;   in Loop: Header=BB276_675 Depth=1
	s_or_b32 exec_lo, exec_lo, s22
.LBB276_972:                            ;   in Loop: Header=BB276_675 Depth=1
	s_or_b32 exec_lo, exec_lo, s21
	v_mov_b32_e32 v1, v10
	v_cmp_ne_u16_sdwa s0, v10, v2 src0_sel:BYTE_0 src1_sel:DWORD
	v_mov_b32_e32 v60, 0
	v_mov_b32_e32 v61, 0
	s_and_saveexec_b32 s21, s0
	s_cbranch_execz .LBB276_980
; %bb.973:                              ;   in Loop: Header=BB276_675 Depth=1
	v_cmp_ne_u16_sdwa s0, v10, v14 src0_sel:BYTE_0 src1_sel:DWORD
	v_mov_b32_e32 v61, 0x8000
	s_and_saveexec_b32 s22, s0
	s_cbranch_execz .LBB276_979
; %bb.974:                              ;   in Loop: Header=BB276_675 Depth=1
	v_and_b32_e32 v63, 0x7f, v10
	v_mov_b32_e32 v61, 0x7c01
	s_mov_b32 s26, exec_lo
	v_cmpx_ne_u32_e32 0x7f, v63
	s_cbranch_execz .LBB276_978
; %bb.975:                              ;   in Loop: Header=BB276_675 Depth=1
	v_and_b32_e32 v61, 7, v10
	v_lshrrev_b32_e32 v62, 3, v63
	s_mov_b32 s27, exec_lo
	v_cmpx_gt_u32_e32 8, v63
; %bb.976:                              ;   in Loop: Header=BB276_675 Depth=1
	v_ffbh_u32_e32 v11, v61
	v_min_u32_e32 v61, 32, v11
	v_subrev_nc_u32_e32 v11, 28, v61
	v_sub_nc_u32_e32 v62, 29, v61
	v_lshlrev_b64 v[11:12], v11, v[1:2]
	v_and_b32_e32 v61, 7, v11
; %bb.977:                              ;   in Loop: Header=BB276_675 Depth=1
	s_or_b32 exec_lo, exec_lo, s27
	v_lshlrev_b32_e32 v11, 8, v10
	v_lshl_add_u32 v12, v62, 10, 0x2000
	v_lshlrev_b32_e32 v61, 7, v61
	v_and_b32_e32 v11, 0x8000, v11
	v_and_b32_e32 v12, 0xfc00, v12
	v_or3_b32 v61, v11, v12, v61
.LBB276_978:                            ;   in Loop: Header=BB276_675 Depth=1
	s_or_b32 exec_lo, exec_lo, s26
.LBB276_979:                            ;   in Loop: Header=BB276_675 Depth=1
	s_or_b32 exec_lo, exec_lo, s22
.LBB276_980:                            ;   in Loop: Header=BB276_675 Depth=1
	s_or_b32 exec_lo, exec_lo, s21
	v_lshrrev_b16 v1, 8, v1
	v_mov_b32_e32 v62, 0
	s_mov_b32 s21, exec_lo
	v_cmpx_ne_u16_e32 0, v1
	s_cbranch_execz .LBB276_988
; %bb.981:                              ;   in Loop: Header=BB276_675 Depth=1
	v_bfrev_b32_e32 v62, 1
	s_mov_b32 s22, exec_lo
	v_cmpx_ne_u16_e32 0x80, v1
	s_cbranch_execz .LBB276_987
; %bb.982:                              ;   in Loop: Header=BB276_675 Depth=1
	v_and_b32_sdwa v64, v1, v28 dst_sel:DWORD dst_unused:UNUSED_PAD src0_sel:WORD_0 src1_sel:DWORD
	v_mov_b32_e32 v62, 0x7c010000
	s_mov_b32 s26, exec_lo
	v_cmpx_ne_u32_e32 0x7f, v64
	s_cbranch_execz .LBB276_986
; %bb.983:                              ;   in Loop: Header=BB276_675 Depth=1
	v_and_b32_sdwa v62, v1, v29 dst_sel:DWORD dst_unused:UNUSED_PAD src0_sel:WORD_0 src1_sel:DWORD
	v_lshrrev_b32_e32 v63, 3, v64
	s_mov_b32 s27, exec_lo
	v_cmpx_gt_u32_e32 8, v64
; %bb.984:                              ;   in Loop: Header=BB276_675 Depth=1
	v_ffbh_u32_e32 v11, v62
	v_min_u32_e32 v62, 32, v11
	v_subrev_nc_u32_e32 v11, 28, v62
	v_sub_nc_u32_e32 v63, 29, v62
	v_lshlrev_b64 v[11:12], v11, v[1:2]
	v_and_b32_e32 v62, 7, v11
; %bb.985:                              ;   in Loop: Header=BB276_675 Depth=1
	s_or_b32 exec_lo, exec_lo, s27
	v_lshlrev_b32_sdwa v1, v30, v1 dst_sel:DWORD dst_unused:UNUSED_PAD src0_sel:DWORD src1_sel:WORD_0
	v_lshl_add_u32 v11, v63, 10, 0x2000
	v_and_or_b32 v1, 0x8000, v1, v11
	v_lshlrev_b32_e32 v11, 23, v62
	v_lshl_or_b32 v62, v1, 16, v11
.LBB276_986:                            ;   in Loop: Header=BB276_675 Depth=1
	s_or_b32 exec_lo, exec_lo, s26
.LBB276_987:                            ;   in Loop: Header=BB276_675 Depth=1
	s_or_b32 exec_lo, exec_lo, s22
.LBB276_988:                            ;   in Loop: Header=BB276_675 Depth=1
	s_or_b32 exec_lo, exec_lo, s21
	v_lshrrev_b32_e32 v1, 16, v10
	v_cmp_ne_u16_sdwa s0, v1, v2 src0_sel:BYTE_0 src1_sel:DWORD
	s_and_saveexec_b32 s21, s0
	s_cbranch_execz .LBB276_996
; %bb.989:                              ;   in Loop: Header=BB276_675 Depth=1
	v_cmp_ne_u16_sdwa s0, v1, v14 src0_sel:BYTE_0 src1_sel:DWORD
	v_mov_b32_e32 v60, 0x8000
	s_and_saveexec_b32 s22, s0
	s_cbranch_execz .LBB276_995
; %bb.990:                              ;   in Loop: Header=BB276_675 Depth=1
	v_bfe_u32 v64, v10, 16, 7
	v_mov_b32_e32 v60, 0x7c01
	s_mov_b32 s26, exec_lo
	v_cmpx_ne_u32_e32 0x7f, v64
	s_cbranch_execz .LBB276_994
; %bb.991:                              ;   in Loop: Header=BB276_675 Depth=1
	v_and_b32_e32 v60, 7, v1
	v_lshrrev_b32_e32 v63, 3, v64
	s_mov_b32 s27, exec_lo
	v_cmpx_gt_u32_e32 8, v64
; %bb.992:                              ;   in Loop: Header=BB276_675 Depth=1
	v_ffbh_u32_e32 v11, v60
	v_min_u32_e32 v60, 32, v11
	v_subrev_nc_u32_e32 v11, 28, v60
	v_sub_nc_u32_e32 v63, 29, v60
	v_lshlrev_b64 v[11:12], v11, v[1:2]
	v_and_b32_e32 v60, 7, v11
; %bb.993:                              ;   in Loop: Header=BB276_675 Depth=1
	s_or_b32 exec_lo, exec_lo, s27
	v_lshlrev_b32_e32 v1, 8, v1
	v_lshl_add_u32 v11, v63, 10, 0x2000
	v_lshlrev_b32_e32 v12, 7, v60
	v_and_b32_e32 v1, 0x8000, v1
	v_and_b32_e32 v11, 0xfc00, v11
	v_or3_b32 v60, v1, v11, v12
.LBB276_994:                            ;   in Loop: Header=BB276_675 Depth=1
	s_or_b32 exec_lo, exec_lo, s26
.LBB276_995:                            ;   in Loop: Header=BB276_675 Depth=1
	s_or_b32 exec_lo, exec_lo, s22
.LBB276_996:                            ;   in Loop: Header=BB276_675 Depth=1
	s_or_b32 exec_lo, exec_lo, s21
	v_cmp_lt_u64_e64 s0, s[2:3], v[9:10]
	v_mov_b32_e32 v9, 0
	s_and_saveexec_b32 s21, s0
	s_cbranch_execz .LBB276_1004
; %bb.997:                              ;   in Loop: Header=BB276_675 Depth=1
	v_lshrrev_b32_e32 v1, 24, v10
	v_bfrev_b32_e32 v9, 1
	s_mov_b32 s22, exec_lo
	v_cmpx_ne_u32_e32 0x80, v1
	s_cbranch_execz .LBB276_1003
; %bb.998:                              ;   in Loop: Header=BB276_675 Depth=1
	v_and_b32_e32 v63, 0x7f, v1
	v_mov_b32_e32 v9, 0x7c010000
	s_mov_b32 s26, exec_lo
	v_cmpx_ne_u32_e32 0x7f, v63
	s_cbranch_execz .LBB276_1002
; %bb.999:                              ;   in Loop: Header=BB276_675 Depth=1
	v_and_b32_e32 v9, 7, v1
	v_lshrrev_b32_e32 v10, 3, v63
	s_mov_b32 s27, exec_lo
	v_cmpx_gt_u32_e32 8, v63
; %bb.1000:                             ;   in Loop: Header=BB276_675 Depth=1
	v_ffbh_u32_e32 v9, v9
	v_min_u32_e32 v11, 32, v9
	v_subrev_nc_u32_e32 v9, 28, v11
	v_lshlrev_b64 v[9:10], v9, v[1:2]
	v_sub_nc_u32_e32 v10, 29, v11
	v_and_b32_e32 v9, 7, v9
; %bb.1001:                             ;   in Loop: Header=BB276_675 Depth=1
	s_or_b32 exec_lo, exec_lo, s27
	v_lshlrev_b32_e32 v1, 8, v1
	v_lshl_add_u32 v10, v10, 10, 0x2000
	v_lshlrev_b32_e32 v9, 23, v9
	v_and_or_b32 v1, 0x8000, v1, v10
	v_lshl_or_b32 v9, v1, 16, v9
.LBB276_1002:                           ;   in Loop: Header=BB276_675 Depth=1
	s_or_b32 exec_lo, exec_lo, s26
.LBB276_1003:                           ;   in Loop: Header=BB276_675 Depth=1
	s_or_b32 exec_lo, exec_lo, s22
.LBB276_1004:                           ;   in Loop: Header=BB276_675 Depth=1
	s_or_b32 exec_lo, exec_lo, s21
	v_or_b32_e32 v1, v58, v59
	s_waitcnt vmcnt(0)
	v_fma_mixlo_f16 v10, v55, v58, 0 op_sel:[0,1,0] op_sel_hi:[0,1,0]
	v_or_b32_e32 v11, v56, v57
	v_fma_mixlo_f16 v12, v55, v56, 0 op_sel:[0,1,0] op_sel_hi:[0,1,0]
	v_or_b32_e32 v56, v62, v61
	v_fma_mixlo_f16 v58, v55, v1, 0 op_sel_hi:[0,1,0]
	v_or_b32_e32 v59, v9, v60
	v_lshlrev_b32_e32 v1, 16, v10
	v_lshlrev_b32_e32 v57, 16, v12
	v_fma_mixlo_f16 v11, v55, v11, 0 op_sel_hi:[0,1,0]
	v_and_b32_e32 v10, 0xffff, v58
	v_fma_mixlo_f16 v12, v55, v62, 0 op_sel:[0,1,0] op_sel_hi:[0,1,0]
	v_fma_mixlo_f16 v56, v55, v56, 0 op_sel_hi:[0,1,0]
	v_fma_mixlo_f16 v9, v55, v9, 0 op_sel:[0,1,0] op_sel_hi:[0,1,0]
	v_fma_mixlo_f16 v58, v55, v59, 0 op_sel_hi:[0,1,0]
	v_and_b32_e32 v63, 0xffff, v11
	v_lshlrev_b32_e32 v55, 16, v12
	v_and_b32_e32 v59, 0xffff, v56
	v_lshlrev_b32_e32 v9, 16, v9
	v_and_b32_e32 v56, 0xffff, v58
	v_or_b32_e32 v58, v1, v10
	v_or_b32_e32 v62, v57, v63
	;; [unrolled: 1-line block ×4, first 2 shown]
	s_and_saveexec_b32 s21, vcc_lo
	s_cbranch_execz .LBB276_1006
; %bb.1005:                             ;   in Loop: Header=BB276_675 Depth=1
	v_cmp_gt_i32_e64 s0, s33, v35
	v_cndmask_b32_e64 v11, 0, v63, s0
	v_cmp_gt_i32_e64 s0, s33, v47
	v_cndmask_b32_e64 v12, 0, v57, s0
	v_cmp_gt_i32_e64 s0, s33, v45
	v_or_b32_e32 v62, v12, v11
	v_cndmask_b32_e64 v10, 0, v10, s0
	v_cmp_gt_i32_e64 s0, s33, v43
	v_cndmask_b32_e64 v1, 0, v1, s0
	v_cmp_gt_i32_e64 s0, s33, v41
	v_or_b32_e32 v58, v1, v10
	v_cndmask_b32_e64 v57, 0, v59, s0
	v_cmp_gt_i32_e64 s0, s33, v39
	v_cndmask_b32_e64 v55, 0, v55, s0
	v_cmp_gt_i32_e64 s0, s33, v37
	v_or_b32_e32 v61, v55, v57
	v_cndmask_b32_e64 v56, 0, v56, s0
	v_cmp_gt_i32_e64 s0, s33, v36
	v_cndmask_b32_e64 v9, 0, v9, s0
	v_or_b32_e32 v60, v9, v56
.LBB276_1006:                           ;   in Loop: Header=BB276_675 Depth=1
	s_or_b32 exec_lo, exec_lo, s21
	;;#ASMSTART
	v_pk_mul_f16 v1, v48, v62;

	;;#ASMEND
	;;#ASMSTART
	v_pk_mul_f16 v9, v46, v58;

	;;#ASMEND
	;; [unrolled: 4-line block ×4, first 2 shown]
	;;#ASMSTART
	v_pk_add_f16 v1, v1, v9;

	;;#ASMEND
	;;#ASMSTART
	v_pk_add_f16 v1, v1, v10;

	;;#ASMEND
	;; [unrolled: 4-line block ×3, first 2 shown]
	v_and_b32_e32 v9, 0xffff, v1
	v_lshrrev_b32_e32 v1, 16, v1
	;;#ASMSTART
	v_cvt_f32_f16 v55, v9;
	;;#ASMEND
	;;#ASMSTART
	v_cvt_f32_f16 v56, v1;
	;;#ASMEND
	global_load_dwordx2 v[9:10], v[7:8], off offset:1280
	v_mov_b32_e32 v58, 0
	v_mov_b32_e32 v59, 0
	global_load_dword v57, v58, s[14:15]
	s_waitcnt vmcnt(1)
	v_cmp_ne_u16_sdwa s0, v9, v2 src0_sel:BYTE_0 src1_sel:DWORD
	s_and_saveexec_b32 s21, s0
	s_cbranch_execz .LBB276_1014
; %bb.1007:                             ;   in Loop: Header=BB276_675 Depth=1
	v_cmp_ne_u16_sdwa s0, v9, v14 src0_sel:BYTE_0 src1_sel:DWORD
	v_mov_b32_e32 v59, 0x8000
	s_and_saveexec_b32 s22, s0
	s_cbranch_execz .LBB276_1013
; %bb.1008:                             ;   in Loop: Header=BB276_675 Depth=1
	v_and_b32_e32 v60, 0x7f, v9
	v_mov_b32_e32 v59, 0x7c01
	s_mov_b32 s26, exec_lo
	v_cmpx_ne_u32_e32 0x7f, v60
	s_cbranch_execz .LBB276_1012
; %bb.1009:                             ;   in Loop: Header=BB276_675 Depth=1
	v_and_b32_e32 v1, 7, v9
	v_lshrrev_b32_e32 v59, 3, v60
	s_mov_b32 s27, exec_lo
	v_cmpx_gt_u32_e32 8, v60
; %bb.1010:                             ;   in Loop: Header=BB276_675 Depth=1
	v_ffbh_u32_e32 v1, v1
	v_min_u32_e32 v1, 32, v1
	v_subrev_nc_u32_e32 v11, 28, v1
	v_sub_nc_u32_e32 v59, 29, v1
	v_lshlrev_b64 v[11:12], v11, v[9:10]
	v_and_b32_e32 v1, 7, v11
; %bb.1011:                             ;   in Loop: Header=BB276_675 Depth=1
	s_or_b32 exec_lo, exec_lo, s27
	v_lshlrev_b32_e32 v11, 8, v9
	v_lshl_add_u32 v12, v59, 10, 0x2000
	v_lshlrev_b32_e32 v1, 7, v1
	v_and_b32_e32 v11, 0x8000, v11
	v_and_b32_e32 v12, 0xfc00, v12
	v_or3_b32 v59, v11, v12, v1
.LBB276_1012:                           ;   in Loop: Header=BB276_675 Depth=1
	s_or_b32 exec_lo, exec_lo, s26
.LBB276_1013:                           ;   in Loop: Header=BB276_675 Depth=1
	s_or_b32 exec_lo, exec_lo, s22
.LBB276_1014:                           ;   in Loop: Header=BB276_675 Depth=1
	s_or_b32 exec_lo, exec_lo, s21
	v_lshrrev_b16 v1, 8, v9
	s_mov_b32 s21, exec_lo
	v_cmpx_ne_u16_e32 0, v1
	s_cbranch_execz .LBB276_1022
; %bb.1015:                             ;   in Loop: Header=BB276_675 Depth=1
	v_bfrev_b32_e32 v58, 1
	s_mov_b32 s22, exec_lo
	v_cmpx_ne_u16_e32 0x80, v1
	s_cbranch_execz .LBB276_1021
; %bb.1016:                             ;   in Loop: Header=BB276_675 Depth=1
	v_and_b32_sdwa v61, v1, v28 dst_sel:DWORD dst_unused:UNUSED_PAD src0_sel:WORD_0 src1_sel:DWORD
	v_mov_b32_e32 v58, 0x7c010000
	s_mov_b32 s26, exec_lo
	v_cmpx_ne_u32_e32 0x7f, v61
	s_cbranch_execz .LBB276_1020
; %bb.1017:                             ;   in Loop: Header=BB276_675 Depth=1
	v_and_b32_sdwa v58, v1, v29 dst_sel:DWORD dst_unused:UNUSED_PAD src0_sel:WORD_0 src1_sel:DWORD
	v_lshrrev_b32_e32 v60, 3, v61
	s_mov_b32 s27, exec_lo
	v_cmpx_gt_u32_e32 8, v61
; %bb.1018:                             ;   in Loop: Header=BB276_675 Depth=1
	v_ffbh_u32_e32 v11, v58
	v_min_u32_e32 v58, 32, v11
	v_subrev_nc_u32_e32 v11, 28, v58
	v_sub_nc_u32_e32 v60, 29, v58
	v_lshlrev_b64 v[11:12], v11, v[1:2]
	v_and_b32_e32 v58, 7, v11
; %bb.1019:                             ;   in Loop: Header=BB276_675 Depth=1
	s_or_b32 exec_lo, exec_lo, s27
	v_lshlrev_b32_sdwa v1, v30, v1 dst_sel:DWORD dst_unused:UNUSED_PAD src0_sel:DWORD src1_sel:WORD_0
	v_lshl_add_u32 v11, v60, 10, 0x2000
	v_and_or_b32 v1, 0x8000, v1, v11
	v_lshlrev_b32_e32 v11, 23, v58
	v_lshl_or_b32 v58, v1, 16, v11
.LBB276_1020:                           ;   in Loop: Header=BB276_675 Depth=1
	s_or_b32 exec_lo, exec_lo, s26
.LBB276_1021:                           ;   in Loop: Header=BB276_675 Depth=1
	s_or_b32 exec_lo, exec_lo, s22
.LBB276_1022:                           ;   in Loop: Header=BB276_675 Depth=1
	s_or_b32 exec_lo, exec_lo, s21
	v_lshrrev_b32_e32 v1, 16, v9
	v_mov_b32_e32 v60, 0
	v_mov_b32_e32 v61, 0
	v_cmp_ne_u16_sdwa s0, v1, v2 src0_sel:BYTE_0 src1_sel:DWORD
	s_and_saveexec_b32 s21, s0
	s_cbranch_execz .LBB276_1030
; %bb.1023:                             ;   in Loop: Header=BB276_675 Depth=1
	v_cmp_ne_u16_sdwa s0, v1, v14 src0_sel:BYTE_0 src1_sel:DWORD
	v_mov_b32_e32 v61, 0x8000
	s_and_saveexec_b32 s22, s0
	s_cbranch_execz .LBB276_1029
; %bb.1024:                             ;   in Loop: Header=BB276_675 Depth=1
	v_bfe_u32 v63, v9, 16, 7
	v_mov_b32_e32 v61, 0x7c01
	s_mov_b32 s26, exec_lo
	v_cmpx_ne_u32_e32 0x7f, v63
	s_cbranch_execz .LBB276_1028
; %bb.1025:                             ;   in Loop: Header=BB276_675 Depth=1
	v_and_b32_e32 v61, 7, v1
	v_lshrrev_b32_e32 v62, 3, v63
	s_mov_b32 s27, exec_lo
	v_cmpx_gt_u32_e32 8, v63
; %bb.1026:                             ;   in Loop: Header=BB276_675 Depth=1
	v_ffbh_u32_e32 v11, v61
	v_min_u32_e32 v61, 32, v11
	v_subrev_nc_u32_e32 v11, 28, v61
	v_sub_nc_u32_e32 v62, 29, v61
	v_lshlrev_b64 v[11:12], v11, v[1:2]
	v_and_b32_e32 v61, 7, v11
; %bb.1027:                             ;   in Loop: Header=BB276_675 Depth=1
	s_or_b32 exec_lo, exec_lo, s27
	v_lshlrev_b32_e32 v1, 8, v1
	v_lshl_add_u32 v11, v62, 10, 0x2000
	v_lshlrev_b32_e32 v12, 7, v61
	v_and_b32_e32 v1, 0x8000, v1
	v_and_b32_e32 v11, 0xfc00, v11
	v_or3_b32 v61, v1, v11, v12
.LBB276_1028:                           ;   in Loop: Header=BB276_675 Depth=1
	s_or_b32 exec_lo, exec_lo, s26
.LBB276_1029:                           ;   in Loop: Header=BB276_675 Depth=1
	s_or_b32 exec_lo, exec_lo, s22
.LBB276_1030:                           ;   in Loop: Header=BB276_675 Depth=1
	s_or_b32 exec_lo, exec_lo, s21
	s_mov_b32 s21, exec_lo
	v_cmpx_lt_u32_e32 0xffffff, v9
	s_cbranch_execz .LBB276_1038
; %bb.1031:                             ;   in Loop: Header=BB276_675 Depth=1
	v_lshrrev_b32_e32 v1, 24, v9
	v_bfrev_b32_e32 v60, 1
	s_mov_b32 s22, exec_lo
	v_cmpx_ne_u32_e32 0x80, v1
	s_cbranch_execz .LBB276_1037
; %bb.1032:                             ;   in Loop: Header=BB276_675 Depth=1
	v_and_b32_e32 v63, 0x7f, v1
	v_mov_b32_e32 v60, 0x7c010000
	s_mov_b32 s26, exec_lo
	v_cmpx_ne_u32_e32 0x7f, v63
	s_cbranch_execz .LBB276_1036
; %bb.1033:                             ;   in Loop: Header=BB276_675 Depth=1
	v_and_b32_e32 v60, 7, v1
	v_lshrrev_b32_e32 v62, 3, v63
	s_mov_b32 s27, exec_lo
	v_cmpx_gt_u32_e32 8, v63
; %bb.1034:                             ;   in Loop: Header=BB276_675 Depth=1
	v_ffbh_u32_e32 v11, v60
	v_min_u32_e32 v60, 32, v11
	v_subrev_nc_u32_e32 v11, 28, v60
	v_sub_nc_u32_e32 v62, 29, v60
	v_lshlrev_b64 v[11:12], v11, v[1:2]
	v_and_b32_e32 v60, 7, v11
; %bb.1035:                             ;   in Loop: Header=BB276_675 Depth=1
	s_or_b32 exec_lo, exec_lo, s27
	v_lshlrev_b32_e32 v1, 8, v1
	v_lshl_add_u32 v11, v62, 10, 0x2000
	v_and_or_b32 v1, 0x8000, v1, v11
	v_lshlrev_b32_e32 v11, 23, v60
	v_lshl_or_b32 v60, v1, 16, v11
.LBB276_1036:                           ;   in Loop: Header=BB276_675 Depth=1
	s_or_b32 exec_lo, exec_lo, s26
.LBB276_1037:                           ;   in Loop: Header=BB276_675 Depth=1
	s_or_b32 exec_lo, exec_lo, s22
.LBB276_1038:                           ;   in Loop: Header=BB276_675 Depth=1
	s_or_b32 exec_lo, exec_lo, s21
	v_mov_b32_e32 v1, v10
	v_cmp_ne_u16_sdwa s0, v10, v2 src0_sel:BYTE_0 src1_sel:DWORD
	v_mov_b32_e32 v62, 0
	v_mov_b32_e32 v63, 0
	s_and_saveexec_b32 s21, s0
	s_cbranch_execz .LBB276_1046
; %bb.1039:                             ;   in Loop: Header=BB276_675 Depth=1
	v_cmp_ne_u16_sdwa s0, v10, v14 src0_sel:BYTE_0 src1_sel:DWORD
	v_mov_b32_e32 v63, 0x8000
	s_and_saveexec_b32 s22, s0
	s_cbranch_execz .LBB276_1045
; %bb.1040:                             ;   in Loop: Header=BB276_675 Depth=1
	v_and_b32_e32 v65, 0x7f, v10
	v_mov_b32_e32 v63, 0x7c01
	s_mov_b32 s26, exec_lo
	v_cmpx_ne_u32_e32 0x7f, v65
	s_cbranch_execz .LBB276_1044
; %bb.1041:                             ;   in Loop: Header=BB276_675 Depth=1
	v_and_b32_e32 v63, 7, v10
	v_lshrrev_b32_e32 v64, 3, v65
	s_mov_b32 s27, exec_lo
	v_cmpx_gt_u32_e32 8, v65
; %bb.1042:                             ;   in Loop: Header=BB276_675 Depth=1
	v_ffbh_u32_e32 v11, v63
	v_min_u32_e32 v63, 32, v11
	v_subrev_nc_u32_e32 v11, 28, v63
	v_sub_nc_u32_e32 v64, 29, v63
	v_lshlrev_b64 v[11:12], v11, v[1:2]
	v_and_b32_e32 v63, 7, v11
; %bb.1043:                             ;   in Loop: Header=BB276_675 Depth=1
	s_or_b32 exec_lo, exec_lo, s27
	v_lshlrev_b32_e32 v11, 8, v10
	v_lshl_add_u32 v12, v64, 10, 0x2000
	v_lshlrev_b32_e32 v63, 7, v63
	v_and_b32_e32 v11, 0x8000, v11
	v_and_b32_e32 v12, 0xfc00, v12
	v_or3_b32 v63, v11, v12, v63
.LBB276_1044:                           ;   in Loop: Header=BB276_675 Depth=1
	s_or_b32 exec_lo, exec_lo, s26
.LBB276_1045:                           ;   in Loop: Header=BB276_675 Depth=1
	s_or_b32 exec_lo, exec_lo, s22
.LBB276_1046:                           ;   in Loop: Header=BB276_675 Depth=1
	s_or_b32 exec_lo, exec_lo, s21
	v_lshrrev_b16 v1, 8, v1
	v_mov_b32_e32 v64, 0
	s_mov_b32 s21, exec_lo
	v_cmpx_ne_u16_e32 0, v1
	s_cbranch_execz .LBB276_1054
; %bb.1047:                             ;   in Loop: Header=BB276_675 Depth=1
	v_bfrev_b32_e32 v64, 1
	s_mov_b32 s22, exec_lo
	v_cmpx_ne_u16_e32 0x80, v1
	s_cbranch_execz .LBB276_1053
; %bb.1048:                             ;   in Loop: Header=BB276_675 Depth=1
	v_and_b32_sdwa v66, v1, v28 dst_sel:DWORD dst_unused:UNUSED_PAD src0_sel:WORD_0 src1_sel:DWORD
	v_mov_b32_e32 v64, 0x7c010000
	s_mov_b32 s26, exec_lo
	v_cmpx_ne_u32_e32 0x7f, v66
	s_cbranch_execz .LBB276_1052
; %bb.1049:                             ;   in Loop: Header=BB276_675 Depth=1
	v_and_b32_sdwa v64, v1, v29 dst_sel:DWORD dst_unused:UNUSED_PAD src0_sel:WORD_0 src1_sel:DWORD
	v_lshrrev_b32_e32 v65, 3, v66
	s_mov_b32 s27, exec_lo
	v_cmpx_gt_u32_e32 8, v66
; %bb.1050:                             ;   in Loop: Header=BB276_675 Depth=1
	v_ffbh_u32_e32 v11, v64
	v_min_u32_e32 v64, 32, v11
	v_subrev_nc_u32_e32 v11, 28, v64
	v_sub_nc_u32_e32 v65, 29, v64
	v_lshlrev_b64 v[11:12], v11, v[1:2]
	v_and_b32_e32 v64, 7, v11
; %bb.1051:                             ;   in Loop: Header=BB276_675 Depth=1
	s_or_b32 exec_lo, exec_lo, s27
	v_lshlrev_b32_sdwa v1, v30, v1 dst_sel:DWORD dst_unused:UNUSED_PAD src0_sel:DWORD src1_sel:WORD_0
	v_lshl_add_u32 v11, v65, 10, 0x2000
	v_and_or_b32 v1, 0x8000, v1, v11
	v_lshlrev_b32_e32 v11, 23, v64
	v_lshl_or_b32 v64, v1, 16, v11
.LBB276_1052:                           ;   in Loop: Header=BB276_675 Depth=1
	s_or_b32 exec_lo, exec_lo, s26
.LBB276_1053:                           ;   in Loop: Header=BB276_675 Depth=1
	s_or_b32 exec_lo, exec_lo, s22
.LBB276_1054:                           ;   in Loop: Header=BB276_675 Depth=1
	s_or_b32 exec_lo, exec_lo, s21
	v_lshrrev_b32_e32 v1, 16, v10
	v_cmp_ne_u16_sdwa s0, v1, v2 src0_sel:BYTE_0 src1_sel:DWORD
	s_and_saveexec_b32 s21, s0
	s_cbranch_execz .LBB276_1062
; %bb.1055:                             ;   in Loop: Header=BB276_675 Depth=1
	v_cmp_ne_u16_sdwa s0, v1, v14 src0_sel:BYTE_0 src1_sel:DWORD
	v_mov_b32_e32 v62, 0x8000
	s_and_saveexec_b32 s22, s0
	s_cbranch_execz .LBB276_1061
; %bb.1056:                             ;   in Loop: Header=BB276_675 Depth=1
	v_bfe_u32 v66, v10, 16, 7
	v_mov_b32_e32 v62, 0x7c01
	s_mov_b32 s26, exec_lo
	v_cmpx_ne_u32_e32 0x7f, v66
	s_cbranch_execz .LBB276_1060
; %bb.1057:                             ;   in Loop: Header=BB276_675 Depth=1
	v_and_b32_e32 v62, 7, v1
	v_lshrrev_b32_e32 v65, 3, v66
	s_mov_b32 s27, exec_lo
	v_cmpx_gt_u32_e32 8, v66
; %bb.1058:                             ;   in Loop: Header=BB276_675 Depth=1
	v_ffbh_u32_e32 v11, v62
	v_min_u32_e32 v62, 32, v11
	v_subrev_nc_u32_e32 v11, 28, v62
	v_sub_nc_u32_e32 v65, 29, v62
	v_lshlrev_b64 v[11:12], v11, v[1:2]
	v_and_b32_e32 v62, 7, v11
; %bb.1059:                             ;   in Loop: Header=BB276_675 Depth=1
	s_or_b32 exec_lo, exec_lo, s27
	v_lshlrev_b32_e32 v1, 8, v1
	v_lshl_add_u32 v11, v65, 10, 0x2000
	v_lshlrev_b32_e32 v12, 7, v62
	v_and_b32_e32 v1, 0x8000, v1
	v_and_b32_e32 v11, 0xfc00, v11
	v_or3_b32 v62, v1, v11, v12
.LBB276_1060:                           ;   in Loop: Header=BB276_675 Depth=1
	s_or_b32 exec_lo, exec_lo, s26
.LBB276_1061:                           ;   in Loop: Header=BB276_675 Depth=1
	s_or_b32 exec_lo, exec_lo, s22
.LBB276_1062:                           ;   in Loop: Header=BB276_675 Depth=1
	s_or_b32 exec_lo, exec_lo, s21
	v_cmp_lt_u64_e64 s0, s[2:3], v[9:10]
	v_mov_b32_e32 v9, 0
	s_and_saveexec_b32 s21, s0
	s_cbranch_execz .LBB276_1070
; %bb.1063:                             ;   in Loop: Header=BB276_675 Depth=1
	v_lshrrev_b32_e32 v1, 24, v10
	v_bfrev_b32_e32 v9, 1
	s_mov_b32 s22, exec_lo
	v_cmpx_ne_u32_e32 0x80, v1
	s_cbranch_execz .LBB276_1069
; %bb.1064:                             ;   in Loop: Header=BB276_675 Depth=1
	v_and_b32_e32 v65, 0x7f, v1
	v_mov_b32_e32 v9, 0x7c010000
	s_mov_b32 s26, exec_lo
	v_cmpx_ne_u32_e32 0x7f, v65
	s_cbranch_execz .LBB276_1068
; %bb.1065:                             ;   in Loop: Header=BB276_675 Depth=1
	v_and_b32_e32 v9, 7, v1
	v_lshrrev_b32_e32 v10, 3, v65
	s_mov_b32 s27, exec_lo
	v_cmpx_gt_u32_e32 8, v65
; %bb.1066:                             ;   in Loop: Header=BB276_675 Depth=1
	v_ffbh_u32_e32 v9, v9
	v_min_u32_e32 v11, 32, v9
	v_subrev_nc_u32_e32 v9, 28, v11
	v_lshlrev_b64 v[9:10], v9, v[1:2]
	v_sub_nc_u32_e32 v10, 29, v11
	v_and_b32_e32 v9, 7, v9
; %bb.1067:                             ;   in Loop: Header=BB276_675 Depth=1
	s_or_b32 exec_lo, exec_lo, s27
	v_lshlrev_b32_e32 v1, 8, v1
	v_lshl_add_u32 v10, v10, 10, 0x2000
	v_lshlrev_b32_e32 v9, 23, v9
	v_and_or_b32 v1, 0x8000, v1, v10
	v_lshl_or_b32 v9, v1, 16, v9
.LBB276_1068:                           ;   in Loop: Header=BB276_675 Depth=1
	s_or_b32 exec_lo, exec_lo, s26
.LBB276_1069:                           ;   in Loop: Header=BB276_675 Depth=1
	s_or_b32 exec_lo, exec_lo, s22
.LBB276_1070:                           ;   in Loop: Header=BB276_675 Depth=1
	s_or_b32 exec_lo, exec_lo, s21
	v_or_b32_e32 v1, v60, v61
	s_waitcnt vmcnt(0)
	v_fma_mixlo_f16 v10, v57, v60, 0 op_sel:[0,1,0] op_sel_hi:[0,1,0]
	v_or_b32_e32 v11, v58, v59
	v_fma_mixlo_f16 v12, v57, v58, 0 op_sel:[0,1,0] op_sel_hi:[0,1,0]
	v_or_b32_e32 v58, v64, v63
	v_fma_mixlo_f16 v60, v57, v1, 0 op_sel_hi:[0,1,0]
	v_or_b32_e32 v61, v9, v62
	v_lshlrev_b32_e32 v1, 16, v10
	v_lshlrev_b32_e32 v59, 16, v12
	v_fma_mixlo_f16 v11, v57, v11, 0 op_sel_hi:[0,1,0]
	v_and_b32_e32 v10, 0xffff, v60
	v_fma_mixlo_f16 v12, v57, v64, 0 op_sel:[0,1,0] op_sel_hi:[0,1,0]
	v_fma_mixlo_f16 v58, v57, v58, 0 op_sel_hi:[0,1,0]
	v_fma_mixlo_f16 v9, v57, v9, 0 op_sel:[0,1,0] op_sel_hi:[0,1,0]
	v_fma_mixlo_f16 v60, v57, v61, 0 op_sel_hi:[0,1,0]
	v_and_b32_e32 v65, 0xffff, v11
	v_lshlrev_b32_e32 v57, 16, v12
	v_and_b32_e32 v61, 0xffff, v58
	v_lshlrev_b32_e32 v9, 16, v9
	v_and_b32_e32 v58, 0xffff, v60
	v_or_b32_e32 v60, v1, v10
	v_or_b32_e32 v64, v59, v65
	;; [unrolled: 1-line block ×4, first 2 shown]
	s_and_saveexec_b32 s21, vcc_lo
	s_cbranch_execz .LBB276_1072
; %bb.1071:                             ;   in Loop: Header=BB276_675 Depth=1
	v_cmp_gt_i32_e64 s0, s33, v35
	v_cndmask_b32_e64 v11, 0, v65, s0
	v_cmp_gt_i32_e64 s0, s33, v47
	v_cndmask_b32_e64 v12, 0, v59, s0
	v_cmp_gt_i32_e64 s0, s33, v45
	v_or_b32_e32 v64, v12, v11
	v_cndmask_b32_e64 v10, 0, v10, s0
	v_cmp_gt_i32_e64 s0, s33, v43
	v_cndmask_b32_e64 v1, 0, v1, s0
	v_cmp_gt_i32_e64 s0, s33, v41
	v_or_b32_e32 v60, v1, v10
	;; [unrolled: 5-line block ×3, first 2 shown]
	v_cndmask_b32_e64 v58, 0, v58, s0
	v_cmp_gt_i32_e64 s0, s33, v36
	v_cndmask_b32_e64 v9, 0, v9, s0
	v_or_b32_e32 v62, v9, v58
.LBB276_1072:                           ;   in Loop: Header=BB276_675 Depth=1
	s_or_b32 exec_lo, exec_lo, s21
	;;#ASMSTART
	v_pk_mul_f16 v1, v48, v64;

	;;#ASMEND
	;;#ASMSTART
	v_pk_mul_f16 v9, v46, v60;

	;;#ASMEND
	;; [unrolled: 4-line block ×4, first 2 shown]
	;;#ASMSTART
	v_pk_add_f16 v1, v1, v9;

	;;#ASMEND
	;;#ASMSTART
	v_pk_add_f16 v1, v1, v10;

	;;#ASMEND
	;; [unrolled: 4-line block ×3, first 2 shown]
	v_and_b32_e32 v9, 0xffff, v1
	v_lshrrev_b32_e32 v1, 16, v1
	;;#ASMSTART
	v_cvt_f32_f16 v57, v9;
	;;#ASMEND
	;;#ASMSTART
	v_cvt_f32_f16 v58, v1;
	;;#ASMEND
	global_load_dwordx2 v[9:10], v[7:8], off offset:1536
	v_mov_b32_e32 v60, 0
	v_mov_b32_e32 v61, 0
	global_load_dword v59, v60, s[14:15]
	s_waitcnt vmcnt(1)
	v_cmp_ne_u16_sdwa s0, v9, v2 src0_sel:BYTE_0 src1_sel:DWORD
	s_and_saveexec_b32 s21, s0
	s_cbranch_execz .LBB276_1080
; %bb.1073:                             ;   in Loop: Header=BB276_675 Depth=1
	v_cmp_ne_u16_sdwa s0, v9, v14 src0_sel:BYTE_0 src1_sel:DWORD
	v_mov_b32_e32 v61, 0x8000
	s_and_saveexec_b32 s22, s0
	s_cbranch_execz .LBB276_1079
; %bb.1074:                             ;   in Loop: Header=BB276_675 Depth=1
	v_and_b32_e32 v62, 0x7f, v9
	v_mov_b32_e32 v61, 0x7c01
	s_mov_b32 s26, exec_lo
	v_cmpx_ne_u32_e32 0x7f, v62
	s_cbranch_execz .LBB276_1078
; %bb.1075:                             ;   in Loop: Header=BB276_675 Depth=1
	v_and_b32_e32 v1, 7, v9
	v_lshrrev_b32_e32 v61, 3, v62
	s_mov_b32 s27, exec_lo
	v_cmpx_gt_u32_e32 8, v62
; %bb.1076:                             ;   in Loop: Header=BB276_675 Depth=1
	v_ffbh_u32_e32 v1, v1
	v_min_u32_e32 v1, 32, v1
	v_subrev_nc_u32_e32 v11, 28, v1
	v_sub_nc_u32_e32 v61, 29, v1
	v_lshlrev_b64 v[11:12], v11, v[9:10]
	v_and_b32_e32 v1, 7, v11
; %bb.1077:                             ;   in Loop: Header=BB276_675 Depth=1
	s_or_b32 exec_lo, exec_lo, s27
	v_lshlrev_b32_e32 v11, 8, v9
	v_lshl_add_u32 v12, v61, 10, 0x2000
	v_lshlrev_b32_e32 v1, 7, v1
	v_and_b32_e32 v11, 0x8000, v11
	v_and_b32_e32 v12, 0xfc00, v12
	v_or3_b32 v61, v11, v12, v1
.LBB276_1078:                           ;   in Loop: Header=BB276_675 Depth=1
	s_or_b32 exec_lo, exec_lo, s26
.LBB276_1079:                           ;   in Loop: Header=BB276_675 Depth=1
	s_or_b32 exec_lo, exec_lo, s22
.LBB276_1080:                           ;   in Loop: Header=BB276_675 Depth=1
	s_or_b32 exec_lo, exec_lo, s21
	v_lshrrev_b16 v1, 8, v9
	s_mov_b32 s21, exec_lo
	v_cmpx_ne_u16_e32 0, v1
	s_cbranch_execz .LBB276_1088
; %bb.1081:                             ;   in Loop: Header=BB276_675 Depth=1
	v_bfrev_b32_e32 v60, 1
	s_mov_b32 s22, exec_lo
	v_cmpx_ne_u16_e32 0x80, v1
	s_cbranch_execz .LBB276_1087
; %bb.1082:                             ;   in Loop: Header=BB276_675 Depth=1
	v_and_b32_sdwa v63, v1, v28 dst_sel:DWORD dst_unused:UNUSED_PAD src0_sel:WORD_0 src1_sel:DWORD
	v_mov_b32_e32 v60, 0x7c010000
	s_mov_b32 s26, exec_lo
	v_cmpx_ne_u32_e32 0x7f, v63
	s_cbranch_execz .LBB276_1086
; %bb.1083:                             ;   in Loop: Header=BB276_675 Depth=1
	v_and_b32_sdwa v60, v1, v29 dst_sel:DWORD dst_unused:UNUSED_PAD src0_sel:WORD_0 src1_sel:DWORD
	v_lshrrev_b32_e32 v62, 3, v63
	s_mov_b32 s27, exec_lo
	v_cmpx_gt_u32_e32 8, v63
; %bb.1084:                             ;   in Loop: Header=BB276_675 Depth=1
	v_ffbh_u32_e32 v11, v60
	v_min_u32_e32 v60, 32, v11
	v_subrev_nc_u32_e32 v11, 28, v60
	v_sub_nc_u32_e32 v62, 29, v60
	v_lshlrev_b64 v[11:12], v11, v[1:2]
	v_and_b32_e32 v60, 7, v11
; %bb.1085:                             ;   in Loop: Header=BB276_675 Depth=1
	s_or_b32 exec_lo, exec_lo, s27
	v_lshlrev_b32_sdwa v1, v30, v1 dst_sel:DWORD dst_unused:UNUSED_PAD src0_sel:DWORD src1_sel:WORD_0
	v_lshl_add_u32 v11, v62, 10, 0x2000
	v_and_or_b32 v1, 0x8000, v1, v11
	v_lshlrev_b32_e32 v11, 23, v60
	v_lshl_or_b32 v60, v1, 16, v11
.LBB276_1086:                           ;   in Loop: Header=BB276_675 Depth=1
	s_or_b32 exec_lo, exec_lo, s26
.LBB276_1087:                           ;   in Loop: Header=BB276_675 Depth=1
	s_or_b32 exec_lo, exec_lo, s22
.LBB276_1088:                           ;   in Loop: Header=BB276_675 Depth=1
	s_or_b32 exec_lo, exec_lo, s21
	v_lshrrev_b32_e32 v1, 16, v9
	v_mov_b32_e32 v62, 0
	v_mov_b32_e32 v63, 0
	v_cmp_ne_u16_sdwa s0, v1, v2 src0_sel:BYTE_0 src1_sel:DWORD
	s_and_saveexec_b32 s21, s0
	s_cbranch_execz .LBB276_1096
; %bb.1089:                             ;   in Loop: Header=BB276_675 Depth=1
	v_cmp_ne_u16_sdwa s0, v1, v14 src0_sel:BYTE_0 src1_sel:DWORD
	v_mov_b32_e32 v63, 0x8000
	s_and_saveexec_b32 s22, s0
	s_cbranch_execz .LBB276_1095
; %bb.1090:                             ;   in Loop: Header=BB276_675 Depth=1
	v_bfe_u32 v65, v9, 16, 7
	v_mov_b32_e32 v63, 0x7c01
	s_mov_b32 s26, exec_lo
	v_cmpx_ne_u32_e32 0x7f, v65
	s_cbranch_execz .LBB276_1094
; %bb.1091:                             ;   in Loop: Header=BB276_675 Depth=1
	v_and_b32_e32 v63, 7, v1
	v_lshrrev_b32_e32 v64, 3, v65
	s_mov_b32 s27, exec_lo
	v_cmpx_gt_u32_e32 8, v65
; %bb.1092:                             ;   in Loop: Header=BB276_675 Depth=1
	v_ffbh_u32_e32 v11, v63
	v_min_u32_e32 v63, 32, v11
	v_subrev_nc_u32_e32 v11, 28, v63
	v_sub_nc_u32_e32 v64, 29, v63
	v_lshlrev_b64 v[11:12], v11, v[1:2]
	v_and_b32_e32 v63, 7, v11
; %bb.1093:                             ;   in Loop: Header=BB276_675 Depth=1
	s_or_b32 exec_lo, exec_lo, s27
	v_lshlrev_b32_e32 v1, 8, v1
	v_lshl_add_u32 v11, v64, 10, 0x2000
	v_lshlrev_b32_e32 v12, 7, v63
	v_and_b32_e32 v1, 0x8000, v1
	v_and_b32_e32 v11, 0xfc00, v11
	v_or3_b32 v63, v1, v11, v12
.LBB276_1094:                           ;   in Loop: Header=BB276_675 Depth=1
	s_or_b32 exec_lo, exec_lo, s26
.LBB276_1095:                           ;   in Loop: Header=BB276_675 Depth=1
	s_or_b32 exec_lo, exec_lo, s22
.LBB276_1096:                           ;   in Loop: Header=BB276_675 Depth=1
	s_or_b32 exec_lo, exec_lo, s21
	s_mov_b32 s21, exec_lo
	v_cmpx_lt_u32_e32 0xffffff, v9
	s_cbranch_execz .LBB276_1104
; %bb.1097:                             ;   in Loop: Header=BB276_675 Depth=1
	v_lshrrev_b32_e32 v1, 24, v9
	v_bfrev_b32_e32 v62, 1
	s_mov_b32 s22, exec_lo
	v_cmpx_ne_u32_e32 0x80, v1
	s_cbranch_execz .LBB276_1103
; %bb.1098:                             ;   in Loop: Header=BB276_675 Depth=1
	v_and_b32_e32 v65, 0x7f, v1
	v_mov_b32_e32 v62, 0x7c010000
	s_mov_b32 s26, exec_lo
	v_cmpx_ne_u32_e32 0x7f, v65
	s_cbranch_execz .LBB276_1102
; %bb.1099:                             ;   in Loop: Header=BB276_675 Depth=1
	v_and_b32_e32 v62, 7, v1
	v_lshrrev_b32_e32 v64, 3, v65
	s_mov_b32 s27, exec_lo
	v_cmpx_gt_u32_e32 8, v65
; %bb.1100:                             ;   in Loop: Header=BB276_675 Depth=1
	v_ffbh_u32_e32 v11, v62
	v_min_u32_e32 v62, 32, v11
	v_subrev_nc_u32_e32 v11, 28, v62
	v_sub_nc_u32_e32 v64, 29, v62
	v_lshlrev_b64 v[11:12], v11, v[1:2]
	v_and_b32_e32 v62, 7, v11
; %bb.1101:                             ;   in Loop: Header=BB276_675 Depth=1
	s_or_b32 exec_lo, exec_lo, s27
	v_lshlrev_b32_e32 v1, 8, v1
	v_lshl_add_u32 v11, v64, 10, 0x2000
	v_and_or_b32 v1, 0x8000, v1, v11
	v_lshlrev_b32_e32 v11, 23, v62
	v_lshl_or_b32 v62, v1, 16, v11
.LBB276_1102:                           ;   in Loop: Header=BB276_675 Depth=1
	s_or_b32 exec_lo, exec_lo, s26
.LBB276_1103:                           ;   in Loop: Header=BB276_675 Depth=1
	s_or_b32 exec_lo, exec_lo, s22
.LBB276_1104:                           ;   in Loop: Header=BB276_675 Depth=1
	s_or_b32 exec_lo, exec_lo, s21
	v_mov_b32_e32 v1, v10
	v_cmp_ne_u16_sdwa s0, v10, v2 src0_sel:BYTE_0 src1_sel:DWORD
	v_mov_b32_e32 v64, 0
	v_mov_b32_e32 v65, 0
	s_and_saveexec_b32 s21, s0
	s_cbranch_execz .LBB276_1112
; %bb.1105:                             ;   in Loop: Header=BB276_675 Depth=1
	v_cmp_ne_u16_sdwa s0, v10, v14 src0_sel:BYTE_0 src1_sel:DWORD
	v_mov_b32_e32 v65, 0x8000
	s_and_saveexec_b32 s22, s0
	s_cbranch_execz .LBB276_1111
; %bb.1106:                             ;   in Loop: Header=BB276_675 Depth=1
	v_and_b32_e32 v67, 0x7f, v10
	v_mov_b32_e32 v65, 0x7c01
	s_mov_b32 s26, exec_lo
	v_cmpx_ne_u32_e32 0x7f, v67
	s_cbranch_execz .LBB276_1110
; %bb.1107:                             ;   in Loop: Header=BB276_675 Depth=1
	v_and_b32_e32 v65, 7, v10
	v_lshrrev_b32_e32 v66, 3, v67
	s_mov_b32 s27, exec_lo
	v_cmpx_gt_u32_e32 8, v67
; %bb.1108:                             ;   in Loop: Header=BB276_675 Depth=1
	v_ffbh_u32_e32 v11, v65
	v_min_u32_e32 v65, 32, v11
	v_subrev_nc_u32_e32 v11, 28, v65
	v_sub_nc_u32_e32 v66, 29, v65
	v_lshlrev_b64 v[11:12], v11, v[1:2]
	v_and_b32_e32 v65, 7, v11
; %bb.1109:                             ;   in Loop: Header=BB276_675 Depth=1
	s_or_b32 exec_lo, exec_lo, s27
	v_lshlrev_b32_e32 v11, 8, v10
	v_lshl_add_u32 v12, v66, 10, 0x2000
	v_lshlrev_b32_e32 v65, 7, v65
	v_and_b32_e32 v11, 0x8000, v11
	v_and_b32_e32 v12, 0xfc00, v12
	v_or3_b32 v65, v11, v12, v65
.LBB276_1110:                           ;   in Loop: Header=BB276_675 Depth=1
	s_or_b32 exec_lo, exec_lo, s26
.LBB276_1111:                           ;   in Loop: Header=BB276_675 Depth=1
	s_or_b32 exec_lo, exec_lo, s22
.LBB276_1112:                           ;   in Loop: Header=BB276_675 Depth=1
	s_or_b32 exec_lo, exec_lo, s21
	v_lshrrev_b16 v1, 8, v1
	v_mov_b32_e32 v66, 0
	s_mov_b32 s21, exec_lo
	v_cmpx_ne_u16_e32 0, v1
	s_cbranch_execz .LBB276_1120
; %bb.1113:                             ;   in Loop: Header=BB276_675 Depth=1
	v_bfrev_b32_e32 v66, 1
	s_mov_b32 s22, exec_lo
	v_cmpx_ne_u16_e32 0x80, v1
	s_cbranch_execz .LBB276_1119
; %bb.1114:                             ;   in Loop: Header=BB276_675 Depth=1
	v_and_b32_sdwa v68, v1, v28 dst_sel:DWORD dst_unused:UNUSED_PAD src0_sel:WORD_0 src1_sel:DWORD
	v_mov_b32_e32 v66, 0x7c010000
	s_mov_b32 s26, exec_lo
	v_cmpx_ne_u32_e32 0x7f, v68
	s_cbranch_execz .LBB276_1118
; %bb.1115:                             ;   in Loop: Header=BB276_675 Depth=1
	v_and_b32_sdwa v66, v1, v29 dst_sel:DWORD dst_unused:UNUSED_PAD src0_sel:WORD_0 src1_sel:DWORD
	v_lshrrev_b32_e32 v67, 3, v68
	s_mov_b32 s27, exec_lo
	v_cmpx_gt_u32_e32 8, v68
; %bb.1116:                             ;   in Loop: Header=BB276_675 Depth=1
	v_ffbh_u32_e32 v11, v66
	v_min_u32_e32 v66, 32, v11
	v_subrev_nc_u32_e32 v11, 28, v66
	v_sub_nc_u32_e32 v67, 29, v66
	v_lshlrev_b64 v[11:12], v11, v[1:2]
	v_and_b32_e32 v66, 7, v11
; %bb.1117:                             ;   in Loop: Header=BB276_675 Depth=1
	s_or_b32 exec_lo, exec_lo, s27
	v_lshlrev_b32_sdwa v1, v30, v1 dst_sel:DWORD dst_unused:UNUSED_PAD src0_sel:DWORD src1_sel:WORD_0
	v_lshl_add_u32 v11, v67, 10, 0x2000
	v_and_or_b32 v1, 0x8000, v1, v11
	v_lshlrev_b32_e32 v11, 23, v66
	v_lshl_or_b32 v66, v1, 16, v11
.LBB276_1118:                           ;   in Loop: Header=BB276_675 Depth=1
	s_or_b32 exec_lo, exec_lo, s26
.LBB276_1119:                           ;   in Loop: Header=BB276_675 Depth=1
	s_or_b32 exec_lo, exec_lo, s22
.LBB276_1120:                           ;   in Loop: Header=BB276_675 Depth=1
	s_or_b32 exec_lo, exec_lo, s21
	v_lshrrev_b32_e32 v1, 16, v10
	v_cmp_ne_u16_sdwa s0, v1, v2 src0_sel:BYTE_0 src1_sel:DWORD
	s_and_saveexec_b32 s21, s0
	s_cbranch_execz .LBB276_1128
; %bb.1121:                             ;   in Loop: Header=BB276_675 Depth=1
	v_cmp_ne_u16_sdwa s0, v1, v14 src0_sel:BYTE_0 src1_sel:DWORD
	v_mov_b32_e32 v64, 0x8000
	s_and_saveexec_b32 s22, s0
	s_cbranch_execz .LBB276_1127
; %bb.1122:                             ;   in Loop: Header=BB276_675 Depth=1
	v_bfe_u32 v68, v10, 16, 7
	v_mov_b32_e32 v64, 0x7c01
	s_mov_b32 s26, exec_lo
	v_cmpx_ne_u32_e32 0x7f, v68
	s_cbranch_execz .LBB276_1126
; %bb.1123:                             ;   in Loop: Header=BB276_675 Depth=1
	v_and_b32_e32 v64, 7, v1
	v_lshrrev_b32_e32 v67, 3, v68
	s_mov_b32 s27, exec_lo
	v_cmpx_gt_u32_e32 8, v68
; %bb.1124:                             ;   in Loop: Header=BB276_675 Depth=1
	v_ffbh_u32_e32 v11, v64
	v_min_u32_e32 v64, 32, v11
	v_subrev_nc_u32_e32 v11, 28, v64
	v_sub_nc_u32_e32 v67, 29, v64
	v_lshlrev_b64 v[11:12], v11, v[1:2]
	v_and_b32_e32 v64, 7, v11
; %bb.1125:                             ;   in Loop: Header=BB276_675 Depth=1
	s_or_b32 exec_lo, exec_lo, s27
	v_lshlrev_b32_e32 v1, 8, v1
	v_lshl_add_u32 v11, v67, 10, 0x2000
	v_lshlrev_b32_e32 v12, 7, v64
	v_and_b32_e32 v1, 0x8000, v1
	v_and_b32_e32 v11, 0xfc00, v11
	v_or3_b32 v64, v1, v11, v12
.LBB276_1126:                           ;   in Loop: Header=BB276_675 Depth=1
	s_or_b32 exec_lo, exec_lo, s26
.LBB276_1127:                           ;   in Loop: Header=BB276_675 Depth=1
	s_or_b32 exec_lo, exec_lo, s22
.LBB276_1128:                           ;   in Loop: Header=BB276_675 Depth=1
	s_or_b32 exec_lo, exec_lo, s21
	v_cmp_lt_u64_e64 s0, s[2:3], v[9:10]
	v_mov_b32_e32 v9, 0
	s_and_saveexec_b32 s21, s0
	s_cbranch_execz .LBB276_1136
; %bb.1129:                             ;   in Loop: Header=BB276_675 Depth=1
	v_lshrrev_b32_e32 v1, 24, v10
	v_bfrev_b32_e32 v9, 1
	s_mov_b32 s22, exec_lo
	v_cmpx_ne_u32_e32 0x80, v1
	s_cbranch_execz .LBB276_1135
; %bb.1130:                             ;   in Loop: Header=BB276_675 Depth=1
	v_and_b32_e32 v67, 0x7f, v1
	v_mov_b32_e32 v9, 0x7c010000
	s_mov_b32 s26, exec_lo
	v_cmpx_ne_u32_e32 0x7f, v67
	s_cbranch_execz .LBB276_1134
; %bb.1131:                             ;   in Loop: Header=BB276_675 Depth=1
	v_and_b32_e32 v9, 7, v1
	v_lshrrev_b32_e32 v10, 3, v67
	s_mov_b32 s27, exec_lo
	v_cmpx_gt_u32_e32 8, v67
; %bb.1132:                             ;   in Loop: Header=BB276_675 Depth=1
	v_ffbh_u32_e32 v9, v9
	v_min_u32_e32 v11, 32, v9
	v_subrev_nc_u32_e32 v9, 28, v11
	v_lshlrev_b64 v[9:10], v9, v[1:2]
	v_sub_nc_u32_e32 v10, 29, v11
	v_and_b32_e32 v9, 7, v9
; %bb.1133:                             ;   in Loop: Header=BB276_675 Depth=1
	s_or_b32 exec_lo, exec_lo, s27
	v_lshlrev_b32_e32 v1, 8, v1
	v_lshl_add_u32 v10, v10, 10, 0x2000
	v_lshlrev_b32_e32 v9, 23, v9
	v_and_or_b32 v1, 0x8000, v1, v10
	v_lshl_or_b32 v9, v1, 16, v9
.LBB276_1134:                           ;   in Loop: Header=BB276_675 Depth=1
	s_or_b32 exec_lo, exec_lo, s26
.LBB276_1135:                           ;   in Loop: Header=BB276_675 Depth=1
	s_or_b32 exec_lo, exec_lo, s22
.LBB276_1136:                           ;   in Loop: Header=BB276_675 Depth=1
	s_or_b32 exec_lo, exec_lo, s21
	v_or_b32_e32 v1, v62, v63
	s_waitcnt vmcnt(0)
	v_fma_mixlo_f16 v10, v59, v62, 0 op_sel:[0,1,0] op_sel_hi:[0,1,0]
	v_or_b32_e32 v11, v60, v61
	v_fma_mixlo_f16 v12, v59, v60, 0 op_sel:[0,1,0] op_sel_hi:[0,1,0]
	v_or_b32_e32 v60, v66, v65
	v_fma_mixlo_f16 v62, v59, v1, 0 op_sel_hi:[0,1,0]
	v_or_b32_e32 v63, v9, v64
	v_lshlrev_b32_e32 v1, 16, v10
	v_lshlrev_b32_e32 v61, 16, v12
	v_fma_mixlo_f16 v11, v59, v11, 0 op_sel_hi:[0,1,0]
	v_and_b32_e32 v10, 0xffff, v62
	v_fma_mixlo_f16 v12, v59, v66, 0 op_sel:[0,1,0] op_sel_hi:[0,1,0]
	v_fma_mixlo_f16 v60, v59, v60, 0 op_sel_hi:[0,1,0]
	v_fma_mixlo_f16 v9, v59, v9, 0 op_sel:[0,1,0] op_sel_hi:[0,1,0]
	v_fma_mixlo_f16 v62, v59, v63, 0 op_sel_hi:[0,1,0]
	v_and_b32_e32 v67, 0xffff, v11
	v_lshlrev_b32_e32 v59, 16, v12
	v_and_b32_e32 v63, 0xffff, v60
	v_lshlrev_b32_e32 v9, 16, v9
	v_and_b32_e32 v60, 0xffff, v62
	v_or_b32_e32 v62, v1, v10
	v_or_b32_e32 v66, v61, v67
	;; [unrolled: 1-line block ×4, first 2 shown]
	s_and_saveexec_b32 s21, vcc_lo
	s_cbranch_execz .LBB276_1138
; %bb.1137:                             ;   in Loop: Header=BB276_675 Depth=1
	v_cmp_gt_i32_e64 s0, s33, v35
	v_cndmask_b32_e64 v11, 0, v67, s0
	v_cmp_gt_i32_e64 s0, s33, v47
	v_cndmask_b32_e64 v12, 0, v61, s0
	v_cmp_gt_i32_e64 s0, s33, v45
	v_or_b32_e32 v66, v12, v11
	v_cndmask_b32_e64 v10, 0, v10, s0
	v_cmp_gt_i32_e64 s0, s33, v43
	v_cndmask_b32_e64 v1, 0, v1, s0
	v_cmp_gt_i32_e64 s0, s33, v41
	v_or_b32_e32 v62, v1, v10
	;; [unrolled: 5-line block ×3, first 2 shown]
	v_cndmask_b32_e64 v60, 0, v60, s0
	v_cmp_gt_i32_e64 s0, s33, v36
	v_cndmask_b32_e64 v9, 0, v9, s0
	v_or_b32_e32 v64, v9, v60
.LBB276_1138:                           ;   in Loop: Header=BB276_675 Depth=1
	s_or_b32 exec_lo, exec_lo, s21
	;;#ASMSTART
	v_pk_mul_f16 v1, v48, v66;

	;;#ASMEND
	;;#ASMSTART
	v_pk_mul_f16 v9, v46, v62;

	;;#ASMEND
	;; [unrolled: 4-line block ×4, first 2 shown]
	;;#ASMSTART
	v_pk_add_f16 v1, v1, v9;

	;;#ASMEND
	;;#ASMSTART
	v_pk_add_f16 v1, v1, v10;

	;;#ASMEND
	;; [unrolled: 4-line block ×3, first 2 shown]
	v_and_b32_e32 v9, 0xffff, v1
	v_lshrrev_b32_e32 v1, 16, v1
	;;#ASMSTART
	v_cvt_f32_f16 v59, v9;
	;;#ASMEND
	;;#ASMSTART
	v_cvt_f32_f16 v60, v1;
	;;#ASMEND
	global_load_dwordx2 v[9:10], v[7:8], off offset:1792
	v_mov_b32_e32 v62, 0
	v_mov_b32_e32 v63, 0
	global_load_dword v61, v62, s[14:15]
	s_waitcnt vmcnt(1)
	v_cmp_ne_u16_sdwa s0, v9, v2 src0_sel:BYTE_0 src1_sel:DWORD
	s_and_saveexec_b32 s21, s0
	s_cbranch_execz .LBB276_1146
; %bb.1139:                             ;   in Loop: Header=BB276_675 Depth=1
	v_cmp_ne_u16_sdwa s0, v9, v14 src0_sel:BYTE_0 src1_sel:DWORD
	v_mov_b32_e32 v63, 0x8000
	s_and_saveexec_b32 s22, s0
	s_cbranch_execz .LBB276_1145
; %bb.1140:                             ;   in Loop: Header=BB276_675 Depth=1
	v_and_b32_e32 v64, 0x7f, v9
	v_mov_b32_e32 v63, 0x7c01
	s_mov_b32 s26, exec_lo
	v_cmpx_ne_u32_e32 0x7f, v64
	s_cbranch_execz .LBB276_1144
; %bb.1141:                             ;   in Loop: Header=BB276_675 Depth=1
	v_and_b32_e32 v1, 7, v9
	v_lshrrev_b32_e32 v63, 3, v64
	s_mov_b32 s27, exec_lo
	v_cmpx_gt_u32_e32 8, v64
; %bb.1142:                             ;   in Loop: Header=BB276_675 Depth=1
	v_ffbh_u32_e32 v1, v1
	v_min_u32_e32 v1, 32, v1
	v_subrev_nc_u32_e32 v11, 28, v1
	v_sub_nc_u32_e32 v63, 29, v1
	v_lshlrev_b64 v[11:12], v11, v[9:10]
	v_and_b32_e32 v1, 7, v11
; %bb.1143:                             ;   in Loop: Header=BB276_675 Depth=1
	s_or_b32 exec_lo, exec_lo, s27
	v_lshlrev_b32_e32 v11, 8, v9
	v_lshl_add_u32 v12, v63, 10, 0x2000
	v_lshlrev_b32_e32 v1, 7, v1
	v_and_b32_e32 v11, 0x8000, v11
	v_and_b32_e32 v12, 0xfc00, v12
	v_or3_b32 v63, v11, v12, v1
.LBB276_1144:                           ;   in Loop: Header=BB276_675 Depth=1
	s_or_b32 exec_lo, exec_lo, s26
.LBB276_1145:                           ;   in Loop: Header=BB276_675 Depth=1
	s_or_b32 exec_lo, exec_lo, s22
.LBB276_1146:                           ;   in Loop: Header=BB276_675 Depth=1
	s_or_b32 exec_lo, exec_lo, s21
	v_lshrrev_b16 v1, 8, v9
	s_mov_b32 s21, exec_lo
	v_cmpx_ne_u16_e32 0, v1
	s_cbranch_execz .LBB276_1154
; %bb.1147:                             ;   in Loop: Header=BB276_675 Depth=1
	v_bfrev_b32_e32 v62, 1
	s_mov_b32 s22, exec_lo
	v_cmpx_ne_u16_e32 0x80, v1
	s_cbranch_execz .LBB276_1153
; %bb.1148:                             ;   in Loop: Header=BB276_675 Depth=1
	v_and_b32_sdwa v65, v1, v28 dst_sel:DWORD dst_unused:UNUSED_PAD src0_sel:WORD_0 src1_sel:DWORD
	v_mov_b32_e32 v62, 0x7c010000
	s_mov_b32 s26, exec_lo
	v_cmpx_ne_u32_e32 0x7f, v65
	s_cbranch_execz .LBB276_1152
; %bb.1149:                             ;   in Loop: Header=BB276_675 Depth=1
	v_and_b32_sdwa v62, v1, v29 dst_sel:DWORD dst_unused:UNUSED_PAD src0_sel:WORD_0 src1_sel:DWORD
	v_lshrrev_b32_e32 v64, 3, v65
	s_mov_b32 s27, exec_lo
	v_cmpx_gt_u32_e32 8, v65
; %bb.1150:                             ;   in Loop: Header=BB276_675 Depth=1
	v_ffbh_u32_e32 v11, v62
	v_min_u32_e32 v62, 32, v11
	v_subrev_nc_u32_e32 v11, 28, v62
	v_sub_nc_u32_e32 v64, 29, v62
	v_lshlrev_b64 v[11:12], v11, v[1:2]
	v_and_b32_e32 v62, 7, v11
; %bb.1151:                             ;   in Loop: Header=BB276_675 Depth=1
	s_or_b32 exec_lo, exec_lo, s27
	v_lshlrev_b32_sdwa v1, v30, v1 dst_sel:DWORD dst_unused:UNUSED_PAD src0_sel:DWORD src1_sel:WORD_0
	v_lshl_add_u32 v11, v64, 10, 0x2000
	v_and_or_b32 v1, 0x8000, v1, v11
	v_lshlrev_b32_e32 v11, 23, v62
	v_lshl_or_b32 v62, v1, 16, v11
.LBB276_1152:                           ;   in Loop: Header=BB276_675 Depth=1
	s_or_b32 exec_lo, exec_lo, s26
.LBB276_1153:                           ;   in Loop: Header=BB276_675 Depth=1
	s_or_b32 exec_lo, exec_lo, s22
.LBB276_1154:                           ;   in Loop: Header=BB276_675 Depth=1
	s_or_b32 exec_lo, exec_lo, s21
	v_lshrrev_b32_e32 v1, 16, v9
	v_mov_b32_e32 v64, 0
	v_mov_b32_e32 v65, 0
	v_cmp_ne_u16_sdwa s0, v1, v2 src0_sel:BYTE_0 src1_sel:DWORD
	s_and_saveexec_b32 s21, s0
	s_cbranch_execz .LBB276_1162
; %bb.1155:                             ;   in Loop: Header=BB276_675 Depth=1
	v_cmp_ne_u16_sdwa s0, v1, v14 src0_sel:BYTE_0 src1_sel:DWORD
	v_mov_b32_e32 v65, 0x8000
	s_and_saveexec_b32 s22, s0
	s_cbranch_execz .LBB276_1161
; %bb.1156:                             ;   in Loop: Header=BB276_675 Depth=1
	v_bfe_u32 v67, v9, 16, 7
	v_mov_b32_e32 v65, 0x7c01
	s_mov_b32 s26, exec_lo
	v_cmpx_ne_u32_e32 0x7f, v67
	s_cbranch_execz .LBB276_1160
; %bb.1157:                             ;   in Loop: Header=BB276_675 Depth=1
	v_and_b32_e32 v65, 7, v1
	v_lshrrev_b32_e32 v66, 3, v67
	s_mov_b32 s27, exec_lo
	v_cmpx_gt_u32_e32 8, v67
; %bb.1158:                             ;   in Loop: Header=BB276_675 Depth=1
	v_ffbh_u32_e32 v11, v65
	v_min_u32_e32 v65, 32, v11
	v_subrev_nc_u32_e32 v11, 28, v65
	v_sub_nc_u32_e32 v66, 29, v65
	v_lshlrev_b64 v[11:12], v11, v[1:2]
	v_and_b32_e32 v65, 7, v11
; %bb.1159:                             ;   in Loop: Header=BB276_675 Depth=1
	s_or_b32 exec_lo, exec_lo, s27
	v_lshlrev_b32_e32 v1, 8, v1
	v_lshl_add_u32 v11, v66, 10, 0x2000
	v_lshlrev_b32_e32 v12, 7, v65
	v_and_b32_e32 v1, 0x8000, v1
	v_and_b32_e32 v11, 0xfc00, v11
	v_or3_b32 v65, v1, v11, v12
.LBB276_1160:                           ;   in Loop: Header=BB276_675 Depth=1
	s_or_b32 exec_lo, exec_lo, s26
.LBB276_1161:                           ;   in Loop: Header=BB276_675 Depth=1
	s_or_b32 exec_lo, exec_lo, s22
.LBB276_1162:                           ;   in Loop: Header=BB276_675 Depth=1
	s_or_b32 exec_lo, exec_lo, s21
	s_mov_b32 s21, exec_lo
	v_cmpx_lt_u32_e32 0xffffff, v9
	s_cbranch_execz .LBB276_1170
; %bb.1163:                             ;   in Loop: Header=BB276_675 Depth=1
	v_lshrrev_b32_e32 v1, 24, v9
	v_bfrev_b32_e32 v64, 1
	s_mov_b32 s22, exec_lo
	v_cmpx_ne_u32_e32 0x80, v1
	s_cbranch_execz .LBB276_1169
; %bb.1164:                             ;   in Loop: Header=BB276_675 Depth=1
	v_and_b32_e32 v67, 0x7f, v1
	v_mov_b32_e32 v64, 0x7c010000
	s_mov_b32 s26, exec_lo
	v_cmpx_ne_u32_e32 0x7f, v67
	s_cbranch_execz .LBB276_1168
; %bb.1165:                             ;   in Loop: Header=BB276_675 Depth=1
	v_and_b32_e32 v64, 7, v1
	v_lshrrev_b32_e32 v66, 3, v67
	s_mov_b32 s27, exec_lo
	v_cmpx_gt_u32_e32 8, v67
; %bb.1166:                             ;   in Loop: Header=BB276_675 Depth=1
	v_ffbh_u32_e32 v11, v64
	v_min_u32_e32 v64, 32, v11
	v_subrev_nc_u32_e32 v11, 28, v64
	v_sub_nc_u32_e32 v66, 29, v64
	v_lshlrev_b64 v[11:12], v11, v[1:2]
	v_and_b32_e32 v64, 7, v11
; %bb.1167:                             ;   in Loop: Header=BB276_675 Depth=1
	s_or_b32 exec_lo, exec_lo, s27
	v_lshlrev_b32_e32 v1, 8, v1
	v_lshl_add_u32 v11, v66, 10, 0x2000
	v_and_or_b32 v1, 0x8000, v1, v11
	v_lshlrev_b32_e32 v11, 23, v64
	v_lshl_or_b32 v64, v1, 16, v11
.LBB276_1168:                           ;   in Loop: Header=BB276_675 Depth=1
	s_or_b32 exec_lo, exec_lo, s26
.LBB276_1169:                           ;   in Loop: Header=BB276_675 Depth=1
	s_or_b32 exec_lo, exec_lo, s22
.LBB276_1170:                           ;   in Loop: Header=BB276_675 Depth=1
	s_or_b32 exec_lo, exec_lo, s21
	v_mov_b32_e32 v1, v10
	v_cmp_ne_u16_sdwa s0, v10, v2 src0_sel:BYTE_0 src1_sel:DWORD
	v_mov_b32_e32 v66, 0
	v_mov_b32_e32 v67, 0
	s_and_saveexec_b32 s21, s0
	s_cbranch_execz .LBB276_1178
; %bb.1171:                             ;   in Loop: Header=BB276_675 Depth=1
	v_cmp_ne_u16_sdwa s0, v10, v14 src0_sel:BYTE_0 src1_sel:DWORD
	v_mov_b32_e32 v67, 0x8000
	s_and_saveexec_b32 s22, s0
	s_cbranch_execz .LBB276_1177
; %bb.1172:                             ;   in Loop: Header=BB276_675 Depth=1
	v_and_b32_e32 v69, 0x7f, v10
	v_mov_b32_e32 v67, 0x7c01
	s_mov_b32 s26, exec_lo
	v_cmpx_ne_u32_e32 0x7f, v69
	s_cbranch_execz .LBB276_1176
; %bb.1173:                             ;   in Loop: Header=BB276_675 Depth=1
	v_and_b32_e32 v67, 7, v10
	v_lshrrev_b32_e32 v68, 3, v69
	s_mov_b32 s27, exec_lo
	v_cmpx_gt_u32_e32 8, v69
; %bb.1174:                             ;   in Loop: Header=BB276_675 Depth=1
	v_ffbh_u32_e32 v11, v67
	v_min_u32_e32 v67, 32, v11
	v_subrev_nc_u32_e32 v11, 28, v67
	v_sub_nc_u32_e32 v68, 29, v67
	v_lshlrev_b64 v[11:12], v11, v[1:2]
	v_and_b32_e32 v67, 7, v11
; %bb.1175:                             ;   in Loop: Header=BB276_675 Depth=1
	s_or_b32 exec_lo, exec_lo, s27
	v_lshlrev_b32_e32 v11, 8, v10
	v_lshl_add_u32 v12, v68, 10, 0x2000
	v_lshlrev_b32_e32 v67, 7, v67
	v_and_b32_e32 v11, 0x8000, v11
	v_and_b32_e32 v12, 0xfc00, v12
	v_or3_b32 v67, v11, v12, v67
.LBB276_1176:                           ;   in Loop: Header=BB276_675 Depth=1
	s_or_b32 exec_lo, exec_lo, s26
.LBB276_1177:                           ;   in Loop: Header=BB276_675 Depth=1
	s_or_b32 exec_lo, exec_lo, s22
.LBB276_1178:                           ;   in Loop: Header=BB276_675 Depth=1
	s_or_b32 exec_lo, exec_lo, s21
	v_lshrrev_b16 v1, 8, v1
	v_mov_b32_e32 v68, 0
	s_mov_b32 s21, exec_lo
	v_cmpx_ne_u16_e32 0, v1
	s_cbranch_execz .LBB276_1186
; %bb.1179:                             ;   in Loop: Header=BB276_675 Depth=1
	v_bfrev_b32_e32 v68, 1
	s_mov_b32 s22, exec_lo
	v_cmpx_ne_u16_e32 0x80, v1
	s_cbranch_execz .LBB276_1185
; %bb.1180:                             ;   in Loop: Header=BB276_675 Depth=1
	v_and_b32_sdwa v70, v1, v28 dst_sel:DWORD dst_unused:UNUSED_PAD src0_sel:WORD_0 src1_sel:DWORD
	v_mov_b32_e32 v68, 0x7c010000
	s_mov_b32 s26, exec_lo
	v_cmpx_ne_u32_e32 0x7f, v70
	s_cbranch_execz .LBB276_1184
; %bb.1181:                             ;   in Loop: Header=BB276_675 Depth=1
	v_and_b32_sdwa v68, v1, v29 dst_sel:DWORD dst_unused:UNUSED_PAD src0_sel:WORD_0 src1_sel:DWORD
	v_lshrrev_b32_e32 v69, 3, v70
	s_mov_b32 s27, exec_lo
	v_cmpx_gt_u32_e32 8, v70
; %bb.1182:                             ;   in Loop: Header=BB276_675 Depth=1
	v_ffbh_u32_e32 v11, v68
	v_min_u32_e32 v68, 32, v11
	v_subrev_nc_u32_e32 v11, 28, v68
	v_sub_nc_u32_e32 v69, 29, v68
	v_lshlrev_b64 v[11:12], v11, v[1:2]
	v_and_b32_e32 v68, 7, v11
; %bb.1183:                             ;   in Loop: Header=BB276_675 Depth=1
	s_or_b32 exec_lo, exec_lo, s27
	v_lshlrev_b32_sdwa v1, v30, v1 dst_sel:DWORD dst_unused:UNUSED_PAD src0_sel:DWORD src1_sel:WORD_0
	v_lshl_add_u32 v11, v69, 10, 0x2000
	v_and_or_b32 v1, 0x8000, v1, v11
	v_lshlrev_b32_e32 v11, 23, v68
	v_lshl_or_b32 v68, v1, 16, v11
.LBB276_1184:                           ;   in Loop: Header=BB276_675 Depth=1
	s_or_b32 exec_lo, exec_lo, s26
.LBB276_1185:                           ;   in Loop: Header=BB276_675 Depth=1
	s_or_b32 exec_lo, exec_lo, s22
.LBB276_1186:                           ;   in Loop: Header=BB276_675 Depth=1
	s_or_b32 exec_lo, exec_lo, s21
	v_lshrrev_b32_e32 v1, 16, v10
	v_cmp_ne_u16_sdwa s0, v1, v2 src0_sel:BYTE_0 src1_sel:DWORD
	s_and_saveexec_b32 s21, s0
	s_cbranch_execz .LBB276_1194
; %bb.1187:                             ;   in Loop: Header=BB276_675 Depth=1
	v_cmp_ne_u16_sdwa s0, v1, v14 src0_sel:BYTE_0 src1_sel:DWORD
	v_mov_b32_e32 v66, 0x8000
	s_and_saveexec_b32 s22, s0
	s_cbranch_execz .LBB276_1193
; %bb.1188:                             ;   in Loop: Header=BB276_675 Depth=1
	v_bfe_u32 v70, v10, 16, 7
	v_mov_b32_e32 v66, 0x7c01
	s_mov_b32 s26, exec_lo
	v_cmpx_ne_u32_e32 0x7f, v70
	s_cbranch_execz .LBB276_1192
; %bb.1189:                             ;   in Loop: Header=BB276_675 Depth=1
	v_and_b32_e32 v66, 7, v1
	v_lshrrev_b32_e32 v69, 3, v70
	s_mov_b32 s27, exec_lo
	v_cmpx_gt_u32_e32 8, v70
; %bb.1190:                             ;   in Loop: Header=BB276_675 Depth=1
	v_ffbh_u32_e32 v11, v66
	v_min_u32_e32 v66, 32, v11
	v_subrev_nc_u32_e32 v11, 28, v66
	v_sub_nc_u32_e32 v69, 29, v66
	v_lshlrev_b64 v[11:12], v11, v[1:2]
	v_and_b32_e32 v66, 7, v11
; %bb.1191:                             ;   in Loop: Header=BB276_675 Depth=1
	s_or_b32 exec_lo, exec_lo, s27
	v_lshlrev_b32_e32 v1, 8, v1
	v_lshl_add_u32 v11, v69, 10, 0x2000
	v_lshlrev_b32_e32 v12, 7, v66
	v_and_b32_e32 v1, 0x8000, v1
	v_and_b32_e32 v11, 0xfc00, v11
	v_or3_b32 v66, v1, v11, v12
.LBB276_1192:                           ;   in Loop: Header=BB276_675 Depth=1
	s_or_b32 exec_lo, exec_lo, s26
.LBB276_1193:                           ;   in Loop: Header=BB276_675 Depth=1
	s_or_b32 exec_lo, exec_lo, s22
.LBB276_1194:                           ;   in Loop: Header=BB276_675 Depth=1
	s_or_b32 exec_lo, exec_lo, s21
	v_cmp_lt_u64_e64 s0, s[2:3], v[9:10]
	v_mov_b32_e32 v9, 0
	s_and_saveexec_b32 s21, s0
	s_cbranch_execz .LBB276_1202
; %bb.1195:                             ;   in Loop: Header=BB276_675 Depth=1
	v_lshrrev_b32_e32 v1, 24, v10
	v_bfrev_b32_e32 v9, 1
	s_mov_b32 s22, exec_lo
	v_cmpx_ne_u32_e32 0x80, v1
	s_cbranch_execz .LBB276_1201
; %bb.1196:                             ;   in Loop: Header=BB276_675 Depth=1
	v_and_b32_e32 v69, 0x7f, v1
	v_mov_b32_e32 v9, 0x7c010000
	s_mov_b32 s26, exec_lo
	v_cmpx_ne_u32_e32 0x7f, v69
	s_cbranch_execz .LBB276_1200
; %bb.1197:                             ;   in Loop: Header=BB276_675 Depth=1
	v_and_b32_e32 v9, 7, v1
	v_lshrrev_b32_e32 v10, 3, v69
	s_mov_b32 s27, exec_lo
	v_cmpx_gt_u32_e32 8, v69
; %bb.1198:                             ;   in Loop: Header=BB276_675 Depth=1
	v_ffbh_u32_e32 v9, v9
	v_min_u32_e32 v11, 32, v9
	v_subrev_nc_u32_e32 v9, 28, v11
	v_lshlrev_b64 v[9:10], v9, v[1:2]
	v_sub_nc_u32_e32 v10, 29, v11
	v_and_b32_e32 v9, 7, v9
; %bb.1199:                             ;   in Loop: Header=BB276_675 Depth=1
	s_or_b32 exec_lo, exec_lo, s27
	v_lshlrev_b32_e32 v1, 8, v1
	v_lshl_add_u32 v10, v10, 10, 0x2000
	v_lshlrev_b32_e32 v9, 23, v9
	v_and_or_b32 v1, 0x8000, v1, v10
	v_lshl_or_b32 v9, v1, 16, v9
.LBB276_1200:                           ;   in Loop: Header=BB276_675 Depth=1
	s_or_b32 exec_lo, exec_lo, s26
.LBB276_1201:                           ;   in Loop: Header=BB276_675 Depth=1
	s_or_b32 exec_lo, exec_lo, s22
.LBB276_1202:                           ;   in Loop: Header=BB276_675 Depth=1
	s_or_b32 exec_lo, exec_lo, s21
	v_or_b32_e32 v1, v64, v65
	s_waitcnt vmcnt(0)
	v_fma_mixlo_f16 v10, v61, v64, 0 op_sel:[0,1,0] op_sel_hi:[0,1,0]
	v_or_b32_e32 v11, v62, v63
	v_fma_mixlo_f16 v12, v61, v62, 0 op_sel:[0,1,0] op_sel_hi:[0,1,0]
	v_or_b32_e32 v62, v68, v67
	v_fma_mixlo_f16 v64, v61, v1, 0 op_sel_hi:[0,1,0]
	v_or_b32_e32 v65, v9, v66
	v_lshlrev_b32_e32 v1, 16, v10
	v_lshlrev_b32_e32 v63, 16, v12
	v_fma_mixlo_f16 v11, v61, v11, 0 op_sel_hi:[0,1,0]
	v_and_b32_e32 v10, 0xffff, v64
	v_fma_mixlo_f16 v12, v61, v68, 0 op_sel:[0,1,0] op_sel_hi:[0,1,0]
	v_fma_mixlo_f16 v62, v61, v62, 0 op_sel_hi:[0,1,0]
	v_fma_mixlo_f16 v9, v61, v9, 0 op_sel:[0,1,0] op_sel_hi:[0,1,0]
	v_fma_mixlo_f16 v64, v61, v65, 0 op_sel_hi:[0,1,0]
	v_and_b32_e32 v69, 0xffff, v11
	v_lshlrev_b32_e32 v61, 16, v12
	v_and_b32_e32 v65, 0xffff, v62
	v_lshlrev_b32_e32 v9, 16, v9
	v_and_b32_e32 v62, 0xffff, v64
	v_or_b32_e32 v64, v1, v10
	v_or_b32_e32 v68, v63, v69
	v_or_b32_e32 v67, v61, v65
	v_or_b32_e32 v66, v9, v62
	s_and_saveexec_b32 s21, vcc_lo
	s_cbranch_execz .LBB276_1204
; %bb.1203:                             ;   in Loop: Header=BB276_675 Depth=1
	v_cmp_gt_i32_e64 s0, s33, v35
	v_cndmask_b32_e64 v11, 0, v69, s0
	v_cmp_gt_i32_e64 s0, s33, v47
	v_cndmask_b32_e64 v12, 0, v63, s0
	v_cmp_gt_i32_e64 s0, s33, v45
	v_or_b32_e32 v68, v12, v11
	v_cndmask_b32_e64 v10, 0, v10, s0
	v_cmp_gt_i32_e64 s0, s33, v43
	v_cndmask_b32_e64 v1, 0, v1, s0
	v_cmp_gt_i32_e64 s0, s33, v41
	v_or_b32_e32 v64, v1, v10
	;; [unrolled: 5-line block ×3, first 2 shown]
	v_cndmask_b32_e64 v62, 0, v62, s0
	v_cmp_gt_i32_e64 s0, s33, v36
	v_cndmask_b32_e64 v9, 0, v9, s0
	v_or_b32_e32 v66, v9, v62
.LBB276_1204:                           ;   in Loop: Header=BB276_675 Depth=1
	s_or_b32 exec_lo, exec_lo, s21
	v_add_co_u32 v7, s0, 0x800, v7
	v_add_co_ci_u32_e64 v8, null, 0, v8, s0
	;;#ASMSTART
	v_pk_mul_f16 v1, v48, v68;

	;;#ASMEND
	;;#ASMSTART
	v_pk_mul_f16 v9, v46, v64;

	;;#ASMEND
	;;#ASMSTART
	v_pk_mul_f16 v10, v44, v67;

	;;#ASMEND
	;;#ASMSTART
	v_pk_mul_f16 v11, v42, v66;

	;;#ASMEND
	;;#ASMSTART
	v_pk_add_f16 v1, v1, v9;

	;;#ASMEND
	;;#ASMSTART
	v_pk_add_f16 v1, v1, v10;

	;;#ASMEND
	;; [unrolled: 4-line block ×3, first 2 shown]
	v_lshrrev_b32_e32 v9, 16, v1
	v_and_b32_e32 v1, 0xffff, v1
	;;#ASMSTART
	v_cvt_f32_f16 v61, v1;
	;;#ASMEND
	;;#ASMSTART
	v_cvt_f32_f16 v62, v9;
	;;#ASMEND
	global_load_dwordx2 v[9:10], v[7:8], off
	v_mov_b32_e32 v64, 0
	v_mov_b32_e32 v65, 0
	global_load_dword v63, v64, s[14:15]
	s_waitcnt vmcnt(1)
	v_cmp_ne_u16_sdwa s0, v9, v2 src0_sel:BYTE_0 src1_sel:DWORD
	s_and_saveexec_b32 s21, s0
	s_cbranch_execz .LBB276_1212
; %bb.1205:                             ;   in Loop: Header=BB276_675 Depth=1
	v_cmp_ne_u16_sdwa s0, v9, v14 src0_sel:BYTE_0 src1_sel:DWORD
	v_mov_b32_e32 v65, 0x8000
	s_and_saveexec_b32 s22, s0
	s_cbranch_execz .LBB276_1211
; %bb.1206:                             ;   in Loop: Header=BB276_675 Depth=1
	v_and_b32_e32 v66, 0x7f, v9
	v_mov_b32_e32 v65, 0x7c01
	s_mov_b32 s26, exec_lo
	v_cmpx_ne_u32_e32 0x7f, v66
	s_cbranch_execz .LBB276_1210
; %bb.1207:                             ;   in Loop: Header=BB276_675 Depth=1
	v_and_b32_e32 v1, 7, v9
	v_lshrrev_b32_e32 v65, 3, v66
	s_mov_b32 s27, exec_lo
	v_cmpx_gt_u32_e32 8, v66
; %bb.1208:                             ;   in Loop: Header=BB276_675 Depth=1
	v_ffbh_u32_e32 v1, v1
	v_min_u32_e32 v1, 32, v1
	v_subrev_nc_u32_e32 v11, 28, v1
	v_sub_nc_u32_e32 v65, 29, v1
	v_lshlrev_b64 v[11:12], v11, v[9:10]
	v_and_b32_e32 v1, 7, v11
; %bb.1209:                             ;   in Loop: Header=BB276_675 Depth=1
	s_or_b32 exec_lo, exec_lo, s27
	v_lshlrev_b32_e32 v11, 8, v9
	v_lshl_add_u32 v12, v65, 10, 0x2000
	v_lshlrev_b32_e32 v1, 7, v1
	v_and_b32_e32 v11, 0x8000, v11
	v_and_b32_e32 v12, 0xfc00, v12
	v_or3_b32 v65, v11, v12, v1
.LBB276_1210:                           ;   in Loop: Header=BB276_675 Depth=1
	s_or_b32 exec_lo, exec_lo, s26
.LBB276_1211:                           ;   in Loop: Header=BB276_675 Depth=1
	s_or_b32 exec_lo, exec_lo, s22
.LBB276_1212:                           ;   in Loop: Header=BB276_675 Depth=1
	s_or_b32 exec_lo, exec_lo, s21
	v_lshrrev_b16 v1, 8, v9
	s_mov_b32 s21, exec_lo
	v_cmpx_ne_u16_e32 0, v1
	s_cbranch_execz .LBB276_1220
; %bb.1213:                             ;   in Loop: Header=BB276_675 Depth=1
	v_bfrev_b32_e32 v64, 1
	s_mov_b32 s22, exec_lo
	v_cmpx_ne_u16_e32 0x80, v1
	s_cbranch_execz .LBB276_1219
; %bb.1214:                             ;   in Loop: Header=BB276_675 Depth=1
	v_and_b32_sdwa v67, v1, v28 dst_sel:DWORD dst_unused:UNUSED_PAD src0_sel:WORD_0 src1_sel:DWORD
	v_mov_b32_e32 v64, 0x7c010000
	s_mov_b32 s26, exec_lo
	v_cmpx_ne_u32_e32 0x7f, v67
	s_cbranch_execz .LBB276_1218
; %bb.1215:                             ;   in Loop: Header=BB276_675 Depth=1
	v_and_b32_sdwa v64, v1, v29 dst_sel:DWORD dst_unused:UNUSED_PAD src0_sel:WORD_0 src1_sel:DWORD
	v_lshrrev_b32_e32 v66, 3, v67
	s_mov_b32 s27, exec_lo
	v_cmpx_gt_u32_e32 8, v67
; %bb.1216:                             ;   in Loop: Header=BB276_675 Depth=1
	v_ffbh_u32_e32 v11, v64
	v_min_u32_e32 v64, 32, v11
	v_subrev_nc_u32_e32 v11, 28, v64
	v_sub_nc_u32_e32 v66, 29, v64
	v_lshlrev_b64 v[11:12], v11, v[1:2]
	v_and_b32_e32 v64, 7, v11
; %bb.1217:                             ;   in Loop: Header=BB276_675 Depth=1
	s_or_b32 exec_lo, exec_lo, s27
	v_lshlrev_b32_sdwa v1, v30, v1 dst_sel:DWORD dst_unused:UNUSED_PAD src0_sel:DWORD src1_sel:WORD_0
	v_lshl_add_u32 v11, v66, 10, 0x2000
	v_and_or_b32 v1, 0x8000, v1, v11
	v_lshlrev_b32_e32 v11, 23, v64
	v_lshl_or_b32 v64, v1, 16, v11
.LBB276_1218:                           ;   in Loop: Header=BB276_675 Depth=1
	s_or_b32 exec_lo, exec_lo, s26
.LBB276_1219:                           ;   in Loop: Header=BB276_675 Depth=1
	s_or_b32 exec_lo, exec_lo, s22
.LBB276_1220:                           ;   in Loop: Header=BB276_675 Depth=1
	s_or_b32 exec_lo, exec_lo, s21
	v_lshrrev_b32_e32 v1, 16, v9
	v_mov_b32_e32 v66, 0
	v_mov_b32_e32 v67, 0
	v_cmp_ne_u16_sdwa s0, v1, v2 src0_sel:BYTE_0 src1_sel:DWORD
	s_and_saveexec_b32 s21, s0
	s_cbranch_execz .LBB276_1228
; %bb.1221:                             ;   in Loop: Header=BB276_675 Depth=1
	v_cmp_ne_u16_sdwa s0, v1, v14 src0_sel:BYTE_0 src1_sel:DWORD
	v_mov_b32_e32 v67, 0x8000
	s_and_saveexec_b32 s22, s0
	s_cbranch_execz .LBB276_1227
; %bb.1222:                             ;   in Loop: Header=BB276_675 Depth=1
	v_bfe_u32 v69, v9, 16, 7
	v_mov_b32_e32 v67, 0x7c01
	s_mov_b32 s26, exec_lo
	v_cmpx_ne_u32_e32 0x7f, v69
	s_cbranch_execz .LBB276_1226
; %bb.1223:                             ;   in Loop: Header=BB276_675 Depth=1
	v_and_b32_e32 v67, 7, v1
	v_lshrrev_b32_e32 v68, 3, v69
	s_mov_b32 s27, exec_lo
	v_cmpx_gt_u32_e32 8, v69
; %bb.1224:                             ;   in Loop: Header=BB276_675 Depth=1
	v_ffbh_u32_e32 v11, v67
	v_min_u32_e32 v67, 32, v11
	v_subrev_nc_u32_e32 v11, 28, v67
	v_sub_nc_u32_e32 v68, 29, v67
	v_lshlrev_b64 v[11:12], v11, v[1:2]
	v_and_b32_e32 v67, 7, v11
; %bb.1225:                             ;   in Loop: Header=BB276_675 Depth=1
	s_or_b32 exec_lo, exec_lo, s27
	v_lshlrev_b32_e32 v1, 8, v1
	v_lshl_add_u32 v11, v68, 10, 0x2000
	v_lshlrev_b32_e32 v12, 7, v67
	v_and_b32_e32 v1, 0x8000, v1
	v_and_b32_e32 v11, 0xfc00, v11
	v_or3_b32 v67, v1, v11, v12
.LBB276_1226:                           ;   in Loop: Header=BB276_675 Depth=1
	s_or_b32 exec_lo, exec_lo, s26
.LBB276_1227:                           ;   in Loop: Header=BB276_675 Depth=1
	s_or_b32 exec_lo, exec_lo, s22
.LBB276_1228:                           ;   in Loop: Header=BB276_675 Depth=1
	s_or_b32 exec_lo, exec_lo, s21
	s_mov_b32 s21, exec_lo
	v_cmpx_lt_u32_e32 0xffffff, v9
	s_cbranch_execz .LBB276_1236
; %bb.1229:                             ;   in Loop: Header=BB276_675 Depth=1
	v_lshrrev_b32_e32 v1, 24, v9
	v_bfrev_b32_e32 v66, 1
	s_mov_b32 s22, exec_lo
	v_cmpx_ne_u32_e32 0x80, v1
	s_cbranch_execz .LBB276_1235
; %bb.1230:                             ;   in Loop: Header=BB276_675 Depth=1
	v_and_b32_e32 v69, 0x7f, v1
	v_mov_b32_e32 v66, 0x7c010000
	s_mov_b32 s26, exec_lo
	v_cmpx_ne_u32_e32 0x7f, v69
	s_cbranch_execz .LBB276_1234
; %bb.1231:                             ;   in Loop: Header=BB276_675 Depth=1
	v_and_b32_e32 v66, 7, v1
	v_lshrrev_b32_e32 v68, 3, v69
	s_mov_b32 s27, exec_lo
	v_cmpx_gt_u32_e32 8, v69
; %bb.1232:                             ;   in Loop: Header=BB276_675 Depth=1
	v_ffbh_u32_e32 v11, v66
	v_min_u32_e32 v66, 32, v11
	v_subrev_nc_u32_e32 v11, 28, v66
	v_sub_nc_u32_e32 v68, 29, v66
	v_lshlrev_b64 v[11:12], v11, v[1:2]
	v_and_b32_e32 v66, 7, v11
; %bb.1233:                             ;   in Loop: Header=BB276_675 Depth=1
	s_or_b32 exec_lo, exec_lo, s27
	v_lshlrev_b32_e32 v1, 8, v1
	v_lshl_add_u32 v11, v68, 10, 0x2000
	v_and_or_b32 v1, 0x8000, v1, v11
	v_lshlrev_b32_e32 v11, 23, v66
	v_lshl_or_b32 v66, v1, 16, v11
.LBB276_1234:                           ;   in Loop: Header=BB276_675 Depth=1
	s_or_b32 exec_lo, exec_lo, s26
.LBB276_1235:                           ;   in Loop: Header=BB276_675 Depth=1
	s_or_b32 exec_lo, exec_lo, s22
.LBB276_1236:                           ;   in Loop: Header=BB276_675 Depth=1
	s_or_b32 exec_lo, exec_lo, s21
	v_mov_b32_e32 v1, v10
	v_cmp_ne_u16_sdwa s0, v10, v2 src0_sel:BYTE_0 src1_sel:DWORD
	v_mov_b32_e32 v68, 0
	v_mov_b32_e32 v69, 0
	s_and_saveexec_b32 s21, s0
	s_cbranch_execz .LBB276_1244
; %bb.1237:                             ;   in Loop: Header=BB276_675 Depth=1
	v_cmp_ne_u16_sdwa s0, v10, v14 src0_sel:BYTE_0 src1_sel:DWORD
	v_mov_b32_e32 v69, 0x8000
	s_and_saveexec_b32 s22, s0
	s_cbranch_execz .LBB276_1243
; %bb.1238:                             ;   in Loop: Header=BB276_675 Depth=1
	v_and_b32_e32 v71, 0x7f, v10
	v_mov_b32_e32 v69, 0x7c01
	s_mov_b32 s26, exec_lo
	v_cmpx_ne_u32_e32 0x7f, v71
	s_cbranch_execz .LBB276_1242
; %bb.1239:                             ;   in Loop: Header=BB276_675 Depth=1
	v_and_b32_e32 v69, 7, v10
	v_lshrrev_b32_e32 v70, 3, v71
	s_mov_b32 s27, exec_lo
	v_cmpx_gt_u32_e32 8, v71
; %bb.1240:                             ;   in Loop: Header=BB276_675 Depth=1
	v_ffbh_u32_e32 v11, v69
	v_min_u32_e32 v69, 32, v11
	v_subrev_nc_u32_e32 v11, 28, v69
	v_sub_nc_u32_e32 v70, 29, v69
	v_lshlrev_b64 v[11:12], v11, v[1:2]
	v_and_b32_e32 v69, 7, v11
; %bb.1241:                             ;   in Loop: Header=BB276_675 Depth=1
	s_or_b32 exec_lo, exec_lo, s27
	v_lshlrev_b32_e32 v11, 8, v10
	v_lshl_add_u32 v12, v70, 10, 0x2000
	v_lshlrev_b32_e32 v69, 7, v69
	v_and_b32_e32 v11, 0x8000, v11
	v_and_b32_e32 v12, 0xfc00, v12
	v_or3_b32 v69, v11, v12, v69
.LBB276_1242:                           ;   in Loop: Header=BB276_675 Depth=1
	s_or_b32 exec_lo, exec_lo, s26
.LBB276_1243:                           ;   in Loop: Header=BB276_675 Depth=1
	s_or_b32 exec_lo, exec_lo, s22
.LBB276_1244:                           ;   in Loop: Header=BB276_675 Depth=1
	s_or_b32 exec_lo, exec_lo, s21
	v_lshrrev_b16 v1, 8, v1
	v_mov_b32_e32 v70, 0
	s_mov_b32 s21, exec_lo
	v_cmpx_ne_u16_e32 0, v1
	s_cbranch_execz .LBB276_1252
; %bb.1245:                             ;   in Loop: Header=BB276_675 Depth=1
	v_bfrev_b32_e32 v70, 1
	s_mov_b32 s22, exec_lo
	v_cmpx_ne_u16_e32 0x80, v1
	s_cbranch_execz .LBB276_1251
; %bb.1246:                             ;   in Loop: Header=BB276_675 Depth=1
	v_and_b32_sdwa v72, v1, v28 dst_sel:DWORD dst_unused:UNUSED_PAD src0_sel:WORD_0 src1_sel:DWORD
	v_mov_b32_e32 v70, 0x7c010000
	s_mov_b32 s26, exec_lo
	v_cmpx_ne_u32_e32 0x7f, v72
	s_cbranch_execz .LBB276_1250
; %bb.1247:                             ;   in Loop: Header=BB276_675 Depth=1
	v_and_b32_sdwa v70, v1, v29 dst_sel:DWORD dst_unused:UNUSED_PAD src0_sel:WORD_0 src1_sel:DWORD
	v_lshrrev_b32_e32 v71, 3, v72
	s_mov_b32 s27, exec_lo
	v_cmpx_gt_u32_e32 8, v72
; %bb.1248:                             ;   in Loop: Header=BB276_675 Depth=1
	v_ffbh_u32_e32 v11, v70
	v_min_u32_e32 v70, 32, v11
	v_subrev_nc_u32_e32 v11, 28, v70
	v_sub_nc_u32_e32 v71, 29, v70
	v_lshlrev_b64 v[11:12], v11, v[1:2]
	v_and_b32_e32 v70, 7, v11
; %bb.1249:                             ;   in Loop: Header=BB276_675 Depth=1
	s_or_b32 exec_lo, exec_lo, s27
	v_lshlrev_b32_sdwa v1, v30, v1 dst_sel:DWORD dst_unused:UNUSED_PAD src0_sel:DWORD src1_sel:WORD_0
	v_lshl_add_u32 v11, v71, 10, 0x2000
	v_and_or_b32 v1, 0x8000, v1, v11
	v_lshlrev_b32_e32 v11, 23, v70
	v_lshl_or_b32 v70, v1, 16, v11
.LBB276_1250:                           ;   in Loop: Header=BB276_675 Depth=1
	s_or_b32 exec_lo, exec_lo, s26
.LBB276_1251:                           ;   in Loop: Header=BB276_675 Depth=1
	s_or_b32 exec_lo, exec_lo, s22
.LBB276_1252:                           ;   in Loop: Header=BB276_675 Depth=1
	s_or_b32 exec_lo, exec_lo, s21
	v_lshrrev_b32_e32 v1, 16, v10
	v_cmp_ne_u16_sdwa s0, v1, v2 src0_sel:BYTE_0 src1_sel:DWORD
	s_and_saveexec_b32 s21, s0
	s_cbranch_execz .LBB276_1260
; %bb.1253:                             ;   in Loop: Header=BB276_675 Depth=1
	v_cmp_ne_u16_sdwa s0, v1, v14 src0_sel:BYTE_0 src1_sel:DWORD
	v_mov_b32_e32 v68, 0x8000
	s_and_saveexec_b32 s22, s0
	s_cbranch_execz .LBB276_1259
; %bb.1254:                             ;   in Loop: Header=BB276_675 Depth=1
	v_bfe_u32 v72, v10, 16, 7
	v_mov_b32_e32 v68, 0x7c01
	s_mov_b32 s26, exec_lo
	v_cmpx_ne_u32_e32 0x7f, v72
	s_cbranch_execz .LBB276_1258
; %bb.1255:                             ;   in Loop: Header=BB276_675 Depth=1
	v_and_b32_e32 v68, 7, v1
	v_lshrrev_b32_e32 v71, 3, v72
	s_mov_b32 s27, exec_lo
	v_cmpx_gt_u32_e32 8, v72
; %bb.1256:                             ;   in Loop: Header=BB276_675 Depth=1
	v_ffbh_u32_e32 v11, v68
	v_min_u32_e32 v68, 32, v11
	v_subrev_nc_u32_e32 v11, 28, v68
	v_sub_nc_u32_e32 v71, 29, v68
	v_lshlrev_b64 v[11:12], v11, v[1:2]
	v_and_b32_e32 v68, 7, v11
; %bb.1257:                             ;   in Loop: Header=BB276_675 Depth=1
	s_or_b32 exec_lo, exec_lo, s27
	v_lshlrev_b32_e32 v1, 8, v1
	v_lshl_add_u32 v11, v71, 10, 0x2000
	v_lshlrev_b32_e32 v12, 7, v68
	v_and_b32_e32 v1, 0x8000, v1
	v_and_b32_e32 v11, 0xfc00, v11
	v_or3_b32 v68, v1, v11, v12
.LBB276_1258:                           ;   in Loop: Header=BB276_675 Depth=1
	s_or_b32 exec_lo, exec_lo, s26
.LBB276_1259:                           ;   in Loop: Header=BB276_675 Depth=1
	s_or_b32 exec_lo, exec_lo, s22
.LBB276_1260:                           ;   in Loop: Header=BB276_675 Depth=1
	s_or_b32 exec_lo, exec_lo, s21
	v_cmp_lt_u64_e64 s0, s[2:3], v[9:10]
	v_mov_b32_e32 v9, 0
	s_and_saveexec_b32 s21, s0
	s_cbranch_execz .LBB276_1268
; %bb.1261:                             ;   in Loop: Header=BB276_675 Depth=1
	v_lshrrev_b32_e32 v1, 24, v10
	v_bfrev_b32_e32 v9, 1
	s_mov_b32 s22, exec_lo
	v_cmpx_ne_u32_e32 0x80, v1
	s_cbranch_execz .LBB276_1267
; %bb.1262:                             ;   in Loop: Header=BB276_675 Depth=1
	v_and_b32_e32 v71, 0x7f, v1
	v_mov_b32_e32 v9, 0x7c010000
	s_mov_b32 s26, exec_lo
	v_cmpx_ne_u32_e32 0x7f, v71
	s_cbranch_execz .LBB276_1266
; %bb.1263:                             ;   in Loop: Header=BB276_675 Depth=1
	v_and_b32_e32 v9, 7, v1
	v_lshrrev_b32_e32 v10, 3, v71
	s_mov_b32 s27, exec_lo
	v_cmpx_gt_u32_e32 8, v71
; %bb.1264:                             ;   in Loop: Header=BB276_675 Depth=1
	v_ffbh_u32_e32 v9, v9
	v_min_u32_e32 v11, 32, v9
	v_subrev_nc_u32_e32 v9, 28, v11
	v_lshlrev_b64 v[9:10], v9, v[1:2]
	v_sub_nc_u32_e32 v10, 29, v11
	v_and_b32_e32 v9, 7, v9
; %bb.1265:                             ;   in Loop: Header=BB276_675 Depth=1
	s_or_b32 exec_lo, exec_lo, s27
	v_lshlrev_b32_e32 v1, 8, v1
	v_lshl_add_u32 v10, v10, 10, 0x2000
	v_lshlrev_b32_e32 v9, 23, v9
	v_and_or_b32 v1, 0x8000, v1, v10
	v_lshl_or_b32 v9, v1, 16, v9
.LBB276_1266:                           ;   in Loop: Header=BB276_675 Depth=1
	s_or_b32 exec_lo, exec_lo, s26
.LBB276_1267:                           ;   in Loop: Header=BB276_675 Depth=1
	s_or_b32 exec_lo, exec_lo, s22
.LBB276_1268:                           ;   in Loop: Header=BB276_675 Depth=1
	s_or_b32 exec_lo, exec_lo, s21
	v_or_b32_e32 v1, v66, v67
	s_waitcnt vmcnt(0)
	v_fma_mixlo_f16 v10, v63, v66, 0 op_sel:[0,1,0] op_sel_hi:[0,1,0]
	v_or_b32_e32 v11, v64, v65
	v_fma_mixlo_f16 v12, v63, v64, 0 op_sel:[0,1,0] op_sel_hi:[0,1,0]
	v_or_b32_e32 v64, v70, v69
	v_fma_mixlo_f16 v66, v63, v1, 0 op_sel_hi:[0,1,0]
	v_or_b32_e32 v67, v9, v68
	v_lshlrev_b32_e32 v1, 16, v10
	v_lshlrev_b32_e32 v65, 16, v12
	v_fma_mixlo_f16 v11, v63, v11, 0 op_sel_hi:[0,1,0]
	v_and_b32_e32 v10, 0xffff, v66
	v_fma_mixlo_f16 v12, v63, v70, 0 op_sel:[0,1,0] op_sel_hi:[0,1,0]
	v_fma_mixlo_f16 v64, v63, v64, 0 op_sel_hi:[0,1,0]
	v_fma_mixlo_f16 v9, v63, v9, 0 op_sel:[0,1,0] op_sel_hi:[0,1,0]
	v_fma_mixlo_f16 v66, v63, v67, 0 op_sel_hi:[0,1,0]
	v_and_b32_e32 v71, 0xffff, v11
	v_lshlrev_b32_e32 v63, 16, v12
	v_and_b32_e32 v67, 0xffff, v64
	v_lshlrev_b32_e32 v9, 16, v9
	v_and_b32_e32 v64, 0xffff, v66
	v_or_b32_e32 v66, v1, v10
	v_or_b32_e32 v70, v65, v71
	;; [unrolled: 1-line block ×4, first 2 shown]
	s_and_saveexec_b32 s21, vcc_lo
	s_cbranch_execz .LBB276_1270
; %bb.1269:                             ;   in Loop: Header=BB276_675 Depth=1
	v_cmp_gt_i32_e64 s0, s33, v35
	v_cndmask_b32_e64 v11, 0, v71, s0
	v_cmp_gt_i32_e64 s0, s33, v47
	v_cndmask_b32_e64 v12, 0, v65, s0
	v_cmp_gt_i32_e64 s0, s33, v45
	v_or_b32_e32 v70, v12, v11
	v_cndmask_b32_e64 v10, 0, v10, s0
	v_cmp_gt_i32_e64 s0, s33, v43
	v_cndmask_b32_e64 v1, 0, v1, s0
	v_cmp_gt_i32_e64 s0, s33, v41
	v_or_b32_e32 v66, v1, v10
	;; [unrolled: 5-line block ×3, first 2 shown]
	v_cndmask_b32_e64 v64, 0, v64, s0
	v_cmp_gt_i32_e64 s0, s33, v36
	v_cndmask_b32_e64 v9, 0, v9, s0
	v_or_b32_e32 v68, v9, v64
.LBB276_1270:                           ;   in Loop: Header=BB276_675 Depth=1
	s_or_b32 exec_lo, exec_lo, s21
	;;#ASMSTART
	v_pk_mul_f16 v1, v48, v70;

	;;#ASMEND
	;;#ASMSTART
	v_pk_mul_f16 v9, v46, v66;

	;;#ASMEND
	;; [unrolled: 4-line block ×4, first 2 shown]
	;;#ASMSTART
	v_pk_add_f16 v1, v1, v9;

	;;#ASMEND
	;;#ASMSTART
	v_pk_add_f16 v1, v1, v10;

	;;#ASMEND
	;;#ASMSTART
	v_pk_add_f16 v1, v1, v11;

	;;#ASMEND
	v_and_b32_e32 v9, 0xffff, v1
	v_lshrrev_b32_e32 v1, 16, v1
	;;#ASMSTART
	v_cvt_f32_f16 v9, v9;
	;;#ASMEND
	;;#ASMSTART
	v_cvt_f32_f16 v10, v1;
	;;#ASMEND
	global_load_dwordx2 v[7:8], v[7:8], off offset:256
	v_mov_b32_e32 v64, 0
	v_mov_b32_e32 v65, 0
	global_load_dword v63, v64, s[14:15]
	s_waitcnt vmcnt(1)
	v_cmp_ne_u16_sdwa s0, v7, v2 src0_sel:BYTE_0 src1_sel:DWORD
	s_and_saveexec_b32 s21, s0
	s_cbranch_execz .LBB276_1278
; %bb.1271:                             ;   in Loop: Header=BB276_675 Depth=1
	v_cmp_ne_u16_sdwa s0, v7, v14 src0_sel:BYTE_0 src1_sel:DWORD
	v_mov_b32_e32 v65, 0x8000
	s_and_saveexec_b32 s22, s0
	s_cbranch_execz .LBB276_1277
; %bb.1272:                             ;   in Loop: Header=BB276_675 Depth=1
	v_and_b32_e32 v66, 0x7f, v7
	v_mov_b32_e32 v65, 0x7c01
	s_mov_b32 s26, exec_lo
	v_cmpx_ne_u32_e32 0x7f, v66
	s_cbranch_execz .LBB276_1276
; %bb.1273:                             ;   in Loop: Header=BB276_675 Depth=1
	v_and_b32_e32 v1, 7, v7
	v_lshrrev_b32_e32 v65, 3, v66
	s_mov_b32 s27, exec_lo
	v_cmpx_gt_u32_e32 8, v66
; %bb.1274:                             ;   in Loop: Header=BB276_675 Depth=1
	v_ffbh_u32_e32 v1, v1
	v_min_u32_e32 v1, 32, v1
	v_subrev_nc_u32_e32 v11, 28, v1
	v_sub_nc_u32_e32 v65, 29, v1
	v_lshlrev_b64 v[11:12], v11, v[7:8]
	v_and_b32_e32 v1, 7, v11
; %bb.1275:                             ;   in Loop: Header=BB276_675 Depth=1
	s_or_b32 exec_lo, exec_lo, s27
	v_lshlrev_b32_e32 v11, 8, v7
	v_lshl_add_u32 v12, v65, 10, 0x2000
	v_lshlrev_b32_e32 v1, 7, v1
	v_and_b32_e32 v11, 0x8000, v11
	v_and_b32_e32 v12, 0xfc00, v12
	v_or3_b32 v65, v11, v12, v1
.LBB276_1276:                           ;   in Loop: Header=BB276_675 Depth=1
	s_or_b32 exec_lo, exec_lo, s26
.LBB276_1277:                           ;   in Loop: Header=BB276_675 Depth=1
	s_or_b32 exec_lo, exec_lo, s22
.LBB276_1278:                           ;   in Loop: Header=BB276_675 Depth=1
	s_or_b32 exec_lo, exec_lo, s21
	v_lshrrev_b16 v1, 8, v7
	s_mov_b32 s21, exec_lo
	v_cmpx_ne_u16_e32 0, v1
	s_cbranch_execz .LBB276_1286
; %bb.1279:                             ;   in Loop: Header=BB276_675 Depth=1
	v_bfrev_b32_e32 v64, 1
	s_mov_b32 s22, exec_lo
	v_cmpx_ne_u16_e32 0x80, v1
	s_cbranch_execz .LBB276_1285
; %bb.1280:                             ;   in Loop: Header=BB276_675 Depth=1
	v_and_b32_sdwa v67, v1, v28 dst_sel:DWORD dst_unused:UNUSED_PAD src0_sel:WORD_0 src1_sel:DWORD
	v_mov_b32_e32 v64, 0x7c010000
	s_mov_b32 s26, exec_lo
	v_cmpx_ne_u32_e32 0x7f, v67
	s_cbranch_execz .LBB276_1284
; %bb.1281:                             ;   in Loop: Header=BB276_675 Depth=1
	v_and_b32_sdwa v64, v1, v29 dst_sel:DWORD dst_unused:UNUSED_PAD src0_sel:WORD_0 src1_sel:DWORD
	v_lshrrev_b32_e32 v66, 3, v67
	s_mov_b32 s27, exec_lo
	v_cmpx_gt_u32_e32 8, v67
; %bb.1282:                             ;   in Loop: Header=BB276_675 Depth=1
	v_ffbh_u32_e32 v11, v64
	v_min_u32_e32 v64, 32, v11
	v_subrev_nc_u32_e32 v11, 28, v64
	v_sub_nc_u32_e32 v66, 29, v64
	v_lshlrev_b64 v[11:12], v11, v[1:2]
	v_and_b32_e32 v64, 7, v11
; %bb.1283:                             ;   in Loop: Header=BB276_675 Depth=1
	s_or_b32 exec_lo, exec_lo, s27
	v_lshlrev_b32_sdwa v1, v30, v1 dst_sel:DWORD dst_unused:UNUSED_PAD src0_sel:DWORD src1_sel:WORD_0
	v_lshl_add_u32 v11, v66, 10, 0x2000
	v_and_or_b32 v1, 0x8000, v1, v11
	v_lshlrev_b32_e32 v11, 23, v64
	v_lshl_or_b32 v64, v1, 16, v11
.LBB276_1284:                           ;   in Loop: Header=BB276_675 Depth=1
	s_or_b32 exec_lo, exec_lo, s26
.LBB276_1285:                           ;   in Loop: Header=BB276_675 Depth=1
	s_or_b32 exec_lo, exec_lo, s22
.LBB276_1286:                           ;   in Loop: Header=BB276_675 Depth=1
	s_or_b32 exec_lo, exec_lo, s21
	v_lshrrev_b32_e32 v1, 16, v7
	v_mov_b32_e32 v66, 0
	v_mov_b32_e32 v67, 0
	v_cmp_ne_u16_sdwa s0, v1, v2 src0_sel:BYTE_0 src1_sel:DWORD
	s_and_saveexec_b32 s21, s0
	s_cbranch_execz .LBB276_1294
; %bb.1287:                             ;   in Loop: Header=BB276_675 Depth=1
	v_cmp_ne_u16_sdwa s0, v1, v14 src0_sel:BYTE_0 src1_sel:DWORD
	v_mov_b32_e32 v67, 0x8000
	s_and_saveexec_b32 s22, s0
	s_cbranch_execz .LBB276_1293
; %bb.1288:                             ;   in Loop: Header=BB276_675 Depth=1
	v_bfe_u32 v69, v7, 16, 7
	v_mov_b32_e32 v67, 0x7c01
	s_mov_b32 s26, exec_lo
	v_cmpx_ne_u32_e32 0x7f, v69
	s_cbranch_execz .LBB276_1292
; %bb.1289:                             ;   in Loop: Header=BB276_675 Depth=1
	v_and_b32_e32 v67, 7, v1
	v_lshrrev_b32_e32 v68, 3, v69
	s_mov_b32 s27, exec_lo
	v_cmpx_gt_u32_e32 8, v69
; %bb.1290:                             ;   in Loop: Header=BB276_675 Depth=1
	v_ffbh_u32_e32 v11, v67
	v_min_u32_e32 v67, 32, v11
	v_subrev_nc_u32_e32 v11, 28, v67
	v_sub_nc_u32_e32 v68, 29, v67
	v_lshlrev_b64 v[11:12], v11, v[1:2]
	v_and_b32_e32 v67, 7, v11
; %bb.1291:                             ;   in Loop: Header=BB276_675 Depth=1
	s_or_b32 exec_lo, exec_lo, s27
	v_lshlrev_b32_e32 v1, 8, v1
	v_lshl_add_u32 v11, v68, 10, 0x2000
	v_lshlrev_b32_e32 v12, 7, v67
	v_and_b32_e32 v1, 0x8000, v1
	v_and_b32_e32 v11, 0xfc00, v11
	v_or3_b32 v67, v1, v11, v12
.LBB276_1292:                           ;   in Loop: Header=BB276_675 Depth=1
	s_or_b32 exec_lo, exec_lo, s26
.LBB276_1293:                           ;   in Loop: Header=BB276_675 Depth=1
	s_or_b32 exec_lo, exec_lo, s22
.LBB276_1294:                           ;   in Loop: Header=BB276_675 Depth=1
	s_or_b32 exec_lo, exec_lo, s21
	s_mov_b32 s21, exec_lo
	v_cmpx_lt_u32_e32 0xffffff, v7
	s_cbranch_execz .LBB276_1302
; %bb.1295:                             ;   in Loop: Header=BB276_675 Depth=1
	v_lshrrev_b32_e32 v1, 24, v7
	v_bfrev_b32_e32 v66, 1
	s_mov_b32 s22, exec_lo
	v_cmpx_ne_u32_e32 0x80, v1
	s_cbranch_execz .LBB276_1301
; %bb.1296:                             ;   in Loop: Header=BB276_675 Depth=1
	v_and_b32_e32 v69, 0x7f, v1
	v_mov_b32_e32 v66, 0x7c010000
	s_mov_b32 s26, exec_lo
	v_cmpx_ne_u32_e32 0x7f, v69
	s_cbranch_execz .LBB276_1300
; %bb.1297:                             ;   in Loop: Header=BB276_675 Depth=1
	v_and_b32_e32 v66, 7, v1
	v_lshrrev_b32_e32 v68, 3, v69
	s_mov_b32 s27, exec_lo
	v_cmpx_gt_u32_e32 8, v69
; %bb.1298:                             ;   in Loop: Header=BB276_675 Depth=1
	v_ffbh_u32_e32 v11, v66
	v_min_u32_e32 v66, 32, v11
	v_subrev_nc_u32_e32 v11, 28, v66
	v_sub_nc_u32_e32 v68, 29, v66
	v_lshlrev_b64 v[11:12], v11, v[1:2]
	v_and_b32_e32 v66, 7, v11
; %bb.1299:                             ;   in Loop: Header=BB276_675 Depth=1
	s_or_b32 exec_lo, exec_lo, s27
	v_lshlrev_b32_e32 v1, 8, v1
	v_lshl_add_u32 v11, v68, 10, 0x2000
	v_and_or_b32 v1, 0x8000, v1, v11
	v_lshlrev_b32_e32 v11, 23, v66
	v_lshl_or_b32 v66, v1, 16, v11
.LBB276_1300:                           ;   in Loop: Header=BB276_675 Depth=1
	s_or_b32 exec_lo, exec_lo, s26
.LBB276_1301:                           ;   in Loop: Header=BB276_675 Depth=1
	s_or_b32 exec_lo, exec_lo, s22
.LBB276_1302:                           ;   in Loop: Header=BB276_675 Depth=1
	s_or_b32 exec_lo, exec_lo, s21
	v_mov_b32_e32 v1, v8
	v_cmp_ne_u16_sdwa s0, v8, v2 src0_sel:BYTE_0 src1_sel:DWORD
	v_mov_b32_e32 v68, 0
	v_mov_b32_e32 v69, 0
	s_and_saveexec_b32 s21, s0
	s_cbranch_execz .LBB276_1310
; %bb.1303:                             ;   in Loop: Header=BB276_675 Depth=1
	v_cmp_ne_u16_sdwa s0, v8, v14 src0_sel:BYTE_0 src1_sel:DWORD
	v_mov_b32_e32 v69, 0x8000
	s_and_saveexec_b32 s22, s0
	s_cbranch_execz .LBB276_1309
; %bb.1304:                             ;   in Loop: Header=BB276_675 Depth=1
	v_and_b32_e32 v71, 0x7f, v8
	v_mov_b32_e32 v69, 0x7c01
	s_mov_b32 s26, exec_lo
	v_cmpx_ne_u32_e32 0x7f, v71
	s_cbranch_execz .LBB276_1308
; %bb.1305:                             ;   in Loop: Header=BB276_675 Depth=1
	v_and_b32_e32 v69, 7, v8
	v_lshrrev_b32_e32 v70, 3, v71
	s_mov_b32 s27, exec_lo
	v_cmpx_gt_u32_e32 8, v71
; %bb.1306:                             ;   in Loop: Header=BB276_675 Depth=1
	v_ffbh_u32_e32 v11, v69
	v_min_u32_e32 v69, 32, v11
	v_subrev_nc_u32_e32 v11, 28, v69
	v_sub_nc_u32_e32 v70, 29, v69
	v_lshlrev_b64 v[11:12], v11, v[1:2]
	v_and_b32_e32 v69, 7, v11
; %bb.1307:                             ;   in Loop: Header=BB276_675 Depth=1
	s_or_b32 exec_lo, exec_lo, s27
	v_lshlrev_b32_e32 v11, 8, v8
	v_lshl_add_u32 v12, v70, 10, 0x2000
	v_lshlrev_b32_e32 v69, 7, v69
	v_and_b32_e32 v11, 0x8000, v11
	v_and_b32_e32 v12, 0xfc00, v12
	v_or3_b32 v69, v11, v12, v69
.LBB276_1308:                           ;   in Loop: Header=BB276_675 Depth=1
	s_or_b32 exec_lo, exec_lo, s26
.LBB276_1309:                           ;   in Loop: Header=BB276_675 Depth=1
	s_or_b32 exec_lo, exec_lo, s22
.LBB276_1310:                           ;   in Loop: Header=BB276_675 Depth=1
	s_or_b32 exec_lo, exec_lo, s21
	v_lshrrev_b16 v1, 8, v1
	v_mov_b32_e32 v70, 0
	s_mov_b32 s21, exec_lo
	v_cmpx_ne_u16_e32 0, v1
	s_cbranch_execz .LBB276_1318
; %bb.1311:                             ;   in Loop: Header=BB276_675 Depth=1
	v_bfrev_b32_e32 v70, 1
	s_mov_b32 s22, exec_lo
	v_cmpx_ne_u16_e32 0x80, v1
	s_cbranch_execz .LBB276_1317
; %bb.1312:                             ;   in Loop: Header=BB276_675 Depth=1
	v_and_b32_sdwa v72, v1, v28 dst_sel:DWORD dst_unused:UNUSED_PAD src0_sel:WORD_0 src1_sel:DWORD
	v_mov_b32_e32 v70, 0x7c010000
	s_mov_b32 s26, exec_lo
	v_cmpx_ne_u32_e32 0x7f, v72
	s_cbranch_execz .LBB276_1316
; %bb.1313:                             ;   in Loop: Header=BB276_675 Depth=1
	v_and_b32_sdwa v70, v1, v29 dst_sel:DWORD dst_unused:UNUSED_PAD src0_sel:WORD_0 src1_sel:DWORD
	v_lshrrev_b32_e32 v71, 3, v72
	s_mov_b32 s27, exec_lo
	v_cmpx_gt_u32_e32 8, v72
; %bb.1314:                             ;   in Loop: Header=BB276_675 Depth=1
	v_ffbh_u32_e32 v11, v70
	v_min_u32_e32 v70, 32, v11
	v_subrev_nc_u32_e32 v11, 28, v70
	v_sub_nc_u32_e32 v71, 29, v70
	v_lshlrev_b64 v[11:12], v11, v[1:2]
	v_and_b32_e32 v70, 7, v11
; %bb.1315:                             ;   in Loop: Header=BB276_675 Depth=1
	s_or_b32 exec_lo, exec_lo, s27
	v_lshlrev_b32_sdwa v1, v30, v1 dst_sel:DWORD dst_unused:UNUSED_PAD src0_sel:DWORD src1_sel:WORD_0
	v_lshl_add_u32 v11, v71, 10, 0x2000
	v_and_or_b32 v1, 0x8000, v1, v11
	v_lshlrev_b32_e32 v11, 23, v70
	v_lshl_or_b32 v70, v1, 16, v11
.LBB276_1316:                           ;   in Loop: Header=BB276_675 Depth=1
	s_or_b32 exec_lo, exec_lo, s26
.LBB276_1317:                           ;   in Loop: Header=BB276_675 Depth=1
	s_or_b32 exec_lo, exec_lo, s22
.LBB276_1318:                           ;   in Loop: Header=BB276_675 Depth=1
	s_or_b32 exec_lo, exec_lo, s21
	v_lshrrev_b32_e32 v1, 16, v8
	v_cmp_ne_u16_sdwa s0, v1, v2 src0_sel:BYTE_0 src1_sel:DWORD
	s_and_saveexec_b32 s21, s0
	s_cbranch_execz .LBB276_1326
; %bb.1319:                             ;   in Loop: Header=BB276_675 Depth=1
	v_cmp_ne_u16_sdwa s0, v1, v14 src0_sel:BYTE_0 src1_sel:DWORD
	v_mov_b32_e32 v68, 0x8000
	s_and_saveexec_b32 s22, s0
	s_cbranch_execz .LBB276_1325
; %bb.1320:                             ;   in Loop: Header=BB276_675 Depth=1
	v_bfe_u32 v72, v8, 16, 7
	v_mov_b32_e32 v68, 0x7c01
	s_mov_b32 s26, exec_lo
	v_cmpx_ne_u32_e32 0x7f, v72
	s_cbranch_execz .LBB276_1324
; %bb.1321:                             ;   in Loop: Header=BB276_675 Depth=1
	v_and_b32_e32 v68, 7, v1
	v_lshrrev_b32_e32 v71, 3, v72
	s_mov_b32 s27, exec_lo
	v_cmpx_gt_u32_e32 8, v72
; %bb.1322:                             ;   in Loop: Header=BB276_675 Depth=1
	v_ffbh_u32_e32 v11, v68
	v_min_u32_e32 v68, 32, v11
	v_subrev_nc_u32_e32 v11, 28, v68
	v_sub_nc_u32_e32 v71, 29, v68
	v_lshlrev_b64 v[11:12], v11, v[1:2]
	v_and_b32_e32 v68, 7, v11
; %bb.1323:                             ;   in Loop: Header=BB276_675 Depth=1
	s_or_b32 exec_lo, exec_lo, s27
	v_lshlrev_b32_e32 v1, 8, v1
	v_lshl_add_u32 v11, v71, 10, 0x2000
	v_lshlrev_b32_e32 v12, 7, v68
	v_and_b32_e32 v1, 0x8000, v1
	v_and_b32_e32 v11, 0xfc00, v11
	v_or3_b32 v68, v1, v11, v12
.LBB276_1324:                           ;   in Loop: Header=BB276_675 Depth=1
	s_or_b32 exec_lo, exec_lo, s26
.LBB276_1325:                           ;   in Loop: Header=BB276_675 Depth=1
	s_or_b32 exec_lo, exec_lo, s22
.LBB276_1326:                           ;   in Loop: Header=BB276_675 Depth=1
	s_or_b32 exec_lo, exec_lo, s21
	v_cmp_lt_u64_e64 s0, s[2:3], v[7:8]
	v_mov_b32_e32 v7, 0
	s_and_saveexec_b32 s21, s0
	s_cbranch_execz .LBB276_1334
; %bb.1327:                             ;   in Loop: Header=BB276_675 Depth=1
	v_lshrrev_b32_e32 v1, 24, v8
	v_bfrev_b32_e32 v7, 1
	s_mov_b32 s22, exec_lo
	v_cmpx_ne_u32_e32 0x80, v1
	s_cbranch_execz .LBB276_1333
; %bb.1328:                             ;   in Loop: Header=BB276_675 Depth=1
	v_and_b32_e32 v71, 0x7f, v1
	v_mov_b32_e32 v7, 0x7c010000
	s_mov_b32 s26, exec_lo
	v_cmpx_ne_u32_e32 0x7f, v71
	s_cbranch_execz .LBB276_1332
; %bb.1329:                             ;   in Loop: Header=BB276_675 Depth=1
	v_and_b32_e32 v7, 7, v1
	v_lshrrev_b32_e32 v8, 3, v71
	s_mov_b32 s27, exec_lo
	v_cmpx_gt_u32_e32 8, v71
; %bb.1330:                             ;   in Loop: Header=BB276_675 Depth=1
	v_ffbh_u32_e32 v7, v7
	v_min_u32_e32 v11, 32, v7
	v_subrev_nc_u32_e32 v7, 28, v11
	v_lshlrev_b64 v[7:8], v7, v[1:2]
	v_sub_nc_u32_e32 v8, 29, v11
	v_and_b32_e32 v7, 7, v7
; %bb.1331:                             ;   in Loop: Header=BB276_675 Depth=1
	s_or_b32 exec_lo, exec_lo, s27
	v_lshlrev_b32_e32 v1, 8, v1
	v_lshl_add_u32 v8, v8, 10, 0x2000
	v_lshlrev_b32_e32 v7, 23, v7
	v_and_or_b32 v1, 0x8000, v1, v8
	v_lshl_or_b32 v7, v1, 16, v7
.LBB276_1332:                           ;   in Loop: Header=BB276_675 Depth=1
	s_or_b32 exec_lo, exec_lo, s26
.LBB276_1333:                           ;   in Loop: Header=BB276_675 Depth=1
	s_or_b32 exec_lo, exec_lo, s22
.LBB276_1334:                           ;   in Loop: Header=BB276_675 Depth=1
	s_or_b32 exec_lo, exec_lo, s21
	v_or_b32_e32 v1, v66, v67
	s_waitcnt vmcnt(0)
	v_fma_mixlo_f16 v8, v63, v66, 0 op_sel:[0,1,0] op_sel_hi:[0,1,0]
	v_or_b32_e32 v11, v64, v65
	v_fma_mixlo_f16 v12, v63, v64, 0 op_sel:[0,1,0] op_sel_hi:[0,1,0]
	v_or_b32_e32 v65, v70, v69
	v_fma_mixlo_f16 v1, v63, v1, 0 op_sel_hi:[0,1,0]
	v_or_b32_e32 v67, v7, v68
	v_lshlrev_b32_e32 v64, 16, v8
	v_lshlrev_b32_e32 v69, 16, v12
	v_fma_mixlo_f16 v8, v63, v11, 0 op_sel_hi:[0,1,0]
	v_and_b32_e32 v66, 0xffff, v1
	v_fma_mixlo_f16 v1, v63, v70, 0 op_sel:[0,1,0] op_sel_hi:[0,1,0]
	v_fma_mixlo_f16 v11, v63, v65, 0 op_sel_hi:[0,1,0]
	v_fma_mixlo_f16 v7, v63, v7, 0 op_sel:[0,1,0] op_sel_hi:[0,1,0]
	v_fma_mixlo_f16 v12, v63, v67, 0 op_sel_hi:[0,1,0]
	v_and_b32_e32 v71, 0xffff, v8
	v_lshlrev_b32_e32 v67, 16, v1
	v_and_b32_e32 v70, 0xffff, v11
	v_lshlrev_b32_e32 v65, 16, v7
	v_and_b32_e32 v68, 0xffff, v12
	v_or_b32_e32 v8, v64, v66
	v_or_b32_e32 v63, v69, v71
	;; [unrolled: 1-line block ×4, first 2 shown]
	s_and_saveexec_b32 s0, vcc_lo
	s_cbranch_execz .LBB276_673
; %bb.1335:                             ;   in Loop: Header=BB276_675 Depth=1
	v_cmp_gt_i32_e32 vcc_lo, s33, v35
	v_cndmask_b32_e32 v1, 0, v71, vcc_lo
	v_cmp_gt_i32_e32 vcc_lo, s33, v47
	v_cndmask_b32_e32 v7, 0, v69, vcc_lo
	v_cmp_gt_i32_e32 vcc_lo, s33, v45
	v_or_b32_e32 v63, v7, v1
	v_cndmask_b32_e32 v8, 0, v66, vcc_lo
	v_cmp_gt_i32_e32 vcc_lo, s33, v43
	v_cndmask_b32_e32 v11, 0, v64, vcc_lo
	v_cmp_gt_i32_e32 vcc_lo, s33, v41
	v_or_b32_e32 v8, v11, v8
	;; [unrolled: 5-line block ×3, first 2 shown]
	v_cndmask_b32_e32 v37, 0, v68, vcc_lo
	v_cmp_gt_i32_e32 vcc_lo, s33, v36
	v_cndmask_b32_e32 v36, 0, v65, vcc_lo
	v_or_b32_e32 v1, v36, v37
	s_branch .LBB276_673
.LBB276_1336:
	s_or_b32 exec_lo, exec_lo, s17
.LBB276_1337:
	s_or_b32 exec_lo, exec_lo, s1
	ds_bpermute_b32 v1, v17, v26
	ds_bpermute_b32 v2, v17, v27
	;; [unrolled: 1-line block ×10, first 2 shown]
	s_mov_b32 s0, exec_lo
	s_waitcnt lgkmcnt(0)
	s_barrier
	buffer_gl0_inv
	v_add_f32_e32 v1, v26, v1
	v_add_f32_e32 v2, v27, v2
	;; [unrolled: 1-line block ×10, first 2 shown]
	ds_bpermute_b32 v6, v16, v1
	ds_bpermute_b32 v7, v16, v2
	;; [unrolled: 1-line block ×10, first 2 shown]
	v_and_b32_e32 v10, 31, v0
	v_and_b32_e32 v27, 0x3c3, v0
	;; [unrolled: 1-line block ×3, first 2 shown]
	v_lshrrev_b32_e32 v13, 2, v10
	v_lshrrev_b32_e32 v10, 5, v0
	v_add_nc_u32_e32 v12, 0xc0, v9
	s_waitcnt lgkmcnt(8)
	v_add_f32_e32 v9, v2, v7
	v_mul_u32_u24_e32 v11, 0x140, v10
	v_add_f32_e32 v10, v1, v6
	s_waitcnt lgkmcnt(7)
	v_add_f32_e32 v8, v3, v8
	s_waitcnt lgkmcnt(6)
	;; [unrolled: 2-line block ×8, first 2 shown]
	v_add_f32_e32 v1, v18, v16
	v_cmpx_eq_u32_e32 64, v27
	s_cbranch_execz .LBB276_1339
; %bb.1338:
	v_add_nc_u32_e32 v14, v12, v11
	v_add_nc_u32_e32 v16, 0xfffffd80, v14
	;; [unrolled: 1-line block ×6, first 2 shown]
	ds_write_b32 v16, v10
	ds_write_b32 v17, v9
	;; [unrolled: 1-line block ×5, first 2 shown]
	v_add_nc_u32_e32 v16, 0xfffffe20, v14
	v_add_nc_u32_e32 v17, 0xfffffe40, v14
	;; [unrolled: 1-line block ×5, first 2 shown]
	ds_write_b32 v16, v5
	ds_write_b32 v17, v4
	;; [unrolled: 1-line block ×5, first 2 shown]
.LBB276_1339:
	s_or_b32 exec_lo, exec_lo, s0
	v_lshlrev_b32_e32 v13, 2, v13
	s_mov_b32 s1, exec_lo
	v_cmp_eq_u32_e32 vcc_lo, 0, v15
	s_waitcnt lgkmcnt(0)
	s_barrier
	v_add3_u32 v11, 0xc0, v11, v13
	buffer_gl0_inv
	v_cmpx_gt_u32_e32 64, v0
	s_cbranch_execz .LBB276_1352
; %bb.1340:
	s_and_saveexec_b32 s0, vcc_lo
	s_cbranch_execnz .LBB276_1370
; %bb.1341:
	s_or_b32 exec_lo, exec_lo, s0
	s_and_saveexec_b32 s0, vcc_lo
	s_cbranch_execnz .LBB276_1371
.LBB276_1342:
	s_or_b32 exec_lo, exec_lo, s0
	s_and_saveexec_b32 s0, vcc_lo
	s_cbranch_execnz .LBB276_1372
.LBB276_1343:
	s_or_b32 exec_lo, exec_lo, s0
	s_and_saveexec_b32 s0, vcc_lo
	s_cbranch_execnz .LBB276_1373
.LBB276_1344:
	s_or_b32 exec_lo, exec_lo, s0
	s_and_saveexec_b32 s0, vcc_lo
	s_cbranch_execnz .LBB276_1374
.LBB276_1345:
	s_or_b32 exec_lo, exec_lo, s0
	s_and_saveexec_b32 s0, vcc_lo
	s_cbranch_execnz .LBB276_1375
.LBB276_1346:
	s_or_b32 exec_lo, exec_lo, s0
	s_and_saveexec_b32 s0, vcc_lo
	s_cbranch_execnz .LBB276_1376
.LBB276_1347:
	s_or_b32 exec_lo, exec_lo, s0
	s_and_saveexec_b32 s0, vcc_lo
	s_cbranch_execnz .LBB276_1377
.LBB276_1348:
	s_or_b32 exec_lo, exec_lo, s0
	s_and_saveexec_b32 s0, vcc_lo
	s_cbranch_execnz .LBB276_1378
.LBB276_1349:
	s_or_b32 exec_lo, exec_lo, s0
	s_and_saveexec_b32 s0, vcc_lo
	s_cbranch_execz .LBB276_1351
.LBB276_1350:
	ds_read_b32 v13, v11 offset:288
	s_waitcnt lgkmcnt(0)
	v_add_f32_e32 v1, v1, v13
.LBB276_1351:
	s_or_b32 exec_lo, exec_lo, s0
.LBB276_1352:
	s_or_b32 exec_lo, exec_lo, s1
	v_and_b32_e32 v13, 0x3e3, v0
	s_mov_b32 s1, exec_lo
	s_barrier
	buffer_gl0_inv
	v_cmpx_eq_u32_e32 32, v13
	s_cbranch_execz .LBB276_1354
; %bb.1353:
	ds_write2_b32 v12, v10, v9 offset1:8
	ds_write2_b32 v12, v8, v7 offset0:16 offset1:24
	ds_write2_b32 v12, v6, v5 offset0:32 offset1:40
	;; [unrolled: 1-line block ×4, first 2 shown]
.LBB276_1354:
	s_or_b32 exec_lo, exec_lo, s1
	s_mov_b32 s1, exec_lo
	s_waitcnt lgkmcnt(0)
	s_barrier
	buffer_gl0_inv
	v_cmpx_gt_u32_e32 32, v0
	s_cbranch_execz .LBB276_1367
; %bb.1355:
	s_and_saveexec_b32 s0, vcc_lo
	s_cbranch_execnz .LBB276_1379
; %bb.1356:
	s_or_b32 exec_lo, exec_lo, s0
	s_and_saveexec_b32 s0, vcc_lo
	s_cbranch_execnz .LBB276_1380
.LBB276_1357:
	s_or_b32 exec_lo, exec_lo, s0
	s_and_saveexec_b32 s0, vcc_lo
	s_cbranch_execnz .LBB276_1381
.LBB276_1358:
	s_or_b32 exec_lo, exec_lo, s0
	s_and_saveexec_b32 s0, vcc_lo
	s_cbranch_execnz .LBB276_1382
.LBB276_1359:
	s_or_b32 exec_lo, exec_lo, s0
	s_and_saveexec_b32 s0, vcc_lo
	s_cbranch_execnz .LBB276_1383
.LBB276_1360:
	s_or_b32 exec_lo, exec_lo, s0
	s_and_saveexec_b32 s0, vcc_lo
	s_cbranch_execnz .LBB276_1384
.LBB276_1361:
	s_or_b32 exec_lo, exec_lo, s0
	s_and_saveexec_b32 s0, vcc_lo
	s_cbranch_execnz .LBB276_1385
.LBB276_1362:
	s_or_b32 exec_lo, exec_lo, s0
	s_and_saveexec_b32 s0, vcc_lo
	s_cbranch_execnz .LBB276_1386
.LBB276_1363:
	s_or_b32 exec_lo, exec_lo, s0
	s_and_saveexec_b32 s0, vcc_lo
	s_cbranch_execnz .LBB276_1387
.LBB276_1364:
	s_or_b32 exec_lo, exec_lo, s0
	s_and_saveexec_b32 s0, vcc_lo
	s_cbranch_execz .LBB276_1366
.LBB276_1365:
	ds_read_b32 v11, v11 offset:288
	s_waitcnt lgkmcnt(0)
	v_add_f32_e32 v1, v1, v11
.LBB276_1366:
	s_or_b32 exec_lo, exec_lo, s0
.LBB276_1367:
	s_or_b32 exec_lo, exec_lo, s1
	s_barrier
	buffer_gl0_inv
	s_mov_b32 s0, exec_lo
	v_cmpx_eq_u32_e32 0, v13
	s_cbranch_execz .LBB276_1369
; %bb.1368:
	s_mul_i32 s0, s10, s11
	s_mul_i32 s2, s11, s24
	;; [unrolled: 1-line block ×3, first 2 shown]
	v_lshrrev_b32_e32 v0, 1, v0
	s_mulk_i32 s0, 0x50
	;;#ASMSTART
	v_cvt_f16_f32 v10, v10;

	;;#ASMEND
	s_ashr_i32 s1, s0, 31
	s_lshl_b64 s[0:1], s[0:1], 1
	s_add_u32 s4, s6, s0
	s_addc_u32 s5, s7, s1
	s_ashr_i32 s3, s2, 31
	s_lshl_b64 s[0:1], s[2:3], 1
	s_mul_i32 s2, s8, 0x50
	s_add_u32 s4, s4, s0
	s_addc_u32 s5, s5, s1
	s_ashr_i32 s3, s2, 31
	s_lshl_b64 s[0:1], s[2:3], 1
	s_add_u32 s0, s4, s0
	s_addc_u32 s1, s5, s1
	global_store_short v0, v10, s[0:1]
	;;#ASMSTART
	v_cvt_f16_f32 v9, v9;

	;;#ASMEND
	global_store_short v0, v9, s[0:1] offset:16
	;;#ASMSTART
	v_cvt_f16_f32 v8, v8;

	;;#ASMEND
	global_store_short v0, v8, s[0:1] offset:32
	;; [unrolled: 5-line block ×9, first 2 shown]
.LBB276_1369:
	s_endpgm
.LBB276_1370:
	ds_read_b32 v13, v11
	s_waitcnt lgkmcnt(0)
	v_add_f32_e32 v10, v10, v13
	s_or_b32 exec_lo, exec_lo, s0
	s_and_saveexec_b32 s0, vcc_lo
	s_cbranch_execz .LBB276_1342
.LBB276_1371:
	ds_read_b32 v13, v11 offset:32
	s_waitcnt lgkmcnt(0)
	v_add_f32_e32 v9, v9, v13
	s_or_b32 exec_lo, exec_lo, s0
	s_and_saveexec_b32 s0, vcc_lo
	s_cbranch_execz .LBB276_1343
.LBB276_1372:
	ds_read_b32 v13, v11 offset:64
	s_waitcnt lgkmcnt(0)
	v_add_f32_e32 v8, v8, v13
	s_or_b32 exec_lo, exec_lo, s0
	s_and_saveexec_b32 s0, vcc_lo
	s_cbranch_execz .LBB276_1344
.LBB276_1373:
	ds_read_b32 v13, v11 offset:96
	s_waitcnt lgkmcnt(0)
	v_add_f32_e32 v7, v7, v13
	s_or_b32 exec_lo, exec_lo, s0
	s_and_saveexec_b32 s0, vcc_lo
	s_cbranch_execz .LBB276_1345
.LBB276_1374:
	ds_read_b32 v13, v11 offset:128
	s_waitcnt lgkmcnt(0)
	v_add_f32_e32 v6, v6, v13
	s_or_b32 exec_lo, exec_lo, s0
	s_and_saveexec_b32 s0, vcc_lo
	s_cbranch_execz .LBB276_1346
.LBB276_1375:
	ds_read_b32 v13, v11 offset:160
	s_waitcnt lgkmcnt(0)
	v_add_f32_e32 v5, v5, v13
	s_or_b32 exec_lo, exec_lo, s0
	s_and_saveexec_b32 s0, vcc_lo
	s_cbranch_execz .LBB276_1347
.LBB276_1376:
	ds_read_b32 v13, v11 offset:192
	s_waitcnt lgkmcnt(0)
	v_add_f32_e32 v4, v4, v13
	s_or_b32 exec_lo, exec_lo, s0
	s_and_saveexec_b32 s0, vcc_lo
	s_cbranch_execz .LBB276_1348
.LBB276_1377:
	ds_read_b32 v13, v11 offset:224
	s_waitcnt lgkmcnt(0)
	v_add_f32_e32 v3, v3, v13
	s_or_b32 exec_lo, exec_lo, s0
	s_and_saveexec_b32 s0, vcc_lo
	s_cbranch_execz .LBB276_1349
.LBB276_1378:
	ds_read_b32 v13, v11 offset:256
	s_waitcnt lgkmcnt(0)
	v_add_f32_e32 v2, v2, v13
	s_or_b32 exec_lo, exec_lo, s0
	s_and_saveexec_b32 s0, vcc_lo
	s_cbranch_execnz .LBB276_1350
	s_branch .LBB276_1351
.LBB276_1379:
	ds_read_b32 v12, v11
	s_waitcnt lgkmcnt(0)
	v_add_f32_e32 v10, v10, v12
	s_or_b32 exec_lo, exec_lo, s0
	s_and_saveexec_b32 s0, vcc_lo
	s_cbranch_execz .LBB276_1357
.LBB276_1380:
	ds_read_b32 v12, v11 offset:32
	s_waitcnt lgkmcnt(0)
	v_add_f32_e32 v9, v9, v12
	s_or_b32 exec_lo, exec_lo, s0
	s_and_saveexec_b32 s0, vcc_lo
	s_cbranch_execz .LBB276_1358
.LBB276_1381:
	ds_read_b32 v12, v11 offset:64
	s_waitcnt lgkmcnt(0)
	v_add_f32_e32 v8, v8, v12
	s_or_b32 exec_lo, exec_lo, s0
	s_and_saveexec_b32 s0, vcc_lo
	s_cbranch_execz .LBB276_1359
.LBB276_1382:
	ds_read_b32 v12, v11 offset:96
	s_waitcnt lgkmcnt(0)
	v_add_f32_e32 v7, v7, v12
	s_or_b32 exec_lo, exec_lo, s0
	s_and_saveexec_b32 s0, vcc_lo
	s_cbranch_execz .LBB276_1360
.LBB276_1383:
	ds_read_b32 v12, v11 offset:128
	s_waitcnt lgkmcnt(0)
	v_add_f32_e32 v6, v6, v12
	s_or_b32 exec_lo, exec_lo, s0
	s_and_saveexec_b32 s0, vcc_lo
	s_cbranch_execz .LBB276_1361
.LBB276_1384:
	ds_read_b32 v12, v11 offset:160
	s_waitcnt lgkmcnt(0)
	v_add_f32_e32 v5, v5, v12
	s_or_b32 exec_lo, exec_lo, s0
	s_and_saveexec_b32 s0, vcc_lo
	s_cbranch_execz .LBB276_1362
.LBB276_1385:
	ds_read_b32 v12, v11 offset:192
	s_waitcnt lgkmcnt(0)
	v_add_f32_e32 v4, v4, v12
	s_or_b32 exec_lo, exec_lo, s0
	s_and_saveexec_b32 s0, vcc_lo
	s_cbranch_execz .LBB276_1363
.LBB276_1386:
	ds_read_b32 v12, v11 offset:224
	s_waitcnt lgkmcnt(0)
	v_add_f32_e32 v3, v3, v12
	s_or_b32 exec_lo, exec_lo, s0
	s_and_saveexec_b32 s0, vcc_lo
	s_cbranch_execz .LBB276_1364
.LBB276_1387:
	ds_read_b32 v12, v11 offset:256
	s_waitcnt lgkmcnt(0)
	v_add_f32_e32 v2, v2, v12
	s_or_b32 exec_lo, exec_lo, s0
	s_and_saveexec_b32 s0, vcc_lo
	s_cbranch_execnz .LBB276_1365
	s_branch .LBB276_1366
	.section	.rodata,"a",@progbits
	.p2align	6, 0x0
	.amdhsa_kernel _ZN4vllm25paged_attention_v1_kernelIthLi80ELi32ELi128ELNS_18Fp8KVCacheDataTypeE1ELb1EEEvPT_PKS2_PKT0_S8_ifPKiSA_iPKfiiiSC_SC_iiiii
		.amdhsa_group_segment_fixed_size 192
		.amdhsa_private_segment_fixed_size 8
		.amdhsa_kernarg_size 384
		.amdhsa_user_sgpr_count 6
		.amdhsa_user_sgpr_private_segment_buffer 1
		.amdhsa_user_sgpr_dispatch_ptr 0
		.amdhsa_user_sgpr_queue_ptr 0
		.amdhsa_user_sgpr_kernarg_segment_ptr 1
		.amdhsa_user_sgpr_dispatch_id 0
		.amdhsa_user_sgpr_flat_scratch_init 0
		.amdhsa_user_sgpr_private_segment_size 0
		.amdhsa_wavefront_size32 1
		.amdhsa_uses_dynamic_stack 0
		.amdhsa_system_sgpr_private_segment_wavefront_offset 1
		.amdhsa_system_sgpr_workgroup_id_x 1
		.amdhsa_system_sgpr_workgroup_id_y 1
		.amdhsa_system_sgpr_workgroup_id_z 1
		.amdhsa_system_sgpr_workgroup_info 0
		.amdhsa_system_vgpr_workitem_id 0
		.amdhsa_next_free_vgpr 128
		.amdhsa_next_free_sgpr 52
		.amdhsa_reserve_vcc 1
		.amdhsa_reserve_flat_scratch 0
		.amdhsa_float_round_mode_32 0
		.amdhsa_float_round_mode_16_64 0
		.amdhsa_float_denorm_mode_32 3
		.amdhsa_float_denorm_mode_16_64 3
		.amdhsa_dx10_clamp 1
		.amdhsa_ieee_mode 1
		.amdhsa_fp16_overflow 0
		.amdhsa_workgroup_processor_mode 1
		.amdhsa_memory_ordered 1
		.amdhsa_forward_progress 1
		.amdhsa_shared_vgpr_count 0
		.amdhsa_exception_fp_ieee_invalid_op 0
		.amdhsa_exception_fp_denorm_src 0
		.amdhsa_exception_fp_ieee_div_zero 0
		.amdhsa_exception_fp_ieee_overflow 0
		.amdhsa_exception_fp_ieee_underflow 0
		.amdhsa_exception_fp_ieee_inexact 0
		.amdhsa_exception_int_div_zero 0
	.end_amdhsa_kernel
	.section	.text._ZN4vllm25paged_attention_v1_kernelIthLi80ELi32ELi128ELNS_18Fp8KVCacheDataTypeE1ELb1EEEvPT_PKS2_PKT0_S8_ifPKiSA_iPKfiiiSC_SC_iiiii,"axG",@progbits,_ZN4vllm25paged_attention_v1_kernelIthLi80ELi32ELi128ELNS_18Fp8KVCacheDataTypeE1ELb1EEEvPT_PKS2_PKT0_S8_ifPKiSA_iPKfiiiSC_SC_iiiii,comdat
.Lfunc_end276:
	.size	_ZN4vllm25paged_attention_v1_kernelIthLi80ELi32ELi128ELNS_18Fp8KVCacheDataTypeE1ELb1EEEvPT_PKS2_PKT0_S8_ifPKiSA_iPKfiiiSC_SC_iiiii, .Lfunc_end276-_ZN4vllm25paged_attention_v1_kernelIthLi80ELi32ELi128ELNS_18Fp8KVCacheDataTypeE1ELb1EEEvPT_PKS2_PKT0_S8_ifPKiSA_iPKfiiiSC_SC_iiiii
                                        ; -- End function
	.set _ZN4vllm25paged_attention_v1_kernelIthLi80ELi32ELi128ELNS_18Fp8KVCacheDataTypeE1ELb1EEEvPT_PKS2_PKT0_S8_ifPKiSA_iPKfiiiSC_SC_iiiii.num_vgpr, 128
	.set _ZN4vllm25paged_attention_v1_kernelIthLi80ELi32ELi128ELNS_18Fp8KVCacheDataTypeE1ELb1EEEvPT_PKS2_PKT0_S8_ifPKiSA_iPKfiiiSC_SC_iiiii.num_agpr, 0
	.set _ZN4vllm25paged_attention_v1_kernelIthLi80ELi32ELi128ELNS_18Fp8KVCacheDataTypeE1ELb1EEEvPT_PKS2_PKT0_S8_ifPKiSA_iPKfiiiSC_SC_iiiii.numbered_sgpr, 52
	.set _ZN4vllm25paged_attention_v1_kernelIthLi80ELi32ELi128ELNS_18Fp8KVCacheDataTypeE1ELb1EEEvPT_PKS2_PKT0_S8_ifPKiSA_iPKfiiiSC_SC_iiiii.num_named_barrier, 0
	.set _ZN4vllm25paged_attention_v1_kernelIthLi80ELi32ELi128ELNS_18Fp8KVCacheDataTypeE1ELb1EEEvPT_PKS2_PKT0_S8_ifPKiSA_iPKfiiiSC_SC_iiiii.private_seg_size, 8
	.set _ZN4vllm25paged_attention_v1_kernelIthLi80ELi32ELi128ELNS_18Fp8KVCacheDataTypeE1ELb1EEEvPT_PKS2_PKT0_S8_ifPKiSA_iPKfiiiSC_SC_iiiii.uses_vcc, 1
	.set _ZN4vllm25paged_attention_v1_kernelIthLi80ELi32ELi128ELNS_18Fp8KVCacheDataTypeE1ELb1EEEvPT_PKS2_PKT0_S8_ifPKiSA_iPKfiiiSC_SC_iiiii.uses_flat_scratch, 0
	.set _ZN4vllm25paged_attention_v1_kernelIthLi80ELi32ELi128ELNS_18Fp8KVCacheDataTypeE1ELb1EEEvPT_PKS2_PKT0_S8_ifPKiSA_iPKfiiiSC_SC_iiiii.has_dyn_sized_stack, 0
	.set _ZN4vllm25paged_attention_v1_kernelIthLi80ELi32ELi128ELNS_18Fp8KVCacheDataTypeE1ELb1EEEvPT_PKS2_PKT0_S8_ifPKiSA_iPKfiiiSC_SC_iiiii.has_recursion, 0
	.set _ZN4vllm25paged_attention_v1_kernelIthLi80ELi32ELi128ELNS_18Fp8KVCacheDataTypeE1ELb1EEEvPT_PKS2_PKT0_S8_ifPKiSA_iPKfiiiSC_SC_iiiii.has_indirect_call, 0
	.section	.AMDGPU.csdata,"",@progbits
; Kernel info:
; codeLenInByte = 44956
; TotalNumSgprs: 54
; NumVgprs: 128
; ScratchSize: 8
; MemoryBound: 0
; FloatMode: 240
; IeeeMode: 1
; LDSByteSize: 192 bytes/workgroup (compile time only)
; SGPRBlocks: 0
; VGPRBlocks: 15
; NumSGPRsForWavesPerEU: 54
; NumVGPRsForWavesPerEU: 128
; Occupancy: 8
; WaveLimiterHint : 1
; COMPUTE_PGM_RSRC2:SCRATCH_EN: 1
; COMPUTE_PGM_RSRC2:USER_SGPR: 6
; COMPUTE_PGM_RSRC2:TRAP_HANDLER: 0
; COMPUTE_PGM_RSRC2:TGID_X_EN: 1
; COMPUTE_PGM_RSRC2:TGID_Y_EN: 1
; COMPUTE_PGM_RSRC2:TGID_Z_EN: 1
; COMPUTE_PGM_RSRC2:TIDIG_COMP_CNT: 0
	.text
	.p2align	2                               ; -- Begin function _ZN4vllm22paged_attention_kernelIthLi96ELi32ELi128ELNS_18Fp8KVCacheDataTypeE1ELb1ELi0EEEvPfS2_PT_PKS3_PKT0_S9_ifPKiSB_iPKfiiiSD_SD_iiiii
	.type	_ZN4vllm22paged_attention_kernelIthLi96ELi32ELi128ELNS_18Fp8KVCacheDataTypeE1ELb1ELi0EEEvPfS2_PT_PKS3_PKT0_S9_ifPKiSB_iPKfiiiSD_SD_iiiii,@function
_ZN4vllm22paged_attention_kernelIthLi96ELi32ELi128ELNS_18Fp8KVCacheDataTypeE1ELb1ELi0EEEvPfS2_PT_PKS3_PKT0_S9_ifPKiSB_iPKfiiiSD_SD_iiiii: ; @_ZN4vllm22paged_attention_kernelIthLi96ELi32ELi128ELNS_18Fp8KVCacheDataTypeE1ELb1ELi0EEEvPfS2_PT_PKS3_PKT0_S9_ifPKiSB_iPKfiiiSD_SD_iiiii
; %bb.0:
	s_waitcnt vmcnt(0) expcnt(0) lgkmcnt(0)
	buffer_store_dword v40, off, s[0:3], s32 offset:188 ; 4-byte Folded Spill
	buffer_store_dword v41, off, s[0:3], s32 offset:184 ; 4-byte Folded Spill
	buffer_store_dword v42, off, s[0:3], s32 offset:180 ; 4-byte Folded Spill
	buffer_store_dword v43, off, s[0:3], s32 offset:176 ; 4-byte Folded Spill
	buffer_store_dword v44, off, s[0:3], s32 offset:172 ; 4-byte Folded Spill
	buffer_store_dword v45, off, s[0:3], s32 offset:168 ; 4-byte Folded Spill
	buffer_store_dword v46, off, s[0:3], s32 offset:164 ; 4-byte Folded Spill
	buffer_store_dword v47, off, s[0:3], s32 offset:160 ; 4-byte Folded Spill
	buffer_store_dword v56, off, s[0:3], s32 offset:156 ; 4-byte Folded Spill
	buffer_store_dword v57, off, s[0:3], s32 offset:152 ; 4-byte Folded Spill
	buffer_store_dword v58, off, s[0:3], s32 offset:148 ; 4-byte Folded Spill
	buffer_store_dword v59, off, s[0:3], s32 offset:144 ; 4-byte Folded Spill
	buffer_store_dword v60, off, s[0:3], s32 offset:140 ; 4-byte Folded Spill
	buffer_store_dword v61, off, s[0:3], s32 offset:136 ; 4-byte Folded Spill
	buffer_store_dword v62, off, s[0:3], s32 offset:132 ; 4-byte Folded Spill
	buffer_store_dword v63, off, s[0:3], s32 offset:128 ; 4-byte Folded Spill
	buffer_store_dword v72, off, s[0:3], s32 offset:124 ; 4-byte Folded Spill
	buffer_store_dword v73, off, s[0:3], s32 offset:120 ; 4-byte Folded Spill
	buffer_store_dword v74, off, s[0:3], s32 offset:116 ; 4-byte Folded Spill
	buffer_store_dword v75, off, s[0:3], s32 offset:112 ; 4-byte Folded Spill
	buffer_store_dword v76, off, s[0:3], s32 offset:108 ; 4-byte Folded Spill
	buffer_store_dword v77, off, s[0:3], s32 offset:104 ; 4-byte Folded Spill
	buffer_store_dword v78, off, s[0:3], s32 offset:100 ; 4-byte Folded Spill
	buffer_store_dword v79, off, s[0:3], s32 offset:96 ; 4-byte Folded Spill
	buffer_store_dword v88, off, s[0:3], s32 offset:92 ; 4-byte Folded Spill
	buffer_store_dword v89, off, s[0:3], s32 offset:88 ; 4-byte Folded Spill
	buffer_store_dword v90, off, s[0:3], s32 offset:84 ; 4-byte Folded Spill
	buffer_store_dword v91, off, s[0:3], s32 offset:80 ; 4-byte Folded Spill
	buffer_store_dword v92, off, s[0:3], s32 offset:76 ; 4-byte Folded Spill
	buffer_store_dword v93, off, s[0:3], s32 offset:72 ; 4-byte Folded Spill
	buffer_store_dword v94, off, s[0:3], s32 offset:68 ; 4-byte Folded Spill
	buffer_store_dword v95, off, s[0:3], s32 offset:64 ; 4-byte Folded Spill
	buffer_store_dword v104, off, s[0:3], s32 offset:60 ; 4-byte Folded Spill
	buffer_store_dword v105, off, s[0:3], s32 offset:56 ; 4-byte Folded Spill
	buffer_store_dword v106, off, s[0:3], s32 offset:52 ; 4-byte Folded Spill
	buffer_store_dword v107, off, s[0:3], s32 offset:48 ; 4-byte Folded Spill
	buffer_store_dword v108, off, s[0:3], s32 offset:44 ; 4-byte Folded Spill
	buffer_store_dword v109, off, s[0:3], s32 offset:40 ; 4-byte Folded Spill
	buffer_store_dword v110, off, s[0:3], s32 offset:36 ; 4-byte Folded Spill
	buffer_store_dword v111, off, s[0:3], s32 offset:32 ; 4-byte Folded Spill
	buffer_store_dword v120, off, s[0:3], s32 offset:28 ; 4-byte Folded Spill
	buffer_store_dword v121, off, s[0:3], s32 offset:24 ; 4-byte Folded Spill
	buffer_store_dword v122, off, s[0:3], s32 offset:20 ; 4-byte Folded Spill
	buffer_store_dword v123, off, s[0:3], s32 offset:16 ; 4-byte Folded Spill
	buffer_store_dword v124, off, s[0:3], s32 offset:12 ; 4-byte Folded Spill
	buffer_store_dword v125, off, s[0:3], s32 offset:8 ; 4-byte Folded Spill
	buffer_store_dword v126, off, s[0:3], s32 offset:4 ; 4-byte Folded Spill
	buffer_store_dword v127, off, s[0:3], s32 ; 4-byte Folded Spill
	s_mov_b32 s10, s13
	s_ashr_i32 s11, s13, 31
	buffer_store_dword v20, off, s[0:3], s32 offset:228 ; 4-byte Folded Spill
	buffer_store_dword v21, off, s[0:3], s32 offset:232 ; 4-byte Folded Spill
	;; [unrolled: 1-line block ×6, first 2 shown]
	s_lshl_b64 s[6:7], s[10:11], 2
	buffer_store_dword v1, off, s[0:3], s32 offset:268 ; 4-byte Folded Spill
	buffer_store_dword v0, off, s[0:3], s32 offset:272 ; 4-byte Folded Spill
	v_add_co_u32 v0, vcc_lo, v12, s6
	v_add_co_ci_u32_e64 v1, null, s7, v13, vcc_lo
	s_clause 0x1
	s_load_dword s5, s[8:9], 0x10
	s_load_dword s6, s[8:9], 0x0
	v_mov_b32_e32 v32, v6
	flat_load_dword v30, v[0:1]
	v_sub_nc_u32_e32 v0, 0, v8
	v_mov_b32_e32 v18, v7
	s_mov_b32 s4, s15
	v_max_i32_e32 v0, v8, v0
	v_cvt_f32_u32_e32 v1, v0
	v_sub_nc_u32_e32 v6, 0, v0
	v_rcp_iflag_f32_e32 v1, v1
	s_waitcnt lgkmcnt(0)
	s_lshr_b32 s5, s5, 16
	s_cmp_lg_u32 s5, 0
	s_cselect_b32 s5, -1, 0
	s_cmp_lg_u32 s5, 0
	s_addc_u32 s11, s6, 0
	v_mul_f32_e32 v1, 0x4f7ffffe, v1
	s_abs_i32 s5, s11
	s_mov_b32 s6, exec_lo
	v_cvt_u32_f32_e32 v1, v1
	v_mul_lo_u32 v6, v6, v1
	v_mul_hi_u32 v6, v1, v6
	v_add_nc_u32_e32 v1, v1, v6
	v_mul_hi_u32 v1, s5, v1
	v_mul_lo_u32 v6, v1, v0
	v_add_nc_u32_e32 v7, 1, v1
	v_sub_nc_u32_e32 v6, s5, v6
	s_abs_i32 s5, s12
	v_sub_nc_u32_e32 v9, v6, v0
	v_cmp_ge_u32_e32 vcc_lo, v6, v0
	v_cndmask_b32_e32 v1, v1, v7, vcc_lo
	v_cndmask_b32_e32 v6, v6, v9, vcc_lo
	v_xor_b32_e32 v7, s11, v8
	v_add_nc_u32_e32 v9, 1, v1
	v_cmp_ge_u32_e32 vcc_lo, v6, v0
	v_ashrrev_i32_e32 v7, 31, v7
	v_cndmask_b32_e32 v0, v1, v9, vcc_lo
	v_xor_b32_e32 v0, v0, v7
	v_sub_nc_u32_e32 v1, v0, v7
	v_sub_nc_u32_e32 v0, 0, v1
	v_max_i32_e32 v0, v1, v0
	v_cvt_f32_u32_e32 v6, v0
	v_sub_nc_u32_e32 v7, 0, v0
	v_rcp_iflag_f32_e32 v6, v6
	v_mul_f32_e32 v6, 0x4f7ffffe, v6
	v_cvt_u32_f32_e32 v6, v6
	v_mul_lo_u32 v7, v7, v6
	v_mul_hi_u32 v7, v6, v7
	v_add_nc_u32_e32 v6, v6, v7
	v_mad_u64_u32 v[12:13], null, s5, v6, 0
	v_mov_b32_e32 v6, 0
	buffer_store_dword v6, off, s[0:3], s32 offset:224 ; 4-byte Folded Spill
	v_cmpx_ne_u64_e32 0, v[15:16]
	s_cbranch_execz .LBB277_2
; %bb.1:
	s_ashr_i32 s13, s12, 31
	s_lshl_b64 s[16:17], s[12:13], 2
	v_add_co_u32 v6, vcc_lo, v15, s16
	v_add_co_ci_u32_e64 v7, null, s17, v16, vcc_lo
	flat_load_dword v6, v[6:7]
	s_waitcnt vmcnt(0) lgkmcnt(0)
	buffer_store_dword v6, off, s[0:3], s32 offset:224 ; 4-byte Folded Spill
.LBB277_2:
	s_or_b32 exec_lo, exec_lo, s6
	v_and_b32_e32 v29, 0x3ff, v31
	v_ashrrev_i32_e32 v1, 31, v1
	s_ashr_i32 s6, s12, 31
	s_mul_i32 s16, s12, 0x60
	s_mov_b32 s7, exec_lo
	v_cmpx_gt_u32_e32 12, v29
	s_cbranch_execz .LBB277_4
; %bb.3:
	v_mul_lo_u32 v6, v17, s10
	s_ashr_i32 s17, s16, 31
	v_lshlrev_b32_e32 v15, 4, v29
	s_lshl_b64 s[18:19], s[16:17], 1
	v_ashrrev_i32_e32 v7, 31, v6
	v_lshlrev_b64 v[6:7], 1, v[6:7]
	v_add_co_u32 v2, vcc_lo, v2, v6
	v_add_co_ci_u32_e64 v3, null, v3, v7, vcc_lo
	v_add_co_u32 v2, vcc_lo, v2, s18
	v_add_co_ci_u32_e64 v3, null, s19, v3, vcc_lo
	;; [unrolled: 2-line block ×3, first 2 shown]
	flat_load_dwordx4 v[9:12], v[2:3]
	s_waitcnt vmcnt(0) lgkmcnt(0)
	ds_write_b128 v15, v[9:12]
.LBB277_4:
	s_or_b32 exec_lo, exec_lo, s7
	v_sub_nc_u32_e32 v2, 0, v27
	v_mul_lo_u32 v3, v13, v0
	v_add_nc_u32_e32 v7, 1, v13
	v_xor_b32_e32 v1, s6, v1
	v_max_i32_e32 v33, v27, v2
	v_sub_nc_u32_e32 v3, s5, v3
	v_cvt_f32_u32_e32 v2, v33
	s_mov_b32 s5, exec_lo
	v_sub_nc_u32_e32 v9, v3, v0
	v_rcp_iflag_f32_e32 v2, v2
	v_cmp_ge_u32_e32 vcc_lo, v3, v0
	v_cndmask_b32_e32 v7, v13, v7, vcc_lo
	v_cndmask_b32_e32 v3, v3, v9, vcc_lo
	v_mul_f32_e32 v2, 0x4f7ffffe, v2
	v_add_nc_u32_e32 v9, 1, v7
	v_cmp_ge_u32_e32 vcc_lo, v3, v0
	v_cvt_u32_f32_e32 v6, v2
	v_sub_nc_u32_e32 v2, 0, v33
	v_cndmask_b32_e32 v3, v7, v9, vcc_lo
	v_mul_lo_u32 v10, v2, v6
	s_waitcnt vmcnt(0)
	v_add_nc_u32_e32 v2, -1, v30
	v_xor_b32_e32 v3, v3, v1
	v_sub_nc_u32_e32 v11, 0, v2
	v_mul_hi_u32 v10, v6, v10
	v_max_i32_e32 v0, v2, v11
	v_add_nc_u32_e32 v6, v6, v10
	v_mad_u64_u32 v[12:13], null, v0, v6, 0
	v_sub_nc_u32_e32 v12, v3, v1
                                        ; implicit-def: $vgpr1
	buffer_store_dword v6, off, s[0:3], s32 offset:204 ; 4-byte Folded Spill
	s_waitcnt lgkmcnt(0)
	s_waitcnt_vscnt null, 0x0
	s_barrier
	buffer_gl0_inv
	buffer_store_dword v1, off, s[0:3], s32 offset:196 ; 4-byte Folded Spill
	buffer_store_dword v2, off, s[0:3], s32 offset:200 ; 4-byte Folded Spill
	v_cmpx_gt_i32_e32 0, v28
	s_xor_b32 s5, exec_lo, s5
	s_cbranch_execz .LBB277_6
; %bb.5:
	v_mad_u64_u32 v[6:7], null, v24, v8, v[12:13]
                                        ; implicit-def: $vgpr24
	v_mul_lo_u32 v1, v6, v28
                                        ; implicit-def: $vgpr28
	v_sub_nc_u32_e32 v1, 1, v1
	buffer_store_dword v1, off, s[0:3], s32 offset:196 ; 4-byte Folded Spill
	buffer_store_dword v2, off, s[0:3], s32 offset:200 ; 4-byte Folded Spill
.LBB277_6:
	s_or_saveexec_b32 s5, s5
	v_ashrrev_i32_e32 v1, 31, v2
	v_ashrrev_i32_e32 v55, 31, v27
	s_xor_b32 exec_lo, exec_lo, s5
	s_cbranch_execz .LBB277_8
; %bb.7:
	v_mad_u64_u32 v[2:3], null, s11, v24, s[12:13]
	v_mad_u64_u32 v[2:3], null, v2, v28, 1
	buffer_store_dword v2, off, s[0:3], s32 offset:196 ; 4-byte Folded Spill
	buffer_store_dword v3, off, s[0:3], s32 offset:200 ; 4-byte Folded Spill
.LBB277_8:
	s_or_b32 exec_lo, exec_lo, s5
	v_mul_lo_u32 v2, v13, v33
	v_add_nc_u32_e32 v3, 1, v13
	v_xor_b32_e32 v6, v1, v55
	v_add_nc_u32_e32 v1, 31, v30
	s_clause 0x1
	s_load_dword s7, s[8:9], 0x14
	s_load_dword s15, s[8:9], 0x8
	v_mul_lo_u32 v11, v12, v19
	v_and_b32_e32 v9, 31, v29
	v_lshrrev_b32_e32 v68, 5, v29
	v_sub_nc_u32_e32 v2, v0, v2
	v_ashrrev_i32_e32 v8, 31, v1
	v_mul_lo_u32 v0, v14, s10
	s_ashr_i32 s5, s4, 31
	s_getpc_b64 s[8:9]
	s_add_u32 s8, s8, llvm.amdgcn.dynlds.offset.table@rel32@lo+4
	s_addc_u32 s9, s9, llvm.amdgcn.dynlds.offset.table@rel32@hi+12
	v_sub_nc_u32_e32 v7, v2, v33
	v_cmp_ge_u32_e32 vcc_lo, v2, v33
	v_lshrrev_b32_e32 v8, 27, v8
	buffer_store_dword v9, off, s[0:3], s32 offset:220 ; 4-byte Folded Spill
	v_mov_b32_e32 v51, 0xff7fffff
	v_sub_nc_u32_e32 v12, 0, v26
	v_cndmask_b32_e32 v3, v13, v3, vcc_lo
	v_cndmask_b32_e32 v2, v2, v7, vcc_lo
	s_lshl_b64 s[12:13], s[4:5], 2
	v_lshlrev_b32_e32 v19, 5, v68
	v_lshlrev_b32_e32 v16, 2, v9
	v_add_nc_u32_e32 v7, 1, v3
	v_cmp_ge_u32_e32 vcc_lo, v2, v33
	v_ashrrev_i32_e32 v13, 31, v11
	v_lshrrev_b32_e32 v10, 3, v29
	s_add_u32 s8, s8, s12
	s_addc_u32 s9, s9, s13
	v_cndmask_b32_e32 v2, v3, v7, vcc_lo
	v_add_nc_u32_e32 v3, v1, v8
	v_ashrrev_i32_e32 v1, 31, v0
	v_xor_b32_e32 v2, v2, v6
	v_ashrrev_i32_e32 v3, 5, v3
	v_lshlrev_b64 v[0:1], 2, v[0:1]
	buffer_store_dword v0, off, s[0:3], s32 offset:260 ; 4-byte Folded Spill
	buffer_store_dword v1, off, s[0:3], s32 offset:264 ; 4-byte Folded Spill
	;; [unrolled: 1-line block ×3, first 2 shown]
	v_sub_nc_u32_e32 v2, v2, v6
	v_cmp_lt_i32_e64 s4, v68, v3
	v_sub_nc_u32_e32 v0, v2, v25
	buffer_store_dword v0, off, s[0:3], s32 offset:208 ; 4-byte Folded Spill
	s_and_saveexec_b32 s17, s4
	s_cbranch_execz .LBB277_784
; %bb.9:
	buffer_store_dword v32, off, s[0:3], s32 offset:292 ; 4-byte Folded Spill
	buffer_store_dword v18, off, s[0:3], s32 offset:288 ; 4-byte Folded Spill
	;; [unrolled: 1-line block ×5, first 2 shown]
	buffer_load_dword v7, off, s[0:3], s32 offset:220 ; 4-byte Folded Reload
	v_max_i32_e32 v52, v26, v12
	v_add_co_u32 v1, vcc_lo, v4, v11
	v_add_co_ci_u32_e64 v2, null, v5, v13, vcc_lo
	v_cvt_f32_u32_e32 v0, v52
	buffer_load_dword v5, off, s[0:3], s32 offset:224 ; 4-byte Folded Reload
	v_sub_nc_u32_e32 v6, 0, v52
	s_load_dword s18, s[8:9], 0x0
	buffer_store_dword v11, off, s[0:3], s32 offset:300 ; 4-byte Folded Spill
	v_rcp_iflag_f32_e32 v0, v0
	buffer_store_dword v13, off, s[0:3], s32 offset:308 ; 4-byte Folded Spill
	buffer_store_dword v16, off, s[0:3], s32 offset:312 ; 4-byte Folded Spill
	;; [unrolled: 1-line block ×3, first 2 shown]
	v_and_b32_e32 v8, 0x7c, v10
	v_lshl_or_b32 v53, v68, 7, v16
	v_mov_b32_e32 v4, 0
	v_mov_b32_e32 v54, 0x80
	;; [unrolled: 1-line block ×3, first 2 shown]
	s_mov_b32 s12, -1
	v_mul_f32_e32 v0, 0x4f7ffffe, v0
	s_mov_b32 s19, 0
	s_mov_b32 s13, 0xffffff
	v_cvt_u32_f32_e32 v0, v0
	v_mul_lo_u32 v6, v6, v0
	s_waitcnt vmcnt(1)
	v_lshlrev_b32_e32 v3, 4, v7
	v_sub_nc_u32_e32 v7, v7, v30
	v_add_co_u32 v1, s5, v1, v3
	v_add_co_ci_u32_e64 v2, null, 0, v2, s5
	s_waitcnt vmcnt(0)
	v_cmp_neq_f32_e32 vcc_lo, 0, v5
	v_lshlrev_b32_e32 v5, 5, v68
	buffer_store_dword v1, off, s[0:3], s32 offset:240 ; 4-byte Folded Spill
	buffer_store_dword v2, off, s[0:3], s32 offset:244 ; 4-byte Folded Spill
	v_mul_hi_u32 v1, v0, v6
	v_add_nc_u32_e32 v6, 1, v7
	s_clause 0x1
	buffer_load_dword v2, off, s[0:3], s32 offset:260
	buffer_load_dword v3, off, s[0:3], s32 offset:264
	buffer_store_dword v6, off, s[0:3], s32 offset:248 ; 4-byte Folded Spill
	buffer_load_dword v6, off, s[0:3], s32 offset:256 ; 4-byte Folded Reload
	v_add_nc_u32_e32 v0, v0, v1
	s_waitcnt vmcnt(2)
	v_add_co_u32 v2, s5, v8, v2
	s_waitcnt vmcnt(1)
	v_add_co_ci_u32_e64 v3, null, 0, v3, s5
	s_waitcnt vmcnt(0)
	v_add_co_u32 v16, s5, v6, v2
	buffer_load_dword v2, off, s[0:3], s32 offset:252 ; 4-byte Folded Reload
	buffer_store_dword v0, off, s[0:3], s32 offset:216 ; 4-byte Folded Spill
	buffer_store_dword v68, off, s[0:3], s32 offset:280 ; 4-byte Folded Spill
	s_waitcnt vmcnt(0)
	v_add_co_ci_u32_e64 v17, null, v2, v3, s5
	s_branch .LBB277_15
.LBB277_10:                             ;   in Loop: Header=BB277_15 Depth=1
	s_or_b32 exec_lo, exec_lo, s23
	v_lshlrev_b32_e32 v3, 8, v3
	v_lshl_add_u32 v20, v20, 10, 0x2000
	v_lshlrev_b32_e32 v2, 23, v2
	v_and_or_b32 v3, 0x8000, v3, v20
	v_lshl_or_b32 v2, v3, 16, v2
.LBB277_11:                             ;   in Loop: Header=BB277_15 Depth=1
	s_or_b32 exec_lo, exec_lo, s22
.LBB277_12:                             ;   in Loop: Header=BB277_15 Depth=1
	s_or_b32 exec_lo, exec_lo, s21
.LBB277_13:                             ;   in Loop: Header=BB277_15 Depth=1
	s_or_b32 exec_lo, exec_lo, s20
	v_or_b32_e32 v3, v77, v75
	v_fma_mixlo_f16 v89, v69, v72, 0 op_sel:[0,1,0] op_sel_hi:[0,1,0]
	v_fma_mixlo_f16 v75, v69, v107, 0 op_sel:[0,1,0] op_sel_hi:[0,1,0]
	;; [unrolled: 1-line block ×3, first 2 shown]
	v_or_b32_e32 v1, v6, v1
	v_fma_mixlo_f16 v78, v69, v3, 0 op_sel_hi:[0,1,0]
	v_or_b32_e32 v3, v72, v63
	v_fma_mixlo_f16 v63, v69, v109, 0 op_sel:[0,1,0] op_sel_hi:[0,1,0]
	s_clause 0x1
	buffer_load_dword v20, off, s[0:3], s32 offset:248
	buffer_load_dword v24, off, s[0:3], s32 offset:224
	ds_read_b128 v[34:37], v4
	v_fma_mixlo_f16 v90, v69, v3, 0 op_sel_hi:[0,1,0]
	v_or_b32_e32 v3, v107, v76
	v_fma_mixlo_f16 v25, v69, v2, 0 op_sel:[0,1,0] op_sel_hi:[0,1,0]
	s_load_dword s20, s[8:9], 0x0
	v_fma_mixlo_f16 v77, v69, v77, 0 op_sel:[0,1,0] op_sel_hi:[0,1,0]
	v_fma_mixlo_f16 v76, v69, v3, 0 op_sel_hi:[0,1,0]
	v_or_b32_e32 v3, v109, v106
	v_fma_mixlo_f16 v106, v69, v95, 0 op_sel:[0,1,0] op_sel_hi:[0,1,0]
	v_fma_mixlo_f16 v109, v69, v50, 0 op_sel:[0,1,0] op_sel_hi:[0,1,0]
	v_fma_mixlo_f16 v72, v69, v3, 0 op_sel_hi:[0,1,0]
	v_or_b32_e32 v3, v95, v91
	v_fma_mixlo_f16 v95, v69, v104, 0 op_sel:[0,1,0] op_sel_hi:[0,1,0]
	v_fma_mixlo_f16 v91, v69, v125, 0 op_sel:[0,1,0] op_sel_hi:[0,1,0]
	v_fma_mixlo_f16 v107, v69, v3, 0 op_sel_hi:[0,1,0]
	v_or_b32_e32 v3, v50, v15
	v_fma_mixlo_f16 v110, v69, v3, 0 op_sel_hi:[0,1,0]
	v_or_b32_e32 v3, v104, v92
	v_fma_mixlo_f16 v104, v69, v3, 0 op_sel_hi:[0,1,0]
	v_or_b32_e32 v3, v125, v120
	v_fma_mixlo_f16 v125, v69, v111, 0 op_sel:[0,1,0] op_sel_hi:[0,1,0]
	v_fma_mixlo_f16 v92, v69, v3, 0 op_sel_hi:[0,1,0]
	v_or_b32_e32 v3, v31, v8
	v_fma_mixlo_f16 v31, v69, v12, 0 op_sel:[0,1,0] op_sel_hi:[0,1,0]
	v_fma_mixlo_f16 v8, v69, v3, 0 op_sel_hi:[0,1,0]
	v_or_b32_e32 v3, v13, v0
	v_fma_mixlo_f16 v0, v69, v13, 0 op_sel:[0,1,0] op_sel_hi:[0,1,0]
	v_fma_mixlo_f16 v13, v69, v10, 0 op_sel:[0,1,0] op_sel_hi:[0,1,0]
	v_fma_mixlo_f16 v50, v69, v3, 0 op_sel_hi:[0,1,0]
	v_or_b32_e32 v3, v111, v26
	v_fma_mixlo_f16 v111, v69, v14, 0 op_sel:[0,1,0] op_sel_hi:[0,1,0]
	v_and_b32_e32 v0, 0xffff, v0
	v_fma_mixlo_f16 v126, v69, v3, 0 op_sel_hi:[0,1,0]
	v_or_b32_e32 v3, v14, v38
	v_fma_mixlo_f16 v14, v69, v45, 0 op_sel:[0,1,0] op_sel_hi:[0,1,0]
	v_fma_mixlo_f16 v120, v69, v3, 0 op_sel_hi:[0,1,0]
	v_or_b32_e32 v3, v12, v11
	v_fma_mixlo_f16 v11, v69, v29, 0 op_sel:[0,1,0] op_sel_hi:[0,1,0]
	v_and_b32_e32 v14, 0xffff, v14
	v_fma_mixlo_f16 v12, v69, v3, 0 op_sel_hi:[0,1,0]
	v_or_b32_e32 v3, v10, v7
	v_fma_mixlo_f16 v38, v69, v3, 0 op_sel_hi:[0,1,0]
	v_or_b32_e32 v3, v29, v48
	v_fma_mixlo_f16 v29, v69, v121, 0 op_sel:[0,1,0] op_sel_hi:[0,1,0]
	v_fma_mixlo_f16 v48, v69, v66, 0 op_sel:[0,1,0] op_sel_hi:[0,1,0]
	v_fma_mixlo_f16 v10, v69, v3, 0 op_sel_hi:[0,1,0]
	v_or_b32_e32 v3, v66, v32
	v_fma_mixlo_f16 v66, v69, v94, 0 op_sel:[0,1,0] op_sel_hi:[0,1,0]
	v_fma_mixlo_f16 v7, v69, v3, 0 op_sel_hi:[0,1,0]
	v_or_b32_e32 v3, v124, v122
	;; [unrolled: 3-line block ×4, first 2 shown]
	v_fma_mixlo_f16 v123, v69, v73, 0 op_sel:[0,1,0] op_sel_hi:[0,1,0]
	v_fma_mixlo_f16 v39, v69, v1, 0 op_sel_hi:[0,1,0]
	v_fma_mixlo_f16 v1, v69, v6, 0 op_sel:[0,1,0] op_sel_hi:[0,1,0]
	v_fma_mixlo_f16 v6, v69, v105, 0 op_sel:[0,1,0] op_sel_hi:[0,1,0]
	v_fma_mixlo_f16 v121, v69, v3, 0 op_sel_hi:[0,1,0]
	v_or_b32_e32 v3, v88, v74
	v_fma_mixlo_f16 v74, v69, v88, 0 op_sel:[0,1,0] op_sel_hi:[0,1,0]
	v_and_b32_e32 v1, 0xffff, v1
	v_and_b32_e32 v6, 0xffff, v6
	v_fma_mixlo_f16 v88, v69, v3, 0 op_sel_hi:[0,1,0]
	v_or_b32_e32 v3, v73, v62
	v_fma_mixlo_f16 v26, v69, v3, 0 op_sel_hi:[0,1,0]
	v_or_b32_e32 v3, v94, v79
	;; [unrolled: 2-line block ×3, first 2 shown]
	v_fma_mixlo_f16 v93, v69, v47, 0 op_sel:[0,1,0] op_sel_hi:[0,1,0]
	v_fma_mixlo_f16 v62, v69, v3, 0 op_sel_hi:[0,1,0]
	v_or_b32_e32 v3, v58, v56
	v_fma_mixlo_f16 v56, v69, v60, 0 op_sel:[0,1,0] op_sel_hi:[0,1,0]
	v_fma_mixlo_f16 v58, v69, v58, 0 op_sel:[0,1,0] op_sel_hi:[0,1,0]
	v_fma_mixlo_f16 v79, v69, v3, 0 op_sel_hi:[0,1,0]
	v_or_b32_e32 v3, v47, v46
	v_fma_mixlo_f16 v46, v69, v61, 0 op_sel:[0,1,0] op_sel_hi:[0,1,0]
	v_fma_mixlo_f16 v94, v69, v3, 0 op_sel_hi:[0,1,0]
	v_or_b32_e32 v3, v60, v57
	v_fma_mixlo_f16 v57, v69, v3, 0 op_sel_hi:[0,1,0]
	v_or_b32_e32 v3, v61, v59
	v_fma_mixlo_f16 v59, v69, v119, 0 op_sel:[0,1,0] op_sel_hi:[0,1,0]
	v_fma_mixlo_f16 v61, v69, v70, 0 op_sel:[0,1,0] op_sel_hi:[0,1,0]
	v_fma_mixlo_f16 v47, v69, v3, 0 op_sel_hi:[0,1,0]
	v_or_b32_e32 v3, v42, v40
	v_fma_mixlo_f16 v40, v69, v42, 0 op_sel:[0,1,0] op_sel_hi:[0,1,0]
	v_fma_mixlo_f16 v42, v69, v3, 0 op_sel_hi:[0,1,0]
	v_or_b32_e32 v3, v119, v118
	;; [unrolled: 3-line block ×3, first 2 shown]
	v_fma_mixlo_f16 v119, v69, v3, 0 op_sel_hi:[0,1,0]
	v_or_b32_e32 v3, v45, v43
	v_fma_mixlo_f16 v43, v69, v103, 0 op_sel:[0,1,0] op_sel_hi:[0,1,0]
	v_fma_mixlo_f16 v15, v69, v3, 0 op_sel_hi:[0,1,0]
	v_or_b32_e32 v3, v114, v112
	v_fma_mixlo_f16 v112, v69, v116, 0 op_sel:[0,1,0] op_sel_hi:[0,1,0]
	v_fma_mixlo_f16 v114, v69, v114, 0 op_sel:[0,1,0] op_sel_hi:[0,1,0]
	v_and_b32_e32 v15, 0xffff, v15
	v_fma_mixlo_f16 v41, v69, v3, 0 op_sel_hi:[0,1,0]
	v_or_b32_e32 v3, v103, v102
	v_fma_mixlo_f16 v102, v69, v117, 0 op_sel:[0,1,0] op_sel_hi:[0,1,0]
	v_fma_mixlo_f16 v44, v69, v3, 0 op_sel_hi:[0,1,0]
	v_or_b32_e32 v3, v116, v113
	v_fma_mixlo_f16 v116, v69, v87, 0 op_sel:[0,1,0] op_sel_hi:[0,1,0]
	v_fma_mixlo_f16 v113, v69, v3, 0 op_sel_hi:[0,1,0]
	v_or_b32_e32 v3, v117, v115
	v_fma_mixlo_f16 v103, v69, v3, 0 op_sel_hi:[0,1,0]
	v_or_b32_e32 v3, v98, v96
	v_fma_mixlo_f16 v96, v69, v101, 0 op_sel:[0,1,0] op_sel_hi:[0,1,0]
	v_fma_mixlo_f16 v98, v69, v98, 0 op_sel:[0,1,0] op_sel_hi:[0,1,0]
	v_fma_mixlo_f16 v115, v69, v3, 0 op_sel_hi:[0,1,0]
	v_or_b32_e32 v3, v87, v86
	v_fma_mixlo_f16 v86, v69, v100, 0 op_sel:[0,1,0] op_sel_hi:[0,1,0]
	v_fma_mixlo_f16 v117, v69, v3, 0 op_sel_hi:[0,1,0]
	v_or_b32_e32 v3, v100, v97
	v_fma_mixlo_f16 v87, v69, v3, 0 op_sel_hi:[0,1,0]
	v_or_b32_e32 v3, v101, v99
	v_fma_mixlo_f16 v99, v69, v84, 0 op_sel:[0,1,0] op_sel_hi:[0,1,0]
	v_fma_mixlo_f16 v101, v69, v80, 0 op_sel:[0,1,0] op_sel_hi:[0,1,0]
	v_fma_mixlo_f16 v97, v69, v3, 0 op_sel_hi:[0,1,0]
	v_or_b32_e32 v3, v80, v81
	v_fma_mixlo_f16 v81, v69, v28, 0 op_sel:[0,1,0] op_sel_hi:[0,1,0]
	v_fma_mixlo_f16 v45, v69, v3, 0 op_sel_hi:[0,1,0]
	v_or_b32_e32 v3, v70, v71
	;; [unrolled: 3-line block ×4, first 2 shown]
	v_fma_mixlo_f16 v84, v69, v3, 0 op_sel_hi:[0,1,0]
	buffer_load_dword v3, off, s[0:3], s32 offset:220 ; 4-byte Folded Reload
	s_waitcnt vmcnt(2)
	v_add_nc_u32_e32 v20, v20, v5
	v_cvt_f32_i32_e32 v20, v20
	s_waitcnt vmcnt(1)
	v_mul_f32_e32 v20, v24, v20
	s_waitcnt lgkmcnt(0)
	v_add_nc_u32_e32 v24, s20, v53
	s_waitcnt vmcnt(0)
	v_add_nc_u32_e32 v3, v3, v5
	v_cmp_lt_i32_e64 s5, v3, v30
	v_or_b32_e32 v3, v18, v49
	v_and_b32_e32 v18, 0xffff, v35
	v_fma_mixlo_f16 v80, v69, v3, 0 op_sel_hi:[0,1,0]
	v_or_b32_e32 v3, v28, v27
	v_fma_mixlo_f16 v28, v69, v21, 0 op_sel:[0,1,0] op_sel_hi:[0,1,0]
	v_fma_mixlo_f16 v82, v69, v3, 0 op_sel_hi:[0,1,0]
	v_or_b32_e32 v3, v21, v9
	v_and_b32_e32 v9, 0xffff, v34
	;;#ASMSTART
	v_cvt_f32_f16 v65, v9;
	;;#ASMEND
	v_lshrrev_b32_e32 v9, 16, v35
	v_and_b32_e32 v21, 0xffff, v84
	v_fma_mixlo_f16 v70, v69, v3, 0 op_sel_hi:[0,1,0]
	v_or_b32_e32 v3, v2, v64
	v_lshrrev_b32_e32 v2, 16, v34
	;;#ASMSTART
	v_cvt_f32_f16 v85, v2;
	;;#ASMEND
	v_and_b32_e32 v2, 0xffff, v105
	;;#ASMSTART
	v_cvt_f32_f16 v67, v2;
	;;#ASMEND
	v_and_b32_e32 v2, 0xffff, v61
	;;#ASMSTART
	v_cvt_f32_f16 v2, v2;
	;;#ASMEND
	;;#ASMSTART
	v_cvt_f32_f16 v105, v18;
	;;#ASMEND
	;; [unrolled: 3-line block ×3, first 2 shown]
	v_and_b32_e32 v9, 0xffff, v45
	;;#ASMSTART
	v_cvt_f32_f16 v45, v9;
	;;#ASMEND
	v_and_b32_e32 v9, 0xffff, v101
	v_fma_mixlo_f16 v27, v69, v3, 0 op_sel_hi:[0,1,0]
	v_cndmask_b32_e32 v3, 0, v20, vcc_lo
	;;#ASMSTART
	v_cvt_f32_f16 v20, v9;
	;;#ASMEND
	v_lshrrev_b32_e32 v9, 16, v36
	v_and_b32_e32 v18, 0xffff, v36
	;;#ASMSTART
	v_cvt_f32_f16 v101, v18;
	;;#ASMEND
	;;#ASMSTART
	v_cvt_f32_f16 v64, v9;
	;;#ASMEND
	v_and_b32_e32 v9, 0xffff, v100
	;;#ASMSTART
	v_cvt_f32_f16 v100, v9;
	;;#ASMEND
	v_and_b32_e32 v9, 0xffff, v99
	;;#ASMSTART
	v_cvt_f32_f16 v99, v9;
	;;#ASMEND
	v_lshrrev_b32_e32 v9, 16, v37
	v_and_b32_e32 v18, 0xffff, v37
	;;#ASMSTART
	v_cvt_f32_f16 v18, v18;
	;;#ASMEND
	;;#ASMSTART
	v_cvt_f32_f16 v9, v9;
	;;#ASMEND
	;; [unrolled: 3-line block ×3, first 2 shown]
	v_and_b32_e32 v21, 0xffff, v83
	;;#ASMSTART
	v_cvt_f32_f16 v21, v21;
	;;#ASMEND
	ds_read_b128 v[34:37], v4 offset:16
	v_and_b32_e32 v84, 0xffff, v116
	s_waitcnt lgkmcnt(0)
	v_lshrrev_b32_e32 v69, 16, v34
	v_and_b32_e32 v34, 0xffff, v34
	;;#ASMSTART
	v_cvt_f32_f16 v34, v34;
	;;#ASMEND
	;;#ASMSTART
	v_cvt_f32_f16 v83, v69;
	;;#ASMEND
	v_and_b32_e32 v69, 0xffff, v117
	;;#ASMSTART
	v_cvt_f32_f16 v69, v69;
	;;#ASMEND
	;;#ASMSTART
	v_cvt_f32_f16 v84, v84;
	;;#ASMEND
	v_mul_f32_e32 v69, v34, v69
	v_mul_f32_e32 v83, v83, v84
	v_lshrrev_b32_e32 v34, 16, v35
	v_fmac_f32_e32 v69, v65, v67
	v_fmac_f32_e32 v83, v85, v2
	v_and_b32_e32 v2, 0xffff, v35
	v_and_b32_e32 v35, 0xffff, v115
	;; [unrolled: 1-line block ×3, first 2 shown]
	;;#ASMSTART
	v_cvt_f32_f16 v2, v2;
	;;#ASMEND
	;;#ASMSTART
	v_cvt_f32_f16 v34, v34;
	;;#ASMEND
	;; [unrolled: 3-line block ×4, first 2 shown]
	v_mul_f32_e32 v84, v34, v65
	v_mul_f32_e32 v85, v2, v35
	v_and_b32_e32 v2, 0xffff, v36
	v_and_b32_e32 v34, 0xffff, v87
	;; [unrolled: 1-line block ×3, first 2 shown]
	v_fmac_f32_e32 v84, v61, v20
	v_lshrrev_b32_e32 v20, 16, v36
	;;#ASMSTART
	v_cvt_f32_f16 v2, v2;
	;;#ASMEND
	;;#ASMSTART
	v_cvt_f32_f16 v20, v20;
	;;#ASMEND
	;; [unrolled: 3-line block ×4, first 2 shown]
	v_mul_f32_e32 v87, v2, v34
	v_mul_f32_e32 v86, v20, v35
	v_lshrrev_b32_e32 v20, 16, v37
	v_and_b32_e32 v2, 0xffff, v37
	v_and_b32_e32 v34, 0xffff, v97
	v_and_b32_e32 v35, 0xffff, v96
	;;#ASMSTART
	v_cvt_f32_f16 v2, v2;
	;;#ASMEND
	;;#ASMSTART
	v_cvt_f32_f16 v20, v20;
	;;#ASMEND
	;; [unrolled: 3-line block ×4, first 2 shown]
	v_mul_f32_e32 v97, v2, v34
	v_mul_f32_e32 v96, v20, v35
	ds_read_b128 v[34:37], v4 offset:32
	v_fmac_f32_e32 v85, v105, v45
	v_and_b32_e32 v20, 0xffff, v43
	v_fmac_f32_e32 v97, v18, v49
	v_fmac_f32_e32 v96, v9, v21
	v_and_b32_e32 v18, 0xffff, v44
	v_fmac_f32_e32 v87, v101, v100
	v_fmac_f32_e32 v86, v64, v99
	s_waitcnt lgkmcnt(0)
	v_lshrrev_b32_e32 v9, 16, v34
	v_and_b32_e32 v2, 0xffff, v34
	;;#ASMSTART
	v_cvt_f32_f16 v2, v2;
	;;#ASMEND
	;;#ASMSTART
	v_cvt_f32_f16 v9, v9;
	;;#ASMEND
	;;#ASMSTART
	v_cvt_f32_f16 v18, v18;
	;;#ASMEND
	;;#ASMSTART
	v_cvt_f32_f16 v20, v20;
	;;#ASMEND
	v_fmac_f32_e32 v69, v2, v18
	v_fmac_f32_e32 v83, v9, v20
	v_lshrrev_b32_e32 v9, 16, v35
	v_and_b32_e32 v2, 0xffff, v35
	v_and_b32_e32 v18, 0xffff, v41
	v_and_b32_e32 v20, 0xffff, v114
	;;#ASMSTART
	v_cvt_f32_f16 v2, v2;
	;;#ASMEND
	;;#ASMSTART
	v_cvt_f32_f16 v9, v9;
	;;#ASMEND
	;;#ASMSTART
	v_cvt_f32_f16 v18, v18;
	;;#ASMEND
	;;#ASMSTART
	v_cvt_f32_f16 v20, v20;
	;;#ASMEND
	v_fmac_f32_e32 v85, v2, v18
	v_fmac_f32_e32 v84, v9, v20
	v_lshrrev_b32_e32 v9, 16, v36
	v_and_b32_e32 v2, 0xffff, v36
	v_and_b32_e32 v18, 0xffff, v113
	;; [unrolled: 18-line block ×3, first 2 shown]
	v_and_b32_e32 v20, 0xffff, v102
	;;#ASMSTART
	v_cvt_f32_f16 v2, v2;
	;;#ASMEND
	;;#ASMSTART
	v_cvt_f32_f16 v9, v9;
	;;#ASMEND
	;; [unrolled: 3-line block ×4, first 2 shown]
	ds_read_b128 v[34:37], v4 offset:48
	v_fmac_f32_e32 v97, v2, v18
	v_fmac_f32_e32 v96, v9, v20
	v_and_b32_e32 v18, 0xffff, v60
	v_and_b32_e32 v20, 0xffff, v59
	s_waitcnt lgkmcnt(0)
	v_lshrrev_b32_e32 v9, 16, v34
	v_and_b32_e32 v2, 0xffff, v34
	;;#ASMSTART
	v_cvt_f32_f16 v2, v2;
	;;#ASMEND
	;;#ASMSTART
	v_cvt_f32_f16 v9, v9;
	;;#ASMEND
	;; [unrolled: 3-line block ×4, first 2 shown]
	v_fmac_f32_e32 v69, v2, v18
	v_fmac_f32_e32 v83, v9, v20
	v_lshrrev_b32_e32 v9, 16, v35
	v_and_b32_e32 v2, 0xffff, v35
	;;#ASMSTART
	v_cvt_f32_f16 v2, v2;
	;;#ASMEND
	;;#ASMSTART
	v_cvt_f32_f16 v9, v9;
	;;#ASMEND
	v_and_b32_e32 v18, 0xffff, v42
	v_and_b32_e32 v20, 0xffff, v40
	;;#ASMSTART
	v_cvt_f32_f16 v18, v18;
	;;#ASMEND
	;;#ASMSTART
	v_cvt_f32_f16 v20, v20;
	;;#ASMEND
	v_fmac_f32_e32 v85, v2, v18
	v_fmac_f32_e32 v84, v9, v20
	v_lshrrev_b32_e32 v9, 16, v36
	v_and_b32_e32 v2, 0xffff, v36
	;;#ASMSTART
	v_cvt_f32_f16 v2, v2;
	;;#ASMEND
	;;#ASMSTART
	v_cvt_f32_f16 v9, v9;
	;;#ASMEND
	v_and_b32_e32 v18, 0xffff, v119
	v_and_b32_e32 v20, 0xffff, v118
	;;#ASMSTART
	v_cvt_f32_f16 v18, v18;
	;;#ASMEND
	;;#ASMSTART
	v_cvt_f32_f16 v20, v20;
	;;#ASMEND
	v_fmac_f32_e32 v87, v2, v18
	v_fmac_f32_e32 v86, v9, v20
	v_lshrrev_b32_e32 v9, 16, v37
	v_and_b32_e32 v2, 0xffff, v37
	;;#ASMSTART
	v_cvt_f32_f16 v2, v2;
	;;#ASMEND
	;;#ASMSTART
	v_cvt_f32_f16 v9, v9;
	;;#ASMEND
	;; [unrolled: 3-line block ×4, first 2 shown]
	ds_read_b128 v[34:37], v4 offset:64
	v_fmac_f32_e32 v97, v2, v15
	v_fmac_f32_e32 v96, v9, v14
	v_and_b32_e32 v14, 0xffff, v94
	v_and_b32_e32 v15, 0xffff, v93
	s_waitcnt lgkmcnt(0)
	v_lshrrev_b32_e32 v9, 16, v34
	v_and_b32_e32 v2, 0xffff, v34
	;;#ASMSTART
	v_cvt_f32_f16 v2, v2;
	;;#ASMEND
	;;#ASMSTART
	v_cvt_f32_f16 v9, v9;
	;;#ASMEND
	;;#ASMSTART
	v_cvt_f32_f16 v14, v14;
	;;#ASMEND
	;;#ASMSTART
	v_cvt_f32_f16 v15, v15;
	;;#ASMEND
	v_fmac_f32_e32 v69, v2, v14
	v_fmac_f32_e32 v83, v9, v15
	v_lshrrev_b32_e32 v9, 16, v35
	v_and_b32_e32 v2, 0xffff, v35
	v_and_b32_e32 v14, 0xffff, v79
	v_and_b32_e32 v15, 0xffff, v58
	;;#ASMSTART
	v_cvt_f32_f16 v2, v2;
	;;#ASMEND
	;;#ASMSTART
	v_cvt_f32_f16 v9, v9;
	;;#ASMEND
	;;#ASMSTART
	v_cvt_f32_f16 v14, v14;
	;;#ASMEND
	;;#ASMSTART
	v_cvt_f32_f16 v15, v15;
	;;#ASMEND
	v_fmac_f32_e32 v85, v2, v14
	v_fmac_f32_e32 v84, v9, v15
	v_lshrrev_b32_e32 v9, 16, v36
	v_and_b32_e32 v2, 0xffff, v36
	v_and_b32_e32 v14, 0xffff, v57
	;; [unrolled: 18-line block ×3, first 2 shown]
	v_and_b32_e32 v15, 0xffff, v46
	;;#ASMSTART
	v_cvt_f32_f16 v2, v2;
	;;#ASMEND
	;;#ASMSTART
	v_cvt_f32_f16 v9, v9;
	;;#ASMEND
	;; [unrolled: 3-line block ×4, first 2 shown]
	ds_read_b128 v[34:37], v4 offset:80
	v_fmac_f32_e32 v97, v2, v14
	v_fmac_f32_e32 v96, v9, v15
	v_and_b32_e32 v14, 0xffff, v26
	v_and_b32_e32 v15, 0xffff, v123
	s_waitcnt lgkmcnt(0)
	v_lshrrev_b32_e32 v9, 16, v34
	v_and_b32_e32 v2, 0xffff, v34
	;;#ASMSTART
	v_cvt_f32_f16 v2, v2;
	;;#ASMEND
	;;#ASMSTART
	v_cvt_f32_f16 v9, v9;
	;;#ASMEND
	;; [unrolled: 3-line block ×4, first 2 shown]
	v_fmac_f32_e32 v69, v2, v14
	v_fmac_f32_e32 v83, v9, v15
	v_lshrrev_b32_e32 v9, 16, v35
	v_and_b32_e32 v2, 0xffff, v35
	v_and_b32_e32 v14, 0xffff, v88
	;;#ASMSTART
	v_cvt_f32_f16 v2, v2;
	;;#ASMEND
	;;#ASMSTART
	v_cvt_f32_f16 v9, v9;
	;;#ASMEND
	;; [unrolled: 3-line block ×3, first 2 shown]
	v_and_b32_e32 v15, 0xffff, v74
	;;#ASMSTART
	v_cvt_f32_f16 v15, v15;
	;;#ASMEND
	v_fmac_f32_e32 v85, v2, v14
	v_fmac_f32_e32 v84, v9, v15
	v_lshrrev_b32_e32 v9, 16, v36
	v_and_b32_e32 v2, 0xffff, v36
	v_and_b32_e32 v14, 0xffff, v73
	;;#ASMSTART
	v_cvt_f32_f16 v2, v2;
	;;#ASMEND
	;;#ASMSTART
	v_cvt_f32_f16 v9, v9;
	;;#ASMEND
	;; [unrolled: 3-line block ×3, first 2 shown]
	v_and_b32_e32 v15, 0xffff, v66
	;;#ASMSTART
	v_cvt_f32_f16 v15, v15;
	;;#ASMEND
	v_fmac_f32_e32 v87, v2, v14
	v_fmac_f32_e32 v86, v9, v15
	v_lshrrev_b32_e32 v9, 16, v37
	v_and_b32_e32 v2, 0xffff, v37
	v_and_b32_e32 v14, 0xffff, v62
	;;#ASMSTART
	v_cvt_f32_f16 v2, v2;
	;;#ASMEND
	;;#ASMSTART
	v_cvt_f32_f16 v9, v9;
	;;#ASMEND
	;; [unrolled: 3-line block ×4, first 2 shown]
	ds_read_b128 v[34:37], v4 offset:96
	v_fmac_f32_e32 v97, v2, v14
	v_fmac_f32_e32 v96, v9, v6
	v_and_b32_e32 v9, 0xffff, v32
	v_and_b32_e32 v14, 0xffff, v29
	s_waitcnt lgkmcnt(0)
	v_lshrrev_b32_e32 v6, 16, v34
	v_and_b32_e32 v2, 0xffff, v34
	;;#ASMSTART
	v_cvt_f32_f16 v2, v2;
	;;#ASMEND
	;;#ASMSTART
	v_cvt_f32_f16 v6, v6;
	;;#ASMEND
	;; [unrolled: 3-line block ×4, first 2 shown]
	v_fmac_f32_e32 v69, v2, v9
	v_fmac_f32_e32 v83, v6, v14
	v_lshrrev_b32_e32 v6, 16, v35
	v_and_b32_e32 v2, 0xffff, v35
	v_and_b32_e32 v9, 0xffff, v124
	;;#ASMSTART
	v_cvt_f32_f16 v2, v2;
	;;#ASMEND
	;;#ASMSTART
	v_cvt_f32_f16 v6, v6;
	;;#ASMEND
	;; [unrolled: 3-line block ×3, first 2 shown]
	v_and_b32_e32 v14, 0xffff, v122
	;;#ASMSTART
	v_cvt_f32_f16 v14, v14;
	;;#ASMEND
	v_fmac_f32_e32 v85, v2, v9
	v_fmac_f32_e32 v84, v6, v14
	v_lshrrev_b32_e32 v6, 16, v36
	v_and_b32_e32 v2, 0xffff, v36
	v_and_b32_e32 v9, 0xffff, v121
	;;#ASMSTART
	v_cvt_f32_f16 v2, v2;
	;;#ASMEND
	;;#ASMSTART
	v_cvt_f32_f16 v6, v6;
	;;#ASMEND
	;; [unrolled: 3-line block ×3, first 2 shown]
	v_and_b32_e32 v14, 0xffff, v108
	;;#ASMSTART
	v_cvt_f32_f16 v14, v14;
	;;#ASMEND
	v_fmac_f32_e32 v87, v2, v9
	v_fmac_f32_e32 v86, v6, v14
	v_lshrrev_b32_e32 v6, 16, v37
	v_and_b32_e32 v2, 0xffff, v37
	v_and_b32_e32 v9, 0xffff, v39
	;;#ASMSTART
	v_cvt_f32_f16 v2, v2;
	;;#ASMEND
	;;#ASMSTART
	v_cvt_f32_f16 v6, v6;
	;;#ASMEND
	;; [unrolled: 3-line block ×4, first 2 shown]
	ds_read_b128 v[34:37], v4 offset:112
	v_fmac_f32_e32 v97, v2, v9
	v_fmac_f32_e32 v96, v6, v1
	v_and_b32_e32 v6, 0xffff, v38
	v_and_b32_e32 v9, 0xffff, v13
	s_waitcnt lgkmcnt(0)
	v_lshrrev_b32_e32 v2, 16, v34
	v_and_b32_e32 v1, 0xffff, v34
	;;#ASMSTART
	v_cvt_f32_f16 v1, v1;
	;;#ASMEND
	;;#ASMSTART
	v_cvt_f32_f16 v2, v2;
	;;#ASMEND
	;; [unrolled: 3-line block ×4, first 2 shown]
	v_fmac_f32_e32 v69, v1, v6
	v_fmac_f32_e32 v83, v2, v9
	v_lshrrev_b32_e32 v2, 16, v35
	v_and_b32_e32 v1, 0xffff, v35
	v_and_b32_e32 v6, 0xffff, v12
	;;#ASMSTART
	v_cvt_f32_f16 v1, v1;
	;;#ASMEND
	;;#ASMSTART
	v_cvt_f32_f16 v2, v2;
	;;#ASMEND
	;; [unrolled: 3-line block ×3, first 2 shown]
	v_and_b32_e32 v9, 0xffff, v31
	;;#ASMSTART
	v_cvt_f32_f16 v9, v9;
	;;#ASMEND
	v_fmac_f32_e32 v85, v1, v6
	v_fmac_f32_e32 v84, v2, v9
	v_lshrrev_b32_e32 v2, 16, v36
	v_and_b32_e32 v1, 0xffff, v36
	v_and_b32_e32 v6, 0xffff, v10
	;;#ASMSTART
	v_cvt_f32_f16 v1, v1;
	;;#ASMEND
	;;#ASMSTART
	v_cvt_f32_f16 v2, v2;
	;;#ASMEND
	;; [unrolled: 3-line block ×3, first 2 shown]
	v_and_b32_e32 v9, 0xffff, v11
	;;#ASMSTART
	v_cvt_f32_f16 v9, v9;
	;;#ASMEND
	v_fmac_f32_e32 v87, v1, v6
	v_fmac_f32_e32 v86, v2, v9
	v_lshrrev_b32_e32 v2, 16, v37
	v_and_b32_e32 v1, 0xffff, v37
	v_and_b32_e32 v6, 0xffff, v7
	v_and_b32_e32 v7, 0xffff, v48
	;;#ASMSTART
	v_cvt_f32_f16 v1, v1;
	;;#ASMEND
	;;#ASMSTART
	v_cvt_f32_f16 v2, v2;
	;;#ASMEND
	;; [unrolled: 3-line block ×4, first 2 shown]
	ds_read_b128 v[9:12], v4 offset:128
	v_fmac_f32_e32 v97, v1, v6
	v_fmac_f32_e32 v96, v2, v7
	v_and_b32_e32 v6, 0xffff, v50
	s_waitcnt lgkmcnt(0)
	v_lshrrev_b32_e32 v2, 16, v9
	v_and_b32_e32 v1, 0xffff, v9
	;;#ASMSTART
	v_cvt_f32_f16 v1, v1;
	;;#ASMEND
	;;#ASMSTART
	v_cvt_f32_f16 v2, v2;
	;;#ASMEND
	;;#ASMSTART
	v_cvt_f32_f16 v6, v6;
	;;#ASMEND
	;;#ASMSTART
	v_cvt_f32_f16 v0, v0;
	;;#ASMEND
	v_fmac_f32_e32 v69, v1, v6
	v_fmac_f32_e32 v83, v2, v0
	v_lshrrev_b32_e32 v1, 16, v10
	v_and_b32_e32 v0, 0xffff, v10
	v_and_b32_e32 v2, 0xffff, v8
	v_and_b32_e32 v6, 0xffff, v127
	;;#ASMSTART
	v_cvt_f32_f16 v0, v0;
	;;#ASMEND
	;;#ASMSTART
	v_cvt_f32_f16 v1, v1;
	;;#ASMEND
	;;#ASMSTART
	v_cvt_f32_f16 v2, v2;
	;;#ASMEND
	;;#ASMSTART
	v_cvt_f32_f16 v6, v6;
	;;#ASMEND
	v_fmac_f32_e32 v85, v0, v2
	v_fmac_f32_e32 v84, v1, v6
	v_lshrrev_b32_e32 v1, 16, v11
	v_and_b32_e32 v0, 0xffff, v11
	v_and_b32_e32 v2, 0xffff, v126
	;; [unrolled: 18-line block ×3, first 2 shown]
	v_and_b32_e32 v6, 0xffff, v111
	;;#ASMSTART
	v_cvt_f32_f16 v0, v0;
	;;#ASMEND
	;;#ASMSTART
	v_cvt_f32_f16 v1, v1;
	;;#ASMEND
	;; [unrolled: 3-line block ×4, first 2 shown]
	v_fmac_f32_e32 v96, v1, v6
	ds_read_b128 v[6:9], v4 offset:144
	v_fmac_f32_e32 v97, v0, v2
	v_and_b32_e32 v2, 0xffff, v110
	s_waitcnt lgkmcnt(0)
	v_lshrrev_b32_e32 v1, 16, v6
	v_and_b32_e32 v0, 0xffff, v6
	v_and_b32_e32 v6, 0xffff, v109
	;;#ASMSTART
	v_cvt_f32_f16 v0, v0;
	;;#ASMEND
	;;#ASMSTART
	v_cvt_f32_f16 v1, v1;
	;;#ASMEND
	;;#ASMSTART
	v_cvt_f32_f16 v2, v2;
	;;#ASMEND
	;;#ASMSTART
	v_cvt_f32_f16 v6, v6;
	;;#ASMEND
	v_fmac_f32_e32 v69, v0, v2
	v_fmac_f32_e32 v83, v1, v6
	v_lshrrev_b32_e32 v1, 16, v7
	v_and_b32_e32 v0, 0xffff, v7
	v_and_b32_e32 v2, 0xffff, v107
	v_and_b32_e32 v6, 0xffff, v106
	;;#ASMSTART
	v_cvt_f32_f16 v0, v0;
	;;#ASMEND
	;;#ASMSTART
	v_cvt_f32_f16 v1, v1;
	;;#ASMEND
	;;#ASMSTART
	v_cvt_f32_f16 v2, v2;
	;;#ASMEND
	;;#ASMSTART
	v_cvt_f32_f16 v6, v6;
	;;#ASMEND
	v_fmac_f32_e32 v85, v0, v2
	v_fmac_f32_e32 v84, v1, v6
	v_lshrrev_b32_e32 v1, 16, v8
	v_and_b32_e32 v0, 0xffff, v8
	v_and_b32_e32 v2, 0xffff, v104
	v_and_b32_e32 v6, 0xffff, v95
	;;#ASMSTART
	v_cvt_f32_f16 v0, v0;
	;;#ASMEND
	;;#ASMSTART
	v_cvt_f32_f16 v1, v1;
	;;#ASMEND
	;;#ASMSTART
	v_cvt_f32_f16 v2, v2;
	;;#ASMEND
	;;#ASMSTART
	v_cvt_f32_f16 v6, v6;
	;;#ASMEND
	v_fmac_f32_e32 v87, v0, v2
	v_fmac_f32_e32 v86, v1, v6
	v_lshrrev_b32_e32 v1, 16, v9
	v_and_b32_e32 v0, 0xffff, v9
	v_and_b32_e32 v2, 0xffff, v92
	v_and_b32_e32 v6, 0xffff, v91
	;;#ASMSTART
	v_cvt_f32_f16 v0, v0;
	;;#ASMEND
	;;#ASMSTART
	v_cvt_f32_f16 v1, v1;
	;;#ASMEND
	;; [unrolled: 3-line block ×4, first 2 shown]
	v_fmac_f32_e32 v96, v1, v6
	ds_read_b128 v[6:9], v4 offset:160
	v_fmac_f32_e32 v97, v0, v2
	v_and_b32_e32 v2, 0xffff, v90
	s_waitcnt lgkmcnt(0)
	v_lshrrev_b32_e32 v1, 16, v6
	v_and_b32_e32 v0, 0xffff, v6
	v_and_b32_e32 v6, 0xffff, v89
	;;#ASMSTART
	v_cvt_f32_f16 v0, v0;
	;;#ASMEND
	;;#ASMSTART
	v_cvt_f32_f16 v1, v1;
	;;#ASMEND
	;;#ASMSTART
	v_cvt_f32_f16 v2, v2;
	;;#ASMEND
	;;#ASMSTART
	v_cvt_f32_f16 v6, v6;
	;;#ASMEND
	v_fmac_f32_e32 v69, v0, v2
	v_fmac_f32_e32 v83, v1, v6
	v_lshrrev_b32_e32 v1, 16, v7
	v_and_b32_e32 v0, 0xffff, v7
	v_and_b32_e32 v2, 0xffff, v78
	v_and_b32_e32 v6, 0xffff, v77
	;;#ASMSTART
	v_cvt_f32_f16 v0, v0;
	;;#ASMEND
	;;#ASMSTART
	v_cvt_f32_f16 v1, v1;
	;;#ASMEND
	;;#ASMSTART
	v_cvt_f32_f16 v2, v2;
	;;#ASMEND
	;;#ASMSTART
	v_cvt_f32_f16 v6, v6;
	;;#ASMEND
	v_fmac_f32_e32 v85, v0, v2
	v_fmac_f32_e32 v84, v1, v6
	v_lshrrev_b32_e32 v1, 16, v8
	v_and_b32_e32 v0, 0xffff, v8
	v_and_b32_e32 v2, 0xffff, v76
	v_and_b32_e32 v6, 0xffff, v75
	;;#ASMSTART
	v_cvt_f32_f16 v0, v0;
	;;#ASMEND
	;;#ASMSTART
	v_cvt_f32_f16 v1, v1;
	;;#ASMEND
	;;#ASMSTART
	v_cvt_f32_f16 v2, v2;
	;;#ASMEND
	;;#ASMSTART
	v_cvt_f32_f16 v6, v6;
	;;#ASMEND
	v_fmac_f32_e32 v87, v0, v2
	v_fmac_f32_e32 v86, v1, v6
	v_lshrrev_b32_e32 v1, 16, v9
	v_and_b32_e32 v0, 0xffff, v9
	v_and_b32_e32 v2, 0xffff, v72
	v_and_b32_e32 v6, 0xffff, v63
	;;#ASMSTART
	v_cvt_f32_f16 v0, v0;
	;;#ASMEND
	;;#ASMSTART
	v_cvt_f32_f16 v1, v1;
	;;#ASMEND
	;; [unrolled: 3-line block ×4, first 2 shown]
	v_fmac_f32_e32 v96, v1, v6
	ds_read_b128 v[6:9], v4 offset:176
	v_fmac_f32_e32 v97, v0, v2
	v_and_b32_e32 v2, 0xffff, v82
	s_waitcnt lgkmcnt(0)
	v_lshrrev_b32_e32 v1, 16, v6
	v_and_b32_e32 v0, 0xffff, v6
	;;#ASMSTART
	v_cvt_f32_f16 v0, v0;
	;;#ASMEND
	;;#ASMSTART
	v_cvt_f32_f16 v1, v1;
	;;#ASMEND
	v_and_b32_e32 v6, 0xffff, v81
	;;#ASMSTART
	v_cvt_f32_f16 v2, v2;
	;;#ASMEND
	;;#ASMSTART
	v_cvt_f32_f16 v6, v6;
	;;#ASMEND
	v_fmac_f32_e32 v69, v0, v2
	v_fmac_f32_e32 v83, v1, v6
	v_lshrrev_b32_e32 v1, 16, v7
	v_and_b32_e32 v0, 0xffff, v7
	;;#ASMSTART
	v_cvt_f32_f16 v0, v0;
	;;#ASMEND
	;;#ASMSTART
	v_cvt_f32_f16 v1, v1;
	;;#ASMEND
	v_and_b32_e32 v2, 0xffff, v80
	v_and_b32_e32 v6, 0xffff, v71
	;;#ASMSTART
	v_cvt_f32_f16 v2, v2;
	;;#ASMEND
	;;#ASMSTART
	v_cvt_f32_f16 v6, v6;
	;;#ASMEND
	v_fmac_f32_e32 v85, v0, v2
	v_fmac_f32_e32 v84, v1, v6
	v_lshrrev_b32_e32 v1, 16, v8
	v_and_b32_e32 v0, 0xffff, v8
	;;#ASMSTART
	v_cvt_f32_f16 v0, v0;
	;;#ASMEND
	;;#ASMSTART
	v_cvt_f32_f16 v1, v1;
	;;#ASMEND
	v_and_b32_e32 v2, 0xffff, v70
	;; [unrolled: 18-line block ×3, first 2 shown]
	v_and_b32_e32 v6, 0xffff, v25
	;;#ASMSTART
	v_cvt_f32_f16 v2, v2;
	;;#ASMEND
	;;#ASMSTART
	v_cvt_f32_f16 v6, v6;
	;;#ASMEND
	v_fmac_f32_e32 v96, v1, v6
	buffer_load_dword v1, off, s[0:3], s32 offset:236 ; 4-byte Folded Reload
	v_fmac_f32_e32 v97, v0, v2
	v_add_f32_e32 v0, v69, v83
	v_add_f32_e32 v0, v0, v85
	;; [unrolled: 1-line block ×7, first 2 shown]
	s_waitcnt vmcnt(0)
	v_fmac_f32_e32 v3, v1, v0
	v_cndmask_b32_e64 v0, 0, v3, s5
	ds_write_b32 v24, v0
	v_max_f32_e32 v0, v51, v51
	v_max_f32_e32 v0, v0, v3
	v_cndmask_b32_e64 v51, v51, v0, s5
.LBB277_14:                             ;   in Loop: Header=BB277_15 Depth=1
	s_or_b32 exec_lo, exec_lo, s6
	buffer_load_dword v0, off, s[0:3], s32 offset:192 ; 4-byte Folded Reload
	v_add_nc_u32_e32 v68, 4, v68
	v_add_co_u32 v16, s6, v16, 16
	v_add_nc_u32_e32 v5, 0x80, v5
	v_add_nc_u32_e32 v53, 0x200, v53
	v_add_co_ci_u32_e64 v17, null, 0, v17, s6
	s_waitcnt vmcnt(0)
	v_cmp_ge_i32_e64 s5, v68, v0
	s_or_b32 s19, s5, s19
	s_andn2_b32 exec_lo, exec_lo, s19
	s_cbranch_execz .LBB277_783
.LBB277_15:                             ; =>This Inner Loop Header: Depth=1
	buffer_load_dword v0, off, s[0:3], s32 offset:204 ; 4-byte Folded Reload
	s_waitcnt vmcnt(0)
	v_mul_hi_u32 v0, v5, v0
	v_mul_lo_u32 v1, v0, v33
	v_add_nc_u32_e32 v2, 1, v0
	v_sub_nc_u32_e32 v1, v5, v1
	v_sub_nc_u32_e32 v3, v1, v33
	v_cmp_ge_u32_e64 s5, v1, v33
	v_cndmask_b32_e64 v0, v0, v2, s5
	v_cndmask_b32_e64 v1, v1, v3, s5
	v_add_nc_u32_e32 v2, 1, v0
	v_cmp_ge_u32_e64 s5, v1, v33
	v_cndmask_b32_e64 v0, v0, v2, s5
	s_clause 0x2
	buffer_load_dword v1, off, s[0:3], s32 offset:196
	buffer_load_dword v2, off, s[0:3], s32 offset:200
	;; [unrolled: 1-line block ×3, first 2 shown]
	v_xor_b32_e32 v0, v0, v55
	v_sub_nc_u32_e32 v0, v0, v55
	s_waitcnt vmcnt(2)
	v_add_nc_u32_e32 v1, v0, v1
	s_waitcnt vmcnt(1)
	v_sub_nc_u32_e32 v2, 0, v1
	v_max_i32_e32 v2, v1, v2
	v_ashrrev_i32_e32 v1, 31, v1
	s_waitcnt vmcnt(0)
	v_mul_hi_u32 v3, v2, v3
	v_mul_lo_u32 v3, v3, v52
	v_sub_nc_u32_e32 v2, v2, v3
	v_sub_nc_u32_e32 v3, v2, v52
	v_cmp_ge_u32_e64 s5, v2, v52
	v_cndmask_b32_e64 v2, v2, v3, s5
	v_sub_nc_u32_e32 v3, v2, v52
	v_cmp_ge_u32_e64 s5, v2, v52
	v_cndmask_b32_e64 v2, v2, v3, s5
	v_xor_b32_e32 v2, v2, v1
	v_sub_nc_u32_e32 v1, v2, v1
	v_cmp_ne_u32_e64 s5, 0, v1
	buffer_load_dword v1, off, s[0:3], s32 offset:208 ; 4-byte Folded Reload
	s_waitcnt vmcnt(0)
	v_cmp_le_i32_e64 s6, v0, v1
	s_and_b32 s5, s5, s6
	s_and_saveexec_b32 s6, s5
	s_xor_b32 s5, exec_lo, s6
	s_cbranch_execz .LBB277_17
; %bb.16:                               ;   in Loop: Header=BB277_15 Depth=1
	s_waitcnt lgkmcnt(0)
	v_add_nc_u32_e32 v0, s18, v53
	v_mov_b32_e32 v1, 0xff7fffff
	ds_write_b32 v0, v1
.LBB277_17:                             ;   in Loop: Header=BB277_15 Depth=1
	s_andn2_saveexec_b32 s6, s5
	s_cbranch_execz .LBB277_14
; %bb.18:                               ;   in Loop: Header=BB277_15 Depth=1
	flat_load_dword v0, v[16:17]
	s_clause 0x2
	buffer_load_dword v1, off, s[0:3], s32 offset:212
	buffer_load_dword v2, off, s[0:3], s32 offset:240
	;; [unrolled: 1-line block ×3, first 2 shown]
	v_mov_b32_e32 v70, 0
	v_mov_b32_e32 v71, 0
	s_waitcnt vmcnt(0) lgkmcnt(0)
	v_mad_i64_i32 v[24:25], null, v0, v1, v[2:3]
	flat_load_dwordx2 v[27:28], v[24:25]
	s_clause 0x1
	buffer_load_dword v0, off, s[0:3], s32 offset:228
	buffer_load_dword v1, off, s[0:3], s32 offset:232
	s_waitcnt vmcnt(2) lgkmcnt(0)
	v_cmp_ne_u16_sdwa s5, v27, v4 src0_sel:BYTE_0 src1_sel:DWORD
	s_waitcnt vmcnt(0)
	flat_load_dword v69, v[0:1]
	s_and_saveexec_b32 s20, s5
	s_cbranch_execz .LBB277_26
; %bb.19:                               ;   in Loop: Header=BB277_15 Depth=1
	v_cmp_ne_u16_sdwa s5, v27, v54 src0_sel:BYTE_0 src1_sel:DWORD
	v_mov_b32_e32 v71, 0x8000
	s_and_saveexec_b32 s21, s5
	s_cbranch_execz .LBB277_25
; %bb.20:                               ;   in Loop: Header=BB277_15 Depth=1
	v_and_b32_e32 v2, 0x7f, v27
	v_mov_b32_e32 v71, 0x7c01
	s_mov_b32 s22, exec_lo
	v_cmpx_ne_u32_e32 0x7f, v2
	s_cbranch_execz .LBB277_24
; %bb.21:                               ;   in Loop: Header=BB277_15 Depth=1
	v_and_b32_e32 v0, 7, v27
	v_lshrrev_b32_e32 v1, 3, v2
	s_mov_b32 s23, exec_lo
	v_cmpx_gt_u32_e32 8, v2
; %bb.22:                               ;   in Loop: Header=BB277_15 Depth=1
	v_ffbh_u32_e32 v0, v0
	v_min_u32_e32 v2, 32, v0
	v_subrev_nc_u32_e32 v0, 28, v2
	v_lshlrev_b64 v[0:1], v0, v[27:28]
	v_sub_nc_u32_e32 v1, 29, v2
	v_and_b32_e32 v0, 7, v0
; %bb.23:                               ;   in Loop: Header=BB277_15 Depth=1
	s_or_b32 exec_lo, exec_lo, s23
	v_lshlrev_b32_e32 v2, 8, v27
	v_lshl_add_u32 v1, v1, 10, 0x2000
	v_lshlrev_b32_e32 v0, 7, v0
	v_and_b32_e32 v2, 0x8000, v2
	v_and_b32_e32 v1, 0xfc00, v1
	v_or3_b32 v71, v2, v1, v0
.LBB277_24:                             ;   in Loop: Header=BB277_15 Depth=1
	s_or_b32 exec_lo, exec_lo, s22
.LBB277_25:                             ;   in Loop: Header=BB277_15 Depth=1
	s_or_b32 exec_lo, exec_lo, s21
.LBB277_26:                             ;   in Loop: Header=BB277_15 Depth=1
	s_or_b32 exec_lo, exec_lo, s20
	v_lshrrev_b16 v3, 8, v27
	s_mov_b32 s20, exec_lo
	v_cmpx_ne_u16_e32 0, v3
	s_cbranch_execz .LBB277_34
; %bb.27:                               ;   in Loop: Header=BB277_15 Depth=1
	v_bfrev_b32_e32 v70, 1
	s_mov_b32 s21, exec_lo
	v_cmpx_ne_u16_e32 0x80, v3
	s_cbranch_execz .LBB277_33
; %bb.28:                               ;   in Loop: Header=BB277_15 Depth=1
	v_mov_b32_e32 v0, 0x7f
	v_mov_b32_e32 v70, 0x7c010000
	s_mov_b32 s22, exec_lo
	v_and_b32_sdwa v2, v3, v0 dst_sel:DWORD dst_unused:UNUSED_PAD src0_sel:WORD_0 src1_sel:DWORD
	v_cmpx_ne_u32_e32 0x7f, v2
	s_cbranch_execz .LBB277_32
; %bb.29:                               ;   in Loop: Header=BB277_15 Depth=1
	v_mov_b32_e32 v0, 7
	v_lshrrev_b32_e32 v1, 3, v2
	s_mov_b32 s23, exec_lo
	v_and_b32_sdwa v0, v3, v0 dst_sel:DWORD dst_unused:UNUSED_PAD src0_sel:WORD_0 src1_sel:DWORD
	v_cmpx_gt_u32_e32 8, v2
; %bb.30:                               ;   in Loop: Header=BB277_15 Depth=1
	v_ffbh_u32_e32 v0, v0
	v_min_u32_e32 v2, 32, v0
	v_subrev_nc_u32_e32 v0, 28, v2
	v_lshlrev_b64 v[0:1], v0, v[3:4]
	v_sub_nc_u32_e32 v1, 29, v2
	v_and_b32_e32 v0, 7, v0
; %bb.31:                               ;   in Loop: Header=BB277_15 Depth=1
	s_or_b32 exec_lo, exec_lo, s23
	v_mov_b32_e32 v2, 8
	v_lshl_add_u32 v1, v1, 10, 0x2000
	v_lshlrev_b32_e32 v0, 23, v0
	v_lshlrev_b32_sdwa v2, v2, v3 dst_sel:DWORD dst_unused:UNUSED_PAD src0_sel:DWORD src1_sel:WORD_0
	v_and_or_b32 v1, 0x8000, v2, v1
	v_lshl_or_b32 v70, v1, 16, v0
.LBB277_32:                             ;   in Loop: Header=BB277_15 Depth=1
	s_or_b32 exec_lo, exec_lo, s22
.LBB277_33:                             ;   in Loop: Header=BB277_15 Depth=1
	s_or_b32 exec_lo, exec_lo, s21
.LBB277_34:                             ;   in Loop: Header=BB277_15 Depth=1
	s_or_b32 exec_lo, exec_lo, s20
	v_lshrrev_b32_e32 v3, 16, v27
	v_mov_b32_e32 v80, 0
	v_mov_b32_e32 v81, 0
	v_cmp_ne_u16_sdwa s5, v3, v4 src0_sel:BYTE_0 src1_sel:DWORD
	s_and_saveexec_b32 s20, s5
	s_cbranch_execz .LBB277_42
; %bb.35:                               ;   in Loop: Header=BB277_15 Depth=1
	v_cmp_ne_u16_sdwa s5, v3, v54 src0_sel:BYTE_0 src1_sel:DWORD
	v_mov_b32_e32 v81, 0x8000
	s_and_saveexec_b32 s21, s5
	s_cbranch_execz .LBB277_41
; %bb.36:                               ;   in Loop: Header=BB277_15 Depth=1
	v_bfe_u32 v2, v27, 16, 7
	v_mov_b32_e32 v81, 0x7c01
	s_mov_b32 s22, exec_lo
	v_cmpx_ne_u32_e32 0x7f, v2
	s_cbranch_execz .LBB277_40
; %bb.37:                               ;   in Loop: Header=BB277_15 Depth=1
	v_and_b32_e32 v0, 7, v3
	v_lshrrev_b32_e32 v1, 3, v2
	s_mov_b32 s23, exec_lo
	v_cmpx_gt_u32_e32 8, v2
; %bb.38:                               ;   in Loop: Header=BB277_15 Depth=1
	v_ffbh_u32_e32 v0, v0
	v_min_u32_e32 v2, 32, v0
	v_subrev_nc_u32_e32 v0, 28, v2
	v_lshlrev_b64 v[0:1], v0, v[3:4]
	v_sub_nc_u32_e32 v1, 29, v2
	v_and_b32_e32 v0, 7, v0
; %bb.39:                               ;   in Loop: Header=BB277_15 Depth=1
	s_or_b32 exec_lo, exec_lo, s23
	v_lshlrev_b32_e32 v2, 8, v3
	v_lshl_add_u32 v1, v1, 10, 0x2000
	v_lshlrev_b32_e32 v0, 7, v0
	v_and_b32_e32 v2, 0x8000, v2
	v_and_b32_e32 v1, 0xfc00, v1
	v_or3_b32 v81, v2, v1, v0
.LBB277_40:                             ;   in Loop: Header=BB277_15 Depth=1
	s_or_b32 exec_lo, exec_lo, s22
.LBB277_41:                             ;   in Loop: Header=BB277_15 Depth=1
	s_or_b32 exec_lo, exec_lo, s21
.LBB277_42:                             ;   in Loop: Header=BB277_15 Depth=1
	s_or_b32 exec_lo, exec_lo, s20
	s_mov_b32 s20, exec_lo
	v_cmpx_lt_u32_e32 0xffffff, v27
	s_cbranch_execz .LBB277_50
; %bb.43:                               ;   in Loop: Header=BB277_15 Depth=1
	v_lshrrev_b32_e32 v3, 24, v27
	v_bfrev_b32_e32 v80, 1
	s_mov_b32 s21, exec_lo
	v_cmpx_ne_u32_e32 0x80, v3
	s_cbranch_execz .LBB277_49
; %bb.44:                               ;   in Loop: Header=BB277_15 Depth=1
	v_and_b32_e32 v2, 0x7f, v3
	v_mov_b32_e32 v80, 0x7c010000
	s_mov_b32 s22, exec_lo
	v_cmpx_ne_u32_e32 0x7f, v2
	s_cbranch_execz .LBB277_48
; %bb.45:                               ;   in Loop: Header=BB277_15 Depth=1
	v_and_b32_e32 v0, 7, v3
	v_lshrrev_b32_e32 v1, 3, v2
	s_mov_b32 s23, exec_lo
	v_cmpx_gt_u32_e32 8, v2
; %bb.46:                               ;   in Loop: Header=BB277_15 Depth=1
	v_ffbh_u32_e32 v0, v0
	v_min_u32_e32 v2, 32, v0
	v_subrev_nc_u32_e32 v0, 28, v2
	v_lshlrev_b64 v[0:1], v0, v[3:4]
	v_sub_nc_u32_e32 v1, 29, v2
	v_and_b32_e32 v0, 7, v0
; %bb.47:                               ;   in Loop: Header=BB277_15 Depth=1
	s_or_b32 exec_lo, exec_lo, s23
	v_lshlrev_b32_e32 v2, 8, v3
	v_lshl_add_u32 v1, v1, 10, 0x2000
	v_lshlrev_b32_e32 v0, 23, v0
	v_and_or_b32 v1, 0x8000, v2, v1
	v_lshl_or_b32 v80, v1, 16, v0
.LBB277_48:                             ;   in Loop: Header=BB277_15 Depth=1
	s_or_b32 exec_lo, exec_lo, s22
.LBB277_49:                             ;   in Loop: Header=BB277_15 Depth=1
	s_or_b32 exec_lo, exec_lo, s21
.LBB277_50:                             ;   in Loop: Header=BB277_15 Depth=1
	s_or_b32 exec_lo, exec_lo, s20
	v_mov_b32_e32 v3, v28
	v_cmp_ne_u16_sdwa s5, v28, v4 src0_sel:BYTE_0 src1_sel:DWORD
	v_mov_b32_e32 v82, 0
	v_mov_b32_e32 v83, 0
	s_and_saveexec_b32 s20, s5
	s_cbranch_execz .LBB277_58
; %bb.51:                               ;   in Loop: Header=BB277_15 Depth=1
	v_cmp_ne_u16_sdwa s5, v28, v54 src0_sel:BYTE_0 src1_sel:DWORD
	v_mov_b32_e32 v83, 0x8000
	s_and_saveexec_b32 s21, s5
	s_cbranch_execz .LBB277_57
; %bb.52:                               ;   in Loop: Header=BB277_15 Depth=1
	v_and_b32_e32 v2, 0x7f, v28
	v_mov_b32_e32 v83, 0x7c01
	s_mov_b32 s22, exec_lo
	v_cmpx_ne_u32_e32 0x7f, v2
	s_cbranch_execz .LBB277_56
; %bb.53:                               ;   in Loop: Header=BB277_15 Depth=1
	v_and_b32_e32 v0, 7, v28
	v_lshrrev_b32_e32 v1, 3, v2
	s_mov_b32 s23, exec_lo
	v_cmpx_gt_u32_e32 8, v2
; %bb.54:                               ;   in Loop: Header=BB277_15 Depth=1
	v_ffbh_u32_e32 v0, v0
	v_min_u32_e32 v2, 32, v0
	v_subrev_nc_u32_e32 v0, 28, v2
	v_lshlrev_b64 v[0:1], v0, v[3:4]
	v_sub_nc_u32_e32 v1, 29, v2
	v_and_b32_e32 v0, 7, v0
; %bb.55:                               ;   in Loop: Header=BB277_15 Depth=1
	s_or_b32 exec_lo, exec_lo, s23
	v_lshlrev_b32_e32 v2, 8, v28
	v_lshl_add_u32 v1, v1, 10, 0x2000
	v_lshlrev_b32_e32 v0, 7, v0
	v_and_b32_e32 v2, 0x8000, v2
	v_and_b32_e32 v1, 0xfc00, v1
	v_or3_b32 v83, v2, v1, v0
.LBB277_56:                             ;   in Loop: Header=BB277_15 Depth=1
	s_or_b32 exec_lo, exec_lo, s22
.LBB277_57:                             ;   in Loop: Header=BB277_15 Depth=1
	s_or_b32 exec_lo, exec_lo, s21
.LBB277_58:                             ;   in Loop: Header=BB277_15 Depth=1
	s_or_b32 exec_lo, exec_lo, s20
	v_lshrrev_b16 v3, 8, v3
	v_mov_b32_e32 v84, 0
	s_mov_b32 s20, exec_lo
	v_cmpx_ne_u16_e32 0, v3
	s_cbranch_execz .LBB277_66
; %bb.59:                               ;   in Loop: Header=BB277_15 Depth=1
	v_bfrev_b32_e32 v84, 1
	s_mov_b32 s21, exec_lo
	v_cmpx_ne_u16_e32 0x80, v3
	s_cbranch_execz .LBB277_65
; %bb.60:                               ;   in Loop: Header=BB277_15 Depth=1
	v_mov_b32_e32 v0, 0x7f
	v_mov_b32_e32 v84, 0x7c010000
	s_mov_b32 s22, exec_lo
	v_and_b32_sdwa v2, v3, v0 dst_sel:DWORD dst_unused:UNUSED_PAD src0_sel:WORD_0 src1_sel:DWORD
	v_cmpx_ne_u32_e32 0x7f, v2
	s_cbranch_execz .LBB277_64
; %bb.61:                               ;   in Loop: Header=BB277_15 Depth=1
	v_mov_b32_e32 v0, 7
	v_lshrrev_b32_e32 v1, 3, v2
	s_mov_b32 s23, exec_lo
	v_and_b32_sdwa v0, v3, v0 dst_sel:DWORD dst_unused:UNUSED_PAD src0_sel:WORD_0 src1_sel:DWORD
	v_cmpx_gt_u32_e32 8, v2
; %bb.62:                               ;   in Loop: Header=BB277_15 Depth=1
	v_ffbh_u32_e32 v0, v0
	v_min_u32_e32 v2, 32, v0
	v_subrev_nc_u32_e32 v0, 28, v2
	v_lshlrev_b64 v[0:1], v0, v[3:4]
	v_sub_nc_u32_e32 v1, 29, v2
	v_and_b32_e32 v0, 7, v0
; %bb.63:                               ;   in Loop: Header=BB277_15 Depth=1
	s_or_b32 exec_lo, exec_lo, s23
	v_mov_b32_e32 v2, 8
	v_lshl_add_u32 v1, v1, 10, 0x2000
	v_lshlrev_b32_e32 v0, 23, v0
	v_lshlrev_b32_sdwa v2, v2, v3 dst_sel:DWORD dst_unused:UNUSED_PAD src0_sel:DWORD src1_sel:WORD_0
	v_and_or_b32 v1, 0x8000, v2, v1
	v_lshl_or_b32 v84, v1, 16, v0
.LBB277_64:                             ;   in Loop: Header=BB277_15 Depth=1
	s_or_b32 exec_lo, exec_lo, s22
.LBB277_65:                             ;   in Loop: Header=BB277_15 Depth=1
	s_or_b32 exec_lo, exec_lo, s21
.LBB277_66:                             ;   in Loop: Header=BB277_15 Depth=1
	s_or_b32 exec_lo, exec_lo, s20
	v_lshrrev_b32_e32 v3, 16, v28
	v_cmp_ne_u16_sdwa s5, v3, v4 src0_sel:BYTE_0 src1_sel:DWORD
	s_and_saveexec_b32 s20, s5
	s_cbranch_execz .LBB277_74
; %bb.67:                               ;   in Loop: Header=BB277_15 Depth=1
	v_cmp_ne_u16_sdwa s5, v3, v54 src0_sel:BYTE_0 src1_sel:DWORD
	v_mov_b32_e32 v82, 0x8000
	s_and_saveexec_b32 s21, s5
	s_cbranch_execz .LBB277_73
; %bb.68:                               ;   in Loop: Header=BB277_15 Depth=1
	v_bfe_u32 v2, v28, 16, 7
	v_mov_b32_e32 v82, 0x7c01
	s_mov_b32 s22, exec_lo
	v_cmpx_ne_u32_e32 0x7f, v2
	s_cbranch_execz .LBB277_72
; %bb.69:                               ;   in Loop: Header=BB277_15 Depth=1
	v_and_b32_e32 v0, 7, v3
	v_lshrrev_b32_e32 v1, 3, v2
	s_mov_b32 s23, exec_lo
	v_cmpx_gt_u32_e32 8, v2
; %bb.70:                               ;   in Loop: Header=BB277_15 Depth=1
	v_ffbh_u32_e32 v0, v0
	v_min_u32_e32 v2, 32, v0
	v_subrev_nc_u32_e32 v0, 28, v2
	v_lshlrev_b64 v[0:1], v0, v[3:4]
	v_sub_nc_u32_e32 v1, 29, v2
	v_and_b32_e32 v0, 7, v0
; %bb.71:                               ;   in Loop: Header=BB277_15 Depth=1
	s_or_b32 exec_lo, exec_lo, s23
	v_lshlrev_b32_e32 v2, 8, v3
	v_lshl_add_u32 v1, v1, 10, 0x2000
	v_lshlrev_b32_e32 v0, 7, v0
	v_and_b32_e32 v2, 0x8000, v2
	v_and_b32_e32 v1, 0xfc00, v1
	v_or3_b32 v82, v2, v1, v0
.LBB277_72:                             ;   in Loop: Header=BB277_15 Depth=1
	s_or_b32 exec_lo, exec_lo, s22
.LBB277_73:                             ;   in Loop: Header=BB277_15 Depth=1
	s_or_b32 exec_lo, exec_lo, s21
.LBB277_74:                             ;   in Loop: Header=BB277_15 Depth=1
	s_or_b32 exec_lo, exec_lo, s20
	v_mov_b32_e32 v86, 0
	v_mov_b32_e32 v85, 0
	s_mov_b32 s20, exec_lo
	v_cmpx_lt_u64_e64 s[12:13], v[27:28]
	s_cbranch_execz .LBB277_82
; %bb.75:                               ;   in Loop: Header=BB277_15 Depth=1
	v_lshrrev_b32_e32 v3, 24, v28
	v_bfrev_b32_e32 v85, 1
	s_mov_b32 s21, exec_lo
	v_cmpx_ne_u32_e32 0x80, v3
	s_cbranch_execz .LBB277_81
; %bb.76:                               ;   in Loop: Header=BB277_15 Depth=1
	v_and_b32_e32 v2, 0x7f, v3
	v_mov_b32_e32 v85, 0x7c010000
	s_mov_b32 s22, exec_lo
	v_cmpx_ne_u32_e32 0x7f, v2
	s_cbranch_execz .LBB277_80
; %bb.77:                               ;   in Loop: Header=BB277_15 Depth=1
	v_and_b32_e32 v0, 7, v3
	v_lshrrev_b32_e32 v1, 3, v2
	s_mov_b32 s23, exec_lo
	v_cmpx_gt_u32_e32 8, v2
; %bb.78:                               ;   in Loop: Header=BB277_15 Depth=1
	v_ffbh_u32_e32 v0, v0
	v_min_u32_e32 v2, 32, v0
	v_subrev_nc_u32_e32 v0, 28, v2
	v_lshlrev_b64 v[0:1], v0, v[3:4]
	v_sub_nc_u32_e32 v1, 29, v2
	v_and_b32_e32 v0, 7, v0
; %bb.79:                               ;   in Loop: Header=BB277_15 Depth=1
	s_or_b32 exec_lo, exec_lo, s23
	v_lshlrev_b32_e32 v2, 8, v3
	v_lshl_add_u32 v1, v1, 10, 0x2000
	v_lshlrev_b32_e32 v0, 23, v0
	v_and_or_b32 v1, 0x8000, v2, v1
	v_lshl_or_b32 v85, v1, 16, v0
.LBB277_80:                             ;   in Loop: Header=BB277_15 Depth=1
	s_or_b32 exec_lo, exec_lo, s22
.LBB277_81:                             ;   in Loop: Header=BB277_15 Depth=1
	s_or_b32 exec_lo, exec_lo, s21
.LBB277_82:                             ;   in Loop: Header=BB277_15 Depth=1
	s_or_b32 exec_lo, exec_lo, s20
	flat_load_dwordx2 v[27:28], v[24:25] offset:8
	s_waitcnt vmcnt(0) lgkmcnt(0)
	v_cmp_ne_u16_sdwa s5, v27, v4 src0_sel:BYTE_0 src1_sel:DWORD
	s_and_saveexec_b32 s20, s5
	s_cbranch_execz .LBB277_90
; %bb.83:                               ;   in Loop: Header=BB277_15 Depth=1
	v_cmp_ne_u16_sdwa s5, v27, v54 src0_sel:BYTE_0 src1_sel:DWORD
	v_mov_b32_e32 v86, 0x8000
	s_and_saveexec_b32 s21, s5
	s_cbranch_execz .LBB277_89
; %bb.84:                               ;   in Loop: Header=BB277_15 Depth=1
	v_and_b32_e32 v2, 0x7f, v27
	v_mov_b32_e32 v86, 0x7c01
	s_mov_b32 s22, exec_lo
	v_cmpx_ne_u32_e32 0x7f, v2
	s_cbranch_execz .LBB277_88
; %bb.85:                               ;   in Loop: Header=BB277_15 Depth=1
	v_and_b32_e32 v0, 7, v27
	v_lshrrev_b32_e32 v1, 3, v2
	s_mov_b32 s23, exec_lo
	v_cmpx_gt_u32_e32 8, v2
; %bb.86:                               ;   in Loop: Header=BB277_15 Depth=1
	v_ffbh_u32_e32 v0, v0
	v_min_u32_e32 v2, 32, v0
	v_subrev_nc_u32_e32 v0, 28, v2
	v_lshlrev_b64 v[0:1], v0, v[27:28]
	v_sub_nc_u32_e32 v1, 29, v2
	v_and_b32_e32 v0, 7, v0
; %bb.87:                               ;   in Loop: Header=BB277_15 Depth=1
	s_or_b32 exec_lo, exec_lo, s23
	v_lshlrev_b32_e32 v2, 8, v27
	v_lshl_add_u32 v1, v1, 10, 0x2000
	v_lshlrev_b32_e32 v0, 7, v0
	v_and_b32_e32 v2, 0x8000, v2
	v_and_b32_e32 v1, 0xfc00, v1
	v_or3_b32 v86, v2, v1, v0
.LBB277_88:                             ;   in Loop: Header=BB277_15 Depth=1
	s_or_b32 exec_lo, exec_lo, s22
.LBB277_89:                             ;   in Loop: Header=BB277_15 Depth=1
	s_or_b32 exec_lo, exec_lo, s21
.LBB277_90:                             ;   in Loop: Header=BB277_15 Depth=1
	s_or_b32 exec_lo, exec_lo, s20
	v_lshrrev_b16 v3, 8, v27
	v_mov_b32_e32 v96, 0
	v_mov_b32_e32 v87, 0
	s_mov_b32 s20, exec_lo
	v_cmpx_ne_u16_e32 0, v3
	s_cbranch_execz .LBB277_98
; %bb.91:                               ;   in Loop: Header=BB277_15 Depth=1
	v_bfrev_b32_e32 v87, 1
	s_mov_b32 s21, exec_lo
	v_cmpx_ne_u16_e32 0x80, v3
	s_cbranch_execz .LBB277_97
; %bb.92:                               ;   in Loop: Header=BB277_15 Depth=1
	v_mov_b32_e32 v0, 0x7f
	v_mov_b32_e32 v87, 0x7c010000
	s_mov_b32 s22, exec_lo
	v_and_b32_sdwa v2, v3, v0 dst_sel:DWORD dst_unused:UNUSED_PAD src0_sel:WORD_0 src1_sel:DWORD
	v_cmpx_ne_u32_e32 0x7f, v2
	s_cbranch_execz .LBB277_96
; %bb.93:                               ;   in Loop: Header=BB277_15 Depth=1
	v_mov_b32_e32 v0, 7
	v_lshrrev_b32_e32 v1, 3, v2
	s_mov_b32 s23, exec_lo
	v_and_b32_sdwa v0, v3, v0 dst_sel:DWORD dst_unused:UNUSED_PAD src0_sel:WORD_0 src1_sel:DWORD
	v_cmpx_gt_u32_e32 8, v2
; %bb.94:                               ;   in Loop: Header=BB277_15 Depth=1
	v_ffbh_u32_e32 v0, v0
	v_min_u32_e32 v2, 32, v0
	v_subrev_nc_u32_e32 v0, 28, v2
	v_lshlrev_b64 v[0:1], v0, v[3:4]
	v_sub_nc_u32_e32 v1, 29, v2
	v_and_b32_e32 v0, 7, v0
; %bb.95:                               ;   in Loop: Header=BB277_15 Depth=1
	s_or_b32 exec_lo, exec_lo, s23
	v_mov_b32_e32 v2, 8
	v_lshl_add_u32 v1, v1, 10, 0x2000
	v_lshlrev_b32_e32 v0, 23, v0
	v_lshlrev_b32_sdwa v2, v2, v3 dst_sel:DWORD dst_unused:UNUSED_PAD src0_sel:DWORD src1_sel:WORD_0
	v_and_or_b32 v1, 0x8000, v2, v1
	v_lshl_or_b32 v87, v1, 16, v0
.LBB277_96:                             ;   in Loop: Header=BB277_15 Depth=1
	s_or_b32 exec_lo, exec_lo, s22
.LBB277_97:                             ;   in Loop: Header=BB277_15 Depth=1
	s_or_b32 exec_lo, exec_lo, s21
.LBB277_98:                             ;   in Loop: Header=BB277_15 Depth=1
	s_or_b32 exec_lo, exec_lo, s20
	v_lshrrev_b32_e32 v3, 16, v27
	v_cmp_ne_u16_sdwa s5, v3, v4 src0_sel:BYTE_0 src1_sel:DWORD
	s_and_saveexec_b32 s20, s5
	s_cbranch_execz .LBB277_106
; %bb.99:                               ;   in Loop: Header=BB277_15 Depth=1
	v_cmp_ne_u16_sdwa s5, v3, v54 src0_sel:BYTE_0 src1_sel:DWORD
	v_mov_b32_e32 v96, 0x8000
	s_and_saveexec_b32 s21, s5
	s_cbranch_execz .LBB277_105
; %bb.100:                              ;   in Loop: Header=BB277_15 Depth=1
	v_bfe_u32 v2, v27, 16, 7
	v_mov_b32_e32 v96, 0x7c01
	s_mov_b32 s22, exec_lo
	v_cmpx_ne_u32_e32 0x7f, v2
	s_cbranch_execz .LBB277_104
; %bb.101:                              ;   in Loop: Header=BB277_15 Depth=1
	v_and_b32_e32 v0, 7, v3
	v_lshrrev_b32_e32 v1, 3, v2
	s_mov_b32 s23, exec_lo
	v_cmpx_gt_u32_e32 8, v2
; %bb.102:                              ;   in Loop: Header=BB277_15 Depth=1
	v_ffbh_u32_e32 v0, v0
	v_min_u32_e32 v2, 32, v0
	v_subrev_nc_u32_e32 v0, 28, v2
	v_lshlrev_b64 v[0:1], v0, v[3:4]
	v_sub_nc_u32_e32 v1, 29, v2
	v_and_b32_e32 v0, 7, v0
; %bb.103:                              ;   in Loop: Header=BB277_15 Depth=1
	s_or_b32 exec_lo, exec_lo, s23
	v_lshlrev_b32_e32 v2, 8, v3
	v_lshl_add_u32 v1, v1, 10, 0x2000
	v_lshlrev_b32_e32 v0, 7, v0
	v_and_b32_e32 v2, 0x8000, v2
	v_and_b32_e32 v1, 0xfc00, v1
	v_or3_b32 v96, v2, v1, v0
.LBB277_104:                            ;   in Loop: Header=BB277_15 Depth=1
	s_or_b32 exec_lo, exec_lo, s22
.LBB277_105:                            ;   in Loop: Header=BB277_15 Depth=1
	s_or_b32 exec_lo, exec_lo, s21
.LBB277_106:                            ;   in Loop: Header=BB277_15 Depth=1
	s_or_b32 exec_lo, exec_lo, s20
	v_mov_b32_e32 v97, 0
	v_mov_b32_e32 v98, 0
	s_mov_b32 s20, exec_lo
	v_cmpx_lt_u32_e32 0xffffff, v27
	s_cbranch_execz .LBB277_114
; %bb.107:                              ;   in Loop: Header=BB277_15 Depth=1
	v_lshrrev_b32_e32 v3, 24, v27
	v_bfrev_b32_e32 v98, 1
	s_mov_b32 s21, exec_lo
	v_cmpx_ne_u32_e32 0x80, v3
	s_cbranch_execz .LBB277_113
; %bb.108:                              ;   in Loop: Header=BB277_15 Depth=1
	v_and_b32_e32 v2, 0x7f, v3
	v_mov_b32_e32 v98, 0x7c010000
	s_mov_b32 s22, exec_lo
	v_cmpx_ne_u32_e32 0x7f, v2
	s_cbranch_execz .LBB277_112
; %bb.109:                              ;   in Loop: Header=BB277_15 Depth=1
	v_and_b32_e32 v0, 7, v3
	v_lshrrev_b32_e32 v1, 3, v2
	s_mov_b32 s23, exec_lo
	v_cmpx_gt_u32_e32 8, v2
; %bb.110:                              ;   in Loop: Header=BB277_15 Depth=1
	v_ffbh_u32_e32 v0, v0
	v_min_u32_e32 v2, 32, v0
	v_subrev_nc_u32_e32 v0, 28, v2
	v_lshlrev_b64 v[0:1], v0, v[3:4]
	v_sub_nc_u32_e32 v1, 29, v2
	v_and_b32_e32 v0, 7, v0
; %bb.111:                              ;   in Loop: Header=BB277_15 Depth=1
	s_or_b32 exec_lo, exec_lo, s23
	v_lshlrev_b32_e32 v2, 8, v3
	v_lshl_add_u32 v1, v1, 10, 0x2000
	v_lshlrev_b32_e32 v0, 23, v0
	v_and_or_b32 v1, 0x8000, v2, v1
	v_lshl_or_b32 v98, v1, 16, v0
.LBB277_112:                            ;   in Loop: Header=BB277_15 Depth=1
	s_or_b32 exec_lo, exec_lo, s22
.LBB277_113:                            ;   in Loop: Header=BB277_15 Depth=1
	s_or_b32 exec_lo, exec_lo, s21
.LBB277_114:                            ;   in Loop: Header=BB277_15 Depth=1
	s_or_b32 exec_lo, exec_lo, s20
	v_mov_b32_e32 v3, v28
	v_cmp_ne_u16_sdwa s5, v28, v4 src0_sel:BYTE_0 src1_sel:DWORD
	s_and_saveexec_b32 s20, s5
	s_cbranch_execz .LBB277_122
; %bb.115:                              ;   in Loop: Header=BB277_15 Depth=1
	v_cmp_ne_u16_sdwa s5, v28, v54 src0_sel:BYTE_0 src1_sel:DWORD
	v_mov_b32_e32 v97, 0x8000
	s_and_saveexec_b32 s21, s5
	s_cbranch_execz .LBB277_121
; %bb.116:                              ;   in Loop: Header=BB277_15 Depth=1
	v_and_b32_e32 v2, 0x7f, v28
	v_mov_b32_e32 v97, 0x7c01
	s_mov_b32 s22, exec_lo
	v_cmpx_ne_u32_e32 0x7f, v2
	s_cbranch_execz .LBB277_120
; %bb.117:                              ;   in Loop: Header=BB277_15 Depth=1
	v_and_b32_e32 v0, 7, v28
	v_lshrrev_b32_e32 v1, 3, v2
	s_mov_b32 s23, exec_lo
	v_cmpx_gt_u32_e32 8, v2
; %bb.118:                              ;   in Loop: Header=BB277_15 Depth=1
	v_ffbh_u32_e32 v0, v0
	v_min_u32_e32 v2, 32, v0
	v_subrev_nc_u32_e32 v0, 28, v2
	v_lshlrev_b64 v[0:1], v0, v[3:4]
	v_sub_nc_u32_e32 v1, 29, v2
	v_and_b32_e32 v0, 7, v0
; %bb.119:                              ;   in Loop: Header=BB277_15 Depth=1
	s_or_b32 exec_lo, exec_lo, s23
	v_lshlrev_b32_e32 v2, 8, v28
	v_lshl_add_u32 v1, v1, 10, 0x2000
	v_lshlrev_b32_e32 v0, 7, v0
	v_and_b32_e32 v2, 0x8000, v2
	v_and_b32_e32 v1, 0xfc00, v1
	v_or3_b32 v97, v2, v1, v0
.LBB277_120:                            ;   in Loop: Header=BB277_15 Depth=1
	s_or_b32 exec_lo, exec_lo, s22
.LBB277_121:                            ;   in Loop: Header=BB277_15 Depth=1
	s_or_b32 exec_lo, exec_lo, s21
.LBB277_122:                            ;   in Loop: Header=BB277_15 Depth=1
	s_or_b32 exec_lo, exec_lo, s20
	v_lshrrev_b16 v3, 8, v3
	v_mov_b32_e32 v99, 0
	v_mov_b32_e32 v100, 0
	s_mov_b32 s20, exec_lo
	v_cmpx_ne_u16_e32 0, v3
	s_cbranch_execz .LBB277_130
; %bb.123:                              ;   in Loop: Header=BB277_15 Depth=1
	v_bfrev_b32_e32 v100, 1
	s_mov_b32 s21, exec_lo
	v_cmpx_ne_u16_e32 0x80, v3
	s_cbranch_execz .LBB277_129
; %bb.124:                              ;   in Loop: Header=BB277_15 Depth=1
	v_mov_b32_e32 v0, 0x7f
	v_mov_b32_e32 v100, 0x7c010000
	s_mov_b32 s22, exec_lo
	v_and_b32_sdwa v2, v3, v0 dst_sel:DWORD dst_unused:UNUSED_PAD src0_sel:WORD_0 src1_sel:DWORD
	v_cmpx_ne_u32_e32 0x7f, v2
	s_cbranch_execz .LBB277_128
; %bb.125:                              ;   in Loop: Header=BB277_15 Depth=1
	v_mov_b32_e32 v0, 7
	v_lshrrev_b32_e32 v1, 3, v2
	s_mov_b32 s23, exec_lo
	v_and_b32_sdwa v0, v3, v0 dst_sel:DWORD dst_unused:UNUSED_PAD src0_sel:WORD_0 src1_sel:DWORD
	v_cmpx_gt_u32_e32 8, v2
; %bb.126:                              ;   in Loop: Header=BB277_15 Depth=1
	v_ffbh_u32_e32 v0, v0
	v_min_u32_e32 v2, 32, v0
	v_subrev_nc_u32_e32 v0, 28, v2
	v_lshlrev_b64 v[0:1], v0, v[3:4]
	v_sub_nc_u32_e32 v1, 29, v2
	v_and_b32_e32 v0, 7, v0
; %bb.127:                              ;   in Loop: Header=BB277_15 Depth=1
	s_or_b32 exec_lo, exec_lo, s23
	v_mov_b32_e32 v2, 8
	v_lshl_add_u32 v1, v1, 10, 0x2000
	v_lshlrev_b32_e32 v0, 23, v0
	v_lshlrev_b32_sdwa v2, v2, v3 dst_sel:DWORD dst_unused:UNUSED_PAD src0_sel:DWORD src1_sel:WORD_0
	v_and_or_b32 v1, 0x8000, v2, v1
	v_lshl_or_b32 v100, v1, 16, v0
.LBB277_128:                            ;   in Loop: Header=BB277_15 Depth=1
	s_or_b32 exec_lo, exec_lo, s22
.LBB277_129:                            ;   in Loop: Header=BB277_15 Depth=1
	s_or_b32 exec_lo, exec_lo, s21
.LBB277_130:                            ;   in Loop: Header=BB277_15 Depth=1
	s_or_b32 exec_lo, exec_lo, s20
	v_lshrrev_b32_e32 v3, 16, v28
	v_cmp_ne_u16_sdwa s5, v3, v4 src0_sel:BYTE_0 src1_sel:DWORD
	s_and_saveexec_b32 s20, s5
	s_cbranch_execz .LBB277_138
; %bb.131:                              ;   in Loop: Header=BB277_15 Depth=1
	v_cmp_ne_u16_sdwa s5, v3, v54 src0_sel:BYTE_0 src1_sel:DWORD
	v_mov_b32_e32 v99, 0x8000
	s_and_saveexec_b32 s21, s5
	s_cbranch_execz .LBB277_137
; %bb.132:                              ;   in Loop: Header=BB277_15 Depth=1
	v_bfe_u32 v2, v28, 16, 7
	v_mov_b32_e32 v99, 0x7c01
	s_mov_b32 s22, exec_lo
	v_cmpx_ne_u32_e32 0x7f, v2
	s_cbranch_execz .LBB277_136
; %bb.133:                              ;   in Loop: Header=BB277_15 Depth=1
	v_and_b32_e32 v0, 7, v3
	v_lshrrev_b32_e32 v1, 3, v2
	s_mov_b32 s23, exec_lo
	v_cmpx_gt_u32_e32 8, v2
; %bb.134:                              ;   in Loop: Header=BB277_15 Depth=1
	v_ffbh_u32_e32 v0, v0
	v_min_u32_e32 v2, 32, v0
	v_subrev_nc_u32_e32 v0, 28, v2
	v_lshlrev_b64 v[0:1], v0, v[3:4]
	v_sub_nc_u32_e32 v1, 29, v2
	v_and_b32_e32 v0, 7, v0
; %bb.135:                              ;   in Loop: Header=BB277_15 Depth=1
	s_or_b32 exec_lo, exec_lo, s23
	v_lshlrev_b32_e32 v2, 8, v3
	v_lshl_add_u32 v1, v1, 10, 0x2000
	v_lshlrev_b32_e32 v0, 7, v0
	v_and_b32_e32 v2, 0x8000, v2
	v_and_b32_e32 v1, 0xfc00, v1
	v_or3_b32 v99, v2, v1, v0
.LBB277_136:                            ;   in Loop: Header=BB277_15 Depth=1
	s_or_b32 exec_lo, exec_lo, s22
.LBB277_137:                            ;   in Loop: Header=BB277_15 Depth=1
	s_or_b32 exec_lo, exec_lo, s21
.LBB277_138:                            ;   in Loop: Header=BB277_15 Depth=1
	s_or_b32 exec_lo, exec_lo, s20
	v_mov_b32_e32 v102, 0
	v_mov_b32_e32 v101, 0
	s_mov_b32 s20, exec_lo
	v_cmpx_lt_u64_e64 s[12:13], v[27:28]
	s_cbranch_execz .LBB277_146
; %bb.139:                              ;   in Loop: Header=BB277_15 Depth=1
	v_lshrrev_b32_e32 v3, 24, v28
	v_bfrev_b32_e32 v101, 1
	s_mov_b32 s21, exec_lo
	v_cmpx_ne_u32_e32 0x80, v3
	s_cbranch_execz .LBB277_145
; %bb.140:                              ;   in Loop: Header=BB277_15 Depth=1
	v_and_b32_e32 v2, 0x7f, v3
	v_mov_b32_e32 v101, 0x7c010000
	s_mov_b32 s22, exec_lo
	v_cmpx_ne_u32_e32 0x7f, v2
	s_cbranch_execz .LBB277_144
; %bb.141:                              ;   in Loop: Header=BB277_15 Depth=1
	v_and_b32_e32 v0, 7, v3
	v_lshrrev_b32_e32 v1, 3, v2
	s_mov_b32 s23, exec_lo
	v_cmpx_gt_u32_e32 8, v2
; %bb.142:                              ;   in Loop: Header=BB277_15 Depth=1
	v_ffbh_u32_e32 v0, v0
	v_min_u32_e32 v2, 32, v0
	v_subrev_nc_u32_e32 v0, 28, v2
	v_lshlrev_b64 v[0:1], v0, v[3:4]
	v_sub_nc_u32_e32 v1, 29, v2
	v_and_b32_e32 v0, 7, v0
; %bb.143:                              ;   in Loop: Header=BB277_15 Depth=1
	s_or_b32 exec_lo, exec_lo, s23
	v_lshlrev_b32_e32 v2, 8, v3
	v_lshl_add_u32 v1, v1, 10, 0x2000
	v_lshlrev_b32_e32 v0, 23, v0
	v_and_or_b32 v1, 0x8000, v2, v1
	v_lshl_or_b32 v101, v1, 16, v0
.LBB277_144:                            ;   in Loop: Header=BB277_15 Depth=1
	s_or_b32 exec_lo, exec_lo, s22
.LBB277_145:                            ;   in Loop: Header=BB277_15 Depth=1
	s_or_b32 exec_lo, exec_lo, s21
.LBB277_146:                            ;   in Loop: Header=BB277_15 Depth=1
	s_or_b32 exec_lo, exec_lo, s20
	flat_load_dwordx2 v[27:28], v[24:25] offset:512
	s_waitcnt vmcnt(0) lgkmcnt(0)
	v_cmp_ne_u16_sdwa s5, v27, v4 src0_sel:BYTE_0 src1_sel:DWORD
	s_and_saveexec_b32 s20, s5
	s_cbranch_execz .LBB277_154
; %bb.147:                              ;   in Loop: Header=BB277_15 Depth=1
	v_cmp_ne_u16_sdwa s5, v27, v54 src0_sel:BYTE_0 src1_sel:DWORD
	v_mov_b32_e32 v102, 0x8000
	s_and_saveexec_b32 s21, s5
	s_cbranch_execz .LBB277_153
; %bb.148:                              ;   in Loop: Header=BB277_15 Depth=1
	v_and_b32_e32 v2, 0x7f, v27
	v_mov_b32_e32 v102, 0x7c01
	s_mov_b32 s22, exec_lo
	v_cmpx_ne_u32_e32 0x7f, v2
	s_cbranch_execz .LBB277_152
; %bb.149:                              ;   in Loop: Header=BB277_15 Depth=1
	v_and_b32_e32 v0, 7, v27
	v_lshrrev_b32_e32 v1, 3, v2
	s_mov_b32 s23, exec_lo
	v_cmpx_gt_u32_e32 8, v2
; %bb.150:                              ;   in Loop: Header=BB277_15 Depth=1
	v_ffbh_u32_e32 v0, v0
	v_min_u32_e32 v2, 32, v0
	v_subrev_nc_u32_e32 v0, 28, v2
	v_lshlrev_b64 v[0:1], v0, v[27:28]
	v_sub_nc_u32_e32 v1, 29, v2
	v_and_b32_e32 v0, 7, v0
; %bb.151:                              ;   in Loop: Header=BB277_15 Depth=1
	s_or_b32 exec_lo, exec_lo, s23
	v_lshlrev_b32_e32 v2, 8, v27
	v_lshl_add_u32 v1, v1, 10, 0x2000
	v_lshlrev_b32_e32 v0, 7, v0
	v_and_b32_e32 v2, 0x8000, v2
	v_and_b32_e32 v1, 0xfc00, v1
	v_or3_b32 v102, v2, v1, v0
.LBB277_152:                            ;   in Loop: Header=BB277_15 Depth=1
	s_or_b32 exec_lo, exec_lo, s22
.LBB277_153:                            ;   in Loop: Header=BB277_15 Depth=1
	s_or_b32 exec_lo, exec_lo, s21
.LBB277_154:                            ;   in Loop: Header=BB277_15 Depth=1
	s_or_b32 exec_lo, exec_lo, s20
	v_lshrrev_b16 v3, 8, v27
	v_mov_b32_e32 v112, 0
	v_mov_b32_e32 v103, 0
	s_mov_b32 s20, exec_lo
	v_cmpx_ne_u16_e32 0, v3
	s_cbranch_execz .LBB277_162
; %bb.155:                              ;   in Loop: Header=BB277_15 Depth=1
	v_bfrev_b32_e32 v103, 1
	s_mov_b32 s21, exec_lo
	v_cmpx_ne_u16_e32 0x80, v3
	s_cbranch_execz .LBB277_161
; %bb.156:                              ;   in Loop: Header=BB277_15 Depth=1
	v_mov_b32_e32 v0, 0x7f
	v_mov_b32_e32 v103, 0x7c010000
	s_mov_b32 s22, exec_lo
	v_and_b32_sdwa v2, v3, v0 dst_sel:DWORD dst_unused:UNUSED_PAD src0_sel:WORD_0 src1_sel:DWORD
	v_cmpx_ne_u32_e32 0x7f, v2
	s_cbranch_execz .LBB277_160
; %bb.157:                              ;   in Loop: Header=BB277_15 Depth=1
	v_mov_b32_e32 v0, 7
	v_lshrrev_b32_e32 v1, 3, v2
	s_mov_b32 s23, exec_lo
	v_and_b32_sdwa v0, v3, v0 dst_sel:DWORD dst_unused:UNUSED_PAD src0_sel:WORD_0 src1_sel:DWORD
	v_cmpx_gt_u32_e32 8, v2
; %bb.158:                              ;   in Loop: Header=BB277_15 Depth=1
	v_ffbh_u32_e32 v0, v0
	v_min_u32_e32 v2, 32, v0
	v_subrev_nc_u32_e32 v0, 28, v2
	v_lshlrev_b64 v[0:1], v0, v[3:4]
	v_sub_nc_u32_e32 v1, 29, v2
	v_and_b32_e32 v0, 7, v0
; %bb.159:                              ;   in Loop: Header=BB277_15 Depth=1
	s_or_b32 exec_lo, exec_lo, s23
	v_mov_b32_e32 v2, 8
	v_lshl_add_u32 v1, v1, 10, 0x2000
	v_lshlrev_b32_e32 v0, 23, v0
	v_lshlrev_b32_sdwa v2, v2, v3 dst_sel:DWORD dst_unused:UNUSED_PAD src0_sel:DWORD src1_sel:WORD_0
	v_and_or_b32 v1, 0x8000, v2, v1
	v_lshl_or_b32 v103, v1, 16, v0
.LBB277_160:                            ;   in Loop: Header=BB277_15 Depth=1
	s_or_b32 exec_lo, exec_lo, s22
.LBB277_161:                            ;   in Loop: Header=BB277_15 Depth=1
	s_or_b32 exec_lo, exec_lo, s21
.LBB277_162:                            ;   in Loop: Header=BB277_15 Depth=1
	s_or_b32 exec_lo, exec_lo, s20
	v_lshrrev_b32_e32 v3, 16, v27
	v_cmp_ne_u16_sdwa s5, v3, v4 src0_sel:BYTE_0 src1_sel:DWORD
	s_and_saveexec_b32 s20, s5
	s_cbranch_execz .LBB277_170
; %bb.163:                              ;   in Loop: Header=BB277_15 Depth=1
	v_cmp_ne_u16_sdwa s5, v3, v54 src0_sel:BYTE_0 src1_sel:DWORD
	v_mov_b32_e32 v112, 0x8000
	s_and_saveexec_b32 s21, s5
	s_cbranch_execz .LBB277_169
; %bb.164:                              ;   in Loop: Header=BB277_15 Depth=1
	v_bfe_u32 v2, v27, 16, 7
	v_mov_b32_e32 v112, 0x7c01
	s_mov_b32 s22, exec_lo
	v_cmpx_ne_u32_e32 0x7f, v2
	s_cbranch_execz .LBB277_168
; %bb.165:                              ;   in Loop: Header=BB277_15 Depth=1
	v_and_b32_e32 v0, 7, v3
	v_lshrrev_b32_e32 v1, 3, v2
	s_mov_b32 s23, exec_lo
	v_cmpx_gt_u32_e32 8, v2
; %bb.166:                              ;   in Loop: Header=BB277_15 Depth=1
	v_ffbh_u32_e32 v0, v0
	v_min_u32_e32 v2, 32, v0
	v_subrev_nc_u32_e32 v0, 28, v2
	v_lshlrev_b64 v[0:1], v0, v[3:4]
	v_sub_nc_u32_e32 v1, 29, v2
	v_and_b32_e32 v0, 7, v0
; %bb.167:                              ;   in Loop: Header=BB277_15 Depth=1
	s_or_b32 exec_lo, exec_lo, s23
	v_lshlrev_b32_e32 v2, 8, v3
	v_lshl_add_u32 v1, v1, 10, 0x2000
	v_lshlrev_b32_e32 v0, 7, v0
	v_and_b32_e32 v2, 0x8000, v2
	v_and_b32_e32 v1, 0xfc00, v1
	v_or3_b32 v112, v2, v1, v0
.LBB277_168:                            ;   in Loop: Header=BB277_15 Depth=1
	s_or_b32 exec_lo, exec_lo, s22
.LBB277_169:                            ;   in Loop: Header=BB277_15 Depth=1
	s_or_b32 exec_lo, exec_lo, s21
.LBB277_170:                            ;   in Loop: Header=BB277_15 Depth=1
	s_or_b32 exec_lo, exec_lo, s20
	v_mov_b32_e32 v113, 0
	v_mov_b32_e32 v114, 0
	s_mov_b32 s20, exec_lo
	v_cmpx_lt_u32_e32 0xffffff, v27
	s_cbranch_execz .LBB277_178
; %bb.171:                              ;   in Loop: Header=BB277_15 Depth=1
	v_lshrrev_b32_e32 v3, 24, v27
	v_bfrev_b32_e32 v114, 1
	s_mov_b32 s21, exec_lo
	v_cmpx_ne_u32_e32 0x80, v3
	s_cbranch_execz .LBB277_177
; %bb.172:                              ;   in Loop: Header=BB277_15 Depth=1
	v_and_b32_e32 v2, 0x7f, v3
	v_mov_b32_e32 v114, 0x7c010000
	s_mov_b32 s22, exec_lo
	v_cmpx_ne_u32_e32 0x7f, v2
	s_cbranch_execz .LBB277_176
; %bb.173:                              ;   in Loop: Header=BB277_15 Depth=1
	v_and_b32_e32 v0, 7, v3
	v_lshrrev_b32_e32 v1, 3, v2
	s_mov_b32 s23, exec_lo
	v_cmpx_gt_u32_e32 8, v2
; %bb.174:                              ;   in Loop: Header=BB277_15 Depth=1
	v_ffbh_u32_e32 v0, v0
	v_min_u32_e32 v2, 32, v0
	v_subrev_nc_u32_e32 v0, 28, v2
	v_lshlrev_b64 v[0:1], v0, v[3:4]
	v_sub_nc_u32_e32 v1, 29, v2
	v_and_b32_e32 v0, 7, v0
; %bb.175:                              ;   in Loop: Header=BB277_15 Depth=1
	s_or_b32 exec_lo, exec_lo, s23
	v_lshlrev_b32_e32 v2, 8, v3
	v_lshl_add_u32 v1, v1, 10, 0x2000
	v_lshlrev_b32_e32 v0, 23, v0
	v_and_or_b32 v1, 0x8000, v2, v1
	v_lshl_or_b32 v114, v1, 16, v0
.LBB277_176:                            ;   in Loop: Header=BB277_15 Depth=1
	s_or_b32 exec_lo, exec_lo, s22
.LBB277_177:                            ;   in Loop: Header=BB277_15 Depth=1
	s_or_b32 exec_lo, exec_lo, s21
.LBB277_178:                            ;   in Loop: Header=BB277_15 Depth=1
	s_or_b32 exec_lo, exec_lo, s20
	v_mov_b32_e32 v3, v28
	v_cmp_ne_u16_sdwa s5, v28, v4 src0_sel:BYTE_0 src1_sel:DWORD
	s_and_saveexec_b32 s20, s5
	s_cbranch_execz .LBB277_186
; %bb.179:                              ;   in Loop: Header=BB277_15 Depth=1
	v_cmp_ne_u16_sdwa s5, v28, v54 src0_sel:BYTE_0 src1_sel:DWORD
	v_mov_b32_e32 v113, 0x8000
	s_and_saveexec_b32 s21, s5
	s_cbranch_execz .LBB277_185
; %bb.180:                              ;   in Loop: Header=BB277_15 Depth=1
	v_and_b32_e32 v2, 0x7f, v28
	v_mov_b32_e32 v113, 0x7c01
	s_mov_b32 s22, exec_lo
	v_cmpx_ne_u32_e32 0x7f, v2
	s_cbranch_execz .LBB277_184
; %bb.181:                              ;   in Loop: Header=BB277_15 Depth=1
	v_and_b32_e32 v0, 7, v28
	v_lshrrev_b32_e32 v1, 3, v2
	s_mov_b32 s23, exec_lo
	v_cmpx_gt_u32_e32 8, v2
; %bb.182:                              ;   in Loop: Header=BB277_15 Depth=1
	v_ffbh_u32_e32 v0, v0
	v_min_u32_e32 v2, 32, v0
	v_subrev_nc_u32_e32 v0, 28, v2
	v_lshlrev_b64 v[0:1], v0, v[3:4]
	v_sub_nc_u32_e32 v1, 29, v2
	v_and_b32_e32 v0, 7, v0
; %bb.183:                              ;   in Loop: Header=BB277_15 Depth=1
	s_or_b32 exec_lo, exec_lo, s23
	v_lshlrev_b32_e32 v2, 8, v28
	v_lshl_add_u32 v1, v1, 10, 0x2000
	v_lshlrev_b32_e32 v0, 7, v0
	v_and_b32_e32 v2, 0x8000, v2
	v_and_b32_e32 v1, 0xfc00, v1
	v_or3_b32 v113, v2, v1, v0
.LBB277_184:                            ;   in Loop: Header=BB277_15 Depth=1
	s_or_b32 exec_lo, exec_lo, s22
.LBB277_185:                            ;   in Loop: Header=BB277_15 Depth=1
	s_or_b32 exec_lo, exec_lo, s21
.LBB277_186:                            ;   in Loop: Header=BB277_15 Depth=1
	s_or_b32 exec_lo, exec_lo, s20
	v_lshrrev_b16 v3, 8, v3
	v_mov_b32_e32 v115, 0
	v_mov_b32_e32 v116, 0
	s_mov_b32 s20, exec_lo
	v_cmpx_ne_u16_e32 0, v3
	s_cbranch_execz .LBB277_194
; %bb.187:                              ;   in Loop: Header=BB277_15 Depth=1
	v_bfrev_b32_e32 v116, 1
	s_mov_b32 s21, exec_lo
	v_cmpx_ne_u16_e32 0x80, v3
	s_cbranch_execz .LBB277_193
; %bb.188:                              ;   in Loop: Header=BB277_15 Depth=1
	v_mov_b32_e32 v0, 0x7f
	v_mov_b32_e32 v116, 0x7c010000
	s_mov_b32 s22, exec_lo
	v_and_b32_sdwa v2, v3, v0 dst_sel:DWORD dst_unused:UNUSED_PAD src0_sel:WORD_0 src1_sel:DWORD
	v_cmpx_ne_u32_e32 0x7f, v2
	s_cbranch_execz .LBB277_192
; %bb.189:                              ;   in Loop: Header=BB277_15 Depth=1
	v_mov_b32_e32 v0, 7
	v_lshrrev_b32_e32 v1, 3, v2
	s_mov_b32 s23, exec_lo
	v_and_b32_sdwa v0, v3, v0 dst_sel:DWORD dst_unused:UNUSED_PAD src0_sel:WORD_0 src1_sel:DWORD
	v_cmpx_gt_u32_e32 8, v2
; %bb.190:                              ;   in Loop: Header=BB277_15 Depth=1
	v_ffbh_u32_e32 v0, v0
	v_min_u32_e32 v2, 32, v0
	v_subrev_nc_u32_e32 v0, 28, v2
	v_lshlrev_b64 v[0:1], v0, v[3:4]
	v_sub_nc_u32_e32 v1, 29, v2
	v_and_b32_e32 v0, 7, v0
; %bb.191:                              ;   in Loop: Header=BB277_15 Depth=1
	s_or_b32 exec_lo, exec_lo, s23
	v_mov_b32_e32 v2, 8
	v_lshl_add_u32 v1, v1, 10, 0x2000
	v_lshlrev_b32_e32 v0, 23, v0
	v_lshlrev_b32_sdwa v2, v2, v3 dst_sel:DWORD dst_unused:UNUSED_PAD src0_sel:DWORD src1_sel:WORD_0
	v_and_or_b32 v1, 0x8000, v2, v1
	v_lshl_or_b32 v116, v1, 16, v0
.LBB277_192:                            ;   in Loop: Header=BB277_15 Depth=1
	s_or_b32 exec_lo, exec_lo, s22
.LBB277_193:                            ;   in Loop: Header=BB277_15 Depth=1
	s_or_b32 exec_lo, exec_lo, s21
.LBB277_194:                            ;   in Loop: Header=BB277_15 Depth=1
	s_or_b32 exec_lo, exec_lo, s20
	v_lshrrev_b32_e32 v3, 16, v28
	v_cmp_ne_u16_sdwa s5, v3, v4 src0_sel:BYTE_0 src1_sel:DWORD
	s_and_saveexec_b32 s20, s5
	s_cbranch_execz .LBB277_202
; %bb.195:                              ;   in Loop: Header=BB277_15 Depth=1
	v_cmp_ne_u16_sdwa s5, v3, v54 src0_sel:BYTE_0 src1_sel:DWORD
	v_mov_b32_e32 v115, 0x8000
	s_and_saveexec_b32 s21, s5
	s_cbranch_execz .LBB277_201
; %bb.196:                              ;   in Loop: Header=BB277_15 Depth=1
	v_bfe_u32 v2, v28, 16, 7
	v_mov_b32_e32 v115, 0x7c01
	s_mov_b32 s22, exec_lo
	v_cmpx_ne_u32_e32 0x7f, v2
	s_cbranch_execz .LBB277_200
; %bb.197:                              ;   in Loop: Header=BB277_15 Depth=1
	v_and_b32_e32 v0, 7, v3
	v_lshrrev_b32_e32 v1, 3, v2
	s_mov_b32 s23, exec_lo
	v_cmpx_gt_u32_e32 8, v2
; %bb.198:                              ;   in Loop: Header=BB277_15 Depth=1
	v_ffbh_u32_e32 v0, v0
	v_min_u32_e32 v2, 32, v0
	v_subrev_nc_u32_e32 v0, 28, v2
	v_lshlrev_b64 v[0:1], v0, v[3:4]
	v_sub_nc_u32_e32 v1, 29, v2
	v_and_b32_e32 v0, 7, v0
; %bb.199:                              ;   in Loop: Header=BB277_15 Depth=1
	s_or_b32 exec_lo, exec_lo, s23
	v_lshlrev_b32_e32 v2, 8, v3
	v_lshl_add_u32 v1, v1, 10, 0x2000
	v_lshlrev_b32_e32 v0, 7, v0
	v_and_b32_e32 v2, 0x8000, v2
	v_and_b32_e32 v1, 0xfc00, v1
	v_or3_b32 v115, v2, v1, v0
.LBB277_200:                            ;   in Loop: Header=BB277_15 Depth=1
	s_or_b32 exec_lo, exec_lo, s22
.LBB277_201:                            ;   in Loop: Header=BB277_15 Depth=1
	s_or_b32 exec_lo, exec_lo, s21
.LBB277_202:                            ;   in Loop: Header=BB277_15 Depth=1
	s_or_b32 exec_lo, exec_lo, s20
	v_mov_b32_e32 v118, 0
	v_mov_b32_e32 v117, 0
	s_mov_b32 s20, exec_lo
	v_cmpx_lt_u64_e64 s[12:13], v[27:28]
	s_cbranch_execz .LBB277_210
; %bb.203:                              ;   in Loop: Header=BB277_15 Depth=1
	v_lshrrev_b32_e32 v3, 24, v28
	v_bfrev_b32_e32 v117, 1
	s_mov_b32 s21, exec_lo
	v_cmpx_ne_u32_e32 0x80, v3
	s_cbranch_execz .LBB277_209
; %bb.204:                              ;   in Loop: Header=BB277_15 Depth=1
	v_and_b32_e32 v2, 0x7f, v3
	v_mov_b32_e32 v117, 0x7c010000
	s_mov_b32 s22, exec_lo
	v_cmpx_ne_u32_e32 0x7f, v2
	s_cbranch_execz .LBB277_208
; %bb.205:                              ;   in Loop: Header=BB277_15 Depth=1
	v_and_b32_e32 v0, 7, v3
	v_lshrrev_b32_e32 v1, 3, v2
	s_mov_b32 s23, exec_lo
	v_cmpx_gt_u32_e32 8, v2
; %bb.206:                              ;   in Loop: Header=BB277_15 Depth=1
	v_ffbh_u32_e32 v0, v0
	v_min_u32_e32 v2, 32, v0
	v_subrev_nc_u32_e32 v0, 28, v2
	v_lshlrev_b64 v[0:1], v0, v[3:4]
	v_sub_nc_u32_e32 v1, 29, v2
	v_and_b32_e32 v0, 7, v0
; %bb.207:                              ;   in Loop: Header=BB277_15 Depth=1
	s_or_b32 exec_lo, exec_lo, s23
	v_lshlrev_b32_e32 v2, 8, v3
	v_lshl_add_u32 v1, v1, 10, 0x2000
	v_lshlrev_b32_e32 v0, 23, v0
	v_and_or_b32 v1, 0x8000, v2, v1
	v_lshl_or_b32 v117, v1, 16, v0
.LBB277_208:                            ;   in Loop: Header=BB277_15 Depth=1
	s_or_b32 exec_lo, exec_lo, s22
.LBB277_209:                            ;   in Loop: Header=BB277_15 Depth=1
	s_or_b32 exec_lo, exec_lo, s21
.LBB277_210:                            ;   in Loop: Header=BB277_15 Depth=1
	s_or_b32 exec_lo, exec_lo, s20
	flat_load_dwordx2 v[27:28], v[24:25] offset:520
	s_waitcnt vmcnt(0) lgkmcnt(0)
	v_cmp_ne_u16_sdwa s5, v27, v4 src0_sel:BYTE_0 src1_sel:DWORD
	s_and_saveexec_b32 s20, s5
	s_cbranch_execz .LBB277_218
; %bb.211:                              ;   in Loop: Header=BB277_15 Depth=1
	v_cmp_ne_u16_sdwa s5, v27, v54 src0_sel:BYTE_0 src1_sel:DWORD
	v_mov_b32_e32 v118, 0x8000
	s_and_saveexec_b32 s21, s5
	s_cbranch_execz .LBB277_217
; %bb.212:                              ;   in Loop: Header=BB277_15 Depth=1
	v_and_b32_e32 v2, 0x7f, v27
	v_mov_b32_e32 v118, 0x7c01
	s_mov_b32 s22, exec_lo
	v_cmpx_ne_u32_e32 0x7f, v2
	s_cbranch_execz .LBB277_216
; %bb.213:                              ;   in Loop: Header=BB277_15 Depth=1
	v_and_b32_e32 v0, 7, v27
	v_lshrrev_b32_e32 v1, 3, v2
	s_mov_b32 s23, exec_lo
	v_cmpx_gt_u32_e32 8, v2
; %bb.214:                              ;   in Loop: Header=BB277_15 Depth=1
	v_ffbh_u32_e32 v0, v0
	v_min_u32_e32 v2, 32, v0
	v_subrev_nc_u32_e32 v0, 28, v2
	v_lshlrev_b64 v[0:1], v0, v[27:28]
	v_sub_nc_u32_e32 v1, 29, v2
	v_and_b32_e32 v0, 7, v0
; %bb.215:                              ;   in Loop: Header=BB277_15 Depth=1
	s_or_b32 exec_lo, exec_lo, s23
	v_lshlrev_b32_e32 v2, 8, v27
	v_lshl_add_u32 v1, v1, 10, 0x2000
	v_lshlrev_b32_e32 v0, 7, v0
	v_and_b32_e32 v2, 0x8000, v2
	v_and_b32_e32 v1, 0xfc00, v1
	v_or3_b32 v118, v2, v1, v0
.LBB277_216:                            ;   in Loop: Header=BB277_15 Depth=1
	s_or_b32 exec_lo, exec_lo, s22
.LBB277_217:                            ;   in Loop: Header=BB277_15 Depth=1
	s_or_b32 exec_lo, exec_lo, s21
.LBB277_218:                            ;   in Loop: Header=BB277_15 Depth=1
	s_or_b32 exec_lo, exec_lo, s20
	v_lshrrev_b16 v3, 8, v27
	v_mov_b32_e32 v40, 0
	v_mov_b32_e32 v119, 0
	s_mov_b32 s20, exec_lo
	v_cmpx_ne_u16_e32 0, v3
	s_cbranch_execz .LBB277_226
; %bb.219:                              ;   in Loop: Header=BB277_15 Depth=1
	v_bfrev_b32_e32 v119, 1
	s_mov_b32 s21, exec_lo
	v_cmpx_ne_u16_e32 0x80, v3
	s_cbranch_execz .LBB277_225
; %bb.220:                              ;   in Loop: Header=BB277_15 Depth=1
	v_mov_b32_e32 v0, 0x7f
	v_mov_b32_e32 v119, 0x7c010000
	s_mov_b32 s22, exec_lo
	v_and_b32_sdwa v2, v3, v0 dst_sel:DWORD dst_unused:UNUSED_PAD src0_sel:WORD_0 src1_sel:DWORD
	v_cmpx_ne_u32_e32 0x7f, v2
	s_cbranch_execz .LBB277_224
; %bb.221:                              ;   in Loop: Header=BB277_15 Depth=1
	v_mov_b32_e32 v0, 7
	v_lshrrev_b32_e32 v1, 3, v2
	s_mov_b32 s23, exec_lo
	v_and_b32_sdwa v0, v3, v0 dst_sel:DWORD dst_unused:UNUSED_PAD src0_sel:WORD_0 src1_sel:DWORD
	v_cmpx_gt_u32_e32 8, v2
; %bb.222:                              ;   in Loop: Header=BB277_15 Depth=1
	v_ffbh_u32_e32 v0, v0
	v_min_u32_e32 v2, 32, v0
	v_subrev_nc_u32_e32 v0, 28, v2
	v_lshlrev_b64 v[0:1], v0, v[3:4]
	v_sub_nc_u32_e32 v1, 29, v2
	v_and_b32_e32 v0, 7, v0
; %bb.223:                              ;   in Loop: Header=BB277_15 Depth=1
	s_or_b32 exec_lo, exec_lo, s23
	v_mov_b32_e32 v2, 8
	v_lshl_add_u32 v1, v1, 10, 0x2000
	v_lshlrev_b32_e32 v0, 23, v0
	v_lshlrev_b32_sdwa v2, v2, v3 dst_sel:DWORD dst_unused:UNUSED_PAD src0_sel:DWORD src1_sel:WORD_0
	v_and_or_b32 v1, 0x8000, v2, v1
	v_lshl_or_b32 v119, v1, 16, v0
.LBB277_224:                            ;   in Loop: Header=BB277_15 Depth=1
	s_or_b32 exec_lo, exec_lo, s22
.LBB277_225:                            ;   in Loop: Header=BB277_15 Depth=1
	s_or_b32 exec_lo, exec_lo, s21
.LBB277_226:                            ;   in Loop: Header=BB277_15 Depth=1
	s_or_b32 exec_lo, exec_lo, s20
	v_lshrrev_b32_e32 v3, 16, v27
	v_cmp_ne_u16_sdwa s5, v3, v4 src0_sel:BYTE_0 src1_sel:DWORD
	s_and_saveexec_b32 s20, s5
	s_cbranch_execz .LBB277_234
; %bb.227:                              ;   in Loop: Header=BB277_15 Depth=1
	v_cmp_ne_u16_sdwa s5, v3, v54 src0_sel:BYTE_0 src1_sel:DWORD
	v_mov_b32_e32 v40, 0x8000
	s_and_saveexec_b32 s21, s5
	s_cbranch_execz .LBB277_233
; %bb.228:                              ;   in Loop: Header=BB277_15 Depth=1
	v_bfe_u32 v2, v27, 16, 7
	v_mov_b32_e32 v40, 0x7c01
	s_mov_b32 s22, exec_lo
	v_cmpx_ne_u32_e32 0x7f, v2
	s_cbranch_execz .LBB277_232
; %bb.229:                              ;   in Loop: Header=BB277_15 Depth=1
	v_and_b32_e32 v0, 7, v3
	v_lshrrev_b32_e32 v1, 3, v2
	s_mov_b32 s23, exec_lo
	v_cmpx_gt_u32_e32 8, v2
; %bb.230:                              ;   in Loop: Header=BB277_15 Depth=1
	v_ffbh_u32_e32 v0, v0
	v_min_u32_e32 v2, 32, v0
	v_subrev_nc_u32_e32 v0, 28, v2
	v_lshlrev_b64 v[0:1], v0, v[3:4]
	v_sub_nc_u32_e32 v1, 29, v2
	v_and_b32_e32 v0, 7, v0
; %bb.231:                              ;   in Loop: Header=BB277_15 Depth=1
	s_or_b32 exec_lo, exec_lo, s23
	v_lshlrev_b32_e32 v2, 8, v3
	v_lshl_add_u32 v1, v1, 10, 0x2000
	v_lshlrev_b32_e32 v0, 7, v0
	v_and_b32_e32 v2, 0x8000, v2
	v_and_b32_e32 v1, 0xfc00, v1
	v_or3_b32 v40, v2, v1, v0
.LBB277_232:                            ;   in Loop: Header=BB277_15 Depth=1
	s_or_b32 exec_lo, exec_lo, s22
.LBB277_233:                            ;   in Loop: Header=BB277_15 Depth=1
	s_or_b32 exec_lo, exec_lo, s21
.LBB277_234:                            ;   in Loop: Header=BB277_15 Depth=1
	s_or_b32 exec_lo, exec_lo, s20
	v_mov_b32_e32 v41, 0
	v_mov_b32_e32 v42, 0
	s_mov_b32 s20, exec_lo
	v_cmpx_lt_u32_e32 0xffffff, v27
	s_cbranch_execz .LBB277_242
; %bb.235:                              ;   in Loop: Header=BB277_15 Depth=1
	v_lshrrev_b32_e32 v3, 24, v27
	v_bfrev_b32_e32 v42, 1
	s_mov_b32 s21, exec_lo
	v_cmpx_ne_u32_e32 0x80, v3
	s_cbranch_execz .LBB277_241
; %bb.236:                              ;   in Loop: Header=BB277_15 Depth=1
	v_and_b32_e32 v2, 0x7f, v3
	v_mov_b32_e32 v42, 0x7c010000
	s_mov_b32 s22, exec_lo
	v_cmpx_ne_u32_e32 0x7f, v2
	s_cbranch_execz .LBB277_240
; %bb.237:                              ;   in Loop: Header=BB277_15 Depth=1
	v_and_b32_e32 v0, 7, v3
	v_lshrrev_b32_e32 v1, 3, v2
	s_mov_b32 s23, exec_lo
	v_cmpx_gt_u32_e32 8, v2
; %bb.238:                              ;   in Loop: Header=BB277_15 Depth=1
	v_ffbh_u32_e32 v0, v0
	v_min_u32_e32 v2, 32, v0
	v_subrev_nc_u32_e32 v0, 28, v2
	v_lshlrev_b64 v[0:1], v0, v[3:4]
	v_sub_nc_u32_e32 v1, 29, v2
	v_and_b32_e32 v0, 7, v0
; %bb.239:                              ;   in Loop: Header=BB277_15 Depth=1
	s_or_b32 exec_lo, exec_lo, s23
	v_lshlrev_b32_e32 v2, 8, v3
	v_lshl_add_u32 v1, v1, 10, 0x2000
	v_lshlrev_b32_e32 v0, 23, v0
	v_and_or_b32 v1, 0x8000, v2, v1
	v_lshl_or_b32 v42, v1, 16, v0
.LBB277_240:                            ;   in Loop: Header=BB277_15 Depth=1
	s_or_b32 exec_lo, exec_lo, s22
.LBB277_241:                            ;   in Loop: Header=BB277_15 Depth=1
	s_or_b32 exec_lo, exec_lo, s21
.LBB277_242:                            ;   in Loop: Header=BB277_15 Depth=1
	s_or_b32 exec_lo, exec_lo, s20
	v_mov_b32_e32 v3, v28
	v_cmp_ne_u16_sdwa s5, v28, v4 src0_sel:BYTE_0 src1_sel:DWORD
	s_and_saveexec_b32 s20, s5
	s_cbranch_execz .LBB277_250
; %bb.243:                              ;   in Loop: Header=BB277_15 Depth=1
	v_cmp_ne_u16_sdwa s5, v28, v54 src0_sel:BYTE_0 src1_sel:DWORD
	v_mov_b32_e32 v41, 0x8000
	s_and_saveexec_b32 s21, s5
	s_cbranch_execz .LBB277_249
; %bb.244:                              ;   in Loop: Header=BB277_15 Depth=1
	v_and_b32_e32 v2, 0x7f, v28
	v_mov_b32_e32 v41, 0x7c01
	s_mov_b32 s22, exec_lo
	v_cmpx_ne_u32_e32 0x7f, v2
	s_cbranch_execz .LBB277_248
; %bb.245:                              ;   in Loop: Header=BB277_15 Depth=1
	v_and_b32_e32 v0, 7, v28
	v_lshrrev_b32_e32 v1, 3, v2
	s_mov_b32 s23, exec_lo
	v_cmpx_gt_u32_e32 8, v2
; %bb.246:                              ;   in Loop: Header=BB277_15 Depth=1
	v_ffbh_u32_e32 v0, v0
	v_min_u32_e32 v2, 32, v0
	v_subrev_nc_u32_e32 v0, 28, v2
	v_lshlrev_b64 v[0:1], v0, v[3:4]
	v_sub_nc_u32_e32 v1, 29, v2
	v_and_b32_e32 v0, 7, v0
; %bb.247:                              ;   in Loop: Header=BB277_15 Depth=1
	s_or_b32 exec_lo, exec_lo, s23
	v_lshlrev_b32_e32 v2, 8, v28
	v_lshl_add_u32 v1, v1, 10, 0x2000
	v_lshlrev_b32_e32 v0, 7, v0
	v_and_b32_e32 v2, 0x8000, v2
	v_and_b32_e32 v1, 0xfc00, v1
	v_or3_b32 v41, v2, v1, v0
.LBB277_248:                            ;   in Loop: Header=BB277_15 Depth=1
	s_or_b32 exec_lo, exec_lo, s22
.LBB277_249:                            ;   in Loop: Header=BB277_15 Depth=1
	s_or_b32 exec_lo, exec_lo, s21
.LBB277_250:                            ;   in Loop: Header=BB277_15 Depth=1
	s_or_b32 exec_lo, exec_lo, s20
	v_lshrrev_b16 v3, 8, v3
	v_mov_b32_e32 v43, 0
	v_mov_b32_e32 v44, 0
	s_mov_b32 s20, exec_lo
	v_cmpx_ne_u16_e32 0, v3
	s_cbranch_execz .LBB277_258
; %bb.251:                              ;   in Loop: Header=BB277_15 Depth=1
	v_bfrev_b32_e32 v44, 1
	s_mov_b32 s21, exec_lo
	v_cmpx_ne_u16_e32 0x80, v3
	s_cbranch_execz .LBB277_257
; %bb.252:                              ;   in Loop: Header=BB277_15 Depth=1
	v_mov_b32_e32 v0, 0x7f
	v_mov_b32_e32 v44, 0x7c010000
	s_mov_b32 s22, exec_lo
	v_and_b32_sdwa v2, v3, v0 dst_sel:DWORD dst_unused:UNUSED_PAD src0_sel:WORD_0 src1_sel:DWORD
	v_cmpx_ne_u32_e32 0x7f, v2
	s_cbranch_execz .LBB277_256
; %bb.253:                              ;   in Loop: Header=BB277_15 Depth=1
	v_mov_b32_e32 v0, 7
	v_lshrrev_b32_e32 v1, 3, v2
	s_mov_b32 s23, exec_lo
	v_and_b32_sdwa v0, v3, v0 dst_sel:DWORD dst_unused:UNUSED_PAD src0_sel:WORD_0 src1_sel:DWORD
	v_cmpx_gt_u32_e32 8, v2
; %bb.254:                              ;   in Loop: Header=BB277_15 Depth=1
	v_ffbh_u32_e32 v0, v0
	v_min_u32_e32 v2, 32, v0
	v_subrev_nc_u32_e32 v0, 28, v2
	v_lshlrev_b64 v[0:1], v0, v[3:4]
	v_sub_nc_u32_e32 v1, 29, v2
	v_and_b32_e32 v0, 7, v0
; %bb.255:                              ;   in Loop: Header=BB277_15 Depth=1
	s_or_b32 exec_lo, exec_lo, s23
	v_mov_b32_e32 v2, 8
	v_lshl_add_u32 v1, v1, 10, 0x2000
	v_lshlrev_b32_e32 v0, 23, v0
	v_lshlrev_b32_sdwa v2, v2, v3 dst_sel:DWORD dst_unused:UNUSED_PAD src0_sel:DWORD src1_sel:WORD_0
	v_and_or_b32 v1, 0x8000, v2, v1
	v_lshl_or_b32 v44, v1, 16, v0
.LBB277_256:                            ;   in Loop: Header=BB277_15 Depth=1
	s_or_b32 exec_lo, exec_lo, s22
.LBB277_257:                            ;   in Loop: Header=BB277_15 Depth=1
	s_or_b32 exec_lo, exec_lo, s21
.LBB277_258:                            ;   in Loop: Header=BB277_15 Depth=1
	s_or_b32 exec_lo, exec_lo, s20
	v_lshrrev_b32_e32 v3, 16, v28
	v_cmp_ne_u16_sdwa s5, v3, v4 src0_sel:BYTE_0 src1_sel:DWORD
	s_and_saveexec_b32 s20, s5
	s_cbranch_execz .LBB277_266
; %bb.259:                              ;   in Loop: Header=BB277_15 Depth=1
	v_cmp_ne_u16_sdwa s5, v3, v54 src0_sel:BYTE_0 src1_sel:DWORD
	v_mov_b32_e32 v43, 0x8000
	s_and_saveexec_b32 s21, s5
	s_cbranch_execz .LBB277_265
; %bb.260:                              ;   in Loop: Header=BB277_15 Depth=1
	v_bfe_u32 v2, v28, 16, 7
	v_mov_b32_e32 v43, 0x7c01
	s_mov_b32 s22, exec_lo
	v_cmpx_ne_u32_e32 0x7f, v2
	s_cbranch_execz .LBB277_264
; %bb.261:                              ;   in Loop: Header=BB277_15 Depth=1
	v_and_b32_e32 v0, 7, v3
	v_lshrrev_b32_e32 v1, 3, v2
	s_mov_b32 s23, exec_lo
	v_cmpx_gt_u32_e32 8, v2
; %bb.262:                              ;   in Loop: Header=BB277_15 Depth=1
	v_ffbh_u32_e32 v0, v0
	v_min_u32_e32 v2, 32, v0
	v_subrev_nc_u32_e32 v0, 28, v2
	v_lshlrev_b64 v[0:1], v0, v[3:4]
	v_sub_nc_u32_e32 v1, 29, v2
	v_and_b32_e32 v0, 7, v0
; %bb.263:                              ;   in Loop: Header=BB277_15 Depth=1
	s_or_b32 exec_lo, exec_lo, s23
	v_lshlrev_b32_e32 v2, 8, v3
	v_lshl_add_u32 v1, v1, 10, 0x2000
	v_lshlrev_b32_e32 v0, 7, v0
	v_and_b32_e32 v2, 0x8000, v2
	v_and_b32_e32 v1, 0xfc00, v1
	v_or3_b32 v43, v2, v1, v0
.LBB277_264:                            ;   in Loop: Header=BB277_15 Depth=1
	s_or_b32 exec_lo, exec_lo, s22
.LBB277_265:                            ;   in Loop: Header=BB277_15 Depth=1
	s_or_b32 exec_lo, exec_lo, s21
.LBB277_266:                            ;   in Loop: Header=BB277_15 Depth=1
	s_or_b32 exec_lo, exec_lo, s20
	v_mov_b32_e32 v46, 0
	v_mov_b32_e32 v45, 0
	s_mov_b32 s20, exec_lo
	v_cmpx_lt_u64_e64 s[12:13], v[27:28]
	s_cbranch_execz .LBB277_274
; %bb.267:                              ;   in Loop: Header=BB277_15 Depth=1
	v_lshrrev_b32_e32 v3, 24, v28
	v_bfrev_b32_e32 v45, 1
	s_mov_b32 s21, exec_lo
	v_cmpx_ne_u32_e32 0x80, v3
	s_cbranch_execz .LBB277_273
; %bb.268:                              ;   in Loop: Header=BB277_15 Depth=1
	v_and_b32_e32 v2, 0x7f, v3
	v_mov_b32_e32 v45, 0x7c010000
	s_mov_b32 s22, exec_lo
	v_cmpx_ne_u32_e32 0x7f, v2
	s_cbranch_execz .LBB277_272
; %bb.269:                              ;   in Loop: Header=BB277_15 Depth=1
	v_and_b32_e32 v0, 7, v3
	v_lshrrev_b32_e32 v1, 3, v2
	s_mov_b32 s23, exec_lo
	v_cmpx_gt_u32_e32 8, v2
; %bb.270:                              ;   in Loop: Header=BB277_15 Depth=1
	v_ffbh_u32_e32 v0, v0
	v_min_u32_e32 v2, 32, v0
	v_subrev_nc_u32_e32 v0, 28, v2
	v_lshlrev_b64 v[0:1], v0, v[3:4]
	v_sub_nc_u32_e32 v1, 29, v2
	v_and_b32_e32 v0, 7, v0
; %bb.271:                              ;   in Loop: Header=BB277_15 Depth=1
	s_or_b32 exec_lo, exec_lo, s23
	v_lshlrev_b32_e32 v2, 8, v3
	v_lshl_add_u32 v1, v1, 10, 0x2000
	v_lshlrev_b32_e32 v0, 23, v0
	v_and_or_b32 v1, 0x8000, v2, v1
	v_lshl_or_b32 v45, v1, 16, v0
.LBB277_272:                            ;   in Loop: Header=BB277_15 Depth=1
	s_or_b32 exec_lo, exec_lo, s22
.LBB277_273:                            ;   in Loop: Header=BB277_15 Depth=1
	s_or_b32 exec_lo, exec_lo, s21
.LBB277_274:                            ;   in Loop: Header=BB277_15 Depth=1
	s_or_b32 exec_lo, exec_lo, s20
	flat_load_dwordx2 v[27:28], v[24:25] offset:1024
	s_waitcnt vmcnt(0) lgkmcnt(0)
	v_cmp_ne_u16_sdwa s5, v27, v4 src0_sel:BYTE_0 src1_sel:DWORD
	s_and_saveexec_b32 s20, s5
	s_cbranch_execz .LBB277_282
; %bb.275:                              ;   in Loop: Header=BB277_15 Depth=1
	v_cmp_ne_u16_sdwa s5, v27, v54 src0_sel:BYTE_0 src1_sel:DWORD
	v_mov_b32_e32 v46, 0x8000
	s_and_saveexec_b32 s21, s5
	s_cbranch_execz .LBB277_281
; %bb.276:                              ;   in Loop: Header=BB277_15 Depth=1
	v_and_b32_e32 v2, 0x7f, v27
	v_mov_b32_e32 v46, 0x7c01
	s_mov_b32 s22, exec_lo
	v_cmpx_ne_u32_e32 0x7f, v2
	s_cbranch_execz .LBB277_280
; %bb.277:                              ;   in Loop: Header=BB277_15 Depth=1
	v_and_b32_e32 v0, 7, v27
	v_lshrrev_b32_e32 v1, 3, v2
	s_mov_b32 s23, exec_lo
	v_cmpx_gt_u32_e32 8, v2
; %bb.278:                              ;   in Loop: Header=BB277_15 Depth=1
	v_ffbh_u32_e32 v0, v0
	v_min_u32_e32 v2, 32, v0
	v_subrev_nc_u32_e32 v0, 28, v2
	v_lshlrev_b64 v[0:1], v0, v[27:28]
	v_sub_nc_u32_e32 v1, 29, v2
	v_and_b32_e32 v0, 7, v0
; %bb.279:                              ;   in Loop: Header=BB277_15 Depth=1
	s_or_b32 exec_lo, exec_lo, s23
	v_lshlrev_b32_e32 v2, 8, v27
	v_lshl_add_u32 v1, v1, 10, 0x2000
	v_lshlrev_b32_e32 v0, 7, v0
	v_and_b32_e32 v2, 0x8000, v2
	v_and_b32_e32 v1, 0xfc00, v1
	v_or3_b32 v46, v2, v1, v0
.LBB277_280:                            ;   in Loop: Header=BB277_15 Depth=1
	s_or_b32 exec_lo, exec_lo, s22
.LBB277_281:                            ;   in Loop: Header=BB277_15 Depth=1
	s_or_b32 exec_lo, exec_lo, s21
.LBB277_282:                            ;   in Loop: Header=BB277_15 Depth=1
	s_or_b32 exec_lo, exec_lo, s20
	v_lshrrev_b16 v3, 8, v27
	v_mov_b32_e32 v56, 0
	v_mov_b32_e32 v47, 0
	s_mov_b32 s20, exec_lo
	v_cmpx_ne_u16_e32 0, v3
	s_cbranch_execz .LBB277_290
; %bb.283:                              ;   in Loop: Header=BB277_15 Depth=1
	v_bfrev_b32_e32 v47, 1
	s_mov_b32 s21, exec_lo
	v_cmpx_ne_u16_e32 0x80, v3
	s_cbranch_execz .LBB277_289
; %bb.284:                              ;   in Loop: Header=BB277_15 Depth=1
	v_mov_b32_e32 v0, 0x7f
	v_mov_b32_e32 v47, 0x7c010000
	s_mov_b32 s22, exec_lo
	v_and_b32_sdwa v2, v3, v0 dst_sel:DWORD dst_unused:UNUSED_PAD src0_sel:WORD_0 src1_sel:DWORD
	v_cmpx_ne_u32_e32 0x7f, v2
	s_cbranch_execz .LBB277_288
; %bb.285:                              ;   in Loop: Header=BB277_15 Depth=1
	v_mov_b32_e32 v0, 7
	v_lshrrev_b32_e32 v1, 3, v2
	s_mov_b32 s23, exec_lo
	v_and_b32_sdwa v0, v3, v0 dst_sel:DWORD dst_unused:UNUSED_PAD src0_sel:WORD_0 src1_sel:DWORD
	v_cmpx_gt_u32_e32 8, v2
; %bb.286:                              ;   in Loop: Header=BB277_15 Depth=1
	v_ffbh_u32_e32 v0, v0
	v_min_u32_e32 v2, 32, v0
	v_subrev_nc_u32_e32 v0, 28, v2
	v_lshlrev_b64 v[0:1], v0, v[3:4]
	v_sub_nc_u32_e32 v1, 29, v2
	v_and_b32_e32 v0, 7, v0
; %bb.287:                              ;   in Loop: Header=BB277_15 Depth=1
	s_or_b32 exec_lo, exec_lo, s23
	v_mov_b32_e32 v2, 8
	v_lshl_add_u32 v1, v1, 10, 0x2000
	v_lshlrev_b32_e32 v0, 23, v0
	v_lshlrev_b32_sdwa v2, v2, v3 dst_sel:DWORD dst_unused:UNUSED_PAD src0_sel:DWORD src1_sel:WORD_0
	v_and_or_b32 v1, 0x8000, v2, v1
	v_lshl_or_b32 v47, v1, 16, v0
.LBB277_288:                            ;   in Loop: Header=BB277_15 Depth=1
	s_or_b32 exec_lo, exec_lo, s22
.LBB277_289:                            ;   in Loop: Header=BB277_15 Depth=1
	s_or_b32 exec_lo, exec_lo, s21
.LBB277_290:                            ;   in Loop: Header=BB277_15 Depth=1
	s_or_b32 exec_lo, exec_lo, s20
	v_lshrrev_b32_e32 v3, 16, v27
	v_cmp_ne_u16_sdwa s5, v3, v4 src0_sel:BYTE_0 src1_sel:DWORD
	s_and_saveexec_b32 s20, s5
	s_cbranch_execz .LBB277_298
; %bb.291:                              ;   in Loop: Header=BB277_15 Depth=1
	v_cmp_ne_u16_sdwa s5, v3, v54 src0_sel:BYTE_0 src1_sel:DWORD
	v_mov_b32_e32 v56, 0x8000
	s_and_saveexec_b32 s21, s5
	s_cbranch_execz .LBB277_297
; %bb.292:                              ;   in Loop: Header=BB277_15 Depth=1
	v_bfe_u32 v2, v27, 16, 7
	v_mov_b32_e32 v56, 0x7c01
	s_mov_b32 s22, exec_lo
	v_cmpx_ne_u32_e32 0x7f, v2
	s_cbranch_execz .LBB277_296
; %bb.293:                              ;   in Loop: Header=BB277_15 Depth=1
	v_and_b32_e32 v0, 7, v3
	v_lshrrev_b32_e32 v1, 3, v2
	s_mov_b32 s23, exec_lo
	v_cmpx_gt_u32_e32 8, v2
; %bb.294:                              ;   in Loop: Header=BB277_15 Depth=1
	v_ffbh_u32_e32 v0, v0
	v_min_u32_e32 v2, 32, v0
	v_subrev_nc_u32_e32 v0, 28, v2
	v_lshlrev_b64 v[0:1], v0, v[3:4]
	v_sub_nc_u32_e32 v1, 29, v2
	v_and_b32_e32 v0, 7, v0
; %bb.295:                              ;   in Loop: Header=BB277_15 Depth=1
	s_or_b32 exec_lo, exec_lo, s23
	v_lshlrev_b32_e32 v2, 8, v3
	v_lshl_add_u32 v1, v1, 10, 0x2000
	v_lshlrev_b32_e32 v0, 7, v0
	v_and_b32_e32 v2, 0x8000, v2
	v_and_b32_e32 v1, 0xfc00, v1
	v_or3_b32 v56, v2, v1, v0
.LBB277_296:                            ;   in Loop: Header=BB277_15 Depth=1
	s_or_b32 exec_lo, exec_lo, s22
.LBB277_297:                            ;   in Loop: Header=BB277_15 Depth=1
	s_or_b32 exec_lo, exec_lo, s21
.LBB277_298:                            ;   in Loop: Header=BB277_15 Depth=1
	s_or_b32 exec_lo, exec_lo, s20
	v_mov_b32_e32 v57, 0
	v_mov_b32_e32 v58, 0
	s_mov_b32 s20, exec_lo
	v_cmpx_lt_u32_e32 0xffffff, v27
	s_cbranch_execz .LBB277_306
; %bb.299:                              ;   in Loop: Header=BB277_15 Depth=1
	v_lshrrev_b32_e32 v3, 24, v27
	v_bfrev_b32_e32 v58, 1
	s_mov_b32 s21, exec_lo
	v_cmpx_ne_u32_e32 0x80, v3
	s_cbranch_execz .LBB277_305
; %bb.300:                              ;   in Loop: Header=BB277_15 Depth=1
	v_and_b32_e32 v2, 0x7f, v3
	v_mov_b32_e32 v58, 0x7c010000
	s_mov_b32 s22, exec_lo
	v_cmpx_ne_u32_e32 0x7f, v2
	s_cbranch_execz .LBB277_304
; %bb.301:                              ;   in Loop: Header=BB277_15 Depth=1
	v_and_b32_e32 v0, 7, v3
	v_lshrrev_b32_e32 v1, 3, v2
	s_mov_b32 s23, exec_lo
	v_cmpx_gt_u32_e32 8, v2
; %bb.302:                              ;   in Loop: Header=BB277_15 Depth=1
	v_ffbh_u32_e32 v0, v0
	v_min_u32_e32 v2, 32, v0
	v_subrev_nc_u32_e32 v0, 28, v2
	v_lshlrev_b64 v[0:1], v0, v[3:4]
	v_sub_nc_u32_e32 v1, 29, v2
	v_and_b32_e32 v0, 7, v0
; %bb.303:                              ;   in Loop: Header=BB277_15 Depth=1
	s_or_b32 exec_lo, exec_lo, s23
	v_lshlrev_b32_e32 v2, 8, v3
	v_lshl_add_u32 v1, v1, 10, 0x2000
	v_lshlrev_b32_e32 v0, 23, v0
	v_and_or_b32 v1, 0x8000, v2, v1
	v_lshl_or_b32 v58, v1, 16, v0
.LBB277_304:                            ;   in Loop: Header=BB277_15 Depth=1
	s_or_b32 exec_lo, exec_lo, s22
.LBB277_305:                            ;   in Loop: Header=BB277_15 Depth=1
	s_or_b32 exec_lo, exec_lo, s21
.LBB277_306:                            ;   in Loop: Header=BB277_15 Depth=1
	s_or_b32 exec_lo, exec_lo, s20
	v_mov_b32_e32 v3, v28
	v_cmp_ne_u16_sdwa s5, v28, v4 src0_sel:BYTE_0 src1_sel:DWORD
	s_and_saveexec_b32 s20, s5
	s_cbranch_execz .LBB277_314
; %bb.307:                              ;   in Loop: Header=BB277_15 Depth=1
	v_cmp_ne_u16_sdwa s5, v28, v54 src0_sel:BYTE_0 src1_sel:DWORD
	v_mov_b32_e32 v57, 0x8000
	s_and_saveexec_b32 s21, s5
	s_cbranch_execz .LBB277_313
; %bb.308:                              ;   in Loop: Header=BB277_15 Depth=1
	v_and_b32_e32 v2, 0x7f, v28
	v_mov_b32_e32 v57, 0x7c01
	s_mov_b32 s22, exec_lo
	v_cmpx_ne_u32_e32 0x7f, v2
	s_cbranch_execz .LBB277_312
; %bb.309:                              ;   in Loop: Header=BB277_15 Depth=1
	v_and_b32_e32 v0, 7, v28
	v_lshrrev_b32_e32 v1, 3, v2
	s_mov_b32 s23, exec_lo
	v_cmpx_gt_u32_e32 8, v2
; %bb.310:                              ;   in Loop: Header=BB277_15 Depth=1
	v_ffbh_u32_e32 v0, v0
	v_min_u32_e32 v2, 32, v0
	v_subrev_nc_u32_e32 v0, 28, v2
	v_lshlrev_b64 v[0:1], v0, v[3:4]
	v_sub_nc_u32_e32 v1, 29, v2
	v_and_b32_e32 v0, 7, v0
; %bb.311:                              ;   in Loop: Header=BB277_15 Depth=1
	s_or_b32 exec_lo, exec_lo, s23
	v_lshlrev_b32_e32 v2, 8, v28
	v_lshl_add_u32 v1, v1, 10, 0x2000
	v_lshlrev_b32_e32 v0, 7, v0
	v_and_b32_e32 v2, 0x8000, v2
	v_and_b32_e32 v1, 0xfc00, v1
	v_or3_b32 v57, v2, v1, v0
.LBB277_312:                            ;   in Loop: Header=BB277_15 Depth=1
	s_or_b32 exec_lo, exec_lo, s22
.LBB277_313:                            ;   in Loop: Header=BB277_15 Depth=1
	s_or_b32 exec_lo, exec_lo, s21
.LBB277_314:                            ;   in Loop: Header=BB277_15 Depth=1
	s_or_b32 exec_lo, exec_lo, s20
	v_lshrrev_b16 v3, 8, v3
	v_mov_b32_e32 v59, 0
	v_mov_b32_e32 v60, 0
	s_mov_b32 s20, exec_lo
	v_cmpx_ne_u16_e32 0, v3
	s_cbranch_execz .LBB277_322
; %bb.315:                              ;   in Loop: Header=BB277_15 Depth=1
	v_bfrev_b32_e32 v60, 1
	s_mov_b32 s21, exec_lo
	v_cmpx_ne_u16_e32 0x80, v3
	s_cbranch_execz .LBB277_321
; %bb.316:                              ;   in Loop: Header=BB277_15 Depth=1
	v_mov_b32_e32 v0, 0x7f
	v_mov_b32_e32 v60, 0x7c010000
	s_mov_b32 s22, exec_lo
	v_and_b32_sdwa v2, v3, v0 dst_sel:DWORD dst_unused:UNUSED_PAD src0_sel:WORD_0 src1_sel:DWORD
	v_cmpx_ne_u32_e32 0x7f, v2
	s_cbranch_execz .LBB277_320
; %bb.317:                              ;   in Loop: Header=BB277_15 Depth=1
	v_mov_b32_e32 v0, 7
	v_lshrrev_b32_e32 v1, 3, v2
	s_mov_b32 s23, exec_lo
	v_and_b32_sdwa v0, v3, v0 dst_sel:DWORD dst_unused:UNUSED_PAD src0_sel:WORD_0 src1_sel:DWORD
	v_cmpx_gt_u32_e32 8, v2
; %bb.318:                              ;   in Loop: Header=BB277_15 Depth=1
	v_ffbh_u32_e32 v0, v0
	v_min_u32_e32 v2, 32, v0
	v_subrev_nc_u32_e32 v0, 28, v2
	v_lshlrev_b64 v[0:1], v0, v[3:4]
	v_sub_nc_u32_e32 v1, 29, v2
	v_and_b32_e32 v0, 7, v0
; %bb.319:                              ;   in Loop: Header=BB277_15 Depth=1
	s_or_b32 exec_lo, exec_lo, s23
	v_mov_b32_e32 v2, 8
	v_lshl_add_u32 v1, v1, 10, 0x2000
	v_lshlrev_b32_e32 v0, 23, v0
	v_lshlrev_b32_sdwa v2, v2, v3 dst_sel:DWORD dst_unused:UNUSED_PAD src0_sel:DWORD src1_sel:WORD_0
	v_and_or_b32 v1, 0x8000, v2, v1
	v_lshl_or_b32 v60, v1, 16, v0
.LBB277_320:                            ;   in Loop: Header=BB277_15 Depth=1
	s_or_b32 exec_lo, exec_lo, s22
.LBB277_321:                            ;   in Loop: Header=BB277_15 Depth=1
	s_or_b32 exec_lo, exec_lo, s21
.LBB277_322:                            ;   in Loop: Header=BB277_15 Depth=1
	s_or_b32 exec_lo, exec_lo, s20
	v_lshrrev_b32_e32 v3, 16, v28
	v_cmp_ne_u16_sdwa s5, v3, v4 src0_sel:BYTE_0 src1_sel:DWORD
	s_and_saveexec_b32 s20, s5
	s_cbranch_execz .LBB277_330
; %bb.323:                              ;   in Loop: Header=BB277_15 Depth=1
	v_cmp_ne_u16_sdwa s5, v3, v54 src0_sel:BYTE_0 src1_sel:DWORD
	v_mov_b32_e32 v59, 0x8000
	s_and_saveexec_b32 s21, s5
	s_cbranch_execz .LBB277_329
; %bb.324:                              ;   in Loop: Header=BB277_15 Depth=1
	v_bfe_u32 v2, v28, 16, 7
	v_mov_b32_e32 v59, 0x7c01
	s_mov_b32 s22, exec_lo
	v_cmpx_ne_u32_e32 0x7f, v2
	s_cbranch_execz .LBB277_328
; %bb.325:                              ;   in Loop: Header=BB277_15 Depth=1
	v_and_b32_e32 v0, 7, v3
	v_lshrrev_b32_e32 v1, 3, v2
	s_mov_b32 s23, exec_lo
	v_cmpx_gt_u32_e32 8, v2
; %bb.326:                              ;   in Loop: Header=BB277_15 Depth=1
	v_ffbh_u32_e32 v0, v0
	v_min_u32_e32 v2, 32, v0
	v_subrev_nc_u32_e32 v0, 28, v2
	v_lshlrev_b64 v[0:1], v0, v[3:4]
	v_sub_nc_u32_e32 v1, 29, v2
	v_and_b32_e32 v0, 7, v0
; %bb.327:                              ;   in Loop: Header=BB277_15 Depth=1
	s_or_b32 exec_lo, exec_lo, s23
	v_lshlrev_b32_e32 v2, 8, v3
	v_lshl_add_u32 v1, v1, 10, 0x2000
	v_lshlrev_b32_e32 v0, 7, v0
	v_and_b32_e32 v2, 0x8000, v2
	v_and_b32_e32 v1, 0xfc00, v1
	v_or3_b32 v59, v2, v1, v0
.LBB277_328:                            ;   in Loop: Header=BB277_15 Depth=1
	s_or_b32 exec_lo, exec_lo, s22
.LBB277_329:                            ;   in Loop: Header=BB277_15 Depth=1
	s_or_b32 exec_lo, exec_lo, s21
.LBB277_330:                            ;   in Loop: Header=BB277_15 Depth=1
	s_or_b32 exec_lo, exec_lo, s20
	v_mov_b32_e32 v62, 0
	v_mov_b32_e32 v61, 0
	s_mov_b32 s20, exec_lo
	v_cmpx_lt_u64_e64 s[12:13], v[27:28]
	s_cbranch_execz .LBB277_338
; %bb.331:                              ;   in Loop: Header=BB277_15 Depth=1
	v_lshrrev_b32_e32 v3, 24, v28
	v_bfrev_b32_e32 v61, 1
	s_mov_b32 s21, exec_lo
	v_cmpx_ne_u32_e32 0x80, v3
	s_cbranch_execz .LBB277_337
; %bb.332:                              ;   in Loop: Header=BB277_15 Depth=1
	v_and_b32_e32 v2, 0x7f, v3
	v_mov_b32_e32 v61, 0x7c010000
	s_mov_b32 s22, exec_lo
	v_cmpx_ne_u32_e32 0x7f, v2
	s_cbranch_execz .LBB277_336
; %bb.333:                              ;   in Loop: Header=BB277_15 Depth=1
	v_and_b32_e32 v0, 7, v3
	v_lshrrev_b32_e32 v1, 3, v2
	s_mov_b32 s23, exec_lo
	v_cmpx_gt_u32_e32 8, v2
; %bb.334:                              ;   in Loop: Header=BB277_15 Depth=1
	v_ffbh_u32_e32 v0, v0
	v_min_u32_e32 v2, 32, v0
	v_subrev_nc_u32_e32 v0, 28, v2
	v_lshlrev_b64 v[0:1], v0, v[3:4]
	v_sub_nc_u32_e32 v1, 29, v2
	v_and_b32_e32 v0, 7, v0
; %bb.335:                              ;   in Loop: Header=BB277_15 Depth=1
	s_or_b32 exec_lo, exec_lo, s23
	v_lshlrev_b32_e32 v2, 8, v3
	v_lshl_add_u32 v1, v1, 10, 0x2000
	v_lshlrev_b32_e32 v0, 23, v0
	v_and_or_b32 v1, 0x8000, v2, v1
	v_lshl_or_b32 v61, v1, 16, v0
.LBB277_336:                            ;   in Loop: Header=BB277_15 Depth=1
	s_or_b32 exec_lo, exec_lo, s22
.LBB277_337:                            ;   in Loop: Header=BB277_15 Depth=1
	s_or_b32 exec_lo, exec_lo, s21
.LBB277_338:                            ;   in Loop: Header=BB277_15 Depth=1
	s_or_b32 exec_lo, exec_lo, s20
	flat_load_dwordx2 v[27:28], v[24:25] offset:1032
	s_waitcnt vmcnt(0) lgkmcnt(0)
	v_cmp_ne_u16_sdwa s5, v27, v4 src0_sel:BYTE_0 src1_sel:DWORD
	s_and_saveexec_b32 s20, s5
	s_cbranch_execz .LBB277_346
; %bb.339:                              ;   in Loop: Header=BB277_15 Depth=1
	v_cmp_ne_u16_sdwa s5, v27, v54 src0_sel:BYTE_0 src1_sel:DWORD
	v_mov_b32_e32 v62, 0x8000
	s_and_saveexec_b32 s21, s5
	s_cbranch_execz .LBB277_345
; %bb.340:                              ;   in Loop: Header=BB277_15 Depth=1
	v_and_b32_e32 v2, 0x7f, v27
	v_mov_b32_e32 v62, 0x7c01
	s_mov_b32 s22, exec_lo
	v_cmpx_ne_u32_e32 0x7f, v2
	s_cbranch_execz .LBB277_344
; %bb.341:                              ;   in Loop: Header=BB277_15 Depth=1
	v_and_b32_e32 v0, 7, v27
	v_lshrrev_b32_e32 v1, 3, v2
	s_mov_b32 s23, exec_lo
	v_cmpx_gt_u32_e32 8, v2
; %bb.342:                              ;   in Loop: Header=BB277_15 Depth=1
	v_ffbh_u32_e32 v0, v0
	v_min_u32_e32 v2, 32, v0
	v_subrev_nc_u32_e32 v0, 28, v2
	v_lshlrev_b64 v[0:1], v0, v[27:28]
	v_sub_nc_u32_e32 v1, 29, v2
	v_and_b32_e32 v0, 7, v0
; %bb.343:                              ;   in Loop: Header=BB277_15 Depth=1
	s_or_b32 exec_lo, exec_lo, s23
	v_lshlrev_b32_e32 v2, 8, v27
	v_lshl_add_u32 v1, v1, 10, 0x2000
	v_lshlrev_b32_e32 v0, 7, v0
	v_and_b32_e32 v2, 0x8000, v2
	v_and_b32_e32 v1, 0xfc00, v1
	v_or3_b32 v62, v2, v1, v0
.LBB277_344:                            ;   in Loop: Header=BB277_15 Depth=1
	s_or_b32 exec_lo, exec_lo, s22
.LBB277_345:                            ;   in Loop: Header=BB277_15 Depth=1
	s_or_b32 exec_lo, exec_lo, s21
.LBB277_346:                            ;   in Loop: Header=BB277_15 Depth=1
	s_or_b32 exec_lo, exec_lo, s20
	v_lshrrev_b16 v3, 8, v27
	v_mov_b32_e32 v74, 0
	v_mov_b32_e32 v73, 0
	s_mov_b32 s20, exec_lo
	v_cmpx_ne_u16_e32 0, v3
	s_cbranch_execz .LBB277_354
; %bb.347:                              ;   in Loop: Header=BB277_15 Depth=1
	v_bfrev_b32_e32 v73, 1
	s_mov_b32 s21, exec_lo
	v_cmpx_ne_u16_e32 0x80, v3
	s_cbranch_execz .LBB277_353
; %bb.348:                              ;   in Loop: Header=BB277_15 Depth=1
	v_mov_b32_e32 v0, 0x7f
	v_mov_b32_e32 v73, 0x7c010000
	s_mov_b32 s22, exec_lo
	v_and_b32_sdwa v2, v3, v0 dst_sel:DWORD dst_unused:UNUSED_PAD src0_sel:WORD_0 src1_sel:DWORD
	v_cmpx_ne_u32_e32 0x7f, v2
	s_cbranch_execz .LBB277_352
; %bb.349:                              ;   in Loop: Header=BB277_15 Depth=1
	v_mov_b32_e32 v0, 7
	v_lshrrev_b32_e32 v1, 3, v2
	s_mov_b32 s23, exec_lo
	v_and_b32_sdwa v0, v3, v0 dst_sel:DWORD dst_unused:UNUSED_PAD src0_sel:WORD_0 src1_sel:DWORD
	v_cmpx_gt_u32_e32 8, v2
; %bb.350:                              ;   in Loop: Header=BB277_15 Depth=1
	v_ffbh_u32_e32 v0, v0
	v_min_u32_e32 v2, 32, v0
	v_subrev_nc_u32_e32 v0, 28, v2
	v_lshlrev_b64 v[0:1], v0, v[3:4]
	v_sub_nc_u32_e32 v1, 29, v2
	v_and_b32_e32 v0, 7, v0
; %bb.351:                              ;   in Loop: Header=BB277_15 Depth=1
	s_or_b32 exec_lo, exec_lo, s23
	v_mov_b32_e32 v2, 8
	v_lshl_add_u32 v1, v1, 10, 0x2000
	v_lshlrev_b32_e32 v0, 23, v0
	v_lshlrev_b32_sdwa v2, v2, v3 dst_sel:DWORD dst_unused:UNUSED_PAD src0_sel:DWORD src1_sel:WORD_0
	v_and_or_b32 v1, 0x8000, v2, v1
	v_lshl_or_b32 v73, v1, 16, v0
.LBB277_352:                            ;   in Loop: Header=BB277_15 Depth=1
	s_or_b32 exec_lo, exec_lo, s22
.LBB277_353:                            ;   in Loop: Header=BB277_15 Depth=1
	s_or_b32 exec_lo, exec_lo, s21
.LBB277_354:                            ;   in Loop: Header=BB277_15 Depth=1
	s_or_b32 exec_lo, exec_lo, s20
	v_lshrrev_b32_e32 v3, 16, v27
	v_cmp_ne_u16_sdwa s5, v3, v4 src0_sel:BYTE_0 src1_sel:DWORD
	s_and_saveexec_b32 s20, s5
	s_cbranch_execz .LBB277_362
; %bb.355:                              ;   in Loop: Header=BB277_15 Depth=1
	v_cmp_ne_u16_sdwa s5, v3, v54 src0_sel:BYTE_0 src1_sel:DWORD
	v_mov_b32_e32 v74, 0x8000
	s_and_saveexec_b32 s21, s5
	s_cbranch_execz .LBB277_361
; %bb.356:                              ;   in Loop: Header=BB277_15 Depth=1
	v_bfe_u32 v2, v27, 16, 7
	v_mov_b32_e32 v74, 0x7c01
	s_mov_b32 s22, exec_lo
	v_cmpx_ne_u32_e32 0x7f, v2
	s_cbranch_execz .LBB277_360
; %bb.357:                              ;   in Loop: Header=BB277_15 Depth=1
	v_and_b32_e32 v0, 7, v3
	v_lshrrev_b32_e32 v1, 3, v2
	s_mov_b32 s23, exec_lo
	v_cmpx_gt_u32_e32 8, v2
; %bb.358:                              ;   in Loop: Header=BB277_15 Depth=1
	v_ffbh_u32_e32 v0, v0
	v_min_u32_e32 v2, 32, v0
	v_subrev_nc_u32_e32 v0, 28, v2
	v_lshlrev_b64 v[0:1], v0, v[3:4]
	v_sub_nc_u32_e32 v1, 29, v2
	v_and_b32_e32 v0, 7, v0
; %bb.359:                              ;   in Loop: Header=BB277_15 Depth=1
	s_or_b32 exec_lo, exec_lo, s23
	v_lshlrev_b32_e32 v2, 8, v3
	v_lshl_add_u32 v1, v1, 10, 0x2000
	v_lshlrev_b32_e32 v0, 7, v0
	v_and_b32_e32 v2, 0x8000, v2
	v_and_b32_e32 v1, 0xfc00, v1
	v_or3_b32 v74, v2, v1, v0
.LBB277_360:                            ;   in Loop: Header=BB277_15 Depth=1
	s_or_b32 exec_lo, exec_lo, s22
.LBB277_361:                            ;   in Loop: Header=BB277_15 Depth=1
	s_or_b32 exec_lo, exec_lo, s21
.LBB277_362:                            ;   in Loop: Header=BB277_15 Depth=1
	s_or_b32 exec_lo, exec_lo, s20
	v_mov_b32_e32 v79, 0
	v_mov_b32_e32 v88, 0
	s_mov_b32 s20, exec_lo
	v_cmpx_lt_u32_e32 0xffffff, v27
	s_cbranch_execz .LBB277_370
; %bb.363:                              ;   in Loop: Header=BB277_15 Depth=1
	v_lshrrev_b32_e32 v3, 24, v27
	v_bfrev_b32_e32 v88, 1
	s_mov_b32 s21, exec_lo
	v_cmpx_ne_u32_e32 0x80, v3
	s_cbranch_execz .LBB277_369
; %bb.364:                              ;   in Loop: Header=BB277_15 Depth=1
	v_and_b32_e32 v2, 0x7f, v3
	v_mov_b32_e32 v88, 0x7c010000
	s_mov_b32 s22, exec_lo
	v_cmpx_ne_u32_e32 0x7f, v2
	s_cbranch_execz .LBB277_368
; %bb.365:                              ;   in Loop: Header=BB277_15 Depth=1
	v_and_b32_e32 v0, 7, v3
	v_lshrrev_b32_e32 v1, 3, v2
	s_mov_b32 s23, exec_lo
	v_cmpx_gt_u32_e32 8, v2
; %bb.366:                              ;   in Loop: Header=BB277_15 Depth=1
	v_ffbh_u32_e32 v0, v0
	v_min_u32_e32 v2, 32, v0
	v_subrev_nc_u32_e32 v0, 28, v2
	v_lshlrev_b64 v[0:1], v0, v[3:4]
	v_sub_nc_u32_e32 v1, 29, v2
	v_and_b32_e32 v0, 7, v0
; %bb.367:                              ;   in Loop: Header=BB277_15 Depth=1
	s_or_b32 exec_lo, exec_lo, s23
	v_lshlrev_b32_e32 v2, 8, v3
	v_lshl_add_u32 v1, v1, 10, 0x2000
	v_lshlrev_b32_e32 v0, 23, v0
	v_and_or_b32 v1, 0x8000, v2, v1
	v_lshl_or_b32 v88, v1, 16, v0
.LBB277_368:                            ;   in Loop: Header=BB277_15 Depth=1
	s_or_b32 exec_lo, exec_lo, s22
.LBB277_369:                            ;   in Loop: Header=BB277_15 Depth=1
	s_or_b32 exec_lo, exec_lo, s21
.LBB277_370:                            ;   in Loop: Header=BB277_15 Depth=1
	s_or_b32 exec_lo, exec_lo, s20
	v_mov_b32_e32 v3, v28
	v_cmp_ne_u16_sdwa s5, v28, v4 src0_sel:BYTE_0 src1_sel:DWORD
	s_and_saveexec_b32 s20, s5
	s_cbranch_execz .LBB277_378
; %bb.371:                              ;   in Loop: Header=BB277_15 Depth=1
	v_cmp_ne_u16_sdwa s5, v28, v54 src0_sel:BYTE_0 src1_sel:DWORD
	v_mov_b32_e32 v79, 0x8000
	s_and_saveexec_b32 s21, s5
	s_cbranch_execz .LBB277_377
; %bb.372:                              ;   in Loop: Header=BB277_15 Depth=1
	v_and_b32_e32 v2, 0x7f, v28
	v_mov_b32_e32 v79, 0x7c01
	s_mov_b32 s22, exec_lo
	v_cmpx_ne_u32_e32 0x7f, v2
	s_cbranch_execz .LBB277_376
; %bb.373:                              ;   in Loop: Header=BB277_15 Depth=1
	v_and_b32_e32 v0, 7, v28
	v_lshrrev_b32_e32 v1, 3, v2
	s_mov_b32 s23, exec_lo
	v_cmpx_gt_u32_e32 8, v2
; %bb.374:                              ;   in Loop: Header=BB277_15 Depth=1
	v_ffbh_u32_e32 v0, v0
	v_min_u32_e32 v2, 32, v0
	v_subrev_nc_u32_e32 v0, 28, v2
	v_lshlrev_b64 v[0:1], v0, v[3:4]
	v_sub_nc_u32_e32 v1, 29, v2
	v_and_b32_e32 v0, 7, v0
; %bb.375:                              ;   in Loop: Header=BB277_15 Depth=1
	s_or_b32 exec_lo, exec_lo, s23
	v_lshlrev_b32_e32 v2, 8, v28
	v_lshl_add_u32 v1, v1, 10, 0x2000
	v_lshlrev_b32_e32 v0, 7, v0
	v_and_b32_e32 v2, 0x8000, v2
	v_and_b32_e32 v1, 0xfc00, v1
	v_or3_b32 v79, v2, v1, v0
.LBB277_376:                            ;   in Loop: Header=BB277_15 Depth=1
	s_or_b32 exec_lo, exec_lo, s22
.LBB277_377:                            ;   in Loop: Header=BB277_15 Depth=1
	s_or_b32 exec_lo, exec_lo, s21
.LBB277_378:                            ;   in Loop: Header=BB277_15 Depth=1
	s_or_b32 exec_lo, exec_lo, s20
	v_lshrrev_b16 v3, 8, v3
	v_mov_b32_e32 v93, 0
	v_mov_b32_e32 v94, 0
	s_mov_b32 s20, exec_lo
	v_cmpx_ne_u16_e32 0, v3
	s_cbranch_execz .LBB277_386
; %bb.379:                              ;   in Loop: Header=BB277_15 Depth=1
	v_bfrev_b32_e32 v94, 1
	s_mov_b32 s21, exec_lo
	v_cmpx_ne_u16_e32 0x80, v3
	s_cbranch_execz .LBB277_385
; %bb.380:                              ;   in Loop: Header=BB277_15 Depth=1
	v_mov_b32_e32 v0, 0x7f
	v_mov_b32_e32 v94, 0x7c010000
	s_mov_b32 s22, exec_lo
	v_and_b32_sdwa v2, v3, v0 dst_sel:DWORD dst_unused:UNUSED_PAD src0_sel:WORD_0 src1_sel:DWORD
	v_cmpx_ne_u32_e32 0x7f, v2
	s_cbranch_execz .LBB277_384
; %bb.381:                              ;   in Loop: Header=BB277_15 Depth=1
	v_mov_b32_e32 v0, 7
	v_lshrrev_b32_e32 v1, 3, v2
	s_mov_b32 s23, exec_lo
	v_and_b32_sdwa v0, v3, v0 dst_sel:DWORD dst_unused:UNUSED_PAD src0_sel:WORD_0 src1_sel:DWORD
	v_cmpx_gt_u32_e32 8, v2
; %bb.382:                              ;   in Loop: Header=BB277_15 Depth=1
	v_ffbh_u32_e32 v0, v0
	v_min_u32_e32 v2, 32, v0
	v_subrev_nc_u32_e32 v0, 28, v2
	v_lshlrev_b64 v[0:1], v0, v[3:4]
	v_sub_nc_u32_e32 v1, 29, v2
	v_and_b32_e32 v0, 7, v0
; %bb.383:                              ;   in Loop: Header=BB277_15 Depth=1
	s_or_b32 exec_lo, exec_lo, s23
	v_mov_b32_e32 v2, 8
	v_lshl_add_u32 v1, v1, 10, 0x2000
	v_lshlrev_b32_e32 v0, 23, v0
	v_lshlrev_b32_sdwa v2, v2, v3 dst_sel:DWORD dst_unused:UNUSED_PAD src0_sel:DWORD src1_sel:WORD_0
	v_and_or_b32 v1, 0x8000, v2, v1
	v_lshl_or_b32 v94, v1, 16, v0
.LBB277_384:                            ;   in Loop: Header=BB277_15 Depth=1
	s_or_b32 exec_lo, exec_lo, s22
.LBB277_385:                            ;   in Loop: Header=BB277_15 Depth=1
	s_or_b32 exec_lo, exec_lo, s21
.LBB277_386:                            ;   in Loop: Header=BB277_15 Depth=1
	s_or_b32 exec_lo, exec_lo, s20
	v_lshrrev_b32_e32 v3, 16, v28
	v_cmp_ne_u16_sdwa s5, v3, v4 src0_sel:BYTE_0 src1_sel:DWORD
	s_and_saveexec_b32 s20, s5
	s_cbranch_execz .LBB277_394
; %bb.387:                              ;   in Loop: Header=BB277_15 Depth=1
	v_cmp_ne_u16_sdwa s5, v3, v54 src0_sel:BYTE_0 src1_sel:DWORD
	v_mov_b32_e32 v93, 0x8000
	s_and_saveexec_b32 s21, s5
	s_cbranch_execz .LBB277_393
; %bb.388:                              ;   in Loop: Header=BB277_15 Depth=1
	v_bfe_u32 v2, v28, 16, 7
	v_mov_b32_e32 v93, 0x7c01
	s_mov_b32 s22, exec_lo
	v_cmpx_ne_u32_e32 0x7f, v2
	s_cbranch_execz .LBB277_392
; %bb.389:                              ;   in Loop: Header=BB277_15 Depth=1
	v_and_b32_e32 v0, 7, v3
	v_lshrrev_b32_e32 v1, 3, v2
	s_mov_b32 s23, exec_lo
	v_cmpx_gt_u32_e32 8, v2
; %bb.390:                              ;   in Loop: Header=BB277_15 Depth=1
	v_ffbh_u32_e32 v0, v0
	v_min_u32_e32 v2, 32, v0
	v_subrev_nc_u32_e32 v0, 28, v2
	v_lshlrev_b64 v[0:1], v0, v[3:4]
	v_sub_nc_u32_e32 v1, 29, v2
	v_and_b32_e32 v0, 7, v0
; %bb.391:                              ;   in Loop: Header=BB277_15 Depth=1
	s_or_b32 exec_lo, exec_lo, s23
	v_lshlrev_b32_e32 v2, 8, v3
	v_lshl_add_u32 v1, v1, 10, 0x2000
	v_lshlrev_b32_e32 v0, 7, v0
	v_and_b32_e32 v2, 0x8000, v2
	v_and_b32_e32 v1, 0xfc00, v1
	v_or3_b32 v93, v2, v1, v0
.LBB277_392:                            ;   in Loop: Header=BB277_15 Depth=1
	s_or_b32 exec_lo, exec_lo, s22
.LBB277_393:                            ;   in Loop: Header=BB277_15 Depth=1
	s_or_b32 exec_lo, exec_lo, s21
.LBB277_394:                            ;   in Loop: Header=BB277_15 Depth=1
	s_or_b32 exec_lo, exec_lo, s20
	v_mov_b32_e32 v108, 0
	v_mov_b32_e32 v105, 0
	s_mov_b32 s20, exec_lo
	v_cmpx_lt_u64_e64 s[12:13], v[27:28]
	s_cbranch_execz .LBB277_402
; %bb.395:                              ;   in Loop: Header=BB277_15 Depth=1
	v_lshrrev_b32_e32 v3, 24, v28
	v_bfrev_b32_e32 v105, 1
	s_mov_b32 s21, exec_lo
	v_cmpx_ne_u32_e32 0x80, v3
	s_cbranch_execz .LBB277_401
; %bb.396:                              ;   in Loop: Header=BB277_15 Depth=1
	v_and_b32_e32 v2, 0x7f, v3
	v_mov_b32_e32 v105, 0x7c010000
	s_mov_b32 s22, exec_lo
	v_cmpx_ne_u32_e32 0x7f, v2
	s_cbranch_execz .LBB277_400
; %bb.397:                              ;   in Loop: Header=BB277_15 Depth=1
	v_and_b32_e32 v0, 7, v3
	v_lshrrev_b32_e32 v1, 3, v2
	s_mov_b32 s23, exec_lo
	v_cmpx_gt_u32_e32 8, v2
; %bb.398:                              ;   in Loop: Header=BB277_15 Depth=1
	v_ffbh_u32_e32 v0, v0
	v_min_u32_e32 v2, 32, v0
	v_subrev_nc_u32_e32 v0, 28, v2
	v_lshlrev_b64 v[0:1], v0, v[3:4]
	v_sub_nc_u32_e32 v1, 29, v2
	v_and_b32_e32 v0, 7, v0
; %bb.399:                              ;   in Loop: Header=BB277_15 Depth=1
	s_or_b32 exec_lo, exec_lo, s23
	v_lshlrev_b32_e32 v2, 8, v3
	v_lshl_add_u32 v1, v1, 10, 0x2000
	v_lshlrev_b32_e32 v0, 23, v0
	v_and_or_b32 v1, 0x8000, v2, v1
	v_lshl_or_b32 v105, v1, 16, v0
.LBB277_400:                            ;   in Loop: Header=BB277_15 Depth=1
	s_or_b32 exec_lo, exec_lo, s22
.LBB277_401:                            ;   in Loop: Header=BB277_15 Depth=1
	s_or_b32 exec_lo, exec_lo, s21
.LBB277_402:                            ;   in Loop: Header=BB277_15 Depth=1
	s_or_b32 exec_lo, exec_lo, s20
	flat_load_dwordx2 v[27:28], v[24:25] offset:1536
	s_waitcnt vmcnt(0) lgkmcnt(0)
	v_cmp_ne_u16_sdwa s5, v27, v4 src0_sel:BYTE_0 src1_sel:DWORD
	s_and_saveexec_b32 s20, s5
	s_cbranch_execz .LBB277_410
; %bb.403:                              ;   in Loop: Header=BB277_15 Depth=1
	v_cmp_ne_u16_sdwa s5, v27, v54 src0_sel:BYTE_0 src1_sel:DWORD
	v_mov_b32_e32 v108, 0x8000
	s_and_saveexec_b32 s21, s5
	s_cbranch_execz .LBB277_409
; %bb.404:                              ;   in Loop: Header=BB277_15 Depth=1
	v_and_b32_e32 v2, 0x7f, v27
	v_mov_b32_e32 v108, 0x7c01
	s_mov_b32 s22, exec_lo
	v_cmpx_ne_u32_e32 0x7f, v2
	s_cbranch_execz .LBB277_408
; %bb.405:                              ;   in Loop: Header=BB277_15 Depth=1
	v_and_b32_e32 v0, 7, v27
	v_lshrrev_b32_e32 v1, 3, v2
	s_mov_b32 s23, exec_lo
	v_cmpx_gt_u32_e32 8, v2
; %bb.406:                              ;   in Loop: Header=BB277_15 Depth=1
	v_ffbh_u32_e32 v0, v0
	v_min_u32_e32 v2, 32, v0
	v_subrev_nc_u32_e32 v0, 28, v2
	v_lshlrev_b64 v[0:1], v0, v[27:28]
	v_sub_nc_u32_e32 v1, 29, v2
	v_and_b32_e32 v0, 7, v0
; %bb.407:                              ;   in Loop: Header=BB277_15 Depth=1
	s_or_b32 exec_lo, exec_lo, s23
	v_lshlrev_b32_e32 v2, 8, v27
	v_lshl_add_u32 v1, v1, 10, 0x2000
	v_lshlrev_b32_e32 v0, 7, v0
	v_and_b32_e32 v2, 0x8000, v2
	v_and_b32_e32 v1, 0xfc00, v1
	v_or3_b32 v108, v2, v1, v0
.LBB277_408:                            ;   in Loop: Header=BB277_15 Depth=1
	s_or_b32 exec_lo, exec_lo, s22
.LBB277_409:                            ;   in Loop: Header=BB277_15 Depth=1
	s_or_b32 exec_lo, exec_lo, s21
.LBB277_410:                            ;   in Loop: Header=BB277_15 Depth=1
	s_or_b32 exec_lo, exec_lo, s20
	v_lshrrev_b16 v3, 8, v27
	v_mov_b32_e32 v122, 0
	v_mov_b32_e32 v121, 0
	s_mov_b32 s20, exec_lo
	v_cmpx_ne_u16_e32 0, v3
	s_cbranch_execz .LBB277_418
; %bb.411:                              ;   in Loop: Header=BB277_15 Depth=1
	v_bfrev_b32_e32 v121, 1
	s_mov_b32 s21, exec_lo
	v_cmpx_ne_u16_e32 0x80, v3
	s_cbranch_execz .LBB277_417
; %bb.412:                              ;   in Loop: Header=BB277_15 Depth=1
	v_mov_b32_e32 v0, 0x7f
	v_mov_b32_e32 v121, 0x7c010000
	s_mov_b32 s22, exec_lo
	v_and_b32_sdwa v2, v3, v0 dst_sel:DWORD dst_unused:UNUSED_PAD src0_sel:WORD_0 src1_sel:DWORD
	v_cmpx_ne_u32_e32 0x7f, v2
	s_cbranch_execz .LBB277_416
; %bb.413:                              ;   in Loop: Header=BB277_15 Depth=1
	v_mov_b32_e32 v0, 7
	v_lshrrev_b32_e32 v1, 3, v2
	s_mov_b32 s23, exec_lo
	v_and_b32_sdwa v0, v3, v0 dst_sel:DWORD dst_unused:UNUSED_PAD src0_sel:WORD_0 src1_sel:DWORD
	v_cmpx_gt_u32_e32 8, v2
; %bb.414:                              ;   in Loop: Header=BB277_15 Depth=1
	v_ffbh_u32_e32 v0, v0
	v_min_u32_e32 v2, 32, v0
	v_subrev_nc_u32_e32 v0, 28, v2
	v_lshlrev_b64 v[0:1], v0, v[3:4]
	v_sub_nc_u32_e32 v1, 29, v2
	v_and_b32_e32 v0, 7, v0
; %bb.415:                              ;   in Loop: Header=BB277_15 Depth=1
	s_or_b32 exec_lo, exec_lo, s23
	v_mov_b32_e32 v2, 8
	v_lshl_add_u32 v1, v1, 10, 0x2000
	v_lshlrev_b32_e32 v0, 23, v0
	v_lshlrev_b32_sdwa v2, v2, v3 dst_sel:DWORD dst_unused:UNUSED_PAD src0_sel:DWORD src1_sel:WORD_0
	v_and_or_b32 v1, 0x8000, v2, v1
	v_lshl_or_b32 v121, v1, 16, v0
.LBB277_416:                            ;   in Loop: Header=BB277_15 Depth=1
	s_or_b32 exec_lo, exec_lo, s22
.LBB277_417:                            ;   in Loop: Header=BB277_15 Depth=1
	s_or_b32 exec_lo, exec_lo, s21
.LBB277_418:                            ;   in Loop: Header=BB277_15 Depth=1
	s_or_b32 exec_lo, exec_lo, s20
	v_lshrrev_b32_e32 v3, 16, v27
	v_cmp_ne_u16_sdwa s5, v3, v4 src0_sel:BYTE_0 src1_sel:DWORD
	s_and_saveexec_b32 s20, s5
	s_cbranch_execz .LBB277_426
; %bb.419:                              ;   in Loop: Header=BB277_15 Depth=1
	v_cmp_ne_u16_sdwa s5, v3, v54 src0_sel:BYTE_0 src1_sel:DWORD
	v_mov_b32_e32 v122, 0x8000
	s_and_saveexec_b32 s21, s5
	s_cbranch_execz .LBB277_425
; %bb.420:                              ;   in Loop: Header=BB277_15 Depth=1
	v_bfe_u32 v2, v27, 16, 7
	v_mov_b32_e32 v122, 0x7c01
	s_mov_b32 s22, exec_lo
	v_cmpx_ne_u32_e32 0x7f, v2
	s_cbranch_execz .LBB277_424
; %bb.421:                              ;   in Loop: Header=BB277_15 Depth=1
	v_and_b32_e32 v0, 7, v3
	v_lshrrev_b32_e32 v1, 3, v2
	s_mov_b32 s23, exec_lo
	v_cmpx_gt_u32_e32 8, v2
; %bb.422:                              ;   in Loop: Header=BB277_15 Depth=1
	v_ffbh_u32_e32 v0, v0
	v_min_u32_e32 v2, 32, v0
	v_subrev_nc_u32_e32 v0, 28, v2
	v_lshlrev_b64 v[0:1], v0, v[3:4]
	v_sub_nc_u32_e32 v1, 29, v2
	v_and_b32_e32 v0, 7, v0
; %bb.423:                              ;   in Loop: Header=BB277_15 Depth=1
	s_or_b32 exec_lo, exec_lo, s23
	v_lshlrev_b32_e32 v2, 8, v3
	v_lshl_add_u32 v1, v1, 10, 0x2000
	v_lshlrev_b32_e32 v0, 7, v0
	v_and_b32_e32 v2, 0x8000, v2
	v_and_b32_e32 v1, 0xfc00, v1
	v_or3_b32 v122, v2, v1, v0
.LBB277_424:                            ;   in Loop: Header=BB277_15 Depth=1
	s_or_b32 exec_lo, exec_lo, s22
.LBB277_425:                            ;   in Loop: Header=BB277_15 Depth=1
	s_or_b32 exec_lo, exec_lo, s21
.LBB277_426:                            ;   in Loop: Header=BB277_15 Depth=1
	s_or_b32 exec_lo, exec_lo, s20
	v_mov_b32_e32 v123, 0
	v_mov_b32_e32 v124, 0
	s_mov_b32 s20, exec_lo
	v_cmpx_lt_u32_e32 0xffffff, v27
	s_cbranch_execz .LBB277_434
; %bb.427:                              ;   in Loop: Header=BB277_15 Depth=1
	v_lshrrev_b32_e32 v3, 24, v27
	v_bfrev_b32_e32 v124, 1
	s_mov_b32 s21, exec_lo
	v_cmpx_ne_u32_e32 0x80, v3
	s_cbranch_execz .LBB277_433
; %bb.428:                              ;   in Loop: Header=BB277_15 Depth=1
	v_and_b32_e32 v2, 0x7f, v3
	v_mov_b32_e32 v124, 0x7c010000
	s_mov_b32 s22, exec_lo
	v_cmpx_ne_u32_e32 0x7f, v2
	s_cbranch_execz .LBB277_432
; %bb.429:                              ;   in Loop: Header=BB277_15 Depth=1
	v_and_b32_e32 v0, 7, v3
	v_lshrrev_b32_e32 v1, 3, v2
	s_mov_b32 s23, exec_lo
	v_cmpx_gt_u32_e32 8, v2
; %bb.430:                              ;   in Loop: Header=BB277_15 Depth=1
	v_ffbh_u32_e32 v0, v0
	v_min_u32_e32 v2, 32, v0
	v_subrev_nc_u32_e32 v0, 28, v2
	v_lshlrev_b64 v[0:1], v0, v[3:4]
	v_sub_nc_u32_e32 v1, 29, v2
	v_and_b32_e32 v0, 7, v0
; %bb.431:                              ;   in Loop: Header=BB277_15 Depth=1
	s_or_b32 exec_lo, exec_lo, s23
	v_lshlrev_b32_e32 v2, 8, v3
	v_lshl_add_u32 v1, v1, 10, 0x2000
	v_lshlrev_b32_e32 v0, 23, v0
	v_and_or_b32 v1, 0x8000, v2, v1
	v_lshl_or_b32 v124, v1, 16, v0
.LBB277_432:                            ;   in Loop: Header=BB277_15 Depth=1
	s_or_b32 exec_lo, exec_lo, s22
.LBB277_433:                            ;   in Loop: Header=BB277_15 Depth=1
	s_or_b32 exec_lo, exec_lo, s21
.LBB277_434:                            ;   in Loop: Header=BB277_15 Depth=1
	s_or_b32 exec_lo, exec_lo, s20
	v_mov_b32_e32 v3, v28
	v_cmp_ne_u16_sdwa s5, v28, v4 src0_sel:BYTE_0 src1_sel:DWORD
	s_and_saveexec_b32 s20, s5
	s_cbranch_execz .LBB277_442
; %bb.435:                              ;   in Loop: Header=BB277_15 Depth=1
	v_cmp_ne_u16_sdwa s5, v28, v54 src0_sel:BYTE_0 src1_sel:DWORD
	v_mov_b32_e32 v123, 0x8000
	s_and_saveexec_b32 s21, s5
	s_cbranch_execz .LBB277_441
; %bb.436:                              ;   in Loop: Header=BB277_15 Depth=1
	v_and_b32_e32 v2, 0x7f, v28
	v_mov_b32_e32 v123, 0x7c01
	s_mov_b32 s22, exec_lo
	v_cmpx_ne_u32_e32 0x7f, v2
	s_cbranch_execz .LBB277_440
; %bb.437:                              ;   in Loop: Header=BB277_15 Depth=1
	v_and_b32_e32 v0, 7, v28
	v_lshrrev_b32_e32 v1, 3, v2
	s_mov_b32 s23, exec_lo
	v_cmpx_gt_u32_e32 8, v2
; %bb.438:                              ;   in Loop: Header=BB277_15 Depth=1
	v_ffbh_u32_e32 v0, v0
	v_min_u32_e32 v2, 32, v0
	v_subrev_nc_u32_e32 v0, 28, v2
	v_lshlrev_b64 v[0:1], v0, v[3:4]
	v_sub_nc_u32_e32 v1, 29, v2
	v_and_b32_e32 v0, 7, v0
; %bb.439:                              ;   in Loop: Header=BB277_15 Depth=1
	s_or_b32 exec_lo, exec_lo, s23
	v_lshlrev_b32_e32 v2, 8, v28
	v_lshl_add_u32 v1, v1, 10, 0x2000
	v_lshlrev_b32_e32 v0, 7, v0
	v_and_b32_e32 v2, 0x8000, v2
	v_and_b32_e32 v1, 0xfc00, v1
	v_or3_b32 v123, v2, v1, v0
.LBB277_440:                            ;   in Loop: Header=BB277_15 Depth=1
	s_or_b32 exec_lo, exec_lo, s22
.LBB277_441:                            ;   in Loop: Header=BB277_15 Depth=1
	s_or_b32 exec_lo, exec_lo, s21
.LBB277_442:                            ;   in Loop: Header=BB277_15 Depth=1
	s_or_b32 exec_lo, exec_lo, s20
	v_lshrrev_b16 v3, 8, v3
	v_mov_b32_e32 v1, 0
	v_mov_b32_e32 v39, 0
	s_mov_b32 s20, exec_lo
	v_cmpx_ne_u16_e32 0, v3
	s_cbranch_execz .LBB277_450
; %bb.443:                              ;   in Loop: Header=BB277_15 Depth=1
	v_bfrev_b32_e32 v39, 1
	s_mov_b32 s21, exec_lo
	v_cmpx_ne_u16_e32 0x80, v3
	s_cbranch_execz .LBB277_449
; %bb.444:                              ;   in Loop: Header=BB277_15 Depth=1
	v_mov_b32_e32 v0, 0x7f
	v_mov_b32_e32 v39, 0x7c010000
	s_mov_b32 s22, exec_lo
	v_and_b32_sdwa v6, v3, v0 dst_sel:DWORD dst_unused:UNUSED_PAD src0_sel:WORD_0 src1_sel:DWORD
	v_cmpx_ne_u32_e32 0x7f, v6
	s_cbranch_execz .LBB277_448
; %bb.445:                              ;   in Loop: Header=BB277_15 Depth=1
	v_mov_b32_e32 v0, 7
	v_lshrrev_b32_e32 v2, 3, v6
	s_mov_b32 s23, exec_lo
	v_and_b32_sdwa v0, v3, v0 dst_sel:DWORD dst_unused:UNUSED_PAD src0_sel:WORD_0 src1_sel:DWORD
	v_cmpx_gt_u32_e32 8, v6
; %bb.446:                              ;   in Loop: Header=BB277_15 Depth=1
	v_ffbh_u32_e32 v0, v0
	v_min_u32_e32 v0, 32, v0
	v_subrev_nc_u32_e32 v2, 28, v0
	v_lshlrev_b64 v[6:7], v2, v[3:4]
	v_sub_nc_u32_e32 v2, 29, v0
	v_and_b32_e32 v0, 7, v6
; %bb.447:                              ;   in Loop: Header=BB277_15 Depth=1
	s_or_b32 exec_lo, exec_lo, s23
	v_mov_b32_e32 v6, 8
	v_lshl_add_u32 v2, v2, 10, 0x2000
	v_lshlrev_b32_e32 v0, 23, v0
	v_lshlrev_b32_sdwa v3, v6, v3 dst_sel:DWORD dst_unused:UNUSED_PAD src0_sel:DWORD src1_sel:WORD_0
	v_and_or_b32 v2, 0x8000, v3, v2
	v_lshl_or_b32 v39, v2, 16, v0
.LBB277_448:                            ;   in Loop: Header=BB277_15 Depth=1
	s_or_b32 exec_lo, exec_lo, s22
.LBB277_449:                            ;   in Loop: Header=BB277_15 Depth=1
	s_or_b32 exec_lo, exec_lo, s21
.LBB277_450:                            ;   in Loop: Header=BB277_15 Depth=1
	s_or_b32 exec_lo, exec_lo, s20
	v_lshrrev_b32_e32 v3, 16, v28
	v_cmp_ne_u16_sdwa s5, v3, v4 src0_sel:BYTE_0 src1_sel:DWORD
	s_and_saveexec_b32 s20, s5
	s_cbranch_execz .LBB277_458
; %bb.451:                              ;   in Loop: Header=BB277_15 Depth=1
	v_cmp_ne_u16_sdwa s5, v3, v54 src0_sel:BYTE_0 src1_sel:DWORD
	v_mov_b32_e32 v1, 0x8000
	s_and_saveexec_b32 s21, s5
	s_cbranch_execz .LBB277_457
; %bb.452:                              ;   in Loop: Header=BB277_15 Depth=1
	v_bfe_u32 v2, v28, 16, 7
	v_mov_b32_e32 v1, 0x7c01
	s_mov_b32 s22, exec_lo
	v_cmpx_ne_u32_e32 0x7f, v2
	s_cbranch_execz .LBB277_456
; %bb.453:                              ;   in Loop: Header=BB277_15 Depth=1
	v_and_b32_e32 v0, 7, v3
	v_lshrrev_b32_e32 v1, 3, v2
	s_mov_b32 s23, exec_lo
	v_cmpx_gt_u32_e32 8, v2
; %bb.454:                              ;   in Loop: Header=BB277_15 Depth=1
	v_ffbh_u32_e32 v0, v0
	v_min_u32_e32 v2, 32, v0
	v_subrev_nc_u32_e32 v0, 28, v2
	v_lshlrev_b64 v[0:1], v0, v[3:4]
	v_sub_nc_u32_e32 v1, 29, v2
	v_and_b32_e32 v0, 7, v0
; %bb.455:                              ;   in Loop: Header=BB277_15 Depth=1
	s_or_b32 exec_lo, exec_lo, s23
	v_lshlrev_b32_e32 v2, 8, v3
	v_lshl_add_u32 v1, v1, 10, 0x2000
	v_lshlrev_b32_e32 v0, 7, v0
	v_and_b32_e32 v2, 0x8000, v2
	v_and_b32_e32 v1, 0xfc00, v1
	v_or3_b32 v1, v2, v1, v0
.LBB277_456:                            ;   in Loop: Header=BB277_15 Depth=1
	s_or_b32 exec_lo, exec_lo, s22
.LBB277_457:                            ;   in Loop: Header=BB277_15 Depth=1
	s_or_b32 exec_lo, exec_lo, s21
.LBB277_458:                            ;   in Loop: Header=BB277_15 Depth=1
	s_or_b32 exec_lo, exec_lo, s20
	v_mov_b32_e32 v7, 0
	v_mov_b32_e32 v6, 0
	s_mov_b32 s20, exec_lo
	v_cmpx_lt_u64_e64 s[12:13], v[27:28]
	s_cbranch_execz .LBB277_466
; %bb.459:                              ;   in Loop: Header=BB277_15 Depth=1
	v_lshrrev_b32_e32 v3, 24, v28
	v_bfrev_b32_e32 v6, 1
	s_mov_b32 s21, exec_lo
	v_cmpx_ne_u32_e32 0x80, v3
	s_cbranch_execz .LBB277_465
; %bb.460:                              ;   in Loop: Header=BB277_15 Depth=1
	v_and_b32_e32 v8, 0x7f, v3
	v_mov_b32_e32 v6, 0x7c010000
	s_mov_b32 s22, exec_lo
	v_cmpx_ne_u32_e32 0x7f, v8
	s_cbranch_execz .LBB277_464
; %bb.461:                              ;   in Loop: Header=BB277_15 Depth=1
	v_and_b32_e32 v0, 7, v3
	v_lshrrev_b32_e32 v2, 3, v8
	s_mov_b32 s23, exec_lo
	v_cmpx_gt_u32_e32 8, v8
; %bb.462:                              ;   in Loop: Header=BB277_15 Depth=1
	v_ffbh_u32_e32 v0, v0
	v_min_u32_e32 v0, 32, v0
	v_subrev_nc_u32_e32 v2, 28, v0
	v_lshlrev_b64 v[8:9], v2, v[3:4]
	v_sub_nc_u32_e32 v2, 29, v0
	v_and_b32_e32 v0, 7, v8
; %bb.463:                              ;   in Loop: Header=BB277_15 Depth=1
	s_or_b32 exec_lo, exec_lo, s23
	v_lshlrev_b32_e32 v3, 8, v3
	v_lshl_add_u32 v2, v2, 10, 0x2000
	v_lshlrev_b32_e32 v0, 23, v0
	v_and_or_b32 v2, 0x8000, v3, v2
	v_lshl_or_b32 v6, v2, 16, v0
.LBB277_464:                            ;   in Loop: Header=BB277_15 Depth=1
	s_or_b32 exec_lo, exec_lo, s22
.LBB277_465:                            ;   in Loop: Header=BB277_15 Depth=1
	s_or_b32 exec_lo, exec_lo, s21
.LBB277_466:                            ;   in Loop: Header=BB277_15 Depth=1
	s_or_b32 exec_lo, exec_lo, s20
	flat_load_dwordx2 v[27:28], v[24:25] offset:1544
	s_waitcnt vmcnt(0) lgkmcnt(0)
	v_cmp_ne_u16_sdwa s5, v27, v4 src0_sel:BYTE_0 src1_sel:DWORD
	s_and_saveexec_b32 s20, s5
	s_cbranch_execz .LBB277_474
; %bb.467:                              ;   in Loop: Header=BB277_15 Depth=1
	v_cmp_ne_u16_sdwa s5, v27, v54 src0_sel:BYTE_0 src1_sel:DWORD
	v_mov_b32_e32 v7, 0x8000
	s_and_saveexec_b32 s21, s5
	s_cbranch_execz .LBB277_473
; %bb.468:                              ;   in Loop: Header=BB277_15 Depth=1
	v_and_b32_e32 v3, 0x7f, v27
	v_mov_b32_e32 v7, 0x7c01
	s_mov_b32 s22, exec_lo
	v_cmpx_ne_u32_e32 0x7f, v3
	s_cbranch_execz .LBB277_472
; %bb.469:                              ;   in Loop: Header=BB277_15 Depth=1
	v_and_b32_e32 v0, 7, v27
	v_lshrrev_b32_e32 v2, 3, v3
	s_mov_b32 s23, exec_lo
	v_cmpx_gt_u32_e32 8, v3
; %bb.470:                              ;   in Loop: Header=BB277_15 Depth=1
	v_ffbh_u32_e32 v0, v0
	v_min_u32_e32 v0, 32, v0
	v_subrev_nc_u32_e32 v2, 28, v0
	v_lshlrev_b64 v[7:8], v2, v[27:28]
	v_sub_nc_u32_e32 v2, 29, v0
	v_and_b32_e32 v0, 7, v7
; %bb.471:                              ;   in Loop: Header=BB277_15 Depth=1
	s_or_b32 exec_lo, exec_lo, s23
	v_lshlrev_b32_e32 v3, 8, v27
	v_lshl_add_u32 v2, v2, 10, 0x2000
	v_lshlrev_b32_e32 v0, 7, v0
	v_and_b32_e32 v3, 0x8000, v3
	v_and_b32_e32 v2, 0xfc00, v2
	v_or3_b32 v7, v3, v2, v0
.LBB277_472:                            ;   in Loop: Header=BB277_15 Depth=1
	s_or_b32 exec_lo, exec_lo, s22
.LBB277_473:                            ;   in Loop: Header=BB277_15 Depth=1
	s_or_b32 exec_lo, exec_lo, s21
.LBB277_474:                            ;   in Loop: Header=BB277_15 Depth=1
	s_or_b32 exec_lo, exec_lo, s20
	v_lshrrev_b16 v3, 8, v27
	v_mov_b32_e32 v11, 0
	v_mov_b32_e32 v10, 0
	s_mov_b32 s20, exec_lo
	v_cmpx_ne_u16_e32 0, v3
	s_cbranch_execz .LBB277_482
; %bb.475:                              ;   in Loop: Header=BB277_15 Depth=1
	v_bfrev_b32_e32 v10, 1
	s_mov_b32 s21, exec_lo
	v_cmpx_ne_u16_e32 0x80, v3
	s_cbranch_execz .LBB277_481
; %bb.476:                              ;   in Loop: Header=BB277_15 Depth=1
	v_mov_b32_e32 v0, 0x7f
	v_mov_b32_e32 v10, 0x7c010000
	s_mov_b32 s22, exec_lo
	v_and_b32_sdwa v8, v3, v0 dst_sel:DWORD dst_unused:UNUSED_PAD src0_sel:WORD_0 src1_sel:DWORD
	v_cmpx_ne_u32_e32 0x7f, v8
	s_cbranch_execz .LBB277_480
; %bb.477:                              ;   in Loop: Header=BB277_15 Depth=1
	v_mov_b32_e32 v0, 7
	v_lshrrev_b32_e32 v2, 3, v8
	s_mov_b32 s23, exec_lo
	v_and_b32_sdwa v0, v3, v0 dst_sel:DWORD dst_unused:UNUSED_PAD src0_sel:WORD_0 src1_sel:DWORD
	v_cmpx_gt_u32_e32 8, v8
; %bb.478:                              ;   in Loop: Header=BB277_15 Depth=1
	v_ffbh_u32_e32 v0, v0
	v_min_u32_e32 v0, 32, v0
	v_subrev_nc_u32_e32 v2, 28, v0
	v_lshlrev_b64 v[8:9], v2, v[3:4]
	v_sub_nc_u32_e32 v2, 29, v0
	v_and_b32_e32 v0, 7, v8
; %bb.479:                              ;   in Loop: Header=BB277_15 Depth=1
	s_or_b32 exec_lo, exec_lo, s23
	v_mov_b32_e32 v8, 8
	v_lshl_add_u32 v2, v2, 10, 0x2000
	v_lshlrev_b32_e32 v0, 23, v0
	v_lshlrev_b32_sdwa v3, v8, v3 dst_sel:DWORD dst_unused:UNUSED_PAD src0_sel:DWORD src1_sel:WORD_0
	v_and_or_b32 v2, 0x8000, v3, v2
	v_lshl_or_b32 v10, v2, 16, v0
.LBB277_480:                            ;   in Loop: Header=BB277_15 Depth=1
	s_or_b32 exec_lo, exec_lo, s22
.LBB277_481:                            ;   in Loop: Header=BB277_15 Depth=1
	s_or_b32 exec_lo, exec_lo, s21
.LBB277_482:                            ;   in Loop: Header=BB277_15 Depth=1
	s_or_b32 exec_lo, exec_lo, s20
	v_lshrrev_b32_e32 v3, 16, v27
	v_cmp_ne_u16_sdwa s5, v3, v4 src0_sel:BYTE_0 src1_sel:DWORD
	s_and_saveexec_b32 s20, s5
	s_cbranch_execz .LBB277_490
; %bb.483:                              ;   in Loop: Header=BB277_15 Depth=1
	v_cmp_ne_u16_sdwa s5, v3, v54 src0_sel:BYTE_0 src1_sel:DWORD
	v_mov_b32_e32 v11, 0x8000
	s_and_saveexec_b32 s21, s5
	s_cbranch_execz .LBB277_489
; %bb.484:                              ;   in Loop: Header=BB277_15 Depth=1
	v_bfe_u32 v8, v27, 16, 7
	v_mov_b32_e32 v11, 0x7c01
	s_mov_b32 s22, exec_lo
	v_cmpx_ne_u32_e32 0x7f, v8
	s_cbranch_execz .LBB277_488
; %bb.485:                              ;   in Loop: Header=BB277_15 Depth=1
	v_and_b32_e32 v0, 7, v3
	v_lshrrev_b32_e32 v2, 3, v8
	s_mov_b32 s23, exec_lo
	v_cmpx_gt_u32_e32 8, v8
; %bb.486:                              ;   in Loop: Header=BB277_15 Depth=1
	v_ffbh_u32_e32 v0, v0
	v_min_u32_e32 v0, 32, v0
	v_subrev_nc_u32_e32 v2, 28, v0
	v_lshlrev_b64 v[8:9], v2, v[3:4]
	v_sub_nc_u32_e32 v2, 29, v0
	v_and_b32_e32 v0, 7, v8
; %bb.487:                              ;   in Loop: Header=BB277_15 Depth=1
	s_or_b32 exec_lo, exec_lo, s23
	v_lshlrev_b32_e32 v3, 8, v3
	v_lshl_add_u32 v2, v2, 10, 0x2000
	v_lshlrev_b32_e32 v0, 7, v0
	v_and_b32_e32 v3, 0x8000, v3
	v_and_b32_e32 v2, 0xfc00, v2
	v_or3_b32 v11, v3, v2, v0
.LBB277_488:                            ;   in Loop: Header=BB277_15 Depth=1
	s_or_b32 exec_lo, exec_lo, s22
.LBB277_489:                            ;   in Loop: Header=BB277_15 Depth=1
	s_or_b32 exec_lo, exec_lo, s21
.LBB277_490:                            ;   in Loop: Header=BB277_15 Depth=1
	s_or_b32 exec_lo, exec_lo, s20
	v_mov_b32_e32 v48, 0
	v_mov_b32_e32 v12, 0
	s_mov_b32 s20, exec_lo
	v_cmpx_lt_u32_e32 0xffffff, v27
	s_cbranch_execz .LBB277_498
; %bb.491:                              ;   in Loop: Header=BB277_15 Depth=1
	v_lshrrev_b32_e32 v3, 24, v27
	v_bfrev_b32_e32 v12, 1
	s_mov_b32 s21, exec_lo
	v_cmpx_ne_u32_e32 0x80, v3
	s_cbranch_execz .LBB277_497
; %bb.492:                              ;   in Loop: Header=BB277_15 Depth=1
	v_and_b32_e32 v8, 0x7f, v3
	v_mov_b32_e32 v12, 0x7c010000
	s_mov_b32 s22, exec_lo
	v_cmpx_ne_u32_e32 0x7f, v8
	s_cbranch_execz .LBB277_496
; %bb.493:                              ;   in Loop: Header=BB277_15 Depth=1
	v_and_b32_e32 v0, 7, v3
	v_lshrrev_b32_e32 v2, 3, v8
	s_mov_b32 s23, exec_lo
	v_cmpx_gt_u32_e32 8, v8
; %bb.494:                              ;   in Loop: Header=BB277_15 Depth=1
	v_ffbh_u32_e32 v0, v0
	v_min_u32_e32 v0, 32, v0
	v_subrev_nc_u32_e32 v2, 28, v0
	v_lshlrev_b64 v[8:9], v2, v[3:4]
	v_sub_nc_u32_e32 v2, 29, v0
	v_and_b32_e32 v0, 7, v8
; %bb.495:                              ;   in Loop: Header=BB277_15 Depth=1
	s_or_b32 exec_lo, exec_lo, s23
	v_lshlrev_b32_e32 v3, 8, v3
	v_lshl_add_u32 v2, v2, 10, 0x2000
	v_lshlrev_b32_e32 v0, 23, v0
	v_and_or_b32 v2, 0x8000, v3, v2
	v_lshl_or_b32 v12, v2, 16, v0
.LBB277_496:                            ;   in Loop: Header=BB277_15 Depth=1
	s_or_b32 exec_lo, exec_lo, s22
.LBB277_497:                            ;   in Loop: Header=BB277_15 Depth=1
	s_or_b32 exec_lo, exec_lo, s21
.LBB277_498:                            ;   in Loop: Header=BB277_15 Depth=1
	s_or_b32 exec_lo, exec_lo, s20
	v_mov_b32_e32 v3, v28
	v_cmp_ne_u16_sdwa s5, v28, v4 src0_sel:BYTE_0 src1_sel:DWORD
	s_and_saveexec_b32 s20, s5
	s_cbranch_execz .LBB277_506
; %bb.499:                              ;   in Loop: Header=BB277_15 Depth=1
	v_cmp_ne_u16_sdwa s5, v28, v54 src0_sel:BYTE_0 src1_sel:DWORD
	v_mov_b32_e32 v48, 0x8000
	s_and_saveexec_b32 s21, s5
	s_cbranch_execz .LBB277_505
; %bb.500:                              ;   in Loop: Header=BB277_15 Depth=1
	v_and_b32_e32 v8, 0x7f, v28
	v_mov_b32_e32 v48, 0x7c01
	s_mov_b32 s22, exec_lo
	v_cmpx_ne_u32_e32 0x7f, v8
	s_cbranch_execz .LBB277_504
; %bb.501:                              ;   in Loop: Header=BB277_15 Depth=1
	v_and_b32_e32 v0, 7, v28
	v_lshrrev_b32_e32 v2, 3, v8
	s_mov_b32 s23, exec_lo
	v_cmpx_gt_u32_e32 8, v8
; %bb.502:                              ;   in Loop: Header=BB277_15 Depth=1
	v_ffbh_u32_e32 v0, v0
	v_min_u32_e32 v0, 32, v0
	v_subrev_nc_u32_e32 v2, 28, v0
	v_lshlrev_b64 v[8:9], v2, v[3:4]
	v_sub_nc_u32_e32 v2, 29, v0
	v_and_b32_e32 v0, 7, v8
; %bb.503:                              ;   in Loop: Header=BB277_15 Depth=1
	s_or_b32 exec_lo, exec_lo, s23
	v_lshlrev_b32_e32 v8, 8, v28
	v_lshl_add_u32 v2, v2, 10, 0x2000
	v_lshlrev_b32_e32 v0, 7, v0
	v_and_b32_e32 v8, 0x8000, v8
	v_and_b32_e32 v2, 0xfc00, v2
	v_or3_b32 v48, v8, v2, v0
.LBB277_504:                            ;   in Loop: Header=BB277_15 Depth=1
	s_or_b32 exec_lo, exec_lo, s22
.LBB277_505:                            ;   in Loop: Header=BB277_15 Depth=1
	s_or_b32 exec_lo, exec_lo, s21
.LBB277_506:                            ;   in Loop: Header=BB277_15 Depth=1
	s_or_b32 exec_lo, exec_lo, s20
	v_lshrrev_b16 v3, 8, v3
	v_mov_b32_e32 v32, 0
	v_mov_b32_e32 v29, 0
	s_mov_b32 s20, exec_lo
	v_cmpx_ne_u16_e32 0, v3
	s_cbranch_execz .LBB277_514
; %bb.507:                              ;   in Loop: Header=BB277_15 Depth=1
	v_bfrev_b32_e32 v29, 1
	s_mov_b32 s21, exec_lo
	v_cmpx_ne_u16_e32 0x80, v3
	s_cbranch_execz .LBB277_513
; %bb.508:                              ;   in Loop: Header=BB277_15 Depth=1
	v_mov_b32_e32 v0, 0x7f
	v_mov_b32_e32 v29, 0x7c010000
	s_mov_b32 s22, exec_lo
	v_and_b32_sdwa v8, v3, v0 dst_sel:DWORD dst_unused:UNUSED_PAD src0_sel:WORD_0 src1_sel:DWORD
	v_cmpx_ne_u32_e32 0x7f, v8
	s_cbranch_execz .LBB277_512
; %bb.509:                              ;   in Loop: Header=BB277_15 Depth=1
	v_mov_b32_e32 v0, 7
	v_lshrrev_b32_e32 v2, 3, v8
	s_mov_b32 s23, exec_lo
	v_and_b32_sdwa v0, v3, v0 dst_sel:DWORD dst_unused:UNUSED_PAD src0_sel:WORD_0 src1_sel:DWORD
	v_cmpx_gt_u32_e32 8, v8
; %bb.510:                              ;   in Loop: Header=BB277_15 Depth=1
	v_ffbh_u32_e32 v0, v0
	v_min_u32_e32 v0, 32, v0
	v_subrev_nc_u32_e32 v2, 28, v0
	v_lshlrev_b64 v[8:9], v2, v[3:4]
	v_sub_nc_u32_e32 v2, 29, v0
	v_and_b32_e32 v0, 7, v8
; %bb.511:                              ;   in Loop: Header=BB277_15 Depth=1
	s_or_b32 exec_lo, exec_lo, s23
	v_mov_b32_e32 v8, 8
	v_lshl_add_u32 v2, v2, 10, 0x2000
	v_lshlrev_b32_e32 v0, 23, v0
	v_lshlrev_b32_sdwa v3, v8, v3 dst_sel:DWORD dst_unused:UNUSED_PAD src0_sel:DWORD src1_sel:WORD_0
	v_and_or_b32 v2, 0x8000, v3, v2
	v_lshl_or_b32 v29, v2, 16, v0
.LBB277_512:                            ;   in Loop: Header=BB277_15 Depth=1
	s_or_b32 exec_lo, exec_lo, s22
.LBB277_513:                            ;   in Loop: Header=BB277_15 Depth=1
	s_or_b32 exec_lo, exec_lo, s21
.LBB277_514:                            ;   in Loop: Header=BB277_15 Depth=1
	s_or_b32 exec_lo, exec_lo, s20
	v_lshrrev_b32_e32 v3, 16, v28
	v_cmp_ne_u16_sdwa s5, v3, v4 src0_sel:BYTE_0 src1_sel:DWORD
	s_and_saveexec_b32 s20, s5
	s_cbranch_execz .LBB277_522
; %bb.515:                              ;   in Loop: Header=BB277_15 Depth=1
	v_cmp_ne_u16_sdwa s5, v3, v54 src0_sel:BYTE_0 src1_sel:DWORD
	v_mov_b32_e32 v32, 0x8000
	s_and_saveexec_b32 s21, s5
	s_cbranch_execz .LBB277_521
; %bb.516:                              ;   in Loop: Header=BB277_15 Depth=1
	v_bfe_u32 v8, v28, 16, 7
	v_mov_b32_e32 v32, 0x7c01
	s_mov_b32 s22, exec_lo
	v_cmpx_ne_u32_e32 0x7f, v8
	s_cbranch_execz .LBB277_520
; %bb.517:                              ;   in Loop: Header=BB277_15 Depth=1
	v_and_b32_e32 v0, 7, v3
	v_lshrrev_b32_e32 v2, 3, v8
	s_mov_b32 s23, exec_lo
	v_cmpx_gt_u32_e32 8, v8
; %bb.518:                              ;   in Loop: Header=BB277_15 Depth=1
	v_ffbh_u32_e32 v0, v0
	v_min_u32_e32 v0, 32, v0
	v_subrev_nc_u32_e32 v2, 28, v0
	v_lshlrev_b64 v[8:9], v2, v[3:4]
	v_sub_nc_u32_e32 v2, 29, v0
	v_and_b32_e32 v0, 7, v8
; %bb.519:                              ;   in Loop: Header=BB277_15 Depth=1
	s_or_b32 exec_lo, exec_lo, s23
	v_lshlrev_b32_e32 v3, 8, v3
	v_lshl_add_u32 v2, v2, 10, 0x2000
	v_lshlrev_b32_e32 v0, 7, v0
	v_and_b32_e32 v3, 0x8000, v3
	v_and_b32_e32 v2, 0xfc00, v2
	v_or3_b32 v32, v3, v2, v0
.LBB277_520:                            ;   in Loop: Header=BB277_15 Depth=1
	s_or_b32 exec_lo, exec_lo, s22
.LBB277_521:                            ;   in Loop: Header=BB277_15 Depth=1
	s_or_b32 exec_lo, exec_lo, s21
.LBB277_522:                            ;   in Loop: Header=BB277_15 Depth=1
	s_or_b32 exec_lo, exec_lo, s20
	v_mov_b32_e32 v0, 0
	v_mov_b32_e32 v66, 0
	s_mov_b32 s20, exec_lo
	v_cmpx_lt_u64_e64 s[12:13], v[27:28]
	s_cbranch_execz .LBB277_530
; %bb.523:                              ;   in Loop: Header=BB277_15 Depth=1
	v_lshrrev_b32_e32 v3, 24, v28
	v_bfrev_b32_e32 v66, 1
	s_mov_b32 s21, exec_lo
	v_cmpx_ne_u32_e32 0x80, v3
	s_cbranch_execz .LBB277_529
; %bb.524:                              ;   in Loop: Header=BB277_15 Depth=1
	v_and_b32_e32 v9, 0x7f, v3
	v_mov_b32_e32 v66, 0x7c010000
	s_mov_b32 s22, exec_lo
	v_cmpx_ne_u32_e32 0x7f, v9
	s_cbranch_execz .LBB277_528
; %bb.525:                              ;   in Loop: Header=BB277_15 Depth=1
	v_and_b32_e32 v2, 7, v3
	v_lshrrev_b32_e32 v8, 3, v9
	s_mov_b32 s23, exec_lo
	v_cmpx_gt_u32_e32 8, v9
; %bb.526:                              ;   in Loop: Header=BB277_15 Depth=1
	v_ffbh_u32_e32 v2, v2
	v_min_u32_e32 v2, 32, v2
	v_subrev_nc_u32_e32 v8, 28, v2
	v_lshlrev_b64 v[13:14], v8, v[3:4]
	v_sub_nc_u32_e32 v8, 29, v2
	v_and_b32_e32 v2, 7, v13
; %bb.527:                              ;   in Loop: Header=BB277_15 Depth=1
	s_or_b32 exec_lo, exec_lo, s23
	v_lshlrev_b32_e32 v3, 8, v3
	v_lshl_add_u32 v8, v8, 10, 0x2000
	v_lshlrev_b32_e32 v2, 23, v2
	v_and_or_b32 v3, 0x8000, v3, v8
	v_lshl_or_b32 v66, v3, 16, v2
.LBB277_528:                            ;   in Loop: Header=BB277_15 Depth=1
	s_or_b32 exec_lo, exec_lo, s22
.LBB277_529:                            ;   in Loop: Header=BB277_15 Depth=1
	s_or_b32 exec_lo, exec_lo, s21
.LBB277_530:                            ;   in Loop: Header=BB277_15 Depth=1
	s_or_b32 exec_lo, exec_lo, s20
	v_add_co_u32 v24, s5, 0x800, v24
	v_add_co_ci_u32_e64 v25, null, 0, v25, s5
	flat_load_dwordx2 v[27:28], v[24:25]
	s_waitcnt vmcnt(0) lgkmcnt(0)
	v_cmp_ne_u16_sdwa s5, v27, v4 src0_sel:BYTE_0 src1_sel:DWORD
	s_and_saveexec_b32 s20, s5
	s_cbranch_execz .LBB277_538
; %bb.531:                              ;   in Loop: Header=BB277_15 Depth=1
	v_cmp_ne_u16_sdwa s5, v27, v54 src0_sel:BYTE_0 src1_sel:DWORD
	v_mov_b32_e32 v0, 0x8000
	s_and_saveexec_b32 s21, s5
	s_cbranch_execz .LBB277_537
; %bb.532:                              ;   in Loop: Header=BB277_15 Depth=1
	v_and_b32_e32 v3, 0x7f, v27
	v_mov_b32_e32 v0, 0x7c01
	s_mov_b32 s22, exec_lo
	v_cmpx_ne_u32_e32 0x7f, v3
	s_cbranch_execz .LBB277_536
; %bb.533:                              ;   in Loop: Header=BB277_15 Depth=1
	v_and_b32_e32 v0, 7, v27
	v_lshrrev_b32_e32 v2, 3, v3
	s_mov_b32 s23, exec_lo
	v_cmpx_gt_u32_e32 8, v3
; %bb.534:                              ;   in Loop: Header=BB277_15 Depth=1
	v_ffbh_u32_e32 v0, v0
	v_min_u32_e32 v0, 32, v0
	v_subrev_nc_u32_e32 v2, 28, v0
	v_lshlrev_b64 v[8:9], v2, v[27:28]
	v_sub_nc_u32_e32 v2, 29, v0
	v_and_b32_e32 v0, 7, v8
; %bb.535:                              ;   in Loop: Header=BB277_15 Depth=1
	s_or_b32 exec_lo, exec_lo, s23
	v_lshlrev_b32_e32 v3, 8, v27
	v_lshl_add_u32 v2, v2, 10, 0x2000
	v_lshlrev_b32_e32 v0, 7, v0
	v_and_b32_e32 v3, 0x8000, v3
	v_and_b32_e32 v2, 0xfc00, v2
	v_or3_b32 v0, v3, v2, v0
.LBB277_536:                            ;   in Loop: Header=BB277_15 Depth=1
	s_or_b32 exec_lo, exec_lo, s22
.LBB277_537:                            ;   in Loop: Header=BB277_15 Depth=1
	s_or_b32 exec_lo, exec_lo, s21
.LBB277_538:                            ;   in Loop: Header=BB277_15 Depth=1
	s_or_b32 exec_lo, exec_lo, s20
	v_lshrrev_b16 v3, 8, v27
	v_mov_b32_e32 v8, 0
	v_mov_b32_e32 v13, 0
	s_mov_b32 s20, exec_lo
	v_cmpx_ne_u16_e32 0, v3
	s_cbranch_execz .LBB277_546
; %bb.539:                              ;   in Loop: Header=BB277_15 Depth=1
	v_bfrev_b32_e32 v13, 1
	s_mov_b32 s21, exec_lo
	v_cmpx_ne_u16_e32 0x80, v3
	s_cbranch_execz .LBB277_545
; %bb.540:                              ;   in Loop: Header=BB277_15 Depth=1
	v_mov_b32_e32 v2, 0x7f
	v_mov_b32_e32 v13, 0x7c010000
	s_mov_b32 s22, exec_lo
	v_and_b32_sdwa v14, v3, v2 dst_sel:DWORD dst_unused:UNUSED_PAD src0_sel:WORD_0 src1_sel:DWORD
	v_cmpx_ne_u32_e32 0x7f, v14
	s_cbranch_execz .LBB277_544
; %bb.541:                              ;   in Loop: Header=BB277_15 Depth=1
	v_mov_b32_e32 v2, 7
	v_lshrrev_b32_e32 v9, 3, v14
	s_mov_b32 s23, exec_lo
	v_and_b32_sdwa v2, v3, v2 dst_sel:DWORD dst_unused:UNUSED_PAD src0_sel:WORD_0 src1_sel:DWORD
	v_cmpx_gt_u32_e32 8, v14
; %bb.542:                              ;   in Loop: Header=BB277_15 Depth=1
	v_ffbh_u32_e32 v2, v2
	v_min_u32_e32 v2, 32, v2
	v_subrev_nc_u32_e32 v9, 28, v2
	v_lshlrev_b64 v[13:14], v9, v[3:4]
	v_sub_nc_u32_e32 v9, 29, v2
	v_and_b32_e32 v2, 7, v13
; %bb.543:                              ;   in Loop: Header=BB277_15 Depth=1
	s_or_b32 exec_lo, exec_lo, s23
	v_mov_b32_e32 v13, 8
	v_lshl_add_u32 v9, v9, 10, 0x2000
	v_lshlrev_b32_e32 v2, 23, v2
	v_lshlrev_b32_sdwa v3, v13, v3 dst_sel:DWORD dst_unused:UNUSED_PAD src0_sel:DWORD src1_sel:WORD_0
	v_and_or_b32 v3, 0x8000, v3, v9
	v_lshl_or_b32 v13, v3, 16, v2
.LBB277_544:                            ;   in Loop: Header=BB277_15 Depth=1
	s_or_b32 exec_lo, exec_lo, s22
.LBB277_545:                            ;   in Loop: Header=BB277_15 Depth=1
	s_or_b32 exec_lo, exec_lo, s21
.LBB277_546:                            ;   in Loop: Header=BB277_15 Depth=1
	s_or_b32 exec_lo, exec_lo, s20
	v_lshrrev_b32_e32 v3, 16, v27
	v_cmp_ne_u16_sdwa s5, v3, v4 src0_sel:BYTE_0 src1_sel:DWORD
	s_and_saveexec_b32 s20, s5
	s_cbranch_execz .LBB277_554
; %bb.547:                              ;   in Loop: Header=BB277_15 Depth=1
	v_cmp_ne_u16_sdwa s5, v3, v54 src0_sel:BYTE_0 src1_sel:DWORD
	v_mov_b32_e32 v8, 0x8000
	s_and_saveexec_b32 s21, s5
	s_cbranch_execz .LBB277_553
; %bb.548:                              ;   in Loop: Header=BB277_15 Depth=1
	v_bfe_u32 v9, v27, 16, 7
	v_mov_b32_e32 v8, 0x7c01
	s_mov_b32 s22, exec_lo
	v_cmpx_ne_u32_e32 0x7f, v9
	s_cbranch_execz .LBB277_552
; %bb.549:                              ;   in Loop: Header=BB277_15 Depth=1
	v_and_b32_e32 v2, 7, v3
	v_lshrrev_b32_e32 v8, 3, v9
	s_mov_b32 s23, exec_lo
	v_cmpx_gt_u32_e32 8, v9
; %bb.550:                              ;   in Loop: Header=BB277_15 Depth=1
	v_ffbh_u32_e32 v2, v2
	v_min_u32_e32 v2, 32, v2
	v_subrev_nc_u32_e32 v8, 28, v2
	v_lshlrev_b64 v[14:15], v8, v[3:4]
	v_sub_nc_u32_e32 v8, 29, v2
	v_and_b32_e32 v2, 7, v14
; %bb.551:                              ;   in Loop: Header=BB277_15 Depth=1
	s_or_b32 exec_lo, exec_lo, s23
	v_lshlrev_b32_e32 v3, 8, v3
	v_lshl_add_u32 v8, v8, 10, 0x2000
	v_lshlrev_b32_e32 v2, 7, v2
	v_and_b32_e32 v3, 0x8000, v3
	v_and_b32_e32 v8, 0xfc00, v8
	v_or3_b32 v8, v3, v8, v2
.LBB277_552:                            ;   in Loop: Header=BB277_15 Depth=1
	s_or_b32 exec_lo, exec_lo, s22
.LBB277_553:                            ;   in Loop: Header=BB277_15 Depth=1
	s_or_b32 exec_lo, exec_lo, s21
.LBB277_554:                            ;   in Loop: Header=BB277_15 Depth=1
	s_or_b32 exec_lo, exec_lo, s20
	v_mov_b32_e32 v26, 0
	v_mov_b32_e32 v31, 0
	s_mov_b32 s20, exec_lo
	v_cmpx_lt_u32_e32 0xffffff, v27
	s_cbranch_execz .LBB277_562
; %bb.555:                              ;   in Loop: Header=BB277_15 Depth=1
	v_lshrrev_b32_e32 v3, 24, v27
	v_bfrev_b32_e32 v31, 1
	s_mov_b32 s21, exec_lo
	v_cmpx_ne_u32_e32 0x80, v3
	s_cbranch_execz .LBB277_561
; %bb.556:                              ;   in Loop: Header=BB277_15 Depth=1
	v_and_b32_e32 v14, 0x7f, v3
	v_mov_b32_e32 v31, 0x7c010000
	s_mov_b32 s22, exec_lo
	v_cmpx_ne_u32_e32 0x7f, v14
	s_cbranch_execz .LBB277_560
; %bb.557:                              ;   in Loop: Header=BB277_15 Depth=1
	v_and_b32_e32 v2, 7, v3
	v_lshrrev_b32_e32 v9, 3, v14
	s_mov_b32 s23, exec_lo
	v_cmpx_gt_u32_e32 8, v14
; %bb.558:                              ;   in Loop: Header=BB277_15 Depth=1
	v_ffbh_u32_e32 v2, v2
	v_min_u32_e32 v2, 32, v2
	v_subrev_nc_u32_e32 v9, 28, v2
	v_lshlrev_b64 v[14:15], v9, v[3:4]
	v_sub_nc_u32_e32 v9, 29, v2
	v_and_b32_e32 v2, 7, v14
; %bb.559:                              ;   in Loop: Header=BB277_15 Depth=1
	s_or_b32 exec_lo, exec_lo, s23
	v_lshlrev_b32_e32 v3, 8, v3
	v_lshl_add_u32 v9, v9, 10, 0x2000
	v_lshlrev_b32_e32 v2, 23, v2
	v_and_or_b32 v3, 0x8000, v3, v9
	v_lshl_or_b32 v31, v3, 16, v2
.LBB277_560:                            ;   in Loop: Header=BB277_15 Depth=1
	s_or_b32 exec_lo, exec_lo, s22
.LBB277_561:                            ;   in Loop: Header=BB277_15 Depth=1
	s_or_b32 exec_lo, exec_lo, s21
.LBB277_562:                            ;   in Loop: Header=BB277_15 Depth=1
	s_or_b32 exec_lo, exec_lo, s20
	v_mov_b32_e32 v3, v28
	v_cmp_ne_u16_sdwa s5, v28, v4 src0_sel:BYTE_0 src1_sel:DWORD
	s_and_saveexec_b32 s20, s5
	s_cbranch_execz .LBB277_570
; %bb.563:                              ;   in Loop: Header=BB277_15 Depth=1
	v_cmp_ne_u16_sdwa s5, v28, v54 src0_sel:BYTE_0 src1_sel:DWORD
	v_mov_b32_e32 v26, 0x8000
	s_and_saveexec_b32 s21, s5
	s_cbranch_execz .LBB277_569
; %bb.564:                              ;   in Loop: Header=BB277_15 Depth=1
	v_and_b32_e32 v14, 0x7f, v28
	v_mov_b32_e32 v26, 0x7c01
	s_mov_b32 s22, exec_lo
	v_cmpx_ne_u32_e32 0x7f, v14
	s_cbranch_execz .LBB277_568
; %bb.565:                              ;   in Loop: Header=BB277_15 Depth=1
	v_and_b32_e32 v2, 7, v28
	v_lshrrev_b32_e32 v9, 3, v14
	s_mov_b32 s23, exec_lo
	v_cmpx_gt_u32_e32 8, v14
; %bb.566:                              ;   in Loop: Header=BB277_15 Depth=1
	v_ffbh_u32_e32 v2, v2
	v_min_u32_e32 v2, 32, v2
	v_subrev_nc_u32_e32 v9, 28, v2
	v_lshlrev_b64 v[14:15], v9, v[3:4]
	v_sub_nc_u32_e32 v9, 29, v2
	v_and_b32_e32 v2, 7, v14
; %bb.567:                              ;   in Loop: Header=BB277_15 Depth=1
	s_or_b32 exec_lo, exec_lo, s23
	v_lshlrev_b32_e32 v14, 8, v28
	v_lshl_add_u32 v9, v9, 10, 0x2000
	v_lshlrev_b32_e32 v2, 7, v2
	v_and_b32_e32 v14, 0x8000, v14
	v_and_b32_e32 v9, 0xfc00, v9
	v_or3_b32 v26, v14, v9, v2
.LBB277_568:                            ;   in Loop: Header=BB277_15 Depth=1
	s_or_b32 exec_lo, exec_lo, s22
.LBB277_569:                            ;   in Loop: Header=BB277_15 Depth=1
	s_or_b32 exec_lo, exec_lo, s21
.LBB277_570:                            ;   in Loop: Header=BB277_15 Depth=1
	s_or_b32 exec_lo, exec_lo, s20
	v_lshrrev_b16 v3, 8, v3
	v_mov_b32_e32 v38, 0
	v_mov_b32_e32 v111, 0
	s_mov_b32 s20, exec_lo
	v_cmpx_ne_u16_e32 0, v3
	s_cbranch_execz .LBB277_578
; %bb.571:                              ;   in Loop: Header=BB277_15 Depth=1
	v_bfrev_b32_e32 v111, 1
	s_mov_b32 s21, exec_lo
	v_cmpx_ne_u16_e32 0x80, v3
	s_cbranch_execz .LBB277_577
; %bb.572:                              ;   in Loop: Header=BB277_15 Depth=1
	v_mov_b32_e32 v2, 0x7f
	v_mov_b32_e32 v111, 0x7c010000
	s_mov_b32 s22, exec_lo
	v_and_b32_sdwa v14, v3, v2 dst_sel:DWORD dst_unused:UNUSED_PAD src0_sel:WORD_0 src1_sel:DWORD
	v_cmpx_ne_u32_e32 0x7f, v14
	s_cbranch_execz .LBB277_576
; %bb.573:                              ;   in Loop: Header=BB277_15 Depth=1
	v_mov_b32_e32 v2, 7
	v_lshrrev_b32_e32 v9, 3, v14
	s_mov_b32 s23, exec_lo
	v_and_b32_sdwa v2, v3, v2 dst_sel:DWORD dst_unused:UNUSED_PAD src0_sel:WORD_0 src1_sel:DWORD
	v_cmpx_gt_u32_e32 8, v14
; %bb.574:                              ;   in Loop: Header=BB277_15 Depth=1
	v_ffbh_u32_e32 v2, v2
	v_min_u32_e32 v2, 32, v2
	v_subrev_nc_u32_e32 v9, 28, v2
	v_lshlrev_b64 v[14:15], v9, v[3:4]
	v_sub_nc_u32_e32 v9, 29, v2
	v_and_b32_e32 v2, 7, v14
; %bb.575:                              ;   in Loop: Header=BB277_15 Depth=1
	s_or_b32 exec_lo, exec_lo, s23
	v_mov_b32_e32 v14, 8
	v_lshl_add_u32 v9, v9, 10, 0x2000
	v_lshlrev_b32_e32 v2, 23, v2
	v_lshlrev_b32_sdwa v3, v14, v3 dst_sel:DWORD dst_unused:UNUSED_PAD src0_sel:DWORD src1_sel:WORD_0
	v_and_or_b32 v3, 0x8000, v3, v9
	v_lshl_or_b32 v111, v3, 16, v2
.LBB277_576:                            ;   in Loop: Header=BB277_15 Depth=1
	s_or_b32 exec_lo, exec_lo, s22
.LBB277_577:                            ;   in Loop: Header=BB277_15 Depth=1
	s_or_b32 exec_lo, exec_lo, s21
.LBB277_578:                            ;   in Loop: Header=BB277_15 Depth=1
	s_or_b32 exec_lo, exec_lo, s20
	v_lshrrev_b32_e32 v3, 16, v28
	v_cmp_ne_u16_sdwa s5, v3, v4 src0_sel:BYTE_0 src1_sel:DWORD
	s_and_saveexec_b32 s20, s5
	s_cbranch_execz .LBB277_586
; %bb.579:                              ;   in Loop: Header=BB277_15 Depth=1
	v_cmp_ne_u16_sdwa s5, v3, v54 src0_sel:BYTE_0 src1_sel:DWORD
	v_mov_b32_e32 v38, 0x8000
	s_and_saveexec_b32 s21, s5
	s_cbranch_execz .LBB277_585
; %bb.580:                              ;   in Loop: Header=BB277_15 Depth=1
	v_bfe_u32 v14, v28, 16, 7
	v_mov_b32_e32 v38, 0x7c01
	s_mov_b32 s22, exec_lo
	v_cmpx_ne_u32_e32 0x7f, v14
	s_cbranch_execz .LBB277_584
; %bb.581:                              ;   in Loop: Header=BB277_15 Depth=1
	v_and_b32_e32 v2, 7, v3
	v_lshrrev_b32_e32 v9, 3, v14
	s_mov_b32 s23, exec_lo
	v_cmpx_gt_u32_e32 8, v14
; %bb.582:                              ;   in Loop: Header=BB277_15 Depth=1
	v_ffbh_u32_e32 v2, v2
	v_min_u32_e32 v2, 32, v2
	v_subrev_nc_u32_e32 v9, 28, v2
	v_lshlrev_b64 v[14:15], v9, v[3:4]
	v_sub_nc_u32_e32 v9, 29, v2
	v_and_b32_e32 v2, 7, v14
; %bb.583:                              ;   in Loop: Header=BB277_15 Depth=1
	s_or_b32 exec_lo, exec_lo, s23
	v_lshlrev_b32_e32 v3, 8, v3
	v_lshl_add_u32 v9, v9, 10, 0x2000
	v_lshlrev_b32_e32 v2, 7, v2
	v_and_b32_e32 v3, 0x8000, v3
	v_and_b32_e32 v9, 0xfc00, v9
	v_or3_b32 v38, v3, v9, v2
.LBB277_584:                            ;   in Loop: Header=BB277_15 Depth=1
	s_or_b32 exec_lo, exec_lo, s22
.LBB277_585:                            ;   in Loop: Header=BB277_15 Depth=1
	s_or_b32 exec_lo, exec_lo, s21
.LBB277_586:                            ;   in Loop: Header=BB277_15 Depth=1
	s_or_b32 exec_lo, exec_lo, s20
	v_mov_b32_e32 v15, 0
	v_mov_b32_e32 v14, 0
	s_mov_b32 s20, exec_lo
	v_cmpx_lt_u64_e64 s[12:13], v[27:28]
	s_cbranch_execz .LBB277_594
; %bb.587:                              ;   in Loop: Header=BB277_15 Depth=1
	v_lshrrev_b32_e32 v3, 24, v28
	v_bfrev_b32_e32 v14, 1
	s_mov_b32 s21, exec_lo
	v_cmpx_ne_u32_e32 0x80, v3
	s_cbranch_execz .LBB277_593
; %bb.588:                              ;   in Loop: Header=BB277_15 Depth=1
	v_and_b32_e32 v18, 0x7f, v3
	v_mov_b32_e32 v14, 0x7c010000
	s_mov_b32 s22, exec_lo
	v_cmpx_ne_u32_e32 0x7f, v18
	s_cbranch_execz .LBB277_592
; %bb.589:                              ;   in Loop: Header=BB277_15 Depth=1
	v_and_b32_e32 v2, 7, v3
	v_lshrrev_b32_e32 v9, 3, v18
	s_mov_b32 s23, exec_lo
	v_cmpx_gt_u32_e32 8, v18
; %bb.590:                              ;   in Loop: Header=BB277_15 Depth=1
	v_ffbh_u32_e32 v2, v2
	v_min_u32_e32 v2, 32, v2
	v_subrev_nc_u32_e32 v9, 28, v2
	v_lshlrev_b64 v[20:21], v9, v[3:4]
	v_sub_nc_u32_e32 v9, 29, v2
	v_and_b32_e32 v2, 7, v20
; %bb.591:                              ;   in Loop: Header=BB277_15 Depth=1
	s_or_b32 exec_lo, exec_lo, s23
	v_lshlrev_b32_e32 v3, 8, v3
	v_lshl_add_u32 v9, v9, 10, 0x2000
	v_lshlrev_b32_e32 v2, 23, v2
	v_and_or_b32 v3, 0x8000, v3, v9
	v_lshl_or_b32 v14, v3, 16, v2
.LBB277_592:                            ;   in Loop: Header=BB277_15 Depth=1
	s_or_b32 exec_lo, exec_lo, s22
.LBB277_593:                            ;   in Loop: Header=BB277_15 Depth=1
	s_or_b32 exec_lo, exec_lo, s21
.LBB277_594:                            ;   in Loop: Header=BB277_15 Depth=1
	s_or_b32 exec_lo, exec_lo, s20
	flat_load_dwordx2 v[27:28], v[24:25] offset:8
	s_waitcnt vmcnt(0) lgkmcnt(0)
	v_cmp_ne_u16_sdwa s5, v27, v4 src0_sel:BYTE_0 src1_sel:DWORD
	s_and_saveexec_b32 s20, s5
	s_cbranch_execz .LBB277_602
; %bb.595:                              ;   in Loop: Header=BB277_15 Depth=1
	v_cmp_ne_u16_sdwa s5, v27, v54 src0_sel:BYTE_0 src1_sel:DWORD
	v_mov_b32_e32 v15, 0x8000
	s_and_saveexec_b32 s21, s5
	s_cbranch_execz .LBB277_601
; %bb.596:                              ;   in Loop: Header=BB277_15 Depth=1
	v_and_b32_e32 v9, 0x7f, v27
	v_mov_b32_e32 v15, 0x7c01
	s_mov_b32 s22, exec_lo
	v_cmpx_ne_u32_e32 0x7f, v9
	s_cbranch_execz .LBB277_600
; %bb.597:                              ;   in Loop: Header=BB277_15 Depth=1
	v_and_b32_e32 v2, 7, v27
	v_lshrrev_b32_e32 v3, 3, v9
	s_mov_b32 s23, exec_lo
	v_cmpx_gt_u32_e32 8, v9
; %bb.598:                              ;   in Loop: Header=BB277_15 Depth=1
	v_ffbh_u32_e32 v2, v2
	v_min_u32_e32 v9, 32, v2
	v_subrev_nc_u32_e32 v2, 28, v9
	v_lshlrev_b64 v[2:3], v2, v[27:28]
	v_sub_nc_u32_e32 v3, 29, v9
	v_and_b32_e32 v2, 7, v2
; %bb.599:                              ;   in Loop: Header=BB277_15 Depth=1
	s_or_b32 exec_lo, exec_lo, s23
	v_lshlrev_b32_e32 v9, 8, v27
	v_lshl_add_u32 v3, v3, 10, 0x2000
	v_lshlrev_b32_e32 v2, 7, v2
	v_and_b32_e32 v9, 0x8000, v9
	v_and_b32_e32 v3, 0xfc00, v3
	v_or3_b32 v15, v9, v3, v2
.LBB277_600:                            ;   in Loop: Header=BB277_15 Depth=1
	s_or_b32 exec_lo, exec_lo, s22
.LBB277_601:                            ;   in Loop: Header=BB277_15 Depth=1
	s_or_b32 exec_lo, exec_lo, s21
.LBB277_602:                            ;   in Loop: Header=BB277_15 Depth=1
	s_or_b32 exec_lo, exec_lo, s20
	v_lshrrev_b16 v3, 8, v27
	v_mov_b32_e32 v91, 0
	v_mov_b32_e32 v50, 0
	s_mov_b32 s20, exec_lo
	v_cmpx_ne_u16_e32 0, v3
	s_cbranch_execz .LBB277_610
; %bb.603:                              ;   in Loop: Header=BB277_15 Depth=1
	v_bfrev_b32_e32 v50, 1
	s_mov_b32 s21, exec_lo
	v_cmpx_ne_u16_e32 0x80, v3
	s_cbranch_execz .LBB277_609
; %bb.604:                              ;   in Loop: Header=BB277_15 Depth=1
	v_mov_b32_e32 v2, 0x7f
	v_mov_b32_e32 v50, 0x7c010000
	s_mov_b32 s22, exec_lo
	v_and_b32_sdwa v18, v3, v2 dst_sel:DWORD dst_unused:UNUSED_PAD src0_sel:WORD_0 src1_sel:DWORD
	v_cmpx_ne_u32_e32 0x7f, v18
	s_cbranch_execz .LBB277_608
; %bb.605:                              ;   in Loop: Header=BB277_15 Depth=1
	v_mov_b32_e32 v2, 7
	v_lshrrev_b32_e32 v9, 3, v18
	s_mov_b32 s23, exec_lo
	v_and_b32_sdwa v2, v3, v2 dst_sel:DWORD dst_unused:UNUSED_PAD src0_sel:WORD_0 src1_sel:DWORD
	v_cmpx_gt_u32_e32 8, v18
; %bb.606:                              ;   in Loop: Header=BB277_15 Depth=1
	v_ffbh_u32_e32 v2, v2
	v_min_u32_e32 v2, 32, v2
	v_subrev_nc_u32_e32 v9, 28, v2
	v_lshlrev_b64 v[20:21], v9, v[3:4]
	v_sub_nc_u32_e32 v9, 29, v2
	v_and_b32_e32 v2, 7, v20
; %bb.607:                              ;   in Loop: Header=BB277_15 Depth=1
	s_or_b32 exec_lo, exec_lo, s23
	v_mov_b32_e32 v18, 8
	v_lshl_add_u32 v9, v9, 10, 0x2000
	v_lshlrev_b32_e32 v2, 23, v2
	v_lshlrev_b32_sdwa v3, v18, v3 dst_sel:DWORD dst_unused:UNUSED_PAD src0_sel:DWORD src1_sel:WORD_0
	v_and_or_b32 v3, 0x8000, v3, v9
	v_lshl_or_b32 v50, v3, 16, v2
.LBB277_608:                            ;   in Loop: Header=BB277_15 Depth=1
	s_or_b32 exec_lo, exec_lo, s22
.LBB277_609:                            ;   in Loop: Header=BB277_15 Depth=1
	s_or_b32 exec_lo, exec_lo, s21
.LBB277_610:                            ;   in Loop: Header=BB277_15 Depth=1
	s_or_b32 exec_lo, exec_lo, s20
	v_lshrrev_b32_e32 v3, 16, v27
	v_cmp_ne_u16_sdwa s5, v3, v4 src0_sel:BYTE_0 src1_sel:DWORD
	s_and_saveexec_b32 s20, s5
	s_cbranch_execz .LBB277_618
; %bb.611:                              ;   in Loop: Header=BB277_15 Depth=1
	v_cmp_ne_u16_sdwa s5, v3, v54 src0_sel:BYTE_0 src1_sel:DWORD
	v_mov_b32_e32 v91, 0x8000
	s_and_saveexec_b32 s21, s5
	s_cbranch_execz .LBB277_617
; %bb.612:                              ;   in Loop: Header=BB277_15 Depth=1
	v_bfe_u32 v18, v27, 16, 7
	v_mov_b32_e32 v91, 0x7c01
	s_mov_b32 s22, exec_lo
	v_cmpx_ne_u32_e32 0x7f, v18
	s_cbranch_execz .LBB277_616
; %bb.613:                              ;   in Loop: Header=BB277_15 Depth=1
	v_and_b32_e32 v2, 7, v3
	v_lshrrev_b32_e32 v9, 3, v18
	s_mov_b32 s23, exec_lo
	v_cmpx_gt_u32_e32 8, v18
; %bb.614:                              ;   in Loop: Header=BB277_15 Depth=1
	v_ffbh_u32_e32 v2, v2
	v_min_u32_e32 v2, 32, v2
	v_subrev_nc_u32_e32 v9, 28, v2
	v_lshlrev_b64 v[20:21], v9, v[3:4]
	v_sub_nc_u32_e32 v9, 29, v2
	v_and_b32_e32 v2, 7, v20
; %bb.615:                              ;   in Loop: Header=BB277_15 Depth=1
	s_or_b32 exec_lo, exec_lo, s23
	v_lshlrev_b32_e32 v3, 8, v3
	v_lshl_add_u32 v9, v9, 10, 0x2000
	v_lshlrev_b32_e32 v2, 7, v2
	v_and_b32_e32 v3, 0x8000, v3
	v_and_b32_e32 v9, 0xfc00, v9
	v_or3_b32 v91, v3, v9, v2
.LBB277_616:                            ;   in Loop: Header=BB277_15 Depth=1
	s_or_b32 exec_lo, exec_lo, s22
.LBB277_617:                            ;   in Loop: Header=BB277_15 Depth=1
	s_or_b32 exec_lo, exec_lo, s21
.LBB277_618:                            ;   in Loop: Header=BB277_15 Depth=1
	s_or_b32 exec_lo, exec_lo, s20
	v_mov_b32_e32 v92, 0
	v_mov_b32_e32 v95, 0
	s_mov_b32 s20, exec_lo
	v_cmpx_lt_u32_e32 0xffffff, v27
	s_cbranch_execz .LBB277_626
; %bb.619:                              ;   in Loop: Header=BB277_15 Depth=1
	v_lshrrev_b32_e32 v3, 24, v27
	v_bfrev_b32_e32 v95, 1
	s_mov_b32 s21, exec_lo
	v_cmpx_ne_u32_e32 0x80, v3
	s_cbranch_execz .LBB277_625
; %bb.620:                              ;   in Loop: Header=BB277_15 Depth=1
	v_and_b32_e32 v18, 0x7f, v3
	v_mov_b32_e32 v95, 0x7c010000
	s_mov_b32 s22, exec_lo
	v_cmpx_ne_u32_e32 0x7f, v18
	s_cbranch_execz .LBB277_624
; %bb.621:                              ;   in Loop: Header=BB277_15 Depth=1
	v_and_b32_e32 v2, 7, v3
	v_lshrrev_b32_e32 v9, 3, v18
	s_mov_b32 s23, exec_lo
	v_cmpx_gt_u32_e32 8, v18
; %bb.622:                              ;   in Loop: Header=BB277_15 Depth=1
	v_ffbh_u32_e32 v2, v2
	v_min_u32_e32 v2, 32, v2
	v_subrev_nc_u32_e32 v9, 28, v2
	v_lshlrev_b64 v[20:21], v9, v[3:4]
	v_sub_nc_u32_e32 v9, 29, v2
	v_and_b32_e32 v2, 7, v20
; %bb.623:                              ;   in Loop: Header=BB277_15 Depth=1
	s_or_b32 exec_lo, exec_lo, s23
	v_lshlrev_b32_e32 v3, 8, v3
	v_lshl_add_u32 v9, v9, 10, 0x2000
	v_lshlrev_b32_e32 v2, 23, v2
	v_and_or_b32 v3, 0x8000, v3, v9
	v_lshl_or_b32 v95, v3, 16, v2
.LBB277_624:                            ;   in Loop: Header=BB277_15 Depth=1
	s_or_b32 exec_lo, exec_lo, s22
.LBB277_625:                            ;   in Loop: Header=BB277_15 Depth=1
	s_or_b32 exec_lo, exec_lo, s21
.LBB277_626:                            ;   in Loop: Header=BB277_15 Depth=1
	s_or_b32 exec_lo, exec_lo, s20
	v_mov_b32_e32 v3, v28
	v_cmp_ne_u16_sdwa s5, v28, v4 src0_sel:BYTE_0 src1_sel:DWORD
	s_and_saveexec_b32 s20, s5
	s_cbranch_execz .LBB277_634
; %bb.627:                              ;   in Loop: Header=BB277_15 Depth=1
	v_cmp_ne_u16_sdwa s5, v28, v54 src0_sel:BYTE_0 src1_sel:DWORD
	v_mov_b32_e32 v92, 0x8000
	s_and_saveexec_b32 s21, s5
	s_cbranch_execz .LBB277_633
; %bb.628:                              ;   in Loop: Header=BB277_15 Depth=1
	v_and_b32_e32 v18, 0x7f, v28
	v_mov_b32_e32 v92, 0x7c01
	s_mov_b32 s22, exec_lo
	v_cmpx_ne_u32_e32 0x7f, v18
	s_cbranch_execz .LBB277_632
; %bb.629:                              ;   in Loop: Header=BB277_15 Depth=1
	v_and_b32_e32 v2, 7, v28
	v_lshrrev_b32_e32 v9, 3, v18
	s_mov_b32 s23, exec_lo
	v_cmpx_gt_u32_e32 8, v18
; %bb.630:                              ;   in Loop: Header=BB277_15 Depth=1
	v_ffbh_u32_e32 v2, v2
	v_min_u32_e32 v2, 32, v2
	v_subrev_nc_u32_e32 v9, 28, v2
	v_lshlrev_b64 v[20:21], v9, v[3:4]
	v_sub_nc_u32_e32 v9, 29, v2
	v_and_b32_e32 v2, 7, v20
; %bb.631:                              ;   in Loop: Header=BB277_15 Depth=1
	s_or_b32 exec_lo, exec_lo, s23
	v_lshlrev_b32_e32 v18, 8, v28
	v_lshl_add_u32 v9, v9, 10, 0x2000
	v_lshlrev_b32_e32 v2, 7, v2
	v_and_b32_e32 v18, 0x8000, v18
	v_and_b32_e32 v9, 0xfc00, v9
	v_or3_b32 v92, v18, v9, v2
.LBB277_632:                            ;   in Loop: Header=BB277_15 Depth=1
	s_or_b32 exec_lo, exec_lo, s22
.LBB277_633:                            ;   in Loop: Header=BB277_15 Depth=1
	s_or_b32 exec_lo, exec_lo, s21
.LBB277_634:                            ;   in Loop: Header=BB277_15 Depth=1
	s_or_b32 exec_lo, exec_lo, s20
	v_lshrrev_b16 v3, 8, v3
	v_mov_b32_e32 v120, 0
	v_mov_b32_e32 v104, 0
	s_mov_b32 s20, exec_lo
	v_cmpx_ne_u16_e32 0, v3
	s_cbranch_execz .LBB277_642
; %bb.635:                              ;   in Loop: Header=BB277_15 Depth=1
	v_bfrev_b32_e32 v104, 1
	s_mov_b32 s21, exec_lo
	v_cmpx_ne_u16_e32 0x80, v3
	s_cbranch_execz .LBB277_641
; %bb.636:                              ;   in Loop: Header=BB277_15 Depth=1
	v_mov_b32_e32 v2, 0x7f
	v_mov_b32_e32 v104, 0x7c010000
	s_mov_b32 s22, exec_lo
	v_and_b32_sdwa v18, v3, v2 dst_sel:DWORD dst_unused:UNUSED_PAD src0_sel:WORD_0 src1_sel:DWORD
	v_cmpx_ne_u32_e32 0x7f, v18
	s_cbranch_execz .LBB277_640
; %bb.637:                              ;   in Loop: Header=BB277_15 Depth=1
	v_mov_b32_e32 v2, 7
	v_lshrrev_b32_e32 v9, 3, v18
	s_mov_b32 s23, exec_lo
	v_and_b32_sdwa v2, v3, v2 dst_sel:DWORD dst_unused:UNUSED_PAD src0_sel:WORD_0 src1_sel:DWORD
	v_cmpx_gt_u32_e32 8, v18
; %bb.638:                              ;   in Loop: Header=BB277_15 Depth=1
	v_ffbh_u32_e32 v2, v2
	v_min_u32_e32 v2, 32, v2
	v_subrev_nc_u32_e32 v9, 28, v2
	v_lshlrev_b64 v[20:21], v9, v[3:4]
	v_sub_nc_u32_e32 v9, 29, v2
	v_and_b32_e32 v2, 7, v20
; %bb.639:                              ;   in Loop: Header=BB277_15 Depth=1
	s_or_b32 exec_lo, exec_lo, s23
	v_mov_b32_e32 v18, 8
	v_lshl_add_u32 v9, v9, 10, 0x2000
	v_lshlrev_b32_e32 v2, 23, v2
	v_lshlrev_b32_sdwa v3, v18, v3 dst_sel:DWORD dst_unused:UNUSED_PAD src0_sel:DWORD src1_sel:WORD_0
	v_and_or_b32 v3, 0x8000, v3, v9
	v_lshl_or_b32 v104, v3, 16, v2
.LBB277_640:                            ;   in Loop: Header=BB277_15 Depth=1
	s_or_b32 exec_lo, exec_lo, s22
.LBB277_641:                            ;   in Loop: Header=BB277_15 Depth=1
	s_or_b32 exec_lo, exec_lo, s21
.LBB277_642:                            ;   in Loop: Header=BB277_15 Depth=1
	s_or_b32 exec_lo, exec_lo, s20
	v_lshrrev_b32_e32 v3, 16, v28
	v_cmp_ne_u16_sdwa s5, v3, v4 src0_sel:BYTE_0 src1_sel:DWORD
	s_and_saveexec_b32 s20, s5
	s_cbranch_execz .LBB277_650
; %bb.643:                              ;   in Loop: Header=BB277_15 Depth=1
	v_cmp_ne_u16_sdwa s5, v3, v54 src0_sel:BYTE_0 src1_sel:DWORD
	v_mov_b32_e32 v120, 0x8000
	s_and_saveexec_b32 s21, s5
	s_cbranch_execz .LBB277_649
; %bb.644:                              ;   in Loop: Header=BB277_15 Depth=1
	v_bfe_u32 v18, v28, 16, 7
	v_mov_b32_e32 v120, 0x7c01
	s_mov_b32 s22, exec_lo
	v_cmpx_ne_u32_e32 0x7f, v18
	s_cbranch_execz .LBB277_648
; %bb.645:                              ;   in Loop: Header=BB277_15 Depth=1
	v_and_b32_e32 v2, 7, v3
	v_lshrrev_b32_e32 v9, 3, v18
	s_mov_b32 s23, exec_lo
	v_cmpx_gt_u32_e32 8, v18
; %bb.646:                              ;   in Loop: Header=BB277_15 Depth=1
	v_ffbh_u32_e32 v2, v2
	v_min_u32_e32 v2, 32, v2
	v_subrev_nc_u32_e32 v9, 28, v2
	v_lshlrev_b64 v[20:21], v9, v[3:4]
	v_sub_nc_u32_e32 v9, 29, v2
	v_and_b32_e32 v2, 7, v20
; %bb.647:                              ;   in Loop: Header=BB277_15 Depth=1
	s_or_b32 exec_lo, exec_lo, s23
	v_lshlrev_b32_e32 v3, 8, v3
	v_lshl_add_u32 v9, v9, 10, 0x2000
	v_lshlrev_b32_e32 v2, 7, v2
	v_and_b32_e32 v3, 0x8000, v3
	v_and_b32_e32 v9, 0xfc00, v9
	v_or3_b32 v120, v3, v9, v2
.LBB277_648:                            ;   in Loop: Header=BB277_15 Depth=1
	s_or_b32 exec_lo, exec_lo, s22
.LBB277_649:                            ;   in Loop: Header=BB277_15 Depth=1
	s_or_b32 exec_lo, exec_lo, s21
.LBB277_650:                            ;   in Loop: Header=BB277_15 Depth=1
	s_or_b32 exec_lo, exec_lo, s20
	v_mov_b32_e32 v63, 0
	v_mov_b32_e32 v125, 0
	s_mov_b32 s20, exec_lo
	v_cmpx_lt_u64_e64 s[12:13], v[27:28]
	s_cbranch_execz .LBB277_658
; %bb.651:                              ;   in Loop: Header=BB277_15 Depth=1
	v_lshrrev_b32_e32 v3, 24, v28
	v_bfrev_b32_e32 v125, 1
	s_mov_b32 s21, exec_lo
	v_cmpx_ne_u32_e32 0x80, v3
	s_cbranch_execz .LBB277_657
; %bb.652:                              ;   in Loop: Header=BB277_15 Depth=1
	v_and_b32_e32 v18, 0x7f, v3
	v_mov_b32_e32 v125, 0x7c010000
	s_mov_b32 s22, exec_lo
	v_cmpx_ne_u32_e32 0x7f, v18
	s_cbranch_execz .LBB277_656
; %bb.653:                              ;   in Loop: Header=BB277_15 Depth=1
	v_and_b32_e32 v2, 7, v3
	v_lshrrev_b32_e32 v9, 3, v18
	s_mov_b32 s23, exec_lo
	v_cmpx_gt_u32_e32 8, v18
; %bb.654:                              ;   in Loop: Header=BB277_15 Depth=1
	v_ffbh_u32_e32 v2, v2
	v_min_u32_e32 v2, 32, v2
	v_subrev_nc_u32_e32 v9, 28, v2
	v_lshlrev_b64 v[20:21], v9, v[3:4]
	v_sub_nc_u32_e32 v9, 29, v2
	v_and_b32_e32 v2, 7, v20
; %bb.655:                              ;   in Loop: Header=BB277_15 Depth=1
	s_or_b32 exec_lo, exec_lo, s23
	v_lshlrev_b32_e32 v3, 8, v3
	v_lshl_add_u32 v9, v9, 10, 0x2000
	v_lshlrev_b32_e32 v2, 23, v2
	v_and_or_b32 v3, 0x8000, v3, v9
	v_lshl_or_b32 v125, v3, 16, v2
.LBB277_656:                            ;   in Loop: Header=BB277_15 Depth=1
	s_or_b32 exec_lo, exec_lo, s22
.LBB277_657:                            ;   in Loop: Header=BB277_15 Depth=1
	s_or_b32 exec_lo, exec_lo, s21
.LBB277_658:                            ;   in Loop: Header=BB277_15 Depth=1
	s_or_b32 exec_lo, exec_lo, s20
	flat_load_dwordx2 v[27:28], v[24:25] offset:512
	s_waitcnt vmcnt(0) lgkmcnt(0)
	v_cmp_ne_u16_sdwa s5, v27, v4 src0_sel:BYTE_0 src1_sel:DWORD
	s_and_saveexec_b32 s20, s5
	s_cbranch_execz .LBB277_666
; %bb.659:                              ;   in Loop: Header=BB277_15 Depth=1
	v_cmp_ne_u16_sdwa s5, v27, v54 src0_sel:BYTE_0 src1_sel:DWORD
	v_mov_b32_e32 v63, 0x8000
	s_and_saveexec_b32 s21, s5
	s_cbranch_execz .LBB277_665
; %bb.660:                              ;   in Loop: Header=BB277_15 Depth=1
	v_and_b32_e32 v9, 0x7f, v27
	v_mov_b32_e32 v63, 0x7c01
	s_mov_b32 s22, exec_lo
	v_cmpx_ne_u32_e32 0x7f, v9
	s_cbranch_execz .LBB277_664
; %bb.661:                              ;   in Loop: Header=BB277_15 Depth=1
	v_and_b32_e32 v2, 7, v27
	v_lshrrev_b32_e32 v3, 3, v9
	s_mov_b32 s23, exec_lo
	v_cmpx_gt_u32_e32 8, v9
; %bb.662:                              ;   in Loop: Header=BB277_15 Depth=1
	v_ffbh_u32_e32 v2, v2
	v_min_u32_e32 v9, 32, v2
	v_subrev_nc_u32_e32 v2, 28, v9
	v_lshlrev_b64 v[2:3], v2, v[27:28]
	v_sub_nc_u32_e32 v3, 29, v9
	v_and_b32_e32 v2, 7, v2
; %bb.663:                              ;   in Loop: Header=BB277_15 Depth=1
	s_or_b32 exec_lo, exec_lo, s23
	v_lshlrev_b32_e32 v9, 8, v27
	v_lshl_add_u32 v3, v3, 10, 0x2000
	v_lshlrev_b32_e32 v2, 7, v2
	v_and_b32_e32 v9, 0x8000, v9
	v_and_b32_e32 v3, 0xfc00, v3
	v_or3_b32 v63, v9, v3, v2
.LBB277_664:                            ;   in Loop: Header=BB277_15 Depth=1
	s_or_b32 exec_lo, exec_lo, s22
.LBB277_665:                            ;   in Loop: Header=BB277_15 Depth=1
	s_or_b32 exec_lo, exec_lo, s21
.LBB277_666:                            ;   in Loop: Header=BB277_15 Depth=1
	s_or_b32 exec_lo, exec_lo, s20
	v_lshrrev_b16 v3, 8, v27
	v_mov_b32_e32 v75, 0
	v_mov_b32_e32 v72, 0
	s_mov_b32 s20, exec_lo
	v_cmpx_ne_u16_e32 0, v3
	s_cbranch_execz .LBB277_674
; %bb.667:                              ;   in Loop: Header=BB277_15 Depth=1
	v_bfrev_b32_e32 v72, 1
	s_mov_b32 s21, exec_lo
	v_cmpx_ne_u16_e32 0x80, v3
	s_cbranch_execz .LBB277_673
; %bb.668:                              ;   in Loop: Header=BB277_15 Depth=1
	v_mov_b32_e32 v2, 0x7f
	v_mov_b32_e32 v72, 0x7c010000
	s_mov_b32 s22, exec_lo
	v_and_b32_sdwa v18, v3, v2 dst_sel:DWORD dst_unused:UNUSED_PAD src0_sel:WORD_0 src1_sel:DWORD
	v_cmpx_ne_u32_e32 0x7f, v18
	s_cbranch_execz .LBB277_672
; %bb.669:                              ;   in Loop: Header=BB277_15 Depth=1
	v_mov_b32_e32 v2, 7
	v_lshrrev_b32_e32 v9, 3, v18
	s_mov_b32 s23, exec_lo
	v_and_b32_sdwa v2, v3, v2 dst_sel:DWORD dst_unused:UNUSED_PAD src0_sel:WORD_0 src1_sel:DWORD
	v_cmpx_gt_u32_e32 8, v18
; %bb.670:                              ;   in Loop: Header=BB277_15 Depth=1
	v_ffbh_u32_e32 v2, v2
	v_min_u32_e32 v2, 32, v2
	v_subrev_nc_u32_e32 v9, 28, v2
	v_lshlrev_b64 v[20:21], v9, v[3:4]
	v_sub_nc_u32_e32 v9, 29, v2
	v_and_b32_e32 v2, 7, v20
; %bb.671:                              ;   in Loop: Header=BB277_15 Depth=1
	s_or_b32 exec_lo, exec_lo, s23
	v_mov_b32_e32 v18, 8
	v_lshl_add_u32 v9, v9, 10, 0x2000
	v_lshlrev_b32_e32 v2, 23, v2
	v_lshlrev_b32_sdwa v3, v18, v3 dst_sel:DWORD dst_unused:UNUSED_PAD src0_sel:DWORD src1_sel:WORD_0
	v_and_or_b32 v3, 0x8000, v3, v9
	v_lshl_or_b32 v72, v3, 16, v2
.LBB277_672:                            ;   in Loop: Header=BB277_15 Depth=1
	s_or_b32 exec_lo, exec_lo, s22
.LBB277_673:                            ;   in Loop: Header=BB277_15 Depth=1
	s_or_b32 exec_lo, exec_lo, s21
.LBB277_674:                            ;   in Loop: Header=BB277_15 Depth=1
	s_or_b32 exec_lo, exec_lo, s20
	v_lshrrev_b32_e32 v3, 16, v27
	v_cmp_ne_u16_sdwa s5, v3, v4 src0_sel:BYTE_0 src1_sel:DWORD
	s_and_saveexec_b32 s20, s5
	s_cbranch_execz .LBB277_682
; %bb.675:                              ;   in Loop: Header=BB277_15 Depth=1
	v_cmp_ne_u16_sdwa s5, v3, v54 src0_sel:BYTE_0 src1_sel:DWORD
	v_mov_b32_e32 v75, 0x8000
	s_and_saveexec_b32 s21, s5
	s_cbranch_execz .LBB277_681
; %bb.676:                              ;   in Loop: Header=BB277_15 Depth=1
	v_bfe_u32 v18, v27, 16, 7
	v_mov_b32_e32 v75, 0x7c01
	s_mov_b32 s22, exec_lo
	v_cmpx_ne_u32_e32 0x7f, v18
	s_cbranch_execz .LBB277_680
; %bb.677:                              ;   in Loop: Header=BB277_15 Depth=1
	v_and_b32_e32 v2, 7, v3
	v_lshrrev_b32_e32 v9, 3, v18
	s_mov_b32 s23, exec_lo
	v_cmpx_gt_u32_e32 8, v18
; %bb.678:                              ;   in Loop: Header=BB277_15 Depth=1
	v_ffbh_u32_e32 v2, v2
	v_min_u32_e32 v2, 32, v2
	v_subrev_nc_u32_e32 v9, 28, v2
	v_lshlrev_b64 v[20:21], v9, v[3:4]
	v_sub_nc_u32_e32 v9, 29, v2
	v_and_b32_e32 v2, 7, v20
; %bb.679:                              ;   in Loop: Header=BB277_15 Depth=1
	s_or_b32 exec_lo, exec_lo, s23
	v_lshlrev_b32_e32 v3, 8, v3
	v_lshl_add_u32 v9, v9, 10, 0x2000
	v_lshlrev_b32_e32 v2, 7, v2
	v_and_b32_e32 v3, 0x8000, v3
	v_and_b32_e32 v9, 0xfc00, v9
	v_or3_b32 v75, v3, v9, v2
.LBB277_680:                            ;   in Loop: Header=BB277_15 Depth=1
	s_or_b32 exec_lo, exec_lo, s22
.LBB277_681:                            ;   in Loop: Header=BB277_15 Depth=1
	s_or_b32 exec_lo, exec_lo, s21
.LBB277_682:                            ;   in Loop: Header=BB277_15 Depth=1
	s_or_b32 exec_lo, exec_lo, s20
	v_mov_b32_e32 v76, 0
	v_mov_b32_e32 v77, 0
	s_mov_b32 s20, exec_lo
	v_cmpx_lt_u32_e32 0xffffff, v27
	s_cbranch_execz .LBB277_690
; %bb.683:                              ;   in Loop: Header=BB277_15 Depth=1
	v_lshrrev_b32_e32 v3, 24, v27
	v_bfrev_b32_e32 v77, 1
	s_mov_b32 s21, exec_lo
	v_cmpx_ne_u32_e32 0x80, v3
	s_cbranch_execz .LBB277_689
; %bb.684:                              ;   in Loop: Header=BB277_15 Depth=1
	v_and_b32_e32 v18, 0x7f, v3
	v_mov_b32_e32 v77, 0x7c010000
	s_mov_b32 s22, exec_lo
	v_cmpx_ne_u32_e32 0x7f, v18
	s_cbranch_execz .LBB277_688
; %bb.685:                              ;   in Loop: Header=BB277_15 Depth=1
	v_and_b32_e32 v2, 7, v3
	v_lshrrev_b32_e32 v9, 3, v18
	s_mov_b32 s23, exec_lo
	v_cmpx_gt_u32_e32 8, v18
; %bb.686:                              ;   in Loop: Header=BB277_15 Depth=1
	v_ffbh_u32_e32 v2, v2
	v_min_u32_e32 v2, 32, v2
	v_subrev_nc_u32_e32 v9, 28, v2
	v_lshlrev_b64 v[20:21], v9, v[3:4]
	v_sub_nc_u32_e32 v9, 29, v2
	v_and_b32_e32 v2, 7, v20
; %bb.687:                              ;   in Loop: Header=BB277_15 Depth=1
	s_or_b32 exec_lo, exec_lo, s23
	v_lshlrev_b32_e32 v3, 8, v3
	v_lshl_add_u32 v9, v9, 10, 0x2000
	v_lshlrev_b32_e32 v2, 23, v2
	v_and_or_b32 v3, 0x8000, v3, v9
	v_lshl_or_b32 v77, v3, 16, v2
.LBB277_688:                            ;   in Loop: Header=BB277_15 Depth=1
	s_or_b32 exec_lo, exec_lo, s22
.LBB277_689:                            ;   in Loop: Header=BB277_15 Depth=1
	s_or_b32 exec_lo, exec_lo, s21
.LBB277_690:                            ;   in Loop: Header=BB277_15 Depth=1
	s_or_b32 exec_lo, exec_lo, s20
	v_mov_b32_e32 v3, v28
	v_cmp_ne_u16_sdwa s5, v28, v4 src0_sel:BYTE_0 src1_sel:DWORD
	s_and_saveexec_b32 s20, s5
	s_cbranch_execz .LBB277_698
; %bb.691:                              ;   in Loop: Header=BB277_15 Depth=1
	v_cmp_ne_u16_sdwa s5, v28, v54 src0_sel:BYTE_0 src1_sel:DWORD
	v_mov_b32_e32 v76, 0x8000
	s_and_saveexec_b32 s21, s5
	s_cbranch_execz .LBB277_697
; %bb.692:                              ;   in Loop: Header=BB277_15 Depth=1
	v_and_b32_e32 v18, 0x7f, v28
	v_mov_b32_e32 v76, 0x7c01
	s_mov_b32 s22, exec_lo
	v_cmpx_ne_u32_e32 0x7f, v18
	s_cbranch_execz .LBB277_696
; %bb.693:                              ;   in Loop: Header=BB277_15 Depth=1
	v_and_b32_e32 v2, 7, v28
	v_lshrrev_b32_e32 v9, 3, v18
	s_mov_b32 s23, exec_lo
	v_cmpx_gt_u32_e32 8, v18
; %bb.694:                              ;   in Loop: Header=BB277_15 Depth=1
	v_ffbh_u32_e32 v2, v2
	v_min_u32_e32 v2, 32, v2
	v_subrev_nc_u32_e32 v9, 28, v2
	v_lshlrev_b64 v[20:21], v9, v[3:4]
	v_sub_nc_u32_e32 v9, 29, v2
	v_and_b32_e32 v2, 7, v20
; %bb.695:                              ;   in Loop: Header=BB277_15 Depth=1
	s_or_b32 exec_lo, exec_lo, s23
	v_lshlrev_b32_e32 v18, 8, v28
	v_lshl_add_u32 v9, v9, 10, 0x2000
	v_lshlrev_b32_e32 v2, 7, v2
	v_and_b32_e32 v18, 0x8000, v18
	v_and_b32_e32 v9, 0xfc00, v9
	v_or3_b32 v76, v18, v9, v2
.LBB277_696:                            ;   in Loop: Header=BB277_15 Depth=1
	s_or_b32 exec_lo, exec_lo, s22
.LBB277_697:                            ;   in Loop: Header=BB277_15 Depth=1
	s_or_b32 exec_lo, exec_lo, s21
.LBB277_698:                            ;   in Loop: Header=BB277_15 Depth=1
	s_or_b32 exec_lo, exec_lo, s20
	v_lshrrev_b16 v3, 8, v3
	v_mov_b32_e32 v106, 0
	v_mov_b32_e32 v107, 0
	s_mov_b32 s20, exec_lo
	v_cmpx_ne_u16_e32 0, v3
	s_cbranch_execz .LBB277_706
; %bb.699:                              ;   in Loop: Header=BB277_15 Depth=1
	v_bfrev_b32_e32 v107, 1
	s_mov_b32 s21, exec_lo
	v_cmpx_ne_u16_e32 0x80, v3
	s_cbranch_execz .LBB277_705
; %bb.700:                              ;   in Loop: Header=BB277_15 Depth=1
	v_mov_b32_e32 v2, 0x7f
	v_mov_b32_e32 v107, 0x7c010000
	s_mov_b32 s22, exec_lo
	v_and_b32_sdwa v18, v3, v2 dst_sel:DWORD dst_unused:UNUSED_PAD src0_sel:WORD_0 src1_sel:DWORD
	v_cmpx_ne_u32_e32 0x7f, v18
	s_cbranch_execz .LBB277_704
; %bb.701:                              ;   in Loop: Header=BB277_15 Depth=1
	v_mov_b32_e32 v2, 7
	v_lshrrev_b32_e32 v9, 3, v18
	s_mov_b32 s23, exec_lo
	v_and_b32_sdwa v2, v3, v2 dst_sel:DWORD dst_unused:UNUSED_PAD src0_sel:WORD_0 src1_sel:DWORD
	v_cmpx_gt_u32_e32 8, v18
; %bb.702:                              ;   in Loop: Header=BB277_15 Depth=1
	v_ffbh_u32_e32 v2, v2
	v_min_u32_e32 v2, 32, v2
	v_subrev_nc_u32_e32 v9, 28, v2
	v_lshlrev_b64 v[20:21], v9, v[3:4]
	v_sub_nc_u32_e32 v9, 29, v2
	v_and_b32_e32 v2, 7, v20
; %bb.703:                              ;   in Loop: Header=BB277_15 Depth=1
	s_or_b32 exec_lo, exec_lo, s23
	v_mov_b32_e32 v18, 8
	v_lshl_add_u32 v9, v9, 10, 0x2000
	v_lshlrev_b32_e32 v2, 23, v2
	v_lshlrev_b32_sdwa v3, v18, v3 dst_sel:DWORD dst_unused:UNUSED_PAD src0_sel:DWORD src1_sel:WORD_0
	v_and_or_b32 v3, 0x8000, v3, v9
	v_lshl_or_b32 v107, v3, 16, v2
.LBB277_704:                            ;   in Loop: Header=BB277_15 Depth=1
	s_or_b32 exec_lo, exec_lo, s22
.LBB277_705:                            ;   in Loop: Header=BB277_15 Depth=1
	s_or_b32 exec_lo, exec_lo, s21
.LBB277_706:                            ;   in Loop: Header=BB277_15 Depth=1
	s_or_b32 exec_lo, exec_lo, s20
	v_lshrrev_b32_e32 v3, 16, v28
	v_cmp_ne_u16_sdwa s5, v3, v4 src0_sel:BYTE_0 src1_sel:DWORD
	s_and_saveexec_b32 s20, s5
	s_cbranch_execz .LBB277_714
; %bb.707:                              ;   in Loop: Header=BB277_15 Depth=1
	v_cmp_ne_u16_sdwa s5, v3, v54 src0_sel:BYTE_0 src1_sel:DWORD
	v_mov_b32_e32 v106, 0x8000
	s_and_saveexec_b32 s21, s5
	s_cbranch_execz .LBB277_713
; %bb.708:                              ;   in Loop: Header=BB277_15 Depth=1
	v_bfe_u32 v18, v28, 16, 7
	v_mov_b32_e32 v106, 0x7c01
	s_mov_b32 s22, exec_lo
	v_cmpx_ne_u32_e32 0x7f, v18
	s_cbranch_execz .LBB277_712
; %bb.709:                              ;   in Loop: Header=BB277_15 Depth=1
	v_and_b32_e32 v2, 7, v3
	v_lshrrev_b32_e32 v9, 3, v18
	s_mov_b32 s23, exec_lo
	v_cmpx_gt_u32_e32 8, v18
; %bb.710:                              ;   in Loop: Header=BB277_15 Depth=1
	v_ffbh_u32_e32 v2, v2
	v_min_u32_e32 v2, 32, v2
	v_subrev_nc_u32_e32 v9, 28, v2
	v_lshlrev_b64 v[20:21], v9, v[3:4]
	v_sub_nc_u32_e32 v9, 29, v2
	v_and_b32_e32 v2, 7, v20
; %bb.711:                              ;   in Loop: Header=BB277_15 Depth=1
	s_or_b32 exec_lo, exec_lo, s23
	v_lshlrev_b32_e32 v3, 8, v3
	v_lshl_add_u32 v9, v9, 10, 0x2000
	v_lshlrev_b32_e32 v2, 7, v2
	v_and_b32_e32 v3, 0x8000, v3
	v_and_b32_e32 v9, 0xfc00, v9
	v_or3_b32 v106, v3, v9, v2
.LBB277_712:                            ;   in Loop: Header=BB277_15 Depth=1
	s_or_b32 exec_lo, exec_lo, s22
.LBB277_713:                            ;   in Loop: Header=BB277_15 Depth=1
	s_or_b32 exec_lo, exec_lo, s21
.LBB277_714:                            ;   in Loop: Header=BB277_15 Depth=1
	s_or_b32 exec_lo, exec_lo, s20
	v_cmp_lt_u64_e64 s5, s[12:13], v[27:28]
	v_mov_b32_e32 v27, 0
	v_mov_b32_e32 v109, 0
	s_and_saveexec_b32 s20, s5
	s_cbranch_execz .LBB277_722
; %bb.715:                              ;   in Loop: Header=BB277_15 Depth=1
	v_lshrrev_b32_e32 v3, 24, v28
	v_bfrev_b32_e32 v109, 1
	s_mov_b32 s21, exec_lo
	v_cmpx_ne_u32_e32 0x80, v3
	s_cbranch_execz .LBB277_721
; %bb.716:                              ;   in Loop: Header=BB277_15 Depth=1
	v_and_b32_e32 v18, 0x7f, v3
	v_mov_b32_e32 v109, 0x7c010000
	s_mov_b32 s22, exec_lo
	v_cmpx_ne_u32_e32 0x7f, v18
	s_cbranch_execz .LBB277_720
; %bb.717:                              ;   in Loop: Header=BB277_15 Depth=1
	v_and_b32_e32 v2, 7, v3
	v_lshrrev_b32_e32 v9, 3, v18
	s_mov_b32 s23, exec_lo
	v_cmpx_gt_u32_e32 8, v18
; %bb.718:                              ;   in Loop: Header=BB277_15 Depth=1
	v_ffbh_u32_e32 v2, v2
	v_min_u32_e32 v2, 32, v2
	v_subrev_nc_u32_e32 v9, 28, v2
	v_lshlrev_b64 v[20:21], v9, v[3:4]
	v_sub_nc_u32_e32 v9, 29, v2
	v_and_b32_e32 v2, 7, v20
; %bb.719:                              ;   in Loop: Header=BB277_15 Depth=1
	s_or_b32 exec_lo, exec_lo, s23
	v_lshlrev_b32_e32 v3, 8, v3
	v_lshl_add_u32 v9, v9, 10, 0x2000
	v_lshlrev_b32_e32 v2, 23, v2
	v_and_or_b32 v3, 0x8000, v3, v9
	v_lshl_or_b32 v109, v3, 16, v2
.LBB277_720:                            ;   in Loop: Header=BB277_15 Depth=1
	s_or_b32 exec_lo, exec_lo, s22
.LBB277_721:                            ;   in Loop: Header=BB277_15 Depth=1
	s_or_b32 exec_lo, exec_lo, s21
.LBB277_722:                            ;   in Loop: Header=BB277_15 Depth=1
	s_or_b32 exec_lo, exec_lo, s20
	flat_load_dwordx2 v[24:25], v[24:25] offset:520
	s_waitcnt vmcnt(0) lgkmcnt(0)
	v_cmp_ne_u16_sdwa s5, v24, v4 src0_sel:BYTE_0 src1_sel:DWORD
	s_and_saveexec_b32 s20, s5
	s_cbranch_execz .LBB277_730
; %bb.723:                              ;   in Loop: Header=BB277_15 Depth=1
	v_cmp_ne_u16_sdwa s5, v24, v54 src0_sel:BYTE_0 src1_sel:DWORD
	v_mov_b32_e32 v27, 0x8000
	s_and_saveexec_b32 s21, s5
	s_cbranch_execz .LBB277_729
; %bb.724:                              ;   in Loop: Header=BB277_15 Depth=1
	v_and_b32_e32 v9, 0x7f, v24
	v_mov_b32_e32 v27, 0x7c01
	s_mov_b32 s22, exec_lo
	v_cmpx_ne_u32_e32 0x7f, v9
	s_cbranch_execz .LBB277_728
; %bb.725:                              ;   in Loop: Header=BB277_15 Depth=1
	v_and_b32_e32 v2, 7, v24
	v_lshrrev_b32_e32 v3, 3, v9
	s_mov_b32 s23, exec_lo
	v_cmpx_gt_u32_e32 8, v9
; %bb.726:                              ;   in Loop: Header=BB277_15 Depth=1
	v_ffbh_u32_e32 v2, v2
	v_min_u32_e32 v9, 32, v2
	v_subrev_nc_u32_e32 v2, 28, v9
	v_lshlrev_b64 v[2:3], v2, v[24:25]
	v_sub_nc_u32_e32 v3, 29, v9
	v_and_b32_e32 v2, 7, v2
; %bb.727:                              ;   in Loop: Header=BB277_15 Depth=1
	s_or_b32 exec_lo, exec_lo, s23
	v_lshlrev_b32_e32 v9, 8, v24
	v_lshl_add_u32 v3, v3, 10, 0x2000
	v_lshlrev_b32_e32 v2, 7, v2
	v_and_b32_e32 v9, 0x8000, v9
	v_and_b32_e32 v3, 0xfc00, v3
	v_or3_b32 v27, v9, v3, v2
.LBB277_728:                            ;   in Loop: Header=BB277_15 Depth=1
	s_or_b32 exec_lo, exec_lo, s22
.LBB277_729:                            ;   in Loop: Header=BB277_15 Depth=1
	s_or_b32 exec_lo, exec_lo, s21
.LBB277_730:                            ;   in Loop: Header=BB277_15 Depth=1
	s_or_b32 exec_lo, exec_lo, s20
	v_lshrrev_b16 v3, 8, v24
	v_mov_b32_e32 v49, 0
	v_mov_b32_e32 v28, 0
	s_mov_b32 s20, exec_lo
	v_cmpx_ne_u16_e32 0, v3
	s_cbranch_execz .LBB277_738
; %bb.731:                              ;   in Loop: Header=BB277_15 Depth=1
	v_bfrev_b32_e32 v28, 1
	s_mov_b32 s21, exec_lo
	v_cmpx_ne_u16_e32 0x80, v3
	s_cbranch_execz .LBB277_737
; %bb.732:                              ;   in Loop: Header=BB277_15 Depth=1
	v_mov_b32_e32 v2, 0x7f
	v_mov_b32_e32 v28, 0x7c010000
	s_mov_b32 s22, exec_lo
	v_and_b32_sdwa v18, v3, v2 dst_sel:DWORD dst_unused:UNUSED_PAD src0_sel:WORD_0 src1_sel:DWORD
	v_cmpx_ne_u32_e32 0x7f, v18
	s_cbranch_execz .LBB277_736
; %bb.733:                              ;   in Loop: Header=BB277_15 Depth=1
	v_mov_b32_e32 v2, 7
	v_lshrrev_b32_e32 v9, 3, v18
	s_mov_b32 s23, exec_lo
	v_and_b32_sdwa v2, v3, v2 dst_sel:DWORD dst_unused:UNUSED_PAD src0_sel:WORD_0 src1_sel:DWORD
	v_cmpx_gt_u32_e32 8, v18
; %bb.734:                              ;   in Loop: Header=BB277_15 Depth=1
	v_ffbh_u32_e32 v2, v2
	v_min_u32_e32 v2, 32, v2
	v_subrev_nc_u32_e32 v9, 28, v2
	v_lshlrev_b64 v[20:21], v9, v[3:4]
	v_sub_nc_u32_e32 v9, 29, v2
	v_and_b32_e32 v2, 7, v20
; %bb.735:                              ;   in Loop: Header=BB277_15 Depth=1
	s_or_b32 exec_lo, exec_lo, s23
	v_mov_b32_e32 v18, 8
	v_lshl_add_u32 v9, v9, 10, 0x2000
	v_lshlrev_b32_e32 v2, 23, v2
	v_lshlrev_b32_sdwa v3, v18, v3 dst_sel:DWORD dst_unused:UNUSED_PAD src0_sel:DWORD src1_sel:WORD_0
	v_and_or_b32 v3, 0x8000, v3, v9
	v_lshl_or_b32 v28, v3, 16, v2
.LBB277_736:                            ;   in Loop: Header=BB277_15 Depth=1
	s_or_b32 exec_lo, exec_lo, s22
.LBB277_737:                            ;   in Loop: Header=BB277_15 Depth=1
	s_or_b32 exec_lo, exec_lo, s21
.LBB277_738:                            ;   in Loop: Header=BB277_15 Depth=1
	s_or_b32 exec_lo, exec_lo, s20
	v_lshrrev_b32_e32 v3, 16, v24
	v_cmp_ne_u16_sdwa s5, v3, v4 src0_sel:BYTE_0 src1_sel:DWORD
	s_and_saveexec_b32 s20, s5
	s_cbranch_execz .LBB277_746
; %bb.739:                              ;   in Loop: Header=BB277_15 Depth=1
	v_cmp_ne_u16_sdwa s5, v3, v54 src0_sel:BYTE_0 src1_sel:DWORD
	v_mov_b32_e32 v49, 0x8000
	s_and_saveexec_b32 s21, s5
	s_cbranch_execz .LBB277_745
; %bb.740:                              ;   in Loop: Header=BB277_15 Depth=1
	v_bfe_u32 v18, v24, 16, 7
	v_mov_b32_e32 v49, 0x7c01
	s_mov_b32 s22, exec_lo
	v_cmpx_ne_u32_e32 0x7f, v18
	s_cbranch_execz .LBB277_744
; %bb.741:                              ;   in Loop: Header=BB277_15 Depth=1
	v_and_b32_e32 v2, 7, v3
	v_lshrrev_b32_e32 v9, 3, v18
	s_mov_b32 s23, exec_lo
	v_cmpx_gt_u32_e32 8, v18
; %bb.742:                              ;   in Loop: Header=BB277_15 Depth=1
	v_ffbh_u32_e32 v2, v2
	v_min_u32_e32 v2, 32, v2
	v_subrev_nc_u32_e32 v9, 28, v2
	v_lshlrev_b64 v[20:21], v9, v[3:4]
	v_sub_nc_u32_e32 v9, 29, v2
	v_and_b32_e32 v2, 7, v20
; %bb.743:                              ;   in Loop: Header=BB277_15 Depth=1
	s_or_b32 exec_lo, exec_lo, s23
	v_lshlrev_b32_e32 v3, 8, v3
	v_lshl_add_u32 v9, v9, 10, 0x2000
	v_lshlrev_b32_e32 v2, 7, v2
	v_and_b32_e32 v3, 0x8000, v3
	v_and_b32_e32 v9, 0xfc00, v9
	v_or3_b32 v49, v3, v9, v2
.LBB277_744:                            ;   in Loop: Header=BB277_15 Depth=1
	s_or_b32 exec_lo, exec_lo, s22
.LBB277_745:                            ;   in Loop: Header=BB277_15 Depth=1
	s_or_b32 exec_lo, exec_lo, s21
.LBB277_746:                            ;   in Loop: Header=BB277_15 Depth=1
	s_or_b32 exec_lo, exec_lo, s20
	v_mov_b32_e32 v9, 0
	v_mov_b32_e32 v18, 0
	s_mov_b32 s20, exec_lo
	v_cmpx_lt_u32_e32 0xffffff, v24
	s_cbranch_execz .LBB277_754
; %bb.747:                              ;   in Loop: Header=BB277_15 Depth=1
	v_lshrrev_b32_e32 v3, 24, v24
	v_bfrev_b32_e32 v18, 1
	s_mov_b32 s21, exec_lo
	v_cmpx_ne_u32_e32 0x80, v3
	s_cbranch_execz .LBB277_753
; %bb.748:                              ;   in Loop: Header=BB277_15 Depth=1
	v_and_b32_e32 v20, 0x7f, v3
	v_mov_b32_e32 v18, 0x7c010000
	s_mov_b32 s22, exec_lo
	v_cmpx_ne_u32_e32 0x7f, v20
	s_cbranch_execz .LBB277_752
; %bb.749:                              ;   in Loop: Header=BB277_15 Depth=1
	v_and_b32_e32 v2, 7, v3
	v_lshrrev_b32_e32 v18, 3, v20
	s_mov_b32 s23, exec_lo
	v_cmpx_gt_u32_e32 8, v20
; %bb.750:                              ;   in Loop: Header=BB277_15 Depth=1
	v_ffbh_u32_e32 v2, v2
	v_min_u32_e32 v2, 32, v2
	v_subrev_nc_u32_e32 v18, 28, v2
	v_lshlrev_b64 v[20:21], v18, v[3:4]
	v_sub_nc_u32_e32 v18, 29, v2
	v_and_b32_e32 v2, 7, v20
; %bb.751:                              ;   in Loop: Header=BB277_15 Depth=1
	s_or_b32 exec_lo, exec_lo, s23
	v_lshlrev_b32_e32 v3, 8, v3
	v_lshl_add_u32 v18, v18, 10, 0x2000
	v_lshlrev_b32_e32 v2, 23, v2
	v_and_or_b32 v3, 0x8000, v3, v18
	v_lshl_or_b32 v18, v3, 16, v2
.LBB277_752:                            ;   in Loop: Header=BB277_15 Depth=1
	s_or_b32 exec_lo, exec_lo, s22
.LBB277_753:                            ;   in Loop: Header=BB277_15 Depth=1
	s_or_b32 exec_lo, exec_lo, s21
.LBB277_754:                            ;   in Loop: Header=BB277_15 Depth=1
	s_or_b32 exec_lo, exec_lo, s20
	v_mov_b32_e32 v3, v25
	v_cmp_ne_u16_sdwa s5, v25, v4 src0_sel:BYTE_0 src1_sel:DWORD
	s_and_saveexec_b32 s20, s5
	s_cbranch_execz .LBB277_762
; %bb.755:                              ;   in Loop: Header=BB277_15 Depth=1
	v_cmp_ne_u16_sdwa s5, v25, v54 src0_sel:BYTE_0 src1_sel:DWORD
	v_mov_b32_e32 v9, 0x8000
	s_and_saveexec_b32 s21, s5
	s_cbranch_execz .LBB277_761
; %bb.756:                              ;   in Loop: Header=BB277_15 Depth=1
	v_and_b32_e32 v20, 0x7f, v25
	v_mov_b32_e32 v9, 0x7c01
	s_mov_b32 s22, exec_lo
	v_cmpx_ne_u32_e32 0x7f, v20
	s_cbranch_execz .LBB277_760
; %bb.757:                              ;   in Loop: Header=BB277_15 Depth=1
	v_and_b32_e32 v2, 7, v25
	v_lshrrev_b32_e32 v9, 3, v20
	s_mov_b32 s23, exec_lo
	v_cmpx_gt_u32_e32 8, v20
; %bb.758:                              ;   in Loop: Header=BB277_15 Depth=1
	v_ffbh_u32_e32 v2, v2
	v_min_u32_e32 v2, 32, v2
	v_subrev_nc_u32_e32 v9, 28, v2
	v_lshlrev_b64 v[20:21], v9, v[3:4]
	v_sub_nc_u32_e32 v9, 29, v2
	v_and_b32_e32 v2, 7, v20
; %bb.759:                              ;   in Loop: Header=BB277_15 Depth=1
	s_or_b32 exec_lo, exec_lo, s23
	v_lshlrev_b32_e32 v20, 8, v25
	v_lshl_add_u32 v9, v9, 10, 0x2000
	v_lshlrev_b32_e32 v2, 7, v2
	v_and_b32_e32 v20, 0x8000, v20
	v_and_b32_e32 v9, 0xfc00, v9
	v_or3_b32 v9, v20, v9, v2
.LBB277_760:                            ;   in Loop: Header=BB277_15 Depth=1
	s_or_b32 exec_lo, exec_lo, s22
.LBB277_761:                            ;   in Loop: Header=BB277_15 Depth=1
	s_or_b32 exec_lo, exec_lo, s21
.LBB277_762:                            ;   in Loop: Header=BB277_15 Depth=1
	s_or_b32 exec_lo, exec_lo, s20
	v_lshrrev_b16 v3, 8, v3
	v_mov_b32_e32 v64, 0
	v_mov_b32_e32 v21, 0
	s_mov_b32 s20, exec_lo
	v_cmpx_ne_u16_e32 0, v3
	s_cbranch_execz .LBB277_770
; %bb.763:                              ;   in Loop: Header=BB277_15 Depth=1
	v_bfrev_b32_e32 v21, 1
	s_mov_b32 s21, exec_lo
	v_cmpx_ne_u16_e32 0x80, v3
	s_cbranch_execz .LBB277_769
; %bb.764:                              ;   in Loop: Header=BB277_15 Depth=1
	v_mov_b32_e32 v2, 0x7f
	v_mov_b32_e32 v21, 0x7c010000
	s_mov_b32 s22, exec_lo
	v_and_b32_sdwa v65, v3, v2 dst_sel:DWORD dst_unused:UNUSED_PAD src0_sel:WORD_0 src1_sel:DWORD
	v_cmpx_ne_u32_e32 0x7f, v65
	s_cbranch_execz .LBB277_768
; %bb.765:                              ;   in Loop: Header=BB277_15 Depth=1
	v_mov_b32_e32 v2, 7
	v_lshrrev_b32_e32 v20, 3, v65
	s_mov_b32 s23, exec_lo
	v_and_b32_sdwa v2, v3, v2 dst_sel:DWORD dst_unused:UNUSED_PAD src0_sel:WORD_0 src1_sel:DWORD
	v_cmpx_gt_u32_e32 8, v65
; %bb.766:                              ;   in Loop: Header=BB277_15 Depth=1
	v_ffbh_u32_e32 v2, v2
	v_min_u32_e32 v2, 32, v2
	v_subrev_nc_u32_e32 v20, 28, v2
	v_lshlrev_b64 v[34:35], v20, v[3:4]
	v_sub_nc_u32_e32 v20, 29, v2
	v_and_b32_e32 v2, 7, v34
; %bb.767:                              ;   in Loop: Header=BB277_15 Depth=1
	s_or_b32 exec_lo, exec_lo, s23
	v_mov_b32_e32 v21, 8
	v_lshl_add_u32 v20, v20, 10, 0x2000
	v_lshlrev_b32_e32 v2, 23, v2
	v_lshlrev_b32_sdwa v3, v21, v3 dst_sel:DWORD dst_unused:UNUSED_PAD src0_sel:DWORD src1_sel:WORD_0
	v_and_or_b32 v3, 0x8000, v3, v20
	v_lshl_or_b32 v21, v3, 16, v2
.LBB277_768:                            ;   in Loop: Header=BB277_15 Depth=1
	s_or_b32 exec_lo, exec_lo, s22
.LBB277_769:                            ;   in Loop: Header=BB277_15 Depth=1
	s_or_b32 exec_lo, exec_lo, s21
.LBB277_770:                            ;   in Loop: Header=BB277_15 Depth=1
	s_or_b32 exec_lo, exec_lo, s20
	v_lshrrev_b32_e32 v3, 16, v25
	v_cmp_ne_u16_sdwa s5, v3, v4 src0_sel:BYTE_0 src1_sel:DWORD
	s_and_saveexec_b32 s20, s5
	s_cbranch_execz .LBB277_778
; %bb.771:                              ;   in Loop: Header=BB277_15 Depth=1
	v_cmp_ne_u16_sdwa s5, v3, v54 src0_sel:BYTE_0 src1_sel:DWORD
	v_mov_b32_e32 v64, 0x8000
	s_and_saveexec_b32 s21, s5
	s_cbranch_execz .LBB277_777
; %bb.772:                              ;   in Loop: Header=BB277_15 Depth=1
	v_bfe_u32 v65, v25, 16, 7
	v_mov_b32_e32 v64, 0x7c01
	s_mov_b32 s22, exec_lo
	v_cmpx_ne_u32_e32 0x7f, v65
	s_cbranch_execz .LBB277_776
; %bb.773:                              ;   in Loop: Header=BB277_15 Depth=1
	v_and_b32_e32 v2, 7, v3
	v_lshrrev_b32_e32 v20, 3, v65
	s_mov_b32 s23, exec_lo
	v_cmpx_gt_u32_e32 8, v65
; %bb.774:                              ;   in Loop: Header=BB277_15 Depth=1
	v_ffbh_u32_e32 v2, v2
	v_min_u32_e32 v2, 32, v2
	v_subrev_nc_u32_e32 v20, 28, v2
	v_lshlrev_b64 v[34:35], v20, v[3:4]
	v_sub_nc_u32_e32 v20, 29, v2
	v_and_b32_e32 v2, 7, v34
; %bb.775:                              ;   in Loop: Header=BB277_15 Depth=1
	s_or_b32 exec_lo, exec_lo, s23
	v_lshlrev_b32_e32 v3, 8, v3
	v_lshl_add_u32 v20, v20, 10, 0x2000
	v_lshlrev_b32_e32 v2, 7, v2
	v_and_b32_e32 v3, 0x8000, v3
	v_and_b32_e32 v20, 0xfc00, v20
	v_or3_b32 v64, v3, v20, v2
.LBB277_776:                            ;   in Loop: Header=BB277_15 Depth=1
	s_or_b32 exec_lo, exec_lo, s22
.LBB277_777:                            ;   in Loop: Header=BB277_15 Depth=1
	s_or_b32 exec_lo, exec_lo, s21
.LBB277_778:                            ;   in Loop: Header=BB277_15 Depth=1
	s_or_b32 exec_lo, exec_lo, s20
	v_mov_b32_e32 v2, 0
	s_mov_b32 s20, exec_lo
	v_cmpx_lt_u64_e64 s[12:13], v[24:25]
	s_cbranch_execz .LBB277_13
; %bb.779:                              ;   in Loop: Header=BB277_15 Depth=1
	v_lshrrev_b32_e32 v3, 24, v25
	v_bfrev_b32_e32 v2, 1
	s_mov_b32 s21, exec_lo
	v_cmpx_ne_u32_e32 0x80, v3
	s_cbranch_execz .LBB277_12
; %bb.780:                              ;   in Loop: Header=BB277_15 Depth=1
	v_and_b32_e32 v24, 0x7f, v3
	v_mov_b32_e32 v2, 0x7c010000
	s_mov_b32 s22, exec_lo
	v_cmpx_ne_u32_e32 0x7f, v24
	s_cbranch_execz .LBB277_11
; %bb.781:                              ;   in Loop: Header=BB277_15 Depth=1
	v_and_b32_e32 v2, 7, v3
	v_lshrrev_b32_e32 v20, 3, v24
	s_mov_b32 s23, exec_lo
	v_cmpx_gt_u32_e32 8, v24
	s_cbranch_execz .LBB277_10
; %bb.782:                              ;   in Loop: Header=BB277_15 Depth=1
	v_ffbh_u32_e32 v2, v2
	v_min_u32_e32 v2, 32, v2
	v_subrev_nc_u32_e32 v20, 28, v2
	v_lshlrev_b64 v[24:25], v20, v[3:4]
	v_sub_nc_u32_e32 v20, 29, v2
	v_and_b32_e32 v2, 7, v24
	s_branch .LBB277_10
.LBB277_783:
	s_or_b32 exec_lo, exec_lo, s19
	s_clause 0x9
	buffer_load_dword v29, off, s[0:3], s32 offset:276
	buffer_load_dword v68, off, s[0:3], s32 offset:280
	;; [unrolled: 1-line block ×10, first 2 shown]
.LBB277_784:
	s_or_b32 exec_lo, exec_lo, s17
	v_mbcnt_lo_u32_b32 v0, -1, 0
	v_max_f32_e32 v4, v51, v51
	s_waitcnt lgkmcnt(0)
	s_lshr_b32 s12, s7, 16
	v_xor_b32_e32 v1, 16, v0
	v_xor_b32_e32 v3, 8, v0
	v_cmp_gt_i32_e32 vcc_lo, 32, v1
	v_cndmask_b32_e32 v1, v0, v1, vcc_lo
	v_cmp_gt_i32_e32 vcc_lo, 32, v3
	v_lshlrev_b32_e32 v1, 2, v1
	v_cndmask_b32_e32 v3, v0, v3, vcc_lo
	ds_bpermute_b32 v2, v1, v51
	s_waitcnt lgkmcnt(0)
	v_max_f32_e32 v5, v2, v2
	v_lshlrev_b32_e32 v2, 2, v3
	v_max_f32_e32 v4, v4, v5
	v_xor_b32_e32 v5, 4, v0
	ds_bpermute_b32 v3, v2, v4
	v_cmp_gt_i32_e32 vcc_lo, 32, v5
	v_cndmask_b32_e32 v5, v0, v5, vcc_lo
	s_waitcnt lgkmcnt(0)
	v_max_f32_e32 v6, v3, v3
	v_lshlrev_b32_e32 v3, 2, v5
	v_max_f32_e32 v4, v4, v6
	v_xor_b32_e32 v6, 2, v0
	ds_bpermute_b32 v5, v3, v4
	v_cmp_gt_i32_e32 vcc_lo, 32, v6
	v_cndmask_b32_e32 v6, v0, v6, vcc_lo
	v_lshlrev_b32_e32 v15, 2, v6
	v_xor_b32_e32 v6, 1, v0
	v_cmp_gt_i32_e32 vcc_lo, 32, v6
	s_waitcnt lgkmcnt(0)
	v_max_f32_e32 v5, v5, v5
	v_cndmask_b32_e32 v6, v0, v6, vcc_lo
	v_max_f32_e32 v4, v4, v5
	v_lshlrev_b32_e32 v14, 2, v6
	ds_bpermute_b32 v5, v15, v4
	s_waitcnt lgkmcnt(0)
	v_max_f32_e32 v5, v5, v5
	v_max_f32_e32 v0, v4, v5
	buffer_load_dword v4, off, s[0:3], s32 offset:220 ; 4-byte Folded Reload
	ds_bpermute_b32 v5, v14, v0
	s_waitcnt vmcnt(0)
	v_cmp_eq_u32_e32 vcc_lo, 0, v4
	v_lshlrev_b32_e32 v4, 2, v68
	s_and_saveexec_b32 s5, vcc_lo
	s_cbranch_execz .LBB277_786
; %bb.785:
	s_waitcnt lgkmcnt(0)
	v_max_f32_e32 v5, v5, v5
	v_max_f32_e32 v0, v0, v0
	;; [unrolled: 1-line block ×3, first 2 shown]
	ds_write_b32 v4, v0 offset:192
.LBB277_786:
	s_or_b32 exec_lo, exec_lo, s5
	buffer_load_dword v0, off, s[0:3], s32 offset:220 ; 4-byte Folded Reload
	s_waitcnt vmcnt(0) lgkmcnt(0)
	s_waitcnt_vscnt null, 0x0
	s_barrier
	buffer_gl0_inv
	v_cmp_gt_u32_e64 s5, 4, v0
	v_mov_b32_e32 v0, 0xff7fffff
	s_and_saveexec_b32 s6, s5
; %bb.787:
	ds_read_b32 v0, v16 offset:192
; %bb.788:
	s_or_b32 exec_lo, exec_lo, s6
	s_waitcnt lgkmcnt(0)
	ds_bpermute_b32 v5, v15, v0
	v_max_f32_e32 v0, v0, v0
	s_waitcnt lgkmcnt(0)
	v_max_f32_e32 v5, v5, v5
	v_max_f32_e32 v0, v0, v5
	ds_bpermute_b32 v5, v14, v0
	s_waitcnt lgkmcnt(0)
	v_max_f32_e32 v5, v5, v5
	v_max_f32_e32 v0, v0, v5
	v_mov_b32_e32 v5, 0
	ds_bpermute_b32 v6, v5, v0
	buffer_load_dword v0, off, s[0:3], s32 offset:192 ; 4-byte Folded Reload
	s_waitcnt vmcnt(0)
	v_lshlrev_b32_e32 v0, 5, v0
	v_min_i32_e32 v0, v0, v30
	v_cmp_lt_i32_e64 s6, v29, v0
	s_and_saveexec_b32 s13, s6
	s_cbranch_execz .LBB277_792
; %bb.789:
	s_load_dword s7, s[8:9], 0x0
	v_mov_b32_e32 v5, 0
	v_mov_b32_e32 v8, v29
	s_mov_b32 s17, 0
	s_waitcnt lgkmcnt(0)
	v_lshl_add_u32 v7, v29, 2, s7
	.p2align	6
.LBB277_790:                            ; =>This Inner Loop Header: Depth=1
	ds_read_b32 v9, v7
	v_add_nc_u32_e32 v8, 0x80, v8
	v_cmp_ge_i32_e64 s7, v8, v0
	s_or_b32 s17, s7, s17
	s_waitcnt lgkmcnt(0)
	v_sub_f32_e32 v9, v9, v6
	v_mul_f32_e32 v9, 0x3fb8aa3b, v9
	v_exp_f32_e32 v9, v9
	ds_write_b32 v7, v9
	v_add_f32_e32 v5, v5, v9
	v_add_nc_u32_e32 v7, 0x200, v7
	s_andn2_b32 exec_lo, exec_lo, s17
	s_cbranch_execnz .LBB277_790
; %bb.791:
	s_or_b32 exec_lo, exec_lo, s17
.LBB277_792:
	s_or_b32 exec_lo, exec_lo, s13
	ds_bpermute_b32 v1, v1, v5
	s_waitcnt lgkmcnt(0)
	v_add_f32_e32 v1, v5, v1
	ds_bpermute_b32 v2, v2, v1
	s_waitcnt lgkmcnt(0)
	v_add_f32_e32 v1, v1, v2
	;; [unrolled: 3-line block ×5, first 2 shown]
	s_and_saveexec_b32 s7, vcc_lo
; %bb.793:
	ds_write_b32 v4, v1 offset:208
; %bb.794:
	s_or_b32 exec_lo, exec_lo, s7
	s_waitcnt lgkmcnt(0)
	s_barrier
	buffer_gl0_inv
	s_and_saveexec_b32 s7, s5
; %bb.795:
	ds_read_b32 v1, v16 offset:208
; %bb.796:
	s_or_b32 exec_lo, exec_lo, s7
	s_waitcnt lgkmcnt(0)
	ds_bpermute_b32 v2, v15, v1
	s_waitcnt lgkmcnt(0)
	v_add_f32_e32 v1, v1, v2
	ds_bpermute_b32 v2, v14, v1
	s_waitcnt lgkmcnt(0)
	v_add_f32_e32 v1, v1, v2
	v_mov_b32_e32 v2, 0
	ds_bpermute_b32 v1, v2, v1
	s_and_saveexec_b32 s5, s6
	s_cbranch_execz .LBB277_799
; %bb.797:
	s_waitcnt lgkmcnt(0)
	v_add_f32_e32 v2, 0x358637bd, v1
	s_load_dword s6, s[8:9], 0x0
	v_div_scale_f32 v1, null, v2, v2, 1.0
	v_div_scale_f32 v5, vcc_lo, 1.0, v2, 1.0
	v_rcp_f32_e32 v3, v1
	v_fma_f32 v4, -v1, v3, 1.0
	v_fmac_f32_e32 v3, v4, v3
	v_mul_f32_e32 v4, v5, v3
	v_fma_f32 v6, -v1, v4, v5
	v_fmac_f32_e32 v4, v6, v3
	v_fma_f32 v1, -v1, v4, v5
	v_div_fmas_f32 v3, v1, v3, v4
	s_waitcnt lgkmcnt(0)
	v_lshl_add_u32 v1, v29, 2, s6
	s_mov_b32 s6, 0
	v_div_fixup_f32 v2, v3, v2, 1.0
	v_mov_b32_e32 v3, v29
.LBB277_798:                            ; =>This Inner Loop Header: Depth=1
	ds_read_b32 v4, v1
	v_add_nc_u32_e32 v3, 0x80, v3
	v_cmp_ge_i32_e32 vcc_lo, v3, v0
	s_or_b32 s6, vcc_lo, s6
	s_waitcnt lgkmcnt(0)
	v_mul_f32_e32 v4, v2, v4
	ds_write_b32 v1, v4
	v_add_nc_u32_e32 v1, 0x200, v1
	s_andn2_b32 exec_lo, exec_lo, s6
	s_cbranch_execnz .LBB277_798
.LBB277_799:
	s_or_b32 exec_lo, exec_lo, s5
	v_mov_b32_e32 v52, 0
	v_and_b32_e32 v16, 3, v29
	v_mov_b32_e32 v53, 0
	v_mov_b32_e32 v51, 0
	;; [unrolled: 1-line block ×11, first 2 shown]
	s_waitcnt lgkmcnt(0)
	s_barrier
	buffer_gl0_inv
	s_and_saveexec_b32 s5, s4
	s_cbranch_execz .LBB277_1597
; %bb.800:
	s_clause 0x2
	buffer_load_dword v4, off, s[0:3], s32 offset:192
	buffer_load_dword v8, off, s[0:3], s32 offset:260
	;; [unrolled: 1-line block ×3, first 2 shown]
	v_lshlrev_b32_e32 v0, 3, v29
	v_and_b32_e32 v6, 0x7c, v10
	v_add_co_u32 v2, vcc_lo, v32, v11
	v_lshlrev_b32_e32 v5, 5, v16
	v_mov_b32_e32 v66, v68
	v_and_b32_e32 v64, 24, v0
	v_and_b32_e32 v0, 0xf8, v0
	v_add_co_ci_u32_e64 v3, null, v18, v13, vcc_lo
	v_lshl_or_b32 v65, v66, 7, v5
	v_max_i32_e32 v26, v26, v12
	v_mov_b32_e32 v46, v29
	v_mov_b32_e32 v39, 0x80
	;; [unrolled: 1-line block ×4, first 2 shown]
	v_cvt_f32_u32_e32 v1, v26
	v_sub_nc_u32_e32 v7, 0, v26
	v_mov_b32_e32 v34, 8
	v_mov_b32_e32 v17, 0
	;; [unrolled: 1-line block ×3, first 2 shown]
	v_rcp_iflag_f32_e32 v1, v1
	v_mov_b32_e32 v21, 0
	v_mov_b32_e32 v24, 0
	v_mov_b32_e32 v25, 0
	v_mov_b32_e32 v27, 0
	v_mov_b32_e32 v28, 0
	v_mov_b32_e32 v49, 0
	v_mov_b32_e32 v50, 0
	v_mov_b32_e32 v51, 0
	v_mov_b32_e32 v53, 0
	v_mul_f32_e32 v1, 0x4f7ffffe, v1
	v_mov_b32_e32 v52, 0
	v_mov_b32_e32 v47, v68
	s_mov_b32 s6, -1
	s_mov_b32 s7, 0xffffff
	v_cvt_u32_f32_e32 v1, v1
	s_mov_b32 s13, 0
	v_mul_lo_u32 v7, v7, v1
	v_mul_hi_u32 v10, v1, v7
	v_add_nc_u32_e32 v13, v1, v10
	s_waitcnt vmcnt(1)
	v_add_co_u32 v8, vcc_lo, v6, v8
	s_waitcnt vmcnt(0)
	v_add_co_ci_u32_e64 v9, null, 0, v9, vcc_lo
	v_add_co_u32 v5, vcc_lo, v2, v0
	buffer_load_dword v0, off, s[0:3], s32 offset:256 ; 4-byte Folded Reload
	v_add_co_ci_u32_e64 v6, null, 0, v3, vcc_lo
	v_add_nc_u32_e32 v38, -1, v4
	v_mov_b32_e32 v4, 0
	s_waitcnt vmcnt(0)
	v_add_co_u32 v7, vcc_lo, v0, v8
	buffer_load_dword v0, off, s[0:3], s32 offset:252 ; 4-byte Folded Reload
	s_waitcnt vmcnt(0)
	v_add_co_ci_u32_e64 v8, null, v0, v9, vcc_lo
	s_branch .LBB277_803
.LBB277_801:                            ;   in Loop: Header=BB277_803 Depth=1
	s_or_b32 exec_lo, exec_lo, s4
	v_add_f32_e32 v0, v0, v1
	v_add_f32_e32 v1, v115, v116
	;; [unrolled: 1-line block ×7, first 2 shown]
	;;#ASMSTART
	v_pk_mul_f16 v1, v85, v10;

	;;#ASMEND
	;;#ASMSTART
	v_pk_mul_f16 v9, v82, v9;

	;;#ASMEND
	;; [unrolled: 4-line block ×4, first 2 shown]
	;;#ASMSTART
	v_pk_add_f16 v1, v1, v9;

	;;#ASMEND
	;;#ASMSTART
	v_pk_add_f16 v1, v1, v3;

	;;#ASMEND
	;; [unrolled: 4-line block ×3, first 2 shown]
	v_and_b32_e32 v9, 0xffff, v1
	v_lshrrev_b32_e32 v10, 16, v1
	;;#ASMSTART
	v_cvt_f32_f16 v9, v9;
	;;#ASMEND
	v_add_f32_e32 v20, v20, v11
	v_add_f32_e32 v21, v21, v12
	;; [unrolled: 1-line block ×8, first 2 shown]
	;;#ASMSTART
	v_cvt_f32_f16 v10, v10;
	;;#ASMEND
	v_add_f32_e32 v9, v9, v10
	v_add_f32_e32 v24, v24, v18
	;; [unrolled: 1-line block ×9, first 2 shown]
.LBB277_802:                            ;   in Loop: Header=BB277_803 Depth=1
	s_or_b32 exec_lo, exec_lo, s17
	buffer_load_dword v0, off, s[0:3], s32 offset:192 ; 4-byte Folded Reload
	v_add_nc_u32_e32 v66, 4, v66
	v_add_co_u32 v7, s4, v7, 16
	v_add_nc_u32_e32 v19, 0x80, v19
	v_add_nc_u32_e32 v65, 0x200, v65
	v_add_co_ci_u32_e64 v8, null, 0, v8, s4
	s_waitcnt vmcnt(0)
	v_cmp_ge_i32_e32 vcc_lo, v66, v0
	s_or_b32 s13, vcc_lo, s13
	s_andn2_b32 exec_lo, exec_lo, s13
	s_cbranch_execz .LBB277_1596
.LBB277_803:                            ; =>This Inner Loop Header: Depth=1
	buffer_load_dword v0, off, s[0:3], s32 offset:204 ; 4-byte Folded Reload
	s_waitcnt vmcnt(0)
	v_mul_hi_u32 v0, v19, v0
	v_mul_lo_u32 v1, v0, v33
	v_add_nc_u32_e32 v2, 1, v0
	v_sub_nc_u32_e32 v1, v19, v1
	v_sub_nc_u32_e32 v3, v1, v33
	v_cmp_ge_u32_e32 vcc_lo, v1, v33
	v_cndmask_b32_e32 v0, v0, v2, vcc_lo
	v_cndmask_b32_e32 v1, v1, v3, vcc_lo
	v_add_nc_u32_e32 v2, 1, v0
	v_cmp_ge_u32_e32 vcc_lo, v1, v33
	v_cndmask_b32_e32 v0, v0, v2, vcc_lo
	s_clause 0x1
	buffer_load_dword v1, off, s[0:3], s32 offset:196
	buffer_load_dword v2, off, s[0:3], s32 offset:200
	v_xor_b32_e32 v0, v0, v55
	v_sub_nc_u32_e32 v0, v0, v55
	s_waitcnt vmcnt(1)
	v_add_nc_u32_e32 v1, v0, v1
	s_waitcnt vmcnt(0)
	v_sub_nc_u32_e32 v2, 0, v1
	v_max_i32_e32 v2, v1, v2
	v_ashrrev_i32_e32 v1, 31, v1
	v_mul_hi_u32 v3, v2, v13
	v_mul_lo_u32 v3, v3, v26
	v_sub_nc_u32_e32 v2, v2, v3
	v_sub_nc_u32_e32 v3, v2, v26
	v_cmp_ge_u32_e32 vcc_lo, v2, v26
	v_cndmask_b32_e32 v2, v2, v3, vcc_lo
	v_sub_nc_u32_e32 v3, v2, v26
	v_cmp_ge_u32_e32 vcc_lo, v2, v26
	v_cndmask_b32_e32 v2, v2, v3, vcc_lo
	v_xor_b32_e32 v2, v2, v1
	v_sub_nc_u32_e32 v1, v2, v1
	v_cmp_eq_u32_e32 vcc_lo, 0, v1
	buffer_load_dword v1, off, s[0:3], s32 offset:208 ; 4-byte Folded Reload
	s_waitcnt vmcnt(0)
	v_cmp_gt_i32_e64 s4, v0, v1
	s_or_b32 s4, vcc_lo, s4
	s_and_saveexec_b32 s17, s4
	s_cbranch_execz .LBB277_802
; %bb.804:                              ;   in Loop: Header=BB277_803 Depth=1
	s_load_dword s4, s[8:9], 0x0
	flat_load_dword v9, v[7:8]
	s_waitcnt lgkmcnt(0)
	v_add_nc_u32_e32 v10, s4, v65
	ds_read2_b64 v[0:3], v10 offset1:1
	ds_read2_b64 v[80:83], v10 offset0:2 offset1:3
	s_waitcnt lgkmcnt(1)
	;;#ASMSTART
	v_cvt_f16_f32 v0, v0;

	;;#ASMEND
	buffer_load_dword v10, off, s[0:3], s32 offset:212 ; 4-byte Folded Reload
	;;#ASMSTART
	v_cvt_f16_f32 v1, v1;

	;;#ASMEND
	;;#ASMSTART
	v_cvt_f16_f32 v68, v2;

	;;#ASMEND
	;; [unrolled: 4-line block ×3, first 2 shown]
	s_waitcnt lgkmcnt(0)
	;;#ASMSTART
	v_cvt_f16_f32 v69, v80;

	;;#ASMEND
	;;#ASMSTART
	v_cvt_f16_f32 v31, v81;

	;;#ASMEND
	;; [unrolled: 4-line block ×4, first 2 shown]
	v_mov_b32_e32 v80, 0
	v_mov_b32_e32 v81, 0
	s_waitcnt vmcnt(0)
	v_mad_i64_i32 v[9:10], null, v9, v10, v[5:6]
	flat_load_dwordx2 v[11:12], v[9:10]
	flat_load_dword v71, v[22:23]
	s_waitcnt vmcnt(1) lgkmcnt(1)
	v_cmp_ne_u16_sdwa s18, v11, v4 src0_sel:BYTE_0 src1_sel:DWORD
	s_and_saveexec_b32 s4, s18
	s_cbranch_execz .LBB277_812
; %bb.805:                              ;   in Loop: Header=BB277_803 Depth=1
	v_cmp_ne_u16_sdwa s19, v11, v39 src0_sel:BYTE_0 src1_sel:DWORD
	v_mov_b32_e32 v81, 0x8000
	s_and_saveexec_b32 s18, s19
	s_cbranch_execz .LBB277_811
; %bb.806:                              ;   in Loop: Header=BB277_803 Depth=1
	v_and_b32_e32 v18, 0x7f, v11
	v_mov_b32_e32 v81, 0x7c01
	s_mov_b32 s19, exec_lo
	v_cmpx_ne_u32_e32 0x7f, v18
	s_cbranch_execz .LBB277_810
; %bb.807:                              ;   in Loop: Header=BB277_803 Depth=1
	v_and_b32_e32 v2, 7, v11
	v_lshrrev_b32_e32 v3, 3, v18
	s_mov_b32 s20, exec_lo
	v_cmpx_gt_u32_e32 8, v18
; %bb.808:                              ;   in Loop: Header=BB277_803 Depth=1
	v_ffbh_u32_e32 v2, v2
	v_min_u32_e32 v18, 32, v2
	v_subrev_nc_u32_e32 v2, 28, v18
	v_lshlrev_b64 v[2:3], v2, v[11:12]
	v_sub_nc_u32_e32 v3, 29, v18
	v_and_b32_e32 v2, 7, v2
; %bb.809:                              ;   in Loop: Header=BB277_803 Depth=1
	s_or_b32 exec_lo, exec_lo, s20
	v_lshlrev_b32_e32 v18, 8, v11
	v_lshl_add_u32 v3, v3, 10, 0x2000
	v_lshlrev_b32_e32 v2, 7, v2
	v_and_b32_e32 v18, 0x8000, v18
	v_and_b32_e32 v3, 0xfc00, v3
	v_or3_b32 v81, v18, v3, v2
.LBB277_810:                            ;   in Loop: Header=BB277_803 Depth=1
	s_or_b32 exec_lo, exec_lo, s19
.LBB277_811:                            ;   in Loop: Header=BB277_803 Depth=1
	s_or_b32 exec_lo, exec_lo, s18
.LBB277_812:                            ;   in Loop: Header=BB277_803 Depth=1
	s_or_b32 exec_lo, exec_lo, s4
	v_lshrrev_b16 v3, 8, v11
	s_mov_b32 s4, exec_lo
	v_cmpx_ne_u16_e32 0, v3
	s_cbranch_execz .LBB277_820
; %bb.813:                              ;   in Loop: Header=BB277_803 Depth=1
	v_bfrev_b32_e32 v80, 1
	s_mov_b32 s18, exec_lo
	v_cmpx_ne_u16_e32 0x80, v3
	s_cbranch_execz .LBB277_819
; %bb.814:                              ;   in Loop: Header=BB277_803 Depth=1
	v_and_b32_sdwa v67, v3, v48 dst_sel:DWORD dst_unused:UNUSED_PAD src0_sel:WORD_0 src1_sel:DWORD
	v_mov_b32_e32 v80, 0x7c010000
	s_mov_b32 s19, exec_lo
	v_cmpx_ne_u32_e32 0x7f, v67
	s_cbranch_execz .LBB277_818
; %bb.815:                              ;   in Loop: Header=BB277_803 Depth=1
	v_and_b32_sdwa v2, v3, v54 dst_sel:DWORD dst_unused:UNUSED_PAD src0_sel:WORD_0 src1_sel:DWORD
	v_lshrrev_b32_e32 v18, 3, v67
	s_mov_b32 s20, exec_lo
	v_cmpx_gt_u32_e32 8, v67
; %bb.816:                              ;   in Loop: Header=BB277_803 Depth=1
	v_ffbh_u32_e32 v2, v2
	v_min_u32_e32 v2, 32, v2
	v_subrev_nc_u32_e32 v18, 28, v2
	v_lshlrev_b64 v[35:36], v18, v[3:4]
	v_sub_nc_u32_e32 v18, 29, v2
	v_and_b32_e32 v2, 7, v35
; %bb.817:                              ;   in Loop: Header=BB277_803 Depth=1
	s_or_b32 exec_lo, exec_lo, s20
	v_lshlrev_b32_sdwa v3, v34, v3 dst_sel:DWORD dst_unused:UNUSED_PAD src0_sel:DWORD src1_sel:WORD_0
	v_lshl_add_u32 v18, v18, 10, 0x2000
	v_lshlrev_b32_e32 v2, 23, v2
	v_and_or_b32 v3, 0x8000, v3, v18
	v_lshl_or_b32 v80, v3, 16, v2
.LBB277_818:                            ;   in Loop: Header=BB277_803 Depth=1
	s_or_b32 exec_lo, exec_lo, s19
.LBB277_819:                            ;   in Loop: Header=BB277_803 Depth=1
	s_or_b32 exec_lo, exec_lo, s18
.LBB277_820:                            ;   in Loop: Header=BB277_803 Depth=1
	s_or_b32 exec_lo, exec_lo, s4
	v_lshrrev_b32_e32 v3, 16, v11
	v_mov_b32_e32 v18, 0
	v_mov_b32_e32 v67, 0
	v_cmp_ne_u16_sdwa s18, v3, v4 src0_sel:BYTE_0 src1_sel:DWORD
	s_and_saveexec_b32 s4, s18
	s_cbranch_execz .LBB277_828
; %bb.821:                              ;   in Loop: Header=BB277_803 Depth=1
	v_cmp_ne_u16_sdwa s19, v3, v39 src0_sel:BYTE_0 src1_sel:DWORD
	v_mov_b32_e32 v67, 0x8000
	s_and_saveexec_b32 s18, s19
	s_cbranch_execz .LBB277_827
; %bb.822:                              ;   in Loop: Header=BB277_803 Depth=1
	v_bfe_u32 v82, v11, 16, 7
	v_mov_b32_e32 v67, 0x7c01
	s_mov_b32 s19, exec_lo
	v_cmpx_ne_u32_e32 0x7f, v82
	s_cbranch_execz .LBB277_826
; %bb.823:                              ;   in Loop: Header=BB277_803 Depth=1
	v_and_b32_e32 v2, 7, v3
	v_lshrrev_b32_e32 v67, 3, v82
	s_mov_b32 s20, exec_lo
	v_cmpx_gt_u32_e32 8, v82
; %bb.824:                              ;   in Loop: Header=BB277_803 Depth=1
	v_ffbh_u32_e32 v2, v2
	v_min_u32_e32 v2, 32, v2
	v_subrev_nc_u32_e32 v35, 28, v2
	v_sub_nc_u32_e32 v67, 29, v2
	v_lshlrev_b64 v[35:36], v35, v[3:4]
	v_and_b32_e32 v2, 7, v35
; %bb.825:                              ;   in Loop: Header=BB277_803 Depth=1
	s_or_b32 exec_lo, exec_lo, s20
	v_lshlrev_b32_e32 v3, 8, v3
	v_lshl_add_u32 v35, v67, 10, 0x2000
	v_lshlrev_b32_e32 v2, 7, v2
	v_and_b32_e32 v3, 0x8000, v3
	v_and_b32_e32 v35, 0xfc00, v35
	v_or3_b32 v67, v3, v35, v2
.LBB277_826:                            ;   in Loop: Header=BB277_803 Depth=1
	s_or_b32 exec_lo, exec_lo, s19
.LBB277_827:                            ;   in Loop: Header=BB277_803 Depth=1
	s_or_b32 exec_lo, exec_lo, s18
.LBB277_828:                            ;   in Loop: Header=BB277_803 Depth=1
	s_or_b32 exec_lo, exec_lo, s4
	s_mov_b32 s4, exec_lo
	v_cmpx_lt_u32_e32 0xffffff, v11
	s_cbranch_execz .LBB277_836
; %bb.829:                              ;   in Loop: Header=BB277_803 Depth=1
	v_lshrrev_b32_e32 v3, 24, v11
	v_bfrev_b32_e32 v18, 1
	s_mov_b32 s18, exec_lo
	v_cmpx_ne_u32_e32 0x80, v3
	s_cbranch_execz .LBB277_835
; %bb.830:                              ;   in Loop: Header=BB277_803 Depth=1
	v_and_b32_e32 v82, 0x7f, v3
	v_mov_b32_e32 v18, 0x7c010000
	s_mov_b32 s19, exec_lo
	v_cmpx_ne_u32_e32 0x7f, v82
	s_cbranch_execz .LBB277_834
; %bb.831:                              ;   in Loop: Header=BB277_803 Depth=1
	v_and_b32_e32 v2, 7, v3
	v_lshrrev_b32_e32 v18, 3, v82
	s_mov_b32 s20, exec_lo
	v_cmpx_gt_u32_e32 8, v82
; %bb.832:                              ;   in Loop: Header=BB277_803 Depth=1
	v_ffbh_u32_e32 v2, v2
	v_min_u32_e32 v2, 32, v2
	v_subrev_nc_u32_e32 v18, 28, v2
	v_lshlrev_b64 v[35:36], v18, v[3:4]
	v_sub_nc_u32_e32 v18, 29, v2
	v_and_b32_e32 v2, 7, v35
; %bb.833:                              ;   in Loop: Header=BB277_803 Depth=1
	s_or_b32 exec_lo, exec_lo, s20
	v_lshlrev_b32_e32 v3, 8, v3
	v_lshl_add_u32 v18, v18, 10, 0x2000
	v_lshlrev_b32_e32 v2, 23, v2
	v_and_or_b32 v3, 0x8000, v3, v18
	v_lshl_or_b32 v18, v3, 16, v2
.LBB277_834:                            ;   in Loop: Header=BB277_803 Depth=1
	s_or_b32 exec_lo, exec_lo, s19
.LBB277_835:                            ;   in Loop: Header=BB277_803 Depth=1
	s_or_b32 exec_lo, exec_lo, s18
.LBB277_836:                            ;   in Loop: Header=BB277_803 Depth=1
	s_or_b32 exec_lo, exec_lo, s4
	v_mov_b32_e32 v3, v12
	v_cmp_ne_u16_sdwa s18, v12, v4 src0_sel:BYTE_0 src1_sel:DWORD
	v_mov_b32_e32 v82, 0
	v_mov_b32_e32 v2, 0
	s_and_saveexec_b32 s4, s18
	s_cbranch_execz .LBB277_844
; %bb.837:                              ;   in Loop: Header=BB277_803 Depth=1
	v_cmp_ne_u16_sdwa s19, v12, v39 src0_sel:BYTE_0 src1_sel:DWORD
	v_mov_b32_e32 v2, 0x8000
	s_and_saveexec_b32 s18, s19
	s_cbranch_execz .LBB277_843
; %bb.838:                              ;   in Loop: Header=BB277_803 Depth=1
	v_and_b32_e32 v84, 0x7f, v12
	v_mov_b32_e32 v2, 0x7c01
	s_mov_b32 s19, exec_lo
	v_cmpx_ne_u32_e32 0x7f, v84
	s_cbranch_execz .LBB277_842
; %bb.839:                              ;   in Loop: Header=BB277_803 Depth=1
	v_and_b32_e32 v2, 7, v12
	v_lshrrev_b32_e32 v83, 3, v84
	s_mov_b32 s20, exec_lo
	v_cmpx_gt_u32_e32 8, v84
; %bb.840:                              ;   in Loop: Header=BB277_803 Depth=1
	v_ffbh_u32_e32 v2, v2
	v_min_u32_e32 v2, 32, v2
	v_subrev_nc_u32_e32 v35, 28, v2
	v_sub_nc_u32_e32 v83, 29, v2
	v_lshlrev_b64 v[35:36], v35, v[3:4]
	v_and_b32_e32 v2, 7, v35
; %bb.841:                              ;   in Loop: Header=BB277_803 Depth=1
	s_or_b32 exec_lo, exec_lo, s20
	v_lshlrev_b32_e32 v35, 8, v12
	v_lshl_add_u32 v36, v83, 10, 0x2000
	v_lshlrev_b32_e32 v2, 7, v2
	v_and_b32_e32 v35, 0x8000, v35
	v_and_b32_e32 v36, 0xfc00, v36
	v_or3_b32 v2, v35, v36, v2
.LBB277_842:                            ;   in Loop: Header=BB277_803 Depth=1
	s_or_b32 exec_lo, exec_lo, s19
.LBB277_843:                            ;   in Loop: Header=BB277_803 Depth=1
	s_or_b32 exec_lo, exec_lo, s18
.LBB277_844:                            ;   in Loop: Header=BB277_803 Depth=1
	s_or_b32 exec_lo, exec_lo, s4
	v_lshrrev_b16 v3, 8, v3
	v_mov_b32_e32 v83, 0
	s_mov_b32 s4, exec_lo
	v_cmpx_ne_u16_e32 0, v3
	s_cbranch_execz .LBB277_852
; %bb.845:                              ;   in Loop: Header=BB277_803 Depth=1
	v_bfrev_b32_e32 v83, 1
	s_mov_b32 s18, exec_lo
	v_cmpx_ne_u16_e32 0x80, v3
	s_cbranch_execz .LBB277_851
; %bb.846:                              ;   in Loop: Header=BB277_803 Depth=1
	v_and_b32_sdwa v85, v3, v48 dst_sel:DWORD dst_unused:UNUSED_PAD src0_sel:WORD_0 src1_sel:DWORD
	v_mov_b32_e32 v83, 0x7c010000
	s_mov_b32 s19, exec_lo
	v_cmpx_ne_u32_e32 0x7f, v85
	s_cbranch_execz .LBB277_850
; %bb.847:                              ;   in Loop: Header=BB277_803 Depth=1
	v_and_b32_sdwa v83, v3, v54 dst_sel:DWORD dst_unused:UNUSED_PAD src0_sel:WORD_0 src1_sel:DWORD
	v_lshrrev_b32_e32 v84, 3, v85
	s_mov_b32 s20, exec_lo
	v_cmpx_gt_u32_e32 8, v85
; %bb.848:                              ;   in Loop: Header=BB277_803 Depth=1
	v_ffbh_u32_e32 v35, v83
	v_min_u32_e32 v37, 32, v35
	v_subrev_nc_u32_e32 v35, 28, v37
	v_sub_nc_u32_e32 v84, 29, v37
	v_lshlrev_b64 v[35:36], v35, v[3:4]
	v_and_b32_e32 v83, 7, v35
; %bb.849:                              ;   in Loop: Header=BB277_803 Depth=1
	s_or_b32 exec_lo, exec_lo, s20
	v_lshlrev_b32_sdwa v3, v34, v3 dst_sel:DWORD dst_unused:UNUSED_PAD src0_sel:DWORD src1_sel:WORD_0
	v_lshl_add_u32 v35, v84, 10, 0x2000
	v_and_or_b32 v3, 0x8000, v3, v35
	v_lshlrev_b32_e32 v35, 23, v83
	v_lshl_or_b32 v83, v3, 16, v35
.LBB277_850:                            ;   in Loop: Header=BB277_803 Depth=1
	s_or_b32 exec_lo, exec_lo, s19
.LBB277_851:                            ;   in Loop: Header=BB277_803 Depth=1
	s_or_b32 exec_lo, exec_lo, s18
.LBB277_852:                            ;   in Loop: Header=BB277_803 Depth=1
	s_or_b32 exec_lo, exec_lo, s4
	v_lshrrev_b32_e32 v3, 16, v12
	v_cmp_ne_u16_sdwa s18, v3, v4 src0_sel:BYTE_0 src1_sel:DWORD
	s_and_saveexec_b32 s4, s18
	s_cbranch_execz .LBB277_860
; %bb.853:                              ;   in Loop: Header=BB277_803 Depth=1
	v_cmp_ne_u16_sdwa s19, v3, v39 src0_sel:BYTE_0 src1_sel:DWORD
	v_mov_b32_e32 v82, 0x8000
	s_and_saveexec_b32 s18, s19
	s_cbranch_execz .LBB277_859
; %bb.854:                              ;   in Loop: Header=BB277_803 Depth=1
	v_bfe_u32 v85, v12, 16, 7
	v_mov_b32_e32 v82, 0x7c01
	s_mov_b32 s19, exec_lo
	v_cmpx_ne_u32_e32 0x7f, v85
	s_cbranch_execz .LBB277_858
; %bb.855:                              ;   in Loop: Header=BB277_803 Depth=1
	v_and_b32_e32 v82, 7, v3
	v_lshrrev_b32_e32 v84, 3, v85
	s_mov_b32 s20, exec_lo
	v_cmpx_gt_u32_e32 8, v85
; %bb.856:                              ;   in Loop: Header=BB277_803 Depth=1
	v_ffbh_u32_e32 v35, v82
	v_min_u32_e32 v37, 32, v35
	v_subrev_nc_u32_e32 v35, 28, v37
	v_sub_nc_u32_e32 v84, 29, v37
	v_lshlrev_b64 v[35:36], v35, v[3:4]
	v_and_b32_e32 v82, 7, v35
; %bb.857:                              ;   in Loop: Header=BB277_803 Depth=1
	s_or_b32 exec_lo, exec_lo, s20
	v_lshlrev_b32_e32 v3, 8, v3
	v_lshl_add_u32 v35, v84, 10, 0x2000
	v_lshlrev_b32_e32 v36, 7, v82
	v_and_b32_e32 v3, 0x8000, v3
	v_and_b32_e32 v35, 0xfc00, v35
	v_or3_b32 v82, v3, v35, v36
.LBB277_858:                            ;   in Loop: Header=BB277_803 Depth=1
	s_or_b32 exec_lo, exec_lo, s19
.LBB277_859:                            ;   in Loop: Header=BB277_803 Depth=1
	s_or_b32 exec_lo, exec_lo, s18
.LBB277_860:                            ;   in Loop: Header=BB277_803 Depth=1
	s_or_b32 exec_lo, exec_lo, s4
	v_cmp_lt_u64_e32 vcc_lo, s[6:7], v[11:12]
	v_mov_b32_e32 v11, 0
	s_and_saveexec_b32 s4, vcc_lo
	s_cbranch_execz .LBB277_868
; %bb.861:                              ;   in Loop: Header=BB277_803 Depth=1
	v_lshrrev_b32_e32 v3, 24, v12
	v_bfrev_b32_e32 v11, 1
	s_mov_b32 s18, exec_lo
	v_cmpx_ne_u32_e32 0x80, v3
	s_cbranch_execz .LBB277_867
; %bb.862:                              ;   in Loop: Header=BB277_803 Depth=1
	v_and_b32_e32 v84, 0x7f, v3
	v_mov_b32_e32 v11, 0x7c010000
	s_mov_b32 s19, exec_lo
	v_cmpx_ne_u32_e32 0x7f, v84
	s_cbranch_execz .LBB277_866
; %bb.863:                              ;   in Loop: Header=BB277_803 Depth=1
	v_and_b32_e32 v11, 7, v3
	v_lshrrev_b32_e32 v12, 3, v84
	s_mov_b32 s20, exec_lo
	v_cmpx_gt_u32_e32 8, v84
; %bb.864:                              ;   in Loop: Header=BB277_803 Depth=1
	v_ffbh_u32_e32 v11, v11
	v_min_u32_e32 v35, 32, v11
	v_subrev_nc_u32_e32 v11, 28, v35
	v_lshlrev_b64 v[11:12], v11, v[3:4]
	v_sub_nc_u32_e32 v12, 29, v35
	v_and_b32_e32 v11, 7, v11
; %bb.865:                              ;   in Loop: Header=BB277_803 Depth=1
	s_or_b32 exec_lo, exec_lo, s20
	v_lshlrev_b32_e32 v3, 8, v3
	v_lshl_add_u32 v12, v12, 10, 0x2000
	v_lshlrev_b32_e32 v11, 23, v11
	v_and_or_b32 v3, 0x8000, v3, v12
	v_lshl_or_b32 v11, v3, 16, v11
.LBB277_866:                            ;   in Loop: Header=BB277_803 Depth=1
	s_or_b32 exec_lo, exec_lo, s19
.LBB277_867:                            ;   in Loop: Header=BB277_803 Depth=1
	s_or_b32 exec_lo, exec_lo, s18
.LBB277_868:                            ;   in Loop: Header=BB277_803 Depth=1
	s_or_b32 exec_lo, exec_lo, s4
	v_or_b32_e32 v3, v18, v67
	s_waitcnt vmcnt(0) lgkmcnt(0)
	v_fma_mixlo_f16 v12, v71, v18, 0 op_sel:[0,1,0] op_sel_hi:[0,1,0]
	v_or_b32_e32 v18, v80, v81
	v_fma_mixlo_f16 v35, v71, v80, 0 op_sel:[0,1,0] op_sel_hi:[0,1,0]
	v_or_b32_e32 v2, v83, v2
	v_or_b32_e32 v37, v11, v82
	v_fma_mixlo_f16 v36, v71, v3, 0 op_sel_hi:[0,1,0]
	v_lshlrev_b32_e32 v3, 16, v12
	v_lshlrev_b32_e32 v98, 16, v35
	v_fma_mixlo_f16 v12, v71, v18, 0 op_sel_hi:[0,1,0]
	v_fma_mixlo_f16 v18, v71, v83, 0 op_sel:[0,1,0] op_sel_hi:[0,1,0]
	v_fma_mixlo_f16 v2, v71, v2, 0 op_sel_hi:[0,1,0]
	v_fma_mixlo_f16 v11, v71, v11, 0 op_sel:[0,1,0] op_sel_hi:[0,1,0]
	v_fma_mixlo_f16 v35, v71, v37, 0 op_sel_hi:[0,1,0]
	v_add_nc_u32_e32 v67, v64, v19
	v_and_b32_e32 v80, 0xffff, v36
	v_and_b32_e32 v100, 0xffff, v12
	v_lshlrev_b32_e32 v82, 16, v18
	v_and_b32_e32 v99, 0xffff, v2
	v_lshlrev_b32_e32 v18, 16, v11
	v_and_b32_e32 v85, 0xffff, v35
	v_cmp_eq_u32_e32 vcc_lo, v38, v66
	v_or_b32_e32 v2, v3, v80
	v_or_b32_e32 v11, v98, v100
	;; [unrolled: 1-line block ×4, first 2 shown]
	v_add_nc_u32_e32 v96, 1, v67
	v_add_nc_u32_e32 v87, 2, v67
	;; [unrolled: 1-line block ×7, first 2 shown]
	s_and_saveexec_b32 s18, vcc_lo
	s_cbranch_execz .LBB277_870
; %bb.869:                              ;   in Loop: Header=BB277_803 Depth=1
	v_cmp_lt_i32_e64 s4, v67, v30
	v_cndmask_b32_e64 v2, 0, v100, s4
	v_cmp_lt_i32_e64 s4, v96, v30
	v_cndmask_b32_e64 v11, 0, v98, s4
	v_cmp_lt_i32_e64 s4, v87, v30
	v_or_b32_e32 v11, v2, v11
	v_cndmask_b32_e64 v12, 0, v80, s4
	v_cmp_lt_i32_e64 s4, v86, v30
	v_cndmask_b32_e64 v3, 0, v3, s4
	v_cmp_lt_i32_e64 s4, v84, v30
	v_or_b32_e32 v2, v12, v3
	;; [unrolled: 5-line block ×3, first 2 shown]
	v_cndmask_b32_e64 v37, 0, v85, s4
	v_cmp_lt_i32_e64 s4, v71, v30
	v_cndmask_b32_e64 v18, 0, v18, s4
	v_or_b32_e32 v97, v37, v18
.LBB277_870:                            ;   in Loop: Header=BB277_803 Depth=1
	s_or_b32 exec_lo, exec_lo, s18
	v_and_b32_e32 v0, 0xffff, v0
	v_and_b32_e32 v3, 0xffff, v68
	;; [unrolled: 1-line block ×4, first 2 shown]
	v_lshl_or_b32 v85, v1, 16, v0
	;;#ASMSTART
	v_pk_mul_f16 v0, v85, v11;

	;;#ASMEND
	v_lshl_or_b32 v82, v29, 16, v3
	v_lshl_or_b32 v80, v31, 16, v18
	;; [unrolled: 1-line block ×3, first 2 shown]
	;;#ASMSTART
	v_pk_mul_f16 v1, v82, v2;

	;;#ASMEND
	;;#ASMSTART
	v_pk_mul_f16 v2, v80, v12;

	;;#ASMEND
	;; [unrolled: 4-line block ×3, first 2 shown]
	;;#ASMSTART
	v_pk_add_f16 v0, v0, v1;

	;;#ASMEND
	;;#ASMSTART
	v_pk_add_f16 v0, v0, v2;

	;;#ASMEND
	;; [unrolled: 4-line block ×3, first 2 shown]
	v_and_b32_e32 v1, 0xffff, v0
	v_lshrrev_b32_e32 v0, 16, v0
	;;#ASMSTART
	v_cvt_f32_f16 v68, v1;
	;;#ASMEND
	;;#ASMSTART
	v_cvt_f32_f16 v69, v0;
	;;#ASMEND
	flat_load_dwordx2 v[11:12], v[9:10] offset:256
	flat_load_dword v0, v[22:23]
	v_mov_b32_e32 v1, 0
	v_mov_b32_e32 v29, 0
	s_waitcnt vmcnt(1) lgkmcnt(1)
	v_cmp_ne_u16_sdwa s4, v11, v4 src0_sel:BYTE_0 src1_sel:DWORD
	s_and_saveexec_b32 s18, s4
	s_cbranch_execz .LBB277_878
; %bb.871:                              ;   in Loop: Header=BB277_803 Depth=1
	v_cmp_ne_u16_sdwa s4, v11, v39 src0_sel:BYTE_0 src1_sel:DWORD
	v_mov_b32_e32 v29, 0x8000
	s_and_saveexec_b32 s19, s4
	s_cbranch_execz .LBB277_877
; %bb.872:                              ;   in Loop: Header=BB277_803 Depth=1
	v_and_b32_e32 v18, 0x7f, v11
	v_mov_b32_e32 v29, 0x7c01
	s_mov_b32 s20, exec_lo
	v_cmpx_ne_u32_e32 0x7f, v18
	s_cbranch_execz .LBB277_876
; %bb.873:                              ;   in Loop: Header=BB277_803 Depth=1
	v_and_b32_e32 v2, 7, v11
	v_lshrrev_b32_e32 v3, 3, v18
	s_mov_b32 s21, exec_lo
	v_cmpx_gt_u32_e32 8, v18
; %bb.874:                              ;   in Loop: Header=BB277_803 Depth=1
	v_ffbh_u32_e32 v2, v2
	v_min_u32_e32 v18, 32, v2
	v_subrev_nc_u32_e32 v2, 28, v18
	v_lshlrev_b64 v[2:3], v2, v[11:12]
	v_sub_nc_u32_e32 v3, 29, v18
	v_and_b32_e32 v2, 7, v2
; %bb.875:                              ;   in Loop: Header=BB277_803 Depth=1
	s_or_b32 exec_lo, exec_lo, s21
	v_lshlrev_b32_e32 v18, 8, v11
	v_lshl_add_u32 v3, v3, 10, 0x2000
	v_lshlrev_b32_e32 v2, 7, v2
	v_and_b32_e32 v18, 0x8000, v18
	v_and_b32_e32 v3, 0xfc00, v3
	v_or3_b32 v29, v18, v3, v2
.LBB277_876:                            ;   in Loop: Header=BB277_803 Depth=1
	s_or_b32 exec_lo, exec_lo, s20
.LBB277_877:                            ;   in Loop: Header=BB277_803 Depth=1
	s_or_b32 exec_lo, exec_lo, s19
.LBB277_878:                            ;   in Loop: Header=BB277_803 Depth=1
	s_or_b32 exec_lo, exec_lo, s18
	v_lshrrev_b16 v3, 8, v11
	s_mov_b32 s18, exec_lo
	v_cmpx_ne_u16_e32 0, v3
	s_cbranch_execz .LBB277_886
; %bb.879:                              ;   in Loop: Header=BB277_803 Depth=1
	v_bfrev_b32_e32 v1, 1
	s_mov_b32 s19, exec_lo
	v_cmpx_ne_u16_e32 0x80, v3
	s_cbranch_execz .LBB277_885
; %bb.880:                              ;   in Loop: Header=BB277_803 Depth=1
	v_and_b32_sdwa v18, v3, v48 dst_sel:DWORD dst_unused:UNUSED_PAD src0_sel:WORD_0 src1_sel:DWORD
	v_mov_b32_e32 v1, 0x7c010000
	s_mov_b32 s20, exec_lo
	v_cmpx_ne_u32_e32 0x7f, v18
	s_cbranch_execz .LBB277_884
; %bb.881:                              ;   in Loop: Header=BB277_803 Depth=1
	v_and_b32_sdwa v1, v3, v54 dst_sel:DWORD dst_unused:UNUSED_PAD src0_sel:WORD_0 src1_sel:DWORD
	v_lshrrev_b32_e32 v2, 3, v18
	s_mov_b32 s21, exec_lo
	v_cmpx_gt_u32_e32 8, v18
; %bb.882:                              ;   in Loop: Header=BB277_803 Depth=1
	v_ffbh_u32_e32 v1, v1
	v_min_u32_e32 v18, 32, v1
	v_subrev_nc_u32_e32 v1, 28, v18
	v_lshlrev_b64 v[1:2], v1, v[3:4]
	v_sub_nc_u32_e32 v2, 29, v18
	v_and_b32_e32 v1, 7, v1
; %bb.883:                              ;   in Loop: Header=BB277_803 Depth=1
	s_or_b32 exec_lo, exec_lo, s21
	v_lshlrev_b32_sdwa v3, v34, v3 dst_sel:DWORD dst_unused:UNUSED_PAD src0_sel:DWORD src1_sel:WORD_0
	v_lshl_add_u32 v2, v2, 10, 0x2000
	v_lshlrev_b32_e32 v1, 23, v1
	v_and_or_b32 v2, 0x8000, v3, v2
	v_lshl_or_b32 v1, v2, 16, v1
.LBB277_884:                            ;   in Loop: Header=BB277_803 Depth=1
	s_or_b32 exec_lo, exec_lo, s20
.LBB277_885:                            ;   in Loop: Header=BB277_803 Depth=1
	s_or_b32 exec_lo, exec_lo, s19
.LBB277_886:                            ;   in Loop: Header=BB277_803 Depth=1
	s_or_b32 exec_lo, exec_lo, s18
	v_lshrrev_b32_e32 v3, 16, v11
	v_mov_b32_e32 v18, 0
	v_mov_b32_e32 v31, 0
	v_cmp_ne_u16_sdwa s4, v3, v4 src0_sel:BYTE_0 src1_sel:DWORD
	s_and_saveexec_b32 s18, s4
	s_cbranch_execz .LBB277_894
; %bb.887:                              ;   in Loop: Header=BB277_803 Depth=1
	v_cmp_ne_u16_sdwa s4, v3, v39 src0_sel:BYTE_0 src1_sel:DWORD
	v_mov_b32_e32 v31, 0x8000
	s_and_saveexec_b32 s19, s4
	s_cbranch_execz .LBB277_893
; %bb.888:                              ;   in Loop: Header=BB277_803 Depth=1
	v_bfe_u32 v32, v11, 16, 7
	v_mov_b32_e32 v31, 0x7c01
	s_mov_b32 s20, exec_lo
	v_cmpx_ne_u32_e32 0x7f, v32
	s_cbranch_execz .LBB277_892
; %bb.889:                              ;   in Loop: Header=BB277_803 Depth=1
	v_and_b32_e32 v2, 7, v3
	v_lshrrev_b32_e32 v31, 3, v32
	s_mov_b32 s21, exec_lo
	v_cmpx_gt_u32_e32 8, v32
; %bb.890:                              ;   in Loop: Header=BB277_803 Depth=1
	v_ffbh_u32_e32 v2, v2
	v_min_u32_e32 v2, 32, v2
	v_subrev_nc_u32_e32 v31, 28, v2
	v_lshlrev_b64 v[35:36], v31, v[3:4]
	v_sub_nc_u32_e32 v31, 29, v2
	v_and_b32_e32 v2, 7, v35
; %bb.891:                              ;   in Loop: Header=BB277_803 Depth=1
	s_or_b32 exec_lo, exec_lo, s21
	v_lshlrev_b32_e32 v3, 8, v3
	v_lshl_add_u32 v31, v31, 10, 0x2000
	v_lshlrev_b32_e32 v2, 7, v2
	v_and_b32_e32 v3, 0x8000, v3
	v_and_b32_e32 v31, 0xfc00, v31
	v_or3_b32 v31, v3, v31, v2
.LBB277_892:                            ;   in Loop: Header=BB277_803 Depth=1
	s_or_b32 exec_lo, exec_lo, s20
.LBB277_893:                            ;   in Loop: Header=BB277_803 Depth=1
	s_or_b32 exec_lo, exec_lo, s19
.LBB277_894:                            ;   in Loop: Header=BB277_803 Depth=1
	s_or_b32 exec_lo, exec_lo, s18
	s_mov_b32 s18, exec_lo
	v_cmpx_lt_u32_e32 0xffffff, v11
	s_cbranch_execz .LBB277_902
; %bb.895:                              ;   in Loop: Header=BB277_803 Depth=1
	v_lshrrev_b32_e32 v3, 24, v11
	v_bfrev_b32_e32 v18, 1
	s_mov_b32 s19, exec_lo
	v_cmpx_ne_u32_e32 0x80, v3
	s_cbranch_execz .LBB277_901
; %bb.896:                              ;   in Loop: Header=BB277_803 Depth=1
	v_and_b32_e32 v32, 0x7f, v3
	v_mov_b32_e32 v18, 0x7c010000
	s_mov_b32 s20, exec_lo
	v_cmpx_ne_u32_e32 0x7f, v32
	s_cbranch_execz .LBB277_900
; %bb.897:                              ;   in Loop: Header=BB277_803 Depth=1
	v_and_b32_e32 v2, 7, v3
	v_lshrrev_b32_e32 v18, 3, v32
	s_mov_b32 s21, exec_lo
	v_cmpx_gt_u32_e32 8, v32
; %bb.898:                              ;   in Loop: Header=BB277_803 Depth=1
	v_ffbh_u32_e32 v2, v2
	v_min_u32_e32 v2, 32, v2
	v_subrev_nc_u32_e32 v18, 28, v2
	v_lshlrev_b64 v[35:36], v18, v[3:4]
	v_sub_nc_u32_e32 v18, 29, v2
	v_and_b32_e32 v2, 7, v35
; %bb.899:                              ;   in Loop: Header=BB277_803 Depth=1
	s_or_b32 exec_lo, exec_lo, s21
	v_lshlrev_b32_e32 v3, 8, v3
	v_lshl_add_u32 v18, v18, 10, 0x2000
	v_lshlrev_b32_e32 v2, 23, v2
	v_and_or_b32 v3, 0x8000, v3, v18
	v_lshl_or_b32 v18, v3, 16, v2
.LBB277_900:                            ;   in Loop: Header=BB277_803 Depth=1
	s_or_b32 exec_lo, exec_lo, s20
.LBB277_901:                            ;   in Loop: Header=BB277_803 Depth=1
	s_or_b32 exec_lo, exec_lo, s19
.LBB277_902:                            ;   in Loop: Header=BB277_803 Depth=1
	s_or_b32 exec_lo, exec_lo, s18
	v_mov_b32_e32 v3, v12
	v_cmp_ne_u16_sdwa s4, v12, v4 src0_sel:BYTE_0 src1_sel:DWORD
	v_mov_b32_e32 v2, 0
	v_mov_b32_e32 v32, 0
	s_and_saveexec_b32 s18, s4
	s_cbranch_execz .LBB277_910
; %bb.903:                              ;   in Loop: Header=BB277_803 Depth=1
	v_cmp_ne_u16_sdwa s4, v12, v39 src0_sel:BYTE_0 src1_sel:DWORD
	v_mov_b32_e32 v32, 0x8000
	s_and_saveexec_b32 s19, s4
	s_cbranch_execz .LBB277_909
; %bb.904:                              ;   in Loop: Header=BB277_803 Depth=1
	v_and_b32_e32 v98, 0x7f, v12
	v_mov_b32_e32 v32, 0x7c01
	s_mov_b32 s20, exec_lo
	v_cmpx_ne_u32_e32 0x7f, v98
	s_cbranch_execz .LBB277_908
; %bb.905:                              ;   in Loop: Header=BB277_803 Depth=1
	v_and_b32_e32 v32, 7, v12
	v_lshrrev_b32_e32 v97, 3, v98
	s_mov_b32 s21, exec_lo
	v_cmpx_gt_u32_e32 8, v98
; %bb.906:                              ;   in Loop: Header=BB277_803 Depth=1
	v_ffbh_u32_e32 v32, v32
	v_min_u32_e32 v32, 32, v32
	v_subrev_nc_u32_e32 v35, 28, v32
	v_sub_nc_u32_e32 v97, 29, v32
	v_lshlrev_b64 v[35:36], v35, v[3:4]
	v_and_b32_e32 v32, 7, v35
; %bb.907:                              ;   in Loop: Header=BB277_803 Depth=1
	s_or_b32 exec_lo, exec_lo, s21
	v_lshlrev_b32_e32 v35, 8, v12
	v_lshl_add_u32 v36, v97, 10, 0x2000
	v_lshlrev_b32_e32 v32, 7, v32
	v_and_b32_e32 v35, 0x8000, v35
	v_and_b32_e32 v36, 0xfc00, v36
	v_or3_b32 v32, v35, v36, v32
.LBB277_908:                            ;   in Loop: Header=BB277_803 Depth=1
	s_or_b32 exec_lo, exec_lo, s20
.LBB277_909:                            ;   in Loop: Header=BB277_803 Depth=1
	s_or_b32 exec_lo, exec_lo, s19
.LBB277_910:                            ;   in Loop: Header=BB277_803 Depth=1
	s_or_b32 exec_lo, exec_lo, s18
	v_lshrrev_b16 v3, 8, v3
	v_mov_b32_e32 v97, 0
	s_mov_b32 s18, exec_lo
	v_cmpx_ne_u16_e32 0, v3
	s_cbranch_execz .LBB277_918
; %bb.911:                              ;   in Loop: Header=BB277_803 Depth=1
	v_bfrev_b32_e32 v97, 1
	s_mov_b32 s19, exec_lo
	v_cmpx_ne_u16_e32 0x80, v3
	s_cbranch_execz .LBB277_917
; %bb.912:                              ;   in Loop: Header=BB277_803 Depth=1
	v_and_b32_sdwa v99, v3, v48 dst_sel:DWORD dst_unused:UNUSED_PAD src0_sel:WORD_0 src1_sel:DWORD
	v_mov_b32_e32 v97, 0x7c010000
	s_mov_b32 s20, exec_lo
	v_cmpx_ne_u32_e32 0x7f, v99
	s_cbranch_execz .LBB277_916
; %bb.913:                              ;   in Loop: Header=BB277_803 Depth=1
	v_and_b32_sdwa v97, v3, v54 dst_sel:DWORD dst_unused:UNUSED_PAD src0_sel:WORD_0 src1_sel:DWORD
	v_lshrrev_b32_e32 v98, 3, v99
	s_mov_b32 s21, exec_lo
	v_cmpx_gt_u32_e32 8, v99
; %bb.914:                              ;   in Loop: Header=BB277_803 Depth=1
	v_ffbh_u32_e32 v35, v97
	v_min_u32_e32 v37, 32, v35
	v_subrev_nc_u32_e32 v35, 28, v37
	v_sub_nc_u32_e32 v98, 29, v37
	v_lshlrev_b64 v[35:36], v35, v[3:4]
	v_and_b32_e32 v97, 7, v35
; %bb.915:                              ;   in Loop: Header=BB277_803 Depth=1
	s_or_b32 exec_lo, exec_lo, s21
	v_lshlrev_b32_sdwa v3, v34, v3 dst_sel:DWORD dst_unused:UNUSED_PAD src0_sel:DWORD src1_sel:WORD_0
	v_lshl_add_u32 v35, v98, 10, 0x2000
	v_and_or_b32 v3, 0x8000, v3, v35
	v_lshlrev_b32_e32 v35, 23, v97
	v_lshl_or_b32 v97, v3, 16, v35
.LBB277_916:                            ;   in Loop: Header=BB277_803 Depth=1
	s_or_b32 exec_lo, exec_lo, s20
.LBB277_917:                            ;   in Loop: Header=BB277_803 Depth=1
	s_or_b32 exec_lo, exec_lo, s19
.LBB277_918:                            ;   in Loop: Header=BB277_803 Depth=1
	s_or_b32 exec_lo, exec_lo, s18
	v_lshrrev_b32_e32 v3, 16, v12
	v_cmp_ne_u16_sdwa s4, v3, v4 src0_sel:BYTE_0 src1_sel:DWORD
	s_and_saveexec_b32 s18, s4
	s_cbranch_execz .LBB277_926
; %bb.919:                              ;   in Loop: Header=BB277_803 Depth=1
	v_cmp_ne_u16_sdwa s4, v3, v39 src0_sel:BYTE_0 src1_sel:DWORD
	v_mov_b32_e32 v2, 0x8000
	s_and_saveexec_b32 s19, s4
	s_cbranch_execz .LBB277_925
; %bb.920:                              ;   in Loop: Header=BB277_803 Depth=1
	v_bfe_u32 v99, v12, 16, 7
	v_mov_b32_e32 v2, 0x7c01
	s_mov_b32 s20, exec_lo
	v_cmpx_ne_u32_e32 0x7f, v99
	s_cbranch_execz .LBB277_924
; %bb.921:                              ;   in Loop: Header=BB277_803 Depth=1
	v_and_b32_e32 v2, 7, v3
	v_lshrrev_b32_e32 v98, 3, v99
	s_mov_b32 s21, exec_lo
	v_cmpx_gt_u32_e32 8, v99
; %bb.922:                              ;   in Loop: Header=BB277_803 Depth=1
	v_ffbh_u32_e32 v2, v2
	v_min_u32_e32 v2, 32, v2
	v_subrev_nc_u32_e32 v35, 28, v2
	v_sub_nc_u32_e32 v98, 29, v2
	v_lshlrev_b64 v[35:36], v35, v[3:4]
	v_and_b32_e32 v2, 7, v35
; %bb.923:                              ;   in Loop: Header=BB277_803 Depth=1
	s_or_b32 exec_lo, exec_lo, s21
	v_lshlrev_b32_e32 v3, 8, v3
	v_lshl_add_u32 v35, v98, 10, 0x2000
	v_lshlrev_b32_e32 v2, 7, v2
	v_and_b32_e32 v3, 0x8000, v3
	v_and_b32_e32 v35, 0xfc00, v35
	v_or3_b32 v2, v3, v35, v2
.LBB277_924:                            ;   in Loop: Header=BB277_803 Depth=1
	s_or_b32 exec_lo, exec_lo, s20
.LBB277_925:                            ;   in Loop: Header=BB277_803 Depth=1
	s_or_b32 exec_lo, exec_lo, s19
.LBB277_926:                            ;   in Loop: Header=BB277_803 Depth=1
	s_or_b32 exec_lo, exec_lo, s18
	v_cmp_lt_u64_e64 s4, s[6:7], v[11:12]
	v_mov_b32_e32 v11, 0
	s_and_saveexec_b32 s18, s4
	s_cbranch_execz .LBB277_934
; %bb.927:                              ;   in Loop: Header=BB277_803 Depth=1
	v_lshrrev_b32_e32 v3, 24, v12
	v_bfrev_b32_e32 v11, 1
	s_mov_b32 s19, exec_lo
	v_cmpx_ne_u32_e32 0x80, v3
	s_cbranch_execz .LBB277_933
; %bb.928:                              ;   in Loop: Header=BB277_803 Depth=1
	v_and_b32_e32 v98, 0x7f, v3
	v_mov_b32_e32 v11, 0x7c010000
	s_mov_b32 s20, exec_lo
	v_cmpx_ne_u32_e32 0x7f, v98
	s_cbranch_execz .LBB277_932
; %bb.929:                              ;   in Loop: Header=BB277_803 Depth=1
	v_and_b32_e32 v11, 7, v3
	v_lshrrev_b32_e32 v12, 3, v98
	s_mov_b32 s21, exec_lo
	v_cmpx_gt_u32_e32 8, v98
; %bb.930:                              ;   in Loop: Header=BB277_803 Depth=1
	v_ffbh_u32_e32 v11, v11
	v_min_u32_e32 v35, 32, v11
	v_subrev_nc_u32_e32 v11, 28, v35
	v_lshlrev_b64 v[11:12], v11, v[3:4]
	v_sub_nc_u32_e32 v12, 29, v35
	v_and_b32_e32 v11, 7, v11
; %bb.931:                              ;   in Loop: Header=BB277_803 Depth=1
	s_or_b32 exec_lo, exec_lo, s21
	v_lshlrev_b32_e32 v3, 8, v3
	v_lshl_add_u32 v12, v12, 10, 0x2000
	v_lshlrev_b32_e32 v11, 23, v11
	v_and_or_b32 v3, 0x8000, v3, v12
	v_lshl_or_b32 v11, v3, 16, v11
.LBB277_932:                            ;   in Loop: Header=BB277_803 Depth=1
	s_or_b32 exec_lo, exec_lo, s20
.LBB277_933:                            ;   in Loop: Header=BB277_803 Depth=1
	s_or_b32 exec_lo, exec_lo, s19
.LBB277_934:                            ;   in Loop: Header=BB277_803 Depth=1
	s_or_b32 exec_lo, exec_lo, s18
	v_or_b32_e32 v3, v18, v31
	s_waitcnt vmcnt(0) lgkmcnt(0)
	v_fma_mixlo_f16 v12, v0, v18, 0 op_sel:[0,1,0] op_sel_hi:[0,1,0]
	v_or_b32_e32 v18, v1, v29
	v_fma_mixlo_f16 v29, v0, v1, 0 op_sel:[0,1,0] op_sel_hi:[0,1,0]
	v_or_b32_e32 v31, v97, v32
	v_fma_mixlo_f16 v3, v0, v3, 0 op_sel_hi:[0,1,0]
	v_or_b32_e32 v32, v11, v2
	v_lshlrev_b32_e32 v1, 16, v12
	v_lshlrev_b32_e32 v12, 16, v29
	v_fma_mixlo_f16 v18, v0, v18, 0 op_sel_hi:[0,1,0]
	v_and_b32_e32 v2, 0xffff, v3
	v_fma_mixlo_f16 v3, v0, v97, 0 op_sel:[0,1,0] op_sel_hi:[0,1,0]
	v_fma_mixlo_f16 v29, v0, v31, 0 op_sel_hi:[0,1,0]
	v_fma_mixlo_f16 v11, v0, v11, 0 op_sel:[0,1,0] op_sel_hi:[0,1,0]
	v_fma_mixlo_f16 v31, v0, v32, 0 op_sel_hi:[0,1,0]
	v_and_b32_e32 v98, 0xffff, v18
	v_lshlrev_b32_e32 v3, 16, v3
	v_and_b32_e32 v29, 0xffff, v29
	v_lshlrev_b32_e32 v0, 16, v11
	v_and_b32_e32 v11, 0xffff, v31
	v_or_b32_e32 v18, v1, v2
	v_or_b32_e32 v97, v12, v98
	;; [unrolled: 1-line block ×4, first 2 shown]
	s_and_saveexec_b32 s18, vcc_lo
	s_cbranch_execz .LBB277_936
; %bb.935:                              ;   in Loop: Header=BB277_803 Depth=1
	v_cmp_lt_i32_e64 s4, v67, v30
	v_cndmask_b32_e64 v18, 0, v98, s4
	v_cmp_lt_i32_e64 s4, v96, v30
	v_cndmask_b32_e64 v12, 0, v12, s4
	v_cmp_lt_i32_e64 s4, v87, v30
	v_or_b32_e32 v97, v18, v12
	v_cndmask_b32_e64 v2, 0, v2, s4
	v_cmp_lt_i32_e64 s4, v86, v30
	v_cndmask_b32_e64 v1, 0, v1, s4
	v_cmp_lt_i32_e64 s4, v84, v30
	v_or_b32_e32 v18, v2, v1
	;; [unrolled: 5-line block ×3, first 2 shown]
	v_cndmask_b32_e64 v11, 0, v11, s4
	v_cmp_lt_i32_e64 s4, v71, v30
	v_cndmask_b32_e64 v0, 0, v0, s4
	v_or_b32_e32 v31, v11, v0
.LBB277_936:                            ;   in Loop: Header=BB277_803 Depth=1
	s_or_b32 exec_lo, exec_lo, s18
	;;#ASMSTART
	v_pk_mul_f16 v0, v85, v97;

	;;#ASMEND
	;;#ASMSTART
	v_pk_mul_f16 v1, v82, v18;

	;;#ASMEND
	;; [unrolled: 4-line block ×4, first 2 shown]
	;;#ASMSTART
	v_pk_add_f16 v0, v0, v1;

	;;#ASMEND
	;;#ASMSTART
	v_pk_add_f16 v0, v0, v2;

	;;#ASMEND
	;; [unrolled: 4-line block ×3, first 2 shown]
	v_and_b32_e32 v1, 0xffff, v0
	v_lshrrev_b32_e32 v0, 16, v0
	;;#ASMSTART
	v_cvt_f32_f16 v97, v1;
	;;#ASMEND
	;;#ASMSTART
	v_cvt_f32_f16 v98, v0;
	;;#ASMEND
	flat_load_dwordx2 v[11:12], v[9:10] offset:512
	flat_load_dword v0, v[22:23]
	v_mov_b32_e32 v1, 0
	v_mov_b32_e32 v29, 0
	s_waitcnt vmcnt(1) lgkmcnt(1)
	v_cmp_ne_u16_sdwa s4, v11, v4 src0_sel:BYTE_0 src1_sel:DWORD
	s_and_saveexec_b32 s18, s4
	s_cbranch_execz .LBB277_944
; %bb.937:                              ;   in Loop: Header=BB277_803 Depth=1
	v_cmp_ne_u16_sdwa s4, v11, v39 src0_sel:BYTE_0 src1_sel:DWORD
	v_mov_b32_e32 v29, 0x8000
	s_and_saveexec_b32 s19, s4
	s_cbranch_execz .LBB277_943
; %bb.938:                              ;   in Loop: Header=BB277_803 Depth=1
	v_and_b32_e32 v18, 0x7f, v11
	v_mov_b32_e32 v29, 0x7c01
	s_mov_b32 s20, exec_lo
	v_cmpx_ne_u32_e32 0x7f, v18
	s_cbranch_execz .LBB277_942
; %bb.939:                              ;   in Loop: Header=BB277_803 Depth=1
	v_and_b32_e32 v2, 7, v11
	v_lshrrev_b32_e32 v3, 3, v18
	s_mov_b32 s21, exec_lo
	v_cmpx_gt_u32_e32 8, v18
; %bb.940:                              ;   in Loop: Header=BB277_803 Depth=1
	v_ffbh_u32_e32 v2, v2
	v_min_u32_e32 v18, 32, v2
	v_subrev_nc_u32_e32 v2, 28, v18
	v_lshlrev_b64 v[2:3], v2, v[11:12]
	v_sub_nc_u32_e32 v3, 29, v18
	v_and_b32_e32 v2, 7, v2
; %bb.941:                              ;   in Loop: Header=BB277_803 Depth=1
	s_or_b32 exec_lo, exec_lo, s21
	v_lshlrev_b32_e32 v18, 8, v11
	v_lshl_add_u32 v3, v3, 10, 0x2000
	v_lshlrev_b32_e32 v2, 7, v2
	v_and_b32_e32 v18, 0x8000, v18
	v_and_b32_e32 v3, 0xfc00, v3
	v_or3_b32 v29, v18, v3, v2
.LBB277_942:                            ;   in Loop: Header=BB277_803 Depth=1
	s_or_b32 exec_lo, exec_lo, s20
.LBB277_943:                            ;   in Loop: Header=BB277_803 Depth=1
	s_or_b32 exec_lo, exec_lo, s19
.LBB277_944:                            ;   in Loop: Header=BB277_803 Depth=1
	s_or_b32 exec_lo, exec_lo, s18
	v_lshrrev_b16 v3, 8, v11
	s_mov_b32 s18, exec_lo
	v_cmpx_ne_u16_e32 0, v3
	s_cbranch_execz .LBB277_952
; %bb.945:                              ;   in Loop: Header=BB277_803 Depth=1
	v_bfrev_b32_e32 v1, 1
	s_mov_b32 s19, exec_lo
	v_cmpx_ne_u16_e32 0x80, v3
	s_cbranch_execz .LBB277_951
; %bb.946:                              ;   in Loop: Header=BB277_803 Depth=1
	v_and_b32_sdwa v18, v3, v48 dst_sel:DWORD dst_unused:UNUSED_PAD src0_sel:WORD_0 src1_sel:DWORD
	v_mov_b32_e32 v1, 0x7c010000
	s_mov_b32 s20, exec_lo
	v_cmpx_ne_u32_e32 0x7f, v18
	s_cbranch_execz .LBB277_950
; %bb.947:                              ;   in Loop: Header=BB277_803 Depth=1
	v_and_b32_sdwa v1, v3, v54 dst_sel:DWORD dst_unused:UNUSED_PAD src0_sel:WORD_0 src1_sel:DWORD
	v_lshrrev_b32_e32 v2, 3, v18
	s_mov_b32 s21, exec_lo
	v_cmpx_gt_u32_e32 8, v18
; %bb.948:                              ;   in Loop: Header=BB277_803 Depth=1
	v_ffbh_u32_e32 v1, v1
	v_min_u32_e32 v18, 32, v1
	v_subrev_nc_u32_e32 v1, 28, v18
	v_lshlrev_b64 v[1:2], v1, v[3:4]
	v_sub_nc_u32_e32 v2, 29, v18
	v_and_b32_e32 v1, 7, v1
; %bb.949:                              ;   in Loop: Header=BB277_803 Depth=1
	s_or_b32 exec_lo, exec_lo, s21
	v_lshlrev_b32_sdwa v3, v34, v3 dst_sel:DWORD dst_unused:UNUSED_PAD src0_sel:DWORD src1_sel:WORD_0
	v_lshl_add_u32 v2, v2, 10, 0x2000
	v_lshlrev_b32_e32 v1, 23, v1
	v_and_or_b32 v2, 0x8000, v3, v2
	v_lshl_or_b32 v1, v2, 16, v1
.LBB277_950:                            ;   in Loop: Header=BB277_803 Depth=1
	s_or_b32 exec_lo, exec_lo, s20
.LBB277_951:                            ;   in Loop: Header=BB277_803 Depth=1
	s_or_b32 exec_lo, exec_lo, s19
.LBB277_952:                            ;   in Loop: Header=BB277_803 Depth=1
	s_or_b32 exec_lo, exec_lo, s18
	v_lshrrev_b32_e32 v3, 16, v11
	v_mov_b32_e32 v18, 0
	v_mov_b32_e32 v31, 0
	v_cmp_ne_u16_sdwa s4, v3, v4 src0_sel:BYTE_0 src1_sel:DWORD
	s_and_saveexec_b32 s18, s4
	s_cbranch_execz .LBB277_960
; %bb.953:                              ;   in Loop: Header=BB277_803 Depth=1
	v_cmp_ne_u16_sdwa s4, v3, v39 src0_sel:BYTE_0 src1_sel:DWORD
	v_mov_b32_e32 v31, 0x8000
	s_and_saveexec_b32 s19, s4
	s_cbranch_execz .LBB277_959
; %bb.954:                              ;   in Loop: Header=BB277_803 Depth=1
	v_bfe_u32 v32, v11, 16, 7
	v_mov_b32_e32 v31, 0x7c01
	s_mov_b32 s20, exec_lo
	v_cmpx_ne_u32_e32 0x7f, v32
	s_cbranch_execz .LBB277_958
; %bb.955:                              ;   in Loop: Header=BB277_803 Depth=1
	v_and_b32_e32 v2, 7, v3
	v_lshrrev_b32_e32 v31, 3, v32
	s_mov_b32 s21, exec_lo
	v_cmpx_gt_u32_e32 8, v32
; %bb.956:                              ;   in Loop: Header=BB277_803 Depth=1
	v_ffbh_u32_e32 v2, v2
	v_min_u32_e32 v2, 32, v2
	v_subrev_nc_u32_e32 v31, 28, v2
	v_lshlrev_b64 v[35:36], v31, v[3:4]
	v_sub_nc_u32_e32 v31, 29, v2
	v_and_b32_e32 v2, 7, v35
; %bb.957:                              ;   in Loop: Header=BB277_803 Depth=1
	s_or_b32 exec_lo, exec_lo, s21
	v_lshlrev_b32_e32 v3, 8, v3
	v_lshl_add_u32 v31, v31, 10, 0x2000
	v_lshlrev_b32_e32 v2, 7, v2
	v_and_b32_e32 v3, 0x8000, v3
	v_and_b32_e32 v31, 0xfc00, v31
	v_or3_b32 v31, v3, v31, v2
.LBB277_958:                            ;   in Loop: Header=BB277_803 Depth=1
	s_or_b32 exec_lo, exec_lo, s20
.LBB277_959:                            ;   in Loop: Header=BB277_803 Depth=1
	s_or_b32 exec_lo, exec_lo, s19
.LBB277_960:                            ;   in Loop: Header=BB277_803 Depth=1
	s_or_b32 exec_lo, exec_lo, s18
	s_mov_b32 s18, exec_lo
	v_cmpx_lt_u32_e32 0xffffff, v11
	s_cbranch_execz .LBB277_968
; %bb.961:                              ;   in Loop: Header=BB277_803 Depth=1
	v_lshrrev_b32_e32 v3, 24, v11
	v_bfrev_b32_e32 v18, 1
	s_mov_b32 s19, exec_lo
	v_cmpx_ne_u32_e32 0x80, v3
	s_cbranch_execz .LBB277_967
; %bb.962:                              ;   in Loop: Header=BB277_803 Depth=1
	v_and_b32_e32 v32, 0x7f, v3
	v_mov_b32_e32 v18, 0x7c010000
	s_mov_b32 s20, exec_lo
	v_cmpx_ne_u32_e32 0x7f, v32
	s_cbranch_execz .LBB277_966
; %bb.963:                              ;   in Loop: Header=BB277_803 Depth=1
	v_and_b32_e32 v2, 7, v3
	v_lshrrev_b32_e32 v18, 3, v32
	s_mov_b32 s21, exec_lo
	v_cmpx_gt_u32_e32 8, v32
; %bb.964:                              ;   in Loop: Header=BB277_803 Depth=1
	v_ffbh_u32_e32 v2, v2
	v_min_u32_e32 v2, 32, v2
	v_subrev_nc_u32_e32 v18, 28, v2
	v_lshlrev_b64 v[35:36], v18, v[3:4]
	v_sub_nc_u32_e32 v18, 29, v2
	v_and_b32_e32 v2, 7, v35
; %bb.965:                              ;   in Loop: Header=BB277_803 Depth=1
	s_or_b32 exec_lo, exec_lo, s21
	v_lshlrev_b32_e32 v3, 8, v3
	v_lshl_add_u32 v18, v18, 10, 0x2000
	v_lshlrev_b32_e32 v2, 23, v2
	v_and_or_b32 v3, 0x8000, v3, v18
	v_lshl_or_b32 v18, v3, 16, v2
.LBB277_966:                            ;   in Loop: Header=BB277_803 Depth=1
	s_or_b32 exec_lo, exec_lo, s20
.LBB277_967:                            ;   in Loop: Header=BB277_803 Depth=1
	s_or_b32 exec_lo, exec_lo, s19
.LBB277_968:                            ;   in Loop: Header=BB277_803 Depth=1
	s_or_b32 exec_lo, exec_lo, s18
	v_mov_b32_e32 v3, v12
	v_cmp_ne_u16_sdwa s4, v12, v4 src0_sel:BYTE_0 src1_sel:DWORD
	v_mov_b32_e32 v2, 0
	v_mov_b32_e32 v32, 0
	s_and_saveexec_b32 s18, s4
	s_cbranch_execz .LBB277_976
; %bb.969:                              ;   in Loop: Header=BB277_803 Depth=1
	v_cmp_ne_u16_sdwa s4, v12, v39 src0_sel:BYTE_0 src1_sel:DWORD
	v_mov_b32_e32 v32, 0x8000
	s_and_saveexec_b32 s19, s4
	s_cbranch_execz .LBB277_975
; %bb.970:                              ;   in Loop: Header=BB277_803 Depth=1
	v_and_b32_e32 v100, 0x7f, v12
	v_mov_b32_e32 v32, 0x7c01
	s_mov_b32 s20, exec_lo
	v_cmpx_ne_u32_e32 0x7f, v100
	s_cbranch_execz .LBB277_974
; %bb.971:                              ;   in Loop: Header=BB277_803 Depth=1
	v_and_b32_e32 v32, 7, v12
	v_lshrrev_b32_e32 v99, 3, v100
	s_mov_b32 s21, exec_lo
	v_cmpx_gt_u32_e32 8, v100
; %bb.972:                              ;   in Loop: Header=BB277_803 Depth=1
	v_ffbh_u32_e32 v32, v32
	v_min_u32_e32 v32, 32, v32
	v_subrev_nc_u32_e32 v35, 28, v32
	v_sub_nc_u32_e32 v99, 29, v32
	v_lshlrev_b64 v[35:36], v35, v[3:4]
	v_and_b32_e32 v32, 7, v35
; %bb.973:                              ;   in Loop: Header=BB277_803 Depth=1
	s_or_b32 exec_lo, exec_lo, s21
	v_lshlrev_b32_e32 v35, 8, v12
	v_lshl_add_u32 v36, v99, 10, 0x2000
	v_lshlrev_b32_e32 v32, 7, v32
	v_and_b32_e32 v35, 0x8000, v35
	v_and_b32_e32 v36, 0xfc00, v36
	v_or3_b32 v32, v35, v36, v32
.LBB277_974:                            ;   in Loop: Header=BB277_803 Depth=1
	s_or_b32 exec_lo, exec_lo, s20
.LBB277_975:                            ;   in Loop: Header=BB277_803 Depth=1
	s_or_b32 exec_lo, exec_lo, s19
.LBB277_976:                            ;   in Loop: Header=BB277_803 Depth=1
	s_or_b32 exec_lo, exec_lo, s18
	v_lshrrev_b16 v3, 8, v3
	v_mov_b32_e32 v99, 0
	s_mov_b32 s18, exec_lo
	v_cmpx_ne_u16_e32 0, v3
	s_cbranch_execz .LBB277_984
; %bb.977:                              ;   in Loop: Header=BB277_803 Depth=1
	v_bfrev_b32_e32 v99, 1
	s_mov_b32 s19, exec_lo
	v_cmpx_ne_u16_e32 0x80, v3
	s_cbranch_execz .LBB277_983
; %bb.978:                              ;   in Loop: Header=BB277_803 Depth=1
	v_and_b32_sdwa v101, v3, v48 dst_sel:DWORD dst_unused:UNUSED_PAD src0_sel:WORD_0 src1_sel:DWORD
	v_mov_b32_e32 v99, 0x7c010000
	s_mov_b32 s20, exec_lo
	v_cmpx_ne_u32_e32 0x7f, v101
	s_cbranch_execz .LBB277_982
; %bb.979:                              ;   in Loop: Header=BB277_803 Depth=1
	v_and_b32_sdwa v99, v3, v54 dst_sel:DWORD dst_unused:UNUSED_PAD src0_sel:WORD_0 src1_sel:DWORD
	v_lshrrev_b32_e32 v100, 3, v101
	s_mov_b32 s21, exec_lo
	v_cmpx_gt_u32_e32 8, v101
; %bb.980:                              ;   in Loop: Header=BB277_803 Depth=1
	v_ffbh_u32_e32 v35, v99
	v_min_u32_e32 v37, 32, v35
	v_subrev_nc_u32_e32 v35, 28, v37
	v_sub_nc_u32_e32 v100, 29, v37
	v_lshlrev_b64 v[35:36], v35, v[3:4]
	v_and_b32_e32 v99, 7, v35
; %bb.981:                              ;   in Loop: Header=BB277_803 Depth=1
	s_or_b32 exec_lo, exec_lo, s21
	v_lshlrev_b32_sdwa v3, v34, v3 dst_sel:DWORD dst_unused:UNUSED_PAD src0_sel:DWORD src1_sel:WORD_0
	v_lshl_add_u32 v35, v100, 10, 0x2000
	v_and_or_b32 v3, 0x8000, v3, v35
	v_lshlrev_b32_e32 v35, 23, v99
	v_lshl_or_b32 v99, v3, 16, v35
.LBB277_982:                            ;   in Loop: Header=BB277_803 Depth=1
	s_or_b32 exec_lo, exec_lo, s20
.LBB277_983:                            ;   in Loop: Header=BB277_803 Depth=1
	s_or_b32 exec_lo, exec_lo, s19
.LBB277_984:                            ;   in Loop: Header=BB277_803 Depth=1
	s_or_b32 exec_lo, exec_lo, s18
	v_lshrrev_b32_e32 v3, 16, v12
	v_cmp_ne_u16_sdwa s4, v3, v4 src0_sel:BYTE_0 src1_sel:DWORD
	s_and_saveexec_b32 s18, s4
	s_cbranch_execz .LBB277_992
; %bb.985:                              ;   in Loop: Header=BB277_803 Depth=1
	v_cmp_ne_u16_sdwa s4, v3, v39 src0_sel:BYTE_0 src1_sel:DWORD
	v_mov_b32_e32 v2, 0x8000
	s_and_saveexec_b32 s19, s4
	s_cbranch_execz .LBB277_991
; %bb.986:                              ;   in Loop: Header=BB277_803 Depth=1
	v_bfe_u32 v101, v12, 16, 7
	v_mov_b32_e32 v2, 0x7c01
	s_mov_b32 s20, exec_lo
	v_cmpx_ne_u32_e32 0x7f, v101
	s_cbranch_execz .LBB277_990
; %bb.987:                              ;   in Loop: Header=BB277_803 Depth=1
	v_and_b32_e32 v2, 7, v3
	v_lshrrev_b32_e32 v100, 3, v101
	s_mov_b32 s21, exec_lo
	v_cmpx_gt_u32_e32 8, v101
; %bb.988:                              ;   in Loop: Header=BB277_803 Depth=1
	v_ffbh_u32_e32 v2, v2
	v_min_u32_e32 v2, 32, v2
	v_subrev_nc_u32_e32 v35, 28, v2
	v_sub_nc_u32_e32 v100, 29, v2
	v_lshlrev_b64 v[35:36], v35, v[3:4]
	v_and_b32_e32 v2, 7, v35
; %bb.989:                              ;   in Loop: Header=BB277_803 Depth=1
	s_or_b32 exec_lo, exec_lo, s21
	v_lshlrev_b32_e32 v3, 8, v3
	v_lshl_add_u32 v35, v100, 10, 0x2000
	v_lshlrev_b32_e32 v2, 7, v2
	v_and_b32_e32 v3, 0x8000, v3
	v_and_b32_e32 v35, 0xfc00, v35
	v_or3_b32 v2, v3, v35, v2
.LBB277_990:                            ;   in Loop: Header=BB277_803 Depth=1
	s_or_b32 exec_lo, exec_lo, s20
.LBB277_991:                            ;   in Loop: Header=BB277_803 Depth=1
	s_or_b32 exec_lo, exec_lo, s19
.LBB277_992:                            ;   in Loop: Header=BB277_803 Depth=1
	s_or_b32 exec_lo, exec_lo, s18
	v_cmp_lt_u64_e64 s4, s[6:7], v[11:12]
	v_mov_b32_e32 v11, 0
	s_and_saveexec_b32 s18, s4
	s_cbranch_execz .LBB277_1000
; %bb.993:                              ;   in Loop: Header=BB277_803 Depth=1
	v_lshrrev_b32_e32 v3, 24, v12
	v_bfrev_b32_e32 v11, 1
	s_mov_b32 s19, exec_lo
	v_cmpx_ne_u32_e32 0x80, v3
	s_cbranch_execz .LBB277_999
; %bb.994:                              ;   in Loop: Header=BB277_803 Depth=1
	v_and_b32_e32 v100, 0x7f, v3
	v_mov_b32_e32 v11, 0x7c010000
	s_mov_b32 s20, exec_lo
	v_cmpx_ne_u32_e32 0x7f, v100
	s_cbranch_execz .LBB277_998
; %bb.995:                              ;   in Loop: Header=BB277_803 Depth=1
	v_and_b32_e32 v11, 7, v3
	v_lshrrev_b32_e32 v12, 3, v100
	s_mov_b32 s21, exec_lo
	v_cmpx_gt_u32_e32 8, v100
; %bb.996:                              ;   in Loop: Header=BB277_803 Depth=1
	v_ffbh_u32_e32 v11, v11
	v_min_u32_e32 v35, 32, v11
	v_subrev_nc_u32_e32 v11, 28, v35
	v_lshlrev_b64 v[11:12], v11, v[3:4]
	v_sub_nc_u32_e32 v12, 29, v35
	v_and_b32_e32 v11, 7, v11
; %bb.997:                              ;   in Loop: Header=BB277_803 Depth=1
	s_or_b32 exec_lo, exec_lo, s21
	v_lshlrev_b32_e32 v3, 8, v3
	v_lshl_add_u32 v12, v12, 10, 0x2000
	v_lshlrev_b32_e32 v11, 23, v11
	v_and_or_b32 v3, 0x8000, v3, v12
	v_lshl_or_b32 v11, v3, 16, v11
.LBB277_998:                            ;   in Loop: Header=BB277_803 Depth=1
	s_or_b32 exec_lo, exec_lo, s20
.LBB277_999:                            ;   in Loop: Header=BB277_803 Depth=1
	s_or_b32 exec_lo, exec_lo, s19
.LBB277_1000:                           ;   in Loop: Header=BB277_803 Depth=1
	s_or_b32 exec_lo, exec_lo, s18
	v_or_b32_e32 v3, v18, v31
	s_waitcnt vmcnt(0) lgkmcnt(0)
	v_fma_mixlo_f16 v12, v0, v18, 0 op_sel:[0,1,0] op_sel_hi:[0,1,0]
	v_or_b32_e32 v18, v1, v29
	v_fma_mixlo_f16 v29, v0, v1, 0 op_sel:[0,1,0] op_sel_hi:[0,1,0]
	v_or_b32_e32 v31, v99, v32
	v_fma_mixlo_f16 v3, v0, v3, 0 op_sel_hi:[0,1,0]
	v_or_b32_e32 v32, v11, v2
	v_lshlrev_b32_e32 v1, 16, v12
	v_lshlrev_b32_e32 v12, 16, v29
	v_fma_mixlo_f16 v18, v0, v18, 0 op_sel_hi:[0,1,0]
	v_and_b32_e32 v2, 0xffff, v3
	v_fma_mixlo_f16 v3, v0, v99, 0 op_sel:[0,1,0] op_sel_hi:[0,1,0]
	v_fma_mixlo_f16 v29, v0, v31, 0 op_sel_hi:[0,1,0]
	v_fma_mixlo_f16 v11, v0, v11, 0 op_sel:[0,1,0] op_sel_hi:[0,1,0]
	v_fma_mixlo_f16 v31, v0, v32, 0 op_sel_hi:[0,1,0]
	v_and_b32_e32 v100, 0xffff, v18
	v_lshlrev_b32_e32 v3, 16, v3
	v_and_b32_e32 v29, 0xffff, v29
	v_lshlrev_b32_e32 v0, 16, v11
	v_and_b32_e32 v11, 0xffff, v31
	v_or_b32_e32 v18, v1, v2
	v_or_b32_e32 v99, v12, v100
	;; [unrolled: 1-line block ×4, first 2 shown]
	s_and_saveexec_b32 s18, vcc_lo
	s_cbranch_execz .LBB277_1002
; %bb.1001:                             ;   in Loop: Header=BB277_803 Depth=1
	v_cmp_lt_i32_e64 s4, v67, v30
	v_cndmask_b32_e64 v18, 0, v100, s4
	v_cmp_lt_i32_e64 s4, v96, v30
	v_cndmask_b32_e64 v12, 0, v12, s4
	v_cmp_lt_i32_e64 s4, v87, v30
	v_or_b32_e32 v99, v18, v12
	v_cndmask_b32_e64 v2, 0, v2, s4
	v_cmp_lt_i32_e64 s4, v86, v30
	v_cndmask_b32_e64 v1, 0, v1, s4
	v_cmp_lt_i32_e64 s4, v84, v30
	v_or_b32_e32 v18, v2, v1
	;; [unrolled: 5-line block ×3, first 2 shown]
	v_cndmask_b32_e64 v11, 0, v11, s4
	v_cmp_lt_i32_e64 s4, v71, v30
	v_cndmask_b32_e64 v0, 0, v0, s4
	v_or_b32_e32 v31, v11, v0
.LBB277_1002:                           ;   in Loop: Header=BB277_803 Depth=1
	s_or_b32 exec_lo, exec_lo, s18
	;;#ASMSTART
	v_pk_mul_f16 v0, v85, v99;

	;;#ASMEND
	;;#ASMSTART
	v_pk_mul_f16 v1, v82, v18;

	;;#ASMEND
	;; [unrolled: 4-line block ×4, first 2 shown]
	;;#ASMSTART
	v_pk_add_f16 v0, v0, v1;

	;;#ASMEND
	;;#ASMSTART
	v_pk_add_f16 v0, v0, v2;

	;;#ASMEND
	;;#ASMSTART
	v_pk_add_f16 v0, v0, v3;

	;;#ASMEND
	v_and_b32_e32 v1, 0xffff, v0
	v_lshrrev_b32_e32 v0, 16, v0
	;;#ASMSTART
	v_cvt_f32_f16 v99, v1;
	;;#ASMEND
	;;#ASMSTART
	v_cvt_f32_f16 v100, v0;
	;;#ASMEND
	flat_load_dwordx2 v[11:12], v[9:10] offset:768
	flat_load_dword v0, v[22:23]
	v_mov_b32_e32 v1, 0
	v_mov_b32_e32 v29, 0
	s_waitcnt vmcnt(1) lgkmcnt(1)
	v_cmp_ne_u16_sdwa s4, v11, v4 src0_sel:BYTE_0 src1_sel:DWORD
	s_and_saveexec_b32 s18, s4
	s_cbranch_execz .LBB277_1010
; %bb.1003:                             ;   in Loop: Header=BB277_803 Depth=1
	v_cmp_ne_u16_sdwa s4, v11, v39 src0_sel:BYTE_0 src1_sel:DWORD
	v_mov_b32_e32 v29, 0x8000
	s_and_saveexec_b32 s19, s4
	s_cbranch_execz .LBB277_1009
; %bb.1004:                             ;   in Loop: Header=BB277_803 Depth=1
	v_and_b32_e32 v18, 0x7f, v11
	v_mov_b32_e32 v29, 0x7c01
	s_mov_b32 s20, exec_lo
	v_cmpx_ne_u32_e32 0x7f, v18
	s_cbranch_execz .LBB277_1008
; %bb.1005:                             ;   in Loop: Header=BB277_803 Depth=1
	v_and_b32_e32 v2, 7, v11
	v_lshrrev_b32_e32 v3, 3, v18
	s_mov_b32 s21, exec_lo
	v_cmpx_gt_u32_e32 8, v18
; %bb.1006:                             ;   in Loop: Header=BB277_803 Depth=1
	v_ffbh_u32_e32 v2, v2
	v_min_u32_e32 v18, 32, v2
	v_subrev_nc_u32_e32 v2, 28, v18
	v_lshlrev_b64 v[2:3], v2, v[11:12]
	v_sub_nc_u32_e32 v3, 29, v18
	v_and_b32_e32 v2, 7, v2
; %bb.1007:                             ;   in Loop: Header=BB277_803 Depth=1
	s_or_b32 exec_lo, exec_lo, s21
	v_lshlrev_b32_e32 v18, 8, v11
	v_lshl_add_u32 v3, v3, 10, 0x2000
	v_lshlrev_b32_e32 v2, 7, v2
	v_and_b32_e32 v18, 0x8000, v18
	v_and_b32_e32 v3, 0xfc00, v3
	v_or3_b32 v29, v18, v3, v2
.LBB277_1008:                           ;   in Loop: Header=BB277_803 Depth=1
	s_or_b32 exec_lo, exec_lo, s20
.LBB277_1009:                           ;   in Loop: Header=BB277_803 Depth=1
	s_or_b32 exec_lo, exec_lo, s19
.LBB277_1010:                           ;   in Loop: Header=BB277_803 Depth=1
	s_or_b32 exec_lo, exec_lo, s18
	v_lshrrev_b16 v3, 8, v11
	s_mov_b32 s18, exec_lo
	v_cmpx_ne_u16_e32 0, v3
	s_cbranch_execz .LBB277_1018
; %bb.1011:                             ;   in Loop: Header=BB277_803 Depth=1
	v_bfrev_b32_e32 v1, 1
	s_mov_b32 s19, exec_lo
	v_cmpx_ne_u16_e32 0x80, v3
	s_cbranch_execz .LBB277_1017
; %bb.1012:                             ;   in Loop: Header=BB277_803 Depth=1
	v_and_b32_sdwa v18, v3, v48 dst_sel:DWORD dst_unused:UNUSED_PAD src0_sel:WORD_0 src1_sel:DWORD
	v_mov_b32_e32 v1, 0x7c010000
	s_mov_b32 s20, exec_lo
	v_cmpx_ne_u32_e32 0x7f, v18
	s_cbranch_execz .LBB277_1016
; %bb.1013:                             ;   in Loop: Header=BB277_803 Depth=1
	v_and_b32_sdwa v1, v3, v54 dst_sel:DWORD dst_unused:UNUSED_PAD src0_sel:WORD_0 src1_sel:DWORD
	v_lshrrev_b32_e32 v2, 3, v18
	s_mov_b32 s21, exec_lo
	v_cmpx_gt_u32_e32 8, v18
; %bb.1014:                             ;   in Loop: Header=BB277_803 Depth=1
	v_ffbh_u32_e32 v1, v1
	v_min_u32_e32 v18, 32, v1
	v_subrev_nc_u32_e32 v1, 28, v18
	v_lshlrev_b64 v[1:2], v1, v[3:4]
	v_sub_nc_u32_e32 v2, 29, v18
	v_and_b32_e32 v1, 7, v1
; %bb.1015:                             ;   in Loop: Header=BB277_803 Depth=1
	s_or_b32 exec_lo, exec_lo, s21
	v_lshlrev_b32_sdwa v3, v34, v3 dst_sel:DWORD dst_unused:UNUSED_PAD src0_sel:DWORD src1_sel:WORD_0
	v_lshl_add_u32 v2, v2, 10, 0x2000
	v_lshlrev_b32_e32 v1, 23, v1
	v_and_or_b32 v2, 0x8000, v3, v2
	v_lshl_or_b32 v1, v2, 16, v1
.LBB277_1016:                           ;   in Loop: Header=BB277_803 Depth=1
	s_or_b32 exec_lo, exec_lo, s20
.LBB277_1017:                           ;   in Loop: Header=BB277_803 Depth=1
	s_or_b32 exec_lo, exec_lo, s19
.LBB277_1018:                           ;   in Loop: Header=BB277_803 Depth=1
	s_or_b32 exec_lo, exec_lo, s18
	v_lshrrev_b32_e32 v3, 16, v11
	v_mov_b32_e32 v18, 0
	v_mov_b32_e32 v31, 0
	v_cmp_ne_u16_sdwa s4, v3, v4 src0_sel:BYTE_0 src1_sel:DWORD
	s_and_saveexec_b32 s18, s4
	s_cbranch_execz .LBB277_1026
; %bb.1019:                             ;   in Loop: Header=BB277_803 Depth=1
	v_cmp_ne_u16_sdwa s4, v3, v39 src0_sel:BYTE_0 src1_sel:DWORD
	v_mov_b32_e32 v31, 0x8000
	s_and_saveexec_b32 s19, s4
	s_cbranch_execz .LBB277_1025
; %bb.1020:                             ;   in Loop: Header=BB277_803 Depth=1
	v_bfe_u32 v32, v11, 16, 7
	v_mov_b32_e32 v31, 0x7c01
	s_mov_b32 s20, exec_lo
	v_cmpx_ne_u32_e32 0x7f, v32
	s_cbranch_execz .LBB277_1024
; %bb.1021:                             ;   in Loop: Header=BB277_803 Depth=1
	v_and_b32_e32 v2, 7, v3
	v_lshrrev_b32_e32 v31, 3, v32
	s_mov_b32 s21, exec_lo
	v_cmpx_gt_u32_e32 8, v32
; %bb.1022:                             ;   in Loop: Header=BB277_803 Depth=1
	v_ffbh_u32_e32 v2, v2
	v_min_u32_e32 v2, 32, v2
	v_subrev_nc_u32_e32 v31, 28, v2
	v_lshlrev_b64 v[35:36], v31, v[3:4]
	v_sub_nc_u32_e32 v31, 29, v2
	v_and_b32_e32 v2, 7, v35
; %bb.1023:                             ;   in Loop: Header=BB277_803 Depth=1
	s_or_b32 exec_lo, exec_lo, s21
	v_lshlrev_b32_e32 v3, 8, v3
	v_lshl_add_u32 v31, v31, 10, 0x2000
	v_lshlrev_b32_e32 v2, 7, v2
	v_and_b32_e32 v3, 0x8000, v3
	v_and_b32_e32 v31, 0xfc00, v31
	v_or3_b32 v31, v3, v31, v2
.LBB277_1024:                           ;   in Loop: Header=BB277_803 Depth=1
	s_or_b32 exec_lo, exec_lo, s20
.LBB277_1025:                           ;   in Loop: Header=BB277_803 Depth=1
	s_or_b32 exec_lo, exec_lo, s19
.LBB277_1026:                           ;   in Loop: Header=BB277_803 Depth=1
	s_or_b32 exec_lo, exec_lo, s18
	s_mov_b32 s18, exec_lo
	v_cmpx_lt_u32_e32 0xffffff, v11
	s_cbranch_execz .LBB277_1034
; %bb.1027:                             ;   in Loop: Header=BB277_803 Depth=1
	v_lshrrev_b32_e32 v3, 24, v11
	v_bfrev_b32_e32 v18, 1
	s_mov_b32 s19, exec_lo
	v_cmpx_ne_u32_e32 0x80, v3
	s_cbranch_execz .LBB277_1033
; %bb.1028:                             ;   in Loop: Header=BB277_803 Depth=1
	v_and_b32_e32 v32, 0x7f, v3
	v_mov_b32_e32 v18, 0x7c010000
	s_mov_b32 s20, exec_lo
	v_cmpx_ne_u32_e32 0x7f, v32
	s_cbranch_execz .LBB277_1032
; %bb.1029:                             ;   in Loop: Header=BB277_803 Depth=1
	v_and_b32_e32 v2, 7, v3
	v_lshrrev_b32_e32 v18, 3, v32
	s_mov_b32 s21, exec_lo
	v_cmpx_gt_u32_e32 8, v32
; %bb.1030:                             ;   in Loop: Header=BB277_803 Depth=1
	v_ffbh_u32_e32 v2, v2
	v_min_u32_e32 v2, 32, v2
	v_subrev_nc_u32_e32 v18, 28, v2
	v_lshlrev_b64 v[35:36], v18, v[3:4]
	v_sub_nc_u32_e32 v18, 29, v2
	v_and_b32_e32 v2, 7, v35
; %bb.1031:                             ;   in Loop: Header=BB277_803 Depth=1
	s_or_b32 exec_lo, exec_lo, s21
	v_lshlrev_b32_e32 v3, 8, v3
	v_lshl_add_u32 v18, v18, 10, 0x2000
	v_lshlrev_b32_e32 v2, 23, v2
	v_and_or_b32 v3, 0x8000, v3, v18
	v_lshl_or_b32 v18, v3, 16, v2
.LBB277_1032:                           ;   in Loop: Header=BB277_803 Depth=1
	s_or_b32 exec_lo, exec_lo, s20
.LBB277_1033:                           ;   in Loop: Header=BB277_803 Depth=1
	s_or_b32 exec_lo, exec_lo, s19
.LBB277_1034:                           ;   in Loop: Header=BB277_803 Depth=1
	s_or_b32 exec_lo, exec_lo, s18
	v_mov_b32_e32 v3, v12
	v_cmp_ne_u16_sdwa s4, v12, v4 src0_sel:BYTE_0 src1_sel:DWORD
	v_mov_b32_e32 v2, 0
	v_mov_b32_e32 v32, 0
	s_and_saveexec_b32 s18, s4
	s_cbranch_execz .LBB277_1042
; %bb.1035:                             ;   in Loop: Header=BB277_803 Depth=1
	v_cmp_ne_u16_sdwa s4, v12, v39 src0_sel:BYTE_0 src1_sel:DWORD
	v_mov_b32_e32 v32, 0x8000
	s_and_saveexec_b32 s19, s4
	s_cbranch_execz .LBB277_1041
; %bb.1036:                             ;   in Loop: Header=BB277_803 Depth=1
	v_and_b32_e32 v102, 0x7f, v12
	v_mov_b32_e32 v32, 0x7c01
	s_mov_b32 s20, exec_lo
	v_cmpx_ne_u32_e32 0x7f, v102
	s_cbranch_execz .LBB277_1040
; %bb.1037:                             ;   in Loop: Header=BB277_803 Depth=1
	v_and_b32_e32 v32, 7, v12
	v_lshrrev_b32_e32 v101, 3, v102
	s_mov_b32 s21, exec_lo
	v_cmpx_gt_u32_e32 8, v102
; %bb.1038:                             ;   in Loop: Header=BB277_803 Depth=1
	v_ffbh_u32_e32 v32, v32
	v_min_u32_e32 v32, 32, v32
	v_subrev_nc_u32_e32 v35, 28, v32
	v_sub_nc_u32_e32 v101, 29, v32
	v_lshlrev_b64 v[35:36], v35, v[3:4]
	v_and_b32_e32 v32, 7, v35
; %bb.1039:                             ;   in Loop: Header=BB277_803 Depth=1
	s_or_b32 exec_lo, exec_lo, s21
	v_lshlrev_b32_e32 v35, 8, v12
	v_lshl_add_u32 v36, v101, 10, 0x2000
	v_lshlrev_b32_e32 v32, 7, v32
	v_and_b32_e32 v35, 0x8000, v35
	v_and_b32_e32 v36, 0xfc00, v36
	v_or3_b32 v32, v35, v36, v32
.LBB277_1040:                           ;   in Loop: Header=BB277_803 Depth=1
	s_or_b32 exec_lo, exec_lo, s20
.LBB277_1041:                           ;   in Loop: Header=BB277_803 Depth=1
	s_or_b32 exec_lo, exec_lo, s19
.LBB277_1042:                           ;   in Loop: Header=BB277_803 Depth=1
	s_or_b32 exec_lo, exec_lo, s18
	v_lshrrev_b16 v3, 8, v3
	v_mov_b32_e32 v101, 0
	s_mov_b32 s18, exec_lo
	v_cmpx_ne_u16_e32 0, v3
	s_cbranch_execz .LBB277_1050
; %bb.1043:                             ;   in Loop: Header=BB277_803 Depth=1
	v_bfrev_b32_e32 v101, 1
	s_mov_b32 s19, exec_lo
	v_cmpx_ne_u16_e32 0x80, v3
	s_cbranch_execz .LBB277_1049
; %bb.1044:                             ;   in Loop: Header=BB277_803 Depth=1
	v_and_b32_sdwa v103, v3, v48 dst_sel:DWORD dst_unused:UNUSED_PAD src0_sel:WORD_0 src1_sel:DWORD
	v_mov_b32_e32 v101, 0x7c010000
	s_mov_b32 s20, exec_lo
	v_cmpx_ne_u32_e32 0x7f, v103
	s_cbranch_execz .LBB277_1048
; %bb.1045:                             ;   in Loop: Header=BB277_803 Depth=1
	v_and_b32_sdwa v101, v3, v54 dst_sel:DWORD dst_unused:UNUSED_PAD src0_sel:WORD_0 src1_sel:DWORD
	v_lshrrev_b32_e32 v102, 3, v103
	s_mov_b32 s21, exec_lo
	v_cmpx_gt_u32_e32 8, v103
; %bb.1046:                             ;   in Loop: Header=BB277_803 Depth=1
	v_ffbh_u32_e32 v35, v101
	v_min_u32_e32 v37, 32, v35
	v_subrev_nc_u32_e32 v35, 28, v37
	v_sub_nc_u32_e32 v102, 29, v37
	v_lshlrev_b64 v[35:36], v35, v[3:4]
	v_and_b32_e32 v101, 7, v35
; %bb.1047:                             ;   in Loop: Header=BB277_803 Depth=1
	s_or_b32 exec_lo, exec_lo, s21
	v_lshlrev_b32_sdwa v3, v34, v3 dst_sel:DWORD dst_unused:UNUSED_PAD src0_sel:DWORD src1_sel:WORD_0
	v_lshl_add_u32 v35, v102, 10, 0x2000
	v_and_or_b32 v3, 0x8000, v3, v35
	v_lshlrev_b32_e32 v35, 23, v101
	v_lshl_or_b32 v101, v3, 16, v35
.LBB277_1048:                           ;   in Loop: Header=BB277_803 Depth=1
	s_or_b32 exec_lo, exec_lo, s20
.LBB277_1049:                           ;   in Loop: Header=BB277_803 Depth=1
	s_or_b32 exec_lo, exec_lo, s19
.LBB277_1050:                           ;   in Loop: Header=BB277_803 Depth=1
	s_or_b32 exec_lo, exec_lo, s18
	v_lshrrev_b32_e32 v3, 16, v12
	v_cmp_ne_u16_sdwa s4, v3, v4 src0_sel:BYTE_0 src1_sel:DWORD
	s_and_saveexec_b32 s18, s4
	s_cbranch_execz .LBB277_1058
; %bb.1051:                             ;   in Loop: Header=BB277_803 Depth=1
	v_cmp_ne_u16_sdwa s4, v3, v39 src0_sel:BYTE_0 src1_sel:DWORD
	v_mov_b32_e32 v2, 0x8000
	s_and_saveexec_b32 s19, s4
	s_cbranch_execz .LBB277_1057
; %bb.1052:                             ;   in Loop: Header=BB277_803 Depth=1
	v_bfe_u32 v103, v12, 16, 7
	v_mov_b32_e32 v2, 0x7c01
	s_mov_b32 s20, exec_lo
	v_cmpx_ne_u32_e32 0x7f, v103
	s_cbranch_execz .LBB277_1056
; %bb.1053:                             ;   in Loop: Header=BB277_803 Depth=1
	v_and_b32_e32 v2, 7, v3
	v_lshrrev_b32_e32 v102, 3, v103
	s_mov_b32 s21, exec_lo
	v_cmpx_gt_u32_e32 8, v103
; %bb.1054:                             ;   in Loop: Header=BB277_803 Depth=1
	v_ffbh_u32_e32 v2, v2
	v_min_u32_e32 v2, 32, v2
	v_subrev_nc_u32_e32 v35, 28, v2
	v_sub_nc_u32_e32 v102, 29, v2
	v_lshlrev_b64 v[35:36], v35, v[3:4]
	v_and_b32_e32 v2, 7, v35
; %bb.1055:                             ;   in Loop: Header=BB277_803 Depth=1
	s_or_b32 exec_lo, exec_lo, s21
	v_lshlrev_b32_e32 v3, 8, v3
	v_lshl_add_u32 v35, v102, 10, 0x2000
	v_lshlrev_b32_e32 v2, 7, v2
	v_and_b32_e32 v3, 0x8000, v3
	v_and_b32_e32 v35, 0xfc00, v35
	v_or3_b32 v2, v3, v35, v2
.LBB277_1056:                           ;   in Loop: Header=BB277_803 Depth=1
	s_or_b32 exec_lo, exec_lo, s20
.LBB277_1057:                           ;   in Loop: Header=BB277_803 Depth=1
	s_or_b32 exec_lo, exec_lo, s19
.LBB277_1058:                           ;   in Loop: Header=BB277_803 Depth=1
	s_or_b32 exec_lo, exec_lo, s18
	v_cmp_lt_u64_e64 s4, s[6:7], v[11:12]
	v_mov_b32_e32 v11, 0
	s_and_saveexec_b32 s18, s4
	s_cbranch_execz .LBB277_1066
; %bb.1059:                             ;   in Loop: Header=BB277_803 Depth=1
	v_lshrrev_b32_e32 v3, 24, v12
	v_bfrev_b32_e32 v11, 1
	s_mov_b32 s19, exec_lo
	v_cmpx_ne_u32_e32 0x80, v3
	s_cbranch_execz .LBB277_1065
; %bb.1060:                             ;   in Loop: Header=BB277_803 Depth=1
	v_and_b32_e32 v102, 0x7f, v3
	v_mov_b32_e32 v11, 0x7c010000
	s_mov_b32 s20, exec_lo
	v_cmpx_ne_u32_e32 0x7f, v102
	s_cbranch_execz .LBB277_1064
; %bb.1061:                             ;   in Loop: Header=BB277_803 Depth=1
	v_and_b32_e32 v11, 7, v3
	v_lshrrev_b32_e32 v12, 3, v102
	s_mov_b32 s21, exec_lo
	v_cmpx_gt_u32_e32 8, v102
; %bb.1062:                             ;   in Loop: Header=BB277_803 Depth=1
	v_ffbh_u32_e32 v11, v11
	v_min_u32_e32 v35, 32, v11
	v_subrev_nc_u32_e32 v11, 28, v35
	v_lshlrev_b64 v[11:12], v11, v[3:4]
	v_sub_nc_u32_e32 v12, 29, v35
	v_and_b32_e32 v11, 7, v11
; %bb.1063:                             ;   in Loop: Header=BB277_803 Depth=1
	s_or_b32 exec_lo, exec_lo, s21
	v_lshlrev_b32_e32 v3, 8, v3
	v_lshl_add_u32 v12, v12, 10, 0x2000
	v_lshlrev_b32_e32 v11, 23, v11
	v_and_or_b32 v3, 0x8000, v3, v12
	v_lshl_or_b32 v11, v3, 16, v11
.LBB277_1064:                           ;   in Loop: Header=BB277_803 Depth=1
	s_or_b32 exec_lo, exec_lo, s20
.LBB277_1065:                           ;   in Loop: Header=BB277_803 Depth=1
	s_or_b32 exec_lo, exec_lo, s19
.LBB277_1066:                           ;   in Loop: Header=BB277_803 Depth=1
	s_or_b32 exec_lo, exec_lo, s18
	v_or_b32_e32 v3, v18, v31
	s_waitcnt vmcnt(0) lgkmcnt(0)
	v_fma_mixlo_f16 v12, v0, v18, 0 op_sel:[0,1,0] op_sel_hi:[0,1,0]
	v_or_b32_e32 v18, v1, v29
	v_fma_mixlo_f16 v29, v0, v1, 0 op_sel:[0,1,0] op_sel_hi:[0,1,0]
	v_or_b32_e32 v31, v101, v32
	v_fma_mixlo_f16 v3, v0, v3, 0 op_sel_hi:[0,1,0]
	v_or_b32_e32 v32, v11, v2
	v_lshlrev_b32_e32 v1, 16, v12
	v_lshlrev_b32_e32 v12, 16, v29
	v_fma_mixlo_f16 v18, v0, v18, 0 op_sel_hi:[0,1,0]
	v_and_b32_e32 v2, 0xffff, v3
	v_fma_mixlo_f16 v3, v0, v101, 0 op_sel:[0,1,0] op_sel_hi:[0,1,0]
	v_fma_mixlo_f16 v29, v0, v31, 0 op_sel_hi:[0,1,0]
	v_fma_mixlo_f16 v11, v0, v11, 0 op_sel:[0,1,0] op_sel_hi:[0,1,0]
	v_fma_mixlo_f16 v31, v0, v32, 0 op_sel_hi:[0,1,0]
	v_and_b32_e32 v102, 0xffff, v18
	v_lshlrev_b32_e32 v3, 16, v3
	v_and_b32_e32 v29, 0xffff, v29
	v_lshlrev_b32_e32 v0, 16, v11
	v_and_b32_e32 v11, 0xffff, v31
	v_or_b32_e32 v18, v1, v2
	v_or_b32_e32 v101, v12, v102
	;; [unrolled: 1-line block ×4, first 2 shown]
	s_and_saveexec_b32 s18, vcc_lo
	s_cbranch_execz .LBB277_1068
; %bb.1067:                             ;   in Loop: Header=BB277_803 Depth=1
	v_cmp_lt_i32_e64 s4, v67, v30
	v_cndmask_b32_e64 v18, 0, v102, s4
	v_cmp_lt_i32_e64 s4, v96, v30
	v_cndmask_b32_e64 v12, 0, v12, s4
	v_cmp_lt_i32_e64 s4, v87, v30
	v_or_b32_e32 v101, v18, v12
	v_cndmask_b32_e64 v2, 0, v2, s4
	v_cmp_lt_i32_e64 s4, v86, v30
	v_cndmask_b32_e64 v1, 0, v1, s4
	v_cmp_lt_i32_e64 s4, v84, v30
	v_or_b32_e32 v18, v2, v1
	;; [unrolled: 5-line block ×3, first 2 shown]
	v_cndmask_b32_e64 v11, 0, v11, s4
	v_cmp_lt_i32_e64 s4, v71, v30
	v_cndmask_b32_e64 v0, 0, v0, s4
	v_or_b32_e32 v31, v11, v0
.LBB277_1068:                           ;   in Loop: Header=BB277_803 Depth=1
	s_or_b32 exec_lo, exec_lo, s18
	;;#ASMSTART
	v_pk_mul_f16 v0, v85, v101;

	;;#ASMEND
	;;#ASMSTART
	v_pk_mul_f16 v1, v82, v18;

	;;#ASMEND
	;; [unrolled: 4-line block ×4, first 2 shown]
	;;#ASMSTART
	v_pk_add_f16 v0, v0, v1;

	;;#ASMEND
	;;#ASMSTART
	v_pk_add_f16 v0, v0, v2;

	;;#ASMEND
	;;#ASMSTART
	v_pk_add_f16 v0, v0, v3;

	;;#ASMEND
	v_and_b32_e32 v1, 0xffff, v0
	v_lshrrev_b32_e32 v0, 16, v0
	;;#ASMSTART
	v_cvt_f32_f16 v101, v1;
	;;#ASMEND
	;;#ASMSTART
	v_cvt_f32_f16 v102, v0;
	;;#ASMEND
	flat_load_dwordx2 v[11:12], v[9:10] offset:1024
	flat_load_dword v0, v[22:23]
	v_mov_b32_e32 v1, 0
	v_mov_b32_e32 v29, 0
	s_waitcnt vmcnt(1) lgkmcnt(1)
	v_cmp_ne_u16_sdwa s4, v11, v4 src0_sel:BYTE_0 src1_sel:DWORD
	s_and_saveexec_b32 s18, s4
	s_cbranch_execz .LBB277_1076
; %bb.1069:                             ;   in Loop: Header=BB277_803 Depth=1
	v_cmp_ne_u16_sdwa s4, v11, v39 src0_sel:BYTE_0 src1_sel:DWORD
	v_mov_b32_e32 v29, 0x8000
	s_and_saveexec_b32 s19, s4
	s_cbranch_execz .LBB277_1075
; %bb.1070:                             ;   in Loop: Header=BB277_803 Depth=1
	v_and_b32_e32 v18, 0x7f, v11
	v_mov_b32_e32 v29, 0x7c01
	s_mov_b32 s20, exec_lo
	v_cmpx_ne_u32_e32 0x7f, v18
	s_cbranch_execz .LBB277_1074
; %bb.1071:                             ;   in Loop: Header=BB277_803 Depth=1
	v_and_b32_e32 v2, 7, v11
	v_lshrrev_b32_e32 v3, 3, v18
	s_mov_b32 s21, exec_lo
	v_cmpx_gt_u32_e32 8, v18
; %bb.1072:                             ;   in Loop: Header=BB277_803 Depth=1
	v_ffbh_u32_e32 v2, v2
	v_min_u32_e32 v18, 32, v2
	v_subrev_nc_u32_e32 v2, 28, v18
	v_lshlrev_b64 v[2:3], v2, v[11:12]
	v_sub_nc_u32_e32 v3, 29, v18
	v_and_b32_e32 v2, 7, v2
; %bb.1073:                             ;   in Loop: Header=BB277_803 Depth=1
	s_or_b32 exec_lo, exec_lo, s21
	v_lshlrev_b32_e32 v18, 8, v11
	v_lshl_add_u32 v3, v3, 10, 0x2000
	v_lshlrev_b32_e32 v2, 7, v2
	v_and_b32_e32 v18, 0x8000, v18
	v_and_b32_e32 v3, 0xfc00, v3
	v_or3_b32 v29, v18, v3, v2
.LBB277_1074:                           ;   in Loop: Header=BB277_803 Depth=1
	s_or_b32 exec_lo, exec_lo, s20
.LBB277_1075:                           ;   in Loop: Header=BB277_803 Depth=1
	s_or_b32 exec_lo, exec_lo, s19
.LBB277_1076:                           ;   in Loop: Header=BB277_803 Depth=1
	s_or_b32 exec_lo, exec_lo, s18
	v_lshrrev_b16 v3, 8, v11
	s_mov_b32 s18, exec_lo
	v_cmpx_ne_u16_e32 0, v3
	s_cbranch_execz .LBB277_1084
; %bb.1077:                             ;   in Loop: Header=BB277_803 Depth=1
	v_bfrev_b32_e32 v1, 1
	s_mov_b32 s19, exec_lo
	v_cmpx_ne_u16_e32 0x80, v3
	s_cbranch_execz .LBB277_1083
; %bb.1078:                             ;   in Loop: Header=BB277_803 Depth=1
	v_and_b32_sdwa v18, v3, v48 dst_sel:DWORD dst_unused:UNUSED_PAD src0_sel:WORD_0 src1_sel:DWORD
	v_mov_b32_e32 v1, 0x7c010000
	s_mov_b32 s20, exec_lo
	v_cmpx_ne_u32_e32 0x7f, v18
	s_cbranch_execz .LBB277_1082
; %bb.1079:                             ;   in Loop: Header=BB277_803 Depth=1
	v_and_b32_sdwa v1, v3, v54 dst_sel:DWORD dst_unused:UNUSED_PAD src0_sel:WORD_0 src1_sel:DWORD
	v_lshrrev_b32_e32 v2, 3, v18
	s_mov_b32 s21, exec_lo
	v_cmpx_gt_u32_e32 8, v18
; %bb.1080:                             ;   in Loop: Header=BB277_803 Depth=1
	v_ffbh_u32_e32 v1, v1
	v_min_u32_e32 v18, 32, v1
	v_subrev_nc_u32_e32 v1, 28, v18
	v_lshlrev_b64 v[1:2], v1, v[3:4]
	v_sub_nc_u32_e32 v2, 29, v18
	v_and_b32_e32 v1, 7, v1
; %bb.1081:                             ;   in Loop: Header=BB277_803 Depth=1
	s_or_b32 exec_lo, exec_lo, s21
	v_lshlrev_b32_sdwa v3, v34, v3 dst_sel:DWORD dst_unused:UNUSED_PAD src0_sel:DWORD src1_sel:WORD_0
	v_lshl_add_u32 v2, v2, 10, 0x2000
	v_lshlrev_b32_e32 v1, 23, v1
	v_and_or_b32 v2, 0x8000, v3, v2
	v_lshl_or_b32 v1, v2, 16, v1
.LBB277_1082:                           ;   in Loop: Header=BB277_803 Depth=1
	s_or_b32 exec_lo, exec_lo, s20
.LBB277_1083:                           ;   in Loop: Header=BB277_803 Depth=1
	s_or_b32 exec_lo, exec_lo, s19
.LBB277_1084:                           ;   in Loop: Header=BB277_803 Depth=1
	s_or_b32 exec_lo, exec_lo, s18
	v_lshrrev_b32_e32 v3, 16, v11
	v_mov_b32_e32 v18, 0
	v_mov_b32_e32 v31, 0
	v_cmp_ne_u16_sdwa s4, v3, v4 src0_sel:BYTE_0 src1_sel:DWORD
	s_and_saveexec_b32 s18, s4
	s_cbranch_execz .LBB277_1092
; %bb.1085:                             ;   in Loop: Header=BB277_803 Depth=1
	v_cmp_ne_u16_sdwa s4, v3, v39 src0_sel:BYTE_0 src1_sel:DWORD
	v_mov_b32_e32 v31, 0x8000
	s_and_saveexec_b32 s19, s4
	s_cbranch_execz .LBB277_1091
; %bb.1086:                             ;   in Loop: Header=BB277_803 Depth=1
	v_bfe_u32 v32, v11, 16, 7
	v_mov_b32_e32 v31, 0x7c01
	s_mov_b32 s20, exec_lo
	v_cmpx_ne_u32_e32 0x7f, v32
	s_cbranch_execz .LBB277_1090
; %bb.1087:                             ;   in Loop: Header=BB277_803 Depth=1
	v_and_b32_e32 v2, 7, v3
	v_lshrrev_b32_e32 v31, 3, v32
	s_mov_b32 s21, exec_lo
	v_cmpx_gt_u32_e32 8, v32
; %bb.1088:                             ;   in Loop: Header=BB277_803 Depth=1
	v_ffbh_u32_e32 v2, v2
	v_min_u32_e32 v2, 32, v2
	v_subrev_nc_u32_e32 v31, 28, v2
	v_lshlrev_b64 v[35:36], v31, v[3:4]
	v_sub_nc_u32_e32 v31, 29, v2
	v_and_b32_e32 v2, 7, v35
; %bb.1089:                             ;   in Loop: Header=BB277_803 Depth=1
	s_or_b32 exec_lo, exec_lo, s21
	v_lshlrev_b32_e32 v3, 8, v3
	v_lshl_add_u32 v31, v31, 10, 0x2000
	v_lshlrev_b32_e32 v2, 7, v2
	v_and_b32_e32 v3, 0x8000, v3
	v_and_b32_e32 v31, 0xfc00, v31
	v_or3_b32 v31, v3, v31, v2
.LBB277_1090:                           ;   in Loop: Header=BB277_803 Depth=1
	s_or_b32 exec_lo, exec_lo, s20
.LBB277_1091:                           ;   in Loop: Header=BB277_803 Depth=1
	s_or_b32 exec_lo, exec_lo, s19
.LBB277_1092:                           ;   in Loop: Header=BB277_803 Depth=1
	s_or_b32 exec_lo, exec_lo, s18
	s_mov_b32 s18, exec_lo
	v_cmpx_lt_u32_e32 0xffffff, v11
	s_cbranch_execz .LBB277_1100
; %bb.1093:                             ;   in Loop: Header=BB277_803 Depth=1
	v_lshrrev_b32_e32 v3, 24, v11
	v_bfrev_b32_e32 v18, 1
	s_mov_b32 s19, exec_lo
	v_cmpx_ne_u32_e32 0x80, v3
	s_cbranch_execz .LBB277_1099
; %bb.1094:                             ;   in Loop: Header=BB277_803 Depth=1
	v_and_b32_e32 v32, 0x7f, v3
	v_mov_b32_e32 v18, 0x7c010000
	s_mov_b32 s20, exec_lo
	v_cmpx_ne_u32_e32 0x7f, v32
	s_cbranch_execz .LBB277_1098
; %bb.1095:                             ;   in Loop: Header=BB277_803 Depth=1
	v_and_b32_e32 v2, 7, v3
	v_lshrrev_b32_e32 v18, 3, v32
	s_mov_b32 s21, exec_lo
	v_cmpx_gt_u32_e32 8, v32
; %bb.1096:                             ;   in Loop: Header=BB277_803 Depth=1
	v_ffbh_u32_e32 v2, v2
	v_min_u32_e32 v2, 32, v2
	v_subrev_nc_u32_e32 v18, 28, v2
	v_lshlrev_b64 v[35:36], v18, v[3:4]
	v_sub_nc_u32_e32 v18, 29, v2
	v_and_b32_e32 v2, 7, v35
; %bb.1097:                             ;   in Loop: Header=BB277_803 Depth=1
	s_or_b32 exec_lo, exec_lo, s21
	v_lshlrev_b32_e32 v3, 8, v3
	v_lshl_add_u32 v18, v18, 10, 0x2000
	v_lshlrev_b32_e32 v2, 23, v2
	v_and_or_b32 v3, 0x8000, v3, v18
	v_lshl_or_b32 v18, v3, 16, v2
.LBB277_1098:                           ;   in Loop: Header=BB277_803 Depth=1
	s_or_b32 exec_lo, exec_lo, s20
.LBB277_1099:                           ;   in Loop: Header=BB277_803 Depth=1
	s_or_b32 exec_lo, exec_lo, s19
.LBB277_1100:                           ;   in Loop: Header=BB277_803 Depth=1
	s_or_b32 exec_lo, exec_lo, s18
	v_mov_b32_e32 v3, v12
	v_cmp_ne_u16_sdwa s4, v12, v4 src0_sel:BYTE_0 src1_sel:DWORD
	v_mov_b32_e32 v2, 0
	v_mov_b32_e32 v32, 0
	s_and_saveexec_b32 s18, s4
	s_cbranch_execz .LBB277_1108
; %bb.1101:                             ;   in Loop: Header=BB277_803 Depth=1
	v_cmp_ne_u16_sdwa s4, v12, v39 src0_sel:BYTE_0 src1_sel:DWORD
	v_mov_b32_e32 v32, 0x8000
	s_and_saveexec_b32 s19, s4
	s_cbranch_execz .LBB277_1107
; %bb.1102:                             ;   in Loop: Header=BB277_803 Depth=1
	v_and_b32_e32 v112, 0x7f, v12
	v_mov_b32_e32 v32, 0x7c01
	s_mov_b32 s20, exec_lo
	v_cmpx_ne_u32_e32 0x7f, v112
	s_cbranch_execz .LBB277_1106
; %bb.1103:                             ;   in Loop: Header=BB277_803 Depth=1
	v_and_b32_e32 v32, 7, v12
	v_lshrrev_b32_e32 v103, 3, v112
	s_mov_b32 s21, exec_lo
	v_cmpx_gt_u32_e32 8, v112
; %bb.1104:                             ;   in Loop: Header=BB277_803 Depth=1
	v_ffbh_u32_e32 v32, v32
	v_min_u32_e32 v32, 32, v32
	v_subrev_nc_u32_e32 v35, 28, v32
	v_sub_nc_u32_e32 v103, 29, v32
	v_lshlrev_b64 v[35:36], v35, v[3:4]
	v_and_b32_e32 v32, 7, v35
; %bb.1105:                             ;   in Loop: Header=BB277_803 Depth=1
	s_or_b32 exec_lo, exec_lo, s21
	v_lshlrev_b32_e32 v35, 8, v12
	v_lshl_add_u32 v36, v103, 10, 0x2000
	v_lshlrev_b32_e32 v32, 7, v32
	v_and_b32_e32 v35, 0x8000, v35
	v_and_b32_e32 v36, 0xfc00, v36
	v_or3_b32 v32, v35, v36, v32
.LBB277_1106:                           ;   in Loop: Header=BB277_803 Depth=1
	s_or_b32 exec_lo, exec_lo, s20
.LBB277_1107:                           ;   in Loop: Header=BB277_803 Depth=1
	s_or_b32 exec_lo, exec_lo, s19
.LBB277_1108:                           ;   in Loop: Header=BB277_803 Depth=1
	s_or_b32 exec_lo, exec_lo, s18
	v_lshrrev_b16 v3, 8, v3
	v_mov_b32_e32 v103, 0
	s_mov_b32 s18, exec_lo
	v_cmpx_ne_u16_e32 0, v3
	s_cbranch_execz .LBB277_1116
; %bb.1109:                             ;   in Loop: Header=BB277_803 Depth=1
	v_bfrev_b32_e32 v103, 1
	s_mov_b32 s19, exec_lo
	v_cmpx_ne_u16_e32 0x80, v3
	s_cbranch_execz .LBB277_1115
; %bb.1110:                             ;   in Loop: Header=BB277_803 Depth=1
	v_and_b32_sdwa v113, v3, v48 dst_sel:DWORD dst_unused:UNUSED_PAD src0_sel:WORD_0 src1_sel:DWORD
	v_mov_b32_e32 v103, 0x7c010000
	s_mov_b32 s20, exec_lo
	v_cmpx_ne_u32_e32 0x7f, v113
	s_cbranch_execz .LBB277_1114
; %bb.1111:                             ;   in Loop: Header=BB277_803 Depth=1
	v_and_b32_sdwa v103, v3, v54 dst_sel:DWORD dst_unused:UNUSED_PAD src0_sel:WORD_0 src1_sel:DWORD
	v_lshrrev_b32_e32 v112, 3, v113
	s_mov_b32 s21, exec_lo
	v_cmpx_gt_u32_e32 8, v113
; %bb.1112:                             ;   in Loop: Header=BB277_803 Depth=1
	v_ffbh_u32_e32 v35, v103
	v_min_u32_e32 v37, 32, v35
	v_subrev_nc_u32_e32 v35, 28, v37
	v_sub_nc_u32_e32 v112, 29, v37
	v_lshlrev_b64 v[35:36], v35, v[3:4]
	v_and_b32_e32 v103, 7, v35
; %bb.1113:                             ;   in Loop: Header=BB277_803 Depth=1
	s_or_b32 exec_lo, exec_lo, s21
	v_lshlrev_b32_sdwa v3, v34, v3 dst_sel:DWORD dst_unused:UNUSED_PAD src0_sel:DWORD src1_sel:WORD_0
	v_lshl_add_u32 v35, v112, 10, 0x2000
	v_and_or_b32 v3, 0x8000, v3, v35
	v_lshlrev_b32_e32 v35, 23, v103
	v_lshl_or_b32 v103, v3, 16, v35
.LBB277_1114:                           ;   in Loop: Header=BB277_803 Depth=1
	s_or_b32 exec_lo, exec_lo, s20
.LBB277_1115:                           ;   in Loop: Header=BB277_803 Depth=1
	s_or_b32 exec_lo, exec_lo, s19
.LBB277_1116:                           ;   in Loop: Header=BB277_803 Depth=1
	s_or_b32 exec_lo, exec_lo, s18
	v_lshrrev_b32_e32 v3, 16, v12
	v_cmp_ne_u16_sdwa s4, v3, v4 src0_sel:BYTE_0 src1_sel:DWORD
	s_and_saveexec_b32 s18, s4
	s_cbranch_execz .LBB277_1124
; %bb.1117:                             ;   in Loop: Header=BB277_803 Depth=1
	v_cmp_ne_u16_sdwa s4, v3, v39 src0_sel:BYTE_0 src1_sel:DWORD
	v_mov_b32_e32 v2, 0x8000
	s_and_saveexec_b32 s19, s4
	s_cbranch_execz .LBB277_1123
; %bb.1118:                             ;   in Loop: Header=BB277_803 Depth=1
	v_bfe_u32 v113, v12, 16, 7
	v_mov_b32_e32 v2, 0x7c01
	s_mov_b32 s20, exec_lo
	v_cmpx_ne_u32_e32 0x7f, v113
	s_cbranch_execz .LBB277_1122
; %bb.1119:                             ;   in Loop: Header=BB277_803 Depth=1
	v_and_b32_e32 v2, 7, v3
	v_lshrrev_b32_e32 v112, 3, v113
	s_mov_b32 s21, exec_lo
	v_cmpx_gt_u32_e32 8, v113
; %bb.1120:                             ;   in Loop: Header=BB277_803 Depth=1
	v_ffbh_u32_e32 v2, v2
	v_min_u32_e32 v2, 32, v2
	v_subrev_nc_u32_e32 v35, 28, v2
	v_sub_nc_u32_e32 v112, 29, v2
	v_lshlrev_b64 v[35:36], v35, v[3:4]
	v_and_b32_e32 v2, 7, v35
; %bb.1121:                             ;   in Loop: Header=BB277_803 Depth=1
	s_or_b32 exec_lo, exec_lo, s21
	v_lshlrev_b32_e32 v3, 8, v3
	v_lshl_add_u32 v35, v112, 10, 0x2000
	v_lshlrev_b32_e32 v2, 7, v2
	v_and_b32_e32 v3, 0x8000, v3
	v_and_b32_e32 v35, 0xfc00, v35
	v_or3_b32 v2, v3, v35, v2
.LBB277_1122:                           ;   in Loop: Header=BB277_803 Depth=1
	s_or_b32 exec_lo, exec_lo, s20
.LBB277_1123:                           ;   in Loop: Header=BB277_803 Depth=1
	s_or_b32 exec_lo, exec_lo, s19
.LBB277_1124:                           ;   in Loop: Header=BB277_803 Depth=1
	s_or_b32 exec_lo, exec_lo, s18
	v_cmp_lt_u64_e64 s4, s[6:7], v[11:12]
	v_mov_b32_e32 v11, 0
	s_and_saveexec_b32 s18, s4
	s_cbranch_execz .LBB277_1132
; %bb.1125:                             ;   in Loop: Header=BB277_803 Depth=1
	v_lshrrev_b32_e32 v3, 24, v12
	v_bfrev_b32_e32 v11, 1
	s_mov_b32 s19, exec_lo
	v_cmpx_ne_u32_e32 0x80, v3
	s_cbranch_execz .LBB277_1131
; %bb.1126:                             ;   in Loop: Header=BB277_803 Depth=1
	v_and_b32_e32 v112, 0x7f, v3
	v_mov_b32_e32 v11, 0x7c010000
	s_mov_b32 s20, exec_lo
	v_cmpx_ne_u32_e32 0x7f, v112
	s_cbranch_execz .LBB277_1130
; %bb.1127:                             ;   in Loop: Header=BB277_803 Depth=1
	v_and_b32_e32 v11, 7, v3
	v_lshrrev_b32_e32 v12, 3, v112
	s_mov_b32 s21, exec_lo
	v_cmpx_gt_u32_e32 8, v112
; %bb.1128:                             ;   in Loop: Header=BB277_803 Depth=1
	v_ffbh_u32_e32 v11, v11
	v_min_u32_e32 v35, 32, v11
	v_subrev_nc_u32_e32 v11, 28, v35
	v_lshlrev_b64 v[11:12], v11, v[3:4]
	v_sub_nc_u32_e32 v12, 29, v35
	v_and_b32_e32 v11, 7, v11
; %bb.1129:                             ;   in Loop: Header=BB277_803 Depth=1
	s_or_b32 exec_lo, exec_lo, s21
	v_lshlrev_b32_e32 v3, 8, v3
	v_lshl_add_u32 v12, v12, 10, 0x2000
	v_lshlrev_b32_e32 v11, 23, v11
	v_and_or_b32 v3, 0x8000, v3, v12
	v_lshl_or_b32 v11, v3, 16, v11
.LBB277_1130:                           ;   in Loop: Header=BB277_803 Depth=1
	s_or_b32 exec_lo, exec_lo, s20
.LBB277_1131:                           ;   in Loop: Header=BB277_803 Depth=1
	s_or_b32 exec_lo, exec_lo, s19
.LBB277_1132:                           ;   in Loop: Header=BB277_803 Depth=1
	s_or_b32 exec_lo, exec_lo, s18
	v_or_b32_e32 v3, v18, v31
	s_waitcnt vmcnt(0) lgkmcnt(0)
	v_fma_mixlo_f16 v12, v0, v18, 0 op_sel:[0,1,0] op_sel_hi:[0,1,0]
	v_or_b32_e32 v18, v1, v29
	v_fma_mixlo_f16 v29, v0, v1, 0 op_sel:[0,1,0] op_sel_hi:[0,1,0]
	v_or_b32_e32 v31, v103, v32
	v_fma_mixlo_f16 v3, v0, v3, 0 op_sel_hi:[0,1,0]
	v_or_b32_e32 v32, v11, v2
	v_lshlrev_b32_e32 v1, 16, v12
	v_lshlrev_b32_e32 v12, 16, v29
	v_fma_mixlo_f16 v18, v0, v18, 0 op_sel_hi:[0,1,0]
	v_and_b32_e32 v2, 0xffff, v3
	v_fma_mixlo_f16 v3, v0, v103, 0 op_sel:[0,1,0] op_sel_hi:[0,1,0]
	v_fma_mixlo_f16 v29, v0, v31, 0 op_sel_hi:[0,1,0]
	v_fma_mixlo_f16 v11, v0, v11, 0 op_sel:[0,1,0] op_sel_hi:[0,1,0]
	v_fma_mixlo_f16 v31, v0, v32, 0 op_sel_hi:[0,1,0]
	v_and_b32_e32 v112, 0xffff, v18
	v_lshlrev_b32_e32 v3, 16, v3
	v_and_b32_e32 v29, 0xffff, v29
	v_lshlrev_b32_e32 v0, 16, v11
	v_and_b32_e32 v11, 0xffff, v31
	v_or_b32_e32 v18, v1, v2
	v_or_b32_e32 v103, v12, v112
	;; [unrolled: 1-line block ×4, first 2 shown]
	s_and_saveexec_b32 s18, vcc_lo
	s_cbranch_execz .LBB277_1134
; %bb.1133:                             ;   in Loop: Header=BB277_803 Depth=1
	v_cmp_lt_i32_e64 s4, v67, v30
	v_cndmask_b32_e64 v18, 0, v112, s4
	v_cmp_lt_i32_e64 s4, v96, v30
	v_cndmask_b32_e64 v12, 0, v12, s4
	v_cmp_lt_i32_e64 s4, v87, v30
	v_or_b32_e32 v103, v18, v12
	v_cndmask_b32_e64 v2, 0, v2, s4
	v_cmp_lt_i32_e64 s4, v86, v30
	v_cndmask_b32_e64 v1, 0, v1, s4
	v_cmp_lt_i32_e64 s4, v84, v30
	v_or_b32_e32 v18, v2, v1
	;; [unrolled: 5-line block ×3, first 2 shown]
	v_cndmask_b32_e64 v11, 0, v11, s4
	v_cmp_lt_i32_e64 s4, v71, v30
	v_cndmask_b32_e64 v0, 0, v0, s4
	v_or_b32_e32 v31, v11, v0
.LBB277_1134:                           ;   in Loop: Header=BB277_803 Depth=1
	s_or_b32 exec_lo, exec_lo, s18
	;;#ASMSTART
	v_pk_mul_f16 v0, v85, v103;

	;;#ASMEND
	;;#ASMSTART
	v_pk_mul_f16 v1, v82, v18;

	;;#ASMEND
	;; [unrolled: 4-line block ×4, first 2 shown]
	;;#ASMSTART
	v_pk_add_f16 v0, v0, v1;

	;;#ASMEND
	;;#ASMSTART
	v_pk_add_f16 v0, v0, v2;

	;;#ASMEND
	;; [unrolled: 4-line block ×3, first 2 shown]
	v_and_b32_e32 v1, 0xffff, v0
	v_lshrrev_b32_e32 v0, 16, v0
	;;#ASMSTART
	v_cvt_f32_f16 v103, v1;
	;;#ASMEND
	;;#ASMSTART
	v_cvt_f32_f16 v112, v0;
	;;#ASMEND
	flat_load_dwordx2 v[11:12], v[9:10] offset:1280
	flat_load_dword v0, v[22:23]
	v_mov_b32_e32 v1, 0
	v_mov_b32_e32 v29, 0
	s_waitcnt vmcnt(1) lgkmcnt(1)
	v_cmp_ne_u16_sdwa s4, v11, v4 src0_sel:BYTE_0 src1_sel:DWORD
	s_and_saveexec_b32 s18, s4
	s_cbranch_execz .LBB277_1142
; %bb.1135:                             ;   in Loop: Header=BB277_803 Depth=1
	v_cmp_ne_u16_sdwa s4, v11, v39 src0_sel:BYTE_0 src1_sel:DWORD
	v_mov_b32_e32 v29, 0x8000
	s_and_saveexec_b32 s19, s4
	s_cbranch_execz .LBB277_1141
; %bb.1136:                             ;   in Loop: Header=BB277_803 Depth=1
	v_and_b32_e32 v18, 0x7f, v11
	v_mov_b32_e32 v29, 0x7c01
	s_mov_b32 s20, exec_lo
	v_cmpx_ne_u32_e32 0x7f, v18
	s_cbranch_execz .LBB277_1140
; %bb.1137:                             ;   in Loop: Header=BB277_803 Depth=1
	v_and_b32_e32 v2, 7, v11
	v_lshrrev_b32_e32 v3, 3, v18
	s_mov_b32 s21, exec_lo
	v_cmpx_gt_u32_e32 8, v18
; %bb.1138:                             ;   in Loop: Header=BB277_803 Depth=1
	v_ffbh_u32_e32 v2, v2
	v_min_u32_e32 v18, 32, v2
	v_subrev_nc_u32_e32 v2, 28, v18
	v_lshlrev_b64 v[2:3], v2, v[11:12]
	v_sub_nc_u32_e32 v3, 29, v18
	v_and_b32_e32 v2, 7, v2
; %bb.1139:                             ;   in Loop: Header=BB277_803 Depth=1
	s_or_b32 exec_lo, exec_lo, s21
	v_lshlrev_b32_e32 v18, 8, v11
	v_lshl_add_u32 v3, v3, 10, 0x2000
	v_lshlrev_b32_e32 v2, 7, v2
	v_and_b32_e32 v18, 0x8000, v18
	v_and_b32_e32 v3, 0xfc00, v3
	v_or3_b32 v29, v18, v3, v2
.LBB277_1140:                           ;   in Loop: Header=BB277_803 Depth=1
	s_or_b32 exec_lo, exec_lo, s20
.LBB277_1141:                           ;   in Loop: Header=BB277_803 Depth=1
	s_or_b32 exec_lo, exec_lo, s19
.LBB277_1142:                           ;   in Loop: Header=BB277_803 Depth=1
	s_or_b32 exec_lo, exec_lo, s18
	v_lshrrev_b16 v3, 8, v11
	s_mov_b32 s18, exec_lo
	v_cmpx_ne_u16_e32 0, v3
	s_cbranch_execz .LBB277_1150
; %bb.1143:                             ;   in Loop: Header=BB277_803 Depth=1
	v_bfrev_b32_e32 v1, 1
	s_mov_b32 s19, exec_lo
	v_cmpx_ne_u16_e32 0x80, v3
	s_cbranch_execz .LBB277_1149
; %bb.1144:                             ;   in Loop: Header=BB277_803 Depth=1
	v_and_b32_sdwa v18, v3, v48 dst_sel:DWORD dst_unused:UNUSED_PAD src0_sel:WORD_0 src1_sel:DWORD
	v_mov_b32_e32 v1, 0x7c010000
	s_mov_b32 s20, exec_lo
	v_cmpx_ne_u32_e32 0x7f, v18
	s_cbranch_execz .LBB277_1148
; %bb.1145:                             ;   in Loop: Header=BB277_803 Depth=1
	v_and_b32_sdwa v1, v3, v54 dst_sel:DWORD dst_unused:UNUSED_PAD src0_sel:WORD_0 src1_sel:DWORD
	v_lshrrev_b32_e32 v2, 3, v18
	s_mov_b32 s21, exec_lo
	v_cmpx_gt_u32_e32 8, v18
; %bb.1146:                             ;   in Loop: Header=BB277_803 Depth=1
	v_ffbh_u32_e32 v1, v1
	v_min_u32_e32 v18, 32, v1
	v_subrev_nc_u32_e32 v1, 28, v18
	v_lshlrev_b64 v[1:2], v1, v[3:4]
	v_sub_nc_u32_e32 v2, 29, v18
	v_and_b32_e32 v1, 7, v1
; %bb.1147:                             ;   in Loop: Header=BB277_803 Depth=1
	s_or_b32 exec_lo, exec_lo, s21
	v_lshlrev_b32_sdwa v3, v34, v3 dst_sel:DWORD dst_unused:UNUSED_PAD src0_sel:DWORD src1_sel:WORD_0
	v_lshl_add_u32 v2, v2, 10, 0x2000
	v_lshlrev_b32_e32 v1, 23, v1
	v_and_or_b32 v2, 0x8000, v3, v2
	v_lshl_or_b32 v1, v2, 16, v1
.LBB277_1148:                           ;   in Loop: Header=BB277_803 Depth=1
	s_or_b32 exec_lo, exec_lo, s20
.LBB277_1149:                           ;   in Loop: Header=BB277_803 Depth=1
	s_or_b32 exec_lo, exec_lo, s19
.LBB277_1150:                           ;   in Loop: Header=BB277_803 Depth=1
	s_or_b32 exec_lo, exec_lo, s18
	v_lshrrev_b32_e32 v3, 16, v11
	v_mov_b32_e32 v18, 0
	v_mov_b32_e32 v31, 0
	v_cmp_ne_u16_sdwa s4, v3, v4 src0_sel:BYTE_0 src1_sel:DWORD
	s_and_saveexec_b32 s18, s4
	s_cbranch_execz .LBB277_1158
; %bb.1151:                             ;   in Loop: Header=BB277_803 Depth=1
	v_cmp_ne_u16_sdwa s4, v3, v39 src0_sel:BYTE_0 src1_sel:DWORD
	v_mov_b32_e32 v31, 0x8000
	s_and_saveexec_b32 s19, s4
	s_cbranch_execz .LBB277_1157
; %bb.1152:                             ;   in Loop: Header=BB277_803 Depth=1
	v_bfe_u32 v32, v11, 16, 7
	v_mov_b32_e32 v31, 0x7c01
	s_mov_b32 s20, exec_lo
	v_cmpx_ne_u32_e32 0x7f, v32
	s_cbranch_execz .LBB277_1156
; %bb.1153:                             ;   in Loop: Header=BB277_803 Depth=1
	v_and_b32_e32 v2, 7, v3
	v_lshrrev_b32_e32 v31, 3, v32
	s_mov_b32 s21, exec_lo
	v_cmpx_gt_u32_e32 8, v32
; %bb.1154:                             ;   in Loop: Header=BB277_803 Depth=1
	v_ffbh_u32_e32 v2, v2
	v_min_u32_e32 v2, 32, v2
	v_subrev_nc_u32_e32 v31, 28, v2
	v_lshlrev_b64 v[35:36], v31, v[3:4]
	v_sub_nc_u32_e32 v31, 29, v2
	v_and_b32_e32 v2, 7, v35
; %bb.1155:                             ;   in Loop: Header=BB277_803 Depth=1
	s_or_b32 exec_lo, exec_lo, s21
	v_lshlrev_b32_e32 v3, 8, v3
	v_lshl_add_u32 v31, v31, 10, 0x2000
	v_lshlrev_b32_e32 v2, 7, v2
	v_and_b32_e32 v3, 0x8000, v3
	v_and_b32_e32 v31, 0xfc00, v31
	v_or3_b32 v31, v3, v31, v2
.LBB277_1156:                           ;   in Loop: Header=BB277_803 Depth=1
	s_or_b32 exec_lo, exec_lo, s20
.LBB277_1157:                           ;   in Loop: Header=BB277_803 Depth=1
	s_or_b32 exec_lo, exec_lo, s19
.LBB277_1158:                           ;   in Loop: Header=BB277_803 Depth=1
	s_or_b32 exec_lo, exec_lo, s18
	s_mov_b32 s18, exec_lo
	v_cmpx_lt_u32_e32 0xffffff, v11
	s_cbranch_execz .LBB277_1166
; %bb.1159:                             ;   in Loop: Header=BB277_803 Depth=1
	v_lshrrev_b32_e32 v3, 24, v11
	v_bfrev_b32_e32 v18, 1
	s_mov_b32 s19, exec_lo
	v_cmpx_ne_u32_e32 0x80, v3
	s_cbranch_execz .LBB277_1165
; %bb.1160:                             ;   in Loop: Header=BB277_803 Depth=1
	v_and_b32_e32 v32, 0x7f, v3
	v_mov_b32_e32 v18, 0x7c010000
	s_mov_b32 s20, exec_lo
	v_cmpx_ne_u32_e32 0x7f, v32
	s_cbranch_execz .LBB277_1164
; %bb.1161:                             ;   in Loop: Header=BB277_803 Depth=1
	v_and_b32_e32 v2, 7, v3
	v_lshrrev_b32_e32 v18, 3, v32
	s_mov_b32 s21, exec_lo
	v_cmpx_gt_u32_e32 8, v32
; %bb.1162:                             ;   in Loop: Header=BB277_803 Depth=1
	v_ffbh_u32_e32 v2, v2
	v_min_u32_e32 v2, 32, v2
	v_subrev_nc_u32_e32 v18, 28, v2
	v_lshlrev_b64 v[35:36], v18, v[3:4]
	v_sub_nc_u32_e32 v18, 29, v2
	v_and_b32_e32 v2, 7, v35
; %bb.1163:                             ;   in Loop: Header=BB277_803 Depth=1
	s_or_b32 exec_lo, exec_lo, s21
	v_lshlrev_b32_e32 v3, 8, v3
	v_lshl_add_u32 v18, v18, 10, 0x2000
	v_lshlrev_b32_e32 v2, 23, v2
	v_and_or_b32 v3, 0x8000, v3, v18
	v_lshl_or_b32 v18, v3, 16, v2
.LBB277_1164:                           ;   in Loop: Header=BB277_803 Depth=1
	s_or_b32 exec_lo, exec_lo, s20
.LBB277_1165:                           ;   in Loop: Header=BB277_803 Depth=1
	s_or_b32 exec_lo, exec_lo, s19
.LBB277_1166:                           ;   in Loop: Header=BB277_803 Depth=1
	s_or_b32 exec_lo, exec_lo, s18
	v_mov_b32_e32 v3, v12
	v_cmp_ne_u16_sdwa s4, v12, v4 src0_sel:BYTE_0 src1_sel:DWORD
	v_mov_b32_e32 v2, 0
	v_mov_b32_e32 v32, 0
	s_and_saveexec_b32 s18, s4
	s_cbranch_execz .LBB277_1174
; %bb.1167:                             ;   in Loop: Header=BB277_803 Depth=1
	v_cmp_ne_u16_sdwa s4, v12, v39 src0_sel:BYTE_0 src1_sel:DWORD
	v_mov_b32_e32 v32, 0x8000
	s_and_saveexec_b32 s19, s4
	s_cbranch_execz .LBB277_1173
; %bb.1168:                             ;   in Loop: Header=BB277_803 Depth=1
	v_and_b32_e32 v114, 0x7f, v12
	v_mov_b32_e32 v32, 0x7c01
	s_mov_b32 s20, exec_lo
	v_cmpx_ne_u32_e32 0x7f, v114
	s_cbranch_execz .LBB277_1172
; %bb.1169:                             ;   in Loop: Header=BB277_803 Depth=1
	v_and_b32_e32 v32, 7, v12
	v_lshrrev_b32_e32 v113, 3, v114
	s_mov_b32 s21, exec_lo
	v_cmpx_gt_u32_e32 8, v114
; %bb.1170:                             ;   in Loop: Header=BB277_803 Depth=1
	v_ffbh_u32_e32 v32, v32
	v_min_u32_e32 v32, 32, v32
	v_subrev_nc_u32_e32 v35, 28, v32
	v_sub_nc_u32_e32 v113, 29, v32
	v_lshlrev_b64 v[35:36], v35, v[3:4]
	v_and_b32_e32 v32, 7, v35
; %bb.1171:                             ;   in Loop: Header=BB277_803 Depth=1
	s_or_b32 exec_lo, exec_lo, s21
	v_lshlrev_b32_e32 v35, 8, v12
	v_lshl_add_u32 v36, v113, 10, 0x2000
	v_lshlrev_b32_e32 v32, 7, v32
	v_and_b32_e32 v35, 0x8000, v35
	v_and_b32_e32 v36, 0xfc00, v36
	v_or3_b32 v32, v35, v36, v32
.LBB277_1172:                           ;   in Loop: Header=BB277_803 Depth=1
	s_or_b32 exec_lo, exec_lo, s20
.LBB277_1173:                           ;   in Loop: Header=BB277_803 Depth=1
	s_or_b32 exec_lo, exec_lo, s19
.LBB277_1174:                           ;   in Loop: Header=BB277_803 Depth=1
	s_or_b32 exec_lo, exec_lo, s18
	v_lshrrev_b16 v3, 8, v3
	v_mov_b32_e32 v113, 0
	s_mov_b32 s18, exec_lo
	v_cmpx_ne_u16_e32 0, v3
	s_cbranch_execz .LBB277_1182
; %bb.1175:                             ;   in Loop: Header=BB277_803 Depth=1
	v_bfrev_b32_e32 v113, 1
	s_mov_b32 s19, exec_lo
	v_cmpx_ne_u16_e32 0x80, v3
	s_cbranch_execz .LBB277_1181
; %bb.1176:                             ;   in Loop: Header=BB277_803 Depth=1
	v_and_b32_sdwa v115, v3, v48 dst_sel:DWORD dst_unused:UNUSED_PAD src0_sel:WORD_0 src1_sel:DWORD
	v_mov_b32_e32 v113, 0x7c010000
	s_mov_b32 s20, exec_lo
	v_cmpx_ne_u32_e32 0x7f, v115
	s_cbranch_execz .LBB277_1180
; %bb.1177:                             ;   in Loop: Header=BB277_803 Depth=1
	v_and_b32_sdwa v113, v3, v54 dst_sel:DWORD dst_unused:UNUSED_PAD src0_sel:WORD_0 src1_sel:DWORD
	v_lshrrev_b32_e32 v114, 3, v115
	s_mov_b32 s21, exec_lo
	v_cmpx_gt_u32_e32 8, v115
; %bb.1178:                             ;   in Loop: Header=BB277_803 Depth=1
	v_ffbh_u32_e32 v35, v113
	v_min_u32_e32 v37, 32, v35
	v_subrev_nc_u32_e32 v35, 28, v37
	v_sub_nc_u32_e32 v114, 29, v37
	v_lshlrev_b64 v[35:36], v35, v[3:4]
	v_and_b32_e32 v113, 7, v35
; %bb.1179:                             ;   in Loop: Header=BB277_803 Depth=1
	s_or_b32 exec_lo, exec_lo, s21
	v_lshlrev_b32_sdwa v3, v34, v3 dst_sel:DWORD dst_unused:UNUSED_PAD src0_sel:DWORD src1_sel:WORD_0
	v_lshl_add_u32 v35, v114, 10, 0x2000
	v_and_or_b32 v3, 0x8000, v3, v35
	v_lshlrev_b32_e32 v35, 23, v113
	v_lshl_or_b32 v113, v3, 16, v35
.LBB277_1180:                           ;   in Loop: Header=BB277_803 Depth=1
	s_or_b32 exec_lo, exec_lo, s20
.LBB277_1181:                           ;   in Loop: Header=BB277_803 Depth=1
	s_or_b32 exec_lo, exec_lo, s19
.LBB277_1182:                           ;   in Loop: Header=BB277_803 Depth=1
	s_or_b32 exec_lo, exec_lo, s18
	v_lshrrev_b32_e32 v3, 16, v12
	v_cmp_ne_u16_sdwa s4, v3, v4 src0_sel:BYTE_0 src1_sel:DWORD
	s_and_saveexec_b32 s18, s4
	s_cbranch_execz .LBB277_1190
; %bb.1183:                             ;   in Loop: Header=BB277_803 Depth=1
	v_cmp_ne_u16_sdwa s4, v3, v39 src0_sel:BYTE_0 src1_sel:DWORD
	v_mov_b32_e32 v2, 0x8000
	s_and_saveexec_b32 s19, s4
	s_cbranch_execz .LBB277_1189
; %bb.1184:                             ;   in Loop: Header=BB277_803 Depth=1
	v_bfe_u32 v115, v12, 16, 7
	v_mov_b32_e32 v2, 0x7c01
	s_mov_b32 s20, exec_lo
	v_cmpx_ne_u32_e32 0x7f, v115
	s_cbranch_execz .LBB277_1188
; %bb.1185:                             ;   in Loop: Header=BB277_803 Depth=1
	v_and_b32_e32 v2, 7, v3
	v_lshrrev_b32_e32 v114, 3, v115
	s_mov_b32 s21, exec_lo
	v_cmpx_gt_u32_e32 8, v115
; %bb.1186:                             ;   in Loop: Header=BB277_803 Depth=1
	v_ffbh_u32_e32 v2, v2
	v_min_u32_e32 v2, 32, v2
	v_subrev_nc_u32_e32 v35, 28, v2
	v_sub_nc_u32_e32 v114, 29, v2
	v_lshlrev_b64 v[35:36], v35, v[3:4]
	v_and_b32_e32 v2, 7, v35
; %bb.1187:                             ;   in Loop: Header=BB277_803 Depth=1
	s_or_b32 exec_lo, exec_lo, s21
	v_lshlrev_b32_e32 v3, 8, v3
	v_lshl_add_u32 v35, v114, 10, 0x2000
	v_lshlrev_b32_e32 v2, 7, v2
	v_and_b32_e32 v3, 0x8000, v3
	v_and_b32_e32 v35, 0xfc00, v35
	v_or3_b32 v2, v3, v35, v2
.LBB277_1188:                           ;   in Loop: Header=BB277_803 Depth=1
	s_or_b32 exec_lo, exec_lo, s20
.LBB277_1189:                           ;   in Loop: Header=BB277_803 Depth=1
	s_or_b32 exec_lo, exec_lo, s19
.LBB277_1190:                           ;   in Loop: Header=BB277_803 Depth=1
	s_or_b32 exec_lo, exec_lo, s18
	v_cmp_lt_u64_e64 s4, s[6:7], v[11:12]
	v_mov_b32_e32 v11, 0
	s_and_saveexec_b32 s18, s4
	s_cbranch_execz .LBB277_1198
; %bb.1191:                             ;   in Loop: Header=BB277_803 Depth=1
	v_lshrrev_b32_e32 v3, 24, v12
	v_bfrev_b32_e32 v11, 1
	s_mov_b32 s19, exec_lo
	v_cmpx_ne_u32_e32 0x80, v3
	s_cbranch_execz .LBB277_1197
; %bb.1192:                             ;   in Loop: Header=BB277_803 Depth=1
	v_and_b32_e32 v114, 0x7f, v3
	v_mov_b32_e32 v11, 0x7c010000
	s_mov_b32 s20, exec_lo
	v_cmpx_ne_u32_e32 0x7f, v114
	s_cbranch_execz .LBB277_1196
; %bb.1193:                             ;   in Loop: Header=BB277_803 Depth=1
	v_and_b32_e32 v11, 7, v3
	v_lshrrev_b32_e32 v12, 3, v114
	s_mov_b32 s21, exec_lo
	v_cmpx_gt_u32_e32 8, v114
; %bb.1194:                             ;   in Loop: Header=BB277_803 Depth=1
	v_ffbh_u32_e32 v11, v11
	v_min_u32_e32 v35, 32, v11
	v_subrev_nc_u32_e32 v11, 28, v35
	v_lshlrev_b64 v[11:12], v11, v[3:4]
	v_sub_nc_u32_e32 v12, 29, v35
	v_and_b32_e32 v11, 7, v11
; %bb.1195:                             ;   in Loop: Header=BB277_803 Depth=1
	s_or_b32 exec_lo, exec_lo, s21
	v_lshlrev_b32_e32 v3, 8, v3
	v_lshl_add_u32 v12, v12, 10, 0x2000
	v_lshlrev_b32_e32 v11, 23, v11
	v_and_or_b32 v3, 0x8000, v3, v12
	v_lshl_or_b32 v11, v3, 16, v11
.LBB277_1196:                           ;   in Loop: Header=BB277_803 Depth=1
	s_or_b32 exec_lo, exec_lo, s20
.LBB277_1197:                           ;   in Loop: Header=BB277_803 Depth=1
	s_or_b32 exec_lo, exec_lo, s19
.LBB277_1198:                           ;   in Loop: Header=BB277_803 Depth=1
	s_or_b32 exec_lo, exec_lo, s18
	v_or_b32_e32 v3, v18, v31
	s_waitcnt vmcnt(0) lgkmcnt(0)
	v_fma_mixlo_f16 v12, v0, v18, 0 op_sel:[0,1,0] op_sel_hi:[0,1,0]
	v_or_b32_e32 v18, v1, v29
	v_fma_mixlo_f16 v29, v0, v1, 0 op_sel:[0,1,0] op_sel_hi:[0,1,0]
	v_or_b32_e32 v31, v113, v32
	v_fma_mixlo_f16 v3, v0, v3, 0 op_sel_hi:[0,1,0]
	v_or_b32_e32 v32, v11, v2
	v_lshlrev_b32_e32 v1, 16, v12
	v_lshlrev_b32_e32 v12, 16, v29
	v_fma_mixlo_f16 v18, v0, v18, 0 op_sel_hi:[0,1,0]
	v_and_b32_e32 v2, 0xffff, v3
	v_fma_mixlo_f16 v3, v0, v113, 0 op_sel:[0,1,0] op_sel_hi:[0,1,0]
	v_fma_mixlo_f16 v29, v0, v31, 0 op_sel_hi:[0,1,0]
	v_fma_mixlo_f16 v11, v0, v11, 0 op_sel:[0,1,0] op_sel_hi:[0,1,0]
	v_fma_mixlo_f16 v31, v0, v32, 0 op_sel_hi:[0,1,0]
	v_and_b32_e32 v114, 0xffff, v18
	v_lshlrev_b32_e32 v3, 16, v3
	v_and_b32_e32 v29, 0xffff, v29
	v_lshlrev_b32_e32 v0, 16, v11
	v_and_b32_e32 v11, 0xffff, v31
	v_or_b32_e32 v18, v1, v2
	v_or_b32_e32 v113, v12, v114
	;; [unrolled: 1-line block ×4, first 2 shown]
	s_and_saveexec_b32 s18, vcc_lo
	s_cbranch_execz .LBB277_1200
; %bb.1199:                             ;   in Loop: Header=BB277_803 Depth=1
	v_cmp_lt_i32_e64 s4, v67, v30
	v_cndmask_b32_e64 v18, 0, v114, s4
	v_cmp_lt_i32_e64 s4, v96, v30
	v_cndmask_b32_e64 v12, 0, v12, s4
	v_cmp_lt_i32_e64 s4, v87, v30
	v_or_b32_e32 v113, v18, v12
	v_cndmask_b32_e64 v2, 0, v2, s4
	v_cmp_lt_i32_e64 s4, v86, v30
	v_cndmask_b32_e64 v1, 0, v1, s4
	v_cmp_lt_i32_e64 s4, v84, v30
	v_or_b32_e32 v18, v2, v1
	;; [unrolled: 5-line block ×3, first 2 shown]
	v_cndmask_b32_e64 v11, 0, v11, s4
	v_cmp_lt_i32_e64 s4, v71, v30
	v_cndmask_b32_e64 v0, 0, v0, s4
	v_or_b32_e32 v31, v11, v0
.LBB277_1200:                           ;   in Loop: Header=BB277_803 Depth=1
	s_or_b32 exec_lo, exec_lo, s18
	;;#ASMSTART
	v_pk_mul_f16 v0, v85, v113;

	;;#ASMEND
	;;#ASMSTART
	v_pk_mul_f16 v1, v82, v18;

	;;#ASMEND
	;; [unrolled: 4-line block ×4, first 2 shown]
	;;#ASMSTART
	v_pk_add_f16 v0, v0, v1;

	;;#ASMEND
	;;#ASMSTART
	v_pk_add_f16 v0, v0, v2;

	;;#ASMEND
	;; [unrolled: 4-line block ×3, first 2 shown]
	v_and_b32_e32 v1, 0xffff, v0
	v_lshrrev_b32_e32 v0, 16, v0
	;;#ASMSTART
	v_cvt_f32_f16 v113, v1;
	;;#ASMEND
	;;#ASMSTART
	v_cvt_f32_f16 v114, v0;
	;;#ASMEND
	flat_load_dwordx2 v[11:12], v[9:10] offset:1536
	flat_load_dword v0, v[22:23]
	v_mov_b32_e32 v1, 0
	v_mov_b32_e32 v29, 0
	s_waitcnt vmcnt(1) lgkmcnt(1)
	v_cmp_ne_u16_sdwa s4, v11, v4 src0_sel:BYTE_0 src1_sel:DWORD
	s_and_saveexec_b32 s18, s4
	s_cbranch_execz .LBB277_1208
; %bb.1201:                             ;   in Loop: Header=BB277_803 Depth=1
	v_cmp_ne_u16_sdwa s4, v11, v39 src0_sel:BYTE_0 src1_sel:DWORD
	v_mov_b32_e32 v29, 0x8000
	s_and_saveexec_b32 s19, s4
	s_cbranch_execz .LBB277_1207
; %bb.1202:                             ;   in Loop: Header=BB277_803 Depth=1
	v_and_b32_e32 v18, 0x7f, v11
	v_mov_b32_e32 v29, 0x7c01
	s_mov_b32 s20, exec_lo
	v_cmpx_ne_u32_e32 0x7f, v18
	s_cbranch_execz .LBB277_1206
; %bb.1203:                             ;   in Loop: Header=BB277_803 Depth=1
	v_and_b32_e32 v2, 7, v11
	v_lshrrev_b32_e32 v3, 3, v18
	s_mov_b32 s21, exec_lo
	v_cmpx_gt_u32_e32 8, v18
; %bb.1204:                             ;   in Loop: Header=BB277_803 Depth=1
	v_ffbh_u32_e32 v2, v2
	v_min_u32_e32 v18, 32, v2
	v_subrev_nc_u32_e32 v2, 28, v18
	v_lshlrev_b64 v[2:3], v2, v[11:12]
	v_sub_nc_u32_e32 v3, 29, v18
	v_and_b32_e32 v2, 7, v2
; %bb.1205:                             ;   in Loop: Header=BB277_803 Depth=1
	s_or_b32 exec_lo, exec_lo, s21
	v_lshlrev_b32_e32 v18, 8, v11
	v_lshl_add_u32 v3, v3, 10, 0x2000
	v_lshlrev_b32_e32 v2, 7, v2
	v_and_b32_e32 v18, 0x8000, v18
	v_and_b32_e32 v3, 0xfc00, v3
	v_or3_b32 v29, v18, v3, v2
.LBB277_1206:                           ;   in Loop: Header=BB277_803 Depth=1
	s_or_b32 exec_lo, exec_lo, s20
.LBB277_1207:                           ;   in Loop: Header=BB277_803 Depth=1
	s_or_b32 exec_lo, exec_lo, s19
.LBB277_1208:                           ;   in Loop: Header=BB277_803 Depth=1
	s_or_b32 exec_lo, exec_lo, s18
	v_lshrrev_b16 v3, 8, v11
	s_mov_b32 s18, exec_lo
	v_cmpx_ne_u16_e32 0, v3
	s_cbranch_execz .LBB277_1216
; %bb.1209:                             ;   in Loop: Header=BB277_803 Depth=1
	v_bfrev_b32_e32 v1, 1
	s_mov_b32 s19, exec_lo
	v_cmpx_ne_u16_e32 0x80, v3
	s_cbranch_execz .LBB277_1215
; %bb.1210:                             ;   in Loop: Header=BB277_803 Depth=1
	v_and_b32_sdwa v18, v3, v48 dst_sel:DWORD dst_unused:UNUSED_PAD src0_sel:WORD_0 src1_sel:DWORD
	v_mov_b32_e32 v1, 0x7c010000
	s_mov_b32 s20, exec_lo
	v_cmpx_ne_u32_e32 0x7f, v18
	s_cbranch_execz .LBB277_1214
; %bb.1211:                             ;   in Loop: Header=BB277_803 Depth=1
	v_and_b32_sdwa v1, v3, v54 dst_sel:DWORD dst_unused:UNUSED_PAD src0_sel:WORD_0 src1_sel:DWORD
	v_lshrrev_b32_e32 v2, 3, v18
	s_mov_b32 s21, exec_lo
	v_cmpx_gt_u32_e32 8, v18
; %bb.1212:                             ;   in Loop: Header=BB277_803 Depth=1
	v_ffbh_u32_e32 v1, v1
	v_min_u32_e32 v18, 32, v1
	v_subrev_nc_u32_e32 v1, 28, v18
	v_lshlrev_b64 v[1:2], v1, v[3:4]
	v_sub_nc_u32_e32 v2, 29, v18
	v_and_b32_e32 v1, 7, v1
; %bb.1213:                             ;   in Loop: Header=BB277_803 Depth=1
	s_or_b32 exec_lo, exec_lo, s21
	v_lshlrev_b32_sdwa v3, v34, v3 dst_sel:DWORD dst_unused:UNUSED_PAD src0_sel:DWORD src1_sel:WORD_0
	v_lshl_add_u32 v2, v2, 10, 0x2000
	v_lshlrev_b32_e32 v1, 23, v1
	v_and_or_b32 v2, 0x8000, v3, v2
	v_lshl_or_b32 v1, v2, 16, v1
.LBB277_1214:                           ;   in Loop: Header=BB277_803 Depth=1
	s_or_b32 exec_lo, exec_lo, s20
.LBB277_1215:                           ;   in Loop: Header=BB277_803 Depth=1
	s_or_b32 exec_lo, exec_lo, s19
.LBB277_1216:                           ;   in Loop: Header=BB277_803 Depth=1
	s_or_b32 exec_lo, exec_lo, s18
	v_lshrrev_b32_e32 v3, 16, v11
	v_mov_b32_e32 v18, 0
	v_mov_b32_e32 v31, 0
	v_cmp_ne_u16_sdwa s4, v3, v4 src0_sel:BYTE_0 src1_sel:DWORD
	s_and_saveexec_b32 s18, s4
	s_cbranch_execz .LBB277_1224
; %bb.1217:                             ;   in Loop: Header=BB277_803 Depth=1
	v_cmp_ne_u16_sdwa s4, v3, v39 src0_sel:BYTE_0 src1_sel:DWORD
	v_mov_b32_e32 v31, 0x8000
	s_and_saveexec_b32 s19, s4
	s_cbranch_execz .LBB277_1223
; %bb.1218:                             ;   in Loop: Header=BB277_803 Depth=1
	v_bfe_u32 v32, v11, 16, 7
	v_mov_b32_e32 v31, 0x7c01
	s_mov_b32 s20, exec_lo
	v_cmpx_ne_u32_e32 0x7f, v32
	s_cbranch_execz .LBB277_1222
; %bb.1219:                             ;   in Loop: Header=BB277_803 Depth=1
	v_and_b32_e32 v2, 7, v3
	v_lshrrev_b32_e32 v31, 3, v32
	s_mov_b32 s21, exec_lo
	v_cmpx_gt_u32_e32 8, v32
; %bb.1220:                             ;   in Loop: Header=BB277_803 Depth=1
	v_ffbh_u32_e32 v2, v2
	v_min_u32_e32 v2, 32, v2
	v_subrev_nc_u32_e32 v31, 28, v2
	v_lshlrev_b64 v[35:36], v31, v[3:4]
	v_sub_nc_u32_e32 v31, 29, v2
	v_and_b32_e32 v2, 7, v35
; %bb.1221:                             ;   in Loop: Header=BB277_803 Depth=1
	s_or_b32 exec_lo, exec_lo, s21
	v_lshlrev_b32_e32 v3, 8, v3
	v_lshl_add_u32 v31, v31, 10, 0x2000
	v_lshlrev_b32_e32 v2, 7, v2
	v_and_b32_e32 v3, 0x8000, v3
	v_and_b32_e32 v31, 0xfc00, v31
	v_or3_b32 v31, v3, v31, v2
.LBB277_1222:                           ;   in Loop: Header=BB277_803 Depth=1
	s_or_b32 exec_lo, exec_lo, s20
.LBB277_1223:                           ;   in Loop: Header=BB277_803 Depth=1
	s_or_b32 exec_lo, exec_lo, s19
.LBB277_1224:                           ;   in Loop: Header=BB277_803 Depth=1
	s_or_b32 exec_lo, exec_lo, s18
	s_mov_b32 s18, exec_lo
	v_cmpx_lt_u32_e32 0xffffff, v11
	s_cbranch_execz .LBB277_1232
; %bb.1225:                             ;   in Loop: Header=BB277_803 Depth=1
	v_lshrrev_b32_e32 v3, 24, v11
	v_bfrev_b32_e32 v18, 1
	s_mov_b32 s19, exec_lo
	v_cmpx_ne_u32_e32 0x80, v3
	s_cbranch_execz .LBB277_1231
; %bb.1226:                             ;   in Loop: Header=BB277_803 Depth=1
	v_and_b32_e32 v32, 0x7f, v3
	v_mov_b32_e32 v18, 0x7c010000
	s_mov_b32 s20, exec_lo
	v_cmpx_ne_u32_e32 0x7f, v32
	s_cbranch_execz .LBB277_1230
; %bb.1227:                             ;   in Loop: Header=BB277_803 Depth=1
	v_and_b32_e32 v2, 7, v3
	v_lshrrev_b32_e32 v18, 3, v32
	s_mov_b32 s21, exec_lo
	v_cmpx_gt_u32_e32 8, v32
; %bb.1228:                             ;   in Loop: Header=BB277_803 Depth=1
	v_ffbh_u32_e32 v2, v2
	v_min_u32_e32 v2, 32, v2
	v_subrev_nc_u32_e32 v18, 28, v2
	v_lshlrev_b64 v[35:36], v18, v[3:4]
	v_sub_nc_u32_e32 v18, 29, v2
	v_and_b32_e32 v2, 7, v35
; %bb.1229:                             ;   in Loop: Header=BB277_803 Depth=1
	s_or_b32 exec_lo, exec_lo, s21
	v_lshlrev_b32_e32 v3, 8, v3
	v_lshl_add_u32 v18, v18, 10, 0x2000
	v_lshlrev_b32_e32 v2, 23, v2
	v_and_or_b32 v3, 0x8000, v3, v18
	v_lshl_or_b32 v18, v3, 16, v2
.LBB277_1230:                           ;   in Loop: Header=BB277_803 Depth=1
	s_or_b32 exec_lo, exec_lo, s20
.LBB277_1231:                           ;   in Loop: Header=BB277_803 Depth=1
	s_or_b32 exec_lo, exec_lo, s19
.LBB277_1232:                           ;   in Loop: Header=BB277_803 Depth=1
	s_or_b32 exec_lo, exec_lo, s18
	v_mov_b32_e32 v3, v12
	v_cmp_ne_u16_sdwa s4, v12, v4 src0_sel:BYTE_0 src1_sel:DWORD
	v_mov_b32_e32 v2, 0
	v_mov_b32_e32 v32, 0
	s_and_saveexec_b32 s18, s4
	s_cbranch_execz .LBB277_1240
; %bb.1233:                             ;   in Loop: Header=BB277_803 Depth=1
	v_cmp_ne_u16_sdwa s4, v12, v39 src0_sel:BYTE_0 src1_sel:DWORD
	v_mov_b32_e32 v32, 0x8000
	s_and_saveexec_b32 s19, s4
	s_cbranch_execz .LBB277_1239
; %bb.1234:                             ;   in Loop: Header=BB277_803 Depth=1
	v_and_b32_e32 v116, 0x7f, v12
	v_mov_b32_e32 v32, 0x7c01
	s_mov_b32 s20, exec_lo
	v_cmpx_ne_u32_e32 0x7f, v116
	s_cbranch_execz .LBB277_1238
; %bb.1235:                             ;   in Loop: Header=BB277_803 Depth=1
	v_and_b32_e32 v32, 7, v12
	v_lshrrev_b32_e32 v115, 3, v116
	s_mov_b32 s21, exec_lo
	v_cmpx_gt_u32_e32 8, v116
; %bb.1236:                             ;   in Loop: Header=BB277_803 Depth=1
	v_ffbh_u32_e32 v32, v32
	v_min_u32_e32 v32, 32, v32
	v_subrev_nc_u32_e32 v35, 28, v32
	v_sub_nc_u32_e32 v115, 29, v32
	v_lshlrev_b64 v[35:36], v35, v[3:4]
	v_and_b32_e32 v32, 7, v35
; %bb.1237:                             ;   in Loop: Header=BB277_803 Depth=1
	s_or_b32 exec_lo, exec_lo, s21
	v_lshlrev_b32_e32 v35, 8, v12
	v_lshl_add_u32 v36, v115, 10, 0x2000
	v_lshlrev_b32_e32 v32, 7, v32
	v_and_b32_e32 v35, 0x8000, v35
	v_and_b32_e32 v36, 0xfc00, v36
	v_or3_b32 v32, v35, v36, v32
.LBB277_1238:                           ;   in Loop: Header=BB277_803 Depth=1
	s_or_b32 exec_lo, exec_lo, s20
.LBB277_1239:                           ;   in Loop: Header=BB277_803 Depth=1
	s_or_b32 exec_lo, exec_lo, s19
.LBB277_1240:                           ;   in Loop: Header=BB277_803 Depth=1
	s_or_b32 exec_lo, exec_lo, s18
	v_lshrrev_b16 v3, 8, v3
	v_mov_b32_e32 v115, 0
	s_mov_b32 s18, exec_lo
	v_cmpx_ne_u16_e32 0, v3
	s_cbranch_execz .LBB277_1248
; %bb.1241:                             ;   in Loop: Header=BB277_803 Depth=1
	v_bfrev_b32_e32 v115, 1
	s_mov_b32 s19, exec_lo
	v_cmpx_ne_u16_e32 0x80, v3
	s_cbranch_execz .LBB277_1247
; %bb.1242:                             ;   in Loop: Header=BB277_803 Depth=1
	v_and_b32_sdwa v117, v3, v48 dst_sel:DWORD dst_unused:UNUSED_PAD src0_sel:WORD_0 src1_sel:DWORD
	v_mov_b32_e32 v115, 0x7c010000
	s_mov_b32 s20, exec_lo
	v_cmpx_ne_u32_e32 0x7f, v117
	s_cbranch_execz .LBB277_1246
; %bb.1243:                             ;   in Loop: Header=BB277_803 Depth=1
	v_and_b32_sdwa v115, v3, v54 dst_sel:DWORD dst_unused:UNUSED_PAD src0_sel:WORD_0 src1_sel:DWORD
	v_lshrrev_b32_e32 v116, 3, v117
	s_mov_b32 s21, exec_lo
	v_cmpx_gt_u32_e32 8, v117
; %bb.1244:                             ;   in Loop: Header=BB277_803 Depth=1
	v_ffbh_u32_e32 v35, v115
	v_min_u32_e32 v37, 32, v35
	v_subrev_nc_u32_e32 v35, 28, v37
	v_sub_nc_u32_e32 v116, 29, v37
	v_lshlrev_b64 v[35:36], v35, v[3:4]
	v_and_b32_e32 v115, 7, v35
; %bb.1245:                             ;   in Loop: Header=BB277_803 Depth=1
	s_or_b32 exec_lo, exec_lo, s21
	v_lshlrev_b32_sdwa v3, v34, v3 dst_sel:DWORD dst_unused:UNUSED_PAD src0_sel:DWORD src1_sel:WORD_0
	v_lshl_add_u32 v35, v116, 10, 0x2000
	v_and_or_b32 v3, 0x8000, v3, v35
	v_lshlrev_b32_e32 v35, 23, v115
	v_lshl_or_b32 v115, v3, 16, v35
.LBB277_1246:                           ;   in Loop: Header=BB277_803 Depth=1
	s_or_b32 exec_lo, exec_lo, s20
.LBB277_1247:                           ;   in Loop: Header=BB277_803 Depth=1
	s_or_b32 exec_lo, exec_lo, s19
.LBB277_1248:                           ;   in Loop: Header=BB277_803 Depth=1
	s_or_b32 exec_lo, exec_lo, s18
	v_lshrrev_b32_e32 v3, 16, v12
	v_cmp_ne_u16_sdwa s4, v3, v4 src0_sel:BYTE_0 src1_sel:DWORD
	s_and_saveexec_b32 s18, s4
	s_cbranch_execz .LBB277_1256
; %bb.1249:                             ;   in Loop: Header=BB277_803 Depth=1
	v_cmp_ne_u16_sdwa s4, v3, v39 src0_sel:BYTE_0 src1_sel:DWORD
	v_mov_b32_e32 v2, 0x8000
	s_and_saveexec_b32 s19, s4
	s_cbranch_execz .LBB277_1255
; %bb.1250:                             ;   in Loop: Header=BB277_803 Depth=1
	v_bfe_u32 v117, v12, 16, 7
	v_mov_b32_e32 v2, 0x7c01
	s_mov_b32 s20, exec_lo
	v_cmpx_ne_u32_e32 0x7f, v117
	s_cbranch_execz .LBB277_1254
; %bb.1251:                             ;   in Loop: Header=BB277_803 Depth=1
	v_and_b32_e32 v2, 7, v3
	v_lshrrev_b32_e32 v116, 3, v117
	s_mov_b32 s21, exec_lo
	v_cmpx_gt_u32_e32 8, v117
; %bb.1252:                             ;   in Loop: Header=BB277_803 Depth=1
	v_ffbh_u32_e32 v2, v2
	v_min_u32_e32 v2, 32, v2
	v_subrev_nc_u32_e32 v35, 28, v2
	v_sub_nc_u32_e32 v116, 29, v2
	v_lshlrev_b64 v[35:36], v35, v[3:4]
	v_and_b32_e32 v2, 7, v35
; %bb.1253:                             ;   in Loop: Header=BB277_803 Depth=1
	s_or_b32 exec_lo, exec_lo, s21
	v_lshlrev_b32_e32 v3, 8, v3
	v_lshl_add_u32 v35, v116, 10, 0x2000
	v_lshlrev_b32_e32 v2, 7, v2
	v_and_b32_e32 v3, 0x8000, v3
	v_and_b32_e32 v35, 0xfc00, v35
	v_or3_b32 v2, v3, v35, v2
.LBB277_1254:                           ;   in Loop: Header=BB277_803 Depth=1
	s_or_b32 exec_lo, exec_lo, s20
.LBB277_1255:                           ;   in Loop: Header=BB277_803 Depth=1
	s_or_b32 exec_lo, exec_lo, s19
.LBB277_1256:                           ;   in Loop: Header=BB277_803 Depth=1
	s_or_b32 exec_lo, exec_lo, s18
	v_cmp_lt_u64_e64 s4, s[6:7], v[11:12]
	v_mov_b32_e32 v11, 0
	s_and_saveexec_b32 s18, s4
	s_cbranch_execz .LBB277_1264
; %bb.1257:                             ;   in Loop: Header=BB277_803 Depth=1
	v_lshrrev_b32_e32 v3, 24, v12
	v_bfrev_b32_e32 v11, 1
	s_mov_b32 s19, exec_lo
	v_cmpx_ne_u32_e32 0x80, v3
	s_cbranch_execz .LBB277_1263
; %bb.1258:                             ;   in Loop: Header=BB277_803 Depth=1
	v_and_b32_e32 v116, 0x7f, v3
	v_mov_b32_e32 v11, 0x7c010000
	s_mov_b32 s20, exec_lo
	v_cmpx_ne_u32_e32 0x7f, v116
	s_cbranch_execz .LBB277_1262
; %bb.1259:                             ;   in Loop: Header=BB277_803 Depth=1
	v_and_b32_e32 v11, 7, v3
	v_lshrrev_b32_e32 v12, 3, v116
	s_mov_b32 s21, exec_lo
	v_cmpx_gt_u32_e32 8, v116
; %bb.1260:                             ;   in Loop: Header=BB277_803 Depth=1
	v_ffbh_u32_e32 v11, v11
	v_min_u32_e32 v35, 32, v11
	v_subrev_nc_u32_e32 v11, 28, v35
	v_lshlrev_b64 v[11:12], v11, v[3:4]
	v_sub_nc_u32_e32 v12, 29, v35
	v_and_b32_e32 v11, 7, v11
; %bb.1261:                             ;   in Loop: Header=BB277_803 Depth=1
	s_or_b32 exec_lo, exec_lo, s21
	v_lshlrev_b32_e32 v3, 8, v3
	v_lshl_add_u32 v12, v12, 10, 0x2000
	v_lshlrev_b32_e32 v11, 23, v11
	v_and_or_b32 v3, 0x8000, v3, v12
	v_lshl_or_b32 v11, v3, 16, v11
.LBB277_1262:                           ;   in Loop: Header=BB277_803 Depth=1
	s_or_b32 exec_lo, exec_lo, s20
.LBB277_1263:                           ;   in Loop: Header=BB277_803 Depth=1
	s_or_b32 exec_lo, exec_lo, s19
.LBB277_1264:                           ;   in Loop: Header=BB277_803 Depth=1
	s_or_b32 exec_lo, exec_lo, s18
	v_or_b32_e32 v3, v18, v31
	s_waitcnt vmcnt(0) lgkmcnt(0)
	v_fma_mixlo_f16 v12, v0, v18, 0 op_sel:[0,1,0] op_sel_hi:[0,1,0]
	v_or_b32_e32 v18, v1, v29
	v_fma_mixlo_f16 v29, v0, v1, 0 op_sel:[0,1,0] op_sel_hi:[0,1,0]
	v_or_b32_e32 v31, v115, v32
	v_fma_mixlo_f16 v3, v0, v3, 0 op_sel_hi:[0,1,0]
	v_or_b32_e32 v32, v11, v2
	v_lshlrev_b32_e32 v1, 16, v12
	v_lshlrev_b32_e32 v12, 16, v29
	v_fma_mixlo_f16 v18, v0, v18, 0 op_sel_hi:[0,1,0]
	v_and_b32_e32 v2, 0xffff, v3
	v_fma_mixlo_f16 v3, v0, v115, 0 op_sel:[0,1,0] op_sel_hi:[0,1,0]
	v_fma_mixlo_f16 v29, v0, v31, 0 op_sel_hi:[0,1,0]
	v_fma_mixlo_f16 v11, v0, v11, 0 op_sel:[0,1,0] op_sel_hi:[0,1,0]
	v_fma_mixlo_f16 v31, v0, v32, 0 op_sel_hi:[0,1,0]
	v_and_b32_e32 v116, 0xffff, v18
	v_lshlrev_b32_e32 v3, 16, v3
	v_and_b32_e32 v29, 0xffff, v29
	v_lshlrev_b32_e32 v0, 16, v11
	v_and_b32_e32 v11, 0xffff, v31
	v_or_b32_e32 v18, v1, v2
	v_or_b32_e32 v115, v12, v116
	;; [unrolled: 1-line block ×4, first 2 shown]
	s_and_saveexec_b32 s18, vcc_lo
	s_cbranch_execz .LBB277_1266
; %bb.1265:                             ;   in Loop: Header=BB277_803 Depth=1
	v_cmp_lt_i32_e64 s4, v67, v30
	v_cndmask_b32_e64 v18, 0, v116, s4
	v_cmp_lt_i32_e64 s4, v96, v30
	v_cndmask_b32_e64 v12, 0, v12, s4
	v_cmp_lt_i32_e64 s4, v87, v30
	v_or_b32_e32 v115, v18, v12
	v_cndmask_b32_e64 v2, 0, v2, s4
	v_cmp_lt_i32_e64 s4, v86, v30
	v_cndmask_b32_e64 v1, 0, v1, s4
	v_cmp_lt_i32_e64 s4, v84, v30
	v_or_b32_e32 v18, v2, v1
	;; [unrolled: 5-line block ×3, first 2 shown]
	v_cndmask_b32_e64 v11, 0, v11, s4
	v_cmp_lt_i32_e64 s4, v71, v30
	v_cndmask_b32_e64 v0, 0, v0, s4
	v_or_b32_e32 v31, v11, v0
.LBB277_1266:                           ;   in Loop: Header=BB277_803 Depth=1
	s_or_b32 exec_lo, exec_lo, s18
	;;#ASMSTART
	v_pk_mul_f16 v0, v85, v115;

	;;#ASMEND
	;;#ASMSTART
	v_pk_mul_f16 v1, v82, v18;

	;;#ASMEND
	;; [unrolled: 4-line block ×4, first 2 shown]
	;;#ASMSTART
	v_pk_add_f16 v0, v0, v1;

	;;#ASMEND
	;;#ASMSTART
	v_pk_add_f16 v0, v0, v2;

	;;#ASMEND
	;; [unrolled: 4-line block ×3, first 2 shown]
	v_and_b32_e32 v1, 0xffff, v0
	v_lshrrev_b32_e32 v0, 16, v0
	;;#ASMSTART
	v_cvt_f32_f16 v115, v1;
	;;#ASMEND
	;;#ASMSTART
	v_cvt_f32_f16 v116, v0;
	;;#ASMEND
	flat_load_dwordx2 v[11:12], v[9:10] offset:1792
	flat_load_dword v0, v[22:23]
	v_mov_b32_e32 v1, 0
	v_mov_b32_e32 v29, 0
	s_waitcnt vmcnt(1) lgkmcnt(1)
	v_cmp_ne_u16_sdwa s4, v11, v4 src0_sel:BYTE_0 src1_sel:DWORD
	s_and_saveexec_b32 s18, s4
	s_cbranch_execz .LBB277_1274
; %bb.1267:                             ;   in Loop: Header=BB277_803 Depth=1
	v_cmp_ne_u16_sdwa s4, v11, v39 src0_sel:BYTE_0 src1_sel:DWORD
	v_mov_b32_e32 v29, 0x8000
	s_and_saveexec_b32 s19, s4
	s_cbranch_execz .LBB277_1273
; %bb.1268:                             ;   in Loop: Header=BB277_803 Depth=1
	v_and_b32_e32 v18, 0x7f, v11
	v_mov_b32_e32 v29, 0x7c01
	s_mov_b32 s20, exec_lo
	v_cmpx_ne_u32_e32 0x7f, v18
	s_cbranch_execz .LBB277_1272
; %bb.1269:                             ;   in Loop: Header=BB277_803 Depth=1
	v_and_b32_e32 v2, 7, v11
	v_lshrrev_b32_e32 v3, 3, v18
	s_mov_b32 s21, exec_lo
	v_cmpx_gt_u32_e32 8, v18
; %bb.1270:                             ;   in Loop: Header=BB277_803 Depth=1
	v_ffbh_u32_e32 v2, v2
	v_min_u32_e32 v18, 32, v2
	v_subrev_nc_u32_e32 v2, 28, v18
	v_lshlrev_b64 v[2:3], v2, v[11:12]
	v_sub_nc_u32_e32 v3, 29, v18
	v_and_b32_e32 v2, 7, v2
; %bb.1271:                             ;   in Loop: Header=BB277_803 Depth=1
	s_or_b32 exec_lo, exec_lo, s21
	v_lshlrev_b32_e32 v18, 8, v11
	v_lshl_add_u32 v3, v3, 10, 0x2000
	v_lshlrev_b32_e32 v2, 7, v2
	v_and_b32_e32 v18, 0x8000, v18
	v_and_b32_e32 v3, 0xfc00, v3
	v_or3_b32 v29, v18, v3, v2
.LBB277_1272:                           ;   in Loop: Header=BB277_803 Depth=1
	s_or_b32 exec_lo, exec_lo, s20
.LBB277_1273:                           ;   in Loop: Header=BB277_803 Depth=1
	s_or_b32 exec_lo, exec_lo, s19
.LBB277_1274:                           ;   in Loop: Header=BB277_803 Depth=1
	s_or_b32 exec_lo, exec_lo, s18
	v_lshrrev_b16 v3, 8, v11
	s_mov_b32 s18, exec_lo
	v_cmpx_ne_u16_e32 0, v3
	s_cbranch_execz .LBB277_1282
; %bb.1275:                             ;   in Loop: Header=BB277_803 Depth=1
	v_bfrev_b32_e32 v1, 1
	s_mov_b32 s19, exec_lo
	v_cmpx_ne_u16_e32 0x80, v3
	s_cbranch_execz .LBB277_1281
; %bb.1276:                             ;   in Loop: Header=BB277_803 Depth=1
	v_and_b32_sdwa v18, v3, v48 dst_sel:DWORD dst_unused:UNUSED_PAD src0_sel:WORD_0 src1_sel:DWORD
	v_mov_b32_e32 v1, 0x7c010000
	s_mov_b32 s20, exec_lo
	v_cmpx_ne_u32_e32 0x7f, v18
	s_cbranch_execz .LBB277_1280
; %bb.1277:                             ;   in Loop: Header=BB277_803 Depth=1
	v_and_b32_sdwa v1, v3, v54 dst_sel:DWORD dst_unused:UNUSED_PAD src0_sel:WORD_0 src1_sel:DWORD
	v_lshrrev_b32_e32 v2, 3, v18
	s_mov_b32 s21, exec_lo
	v_cmpx_gt_u32_e32 8, v18
; %bb.1278:                             ;   in Loop: Header=BB277_803 Depth=1
	v_ffbh_u32_e32 v1, v1
	v_min_u32_e32 v18, 32, v1
	v_subrev_nc_u32_e32 v1, 28, v18
	v_lshlrev_b64 v[1:2], v1, v[3:4]
	v_sub_nc_u32_e32 v2, 29, v18
	v_and_b32_e32 v1, 7, v1
; %bb.1279:                             ;   in Loop: Header=BB277_803 Depth=1
	s_or_b32 exec_lo, exec_lo, s21
	v_lshlrev_b32_sdwa v3, v34, v3 dst_sel:DWORD dst_unused:UNUSED_PAD src0_sel:DWORD src1_sel:WORD_0
	v_lshl_add_u32 v2, v2, 10, 0x2000
	v_lshlrev_b32_e32 v1, 23, v1
	v_and_or_b32 v2, 0x8000, v3, v2
	v_lshl_or_b32 v1, v2, 16, v1
.LBB277_1280:                           ;   in Loop: Header=BB277_803 Depth=1
	s_or_b32 exec_lo, exec_lo, s20
.LBB277_1281:                           ;   in Loop: Header=BB277_803 Depth=1
	s_or_b32 exec_lo, exec_lo, s19
.LBB277_1282:                           ;   in Loop: Header=BB277_803 Depth=1
	s_or_b32 exec_lo, exec_lo, s18
	v_lshrrev_b32_e32 v3, 16, v11
	v_mov_b32_e32 v18, 0
	v_mov_b32_e32 v31, 0
	v_cmp_ne_u16_sdwa s4, v3, v4 src0_sel:BYTE_0 src1_sel:DWORD
	s_and_saveexec_b32 s18, s4
	s_cbranch_execz .LBB277_1290
; %bb.1283:                             ;   in Loop: Header=BB277_803 Depth=1
	v_cmp_ne_u16_sdwa s4, v3, v39 src0_sel:BYTE_0 src1_sel:DWORD
	v_mov_b32_e32 v31, 0x8000
	s_and_saveexec_b32 s19, s4
	s_cbranch_execz .LBB277_1289
; %bb.1284:                             ;   in Loop: Header=BB277_803 Depth=1
	v_bfe_u32 v32, v11, 16, 7
	v_mov_b32_e32 v31, 0x7c01
	s_mov_b32 s20, exec_lo
	v_cmpx_ne_u32_e32 0x7f, v32
	s_cbranch_execz .LBB277_1288
; %bb.1285:                             ;   in Loop: Header=BB277_803 Depth=1
	v_and_b32_e32 v2, 7, v3
	v_lshrrev_b32_e32 v31, 3, v32
	s_mov_b32 s21, exec_lo
	v_cmpx_gt_u32_e32 8, v32
; %bb.1286:                             ;   in Loop: Header=BB277_803 Depth=1
	v_ffbh_u32_e32 v2, v2
	v_min_u32_e32 v2, 32, v2
	v_subrev_nc_u32_e32 v31, 28, v2
	v_lshlrev_b64 v[35:36], v31, v[3:4]
	v_sub_nc_u32_e32 v31, 29, v2
	v_and_b32_e32 v2, 7, v35
; %bb.1287:                             ;   in Loop: Header=BB277_803 Depth=1
	s_or_b32 exec_lo, exec_lo, s21
	v_lshlrev_b32_e32 v3, 8, v3
	v_lshl_add_u32 v31, v31, 10, 0x2000
	v_lshlrev_b32_e32 v2, 7, v2
	v_and_b32_e32 v3, 0x8000, v3
	v_and_b32_e32 v31, 0xfc00, v31
	v_or3_b32 v31, v3, v31, v2
.LBB277_1288:                           ;   in Loop: Header=BB277_803 Depth=1
	s_or_b32 exec_lo, exec_lo, s20
.LBB277_1289:                           ;   in Loop: Header=BB277_803 Depth=1
	s_or_b32 exec_lo, exec_lo, s19
.LBB277_1290:                           ;   in Loop: Header=BB277_803 Depth=1
	s_or_b32 exec_lo, exec_lo, s18
	s_mov_b32 s18, exec_lo
	v_cmpx_lt_u32_e32 0xffffff, v11
	s_cbranch_execz .LBB277_1298
; %bb.1291:                             ;   in Loop: Header=BB277_803 Depth=1
	v_lshrrev_b32_e32 v3, 24, v11
	v_bfrev_b32_e32 v18, 1
	s_mov_b32 s19, exec_lo
	v_cmpx_ne_u32_e32 0x80, v3
	s_cbranch_execz .LBB277_1297
; %bb.1292:                             ;   in Loop: Header=BB277_803 Depth=1
	v_and_b32_e32 v32, 0x7f, v3
	v_mov_b32_e32 v18, 0x7c010000
	s_mov_b32 s20, exec_lo
	v_cmpx_ne_u32_e32 0x7f, v32
	s_cbranch_execz .LBB277_1296
; %bb.1293:                             ;   in Loop: Header=BB277_803 Depth=1
	v_and_b32_e32 v2, 7, v3
	v_lshrrev_b32_e32 v18, 3, v32
	s_mov_b32 s21, exec_lo
	v_cmpx_gt_u32_e32 8, v32
; %bb.1294:                             ;   in Loop: Header=BB277_803 Depth=1
	v_ffbh_u32_e32 v2, v2
	v_min_u32_e32 v2, 32, v2
	v_subrev_nc_u32_e32 v18, 28, v2
	v_lshlrev_b64 v[35:36], v18, v[3:4]
	v_sub_nc_u32_e32 v18, 29, v2
	v_and_b32_e32 v2, 7, v35
; %bb.1295:                             ;   in Loop: Header=BB277_803 Depth=1
	s_or_b32 exec_lo, exec_lo, s21
	v_lshlrev_b32_e32 v3, 8, v3
	v_lshl_add_u32 v18, v18, 10, 0x2000
	v_lshlrev_b32_e32 v2, 23, v2
	v_and_or_b32 v3, 0x8000, v3, v18
	v_lshl_or_b32 v18, v3, 16, v2
.LBB277_1296:                           ;   in Loop: Header=BB277_803 Depth=1
	s_or_b32 exec_lo, exec_lo, s20
.LBB277_1297:                           ;   in Loop: Header=BB277_803 Depth=1
	s_or_b32 exec_lo, exec_lo, s19
.LBB277_1298:                           ;   in Loop: Header=BB277_803 Depth=1
	s_or_b32 exec_lo, exec_lo, s18
	v_mov_b32_e32 v3, v12
	v_cmp_ne_u16_sdwa s4, v12, v4 src0_sel:BYTE_0 src1_sel:DWORD
	v_mov_b32_e32 v2, 0
	v_mov_b32_e32 v32, 0
	s_and_saveexec_b32 s18, s4
	s_cbranch_execz .LBB277_1306
; %bb.1299:                             ;   in Loop: Header=BB277_803 Depth=1
	v_cmp_ne_u16_sdwa s4, v12, v39 src0_sel:BYTE_0 src1_sel:DWORD
	v_mov_b32_e32 v32, 0x8000
	s_and_saveexec_b32 s19, s4
	s_cbranch_execz .LBB277_1305
; %bb.1300:                             ;   in Loop: Header=BB277_803 Depth=1
	v_and_b32_e32 v118, 0x7f, v12
	v_mov_b32_e32 v32, 0x7c01
	s_mov_b32 s20, exec_lo
	v_cmpx_ne_u32_e32 0x7f, v118
	s_cbranch_execz .LBB277_1304
; %bb.1301:                             ;   in Loop: Header=BB277_803 Depth=1
	v_and_b32_e32 v32, 7, v12
	v_lshrrev_b32_e32 v117, 3, v118
	s_mov_b32 s21, exec_lo
	v_cmpx_gt_u32_e32 8, v118
; %bb.1302:                             ;   in Loop: Header=BB277_803 Depth=1
	v_ffbh_u32_e32 v32, v32
	v_min_u32_e32 v32, 32, v32
	v_subrev_nc_u32_e32 v35, 28, v32
	v_sub_nc_u32_e32 v117, 29, v32
	v_lshlrev_b64 v[35:36], v35, v[3:4]
	v_and_b32_e32 v32, 7, v35
; %bb.1303:                             ;   in Loop: Header=BB277_803 Depth=1
	s_or_b32 exec_lo, exec_lo, s21
	v_lshlrev_b32_e32 v35, 8, v12
	v_lshl_add_u32 v36, v117, 10, 0x2000
	v_lshlrev_b32_e32 v32, 7, v32
	v_and_b32_e32 v35, 0x8000, v35
	v_and_b32_e32 v36, 0xfc00, v36
	v_or3_b32 v32, v35, v36, v32
.LBB277_1304:                           ;   in Loop: Header=BB277_803 Depth=1
	s_or_b32 exec_lo, exec_lo, s20
.LBB277_1305:                           ;   in Loop: Header=BB277_803 Depth=1
	s_or_b32 exec_lo, exec_lo, s19
.LBB277_1306:                           ;   in Loop: Header=BB277_803 Depth=1
	s_or_b32 exec_lo, exec_lo, s18
	v_lshrrev_b16 v3, 8, v3
	v_mov_b32_e32 v117, 0
	s_mov_b32 s18, exec_lo
	v_cmpx_ne_u16_e32 0, v3
	s_cbranch_execz .LBB277_1314
; %bb.1307:                             ;   in Loop: Header=BB277_803 Depth=1
	v_bfrev_b32_e32 v117, 1
	s_mov_b32 s19, exec_lo
	v_cmpx_ne_u16_e32 0x80, v3
	s_cbranch_execz .LBB277_1313
; %bb.1308:                             ;   in Loop: Header=BB277_803 Depth=1
	v_and_b32_sdwa v119, v3, v48 dst_sel:DWORD dst_unused:UNUSED_PAD src0_sel:WORD_0 src1_sel:DWORD
	v_mov_b32_e32 v117, 0x7c010000
	s_mov_b32 s20, exec_lo
	v_cmpx_ne_u32_e32 0x7f, v119
	s_cbranch_execz .LBB277_1312
; %bb.1309:                             ;   in Loop: Header=BB277_803 Depth=1
	v_and_b32_sdwa v117, v3, v54 dst_sel:DWORD dst_unused:UNUSED_PAD src0_sel:WORD_0 src1_sel:DWORD
	v_lshrrev_b32_e32 v118, 3, v119
	s_mov_b32 s21, exec_lo
	v_cmpx_gt_u32_e32 8, v119
; %bb.1310:                             ;   in Loop: Header=BB277_803 Depth=1
	v_ffbh_u32_e32 v35, v117
	v_min_u32_e32 v37, 32, v35
	v_subrev_nc_u32_e32 v35, 28, v37
	v_sub_nc_u32_e32 v118, 29, v37
	v_lshlrev_b64 v[35:36], v35, v[3:4]
	v_and_b32_e32 v117, 7, v35
; %bb.1311:                             ;   in Loop: Header=BB277_803 Depth=1
	s_or_b32 exec_lo, exec_lo, s21
	v_lshlrev_b32_sdwa v3, v34, v3 dst_sel:DWORD dst_unused:UNUSED_PAD src0_sel:DWORD src1_sel:WORD_0
	v_lshl_add_u32 v35, v118, 10, 0x2000
	v_and_or_b32 v3, 0x8000, v3, v35
	v_lshlrev_b32_e32 v35, 23, v117
	v_lshl_or_b32 v117, v3, 16, v35
.LBB277_1312:                           ;   in Loop: Header=BB277_803 Depth=1
	s_or_b32 exec_lo, exec_lo, s20
.LBB277_1313:                           ;   in Loop: Header=BB277_803 Depth=1
	s_or_b32 exec_lo, exec_lo, s19
.LBB277_1314:                           ;   in Loop: Header=BB277_803 Depth=1
	s_or_b32 exec_lo, exec_lo, s18
	v_lshrrev_b32_e32 v3, 16, v12
	v_cmp_ne_u16_sdwa s4, v3, v4 src0_sel:BYTE_0 src1_sel:DWORD
	s_and_saveexec_b32 s18, s4
	s_cbranch_execz .LBB277_1322
; %bb.1315:                             ;   in Loop: Header=BB277_803 Depth=1
	v_cmp_ne_u16_sdwa s4, v3, v39 src0_sel:BYTE_0 src1_sel:DWORD
	v_mov_b32_e32 v2, 0x8000
	s_and_saveexec_b32 s19, s4
	s_cbranch_execz .LBB277_1321
; %bb.1316:                             ;   in Loop: Header=BB277_803 Depth=1
	v_bfe_u32 v119, v12, 16, 7
	v_mov_b32_e32 v2, 0x7c01
	s_mov_b32 s20, exec_lo
	v_cmpx_ne_u32_e32 0x7f, v119
	s_cbranch_execz .LBB277_1320
; %bb.1317:                             ;   in Loop: Header=BB277_803 Depth=1
	v_and_b32_e32 v2, 7, v3
	v_lshrrev_b32_e32 v118, 3, v119
	s_mov_b32 s21, exec_lo
	v_cmpx_gt_u32_e32 8, v119
; %bb.1318:                             ;   in Loop: Header=BB277_803 Depth=1
	v_ffbh_u32_e32 v2, v2
	v_min_u32_e32 v2, 32, v2
	v_subrev_nc_u32_e32 v35, 28, v2
	v_sub_nc_u32_e32 v118, 29, v2
	v_lshlrev_b64 v[35:36], v35, v[3:4]
	v_and_b32_e32 v2, 7, v35
; %bb.1319:                             ;   in Loop: Header=BB277_803 Depth=1
	s_or_b32 exec_lo, exec_lo, s21
	v_lshlrev_b32_e32 v3, 8, v3
	v_lshl_add_u32 v35, v118, 10, 0x2000
	v_lshlrev_b32_e32 v2, 7, v2
	v_and_b32_e32 v3, 0x8000, v3
	v_and_b32_e32 v35, 0xfc00, v35
	v_or3_b32 v2, v3, v35, v2
.LBB277_1320:                           ;   in Loop: Header=BB277_803 Depth=1
	s_or_b32 exec_lo, exec_lo, s20
.LBB277_1321:                           ;   in Loop: Header=BB277_803 Depth=1
	s_or_b32 exec_lo, exec_lo, s19
.LBB277_1322:                           ;   in Loop: Header=BB277_803 Depth=1
	s_or_b32 exec_lo, exec_lo, s18
	v_cmp_lt_u64_e64 s4, s[6:7], v[11:12]
	v_mov_b32_e32 v11, 0
	s_and_saveexec_b32 s18, s4
	s_cbranch_execz .LBB277_1330
; %bb.1323:                             ;   in Loop: Header=BB277_803 Depth=1
	v_lshrrev_b32_e32 v3, 24, v12
	v_bfrev_b32_e32 v11, 1
	s_mov_b32 s19, exec_lo
	v_cmpx_ne_u32_e32 0x80, v3
	s_cbranch_execz .LBB277_1329
; %bb.1324:                             ;   in Loop: Header=BB277_803 Depth=1
	v_and_b32_e32 v118, 0x7f, v3
	v_mov_b32_e32 v11, 0x7c010000
	s_mov_b32 s20, exec_lo
	v_cmpx_ne_u32_e32 0x7f, v118
	s_cbranch_execz .LBB277_1328
; %bb.1325:                             ;   in Loop: Header=BB277_803 Depth=1
	v_and_b32_e32 v11, 7, v3
	v_lshrrev_b32_e32 v12, 3, v118
	s_mov_b32 s21, exec_lo
	v_cmpx_gt_u32_e32 8, v118
; %bb.1326:                             ;   in Loop: Header=BB277_803 Depth=1
	v_ffbh_u32_e32 v11, v11
	v_min_u32_e32 v35, 32, v11
	v_subrev_nc_u32_e32 v11, 28, v35
	v_lshlrev_b64 v[11:12], v11, v[3:4]
	v_sub_nc_u32_e32 v12, 29, v35
	v_and_b32_e32 v11, 7, v11
; %bb.1327:                             ;   in Loop: Header=BB277_803 Depth=1
	s_or_b32 exec_lo, exec_lo, s21
	v_lshlrev_b32_e32 v3, 8, v3
	v_lshl_add_u32 v12, v12, 10, 0x2000
	v_lshlrev_b32_e32 v11, 23, v11
	v_and_or_b32 v3, 0x8000, v3, v12
	v_lshl_or_b32 v11, v3, 16, v11
.LBB277_1328:                           ;   in Loop: Header=BB277_803 Depth=1
	s_or_b32 exec_lo, exec_lo, s20
.LBB277_1329:                           ;   in Loop: Header=BB277_803 Depth=1
	s_or_b32 exec_lo, exec_lo, s19
.LBB277_1330:                           ;   in Loop: Header=BB277_803 Depth=1
	s_or_b32 exec_lo, exec_lo, s18
	v_or_b32_e32 v3, v18, v31
	s_waitcnt vmcnt(0) lgkmcnt(0)
	v_fma_mixlo_f16 v12, v0, v18, 0 op_sel:[0,1,0] op_sel_hi:[0,1,0]
	v_or_b32_e32 v18, v1, v29
	v_fma_mixlo_f16 v29, v0, v1, 0 op_sel:[0,1,0] op_sel_hi:[0,1,0]
	v_or_b32_e32 v31, v117, v32
	v_fma_mixlo_f16 v3, v0, v3, 0 op_sel_hi:[0,1,0]
	v_or_b32_e32 v32, v11, v2
	v_lshlrev_b32_e32 v1, 16, v12
	v_lshlrev_b32_e32 v12, 16, v29
	v_fma_mixlo_f16 v18, v0, v18, 0 op_sel_hi:[0,1,0]
	v_and_b32_e32 v2, 0xffff, v3
	v_fma_mixlo_f16 v3, v0, v117, 0 op_sel:[0,1,0] op_sel_hi:[0,1,0]
	v_fma_mixlo_f16 v29, v0, v31, 0 op_sel_hi:[0,1,0]
	v_fma_mixlo_f16 v11, v0, v11, 0 op_sel:[0,1,0] op_sel_hi:[0,1,0]
	v_fma_mixlo_f16 v31, v0, v32, 0 op_sel_hi:[0,1,0]
	v_and_b32_e32 v118, 0xffff, v18
	v_lshlrev_b32_e32 v3, 16, v3
	v_and_b32_e32 v29, 0xffff, v29
	v_lshlrev_b32_e32 v0, 16, v11
	v_and_b32_e32 v11, 0xffff, v31
	v_or_b32_e32 v18, v1, v2
	v_or_b32_e32 v117, v12, v118
	;; [unrolled: 1-line block ×4, first 2 shown]
	s_and_saveexec_b32 s18, vcc_lo
	s_cbranch_execz .LBB277_1332
; %bb.1331:                             ;   in Loop: Header=BB277_803 Depth=1
	v_cmp_lt_i32_e64 s4, v67, v30
	v_cndmask_b32_e64 v18, 0, v118, s4
	v_cmp_lt_i32_e64 s4, v96, v30
	v_cndmask_b32_e64 v12, 0, v12, s4
	v_cmp_lt_i32_e64 s4, v87, v30
	v_or_b32_e32 v117, v18, v12
	v_cndmask_b32_e64 v2, 0, v2, s4
	v_cmp_lt_i32_e64 s4, v86, v30
	v_cndmask_b32_e64 v1, 0, v1, s4
	v_cmp_lt_i32_e64 s4, v84, v30
	v_or_b32_e32 v18, v2, v1
	;; [unrolled: 5-line block ×3, first 2 shown]
	v_cndmask_b32_e64 v11, 0, v11, s4
	v_cmp_lt_i32_e64 s4, v71, v30
	v_cndmask_b32_e64 v0, 0, v0, s4
	v_or_b32_e32 v31, v11, v0
.LBB277_1332:                           ;   in Loop: Header=BB277_803 Depth=1
	s_or_b32 exec_lo, exec_lo, s18
	v_add_co_u32 v9, s4, 0x800, v9
	;;#ASMSTART
	v_pk_mul_f16 v0, v85, v117;

	;;#ASMEND
	v_add_co_ci_u32_e64 v10, null, 0, v10, s4
	;;#ASMSTART
	v_pk_mul_f16 v1, v82, v18;

	;;#ASMEND
	;;#ASMSTART
	v_pk_mul_f16 v2, v80, v32;

	;;#ASMEND
	;; [unrolled: 4-line block ×3, first 2 shown]
	;;#ASMSTART
	v_pk_add_f16 v0, v0, v1;

	;;#ASMEND
	;;#ASMSTART
	v_pk_add_f16 v0, v0, v2;

	;;#ASMEND
	;; [unrolled: 4-line block ×3, first 2 shown]
	v_lshrrev_b32_e32 v1, 16, v0
	v_and_b32_e32 v0, 0xffff, v0
	;;#ASMSTART
	v_cvt_f32_f16 v0, v0;
	;;#ASMEND
	;;#ASMSTART
	v_cvt_f32_f16 v1, v1;
	;;#ASMEND
	flat_load_dwordx2 v[11:12], v[9:10]
	flat_load_dword v29, v[22:23]
	v_mov_b32_e32 v31, 0
	v_mov_b32_e32 v32, 0
	s_waitcnt vmcnt(1) lgkmcnt(1)
	v_cmp_ne_u16_sdwa s4, v11, v4 src0_sel:BYTE_0 src1_sel:DWORD
	s_and_saveexec_b32 s18, s4
	s_cbranch_execz .LBB277_1340
; %bb.1333:                             ;   in Loop: Header=BB277_803 Depth=1
	v_cmp_ne_u16_sdwa s4, v11, v39 src0_sel:BYTE_0 src1_sel:DWORD
	v_mov_b32_e32 v32, 0x8000
	s_and_saveexec_b32 s19, s4
	s_cbranch_execz .LBB277_1339
; %bb.1334:                             ;   in Loop: Header=BB277_803 Depth=1
	v_and_b32_e32 v18, 0x7f, v11
	v_mov_b32_e32 v32, 0x7c01
	s_mov_b32 s20, exec_lo
	v_cmpx_ne_u32_e32 0x7f, v18
	s_cbranch_execz .LBB277_1338
; %bb.1335:                             ;   in Loop: Header=BB277_803 Depth=1
	v_and_b32_e32 v2, 7, v11
	v_lshrrev_b32_e32 v3, 3, v18
	s_mov_b32 s21, exec_lo
	v_cmpx_gt_u32_e32 8, v18
; %bb.1336:                             ;   in Loop: Header=BB277_803 Depth=1
	v_ffbh_u32_e32 v2, v2
	v_min_u32_e32 v18, 32, v2
	v_subrev_nc_u32_e32 v2, 28, v18
	v_lshlrev_b64 v[2:3], v2, v[11:12]
	v_sub_nc_u32_e32 v3, 29, v18
	v_and_b32_e32 v2, 7, v2
; %bb.1337:                             ;   in Loop: Header=BB277_803 Depth=1
	s_or_b32 exec_lo, exec_lo, s21
	v_lshlrev_b32_e32 v18, 8, v11
	v_lshl_add_u32 v3, v3, 10, 0x2000
	v_lshlrev_b32_e32 v2, 7, v2
	v_and_b32_e32 v18, 0x8000, v18
	v_and_b32_e32 v3, 0xfc00, v3
	v_or3_b32 v32, v18, v3, v2
.LBB277_1338:                           ;   in Loop: Header=BB277_803 Depth=1
	s_or_b32 exec_lo, exec_lo, s20
.LBB277_1339:                           ;   in Loop: Header=BB277_803 Depth=1
	s_or_b32 exec_lo, exec_lo, s19
.LBB277_1340:                           ;   in Loop: Header=BB277_803 Depth=1
	s_or_b32 exec_lo, exec_lo, s18
	v_lshrrev_b16 v3, 8, v11
	s_mov_b32 s18, exec_lo
	v_cmpx_ne_u16_e32 0, v3
	s_cbranch_execz .LBB277_1348
; %bb.1341:                             ;   in Loop: Header=BB277_803 Depth=1
	v_bfrev_b32_e32 v31, 1
	s_mov_b32 s19, exec_lo
	v_cmpx_ne_u16_e32 0x80, v3
	s_cbranch_execz .LBB277_1347
; %bb.1342:                             ;   in Loop: Header=BB277_803 Depth=1
	v_and_b32_sdwa v117, v3, v48 dst_sel:DWORD dst_unused:UNUSED_PAD src0_sel:WORD_0 src1_sel:DWORD
	v_mov_b32_e32 v31, 0x7c010000
	s_mov_b32 s20, exec_lo
	v_cmpx_ne_u32_e32 0x7f, v117
	s_cbranch_execz .LBB277_1346
; %bb.1343:                             ;   in Loop: Header=BB277_803 Depth=1
	v_and_b32_sdwa v2, v3, v54 dst_sel:DWORD dst_unused:UNUSED_PAD src0_sel:WORD_0 src1_sel:DWORD
	v_lshrrev_b32_e32 v18, 3, v117
	s_mov_b32 s21, exec_lo
	v_cmpx_gt_u32_e32 8, v117
; %bb.1344:                             ;   in Loop: Header=BB277_803 Depth=1
	v_ffbh_u32_e32 v2, v2
	v_min_u32_e32 v2, 32, v2
	v_subrev_nc_u32_e32 v18, 28, v2
	v_lshlrev_b64 v[35:36], v18, v[3:4]
	v_sub_nc_u32_e32 v18, 29, v2
	v_and_b32_e32 v2, 7, v35
; %bb.1345:                             ;   in Loop: Header=BB277_803 Depth=1
	s_or_b32 exec_lo, exec_lo, s21
	v_lshlrev_b32_sdwa v3, v34, v3 dst_sel:DWORD dst_unused:UNUSED_PAD src0_sel:DWORD src1_sel:WORD_0
	v_lshl_add_u32 v18, v18, 10, 0x2000
	v_lshlrev_b32_e32 v2, 23, v2
	v_and_or_b32 v3, 0x8000, v3, v18
	v_lshl_or_b32 v31, v3, 16, v2
.LBB277_1346:                           ;   in Loop: Header=BB277_803 Depth=1
	s_or_b32 exec_lo, exec_lo, s20
.LBB277_1347:                           ;   in Loop: Header=BB277_803 Depth=1
	s_or_b32 exec_lo, exec_lo, s19
.LBB277_1348:                           ;   in Loop: Header=BB277_803 Depth=1
	s_or_b32 exec_lo, exec_lo, s18
	v_lshrrev_b32_e32 v3, 16, v11
	v_mov_b32_e32 v18, 0
	v_mov_b32_e32 v117, 0
	v_cmp_ne_u16_sdwa s4, v3, v4 src0_sel:BYTE_0 src1_sel:DWORD
	s_and_saveexec_b32 s18, s4
	s_cbranch_execz .LBB277_1356
; %bb.1349:                             ;   in Loop: Header=BB277_803 Depth=1
	v_cmp_ne_u16_sdwa s4, v3, v39 src0_sel:BYTE_0 src1_sel:DWORD
	v_mov_b32_e32 v117, 0x8000
	s_and_saveexec_b32 s19, s4
	s_cbranch_execz .LBB277_1355
; %bb.1350:                             ;   in Loop: Header=BB277_803 Depth=1
	v_bfe_u32 v118, v11, 16, 7
	v_mov_b32_e32 v117, 0x7c01
	s_mov_b32 s20, exec_lo
	v_cmpx_ne_u32_e32 0x7f, v118
	s_cbranch_execz .LBB277_1354
; %bb.1351:                             ;   in Loop: Header=BB277_803 Depth=1
	v_and_b32_e32 v2, 7, v3
	v_lshrrev_b32_e32 v117, 3, v118
	s_mov_b32 s21, exec_lo
	v_cmpx_gt_u32_e32 8, v118
; %bb.1352:                             ;   in Loop: Header=BB277_803 Depth=1
	v_ffbh_u32_e32 v2, v2
	v_min_u32_e32 v2, 32, v2
	v_subrev_nc_u32_e32 v35, 28, v2
	v_sub_nc_u32_e32 v117, 29, v2
	v_lshlrev_b64 v[35:36], v35, v[3:4]
	v_and_b32_e32 v2, 7, v35
; %bb.1353:                             ;   in Loop: Header=BB277_803 Depth=1
	s_or_b32 exec_lo, exec_lo, s21
	v_lshlrev_b32_e32 v3, 8, v3
	v_lshl_add_u32 v35, v117, 10, 0x2000
	v_lshlrev_b32_e32 v2, 7, v2
	v_and_b32_e32 v3, 0x8000, v3
	v_and_b32_e32 v35, 0xfc00, v35
	v_or3_b32 v117, v3, v35, v2
.LBB277_1354:                           ;   in Loop: Header=BB277_803 Depth=1
	s_or_b32 exec_lo, exec_lo, s20
.LBB277_1355:                           ;   in Loop: Header=BB277_803 Depth=1
	s_or_b32 exec_lo, exec_lo, s19
.LBB277_1356:                           ;   in Loop: Header=BB277_803 Depth=1
	s_or_b32 exec_lo, exec_lo, s18
	s_mov_b32 s18, exec_lo
	v_cmpx_lt_u32_e32 0xffffff, v11
	s_cbranch_execz .LBB277_1364
; %bb.1357:                             ;   in Loop: Header=BB277_803 Depth=1
	v_lshrrev_b32_e32 v3, 24, v11
	v_bfrev_b32_e32 v18, 1
	s_mov_b32 s19, exec_lo
	v_cmpx_ne_u32_e32 0x80, v3
	s_cbranch_execz .LBB277_1363
; %bb.1358:                             ;   in Loop: Header=BB277_803 Depth=1
	v_and_b32_e32 v118, 0x7f, v3
	v_mov_b32_e32 v18, 0x7c010000
	s_mov_b32 s20, exec_lo
	v_cmpx_ne_u32_e32 0x7f, v118
	s_cbranch_execz .LBB277_1362
; %bb.1359:                             ;   in Loop: Header=BB277_803 Depth=1
	v_and_b32_e32 v2, 7, v3
	v_lshrrev_b32_e32 v18, 3, v118
	s_mov_b32 s21, exec_lo
	v_cmpx_gt_u32_e32 8, v118
; %bb.1360:                             ;   in Loop: Header=BB277_803 Depth=1
	v_ffbh_u32_e32 v2, v2
	v_min_u32_e32 v2, 32, v2
	v_subrev_nc_u32_e32 v18, 28, v2
	v_lshlrev_b64 v[35:36], v18, v[3:4]
	v_sub_nc_u32_e32 v18, 29, v2
	v_and_b32_e32 v2, 7, v35
; %bb.1361:                             ;   in Loop: Header=BB277_803 Depth=1
	s_or_b32 exec_lo, exec_lo, s21
	v_lshlrev_b32_e32 v3, 8, v3
	v_lshl_add_u32 v18, v18, 10, 0x2000
	v_lshlrev_b32_e32 v2, 23, v2
	v_and_or_b32 v3, 0x8000, v3, v18
	v_lshl_or_b32 v18, v3, 16, v2
.LBB277_1362:                           ;   in Loop: Header=BB277_803 Depth=1
	s_or_b32 exec_lo, exec_lo, s20
.LBB277_1363:                           ;   in Loop: Header=BB277_803 Depth=1
	s_or_b32 exec_lo, exec_lo, s19
.LBB277_1364:                           ;   in Loop: Header=BB277_803 Depth=1
	s_or_b32 exec_lo, exec_lo, s18
	v_mov_b32_e32 v3, v12
	v_cmp_ne_u16_sdwa s4, v12, v4 src0_sel:BYTE_0 src1_sel:DWORD
	v_mov_b32_e32 v2, 0
	v_mov_b32_e32 v118, 0
	s_and_saveexec_b32 s18, s4
	s_cbranch_execz .LBB277_1372
; %bb.1365:                             ;   in Loop: Header=BB277_803 Depth=1
	v_cmp_ne_u16_sdwa s4, v12, v39 src0_sel:BYTE_0 src1_sel:DWORD
	v_mov_b32_e32 v118, 0x8000
	s_and_saveexec_b32 s19, s4
	s_cbranch_execz .LBB277_1371
; %bb.1366:                             ;   in Loop: Header=BB277_803 Depth=1
	v_and_b32_e32 v40, 0x7f, v12
	v_mov_b32_e32 v118, 0x7c01
	s_mov_b32 s20, exec_lo
	v_cmpx_ne_u32_e32 0x7f, v40
	s_cbranch_execz .LBB277_1370
; %bb.1367:                             ;   in Loop: Header=BB277_803 Depth=1
	v_and_b32_e32 v118, 7, v12
	v_lshrrev_b32_e32 v119, 3, v40
	s_mov_b32 s21, exec_lo
	v_cmpx_gt_u32_e32 8, v40
; %bb.1368:                             ;   in Loop: Header=BB277_803 Depth=1
	v_ffbh_u32_e32 v35, v118
	v_min_u32_e32 v37, 32, v35
	v_subrev_nc_u32_e32 v35, 28, v37
	v_sub_nc_u32_e32 v119, 29, v37
	v_lshlrev_b64 v[35:36], v35, v[3:4]
	v_and_b32_e32 v118, 7, v35
; %bb.1369:                             ;   in Loop: Header=BB277_803 Depth=1
	s_or_b32 exec_lo, exec_lo, s21
	v_lshlrev_b32_e32 v35, 8, v12
	v_lshl_add_u32 v36, v119, 10, 0x2000
	v_lshlrev_b32_e32 v37, 7, v118
	v_and_b32_e32 v35, 0x8000, v35
	v_and_b32_e32 v36, 0xfc00, v36
	v_or3_b32 v118, v35, v36, v37
.LBB277_1370:                           ;   in Loop: Header=BB277_803 Depth=1
	s_or_b32 exec_lo, exec_lo, s20
.LBB277_1371:                           ;   in Loop: Header=BB277_803 Depth=1
	s_or_b32 exec_lo, exec_lo, s19
.LBB277_1372:                           ;   in Loop: Header=BB277_803 Depth=1
	s_or_b32 exec_lo, exec_lo, s18
	v_lshrrev_b16 v3, 8, v3
	v_mov_b32_e32 v119, 0
	s_mov_b32 s18, exec_lo
	v_cmpx_ne_u16_e32 0, v3
	s_cbranch_execz .LBB277_1380
; %bb.1373:                             ;   in Loop: Header=BB277_803 Depth=1
	v_bfrev_b32_e32 v119, 1
	s_mov_b32 s19, exec_lo
	v_cmpx_ne_u16_e32 0x80, v3
	s_cbranch_execz .LBB277_1379
; %bb.1374:                             ;   in Loop: Header=BB277_803 Depth=1
	v_and_b32_sdwa v41, v3, v48 dst_sel:DWORD dst_unused:UNUSED_PAD src0_sel:WORD_0 src1_sel:DWORD
	v_mov_b32_e32 v119, 0x7c010000
	s_mov_b32 s20, exec_lo
	v_cmpx_ne_u32_e32 0x7f, v41
	s_cbranch_execz .LBB277_1378
; %bb.1375:                             ;   in Loop: Header=BB277_803 Depth=1
	v_and_b32_sdwa v119, v3, v54 dst_sel:DWORD dst_unused:UNUSED_PAD src0_sel:WORD_0 src1_sel:DWORD
	v_lshrrev_b32_e32 v40, 3, v41
	s_mov_b32 s21, exec_lo
	v_cmpx_gt_u32_e32 8, v41
; %bb.1376:                             ;   in Loop: Header=BB277_803 Depth=1
	v_ffbh_u32_e32 v35, v119
	v_min_u32_e32 v37, 32, v35
	v_subrev_nc_u32_e32 v35, 28, v37
	v_sub_nc_u32_e32 v40, 29, v37
	v_lshlrev_b64 v[35:36], v35, v[3:4]
	v_and_b32_e32 v119, 7, v35
; %bb.1377:                             ;   in Loop: Header=BB277_803 Depth=1
	s_or_b32 exec_lo, exec_lo, s21
	v_lshlrev_b32_sdwa v3, v34, v3 dst_sel:DWORD dst_unused:UNUSED_PAD src0_sel:DWORD src1_sel:WORD_0
	v_lshl_add_u32 v35, v40, 10, 0x2000
	v_and_or_b32 v3, 0x8000, v3, v35
	v_lshlrev_b32_e32 v35, 23, v119
	v_lshl_or_b32 v119, v3, 16, v35
.LBB277_1378:                           ;   in Loop: Header=BB277_803 Depth=1
	s_or_b32 exec_lo, exec_lo, s20
.LBB277_1379:                           ;   in Loop: Header=BB277_803 Depth=1
	s_or_b32 exec_lo, exec_lo, s19
.LBB277_1380:                           ;   in Loop: Header=BB277_803 Depth=1
	s_or_b32 exec_lo, exec_lo, s18
	v_lshrrev_b32_e32 v3, 16, v12
	v_cmp_ne_u16_sdwa s4, v3, v4 src0_sel:BYTE_0 src1_sel:DWORD
	s_and_saveexec_b32 s18, s4
	s_cbranch_execz .LBB277_1388
; %bb.1381:                             ;   in Loop: Header=BB277_803 Depth=1
	v_cmp_ne_u16_sdwa s4, v3, v39 src0_sel:BYTE_0 src1_sel:DWORD
	v_mov_b32_e32 v2, 0x8000
	s_and_saveexec_b32 s19, s4
	s_cbranch_execz .LBB277_1387
; %bb.1382:                             ;   in Loop: Header=BB277_803 Depth=1
	v_bfe_u32 v41, v12, 16, 7
	v_mov_b32_e32 v2, 0x7c01
	s_mov_b32 s20, exec_lo
	v_cmpx_ne_u32_e32 0x7f, v41
	s_cbranch_execz .LBB277_1386
; %bb.1383:                             ;   in Loop: Header=BB277_803 Depth=1
	v_and_b32_e32 v2, 7, v3
	v_lshrrev_b32_e32 v40, 3, v41
	s_mov_b32 s21, exec_lo
	v_cmpx_gt_u32_e32 8, v41
; %bb.1384:                             ;   in Loop: Header=BB277_803 Depth=1
	v_ffbh_u32_e32 v2, v2
	v_min_u32_e32 v2, 32, v2
	v_subrev_nc_u32_e32 v35, 28, v2
	v_sub_nc_u32_e32 v40, 29, v2
	v_lshlrev_b64 v[35:36], v35, v[3:4]
	v_and_b32_e32 v2, 7, v35
; %bb.1385:                             ;   in Loop: Header=BB277_803 Depth=1
	s_or_b32 exec_lo, exec_lo, s21
	v_lshlrev_b32_e32 v3, 8, v3
	v_lshl_add_u32 v35, v40, 10, 0x2000
	v_lshlrev_b32_e32 v2, 7, v2
	v_and_b32_e32 v3, 0x8000, v3
	v_and_b32_e32 v35, 0xfc00, v35
	v_or3_b32 v2, v3, v35, v2
.LBB277_1386:                           ;   in Loop: Header=BB277_803 Depth=1
	s_or_b32 exec_lo, exec_lo, s20
.LBB277_1387:                           ;   in Loop: Header=BB277_803 Depth=1
	s_or_b32 exec_lo, exec_lo, s19
.LBB277_1388:                           ;   in Loop: Header=BB277_803 Depth=1
	s_or_b32 exec_lo, exec_lo, s18
	v_cmp_lt_u64_e64 s4, s[6:7], v[11:12]
	v_mov_b32_e32 v11, 0
	s_and_saveexec_b32 s18, s4
	s_cbranch_execz .LBB277_1396
; %bb.1389:                             ;   in Loop: Header=BB277_803 Depth=1
	v_lshrrev_b32_e32 v3, 24, v12
	v_bfrev_b32_e32 v11, 1
	s_mov_b32 s19, exec_lo
	v_cmpx_ne_u32_e32 0x80, v3
	s_cbranch_execz .LBB277_1395
; %bb.1390:                             ;   in Loop: Header=BB277_803 Depth=1
	v_and_b32_e32 v40, 0x7f, v3
	v_mov_b32_e32 v11, 0x7c010000
	s_mov_b32 s20, exec_lo
	v_cmpx_ne_u32_e32 0x7f, v40
	s_cbranch_execz .LBB277_1394
; %bb.1391:                             ;   in Loop: Header=BB277_803 Depth=1
	v_and_b32_e32 v11, 7, v3
	v_lshrrev_b32_e32 v12, 3, v40
	s_mov_b32 s21, exec_lo
	v_cmpx_gt_u32_e32 8, v40
; %bb.1392:                             ;   in Loop: Header=BB277_803 Depth=1
	v_ffbh_u32_e32 v11, v11
	v_min_u32_e32 v35, 32, v11
	v_subrev_nc_u32_e32 v11, 28, v35
	v_lshlrev_b64 v[11:12], v11, v[3:4]
	v_sub_nc_u32_e32 v12, 29, v35
	v_and_b32_e32 v11, 7, v11
; %bb.1393:                             ;   in Loop: Header=BB277_803 Depth=1
	s_or_b32 exec_lo, exec_lo, s21
	v_lshlrev_b32_e32 v3, 8, v3
	v_lshl_add_u32 v12, v12, 10, 0x2000
	v_lshlrev_b32_e32 v11, 23, v11
	v_and_or_b32 v3, 0x8000, v3, v12
	v_lshl_or_b32 v11, v3, 16, v11
.LBB277_1394:                           ;   in Loop: Header=BB277_803 Depth=1
	s_or_b32 exec_lo, exec_lo, s20
.LBB277_1395:                           ;   in Loop: Header=BB277_803 Depth=1
	s_or_b32 exec_lo, exec_lo, s19
.LBB277_1396:                           ;   in Loop: Header=BB277_803 Depth=1
	s_or_b32 exec_lo, exec_lo, s18
	v_or_b32_e32 v3, v18, v117
	s_waitcnt vmcnt(0) lgkmcnt(0)
	v_fma_mixlo_f16 v12, v29, v18, 0 op_sel:[0,1,0] op_sel_hi:[0,1,0]
	v_or_b32_e32 v18, v31, v32
	v_or_b32_e32 v32, v119, v118
	v_or_b32_e32 v35, v11, v2
	v_fma_mixlo_f16 v3, v29, v3, 0 op_sel_hi:[0,1,0]
	v_fma_mixlo_f16 v31, v29, v31, 0 op_sel:[0,1,0] op_sel_hi:[0,1,0]
	v_lshlrev_b32_e32 v2, 16, v12
	v_fma_mixlo_f16 v18, v29, v18, 0 op_sel_hi:[0,1,0]
	v_fma_mixlo_f16 v32, v29, v32, 0 op_sel_hi:[0,1,0]
	v_and_b32_e32 v12, 0xffff, v3
	v_fma_mixlo_f16 v3, v29, v119, 0 op_sel:[0,1,0] op_sel_hi:[0,1,0]
	v_fma_mixlo_f16 v36, v29, v11, 0 op_sel:[0,1,0] op_sel_hi:[0,1,0]
	v_fma_mixlo_f16 v29, v29, v35, 0 op_sel_hi:[0,1,0]
	v_lshlrev_b32_e32 v31, 16, v31
	v_and_b32_e32 v40, 0xffff, v18
	v_lshlrev_b32_e32 v11, 16, v3
	v_and_b32_e32 v32, 0xffff, v32
	;; [unrolled: 2-line block ×3, first 2 shown]
	v_or_b32_e32 v29, v2, v12
	v_or_b32_e32 v119, v31, v40
	;; [unrolled: 1-line block ×4, first 2 shown]
	s_and_saveexec_b32 s18, vcc_lo
	s_cbranch_execz .LBB277_1398
; %bb.1397:                             ;   in Loop: Header=BB277_803 Depth=1
	v_cmp_lt_i32_e64 s4, v67, v30
	v_cndmask_b32_e64 v29, 0, v40, s4
	v_cmp_lt_i32_e64 s4, v96, v30
	v_cndmask_b32_e64 v31, 0, v31, s4
	v_cmp_lt_i32_e64 s4, v87, v30
	v_or_b32_e32 v119, v29, v31
	v_cndmask_b32_e64 v12, 0, v12, s4
	v_cmp_lt_i32_e64 s4, v86, v30
	v_cndmask_b32_e64 v2, 0, v2, s4
	v_cmp_lt_i32_e64 s4, v84, v30
	v_or_b32_e32 v29, v12, v2
	;; [unrolled: 5-line block ×3, first 2 shown]
	v_cndmask_b32_e64 v18, 0, v18, s4
	v_cmp_lt_i32_e64 s4, v71, v30
	v_cndmask_b32_e64 v3, 0, v3, s4
	v_or_b32_e32 v117, v18, v3
.LBB277_1398:                           ;   in Loop: Header=BB277_803 Depth=1
	s_or_b32 exec_lo, exec_lo, s18
	;;#ASMSTART
	v_pk_mul_f16 v2, v85, v119;

	;;#ASMEND
	;;#ASMSTART
	v_pk_mul_f16 v3, v82, v29;

	;;#ASMEND
	;; [unrolled: 4-line block ×4, first 2 shown]
	;;#ASMSTART
	v_pk_add_f16 v2, v2, v3;

	;;#ASMEND
	;;#ASMSTART
	v_pk_add_f16 v2, v2, v11;

	;;#ASMEND
	;; [unrolled: 4-line block ×3, first 2 shown]
	v_and_b32_e32 v3, 0xffff, v2
	v_lshrrev_b32_e32 v2, 16, v2
	;;#ASMSTART
	v_cvt_f32_f16 v29, v3;
	;;#ASMEND
	;;#ASMSTART
	v_cvt_f32_f16 v31, v2;
	;;#ASMEND
	flat_load_dwordx2 v[11:12], v[9:10] offset:256
	flat_load_dword v32, v[22:23]
	v_mov_b32_e32 v117, 0
	v_mov_b32_e32 v118, 0
	s_waitcnt vmcnt(1) lgkmcnt(1)
	v_cmp_ne_u16_sdwa s4, v11, v4 src0_sel:BYTE_0 src1_sel:DWORD
	s_and_saveexec_b32 s18, s4
	s_cbranch_execz .LBB277_1406
; %bb.1399:                             ;   in Loop: Header=BB277_803 Depth=1
	v_cmp_ne_u16_sdwa s4, v11, v39 src0_sel:BYTE_0 src1_sel:DWORD
	v_mov_b32_e32 v118, 0x8000
	s_and_saveexec_b32 s19, s4
	s_cbranch_execz .LBB277_1405
; %bb.1400:                             ;   in Loop: Header=BB277_803 Depth=1
	v_and_b32_e32 v18, 0x7f, v11
	v_mov_b32_e32 v118, 0x7c01
	s_mov_b32 s20, exec_lo
	v_cmpx_ne_u32_e32 0x7f, v18
	s_cbranch_execz .LBB277_1404
; %bb.1401:                             ;   in Loop: Header=BB277_803 Depth=1
	v_and_b32_e32 v2, 7, v11
	v_lshrrev_b32_e32 v3, 3, v18
	s_mov_b32 s21, exec_lo
	v_cmpx_gt_u32_e32 8, v18
; %bb.1402:                             ;   in Loop: Header=BB277_803 Depth=1
	v_ffbh_u32_e32 v2, v2
	v_min_u32_e32 v18, 32, v2
	v_subrev_nc_u32_e32 v2, 28, v18
	v_lshlrev_b64 v[2:3], v2, v[11:12]
	v_sub_nc_u32_e32 v3, 29, v18
	v_and_b32_e32 v2, 7, v2
; %bb.1403:                             ;   in Loop: Header=BB277_803 Depth=1
	s_or_b32 exec_lo, exec_lo, s21
	v_lshlrev_b32_e32 v18, 8, v11
	v_lshl_add_u32 v3, v3, 10, 0x2000
	v_lshlrev_b32_e32 v2, 7, v2
	v_and_b32_e32 v18, 0x8000, v18
	v_and_b32_e32 v3, 0xfc00, v3
	v_or3_b32 v118, v18, v3, v2
.LBB277_1404:                           ;   in Loop: Header=BB277_803 Depth=1
	s_or_b32 exec_lo, exec_lo, s20
.LBB277_1405:                           ;   in Loop: Header=BB277_803 Depth=1
	s_or_b32 exec_lo, exec_lo, s19
.LBB277_1406:                           ;   in Loop: Header=BB277_803 Depth=1
	s_or_b32 exec_lo, exec_lo, s18
	v_lshrrev_b16 v3, 8, v11
	s_mov_b32 s18, exec_lo
	v_cmpx_ne_u16_e32 0, v3
	s_cbranch_execz .LBB277_1414
; %bb.1407:                             ;   in Loop: Header=BB277_803 Depth=1
	v_bfrev_b32_e32 v117, 1
	s_mov_b32 s19, exec_lo
	v_cmpx_ne_u16_e32 0x80, v3
	s_cbranch_execz .LBB277_1413
; %bb.1408:                             ;   in Loop: Header=BB277_803 Depth=1
	v_and_b32_sdwa v119, v3, v48 dst_sel:DWORD dst_unused:UNUSED_PAD src0_sel:WORD_0 src1_sel:DWORD
	v_mov_b32_e32 v117, 0x7c010000
	s_mov_b32 s20, exec_lo
	v_cmpx_ne_u32_e32 0x7f, v119
	s_cbranch_execz .LBB277_1412
; %bb.1409:                             ;   in Loop: Header=BB277_803 Depth=1
	v_and_b32_sdwa v2, v3, v54 dst_sel:DWORD dst_unused:UNUSED_PAD src0_sel:WORD_0 src1_sel:DWORD
	v_lshrrev_b32_e32 v18, 3, v119
	s_mov_b32 s21, exec_lo
	v_cmpx_gt_u32_e32 8, v119
; %bb.1410:                             ;   in Loop: Header=BB277_803 Depth=1
	v_ffbh_u32_e32 v2, v2
	v_min_u32_e32 v2, 32, v2
	v_subrev_nc_u32_e32 v18, 28, v2
	v_lshlrev_b64 v[35:36], v18, v[3:4]
	v_sub_nc_u32_e32 v18, 29, v2
	v_and_b32_e32 v2, 7, v35
; %bb.1411:                             ;   in Loop: Header=BB277_803 Depth=1
	s_or_b32 exec_lo, exec_lo, s21
	v_lshlrev_b32_sdwa v3, v34, v3 dst_sel:DWORD dst_unused:UNUSED_PAD src0_sel:DWORD src1_sel:WORD_0
	v_lshl_add_u32 v18, v18, 10, 0x2000
	v_lshlrev_b32_e32 v2, 23, v2
	v_and_or_b32 v3, 0x8000, v3, v18
	v_lshl_or_b32 v117, v3, 16, v2
.LBB277_1412:                           ;   in Loop: Header=BB277_803 Depth=1
	s_or_b32 exec_lo, exec_lo, s20
.LBB277_1413:                           ;   in Loop: Header=BB277_803 Depth=1
	s_or_b32 exec_lo, exec_lo, s19
.LBB277_1414:                           ;   in Loop: Header=BB277_803 Depth=1
	s_or_b32 exec_lo, exec_lo, s18
	v_lshrrev_b32_e32 v3, 16, v11
	v_mov_b32_e32 v18, 0
	v_mov_b32_e32 v119, 0
	v_cmp_ne_u16_sdwa s4, v3, v4 src0_sel:BYTE_0 src1_sel:DWORD
	s_and_saveexec_b32 s18, s4
	s_cbranch_execz .LBB277_1422
; %bb.1415:                             ;   in Loop: Header=BB277_803 Depth=1
	v_cmp_ne_u16_sdwa s4, v3, v39 src0_sel:BYTE_0 src1_sel:DWORD
	v_mov_b32_e32 v119, 0x8000
	s_and_saveexec_b32 s19, s4
	s_cbranch_execz .LBB277_1421
; %bb.1416:                             ;   in Loop: Header=BB277_803 Depth=1
	v_bfe_u32 v40, v11, 16, 7
	v_mov_b32_e32 v119, 0x7c01
	s_mov_b32 s20, exec_lo
	v_cmpx_ne_u32_e32 0x7f, v40
	s_cbranch_execz .LBB277_1420
; %bb.1417:                             ;   in Loop: Header=BB277_803 Depth=1
	v_and_b32_e32 v2, 7, v3
	v_lshrrev_b32_e32 v119, 3, v40
	s_mov_b32 s21, exec_lo
	v_cmpx_gt_u32_e32 8, v40
; %bb.1418:                             ;   in Loop: Header=BB277_803 Depth=1
	v_ffbh_u32_e32 v2, v2
	v_min_u32_e32 v2, 32, v2
	v_subrev_nc_u32_e32 v35, 28, v2
	v_sub_nc_u32_e32 v119, 29, v2
	v_lshlrev_b64 v[35:36], v35, v[3:4]
	v_and_b32_e32 v2, 7, v35
; %bb.1419:                             ;   in Loop: Header=BB277_803 Depth=1
	s_or_b32 exec_lo, exec_lo, s21
	v_lshlrev_b32_e32 v3, 8, v3
	v_lshl_add_u32 v35, v119, 10, 0x2000
	v_lshlrev_b32_e32 v2, 7, v2
	v_and_b32_e32 v3, 0x8000, v3
	v_and_b32_e32 v35, 0xfc00, v35
	v_or3_b32 v119, v3, v35, v2
.LBB277_1420:                           ;   in Loop: Header=BB277_803 Depth=1
	s_or_b32 exec_lo, exec_lo, s20
.LBB277_1421:                           ;   in Loop: Header=BB277_803 Depth=1
	s_or_b32 exec_lo, exec_lo, s19
.LBB277_1422:                           ;   in Loop: Header=BB277_803 Depth=1
	s_or_b32 exec_lo, exec_lo, s18
	s_mov_b32 s18, exec_lo
	v_cmpx_lt_u32_e32 0xffffff, v11
	s_cbranch_execz .LBB277_1430
; %bb.1423:                             ;   in Loop: Header=BB277_803 Depth=1
	v_lshrrev_b32_e32 v3, 24, v11
	v_bfrev_b32_e32 v18, 1
	s_mov_b32 s19, exec_lo
	v_cmpx_ne_u32_e32 0x80, v3
	s_cbranch_execz .LBB277_1429
; %bb.1424:                             ;   in Loop: Header=BB277_803 Depth=1
	v_and_b32_e32 v40, 0x7f, v3
	v_mov_b32_e32 v18, 0x7c010000
	s_mov_b32 s20, exec_lo
	v_cmpx_ne_u32_e32 0x7f, v40
	s_cbranch_execz .LBB277_1428
; %bb.1425:                             ;   in Loop: Header=BB277_803 Depth=1
	v_and_b32_e32 v2, 7, v3
	v_lshrrev_b32_e32 v18, 3, v40
	s_mov_b32 s21, exec_lo
	v_cmpx_gt_u32_e32 8, v40
; %bb.1426:                             ;   in Loop: Header=BB277_803 Depth=1
	v_ffbh_u32_e32 v2, v2
	v_min_u32_e32 v2, 32, v2
	v_subrev_nc_u32_e32 v18, 28, v2
	v_lshlrev_b64 v[35:36], v18, v[3:4]
	v_sub_nc_u32_e32 v18, 29, v2
	v_and_b32_e32 v2, 7, v35
; %bb.1427:                             ;   in Loop: Header=BB277_803 Depth=1
	s_or_b32 exec_lo, exec_lo, s21
	v_lshlrev_b32_e32 v3, 8, v3
	v_lshl_add_u32 v18, v18, 10, 0x2000
	v_lshlrev_b32_e32 v2, 23, v2
	v_and_or_b32 v3, 0x8000, v3, v18
	v_lshl_or_b32 v18, v3, 16, v2
.LBB277_1428:                           ;   in Loop: Header=BB277_803 Depth=1
	s_or_b32 exec_lo, exec_lo, s20
.LBB277_1429:                           ;   in Loop: Header=BB277_803 Depth=1
	s_or_b32 exec_lo, exec_lo, s19
.LBB277_1430:                           ;   in Loop: Header=BB277_803 Depth=1
	s_or_b32 exec_lo, exec_lo, s18
	v_mov_b32_e32 v3, v12
	v_cmp_ne_u16_sdwa s4, v12, v4 src0_sel:BYTE_0 src1_sel:DWORD
	v_mov_b32_e32 v2, 0
	v_mov_b32_e32 v40, 0
	s_and_saveexec_b32 s18, s4
	s_cbranch_execz .LBB277_1438
; %bb.1431:                             ;   in Loop: Header=BB277_803 Depth=1
	v_cmp_ne_u16_sdwa s4, v12, v39 src0_sel:BYTE_0 src1_sel:DWORD
	v_mov_b32_e32 v40, 0x8000
	s_and_saveexec_b32 s19, s4
	s_cbranch_execz .LBB277_1437
; %bb.1432:                             ;   in Loop: Header=BB277_803 Depth=1
	v_and_b32_e32 v42, 0x7f, v12
	v_mov_b32_e32 v40, 0x7c01
	s_mov_b32 s20, exec_lo
	v_cmpx_ne_u32_e32 0x7f, v42
	s_cbranch_execz .LBB277_1436
; %bb.1433:                             ;   in Loop: Header=BB277_803 Depth=1
	v_and_b32_e32 v40, 7, v12
	v_lshrrev_b32_e32 v41, 3, v42
	s_mov_b32 s21, exec_lo
	v_cmpx_gt_u32_e32 8, v42
; %bb.1434:                             ;   in Loop: Header=BB277_803 Depth=1
	v_ffbh_u32_e32 v35, v40
	v_min_u32_e32 v37, 32, v35
	v_subrev_nc_u32_e32 v35, 28, v37
	v_sub_nc_u32_e32 v41, 29, v37
	v_lshlrev_b64 v[35:36], v35, v[3:4]
	v_and_b32_e32 v40, 7, v35
; %bb.1435:                             ;   in Loop: Header=BB277_803 Depth=1
	s_or_b32 exec_lo, exec_lo, s21
	v_lshlrev_b32_e32 v35, 8, v12
	v_lshl_add_u32 v36, v41, 10, 0x2000
	v_lshlrev_b32_e32 v37, 7, v40
	v_and_b32_e32 v35, 0x8000, v35
	v_and_b32_e32 v36, 0xfc00, v36
	v_or3_b32 v40, v35, v36, v37
.LBB277_1436:                           ;   in Loop: Header=BB277_803 Depth=1
	s_or_b32 exec_lo, exec_lo, s20
.LBB277_1437:                           ;   in Loop: Header=BB277_803 Depth=1
	s_or_b32 exec_lo, exec_lo, s19
.LBB277_1438:                           ;   in Loop: Header=BB277_803 Depth=1
	s_or_b32 exec_lo, exec_lo, s18
	v_lshrrev_b16 v3, 8, v3
	v_mov_b32_e32 v41, 0
	s_mov_b32 s18, exec_lo
	v_cmpx_ne_u16_e32 0, v3
	s_cbranch_execz .LBB277_1446
; %bb.1439:                             ;   in Loop: Header=BB277_803 Depth=1
	v_bfrev_b32_e32 v41, 1
	s_mov_b32 s19, exec_lo
	v_cmpx_ne_u16_e32 0x80, v3
	s_cbranch_execz .LBB277_1445
; %bb.1440:                             ;   in Loop: Header=BB277_803 Depth=1
	v_and_b32_sdwa v43, v3, v48 dst_sel:DWORD dst_unused:UNUSED_PAD src0_sel:WORD_0 src1_sel:DWORD
	v_mov_b32_e32 v41, 0x7c010000
	s_mov_b32 s20, exec_lo
	v_cmpx_ne_u32_e32 0x7f, v43
	s_cbranch_execz .LBB277_1444
; %bb.1441:                             ;   in Loop: Header=BB277_803 Depth=1
	v_and_b32_sdwa v41, v3, v54 dst_sel:DWORD dst_unused:UNUSED_PAD src0_sel:WORD_0 src1_sel:DWORD
	v_lshrrev_b32_e32 v42, 3, v43
	s_mov_b32 s21, exec_lo
	v_cmpx_gt_u32_e32 8, v43
; %bb.1442:                             ;   in Loop: Header=BB277_803 Depth=1
	v_ffbh_u32_e32 v35, v41
	v_min_u32_e32 v37, 32, v35
	v_subrev_nc_u32_e32 v35, 28, v37
	v_sub_nc_u32_e32 v42, 29, v37
	v_lshlrev_b64 v[35:36], v35, v[3:4]
	v_and_b32_e32 v41, 7, v35
; %bb.1443:                             ;   in Loop: Header=BB277_803 Depth=1
	s_or_b32 exec_lo, exec_lo, s21
	v_lshlrev_b32_sdwa v3, v34, v3 dst_sel:DWORD dst_unused:UNUSED_PAD src0_sel:DWORD src1_sel:WORD_0
	v_lshl_add_u32 v35, v42, 10, 0x2000
	v_and_or_b32 v3, 0x8000, v3, v35
	v_lshlrev_b32_e32 v35, 23, v41
	v_lshl_or_b32 v41, v3, 16, v35
.LBB277_1444:                           ;   in Loop: Header=BB277_803 Depth=1
	s_or_b32 exec_lo, exec_lo, s20
.LBB277_1445:                           ;   in Loop: Header=BB277_803 Depth=1
	s_or_b32 exec_lo, exec_lo, s19
.LBB277_1446:                           ;   in Loop: Header=BB277_803 Depth=1
	s_or_b32 exec_lo, exec_lo, s18
	v_lshrrev_b32_e32 v3, 16, v12
	v_cmp_ne_u16_sdwa s4, v3, v4 src0_sel:BYTE_0 src1_sel:DWORD
	s_and_saveexec_b32 s18, s4
	s_cbranch_execz .LBB277_1454
; %bb.1447:                             ;   in Loop: Header=BB277_803 Depth=1
	v_cmp_ne_u16_sdwa s4, v3, v39 src0_sel:BYTE_0 src1_sel:DWORD
	v_mov_b32_e32 v2, 0x8000
	s_and_saveexec_b32 s19, s4
	s_cbranch_execz .LBB277_1453
; %bb.1448:                             ;   in Loop: Header=BB277_803 Depth=1
	v_bfe_u32 v43, v12, 16, 7
	v_mov_b32_e32 v2, 0x7c01
	s_mov_b32 s20, exec_lo
	v_cmpx_ne_u32_e32 0x7f, v43
	s_cbranch_execz .LBB277_1452
; %bb.1449:                             ;   in Loop: Header=BB277_803 Depth=1
	v_and_b32_e32 v2, 7, v3
	v_lshrrev_b32_e32 v42, 3, v43
	s_mov_b32 s21, exec_lo
	v_cmpx_gt_u32_e32 8, v43
; %bb.1450:                             ;   in Loop: Header=BB277_803 Depth=1
	v_ffbh_u32_e32 v2, v2
	v_min_u32_e32 v2, 32, v2
	v_subrev_nc_u32_e32 v35, 28, v2
	v_sub_nc_u32_e32 v42, 29, v2
	v_lshlrev_b64 v[35:36], v35, v[3:4]
	v_and_b32_e32 v2, 7, v35
; %bb.1451:                             ;   in Loop: Header=BB277_803 Depth=1
	s_or_b32 exec_lo, exec_lo, s21
	v_lshlrev_b32_e32 v3, 8, v3
	v_lshl_add_u32 v35, v42, 10, 0x2000
	v_lshlrev_b32_e32 v2, 7, v2
	v_and_b32_e32 v3, 0x8000, v3
	v_and_b32_e32 v35, 0xfc00, v35
	v_or3_b32 v2, v3, v35, v2
.LBB277_1452:                           ;   in Loop: Header=BB277_803 Depth=1
	s_or_b32 exec_lo, exec_lo, s20
.LBB277_1453:                           ;   in Loop: Header=BB277_803 Depth=1
	s_or_b32 exec_lo, exec_lo, s19
.LBB277_1454:                           ;   in Loop: Header=BB277_803 Depth=1
	s_or_b32 exec_lo, exec_lo, s18
	v_cmp_lt_u64_e64 s4, s[6:7], v[11:12]
	v_mov_b32_e32 v11, 0
	s_and_saveexec_b32 s18, s4
	s_cbranch_execz .LBB277_1462
; %bb.1455:                             ;   in Loop: Header=BB277_803 Depth=1
	v_lshrrev_b32_e32 v3, 24, v12
	v_bfrev_b32_e32 v11, 1
	s_mov_b32 s19, exec_lo
	v_cmpx_ne_u32_e32 0x80, v3
	s_cbranch_execz .LBB277_1461
; %bb.1456:                             ;   in Loop: Header=BB277_803 Depth=1
	v_and_b32_e32 v42, 0x7f, v3
	v_mov_b32_e32 v11, 0x7c010000
	s_mov_b32 s20, exec_lo
	v_cmpx_ne_u32_e32 0x7f, v42
	s_cbranch_execz .LBB277_1460
; %bb.1457:                             ;   in Loop: Header=BB277_803 Depth=1
	v_and_b32_e32 v11, 7, v3
	v_lshrrev_b32_e32 v12, 3, v42
	s_mov_b32 s21, exec_lo
	v_cmpx_gt_u32_e32 8, v42
; %bb.1458:                             ;   in Loop: Header=BB277_803 Depth=1
	v_ffbh_u32_e32 v11, v11
	v_min_u32_e32 v35, 32, v11
	v_subrev_nc_u32_e32 v11, 28, v35
	v_lshlrev_b64 v[11:12], v11, v[3:4]
	v_sub_nc_u32_e32 v12, 29, v35
	v_and_b32_e32 v11, 7, v11
; %bb.1459:                             ;   in Loop: Header=BB277_803 Depth=1
	s_or_b32 exec_lo, exec_lo, s21
	v_lshlrev_b32_e32 v3, 8, v3
	v_lshl_add_u32 v12, v12, 10, 0x2000
	v_lshlrev_b32_e32 v11, 23, v11
	v_and_or_b32 v3, 0x8000, v3, v12
	v_lshl_or_b32 v11, v3, 16, v11
.LBB277_1460:                           ;   in Loop: Header=BB277_803 Depth=1
	s_or_b32 exec_lo, exec_lo, s20
.LBB277_1461:                           ;   in Loop: Header=BB277_803 Depth=1
	s_or_b32 exec_lo, exec_lo, s19
.LBB277_1462:                           ;   in Loop: Header=BB277_803 Depth=1
	s_or_b32 exec_lo, exec_lo, s18
	v_or_b32_e32 v3, v18, v119
	s_waitcnt vmcnt(0) lgkmcnt(0)
	v_fma_mixlo_f16 v12, v32, v18, 0 op_sel:[0,1,0] op_sel_hi:[0,1,0]
	v_or_b32_e32 v18, v117, v118
	v_fma_mixlo_f16 v35, v32, v117, 0 op_sel:[0,1,0] op_sel_hi:[0,1,0]
	v_or_b32_e32 v36, v41, v40
	v_fma_mixlo_f16 v3, v32, v3, 0 op_sel_hi:[0,1,0]
	v_or_b32_e32 v37, v11, v2
	v_lshlrev_b32_e32 v2, 16, v12
	v_lshlrev_b32_e32 v117, 16, v35
	v_fma_mixlo_f16 v18, v32, v18, 0 op_sel_hi:[0,1,0]
	v_and_b32_e32 v12, 0xffff, v3
	v_fma_mixlo_f16 v3, v32, v41, 0 op_sel:[0,1,0] op_sel_hi:[0,1,0]
	v_fma_mixlo_f16 v35, v32, v36, 0 op_sel_hi:[0,1,0]
	v_fma_mixlo_f16 v36, v32, v11, 0 op_sel:[0,1,0] op_sel_hi:[0,1,0]
	v_fma_mixlo_f16 v32, v32, v37, 0 op_sel_hi:[0,1,0]
	v_and_b32_e32 v42, 0xffff, v18
	v_lshlrev_b32_e32 v11, 16, v3
	v_and_b32_e32 v118, 0xffff, v35
	v_lshlrev_b32_e32 v3, 16, v36
	v_and_b32_e32 v18, 0xffff, v32
	v_or_b32_e32 v32, v2, v12
	v_or_b32_e32 v41, v117, v42
	;; [unrolled: 1-line block ×4, first 2 shown]
	s_and_saveexec_b32 s18, vcc_lo
	s_cbranch_execz .LBB277_1464
; %bb.1463:                             ;   in Loop: Header=BB277_803 Depth=1
	v_cmp_lt_i32_e64 s4, v67, v30
	v_cndmask_b32_e64 v32, 0, v42, s4
	v_cmp_lt_i32_e64 s4, v96, v30
	v_cndmask_b32_e64 v35, 0, v117, s4
	v_cmp_lt_i32_e64 s4, v87, v30
	v_or_b32_e32 v41, v32, v35
	v_cndmask_b32_e64 v12, 0, v12, s4
	v_cmp_lt_i32_e64 s4, v86, v30
	v_cndmask_b32_e64 v2, 0, v2, s4
	v_cmp_lt_i32_e64 s4, v84, v30
	v_or_b32_e32 v32, v12, v2
	;; [unrolled: 5-line block ×3, first 2 shown]
	v_cndmask_b32_e64 v18, 0, v18, s4
	v_cmp_lt_i32_e64 s4, v71, v30
	v_cndmask_b32_e64 v3, 0, v3, s4
	v_or_b32_e32 v119, v18, v3
.LBB277_1464:                           ;   in Loop: Header=BB277_803 Depth=1
	s_or_b32 exec_lo, exec_lo, s18
	;;#ASMSTART
	v_pk_mul_f16 v2, v85, v41;

	;;#ASMEND
	;;#ASMSTART
	v_pk_mul_f16 v3, v82, v32;

	;;#ASMEND
	;;#ASMSTART
	v_pk_mul_f16 v11, v80, v40;

	;;#ASMEND
	;;#ASMSTART
	v_pk_mul_f16 v12, v70, v119;

	;;#ASMEND
	;;#ASMSTART
	v_pk_add_f16 v2, v2, v3;

	;;#ASMEND
	;;#ASMSTART
	v_pk_add_f16 v2, v2, v11;

	;;#ASMEND
	;; [unrolled: 4-line block ×3, first 2 shown]
	v_and_b32_e32 v3, 0xffff, v2
	v_lshrrev_b32_e32 v2, 16, v2
	;;#ASMSTART
	v_cvt_f32_f16 v32, v3;
	;;#ASMEND
	;;#ASMSTART
	v_cvt_f32_f16 v117, v2;
	;;#ASMEND
	flat_load_dwordx2 v[11:12], v[9:10] offset:512
	flat_load_dword v118, v[22:23]
	v_mov_b32_e32 v119, 0
	v_mov_b32_e32 v40, 0
	s_waitcnt vmcnt(1) lgkmcnt(1)
	v_cmp_ne_u16_sdwa s4, v11, v4 src0_sel:BYTE_0 src1_sel:DWORD
	s_and_saveexec_b32 s18, s4
	s_cbranch_execz .LBB277_1472
; %bb.1465:                             ;   in Loop: Header=BB277_803 Depth=1
	v_cmp_ne_u16_sdwa s4, v11, v39 src0_sel:BYTE_0 src1_sel:DWORD
	v_mov_b32_e32 v40, 0x8000
	s_and_saveexec_b32 s19, s4
	s_cbranch_execz .LBB277_1471
; %bb.1466:                             ;   in Loop: Header=BB277_803 Depth=1
	v_and_b32_e32 v18, 0x7f, v11
	v_mov_b32_e32 v40, 0x7c01
	s_mov_b32 s20, exec_lo
	v_cmpx_ne_u32_e32 0x7f, v18
	s_cbranch_execz .LBB277_1470
; %bb.1467:                             ;   in Loop: Header=BB277_803 Depth=1
	v_and_b32_e32 v2, 7, v11
	v_lshrrev_b32_e32 v3, 3, v18
	s_mov_b32 s21, exec_lo
	v_cmpx_gt_u32_e32 8, v18
; %bb.1468:                             ;   in Loop: Header=BB277_803 Depth=1
	v_ffbh_u32_e32 v2, v2
	v_min_u32_e32 v18, 32, v2
	v_subrev_nc_u32_e32 v2, 28, v18
	v_lshlrev_b64 v[2:3], v2, v[11:12]
	v_sub_nc_u32_e32 v3, 29, v18
	v_and_b32_e32 v2, 7, v2
; %bb.1469:                             ;   in Loop: Header=BB277_803 Depth=1
	s_or_b32 exec_lo, exec_lo, s21
	v_lshlrev_b32_e32 v18, 8, v11
	v_lshl_add_u32 v3, v3, 10, 0x2000
	v_lshlrev_b32_e32 v2, 7, v2
	v_and_b32_e32 v18, 0x8000, v18
	v_and_b32_e32 v3, 0xfc00, v3
	v_or3_b32 v40, v18, v3, v2
.LBB277_1470:                           ;   in Loop: Header=BB277_803 Depth=1
	s_or_b32 exec_lo, exec_lo, s20
.LBB277_1471:                           ;   in Loop: Header=BB277_803 Depth=1
	s_or_b32 exec_lo, exec_lo, s19
.LBB277_1472:                           ;   in Loop: Header=BB277_803 Depth=1
	s_or_b32 exec_lo, exec_lo, s18
	v_lshrrev_b16 v3, 8, v11
	s_mov_b32 s18, exec_lo
	v_cmpx_ne_u16_e32 0, v3
	s_cbranch_execz .LBB277_1480
; %bb.1473:                             ;   in Loop: Header=BB277_803 Depth=1
	v_bfrev_b32_e32 v119, 1
	s_mov_b32 s19, exec_lo
	v_cmpx_ne_u16_e32 0x80, v3
	s_cbranch_execz .LBB277_1479
; %bb.1474:                             ;   in Loop: Header=BB277_803 Depth=1
	v_and_b32_sdwa v41, v3, v48 dst_sel:DWORD dst_unused:UNUSED_PAD src0_sel:WORD_0 src1_sel:DWORD
	v_mov_b32_e32 v119, 0x7c010000
	s_mov_b32 s20, exec_lo
	v_cmpx_ne_u32_e32 0x7f, v41
	s_cbranch_execz .LBB277_1478
; %bb.1475:                             ;   in Loop: Header=BB277_803 Depth=1
	v_and_b32_sdwa v2, v3, v54 dst_sel:DWORD dst_unused:UNUSED_PAD src0_sel:WORD_0 src1_sel:DWORD
	v_lshrrev_b32_e32 v18, 3, v41
	s_mov_b32 s21, exec_lo
	v_cmpx_gt_u32_e32 8, v41
; %bb.1476:                             ;   in Loop: Header=BB277_803 Depth=1
	v_ffbh_u32_e32 v2, v2
	v_min_u32_e32 v2, 32, v2
	v_subrev_nc_u32_e32 v18, 28, v2
	v_lshlrev_b64 v[35:36], v18, v[3:4]
	v_sub_nc_u32_e32 v18, 29, v2
	v_and_b32_e32 v2, 7, v35
; %bb.1477:                             ;   in Loop: Header=BB277_803 Depth=1
	s_or_b32 exec_lo, exec_lo, s21
	v_lshlrev_b32_sdwa v3, v34, v3 dst_sel:DWORD dst_unused:UNUSED_PAD src0_sel:DWORD src1_sel:WORD_0
	v_lshl_add_u32 v18, v18, 10, 0x2000
	v_lshlrev_b32_e32 v2, 23, v2
	v_and_or_b32 v3, 0x8000, v3, v18
	v_lshl_or_b32 v119, v3, 16, v2
.LBB277_1478:                           ;   in Loop: Header=BB277_803 Depth=1
	s_or_b32 exec_lo, exec_lo, s20
.LBB277_1479:                           ;   in Loop: Header=BB277_803 Depth=1
	s_or_b32 exec_lo, exec_lo, s19
.LBB277_1480:                           ;   in Loop: Header=BB277_803 Depth=1
	s_or_b32 exec_lo, exec_lo, s18
	v_lshrrev_b32_e32 v3, 16, v11
	v_mov_b32_e32 v18, 0
	v_mov_b32_e32 v41, 0
	v_cmp_ne_u16_sdwa s4, v3, v4 src0_sel:BYTE_0 src1_sel:DWORD
	s_and_saveexec_b32 s18, s4
	s_cbranch_execz .LBB277_1488
; %bb.1481:                             ;   in Loop: Header=BB277_803 Depth=1
	v_cmp_ne_u16_sdwa s4, v3, v39 src0_sel:BYTE_0 src1_sel:DWORD
	v_mov_b32_e32 v41, 0x8000
	s_and_saveexec_b32 s19, s4
	s_cbranch_execz .LBB277_1487
; %bb.1482:                             ;   in Loop: Header=BB277_803 Depth=1
	v_bfe_u32 v42, v11, 16, 7
	v_mov_b32_e32 v41, 0x7c01
	s_mov_b32 s20, exec_lo
	v_cmpx_ne_u32_e32 0x7f, v42
	s_cbranch_execz .LBB277_1486
; %bb.1483:                             ;   in Loop: Header=BB277_803 Depth=1
	v_and_b32_e32 v2, 7, v3
	v_lshrrev_b32_e32 v41, 3, v42
	s_mov_b32 s21, exec_lo
	v_cmpx_gt_u32_e32 8, v42
; %bb.1484:                             ;   in Loop: Header=BB277_803 Depth=1
	v_ffbh_u32_e32 v2, v2
	v_min_u32_e32 v2, 32, v2
	v_subrev_nc_u32_e32 v35, 28, v2
	v_sub_nc_u32_e32 v41, 29, v2
	v_lshlrev_b64 v[35:36], v35, v[3:4]
	v_and_b32_e32 v2, 7, v35
; %bb.1485:                             ;   in Loop: Header=BB277_803 Depth=1
	s_or_b32 exec_lo, exec_lo, s21
	v_lshlrev_b32_e32 v3, 8, v3
	v_lshl_add_u32 v35, v41, 10, 0x2000
	v_lshlrev_b32_e32 v2, 7, v2
	v_and_b32_e32 v3, 0x8000, v3
	v_and_b32_e32 v35, 0xfc00, v35
	v_or3_b32 v41, v3, v35, v2
.LBB277_1486:                           ;   in Loop: Header=BB277_803 Depth=1
	s_or_b32 exec_lo, exec_lo, s20
.LBB277_1487:                           ;   in Loop: Header=BB277_803 Depth=1
	s_or_b32 exec_lo, exec_lo, s19
.LBB277_1488:                           ;   in Loop: Header=BB277_803 Depth=1
	s_or_b32 exec_lo, exec_lo, s18
	s_mov_b32 s18, exec_lo
	v_cmpx_lt_u32_e32 0xffffff, v11
	s_cbranch_execz .LBB277_1496
; %bb.1489:                             ;   in Loop: Header=BB277_803 Depth=1
	v_lshrrev_b32_e32 v3, 24, v11
	v_bfrev_b32_e32 v18, 1
	s_mov_b32 s19, exec_lo
	v_cmpx_ne_u32_e32 0x80, v3
	s_cbranch_execz .LBB277_1495
; %bb.1490:                             ;   in Loop: Header=BB277_803 Depth=1
	v_and_b32_e32 v42, 0x7f, v3
	v_mov_b32_e32 v18, 0x7c010000
	s_mov_b32 s20, exec_lo
	v_cmpx_ne_u32_e32 0x7f, v42
	s_cbranch_execz .LBB277_1494
; %bb.1491:                             ;   in Loop: Header=BB277_803 Depth=1
	v_and_b32_e32 v2, 7, v3
	v_lshrrev_b32_e32 v18, 3, v42
	s_mov_b32 s21, exec_lo
	v_cmpx_gt_u32_e32 8, v42
; %bb.1492:                             ;   in Loop: Header=BB277_803 Depth=1
	v_ffbh_u32_e32 v2, v2
	v_min_u32_e32 v2, 32, v2
	v_subrev_nc_u32_e32 v18, 28, v2
	v_lshlrev_b64 v[35:36], v18, v[3:4]
	v_sub_nc_u32_e32 v18, 29, v2
	v_and_b32_e32 v2, 7, v35
; %bb.1493:                             ;   in Loop: Header=BB277_803 Depth=1
	s_or_b32 exec_lo, exec_lo, s21
	v_lshlrev_b32_e32 v3, 8, v3
	v_lshl_add_u32 v18, v18, 10, 0x2000
	v_lshlrev_b32_e32 v2, 23, v2
	v_and_or_b32 v3, 0x8000, v3, v18
	v_lshl_or_b32 v18, v3, 16, v2
.LBB277_1494:                           ;   in Loop: Header=BB277_803 Depth=1
	s_or_b32 exec_lo, exec_lo, s20
.LBB277_1495:                           ;   in Loop: Header=BB277_803 Depth=1
	s_or_b32 exec_lo, exec_lo, s19
.LBB277_1496:                           ;   in Loop: Header=BB277_803 Depth=1
	s_or_b32 exec_lo, exec_lo, s18
	v_mov_b32_e32 v3, v12
	v_cmp_ne_u16_sdwa s4, v12, v4 src0_sel:BYTE_0 src1_sel:DWORD
	v_mov_b32_e32 v2, 0
	v_mov_b32_e32 v42, 0
	s_and_saveexec_b32 s18, s4
	s_cbranch_execz .LBB277_1504
; %bb.1497:                             ;   in Loop: Header=BB277_803 Depth=1
	v_cmp_ne_u16_sdwa s4, v12, v39 src0_sel:BYTE_0 src1_sel:DWORD
	v_mov_b32_e32 v42, 0x8000
	s_and_saveexec_b32 s19, s4
	s_cbranch_execz .LBB277_1503
; %bb.1498:                             ;   in Loop: Header=BB277_803 Depth=1
	v_and_b32_e32 v44, 0x7f, v12
	v_mov_b32_e32 v42, 0x7c01
	s_mov_b32 s20, exec_lo
	v_cmpx_ne_u32_e32 0x7f, v44
	s_cbranch_execz .LBB277_1502
; %bb.1499:                             ;   in Loop: Header=BB277_803 Depth=1
	v_and_b32_e32 v42, 7, v12
	v_lshrrev_b32_e32 v43, 3, v44
	s_mov_b32 s21, exec_lo
	v_cmpx_gt_u32_e32 8, v44
; %bb.1500:                             ;   in Loop: Header=BB277_803 Depth=1
	v_ffbh_u32_e32 v35, v42
	v_min_u32_e32 v37, 32, v35
	v_subrev_nc_u32_e32 v35, 28, v37
	v_sub_nc_u32_e32 v43, 29, v37
	v_lshlrev_b64 v[35:36], v35, v[3:4]
	v_and_b32_e32 v42, 7, v35
; %bb.1501:                             ;   in Loop: Header=BB277_803 Depth=1
	s_or_b32 exec_lo, exec_lo, s21
	v_lshlrev_b32_e32 v35, 8, v12
	v_lshl_add_u32 v36, v43, 10, 0x2000
	v_lshlrev_b32_e32 v37, 7, v42
	v_and_b32_e32 v35, 0x8000, v35
	v_and_b32_e32 v36, 0xfc00, v36
	v_or3_b32 v42, v35, v36, v37
.LBB277_1502:                           ;   in Loop: Header=BB277_803 Depth=1
	s_or_b32 exec_lo, exec_lo, s20
.LBB277_1503:                           ;   in Loop: Header=BB277_803 Depth=1
	s_or_b32 exec_lo, exec_lo, s19
.LBB277_1504:                           ;   in Loop: Header=BB277_803 Depth=1
	s_or_b32 exec_lo, exec_lo, s18
	v_lshrrev_b16 v3, 8, v3
	v_mov_b32_e32 v43, 0
	s_mov_b32 s18, exec_lo
	v_cmpx_ne_u16_e32 0, v3
	s_cbranch_execz .LBB277_1512
; %bb.1505:                             ;   in Loop: Header=BB277_803 Depth=1
	v_bfrev_b32_e32 v43, 1
	s_mov_b32 s19, exec_lo
	v_cmpx_ne_u16_e32 0x80, v3
	s_cbranch_execz .LBB277_1511
; %bb.1506:                             ;   in Loop: Header=BB277_803 Depth=1
	v_and_b32_sdwa v45, v3, v48 dst_sel:DWORD dst_unused:UNUSED_PAD src0_sel:WORD_0 src1_sel:DWORD
	v_mov_b32_e32 v43, 0x7c010000
	s_mov_b32 s20, exec_lo
	v_cmpx_ne_u32_e32 0x7f, v45
	s_cbranch_execz .LBB277_1510
; %bb.1507:                             ;   in Loop: Header=BB277_803 Depth=1
	v_and_b32_sdwa v43, v3, v54 dst_sel:DWORD dst_unused:UNUSED_PAD src0_sel:WORD_0 src1_sel:DWORD
	v_lshrrev_b32_e32 v44, 3, v45
	s_mov_b32 s21, exec_lo
	v_cmpx_gt_u32_e32 8, v45
; %bb.1508:                             ;   in Loop: Header=BB277_803 Depth=1
	v_ffbh_u32_e32 v35, v43
	v_min_u32_e32 v37, 32, v35
	v_subrev_nc_u32_e32 v35, 28, v37
	v_sub_nc_u32_e32 v44, 29, v37
	v_lshlrev_b64 v[35:36], v35, v[3:4]
	v_and_b32_e32 v43, 7, v35
; %bb.1509:                             ;   in Loop: Header=BB277_803 Depth=1
	s_or_b32 exec_lo, exec_lo, s21
	v_lshlrev_b32_sdwa v3, v34, v3 dst_sel:DWORD dst_unused:UNUSED_PAD src0_sel:DWORD src1_sel:WORD_0
	v_lshl_add_u32 v35, v44, 10, 0x2000
	v_and_or_b32 v3, 0x8000, v3, v35
	v_lshlrev_b32_e32 v35, 23, v43
	v_lshl_or_b32 v43, v3, 16, v35
.LBB277_1510:                           ;   in Loop: Header=BB277_803 Depth=1
	s_or_b32 exec_lo, exec_lo, s20
.LBB277_1511:                           ;   in Loop: Header=BB277_803 Depth=1
	s_or_b32 exec_lo, exec_lo, s19
.LBB277_1512:                           ;   in Loop: Header=BB277_803 Depth=1
	s_or_b32 exec_lo, exec_lo, s18
	v_lshrrev_b32_e32 v3, 16, v12
	v_cmp_ne_u16_sdwa s4, v3, v4 src0_sel:BYTE_0 src1_sel:DWORD
	s_and_saveexec_b32 s18, s4
	s_cbranch_execz .LBB277_1520
; %bb.1513:                             ;   in Loop: Header=BB277_803 Depth=1
	v_cmp_ne_u16_sdwa s4, v3, v39 src0_sel:BYTE_0 src1_sel:DWORD
	v_mov_b32_e32 v2, 0x8000
	s_and_saveexec_b32 s19, s4
	s_cbranch_execz .LBB277_1519
; %bb.1514:                             ;   in Loop: Header=BB277_803 Depth=1
	v_bfe_u32 v45, v12, 16, 7
	v_mov_b32_e32 v2, 0x7c01
	s_mov_b32 s20, exec_lo
	v_cmpx_ne_u32_e32 0x7f, v45
	s_cbranch_execz .LBB277_1518
; %bb.1515:                             ;   in Loop: Header=BB277_803 Depth=1
	v_and_b32_e32 v2, 7, v3
	v_lshrrev_b32_e32 v44, 3, v45
	s_mov_b32 s21, exec_lo
	v_cmpx_gt_u32_e32 8, v45
; %bb.1516:                             ;   in Loop: Header=BB277_803 Depth=1
	v_ffbh_u32_e32 v2, v2
	v_min_u32_e32 v2, 32, v2
	v_subrev_nc_u32_e32 v35, 28, v2
	v_sub_nc_u32_e32 v44, 29, v2
	v_lshlrev_b64 v[35:36], v35, v[3:4]
	v_and_b32_e32 v2, 7, v35
; %bb.1517:                             ;   in Loop: Header=BB277_803 Depth=1
	s_or_b32 exec_lo, exec_lo, s21
	v_lshlrev_b32_e32 v3, 8, v3
	v_lshl_add_u32 v35, v44, 10, 0x2000
	v_lshlrev_b32_e32 v2, 7, v2
	v_and_b32_e32 v3, 0x8000, v3
	v_and_b32_e32 v35, 0xfc00, v35
	v_or3_b32 v2, v3, v35, v2
.LBB277_1518:                           ;   in Loop: Header=BB277_803 Depth=1
	s_or_b32 exec_lo, exec_lo, s20
.LBB277_1519:                           ;   in Loop: Header=BB277_803 Depth=1
	s_or_b32 exec_lo, exec_lo, s19
.LBB277_1520:                           ;   in Loop: Header=BB277_803 Depth=1
	s_or_b32 exec_lo, exec_lo, s18
	v_cmp_lt_u64_e64 s4, s[6:7], v[11:12]
	v_mov_b32_e32 v11, 0
	s_and_saveexec_b32 s18, s4
	s_cbranch_execz .LBB277_1528
; %bb.1521:                             ;   in Loop: Header=BB277_803 Depth=1
	v_lshrrev_b32_e32 v3, 24, v12
	v_bfrev_b32_e32 v11, 1
	s_mov_b32 s19, exec_lo
	v_cmpx_ne_u32_e32 0x80, v3
	s_cbranch_execz .LBB277_1527
; %bb.1522:                             ;   in Loop: Header=BB277_803 Depth=1
	v_and_b32_e32 v44, 0x7f, v3
	v_mov_b32_e32 v11, 0x7c010000
	s_mov_b32 s20, exec_lo
	v_cmpx_ne_u32_e32 0x7f, v44
	s_cbranch_execz .LBB277_1526
; %bb.1523:                             ;   in Loop: Header=BB277_803 Depth=1
	v_and_b32_e32 v11, 7, v3
	v_lshrrev_b32_e32 v12, 3, v44
	s_mov_b32 s21, exec_lo
	v_cmpx_gt_u32_e32 8, v44
; %bb.1524:                             ;   in Loop: Header=BB277_803 Depth=1
	v_ffbh_u32_e32 v11, v11
	v_min_u32_e32 v35, 32, v11
	v_subrev_nc_u32_e32 v11, 28, v35
	v_lshlrev_b64 v[11:12], v11, v[3:4]
	v_sub_nc_u32_e32 v12, 29, v35
	v_and_b32_e32 v11, 7, v11
; %bb.1525:                             ;   in Loop: Header=BB277_803 Depth=1
	s_or_b32 exec_lo, exec_lo, s21
	v_lshlrev_b32_e32 v3, 8, v3
	v_lshl_add_u32 v12, v12, 10, 0x2000
	v_lshlrev_b32_e32 v11, 23, v11
	v_and_or_b32 v3, 0x8000, v3, v12
	v_lshl_or_b32 v11, v3, 16, v11
.LBB277_1526:                           ;   in Loop: Header=BB277_803 Depth=1
	s_or_b32 exec_lo, exec_lo, s20
.LBB277_1527:                           ;   in Loop: Header=BB277_803 Depth=1
	s_or_b32 exec_lo, exec_lo, s19
.LBB277_1528:                           ;   in Loop: Header=BB277_803 Depth=1
	s_or_b32 exec_lo, exec_lo, s18
	v_or_b32_e32 v3, v18, v41
	s_waitcnt vmcnt(0) lgkmcnt(0)
	v_fma_mixlo_f16 v12, v118, v18, 0 op_sel:[0,1,0] op_sel_hi:[0,1,0]
	v_or_b32_e32 v18, v119, v40
	v_fma_mixlo_f16 v35, v118, v119, 0 op_sel:[0,1,0] op_sel_hi:[0,1,0]
	v_or_b32_e32 v36, v43, v42
	v_fma_mixlo_f16 v3, v118, v3, 0 op_sel_hi:[0,1,0]
	v_or_b32_e32 v37, v11, v2
	v_lshlrev_b32_e32 v2, 16, v12
	v_lshlrev_b32_e32 v119, 16, v35
	v_fma_mixlo_f16 v18, v118, v18, 0 op_sel_hi:[0,1,0]
	v_and_b32_e32 v12, 0xffff, v3
	v_fma_mixlo_f16 v3, v118, v43, 0 op_sel:[0,1,0] op_sel_hi:[0,1,0]
	v_fma_mixlo_f16 v35, v118, v36, 0 op_sel_hi:[0,1,0]
	v_fma_mixlo_f16 v36, v118, v11, 0 op_sel:[0,1,0] op_sel_hi:[0,1,0]
	v_fma_mixlo_f16 v37, v118, v37, 0 op_sel_hi:[0,1,0]
	v_and_b32_e32 v44, 0xffff, v18
	v_lshlrev_b32_e32 v11, 16, v3
	v_and_b32_e32 v40, 0xffff, v35
	v_lshlrev_b32_e32 v3, 16, v36
	v_and_b32_e32 v18, 0xffff, v37
	v_or_b32_e32 v118, v2, v12
	v_or_b32_e32 v43, v119, v44
	;; [unrolled: 1-line block ×4, first 2 shown]
	s_and_saveexec_b32 s18, vcc_lo
	s_cbranch_execz .LBB277_1530
; %bb.1529:                             ;   in Loop: Header=BB277_803 Depth=1
	v_cmp_lt_i32_e64 s4, v67, v30
	v_cndmask_b32_e64 v35, 0, v44, s4
	v_cmp_lt_i32_e64 s4, v96, v30
	v_cndmask_b32_e64 v36, 0, v119, s4
	v_cmp_lt_i32_e64 s4, v87, v30
	v_or_b32_e32 v43, v35, v36
	v_cndmask_b32_e64 v12, 0, v12, s4
	v_cmp_lt_i32_e64 s4, v86, v30
	v_cndmask_b32_e64 v2, 0, v2, s4
	v_cmp_lt_i32_e64 s4, v84, v30
	v_or_b32_e32 v118, v12, v2
	;; [unrolled: 5-line block ×3, first 2 shown]
	v_cndmask_b32_e64 v18, 0, v18, s4
	v_cmp_lt_i32_e64 s4, v71, v30
	v_cndmask_b32_e64 v3, 0, v3, s4
	v_or_b32_e32 v41, v18, v3
.LBB277_1530:                           ;   in Loop: Header=BB277_803 Depth=1
	s_or_b32 exec_lo, exec_lo, s18
	;;#ASMSTART
	v_pk_mul_f16 v2, v85, v43;

	;;#ASMEND
	;;#ASMSTART
	v_pk_mul_f16 v3, v82, v118;

	;;#ASMEND
	;; [unrolled: 4-line block ×4, first 2 shown]
	;;#ASMSTART
	v_pk_add_f16 v2, v2, v3;

	;;#ASMEND
	;;#ASMSTART
	v_pk_add_f16 v2, v2, v11;

	;;#ASMEND
	;; [unrolled: 4-line block ×3, first 2 shown]
	v_and_b32_e32 v3, 0xffff, v2
	v_lshrrev_b32_e32 v2, 16, v2
	;;#ASMSTART
	v_cvt_f32_f16 v11, v3;
	;;#ASMEND
	;;#ASMSTART
	v_cvt_f32_f16 v12, v2;
	;;#ASMEND
	flat_load_dwordx2 v[9:10], v[9:10] offset:768
	flat_load_dword v118, v[22:23]
	v_mov_b32_e32 v119, 0
	v_mov_b32_e32 v40, 0
	s_waitcnt vmcnt(1) lgkmcnt(1)
	v_cmp_ne_u16_sdwa s4, v9, v4 src0_sel:BYTE_0 src1_sel:DWORD
	s_and_saveexec_b32 s18, s4
	s_cbranch_execz .LBB277_1538
; %bb.1531:                             ;   in Loop: Header=BB277_803 Depth=1
	v_cmp_ne_u16_sdwa s4, v9, v39 src0_sel:BYTE_0 src1_sel:DWORD
	v_mov_b32_e32 v40, 0x8000
	s_and_saveexec_b32 s19, s4
	s_cbranch_execz .LBB277_1537
; %bb.1532:                             ;   in Loop: Header=BB277_803 Depth=1
	v_and_b32_e32 v18, 0x7f, v9
	v_mov_b32_e32 v40, 0x7c01
	s_mov_b32 s20, exec_lo
	v_cmpx_ne_u32_e32 0x7f, v18
	s_cbranch_execz .LBB277_1536
; %bb.1533:                             ;   in Loop: Header=BB277_803 Depth=1
	v_and_b32_e32 v2, 7, v9
	v_lshrrev_b32_e32 v3, 3, v18
	s_mov_b32 s21, exec_lo
	v_cmpx_gt_u32_e32 8, v18
; %bb.1534:                             ;   in Loop: Header=BB277_803 Depth=1
	v_ffbh_u32_e32 v2, v2
	v_min_u32_e32 v18, 32, v2
	v_subrev_nc_u32_e32 v2, 28, v18
	v_lshlrev_b64 v[2:3], v2, v[9:10]
	v_sub_nc_u32_e32 v3, 29, v18
	v_and_b32_e32 v2, 7, v2
; %bb.1535:                             ;   in Loop: Header=BB277_803 Depth=1
	s_or_b32 exec_lo, exec_lo, s21
	v_lshlrev_b32_e32 v18, 8, v9
	v_lshl_add_u32 v3, v3, 10, 0x2000
	v_lshlrev_b32_e32 v2, 7, v2
	v_and_b32_e32 v18, 0x8000, v18
	v_and_b32_e32 v3, 0xfc00, v3
	v_or3_b32 v40, v18, v3, v2
.LBB277_1536:                           ;   in Loop: Header=BB277_803 Depth=1
	s_or_b32 exec_lo, exec_lo, s20
.LBB277_1537:                           ;   in Loop: Header=BB277_803 Depth=1
	s_or_b32 exec_lo, exec_lo, s19
.LBB277_1538:                           ;   in Loop: Header=BB277_803 Depth=1
	s_or_b32 exec_lo, exec_lo, s18
	v_lshrrev_b16 v3, 8, v9
	s_mov_b32 s18, exec_lo
	v_cmpx_ne_u16_e32 0, v3
	s_cbranch_execz .LBB277_1546
; %bb.1539:                             ;   in Loop: Header=BB277_803 Depth=1
	v_bfrev_b32_e32 v119, 1
	s_mov_b32 s19, exec_lo
	v_cmpx_ne_u16_e32 0x80, v3
	s_cbranch_execz .LBB277_1545
; %bb.1540:                             ;   in Loop: Header=BB277_803 Depth=1
	v_and_b32_sdwa v41, v3, v48 dst_sel:DWORD dst_unused:UNUSED_PAD src0_sel:WORD_0 src1_sel:DWORD
	v_mov_b32_e32 v119, 0x7c010000
	s_mov_b32 s20, exec_lo
	v_cmpx_ne_u32_e32 0x7f, v41
	s_cbranch_execz .LBB277_1544
; %bb.1541:                             ;   in Loop: Header=BB277_803 Depth=1
	v_and_b32_sdwa v2, v3, v54 dst_sel:DWORD dst_unused:UNUSED_PAD src0_sel:WORD_0 src1_sel:DWORD
	v_lshrrev_b32_e32 v18, 3, v41
	s_mov_b32 s21, exec_lo
	v_cmpx_gt_u32_e32 8, v41
; %bb.1542:                             ;   in Loop: Header=BB277_803 Depth=1
	v_ffbh_u32_e32 v2, v2
	v_min_u32_e32 v2, 32, v2
	v_subrev_nc_u32_e32 v18, 28, v2
	v_lshlrev_b64 v[35:36], v18, v[3:4]
	v_sub_nc_u32_e32 v18, 29, v2
	v_and_b32_e32 v2, 7, v35
; %bb.1543:                             ;   in Loop: Header=BB277_803 Depth=1
	s_or_b32 exec_lo, exec_lo, s21
	v_lshlrev_b32_sdwa v3, v34, v3 dst_sel:DWORD dst_unused:UNUSED_PAD src0_sel:DWORD src1_sel:WORD_0
	v_lshl_add_u32 v18, v18, 10, 0x2000
	v_lshlrev_b32_e32 v2, 23, v2
	v_and_or_b32 v3, 0x8000, v3, v18
	v_lshl_or_b32 v119, v3, 16, v2
.LBB277_1544:                           ;   in Loop: Header=BB277_803 Depth=1
	s_or_b32 exec_lo, exec_lo, s20
.LBB277_1545:                           ;   in Loop: Header=BB277_803 Depth=1
	s_or_b32 exec_lo, exec_lo, s19
.LBB277_1546:                           ;   in Loop: Header=BB277_803 Depth=1
	s_or_b32 exec_lo, exec_lo, s18
	v_lshrrev_b32_e32 v3, 16, v9
	v_mov_b32_e32 v18, 0
	v_mov_b32_e32 v41, 0
	v_cmp_ne_u16_sdwa s4, v3, v4 src0_sel:BYTE_0 src1_sel:DWORD
	s_and_saveexec_b32 s18, s4
	s_cbranch_execz .LBB277_1554
; %bb.1547:                             ;   in Loop: Header=BB277_803 Depth=1
	v_cmp_ne_u16_sdwa s4, v3, v39 src0_sel:BYTE_0 src1_sel:DWORD
	v_mov_b32_e32 v41, 0x8000
	s_and_saveexec_b32 s19, s4
	s_cbranch_execz .LBB277_1553
; %bb.1548:                             ;   in Loop: Header=BB277_803 Depth=1
	v_bfe_u32 v42, v9, 16, 7
	v_mov_b32_e32 v41, 0x7c01
	s_mov_b32 s20, exec_lo
	v_cmpx_ne_u32_e32 0x7f, v42
	s_cbranch_execz .LBB277_1552
; %bb.1549:                             ;   in Loop: Header=BB277_803 Depth=1
	v_and_b32_e32 v2, 7, v3
	v_lshrrev_b32_e32 v41, 3, v42
	s_mov_b32 s21, exec_lo
	v_cmpx_gt_u32_e32 8, v42
; %bb.1550:                             ;   in Loop: Header=BB277_803 Depth=1
	v_ffbh_u32_e32 v2, v2
	v_min_u32_e32 v2, 32, v2
	v_subrev_nc_u32_e32 v35, 28, v2
	v_sub_nc_u32_e32 v41, 29, v2
	v_lshlrev_b64 v[35:36], v35, v[3:4]
	v_and_b32_e32 v2, 7, v35
; %bb.1551:                             ;   in Loop: Header=BB277_803 Depth=1
	s_or_b32 exec_lo, exec_lo, s21
	v_lshlrev_b32_e32 v3, 8, v3
	v_lshl_add_u32 v35, v41, 10, 0x2000
	v_lshlrev_b32_e32 v2, 7, v2
	v_and_b32_e32 v3, 0x8000, v3
	v_and_b32_e32 v35, 0xfc00, v35
	v_or3_b32 v41, v3, v35, v2
.LBB277_1552:                           ;   in Loop: Header=BB277_803 Depth=1
	s_or_b32 exec_lo, exec_lo, s20
.LBB277_1553:                           ;   in Loop: Header=BB277_803 Depth=1
	s_or_b32 exec_lo, exec_lo, s19
.LBB277_1554:                           ;   in Loop: Header=BB277_803 Depth=1
	s_or_b32 exec_lo, exec_lo, s18
	s_mov_b32 s18, exec_lo
	v_cmpx_lt_u32_e32 0xffffff, v9
	s_cbranch_execz .LBB277_1562
; %bb.1555:                             ;   in Loop: Header=BB277_803 Depth=1
	v_lshrrev_b32_e32 v3, 24, v9
	v_bfrev_b32_e32 v18, 1
	s_mov_b32 s19, exec_lo
	v_cmpx_ne_u32_e32 0x80, v3
	s_cbranch_execz .LBB277_1561
; %bb.1556:                             ;   in Loop: Header=BB277_803 Depth=1
	v_and_b32_e32 v42, 0x7f, v3
	v_mov_b32_e32 v18, 0x7c010000
	s_mov_b32 s20, exec_lo
	v_cmpx_ne_u32_e32 0x7f, v42
	s_cbranch_execz .LBB277_1560
; %bb.1557:                             ;   in Loop: Header=BB277_803 Depth=1
	v_and_b32_e32 v2, 7, v3
	v_lshrrev_b32_e32 v18, 3, v42
	s_mov_b32 s21, exec_lo
	v_cmpx_gt_u32_e32 8, v42
; %bb.1558:                             ;   in Loop: Header=BB277_803 Depth=1
	v_ffbh_u32_e32 v2, v2
	v_min_u32_e32 v2, 32, v2
	v_subrev_nc_u32_e32 v18, 28, v2
	v_lshlrev_b64 v[35:36], v18, v[3:4]
	v_sub_nc_u32_e32 v18, 29, v2
	v_and_b32_e32 v2, 7, v35
; %bb.1559:                             ;   in Loop: Header=BB277_803 Depth=1
	s_or_b32 exec_lo, exec_lo, s21
	v_lshlrev_b32_e32 v3, 8, v3
	v_lshl_add_u32 v18, v18, 10, 0x2000
	v_lshlrev_b32_e32 v2, 23, v2
	v_and_or_b32 v3, 0x8000, v3, v18
	v_lshl_or_b32 v18, v3, 16, v2
.LBB277_1560:                           ;   in Loop: Header=BB277_803 Depth=1
	s_or_b32 exec_lo, exec_lo, s20
.LBB277_1561:                           ;   in Loop: Header=BB277_803 Depth=1
	s_or_b32 exec_lo, exec_lo, s19
.LBB277_1562:                           ;   in Loop: Header=BB277_803 Depth=1
	s_or_b32 exec_lo, exec_lo, s18
	v_mov_b32_e32 v3, v10
	v_cmp_ne_u16_sdwa s4, v10, v4 src0_sel:BYTE_0 src1_sel:DWORD
	v_mov_b32_e32 v2, 0
	v_mov_b32_e32 v42, 0
	s_and_saveexec_b32 s18, s4
	s_cbranch_execz .LBB277_1570
; %bb.1563:                             ;   in Loop: Header=BB277_803 Depth=1
	v_cmp_ne_u16_sdwa s4, v10, v39 src0_sel:BYTE_0 src1_sel:DWORD
	v_mov_b32_e32 v42, 0x8000
	s_and_saveexec_b32 s19, s4
	s_cbranch_execz .LBB277_1569
; %bb.1564:                             ;   in Loop: Header=BB277_803 Depth=1
	v_and_b32_e32 v44, 0x7f, v10
	v_mov_b32_e32 v42, 0x7c01
	s_mov_b32 s20, exec_lo
	v_cmpx_ne_u32_e32 0x7f, v44
	s_cbranch_execz .LBB277_1568
; %bb.1565:                             ;   in Loop: Header=BB277_803 Depth=1
	v_and_b32_e32 v42, 7, v10
	v_lshrrev_b32_e32 v43, 3, v44
	s_mov_b32 s21, exec_lo
	v_cmpx_gt_u32_e32 8, v44
; %bb.1566:                             ;   in Loop: Header=BB277_803 Depth=1
	v_ffbh_u32_e32 v35, v42
	v_min_u32_e32 v37, 32, v35
	v_subrev_nc_u32_e32 v35, 28, v37
	v_sub_nc_u32_e32 v43, 29, v37
	v_lshlrev_b64 v[35:36], v35, v[3:4]
	v_and_b32_e32 v42, 7, v35
; %bb.1567:                             ;   in Loop: Header=BB277_803 Depth=1
	s_or_b32 exec_lo, exec_lo, s21
	v_lshlrev_b32_e32 v35, 8, v10
	v_lshl_add_u32 v36, v43, 10, 0x2000
	v_lshlrev_b32_e32 v37, 7, v42
	v_and_b32_e32 v35, 0x8000, v35
	v_and_b32_e32 v36, 0xfc00, v36
	v_or3_b32 v42, v35, v36, v37
.LBB277_1568:                           ;   in Loop: Header=BB277_803 Depth=1
	s_or_b32 exec_lo, exec_lo, s20
.LBB277_1569:                           ;   in Loop: Header=BB277_803 Depth=1
	s_or_b32 exec_lo, exec_lo, s19
.LBB277_1570:                           ;   in Loop: Header=BB277_803 Depth=1
	s_or_b32 exec_lo, exec_lo, s18
	v_lshrrev_b16 v3, 8, v3
	v_mov_b32_e32 v43, 0
	s_mov_b32 s18, exec_lo
	v_cmpx_ne_u16_e32 0, v3
	s_cbranch_execz .LBB277_1578
; %bb.1571:                             ;   in Loop: Header=BB277_803 Depth=1
	v_bfrev_b32_e32 v43, 1
	s_mov_b32 s19, exec_lo
	v_cmpx_ne_u16_e32 0x80, v3
	s_cbranch_execz .LBB277_1577
; %bb.1572:                             ;   in Loop: Header=BB277_803 Depth=1
	v_and_b32_sdwa v45, v3, v48 dst_sel:DWORD dst_unused:UNUSED_PAD src0_sel:WORD_0 src1_sel:DWORD
	v_mov_b32_e32 v43, 0x7c010000
	s_mov_b32 s20, exec_lo
	v_cmpx_ne_u32_e32 0x7f, v45
	s_cbranch_execz .LBB277_1576
; %bb.1573:                             ;   in Loop: Header=BB277_803 Depth=1
	v_and_b32_sdwa v43, v3, v54 dst_sel:DWORD dst_unused:UNUSED_PAD src0_sel:WORD_0 src1_sel:DWORD
	v_lshrrev_b32_e32 v44, 3, v45
	s_mov_b32 s21, exec_lo
	v_cmpx_gt_u32_e32 8, v45
; %bb.1574:                             ;   in Loop: Header=BB277_803 Depth=1
	v_ffbh_u32_e32 v35, v43
	v_min_u32_e32 v37, 32, v35
	v_subrev_nc_u32_e32 v35, 28, v37
	v_sub_nc_u32_e32 v44, 29, v37
	v_lshlrev_b64 v[35:36], v35, v[3:4]
	v_and_b32_e32 v43, 7, v35
; %bb.1575:                             ;   in Loop: Header=BB277_803 Depth=1
	s_or_b32 exec_lo, exec_lo, s21
	v_lshlrev_b32_sdwa v3, v34, v3 dst_sel:DWORD dst_unused:UNUSED_PAD src0_sel:DWORD src1_sel:WORD_0
	v_lshl_add_u32 v35, v44, 10, 0x2000
	v_and_or_b32 v3, 0x8000, v3, v35
	v_lshlrev_b32_e32 v35, 23, v43
	v_lshl_or_b32 v43, v3, 16, v35
.LBB277_1576:                           ;   in Loop: Header=BB277_803 Depth=1
	s_or_b32 exec_lo, exec_lo, s20
.LBB277_1577:                           ;   in Loop: Header=BB277_803 Depth=1
	s_or_b32 exec_lo, exec_lo, s19
.LBB277_1578:                           ;   in Loop: Header=BB277_803 Depth=1
	s_or_b32 exec_lo, exec_lo, s18
	v_lshrrev_b32_e32 v3, 16, v10
	v_cmp_ne_u16_sdwa s4, v3, v4 src0_sel:BYTE_0 src1_sel:DWORD
	s_and_saveexec_b32 s18, s4
	s_cbranch_execz .LBB277_1586
; %bb.1579:                             ;   in Loop: Header=BB277_803 Depth=1
	v_cmp_ne_u16_sdwa s4, v3, v39 src0_sel:BYTE_0 src1_sel:DWORD
	v_mov_b32_e32 v2, 0x8000
	s_and_saveexec_b32 s19, s4
	s_cbranch_execz .LBB277_1585
; %bb.1580:                             ;   in Loop: Header=BB277_803 Depth=1
	v_bfe_u32 v45, v10, 16, 7
	v_mov_b32_e32 v2, 0x7c01
	s_mov_b32 s20, exec_lo
	v_cmpx_ne_u32_e32 0x7f, v45
	s_cbranch_execz .LBB277_1584
; %bb.1581:                             ;   in Loop: Header=BB277_803 Depth=1
	v_and_b32_e32 v2, 7, v3
	v_lshrrev_b32_e32 v44, 3, v45
	s_mov_b32 s21, exec_lo
	v_cmpx_gt_u32_e32 8, v45
; %bb.1582:                             ;   in Loop: Header=BB277_803 Depth=1
	v_ffbh_u32_e32 v2, v2
	v_min_u32_e32 v2, 32, v2
	v_subrev_nc_u32_e32 v35, 28, v2
	v_sub_nc_u32_e32 v44, 29, v2
	v_lshlrev_b64 v[35:36], v35, v[3:4]
	v_and_b32_e32 v2, 7, v35
; %bb.1583:                             ;   in Loop: Header=BB277_803 Depth=1
	s_or_b32 exec_lo, exec_lo, s21
	v_lshlrev_b32_e32 v3, 8, v3
	v_lshl_add_u32 v35, v44, 10, 0x2000
	v_lshlrev_b32_e32 v2, 7, v2
	v_and_b32_e32 v3, 0x8000, v3
	v_and_b32_e32 v35, 0xfc00, v35
	v_or3_b32 v2, v3, v35, v2
.LBB277_1584:                           ;   in Loop: Header=BB277_803 Depth=1
	s_or_b32 exec_lo, exec_lo, s20
.LBB277_1585:                           ;   in Loop: Header=BB277_803 Depth=1
	s_or_b32 exec_lo, exec_lo, s19
.LBB277_1586:                           ;   in Loop: Header=BB277_803 Depth=1
	s_or_b32 exec_lo, exec_lo, s18
	v_cmp_lt_u64_e64 s4, s[6:7], v[9:10]
	v_mov_b32_e32 v9, 0
	s_and_saveexec_b32 s18, s4
	s_cbranch_execz .LBB277_1594
; %bb.1587:                             ;   in Loop: Header=BB277_803 Depth=1
	v_lshrrev_b32_e32 v3, 24, v10
	v_bfrev_b32_e32 v9, 1
	s_mov_b32 s19, exec_lo
	v_cmpx_ne_u32_e32 0x80, v3
	s_cbranch_execz .LBB277_1593
; %bb.1588:                             ;   in Loop: Header=BB277_803 Depth=1
	v_and_b32_e32 v44, 0x7f, v3
	v_mov_b32_e32 v9, 0x7c010000
	s_mov_b32 s20, exec_lo
	v_cmpx_ne_u32_e32 0x7f, v44
	s_cbranch_execz .LBB277_1592
; %bb.1589:                             ;   in Loop: Header=BB277_803 Depth=1
	v_and_b32_e32 v9, 7, v3
	v_lshrrev_b32_e32 v10, 3, v44
	s_mov_b32 s21, exec_lo
	v_cmpx_gt_u32_e32 8, v44
; %bb.1590:                             ;   in Loop: Header=BB277_803 Depth=1
	v_ffbh_u32_e32 v9, v9
	v_min_u32_e32 v35, 32, v9
	v_subrev_nc_u32_e32 v9, 28, v35
	v_lshlrev_b64 v[9:10], v9, v[3:4]
	v_sub_nc_u32_e32 v10, 29, v35
	v_and_b32_e32 v9, 7, v9
; %bb.1591:                             ;   in Loop: Header=BB277_803 Depth=1
	s_or_b32 exec_lo, exec_lo, s21
	v_lshlrev_b32_e32 v3, 8, v3
	v_lshl_add_u32 v10, v10, 10, 0x2000
	v_lshlrev_b32_e32 v9, 23, v9
	v_and_or_b32 v3, 0x8000, v3, v10
	v_lshl_or_b32 v9, v3, 16, v9
.LBB277_1592:                           ;   in Loop: Header=BB277_803 Depth=1
	s_or_b32 exec_lo, exec_lo, s20
.LBB277_1593:                           ;   in Loop: Header=BB277_803 Depth=1
	s_or_b32 exec_lo, exec_lo, s19
.LBB277_1594:                           ;   in Loop: Header=BB277_803 Depth=1
	s_or_b32 exec_lo, exec_lo, s18
	v_or_b32_e32 v3, v18, v41
	s_waitcnt vmcnt(0) lgkmcnt(0)
	v_fma_mixlo_f16 v10, v118, v18, 0 op_sel:[0,1,0] op_sel_hi:[0,1,0]
	v_or_b32_e32 v35, v119, v40
	v_or_b32_e32 v37, v43, v42
	;; [unrolled: 1-line block ×3, first 2 shown]
	v_fma_mixlo_f16 v3, v118, v3, 0 op_sel_hi:[0,1,0]
	v_fma_mixlo_f16 v36, v118, v119, 0 op_sel:[0,1,0] op_sel_hi:[0,1,0]
	v_lshlrev_b32_e32 v18, 16, v10
	v_fma_mixlo_f16 v10, v118, v35, 0 op_sel_hi:[0,1,0]
	v_fma_mixlo_f16 v35, v118, v37, 0 op_sel_hi:[0,1,0]
	v_and_b32_e32 v119, 0xffff, v3
	v_fma_mixlo_f16 v3, v118, v43, 0 op_sel:[0,1,0] op_sel_hi:[0,1,0]
	v_fma_mixlo_f16 v9, v118, v9, 0 op_sel:[0,1,0] op_sel_hi:[0,1,0]
	v_fma_mixlo_f16 v2, v118, v2, 0 op_sel_hi:[0,1,0]
	v_lshlrev_b32_e32 v42, 16, v36
	v_and_b32_e32 v44, 0xffff, v10
	v_lshlrev_b32_e32 v40, 16, v3
	v_and_b32_e32 v43, 0xffff, v35
	;; [unrolled: 2-line block ×3, first 2 shown]
	v_or_b32_e32 v9, v18, v119
	v_or_b32_e32 v10, v42, v44
	;; [unrolled: 1-line block ×4, first 2 shown]
	s_and_saveexec_b32 s4, vcc_lo
	s_cbranch_execz .LBB277_801
; %bb.1595:                             ;   in Loop: Header=BB277_803 Depth=1
	v_cmp_lt_i32_e32 vcc_lo, v67, v30
	v_cndmask_b32_e32 v2, 0, v44, vcc_lo
	v_cmp_lt_i32_e32 vcc_lo, v96, v30
	v_cndmask_b32_e32 v3, 0, v42, vcc_lo
	v_cmp_lt_i32_e32 vcc_lo, v87, v30
	v_or_b32_e32 v10, v2, v3
	v_cndmask_b32_e32 v9, 0, v119, vcc_lo
	v_cmp_lt_i32_e32 vcc_lo, v86, v30
	v_cndmask_b32_e32 v18, 0, v18, vcc_lo
	v_cmp_lt_i32_e32 vcc_lo, v84, v30
	v_or_b32_e32 v9, v9, v18
	;; [unrolled: 5-line block ×3, first 2 shown]
	v_cndmask_b32_e32 v37, 0, v41, vcc_lo
	v_cmp_lt_i32_e32 vcc_lo, v71, v30
	v_cndmask_b32_e32 v67, 0, v118, vcc_lo
	v_or_b32_e32 v2, v37, v67
	s_branch .LBB277_801
.LBB277_1596:
	s_or_b32 exec_lo, exec_lo, s13
	v_mov_b32_e32 v29, v46
	v_mov_b32_e32 v68, v47
.LBB277_1597:
	s_or_b32 exec_lo, exec_lo, s5
	ds_bpermute_b32 v0, v15, v52
	ds_bpermute_b32 v5, v15, v28
	;; [unrolled: 1-line block ×4, first 2 shown]
	s_waitcnt lgkmcnt(0)
	s_barrier
	buffer_gl0_inv
	ds_bpermute_b32 v1, v15, v53
	ds_bpermute_b32 v4, v15, v49
	;; [unrolled: 1-line block ×8, first 2 shown]
	s_load_dword s4, s[8:9], 0x0
	s_mov_b32 s5, exec_lo
	v_add_f32_e32 v0, v52, v0
	v_add_f32_e32 v5, v28, v5
	;; [unrolled: 1-line block ×4, first 2 shown]
	ds_bpermute_b32 v6, v14, v0
	ds_bpermute_b32 v22, v14, v5
	;; [unrolled: 1-line block ×3, first 2 shown]
	s_waitcnt lgkmcnt(0)
	v_add_f32_e32 v1, v53, v1
	v_add_f32_e32 v4, v49, v4
	;; [unrolled: 1-line block ×8, first 2 shown]
	ds_bpermute_b32 v7, v14, v1
	ds_bpermute_b32 v21, v14, v4
	;; [unrolled: 1-line block ×9, first 2 shown]
	v_add_f32_e32 v11, v0, v6
	v_add_f32_e32 v6, v5, v22
	;; [unrolled: 1-line block ×3, first 2 shown]
	buffer_load_dword v12, off, s[0:3], s32 offset:220 ; 4-byte Folded Reload
	s_waitcnt lgkmcnt(8)
	v_add_f32_e32 v10, v1, v7
	s_waitcnt lgkmcnt(7)
	v_add_f32_e32 v7, v4, v21
	;; [unrolled: 2-line block ×8, first 2 shown]
	v_and_b32_e32 v15, 0x3c3, v29
	s_waitcnt lgkmcnt(0)
	v_add_f32_e32 v2, v17, v14
	v_mul_u32_u24_e32 v14, 0x180, v68
	s_waitcnt vmcnt(0)
	v_and_b32_e32 v13, 28, v12
	v_lshrrev_b32_e32 v12, 2, v12
	v_add_nc_u32_e32 v13, s4, v13
	v_cmpx_eq_u32_e32 64, v15
	s_cbranch_execz .LBB277_1599
; %bb.1598:
	v_add_nc_u32_e32 v15, v13, v14
	v_add_nc_u32_e32 v17, 0xfffffd00, v15
	;; [unrolled: 1-line block ×8, first 2 shown]
	ds_write_b32 v17, v11
	ds_write_b32 v18, v10
	;; [unrolled: 1-line block ×7, first 2 shown]
	v_add_nc_u32_e32 v17, 0xfffffde0, v15
	v_add_nc_u32_e32 v18, 0xfffffe00, v15
	;; [unrolled: 1-line block ×5, first 2 shown]
	ds_write_b32 v17, v4
	ds_write_b32 v18, v3
	;; [unrolled: 1-line block ×5, first 2 shown]
.LBB277_1599:
	s_or_b32 exec_lo, exec_lo, s5
	v_lshlrev_b32_e32 v12, 2, v12
	s_mov_b32 s5, exec_lo
	v_cmp_eq_u32_e32 vcc_lo, 0, v16
	s_waitcnt lgkmcnt(0)
	s_barrier
	v_add3_u32 v12, s4, v14, v12
	buffer_gl0_inv
	v_cmpx_gt_u32_e32 64, v29
	s_cbranch_execz .LBB277_1614
; %bb.1600:
	s_and_saveexec_b32 s4, vcc_lo
	s_cbranch_execnz .LBB277_1634
; %bb.1601:
	s_or_b32 exec_lo, exec_lo, s4
	s_and_saveexec_b32 s4, vcc_lo
	s_cbranch_execnz .LBB277_1635
.LBB277_1602:
	s_or_b32 exec_lo, exec_lo, s4
	s_and_saveexec_b32 s4, vcc_lo
	s_cbranch_execnz .LBB277_1636
.LBB277_1603:
	s_or_b32 exec_lo, exec_lo, s4
	s_and_saveexec_b32 s4, vcc_lo
	s_cbranch_execnz .LBB277_1637
.LBB277_1604:
	s_or_b32 exec_lo, exec_lo, s4
	s_and_saveexec_b32 s4, vcc_lo
	s_cbranch_execnz .LBB277_1638
.LBB277_1605:
	s_or_b32 exec_lo, exec_lo, s4
	s_and_saveexec_b32 s4, vcc_lo
	s_cbranch_execnz .LBB277_1639
.LBB277_1606:
	s_or_b32 exec_lo, exec_lo, s4
	s_and_saveexec_b32 s4, vcc_lo
	s_cbranch_execnz .LBB277_1640
.LBB277_1607:
	s_or_b32 exec_lo, exec_lo, s4
	s_and_saveexec_b32 s4, vcc_lo
	s_cbranch_execnz .LBB277_1641
.LBB277_1608:
	s_or_b32 exec_lo, exec_lo, s4
	s_and_saveexec_b32 s4, vcc_lo
	s_cbranch_execnz .LBB277_1642
.LBB277_1609:
	s_or_b32 exec_lo, exec_lo, s4
	s_and_saveexec_b32 s4, vcc_lo
	s_cbranch_execnz .LBB277_1643
.LBB277_1610:
	s_or_b32 exec_lo, exec_lo, s4
	s_and_saveexec_b32 s4, vcc_lo
	s_cbranch_execnz .LBB277_1644
.LBB277_1611:
	s_or_b32 exec_lo, exec_lo, s4
	s_and_saveexec_b32 s4, vcc_lo
	s_cbranch_execz .LBB277_1613
.LBB277_1612:
	ds_read_b32 v14, v12 offset:352
	s_waitcnt lgkmcnt(0)
	v_add_f32_e32 v2, v14, v2
.LBB277_1613:
	s_or_b32 exec_lo, exec_lo, s4
.LBB277_1614:
	s_or_b32 exec_lo, exec_lo, s5
	v_and_b32_e32 v14, 0x3e3, v29
	s_mov_b32 s5, exec_lo
	s_barrier
	buffer_gl0_inv
	v_cmpx_eq_u32_e32 32, v14
	s_cbranch_execz .LBB277_1616
; %bb.1615:
	ds_write2_b32 v13, v11, v10 offset1:8
	ds_write2_b32 v13, v9, v8 offset0:16 offset1:24
	ds_write2_b32 v13, v7, v6 offset0:32 offset1:40
	;; [unrolled: 1-line block ×5, first 2 shown]
.LBB277_1616:
	s_or_b32 exec_lo, exec_lo, s5
	s_mov_b32 s5, exec_lo
	s_waitcnt lgkmcnt(0)
	s_barrier
	buffer_gl0_inv
	v_cmpx_gt_u32_e32 32, v29
	s_cbranch_execz .LBB277_1631
; %bb.1617:
	s_and_saveexec_b32 s4, vcc_lo
	s_cbranch_execnz .LBB277_1645
; %bb.1618:
	s_or_b32 exec_lo, exec_lo, s4
	s_and_saveexec_b32 s4, vcc_lo
	s_cbranch_execnz .LBB277_1646
.LBB277_1619:
	s_or_b32 exec_lo, exec_lo, s4
	s_and_saveexec_b32 s4, vcc_lo
	s_cbranch_execnz .LBB277_1647
.LBB277_1620:
	s_or_b32 exec_lo, exec_lo, s4
	s_and_saveexec_b32 s4, vcc_lo
	s_cbranch_execnz .LBB277_1648
.LBB277_1621:
	s_or_b32 exec_lo, exec_lo, s4
	s_and_saveexec_b32 s4, vcc_lo
	s_cbranch_execnz .LBB277_1649
.LBB277_1622:
	s_or_b32 exec_lo, exec_lo, s4
	s_and_saveexec_b32 s4, vcc_lo
	s_cbranch_execnz .LBB277_1650
.LBB277_1623:
	s_or_b32 exec_lo, exec_lo, s4
	s_and_saveexec_b32 s4, vcc_lo
	s_cbranch_execnz .LBB277_1651
.LBB277_1624:
	s_or_b32 exec_lo, exec_lo, s4
	s_and_saveexec_b32 s4, vcc_lo
	s_cbranch_execnz .LBB277_1652
.LBB277_1625:
	s_or_b32 exec_lo, exec_lo, s4
	s_and_saveexec_b32 s4, vcc_lo
	s_cbranch_execnz .LBB277_1653
.LBB277_1626:
	s_or_b32 exec_lo, exec_lo, s4
	s_and_saveexec_b32 s4, vcc_lo
	s_cbranch_execnz .LBB277_1654
.LBB277_1627:
	s_or_b32 exec_lo, exec_lo, s4
	s_and_saveexec_b32 s4, vcc_lo
	s_cbranch_execnz .LBB277_1655
.LBB277_1628:
	s_or_b32 exec_lo, exec_lo, s4
	s_and_saveexec_b32 s4, vcc_lo
	s_cbranch_execz .LBB277_1630
.LBB277_1629:
	ds_read_b32 v12, v12 offset:352
	s_waitcnt lgkmcnt(0)
	v_add_f32_e32 v2, v12, v2
.LBB277_1630:
	s_or_b32 exec_lo, exec_lo, s4
.LBB277_1631:
	s_or_b32 exec_lo, exec_lo, s5
	s_mov_b32 s4, exec_lo
	s_barrier
	buffer_gl0_inv
	v_cmpx_eq_u32_e32 0, v14
	s_cbranch_execz .LBB277_1633
; %bb.1632:
	s_clause 0x1
	buffer_load_dword v13, off, s[0:3], s32 offset:272
	buffer_load_dword v14, off, s[0:3], s32 offset:268
	s_and_b32 s5, 0xffff, s12
	s_mul_i32 s6, s14, 0x60
	s_cmp_lg_u32 s5, 0
	v_lshrrev_b32_e32 v12, 1, v29
	s_cselect_b32 s5, -1, 0
	;;#ASMSTART
	v_cvt_f16_f32 v11, v11;

	;;#ASMEND
	s_cmp_lg_u32 s5, 0
	s_addc_u32 s5, s15, 0
	s_mul_i32 s7, s5, s10
	s_mul_i32 s10, s16, s5
	;; [unrolled: 1-line block ×3, first 2 shown]
	s_ashr_i32 s11, s10, 31
	s_mulk_i32 s8, 0x60
	s_ashr_i32 s7, s6, 31
	s_ashr_i32 s9, s8, 31
	s_lshl_b64 s[6:7], s[6:7], 1
	s_lshl_b64 s[8:9], s[8:9], 1
	s_waitcnt vmcnt(1)
	v_add_co_u32 v13, vcc_lo, v13, s8
	s_waitcnt vmcnt(0)
	v_add_co_ci_u32_e64 v14, null, s9, v14, vcc_lo
	s_lshl_b64 s[8:9], s[10:11], 1
	v_add_co_u32 v13, vcc_lo, v13, s8
	v_add_co_ci_u32_e64 v14, null, s9, v14, vcc_lo
	v_add_co_u32 v13, vcc_lo, v13, s6
	v_add_co_ci_u32_e64 v14, null, s7, v14, vcc_lo
	;; [unrolled: 2-line block ×3, first 2 shown]
	flat_store_short v[12:13], v11
	;;#ASMSTART
	v_cvt_f16_f32 v10, v10;

	;;#ASMEND
	flat_store_short v[12:13], v10 offset:16
	;;#ASMSTART
	v_cvt_f16_f32 v9, v9;

	;;#ASMEND
	flat_store_short v[12:13], v9 offset:32
	;; [unrolled: 5-line block ×11, first 2 shown]
.LBB277_1633:
	s_or_b32 exec_lo, exec_lo, s4
	s_clause 0x2f
	buffer_load_dword v127, off, s[0:3], s32
	buffer_load_dword v126, off, s[0:3], s32 offset:4
	buffer_load_dword v125, off, s[0:3], s32 offset:8
	;; [unrolled: 1-line block ×47, first 2 shown]
	s_waitcnt vmcnt(0) lgkmcnt(0)
	s_setpc_b64 s[30:31]
.LBB277_1634:
	ds_read_b32 v14, v12
	s_waitcnt lgkmcnt(0)
	v_add_f32_e32 v11, v14, v11
	s_or_b32 exec_lo, exec_lo, s4
	s_and_saveexec_b32 s4, vcc_lo
	s_cbranch_execz .LBB277_1602
.LBB277_1635:
	ds_read_b32 v14, v12 offset:32
	s_waitcnt lgkmcnt(0)
	v_add_f32_e32 v10, v14, v10
	s_or_b32 exec_lo, exec_lo, s4
	s_and_saveexec_b32 s4, vcc_lo
	s_cbranch_execz .LBB277_1603
.LBB277_1636:
	ds_read_b32 v14, v12 offset:64
	s_waitcnt lgkmcnt(0)
	v_add_f32_e32 v9, v14, v9
	s_or_b32 exec_lo, exec_lo, s4
	s_and_saveexec_b32 s4, vcc_lo
	s_cbranch_execz .LBB277_1604
.LBB277_1637:
	ds_read_b32 v14, v12 offset:96
	s_waitcnt lgkmcnt(0)
	v_add_f32_e32 v8, v14, v8
	s_or_b32 exec_lo, exec_lo, s4
	s_and_saveexec_b32 s4, vcc_lo
	s_cbranch_execz .LBB277_1605
.LBB277_1638:
	ds_read_b32 v14, v12 offset:128
	s_waitcnt lgkmcnt(0)
	v_add_f32_e32 v7, v14, v7
	s_or_b32 exec_lo, exec_lo, s4
	s_and_saveexec_b32 s4, vcc_lo
	s_cbranch_execz .LBB277_1606
.LBB277_1639:
	ds_read_b32 v14, v12 offset:160
	s_waitcnt lgkmcnt(0)
	v_add_f32_e32 v6, v14, v6
	s_or_b32 exec_lo, exec_lo, s4
	s_and_saveexec_b32 s4, vcc_lo
	s_cbranch_execz .LBB277_1607
.LBB277_1640:
	ds_read_b32 v14, v12 offset:192
	s_waitcnt lgkmcnt(0)
	v_add_f32_e32 v5, v14, v5
	s_or_b32 exec_lo, exec_lo, s4
	s_and_saveexec_b32 s4, vcc_lo
	s_cbranch_execz .LBB277_1608
.LBB277_1641:
	ds_read_b32 v14, v12 offset:224
	s_waitcnt lgkmcnt(0)
	v_add_f32_e32 v4, v14, v4
	s_or_b32 exec_lo, exec_lo, s4
	s_and_saveexec_b32 s4, vcc_lo
	s_cbranch_execz .LBB277_1609
.LBB277_1642:
	ds_read_b32 v14, v12 offset:256
	s_waitcnt lgkmcnt(0)
	v_add_f32_e32 v3, v14, v3
	s_or_b32 exec_lo, exec_lo, s4
	s_and_saveexec_b32 s4, vcc_lo
	s_cbranch_execz .LBB277_1610
.LBB277_1643:
	ds_read_b32 v14, v12 offset:288
	s_waitcnt lgkmcnt(0)
	v_add_f32_e32 v1, v14, v1
	s_or_b32 exec_lo, exec_lo, s4
	s_and_saveexec_b32 s4, vcc_lo
	s_cbranch_execz .LBB277_1611
.LBB277_1644:
	ds_read_b32 v14, v12 offset:320
	s_waitcnt lgkmcnt(0)
	v_add_f32_e32 v0, v14, v0
	s_or_b32 exec_lo, exec_lo, s4
	s_and_saveexec_b32 s4, vcc_lo
	s_cbranch_execnz .LBB277_1612
	s_branch .LBB277_1613
.LBB277_1645:
	ds_read_b32 v13, v12
	s_waitcnt lgkmcnt(0)
	v_add_f32_e32 v11, v13, v11
	s_or_b32 exec_lo, exec_lo, s4
	s_and_saveexec_b32 s4, vcc_lo
	s_cbranch_execz .LBB277_1619
.LBB277_1646:
	ds_read_b32 v13, v12 offset:32
	s_waitcnt lgkmcnt(0)
	v_add_f32_e32 v10, v13, v10
	s_or_b32 exec_lo, exec_lo, s4
	s_and_saveexec_b32 s4, vcc_lo
	s_cbranch_execz .LBB277_1620
.LBB277_1647:
	ds_read_b32 v13, v12 offset:64
	s_waitcnt lgkmcnt(0)
	v_add_f32_e32 v9, v13, v9
	s_or_b32 exec_lo, exec_lo, s4
	s_and_saveexec_b32 s4, vcc_lo
	s_cbranch_execz .LBB277_1621
.LBB277_1648:
	ds_read_b32 v13, v12 offset:96
	s_waitcnt lgkmcnt(0)
	v_add_f32_e32 v8, v13, v8
	s_or_b32 exec_lo, exec_lo, s4
	s_and_saveexec_b32 s4, vcc_lo
	s_cbranch_execz .LBB277_1622
.LBB277_1649:
	ds_read_b32 v13, v12 offset:128
	s_waitcnt lgkmcnt(0)
	v_add_f32_e32 v7, v13, v7
	s_or_b32 exec_lo, exec_lo, s4
	s_and_saveexec_b32 s4, vcc_lo
	s_cbranch_execz .LBB277_1623
.LBB277_1650:
	ds_read_b32 v13, v12 offset:160
	s_waitcnt lgkmcnt(0)
	v_add_f32_e32 v6, v13, v6
	s_or_b32 exec_lo, exec_lo, s4
	s_and_saveexec_b32 s4, vcc_lo
	s_cbranch_execz .LBB277_1624
.LBB277_1651:
	ds_read_b32 v13, v12 offset:192
	s_waitcnt lgkmcnt(0)
	v_add_f32_e32 v5, v13, v5
	s_or_b32 exec_lo, exec_lo, s4
	s_and_saveexec_b32 s4, vcc_lo
	s_cbranch_execz .LBB277_1625
.LBB277_1652:
	ds_read_b32 v13, v12 offset:224
	s_waitcnt lgkmcnt(0)
	v_add_f32_e32 v4, v13, v4
	s_or_b32 exec_lo, exec_lo, s4
	s_and_saveexec_b32 s4, vcc_lo
	s_cbranch_execz .LBB277_1626
.LBB277_1653:
	ds_read_b32 v13, v12 offset:256
	s_waitcnt lgkmcnt(0)
	v_add_f32_e32 v3, v13, v3
	s_or_b32 exec_lo, exec_lo, s4
	s_and_saveexec_b32 s4, vcc_lo
	s_cbranch_execz .LBB277_1627
.LBB277_1654:
	ds_read_b32 v13, v12 offset:288
	s_waitcnt lgkmcnt(0)
	v_add_f32_e32 v1, v13, v1
	s_or_b32 exec_lo, exec_lo, s4
	s_and_saveexec_b32 s4, vcc_lo
	s_cbranch_execz .LBB277_1628
.LBB277_1655:
	ds_read_b32 v13, v12 offset:320
	s_waitcnt lgkmcnt(0)
	v_add_f32_e32 v0, v13, v0
	s_or_b32 exec_lo, exec_lo, s4
	s_and_saveexec_b32 s4, vcc_lo
	s_cbranch_execnz .LBB277_1629
	s_branch .LBB277_1630
.Lfunc_end277:
	.size	_ZN4vllm22paged_attention_kernelIthLi96ELi32ELi128ELNS_18Fp8KVCacheDataTypeE1ELb1ELi0EEEvPfS2_PT_PKS3_PKT0_S9_ifPKiSB_iPKfiiiSD_SD_iiiii, .Lfunc_end277-_ZN4vllm22paged_attention_kernelIthLi96ELi32ELi128ELNS_18Fp8KVCacheDataTypeE1ELb1ELi0EEEvPfS2_PT_PKS3_PKT0_S9_ifPKiSB_iPKfiiiSD_SD_iiiii
                                        ; -- End function
	.set .L_ZN4vllm22paged_attention_kernelIthLi96ELi32ELi128ELNS_18Fp8KVCacheDataTypeE1ELb1ELi0EEEvPfS2_PT_PKS3_PKT0_S9_ifPKiSB_iPKfiiiSD_SD_iiiii.num_vgpr, 128
	.set .L_ZN4vllm22paged_attention_kernelIthLi96ELi32ELi128ELNS_18Fp8KVCacheDataTypeE1ELb1ELi0EEEvPfS2_PT_PKS3_PKT0_S9_ifPKiSB_iPKfiiiSD_SD_iiiii.num_agpr, 0
	.set .L_ZN4vllm22paged_attention_kernelIthLi96ELi32ELi128ELNS_18Fp8KVCacheDataTypeE1ELb1ELi0EEEvPfS2_PT_PKS3_PKT0_S9_ifPKiSB_iPKfiiiSD_SD_iiiii.numbered_sgpr, 33
	.set .L_ZN4vllm22paged_attention_kernelIthLi96ELi32ELi128ELNS_18Fp8KVCacheDataTypeE1ELb1ELi0EEEvPfS2_PT_PKS3_PKT0_S9_ifPKiSB_iPKfiiiSD_SD_iiiii.num_named_barrier, 0
	.set .L_ZN4vllm22paged_attention_kernelIthLi96ELi32ELi128ELNS_18Fp8KVCacheDataTypeE1ELb1ELi0EEEvPfS2_PT_PKS3_PKT0_S9_ifPKiSB_iPKfiiiSD_SD_iiiii.private_seg_size, 320
	.set .L_ZN4vllm22paged_attention_kernelIthLi96ELi32ELi128ELNS_18Fp8KVCacheDataTypeE1ELb1ELi0EEEvPfS2_PT_PKS3_PKT0_S9_ifPKiSB_iPKfiiiSD_SD_iiiii.uses_vcc, 1
	.set .L_ZN4vllm22paged_attention_kernelIthLi96ELi32ELi128ELNS_18Fp8KVCacheDataTypeE1ELb1ELi0EEEvPfS2_PT_PKS3_PKT0_S9_ifPKiSB_iPKfiiiSD_SD_iiiii.uses_flat_scratch, 0
	.set .L_ZN4vllm22paged_attention_kernelIthLi96ELi32ELi128ELNS_18Fp8KVCacheDataTypeE1ELb1ELi0EEEvPfS2_PT_PKS3_PKT0_S9_ifPKiSB_iPKfiiiSD_SD_iiiii.has_dyn_sized_stack, 0
	.set .L_ZN4vllm22paged_attention_kernelIthLi96ELi32ELi128ELNS_18Fp8KVCacheDataTypeE1ELb1ELi0EEEvPfS2_PT_PKS3_PKT0_S9_ifPKiSB_iPKfiiiSD_SD_iiiii.has_recursion, 0
	.set .L_ZN4vllm22paged_attention_kernelIthLi96ELi32ELi128ELNS_18Fp8KVCacheDataTypeE1ELb1ELi0EEEvPfS2_PT_PKS3_PKT0_S9_ifPKiSB_iPKfiiiSD_SD_iiiii.has_indirect_call, 0
	.section	.AMDGPU.csdata,"",@progbits
; Function info:
; codeLenInByte = 55408
; TotalNumSgprs: 35
; NumVgprs: 128
; ScratchSize: 320
; MemoryBound: 0
	.section	.text._ZN4vllm25paged_attention_v1_kernelIthLi96ELi32ELi128ELNS_18Fp8KVCacheDataTypeE1ELb1EEEvPT_PKS2_PKT0_S8_ifPKiSA_iPKfiiiSC_SC_iiiii,"axG",@progbits,_ZN4vllm25paged_attention_v1_kernelIthLi96ELi32ELi128ELNS_18Fp8KVCacheDataTypeE1ELb1EEEvPT_PKS2_PKT0_S8_ifPKiSA_iPKfiiiSC_SC_iiiii,comdat
	.protected	_ZN4vllm25paged_attention_v1_kernelIthLi96ELi32ELi128ELNS_18Fp8KVCacheDataTypeE1ELb1EEEvPT_PKS2_PKT0_S8_ifPKiSA_iPKfiiiSC_SC_iiiii ; -- Begin function _ZN4vllm25paged_attention_v1_kernelIthLi96ELi32ELi128ELNS_18Fp8KVCacheDataTypeE1ELb1EEEvPT_PKS2_PKT0_S8_ifPKiSA_iPKfiiiSC_SC_iiiii
	.globl	_ZN4vllm25paged_attention_v1_kernelIthLi96ELi32ELi128ELNS_18Fp8KVCacheDataTypeE1ELb1EEEvPT_PKS2_PKT0_S8_ifPKiSA_iPKfiiiSC_SC_iiiii
	.p2align	8
	.type	_ZN4vllm25paged_attention_v1_kernelIthLi96ELi32ELi128ELNS_18Fp8KVCacheDataTypeE1ELb1EEEvPT_PKS2_PKT0_S8_ifPKiSA_iPKfiiiSC_SC_iiiii,@function
_ZN4vllm25paged_attention_v1_kernelIthLi96ELi32ELi128ELNS_18Fp8KVCacheDataTypeE1ELb1EEEvPT_PKS2_PKT0_S8_ifPKiSA_iPKfiiiSC_SC_iiiii: ; @_ZN4vllm25paged_attention_v1_kernelIthLi96ELi32ELi128ELNS_18Fp8KVCacheDataTypeE1ELb1EEEvPT_PKS2_PKT0_S8_ifPKiSA_iPKfiiiSC_SC_iiiii
; %bb.0:
	s_clause 0x7
	s_load_dwordx8 s[16:23], s[4:5], 0x0
	s_load_dwordx4 s[36:39], s[4:5], 0x20
	s_load_dwordx2 s[10:11], s[4:5], 0x30
	s_load_dword s13, s[4:5], 0x38
	s_load_dwordx2 s[34:35], s[4:5], 0x40
	s_load_dwordx8 s[24:31], s[4:5], 0x48
	s_load_dword s15, s[4:5], 0x78
	s_load_dwordx4 s[40:43], s[4:5], 0x68
	s_add_u32 s0, s0, s9
	s_addc_u32 s1, s1, 0
	v_mov_b32_e32 v31, v0
	s_mov_b32 s14, s8
	s_add_u32 s8, s4, 0x80
	s_addc_u32 s9, s5, 0
	s_getpc_b64 s[4:5]
	s_add_u32 s4, s4, _ZN4vllm22paged_attention_kernelIthLi96ELi32ELi128ELNS_18Fp8KVCacheDataTypeE1ELb1ELi0EEEvPfS2_PT_PKS3_PKT0_S9_ifPKiSB_iPKfiiiSD_SD_iiiii@rel32@lo+4
	s_addc_u32 s5, s5, _ZN4vllm22paged_attention_kernelIthLi96ELi32ELi128ELNS_18Fp8KVCacheDataTypeE1ELb1ELi0EEEvPfS2_PT_PKS3_PKT0_S9_ifPKiSB_iPKfiiiSD_SD_iiiii@rel32@hi+12
	s_mov_b32 s12, s6
	s_mov_b32 s32, 0
	s_waitcnt lgkmcnt(0)
	v_mov_b32_e32 v0, s16
	v_mov_b32_e32 v1, s17
	v_mov_b32_e32 v2, s18
	v_mov_b32_e32 v3, s19
	v_mov_b32_e32 v4, s20
	v_mov_b32_e32 v5, s21
	v_mov_b32_e32 v6, s22
	v_mov_b32_e32 v7, s23
	v_mov_b32_e32 v8, s36
	v_mov_b32_e32 v9, s37
	v_mov_b32_e32 v10, s38
	v_mov_b32_e32 v11, s39
	v_mov_b32_e32 v12, s10
	v_mov_b32_e32 v13, s11
	v_mov_b32_e32 v14, s13
	v_mov_b32_e32 v15, s34
	v_mov_b32_e32 v16, s35
	v_mov_b32_e32 v17, s24
	v_mov_b32_e32 v18, s25
	v_mov_b32_e32 v19, s26
	v_mov_b32_e32 v20, s28
	v_mov_b32_e32 v21, s29
	v_mov_b32_e32 v22, s30
	v_mov_b32_e32 v23, s31
	v_mov_b32_e32 v24, s40
	v_mov_b32_e32 v25, s41
	v_mov_b32_e32 v26, s42
	v_mov_b32_e32 v27, s43
	v_mov_b32_e32 v28, s15
	s_mov_b32 s13, s7
	s_mov_b32 s15, 49
	s_swappc_b64 s[30:31], s[4:5]
	s_endpgm
	.section	.rodata,"a",@progbits
	.p2align	6, 0x0
	.amdhsa_kernel _ZN4vllm25paged_attention_v1_kernelIthLi96ELi32ELi128ELNS_18Fp8KVCacheDataTypeE1ELb1EEEvPT_PKS2_PKT0_S8_ifPKiSA_iPKfiiiSC_SC_iiiii
		.amdhsa_group_segment_fixed_size 224
		.amdhsa_private_segment_fixed_size 320
		.amdhsa_kernarg_size 384
		.amdhsa_user_sgpr_count 6
		.amdhsa_user_sgpr_private_segment_buffer 1
		.amdhsa_user_sgpr_dispatch_ptr 0
		.amdhsa_user_sgpr_queue_ptr 0
		.amdhsa_user_sgpr_kernarg_segment_ptr 1
		.amdhsa_user_sgpr_dispatch_id 0
		.amdhsa_user_sgpr_flat_scratch_init 0
		.amdhsa_user_sgpr_private_segment_size 0
		.amdhsa_wavefront_size32 1
		.amdhsa_uses_dynamic_stack 0
		.amdhsa_system_sgpr_private_segment_wavefront_offset 1
		.amdhsa_system_sgpr_workgroup_id_x 1
		.amdhsa_system_sgpr_workgroup_id_y 1
		.amdhsa_system_sgpr_workgroup_id_z 1
		.amdhsa_system_sgpr_workgroup_info 0
		.amdhsa_system_vgpr_workitem_id 0
		.amdhsa_next_free_vgpr 128
		.amdhsa_next_free_sgpr 44
		.amdhsa_reserve_vcc 1
		.amdhsa_reserve_flat_scratch 0
		.amdhsa_float_round_mode_32 0
		.amdhsa_float_round_mode_16_64 0
		.amdhsa_float_denorm_mode_32 3
		.amdhsa_float_denorm_mode_16_64 3
		.amdhsa_dx10_clamp 1
		.amdhsa_ieee_mode 1
		.amdhsa_fp16_overflow 0
		.amdhsa_workgroup_processor_mode 1
		.amdhsa_memory_ordered 1
		.amdhsa_forward_progress 1
		.amdhsa_shared_vgpr_count 0
		.amdhsa_exception_fp_ieee_invalid_op 0
		.amdhsa_exception_fp_denorm_src 0
		.amdhsa_exception_fp_ieee_div_zero 0
		.amdhsa_exception_fp_ieee_overflow 0
		.amdhsa_exception_fp_ieee_underflow 0
		.amdhsa_exception_fp_ieee_inexact 0
		.amdhsa_exception_int_div_zero 0
	.end_amdhsa_kernel
	.section	.text._ZN4vllm25paged_attention_v1_kernelIthLi96ELi32ELi128ELNS_18Fp8KVCacheDataTypeE1ELb1EEEvPT_PKS2_PKT0_S8_ifPKiSA_iPKfiiiSC_SC_iiiii,"axG",@progbits,_ZN4vllm25paged_attention_v1_kernelIthLi96ELi32ELi128ELNS_18Fp8KVCacheDataTypeE1ELb1EEEvPT_PKS2_PKT0_S8_ifPKiSA_iPKfiiiSC_SC_iiiii,comdat
.Lfunc_end278:
	.size	_ZN4vllm25paged_attention_v1_kernelIthLi96ELi32ELi128ELNS_18Fp8KVCacheDataTypeE1ELb1EEEvPT_PKS2_PKT0_S8_ifPKiSA_iPKfiiiSC_SC_iiiii, .Lfunc_end278-_ZN4vllm25paged_attention_v1_kernelIthLi96ELi32ELi128ELNS_18Fp8KVCacheDataTypeE1ELb1EEEvPT_PKS2_PKT0_S8_ifPKiSA_iPKfiiiSC_SC_iiiii
                                        ; -- End function
	.set _ZN4vllm25paged_attention_v1_kernelIthLi96ELi32ELi128ELNS_18Fp8KVCacheDataTypeE1ELb1EEEvPT_PKS2_PKT0_S8_ifPKiSA_iPKfiiiSC_SC_iiiii.num_vgpr, max(32, .L_ZN4vllm22paged_attention_kernelIthLi96ELi32ELi128ELNS_18Fp8KVCacheDataTypeE1ELb1ELi0EEEvPfS2_PT_PKS3_PKT0_S9_ifPKiSB_iPKfiiiSD_SD_iiiii.num_vgpr)
	.set _ZN4vllm25paged_attention_v1_kernelIthLi96ELi32ELi128ELNS_18Fp8KVCacheDataTypeE1ELb1EEEvPT_PKS2_PKT0_S8_ifPKiSA_iPKfiiiSC_SC_iiiii.num_agpr, max(0, .L_ZN4vllm22paged_attention_kernelIthLi96ELi32ELi128ELNS_18Fp8KVCacheDataTypeE1ELb1ELi0EEEvPfS2_PT_PKS3_PKT0_S9_ifPKiSB_iPKfiiiSD_SD_iiiii.num_agpr)
	.set _ZN4vllm25paged_attention_v1_kernelIthLi96ELi32ELi128ELNS_18Fp8KVCacheDataTypeE1ELb1EEEvPT_PKS2_PKT0_S8_ifPKiSA_iPKfiiiSC_SC_iiiii.numbered_sgpr, max(44, .L_ZN4vllm22paged_attention_kernelIthLi96ELi32ELi128ELNS_18Fp8KVCacheDataTypeE1ELb1ELi0EEEvPfS2_PT_PKS3_PKT0_S9_ifPKiSB_iPKfiiiSD_SD_iiiii.numbered_sgpr)
	.set _ZN4vllm25paged_attention_v1_kernelIthLi96ELi32ELi128ELNS_18Fp8KVCacheDataTypeE1ELb1EEEvPT_PKS2_PKT0_S8_ifPKiSA_iPKfiiiSC_SC_iiiii.num_named_barrier, max(0, .L_ZN4vllm22paged_attention_kernelIthLi96ELi32ELi128ELNS_18Fp8KVCacheDataTypeE1ELb1ELi0EEEvPfS2_PT_PKS3_PKT0_S9_ifPKiSB_iPKfiiiSD_SD_iiiii.num_named_barrier)
	.set _ZN4vllm25paged_attention_v1_kernelIthLi96ELi32ELi128ELNS_18Fp8KVCacheDataTypeE1ELb1EEEvPT_PKS2_PKT0_S8_ifPKiSA_iPKfiiiSC_SC_iiiii.private_seg_size, 0+max(.L_ZN4vllm22paged_attention_kernelIthLi96ELi32ELi128ELNS_18Fp8KVCacheDataTypeE1ELb1ELi0EEEvPfS2_PT_PKS3_PKT0_S9_ifPKiSB_iPKfiiiSD_SD_iiiii.private_seg_size)
	.set _ZN4vllm25paged_attention_v1_kernelIthLi96ELi32ELi128ELNS_18Fp8KVCacheDataTypeE1ELb1EEEvPT_PKS2_PKT0_S8_ifPKiSA_iPKfiiiSC_SC_iiiii.uses_vcc, or(1, .L_ZN4vllm22paged_attention_kernelIthLi96ELi32ELi128ELNS_18Fp8KVCacheDataTypeE1ELb1ELi0EEEvPfS2_PT_PKS3_PKT0_S9_ifPKiSB_iPKfiiiSD_SD_iiiii.uses_vcc)
	.set _ZN4vllm25paged_attention_v1_kernelIthLi96ELi32ELi128ELNS_18Fp8KVCacheDataTypeE1ELb1EEEvPT_PKS2_PKT0_S8_ifPKiSA_iPKfiiiSC_SC_iiiii.uses_flat_scratch, or(0, .L_ZN4vllm22paged_attention_kernelIthLi96ELi32ELi128ELNS_18Fp8KVCacheDataTypeE1ELb1ELi0EEEvPfS2_PT_PKS3_PKT0_S9_ifPKiSB_iPKfiiiSD_SD_iiiii.uses_flat_scratch)
	.set _ZN4vllm25paged_attention_v1_kernelIthLi96ELi32ELi128ELNS_18Fp8KVCacheDataTypeE1ELb1EEEvPT_PKS2_PKT0_S8_ifPKiSA_iPKfiiiSC_SC_iiiii.has_dyn_sized_stack, or(0, .L_ZN4vllm22paged_attention_kernelIthLi96ELi32ELi128ELNS_18Fp8KVCacheDataTypeE1ELb1ELi0EEEvPfS2_PT_PKS3_PKT0_S9_ifPKiSB_iPKfiiiSD_SD_iiiii.has_dyn_sized_stack)
	.set _ZN4vllm25paged_attention_v1_kernelIthLi96ELi32ELi128ELNS_18Fp8KVCacheDataTypeE1ELb1EEEvPT_PKS2_PKT0_S8_ifPKiSA_iPKfiiiSC_SC_iiiii.has_recursion, or(0, .L_ZN4vllm22paged_attention_kernelIthLi96ELi32ELi128ELNS_18Fp8KVCacheDataTypeE1ELb1ELi0EEEvPfS2_PT_PKS3_PKT0_S9_ifPKiSB_iPKfiiiSD_SD_iiiii.has_recursion)
	.set _ZN4vllm25paged_attention_v1_kernelIthLi96ELi32ELi128ELNS_18Fp8KVCacheDataTypeE1ELb1EEEvPT_PKS2_PKT0_S8_ifPKiSA_iPKfiiiSC_SC_iiiii.has_indirect_call, or(0, .L_ZN4vllm22paged_attention_kernelIthLi96ELi32ELi128ELNS_18Fp8KVCacheDataTypeE1ELb1ELi0EEEvPfS2_PT_PKS3_PKT0_S9_ifPKiSB_iPKfiiiSD_SD_iiiii.has_indirect_call)
	.section	.AMDGPU.csdata,"",@progbits
; Kernel info:
; codeLenInByte = 260
; TotalNumSgprs: 46
; NumVgprs: 128
; ScratchSize: 320
; MemoryBound: 0
; FloatMode: 240
; IeeeMode: 1
; LDSByteSize: 224 bytes/workgroup (compile time only)
; SGPRBlocks: 0
; VGPRBlocks: 15
; NumSGPRsForWavesPerEU: 46
; NumVGPRsForWavesPerEU: 128
; Occupancy: 8
; WaveLimiterHint : 1
; COMPUTE_PGM_RSRC2:SCRATCH_EN: 1
; COMPUTE_PGM_RSRC2:USER_SGPR: 6
; COMPUTE_PGM_RSRC2:TRAP_HANDLER: 0
; COMPUTE_PGM_RSRC2:TGID_X_EN: 1
; COMPUTE_PGM_RSRC2:TGID_Y_EN: 1
; COMPUTE_PGM_RSRC2:TGID_Z_EN: 1
; COMPUTE_PGM_RSRC2:TIDIG_COMP_CNT: 0
	.text
	.p2align	2                               ; -- Begin function _ZN4vllm22paged_attention_kernelIthLi112ELi32ELi128ELNS_18Fp8KVCacheDataTypeE1ELb1ELi0EEEvPfS2_PT_PKS3_PKT0_S9_ifPKiSB_iPKfiiiSD_SD_iiiii
	.type	_ZN4vllm22paged_attention_kernelIthLi112ELi32ELi128ELNS_18Fp8KVCacheDataTypeE1ELb1ELi0EEEvPfS2_PT_PKS3_PKT0_S9_ifPKiSB_iPKfiiiSD_SD_iiiii,@function
_ZN4vllm22paged_attention_kernelIthLi112ELi32ELi128ELNS_18Fp8KVCacheDataTypeE1ELb1ELi0EEEvPfS2_PT_PKS3_PKT0_S9_ifPKiSB_iPKfiiiSD_SD_iiiii: ; @_ZN4vllm22paged_attention_kernelIthLi112ELi32ELi128ELNS_18Fp8KVCacheDataTypeE1ELb1ELi0EEEvPfS2_PT_PKS3_PKT0_S9_ifPKiSB_iPKfiiiSD_SD_iiiii
; %bb.0:
	s_waitcnt vmcnt(0) expcnt(0) lgkmcnt(0)
	buffer_store_dword v40, off, s[0:3], s32 offset:188 ; 4-byte Folded Spill
	buffer_store_dword v41, off, s[0:3], s32 offset:184 ; 4-byte Folded Spill
	;; [unrolled: 1-line block ×47, first 2 shown]
	buffer_store_dword v127, off, s[0:3], s32 ; 4-byte Folded Spill
	s_mov_b32 s10, s13
	s_ashr_i32 s11, s13, 31
	v_mov_b32_e32 v46, v0
	s_lshl_b64 s[6:7], s[10:11], 2
	v_mov_b32_e32 v45, v1
	v_add_co_u32 v0, vcc_lo, v12, s6
	v_add_co_ci_u32_e64 v1, null, s7, v13, vcc_lo
	buffer_store_dword v20, off, s[0:3], s32 offset:280 ; 4-byte Folded Spill
	buffer_store_dword v21, off, s[0:3], s32 offset:284 ; 4-byte Folded Spill
	;; [unrolled: 1-line block ×6, first 2 shown]
	s_clause 0x1
	s_load_dword s5, s[8:9], 0x10
	s_load_dword s6, s[8:9], 0x0
	flat_load_dword v30, v[0:1]
	v_sub_nc_u32_e32 v0, 0, v8
	v_mov_b32_e32 v56, v22
	v_mov_b32_e32 v22, v6
	;; [unrolled: 1-line block ×4, first 2 shown]
	v_max_i32_e32 v0, v8, v0
	s_mov_b32 s4, s15
	v_cvt_f32_u32_e32 v1, v0
	v_sub_nc_u32_e32 v6, 0, v0
	v_rcp_iflag_f32_e32 v1, v1
	s_waitcnt lgkmcnt(0)
	s_lshr_b32 s5, s5, 16
	s_cmp_lg_u32 s5, 0
	s_cselect_b32 s5, -1, 0
	s_cmp_lg_u32 s5, 0
	v_mul_f32_e32 v1, 0x4f7ffffe, v1
	s_addc_u32 s11, s6, 0
	s_mov_b32 s6, exec_lo
	s_abs_i32 s5, s11
	v_cvt_u32_f32_e32 v1, v1
	v_mul_lo_u32 v6, v6, v1
	v_mul_hi_u32 v6, v1, v6
	v_add_nc_u32_e32 v1, v1, v6
	v_mul_hi_u32 v1, s5, v1
	v_mul_lo_u32 v6, v1, v0
	v_add_nc_u32_e32 v7, 1, v1
	v_sub_nc_u32_e32 v6, s5, v6
	s_abs_i32 s5, s12
	v_sub_nc_u32_e32 v9, v6, v0
	v_cmp_ge_u32_e32 vcc_lo, v6, v0
	v_cndmask_b32_e32 v1, v1, v7, vcc_lo
	v_cndmask_b32_e32 v6, v6, v9, vcc_lo
	v_xor_b32_e32 v7, s11, v8
	v_add_nc_u32_e32 v9, 1, v1
	v_cmp_ge_u32_e32 vcc_lo, v6, v0
	v_ashrrev_i32_e32 v7, 31, v7
	v_cndmask_b32_e32 v0, v1, v9, vcc_lo
	v_xor_b32_e32 v0, v0, v7
	v_sub_nc_u32_e32 v1, v0, v7
	v_sub_nc_u32_e32 v0, 0, v1
	v_max_i32_e32 v0, v1, v0
	v_cvt_f32_u32_e32 v6, v0
	v_sub_nc_u32_e32 v7, 0, v0
	v_rcp_iflag_f32_e32 v6, v6
	v_mul_f32_e32 v6, 0x4f7ffffe, v6
	v_cvt_u32_f32_e32 v6, v6
	v_mul_lo_u32 v7, v7, v6
	v_mul_hi_u32 v7, v6, v7
	v_add_nc_u32_e32 v6, v6, v7
	v_mad_u64_u32 v[12:13], null, s5, v6, 0
	v_mov_b32_e32 v6, 0
	buffer_store_dword v6, off, s[0:3], s32 offset:276 ; 4-byte Folded Spill
	v_cmpx_ne_u64_e32 0, v[15:16]
	s_cbranch_execz .LBB279_2
; %bb.1:
	s_ashr_i32 s13, s12, 31
	s_lshl_b64 s[16:17], s[12:13], 2
	v_add_co_u32 v6, vcc_lo, v15, s16
	v_add_co_ci_u32_e64 v7, null, s17, v16, vcc_lo
	flat_load_dword v6, v[6:7]
	s_waitcnt vmcnt(0) lgkmcnt(0)
	buffer_store_dword v6, off, s[0:3], s32 offset:276 ; 4-byte Folded Spill
.LBB279_2:
	s_or_b32 exec_lo, exec_lo, s6
	v_and_b32_e32 v47, 0x3ff, v31
	v_ashrrev_i32_e32 v1, 31, v1
	s_ashr_i32 s6, s12, 31
	s_mul_i32 s16, s12, 0x70
	s_mov_b32 s7, exec_lo
	v_cmpx_gt_u32_e32 14, v47
	s_cbranch_execz .LBB279_4
; %bb.3:
	v_mul_lo_u32 v6, v17, s10
	s_ashr_i32 s17, s16, 31
	v_lshlrev_b32_e32 v15, 4, v47
	s_lshl_b64 s[18:19], s[16:17], 1
	v_ashrrev_i32_e32 v7, 31, v6
	v_lshlrev_b64 v[6:7], 1, v[6:7]
	v_add_co_u32 v2, vcc_lo, v2, v6
	v_add_co_ci_u32_e64 v3, null, v3, v7, vcc_lo
	v_add_co_u32 v2, vcc_lo, v2, s18
	v_add_co_ci_u32_e64 v3, null, s19, v3, vcc_lo
	;; [unrolled: 2-line block ×3, first 2 shown]
	flat_load_dwordx4 v[9:12], v[2:3]
	s_waitcnt vmcnt(0) lgkmcnt(0)
	ds_write_b128 v15, v[9:12]
.LBB279_4:
	s_or_b32 exec_lo, exec_lo, s7
	v_sub_nc_u32_e32 v2, 0, v27
	v_mul_lo_u32 v3, v13, v0
	v_add_nc_u32_e32 v7, 1, v13
	v_xor_b32_e32 v1, s6, v1
	v_max_i32_e32 v59, v27, v2
	v_sub_nc_u32_e32 v3, s5, v3
	v_cvt_f32_u32_e32 v2, v59
	s_mov_b32 s5, exec_lo
	v_sub_nc_u32_e32 v9, v3, v0
	v_rcp_iflag_f32_e32 v2, v2
	v_cmp_ge_u32_e32 vcc_lo, v3, v0
	v_cndmask_b32_e32 v7, v13, v7, vcc_lo
	v_cndmask_b32_e32 v3, v3, v9, vcc_lo
	v_mul_f32_e32 v2, 0x4f7ffffe, v2
	v_add_nc_u32_e32 v9, 1, v7
	v_cmp_ge_u32_e32 vcc_lo, v3, v0
	v_cvt_u32_f32_e32 v6, v2
	v_sub_nc_u32_e32 v2, 0, v59
	v_cndmask_b32_e32 v3, v7, v9, vcc_lo
	v_mul_lo_u32 v10, v2, v6
	s_waitcnt vmcnt(0)
	v_add_nc_u32_e32 v2, -1, v30
	v_xor_b32_e32 v3, v3, v1
	v_sub_nc_u32_e32 v11, 0, v2
	v_mul_hi_u32 v10, v6, v10
	v_max_i32_e32 v0, v2, v11
	v_add_nc_u32_e32 v6, v6, v10
	v_mad_u64_u32 v[12:13], null, v0, v6, 0
	v_sub_nc_u32_e32 v12, v3, v1
                                        ; implicit-def: $vgpr1
	buffer_store_dword v6, off, s[0:3], s32 offset:200 ; 4-byte Folded Spill
	s_waitcnt lgkmcnt(0)
	s_waitcnt_vscnt null, 0x0
	s_barrier
	buffer_gl0_inv
	buffer_store_dword v1, off, s[0:3], s32 offset:192 ; 4-byte Folded Spill
	buffer_store_dword v2, off, s[0:3], s32 offset:196 ; 4-byte Folded Spill
	v_cmpx_gt_i32_e32 0, v28
	s_xor_b32 s5, exec_lo, s5
	s_cbranch_execz .LBB279_6
; %bb.5:
	v_mad_u64_u32 v[6:7], null, v24, v8, v[12:13]
                                        ; implicit-def: $vgpr24
	v_mul_lo_u32 v1, v6, v28
                                        ; implicit-def: $vgpr28
	v_sub_nc_u32_e32 v1, 1, v1
	buffer_store_dword v1, off, s[0:3], s32 offset:192 ; 4-byte Folded Spill
	buffer_store_dword v2, off, s[0:3], s32 offset:196 ; 4-byte Folded Spill
.LBB279_6:
	s_or_saveexec_b32 s5, s5
	v_ashrrev_i32_e32 v1, 31, v2
	v_ashrrev_i32_e32 v60, 31, v27
	s_xor_b32 exec_lo, exec_lo, s5
	s_cbranch_execz .LBB279_8
; %bb.7:
	v_mad_u64_u32 v[2:3], null, s11, v24, s[12:13]
	v_mad_u64_u32 v[2:3], null, v2, v28, 1
	buffer_store_dword v2, off, s[0:3], s32 offset:192 ; 4-byte Folded Spill
	buffer_store_dword v3, off, s[0:3], s32 offset:196 ; 4-byte Folded Spill
.LBB279_8:
	s_or_b32 exec_lo, exec_lo, s5
	v_mul_lo_u32 v2, v13, v59
	v_add_nc_u32_e32 v3, 1, v13
	v_xor_b32_e32 v6, v1, v60
	v_add_nc_u32_e32 v1, 31, v30
	s_clause 0x1
	s_load_dword s7, s[8:9], 0x14
	s_load_dword s15, s[8:9], 0x8
	v_mul_lo_u32 v11, v12, v19
	v_and_b32_e32 v9, 31, v47
	v_lshrrev_b32_e32 v58, 5, v47
	v_sub_nc_u32_e32 v2, v0, v2
	v_ashrrev_i32_e32 v8, 31, v1
	v_mul_lo_u32 v0, v14, s10
	s_ashr_i32 s5, s4, 31
	s_getpc_b64 s[8:9]
	s_add_u32 s8, s8, llvm.amdgcn.dynlds.offset.table@rel32@lo+4
	s_addc_u32 s9, s9, llvm.amdgcn.dynlds.offset.table@rel32@hi+12
	v_sub_nc_u32_e32 v7, v2, v59
	v_cmp_ge_u32_e32 vcc_lo, v2, v59
	v_lshrrev_b32_e32 v8, 27, v8
	buffer_store_dword v9, off, s[0:3], s32 offset:272 ; 4-byte Folded Spill
	v_mov_b32_e32 v14, 0xff7fffff
	v_sub_nc_u32_e32 v12, 0, v26
	v_cndmask_b32_e32 v3, v13, v3, vcc_lo
	v_cndmask_b32_e32 v2, v2, v7, vcc_lo
	s_lshl_b64 s[12:13], s[4:5], 2
	v_lshlrev_b32_e32 v61, 5, v58
	v_lshlrev_b32_e32 v16, 2, v9
	v_add_nc_u32_e32 v7, 1, v3
	v_cmp_ge_u32_e32 vcc_lo, v2, v59
	v_ashrrev_i32_e32 v13, 31, v11
	v_lshrrev_b32_e32 v10, 3, v47
	s_add_u32 s8, s8, s12
	s_addc_u32 s9, s9, s13
	v_cndmask_b32_e32 v2, v3, v7, vcc_lo
	v_add_nc_u32_e32 v3, v1, v8
	v_ashrrev_i32_e32 v1, 31, v0
	v_xor_b32_e32 v2, v2, v6
	v_ashrrev_i32_e32 v62, 5, v3
	v_lshlrev_b64 v[0:1], 2, v[0:1]
	buffer_store_dword v0, off, s[0:3], s32 offset:312 ; 4-byte Folded Spill
	buffer_store_dword v1, off, s[0:3], s32 offset:316 ; 4-byte Folded Spill
	v_sub_nc_u32_e32 v2, v2, v6
	v_cmp_lt_i32_e64 s4, v58, v62
	v_sub_nc_u32_e32 v0, v2, v25
	buffer_store_dword v0, off, s[0:3], s32 offset:204 ; 4-byte Folded Spill
	s_and_saveexec_b32 s17, s4
	s_cbranch_execz .LBB279_912
; %bb.9:
	buffer_store_dword v22, off, s[0:3], s32 offset:356 ; 4-byte Folded Spill
	buffer_store_dword v18, off, s[0:3], s32 offset:352 ; 4-byte Folded Spill
	;; [unrolled: 1-line block ×13, first 2 shown]
	buffer_load_dword v7, off, s[0:3], s32 offset:272 ; 4-byte Folded Reload
	v_max_i32_e32 v6, v26, v12
	v_add_co_u32 v1, vcc_lo, v4, v11
	v_add_co_ci_u32_e64 v2, null, v5, v13, vcc_lo
	v_cvt_f32_u32_e32 v0, v6
	buffer_load_dword v5, off, s[0:3], s32 offset:276 ; 4-byte Folded Reload
	buffer_store_dword v6, off, s[0:3], s32 offset:224 ; 4-byte Folded Spill
	v_sub_nc_u32_e32 v6, 0, v6
	s_load_dword s18, s[8:9], 0x0
	v_rcp_iflag_f32_e32 v0, v0
	buffer_store_dword v11, off, s[0:3], s32 offset:364 ; 4-byte Folded Spill
	buffer_store_dword v13, off, s[0:3], s32 offset:372 ; 4-byte Folded Spill
	buffer_store_dword v16, off, s[0:3], s32 offset:376 ; 4-byte Folded Spill
	buffer_store_dword v10, off, s[0:3], s32 offset:360 ; 4-byte Folded Spill
	v_and_b32_e32 v8, 0x7c, v10
	v_mov_b32_e32 v68, v58
	v_mov_b32_e32 v4, 0
	;; [unrolled: 1-line block ×4, first 2 shown]
	v_mul_f32_e32 v0, 0x4f7ffffe, v0
	v_lshl_or_b32 v90, v68, 7, v16
	s_mov_b32 s12, -1
	s_mov_b32 s19, 0
	s_mov_b32 s13, 0xffffff
	v_cvt_u32_f32_e32 v0, v0
	v_mul_lo_u32 v6, v6, v0
	s_waitcnt vmcnt(1)
	v_lshlrev_b32_e32 v3, 4, v7
	v_sub_nc_u32_e32 v7, v7, v30
	v_add_co_u32 v1, s5, v1, v3
	v_add_co_ci_u32_e64 v2, null, 0, v2, s5
	s_waitcnt vmcnt(0)
	v_cmp_neq_f32_e32 vcc_lo, 0, v5
	v_lshlrev_b32_e32 v5, 5, v58
	buffer_store_dword v1, off, s[0:3], s32 offset:292 ; 4-byte Folded Spill
	buffer_store_dword v2, off, s[0:3], s32 offset:296 ; 4-byte Folded Spill
	v_mul_hi_u32 v1, v0, v6
	v_add_nc_u32_e32 v6, 1, v7
	s_clause 0x1
	buffer_load_dword v2, off, s[0:3], s32 offset:312
	buffer_load_dword v3, off, s[0:3], s32 offset:316
	buffer_store_dword v6, off, s[0:3], s32 offset:300 ; 4-byte Folded Spill
	buffer_load_dword v6, off, s[0:3], s32 offset:308 ; 4-byte Folded Reload
	v_add_nc_u32_e32 v0, v0, v1
	s_waitcnt vmcnt(2)
	v_add_co_u32 v2, s5, v8, v2
	s_waitcnt vmcnt(1)
	v_add_co_ci_u32_e64 v3, null, 0, v3, s5
	s_waitcnt vmcnt(0)
	v_add_co_u32 v16, s5, v6, v2
	buffer_load_dword v2, off, s[0:3], s32 offset:304 ; 4-byte Folded Reload
	buffer_store_dword v0, off, s[0:3], s32 offset:228 ; 4-byte Folded Spill
	buffer_store_dword v68, off, s[0:3], s32 offset:340 ; 4-byte Folded Spill
	s_waitcnt vmcnt(0)
	v_add_co_ci_u32_e64 v17, null, v2, v3, s5
	s_branch .LBB279_15
.LBB279_10:                             ;   in Loop: Header=BB279_15 Depth=1
	s_or_b32 exec_lo, exec_lo, s23
	v_lshlrev_b32_e32 v3, 8, v3
	v_lshl_add_u32 v22, v22, 10, 0x2000
	v_lshlrev_b32_e32 v19, 23, v19
	v_and_or_b32 v3, 0x8000, v3, v22
	v_lshl_or_b32 v19, v3, 16, v19
.LBB279_11:                             ;   in Loop: Header=BB279_15 Depth=1
	s_or_b32 exec_lo, exec_lo, s22
.LBB279_12:                             ;   in Loop: Header=BB279_15 Depth=1
	s_or_b32 exec_lo, exec_lo, s21
.LBB279_13:                             ;   in Loop: Header=BB279_15 Depth=1
	s_or_b32 exec_lo, exec_lo, s20
	v_or_b32_e32 v3, v91, v79
	v_fma_mixlo_f16 v22, v69, v91, 0 op_sel:[0,1,0] op_sel_hi:[0,1,0]
	v_or_b32_e32 v2, v9, v2
	v_or_b32_e32 v0, v10, v0
	v_fma_mixlo_f16 v70, v69, v39, 0 op_sel:[0,1,0] op_sel_hi:[0,1,0]
	v_fma_mixlo_f16 v3, v69, v3, 0 op_sel_hi:[0,1,0]
	buffer_store_dword v22, off, s[0:3], s32 offset:260 ; 4-byte Folded Spill
	v_fma_mixlo_f16 v22, v69, v76, 0 op_sel:[0,1,0] op_sel_hi:[0,1,0]
	v_fma_mixlo_f16 v54, v69, v101, 0 op_sel:[0,1,0] op_sel_hi:[0,1,0]
	s_load_dword s20, s[8:9], 0x0
	buffer_store_dword v3, off, s[0:3], s32 offset:264 ; 4-byte Folded Spill
	v_or_b32_e32 v3, v76, v75
	buffer_store_dword v22, off, s[0:3], s32 offset:268 ; 4-byte Folded Spill
	v_fma_mixlo_f16 v22, v69, v109, 0 op_sel:[0,1,0] op_sel_hi:[0,1,0]
	v_fma_mixlo_f16 v76, v69, v50, 0 op_sel:[0,1,0] op_sel_hi:[0,1,0]
	v_fma_mixlo_f16 v91, v69, v3, 0 op_sel_hi:[0,1,0]
	v_or_b32_e32 v3, v109, v88
	buffer_store_dword v22, off, s[0:3], s32 offset:252 ; 4-byte Folded Spill
	v_fma_mixlo_f16 v3, v69, v3, 0 op_sel_hi:[0,1,0]
	buffer_store_dword v3, off, s[0:3], s32 offset:256 ; 4-byte Folded Spill
	v_or_b32_e32 v3, v111, v107
	v_fma_mixlo_f16 v107, v69, v106, 0 op_sel:[0,1,0] op_sel_hi:[0,1,0]
	v_fma_mixlo_f16 v3, v69, v3, 0 op_sel_hi:[0,1,0]
	buffer_store_dword v3, off, s[0:3], s32 offset:248 ; 4-byte Folded Spill
	v_fma_mixlo_f16 v3, v69, v111, 0 op_sel:[0,1,0] op_sel_hi:[0,1,0]
	v_fma_mixlo_f16 v111, v69, v96, 0 op_sel:[0,1,0] op_sel_hi:[0,1,0]
	buffer_store_dword v3, off, s[0:3], s32 offset:244 ; 4-byte Folded Spill
	v_or_b32_e32 v3, v96, v66
	v_fma_mixlo_f16 v79, v69, v3, 0 op_sel_hi:[0,1,0]
	v_or_b32_e32 v3, v50, v48
	v_fma_mixlo_f16 v48, v69, v18, 0 op_sel:[0,1,0] op_sel_hi:[0,1,0]
	v_fma_mixlo_f16 v50, v69, v31, 0 op_sel:[0,1,0] op_sel_hi:[0,1,0]
	v_fma_mixlo_f16 v75, v69, v3, 0 op_sel_hi:[0,1,0]
	v_or_b32_e32 v3, v106, v67
	v_fma_mixlo_f16 v109, v69, v3, 0 op_sel_hi:[0,1,0]
	v_or_b32_e32 v3, v125, v105
	v_fma_mixlo_f16 v105, v69, v125, 0 op_sel:[0,1,0] op_sel_hi:[0,1,0]
	v_fma_mixlo_f16 v125, v69, v55, 0 op_sel:[0,1,0] op_sel_hi:[0,1,0]
	v_fma_mixlo_f16 v106, v69, v3, 0 op_sel_hi:[0,1,0]
	v_or_b32_e32 v3, v31, v7
	v_fma_mixlo_f16 v31, v69, v37, 0 op_sel:[0,1,0] op_sel_hi:[0,1,0]
	v_fma_mixlo_f16 v24, v69, v3, 0 op_sel_hi:[0,1,0]
	v_or_b32_e32 v3, v18, v11
	v_fma_mixlo_f16 v18, v69, v2, 0 op_sel_hi:[0,1,0]
	v_or_b32_e32 v2, v29, v13
	v_fma_mixlo_f16 v11, v69, v9, 0 op_sel:[0,1,0] op_sel_hi:[0,1,0]
	v_fma_mixlo_f16 v9, v69, v21, 0 op_sel:[0,1,0] op_sel_hi:[0,1,0]
	v_fma_mixlo_f16 v88, v69, v3, 0 op_sel_hi:[0,1,0]
	v_or_b32_e32 v3, v39, v26
	v_fma_mixlo_f16 v66, v69, v2, 0 op_sel_hi:[0,1,0]
	v_or_b32_e32 v2, v37, v35
	v_fma_mixlo_f16 v26, v69, v14, 0 op_sel:[0,1,0] op_sel_hi:[0,1,0]
	;; [unrolled: 6-line block ×4, first 2 shown]
	v_fma_mixlo_f16 v21, v69, v36, 0 op_sel:[0,1,0] op_sel_hi:[0,1,0]
	v_fma_mixlo_f16 v12, v69, v15, 0 op_sel:[0,1,0] op_sel_hi:[0,1,0]
	v_fma_mixlo_f16 v14, v69, v3, 0 op_sel_hi:[0,1,0]
	v_fma_mixlo_f16 v37, v69, v2, 0 op_sel_hi:[0,1,0]
	v_or_b32_e32 v2, v36, v20
	v_fma_mixlo_f16 v36, v69, v10, 0 op_sel:[0,1,0] op_sel_hi:[0,1,0]
	v_fma_mixlo_f16 v65, v69, v65, 0 op_sel:[0,1,0] op_sel_hi:[0,1,0]
	v_and_b32_e32 v9, 0xffff, v9
	v_fma_mixlo_f16 v20, v69, v2, 0 op_sel_hi:[0,1,0]
	v_or_b32_e32 v2, v51, v34
	v_fma_mixlo_f16 v51, v69, v0, 0 op_sel_hi:[0,1,0]
	v_or_b32_e32 v0, v1, v8
	v_fma_mixlo_f16 v8, v69, v98, 0 op_sel:[0,1,0] op_sel_hi:[0,1,0]
	buffer_load_dword v1, off, s[0:3], s32 offset:300 ; 4-byte Folded Reload
	v_fma_mixlo_f16 v64, v69, v2, 0 op_sel_hi:[0,1,0]
	buffer_load_dword v2, off, s[0:3], s32 offset:276 ; 4-byte Folded Reload
	v_fma_mixlo_f16 v35, v69, v0, 0 op_sel_hi:[0,1,0]
	v_or_b32_e32 v0, v32, v6
	v_fma_mixlo_f16 v6, v69, v124, 0 op_sel:[0,1,0] op_sel_hi:[0,1,0]
	v_fma_mixlo_f16 v32, v69, v32, 0 op_sel:[0,1,0] op_sel_hi:[0,1,0]
	v_and_b32_e32 v8, 0xffff, v8
	v_fma_mixlo_f16 v34, v69, v0, 0 op_sel_hi:[0,1,0]
	v_or_b32_e32 v0, v15, v38
	v_fma_mixlo_f16 v15, v69, v127, 0 op_sel:[0,1,0] op_sel_hi:[0,1,0]
	v_and_b32_e32 v6, 0xffff, v6
	v_fma_mixlo_f16 v10, v69, v0, 0 op_sel_hi:[0,1,0]
	v_or_b32_e32 v0, v110, v104
	;; [unrolled: 4-line block ×3, first 2 shown]
	v_fma_mixlo_f16 v96, v69, v0, 0 op_sel_hi:[0,1,0]
	v_or_b32_e32 v0, v124, v108
	v_fma_mixlo_f16 v95, v69, v0, 0 op_sel_hi:[0,1,0]
	v_or_b32_e32 v0, v127, v123
	v_fma_mixlo_f16 v123, v69, v63, 0 op_sel:[0,1,0] op_sel_hi:[0,1,0]
	v_fma_mixlo_f16 v38, v69, v0, 0 op_sel_hi:[0,1,0]
	v_or_b32_e32 v0, v74, v72
	v_fma_mixlo_f16 v72, v69, v78, 0 op_sel:[0,1,0] op_sel_hi:[0,1,0]
	v_fma_mixlo_f16 v74, v69, v74, 0 op_sel:[0,1,0] op_sel_hi:[0,1,0]
	v_fma_mixlo_f16 v108, v69, v0, 0 op_sel_hi:[0,1,0]
	v_or_b32_e32 v0, v63, v62
	v_fma_mixlo_f16 v62, v69, v89, 0 op_sel:[0,1,0] op_sel_hi:[0,1,0]
	v_fma_mixlo_f16 v124, v69, v0, 0 op_sel_hi:[0,1,0]
	v_or_b32_e32 v0, v78, v73
	v_fma_mixlo_f16 v78, v69, v47, 0 op_sel:[0,1,0] op_sel_hi:[0,1,0]
	v_fma_mixlo_f16 v73, v69, v0, 0 op_sel_hi:[0,1,0]
	v_or_b32_e32 v0, v89, v77
	v_fma_mixlo_f16 v63, v69, v0, 0 op_sel_hi:[0,1,0]
	v_or_b32_e32 v0, v58, v56
	v_fma_mixlo_f16 v56, v69, v60, 0 op_sel:[0,1,0] op_sel_hi:[0,1,0]
	v_fma_mixlo_f16 v58, v69, v58, 0 op_sel:[0,1,0] op_sel_hi:[0,1,0]
	v_fma_mixlo_f16 v77, v69, v0, 0 op_sel_hi:[0,1,0]
	v_or_b32_e32 v0, v47, v46
	v_fma_mixlo_f16 v46, v69, v61, 0 op_sel:[0,1,0] op_sel_hi:[0,1,0]
	v_fma_mixlo_f16 v89, v69, v0, 0 op_sel_hi:[0,1,0]
	v_or_b32_e32 v0, v60, v57
	v_fma_mixlo_f16 v60, v69, v119, 0 op_sel:[0,1,0] op_sel_hi:[0,1,0]
	v_fma_mixlo_f16 v57, v69, v0, 0 op_sel_hi:[0,1,0]
	v_or_b32_e32 v0, v61, v59
	;; [unrolled: 12-line block ×3, first 2 shown]
	v_fma_mixlo_f16 v119, v69, v0, 0 op_sel_hi:[0,1,0]
	v_or_b32_e32 v0, v114, v112
	v_fma_mixlo_f16 v112, v69, v116, 0 op_sel:[0,1,0] op_sel_hi:[0,1,0]
	v_fma_mixlo_f16 v114, v69, v114, 0 op_sel:[0,1,0] op_sel_hi:[0,1,0]
	v_fma_mixlo_f16 v43, v69, v0, 0 op_sel_hi:[0,1,0]
	v_or_b32_e32 v0, v103, v102
	v_fma_mixlo_f16 v102, v69, v117, 0 op_sel:[0,1,0] op_sel_hi:[0,1,0]
	v_fma_mixlo_f16 v45, v69, v0, 0 op_sel_hi:[0,1,0]
	v_or_b32_e32 v0, v116, v113
	v_fma_mixlo_f16 v113, v69, v0, 0 op_sel_hi:[0,1,0]
	v_or_b32_e32 v0, v117, v115
	v_fma_mixlo_f16 v115, v69, v87, 0 op_sel:[0,1,0] op_sel_hi:[0,1,0]
	v_fma_mixlo_f16 v117, v69, v33, 0 op_sel:[0,1,0] op_sel_hi:[0,1,0]
	v_fma_mixlo_f16 v103, v69, v0, 0 op_sel_hi:[0,1,0]
	v_or_b32_e32 v0, v98, v83
	v_fma_mixlo_f16 v83, v69, v85, 0 op_sel:[0,1,0] op_sel_hi:[0,1,0]
	v_fma_mixlo_f16 v98, v69, v0, 0 op_sel_hi:[0,1,0]
	v_or_b32_e32 v0, v87, v86
	;; [unrolled: 3-line block ×3, first 2 shown]
	v_fma_mixlo_f16 v97, v69, v84, 0 op_sel:[0,1,0] op_sel_hi:[0,1,0]
	v_fma_mixlo_f16 v100, v69, v94, 0 op_sel:[0,1,0] op_sel_hi:[0,1,0]
	v_fma_mixlo_f16 v87, v69, v0, 0 op_sel_hi:[0,1,0]
	v_or_b32_e32 v0, v101, v99
	v_fma_mixlo_f16 v53, v69, v0, 0 op_sel_hi:[0,1,0]
	v_or_b32_e32 v0, v94, v126
	;; [unrolled: 2-line block ×5, first 2 shown]
	v_fma_mixlo_f16 v84, v69, v0, 0 op_sel_hi:[0,1,0]
	buffer_load_dword v0, off, s[0:3], s32 offset:272 ; 4-byte Folded Reload
	s_waitcnt vmcnt(2)
	v_add_nc_u32_e32 v1, v1, v5
	v_cvt_f32_i32_e32 v1, v1
	s_waitcnt vmcnt(1)
	v_mul_f32_e32 v1, v2, v1
	v_fma_mixlo_f16 v2, v69, v82, 0 op_sel:[0,1,0] op_sel_hi:[0,1,0]
	v_cndmask_b32_e32 v7, 0, v1, vcc_lo
	buffer_store_dword v2, off, s[0:3], s32 offset:236 ; 4-byte Folded Spill
	s_waitcnt vmcnt(0)
	v_add_nc_u32_e32 v0, v0, v5
	v_cmp_lt_i32_e64 s5, v0, v30
	v_or_b32_e32 v0, v82, v81
	v_fma_mixlo_f16 v81, v69, v28, 0 op_sel:[0,1,0] op_sel_hi:[0,1,0]
	v_fma_mixlo_f16 v0, v69, v0, 0 op_sel_hi:[0,1,0]
	buffer_store_dword v0, off, s[0:3], s32 offset:240 ; 4-byte Folded Spill
	v_or_b32_e32 v0, v28, v27
	v_fma_mixlo_f16 v28, v69, v93, 0 op_sel:[0,1,0] op_sel_hi:[0,1,0]
	v_fma_mixlo_f16 v82, v69, v0, 0 op_sel_hi:[0,1,0]
	v_or_b32_e32 v0, v93, v71
	s_waitcnt lgkmcnt(0)
	v_add_nc_u32_e32 v71, s20, v90
	v_fma_mixlo_f16 v93, v69, v0, 0 op_sel_hi:[0,1,0]
	v_or_b32_e32 v0, v19, v92
	v_fma_mixlo_f16 v92, v69, v19, 0 op_sel:[0,1,0] op_sel_hi:[0,1,0]
	v_fma_mixlo_f16 v27, v69, v0, 0 op_sel_hi:[0,1,0]
	ds_read_b128 v[0:3], v4
	s_waitcnt lgkmcnt(0)
	v_lshrrev_b32_e32 v19, 16, v0
	v_and_b32_e32 v0, 0xffff, v0
	;;#ASMSTART
	v_cvt_f32_f16 v23, v0;
	;;#ASMEND
	v_and_b32_e32 v0, 0xffff, v127
	;;#ASMSTART
	v_cvt_f32_f16 v126, v19;
	;;#ASMEND
	;;#ASMSTART
	v_cvt_f32_f16 v22, v0;
	;;#ASMEND
	v_and_b32_e32 v0, 0xffff, v117
	;;#ASMSTART
	v_cvt_f32_f16 v19, v0;
	;;#ASMEND
	v_lshrrev_b32_e32 v0, 16, v1
	v_and_b32_e32 v1, 0xffff, v1
	;;#ASMSTART
	v_cvt_f32_f16 v120, v1;
	;;#ASMEND
	;;#ASMSTART
	v_cvt_f32_f16 v94, v0;
	;;#ASMEND
	v_and_b32_e32 v0, 0xffff, v101
	;;#ASMSTART
	v_cvt_f32_f16 v121, v0;
	;;#ASMEND
	v_and_b32_e32 v0, 0xffff, v100
	;;#ASMSTART
	v_cvt_f32_f16 v122, v0;
	;;#ASMEND
	v_lshrrev_b32_e32 v0, 16, v2
	v_and_b32_e32 v1, 0xffff, v2
	;;#ASMSTART
	v_cvt_f32_f16 v85, v1;
	;;#ASMEND
	;;#ASMSTART
	v_cvt_f32_f16 v117, v0;
	;;#ASMEND
	v_and_b32_e32 v0, 0xffff, v99
	;; [unrolled: 16-line block ×3, first 2 shown]
	;;#ASMSTART
	v_cvt_f32_f16 v100, v0;
	;;#ASMEND
	v_and_b32_e32 v0, 0xffff, v83
	;;#ASMSTART
	v_cvt_f32_f16 v101, v0;
	;;#ASMEND
	ds_read_b128 v[0:3], v4 offset:16
	v_and_b32_e32 v84, 0xffff, v115
	s_waitcnt lgkmcnt(0)
	v_lshrrev_b32_e32 v69, 16, v0
	v_and_b32_e32 v0, 0xffff, v0
	;;#ASMSTART
	v_cvt_f32_f16 v0, v0;
	;;#ASMEND
	;;#ASMSTART
	v_cvt_f32_f16 v83, v69;
	;;#ASMEND
	v_and_b32_e32 v69, 0xffff, v116
	;;#ASMSTART
	v_cvt_f32_f16 v69, v69;
	;;#ASMEND
	;;#ASMSTART
	v_cvt_f32_f16 v84, v84;
	;;#ASMEND
	v_mul_f32_e32 v83, v83, v84
	v_mul_f32_e32 v69, v0, v69
	v_and_b32_e32 v0, 0xffff, v1
	;;#ASMSTART
	v_cvt_f32_f16 v0, v0;
	;;#ASMEND
	v_fmac_f32_e32 v83, v126, v19
	v_lshrrev_b32_e32 v19, 16, v1
	;;#ASMSTART
	v_cvt_f32_f16 v1, v19;
	;;#ASMEND
	v_and_b32_e32 v19, 0xffff, v98
	;;#ASMSTART
	v_cvt_f32_f16 v19, v19;
	;;#ASMEND
	;;#ASMSTART
	v_cvt_f32_f16 v8, v8;
	;;#ASMEND
	v_mul_f32_e32 v84, v0, v19
	v_mul_f32_e32 v8, v1, v8
	v_lshrrev_b32_e32 v1, 16, v2
	v_and_b32_e32 v0, 0xffff, v2
	v_and_b32_e32 v2, 0xffff, v87
	;;#ASMSTART
	v_cvt_f32_f16 v0, v0;
	;;#ASMEND
	;;#ASMSTART
	v_cvt_f32_f16 v1, v1;
	;;#ASMEND
	;; [unrolled: 3-line block ×3, first 2 shown]
	v_and_b32_e32 v19, 0xffff, v86
	v_mul_f32_e32 v86, v0, v2
	;;#ASMSTART
	v_cvt_f32_f16 v19, v19;
	;;#ASMEND
	v_and_b32_e32 v0, 0xffff, v3
	;;#ASMSTART
	v_cvt_f32_f16 v0, v0;
	;;#ASMEND
	v_fmac_f32_e32 v69, v23, v22
	v_fmac_f32_e32 v86, v85, v127
	v_mul_f32_e32 v85, v1, v19
	v_lshrrev_b32_e32 v1, 16, v3
	;;#ASMSTART
	v_cvt_f32_f16 v2, v1;
	;;#ASMEND
	v_and_b32_e32 v1, 0xffff, v53
	;;#ASMSTART
	v_cvt_f32_f16 v1, v1;
	;;#ASMEND
	v_and_b32_e32 v3, 0xffff, v54
	;;#ASMSTART
	v_cvt_f32_f16 v3, v3;
	;;#ASMEND
	v_mul_f32_e32 v1, v0, v1
	v_mul_f32_e32 v0, v2, v3
	v_fmac_f32_e32 v84, v120, v121
	v_fmac_f32_e32 v8, v94, v122
	v_and_b32_e32 v19, 0xffff, v45
	v_fmac_f32_e32 v1, v99, v100
	v_fmac_f32_e32 v0, v97, v101
	ds_read_b128 v[97:100], v4 offset:32
	v_and_b32_e32 v22, 0xffff, v44
	v_fmac_f32_e32 v85, v117, v33
	s_waitcnt lgkmcnt(0)
	v_lshrrev_b32_e32 v3, 16, v97
	v_and_b32_e32 v2, 0xffff, v97
	;;#ASMSTART
	v_cvt_f32_f16 v2, v2;
	;;#ASMEND
	;;#ASMSTART
	v_cvt_f32_f16 v3, v3;
	;;#ASMEND
	;;#ASMSTART
	v_cvt_f32_f16 v19, v19;
	;;#ASMEND
	;;#ASMSTART
	v_cvt_f32_f16 v22, v22;
	;;#ASMEND
	v_fmac_f32_e32 v69, v2, v19
	v_fmac_f32_e32 v83, v3, v22
	v_lshrrev_b32_e32 v3, 16, v98
	v_and_b32_e32 v2, 0xffff, v98
	v_and_b32_e32 v19, 0xffff, v43
	v_and_b32_e32 v22, 0xffff, v114
	;;#ASMSTART
	v_cvt_f32_f16 v2, v2;
	;;#ASMEND
	;;#ASMSTART
	v_cvt_f32_f16 v3, v3;
	;;#ASMEND
	;;#ASMSTART
	v_cvt_f32_f16 v19, v19;
	;;#ASMEND
	;;#ASMSTART
	v_cvt_f32_f16 v22, v22;
	;;#ASMEND
	v_fmac_f32_e32 v84, v2, v19
	v_fmac_f32_e32 v8, v3, v22
	v_lshrrev_b32_e32 v3, 16, v99
	v_and_b32_e32 v2, 0xffff, v99
	v_and_b32_e32 v19, 0xffff, v113
	;; [unrolled: 18-line block ×3, first 2 shown]
	v_and_b32_e32 v22, 0xffff, v102
	;;#ASMSTART
	v_cvt_f32_f16 v2, v2;
	;;#ASMEND
	;;#ASMSTART
	v_cvt_f32_f16 v3, v3;
	;;#ASMEND
	;; [unrolled: 3-line block ×4, first 2 shown]
	ds_read_b128 v[97:100], v4 offset:48
	v_fmac_f32_e32 v1, v2, v19
	v_fmac_f32_e32 v0, v3, v22
	v_and_b32_e32 v19, 0xffff, v61
	v_and_b32_e32 v22, 0xffff, v60
	s_waitcnt lgkmcnt(0)
	v_lshrrev_b32_e32 v3, 16, v97
	v_and_b32_e32 v2, 0xffff, v97
	;;#ASMSTART
	v_cvt_f32_f16 v2, v2;
	;;#ASMEND
	;;#ASMSTART
	v_cvt_f32_f16 v3, v3;
	;;#ASMEND
	;;#ASMSTART
	v_cvt_f32_f16 v19, v19;
	;;#ASMEND
	;;#ASMSTART
	v_cvt_f32_f16 v22, v22;
	;;#ASMEND
	v_fmac_f32_e32 v69, v2, v19
	v_fmac_f32_e32 v83, v3, v22
	v_lshrrev_b32_e32 v3, 16, v98
	v_and_b32_e32 v2, 0xffff, v98
	v_and_b32_e32 v19, 0xffff, v59
	v_and_b32_e32 v22, 0xffff, v42
	;;#ASMSTART
	v_cvt_f32_f16 v2, v2;
	;;#ASMEND
	;;#ASMSTART
	v_cvt_f32_f16 v3, v3;
	;;#ASMEND
	;;#ASMSTART
	v_cvt_f32_f16 v19, v19;
	;;#ASMEND
	;;#ASMSTART
	v_cvt_f32_f16 v22, v22;
	;;#ASMEND
	v_fmac_f32_e32 v84, v2, v19
	v_fmac_f32_e32 v8, v3, v22
	v_lshrrev_b32_e32 v3, 16, v99
	v_and_b32_e32 v2, 0xffff, v99
	v_and_b32_e32 v19, 0xffff, v41
	;; [unrolled: 18-line block ×3, first 2 shown]
	v_and_b32_e32 v22, 0xffff, v118
	;;#ASMSTART
	v_cvt_f32_f16 v2, v2;
	;;#ASMEND
	;;#ASMSTART
	v_cvt_f32_f16 v3, v3;
	;;#ASMEND
	;; [unrolled: 3-line block ×4, first 2 shown]
	ds_read_b128 v[97:100], v4 offset:64
	v_fmac_f32_e32 v1, v2, v19
	v_fmac_f32_e32 v0, v3, v22
	v_and_b32_e32 v19, 0xffff, v89
	v_and_b32_e32 v22, 0xffff, v78
	s_waitcnt lgkmcnt(0)
	v_lshrrev_b32_e32 v3, 16, v97
	v_and_b32_e32 v2, 0xffff, v97
	;;#ASMSTART
	v_cvt_f32_f16 v2, v2;
	;;#ASMEND
	;;#ASMSTART
	v_cvt_f32_f16 v3, v3;
	;;#ASMEND
	;;#ASMSTART
	v_cvt_f32_f16 v19, v19;
	;;#ASMEND
	;;#ASMSTART
	v_cvt_f32_f16 v22, v22;
	;;#ASMEND
	v_fmac_f32_e32 v69, v2, v19
	v_fmac_f32_e32 v83, v3, v22
	v_lshrrev_b32_e32 v3, 16, v98
	v_and_b32_e32 v2, 0xffff, v98
	v_and_b32_e32 v19, 0xffff, v77
	v_and_b32_e32 v22, 0xffff, v58
	;;#ASMSTART
	v_cvt_f32_f16 v2, v2;
	;;#ASMEND
	;;#ASMSTART
	v_cvt_f32_f16 v3, v3;
	;;#ASMEND
	;;#ASMSTART
	v_cvt_f32_f16 v19, v19;
	;;#ASMEND
	;;#ASMSTART
	v_cvt_f32_f16 v22, v22;
	;;#ASMEND
	v_fmac_f32_e32 v84, v2, v19
	v_fmac_f32_e32 v8, v3, v22
	v_lshrrev_b32_e32 v3, 16, v99
	v_and_b32_e32 v2, 0xffff, v99
	v_and_b32_e32 v19, 0xffff, v57
	;; [unrolled: 18-line block ×3, first 2 shown]
	v_and_b32_e32 v22, 0xffff, v46
	;;#ASMSTART
	v_cvt_f32_f16 v2, v2;
	;;#ASMEND
	;;#ASMSTART
	v_cvt_f32_f16 v3, v3;
	;;#ASMEND
	;; [unrolled: 3-line block ×4, first 2 shown]
	ds_read_b128 v[97:100], v4 offset:80
	v_fmac_f32_e32 v1, v2, v19
	v_fmac_f32_e32 v0, v3, v22
	v_and_b32_e32 v19, 0xffff, v124
	v_and_b32_e32 v22, 0xffff, v123
	s_waitcnt lgkmcnt(0)
	v_lshrrev_b32_e32 v3, 16, v97
	v_and_b32_e32 v2, 0xffff, v97
	;;#ASMSTART
	v_cvt_f32_f16 v2, v2;
	;;#ASMEND
	;;#ASMSTART
	v_cvt_f32_f16 v3, v3;
	;;#ASMEND
	;;#ASMSTART
	v_cvt_f32_f16 v19, v19;
	;;#ASMEND
	;;#ASMSTART
	v_cvt_f32_f16 v22, v22;
	;;#ASMEND
	v_fmac_f32_e32 v69, v2, v19
	v_fmac_f32_e32 v83, v3, v22
	v_lshrrev_b32_e32 v3, 16, v98
	v_and_b32_e32 v2, 0xffff, v98
	v_and_b32_e32 v19, 0xffff, v108
	v_and_b32_e32 v22, 0xffff, v74
	;;#ASMSTART
	v_cvt_f32_f16 v2, v2;
	;;#ASMEND
	;;#ASMSTART
	v_cvt_f32_f16 v3, v3;
	;;#ASMEND
	;;#ASMSTART
	v_cvt_f32_f16 v19, v19;
	;;#ASMEND
	;;#ASMSTART
	v_cvt_f32_f16 v22, v22;
	;;#ASMEND
	v_fmac_f32_e32 v84, v2, v19
	v_fmac_f32_e32 v8, v3, v22
	v_lshrrev_b32_e32 v3, 16, v99
	v_and_b32_e32 v2, 0xffff, v99
	v_and_b32_e32 v19, 0xffff, v73
	;; [unrolled: 18-line block ×3, first 2 shown]
	v_and_b32_e32 v22, 0xffff, v62
	;;#ASMSTART
	v_cvt_f32_f16 v2, v2;
	;;#ASMEND
	;;#ASMSTART
	v_cvt_f32_f16 v3, v3;
	;;#ASMEND
	;; [unrolled: 3-line block ×4, first 2 shown]
	ds_read_b128 v[97:100], v4 offset:96
	v_fmac_f32_e32 v1, v2, v19
	v_fmac_f32_e32 v0, v3, v22
	v_and_b32_e32 v19, 0xffff, v96
	v_and_b32_e32 v22, 0xffff, v52
	s_waitcnt lgkmcnt(0)
	v_lshrrev_b32_e32 v3, 16, v97
	v_and_b32_e32 v2, 0xffff, v97
	;;#ASMSTART
	v_cvt_f32_f16 v2, v2;
	;;#ASMEND
	;;#ASMSTART
	v_cvt_f32_f16 v3, v3;
	;;#ASMEND
	;; [unrolled: 3-line block ×4, first 2 shown]
	v_fmac_f32_e32 v69, v2, v19
	v_fmac_f32_e32 v83, v3, v22
	v_lshrrev_b32_e32 v3, 16, v98
	v_and_b32_e32 v2, 0xffff, v98
	v_and_b32_e32 v19, 0xffff, v110
	;;#ASMSTART
	v_cvt_f32_f16 v2, v2;
	;;#ASMEND
	;;#ASMSTART
	v_cvt_f32_f16 v3, v3;
	;;#ASMEND
	;; [unrolled: 3-line block ×3, first 2 shown]
	v_and_b32_e32 v22, 0xffff, v104
	;;#ASMSTART
	v_cvt_f32_f16 v22, v22;
	;;#ASMEND
	v_fmac_f32_e32 v84, v2, v19
	v_fmac_f32_e32 v8, v3, v22
	v_lshrrev_b32_e32 v3, 16, v99
	v_and_b32_e32 v2, 0xffff, v99
	v_and_b32_e32 v19, 0xffff, v95
	;;#ASMSTART
	v_cvt_f32_f16 v2, v2;
	;;#ASMEND
	;;#ASMSTART
	v_cvt_f32_f16 v3, v3;
	;;#ASMEND
	;; [unrolled: 3-line block ×4, first 2 shown]
	v_fmac_f32_e32 v86, v2, v19
	v_fmac_f32_e32 v85, v3, v6
	v_lshrrev_b32_e32 v3, 16, v100
	v_and_b32_e32 v2, 0xffff, v100
	v_and_b32_e32 v6, 0xffff, v38
	;;#ASMSTART
	v_cvt_f32_f16 v2, v2;
	;;#ASMEND
	;;#ASMSTART
	v_cvt_f32_f16 v3, v3;
	;;#ASMEND
	;; [unrolled: 3-line block ×4, first 2 shown]
	ds_read_b128 v[96:99], v4 offset:112
	v_fmac_f32_e32 v1, v2, v6
	v_fmac_f32_e32 v0, v3, v15
	v_and_b32_e32 v6, 0xffff, v35
	v_and_b32_e32 v15, 0xffff, v55
	s_waitcnt lgkmcnt(0)
	v_lshrrev_b32_e32 v3, 16, v96
	v_and_b32_e32 v2, 0xffff, v96
	;;#ASMSTART
	v_cvt_f32_f16 v2, v2;
	;;#ASMEND
	;;#ASMSTART
	v_cvt_f32_f16 v3, v3;
	;;#ASMEND
	;; [unrolled: 3-line block ×4, first 2 shown]
	v_fmac_f32_e32 v69, v2, v6
	v_fmac_f32_e32 v83, v3, v15
	v_lshrrev_b32_e32 v3, 16, v97
	v_and_b32_e32 v2, 0xffff, v97
	v_and_b32_e32 v6, 0xffff, v51
	;;#ASMSTART
	v_cvt_f32_f16 v2, v2;
	;;#ASMEND
	;;#ASMSTART
	v_cvt_f32_f16 v3, v3;
	;;#ASMEND
	;; [unrolled: 3-line block ×3, first 2 shown]
	v_and_b32_e32 v15, 0xffff, v36
	;;#ASMSTART
	v_cvt_f32_f16 v15, v15;
	;;#ASMEND
	v_fmac_f32_e32 v84, v2, v6
	v_fmac_f32_e32 v8, v3, v15
	v_lshrrev_b32_e32 v3, 16, v98
	v_and_b32_e32 v2, 0xffff, v98
	v_and_b32_e32 v6, 0xffff, v34
	;;#ASMSTART
	v_cvt_f32_f16 v2, v2;
	;;#ASMEND
	;;#ASMSTART
	v_cvt_f32_f16 v3, v3;
	;;#ASMEND
	;; [unrolled: 3-line block ×3, first 2 shown]
	v_and_b32_e32 v15, 0xffff, v32
	;;#ASMSTART
	v_cvt_f32_f16 v15, v15;
	;;#ASMEND
	v_fmac_f32_e32 v86, v2, v6
	v_fmac_f32_e32 v85, v3, v15
	v_lshrrev_b32_e32 v3, 16, v99
	v_and_b32_e32 v2, 0xffff, v99
	v_and_b32_e32 v6, 0xffff, v10
	;; [unrolled: 1-line block ×3, first 2 shown]
	;;#ASMSTART
	v_cvt_f32_f16 v2, v2;
	;;#ASMEND
	;;#ASMSTART
	v_cvt_f32_f16 v3, v3;
	;;#ASMEND
	;; [unrolled: 3-line block ×4, first 2 shown]
	ds_read_b128 v[32:35], v4 offset:128
	v_fmac_f32_e32 v1, v2, v6
	v_fmac_f32_e32 v0, v3, v10
	v_and_b32_e32 v6, 0xffff, v37
	s_waitcnt lgkmcnt(0)
	v_lshrrev_b32_e32 v3, 16, v32
	v_and_b32_e32 v2, 0xffff, v32
	;;#ASMSTART
	v_cvt_f32_f16 v2, v2;
	;;#ASMEND
	;;#ASMSTART
	v_cvt_f32_f16 v3, v3;
	;;#ASMEND
	;;#ASMSTART
	v_cvt_f32_f16 v6, v6;
	;;#ASMEND
	;;#ASMSTART
	v_cvt_f32_f16 v9, v9;
	;;#ASMEND
	v_fmac_f32_e32 v69, v2, v6
	v_fmac_f32_e32 v83, v3, v9
	v_lshrrev_b32_e32 v3, 16, v33
	v_and_b32_e32 v2, 0xffff, v33
	v_and_b32_e32 v6, 0xffff, v67
	v_and_b32_e32 v9, 0xffff, v65
	;;#ASMSTART
	v_cvt_f32_f16 v2, v2;
	;;#ASMEND
	;;#ASMSTART
	v_cvt_f32_f16 v3, v3;
	;;#ASMEND
	;;#ASMSTART
	v_cvt_f32_f16 v6, v6;
	;;#ASMEND
	;;#ASMSTART
	v_cvt_f32_f16 v9, v9;
	;;#ASMEND
	v_fmac_f32_e32 v84, v2, v6
	v_fmac_f32_e32 v8, v3, v9
	v_lshrrev_b32_e32 v3, 16, v34
	v_and_b32_e32 v2, 0xffff, v34
	v_and_b32_e32 v6, 0xffff, v20
	;; [unrolled: 18-line block ×3, first 2 shown]
	v_and_b32_e32 v9, 0xffff, v49
	;;#ASMSTART
	v_cvt_f32_f16 v2, v2;
	;;#ASMEND
	;;#ASMSTART
	v_cvt_f32_f16 v3, v3;
	;;#ASMEND
	;; [unrolled: 3-line block ×4, first 2 shown]
	ds_read_b128 v[19:22], v4 offset:144
	v_fmac_f32_e32 v1, v2, v6
	v_fmac_f32_e32 v0, v3, v9
	v_and_b32_e32 v6, 0xffff, v18
	v_and_b32_e32 v9, 0xffff, v11
	s_waitcnt lgkmcnt(0)
	v_lshrrev_b32_e32 v3, 16, v19
	v_and_b32_e32 v2, 0xffff, v19
	;;#ASMSTART
	v_cvt_f32_f16 v2, v2;
	;;#ASMEND
	;;#ASMSTART
	v_cvt_f32_f16 v3, v3;
	;;#ASMEND
	;;#ASMSTART
	v_cvt_f32_f16 v6, v6;
	;;#ASMEND
	;;#ASMSTART
	v_cvt_f32_f16 v9, v9;
	;;#ASMEND
	v_fmac_f32_e32 v69, v2, v6
	v_fmac_f32_e32 v83, v3, v9
	v_lshrrev_b32_e32 v3, 16, v20
	v_and_b32_e32 v2, 0xffff, v20
	v_and_b32_e32 v6, 0xffff, v14
	v_and_b32_e32 v9, 0xffff, v26
	;;#ASMSTART
	v_cvt_f32_f16 v2, v2;
	;;#ASMEND
	;;#ASMSTART
	v_cvt_f32_f16 v3, v3;
	;;#ASMEND
	;;#ASMSTART
	v_cvt_f32_f16 v6, v6;
	;;#ASMEND
	;;#ASMSTART
	v_cvt_f32_f16 v9, v9;
	;;#ASMEND
	v_fmac_f32_e32 v84, v2, v6
	v_fmac_f32_e32 v8, v3, v9
	v_lshrrev_b32_e32 v3, 16, v21
	v_and_b32_e32 v2, 0xffff, v21
	v_and_b32_e32 v6, 0xffff, v66
	;; [unrolled: 18-line block ×3, first 2 shown]
	v_and_b32_e32 v9, 0xffff, v31
	;;#ASMSTART
	v_cvt_f32_f16 v2, v2;
	;;#ASMEND
	;;#ASMSTART
	v_cvt_f32_f16 v3, v3;
	;;#ASMEND
	;; [unrolled: 3-line block ×4, first 2 shown]
	v_fmac_f32_e32 v0, v3, v9
	ds_read_b128 v[9:12], v4 offset:160
	v_fmac_f32_e32 v1, v2, v6
	v_and_b32_e32 v6, 0xffff, v88
	s_waitcnt lgkmcnt(0)
	v_lshrrev_b32_e32 v3, 16, v9
	v_and_b32_e32 v2, 0xffff, v9
	;;#ASMSTART
	v_cvt_f32_f16 v2, v2;
	;;#ASMEND
	;;#ASMSTART
	v_cvt_f32_f16 v3, v3;
	;;#ASMEND
	v_and_b32_e32 v9, 0xffff, v48
	;;#ASMSTART
	v_cvt_f32_f16 v6, v6;
	;;#ASMEND
	;;#ASMSTART
	v_cvt_f32_f16 v9, v9;
	;;#ASMEND
	v_fmac_f32_e32 v69, v2, v6
	v_fmac_f32_e32 v83, v3, v9
	v_lshrrev_b32_e32 v3, 16, v10
	v_and_b32_e32 v2, 0xffff, v10
	;;#ASMSTART
	v_cvt_f32_f16 v2, v2;
	;;#ASMEND
	;;#ASMSTART
	v_cvt_f32_f16 v3, v3;
	;;#ASMEND
	v_and_b32_e32 v6, 0xffff, v24
	v_and_b32_e32 v9, 0xffff, v50
	;;#ASMSTART
	v_cvt_f32_f16 v6, v6;
	;;#ASMEND
	;;#ASMSTART
	v_cvt_f32_f16 v9, v9;
	;;#ASMEND
	v_fmac_f32_e32 v84, v2, v6
	v_fmac_f32_e32 v8, v3, v9
	v_lshrrev_b32_e32 v3, 16, v11
	v_and_b32_e32 v2, 0xffff, v11
	;;#ASMSTART
	v_cvt_f32_f16 v2, v2;
	;;#ASMEND
	;;#ASMSTART
	v_cvt_f32_f16 v3, v3;
	;;#ASMEND
	v_and_b32_e32 v6, 0xffff, v39
	v_and_b32_e32 v9, 0xffff, v70
	;;#ASMSTART
	v_cvt_f32_f16 v6, v6;
	;;#ASMEND
	;;#ASMSTART
	v_cvt_f32_f16 v9, v9;
	;;#ASMEND
	v_fmac_f32_e32 v85, v3, v9
	v_and_b32_e32 v3, 0xffff, v12
	v_fmac_f32_e32 v86, v2, v6
	v_lshrrev_b32_e32 v2, 16, v12
	;;#ASMSTART
	v_cvt_f32_f16 v6, v3;
	;;#ASMEND
	v_and_b32_e32 v3, 0xffff, v25
	v_and_b32_e32 v9, 0xffff, v125
	;;#ASMSTART
	v_cvt_f32_f16 v2, v2;
	;;#ASMEND
	;;#ASMSTART
	v_cvt_f32_f16 v3, v3;
	;;#ASMEND
	;;#ASMSTART
	v_cvt_f32_f16 v9, v9;
	;;#ASMEND
	v_fmac_f32_e32 v0, v2, v9
	ds_read_b128 v[9:12], v4 offset:176
	v_fmac_f32_e32 v1, v6, v3
	v_and_b32_e32 v6, 0xffff, v75
	s_waitcnt lgkmcnt(0)
	v_lshrrev_b32_e32 v3, 16, v9
	v_and_b32_e32 v2, 0xffff, v9
	v_and_b32_e32 v9, 0xffff, v76
	;;#ASMSTART
	v_cvt_f32_f16 v2, v2;
	;;#ASMEND
	;;#ASMSTART
	v_cvt_f32_f16 v3, v3;
	;;#ASMEND
	;;#ASMSTART
	v_cvt_f32_f16 v6, v6;
	;;#ASMEND
	;;#ASMSTART
	v_cvt_f32_f16 v9, v9;
	;;#ASMEND
	v_fmac_f32_e32 v69, v2, v6
	v_fmac_f32_e32 v83, v3, v9
	v_lshrrev_b32_e32 v3, 16, v10
	v_and_b32_e32 v2, 0xffff, v10
	v_and_b32_e32 v6, 0xffff, v79
	v_and_b32_e32 v9, 0xffff, v111
	;;#ASMSTART
	v_cvt_f32_f16 v2, v2;
	;;#ASMEND
	;;#ASMSTART
	v_cvt_f32_f16 v3, v3;
	;;#ASMEND
	;;#ASMSTART
	v_cvt_f32_f16 v6, v6;
	;;#ASMEND
	;;#ASMSTART
	v_cvt_f32_f16 v9, v9;
	;;#ASMEND
	v_fmac_f32_e32 v84, v2, v6
	v_fmac_f32_e32 v8, v3, v9
	v_lshrrev_b32_e32 v3, 16, v11
	v_and_b32_e32 v2, 0xffff, v11
	;; [unrolled: 18-line block ×3, first 2 shown]
	v_and_b32_e32 v6, 0xffff, v106
	v_and_b32_e32 v9, 0xffff, v105
	;;#ASMSTART
	v_cvt_f32_f16 v2, v2;
	;;#ASMEND
	;;#ASMSTART
	v_cvt_f32_f16 v3, v3;
	;;#ASMEND
	;; [unrolled: 3-line block ×4, first 2 shown]
	v_fmac_f32_e32 v0, v3, v9
	ds_read_b128 v[9:12], v4 offset:192
	v_fmac_f32_e32 v1, v2, v6
	v_and_b32_e32 v6, 0xffff, v91
	s_waitcnt lgkmcnt(0)
	v_lshrrev_b32_e32 v3, 16, v9
	v_and_b32_e32 v2, 0xffff, v9
	;;#ASMSTART
	v_cvt_f32_f16 v2, v2;
	;;#ASMEND
	;;#ASMSTART
	v_cvt_f32_f16 v3, v3;
	;;#ASMEND
	;; [unrolled: 3-line block ×3, first 2 shown]
	buffer_load_dword v9, off, s[0:3], s32 offset:268 ; 4-byte Folded Reload
	v_fmac_f32_e32 v69, v2, v6
	v_and_b32_e32 v2, 0xffff, v10
	s_waitcnt vmcnt(0)
	v_and_b32_e32 v9, 0xffff, v9
	;;#ASMSTART
	v_cvt_f32_f16 v9, v9;
	;;#ASMEND
	v_fmac_f32_e32 v83, v3, v9
	v_lshrrev_b32_e32 v3, 16, v10
	;;#ASMSTART
	v_cvt_f32_f16 v2, v2;
	;;#ASMEND
	;;#ASMSTART
	v_cvt_f32_f16 v3, v3;
	;;#ASMEND
	buffer_load_dword v6, off, s[0:3], s32 offset:264 ; 4-byte Folded Reload
	s_waitcnt vmcnt(0)
	v_and_b32_e32 v6, 0xffff, v6
	;;#ASMSTART
	v_cvt_f32_f16 v6, v6;
	;;#ASMEND
	buffer_load_dword v9, off, s[0:3], s32 offset:260 ; 4-byte Folded Reload
	v_fmac_f32_e32 v84, v2, v6
	v_and_b32_e32 v2, 0xffff, v11
	s_waitcnt vmcnt(0)
	v_and_b32_e32 v9, 0xffff, v9
	;;#ASMSTART
	v_cvt_f32_f16 v9, v9;
	;;#ASMEND
	v_fmac_f32_e32 v8, v3, v9
	v_lshrrev_b32_e32 v3, 16, v11
	;;#ASMSTART
	v_cvt_f32_f16 v2, v2;
	;;#ASMEND
	;;#ASMSTART
	v_cvt_f32_f16 v3, v3;
	;;#ASMEND
	buffer_load_dword v6, off, s[0:3], s32 offset:256 ; 4-byte Folded Reload
	s_waitcnt vmcnt(0)
	v_and_b32_e32 v6, 0xffff, v6
	;;#ASMSTART
	v_cvt_f32_f16 v6, v6;
	;;#ASMEND
	;; [unrolled: 22-line block ×3, first 2 shown]
	buffer_load_dword v9, off, s[0:3], s32 offset:244 ; 4-byte Folded Reload
	v_fmac_f32_e32 v1, v2, v6
	v_and_b32_e32 v6, 0xffff, v82
	s_waitcnt vmcnt(0)
	v_and_b32_e32 v9, 0xffff, v9
	;;#ASMSTART
	v_cvt_f32_f16 v9, v9;
	;;#ASMEND
	v_fmac_f32_e32 v0, v3, v9
	ds_read_b128 v[9:12], v4 offset:208
	s_waitcnt lgkmcnt(0)
	v_lshrrev_b32_e32 v3, 16, v9
	v_and_b32_e32 v2, 0xffff, v9
	;;#ASMSTART
	v_cvt_f32_f16 v2, v2;
	;;#ASMEND
	;;#ASMSTART
	v_cvt_f32_f16 v3, v3;
	;;#ASMEND
	v_and_b32_e32 v9, 0xffff, v81
	;;#ASMSTART
	v_cvt_f32_f16 v6, v6;
	;;#ASMEND
	;;#ASMSTART
	v_cvt_f32_f16 v9, v9;
	;;#ASMEND
	v_fmac_f32_e32 v69, v2, v6
	v_fmac_f32_e32 v83, v3, v9
	v_lshrrev_b32_e32 v3, 16, v10
	v_and_b32_e32 v2, 0xffff, v10
	;;#ASMSTART
	v_cvt_f32_f16 v2, v2;
	;;#ASMEND
	;;#ASMSTART
	v_cvt_f32_f16 v3, v3;
	;;#ASMEND
	buffer_load_dword v6, off, s[0:3], s32 offset:240 ; 4-byte Folded Reload
	s_waitcnt vmcnt(0)
	v_and_b32_e32 v6, 0xffff, v6
	;;#ASMSTART
	v_cvt_f32_f16 v6, v6;
	;;#ASMEND
	buffer_load_dword v9, off, s[0:3], s32 offset:236 ; 4-byte Folded Reload
	v_fmac_f32_e32 v84, v2, v6
	v_and_b32_e32 v2, 0xffff, v11
	v_and_b32_e32 v6, 0xffff, v93
	s_waitcnt vmcnt(0)
	v_and_b32_e32 v9, 0xffff, v9
	;;#ASMSTART
	v_cvt_f32_f16 v9, v9;
	;;#ASMEND
	v_fmac_f32_e32 v8, v3, v9
	v_lshrrev_b32_e32 v3, 16, v11
	;;#ASMSTART
	v_cvt_f32_f16 v2, v2;
	;;#ASMEND
	;;#ASMSTART
	v_cvt_f32_f16 v3, v3;
	;;#ASMEND
	;; [unrolled: 3-line block ×3, first 2 shown]
	v_and_b32_e32 v9, 0xffff, v28
	v_fmac_f32_e32 v86, v2, v6
	v_and_b32_e32 v2, 0xffff, v12
	;;#ASMSTART
	v_cvt_f32_f16 v9, v9;
	;;#ASMEND
	v_fmac_f32_e32 v85, v3, v9
	v_lshrrev_b32_e32 v3, 16, v12
	;;#ASMSTART
	v_cvt_f32_f16 v2, v2;
	;;#ASMEND
	v_and_b32_e32 v6, 0xffff, v27
	;;#ASMSTART
	v_cvt_f32_f16 v3, v3;
	;;#ASMEND
	;;#ASMSTART
	v_cvt_f32_f16 v6, v6;
	;;#ASMEND
	v_fmac_f32_e32 v1, v2, v6
	v_add_f32_e32 v2, v69, v83
	v_and_b32_e32 v9, 0xffff, v92
	;;#ASMSTART
	v_cvt_f32_f16 v9, v9;
	;;#ASMEND
	v_fmac_f32_e32 v0, v3, v9
	buffer_load_dword v14, off, s[0:3], s32 offset:232 ; 4-byte Folded Reload
	v_add_f32_e32 v2, v2, v84
	v_add_f32_e32 v2, v8, v2
	;; [unrolled: 1-line block ×6, first 2 shown]
	buffer_load_dword v1, off, s[0:3], s32 offset:288 ; 4-byte Folded Reload
	s_waitcnt vmcnt(0)
	v_fmac_f32_e32 v7, v1, v0
	v_cndmask_b32_e64 v0, 0, v7, s5
	ds_write_b32 v71, v0
	v_max_f32_e32 v0, v14, v14
	v_max_f32_e32 v0, v0, v7
	v_cndmask_b32_e64 v14, v14, v0, s5
.LBB279_14:                             ;   in Loop: Header=BB279_15 Depth=1
	s_or_b32 exec_lo, exec_lo, s6
	buffer_load_dword v0, off, s[0:3], s32 offset:220 ; 4-byte Folded Reload
	v_add_nc_u32_e32 v68, 4, v68
	v_add_co_u32 v16, s6, v16, 16
	v_add_nc_u32_e32 v5, 0x80, v5
	v_add_nc_u32_e32 v90, 0x200, v90
	v_add_co_ci_u32_e64 v17, null, 0, v17, s6
	s_waitcnt vmcnt(0)
	v_cmp_ge_i32_e64 s5, v68, v0
	s_or_b32 s19, s5, s19
	s_andn2_b32 exec_lo, exec_lo, s19
	s_cbranch_execz .LBB279_911
.LBB279_15:                             ; =>This Inner Loop Header: Depth=1
	s_clause 0x1
	buffer_load_dword v0, off, s[0:3], s32 offset:200
	buffer_load_dword v6, off, s[0:3], s32 offset:212
	s_waitcnt vmcnt(1)
	v_mul_hi_u32 v0, v5, v0
	s_waitcnt vmcnt(0)
	v_mul_lo_u32 v1, v0, v6
	v_add_nc_u32_e32 v2, 1, v0
	v_sub_nc_u32_e32 v1, v5, v1
	v_sub_nc_u32_e32 v3, v1, v6
	v_cmp_ge_u32_e64 s5, v1, v6
	v_cndmask_b32_e64 v1, v1, v3, s5
	v_cndmask_b32_e64 v0, v0, v2, s5
	v_cmp_ge_u32_e64 s5, v1, v6
	buffer_load_dword v1, off, s[0:3], s32 offset:216 ; 4-byte Folded Reload
	v_add_nc_u32_e32 v2, 1, v0
	v_cndmask_b32_e64 v0, v0, v2, s5
	s_waitcnt vmcnt(0)
	v_xor_b32_e32 v0, v0, v1
	v_sub_nc_u32_e32 v0, v0, v1
	s_clause 0x3
	buffer_load_dword v1, off, s[0:3], s32 offset:192
	buffer_load_dword v2, off, s[0:3], s32 offset:196
	;; [unrolled: 1-line block ×4, first 2 shown]
	s_waitcnt vmcnt(3)
	v_add_nc_u32_e32 v1, v0, v1
	s_waitcnt vmcnt(2)
	v_sub_nc_u32_e32 v2, 0, v1
	v_max_i32_e32 v2, v1, v2
	v_ashrrev_i32_e32 v1, 31, v1
	s_waitcnt vmcnt(1)
	v_mul_hi_u32 v3, v2, v3
	s_waitcnt vmcnt(0)
	v_mul_lo_u32 v3, v3, v6
	v_sub_nc_u32_e32 v2, v2, v3
	v_sub_nc_u32_e32 v3, v2, v6
	v_cmp_ge_u32_e64 s5, v2, v6
	v_cndmask_b32_e64 v2, v2, v3, s5
	v_sub_nc_u32_e32 v3, v2, v6
	v_cmp_ge_u32_e64 s5, v2, v6
	v_cndmask_b32_e64 v2, v2, v3, s5
	v_xor_b32_e32 v2, v2, v1
	v_sub_nc_u32_e32 v1, v2, v1
	v_cmp_ne_u32_e64 s5, 0, v1
	buffer_load_dword v1, off, s[0:3], s32 offset:204 ; 4-byte Folded Reload
	s_waitcnt vmcnt(0)
	v_cmp_le_i32_e64 s6, v0, v1
	s_and_b32 s5, s5, s6
	s_and_saveexec_b32 s6, s5
	s_xor_b32 s5, exec_lo, s6
	s_cbranch_execz .LBB279_17
; %bb.16:                               ;   in Loop: Header=BB279_15 Depth=1
	s_waitcnt lgkmcnt(0)
	v_add_nc_u32_e32 v0, s18, v90
	v_mov_b32_e32 v1, 0xff7fffff
	ds_write_b32 v0, v1
.LBB279_17:                             ;   in Loop: Header=BB279_15 Depth=1
	s_andn2_saveexec_b32 s6, s5
	s_cbranch_execz .LBB279_14
; %bb.18:                               ;   in Loop: Header=BB279_15 Depth=1
	buffer_store_dword v14, off, s[0:3], s32 offset:232 ; 4-byte Folded Spill
	flat_load_dword v0, v[16:17]
	s_clause 0x2
	buffer_load_dword v1, off, s[0:3], s32 offset:208
	buffer_load_dword v2, off, s[0:3], s32 offset:292
	;; [unrolled: 1-line block ×3, first 2 shown]
	v_mov_b32_e32 v33, 0
	v_mov_b32_e32 v122, 0
	s_waitcnt vmcnt(0) lgkmcnt(0)
	v_mad_i64_i32 v[24:25], null, v0, v1, v[2:3]
	flat_load_dwordx2 v[27:28], v[24:25]
	s_clause 0x1
	buffer_load_dword v0, off, s[0:3], s32 offset:280
	buffer_load_dword v1, off, s[0:3], s32 offset:284
	s_waitcnt vmcnt(2) lgkmcnt(0)
	v_cmp_ne_u16_sdwa s5, v27, v4 src0_sel:BYTE_0 src1_sel:DWORD
	s_waitcnt vmcnt(0)
	flat_load_dword v69, v[0:1]
	s_and_saveexec_b32 s20, s5
	s_cbranch_execz .LBB279_26
; %bb.19:                               ;   in Loop: Header=BB279_15 Depth=1
	v_cmp_ne_u16_sdwa s5, v27, v80 src0_sel:BYTE_0 src1_sel:DWORD
	v_mov_b32_e32 v122, 0x8000
	s_and_saveexec_b32 s21, s5
	s_cbranch_execz .LBB279_25
; %bb.20:                               ;   in Loop: Header=BB279_15 Depth=1
	v_and_b32_e32 v2, 0x7f, v27
	v_mov_b32_e32 v122, 0x7c01
	s_mov_b32 s22, exec_lo
	v_cmpx_ne_u32_e32 0x7f, v2
	s_cbranch_execz .LBB279_24
; %bb.21:                               ;   in Loop: Header=BB279_15 Depth=1
	v_and_b32_e32 v0, 7, v27
	v_lshrrev_b32_e32 v1, 3, v2
	s_mov_b32 s23, exec_lo
	v_cmpx_gt_u32_e32 8, v2
; %bb.22:                               ;   in Loop: Header=BB279_15 Depth=1
	v_ffbh_u32_e32 v0, v0
	v_min_u32_e32 v2, 32, v0
	v_subrev_nc_u32_e32 v0, 28, v2
	v_lshlrev_b64 v[0:1], v0, v[27:28]
	v_sub_nc_u32_e32 v1, 29, v2
	v_and_b32_e32 v0, 7, v0
; %bb.23:                               ;   in Loop: Header=BB279_15 Depth=1
	s_or_b32 exec_lo, exec_lo, s23
	v_lshlrev_b32_e32 v2, 8, v27
	v_lshl_add_u32 v1, v1, 10, 0x2000
	v_lshlrev_b32_e32 v0, 7, v0
	v_and_b32_e32 v2, 0x8000, v2
	v_and_b32_e32 v1, 0xfc00, v1
	v_or3_b32 v122, v2, v1, v0
.LBB279_24:                             ;   in Loop: Header=BB279_15 Depth=1
	s_or_b32 exec_lo, exec_lo, s22
.LBB279_25:                             ;   in Loop: Header=BB279_15 Depth=1
	s_or_b32 exec_lo, exec_lo, s21
.LBB279_26:                             ;   in Loop: Header=BB279_15 Depth=1
	s_or_b32 exec_lo, exec_lo, s20
	v_lshrrev_b16 v3, 8, v27
	s_mov_b32 s20, exec_lo
	v_cmpx_ne_u16_e32 0, v3
	s_cbranch_execz .LBB279_34
; %bb.27:                               ;   in Loop: Header=BB279_15 Depth=1
	v_bfrev_b32_e32 v33, 1
	s_mov_b32 s21, exec_lo
	v_cmpx_ne_u16_e32 0x80, v3
	s_cbranch_execz .LBB279_33
; %bb.28:                               ;   in Loop: Header=BB279_15 Depth=1
	v_mov_b32_e32 v0, 0x7f
	v_mov_b32_e32 v33, 0x7c010000
	s_mov_b32 s22, exec_lo
	v_and_b32_sdwa v2, v3, v0 dst_sel:DWORD dst_unused:UNUSED_PAD src0_sel:WORD_0 src1_sel:DWORD
	v_cmpx_ne_u32_e32 0x7f, v2
	s_cbranch_execz .LBB279_32
; %bb.29:                               ;   in Loop: Header=BB279_15 Depth=1
	v_mov_b32_e32 v0, 7
	v_lshrrev_b32_e32 v1, 3, v2
	s_mov_b32 s23, exec_lo
	v_and_b32_sdwa v0, v3, v0 dst_sel:DWORD dst_unused:UNUSED_PAD src0_sel:WORD_0 src1_sel:DWORD
	v_cmpx_gt_u32_e32 8, v2
; %bb.30:                               ;   in Loop: Header=BB279_15 Depth=1
	v_ffbh_u32_e32 v0, v0
	v_min_u32_e32 v2, 32, v0
	v_subrev_nc_u32_e32 v0, 28, v2
	v_lshlrev_b64 v[0:1], v0, v[3:4]
	v_sub_nc_u32_e32 v1, 29, v2
	v_and_b32_e32 v0, 7, v0
; %bb.31:                               ;   in Loop: Header=BB279_15 Depth=1
	s_or_b32 exec_lo, exec_lo, s23
	v_mov_b32_e32 v2, 8
	v_lshl_add_u32 v1, v1, 10, 0x2000
	v_lshlrev_b32_e32 v0, 23, v0
	v_lshlrev_b32_sdwa v2, v2, v3 dst_sel:DWORD dst_unused:UNUSED_PAD src0_sel:DWORD src1_sel:WORD_0
	v_and_or_b32 v1, 0x8000, v2, v1
	v_lshl_or_b32 v33, v1, 16, v0
.LBB279_32:                             ;   in Loop: Header=BB279_15 Depth=1
	s_or_b32 exec_lo, exec_lo, s22
.LBB279_33:                             ;   in Loop: Header=BB279_15 Depth=1
	s_or_b32 exec_lo, exec_lo, s21
.LBB279_34:                             ;   in Loop: Header=BB279_15 Depth=1
	s_or_b32 exec_lo, exec_lo, s20
	v_lshrrev_b32_e32 v3, 16, v27
	v_mov_b32_e32 v94, 0
	v_mov_b32_e32 v126, 0
	v_cmp_ne_u16_sdwa s5, v3, v4 src0_sel:BYTE_0 src1_sel:DWORD
	s_and_saveexec_b32 s20, s5
	s_cbranch_execz .LBB279_42
; %bb.35:                               ;   in Loop: Header=BB279_15 Depth=1
	v_cmp_ne_u16_sdwa s5, v3, v80 src0_sel:BYTE_0 src1_sel:DWORD
	v_mov_b32_e32 v126, 0x8000
	s_and_saveexec_b32 s21, s5
	s_cbranch_execz .LBB279_41
; %bb.36:                               ;   in Loop: Header=BB279_15 Depth=1
	v_bfe_u32 v2, v27, 16, 7
	v_mov_b32_e32 v126, 0x7c01
	s_mov_b32 s22, exec_lo
	v_cmpx_ne_u32_e32 0x7f, v2
	s_cbranch_execz .LBB279_40
; %bb.37:                               ;   in Loop: Header=BB279_15 Depth=1
	v_and_b32_e32 v0, 7, v3
	v_lshrrev_b32_e32 v1, 3, v2
	s_mov_b32 s23, exec_lo
	v_cmpx_gt_u32_e32 8, v2
; %bb.38:                               ;   in Loop: Header=BB279_15 Depth=1
	v_ffbh_u32_e32 v0, v0
	v_min_u32_e32 v2, 32, v0
	v_subrev_nc_u32_e32 v0, 28, v2
	v_lshlrev_b64 v[0:1], v0, v[3:4]
	v_sub_nc_u32_e32 v1, 29, v2
	v_and_b32_e32 v0, 7, v0
; %bb.39:                               ;   in Loop: Header=BB279_15 Depth=1
	s_or_b32 exec_lo, exec_lo, s23
	v_lshlrev_b32_e32 v2, 8, v3
	v_lshl_add_u32 v1, v1, 10, 0x2000
	v_lshlrev_b32_e32 v0, 7, v0
	v_and_b32_e32 v2, 0x8000, v2
	v_and_b32_e32 v1, 0xfc00, v1
	v_or3_b32 v126, v2, v1, v0
.LBB279_40:                             ;   in Loop: Header=BB279_15 Depth=1
	s_or_b32 exec_lo, exec_lo, s22
.LBB279_41:                             ;   in Loop: Header=BB279_15 Depth=1
	s_or_b32 exec_lo, exec_lo, s21
.LBB279_42:                             ;   in Loop: Header=BB279_15 Depth=1
	s_or_b32 exec_lo, exec_lo, s20
	s_mov_b32 s20, exec_lo
	v_cmpx_lt_u32_e32 0xffffff, v27
	s_cbranch_execz .LBB279_50
; %bb.43:                               ;   in Loop: Header=BB279_15 Depth=1
	v_lshrrev_b32_e32 v3, 24, v27
	v_bfrev_b32_e32 v94, 1
	s_mov_b32 s21, exec_lo
	v_cmpx_ne_u32_e32 0x80, v3
	s_cbranch_execz .LBB279_49
; %bb.44:                               ;   in Loop: Header=BB279_15 Depth=1
	v_and_b32_e32 v2, 0x7f, v3
	v_mov_b32_e32 v94, 0x7c010000
	s_mov_b32 s22, exec_lo
	v_cmpx_ne_u32_e32 0x7f, v2
	s_cbranch_execz .LBB279_48
; %bb.45:                               ;   in Loop: Header=BB279_15 Depth=1
	v_and_b32_e32 v0, 7, v3
	v_lshrrev_b32_e32 v1, 3, v2
	s_mov_b32 s23, exec_lo
	v_cmpx_gt_u32_e32 8, v2
; %bb.46:                               ;   in Loop: Header=BB279_15 Depth=1
	v_ffbh_u32_e32 v0, v0
	v_min_u32_e32 v2, 32, v0
	v_subrev_nc_u32_e32 v0, 28, v2
	v_lshlrev_b64 v[0:1], v0, v[3:4]
	v_sub_nc_u32_e32 v1, 29, v2
	v_and_b32_e32 v0, 7, v0
; %bb.47:                               ;   in Loop: Header=BB279_15 Depth=1
	s_or_b32 exec_lo, exec_lo, s23
	v_lshlrev_b32_e32 v2, 8, v3
	v_lshl_add_u32 v1, v1, 10, 0x2000
	v_lshlrev_b32_e32 v0, 23, v0
	v_and_or_b32 v1, 0x8000, v2, v1
	v_lshl_or_b32 v94, v1, 16, v0
.LBB279_48:                             ;   in Loop: Header=BB279_15 Depth=1
	s_or_b32 exec_lo, exec_lo, s22
.LBB279_49:                             ;   in Loop: Header=BB279_15 Depth=1
	s_or_b32 exec_lo, exec_lo, s21
.LBB279_50:                             ;   in Loop: Header=BB279_15 Depth=1
	s_or_b32 exec_lo, exec_lo, s20
	v_mov_b32_e32 v3, v28
	v_cmp_ne_u16_sdwa s5, v28, v4 src0_sel:BYTE_0 src1_sel:DWORD
	v_mov_b32_e32 v120, 0
	v_mov_b32_e32 v121, 0
	s_and_saveexec_b32 s20, s5
	s_cbranch_execz .LBB279_58
; %bb.51:                               ;   in Loop: Header=BB279_15 Depth=1
	v_cmp_ne_u16_sdwa s5, v28, v80 src0_sel:BYTE_0 src1_sel:DWORD
	v_mov_b32_e32 v121, 0x8000
	s_and_saveexec_b32 s21, s5
	s_cbranch_execz .LBB279_57
; %bb.52:                               ;   in Loop: Header=BB279_15 Depth=1
	v_and_b32_e32 v2, 0x7f, v28
	v_mov_b32_e32 v121, 0x7c01
	s_mov_b32 s22, exec_lo
	v_cmpx_ne_u32_e32 0x7f, v2
	s_cbranch_execz .LBB279_56
; %bb.53:                               ;   in Loop: Header=BB279_15 Depth=1
	v_and_b32_e32 v0, 7, v28
	v_lshrrev_b32_e32 v1, 3, v2
	s_mov_b32 s23, exec_lo
	v_cmpx_gt_u32_e32 8, v2
; %bb.54:                               ;   in Loop: Header=BB279_15 Depth=1
	v_ffbh_u32_e32 v0, v0
	v_min_u32_e32 v2, 32, v0
	v_subrev_nc_u32_e32 v0, 28, v2
	v_lshlrev_b64 v[0:1], v0, v[3:4]
	v_sub_nc_u32_e32 v1, 29, v2
	v_and_b32_e32 v0, 7, v0
; %bb.55:                               ;   in Loop: Header=BB279_15 Depth=1
	s_or_b32 exec_lo, exec_lo, s23
	v_lshlrev_b32_e32 v2, 8, v28
	v_lshl_add_u32 v1, v1, 10, 0x2000
	v_lshlrev_b32_e32 v0, 7, v0
	v_and_b32_e32 v2, 0x8000, v2
	v_and_b32_e32 v1, 0xfc00, v1
	v_or3_b32 v121, v2, v1, v0
.LBB279_56:                             ;   in Loop: Header=BB279_15 Depth=1
	s_or_b32 exec_lo, exec_lo, s22
.LBB279_57:                             ;   in Loop: Header=BB279_15 Depth=1
	s_or_b32 exec_lo, exec_lo, s21
.LBB279_58:                             ;   in Loop: Header=BB279_15 Depth=1
	s_or_b32 exec_lo, exec_lo, s20
	v_lshrrev_b16 v3, 8, v3
	v_mov_b32_e32 v84, 0
	s_mov_b32 s20, exec_lo
	v_cmpx_ne_u16_e32 0, v3
	s_cbranch_execz .LBB279_66
; %bb.59:                               ;   in Loop: Header=BB279_15 Depth=1
	v_bfrev_b32_e32 v84, 1
	s_mov_b32 s21, exec_lo
	v_cmpx_ne_u16_e32 0x80, v3
	s_cbranch_execz .LBB279_65
; %bb.60:                               ;   in Loop: Header=BB279_15 Depth=1
	v_mov_b32_e32 v0, 0x7f
	v_mov_b32_e32 v84, 0x7c010000
	s_mov_b32 s22, exec_lo
	v_and_b32_sdwa v2, v3, v0 dst_sel:DWORD dst_unused:UNUSED_PAD src0_sel:WORD_0 src1_sel:DWORD
	v_cmpx_ne_u32_e32 0x7f, v2
	s_cbranch_execz .LBB279_64
; %bb.61:                               ;   in Loop: Header=BB279_15 Depth=1
	v_mov_b32_e32 v0, 7
	v_lshrrev_b32_e32 v1, 3, v2
	s_mov_b32 s23, exec_lo
	v_and_b32_sdwa v0, v3, v0 dst_sel:DWORD dst_unused:UNUSED_PAD src0_sel:WORD_0 src1_sel:DWORD
	v_cmpx_gt_u32_e32 8, v2
; %bb.62:                               ;   in Loop: Header=BB279_15 Depth=1
	v_ffbh_u32_e32 v0, v0
	v_min_u32_e32 v2, 32, v0
	v_subrev_nc_u32_e32 v0, 28, v2
	v_lshlrev_b64 v[0:1], v0, v[3:4]
	v_sub_nc_u32_e32 v1, 29, v2
	v_and_b32_e32 v0, 7, v0
; %bb.63:                               ;   in Loop: Header=BB279_15 Depth=1
	s_or_b32 exec_lo, exec_lo, s23
	v_mov_b32_e32 v2, 8
	v_lshl_add_u32 v1, v1, 10, 0x2000
	v_lshlrev_b32_e32 v0, 23, v0
	v_lshlrev_b32_sdwa v2, v2, v3 dst_sel:DWORD dst_unused:UNUSED_PAD src0_sel:DWORD src1_sel:WORD_0
	v_and_or_b32 v1, 0x8000, v2, v1
	v_lshl_or_b32 v84, v1, 16, v0
.LBB279_64:                             ;   in Loop: Header=BB279_15 Depth=1
	s_or_b32 exec_lo, exec_lo, s22
.LBB279_65:                             ;   in Loop: Header=BB279_15 Depth=1
	s_or_b32 exec_lo, exec_lo, s21
.LBB279_66:                             ;   in Loop: Header=BB279_15 Depth=1
	s_or_b32 exec_lo, exec_lo, s20
	v_lshrrev_b32_e32 v3, 16, v28
	v_cmp_ne_u16_sdwa s5, v3, v4 src0_sel:BYTE_0 src1_sel:DWORD
	s_and_saveexec_b32 s20, s5
	s_cbranch_execz .LBB279_74
; %bb.67:                               ;   in Loop: Header=BB279_15 Depth=1
	v_cmp_ne_u16_sdwa s5, v3, v80 src0_sel:BYTE_0 src1_sel:DWORD
	v_mov_b32_e32 v120, 0x8000
	s_and_saveexec_b32 s21, s5
	s_cbranch_execz .LBB279_73
; %bb.68:                               ;   in Loop: Header=BB279_15 Depth=1
	v_bfe_u32 v2, v28, 16, 7
	v_mov_b32_e32 v120, 0x7c01
	s_mov_b32 s22, exec_lo
	v_cmpx_ne_u32_e32 0x7f, v2
	s_cbranch_execz .LBB279_72
; %bb.69:                               ;   in Loop: Header=BB279_15 Depth=1
	v_and_b32_e32 v0, 7, v3
	v_lshrrev_b32_e32 v1, 3, v2
	s_mov_b32 s23, exec_lo
	v_cmpx_gt_u32_e32 8, v2
; %bb.70:                               ;   in Loop: Header=BB279_15 Depth=1
	v_ffbh_u32_e32 v0, v0
	v_min_u32_e32 v2, 32, v0
	v_subrev_nc_u32_e32 v0, 28, v2
	v_lshlrev_b64 v[0:1], v0, v[3:4]
	v_sub_nc_u32_e32 v1, 29, v2
	v_and_b32_e32 v0, 7, v0
; %bb.71:                               ;   in Loop: Header=BB279_15 Depth=1
	s_or_b32 exec_lo, exec_lo, s23
	v_lshlrev_b32_e32 v2, 8, v3
	v_lshl_add_u32 v1, v1, 10, 0x2000
	v_lshlrev_b32_e32 v0, 7, v0
	v_and_b32_e32 v2, 0x8000, v2
	v_and_b32_e32 v1, 0xfc00, v1
	v_or3_b32 v120, v2, v1, v0
.LBB279_72:                             ;   in Loop: Header=BB279_15 Depth=1
	s_or_b32 exec_lo, exec_lo, s22
.LBB279_73:                             ;   in Loop: Header=BB279_15 Depth=1
	s_or_b32 exec_lo, exec_lo, s21
.LBB279_74:                             ;   in Loop: Header=BB279_15 Depth=1
	s_or_b32 exec_lo, exec_lo, s20
	v_mov_b32_e32 v86, 0
	v_mov_b32_e32 v85, 0
	s_mov_b32 s20, exec_lo
	v_cmpx_lt_u64_e64 s[12:13], v[27:28]
	s_cbranch_execz .LBB279_82
; %bb.75:                               ;   in Loop: Header=BB279_15 Depth=1
	v_lshrrev_b32_e32 v3, 24, v28
	v_bfrev_b32_e32 v85, 1
	s_mov_b32 s21, exec_lo
	v_cmpx_ne_u32_e32 0x80, v3
	s_cbranch_execz .LBB279_81
; %bb.76:                               ;   in Loop: Header=BB279_15 Depth=1
	v_and_b32_e32 v2, 0x7f, v3
	v_mov_b32_e32 v85, 0x7c010000
	s_mov_b32 s22, exec_lo
	v_cmpx_ne_u32_e32 0x7f, v2
	s_cbranch_execz .LBB279_80
; %bb.77:                               ;   in Loop: Header=BB279_15 Depth=1
	v_and_b32_e32 v0, 7, v3
	v_lshrrev_b32_e32 v1, 3, v2
	s_mov_b32 s23, exec_lo
	v_cmpx_gt_u32_e32 8, v2
; %bb.78:                               ;   in Loop: Header=BB279_15 Depth=1
	v_ffbh_u32_e32 v0, v0
	v_min_u32_e32 v2, 32, v0
	v_subrev_nc_u32_e32 v0, 28, v2
	v_lshlrev_b64 v[0:1], v0, v[3:4]
	v_sub_nc_u32_e32 v1, 29, v2
	v_and_b32_e32 v0, 7, v0
; %bb.79:                               ;   in Loop: Header=BB279_15 Depth=1
	s_or_b32 exec_lo, exec_lo, s23
	v_lshlrev_b32_e32 v2, 8, v3
	v_lshl_add_u32 v1, v1, 10, 0x2000
	v_lshlrev_b32_e32 v0, 23, v0
	v_and_or_b32 v1, 0x8000, v2, v1
	v_lshl_or_b32 v85, v1, 16, v0
.LBB279_80:                             ;   in Loop: Header=BB279_15 Depth=1
	s_or_b32 exec_lo, exec_lo, s22
.LBB279_81:                             ;   in Loop: Header=BB279_15 Depth=1
	s_or_b32 exec_lo, exec_lo, s21
.LBB279_82:                             ;   in Loop: Header=BB279_15 Depth=1
	s_or_b32 exec_lo, exec_lo, s20
	flat_load_dwordx2 v[27:28], v[24:25] offset:8
	s_waitcnt vmcnt(0) lgkmcnt(0)
	v_cmp_ne_u16_sdwa s5, v27, v4 src0_sel:BYTE_0 src1_sel:DWORD
	s_and_saveexec_b32 s20, s5
	s_cbranch_execz .LBB279_90
; %bb.83:                               ;   in Loop: Header=BB279_15 Depth=1
	v_cmp_ne_u16_sdwa s5, v27, v80 src0_sel:BYTE_0 src1_sel:DWORD
	v_mov_b32_e32 v86, 0x8000
	s_and_saveexec_b32 s21, s5
	s_cbranch_execz .LBB279_89
; %bb.84:                               ;   in Loop: Header=BB279_15 Depth=1
	v_and_b32_e32 v2, 0x7f, v27
	v_mov_b32_e32 v86, 0x7c01
	s_mov_b32 s22, exec_lo
	v_cmpx_ne_u32_e32 0x7f, v2
	s_cbranch_execz .LBB279_88
; %bb.85:                               ;   in Loop: Header=BB279_15 Depth=1
	v_and_b32_e32 v0, 7, v27
	v_lshrrev_b32_e32 v1, 3, v2
	s_mov_b32 s23, exec_lo
	v_cmpx_gt_u32_e32 8, v2
; %bb.86:                               ;   in Loop: Header=BB279_15 Depth=1
	v_ffbh_u32_e32 v0, v0
	v_min_u32_e32 v2, 32, v0
	v_subrev_nc_u32_e32 v0, 28, v2
	v_lshlrev_b64 v[0:1], v0, v[27:28]
	v_sub_nc_u32_e32 v1, 29, v2
	v_and_b32_e32 v0, 7, v0
; %bb.87:                               ;   in Loop: Header=BB279_15 Depth=1
	s_or_b32 exec_lo, exec_lo, s23
	v_lshlrev_b32_e32 v2, 8, v27
	v_lshl_add_u32 v1, v1, 10, 0x2000
	v_lshlrev_b32_e32 v0, 7, v0
	v_and_b32_e32 v2, 0x8000, v2
	v_and_b32_e32 v1, 0xfc00, v1
	v_or3_b32 v86, v2, v1, v0
.LBB279_88:                             ;   in Loop: Header=BB279_15 Depth=1
	s_or_b32 exec_lo, exec_lo, s22
.LBB279_89:                             ;   in Loop: Header=BB279_15 Depth=1
	s_or_b32 exec_lo, exec_lo, s21
.LBB279_90:                             ;   in Loop: Header=BB279_15 Depth=1
	s_or_b32 exec_lo, exec_lo, s20
	v_lshrrev_b16 v3, 8, v27
	v_mov_b32_e32 v83, 0
	v_mov_b32_e32 v87, 0
	s_mov_b32 s20, exec_lo
	v_cmpx_ne_u16_e32 0, v3
	s_cbranch_execz .LBB279_98
; %bb.91:                               ;   in Loop: Header=BB279_15 Depth=1
	v_bfrev_b32_e32 v87, 1
	s_mov_b32 s21, exec_lo
	v_cmpx_ne_u16_e32 0x80, v3
	s_cbranch_execz .LBB279_97
; %bb.92:                               ;   in Loop: Header=BB279_15 Depth=1
	v_mov_b32_e32 v0, 0x7f
	v_mov_b32_e32 v87, 0x7c010000
	s_mov_b32 s22, exec_lo
	v_and_b32_sdwa v2, v3, v0 dst_sel:DWORD dst_unused:UNUSED_PAD src0_sel:WORD_0 src1_sel:DWORD
	v_cmpx_ne_u32_e32 0x7f, v2
	s_cbranch_execz .LBB279_96
; %bb.93:                               ;   in Loop: Header=BB279_15 Depth=1
	v_mov_b32_e32 v0, 7
	v_lshrrev_b32_e32 v1, 3, v2
	s_mov_b32 s23, exec_lo
	v_and_b32_sdwa v0, v3, v0 dst_sel:DWORD dst_unused:UNUSED_PAD src0_sel:WORD_0 src1_sel:DWORD
	v_cmpx_gt_u32_e32 8, v2
; %bb.94:                               ;   in Loop: Header=BB279_15 Depth=1
	v_ffbh_u32_e32 v0, v0
	v_min_u32_e32 v2, 32, v0
	v_subrev_nc_u32_e32 v0, 28, v2
	v_lshlrev_b64 v[0:1], v0, v[3:4]
	v_sub_nc_u32_e32 v1, 29, v2
	v_and_b32_e32 v0, 7, v0
; %bb.95:                               ;   in Loop: Header=BB279_15 Depth=1
	s_or_b32 exec_lo, exec_lo, s23
	v_mov_b32_e32 v2, 8
	v_lshl_add_u32 v1, v1, 10, 0x2000
	v_lshlrev_b32_e32 v0, 23, v0
	v_lshlrev_b32_sdwa v2, v2, v3 dst_sel:DWORD dst_unused:UNUSED_PAD src0_sel:DWORD src1_sel:WORD_0
	v_and_or_b32 v1, 0x8000, v2, v1
	v_lshl_or_b32 v87, v1, 16, v0
.LBB279_96:                             ;   in Loop: Header=BB279_15 Depth=1
	s_or_b32 exec_lo, exec_lo, s22
.LBB279_97:                             ;   in Loop: Header=BB279_15 Depth=1
	s_or_b32 exec_lo, exec_lo, s21
.LBB279_98:                             ;   in Loop: Header=BB279_15 Depth=1
	s_or_b32 exec_lo, exec_lo, s20
	v_lshrrev_b32_e32 v3, 16, v27
	v_cmp_ne_u16_sdwa s5, v3, v4 src0_sel:BYTE_0 src1_sel:DWORD
	s_and_saveexec_b32 s20, s5
	s_cbranch_execz .LBB279_106
; %bb.99:                               ;   in Loop: Header=BB279_15 Depth=1
	v_cmp_ne_u16_sdwa s5, v3, v80 src0_sel:BYTE_0 src1_sel:DWORD
	v_mov_b32_e32 v83, 0x8000
	s_and_saveexec_b32 s21, s5
	s_cbranch_execz .LBB279_105
; %bb.100:                              ;   in Loop: Header=BB279_15 Depth=1
	v_bfe_u32 v2, v27, 16, 7
	v_mov_b32_e32 v83, 0x7c01
	s_mov_b32 s22, exec_lo
	v_cmpx_ne_u32_e32 0x7f, v2
	s_cbranch_execz .LBB279_104
; %bb.101:                              ;   in Loop: Header=BB279_15 Depth=1
	v_and_b32_e32 v0, 7, v3
	v_lshrrev_b32_e32 v1, 3, v2
	s_mov_b32 s23, exec_lo
	v_cmpx_gt_u32_e32 8, v2
; %bb.102:                              ;   in Loop: Header=BB279_15 Depth=1
	v_ffbh_u32_e32 v0, v0
	v_min_u32_e32 v2, 32, v0
	v_subrev_nc_u32_e32 v0, 28, v2
	v_lshlrev_b64 v[0:1], v0, v[3:4]
	v_sub_nc_u32_e32 v1, 29, v2
	v_and_b32_e32 v0, 7, v0
; %bb.103:                              ;   in Loop: Header=BB279_15 Depth=1
	s_or_b32 exec_lo, exec_lo, s23
	v_lshlrev_b32_e32 v2, 8, v3
	v_lshl_add_u32 v1, v1, 10, 0x2000
	v_lshlrev_b32_e32 v0, 7, v0
	v_and_b32_e32 v2, 0x8000, v2
	v_and_b32_e32 v1, 0xfc00, v1
	v_or3_b32 v83, v2, v1, v0
.LBB279_104:                            ;   in Loop: Header=BB279_15 Depth=1
	s_or_b32 exec_lo, exec_lo, s22
.LBB279_105:                            ;   in Loop: Header=BB279_15 Depth=1
	s_or_b32 exec_lo, exec_lo, s21
.LBB279_106:                            ;   in Loop: Header=BB279_15 Depth=1
	s_or_b32 exec_lo, exec_lo, s20
	v_mov_b32_e32 v97, 0
	v_mov_b32_e32 v98, 0
	s_mov_b32 s20, exec_lo
	v_cmpx_lt_u32_e32 0xffffff, v27
	s_cbranch_execz .LBB279_114
; %bb.107:                              ;   in Loop: Header=BB279_15 Depth=1
	v_lshrrev_b32_e32 v3, 24, v27
	v_bfrev_b32_e32 v98, 1
	s_mov_b32 s21, exec_lo
	v_cmpx_ne_u32_e32 0x80, v3
	s_cbranch_execz .LBB279_113
; %bb.108:                              ;   in Loop: Header=BB279_15 Depth=1
	v_and_b32_e32 v2, 0x7f, v3
	v_mov_b32_e32 v98, 0x7c010000
	s_mov_b32 s22, exec_lo
	v_cmpx_ne_u32_e32 0x7f, v2
	s_cbranch_execz .LBB279_112
; %bb.109:                              ;   in Loop: Header=BB279_15 Depth=1
	v_and_b32_e32 v0, 7, v3
	v_lshrrev_b32_e32 v1, 3, v2
	s_mov_b32 s23, exec_lo
	v_cmpx_gt_u32_e32 8, v2
; %bb.110:                              ;   in Loop: Header=BB279_15 Depth=1
	v_ffbh_u32_e32 v0, v0
	v_min_u32_e32 v2, 32, v0
	v_subrev_nc_u32_e32 v0, 28, v2
	v_lshlrev_b64 v[0:1], v0, v[3:4]
	v_sub_nc_u32_e32 v1, 29, v2
	v_and_b32_e32 v0, 7, v0
; %bb.111:                              ;   in Loop: Header=BB279_15 Depth=1
	s_or_b32 exec_lo, exec_lo, s23
	v_lshlrev_b32_e32 v2, 8, v3
	v_lshl_add_u32 v1, v1, 10, 0x2000
	v_lshlrev_b32_e32 v0, 23, v0
	v_and_or_b32 v1, 0x8000, v2, v1
	v_lshl_or_b32 v98, v1, 16, v0
.LBB279_112:                            ;   in Loop: Header=BB279_15 Depth=1
	s_or_b32 exec_lo, exec_lo, s22
.LBB279_113:                            ;   in Loop: Header=BB279_15 Depth=1
	s_or_b32 exec_lo, exec_lo, s21
.LBB279_114:                            ;   in Loop: Header=BB279_15 Depth=1
	s_or_b32 exec_lo, exec_lo, s20
	v_mov_b32_e32 v3, v28
	v_cmp_ne_u16_sdwa s5, v28, v4 src0_sel:BYTE_0 src1_sel:DWORD
	s_and_saveexec_b32 s20, s5
	s_cbranch_execz .LBB279_122
; %bb.115:                              ;   in Loop: Header=BB279_15 Depth=1
	v_cmp_ne_u16_sdwa s5, v28, v80 src0_sel:BYTE_0 src1_sel:DWORD
	v_mov_b32_e32 v97, 0x8000
	s_and_saveexec_b32 s21, s5
	s_cbranch_execz .LBB279_121
; %bb.116:                              ;   in Loop: Header=BB279_15 Depth=1
	v_and_b32_e32 v2, 0x7f, v28
	v_mov_b32_e32 v97, 0x7c01
	s_mov_b32 s22, exec_lo
	v_cmpx_ne_u32_e32 0x7f, v2
	s_cbranch_execz .LBB279_120
; %bb.117:                              ;   in Loop: Header=BB279_15 Depth=1
	v_and_b32_e32 v0, 7, v28
	v_lshrrev_b32_e32 v1, 3, v2
	s_mov_b32 s23, exec_lo
	v_cmpx_gt_u32_e32 8, v2
; %bb.118:                              ;   in Loop: Header=BB279_15 Depth=1
	v_ffbh_u32_e32 v0, v0
	v_min_u32_e32 v2, 32, v0
	v_subrev_nc_u32_e32 v0, 28, v2
	v_lshlrev_b64 v[0:1], v0, v[3:4]
	v_sub_nc_u32_e32 v1, 29, v2
	v_and_b32_e32 v0, 7, v0
; %bb.119:                              ;   in Loop: Header=BB279_15 Depth=1
	s_or_b32 exec_lo, exec_lo, s23
	v_lshlrev_b32_e32 v2, 8, v28
	v_lshl_add_u32 v1, v1, 10, 0x2000
	v_lshlrev_b32_e32 v0, 7, v0
	v_and_b32_e32 v2, 0x8000, v2
	v_and_b32_e32 v1, 0xfc00, v1
	v_or3_b32 v97, v2, v1, v0
.LBB279_120:                            ;   in Loop: Header=BB279_15 Depth=1
	s_or_b32 exec_lo, exec_lo, s22
.LBB279_121:                            ;   in Loop: Header=BB279_15 Depth=1
	s_or_b32 exec_lo, exec_lo, s21
.LBB279_122:                            ;   in Loop: Header=BB279_15 Depth=1
	s_or_b32 exec_lo, exec_lo, s20
	v_lshrrev_b16 v3, 8, v3
	v_mov_b32_e32 v99, 0
	v_mov_b32_e32 v100, 0
	s_mov_b32 s20, exec_lo
	v_cmpx_ne_u16_e32 0, v3
	s_cbranch_execz .LBB279_130
; %bb.123:                              ;   in Loop: Header=BB279_15 Depth=1
	v_bfrev_b32_e32 v100, 1
	s_mov_b32 s21, exec_lo
	v_cmpx_ne_u16_e32 0x80, v3
	s_cbranch_execz .LBB279_129
; %bb.124:                              ;   in Loop: Header=BB279_15 Depth=1
	v_mov_b32_e32 v0, 0x7f
	v_mov_b32_e32 v100, 0x7c010000
	s_mov_b32 s22, exec_lo
	v_and_b32_sdwa v2, v3, v0 dst_sel:DWORD dst_unused:UNUSED_PAD src0_sel:WORD_0 src1_sel:DWORD
	v_cmpx_ne_u32_e32 0x7f, v2
	s_cbranch_execz .LBB279_128
; %bb.125:                              ;   in Loop: Header=BB279_15 Depth=1
	v_mov_b32_e32 v0, 7
	v_lshrrev_b32_e32 v1, 3, v2
	s_mov_b32 s23, exec_lo
	v_and_b32_sdwa v0, v3, v0 dst_sel:DWORD dst_unused:UNUSED_PAD src0_sel:WORD_0 src1_sel:DWORD
	v_cmpx_gt_u32_e32 8, v2
; %bb.126:                              ;   in Loop: Header=BB279_15 Depth=1
	v_ffbh_u32_e32 v0, v0
	v_min_u32_e32 v2, 32, v0
	v_subrev_nc_u32_e32 v0, 28, v2
	v_lshlrev_b64 v[0:1], v0, v[3:4]
	v_sub_nc_u32_e32 v1, 29, v2
	v_and_b32_e32 v0, 7, v0
; %bb.127:                              ;   in Loop: Header=BB279_15 Depth=1
	s_or_b32 exec_lo, exec_lo, s23
	v_mov_b32_e32 v2, 8
	v_lshl_add_u32 v1, v1, 10, 0x2000
	v_lshlrev_b32_e32 v0, 23, v0
	v_lshlrev_b32_sdwa v2, v2, v3 dst_sel:DWORD dst_unused:UNUSED_PAD src0_sel:DWORD src1_sel:WORD_0
	v_and_or_b32 v1, 0x8000, v2, v1
	v_lshl_or_b32 v100, v1, 16, v0
.LBB279_128:                            ;   in Loop: Header=BB279_15 Depth=1
	s_or_b32 exec_lo, exec_lo, s22
.LBB279_129:                            ;   in Loop: Header=BB279_15 Depth=1
	s_or_b32 exec_lo, exec_lo, s21
.LBB279_130:                            ;   in Loop: Header=BB279_15 Depth=1
	s_or_b32 exec_lo, exec_lo, s20
	v_lshrrev_b32_e32 v3, 16, v28
	v_cmp_ne_u16_sdwa s5, v3, v4 src0_sel:BYTE_0 src1_sel:DWORD
	s_and_saveexec_b32 s20, s5
	s_cbranch_execz .LBB279_138
; %bb.131:                              ;   in Loop: Header=BB279_15 Depth=1
	v_cmp_ne_u16_sdwa s5, v3, v80 src0_sel:BYTE_0 src1_sel:DWORD
	v_mov_b32_e32 v99, 0x8000
	s_and_saveexec_b32 s21, s5
	s_cbranch_execz .LBB279_137
; %bb.132:                              ;   in Loop: Header=BB279_15 Depth=1
	v_bfe_u32 v2, v28, 16, 7
	v_mov_b32_e32 v99, 0x7c01
	s_mov_b32 s22, exec_lo
	v_cmpx_ne_u32_e32 0x7f, v2
	s_cbranch_execz .LBB279_136
; %bb.133:                              ;   in Loop: Header=BB279_15 Depth=1
	v_and_b32_e32 v0, 7, v3
	v_lshrrev_b32_e32 v1, 3, v2
	s_mov_b32 s23, exec_lo
	v_cmpx_gt_u32_e32 8, v2
; %bb.134:                              ;   in Loop: Header=BB279_15 Depth=1
	v_ffbh_u32_e32 v0, v0
	v_min_u32_e32 v2, 32, v0
	v_subrev_nc_u32_e32 v0, 28, v2
	v_lshlrev_b64 v[0:1], v0, v[3:4]
	v_sub_nc_u32_e32 v1, 29, v2
	v_and_b32_e32 v0, 7, v0
; %bb.135:                              ;   in Loop: Header=BB279_15 Depth=1
	s_or_b32 exec_lo, exec_lo, s23
	v_lshlrev_b32_e32 v2, 8, v3
	v_lshl_add_u32 v1, v1, 10, 0x2000
	v_lshlrev_b32_e32 v0, 7, v0
	v_and_b32_e32 v2, 0x8000, v2
	v_and_b32_e32 v1, 0xfc00, v1
	v_or3_b32 v99, v2, v1, v0
.LBB279_136:                            ;   in Loop: Header=BB279_15 Depth=1
	s_or_b32 exec_lo, exec_lo, s22
.LBB279_137:                            ;   in Loop: Header=BB279_15 Depth=1
	s_or_b32 exec_lo, exec_lo, s21
.LBB279_138:                            ;   in Loop: Header=BB279_15 Depth=1
	s_or_b32 exec_lo, exec_lo, s20
	v_mov_b32_e32 v102, 0
	v_mov_b32_e32 v101, 0
	s_mov_b32 s20, exec_lo
	v_cmpx_lt_u64_e64 s[12:13], v[27:28]
	s_cbranch_execz .LBB279_146
; %bb.139:                              ;   in Loop: Header=BB279_15 Depth=1
	v_lshrrev_b32_e32 v3, 24, v28
	v_bfrev_b32_e32 v101, 1
	s_mov_b32 s21, exec_lo
	v_cmpx_ne_u32_e32 0x80, v3
	s_cbranch_execz .LBB279_145
; %bb.140:                              ;   in Loop: Header=BB279_15 Depth=1
	v_and_b32_e32 v2, 0x7f, v3
	v_mov_b32_e32 v101, 0x7c010000
	s_mov_b32 s22, exec_lo
	v_cmpx_ne_u32_e32 0x7f, v2
	s_cbranch_execz .LBB279_144
; %bb.141:                              ;   in Loop: Header=BB279_15 Depth=1
	v_and_b32_e32 v0, 7, v3
	v_lshrrev_b32_e32 v1, 3, v2
	s_mov_b32 s23, exec_lo
	v_cmpx_gt_u32_e32 8, v2
; %bb.142:                              ;   in Loop: Header=BB279_15 Depth=1
	v_ffbh_u32_e32 v0, v0
	v_min_u32_e32 v2, 32, v0
	v_subrev_nc_u32_e32 v0, 28, v2
	v_lshlrev_b64 v[0:1], v0, v[3:4]
	v_sub_nc_u32_e32 v1, 29, v2
	v_and_b32_e32 v0, 7, v0
; %bb.143:                              ;   in Loop: Header=BB279_15 Depth=1
	s_or_b32 exec_lo, exec_lo, s23
	v_lshlrev_b32_e32 v2, 8, v3
	v_lshl_add_u32 v1, v1, 10, 0x2000
	v_lshlrev_b32_e32 v0, 23, v0
	v_and_or_b32 v1, 0x8000, v2, v1
	v_lshl_or_b32 v101, v1, 16, v0
.LBB279_144:                            ;   in Loop: Header=BB279_15 Depth=1
	s_or_b32 exec_lo, exec_lo, s22
.LBB279_145:                            ;   in Loop: Header=BB279_15 Depth=1
	s_or_b32 exec_lo, exec_lo, s21
.LBB279_146:                            ;   in Loop: Header=BB279_15 Depth=1
	s_or_b32 exec_lo, exec_lo, s20
	flat_load_dwordx2 v[27:28], v[24:25] offset:512
	s_waitcnt vmcnt(0) lgkmcnt(0)
	v_cmp_ne_u16_sdwa s5, v27, v4 src0_sel:BYTE_0 src1_sel:DWORD
	s_and_saveexec_b32 s20, s5
	s_cbranch_execz .LBB279_154
; %bb.147:                              ;   in Loop: Header=BB279_15 Depth=1
	v_cmp_ne_u16_sdwa s5, v27, v80 src0_sel:BYTE_0 src1_sel:DWORD
	v_mov_b32_e32 v102, 0x8000
	s_and_saveexec_b32 s21, s5
	s_cbranch_execz .LBB279_153
; %bb.148:                              ;   in Loop: Header=BB279_15 Depth=1
	v_and_b32_e32 v2, 0x7f, v27
	v_mov_b32_e32 v102, 0x7c01
	s_mov_b32 s22, exec_lo
	v_cmpx_ne_u32_e32 0x7f, v2
	s_cbranch_execz .LBB279_152
; %bb.149:                              ;   in Loop: Header=BB279_15 Depth=1
	v_and_b32_e32 v0, 7, v27
	v_lshrrev_b32_e32 v1, 3, v2
	s_mov_b32 s23, exec_lo
	v_cmpx_gt_u32_e32 8, v2
; %bb.150:                              ;   in Loop: Header=BB279_15 Depth=1
	v_ffbh_u32_e32 v0, v0
	v_min_u32_e32 v2, 32, v0
	v_subrev_nc_u32_e32 v0, 28, v2
	v_lshlrev_b64 v[0:1], v0, v[27:28]
	v_sub_nc_u32_e32 v1, 29, v2
	v_and_b32_e32 v0, 7, v0
; %bb.151:                              ;   in Loop: Header=BB279_15 Depth=1
	s_or_b32 exec_lo, exec_lo, s23
	v_lshlrev_b32_e32 v2, 8, v27
	v_lshl_add_u32 v1, v1, 10, 0x2000
	v_lshlrev_b32_e32 v0, 7, v0
	v_and_b32_e32 v2, 0x8000, v2
	v_and_b32_e32 v1, 0xfc00, v1
	v_or3_b32 v102, v2, v1, v0
.LBB279_152:                            ;   in Loop: Header=BB279_15 Depth=1
	s_or_b32 exec_lo, exec_lo, s22
.LBB279_153:                            ;   in Loop: Header=BB279_15 Depth=1
	s_or_b32 exec_lo, exec_lo, s21
.LBB279_154:                            ;   in Loop: Header=BB279_15 Depth=1
	s_or_b32 exec_lo, exec_lo, s20
	v_lshrrev_b16 v3, 8, v27
	v_mov_b32_e32 v112, 0
	v_mov_b32_e32 v103, 0
	s_mov_b32 s20, exec_lo
	v_cmpx_ne_u16_e32 0, v3
	s_cbranch_execz .LBB279_162
; %bb.155:                              ;   in Loop: Header=BB279_15 Depth=1
	v_bfrev_b32_e32 v103, 1
	s_mov_b32 s21, exec_lo
	v_cmpx_ne_u16_e32 0x80, v3
	s_cbranch_execz .LBB279_161
; %bb.156:                              ;   in Loop: Header=BB279_15 Depth=1
	v_mov_b32_e32 v0, 0x7f
	v_mov_b32_e32 v103, 0x7c010000
	s_mov_b32 s22, exec_lo
	v_and_b32_sdwa v2, v3, v0 dst_sel:DWORD dst_unused:UNUSED_PAD src0_sel:WORD_0 src1_sel:DWORD
	v_cmpx_ne_u32_e32 0x7f, v2
	s_cbranch_execz .LBB279_160
; %bb.157:                              ;   in Loop: Header=BB279_15 Depth=1
	v_mov_b32_e32 v0, 7
	v_lshrrev_b32_e32 v1, 3, v2
	s_mov_b32 s23, exec_lo
	v_and_b32_sdwa v0, v3, v0 dst_sel:DWORD dst_unused:UNUSED_PAD src0_sel:WORD_0 src1_sel:DWORD
	v_cmpx_gt_u32_e32 8, v2
; %bb.158:                              ;   in Loop: Header=BB279_15 Depth=1
	v_ffbh_u32_e32 v0, v0
	v_min_u32_e32 v2, 32, v0
	v_subrev_nc_u32_e32 v0, 28, v2
	v_lshlrev_b64 v[0:1], v0, v[3:4]
	v_sub_nc_u32_e32 v1, 29, v2
	v_and_b32_e32 v0, 7, v0
; %bb.159:                              ;   in Loop: Header=BB279_15 Depth=1
	s_or_b32 exec_lo, exec_lo, s23
	v_mov_b32_e32 v2, 8
	v_lshl_add_u32 v1, v1, 10, 0x2000
	v_lshlrev_b32_e32 v0, 23, v0
	v_lshlrev_b32_sdwa v2, v2, v3 dst_sel:DWORD dst_unused:UNUSED_PAD src0_sel:DWORD src1_sel:WORD_0
	v_and_or_b32 v1, 0x8000, v2, v1
	v_lshl_or_b32 v103, v1, 16, v0
.LBB279_160:                            ;   in Loop: Header=BB279_15 Depth=1
	s_or_b32 exec_lo, exec_lo, s22
.LBB279_161:                            ;   in Loop: Header=BB279_15 Depth=1
	s_or_b32 exec_lo, exec_lo, s21
.LBB279_162:                            ;   in Loop: Header=BB279_15 Depth=1
	s_or_b32 exec_lo, exec_lo, s20
	v_lshrrev_b32_e32 v3, 16, v27
	v_cmp_ne_u16_sdwa s5, v3, v4 src0_sel:BYTE_0 src1_sel:DWORD
	s_and_saveexec_b32 s20, s5
	s_cbranch_execz .LBB279_170
; %bb.163:                              ;   in Loop: Header=BB279_15 Depth=1
	v_cmp_ne_u16_sdwa s5, v3, v80 src0_sel:BYTE_0 src1_sel:DWORD
	v_mov_b32_e32 v112, 0x8000
	s_and_saveexec_b32 s21, s5
	s_cbranch_execz .LBB279_169
; %bb.164:                              ;   in Loop: Header=BB279_15 Depth=1
	v_bfe_u32 v2, v27, 16, 7
	v_mov_b32_e32 v112, 0x7c01
	s_mov_b32 s22, exec_lo
	v_cmpx_ne_u32_e32 0x7f, v2
	s_cbranch_execz .LBB279_168
; %bb.165:                              ;   in Loop: Header=BB279_15 Depth=1
	v_and_b32_e32 v0, 7, v3
	v_lshrrev_b32_e32 v1, 3, v2
	s_mov_b32 s23, exec_lo
	v_cmpx_gt_u32_e32 8, v2
; %bb.166:                              ;   in Loop: Header=BB279_15 Depth=1
	v_ffbh_u32_e32 v0, v0
	v_min_u32_e32 v2, 32, v0
	v_subrev_nc_u32_e32 v0, 28, v2
	v_lshlrev_b64 v[0:1], v0, v[3:4]
	v_sub_nc_u32_e32 v1, 29, v2
	v_and_b32_e32 v0, 7, v0
; %bb.167:                              ;   in Loop: Header=BB279_15 Depth=1
	s_or_b32 exec_lo, exec_lo, s23
	v_lshlrev_b32_e32 v2, 8, v3
	v_lshl_add_u32 v1, v1, 10, 0x2000
	v_lshlrev_b32_e32 v0, 7, v0
	v_and_b32_e32 v2, 0x8000, v2
	v_and_b32_e32 v1, 0xfc00, v1
	v_or3_b32 v112, v2, v1, v0
.LBB279_168:                            ;   in Loop: Header=BB279_15 Depth=1
	s_or_b32 exec_lo, exec_lo, s22
.LBB279_169:                            ;   in Loop: Header=BB279_15 Depth=1
	s_or_b32 exec_lo, exec_lo, s21
.LBB279_170:                            ;   in Loop: Header=BB279_15 Depth=1
	s_or_b32 exec_lo, exec_lo, s20
	v_mov_b32_e32 v113, 0
	v_mov_b32_e32 v114, 0
	s_mov_b32 s20, exec_lo
	v_cmpx_lt_u32_e32 0xffffff, v27
	s_cbranch_execz .LBB279_178
; %bb.171:                              ;   in Loop: Header=BB279_15 Depth=1
	v_lshrrev_b32_e32 v3, 24, v27
	v_bfrev_b32_e32 v114, 1
	s_mov_b32 s21, exec_lo
	v_cmpx_ne_u32_e32 0x80, v3
	s_cbranch_execz .LBB279_177
; %bb.172:                              ;   in Loop: Header=BB279_15 Depth=1
	v_and_b32_e32 v2, 0x7f, v3
	v_mov_b32_e32 v114, 0x7c010000
	s_mov_b32 s22, exec_lo
	v_cmpx_ne_u32_e32 0x7f, v2
	s_cbranch_execz .LBB279_176
; %bb.173:                              ;   in Loop: Header=BB279_15 Depth=1
	v_and_b32_e32 v0, 7, v3
	v_lshrrev_b32_e32 v1, 3, v2
	s_mov_b32 s23, exec_lo
	v_cmpx_gt_u32_e32 8, v2
; %bb.174:                              ;   in Loop: Header=BB279_15 Depth=1
	v_ffbh_u32_e32 v0, v0
	v_min_u32_e32 v2, 32, v0
	v_subrev_nc_u32_e32 v0, 28, v2
	v_lshlrev_b64 v[0:1], v0, v[3:4]
	v_sub_nc_u32_e32 v1, 29, v2
	v_and_b32_e32 v0, 7, v0
; %bb.175:                              ;   in Loop: Header=BB279_15 Depth=1
	s_or_b32 exec_lo, exec_lo, s23
	v_lshlrev_b32_e32 v2, 8, v3
	v_lshl_add_u32 v1, v1, 10, 0x2000
	v_lshlrev_b32_e32 v0, 23, v0
	v_and_or_b32 v1, 0x8000, v2, v1
	v_lshl_or_b32 v114, v1, 16, v0
.LBB279_176:                            ;   in Loop: Header=BB279_15 Depth=1
	s_or_b32 exec_lo, exec_lo, s22
.LBB279_177:                            ;   in Loop: Header=BB279_15 Depth=1
	s_or_b32 exec_lo, exec_lo, s21
.LBB279_178:                            ;   in Loop: Header=BB279_15 Depth=1
	s_or_b32 exec_lo, exec_lo, s20
	v_mov_b32_e32 v3, v28
	v_cmp_ne_u16_sdwa s5, v28, v4 src0_sel:BYTE_0 src1_sel:DWORD
	s_and_saveexec_b32 s20, s5
	s_cbranch_execz .LBB279_186
; %bb.179:                              ;   in Loop: Header=BB279_15 Depth=1
	v_cmp_ne_u16_sdwa s5, v28, v80 src0_sel:BYTE_0 src1_sel:DWORD
	v_mov_b32_e32 v113, 0x8000
	s_and_saveexec_b32 s21, s5
	s_cbranch_execz .LBB279_185
; %bb.180:                              ;   in Loop: Header=BB279_15 Depth=1
	v_and_b32_e32 v2, 0x7f, v28
	v_mov_b32_e32 v113, 0x7c01
	s_mov_b32 s22, exec_lo
	v_cmpx_ne_u32_e32 0x7f, v2
	s_cbranch_execz .LBB279_184
; %bb.181:                              ;   in Loop: Header=BB279_15 Depth=1
	v_and_b32_e32 v0, 7, v28
	v_lshrrev_b32_e32 v1, 3, v2
	s_mov_b32 s23, exec_lo
	v_cmpx_gt_u32_e32 8, v2
; %bb.182:                              ;   in Loop: Header=BB279_15 Depth=1
	v_ffbh_u32_e32 v0, v0
	v_min_u32_e32 v2, 32, v0
	v_subrev_nc_u32_e32 v0, 28, v2
	v_lshlrev_b64 v[0:1], v0, v[3:4]
	v_sub_nc_u32_e32 v1, 29, v2
	v_and_b32_e32 v0, 7, v0
; %bb.183:                              ;   in Loop: Header=BB279_15 Depth=1
	s_or_b32 exec_lo, exec_lo, s23
	v_lshlrev_b32_e32 v2, 8, v28
	v_lshl_add_u32 v1, v1, 10, 0x2000
	v_lshlrev_b32_e32 v0, 7, v0
	v_and_b32_e32 v2, 0x8000, v2
	v_and_b32_e32 v1, 0xfc00, v1
	v_or3_b32 v113, v2, v1, v0
.LBB279_184:                            ;   in Loop: Header=BB279_15 Depth=1
	s_or_b32 exec_lo, exec_lo, s22
.LBB279_185:                            ;   in Loop: Header=BB279_15 Depth=1
	s_or_b32 exec_lo, exec_lo, s21
.LBB279_186:                            ;   in Loop: Header=BB279_15 Depth=1
	s_or_b32 exec_lo, exec_lo, s20
	v_lshrrev_b16 v3, 8, v3
	v_mov_b32_e32 v115, 0
	v_mov_b32_e32 v116, 0
	s_mov_b32 s20, exec_lo
	v_cmpx_ne_u16_e32 0, v3
	s_cbranch_execz .LBB279_194
; %bb.187:                              ;   in Loop: Header=BB279_15 Depth=1
	v_bfrev_b32_e32 v116, 1
	s_mov_b32 s21, exec_lo
	v_cmpx_ne_u16_e32 0x80, v3
	s_cbranch_execz .LBB279_193
; %bb.188:                              ;   in Loop: Header=BB279_15 Depth=1
	v_mov_b32_e32 v0, 0x7f
	v_mov_b32_e32 v116, 0x7c010000
	s_mov_b32 s22, exec_lo
	v_and_b32_sdwa v2, v3, v0 dst_sel:DWORD dst_unused:UNUSED_PAD src0_sel:WORD_0 src1_sel:DWORD
	v_cmpx_ne_u32_e32 0x7f, v2
	s_cbranch_execz .LBB279_192
; %bb.189:                              ;   in Loop: Header=BB279_15 Depth=1
	v_mov_b32_e32 v0, 7
	v_lshrrev_b32_e32 v1, 3, v2
	s_mov_b32 s23, exec_lo
	v_and_b32_sdwa v0, v3, v0 dst_sel:DWORD dst_unused:UNUSED_PAD src0_sel:WORD_0 src1_sel:DWORD
	v_cmpx_gt_u32_e32 8, v2
; %bb.190:                              ;   in Loop: Header=BB279_15 Depth=1
	v_ffbh_u32_e32 v0, v0
	v_min_u32_e32 v2, 32, v0
	v_subrev_nc_u32_e32 v0, 28, v2
	v_lshlrev_b64 v[0:1], v0, v[3:4]
	v_sub_nc_u32_e32 v1, 29, v2
	v_and_b32_e32 v0, 7, v0
; %bb.191:                              ;   in Loop: Header=BB279_15 Depth=1
	s_or_b32 exec_lo, exec_lo, s23
	v_mov_b32_e32 v2, 8
	v_lshl_add_u32 v1, v1, 10, 0x2000
	v_lshlrev_b32_e32 v0, 23, v0
	v_lshlrev_b32_sdwa v2, v2, v3 dst_sel:DWORD dst_unused:UNUSED_PAD src0_sel:DWORD src1_sel:WORD_0
	v_and_or_b32 v1, 0x8000, v2, v1
	v_lshl_or_b32 v116, v1, 16, v0
.LBB279_192:                            ;   in Loop: Header=BB279_15 Depth=1
	s_or_b32 exec_lo, exec_lo, s22
.LBB279_193:                            ;   in Loop: Header=BB279_15 Depth=1
	s_or_b32 exec_lo, exec_lo, s21
.LBB279_194:                            ;   in Loop: Header=BB279_15 Depth=1
	s_or_b32 exec_lo, exec_lo, s20
	v_lshrrev_b32_e32 v3, 16, v28
	v_cmp_ne_u16_sdwa s5, v3, v4 src0_sel:BYTE_0 src1_sel:DWORD
	s_and_saveexec_b32 s20, s5
	s_cbranch_execz .LBB279_202
; %bb.195:                              ;   in Loop: Header=BB279_15 Depth=1
	v_cmp_ne_u16_sdwa s5, v3, v80 src0_sel:BYTE_0 src1_sel:DWORD
	v_mov_b32_e32 v115, 0x8000
	s_and_saveexec_b32 s21, s5
	s_cbranch_execz .LBB279_201
; %bb.196:                              ;   in Loop: Header=BB279_15 Depth=1
	v_bfe_u32 v2, v28, 16, 7
	v_mov_b32_e32 v115, 0x7c01
	s_mov_b32 s22, exec_lo
	v_cmpx_ne_u32_e32 0x7f, v2
	s_cbranch_execz .LBB279_200
; %bb.197:                              ;   in Loop: Header=BB279_15 Depth=1
	v_and_b32_e32 v0, 7, v3
	v_lshrrev_b32_e32 v1, 3, v2
	s_mov_b32 s23, exec_lo
	v_cmpx_gt_u32_e32 8, v2
; %bb.198:                              ;   in Loop: Header=BB279_15 Depth=1
	v_ffbh_u32_e32 v0, v0
	v_min_u32_e32 v2, 32, v0
	v_subrev_nc_u32_e32 v0, 28, v2
	v_lshlrev_b64 v[0:1], v0, v[3:4]
	v_sub_nc_u32_e32 v1, 29, v2
	v_and_b32_e32 v0, 7, v0
; %bb.199:                              ;   in Loop: Header=BB279_15 Depth=1
	s_or_b32 exec_lo, exec_lo, s23
	v_lshlrev_b32_e32 v2, 8, v3
	v_lshl_add_u32 v1, v1, 10, 0x2000
	v_lshlrev_b32_e32 v0, 7, v0
	v_and_b32_e32 v2, 0x8000, v2
	v_and_b32_e32 v1, 0xfc00, v1
	v_or3_b32 v115, v2, v1, v0
.LBB279_200:                            ;   in Loop: Header=BB279_15 Depth=1
	s_or_b32 exec_lo, exec_lo, s22
.LBB279_201:                            ;   in Loop: Header=BB279_15 Depth=1
	s_or_b32 exec_lo, exec_lo, s21
.LBB279_202:                            ;   in Loop: Header=BB279_15 Depth=1
	s_or_b32 exec_lo, exec_lo, s20
	v_mov_b32_e32 v118, 0
	v_mov_b32_e32 v117, 0
	s_mov_b32 s20, exec_lo
	v_cmpx_lt_u64_e64 s[12:13], v[27:28]
	s_cbranch_execz .LBB279_210
; %bb.203:                              ;   in Loop: Header=BB279_15 Depth=1
	v_lshrrev_b32_e32 v3, 24, v28
	v_bfrev_b32_e32 v117, 1
	s_mov_b32 s21, exec_lo
	v_cmpx_ne_u32_e32 0x80, v3
	s_cbranch_execz .LBB279_209
; %bb.204:                              ;   in Loop: Header=BB279_15 Depth=1
	v_and_b32_e32 v2, 0x7f, v3
	v_mov_b32_e32 v117, 0x7c010000
	s_mov_b32 s22, exec_lo
	v_cmpx_ne_u32_e32 0x7f, v2
	s_cbranch_execz .LBB279_208
; %bb.205:                              ;   in Loop: Header=BB279_15 Depth=1
	v_and_b32_e32 v0, 7, v3
	v_lshrrev_b32_e32 v1, 3, v2
	s_mov_b32 s23, exec_lo
	v_cmpx_gt_u32_e32 8, v2
; %bb.206:                              ;   in Loop: Header=BB279_15 Depth=1
	v_ffbh_u32_e32 v0, v0
	v_min_u32_e32 v2, 32, v0
	v_subrev_nc_u32_e32 v0, 28, v2
	v_lshlrev_b64 v[0:1], v0, v[3:4]
	v_sub_nc_u32_e32 v1, 29, v2
	v_and_b32_e32 v0, 7, v0
; %bb.207:                              ;   in Loop: Header=BB279_15 Depth=1
	s_or_b32 exec_lo, exec_lo, s23
	v_lshlrev_b32_e32 v2, 8, v3
	v_lshl_add_u32 v1, v1, 10, 0x2000
	v_lshlrev_b32_e32 v0, 23, v0
	v_and_or_b32 v1, 0x8000, v2, v1
	v_lshl_or_b32 v117, v1, 16, v0
.LBB279_208:                            ;   in Loop: Header=BB279_15 Depth=1
	s_or_b32 exec_lo, exec_lo, s22
.LBB279_209:                            ;   in Loop: Header=BB279_15 Depth=1
	s_or_b32 exec_lo, exec_lo, s21
.LBB279_210:                            ;   in Loop: Header=BB279_15 Depth=1
	s_or_b32 exec_lo, exec_lo, s20
	flat_load_dwordx2 v[27:28], v[24:25] offset:520
	s_waitcnt vmcnt(0) lgkmcnt(0)
	v_cmp_ne_u16_sdwa s5, v27, v4 src0_sel:BYTE_0 src1_sel:DWORD
	s_and_saveexec_b32 s20, s5
	s_cbranch_execz .LBB279_218
; %bb.211:                              ;   in Loop: Header=BB279_15 Depth=1
	v_cmp_ne_u16_sdwa s5, v27, v80 src0_sel:BYTE_0 src1_sel:DWORD
	v_mov_b32_e32 v118, 0x8000
	s_and_saveexec_b32 s21, s5
	s_cbranch_execz .LBB279_217
; %bb.212:                              ;   in Loop: Header=BB279_15 Depth=1
	v_and_b32_e32 v2, 0x7f, v27
	v_mov_b32_e32 v118, 0x7c01
	s_mov_b32 s22, exec_lo
	v_cmpx_ne_u32_e32 0x7f, v2
	s_cbranch_execz .LBB279_216
; %bb.213:                              ;   in Loop: Header=BB279_15 Depth=1
	v_and_b32_e32 v0, 7, v27
	v_lshrrev_b32_e32 v1, 3, v2
	s_mov_b32 s23, exec_lo
	v_cmpx_gt_u32_e32 8, v2
; %bb.214:                              ;   in Loop: Header=BB279_15 Depth=1
	v_ffbh_u32_e32 v0, v0
	v_min_u32_e32 v2, 32, v0
	v_subrev_nc_u32_e32 v0, 28, v2
	v_lshlrev_b64 v[0:1], v0, v[27:28]
	v_sub_nc_u32_e32 v1, 29, v2
	v_and_b32_e32 v0, 7, v0
; %bb.215:                              ;   in Loop: Header=BB279_15 Depth=1
	s_or_b32 exec_lo, exec_lo, s23
	v_lshlrev_b32_e32 v2, 8, v27
	v_lshl_add_u32 v1, v1, 10, 0x2000
	v_lshlrev_b32_e32 v0, 7, v0
	v_and_b32_e32 v2, 0x8000, v2
	v_and_b32_e32 v1, 0xfc00, v1
	v_or3_b32 v118, v2, v1, v0
.LBB279_216:                            ;   in Loop: Header=BB279_15 Depth=1
	s_or_b32 exec_lo, exec_lo, s22
.LBB279_217:                            ;   in Loop: Header=BB279_15 Depth=1
	s_or_b32 exec_lo, exec_lo, s21
.LBB279_218:                            ;   in Loop: Header=BB279_15 Depth=1
	s_or_b32 exec_lo, exec_lo, s20
	v_lshrrev_b16 v3, 8, v27
	v_mov_b32_e32 v40, 0
	v_mov_b32_e32 v119, 0
	s_mov_b32 s20, exec_lo
	v_cmpx_ne_u16_e32 0, v3
	s_cbranch_execz .LBB279_226
; %bb.219:                              ;   in Loop: Header=BB279_15 Depth=1
	v_bfrev_b32_e32 v119, 1
	s_mov_b32 s21, exec_lo
	v_cmpx_ne_u16_e32 0x80, v3
	s_cbranch_execz .LBB279_225
; %bb.220:                              ;   in Loop: Header=BB279_15 Depth=1
	v_mov_b32_e32 v0, 0x7f
	v_mov_b32_e32 v119, 0x7c010000
	s_mov_b32 s22, exec_lo
	v_and_b32_sdwa v2, v3, v0 dst_sel:DWORD dst_unused:UNUSED_PAD src0_sel:WORD_0 src1_sel:DWORD
	v_cmpx_ne_u32_e32 0x7f, v2
	s_cbranch_execz .LBB279_224
; %bb.221:                              ;   in Loop: Header=BB279_15 Depth=1
	v_mov_b32_e32 v0, 7
	v_lshrrev_b32_e32 v1, 3, v2
	s_mov_b32 s23, exec_lo
	v_and_b32_sdwa v0, v3, v0 dst_sel:DWORD dst_unused:UNUSED_PAD src0_sel:WORD_0 src1_sel:DWORD
	v_cmpx_gt_u32_e32 8, v2
; %bb.222:                              ;   in Loop: Header=BB279_15 Depth=1
	v_ffbh_u32_e32 v0, v0
	v_min_u32_e32 v2, 32, v0
	v_subrev_nc_u32_e32 v0, 28, v2
	v_lshlrev_b64 v[0:1], v0, v[3:4]
	v_sub_nc_u32_e32 v1, 29, v2
	v_and_b32_e32 v0, 7, v0
; %bb.223:                              ;   in Loop: Header=BB279_15 Depth=1
	s_or_b32 exec_lo, exec_lo, s23
	v_mov_b32_e32 v2, 8
	v_lshl_add_u32 v1, v1, 10, 0x2000
	v_lshlrev_b32_e32 v0, 23, v0
	v_lshlrev_b32_sdwa v2, v2, v3 dst_sel:DWORD dst_unused:UNUSED_PAD src0_sel:DWORD src1_sel:WORD_0
	v_and_or_b32 v1, 0x8000, v2, v1
	v_lshl_or_b32 v119, v1, 16, v0
.LBB279_224:                            ;   in Loop: Header=BB279_15 Depth=1
	s_or_b32 exec_lo, exec_lo, s22
.LBB279_225:                            ;   in Loop: Header=BB279_15 Depth=1
	s_or_b32 exec_lo, exec_lo, s21
.LBB279_226:                            ;   in Loop: Header=BB279_15 Depth=1
	s_or_b32 exec_lo, exec_lo, s20
	v_lshrrev_b32_e32 v3, 16, v27
	v_cmp_ne_u16_sdwa s5, v3, v4 src0_sel:BYTE_0 src1_sel:DWORD
	s_and_saveexec_b32 s20, s5
	s_cbranch_execz .LBB279_234
; %bb.227:                              ;   in Loop: Header=BB279_15 Depth=1
	v_cmp_ne_u16_sdwa s5, v3, v80 src0_sel:BYTE_0 src1_sel:DWORD
	v_mov_b32_e32 v40, 0x8000
	s_and_saveexec_b32 s21, s5
	s_cbranch_execz .LBB279_233
; %bb.228:                              ;   in Loop: Header=BB279_15 Depth=1
	v_bfe_u32 v2, v27, 16, 7
	v_mov_b32_e32 v40, 0x7c01
	s_mov_b32 s22, exec_lo
	v_cmpx_ne_u32_e32 0x7f, v2
	s_cbranch_execz .LBB279_232
; %bb.229:                              ;   in Loop: Header=BB279_15 Depth=1
	v_and_b32_e32 v0, 7, v3
	v_lshrrev_b32_e32 v1, 3, v2
	s_mov_b32 s23, exec_lo
	v_cmpx_gt_u32_e32 8, v2
; %bb.230:                              ;   in Loop: Header=BB279_15 Depth=1
	v_ffbh_u32_e32 v0, v0
	v_min_u32_e32 v2, 32, v0
	v_subrev_nc_u32_e32 v0, 28, v2
	v_lshlrev_b64 v[0:1], v0, v[3:4]
	v_sub_nc_u32_e32 v1, 29, v2
	v_and_b32_e32 v0, 7, v0
; %bb.231:                              ;   in Loop: Header=BB279_15 Depth=1
	s_or_b32 exec_lo, exec_lo, s23
	v_lshlrev_b32_e32 v2, 8, v3
	v_lshl_add_u32 v1, v1, 10, 0x2000
	v_lshlrev_b32_e32 v0, 7, v0
	v_and_b32_e32 v2, 0x8000, v2
	v_and_b32_e32 v1, 0xfc00, v1
	v_or3_b32 v40, v2, v1, v0
.LBB279_232:                            ;   in Loop: Header=BB279_15 Depth=1
	s_or_b32 exec_lo, exec_lo, s22
.LBB279_233:                            ;   in Loop: Header=BB279_15 Depth=1
	s_or_b32 exec_lo, exec_lo, s21
.LBB279_234:                            ;   in Loop: Header=BB279_15 Depth=1
	s_or_b32 exec_lo, exec_lo, s20
	v_mov_b32_e32 v41, 0
	v_mov_b32_e32 v42, 0
	s_mov_b32 s20, exec_lo
	v_cmpx_lt_u32_e32 0xffffff, v27
	s_cbranch_execz .LBB279_242
; %bb.235:                              ;   in Loop: Header=BB279_15 Depth=1
	v_lshrrev_b32_e32 v3, 24, v27
	v_bfrev_b32_e32 v42, 1
	s_mov_b32 s21, exec_lo
	v_cmpx_ne_u32_e32 0x80, v3
	s_cbranch_execz .LBB279_241
; %bb.236:                              ;   in Loop: Header=BB279_15 Depth=1
	v_and_b32_e32 v2, 0x7f, v3
	v_mov_b32_e32 v42, 0x7c010000
	s_mov_b32 s22, exec_lo
	v_cmpx_ne_u32_e32 0x7f, v2
	s_cbranch_execz .LBB279_240
; %bb.237:                              ;   in Loop: Header=BB279_15 Depth=1
	v_and_b32_e32 v0, 7, v3
	v_lshrrev_b32_e32 v1, 3, v2
	s_mov_b32 s23, exec_lo
	v_cmpx_gt_u32_e32 8, v2
; %bb.238:                              ;   in Loop: Header=BB279_15 Depth=1
	v_ffbh_u32_e32 v0, v0
	v_min_u32_e32 v2, 32, v0
	v_subrev_nc_u32_e32 v0, 28, v2
	v_lshlrev_b64 v[0:1], v0, v[3:4]
	v_sub_nc_u32_e32 v1, 29, v2
	v_and_b32_e32 v0, 7, v0
; %bb.239:                              ;   in Loop: Header=BB279_15 Depth=1
	s_or_b32 exec_lo, exec_lo, s23
	v_lshlrev_b32_e32 v2, 8, v3
	v_lshl_add_u32 v1, v1, 10, 0x2000
	v_lshlrev_b32_e32 v0, 23, v0
	v_and_or_b32 v1, 0x8000, v2, v1
	v_lshl_or_b32 v42, v1, 16, v0
.LBB279_240:                            ;   in Loop: Header=BB279_15 Depth=1
	s_or_b32 exec_lo, exec_lo, s22
.LBB279_241:                            ;   in Loop: Header=BB279_15 Depth=1
	s_or_b32 exec_lo, exec_lo, s21
.LBB279_242:                            ;   in Loop: Header=BB279_15 Depth=1
	s_or_b32 exec_lo, exec_lo, s20
	v_mov_b32_e32 v3, v28
	v_cmp_ne_u16_sdwa s5, v28, v4 src0_sel:BYTE_0 src1_sel:DWORD
	s_and_saveexec_b32 s20, s5
	s_cbranch_execz .LBB279_250
; %bb.243:                              ;   in Loop: Header=BB279_15 Depth=1
	v_cmp_ne_u16_sdwa s5, v28, v80 src0_sel:BYTE_0 src1_sel:DWORD
	v_mov_b32_e32 v41, 0x8000
	s_and_saveexec_b32 s21, s5
	s_cbranch_execz .LBB279_249
; %bb.244:                              ;   in Loop: Header=BB279_15 Depth=1
	v_and_b32_e32 v2, 0x7f, v28
	v_mov_b32_e32 v41, 0x7c01
	s_mov_b32 s22, exec_lo
	v_cmpx_ne_u32_e32 0x7f, v2
	s_cbranch_execz .LBB279_248
; %bb.245:                              ;   in Loop: Header=BB279_15 Depth=1
	v_and_b32_e32 v0, 7, v28
	v_lshrrev_b32_e32 v1, 3, v2
	s_mov_b32 s23, exec_lo
	v_cmpx_gt_u32_e32 8, v2
; %bb.246:                              ;   in Loop: Header=BB279_15 Depth=1
	v_ffbh_u32_e32 v0, v0
	v_min_u32_e32 v2, 32, v0
	v_subrev_nc_u32_e32 v0, 28, v2
	v_lshlrev_b64 v[0:1], v0, v[3:4]
	v_sub_nc_u32_e32 v1, 29, v2
	v_and_b32_e32 v0, 7, v0
; %bb.247:                              ;   in Loop: Header=BB279_15 Depth=1
	s_or_b32 exec_lo, exec_lo, s23
	v_lshlrev_b32_e32 v2, 8, v28
	v_lshl_add_u32 v1, v1, 10, 0x2000
	v_lshlrev_b32_e32 v0, 7, v0
	v_and_b32_e32 v2, 0x8000, v2
	v_and_b32_e32 v1, 0xfc00, v1
	v_or3_b32 v41, v2, v1, v0
.LBB279_248:                            ;   in Loop: Header=BB279_15 Depth=1
	s_or_b32 exec_lo, exec_lo, s22
.LBB279_249:                            ;   in Loop: Header=BB279_15 Depth=1
	s_or_b32 exec_lo, exec_lo, s21
.LBB279_250:                            ;   in Loop: Header=BB279_15 Depth=1
	s_or_b32 exec_lo, exec_lo, s20
	v_lshrrev_b16 v3, 8, v3
	v_mov_b32_e32 v43, 0
	v_mov_b32_e32 v44, 0
	s_mov_b32 s20, exec_lo
	v_cmpx_ne_u16_e32 0, v3
	s_cbranch_execz .LBB279_258
; %bb.251:                              ;   in Loop: Header=BB279_15 Depth=1
	v_bfrev_b32_e32 v44, 1
	s_mov_b32 s21, exec_lo
	v_cmpx_ne_u16_e32 0x80, v3
	s_cbranch_execz .LBB279_257
; %bb.252:                              ;   in Loop: Header=BB279_15 Depth=1
	v_mov_b32_e32 v0, 0x7f
	v_mov_b32_e32 v44, 0x7c010000
	s_mov_b32 s22, exec_lo
	v_and_b32_sdwa v2, v3, v0 dst_sel:DWORD dst_unused:UNUSED_PAD src0_sel:WORD_0 src1_sel:DWORD
	v_cmpx_ne_u32_e32 0x7f, v2
	s_cbranch_execz .LBB279_256
; %bb.253:                              ;   in Loop: Header=BB279_15 Depth=1
	v_mov_b32_e32 v0, 7
	v_lshrrev_b32_e32 v1, 3, v2
	s_mov_b32 s23, exec_lo
	v_and_b32_sdwa v0, v3, v0 dst_sel:DWORD dst_unused:UNUSED_PAD src0_sel:WORD_0 src1_sel:DWORD
	v_cmpx_gt_u32_e32 8, v2
; %bb.254:                              ;   in Loop: Header=BB279_15 Depth=1
	v_ffbh_u32_e32 v0, v0
	v_min_u32_e32 v2, 32, v0
	v_subrev_nc_u32_e32 v0, 28, v2
	v_lshlrev_b64 v[0:1], v0, v[3:4]
	v_sub_nc_u32_e32 v1, 29, v2
	v_and_b32_e32 v0, 7, v0
; %bb.255:                              ;   in Loop: Header=BB279_15 Depth=1
	s_or_b32 exec_lo, exec_lo, s23
	v_mov_b32_e32 v2, 8
	v_lshl_add_u32 v1, v1, 10, 0x2000
	v_lshlrev_b32_e32 v0, 23, v0
	v_lshlrev_b32_sdwa v2, v2, v3 dst_sel:DWORD dst_unused:UNUSED_PAD src0_sel:DWORD src1_sel:WORD_0
	v_and_or_b32 v1, 0x8000, v2, v1
	v_lshl_or_b32 v44, v1, 16, v0
.LBB279_256:                            ;   in Loop: Header=BB279_15 Depth=1
	s_or_b32 exec_lo, exec_lo, s22
.LBB279_257:                            ;   in Loop: Header=BB279_15 Depth=1
	s_or_b32 exec_lo, exec_lo, s21
.LBB279_258:                            ;   in Loop: Header=BB279_15 Depth=1
	s_or_b32 exec_lo, exec_lo, s20
	v_lshrrev_b32_e32 v3, 16, v28
	v_cmp_ne_u16_sdwa s5, v3, v4 src0_sel:BYTE_0 src1_sel:DWORD
	s_and_saveexec_b32 s20, s5
	s_cbranch_execz .LBB279_266
; %bb.259:                              ;   in Loop: Header=BB279_15 Depth=1
	v_cmp_ne_u16_sdwa s5, v3, v80 src0_sel:BYTE_0 src1_sel:DWORD
	v_mov_b32_e32 v43, 0x8000
	s_and_saveexec_b32 s21, s5
	s_cbranch_execz .LBB279_265
; %bb.260:                              ;   in Loop: Header=BB279_15 Depth=1
	v_bfe_u32 v2, v28, 16, 7
	v_mov_b32_e32 v43, 0x7c01
	s_mov_b32 s22, exec_lo
	v_cmpx_ne_u32_e32 0x7f, v2
	s_cbranch_execz .LBB279_264
; %bb.261:                              ;   in Loop: Header=BB279_15 Depth=1
	v_and_b32_e32 v0, 7, v3
	v_lshrrev_b32_e32 v1, 3, v2
	s_mov_b32 s23, exec_lo
	v_cmpx_gt_u32_e32 8, v2
; %bb.262:                              ;   in Loop: Header=BB279_15 Depth=1
	v_ffbh_u32_e32 v0, v0
	v_min_u32_e32 v2, 32, v0
	v_subrev_nc_u32_e32 v0, 28, v2
	v_lshlrev_b64 v[0:1], v0, v[3:4]
	v_sub_nc_u32_e32 v1, 29, v2
	v_and_b32_e32 v0, 7, v0
; %bb.263:                              ;   in Loop: Header=BB279_15 Depth=1
	s_or_b32 exec_lo, exec_lo, s23
	v_lshlrev_b32_e32 v2, 8, v3
	v_lshl_add_u32 v1, v1, 10, 0x2000
	v_lshlrev_b32_e32 v0, 7, v0
	v_and_b32_e32 v2, 0x8000, v2
	v_and_b32_e32 v1, 0xfc00, v1
	v_or3_b32 v43, v2, v1, v0
.LBB279_264:                            ;   in Loop: Header=BB279_15 Depth=1
	s_or_b32 exec_lo, exec_lo, s22
.LBB279_265:                            ;   in Loop: Header=BB279_15 Depth=1
	s_or_b32 exec_lo, exec_lo, s21
.LBB279_266:                            ;   in Loop: Header=BB279_15 Depth=1
	s_or_b32 exec_lo, exec_lo, s20
	v_mov_b32_e32 v46, 0
	v_mov_b32_e32 v45, 0
	s_mov_b32 s20, exec_lo
	v_cmpx_lt_u64_e64 s[12:13], v[27:28]
	s_cbranch_execz .LBB279_274
; %bb.267:                              ;   in Loop: Header=BB279_15 Depth=1
	v_lshrrev_b32_e32 v3, 24, v28
	v_bfrev_b32_e32 v45, 1
	s_mov_b32 s21, exec_lo
	v_cmpx_ne_u32_e32 0x80, v3
	s_cbranch_execz .LBB279_273
; %bb.268:                              ;   in Loop: Header=BB279_15 Depth=1
	v_and_b32_e32 v2, 0x7f, v3
	v_mov_b32_e32 v45, 0x7c010000
	s_mov_b32 s22, exec_lo
	v_cmpx_ne_u32_e32 0x7f, v2
	s_cbranch_execz .LBB279_272
; %bb.269:                              ;   in Loop: Header=BB279_15 Depth=1
	v_and_b32_e32 v0, 7, v3
	v_lshrrev_b32_e32 v1, 3, v2
	s_mov_b32 s23, exec_lo
	v_cmpx_gt_u32_e32 8, v2
; %bb.270:                              ;   in Loop: Header=BB279_15 Depth=1
	v_ffbh_u32_e32 v0, v0
	v_min_u32_e32 v2, 32, v0
	v_subrev_nc_u32_e32 v0, 28, v2
	v_lshlrev_b64 v[0:1], v0, v[3:4]
	v_sub_nc_u32_e32 v1, 29, v2
	v_and_b32_e32 v0, 7, v0
; %bb.271:                              ;   in Loop: Header=BB279_15 Depth=1
	s_or_b32 exec_lo, exec_lo, s23
	v_lshlrev_b32_e32 v2, 8, v3
	v_lshl_add_u32 v1, v1, 10, 0x2000
	v_lshlrev_b32_e32 v0, 23, v0
	v_and_or_b32 v1, 0x8000, v2, v1
	v_lshl_or_b32 v45, v1, 16, v0
.LBB279_272:                            ;   in Loop: Header=BB279_15 Depth=1
	s_or_b32 exec_lo, exec_lo, s22
.LBB279_273:                            ;   in Loop: Header=BB279_15 Depth=1
	s_or_b32 exec_lo, exec_lo, s21
.LBB279_274:                            ;   in Loop: Header=BB279_15 Depth=1
	s_or_b32 exec_lo, exec_lo, s20
	flat_load_dwordx2 v[27:28], v[24:25] offset:1024
	s_waitcnt vmcnt(0) lgkmcnt(0)
	v_cmp_ne_u16_sdwa s5, v27, v4 src0_sel:BYTE_0 src1_sel:DWORD
	s_and_saveexec_b32 s20, s5
	s_cbranch_execz .LBB279_282
; %bb.275:                              ;   in Loop: Header=BB279_15 Depth=1
	v_cmp_ne_u16_sdwa s5, v27, v80 src0_sel:BYTE_0 src1_sel:DWORD
	v_mov_b32_e32 v46, 0x8000
	s_and_saveexec_b32 s21, s5
	s_cbranch_execz .LBB279_281
; %bb.276:                              ;   in Loop: Header=BB279_15 Depth=1
	v_and_b32_e32 v2, 0x7f, v27
	v_mov_b32_e32 v46, 0x7c01
	s_mov_b32 s22, exec_lo
	v_cmpx_ne_u32_e32 0x7f, v2
	s_cbranch_execz .LBB279_280
; %bb.277:                              ;   in Loop: Header=BB279_15 Depth=1
	v_and_b32_e32 v0, 7, v27
	v_lshrrev_b32_e32 v1, 3, v2
	s_mov_b32 s23, exec_lo
	v_cmpx_gt_u32_e32 8, v2
; %bb.278:                              ;   in Loop: Header=BB279_15 Depth=1
	v_ffbh_u32_e32 v0, v0
	v_min_u32_e32 v2, 32, v0
	v_subrev_nc_u32_e32 v0, 28, v2
	v_lshlrev_b64 v[0:1], v0, v[27:28]
	v_sub_nc_u32_e32 v1, 29, v2
	v_and_b32_e32 v0, 7, v0
; %bb.279:                              ;   in Loop: Header=BB279_15 Depth=1
	s_or_b32 exec_lo, exec_lo, s23
	v_lshlrev_b32_e32 v2, 8, v27
	v_lshl_add_u32 v1, v1, 10, 0x2000
	v_lshlrev_b32_e32 v0, 7, v0
	v_and_b32_e32 v2, 0x8000, v2
	v_and_b32_e32 v1, 0xfc00, v1
	v_or3_b32 v46, v2, v1, v0
.LBB279_280:                            ;   in Loop: Header=BB279_15 Depth=1
	s_or_b32 exec_lo, exec_lo, s22
.LBB279_281:                            ;   in Loop: Header=BB279_15 Depth=1
	s_or_b32 exec_lo, exec_lo, s21
.LBB279_282:                            ;   in Loop: Header=BB279_15 Depth=1
	s_or_b32 exec_lo, exec_lo, s20
	v_lshrrev_b16 v3, 8, v27
	v_mov_b32_e32 v56, 0
	v_mov_b32_e32 v47, 0
	s_mov_b32 s20, exec_lo
	v_cmpx_ne_u16_e32 0, v3
	s_cbranch_execz .LBB279_290
; %bb.283:                              ;   in Loop: Header=BB279_15 Depth=1
	v_bfrev_b32_e32 v47, 1
	s_mov_b32 s21, exec_lo
	v_cmpx_ne_u16_e32 0x80, v3
	s_cbranch_execz .LBB279_289
; %bb.284:                              ;   in Loop: Header=BB279_15 Depth=1
	v_mov_b32_e32 v0, 0x7f
	v_mov_b32_e32 v47, 0x7c010000
	s_mov_b32 s22, exec_lo
	v_and_b32_sdwa v2, v3, v0 dst_sel:DWORD dst_unused:UNUSED_PAD src0_sel:WORD_0 src1_sel:DWORD
	v_cmpx_ne_u32_e32 0x7f, v2
	s_cbranch_execz .LBB279_288
; %bb.285:                              ;   in Loop: Header=BB279_15 Depth=1
	v_mov_b32_e32 v0, 7
	v_lshrrev_b32_e32 v1, 3, v2
	s_mov_b32 s23, exec_lo
	v_and_b32_sdwa v0, v3, v0 dst_sel:DWORD dst_unused:UNUSED_PAD src0_sel:WORD_0 src1_sel:DWORD
	v_cmpx_gt_u32_e32 8, v2
; %bb.286:                              ;   in Loop: Header=BB279_15 Depth=1
	v_ffbh_u32_e32 v0, v0
	v_min_u32_e32 v2, 32, v0
	v_subrev_nc_u32_e32 v0, 28, v2
	v_lshlrev_b64 v[0:1], v0, v[3:4]
	v_sub_nc_u32_e32 v1, 29, v2
	v_and_b32_e32 v0, 7, v0
; %bb.287:                              ;   in Loop: Header=BB279_15 Depth=1
	s_or_b32 exec_lo, exec_lo, s23
	v_mov_b32_e32 v2, 8
	v_lshl_add_u32 v1, v1, 10, 0x2000
	v_lshlrev_b32_e32 v0, 23, v0
	v_lshlrev_b32_sdwa v2, v2, v3 dst_sel:DWORD dst_unused:UNUSED_PAD src0_sel:DWORD src1_sel:WORD_0
	v_and_or_b32 v1, 0x8000, v2, v1
	v_lshl_or_b32 v47, v1, 16, v0
.LBB279_288:                            ;   in Loop: Header=BB279_15 Depth=1
	s_or_b32 exec_lo, exec_lo, s22
.LBB279_289:                            ;   in Loop: Header=BB279_15 Depth=1
	s_or_b32 exec_lo, exec_lo, s21
.LBB279_290:                            ;   in Loop: Header=BB279_15 Depth=1
	s_or_b32 exec_lo, exec_lo, s20
	v_lshrrev_b32_e32 v3, 16, v27
	v_cmp_ne_u16_sdwa s5, v3, v4 src0_sel:BYTE_0 src1_sel:DWORD
	s_and_saveexec_b32 s20, s5
	s_cbranch_execz .LBB279_298
; %bb.291:                              ;   in Loop: Header=BB279_15 Depth=1
	v_cmp_ne_u16_sdwa s5, v3, v80 src0_sel:BYTE_0 src1_sel:DWORD
	v_mov_b32_e32 v56, 0x8000
	s_and_saveexec_b32 s21, s5
	s_cbranch_execz .LBB279_297
; %bb.292:                              ;   in Loop: Header=BB279_15 Depth=1
	v_bfe_u32 v2, v27, 16, 7
	v_mov_b32_e32 v56, 0x7c01
	s_mov_b32 s22, exec_lo
	v_cmpx_ne_u32_e32 0x7f, v2
	s_cbranch_execz .LBB279_296
; %bb.293:                              ;   in Loop: Header=BB279_15 Depth=1
	v_and_b32_e32 v0, 7, v3
	v_lshrrev_b32_e32 v1, 3, v2
	s_mov_b32 s23, exec_lo
	v_cmpx_gt_u32_e32 8, v2
; %bb.294:                              ;   in Loop: Header=BB279_15 Depth=1
	v_ffbh_u32_e32 v0, v0
	v_min_u32_e32 v2, 32, v0
	v_subrev_nc_u32_e32 v0, 28, v2
	v_lshlrev_b64 v[0:1], v0, v[3:4]
	v_sub_nc_u32_e32 v1, 29, v2
	v_and_b32_e32 v0, 7, v0
; %bb.295:                              ;   in Loop: Header=BB279_15 Depth=1
	s_or_b32 exec_lo, exec_lo, s23
	v_lshlrev_b32_e32 v2, 8, v3
	v_lshl_add_u32 v1, v1, 10, 0x2000
	v_lshlrev_b32_e32 v0, 7, v0
	v_and_b32_e32 v2, 0x8000, v2
	v_and_b32_e32 v1, 0xfc00, v1
	v_or3_b32 v56, v2, v1, v0
.LBB279_296:                            ;   in Loop: Header=BB279_15 Depth=1
	s_or_b32 exec_lo, exec_lo, s22
.LBB279_297:                            ;   in Loop: Header=BB279_15 Depth=1
	s_or_b32 exec_lo, exec_lo, s21
.LBB279_298:                            ;   in Loop: Header=BB279_15 Depth=1
	s_or_b32 exec_lo, exec_lo, s20
	v_mov_b32_e32 v57, 0
	v_mov_b32_e32 v58, 0
	s_mov_b32 s20, exec_lo
	v_cmpx_lt_u32_e32 0xffffff, v27
	s_cbranch_execz .LBB279_306
; %bb.299:                              ;   in Loop: Header=BB279_15 Depth=1
	v_lshrrev_b32_e32 v3, 24, v27
	v_bfrev_b32_e32 v58, 1
	s_mov_b32 s21, exec_lo
	v_cmpx_ne_u32_e32 0x80, v3
	s_cbranch_execz .LBB279_305
; %bb.300:                              ;   in Loop: Header=BB279_15 Depth=1
	v_and_b32_e32 v2, 0x7f, v3
	v_mov_b32_e32 v58, 0x7c010000
	s_mov_b32 s22, exec_lo
	v_cmpx_ne_u32_e32 0x7f, v2
	s_cbranch_execz .LBB279_304
; %bb.301:                              ;   in Loop: Header=BB279_15 Depth=1
	v_and_b32_e32 v0, 7, v3
	v_lshrrev_b32_e32 v1, 3, v2
	s_mov_b32 s23, exec_lo
	v_cmpx_gt_u32_e32 8, v2
; %bb.302:                              ;   in Loop: Header=BB279_15 Depth=1
	v_ffbh_u32_e32 v0, v0
	v_min_u32_e32 v2, 32, v0
	v_subrev_nc_u32_e32 v0, 28, v2
	v_lshlrev_b64 v[0:1], v0, v[3:4]
	v_sub_nc_u32_e32 v1, 29, v2
	v_and_b32_e32 v0, 7, v0
; %bb.303:                              ;   in Loop: Header=BB279_15 Depth=1
	s_or_b32 exec_lo, exec_lo, s23
	v_lshlrev_b32_e32 v2, 8, v3
	v_lshl_add_u32 v1, v1, 10, 0x2000
	v_lshlrev_b32_e32 v0, 23, v0
	v_and_or_b32 v1, 0x8000, v2, v1
	v_lshl_or_b32 v58, v1, 16, v0
.LBB279_304:                            ;   in Loop: Header=BB279_15 Depth=1
	s_or_b32 exec_lo, exec_lo, s22
.LBB279_305:                            ;   in Loop: Header=BB279_15 Depth=1
	s_or_b32 exec_lo, exec_lo, s21
.LBB279_306:                            ;   in Loop: Header=BB279_15 Depth=1
	s_or_b32 exec_lo, exec_lo, s20
	v_mov_b32_e32 v3, v28
	v_cmp_ne_u16_sdwa s5, v28, v4 src0_sel:BYTE_0 src1_sel:DWORD
	s_and_saveexec_b32 s20, s5
	s_cbranch_execz .LBB279_314
; %bb.307:                              ;   in Loop: Header=BB279_15 Depth=1
	v_cmp_ne_u16_sdwa s5, v28, v80 src0_sel:BYTE_0 src1_sel:DWORD
	v_mov_b32_e32 v57, 0x8000
	s_and_saveexec_b32 s21, s5
	s_cbranch_execz .LBB279_313
; %bb.308:                              ;   in Loop: Header=BB279_15 Depth=1
	v_and_b32_e32 v2, 0x7f, v28
	v_mov_b32_e32 v57, 0x7c01
	s_mov_b32 s22, exec_lo
	v_cmpx_ne_u32_e32 0x7f, v2
	s_cbranch_execz .LBB279_312
; %bb.309:                              ;   in Loop: Header=BB279_15 Depth=1
	v_and_b32_e32 v0, 7, v28
	v_lshrrev_b32_e32 v1, 3, v2
	s_mov_b32 s23, exec_lo
	v_cmpx_gt_u32_e32 8, v2
; %bb.310:                              ;   in Loop: Header=BB279_15 Depth=1
	v_ffbh_u32_e32 v0, v0
	v_min_u32_e32 v2, 32, v0
	v_subrev_nc_u32_e32 v0, 28, v2
	v_lshlrev_b64 v[0:1], v0, v[3:4]
	v_sub_nc_u32_e32 v1, 29, v2
	v_and_b32_e32 v0, 7, v0
; %bb.311:                              ;   in Loop: Header=BB279_15 Depth=1
	s_or_b32 exec_lo, exec_lo, s23
	v_lshlrev_b32_e32 v2, 8, v28
	v_lshl_add_u32 v1, v1, 10, 0x2000
	v_lshlrev_b32_e32 v0, 7, v0
	v_and_b32_e32 v2, 0x8000, v2
	v_and_b32_e32 v1, 0xfc00, v1
	v_or3_b32 v57, v2, v1, v0
.LBB279_312:                            ;   in Loop: Header=BB279_15 Depth=1
	s_or_b32 exec_lo, exec_lo, s22
.LBB279_313:                            ;   in Loop: Header=BB279_15 Depth=1
	s_or_b32 exec_lo, exec_lo, s21
.LBB279_314:                            ;   in Loop: Header=BB279_15 Depth=1
	s_or_b32 exec_lo, exec_lo, s20
	v_lshrrev_b16 v3, 8, v3
	v_mov_b32_e32 v59, 0
	v_mov_b32_e32 v60, 0
	s_mov_b32 s20, exec_lo
	v_cmpx_ne_u16_e32 0, v3
	s_cbranch_execz .LBB279_322
; %bb.315:                              ;   in Loop: Header=BB279_15 Depth=1
	v_bfrev_b32_e32 v60, 1
	s_mov_b32 s21, exec_lo
	v_cmpx_ne_u16_e32 0x80, v3
	s_cbranch_execz .LBB279_321
; %bb.316:                              ;   in Loop: Header=BB279_15 Depth=1
	v_mov_b32_e32 v0, 0x7f
	v_mov_b32_e32 v60, 0x7c010000
	s_mov_b32 s22, exec_lo
	v_and_b32_sdwa v2, v3, v0 dst_sel:DWORD dst_unused:UNUSED_PAD src0_sel:WORD_0 src1_sel:DWORD
	v_cmpx_ne_u32_e32 0x7f, v2
	s_cbranch_execz .LBB279_320
; %bb.317:                              ;   in Loop: Header=BB279_15 Depth=1
	v_mov_b32_e32 v0, 7
	v_lshrrev_b32_e32 v1, 3, v2
	s_mov_b32 s23, exec_lo
	v_and_b32_sdwa v0, v3, v0 dst_sel:DWORD dst_unused:UNUSED_PAD src0_sel:WORD_0 src1_sel:DWORD
	v_cmpx_gt_u32_e32 8, v2
; %bb.318:                              ;   in Loop: Header=BB279_15 Depth=1
	v_ffbh_u32_e32 v0, v0
	v_min_u32_e32 v2, 32, v0
	v_subrev_nc_u32_e32 v0, 28, v2
	v_lshlrev_b64 v[0:1], v0, v[3:4]
	v_sub_nc_u32_e32 v1, 29, v2
	v_and_b32_e32 v0, 7, v0
; %bb.319:                              ;   in Loop: Header=BB279_15 Depth=1
	s_or_b32 exec_lo, exec_lo, s23
	v_mov_b32_e32 v2, 8
	v_lshl_add_u32 v1, v1, 10, 0x2000
	v_lshlrev_b32_e32 v0, 23, v0
	v_lshlrev_b32_sdwa v2, v2, v3 dst_sel:DWORD dst_unused:UNUSED_PAD src0_sel:DWORD src1_sel:WORD_0
	v_and_or_b32 v1, 0x8000, v2, v1
	v_lshl_or_b32 v60, v1, 16, v0
.LBB279_320:                            ;   in Loop: Header=BB279_15 Depth=1
	s_or_b32 exec_lo, exec_lo, s22
.LBB279_321:                            ;   in Loop: Header=BB279_15 Depth=1
	s_or_b32 exec_lo, exec_lo, s21
.LBB279_322:                            ;   in Loop: Header=BB279_15 Depth=1
	s_or_b32 exec_lo, exec_lo, s20
	v_lshrrev_b32_e32 v3, 16, v28
	v_cmp_ne_u16_sdwa s5, v3, v4 src0_sel:BYTE_0 src1_sel:DWORD
	s_and_saveexec_b32 s20, s5
	s_cbranch_execz .LBB279_330
; %bb.323:                              ;   in Loop: Header=BB279_15 Depth=1
	v_cmp_ne_u16_sdwa s5, v3, v80 src0_sel:BYTE_0 src1_sel:DWORD
	v_mov_b32_e32 v59, 0x8000
	s_and_saveexec_b32 s21, s5
	s_cbranch_execz .LBB279_329
; %bb.324:                              ;   in Loop: Header=BB279_15 Depth=1
	v_bfe_u32 v2, v28, 16, 7
	v_mov_b32_e32 v59, 0x7c01
	s_mov_b32 s22, exec_lo
	v_cmpx_ne_u32_e32 0x7f, v2
	s_cbranch_execz .LBB279_328
; %bb.325:                              ;   in Loop: Header=BB279_15 Depth=1
	v_and_b32_e32 v0, 7, v3
	v_lshrrev_b32_e32 v1, 3, v2
	s_mov_b32 s23, exec_lo
	v_cmpx_gt_u32_e32 8, v2
; %bb.326:                              ;   in Loop: Header=BB279_15 Depth=1
	v_ffbh_u32_e32 v0, v0
	v_min_u32_e32 v2, 32, v0
	v_subrev_nc_u32_e32 v0, 28, v2
	v_lshlrev_b64 v[0:1], v0, v[3:4]
	v_sub_nc_u32_e32 v1, 29, v2
	v_and_b32_e32 v0, 7, v0
; %bb.327:                              ;   in Loop: Header=BB279_15 Depth=1
	s_or_b32 exec_lo, exec_lo, s23
	v_lshlrev_b32_e32 v2, 8, v3
	v_lshl_add_u32 v1, v1, 10, 0x2000
	v_lshlrev_b32_e32 v0, 7, v0
	v_and_b32_e32 v2, 0x8000, v2
	v_and_b32_e32 v1, 0xfc00, v1
	v_or3_b32 v59, v2, v1, v0
.LBB279_328:                            ;   in Loop: Header=BB279_15 Depth=1
	s_or_b32 exec_lo, exec_lo, s22
.LBB279_329:                            ;   in Loop: Header=BB279_15 Depth=1
	s_or_b32 exec_lo, exec_lo, s21
.LBB279_330:                            ;   in Loop: Header=BB279_15 Depth=1
	s_or_b32 exec_lo, exec_lo, s20
	v_mov_b32_e32 v62, 0
	v_mov_b32_e32 v61, 0
	s_mov_b32 s20, exec_lo
	v_cmpx_lt_u64_e64 s[12:13], v[27:28]
	s_cbranch_execz .LBB279_338
; %bb.331:                              ;   in Loop: Header=BB279_15 Depth=1
	v_lshrrev_b32_e32 v3, 24, v28
	v_bfrev_b32_e32 v61, 1
	s_mov_b32 s21, exec_lo
	v_cmpx_ne_u32_e32 0x80, v3
	s_cbranch_execz .LBB279_337
; %bb.332:                              ;   in Loop: Header=BB279_15 Depth=1
	v_and_b32_e32 v2, 0x7f, v3
	v_mov_b32_e32 v61, 0x7c010000
	s_mov_b32 s22, exec_lo
	v_cmpx_ne_u32_e32 0x7f, v2
	s_cbranch_execz .LBB279_336
; %bb.333:                              ;   in Loop: Header=BB279_15 Depth=1
	v_and_b32_e32 v0, 7, v3
	v_lshrrev_b32_e32 v1, 3, v2
	s_mov_b32 s23, exec_lo
	v_cmpx_gt_u32_e32 8, v2
; %bb.334:                              ;   in Loop: Header=BB279_15 Depth=1
	v_ffbh_u32_e32 v0, v0
	v_min_u32_e32 v2, 32, v0
	v_subrev_nc_u32_e32 v0, 28, v2
	v_lshlrev_b64 v[0:1], v0, v[3:4]
	v_sub_nc_u32_e32 v1, 29, v2
	v_and_b32_e32 v0, 7, v0
; %bb.335:                              ;   in Loop: Header=BB279_15 Depth=1
	s_or_b32 exec_lo, exec_lo, s23
	v_lshlrev_b32_e32 v2, 8, v3
	v_lshl_add_u32 v1, v1, 10, 0x2000
	v_lshlrev_b32_e32 v0, 23, v0
	v_and_or_b32 v1, 0x8000, v2, v1
	v_lshl_or_b32 v61, v1, 16, v0
.LBB279_336:                            ;   in Loop: Header=BB279_15 Depth=1
	s_or_b32 exec_lo, exec_lo, s22
.LBB279_337:                            ;   in Loop: Header=BB279_15 Depth=1
	s_or_b32 exec_lo, exec_lo, s21
.LBB279_338:                            ;   in Loop: Header=BB279_15 Depth=1
	s_or_b32 exec_lo, exec_lo, s20
	flat_load_dwordx2 v[27:28], v[24:25] offset:1032
	s_waitcnt vmcnt(0) lgkmcnt(0)
	v_cmp_ne_u16_sdwa s5, v27, v4 src0_sel:BYTE_0 src1_sel:DWORD
	s_and_saveexec_b32 s20, s5
	s_cbranch_execz .LBB279_346
; %bb.339:                              ;   in Loop: Header=BB279_15 Depth=1
	v_cmp_ne_u16_sdwa s5, v27, v80 src0_sel:BYTE_0 src1_sel:DWORD
	v_mov_b32_e32 v62, 0x8000
	s_and_saveexec_b32 s21, s5
	s_cbranch_execz .LBB279_345
; %bb.340:                              ;   in Loop: Header=BB279_15 Depth=1
	v_and_b32_e32 v2, 0x7f, v27
	v_mov_b32_e32 v62, 0x7c01
	s_mov_b32 s22, exec_lo
	v_cmpx_ne_u32_e32 0x7f, v2
	s_cbranch_execz .LBB279_344
; %bb.341:                              ;   in Loop: Header=BB279_15 Depth=1
	v_and_b32_e32 v0, 7, v27
	v_lshrrev_b32_e32 v1, 3, v2
	s_mov_b32 s23, exec_lo
	v_cmpx_gt_u32_e32 8, v2
; %bb.342:                              ;   in Loop: Header=BB279_15 Depth=1
	v_ffbh_u32_e32 v0, v0
	v_min_u32_e32 v2, 32, v0
	v_subrev_nc_u32_e32 v0, 28, v2
	v_lshlrev_b64 v[0:1], v0, v[27:28]
	v_sub_nc_u32_e32 v1, 29, v2
	v_and_b32_e32 v0, 7, v0
; %bb.343:                              ;   in Loop: Header=BB279_15 Depth=1
	s_or_b32 exec_lo, exec_lo, s23
	v_lshlrev_b32_e32 v2, 8, v27
	v_lshl_add_u32 v1, v1, 10, 0x2000
	v_lshlrev_b32_e32 v0, 7, v0
	v_and_b32_e32 v2, 0x8000, v2
	v_and_b32_e32 v1, 0xfc00, v1
	v_or3_b32 v62, v2, v1, v0
.LBB279_344:                            ;   in Loop: Header=BB279_15 Depth=1
	s_or_b32 exec_lo, exec_lo, s22
.LBB279_345:                            ;   in Loop: Header=BB279_15 Depth=1
	s_or_b32 exec_lo, exec_lo, s21
.LBB279_346:                            ;   in Loop: Header=BB279_15 Depth=1
	s_or_b32 exec_lo, exec_lo, s20
	v_lshrrev_b16 v3, 8, v27
	v_mov_b32_e32 v72, 0
	v_mov_b32_e32 v63, 0
	s_mov_b32 s20, exec_lo
	v_cmpx_ne_u16_e32 0, v3
	s_cbranch_execz .LBB279_354
; %bb.347:                              ;   in Loop: Header=BB279_15 Depth=1
	v_bfrev_b32_e32 v63, 1
	s_mov_b32 s21, exec_lo
	v_cmpx_ne_u16_e32 0x80, v3
	s_cbranch_execz .LBB279_353
; %bb.348:                              ;   in Loop: Header=BB279_15 Depth=1
	v_mov_b32_e32 v0, 0x7f
	v_mov_b32_e32 v63, 0x7c010000
	s_mov_b32 s22, exec_lo
	v_and_b32_sdwa v2, v3, v0 dst_sel:DWORD dst_unused:UNUSED_PAD src0_sel:WORD_0 src1_sel:DWORD
	v_cmpx_ne_u32_e32 0x7f, v2
	s_cbranch_execz .LBB279_352
; %bb.349:                              ;   in Loop: Header=BB279_15 Depth=1
	v_mov_b32_e32 v0, 7
	v_lshrrev_b32_e32 v1, 3, v2
	s_mov_b32 s23, exec_lo
	v_and_b32_sdwa v0, v3, v0 dst_sel:DWORD dst_unused:UNUSED_PAD src0_sel:WORD_0 src1_sel:DWORD
	v_cmpx_gt_u32_e32 8, v2
; %bb.350:                              ;   in Loop: Header=BB279_15 Depth=1
	v_ffbh_u32_e32 v0, v0
	v_min_u32_e32 v2, 32, v0
	v_subrev_nc_u32_e32 v0, 28, v2
	v_lshlrev_b64 v[0:1], v0, v[3:4]
	v_sub_nc_u32_e32 v1, 29, v2
	v_and_b32_e32 v0, 7, v0
; %bb.351:                              ;   in Loop: Header=BB279_15 Depth=1
	s_or_b32 exec_lo, exec_lo, s23
	v_mov_b32_e32 v2, 8
	v_lshl_add_u32 v1, v1, 10, 0x2000
	v_lshlrev_b32_e32 v0, 23, v0
	v_lshlrev_b32_sdwa v2, v2, v3 dst_sel:DWORD dst_unused:UNUSED_PAD src0_sel:DWORD src1_sel:WORD_0
	v_and_or_b32 v1, 0x8000, v2, v1
	v_lshl_or_b32 v63, v1, 16, v0
.LBB279_352:                            ;   in Loop: Header=BB279_15 Depth=1
	s_or_b32 exec_lo, exec_lo, s22
.LBB279_353:                            ;   in Loop: Header=BB279_15 Depth=1
	s_or_b32 exec_lo, exec_lo, s21
.LBB279_354:                            ;   in Loop: Header=BB279_15 Depth=1
	s_or_b32 exec_lo, exec_lo, s20
	v_lshrrev_b32_e32 v3, 16, v27
	v_cmp_ne_u16_sdwa s5, v3, v4 src0_sel:BYTE_0 src1_sel:DWORD
	s_and_saveexec_b32 s20, s5
	s_cbranch_execz .LBB279_362
; %bb.355:                              ;   in Loop: Header=BB279_15 Depth=1
	v_cmp_ne_u16_sdwa s5, v3, v80 src0_sel:BYTE_0 src1_sel:DWORD
	v_mov_b32_e32 v72, 0x8000
	s_and_saveexec_b32 s21, s5
	s_cbranch_execz .LBB279_361
; %bb.356:                              ;   in Loop: Header=BB279_15 Depth=1
	v_bfe_u32 v2, v27, 16, 7
	v_mov_b32_e32 v72, 0x7c01
	s_mov_b32 s22, exec_lo
	v_cmpx_ne_u32_e32 0x7f, v2
	s_cbranch_execz .LBB279_360
; %bb.357:                              ;   in Loop: Header=BB279_15 Depth=1
	v_and_b32_e32 v0, 7, v3
	v_lshrrev_b32_e32 v1, 3, v2
	s_mov_b32 s23, exec_lo
	v_cmpx_gt_u32_e32 8, v2
; %bb.358:                              ;   in Loop: Header=BB279_15 Depth=1
	v_ffbh_u32_e32 v0, v0
	v_min_u32_e32 v2, 32, v0
	v_subrev_nc_u32_e32 v0, 28, v2
	v_lshlrev_b64 v[0:1], v0, v[3:4]
	v_sub_nc_u32_e32 v1, 29, v2
	v_and_b32_e32 v0, 7, v0
; %bb.359:                              ;   in Loop: Header=BB279_15 Depth=1
	s_or_b32 exec_lo, exec_lo, s23
	v_lshlrev_b32_e32 v2, 8, v3
	v_lshl_add_u32 v1, v1, 10, 0x2000
	v_lshlrev_b32_e32 v0, 7, v0
	v_and_b32_e32 v2, 0x8000, v2
	v_and_b32_e32 v1, 0xfc00, v1
	v_or3_b32 v72, v2, v1, v0
.LBB279_360:                            ;   in Loop: Header=BB279_15 Depth=1
	s_or_b32 exec_lo, exec_lo, s22
.LBB279_361:                            ;   in Loop: Header=BB279_15 Depth=1
	s_or_b32 exec_lo, exec_lo, s21
.LBB279_362:                            ;   in Loop: Header=BB279_15 Depth=1
	s_or_b32 exec_lo, exec_lo, s20
	v_mov_b32_e32 v73, 0
	v_mov_b32_e32 v74, 0
	s_mov_b32 s20, exec_lo
	v_cmpx_lt_u32_e32 0xffffff, v27
	s_cbranch_execz .LBB279_370
; %bb.363:                              ;   in Loop: Header=BB279_15 Depth=1
	v_lshrrev_b32_e32 v3, 24, v27
	v_bfrev_b32_e32 v74, 1
	s_mov_b32 s21, exec_lo
	v_cmpx_ne_u32_e32 0x80, v3
	s_cbranch_execz .LBB279_369
; %bb.364:                              ;   in Loop: Header=BB279_15 Depth=1
	v_and_b32_e32 v2, 0x7f, v3
	v_mov_b32_e32 v74, 0x7c010000
	s_mov_b32 s22, exec_lo
	v_cmpx_ne_u32_e32 0x7f, v2
	s_cbranch_execz .LBB279_368
; %bb.365:                              ;   in Loop: Header=BB279_15 Depth=1
	v_and_b32_e32 v0, 7, v3
	v_lshrrev_b32_e32 v1, 3, v2
	s_mov_b32 s23, exec_lo
	v_cmpx_gt_u32_e32 8, v2
; %bb.366:                              ;   in Loop: Header=BB279_15 Depth=1
	v_ffbh_u32_e32 v0, v0
	v_min_u32_e32 v2, 32, v0
	v_subrev_nc_u32_e32 v0, 28, v2
	v_lshlrev_b64 v[0:1], v0, v[3:4]
	v_sub_nc_u32_e32 v1, 29, v2
	v_and_b32_e32 v0, 7, v0
; %bb.367:                              ;   in Loop: Header=BB279_15 Depth=1
	s_or_b32 exec_lo, exec_lo, s23
	v_lshlrev_b32_e32 v2, 8, v3
	v_lshl_add_u32 v1, v1, 10, 0x2000
	v_lshlrev_b32_e32 v0, 23, v0
	v_and_or_b32 v1, 0x8000, v2, v1
	v_lshl_or_b32 v74, v1, 16, v0
.LBB279_368:                            ;   in Loop: Header=BB279_15 Depth=1
	s_or_b32 exec_lo, exec_lo, s22
.LBB279_369:                            ;   in Loop: Header=BB279_15 Depth=1
	s_or_b32 exec_lo, exec_lo, s21
.LBB279_370:                            ;   in Loop: Header=BB279_15 Depth=1
	s_or_b32 exec_lo, exec_lo, s20
	v_mov_b32_e32 v3, v28
	v_cmp_ne_u16_sdwa s5, v28, v4 src0_sel:BYTE_0 src1_sel:DWORD
	s_and_saveexec_b32 s20, s5
	s_cbranch_execz .LBB279_378
; %bb.371:                              ;   in Loop: Header=BB279_15 Depth=1
	v_cmp_ne_u16_sdwa s5, v28, v80 src0_sel:BYTE_0 src1_sel:DWORD
	v_mov_b32_e32 v73, 0x8000
	s_and_saveexec_b32 s21, s5
	s_cbranch_execz .LBB279_377
; %bb.372:                              ;   in Loop: Header=BB279_15 Depth=1
	v_and_b32_e32 v2, 0x7f, v28
	v_mov_b32_e32 v73, 0x7c01
	s_mov_b32 s22, exec_lo
	v_cmpx_ne_u32_e32 0x7f, v2
	s_cbranch_execz .LBB279_376
; %bb.373:                              ;   in Loop: Header=BB279_15 Depth=1
	v_and_b32_e32 v0, 7, v28
	v_lshrrev_b32_e32 v1, 3, v2
	s_mov_b32 s23, exec_lo
	v_cmpx_gt_u32_e32 8, v2
; %bb.374:                              ;   in Loop: Header=BB279_15 Depth=1
	v_ffbh_u32_e32 v0, v0
	v_min_u32_e32 v2, 32, v0
	v_subrev_nc_u32_e32 v0, 28, v2
	v_lshlrev_b64 v[0:1], v0, v[3:4]
	v_sub_nc_u32_e32 v1, 29, v2
	v_and_b32_e32 v0, 7, v0
; %bb.375:                              ;   in Loop: Header=BB279_15 Depth=1
	s_or_b32 exec_lo, exec_lo, s23
	v_lshlrev_b32_e32 v2, 8, v28
	v_lshl_add_u32 v1, v1, 10, 0x2000
	v_lshlrev_b32_e32 v0, 7, v0
	v_and_b32_e32 v2, 0x8000, v2
	v_and_b32_e32 v1, 0xfc00, v1
	v_or3_b32 v73, v2, v1, v0
.LBB279_376:                            ;   in Loop: Header=BB279_15 Depth=1
	s_or_b32 exec_lo, exec_lo, s22
.LBB279_377:                            ;   in Loop: Header=BB279_15 Depth=1
	s_or_b32 exec_lo, exec_lo, s21
.LBB279_378:                            ;   in Loop: Header=BB279_15 Depth=1
	s_or_b32 exec_lo, exec_lo, s20
	v_lshrrev_b16 v3, 8, v3
	v_mov_b32_e32 v77, 0
	v_mov_b32_e32 v78, 0
	s_mov_b32 s20, exec_lo
	v_cmpx_ne_u16_e32 0, v3
	s_cbranch_execz .LBB279_386
; %bb.379:                              ;   in Loop: Header=BB279_15 Depth=1
	v_bfrev_b32_e32 v78, 1
	s_mov_b32 s21, exec_lo
	v_cmpx_ne_u16_e32 0x80, v3
	s_cbranch_execz .LBB279_385
; %bb.380:                              ;   in Loop: Header=BB279_15 Depth=1
	v_mov_b32_e32 v0, 0x7f
	v_mov_b32_e32 v78, 0x7c010000
	s_mov_b32 s22, exec_lo
	v_and_b32_sdwa v2, v3, v0 dst_sel:DWORD dst_unused:UNUSED_PAD src0_sel:WORD_0 src1_sel:DWORD
	v_cmpx_ne_u32_e32 0x7f, v2
	s_cbranch_execz .LBB279_384
; %bb.381:                              ;   in Loop: Header=BB279_15 Depth=1
	v_mov_b32_e32 v0, 7
	v_lshrrev_b32_e32 v1, 3, v2
	s_mov_b32 s23, exec_lo
	v_and_b32_sdwa v0, v3, v0 dst_sel:DWORD dst_unused:UNUSED_PAD src0_sel:WORD_0 src1_sel:DWORD
	v_cmpx_gt_u32_e32 8, v2
; %bb.382:                              ;   in Loop: Header=BB279_15 Depth=1
	v_ffbh_u32_e32 v0, v0
	v_min_u32_e32 v2, 32, v0
	v_subrev_nc_u32_e32 v0, 28, v2
	v_lshlrev_b64 v[0:1], v0, v[3:4]
	v_sub_nc_u32_e32 v1, 29, v2
	v_and_b32_e32 v0, 7, v0
; %bb.383:                              ;   in Loop: Header=BB279_15 Depth=1
	s_or_b32 exec_lo, exec_lo, s23
	v_mov_b32_e32 v2, 8
	v_lshl_add_u32 v1, v1, 10, 0x2000
	v_lshlrev_b32_e32 v0, 23, v0
	v_lshlrev_b32_sdwa v2, v2, v3 dst_sel:DWORD dst_unused:UNUSED_PAD src0_sel:DWORD src1_sel:WORD_0
	v_and_or_b32 v1, 0x8000, v2, v1
	v_lshl_or_b32 v78, v1, 16, v0
.LBB279_384:                            ;   in Loop: Header=BB279_15 Depth=1
	s_or_b32 exec_lo, exec_lo, s22
.LBB279_385:                            ;   in Loop: Header=BB279_15 Depth=1
	s_or_b32 exec_lo, exec_lo, s21
.LBB279_386:                            ;   in Loop: Header=BB279_15 Depth=1
	s_or_b32 exec_lo, exec_lo, s20
	v_lshrrev_b32_e32 v3, 16, v28
	v_cmp_ne_u16_sdwa s5, v3, v4 src0_sel:BYTE_0 src1_sel:DWORD
	s_and_saveexec_b32 s20, s5
	s_cbranch_execz .LBB279_394
; %bb.387:                              ;   in Loop: Header=BB279_15 Depth=1
	v_cmp_ne_u16_sdwa s5, v3, v80 src0_sel:BYTE_0 src1_sel:DWORD
	v_mov_b32_e32 v77, 0x8000
	s_and_saveexec_b32 s21, s5
	s_cbranch_execz .LBB279_393
; %bb.388:                              ;   in Loop: Header=BB279_15 Depth=1
	v_bfe_u32 v2, v28, 16, 7
	v_mov_b32_e32 v77, 0x7c01
	s_mov_b32 s22, exec_lo
	v_cmpx_ne_u32_e32 0x7f, v2
	s_cbranch_execz .LBB279_392
; %bb.389:                              ;   in Loop: Header=BB279_15 Depth=1
	v_and_b32_e32 v0, 7, v3
	v_lshrrev_b32_e32 v1, 3, v2
	s_mov_b32 s23, exec_lo
	v_cmpx_gt_u32_e32 8, v2
; %bb.390:                              ;   in Loop: Header=BB279_15 Depth=1
	v_ffbh_u32_e32 v0, v0
	v_min_u32_e32 v2, 32, v0
	v_subrev_nc_u32_e32 v0, 28, v2
	v_lshlrev_b64 v[0:1], v0, v[3:4]
	v_sub_nc_u32_e32 v1, 29, v2
	v_and_b32_e32 v0, 7, v0
; %bb.391:                              ;   in Loop: Header=BB279_15 Depth=1
	s_or_b32 exec_lo, exec_lo, s23
	v_lshlrev_b32_e32 v2, 8, v3
	v_lshl_add_u32 v1, v1, 10, 0x2000
	v_lshlrev_b32_e32 v0, 7, v0
	v_and_b32_e32 v2, 0x8000, v2
	v_and_b32_e32 v1, 0xfc00, v1
	v_or3_b32 v77, v2, v1, v0
.LBB279_392:                            ;   in Loop: Header=BB279_15 Depth=1
	s_or_b32 exec_lo, exec_lo, s22
.LBB279_393:                            ;   in Loop: Header=BB279_15 Depth=1
	s_or_b32 exec_lo, exec_lo, s21
.LBB279_394:                            ;   in Loop: Header=BB279_15 Depth=1
	s_or_b32 exec_lo, exec_lo, s20
	v_mov_b32_e32 v53, 0
	v_mov_b32_e32 v89, 0
	s_mov_b32 s20, exec_lo
	v_cmpx_lt_u64_e64 s[12:13], v[27:28]
	s_cbranch_execz .LBB279_402
; %bb.395:                              ;   in Loop: Header=BB279_15 Depth=1
	v_lshrrev_b32_e32 v3, 24, v28
	v_bfrev_b32_e32 v89, 1
	s_mov_b32 s21, exec_lo
	v_cmpx_ne_u32_e32 0x80, v3
	s_cbranch_execz .LBB279_401
; %bb.396:                              ;   in Loop: Header=BB279_15 Depth=1
	v_and_b32_e32 v2, 0x7f, v3
	v_mov_b32_e32 v89, 0x7c010000
	s_mov_b32 s22, exec_lo
	v_cmpx_ne_u32_e32 0x7f, v2
	s_cbranch_execz .LBB279_400
; %bb.397:                              ;   in Loop: Header=BB279_15 Depth=1
	v_and_b32_e32 v0, 7, v3
	v_lshrrev_b32_e32 v1, 3, v2
	s_mov_b32 s23, exec_lo
	v_cmpx_gt_u32_e32 8, v2
; %bb.398:                              ;   in Loop: Header=BB279_15 Depth=1
	v_ffbh_u32_e32 v0, v0
	v_min_u32_e32 v2, 32, v0
	v_subrev_nc_u32_e32 v0, 28, v2
	v_lshlrev_b64 v[0:1], v0, v[3:4]
	v_sub_nc_u32_e32 v1, 29, v2
	v_and_b32_e32 v0, 7, v0
; %bb.399:                              ;   in Loop: Header=BB279_15 Depth=1
	s_or_b32 exec_lo, exec_lo, s23
	v_lshlrev_b32_e32 v2, 8, v3
	v_lshl_add_u32 v1, v1, 10, 0x2000
	v_lshlrev_b32_e32 v0, 23, v0
	v_and_or_b32 v1, 0x8000, v2, v1
	v_lshl_or_b32 v89, v1, 16, v0
.LBB279_400:                            ;   in Loop: Header=BB279_15 Depth=1
	s_or_b32 exec_lo, exec_lo, s22
.LBB279_401:                            ;   in Loop: Header=BB279_15 Depth=1
	s_or_b32 exec_lo, exec_lo, s21
.LBB279_402:                            ;   in Loop: Header=BB279_15 Depth=1
	s_or_b32 exec_lo, exec_lo, s20
	flat_load_dwordx2 v[27:28], v[24:25] offset:1536
	s_waitcnt vmcnt(0) lgkmcnt(0)
	v_cmp_ne_u16_sdwa s5, v27, v4 src0_sel:BYTE_0 src1_sel:DWORD
	s_and_saveexec_b32 s20, s5
	s_cbranch_execz .LBB279_410
; %bb.403:                              ;   in Loop: Header=BB279_15 Depth=1
	v_cmp_ne_u16_sdwa s5, v27, v80 src0_sel:BYTE_0 src1_sel:DWORD
	v_mov_b32_e32 v53, 0x8000
	s_and_saveexec_b32 s21, s5
	s_cbranch_execz .LBB279_409
; %bb.404:                              ;   in Loop: Header=BB279_15 Depth=1
	v_and_b32_e32 v2, 0x7f, v27
	v_mov_b32_e32 v53, 0x7c01
	s_mov_b32 s22, exec_lo
	v_cmpx_ne_u32_e32 0x7f, v2
	s_cbranch_execz .LBB279_408
; %bb.405:                              ;   in Loop: Header=BB279_15 Depth=1
	v_and_b32_e32 v0, 7, v27
	v_lshrrev_b32_e32 v1, 3, v2
	s_mov_b32 s23, exec_lo
	v_cmpx_gt_u32_e32 8, v2
; %bb.406:                              ;   in Loop: Header=BB279_15 Depth=1
	v_ffbh_u32_e32 v0, v0
	v_min_u32_e32 v2, 32, v0
	v_subrev_nc_u32_e32 v0, 28, v2
	v_lshlrev_b64 v[0:1], v0, v[27:28]
	v_sub_nc_u32_e32 v1, 29, v2
	v_and_b32_e32 v0, 7, v0
; %bb.407:                              ;   in Loop: Header=BB279_15 Depth=1
	s_or_b32 exec_lo, exec_lo, s23
	v_lshlrev_b32_e32 v2, 8, v27
	v_lshl_add_u32 v1, v1, 10, 0x2000
	v_lshlrev_b32_e32 v0, 7, v0
	v_and_b32_e32 v2, 0x8000, v2
	v_and_b32_e32 v1, 0xfc00, v1
	v_or3_b32 v53, v2, v1, v0
.LBB279_408:                            ;   in Loop: Header=BB279_15 Depth=1
	s_or_b32 exec_lo, exec_lo, s22
.LBB279_409:                            ;   in Loop: Header=BB279_15 Depth=1
	s_or_b32 exec_lo, exec_lo, s21
.LBB279_410:                            ;   in Loop: Header=BB279_15 Depth=1
	s_or_b32 exec_lo, exec_lo, s20
	v_lshrrev_b16 v3, 8, v27
	v_mov_b32_e32 v104, 0
	v_mov_b32_e32 v95, 0
	s_mov_b32 s20, exec_lo
	v_cmpx_ne_u16_e32 0, v3
	s_cbranch_execz .LBB279_418
; %bb.411:                              ;   in Loop: Header=BB279_15 Depth=1
	v_bfrev_b32_e32 v95, 1
	s_mov_b32 s21, exec_lo
	v_cmpx_ne_u16_e32 0x80, v3
	s_cbranch_execz .LBB279_417
; %bb.412:                              ;   in Loop: Header=BB279_15 Depth=1
	v_mov_b32_e32 v0, 0x7f
	v_mov_b32_e32 v95, 0x7c010000
	s_mov_b32 s22, exec_lo
	v_and_b32_sdwa v2, v3, v0 dst_sel:DWORD dst_unused:UNUSED_PAD src0_sel:WORD_0 src1_sel:DWORD
	v_cmpx_ne_u32_e32 0x7f, v2
	s_cbranch_execz .LBB279_416
; %bb.413:                              ;   in Loop: Header=BB279_15 Depth=1
	v_mov_b32_e32 v0, 7
	v_lshrrev_b32_e32 v1, 3, v2
	s_mov_b32 s23, exec_lo
	v_and_b32_sdwa v0, v3, v0 dst_sel:DWORD dst_unused:UNUSED_PAD src0_sel:WORD_0 src1_sel:DWORD
	v_cmpx_gt_u32_e32 8, v2
; %bb.414:                              ;   in Loop: Header=BB279_15 Depth=1
	v_ffbh_u32_e32 v0, v0
	v_min_u32_e32 v2, 32, v0
	v_subrev_nc_u32_e32 v0, 28, v2
	v_lshlrev_b64 v[0:1], v0, v[3:4]
	v_sub_nc_u32_e32 v1, 29, v2
	v_and_b32_e32 v0, 7, v0
; %bb.415:                              ;   in Loop: Header=BB279_15 Depth=1
	s_or_b32 exec_lo, exec_lo, s23
	v_mov_b32_e32 v2, 8
	v_lshl_add_u32 v1, v1, 10, 0x2000
	v_lshlrev_b32_e32 v0, 23, v0
	v_lshlrev_b32_sdwa v2, v2, v3 dst_sel:DWORD dst_unused:UNUSED_PAD src0_sel:DWORD src1_sel:WORD_0
	v_and_or_b32 v1, 0x8000, v2, v1
	v_lshl_or_b32 v95, v1, 16, v0
.LBB279_416:                            ;   in Loop: Header=BB279_15 Depth=1
	s_or_b32 exec_lo, exec_lo, s22
.LBB279_417:                            ;   in Loop: Header=BB279_15 Depth=1
	s_or_b32 exec_lo, exec_lo, s21
.LBB279_418:                            ;   in Loop: Header=BB279_15 Depth=1
	s_or_b32 exec_lo, exec_lo, s20
	v_lshrrev_b32_e32 v3, 16, v27
	v_cmp_ne_u16_sdwa s5, v3, v4 src0_sel:BYTE_0 src1_sel:DWORD
	s_and_saveexec_b32 s20, s5
	s_cbranch_execz .LBB279_426
; %bb.419:                              ;   in Loop: Header=BB279_15 Depth=1
	v_cmp_ne_u16_sdwa s5, v3, v80 src0_sel:BYTE_0 src1_sel:DWORD
	v_mov_b32_e32 v104, 0x8000
	s_and_saveexec_b32 s21, s5
	s_cbranch_execz .LBB279_425
; %bb.420:                              ;   in Loop: Header=BB279_15 Depth=1
	v_bfe_u32 v2, v27, 16, 7
	v_mov_b32_e32 v104, 0x7c01
	s_mov_b32 s22, exec_lo
	v_cmpx_ne_u32_e32 0x7f, v2
	s_cbranch_execz .LBB279_424
; %bb.421:                              ;   in Loop: Header=BB279_15 Depth=1
	v_and_b32_e32 v0, 7, v3
	v_lshrrev_b32_e32 v1, 3, v2
	s_mov_b32 s23, exec_lo
	v_cmpx_gt_u32_e32 8, v2
; %bb.422:                              ;   in Loop: Header=BB279_15 Depth=1
	v_ffbh_u32_e32 v0, v0
	v_min_u32_e32 v2, 32, v0
	v_subrev_nc_u32_e32 v0, 28, v2
	v_lshlrev_b64 v[0:1], v0, v[3:4]
	v_sub_nc_u32_e32 v1, 29, v2
	v_and_b32_e32 v0, 7, v0
; %bb.423:                              ;   in Loop: Header=BB279_15 Depth=1
	s_or_b32 exec_lo, exec_lo, s23
	v_lshlrev_b32_e32 v2, 8, v3
	v_lshl_add_u32 v1, v1, 10, 0x2000
	v_lshlrev_b32_e32 v0, 7, v0
	v_and_b32_e32 v2, 0x8000, v2
	v_and_b32_e32 v1, 0xfc00, v1
	v_or3_b32 v104, v2, v1, v0
.LBB279_424:                            ;   in Loop: Header=BB279_15 Depth=1
	s_or_b32 exec_lo, exec_lo, s22
.LBB279_425:                            ;   in Loop: Header=BB279_15 Depth=1
	s_or_b32 exec_lo, exec_lo, s21
.LBB279_426:                            ;   in Loop: Header=BB279_15 Depth=1
	s_or_b32 exec_lo, exec_lo, s20
	v_mov_b32_e32 v108, 0
	v_mov_b32_e32 v110, 0
	s_mov_b32 s20, exec_lo
	v_cmpx_lt_u32_e32 0xffffff, v27
	s_cbranch_execz .LBB279_434
; %bb.427:                              ;   in Loop: Header=BB279_15 Depth=1
	v_lshrrev_b32_e32 v3, 24, v27
	v_bfrev_b32_e32 v110, 1
	s_mov_b32 s21, exec_lo
	v_cmpx_ne_u32_e32 0x80, v3
	s_cbranch_execz .LBB279_433
; %bb.428:                              ;   in Loop: Header=BB279_15 Depth=1
	v_and_b32_e32 v2, 0x7f, v3
	v_mov_b32_e32 v110, 0x7c010000
	s_mov_b32 s22, exec_lo
	v_cmpx_ne_u32_e32 0x7f, v2
	s_cbranch_execz .LBB279_432
; %bb.429:                              ;   in Loop: Header=BB279_15 Depth=1
	v_and_b32_e32 v0, 7, v3
	v_lshrrev_b32_e32 v1, 3, v2
	s_mov_b32 s23, exec_lo
	v_cmpx_gt_u32_e32 8, v2
; %bb.430:                              ;   in Loop: Header=BB279_15 Depth=1
	v_ffbh_u32_e32 v0, v0
	v_min_u32_e32 v2, 32, v0
	v_subrev_nc_u32_e32 v0, 28, v2
	v_lshlrev_b64 v[0:1], v0, v[3:4]
	v_sub_nc_u32_e32 v1, 29, v2
	v_and_b32_e32 v0, 7, v0
; %bb.431:                              ;   in Loop: Header=BB279_15 Depth=1
	s_or_b32 exec_lo, exec_lo, s23
	v_lshlrev_b32_e32 v2, 8, v3
	v_lshl_add_u32 v1, v1, 10, 0x2000
	v_lshlrev_b32_e32 v0, 23, v0
	v_and_or_b32 v1, 0x8000, v2, v1
	v_lshl_or_b32 v110, v1, 16, v0
.LBB279_432:                            ;   in Loop: Header=BB279_15 Depth=1
	s_or_b32 exec_lo, exec_lo, s22
.LBB279_433:                            ;   in Loop: Header=BB279_15 Depth=1
	s_or_b32 exec_lo, exec_lo, s21
.LBB279_434:                            ;   in Loop: Header=BB279_15 Depth=1
	s_or_b32 exec_lo, exec_lo, s20
	v_mov_b32_e32 v3, v28
	v_cmp_ne_u16_sdwa s5, v28, v4 src0_sel:BYTE_0 src1_sel:DWORD
	s_and_saveexec_b32 s20, s5
	s_cbranch_execz .LBB279_442
; %bb.435:                              ;   in Loop: Header=BB279_15 Depth=1
	v_cmp_ne_u16_sdwa s5, v28, v80 src0_sel:BYTE_0 src1_sel:DWORD
	v_mov_b32_e32 v108, 0x8000
	s_and_saveexec_b32 s21, s5
	s_cbranch_execz .LBB279_441
; %bb.436:                              ;   in Loop: Header=BB279_15 Depth=1
	v_and_b32_e32 v2, 0x7f, v28
	v_mov_b32_e32 v108, 0x7c01
	s_mov_b32 s22, exec_lo
	v_cmpx_ne_u32_e32 0x7f, v2
	s_cbranch_execz .LBB279_440
; %bb.437:                              ;   in Loop: Header=BB279_15 Depth=1
	v_and_b32_e32 v0, 7, v28
	v_lshrrev_b32_e32 v1, 3, v2
	s_mov_b32 s23, exec_lo
	v_cmpx_gt_u32_e32 8, v2
; %bb.438:                              ;   in Loop: Header=BB279_15 Depth=1
	v_ffbh_u32_e32 v0, v0
	v_min_u32_e32 v2, 32, v0
	v_subrev_nc_u32_e32 v0, 28, v2
	v_lshlrev_b64 v[0:1], v0, v[3:4]
	v_sub_nc_u32_e32 v1, 29, v2
	v_and_b32_e32 v0, 7, v0
; %bb.439:                              ;   in Loop: Header=BB279_15 Depth=1
	s_or_b32 exec_lo, exec_lo, s23
	v_lshlrev_b32_e32 v2, 8, v28
	v_lshl_add_u32 v1, v1, 10, 0x2000
	v_lshlrev_b32_e32 v0, 7, v0
	v_and_b32_e32 v2, 0x8000, v2
	v_and_b32_e32 v1, 0xfc00, v1
	v_or3_b32 v108, v2, v1, v0
.LBB279_440:                            ;   in Loop: Header=BB279_15 Depth=1
	s_or_b32 exec_lo, exec_lo, s22
.LBB279_441:                            ;   in Loop: Header=BB279_15 Depth=1
	s_or_b32 exec_lo, exec_lo, s21
.LBB279_442:                            ;   in Loop: Header=BB279_15 Depth=1
	s_or_b32 exec_lo, exec_lo, s20
	v_lshrrev_b16 v3, 8, v3
	v_mov_b32_e32 v123, 0
	v_mov_b32_e32 v124, 0
	s_mov_b32 s20, exec_lo
	v_cmpx_ne_u16_e32 0, v3
	s_cbranch_execz .LBB279_450
; %bb.443:                              ;   in Loop: Header=BB279_15 Depth=1
	v_bfrev_b32_e32 v124, 1
	s_mov_b32 s21, exec_lo
	v_cmpx_ne_u16_e32 0x80, v3
	s_cbranch_execz .LBB279_449
; %bb.444:                              ;   in Loop: Header=BB279_15 Depth=1
	v_mov_b32_e32 v0, 0x7f
	v_mov_b32_e32 v124, 0x7c010000
	s_mov_b32 s22, exec_lo
	v_and_b32_sdwa v2, v3, v0 dst_sel:DWORD dst_unused:UNUSED_PAD src0_sel:WORD_0 src1_sel:DWORD
	v_cmpx_ne_u32_e32 0x7f, v2
	s_cbranch_execz .LBB279_448
; %bb.445:                              ;   in Loop: Header=BB279_15 Depth=1
	v_mov_b32_e32 v0, 7
	v_lshrrev_b32_e32 v1, 3, v2
	s_mov_b32 s23, exec_lo
	v_and_b32_sdwa v0, v3, v0 dst_sel:DWORD dst_unused:UNUSED_PAD src0_sel:WORD_0 src1_sel:DWORD
	v_cmpx_gt_u32_e32 8, v2
; %bb.446:                              ;   in Loop: Header=BB279_15 Depth=1
	v_ffbh_u32_e32 v0, v0
	v_min_u32_e32 v2, 32, v0
	v_subrev_nc_u32_e32 v0, 28, v2
	v_lshlrev_b64 v[0:1], v0, v[3:4]
	v_sub_nc_u32_e32 v1, 29, v2
	v_and_b32_e32 v0, 7, v0
; %bb.447:                              ;   in Loop: Header=BB279_15 Depth=1
	s_or_b32 exec_lo, exec_lo, s23
	v_mov_b32_e32 v2, 8
	v_lshl_add_u32 v1, v1, 10, 0x2000
	v_lshlrev_b32_e32 v0, 23, v0
	v_lshlrev_b32_sdwa v2, v2, v3 dst_sel:DWORD dst_unused:UNUSED_PAD src0_sel:DWORD src1_sel:WORD_0
	v_and_or_b32 v1, 0x8000, v2, v1
	v_lshl_or_b32 v124, v1, 16, v0
.LBB279_448:                            ;   in Loop: Header=BB279_15 Depth=1
	s_or_b32 exec_lo, exec_lo, s22
.LBB279_449:                            ;   in Loop: Header=BB279_15 Depth=1
	s_or_b32 exec_lo, exec_lo, s21
.LBB279_450:                            ;   in Loop: Header=BB279_15 Depth=1
	s_or_b32 exec_lo, exec_lo, s20
	v_lshrrev_b32_e32 v3, 16, v28
	v_cmp_ne_u16_sdwa s5, v3, v4 src0_sel:BYTE_0 src1_sel:DWORD
	s_and_saveexec_b32 s20, s5
	s_cbranch_execz .LBB279_458
; %bb.451:                              ;   in Loop: Header=BB279_15 Depth=1
	v_cmp_ne_u16_sdwa s5, v3, v80 src0_sel:BYTE_0 src1_sel:DWORD
	v_mov_b32_e32 v123, 0x8000
	s_and_saveexec_b32 s21, s5
	s_cbranch_execz .LBB279_457
; %bb.452:                              ;   in Loop: Header=BB279_15 Depth=1
	v_bfe_u32 v2, v28, 16, 7
	v_mov_b32_e32 v123, 0x7c01
	s_mov_b32 s22, exec_lo
	v_cmpx_ne_u32_e32 0x7f, v2
	s_cbranch_execz .LBB279_456
; %bb.453:                              ;   in Loop: Header=BB279_15 Depth=1
	v_and_b32_e32 v0, 7, v3
	v_lshrrev_b32_e32 v1, 3, v2
	s_mov_b32 s23, exec_lo
	v_cmpx_gt_u32_e32 8, v2
; %bb.454:                              ;   in Loop: Header=BB279_15 Depth=1
	v_ffbh_u32_e32 v0, v0
	v_min_u32_e32 v2, 32, v0
	v_subrev_nc_u32_e32 v0, 28, v2
	v_lshlrev_b64 v[0:1], v0, v[3:4]
	v_sub_nc_u32_e32 v1, 29, v2
	v_and_b32_e32 v0, 7, v0
; %bb.455:                              ;   in Loop: Header=BB279_15 Depth=1
	s_or_b32 exec_lo, exec_lo, s23
	v_lshlrev_b32_e32 v2, 8, v3
	v_lshl_add_u32 v1, v1, 10, 0x2000
	v_lshlrev_b32_e32 v0, 7, v0
	v_and_b32_e32 v2, 0x8000, v2
	v_and_b32_e32 v1, 0xfc00, v1
	v_or3_b32 v123, v2, v1, v0
.LBB279_456:                            ;   in Loop: Header=BB279_15 Depth=1
	s_or_b32 exec_lo, exec_lo, s22
.LBB279_457:                            ;   in Loop: Header=BB279_15 Depth=1
	s_or_b32 exec_lo, exec_lo, s21
.LBB279_458:                            ;   in Loop: Header=BB279_15 Depth=1
	s_or_b32 exec_lo, exec_lo, s20
	v_mov_b32_e32 v8, 0
	v_mov_b32_e32 v127, 0
	s_mov_b32 s20, exec_lo
	v_cmpx_lt_u64_e64 s[12:13], v[27:28]
	s_cbranch_execz .LBB279_466
; %bb.459:                              ;   in Loop: Header=BB279_15 Depth=1
	v_lshrrev_b32_e32 v3, 24, v28
	v_bfrev_b32_e32 v127, 1
	s_mov_b32 s21, exec_lo
	v_cmpx_ne_u32_e32 0x80, v3
	s_cbranch_execz .LBB279_465
; %bb.460:                              ;   in Loop: Header=BB279_15 Depth=1
	v_and_b32_e32 v2, 0x7f, v3
	v_mov_b32_e32 v127, 0x7c010000
	s_mov_b32 s22, exec_lo
	v_cmpx_ne_u32_e32 0x7f, v2
	s_cbranch_execz .LBB279_464
; %bb.461:                              ;   in Loop: Header=BB279_15 Depth=1
	v_and_b32_e32 v0, 7, v3
	v_lshrrev_b32_e32 v1, 3, v2
	s_mov_b32 s23, exec_lo
	v_cmpx_gt_u32_e32 8, v2
; %bb.462:                              ;   in Loop: Header=BB279_15 Depth=1
	v_ffbh_u32_e32 v0, v0
	v_min_u32_e32 v2, 32, v0
	v_subrev_nc_u32_e32 v0, 28, v2
	v_lshlrev_b64 v[0:1], v0, v[3:4]
	v_sub_nc_u32_e32 v1, 29, v2
	v_and_b32_e32 v0, 7, v0
; %bb.463:                              ;   in Loop: Header=BB279_15 Depth=1
	s_or_b32 exec_lo, exec_lo, s23
	v_lshlrev_b32_e32 v2, 8, v3
	v_lshl_add_u32 v1, v1, 10, 0x2000
	v_lshlrev_b32_e32 v0, 23, v0
	v_and_or_b32 v1, 0x8000, v2, v1
	v_lshl_or_b32 v127, v1, 16, v0
.LBB279_464:                            ;   in Loop: Header=BB279_15 Depth=1
	s_or_b32 exec_lo, exec_lo, s22
.LBB279_465:                            ;   in Loop: Header=BB279_15 Depth=1
	s_or_b32 exec_lo, exec_lo, s21
.LBB279_466:                            ;   in Loop: Header=BB279_15 Depth=1
	s_or_b32 exec_lo, exec_lo, s20
	flat_load_dwordx2 v[27:28], v[24:25] offset:1544
	s_waitcnt vmcnt(0) lgkmcnt(0)
	v_cmp_ne_u16_sdwa s5, v27, v4 src0_sel:BYTE_0 src1_sel:DWORD
	s_and_saveexec_b32 s20, s5
	s_cbranch_execz .LBB279_474
; %bb.467:                              ;   in Loop: Header=BB279_15 Depth=1
	v_cmp_ne_u16_sdwa s5, v27, v80 src0_sel:BYTE_0 src1_sel:DWORD
	v_mov_b32_e32 v8, 0x8000
	s_and_saveexec_b32 s21, s5
	s_cbranch_execz .LBB279_473
; %bb.468:                              ;   in Loop: Header=BB279_15 Depth=1
	v_and_b32_e32 v2, 0x7f, v27
	v_mov_b32_e32 v8, 0x7c01
	s_mov_b32 s22, exec_lo
	v_cmpx_ne_u32_e32 0x7f, v2
	s_cbranch_execz .LBB279_472
; %bb.469:                              ;   in Loop: Header=BB279_15 Depth=1
	v_and_b32_e32 v0, 7, v27
	v_lshrrev_b32_e32 v1, 3, v2
	s_mov_b32 s23, exec_lo
	v_cmpx_gt_u32_e32 8, v2
; %bb.470:                              ;   in Loop: Header=BB279_15 Depth=1
	v_ffbh_u32_e32 v0, v0
	v_min_u32_e32 v2, 32, v0
	v_subrev_nc_u32_e32 v0, 28, v2
	v_lshlrev_b64 v[0:1], v0, v[27:28]
	v_sub_nc_u32_e32 v1, 29, v2
	v_and_b32_e32 v0, 7, v0
; %bb.471:                              ;   in Loop: Header=BB279_15 Depth=1
	s_or_b32 exec_lo, exec_lo, s23
	v_lshlrev_b32_e32 v2, 8, v27
	v_lshl_add_u32 v1, v1, 10, 0x2000
	v_lshlrev_b32_e32 v0, 7, v0
	v_and_b32_e32 v2, 0x8000, v2
	v_and_b32_e32 v1, 0xfc00, v1
	v_or3_b32 v8, v2, v1, v0
.LBB279_472:                            ;   in Loop: Header=BB279_15 Depth=1
	s_or_b32 exec_lo, exec_lo, s22
.LBB279_473:                            ;   in Loop: Header=BB279_15 Depth=1
	s_or_b32 exec_lo, exec_lo, s21
.LBB279_474:                            ;   in Loop: Header=BB279_15 Depth=1
	s_or_b32 exec_lo, exec_lo, s20
	v_lshrrev_b16 v3, 8, v27
	v_mov_b32_e32 v0, 0
	v_mov_b32_e32 v1, 0
	s_mov_b32 s20, exec_lo
	v_cmpx_ne_u16_e32 0, v3
	s_cbranch_execz .LBB279_482
; %bb.475:                              ;   in Loop: Header=BB279_15 Depth=1
	v_bfrev_b32_e32 v1, 1
	s_mov_b32 s21, exec_lo
	v_cmpx_ne_u16_e32 0x80, v3
	s_cbranch_execz .LBB279_481
; %bb.476:                              ;   in Loop: Header=BB279_15 Depth=1
	v_mov_b32_e32 v1, 0x7f
	s_mov_b32 s22, exec_lo
	v_and_b32_sdwa v6, v3, v1 dst_sel:DWORD dst_unused:UNUSED_PAD src0_sel:WORD_0 src1_sel:DWORD
	v_mov_b32_e32 v1, 0x7c010000
	v_cmpx_ne_u32_e32 0x7f, v6
	s_cbranch_execz .LBB279_480
; %bb.477:                              ;   in Loop: Header=BB279_15 Depth=1
	v_mov_b32_e32 v1, 7
	v_lshrrev_b32_e32 v2, 3, v6
	s_mov_b32 s23, exec_lo
	v_and_b32_sdwa v1, v3, v1 dst_sel:DWORD dst_unused:UNUSED_PAD src0_sel:WORD_0 src1_sel:DWORD
	v_cmpx_gt_u32_e32 8, v6
; %bb.478:                              ;   in Loop: Header=BB279_15 Depth=1
	v_ffbh_u32_e32 v1, v1
	v_min_u32_e32 v6, 32, v1
	v_subrev_nc_u32_e32 v1, 28, v6
	v_lshlrev_b64 v[1:2], v1, v[3:4]
	v_sub_nc_u32_e32 v2, 29, v6
	v_and_b32_e32 v1, 7, v1
; %bb.479:                              ;   in Loop: Header=BB279_15 Depth=1
	s_or_b32 exec_lo, exec_lo, s23
	v_mov_b32_e32 v6, 8
	v_lshl_add_u32 v2, v2, 10, 0x2000
	v_lshlrev_b32_e32 v1, 23, v1
	v_lshlrev_b32_sdwa v3, v6, v3 dst_sel:DWORD dst_unused:UNUSED_PAD src0_sel:DWORD src1_sel:WORD_0
	v_and_or_b32 v2, 0x8000, v3, v2
	v_lshl_or_b32 v1, v2, 16, v1
.LBB279_480:                            ;   in Loop: Header=BB279_15 Depth=1
	s_or_b32 exec_lo, exec_lo, s22
.LBB279_481:                            ;   in Loop: Header=BB279_15 Depth=1
	s_or_b32 exec_lo, exec_lo, s21
.LBB279_482:                            ;   in Loop: Header=BB279_15 Depth=1
	s_or_b32 exec_lo, exec_lo, s20
	v_lshrrev_b32_e32 v3, 16, v27
	v_cmp_ne_u16_sdwa s5, v3, v4 src0_sel:BYTE_0 src1_sel:DWORD
	s_and_saveexec_b32 s20, s5
	s_cbranch_execz .LBB279_490
; %bb.483:                              ;   in Loop: Header=BB279_15 Depth=1
	v_cmp_ne_u16_sdwa s5, v3, v80 src0_sel:BYTE_0 src1_sel:DWORD
	v_mov_b32_e32 v0, 0x8000
	s_and_saveexec_b32 s21, s5
	s_cbranch_execz .LBB279_489
; %bb.484:                              ;   in Loop: Header=BB279_15 Depth=1
	v_bfe_u32 v6, v27, 16, 7
	v_mov_b32_e32 v0, 0x7c01
	s_mov_b32 s22, exec_lo
	v_cmpx_ne_u32_e32 0x7f, v6
	s_cbranch_execz .LBB279_488
; %bb.485:                              ;   in Loop: Header=BB279_15 Depth=1
	v_and_b32_e32 v0, 7, v3
	v_lshrrev_b32_e32 v2, 3, v6
	s_mov_b32 s23, exec_lo
	v_cmpx_gt_u32_e32 8, v6
; %bb.486:                              ;   in Loop: Header=BB279_15 Depth=1
	v_ffbh_u32_e32 v0, v0
	v_min_u32_e32 v0, 32, v0
	v_subrev_nc_u32_e32 v2, 28, v0
	v_lshlrev_b64 v[6:7], v2, v[3:4]
	v_sub_nc_u32_e32 v2, 29, v0
	v_and_b32_e32 v0, 7, v6
; %bb.487:                              ;   in Loop: Header=BB279_15 Depth=1
	s_or_b32 exec_lo, exec_lo, s23
	v_lshlrev_b32_e32 v3, 8, v3
	v_lshl_add_u32 v2, v2, 10, 0x2000
	v_lshlrev_b32_e32 v0, 7, v0
	v_and_b32_e32 v3, 0x8000, v3
	v_and_b32_e32 v2, 0xfc00, v2
	v_or3_b32 v0, v3, v2, v0
.LBB279_488:                            ;   in Loop: Header=BB279_15 Depth=1
	s_or_b32 exec_lo, exec_lo, s22
.LBB279_489:                            ;   in Loop: Header=BB279_15 Depth=1
	s_or_b32 exec_lo, exec_lo, s21
.LBB279_490:                            ;   in Loop: Header=BB279_15 Depth=1
	s_or_b32 exec_lo, exec_lo, s20
	v_mov_b32_e32 v6, 0
	v_mov_b32_e32 v10, 0
	s_mov_b32 s20, exec_lo
	v_cmpx_lt_u32_e32 0xffffff, v27
	s_cbranch_execz .LBB279_498
; %bb.491:                              ;   in Loop: Header=BB279_15 Depth=1
	v_lshrrev_b32_e32 v3, 24, v27
	v_bfrev_b32_e32 v10, 1
	s_mov_b32 s21, exec_lo
	v_cmpx_ne_u32_e32 0x80, v3
	s_cbranch_execz .LBB279_497
; %bb.492:                              ;   in Loop: Header=BB279_15 Depth=1
	v_and_b32_e32 v9, 0x7f, v3
	v_mov_b32_e32 v10, 0x7c010000
	s_mov_b32 s22, exec_lo
	v_cmpx_ne_u32_e32 0x7f, v9
	s_cbranch_execz .LBB279_496
; %bb.493:                              ;   in Loop: Header=BB279_15 Depth=1
	v_and_b32_e32 v2, 7, v3
	v_lshrrev_b32_e32 v7, 3, v9
	s_mov_b32 s23, exec_lo
	v_cmpx_gt_u32_e32 8, v9
; %bb.494:                              ;   in Loop: Header=BB279_15 Depth=1
	v_ffbh_u32_e32 v2, v2
	v_min_u32_e32 v2, 32, v2
	v_subrev_nc_u32_e32 v7, 28, v2
	v_lshlrev_b64 v[9:10], v7, v[3:4]
	v_sub_nc_u32_e32 v7, 29, v2
	v_and_b32_e32 v2, 7, v9
; %bb.495:                              ;   in Loop: Header=BB279_15 Depth=1
	s_or_b32 exec_lo, exec_lo, s23
	v_lshlrev_b32_e32 v3, 8, v3
	v_lshl_add_u32 v7, v7, 10, 0x2000
	v_lshlrev_b32_e32 v2, 23, v2
	v_and_or_b32 v3, 0x8000, v3, v7
	v_lshl_or_b32 v10, v3, 16, v2
.LBB279_496:                            ;   in Loop: Header=BB279_15 Depth=1
	s_or_b32 exec_lo, exec_lo, s22
.LBB279_497:                            ;   in Loop: Header=BB279_15 Depth=1
	s_or_b32 exec_lo, exec_lo, s21
.LBB279_498:                            ;   in Loop: Header=BB279_15 Depth=1
	s_or_b32 exec_lo, exec_lo, s20
	v_mov_b32_e32 v3, v28
	v_cmp_ne_u16_sdwa s5, v28, v4 src0_sel:BYTE_0 src1_sel:DWORD
	s_and_saveexec_b32 s20, s5
	s_cbranch_execz .LBB279_506
; %bb.499:                              ;   in Loop: Header=BB279_15 Depth=1
	v_cmp_ne_u16_sdwa s5, v28, v80 src0_sel:BYTE_0 src1_sel:DWORD
	v_mov_b32_e32 v6, 0x8000
	s_and_saveexec_b32 s21, s5
	s_cbranch_execz .LBB279_505
; %bb.500:                              ;   in Loop: Header=BB279_15 Depth=1
	v_and_b32_e32 v7, 0x7f, v28
	v_mov_b32_e32 v6, 0x7c01
	s_mov_b32 s22, exec_lo
	v_cmpx_ne_u32_e32 0x7f, v7
	s_cbranch_execz .LBB279_504
; %bb.501:                              ;   in Loop: Header=BB279_15 Depth=1
	v_and_b32_e32 v2, 7, v28
	v_lshrrev_b32_e32 v6, 3, v7
	s_mov_b32 s23, exec_lo
	v_cmpx_gt_u32_e32 8, v7
; %bb.502:                              ;   in Loop: Header=BB279_15 Depth=1
	v_ffbh_u32_e32 v2, v2
	v_min_u32_e32 v2, 32, v2
	v_subrev_nc_u32_e32 v6, 28, v2
	v_lshlrev_b64 v[11:12], v6, v[3:4]
	v_sub_nc_u32_e32 v6, 29, v2
	v_and_b32_e32 v2, 7, v11
; %bb.503:                              ;   in Loop: Header=BB279_15 Depth=1
	s_or_b32 exec_lo, exec_lo, s23
	v_lshlrev_b32_e32 v7, 8, v28
	v_lshl_add_u32 v6, v6, 10, 0x2000
	v_lshlrev_b32_e32 v2, 7, v2
	v_and_b32_e32 v7, 0x8000, v7
	v_and_b32_e32 v6, 0xfc00, v6
	v_or3_b32 v6, v7, v6, v2
.LBB279_504:                            ;   in Loop: Header=BB279_15 Depth=1
	s_or_b32 exec_lo, exec_lo, s22
.LBB279_505:                            ;   in Loop: Header=BB279_15 Depth=1
	s_or_b32 exec_lo, exec_lo, s21
.LBB279_506:                            ;   in Loop: Header=BB279_15 Depth=1
	s_or_b32 exec_lo, exec_lo, s20
	v_lshrrev_b16 v3, 8, v3
	v_mov_b32_e32 v38, 0
	v_mov_b32_e32 v32, 0
	s_mov_b32 s20, exec_lo
	v_cmpx_ne_u16_e32 0, v3
	s_cbranch_execz .LBB279_514
; %bb.507:                              ;   in Loop: Header=BB279_15 Depth=1
	v_bfrev_b32_e32 v32, 1
	s_mov_b32 s21, exec_lo
	v_cmpx_ne_u16_e32 0x80, v3
	s_cbranch_execz .LBB279_513
; %bb.508:                              ;   in Loop: Header=BB279_15 Depth=1
	v_mov_b32_e32 v2, 0x7f
	v_mov_b32_e32 v32, 0x7c010000
	s_mov_b32 s22, exec_lo
	v_and_b32_sdwa v9, v3, v2 dst_sel:DWORD dst_unused:UNUSED_PAD src0_sel:WORD_0 src1_sel:DWORD
	v_cmpx_ne_u32_e32 0x7f, v9
	s_cbranch_execz .LBB279_512
; %bb.509:                              ;   in Loop: Header=BB279_15 Depth=1
	v_mov_b32_e32 v2, 7
	v_lshrrev_b32_e32 v7, 3, v9
	s_mov_b32 s23, exec_lo
	v_and_b32_sdwa v2, v3, v2 dst_sel:DWORD dst_unused:UNUSED_PAD src0_sel:WORD_0 src1_sel:DWORD
	v_cmpx_gt_u32_e32 8, v9
; %bb.510:                              ;   in Loop: Header=BB279_15 Depth=1
	v_ffbh_u32_e32 v2, v2
	v_min_u32_e32 v2, 32, v2
	v_subrev_nc_u32_e32 v7, 28, v2
	v_lshlrev_b64 v[11:12], v7, v[3:4]
	v_sub_nc_u32_e32 v7, 29, v2
	v_and_b32_e32 v2, 7, v11
; %bb.511:                              ;   in Loop: Header=BB279_15 Depth=1
	s_or_b32 exec_lo, exec_lo, s23
	v_mov_b32_e32 v9, 8
	v_lshl_add_u32 v7, v7, 10, 0x2000
	v_lshlrev_b32_e32 v2, 23, v2
	v_lshlrev_b32_sdwa v3, v9, v3 dst_sel:DWORD dst_unused:UNUSED_PAD src0_sel:DWORD src1_sel:WORD_0
	v_and_or_b32 v3, 0x8000, v3, v7
	v_lshl_or_b32 v32, v3, 16, v2
.LBB279_512:                            ;   in Loop: Header=BB279_15 Depth=1
	s_or_b32 exec_lo, exec_lo, s22
.LBB279_513:                            ;   in Loop: Header=BB279_15 Depth=1
	s_or_b32 exec_lo, exec_lo, s21
.LBB279_514:                            ;   in Loop: Header=BB279_15 Depth=1
	s_or_b32 exec_lo, exec_lo, s20
	v_lshrrev_b32_e32 v3, 16, v28
	v_cmp_ne_u16_sdwa s5, v3, v4 src0_sel:BYTE_0 src1_sel:DWORD
	s_and_saveexec_b32 s20, s5
	s_cbranch_execz .LBB279_522
; %bb.515:                              ;   in Loop: Header=BB279_15 Depth=1
	v_cmp_ne_u16_sdwa s5, v3, v80 src0_sel:BYTE_0 src1_sel:DWORD
	v_mov_b32_e32 v38, 0x8000
	s_and_saveexec_b32 s21, s5
	s_cbranch_execz .LBB279_521
; %bb.516:                              ;   in Loop: Header=BB279_15 Depth=1
	v_bfe_u32 v9, v28, 16, 7
	v_mov_b32_e32 v38, 0x7c01
	s_mov_b32 s22, exec_lo
	v_cmpx_ne_u32_e32 0x7f, v9
	s_cbranch_execz .LBB279_520
; %bb.517:                              ;   in Loop: Header=BB279_15 Depth=1
	v_and_b32_e32 v2, 7, v3
	v_lshrrev_b32_e32 v7, 3, v9
	s_mov_b32 s23, exec_lo
	v_cmpx_gt_u32_e32 8, v9
; %bb.518:                              ;   in Loop: Header=BB279_15 Depth=1
	v_ffbh_u32_e32 v2, v2
	v_min_u32_e32 v2, 32, v2
	v_subrev_nc_u32_e32 v7, 28, v2
	v_lshlrev_b64 v[11:12], v7, v[3:4]
	v_sub_nc_u32_e32 v7, 29, v2
	v_and_b32_e32 v2, 7, v11
; %bb.519:                              ;   in Loop: Header=BB279_15 Depth=1
	s_or_b32 exec_lo, exec_lo, s23
	v_lshlrev_b32_e32 v3, 8, v3
	v_lshl_add_u32 v7, v7, 10, 0x2000
	v_lshlrev_b32_e32 v2, 7, v2
	v_and_b32_e32 v3, 0x8000, v3
	v_and_b32_e32 v7, 0xfc00, v7
	v_or3_b32 v38, v3, v7, v2
.LBB279_520:                            ;   in Loop: Header=BB279_15 Depth=1
	s_or_b32 exec_lo, exec_lo, s22
.LBB279_521:                            ;   in Loop: Header=BB279_15 Depth=1
	s_or_b32 exec_lo, exec_lo, s21
.LBB279_522:                            ;   in Loop: Header=BB279_15 Depth=1
	s_or_b32 exec_lo, exec_lo, s20
	v_mov_b32_e32 v49, 0
	v_mov_b32_e32 v15, 0
	s_mov_b32 s20, exec_lo
	v_cmpx_lt_u64_e64 s[12:13], v[27:28]
	s_cbranch_execz .LBB279_530
; %bb.523:                              ;   in Loop: Header=BB279_15 Depth=1
	v_lshrrev_b32_e32 v3, 24, v28
	v_bfrev_b32_e32 v15, 1
	s_mov_b32 s21, exec_lo
	v_cmpx_ne_u32_e32 0x80, v3
	s_cbranch_execz .LBB279_529
; %bb.524:                              ;   in Loop: Header=BB279_15 Depth=1
	v_and_b32_e32 v9, 0x7f, v3
	v_mov_b32_e32 v15, 0x7c010000
	s_mov_b32 s22, exec_lo
	v_cmpx_ne_u32_e32 0x7f, v9
	s_cbranch_execz .LBB279_528
; %bb.525:                              ;   in Loop: Header=BB279_15 Depth=1
	v_and_b32_e32 v2, 7, v3
	v_lshrrev_b32_e32 v7, 3, v9
	s_mov_b32 s23, exec_lo
	v_cmpx_gt_u32_e32 8, v9
; %bb.526:                              ;   in Loop: Header=BB279_15 Depth=1
	v_ffbh_u32_e32 v2, v2
	v_min_u32_e32 v2, 32, v2
	v_subrev_nc_u32_e32 v7, 28, v2
	v_lshlrev_b64 v[11:12], v7, v[3:4]
	v_sub_nc_u32_e32 v7, 29, v2
	v_and_b32_e32 v2, 7, v11
; %bb.527:                              ;   in Loop: Header=BB279_15 Depth=1
	s_or_b32 exec_lo, exec_lo, s23
	v_lshlrev_b32_e32 v3, 8, v3
	v_lshl_add_u32 v7, v7, 10, 0x2000
	v_lshlrev_b32_e32 v2, 23, v2
	v_and_or_b32 v3, 0x8000, v3, v7
	v_lshl_or_b32 v15, v3, 16, v2
.LBB279_528:                            ;   in Loop: Header=BB279_15 Depth=1
	s_or_b32 exec_lo, exec_lo, s22
.LBB279_529:                            ;   in Loop: Header=BB279_15 Depth=1
	s_or_b32 exec_lo, exec_lo, s21
.LBB279_530:                            ;   in Loop: Header=BB279_15 Depth=1
	s_or_b32 exec_lo, exec_lo, s20
	v_add_co_u32 v24, s5, 0x800, v24
	v_add_co_ci_u32_e64 v25, null, 0, v25, s5
	flat_load_dwordx2 v[27:28], v[24:25]
	s_waitcnt vmcnt(0) lgkmcnt(0)
	v_cmp_ne_u16_sdwa s5, v27, v4 src0_sel:BYTE_0 src1_sel:DWORD
	s_and_saveexec_b32 s20, s5
	s_cbranch_execz .LBB279_538
; %bb.531:                              ;   in Loop: Header=BB279_15 Depth=1
	v_cmp_ne_u16_sdwa s5, v27, v80 src0_sel:BYTE_0 src1_sel:DWORD
	v_mov_b32_e32 v49, 0x8000
	s_and_saveexec_b32 s21, s5
	s_cbranch_execz .LBB279_537
; %bb.532:                              ;   in Loop: Header=BB279_15 Depth=1
	v_and_b32_e32 v7, 0x7f, v27
	v_mov_b32_e32 v49, 0x7c01
	s_mov_b32 s22, exec_lo
	v_cmpx_ne_u32_e32 0x7f, v7
	s_cbranch_execz .LBB279_536
; %bb.533:                              ;   in Loop: Header=BB279_15 Depth=1
	v_and_b32_e32 v2, 7, v27
	v_lshrrev_b32_e32 v3, 3, v7
	s_mov_b32 s23, exec_lo
	v_cmpx_gt_u32_e32 8, v7
; %bb.534:                              ;   in Loop: Header=BB279_15 Depth=1
	v_ffbh_u32_e32 v2, v2
	v_min_u32_e32 v7, 32, v2
	v_subrev_nc_u32_e32 v2, 28, v7
	v_lshlrev_b64 v[2:3], v2, v[27:28]
	v_sub_nc_u32_e32 v3, 29, v7
	v_and_b32_e32 v2, 7, v2
; %bb.535:                              ;   in Loop: Header=BB279_15 Depth=1
	s_or_b32 exec_lo, exec_lo, s23
	v_lshlrev_b32_e32 v7, 8, v27
	v_lshl_add_u32 v3, v3, 10, 0x2000
	v_lshlrev_b32_e32 v2, 7, v2
	v_and_b32_e32 v7, 0x8000, v7
	v_and_b32_e32 v3, 0xfc00, v3
	v_or3_b32 v49, v7, v3, v2
.LBB279_536:                            ;   in Loop: Header=BB279_15 Depth=1
	s_or_b32 exec_lo, exec_lo, s22
.LBB279_537:                            ;   in Loop: Header=BB279_15 Depth=1
	s_or_b32 exec_lo, exec_lo, s21
.LBB279_538:                            ;   in Loop: Header=BB279_15 Depth=1
	s_or_b32 exec_lo, exec_lo, s20
	v_lshrrev_b16 v3, 8, v27
	v_mov_b32_e32 v64, 0
	v_mov_b32_e32 v21, 0
	s_mov_b32 s20, exec_lo
	v_cmpx_ne_u16_e32 0, v3
	s_cbranch_execz .LBB279_546
; %bb.539:                              ;   in Loop: Header=BB279_15 Depth=1
	v_bfrev_b32_e32 v21, 1
	s_mov_b32 s21, exec_lo
	v_cmpx_ne_u16_e32 0x80, v3
	s_cbranch_execz .LBB279_545
; %bb.540:                              ;   in Loop: Header=BB279_15 Depth=1
	v_mov_b32_e32 v2, 0x7f
	v_mov_b32_e32 v21, 0x7c010000
	s_mov_b32 s22, exec_lo
	v_and_b32_sdwa v9, v3, v2 dst_sel:DWORD dst_unused:UNUSED_PAD src0_sel:WORD_0 src1_sel:DWORD
	v_cmpx_ne_u32_e32 0x7f, v9
	s_cbranch_execz .LBB279_544
; %bb.541:                              ;   in Loop: Header=BB279_15 Depth=1
	v_mov_b32_e32 v2, 7
	v_lshrrev_b32_e32 v7, 3, v9
	s_mov_b32 s23, exec_lo
	v_and_b32_sdwa v2, v3, v2 dst_sel:DWORD dst_unused:UNUSED_PAD src0_sel:WORD_0 src1_sel:DWORD
	v_cmpx_gt_u32_e32 8, v9
; %bb.542:                              ;   in Loop: Header=BB279_15 Depth=1
	v_ffbh_u32_e32 v2, v2
	v_min_u32_e32 v2, 32, v2
	v_subrev_nc_u32_e32 v7, 28, v2
	v_lshlrev_b64 v[11:12], v7, v[3:4]
	v_sub_nc_u32_e32 v7, 29, v2
	v_and_b32_e32 v2, 7, v11
; %bb.543:                              ;   in Loop: Header=BB279_15 Depth=1
	s_or_b32 exec_lo, exec_lo, s23
	v_mov_b32_e32 v9, 8
	v_lshl_add_u32 v7, v7, 10, 0x2000
	v_lshlrev_b32_e32 v2, 23, v2
	v_lshlrev_b32_sdwa v3, v9, v3 dst_sel:DWORD dst_unused:UNUSED_PAD src0_sel:DWORD src1_sel:WORD_0
	v_and_or_b32 v3, 0x8000, v3, v7
	v_lshl_or_b32 v21, v3, 16, v2
.LBB279_544:                            ;   in Loop: Header=BB279_15 Depth=1
	s_or_b32 exec_lo, exec_lo, s22
.LBB279_545:                            ;   in Loop: Header=BB279_15 Depth=1
	s_or_b32 exec_lo, exec_lo, s21
.LBB279_546:                            ;   in Loop: Header=BB279_15 Depth=1
	s_or_b32 exec_lo, exec_lo, s20
	v_lshrrev_b32_e32 v3, 16, v27
	v_cmp_ne_u16_sdwa s5, v3, v4 src0_sel:BYTE_0 src1_sel:DWORD
	s_and_saveexec_b32 s20, s5
	s_cbranch_execz .LBB279_554
; %bb.547:                              ;   in Loop: Header=BB279_15 Depth=1
	v_cmp_ne_u16_sdwa s5, v3, v80 src0_sel:BYTE_0 src1_sel:DWORD
	v_mov_b32_e32 v64, 0x8000
	s_and_saveexec_b32 s21, s5
	s_cbranch_execz .LBB279_553
; %bb.548:                              ;   in Loop: Header=BB279_15 Depth=1
	v_bfe_u32 v9, v27, 16, 7
	v_mov_b32_e32 v64, 0x7c01
	s_mov_b32 s22, exec_lo
	v_cmpx_ne_u32_e32 0x7f, v9
	s_cbranch_execz .LBB279_552
; %bb.549:                              ;   in Loop: Header=BB279_15 Depth=1
	v_and_b32_e32 v2, 7, v3
	v_lshrrev_b32_e32 v7, 3, v9
	s_mov_b32 s23, exec_lo
	v_cmpx_gt_u32_e32 8, v9
; %bb.550:                              ;   in Loop: Header=BB279_15 Depth=1
	v_ffbh_u32_e32 v2, v2
	v_min_u32_e32 v2, 32, v2
	v_subrev_nc_u32_e32 v7, 28, v2
	v_lshlrev_b64 v[11:12], v7, v[3:4]
	v_sub_nc_u32_e32 v7, 29, v2
	v_and_b32_e32 v2, 7, v11
; %bb.551:                              ;   in Loop: Header=BB279_15 Depth=1
	s_or_b32 exec_lo, exec_lo, s23
	v_lshlrev_b32_e32 v3, 8, v3
	v_lshl_add_u32 v7, v7, 10, 0x2000
	v_lshlrev_b32_e32 v2, 7, v2
	v_and_b32_e32 v3, 0x8000, v3
	v_and_b32_e32 v7, 0xfc00, v7
	v_or3_b32 v64, v3, v7, v2
.LBB279_552:                            ;   in Loop: Header=BB279_15 Depth=1
	s_or_b32 exec_lo, exec_lo, s22
.LBB279_553:                            ;   in Loop: Header=BB279_15 Depth=1
	s_or_b32 exec_lo, exec_lo, s21
.LBB279_554:                            ;   in Loop: Header=BB279_15 Depth=1
	s_or_b32 exec_lo, exec_lo, s20
	v_mov_b32_e32 v20, 0
	v_mov_b32_e32 v65, 0
	s_mov_b32 s20, exec_lo
	v_cmpx_lt_u32_e32 0xffffff, v27
	s_cbranch_execz .LBB279_562
; %bb.555:                              ;   in Loop: Header=BB279_15 Depth=1
	v_lshrrev_b32_e32 v3, 24, v27
	v_bfrev_b32_e32 v65, 1
	s_mov_b32 s21, exec_lo
	v_cmpx_ne_u32_e32 0x80, v3
	s_cbranch_execz .LBB279_561
; %bb.556:                              ;   in Loop: Header=BB279_15 Depth=1
	v_and_b32_e32 v9, 0x7f, v3
	v_mov_b32_e32 v65, 0x7c010000
	s_mov_b32 s22, exec_lo
	v_cmpx_ne_u32_e32 0x7f, v9
	s_cbranch_execz .LBB279_560
; %bb.557:                              ;   in Loop: Header=BB279_15 Depth=1
	v_and_b32_e32 v2, 7, v3
	v_lshrrev_b32_e32 v7, 3, v9
	s_mov_b32 s23, exec_lo
	v_cmpx_gt_u32_e32 8, v9
; %bb.558:                              ;   in Loop: Header=BB279_15 Depth=1
	v_ffbh_u32_e32 v2, v2
	v_min_u32_e32 v2, 32, v2
	v_subrev_nc_u32_e32 v7, 28, v2
	v_lshlrev_b64 v[11:12], v7, v[3:4]
	v_sub_nc_u32_e32 v7, 29, v2
	v_and_b32_e32 v2, 7, v11
; %bb.559:                              ;   in Loop: Header=BB279_15 Depth=1
	s_or_b32 exec_lo, exec_lo, s23
	v_lshlrev_b32_e32 v3, 8, v3
	v_lshl_add_u32 v7, v7, 10, 0x2000
	v_lshlrev_b32_e32 v2, 23, v2
	v_and_or_b32 v3, 0x8000, v3, v7
	v_lshl_or_b32 v65, v3, 16, v2
.LBB279_560:                            ;   in Loop: Header=BB279_15 Depth=1
	s_or_b32 exec_lo, exec_lo, s22
.LBB279_561:                            ;   in Loop: Header=BB279_15 Depth=1
	s_or_b32 exec_lo, exec_lo, s21
.LBB279_562:                            ;   in Loop: Header=BB279_15 Depth=1
	s_or_b32 exec_lo, exec_lo, s20
	v_mov_b32_e32 v3, v28
	v_cmp_ne_u16_sdwa s5, v28, v4 src0_sel:BYTE_0 src1_sel:DWORD
	s_and_saveexec_b32 s20, s5
	s_cbranch_execz .LBB279_570
; %bb.563:                              ;   in Loop: Header=BB279_15 Depth=1
	v_cmp_ne_u16_sdwa s5, v28, v80 src0_sel:BYTE_0 src1_sel:DWORD
	v_mov_b32_e32 v20, 0x8000
	s_and_saveexec_b32 s21, s5
	s_cbranch_execz .LBB279_569
; %bb.564:                              ;   in Loop: Header=BB279_15 Depth=1
	v_and_b32_e32 v9, 0x7f, v28
	v_mov_b32_e32 v20, 0x7c01
	s_mov_b32 s22, exec_lo
	v_cmpx_ne_u32_e32 0x7f, v9
	s_cbranch_execz .LBB279_568
; %bb.565:                              ;   in Loop: Header=BB279_15 Depth=1
	v_and_b32_e32 v2, 7, v28
	v_lshrrev_b32_e32 v7, 3, v9
	s_mov_b32 s23, exec_lo
	v_cmpx_gt_u32_e32 8, v9
; %bb.566:                              ;   in Loop: Header=BB279_15 Depth=1
	v_ffbh_u32_e32 v2, v2
	v_min_u32_e32 v2, 32, v2
	v_subrev_nc_u32_e32 v7, 28, v2
	v_lshlrev_b64 v[11:12], v7, v[3:4]
	v_sub_nc_u32_e32 v7, 29, v2
	v_and_b32_e32 v2, 7, v11
; %bb.567:                              ;   in Loop: Header=BB279_15 Depth=1
	s_or_b32 exec_lo, exec_lo, s23
	v_lshlrev_b32_e32 v9, 8, v28
	v_lshl_add_u32 v7, v7, 10, 0x2000
	v_lshlrev_b32_e32 v2, 7, v2
	v_and_b32_e32 v9, 0x8000, v9
	v_and_b32_e32 v7, 0xfc00, v7
	v_or3_b32 v20, v9, v7, v2
.LBB279_568:                            ;   in Loop: Header=BB279_15 Depth=1
	s_or_b32 exec_lo, exec_lo, s22
.LBB279_569:                            ;   in Loop: Header=BB279_15 Depth=1
	s_or_b32 exec_lo, exec_lo, s21
.LBB279_570:                            ;   in Loop: Header=BB279_15 Depth=1
	s_or_b32 exec_lo, exec_lo, s20
	v_lshrrev_b16 v3, 8, v3
	v_mov_b32_e32 v34, 0
	v_mov_b32_e32 v36, 0
	s_mov_b32 s20, exec_lo
	v_cmpx_ne_u16_e32 0, v3
	s_cbranch_execz .LBB279_578
; %bb.571:                              ;   in Loop: Header=BB279_15 Depth=1
	v_bfrev_b32_e32 v36, 1
	s_mov_b32 s21, exec_lo
	v_cmpx_ne_u16_e32 0x80, v3
	s_cbranch_execz .LBB279_577
; %bb.572:                              ;   in Loop: Header=BB279_15 Depth=1
	v_mov_b32_e32 v2, 0x7f
	v_mov_b32_e32 v36, 0x7c010000
	s_mov_b32 s22, exec_lo
	v_and_b32_sdwa v9, v3, v2 dst_sel:DWORD dst_unused:UNUSED_PAD src0_sel:WORD_0 src1_sel:DWORD
	v_cmpx_ne_u32_e32 0x7f, v9
	s_cbranch_execz .LBB279_576
; %bb.573:                              ;   in Loop: Header=BB279_15 Depth=1
	v_mov_b32_e32 v2, 7
	v_lshrrev_b32_e32 v7, 3, v9
	s_mov_b32 s23, exec_lo
	v_and_b32_sdwa v2, v3, v2 dst_sel:DWORD dst_unused:UNUSED_PAD src0_sel:WORD_0 src1_sel:DWORD
	v_cmpx_gt_u32_e32 8, v9
; %bb.574:                              ;   in Loop: Header=BB279_15 Depth=1
	v_ffbh_u32_e32 v2, v2
	v_min_u32_e32 v2, 32, v2
	v_subrev_nc_u32_e32 v7, 28, v2
	v_lshlrev_b64 v[11:12], v7, v[3:4]
	v_sub_nc_u32_e32 v7, 29, v2
	v_and_b32_e32 v2, 7, v11
; %bb.575:                              ;   in Loop: Header=BB279_15 Depth=1
	s_or_b32 exec_lo, exec_lo, s23
	v_mov_b32_e32 v9, 8
	v_lshl_add_u32 v7, v7, 10, 0x2000
	v_lshlrev_b32_e32 v2, 23, v2
	v_lshlrev_b32_sdwa v3, v9, v3 dst_sel:DWORD dst_unused:UNUSED_PAD src0_sel:DWORD src1_sel:WORD_0
	v_and_or_b32 v3, 0x8000, v3, v7
	v_lshl_or_b32 v36, v3, 16, v2
.LBB279_576:                            ;   in Loop: Header=BB279_15 Depth=1
	s_or_b32 exec_lo, exec_lo, s22
.LBB279_577:                            ;   in Loop: Header=BB279_15 Depth=1
	s_or_b32 exec_lo, exec_lo, s21
.LBB279_578:                            ;   in Loop: Header=BB279_15 Depth=1
	s_or_b32 exec_lo, exec_lo, s20
	v_lshrrev_b32_e32 v3, 16, v28
	v_cmp_ne_u16_sdwa s5, v3, v4 src0_sel:BYTE_0 src1_sel:DWORD
	s_and_saveexec_b32 s20, s5
	s_cbranch_execz .LBB279_586
; %bb.579:                              ;   in Loop: Header=BB279_15 Depth=1
	v_cmp_ne_u16_sdwa s5, v3, v80 src0_sel:BYTE_0 src1_sel:DWORD
	v_mov_b32_e32 v34, 0x8000
	s_and_saveexec_b32 s21, s5
	s_cbranch_execz .LBB279_585
; %bb.580:                              ;   in Loop: Header=BB279_15 Depth=1
	v_bfe_u32 v9, v28, 16, 7
	v_mov_b32_e32 v34, 0x7c01
	s_mov_b32 s22, exec_lo
	v_cmpx_ne_u32_e32 0x7f, v9
	s_cbranch_execz .LBB279_584
; %bb.581:                              ;   in Loop: Header=BB279_15 Depth=1
	v_and_b32_e32 v2, 7, v3
	v_lshrrev_b32_e32 v7, 3, v9
	s_mov_b32 s23, exec_lo
	v_cmpx_gt_u32_e32 8, v9
; %bb.582:                              ;   in Loop: Header=BB279_15 Depth=1
	v_ffbh_u32_e32 v2, v2
	v_min_u32_e32 v2, 32, v2
	v_subrev_nc_u32_e32 v7, 28, v2
	v_lshlrev_b64 v[11:12], v7, v[3:4]
	v_sub_nc_u32_e32 v7, 29, v2
	v_and_b32_e32 v2, 7, v11
; %bb.583:                              ;   in Loop: Header=BB279_15 Depth=1
	s_or_b32 exec_lo, exec_lo, s23
	v_lshlrev_b32_e32 v3, 8, v3
	v_lshl_add_u32 v7, v7, 10, 0x2000
	v_lshlrev_b32_e32 v2, 7, v2
	v_and_b32_e32 v3, 0x8000, v3
	v_and_b32_e32 v7, 0xfc00, v7
	v_or3_b32 v34, v3, v7, v2
.LBB279_584:                            ;   in Loop: Header=BB279_15 Depth=1
	s_or_b32 exec_lo, exec_lo, s22
.LBB279_585:                            ;   in Loop: Header=BB279_15 Depth=1
	s_or_b32 exec_lo, exec_lo, s21
.LBB279_586:                            ;   in Loop: Header=BB279_15 Depth=1
	s_or_b32 exec_lo, exec_lo, s20
	v_mov_b32_e32 v2, 0
	v_mov_b32_e32 v51, 0
	s_mov_b32 s20, exec_lo
	v_cmpx_lt_u64_e64 s[12:13], v[27:28]
	s_cbranch_execz .LBB279_594
; %bb.587:                              ;   in Loop: Header=BB279_15 Depth=1
	v_lshrrev_b32_e32 v3, 24, v28
	v_bfrev_b32_e32 v51, 1
	s_mov_b32 s21, exec_lo
	v_cmpx_ne_u32_e32 0x80, v3
	s_cbranch_execz .LBB279_593
; %bb.588:                              ;   in Loop: Header=BB279_15 Depth=1
	v_and_b32_e32 v11, 0x7f, v3
	v_mov_b32_e32 v51, 0x7c010000
	s_mov_b32 s22, exec_lo
	v_cmpx_ne_u32_e32 0x7f, v11
	s_cbranch_execz .LBB279_592
; %bb.589:                              ;   in Loop: Header=BB279_15 Depth=1
	v_and_b32_e32 v7, 7, v3
	v_lshrrev_b32_e32 v9, 3, v11
	s_mov_b32 s23, exec_lo
	v_cmpx_gt_u32_e32 8, v11
; %bb.590:                              ;   in Loop: Header=BB279_15 Depth=1
	v_ffbh_u32_e32 v7, v7
	v_min_u32_e32 v7, 32, v7
	v_subrev_nc_u32_e32 v9, 28, v7
	v_lshlrev_b64 v[11:12], v9, v[3:4]
	v_sub_nc_u32_e32 v9, 29, v7
	v_and_b32_e32 v7, 7, v11
; %bb.591:                              ;   in Loop: Header=BB279_15 Depth=1
	s_or_b32 exec_lo, exec_lo, s23
	v_lshlrev_b32_e32 v3, 8, v3
	v_lshl_add_u32 v9, v9, 10, 0x2000
	v_lshlrev_b32_e32 v7, 23, v7
	v_and_or_b32 v3, 0x8000, v3, v9
	v_lshl_or_b32 v51, v3, 16, v7
.LBB279_592:                            ;   in Loop: Header=BB279_15 Depth=1
	s_or_b32 exec_lo, exec_lo, s22
.LBB279_593:                            ;   in Loop: Header=BB279_15 Depth=1
	s_or_b32 exec_lo, exec_lo, s21
.LBB279_594:                            ;   in Loop: Header=BB279_15 Depth=1
	s_or_b32 exec_lo, exec_lo, s20
	flat_load_dwordx2 v[27:28], v[24:25] offset:8
	s_waitcnt vmcnt(0) lgkmcnt(0)
	v_cmp_ne_u16_sdwa s5, v27, v4 src0_sel:BYTE_0 src1_sel:DWORD
	s_and_saveexec_b32 s20, s5
	s_cbranch_execz .LBB279_602
; %bb.595:                              ;   in Loop: Header=BB279_15 Depth=1
	v_cmp_ne_u16_sdwa s5, v27, v80 src0_sel:BYTE_0 src1_sel:DWORD
	v_mov_b32_e32 v2, 0x8000
	s_and_saveexec_b32 s21, s5
	s_cbranch_execz .LBB279_601
; %bb.596:                              ;   in Loop: Header=BB279_15 Depth=1
	v_and_b32_e32 v7, 0x7f, v27
	v_mov_b32_e32 v2, 0x7c01
	s_mov_b32 s22, exec_lo
	v_cmpx_ne_u32_e32 0x7f, v7
	s_cbranch_execz .LBB279_600
; %bb.597:                              ;   in Loop: Header=BB279_15 Depth=1
	v_and_b32_e32 v2, 7, v27
	v_lshrrev_b32_e32 v3, 3, v7
	s_mov_b32 s23, exec_lo
	v_cmpx_gt_u32_e32 8, v7
; %bb.598:                              ;   in Loop: Header=BB279_15 Depth=1
	v_ffbh_u32_e32 v2, v2
	v_min_u32_e32 v7, 32, v2
	v_subrev_nc_u32_e32 v2, 28, v7
	v_lshlrev_b64 v[2:3], v2, v[27:28]
	v_sub_nc_u32_e32 v3, 29, v7
	v_and_b32_e32 v2, 7, v2
; %bb.599:                              ;   in Loop: Header=BB279_15 Depth=1
	s_or_b32 exec_lo, exec_lo, s23
	v_lshlrev_b32_e32 v7, 8, v27
	v_lshl_add_u32 v3, v3, 10, 0x2000
	v_lshlrev_b32_e32 v2, 7, v2
	v_and_b32_e32 v7, 0x8000, v7
	v_and_b32_e32 v3, 0xfc00, v3
	v_or3_b32 v2, v7, v3, v2
.LBB279_600:                            ;   in Loop: Header=BB279_15 Depth=1
	s_or_b32 exec_lo, exec_lo, s22
.LBB279_601:                            ;   in Loop: Header=BB279_15 Depth=1
	s_or_b32 exec_lo, exec_lo, s21
.LBB279_602:                            ;   in Loop: Header=BB279_15 Depth=1
	s_or_b32 exec_lo, exec_lo, s20
	v_lshrrev_b16 v3, 8, v27
	v_mov_b32_e32 v12, 0
	v_mov_b32_e32 v9, 0
	s_mov_b32 s20, exec_lo
	v_cmpx_ne_u16_e32 0, v3
	s_cbranch_execz .LBB279_610
; %bb.603:                              ;   in Loop: Header=BB279_15 Depth=1
	v_bfrev_b32_e32 v9, 1
	s_mov_b32 s21, exec_lo
	v_cmpx_ne_u16_e32 0x80, v3
	s_cbranch_execz .LBB279_609
; %bb.604:                              ;   in Loop: Header=BB279_15 Depth=1
	v_mov_b32_e32 v7, 0x7f
	v_mov_b32_e32 v9, 0x7c010000
	s_mov_b32 s22, exec_lo
	v_and_b32_sdwa v11, v3, v7 dst_sel:DWORD dst_unused:UNUSED_PAD src0_sel:WORD_0 src1_sel:DWORD
	v_cmpx_ne_u32_e32 0x7f, v11
	s_cbranch_execz .LBB279_608
; %bb.605:                              ;   in Loop: Header=BB279_15 Depth=1
	v_mov_b32_e32 v7, 7
	v_lshrrev_b32_e32 v9, 3, v11
	s_mov_b32 s23, exec_lo
	v_and_b32_sdwa v7, v3, v7 dst_sel:DWORD dst_unused:UNUSED_PAD src0_sel:WORD_0 src1_sel:DWORD
	v_cmpx_gt_u32_e32 8, v11
; %bb.606:                              ;   in Loop: Header=BB279_15 Depth=1
	v_ffbh_u32_e32 v7, v7
	v_min_u32_e32 v7, 32, v7
	v_subrev_nc_u32_e32 v9, 28, v7
	v_lshlrev_b64 v[13:14], v9, v[3:4]
	v_sub_nc_u32_e32 v9, 29, v7
	v_and_b32_e32 v7, 7, v13
; %bb.607:                              ;   in Loop: Header=BB279_15 Depth=1
	s_or_b32 exec_lo, exec_lo, s23
	v_mov_b32_e32 v11, 8
	v_lshl_add_u32 v9, v9, 10, 0x2000
	v_lshlrev_b32_e32 v7, 23, v7
	v_lshlrev_b32_sdwa v3, v11, v3 dst_sel:DWORD dst_unused:UNUSED_PAD src0_sel:DWORD src1_sel:WORD_0
	v_and_or_b32 v3, 0x8000, v3, v9
	v_lshl_or_b32 v9, v3, 16, v7
.LBB279_608:                            ;   in Loop: Header=BB279_15 Depth=1
	s_or_b32 exec_lo, exec_lo, s22
.LBB279_609:                            ;   in Loop: Header=BB279_15 Depth=1
	s_or_b32 exec_lo, exec_lo, s21
.LBB279_610:                            ;   in Loop: Header=BB279_15 Depth=1
	s_or_b32 exec_lo, exec_lo, s20
	v_lshrrev_b32_e32 v3, 16, v27
	v_cmp_ne_u16_sdwa s5, v3, v4 src0_sel:BYTE_0 src1_sel:DWORD
	s_and_saveexec_b32 s20, s5
	s_cbranch_execz .LBB279_618
; %bb.611:                              ;   in Loop: Header=BB279_15 Depth=1
	v_cmp_ne_u16_sdwa s5, v3, v80 src0_sel:BYTE_0 src1_sel:DWORD
	v_mov_b32_e32 v12, 0x8000
	s_and_saveexec_b32 s21, s5
	s_cbranch_execz .LBB279_617
; %bb.612:                              ;   in Loop: Header=BB279_15 Depth=1
	v_bfe_u32 v13, v27, 16, 7
	v_mov_b32_e32 v12, 0x7c01
	s_mov_b32 s22, exec_lo
	v_cmpx_ne_u32_e32 0x7f, v13
	s_cbranch_execz .LBB279_616
; %bb.613:                              ;   in Loop: Header=BB279_15 Depth=1
	v_and_b32_e32 v7, 7, v3
	v_lshrrev_b32_e32 v11, 3, v13
	s_mov_b32 s23, exec_lo
	v_cmpx_gt_u32_e32 8, v13
; %bb.614:                              ;   in Loop: Header=BB279_15 Depth=1
	v_ffbh_u32_e32 v7, v7
	v_min_u32_e32 v7, 32, v7
	v_subrev_nc_u32_e32 v11, 28, v7
	v_lshlrev_b64 v[12:13], v11, v[3:4]
	v_sub_nc_u32_e32 v11, 29, v7
	v_and_b32_e32 v7, 7, v12
; %bb.615:                              ;   in Loop: Header=BB279_15 Depth=1
	s_or_b32 exec_lo, exec_lo, s23
	v_lshlrev_b32_e32 v3, 8, v3
	v_lshl_add_u32 v11, v11, 10, 0x2000
	v_lshlrev_b32_e32 v7, 7, v7
	v_and_b32_e32 v3, 0x8000, v3
	v_and_b32_e32 v11, 0xfc00, v11
	v_or3_b32 v12, v3, v11, v7
.LBB279_616:                            ;   in Loop: Header=BB279_15 Depth=1
	s_or_b32 exec_lo, exec_lo, s22
.LBB279_617:                            ;   in Loop: Header=BB279_15 Depth=1
	s_or_b32 exec_lo, exec_lo, s21
.LBB279_618:                            ;   in Loop: Header=BB279_15 Depth=1
	s_or_b32 exec_lo, exec_lo, s20
	v_mov_b32_e32 v13, 0
	v_mov_b32_e32 v14, 0
	s_mov_b32 s20, exec_lo
	v_cmpx_lt_u32_e32 0xffffff, v27
	s_cbranch_execz .LBB279_626
; %bb.619:                              ;   in Loop: Header=BB279_15 Depth=1
	v_lshrrev_b32_e32 v3, 24, v27
	v_bfrev_b32_e32 v14, 1
	s_mov_b32 s21, exec_lo
	v_cmpx_ne_u32_e32 0x80, v3
	s_cbranch_execz .LBB279_625
; %bb.620:                              ;   in Loop: Header=BB279_15 Depth=1
	v_and_b32_e32 v18, 0x7f, v3
	v_mov_b32_e32 v14, 0x7c010000
	s_mov_b32 s22, exec_lo
	v_cmpx_ne_u32_e32 0x7f, v18
	s_cbranch_execz .LBB279_624
; %bb.621:                              ;   in Loop: Header=BB279_15 Depth=1
	v_and_b32_e32 v7, 7, v3
	v_lshrrev_b32_e32 v11, 3, v18
	s_mov_b32 s23, exec_lo
	v_cmpx_gt_u32_e32 8, v18
; %bb.622:                              ;   in Loop: Header=BB279_15 Depth=1
	v_ffbh_u32_e32 v7, v7
	v_min_u32_e32 v7, 32, v7
	v_subrev_nc_u32_e32 v11, 28, v7
	v_lshlrev_b64 v[18:19], v11, v[3:4]
	v_sub_nc_u32_e32 v11, 29, v7
	v_and_b32_e32 v7, 7, v18
; %bb.623:                              ;   in Loop: Header=BB279_15 Depth=1
	s_or_b32 exec_lo, exec_lo, s23
	v_lshlrev_b32_e32 v3, 8, v3
	v_lshl_add_u32 v11, v11, 10, 0x2000
	v_lshlrev_b32_e32 v7, 23, v7
	v_and_or_b32 v3, 0x8000, v3, v11
	v_lshl_or_b32 v14, v3, 16, v7
.LBB279_624:                            ;   in Loop: Header=BB279_15 Depth=1
	s_or_b32 exec_lo, exec_lo, s22
.LBB279_625:                            ;   in Loop: Header=BB279_15 Depth=1
	s_or_b32 exec_lo, exec_lo, s21
.LBB279_626:                            ;   in Loop: Header=BB279_15 Depth=1
	s_or_b32 exec_lo, exec_lo, s20
	v_mov_b32_e32 v3, v28
	v_cmp_ne_u16_sdwa s5, v28, v4 src0_sel:BYTE_0 src1_sel:DWORD
	s_and_saveexec_b32 s20, s5
	s_cbranch_execz .LBB279_634
; %bb.627:                              ;   in Loop: Header=BB279_15 Depth=1
	v_cmp_ne_u16_sdwa s5, v28, v80 src0_sel:BYTE_0 src1_sel:DWORD
	v_mov_b32_e32 v13, 0x8000
	s_and_saveexec_b32 s21, s5
	s_cbranch_execz .LBB279_633
; %bb.628:                              ;   in Loop: Header=BB279_15 Depth=1
	v_and_b32_e32 v18, 0x7f, v28
	v_mov_b32_e32 v13, 0x7c01
	s_mov_b32 s22, exec_lo
	v_cmpx_ne_u32_e32 0x7f, v18
	s_cbranch_execz .LBB279_632
; %bb.629:                              ;   in Loop: Header=BB279_15 Depth=1
	v_and_b32_e32 v7, 7, v28
	v_lshrrev_b32_e32 v11, 3, v18
	s_mov_b32 s23, exec_lo
	v_cmpx_gt_u32_e32 8, v18
; %bb.630:                              ;   in Loop: Header=BB279_15 Depth=1
	v_ffbh_u32_e32 v7, v7
	v_min_u32_e32 v7, 32, v7
	v_subrev_nc_u32_e32 v11, 28, v7
	v_lshlrev_b64 v[18:19], v11, v[3:4]
	v_sub_nc_u32_e32 v11, 29, v7
	v_and_b32_e32 v7, 7, v18
; %bb.631:                              ;   in Loop: Header=BB279_15 Depth=1
	s_or_b32 exec_lo, exec_lo, s23
	v_lshlrev_b32_e32 v13, 8, v28
	v_lshl_add_u32 v11, v11, 10, 0x2000
	v_lshlrev_b32_e32 v7, 7, v7
	v_and_b32_e32 v13, 0x8000, v13
	v_and_b32_e32 v11, 0xfc00, v11
	v_or3_b32 v13, v13, v11, v7
.LBB279_632:                            ;   in Loop: Header=BB279_15 Depth=1
	s_or_b32 exec_lo, exec_lo, s22
.LBB279_633:                            ;   in Loop: Header=BB279_15 Depth=1
	s_or_b32 exec_lo, exec_lo, s21
.LBB279_634:                            ;   in Loop: Header=BB279_15 Depth=1
	s_or_b32 exec_lo, exec_lo, s20
	v_lshrrev_b16 v3, 8, v3
	v_mov_b32_e32 v35, 0
	v_mov_b32_e32 v29, 0
	s_mov_b32 s20, exec_lo
	v_cmpx_ne_u16_e32 0, v3
	s_cbranch_execz .LBB279_642
; %bb.635:                              ;   in Loop: Header=BB279_15 Depth=1
	v_bfrev_b32_e32 v29, 1
	s_mov_b32 s21, exec_lo
	v_cmpx_ne_u16_e32 0x80, v3
	s_cbranch_execz .LBB279_641
; %bb.636:                              ;   in Loop: Header=BB279_15 Depth=1
	v_mov_b32_e32 v7, 0x7f
	v_mov_b32_e32 v29, 0x7c010000
	s_mov_b32 s22, exec_lo
	v_and_b32_sdwa v18, v3, v7 dst_sel:DWORD dst_unused:UNUSED_PAD src0_sel:WORD_0 src1_sel:DWORD
	v_cmpx_ne_u32_e32 0x7f, v18
	s_cbranch_execz .LBB279_640
; %bb.637:                              ;   in Loop: Header=BB279_15 Depth=1
	v_mov_b32_e32 v7, 7
	v_lshrrev_b32_e32 v11, 3, v18
	s_mov_b32 s23, exec_lo
	v_and_b32_sdwa v7, v3, v7 dst_sel:DWORD dst_unused:UNUSED_PAD src0_sel:WORD_0 src1_sel:DWORD
	v_cmpx_gt_u32_e32 8, v18
; %bb.638:                              ;   in Loop: Header=BB279_15 Depth=1
	v_ffbh_u32_e32 v7, v7
	v_min_u32_e32 v7, 32, v7
	v_subrev_nc_u32_e32 v11, 28, v7
	v_lshlrev_b64 v[18:19], v11, v[3:4]
	v_sub_nc_u32_e32 v11, 29, v7
	v_and_b32_e32 v7, 7, v18
; %bb.639:                              ;   in Loop: Header=BB279_15 Depth=1
	s_or_b32 exec_lo, exec_lo, s23
	v_mov_b32_e32 v18, 8
	v_lshl_add_u32 v11, v11, 10, 0x2000
	v_lshlrev_b32_e32 v7, 23, v7
	v_lshlrev_b32_sdwa v3, v18, v3 dst_sel:DWORD dst_unused:UNUSED_PAD src0_sel:DWORD src1_sel:WORD_0
	v_and_or_b32 v3, 0x8000, v3, v11
	v_lshl_or_b32 v29, v3, 16, v7
.LBB279_640:                            ;   in Loop: Header=BB279_15 Depth=1
	s_or_b32 exec_lo, exec_lo, s22
.LBB279_641:                            ;   in Loop: Header=BB279_15 Depth=1
	s_or_b32 exec_lo, exec_lo, s21
.LBB279_642:                            ;   in Loop: Header=BB279_15 Depth=1
	s_or_b32 exec_lo, exec_lo, s20
	v_lshrrev_b32_e32 v3, 16, v28
	v_cmp_ne_u16_sdwa s5, v3, v4 src0_sel:BYTE_0 src1_sel:DWORD
	s_and_saveexec_b32 s20, s5
	s_cbranch_execz .LBB279_650
; %bb.643:                              ;   in Loop: Header=BB279_15 Depth=1
	v_cmp_ne_u16_sdwa s5, v3, v80 src0_sel:BYTE_0 src1_sel:DWORD
	v_mov_b32_e32 v35, 0x8000
	s_and_saveexec_b32 s21, s5
	s_cbranch_execz .LBB279_649
; %bb.644:                              ;   in Loop: Header=BB279_15 Depth=1
	v_bfe_u32 v18, v28, 16, 7
	v_mov_b32_e32 v35, 0x7c01
	s_mov_b32 s22, exec_lo
	v_cmpx_ne_u32_e32 0x7f, v18
	s_cbranch_execz .LBB279_648
; %bb.645:                              ;   in Loop: Header=BB279_15 Depth=1
	v_and_b32_e32 v7, 7, v3
	v_lshrrev_b32_e32 v11, 3, v18
	s_mov_b32 s23, exec_lo
	v_cmpx_gt_u32_e32 8, v18
; %bb.646:                              ;   in Loop: Header=BB279_15 Depth=1
	v_ffbh_u32_e32 v7, v7
	v_min_u32_e32 v7, 32, v7
	v_subrev_nc_u32_e32 v11, 28, v7
	v_lshlrev_b64 v[18:19], v11, v[3:4]
	v_sub_nc_u32_e32 v11, 29, v7
	v_and_b32_e32 v7, 7, v18
; %bb.647:                              ;   in Loop: Header=BB279_15 Depth=1
	s_or_b32 exec_lo, exec_lo, s23
	v_lshlrev_b32_e32 v3, 8, v3
	v_lshl_add_u32 v11, v11, 10, 0x2000
	v_lshlrev_b32_e32 v7, 7, v7
	v_and_b32_e32 v3, 0x8000, v3
	v_and_b32_e32 v11, 0xfc00, v11
	v_or3_b32 v35, v3, v11, v7
.LBB279_648:                            ;   in Loop: Header=BB279_15 Depth=1
	s_or_b32 exec_lo, exec_lo, s22
.LBB279_649:                            ;   in Loop: Header=BB279_15 Depth=1
	s_or_b32 exec_lo, exec_lo, s21
.LBB279_650:                            ;   in Loop: Header=BB279_15 Depth=1
	s_or_b32 exec_lo, exec_lo, s20
	v_mov_b32_e32 v11, 0
	v_mov_b32_e32 v37, 0
	s_mov_b32 s20, exec_lo
	v_cmpx_lt_u64_e64 s[12:13], v[27:28]
	s_cbranch_execz .LBB279_658
; %bb.651:                              ;   in Loop: Header=BB279_15 Depth=1
	v_lshrrev_b32_e32 v3, 24, v28
	v_bfrev_b32_e32 v37, 1
	s_mov_b32 s21, exec_lo
	v_cmpx_ne_u32_e32 0x80, v3
	s_cbranch_execz .LBB279_657
; %bb.652:                              ;   in Loop: Header=BB279_15 Depth=1
	v_and_b32_e32 v19, 0x7f, v3
	v_mov_b32_e32 v37, 0x7c010000
	s_mov_b32 s22, exec_lo
	v_cmpx_ne_u32_e32 0x7f, v19
	s_cbranch_execz .LBB279_656
; %bb.653:                              ;   in Loop: Header=BB279_15 Depth=1
	v_and_b32_e32 v7, 7, v3
	v_lshrrev_b32_e32 v18, 3, v19
	s_mov_b32 s23, exec_lo
	v_cmpx_gt_u32_e32 8, v19
; %bb.654:                              ;   in Loop: Header=BB279_15 Depth=1
	v_ffbh_u32_e32 v7, v7
	v_min_u32_e32 v7, 32, v7
	v_subrev_nc_u32_e32 v18, 28, v7
	v_lshlrev_b64 v[22:23], v18, v[3:4]
	v_sub_nc_u32_e32 v18, 29, v7
	v_and_b32_e32 v7, 7, v22
; %bb.655:                              ;   in Loop: Header=BB279_15 Depth=1
	s_or_b32 exec_lo, exec_lo, s23
	v_lshlrev_b32_e32 v3, 8, v3
	v_lshl_add_u32 v18, v18, 10, 0x2000
	v_lshlrev_b32_e32 v7, 23, v7
	v_and_or_b32 v3, 0x8000, v3, v18
	v_lshl_or_b32 v37, v3, 16, v7
.LBB279_656:                            ;   in Loop: Header=BB279_15 Depth=1
	s_or_b32 exec_lo, exec_lo, s22
.LBB279_657:                            ;   in Loop: Header=BB279_15 Depth=1
	s_or_b32 exec_lo, exec_lo, s21
.LBB279_658:                            ;   in Loop: Header=BB279_15 Depth=1
	s_or_b32 exec_lo, exec_lo, s20
	flat_load_dwordx2 v[27:28], v[24:25] offset:512
	s_waitcnt vmcnt(0) lgkmcnt(0)
	v_cmp_ne_u16_sdwa s5, v27, v4 src0_sel:BYTE_0 src1_sel:DWORD
	s_and_saveexec_b32 s20, s5
	s_cbranch_execz .LBB279_666
; %bb.659:                              ;   in Loop: Header=BB279_15 Depth=1
	v_cmp_ne_u16_sdwa s5, v27, v80 src0_sel:BYTE_0 src1_sel:DWORD
	v_mov_b32_e32 v11, 0x8000
	s_and_saveexec_b32 s21, s5
	s_cbranch_execz .LBB279_665
; %bb.660:                              ;   in Loop: Header=BB279_15 Depth=1
	v_and_b32_e32 v18, 0x7f, v27
	v_mov_b32_e32 v11, 0x7c01
	s_mov_b32 s22, exec_lo
	v_cmpx_ne_u32_e32 0x7f, v18
	s_cbranch_execz .LBB279_664
; %bb.661:                              ;   in Loop: Header=BB279_15 Depth=1
	v_and_b32_e32 v3, 7, v27
	v_lshrrev_b32_e32 v7, 3, v18
	s_mov_b32 s23, exec_lo
	v_cmpx_gt_u32_e32 8, v18
; %bb.662:                              ;   in Loop: Header=BB279_15 Depth=1
	v_ffbh_u32_e32 v3, v3
	v_min_u32_e32 v3, 32, v3
	v_subrev_nc_u32_e32 v7, 28, v3
	v_lshlrev_b64 v[18:19], v7, v[27:28]
	v_sub_nc_u32_e32 v7, 29, v3
	v_and_b32_e32 v3, 7, v18
; %bb.663:                              ;   in Loop: Header=BB279_15 Depth=1
	s_or_b32 exec_lo, exec_lo, s23
	v_lshlrev_b32_e32 v11, 8, v27
	v_lshl_add_u32 v7, v7, 10, 0x2000
	v_lshlrev_b32_e32 v3, 7, v3
	v_and_b32_e32 v11, 0x8000, v11
	v_and_b32_e32 v7, 0xfc00, v7
	v_or3_b32 v11, v11, v7, v3
.LBB279_664:                            ;   in Loop: Header=BB279_15 Depth=1
	s_or_b32 exec_lo, exec_lo, s22
.LBB279_665:                            ;   in Loop: Header=BB279_15 Depth=1
	s_or_b32 exec_lo, exec_lo, s21
.LBB279_666:                            ;   in Loop: Header=BB279_15 Depth=1
	s_or_b32 exec_lo, exec_lo, s20
	v_lshrrev_b16 v3, 8, v27
	v_mov_b32_e32 v7, 0
	v_mov_b32_e32 v18, 0
	s_mov_b32 s20, exec_lo
	v_cmpx_ne_u16_e32 0, v3
	s_cbranch_execz .LBB279_674
; %bb.667:                              ;   in Loop: Header=BB279_15 Depth=1
	v_bfrev_b32_e32 v18, 1
	s_mov_b32 s21, exec_lo
	v_cmpx_ne_u16_e32 0x80, v3
	s_cbranch_execz .LBB279_673
; %bb.668:                              ;   in Loop: Header=BB279_15 Depth=1
	v_mov_b32_e32 v18, 0x7f
	s_mov_b32 s22, exec_lo
	v_and_b32_sdwa v22, v3, v18 dst_sel:DWORD dst_unused:UNUSED_PAD src0_sel:WORD_0 src1_sel:DWORD
	v_mov_b32_e32 v18, 0x7c010000
	v_cmpx_ne_u32_e32 0x7f, v22
	s_cbranch_execz .LBB279_672
; %bb.669:                              ;   in Loop: Header=BB279_15 Depth=1
	v_mov_b32_e32 v18, 7
	v_lshrrev_b32_e32 v19, 3, v22
	s_mov_b32 s23, exec_lo
	v_and_b32_sdwa v18, v3, v18 dst_sel:DWORD dst_unused:UNUSED_PAD src0_sel:WORD_0 src1_sel:DWORD
	v_cmpx_gt_u32_e32 8, v22
; %bb.670:                              ;   in Loop: Header=BB279_15 Depth=1
	v_ffbh_u32_e32 v18, v18
	v_min_u32_e32 v22, 32, v18
	v_subrev_nc_u32_e32 v18, 28, v22
	v_lshlrev_b64 v[18:19], v18, v[3:4]
	v_sub_nc_u32_e32 v19, 29, v22
	v_and_b32_e32 v18, 7, v18
; %bb.671:                              ;   in Loop: Header=BB279_15 Depth=1
	s_or_b32 exec_lo, exec_lo, s23
	v_mov_b32_e32 v22, 8
	v_lshl_add_u32 v19, v19, 10, 0x2000
	v_lshlrev_b32_e32 v18, 23, v18
	v_lshlrev_b32_sdwa v3, v22, v3 dst_sel:DWORD dst_unused:UNUSED_PAD src0_sel:DWORD src1_sel:WORD_0
	v_and_or_b32 v3, 0x8000, v3, v19
	v_lshl_or_b32 v18, v3, 16, v18
.LBB279_672:                            ;   in Loop: Header=BB279_15 Depth=1
	s_or_b32 exec_lo, exec_lo, s22
.LBB279_673:                            ;   in Loop: Header=BB279_15 Depth=1
	s_or_b32 exec_lo, exec_lo, s21
.LBB279_674:                            ;   in Loop: Header=BB279_15 Depth=1
	s_or_b32 exec_lo, exec_lo, s20
	v_lshrrev_b32_e32 v3, 16, v27
	v_cmp_ne_u16_sdwa s5, v3, v4 src0_sel:BYTE_0 src1_sel:DWORD
	s_and_saveexec_b32 s20, s5
	s_cbranch_execz .LBB279_682
; %bb.675:                              ;   in Loop: Header=BB279_15 Depth=1
	v_cmp_ne_u16_sdwa s5, v3, v80 src0_sel:BYTE_0 src1_sel:DWORD
	v_mov_b32_e32 v7, 0x8000
	s_and_saveexec_b32 s21, s5
	s_cbranch_execz .LBB279_681
; %bb.676:                              ;   in Loop: Header=BB279_15 Depth=1
	v_bfe_u32 v22, v27, 16, 7
	v_mov_b32_e32 v7, 0x7c01
	s_mov_b32 s22, exec_lo
	v_cmpx_ne_u32_e32 0x7f, v22
	s_cbranch_execz .LBB279_680
; %bb.677:                              ;   in Loop: Header=BB279_15 Depth=1
	v_and_b32_e32 v7, 7, v3
	v_lshrrev_b32_e32 v19, 3, v22
	s_mov_b32 s23, exec_lo
	v_cmpx_gt_u32_e32 8, v22
; %bb.678:                              ;   in Loop: Header=BB279_15 Depth=1
	v_ffbh_u32_e32 v7, v7
	v_min_u32_e32 v7, 32, v7
	v_subrev_nc_u32_e32 v19, 28, v7
	v_lshlrev_b64 v[22:23], v19, v[3:4]
	v_sub_nc_u32_e32 v19, 29, v7
	v_and_b32_e32 v7, 7, v22
; %bb.679:                              ;   in Loop: Header=BB279_15 Depth=1
	s_or_b32 exec_lo, exec_lo, s23
	v_lshlrev_b32_e32 v3, 8, v3
	v_lshl_add_u32 v19, v19, 10, 0x2000
	v_lshlrev_b32_e32 v7, 7, v7
	v_and_b32_e32 v3, 0x8000, v3
	v_and_b32_e32 v19, 0xfc00, v19
	v_or3_b32 v7, v3, v19, v7
.LBB279_680:                            ;   in Loop: Header=BB279_15 Depth=1
	s_or_b32 exec_lo, exec_lo, s22
.LBB279_681:                            ;   in Loop: Header=BB279_15 Depth=1
	s_or_b32 exec_lo, exec_lo, s21
.LBB279_682:                            ;   in Loop: Header=BB279_15 Depth=1
	s_or_b32 exec_lo, exec_lo, s20
	v_mov_b32_e32 v26, 0
	v_mov_b32_e32 v31, 0
	s_mov_b32 s20, exec_lo
	v_cmpx_lt_u32_e32 0xffffff, v27
	s_cbranch_execz .LBB279_690
; %bb.683:                              ;   in Loop: Header=BB279_15 Depth=1
	v_lshrrev_b32_e32 v3, 24, v27
	v_bfrev_b32_e32 v31, 1
	s_mov_b32 s21, exec_lo
	v_cmpx_ne_u32_e32 0x80, v3
	s_cbranch_execz .LBB279_689
; %bb.684:                              ;   in Loop: Header=BB279_15 Depth=1
	v_and_b32_e32 v23, 0x7f, v3
	v_mov_b32_e32 v31, 0x7c010000
	s_mov_b32 s22, exec_lo
	v_cmpx_ne_u32_e32 0x7f, v23
	s_cbranch_execz .LBB279_688
; %bb.685:                              ;   in Loop: Header=BB279_15 Depth=1
	v_and_b32_e32 v19, 7, v3
	v_lshrrev_b32_e32 v22, 3, v23
	s_mov_b32 s23, exec_lo
	v_cmpx_gt_u32_e32 8, v23
; %bb.686:                              ;   in Loop: Header=BB279_15 Depth=1
	v_ffbh_u32_e32 v19, v19
	v_min_u32_e32 v19, 32, v19
	v_subrev_nc_u32_e32 v22, 28, v19
	v_lshlrev_b64 v[54:55], v22, v[3:4]
	v_sub_nc_u32_e32 v22, 29, v19
	v_and_b32_e32 v19, 7, v54
; %bb.687:                              ;   in Loop: Header=BB279_15 Depth=1
	s_or_b32 exec_lo, exec_lo, s23
	v_lshlrev_b32_e32 v3, 8, v3
	v_lshl_add_u32 v22, v22, 10, 0x2000
	v_lshlrev_b32_e32 v19, 23, v19
	v_and_or_b32 v3, 0x8000, v3, v22
	v_lshl_or_b32 v31, v3, 16, v19
.LBB279_688:                            ;   in Loop: Header=BB279_15 Depth=1
	s_or_b32 exec_lo, exec_lo, s22
.LBB279_689:                            ;   in Loop: Header=BB279_15 Depth=1
	s_or_b32 exec_lo, exec_lo, s21
.LBB279_690:                            ;   in Loop: Header=BB279_15 Depth=1
	s_or_b32 exec_lo, exec_lo, s20
	v_mov_b32_e32 v3, v28
	v_cmp_ne_u16_sdwa s5, v28, v4 src0_sel:BYTE_0 src1_sel:DWORD
	s_and_saveexec_b32 s20, s5
	s_cbranch_execz .LBB279_698
; %bb.691:                              ;   in Loop: Header=BB279_15 Depth=1
	v_cmp_ne_u16_sdwa s5, v28, v80 src0_sel:BYTE_0 src1_sel:DWORD
	v_mov_b32_e32 v26, 0x8000
	s_and_saveexec_b32 s21, s5
	s_cbranch_execz .LBB279_697
; %bb.692:                              ;   in Loop: Header=BB279_15 Depth=1
	v_and_b32_e32 v23, 0x7f, v28
	v_mov_b32_e32 v26, 0x7c01
	s_mov_b32 s22, exec_lo
	v_cmpx_ne_u32_e32 0x7f, v23
	s_cbranch_execz .LBB279_696
; %bb.693:                              ;   in Loop: Header=BB279_15 Depth=1
	v_and_b32_e32 v19, 7, v28
	v_lshrrev_b32_e32 v22, 3, v23
	s_mov_b32 s23, exec_lo
	v_cmpx_gt_u32_e32 8, v23
; %bb.694:                              ;   in Loop: Header=BB279_15 Depth=1
	v_ffbh_u32_e32 v19, v19
	v_min_u32_e32 v19, 32, v19
	v_subrev_nc_u32_e32 v22, 28, v19
	v_lshlrev_b64 v[54:55], v22, v[3:4]
	v_sub_nc_u32_e32 v22, 29, v19
	v_and_b32_e32 v19, 7, v54
; %bb.695:                              ;   in Loop: Header=BB279_15 Depth=1
	s_or_b32 exec_lo, exec_lo, s23
	v_lshlrev_b32_e32 v23, 8, v28
	v_lshl_add_u32 v22, v22, 10, 0x2000
	v_lshlrev_b32_e32 v19, 7, v19
	v_and_b32_e32 v23, 0x8000, v23
	v_and_b32_e32 v22, 0xfc00, v22
	v_or3_b32 v26, v23, v22, v19
.LBB279_696:                            ;   in Loop: Header=BB279_15 Depth=1
	s_or_b32 exec_lo, exec_lo, s22
.LBB279_697:                            ;   in Loop: Header=BB279_15 Depth=1
	s_or_b32 exec_lo, exec_lo, s21
.LBB279_698:                            ;   in Loop: Header=BB279_15 Depth=1
	s_or_b32 exec_lo, exec_lo, s20
	v_lshrrev_b16 v3, 8, v3
	v_mov_b32_e32 v52, 0
	v_mov_b32_e32 v39, 0
	s_mov_b32 s20, exec_lo
	v_cmpx_ne_u16_e32 0, v3
	s_cbranch_execz .LBB279_706
; %bb.699:                              ;   in Loop: Header=BB279_15 Depth=1
	v_bfrev_b32_e32 v39, 1
	s_mov_b32 s21, exec_lo
	v_cmpx_ne_u16_e32 0x80, v3
	s_cbranch_execz .LBB279_705
; %bb.700:                              ;   in Loop: Header=BB279_15 Depth=1
	v_mov_b32_e32 v19, 0x7f
	v_mov_b32_e32 v39, 0x7c010000
	s_mov_b32 s22, exec_lo
	v_and_b32_sdwa v23, v3, v19 dst_sel:DWORD dst_unused:UNUSED_PAD src0_sel:WORD_0 src1_sel:DWORD
	v_cmpx_ne_u32_e32 0x7f, v23
	s_cbranch_execz .LBB279_704
; %bb.701:                              ;   in Loop: Header=BB279_15 Depth=1
	v_mov_b32_e32 v19, 7
	v_lshrrev_b32_e32 v22, 3, v23
	s_mov_b32 s23, exec_lo
	v_and_b32_sdwa v19, v3, v19 dst_sel:DWORD dst_unused:UNUSED_PAD src0_sel:WORD_0 src1_sel:DWORD
	v_cmpx_gt_u32_e32 8, v23
; %bb.702:                              ;   in Loop: Header=BB279_15 Depth=1
	v_ffbh_u32_e32 v19, v19
	v_min_u32_e32 v19, 32, v19
	v_subrev_nc_u32_e32 v22, 28, v19
	v_lshlrev_b64 v[54:55], v22, v[3:4]
	v_sub_nc_u32_e32 v22, 29, v19
	v_and_b32_e32 v19, 7, v54
; %bb.703:                              ;   in Loop: Header=BB279_15 Depth=1
	s_or_b32 exec_lo, exec_lo, s23
	v_mov_b32_e32 v23, 8
	v_lshl_add_u32 v22, v22, 10, 0x2000
	v_lshlrev_b32_e32 v19, 23, v19
	v_lshlrev_b32_sdwa v3, v23, v3 dst_sel:DWORD dst_unused:UNUSED_PAD src0_sel:DWORD src1_sel:WORD_0
	v_and_or_b32 v3, 0x8000, v3, v22
	v_lshl_or_b32 v39, v3, 16, v19
.LBB279_704:                            ;   in Loop: Header=BB279_15 Depth=1
	s_or_b32 exec_lo, exec_lo, s22
.LBB279_705:                            ;   in Loop: Header=BB279_15 Depth=1
	s_or_b32 exec_lo, exec_lo, s21
.LBB279_706:                            ;   in Loop: Header=BB279_15 Depth=1
	s_or_b32 exec_lo, exec_lo, s20
	v_lshrrev_b32_e32 v3, 16, v28
	v_cmp_ne_u16_sdwa s5, v3, v4 src0_sel:BYTE_0 src1_sel:DWORD
	s_and_saveexec_b32 s20, s5
	s_cbranch_execz .LBB279_714
; %bb.707:                              ;   in Loop: Header=BB279_15 Depth=1
	v_cmp_ne_u16_sdwa s5, v3, v80 src0_sel:BYTE_0 src1_sel:DWORD
	v_mov_b32_e32 v52, 0x8000
	s_and_saveexec_b32 s21, s5
	s_cbranch_execz .LBB279_713
; %bb.708:                              ;   in Loop: Header=BB279_15 Depth=1
	v_bfe_u32 v23, v28, 16, 7
	v_mov_b32_e32 v52, 0x7c01
	s_mov_b32 s22, exec_lo
	v_cmpx_ne_u32_e32 0x7f, v23
	s_cbranch_execz .LBB279_712
; %bb.709:                              ;   in Loop: Header=BB279_15 Depth=1
	v_and_b32_e32 v19, 7, v3
	v_lshrrev_b32_e32 v22, 3, v23
	s_mov_b32 s23, exec_lo
	v_cmpx_gt_u32_e32 8, v23
; %bb.710:                              ;   in Loop: Header=BB279_15 Depth=1
	v_ffbh_u32_e32 v19, v19
	v_min_u32_e32 v19, 32, v19
	v_subrev_nc_u32_e32 v22, 28, v19
	v_lshlrev_b64 v[54:55], v22, v[3:4]
	v_sub_nc_u32_e32 v22, 29, v19
	v_and_b32_e32 v19, 7, v54
; %bb.711:                              ;   in Loop: Header=BB279_15 Depth=1
	s_or_b32 exec_lo, exec_lo, s23
	v_lshlrev_b32_e32 v3, 8, v3
	v_lshl_add_u32 v22, v22, 10, 0x2000
	v_lshlrev_b32_e32 v19, 7, v19
	v_and_b32_e32 v3, 0x8000, v3
	v_and_b32_e32 v22, 0xfc00, v22
	v_or3_b32 v52, v3, v22, v19
.LBB279_712:                            ;   in Loop: Header=BB279_15 Depth=1
	s_or_b32 exec_lo, exec_lo, s22
.LBB279_713:                            ;   in Loop: Header=BB279_15 Depth=1
	s_or_b32 exec_lo, exec_lo, s21
.LBB279_714:                            ;   in Loop: Header=BB279_15 Depth=1
	s_or_b32 exec_lo, exec_lo, s20
	v_mov_b32_e32 v48, 0
	v_mov_b32_e32 v55, 0
	s_mov_b32 s20, exec_lo
	v_cmpx_lt_u64_e64 s[12:13], v[27:28]
	s_cbranch_execz .LBB279_722
; %bb.715:                              ;   in Loop: Header=BB279_15 Depth=1
	v_lshrrev_b32_e32 v3, 24, v28
	v_bfrev_b32_e32 v55, 1
	s_mov_b32 s21, exec_lo
	v_cmpx_ne_u32_e32 0x80, v3
	s_cbranch_execz .LBB279_721
; %bb.716:                              ;   in Loop: Header=BB279_15 Depth=1
	v_and_b32_e32 v23, 0x7f, v3
	v_mov_b32_e32 v55, 0x7c010000
	s_mov_b32 s22, exec_lo
	v_cmpx_ne_u32_e32 0x7f, v23
	s_cbranch_execz .LBB279_720
; %bb.717:                              ;   in Loop: Header=BB279_15 Depth=1
	v_and_b32_e32 v19, 7, v3
	v_lshrrev_b32_e32 v22, 3, v23
	s_mov_b32 s23, exec_lo
	v_cmpx_gt_u32_e32 8, v23
; %bb.718:                              ;   in Loop: Header=BB279_15 Depth=1
	v_ffbh_u32_e32 v19, v19
	v_min_u32_e32 v19, 32, v19
	v_subrev_nc_u32_e32 v22, 28, v19
	v_lshlrev_b64 v[27:28], v22, v[3:4]
	v_sub_nc_u32_e32 v22, 29, v19
	v_and_b32_e32 v19, 7, v27
; %bb.719:                              ;   in Loop: Header=BB279_15 Depth=1
	s_or_b32 exec_lo, exec_lo, s23
	v_lshlrev_b32_e32 v3, 8, v3
	v_lshl_add_u32 v22, v22, 10, 0x2000
	v_lshlrev_b32_e32 v19, 23, v19
	v_and_or_b32 v3, 0x8000, v3, v22
	v_lshl_or_b32 v55, v3, 16, v19
.LBB279_720:                            ;   in Loop: Header=BB279_15 Depth=1
	s_or_b32 exec_lo, exec_lo, s22
.LBB279_721:                            ;   in Loop: Header=BB279_15 Depth=1
	s_or_b32 exec_lo, exec_lo, s21
.LBB279_722:                            ;   in Loop: Header=BB279_15 Depth=1
	s_or_b32 exec_lo, exec_lo, s20
	flat_load_dwordx2 v[27:28], v[24:25] offset:520
	s_waitcnt vmcnt(0) lgkmcnt(0)
	v_cmp_ne_u16_sdwa s5, v27, v4 src0_sel:BYTE_0 src1_sel:DWORD
	s_and_saveexec_b32 s20, s5
	s_cbranch_execz .LBB279_730
; %bb.723:                              ;   in Loop: Header=BB279_15 Depth=1
	v_cmp_ne_u16_sdwa s5, v27, v80 src0_sel:BYTE_0 src1_sel:DWORD
	v_mov_b32_e32 v48, 0x8000
	s_and_saveexec_b32 s21, s5
	s_cbranch_execz .LBB279_729
; %bb.724:                              ;   in Loop: Header=BB279_15 Depth=1
	v_and_b32_e32 v22, 0x7f, v27
	v_mov_b32_e32 v48, 0x7c01
	s_mov_b32 s22, exec_lo
	v_cmpx_ne_u32_e32 0x7f, v22
	s_cbranch_execz .LBB279_728
; %bb.725:                              ;   in Loop: Header=BB279_15 Depth=1
	v_and_b32_e32 v3, 7, v27
	v_lshrrev_b32_e32 v19, 3, v22
	s_mov_b32 s23, exec_lo
	v_cmpx_gt_u32_e32 8, v22
; %bb.726:                              ;   in Loop: Header=BB279_15 Depth=1
	v_ffbh_u32_e32 v3, v3
	v_min_u32_e32 v3, 32, v3
	v_subrev_nc_u32_e32 v19, 28, v3
	v_lshlrev_b64 v[22:23], v19, v[27:28]
	v_sub_nc_u32_e32 v19, 29, v3
	v_and_b32_e32 v3, 7, v22
; %bb.727:                              ;   in Loop: Header=BB279_15 Depth=1
	s_or_b32 exec_lo, exec_lo, s23
	v_lshlrev_b32_e32 v22, 8, v27
	v_lshl_add_u32 v19, v19, 10, 0x2000
	v_lshlrev_b32_e32 v3, 7, v3
	v_and_b32_e32 v22, 0x8000, v22
	v_and_b32_e32 v19, 0xfc00, v19
	v_or3_b32 v48, v22, v19, v3
.LBB279_728:                            ;   in Loop: Header=BB279_15 Depth=1
	s_or_b32 exec_lo, exec_lo, s22
.LBB279_729:                            ;   in Loop: Header=BB279_15 Depth=1
	s_or_b32 exec_lo, exec_lo, s21
.LBB279_730:                            ;   in Loop: Header=BB279_15 Depth=1
	s_or_b32 exec_lo, exec_lo, s20
	v_lshrrev_b16 v3, 8, v27
	v_mov_b32_e32 v66, 0
	v_mov_b32_e32 v50, 0
	s_mov_b32 s20, exec_lo
	v_cmpx_ne_u16_e32 0, v3
	s_cbranch_execz .LBB279_738
; %bb.731:                              ;   in Loop: Header=BB279_15 Depth=1
	v_bfrev_b32_e32 v50, 1
	s_mov_b32 s21, exec_lo
	v_cmpx_ne_u16_e32 0x80, v3
	s_cbranch_execz .LBB279_737
; %bb.732:                              ;   in Loop: Header=BB279_15 Depth=1
	v_mov_b32_e32 v19, 0x7f
	v_mov_b32_e32 v50, 0x7c010000
	s_mov_b32 s22, exec_lo
	v_and_b32_sdwa v23, v3, v19 dst_sel:DWORD dst_unused:UNUSED_PAD src0_sel:WORD_0 src1_sel:DWORD
	v_cmpx_ne_u32_e32 0x7f, v23
	s_cbranch_execz .LBB279_736
; %bb.733:                              ;   in Loop: Header=BB279_15 Depth=1
	v_mov_b32_e32 v19, 7
	v_lshrrev_b32_e32 v22, 3, v23
	s_mov_b32 s23, exec_lo
	v_and_b32_sdwa v19, v3, v19 dst_sel:DWORD dst_unused:UNUSED_PAD src0_sel:WORD_0 src1_sel:DWORD
	v_cmpx_gt_u32_e32 8, v23
; %bb.734:                              ;   in Loop: Header=BB279_15 Depth=1
	v_ffbh_u32_e32 v19, v19
	v_min_u32_e32 v19, 32, v19
	v_subrev_nc_u32_e32 v22, 28, v19
	v_lshlrev_b64 v[70:71], v22, v[3:4]
	v_sub_nc_u32_e32 v22, 29, v19
	v_and_b32_e32 v19, 7, v70
; %bb.735:                              ;   in Loop: Header=BB279_15 Depth=1
	s_or_b32 exec_lo, exec_lo, s23
	v_mov_b32_e32 v23, 8
	v_lshl_add_u32 v22, v22, 10, 0x2000
	v_lshlrev_b32_e32 v19, 23, v19
	v_lshlrev_b32_sdwa v3, v23, v3 dst_sel:DWORD dst_unused:UNUSED_PAD src0_sel:DWORD src1_sel:WORD_0
	v_and_or_b32 v3, 0x8000, v3, v22
	v_lshl_or_b32 v50, v3, 16, v19
.LBB279_736:                            ;   in Loop: Header=BB279_15 Depth=1
	s_or_b32 exec_lo, exec_lo, s22
.LBB279_737:                            ;   in Loop: Header=BB279_15 Depth=1
	s_or_b32 exec_lo, exec_lo, s21
.LBB279_738:                            ;   in Loop: Header=BB279_15 Depth=1
	s_or_b32 exec_lo, exec_lo, s20
	v_lshrrev_b32_e32 v3, 16, v27
	v_cmp_ne_u16_sdwa s5, v3, v4 src0_sel:BYTE_0 src1_sel:DWORD
	s_and_saveexec_b32 s20, s5
	s_cbranch_execz .LBB279_746
; %bb.739:                              ;   in Loop: Header=BB279_15 Depth=1
	v_cmp_ne_u16_sdwa s5, v3, v80 src0_sel:BYTE_0 src1_sel:DWORD
	v_mov_b32_e32 v66, 0x8000
	s_and_saveexec_b32 s21, s5
	s_cbranch_execz .LBB279_745
; %bb.740:                              ;   in Loop: Header=BB279_15 Depth=1
	v_bfe_u32 v23, v27, 16, 7
	v_mov_b32_e32 v66, 0x7c01
	s_mov_b32 s22, exec_lo
	v_cmpx_ne_u32_e32 0x7f, v23
	s_cbranch_execz .LBB279_744
; %bb.741:                              ;   in Loop: Header=BB279_15 Depth=1
	v_and_b32_e32 v19, 7, v3
	v_lshrrev_b32_e32 v22, 3, v23
	s_mov_b32 s23, exec_lo
	v_cmpx_gt_u32_e32 8, v23
; %bb.742:                              ;   in Loop: Header=BB279_15 Depth=1
	v_ffbh_u32_e32 v19, v19
	v_min_u32_e32 v19, 32, v19
	v_subrev_nc_u32_e32 v22, 28, v19
	v_lshlrev_b64 v[66:67], v22, v[3:4]
	v_sub_nc_u32_e32 v22, 29, v19
	v_and_b32_e32 v19, 7, v66
; %bb.743:                              ;   in Loop: Header=BB279_15 Depth=1
	s_or_b32 exec_lo, exec_lo, s23
	v_lshlrev_b32_e32 v3, 8, v3
	v_lshl_add_u32 v22, v22, 10, 0x2000
	v_lshlrev_b32_e32 v19, 7, v19
	v_and_b32_e32 v3, 0x8000, v3
	v_and_b32_e32 v22, 0xfc00, v22
	v_or3_b32 v66, v3, v22, v19
.LBB279_744:                            ;   in Loop: Header=BB279_15 Depth=1
	s_or_b32 exec_lo, exec_lo, s22
.LBB279_745:                            ;   in Loop: Header=BB279_15 Depth=1
	s_or_b32 exec_lo, exec_lo, s21
.LBB279_746:                            ;   in Loop: Header=BB279_15 Depth=1
	s_or_b32 exec_lo, exec_lo, s20
	v_mov_b32_e32 v67, 0
	v_mov_b32_e32 v96, 0
	s_mov_b32 s20, exec_lo
	v_cmpx_lt_u32_e32 0xffffff, v27
	s_cbranch_execz .LBB279_754
; %bb.747:                              ;   in Loop: Header=BB279_15 Depth=1
	v_lshrrev_b32_e32 v3, 24, v27
	v_bfrev_b32_e32 v96, 1
	s_mov_b32 s21, exec_lo
	v_cmpx_ne_u32_e32 0x80, v3
	s_cbranch_execz .LBB279_753
; %bb.748:                              ;   in Loop: Header=BB279_15 Depth=1
	v_and_b32_e32 v23, 0x7f, v3
	v_mov_b32_e32 v96, 0x7c010000
	s_mov_b32 s22, exec_lo
	v_cmpx_ne_u32_e32 0x7f, v23
	s_cbranch_execz .LBB279_752
; %bb.749:                              ;   in Loop: Header=BB279_15 Depth=1
	v_and_b32_e32 v19, 7, v3
	v_lshrrev_b32_e32 v22, 3, v23
	s_mov_b32 s23, exec_lo
	v_cmpx_gt_u32_e32 8, v23
; %bb.750:                              ;   in Loop: Header=BB279_15 Depth=1
	v_ffbh_u32_e32 v19, v19
	v_min_u32_e32 v19, 32, v19
	v_subrev_nc_u32_e32 v22, 28, v19
	v_lshlrev_b64 v[70:71], v22, v[3:4]
	v_sub_nc_u32_e32 v22, 29, v19
	v_and_b32_e32 v19, 7, v70
; %bb.751:                              ;   in Loop: Header=BB279_15 Depth=1
	s_or_b32 exec_lo, exec_lo, s23
	v_lshlrev_b32_e32 v3, 8, v3
	v_lshl_add_u32 v22, v22, 10, 0x2000
	v_lshlrev_b32_e32 v19, 23, v19
	v_and_or_b32 v3, 0x8000, v3, v22
	v_lshl_or_b32 v96, v3, 16, v19
.LBB279_752:                            ;   in Loop: Header=BB279_15 Depth=1
	s_or_b32 exec_lo, exec_lo, s22
.LBB279_753:                            ;   in Loop: Header=BB279_15 Depth=1
	s_or_b32 exec_lo, exec_lo, s21
.LBB279_754:                            ;   in Loop: Header=BB279_15 Depth=1
	s_or_b32 exec_lo, exec_lo, s20
	v_mov_b32_e32 v3, v28
	v_cmp_ne_u16_sdwa s5, v28, v4 src0_sel:BYTE_0 src1_sel:DWORD
	s_and_saveexec_b32 s20, s5
	s_cbranch_execz .LBB279_762
; %bb.755:                              ;   in Loop: Header=BB279_15 Depth=1
	v_cmp_ne_u16_sdwa s5, v28, v80 src0_sel:BYTE_0 src1_sel:DWORD
	v_mov_b32_e32 v67, 0x8000
	s_and_saveexec_b32 s21, s5
	s_cbranch_execz .LBB279_761
; %bb.756:                              ;   in Loop: Header=BB279_15 Depth=1
	v_and_b32_e32 v23, 0x7f, v28
	v_mov_b32_e32 v67, 0x7c01
	s_mov_b32 s22, exec_lo
	v_cmpx_ne_u32_e32 0x7f, v23
	s_cbranch_execz .LBB279_760
; %bb.757:                              ;   in Loop: Header=BB279_15 Depth=1
	v_and_b32_e32 v19, 7, v28
	v_lshrrev_b32_e32 v22, 3, v23
	s_mov_b32 s23, exec_lo
	v_cmpx_gt_u32_e32 8, v23
; %bb.758:                              ;   in Loop: Header=BB279_15 Depth=1
	v_ffbh_u32_e32 v19, v19
	v_min_u32_e32 v19, 32, v19
	v_subrev_nc_u32_e32 v22, 28, v19
	v_lshlrev_b64 v[70:71], v22, v[3:4]
	v_sub_nc_u32_e32 v22, 29, v19
	v_and_b32_e32 v19, 7, v70
; %bb.759:                              ;   in Loop: Header=BB279_15 Depth=1
	s_or_b32 exec_lo, exec_lo, s23
	v_lshlrev_b32_e32 v23, 8, v28
	v_lshl_add_u32 v22, v22, 10, 0x2000
	v_lshlrev_b32_e32 v19, 7, v19
	v_and_b32_e32 v23, 0x8000, v23
	v_and_b32_e32 v22, 0xfc00, v22
	v_or3_b32 v67, v23, v22, v19
.LBB279_760:                            ;   in Loop: Header=BB279_15 Depth=1
	s_or_b32 exec_lo, exec_lo, s22
.LBB279_761:                            ;   in Loop: Header=BB279_15 Depth=1
	s_or_b32 exec_lo, exec_lo, s21
.LBB279_762:                            ;   in Loop: Header=BB279_15 Depth=1
	s_or_b32 exec_lo, exec_lo, s20
	v_lshrrev_b16 v3, 8, v3
	v_mov_b32_e32 v105, 0
	v_mov_b32_e32 v106, 0
	s_mov_b32 s20, exec_lo
	v_cmpx_ne_u16_e32 0, v3
	s_cbranch_execz .LBB279_770
; %bb.763:                              ;   in Loop: Header=BB279_15 Depth=1
	v_bfrev_b32_e32 v106, 1
	s_mov_b32 s21, exec_lo
	v_cmpx_ne_u16_e32 0x80, v3
	s_cbranch_execz .LBB279_769
; %bb.764:                              ;   in Loop: Header=BB279_15 Depth=1
	v_mov_b32_e32 v19, 0x7f
	v_mov_b32_e32 v106, 0x7c010000
	s_mov_b32 s22, exec_lo
	v_and_b32_sdwa v23, v3, v19 dst_sel:DWORD dst_unused:UNUSED_PAD src0_sel:WORD_0 src1_sel:DWORD
	v_cmpx_ne_u32_e32 0x7f, v23
	s_cbranch_execz .LBB279_768
; %bb.765:                              ;   in Loop: Header=BB279_15 Depth=1
	v_mov_b32_e32 v19, 7
	v_lshrrev_b32_e32 v22, 3, v23
	s_mov_b32 s23, exec_lo
	v_and_b32_sdwa v19, v3, v19 dst_sel:DWORD dst_unused:UNUSED_PAD src0_sel:WORD_0 src1_sel:DWORD
	v_cmpx_gt_u32_e32 8, v23
; %bb.766:                              ;   in Loop: Header=BB279_15 Depth=1
	v_ffbh_u32_e32 v19, v19
	v_min_u32_e32 v19, 32, v19
	v_subrev_nc_u32_e32 v22, 28, v19
	v_lshlrev_b64 v[70:71], v22, v[3:4]
	v_sub_nc_u32_e32 v22, 29, v19
	v_and_b32_e32 v19, 7, v70
; %bb.767:                              ;   in Loop: Header=BB279_15 Depth=1
	s_or_b32 exec_lo, exec_lo, s23
	v_mov_b32_e32 v23, 8
	v_lshl_add_u32 v22, v22, 10, 0x2000
	v_lshlrev_b32_e32 v19, 23, v19
	v_lshlrev_b32_sdwa v3, v23, v3 dst_sel:DWORD dst_unused:UNUSED_PAD src0_sel:DWORD src1_sel:WORD_0
	v_and_or_b32 v3, 0x8000, v3, v22
	v_lshl_or_b32 v106, v3, 16, v19
.LBB279_768:                            ;   in Loop: Header=BB279_15 Depth=1
	s_or_b32 exec_lo, exec_lo, s22
.LBB279_769:                            ;   in Loop: Header=BB279_15 Depth=1
	s_or_b32 exec_lo, exec_lo, s21
.LBB279_770:                            ;   in Loop: Header=BB279_15 Depth=1
	s_or_b32 exec_lo, exec_lo, s20
	v_lshrrev_b32_e32 v3, 16, v28
	v_cmp_ne_u16_sdwa s5, v3, v4 src0_sel:BYTE_0 src1_sel:DWORD
	s_and_saveexec_b32 s20, s5
	s_cbranch_execz .LBB279_778
; %bb.771:                              ;   in Loop: Header=BB279_15 Depth=1
	v_cmp_ne_u16_sdwa s5, v3, v80 src0_sel:BYTE_0 src1_sel:DWORD
	v_mov_b32_e32 v105, 0x8000
	s_and_saveexec_b32 s21, s5
	s_cbranch_execz .LBB279_777
; %bb.772:                              ;   in Loop: Header=BB279_15 Depth=1
	v_bfe_u32 v23, v28, 16, 7
	v_mov_b32_e32 v105, 0x7c01
	s_mov_b32 s22, exec_lo
	v_cmpx_ne_u32_e32 0x7f, v23
	s_cbranch_execz .LBB279_776
; %bb.773:                              ;   in Loop: Header=BB279_15 Depth=1
	v_and_b32_e32 v19, 7, v3
	v_lshrrev_b32_e32 v22, 3, v23
	s_mov_b32 s23, exec_lo
	v_cmpx_gt_u32_e32 8, v23
; %bb.774:                              ;   in Loop: Header=BB279_15 Depth=1
	v_ffbh_u32_e32 v19, v19
	v_min_u32_e32 v19, 32, v19
	v_subrev_nc_u32_e32 v22, 28, v19
	v_lshlrev_b64 v[70:71], v22, v[3:4]
	v_sub_nc_u32_e32 v22, 29, v19
	v_and_b32_e32 v19, 7, v70
; %bb.775:                              ;   in Loop: Header=BB279_15 Depth=1
	s_or_b32 exec_lo, exec_lo, s23
	v_lshlrev_b32_e32 v3, 8, v3
	v_lshl_add_u32 v22, v22, 10, 0x2000
	v_lshlrev_b32_e32 v19, 7, v19
	v_and_b32_e32 v3, 0x8000, v3
	v_and_b32_e32 v22, 0xfc00, v22
	v_or3_b32 v105, v3, v22, v19
.LBB279_776:                            ;   in Loop: Header=BB279_15 Depth=1
	s_or_b32 exec_lo, exec_lo, s22
.LBB279_777:                            ;   in Loop: Header=BB279_15 Depth=1
	s_or_b32 exec_lo, exec_lo, s21
.LBB279_778:                            ;   in Loop: Header=BB279_15 Depth=1
	s_or_b32 exec_lo, exec_lo, s20
	v_mov_b32_e32 v75, 0
	v_mov_b32_e32 v125, 0
	s_mov_b32 s20, exec_lo
	v_cmpx_lt_u64_e64 s[12:13], v[27:28]
	s_cbranch_execz .LBB279_786
; %bb.779:                              ;   in Loop: Header=BB279_15 Depth=1
	v_lshrrev_b32_e32 v3, 24, v28
	v_bfrev_b32_e32 v125, 1
	s_mov_b32 s21, exec_lo
	v_cmpx_ne_u32_e32 0x80, v3
	s_cbranch_execz .LBB279_785
; %bb.780:                              ;   in Loop: Header=BB279_15 Depth=1
	v_and_b32_e32 v23, 0x7f, v3
	v_mov_b32_e32 v125, 0x7c010000
	s_mov_b32 s22, exec_lo
	v_cmpx_ne_u32_e32 0x7f, v23
	s_cbranch_execz .LBB279_784
; %bb.781:                              ;   in Loop: Header=BB279_15 Depth=1
	v_and_b32_e32 v19, 7, v3
	v_lshrrev_b32_e32 v22, 3, v23
	s_mov_b32 s23, exec_lo
	v_cmpx_gt_u32_e32 8, v23
; %bb.782:                              ;   in Loop: Header=BB279_15 Depth=1
	v_ffbh_u32_e32 v19, v19
	v_min_u32_e32 v19, 32, v19
	v_subrev_nc_u32_e32 v22, 28, v19
	v_lshlrev_b64 v[27:28], v22, v[3:4]
	v_sub_nc_u32_e32 v22, 29, v19
	v_and_b32_e32 v19, 7, v27
; %bb.783:                              ;   in Loop: Header=BB279_15 Depth=1
	s_or_b32 exec_lo, exec_lo, s23
	v_lshlrev_b32_e32 v3, 8, v3
	v_lshl_add_u32 v22, v22, 10, 0x2000
	v_lshlrev_b32_e32 v19, 23, v19
	v_and_or_b32 v3, 0x8000, v3, v22
	v_lshl_or_b32 v125, v3, 16, v19
.LBB279_784:                            ;   in Loop: Header=BB279_15 Depth=1
	s_or_b32 exec_lo, exec_lo, s22
.LBB279_785:                            ;   in Loop: Header=BB279_15 Depth=1
	s_or_b32 exec_lo, exec_lo, s21
.LBB279_786:                            ;   in Loop: Header=BB279_15 Depth=1
	s_or_b32 exec_lo, exec_lo, s20
	flat_load_dwordx2 v[27:28], v[24:25] offset:1024
	s_waitcnt vmcnt(0) lgkmcnt(0)
	v_cmp_ne_u16_sdwa s5, v27, v4 src0_sel:BYTE_0 src1_sel:DWORD
	s_and_saveexec_b32 s20, s5
	s_cbranch_execz .LBB279_794
; %bb.787:                              ;   in Loop: Header=BB279_15 Depth=1
	v_cmp_ne_u16_sdwa s5, v27, v80 src0_sel:BYTE_0 src1_sel:DWORD
	v_mov_b32_e32 v75, 0x8000
	s_and_saveexec_b32 s21, s5
	s_cbranch_execz .LBB279_793
; %bb.788:                              ;   in Loop: Header=BB279_15 Depth=1
	v_and_b32_e32 v22, 0x7f, v27
	v_mov_b32_e32 v75, 0x7c01
	s_mov_b32 s22, exec_lo
	v_cmpx_ne_u32_e32 0x7f, v22
	s_cbranch_execz .LBB279_792
; %bb.789:                              ;   in Loop: Header=BB279_15 Depth=1
	v_and_b32_e32 v3, 7, v27
	v_lshrrev_b32_e32 v19, 3, v22
	s_mov_b32 s23, exec_lo
	v_cmpx_gt_u32_e32 8, v22
; %bb.790:                              ;   in Loop: Header=BB279_15 Depth=1
	v_ffbh_u32_e32 v3, v3
	v_min_u32_e32 v3, 32, v3
	v_subrev_nc_u32_e32 v19, 28, v3
	v_lshlrev_b64 v[22:23], v19, v[27:28]
	v_sub_nc_u32_e32 v19, 29, v3
	v_and_b32_e32 v3, 7, v22
; %bb.791:                              ;   in Loop: Header=BB279_15 Depth=1
	s_or_b32 exec_lo, exec_lo, s23
	v_lshlrev_b32_e32 v22, 8, v27
	v_lshl_add_u32 v19, v19, 10, 0x2000
	v_lshlrev_b32_e32 v3, 7, v3
	v_and_b32_e32 v22, 0x8000, v22
	v_and_b32_e32 v19, 0xfc00, v19
	v_or3_b32 v75, v22, v19, v3
.LBB279_792:                            ;   in Loop: Header=BB279_15 Depth=1
	s_or_b32 exec_lo, exec_lo, s22
.LBB279_793:                            ;   in Loop: Header=BB279_15 Depth=1
	s_or_b32 exec_lo, exec_lo, s21
.LBB279_794:                            ;   in Loop: Header=BB279_15 Depth=1
	s_or_b32 exec_lo, exec_lo, s20
	v_lshrrev_b16 v3, 8, v27
	v_mov_b32_e32 v79, 0
	v_mov_b32_e32 v76, 0
	s_mov_b32 s20, exec_lo
	v_cmpx_ne_u16_e32 0, v3
	s_cbranch_execz .LBB279_802
; %bb.795:                              ;   in Loop: Header=BB279_15 Depth=1
	v_bfrev_b32_e32 v76, 1
	s_mov_b32 s21, exec_lo
	v_cmpx_ne_u16_e32 0x80, v3
	s_cbranch_execz .LBB279_801
; %bb.796:                              ;   in Loop: Header=BB279_15 Depth=1
	v_mov_b32_e32 v19, 0x7f
	v_mov_b32_e32 v76, 0x7c010000
	s_mov_b32 s22, exec_lo
	v_and_b32_sdwa v23, v3, v19 dst_sel:DWORD dst_unused:UNUSED_PAD src0_sel:WORD_0 src1_sel:DWORD
	v_cmpx_ne_u32_e32 0x7f, v23
	s_cbranch_execz .LBB279_800
; %bb.797:                              ;   in Loop: Header=BB279_15 Depth=1
	v_mov_b32_e32 v19, 7
	v_lshrrev_b32_e32 v22, 3, v23
	s_mov_b32 s23, exec_lo
	v_and_b32_sdwa v19, v3, v19 dst_sel:DWORD dst_unused:UNUSED_PAD src0_sel:WORD_0 src1_sel:DWORD
	v_cmpx_gt_u32_e32 8, v23
; %bb.798:                              ;   in Loop: Header=BB279_15 Depth=1
	v_ffbh_u32_e32 v19, v19
	v_min_u32_e32 v19, 32, v19
	v_subrev_nc_u32_e32 v22, 28, v19
	v_lshlrev_b64 v[70:71], v22, v[3:4]
	v_sub_nc_u32_e32 v22, 29, v19
	v_and_b32_e32 v19, 7, v70
; %bb.799:                              ;   in Loop: Header=BB279_15 Depth=1
	s_or_b32 exec_lo, exec_lo, s23
	v_mov_b32_e32 v23, 8
	v_lshl_add_u32 v22, v22, 10, 0x2000
	v_lshlrev_b32_e32 v19, 23, v19
	v_lshlrev_b32_sdwa v3, v23, v3 dst_sel:DWORD dst_unused:UNUSED_PAD src0_sel:DWORD src1_sel:WORD_0
	v_and_or_b32 v3, 0x8000, v3, v22
	v_lshl_or_b32 v76, v3, 16, v19
.LBB279_800:                            ;   in Loop: Header=BB279_15 Depth=1
	s_or_b32 exec_lo, exec_lo, s22
.LBB279_801:                            ;   in Loop: Header=BB279_15 Depth=1
	s_or_b32 exec_lo, exec_lo, s21
.LBB279_802:                            ;   in Loop: Header=BB279_15 Depth=1
	s_or_b32 exec_lo, exec_lo, s20
	v_lshrrev_b32_e32 v3, 16, v27
	v_cmp_ne_u16_sdwa s5, v3, v4 src0_sel:BYTE_0 src1_sel:DWORD
	s_and_saveexec_b32 s20, s5
	s_cbranch_execz .LBB279_810
; %bb.803:                              ;   in Loop: Header=BB279_15 Depth=1
	v_cmp_ne_u16_sdwa s5, v3, v80 src0_sel:BYTE_0 src1_sel:DWORD
	v_mov_b32_e32 v79, 0x8000
	s_and_saveexec_b32 s21, s5
	s_cbranch_execz .LBB279_809
; %bb.804:                              ;   in Loop: Header=BB279_15 Depth=1
	v_bfe_u32 v23, v27, 16, 7
	v_mov_b32_e32 v79, 0x7c01
	s_mov_b32 s22, exec_lo
	v_cmpx_ne_u32_e32 0x7f, v23
	s_cbranch_execz .LBB279_808
; %bb.805:                              ;   in Loop: Header=BB279_15 Depth=1
	v_and_b32_e32 v19, 7, v3
	v_lshrrev_b32_e32 v22, 3, v23
	s_mov_b32 s23, exec_lo
	v_cmpx_gt_u32_e32 8, v23
; %bb.806:                              ;   in Loop: Header=BB279_15 Depth=1
	v_ffbh_u32_e32 v19, v19
	v_min_u32_e32 v19, 32, v19
	v_subrev_nc_u32_e32 v22, 28, v19
	v_lshlrev_b64 v[70:71], v22, v[3:4]
	v_sub_nc_u32_e32 v22, 29, v19
	v_and_b32_e32 v19, 7, v70
; %bb.807:                              ;   in Loop: Header=BB279_15 Depth=1
	s_or_b32 exec_lo, exec_lo, s23
	v_lshlrev_b32_e32 v3, 8, v3
	v_lshl_add_u32 v22, v22, 10, 0x2000
	v_lshlrev_b32_e32 v19, 7, v19
	v_and_b32_e32 v3, 0x8000, v3
	v_and_b32_e32 v22, 0xfc00, v22
	v_or3_b32 v79, v3, v22, v19
.LBB279_808:                            ;   in Loop: Header=BB279_15 Depth=1
	s_or_b32 exec_lo, exec_lo, s22
.LBB279_809:                            ;   in Loop: Header=BB279_15 Depth=1
	s_or_b32 exec_lo, exec_lo, s21
.LBB279_810:                            ;   in Loop: Header=BB279_15 Depth=1
	s_or_b32 exec_lo, exec_lo, s20
	v_mov_b32_e32 v88, 0
	v_mov_b32_e32 v91, 0
	s_mov_b32 s20, exec_lo
	v_cmpx_lt_u32_e32 0xffffff, v27
	s_cbranch_execz .LBB279_818
; %bb.811:                              ;   in Loop: Header=BB279_15 Depth=1
	v_lshrrev_b32_e32 v3, 24, v27
	v_bfrev_b32_e32 v91, 1
	s_mov_b32 s21, exec_lo
	v_cmpx_ne_u32_e32 0x80, v3
	s_cbranch_execz .LBB279_817
; %bb.812:                              ;   in Loop: Header=BB279_15 Depth=1
	v_and_b32_e32 v23, 0x7f, v3
	v_mov_b32_e32 v91, 0x7c010000
	s_mov_b32 s22, exec_lo
	v_cmpx_ne_u32_e32 0x7f, v23
	s_cbranch_execz .LBB279_816
; %bb.813:                              ;   in Loop: Header=BB279_15 Depth=1
	v_and_b32_e32 v19, 7, v3
	v_lshrrev_b32_e32 v22, 3, v23
	s_mov_b32 s23, exec_lo
	v_cmpx_gt_u32_e32 8, v23
; %bb.814:                              ;   in Loop: Header=BB279_15 Depth=1
	v_ffbh_u32_e32 v19, v19
	v_min_u32_e32 v19, 32, v19
	v_subrev_nc_u32_e32 v22, 28, v19
	v_lshlrev_b64 v[70:71], v22, v[3:4]
	v_sub_nc_u32_e32 v22, 29, v19
	v_and_b32_e32 v19, 7, v70
; %bb.815:                              ;   in Loop: Header=BB279_15 Depth=1
	s_or_b32 exec_lo, exec_lo, s23
	v_lshlrev_b32_e32 v3, 8, v3
	v_lshl_add_u32 v22, v22, 10, 0x2000
	v_lshlrev_b32_e32 v19, 23, v19
	v_and_or_b32 v3, 0x8000, v3, v22
	v_lshl_or_b32 v91, v3, 16, v19
.LBB279_816:                            ;   in Loop: Header=BB279_15 Depth=1
	s_or_b32 exec_lo, exec_lo, s22
.LBB279_817:                            ;   in Loop: Header=BB279_15 Depth=1
	s_or_b32 exec_lo, exec_lo, s21
.LBB279_818:                            ;   in Loop: Header=BB279_15 Depth=1
	s_or_b32 exec_lo, exec_lo, s20
	v_mov_b32_e32 v3, v28
	v_cmp_ne_u16_sdwa s5, v28, v4 src0_sel:BYTE_0 src1_sel:DWORD
	s_and_saveexec_b32 s20, s5
	s_cbranch_execz .LBB279_826
; %bb.819:                              ;   in Loop: Header=BB279_15 Depth=1
	v_cmp_ne_u16_sdwa s5, v28, v80 src0_sel:BYTE_0 src1_sel:DWORD
	v_mov_b32_e32 v88, 0x8000
	s_and_saveexec_b32 s21, s5
	s_cbranch_execz .LBB279_825
; %bb.820:                              ;   in Loop: Header=BB279_15 Depth=1
	v_and_b32_e32 v23, 0x7f, v28
	v_mov_b32_e32 v88, 0x7c01
	s_mov_b32 s22, exec_lo
	v_cmpx_ne_u32_e32 0x7f, v23
	s_cbranch_execz .LBB279_824
; %bb.821:                              ;   in Loop: Header=BB279_15 Depth=1
	v_and_b32_e32 v19, 7, v28
	v_lshrrev_b32_e32 v22, 3, v23
	s_mov_b32 s23, exec_lo
	v_cmpx_gt_u32_e32 8, v23
; %bb.822:                              ;   in Loop: Header=BB279_15 Depth=1
	v_ffbh_u32_e32 v19, v19
	v_min_u32_e32 v19, 32, v19
	v_subrev_nc_u32_e32 v22, 28, v19
	v_lshlrev_b64 v[70:71], v22, v[3:4]
	v_sub_nc_u32_e32 v22, 29, v19
	v_and_b32_e32 v19, 7, v70
; %bb.823:                              ;   in Loop: Header=BB279_15 Depth=1
	s_or_b32 exec_lo, exec_lo, s23
	v_lshlrev_b32_e32 v23, 8, v28
	v_lshl_add_u32 v22, v22, 10, 0x2000
	v_lshlrev_b32_e32 v19, 7, v19
	v_and_b32_e32 v23, 0x8000, v23
	v_and_b32_e32 v22, 0xfc00, v22
	v_or3_b32 v88, v23, v22, v19
.LBB279_824:                            ;   in Loop: Header=BB279_15 Depth=1
	s_or_b32 exec_lo, exec_lo, s22
.LBB279_825:                            ;   in Loop: Header=BB279_15 Depth=1
	s_or_b32 exec_lo, exec_lo, s21
.LBB279_826:                            ;   in Loop: Header=BB279_15 Depth=1
	s_or_b32 exec_lo, exec_lo, s20
	v_lshrrev_b16 v3, 8, v3
	v_mov_b32_e32 v107, 0
	v_mov_b32_e32 v109, 0
	s_mov_b32 s20, exec_lo
	v_cmpx_ne_u16_e32 0, v3
	s_cbranch_execz .LBB279_834
; %bb.827:                              ;   in Loop: Header=BB279_15 Depth=1
	v_bfrev_b32_e32 v109, 1
	s_mov_b32 s21, exec_lo
	v_cmpx_ne_u16_e32 0x80, v3
	s_cbranch_execz .LBB279_833
; %bb.828:                              ;   in Loop: Header=BB279_15 Depth=1
	v_mov_b32_e32 v19, 0x7f
	v_mov_b32_e32 v109, 0x7c010000
	s_mov_b32 s22, exec_lo
	v_and_b32_sdwa v23, v3, v19 dst_sel:DWORD dst_unused:UNUSED_PAD src0_sel:WORD_0 src1_sel:DWORD
	v_cmpx_ne_u32_e32 0x7f, v23
	s_cbranch_execz .LBB279_832
; %bb.829:                              ;   in Loop: Header=BB279_15 Depth=1
	v_mov_b32_e32 v19, 7
	v_lshrrev_b32_e32 v22, 3, v23
	s_mov_b32 s23, exec_lo
	v_and_b32_sdwa v19, v3, v19 dst_sel:DWORD dst_unused:UNUSED_PAD src0_sel:WORD_0 src1_sel:DWORD
	v_cmpx_gt_u32_e32 8, v23
; %bb.830:                              ;   in Loop: Header=BB279_15 Depth=1
	v_ffbh_u32_e32 v19, v19
	v_min_u32_e32 v19, 32, v19
	v_subrev_nc_u32_e32 v22, 28, v19
	v_lshlrev_b64 v[70:71], v22, v[3:4]
	v_sub_nc_u32_e32 v22, 29, v19
	v_and_b32_e32 v19, 7, v70
; %bb.831:                              ;   in Loop: Header=BB279_15 Depth=1
	s_or_b32 exec_lo, exec_lo, s23
	v_mov_b32_e32 v23, 8
	v_lshl_add_u32 v22, v22, 10, 0x2000
	v_lshlrev_b32_e32 v19, 23, v19
	v_lshlrev_b32_sdwa v3, v23, v3 dst_sel:DWORD dst_unused:UNUSED_PAD src0_sel:DWORD src1_sel:WORD_0
	v_and_or_b32 v3, 0x8000, v3, v22
	v_lshl_or_b32 v109, v3, 16, v19
.LBB279_832:                            ;   in Loop: Header=BB279_15 Depth=1
	s_or_b32 exec_lo, exec_lo, s22
.LBB279_833:                            ;   in Loop: Header=BB279_15 Depth=1
	s_or_b32 exec_lo, exec_lo, s21
.LBB279_834:                            ;   in Loop: Header=BB279_15 Depth=1
	s_or_b32 exec_lo, exec_lo, s20
	v_lshrrev_b32_e32 v3, 16, v28
	v_cmp_ne_u16_sdwa s5, v3, v4 src0_sel:BYTE_0 src1_sel:DWORD
	s_and_saveexec_b32 s20, s5
	s_cbranch_execz .LBB279_842
; %bb.835:                              ;   in Loop: Header=BB279_15 Depth=1
	v_cmp_ne_u16_sdwa s5, v3, v80 src0_sel:BYTE_0 src1_sel:DWORD
	v_mov_b32_e32 v107, 0x8000
	s_and_saveexec_b32 s21, s5
	s_cbranch_execz .LBB279_841
; %bb.836:                              ;   in Loop: Header=BB279_15 Depth=1
	v_bfe_u32 v23, v28, 16, 7
	v_mov_b32_e32 v107, 0x7c01
	s_mov_b32 s22, exec_lo
	v_cmpx_ne_u32_e32 0x7f, v23
	s_cbranch_execz .LBB279_840
; %bb.837:                              ;   in Loop: Header=BB279_15 Depth=1
	v_and_b32_e32 v19, 7, v3
	v_lshrrev_b32_e32 v22, 3, v23
	s_mov_b32 s23, exec_lo
	v_cmpx_gt_u32_e32 8, v23
; %bb.838:                              ;   in Loop: Header=BB279_15 Depth=1
	v_ffbh_u32_e32 v19, v19
	v_min_u32_e32 v19, 32, v19
	v_subrev_nc_u32_e32 v22, 28, v19
	v_lshlrev_b64 v[70:71], v22, v[3:4]
	v_sub_nc_u32_e32 v22, 29, v19
	v_and_b32_e32 v19, 7, v70
; %bb.839:                              ;   in Loop: Header=BB279_15 Depth=1
	s_or_b32 exec_lo, exec_lo, s23
	v_lshlrev_b32_e32 v3, 8, v3
	v_lshl_add_u32 v22, v22, 10, 0x2000
	v_lshlrev_b32_e32 v19, 7, v19
	v_and_b32_e32 v3, 0x8000, v3
	v_and_b32_e32 v22, 0xfc00, v22
	v_or3_b32 v107, v3, v22, v19
.LBB279_840:                            ;   in Loop: Header=BB279_15 Depth=1
	s_or_b32 exec_lo, exec_lo, s22
.LBB279_841:                            ;   in Loop: Header=BB279_15 Depth=1
	s_or_b32 exec_lo, exec_lo, s21
.LBB279_842:                            ;   in Loop: Header=BB279_15 Depth=1
	s_or_b32 exec_lo, exec_lo, s20
	v_cmp_lt_u64_e64 s5, s[12:13], v[27:28]
	v_mov_b32_e32 v27, 0
	v_mov_b32_e32 v111, 0
	s_and_saveexec_b32 s20, s5
	s_cbranch_execz .LBB279_850
; %bb.843:                              ;   in Loop: Header=BB279_15 Depth=1
	v_lshrrev_b32_e32 v3, 24, v28
	v_bfrev_b32_e32 v111, 1
	s_mov_b32 s21, exec_lo
	v_cmpx_ne_u32_e32 0x80, v3
	s_cbranch_execz .LBB279_849
; %bb.844:                              ;   in Loop: Header=BB279_15 Depth=1
	v_and_b32_e32 v23, 0x7f, v3
	v_mov_b32_e32 v111, 0x7c010000
	s_mov_b32 s22, exec_lo
	v_cmpx_ne_u32_e32 0x7f, v23
	s_cbranch_execz .LBB279_848
; %bb.845:                              ;   in Loop: Header=BB279_15 Depth=1
	v_and_b32_e32 v19, 7, v3
	v_lshrrev_b32_e32 v22, 3, v23
	s_mov_b32 s23, exec_lo
	v_cmpx_gt_u32_e32 8, v23
; %bb.846:                              ;   in Loop: Header=BB279_15 Depth=1
	v_ffbh_u32_e32 v19, v19
	v_min_u32_e32 v19, 32, v19
	v_subrev_nc_u32_e32 v22, 28, v19
	v_lshlrev_b64 v[70:71], v22, v[3:4]
	v_sub_nc_u32_e32 v22, 29, v19
	v_and_b32_e32 v19, 7, v70
; %bb.847:                              ;   in Loop: Header=BB279_15 Depth=1
	s_or_b32 exec_lo, exec_lo, s23
	v_lshlrev_b32_e32 v3, 8, v3
	v_lshl_add_u32 v22, v22, 10, 0x2000
	v_lshlrev_b32_e32 v19, 23, v19
	v_and_or_b32 v3, 0x8000, v3, v22
	v_lshl_or_b32 v111, v3, 16, v19
.LBB279_848:                            ;   in Loop: Header=BB279_15 Depth=1
	s_or_b32 exec_lo, exec_lo, s22
.LBB279_849:                            ;   in Loop: Header=BB279_15 Depth=1
	s_or_b32 exec_lo, exec_lo, s21
.LBB279_850:                            ;   in Loop: Header=BB279_15 Depth=1
	s_or_b32 exec_lo, exec_lo, s20
	flat_load_dwordx2 v[24:25], v[24:25] offset:1032
	s_waitcnt vmcnt(0) lgkmcnt(0)
	v_cmp_ne_u16_sdwa s5, v24, v4 src0_sel:BYTE_0 src1_sel:DWORD
	s_and_saveexec_b32 s20, s5
	s_cbranch_execz .LBB279_858
; %bb.851:                              ;   in Loop: Header=BB279_15 Depth=1
	v_cmp_ne_u16_sdwa s5, v24, v80 src0_sel:BYTE_0 src1_sel:DWORD
	v_mov_b32_e32 v27, 0x8000
	s_and_saveexec_b32 s21, s5
	s_cbranch_execz .LBB279_857
; %bb.852:                              ;   in Loop: Header=BB279_15 Depth=1
	v_and_b32_e32 v22, 0x7f, v24
	v_mov_b32_e32 v27, 0x7c01
	s_mov_b32 s22, exec_lo
	v_cmpx_ne_u32_e32 0x7f, v22
	s_cbranch_execz .LBB279_856
; %bb.853:                              ;   in Loop: Header=BB279_15 Depth=1
	v_and_b32_e32 v3, 7, v24
	v_lshrrev_b32_e32 v19, 3, v22
	s_mov_b32 s23, exec_lo
	v_cmpx_gt_u32_e32 8, v22
; %bb.854:                              ;   in Loop: Header=BB279_15 Depth=1
	v_ffbh_u32_e32 v3, v3
	v_min_u32_e32 v3, 32, v3
	v_subrev_nc_u32_e32 v19, 28, v3
	v_lshlrev_b64 v[22:23], v19, v[24:25]
	v_sub_nc_u32_e32 v19, 29, v3
	v_and_b32_e32 v3, 7, v22
; %bb.855:                              ;   in Loop: Header=BB279_15 Depth=1
	s_or_b32 exec_lo, exec_lo, s23
	v_lshlrev_b32_e32 v22, 8, v24
	v_lshl_add_u32 v19, v19, 10, 0x2000
	v_lshlrev_b32_e32 v3, 7, v3
	v_and_b32_e32 v22, 0x8000, v22
	v_and_b32_e32 v19, 0xfc00, v19
	v_or3_b32 v27, v22, v19, v3
.LBB279_856:                            ;   in Loop: Header=BB279_15 Depth=1
	s_or_b32 exec_lo, exec_lo, s22
.LBB279_857:                            ;   in Loop: Header=BB279_15 Depth=1
	s_or_b32 exec_lo, exec_lo, s21
.LBB279_858:                            ;   in Loop: Header=BB279_15 Depth=1
	s_or_b32 exec_lo, exec_lo, s20
	v_lshrrev_b16 v3, 8, v24
	v_mov_b32_e32 v81, 0
	v_mov_b32_e32 v28, 0
	s_mov_b32 s20, exec_lo
	v_cmpx_ne_u16_e32 0, v3
	s_cbranch_execz .LBB279_866
; %bb.859:                              ;   in Loop: Header=BB279_15 Depth=1
	v_bfrev_b32_e32 v28, 1
	s_mov_b32 s21, exec_lo
	v_cmpx_ne_u16_e32 0x80, v3
	s_cbranch_execz .LBB279_865
; %bb.860:                              ;   in Loop: Header=BB279_15 Depth=1
	v_mov_b32_e32 v19, 0x7f
	v_mov_b32_e32 v28, 0x7c010000
	s_mov_b32 s22, exec_lo
	v_and_b32_sdwa v23, v3, v19 dst_sel:DWORD dst_unused:UNUSED_PAD src0_sel:WORD_0 src1_sel:DWORD
	v_cmpx_ne_u32_e32 0x7f, v23
	s_cbranch_execz .LBB279_864
; %bb.861:                              ;   in Loop: Header=BB279_15 Depth=1
	v_mov_b32_e32 v19, 7
	v_lshrrev_b32_e32 v22, 3, v23
	s_mov_b32 s23, exec_lo
	v_and_b32_sdwa v19, v3, v19 dst_sel:DWORD dst_unused:UNUSED_PAD src0_sel:WORD_0 src1_sel:DWORD
	v_cmpx_gt_u32_e32 8, v23
; %bb.862:                              ;   in Loop: Header=BB279_15 Depth=1
	v_ffbh_u32_e32 v19, v19
	v_min_u32_e32 v19, 32, v19
	v_subrev_nc_u32_e32 v22, 28, v19
	v_lshlrev_b64 v[70:71], v22, v[3:4]
	v_sub_nc_u32_e32 v22, 29, v19
	v_and_b32_e32 v19, 7, v70
; %bb.863:                              ;   in Loop: Header=BB279_15 Depth=1
	s_or_b32 exec_lo, exec_lo, s23
	v_mov_b32_e32 v23, 8
	v_lshl_add_u32 v22, v22, 10, 0x2000
	v_lshlrev_b32_e32 v19, 23, v19
	v_lshlrev_b32_sdwa v3, v23, v3 dst_sel:DWORD dst_unused:UNUSED_PAD src0_sel:DWORD src1_sel:WORD_0
	v_and_or_b32 v3, 0x8000, v3, v22
	v_lshl_or_b32 v28, v3, 16, v19
.LBB279_864:                            ;   in Loop: Header=BB279_15 Depth=1
	s_or_b32 exec_lo, exec_lo, s22
.LBB279_865:                            ;   in Loop: Header=BB279_15 Depth=1
	s_or_b32 exec_lo, exec_lo, s21
.LBB279_866:                            ;   in Loop: Header=BB279_15 Depth=1
	s_or_b32 exec_lo, exec_lo, s20
	v_lshrrev_b32_e32 v3, 16, v24
	v_cmp_ne_u16_sdwa s5, v3, v4 src0_sel:BYTE_0 src1_sel:DWORD
	s_and_saveexec_b32 s20, s5
	s_cbranch_execz .LBB279_874
; %bb.867:                              ;   in Loop: Header=BB279_15 Depth=1
	v_cmp_ne_u16_sdwa s5, v3, v80 src0_sel:BYTE_0 src1_sel:DWORD
	v_mov_b32_e32 v81, 0x8000
	s_and_saveexec_b32 s21, s5
	s_cbranch_execz .LBB279_873
; %bb.868:                              ;   in Loop: Header=BB279_15 Depth=1
	v_bfe_u32 v23, v24, 16, 7
	v_mov_b32_e32 v81, 0x7c01
	s_mov_b32 s22, exec_lo
	v_cmpx_ne_u32_e32 0x7f, v23
	s_cbranch_execz .LBB279_872
; %bb.869:                              ;   in Loop: Header=BB279_15 Depth=1
	v_and_b32_e32 v19, 7, v3
	v_lshrrev_b32_e32 v22, 3, v23
	s_mov_b32 s23, exec_lo
	v_cmpx_gt_u32_e32 8, v23
; %bb.870:                              ;   in Loop: Header=BB279_15 Depth=1
	v_ffbh_u32_e32 v19, v19
	v_min_u32_e32 v19, 32, v19
	v_subrev_nc_u32_e32 v22, 28, v19
	v_lshlrev_b64 v[70:71], v22, v[3:4]
	v_sub_nc_u32_e32 v22, 29, v19
	v_and_b32_e32 v19, 7, v70
; %bb.871:                              ;   in Loop: Header=BB279_15 Depth=1
	s_or_b32 exec_lo, exec_lo, s23
	v_lshlrev_b32_e32 v3, 8, v3
	v_lshl_add_u32 v22, v22, 10, 0x2000
	v_lshlrev_b32_e32 v19, 7, v19
	v_and_b32_e32 v3, 0x8000, v3
	v_and_b32_e32 v22, 0xfc00, v22
	v_or3_b32 v81, v3, v22, v19
.LBB279_872:                            ;   in Loop: Header=BB279_15 Depth=1
	s_or_b32 exec_lo, exec_lo, s22
.LBB279_873:                            ;   in Loop: Header=BB279_15 Depth=1
	s_or_b32 exec_lo, exec_lo, s21
.LBB279_874:                            ;   in Loop: Header=BB279_15 Depth=1
	s_or_b32 exec_lo, exec_lo, s20
	v_mov_b32_e32 v71, 0
	v_mov_b32_e32 v82, 0
	s_mov_b32 s20, exec_lo
	v_cmpx_lt_u32_e32 0xffffff, v24
	s_cbranch_execz .LBB279_882
; %bb.875:                              ;   in Loop: Header=BB279_15 Depth=1
	v_lshrrev_b32_e32 v3, 24, v24
	v_bfrev_b32_e32 v82, 1
	s_mov_b32 s21, exec_lo
	v_cmpx_ne_u32_e32 0x80, v3
	s_cbranch_execz .LBB279_881
; %bb.876:                              ;   in Loop: Header=BB279_15 Depth=1
	v_and_b32_e32 v23, 0x7f, v3
	v_mov_b32_e32 v82, 0x7c010000
	s_mov_b32 s22, exec_lo
	v_cmpx_ne_u32_e32 0x7f, v23
	s_cbranch_execz .LBB279_880
; %bb.877:                              ;   in Loop: Header=BB279_15 Depth=1
	v_and_b32_e32 v19, 7, v3
	v_lshrrev_b32_e32 v22, 3, v23
	s_mov_b32 s23, exec_lo
	v_cmpx_gt_u32_e32 8, v23
; %bb.878:                              ;   in Loop: Header=BB279_15 Depth=1
	v_ffbh_u32_e32 v19, v19
	v_min_u32_e32 v19, 32, v19
	v_subrev_nc_u32_e32 v22, 28, v19
	v_lshlrev_b64 v[92:93], v22, v[3:4]
	v_sub_nc_u32_e32 v22, 29, v19
	v_and_b32_e32 v19, 7, v92
; %bb.879:                              ;   in Loop: Header=BB279_15 Depth=1
	s_or_b32 exec_lo, exec_lo, s23
	v_lshlrev_b32_e32 v3, 8, v3
	v_lshl_add_u32 v22, v22, 10, 0x2000
	v_lshlrev_b32_e32 v19, 23, v19
	v_and_or_b32 v3, 0x8000, v3, v22
	v_lshl_or_b32 v82, v3, 16, v19
.LBB279_880:                            ;   in Loop: Header=BB279_15 Depth=1
	s_or_b32 exec_lo, exec_lo, s22
.LBB279_881:                            ;   in Loop: Header=BB279_15 Depth=1
	s_or_b32 exec_lo, exec_lo, s21
.LBB279_882:                            ;   in Loop: Header=BB279_15 Depth=1
	s_or_b32 exec_lo, exec_lo, s20
	v_mov_b32_e32 v3, v25
	v_cmp_ne_u16_sdwa s5, v25, v4 src0_sel:BYTE_0 src1_sel:DWORD
	s_and_saveexec_b32 s20, s5
	s_cbranch_execz .LBB279_890
; %bb.883:                              ;   in Loop: Header=BB279_15 Depth=1
	v_cmp_ne_u16_sdwa s5, v25, v80 src0_sel:BYTE_0 src1_sel:DWORD
	v_mov_b32_e32 v71, 0x8000
	s_and_saveexec_b32 s21, s5
	s_cbranch_execz .LBB279_889
; %bb.884:                              ;   in Loop: Header=BB279_15 Depth=1
	v_and_b32_e32 v23, 0x7f, v25
	v_mov_b32_e32 v71, 0x7c01
	s_mov_b32 s22, exec_lo
	v_cmpx_ne_u32_e32 0x7f, v23
	s_cbranch_execz .LBB279_888
; %bb.885:                              ;   in Loop: Header=BB279_15 Depth=1
	v_and_b32_e32 v19, 7, v25
	v_lshrrev_b32_e32 v22, 3, v23
	s_mov_b32 s23, exec_lo
	v_cmpx_gt_u32_e32 8, v23
; %bb.886:                              ;   in Loop: Header=BB279_15 Depth=1
	v_ffbh_u32_e32 v19, v19
	v_min_u32_e32 v19, 32, v19
	v_subrev_nc_u32_e32 v22, 28, v19
	v_lshlrev_b64 v[70:71], v22, v[3:4]
	v_sub_nc_u32_e32 v22, 29, v19
	v_and_b32_e32 v19, 7, v70
; %bb.887:                              ;   in Loop: Header=BB279_15 Depth=1
	s_or_b32 exec_lo, exec_lo, s23
	v_lshlrev_b32_e32 v23, 8, v25
	v_lshl_add_u32 v22, v22, 10, 0x2000
	v_lshlrev_b32_e32 v19, 7, v19
	v_and_b32_e32 v23, 0x8000, v23
	v_and_b32_e32 v22, 0xfc00, v22
	v_or3_b32 v71, v23, v22, v19
.LBB279_888:                            ;   in Loop: Header=BB279_15 Depth=1
	s_or_b32 exec_lo, exec_lo, s22
.LBB279_889:                            ;   in Loop: Header=BB279_15 Depth=1
	s_or_b32 exec_lo, exec_lo, s21
.LBB279_890:                            ;   in Loop: Header=BB279_15 Depth=1
	s_or_b32 exec_lo, exec_lo, s20
	v_lshrrev_b16 v3, 8, v3
	v_mov_b32_e32 v92, 0
	v_mov_b32_e32 v93, 0
	s_mov_b32 s20, exec_lo
	v_cmpx_ne_u16_e32 0, v3
	s_cbranch_execz .LBB279_898
; %bb.891:                              ;   in Loop: Header=BB279_15 Depth=1
	v_bfrev_b32_e32 v93, 1
	s_mov_b32 s21, exec_lo
	v_cmpx_ne_u16_e32 0x80, v3
	s_cbranch_execz .LBB279_897
; %bb.892:                              ;   in Loop: Header=BB279_15 Depth=1
	v_mov_b32_e32 v19, 0x7f
	v_mov_b32_e32 v93, 0x7c010000
	s_mov_b32 s22, exec_lo
	v_and_b32_sdwa v23, v3, v19 dst_sel:DWORD dst_unused:UNUSED_PAD src0_sel:WORD_0 src1_sel:DWORD
	v_cmpx_ne_u32_e32 0x7f, v23
	s_cbranch_execz .LBB279_896
; %bb.893:                              ;   in Loop: Header=BB279_15 Depth=1
	v_mov_b32_e32 v19, 7
	v_lshrrev_b32_e32 v22, 3, v23
	s_mov_b32 s23, exec_lo
	v_and_b32_sdwa v19, v3, v19 dst_sel:DWORD dst_unused:UNUSED_PAD src0_sel:WORD_0 src1_sel:DWORD
	v_cmpx_gt_u32_e32 8, v23
	s_cbranch_execz .LBB279_895
; %bb.894:                              ;   in Loop: Header=BB279_15 Depth=1
	v_ffbh_u32_e32 v19, v19
	v_mov_b32_e32 v23, v120
	v_mov_b32_e32 v54, v121
	v_min_u32_e32 v19, 32, v19
	v_subrev_nc_u32_e32 v22, 28, v19
	v_lshlrev_b64 v[120:121], v22, v[3:4]
	v_mov_b32_e32 v121, v54
	v_sub_nc_u32_e32 v22, 29, v19
	v_and_b32_e32 v19, 7, v120
	v_mov_b32_e32 v120, v23
.LBB279_895:                            ;   in Loop: Header=BB279_15 Depth=1
	s_or_b32 exec_lo, exec_lo, s23
	v_mov_b32_e32 v23, 8
	v_lshl_add_u32 v22, v22, 10, 0x2000
	v_lshlrev_b32_e32 v19, 23, v19
	v_lshlrev_b32_sdwa v3, v23, v3 dst_sel:DWORD dst_unused:UNUSED_PAD src0_sel:DWORD src1_sel:WORD_0
	v_and_or_b32 v3, 0x8000, v3, v22
	v_lshl_or_b32 v93, v3, 16, v19
.LBB279_896:                            ;   in Loop: Header=BB279_15 Depth=1
	s_or_b32 exec_lo, exec_lo, s22
.LBB279_897:                            ;   in Loop: Header=BB279_15 Depth=1
	s_or_b32 exec_lo, exec_lo, s21
.LBB279_898:                            ;   in Loop: Header=BB279_15 Depth=1
	s_or_b32 exec_lo, exec_lo, s20
	v_lshrrev_b32_e32 v3, 16, v25
	v_cmp_ne_u16_sdwa s5, v3, v4 src0_sel:BYTE_0 src1_sel:DWORD
	s_and_saveexec_b32 s20, s5
	s_cbranch_execz .LBB279_906
; %bb.899:                              ;   in Loop: Header=BB279_15 Depth=1
	v_cmp_ne_u16_sdwa s5, v3, v80 src0_sel:BYTE_0 src1_sel:DWORD
	v_mov_b32_e32 v92, 0x8000
	s_and_saveexec_b32 s21, s5
	s_cbranch_execz .LBB279_905
; %bb.900:                              ;   in Loop: Header=BB279_15 Depth=1
	v_bfe_u32 v23, v25, 16, 7
	v_mov_b32_e32 v92, 0x7c01
	s_mov_b32 s22, exec_lo
	v_cmpx_ne_u32_e32 0x7f, v23
	s_cbranch_execz .LBB279_904
; %bb.901:                              ;   in Loop: Header=BB279_15 Depth=1
	v_and_b32_e32 v19, 7, v3
	v_lshrrev_b32_e32 v22, 3, v23
	s_mov_b32 s23, exec_lo
	v_cmpx_gt_u32_e32 8, v23
	s_cbranch_execz .LBB279_903
; %bb.902:                              ;   in Loop: Header=BB279_15 Depth=1
	v_ffbh_u32_e32 v19, v19
	v_mov_b32_e32 v23, v120
	v_mov_b32_e32 v54, v121
	v_min_u32_e32 v19, 32, v19
	v_subrev_nc_u32_e32 v22, 28, v19
	v_lshlrev_b64 v[120:121], v22, v[3:4]
	v_mov_b32_e32 v121, v54
	v_sub_nc_u32_e32 v22, 29, v19
	v_and_b32_e32 v19, 7, v120
	v_mov_b32_e32 v120, v23
.LBB279_903:                            ;   in Loop: Header=BB279_15 Depth=1
	s_or_b32 exec_lo, exec_lo, s23
	v_lshlrev_b32_e32 v3, 8, v3
	v_lshl_add_u32 v22, v22, 10, 0x2000
	v_lshlrev_b32_e32 v19, 7, v19
	v_and_b32_e32 v3, 0x8000, v3
	v_and_b32_e32 v22, 0xfc00, v22
	v_or3_b32 v92, v3, v22, v19
.LBB279_904:                            ;   in Loop: Header=BB279_15 Depth=1
	s_or_b32 exec_lo, exec_lo, s22
.LBB279_905:                            ;   in Loop: Header=BB279_15 Depth=1
	s_or_b32 exec_lo, exec_lo, s21
.LBB279_906:                            ;   in Loop: Header=BB279_15 Depth=1
	s_or_b32 exec_lo, exec_lo, s20
	v_mov_b32_e32 v19, 0
	s_mov_b32 s20, exec_lo
	v_cmpx_lt_u64_e64 s[12:13], v[24:25]
	s_cbranch_execz .LBB279_13
; %bb.907:                              ;   in Loop: Header=BB279_15 Depth=1
	v_lshrrev_b32_e32 v3, 24, v25
	v_bfrev_b32_e32 v19, 1
	s_mov_b32 s21, exec_lo
	v_cmpx_ne_u32_e32 0x80, v3
	s_cbranch_execz .LBB279_12
; %bb.908:                              ;   in Loop: Header=BB279_15 Depth=1
	v_and_b32_e32 v23, 0x7f, v3
	v_mov_b32_e32 v19, 0x7c010000
	s_mov_b32 s22, exec_lo
	v_cmpx_ne_u32_e32 0x7f, v23
	s_cbranch_execz .LBB279_11
; %bb.909:                              ;   in Loop: Header=BB279_15 Depth=1
	v_and_b32_e32 v19, 7, v3
	v_lshrrev_b32_e32 v22, 3, v23
	s_mov_b32 s23, exec_lo
	v_cmpx_gt_u32_e32 8, v23
	s_cbranch_execz .LBB279_10
; %bb.910:                              ;   in Loop: Header=BB279_15 Depth=1
	v_ffbh_u32_e32 v19, v19
	v_min_u32_e32 v19, 32, v19
	v_subrev_nc_u32_e32 v22, 28, v19
	v_lshlrev_b64 v[23:24], v22, v[3:4]
	v_sub_nc_u32_e32 v22, 29, v19
	v_and_b32_e32 v19, 7, v23
	s_branch .LBB279_10
.LBB279_911:
	s_or_b32 exec_lo, exec_lo, s19
	s_clause 0x11
	buffer_load_dword v45, off, s[0:3], s32 offset:320
	buffer_load_dword v46, off, s[0:3], s32 offset:324
	;; [unrolled: 1-line block ×18, first 2 shown]
.LBB279_912:
	s_or_b32 exec_lo, exec_lo, s17
	v_mbcnt_lo_u32_b32 v0, -1, 0
	v_max_f32_e32 v4, v14, v14
	s_waitcnt lgkmcnt(0)
	s_lshr_b32 s12, s7, 16
	v_xor_b32_e32 v1, 16, v0
	v_xor_b32_e32 v3, 8, v0
	v_cmp_gt_i32_e32 vcc_lo, 32, v1
	v_cndmask_b32_e32 v1, v0, v1, vcc_lo
	v_cmp_gt_i32_e32 vcc_lo, 32, v3
	v_lshlrev_b32_e32 v1, 2, v1
	v_cndmask_b32_e32 v3, v0, v3, vcc_lo
	ds_bpermute_b32 v2, v1, v14
	s_waitcnt lgkmcnt(0)
	v_max_f32_e32 v5, v2, v2
	v_lshlrev_b32_e32 v2, 2, v3
	v_max_f32_e32 v4, v4, v5
	v_xor_b32_e32 v5, 4, v0
	ds_bpermute_b32 v3, v2, v4
	v_cmp_gt_i32_e32 vcc_lo, 32, v5
	v_cndmask_b32_e32 v5, v0, v5, vcc_lo
	s_waitcnt lgkmcnt(0)
	v_max_f32_e32 v6, v3, v3
	v_lshlrev_b32_e32 v3, 2, v5
	v_max_f32_e32 v4, v4, v6
	v_xor_b32_e32 v6, 2, v0
	ds_bpermute_b32 v5, v3, v4
	v_cmp_gt_i32_e32 vcc_lo, 32, v6
	v_cndmask_b32_e32 v6, v0, v6, vcc_lo
	v_lshlrev_b32_e32 v15, 2, v6
	v_xor_b32_e32 v6, 1, v0
	v_cmp_gt_i32_e32 vcc_lo, 32, v6
	s_waitcnt lgkmcnt(0)
	v_max_f32_e32 v5, v5, v5
	v_cndmask_b32_e32 v6, v0, v6, vcc_lo
	v_max_f32_e32 v4, v4, v5
	v_lshlrev_b32_e32 v14, 2, v6
	ds_bpermute_b32 v5, v15, v4
	s_waitcnt lgkmcnt(0)
	v_max_f32_e32 v5, v5, v5
	v_max_f32_e32 v0, v4, v5
	buffer_load_dword v4, off, s[0:3], s32 offset:272 ; 4-byte Folded Reload
	ds_bpermute_b32 v5, v14, v0
	s_waitcnt vmcnt(0)
	v_cmp_eq_u32_e32 vcc_lo, 0, v4
	v_lshlrev_b32_e32 v4, 2, v58
	s_and_saveexec_b32 s5, vcc_lo
	s_cbranch_execz .LBB279_914
; %bb.913:
	s_waitcnt lgkmcnt(0)
	v_max_f32_e32 v5, v5, v5
	v_max_f32_e32 v0, v0, v0
	;; [unrolled: 1-line block ×3, first 2 shown]
	ds_write_b32 v4, v0 offset:224
.LBB279_914:
	s_or_b32 exec_lo, exec_lo, s5
	buffer_load_dword v0, off, s[0:3], s32 offset:272 ; 4-byte Folded Reload
	s_waitcnt vmcnt(0) lgkmcnt(0)
	s_waitcnt_vscnt null, 0x0
	s_barrier
	buffer_gl0_inv
	v_cmp_gt_u32_e64 s5, 4, v0
	v_mov_b32_e32 v0, 0xff7fffff
	s_and_saveexec_b32 s6, s5
; %bb.915:
	ds_read_b32 v0, v16 offset:224
; %bb.916:
	s_or_b32 exec_lo, exec_lo, s6
	s_waitcnt lgkmcnt(0)
	ds_bpermute_b32 v5, v15, v0
	v_max_f32_e32 v0, v0, v0
	s_waitcnt lgkmcnt(0)
	v_max_f32_e32 v5, v5, v5
	v_max_f32_e32 v0, v0, v5
	ds_bpermute_b32 v5, v14, v0
	s_waitcnt lgkmcnt(0)
	v_max_f32_e32 v5, v5, v5
	v_max_f32_e32 v0, v0, v5
	v_mov_b32_e32 v5, 0
	ds_bpermute_b32 v6, v5, v0
	v_lshlrev_b32_e32 v0, 5, v62
	v_min_i32_e32 v0, v0, v30
	v_cmp_lt_i32_e64 s6, v47, v0
	s_and_saveexec_b32 s13, s6
	s_cbranch_execz .LBB279_920
; %bb.917:
	s_load_dword s7, s[8:9], 0x0
	v_mov_b32_e32 v5, 0
	v_mov_b32_e32 v8, v47
	s_mov_b32 s17, 0
	s_waitcnt lgkmcnt(0)
	v_lshl_add_u32 v7, v47, 2, s7
	.p2align	6
.LBB279_918:                            ; =>This Inner Loop Header: Depth=1
	ds_read_b32 v9, v7
	v_add_nc_u32_e32 v8, 0x80, v8
	v_cmp_ge_i32_e64 s7, v8, v0
	s_or_b32 s17, s7, s17
	s_waitcnt lgkmcnt(0)
	v_sub_f32_e32 v9, v9, v6
	v_mul_f32_e32 v9, 0x3fb8aa3b, v9
	v_exp_f32_e32 v9, v9
	ds_write_b32 v7, v9
	v_add_f32_e32 v5, v5, v9
	v_add_nc_u32_e32 v7, 0x200, v7
	s_andn2_b32 exec_lo, exec_lo, s17
	s_cbranch_execnz .LBB279_918
; %bb.919:
	s_or_b32 exec_lo, exec_lo, s17
.LBB279_920:
	s_or_b32 exec_lo, exec_lo, s13
	ds_bpermute_b32 v1, v1, v5
	s_waitcnt lgkmcnt(0)
	v_add_f32_e32 v1, v5, v1
	ds_bpermute_b32 v2, v2, v1
	s_waitcnt lgkmcnt(0)
	v_add_f32_e32 v1, v1, v2
	;; [unrolled: 3-line block ×5, first 2 shown]
	s_and_saveexec_b32 s7, vcc_lo
; %bb.921:
	ds_write_b32 v4, v1 offset:240
; %bb.922:
	s_or_b32 exec_lo, exec_lo, s7
	s_waitcnt lgkmcnt(0)
	s_barrier
	buffer_gl0_inv
	s_and_saveexec_b32 s7, s5
; %bb.923:
	ds_read_b32 v1, v16 offset:240
; %bb.924:
	s_or_b32 exec_lo, exec_lo, s7
	s_waitcnt lgkmcnt(0)
	ds_bpermute_b32 v2, v15, v1
	s_waitcnt lgkmcnt(0)
	v_add_f32_e32 v1, v1, v2
	ds_bpermute_b32 v2, v14, v1
	s_waitcnt lgkmcnt(0)
	v_add_f32_e32 v1, v1, v2
	v_mov_b32_e32 v2, 0
	ds_bpermute_b32 v1, v2, v1
	s_and_saveexec_b32 s5, s6
	s_cbranch_execz .LBB279_927
; %bb.925:
	s_waitcnt lgkmcnt(0)
	v_add_f32_e32 v2, 0x358637bd, v1
	s_load_dword s6, s[8:9], 0x0
	v_div_scale_f32 v1, null, v2, v2, 1.0
	v_div_scale_f32 v5, vcc_lo, 1.0, v2, 1.0
	v_rcp_f32_e32 v3, v1
	v_fma_f32 v4, -v1, v3, 1.0
	v_fmac_f32_e32 v3, v4, v3
	v_mul_f32_e32 v4, v5, v3
	v_fma_f32 v6, -v1, v4, v5
	v_fmac_f32_e32 v4, v6, v3
	v_fma_f32 v1, -v1, v4, v5
	v_div_fmas_f32 v3, v1, v3, v4
	s_waitcnt lgkmcnt(0)
	v_lshl_add_u32 v1, v47, 2, s6
	s_mov_b32 s6, 0
	v_div_fixup_f32 v2, v3, v2, 1.0
	v_mov_b32_e32 v3, v47
.LBB279_926:                            ; =>This Inner Loop Header: Depth=1
	ds_read_b32 v4, v1
	v_add_nc_u32_e32 v3, 0x80, v3
	v_cmp_ge_i32_e32 vcc_lo, v3, v0
	s_or_b32 s6, vcc_lo, s6
	s_waitcnt lgkmcnt(0)
	v_mul_f32_e32 v4, v2, v4
	ds_write_b32 v1, v4
	v_add_nc_u32_e32 v1, 0x200, v1
	s_andn2_b32 exec_lo, exec_lo, s6
	s_cbranch_execnz .LBB279_926
.LBB279_927:
	s_or_b32 exec_lo, exec_lo, s5
	v_mov_b32_e32 v54, 0
	v_and_b32_e32 v16, 3, v47
	v_mov_b32_e32 v55, 0
	v_mov_b32_e32 v53, 0
	;; [unrolled: 1-line block ×13, first 2 shown]
	s_waitcnt lgkmcnt(0)
	s_barrier
	buffer_gl0_inv
	s_and_saveexec_b32 s5, s4
	s_cbranch_execz .LBB279_1857
; %bb.928:
	s_clause 0x1
	buffer_load_dword v8, off, s[0:3], s32 offset:312
	buffer_load_dword v9, off, s[0:3], s32 offset:316
	v_lshlrev_b32_e32 v0, 3, v47
	v_and_b32_e32 v6, 0x7c, v10
	v_add_co_u32 v2, vcc_lo, v22, v11
	v_lshlrev_b32_e32 v5, 5, v16
	v_and_b32_e32 v66, 24, v0
	v_and_b32_e32 v0, 0xf8, v0
	v_add_co_ci_u32_e64 v3, null, v18, v13, vcc_lo
	v_lshl_or_b32 v67, v58, 7, v5
	v_max_i32_e32 v26, v26, v12
	v_add_nc_u32_e32 v38, -1, v62
	v_mov_b32_e32 v4, 0
	v_mov_b32_e32 v39, 0x80
	;; [unrolled: 1-line block ×3, first 2 shown]
	v_cvt_f32_u32_e32 v1, v26
	v_sub_nc_u32_e32 v7, 0, v26
	v_mov_b32_e32 v64, 7
	v_mov_b32_e32 v65, 8
	;; [unrolled: 1-line block ×3, first 2 shown]
	v_rcp_iflag_f32_e32 v1, v1
	v_mov_b32_e32 v20, 0
	v_mov_b32_e32 v21, 0
	v_mov_b32_e32 v24, 0
	v_mov_b32_e32 v25, 0
	v_mov_b32_e32 v27, 0
	v_mov_b32_e32 v28, 0
	v_mov_b32_e32 v49, 0
	v_mov_b32_e32 v50, 0
	v_mov_b32_e32 v51, 0
	v_mul_f32_e32 v1, 0x4f7ffffe, v1
	v_mov_b32_e32 v52, 0
	v_mov_b32_e32 v53, 0
	;; [unrolled: 1-line block ×4, first 2 shown]
	v_cvt_u32_f32_e32 v1, v1
	v_mov_b32_e32 v68, v58
	s_mov_b32 s6, -1
	s_mov_b32 s7, 0xffffff
	s_mov_b32 s13, 0
	v_mul_lo_u32 v7, v7, v1
	v_mul_hi_u32 v10, v1, v7
	v_add_nc_u32_e32 v13, v1, v10
	s_waitcnt vmcnt(1)
	v_add_co_u32 v8, vcc_lo, v6, v8
	s_waitcnt vmcnt(0)
	v_add_co_ci_u32_e64 v9, null, 0, v9, vcc_lo
	v_add_co_u32 v5, vcc_lo, v2, v0
	buffer_load_dword v0, off, s[0:3], s32 offset:308 ; 4-byte Folded Reload
	v_add_co_ci_u32_e64 v6, null, 0, v3, vcc_lo
	s_waitcnt vmcnt(0)
	v_add_co_u32 v7, vcc_lo, v0, v8
	buffer_load_dword v0, off, s[0:3], s32 offset:304 ; 4-byte Folded Reload
	s_waitcnt vmcnt(0)
	v_add_co_ci_u32_e64 v8, null, v0, v9, vcc_lo
	s_branch .LBB279_931
.LBB279_929:                            ;   in Loop: Header=BB279_931 Depth=1
	s_or_b32 exec_lo, exec_lo, s4
	v_add_f32_e32 v2, v2, v29
	v_add_f32_e32 v1, v1, v119
	;; [unrolled: 1-line block ×8, first 2 shown]
	;;#ASMSTART
	v_pk_mul_f16 v1, v83, v19;

	;;#ASMEND
	v_add_f32_e32 v22, v31, v32
	v_add_f32_e32 v20, v20, v11
	;; [unrolled: 1-line block ×3, first 2 shown]
	;;#ASMSTART
	v_pk_mul_f16 v2, v82, v10;

	;;#ASMEND
	;;#ASMSTART
	v_pk_mul_f16 v9, v81, v9;

	;;#ASMEND
	;; [unrolled: 4-line block ×3, first 2 shown]
	;;#ASMSTART
	v_pk_add_f16 v1, v1, v2;

	;;#ASMEND
	;;#ASMSTART
	v_pk_add_f16 v1, v1, v9;

	;;#ASMEND
	;; [unrolled: 4-line block ×3, first 2 shown]
	v_and_b32_e32 v9, 0xffff, v1
	v_lshrrev_b32_e32 v10, 16, v1
	;;#ASMSTART
	v_cvt_f32_f16 v9, v9;
	;;#ASMEND
	v_add_f32_e32 v21, v21, v12
	v_add_f32_e32 v11, v115, v116
	;; [unrolled: 1-line block ×8, first 2 shown]
	;;#ASMSTART
	v_cvt_f32_f16 v10, v10;
	;;#ASMEND
	v_add_f32_e32 v9, v9, v10
	v_add_f32_e32 v24, v24, v22
	;; [unrolled: 1-line block ×9, first 2 shown]
.LBB279_930:                            ;   in Loop: Header=BB279_931 Depth=1
	s_or_b32 exec_lo, exec_lo, s17
	v_add_nc_u32_e32 v68, 4, v68
	v_add_co_u32 v7, s4, v7, 16
	v_add_nc_u32_e32 v61, 0x80, v61
	v_add_nc_u32_e32 v67, 0x200, v67
	v_cmp_ge_i32_e32 vcc_lo, v68, v62
	v_add_co_ci_u32_e64 v8, null, 0, v8, s4
	s_or_b32 s13, vcc_lo, s13
	s_andn2_b32 exec_lo, exec_lo, s13
	s_cbranch_execz .LBB279_1856
.LBB279_931:                            ; =>This Inner Loop Header: Depth=1
	buffer_load_dword v0, off, s[0:3], s32 offset:200 ; 4-byte Folded Reload
	s_waitcnt vmcnt(0)
	v_mul_hi_u32 v0, v61, v0
	v_mul_lo_u32 v1, v0, v59
	v_add_nc_u32_e32 v2, 1, v0
	v_sub_nc_u32_e32 v1, v61, v1
	v_sub_nc_u32_e32 v3, v1, v59
	v_cmp_ge_u32_e32 vcc_lo, v1, v59
	v_cndmask_b32_e32 v0, v0, v2, vcc_lo
	v_cndmask_b32_e32 v1, v1, v3, vcc_lo
	v_add_nc_u32_e32 v2, 1, v0
	v_cmp_ge_u32_e32 vcc_lo, v1, v59
	v_cndmask_b32_e32 v0, v0, v2, vcc_lo
	s_clause 0x1
	buffer_load_dword v1, off, s[0:3], s32 offset:192
	buffer_load_dword v2, off, s[0:3], s32 offset:196
	v_xor_b32_e32 v0, v0, v60
	v_sub_nc_u32_e32 v0, v0, v60
	s_waitcnt vmcnt(1)
	v_add_nc_u32_e32 v1, v0, v1
	s_waitcnt vmcnt(0)
	v_sub_nc_u32_e32 v2, 0, v1
	v_max_i32_e32 v2, v1, v2
	v_ashrrev_i32_e32 v1, 31, v1
	v_mul_hi_u32 v3, v2, v13
	v_mul_lo_u32 v3, v3, v26
	v_sub_nc_u32_e32 v2, v2, v3
	v_sub_nc_u32_e32 v3, v2, v26
	v_cmp_ge_u32_e32 vcc_lo, v2, v26
	v_cndmask_b32_e32 v2, v2, v3, vcc_lo
	v_sub_nc_u32_e32 v3, v2, v26
	v_cmp_ge_u32_e32 vcc_lo, v2, v26
	v_cndmask_b32_e32 v2, v2, v3, vcc_lo
	v_xor_b32_e32 v2, v2, v1
	v_sub_nc_u32_e32 v1, v2, v1
	v_cmp_eq_u32_e32 vcc_lo, 0, v1
	buffer_load_dword v1, off, s[0:3], s32 offset:204 ; 4-byte Folded Reload
	s_waitcnt vmcnt(0)
	v_cmp_gt_i32_e64 s4, v0, v1
	s_or_b32 s4, vcc_lo, s4
	s_and_saveexec_b32 s17, s4
	s_cbranch_execz .LBB279_930
; %bb.932:                              ;   in Loop: Header=BB279_931 Depth=1
	s_load_dword s4, s[8:9], 0x0
	flat_load_dword v9, v[7:8]
	v_mov_b32_e32 v36, 0
	v_mov_b32_e32 v37, 0
	s_waitcnt lgkmcnt(0)
	v_add_nc_u32_e32 v10, s4, v67
	ds_read2_b64 v[0:3], v10 offset1:1
	ds_read2_b64 v[32:35], v10 offset0:2 offset1:3
	s_waitcnt lgkmcnt(1)
	;;#ASMSTART
	v_cvt_f16_f32 v0, v0;

	;;#ASMEND
	buffer_load_dword v10, off, s[0:3], s32 offset:208 ; 4-byte Folded Reload
	;;#ASMSTART
	v_cvt_f16_f32 v1, v1;

	;;#ASMEND
	;;#ASMSTART
	v_cvt_f16_f32 v31, v2;

	;;#ASMEND
	;; [unrolled: 4-line block ×3, first 2 shown]
	s_waitcnt lgkmcnt(0)
	;;#ASMSTART
	v_cvt_f16_f32 v32, v32;

	;;#ASMEND
	;;#ASMSTART
	v_cvt_f16_f32 v18, v33;

	;;#ASMEND
	;; [unrolled: 4-line block ×4, first 2 shown]
	s_waitcnt vmcnt(0)
	v_mad_i64_i32 v[9:10], null, v9, v10, v[5:6]
	flat_load_dwordx2 v[11:12], v[9:10]
	flat_load_dword v35, v[56:57]
	s_waitcnt vmcnt(1) lgkmcnt(1)
	v_cmp_ne_u16_sdwa s18, v11, v4 src0_sel:BYTE_0 src1_sel:DWORD
	s_and_saveexec_b32 s4, s18
	s_cbranch_execz .LBB279_940
; %bb.933:                              ;   in Loop: Header=BB279_931 Depth=1
	v_cmp_ne_u16_sdwa s19, v11, v39 src0_sel:BYTE_0 src1_sel:DWORD
	v_mov_b32_e32 v37, 0x8000
	s_and_saveexec_b32 s18, s19
	s_cbranch_execz .LBB279_939
; %bb.934:                              ;   in Loop: Header=BB279_931 Depth=1
	v_and_b32_e32 v22, 0x7f, v11
	v_mov_b32_e32 v37, 0x7c01
	s_mov_b32 s19, exec_lo
	v_cmpx_ne_u32_e32 0x7f, v22
	s_cbranch_execz .LBB279_938
; %bb.935:                              ;   in Loop: Header=BB279_931 Depth=1
	v_and_b32_e32 v3, 7, v11
	v_lshrrev_b32_e32 v19, 3, v22
	s_mov_b32 s20, exec_lo
	v_cmpx_gt_u32_e32 8, v22
; %bb.936:                              ;   in Loop: Header=BB279_931 Depth=1
	v_ffbh_u32_e32 v3, v3
	v_min_u32_e32 v3, 32, v3
	v_subrev_nc_u32_e32 v19, 28, v3
	v_lshlrev_b64 v[22:23], v19, v[11:12]
	v_sub_nc_u32_e32 v19, 29, v3
	v_and_b32_e32 v3, 7, v22
; %bb.937:                              ;   in Loop: Header=BB279_931 Depth=1
	s_or_b32 exec_lo, exec_lo, s20
	v_lshlrev_b32_e32 v22, 8, v11
	v_lshl_add_u32 v19, v19, 10, 0x2000
	v_lshlrev_b32_e32 v3, 7, v3
	v_and_b32_e32 v22, 0x8000, v22
	v_and_b32_e32 v19, 0xfc00, v19
	v_or3_b32 v37, v22, v19, v3
.LBB279_938:                            ;   in Loop: Header=BB279_931 Depth=1
	s_or_b32 exec_lo, exec_lo, s19
.LBB279_939:                            ;   in Loop: Header=BB279_931 Depth=1
	s_or_b32 exec_lo, exec_lo, s18
.LBB279_940:                            ;   in Loop: Header=BB279_931 Depth=1
	s_or_b32 exec_lo, exec_lo, s4
	v_lshrrev_b16 v3, 8, v11
	s_mov_b32 s4, exec_lo
	v_cmpx_ne_u16_e32 0, v3
	s_cbranch_execz .LBB279_948
; %bb.941:                              ;   in Loop: Header=BB279_931 Depth=1
	v_bfrev_b32_e32 v36, 1
	s_mov_b32 s18, exec_lo
	v_cmpx_ne_u16_e32 0x80, v3
	s_cbranch_execz .LBB279_947
; %bb.942:                              ;   in Loop: Header=BB279_931 Depth=1
	v_and_b32_sdwa v23, v3, v48 dst_sel:DWORD dst_unused:UNUSED_PAD src0_sel:WORD_0 src1_sel:DWORD
	v_mov_b32_e32 v36, 0x7c010000
	s_mov_b32 s19, exec_lo
	v_cmpx_ne_u32_e32 0x7f, v23
	s_cbranch_execz .LBB279_946
; %bb.943:                              ;   in Loop: Header=BB279_931 Depth=1
	v_and_b32_sdwa v19, v3, v64 dst_sel:DWORD dst_unused:UNUSED_PAD src0_sel:WORD_0 src1_sel:DWORD
	v_lshrrev_b32_e32 v22, 3, v23
	s_mov_b32 s20, exec_lo
	v_cmpx_gt_u32_e32 8, v23
; %bb.944:                              ;   in Loop: Header=BB279_931 Depth=1
	v_ffbh_u32_e32 v19, v19
	v_min_u32_e32 v19, 32, v19
	v_subrev_nc_u32_e32 v22, 28, v19
	v_lshlrev_b64 v[69:70], v22, v[3:4]
	v_sub_nc_u32_e32 v22, 29, v19
	v_and_b32_e32 v19, 7, v69
; %bb.945:                              ;   in Loop: Header=BB279_931 Depth=1
	s_or_b32 exec_lo, exec_lo, s20
	v_lshlrev_b32_sdwa v3, v65, v3 dst_sel:DWORD dst_unused:UNUSED_PAD src0_sel:DWORD src1_sel:WORD_0
	v_lshl_add_u32 v22, v22, 10, 0x2000
	v_lshlrev_b32_e32 v19, 23, v19
	v_and_or_b32 v3, 0x8000, v3, v22
	v_lshl_or_b32 v36, v3, 16, v19
.LBB279_946:                            ;   in Loop: Header=BB279_931 Depth=1
	s_or_b32 exec_lo, exec_lo, s19
.LBB279_947:                            ;   in Loop: Header=BB279_931 Depth=1
	s_or_b32 exec_lo, exec_lo, s18
.LBB279_948:                            ;   in Loop: Header=BB279_931 Depth=1
	s_or_b32 exec_lo, exec_lo, s4
	v_lshrrev_b32_e32 v3, 16, v11
	v_mov_b32_e32 v70, 0
	v_mov_b32_e32 v69, 0
	v_cmp_ne_u16_sdwa s18, v3, v4 src0_sel:BYTE_0 src1_sel:DWORD
	s_and_saveexec_b32 s4, s18
	s_cbranch_execz .LBB279_956
; %bb.949:                              ;   in Loop: Header=BB279_931 Depth=1
	v_cmp_ne_u16_sdwa s19, v3, v39 src0_sel:BYTE_0 src1_sel:DWORD
	v_mov_b32_e32 v69, 0x8000
	s_and_saveexec_b32 s18, s19
	s_cbranch_execz .LBB279_955
; %bb.950:                              ;   in Loop: Header=BB279_931 Depth=1
	v_bfe_u32 v23, v11, 16, 7
	v_mov_b32_e32 v69, 0x7c01
	s_mov_b32 s19, exec_lo
	v_cmpx_ne_u32_e32 0x7f, v23
	s_cbranch_execz .LBB279_954
; %bb.951:                              ;   in Loop: Header=BB279_931 Depth=1
	v_and_b32_e32 v19, 7, v3
	v_lshrrev_b32_e32 v22, 3, v23
	s_mov_b32 s20, exec_lo
	v_cmpx_gt_u32_e32 8, v23
; %bb.952:                              ;   in Loop: Header=BB279_931 Depth=1
	v_ffbh_u32_e32 v19, v19
	v_min_u32_e32 v19, 32, v19
	v_subrev_nc_u32_e32 v22, 28, v19
	v_lshlrev_b64 v[80:81], v22, v[3:4]
	v_sub_nc_u32_e32 v22, 29, v19
	v_and_b32_e32 v19, 7, v80
; %bb.953:                              ;   in Loop: Header=BB279_931 Depth=1
	s_or_b32 exec_lo, exec_lo, s20
	v_lshlrev_b32_e32 v3, 8, v3
	v_lshl_add_u32 v22, v22, 10, 0x2000
	v_lshlrev_b32_e32 v19, 7, v19
	v_and_b32_e32 v3, 0x8000, v3
	v_and_b32_e32 v22, 0xfc00, v22
	v_or3_b32 v69, v3, v22, v19
.LBB279_954:                            ;   in Loop: Header=BB279_931 Depth=1
	s_or_b32 exec_lo, exec_lo, s19
.LBB279_955:                            ;   in Loop: Header=BB279_931 Depth=1
	s_or_b32 exec_lo, exec_lo, s18
.LBB279_956:                            ;   in Loop: Header=BB279_931 Depth=1
	s_or_b32 exec_lo, exec_lo, s4
	s_mov_b32 s4, exec_lo
	v_cmpx_lt_u32_e32 0xffffff, v11
	s_cbranch_execz .LBB279_964
; %bb.957:                              ;   in Loop: Header=BB279_931 Depth=1
	v_lshrrev_b32_e32 v3, 24, v11
	v_bfrev_b32_e32 v70, 1
	s_mov_b32 s18, exec_lo
	v_cmpx_ne_u32_e32 0x80, v3
	s_cbranch_execz .LBB279_963
; %bb.958:                              ;   in Loop: Header=BB279_931 Depth=1
	v_and_b32_e32 v23, 0x7f, v3
	v_mov_b32_e32 v70, 0x7c010000
	s_mov_b32 s19, exec_lo
	v_cmpx_ne_u32_e32 0x7f, v23
	s_cbranch_execz .LBB279_962
; %bb.959:                              ;   in Loop: Header=BB279_931 Depth=1
	v_and_b32_e32 v19, 7, v3
	v_lshrrev_b32_e32 v22, 3, v23
	s_mov_b32 s20, exec_lo
	v_cmpx_gt_u32_e32 8, v23
; %bb.960:                              ;   in Loop: Header=BB279_931 Depth=1
	v_ffbh_u32_e32 v19, v19
	v_min_u32_e32 v19, 32, v19
	v_subrev_nc_u32_e32 v22, 28, v19
	v_lshlrev_b64 v[70:71], v22, v[3:4]
	v_sub_nc_u32_e32 v22, 29, v19
	v_and_b32_e32 v19, 7, v70
; %bb.961:                              ;   in Loop: Header=BB279_931 Depth=1
	s_or_b32 exec_lo, exec_lo, s20
	v_lshlrev_b32_e32 v3, 8, v3
	v_lshl_add_u32 v22, v22, 10, 0x2000
	v_lshlrev_b32_e32 v19, 23, v19
	v_and_or_b32 v3, 0x8000, v3, v22
	v_lshl_or_b32 v70, v3, 16, v19
.LBB279_962:                            ;   in Loop: Header=BB279_931 Depth=1
	s_or_b32 exec_lo, exec_lo, s19
.LBB279_963:                            ;   in Loop: Header=BB279_931 Depth=1
	s_or_b32 exec_lo, exec_lo, s18
.LBB279_964:                            ;   in Loop: Header=BB279_931 Depth=1
	s_or_b32 exec_lo, exec_lo, s4
	v_mov_b32_e32 v3, v12
	v_cmp_ne_u16_sdwa s18, v12, v4 src0_sel:BYTE_0 src1_sel:DWORD
	v_mov_b32_e32 v33, 0
	v_mov_b32_e32 v23, 0
	s_and_saveexec_b32 s4, s18
	s_cbranch_execz .LBB279_972
; %bb.965:                              ;   in Loop: Header=BB279_931 Depth=1
	v_cmp_ne_u16_sdwa s19, v12, v39 src0_sel:BYTE_0 src1_sel:DWORD
	v_mov_b32_e32 v23, 0x8000
	s_and_saveexec_b32 s18, s19
	s_cbranch_execz .LBB279_971
; %bb.966:                              ;   in Loop: Header=BB279_931 Depth=1
	v_and_b32_e32 v71, 0x7f, v12
	v_mov_b32_e32 v23, 0x7c01
	s_mov_b32 s19, exec_lo
	v_cmpx_ne_u32_e32 0x7f, v71
	s_cbranch_execz .LBB279_970
; %bb.967:                              ;   in Loop: Header=BB279_931 Depth=1
	v_and_b32_e32 v19, 7, v12
	v_lshrrev_b32_e32 v22, 3, v71
	s_mov_b32 s20, exec_lo
	v_cmpx_gt_u32_e32 8, v71
; %bb.968:                              ;   in Loop: Header=BB279_931 Depth=1
	v_ffbh_u32_e32 v19, v19
	v_min_u32_e32 v19, 32, v19
	v_subrev_nc_u32_e32 v22, 28, v19
	v_lshlrev_b64 v[80:81], v22, v[3:4]
	v_sub_nc_u32_e32 v22, 29, v19
	v_and_b32_e32 v19, 7, v80
; %bb.969:                              ;   in Loop: Header=BB279_931 Depth=1
	s_or_b32 exec_lo, exec_lo, s20
	v_lshlrev_b32_e32 v23, 8, v12
	v_lshl_add_u32 v22, v22, 10, 0x2000
	v_lshlrev_b32_e32 v19, 7, v19
	v_and_b32_e32 v23, 0x8000, v23
	v_and_b32_e32 v22, 0xfc00, v22
	v_or3_b32 v23, v23, v22, v19
.LBB279_970:                            ;   in Loop: Header=BB279_931 Depth=1
	s_or_b32 exec_lo, exec_lo, s19
.LBB279_971:                            ;   in Loop: Header=BB279_931 Depth=1
	s_or_b32 exec_lo, exec_lo, s18
.LBB279_972:                            ;   in Loop: Header=BB279_931 Depth=1
	s_or_b32 exec_lo, exec_lo, s4
	v_lshrrev_b16 v3, 8, v3
	v_mov_b32_e32 v19, 0
	s_mov_b32 s4, exec_lo
	v_cmpx_ne_u16_e32 0, v3
	s_cbranch_execz .LBB279_980
; %bb.973:                              ;   in Loop: Header=BB279_931 Depth=1
	v_bfrev_b32_e32 v19, 1
	s_mov_b32 s18, exec_lo
	v_cmpx_ne_u16_e32 0x80, v3
	s_cbranch_execz .LBB279_979
; %bb.974:                              ;   in Loop: Header=BB279_931 Depth=1
	v_and_b32_sdwa v71, v3, v48 dst_sel:DWORD dst_unused:UNUSED_PAD src0_sel:WORD_0 src1_sel:DWORD
	v_mov_b32_e32 v19, 0x7c010000
	s_mov_b32 s19, exec_lo
	v_cmpx_ne_u32_e32 0x7f, v71
	s_cbranch_execz .LBB279_978
; %bb.975:                              ;   in Loop: Header=BB279_931 Depth=1
	v_and_b32_sdwa v19, v3, v64 dst_sel:DWORD dst_unused:UNUSED_PAD src0_sel:WORD_0 src1_sel:DWORD
	v_lshrrev_b32_e32 v22, 3, v71
	s_mov_b32 s20, exec_lo
	v_cmpx_gt_u32_e32 8, v71
; %bb.976:                              ;   in Loop: Header=BB279_931 Depth=1
	v_ffbh_u32_e32 v19, v19
	v_min_u32_e32 v19, 32, v19
	v_subrev_nc_u32_e32 v22, 28, v19
	v_lshlrev_b64 v[80:81], v22, v[3:4]
	v_sub_nc_u32_e32 v22, 29, v19
	v_and_b32_e32 v19, 7, v80
; %bb.977:                              ;   in Loop: Header=BB279_931 Depth=1
	s_or_b32 exec_lo, exec_lo, s20
	v_lshlrev_b32_sdwa v3, v65, v3 dst_sel:DWORD dst_unused:UNUSED_PAD src0_sel:DWORD src1_sel:WORD_0
	v_lshl_add_u32 v22, v22, 10, 0x2000
	v_lshlrev_b32_e32 v19, 23, v19
	v_and_or_b32 v3, 0x8000, v3, v22
	v_lshl_or_b32 v19, v3, 16, v19
.LBB279_978:                            ;   in Loop: Header=BB279_931 Depth=1
	s_or_b32 exec_lo, exec_lo, s19
.LBB279_979:                            ;   in Loop: Header=BB279_931 Depth=1
	s_or_b32 exec_lo, exec_lo, s18
.LBB279_980:                            ;   in Loop: Header=BB279_931 Depth=1
	s_or_b32 exec_lo, exec_lo, s4
	v_lshrrev_b32_e32 v3, 16, v12
	v_cmp_ne_u16_sdwa s18, v3, v4 src0_sel:BYTE_0 src1_sel:DWORD
	s_and_saveexec_b32 s4, s18
	s_cbranch_execz .LBB279_988
; %bb.981:                              ;   in Loop: Header=BB279_931 Depth=1
	v_cmp_ne_u16_sdwa s19, v3, v39 src0_sel:BYTE_0 src1_sel:DWORD
	v_mov_b32_e32 v33, 0x8000
	s_and_saveexec_b32 s18, s19
	s_cbranch_execz .LBB279_987
; %bb.982:                              ;   in Loop: Header=BB279_931 Depth=1
	v_bfe_u32 v71, v12, 16, 7
	v_mov_b32_e32 v33, 0x7c01
	s_mov_b32 s19, exec_lo
	v_cmpx_ne_u32_e32 0x7f, v71
	s_cbranch_execz .LBB279_986
; %bb.983:                              ;   in Loop: Header=BB279_931 Depth=1
	v_and_b32_e32 v22, 7, v3
	v_lshrrev_b32_e32 v33, 3, v71
	s_mov_b32 s20, exec_lo
	v_cmpx_gt_u32_e32 8, v71
; %bb.984:                              ;   in Loop: Header=BB279_931 Depth=1
	v_ffbh_u32_e32 v22, v22
	v_min_u32_e32 v22, 32, v22
	v_subrev_nc_u32_e32 v33, 28, v22
	v_lshlrev_b64 v[80:81], v33, v[3:4]
	v_sub_nc_u32_e32 v33, 29, v22
	v_and_b32_e32 v22, 7, v80
; %bb.985:                              ;   in Loop: Header=BB279_931 Depth=1
	s_or_b32 exec_lo, exec_lo, s20
	v_lshlrev_b32_e32 v3, 8, v3
	v_lshl_add_u32 v33, v33, 10, 0x2000
	v_lshlrev_b32_e32 v22, 7, v22
	v_and_b32_e32 v3, 0x8000, v3
	v_and_b32_e32 v33, 0xfc00, v33
	v_or3_b32 v33, v3, v33, v22
.LBB279_986:                            ;   in Loop: Header=BB279_931 Depth=1
	s_or_b32 exec_lo, exec_lo, s19
.LBB279_987:                            ;   in Loop: Header=BB279_931 Depth=1
	s_or_b32 exec_lo, exec_lo, s18
.LBB279_988:                            ;   in Loop: Header=BB279_931 Depth=1
	s_or_b32 exec_lo, exec_lo, s4
	v_cmp_lt_u64_e32 vcc_lo, s[6:7], v[11:12]
	v_mov_b32_e32 v11, 0
	s_and_saveexec_b32 s4, vcc_lo
	s_cbranch_execz .LBB279_996
; %bb.989:                              ;   in Loop: Header=BB279_931 Depth=1
	v_lshrrev_b32_e32 v3, 24, v12
	v_bfrev_b32_e32 v11, 1
	s_mov_b32 s18, exec_lo
	v_cmpx_ne_u32_e32 0x80, v3
	s_cbranch_execz .LBB279_995
; %bb.990:                              ;   in Loop: Header=BB279_931 Depth=1
	v_and_b32_e32 v22, 0x7f, v3
	v_mov_b32_e32 v11, 0x7c010000
	s_mov_b32 s19, exec_lo
	v_cmpx_ne_u32_e32 0x7f, v22
	s_cbranch_execz .LBB279_994
; %bb.991:                              ;   in Loop: Header=BB279_931 Depth=1
	v_and_b32_e32 v11, 7, v3
	v_lshrrev_b32_e32 v12, 3, v22
	s_mov_b32 s20, exec_lo
	v_cmpx_gt_u32_e32 8, v22
; %bb.992:                              ;   in Loop: Header=BB279_931 Depth=1
	v_ffbh_u32_e32 v11, v11
	v_min_u32_e32 v22, 32, v11
	v_subrev_nc_u32_e32 v11, 28, v22
	v_lshlrev_b64 v[11:12], v11, v[3:4]
	v_sub_nc_u32_e32 v12, 29, v22
	v_and_b32_e32 v11, 7, v11
; %bb.993:                              ;   in Loop: Header=BB279_931 Depth=1
	s_or_b32 exec_lo, exec_lo, s20
	v_lshlrev_b32_e32 v3, 8, v3
	v_lshl_add_u32 v12, v12, 10, 0x2000
	v_lshlrev_b32_e32 v11, 23, v11
	v_and_or_b32 v3, 0x8000, v3, v12
	v_lshl_or_b32 v11, v3, 16, v11
.LBB279_994:                            ;   in Loop: Header=BB279_931 Depth=1
	s_or_b32 exec_lo, exec_lo, s19
.LBB279_995:                            ;   in Loop: Header=BB279_931 Depth=1
	s_or_b32 exec_lo, exec_lo, s18
.LBB279_996:                            ;   in Loop: Header=BB279_931 Depth=1
	s_or_b32 exec_lo, exec_lo, s4
	v_or_b32_e32 v3, v70, v69
	s_waitcnt vmcnt(0) lgkmcnt(0)
	v_fma_mixlo_f16 v12, v35, v70, 0 op_sel:[0,1,0] op_sel_hi:[0,1,0]
	v_or_b32_e32 v22, v36, v37
	v_or_b32_e32 v23, v19, v23
	;; [unrolled: 1-line block ×3, first 2 shown]
	v_fma_mixlo_f16 v3, v35, v3, 0 op_sel_hi:[0,1,0]
	v_fma_mixlo_f16 v36, v35, v36, 0 op_sel:[0,1,0] op_sel_hi:[0,1,0]
	v_fma_mixlo_f16 v19, v35, v19, 0 op_sel:[0,1,0] op_sel_hi:[0,1,0]
	;; [unrolled: 1-line block ×3, first 2 shown]
	v_add_nc_u32_e32 v69, v66, v61
	v_and_b32_e32 v33, 0xffff, v3
	v_fma_mixlo_f16 v3, v35, v22, 0 op_sel_hi:[0,1,0]
	v_fma_mixlo_f16 v22, v35, v23, 0 op_sel_hi:[0,1,0]
	;; [unrolled: 1-line block ×3, first 2 shown]
	v_lshlrev_b32_e32 v12, 16, v12
	v_lshlrev_b32_e32 v37, 16, v36
	v_and_b32_e32 v71, 0xffff, v3
	v_lshlrev_b32_e32 v35, 16, v19
	v_and_b32_e32 v70, 0xffff, v22
	v_lshlrev_b32_e32 v22, 16, v11
	v_and_b32_e32 v36, 0xffff, v23
	v_cmp_eq_u32_e32 vcc_lo, v38, v68
	v_or_b32_e32 v3, v12, v33
	v_or_b32_e32 v11, v37, v71
	;; [unrolled: 1-line block ×4, first 2 shown]
	v_add_nc_u32_e32 v98, 1, v69
	v_add_nc_u32_e32 v97, 2, v69
	;; [unrolled: 1-line block ×7, first 2 shown]
	s_and_saveexec_b32 s18, vcc_lo
	s_cbranch_execz .LBB279_998
; %bb.997:                              ;   in Loop: Header=BB279_931 Depth=1
	v_cmp_lt_i32_e64 s4, v69, v30
	v_cndmask_b32_e64 v3, 0, v71, s4
	v_cmp_lt_i32_e64 s4, v98, v30
	v_cndmask_b32_e64 v11, 0, v37, s4
	v_cmp_lt_i32_e64 s4, v97, v30
	v_or_b32_e32 v11, v3, v11
	v_cndmask_b32_e64 v19, 0, v33, s4
	v_cmp_lt_i32_e64 s4, v96, v30
	v_cndmask_b32_e64 v12, 0, v12, s4
	v_cmp_lt_i32_e64 s4, v87, v30
	v_or_b32_e32 v3, v19, v12
	;; [unrolled: 5-line block ×3, first 2 shown]
	v_cndmask_b32_e64 v35, 0, v36, s4
	v_cmp_lt_i32_e64 s4, v84, v30
	v_cndmask_b32_e64 v22, 0, v22, s4
	v_or_b32_e32 v23, v35, v22
.LBB279_998:                            ;   in Loop: Header=BB279_931 Depth=1
	s_or_b32 exec_lo, exec_lo, s18
	v_and_b32_e32 v0, 0xffff, v0
	v_and_b32_e32 v12, 0xffff, v31
	;; [unrolled: 1-line block ×4, first 2 shown]
	v_lshl_or_b32 v83, v1, 16, v0
	;;#ASMSTART
	v_pk_mul_f16 v0, v83, v11;

	;;#ASMEND
	v_lshl_or_b32 v82, v2, 16, v12
	v_lshl_or_b32 v81, v18, 16, v22
	;; [unrolled: 1-line block ×3, first 2 shown]
	;;#ASMSTART
	v_pk_mul_f16 v1, v82, v3;

	;;#ASMEND
	;;#ASMSTART
	v_pk_mul_f16 v2, v81, v19;

	;;#ASMEND
	;;#ASMSTART
	v_pk_mul_f16 v3, v80, v23;

	;;#ASMEND
	;;#ASMSTART
	v_pk_add_f16 v0, v0, v1;

	;;#ASMEND
	;;#ASMSTART
	v_pk_add_f16 v0, v0, v2;

	;;#ASMEND
	;; [unrolled: 4-line block ×3, first 2 shown]
	v_and_b32_e32 v1, 0xffff, v0
	v_lshrrev_b32_e32 v0, 16, v0
	;;#ASMSTART
	v_cvt_f32_f16 v70, v1;
	;;#ASMEND
	;;#ASMSTART
	v_cvt_f32_f16 v71, v0;
	;;#ASMEND
	flat_load_dwordx2 v[11:12], v[9:10] offset:256
	flat_load_dword v0, v[56:57]
	v_mov_b32_e32 v1, 0
	v_mov_b32_e32 v2, 0
	s_waitcnt vmcnt(1) lgkmcnt(1)
	v_cmp_ne_u16_sdwa s4, v11, v4 src0_sel:BYTE_0 src1_sel:DWORD
	s_and_saveexec_b32 s18, s4
	s_cbranch_execz .LBB279_1006
; %bb.999:                              ;   in Loop: Header=BB279_931 Depth=1
	v_cmp_ne_u16_sdwa s4, v11, v39 src0_sel:BYTE_0 src1_sel:DWORD
	v_mov_b32_e32 v2, 0x8000
	s_and_saveexec_b32 s19, s4
	s_cbranch_execz .LBB279_1005
; %bb.1000:                             ;   in Loop: Header=BB279_931 Depth=1
	v_and_b32_e32 v18, 0x7f, v11
	v_mov_b32_e32 v2, 0x7c01
	s_mov_b32 s20, exec_lo
	v_cmpx_ne_u32_e32 0x7f, v18
	s_cbranch_execz .LBB279_1004
; %bb.1001:                             ;   in Loop: Header=BB279_931 Depth=1
	v_and_b32_e32 v2, 7, v11
	v_lshrrev_b32_e32 v3, 3, v18
	s_mov_b32 s21, exec_lo
	v_cmpx_gt_u32_e32 8, v18
; %bb.1002:                             ;   in Loop: Header=BB279_931 Depth=1
	v_ffbh_u32_e32 v2, v2
	v_min_u32_e32 v18, 32, v2
	v_subrev_nc_u32_e32 v2, 28, v18
	v_lshlrev_b64 v[2:3], v2, v[11:12]
	v_sub_nc_u32_e32 v3, 29, v18
	v_and_b32_e32 v2, 7, v2
; %bb.1003:                             ;   in Loop: Header=BB279_931 Depth=1
	s_or_b32 exec_lo, exec_lo, s21
	v_lshlrev_b32_e32 v18, 8, v11
	v_lshl_add_u32 v3, v3, 10, 0x2000
	v_lshlrev_b32_e32 v2, 7, v2
	v_and_b32_e32 v18, 0x8000, v18
	v_and_b32_e32 v3, 0xfc00, v3
	v_or3_b32 v2, v18, v3, v2
.LBB279_1004:                           ;   in Loop: Header=BB279_931 Depth=1
	s_or_b32 exec_lo, exec_lo, s20
.LBB279_1005:                           ;   in Loop: Header=BB279_931 Depth=1
	s_or_b32 exec_lo, exec_lo, s19
.LBB279_1006:                           ;   in Loop: Header=BB279_931 Depth=1
	s_or_b32 exec_lo, exec_lo, s18
	v_lshrrev_b16 v3, 8, v11
	s_mov_b32 s18, exec_lo
	v_cmpx_ne_u16_e32 0, v3
	s_cbranch_execz .LBB279_1014
; %bb.1007:                             ;   in Loop: Header=BB279_931 Depth=1
	v_bfrev_b32_e32 v1, 1
	s_mov_b32 s19, exec_lo
	v_cmpx_ne_u16_e32 0x80, v3
	s_cbranch_execz .LBB279_1013
; %bb.1008:                             ;   in Loop: Header=BB279_931 Depth=1
	v_and_b32_sdwa v19, v3, v48 dst_sel:DWORD dst_unused:UNUSED_PAD src0_sel:WORD_0 src1_sel:DWORD
	v_mov_b32_e32 v1, 0x7c010000
	s_mov_b32 s20, exec_lo
	v_cmpx_ne_u32_e32 0x7f, v19
	s_cbranch_execz .LBB279_1012
; %bb.1009:                             ;   in Loop: Header=BB279_931 Depth=1
	v_and_b32_sdwa v1, v3, v64 dst_sel:DWORD dst_unused:UNUSED_PAD src0_sel:WORD_0 src1_sel:DWORD
	v_lshrrev_b32_e32 v18, 3, v19
	s_mov_b32 s21, exec_lo
	v_cmpx_gt_u32_e32 8, v19
; %bb.1010:                             ;   in Loop: Header=BB279_931 Depth=1
	v_ffbh_u32_e32 v1, v1
	v_min_u32_e32 v1, 32, v1
	v_subrev_nc_u32_e32 v18, 28, v1
	v_lshlrev_b64 v[22:23], v18, v[3:4]
	v_sub_nc_u32_e32 v18, 29, v1
	v_and_b32_e32 v1, 7, v22
; %bb.1011:                             ;   in Loop: Header=BB279_931 Depth=1
	s_or_b32 exec_lo, exec_lo, s21
	v_lshlrev_b32_sdwa v3, v65, v3 dst_sel:DWORD dst_unused:UNUSED_PAD src0_sel:DWORD src1_sel:WORD_0
	v_lshl_add_u32 v18, v18, 10, 0x2000
	v_lshlrev_b32_e32 v1, 23, v1
	v_and_or_b32 v3, 0x8000, v3, v18
	v_lshl_or_b32 v1, v3, 16, v1
.LBB279_1012:                           ;   in Loop: Header=BB279_931 Depth=1
	s_or_b32 exec_lo, exec_lo, s20
.LBB279_1013:                           ;   in Loop: Header=BB279_931 Depth=1
	s_or_b32 exec_lo, exec_lo, s19
.LBB279_1014:                           ;   in Loop: Header=BB279_931 Depth=1
	s_or_b32 exec_lo, exec_lo, s18
	v_lshrrev_b32_e32 v3, 16, v11
	v_mov_b32_e32 v18, 0
	v_mov_b32_e32 v29, 0
	v_cmp_ne_u16_sdwa s4, v3, v4 src0_sel:BYTE_0 src1_sel:DWORD
	s_and_saveexec_b32 s18, s4
	s_cbranch_execz .LBB279_1022
; %bb.1015:                             ;   in Loop: Header=BB279_931 Depth=1
	v_cmp_ne_u16_sdwa s4, v3, v39 src0_sel:BYTE_0 src1_sel:DWORD
	v_mov_b32_e32 v29, 0x8000
	s_and_saveexec_b32 s19, s4
	s_cbranch_execz .LBB279_1021
; %bb.1016:                             ;   in Loop: Header=BB279_931 Depth=1
	v_bfe_u32 v23, v11, 16, 7
	v_mov_b32_e32 v29, 0x7c01
	s_mov_b32 s20, exec_lo
	v_cmpx_ne_u32_e32 0x7f, v23
	s_cbranch_execz .LBB279_1020
; %bb.1017:                             ;   in Loop: Header=BB279_931 Depth=1
	v_and_b32_e32 v19, 7, v3
	v_lshrrev_b32_e32 v22, 3, v23
	s_mov_b32 s21, exec_lo
	v_cmpx_gt_u32_e32 8, v23
; %bb.1018:                             ;   in Loop: Header=BB279_931 Depth=1
	v_ffbh_u32_e32 v19, v19
	v_min_u32_e32 v19, 32, v19
	v_subrev_nc_u32_e32 v22, 28, v19
	v_lshlrev_b64 v[31:32], v22, v[3:4]
	v_sub_nc_u32_e32 v22, 29, v19
	v_and_b32_e32 v19, 7, v31
; %bb.1019:                             ;   in Loop: Header=BB279_931 Depth=1
	s_or_b32 exec_lo, exec_lo, s21
	v_lshlrev_b32_e32 v3, 8, v3
	v_lshl_add_u32 v22, v22, 10, 0x2000
	v_lshlrev_b32_e32 v19, 7, v19
	v_and_b32_e32 v3, 0x8000, v3
	v_and_b32_e32 v22, 0xfc00, v22
	v_or3_b32 v29, v3, v22, v19
.LBB279_1020:                           ;   in Loop: Header=BB279_931 Depth=1
	s_or_b32 exec_lo, exec_lo, s20
.LBB279_1021:                           ;   in Loop: Header=BB279_931 Depth=1
	s_or_b32 exec_lo, exec_lo, s19
.LBB279_1022:                           ;   in Loop: Header=BB279_931 Depth=1
	s_or_b32 exec_lo, exec_lo, s18
	s_mov_b32 s18, exec_lo
	v_cmpx_lt_u32_e32 0xffffff, v11
	s_cbranch_execz .LBB279_1030
; %bb.1023:                             ;   in Loop: Header=BB279_931 Depth=1
	v_lshrrev_b32_e32 v3, 24, v11
	v_bfrev_b32_e32 v18, 1
	s_mov_b32 s19, exec_lo
	v_cmpx_ne_u32_e32 0x80, v3
	s_cbranch_execz .LBB279_1029
; %bb.1024:                             ;   in Loop: Header=BB279_931 Depth=1
	v_and_b32_e32 v22, 0x7f, v3
	v_mov_b32_e32 v18, 0x7c010000
	s_mov_b32 s20, exec_lo
	v_cmpx_ne_u32_e32 0x7f, v22
	s_cbranch_execz .LBB279_1028
; %bb.1025:                             ;   in Loop: Header=BB279_931 Depth=1
	v_and_b32_e32 v18, 7, v3
	v_lshrrev_b32_e32 v19, 3, v22
	s_mov_b32 s21, exec_lo
	v_cmpx_gt_u32_e32 8, v22
; %bb.1026:                             ;   in Loop: Header=BB279_931 Depth=1
	v_ffbh_u32_e32 v18, v18
	v_min_u32_e32 v22, 32, v18
	v_subrev_nc_u32_e32 v18, 28, v22
	v_lshlrev_b64 v[18:19], v18, v[3:4]
	v_sub_nc_u32_e32 v19, 29, v22
	v_and_b32_e32 v18, 7, v18
; %bb.1027:                             ;   in Loop: Header=BB279_931 Depth=1
	s_or_b32 exec_lo, exec_lo, s21
	v_lshlrev_b32_e32 v3, 8, v3
	v_lshl_add_u32 v19, v19, 10, 0x2000
	v_lshlrev_b32_e32 v18, 23, v18
	v_and_or_b32 v3, 0x8000, v3, v19
	v_lshl_or_b32 v18, v3, 16, v18
.LBB279_1028:                           ;   in Loop: Header=BB279_931 Depth=1
	s_or_b32 exec_lo, exec_lo, s20
.LBB279_1029:                           ;   in Loop: Header=BB279_931 Depth=1
	s_or_b32 exec_lo, exec_lo, s19
.LBB279_1030:                           ;   in Loop: Header=BB279_931 Depth=1
	s_or_b32 exec_lo, exec_lo, s18
	v_mov_b32_e32 v3, v12
	v_cmp_ne_u16_sdwa s4, v12, v4 src0_sel:BYTE_0 src1_sel:DWORD
	v_mov_b32_e32 v23, 0
	v_mov_b32_e32 v19, 0
	s_and_saveexec_b32 s18, s4
	s_cbranch_execz .LBB279_1038
; %bb.1031:                             ;   in Loop: Header=BB279_931 Depth=1
	v_cmp_ne_u16_sdwa s4, v12, v39 src0_sel:BYTE_0 src1_sel:DWORD
	v_mov_b32_e32 v19, 0x8000
	s_and_saveexec_b32 s19, s4
	s_cbranch_execz .LBB279_1037
; %bb.1032:                             ;   in Loop: Header=BB279_931 Depth=1
	v_and_b32_e32 v31, 0x7f, v12
	v_mov_b32_e32 v19, 0x7c01
	s_mov_b32 s20, exec_lo
	v_cmpx_ne_u32_e32 0x7f, v31
	s_cbranch_execz .LBB279_1036
; %bb.1033:                             ;   in Loop: Header=BB279_931 Depth=1
	v_and_b32_e32 v19, 7, v12
	v_lshrrev_b32_e32 v22, 3, v31
	s_mov_b32 s21, exec_lo
	v_cmpx_gt_u32_e32 8, v31
; %bb.1034:                             ;   in Loop: Header=BB279_931 Depth=1
	v_ffbh_u32_e32 v19, v19
	v_min_u32_e32 v19, 32, v19
	v_subrev_nc_u32_e32 v22, 28, v19
	v_lshlrev_b64 v[31:32], v22, v[3:4]
	v_sub_nc_u32_e32 v22, 29, v19
	v_and_b32_e32 v19, 7, v31
; %bb.1035:                             ;   in Loop: Header=BB279_931 Depth=1
	s_or_b32 exec_lo, exec_lo, s21
	v_lshlrev_b32_e32 v31, 8, v12
	v_lshl_add_u32 v22, v22, 10, 0x2000
	v_lshlrev_b32_e32 v19, 7, v19
	v_and_b32_e32 v31, 0x8000, v31
	v_and_b32_e32 v22, 0xfc00, v22
	v_or3_b32 v19, v31, v22, v19
.LBB279_1036:                           ;   in Loop: Header=BB279_931 Depth=1
	s_or_b32 exec_lo, exec_lo, s20
.LBB279_1037:                           ;   in Loop: Header=BB279_931 Depth=1
	s_or_b32 exec_lo, exec_lo, s19
.LBB279_1038:                           ;   in Loop: Header=BB279_931 Depth=1
	s_or_b32 exec_lo, exec_lo, s18
	v_lshrrev_b16 v3, 8, v3
	v_mov_b32_e32 v22, 0
	s_mov_b32 s18, exec_lo
	v_cmpx_ne_u16_e32 0, v3
	s_cbranch_execz .LBB279_1046
; %bb.1039:                             ;   in Loop: Header=BB279_931 Depth=1
	v_bfrev_b32_e32 v22, 1
	s_mov_b32 s19, exec_lo
	v_cmpx_ne_u16_e32 0x80, v3
	s_cbranch_execz .LBB279_1045
; %bb.1040:                             ;   in Loop: Header=BB279_931 Depth=1
	v_and_b32_sdwa v32, v3, v48 dst_sel:DWORD dst_unused:UNUSED_PAD src0_sel:WORD_0 src1_sel:DWORD
	v_mov_b32_e32 v22, 0x7c010000
	s_mov_b32 s20, exec_lo
	v_cmpx_ne_u32_e32 0x7f, v32
	s_cbranch_execz .LBB279_1044
; %bb.1041:                             ;   in Loop: Header=BB279_931 Depth=1
	v_and_b32_sdwa v22, v3, v64 dst_sel:DWORD dst_unused:UNUSED_PAD src0_sel:WORD_0 src1_sel:DWORD
	v_lshrrev_b32_e32 v31, 3, v32
	s_mov_b32 s21, exec_lo
	v_cmpx_gt_u32_e32 8, v32
; %bb.1042:                             ;   in Loop: Header=BB279_931 Depth=1
	v_ffbh_u32_e32 v22, v22
	v_min_u32_e32 v22, 32, v22
	v_subrev_nc_u32_e32 v31, 28, v22
	v_lshlrev_b64 v[32:33], v31, v[3:4]
	v_sub_nc_u32_e32 v31, 29, v22
	v_and_b32_e32 v22, 7, v32
; %bb.1043:                             ;   in Loop: Header=BB279_931 Depth=1
	s_or_b32 exec_lo, exec_lo, s21
	v_lshlrev_b32_sdwa v3, v65, v3 dst_sel:DWORD dst_unused:UNUSED_PAD src0_sel:DWORD src1_sel:WORD_0
	v_lshl_add_u32 v31, v31, 10, 0x2000
	v_lshlrev_b32_e32 v22, 23, v22
	v_and_or_b32 v3, 0x8000, v3, v31
	v_lshl_or_b32 v22, v3, 16, v22
.LBB279_1044:                           ;   in Loop: Header=BB279_931 Depth=1
	s_or_b32 exec_lo, exec_lo, s20
.LBB279_1045:                           ;   in Loop: Header=BB279_931 Depth=1
	s_or_b32 exec_lo, exec_lo, s19
.LBB279_1046:                           ;   in Loop: Header=BB279_931 Depth=1
	s_or_b32 exec_lo, exec_lo, s18
	v_lshrrev_b32_e32 v3, 16, v12
	v_cmp_ne_u16_sdwa s4, v3, v4 src0_sel:BYTE_0 src1_sel:DWORD
	s_and_saveexec_b32 s18, s4
	s_cbranch_execz .LBB279_1054
; %bb.1047:                             ;   in Loop: Header=BB279_931 Depth=1
	v_cmp_ne_u16_sdwa s4, v3, v39 src0_sel:BYTE_0 src1_sel:DWORD
	v_mov_b32_e32 v23, 0x8000
	s_and_saveexec_b32 s19, s4
	s_cbranch_execz .LBB279_1053
; %bb.1048:                             ;   in Loop: Header=BB279_931 Depth=1
	v_bfe_u32 v32, v12, 16, 7
	v_mov_b32_e32 v23, 0x7c01
	s_mov_b32 s20, exec_lo
	v_cmpx_ne_u32_e32 0x7f, v32
	s_cbranch_execz .LBB279_1052
; %bb.1049:                             ;   in Loop: Header=BB279_931 Depth=1
	v_and_b32_e32 v23, 7, v3
	v_lshrrev_b32_e32 v31, 3, v32
	s_mov_b32 s21, exec_lo
	v_cmpx_gt_u32_e32 8, v32
; %bb.1050:                             ;   in Loop: Header=BB279_931 Depth=1
	v_ffbh_u32_e32 v23, v23
	v_min_u32_e32 v23, 32, v23
	v_subrev_nc_u32_e32 v31, 28, v23
	v_lshlrev_b64 v[32:33], v31, v[3:4]
	v_sub_nc_u32_e32 v31, 29, v23
	v_and_b32_e32 v23, 7, v32
; %bb.1051:                             ;   in Loop: Header=BB279_931 Depth=1
	s_or_b32 exec_lo, exec_lo, s21
	v_lshlrev_b32_e32 v3, 8, v3
	v_lshl_add_u32 v31, v31, 10, 0x2000
	v_lshlrev_b32_e32 v23, 7, v23
	v_and_b32_e32 v3, 0x8000, v3
	v_and_b32_e32 v31, 0xfc00, v31
	v_or3_b32 v23, v3, v31, v23
.LBB279_1052:                           ;   in Loop: Header=BB279_931 Depth=1
	s_or_b32 exec_lo, exec_lo, s20
.LBB279_1053:                           ;   in Loop: Header=BB279_931 Depth=1
	s_or_b32 exec_lo, exec_lo, s19
.LBB279_1054:                           ;   in Loop: Header=BB279_931 Depth=1
	s_or_b32 exec_lo, exec_lo, s18
	v_cmp_lt_u64_e64 s4, s[6:7], v[11:12]
	v_mov_b32_e32 v11, 0
	s_and_saveexec_b32 s18, s4
	s_cbranch_execz .LBB279_1062
; %bb.1055:                             ;   in Loop: Header=BB279_931 Depth=1
	v_lshrrev_b32_e32 v3, 24, v12
	v_bfrev_b32_e32 v11, 1
	s_mov_b32 s19, exec_lo
	v_cmpx_ne_u32_e32 0x80, v3
	s_cbranch_execz .LBB279_1061
; %bb.1056:                             ;   in Loop: Header=BB279_931 Depth=1
	v_and_b32_e32 v31, 0x7f, v3
	v_mov_b32_e32 v11, 0x7c010000
	s_mov_b32 s20, exec_lo
	v_cmpx_ne_u32_e32 0x7f, v31
	s_cbranch_execz .LBB279_1060
; %bb.1057:                             ;   in Loop: Header=BB279_931 Depth=1
	v_and_b32_e32 v11, 7, v3
	v_lshrrev_b32_e32 v12, 3, v31
	s_mov_b32 s21, exec_lo
	v_cmpx_gt_u32_e32 8, v31
; %bb.1058:                             ;   in Loop: Header=BB279_931 Depth=1
	v_ffbh_u32_e32 v11, v11
	v_min_u32_e32 v31, 32, v11
	v_subrev_nc_u32_e32 v11, 28, v31
	v_lshlrev_b64 v[11:12], v11, v[3:4]
	v_sub_nc_u32_e32 v12, 29, v31
	v_and_b32_e32 v11, 7, v11
; %bb.1059:                             ;   in Loop: Header=BB279_931 Depth=1
	s_or_b32 exec_lo, exec_lo, s21
	v_lshlrev_b32_e32 v3, 8, v3
	v_lshl_add_u32 v12, v12, 10, 0x2000
	v_lshlrev_b32_e32 v11, 23, v11
	v_and_or_b32 v3, 0x8000, v3, v12
	v_lshl_or_b32 v11, v3, 16, v11
.LBB279_1060:                           ;   in Loop: Header=BB279_931 Depth=1
	s_or_b32 exec_lo, exec_lo, s20
.LBB279_1061:                           ;   in Loop: Header=BB279_931 Depth=1
	s_or_b32 exec_lo, exec_lo, s19
.LBB279_1062:                           ;   in Loop: Header=BB279_931 Depth=1
	s_or_b32 exec_lo, exec_lo, s18
	v_or_b32_e32 v3, v18, v29
	s_waitcnt vmcnt(0) lgkmcnt(0)
	v_fma_mixlo_f16 v12, v0, v18, 0 op_sel:[0,1,0] op_sel_hi:[0,1,0]
	v_or_b32_e32 v2, v1, v2
	v_fma_mixlo_f16 v18, v0, v1, 0 op_sel:[0,1,0] op_sel_hi:[0,1,0]
	v_or_b32_e32 v19, v22, v19
	v_fma_mixlo_f16 v3, v0, v3, 0 op_sel_hi:[0,1,0]
	v_or_b32_e32 v23, v11, v23
	v_lshlrev_b32_e32 v1, 16, v12
	v_lshlrev_b32_e32 v12, 16, v18
	v_fma_mixlo_f16 v18, v0, v2, 0 op_sel_hi:[0,1,0]
	v_and_b32_e32 v2, 0xffff, v3
	v_fma_mixlo_f16 v3, v0, v22, 0 op_sel:[0,1,0] op_sel_hi:[0,1,0]
	v_fma_mixlo_f16 v19, v0, v19, 0 op_sel_hi:[0,1,0]
	v_fma_mixlo_f16 v11, v0, v11, 0 op_sel:[0,1,0] op_sel_hi:[0,1,0]
	v_fma_mixlo_f16 v22, v0, v23, 0 op_sel_hi:[0,1,0]
	v_and_b32_e32 v31, 0xffff, v18
	v_lshlrev_b32_e32 v3, 16, v3
	v_and_b32_e32 v19, 0xffff, v19
	v_lshlrev_b32_e32 v0, 16, v11
	v_and_b32_e32 v11, 0xffff, v22
	v_or_b32_e32 v18, v1, v2
	v_or_b32_e32 v29, v12, v31
	;; [unrolled: 1-line block ×4, first 2 shown]
	s_and_saveexec_b32 s18, vcc_lo
	s_cbranch_execz .LBB279_1064
; %bb.1063:                             ;   in Loop: Header=BB279_931 Depth=1
	v_cmp_lt_i32_e64 s4, v69, v30
	v_cndmask_b32_e64 v18, 0, v31, s4
	v_cmp_lt_i32_e64 s4, v98, v30
	v_cndmask_b32_e64 v12, 0, v12, s4
	v_cmp_lt_i32_e64 s4, v97, v30
	v_or_b32_e32 v29, v18, v12
	v_cndmask_b32_e64 v2, 0, v2, s4
	v_cmp_lt_i32_e64 s4, v96, v30
	v_cndmask_b32_e64 v1, 0, v1, s4
	v_cmp_lt_i32_e64 s4, v87, v30
	v_or_b32_e32 v18, v2, v1
	;; [unrolled: 5-line block ×3, first 2 shown]
	v_cndmask_b32_e64 v11, 0, v11, s4
	v_cmp_lt_i32_e64 s4, v84, v30
	v_cndmask_b32_e64 v0, 0, v0, s4
	v_or_b32_e32 v22, v11, v0
.LBB279_1064:                           ;   in Loop: Header=BB279_931 Depth=1
	s_or_b32 exec_lo, exec_lo, s18
	;;#ASMSTART
	v_pk_mul_f16 v0, v83, v29;

	;;#ASMEND
	;;#ASMSTART
	v_pk_mul_f16 v1, v82, v18;

	;;#ASMEND
	;; [unrolled: 4-line block ×4, first 2 shown]
	;;#ASMSTART
	v_pk_add_f16 v0, v0, v1;

	;;#ASMEND
	;;#ASMSTART
	v_pk_add_f16 v0, v0, v2;

	;;#ASMEND
	;; [unrolled: 4-line block ×3, first 2 shown]
	v_and_b32_e32 v1, 0xffff, v0
	v_lshrrev_b32_e32 v0, 16, v0
	;;#ASMSTART
	v_cvt_f32_f16 v99, v1;
	;;#ASMEND
	;;#ASMSTART
	v_cvt_f32_f16 v100, v0;
	;;#ASMEND
	flat_load_dwordx2 v[11:12], v[9:10] offset:512
	flat_load_dword v0, v[56:57]
	v_mov_b32_e32 v1, 0
	v_mov_b32_e32 v2, 0
	s_waitcnt vmcnt(1) lgkmcnt(1)
	v_cmp_ne_u16_sdwa s4, v11, v4 src0_sel:BYTE_0 src1_sel:DWORD
	s_and_saveexec_b32 s18, s4
	s_cbranch_execz .LBB279_1072
; %bb.1065:                             ;   in Loop: Header=BB279_931 Depth=1
	v_cmp_ne_u16_sdwa s4, v11, v39 src0_sel:BYTE_0 src1_sel:DWORD
	v_mov_b32_e32 v2, 0x8000
	s_and_saveexec_b32 s19, s4
	s_cbranch_execz .LBB279_1071
; %bb.1066:                             ;   in Loop: Header=BB279_931 Depth=1
	v_and_b32_e32 v18, 0x7f, v11
	v_mov_b32_e32 v2, 0x7c01
	s_mov_b32 s20, exec_lo
	v_cmpx_ne_u32_e32 0x7f, v18
	s_cbranch_execz .LBB279_1070
; %bb.1067:                             ;   in Loop: Header=BB279_931 Depth=1
	v_and_b32_e32 v2, 7, v11
	v_lshrrev_b32_e32 v3, 3, v18
	s_mov_b32 s21, exec_lo
	v_cmpx_gt_u32_e32 8, v18
; %bb.1068:                             ;   in Loop: Header=BB279_931 Depth=1
	v_ffbh_u32_e32 v2, v2
	v_min_u32_e32 v18, 32, v2
	v_subrev_nc_u32_e32 v2, 28, v18
	v_lshlrev_b64 v[2:3], v2, v[11:12]
	v_sub_nc_u32_e32 v3, 29, v18
	v_and_b32_e32 v2, 7, v2
; %bb.1069:                             ;   in Loop: Header=BB279_931 Depth=1
	s_or_b32 exec_lo, exec_lo, s21
	v_lshlrev_b32_e32 v18, 8, v11
	v_lshl_add_u32 v3, v3, 10, 0x2000
	v_lshlrev_b32_e32 v2, 7, v2
	v_and_b32_e32 v18, 0x8000, v18
	v_and_b32_e32 v3, 0xfc00, v3
	v_or3_b32 v2, v18, v3, v2
.LBB279_1070:                           ;   in Loop: Header=BB279_931 Depth=1
	s_or_b32 exec_lo, exec_lo, s20
.LBB279_1071:                           ;   in Loop: Header=BB279_931 Depth=1
	s_or_b32 exec_lo, exec_lo, s19
.LBB279_1072:                           ;   in Loop: Header=BB279_931 Depth=1
	s_or_b32 exec_lo, exec_lo, s18
	v_lshrrev_b16 v3, 8, v11
	s_mov_b32 s18, exec_lo
	v_cmpx_ne_u16_e32 0, v3
	s_cbranch_execz .LBB279_1080
; %bb.1073:                             ;   in Loop: Header=BB279_931 Depth=1
	v_bfrev_b32_e32 v1, 1
	s_mov_b32 s19, exec_lo
	v_cmpx_ne_u16_e32 0x80, v3
	s_cbranch_execz .LBB279_1079
; %bb.1074:                             ;   in Loop: Header=BB279_931 Depth=1
	v_and_b32_sdwa v19, v3, v48 dst_sel:DWORD dst_unused:UNUSED_PAD src0_sel:WORD_0 src1_sel:DWORD
	v_mov_b32_e32 v1, 0x7c010000
	s_mov_b32 s20, exec_lo
	v_cmpx_ne_u32_e32 0x7f, v19
	s_cbranch_execz .LBB279_1078
; %bb.1075:                             ;   in Loop: Header=BB279_931 Depth=1
	v_and_b32_sdwa v1, v3, v64 dst_sel:DWORD dst_unused:UNUSED_PAD src0_sel:WORD_0 src1_sel:DWORD
	v_lshrrev_b32_e32 v18, 3, v19
	s_mov_b32 s21, exec_lo
	v_cmpx_gt_u32_e32 8, v19
; %bb.1076:                             ;   in Loop: Header=BB279_931 Depth=1
	v_ffbh_u32_e32 v1, v1
	v_min_u32_e32 v1, 32, v1
	v_subrev_nc_u32_e32 v18, 28, v1
	v_lshlrev_b64 v[22:23], v18, v[3:4]
	v_sub_nc_u32_e32 v18, 29, v1
	v_and_b32_e32 v1, 7, v22
; %bb.1077:                             ;   in Loop: Header=BB279_931 Depth=1
	s_or_b32 exec_lo, exec_lo, s21
	v_lshlrev_b32_sdwa v3, v65, v3 dst_sel:DWORD dst_unused:UNUSED_PAD src0_sel:DWORD src1_sel:WORD_0
	v_lshl_add_u32 v18, v18, 10, 0x2000
	v_lshlrev_b32_e32 v1, 23, v1
	v_and_or_b32 v3, 0x8000, v3, v18
	v_lshl_or_b32 v1, v3, 16, v1
.LBB279_1078:                           ;   in Loop: Header=BB279_931 Depth=1
	s_or_b32 exec_lo, exec_lo, s20
.LBB279_1079:                           ;   in Loop: Header=BB279_931 Depth=1
	s_or_b32 exec_lo, exec_lo, s19
.LBB279_1080:                           ;   in Loop: Header=BB279_931 Depth=1
	s_or_b32 exec_lo, exec_lo, s18
	v_lshrrev_b32_e32 v3, 16, v11
	v_mov_b32_e32 v18, 0
	v_mov_b32_e32 v29, 0
	v_cmp_ne_u16_sdwa s4, v3, v4 src0_sel:BYTE_0 src1_sel:DWORD
	s_and_saveexec_b32 s18, s4
	s_cbranch_execz .LBB279_1088
; %bb.1081:                             ;   in Loop: Header=BB279_931 Depth=1
	v_cmp_ne_u16_sdwa s4, v3, v39 src0_sel:BYTE_0 src1_sel:DWORD
	v_mov_b32_e32 v29, 0x8000
	s_and_saveexec_b32 s19, s4
	s_cbranch_execz .LBB279_1087
; %bb.1082:                             ;   in Loop: Header=BB279_931 Depth=1
	v_bfe_u32 v23, v11, 16, 7
	v_mov_b32_e32 v29, 0x7c01
	s_mov_b32 s20, exec_lo
	v_cmpx_ne_u32_e32 0x7f, v23
	s_cbranch_execz .LBB279_1086
; %bb.1083:                             ;   in Loop: Header=BB279_931 Depth=1
	v_and_b32_e32 v19, 7, v3
	v_lshrrev_b32_e32 v22, 3, v23
	s_mov_b32 s21, exec_lo
	v_cmpx_gt_u32_e32 8, v23
; %bb.1084:                             ;   in Loop: Header=BB279_931 Depth=1
	v_ffbh_u32_e32 v19, v19
	v_min_u32_e32 v19, 32, v19
	v_subrev_nc_u32_e32 v22, 28, v19
	v_lshlrev_b64 v[31:32], v22, v[3:4]
	v_sub_nc_u32_e32 v22, 29, v19
	v_and_b32_e32 v19, 7, v31
; %bb.1085:                             ;   in Loop: Header=BB279_931 Depth=1
	s_or_b32 exec_lo, exec_lo, s21
	v_lshlrev_b32_e32 v3, 8, v3
	v_lshl_add_u32 v22, v22, 10, 0x2000
	v_lshlrev_b32_e32 v19, 7, v19
	v_and_b32_e32 v3, 0x8000, v3
	v_and_b32_e32 v22, 0xfc00, v22
	v_or3_b32 v29, v3, v22, v19
.LBB279_1086:                           ;   in Loop: Header=BB279_931 Depth=1
	s_or_b32 exec_lo, exec_lo, s20
.LBB279_1087:                           ;   in Loop: Header=BB279_931 Depth=1
	s_or_b32 exec_lo, exec_lo, s19
.LBB279_1088:                           ;   in Loop: Header=BB279_931 Depth=1
	s_or_b32 exec_lo, exec_lo, s18
	s_mov_b32 s18, exec_lo
	v_cmpx_lt_u32_e32 0xffffff, v11
	s_cbranch_execz .LBB279_1096
; %bb.1089:                             ;   in Loop: Header=BB279_931 Depth=1
	v_lshrrev_b32_e32 v3, 24, v11
	v_bfrev_b32_e32 v18, 1
	s_mov_b32 s19, exec_lo
	v_cmpx_ne_u32_e32 0x80, v3
	s_cbranch_execz .LBB279_1095
; %bb.1090:                             ;   in Loop: Header=BB279_931 Depth=1
	v_and_b32_e32 v22, 0x7f, v3
	v_mov_b32_e32 v18, 0x7c010000
	s_mov_b32 s20, exec_lo
	v_cmpx_ne_u32_e32 0x7f, v22
	s_cbranch_execz .LBB279_1094
; %bb.1091:                             ;   in Loop: Header=BB279_931 Depth=1
	v_and_b32_e32 v18, 7, v3
	v_lshrrev_b32_e32 v19, 3, v22
	s_mov_b32 s21, exec_lo
	v_cmpx_gt_u32_e32 8, v22
; %bb.1092:                             ;   in Loop: Header=BB279_931 Depth=1
	v_ffbh_u32_e32 v18, v18
	v_min_u32_e32 v22, 32, v18
	v_subrev_nc_u32_e32 v18, 28, v22
	v_lshlrev_b64 v[18:19], v18, v[3:4]
	v_sub_nc_u32_e32 v19, 29, v22
	v_and_b32_e32 v18, 7, v18
; %bb.1093:                             ;   in Loop: Header=BB279_931 Depth=1
	s_or_b32 exec_lo, exec_lo, s21
	v_lshlrev_b32_e32 v3, 8, v3
	v_lshl_add_u32 v19, v19, 10, 0x2000
	v_lshlrev_b32_e32 v18, 23, v18
	v_and_or_b32 v3, 0x8000, v3, v19
	v_lshl_or_b32 v18, v3, 16, v18
.LBB279_1094:                           ;   in Loop: Header=BB279_931 Depth=1
	s_or_b32 exec_lo, exec_lo, s20
.LBB279_1095:                           ;   in Loop: Header=BB279_931 Depth=1
	s_or_b32 exec_lo, exec_lo, s19
.LBB279_1096:                           ;   in Loop: Header=BB279_931 Depth=1
	s_or_b32 exec_lo, exec_lo, s18
	v_mov_b32_e32 v3, v12
	v_cmp_ne_u16_sdwa s4, v12, v4 src0_sel:BYTE_0 src1_sel:DWORD
	v_mov_b32_e32 v23, 0
	v_mov_b32_e32 v19, 0
	s_and_saveexec_b32 s18, s4
	s_cbranch_execz .LBB279_1104
; %bb.1097:                             ;   in Loop: Header=BB279_931 Depth=1
	v_cmp_ne_u16_sdwa s4, v12, v39 src0_sel:BYTE_0 src1_sel:DWORD
	v_mov_b32_e32 v19, 0x8000
	s_and_saveexec_b32 s19, s4
	s_cbranch_execz .LBB279_1103
; %bb.1098:                             ;   in Loop: Header=BB279_931 Depth=1
	v_and_b32_e32 v31, 0x7f, v12
	v_mov_b32_e32 v19, 0x7c01
	s_mov_b32 s20, exec_lo
	v_cmpx_ne_u32_e32 0x7f, v31
	s_cbranch_execz .LBB279_1102
; %bb.1099:                             ;   in Loop: Header=BB279_931 Depth=1
	v_and_b32_e32 v19, 7, v12
	v_lshrrev_b32_e32 v22, 3, v31
	s_mov_b32 s21, exec_lo
	v_cmpx_gt_u32_e32 8, v31
; %bb.1100:                             ;   in Loop: Header=BB279_931 Depth=1
	v_ffbh_u32_e32 v19, v19
	v_min_u32_e32 v19, 32, v19
	v_subrev_nc_u32_e32 v22, 28, v19
	v_lshlrev_b64 v[31:32], v22, v[3:4]
	v_sub_nc_u32_e32 v22, 29, v19
	v_and_b32_e32 v19, 7, v31
; %bb.1101:                             ;   in Loop: Header=BB279_931 Depth=1
	s_or_b32 exec_lo, exec_lo, s21
	v_lshlrev_b32_e32 v31, 8, v12
	v_lshl_add_u32 v22, v22, 10, 0x2000
	v_lshlrev_b32_e32 v19, 7, v19
	v_and_b32_e32 v31, 0x8000, v31
	v_and_b32_e32 v22, 0xfc00, v22
	v_or3_b32 v19, v31, v22, v19
.LBB279_1102:                           ;   in Loop: Header=BB279_931 Depth=1
	s_or_b32 exec_lo, exec_lo, s20
.LBB279_1103:                           ;   in Loop: Header=BB279_931 Depth=1
	s_or_b32 exec_lo, exec_lo, s19
.LBB279_1104:                           ;   in Loop: Header=BB279_931 Depth=1
	s_or_b32 exec_lo, exec_lo, s18
	v_lshrrev_b16 v3, 8, v3
	v_mov_b32_e32 v22, 0
	s_mov_b32 s18, exec_lo
	v_cmpx_ne_u16_e32 0, v3
	s_cbranch_execz .LBB279_1112
; %bb.1105:                             ;   in Loop: Header=BB279_931 Depth=1
	v_bfrev_b32_e32 v22, 1
	s_mov_b32 s19, exec_lo
	v_cmpx_ne_u16_e32 0x80, v3
	s_cbranch_execz .LBB279_1111
; %bb.1106:                             ;   in Loop: Header=BB279_931 Depth=1
	v_and_b32_sdwa v32, v3, v48 dst_sel:DWORD dst_unused:UNUSED_PAD src0_sel:WORD_0 src1_sel:DWORD
	v_mov_b32_e32 v22, 0x7c010000
	s_mov_b32 s20, exec_lo
	v_cmpx_ne_u32_e32 0x7f, v32
	s_cbranch_execz .LBB279_1110
; %bb.1107:                             ;   in Loop: Header=BB279_931 Depth=1
	v_and_b32_sdwa v22, v3, v64 dst_sel:DWORD dst_unused:UNUSED_PAD src0_sel:WORD_0 src1_sel:DWORD
	v_lshrrev_b32_e32 v31, 3, v32
	s_mov_b32 s21, exec_lo
	v_cmpx_gt_u32_e32 8, v32
; %bb.1108:                             ;   in Loop: Header=BB279_931 Depth=1
	v_ffbh_u32_e32 v22, v22
	v_min_u32_e32 v22, 32, v22
	v_subrev_nc_u32_e32 v31, 28, v22
	v_lshlrev_b64 v[32:33], v31, v[3:4]
	v_sub_nc_u32_e32 v31, 29, v22
	v_and_b32_e32 v22, 7, v32
; %bb.1109:                             ;   in Loop: Header=BB279_931 Depth=1
	s_or_b32 exec_lo, exec_lo, s21
	v_lshlrev_b32_sdwa v3, v65, v3 dst_sel:DWORD dst_unused:UNUSED_PAD src0_sel:DWORD src1_sel:WORD_0
	v_lshl_add_u32 v31, v31, 10, 0x2000
	v_lshlrev_b32_e32 v22, 23, v22
	v_and_or_b32 v3, 0x8000, v3, v31
	v_lshl_or_b32 v22, v3, 16, v22
.LBB279_1110:                           ;   in Loop: Header=BB279_931 Depth=1
	s_or_b32 exec_lo, exec_lo, s20
.LBB279_1111:                           ;   in Loop: Header=BB279_931 Depth=1
	s_or_b32 exec_lo, exec_lo, s19
.LBB279_1112:                           ;   in Loop: Header=BB279_931 Depth=1
	s_or_b32 exec_lo, exec_lo, s18
	v_lshrrev_b32_e32 v3, 16, v12
	v_cmp_ne_u16_sdwa s4, v3, v4 src0_sel:BYTE_0 src1_sel:DWORD
	s_and_saveexec_b32 s18, s4
	s_cbranch_execz .LBB279_1120
; %bb.1113:                             ;   in Loop: Header=BB279_931 Depth=1
	v_cmp_ne_u16_sdwa s4, v3, v39 src0_sel:BYTE_0 src1_sel:DWORD
	v_mov_b32_e32 v23, 0x8000
	s_and_saveexec_b32 s19, s4
	s_cbranch_execz .LBB279_1119
; %bb.1114:                             ;   in Loop: Header=BB279_931 Depth=1
	v_bfe_u32 v32, v12, 16, 7
	v_mov_b32_e32 v23, 0x7c01
	s_mov_b32 s20, exec_lo
	v_cmpx_ne_u32_e32 0x7f, v32
	s_cbranch_execz .LBB279_1118
; %bb.1115:                             ;   in Loop: Header=BB279_931 Depth=1
	v_and_b32_e32 v23, 7, v3
	v_lshrrev_b32_e32 v31, 3, v32
	s_mov_b32 s21, exec_lo
	v_cmpx_gt_u32_e32 8, v32
; %bb.1116:                             ;   in Loop: Header=BB279_931 Depth=1
	v_ffbh_u32_e32 v23, v23
	v_min_u32_e32 v23, 32, v23
	v_subrev_nc_u32_e32 v31, 28, v23
	v_lshlrev_b64 v[32:33], v31, v[3:4]
	v_sub_nc_u32_e32 v31, 29, v23
	v_and_b32_e32 v23, 7, v32
; %bb.1117:                             ;   in Loop: Header=BB279_931 Depth=1
	s_or_b32 exec_lo, exec_lo, s21
	v_lshlrev_b32_e32 v3, 8, v3
	v_lshl_add_u32 v31, v31, 10, 0x2000
	v_lshlrev_b32_e32 v23, 7, v23
	v_and_b32_e32 v3, 0x8000, v3
	v_and_b32_e32 v31, 0xfc00, v31
	v_or3_b32 v23, v3, v31, v23
.LBB279_1118:                           ;   in Loop: Header=BB279_931 Depth=1
	s_or_b32 exec_lo, exec_lo, s20
.LBB279_1119:                           ;   in Loop: Header=BB279_931 Depth=1
	s_or_b32 exec_lo, exec_lo, s19
.LBB279_1120:                           ;   in Loop: Header=BB279_931 Depth=1
	s_or_b32 exec_lo, exec_lo, s18
	v_cmp_lt_u64_e64 s4, s[6:7], v[11:12]
	v_mov_b32_e32 v11, 0
	s_and_saveexec_b32 s18, s4
	s_cbranch_execz .LBB279_1128
; %bb.1121:                             ;   in Loop: Header=BB279_931 Depth=1
	v_lshrrev_b32_e32 v3, 24, v12
	v_bfrev_b32_e32 v11, 1
	s_mov_b32 s19, exec_lo
	v_cmpx_ne_u32_e32 0x80, v3
	s_cbranch_execz .LBB279_1127
; %bb.1122:                             ;   in Loop: Header=BB279_931 Depth=1
	v_and_b32_e32 v31, 0x7f, v3
	v_mov_b32_e32 v11, 0x7c010000
	s_mov_b32 s20, exec_lo
	v_cmpx_ne_u32_e32 0x7f, v31
	s_cbranch_execz .LBB279_1126
; %bb.1123:                             ;   in Loop: Header=BB279_931 Depth=1
	v_and_b32_e32 v11, 7, v3
	v_lshrrev_b32_e32 v12, 3, v31
	s_mov_b32 s21, exec_lo
	v_cmpx_gt_u32_e32 8, v31
; %bb.1124:                             ;   in Loop: Header=BB279_931 Depth=1
	v_ffbh_u32_e32 v11, v11
	v_min_u32_e32 v31, 32, v11
	v_subrev_nc_u32_e32 v11, 28, v31
	v_lshlrev_b64 v[11:12], v11, v[3:4]
	v_sub_nc_u32_e32 v12, 29, v31
	v_and_b32_e32 v11, 7, v11
; %bb.1125:                             ;   in Loop: Header=BB279_931 Depth=1
	s_or_b32 exec_lo, exec_lo, s21
	v_lshlrev_b32_e32 v3, 8, v3
	v_lshl_add_u32 v12, v12, 10, 0x2000
	v_lshlrev_b32_e32 v11, 23, v11
	v_and_or_b32 v3, 0x8000, v3, v12
	v_lshl_or_b32 v11, v3, 16, v11
.LBB279_1126:                           ;   in Loop: Header=BB279_931 Depth=1
	s_or_b32 exec_lo, exec_lo, s20
.LBB279_1127:                           ;   in Loop: Header=BB279_931 Depth=1
	s_or_b32 exec_lo, exec_lo, s19
.LBB279_1128:                           ;   in Loop: Header=BB279_931 Depth=1
	s_or_b32 exec_lo, exec_lo, s18
	v_or_b32_e32 v3, v18, v29
	s_waitcnt vmcnt(0) lgkmcnt(0)
	v_fma_mixlo_f16 v12, v0, v18, 0 op_sel:[0,1,0] op_sel_hi:[0,1,0]
	v_or_b32_e32 v2, v1, v2
	v_fma_mixlo_f16 v18, v0, v1, 0 op_sel:[0,1,0] op_sel_hi:[0,1,0]
	v_or_b32_e32 v19, v22, v19
	v_fma_mixlo_f16 v3, v0, v3, 0 op_sel_hi:[0,1,0]
	v_or_b32_e32 v23, v11, v23
	v_lshlrev_b32_e32 v1, 16, v12
	v_lshlrev_b32_e32 v12, 16, v18
	v_fma_mixlo_f16 v18, v0, v2, 0 op_sel_hi:[0,1,0]
	v_and_b32_e32 v2, 0xffff, v3
	v_fma_mixlo_f16 v3, v0, v22, 0 op_sel:[0,1,0] op_sel_hi:[0,1,0]
	v_fma_mixlo_f16 v19, v0, v19, 0 op_sel_hi:[0,1,0]
	v_fma_mixlo_f16 v11, v0, v11, 0 op_sel:[0,1,0] op_sel_hi:[0,1,0]
	v_fma_mixlo_f16 v22, v0, v23, 0 op_sel_hi:[0,1,0]
	v_and_b32_e32 v31, 0xffff, v18
	v_lshlrev_b32_e32 v3, 16, v3
	v_and_b32_e32 v19, 0xffff, v19
	v_lshlrev_b32_e32 v0, 16, v11
	v_and_b32_e32 v11, 0xffff, v22
	v_or_b32_e32 v18, v1, v2
	v_or_b32_e32 v29, v12, v31
	v_or_b32_e32 v23, v3, v19
	v_or_b32_e32 v22, v0, v11
	s_and_saveexec_b32 s18, vcc_lo
	s_cbranch_execz .LBB279_1130
; %bb.1129:                             ;   in Loop: Header=BB279_931 Depth=1
	v_cmp_lt_i32_e64 s4, v69, v30
	v_cndmask_b32_e64 v18, 0, v31, s4
	v_cmp_lt_i32_e64 s4, v98, v30
	v_cndmask_b32_e64 v12, 0, v12, s4
	v_cmp_lt_i32_e64 s4, v97, v30
	v_or_b32_e32 v29, v18, v12
	v_cndmask_b32_e64 v2, 0, v2, s4
	v_cmp_lt_i32_e64 s4, v96, v30
	v_cndmask_b32_e64 v1, 0, v1, s4
	v_cmp_lt_i32_e64 s4, v87, v30
	v_or_b32_e32 v18, v2, v1
	;; [unrolled: 5-line block ×3, first 2 shown]
	v_cndmask_b32_e64 v11, 0, v11, s4
	v_cmp_lt_i32_e64 s4, v84, v30
	v_cndmask_b32_e64 v0, 0, v0, s4
	v_or_b32_e32 v22, v11, v0
.LBB279_1130:                           ;   in Loop: Header=BB279_931 Depth=1
	s_or_b32 exec_lo, exec_lo, s18
	;;#ASMSTART
	v_pk_mul_f16 v0, v83, v29;

	;;#ASMEND
	;;#ASMSTART
	v_pk_mul_f16 v1, v82, v18;

	;;#ASMEND
	;;#ASMSTART
	v_pk_mul_f16 v2, v81, v23;

	;;#ASMEND
	;;#ASMSTART
	v_pk_mul_f16 v3, v80, v22;

	;;#ASMEND
	;;#ASMSTART
	v_pk_add_f16 v0, v0, v1;

	;;#ASMEND
	;;#ASMSTART
	v_pk_add_f16 v0, v0, v2;

	;;#ASMEND
	;; [unrolled: 4-line block ×3, first 2 shown]
	v_and_b32_e32 v1, 0xffff, v0
	v_lshrrev_b32_e32 v0, 16, v0
	;;#ASMSTART
	v_cvt_f32_f16 v101, v1;
	;;#ASMEND
	;;#ASMSTART
	v_cvt_f32_f16 v102, v0;
	;;#ASMEND
	flat_load_dwordx2 v[11:12], v[9:10] offset:768
	flat_load_dword v0, v[56:57]
	v_mov_b32_e32 v1, 0
	v_mov_b32_e32 v2, 0
	s_waitcnt vmcnt(1) lgkmcnt(1)
	v_cmp_ne_u16_sdwa s4, v11, v4 src0_sel:BYTE_0 src1_sel:DWORD
	s_and_saveexec_b32 s18, s4
	s_cbranch_execz .LBB279_1138
; %bb.1131:                             ;   in Loop: Header=BB279_931 Depth=1
	v_cmp_ne_u16_sdwa s4, v11, v39 src0_sel:BYTE_0 src1_sel:DWORD
	v_mov_b32_e32 v2, 0x8000
	s_and_saveexec_b32 s19, s4
	s_cbranch_execz .LBB279_1137
; %bb.1132:                             ;   in Loop: Header=BB279_931 Depth=1
	v_and_b32_e32 v18, 0x7f, v11
	v_mov_b32_e32 v2, 0x7c01
	s_mov_b32 s20, exec_lo
	v_cmpx_ne_u32_e32 0x7f, v18
	s_cbranch_execz .LBB279_1136
; %bb.1133:                             ;   in Loop: Header=BB279_931 Depth=1
	v_and_b32_e32 v2, 7, v11
	v_lshrrev_b32_e32 v3, 3, v18
	s_mov_b32 s21, exec_lo
	v_cmpx_gt_u32_e32 8, v18
; %bb.1134:                             ;   in Loop: Header=BB279_931 Depth=1
	v_ffbh_u32_e32 v2, v2
	v_min_u32_e32 v18, 32, v2
	v_subrev_nc_u32_e32 v2, 28, v18
	v_lshlrev_b64 v[2:3], v2, v[11:12]
	v_sub_nc_u32_e32 v3, 29, v18
	v_and_b32_e32 v2, 7, v2
; %bb.1135:                             ;   in Loop: Header=BB279_931 Depth=1
	s_or_b32 exec_lo, exec_lo, s21
	v_lshlrev_b32_e32 v18, 8, v11
	v_lshl_add_u32 v3, v3, 10, 0x2000
	v_lshlrev_b32_e32 v2, 7, v2
	v_and_b32_e32 v18, 0x8000, v18
	v_and_b32_e32 v3, 0xfc00, v3
	v_or3_b32 v2, v18, v3, v2
.LBB279_1136:                           ;   in Loop: Header=BB279_931 Depth=1
	s_or_b32 exec_lo, exec_lo, s20
.LBB279_1137:                           ;   in Loop: Header=BB279_931 Depth=1
	s_or_b32 exec_lo, exec_lo, s19
.LBB279_1138:                           ;   in Loop: Header=BB279_931 Depth=1
	s_or_b32 exec_lo, exec_lo, s18
	v_lshrrev_b16 v3, 8, v11
	s_mov_b32 s18, exec_lo
	v_cmpx_ne_u16_e32 0, v3
	s_cbranch_execz .LBB279_1146
; %bb.1139:                             ;   in Loop: Header=BB279_931 Depth=1
	v_bfrev_b32_e32 v1, 1
	s_mov_b32 s19, exec_lo
	v_cmpx_ne_u16_e32 0x80, v3
	s_cbranch_execz .LBB279_1145
; %bb.1140:                             ;   in Loop: Header=BB279_931 Depth=1
	v_and_b32_sdwa v19, v3, v48 dst_sel:DWORD dst_unused:UNUSED_PAD src0_sel:WORD_0 src1_sel:DWORD
	v_mov_b32_e32 v1, 0x7c010000
	s_mov_b32 s20, exec_lo
	v_cmpx_ne_u32_e32 0x7f, v19
	s_cbranch_execz .LBB279_1144
; %bb.1141:                             ;   in Loop: Header=BB279_931 Depth=1
	v_and_b32_sdwa v1, v3, v64 dst_sel:DWORD dst_unused:UNUSED_PAD src0_sel:WORD_0 src1_sel:DWORD
	v_lshrrev_b32_e32 v18, 3, v19
	s_mov_b32 s21, exec_lo
	v_cmpx_gt_u32_e32 8, v19
; %bb.1142:                             ;   in Loop: Header=BB279_931 Depth=1
	v_ffbh_u32_e32 v1, v1
	v_min_u32_e32 v1, 32, v1
	v_subrev_nc_u32_e32 v18, 28, v1
	v_lshlrev_b64 v[22:23], v18, v[3:4]
	v_sub_nc_u32_e32 v18, 29, v1
	v_and_b32_e32 v1, 7, v22
; %bb.1143:                             ;   in Loop: Header=BB279_931 Depth=1
	s_or_b32 exec_lo, exec_lo, s21
	v_lshlrev_b32_sdwa v3, v65, v3 dst_sel:DWORD dst_unused:UNUSED_PAD src0_sel:DWORD src1_sel:WORD_0
	v_lshl_add_u32 v18, v18, 10, 0x2000
	v_lshlrev_b32_e32 v1, 23, v1
	v_and_or_b32 v3, 0x8000, v3, v18
	v_lshl_or_b32 v1, v3, 16, v1
.LBB279_1144:                           ;   in Loop: Header=BB279_931 Depth=1
	s_or_b32 exec_lo, exec_lo, s20
.LBB279_1145:                           ;   in Loop: Header=BB279_931 Depth=1
	s_or_b32 exec_lo, exec_lo, s19
.LBB279_1146:                           ;   in Loop: Header=BB279_931 Depth=1
	s_or_b32 exec_lo, exec_lo, s18
	v_lshrrev_b32_e32 v3, 16, v11
	v_mov_b32_e32 v18, 0
	v_mov_b32_e32 v29, 0
	v_cmp_ne_u16_sdwa s4, v3, v4 src0_sel:BYTE_0 src1_sel:DWORD
	s_and_saveexec_b32 s18, s4
	s_cbranch_execz .LBB279_1154
; %bb.1147:                             ;   in Loop: Header=BB279_931 Depth=1
	v_cmp_ne_u16_sdwa s4, v3, v39 src0_sel:BYTE_0 src1_sel:DWORD
	v_mov_b32_e32 v29, 0x8000
	s_and_saveexec_b32 s19, s4
	s_cbranch_execz .LBB279_1153
; %bb.1148:                             ;   in Loop: Header=BB279_931 Depth=1
	v_bfe_u32 v23, v11, 16, 7
	v_mov_b32_e32 v29, 0x7c01
	s_mov_b32 s20, exec_lo
	v_cmpx_ne_u32_e32 0x7f, v23
	s_cbranch_execz .LBB279_1152
; %bb.1149:                             ;   in Loop: Header=BB279_931 Depth=1
	v_and_b32_e32 v19, 7, v3
	v_lshrrev_b32_e32 v22, 3, v23
	s_mov_b32 s21, exec_lo
	v_cmpx_gt_u32_e32 8, v23
; %bb.1150:                             ;   in Loop: Header=BB279_931 Depth=1
	v_ffbh_u32_e32 v19, v19
	v_min_u32_e32 v19, 32, v19
	v_subrev_nc_u32_e32 v22, 28, v19
	v_lshlrev_b64 v[31:32], v22, v[3:4]
	v_sub_nc_u32_e32 v22, 29, v19
	v_and_b32_e32 v19, 7, v31
; %bb.1151:                             ;   in Loop: Header=BB279_931 Depth=1
	s_or_b32 exec_lo, exec_lo, s21
	v_lshlrev_b32_e32 v3, 8, v3
	v_lshl_add_u32 v22, v22, 10, 0x2000
	v_lshlrev_b32_e32 v19, 7, v19
	v_and_b32_e32 v3, 0x8000, v3
	v_and_b32_e32 v22, 0xfc00, v22
	v_or3_b32 v29, v3, v22, v19
.LBB279_1152:                           ;   in Loop: Header=BB279_931 Depth=1
	s_or_b32 exec_lo, exec_lo, s20
.LBB279_1153:                           ;   in Loop: Header=BB279_931 Depth=1
	s_or_b32 exec_lo, exec_lo, s19
.LBB279_1154:                           ;   in Loop: Header=BB279_931 Depth=1
	s_or_b32 exec_lo, exec_lo, s18
	s_mov_b32 s18, exec_lo
	v_cmpx_lt_u32_e32 0xffffff, v11
	s_cbranch_execz .LBB279_1162
; %bb.1155:                             ;   in Loop: Header=BB279_931 Depth=1
	v_lshrrev_b32_e32 v3, 24, v11
	v_bfrev_b32_e32 v18, 1
	s_mov_b32 s19, exec_lo
	v_cmpx_ne_u32_e32 0x80, v3
	s_cbranch_execz .LBB279_1161
; %bb.1156:                             ;   in Loop: Header=BB279_931 Depth=1
	v_and_b32_e32 v22, 0x7f, v3
	v_mov_b32_e32 v18, 0x7c010000
	s_mov_b32 s20, exec_lo
	v_cmpx_ne_u32_e32 0x7f, v22
	s_cbranch_execz .LBB279_1160
; %bb.1157:                             ;   in Loop: Header=BB279_931 Depth=1
	v_and_b32_e32 v18, 7, v3
	v_lshrrev_b32_e32 v19, 3, v22
	s_mov_b32 s21, exec_lo
	v_cmpx_gt_u32_e32 8, v22
; %bb.1158:                             ;   in Loop: Header=BB279_931 Depth=1
	v_ffbh_u32_e32 v18, v18
	v_min_u32_e32 v22, 32, v18
	v_subrev_nc_u32_e32 v18, 28, v22
	v_lshlrev_b64 v[18:19], v18, v[3:4]
	v_sub_nc_u32_e32 v19, 29, v22
	v_and_b32_e32 v18, 7, v18
; %bb.1159:                             ;   in Loop: Header=BB279_931 Depth=1
	s_or_b32 exec_lo, exec_lo, s21
	v_lshlrev_b32_e32 v3, 8, v3
	v_lshl_add_u32 v19, v19, 10, 0x2000
	v_lshlrev_b32_e32 v18, 23, v18
	v_and_or_b32 v3, 0x8000, v3, v19
	v_lshl_or_b32 v18, v3, 16, v18
.LBB279_1160:                           ;   in Loop: Header=BB279_931 Depth=1
	s_or_b32 exec_lo, exec_lo, s20
.LBB279_1161:                           ;   in Loop: Header=BB279_931 Depth=1
	s_or_b32 exec_lo, exec_lo, s19
.LBB279_1162:                           ;   in Loop: Header=BB279_931 Depth=1
	s_or_b32 exec_lo, exec_lo, s18
	v_mov_b32_e32 v3, v12
	v_cmp_ne_u16_sdwa s4, v12, v4 src0_sel:BYTE_0 src1_sel:DWORD
	v_mov_b32_e32 v23, 0
	v_mov_b32_e32 v19, 0
	s_and_saveexec_b32 s18, s4
	s_cbranch_execz .LBB279_1170
; %bb.1163:                             ;   in Loop: Header=BB279_931 Depth=1
	v_cmp_ne_u16_sdwa s4, v12, v39 src0_sel:BYTE_0 src1_sel:DWORD
	v_mov_b32_e32 v19, 0x8000
	s_and_saveexec_b32 s19, s4
	s_cbranch_execz .LBB279_1169
; %bb.1164:                             ;   in Loop: Header=BB279_931 Depth=1
	v_and_b32_e32 v31, 0x7f, v12
	v_mov_b32_e32 v19, 0x7c01
	s_mov_b32 s20, exec_lo
	v_cmpx_ne_u32_e32 0x7f, v31
	s_cbranch_execz .LBB279_1168
; %bb.1165:                             ;   in Loop: Header=BB279_931 Depth=1
	v_and_b32_e32 v19, 7, v12
	v_lshrrev_b32_e32 v22, 3, v31
	s_mov_b32 s21, exec_lo
	v_cmpx_gt_u32_e32 8, v31
; %bb.1166:                             ;   in Loop: Header=BB279_931 Depth=1
	v_ffbh_u32_e32 v19, v19
	v_min_u32_e32 v19, 32, v19
	v_subrev_nc_u32_e32 v22, 28, v19
	v_lshlrev_b64 v[31:32], v22, v[3:4]
	v_sub_nc_u32_e32 v22, 29, v19
	v_and_b32_e32 v19, 7, v31
; %bb.1167:                             ;   in Loop: Header=BB279_931 Depth=1
	s_or_b32 exec_lo, exec_lo, s21
	v_lshlrev_b32_e32 v31, 8, v12
	v_lshl_add_u32 v22, v22, 10, 0x2000
	v_lshlrev_b32_e32 v19, 7, v19
	v_and_b32_e32 v31, 0x8000, v31
	v_and_b32_e32 v22, 0xfc00, v22
	v_or3_b32 v19, v31, v22, v19
.LBB279_1168:                           ;   in Loop: Header=BB279_931 Depth=1
	s_or_b32 exec_lo, exec_lo, s20
.LBB279_1169:                           ;   in Loop: Header=BB279_931 Depth=1
	s_or_b32 exec_lo, exec_lo, s19
.LBB279_1170:                           ;   in Loop: Header=BB279_931 Depth=1
	s_or_b32 exec_lo, exec_lo, s18
	v_lshrrev_b16 v3, 8, v3
	v_mov_b32_e32 v22, 0
	s_mov_b32 s18, exec_lo
	v_cmpx_ne_u16_e32 0, v3
	s_cbranch_execz .LBB279_1178
; %bb.1171:                             ;   in Loop: Header=BB279_931 Depth=1
	v_bfrev_b32_e32 v22, 1
	s_mov_b32 s19, exec_lo
	v_cmpx_ne_u16_e32 0x80, v3
	s_cbranch_execz .LBB279_1177
; %bb.1172:                             ;   in Loop: Header=BB279_931 Depth=1
	v_and_b32_sdwa v32, v3, v48 dst_sel:DWORD dst_unused:UNUSED_PAD src0_sel:WORD_0 src1_sel:DWORD
	v_mov_b32_e32 v22, 0x7c010000
	s_mov_b32 s20, exec_lo
	v_cmpx_ne_u32_e32 0x7f, v32
	s_cbranch_execz .LBB279_1176
; %bb.1173:                             ;   in Loop: Header=BB279_931 Depth=1
	v_and_b32_sdwa v22, v3, v64 dst_sel:DWORD dst_unused:UNUSED_PAD src0_sel:WORD_0 src1_sel:DWORD
	v_lshrrev_b32_e32 v31, 3, v32
	s_mov_b32 s21, exec_lo
	v_cmpx_gt_u32_e32 8, v32
; %bb.1174:                             ;   in Loop: Header=BB279_931 Depth=1
	v_ffbh_u32_e32 v22, v22
	v_min_u32_e32 v22, 32, v22
	v_subrev_nc_u32_e32 v31, 28, v22
	v_lshlrev_b64 v[32:33], v31, v[3:4]
	v_sub_nc_u32_e32 v31, 29, v22
	v_and_b32_e32 v22, 7, v32
; %bb.1175:                             ;   in Loop: Header=BB279_931 Depth=1
	s_or_b32 exec_lo, exec_lo, s21
	v_lshlrev_b32_sdwa v3, v65, v3 dst_sel:DWORD dst_unused:UNUSED_PAD src0_sel:DWORD src1_sel:WORD_0
	v_lshl_add_u32 v31, v31, 10, 0x2000
	v_lshlrev_b32_e32 v22, 23, v22
	v_and_or_b32 v3, 0x8000, v3, v31
	v_lshl_or_b32 v22, v3, 16, v22
.LBB279_1176:                           ;   in Loop: Header=BB279_931 Depth=1
	s_or_b32 exec_lo, exec_lo, s20
.LBB279_1177:                           ;   in Loop: Header=BB279_931 Depth=1
	s_or_b32 exec_lo, exec_lo, s19
.LBB279_1178:                           ;   in Loop: Header=BB279_931 Depth=1
	s_or_b32 exec_lo, exec_lo, s18
	v_lshrrev_b32_e32 v3, 16, v12
	v_cmp_ne_u16_sdwa s4, v3, v4 src0_sel:BYTE_0 src1_sel:DWORD
	s_and_saveexec_b32 s18, s4
	s_cbranch_execz .LBB279_1186
; %bb.1179:                             ;   in Loop: Header=BB279_931 Depth=1
	v_cmp_ne_u16_sdwa s4, v3, v39 src0_sel:BYTE_0 src1_sel:DWORD
	v_mov_b32_e32 v23, 0x8000
	s_and_saveexec_b32 s19, s4
	s_cbranch_execz .LBB279_1185
; %bb.1180:                             ;   in Loop: Header=BB279_931 Depth=1
	v_bfe_u32 v32, v12, 16, 7
	v_mov_b32_e32 v23, 0x7c01
	s_mov_b32 s20, exec_lo
	v_cmpx_ne_u32_e32 0x7f, v32
	s_cbranch_execz .LBB279_1184
; %bb.1181:                             ;   in Loop: Header=BB279_931 Depth=1
	v_and_b32_e32 v23, 7, v3
	v_lshrrev_b32_e32 v31, 3, v32
	s_mov_b32 s21, exec_lo
	v_cmpx_gt_u32_e32 8, v32
; %bb.1182:                             ;   in Loop: Header=BB279_931 Depth=1
	v_ffbh_u32_e32 v23, v23
	v_min_u32_e32 v23, 32, v23
	v_subrev_nc_u32_e32 v31, 28, v23
	v_lshlrev_b64 v[32:33], v31, v[3:4]
	v_sub_nc_u32_e32 v31, 29, v23
	v_and_b32_e32 v23, 7, v32
; %bb.1183:                             ;   in Loop: Header=BB279_931 Depth=1
	s_or_b32 exec_lo, exec_lo, s21
	v_lshlrev_b32_e32 v3, 8, v3
	v_lshl_add_u32 v31, v31, 10, 0x2000
	v_lshlrev_b32_e32 v23, 7, v23
	v_and_b32_e32 v3, 0x8000, v3
	v_and_b32_e32 v31, 0xfc00, v31
	v_or3_b32 v23, v3, v31, v23
.LBB279_1184:                           ;   in Loop: Header=BB279_931 Depth=1
	s_or_b32 exec_lo, exec_lo, s20
.LBB279_1185:                           ;   in Loop: Header=BB279_931 Depth=1
	s_or_b32 exec_lo, exec_lo, s19
.LBB279_1186:                           ;   in Loop: Header=BB279_931 Depth=1
	s_or_b32 exec_lo, exec_lo, s18
	v_cmp_lt_u64_e64 s4, s[6:7], v[11:12]
	v_mov_b32_e32 v11, 0
	s_and_saveexec_b32 s18, s4
	s_cbranch_execz .LBB279_1194
; %bb.1187:                             ;   in Loop: Header=BB279_931 Depth=1
	v_lshrrev_b32_e32 v3, 24, v12
	v_bfrev_b32_e32 v11, 1
	s_mov_b32 s19, exec_lo
	v_cmpx_ne_u32_e32 0x80, v3
	s_cbranch_execz .LBB279_1193
; %bb.1188:                             ;   in Loop: Header=BB279_931 Depth=1
	v_and_b32_e32 v31, 0x7f, v3
	v_mov_b32_e32 v11, 0x7c010000
	s_mov_b32 s20, exec_lo
	v_cmpx_ne_u32_e32 0x7f, v31
	s_cbranch_execz .LBB279_1192
; %bb.1189:                             ;   in Loop: Header=BB279_931 Depth=1
	v_and_b32_e32 v11, 7, v3
	v_lshrrev_b32_e32 v12, 3, v31
	s_mov_b32 s21, exec_lo
	v_cmpx_gt_u32_e32 8, v31
; %bb.1190:                             ;   in Loop: Header=BB279_931 Depth=1
	v_ffbh_u32_e32 v11, v11
	v_min_u32_e32 v31, 32, v11
	v_subrev_nc_u32_e32 v11, 28, v31
	v_lshlrev_b64 v[11:12], v11, v[3:4]
	v_sub_nc_u32_e32 v12, 29, v31
	v_and_b32_e32 v11, 7, v11
; %bb.1191:                             ;   in Loop: Header=BB279_931 Depth=1
	s_or_b32 exec_lo, exec_lo, s21
	v_lshlrev_b32_e32 v3, 8, v3
	v_lshl_add_u32 v12, v12, 10, 0x2000
	v_lshlrev_b32_e32 v11, 23, v11
	v_and_or_b32 v3, 0x8000, v3, v12
	v_lshl_or_b32 v11, v3, 16, v11
.LBB279_1192:                           ;   in Loop: Header=BB279_931 Depth=1
	s_or_b32 exec_lo, exec_lo, s20
.LBB279_1193:                           ;   in Loop: Header=BB279_931 Depth=1
	s_or_b32 exec_lo, exec_lo, s19
.LBB279_1194:                           ;   in Loop: Header=BB279_931 Depth=1
	s_or_b32 exec_lo, exec_lo, s18
	v_or_b32_e32 v3, v18, v29
	s_waitcnt vmcnt(0) lgkmcnt(0)
	v_fma_mixlo_f16 v12, v0, v18, 0 op_sel:[0,1,0] op_sel_hi:[0,1,0]
	v_or_b32_e32 v2, v1, v2
	v_fma_mixlo_f16 v18, v0, v1, 0 op_sel:[0,1,0] op_sel_hi:[0,1,0]
	v_or_b32_e32 v19, v22, v19
	v_fma_mixlo_f16 v3, v0, v3, 0 op_sel_hi:[0,1,0]
	v_or_b32_e32 v23, v11, v23
	v_lshlrev_b32_e32 v1, 16, v12
	v_lshlrev_b32_e32 v12, 16, v18
	v_fma_mixlo_f16 v18, v0, v2, 0 op_sel_hi:[0,1,0]
	v_and_b32_e32 v2, 0xffff, v3
	v_fma_mixlo_f16 v3, v0, v22, 0 op_sel:[0,1,0] op_sel_hi:[0,1,0]
	v_fma_mixlo_f16 v19, v0, v19, 0 op_sel_hi:[0,1,0]
	v_fma_mixlo_f16 v11, v0, v11, 0 op_sel:[0,1,0] op_sel_hi:[0,1,0]
	v_fma_mixlo_f16 v22, v0, v23, 0 op_sel_hi:[0,1,0]
	v_and_b32_e32 v31, 0xffff, v18
	v_lshlrev_b32_e32 v3, 16, v3
	v_and_b32_e32 v19, 0xffff, v19
	v_lshlrev_b32_e32 v0, 16, v11
	v_and_b32_e32 v11, 0xffff, v22
	v_or_b32_e32 v18, v1, v2
	v_or_b32_e32 v29, v12, v31
	;; [unrolled: 1-line block ×4, first 2 shown]
	s_and_saveexec_b32 s18, vcc_lo
	s_cbranch_execz .LBB279_1196
; %bb.1195:                             ;   in Loop: Header=BB279_931 Depth=1
	v_cmp_lt_i32_e64 s4, v69, v30
	v_cndmask_b32_e64 v18, 0, v31, s4
	v_cmp_lt_i32_e64 s4, v98, v30
	v_cndmask_b32_e64 v12, 0, v12, s4
	v_cmp_lt_i32_e64 s4, v97, v30
	v_or_b32_e32 v29, v18, v12
	v_cndmask_b32_e64 v2, 0, v2, s4
	v_cmp_lt_i32_e64 s4, v96, v30
	v_cndmask_b32_e64 v1, 0, v1, s4
	v_cmp_lt_i32_e64 s4, v87, v30
	v_or_b32_e32 v18, v2, v1
	;; [unrolled: 5-line block ×3, first 2 shown]
	v_cndmask_b32_e64 v11, 0, v11, s4
	v_cmp_lt_i32_e64 s4, v84, v30
	v_cndmask_b32_e64 v0, 0, v0, s4
	v_or_b32_e32 v22, v11, v0
.LBB279_1196:                           ;   in Loop: Header=BB279_931 Depth=1
	s_or_b32 exec_lo, exec_lo, s18
	;;#ASMSTART
	v_pk_mul_f16 v0, v83, v29;

	;;#ASMEND
	;;#ASMSTART
	v_pk_mul_f16 v1, v82, v18;

	;;#ASMEND
	;; [unrolled: 4-line block ×4, first 2 shown]
	;;#ASMSTART
	v_pk_add_f16 v0, v0, v1;

	;;#ASMEND
	;;#ASMSTART
	v_pk_add_f16 v0, v0, v2;

	;;#ASMEND
	;; [unrolled: 4-line block ×3, first 2 shown]
	v_and_b32_e32 v1, 0xffff, v0
	v_lshrrev_b32_e32 v0, 16, v0
	;;#ASMSTART
	v_cvt_f32_f16 v103, v1;
	;;#ASMEND
	;;#ASMSTART
	v_cvt_f32_f16 v112, v0;
	;;#ASMEND
	flat_load_dwordx2 v[11:12], v[9:10] offset:1024
	flat_load_dword v0, v[56:57]
	v_mov_b32_e32 v1, 0
	v_mov_b32_e32 v2, 0
	s_waitcnt vmcnt(1) lgkmcnt(1)
	v_cmp_ne_u16_sdwa s4, v11, v4 src0_sel:BYTE_0 src1_sel:DWORD
	s_and_saveexec_b32 s18, s4
	s_cbranch_execz .LBB279_1204
; %bb.1197:                             ;   in Loop: Header=BB279_931 Depth=1
	v_cmp_ne_u16_sdwa s4, v11, v39 src0_sel:BYTE_0 src1_sel:DWORD
	v_mov_b32_e32 v2, 0x8000
	s_and_saveexec_b32 s19, s4
	s_cbranch_execz .LBB279_1203
; %bb.1198:                             ;   in Loop: Header=BB279_931 Depth=1
	v_and_b32_e32 v18, 0x7f, v11
	v_mov_b32_e32 v2, 0x7c01
	s_mov_b32 s20, exec_lo
	v_cmpx_ne_u32_e32 0x7f, v18
	s_cbranch_execz .LBB279_1202
; %bb.1199:                             ;   in Loop: Header=BB279_931 Depth=1
	v_and_b32_e32 v2, 7, v11
	v_lshrrev_b32_e32 v3, 3, v18
	s_mov_b32 s21, exec_lo
	v_cmpx_gt_u32_e32 8, v18
; %bb.1200:                             ;   in Loop: Header=BB279_931 Depth=1
	v_ffbh_u32_e32 v2, v2
	v_min_u32_e32 v18, 32, v2
	v_subrev_nc_u32_e32 v2, 28, v18
	v_lshlrev_b64 v[2:3], v2, v[11:12]
	v_sub_nc_u32_e32 v3, 29, v18
	v_and_b32_e32 v2, 7, v2
; %bb.1201:                             ;   in Loop: Header=BB279_931 Depth=1
	s_or_b32 exec_lo, exec_lo, s21
	v_lshlrev_b32_e32 v18, 8, v11
	v_lshl_add_u32 v3, v3, 10, 0x2000
	v_lshlrev_b32_e32 v2, 7, v2
	v_and_b32_e32 v18, 0x8000, v18
	v_and_b32_e32 v3, 0xfc00, v3
	v_or3_b32 v2, v18, v3, v2
.LBB279_1202:                           ;   in Loop: Header=BB279_931 Depth=1
	s_or_b32 exec_lo, exec_lo, s20
.LBB279_1203:                           ;   in Loop: Header=BB279_931 Depth=1
	s_or_b32 exec_lo, exec_lo, s19
.LBB279_1204:                           ;   in Loop: Header=BB279_931 Depth=1
	s_or_b32 exec_lo, exec_lo, s18
	v_lshrrev_b16 v3, 8, v11
	s_mov_b32 s18, exec_lo
	v_cmpx_ne_u16_e32 0, v3
	s_cbranch_execz .LBB279_1212
; %bb.1205:                             ;   in Loop: Header=BB279_931 Depth=1
	v_bfrev_b32_e32 v1, 1
	s_mov_b32 s19, exec_lo
	v_cmpx_ne_u16_e32 0x80, v3
	s_cbranch_execz .LBB279_1211
; %bb.1206:                             ;   in Loop: Header=BB279_931 Depth=1
	v_and_b32_sdwa v19, v3, v48 dst_sel:DWORD dst_unused:UNUSED_PAD src0_sel:WORD_0 src1_sel:DWORD
	v_mov_b32_e32 v1, 0x7c010000
	s_mov_b32 s20, exec_lo
	v_cmpx_ne_u32_e32 0x7f, v19
	s_cbranch_execz .LBB279_1210
; %bb.1207:                             ;   in Loop: Header=BB279_931 Depth=1
	v_and_b32_sdwa v1, v3, v64 dst_sel:DWORD dst_unused:UNUSED_PAD src0_sel:WORD_0 src1_sel:DWORD
	v_lshrrev_b32_e32 v18, 3, v19
	s_mov_b32 s21, exec_lo
	v_cmpx_gt_u32_e32 8, v19
; %bb.1208:                             ;   in Loop: Header=BB279_931 Depth=1
	v_ffbh_u32_e32 v1, v1
	v_min_u32_e32 v1, 32, v1
	v_subrev_nc_u32_e32 v18, 28, v1
	v_lshlrev_b64 v[22:23], v18, v[3:4]
	v_sub_nc_u32_e32 v18, 29, v1
	v_and_b32_e32 v1, 7, v22
; %bb.1209:                             ;   in Loop: Header=BB279_931 Depth=1
	s_or_b32 exec_lo, exec_lo, s21
	v_lshlrev_b32_sdwa v3, v65, v3 dst_sel:DWORD dst_unused:UNUSED_PAD src0_sel:DWORD src1_sel:WORD_0
	v_lshl_add_u32 v18, v18, 10, 0x2000
	v_lshlrev_b32_e32 v1, 23, v1
	v_and_or_b32 v3, 0x8000, v3, v18
	v_lshl_or_b32 v1, v3, 16, v1
.LBB279_1210:                           ;   in Loop: Header=BB279_931 Depth=1
	s_or_b32 exec_lo, exec_lo, s20
.LBB279_1211:                           ;   in Loop: Header=BB279_931 Depth=1
	s_or_b32 exec_lo, exec_lo, s19
.LBB279_1212:                           ;   in Loop: Header=BB279_931 Depth=1
	s_or_b32 exec_lo, exec_lo, s18
	v_lshrrev_b32_e32 v3, 16, v11
	v_mov_b32_e32 v18, 0
	v_mov_b32_e32 v29, 0
	v_cmp_ne_u16_sdwa s4, v3, v4 src0_sel:BYTE_0 src1_sel:DWORD
	s_and_saveexec_b32 s18, s4
	s_cbranch_execz .LBB279_1220
; %bb.1213:                             ;   in Loop: Header=BB279_931 Depth=1
	v_cmp_ne_u16_sdwa s4, v3, v39 src0_sel:BYTE_0 src1_sel:DWORD
	v_mov_b32_e32 v29, 0x8000
	s_and_saveexec_b32 s19, s4
	s_cbranch_execz .LBB279_1219
; %bb.1214:                             ;   in Loop: Header=BB279_931 Depth=1
	v_bfe_u32 v23, v11, 16, 7
	v_mov_b32_e32 v29, 0x7c01
	s_mov_b32 s20, exec_lo
	v_cmpx_ne_u32_e32 0x7f, v23
	s_cbranch_execz .LBB279_1218
; %bb.1215:                             ;   in Loop: Header=BB279_931 Depth=1
	v_and_b32_e32 v19, 7, v3
	v_lshrrev_b32_e32 v22, 3, v23
	s_mov_b32 s21, exec_lo
	v_cmpx_gt_u32_e32 8, v23
; %bb.1216:                             ;   in Loop: Header=BB279_931 Depth=1
	v_ffbh_u32_e32 v19, v19
	v_min_u32_e32 v19, 32, v19
	v_subrev_nc_u32_e32 v22, 28, v19
	v_lshlrev_b64 v[31:32], v22, v[3:4]
	v_sub_nc_u32_e32 v22, 29, v19
	v_and_b32_e32 v19, 7, v31
; %bb.1217:                             ;   in Loop: Header=BB279_931 Depth=1
	s_or_b32 exec_lo, exec_lo, s21
	v_lshlrev_b32_e32 v3, 8, v3
	v_lshl_add_u32 v22, v22, 10, 0x2000
	v_lshlrev_b32_e32 v19, 7, v19
	v_and_b32_e32 v3, 0x8000, v3
	v_and_b32_e32 v22, 0xfc00, v22
	v_or3_b32 v29, v3, v22, v19
.LBB279_1218:                           ;   in Loop: Header=BB279_931 Depth=1
	s_or_b32 exec_lo, exec_lo, s20
.LBB279_1219:                           ;   in Loop: Header=BB279_931 Depth=1
	s_or_b32 exec_lo, exec_lo, s19
.LBB279_1220:                           ;   in Loop: Header=BB279_931 Depth=1
	s_or_b32 exec_lo, exec_lo, s18
	s_mov_b32 s18, exec_lo
	v_cmpx_lt_u32_e32 0xffffff, v11
	s_cbranch_execz .LBB279_1228
; %bb.1221:                             ;   in Loop: Header=BB279_931 Depth=1
	v_lshrrev_b32_e32 v3, 24, v11
	v_bfrev_b32_e32 v18, 1
	s_mov_b32 s19, exec_lo
	v_cmpx_ne_u32_e32 0x80, v3
	s_cbranch_execz .LBB279_1227
; %bb.1222:                             ;   in Loop: Header=BB279_931 Depth=1
	v_and_b32_e32 v22, 0x7f, v3
	v_mov_b32_e32 v18, 0x7c010000
	s_mov_b32 s20, exec_lo
	v_cmpx_ne_u32_e32 0x7f, v22
	s_cbranch_execz .LBB279_1226
; %bb.1223:                             ;   in Loop: Header=BB279_931 Depth=1
	v_and_b32_e32 v18, 7, v3
	v_lshrrev_b32_e32 v19, 3, v22
	s_mov_b32 s21, exec_lo
	v_cmpx_gt_u32_e32 8, v22
; %bb.1224:                             ;   in Loop: Header=BB279_931 Depth=1
	v_ffbh_u32_e32 v18, v18
	v_min_u32_e32 v22, 32, v18
	v_subrev_nc_u32_e32 v18, 28, v22
	v_lshlrev_b64 v[18:19], v18, v[3:4]
	v_sub_nc_u32_e32 v19, 29, v22
	v_and_b32_e32 v18, 7, v18
; %bb.1225:                             ;   in Loop: Header=BB279_931 Depth=1
	s_or_b32 exec_lo, exec_lo, s21
	v_lshlrev_b32_e32 v3, 8, v3
	v_lshl_add_u32 v19, v19, 10, 0x2000
	v_lshlrev_b32_e32 v18, 23, v18
	v_and_or_b32 v3, 0x8000, v3, v19
	v_lshl_or_b32 v18, v3, 16, v18
.LBB279_1226:                           ;   in Loop: Header=BB279_931 Depth=1
	s_or_b32 exec_lo, exec_lo, s20
.LBB279_1227:                           ;   in Loop: Header=BB279_931 Depth=1
	s_or_b32 exec_lo, exec_lo, s19
.LBB279_1228:                           ;   in Loop: Header=BB279_931 Depth=1
	s_or_b32 exec_lo, exec_lo, s18
	v_mov_b32_e32 v3, v12
	v_cmp_ne_u16_sdwa s4, v12, v4 src0_sel:BYTE_0 src1_sel:DWORD
	v_mov_b32_e32 v23, 0
	v_mov_b32_e32 v19, 0
	s_and_saveexec_b32 s18, s4
	s_cbranch_execz .LBB279_1236
; %bb.1229:                             ;   in Loop: Header=BB279_931 Depth=1
	v_cmp_ne_u16_sdwa s4, v12, v39 src0_sel:BYTE_0 src1_sel:DWORD
	v_mov_b32_e32 v19, 0x8000
	s_and_saveexec_b32 s19, s4
	s_cbranch_execz .LBB279_1235
; %bb.1230:                             ;   in Loop: Header=BB279_931 Depth=1
	v_and_b32_e32 v31, 0x7f, v12
	v_mov_b32_e32 v19, 0x7c01
	s_mov_b32 s20, exec_lo
	v_cmpx_ne_u32_e32 0x7f, v31
	s_cbranch_execz .LBB279_1234
; %bb.1231:                             ;   in Loop: Header=BB279_931 Depth=1
	v_and_b32_e32 v19, 7, v12
	v_lshrrev_b32_e32 v22, 3, v31
	s_mov_b32 s21, exec_lo
	v_cmpx_gt_u32_e32 8, v31
; %bb.1232:                             ;   in Loop: Header=BB279_931 Depth=1
	v_ffbh_u32_e32 v19, v19
	v_min_u32_e32 v19, 32, v19
	v_subrev_nc_u32_e32 v22, 28, v19
	v_lshlrev_b64 v[31:32], v22, v[3:4]
	v_sub_nc_u32_e32 v22, 29, v19
	v_and_b32_e32 v19, 7, v31
; %bb.1233:                             ;   in Loop: Header=BB279_931 Depth=1
	s_or_b32 exec_lo, exec_lo, s21
	v_lshlrev_b32_e32 v31, 8, v12
	v_lshl_add_u32 v22, v22, 10, 0x2000
	v_lshlrev_b32_e32 v19, 7, v19
	v_and_b32_e32 v31, 0x8000, v31
	v_and_b32_e32 v22, 0xfc00, v22
	v_or3_b32 v19, v31, v22, v19
.LBB279_1234:                           ;   in Loop: Header=BB279_931 Depth=1
	s_or_b32 exec_lo, exec_lo, s20
.LBB279_1235:                           ;   in Loop: Header=BB279_931 Depth=1
	s_or_b32 exec_lo, exec_lo, s19
.LBB279_1236:                           ;   in Loop: Header=BB279_931 Depth=1
	s_or_b32 exec_lo, exec_lo, s18
	v_lshrrev_b16 v3, 8, v3
	v_mov_b32_e32 v22, 0
	s_mov_b32 s18, exec_lo
	v_cmpx_ne_u16_e32 0, v3
	s_cbranch_execz .LBB279_1244
; %bb.1237:                             ;   in Loop: Header=BB279_931 Depth=1
	v_bfrev_b32_e32 v22, 1
	s_mov_b32 s19, exec_lo
	v_cmpx_ne_u16_e32 0x80, v3
	s_cbranch_execz .LBB279_1243
; %bb.1238:                             ;   in Loop: Header=BB279_931 Depth=1
	v_and_b32_sdwa v32, v3, v48 dst_sel:DWORD dst_unused:UNUSED_PAD src0_sel:WORD_0 src1_sel:DWORD
	v_mov_b32_e32 v22, 0x7c010000
	s_mov_b32 s20, exec_lo
	v_cmpx_ne_u32_e32 0x7f, v32
	s_cbranch_execz .LBB279_1242
; %bb.1239:                             ;   in Loop: Header=BB279_931 Depth=1
	v_and_b32_sdwa v22, v3, v64 dst_sel:DWORD dst_unused:UNUSED_PAD src0_sel:WORD_0 src1_sel:DWORD
	v_lshrrev_b32_e32 v31, 3, v32
	s_mov_b32 s21, exec_lo
	v_cmpx_gt_u32_e32 8, v32
; %bb.1240:                             ;   in Loop: Header=BB279_931 Depth=1
	v_ffbh_u32_e32 v22, v22
	v_min_u32_e32 v22, 32, v22
	v_subrev_nc_u32_e32 v31, 28, v22
	v_lshlrev_b64 v[32:33], v31, v[3:4]
	v_sub_nc_u32_e32 v31, 29, v22
	v_and_b32_e32 v22, 7, v32
; %bb.1241:                             ;   in Loop: Header=BB279_931 Depth=1
	s_or_b32 exec_lo, exec_lo, s21
	v_lshlrev_b32_sdwa v3, v65, v3 dst_sel:DWORD dst_unused:UNUSED_PAD src0_sel:DWORD src1_sel:WORD_0
	v_lshl_add_u32 v31, v31, 10, 0x2000
	v_lshlrev_b32_e32 v22, 23, v22
	v_and_or_b32 v3, 0x8000, v3, v31
	v_lshl_or_b32 v22, v3, 16, v22
.LBB279_1242:                           ;   in Loop: Header=BB279_931 Depth=1
	s_or_b32 exec_lo, exec_lo, s20
.LBB279_1243:                           ;   in Loop: Header=BB279_931 Depth=1
	s_or_b32 exec_lo, exec_lo, s19
.LBB279_1244:                           ;   in Loop: Header=BB279_931 Depth=1
	s_or_b32 exec_lo, exec_lo, s18
	v_lshrrev_b32_e32 v3, 16, v12
	v_cmp_ne_u16_sdwa s4, v3, v4 src0_sel:BYTE_0 src1_sel:DWORD
	s_and_saveexec_b32 s18, s4
	s_cbranch_execz .LBB279_1252
; %bb.1245:                             ;   in Loop: Header=BB279_931 Depth=1
	v_cmp_ne_u16_sdwa s4, v3, v39 src0_sel:BYTE_0 src1_sel:DWORD
	v_mov_b32_e32 v23, 0x8000
	s_and_saveexec_b32 s19, s4
	s_cbranch_execz .LBB279_1251
; %bb.1246:                             ;   in Loop: Header=BB279_931 Depth=1
	v_bfe_u32 v32, v12, 16, 7
	v_mov_b32_e32 v23, 0x7c01
	s_mov_b32 s20, exec_lo
	v_cmpx_ne_u32_e32 0x7f, v32
	s_cbranch_execz .LBB279_1250
; %bb.1247:                             ;   in Loop: Header=BB279_931 Depth=1
	v_and_b32_e32 v23, 7, v3
	v_lshrrev_b32_e32 v31, 3, v32
	s_mov_b32 s21, exec_lo
	v_cmpx_gt_u32_e32 8, v32
; %bb.1248:                             ;   in Loop: Header=BB279_931 Depth=1
	v_ffbh_u32_e32 v23, v23
	v_min_u32_e32 v23, 32, v23
	v_subrev_nc_u32_e32 v31, 28, v23
	v_lshlrev_b64 v[32:33], v31, v[3:4]
	v_sub_nc_u32_e32 v31, 29, v23
	v_and_b32_e32 v23, 7, v32
; %bb.1249:                             ;   in Loop: Header=BB279_931 Depth=1
	s_or_b32 exec_lo, exec_lo, s21
	v_lshlrev_b32_e32 v3, 8, v3
	v_lshl_add_u32 v31, v31, 10, 0x2000
	v_lshlrev_b32_e32 v23, 7, v23
	v_and_b32_e32 v3, 0x8000, v3
	v_and_b32_e32 v31, 0xfc00, v31
	v_or3_b32 v23, v3, v31, v23
.LBB279_1250:                           ;   in Loop: Header=BB279_931 Depth=1
	s_or_b32 exec_lo, exec_lo, s20
.LBB279_1251:                           ;   in Loop: Header=BB279_931 Depth=1
	s_or_b32 exec_lo, exec_lo, s19
.LBB279_1252:                           ;   in Loop: Header=BB279_931 Depth=1
	s_or_b32 exec_lo, exec_lo, s18
	v_cmp_lt_u64_e64 s4, s[6:7], v[11:12]
	v_mov_b32_e32 v11, 0
	s_and_saveexec_b32 s18, s4
	s_cbranch_execz .LBB279_1260
; %bb.1253:                             ;   in Loop: Header=BB279_931 Depth=1
	v_lshrrev_b32_e32 v3, 24, v12
	v_bfrev_b32_e32 v11, 1
	s_mov_b32 s19, exec_lo
	v_cmpx_ne_u32_e32 0x80, v3
	s_cbranch_execz .LBB279_1259
; %bb.1254:                             ;   in Loop: Header=BB279_931 Depth=1
	v_and_b32_e32 v31, 0x7f, v3
	v_mov_b32_e32 v11, 0x7c010000
	s_mov_b32 s20, exec_lo
	v_cmpx_ne_u32_e32 0x7f, v31
	s_cbranch_execz .LBB279_1258
; %bb.1255:                             ;   in Loop: Header=BB279_931 Depth=1
	v_and_b32_e32 v11, 7, v3
	v_lshrrev_b32_e32 v12, 3, v31
	s_mov_b32 s21, exec_lo
	v_cmpx_gt_u32_e32 8, v31
; %bb.1256:                             ;   in Loop: Header=BB279_931 Depth=1
	v_ffbh_u32_e32 v11, v11
	v_min_u32_e32 v31, 32, v11
	v_subrev_nc_u32_e32 v11, 28, v31
	v_lshlrev_b64 v[11:12], v11, v[3:4]
	v_sub_nc_u32_e32 v12, 29, v31
	v_and_b32_e32 v11, 7, v11
; %bb.1257:                             ;   in Loop: Header=BB279_931 Depth=1
	s_or_b32 exec_lo, exec_lo, s21
	v_lshlrev_b32_e32 v3, 8, v3
	v_lshl_add_u32 v12, v12, 10, 0x2000
	v_lshlrev_b32_e32 v11, 23, v11
	v_and_or_b32 v3, 0x8000, v3, v12
	v_lshl_or_b32 v11, v3, 16, v11
.LBB279_1258:                           ;   in Loop: Header=BB279_931 Depth=1
	s_or_b32 exec_lo, exec_lo, s20
.LBB279_1259:                           ;   in Loop: Header=BB279_931 Depth=1
	s_or_b32 exec_lo, exec_lo, s19
.LBB279_1260:                           ;   in Loop: Header=BB279_931 Depth=1
	s_or_b32 exec_lo, exec_lo, s18
	v_or_b32_e32 v3, v18, v29
	s_waitcnt vmcnt(0) lgkmcnt(0)
	v_fma_mixlo_f16 v12, v0, v18, 0 op_sel:[0,1,0] op_sel_hi:[0,1,0]
	v_or_b32_e32 v2, v1, v2
	v_fma_mixlo_f16 v18, v0, v1, 0 op_sel:[0,1,0] op_sel_hi:[0,1,0]
	v_or_b32_e32 v19, v22, v19
	v_fma_mixlo_f16 v3, v0, v3, 0 op_sel_hi:[0,1,0]
	v_or_b32_e32 v23, v11, v23
	v_lshlrev_b32_e32 v1, 16, v12
	v_lshlrev_b32_e32 v12, 16, v18
	v_fma_mixlo_f16 v18, v0, v2, 0 op_sel_hi:[0,1,0]
	v_and_b32_e32 v2, 0xffff, v3
	v_fma_mixlo_f16 v3, v0, v22, 0 op_sel:[0,1,0] op_sel_hi:[0,1,0]
	v_fma_mixlo_f16 v19, v0, v19, 0 op_sel_hi:[0,1,0]
	v_fma_mixlo_f16 v11, v0, v11, 0 op_sel:[0,1,0] op_sel_hi:[0,1,0]
	v_fma_mixlo_f16 v22, v0, v23, 0 op_sel_hi:[0,1,0]
	v_and_b32_e32 v31, 0xffff, v18
	v_lshlrev_b32_e32 v3, 16, v3
	v_and_b32_e32 v19, 0xffff, v19
	v_lshlrev_b32_e32 v0, 16, v11
	v_and_b32_e32 v11, 0xffff, v22
	v_or_b32_e32 v18, v1, v2
	v_or_b32_e32 v29, v12, v31
	;; [unrolled: 1-line block ×4, first 2 shown]
	s_and_saveexec_b32 s18, vcc_lo
	s_cbranch_execz .LBB279_1262
; %bb.1261:                             ;   in Loop: Header=BB279_931 Depth=1
	v_cmp_lt_i32_e64 s4, v69, v30
	v_cndmask_b32_e64 v18, 0, v31, s4
	v_cmp_lt_i32_e64 s4, v98, v30
	v_cndmask_b32_e64 v12, 0, v12, s4
	v_cmp_lt_i32_e64 s4, v97, v30
	v_or_b32_e32 v29, v18, v12
	v_cndmask_b32_e64 v2, 0, v2, s4
	v_cmp_lt_i32_e64 s4, v96, v30
	v_cndmask_b32_e64 v1, 0, v1, s4
	v_cmp_lt_i32_e64 s4, v87, v30
	v_or_b32_e32 v18, v2, v1
	;; [unrolled: 5-line block ×3, first 2 shown]
	v_cndmask_b32_e64 v11, 0, v11, s4
	v_cmp_lt_i32_e64 s4, v84, v30
	v_cndmask_b32_e64 v0, 0, v0, s4
	v_or_b32_e32 v22, v11, v0
.LBB279_1262:                           ;   in Loop: Header=BB279_931 Depth=1
	s_or_b32 exec_lo, exec_lo, s18
	;;#ASMSTART
	v_pk_mul_f16 v0, v83, v29;

	;;#ASMEND
	;;#ASMSTART
	v_pk_mul_f16 v1, v82, v18;

	;;#ASMEND
	;; [unrolled: 4-line block ×4, first 2 shown]
	;;#ASMSTART
	v_pk_add_f16 v0, v0, v1;

	;;#ASMEND
	;;#ASMSTART
	v_pk_add_f16 v0, v0, v2;

	;;#ASMEND
	;; [unrolled: 4-line block ×3, first 2 shown]
	v_and_b32_e32 v1, 0xffff, v0
	v_lshrrev_b32_e32 v0, 16, v0
	;;#ASMSTART
	v_cvt_f32_f16 v113, v1;
	;;#ASMEND
	;;#ASMSTART
	v_cvt_f32_f16 v114, v0;
	;;#ASMEND
	flat_load_dwordx2 v[11:12], v[9:10] offset:1280
	flat_load_dword v0, v[56:57]
	v_mov_b32_e32 v1, 0
	v_mov_b32_e32 v2, 0
	s_waitcnt vmcnt(1) lgkmcnt(1)
	v_cmp_ne_u16_sdwa s4, v11, v4 src0_sel:BYTE_0 src1_sel:DWORD
	s_and_saveexec_b32 s18, s4
	s_cbranch_execz .LBB279_1270
; %bb.1263:                             ;   in Loop: Header=BB279_931 Depth=1
	v_cmp_ne_u16_sdwa s4, v11, v39 src0_sel:BYTE_0 src1_sel:DWORD
	v_mov_b32_e32 v2, 0x8000
	s_and_saveexec_b32 s19, s4
	s_cbranch_execz .LBB279_1269
; %bb.1264:                             ;   in Loop: Header=BB279_931 Depth=1
	v_and_b32_e32 v18, 0x7f, v11
	v_mov_b32_e32 v2, 0x7c01
	s_mov_b32 s20, exec_lo
	v_cmpx_ne_u32_e32 0x7f, v18
	s_cbranch_execz .LBB279_1268
; %bb.1265:                             ;   in Loop: Header=BB279_931 Depth=1
	v_and_b32_e32 v2, 7, v11
	v_lshrrev_b32_e32 v3, 3, v18
	s_mov_b32 s21, exec_lo
	v_cmpx_gt_u32_e32 8, v18
; %bb.1266:                             ;   in Loop: Header=BB279_931 Depth=1
	v_ffbh_u32_e32 v2, v2
	v_min_u32_e32 v18, 32, v2
	v_subrev_nc_u32_e32 v2, 28, v18
	v_lshlrev_b64 v[2:3], v2, v[11:12]
	v_sub_nc_u32_e32 v3, 29, v18
	v_and_b32_e32 v2, 7, v2
; %bb.1267:                             ;   in Loop: Header=BB279_931 Depth=1
	s_or_b32 exec_lo, exec_lo, s21
	v_lshlrev_b32_e32 v18, 8, v11
	v_lshl_add_u32 v3, v3, 10, 0x2000
	v_lshlrev_b32_e32 v2, 7, v2
	v_and_b32_e32 v18, 0x8000, v18
	v_and_b32_e32 v3, 0xfc00, v3
	v_or3_b32 v2, v18, v3, v2
.LBB279_1268:                           ;   in Loop: Header=BB279_931 Depth=1
	s_or_b32 exec_lo, exec_lo, s20
.LBB279_1269:                           ;   in Loop: Header=BB279_931 Depth=1
	s_or_b32 exec_lo, exec_lo, s19
.LBB279_1270:                           ;   in Loop: Header=BB279_931 Depth=1
	s_or_b32 exec_lo, exec_lo, s18
	v_lshrrev_b16 v3, 8, v11
	s_mov_b32 s18, exec_lo
	v_cmpx_ne_u16_e32 0, v3
	s_cbranch_execz .LBB279_1278
; %bb.1271:                             ;   in Loop: Header=BB279_931 Depth=1
	v_bfrev_b32_e32 v1, 1
	s_mov_b32 s19, exec_lo
	v_cmpx_ne_u16_e32 0x80, v3
	s_cbranch_execz .LBB279_1277
; %bb.1272:                             ;   in Loop: Header=BB279_931 Depth=1
	v_and_b32_sdwa v19, v3, v48 dst_sel:DWORD dst_unused:UNUSED_PAD src0_sel:WORD_0 src1_sel:DWORD
	v_mov_b32_e32 v1, 0x7c010000
	s_mov_b32 s20, exec_lo
	v_cmpx_ne_u32_e32 0x7f, v19
	s_cbranch_execz .LBB279_1276
; %bb.1273:                             ;   in Loop: Header=BB279_931 Depth=1
	v_and_b32_sdwa v1, v3, v64 dst_sel:DWORD dst_unused:UNUSED_PAD src0_sel:WORD_0 src1_sel:DWORD
	v_lshrrev_b32_e32 v18, 3, v19
	s_mov_b32 s21, exec_lo
	v_cmpx_gt_u32_e32 8, v19
; %bb.1274:                             ;   in Loop: Header=BB279_931 Depth=1
	v_ffbh_u32_e32 v1, v1
	v_min_u32_e32 v1, 32, v1
	v_subrev_nc_u32_e32 v18, 28, v1
	v_lshlrev_b64 v[22:23], v18, v[3:4]
	v_sub_nc_u32_e32 v18, 29, v1
	v_and_b32_e32 v1, 7, v22
; %bb.1275:                             ;   in Loop: Header=BB279_931 Depth=1
	s_or_b32 exec_lo, exec_lo, s21
	v_lshlrev_b32_sdwa v3, v65, v3 dst_sel:DWORD dst_unused:UNUSED_PAD src0_sel:DWORD src1_sel:WORD_0
	v_lshl_add_u32 v18, v18, 10, 0x2000
	v_lshlrev_b32_e32 v1, 23, v1
	v_and_or_b32 v3, 0x8000, v3, v18
	v_lshl_or_b32 v1, v3, 16, v1
.LBB279_1276:                           ;   in Loop: Header=BB279_931 Depth=1
	s_or_b32 exec_lo, exec_lo, s20
.LBB279_1277:                           ;   in Loop: Header=BB279_931 Depth=1
	s_or_b32 exec_lo, exec_lo, s19
.LBB279_1278:                           ;   in Loop: Header=BB279_931 Depth=1
	s_or_b32 exec_lo, exec_lo, s18
	v_lshrrev_b32_e32 v3, 16, v11
	v_mov_b32_e32 v18, 0
	v_mov_b32_e32 v29, 0
	v_cmp_ne_u16_sdwa s4, v3, v4 src0_sel:BYTE_0 src1_sel:DWORD
	s_and_saveexec_b32 s18, s4
	s_cbranch_execz .LBB279_1286
; %bb.1279:                             ;   in Loop: Header=BB279_931 Depth=1
	v_cmp_ne_u16_sdwa s4, v3, v39 src0_sel:BYTE_0 src1_sel:DWORD
	v_mov_b32_e32 v29, 0x8000
	s_and_saveexec_b32 s19, s4
	s_cbranch_execz .LBB279_1285
; %bb.1280:                             ;   in Loop: Header=BB279_931 Depth=1
	v_bfe_u32 v23, v11, 16, 7
	v_mov_b32_e32 v29, 0x7c01
	s_mov_b32 s20, exec_lo
	v_cmpx_ne_u32_e32 0x7f, v23
	s_cbranch_execz .LBB279_1284
; %bb.1281:                             ;   in Loop: Header=BB279_931 Depth=1
	v_and_b32_e32 v19, 7, v3
	v_lshrrev_b32_e32 v22, 3, v23
	s_mov_b32 s21, exec_lo
	v_cmpx_gt_u32_e32 8, v23
; %bb.1282:                             ;   in Loop: Header=BB279_931 Depth=1
	v_ffbh_u32_e32 v19, v19
	v_min_u32_e32 v19, 32, v19
	v_subrev_nc_u32_e32 v22, 28, v19
	v_lshlrev_b64 v[31:32], v22, v[3:4]
	v_sub_nc_u32_e32 v22, 29, v19
	v_and_b32_e32 v19, 7, v31
; %bb.1283:                             ;   in Loop: Header=BB279_931 Depth=1
	s_or_b32 exec_lo, exec_lo, s21
	v_lshlrev_b32_e32 v3, 8, v3
	v_lshl_add_u32 v22, v22, 10, 0x2000
	v_lshlrev_b32_e32 v19, 7, v19
	v_and_b32_e32 v3, 0x8000, v3
	v_and_b32_e32 v22, 0xfc00, v22
	v_or3_b32 v29, v3, v22, v19
.LBB279_1284:                           ;   in Loop: Header=BB279_931 Depth=1
	s_or_b32 exec_lo, exec_lo, s20
.LBB279_1285:                           ;   in Loop: Header=BB279_931 Depth=1
	s_or_b32 exec_lo, exec_lo, s19
.LBB279_1286:                           ;   in Loop: Header=BB279_931 Depth=1
	s_or_b32 exec_lo, exec_lo, s18
	s_mov_b32 s18, exec_lo
	v_cmpx_lt_u32_e32 0xffffff, v11
	s_cbranch_execz .LBB279_1294
; %bb.1287:                             ;   in Loop: Header=BB279_931 Depth=1
	v_lshrrev_b32_e32 v3, 24, v11
	v_bfrev_b32_e32 v18, 1
	s_mov_b32 s19, exec_lo
	v_cmpx_ne_u32_e32 0x80, v3
	s_cbranch_execz .LBB279_1293
; %bb.1288:                             ;   in Loop: Header=BB279_931 Depth=1
	v_and_b32_e32 v22, 0x7f, v3
	v_mov_b32_e32 v18, 0x7c010000
	s_mov_b32 s20, exec_lo
	v_cmpx_ne_u32_e32 0x7f, v22
	s_cbranch_execz .LBB279_1292
; %bb.1289:                             ;   in Loop: Header=BB279_931 Depth=1
	v_and_b32_e32 v18, 7, v3
	v_lshrrev_b32_e32 v19, 3, v22
	s_mov_b32 s21, exec_lo
	v_cmpx_gt_u32_e32 8, v22
; %bb.1290:                             ;   in Loop: Header=BB279_931 Depth=1
	v_ffbh_u32_e32 v18, v18
	v_min_u32_e32 v22, 32, v18
	v_subrev_nc_u32_e32 v18, 28, v22
	v_lshlrev_b64 v[18:19], v18, v[3:4]
	v_sub_nc_u32_e32 v19, 29, v22
	v_and_b32_e32 v18, 7, v18
; %bb.1291:                             ;   in Loop: Header=BB279_931 Depth=1
	s_or_b32 exec_lo, exec_lo, s21
	v_lshlrev_b32_e32 v3, 8, v3
	v_lshl_add_u32 v19, v19, 10, 0x2000
	v_lshlrev_b32_e32 v18, 23, v18
	v_and_or_b32 v3, 0x8000, v3, v19
	v_lshl_or_b32 v18, v3, 16, v18
.LBB279_1292:                           ;   in Loop: Header=BB279_931 Depth=1
	s_or_b32 exec_lo, exec_lo, s20
.LBB279_1293:                           ;   in Loop: Header=BB279_931 Depth=1
	s_or_b32 exec_lo, exec_lo, s19
.LBB279_1294:                           ;   in Loop: Header=BB279_931 Depth=1
	s_or_b32 exec_lo, exec_lo, s18
	v_mov_b32_e32 v3, v12
	v_cmp_ne_u16_sdwa s4, v12, v4 src0_sel:BYTE_0 src1_sel:DWORD
	v_mov_b32_e32 v23, 0
	v_mov_b32_e32 v19, 0
	s_and_saveexec_b32 s18, s4
	s_cbranch_execz .LBB279_1302
; %bb.1295:                             ;   in Loop: Header=BB279_931 Depth=1
	v_cmp_ne_u16_sdwa s4, v12, v39 src0_sel:BYTE_0 src1_sel:DWORD
	v_mov_b32_e32 v19, 0x8000
	s_and_saveexec_b32 s19, s4
	s_cbranch_execz .LBB279_1301
; %bb.1296:                             ;   in Loop: Header=BB279_931 Depth=1
	v_and_b32_e32 v31, 0x7f, v12
	v_mov_b32_e32 v19, 0x7c01
	s_mov_b32 s20, exec_lo
	v_cmpx_ne_u32_e32 0x7f, v31
	s_cbranch_execz .LBB279_1300
; %bb.1297:                             ;   in Loop: Header=BB279_931 Depth=1
	v_and_b32_e32 v19, 7, v12
	v_lshrrev_b32_e32 v22, 3, v31
	s_mov_b32 s21, exec_lo
	v_cmpx_gt_u32_e32 8, v31
; %bb.1298:                             ;   in Loop: Header=BB279_931 Depth=1
	v_ffbh_u32_e32 v19, v19
	v_min_u32_e32 v19, 32, v19
	v_subrev_nc_u32_e32 v22, 28, v19
	v_lshlrev_b64 v[31:32], v22, v[3:4]
	v_sub_nc_u32_e32 v22, 29, v19
	v_and_b32_e32 v19, 7, v31
; %bb.1299:                             ;   in Loop: Header=BB279_931 Depth=1
	s_or_b32 exec_lo, exec_lo, s21
	v_lshlrev_b32_e32 v31, 8, v12
	v_lshl_add_u32 v22, v22, 10, 0x2000
	v_lshlrev_b32_e32 v19, 7, v19
	v_and_b32_e32 v31, 0x8000, v31
	v_and_b32_e32 v22, 0xfc00, v22
	v_or3_b32 v19, v31, v22, v19
.LBB279_1300:                           ;   in Loop: Header=BB279_931 Depth=1
	s_or_b32 exec_lo, exec_lo, s20
.LBB279_1301:                           ;   in Loop: Header=BB279_931 Depth=1
	s_or_b32 exec_lo, exec_lo, s19
.LBB279_1302:                           ;   in Loop: Header=BB279_931 Depth=1
	s_or_b32 exec_lo, exec_lo, s18
	v_lshrrev_b16 v3, 8, v3
	v_mov_b32_e32 v22, 0
	s_mov_b32 s18, exec_lo
	v_cmpx_ne_u16_e32 0, v3
	s_cbranch_execz .LBB279_1310
; %bb.1303:                             ;   in Loop: Header=BB279_931 Depth=1
	v_bfrev_b32_e32 v22, 1
	s_mov_b32 s19, exec_lo
	v_cmpx_ne_u16_e32 0x80, v3
	s_cbranch_execz .LBB279_1309
; %bb.1304:                             ;   in Loop: Header=BB279_931 Depth=1
	v_and_b32_sdwa v32, v3, v48 dst_sel:DWORD dst_unused:UNUSED_PAD src0_sel:WORD_0 src1_sel:DWORD
	v_mov_b32_e32 v22, 0x7c010000
	s_mov_b32 s20, exec_lo
	v_cmpx_ne_u32_e32 0x7f, v32
	s_cbranch_execz .LBB279_1308
; %bb.1305:                             ;   in Loop: Header=BB279_931 Depth=1
	v_and_b32_sdwa v22, v3, v64 dst_sel:DWORD dst_unused:UNUSED_PAD src0_sel:WORD_0 src1_sel:DWORD
	v_lshrrev_b32_e32 v31, 3, v32
	s_mov_b32 s21, exec_lo
	v_cmpx_gt_u32_e32 8, v32
; %bb.1306:                             ;   in Loop: Header=BB279_931 Depth=1
	v_ffbh_u32_e32 v22, v22
	v_min_u32_e32 v22, 32, v22
	v_subrev_nc_u32_e32 v31, 28, v22
	v_lshlrev_b64 v[32:33], v31, v[3:4]
	v_sub_nc_u32_e32 v31, 29, v22
	v_and_b32_e32 v22, 7, v32
; %bb.1307:                             ;   in Loop: Header=BB279_931 Depth=1
	s_or_b32 exec_lo, exec_lo, s21
	v_lshlrev_b32_sdwa v3, v65, v3 dst_sel:DWORD dst_unused:UNUSED_PAD src0_sel:DWORD src1_sel:WORD_0
	v_lshl_add_u32 v31, v31, 10, 0x2000
	v_lshlrev_b32_e32 v22, 23, v22
	v_and_or_b32 v3, 0x8000, v3, v31
	v_lshl_or_b32 v22, v3, 16, v22
.LBB279_1308:                           ;   in Loop: Header=BB279_931 Depth=1
	s_or_b32 exec_lo, exec_lo, s20
.LBB279_1309:                           ;   in Loop: Header=BB279_931 Depth=1
	s_or_b32 exec_lo, exec_lo, s19
.LBB279_1310:                           ;   in Loop: Header=BB279_931 Depth=1
	s_or_b32 exec_lo, exec_lo, s18
	v_lshrrev_b32_e32 v3, 16, v12
	v_cmp_ne_u16_sdwa s4, v3, v4 src0_sel:BYTE_0 src1_sel:DWORD
	s_and_saveexec_b32 s18, s4
	s_cbranch_execz .LBB279_1318
; %bb.1311:                             ;   in Loop: Header=BB279_931 Depth=1
	v_cmp_ne_u16_sdwa s4, v3, v39 src0_sel:BYTE_0 src1_sel:DWORD
	v_mov_b32_e32 v23, 0x8000
	s_and_saveexec_b32 s19, s4
	s_cbranch_execz .LBB279_1317
; %bb.1312:                             ;   in Loop: Header=BB279_931 Depth=1
	v_bfe_u32 v32, v12, 16, 7
	v_mov_b32_e32 v23, 0x7c01
	s_mov_b32 s20, exec_lo
	v_cmpx_ne_u32_e32 0x7f, v32
	s_cbranch_execz .LBB279_1316
; %bb.1313:                             ;   in Loop: Header=BB279_931 Depth=1
	v_and_b32_e32 v23, 7, v3
	v_lshrrev_b32_e32 v31, 3, v32
	s_mov_b32 s21, exec_lo
	v_cmpx_gt_u32_e32 8, v32
; %bb.1314:                             ;   in Loop: Header=BB279_931 Depth=1
	v_ffbh_u32_e32 v23, v23
	v_min_u32_e32 v23, 32, v23
	v_subrev_nc_u32_e32 v31, 28, v23
	v_lshlrev_b64 v[32:33], v31, v[3:4]
	v_sub_nc_u32_e32 v31, 29, v23
	v_and_b32_e32 v23, 7, v32
; %bb.1315:                             ;   in Loop: Header=BB279_931 Depth=1
	s_or_b32 exec_lo, exec_lo, s21
	v_lshlrev_b32_e32 v3, 8, v3
	v_lshl_add_u32 v31, v31, 10, 0x2000
	v_lshlrev_b32_e32 v23, 7, v23
	v_and_b32_e32 v3, 0x8000, v3
	v_and_b32_e32 v31, 0xfc00, v31
	v_or3_b32 v23, v3, v31, v23
.LBB279_1316:                           ;   in Loop: Header=BB279_931 Depth=1
	s_or_b32 exec_lo, exec_lo, s20
.LBB279_1317:                           ;   in Loop: Header=BB279_931 Depth=1
	s_or_b32 exec_lo, exec_lo, s19
.LBB279_1318:                           ;   in Loop: Header=BB279_931 Depth=1
	s_or_b32 exec_lo, exec_lo, s18
	v_cmp_lt_u64_e64 s4, s[6:7], v[11:12]
	v_mov_b32_e32 v11, 0
	s_and_saveexec_b32 s18, s4
	s_cbranch_execz .LBB279_1326
; %bb.1319:                             ;   in Loop: Header=BB279_931 Depth=1
	v_lshrrev_b32_e32 v3, 24, v12
	v_bfrev_b32_e32 v11, 1
	s_mov_b32 s19, exec_lo
	v_cmpx_ne_u32_e32 0x80, v3
	s_cbranch_execz .LBB279_1325
; %bb.1320:                             ;   in Loop: Header=BB279_931 Depth=1
	v_and_b32_e32 v31, 0x7f, v3
	v_mov_b32_e32 v11, 0x7c010000
	s_mov_b32 s20, exec_lo
	v_cmpx_ne_u32_e32 0x7f, v31
	s_cbranch_execz .LBB279_1324
; %bb.1321:                             ;   in Loop: Header=BB279_931 Depth=1
	v_and_b32_e32 v11, 7, v3
	v_lshrrev_b32_e32 v12, 3, v31
	s_mov_b32 s21, exec_lo
	v_cmpx_gt_u32_e32 8, v31
; %bb.1322:                             ;   in Loop: Header=BB279_931 Depth=1
	v_ffbh_u32_e32 v11, v11
	v_min_u32_e32 v31, 32, v11
	v_subrev_nc_u32_e32 v11, 28, v31
	v_lshlrev_b64 v[11:12], v11, v[3:4]
	v_sub_nc_u32_e32 v12, 29, v31
	v_and_b32_e32 v11, 7, v11
; %bb.1323:                             ;   in Loop: Header=BB279_931 Depth=1
	s_or_b32 exec_lo, exec_lo, s21
	v_lshlrev_b32_e32 v3, 8, v3
	v_lshl_add_u32 v12, v12, 10, 0x2000
	v_lshlrev_b32_e32 v11, 23, v11
	v_and_or_b32 v3, 0x8000, v3, v12
	v_lshl_or_b32 v11, v3, 16, v11
.LBB279_1324:                           ;   in Loop: Header=BB279_931 Depth=1
	s_or_b32 exec_lo, exec_lo, s20
.LBB279_1325:                           ;   in Loop: Header=BB279_931 Depth=1
	s_or_b32 exec_lo, exec_lo, s19
.LBB279_1326:                           ;   in Loop: Header=BB279_931 Depth=1
	s_or_b32 exec_lo, exec_lo, s18
	v_or_b32_e32 v3, v18, v29
	s_waitcnt vmcnt(0) lgkmcnt(0)
	v_fma_mixlo_f16 v12, v0, v18, 0 op_sel:[0,1,0] op_sel_hi:[0,1,0]
	v_or_b32_e32 v2, v1, v2
	v_fma_mixlo_f16 v18, v0, v1, 0 op_sel:[0,1,0] op_sel_hi:[0,1,0]
	v_or_b32_e32 v19, v22, v19
	v_fma_mixlo_f16 v3, v0, v3, 0 op_sel_hi:[0,1,0]
	v_or_b32_e32 v23, v11, v23
	v_lshlrev_b32_e32 v1, 16, v12
	v_lshlrev_b32_e32 v12, 16, v18
	v_fma_mixlo_f16 v18, v0, v2, 0 op_sel_hi:[0,1,0]
	v_and_b32_e32 v2, 0xffff, v3
	v_fma_mixlo_f16 v3, v0, v22, 0 op_sel:[0,1,0] op_sel_hi:[0,1,0]
	v_fma_mixlo_f16 v19, v0, v19, 0 op_sel_hi:[0,1,0]
	v_fma_mixlo_f16 v11, v0, v11, 0 op_sel:[0,1,0] op_sel_hi:[0,1,0]
	v_fma_mixlo_f16 v22, v0, v23, 0 op_sel_hi:[0,1,0]
	v_and_b32_e32 v31, 0xffff, v18
	v_lshlrev_b32_e32 v3, 16, v3
	v_and_b32_e32 v19, 0xffff, v19
	v_lshlrev_b32_e32 v0, 16, v11
	v_and_b32_e32 v11, 0xffff, v22
	v_or_b32_e32 v18, v1, v2
	v_or_b32_e32 v29, v12, v31
	;; [unrolled: 1-line block ×4, first 2 shown]
	s_and_saveexec_b32 s18, vcc_lo
	s_cbranch_execz .LBB279_1328
; %bb.1327:                             ;   in Loop: Header=BB279_931 Depth=1
	v_cmp_lt_i32_e64 s4, v69, v30
	v_cndmask_b32_e64 v18, 0, v31, s4
	v_cmp_lt_i32_e64 s4, v98, v30
	v_cndmask_b32_e64 v12, 0, v12, s4
	v_cmp_lt_i32_e64 s4, v97, v30
	v_or_b32_e32 v29, v18, v12
	v_cndmask_b32_e64 v2, 0, v2, s4
	v_cmp_lt_i32_e64 s4, v96, v30
	v_cndmask_b32_e64 v1, 0, v1, s4
	v_cmp_lt_i32_e64 s4, v87, v30
	v_or_b32_e32 v18, v2, v1
	;; [unrolled: 5-line block ×3, first 2 shown]
	v_cndmask_b32_e64 v11, 0, v11, s4
	v_cmp_lt_i32_e64 s4, v84, v30
	v_cndmask_b32_e64 v0, 0, v0, s4
	v_or_b32_e32 v22, v11, v0
.LBB279_1328:                           ;   in Loop: Header=BB279_931 Depth=1
	s_or_b32 exec_lo, exec_lo, s18
	;;#ASMSTART
	v_pk_mul_f16 v0, v83, v29;

	;;#ASMEND
	;;#ASMSTART
	v_pk_mul_f16 v1, v82, v18;

	;;#ASMEND
	;; [unrolled: 4-line block ×4, first 2 shown]
	;;#ASMSTART
	v_pk_add_f16 v0, v0, v1;

	;;#ASMEND
	;;#ASMSTART
	v_pk_add_f16 v0, v0, v2;

	;;#ASMEND
	;; [unrolled: 4-line block ×3, first 2 shown]
	v_and_b32_e32 v1, 0xffff, v0
	v_lshrrev_b32_e32 v0, 16, v0
	;;#ASMSTART
	v_cvt_f32_f16 v115, v1;
	;;#ASMEND
	;;#ASMSTART
	v_cvt_f32_f16 v116, v0;
	;;#ASMEND
	flat_load_dwordx2 v[11:12], v[9:10] offset:1536
	flat_load_dword v0, v[56:57]
	v_mov_b32_e32 v1, 0
	v_mov_b32_e32 v2, 0
	s_waitcnt vmcnt(1) lgkmcnt(1)
	v_cmp_ne_u16_sdwa s4, v11, v4 src0_sel:BYTE_0 src1_sel:DWORD
	s_and_saveexec_b32 s18, s4
	s_cbranch_execz .LBB279_1336
; %bb.1329:                             ;   in Loop: Header=BB279_931 Depth=1
	v_cmp_ne_u16_sdwa s4, v11, v39 src0_sel:BYTE_0 src1_sel:DWORD
	v_mov_b32_e32 v2, 0x8000
	s_and_saveexec_b32 s19, s4
	s_cbranch_execz .LBB279_1335
; %bb.1330:                             ;   in Loop: Header=BB279_931 Depth=1
	v_and_b32_e32 v18, 0x7f, v11
	v_mov_b32_e32 v2, 0x7c01
	s_mov_b32 s20, exec_lo
	v_cmpx_ne_u32_e32 0x7f, v18
	s_cbranch_execz .LBB279_1334
; %bb.1331:                             ;   in Loop: Header=BB279_931 Depth=1
	v_and_b32_e32 v2, 7, v11
	v_lshrrev_b32_e32 v3, 3, v18
	s_mov_b32 s21, exec_lo
	v_cmpx_gt_u32_e32 8, v18
; %bb.1332:                             ;   in Loop: Header=BB279_931 Depth=1
	v_ffbh_u32_e32 v2, v2
	v_min_u32_e32 v18, 32, v2
	v_subrev_nc_u32_e32 v2, 28, v18
	v_lshlrev_b64 v[2:3], v2, v[11:12]
	v_sub_nc_u32_e32 v3, 29, v18
	v_and_b32_e32 v2, 7, v2
; %bb.1333:                             ;   in Loop: Header=BB279_931 Depth=1
	s_or_b32 exec_lo, exec_lo, s21
	v_lshlrev_b32_e32 v18, 8, v11
	v_lshl_add_u32 v3, v3, 10, 0x2000
	v_lshlrev_b32_e32 v2, 7, v2
	v_and_b32_e32 v18, 0x8000, v18
	v_and_b32_e32 v3, 0xfc00, v3
	v_or3_b32 v2, v18, v3, v2
.LBB279_1334:                           ;   in Loop: Header=BB279_931 Depth=1
	s_or_b32 exec_lo, exec_lo, s20
.LBB279_1335:                           ;   in Loop: Header=BB279_931 Depth=1
	s_or_b32 exec_lo, exec_lo, s19
.LBB279_1336:                           ;   in Loop: Header=BB279_931 Depth=1
	s_or_b32 exec_lo, exec_lo, s18
	v_lshrrev_b16 v3, 8, v11
	s_mov_b32 s18, exec_lo
	v_cmpx_ne_u16_e32 0, v3
	s_cbranch_execz .LBB279_1344
; %bb.1337:                             ;   in Loop: Header=BB279_931 Depth=1
	v_bfrev_b32_e32 v1, 1
	s_mov_b32 s19, exec_lo
	v_cmpx_ne_u16_e32 0x80, v3
	s_cbranch_execz .LBB279_1343
; %bb.1338:                             ;   in Loop: Header=BB279_931 Depth=1
	v_and_b32_sdwa v19, v3, v48 dst_sel:DWORD dst_unused:UNUSED_PAD src0_sel:WORD_0 src1_sel:DWORD
	v_mov_b32_e32 v1, 0x7c010000
	s_mov_b32 s20, exec_lo
	v_cmpx_ne_u32_e32 0x7f, v19
	s_cbranch_execz .LBB279_1342
; %bb.1339:                             ;   in Loop: Header=BB279_931 Depth=1
	v_and_b32_sdwa v1, v3, v64 dst_sel:DWORD dst_unused:UNUSED_PAD src0_sel:WORD_0 src1_sel:DWORD
	v_lshrrev_b32_e32 v18, 3, v19
	s_mov_b32 s21, exec_lo
	v_cmpx_gt_u32_e32 8, v19
; %bb.1340:                             ;   in Loop: Header=BB279_931 Depth=1
	v_ffbh_u32_e32 v1, v1
	v_min_u32_e32 v1, 32, v1
	v_subrev_nc_u32_e32 v18, 28, v1
	v_lshlrev_b64 v[22:23], v18, v[3:4]
	v_sub_nc_u32_e32 v18, 29, v1
	v_and_b32_e32 v1, 7, v22
; %bb.1341:                             ;   in Loop: Header=BB279_931 Depth=1
	s_or_b32 exec_lo, exec_lo, s21
	v_lshlrev_b32_sdwa v3, v65, v3 dst_sel:DWORD dst_unused:UNUSED_PAD src0_sel:DWORD src1_sel:WORD_0
	v_lshl_add_u32 v18, v18, 10, 0x2000
	v_lshlrev_b32_e32 v1, 23, v1
	v_and_or_b32 v3, 0x8000, v3, v18
	v_lshl_or_b32 v1, v3, 16, v1
.LBB279_1342:                           ;   in Loop: Header=BB279_931 Depth=1
	s_or_b32 exec_lo, exec_lo, s20
.LBB279_1343:                           ;   in Loop: Header=BB279_931 Depth=1
	s_or_b32 exec_lo, exec_lo, s19
.LBB279_1344:                           ;   in Loop: Header=BB279_931 Depth=1
	s_or_b32 exec_lo, exec_lo, s18
	v_lshrrev_b32_e32 v3, 16, v11
	v_mov_b32_e32 v18, 0
	v_mov_b32_e32 v29, 0
	v_cmp_ne_u16_sdwa s4, v3, v4 src0_sel:BYTE_0 src1_sel:DWORD
	s_and_saveexec_b32 s18, s4
	s_cbranch_execz .LBB279_1352
; %bb.1345:                             ;   in Loop: Header=BB279_931 Depth=1
	v_cmp_ne_u16_sdwa s4, v3, v39 src0_sel:BYTE_0 src1_sel:DWORD
	v_mov_b32_e32 v29, 0x8000
	s_and_saveexec_b32 s19, s4
	s_cbranch_execz .LBB279_1351
; %bb.1346:                             ;   in Loop: Header=BB279_931 Depth=1
	v_bfe_u32 v23, v11, 16, 7
	v_mov_b32_e32 v29, 0x7c01
	s_mov_b32 s20, exec_lo
	v_cmpx_ne_u32_e32 0x7f, v23
	s_cbranch_execz .LBB279_1350
; %bb.1347:                             ;   in Loop: Header=BB279_931 Depth=1
	v_and_b32_e32 v19, 7, v3
	v_lshrrev_b32_e32 v22, 3, v23
	s_mov_b32 s21, exec_lo
	v_cmpx_gt_u32_e32 8, v23
; %bb.1348:                             ;   in Loop: Header=BB279_931 Depth=1
	v_ffbh_u32_e32 v19, v19
	v_min_u32_e32 v19, 32, v19
	v_subrev_nc_u32_e32 v22, 28, v19
	v_lshlrev_b64 v[31:32], v22, v[3:4]
	v_sub_nc_u32_e32 v22, 29, v19
	v_and_b32_e32 v19, 7, v31
; %bb.1349:                             ;   in Loop: Header=BB279_931 Depth=1
	s_or_b32 exec_lo, exec_lo, s21
	v_lshlrev_b32_e32 v3, 8, v3
	v_lshl_add_u32 v22, v22, 10, 0x2000
	v_lshlrev_b32_e32 v19, 7, v19
	v_and_b32_e32 v3, 0x8000, v3
	v_and_b32_e32 v22, 0xfc00, v22
	v_or3_b32 v29, v3, v22, v19
.LBB279_1350:                           ;   in Loop: Header=BB279_931 Depth=1
	s_or_b32 exec_lo, exec_lo, s20
.LBB279_1351:                           ;   in Loop: Header=BB279_931 Depth=1
	s_or_b32 exec_lo, exec_lo, s19
.LBB279_1352:                           ;   in Loop: Header=BB279_931 Depth=1
	s_or_b32 exec_lo, exec_lo, s18
	s_mov_b32 s18, exec_lo
	v_cmpx_lt_u32_e32 0xffffff, v11
	s_cbranch_execz .LBB279_1360
; %bb.1353:                             ;   in Loop: Header=BB279_931 Depth=1
	v_lshrrev_b32_e32 v3, 24, v11
	v_bfrev_b32_e32 v18, 1
	s_mov_b32 s19, exec_lo
	v_cmpx_ne_u32_e32 0x80, v3
	s_cbranch_execz .LBB279_1359
; %bb.1354:                             ;   in Loop: Header=BB279_931 Depth=1
	v_and_b32_e32 v22, 0x7f, v3
	v_mov_b32_e32 v18, 0x7c010000
	s_mov_b32 s20, exec_lo
	v_cmpx_ne_u32_e32 0x7f, v22
	s_cbranch_execz .LBB279_1358
; %bb.1355:                             ;   in Loop: Header=BB279_931 Depth=1
	v_and_b32_e32 v18, 7, v3
	v_lshrrev_b32_e32 v19, 3, v22
	s_mov_b32 s21, exec_lo
	v_cmpx_gt_u32_e32 8, v22
; %bb.1356:                             ;   in Loop: Header=BB279_931 Depth=1
	v_ffbh_u32_e32 v18, v18
	v_min_u32_e32 v22, 32, v18
	v_subrev_nc_u32_e32 v18, 28, v22
	v_lshlrev_b64 v[18:19], v18, v[3:4]
	v_sub_nc_u32_e32 v19, 29, v22
	v_and_b32_e32 v18, 7, v18
; %bb.1357:                             ;   in Loop: Header=BB279_931 Depth=1
	s_or_b32 exec_lo, exec_lo, s21
	v_lshlrev_b32_e32 v3, 8, v3
	v_lshl_add_u32 v19, v19, 10, 0x2000
	v_lshlrev_b32_e32 v18, 23, v18
	v_and_or_b32 v3, 0x8000, v3, v19
	v_lshl_or_b32 v18, v3, 16, v18
.LBB279_1358:                           ;   in Loop: Header=BB279_931 Depth=1
	s_or_b32 exec_lo, exec_lo, s20
.LBB279_1359:                           ;   in Loop: Header=BB279_931 Depth=1
	s_or_b32 exec_lo, exec_lo, s19
.LBB279_1360:                           ;   in Loop: Header=BB279_931 Depth=1
	s_or_b32 exec_lo, exec_lo, s18
	v_mov_b32_e32 v3, v12
	v_cmp_ne_u16_sdwa s4, v12, v4 src0_sel:BYTE_0 src1_sel:DWORD
	v_mov_b32_e32 v23, 0
	v_mov_b32_e32 v19, 0
	s_and_saveexec_b32 s18, s4
	s_cbranch_execz .LBB279_1368
; %bb.1361:                             ;   in Loop: Header=BB279_931 Depth=1
	v_cmp_ne_u16_sdwa s4, v12, v39 src0_sel:BYTE_0 src1_sel:DWORD
	v_mov_b32_e32 v19, 0x8000
	s_and_saveexec_b32 s19, s4
	s_cbranch_execz .LBB279_1367
; %bb.1362:                             ;   in Loop: Header=BB279_931 Depth=1
	v_and_b32_e32 v31, 0x7f, v12
	v_mov_b32_e32 v19, 0x7c01
	s_mov_b32 s20, exec_lo
	v_cmpx_ne_u32_e32 0x7f, v31
	s_cbranch_execz .LBB279_1366
; %bb.1363:                             ;   in Loop: Header=BB279_931 Depth=1
	v_and_b32_e32 v19, 7, v12
	v_lshrrev_b32_e32 v22, 3, v31
	s_mov_b32 s21, exec_lo
	v_cmpx_gt_u32_e32 8, v31
; %bb.1364:                             ;   in Loop: Header=BB279_931 Depth=1
	v_ffbh_u32_e32 v19, v19
	v_min_u32_e32 v19, 32, v19
	v_subrev_nc_u32_e32 v22, 28, v19
	v_lshlrev_b64 v[31:32], v22, v[3:4]
	v_sub_nc_u32_e32 v22, 29, v19
	v_and_b32_e32 v19, 7, v31
; %bb.1365:                             ;   in Loop: Header=BB279_931 Depth=1
	s_or_b32 exec_lo, exec_lo, s21
	v_lshlrev_b32_e32 v31, 8, v12
	v_lshl_add_u32 v22, v22, 10, 0x2000
	v_lshlrev_b32_e32 v19, 7, v19
	v_and_b32_e32 v31, 0x8000, v31
	v_and_b32_e32 v22, 0xfc00, v22
	v_or3_b32 v19, v31, v22, v19
.LBB279_1366:                           ;   in Loop: Header=BB279_931 Depth=1
	s_or_b32 exec_lo, exec_lo, s20
.LBB279_1367:                           ;   in Loop: Header=BB279_931 Depth=1
	s_or_b32 exec_lo, exec_lo, s19
.LBB279_1368:                           ;   in Loop: Header=BB279_931 Depth=1
	s_or_b32 exec_lo, exec_lo, s18
	v_lshrrev_b16 v3, 8, v3
	v_mov_b32_e32 v22, 0
	s_mov_b32 s18, exec_lo
	v_cmpx_ne_u16_e32 0, v3
	s_cbranch_execz .LBB279_1376
; %bb.1369:                             ;   in Loop: Header=BB279_931 Depth=1
	v_bfrev_b32_e32 v22, 1
	s_mov_b32 s19, exec_lo
	v_cmpx_ne_u16_e32 0x80, v3
	s_cbranch_execz .LBB279_1375
; %bb.1370:                             ;   in Loop: Header=BB279_931 Depth=1
	v_and_b32_sdwa v32, v3, v48 dst_sel:DWORD dst_unused:UNUSED_PAD src0_sel:WORD_0 src1_sel:DWORD
	v_mov_b32_e32 v22, 0x7c010000
	s_mov_b32 s20, exec_lo
	v_cmpx_ne_u32_e32 0x7f, v32
	s_cbranch_execz .LBB279_1374
; %bb.1371:                             ;   in Loop: Header=BB279_931 Depth=1
	v_and_b32_sdwa v22, v3, v64 dst_sel:DWORD dst_unused:UNUSED_PAD src0_sel:WORD_0 src1_sel:DWORD
	v_lshrrev_b32_e32 v31, 3, v32
	s_mov_b32 s21, exec_lo
	v_cmpx_gt_u32_e32 8, v32
; %bb.1372:                             ;   in Loop: Header=BB279_931 Depth=1
	v_ffbh_u32_e32 v22, v22
	v_min_u32_e32 v22, 32, v22
	v_subrev_nc_u32_e32 v31, 28, v22
	v_lshlrev_b64 v[32:33], v31, v[3:4]
	v_sub_nc_u32_e32 v31, 29, v22
	v_and_b32_e32 v22, 7, v32
; %bb.1373:                             ;   in Loop: Header=BB279_931 Depth=1
	s_or_b32 exec_lo, exec_lo, s21
	v_lshlrev_b32_sdwa v3, v65, v3 dst_sel:DWORD dst_unused:UNUSED_PAD src0_sel:DWORD src1_sel:WORD_0
	v_lshl_add_u32 v31, v31, 10, 0x2000
	v_lshlrev_b32_e32 v22, 23, v22
	v_and_or_b32 v3, 0x8000, v3, v31
	v_lshl_or_b32 v22, v3, 16, v22
.LBB279_1374:                           ;   in Loop: Header=BB279_931 Depth=1
	s_or_b32 exec_lo, exec_lo, s20
.LBB279_1375:                           ;   in Loop: Header=BB279_931 Depth=1
	s_or_b32 exec_lo, exec_lo, s19
.LBB279_1376:                           ;   in Loop: Header=BB279_931 Depth=1
	s_or_b32 exec_lo, exec_lo, s18
	v_lshrrev_b32_e32 v3, 16, v12
	v_cmp_ne_u16_sdwa s4, v3, v4 src0_sel:BYTE_0 src1_sel:DWORD
	s_and_saveexec_b32 s18, s4
	s_cbranch_execz .LBB279_1384
; %bb.1377:                             ;   in Loop: Header=BB279_931 Depth=1
	v_cmp_ne_u16_sdwa s4, v3, v39 src0_sel:BYTE_0 src1_sel:DWORD
	v_mov_b32_e32 v23, 0x8000
	s_and_saveexec_b32 s19, s4
	s_cbranch_execz .LBB279_1383
; %bb.1378:                             ;   in Loop: Header=BB279_931 Depth=1
	v_bfe_u32 v32, v12, 16, 7
	v_mov_b32_e32 v23, 0x7c01
	s_mov_b32 s20, exec_lo
	v_cmpx_ne_u32_e32 0x7f, v32
	s_cbranch_execz .LBB279_1382
; %bb.1379:                             ;   in Loop: Header=BB279_931 Depth=1
	v_and_b32_e32 v23, 7, v3
	v_lshrrev_b32_e32 v31, 3, v32
	s_mov_b32 s21, exec_lo
	v_cmpx_gt_u32_e32 8, v32
; %bb.1380:                             ;   in Loop: Header=BB279_931 Depth=1
	v_ffbh_u32_e32 v23, v23
	v_min_u32_e32 v23, 32, v23
	v_subrev_nc_u32_e32 v31, 28, v23
	v_lshlrev_b64 v[32:33], v31, v[3:4]
	v_sub_nc_u32_e32 v31, 29, v23
	v_and_b32_e32 v23, 7, v32
; %bb.1381:                             ;   in Loop: Header=BB279_931 Depth=1
	s_or_b32 exec_lo, exec_lo, s21
	v_lshlrev_b32_e32 v3, 8, v3
	v_lshl_add_u32 v31, v31, 10, 0x2000
	v_lshlrev_b32_e32 v23, 7, v23
	v_and_b32_e32 v3, 0x8000, v3
	v_and_b32_e32 v31, 0xfc00, v31
	v_or3_b32 v23, v3, v31, v23
.LBB279_1382:                           ;   in Loop: Header=BB279_931 Depth=1
	s_or_b32 exec_lo, exec_lo, s20
.LBB279_1383:                           ;   in Loop: Header=BB279_931 Depth=1
	s_or_b32 exec_lo, exec_lo, s19
.LBB279_1384:                           ;   in Loop: Header=BB279_931 Depth=1
	s_or_b32 exec_lo, exec_lo, s18
	v_cmp_lt_u64_e64 s4, s[6:7], v[11:12]
	v_mov_b32_e32 v11, 0
	s_and_saveexec_b32 s18, s4
	s_cbranch_execz .LBB279_1392
; %bb.1385:                             ;   in Loop: Header=BB279_931 Depth=1
	v_lshrrev_b32_e32 v3, 24, v12
	v_bfrev_b32_e32 v11, 1
	s_mov_b32 s19, exec_lo
	v_cmpx_ne_u32_e32 0x80, v3
	s_cbranch_execz .LBB279_1391
; %bb.1386:                             ;   in Loop: Header=BB279_931 Depth=1
	v_and_b32_e32 v31, 0x7f, v3
	v_mov_b32_e32 v11, 0x7c010000
	s_mov_b32 s20, exec_lo
	v_cmpx_ne_u32_e32 0x7f, v31
	s_cbranch_execz .LBB279_1390
; %bb.1387:                             ;   in Loop: Header=BB279_931 Depth=1
	v_and_b32_e32 v11, 7, v3
	v_lshrrev_b32_e32 v12, 3, v31
	s_mov_b32 s21, exec_lo
	v_cmpx_gt_u32_e32 8, v31
; %bb.1388:                             ;   in Loop: Header=BB279_931 Depth=1
	v_ffbh_u32_e32 v11, v11
	v_min_u32_e32 v31, 32, v11
	v_subrev_nc_u32_e32 v11, 28, v31
	v_lshlrev_b64 v[11:12], v11, v[3:4]
	v_sub_nc_u32_e32 v12, 29, v31
	v_and_b32_e32 v11, 7, v11
; %bb.1389:                             ;   in Loop: Header=BB279_931 Depth=1
	s_or_b32 exec_lo, exec_lo, s21
	v_lshlrev_b32_e32 v3, 8, v3
	v_lshl_add_u32 v12, v12, 10, 0x2000
	v_lshlrev_b32_e32 v11, 23, v11
	v_and_or_b32 v3, 0x8000, v3, v12
	v_lshl_or_b32 v11, v3, 16, v11
.LBB279_1390:                           ;   in Loop: Header=BB279_931 Depth=1
	s_or_b32 exec_lo, exec_lo, s20
.LBB279_1391:                           ;   in Loop: Header=BB279_931 Depth=1
	s_or_b32 exec_lo, exec_lo, s19
.LBB279_1392:                           ;   in Loop: Header=BB279_931 Depth=1
	s_or_b32 exec_lo, exec_lo, s18
	v_or_b32_e32 v3, v18, v29
	s_waitcnt vmcnt(0) lgkmcnt(0)
	v_fma_mixlo_f16 v12, v0, v18, 0 op_sel:[0,1,0] op_sel_hi:[0,1,0]
	v_or_b32_e32 v2, v1, v2
	v_fma_mixlo_f16 v18, v0, v1, 0 op_sel:[0,1,0] op_sel_hi:[0,1,0]
	v_or_b32_e32 v19, v22, v19
	v_fma_mixlo_f16 v3, v0, v3, 0 op_sel_hi:[0,1,0]
	v_or_b32_e32 v23, v11, v23
	v_lshlrev_b32_e32 v1, 16, v12
	v_lshlrev_b32_e32 v12, 16, v18
	v_fma_mixlo_f16 v18, v0, v2, 0 op_sel_hi:[0,1,0]
	v_and_b32_e32 v2, 0xffff, v3
	v_fma_mixlo_f16 v3, v0, v22, 0 op_sel:[0,1,0] op_sel_hi:[0,1,0]
	v_fma_mixlo_f16 v19, v0, v19, 0 op_sel_hi:[0,1,0]
	v_fma_mixlo_f16 v11, v0, v11, 0 op_sel:[0,1,0] op_sel_hi:[0,1,0]
	v_fma_mixlo_f16 v22, v0, v23, 0 op_sel_hi:[0,1,0]
	v_and_b32_e32 v31, 0xffff, v18
	v_lshlrev_b32_e32 v3, 16, v3
	v_and_b32_e32 v19, 0xffff, v19
	v_lshlrev_b32_e32 v0, 16, v11
	v_and_b32_e32 v11, 0xffff, v22
	v_or_b32_e32 v18, v1, v2
	v_or_b32_e32 v29, v12, v31
	;; [unrolled: 1-line block ×4, first 2 shown]
	s_and_saveexec_b32 s18, vcc_lo
	s_cbranch_execz .LBB279_1394
; %bb.1393:                             ;   in Loop: Header=BB279_931 Depth=1
	v_cmp_lt_i32_e64 s4, v69, v30
	v_cndmask_b32_e64 v18, 0, v31, s4
	v_cmp_lt_i32_e64 s4, v98, v30
	v_cndmask_b32_e64 v12, 0, v12, s4
	v_cmp_lt_i32_e64 s4, v97, v30
	v_or_b32_e32 v29, v18, v12
	v_cndmask_b32_e64 v2, 0, v2, s4
	v_cmp_lt_i32_e64 s4, v96, v30
	v_cndmask_b32_e64 v1, 0, v1, s4
	v_cmp_lt_i32_e64 s4, v87, v30
	v_or_b32_e32 v18, v2, v1
	;; [unrolled: 5-line block ×3, first 2 shown]
	v_cndmask_b32_e64 v11, 0, v11, s4
	v_cmp_lt_i32_e64 s4, v84, v30
	v_cndmask_b32_e64 v0, 0, v0, s4
	v_or_b32_e32 v22, v11, v0
.LBB279_1394:                           ;   in Loop: Header=BB279_931 Depth=1
	s_or_b32 exec_lo, exec_lo, s18
	;;#ASMSTART
	v_pk_mul_f16 v0, v83, v29;

	;;#ASMEND
	;;#ASMSTART
	v_pk_mul_f16 v1, v82, v18;

	;;#ASMEND
	;; [unrolled: 4-line block ×4, first 2 shown]
	;;#ASMSTART
	v_pk_add_f16 v0, v0, v1;

	;;#ASMEND
	;;#ASMSTART
	v_pk_add_f16 v0, v0, v2;

	;;#ASMEND
	;; [unrolled: 4-line block ×3, first 2 shown]
	v_and_b32_e32 v1, 0xffff, v0
	v_lshrrev_b32_e32 v0, 16, v0
	;;#ASMSTART
	v_cvt_f32_f16 v117, v1;
	;;#ASMEND
	;;#ASMSTART
	v_cvt_f32_f16 v118, v0;
	;;#ASMEND
	flat_load_dwordx2 v[11:12], v[9:10] offset:1792
	flat_load_dword v0, v[56:57]
	v_mov_b32_e32 v1, 0
	v_mov_b32_e32 v2, 0
	s_waitcnt vmcnt(1) lgkmcnt(1)
	v_cmp_ne_u16_sdwa s4, v11, v4 src0_sel:BYTE_0 src1_sel:DWORD
	s_and_saveexec_b32 s18, s4
	s_cbranch_execz .LBB279_1402
; %bb.1395:                             ;   in Loop: Header=BB279_931 Depth=1
	v_cmp_ne_u16_sdwa s4, v11, v39 src0_sel:BYTE_0 src1_sel:DWORD
	v_mov_b32_e32 v2, 0x8000
	s_and_saveexec_b32 s19, s4
	s_cbranch_execz .LBB279_1401
; %bb.1396:                             ;   in Loop: Header=BB279_931 Depth=1
	v_and_b32_e32 v18, 0x7f, v11
	v_mov_b32_e32 v2, 0x7c01
	s_mov_b32 s20, exec_lo
	v_cmpx_ne_u32_e32 0x7f, v18
	s_cbranch_execz .LBB279_1400
; %bb.1397:                             ;   in Loop: Header=BB279_931 Depth=1
	v_and_b32_e32 v2, 7, v11
	v_lshrrev_b32_e32 v3, 3, v18
	s_mov_b32 s21, exec_lo
	v_cmpx_gt_u32_e32 8, v18
; %bb.1398:                             ;   in Loop: Header=BB279_931 Depth=1
	v_ffbh_u32_e32 v2, v2
	v_min_u32_e32 v18, 32, v2
	v_subrev_nc_u32_e32 v2, 28, v18
	v_lshlrev_b64 v[2:3], v2, v[11:12]
	v_sub_nc_u32_e32 v3, 29, v18
	v_and_b32_e32 v2, 7, v2
; %bb.1399:                             ;   in Loop: Header=BB279_931 Depth=1
	s_or_b32 exec_lo, exec_lo, s21
	v_lshlrev_b32_e32 v18, 8, v11
	v_lshl_add_u32 v3, v3, 10, 0x2000
	v_lshlrev_b32_e32 v2, 7, v2
	v_and_b32_e32 v18, 0x8000, v18
	v_and_b32_e32 v3, 0xfc00, v3
	v_or3_b32 v2, v18, v3, v2
.LBB279_1400:                           ;   in Loop: Header=BB279_931 Depth=1
	s_or_b32 exec_lo, exec_lo, s20
.LBB279_1401:                           ;   in Loop: Header=BB279_931 Depth=1
	s_or_b32 exec_lo, exec_lo, s19
.LBB279_1402:                           ;   in Loop: Header=BB279_931 Depth=1
	s_or_b32 exec_lo, exec_lo, s18
	v_lshrrev_b16 v3, 8, v11
	s_mov_b32 s18, exec_lo
	v_cmpx_ne_u16_e32 0, v3
	s_cbranch_execz .LBB279_1410
; %bb.1403:                             ;   in Loop: Header=BB279_931 Depth=1
	v_bfrev_b32_e32 v1, 1
	s_mov_b32 s19, exec_lo
	v_cmpx_ne_u16_e32 0x80, v3
	s_cbranch_execz .LBB279_1409
; %bb.1404:                             ;   in Loop: Header=BB279_931 Depth=1
	v_and_b32_sdwa v19, v3, v48 dst_sel:DWORD dst_unused:UNUSED_PAD src0_sel:WORD_0 src1_sel:DWORD
	v_mov_b32_e32 v1, 0x7c010000
	s_mov_b32 s20, exec_lo
	v_cmpx_ne_u32_e32 0x7f, v19
	s_cbranch_execz .LBB279_1408
; %bb.1405:                             ;   in Loop: Header=BB279_931 Depth=1
	v_and_b32_sdwa v1, v3, v64 dst_sel:DWORD dst_unused:UNUSED_PAD src0_sel:WORD_0 src1_sel:DWORD
	v_lshrrev_b32_e32 v18, 3, v19
	s_mov_b32 s21, exec_lo
	v_cmpx_gt_u32_e32 8, v19
; %bb.1406:                             ;   in Loop: Header=BB279_931 Depth=1
	v_ffbh_u32_e32 v1, v1
	v_min_u32_e32 v1, 32, v1
	v_subrev_nc_u32_e32 v18, 28, v1
	v_lshlrev_b64 v[22:23], v18, v[3:4]
	v_sub_nc_u32_e32 v18, 29, v1
	v_and_b32_e32 v1, 7, v22
; %bb.1407:                             ;   in Loop: Header=BB279_931 Depth=1
	s_or_b32 exec_lo, exec_lo, s21
	v_lshlrev_b32_sdwa v3, v65, v3 dst_sel:DWORD dst_unused:UNUSED_PAD src0_sel:DWORD src1_sel:WORD_0
	v_lshl_add_u32 v18, v18, 10, 0x2000
	v_lshlrev_b32_e32 v1, 23, v1
	v_and_or_b32 v3, 0x8000, v3, v18
	v_lshl_or_b32 v1, v3, 16, v1
.LBB279_1408:                           ;   in Loop: Header=BB279_931 Depth=1
	s_or_b32 exec_lo, exec_lo, s20
.LBB279_1409:                           ;   in Loop: Header=BB279_931 Depth=1
	s_or_b32 exec_lo, exec_lo, s19
.LBB279_1410:                           ;   in Loop: Header=BB279_931 Depth=1
	s_or_b32 exec_lo, exec_lo, s18
	v_lshrrev_b32_e32 v3, 16, v11
	v_mov_b32_e32 v18, 0
	v_mov_b32_e32 v29, 0
	v_cmp_ne_u16_sdwa s4, v3, v4 src0_sel:BYTE_0 src1_sel:DWORD
	s_and_saveexec_b32 s18, s4
	s_cbranch_execz .LBB279_1418
; %bb.1411:                             ;   in Loop: Header=BB279_931 Depth=1
	v_cmp_ne_u16_sdwa s4, v3, v39 src0_sel:BYTE_0 src1_sel:DWORD
	v_mov_b32_e32 v29, 0x8000
	s_and_saveexec_b32 s19, s4
	s_cbranch_execz .LBB279_1417
; %bb.1412:                             ;   in Loop: Header=BB279_931 Depth=1
	v_bfe_u32 v23, v11, 16, 7
	v_mov_b32_e32 v29, 0x7c01
	s_mov_b32 s20, exec_lo
	v_cmpx_ne_u32_e32 0x7f, v23
	s_cbranch_execz .LBB279_1416
; %bb.1413:                             ;   in Loop: Header=BB279_931 Depth=1
	v_and_b32_e32 v19, 7, v3
	v_lshrrev_b32_e32 v22, 3, v23
	s_mov_b32 s21, exec_lo
	v_cmpx_gt_u32_e32 8, v23
; %bb.1414:                             ;   in Loop: Header=BB279_931 Depth=1
	v_ffbh_u32_e32 v19, v19
	v_min_u32_e32 v19, 32, v19
	v_subrev_nc_u32_e32 v22, 28, v19
	v_lshlrev_b64 v[31:32], v22, v[3:4]
	v_sub_nc_u32_e32 v22, 29, v19
	v_and_b32_e32 v19, 7, v31
; %bb.1415:                             ;   in Loop: Header=BB279_931 Depth=1
	s_or_b32 exec_lo, exec_lo, s21
	v_lshlrev_b32_e32 v3, 8, v3
	v_lshl_add_u32 v22, v22, 10, 0x2000
	v_lshlrev_b32_e32 v19, 7, v19
	v_and_b32_e32 v3, 0x8000, v3
	v_and_b32_e32 v22, 0xfc00, v22
	v_or3_b32 v29, v3, v22, v19
.LBB279_1416:                           ;   in Loop: Header=BB279_931 Depth=1
	s_or_b32 exec_lo, exec_lo, s20
.LBB279_1417:                           ;   in Loop: Header=BB279_931 Depth=1
	s_or_b32 exec_lo, exec_lo, s19
.LBB279_1418:                           ;   in Loop: Header=BB279_931 Depth=1
	s_or_b32 exec_lo, exec_lo, s18
	s_mov_b32 s18, exec_lo
	v_cmpx_lt_u32_e32 0xffffff, v11
	s_cbranch_execz .LBB279_1426
; %bb.1419:                             ;   in Loop: Header=BB279_931 Depth=1
	v_lshrrev_b32_e32 v3, 24, v11
	v_bfrev_b32_e32 v18, 1
	s_mov_b32 s19, exec_lo
	v_cmpx_ne_u32_e32 0x80, v3
	s_cbranch_execz .LBB279_1425
; %bb.1420:                             ;   in Loop: Header=BB279_931 Depth=1
	v_and_b32_e32 v22, 0x7f, v3
	v_mov_b32_e32 v18, 0x7c010000
	s_mov_b32 s20, exec_lo
	v_cmpx_ne_u32_e32 0x7f, v22
	s_cbranch_execz .LBB279_1424
; %bb.1421:                             ;   in Loop: Header=BB279_931 Depth=1
	v_and_b32_e32 v18, 7, v3
	v_lshrrev_b32_e32 v19, 3, v22
	s_mov_b32 s21, exec_lo
	v_cmpx_gt_u32_e32 8, v22
; %bb.1422:                             ;   in Loop: Header=BB279_931 Depth=1
	v_ffbh_u32_e32 v18, v18
	v_min_u32_e32 v22, 32, v18
	v_subrev_nc_u32_e32 v18, 28, v22
	v_lshlrev_b64 v[18:19], v18, v[3:4]
	v_sub_nc_u32_e32 v19, 29, v22
	v_and_b32_e32 v18, 7, v18
; %bb.1423:                             ;   in Loop: Header=BB279_931 Depth=1
	s_or_b32 exec_lo, exec_lo, s21
	v_lshlrev_b32_e32 v3, 8, v3
	v_lshl_add_u32 v19, v19, 10, 0x2000
	v_lshlrev_b32_e32 v18, 23, v18
	v_and_or_b32 v3, 0x8000, v3, v19
	v_lshl_or_b32 v18, v3, 16, v18
.LBB279_1424:                           ;   in Loop: Header=BB279_931 Depth=1
	s_or_b32 exec_lo, exec_lo, s20
.LBB279_1425:                           ;   in Loop: Header=BB279_931 Depth=1
	s_or_b32 exec_lo, exec_lo, s19
.LBB279_1426:                           ;   in Loop: Header=BB279_931 Depth=1
	s_or_b32 exec_lo, exec_lo, s18
	v_mov_b32_e32 v3, v12
	v_cmp_ne_u16_sdwa s4, v12, v4 src0_sel:BYTE_0 src1_sel:DWORD
	v_mov_b32_e32 v23, 0
	v_mov_b32_e32 v19, 0
	s_and_saveexec_b32 s18, s4
	s_cbranch_execz .LBB279_1434
; %bb.1427:                             ;   in Loop: Header=BB279_931 Depth=1
	v_cmp_ne_u16_sdwa s4, v12, v39 src0_sel:BYTE_0 src1_sel:DWORD
	v_mov_b32_e32 v19, 0x8000
	s_and_saveexec_b32 s19, s4
	s_cbranch_execz .LBB279_1433
; %bb.1428:                             ;   in Loop: Header=BB279_931 Depth=1
	v_and_b32_e32 v31, 0x7f, v12
	v_mov_b32_e32 v19, 0x7c01
	s_mov_b32 s20, exec_lo
	v_cmpx_ne_u32_e32 0x7f, v31
	s_cbranch_execz .LBB279_1432
; %bb.1429:                             ;   in Loop: Header=BB279_931 Depth=1
	v_and_b32_e32 v19, 7, v12
	v_lshrrev_b32_e32 v22, 3, v31
	s_mov_b32 s21, exec_lo
	v_cmpx_gt_u32_e32 8, v31
; %bb.1430:                             ;   in Loop: Header=BB279_931 Depth=1
	v_ffbh_u32_e32 v19, v19
	v_min_u32_e32 v19, 32, v19
	v_subrev_nc_u32_e32 v22, 28, v19
	v_lshlrev_b64 v[31:32], v22, v[3:4]
	v_sub_nc_u32_e32 v22, 29, v19
	v_and_b32_e32 v19, 7, v31
; %bb.1431:                             ;   in Loop: Header=BB279_931 Depth=1
	s_or_b32 exec_lo, exec_lo, s21
	v_lshlrev_b32_e32 v31, 8, v12
	v_lshl_add_u32 v22, v22, 10, 0x2000
	v_lshlrev_b32_e32 v19, 7, v19
	v_and_b32_e32 v31, 0x8000, v31
	v_and_b32_e32 v22, 0xfc00, v22
	v_or3_b32 v19, v31, v22, v19
.LBB279_1432:                           ;   in Loop: Header=BB279_931 Depth=1
	s_or_b32 exec_lo, exec_lo, s20
.LBB279_1433:                           ;   in Loop: Header=BB279_931 Depth=1
	s_or_b32 exec_lo, exec_lo, s19
.LBB279_1434:                           ;   in Loop: Header=BB279_931 Depth=1
	s_or_b32 exec_lo, exec_lo, s18
	v_lshrrev_b16 v3, 8, v3
	v_mov_b32_e32 v22, 0
	s_mov_b32 s18, exec_lo
	v_cmpx_ne_u16_e32 0, v3
	s_cbranch_execz .LBB279_1442
; %bb.1435:                             ;   in Loop: Header=BB279_931 Depth=1
	v_bfrev_b32_e32 v22, 1
	s_mov_b32 s19, exec_lo
	v_cmpx_ne_u16_e32 0x80, v3
	s_cbranch_execz .LBB279_1441
; %bb.1436:                             ;   in Loop: Header=BB279_931 Depth=1
	v_and_b32_sdwa v32, v3, v48 dst_sel:DWORD dst_unused:UNUSED_PAD src0_sel:WORD_0 src1_sel:DWORD
	v_mov_b32_e32 v22, 0x7c010000
	s_mov_b32 s20, exec_lo
	v_cmpx_ne_u32_e32 0x7f, v32
	s_cbranch_execz .LBB279_1440
; %bb.1437:                             ;   in Loop: Header=BB279_931 Depth=1
	v_and_b32_sdwa v22, v3, v64 dst_sel:DWORD dst_unused:UNUSED_PAD src0_sel:WORD_0 src1_sel:DWORD
	v_lshrrev_b32_e32 v31, 3, v32
	s_mov_b32 s21, exec_lo
	v_cmpx_gt_u32_e32 8, v32
; %bb.1438:                             ;   in Loop: Header=BB279_931 Depth=1
	v_ffbh_u32_e32 v22, v22
	v_min_u32_e32 v22, 32, v22
	v_subrev_nc_u32_e32 v31, 28, v22
	v_lshlrev_b64 v[32:33], v31, v[3:4]
	v_sub_nc_u32_e32 v31, 29, v22
	v_and_b32_e32 v22, 7, v32
; %bb.1439:                             ;   in Loop: Header=BB279_931 Depth=1
	s_or_b32 exec_lo, exec_lo, s21
	v_lshlrev_b32_sdwa v3, v65, v3 dst_sel:DWORD dst_unused:UNUSED_PAD src0_sel:DWORD src1_sel:WORD_0
	v_lshl_add_u32 v31, v31, 10, 0x2000
	v_lshlrev_b32_e32 v22, 23, v22
	v_and_or_b32 v3, 0x8000, v3, v31
	v_lshl_or_b32 v22, v3, 16, v22
.LBB279_1440:                           ;   in Loop: Header=BB279_931 Depth=1
	s_or_b32 exec_lo, exec_lo, s20
.LBB279_1441:                           ;   in Loop: Header=BB279_931 Depth=1
	s_or_b32 exec_lo, exec_lo, s19
.LBB279_1442:                           ;   in Loop: Header=BB279_931 Depth=1
	s_or_b32 exec_lo, exec_lo, s18
	v_lshrrev_b32_e32 v3, 16, v12
	v_cmp_ne_u16_sdwa s4, v3, v4 src0_sel:BYTE_0 src1_sel:DWORD
	s_and_saveexec_b32 s18, s4
	s_cbranch_execz .LBB279_1450
; %bb.1443:                             ;   in Loop: Header=BB279_931 Depth=1
	v_cmp_ne_u16_sdwa s4, v3, v39 src0_sel:BYTE_0 src1_sel:DWORD
	v_mov_b32_e32 v23, 0x8000
	s_and_saveexec_b32 s19, s4
	s_cbranch_execz .LBB279_1449
; %bb.1444:                             ;   in Loop: Header=BB279_931 Depth=1
	v_bfe_u32 v32, v12, 16, 7
	v_mov_b32_e32 v23, 0x7c01
	s_mov_b32 s20, exec_lo
	v_cmpx_ne_u32_e32 0x7f, v32
	s_cbranch_execz .LBB279_1448
; %bb.1445:                             ;   in Loop: Header=BB279_931 Depth=1
	v_and_b32_e32 v23, 7, v3
	v_lshrrev_b32_e32 v31, 3, v32
	s_mov_b32 s21, exec_lo
	v_cmpx_gt_u32_e32 8, v32
; %bb.1446:                             ;   in Loop: Header=BB279_931 Depth=1
	v_ffbh_u32_e32 v23, v23
	v_min_u32_e32 v23, 32, v23
	v_subrev_nc_u32_e32 v31, 28, v23
	v_lshlrev_b64 v[32:33], v31, v[3:4]
	v_sub_nc_u32_e32 v31, 29, v23
	v_and_b32_e32 v23, 7, v32
; %bb.1447:                             ;   in Loop: Header=BB279_931 Depth=1
	s_or_b32 exec_lo, exec_lo, s21
	v_lshlrev_b32_e32 v3, 8, v3
	v_lshl_add_u32 v31, v31, 10, 0x2000
	v_lshlrev_b32_e32 v23, 7, v23
	v_and_b32_e32 v3, 0x8000, v3
	v_and_b32_e32 v31, 0xfc00, v31
	v_or3_b32 v23, v3, v31, v23
.LBB279_1448:                           ;   in Loop: Header=BB279_931 Depth=1
	s_or_b32 exec_lo, exec_lo, s20
.LBB279_1449:                           ;   in Loop: Header=BB279_931 Depth=1
	s_or_b32 exec_lo, exec_lo, s19
.LBB279_1450:                           ;   in Loop: Header=BB279_931 Depth=1
	s_or_b32 exec_lo, exec_lo, s18
	v_cmp_lt_u64_e64 s4, s[6:7], v[11:12]
	v_mov_b32_e32 v11, 0
	s_and_saveexec_b32 s18, s4
	s_cbranch_execz .LBB279_1458
; %bb.1451:                             ;   in Loop: Header=BB279_931 Depth=1
	v_lshrrev_b32_e32 v3, 24, v12
	v_bfrev_b32_e32 v11, 1
	s_mov_b32 s19, exec_lo
	v_cmpx_ne_u32_e32 0x80, v3
	s_cbranch_execz .LBB279_1457
; %bb.1452:                             ;   in Loop: Header=BB279_931 Depth=1
	v_and_b32_e32 v31, 0x7f, v3
	v_mov_b32_e32 v11, 0x7c010000
	s_mov_b32 s20, exec_lo
	v_cmpx_ne_u32_e32 0x7f, v31
	s_cbranch_execz .LBB279_1456
; %bb.1453:                             ;   in Loop: Header=BB279_931 Depth=1
	v_and_b32_e32 v11, 7, v3
	v_lshrrev_b32_e32 v12, 3, v31
	s_mov_b32 s21, exec_lo
	v_cmpx_gt_u32_e32 8, v31
; %bb.1454:                             ;   in Loop: Header=BB279_931 Depth=1
	v_ffbh_u32_e32 v11, v11
	v_min_u32_e32 v31, 32, v11
	v_subrev_nc_u32_e32 v11, 28, v31
	v_lshlrev_b64 v[11:12], v11, v[3:4]
	v_sub_nc_u32_e32 v12, 29, v31
	v_and_b32_e32 v11, 7, v11
; %bb.1455:                             ;   in Loop: Header=BB279_931 Depth=1
	s_or_b32 exec_lo, exec_lo, s21
	v_lshlrev_b32_e32 v3, 8, v3
	v_lshl_add_u32 v12, v12, 10, 0x2000
	v_lshlrev_b32_e32 v11, 23, v11
	v_and_or_b32 v3, 0x8000, v3, v12
	v_lshl_or_b32 v11, v3, 16, v11
.LBB279_1456:                           ;   in Loop: Header=BB279_931 Depth=1
	s_or_b32 exec_lo, exec_lo, s20
.LBB279_1457:                           ;   in Loop: Header=BB279_931 Depth=1
	s_or_b32 exec_lo, exec_lo, s19
.LBB279_1458:                           ;   in Loop: Header=BB279_931 Depth=1
	s_or_b32 exec_lo, exec_lo, s18
	v_or_b32_e32 v3, v18, v29
	s_waitcnt vmcnt(0) lgkmcnt(0)
	v_fma_mixlo_f16 v12, v0, v18, 0 op_sel:[0,1,0] op_sel_hi:[0,1,0]
	v_or_b32_e32 v2, v1, v2
	v_fma_mixlo_f16 v18, v0, v1, 0 op_sel:[0,1,0] op_sel_hi:[0,1,0]
	v_or_b32_e32 v19, v22, v19
	v_fma_mixlo_f16 v3, v0, v3, 0 op_sel_hi:[0,1,0]
	v_or_b32_e32 v23, v11, v23
	v_lshlrev_b32_e32 v1, 16, v12
	v_lshlrev_b32_e32 v12, 16, v18
	v_fma_mixlo_f16 v18, v0, v2, 0 op_sel_hi:[0,1,0]
	v_and_b32_e32 v2, 0xffff, v3
	v_fma_mixlo_f16 v3, v0, v22, 0 op_sel:[0,1,0] op_sel_hi:[0,1,0]
	v_fma_mixlo_f16 v19, v0, v19, 0 op_sel_hi:[0,1,0]
	v_fma_mixlo_f16 v11, v0, v11, 0 op_sel:[0,1,0] op_sel_hi:[0,1,0]
	v_fma_mixlo_f16 v22, v0, v23, 0 op_sel_hi:[0,1,0]
	v_and_b32_e32 v31, 0xffff, v18
	v_lshlrev_b32_e32 v3, 16, v3
	v_and_b32_e32 v19, 0xffff, v19
	v_lshlrev_b32_e32 v0, 16, v11
	v_and_b32_e32 v11, 0xffff, v22
	v_or_b32_e32 v18, v1, v2
	v_or_b32_e32 v29, v12, v31
	;; [unrolled: 1-line block ×4, first 2 shown]
	s_and_saveexec_b32 s18, vcc_lo
	s_cbranch_execz .LBB279_1460
; %bb.1459:                             ;   in Loop: Header=BB279_931 Depth=1
	v_cmp_lt_i32_e64 s4, v69, v30
	v_cndmask_b32_e64 v18, 0, v31, s4
	v_cmp_lt_i32_e64 s4, v98, v30
	v_cndmask_b32_e64 v12, 0, v12, s4
	v_cmp_lt_i32_e64 s4, v97, v30
	v_or_b32_e32 v29, v18, v12
	v_cndmask_b32_e64 v2, 0, v2, s4
	v_cmp_lt_i32_e64 s4, v96, v30
	v_cndmask_b32_e64 v1, 0, v1, s4
	v_cmp_lt_i32_e64 s4, v87, v30
	v_or_b32_e32 v18, v2, v1
	;; [unrolled: 5-line block ×3, first 2 shown]
	v_cndmask_b32_e64 v11, 0, v11, s4
	v_cmp_lt_i32_e64 s4, v84, v30
	v_cndmask_b32_e64 v0, 0, v0, s4
	v_or_b32_e32 v22, v11, v0
.LBB279_1460:                           ;   in Loop: Header=BB279_931 Depth=1
	s_or_b32 exec_lo, exec_lo, s18
	v_add_co_u32 v9, s4, 0x800, v9
	;;#ASMSTART
	v_pk_mul_f16 v0, v83, v29;

	;;#ASMEND
	v_add_co_ci_u32_e64 v10, null, 0, v10, s4
	;;#ASMSTART
	v_pk_mul_f16 v1, v82, v18;

	;;#ASMEND
	;;#ASMSTART
	v_pk_mul_f16 v2, v81, v23;

	;;#ASMEND
	;;#ASMSTART
	v_pk_mul_f16 v3, v80, v22;

	;;#ASMEND
	;;#ASMSTART
	v_pk_add_f16 v0, v0, v1;

	;;#ASMEND
	;;#ASMSTART
	v_pk_add_f16 v0, v0, v2;

	;;#ASMEND
	;;#ASMSTART
	v_pk_add_f16 v0, v0, v3;

	;;#ASMEND
	v_lshrrev_b32_e32 v2, 16, v0
	v_and_b32_e32 v0, 0xffff, v0
	;;#ASMSTART
	v_cvt_f32_f16 v1, v0;
	;;#ASMEND
	;;#ASMSTART
	v_cvt_f32_f16 v119, v2;
	;;#ASMEND
	flat_load_dwordx2 v[11:12], v[9:10]
	flat_load_dword v0, v[56:57]
	v_mov_b32_e32 v2, 0
	v_mov_b32_e32 v18, 0
	s_waitcnt vmcnt(1) lgkmcnt(1)
	v_cmp_ne_u16_sdwa s4, v11, v4 src0_sel:BYTE_0 src1_sel:DWORD
	s_and_saveexec_b32 s18, s4
	s_cbranch_execz .LBB279_1468
; %bb.1461:                             ;   in Loop: Header=BB279_931 Depth=1
	v_cmp_ne_u16_sdwa s4, v11, v39 src0_sel:BYTE_0 src1_sel:DWORD
	v_mov_b32_e32 v18, 0x8000
	s_and_saveexec_b32 s19, s4
	s_cbranch_execz .LBB279_1467
; %bb.1462:                             ;   in Loop: Header=BB279_931 Depth=1
	v_and_b32_e32 v19, 0x7f, v11
	v_mov_b32_e32 v18, 0x7c01
	s_mov_b32 s20, exec_lo
	v_cmpx_ne_u32_e32 0x7f, v19
	s_cbranch_execz .LBB279_1466
; %bb.1463:                             ;   in Loop: Header=BB279_931 Depth=1
	v_and_b32_e32 v3, 7, v11
	v_lshrrev_b32_e32 v18, 3, v19
	s_mov_b32 s21, exec_lo
	v_cmpx_gt_u32_e32 8, v19
; %bb.1464:                             ;   in Loop: Header=BB279_931 Depth=1
	v_ffbh_u32_e32 v3, v3
	v_min_u32_e32 v3, 32, v3
	v_subrev_nc_u32_e32 v18, 28, v3
	v_lshlrev_b64 v[22:23], v18, v[11:12]
	v_sub_nc_u32_e32 v18, 29, v3
	v_and_b32_e32 v3, 7, v22
; %bb.1465:                             ;   in Loop: Header=BB279_931 Depth=1
	s_or_b32 exec_lo, exec_lo, s21
	v_lshlrev_b32_e32 v19, 8, v11
	v_lshl_add_u32 v18, v18, 10, 0x2000
	v_lshlrev_b32_e32 v3, 7, v3
	v_and_b32_e32 v19, 0x8000, v19
	v_and_b32_e32 v18, 0xfc00, v18
	v_or3_b32 v18, v19, v18, v3
.LBB279_1466:                           ;   in Loop: Header=BB279_931 Depth=1
	s_or_b32 exec_lo, exec_lo, s20
.LBB279_1467:                           ;   in Loop: Header=BB279_931 Depth=1
	s_or_b32 exec_lo, exec_lo, s19
.LBB279_1468:                           ;   in Loop: Header=BB279_931 Depth=1
	s_or_b32 exec_lo, exec_lo, s18
	v_lshrrev_b16 v3, 8, v11
	s_mov_b32 s18, exec_lo
	v_cmpx_ne_u16_e32 0, v3
	s_cbranch_execz .LBB279_1476
; %bb.1469:                             ;   in Loop: Header=BB279_931 Depth=1
	v_bfrev_b32_e32 v2, 1
	s_mov_b32 s19, exec_lo
	v_cmpx_ne_u16_e32 0x80, v3
	s_cbranch_execz .LBB279_1475
; %bb.1470:                             ;   in Loop: Header=BB279_931 Depth=1
	v_and_b32_sdwa v22, v3, v48 dst_sel:DWORD dst_unused:UNUSED_PAD src0_sel:WORD_0 src1_sel:DWORD
	v_mov_b32_e32 v2, 0x7c010000
	s_mov_b32 s20, exec_lo
	v_cmpx_ne_u32_e32 0x7f, v22
	s_cbranch_execz .LBB279_1474
; %bb.1471:                             ;   in Loop: Header=BB279_931 Depth=1
	v_and_b32_sdwa v2, v3, v64 dst_sel:DWORD dst_unused:UNUSED_PAD src0_sel:WORD_0 src1_sel:DWORD
	v_lshrrev_b32_e32 v19, 3, v22
	s_mov_b32 s21, exec_lo
	v_cmpx_gt_u32_e32 8, v22
; %bb.1472:                             ;   in Loop: Header=BB279_931 Depth=1
	v_ffbh_u32_e32 v2, v2
	v_min_u32_e32 v2, 32, v2
	v_subrev_nc_u32_e32 v19, 28, v2
	v_lshlrev_b64 v[22:23], v19, v[3:4]
	v_sub_nc_u32_e32 v19, 29, v2
	v_and_b32_e32 v2, 7, v22
; %bb.1473:                             ;   in Loop: Header=BB279_931 Depth=1
	s_or_b32 exec_lo, exec_lo, s21
	v_lshlrev_b32_sdwa v3, v65, v3 dst_sel:DWORD dst_unused:UNUSED_PAD src0_sel:DWORD src1_sel:WORD_0
	v_lshl_add_u32 v19, v19, 10, 0x2000
	v_lshlrev_b32_e32 v2, 23, v2
	v_and_or_b32 v3, 0x8000, v3, v19
	v_lshl_or_b32 v2, v3, 16, v2
.LBB279_1474:                           ;   in Loop: Header=BB279_931 Depth=1
	s_or_b32 exec_lo, exec_lo, s20
.LBB279_1475:                           ;   in Loop: Header=BB279_931 Depth=1
	s_or_b32 exec_lo, exec_lo, s19
.LBB279_1476:                           ;   in Loop: Header=BB279_931 Depth=1
	s_or_b32 exec_lo, exec_lo, s18
	v_lshrrev_b32_e32 v3, 16, v11
	v_mov_b32_e32 v29, 0
	v_mov_b32_e32 v31, 0
	v_cmp_ne_u16_sdwa s4, v3, v4 src0_sel:BYTE_0 src1_sel:DWORD
	s_and_saveexec_b32 s18, s4
	s_cbranch_execz .LBB279_1484
; %bb.1477:                             ;   in Loop: Header=BB279_931 Depth=1
	v_cmp_ne_u16_sdwa s4, v3, v39 src0_sel:BYTE_0 src1_sel:DWORD
	v_mov_b32_e32 v31, 0x8000
	s_and_saveexec_b32 s19, s4
	s_cbranch_execz .LBB279_1483
; %bb.1478:                             ;   in Loop: Header=BB279_931 Depth=1
	v_bfe_u32 v23, v11, 16, 7
	v_mov_b32_e32 v31, 0x7c01
	s_mov_b32 s20, exec_lo
	v_cmpx_ne_u32_e32 0x7f, v23
	s_cbranch_execz .LBB279_1482
; %bb.1479:                             ;   in Loop: Header=BB279_931 Depth=1
	v_and_b32_e32 v19, 7, v3
	v_lshrrev_b32_e32 v22, 3, v23
	s_mov_b32 s21, exec_lo
	v_cmpx_gt_u32_e32 8, v23
; %bb.1480:                             ;   in Loop: Header=BB279_931 Depth=1
	v_ffbh_u32_e32 v19, v19
	v_min_u32_e32 v19, 32, v19
	v_subrev_nc_u32_e32 v22, 28, v19
	v_lshlrev_b64 v[31:32], v22, v[3:4]
	v_sub_nc_u32_e32 v22, 29, v19
	v_and_b32_e32 v19, 7, v31
; %bb.1481:                             ;   in Loop: Header=BB279_931 Depth=1
	s_or_b32 exec_lo, exec_lo, s21
	v_lshlrev_b32_e32 v3, 8, v3
	v_lshl_add_u32 v22, v22, 10, 0x2000
	v_lshlrev_b32_e32 v19, 7, v19
	v_and_b32_e32 v3, 0x8000, v3
	v_and_b32_e32 v22, 0xfc00, v22
	v_or3_b32 v31, v3, v22, v19
.LBB279_1482:                           ;   in Loop: Header=BB279_931 Depth=1
	s_or_b32 exec_lo, exec_lo, s20
.LBB279_1483:                           ;   in Loop: Header=BB279_931 Depth=1
	s_or_b32 exec_lo, exec_lo, s19
.LBB279_1484:                           ;   in Loop: Header=BB279_931 Depth=1
	s_or_b32 exec_lo, exec_lo, s18
	s_mov_b32 s18, exec_lo
	v_cmpx_lt_u32_e32 0xffffff, v11
	s_cbranch_execz .LBB279_1492
; %bb.1485:                             ;   in Loop: Header=BB279_931 Depth=1
	v_lshrrev_b32_e32 v3, 24, v11
	v_bfrev_b32_e32 v29, 1
	s_mov_b32 s19, exec_lo
	v_cmpx_ne_u32_e32 0x80, v3
	s_cbranch_execz .LBB279_1491
; %bb.1486:                             ;   in Loop: Header=BB279_931 Depth=1
	v_and_b32_e32 v23, 0x7f, v3
	v_mov_b32_e32 v29, 0x7c010000
	s_mov_b32 s20, exec_lo
	v_cmpx_ne_u32_e32 0x7f, v23
	s_cbranch_execz .LBB279_1490
; %bb.1487:                             ;   in Loop: Header=BB279_931 Depth=1
	v_and_b32_e32 v19, 7, v3
	v_lshrrev_b32_e32 v22, 3, v23
	s_mov_b32 s21, exec_lo
	v_cmpx_gt_u32_e32 8, v23
; %bb.1488:                             ;   in Loop: Header=BB279_931 Depth=1
	v_ffbh_u32_e32 v19, v19
	v_min_u32_e32 v19, 32, v19
	v_subrev_nc_u32_e32 v22, 28, v19
	v_lshlrev_b64 v[32:33], v22, v[3:4]
	v_sub_nc_u32_e32 v22, 29, v19
	v_and_b32_e32 v19, 7, v32
; %bb.1489:                             ;   in Loop: Header=BB279_931 Depth=1
	s_or_b32 exec_lo, exec_lo, s21
	v_lshlrev_b32_e32 v3, 8, v3
	v_lshl_add_u32 v22, v22, 10, 0x2000
	v_lshlrev_b32_e32 v19, 23, v19
	v_and_or_b32 v3, 0x8000, v3, v22
	v_lshl_or_b32 v29, v3, 16, v19
.LBB279_1490:                           ;   in Loop: Header=BB279_931 Depth=1
	s_or_b32 exec_lo, exec_lo, s20
.LBB279_1491:                           ;   in Loop: Header=BB279_931 Depth=1
	s_or_b32 exec_lo, exec_lo, s19
.LBB279_1492:                           ;   in Loop: Header=BB279_931 Depth=1
	s_or_b32 exec_lo, exec_lo, s18
	v_mov_b32_e32 v3, v12
	v_cmp_ne_u16_sdwa s4, v12, v4 src0_sel:BYTE_0 src1_sel:DWORD
	v_mov_b32_e32 v23, 0
	v_mov_b32_e32 v19, 0
	s_and_saveexec_b32 s18, s4
	s_cbranch_execz .LBB279_1500
; %bb.1493:                             ;   in Loop: Header=BB279_931 Depth=1
	v_cmp_ne_u16_sdwa s4, v12, v39 src0_sel:BYTE_0 src1_sel:DWORD
	v_mov_b32_e32 v19, 0x8000
	s_and_saveexec_b32 s19, s4
	s_cbranch_execz .LBB279_1499
; %bb.1494:                             ;   in Loop: Header=BB279_931 Depth=1
	v_and_b32_e32 v32, 0x7f, v12
	v_mov_b32_e32 v19, 0x7c01
	s_mov_b32 s20, exec_lo
	v_cmpx_ne_u32_e32 0x7f, v32
	s_cbranch_execz .LBB279_1498
; %bb.1495:                             ;   in Loop: Header=BB279_931 Depth=1
	v_and_b32_e32 v19, 7, v12
	v_lshrrev_b32_e32 v22, 3, v32
	s_mov_b32 s21, exec_lo
	v_cmpx_gt_u32_e32 8, v32
; %bb.1496:                             ;   in Loop: Header=BB279_931 Depth=1
	v_ffbh_u32_e32 v19, v19
	v_min_u32_e32 v19, 32, v19
	v_subrev_nc_u32_e32 v22, 28, v19
	v_lshlrev_b64 v[32:33], v22, v[3:4]
	v_sub_nc_u32_e32 v22, 29, v19
	v_and_b32_e32 v19, 7, v32
; %bb.1497:                             ;   in Loop: Header=BB279_931 Depth=1
	s_or_b32 exec_lo, exec_lo, s21
	v_lshlrev_b32_e32 v32, 8, v12
	v_lshl_add_u32 v22, v22, 10, 0x2000
	v_lshlrev_b32_e32 v19, 7, v19
	v_and_b32_e32 v32, 0x8000, v32
	v_and_b32_e32 v22, 0xfc00, v22
	v_or3_b32 v19, v32, v22, v19
.LBB279_1498:                           ;   in Loop: Header=BB279_931 Depth=1
	s_or_b32 exec_lo, exec_lo, s20
.LBB279_1499:                           ;   in Loop: Header=BB279_931 Depth=1
	s_or_b32 exec_lo, exec_lo, s19
.LBB279_1500:                           ;   in Loop: Header=BB279_931 Depth=1
	s_or_b32 exec_lo, exec_lo, s18
	v_lshrrev_b16 v3, 8, v3
	v_mov_b32_e32 v22, 0
	s_mov_b32 s18, exec_lo
	v_cmpx_ne_u16_e32 0, v3
	s_cbranch_execz .LBB279_1508
; %bb.1501:                             ;   in Loop: Header=BB279_931 Depth=1
	v_bfrev_b32_e32 v22, 1
	s_mov_b32 s19, exec_lo
	v_cmpx_ne_u16_e32 0x80, v3
	s_cbranch_execz .LBB279_1507
; %bb.1502:                             ;   in Loop: Header=BB279_931 Depth=1
	v_and_b32_sdwa v33, v3, v48 dst_sel:DWORD dst_unused:UNUSED_PAD src0_sel:WORD_0 src1_sel:DWORD
	v_mov_b32_e32 v22, 0x7c010000
	s_mov_b32 s20, exec_lo
	v_cmpx_ne_u32_e32 0x7f, v33
	s_cbranch_execz .LBB279_1506
; %bb.1503:                             ;   in Loop: Header=BB279_931 Depth=1
	v_and_b32_sdwa v22, v3, v64 dst_sel:DWORD dst_unused:UNUSED_PAD src0_sel:WORD_0 src1_sel:DWORD
	v_lshrrev_b32_e32 v32, 3, v33
	s_mov_b32 s21, exec_lo
	v_cmpx_gt_u32_e32 8, v33
; %bb.1504:                             ;   in Loop: Header=BB279_931 Depth=1
	v_ffbh_u32_e32 v22, v22
	v_min_u32_e32 v22, 32, v22
	v_subrev_nc_u32_e32 v32, 28, v22
	v_lshlrev_b64 v[33:34], v32, v[3:4]
	v_sub_nc_u32_e32 v32, 29, v22
	v_and_b32_e32 v22, 7, v33
; %bb.1505:                             ;   in Loop: Header=BB279_931 Depth=1
	s_or_b32 exec_lo, exec_lo, s21
	v_lshlrev_b32_sdwa v3, v65, v3 dst_sel:DWORD dst_unused:UNUSED_PAD src0_sel:DWORD src1_sel:WORD_0
	v_lshl_add_u32 v32, v32, 10, 0x2000
	v_lshlrev_b32_e32 v22, 23, v22
	v_and_or_b32 v3, 0x8000, v3, v32
	v_lshl_or_b32 v22, v3, 16, v22
.LBB279_1506:                           ;   in Loop: Header=BB279_931 Depth=1
	s_or_b32 exec_lo, exec_lo, s20
.LBB279_1507:                           ;   in Loop: Header=BB279_931 Depth=1
	s_or_b32 exec_lo, exec_lo, s19
.LBB279_1508:                           ;   in Loop: Header=BB279_931 Depth=1
	s_or_b32 exec_lo, exec_lo, s18
	v_lshrrev_b32_e32 v3, 16, v12
	v_cmp_ne_u16_sdwa s4, v3, v4 src0_sel:BYTE_0 src1_sel:DWORD
	s_and_saveexec_b32 s18, s4
	s_cbranch_execz .LBB279_1516
; %bb.1509:                             ;   in Loop: Header=BB279_931 Depth=1
	v_cmp_ne_u16_sdwa s4, v3, v39 src0_sel:BYTE_0 src1_sel:DWORD
	v_mov_b32_e32 v23, 0x8000
	s_and_saveexec_b32 s19, s4
	s_cbranch_execz .LBB279_1515
; %bb.1510:                             ;   in Loop: Header=BB279_931 Depth=1
	v_bfe_u32 v33, v12, 16, 7
	v_mov_b32_e32 v23, 0x7c01
	s_mov_b32 s20, exec_lo
	v_cmpx_ne_u32_e32 0x7f, v33
	s_cbranch_execz .LBB279_1514
; %bb.1511:                             ;   in Loop: Header=BB279_931 Depth=1
	v_and_b32_e32 v23, 7, v3
	v_lshrrev_b32_e32 v32, 3, v33
	s_mov_b32 s21, exec_lo
	v_cmpx_gt_u32_e32 8, v33
; %bb.1512:                             ;   in Loop: Header=BB279_931 Depth=1
	v_ffbh_u32_e32 v23, v23
	v_min_u32_e32 v23, 32, v23
	v_subrev_nc_u32_e32 v32, 28, v23
	v_lshlrev_b64 v[33:34], v32, v[3:4]
	v_sub_nc_u32_e32 v32, 29, v23
	v_and_b32_e32 v23, 7, v33
; %bb.1513:                             ;   in Loop: Header=BB279_931 Depth=1
	s_or_b32 exec_lo, exec_lo, s21
	v_lshlrev_b32_e32 v3, 8, v3
	v_lshl_add_u32 v32, v32, 10, 0x2000
	v_lshlrev_b32_e32 v23, 7, v23
	v_and_b32_e32 v3, 0x8000, v3
	v_and_b32_e32 v32, 0xfc00, v32
	v_or3_b32 v23, v3, v32, v23
.LBB279_1514:                           ;   in Loop: Header=BB279_931 Depth=1
	s_or_b32 exec_lo, exec_lo, s20
.LBB279_1515:                           ;   in Loop: Header=BB279_931 Depth=1
	s_or_b32 exec_lo, exec_lo, s19
.LBB279_1516:                           ;   in Loop: Header=BB279_931 Depth=1
	s_or_b32 exec_lo, exec_lo, s18
	v_cmp_lt_u64_e64 s4, s[6:7], v[11:12]
	v_mov_b32_e32 v11, 0
	s_and_saveexec_b32 s18, s4
	s_cbranch_execz .LBB279_1524
; %bb.1517:                             ;   in Loop: Header=BB279_931 Depth=1
	v_lshrrev_b32_e32 v3, 24, v12
	v_bfrev_b32_e32 v11, 1
	s_mov_b32 s19, exec_lo
	v_cmpx_ne_u32_e32 0x80, v3
	s_cbranch_execz .LBB279_1523
; %bb.1518:                             ;   in Loop: Header=BB279_931 Depth=1
	v_and_b32_e32 v32, 0x7f, v3
	v_mov_b32_e32 v11, 0x7c010000
	s_mov_b32 s20, exec_lo
	v_cmpx_ne_u32_e32 0x7f, v32
	s_cbranch_execz .LBB279_1522
; %bb.1519:                             ;   in Loop: Header=BB279_931 Depth=1
	v_and_b32_e32 v11, 7, v3
	v_lshrrev_b32_e32 v12, 3, v32
	s_mov_b32 s21, exec_lo
	v_cmpx_gt_u32_e32 8, v32
; %bb.1520:                             ;   in Loop: Header=BB279_931 Depth=1
	v_ffbh_u32_e32 v11, v11
	v_min_u32_e32 v32, 32, v11
	v_subrev_nc_u32_e32 v11, 28, v32
	v_lshlrev_b64 v[11:12], v11, v[3:4]
	v_sub_nc_u32_e32 v12, 29, v32
	v_and_b32_e32 v11, 7, v11
; %bb.1521:                             ;   in Loop: Header=BB279_931 Depth=1
	s_or_b32 exec_lo, exec_lo, s21
	v_lshlrev_b32_e32 v3, 8, v3
	v_lshl_add_u32 v12, v12, 10, 0x2000
	v_lshlrev_b32_e32 v11, 23, v11
	v_and_or_b32 v3, 0x8000, v3, v12
	v_lshl_or_b32 v11, v3, 16, v11
.LBB279_1522:                           ;   in Loop: Header=BB279_931 Depth=1
	s_or_b32 exec_lo, exec_lo, s20
.LBB279_1523:                           ;   in Loop: Header=BB279_931 Depth=1
	s_or_b32 exec_lo, exec_lo, s19
.LBB279_1524:                           ;   in Loop: Header=BB279_931 Depth=1
	s_or_b32 exec_lo, exec_lo, s18
	v_or_b32_e32 v3, v29, v31
	s_waitcnt vmcnt(0) lgkmcnt(0)
	v_fma_mixlo_f16 v12, v0, v29, 0 op_sel:[0,1,0] op_sel_hi:[0,1,0]
	v_or_b32_e32 v29, v2, v18
	v_or_b32_e32 v19, v22, v19
	;; [unrolled: 1-line block ×3, first 2 shown]
	v_fma_mixlo_f16 v18, v0, v2, 0 op_sel:[0,1,0] op_sel_hi:[0,1,0]
	v_fma_mixlo_f16 v3, v0, v3, 0 op_sel_hi:[0,1,0]
	v_lshlrev_b32_e32 v2, 16, v12
	v_fma_mixlo_f16 v12, v0, v29, 0 op_sel_hi:[0,1,0]
	v_fma_mixlo_f16 v22, v0, v22, 0 op_sel:[0,1,0] op_sel_hi:[0,1,0]
	v_fma_mixlo_f16 v19, v0, v19, 0 op_sel_hi:[0,1,0]
	v_fma_mixlo_f16 v29, v0, v11, 0 op_sel:[0,1,0] op_sel_hi:[0,1,0]
	v_fma_mixlo_f16 v23, v0, v23, 0 op_sel_hi:[0,1,0]
	v_lshlrev_b32_e32 v18, 16, v18
	v_and_b32_e32 v3, 0xffff, v3
	v_and_b32_e32 v32, 0xffff, v12
	v_lshlrev_b32_e32 v11, 16, v22
	v_and_b32_e32 v22, 0xffff, v19
	v_lshlrev_b32_e32 v0, 16, v29
	v_and_b32_e32 v12, 0xffff, v23
	v_or_b32_e32 v19, v2, v3
	v_or_b32_e32 v31, v18, v32
	;; [unrolled: 1-line block ×4, first 2 shown]
	s_and_saveexec_b32 s18, vcc_lo
	s_cbranch_execz .LBB279_1526
; %bb.1525:                             ;   in Loop: Header=BB279_931 Depth=1
	v_cmp_lt_i32_e64 s4, v69, v30
	v_cndmask_b32_e64 v19, 0, v32, s4
	v_cmp_lt_i32_e64 s4, v98, v30
	v_cndmask_b32_e64 v18, 0, v18, s4
	v_cmp_lt_i32_e64 s4, v97, v30
	v_or_b32_e32 v31, v19, v18
	v_cndmask_b32_e64 v3, 0, v3, s4
	v_cmp_lt_i32_e64 s4, v96, v30
	v_cndmask_b32_e64 v2, 0, v2, s4
	v_cmp_lt_i32_e64 s4, v87, v30
	v_or_b32_e32 v19, v3, v2
	;; [unrolled: 5-line block ×3, first 2 shown]
	v_cndmask_b32_e64 v12, 0, v12, s4
	v_cmp_lt_i32_e64 s4, v84, v30
	v_cndmask_b32_e64 v0, 0, v0, s4
	v_or_b32_e32 v23, v12, v0
.LBB279_1526:                           ;   in Loop: Header=BB279_931 Depth=1
	s_or_b32 exec_lo, exec_lo, s18
	;;#ASMSTART
	v_pk_mul_f16 v0, v83, v31;

	;;#ASMEND
	;;#ASMSTART
	v_pk_mul_f16 v2, v82, v19;

	;;#ASMEND
	;; [unrolled: 4-line block ×4, first 2 shown]
	;;#ASMSTART
	v_pk_add_f16 v0, v0, v2;

	;;#ASMEND
	;;#ASMSTART
	v_pk_add_f16 v0, v0, v3;

	;;#ASMEND
	;;#ASMSTART
	v_pk_add_f16 v0, v0, v11;

	;;#ASMEND
	v_and_b32_e32 v2, 0xffff, v0
	v_lshrrev_b32_e32 v3, 16, v0
	;;#ASMSTART
	v_cvt_f32_f16 v0, v2;
	;;#ASMEND
	;;#ASMSTART
	v_cvt_f32_f16 v18, v3;
	;;#ASMEND
	flat_load_dwordx2 v[11:12], v[9:10] offset:256
	flat_load_dword v2, v[56:57]
	v_mov_b32_e32 v29, 0
	v_mov_b32_e32 v31, 0
	s_waitcnt vmcnt(1) lgkmcnt(1)
	v_cmp_ne_u16_sdwa s4, v11, v4 src0_sel:BYTE_0 src1_sel:DWORD
	s_and_saveexec_b32 s18, s4
	s_cbranch_execz .LBB279_1534
; %bb.1527:                             ;   in Loop: Header=BB279_931 Depth=1
	v_cmp_ne_u16_sdwa s4, v11, v39 src0_sel:BYTE_0 src1_sel:DWORD
	v_mov_b32_e32 v31, 0x8000
	s_and_saveexec_b32 s19, s4
	s_cbranch_execz .LBB279_1533
; %bb.1528:                             ;   in Loop: Header=BB279_931 Depth=1
	v_and_b32_e32 v22, 0x7f, v11
	v_mov_b32_e32 v31, 0x7c01
	s_mov_b32 s20, exec_lo
	v_cmpx_ne_u32_e32 0x7f, v22
	s_cbranch_execz .LBB279_1532
; %bb.1529:                             ;   in Loop: Header=BB279_931 Depth=1
	v_and_b32_e32 v3, 7, v11
	v_lshrrev_b32_e32 v19, 3, v22
	s_mov_b32 s21, exec_lo
	v_cmpx_gt_u32_e32 8, v22
; %bb.1530:                             ;   in Loop: Header=BB279_931 Depth=1
	v_ffbh_u32_e32 v3, v3
	v_min_u32_e32 v3, 32, v3
	v_subrev_nc_u32_e32 v19, 28, v3
	v_lshlrev_b64 v[22:23], v19, v[11:12]
	v_sub_nc_u32_e32 v19, 29, v3
	v_and_b32_e32 v3, 7, v22
; %bb.1531:                             ;   in Loop: Header=BB279_931 Depth=1
	s_or_b32 exec_lo, exec_lo, s21
	v_lshlrev_b32_e32 v22, 8, v11
	v_lshl_add_u32 v19, v19, 10, 0x2000
	v_lshlrev_b32_e32 v3, 7, v3
	v_and_b32_e32 v22, 0x8000, v22
	v_and_b32_e32 v19, 0xfc00, v19
	v_or3_b32 v31, v22, v19, v3
.LBB279_1532:                           ;   in Loop: Header=BB279_931 Depth=1
	s_or_b32 exec_lo, exec_lo, s20
.LBB279_1533:                           ;   in Loop: Header=BB279_931 Depth=1
	s_or_b32 exec_lo, exec_lo, s19
.LBB279_1534:                           ;   in Loop: Header=BB279_931 Depth=1
	s_or_b32 exec_lo, exec_lo, s18
	v_lshrrev_b16 v3, 8, v11
	s_mov_b32 s18, exec_lo
	v_cmpx_ne_u16_e32 0, v3
	s_cbranch_execz .LBB279_1542
; %bb.1535:                             ;   in Loop: Header=BB279_931 Depth=1
	v_bfrev_b32_e32 v29, 1
	s_mov_b32 s19, exec_lo
	v_cmpx_ne_u16_e32 0x80, v3
	s_cbranch_execz .LBB279_1541
; %bb.1536:                             ;   in Loop: Header=BB279_931 Depth=1
	v_and_b32_sdwa v23, v3, v48 dst_sel:DWORD dst_unused:UNUSED_PAD src0_sel:WORD_0 src1_sel:DWORD
	v_mov_b32_e32 v29, 0x7c010000
	s_mov_b32 s20, exec_lo
	v_cmpx_ne_u32_e32 0x7f, v23
	s_cbranch_execz .LBB279_1540
; %bb.1537:                             ;   in Loop: Header=BB279_931 Depth=1
	v_and_b32_sdwa v19, v3, v64 dst_sel:DWORD dst_unused:UNUSED_PAD src0_sel:WORD_0 src1_sel:DWORD
	v_lshrrev_b32_e32 v22, 3, v23
	s_mov_b32 s21, exec_lo
	v_cmpx_gt_u32_e32 8, v23
; %bb.1538:                             ;   in Loop: Header=BB279_931 Depth=1
	v_ffbh_u32_e32 v19, v19
	v_min_u32_e32 v19, 32, v19
	v_subrev_nc_u32_e32 v22, 28, v19
	v_lshlrev_b64 v[32:33], v22, v[3:4]
	v_sub_nc_u32_e32 v22, 29, v19
	v_and_b32_e32 v19, 7, v32
; %bb.1539:                             ;   in Loop: Header=BB279_931 Depth=1
	s_or_b32 exec_lo, exec_lo, s21
	v_lshlrev_b32_sdwa v3, v65, v3 dst_sel:DWORD dst_unused:UNUSED_PAD src0_sel:DWORD src1_sel:WORD_0
	v_lshl_add_u32 v22, v22, 10, 0x2000
	v_lshlrev_b32_e32 v19, 23, v19
	v_and_or_b32 v3, 0x8000, v3, v22
	v_lshl_or_b32 v29, v3, 16, v19
.LBB279_1540:                           ;   in Loop: Header=BB279_931 Depth=1
	s_or_b32 exec_lo, exec_lo, s20
.LBB279_1541:                           ;   in Loop: Header=BB279_931 Depth=1
	s_or_b32 exec_lo, exec_lo, s19
.LBB279_1542:                           ;   in Loop: Header=BB279_931 Depth=1
	s_or_b32 exec_lo, exec_lo, s18
	v_lshrrev_b32_e32 v3, 16, v11
	v_mov_b32_e32 v32, 0
	v_mov_b32_e32 v34, 0
	v_cmp_ne_u16_sdwa s4, v3, v4 src0_sel:BYTE_0 src1_sel:DWORD
	s_and_saveexec_b32 s18, s4
	s_cbranch_execz .LBB279_1550
; %bb.1543:                             ;   in Loop: Header=BB279_931 Depth=1
	v_cmp_ne_u16_sdwa s4, v3, v39 src0_sel:BYTE_0 src1_sel:DWORD
	v_mov_b32_e32 v34, 0x8000
	s_and_saveexec_b32 s19, s4
	s_cbranch_execz .LBB279_1549
; %bb.1544:                             ;   in Loop: Header=BB279_931 Depth=1
	v_bfe_u32 v23, v11, 16, 7
	v_mov_b32_e32 v34, 0x7c01
	s_mov_b32 s20, exec_lo
	v_cmpx_ne_u32_e32 0x7f, v23
	s_cbranch_execz .LBB279_1548
; %bb.1545:                             ;   in Loop: Header=BB279_931 Depth=1
	v_and_b32_e32 v19, 7, v3
	v_lshrrev_b32_e32 v22, 3, v23
	s_mov_b32 s21, exec_lo
	v_cmpx_gt_u32_e32 8, v23
; %bb.1546:                             ;   in Loop: Header=BB279_931 Depth=1
	v_ffbh_u32_e32 v19, v19
	v_min_u32_e32 v19, 32, v19
	v_subrev_nc_u32_e32 v22, 28, v19
	v_lshlrev_b64 v[33:34], v22, v[3:4]
	v_sub_nc_u32_e32 v22, 29, v19
	v_and_b32_e32 v19, 7, v33
; %bb.1547:                             ;   in Loop: Header=BB279_931 Depth=1
	s_or_b32 exec_lo, exec_lo, s21
	v_lshlrev_b32_e32 v3, 8, v3
	v_lshl_add_u32 v22, v22, 10, 0x2000
	v_lshlrev_b32_e32 v19, 7, v19
	v_and_b32_e32 v3, 0x8000, v3
	v_and_b32_e32 v22, 0xfc00, v22
	v_or3_b32 v34, v3, v22, v19
.LBB279_1548:                           ;   in Loop: Header=BB279_931 Depth=1
	s_or_b32 exec_lo, exec_lo, s20
.LBB279_1549:                           ;   in Loop: Header=BB279_931 Depth=1
	s_or_b32 exec_lo, exec_lo, s19
.LBB279_1550:                           ;   in Loop: Header=BB279_931 Depth=1
	s_or_b32 exec_lo, exec_lo, s18
	s_mov_b32 s18, exec_lo
	v_cmpx_lt_u32_e32 0xffffff, v11
	s_cbranch_execz .LBB279_1558
; %bb.1551:                             ;   in Loop: Header=BB279_931 Depth=1
	v_lshrrev_b32_e32 v3, 24, v11
	v_bfrev_b32_e32 v32, 1
	s_mov_b32 s19, exec_lo
	v_cmpx_ne_u32_e32 0x80, v3
	s_cbranch_execz .LBB279_1557
; %bb.1552:                             ;   in Loop: Header=BB279_931 Depth=1
	v_and_b32_e32 v23, 0x7f, v3
	v_mov_b32_e32 v32, 0x7c010000
	s_mov_b32 s20, exec_lo
	v_cmpx_ne_u32_e32 0x7f, v23
	s_cbranch_execz .LBB279_1556
; %bb.1553:                             ;   in Loop: Header=BB279_931 Depth=1
	v_and_b32_e32 v19, 7, v3
	v_lshrrev_b32_e32 v22, 3, v23
	s_mov_b32 s21, exec_lo
	v_cmpx_gt_u32_e32 8, v23
; %bb.1554:                             ;   in Loop: Header=BB279_931 Depth=1
	v_ffbh_u32_e32 v19, v19
	v_min_u32_e32 v19, 32, v19
	v_subrev_nc_u32_e32 v22, 28, v19
	v_lshlrev_b64 v[32:33], v22, v[3:4]
	v_sub_nc_u32_e32 v22, 29, v19
	v_and_b32_e32 v19, 7, v32
; %bb.1555:                             ;   in Loop: Header=BB279_931 Depth=1
	s_or_b32 exec_lo, exec_lo, s21
	v_lshlrev_b32_e32 v3, 8, v3
	v_lshl_add_u32 v22, v22, 10, 0x2000
	v_lshlrev_b32_e32 v19, 23, v19
	v_and_or_b32 v3, 0x8000, v3, v22
	v_lshl_or_b32 v32, v3, 16, v19
.LBB279_1556:                           ;   in Loop: Header=BB279_931 Depth=1
	s_or_b32 exec_lo, exec_lo, s20
.LBB279_1557:                           ;   in Loop: Header=BB279_931 Depth=1
	s_or_b32 exec_lo, exec_lo, s19
.LBB279_1558:                           ;   in Loop: Header=BB279_931 Depth=1
	s_or_b32 exec_lo, exec_lo, s18
	v_mov_b32_e32 v3, v12
	v_cmp_ne_u16_sdwa s4, v12, v4 src0_sel:BYTE_0 src1_sel:DWORD
	v_mov_b32_e32 v23, 0
	v_mov_b32_e32 v19, 0
	s_and_saveexec_b32 s18, s4
	s_cbranch_execz .LBB279_1566
; %bb.1559:                             ;   in Loop: Header=BB279_931 Depth=1
	v_cmp_ne_u16_sdwa s4, v12, v39 src0_sel:BYTE_0 src1_sel:DWORD
	v_mov_b32_e32 v19, 0x8000
	s_and_saveexec_b32 s19, s4
	s_cbranch_execz .LBB279_1565
; %bb.1560:                             ;   in Loop: Header=BB279_931 Depth=1
	v_and_b32_e32 v33, 0x7f, v12
	v_mov_b32_e32 v19, 0x7c01
	s_mov_b32 s20, exec_lo
	v_cmpx_ne_u32_e32 0x7f, v33
	s_cbranch_execz .LBB279_1564
; %bb.1561:                             ;   in Loop: Header=BB279_931 Depth=1
	v_and_b32_e32 v19, 7, v12
	v_lshrrev_b32_e32 v22, 3, v33
	s_mov_b32 s21, exec_lo
	v_cmpx_gt_u32_e32 8, v33
; %bb.1562:                             ;   in Loop: Header=BB279_931 Depth=1
	v_ffbh_u32_e32 v19, v19
	v_min_u32_e32 v19, 32, v19
	v_subrev_nc_u32_e32 v22, 28, v19
	v_lshlrev_b64 v[35:36], v22, v[3:4]
	v_sub_nc_u32_e32 v22, 29, v19
	v_and_b32_e32 v19, 7, v35
; %bb.1563:                             ;   in Loop: Header=BB279_931 Depth=1
	s_or_b32 exec_lo, exec_lo, s21
	v_lshlrev_b32_e32 v33, 8, v12
	v_lshl_add_u32 v22, v22, 10, 0x2000
	v_lshlrev_b32_e32 v19, 7, v19
	v_and_b32_e32 v33, 0x8000, v33
	v_and_b32_e32 v22, 0xfc00, v22
	v_or3_b32 v19, v33, v22, v19
.LBB279_1564:                           ;   in Loop: Header=BB279_931 Depth=1
	s_or_b32 exec_lo, exec_lo, s20
.LBB279_1565:                           ;   in Loop: Header=BB279_931 Depth=1
	s_or_b32 exec_lo, exec_lo, s19
.LBB279_1566:                           ;   in Loop: Header=BB279_931 Depth=1
	s_or_b32 exec_lo, exec_lo, s18
	v_lshrrev_b16 v3, 8, v3
	v_mov_b32_e32 v22, 0
	s_mov_b32 s18, exec_lo
	v_cmpx_ne_u16_e32 0, v3
	s_cbranch_execz .LBB279_1574
; %bb.1567:                             ;   in Loop: Header=BB279_931 Depth=1
	v_bfrev_b32_e32 v22, 1
	s_mov_b32 s19, exec_lo
	v_cmpx_ne_u16_e32 0x80, v3
	s_cbranch_execz .LBB279_1573
; %bb.1568:                             ;   in Loop: Header=BB279_931 Depth=1
	v_and_b32_sdwa v35, v3, v48 dst_sel:DWORD dst_unused:UNUSED_PAD src0_sel:WORD_0 src1_sel:DWORD
	v_mov_b32_e32 v22, 0x7c010000
	s_mov_b32 s20, exec_lo
	v_cmpx_ne_u32_e32 0x7f, v35
	s_cbranch_execz .LBB279_1572
; %bb.1569:                             ;   in Loop: Header=BB279_931 Depth=1
	v_and_b32_sdwa v22, v3, v64 dst_sel:DWORD dst_unused:UNUSED_PAD src0_sel:WORD_0 src1_sel:DWORD
	v_lshrrev_b32_e32 v33, 3, v35
	s_mov_b32 s21, exec_lo
	v_cmpx_gt_u32_e32 8, v35
; %bb.1570:                             ;   in Loop: Header=BB279_931 Depth=1
	v_ffbh_u32_e32 v22, v22
	v_min_u32_e32 v22, 32, v22
	v_subrev_nc_u32_e32 v33, 28, v22
	v_lshlrev_b64 v[35:36], v33, v[3:4]
	v_sub_nc_u32_e32 v33, 29, v22
	v_and_b32_e32 v22, 7, v35
; %bb.1571:                             ;   in Loop: Header=BB279_931 Depth=1
	s_or_b32 exec_lo, exec_lo, s21
	v_lshlrev_b32_sdwa v3, v65, v3 dst_sel:DWORD dst_unused:UNUSED_PAD src0_sel:DWORD src1_sel:WORD_0
	v_lshl_add_u32 v33, v33, 10, 0x2000
	v_lshlrev_b32_e32 v22, 23, v22
	v_and_or_b32 v3, 0x8000, v3, v33
	v_lshl_or_b32 v22, v3, 16, v22
.LBB279_1572:                           ;   in Loop: Header=BB279_931 Depth=1
	s_or_b32 exec_lo, exec_lo, s20
.LBB279_1573:                           ;   in Loop: Header=BB279_931 Depth=1
	s_or_b32 exec_lo, exec_lo, s19
.LBB279_1574:                           ;   in Loop: Header=BB279_931 Depth=1
	s_or_b32 exec_lo, exec_lo, s18
	v_lshrrev_b32_e32 v3, 16, v12
	v_cmp_ne_u16_sdwa s4, v3, v4 src0_sel:BYTE_0 src1_sel:DWORD
	s_and_saveexec_b32 s18, s4
	s_cbranch_execz .LBB279_1582
; %bb.1575:                             ;   in Loop: Header=BB279_931 Depth=1
	v_cmp_ne_u16_sdwa s4, v3, v39 src0_sel:BYTE_0 src1_sel:DWORD
	v_mov_b32_e32 v23, 0x8000
	s_and_saveexec_b32 s19, s4
	s_cbranch_execz .LBB279_1581
; %bb.1576:                             ;   in Loop: Header=BB279_931 Depth=1
	v_bfe_u32 v35, v12, 16, 7
	v_mov_b32_e32 v23, 0x7c01
	s_mov_b32 s20, exec_lo
	v_cmpx_ne_u32_e32 0x7f, v35
	s_cbranch_execz .LBB279_1580
; %bb.1577:                             ;   in Loop: Header=BB279_931 Depth=1
	v_and_b32_e32 v23, 7, v3
	v_lshrrev_b32_e32 v33, 3, v35
	s_mov_b32 s21, exec_lo
	v_cmpx_gt_u32_e32 8, v35
; %bb.1578:                             ;   in Loop: Header=BB279_931 Depth=1
	v_ffbh_u32_e32 v23, v23
	v_min_u32_e32 v23, 32, v23
	v_subrev_nc_u32_e32 v33, 28, v23
	v_lshlrev_b64 v[35:36], v33, v[3:4]
	v_sub_nc_u32_e32 v33, 29, v23
	v_and_b32_e32 v23, 7, v35
; %bb.1579:                             ;   in Loop: Header=BB279_931 Depth=1
	s_or_b32 exec_lo, exec_lo, s21
	v_lshlrev_b32_e32 v3, 8, v3
	v_lshl_add_u32 v33, v33, 10, 0x2000
	v_lshlrev_b32_e32 v23, 7, v23
	v_and_b32_e32 v3, 0x8000, v3
	v_and_b32_e32 v33, 0xfc00, v33
	v_or3_b32 v23, v3, v33, v23
.LBB279_1580:                           ;   in Loop: Header=BB279_931 Depth=1
	s_or_b32 exec_lo, exec_lo, s20
.LBB279_1581:                           ;   in Loop: Header=BB279_931 Depth=1
	s_or_b32 exec_lo, exec_lo, s19
.LBB279_1582:                           ;   in Loop: Header=BB279_931 Depth=1
	s_or_b32 exec_lo, exec_lo, s18
	v_cmp_lt_u64_e64 s4, s[6:7], v[11:12]
	v_mov_b32_e32 v11, 0
	s_and_saveexec_b32 s18, s4
	s_cbranch_execz .LBB279_1590
; %bb.1583:                             ;   in Loop: Header=BB279_931 Depth=1
	v_lshrrev_b32_e32 v3, 24, v12
	v_bfrev_b32_e32 v11, 1
	s_mov_b32 s19, exec_lo
	v_cmpx_ne_u32_e32 0x80, v3
	s_cbranch_execz .LBB279_1589
; %bb.1584:                             ;   in Loop: Header=BB279_931 Depth=1
	v_and_b32_e32 v33, 0x7f, v3
	v_mov_b32_e32 v11, 0x7c010000
	s_mov_b32 s20, exec_lo
	v_cmpx_ne_u32_e32 0x7f, v33
	s_cbranch_execz .LBB279_1588
; %bb.1585:                             ;   in Loop: Header=BB279_931 Depth=1
	v_and_b32_e32 v11, 7, v3
	v_lshrrev_b32_e32 v12, 3, v33
	s_mov_b32 s21, exec_lo
	v_cmpx_gt_u32_e32 8, v33
; %bb.1586:                             ;   in Loop: Header=BB279_931 Depth=1
	v_ffbh_u32_e32 v11, v11
	v_min_u32_e32 v33, 32, v11
	v_subrev_nc_u32_e32 v11, 28, v33
	v_lshlrev_b64 v[11:12], v11, v[3:4]
	v_sub_nc_u32_e32 v12, 29, v33
	v_and_b32_e32 v11, 7, v11
; %bb.1587:                             ;   in Loop: Header=BB279_931 Depth=1
	s_or_b32 exec_lo, exec_lo, s21
	v_lshlrev_b32_e32 v3, 8, v3
	v_lshl_add_u32 v12, v12, 10, 0x2000
	v_lshlrev_b32_e32 v11, 23, v11
	v_and_or_b32 v3, 0x8000, v3, v12
	v_lshl_or_b32 v11, v3, 16, v11
.LBB279_1588:                           ;   in Loop: Header=BB279_931 Depth=1
	s_or_b32 exec_lo, exec_lo, s20
.LBB279_1589:                           ;   in Loop: Header=BB279_931 Depth=1
	s_or_b32 exec_lo, exec_lo, s19
.LBB279_1590:                           ;   in Loop: Header=BB279_931 Depth=1
	s_or_b32 exec_lo, exec_lo, s18
	v_or_b32_e32 v3, v32, v34
	s_waitcnt vmcnt(0) lgkmcnt(0)
	v_fma_mixlo_f16 v12, v2, v32, 0 op_sel:[0,1,0] op_sel_hi:[0,1,0]
	v_or_b32_e32 v31, v29, v31
	v_fma_mixlo_f16 v29, v2, v29, 0 op_sel:[0,1,0] op_sel_hi:[0,1,0]
	v_or_b32_e32 v19, v22, v19
	v_fma_mixlo_f16 v32, v2, v3, 0 op_sel_hi:[0,1,0]
	v_or_b32_e32 v33, v11, v23
	v_lshlrev_b32_e32 v3, 16, v12
	v_lshlrev_b32_e32 v23, 16, v29
	v_fma_mixlo_f16 v29, v2, v31, 0 op_sel_hi:[0,1,0]
	v_and_b32_e32 v12, 0xffff, v32
	v_fma_mixlo_f16 v22, v2, v22, 0 op_sel:[0,1,0] op_sel_hi:[0,1,0]
	v_fma_mixlo_f16 v19, v2, v19, 0 op_sel_hi:[0,1,0]
	v_fma_mixlo_f16 v31, v2, v11, 0 op_sel:[0,1,0] op_sel_hi:[0,1,0]
	v_fma_mixlo_f16 v32, v2, v33, 0 op_sel_hi:[0,1,0]
	v_and_b32_e32 v34, 0xffff, v29
	v_lshlrev_b32_e32 v11, 16, v22
	v_and_b32_e32 v29, 0xffff, v19
	v_lshlrev_b32_e32 v2, 16, v31
	v_and_b32_e32 v19, 0xffff, v32
	v_or_b32_e32 v22, v3, v12
	v_or_b32_e32 v33, v23, v34
	;; [unrolled: 1-line block ×4, first 2 shown]
	s_and_saveexec_b32 s18, vcc_lo
	s_cbranch_execz .LBB279_1592
; %bb.1591:                             ;   in Loop: Header=BB279_931 Depth=1
	v_cmp_lt_i32_e64 s4, v69, v30
	v_cndmask_b32_e64 v22, 0, v34, s4
	v_cmp_lt_i32_e64 s4, v98, v30
	v_cndmask_b32_e64 v23, 0, v23, s4
	v_cmp_lt_i32_e64 s4, v97, v30
	v_or_b32_e32 v33, v22, v23
	v_cndmask_b32_e64 v12, 0, v12, s4
	v_cmp_lt_i32_e64 s4, v96, v30
	v_cndmask_b32_e64 v3, 0, v3, s4
	v_cmp_lt_i32_e64 s4, v87, v30
	v_or_b32_e32 v22, v12, v3
	;; [unrolled: 5-line block ×3, first 2 shown]
	v_cndmask_b32_e64 v19, 0, v19, s4
	v_cmp_lt_i32_e64 s4, v84, v30
	v_cndmask_b32_e64 v2, 0, v2, s4
	v_or_b32_e32 v31, v19, v2
.LBB279_1592:                           ;   in Loop: Header=BB279_931 Depth=1
	s_or_b32 exec_lo, exec_lo, s18
	;;#ASMSTART
	v_pk_mul_f16 v2, v83, v33;

	;;#ASMEND
	;;#ASMSTART
	v_pk_mul_f16 v3, v82, v22;

	;;#ASMEND
	;; [unrolled: 4-line block ×4, first 2 shown]
	;;#ASMSTART
	v_pk_add_f16 v2, v2, v3;

	;;#ASMEND
	;;#ASMSTART
	v_pk_add_f16 v2, v2, v11;

	;;#ASMEND
	;; [unrolled: 4-line block ×3, first 2 shown]
	v_lshrrev_b32_e32 v11, 16, v2
	v_and_b32_e32 v3, 0xffff, v2
	;;#ASMSTART
	v_cvt_f32_f16 v2, v3;
	;;#ASMEND
	;;#ASMSTART
	v_cvt_f32_f16 v29, v11;
	;;#ASMEND
	flat_load_dwordx2 v[11:12], v[9:10] offset:512
	flat_load_dword v31, v[56:57]
	v_mov_b32_e32 v32, 0
	v_mov_b32_e32 v34, 0
	s_waitcnt vmcnt(1) lgkmcnt(1)
	v_cmp_ne_u16_sdwa s4, v11, v4 src0_sel:BYTE_0 src1_sel:DWORD
	s_and_saveexec_b32 s18, s4
	s_cbranch_execz .LBB279_1600
; %bb.1593:                             ;   in Loop: Header=BB279_931 Depth=1
	v_cmp_ne_u16_sdwa s4, v11, v39 src0_sel:BYTE_0 src1_sel:DWORD
	v_mov_b32_e32 v34, 0x8000
	s_and_saveexec_b32 s19, s4
	s_cbranch_execz .LBB279_1599
; %bb.1594:                             ;   in Loop: Header=BB279_931 Depth=1
	v_and_b32_e32 v22, 0x7f, v11
	v_mov_b32_e32 v34, 0x7c01
	s_mov_b32 s20, exec_lo
	v_cmpx_ne_u32_e32 0x7f, v22
	s_cbranch_execz .LBB279_1598
; %bb.1595:                             ;   in Loop: Header=BB279_931 Depth=1
	v_and_b32_e32 v3, 7, v11
	v_lshrrev_b32_e32 v19, 3, v22
	s_mov_b32 s21, exec_lo
	v_cmpx_gt_u32_e32 8, v22
; %bb.1596:                             ;   in Loop: Header=BB279_931 Depth=1
	v_ffbh_u32_e32 v3, v3
	v_min_u32_e32 v3, 32, v3
	v_subrev_nc_u32_e32 v19, 28, v3
	v_lshlrev_b64 v[22:23], v19, v[11:12]
	v_sub_nc_u32_e32 v19, 29, v3
	v_and_b32_e32 v3, 7, v22
; %bb.1597:                             ;   in Loop: Header=BB279_931 Depth=1
	s_or_b32 exec_lo, exec_lo, s21
	v_lshlrev_b32_e32 v22, 8, v11
	v_lshl_add_u32 v19, v19, 10, 0x2000
	v_lshlrev_b32_e32 v3, 7, v3
	v_and_b32_e32 v22, 0x8000, v22
	v_and_b32_e32 v19, 0xfc00, v19
	v_or3_b32 v34, v22, v19, v3
.LBB279_1598:                           ;   in Loop: Header=BB279_931 Depth=1
	s_or_b32 exec_lo, exec_lo, s20
.LBB279_1599:                           ;   in Loop: Header=BB279_931 Depth=1
	s_or_b32 exec_lo, exec_lo, s19
.LBB279_1600:                           ;   in Loop: Header=BB279_931 Depth=1
	s_or_b32 exec_lo, exec_lo, s18
	v_lshrrev_b16 v3, 8, v11
	s_mov_b32 s18, exec_lo
	v_cmpx_ne_u16_e32 0, v3
	s_cbranch_execz .LBB279_1608
; %bb.1601:                             ;   in Loop: Header=BB279_931 Depth=1
	v_bfrev_b32_e32 v32, 1
	s_mov_b32 s19, exec_lo
	v_cmpx_ne_u16_e32 0x80, v3
	s_cbranch_execz .LBB279_1607
; %bb.1602:                             ;   in Loop: Header=BB279_931 Depth=1
	v_and_b32_sdwa v23, v3, v48 dst_sel:DWORD dst_unused:UNUSED_PAD src0_sel:WORD_0 src1_sel:DWORD
	v_mov_b32_e32 v32, 0x7c010000
	s_mov_b32 s20, exec_lo
	v_cmpx_ne_u32_e32 0x7f, v23
	s_cbranch_execz .LBB279_1606
; %bb.1603:                             ;   in Loop: Header=BB279_931 Depth=1
	v_and_b32_sdwa v19, v3, v64 dst_sel:DWORD dst_unused:UNUSED_PAD src0_sel:WORD_0 src1_sel:DWORD
	v_lshrrev_b32_e32 v22, 3, v23
	s_mov_b32 s21, exec_lo
	v_cmpx_gt_u32_e32 8, v23
; %bb.1604:                             ;   in Loop: Header=BB279_931 Depth=1
	v_ffbh_u32_e32 v19, v19
	v_min_u32_e32 v19, 32, v19
	v_subrev_nc_u32_e32 v22, 28, v19
	v_lshlrev_b64 v[32:33], v22, v[3:4]
	v_sub_nc_u32_e32 v22, 29, v19
	v_and_b32_e32 v19, 7, v32
; %bb.1605:                             ;   in Loop: Header=BB279_931 Depth=1
	s_or_b32 exec_lo, exec_lo, s21
	v_lshlrev_b32_sdwa v3, v65, v3 dst_sel:DWORD dst_unused:UNUSED_PAD src0_sel:DWORD src1_sel:WORD_0
	v_lshl_add_u32 v22, v22, 10, 0x2000
	v_lshlrev_b32_e32 v19, 23, v19
	v_and_or_b32 v3, 0x8000, v3, v22
	v_lshl_or_b32 v32, v3, 16, v19
.LBB279_1606:                           ;   in Loop: Header=BB279_931 Depth=1
	s_or_b32 exec_lo, exec_lo, s20
.LBB279_1607:                           ;   in Loop: Header=BB279_931 Depth=1
	s_or_b32 exec_lo, exec_lo, s19
.LBB279_1608:                           ;   in Loop: Header=BB279_931 Depth=1
	s_or_b32 exec_lo, exec_lo, s18
	v_lshrrev_b32_e32 v3, 16, v11
	v_mov_b32_e32 v35, 0
	v_mov_b32_e32 v36, 0
	v_cmp_ne_u16_sdwa s4, v3, v4 src0_sel:BYTE_0 src1_sel:DWORD
	s_and_saveexec_b32 s18, s4
	s_cbranch_execz .LBB279_1616
; %bb.1609:                             ;   in Loop: Header=BB279_931 Depth=1
	v_cmp_ne_u16_sdwa s4, v3, v39 src0_sel:BYTE_0 src1_sel:DWORD
	v_mov_b32_e32 v36, 0x8000
	s_and_saveexec_b32 s19, s4
	s_cbranch_execz .LBB279_1615
; %bb.1610:                             ;   in Loop: Header=BB279_931 Depth=1
	v_bfe_u32 v23, v11, 16, 7
	v_mov_b32_e32 v36, 0x7c01
	s_mov_b32 s20, exec_lo
	v_cmpx_ne_u32_e32 0x7f, v23
	s_cbranch_execz .LBB279_1614
; %bb.1611:                             ;   in Loop: Header=BB279_931 Depth=1
	v_and_b32_e32 v19, 7, v3
	v_lshrrev_b32_e32 v22, 3, v23
	s_mov_b32 s21, exec_lo
	v_cmpx_gt_u32_e32 8, v23
; %bb.1612:                             ;   in Loop: Header=BB279_931 Depth=1
	v_ffbh_u32_e32 v19, v19
	v_min_u32_e32 v19, 32, v19
	v_subrev_nc_u32_e32 v22, 28, v19
	v_lshlrev_b64 v[36:37], v22, v[3:4]
	v_sub_nc_u32_e32 v22, 29, v19
	v_and_b32_e32 v19, 7, v36
; %bb.1613:                             ;   in Loop: Header=BB279_931 Depth=1
	s_or_b32 exec_lo, exec_lo, s21
	v_lshlrev_b32_e32 v3, 8, v3
	v_lshl_add_u32 v22, v22, 10, 0x2000
	v_lshlrev_b32_e32 v19, 7, v19
	v_and_b32_e32 v3, 0x8000, v3
	v_and_b32_e32 v22, 0xfc00, v22
	v_or3_b32 v36, v3, v22, v19
.LBB279_1614:                           ;   in Loop: Header=BB279_931 Depth=1
	s_or_b32 exec_lo, exec_lo, s20
.LBB279_1615:                           ;   in Loop: Header=BB279_931 Depth=1
	s_or_b32 exec_lo, exec_lo, s19
.LBB279_1616:                           ;   in Loop: Header=BB279_931 Depth=1
	s_or_b32 exec_lo, exec_lo, s18
	s_mov_b32 s18, exec_lo
	v_cmpx_lt_u32_e32 0xffffff, v11
	s_cbranch_execz .LBB279_1624
; %bb.1617:                             ;   in Loop: Header=BB279_931 Depth=1
	v_lshrrev_b32_e32 v3, 24, v11
	v_bfrev_b32_e32 v35, 1
	s_mov_b32 s19, exec_lo
	v_cmpx_ne_u32_e32 0x80, v3
	s_cbranch_execz .LBB279_1623
; %bb.1618:                             ;   in Loop: Header=BB279_931 Depth=1
	v_and_b32_e32 v23, 0x7f, v3
	v_mov_b32_e32 v35, 0x7c010000
	s_mov_b32 s20, exec_lo
	v_cmpx_ne_u32_e32 0x7f, v23
	s_cbranch_execz .LBB279_1622
; %bb.1619:                             ;   in Loop: Header=BB279_931 Depth=1
	v_and_b32_e32 v19, 7, v3
	v_lshrrev_b32_e32 v22, 3, v23
	s_mov_b32 s21, exec_lo
	v_cmpx_gt_u32_e32 8, v23
; %bb.1620:                             ;   in Loop: Header=BB279_931 Depth=1
	v_ffbh_u32_e32 v19, v19
	v_min_u32_e32 v19, 32, v19
	v_subrev_nc_u32_e32 v22, 28, v19
	v_lshlrev_b64 v[40:41], v22, v[3:4]
	v_sub_nc_u32_e32 v22, 29, v19
	v_and_b32_e32 v19, 7, v40
; %bb.1621:                             ;   in Loop: Header=BB279_931 Depth=1
	s_or_b32 exec_lo, exec_lo, s21
	v_lshlrev_b32_e32 v3, 8, v3
	v_lshl_add_u32 v22, v22, 10, 0x2000
	v_lshlrev_b32_e32 v19, 23, v19
	v_and_or_b32 v3, 0x8000, v3, v22
	v_lshl_or_b32 v35, v3, 16, v19
.LBB279_1622:                           ;   in Loop: Header=BB279_931 Depth=1
	s_or_b32 exec_lo, exec_lo, s20
.LBB279_1623:                           ;   in Loop: Header=BB279_931 Depth=1
	s_or_b32 exec_lo, exec_lo, s19
.LBB279_1624:                           ;   in Loop: Header=BB279_931 Depth=1
	s_or_b32 exec_lo, exec_lo, s18
	v_mov_b32_e32 v3, v12
	v_cmp_ne_u16_sdwa s4, v12, v4 src0_sel:BYTE_0 src1_sel:DWORD
	v_mov_b32_e32 v23, 0
	v_mov_b32_e32 v19, 0
	s_and_saveexec_b32 s18, s4
	s_cbranch_execz .LBB279_1632
; %bb.1625:                             ;   in Loop: Header=BB279_931 Depth=1
	v_cmp_ne_u16_sdwa s4, v12, v39 src0_sel:BYTE_0 src1_sel:DWORD
	v_mov_b32_e32 v19, 0x8000
	s_and_saveexec_b32 s19, s4
	s_cbranch_execz .LBB279_1631
; %bb.1626:                             ;   in Loop: Header=BB279_931 Depth=1
	v_and_b32_e32 v33, 0x7f, v12
	v_mov_b32_e32 v19, 0x7c01
	s_mov_b32 s20, exec_lo
	v_cmpx_ne_u32_e32 0x7f, v33
	s_cbranch_execz .LBB279_1630
; %bb.1627:                             ;   in Loop: Header=BB279_931 Depth=1
	v_and_b32_e32 v19, 7, v12
	v_lshrrev_b32_e32 v22, 3, v33
	s_mov_b32 s21, exec_lo
	v_cmpx_gt_u32_e32 8, v33
; %bb.1628:                             ;   in Loop: Header=BB279_931 Depth=1
	v_ffbh_u32_e32 v19, v19
	v_min_u32_e32 v19, 32, v19
	v_subrev_nc_u32_e32 v22, 28, v19
	v_lshlrev_b64 v[40:41], v22, v[3:4]
	v_sub_nc_u32_e32 v22, 29, v19
	v_and_b32_e32 v19, 7, v40
; %bb.1629:                             ;   in Loop: Header=BB279_931 Depth=1
	s_or_b32 exec_lo, exec_lo, s21
	v_lshlrev_b32_e32 v33, 8, v12
	v_lshl_add_u32 v22, v22, 10, 0x2000
	v_lshlrev_b32_e32 v19, 7, v19
	v_and_b32_e32 v33, 0x8000, v33
	v_and_b32_e32 v22, 0xfc00, v22
	v_or3_b32 v19, v33, v22, v19
.LBB279_1630:                           ;   in Loop: Header=BB279_931 Depth=1
	s_or_b32 exec_lo, exec_lo, s20
.LBB279_1631:                           ;   in Loop: Header=BB279_931 Depth=1
	s_or_b32 exec_lo, exec_lo, s19
.LBB279_1632:                           ;   in Loop: Header=BB279_931 Depth=1
	s_or_b32 exec_lo, exec_lo, s18
	v_lshrrev_b16 v3, 8, v3
	v_mov_b32_e32 v22, 0
	s_mov_b32 s18, exec_lo
	v_cmpx_ne_u16_e32 0, v3
	s_cbranch_execz .LBB279_1640
; %bb.1633:                             ;   in Loop: Header=BB279_931 Depth=1
	v_bfrev_b32_e32 v22, 1
	s_mov_b32 s19, exec_lo
	v_cmpx_ne_u16_e32 0x80, v3
	s_cbranch_execz .LBB279_1639
; %bb.1634:                             ;   in Loop: Header=BB279_931 Depth=1
	v_and_b32_sdwa v37, v3, v48 dst_sel:DWORD dst_unused:UNUSED_PAD src0_sel:WORD_0 src1_sel:DWORD
	v_mov_b32_e32 v22, 0x7c010000
	s_mov_b32 s20, exec_lo
	v_cmpx_ne_u32_e32 0x7f, v37
	s_cbranch_execz .LBB279_1638
; %bb.1635:                             ;   in Loop: Header=BB279_931 Depth=1
	v_and_b32_sdwa v22, v3, v64 dst_sel:DWORD dst_unused:UNUSED_PAD src0_sel:WORD_0 src1_sel:DWORD
	v_lshrrev_b32_e32 v33, 3, v37
	s_mov_b32 s21, exec_lo
	v_cmpx_gt_u32_e32 8, v37
; %bb.1636:                             ;   in Loop: Header=BB279_931 Depth=1
	v_ffbh_u32_e32 v22, v22
	v_min_u32_e32 v22, 32, v22
	v_subrev_nc_u32_e32 v33, 28, v22
	v_lshlrev_b64 v[40:41], v33, v[3:4]
	v_sub_nc_u32_e32 v33, 29, v22
	v_and_b32_e32 v22, 7, v40
; %bb.1637:                             ;   in Loop: Header=BB279_931 Depth=1
	s_or_b32 exec_lo, exec_lo, s21
	v_lshlrev_b32_sdwa v3, v65, v3 dst_sel:DWORD dst_unused:UNUSED_PAD src0_sel:DWORD src1_sel:WORD_0
	v_lshl_add_u32 v33, v33, 10, 0x2000
	v_lshlrev_b32_e32 v22, 23, v22
	v_and_or_b32 v3, 0x8000, v3, v33
	v_lshl_or_b32 v22, v3, 16, v22
.LBB279_1638:                           ;   in Loop: Header=BB279_931 Depth=1
	s_or_b32 exec_lo, exec_lo, s20
.LBB279_1639:                           ;   in Loop: Header=BB279_931 Depth=1
	s_or_b32 exec_lo, exec_lo, s19
.LBB279_1640:                           ;   in Loop: Header=BB279_931 Depth=1
	s_or_b32 exec_lo, exec_lo, s18
	v_lshrrev_b32_e32 v3, 16, v12
	v_cmp_ne_u16_sdwa s4, v3, v4 src0_sel:BYTE_0 src1_sel:DWORD
	s_and_saveexec_b32 s18, s4
	s_cbranch_execz .LBB279_1648
; %bb.1641:                             ;   in Loop: Header=BB279_931 Depth=1
	v_cmp_ne_u16_sdwa s4, v3, v39 src0_sel:BYTE_0 src1_sel:DWORD
	v_mov_b32_e32 v23, 0x8000
	s_and_saveexec_b32 s19, s4
	s_cbranch_execz .LBB279_1647
; %bb.1642:                             ;   in Loop: Header=BB279_931 Depth=1
	v_bfe_u32 v37, v12, 16, 7
	v_mov_b32_e32 v23, 0x7c01
	s_mov_b32 s20, exec_lo
	v_cmpx_ne_u32_e32 0x7f, v37
	s_cbranch_execz .LBB279_1646
; %bb.1643:                             ;   in Loop: Header=BB279_931 Depth=1
	v_and_b32_e32 v23, 7, v3
	v_lshrrev_b32_e32 v33, 3, v37
	s_mov_b32 s21, exec_lo
	v_cmpx_gt_u32_e32 8, v37
; %bb.1644:                             ;   in Loop: Header=BB279_931 Depth=1
	v_ffbh_u32_e32 v23, v23
	v_min_u32_e32 v23, 32, v23
	v_subrev_nc_u32_e32 v33, 28, v23
	v_lshlrev_b64 v[40:41], v33, v[3:4]
	v_sub_nc_u32_e32 v33, 29, v23
	v_and_b32_e32 v23, 7, v40
; %bb.1645:                             ;   in Loop: Header=BB279_931 Depth=1
	s_or_b32 exec_lo, exec_lo, s21
	v_lshlrev_b32_e32 v3, 8, v3
	v_lshl_add_u32 v33, v33, 10, 0x2000
	v_lshlrev_b32_e32 v23, 7, v23
	v_and_b32_e32 v3, 0x8000, v3
	v_and_b32_e32 v33, 0xfc00, v33
	v_or3_b32 v23, v3, v33, v23
.LBB279_1646:                           ;   in Loop: Header=BB279_931 Depth=1
	s_or_b32 exec_lo, exec_lo, s20
.LBB279_1647:                           ;   in Loop: Header=BB279_931 Depth=1
	s_or_b32 exec_lo, exec_lo, s19
.LBB279_1648:                           ;   in Loop: Header=BB279_931 Depth=1
	s_or_b32 exec_lo, exec_lo, s18
	v_cmp_lt_u64_e64 s4, s[6:7], v[11:12]
	v_mov_b32_e32 v11, 0
	s_and_saveexec_b32 s18, s4
	s_cbranch_execz .LBB279_1656
; %bb.1649:                             ;   in Loop: Header=BB279_931 Depth=1
	v_lshrrev_b32_e32 v3, 24, v12
	v_bfrev_b32_e32 v11, 1
	s_mov_b32 s19, exec_lo
	v_cmpx_ne_u32_e32 0x80, v3
	s_cbranch_execz .LBB279_1655
; %bb.1650:                             ;   in Loop: Header=BB279_931 Depth=1
	v_and_b32_e32 v33, 0x7f, v3
	v_mov_b32_e32 v11, 0x7c010000
	s_mov_b32 s20, exec_lo
	v_cmpx_ne_u32_e32 0x7f, v33
	s_cbranch_execz .LBB279_1654
; %bb.1651:                             ;   in Loop: Header=BB279_931 Depth=1
	v_and_b32_e32 v11, 7, v3
	v_lshrrev_b32_e32 v12, 3, v33
	s_mov_b32 s21, exec_lo
	v_cmpx_gt_u32_e32 8, v33
; %bb.1652:                             ;   in Loop: Header=BB279_931 Depth=1
	v_ffbh_u32_e32 v11, v11
	v_min_u32_e32 v33, 32, v11
	v_subrev_nc_u32_e32 v11, 28, v33
	v_lshlrev_b64 v[11:12], v11, v[3:4]
	v_sub_nc_u32_e32 v12, 29, v33
	v_and_b32_e32 v11, 7, v11
; %bb.1653:                             ;   in Loop: Header=BB279_931 Depth=1
	s_or_b32 exec_lo, exec_lo, s21
	v_lshlrev_b32_e32 v3, 8, v3
	v_lshl_add_u32 v12, v12, 10, 0x2000
	v_lshlrev_b32_e32 v11, 23, v11
	v_and_or_b32 v3, 0x8000, v3, v12
	v_lshl_or_b32 v11, v3, 16, v11
.LBB279_1654:                           ;   in Loop: Header=BB279_931 Depth=1
	s_or_b32 exec_lo, exec_lo, s20
.LBB279_1655:                           ;   in Loop: Header=BB279_931 Depth=1
	s_or_b32 exec_lo, exec_lo, s19
.LBB279_1656:                           ;   in Loop: Header=BB279_931 Depth=1
	s_or_b32 exec_lo, exec_lo, s18
	v_or_b32_e32 v3, v35, v36
	s_waitcnt vmcnt(0) lgkmcnt(0)
	v_fma_mixlo_f16 v12, v31, v35, 0 op_sel:[0,1,0] op_sel_hi:[0,1,0]
	v_or_b32_e32 v33, v32, v34
	v_fma_mixlo_f16 v32, v31, v32, 0 op_sel:[0,1,0] op_sel_hi:[0,1,0]
	v_or_b32_e32 v19, v22, v19
	v_or_b32_e32 v35, v11, v23
	v_fma_mixlo_f16 v34, v31, v3, 0 op_sel_hi:[0,1,0]
	v_fma_mixlo_f16 v22, v31, v22, 0 op_sel:[0,1,0] op_sel_hi:[0,1,0]
	v_lshlrev_b32_e32 v23, 16, v32
	v_fma_mixlo_f16 v32, v31, v33, 0 op_sel_hi:[0,1,0]
	v_fma_mixlo_f16 v33, v31, v19, 0 op_sel_hi:[0,1,0]
	v_fma_mixlo_f16 v11, v31, v11, 0 op_sel:[0,1,0] op_sel_hi:[0,1,0]
	v_fma_mixlo_f16 v31, v31, v35, 0 op_sel_hi:[0,1,0]
	v_lshlrev_b32_e32 v3, 16, v12
	v_and_b32_e32 v12, 0xffff, v34
	v_and_b32_e32 v36, 0xffff, v32
	v_lshlrev_b32_e32 v19, 16, v22
	v_and_b32_e32 v32, 0xffff, v33
	v_lshlrev_b32_e32 v11, 16, v11
	v_and_b32_e32 v22, 0xffff, v31
	v_or_b32_e32 v31, v3, v12
	v_or_b32_e32 v35, v23, v36
	;; [unrolled: 1-line block ×4, first 2 shown]
	s_and_saveexec_b32 s18, vcc_lo
	s_cbranch_execz .LBB279_1658
; %bb.1657:                             ;   in Loop: Header=BB279_931 Depth=1
	v_cmp_lt_i32_e64 s4, v69, v30
	v_cndmask_b32_e64 v31, 0, v36, s4
	v_cmp_lt_i32_e64 s4, v98, v30
	v_cndmask_b32_e64 v23, 0, v23, s4
	v_cmp_lt_i32_e64 s4, v97, v30
	v_or_b32_e32 v35, v31, v23
	v_cndmask_b32_e64 v12, 0, v12, s4
	v_cmp_lt_i32_e64 s4, v96, v30
	v_cndmask_b32_e64 v3, 0, v3, s4
	v_cmp_lt_i32_e64 s4, v87, v30
	v_or_b32_e32 v31, v12, v3
	;; [unrolled: 5-line block ×3, first 2 shown]
	v_cndmask_b32_e64 v22, 0, v22, s4
	v_cmp_lt_i32_e64 s4, v84, v30
	v_cndmask_b32_e64 v11, 0, v11, s4
	v_or_b32_e32 v33, v22, v11
.LBB279_1658:                           ;   in Loop: Header=BB279_931 Depth=1
	s_or_b32 exec_lo, exec_lo, s18
	;;#ASMSTART
	v_pk_mul_f16 v3, v83, v35;

	;;#ASMEND
	;;#ASMSTART
	v_pk_mul_f16 v11, v82, v31;

	;;#ASMEND
	;; [unrolled: 4-line block ×4, first 2 shown]
	;;#ASMSTART
	v_pk_add_f16 v3, v3, v11;

	;;#ASMEND
	;;#ASMSTART
	v_pk_add_f16 v3, v3, v12;

	;;#ASMEND
	;; [unrolled: 4-line block ×3, first 2 shown]
	v_and_b32_e32 v11, 0xffff, v3
	v_lshrrev_b32_e32 v3, 16, v3
	;;#ASMSTART
	v_cvt_f32_f16 v31, v11;
	;;#ASMEND
	;;#ASMSTART
	v_cvt_f32_f16 v32, v3;
	;;#ASMEND
	flat_load_dwordx2 v[11:12], v[9:10] offset:768
	flat_load_dword v34, v[56:57]
	v_mov_b32_e32 v35, 0
	v_mov_b32_e32 v36, 0
	s_waitcnt vmcnt(1) lgkmcnt(1)
	v_cmp_ne_u16_sdwa s4, v11, v4 src0_sel:BYTE_0 src1_sel:DWORD
	s_and_saveexec_b32 s18, s4
	s_cbranch_execz .LBB279_1666
; %bb.1659:                             ;   in Loop: Header=BB279_931 Depth=1
	v_cmp_ne_u16_sdwa s4, v11, v39 src0_sel:BYTE_0 src1_sel:DWORD
	v_mov_b32_e32 v36, 0x8000
	s_and_saveexec_b32 s19, s4
	s_cbranch_execz .LBB279_1665
; %bb.1660:                             ;   in Loop: Header=BB279_931 Depth=1
	v_and_b32_e32 v22, 0x7f, v11
	v_mov_b32_e32 v36, 0x7c01
	s_mov_b32 s20, exec_lo
	v_cmpx_ne_u32_e32 0x7f, v22
	s_cbranch_execz .LBB279_1664
; %bb.1661:                             ;   in Loop: Header=BB279_931 Depth=1
	v_and_b32_e32 v3, 7, v11
	v_lshrrev_b32_e32 v19, 3, v22
	s_mov_b32 s21, exec_lo
	v_cmpx_gt_u32_e32 8, v22
; %bb.1662:                             ;   in Loop: Header=BB279_931 Depth=1
	v_ffbh_u32_e32 v3, v3
	v_min_u32_e32 v3, 32, v3
	v_subrev_nc_u32_e32 v19, 28, v3
	v_lshlrev_b64 v[22:23], v19, v[11:12]
	v_sub_nc_u32_e32 v19, 29, v3
	v_and_b32_e32 v3, 7, v22
; %bb.1663:                             ;   in Loop: Header=BB279_931 Depth=1
	s_or_b32 exec_lo, exec_lo, s21
	v_lshlrev_b32_e32 v22, 8, v11
	v_lshl_add_u32 v19, v19, 10, 0x2000
	v_lshlrev_b32_e32 v3, 7, v3
	v_and_b32_e32 v22, 0x8000, v22
	v_and_b32_e32 v19, 0xfc00, v19
	v_or3_b32 v36, v22, v19, v3
.LBB279_1664:                           ;   in Loop: Header=BB279_931 Depth=1
	s_or_b32 exec_lo, exec_lo, s20
.LBB279_1665:                           ;   in Loop: Header=BB279_931 Depth=1
	s_or_b32 exec_lo, exec_lo, s19
.LBB279_1666:                           ;   in Loop: Header=BB279_931 Depth=1
	s_or_b32 exec_lo, exec_lo, s18
	v_lshrrev_b16 v3, 8, v11
	s_mov_b32 s18, exec_lo
	v_cmpx_ne_u16_e32 0, v3
	s_cbranch_execz .LBB279_1674
; %bb.1667:                             ;   in Loop: Header=BB279_931 Depth=1
	v_bfrev_b32_e32 v35, 1
	s_mov_b32 s19, exec_lo
	v_cmpx_ne_u16_e32 0x80, v3
	s_cbranch_execz .LBB279_1673
; %bb.1668:                             ;   in Loop: Header=BB279_931 Depth=1
	v_and_b32_sdwa v23, v3, v48 dst_sel:DWORD dst_unused:UNUSED_PAD src0_sel:WORD_0 src1_sel:DWORD
	v_mov_b32_e32 v35, 0x7c010000
	s_mov_b32 s20, exec_lo
	v_cmpx_ne_u32_e32 0x7f, v23
	s_cbranch_execz .LBB279_1672
; %bb.1669:                             ;   in Loop: Header=BB279_931 Depth=1
	v_and_b32_sdwa v19, v3, v64 dst_sel:DWORD dst_unused:UNUSED_PAD src0_sel:WORD_0 src1_sel:DWORD
	v_lshrrev_b32_e32 v22, 3, v23
	s_mov_b32 s21, exec_lo
	v_cmpx_gt_u32_e32 8, v23
; %bb.1670:                             ;   in Loop: Header=BB279_931 Depth=1
	v_ffbh_u32_e32 v19, v19
	v_min_u32_e32 v19, 32, v19
	v_subrev_nc_u32_e32 v22, 28, v19
	v_lshlrev_b64 v[40:41], v22, v[3:4]
	v_sub_nc_u32_e32 v22, 29, v19
	v_and_b32_e32 v19, 7, v40
; %bb.1671:                             ;   in Loop: Header=BB279_931 Depth=1
	s_or_b32 exec_lo, exec_lo, s21
	v_lshlrev_b32_sdwa v3, v65, v3 dst_sel:DWORD dst_unused:UNUSED_PAD src0_sel:DWORD src1_sel:WORD_0
	v_lshl_add_u32 v22, v22, 10, 0x2000
	v_lshlrev_b32_e32 v19, 23, v19
	v_and_or_b32 v3, 0x8000, v3, v22
	v_lshl_or_b32 v35, v3, 16, v19
.LBB279_1672:                           ;   in Loop: Header=BB279_931 Depth=1
	s_or_b32 exec_lo, exec_lo, s20
.LBB279_1673:                           ;   in Loop: Header=BB279_931 Depth=1
	s_or_b32 exec_lo, exec_lo, s19
.LBB279_1674:                           ;   in Loop: Header=BB279_931 Depth=1
	s_or_b32 exec_lo, exec_lo, s18
	v_lshrrev_b32_e32 v3, 16, v11
	v_mov_b32_e32 v37, 0
	v_mov_b32_e32 v40, 0
	v_cmp_ne_u16_sdwa s4, v3, v4 src0_sel:BYTE_0 src1_sel:DWORD
	s_and_saveexec_b32 s18, s4
	s_cbranch_execz .LBB279_1682
; %bb.1675:                             ;   in Loop: Header=BB279_931 Depth=1
	v_cmp_ne_u16_sdwa s4, v3, v39 src0_sel:BYTE_0 src1_sel:DWORD
	v_mov_b32_e32 v40, 0x8000
	s_and_saveexec_b32 s19, s4
	s_cbranch_execz .LBB279_1681
; %bb.1676:                             ;   in Loop: Header=BB279_931 Depth=1
	v_bfe_u32 v23, v11, 16, 7
	v_mov_b32_e32 v40, 0x7c01
	s_mov_b32 s20, exec_lo
	v_cmpx_ne_u32_e32 0x7f, v23
	s_cbranch_execz .LBB279_1680
; %bb.1677:                             ;   in Loop: Header=BB279_931 Depth=1
	v_and_b32_e32 v19, 7, v3
	v_lshrrev_b32_e32 v22, 3, v23
	s_mov_b32 s21, exec_lo
	v_cmpx_gt_u32_e32 8, v23
; %bb.1678:                             ;   in Loop: Header=BB279_931 Depth=1
	v_ffbh_u32_e32 v19, v19
	v_min_u32_e32 v19, 32, v19
	v_subrev_nc_u32_e32 v22, 28, v19
	v_lshlrev_b64 v[40:41], v22, v[3:4]
	v_sub_nc_u32_e32 v22, 29, v19
	v_and_b32_e32 v19, 7, v40
; %bb.1679:                             ;   in Loop: Header=BB279_931 Depth=1
	s_or_b32 exec_lo, exec_lo, s21
	v_lshlrev_b32_e32 v3, 8, v3
	v_lshl_add_u32 v22, v22, 10, 0x2000
	v_lshlrev_b32_e32 v19, 7, v19
	v_and_b32_e32 v3, 0x8000, v3
	v_and_b32_e32 v22, 0xfc00, v22
	v_or3_b32 v40, v3, v22, v19
.LBB279_1680:                           ;   in Loop: Header=BB279_931 Depth=1
	s_or_b32 exec_lo, exec_lo, s20
.LBB279_1681:                           ;   in Loop: Header=BB279_931 Depth=1
	s_or_b32 exec_lo, exec_lo, s19
.LBB279_1682:                           ;   in Loop: Header=BB279_931 Depth=1
	s_or_b32 exec_lo, exec_lo, s18
	s_mov_b32 s18, exec_lo
	v_cmpx_lt_u32_e32 0xffffff, v11
	s_cbranch_execz .LBB279_1690
; %bb.1683:                             ;   in Loop: Header=BB279_931 Depth=1
	v_lshrrev_b32_e32 v3, 24, v11
	v_bfrev_b32_e32 v37, 1
	s_mov_b32 s19, exec_lo
	v_cmpx_ne_u32_e32 0x80, v3
	s_cbranch_execz .LBB279_1689
; %bb.1684:                             ;   in Loop: Header=BB279_931 Depth=1
	v_and_b32_e32 v23, 0x7f, v3
	v_mov_b32_e32 v37, 0x7c010000
	s_mov_b32 s20, exec_lo
	v_cmpx_ne_u32_e32 0x7f, v23
	s_cbranch_execz .LBB279_1688
; %bb.1685:                             ;   in Loop: Header=BB279_931 Depth=1
	v_and_b32_e32 v19, 7, v3
	v_lshrrev_b32_e32 v22, 3, v23
	s_mov_b32 s21, exec_lo
	v_cmpx_gt_u32_e32 8, v23
; %bb.1686:                             ;   in Loop: Header=BB279_931 Depth=1
	v_ffbh_u32_e32 v19, v19
	v_min_u32_e32 v19, 32, v19
	v_subrev_nc_u32_e32 v22, 28, v19
	v_lshlrev_b64 v[41:42], v22, v[3:4]
	v_sub_nc_u32_e32 v22, 29, v19
	v_and_b32_e32 v19, 7, v41
; %bb.1687:                             ;   in Loop: Header=BB279_931 Depth=1
	s_or_b32 exec_lo, exec_lo, s21
	v_lshlrev_b32_e32 v3, 8, v3
	v_lshl_add_u32 v22, v22, 10, 0x2000
	v_lshlrev_b32_e32 v19, 23, v19
	v_and_or_b32 v3, 0x8000, v3, v22
	v_lshl_or_b32 v37, v3, 16, v19
.LBB279_1688:                           ;   in Loop: Header=BB279_931 Depth=1
	s_or_b32 exec_lo, exec_lo, s20
.LBB279_1689:                           ;   in Loop: Header=BB279_931 Depth=1
	s_or_b32 exec_lo, exec_lo, s19
.LBB279_1690:                           ;   in Loop: Header=BB279_931 Depth=1
	s_or_b32 exec_lo, exec_lo, s18
	v_mov_b32_e32 v3, v12
	v_cmp_ne_u16_sdwa s4, v12, v4 src0_sel:BYTE_0 src1_sel:DWORD
	v_mov_b32_e32 v23, 0
	v_mov_b32_e32 v19, 0
	s_and_saveexec_b32 s18, s4
	s_cbranch_execz .LBB279_1698
; %bb.1691:                             ;   in Loop: Header=BB279_931 Depth=1
	v_cmp_ne_u16_sdwa s4, v12, v39 src0_sel:BYTE_0 src1_sel:DWORD
	v_mov_b32_e32 v19, 0x8000
	s_and_saveexec_b32 s19, s4
	s_cbranch_execz .LBB279_1697
; %bb.1692:                             ;   in Loop: Header=BB279_931 Depth=1
	v_and_b32_e32 v33, 0x7f, v12
	v_mov_b32_e32 v19, 0x7c01
	s_mov_b32 s20, exec_lo
	v_cmpx_ne_u32_e32 0x7f, v33
	s_cbranch_execz .LBB279_1696
; %bb.1693:                             ;   in Loop: Header=BB279_931 Depth=1
	v_and_b32_e32 v19, 7, v12
	v_lshrrev_b32_e32 v22, 3, v33
	s_mov_b32 s21, exec_lo
	v_cmpx_gt_u32_e32 8, v33
; %bb.1694:                             ;   in Loop: Header=BB279_931 Depth=1
	v_ffbh_u32_e32 v19, v19
	v_min_u32_e32 v19, 32, v19
	v_subrev_nc_u32_e32 v22, 28, v19
	v_lshlrev_b64 v[41:42], v22, v[3:4]
	v_sub_nc_u32_e32 v22, 29, v19
	v_and_b32_e32 v19, 7, v41
; %bb.1695:                             ;   in Loop: Header=BB279_931 Depth=1
	s_or_b32 exec_lo, exec_lo, s21
	v_lshlrev_b32_e32 v33, 8, v12
	v_lshl_add_u32 v22, v22, 10, 0x2000
	v_lshlrev_b32_e32 v19, 7, v19
	v_and_b32_e32 v33, 0x8000, v33
	v_and_b32_e32 v22, 0xfc00, v22
	v_or3_b32 v19, v33, v22, v19
.LBB279_1696:                           ;   in Loop: Header=BB279_931 Depth=1
	s_or_b32 exec_lo, exec_lo, s20
.LBB279_1697:                           ;   in Loop: Header=BB279_931 Depth=1
	s_or_b32 exec_lo, exec_lo, s19
.LBB279_1698:                           ;   in Loop: Header=BB279_931 Depth=1
	s_or_b32 exec_lo, exec_lo, s18
	v_lshrrev_b16 v3, 8, v3
	v_mov_b32_e32 v22, 0
	s_mov_b32 s18, exec_lo
	v_cmpx_ne_u16_e32 0, v3
	s_cbranch_execz .LBB279_1706
; %bb.1699:                             ;   in Loop: Header=BB279_931 Depth=1
	v_bfrev_b32_e32 v22, 1
	s_mov_b32 s19, exec_lo
	v_cmpx_ne_u16_e32 0x80, v3
	s_cbranch_execz .LBB279_1705
; %bb.1700:                             ;   in Loop: Header=BB279_931 Depth=1
	v_and_b32_sdwa v41, v3, v48 dst_sel:DWORD dst_unused:UNUSED_PAD src0_sel:WORD_0 src1_sel:DWORD
	v_mov_b32_e32 v22, 0x7c010000
	s_mov_b32 s20, exec_lo
	v_cmpx_ne_u32_e32 0x7f, v41
	s_cbranch_execz .LBB279_1704
; %bb.1701:                             ;   in Loop: Header=BB279_931 Depth=1
	v_and_b32_sdwa v22, v3, v64 dst_sel:DWORD dst_unused:UNUSED_PAD src0_sel:WORD_0 src1_sel:DWORD
	v_lshrrev_b32_e32 v33, 3, v41
	s_mov_b32 s21, exec_lo
	v_cmpx_gt_u32_e32 8, v41
; %bb.1702:                             ;   in Loop: Header=BB279_931 Depth=1
	v_ffbh_u32_e32 v22, v22
	v_min_u32_e32 v22, 32, v22
	v_subrev_nc_u32_e32 v33, 28, v22
	v_lshlrev_b64 v[41:42], v33, v[3:4]
	v_sub_nc_u32_e32 v33, 29, v22
	v_and_b32_e32 v22, 7, v41
; %bb.1703:                             ;   in Loop: Header=BB279_931 Depth=1
	s_or_b32 exec_lo, exec_lo, s21
	v_lshlrev_b32_sdwa v3, v65, v3 dst_sel:DWORD dst_unused:UNUSED_PAD src0_sel:DWORD src1_sel:WORD_0
	v_lshl_add_u32 v33, v33, 10, 0x2000
	v_lshlrev_b32_e32 v22, 23, v22
	v_and_or_b32 v3, 0x8000, v3, v33
	v_lshl_or_b32 v22, v3, 16, v22
.LBB279_1704:                           ;   in Loop: Header=BB279_931 Depth=1
	s_or_b32 exec_lo, exec_lo, s20
.LBB279_1705:                           ;   in Loop: Header=BB279_931 Depth=1
	s_or_b32 exec_lo, exec_lo, s19
.LBB279_1706:                           ;   in Loop: Header=BB279_931 Depth=1
	s_or_b32 exec_lo, exec_lo, s18
	v_lshrrev_b32_e32 v3, 16, v12
	v_cmp_ne_u16_sdwa s4, v3, v4 src0_sel:BYTE_0 src1_sel:DWORD
	s_and_saveexec_b32 s18, s4
	s_cbranch_execz .LBB279_1714
; %bb.1707:                             ;   in Loop: Header=BB279_931 Depth=1
	v_cmp_ne_u16_sdwa s4, v3, v39 src0_sel:BYTE_0 src1_sel:DWORD
	v_mov_b32_e32 v23, 0x8000
	s_and_saveexec_b32 s19, s4
	s_cbranch_execz .LBB279_1713
; %bb.1708:                             ;   in Loop: Header=BB279_931 Depth=1
	v_bfe_u32 v41, v12, 16, 7
	v_mov_b32_e32 v23, 0x7c01
	s_mov_b32 s20, exec_lo
	v_cmpx_ne_u32_e32 0x7f, v41
	s_cbranch_execz .LBB279_1712
; %bb.1709:                             ;   in Loop: Header=BB279_931 Depth=1
	v_and_b32_e32 v23, 7, v3
	v_lshrrev_b32_e32 v33, 3, v41
	s_mov_b32 s21, exec_lo
	v_cmpx_gt_u32_e32 8, v41
; %bb.1710:                             ;   in Loop: Header=BB279_931 Depth=1
	v_ffbh_u32_e32 v23, v23
	v_min_u32_e32 v23, 32, v23
	v_subrev_nc_u32_e32 v33, 28, v23
	v_lshlrev_b64 v[41:42], v33, v[3:4]
	v_sub_nc_u32_e32 v33, 29, v23
	v_and_b32_e32 v23, 7, v41
; %bb.1711:                             ;   in Loop: Header=BB279_931 Depth=1
	s_or_b32 exec_lo, exec_lo, s21
	v_lshlrev_b32_e32 v3, 8, v3
	v_lshl_add_u32 v33, v33, 10, 0x2000
	v_lshlrev_b32_e32 v23, 7, v23
	v_and_b32_e32 v3, 0x8000, v3
	v_and_b32_e32 v33, 0xfc00, v33
	v_or3_b32 v23, v3, v33, v23
.LBB279_1712:                           ;   in Loop: Header=BB279_931 Depth=1
	s_or_b32 exec_lo, exec_lo, s20
.LBB279_1713:                           ;   in Loop: Header=BB279_931 Depth=1
	s_or_b32 exec_lo, exec_lo, s19
.LBB279_1714:                           ;   in Loop: Header=BB279_931 Depth=1
	s_or_b32 exec_lo, exec_lo, s18
	v_cmp_lt_u64_e64 s4, s[6:7], v[11:12]
	v_mov_b32_e32 v11, 0
	s_and_saveexec_b32 s18, s4
	s_cbranch_execz .LBB279_1722
; %bb.1715:                             ;   in Loop: Header=BB279_931 Depth=1
	v_lshrrev_b32_e32 v3, 24, v12
	v_bfrev_b32_e32 v11, 1
	s_mov_b32 s19, exec_lo
	v_cmpx_ne_u32_e32 0x80, v3
	s_cbranch_execz .LBB279_1721
; %bb.1716:                             ;   in Loop: Header=BB279_931 Depth=1
	v_and_b32_e32 v33, 0x7f, v3
	v_mov_b32_e32 v11, 0x7c010000
	s_mov_b32 s20, exec_lo
	v_cmpx_ne_u32_e32 0x7f, v33
	s_cbranch_execz .LBB279_1720
; %bb.1717:                             ;   in Loop: Header=BB279_931 Depth=1
	v_and_b32_e32 v11, 7, v3
	v_lshrrev_b32_e32 v12, 3, v33
	s_mov_b32 s21, exec_lo
	v_cmpx_gt_u32_e32 8, v33
; %bb.1718:                             ;   in Loop: Header=BB279_931 Depth=1
	v_ffbh_u32_e32 v11, v11
	v_min_u32_e32 v33, 32, v11
	v_subrev_nc_u32_e32 v11, 28, v33
	v_lshlrev_b64 v[11:12], v11, v[3:4]
	v_sub_nc_u32_e32 v12, 29, v33
	v_and_b32_e32 v11, 7, v11
; %bb.1719:                             ;   in Loop: Header=BB279_931 Depth=1
	s_or_b32 exec_lo, exec_lo, s21
	v_lshlrev_b32_e32 v3, 8, v3
	v_lshl_add_u32 v12, v12, 10, 0x2000
	v_lshlrev_b32_e32 v11, 23, v11
	v_and_or_b32 v3, 0x8000, v3, v12
	v_lshl_or_b32 v11, v3, 16, v11
.LBB279_1720:                           ;   in Loop: Header=BB279_931 Depth=1
	s_or_b32 exec_lo, exec_lo, s20
.LBB279_1721:                           ;   in Loop: Header=BB279_931 Depth=1
	s_or_b32 exec_lo, exec_lo, s19
.LBB279_1722:                           ;   in Loop: Header=BB279_931 Depth=1
	s_or_b32 exec_lo, exec_lo, s18
	v_or_b32_e32 v3, v37, v40
	s_waitcnt vmcnt(0) lgkmcnt(0)
	v_fma_mixlo_f16 v12, v34, v37, 0 op_sel:[0,1,0] op_sel_hi:[0,1,0]
	v_or_b32_e32 v33, v35, v36
	v_fma_mixlo_f16 v35, v34, v35, 0 op_sel:[0,1,0] op_sel_hi:[0,1,0]
	v_or_b32_e32 v19, v22, v19
	v_fma_mixlo_f16 v36, v34, v3, 0 op_sel_hi:[0,1,0]
	v_or_b32_e32 v37, v11, v23
	v_lshlrev_b32_e32 v3, 16, v12
	v_lshlrev_b32_e32 v23, 16, v35
	v_fma_mixlo_f16 v33, v34, v33, 0 op_sel_hi:[0,1,0]
	v_and_b32_e32 v12, 0xffff, v36
	v_fma_mixlo_f16 v22, v34, v22, 0 op_sel:[0,1,0] op_sel_hi:[0,1,0]
	v_fma_mixlo_f16 v35, v34, v19, 0 op_sel_hi:[0,1,0]
	v_fma_mixlo_f16 v11, v34, v11, 0 op_sel:[0,1,0] op_sel_hi:[0,1,0]
	v_fma_mixlo_f16 v36, v34, v37, 0 op_sel_hi:[0,1,0]
	v_and_b32_e32 v40, 0xffff, v33
	v_lshlrev_b32_e32 v19, 16, v22
	v_and_b32_e32 v34, 0xffff, v35
	v_lshlrev_b32_e32 v11, 16, v11
	v_and_b32_e32 v22, 0xffff, v36
	v_or_b32_e32 v33, v3, v12
	v_or_b32_e32 v37, v23, v40
	;; [unrolled: 1-line block ×4, first 2 shown]
	s_and_saveexec_b32 s18, vcc_lo
	s_cbranch_execz .LBB279_1724
; %bb.1723:                             ;   in Loop: Header=BB279_931 Depth=1
	v_cmp_lt_i32_e64 s4, v69, v30
	v_cndmask_b32_e64 v33, 0, v40, s4
	v_cmp_lt_i32_e64 s4, v98, v30
	v_cndmask_b32_e64 v23, 0, v23, s4
	v_cmp_lt_i32_e64 s4, v97, v30
	v_or_b32_e32 v37, v33, v23
	v_cndmask_b32_e64 v12, 0, v12, s4
	v_cmp_lt_i32_e64 s4, v96, v30
	v_cndmask_b32_e64 v3, 0, v3, s4
	v_cmp_lt_i32_e64 s4, v87, v30
	v_or_b32_e32 v33, v12, v3
	v_cndmask_b32_e64 v34, 0, v34, s4
	v_cmp_lt_i32_e64 s4, v86, v30
	v_cndmask_b32_e64 v19, 0, v19, s4
	v_cmp_lt_i32_e64 s4, v85, v30
	v_or_b32_e32 v36, v34, v19
	v_cndmask_b32_e64 v22, 0, v22, s4
	v_cmp_lt_i32_e64 s4, v84, v30
	v_cndmask_b32_e64 v11, 0, v11, s4
	v_or_b32_e32 v35, v22, v11
.LBB279_1724:                           ;   in Loop: Header=BB279_931 Depth=1
	s_or_b32 exec_lo, exec_lo, s18
	;;#ASMSTART
	v_pk_mul_f16 v3, v83, v37;

	;;#ASMEND
	;;#ASMSTART
	v_pk_mul_f16 v11, v82, v33;

	;;#ASMEND
	;; [unrolled: 4-line block ×4, first 2 shown]
	;;#ASMSTART
	v_pk_add_f16 v3, v3, v11;

	;;#ASMEND
	;;#ASMSTART
	v_pk_add_f16 v3, v3, v12;

	;;#ASMEND
	;; [unrolled: 4-line block ×3, first 2 shown]
	v_and_b32_e32 v11, 0xffff, v3
	v_lshrrev_b32_e32 v3, 16, v3
	;;#ASMSTART
	v_cvt_f32_f16 v34, v11;
	;;#ASMEND
	;;#ASMSTART
	v_cvt_f32_f16 v35, v3;
	;;#ASMEND
	flat_load_dwordx2 v[11:12], v[9:10] offset:1024
	flat_load_dword v36, v[56:57]
	v_mov_b32_e32 v37, 0
	v_mov_b32_e32 v40, 0
	s_waitcnt vmcnt(1) lgkmcnt(1)
	v_cmp_ne_u16_sdwa s4, v11, v4 src0_sel:BYTE_0 src1_sel:DWORD
	s_and_saveexec_b32 s18, s4
	s_cbranch_execz .LBB279_1732
; %bb.1725:                             ;   in Loop: Header=BB279_931 Depth=1
	v_cmp_ne_u16_sdwa s4, v11, v39 src0_sel:BYTE_0 src1_sel:DWORD
	v_mov_b32_e32 v40, 0x8000
	s_and_saveexec_b32 s19, s4
	s_cbranch_execz .LBB279_1731
; %bb.1726:                             ;   in Loop: Header=BB279_931 Depth=1
	v_and_b32_e32 v22, 0x7f, v11
	v_mov_b32_e32 v40, 0x7c01
	s_mov_b32 s20, exec_lo
	v_cmpx_ne_u32_e32 0x7f, v22
	s_cbranch_execz .LBB279_1730
; %bb.1727:                             ;   in Loop: Header=BB279_931 Depth=1
	v_and_b32_e32 v3, 7, v11
	v_lshrrev_b32_e32 v19, 3, v22
	s_mov_b32 s21, exec_lo
	v_cmpx_gt_u32_e32 8, v22
; %bb.1728:                             ;   in Loop: Header=BB279_931 Depth=1
	v_ffbh_u32_e32 v3, v3
	v_min_u32_e32 v3, 32, v3
	v_subrev_nc_u32_e32 v19, 28, v3
	v_lshlrev_b64 v[22:23], v19, v[11:12]
	v_sub_nc_u32_e32 v19, 29, v3
	v_and_b32_e32 v3, 7, v22
; %bb.1729:                             ;   in Loop: Header=BB279_931 Depth=1
	s_or_b32 exec_lo, exec_lo, s21
	v_lshlrev_b32_e32 v22, 8, v11
	v_lshl_add_u32 v19, v19, 10, 0x2000
	v_lshlrev_b32_e32 v3, 7, v3
	v_and_b32_e32 v22, 0x8000, v22
	v_and_b32_e32 v19, 0xfc00, v19
	v_or3_b32 v40, v22, v19, v3
.LBB279_1730:                           ;   in Loop: Header=BB279_931 Depth=1
	s_or_b32 exec_lo, exec_lo, s20
.LBB279_1731:                           ;   in Loop: Header=BB279_931 Depth=1
	s_or_b32 exec_lo, exec_lo, s19
.LBB279_1732:                           ;   in Loop: Header=BB279_931 Depth=1
	s_or_b32 exec_lo, exec_lo, s18
	v_lshrrev_b16 v3, 8, v11
	s_mov_b32 s18, exec_lo
	v_cmpx_ne_u16_e32 0, v3
	s_cbranch_execz .LBB279_1740
; %bb.1733:                             ;   in Loop: Header=BB279_931 Depth=1
	v_bfrev_b32_e32 v37, 1
	s_mov_b32 s19, exec_lo
	v_cmpx_ne_u16_e32 0x80, v3
	s_cbranch_execz .LBB279_1739
; %bb.1734:                             ;   in Loop: Header=BB279_931 Depth=1
	v_and_b32_sdwa v23, v3, v48 dst_sel:DWORD dst_unused:UNUSED_PAD src0_sel:WORD_0 src1_sel:DWORD
	v_mov_b32_e32 v37, 0x7c010000
	s_mov_b32 s20, exec_lo
	v_cmpx_ne_u32_e32 0x7f, v23
	s_cbranch_execz .LBB279_1738
; %bb.1735:                             ;   in Loop: Header=BB279_931 Depth=1
	v_and_b32_sdwa v19, v3, v64 dst_sel:DWORD dst_unused:UNUSED_PAD src0_sel:WORD_0 src1_sel:DWORD
	v_lshrrev_b32_e32 v22, 3, v23
	s_mov_b32 s21, exec_lo
	v_cmpx_gt_u32_e32 8, v23
; %bb.1736:                             ;   in Loop: Header=BB279_931 Depth=1
	v_ffbh_u32_e32 v19, v19
	v_min_u32_e32 v19, 32, v19
	v_subrev_nc_u32_e32 v22, 28, v19
	v_lshlrev_b64 v[41:42], v22, v[3:4]
	v_sub_nc_u32_e32 v22, 29, v19
	v_and_b32_e32 v19, 7, v41
; %bb.1737:                             ;   in Loop: Header=BB279_931 Depth=1
	s_or_b32 exec_lo, exec_lo, s21
	v_lshlrev_b32_sdwa v3, v65, v3 dst_sel:DWORD dst_unused:UNUSED_PAD src0_sel:DWORD src1_sel:WORD_0
	v_lshl_add_u32 v22, v22, 10, 0x2000
	v_lshlrev_b32_e32 v19, 23, v19
	v_and_or_b32 v3, 0x8000, v3, v22
	v_lshl_or_b32 v37, v3, 16, v19
.LBB279_1738:                           ;   in Loop: Header=BB279_931 Depth=1
	s_or_b32 exec_lo, exec_lo, s20
.LBB279_1739:                           ;   in Loop: Header=BB279_931 Depth=1
	s_or_b32 exec_lo, exec_lo, s19
.LBB279_1740:                           ;   in Loop: Header=BB279_931 Depth=1
	s_or_b32 exec_lo, exec_lo, s18
	v_lshrrev_b32_e32 v3, 16, v11
	v_mov_b32_e32 v41, 0
	v_mov_b32_e32 v42, 0
	v_cmp_ne_u16_sdwa s4, v3, v4 src0_sel:BYTE_0 src1_sel:DWORD
	s_and_saveexec_b32 s18, s4
	s_cbranch_execz .LBB279_1748
; %bb.1741:                             ;   in Loop: Header=BB279_931 Depth=1
	v_cmp_ne_u16_sdwa s4, v3, v39 src0_sel:BYTE_0 src1_sel:DWORD
	v_mov_b32_e32 v42, 0x8000
	s_and_saveexec_b32 s19, s4
	s_cbranch_execz .LBB279_1747
; %bb.1742:                             ;   in Loop: Header=BB279_931 Depth=1
	v_bfe_u32 v23, v11, 16, 7
	v_mov_b32_e32 v42, 0x7c01
	s_mov_b32 s20, exec_lo
	v_cmpx_ne_u32_e32 0x7f, v23
	s_cbranch_execz .LBB279_1746
; %bb.1743:                             ;   in Loop: Header=BB279_931 Depth=1
	v_and_b32_e32 v19, 7, v3
	v_lshrrev_b32_e32 v22, 3, v23
	s_mov_b32 s21, exec_lo
	v_cmpx_gt_u32_e32 8, v23
; %bb.1744:                             ;   in Loop: Header=BB279_931 Depth=1
	v_ffbh_u32_e32 v19, v19
	v_min_u32_e32 v19, 32, v19
	v_subrev_nc_u32_e32 v22, 28, v19
	v_lshlrev_b64 v[42:43], v22, v[3:4]
	v_sub_nc_u32_e32 v22, 29, v19
	v_and_b32_e32 v19, 7, v42
; %bb.1745:                             ;   in Loop: Header=BB279_931 Depth=1
	s_or_b32 exec_lo, exec_lo, s21
	v_lshlrev_b32_e32 v3, 8, v3
	v_lshl_add_u32 v22, v22, 10, 0x2000
	v_lshlrev_b32_e32 v19, 7, v19
	v_and_b32_e32 v3, 0x8000, v3
	v_and_b32_e32 v22, 0xfc00, v22
	v_or3_b32 v42, v3, v22, v19
.LBB279_1746:                           ;   in Loop: Header=BB279_931 Depth=1
	s_or_b32 exec_lo, exec_lo, s20
.LBB279_1747:                           ;   in Loop: Header=BB279_931 Depth=1
	s_or_b32 exec_lo, exec_lo, s19
.LBB279_1748:                           ;   in Loop: Header=BB279_931 Depth=1
	s_or_b32 exec_lo, exec_lo, s18
	s_mov_b32 s18, exec_lo
	v_cmpx_lt_u32_e32 0xffffff, v11
	s_cbranch_execz .LBB279_1756
; %bb.1749:                             ;   in Loop: Header=BB279_931 Depth=1
	v_lshrrev_b32_e32 v3, 24, v11
	v_bfrev_b32_e32 v41, 1
	s_mov_b32 s19, exec_lo
	v_cmpx_ne_u32_e32 0x80, v3
	s_cbranch_execz .LBB279_1755
; %bb.1750:                             ;   in Loop: Header=BB279_931 Depth=1
	v_and_b32_e32 v23, 0x7f, v3
	v_mov_b32_e32 v41, 0x7c010000
	s_mov_b32 s20, exec_lo
	v_cmpx_ne_u32_e32 0x7f, v23
	s_cbranch_execz .LBB279_1754
; %bb.1751:                             ;   in Loop: Header=BB279_931 Depth=1
	v_and_b32_e32 v19, 7, v3
	v_lshrrev_b32_e32 v22, 3, v23
	s_mov_b32 s21, exec_lo
	v_cmpx_gt_u32_e32 8, v23
; %bb.1752:                             ;   in Loop: Header=BB279_931 Depth=1
	v_ffbh_u32_e32 v19, v19
	v_min_u32_e32 v19, 32, v19
	v_subrev_nc_u32_e32 v22, 28, v19
	v_lshlrev_b64 v[43:44], v22, v[3:4]
	v_sub_nc_u32_e32 v22, 29, v19
	v_and_b32_e32 v19, 7, v43
; %bb.1753:                             ;   in Loop: Header=BB279_931 Depth=1
	s_or_b32 exec_lo, exec_lo, s21
	v_lshlrev_b32_e32 v3, 8, v3
	v_lshl_add_u32 v22, v22, 10, 0x2000
	v_lshlrev_b32_e32 v19, 23, v19
	v_and_or_b32 v3, 0x8000, v3, v22
	v_lshl_or_b32 v41, v3, 16, v19
.LBB279_1754:                           ;   in Loop: Header=BB279_931 Depth=1
	s_or_b32 exec_lo, exec_lo, s20
.LBB279_1755:                           ;   in Loop: Header=BB279_931 Depth=1
	s_or_b32 exec_lo, exec_lo, s19
.LBB279_1756:                           ;   in Loop: Header=BB279_931 Depth=1
	s_or_b32 exec_lo, exec_lo, s18
	v_mov_b32_e32 v3, v12
	v_cmp_ne_u16_sdwa s4, v12, v4 src0_sel:BYTE_0 src1_sel:DWORD
	v_mov_b32_e32 v23, 0
	v_mov_b32_e32 v19, 0
	s_and_saveexec_b32 s18, s4
	s_cbranch_execz .LBB279_1764
; %bb.1757:                             ;   in Loop: Header=BB279_931 Depth=1
	v_cmp_ne_u16_sdwa s4, v12, v39 src0_sel:BYTE_0 src1_sel:DWORD
	v_mov_b32_e32 v19, 0x8000
	s_and_saveexec_b32 s19, s4
	s_cbranch_execz .LBB279_1763
; %bb.1758:                             ;   in Loop: Header=BB279_931 Depth=1
	v_and_b32_e32 v33, 0x7f, v12
	v_mov_b32_e32 v19, 0x7c01
	s_mov_b32 s20, exec_lo
	v_cmpx_ne_u32_e32 0x7f, v33
	s_cbranch_execz .LBB279_1762
; %bb.1759:                             ;   in Loop: Header=BB279_931 Depth=1
	v_and_b32_e32 v19, 7, v12
	v_lshrrev_b32_e32 v22, 3, v33
	s_mov_b32 s21, exec_lo
	v_cmpx_gt_u32_e32 8, v33
; %bb.1760:                             ;   in Loop: Header=BB279_931 Depth=1
	v_ffbh_u32_e32 v19, v19
	v_min_u32_e32 v19, 32, v19
	v_subrev_nc_u32_e32 v22, 28, v19
	v_lshlrev_b64 v[43:44], v22, v[3:4]
	v_sub_nc_u32_e32 v22, 29, v19
	v_and_b32_e32 v19, 7, v43
; %bb.1761:                             ;   in Loop: Header=BB279_931 Depth=1
	s_or_b32 exec_lo, exec_lo, s21
	v_lshlrev_b32_e32 v33, 8, v12
	v_lshl_add_u32 v22, v22, 10, 0x2000
	v_lshlrev_b32_e32 v19, 7, v19
	v_and_b32_e32 v33, 0x8000, v33
	v_and_b32_e32 v22, 0xfc00, v22
	v_or3_b32 v19, v33, v22, v19
.LBB279_1762:                           ;   in Loop: Header=BB279_931 Depth=1
	s_or_b32 exec_lo, exec_lo, s20
.LBB279_1763:                           ;   in Loop: Header=BB279_931 Depth=1
	s_or_b32 exec_lo, exec_lo, s19
.LBB279_1764:                           ;   in Loop: Header=BB279_931 Depth=1
	s_or_b32 exec_lo, exec_lo, s18
	v_lshrrev_b16 v3, 8, v3
	v_mov_b32_e32 v22, 0
	s_mov_b32 s18, exec_lo
	v_cmpx_ne_u16_e32 0, v3
	s_cbranch_execz .LBB279_1772
; %bb.1765:                             ;   in Loop: Header=BB279_931 Depth=1
	v_bfrev_b32_e32 v22, 1
	s_mov_b32 s19, exec_lo
	v_cmpx_ne_u16_e32 0x80, v3
	s_cbranch_execz .LBB279_1771
; %bb.1766:                             ;   in Loop: Header=BB279_931 Depth=1
	v_and_b32_sdwa v43, v3, v48 dst_sel:DWORD dst_unused:UNUSED_PAD src0_sel:WORD_0 src1_sel:DWORD
	v_mov_b32_e32 v22, 0x7c010000
	s_mov_b32 s20, exec_lo
	v_cmpx_ne_u32_e32 0x7f, v43
	s_cbranch_execz .LBB279_1770
; %bb.1767:                             ;   in Loop: Header=BB279_931 Depth=1
	v_and_b32_sdwa v22, v3, v64 dst_sel:DWORD dst_unused:UNUSED_PAD src0_sel:WORD_0 src1_sel:DWORD
	v_lshrrev_b32_e32 v33, 3, v43
	s_mov_b32 s21, exec_lo
	v_cmpx_gt_u32_e32 8, v43
; %bb.1768:                             ;   in Loop: Header=BB279_931 Depth=1
	v_ffbh_u32_e32 v22, v22
	v_min_u32_e32 v22, 32, v22
	v_subrev_nc_u32_e32 v33, 28, v22
	v_lshlrev_b64 v[43:44], v33, v[3:4]
	v_sub_nc_u32_e32 v33, 29, v22
	v_and_b32_e32 v22, 7, v43
; %bb.1769:                             ;   in Loop: Header=BB279_931 Depth=1
	s_or_b32 exec_lo, exec_lo, s21
	v_lshlrev_b32_sdwa v3, v65, v3 dst_sel:DWORD dst_unused:UNUSED_PAD src0_sel:DWORD src1_sel:WORD_0
	v_lshl_add_u32 v33, v33, 10, 0x2000
	v_lshlrev_b32_e32 v22, 23, v22
	v_and_or_b32 v3, 0x8000, v3, v33
	v_lshl_or_b32 v22, v3, 16, v22
.LBB279_1770:                           ;   in Loop: Header=BB279_931 Depth=1
	s_or_b32 exec_lo, exec_lo, s20
.LBB279_1771:                           ;   in Loop: Header=BB279_931 Depth=1
	s_or_b32 exec_lo, exec_lo, s19
.LBB279_1772:                           ;   in Loop: Header=BB279_931 Depth=1
	s_or_b32 exec_lo, exec_lo, s18
	v_lshrrev_b32_e32 v3, 16, v12
	v_cmp_ne_u16_sdwa s4, v3, v4 src0_sel:BYTE_0 src1_sel:DWORD
	s_and_saveexec_b32 s18, s4
	s_cbranch_execz .LBB279_1780
; %bb.1773:                             ;   in Loop: Header=BB279_931 Depth=1
	v_cmp_ne_u16_sdwa s4, v3, v39 src0_sel:BYTE_0 src1_sel:DWORD
	v_mov_b32_e32 v23, 0x8000
	s_and_saveexec_b32 s19, s4
	s_cbranch_execz .LBB279_1779
; %bb.1774:                             ;   in Loop: Header=BB279_931 Depth=1
	v_bfe_u32 v43, v12, 16, 7
	v_mov_b32_e32 v23, 0x7c01
	s_mov_b32 s20, exec_lo
	v_cmpx_ne_u32_e32 0x7f, v43
	s_cbranch_execz .LBB279_1778
; %bb.1775:                             ;   in Loop: Header=BB279_931 Depth=1
	v_and_b32_e32 v23, 7, v3
	v_lshrrev_b32_e32 v33, 3, v43
	s_mov_b32 s21, exec_lo
	v_cmpx_gt_u32_e32 8, v43
; %bb.1776:                             ;   in Loop: Header=BB279_931 Depth=1
	v_ffbh_u32_e32 v23, v23
	v_min_u32_e32 v23, 32, v23
	v_subrev_nc_u32_e32 v33, 28, v23
	v_lshlrev_b64 v[43:44], v33, v[3:4]
	v_sub_nc_u32_e32 v33, 29, v23
	v_and_b32_e32 v23, 7, v43
; %bb.1777:                             ;   in Loop: Header=BB279_931 Depth=1
	s_or_b32 exec_lo, exec_lo, s21
	v_lshlrev_b32_e32 v3, 8, v3
	v_lshl_add_u32 v33, v33, 10, 0x2000
	v_lshlrev_b32_e32 v23, 7, v23
	v_and_b32_e32 v3, 0x8000, v3
	v_and_b32_e32 v33, 0xfc00, v33
	v_or3_b32 v23, v3, v33, v23
.LBB279_1778:                           ;   in Loop: Header=BB279_931 Depth=1
	s_or_b32 exec_lo, exec_lo, s20
.LBB279_1779:                           ;   in Loop: Header=BB279_931 Depth=1
	s_or_b32 exec_lo, exec_lo, s19
.LBB279_1780:                           ;   in Loop: Header=BB279_931 Depth=1
	s_or_b32 exec_lo, exec_lo, s18
	v_cmp_lt_u64_e64 s4, s[6:7], v[11:12]
	v_mov_b32_e32 v11, 0
	s_and_saveexec_b32 s18, s4
	s_cbranch_execz .LBB279_1788
; %bb.1781:                             ;   in Loop: Header=BB279_931 Depth=1
	v_lshrrev_b32_e32 v3, 24, v12
	v_bfrev_b32_e32 v11, 1
	s_mov_b32 s19, exec_lo
	v_cmpx_ne_u32_e32 0x80, v3
	s_cbranch_execz .LBB279_1787
; %bb.1782:                             ;   in Loop: Header=BB279_931 Depth=1
	v_and_b32_e32 v33, 0x7f, v3
	v_mov_b32_e32 v11, 0x7c010000
	s_mov_b32 s20, exec_lo
	v_cmpx_ne_u32_e32 0x7f, v33
	s_cbranch_execz .LBB279_1786
; %bb.1783:                             ;   in Loop: Header=BB279_931 Depth=1
	v_and_b32_e32 v11, 7, v3
	v_lshrrev_b32_e32 v12, 3, v33
	s_mov_b32 s21, exec_lo
	v_cmpx_gt_u32_e32 8, v33
; %bb.1784:                             ;   in Loop: Header=BB279_931 Depth=1
	v_ffbh_u32_e32 v11, v11
	v_min_u32_e32 v33, 32, v11
	v_subrev_nc_u32_e32 v11, 28, v33
	v_lshlrev_b64 v[11:12], v11, v[3:4]
	v_sub_nc_u32_e32 v12, 29, v33
	v_and_b32_e32 v11, 7, v11
; %bb.1785:                             ;   in Loop: Header=BB279_931 Depth=1
	s_or_b32 exec_lo, exec_lo, s21
	v_lshlrev_b32_e32 v3, 8, v3
	v_lshl_add_u32 v12, v12, 10, 0x2000
	v_lshlrev_b32_e32 v11, 23, v11
	v_and_or_b32 v3, 0x8000, v3, v12
	v_lshl_or_b32 v11, v3, 16, v11
.LBB279_1786:                           ;   in Loop: Header=BB279_931 Depth=1
	s_or_b32 exec_lo, exec_lo, s20
.LBB279_1787:                           ;   in Loop: Header=BB279_931 Depth=1
	s_or_b32 exec_lo, exec_lo, s19
.LBB279_1788:                           ;   in Loop: Header=BB279_931 Depth=1
	s_or_b32 exec_lo, exec_lo, s18
	v_or_b32_e32 v3, v41, v42
	s_waitcnt vmcnt(0) lgkmcnt(0)
	v_fma_mixlo_f16 v12, v36, v41, 0 op_sel:[0,1,0] op_sel_hi:[0,1,0]
	v_or_b32_e32 v33, v37, v40
	v_fma_mixlo_f16 v37, v36, v37, 0 op_sel:[0,1,0] op_sel_hi:[0,1,0]
	v_or_b32_e32 v19, v22, v19
	v_fma_mixlo_f16 v40, v36, v3, 0 op_sel_hi:[0,1,0]
	v_or_b32_e32 v41, v11, v23
	v_lshlrev_b32_e32 v3, 16, v12
	v_lshlrev_b32_e32 v23, 16, v37
	v_fma_mixlo_f16 v33, v36, v33, 0 op_sel_hi:[0,1,0]
	v_and_b32_e32 v12, 0xffff, v40
	v_fma_mixlo_f16 v22, v36, v22, 0 op_sel:[0,1,0] op_sel_hi:[0,1,0]
	v_fma_mixlo_f16 v37, v36, v19, 0 op_sel_hi:[0,1,0]
	v_fma_mixlo_f16 v11, v36, v11, 0 op_sel:[0,1,0] op_sel_hi:[0,1,0]
	v_fma_mixlo_f16 v40, v36, v41, 0 op_sel_hi:[0,1,0]
	v_and_b32_e32 v42, 0xffff, v33
	v_lshlrev_b32_e32 v19, 16, v22
	v_and_b32_e32 v36, 0xffff, v37
	v_lshlrev_b32_e32 v11, 16, v11
	v_and_b32_e32 v22, 0xffff, v40
	v_or_b32_e32 v33, v3, v12
	v_or_b32_e32 v41, v23, v42
	;; [unrolled: 1-line block ×4, first 2 shown]
	s_and_saveexec_b32 s18, vcc_lo
	s_cbranch_execz .LBB279_1790
; %bb.1789:                             ;   in Loop: Header=BB279_931 Depth=1
	v_cmp_lt_i32_e64 s4, v69, v30
	v_cndmask_b32_e64 v33, 0, v42, s4
	v_cmp_lt_i32_e64 s4, v98, v30
	v_cndmask_b32_e64 v23, 0, v23, s4
	v_cmp_lt_i32_e64 s4, v97, v30
	v_or_b32_e32 v41, v33, v23
	v_cndmask_b32_e64 v12, 0, v12, s4
	v_cmp_lt_i32_e64 s4, v96, v30
	v_cndmask_b32_e64 v3, 0, v3, s4
	v_cmp_lt_i32_e64 s4, v87, v30
	v_or_b32_e32 v33, v12, v3
	;; [unrolled: 5-line block ×3, first 2 shown]
	v_cndmask_b32_e64 v22, 0, v22, s4
	v_cmp_lt_i32_e64 s4, v84, v30
	v_cndmask_b32_e64 v11, 0, v11, s4
	v_or_b32_e32 v37, v22, v11
.LBB279_1790:                           ;   in Loop: Header=BB279_931 Depth=1
	s_or_b32 exec_lo, exec_lo, s18
	;;#ASMSTART
	v_pk_mul_f16 v3, v83, v41;

	;;#ASMEND
	;;#ASMSTART
	v_pk_mul_f16 v11, v82, v33;

	;;#ASMEND
	;; [unrolled: 4-line block ×4, first 2 shown]
	;;#ASMSTART
	v_pk_add_f16 v3, v3, v11;

	;;#ASMEND
	;;#ASMSTART
	v_pk_add_f16 v3, v3, v12;

	;;#ASMEND
	;; [unrolled: 4-line block ×3, first 2 shown]
	v_and_b32_e32 v11, 0xffff, v3
	v_lshrrev_b32_e32 v3, 16, v3
	;;#ASMSTART
	v_cvt_f32_f16 v11, v11;
	;;#ASMEND
	;;#ASMSTART
	v_cvt_f32_f16 v12, v3;
	;;#ASMEND
	flat_load_dwordx2 v[9:10], v[9:10] offset:1280
	flat_load_dword v36, v[56:57]
	v_mov_b32_e32 v37, 0
	v_mov_b32_e32 v40, 0
	s_waitcnt vmcnt(1) lgkmcnt(1)
	v_cmp_ne_u16_sdwa s4, v9, v4 src0_sel:BYTE_0 src1_sel:DWORD
	s_and_saveexec_b32 s18, s4
	s_cbranch_execz .LBB279_1798
; %bb.1791:                             ;   in Loop: Header=BB279_931 Depth=1
	v_cmp_ne_u16_sdwa s4, v9, v39 src0_sel:BYTE_0 src1_sel:DWORD
	v_mov_b32_e32 v40, 0x8000
	s_and_saveexec_b32 s19, s4
	s_cbranch_execz .LBB279_1797
; %bb.1792:                             ;   in Loop: Header=BB279_931 Depth=1
	v_and_b32_e32 v22, 0x7f, v9
	v_mov_b32_e32 v40, 0x7c01
	s_mov_b32 s20, exec_lo
	v_cmpx_ne_u32_e32 0x7f, v22
	s_cbranch_execz .LBB279_1796
; %bb.1793:                             ;   in Loop: Header=BB279_931 Depth=1
	v_and_b32_e32 v3, 7, v9
	v_lshrrev_b32_e32 v19, 3, v22
	s_mov_b32 s21, exec_lo
	v_cmpx_gt_u32_e32 8, v22
; %bb.1794:                             ;   in Loop: Header=BB279_931 Depth=1
	v_ffbh_u32_e32 v3, v3
	v_min_u32_e32 v3, 32, v3
	v_subrev_nc_u32_e32 v19, 28, v3
	v_lshlrev_b64 v[22:23], v19, v[9:10]
	v_sub_nc_u32_e32 v19, 29, v3
	v_and_b32_e32 v3, 7, v22
; %bb.1795:                             ;   in Loop: Header=BB279_931 Depth=1
	s_or_b32 exec_lo, exec_lo, s21
	v_lshlrev_b32_e32 v22, 8, v9
	v_lshl_add_u32 v19, v19, 10, 0x2000
	v_lshlrev_b32_e32 v3, 7, v3
	v_and_b32_e32 v22, 0x8000, v22
	v_and_b32_e32 v19, 0xfc00, v19
	v_or3_b32 v40, v22, v19, v3
.LBB279_1796:                           ;   in Loop: Header=BB279_931 Depth=1
	s_or_b32 exec_lo, exec_lo, s20
.LBB279_1797:                           ;   in Loop: Header=BB279_931 Depth=1
	s_or_b32 exec_lo, exec_lo, s19
.LBB279_1798:                           ;   in Loop: Header=BB279_931 Depth=1
	s_or_b32 exec_lo, exec_lo, s18
	v_lshrrev_b16 v3, 8, v9
	s_mov_b32 s18, exec_lo
	v_cmpx_ne_u16_e32 0, v3
	s_cbranch_execz .LBB279_1806
; %bb.1799:                             ;   in Loop: Header=BB279_931 Depth=1
	v_bfrev_b32_e32 v37, 1
	s_mov_b32 s19, exec_lo
	v_cmpx_ne_u16_e32 0x80, v3
	s_cbranch_execz .LBB279_1805
; %bb.1800:                             ;   in Loop: Header=BB279_931 Depth=1
	v_and_b32_sdwa v23, v3, v48 dst_sel:DWORD dst_unused:UNUSED_PAD src0_sel:WORD_0 src1_sel:DWORD
	v_mov_b32_e32 v37, 0x7c010000
	s_mov_b32 s20, exec_lo
	v_cmpx_ne_u32_e32 0x7f, v23
	s_cbranch_execz .LBB279_1804
; %bb.1801:                             ;   in Loop: Header=BB279_931 Depth=1
	v_and_b32_sdwa v19, v3, v64 dst_sel:DWORD dst_unused:UNUSED_PAD src0_sel:WORD_0 src1_sel:DWORD
	v_lshrrev_b32_e32 v22, 3, v23
	s_mov_b32 s21, exec_lo
	v_cmpx_gt_u32_e32 8, v23
; %bb.1802:                             ;   in Loop: Header=BB279_931 Depth=1
	v_ffbh_u32_e32 v19, v19
	v_min_u32_e32 v19, 32, v19
	v_subrev_nc_u32_e32 v22, 28, v19
	v_lshlrev_b64 v[41:42], v22, v[3:4]
	v_sub_nc_u32_e32 v22, 29, v19
	v_and_b32_e32 v19, 7, v41
; %bb.1803:                             ;   in Loop: Header=BB279_931 Depth=1
	s_or_b32 exec_lo, exec_lo, s21
	v_lshlrev_b32_sdwa v3, v65, v3 dst_sel:DWORD dst_unused:UNUSED_PAD src0_sel:DWORD src1_sel:WORD_0
	v_lshl_add_u32 v22, v22, 10, 0x2000
	v_lshlrev_b32_e32 v19, 23, v19
	v_and_or_b32 v3, 0x8000, v3, v22
	v_lshl_or_b32 v37, v3, 16, v19
.LBB279_1804:                           ;   in Loop: Header=BB279_931 Depth=1
	s_or_b32 exec_lo, exec_lo, s20
.LBB279_1805:                           ;   in Loop: Header=BB279_931 Depth=1
	s_or_b32 exec_lo, exec_lo, s19
.LBB279_1806:                           ;   in Loop: Header=BB279_931 Depth=1
	s_or_b32 exec_lo, exec_lo, s18
	v_lshrrev_b32_e32 v3, 16, v9
	v_mov_b32_e32 v41, 0
	v_mov_b32_e32 v42, 0
	v_cmp_ne_u16_sdwa s4, v3, v4 src0_sel:BYTE_0 src1_sel:DWORD
	s_and_saveexec_b32 s18, s4
	s_cbranch_execz .LBB279_1814
; %bb.1807:                             ;   in Loop: Header=BB279_931 Depth=1
	v_cmp_ne_u16_sdwa s4, v3, v39 src0_sel:BYTE_0 src1_sel:DWORD
	v_mov_b32_e32 v42, 0x8000
	s_and_saveexec_b32 s19, s4
	s_cbranch_execz .LBB279_1813
; %bb.1808:                             ;   in Loop: Header=BB279_931 Depth=1
	v_bfe_u32 v23, v9, 16, 7
	v_mov_b32_e32 v42, 0x7c01
	s_mov_b32 s20, exec_lo
	v_cmpx_ne_u32_e32 0x7f, v23
	s_cbranch_execz .LBB279_1812
; %bb.1809:                             ;   in Loop: Header=BB279_931 Depth=1
	v_and_b32_e32 v19, 7, v3
	v_lshrrev_b32_e32 v22, 3, v23
	s_mov_b32 s21, exec_lo
	v_cmpx_gt_u32_e32 8, v23
; %bb.1810:                             ;   in Loop: Header=BB279_931 Depth=1
	v_ffbh_u32_e32 v19, v19
	v_min_u32_e32 v19, 32, v19
	v_subrev_nc_u32_e32 v22, 28, v19
	v_lshlrev_b64 v[42:43], v22, v[3:4]
	v_sub_nc_u32_e32 v22, 29, v19
	v_and_b32_e32 v19, 7, v42
; %bb.1811:                             ;   in Loop: Header=BB279_931 Depth=1
	s_or_b32 exec_lo, exec_lo, s21
	v_lshlrev_b32_e32 v3, 8, v3
	v_lshl_add_u32 v22, v22, 10, 0x2000
	v_lshlrev_b32_e32 v19, 7, v19
	v_and_b32_e32 v3, 0x8000, v3
	v_and_b32_e32 v22, 0xfc00, v22
	v_or3_b32 v42, v3, v22, v19
.LBB279_1812:                           ;   in Loop: Header=BB279_931 Depth=1
	s_or_b32 exec_lo, exec_lo, s20
.LBB279_1813:                           ;   in Loop: Header=BB279_931 Depth=1
	s_or_b32 exec_lo, exec_lo, s19
.LBB279_1814:                           ;   in Loop: Header=BB279_931 Depth=1
	s_or_b32 exec_lo, exec_lo, s18
	s_mov_b32 s18, exec_lo
	v_cmpx_lt_u32_e32 0xffffff, v9
	s_cbranch_execz .LBB279_1822
; %bb.1815:                             ;   in Loop: Header=BB279_931 Depth=1
	v_lshrrev_b32_e32 v3, 24, v9
	v_bfrev_b32_e32 v41, 1
	s_mov_b32 s19, exec_lo
	v_cmpx_ne_u32_e32 0x80, v3
	s_cbranch_execz .LBB279_1821
; %bb.1816:                             ;   in Loop: Header=BB279_931 Depth=1
	v_and_b32_e32 v23, 0x7f, v3
	v_mov_b32_e32 v41, 0x7c010000
	s_mov_b32 s20, exec_lo
	v_cmpx_ne_u32_e32 0x7f, v23
	s_cbranch_execz .LBB279_1820
; %bb.1817:                             ;   in Loop: Header=BB279_931 Depth=1
	v_and_b32_e32 v19, 7, v3
	v_lshrrev_b32_e32 v22, 3, v23
	s_mov_b32 s21, exec_lo
	v_cmpx_gt_u32_e32 8, v23
; %bb.1818:                             ;   in Loop: Header=BB279_931 Depth=1
	v_ffbh_u32_e32 v19, v19
	v_min_u32_e32 v19, 32, v19
	v_subrev_nc_u32_e32 v22, 28, v19
	v_lshlrev_b64 v[43:44], v22, v[3:4]
	v_sub_nc_u32_e32 v22, 29, v19
	v_and_b32_e32 v19, 7, v43
; %bb.1819:                             ;   in Loop: Header=BB279_931 Depth=1
	s_or_b32 exec_lo, exec_lo, s21
	v_lshlrev_b32_e32 v3, 8, v3
	v_lshl_add_u32 v22, v22, 10, 0x2000
	v_lshlrev_b32_e32 v19, 23, v19
	v_and_or_b32 v3, 0x8000, v3, v22
	v_lshl_or_b32 v41, v3, 16, v19
.LBB279_1820:                           ;   in Loop: Header=BB279_931 Depth=1
	s_or_b32 exec_lo, exec_lo, s20
.LBB279_1821:                           ;   in Loop: Header=BB279_931 Depth=1
	s_or_b32 exec_lo, exec_lo, s19
.LBB279_1822:                           ;   in Loop: Header=BB279_931 Depth=1
	s_or_b32 exec_lo, exec_lo, s18
	v_mov_b32_e32 v3, v10
	v_cmp_ne_u16_sdwa s4, v10, v4 src0_sel:BYTE_0 src1_sel:DWORD
	v_mov_b32_e32 v23, 0
	v_mov_b32_e32 v19, 0
	s_and_saveexec_b32 s18, s4
	s_cbranch_execz .LBB279_1830
; %bb.1823:                             ;   in Loop: Header=BB279_931 Depth=1
	v_cmp_ne_u16_sdwa s4, v10, v39 src0_sel:BYTE_0 src1_sel:DWORD
	v_mov_b32_e32 v19, 0x8000
	s_and_saveexec_b32 s19, s4
	s_cbranch_execz .LBB279_1829
; %bb.1824:                             ;   in Loop: Header=BB279_931 Depth=1
	v_and_b32_e32 v33, 0x7f, v10
	v_mov_b32_e32 v19, 0x7c01
	s_mov_b32 s20, exec_lo
	v_cmpx_ne_u32_e32 0x7f, v33
	s_cbranch_execz .LBB279_1828
; %bb.1825:                             ;   in Loop: Header=BB279_931 Depth=1
	v_and_b32_e32 v19, 7, v10
	v_lshrrev_b32_e32 v22, 3, v33
	s_mov_b32 s21, exec_lo
	v_cmpx_gt_u32_e32 8, v33
; %bb.1826:                             ;   in Loop: Header=BB279_931 Depth=1
	v_ffbh_u32_e32 v19, v19
	v_min_u32_e32 v19, 32, v19
	v_subrev_nc_u32_e32 v22, 28, v19
	v_lshlrev_b64 v[43:44], v22, v[3:4]
	v_sub_nc_u32_e32 v22, 29, v19
	v_and_b32_e32 v19, 7, v43
; %bb.1827:                             ;   in Loop: Header=BB279_931 Depth=1
	s_or_b32 exec_lo, exec_lo, s21
	v_lshlrev_b32_e32 v33, 8, v10
	v_lshl_add_u32 v22, v22, 10, 0x2000
	v_lshlrev_b32_e32 v19, 7, v19
	v_and_b32_e32 v33, 0x8000, v33
	v_and_b32_e32 v22, 0xfc00, v22
	v_or3_b32 v19, v33, v22, v19
.LBB279_1828:                           ;   in Loop: Header=BB279_931 Depth=1
	s_or_b32 exec_lo, exec_lo, s20
.LBB279_1829:                           ;   in Loop: Header=BB279_931 Depth=1
	s_or_b32 exec_lo, exec_lo, s19
.LBB279_1830:                           ;   in Loop: Header=BB279_931 Depth=1
	s_or_b32 exec_lo, exec_lo, s18
	v_lshrrev_b16 v3, 8, v3
	v_mov_b32_e32 v22, 0
	s_mov_b32 s18, exec_lo
	v_cmpx_ne_u16_e32 0, v3
	s_cbranch_execz .LBB279_1838
; %bb.1831:                             ;   in Loop: Header=BB279_931 Depth=1
	v_bfrev_b32_e32 v22, 1
	s_mov_b32 s19, exec_lo
	v_cmpx_ne_u16_e32 0x80, v3
	s_cbranch_execz .LBB279_1837
; %bb.1832:                             ;   in Loop: Header=BB279_931 Depth=1
	v_and_b32_sdwa v43, v3, v48 dst_sel:DWORD dst_unused:UNUSED_PAD src0_sel:WORD_0 src1_sel:DWORD
	v_mov_b32_e32 v22, 0x7c010000
	s_mov_b32 s20, exec_lo
	v_cmpx_ne_u32_e32 0x7f, v43
	s_cbranch_execz .LBB279_1836
; %bb.1833:                             ;   in Loop: Header=BB279_931 Depth=1
	v_and_b32_sdwa v22, v3, v64 dst_sel:DWORD dst_unused:UNUSED_PAD src0_sel:WORD_0 src1_sel:DWORD
	v_lshrrev_b32_e32 v33, 3, v43
	s_mov_b32 s21, exec_lo
	v_cmpx_gt_u32_e32 8, v43
; %bb.1834:                             ;   in Loop: Header=BB279_931 Depth=1
	v_ffbh_u32_e32 v22, v22
	v_min_u32_e32 v22, 32, v22
	v_subrev_nc_u32_e32 v33, 28, v22
	v_lshlrev_b64 v[43:44], v33, v[3:4]
	v_sub_nc_u32_e32 v33, 29, v22
	v_and_b32_e32 v22, 7, v43
; %bb.1835:                             ;   in Loop: Header=BB279_931 Depth=1
	s_or_b32 exec_lo, exec_lo, s21
	v_lshlrev_b32_sdwa v3, v65, v3 dst_sel:DWORD dst_unused:UNUSED_PAD src0_sel:DWORD src1_sel:WORD_0
	v_lshl_add_u32 v33, v33, 10, 0x2000
	v_lshlrev_b32_e32 v22, 23, v22
	v_and_or_b32 v3, 0x8000, v3, v33
	v_lshl_or_b32 v22, v3, 16, v22
.LBB279_1836:                           ;   in Loop: Header=BB279_931 Depth=1
	s_or_b32 exec_lo, exec_lo, s20
.LBB279_1837:                           ;   in Loop: Header=BB279_931 Depth=1
	s_or_b32 exec_lo, exec_lo, s19
.LBB279_1838:                           ;   in Loop: Header=BB279_931 Depth=1
	s_or_b32 exec_lo, exec_lo, s18
	v_lshrrev_b32_e32 v3, 16, v10
	v_cmp_ne_u16_sdwa s4, v3, v4 src0_sel:BYTE_0 src1_sel:DWORD
	s_and_saveexec_b32 s18, s4
	s_cbranch_execz .LBB279_1846
; %bb.1839:                             ;   in Loop: Header=BB279_931 Depth=1
	v_cmp_ne_u16_sdwa s4, v3, v39 src0_sel:BYTE_0 src1_sel:DWORD
	v_mov_b32_e32 v23, 0x8000
	s_and_saveexec_b32 s19, s4
	s_cbranch_execz .LBB279_1845
; %bb.1840:                             ;   in Loop: Header=BB279_931 Depth=1
	v_bfe_u32 v43, v10, 16, 7
	v_mov_b32_e32 v23, 0x7c01
	s_mov_b32 s20, exec_lo
	v_cmpx_ne_u32_e32 0x7f, v43
	s_cbranch_execz .LBB279_1844
; %bb.1841:                             ;   in Loop: Header=BB279_931 Depth=1
	v_and_b32_e32 v23, 7, v3
	v_lshrrev_b32_e32 v33, 3, v43
	s_mov_b32 s21, exec_lo
	v_cmpx_gt_u32_e32 8, v43
; %bb.1842:                             ;   in Loop: Header=BB279_931 Depth=1
	v_ffbh_u32_e32 v23, v23
	v_min_u32_e32 v23, 32, v23
	v_subrev_nc_u32_e32 v33, 28, v23
	v_lshlrev_b64 v[43:44], v33, v[3:4]
	v_sub_nc_u32_e32 v33, 29, v23
	v_and_b32_e32 v23, 7, v43
; %bb.1843:                             ;   in Loop: Header=BB279_931 Depth=1
	s_or_b32 exec_lo, exec_lo, s21
	v_lshlrev_b32_e32 v3, 8, v3
	v_lshl_add_u32 v33, v33, 10, 0x2000
	v_lshlrev_b32_e32 v23, 7, v23
	v_and_b32_e32 v3, 0x8000, v3
	v_and_b32_e32 v33, 0xfc00, v33
	v_or3_b32 v23, v3, v33, v23
.LBB279_1844:                           ;   in Loop: Header=BB279_931 Depth=1
	s_or_b32 exec_lo, exec_lo, s20
.LBB279_1845:                           ;   in Loop: Header=BB279_931 Depth=1
	s_or_b32 exec_lo, exec_lo, s19
.LBB279_1846:                           ;   in Loop: Header=BB279_931 Depth=1
	s_or_b32 exec_lo, exec_lo, s18
	v_cmp_lt_u64_e64 s4, s[6:7], v[9:10]
	v_mov_b32_e32 v9, 0
	s_and_saveexec_b32 s18, s4
	s_cbranch_execz .LBB279_1854
; %bb.1847:                             ;   in Loop: Header=BB279_931 Depth=1
	v_lshrrev_b32_e32 v3, 24, v10
	v_bfrev_b32_e32 v9, 1
	s_mov_b32 s19, exec_lo
	v_cmpx_ne_u32_e32 0x80, v3
	s_cbranch_execz .LBB279_1853
; %bb.1848:                             ;   in Loop: Header=BB279_931 Depth=1
	v_and_b32_e32 v33, 0x7f, v3
	v_mov_b32_e32 v9, 0x7c010000
	s_mov_b32 s20, exec_lo
	v_cmpx_ne_u32_e32 0x7f, v33
	s_cbranch_execz .LBB279_1852
; %bb.1849:                             ;   in Loop: Header=BB279_931 Depth=1
	v_and_b32_e32 v9, 7, v3
	v_lshrrev_b32_e32 v10, 3, v33
	s_mov_b32 s21, exec_lo
	v_cmpx_gt_u32_e32 8, v33
; %bb.1850:                             ;   in Loop: Header=BB279_931 Depth=1
	v_ffbh_u32_e32 v9, v9
	v_min_u32_e32 v33, 32, v9
	v_subrev_nc_u32_e32 v9, 28, v33
	v_lshlrev_b64 v[9:10], v9, v[3:4]
	v_sub_nc_u32_e32 v10, 29, v33
	v_and_b32_e32 v9, 7, v9
; %bb.1851:                             ;   in Loop: Header=BB279_931 Depth=1
	s_or_b32 exec_lo, exec_lo, s21
	v_lshlrev_b32_e32 v3, 8, v3
	v_lshl_add_u32 v10, v10, 10, 0x2000
	v_lshlrev_b32_e32 v9, 23, v9
	v_and_or_b32 v3, 0x8000, v3, v10
	v_lshl_or_b32 v9, v3, 16, v9
.LBB279_1852:                           ;   in Loop: Header=BB279_931 Depth=1
	s_or_b32 exec_lo, exec_lo, s20
.LBB279_1853:                           ;   in Loop: Header=BB279_931 Depth=1
	s_or_b32 exec_lo, exec_lo, s19
.LBB279_1854:                           ;   in Loop: Header=BB279_931 Depth=1
	s_or_b32 exec_lo, exec_lo, s18
	v_or_b32_e32 v3, v41, v42
	s_waitcnt vmcnt(0) lgkmcnt(0)
	v_fma_mixlo_f16 v10, v36, v41, 0 op_sel:[0,1,0] op_sel_hi:[0,1,0]
	v_or_b32_e32 v33, v37, v40
	v_fma_mixlo_f16 v37, v36, v37, 0 op_sel:[0,1,0] op_sel_hi:[0,1,0]
	v_or_b32_e32 v19, v22, v19
	v_fma_mixlo_f16 v3, v36, v3, 0 op_sel_hi:[0,1,0]
	v_or_b32_e32 v41, v9, v23
	v_lshlrev_b32_e32 v23, 16, v10
	v_lshlrev_b32_e32 v40, 16, v37
	v_fma_mixlo_f16 v10, v36, v33, 0 op_sel_hi:[0,1,0]
	v_and_b32_e32 v33, 0xffff, v3
	v_fma_mixlo_f16 v3, v36, v22, 0 op_sel:[0,1,0] op_sel_hi:[0,1,0]
	v_fma_mixlo_f16 v19, v36, v19, 0 op_sel_hi:[0,1,0]
	v_fma_mixlo_f16 v9, v36, v9, 0 op_sel:[0,1,0] op_sel_hi:[0,1,0]
	v_fma_mixlo_f16 v37, v36, v41, 0 op_sel_hi:[0,1,0]
	v_and_b32_e32 v42, 0xffff, v10
	v_lshlrev_b32_e32 v36, 16, v3
	v_and_b32_e32 v41, 0xffff, v19
	v_lshlrev_b32_e32 v22, 16, v9
	v_and_b32_e32 v37, 0xffff, v37
	v_or_b32_e32 v10, v23, v33
	v_or_b32_e32 v19, v40, v42
	;; [unrolled: 1-line block ×4, first 2 shown]
	s_and_saveexec_b32 s4, vcc_lo
	s_cbranch_execz .LBB279_929
; %bb.1855:                             ;   in Loop: Header=BB279_931 Depth=1
	v_cmp_lt_i32_e32 vcc_lo, v69, v30
	v_cndmask_b32_e32 v3, 0, v42, vcc_lo
	v_cmp_lt_i32_e32 vcc_lo, v98, v30
	v_cndmask_b32_e32 v9, 0, v40, vcc_lo
	v_cmp_lt_i32_e32 vcc_lo, v97, v30
	v_or_b32_e32 v19, v3, v9
	v_cndmask_b32_e32 v10, 0, v33, vcc_lo
	v_cmp_lt_i32_e32 vcc_lo, v96, v30
	v_cndmask_b32_e32 v23, 0, v23, vcc_lo
	v_cmp_lt_i32_e32 vcc_lo, v87, v30
	v_or_b32_e32 v10, v10, v23
	;; [unrolled: 5-line block ×3, first 2 shown]
	v_cndmask_b32_e32 v37, 0, v37, vcc_lo
	v_cmp_lt_i32_e32 vcc_lo, v84, v30
	v_cndmask_b32_e32 v22, 0, v22, vcc_lo
	v_or_b32_e32 v3, v37, v22
	s_branch .LBB279_929
.LBB279_1856:
	s_or_b32 exec_lo, exec_lo, s13
.LBB279_1857:
	s_or_b32 exec_lo, exec_lo, s5
	ds_bpermute_b32 v2, v15, v53
	ds_bpermute_b32 v11, v15, v21
	s_waitcnt lgkmcnt(0)
	s_barrier
	buffer_gl0_inv
	ds_bpermute_b32 v0, v15, v54
	ds_bpermute_b32 v6, v15, v49
	;; [unrolled: 1-line block ×12, first 2 shown]
	s_load_dword s4, s[8:9], 0x0
	s_mov_b32 s5, exec_lo
	v_add_f32_e32 v2, v53, v2
	v_add_f32_e32 v21, v21, v11
	s_waitcnt lgkmcnt(0)
	v_add_f32_e32 v0, v54, v0
	ds_bpermute_b32 v19, v14, v2
	v_add_f32_e32 v6, v49, v6
	v_add_f32_e32 v15, v28, v7
	v_add_f32_e32 v1, v55, v1
	v_add_f32_e32 v3, v52, v3
	v_add_f32_e32 v4, v51, v4
	v_add_f32_e32 v5, v50, v5
	ds_bpermute_b32 v7, v14, v0
	v_add_f32_e32 v23, v27, v8
	ds_bpermute_b32 v27, v14, v6
	ds_bpermute_b32 v28, v14, v15
	v_add_f32_e32 v25, v25, v9
	v_add_f32_e32 v24, v24, v10
	;; [unrolled: 1-line block ×4, first 2 shown]
	ds_bpermute_b32 v18, v14, v1
	ds_bpermute_b32 v22, v14, v3
	;; [unrolled: 1-line block ×5, first 2 shown]
	s_waitcnt lgkmcnt(8)
	v_add_f32_e32 v11, v2, v19
	buffer_load_dword v19, off, s[0:3], s32 offset:272 ; 4-byte Folded Reload
	ds_bpermute_b32 v30, v14, v25
	ds_bpermute_b32 v31, v14, v24
	;; [unrolled: 1-line block ×5, first 2 shown]
	s_waitcnt lgkmcnt(12)
	v_add_f32_e32 v13, v0, v7
	s_waitcnt lgkmcnt(11)
	v_add_f32_e32 v7, v6, v27
	s_waitcnt lgkmcnt(10)
	v_add_f32_e32 v6, v15, v28
	s_waitcnt lgkmcnt(9)
	v_add_f32_e32 v12, v1, v18
	s_waitcnt lgkmcnt(8)
	v_add_f32_e32 v10, v3, v22
	s_waitcnt lgkmcnt(7)
	v_add_f32_e32 v9, v4, v8
	s_waitcnt lgkmcnt(6)
	v_add_f32_e32 v8, v5, v26
	s_waitcnt lgkmcnt(5)
	v_add_f32_e32 v5, v23, v29
	v_and_b32_e32 v18, 0x3c3, v47
	s_waitcnt lgkmcnt(4)
	v_add_f32_e32 v4, v25, v30
	s_waitcnt lgkmcnt(3)
	v_add_f32_e32 v3, v24, v31
	;; [unrolled: 2-line block ×5, first 2 shown]
	v_mul_u32_u24_e32 v17, 0x1c0, v58
	s_waitcnt vmcnt(0)
	v_and_b32_e32 v15, 28, v19
	v_lshrrev_b32_e32 v14, 2, v19
	v_add_nc_u32_e32 v15, s4, v15
	v_cmpx_eq_u32_e32 64, v18
	s_cbranch_execz .LBB279_1859
; %bb.1858:
	v_add_nc_u32_e32 v18, v15, v17
	v_add_nc_u32_e32 v19, 0xfffffc80, v18
	;; [unrolled: 1-line block ×7, first 2 shown]
	ds_write_b32 v19, v13
	ds_write_b32 v20, v12
	;; [unrolled: 1-line block ×4, first 2 shown]
	v_add_nc_u32_e32 v19, 0xfffffd40, v18
	v_add_nc_u32_e32 v20, 0xfffffd60, v18
	v_add_nc_u32_e32 v21, 0xfffffd80, v18
	ds_write_b32 v23, v9
	ds_write_b32 v24, v8
	;; [unrolled: 1-line block ×5, first 2 shown]
	v_add_nc_u32_e32 v19, 0xfffffda0, v18
	v_add_nc_u32_e32 v20, 0xfffffdc0, v18
	;; [unrolled: 1-line block ×5, first 2 shown]
	ds_write_b32 v19, v4
	ds_write_b32 v20, v3
	;; [unrolled: 1-line block ×5, first 2 shown]
.LBB279_1859:
	s_or_b32 exec_lo, exec_lo, s5
	v_lshlrev_b32_e32 v14, 2, v14
	s_mov_b32 s5, exec_lo
	v_cmp_eq_u32_e32 vcc_lo, 0, v16
	s_waitcnt lgkmcnt(0)
	s_barrier
	v_add3_u32 v14, s4, v17, v14
	buffer_gl0_inv
	v_cmpx_gt_u32_e32 64, v47
	s_cbranch_execz .LBB279_1876
; %bb.1860:
	s_and_saveexec_b32 s4, vcc_lo
	s_cbranch_execnz .LBB279_1898
; %bb.1861:
	s_or_b32 exec_lo, exec_lo, s4
	s_and_saveexec_b32 s4, vcc_lo
	s_cbranch_execnz .LBB279_1899
.LBB279_1862:
	s_or_b32 exec_lo, exec_lo, s4
	s_and_saveexec_b32 s4, vcc_lo
	s_cbranch_execnz .LBB279_1900
.LBB279_1863:
	s_or_b32 exec_lo, exec_lo, s4
	s_and_saveexec_b32 s4, vcc_lo
	s_cbranch_execnz .LBB279_1901
.LBB279_1864:
	s_or_b32 exec_lo, exec_lo, s4
	s_and_saveexec_b32 s4, vcc_lo
	s_cbranch_execnz .LBB279_1902
.LBB279_1865:
	s_or_b32 exec_lo, exec_lo, s4
	s_and_saveexec_b32 s4, vcc_lo
	s_cbranch_execnz .LBB279_1903
.LBB279_1866:
	s_or_b32 exec_lo, exec_lo, s4
	s_and_saveexec_b32 s4, vcc_lo
	s_cbranch_execnz .LBB279_1904
.LBB279_1867:
	s_or_b32 exec_lo, exec_lo, s4
	s_and_saveexec_b32 s4, vcc_lo
	s_cbranch_execnz .LBB279_1905
.LBB279_1868:
	s_or_b32 exec_lo, exec_lo, s4
	s_and_saveexec_b32 s4, vcc_lo
	s_cbranch_execnz .LBB279_1906
.LBB279_1869:
	s_or_b32 exec_lo, exec_lo, s4
	s_and_saveexec_b32 s4, vcc_lo
	s_cbranch_execnz .LBB279_1907
.LBB279_1870:
	s_or_b32 exec_lo, exec_lo, s4
	s_and_saveexec_b32 s4, vcc_lo
	s_cbranch_execnz .LBB279_1908
.LBB279_1871:
	s_or_b32 exec_lo, exec_lo, s4
	s_and_saveexec_b32 s4, vcc_lo
	s_cbranch_execnz .LBB279_1909
.LBB279_1872:
	s_or_b32 exec_lo, exec_lo, s4
	s_and_saveexec_b32 s4, vcc_lo
	s_cbranch_execnz .LBB279_1910
.LBB279_1873:
	s_or_b32 exec_lo, exec_lo, s4
	s_and_saveexec_b32 s4, vcc_lo
	s_cbranch_execz .LBB279_1875
.LBB279_1874:
	ds_read_b32 v16, v14 offset:416
	s_waitcnt lgkmcnt(0)
	v_add_f32_e32 v2, v16, v2
.LBB279_1875:
	s_or_b32 exec_lo, exec_lo, s4
.LBB279_1876:
	s_or_b32 exec_lo, exec_lo, s5
	v_and_b32_e32 v16, 0x3e3, v47
	s_mov_b32 s5, exec_lo
	s_barrier
	buffer_gl0_inv
	v_cmpx_eq_u32_e32 32, v16
	s_cbranch_execz .LBB279_1878
; %bb.1877:
	ds_write2_b32 v15, v13, v12 offset1:8
	ds_write2_b32 v15, v11, v10 offset0:16 offset1:24
	ds_write2_b32 v15, v9, v8 offset0:32 offset1:40
	;; [unrolled: 1-line block ×6, first 2 shown]
.LBB279_1878:
	s_or_b32 exec_lo, exec_lo, s5
	s_mov_b32 s5, exec_lo
	s_waitcnt lgkmcnt(0)
	s_barrier
	buffer_gl0_inv
	v_cmpx_gt_u32_e32 32, v47
	s_cbranch_execz .LBB279_1895
; %bb.1879:
	s_and_saveexec_b32 s4, vcc_lo
	s_cbranch_execnz .LBB279_1911
; %bb.1880:
	s_or_b32 exec_lo, exec_lo, s4
	s_and_saveexec_b32 s4, vcc_lo
	s_cbranch_execnz .LBB279_1912
.LBB279_1881:
	s_or_b32 exec_lo, exec_lo, s4
	s_and_saveexec_b32 s4, vcc_lo
	s_cbranch_execnz .LBB279_1913
.LBB279_1882:
	s_or_b32 exec_lo, exec_lo, s4
	s_and_saveexec_b32 s4, vcc_lo
	s_cbranch_execnz .LBB279_1914
.LBB279_1883:
	s_or_b32 exec_lo, exec_lo, s4
	s_and_saveexec_b32 s4, vcc_lo
	s_cbranch_execnz .LBB279_1915
.LBB279_1884:
	s_or_b32 exec_lo, exec_lo, s4
	s_and_saveexec_b32 s4, vcc_lo
	s_cbranch_execnz .LBB279_1916
.LBB279_1885:
	s_or_b32 exec_lo, exec_lo, s4
	s_and_saveexec_b32 s4, vcc_lo
	s_cbranch_execnz .LBB279_1917
.LBB279_1886:
	s_or_b32 exec_lo, exec_lo, s4
	s_and_saveexec_b32 s4, vcc_lo
	s_cbranch_execnz .LBB279_1918
.LBB279_1887:
	s_or_b32 exec_lo, exec_lo, s4
	s_and_saveexec_b32 s4, vcc_lo
	s_cbranch_execnz .LBB279_1919
.LBB279_1888:
	s_or_b32 exec_lo, exec_lo, s4
	s_and_saveexec_b32 s4, vcc_lo
	s_cbranch_execnz .LBB279_1920
.LBB279_1889:
	s_or_b32 exec_lo, exec_lo, s4
	s_and_saveexec_b32 s4, vcc_lo
	s_cbranch_execnz .LBB279_1921
.LBB279_1890:
	s_or_b32 exec_lo, exec_lo, s4
	s_and_saveexec_b32 s4, vcc_lo
	s_cbranch_execnz .LBB279_1922
.LBB279_1891:
	s_or_b32 exec_lo, exec_lo, s4
	s_and_saveexec_b32 s4, vcc_lo
	s_cbranch_execnz .LBB279_1923
.LBB279_1892:
	s_or_b32 exec_lo, exec_lo, s4
	s_and_saveexec_b32 s4, vcc_lo
	s_cbranch_execz .LBB279_1894
.LBB279_1893:
	ds_read_b32 v14, v14 offset:416
	s_waitcnt lgkmcnt(0)
	v_add_f32_e32 v2, v14, v2
.LBB279_1894:
	s_or_b32 exec_lo, exec_lo, s4
.LBB279_1895:
	s_or_b32 exec_lo, exec_lo, s5
	s_mov_b32 s4, exec_lo
	s_barrier
	buffer_gl0_inv
	v_cmpx_eq_u32_e32 0, v16
	s_cbranch_execz .LBB279_1897
; %bb.1896:
	s_and_b32 s5, 0xffff, s12
	s_mul_i32 s6, s14, 0x70
	s_cmp_lg_u32 s5, 0
	v_lshrrev_b32_e32 v14, 1, v47
	s_cselect_b32 s5, -1, 0
	;;#ASMSTART
	v_cvt_f16_f32 v13, v13;

	;;#ASMEND
	s_cmp_lg_u32 s5, 0
	s_addc_u32 s5, s15, 0
	s_mul_i32 s7, s5, s10
	s_mul_i32 s10, s16, s5
	;; [unrolled: 1-line block ×3, first 2 shown]
	s_ashr_i32 s11, s10, 31
	s_mulk_i32 s8, 0x70
	s_ashr_i32 s7, s6, 31
	s_ashr_i32 s9, s8, 31
	s_lshl_b64 s[6:7], s[6:7], 1
	s_lshl_b64 s[8:9], s[8:9], 1
	v_add_co_u32 v15, vcc_lo, v46, s8
	v_add_co_ci_u32_e64 v16, null, s9, v45, vcc_lo
	s_lshl_b64 s[8:9], s[10:11], 1
	v_add_co_u32 v15, vcc_lo, v15, s8
	v_add_co_ci_u32_e64 v16, null, s9, v16, vcc_lo
	v_add_co_u32 v15, vcc_lo, v15, s6
	v_add_co_ci_u32_e64 v16, null, s7, v16, vcc_lo
	;; [unrolled: 2-line block ×3, first 2 shown]
	flat_store_short v[14:15], v13
	;;#ASMSTART
	v_cvt_f16_f32 v12, v12;

	;;#ASMEND
	flat_store_short v[14:15], v12 offset:16
	;;#ASMSTART
	v_cvt_f16_f32 v11, v11;

	;;#ASMEND
	flat_store_short v[14:15], v11 offset:32
	;; [unrolled: 5-line block ×13, first 2 shown]
.LBB279_1897:
	s_or_b32 exec_lo, exec_lo, s4
	s_clause 0x2f
	buffer_load_dword v127, off, s[0:3], s32
	buffer_load_dword v126, off, s[0:3], s32 offset:4
	buffer_load_dword v125, off, s[0:3], s32 offset:8
	;; [unrolled: 1-line block ×47, first 2 shown]
	s_waitcnt vmcnt(0) lgkmcnt(0)
	s_setpc_b64 s[30:31]
.LBB279_1898:
	ds_read_b32 v16, v14
	s_waitcnt lgkmcnt(0)
	v_add_f32_e32 v13, v16, v13
	s_or_b32 exec_lo, exec_lo, s4
	s_and_saveexec_b32 s4, vcc_lo
	s_cbranch_execz .LBB279_1862
.LBB279_1899:
	ds_read_b32 v16, v14 offset:32
	s_waitcnt lgkmcnt(0)
	v_add_f32_e32 v12, v16, v12
	s_or_b32 exec_lo, exec_lo, s4
	s_and_saveexec_b32 s4, vcc_lo
	s_cbranch_execz .LBB279_1863
.LBB279_1900:
	ds_read_b32 v16, v14 offset:64
	s_waitcnt lgkmcnt(0)
	v_add_f32_e32 v11, v16, v11
	s_or_b32 exec_lo, exec_lo, s4
	s_and_saveexec_b32 s4, vcc_lo
	s_cbranch_execz .LBB279_1864
.LBB279_1901:
	ds_read_b32 v16, v14 offset:96
	s_waitcnt lgkmcnt(0)
	v_add_f32_e32 v10, v16, v10
	s_or_b32 exec_lo, exec_lo, s4
	s_and_saveexec_b32 s4, vcc_lo
	s_cbranch_execz .LBB279_1865
.LBB279_1902:
	ds_read_b32 v16, v14 offset:128
	s_waitcnt lgkmcnt(0)
	v_add_f32_e32 v9, v16, v9
	s_or_b32 exec_lo, exec_lo, s4
	s_and_saveexec_b32 s4, vcc_lo
	s_cbranch_execz .LBB279_1866
.LBB279_1903:
	ds_read_b32 v16, v14 offset:160
	s_waitcnt lgkmcnt(0)
	v_add_f32_e32 v8, v16, v8
	s_or_b32 exec_lo, exec_lo, s4
	s_and_saveexec_b32 s4, vcc_lo
	s_cbranch_execz .LBB279_1867
.LBB279_1904:
	ds_read_b32 v16, v14 offset:192
	s_waitcnt lgkmcnt(0)
	v_add_f32_e32 v7, v16, v7
	s_or_b32 exec_lo, exec_lo, s4
	s_and_saveexec_b32 s4, vcc_lo
	s_cbranch_execz .LBB279_1868
.LBB279_1905:
	ds_read_b32 v16, v14 offset:224
	s_waitcnt lgkmcnt(0)
	v_add_f32_e32 v6, v16, v6
	s_or_b32 exec_lo, exec_lo, s4
	s_and_saveexec_b32 s4, vcc_lo
	s_cbranch_execz .LBB279_1869
.LBB279_1906:
	ds_read_b32 v16, v14 offset:256
	s_waitcnt lgkmcnt(0)
	v_add_f32_e32 v5, v16, v5
	s_or_b32 exec_lo, exec_lo, s4
	s_and_saveexec_b32 s4, vcc_lo
	s_cbranch_execz .LBB279_1870
.LBB279_1907:
	ds_read_b32 v16, v14 offset:288
	s_waitcnt lgkmcnt(0)
	v_add_f32_e32 v4, v16, v4
	s_or_b32 exec_lo, exec_lo, s4
	s_and_saveexec_b32 s4, vcc_lo
	s_cbranch_execz .LBB279_1871
.LBB279_1908:
	ds_read_b32 v16, v14 offset:320
	s_waitcnt lgkmcnt(0)
	v_add_f32_e32 v3, v16, v3
	s_or_b32 exec_lo, exec_lo, s4
	s_and_saveexec_b32 s4, vcc_lo
	s_cbranch_execz .LBB279_1872
.LBB279_1909:
	ds_read_b32 v16, v14 offset:352
	s_waitcnt lgkmcnt(0)
	v_add_f32_e32 v1, v16, v1
	s_or_b32 exec_lo, exec_lo, s4
	s_and_saveexec_b32 s4, vcc_lo
	s_cbranch_execz .LBB279_1873
.LBB279_1910:
	ds_read_b32 v16, v14 offset:384
	s_waitcnt lgkmcnt(0)
	v_add_f32_e32 v0, v16, v0
	s_or_b32 exec_lo, exec_lo, s4
	s_and_saveexec_b32 s4, vcc_lo
	s_cbranch_execnz .LBB279_1874
	s_branch .LBB279_1875
.LBB279_1911:
	ds_read_b32 v15, v14
	s_waitcnt lgkmcnt(0)
	v_add_f32_e32 v13, v15, v13
	s_or_b32 exec_lo, exec_lo, s4
	s_and_saveexec_b32 s4, vcc_lo
	s_cbranch_execz .LBB279_1881
.LBB279_1912:
	ds_read_b32 v15, v14 offset:32
	s_waitcnt lgkmcnt(0)
	v_add_f32_e32 v12, v15, v12
	s_or_b32 exec_lo, exec_lo, s4
	s_and_saveexec_b32 s4, vcc_lo
	s_cbranch_execz .LBB279_1882
.LBB279_1913:
	ds_read_b32 v15, v14 offset:64
	s_waitcnt lgkmcnt(0)
	v_add_f32_e32 v11, v15, v11
	s_or_b32 exec_lo, exec_lo, s4
	s_and_saveexec_b32 s4, vcc_lo
	s_cbranch_execz .LBB279_1883
.LBB279_1914:
	ds_read_b32 v15, v14 offset:96
	s_waitcnt lgkmcnt(0)
	v_add_f32_e32 v10, v15, v10
	s_or_b32 exec_lo, exec_lo, s4
	s_and_saveexec_b32 s4, vcc_lo
	s_cbranch_execz .LBB279_1884
.LBB279_1915:
	ds_read_b32 v15, v14 offset:128
	s_waitcnt lgkmcnt(0)
	v_add_f32_e32 v9, v15, v9
	s_or_b32 exec_lo, exec_lo, s4
	s_and_saveexec_b32 s4, vcc_lo
	s_cbranch_execz .LBB279_1885
.LBB279_1916:
	ds_read_b32 v15, v14 offset:160
	s_waitcnt lgkmcnt(0)
	v_add_f32_e32 v8, v15, v8
	s_or_b32 exec_lo, exec_lo, s4
	s_and_saveexec_b32 s4, vcc_lo
	s_cbranch_execz .LBB279_1886
.LBB279_1917:
	ds_read_b32 v15, v14 offset:192
	s_waitcnt lgkmcnt(0)
	v_add_f32_e32 v7, v15, v7
	s_or_b32 exec_lo, exec_lo, s4
	s_and_saveexec_b32 s4, vcc_lo
	s_cbranch_execz .LBB279_1887
.LBB279_1918:
	ds_read_b32 v15, v14 offset:224
	s_waitcnt lgkmcnt(0)
	v_add_f32_e32 v6, v15, v6
	s_or_b32 exec_lo, exec_lo, s4
	s_and_saveexec_b32 s4, vcc_lo
	s_cbranch_execz .LBB279_1888
.LBB279_1919:
	ds_read_b32 v15, v14 offset:256
	s_waitcnt lgkmcnt(0)
	v_add_f32_e32 v5, v15, v5
	s_or_b32 exec_lo, exec_lo, s4
	s_and_saveexec_b32 s4, vcc_lo
	s_cbranch_execz .LBB279_1889
.LBB279_1920:
	ds_read_b32 v15, v14 offset:288
	s_waitcnt lgkmcnt(0)
	v_add_f32_e32 v4, v15, v4
	s_or_b32 exec_lo, exec_lo, s4
	s_and_saveexec_b32 s4, vcc_lo
	s_cbranch_execz .LBB279_1890
.LBB279_1921:
	ds_read_b32 v15, v14 offset:320
	s_waitcnt lgkmcnt(0)
	v_add_f32_e32 v3, v15, v3
	s_or_b32 exec_lo, exec_lo, s4
	s_and_saveexec_b32 s4, vcc_lo
	s_cbranch_execz .LBB279_1891
.LBB279_1922:
	ds_read_b32 v15, v14 offset:352
	s_waitcnt lgkmcnt(0)
	v_add_f32_e32 v1, v15, v1
	s_or_b32 exec_lo, exec_lo, s4
	s_and_saveexec_b32 s4, vcc_lo
	s_cbranch_execz .LBB279_1892
.LBB279_1923:
	ds_read_b32 v15, v14 offset:384
	s_waitcnt lgkmcnt(0)
	v_add_f32_e32 v0, v15, v0
	s_or_b32 exec_lo, exec_lo, s4
	s_and_saveexec_b32 s4, vcc_lo
	s_cbranch_execnz .LBB279_1893
	s_branch .LBB279_1894
.Lfunc_end279:
	.size	_ZN4vllm22paged_attention_kernelIthLi112ELi32ELi128ELNS_18Fp8KVCacheDataTypeE1ELb1ELi0EEEvPfS2_PT_PKS3_PKT0_S9_ifPKiSB_iPKfiiiSD_SD_iiiii, .Lfunc_end279-_ZN4vllm22paged_attention_kernelIthLi112ELi32ELi128ELNS_18Fp8KVCacheDataTypeE1ELb1ELi0EEEvPfS2_PT_PKS3_PKT0_S9_ifPKiSB_iPKfiiiSD_SD_iiiii
                                        ; -- End function
	.set .L_ZN4vllm22paged_attention_kernelIthLi112ELi32ELi128ELNS_18Fp8KVCacheDataTypeE1ELb1ELi0EEEvPfS2_PT_PKS3_PKT0_S9_ifPKiSB_iPKfiiiSD_SD_iiiii.num_vgpr, 128
	.set .L_ZN4vllm22paged_attention_kernelIthLi112ELi32ELi128ELNS_18Fp8KVCacheDataTypeE1ELb1ELi0EEEvPfS2_PT_PKS3_PKT0_S9_ifPKiSB_iPKfiiiSD_SD_iiiii.num_agpr, 0
	.set .L_ZN4vllm22paged_attention_kernelIthLi112ELi32ELi128ELNS_18Fp8KVCacheDataTypeE1ELb1ELi0EEEvPfS2_PT_PKS3_PKT0_S9_ifPKiSB_iPKfiiiSD_SD_iiiii.numbered_sgpr, 33
	.set .L_ZN4vllm22paged_attention_kernelIthLi112ELi32ELi128ELNS_18Fp8KVCacheDataTypeE1ELb1ELi0EEEvPfS2_PT_PKS3_PKT0_S9_ifPKiSB_iPKfiiiSD_SD_iiiii.num_named_barrier, 0
	.set .L_ZN4vllm22paged_attention_kernelIthLi112ELi32ELi128ELNS_18Fp8KVCacheDataTypeE1ELb1ELi0EEEvPfS2_PT_PKS3_PKT0_S9_ifPKiSB_iPKfiiiSD_SD_iiiii.private_seg_size, 384
	.set .L_ZN4vllm22paged_attention_kernelIthLi112ELi32ELi128ELNS_18Fp8KVCacheDataTypeE1ELb1ELi0EEEvPfS2_PT_PKS3_PKT0_S9_ifPKiSB_iPKfiiiSD_SD_iiiii.uses_vcc, 1
	.set .L_ZN4vllm22paged_attention_kernelIthLi112ELi32ELi128ELNS_18Fp8KVCacheDataTypeE1ELb1ELi0EEEvPfS2_PT_PKS3_PKT0_S9_ifPKiSB_iPKfiiiSD_SD_iiiii.uses_flat_scratch, 0
	.set .L_ZN4vllm22paged_attention_kernelIthLi112ELi32ELi128ELNS_18Fp8KVCacheDataTypeE1ELb1ELi0EEEvPfS2_PT_PKS3_PKT0_S9_ifPKiSB_iPKfiiiSD_SD_iiiii.has_dyn_sized_stack, 0
	.set .L_ZN4vllm22paged_attention_kernelIthLi112ELi32ELi128ELNS_18Fp8KVCacheDataTypeE1ELb1ELi0EEEvPfS2_PT_PKS3_PKT0_S9_ifPKiSB_iPKfiiiSD_SD_iiiii.has_recursion, 0
	.set .L_ZN4vllm22paged_attention_kernelIthLi112ELi32ELi128ELNS_18Fp8KVCacheDataTypeE1ELb1ELi0EEEvPfS2_PT_PKS3_PKT0_S9_ifPKiSB_iPKfiiiSD_SD_iiiii.has_indirect_call, 0
	.section	.AMDGPU.csdata,"",@progbits
; Function info:
; codeLenInByte = 64180
; TotalNumSgprs: 35
; NumVgprs: 128
; ScratchSize: 384
; MemoryBound: 0
	.section	.text._ZN4vllm25paged_attention_v1_kernelIthLi112ELi32ELi128ELNS_18Fp8KVCacheDataTypeE1ELb1EEEvPT_PKS2_PKT0_S8_ifPKiSA_iPKfiiiSC_SC_iiiii,"axG",@progbits,_ZN4vllm25paged_attention_v1_kernelIthLi112ELi32ELi128ELNS_18Fp8KVCacheDataTypeE1ELb1EEEvPT_PKS2_PKT0_S8_ifPKiSA_iPKfiiiSC_SC_iiiii,comdat
	.protected	_ZN4vllm25paged_attention_v1_kernelIthLi112ELi32ELi128ELNS_18Fp8KVCacheDataTypeE1ELb1EEEvPT_PKS2_PKT0_S8_ifPKiSA_iPKfiiiSC_SC_iiiii ; -- Begin function _ZN4vllm25paged_attention_v1_kernelIthLi112ELi32ELi128ELNS_18Fp8KVCacheDataTypeE1ELb1EEEvPT_PKS2_PKT0_S8_ifPKiSA_iPKfiiiSC_SC_iiiii
	.globl	_ZN4vllm25paged_attention_v1_kernelIthLi112ELi32ELi128ELNS_18Fp8KVCacheDataTypeE1ELb1EEEvPT_PKS2_PKT0_S8_ifPKiSA_iPKfiiiSC_SC_iiiii
	.p2align	8
	.type	_ZN4vllm25paged_attention_v1_kernelIthLi112ELi32ELi128ELNS_18Fp8KVCacheDataTypeE1ELb1EEEvPT_PKS2_PKT0_S8_ifPKiSA_iPKfiiiSC_SC_iiiii,@function
_ZN4vllm25paged_attention_v1_kernelIthLi112ELi32ELi128ELNS_18Fp8KVCacheDataTypeE1ELb1EEEvPT_PKS2_PKT0_S8_ifPKiSA_iPKfiiiSC_SC_iiiii: ; @_ZN4vllm25paged_attention_v1_kernelIthLi112ELi32ELi128ELNS_18Fp8KVCacheDataTypeE1ELb1EEEvPT_PKS2_PKT0_S8_ifPKiSA_iPKfiiiSC_SC_iiiii
; %bb.0:
	s_clause 0x7
	s_load_dwordx8 s[16:23], s[4:5], 0x0
	s_load_dwordx4 s[36:39], s[4:5], 0x20
	s_load_dwordx2 s[10:11], s[4:5], 0x30
	s_load_dword s13, s[4:5], 0x38
	s_load_dwordx2 s[34:35], s[4:5], 0x40
	s_load_dwordx8 s[24:31], s[4:5], 0x48
	s_load_dword s15, s[4:5], 0x78
	s_load_dwordx4 s[40:43], s[4:5], 0x68
	s_add_u32 s0, s0, s9
	s_addc_u32 s1, s1, 0
	v_mov_b32_e32 v31, v0
	s_mov_b32 s14, s8
	s_add_u32 s8, s4, 0x80
	s_addc_u32 s9, s5, 0
	s_getpc_b64 s[4:5]
	s_add_u32 s4, s4, _ZN4vllm22paged_attention_kernelIthLi112ELi32ELi128ELNS_18Fp8KVCacheDataTypeE1ELb1ELi0EEEvPfS2_PT_PKS3_PKT0_S9_ifPKiSB_iPKfiiiSD_SD_iiiii@rel32@lo+4
	s_addc_u32 s5, s5, _ZN4vllm22paged_attention_kernelIthLi112ELi32ELi128ELNS_18Fp8KVCacheDataTypeE1ELb1ELi0EEEvPfS2_PT_PKS3_PKT0_S9_ifPKiSB_iPKfiiiSD_SD_iiiii@rel32@hi+12
	s_mov_b32 s12, s6
	s_mov_b32 s32, 0
	s_waitcnt lgkmcnt(0)
	v_mov_b32_e32 v0, s16
	v_mov_b32_e32 v1, s17
	;; [unrolled: 1-line block ×29, first 2 shown]
	s_mov_b32 s13, s7
	s_mov_b32 s15, 35
	s_swappc_b64 s[30:31], s[4:5]
	s_endpgm
	.section	.rodata,"a",@progbits
	.p2align	6, 0x0
	.amdhsa_kernel _ZN4vllm25paged_attention_v1_kernelIthLi112ELi32ELi128ELNS_18Fp8KVCacheDataTypeE1ELb1EEEvPT_PKS2_PKT0_S8_ifPKiSA_iPKfiiiSC_SC_iiiii
		.amdhsa_group_segment_fixed_size 256
		.amdhsa_private_segment_fixed_size 384
		.amdhsa_kernarg_size 384
		.amdhsa_user_sgpr_count 6
		.amdhsa_user_sgpr_private_segment_buffer 1
		.amdhsa_user_sgpr_dispatch_ptr 0
		.amdhsa_user_sgpr_queue_ptr 0
		.amdhsa_user_sgpr_kernarg_segment_ptr 1
		.amdhsa_user_sgpr_dispatch_id 0
		.amdhsa_user_sgpr_flat_scratch_init 0
		.amdhsa_user_sgpr_private_segment_size 0
		.amdhsa_wavefront_size32 1
		.amdhsa_uses_dynamic_stack 0
		.amdhsa_system_sgpr_private_segment_wavefront_offset 1
		.amdhsa_system_sgpr_workgroup_id_x 1
		.amdhsa_system_sgpr_workgroup_id_y 1
		.amdhsa_system_sgpr_workgroup_id_z 1
		.amdhsa_system_sgpr_workgroup_info 0
		.amdhsa_system_vgpr_workitem_id 0
		.amdhsa_next_free_vgpr 128
		.amdhsa_next_free_sgpr 44
		.amdhsa_reserve_vcc 1
		.amdhsa_reserve_flat_scratch 0
		.amdhsa_float_round_mode_32 0
		.amdhsa_float_round_mode_16_64 0
		.amdhsa_float_denorm_mode_32 3
		.amdhsa_float_denorm_mode_16_64 3
		.amdhsa_dx10_clamp 1
		.amdhsa_ieee_mode 1
		.amdhsa_fp16_overflow 0
		.amdhsa_workgroup_processor_mode 1
		.amdhsa_memory_ordered 1
		.amdhsa_forward_progress 1
		.amdhsa_shared_vgpr_count 0
		.amdhsa_exception_fp_ieee_invalid_op 0
		.amdhsa_exception_fp_denorm_src 0
		.amdhsa_exception_fp_ieee_div_zero 0
		.amdhsa_exception_fp_ieee_overflow 0
		.amdhsa_exception_fp_ieee_underflow 0
		.amdhsa_exception_fp_ieee_inexact 0
		.amdhsa_exception_int_div_zero 0
	.end_amdhsa_kernel
	.section	.text._ZN4vllm25paged_attention_v1_kernelIthLi112ELi32ELi128ELNS_18Fp8KVCacheDataTypeE1ELb1EEEvPT_PKS2_PKT0_S8_ifPKiSA_iPKfiiiSC_SC_iiiii,"axG",@progbits,_ZN4vllm25paged_attention_v1_kernelIthLi112ELi32ELi128ELNS_18Fp8KVCacheDataTypeE1ELb1EEEvPT_PKS2_PKT0_S8_ifPKiSA_iPKfiiiSC_SC_iiiii,comdat
.Lfunc_end280:
	.size	_ZN4vllm25paged_attention_v1_kernelIthLi112ELi32ELi128ELNS_18Fp8KVCacheDataTypeE1ELb1EEEvPT_PKS2_PKT0_S8_ifPKiSA_iPKfiiiSC_SC_iiiii, .Lfunc_end280-_ZN4vllm25paged_attention_v1_kernelIthLi112ELi32ELi128ELNS_18Fp8KVCacheDataTypeE1ELb1EEEvPT_PKS2_PKT0_S8_ifPKiSA_iPKfiiiSC_SC_iiiii
                                        ; -- End function
	.set _ZN4vllm25paged_attention_v1_kernelIthLi112ELi32ELi128ELNS_18Fp8KVCacheDataTypeE1ELb1EEEvPT_PKS2_PKT0_S8_ifPKiSA_iPKfiiiSC_SC_iiiii.num_vgpr, max(32, .L_ZN4vllm22paged_attention_kernelIthLi112ELi32ELi128ELNS_18Fp8KVCacheDataTypeE1ELb1ELi0EEEvPfS2_PT_PKS3_PKT0_S9_ifPKiSB_iPKfiiiSD_SD_iiiii.num_vgpr)
	.set _ZN4vllm25paged_attention_v1_kernelIthLi112ELi32ELi128ELNS_18Fp8KVCacheDataTypeE1ELb1EEEvPT_PKS2_PKT0_S8_ifPKiSA_iPKfiiiSC_SC_iiiii.num_agpr, max(0, .L_ZN4vllm22paged_attention_kernelIthLi112ELi32ELi128ELNS_18Fp8KVCacheDataTypeE1ELb1ELi0EEEvPfS2_PT_PKS3_PKT0_S9_ifPKiSB_iPKfiiiSD_SD_iiiii.num_agpr)
	.set _ZN4vllm25paged_attention_v1_kernelIthLi112ELi32ELi128ELNS_18Fp8KVCacheDataTypeE1ELb1EEEvPT_PKS2_PKT0_S8_ifPKiSA_iPKfiiiSC_SC_iiiii.numbered_sgpr, max(44, .L_ZN4vllm22paged_attention_kernelIthLi112ELi32ELi128ELNS_18Fp8KVCacheDataTypeE1ELb1ELi0EEEvPfS2_PT_PKS3_PKT0_S9_ifPKiSB_iPKfiiiSD_SD_iiiii.numbered_sgpr)
	.set _ZN4vllm25paged_attention_v1_kernelIthLi112ELi32ELi128ELNS_18Fp8KVCacheDataTypeE1ELb1EEEvPT_PKS2_PKT0_S8_ifPKiSA_iPKfiiiSC_SC_iiiii.num_named_barrier, max(0, .L_ZN4vllm22paged_attention_kernelIthLi112ELi32ELi128ELNS_18Fp8KVCacheDataTypeE1ELb1ELi0EEEvPfS2_PT_PKS3_PKT0_S9_ifPKiSB_iPKfiiiSD_SD_iiiii.num_named_barrier)
	.set _ZN4vllm25paged_attention_v1_kernelIthLi112ELi32ELi128ELNS_18Fp8KVCacheDataTypeE1ELb1EEEvPT_PKS2_PKT0_S8_ifPKiSA_iPKfiiiSC_SC_iiiii.private_seg_size, 0+max(.L_ZN4vllm22paged_attention_kernelIthLi112ELi32ELi128ELNS_18Fp8KVCacheDataTypeE1ELb1ELi0EEEvPfS2_PT_PKS3_PKT0_S9_ifPKiSB_iPKfiiiSD_SD_iiiii.private_seg_size)
	.set _ZN4vllm25paged_attention_v1_kernelIthLi112ELi32ELi128ELNS_18Fp8KVCacheDataTypeE1ELb1EEEvPT_PKS2_PKT0_S8_ifPKiSA_iPKfiiiSC_SC_iiiii.uses_vcc, or(1, .L_ZN4vllm22paged_attention_kernelIthLi112ELi32ELi128ELNS_18Fp8KVCacheDataTypeE1ELb1ELi0EEEvPfS2_PT_PKS3_PKT0_S9_ifPKiSB_iPKfiiiSD_SD_iiiii.uses_vcc)
	.set _ZN4vllm25paged_attention_v1_kernelIthLi112ELi32ELi128ELNS_18Fp8KVCacheDataTypeE1ELb1EEEvPT_PKS2_PKT0_S8_ifPKiSA_iPKfiiiSC_SC_iiiii.uses_flat_scratch, or(0, .L_ZN4vllm22paged_attention_kernelIthLi112ELi32ELi128ELNS_18Fp8KVCacheDataTypeE1ELb1ELi0EEEvPfS2_PT_PKS3_PKT0_S9_ifPKiSB_iPKfiiiSD_SD_iiiii.uses_flat_scratch)
	.set _ZN4vllm25paged_attention_v1_kernelIthLi112ELi32ELi128ELNS_18Fp8KVCacheDataTypeE1ELb1EEEvPT_PKS2_PKT0_S8_ifPKiSA_iPKfiiiSC_SC_iiiii.has_dyn_sized_stack, or(0, .L_ZN4vllm22paged_attention_kernelIthLi112ELi32ELi128ELNS_18Fp8KVCacheDataTypeE1ELb1ELi0EEEvPfS2_PT_PKS3_PKT0_S9_ifPKiSB_iPKfiiiSD_SD_iiiii.has_dyn_sized_stack)
	.set _ZN4vllm25paged_attention_v1_kernelIthLi112ELi32ELi128ELNS_18Fp8KVCacheDataTypeE1ELb1EEEvPT_PKS2_PKT0_S8_ifPKiSA_iPKfiiiSC_SC_iiiii.has_recursion, or(0, .L_ZN4vllm22paged_attention_kernelIthLi112ELi32ELi128ELNS_18Fp8KVCacheDataTypeE1ELb1ELi0EEEvPfS2_PT_PKS3_PKT0_S9_ifPKiSB_iPKfiiiSD_SD_iiiii.has_recursion)
	.set _ZN4vllm25paged_attention_v1_kernelIthLi112ELi32ELi128ELNS_18Fp8KVCacheDataTypeE1ELb1EEEvPT_PKS2_PKT0_S8_ifPKiSA_iPKfiiiSC_SC_iiiii.has_indirect_call, or(0, .L_ZN4vllm22paged_attention_kernelIthLi112ELi32ELi128ELNS_18Fp8KVCacheDataTypeE1ELb1ELi0EEEvPfS2_PT_PKS3_PKT0_S9_ifPKiSB_iPKfiiiSD_SD_iiiii.has_indirect_call)
	.section	.AMDGPU.csdata,"",@progbits
; Kernel info:
; codeLenInByte = 260
; TotalNumSgprs: 46
; NumVgprs: 128
; ScratchSize: 384
; MemoryBound: 0
; FloatMode: 240
; IeeeMode: 1
; LDSByteSize: 256 bytes/workgroup (compile time only)
; SGPRBlocks: 0
; VGPRBlocks: 15
; NumSGPRsForWavesPerEU: 46
; NumVGPRsForWavesPerEU: 128
; Occupancy: 8
; WaveLimiterHint : 1
; COMPUTE_PGM_RSRC2:SCRATCH_EN: 1
; COMPUTE_PGM_RSRC2:USER_SGPR: 6
; COMPUTE_PGM_RSRC2:TRAP_HANDLER: 0
; COMPUTE_PGM_RSRC2:TGID_X_EN: 1
; COMPUTE_PGM_RSRC2:TGID_Y_EN: 1
; COMPUTE_PGM_RSRC2:TGID_Z_EN: 1
; COMPUTE_PGM_RSRC2:TIDIG_COMP_CNT: 0
	.text
	.p2align	2                               ; -- Begin function _ZN4vllm22paged_attention_kernelIthLi120ELi32ELi128ELNS_18Fp8KVCacheDataTypeE1ELb1ELi0EEEvPfS2_PT_PKS3_PKT0_S9_ifPKiSB_iPKfiiiSD_SD_iiiii
	.type	_ZN4vllm22paged_attention_kernelIthLi120ELi32ELi128ELNS_18Fp8KVCacheDataTypeE1ELb1ELi0EEEvPfS2_PT_PKS3_PKT0_S9_ifPKiSB_iPKfiiiSD_SD_iiiii,@function
_ZN4vllm22paged_attention_kernelIthLi120ELi32ELi128ELNS_18Fp8KVCacheDataTypeE1ELb1ELi0EEEvPfS2_PT_PKS3_PKT0_S9_ifPKiSB_iPKfiiiSD_SD_iiiii: ; @_ZN4vllm22paged_attention_kernelIthLi120ELi32ELi128ELNS_18Fp8KVCacheDataTypeE1ELb1ELi0EEEvPfS2_PT_PKS3_PKT0_S9_ifPKiSB_iPKfiiiSD_SD_iiiii
; %bb.0:
	s_waitcnt vmcnt(0) expcnt(0) lgkmcnt(0)
	buffer_store_dword v40, off, s[0:3], s32 offset:188 ; 4-byte Folded Spill
	buffer_store_dword v41, off, s[0:3], s32 offset:184 ; 4-byte Folded Spill
	;; [unrolled: 1-line block ×47, first 2 shown]
	buffer_store_dword v127, off, s[0:3], s32 ; 4-byte Folded Spill
	s_mov_b32 s10, s13
	s_ashr_i32 s11, s13, 31
	buffer_store_dword v22, off, s[0:3], s32 offset:192 ; 4-byte Folded Spill
	buffer_store_dword v23, off, s[0:3], s32 offset:196 ; 4-byte Folded Spill
	;; [unrolled: 1-line block ×8, first 2 shown]
	s_lshl_b64 s[6:7], s[10:11], 2
	buffer_store_dword v1, off, s[0:3], s32 offset:380 ; 4-byte Folded Spill
	buffer_store_dword v0, off, s[0:3], s32 offset:384 ; 4-byte Folded Spill
	v_add_co_u32 v0, vcc_lo, v12, s6
	v_add_co_ci_u32_e64 v1, null, s7, v13, vcc_lo
	s_clause 0x1
	s_load_dword s5, s[8:9], 0x10
	s_load_dword s6, s[8:9], 0x0
	v_mov_b32_e32 v22, v6
	flat_load_dword v30, v[0:1]
	v_sub_nc_u32_e32 v0, 0, v8
	v_mov_b32_e32 v18, v7
	s_mov_b32 s4, s15
	v_max_i32_e32 v0, v8, v0
	v_cvt_f32_u32_e32 v1, v0
	v_sub_nc_u32_e32 v6, 0, v0
	v_rcp_iflag_f32_e32 v1, v1
	s_waitcnt lgkmcnt(0)
	s_lshr_b32 s5, s5, 16
	s_cmp_lg_u32 s5, 0
	s_cselect_b32 s5, -1, 0
	s_cmp_lg_u32 s5, 0
	s_addc_u32 s11, s6, 0
	v_mul_f32_e32 v1, 0x4f7ffffe, v1
	s_abs_i32 s5, s11
	s_mov_b32 s6, exec_lo
	v_cvt_u32_f32_e32 v1, v1
	v_mul_lo_u32 v6, v6, v1
	v_mul_hi_u32 v6, v1, v6
	v_add_nc_u32_e32 v1, v1, v6
	v_mul_hi_u32 v1, s5, v1
	v_mul_lo_u32 v6, v1, v0
	v_add_nc_u32_e32 v7, 1, v1
	v_sub_nc_u32_e32 v6, s5, v6
	s_abs_i32 s5, s12
	v_sub_nc_u32_e32 v9, v6, v0
	v_cmp_ge_u32_e32 vcc_lo, v6, v0
	v_cndmask_b32_e32 v1, v1, v7, vcc_lo
	v_cndmask_b32_e32 v6, v6, v9, vcc_lo
	v_xor_b32_e32 v7, s11, v8
	v_add_nc_u32_e32 v9, 1, v1
	v_cmp_ge_u32_e32 vcc_lo, v6, v0
	v_ashrrev_i32_e32 v7, 31, v7
	v_cndmask_b32_e32 v0, v1, v9, vcc_lo
	v_xor_b32_e32 v0, v0, v7
	v_sub_nc_u32_e32 v1, v0, v7
	v_sub_nc_u32_e32 v0, 0, v1
	v_max_i32_e32 v0, v1, v0
	v_cvt_f32_u32_e32 v6, v0
	v_sub_nc_u32_e32 v7, 0, v0
	v_rcp_iflag_f32_e32 v6, v6
	v_mul_f32_e32 v6, 0x4f7ffffe, v6
	v_cvt_u32_f32_e32 v6, v6
	v_mul_lo_u32 v7, v7, v6
	v_mul_hi_u32 v7, v6, v7
	v_add_nc_u32_e32 v6, v6, v7
	v_mad_u64_u32 v[12:13], null, s5, v6, 0
	v_mov_b32_e32 v6, 0
	buffer_store_dword v6, off, s[0:3], s32 offset:332 ; 4-byte Folded Spill
	v_cmpx_ne_u64_e32 0, v[15:16]
	s_cbranch_execz .LBB281_2
; %bb.1:
	s_ashr_i32 s13, s12, 31
	s_lshl_b64 s[16:17], s[12:13], 2
	v_add_co_u32 v6, vcc_lo, v15, s16
	v_add_co_ci_u32_e64 v7, null, s17, v16, vcc_lo
	flat_load_dword v6, v[6:7]
	s_waitcnt vmcnt(0) lgkmcnt(0)
	buffer_store_dword v6, off, s[0:3], s32 offset:332 ; 4-byte Folded Spill
.LBB281_2:
	s_or_b32 exec_lo, exec_lo, s6
	v_and_b32_e32 v37, 0x3ff, v31
	v_ashrrev_i32_e32 v1, 31, v1
	s_ashr_i32 s6, s12, 31
	s_mul_i32 s16, s12, 0x78
	s_mov_b32 s7, exec_lo
	v_cmpx_gt_u32_e32 15, v37
	s_cbranch_execz .LBB281_4
; %bb.3:
	v_mul_lo_u32 v6, v17, s10
	s_ashr_i32 s17, s16, 31
	v_lshlrev_b32_e32 v15, 4, v37
	s_lshl_b64 s[18:19], s[16:17], 1
	v_ashrrev_i32_e32 v7, 31, v6
	v_lshlrev_b64 v[6:7], 1, v[6:7]
	v_add_co_u32 v2, vcc_lo, v2, v6
	v_add_co_ci_u32_e64 v3, null, v3, v7, vcc_lo
	v_add_co_u32 v2, vcc_lo, v2, s18
	v_add_co_ci_u32_e64 v3, null, s19, v3, vcc_lo
	;; [unrolled: 2-line block ×3, first 2 shown]
	flat_load_dwordx4 v[9:12], v[2:3]
	s_waitcnt vmcnt(0) lgkmcnt(0)
	ds_write_b128 v15, v[9:12]
.LBB281_4:
	s_or_b32 exec_lo, exec_lo, s7
	v_sub_nc_u32_e32 v2, 0, v27
	v_mul_lo_u32 v3, v13, v0
	v_xor_b32_e32 v1, s6, v1
	v_max_i32_e32 v7, v27, v2
	v_sub_nc_u32_e32 v3, s5, v3
	v_cvt_f32_u32_e32 v2, v7
	buffer_store_dword v7, off, s[0:3], s32 offset:204 ; 4-byte Folded Spill
	s_mov_b32 s5, exec_lo
	v_sub_nc_u32_e32 v9, v3, v0
	v_rcp_iflag_f32_e32 v2, v2
	v_cmp_ge_u32_e32 vcc_lo, v3, v0
	v_cndmask_b32_e32 v3, v3, v9, vcc_lo
	v_mul_f32_e32 v2, 0x4f7ffffe, v2
	v_cvt_u32_f32_e32 v6, v2
	v_sub_nc_u32_e32 v2, 0, v7
	v_add_nc_u32_e32 v7, 1, v13
	v_mul_lo_u32 v10, v2, v6
	v_cndmask_b32_e32 v7, v13, v7, vcc_lo
	s_waitcnt vmcnt(0)
	v_add_nc_u32_e32 v2, -1, v30
	v_cmp_ge_u32_e32 vcc_lo, v3, v0
	v_add_nc_u32_e32 v9, 1, v7
	v_sub_nc_u32_e32 v11, 0, v2
	v_mul_hi_u32 v10, v6, v10
	v_cndmask_b32_e32 v3, v7, v9, vcc_lo
	v_max_i32_e32 v0, v2, v11
	v_xor_b32_e32 v3, v3, v1
	v_add_nc_u32_e32 v6, v6, v10
	v_mad_u64_u32 v[12:13], null, v0, v6, 0
	v_sub_nc_u32_e32 v12, v3, v1
                                        ; implicit-def: $vgpr1
	buffer_store_dword v6, off, s[0:3], s32 offset:220 ; 4-byte Folded Spill
	s_waitcnt lgkmcnt(0)
	s_waitcnt_vscnt null, 0x0
	s_barrier
	buffer_gl0_inv
	buffer_store_dword v1, off, s[0:3], s32 offset:208 ; 4-byte Folded Spill
	buffer_store_dword v2, off, s[0:3], s32 offset:212 ; 4-byte Folded Spill
	v_cmpx_gt_i32_e32 0, v28
	s_xor_b32 s5, exec_lo, s5
	s_cbranch_execz .LBB281_6
; %bb.5:
	v_mad_u64_u32 v[6:7], null, v24, v8, v[12:13]
                                        ; implicit-def: $vgpr24
	v_mul_lo_u32 v1, v6, v28
                                        ; implicit-def: $vgpr28
	v_sub_nc_u32_e32 v1, 1, v1
	buffer_store_dword v1, off, s[0:3], s32 offset:208 ; 4-byte Folded Spill
	buffer_store_dword v2, off, s[0:3], s32 offset:212 ; 4-byte Folded Spill
.LBB281_6:
	s_or_saveexec_b32 s5, s5
	v_ashrrev_i32_e32 v1, 31, v2
	v_ashrrev_i32_e32 v2, 31, v27
	buffer_store_dword v2, off, s[0:3], s32 offset:216 ; 4-byte Folded Spill
	s_xor_b32 exec_lo, exec_lo, s5
	s_cbranch_execz .LBB281_8
; %bb.7:
	v_mad_u64_u32 v[2:3], null, s11, v24, s[12:13]
	v_mad_u64_u32 v[2:3], null, v2, v28, 1
	buffer_store_dword v2, off, s[0:3], s32 offset:208 ; 4-byte Folded Spill
	buffer_store_dword v3, off, s[0:3], s32 offset:212 ; 4-byte Folded Spill
.LBB281_8:
	s_or_b32 exec_lo, exec_lo, s5
	buffer_load_dword v10, off, s[0:3], s32 offset:204 ; 4-byte Folded Reload
	s_clause 0x1
	s_load_dword s7, s[8:9], 0x14
	s_load_dword s15, s[8:9], 0x8
	buffer_load_dword v6, off, s[0:3], s32 offset:216 ; 4-byte Folded Reload
	v_add_nc_u32_e32 v3, 1, v13
	v_lshrrev_b32_e32 v68, 5, v37
	v_and_b32_e32 v9, 31, v37
	s_ashr_i32 s5, s4, 31
	s_getpc_b64 s[8:9]
	s_add_u32 s8, s8, llvm.amdgcn.dynlds.offset.table@rel32@lo+4
	s_addc_u32 s9, s9, llvm.amdgcn.dynlds.offset.table@rel32@hi+12
	v_sub_nc_u32_e32 v11, 0, v26
	s_lshl_b64 s[12:13], s[4:5], 2
	buffer_store_dword v9, off, s[0:3], s32 offset:328 ; 4-byte Folded Spill
	s_add_u32 s8, s8, s12
	s_addc_u32 s9, s9, s13
	s_waitcnt vmcnt(1)
	v_mul_lo_u32 v2, v13, v10
	s_waitcnt vmcnt(0)
	v_xor_b32_e32 v6, v1, v6
	v_add_nc_u32_e32 v1, 31, v30
	v_ashrrev_i32_e32 v8, 31, v1
	v_sub_nc_u32_e32 v2, v0, v2
	v_mul_lo_u32 v0, v14, s10
	v_mov_b32_e32 v14, 0xff7fffff
	v_lshrrev_b32_e32 v8, 27, v8
	v_sub_nc_u32_e32 v7, v2, v10
	v_cmp_ge_u32_e32 vcc_lo, v2, v10
	v_cndmask_b32_e32 v3, v13, v3, vcc_lo
	v_cndmask_b32_e32 v2, v2, v7, vcc_lo
	v_lshlrev_b32_e32 v13, 2, v9
	v_add_nc_u32_e32 v7, 1, v3
	v_cmp_ge_u32_e32 vcc_lo, v2, v10
	v_mul_lo_u32 v10, v12, v19
	v_cndmask_b32_e32 v2, v3, v7, vcc_lo
	v_add_nc_u32_e32 v3, v1, v8
	v_lshlrev_b32_e32 v1, 5, v68
	v_ashrrev_i32_e32 v12, 31, v10
	v_xor_b32_e32 v2, v2, v6
	v_ashrrev_i32_e32 v3, 5, v3
	buffer_store_dword v1, off, s[0:3], s32 offset:388 ; 4-byte Folded Spill
	v_ashrrev_i32_e32 v1, 31, v0
	v_sub_nc_u32_e32 v2, v2, v6
	v_cmp_lt_i32_e64 s4, v68, v3
	v_lshlrev_b64 v[0:1], 2, v[0:1]
	buffer_store_dword v0, off, s[0:3], s32 offset:368 ; 4-byte Folded Spill
	buffer_store_dword v1, off, s[0:3], s32 offset:372 ; 4-byte Folded Spill
	buffer_store_dword v3, off, s[0:3], s32 offset:200 ; 4-byte Folded Spill
	v_sub_nc_u32_e32 v0, v2, v25
	buffer_store_dword v0, off, s[0:3], s32 offset:224 ; 4-byte Folded Spill
	v_lshrrev_b32_e32 v0, 3, v37
	buffer_store_dword v0, off, s[0:3], s32 offset:376 ; 4-byte Folded Spill
	s_and_saveexec_b32 s17, s4
	s_cbranch_execz .LBB281_976
; %bb.9:
	buffer_store_dword v22, off, s[0:3], s32 offset:408 ; 4-byte Folded Spill
	buffer_store_dword v18, off, s[0:3], s32 offset:404 ; 4-byte Folded Spill
	;; [unrolled: 1-line block ×5, first 2 shown]
	s_clause 0x1
	buffer_load_dword v7, off, s[0:3], s32 offset:328
	buffer_load_dword v8, off, s[0:3], s32 offset:376
	v_max_i32_e32 v6, v26, v11
	v_add_co_u32 v1, vcc_lo, v4, v10
	v_add_co_ci_u32_e64 v2, null, v5, v12, vcc_lo
	v_cvt_f32_u32_e32 v0, v6
	buffer_load_dword v5, off, s[0:3], s32 offset:332 ; 4-byte Folded Reload
	buffer_store_dword v6, off, s[0:3], s32 offset:264 ; 4-byte Folded Spill
	v_sub_nc_u32_e32 v6, 0, v6
	s_load_dword s18, s[8:9], 0x0
	v_rcp_iflag_f32_e32 v0, v0
	buffer_store_dword v10, off, s[0:3], s32 offset:412 ; 4-byte Folded Spill
	buffer_store_dword v12, off, s[0:3], s32 offset:420 ; 4-byte Folded Spill
	;; [unrolled: 1-line block ×3, first 2 shown]
	v_mov_b32_e32 v4, 0
	v_lshl_or_b32 v84, v68, 7, v13
	v_mov_b32_e32 v54, 0x80
	v_mov_b32_e32 v14, 0xff7fffff
	s_mov_b32 s12, -1
	s_mov_b32 s19, 0
	v_mul_f32_e32 v0, 0x4f7ffffe, v0
	s_mov_b32 s13, 0xffffff
	v_cvt_u32_f32_e32 v0, v0
	v_mul_lo_u32 v6, v6, v0
	s_waitcnt vmcnt(2)
	v_lshlrev_b32_e32 v3, 4, v7
	v_sub_nc_u32_e32 v7, v7, v30
	s_waitcnt vmcnt(1)
	v_and_b32_e32 v8, 0x7c, v8
	v_add_co_u32 v1, s5, v1, v3
	v_add_co_ci_u32_e64 v2, null, 0, v2, s5
	s_waitcnt vmcnt(0)
	v_cmp_neq_f32_e32 vcc_lo, 0, v5
	v_lshlrev_b32_e32 v5, 5, v68
	buffer_store_dword v1, off, s[0:3], s32 offset:348 ; 4-byte Folded Spill
	buffer_store_dword v2, off, s[0:3], s32 offset:352 ; 4-byte Folded Spill
	v_mul_hi_u32 v1, v0, v6
	v_add_nc_u32_e32 v6, 1, v7
	s_clause 0x1
	buffer_load_dword v2, off, s[0:3], s32 offset:368
	buffer_load_dword v3, off, s[0:3], s32 offset:372
	buffer_store_dword v6, off, s[0:3], s32 offset:356 ; 4-byte Folded Spill
	buffer_load_dword v6, off, s[0:3], s32 offset:364 ; 4-byte Folded Reload
	v_add_nc_u32_e32 v0, v0, v1
	s_waitcnt vmcnt(2)
	v_add_co_u32 v2, s5, v8, v2
	s_waitcnt vmcnt(1)
	v_add_co_ci_u32_e64 v3, null, 0, v3, s5
	s_waitcnt vmcnt(0)
	v_add_co_u32 v16, s5, v6, v2
	buffer_load_dword v2, off, s[0:3], s32 offset:360 ; 4-byte Folded Reload
	buffer_store_dword v0, off, s[0:3], s32 offset:268 ; 4-byte Folded Spill
	buffer_store_dword v68, off, s[0:3], s32 offset:396 ; 4-byte Folded Spill
	s_waitcnt vmcnt(0)
	v_add_co_ci_u32_e64 v17, null, v2, v3, s5
	s_branch .LBB281_15
.LBB281_10:                             ;   in Loop: Header=BB281_15 Depth=1
	s_or_b32 exec_lo, exec_lo, s23
	v_lshlrev_b32_e32 v3, 8, v3
	v_lshl_add_u32 v19, v24, 10, 0x2000
	v_and_or_b32 v3, 0x8000, v3, v19
	v_lshlrev_b32_e32 v19, 23, v23
	v_lshl_or_b32 v23, v3, 16, v19
.LBB281_11:                             ;   in Loop: Header=BB281_15 Depth=1
	s_or_b32 exec_lo, exec_lo, s22
.LBB281_12:                             ;   in Loop: Header=BB281_15 Depth=1
	s_or_b32 exec_lo, exec_lo, s21
.LBB281_13:                             ;   in Loop: Header=BB281_15 Depth=1
	s_or_b32 exec_lo, exec_lo, s20
	v_or_b32_e32 v3, v93, v91
	v_fma_mixlo_f16 v19, v69, v93, 0 op_sel:[0,1,0] op_sel_hi:[0,1,0]
	v_or_b32_e32 v2, v36, v2
	v_or_b32_e32 v0, v50, v0
	v_fma_mixlo_f16 v25, v69, v50, 0 op_sel:[0,1,0] op_sel_hi:[0,1,0]
	v_fma_mixlo_f16 v3, v69, v3, 0 op_sel_hi:[0,1,0]
	buffer_store_dword v19, off, s[0:3], s32 offset:292 ; 4-byte Folded Spill
	v_fma_mixlo_f16 v19, v69, v88, 0 op_sel:[0,1,0] op_sel_hi:[0,1,0]
	v_fma_mixlo_f16 v28, v69, v1, 0 op_sel:[0,1,0] op_sel_hi:[0,1,0]
	s_load_dword s20, s[8:9], 0x0
	buffer_store_dword v3, off, s[0:3], s32 offset:296 ; 4-byte Folded Spill
	v_or_b32_e32 v3, v88, v79
	buffer_store_dword v19, off, s[0:3], s32 offset:300 ; 4-byte Folded Spill
	v_fma_mixlo_f16 v19, v69, v94, 0 op_sel:[0,1,0] op_sel_hi:[0,1,0]
	v_fma_mixlo_f16 v88, v69, v66, 0 op_sel:[0,1,0] op_sel_hi:[0,1,0]
	;; [unrolled: 1-line block ×3, first 2 shown]
	v_fma_mixlo_f16 v3, v69, v3, 0 op_sel_hi:[0,1,0]
	v_fma_mixlo_f16 v79, v69, v12, 0 op_sel:[0,1,0] op_sel_hi:[0,1,0]
	buffer_store_dword v19, off, s[0:3], s32 offset:284 ; 4-byte Folded Spill
	v_fma_mixlo_f16 v19, v69, v107, 0 op_sel:[0,1,0] op_sel_hi:[0,1,0]
	v_fma_mixlo_f16 v24, v69, v26, 0 op_sel:[0,1,0] op_sel_hi:[0,1,0]
	buffer_store_dword v3, off, s[0:3], s32 offset:304 ; 4-byte Folded Spill
	v_or_b32_e32 v3, v94, v33
	v_and_b32_e32 v22, 0xffff, v22
	buffer_store_dword v19, off, s[0:3], s32 offset:320 ; 4-byte Folded Spill
	v_and_b32_e32 v28, 0xffff, v28
	v_and_b32_e32 v25, 0xffff, v25
	v_fma_mixlo_f16 v3, v69, v3, 0 op_sel_hi:[0,1,0]
	v_and_b32_e32 v24, 0xffff, v24
	buffer_store_dword v3, off, s[0:3], s32 offset:288 ; 4-byte Folded Spill
	v_or_b32_e32 v3, v27, v115
	v_fma_mixlo_f16 v115, v69, v105, 0 op_sel:[0,1,0] op_sel_hi:[0,1,0]
	v_fma_mixlo_f16 v3, v69, v3, 0 op_sel_hi:[0,1,0]
	buffer_store_dword v3, off, s[0:3], s32 offset:280 ; 4-byte Folded Spill
	v_fma_mixlo_f16 v3, v69, v27, 0 op_sel:[0,1,0] op_sel_hi:[0,1,0]
	v_fma_mixlo_f16 v27, v69, v0, 0 op_sel_hi:[0,1,0]
	v_or_b32_e32 v0, v1, v101
	buffer_load_dword v1, off, s[0:3], s32 offset:356 ; 4-byte Folded Reload
	buffer_store_dword v3, off, s[0:3], s32 offset:276 ; 4-byte Folded Spill
	v_or_b32_e32 v3, v107, v99
	v_fma_mixlo_f16 v107, v69, v31, 0 op_sel:[0,1,0] op_sel_hi:[0,1,0]
	v_fma_mixlo_f16 v3, v69, v3, 0 op_sel_hi:[0,1,0]
	buffer_store_dword v3, off, s[0:3], s32 offset:324 ; 4-byte Folded Spill
	v_or_b32_e32 v3, v31, v13
	v_fma_mixlo_f16 v13, v69, v108, 0 op_sel:[0,1,0] op_sel_hi:[0,1,0]
	v_fma_mixlo_f16 v93, v69, v3, 0 op_sel_hi:[0,1,0]
	v_or_b32_e32 v3, v108, v102
	buffer_store_dword v13, off, s[0:3], s32 offset:316 ; 4-byte Folded Spill
	v_fma_mixlo_f16 v102, v69, v89, 0 op_sel:[0,1,0] op_sel_hi:[0,1,0]
	v_fma_mixlo_f16 v108, v69, v3, 0 op_sel_hi:[0,1,0]
	v_or_b32_e32 v3, v127, v82
	v_fma_mixlo_f16 v3, v69, v3, 0 op_sel_hi:[0,1,0]
	buffer_store_dword v3, off, s[0:3], s32 offset:312 ; 4-byte Folded Spill
	v_fma_mixlo_f16 v3, v69, v127, 0 op_sel:[0,1,0] op_sel_hi:[0,1,0]
	v_fma_mixlo_f16 v127, v69, v86, 0 op_sel:[0,1,0] op_sel_hi:[0,1,0]
	buffer_store_dword v3, off, s[0:3], s32 offset:308 ; 4-byte Folded Spill
	v_or_b32_e32 v3, v12, v10
	v_fma_mixlo_f16 v10, v69, v18, 0 op_sel:[0,1,0] op_sel_hi:[0,1,0]
	v_fma_mixlo_f16 v12, v69, v8, 0 op_sel:[0,1,0] op_sel_hi:[0,1,0]
	v_fma_mixlo_f16 v31, v69, v3, 0 op_sel_hi:[0,1,0]
	v_or_b32_e32 v3, v8, v6
	v_fma_mixlo_f16 v13, v69, v3, 0 op_sel_hi:[0,1,0]
	v_or_b32_e32 v3, v66, v11
	;; [unrolled: 2-line block ×3, first 2 shown]
	v_fma_mixlo_f16 v64, v69, v21, 0 op_sel:[0,1,0] op_sel_hi:[0,1,0]
	v_fma_mixlo_f16 v86, v69, v36, 0 op_sel:[0,1,0] op_sel_hi:[0,1,0]
	;; [unrolled: 1-line block ×3, first 2 shown]
	v_fma_mixlo_f16 v91, v69, v3, 0 op_sel_hi:[0,1,0]
	v_or_b32_e32 v3, v18, v9
	v_fma_mixlo_f16 v18, v69, v3, 0 op_sel_hi:[0,1,0]
	v_or_b32_e32 v3, v21, v15
	v_fma_mixlo_f16 v15, v69, v49, 0 op_sel:[0,1,0] op_sel_hi:[0,1,0]
	v_fma_mixlo_f16 v21, v69, v3, 0 op_sel_hi:[0,1,0]
	v_or_b32_e32 v3, v49, v29
	v_fma_mixlo_f16 v29, v69, v71, 0 op_sel:[0,1,0] op_sel_hi:[0,1,0]
	;; [unrolled: 3-line block ×4, first 2 shown]
	v_fma_mixlo_f16 v66, v69, v3, 0 op_sel_hi:[0,1,0]
	v_or_b32_e32 v3, v52, v35
	v_fma_mixlo_f16 v52, v69, v2, 0 op_sel_hi:[0,1,0]
	v_or_b32_e32 v2, v96, v51
	;; [unrolled: 2-line block ×3, first 2 shown]
	v_fma_mixlo_f16 v35, v69, v3, 0 op_sel_hi:[0,1,0]
	v_and_b32_e32 v39, 0xffff, v39
	v_fma_mixlo_f16 v51, v69, v2, 0 op_sel_hi:[0,1,0]
	v_or_b32_e32 v2, v97, v67
	v_fma_mixlo_f16 v67, v69, v97, 0 op_sel:[0,1,0] op_sel_hi:[0,1,0]
	v_fma_mixlo_f16 v6, v69, v0, 0 op_sel_hi:[0,1,0]
	v_or_b32_e32 v0, v104, v90
	v_fma_mixlo_f16 v90, v69, v110, 0 op_sel:[0,1,0] op_sel_hi:[0,1,0]
	;; [unrolled: 3-line block ×3, first 2 shown]
	v_fma_mixlo_f16 v65, v69, v65, 0 op_sel:[0,1,0] op_sel_hi:[0,1,0]
	v_fma_mixlo_f16 v104, v69, v104, 0 op_sel:[0,1,0] op_sel_hi:[0,1,0]
	v_fma_mixlo_f16 v96, v69, v2, 0 op_sel_hi:[0,1,0]
	v_or_b32_e32 v2, v26, v32
	v_fma_mixlo_f16 v26, v69, v34, 0 op_sel:[0,1,0] op_sel_hi:[0,1,0]
	v_fma_mixlo_f16 v97, v69, v2, 0 op_sel_hi:[0,1,0]
	v_or_b32_e32 v2, v34, v20
	v_fma_mixlo_f16 v34, v69, v7, 0 op_sel:[0,1,0] op_sel_hi:[0,1,0]
	v_fma_mixlo_f16 v7, v69, v120, 0 op_sel:[0,1,0] op_sel_hi:[0,1,0]
	v_fma_mixlo_f16 v32, v69, v2, 0 op_sel_hi:[0,1,0]
	v_or_b32_e32 v2, v81, v37
	v_fma_mixlo_f16 v37, v69, v38, 0 op_sel:[0,1,0] op_sel_hi:[0,1,0]
	v_fma_mixlo_f16 v38, v69, v0, 0 op_sel_hi:[0,1,0]
	v_or_b32_e32 v0, v89, v78
	v_fma_mixlo_f16 v78, v69, v123, 0 op_sel:[0,1,0] op_sel_hi:[0,1,0]
	v_fma_mixlo_f16 v20, v69, v2, 0 op_sel_hi:[0,1,0]
	buffer_load_dword v2, off, s[0:3], s32 offset:332 ; 4-byte Folded Reload
	v_fma_mixlo_f16 v81, v69, v0, 0 op_sel_hi:[0,1,0]
	v_or_b32_e32 v0, v110, v95
	v_fma_mixlo_f16 v110, v69, v63, 0 op_sel:[0,1,0] op_sel_hi:[0,1,0]
	v_fma_mixlo_f16 v95, v69, v0, 0 op_sel_hi:[0,1,0]
	v_or_b32_e32 v0, v123, v109
	v_fma_mixlo_f16 v89, v69, v0, 0 op_sel_hi:[0,1,0]
	v_or_b32_e32 v0, v74, v72
	v_fma_mixlo_f16 v72, v69, v76, 0 op_sel:[0,1,0] op_sel_hi:[0,1,0]
	v_fma_mixlo_f16 v74, v69, v74, 0 op_sel:[0,1,0] op_sel_hi:[0,1,0]
	v_fma_mixlo_f16 v109, v69, v0, 0 op_sel_hi:[0,1,0]
	v_or_b32_e32 v0, v63, v62
	v_fma_mixlo_f16 v62, v69, v77, 0 op_sel:[0,1,0] op_sel_hi:[0,1,0]
	v_fma_mixlo_f16 v123, v69, v0, 0 op_sel_hi:[0,1,0]
	v_or_b32_e32 v0, v76, v73
	v_fma_mixlo_f16 v76, v69, v47, 0 op_sel:[0,1,0] op_sel_hi:[0,1,0]
	v_fma_mixlo_f16 v73, v69, v0, 0 op_sel_hi:[0,1,0]
	v_or_b32_e32 v0, v77, v75
	v_fma_mixlo_f16 v63, v69, v0, 0 op_sel_hi:[0,1,0]
	v_or_b32_e32 v0, v58, v56
	v_fma_mixlo_f16 v56, v69, v60, 0 op_sel:[0,1,0] op_sel_hi:[0,1,0]
	v_fma_mixlo_f16 v58, v69, v58, 0 op_sel:[0,1,0] op_sel_hi:[0,1,0]
	v_fma_mixlo_f16 v75, v69, v0, 0 op_sel_hi:[0,1,0]
	v_or_b32_e32 v0, v47, v46
	v_fma_mixlo_f16 v46, v69, v61, 0 op_sel:[0,1,0] op_sel_hi:[0,1,0]
	;; [unrolled: 12-line block ×3, first 2 shown]
	v_fma_mixlo_f16 v61, v69, v0, 0 op_sel_hi:[0,1,0]
	v_or_b32_e32 v0, v44, v41
	v_fma_mixlo_f16 v41, v69, v0, 0 op_sel_hi:[0,1,0]
	v_or_b32_e32 v0, v45, v43
	v_fma_mixlo_f16 v43, v69, v114, 0 op_sel:[0,1,0] op_sel_hi:[0,1,0]
	v_fma_mixlo_f16 v45, v69, v103, 0 op_sel:[0,1,0] op_sel_hi:[0,1,0]
	v_fma_mixlo_f16 v119, v69, v0, 0 op_sel_hi:[0,1,0]
	v_or_b32_e32 v0, v114, v112
	v_fma_mixlo_f16 v44, v69, v0, 0 op_sel_hi:[0,1,0]
	buffer_load_dword v0, off, s[0:3], s32 offset:256 ; 4-byte Folded Reload
	s_waitcnt vmcnt(2)
	v_add_nc_u32_e32 v1, v1, v5
	v_cvt_f32_i32_e32 v1, v1
	s_waitcnt vmcnt(1)
	v_mul_f32_e32 v1, v2, v1
	v_cndmask_b32_e32 v8, 0, v1, vcc_lo
	s_waitcnt vmcnt(0)
	v_or_b32_e32 v0, v103, v0
	v_fma_mixlo_f16 v103, v69, v117, 0 op_sel:[0,1,0] op_sel_hi:[0,1,0]
	v_fma_mixlo_f16 v82, v69, v0, 0 op_sel_hi:[0,1,0]
	v_or_b32_e32 v0, v116, v113
	v_fma_mixlo_f16 v113, v69, v116, 0 op_sel:[0,1,0] op_sel_hi:[0,1,0]
	v_fma_mixlo_f16 v114, v69, v0, 0 op_sel_hi:[0,1,0]
	v_or_b32_e32 v0, v117, v83
	v_fma_mixlo_f16 v83, v69, v100, 0 op_sel:[0,1,0] op_sel_hi:[0,1,0]
	v_fma_mixlo_f16 v117, v69, v85, 0 op_sel:[0,1,0] op_sel_hi:[0,1,0]
	v_fma_mixlo_f16 v112, v69, v0, 0 op_sel_hi:[0,1,0]
	buffer_load_dword v0, off, s[0:3], s32 offset:244 ; 4-byte Folded Reload
	s_waitcnt vmcnt(0)
	v_or_b32_e32 v0, v98, v0
	v_fma_mixlo_f16 v98, v69, v126, 0 op_sel:[0,1,0] op_sel_hi:[0,1,0]
	v_fma_mixlo_f16 v50, v69, v0, 0 op_sel_hi:[0,1,0]
	buffer_load_dword v0, off, s[0:3], s32 offset:240 ; 4-byte Folded Reload
	s_waitcnt vmcnt(0)
	v_or_b32_e32 v0, v87, v0
	v_fma_mixlo_f16 v19, v69, v0, 0 op_sel_hi:[0,1,0]
	buffer_load_dword v0, off, s[0:3], s32 offset:248 ; 4-byte Folded Reload
	v_and_b32_e32 v19, 0xffff, v19
	s_waitcnt vmcnt(0)
	v_or_b32_e32 v0, v100, v0
	v_fma_mixlo_f16 v100, v69, v106, 0 op_sel:[0,1,0] op_sel_hi:[0,1,0]
	v_fma_mixlo_f16 v116, v69, v0, 0 op_sel_hi:[0,1,0]
	buffer_load_dword v0, off, s[0:3], s32 offset:252 ; 4-byte Folded Reload
	s_waitcnt vmcnt(0)
	v_or_b32_e32 v0, v120, v0
	v_fma_mixlo_f16 v48, v69, v0, 0 op_sel_hi:[0,1,0]
	v_or_b32_e32 v0, v105, v53
	v_fma_mixlo_f16 v105, v69, v0, 0 op_sel_hi:[0,1,0]
	buffer_load_dword v0, off, s[0:3], s32 offset:228 ; 4-byte Folded Reload
	s_waitcnt vmcnt(0)
	v_or_b32_e32 v0, v106, v0
	v_fma_mixlo_f16 v106, v69, v0, 0 op_sel_hi:[0,1,0]
	buffer_load_dword v0, off, s[0:3], s32 offset:236 ; 4-byte Folded Reload
	s_waitcnt vmcnt(0)
	v_or_b32_e32 v0, v92, v0
	v_fma_mixlo_f16 v92, v69, v92, 0 op_sel:[0,1,0] op_sel_hi:[0,1,0]
	v_fma_mixlo_f16 v94, v69, v0, 0 op_sel_hi:[0,1,0]
	buffer_load_dword v0, off, s[0:3], s32 offset:232 ; 4-byte Folded Reload
	s_waitcnt vmcnt(0)
	v_or_b32_e32 v0, v85, v0
	v_fma_mixlo_f16 v85, v69, v121, 0 op_sel:[0,1,0] op_sel_hi:[0,1,0]
	v_fma_mixlo_f16 v33, v69, v0, 0 op_sel_hi:[0,1,0]
	buffer_load_dword v0, off, s[0:3], s32 offset:328 ; 4-byte Folded Reload
	s_waitcnt vmcnt(0)
	v_add_nc_u32_e32 v0, v0, v5
	v_cmp_lt_i32_e64 s5, v0, v30
	v_or_b32_e32 v0, v126, v122
	v_fma_mixlo_f16 v122, v69, v0, 0 op_sel_hi:[0,1,0]
	v_or_b32_e32 v0, v121, v111
	v_fma_mixlo_f16 v111, v69, v80, 0 op_sel:[0,1,0] op_sel_hi:[0,1,0]
	v_fma_mixlo_f16 v121, v69, v0, 0 op_sel_hi:[0,1,0]
	v_or_b32_e32 v0, v80, v125
	v_fma_mixlo_f16 v87, v69, v0, 0 op_sel_hi:[0,1,0]
	v_or_b32_e32 v0, v23, v70
	v_fma_mixlo_f16 v0, v69, v0, 0 op_sel_hi:[0,1,0]
	buffer_store_dword v0, off, s[0:3], s32 offset:236 ; 4-byte Folded Spill
	v_fma_mixlo_f16 v0, v69, v23, 0 op_sel:[0,1,0] op_sel_hi:[0,1,0]
	buffer_store_dword v0, off, s[0:3], s32 offset:232 ; 4-byte Folded Spill
	s_waitcnt lgkmcnt(0)
	v_add_nc_u32_e32 v0, s20, v84
	buffer_store_dword v0, off, s[0:3], s32 offset:228 ; 4-byte Folded Spill
	ds_read_b128 v[0:3], v4
	s_waitcnt lgkmcnt(0)
	v_lshrrev_b32_e32 v23, 16, v0
	v_and_b32_e32 v0, 0xffff, v0
	;;#ASMSTART
	v_cvt_f32_f16 v101, v0;
	;;#ASMEND
	v_and_b32_e32 v0, 0xffff, v106
	;;#ASMSTART
	v_cvt_f32_f16 v120, v23;
	;;#ASMEND
	;;#ASMSTART
	v_cvt_f32_f16 v124, v0;
	;;#ASMEND
	v_and_b32_e32 v0, 0xffff, v100
	;;#ASMSTART
	v_cvt_f32_f16 v23, v0;
	;;#ASMEND
	v_lshrrev_b32_e32 v0, 16, v1
	v_and_b32_e32 v1, 0xffff, v1
	;;#ASMSTART
	v_cvt_f32_f16 v125, v1;
	;;#ASMEND
	;;#ASMSTART
	v_cvt_f32_f16 v106, v0;
	;;#ASMEND
	v_and_b32_e32 v0, 0xffff, v105
	;;#ASMSTART
	v_cvt_f32_f16 v105, v0;
	;;#ASMEND
	v_and_b32_e32 v0, 0xffff, v115
	;;#ASMSTART
	v_cvt_f32_f16 v126, v0;
	;;#ASMEND
	v_lshrrev_b32_e32 v0, 16, v2
	v_and_b32_e32 v1, 0xffff, v2
	;;#ASMSTART
	v_cvt_f32_f16 v69, v1;
	;;#ASMEND
	;;#ASMSTART
	v_cvt_f32_f16 v80, v0;
	;;#ASMEND
	v_and_b32_e32 v0, 0xffff, v94
	;;#ASMSTART
	v_cvt_f32_f16 v94, v0;
	;;#ASMEND
	v_and_b32_e32 v0, 0xffff, v92
	;;#ASMSTART
	v_cvt_f32_f16 v92, v0;
	;;#ASMEND
	v_lshrrev_b32_e32 v0, 16, v3
	v_and_b32_e32 v1, 0xffff, v3
	;;#ASMSTART
	v_cvt_f32_f16 v115, v1;
	;;#ASMEND
	;;#ASMSTART
	v_cvt_f32_f16 v100, v0;
	;;#ASMEND
	v_and_b32_e32 v0, 0xffff, v33
	;;#ASMSTART
	v_cvt_f32_f16 v33, v0;
	;;#ASMEND
	v_and_b32_e32 v0, 0xffff, v117
	;;#ASMSTART
	v_cvt_f32_f16 v70, v0;
	;;#ASMEND
	ds_read_b128 v[0:3], v4 offset:16
	s_waitcnt lgkmcnt(0)
	v_lshrrev_b32_e32 v53, 16, v0
	v_and_b32_e32 v0, 0xffff, v0
	;;#ASMSTART
	v_cvt_f32_f16 v0, v0;
	;;#ASMEND
	;;#ASMSTART
	v_cvt_f32_f16 v117, v53;
	;;#ASMEND
	;; [unrolled: 3-line block ×4, first 2 shown]
	v_mul_f32_e32 v22, v0, v19
	v_mul_f32_e32 v19, v117, v53
	v_and_b32_e32 v0, 0xffff, v1
	;;#ASMSTART
	v_cvt_f32_f16 v0, v0;
	;;#ASMEND
	v_and_b32_e32 v53, 0xffff, v45
	v_fmac_f32_e32 v22, v101, v124
	v_fmac_f32_e32 v19, v120, v23
	v_lshrrev_b32_e32 v23, 16, v1
	;;#ASMSTART
	v_cvt_f32_f16 v1, v23;
	;;#ASMEND
	v_and_b32_e32 v23, 0xffff, v50
	;;#ASMSTART
	v_cvt_f32_f16 v23, v23;
	;;#ASMEND
	;;#ASMSTART
	v_cvt_f32_f16 v39, v39;
	;;#ASMEND
	v_mul_f32_e32 v50, v0, v23
	v_mul_f32_e32 v39, v1, v39
	v_lshrrev_b32_e32 v1, 16, v2
	v_and_b32_e32 v0, 0xffff, v2
	v_and_b32_e32 v2, 0xffff, v116
	;;#ASMSTART
	v_cvt_f32_f16 v0, v0;
	;;#ASMEND
	;;#ASMSTART
	v_cvt_f32_f16 v1, v1;
	;;#ASMEND
	;; [unrolled: 3-line block ×3, first 2 shown]
	v_and_b32_e32 v23, 0xffff, v83
	v_mul_f32_e32 v83, v0, v2
	;;#ASMSTART
	v_cvt_f32_f16 v23, v23;
	;;#ASMEND
	v_and_b32_e32 v0, 0xffff, v3
	v_and_b32_e32 v2, 0xffff, v48
	;;#ASMSTART
	v_cvt_f32_f16 v0, v0;
	;;#ASMEND
	v_fmac_f32_e32 v83, v69, v94
	v_mul_f32_e32 v69, v1, v23
	v_lshrrev_b32_e32 v1, 16, v3
	v_and_b32_e32 v3, 0xffff, v7
	;;#ASMSTART
	v_cvt_f32_f16 v1, v1;
	;;#ASMEND
	;;#ASMSTART
	v_cvt_f32_f16 v2, v2;
	;;#ASMEND
	;; [unrolled: 3-line block ×3, first 2 shown]
	v_mul_f32_e32 v48, v0, v2
	v_mul_f32_e32 v7, v1, v3
	ds_read_b128 v[0:3], v4 offset:32
	v_fmac_f32_e32 v50, v125, v105
	v_fmac_f32_e32 v39, v106, v126
	;; [unrolled: 1-line block ×4, first 2 shown]
	v_and_b32_e32 v33, 0xffff, v82
	v_fmac_f32_e32 v7, v100, v70
	s_waitcnt lgkmcnt(0)
	v_lshrrev_b32_e32 v23, 16, v0
	v_and_b32_e32 v0, 0xffff, v0
	;;#ASMSTART
	v_cvt_f32_f16 v0, v0;
	;;#ASMEND
	;;#ASMSTART
	v_cvt_f32_f16 v23, v23;
	;;#ASMEND
	;; [unrolled: 3-line block ×4, first 2 shown]
	v_fmac_f32_e32 v22, v0, v33
	v_fmac_f32_e32 v19, v23, v53
	v_lshrrev_b32_e32 v23, 16, v1
	v_and_b32_e32 v0, 0xffff, v1
	;;#ASMSTART
	v_cvt_f32_f16 v0, v0;
	;;#ASMEND
	;;#ASMSTART
	v_cvt_f32_f16 v1, v23;
	;;#ASMEND
	v_and_b32_e32 v23, 0xffff, v44
	v_and_b32_e32 v33, 0xffff, v43
	;;#ASMSTART
	v_cvt_f32_f16 v23, v23;
	;;#ASMEND
	;;#ASMSTART
	v_cvt_f32_f16 v33, v33;
	;;#ASMEND
	v_fmac_f32_e32 v50, v0, v23
	v_fmac_f32_e32 v39, v1, v33
	v_lshrrev_b32_e32 v1, 16, v2
	v_and_b32_e32 v0, 0xffff, v2
	v_and_b32_e32 v2, 0xffff, v114
	;;#ASMSTART
	v_cvt_f32_f16 v0, v0;
	;;#ASMEND
	;;#ASMSTART
	v_cvt_f32_f16 v1, v1;
	;;#ASMEND
	;; [unrolled: 3-line block ×3, first 2 shown]
	v_and_b32_e32 v23, 0xffff, v113
	;;#ASMSTART
	v_cvt_f32_f16 v23, v23;
	;;#ASMEND
	v_fmac_f32_e32 v83, v0, v2
	v_fmac_f32_e32 v69, v1, v23
	v_lshrrev_b32_e32 v1, 16, v3
	v_and_b32_e32 v0, 0xffff, v3
	v_and_b32_e32 v2, 0xffff, v112
	;; [unrolled: 1-line block ×3, first 2 shown]
	;;#ASMSTART
	v_cvt_f32_f16 v0, v0;
	;;#ASMEND
	;;#ASMSTART
	v_cvt_f32_f16 v1, v1;
	;;#ASMEND
	;; [unrolled: 3-line block ×4, first 2 shown]
	v_fmac_f32_e32 v48, v0, v2
	v_fmac_f32_e32 v7, v1, v3
	ds_read_b128 v[0:3], v4 offset:48
	v_and_b32_e32 v33, 0xffff, v61
	v_and_b32_e32 v53, 0xffff, v60
	s_waitcnt lgkmcnt(0)
	v_lshrrev_b32_e32 v23, 16, v0
	v_and_b32_e32 v0, 0xffff, v0
	;;#ASMSTART
	v_cvt_f32_f16 v0, v0;
	;;#ASMEND
	;;#ASMSTART
	v_cvt_f32_f16 v23, v23;
	;;#ASMEND
	;;#ASMSTART
	v_cvt_f32_f16 v33, v33;
	;;#ASMEND
	;;#ASMSTART
	v_cvt_f32_f16 v53, v53;
	;;#ASMEND
	v_fmac_f32_e32 v22, v0, v33
	v_fmac_f32_e32 v19, v23, v53
	v_lshrrev_b32_e32 v23, 16, v1
	v_and_b32_e32 v0, 0xffff, v1
	;;#ASMSTART
	v_cvt_f32_f16 v0, v0;
	;;#ASMEND
	;;#ASMSTART
	v_cvt_f32_f16 v1, v23;
	;;#ASMEND
	v_and_b32_e32 v23, 0xffff, v59
	v_and_b32_e32 v33, 0xffff, v42
	;;#ASMSTART
	v_cvt_f32_f16 v23, v23;
	;;#ASMEND
	;;#ASMSTART
	v_cvt_f32_f16 v33, v33;
	;;#ASMEND
	v_fmac_f32_e32 v50, v0, v23
	v_fmac_f32_e32 v39, v1, v33
	v_lshrrev_b32_e32 v1, 16, v2
	v_and_b32_e32 v0, 0xffff, v2
	v_and_b32_e32 v2, 0xffff, v41
	;;#ASMSTART
	v_cvt_f32_f16 v0, v0;
	;;#ASMEND
	;;#ASMSTART
	v_cvt_f32_f16 v1, v1;
	;;#ASMEND
	;; [unrolled: 3-line block ×3, first 2 shown]
	v_and_b32_e32 v23, 0xffff, v40
	;;#ASMSTART
	v_cvt_f32_f16 v23, v23;
	;;#ASMEND
	v_fmac_f32_e32 v83, v0, v2
	v_fmac_f32_e32 v69, v1, v23
	v_lshrrev_b32_e32 v1, 16, v3
	v_and_b32_e32 v0, 0xffff, v3
	v_and_b32_e32 v2, 0xffff, v119
	;; [unrolled: 1-line block ×3, first 2 shown]
	;;#ASMSTART
	v_cvt_f32_f16 v0, v0;
	;;#ASMEND
	;;#ASMSTART
	v_cvt_f32_f16 v1, v1;
	;;#ASMEND
	;; [unrolled: 3-line block ×4, first 2 shown]
	v_fmac_f32_e32 v48, v0, v2
	v_fmac_f32_e32 v7, v1, v3
	ds_read_b128 v[0:3], v4 offset:64
	v_and_b32_e32 v33, 0xffff, v77
	v_and_b32_e32 v53, 0xffff, v76
	s_waitcnt lgkmcnt(0)
	v_lshrrev_b32_e32 v23, 16, v0
	v_and_b32_e32 v0, 0xffff, v0
	;;#ASMSTART
	v_cvt_f32_f16 v0, v0;
	;;#ASMEND
	;;#ASMSTART
	v_cvt_f32_f16 v23, v23;
	;;#ASMEND
	;; [unrolled: 3-line block ×4, first 2 shown]
	v_fmac_f32_e32 v22, v0, v33
	v_fmac_f32_e32 v19, v23, v53
	v_lshrrev_b32_e32 v23, 16, v1
	v_and_b32_e32 v0, 0xffff, v1
	;;#ASMSTART
	v_cvt_f32_f16 v0, v0;
	;;#ASMEND
	;;#ASMSTART
	v_cvt_f32_f16 v1, v23;
	;;#ASMEND
	v_and_b32_e32 v23, 0xffff, v75
	v_and_b32_e32 v33, 0xffff, v58
	;;#ASMSTART
	v_cvt_f32_f16 v23, v23;
	;;#ASMEND
	;;#ASMSTART
	v_cvt_f32_f16 v33, v33;
	;;#ASMEND
	v_fmac_f32_e32 v50, v0, v23
	v_fmac_f32_e32 v39, v1, v33
	v_lshrrev_b32_e32 v1, 16, v2
	v_and_b32_e32 v0, 0xffff, v2
	v_and_b32_e32 v2, 0xffff, v57
	;;#ASMSTART
	v_cvt_f32_f16 v0, v0;
	;;#ASMEND
	;;#ASMSTART
	v_cvt_f32_f16 v1, v1;
	;;#ASMEND
	;; [unrolled: 3-line block ×3, first 2 shown]
	v_and_b32_e32 v23, 0xffff, v56
	;;#ASMSTART
	v_cvt_f32_f16 v23, v23;
	;;#ASMEND
	v_fmac_f32_e32 v83, v0, v2
	v_fmac_f32_e32 v69, v1, v23
	v_lshrrev_b32_e32 v1, 16, v3
	v_and_b32_e32 v0, 0xffff, v3
	v_and_b32_e32 v2, 0xffff, v47
	v_and_b32_e32 v3, 0xffff, v46
	;;#ASMSTART
	v_cvt_f32_f16 v0, v0;
	;;#ASMEND
	;;#ASMSTART
	v_cvt_f32_f16 v1, v1;
	;;#ASMEND
	;; [unrolled: 3-line block ×4, first 2 shown]
	v_fmac_f32_e32 v48, v0, v2
	v_fmac_f32_e32 v7, v1, v3
	ds_read_b128 v[0:3], v4 offset:80
	v_and_b32_e32 v33, 0xffff, v123
	v_and_b32_e32 v53, 0xffff, v110
	s_waitcnt lgkmcnt(0)
	v_lshrrev_b32_e32 v23, 16, v0
	v_and_b32_e32 v0, 0xffff, v0
	;;#ASMSTART
	v_cvt_f32_f16 v0, v0;
	;;#ASMEND
	;;#ASMSTART
	v_cvt_f32_f16 v23, v23;
	;;#ASMEND
	;; [unrolled: 3-line block ×4, first 2 shown]
	v_fmac_f32_e32 v22, v0, v33
	v_fmac_f32_e32 v19, v23, v53
	v_lshrrev_b32_e32 v23, 16, v1
	v_and_b32_e32 v0, 0xffff, v1
	;;#ASMSTART
	v_cvt_f32_f16 v0, v0;
	;;#ASMEND
	;;#ASMSTART
	v_cvt_f32_f16 v1, v23;
	;;#ASMEND
	v_and_b32_e32 v23, 0xffff, v109
	v_and_b32_e32 v33, 0xffff, v74
	;;#ASMSTART
	v_cvt_f32_f16 v23, v23;
	;;#ASMEND
	;;#ASMSTART
	v_cvt_f32_f16 v33, v33;
	;;#ASMEND
	v_fmac_f32_e32 v50, v0, v23
	v_fmac_f32_e32 v39, v1, v33
	v_lshrrev_b32_e32 v1, 16, v2
	v_and_b32_e32 v0, 0xffff, v2
	v_and_b32_e32 v2, 0xffff, v73
	;;#ASMSTART
	v_cvt_f32_f16 v0, v0;
	;;#ASMEND
	;;#ASMSTART
	v_cvt_f32_f16 v1, v1;
	;;#ASMEND
	;; [unrolled: 3-line block ×3, first 2 shown]
	v_and_b32_e32 v23, 0xffff, v72
	;;#ASMSTART
	v_cvt_f32_f16 v23, v23;
	;;#ASMEND
	v_fmac_f32_e32 v83, v0, v2
	v_fmac_f32_e32 v69, v1, v23
	v_lshrrev_b32_e32 v1, 16, v3
	v_and_b32_e32 v0, 0xffff, v3
	v_and_b32_e32 v2, 0xffff, v63
	;; [unrolled: 1-line block ×3, first 2 shown]
	;;#ASMSTART
	v_cvt_f32_f16 v0, v0;
	;;#ASMEND
	;;#ASMSTART
	v_cvt_f32_f16 v1, v1;
	;;#ASMEND
	;; [unrolled: 3-line block ×4, first 2 shown]
	v_fmac_f32_e32 v48, v0, v2
	v_fmac_f32_e32 v7, v1, v3
	ds_read_b128 v[0:3], v4 offset:96
	v_and_b32_e32 v33, 0xffff, v81
	v_and_b32_e32 v53, 0xffff, v102
	s_waitcnt lgkmcnt(0)
	v_lshrrev_b32_e32 v23, 16, v0
	v_and_b32_e32 v0, 0xffff, v0
	;;#ASMSTART
	v_cvt_f32_f16 v0, v0;
	;;#ASMEND
	;;#ASMSTART
	v_cvt_f32_f16 v23, v23;
	;;#ASMEND
	;; [unrolled: 3-line block ×4, first 2 shown]
	v_fmac_f32_e32 v22, v0, v33
	v_fmac_f32_e32 v19, v23, v53
	v_lshrrev_b32_e32 v23, 16, v1
	v_and_b32_e32 v0, 0xffff, v1
	;;#ASMSTART
	v_cvt_f32_f16 v0, v0;
	;;#ASMEND
	;;#ASMSTART
	v_cvt_f32_f16 v1, v23;
	;;#ASMEND
	v_and_b32_e32 v23, 0xffff, v38
	v_and_b32_e32 v33, 0xffff, v104
	;;#ASMSTART
	v_cvt_f32_f16 v23, v23;
	;;#ASMEND
	;;#ASMSTART
	v_cvt_f32_f16 v33, v33;
	;;#ASMEND
	v_fmac_f32_e32 v50, v0, v23
	v_fmac_f32_e32 v39, v1, v33
	v_lshrrev_b32_e32 v1, 16, v2
	v_and_b32_e32 v0, 0xffff, v2
	v_and_b32_e32 v2, 0xffff, v95
	;;#ASMSTART
	v_cvt_f32_f16 v0, v0;
	;;#ASMEND
	;;#ASMSTART
	v_cvt_f32_f16 v1, v1;
	;;#ASMEND
	;; [unrolled: 3-line block ×3, first 2 shown]
	v_and_b32_e32 v23, 0xffff, v90
	;;#ASMSTART
	v_cvt_f32_f16 v23, v23;
	;;#ASMEND
	v_fmac_f32_e32 v83, v0, v2
	v_fmac_f32_e32 v69, v1, v23
	v_lshrrev_b32_e32 v1, 16, v3
	v_and_b32_e32 v0, 0xffff, v3
	v_and_b32_e32 v2, 0xffff, v89
	;; [unrolled: 1-line block ×3, first 2 shown]
	;;#ASMSTART
	v_cvt_f32_f16 v0, v0;
	;;#ASMEND
	;;#ASMSTART
	v_cvt_f32_f16 v1, v1;
	;;#ASMEND
	;; [unrolled: 3-line block ×4, first 2 shown]
	v_fmac_f32_e32 v48, v0, v2
	v_fmac_f32_e32 v7, v1, v3
	ds_read_b128 v[0:3], v4 offset:112
	v_and_b32_e32 v33, 0xffff, v71
	s_waitcnt lgkmcnt(0)
	v_lshrrev_b32_e32 v23, 16, v0
	v_and_b32_e32 v0, 0xffff, v0
	;;#ASMSTART
	v_cvt_f32_f16 v0, v0;
	;;#ASMEND
	;;#ASMSTART
	v_cvt_f32_f16 v23, v23;
	;;#ASMEND
	;; [unrolled: 3-line block ×4, first 2 shown]
	v_fmac_f32_e32 v22, v0, v33
	v_fmac_f32_e32 v19, v23, v28
	v_lshrrev_b32_e32 v23, 16, v1
	v_and_b32_e32 v0, 0xffff, v1
	;;#ASMSTART
	v_cvt_f32_f16 v0, v0;
	;;#ASMEND
	;;#ASMSTART
	v_cvt_f32_f16 v1, v23;
	;;#ASMEND
	v_and_b32_e32 v23, 0xffff, v27
	;;#ASMSTART
	v_cvt_f32_f16 v23, v23;
	;;#ASMEND
	;;#ASMSTART
	v_cvt_f32_f16 v25, v25;
	;;#ASMEND
	v_fmac_f32_e32 v50, v0, v23
	v_fmac_f32_e32 v39, v1, v25
	v_lshrrev_b32_e32 v1, 16, v2
	v_and_b32_e32 v0, 0xffff, v2
	v_and_b32_e32 v2, 0xffff, v99
	;;#ASMSTART
	v_cvt_f32_f16 v0, v0;
	;;#ASMEND
	;;#ASMSTART
	v_cvt_f32_f16 v1, v1;
	;;#ASMEND
	;; [unrolled: 3-line block ×3, first 2 shown]
	v_and_b32_e32 v23, 0xffff, v34
	;;#ASMSTART
	v_cvt_f32_f16 v23, v23;
	;;#ASMEND
	v_fmac_f32_e32 v83, v0, v2
	v_fmac_f32_e32 v69, v1, v23
	v_lshrrev_b32_e32 v1, 16, v3
	v_and_b32_e32 v0, 0xffff, v3
	v_and_b32_e32 v2, 0xffff, v6
	;; [unrolled: 1-line block ×3, first 2 shown]
	;;#ASMSTART
	v_cvt_f32_f16 v0, v0;
	;;#ASMEND
	;;#ASMSTART
	v_cvt_f32_f16 v1, v1;
	;;#ASMEND
	;; [unrolled: 3-line block ×4, first 2 shown]
	v_fmac_f32_e32 v48, v0, v2
	v_fmac_f32_e32 v7, v1, v3
	ds_read_b128 v[0:3], v4 offset:128
	v_and_b32_e32 v23, 0xffff, v97
	s_waitcnt lgkmcnt(0)
	v_lshrrev_b32_e32 v6, 16, v0
	v_and_b32_e32 v0, 0xffff, v0
	;;#ASMSTART
	v_cvt_f32_f16 v0, v0;
	;;#ASMEND
	;;#ASMSTART
	v_cvt_f32_f16 v6, v6;
	;;#ASMEND
	;; [unrolled: 3-line block ×4, first 2 shown]
	v_fmac_f32_e32 v22, v0, v23
	v_fmac_f32_e32 v19, v6, v24
	v_lshrrev_b32_e32 v6, 16, v1
	v_and_b32_e32 v0, 0xffff, v1
	;;#ASMSTART
	v_cvt_f32_f16 v0, v0;
	;;#ASMEND
	;;#ASMSTART
	v_cvt_f32_f16 v1, v6;
	;;#ASMEND
	v_and_b32_e32 v6, 0xffff, v96
	v_and_b32_e32 v23, 0xffff, v65
	;;#ASMSTART
	v_cvt_f32_f16 v6, v6;
	;;#ASMEND
	;;#ASMSTART
	v_cvt_f32_f16 v23, v23;
	;;#ASMEND
	v_fmac_f32_e32 v50, v0, v6
	v_fmac_f32_e32 v39, v1, v23
	v_lshrrev_b32_e32 v1, 16, v2
	v_and_b32_e32 v0, 0xffff, v2
	v_and_b32_e32 v2, 0xffff, v32
	;;#ASMSTART
	v_cvt_f32_f16 v0, v0;
	;;#ASMEND
	;;#ASMSTART
	v_cvt_f32_f16 v1, v1;
	;;#ASMEND
	;;#ASMSTART
	v_cvt_f32_f16 v2, v2;
	;;#ASMEND
	v_and_b32_e32 v6, 0xffff, v26
	;;#ASMSTART
	v_cvt_f32_f16 v6, v6;
	;;#ASMEND
	v_fmac_f32_e32 v83, v0, v2
	v_fmac_f32_e32 v69, v1, v6
	v_lshrrev_b32_e32 v1, 16, v3
	v_and_b32_e32 v0, 0xffff, v3
	v_and_b32_e32 v2, 0xffff, v20
	;; [unrolled: 1-line block ×3, first 2 shown]
	;;#ASMSTART
	v_cvt_f32_f16 v0, v0;
	;;#ASMEND
	;;#ASMSTART
	v_cvt_f32_f16 v1, v1;
	;;#ASMEND
	;; [unrolled: 3-line block ×4, first 2 shown]
	v_fmac_f32_e32 v48, v0, v2
	v_fmac_f32_e32 v7, v1, v3
	ds_read_b128 v[0:3], v4 offset:144
	v_and_b32_e32 v14, 0xffff, v52
	v_and_b32_e32 v20, 0xffff, v86
	s_waitcnt lgkmcnt(0)
	v_lshrrev_b32_e32 v6, 16, v0
	v_and_b32_e32 v0, 0xffff, v0
	;;#ASMSTART
	v_cvt_f32_f16 v0, v0;
	;;#ASMEND
	;;#ASMSTART
	v_cvt_f32_f16 v6, v6;
	;;#ASMEND
	;; [unrolled: 3-line block ×4, first 2 shown]
	v_fmac_f32_e32 v22, v0, v14
	v_fmac_f32_e32 v19, v6, v20
	v_lshrrev_b32_e32 v6, 16, v1
	v_and_b32_e32 v0, 0xffff, v1
	;;#ASMSTART
	v_cvt_f32_f16 v0, v0;
	;;#ASMEND
	;;#ASMSTART
	v_cvt_f32_f16 v1, v6;
	;;#ASMEND
	v_and_b32_e32 v6, 0xffff, v35
	v_and_b32_e32 v14, 0xffff, v55
	;;#ASMSTART
	v_cvt_f32_f16 v6, v6;
	;;#ASMEND
	;;#ASMSTART
	v_cvt_f32_f16 v14, v14;
	;;#ASMEND
	v_fmac_f32_e32 v50, v0, v6
	v_fmac_f32_e32 v39, v1, v14
	v_lshrrev_b32_e32 v1, 16, v2
	v_and_b32_e32 v0, 0xffff, v2
	v_and_b32_e32 v2, 0xffff, v51
	;;#ASMSTART
	v_cvt_f32_f16 v0, v0;
	;;#ASMEND
	;;#ASMSTART
	v_cvt_f32_f16 v1, v1;
	;;#ASMEND
	;; [unrolled: 3-line block ×3, first 2 shown]
	v_and_b32_e32 v6, 0xffff, v36
	;;#ASMSTART
	v_cvt_f32_f16 v6, v6;
	;;#ASMEND
	v_fmac_f32_e32 v83, v0, v2
	v_fmac_f32_e32 v69, v1, v6
	v_lshrrev_b32_e32 v1, 16, v3
	v_and_b32_e32 v0, 0xffff, v3
	v_and_b32_e32 v2, 0xffff, v9
	;; [unrolled: 1-line block ×3, first 2 shown]
	;;#ASMSTART
	v_cvt_f32_f16 v0, v0;
	;;#ASMEND
	;;#ASMSTART
	v_cvt_f32_f16 v1, v1;
	;;#ASMEND
	;; [unrolled: 3-line block ×4, first 2 shown]
	v_fmac_f32_e32 v48, v0, v2
	v_fmac_f32_e32 v7, v1, v3
	ds_read_b128 v[0:3], v4 offset:160
	v_and_b32_e32 v9, 0xffff, v21
	v_and_b32_e32 v14, 0xffff, v64
	s_waitcnt lgkmcnt(0)
	v_lshrrev_b32_e32 v6, 16, v0
	v_and_b32_e32 v0, 0xffff, v0
	;;#ASMSTART
	v_cvt_f32_f16 v0, v0;
	;;#ASMEND
	;;#ASMSTART
	v_cvt_f32_f16 v6, v6;
	;;#ASMEND
	;; [unrolled: 3-line block ×4, first 2 shown]
	v_fmac_f32_e32 v22, v0, v9
	v_fmac_f32_e32 v19, v6, v14
	v_lshrrev_b32_e32 v6, 16, v1
	v_and_b32_e32 v0, 0xffff, v1
	;;#ASMSTART
	v_cvt_f32_f16 v0, v0;
	;;#ASMEND
	;;#ASMSTART
	v_cvt_f32_f16 v1, v6;
	;;#ASMEND
	v_and_b32_e32 v6, 0xffff, v18
	v_and_b32_e32 v9, 0xffff, v10
	;;#ASMSTART
	v_cvt_f32_f16 v6, v6;
	;;#ASMEND
	;;#ASMSTART
	v_cvt_f32_f16 v9, v9;
	;;#ASMEND
	v_fmac_f32_e32 v50, v0, v6
	v_fmac_f32_e32 v39, v1, v9
	v_lshrrev_b32_e32 v1, 16, v2
	v_and_b32_e32 v0, 0xffff, v2
	v_and_b32_e32 v2, 0xffff, v49
	;;#ASMSTART
	v_cvt_f32_f16 v0, v0;
	;;#ASMEND
	;;#ASMSTART
	v_cvt_f32_f16 v1, v1;
	;;#ASMEND
	;; [unrolled: 3-line block ×3, first 2 shown]
	v_and_b32_e32 v6, 0xffff, v15
	;;#ASMSTART
	v_cvt_f32_f16 v6, v6;
	;;#ASMEND
	v_fmac_f32_e32 v83, v0, v2
	v_fmac_f32_e32 v69, v1, v6
	v_lshrrev_b32_e32 v1, 16, v3
	v_and_b32_e32 v0, 0xffff, v3
	v_and_b32_e32 v2, 0xffff, v66
	;; [unrolled: 1-line block ×3, first 2 shown]
	;;#ASMSTART
	v_cvt_f32_f16 v0, v0;
	;;#ASMEND
	;;#ASMSTART
	v_cvt_f32_f16 v1, v1;
	;;#ASMEND
	;; [unrolled: 3-line block ×4, first 2 shown]
	v_fmac_f32_e32 v48, v0, v2
	v_fmac_f32_e32 v7, v1, v3
	ds_read_b128 v[0:3], v4 offset:176
	v_and_b32_e32 v9, 0xffff, v13
	v_and_b32_e32 v10, 0xffff, v12
	s_waitcnt lgkmcnt(0)
	v_lshrrev_b32_e32 v6, 16, v0
	v_and_b32_e32 v0, 0xffff, v0
	;;#ASMSTART
	v_cvt_f32_f16 v0, v0;
	;;#ASMEND
	;;#ASMSTART
	v_cvt_f32_f16 v6, v6;
	;;#ASMEND
	;; [unrolled: 3-line block ×4, first 2 shown]
	v_fmac_f32_e32 v22, v0, v9
	v_fmac_f32_e32 v19, v6, v10
	v_lshrrev_b32_e32 v6, 16, v1
	v_and_b32_e32 v0, 0xffff, v1
	;;#ASMSTART
	v_cvt_f32_f16 v0, v0;
	;;#ASMEND
	;;#ASMSTART
	v_cvt_f32_f16 v1, v6;
	;;#ASMEND
	v_and_b32_e32 v6, 0xffff, v31
	v_and_b32_e32 v9, 0xffff, v79
	;;#ASMSTART
	v_cvt_f32_f16 v6, v6;
	;;#ASMEND
	;;#ASMSTART
	v_cvt_f32_f16 v9, v9;
	;;#ASMEND
	v_fmac_f32_e32 v50, v0, v6
	v_fmac_f32_e32 v39, v1, v9
	v_lshrrev_b32_e32 v1, 16, v2
	v_and_b32_e32 v0, 0xffff, v2
	;;#ASMSTART
	v_cvt_f32_f16 v0, v0;
	;;#ASMEND
	;;#ASMSTART
	v_cvt_f32_f16 v1, v1;
	;;#ASMEND
	v_and_b32_e32 v2, 0xffff, v11
	v_and_b32_e32 v6, 0xffff, v88
	;;#ASMSTART
	v_cvt_f32_f16 v2, v2;
	;;#ASMEND
	;;#ASMSTART
	v_cvt_f32_f16 v6, v6;
	;;#ASMEND
	;; [unrolled: 18-line block ×3, first 2 shown]
	v_fmac_f32_e32 v48, v6, v0
	v_fmac_f32_e32 v7, v2, v1
	ds_read_b128 v[0:3], v4 offset:192
	v_and_b32_e32 v9, 0xffff, v93
	v_and_b32_e32 v10, 0xffff, v107
	s_waitcnt lgkmcnt(0)
	v_lshrrev_b32_e32 v6, 16, v0
	v_and_b32_e32 v0, 0xffff, v0
	;;#ASMSTART
	v_cvt_f32_f16 v0, v0;
	;;#ASMEND
	;;#ASMSTART
	v_cvt_f32_f16 v6, v6;
	;;#ASMEND
	;; [unrolled: 3-line block ×4, first 2 shown]
	v_fmac_f32_e32 v22, v0, v9
	v_fmac_f32_e32 v19, v6, v10
	v_lshrrev_b32_e32 v6, 16, v1
	v_and_b32_e32 v0, 0xffff, v1
	;;#ASMSTART
	v_cvt_f32_f16 v0, v0;
	;;#ASMEND
	;;#ASMSTART
	v_cvt_f32_f16 v1, v6;
	;;#ASMEND
	buffer_load_dword v6, off, s[0:3], s32 offset:324 ; 4-byte Folded Reload
	s_waitcnt vmcnt(0)
	v_and_b32_e32 v6, 0xffff, v6
	;;#ASMSTART
	v_cvt_f32_f16 v6, v6;
	;;#ASMEND
	buffer_load_dword v9, off, s[0:3], s32 offset:320 ; 4-byte Folded Reload
	v_fmac_f32_e32 v50, v0, v6
	v_and_b32_e32 v0, 0xffff, v2
	s_waitcnt vmcnt(0)
	v_and_b32_e32 v9, 0xffff, v9
	;;#ASMSTART
	v_cvt_f32_f16 v9, v9;
	;;#ASMEND
	v_fmac_f32_e32 v39, v1, v9
	v_lshrrev_b32_e32 v1, 16, v2
	v_and_b32_e32 v2, 0xffff, v108
	;;#ASMSTART
	v_cvt_f32_f16 v0, v0;
	;;#ASMEND
	;;#ASMSTART
	v_cvt_f32_f16 v1, v1;
	;;#ASMEND
	;; [unrolled: 3-line block ×3, first 2 shown]
	buffer_load_dword v6, off, s[0:3], s32 offset:316 ; 4-byte Folded Reload
	v_fmac_f32_e32 v83, v0, v2
	v_and_b32_e32 v0, 0xffff, v3
	s_waitcnt vmcnt(0)
	v_and_b32_e32 v6, 0xffff, v6
	;;#ASMSTART
	v_cvt_f32_f16 v6, v6;
	;;#ASMEND
	v_fmac_f32_e32 v69, v1, v6
	v_lshrrev_b32_e32 v1, 16, v3
	;;#ASMSTART
	v_cvt_f32_f16 v0, v0;
	;;#ASMEND
	;;#ASMSTART
	v_cvt_f32_f16 v1, v1;
	;;#ASMEND
	buffer_load_dword v2, off, s[0:3], s32 offset:312 ; 4-byte Folded Reload
	s_waitcnt vmcnt(0)
	v_and_b32_e32 v2, 0xffff, v2
	;;#ASMSTART
	v_cvt_f32_f16 v2, v2;
	;;#ASMEND
	buffer_load_dword v3, off, s[0:3], s32 offset:308 ; 4-byte Folded Reload
	v_fmac_f32_e32 v48, v0, v2
	s_waitcnt vmcnt(0)
	v_and_b32_e32 v3, 0xffff, v3
	;;#ASMSTART
	v_cvt_f32_f16 v3, v3;
	;;#ASMEND
	v_fmac_f32_e32 v7, v1, v3
	ds_read_b128 v[0:3], v4 offset:208
	s_waitcnt lgkmcnt(0)
	v_lshrrev_b32_e32 v6, 16, v0
	v_and_b32_e32 v0, 0xffff, v0
	;;#ASMSTART
	v_cvt_f32_f16 v0, v0;
	;;#ASMEND
	;;#ASMSTART
	v_cvt_f32_f16 v6, v6;
	;;#ASMEND
	buffer_load_dword v9, off, s[0:3], s32 offset:304 ; 4-byte Folded Reload
	s_waitcnt vmcnt(0)
	v_and_b32_e32 v9, 0xffff, v9
	;;#ASMSTART
	v_cvt_f32_f16 v9, v9;
	;;#ASMEND
	buffer_load_dword v10, off, s[0:3], s32 offset:300 ; 4-byte Folded Reload
	v_fmac_f32_e32 v22, v0, v9
	v_and_b32_e32 v0, 0xffff, v1
	s_waitcnt vmcnt(0)
	v_and_b32_e32 v10, 0xffff, v10
	;;#ASMSTART
	v_cvt_f32_f16 v10, v10;
	;;#ASMEND
	v_fmac_f32_e32 v19, v6, v10
	v_lshrrev_b32_e32 v6, 16, v1
	;;#ASMSTART
	v_cvt_f32_f16 v0, v0;
	;;#ASMEND
	;;#ASMSTART
	v_cvt_f32_f16 v1, v6;
	;;#ASMEND
	buffer_load_dword v6, off, s[0:3], s32 offset:296 ; 4-byte Folded Reload
	v_and_b32_e32 v10, 0xffff, v85
	s_waitcnt vmcnt(0)
	v_and_b32_e32 v6, 0xffff, v6
	;;#ASMSTART
	v_cvt_f32_f16 v6, v6;
	;;#ASMEND
	buffer_load_dword v9, off, s[0:3], s32 offset:292 ; 4-byte Folded Reload
	v_fmac_f32_e32 v50, v0, v6
	v_and_b32_e32 v0, 0xffff, v2
	s_waitcnt vmcnt(0)
	v_and_b32_e32 v9, 0xffff, v9
	;;#ASMSTART
	v_cvt_f32_f16 v9, v9;
	;;#ASMEND
	v_fmac_f32_e32 v39, v1, v9
	v_lshrrev_b32_e32 v1, 16, v2
	;;#ASMSTART
	v_cvt_f32_f16 v0, v0;
	;;#ASMEND
	;;#ASMSTART
	v_cvt_f32_f16 v1, v1;
	;;#ASMEND
	buffer_load_dword v2, off, s[0:3], s32 offset:288 ; 4-byte Folded Reload
	v_and_b32_e32 v9, 0xffff, v121
	s_waitcnt vmcnt(0)
	v_and_b32_e32 v2, 0xffff, v2
	;;#ASMSTART
	v_cvt_f32_f16 v2, v2;
	;;#ASMEND
	buffer_load_dword v6, off, s[0:3], s32 offset:284 ; 4-byte Folded Reload
	v_fmac_f32_e32 v83, v0, v2
	v_and_b32_e32 v0, 0xffff, v3
	s_waitcnt vmcnt(0)
	v_and_b32_e32 v6, 0xffff, v6
	;;#ASMSTART
	v_cvt_f32_f16 v6, v6;
	;;#ASMEND
	v_fmac_f32_e32 v69, v1, v6
	v_lshrrev_b32_e32 v1, 16, v3
	;;#ASMSTART
	v_cvt_f32_f16 v0, v0;
	;;#ASMEND
	;;#ASMSTART
	v_cvt_f32_f16 v1, v1;
	;;#ASMEND
	buffer_load_dword v2, off, s[0:3], s32 offset:280 ; 4-byte Folded Reload
	s_waitcnt vmcnt(0)
	v_and_b32_e32 v2, 0xffff, v2
	;;#ASMSTART
	v_cvt_f32_f16 v2, v2;
	;;#ASMEND
	buffer_load_dword v3, off, s[0:3], s32 offset:276 ; 4-byte Folded Reload
	v_fmac_f32_e32 v48, v0, v2
	s_waitcnt vmcnt(0)
	v_and_b32_e32 v3, 0xffff, v3
	;;#ASMSTART
	v_cvt_f32_f16 v3, v3;
	;;#ASMEND
	v_fmac_f32_e32 v7, v1, v3
	ds_read_b128 v[0:3], v4 offset:224
	s_waitcnt lgkmcnt(0)
	v_lshrrev_b32_e32 v6, 16, v0
	v_and_b32_e32 v0, 0xffff, v0
	;;#ASMSTART
	v_cvt_f32_f16 v0, v0;
	;;#ASMEND
	;;#ASMSTART
	v_cvt_f32_f16 v6, v6;
	;;#ASMEND
	;; [unrolled: 3-line block ×4, first 2 shown]
	v_fmac_f32_e32 v22, v0, v9
	v_fmac_f32_e32 v19, v6, v10
	v_lshrrev_b32_e32 v6, 16, v1
	v_and_b32_e32 v0, 0xffff, v1
	;;#ASMSTART
	v_cvt_f32_f16 v0, v0;
	;;#ASMEND
	;;#ASMSTART
	v_cvt_f32_f16 v1, v6;
	;;#ASMEND
	v_and_b32_e32 v6, 0xffff, v122
	v_and_b32_e32 v9, 0xffff, v98
	;;#ASMSTART
	v_cvt_f32_f16 v6, v6;
	;;#ASMEND
	;;#ASMSTART
	v_cvt_f32_f16 v9, v9;
	;;#ASMEND
	v_fmac_f32_e32 v50, v0, v6
	v_fmac_f32_e32 v39, v1, v9
	v_lshrrev_b32_e32 v1, 16, v2
	v_and_b32_e32 v0, 0xffff, v2
	;;#ASMSTART
	v_cvt_f32_f16 v0, v0;
	;;#ASMEND
	;;#ASMSTART
	v_cvt_f32_f16 v1, v1;
	;;#ASMEND
	v_and_b32_e32 v2, 0xffff, v87
	v_and_b32_e32 v6, 0xffff, v111
	;;#ASMSTART
	v_cvt_f32_f16 v2, v2;
	;;#ASMEND
	;;#ASMSTART
	v_cvt_f32_f16 v6, v6;
	;;#ASMEND
	v_fmac_f32_e32 v83, v0, v2
	v_fmac_f32_e32 v69, v1, v6
	v_lshrrev_b32_e32 v1, 16, v3
	v_and_b32_e32 v0, 0xffff, v3
	;;#ASMSTART
	v_cvt_f32_f16 v0, v0;
	;;#ASMEND
	;;#ASMSTART
	v_cvt_f32_f16 v1, v1;
	;;#ASMEND
	buffer_load_dword v2, off, s[0:3], s32 offset:236 ; 4-byte Folded Reload
	s_waitcnt vmcnt(0)
	v_and_b32_e32 v2, 0xffff, v2
	;;#ASMSTART
	v_cvt_f32_f16 v2, v2;
	;;#ASMEND
	buffer_load_dword v3, off, s[0:3], s32 offset:232 ; 4-byte Folded Reload
	v_fmac_f32_e32 v48, v0, v2
	v_add_f32_e32 v0, v22, v19
	v_add_f32_e32 v0, v0, v50
	;; [unrolled: 1-line block ×6, first 2 shown]
	s_waitcnt vmcnt(0)
	v_and_b32_e32 v3, 0xffff, v3
	;;#ASMSTART
	v_cvt_f32_f16 v3, v3;
	;;#ASMEND
	v_fmac_f32_e32 v7, v1, v3
	s_clause 0x1
	buffer_load_dword v1, off, s[0:3], s32 offset:344
	buffer_load_dword v14, off, s[0:3], s32 offset:272
	v_add_f32_e32 v0, v7, v0
	s_waitcnt vmcnt(1)
	v_fmac_f32_e32 v8, v1, v0
	buffer_load_dword v1, off, s[0:3], s32 offset:228 ; 4-byte Folded Reload
	v_cndmask_b32_e64 v0, 0, v8, s5
	s_waitcnt vmcnt(0)
	ds_write_b32 v1, v0
	v_max_f32_e32 v0, v14, v14
	v_max_f32_e32 v0, v0, v8
	v_cndmask_b32_e64 v14, v14, v0, s5
.LBB281_14:                             ;   in Loop: Header=BB281_15 Depth=1
	s_or_b32 exec_lo, exec_lo, s6
	buffer_load_dword v0, off, s[0:3], s32 offset:200 ; 4-byte Folded Reload
	v_add_nc_u32_e32 v68, 4, v68
	v_add_co_u32 v16, s6, v16, 16
	v_add_nc_u32_e32 v5, 0x80, v5
	v_add_nc_u32_e32 v84, 0x200, v84
	v_add_co_ci_u32_e64 v17, null, 0, v17, s6
	s_waitcnt vmcnt(0)
	v_cmp_ge_i32_e64 s5, v68, v0
	s_or_b32 s19, s5, s19
	s_andn2_b32 exec_lo, exec_lo, s19
	s_cbranch_execz .LBB281_975
.LBB281_15:                             ; =>This Inner Loop Header: Depth=1
	s_clause 0x1
	buffer_load_dword v0, off, s[0:3], s32 offset:220
	buffer_load_dword v6, off, s[0:3], s32 offset:204
	s_waitcnt vmcnt(1)
	v_mul_hi_u32 v0, v5, v0
	s_waitcnt vmcnt(0)
	v_mul_lo_u32 v1, v0, v6
	v_add_nc_u32_e32 v2, 1, v0
	v_sub_nc_u32_e32 v1, v5, v1
	v_sub_nc_u32_e32 v3, v1, v6
	v_cmp_ge_u32_e64 s5, v1, v6
	v_cndmask_b32_e64 v1, v1, v3, s5
	v_cndmask_b32_e64 v0, v0, v2, s5
	v_cmp_ge_u32_e64 s5, v1, v6
	buffer_load_dword v1, off, s[0:3], s32 offset:216 ; 4-byte Folded Reload
	v_add_nc_u32_e32 v2, 1, v0
	v_cndmask_b32_e64 v0, v0, v2, s5
	s_waitcnt vmcnt(0)
	v_xor_b32_e32 v0, v0, v1
	v_sub_nc_u32_e32 v0, v0, v1
	s_clause 0x3
	buffer_load_dword v1, off, s[0:3], s32 offset:208
	buffer_load_dword v2, off, s[0:3], s32 offset:212
	;; [unrolled: 1-line block ×4, first 2 shown]
	s_waitcnt vmcnt(3)
	v_add_nc_u32_e32 v1, v0, v1
	s_waitcnt vmcnt(2)
	v_sub_nc_u32_e32 v2, 0, v1
	v_max_i32_e32 v2, v1, v2
	v_ashrrev_i32_e32 v1, 31, v1
	s_waitcnt vmcnt(1)
	v_mul_hi_u32 v3, v2, v3
	s_waitcnt vmcnt(0)
	v_mul_lo_u32 v3, v3, v6
	v_sub_nc_u32_e32 v2, v2, v3
	v_sub_nc_u32_e32 v3, v2, v6
	v_cmp_ge_u32_e64 s5, v2, v6
	v_cndmask_b32_e64 v2, v2, v3, s5
	v_sub_nc_u32_e32 v3, v2, v6
	v_cmp_ge_u32_e64 s5, v2, v6
	v_cndmask_b32_e64 v2, v2, v3, s5
	v_xor_b32_e32 v2, v2, v1
	v_sub_nc_u32_e32 v1, v2, v1
	v_cmp_ne_u32_e64 s5, 0, v1
	buffer_load_dword v1, off, s[0:3], s32 offset:224 ; 4-byte Folded Reload
	s_waitcnt vmcnt(0)
	v_cmp_le_i32_e64 s6, v0, v1
	s_and_b32 s5, s5, s6
	s_and_saveexec_b32 s6, s5
	s_xor_b32 s5, exec_lo, s6
	s_cbranch_execz .LBB281_17
; %bb.16:                               ;   in Loop: Header=BB281_15 Depth=1
	s_waitcnt lgkmcnt(0)
	v_add_nc_u32_e32 v0, s18, v84
	v_mov_b32_e32 v1, 0xff7fffff
	ds_write_b32 v0, v1
.LBB281_17:                             ;   in Loop: Header=BB281_15 Depth=1
	s_andn2_saveexec_b32 s6, s5
	s_cbranch_execz .LBB281_14
; %bb.18:                               ;   in Loop: Header=BB281_15 Depth=1
	buffer_store_dword v14, off, s[0:3], s32 offset:272 ; 4-byte Folded Spill
	flat_load_dword v0, v[16:17]
	s_clause 0x2
	buffer_load_dword v1, off, s[0:3], s32 offset:260
	buffer_load_dword v2, off, s[0:3], s32 offset:348
	;; [unrolled: 1-line block ×3, first 2 shown]
	v_mov_b32_e32 v106, 0
	s_waitcnt vmcnt(0) lgkmcnt(0)
	v_mad_i64_i32 v[24:25], null, v0, v1, v[2:3]
	flat_load_dwordx2 v[27:28], v[24:25]
	s_clause 0x1
	buffer_load_dword v0, off, s[0:3], s32 offset:336
	buffer_load_dword v1, off, s[0:3], s32 offset:340
	s_waitcnt vmcnt(2) lgkmcnt(0)
	v_cmp_ne_u16_sdwa s5, v27, v4 src0_sel:BYTE_0 src1_sel:DWORD
	s_waitcnt vmcnt(0)
	flat_load_dword v69, v[0:1]
	v_mov_b32_e32 v0, 0
	buffer_store_dword v0, off, s[0:3], s32 offset:228 ; 4-byte Folded Spill
	s_and_saveexec_b32 s20, s5
	s_cbranch_execz .LBB281_26
; %bb.19:                               ;   in Loop: Header=BB281_15 Depth=1
	v_cmp_ne_u16_sdwa s5, v27, v54 src0_sel:BYTE_0 src1_sel:DWORD
	v_mov_b32_e32 v0, 0x8000
	buffer_store_dword v0, off, s[0:3], s32 offset:228 ; 4-byte Folded Spill
	s_and_saveexec_b32 s21, s5
	s_cbranch_execz .LBB281_25
; %bb.20:                               ;   in Loop: Header=BB281_15 Depth=1
	v_and_b32_e32 v2, 0x7f, v27
	v_mov_b32_e32 v0, 0x7c01
	s_mov_b32 s22, exec_lo
	buffer_store_dword v0, off, s[0:3], s32 offset:228 ; 4-byte Folded Spill
	v_cmpx_ne_u32_e32 0x7f, v2
	s_cbranch_execz .LBB281_24
; %bb.21:                               ;   in Loop: Header=BB281_15 Depth=1
	v_and_b32_e32 v0, 7, v27
	v_lshrrev_b32_e32 v1, 3, v2
	s_mov_b32 s23, exec_lo
	v_cmpx_gt_u32_e32 8, v2
; %bb.22:                               ;   in Loop: Header=BB281_15 Depth=1
	v_ffbh_u32_e32 v0, v0
	v_min_u32_e32 v2, 32, v0
	v_subrev_nc_u32_e32 v0, 28, v2
	v_lshlrev_b64 v[0:1], v0, v[27:28]
	v_sub_nc_u32_e32 v1, 29, v2
	v_and_b32_e32 v0, 7, v0
; %bb.23:                               ;   in Loop: Header=BB281_15 Depth=1
	s_or_b32 exec_lo, exec_lo, s23
	v_lshlrev_b32_e32 v2, 8, v27
	v_lshl_add_u32 v1, v1, 10, 0x2000
	v_lshlrev_b32_e32 v0, 7, v0
	v_and_b32_e32 v2, 0x8000, v2
	v_and_b32_e32 v1, 0xfc00, v1
	v_or3_b32 v0, v2, v1, v0
	buffer_store_dword v0, off, s[0:3], s32 offset:228 ; 4-byte Folded Spill
.LBB281_24:                             ;   in Loop: Header=BB281_15 Depth=1
	s_or_b32 exec_lo, exec_lo, s22
.LBB281_25:                             ;   in Loop: Header=BB281_15 Depth=1
	s_or_b32 exec_lo, exec_lo, s21
.LBB281_26:                             ;   in Loop: Header=BB281_15 Depth=1
	s_or_b32 exec_lo, exec_lo, s20
	v_lshrrev_b16 v3, 8, v27
	s_mov_b32 s20, exec_lo
	v_cmpx_ne_u16_e32 0, v3
	s_cbranch_execz .LBB281_34
; %bb.27:                               ;   in Loop: Header=BB281_15 Depth=1
	v_bfrev_b32_e32 v106, 1
	s_mov_b32 s21, exec_lo
	v_cmpx_ne_u16_e32 0x80, v3
	s_cbranch_execz .LBB281_33
; %bb.28:                               ;   in Loop: Header=BB281_15 Depth=1
	v_mov_b32_e32 v0, 0x7f
	v_mov_b32_e32 v106, 0x7c010000
	s_mov_b32 s22, exec_lo
	v_and_b32_sdwa v2, v3, v0 dst_sel:DWORD dst_unused:UNUSED_PAD src0_sel:WORD_0 src1_sel:DWORD
	v_cmpx_ne_u32_e32 0x7f, v2
	s_cbranch_execz .LBB281_32
; %bb.29:                               ;   in Loop: Header=BB281_15 Depth=1
	v_mov_b32_e32 v0, 7
	v_lshrrev_b32_e32 v1, 3, v2
	s_mov_b32 s23, exec_lo
	v_and_b32_sdwa v0, v3, v0 dst_sel:DWORD dst_unused:UNUSED_PAD src0_sel:WORD_0 src1_sel:DWORD
	v_cmpx_gt_u32_e32 8, v2
; %bb.30:                               ;   in Loop: Header=BB281_15 Depth=1
	v_ffbh_u32_e32 v0, v0
	v_min_u32_e32 v2, 32, v0
	v_subrev_nc_u32_e32 v0, 28, v2
	v_lshlrev_b64 v[0:1], v0, v[3:4]
	v_sub_nc_u32_e32 v1, 29, v2
	v_and_b32_e32 v0, 7, v0
; %bb.31:                               ;   in Loop: Header=BB281_15 Depth=1
	s_or_b32 exec_lo, exec_lo, s23
	v_mov_b32_e32 v2, 8
	v_lshl_add_u32 v1, v1, 10, 0x2000
	v_lshlrev_b32_e32 v0, 23, v0
	v_lshlrev_b32_sdwa v2, v2, v3 dst_sel:DWORD dst_unused:UNUSED_PAD src0_sel:DWORD src1_sel:WORD_0
	v_and_or_b32 v1, 0x8000, v2, v1
	v_lshl_or_b32 v106, v1, 16, v0
.LBB281_32:                             ;   in Loop: Header=BB281_15 Depth=1
	s_or_b32 exec_lo, exec_lo, s22
.LBB281_33:                             ;   in Loop: Header=BB281_15 Depth=1
	s_or_b32 exec_lo, exec_lo, s21
.LBB281_34:                             ;   in Loop: Header=BB281_15 Depth=1
	s_or_b32 exec_lo, exec_lo, s20
	v_lshrrev_b32_e32 v3, 16, v27
	v_mov_b32_e32 v105, 0
	v_mov_b32_e32 v53, 0
	v_cmp_ne_u16_sdwa s5, v3, v4 src0_sel:BYTE_0 src1_sel:DWORD
	s_and_saveexec_b32 s20, s5
	s_cbranch_execz .LBB281_42
; %bb.35:                               ;   in Loop: Header=BB281_15 Depth=1
	v_cmp_ne_u16_sdwa s5, v3, v54 src0_sel:BYTE_0 src1_sel:DWORD
	v_mov_b32_e32 v53, 0x8000
	s_and_saveexec_b32 s21, s5
	s_cbranch_execz .LBB281_41
; %bb.36:                               ;   in Loop: Header=BB281_15 Depth=1
	v_bfe_u32 v2, v27, 16, 7
	v_mov_b32_e32 v53, 0x7c01
	s_mov_b32 s22, exec_lo
	v_cmpx_ne_u32_e32 0x7f, v2
	s_cbranch_execz .LBB281_40
; %bb.37:                               ;   in Loop: Header=BB281_15 Depth=1
	v_and_b32_e32 v0, 7, v3
	v_lshrrev_b32_e32 v1, 3, v2
	s_mov_b32 s23, exec_lo
	v_cmpx_gt_u32_e32 8, v2
; %bb.38:                               ;   in Loop: Header=BB281_15 Depth=1
	v_ffbh_u32_e32 v0, v0
	v_min_u32_e32 v2, 32, v0
	v_subrev_nc_u32_e32 v0, 28, v2
	v_lshlrev_b64 v[0:1], v0, v[3:4]
	v_sub_nc_u32_e32 v1, 29, v2
	v_and_b32_e32 v0, 7, v0
; %bb.39:                               ;   in Loop: Header=BB281_15 Depth=1
	s_or_b32 exec_lo, exec_lo, s23
	v_lshlrev_b32_e32 v2, 8, v3
	v_lshl_add_u32 v1, v1, 10, 0x2000
	v_lshlrev_b32_e32 v0, 7, v0
	v_and_b32_e32 v2, 0x8000, v2
	v_and_b32_e32 v1, 0xfc00, v1
	v_or3_b32 v53, v2, v1, v0
.LBB281_40:                             ;   in Loop: Header=BB281_15 Depth=1
	s_or_b32 exec_lo, exec_lo, s22
.LBB281_41:                             ;   in Loop: Header=BB281_15 Depth=1
	s_or_b32 exec_lo, exec_lo, s21
.LBB281_42:                             ;   in Loop: Header=BB281_15 Depth=1
	s_or_b32 exec_lo, exec_lo, s20
	s_mov_b32 s20, exec_lo
	v_cmpx_lt_u32_e32 0xffffff, v27
	s_cbranch_execz .LBB281_50
; %bb.43:                               ;   in Loop: Header=BB281_15 Depth=1
	v_lshrrev_b32_e32 v3, 24, v27
	v_bfrev_b32_e32 v105, 1
	s_mov_b32 s21, exec_lo
	v_cmpx_ne_u32_e32 0x80, v3
	s_cbranch_execz .LBB281_49
; %bb.44:                               ;   in Loop: Header=BB281_15 Depth=1
	v_and_b32_e32 v2, 0x7f, v3
	v_mov_b32_e32 v105, 0x7c010000
	s_mov_b32 s22, exec_lo
	v_cmpx_ne_u32_e32 0x7f, v2
	s_cbranch_execz .LBB281_48
; %bb.45:                               ;   in Loop: Header=BB281_15 Depth=1
	v_and_b32_e32 v0, 7, v3
	v_lshrrev_b32_e32 v1, 3, v2
	s_mov_b32 s23, exec_lo
	v_cmpx_gt_u32_e32 8, v2
; %bb.46:                               ;   in Loop: Header=BB281_15 Depth=1
	v_ffbh_u32_e32 v0, v0
	v_min_u32_e32 v2, 32, v0
	v_subrev_nc_u32_e32 v0, 28, v2
	v_lshlrev_b64 v[0:1], v0, v[3:4]
	v_sub_nc_u32_e32 v1, 29, v2
	v_and_b32_e32 v0, 7, v0
; %bb.47:                               ;   in Loop: Header=BB281_15 Depth=1
	s_or_b32 exec_lo, exec_lo, s23
	v_lshlrev_b32_e32 v2, 8, v3
	v_lshl_add_u32 v1, v1, 10, 0x2000
	v_lshlrev_b32_e32 v0, 23, v0
	v_and_or_b32 v1, 0x8000, v2, v1
	v_lshl_or_b32 v105, v1, 16, v0
.LBB281_48:                             ;   in Loop: Header=BB281_15 Depth=1
	s_or_b32 exec_lo, exec_lo, s22
.LBB281_49:                             ;   in Loop: Header=BB281_15 Depth=1
	s_or_b32 exec_lo, exec_lo, s21
.LBB281_50:                             ;   in Loop: Header=BB281_15 Depth=1
	s_or_b32 exec_lo, exec_lo, s20
	v_mov_b32_e32 v0, 0
	v_mov_b32_e32 v3, v28
	v_cmp_ne_u16_sdwa s5, v28, v4 src0_sel:BYTE_0 src1_sel:DWORD
	buffer_store_dword v0, off, s[0:3], s32 offset:232 ; 4-byte Folded Spill
	v_mov_b32_e32 v0, 0
	buffer_store_dword v0, off, s[0:3], s32 offset:236 ; 4-byte Folded Spill
	s_and_saveexec_b32 s20, s5
	s_cbranch_execz .LBB281_58
; %bb.51:                               ;   in Loop: Header=BB281_15 Depth=1
	v_cmp_ne_u16_sdwa s5, v28, v54 src0_sel:BYTE_0 src1_sel:DWORD
	v_mov_b32_e32 v0, 0x8000
	buffer_store_dword v0, off, s[0:3], s32 offset:236 ; 4-byte Folded Spill
	s_and_saveexec_b32 s21, s5
	s_cbranch_execz .LBB281_57
; %bb.52:                               ;   in Loop: Header=BB281_15 Depth=1
	v_and_b32_e32 v2, 0x7f, v28
	v_mov_b32_e32 v0, 0x7c01
	s_mov_b32 s22, exec_lo
	buffer_store_dword v0, off, s[0:3], s32 offset:236 ; 4-byte Folded Spill
	v_cmpx_ne_u32_e32 0x7f, v2
	s_cbranch_execz .LBB281_56
; %bb.53:                               ;   in Loop: Header=BB281_15 Depth=1
	v_and_b32_e32 v0, 7, v28
	v_lshrrev_b32_e32 v1, 3, v2
	s_mov_b32 s23, exec_lo
	v_cmpx_gt_u32_e32 8, v2
; %bb.54:                               ;   in Loop: Header=BB281_15 Depth=1
	v_ffbh_u32_e32 v0, v0
	v_min_u32_e32 v2, 32, v0
	v_subrev_nc_u32_e32 v0, 28, v2
	v_lshlrev_b64 v[0:1], v0, v[3:4]
	v_sub_nc_u32_e32 v1, 29, v2
	v_and_b32_e32 v0, 7, v0
; %bb.55:                               ;   in Loop: Header=BB281_15 Depth=1
	s_or_b32 exec_lo, exec_lo, s23
	v_lshlrev_b32_e32 v2, 8, v28
	v_lshl_add_u32 v1, v1, 10, 0x2000
	v_lshlrev_b32_e32 v0, 7, v0
	v_and_b32_e32 v2, 0x8000, v2
	v_and_b32_e32 v1, 0xfc00, v1
	v_or3_b32 v0, v2, v1, v0
	buffer_store_dword v0, off, s[0:3], s32 offset:236 ; 4-byte Folded Spill
.LBB281_56:                             ;   in Loop: Header=BB281_15 Depth=1
	s_or_b32 exec_lo, exec_lo, s22
.LBB281_57:                             ;   in Loop: Header=BB281_15 Depth=1
	s_or_b32 exec_lo, exec_lo, s21
.LBB281_58:                             ;   in Loop: Header=BB281_15 Depth=1
	s_or_b32 exec_lo, exec_lo, s20
	v_lshrrev_b16 v3, 8, v3
	v_mov_b32_e32 v92, 0
	s_mov_b32 s20, exec_lo
	v_cmpx_ne_u16_e32 0, v3
	s_cbranch_execz .LBB281_66
; %bb.59:                               ;   in Loop: Header=BB281_15 Depth=1
	v_bfrev_b32_e32 v92, 1
	s_mov_b32 s21, exec_lo
	v_cmpx_ne_u16_e32 0x80, v3
	s_cbranch_execz .LBB281_65
; %bb.60:                               ;   in Loop: Header=BB281_15 Depth=1
	v_mov_b32_e32 v0, 0x7f
	v_mov_b32_e32 v92, 0x7c010000
	s_mov_b32 s22, exec_lo
	v_and_b32_sdwa v2, v3, v0 dst_sel:DWORD dst_unused:UNUSED_PAD src0_sel:WORD_0 src1_sel:DWORD
	v_cmpx_ne_u32_e32 0x7f, v2
	s_cbranch_execz .LBB281_64
; %bb.61:                               ;   in Loop: Header=BB281_15 Depth=1
	v_mov_b32_e32 v0, 7
	v_lshrrev_b32_e32 v1, 3, v2
	s_mov_b32 s23, exec_lo
	v_and_b32_sdwa v0, v3, v0 dst_sel:DWORD dst_unused:UNUSED_PAD src0_sel:WORD_0 src1_sel:DWORD
	v_cmpx_gt_u32_e32 8, v2
; %bb.62:                               ;   in Loop: Header=BB281_15 Depth=1
	v_ffbh_u32_e32 v0, v0
	v_min_u32_e32 v2, 32, v0
	v_subrev_nc_u32_e32 v0, 28, v2
	v_lshlrev_b64 v[0:1], v0, v[3:4]
	v_sub_nc_u32_e32 v1, 29, v2
	v_and_b32_e32 v0, 7, v0
; %bb.63:                               ;   in Loop: Header=BB281_15 Depth=1
	s_or_b32 exec_lo, exec_lo, s23
	v_mov_b32_e32 v2, 8
	v_lshl_add_u32 v1, v1, 10, 0x2000
	v_lshlrev_b32_e32 v0, 23, v0
	v_lshlrev_b32_sdwa v2, v2, v3 dst_sel:DWORD dst_unused:UNUSED_PAD src0_sel:DWORD src1_sel:WORD_0
	v_and_or_b32 v1, 0x8000, v2, v1
	v_lshl_or_b32 v92, v1, 16, v0
.LBB281_64:                             ;   in Loop: Header=BB281_15 Depth=1
	s_or_b32 exec_lo, exec_lo, s22
.LBB281_65:                             ;   in Loop: Header=BB281_15 Depth=1
	s_or_b32 exec_lo, exec_lo, s21
.LBB281_66:                             ;   in Loop: Header=BB281_15 Depth=1
	s_or_b32 exec_lo, exec_lo, s20
	v_lshrrev_b32_e32 v3, 16, v28
	v_cmp_ne_u16_sdwa s5, v3, v4 src0_sel:BYTE_0 src1_sel:DWORD
	s_and_saveexec_b32 s20, s5
	s_cbranch_execz .LBB281_74
; %bb.67:                               ;   in Loop: Header=BB281_15 Depth=1
	v_cmp_ne_u16_sdwa s5, v3, v54 src0_sel:BYTE_0 src1_sel:DWORD
	v_mov_b32_e32 v0, 0x8000
	buffer_store_dword v0, off, s[0:3], s32 offset:232 ; 4-byte Folded Spill
	s_and_saveexec_b32 s21, s5
	s_cbranch_execz .LBB281_73
; %bb.68:                               ;   in Loop: Header=BB281_15 Depth=1
	v_bfe_u32 v2, v28, 16, 7
	v_mov_b32_e32 v0, 0x7c01
	s_mov_b32 s22, exec_lo
	buffer_store_dword v0, off, s[0:3], s32 offset:232 ; 4-byte Folded Spill
	v_cmpx_ne_u32_e32 0x7f, v2
	s_cbranch_execz .LBB281_72
; %bb.69:                               ;   in Loop: Header=BB281_15 Depth=1
	v_and_b32_e32 v0, 7, v3
	v_lshrrev_b32_e32 v1, 3, v2
	s_mov_b32 s23, exec_lo
	v_cmpx_gt_u32_e32 8, v2
; %bb.70:                               ;   in Loop: Header=BB281_15 Depth=1
	v_ffbh_u32_e32 v0, v0
	v_min_u32_e32 v2, 32, v0
	v_subrev_nc_u32_e32 v0, 28, v2
	v_lshlrev_b64 v[0:1], v0, v[3:4]
	v_sub_nc_u32_e32 v1, 29, v2
	v_and_b32_e32 v0, 7, v0
; %bb.71:                               ;   in Loop: Header=BB281_15 Depth=1
	s_or_b32 exec_lo, exec_lo, s23
	v_lshlrev_b32_e32 v2, 8, v3
	v_lshl_add_u32 v1, v1, 10, 0x2000
	v_lshlrev_b32_e32 v0, 7, v0
	v_and_b32_e32 v2, 0x8000, v2
	v_and_b32_e32 v1, 0xfc00, v1
	v_or3_b32 v0, v2, v1, v0
	buffer_store_dword v0, off, s[0:3], s32 offset:232 ; 4-byte Folded Spill
.LBB281_72:                             ;   in Loop: Header=BB281_15 Depth=1
	s_or_b32 exec_lo, exec_lo, s22
.LBB281_73:                             ;   in Loop: Header=BB281_15 Depth=1
	s_or_b32 exec_lo, exec_lo, s21
.LBB281_74:                             ;   in Loop: Header=BB281_15 Depth=1
	s_or_b32 exec_lo, exec_lo, s20
	v_mov_b32_e32 v0, 0
	v_mov_b32_e32 v85, 0
	s_mov_b32 s20, exec_lo
	buffer_store_dword v0, off, s[0:3], s32 offset:240 ; 4-byte Folded Spill
	v_cmpx_lt_u64_e64 s[12:13], v[27:28]
	s_cbranch_execz .LBB281_82
; %bb.75:                               ;   in Loop: Header=BB281_15 Depth=1
	v_lshrrev_b32_e32 v3, 24, v28
	v_bfrev_b32_e32 v85, 1
	s_mov_b32 s21, exec_lo
	v_cmpx_ne_u32_e32 0x80, v3
	s_cbranch_execz .LBB281_81
; %bb.76:                               ;   in Loop: Header=BB281_15 Depth=1
	v_and_b32_e32 v2, 0x7f, v3
	v_mov_b32_e32 v85, 0x7c010000
	s_mov_b32 s22, exec_lo
	v_cmpx_ne_u32_e32 0x7f, v2
	s_cbranch_execz .LBB281_80
; %bb.77:                               ;   in Loop: Header=BB281_15 Depth=1
	v_and_b32_e32 v0, 7, v3
	v_lshrrev_b32_e32 v1, 3, v2
	s_mov_b32 s23, exec_lo
	v_cmpx_gt_u32_e32 8, v2
; %bb.78:                               ;   in Loop: Header=BB281_15 Depth=1
	v_ffbh_u32_e32 v0, v0
	v_min_u32_e32 v2, 32, v0
	v_subrev_nc_u32_e32 v0, 28, v2
	v_lshlrev_b64 v[0:1], v0, v[3:4]
	v_sub_nc_u32_e32 v1, 29, v2
	v_and_b32_e32 v0, 7, v0
; %bb.79:                               ;   in Loop: Header=BB281_15 Depth=1
	s_or_b32 exec_lo, exec_lo, s23
	v_lshlrev_b32_e32 v2, 8, v3
	v_lshl_add_u32 v1, v1, 10, 0x2000
	v_lshlrev_b32_e32 v0, 23, v0
	v_and_or_b32 v1, 0x8000, v2, v1
	v_lshl_or_b32 v85, v1, 16, v0
.LBB281_80:                             ;   in Loop: Header=BB281_15 Depth=1
	s_or_b32 exec_lo, exec_lo, s22
.LBB281_81:                             ;   in Loop: Header=BB281_15 Depth=1
	s_or_b32 exec_lo, exec_lo, s21
.LBB281_82:                             ;   in Loop: Header=BB281_15 Depth=1
	s_or_b32 exec_lo, exec_lo, s20
	flat_load_dwordx2 v[27:28], v[24:25] offset:8
	s_waitcnt vmcnt(0) lgkmcnt(0)
	v_cmp_ne_u16_sdwa s5, v27, v4 src0_sel:BYTE_0 src1_sel:DWORD
	s_and_saveexec_b32 s20, s5
	s_cbranch_execz .LBB281_90
; %bb.83:                               ;   in Loop: Header=BB281_15 Depth=1
	v_cmp_ne_u16_sdwa s5, v27, v54 src0_sel:BYTE_0 src1_sel:DWORD
	v_mov_b32_e32 v0, 0x8000
	buffer_store_dword v0, off, s[0:3], s32 offset:240 ; 4-byte Folded Spill
	s_and_saveexec_b32 s21, s5
	s_cbranch_execz .LBB281_89
; %bb.84:                               ;   in Loop: Header=BB281_15 Depth=1
	v_and_b32_e32 v2, 0x7f, v27
	v_mov_b32_e32 v0, 0x7c01
	s_mov_b32 s22, exec_lo
	buffer_store_dword v0, off, s[0:3], s32 offset:240 ; 4-byte Folded Spill
	v_cmpx_ne_u32_e32 0x7f, v2
	s_cbranch_execz .LBB281_88
; %bb.85:                               ;   in Loop: Header=BB281_15 Depth=1
	v_and_b32_e32 v0, 7, v27
	v_lshrrev_b32_e32 v1, 3, v2
	s_mov_b32 s23, exec_lo
	v_cmpx_gt_u32_e32 8, v2
; %bb.86:                               ;   in Loop: Header=BB281_15 Depth=1
	v_ffbh_u32_e32 v0, v0
	v_min_u32_e32 v2, 32, v0
	v_subrev_nc_u32_e32 v0, 28, v2
	v_lshlrev_b64 v[0:1], v0, v[27:28]
	v_sub_nc_u32_e32 v1, 29, v2
	v_and_b32_e32 v0, 7, v0
; %bb.87:                               ;   in Loop: Header=BB281_15 Depth=1
	s_or_b32 exec_lo, exec_lo, s23
	v_lshlrev_b32_e32 v2, 8, v27
	v_lshl_add_u32 v1, v1, 10, 0x2000
	v_lshlrev_b32_e32 v0, 7, v0
	v_and_b32_e32 v2, 0x8000, v2
	v_and_b32_e32 v1, 0xfc00, v1
	v_or3_b32 v0, v2, v1, v0
	buffer_store_dword v0, off, s[0:3], s32 offset:240 ; 4-byte Folded Spill
.LBB281_88:                             ;   in Loop: Header=BB281_15 Depth=1
	s_or_b32 exec_lo, exec_lo, s22
.LBB281_89:                             ;   in Loop: Header=BB281_15 Depth=1
	s_or_b32 exec_lo, exec_lo, s21
.LBB281_90:                             ;   in Loop: Header=BB281_15 Depth=1
	s_or_b32 exec_lo, exec_lo, s20
	v_lshrrev_b16 v3, 8, v27
	v_mov_b32_e32 v0, 0
	v_mov_b32_e32 v87, 0
	s_mov_b32 s20, exec_lo
	buffer_store_dword v0, off, s[0:3], s32 offset:244 ; 4-byte Folded Spill
	v_cmpx_ne_u16_e32 0, v3
	s_cbranch_execz .LBB281_98
; %bb.91:                               ;   in Loop: Header=BB281_15 Depth=1
	v_bfrev_b32_e32 v87, 1
	s_mov_b32 s21, exec_lo
	v_cmpx_ne_u16_e32 0x80, v3
	s_cbranch_execz .LBB281_97
; %bb.92:                               ;   in Loop: Header=BB281_15 Depth=1
	v_mov_b32_e32 v0, 0x7f
	v_mov_b32_e32 v87, 0x7c010000
	s_mov_b32 s22, exec_lo
	v_and_b32_sdwa v2, v3, v0 dst_sel:DWORD dst_unused:UNUSED_PAD src0_sel:WORD_0 src1_sel:DWORD
	v_cmpx_ne_u32_e32 0x7f, v2
	s_cbranch_execz .LBB281_96
; %bb.93:                               ;   in Loop: Header=BB281_15 Depth=1
	v_mov_b32_e32 v0, 7
	v_lshrrev_b32_e32 v1, 3, v2
	s_mov_b32 s23, exec_lo
	v_and_b32_sdwa v0, v3, v0 dst_sel:DWORD dst_unused:UNUSED_PAD src0_sel:WORD_0 src1_sel:DWORD
	v_cmpx_gt_u32_e32 8, v2
; %bb.94:                               ;   in Loop: Header=BB281_15 Depth=1
	v_ffbh_u32_e32 v0, v0
	v_min_u32_e32 v2, 32, v0
	v_subrev_nc_u32_e32 v0, 28, v2
	v_lshlrev_b64 v[0:1], v0, v[3:4]
	v_sub_nc_u32_e32 v1, 29, v2
	v_and_b32_e32 v0, 7, v0
; %bb.95:                               ;   in Loop: Header=BB281_15 Depth=1
	s_or_b32 exec_lo, exec_lo, s23
	v_mov_b32_e32 v2, 8
	v_lshl_add_u32 v1, v1, 10, 0x2000
	v_lshlrev_b32_e32 v0, 23, v0
	v_lshlrev_b32_sdwa v2, v2, v3 dst_sel:DWORD dst_unused:UNUSED_PAD src0_sel:DWORD src1_sel:WORD_0
	v_and_or_b32 v1, 0x8000, v2, v1
	v_lshl_or_b32 v87, v1, 16, v0
.LBB281_96:                             ;   in Loop: Header=BB281_15 Depth=1
	s_or_b32 exec_lo, exec_lo, s22
.LBB281_97:                             ;   in Loop: Header=BB281_15 Depth=1
	s_or_b32 exec_lo, exec_lo, s21
.LBB281_98:                             ;   in Loop: Header=BB281_15 Depth=1
	s_or_b32 exec_lo, exec_lo, s20
	v_lshrrev_b32_e32 v3, 16, v27
	v_cmp_ne_u16_sdwa s5, v3, v4 src0_sel:BYTE_0 src1_sel:DWORD
	s_and_saveexec_b32 s20, s5
	s_cbranch_execz .LBB281_106
; %bb.99:                               ;   in Loop: Header=BB281_15 Depth=1
	v_cmp_ne_u16_sdwa s5, v3, v54 src0_sel:BYTE_0 src1_sel:DWORD
	v_mov_b32_e32 v0, 0x8000
	buffer_store_dword v0, off, s[0:3], s32 offset:244 ; 4-byte Folded Spill
	s_and_saveexec_b32 s21, s5
	s_cbranch_execz .LBB281_105
; %bb.100:                              ;   in Loop: Header=BB281_15 Depth=1
	v_bfe_u32 v2, v27, 16, 7
	v_mov_b32_e32 v0, 0x7c01
	s_mov_b32 s22, exec_lo
	buffer_store_dword v0, off, s[0:3], s32 offset:244 ; 4-byte Folded Spill
	v_cmpx_ne_u32_e32 0x7f, v2
	s_cbranch_execz .LBB281_104
; %bb.101:                              ;   in Loop: Header=BB281_15 Depth=1
	v_and_b32_e32 v0, 7, v3
	v_lshrrev_b32_e32 v1, 3, v2
	s_mov_b32 s23, exec_lo
	v_cmpx_gt_u32_e32 8, v2
; %bb.102:                              ;   in Loop: Header=BB281_15 Depth=1
	v_ffbh_u32_e32 v0, v0
	v_min_u32_e32 v2, 32, v0
	v_subrev_nc_u32_e32 v0, 28, v2
	v_lshlrev_b64 v[0:1], v0, v[3:4]
	v_sub_nc_u32_e32 v1, 29, v2
	v_and_b32_e32 v0, 7, v0
; %bb.103:                              ;   in Loop: Header=BB281_15 Depth=1
	s_or_b32 exec_lo, exec_lo, s23
	v_lshlrev_b32_e32 v2, 8, v3
	v_lshl_add_u32 v1, v1, 10, 0x2000
	v_lshlrev_b32_e32 v0, 7, v0
	v_and_b32_e32 v2, 0x8000, v2
	v_and_b32_e32 v1, 0xfc00, v1
	v_or3_b32 v0, v2, v1, v0
	buffer_store_dword v0, off, s[0:3], s32 offset:244 ; 4-byte Folded Spill
.LBB281_104:                            ;   in Loop: Header=BB281_15 Depth=1
	s_or_b32 exec_lo, exec_lo, s22
.LBB281_105:                            ;   in Loop: Header=BB281_15 Depth=1
	s_or_b32 exec_lo, exec_lo, s21
.LBB281_106:                            ;   in Loop: Header=BB281_15 Depth=1
	s_or_b32 exec_lo, exec_lo, s20
	v_mov_b32_e32 v0, 0
	v_mov_b32_e32 v98, 0
	s_mov_b32 s20, exec_lo
	buffer_store_dword v0, off, s[0:3], s32 offset:248 ; 4-byte Folded Spill
	v_cmpx_lt_u32_e32 0xffffff, v27
	s_cbranch_execz .LBB281_114
; %bb.107:                              ;   in Loop: Header=BB281_15 Depth=1
	v_lshrrev_b32_e32 v3, 24, v27
	v_bfrev_b32_e32 v98, 1
	s_mov_b32 s21, exec_lo
	v_cmpx_ne_u32_e32 0x80, v3
	s_cbranch_execz .LBB281_113
; %bb.108:                              ;   in Loop: Header=BB281_15 Depth=1
	v_and_b32_e32 v2, 0x7f, v3
	v_mov_b32_e32 v98, 0x7c010000
	s_mov_b32 s22, exec_lo
	v_cmpx_ne_u32_e32 0x7f, v2
	s_cbranch_execz .LBB281_112
; %bb.109:                              ;   in Loop: Header=BB281_15 Depth=1
	v_and_b32_e32 v0, 7, v3
	v_lshrrev_b32_e32 v1, 3, v2
	s_mov_b32 s23, exec_lo
	v_cmpx_gt_u32_e32 8, v2
; %bb.110:                              ;   in Loop: Header=BB281_15 Depth=1
	v_ffbh_u32_e32 v0, v0
	v_min_u32_e32 v2, 32, v0
	v_subrev_nc_u32_e32 v0, 28, v2
	v_lshlrev_b64 v[0:1], v0, v[3:4]
	v_sub_nc_u32_e32 v1, 29, v2
	v_and_b32_e32 v0, 7, v0
; %bb.111:                              ;   in Loop: Header=BB281_15 Depth=1
	s_or_b32 exec_lo, exec_lo, s23
	v_lshlrev_b32_e32 v2, 8, v3
	v_lshl_add_u32 v1, v1, 10, 0x2000
	v_lshlrev_b32_e32 v0, 23, v0
	v_and_or_b32 v1, 0x8000, v2, v1
	v_lshl_or_b32 v98, v1, 16, v0
.LBB281_112:                            ;   in Loop: Header=BB281_15 Depth=1
	s_or_b32 exec_lo, exec_lo, s22
.LBB281_113:                            ;   in Loop: Header=BB281_15 Depth=1
	s_or_b32 exec_lo, exec_lo, s21
.LBB281_114:                            ;   in Loop: Header=BB281_15 Depth=1
	s_or_b32 exec_lo, exec_lo, s20
	v_mov_b32_e32 v3, v28
	v_cmp_ne_u16_sdwa s5, v28, v4 src0_sel:BYTE_0 src1_sel:DWORD
	s_and_saveexec_b32 s20, s5
	s_cbranch_execz .LBB281_122
; %bb.115:                              ;   in Loop: Header=BB281_15 Depth=1
	v_cmp_ne_u16_sdwa s5, v28, v54 src0_sel:BYTE_0 src1_sel:DWORD
	v_mov_b32_e32 v0, 0x8000
	buffer_store_dword v0, off, s[0:3], s32 offset:248 ; 4-byte Folded Spill
	s_and_saveexec_b32 s21, s5
	s_cbranch_execz .LBB281_121
; %bb.116:                              ;   in Loop: Header=BB281_15 Depth=1
	v_and_b32_e32 v2, 0x7f, v28
	v_mov_b32_e32 v0, 0x7c01
	s_mov_b32 s22, exec_lo
	buffer_store_dword v0, off, s[0:3], s32 offset:248 ; 4-byte Folded Spill
	v_cmpx_ne_u32_e32 0x7f, v2
	s_cbranch_execz .LBB281_120
; %bb.117:                              ;   in Loop: Header=BB281_15 Depth=1
	v_and_b32_e32 v0, 7, v28
	v_lshrrev_b32_e32 v1, 3, v2
	s_mov_b32 s23, exec_lo
	v_cmpx_gt_u32_e32 8, v2
; %bb.118:                              ;   in Loop: Header=BB281_15 Depth=1
	v_ffbh_u32_e32 v0, v0
	v_min_u32_e32 v2, 32, v0
	v_subrev_nc_u32_e32 v0, 28, v2
	v_lshlrev_b64 v[0:1], v0, v[3:4]
	v_sub_nc_u32_e32 v1, 29, v2
	v_and_b32_e32 v0, 7, v0
; %bb.119:                              ;   in Loop: Header=BB281_15 Depth=1
	s_or_b32 exec_lo, exec_lo, s23
	v_lshlrev_b32_e32 v2, 8, v28
	v_lshl_add_u32 v1, v1, 10, 0x2000
	v_lshlrev_b32_e32 v0, 7, v0
	v_and_b32_e32 v2, 0x8000, v2
	v_and_b32_e32 v1, 0xfc00, v1
	v_or3_b32 v0, v2, v1, v0
	buffer_store_dword v0, off, s[0:3], s32 offset:248 ; 4-byte Folded Spill
.LBB281_120:                            ;   in Loop: Header=BB281_15 Depth=1
	s_or_b32 exec_lo, exec_lo, s22
.LBB281_121:                            ;   in Loop: Header=BB281_15 Depth=1
	s_or_b32 exec_lo, exec_lo, s21
.LBB281_122:                            ;   in Loop: Header=BB281_15 Depth=1
	s_or_b32 exec_lo, exec_lo, s20
	v_lshrrev_b16 v3, 8, v3
	v_mov_b32_e32 v0, 0
	v_mov_b32_e32 v100, 0
	s_mov_b32 s20, exec_lo
	buffer_store_dword v0, off, s[0:3], s32 offset:252 ; 4-byte Folded Spill
	v_cmpx_ne_u16_e32 0, v3
	s_cbranch_execz .LBB281_130
; %bb.123:                              ;   in Loop: Header=BB281_15 Depth=1
	v_bfrev_b32_e32 v100, 1
	s_mov_b32 s21, exec_lo
	v_cmpx_ne_u16_e32 0x80, v3
	s_cbranch_execz .LBB281_129
; %bb.124:                              ;   in Loop: Header=BB281_15 Depth=1
	v_mov_b32_e32 v0, 0x7f
	v_mov_b32_e32 v100, 0x7c010000
	s_mov_b32 s22, exec_lo
	v_and_b32_sdwa v2, v3, v0 dst_sel:DWORD dst_unused:UNUSED_PAD src0_sel:WORD_0 src1_sel:DWORD
	v_cmpx_ne_u32_e32 0x7f, v2
	s_cbranch_execz .LBB281_128
; %bb.125:                              ;   in Loop: Header=BB281_15 Depth=1
	v_mov_b32_e32 v0, 7
	v_lshrrev_b32_e32 v1, 3, v2
	s_mov_b32 s23, exec_lo
	v_and_b32_sdwa v0, v3, v0 dst_sel:DWORD dst_unused:UNUSED_PAD src0_sel:WORD_0 src1_sel:DWORD
	v_cmpx_gt_u32_e32 8, v2
; %bb.126:                              ;   in Loop: Header=BB281_15 Depth=1
	v_ffbh_u32_e32 v0, v0
	v_min_u32_e32 v2, 32, v0
	v_subrev_nc_u32_e32 v0, 28, v2
	v_lshlrev_b64 v[0:1], v0, v[3:4]
	v_sub_nc_u32_e32 v1, 29, v2
	v_and_b32_e32 v0, 7, v0
; %bb.127:                              ;   in Loop: Header=BB281_15 Depth=1
	s_or_b32 exec_lo, exec_lo, s23
	v_mov_b32_e32 v2, 8
	v_lshl_add_u32 v1, v1, 10, 0x2000
	v_lshlrev_b32_e32 v0, 23, v0
	v_lshlrev_b32_sdwa v2, v2, v3 dst_sel:DWORD dst_unused:UNUSED_PAD src0_sel:DWORD src1_sel:WORD_0
	v_and_or_b32 v1, 0x8000, v2, v1
	v_lshl_or_b32 v100, v1, 16, v0
.LBB281_128:                            ;   in Loop: Header=BB281_15 Depth=1
	s_or_b32 exec_lo, exec_lo, s22
.LBB281_129:                            ;   in Loop: Header=BB281_15 Depth=1
	s_or_b32 exec_lo, exec_lo, s21
.LBB281_130:                            ;   in Loop: Header=BB281_15 Depth=1
	s_or_b32 exec_lo, exec_lo, s20
	v_lshrrev_b32_e32 v3, 16, v28
	v_cmp_ne_u16_sdwa s5, v3, v4 src0_sel:BYTE_0 src1_sel:DWORD
	s_and_saveexec_b32 s20, s5
	s_cbranch_execz .LBB281_138
; %bb.131:                              ;   in Loop: Header=BB281_15 Depth=1
	v_cmp_ne_u16_sdwa s5, v3, v54 src0_sel:BYTE_0 src1_sel:DWORD
	v_mov_b32_e32 v0, 0x8000
	buffer_store_dword v0, off, s[0:3], s32 offset:252 ; 4-byte Folded Spill
	s_and_saveexec_b32 s21, s5
	s_cbranch_execz .LBB281_137
; %bb.132:                              ;   in Loop: Header=BB281_15 Depth=1
	v_bfe_u32 v2, v28, 16, 7
	v_mov_b32_e32 v0, 0x7c01
	s_mov_b32 s22, exec_lo
	buffer_store_dword v0, off, s[0:3], s32 offset:252 ; 4-byte Folded Spill
	v_cmpx_ne_u32_e32 0x7f, v2
	s_cbranch_execz .LBB281_136
; %bb.133:                              ;   in Loop: Header=BB281_15 Depth=1
	v_and_b32_e32 v0, 7, v3
	v_lshrrev_b32_e32 v1, 3, v2
	s_mov_b32 s23, exec_lo
	v_cmpx_gt_u32_e32 8, v2
; %bb.134:                              ;   in Loop: Header=BB281_15 Depth=1
	v_ffbh_u32_e32 v0, v0
	v_min_u32_e32 v2, 32, v0
	v_subrev_nc_u32_e32 v0, 28, v2
	v_lshlrev_b64 v[0:1], v0, v[3:4]
	v_sub_nc_u32_e32 v1, 29, v2
	v_and_b32_e32 v0, 7, v0
; %bb.135:                              ;   in Loop: Header=BB281_15 Depth=1
	s_or_b32 exec_lo, exec_lo, s23
	v_lshlrev_b32_e32 v2, 8, v3
	v_lshl_add_u32 v1, v1, 10, 0x2000
	v_lshlrev_b32_e32 v0, 7, v0
	v_and_b32_e32 v2, 0x8000, v2
	v_and_b32_e32 v1, 0xfc00, v1
	v_or3_b32 v0, v2, v1, v0
	buffer_store_dword v0, off, s[0:3], s32 offset:252 ; 4-byte Folded Spill
.LBB281_136:                            ;   in Loop: Header=BB281_15 Depth=1
	s_or_b32 exec_lo, exec_lo, s22
.LBB281_137:                            ;   in Loop: Header=BB281_15 Depth=1
	s_or_b32 exec_lo, exec_lo, s21
.LBB281_138:                            ;   in Loop: Header=BB281_15 Depth=1
	s_or_b32 exec_lo, exec_lo, s20
	v_mov_b32_e32 v0, 0
	v_mov_b32_e32 v120, 0
	s_mov_b32 s20, exec_lo
	buffer_store_dword v0, off, s[0:3], s32 offset:256 ; 4-byte Folded Spill
	v_cmpx_lt_u64_e64 s[12:13], v[27:28]
	s_cbranch_execz .LBB281_146
; %bb.139:                              ;   in Loop: Header=BB281_15 Depth=1
	v_lshrrev_b32_e32 v3, 24, v28
	v_bfrev_b32_e32 v120, 1
	s_mov_b32 s21, exec_lo
	v_cmpx_ne_u32_e32 0x80, v3
	s_cbranch_execz .LBB281_145
; %bb.140:                              ;   in Loop: Header=BB281_15 Depth=1
	v_and_b32_e32 v2, 0x7f, v3
	v_mov_b32_e32 v120, 0x7c010000
	s_mov_b32 s22, exec_lo
	v_cmpx_ne_u32_e32 0x7f, v2
	s_cbranch_execz .LBB281_144
; %bb.141:                              ;   in Loop: Header=BB281_15 Depth=1
	v_and_b32_e32 v0, 7, v3
	v_lshrrev_b32_e32 v1, 3, v2
	s_mov_b32 s23, exec_lo
	v_cmpx_gt_u32_e32 8, v2
; %bb.142:                              ;   in Loop: Header=BB281_15 Depth=1
	v_ffbh_u32_e32 v0, v0
	v_min_u32_e32 v2, 32, v0
	v_subrev_nc_u32_e32 v0, 28, v2
	v_lshlrev_b64 v[0:1], v0, v[3:4]
	v_sub_nc_u32_e32 v1, 29, v2
	v_and_b32_e32 v0, 7, v0
; %bb.143:                              ;   in Loop: Header=BB281_15 Depth=1
	s_or_b32 exec_lo, exec_lo, s23
	v_lshlrev_b32_e32 v2, 8, v3
	v_lshl_add_u32 v1, v1, 10, 0x2000
	v_lshlrev_b32_e32 v0, 23, v0
	v_and_or_b32 v1, 0x8000, v2, v1
	v_lshl_or_b32 v120, v1, 16, v0
.LBB281_144:                            ;   in Loop: Header=BB281_15 Depth=1
	s_or_b32 exec_lo, exec_lo, s22
.LBB281_145:                            ;   in Loop: Header=BB281_15 Depth=1
	s_or_b32 exec_lo, exec_lo, s21
.LBB281_146:                            ;   in Loop: Header=BB281_15 Depth=1
	s_or_b32 exec_lo, exec_lo, s20
	flat_load_dwordx2 v[27:28], v[24:25] offset:512
	s_waitcnt vmcnt(0) lgkmcnt(0)
	v_cmp_ne_u16_sdwa s5, v27, v4 src0_sel:BYTE_0 src1_sel:DWORD
	s_and_saveexec_b32 s20, s5
	s_cbranch_execz .LBB281_154
; %bb.147:                              ;   in Loop: Header=BB281_15 Depth=1
	v_cmp_ne_u16_sdwa s5, v27, v54 src0_sel:BYTE_0 src1_sel:DWORD
	v_mov_b32_e32 v0, 0x8000
	buffer_store_dword v0, off, s[0:3], s32 offset:256 ; 4-byte Folded Spill
	s_and_saveexec_b32 s21, s5
	s_cbranch_execz .LBB281_153
; %bb.148:                              ;   in Loop: Header=BB281_15 Depth=1
	v_and_b32_e32 v2, 0x7f, v27
	v_mov_b32_e32 v0, 0x7c01
	s_mov_b32 s22, exec_lo
	buffer_store_dword v0, off, s[0:3], s32 offset:256 ; 4-byte Folded Spill
	v_cmpx_ne_u32_e32 0x7f, v2
	s_cbranch_execz .LBB281_152
; %bb.149:                              ;   in Loop: Header=BB281_15 Depth=1
	v_and_b32_e32 v0, 7, v27
	v_lshrrev_b32_e32 v1, 3, v2
	s_mov_b32 s23, exec_lo
	v_cmpx_gt_u32_e32 8, v2
; %bb.150:                              ;   in Loop: Header=BB281_15 Depth=1
	v_ffbh_u32_e32 v0, v0
	v_min_u32_e32 v2, 32, v0
	v_subrev_nc_u32_e32 v0, 28, v2
	v_lshlrev_b64 v[0:1], v0, v[27:28]
	v_sub_nc_u32_e32 v1, 29, v2
	v_and_b32_e32 v0, 7, v0
; %bb.151:                              ;   in Loop: Header=BB281_15 Depth=1
	s_or_b32 exec_lo, exec_lo, s23
	v_lshlrev_b32_e32 v2, 8, v27
	v_lshl_add_u32 v1, v1, 10, 0x2000
	v_lshlrev_b32_e32 v0, 7, v0
	v_and_b32_e32 v2, 0x8000, v2
	v_and_b32_e32 v1, 0xfc00, v1
	v_or3_b32 v0, v2, v1, v0
	buffer_store_dword v0, off, s[0:3], s32 offset:256 ; 4-byte Folded Spill
.LBB281_152:                            ;   in Loop: Header=BB281_15 Depth=1
	s_or_b32 exec_lo, exec_lo, s22
.LBB281_153:                            ;   in Loop: Header=BB281_15 Depth=1
	s_or_b32 exec_lo, exec_lo, s21
.LBB281_154:                            ;   in Loop: Header=BB281_15 Depth=1
	s_or_b32 exec_lo, exec_lo, s20
	v_lshrrev_b16 v3, 8, v27
	v_mov_b32_e32 v112, 0
	v_mov_b32_e32 v103, 0
	s_mov_b32 s20, exec_lo
	v_cmpx_ne_u16_e32 0, v3
	s_cbranch_execz .LBB281_162
; %bb.155:                              ;   in Loop: Header=BB281_15 Depth=1
	v_bfrev_b32_e32 v103, 1
	s_mov_b32 s21, exec_lo
	v_cmpx_ne_u16_e32 0x80, v3
	s_cbranch_execz .LBB281_161
; %bb.156:                              ;   in Loop: Header=BB281_15 Depth=1
	v_mov_b32_e32 v0, 0x7f
	v_mov_b32_e32 v103, 0x7c010000
	s_mov_b32 s22, exec_lo
	v_and_b32_sdwa v2, v3, v0 dst_sel:DWORD dst_unused:UNUSED_PAD src0_sel:WORD_0 src1_sel:DWORD
	v_cmpx_ne_u32_e32 0x7f, v2
	s_cbranch_execz .LBB281_160
; %bb.157:                              ;   in Loop: Header=BB281_15 Depth=1
	v_mov_b32_e32 v0, 7
	v_lshrrev_b32_e32 v1, 3, v2
	s_mov_b32 s23, exec_lo
	v_and_b32_sdwa v0, v3, v0 dst_sel:DWORD dst_unused:UNUSED_PAD src0_sel:WORD_0 src1_sel:DWORD
	v_cmpx_gt_u32_e32 8, v2
; %bb.158:                              ;   in Loop: Header=BB281_15 Depth=1
	v_ffbh_u32_e32 v0, v0
	v_min_u32_e32 v2, 32, v0
	v_subrev_nc_u32_e32 v0, 28, v2
	v_lshlrev_b64 v[0:1], v0, v[3:4]
	v_sub_nc_u32_e32 v1, 29, v2
	v_and_b32_e32 v0, 7, v0
; %bb.159:                              ;   in Loop: Header=BB281_15 Depth=1
	s_or_b32 exec_lo, exec_lo, s23
	v_mov_b32_e32 v2, 8
	v_lshl_add_u32 v1, v1, 10, 0x2000
	v_lshlrev_b32_e32 v0, 23, v0
	v_lshlrev_b32_sdwa v2, v2, v3 dst_sel:DWORD dst_unused:UNUSED_PAD src0_sel:DWORD src1_sel:WORD_0
	v_and_or_b32 v1, 0x8000, v2, v1
	v_lshl_or_b32 v103, v1, 16, v0
.LBB281_160:                            ;   in Loop: Header=BB281_15 Depth=1
	s_or_b32 exec_lo, exec_lo, s22
.LBB281_161:                            ;   in Loop: Header=BB281_15 Depth=1
	s_or_b32 exec_lo, exec_lo, s21
.LBB281_162:                            ;   in Loop: Header=BB281_15 Depth=1
	s_or_b32 exec_lo, exec_lo, s20
	v_lshrrev_b32_e32 v3, 16, v27
	v_cmp_ne_u16_sdwa s5, v3, v4 src0_sel:BYTE_0 src1_sel:DWORD
	s_and_saveexec_b32 s20, s5
	s_cbranch_execz .LBB281_170
; %bb.163:                              ;   in Loop: Header=BB281_15 Depth=1
	v_cmp_ne_u16_sdwa s5, v3, v54 src0_sel:BYTE_0 src1_sel:DWORD
	v_mov_b32_e32 v112, 0x8000
	s_and_saveexec_b32 s21, s5
	s_cbranch_execz .LBB281_169
; %bb.164:                              ;   in Loop: Header=BB281_15 Depth=1
	v_bfe_u32 v2, v27, 16, 7
	v_mov_b32_e32 v112, 0x7c01
	s_mov_b32 s22, exec_lo
	v_cmpx_ne_u32_e32 0x7f, v2
	s_cbranch_execz .LBB281_168
; %bb.165:                              ;   in Loop: Header=BB281_15 Depth=1
	v_and_b32_e32 v0, 7, v3
	v_lshrrev_b32_e32 v1, 3, v2
	s_mov_b32 s23, exec_lo
	v_cmpx_gt_u32_e32 8, v2
; %bb.166:                              ;   in Loop: Header=BB281_15 Depth=1
	v_ffbh_u32_e32 v0, v0
	v_min_u32_e32 v2, 32, v0
	v_subrev_nc_u32_e32 v0, 28, v2
	v_lshlrev_b64 v[0:1], v0, v[3:4]
	v_sub_nc_u32_e32 v1, 29, v2
	v_and_b32_e32 v0, 7, v0
; %bb.167:                              ;   in Loop: Header=BB281_15 Depth=1
	s_or_b32 exec_lo, exec_lo, s23
	v_lshlrev_b32_e32 v2, 8, v3
	v_lshl_add_u32 v1, v1, 10, 0x2000
	v_lshlrev_b32_e32 v0, 7, v0
	v_and_b32_e32 v2, 0x8000, v2
	v_and_b32_e32 v1, 0xfc00, v1
	v_or3_b32 v112, v2, v1, v0
.LBB281_168:                            ;   in Loop: Header=BB281_15 Depth=1
	s_or_b32 exec_lo, exec_lo, s22
.LBB281_169:                            ;   in Loop: Header=BB281_15 Depth=1
	s_or_b32 exec_lo, exec_lo, s21
.LBB281_170:                            ;   in Loop: Header=BB281_15 Depth=1
	s_or_b32 exec_lo, exec_lo, s20
	v_mov_b32_e32 v113, 0
	v_mov_b32_e32 v114, 0
	s_mov_b32 s20, exec_lo
	v_cmpx_lt_u32_e32 0xffffff, v27
	s_cbranch_execz .LBB281_178
; %bb.171:                              ;   in Loop: Header=BB281_15 Depth=1
	v_lshrrev_b32_e32 v3, 24, v27
	v_bfrev_b32_e32 v114, 1
	s_mov_b32 s21, exec_lo
	v_cmpx_ne_u32_e32 0x80, v3
	s_cbranch_execz .LBB281_177
; %bb.172:                              ;   in Loop: Header=BB281_15 Depth=1
	v_and_b32_e32 v2, 0x7f, v3
	v_mov_b32_e32 v114, 0x7c010000
	s_mov_b32 s22, exec_lo
	v_cmpx_ne_u32_e32 0x7f, v2
	s_cbranch_execz .LBB281_176
; %bb.173:                              ;   in Loop: Header=BB281_15 Depth=1
	v_and_b32_e32 v0, 7, v3
	v_lshrrev_b32_e32 v1, 3, v2
	s_mov_b32 s23, exec_lo
	v_cmpx_gt_u32_e32 8, v2
; %bb.174:                              ;   in Loop: Header=BB281_15 Depth=1
	v_ffbh_u32_e32 v0, v0
	v_min_u32_e32 v2, 32, v0
	v_subrev_nc_u32_e32 v0, 28, v2
	v_lshlrev_b64 v[0:1], v0, v[3:4]
	v_sub_nc_u32_e32 v1, 29, v2
	v_and_b32_e32 v0, 7, v0
; %bb.175:                              ;   in Loop: Header=BB281_15 Depth=1
	s_or_b32 exec_lo, exec_lo, s23
	v_lshlrev_b32_e32 v2, 8, v3
	v_lshl_add_u32 v1, v1, 10, 0x2000
	v_lshlrev_b32_e32 v0, 23, v0
	v_and_or_b32 v1, 0x8000, v2, v1
	v_lshl_or_b32 v114, v1, 16, v0
.LBB281_176:                            ;   in Loop: Header=BB281_15 Depth=1
	s_or_b32 exec_lo, exec_lo, s22
.LBB281_177:                            ;   in Loop: Header=BB281_15 Depth=1
	s_or_b32 exec_lo, exec_lo, s21
.LBB281_178:                            ;   in Loop: Header=BB281_15 Depth=1
	s_or_b32 exec_lo, exec_lo, s20
	v_mov_b32_e32 v3, v28
	v_cmp_ne_u16_sdwa s5, v28, v4 src0_sel:BYTE_0 src1_sel:DWORD
	s_and_saveexec_b32 s20, s5
	s_cbranch_execz .LBB281_186
; %bb.179:                              ;   in Loop: Header=BB281_15 Depth=1
	v_cmp_ne_u16_sdwa s5, v28, v54 src0_sel:BYTE_0 src1_sel:DWORD
	v_mov_b32_e32 v113, 0x8000
	s_and_saveexec_b32 s21, s5
	s_cbranch_execz .LBB281_185
; %bb.180:                              ;   in Loop: Header=BB281_15 Depth=1
	v_and_b32_e32 v2, 0x7f, v28
	v_mov_b32_e32 v113, 0x7c01
	s_mov_b32 s22, exec_lo
	v_cmpx_ne_u32_e32 0x7f, v2
	s_cbranch_execz .LBB281_184
; %bb.181:                              ;   in Loop: Header=BB281_15 Depth=1
	v_and_b32_e32 v0, 7, v28
	v_lshrrev_b32_e32 v1, 3, v2
	s_mov_b32 s23, exec_lo
	v_cmpx_gt_u32_e32 8, v2
; %bb.182:                              ;   in Loop: Header=BB281_15 Depth=1
	v_ffbh_u32_e32 v0, v0
	v_min_u32_e32 v2, 32, v0
	v_subrev_nc_u32_e32 v0, 28, v2
	v_lshlrev_b64 v[0:1], v0, v[3:4]
	v_sub_nc_u32_e32 v1, 29, v2
	v_and_b32_e32 v0, 7, v0
; %bb.183:                              ;   in Loop: Header=BB281_15 Depth=1
	s_or_b32 exec_lo, exec_lo, s23
	v_lshlrev_b32_e32 v2, 8, v28
	v_lshl_add_u32 v1, v1, 10, 0x2000
	v_lshlrev_b32_e32 v0, 7, v0
	v_and_b32_e32 v2, 0x8000, v2
	v_and_b32_e32 v1, 0xfc00, v1
	v_or3_b32 v113, v2, v1, v0
.LBB281_184:                            ;   in Loop: Header=BB281_15 Depth=1
	s_or_b32 exec_lo, exec_lo, s22
.LBB281_185:                            ;   in Loop: Header=BB281_15 Depth=1
	s_or_b32 exec_lo, exec_lo, s21
.LBB281_186:                            ;   in Loop: Header=BB281_15 Depth=1
	s_or_b32 exec_lo, exec_lo, s20
	v_lshrrev_b16 v3, 8, v3
	v_mov_b32_e32 v83, 0
	v_mov_b32_e32 v116, 0
	s_mov_b32 s20, exec_lo
	v_cmpx_ne_u16_e32 0, v3
	s_cbranch_execz .LBB281_194
; %bb.187:                              ;   in Loop: Header=BB281_15 Depth=1
	v_bfrev_b32_e32 v116, 1
	s_mov_b32 s21, exec_lo
	v_cmpx_ne_u16_e32 0x80, v3
	s_cbranch_execz .LBB281_193
; %bb.188:                              ;   in Loop: Header=BB281_15 Depth=1
	v_mov_b32_e32 v0, 0x7f
	v_mov_b32_e32 v116, 0x7c010000
	s_mov_b32 s22, exec_lo
	v_and_b32_sdwa v2, v3, v0 dst_sel:DWORD dst_unused:UNUSED_PAD src0_sel:WORD_0 src1_sel:DWORD
	v_cmpx_ne_u32_e32 0x7f, v2
	s_cbranch_execz .LBB281_192
; %bb.189:                              ;   in Loop: Header=BB281_15 Depth=1
	v_mov_b32_e32 v0, 7
	v_lshrrev_b32_e32 v1, 3, v2
	s_mov_b32 s23, exec_lo
	v_and_b32_sdwa v0, v3, v0 dst_sel:DWORD dst_unused:UNUSED_PAD src0_sel:WORD_0 src1_sel:DWORD
	v_cmpx_gt_u32_e32 8, v2
; %bb.190:                              ;   in Loop: Header=BB281_15 Depth=1
	v_ffbh_u32_e32 v0, v0
	v_min_u32_e32 v2, 32, v0
	v_subrev_nc_u32_e32 v0, 28, v2
	v_lshlrev_b64 v[0:1], v0, v[3:4]
	v_sub_nc_u32_e32 v1, 29, v2
	v_and_b32_e32 v0, 7, v0
; %bb.191:                              ;   in Loop: Header=BB281_15 Depth=1
	s_or_b32 exec_lo, exec_lo, s23
	v_mov_b32_e32 v2, 8
	v_lshl_add_u32 v1, v1, 10, 0x2000
	v_lshlrev_b32_e32 v0, 23, v0
	v_lshlrev_b32_sdwa v2, v2, v3 dst_sel:DWORD dst_unused:UNUSED_PAD src0_sel:DWORD src1_sel:WORD_0
	v_and_or_b32 v1, 0x8000, v2, v1
	v_lshl_or_b32 v116, v1, 16, v0
.LBB281_192:                            ;   in Loop: Header=BB281_15 Depth=1
	s_or_b32 exec_lo, exec_lo, s22
.LBB281_193:                            ;   in Loop: Header=BB281_15 Depth=1
	s_or_b32 exec_lo, exec_lo, s21
.LBB281_194:                            ;   in Loop: Header=BB281_15 Depth=1
	s_or_b32 exec_lo, exec_lo, s20
	v_lshrrev_b32_e32 v3, 16, v28
	v_cmp_ne_u16_sdwa s5, v3, v4 src0_sel:BYTE_0 src1_sel:DWORD
	s_and_saveexec_b32 s20, s5
	s_cbranch_execz .LBB281_202
; %bb.195:                              ;   in Loop: Header=BB281_15 Depth=1
	v_cmp_ne_u16_sdwa s5, v3, v54 src0_sel:BYTE_0 src1_sel:DWORD
	v_mov_b32_e32 v83, 0x8000
	s_and_saveexec_b32 s21, s5
	s_cbranch_execz .LBB281_201
; %bb.196:                              ;   in Loop: Header=BB281_15 Depth=1
	v_bfe_u32 v2, v28, 16, 7
	v_mov_b32_e32 v83, 0x7c01
	s_mov_b32 s22, exec_lo
	v_cmpx_ne_u32_e32 0x7f, v2
	s_cbranch_execz .LBB281_200
; %bb.197:                              ;   in Loop: Header=BB281_15 Depth=1
	v_and_b32_e32 v0, 7, v3
	v_lshrrev_b32_e32 v1, 3, v2
	s_mov_b32 s23, exec_lo
	v_cmpx_gt_u32_e32 8, v2
; %bb.198:                              ;   in Loop: Header=BB281_15 Depth=1
	v_ffbh_u32_e32 v0, v0
	v_min_u32_e32 v2, 32, v0
	v_subrev_nc_u32_e32 v0, 28, v2
	v_lshlrev_b64 v[0:1], v0, v[3:4]
	v_sub_nc_u32_e32 v1, 29, v2
	v_and_b32_e32 v0, 7, v0
; %bb.199:                              ;   in Loop: Header=BB281_15 Depth=1
	s_or_b32 exec_lo, exec_lo, s23
	v_lshlrev_b32_e32 v2, 8, v3
	v_lshl_add_u32 v1, v1, 10, 0x2000
	v_lshlrev_b32_e32 v0, 7, v0
	v_and_b32_e32 v2, 0x8000, v2
	v_and_b32_e32 v1, 0xfc00, v1
	v_or3_b32 v83, v2, v1, v0
.LBB281_200:                            ;   in Loop: Header=BB281_15 Depth=1
	s_or_b32 exec_lo, exec_lo, s22
.LBB281_201:                            ;   in Loop: Header=BB281_15 Depth=1
	s_or_b32 exec_lo, exec_lo, s21
.LBB281_202:                            ;   in Loop: Header=BB281_15 Depth=1
	s_or_b32 exec_lo, exec_lo, s20
	v_mov_b32_e32 v118, 0
	v_mov_b32_e32 v117, 0
	s_mov_b32 s20, exec_lo
	v_cmpx_lt_u64_e64 s[12:13], v[27:28]
	s_cbranch_execz .LBB281_210
; %bb.203:                              ;   in Loop: Header=BB281_15 Depth=1
	v_lshrrev_b32_e32 v3, 24, v28
	v_bfrev_b32_e32 v117, 1
	s_mov_b32 s21, exec_lo
	v_cmpx_ne_u32_e32 0x80, v3
	s_cbranch_execz .LBB281_209
; %bb.204:                              ;   in Loop: Header=BB281_15 Depth=1
	v_and_b32_e32 v2, 0x7f, v3
	v_mov_b32_e32 v117, 0x7c010000
	s_mov_b32 s22, exec_lo
	v_cmpx_ne_u32_e32 0x7f, v2
	s_cbranch_execz .LBB281_208
; %bb.205:                              ;   in Loop: Header=BB281_15 Depth=1
	v_and_b32_e32 v0, 7, v3
	v_lshrrev_b32_e32 v1, 3, v2
	s_mov_b32 s23, exec_lo
	v_cmpx_gt_u32_e32 8, v2
; %bb.206:                              ;   in Loop: Header=BB281_15 Depth=1
	v_ffbh_u32_e32 v0, v0
	v_min_u32_e32 v2, 32, v0
	v_subrev_nc_u32_e32 v0, 28, v2
	v_lshlrev_b64 v[0:1], v0, v[3:4]
	v_sub_nc_u32_e32 v1, 29, v2
	v_and_b32_e32 v0, 7, v0
; %bb.207:                              ;   in Loop: Header=BB281_15 Depth=1
	s_or_b32 exec_lo, exec_lo, s23
	v_lshlrev_b32_e32 v2, 8, v3
	v_lshl_add_u32 v1, v1, 10, 0x2000
	v_lshlrev_b32_e32 v0, 23, v0
	v_and_or_b32 v1, 0x8000, v2, v1
	v_lshl_or_b32 v117, v1, 16, v0
.LBB281_208:                            ;   in Loop: Header=BB281_15 Depth=1
	s_or_b32 exec_lo, exec_lo, s22
.LBB281_209:                            ;   in Loop: Header=BB281_15 Depth=1
	s_or_b32 exec_lo, exec_lo, s21
.LBB281_210:                            ;   in Loop: Header=BB281_15 Depth=1
	s_or_b32 exec_lo, exec_lo, s20
	flat_load_dwordx2 v[27:28], v[24:25] offset:520
	s_waitcnt vmcnt(0) lgkmcnt(0)
	v_cmp_ne_u16_sdwa s5, v27, v4 src0_sel:BYTE_0 src1_sel:DWORD
	s_and_saveexec_b32 s20, s5
	s_cbranch_execz .LBB281_218
; %bb.211:                              ;   in Loop: Header=BB281_15 Depth=1
	v_cmp_ne_u16_sdwa s5, v27, v54 src0_sel:BYTE_0 src1_sel:DWORD
	v_mov_b32_e32 v118, 0x8000
	s_and_saveexec_b32 s21, s5
	s_cbranch_execz .LBB281_217
; %bb.212:                              ;   in Loop: Header=BB281_15 Depth=1
	v_and_b32_e32 v2, 0x7f, v27
	v_mov_b32_e32 v118, 0x7c01
	s_mov_b32 s22, exec_lo
	v_cmpx_ne_u32_e32 0x7f, v2
	s_cbranch_execz .LBB281_216
; %bb.213:                              ;   in Loop: Header=BB281_15 Depth=1
	v_and_b32_e32 v0, 7, v27
	v_lshrrev_b32_e32 v1, 3, v2
	s_mov_b32 s23, exec_lo
	v_cmpx_gt_u32_e32 8, v2
; %bb.214:                              ;   in Loop: Header=BB281_15 Depth=1
	v_ffbh_u32_e32 v0, v0
	v_min_u32_e32 v2, 32, v0
	v_subrev_nc_u32_e32 v0, 28, v2
	v_lshlrev_b64 v[0:1], v0, v[27:28]
	v_sub_nc_u32_e32 v1, 29, v2
	v_and_b32_e32 v0, 7, v0
; %bb.215:                              ;   in Loop: Header=BB281_15 Depth=1
	s_or_b32 exec_lo, exec_lo, s23
	v_lshlrev_b32_e32 v2, 8, v27
	v_lshl_add_u32 v1, v1, 10, 0x2000
	v_lshlrev_b32_e32 v0, 7, v0
	v_and_b32_e32 v2, 0x8000, v2
	v_and_b32_e32 v1, 0xfc00, v1
	v_or3_b32 v118, v2, v1, v0
.LBB281_216:                            ;   in Loop: Header=BB281_15 Depth=1
	s_or_b32 exec_lo, exec_lo, s22
.LBB281_217:                            ;   in Loop: Header=BB281_15 Depth=1
	s_or_b32 exec_lo, exec_lo, s21
.LBB281_218:                            ;   in Loop: Header=BB281_15 Depth=1
	s_or_b32 exec_lo, exec_lo, s20
	v_lshrrev_b16 v3, 8, v27
	v_mov_b32_e32 v40, 0
	v_mov_b32_e32 v119, 0
	s_mov_b32 s20, exec_lo
	v_cmpx_ne_u16_e32 0, v3
	s_cbranch_execz .LBB281_226
; %bb.219:                              ;   in Loop: Header=BB281_15 Depth=1
	v_bfrev_b32_e32 v119, 1
	s_mov_b32 s21, exec_lo
	v_cmpx_ne_u16_e32 0x80, v3
	s_cbranch_execz .LBB281_225
; %bb.220:                              ;   in Loop: Header=BB281_15 Depth=1
	v_mov_b32_e32 v0, 0x7f
	v_mov_b32_e32 v119, 0x7c010000
	s_mov_b32 s22, exec_lo
	v_and_b32_sdwa v2, v3, v0 dst_sel:DWORD dst_unused:UNUSED_PAD src0_sel:WORD_0 src1_sel:DWORD
	v_cmpx_ne_u32_e32 0x7f, v2
	s_cbranch_execz .LBB281_224
; %bb.221:                              ;   in Loop: Header=BB281_15 Depth=1
	v_mov_b32_e32 v0, 7
	v_lshrrev_b32_e32 v1, 3, v2
	s_mov_b32 s23, exec_lo
	v_and_b32_sdwa v0, v3, v0 dst_sel:DWORD dst_unused:UNUSED_PAD src0_sel:WORD_0 src1_sel:DWORD
	v_cmpx_gt_u32_e32 8, v2
; %bb.222:                              ;   in Loop: Header=BB281_15 Depth=1
	v_ffbh_u32_e32 v0, v0
	v_min_u32_e32 v2, 32, v0
	v_subrev_nc_u32_e32 v0, 28, v2
	v_lshlrev_b64 v[0:1], v0, v[3:4]
	v_sub_nc_u32_e32 v1, 29, v2
	v_and_b32_e32 v0, 7, v0
; %bb.223:                              ;   in Loop: Header=BB281_15 Depth=1
	s_or_b32 exec_lo, exec_lo, s23
	v_mov_b32_e32 v2, 8
	v_lshl_add_u32 v1, v1, 10, 0x2000
	v_lshlrev_b32_e32 v0, 23, v0
	v_lshlrev_b32_sdwa v2, v2, v3 dst_sel:DWORD dst_unused:UNUSED_PAD src0_sel:DWORD src1_sel:WORD_0
	v_and_or_b32 v1, 0x8000, v2, v1
	v_lshl_or_b32 v119, v1, 16, v0
.LBB281_224:                            ;   in Loop: Header=BB281_15 Depth=1
	s_or_b32 exec_lo, exec_lo, s22
.LBB281_225:                            ;   in Loop: Header=BB281_15 Depth=1
	s_or_b32 exec_lo, exec_lo, s21
.LBB281_226:                            ;   in Loop: Header=BB281_15 Depth=1
	s_or_b32 exec_lo, exec_lo, s20
	v_lshrrev_b32_e32 v3, 16, v27
	v_cmp_ne_u16_sdwa s5, v3, v4 src0_sel:BYTE_0 src1_sel:DWORD
	s_and_saveexec_b32 s20, s5
	s_cbranch_execz .LBB281_234
; %bb.227:                              ;   in Loop: Header=BB281_15 Depth=1
	v_cmp_ne_u16_sdwa s5, v3, v54 src0_sel:BYTE_0 src1_sel:DWORD
	v_mov_b32_e32 v40, 0x8000
	s_and_saveexec_b32 s21, s5
	s_cbranch_execz .LBB281_233
; %bb.228:                              ;   in Loop: Header=BB281_15 Depth=1
	v_bfe_u32 v2, v27, 16, 7
	v_mov_b32_e32 v40, 0x7c01
	s_mov_b32 s22, exec_lo
	v_cmpx_ne_u32_e32 0x7f, v2
	s_cbranch_execz .LBB281_232
; %bb.229:                              ;   in Loop: Header=BB281_15 Depth=1
	v_and_b32_e32 v0, 7, v3
	v_lshrrev_b32_e32 v1, 3, v2
	s_mov_b32 s23, exec_lo
	v_cmpx_gt_u32_e32 8, v2
; %bb.230:                              ;   in Loop: Header=BB281_15 Depth=1
	v_ffbh_u32_e32 v0, v0
	v_min_u32_e32 v2, 32, v0
	v_subrev_nc_u32_e32 v0, 28, v2
	v_lshlrev_b64 v[0:1], v0, v[3:4]
	v_sub_nc_u32_e32 v1, 29, v2
	v_and_b32_e32 v0, 7, v0
; %bb.231:                              ;   in Loop: Header=BB281_15 Depth=1
	s_or_b32 exec_lo, exec_lo, s23
	v_lshlrev_b32_e32 v2, 8, v3
	v_lshl_add_u32 v1, v1, 10, 0x2000
	v_lshlrev_b32_e32 v0, 7, v0
	v_and_b32_e32 v2, 0x8000, v2
	v_and_b32_e32 v1, 0xfc00, v1
	v_or3_b32 v40, v2, v1, v0
.LBB281_232:                            ;   in Loop: Header=BB281_15 Depth=1
	s_or_b32 exec_lo, exec_lo, s22
.LBB281_233:                            ;   in Loop: Header=BB281_15 Depth=1
	s_or_b32 exec_lo, exec_lo, s21
.LBB281_234:                            ;   in Loop: Header=BB281_15 Depth=1
	s_or_b32 exec_lo, exec_lo, s20
	v_mov_b32_e32 v41, 0
	v_mov_b32_e32 v42, 0
	s_mov_b32 s20, exec_lo
	v_cmpx_lt_u32_e32 0xffffff, v27
	s_cbranch_execz .LBB281_242
; %bb.235:                              ;   in Loop: Header=BB281_15 Depth=1
	v_lshrrev_b32_e32 v3, 24, v27
	v_bfrev_b32_e32 v42, 1
	s_mov_b32 s21, exec_lo
	v_cmpx_ne_u32_e32 0x80, v3
	s_cbranch_execz .LBB281_241
; %bb.236:                              ;   in Loop: Header=BB281_15 Depth=1
	v_and_b32_e32 v2, 0x7f, v3
	v_mov_b32_e32 v42, 0x7c010000
	s_mov_b32 s22, exec_lo
	v_cmpx_ne_u32_e32 0x7f, v2
	s_cbranch_execz .LBB281_240
; %bb.237:                              ;   in Loop: Header=BB281_15 Depth=1
	v_and_b32_e32 v0, 7, v3
	v_lshrrev_b32_e32 v1, 3, v2
	s_mov_b32 s23, exec_lo
	v_cmpx_gt_u32_e32 8, v2
; %bb.238:                              ;   in Loop: Header=BB281_15 Depth=1
	v_ffbh_u32_e32 v0, v0
	v_min_u32_e32 v2, 32, v0
	v_subrev_nc_u32_e32 v0, 28, v2
	v_lshlrev_b64 v[0:1], v0, v[3:4]
	v_sub_nc_u32_e32 v1, 29, v2
	v_and_b32_e32 v0, 7, v0
; %bb.239:                              ;   in Loop: Header=BB281_15 Depth=1
	s_or_b32 exec_lo, exec_lo, s23
	v_lshlrev_b32_e32 v2, 8, v3
	v_lshl_add_u32 v1, v1, 10, 0x2000
	v_lshlrev_b32_e32 v0, 23, v0
	v_and_or_b32 v1, 0x8000, v2, v1
	v_lshl_or_b32 v42, v1, 16, v0
.LBB281_240:                            ;   in Loop: Header=BB281_15 Depth=1
	s_or_b32 exec_lo, exec_lo, s22
.LBB281_241:                            ;   in Loop: Header=BB281_15 Depth=1
	s_or_b32 exec_lo, exec_lo, s21
.LBB281_242:                            ;   in Loop: Header=BB281_15 Depth=1
	s_or_b32 exec_lo, exec_lo, s20
	v_mov_b32_e32 v3, v28
	v_cmp_ne_u16_sdwa s5, v28, v4 src0_sel:BYTE_0 src1_sel:DWORD
	s_and_saveexec_b32 s20, s5
	s_cbranch_execz .LBB281_250
; %bb.243:                              ;   in Loop: Header=BB281_15 Depth=1
	v_cmp_ne_u16_sdwa s5, v28, v54 src0_sel:BYTE_0 src1_sel:DWORD
	v_mov_b32_e32 v41, 0x8000
	s_and_saveexec_b32 s21, s5
	s_cbranch_execz .LBB281_249
; %bb.244:                              ;   in Loop: Header=BB281_15 Depth=1
	v_and_b32_e32 v2, 0x7f, v28
	v_mov_b32_e32 v41, 0x7c01
	s_mov_b32 s22, exec_lo
	v_cmpx_ne_u32_e32 0x7f, v2
	s_cbranch_execz .LBB281_248
; %bb.245:                              ;   in Loop: Header=BB281_15 Depth=1
	v_and_b32_e32 v0, 7, v28
	v_lshrrev_b32_e32 v1, 3, v2
	s_mov_b32 s23, exec_lo
	v_cmpx_gt_u32_e32 8, v2
; %bb.246:                              ;   in Loop: Header=BB281_15 Depth=1
	v_ffbh_u32_e32 v0, v0
	v_min_u32_e32 v2, 32, v0
	v_subrev_nc_u32_e32 v0, 28, v2
	v_lshlrev_b64 v[0:1], v0, v[3:4]
	v_sub_nc_u32_e32 v1, 29, v2
	v_and_b32_e32 v0, 7, v0
; %bb.247:                              ;   in Loop: Header=BB281_15 Depth=1
	s_or_b32 exec_lo, exec_lo, s23
	v_lshlrev_b32_e32 v2, 8, v28
	v_lshl_add_u32 v1, v1, 10, 0x2000
	v_lshlrev_b32_e32 v0, 7, v0
	v_and_b32_e32 v2, 0x8000, v2
	v_and_b32_e32 v1, 0xfc00, v1
	v_or3_b32 v41, v2, v1, v0
.LBB281_248:                            ;   in Loop: Header=BB281_15 Depth=1
	s_or_b32 exec_lo, exec_lo, s22
.LBB281_249:                            ;   in Loop: Header=BB281_15 Depth=1
	s_or_b32 exec_lo, exec_lo, s21
.LBB281_250:                            ;   in Loop: Header=BB281_15 Depth=1
	s_or_b32 exec_lo, exec_lo, s20
	v_lshrrev_b16 v3, 8, v3
	v_mov_b32_e32 v43, 0
	v_mov_b32_e32 v44, 0
	s_mov_b32 s20, exec_lo
	v_cmpx_ne_u16_e32 0, v3
	s_cbranch_execz .LBB281_258
; %bb.251:                              ;   in Loop: Header=BB281_15 Depth=1
	v_bfrev_b32_e32 v44, 1
	s_mov_b32 s21, exec_lo
	v_cmpx_ne_u16_e32 0x80, v3
	s_cbranch_execz .LBB281_257
; %bb.252:                              ;   in Loop: Header=BB281_15 Depth=1
	v_mov_b32_e32 v0, 0x7f
	v_mov_b32_e32 v44, 0x7c010000
	s_mov_b32 s22, exec_lo
	v_and_b32_sdwa v2, v3, v0 dst_sel:DWORD dst_unused:UNUSED_PAD src0_sel:WORD_0 src1_sel:DWORD
	v_cmpx_ne_u32_e32 0x7f, v2
	s_cbranch_execz .LBB281_256
; %bb.253:                              ;   in Loop: Header=BB281_15 Depth=1
	v_mov_b32_e32 v0, 7
	v_lshrrev_b32_e32 v1, 3, v2
	s_mov_b32 s23, exec_lo
	v_and_b32_sdwa v0, v3, v0 dst_sel:DWORD dst_unused:UNUSED_PAD src0_sel:WORD_0 src1_sel:DWORD
	v_cmpx_gt_u32_e32 8, v2
; %bb.254:                              ;   in Loop: Header=BB281_15 Depth=1
	v_ffbh_u32_e32 v0, v0
	v_min_u32_e32 v2, 32, v0
	v_subrev_nc_u32_e32 v0, 28, v2
	v_lshlrev_b64 v[0:1], v0, v[3:4]
	v_sub_nc_u32_e32 v1, 29, v2
	v_and_b32_e32 v0, 7, v0
; %bb.255:                              ;   in Loop: Header=BB281_15 Depth=1
	s_or_b32 exec_lo, exec_lo, s23
	v_mov_b32_e32 v2, 8
	v_lshl_add_u32 v1, v1, 10, 0x2000
	v_lshlrev_b32_e32 v0, 23, v0
	v_lshlrev_b32_sdwa v2, v2, v3 dst_sel:DWORD dst_unused:UNUSED_PAD src0_sel:DWORD src1_sel:WORD_0
	v_and_or_b32 v1, 0x8000, v2, v1
	v_lshl_or_b32 v44, v1, 16, v0
.LBB281_256:                            ;   in Loop: Header=BB281_15 Depth=1
	s_or_b32 exec_lo, exec_lo, s22
.LBB281_257:                            ;   in Loop: Header=BB281_15 Depth=1
	s_or_b32 exec_lo, exec_lo, s21
.LBB281_258:                            ;   in Loop: Header=BB281_15 Depth=1
	s_or_b32 exec_lo, exec_lo, s20
	v_lshrrev_b32_e32 v3, 16, v28
	v_cmp_ne_u16_sdwa s5, v3, v4 src0_sel:BYTE_0 src1_sel:DWORD
	s_and_saveexec_b32 s20, s5
	s_cbranch_execz .LBB281_266
; %bb.259:                              ;   in Loop: Header=BB281_15 Depth=1
	v_cmp_ne_u16_sdwa s5, v3, v54 src0_sel:BYTE_0 src1_sel:DWORD
	v_mov_b32_e32 v43, 0x8000
	s_and_saveexec_b32 s21, s5
	s_cbranch_execz .LBB281_265
; %bb.260:                              ;   in Loop: Header=BB281_15 Depth=1
	v_bfe_u32 v2, v28, 16, 7
	v_mov_b32_e32 v43, 0x7c01
	s_mov_b32 s22, exec_lo
	v_cmpx_ne_u32_e32 0x7f, v2
	s_cbranch_execz .LBB281_264
; %bb.261:                              ;   in Loop: Header=BB281_15 Depth=1
	v_and_b32_e32 v0, 7, v3
	v_lshrrev_b32_e32 v1, 3, v2
	s_mov_b32 s23, exec_lo
	v_cmpx_gt_u32_e32 8, v2
; %bb.262:                              ;   in Loop: Header=BB281_15 Depth=1
	v_ffbh_u32_e32 v0, v0
	v_min_u32_e32 v2, 32, v0
	v_subrev_nc_u32_e32 v0, 28, v2
	v_lshlrev_b64 v[0:1], v0, v[3:4]
	v_sub_nc_u32_e32 v1, 29, v2
	v_and_b32_e32 v0, 7, v0
; %bb.263:                              ;   in Loop: Header=BB281_15 Depth=1
	s_or_b32 exec_lo, exec_lo, s23
	v_lshlrev_b32_e32 v2, 8, v3
	v_lshl_add_u32 v1, v1, 10, 0x2000
	v_lshlrev_b32_e32 v0, 7, v0
	v_and_b32_e32 v2, 0x8000, v2
	v_and_b32_e32 v1, 0xfc00, v1
	v_or3_b32 v43, v2, v1, v0
.LBB281_264:                            ;   in Loop: Header=BB281_15 Depth=1
	s_or_b32 exec_lo, exec_lo, s22
.LBB281_265:                            ;   in Loop: Header=BB281_15 Depth=1
	s_or_b32 exec_lo, exec_lo, s21
.LBB281_266:                            ;   in Loop: Header=BB281_15 Depth=1
	s_or_b32 exec_lo, exec_lo, s20
	v_mov_b32_e32 v46, 0
	v_mov_b32_e32 v45, 0
	s_mov_b32 s20, exec_lo
	v_cmpx_lt_u64_e64 s[12:13], v[27:28]
	s_cbranch_execz .LBB281_274
; %bb.267:                              ;   in Loop: Header=BB281_15 Depth=1
	v_lshrrev_b32_e32 v3, 24, v28
	v_bfrev_b32_e32 v45, 1
	s_mov_b32 s21, exec_lo
	v_cmpx_ne_u32_e32 0x80, v3
	s_cbranch_execz .LBB281_273
; %bb.268:                              ;   in Loop: Header=BB281_15 Depth=1
	v_and_b32_e32 v2, 0x7f, v3
	v_mov_b32_e32 v45, 0x7c010000
	s_mov_b32 s22, exec_lo
	v_cmpx_ne_u32_e32 0x7f, v2
	s_cbranch_execz .LBB281_272
; %bb.269:                              ;   in Loop: Header=BB281_15 Depth=1
	v_and_b32_e32 v0, 7, v3
	v_lshrrev_b32_e32 v1, 3, v2
	s_mov_b32 s23, exec_lo
	v_cmpx_gt_u32_e32 8, v2
; %bb.270:                              ;   in Loop: Header=BB281_15 Depth=1
	v_ffbh_u32_e32 v0, v0
	v_min_u32_e32 v2, 32, v0
	v_subrev_nc_u32_e32 v0, 28, v2
	v_lshlrev_b64 v[0:1], v0, v[3:4]
	v_sub_nc_u32_e32 v1, 29, v2
	v_and_b32_e32 v0, 7, v0
; %bb.271:                              ;   in Loop: Header=BB281_15 Depth=1
	s_or_b32 exec_lo, exec_lo, s23
	v_lshlrev_b32_e32 v2, 8, v3
	v_lshl_add_u32 v1, v1, 10, 0x2000
	v_lshlrev_b32_e32 v0, 23, v0
	v_and_or_b32 v1, 0x8000, v2, v1
	v_lshl_or_b32 v45, v1, 16, v0
.LBB281_272:                            ;   in Loop: Header=BB281_15 Depth=1
	s_or_b32 exec_lo, exec_lo, s22
.LBB281_273:                            ;   in Loop: Header=BB281_15 Depth=1
	s_or_b32 exec_lo, exec_lo, s21
.LBB281_274:                            ;   in Loop: Header=BB281_15 Depth=1
	s_or_b32 exec_lo, exec_lo, s20
	flat_load_dwordx2 v[27:28], v[24:25] offset:1024
	s_waitcnt vmcnt(0) lgkmcnt(0)
	v_cmp_ne_u16_sdwa s5, v27, v4 src0_sel:BYTE_0 src1_sel:DWORD
	s_and_saveexec_b32 s20, s5
	s_cbranch_execz .LBB281_282
; %bb.275:                              ;   in Loop: Header=BB281_15 Depth=1
	v_cmp_ne_u16_sdwa s5, v27, v54 src0_sel:BYTE_0 src1_sel:DWORD
	v_mov_b32_e32 v46, 0x8000
	s_and_saveexec_b32 s21, s5
	s_cbranch_execz .LBB281_281
; %bb.276:                              ;   in Loop: Header=BB281_15 Depth=1
	v_and_b32_e32 v2, 0x7f, v27
	v_mov_b32_e32 v46, 0x7c01
	s_mov_b32 s22, exec_lo
	v_cmpx_ne_u32_e32 0x7f, v2
	s_cbranch_execz .LBB281_280
; %bb.277:                              ;   in Loop: Header=BB281_15 Depth=1
	v_and_b32_e32 v0, 7, v27
	v_lshrrev_b32_e32 v1, 3, v2
	s_mov_b32 s23, exec_lo
	v_cmpx_gt_u32_e32 8, v2
; %bb.278:                              ;   in Loop: Header=BB281_15 Depth=1
	v_ffbh_u32_e32 v0, v0
	v_min_u32_e32 v2, 32, v0
	v_subrev_nc_u32_e32 v0, 28, v2
	v_lshlrev_b64 v[0:1], v0, v[27:28]
	v_sub_nc_u32_e32 v1, 29, v2
	v_and_b32_e32 v0, 7, v0
; %bb.279:                              ;   in Loop: Header=BB281_15 Depth=1
	s_or_b32 exec_lo, exec_lo, s23
	v_lshlrev_b32_e32 v2, 8, v27
	v_lshl_add_u32 v1, v1, 10, 0x2000
	v_lshlrev_b32_e32 v0, 7, v0
	v_and_b32_e32 v2, 0x8000, v2
	v_and_b32_e32 v1, 0xfc00, v1
	v_or3_b32 v46, v2, v1, v0
.LBB281_280:                            ;   in Loop: Header=BB281_15 Depth=1
	s_or_b32 exec_lo, exec_lo, s22
.LBB281_281:                            ;   in Loop: Header=BB281_15 Depth=1
	s_or_b32 exec_lo, exec_lo, s21
.LBB281_282:                            ;   in Loop: Header=BB281_15 Depth=1
	s_or_b32 exec_lo, exec_lo, s20
	v_lshrrev_b16 v3, 8, v27
	v_mov_b32_e32 v56, 0
	v_mov_b32_e32 v47, 0
	s_mov_b32 s20, exec_lo
	v_cmpx_ne_u16_e32 0, v3
	s_cbranch_execz .LBB281_290
; %bb.283:                              ;   in Loop: Header=BB281_15 Depth=1
	v_bfrev_b32_e32 v47, 1
	s_mov_b32 s21, exec_lo
	v_cmpx_ne_u16_e32 0x80, v3
	s_cbranch_execz .LBB281_289
; %bb.284:                              ;   in Loop: Header=BB281_15 Depth=1
	v_mov_b32_e32 v0, 0x7f
	v_mov_b32_e32 v47, 0x7c010000
	s_mov_b32 s22, exec_lo
	v_and_b32_sdwa v2, v3, v0 dst_sel:DWORD dst_unused:UNUSED_PAD src0_sel:WORD_0 src1_sel:DWORD
	v_cmpx_ne_u32_e32 0x7f, v2
	s_cbranch_execz .LBB281_288
; %bb.285:                              ;   in Loop: Header=BB281_15 Depth=1
	v_mov_b32_e32 v0, 7
	v_lshrrev_b32_e32 v1, 3, v2
	s_mov_b32 s23, exec_lo
	v_and_b32_sdwa v0, v3, v0 dst_sel:DWORD dst_unused:UNUSED_PAD src0_sel:WORD_0 src1_sel:DWORD
	v_cmpx_gt_u32_e32 8, v2
; %bb.286:                              ;   in Loop: Header=BB281_15 Depth=1
	v_ffbh_u32_e32 v0, v0
	v_min_u32_e32 v2, 32, v0
	v_subrev_nc_u32_e32 v0, 28, v2
	v_lshlrev_b64 v[0:1], v0, v[3:4]
	v_sub_nc_u32_e32 v1, 29, v2
	v_and_b32_e32 v0, 7, v0
; %bb.287:                              ;   in Loop: Header=BB281_15 Depth=1
	s_or_b32 exec_lo, exec_lo, s23
	v_mov_b32_e32 v2, 8
	v_lshl_add_u32 v1, v1, 10, 0x2000
	v_lshlrev_b32_e32 v0, 23, v0
	v_lshlrev_b32_sdwa v2, v2, v3 dst_sel:DWORD dst_unused:UNUSED_PAD src0_sel:DWORD src1_sel:WORD_0
	v_and_or_b32 v1, 0x8000, v2, v1
	v_lshl_or_b32 v47, v1, 16, v0
.LBB281_288:                            ;   in Loop: Header=BB281_15 Depth=1
	s_or_b32 exec_lo, exec_lo, s22
.LBB281_289:                            ;   in Loop: Header=BB281_15 Depth=1
	s_or_b32 exec_lo, exec_lo, s21
.LBB281_290:                            ;   in Loop: Header=BB281_15 Depth=1
	s_or_b32 exec_lo, exec_lo, s20
	v_lshrrev_b32_e32 v3, 16, v27
	v_cmp_ne_u16_sdwa s5, v3, v4 src0_sel:BYTE_0 src1_sel:DWORD
	s_and_saveexec_b32 s20, s5
	s_cbranch_execz .LBB281_298
; %bb.291:                              ;   in Loop: Header=BB281_15 Depth=1
	v_cmp_ne_u16_sdwa s5, v3, v54 src0_sel:BYTE_0 src1_sel:DWORD
	v_mov_b32_e32 v56, 0x8000
	s_and_saveexec_b32 s21, s5
	s_cbranch_execz .LBB281_297
; %bb.292:                              ;   in Loop: Header=BB281_15 Depth=1
	v_bfe_u32 v2, v27, 16, 7
	v_mov_b32_e32 v56, 0x7c01
	s_mov_b32 s22, exec_lo
	v_cmpx_ne_u32_e32 0x7f, v2
	s_cbranch_execz .LBB281_296
; %bb.293:                              ;   in Loop: Header=BB281_15 Depth=1
	v_and_b32_e32 v0, 7, v3
	v_lshrrev_b32_e32 v1, 3, v2
	s_mov_b32 s23, exec_lo
	v_cmpx_gt_u32_e32 8, v2
; %bb.294:                              ;   in Loop: Header=BB281_15 Depth=1
	v_ffbh_u32_e32 v0, v0
	v_min_u32_e32 v2, 32, v0
	v_subrev_nc_u32_e32 v0, 28, v2
	v_lshlrev_b64 v[0:1], v0, v[3:4]
	v_sub_nc_u32_e32 v1, 29, v2
	v_and_b32_e32 v0, 7, v0
; %bb.295:                              ;   in Loop: Header=BB281_15 Depth=1
	s_or_b32 exec_lo, exec_lo, s23
	v_lshlrev_b32_e32 v2, 8, v3
	v_lshl_add_u32 v1, v1, 10, 0x2000
	v_lshlrev_b32_e32 v0, 7, v0
	v_and_b32_e32 v2, 0x8000, v2
	v_and_b32_e32 v1, 0xfc00, v1
	v_or3_b32 v56, v2, v1, v0
.LBB281_296:                            ;   in Loop: Header=BB281_15 Depth=1
	s_or_b32 exec_lo, exec_lo, s22
.LBB281_297:                            ;   in Loop: Header=BB281_15 Depth=1
	s_or_b32 exec_lo, exec_lo, s21
.LBB281_298:                            ;   in Loop: Header=BB281_15 Depth=1
	s_or_b32 exec_lo, exec_lo, s20
	v_mov_b32_e32 v57, 0
	v_mov_b32_e32 v58, 0
	s_mov_b32 s20, exec_lo
	v_cmpx_lt_u32_e32 0xffffff, v27
	s_cbranch_execz .LBB281_306
; %bb.299:                              ;   in Loop: Header=BB281_15 Depth=1
	v_lshrrev_b32_e32 v3, 24, v27
	v_bfrev_b32_e32 v58, 1
	s_mov_b32 s21, exec_lo
	v_cmpx_ne_u32_e32 0x80, v3
	s_cbranch_execz .LBB281_305
; %bb.300:                              ;   in Loop: Header=BB281_15 Depth=1
	v_and_b32_e32 v2, 0x7f, v3
	v_mov_b32_e32 v58, 0x7c010000
	s_mov_b32 s22, exec_lo
	v_cmpx_ne_u32_e32 0x7f, v2
	s_cbranch_execz .LBB281_304
; %bb.301:                              ;   in Loop: Header=BB281_15 Depth=1
	v_and_b32_e32 v0, 7, v3
	v_lshrrev_b32_e32 v1, 3, v2
	s_mov_b32 s23, exec_lo
	v_cmpx_gt_u32_e32 8, v2
; %bb.302:                              ;   in Loop: Header=BB281_15 Depth=1
	v_ffbh_u32_e32 v0, v0
	v_min_u32_e32 v2, 32, v0
	v_subrev_nc_u32_e32 v0, 28, v2
	v_lshlrev_b64 v[0:1], v0, v[3:4]
	v_sub_nc_u32_e32 v1, 29, v2
	v_and_b32_e32 v0, 7, v0
; %bb.303:                              ;   in Loop: Header=BB281_15 Depth=1
	s_or_b32 exec_lo, exec_lo, s23
	v_lshlrev_b32_e32 v2, 8, v3
	v_lshl_add_u32 v1, v1, 10, 0x2000
	v_lshlrev_b32_e32 v0, 23, v0
	v_and_or_b32 v1, 0x8000, v2, v1
	v_lshl_or_b32 v58, v1, 16, v0
.LBB281_304:                            ;   in Loop: Header=BB281_15 Depth=1
	s_or_b32 exec_lo, exec_lo, s22
.LBB281_305:                            ;   in Loop: Header=BB281_15 Depth=1
	s_or_b32 exec_lo, exec_lo, s21
.LBB281_306:                            ;   in Loop: Header=BB281_15 Depth=1
	s_or_b32 exec_lo, exec_lo, s20
	v_mov_b32_e32 v3, v28
	v_cmp_ne_u16_sdwa s5, v28, v4 src0_sel:BYTE_0 src1_sel:DWORD
	s_and_saveexec_b32 s20, s5
	s_cbranch_execz .LBB281_314
; %bb.307:                              ;   in Loop: Header=BB281_15 Depth=1
	v_cmp_ne_u16_sdwa s5, v28, v54 src0_sel:BYTE_0 src1_sel:DWORD
	v_mov_b32_e32 v57, 0x8000
	s_and_saveexec_b32 s21, s5
	s_cbranch_execz .LBB281_313
; %bb.308:                              ;   in Loop: Header=BB281_15 Depth=1
	v_and_b32_e32 v2, 0x7f, v28
	v_mov_b32_e32 v57, 0x7c01
	s_mov_b32 s22, exec_lo
	v_cmpx_ne_u32_e32 0x7f, v2
	s_cbranch_execz .LBB281_312
; %bb.309:                              ;   in Loop: Header=BB281_15 Depth=1
	v_and_b32_e32 v0, 7, v28
	v_lshrrev_b32_e32 v1, 3, v2
	s_mov_b32 s23, exec_lo
	v_cmpx_gt_u32_e32 8, v2
; %bb.310:                              ;   in Loop: Header=BB281_15 Depth=1
	v_ffbh_u32_e32 v0, v0
	v_min_u32_e32 v2, 32, v0
	v_subrev_nc_u32_e32 v0, 28, v2
	v_lshlrev_b64 v[0:1], v0, v[3:4]
	v_sub_nc_u32_e32 v1, 29, v2
	v_and_b32_e32 v0, 7, v0
; %bb.311:                              ;   in Loop: Header=BB281_15 Depth=1
	s_or_b32 exec_lo, exec_lo, s23
	v_lshlrev_b32_e32 v2, 8, v28
	v_lshl_add_u32 v1, v1, 10, 0x2000
	v_lshlrev_b32_e32 v0, 7, v0
	v_and_b32_e32 v2, 0x8000, v2
	v_and_b32_e32 v1, 0xfc00, v1
	v_or3_b32 v57, v2, v1, v0
.LBB281_312:                            ;   in Loop: Header=BB281_15 Depth=1
	s_or_b32 exec_lo, exec_lo, s22
.LBB281_313:                            ;   in Loop: Header=BB281_15 Depth=1
	s_or_b32 exec_lo, exec_lo, s21
.LBB281_314:                            ;   in Loop: Header=BB281_15 Depth=1
	s_or_b32 exec_lo, exec_lo, s20
	v_lshrrev_b16 v3, 8, v3
	v_mov_b32_e32 v59, 0
	v_mov_b32_e32 v60, 0
	s_mov_b32 s20, exec_lo
	v_cmpx_ne_u16_e32 0, v3
	s_cbranch_execz .LBB281_322
; %bb.315:                              ;   in Loop: Header=BB281_15 Depth=1
	v_bfrev_b32_e32 v60, 1
	s_mov_b32 s21, exec_lo
	v_cmpx_ne_u16_e32 0x80, v3
	s_cbranch_execz .LBB281_321
; %bb.316:                              ;   in Loop: Header=BB281_15 Depth=1
	v_mov_b32_e32 v0, 0x7f
	v_mov_b32_e32 v60, 0x7c010000
	s_mov_b32 s22, exec_lo
	v_and_b32_sdwa v2, v3, v0 dst_sel:DWORD dst_unused:UNUSED_PAD src0_sel:WORD_0 src1_sel:DWORD
	v_cmpx_ne_u32_e32 0x7f, v2
	s_cbranch_execz .LBB281_320
; %bb.317:                              ;   in Loop: Header=BB281_15 Depth=1
	v_mov_b32_e32 v0, 7
	v_lshrrev_b32_e32 v1, 3, v2
	s_mov_b32 s23, exec_lo
	v_and_b32_sdwa v0, v3, v0 dst_sel:DWORD dst_unused:UNUSED_PAD src0_sel:WORD_0 src1_sel:DWORD
	v_cmpx_gt_u32_e32 8, v2
; %bb.318:                              ;   in Loop: Header=BB281_15 Depth=1
	v_ffbh_u32_e32 v0, v0
	v_min_u32_e32 v2, 32, v0
	v_subrev_nc_u32_e32 v0, 28, v2
	v_lshlrev_b64 v[0:1], v0, v[3:4]
	v_sub_nc_u32_e32 v1, 29, v2
	v_and_b32_e32 v0, 7, v0
; %bb.319:                              ;   in Loop: Header=BB281_15 Depth=1
	s_or_b32 exec_lo, exec_lo, s23
	v_mov_b32_e32 v2, 8
	v_lshl_add_u32 v1, v1, 10, 0x2000
	v_lshlrev_b32_e32 v0, 23, v0
	v_lshlrev_b32_sdwa v2, v2, v3 dst_sel:DWORD dst_unused:UNUSED_PAD src0_sel:DWORD src1_sel:WORD_0
	v_and_or_b32 v1, 0x8000, v2, v1
	v_lshl_or_b32 v60, v1, 16, v0
.LBB281_320:                            ;   in Loop: Header=BB281_15 Depth=1
	s_or_b32 exec_lo, exec_lo, s22
.LBB281_321:                            ;   in Loop: Header=BB281_15 Depth=1
	s_or_b32 exec_lo, exec_lo, s21
.LBB281_322:                            ;   in Loop: Header=BB281_15 Depth=1
	s_or_b32 exec_lo, exec_lo, s20
	v_lshrrev_b32_e32 v3, 16, v28
	v_cmp_ne_u16_sdwa s5, v3, v4 src0_sel:BYTE_0 src1_sel:DWORD
	s_and_saveexec_b32 s20, s5
	s_cbranch_execz .LBB281_330
; %bb.323:                              ;   in Loop: Header=BB281_15 Depth=1
	v_cmp_ne_u16_sdwa s5, v3, v54 src0_sel:BYTE_0 src1_sel:DWORD
	v_mov_b32_e32 v59, 0x8000
	s_and_saveexec_b32 s21, s5
	s_cbranch_execz .LBB281_329
; %bb.324:                              ;   in Loop: Header=BB281_15 Depth=1
	v_bfe_u32 v2, v28, 16, 7
	v_mov_b32_e32 v59, 0x7c01
	s_mov_b32 s22, exec_lo
	v_cmpx_ne_u32_e32 0x7f, v2
	s_cbranch_execz .LBB281_328
; %bb.325:                              ;   in Loop: Header=BB281_15 Depth=1
	v_and_b32_e32 v0, 7, v3
	v_lshrrev_b32_e32 v1, 3, v2
	s_mov_b32 s23, exec_lo
	v_cmpx_gt_u32_e32 8, v2
; %bb.326:                              ;   in Loop: Header=BB281_15 Depth=1
	v_ffbh_u32_e32 v0, v0
	v_min_u32_e32 v2, 32, v0
	v_subrev_nc_u32_e32 v0, 28, v2
	v_lshlrev_b64 v[0:1], v0, v[3:4]
	v_sub_nc_u32_e32 v1, 29, v2
	v_and_b32_e32 v0, 7, v0
; %bb.327:                              ;   in Loop: Header=BB281_15 Depth=1
	s_or_b32 exec_lo, exec_lo, s23
	v_lshlrev_b32_e32 v2, 8, v3
	v_lshl_add_u32 v1, v1, 10, 0x2000
	v_lshlrev_b32_e32 v0, 7, v0
	v_and_b32_e32 v2, 0x8000, v2
	v_and_b32_e32 v1, 0xfc00, v1
	v_or3_b32 v59, v2, v1, v0
.LBB281_328:                            ;   in Loop: Header=BB281_15 Depth=1
	s_or_b32 exec_lo, exec_lo, s22
.LBB281_329:                            ;   in Loop: Header=BB281_15 Depth=1
	s_or_b32 exec_lo, exec_lo, s21
.LBB281_330:                            ;   in Loop: Header=BB281_15 Depth=1
	s_or_b32 exec_lo, exec_lo, s20
	v_mov_b32_e32 v62, 0
	v_mov_b32_e32 v61, 0
	s_mov_b32 s20, exec_lo
	v_cmpx_lt_u64_e64 s[12:13], v[27:28]
	s_cbranch_execz .LBB281_338
; %bb.331:                              ;   in Loop: Header=BB281_15 Depth=1
	v_lshrrev_b32_e32 v3, 24, v28
	v_bfrev_b32_e32 v61, 1
	s_mov_b32 s21, exec_lo
	v_cmpx_ne_u32_e32 0x80, v3
	s_cbranch_execz .LBB281_337
; %bb.332:                              ;   in Loop: Header=BB281_15 Depth=1
	v_and_b32_e32 v2, 0x7f, v3
	v_mov_b32_e32 v61, 0x7c010000
	s_mov_b32 s22, exec_lo
	v_cmpx_ne_u32_e32 0x7f, v2
	s_cbranch_execz .LBB281_336
; %bb.333:                              ;   in Loop: Header=BB281_15 Depth=1
	v_and_b32_e32 v0, 7, v3
	v_lshrrev_b32_e32 v1, 3, v2
	s_mov_b32 s23, exec_lo
	v_cmpx_gt_u32_e32 8, v2
; %bb.334:                              ;   in Loop: Header=BB281_15 Depth=1
	v_ffbh_u32_e32 v0, v0
	v_min_u32_e32 v2, 32, v0
	v_subrev_nc_u32_e32 v0, 28, v2
	v_lshlrev_b64 v[0:1], v0, v[3:4]
	v_sub_nc_u32_e32 v1, 29, v2
	v_and_b32_e32 v0, 7, v0
; %bb.335:                              ;   in Loop: Header=BB281_15 Depth=1
	s_or_b32 exec_lo, exec_lo, s23
	v_lshlrev_b32_e32 v2, 8, v3
	v_lshl_add_u32 v1, v1, 10, 0x2000
	v_lshlrev_b32_e32 v0, 23, v0
	v_and_or_b32 v1, 0x8000, v2, v1
	v_lshl_or_b32 v61, v1, 16, v0
.LBB281_336:                            ;   in Loop: Header=BB281_15 Depth=1
	s_or_b32 exec_lo, exec_lo, s22
.LBB281_337:                            ;   in Loop: Header=BB281_15 Depth=1
	s_or_b32 exec_lo, exec_lo, s21
.LBB281_338:                            ;   in Loop: Header=BB281_15 Depth=1
	s_or_b32 exec_lo, exec_lo, s20
	flat_load_dwordx2 v[27:28], v[24:25] offset:1032
	s_waitcnt vmcnt(0) lgkmcnt(0)
	v_cmp_ne_u16_sdwa s5, v27, v4 src0_sel:BYTE_0 src1_sel:DWORD
	s_and_saveexec_b32 s20, s5
	s_cbranch_execz .LBB281_346
; %bb.339:                              ;   in Loop: Header=BB281_15 Depth=1
	v_cmp_ne_u16_sdwa s5, v27, v54 src0_sel:BYTE_0 src1_sel:DWORD
	v_mov_b32_e32 v62, 0x8000
	s_and_saveexec_b32 s21, s5
	s_cbranch_execz .LBB281_345
; %bb.340:                              ;   in Loop: Header=BB281_15 Depth=1
	v_and_b32_e32 v2, 0x7f, v27
	v_mov_b32_e32 v62, 0x7c01
	s_mov_b32 s22, exec_lo
	v_cmpx_ne_u32_e32 0x7f, v2
	s_cbranch_execz .LBB281_344
; %bb.341:                              ;   in Loop: Header=BB281_15 Depth=1
	v_and_b32_e32 v0, 7, v27
	v_lshrrev_b32_e32 v1, 3, v2
	s_mov_b32 s23, exec_lo
	v_cmpx_gt_u32_e32 8, v2
; %bb.342:                              ;   in Loop: Header=BB281_15 Depth=1
	v_ffbh_u32_e32 v0, v0
	v_min_u32_e32 v2, 32, v0
	v_subrev_nc_u32_e32 v0, 28, v2
	v_lshlrev_b64 v[0:1], v0, v[27:28]
	v_sub_nc_u32_e32 v1, 29, v2
	v_and_b32_e32 v0, 7, v0
; %bb.343:                              ;   in Loop: Header=BB281_15 Depth=1
	s_or_b32 exec_lo, exec_lo, s23
	v_lshlrev_b32_e32 v2, 8, v27
	v_lshl_add_u32 v1, v1, 10, 0x2000
	v_lshlrev_b32_e32 v0, 7, v0
	v_and_b32_e32 v2, 0x8000, v2
	v_and_b32_e32 v1, 0xfc00, v1
	v_or3_b32 v62, v2, v1, v0
.LBB281_344:                            ;   in Loop: Header=BB281_15 Depth=1
	s_or_b32 exec_lo, exec_lo, s22
.LBB281_345:                            ;   in Loop: Header=BB281_15 Depth=1
	s_or_b32 exec_lo, exec_lo, s21
.LBB281_346:                            ;   in Loop: Header=BB281_15 Depth=1
	s_or_b32 exec_lo, exec_lo, s20
	v_lshrrev_b16 v3, 8, v27
	v_mov_b32_e32 v72, 0
	v_mov_b32_e32 v63, 0
	s_mov_b32 s20, exec_lo
	v_cmpx_ne_u16_e32 0, v3
	s_cbranch_execz .LBB281_354
; %bb.347:                              ;   in Loop: Header=BB281_15 Depth=1
	v_bfrev_b32_e32 v63, 1
	s_mov_b32 s21, exec_lo
	v_cmpx_ne_u16_e32 0x80, v3
	s_cbranch_execz .LBB281_353
; %bb.348:                              ;   in Loop: Header=BB281_15 Depth=1
	v_mov_b32_e32 v0, 0x7f
	v_mov_b32_e32 v63, 0x7c010000
	s_mov_b32 s22, exec_lo
	v_and_b32_sdwa v2, v3, v0 dst_sel:DWORD dst_unused:UNUSED_PAD src0_sel:WORD_0 src1_sel:DWORD
	v_cmpx_ne_u32_e32 0x7f, v2
	s_cbranch_execz .LBB281_352
; %bb.349:                              ;   in Loop: Header=BB281_15 Depth=1
	v_mov_b32_e32 v0, 7
	v_lshrrev_b32_e32 v1, 3, v2
	s_mov_b32 s23, exec_lo
	v_and_b32_sdwa v0, v3, v0 dst_sel:DWORD dst_unused:UNUSED_PAD src0_sel:WORD_0 src1_sel:DWORD
	v_cmpx_gt_u32_e32 8, v2
; %bb.350:                              ;   in Loop: Header=BB281_15 Depth=1
	v_ffbh_u32_e32 v0, v0
	v_min_u32_e32 v2, 32, v0
	v_subrev_nc_u32_e32 v0, 28, v2
	v_lshlrev_b64 v[0:1], v0, v[3:4]
	v_sub_nc_u32_e32 v1, 29, v2
	v_and_b32_e32 v0, 7, v0
; %bb.351:                              ;   in Loop: Header=BB281_15 Depth=1
	s_or_b32 exec_lo, exec_lo, s23
	v_mov_b32_e32 v2, 8
	v_lshl_add_u32 v1, v1, 10, 0x2000
	v_lshlrev_b32_e32 v0, 23, v0
	v_lshlrev_b32_sdwa v2, v2, v3 dst_sel:DWORD dst_unused:UNUSED_PAD src0_sel:DWORD src1_sel:WORD_0
	v_and_or_b32 v1, 0x8000, v2, v1
	v_lshl_or_b32 v63, v1, 16, v0
.LBB281_352:                            ;   in Loop: Header=BB281_15 Depth=1
	s_or_b32 exec_lo, exec_lo, s22
.LBB281_353:                            ;   in Loop: Header=BB281_15 Depth=1
	s_or_b32 exec_lo, exec_lo, s21
.LBB281_354:                            ;   in Loop: Header=BB281_15 Depth=1
	s_or_b32 exec_lo, exec_lo, s20
	v_lshrrev_b32_e32 v3, 16, v27
	v_cmp_ne_u16_sdwa s5, v3, v4 src0_sel:BYTE_0 src1_sel:DWORD
	s_and_saveexec_b32 s20, s5
	s_cbranch_execz .LBB281_362
; %bb.355:                              ;   in Loop: Header=BB281_15 Depth=1
	v_cmp_ne_u16_sdwa s5, v3, v54 src0_sel:BYTE_0 src1_sel:DWORD
	v_mov_b32_e32 v72, 0x8000
	s_and_saveexec_b32 s21, s5
	s_cbranch_execz .LBB281_361
; %bb.356:                              ;   in Loop: Header=BB281_15 Depth=1
	v_bfe_u32 v2, v27, 16, 7
	v_mov_b32_e32 v72, 0x7c01
	s_mov_b32 s22, exec_lo
	v_cmpx_ne_u32_e32 0x7f, v2
	s_cbranch_execz .LBB281_360
; %bb.357:                              ;   in Loop: Header=BB281_15 Depth=1
	v_and_b32_e32 v0, 7, v3
	v_lshrrev_b32_e32 v1, 3, v2
	s_mov_b32 s23, exec_lo
	v_cmpx_gt_u32_e32 8, v2
; %bb.358:                              ;   in Loop: Header=BB281_15 Depth=1
	v_ffbh_u32_e32 v0, v0
	v_min_u32_e32 v2, 32, v0
	v_subrev_nc_u32_e32 v0, 28, v2
	v_lshlrev_b64 v[0:1], v0, v[3:4]
	v_sub_nc_u32_e32 v1, 29, v2
	v_and_b32_e32 v0, 7, v0
; %bb.359:                              ;   in Loop: Header=BB281_15 Depth=1
	s_or_b32 exec_lo, exec_lo, s23
	v_lshlrev_b32_e32 v2, 8, v3
	v_lshl_add_u32 v1, v1, 10, 0x2000
	v_lshlrev_b32_e32 v0, 7, v0
	v_and_b32_e32 v2, 0x8000, v2
	v_and_b32_e32 v1, 0xfc00, v1
	v_or3_b32 v72, v2, v1, v0
.LBB281_360:                            ;   in Loop: Header=BB281_15 Depth=1
	s_or_b32 exec_lo, exec_lo, s22
.LBB281_361:                            ;   in Loop: Header=BB281_15 Depth=1
	s_or_b32 exec_lo, exec_lo, s21
.LBB281_362:                            ;   in Loop: Header=BB281_15 Depth=1
	s_or_b32 exec_lo, exec_lo, s20
	v_mov_b32_e32 v73, 0
	v_mov_b32_e32 v74, 0
	s_mov_b32 s20, exec_lo
	v_cmpx_lt_u32_e32 0xffffff, v27
	s_cbranch_execz .LBB281_370
; %bb.363:                              ;   in Loop: Header=BB281_15 Depth=1
	v_lshrrev_b32_e32 v3, 24, v27
	v_bfrev_b32_e32 v74, 1
	s_mov_b32 s21, exec_lo
	v_cmpx_ne_u32_e32 0x80, v3
	s_cbranch_execz .LBB281_369
; %bb.364:                              ;   in Loop: Header=BB281_15 Depth=1
	v_and_b32_e32 v2, 0x7f, v3
	v_mov_b32_e32 v74, 0x7c010000
	s_mov_b32 s22, exec_lo
	v_cmpx_ne_u32_e32 0x7f, v2
	s_cbranch_execz .LBB281_368
; %bb.365:                              ;   in Loop: Header=BB281_15 Depth=1
	v_and_b32_e32 v0, 7, v3
	v_lshrrev_b32_e32 v1, 3, v2
	s_mov_b32 s23, exec_lo
	v_cmpx_gt_u32_e32 8, v2
; %bb.366:                              ;   in Loop: Header=BB281_15 Depth=1
	v_ffbh_u32_e32 v0, v0
	v_min_u32_e32 v2, 32, v0
	v_subrev_nc_u32_e32 v0, 28, v2
	v_lshlrev_b64 v[0:1], v0, v[3:4]
	v_sub_nc_u32_e32 v1, 29, v2
	v_and_b32_e32 v0, 7, v0
; %bb.367:                              ;   in Loop: Header=BB281_15 Depth=1
	s_or_b32 exec_lo, exec_lo, s23
	v_lshlrev_b32_e32 v2, 8, v3
	v_lshl_add_u32 v1, v1, 10, 0x2000
	v_lshlrev_b32_e32 v0, 23, v0
	v_and_or_b32 v1, 0x8000, v2, v1
	v_lshl_or_b32 v74, v1, 16, v0
.LBB281_368:                            ;   in Loop: Header=BB281_15 Depth=1
	s_or_b32 exec_lo, exec_lo, s22
.LBB281_369:                            ;   in Loop: Header=BB281_15 Depth=1
	s_or_b32 exec_lo, exec_lo, s21
.LBB281_370:                            ;   in Loop: Header=BB281_15 Depth=1
	s_or_b32 exec_lo, exec_lo, s20
	v_mov_b32_e32 v3, v28
	v_cmp_ne_u16_sdwa s5, v28, v4 src0_sel:BYTE_0 src1_sel:DWORD
	s_and_saveexec_b32 s20, s5
	s_cbranch_execz .LBB281_378
; %bb.371:                              ;   in Loop: Header=BB281_15 Depth=1
	v_cmp_ne_u16_sdwa s5, v28, v54 src0_sel:BYTE_0 src1_sel:DWORD
	v_mov_b32_e32 v73, 0x8000
	s_and_saveexec_b32 s21, s5
	s_cbranch_execz .LBB281_377
; %bb.372:                              ;   in Loop: Header=BB281_15 Depth=1
	v_and_b32_e32 v2, 0x7f, v28
	v_mov_b32_e32 v73, 0x7c01
	s_mov_b32 s22, exec_lo
	v_cmpx_ne_u32_e32 0x7f, v2
	s_cbranch_execz .LBB281_376
; %bb.373:                              ;   in Loop: Header=BB281_15 Depth=1
	v_and_b32_e32 v0, 7, v28
	v_lshrrev_b32_e32 v1, 3, v2
	s_mov_b32 s23, exec_lo
	v_cmpx_gt_u32_e32 8, v2
; %bb.374:                              ;   in Loop: Header=BB281_15 Depth=1
	v_ffbh_u32_e32 v0, v0
	v_min_u32_e32 v2, 32, v0
	v_subrev_nc_u32_e32 v0, 28, v2
	v_lshlrev_b64 v[0:1], v0, v[3:4]
	v_sub_nc_u32_e32 v1, 29, v2
	v_and_b32_e32 v0, 7, v0
; %bb.375:                              ;   in Loop: Header=BB281_15 Depth=1
	s_or_b32 exec_lo, exec_lo, s23
	v_lshlrev_b32_e32 v2, 8, v28
	v_lshl_add_u32 v1, v1, 10, 0x2000
	v_lshlrev_b32_e32 v0, 7, v0
	v_and_b32_e32 v2, 0x8000, v2
	v_and_b32_e32 v1, 0xfc00, v1
	v_or3_b32 v73, v2, v1, v0
.LBB281_376:                            ;   in Loop: Header=BB281_15 Depth=1
	s_or_b32 exec_lo, exec_lo, s22
.LBB281_377:                            ;   in Loop: Header=BB281_15 Depth=1
	s_or_b32 exec_lo, exec_lo, s21
.LBB281_378:                            ;   in Loop: Header=BB281_15 Depth=1
	s_or_b32 exec_lo, exec_lo, s20
	v_lshrrev_b16 v3, 8, v3
	v_mov_b32_e32 v75, 0
	v_mov_b32_e32 v76, 0
	s_mov_b32 s20, exec_lo
	v_cmpx_ne_u16_e32 0, v3
	s_cbranch_execz .LBB281_386
; %bb.379:                              ;   in Loop: Header=BB281_15 Depth=1
	v_bfrev_b32_e32 v76, 1
	s_mov_b32 s21, exec_lo
	v_cmpx_ne_u16_e32 0x80, v3
	s_cbranch_execz .LBB281_385
; %bb.380:                              ;   in Loop: Header=BB281_15 Depth=1
	v_mov_b32_e32 v0, 0x7f
	v_mov_b32_e32 v76, 0x7c010000
	s_mov_b32 s22, exec_lo
	v_and_b32_sdwa v2, v3, v0 dst_sel:DWORD dst_unused:UNUSED_PAD src0_sel:WORD_0 src1_sel:DWORD
	v_cmpx_ne_u32_e32 0x7f, v2
	s_cbranch_execz .LBB281_384
; %bb.381:                              ;   in Loop: Header=BB281_15 Depth=1
	v_mov_b32_e32 v0, 7
	v_lshrrev_b32_e32 v1, 3, v2
	s_mov_b32 s23, exec_lo
	v_and_b32_sdwa v0, v3, v0 dst_sel:DWORD dst_unused:UNUSED_PAD src0_sel:WORD_0 src1_sel:DWORD
	v_cmpx_gt_u32_e32 8, v2
; %bb.382:                              ;   in Loop: Header=BB281_15 Depth=1
	v_ffbh_u32_e32 v0, v0
	v_min_u32_e32 v2, 32, v0
	v_subrev_nc_u32_e32 v0, 28, v2
	v_lshlrev_b64 v[0:1], v0, v[3:4]
	v_sub_nc_u32_e32 v1, 29, v2
	v_and_b32_e32 v0, 7, v0
; %bb.383:                              ;   in Loop: Header=BB281_15 Depth=1
	s_or_b32 exec_lo, exec_lo, s23
	v_mov_b32_e32 v2, 8
	v_lshl_add_u32 v1, v1, 10, 0x2000
	v_lshlrev_b32_e32 v0, 23, v0
	v_lshlrev_b32_sdwa v2, v2, v3 dst_sel:DWORD dst_unused:UNUSED_PAD src0_sel:DWORD src1_sel:WORD_0
	v_and_or_b32 v1, 0x8000, v2, v1
	v_lshl_or_b32 v76, v1, 16, v0
.LBB281_384:                            ;   in Loop: Header=BB281_15 Depth=1
	s_or_b32 exec_lo, exec_lo, s22
.LBB281_385:                            ;   in Loop: Header=BB281_15 Depth=1
	s_or_b32 exec_lo, exec_lo, s21
.LBB281_386:                            ;   in Loop: Header=BB281_15 Depth=1
	s_or_b32 exec_lo, exec_lo, s20
	v_lshrrev_b32_e32 v3, 16, v28
	v_cmp_ne_u16_sdwa s5, v3, v4 src0_sel:BYTE_0 src1_sel:DWORD
	s_and_saveexec_b32 s20, s5
	s_cbranch_execz .LBB281_394
; %bb.387:                              ;   in Loop: Header=BB281_15 Depth=1
	v_cmp_ne_u16_sdwa s5, v3, v54 src0_sel:BYTE_0 src1_sel:DWORD
	v_mov_b32_e32 v75, 0x8000
	s_and_saveexec_b32 s21, s5
	s_cbranch_execz .LBB281_393
; %bb.388:                              ;   in Loop: Header=BB281_15 Depth=1
	v_bfe_u32 v2, v28, 16, 7
	v_mov_b32_e32 v75, 0x7c01
	s_mov_b32 s22, exec_lo
	v_cmpx_ne_u32_e32 0x7f, v2
	s_cbranch_execz .LBB281_392
; %bb.389:                              ;   in Loop: Header=BB281_15 Depth=1
	v_and_b32_e32 v0, 7, v3
	v_lshrrev_b32_e32 v1, 3, v2
	s_mov_b32 s23, exec_lo
	v_cmpx_gt_u32_e32 8, v2
; %bb.390:                              ;   in Loop: Header=BB281_15 Depth=1
	v_ffbh_u32_e32 v0, v0
	v_min_u32_e32 v2, 32, v0
	v_subrev_nc_u32_e32 v0, 28, v2
	v_lshlrev_b64 v[0:1], v0, v[3:4]
	v_sub_nc_u32_e32 v1, 29, v2
	v_and_b32_e32 v0, 7, v0
; %bb.391:                              ;   in Loop: Header=BB281_15 Depth=1
	s_or_b32 exec_lo, exec_lo, s23
	v_lshlrev_b32_e32 v2, 8, v3
	v_lshl_add_u32 v1, v1, 10, 0x2000
	v_lshlrev_b32_e32 v0, 7, v0
	v_and_b32_e32 v2, 0x8000, v2
	v_and_b32_e32 v1, 0xfc00, v1
	v_or3_b32 v75, v2, v1, v0
.LBB281_392:                            ;   in Loop: Header=BB281_15 Depth=1
	s_or_b32 exec_lo, exec_lo, s22
.LBB281_393:                            ;   in Loop: Header=BB281_15 Depth=1
	s_or_b32 exec_lo, exec_lo, s21
.LBB281_394:                            ;   in Loop: Header=BB281_15 Depth=1
	s_or_b32 exec_lo, exec_lo, s20
	v_mov_b32_e32 v78, 0
	v_mov_b32_e32 v77, 0
	s_mov_b32 s20, exec_lo
	v_cmpx_lt_u64_e64 s[12:13], v[27:28]
	s_cbranch_execz .LBB281_402
; %bb.395:                              ;   in Loop: Header=BB281_15 Depth=1
	v_lshrrev_b32_e32 v3, 24, v28
	v_bfrev_b32_e32 v77, 1
	s_mov_b32 s21, exec_lo
	v_cmpx_ne_u32_e32 0x80, v3
	s_cbranch_execz .LBB281_401
; %bb.396:                              ;   in Loop: Header=BB281_15 Depth=1
	v_and_b32_e32 v2, 0x7f, v3
	v_mov_b32_e32 v77, 0x7c010000
	s_mov_b32 s22, exec_lo
	v_cmpx_ne_u32_e32 0x7f, v2
	s_cbranch_execz .LBB281_400
; %bb.397:                              ;   in Loop: Header=BB281_15 Depth=1
	v_and_b32_e32 v0, 7, v3
	v_lshrrev_b32_e32 v1, 3, v2
	s_mov_b32 s23, exec_lo
	v_cmpx_gt_u32_e32 8, v2
; %bb.398:                              ;   in Loop: Header=BB281_15 Depth=1
	v_ffbh_u32_e32 v0, v0
	v_min_u32_e32 v2, 32, v0
	v_subrev_nc_u32_e32 v0, 28, v2
	v_lshlrev_b64 v[0:1], v0, v[3:4]
	v_sub_nc_u32_e32 v1, 29, v2
	v_and_b32_e32 v0, 7, v0
; %bb.399:                              ;   in Loop: Header=BB281_15 Depth=1
	s_or_b32 exec_lo, exec_lo, s23
	v_lshlrev_b32_e32 v2, 8, v3
	v_lshl_add_u32 v1, v1, 10, 0x2000
	v_lshlrev_b32_e32 v0, 23, v0
	v_and_or_b32 v1, 0x8000, v2, v1
	v_lshl_or_b32 v77, v1, 16, v0
.LBB281_400:                            ;   in Loop: Header=BB281_15 Depth=1
	s_or_b32 exec_lo, exec_lo, s22
.LBB281_401:                            ;   in Loop: Header=BB281_15 Depth=1
	s_or_b32 exec_lo, exec_lo, s21
.LBB281_402:                            ;   in Loop: Header=BB281_15 Depth=1
	s_or_b32 exec_lo, exec_lo, s20
	flat_load_dwordx2 v[27:28], v[24:25] offset:1536
	s_waitcnt vmcnt(0) lgkmcnt(0)
	v_cmp_ne_u16_sdwa s5, v27, v4 src0_sel:BYTE_0 src1_sel:DWORD
	s_and_saveexec_b32 s20, s5
	s_cbranch_execz .LBB281_410
; %bb.403:                              ;   in Loop: Header=BB281_15 Depth=1
	v_cmp_ne_u16_sdwa s5, v27, v54 src0_sel:BYTE_0 src1_sel:DWORD
	v_mov_b32_e32 v78, 0x8000
	s_and_saveexec_b32 s21, s5
	s_cbranch_execz .LBB281_409
; %bb.404:                              ;   in Loop: Header=BB281_15 Depth=1
	v_and_b32_e32 v2, 0x7f, v27
	v_mov_b32_e32 v78, 0x7c01
	s_mov_b32 s22, exec_lo
	v_cmpx_ne_u32_e32 0x7f, v2
	s_cbranch_execz .LBB281_408
; %bb.405:                              ;   in Loop: Header=BB281_15 Depth=1
	v_and_b32_e32 v0, 7, v27
	v_lshrrev_b32_e32 v1, 3, v2
	s_mov_b32 s23, exec_lo
	v_cmpx_gt_u32_e32 8, v2
; %bb.406:                              ;   in Loop: Header=BB281_15 Depth=1
	v_ffbh_u32_e32 v0, v0
	v_min_u32_e32 v2, 32, v0
	v_subrev_nc_u32_e32 v0, 28, v2
	v_lshlrev_b64 v[0:1], v0, v[27:28]
	v_sub_nc_u32_e32 v1, 29, v2
	v_and_b32_e32 v0, 7, v0
; %bb.407:                              ;   in Loop: Header=BB281_15 Depth=1
	s_or_b32 exec_lo, exec_lo, s23
	v_lshlrev_b32_e32 v2, 8, v27
	v_lshl_add_u32 v1, v1, 10, 0x2000
	v_lshlrev_b32_e32 v0, 7, v0
	v_and_b32_e32 v2, 0x8000, v2
	v_and_b32_e32 v1, 0xfc00, v1
	v_or3_b32 v78, v2, v1, v0
.LBB281_408:                            ;   in Loop: Header=BB281_15 Depth=1
	s_or_b32 exec_lo, exec_lo, s22
.LBB281_409:                            ;   in Loop: Header=BB281_15 Depth=1
	s_or_b32 exec_lo, exec_lo, s21
.LBB281_410:                            ;   in Loop: Header=BB281_15 Depth=1
	s_or_b32 exec_lo, exec_lo, s20
	v_lshrrev_b16 v3, 8, v27
	v_mov_b32_e32 v90, 0
	v_mov_b32_e32 v89, 0
	s_mov_b32 s20, exec_lo
	v_cmpx_ne_u16_e32 0, v3
	s_cbranch_execz .LBB281_418
; %bb.411:                              ;   in Loop: Header=BB281_15 Depth=1
	v_bfrev_b32_e32 v89, 1
	s_mov_b32 s21, exec_lo
	v_cmpx_ne_u16_e32 0x80, v3
	s_cbranch_execz .LBB281_417
; %bb.412:                              ;   in Loop: Header=BB281_15 Depth=1
	v_mov_b32_e32 v0, 0x7f
	v_mov_b32_e32 v89, 0x7c010000
	s_mov_b32 s22, exec_lo
	v_and_b32_sdwa v2, v3, v0 dst_sel:DWORD dst_unused:UNUSED_PAD src0_sel:WORD_0 src1_sel:DWORD
	v_cmpx_ne_u32_e32 0x7f, v2
	s_cbranch_execz .LBB281_416
; %bb.413:                              ;   in Loop: Header=BB281_15 Depth=1
	v_mov_b32_e32 v0, 7
	v_lshrrev_b32_e32 v1, 3, v2
	s_mov_b32 s23, exec_lo
	v_and_b32_sdwa v0, v3, v0 dst_sel:DWORD dst_unused:UNUSED_PAD src0_sel:WORD_0 src1_sel:DWORD
	v_cmpx_gt_u32_e32 8, v2
; %bb.414:                              ;   in Loop: Header=BB281_15 Depth=1
	v_ffbh_u32_e32 v0, v0
	v_min_u32_e32 v2, 32, v0
	v_subrev_nc_u32_e32 v0, 28, v2
	v_lshlrev_b64 v[0:1], v0, v[3:4]
	v_sub_nc_u32_e32 v1, 29, v2
	v_and_b32_e32 v0, 7, v0
; %bb.415:                              ;   in Loop: Header=BB281_15 Depth=1
	s_or_b32 exec_lo, exec_lo, s23
	v_mov_b32_e32 v2, 8
	v_lshl_add_u32 v1, v1, 10, 0x2000
	v_lshlrev_b32_e32 v0, 23, v0
	v_lshlrev_b32_sdwa v2, v2, v3 dst_sel:DWORD dst_unused:UNUSED_PAD src0_sel:DWORD src1_sel:WORD_0
	v_and_or_b32 v1, 0x8000, v2, v1
	v_lshl_or_b32 v89, v1, 16, v0
.LBB281_416:                            ;   in Loop: Header=BB281_15 Depth=1
	s_or_b32 exec_lo, exec_lo, s22
.LBB281_417:                            ;   in Loop: Header=BB281_15 Depth=1
	s_or_b32 exec_lo, exec_lo, s21
.LBB281_418:                            ;   in Loop: Header=BB281_15 Depth=1
	s_or_b32 exec_lo, exec_lo, s20
	v_lshrrev_b32_e32 v3, 16, v27
	v_cmp_ne_u16_sdwa s5, v3, v4 src0_sel:BYTE_0 src1_sel:DWORD
	s_and_saveexec_b32 s20, s5
	s_cbranch_execz .LBB281_426
; %bb.419:                              ;   in Loop: Header=BB281_15 Depth=1
	v_cmp_ne_u16_sdwa s5, v3, v54 src0_sel:BYTE_0 src1_sel:DWORD
	v_mov_b32_e32 v90, 0x8000
	s_and_saveexec_b32 s21, s5
	s_cbranch_execz .LBB281_425
; %bb.420:                              ;   in Loop: Header=BB281_15 Depth=1
	v_bfe_u32 v2, v27, 16, 7
	v_mov_b32_e32 v90, 0x7c01
	s_mov_b32 s22, exec_lo
	v_cmpx_ne_u32_e32 0x7f, v2
	s_cbranch_execz .LBB281_424
; %bb.421:                              ;   in Loop: Header=BB281_15 Depth=1
	v_and_b32_e32 v0, 7, v3
	v_lshrrev_b32_e32 v1, 3, v2
	s_mov_b32 s23, exec_lo
	v_cmpx_gt_u32_e32 8, v2
; %bb.422:                              ;   in Loop: Header=BB281_15 Depth=1
	v_ffbh_u32_e32 v0, v0
	v_min_u32_e32 v2, 32, v0
	v_subrev_nc_u32_e32 v0, 28, v2
	v_lshlrev_b64 v[0:1], v0, v[3:4]
	v_sub_nc_u32_e32 v1, 29, v2
	v_and_b32_e32 v0, 7, v0
; %bb.423:                              ;   in Loop: Header=BB281_15 Depth=1
	s_or_b32 exec_lo, exec_lo, s23
	v_lshlrev_b32_e32 v2, 8, v3
	v_lshl_add_u32 v1, v1, 10, 0x2000
	v_lshlrev_b32_e32 v0, 7, v0
	v_and_b32_e32 v2, 0x8000, v2
	v_and_b32_e32 v1, 0xfc00, v1
	v_or3_b32 v90, v2, v1, v0
.LBB281_424:                            ;   in Loop: Header=BB281_15 Depth=1
	s_or_b32 exec_lo, exec_lo, s22
.LBB281_425:                            ;   in Loop: Header=BB281_15 Depth=1
	s_or_b32 exec_lo, exec_lo, s21
.LBB281_426:                            ;   in Loop: Header=BB281_15 Depth=1
	s_or_b32 exec_lo, exec_lo, s20
	v_mov_b32_e32 v95, 0
	v_mov_b32_e32 v104, 0
	s_mov_b32 s20, exec_lo
	v_cmpx_lt_u32_e32 0xffffff, v27
	s_cbranch_execz .LBB281_434
; %bb.427:                              ;   in Loop: Header=BB281_15 Depth=1
	v_lshrrev_b32_e32 v3, 24, v27
	v_bfrev_b32_e32 v104, 1
	s_mov_b32 s21, exec_lo
	v_cmpx_ne_u32_e32 0x80, v3
	s_cbranch_execz .LBB281_433
; %bb.428:                              ;   in Loop: Header=BB281_15 Depth=1
	v_and_b32_e32 v2, 0x7f, v3
	v_mov_b32_e32 v104, 0x7c010000
	s_mov_b32 s22, exec_lo
	v_cmpx_ne_u32_e32 0x7f, v2
	s_cbranch_execz .LBB281_432
; %bb.429:                              ;   in Loop: Header=BB281_15 Depth=1
	v_and_b32_e32 v0, 7, v3
	v_lshrrev_b32_e32 v1, 3, v2
	s_mov_b32 s23, exec_lo
	v_cmpx_gt_u32_e32 8, v2
; %bb.430:                              ;   in Loop: Header=BB281_15 Depth=1
	v_ffbh_u32_e32 v0, v0
	v_min_u32_e32 v2, 32, v0
	v_subrev_nc_u32_e32 v0, 28, v2
	v_lshlrev_b64 v[0:1], v0, v[3:4]
	v_sub_nc_u32_e32 v1, 29, v2
	v_and_b32_e32 v0, 7, v0
; %bb.431:                              ;   in Loop: Header=BB281_15 Depth=1
	s_or_b32 exec_lo, exec_lo, s23
	v_lshlrev_b32_e32 v2, 8, v3
	v_lshl_add_u32 v1, v1, 10, 0x2000
	v_lshlrev_b32_e32 v0, 23, v0
	v_and_or_b32 v1, 0x8000, v2, v1
	v_lshl_or_b32 v104, v1, 16, v0
.LBB281_432:                            ;   in Loop: Header=BB281_15 Depth=1
	s_or_b32 exec_lo, exec_lo, s22
.LBB281_433:                            ;   in Loop: Header=BB281_15 Depth=1
	s_or_b32 exec_lo, exec_lo, s21
.LBB281_434:                            ;   in Loop: Header=BB281_15 Depth=1
	s_or_b32 exec_lo, exec_lo, s20
	v_mov_b32_e32 v3, v28
	v_cmp_ne_u16_sdwa s5, v28, v4 src0_sel:BYTE_0 src1_sel:DWORD
	s_and_saveexec_b32 s20, s5
	s_cbranch_execz .LBB281_442
; %bb.435:                              ;   in Loop: Header=BB281_15 Depth=1
	v_cmp_ne_u16_sdwa s5, v28, v54 src0_sel:BYTE_0 src1_sel:DWORD
	v_mov_b32_e32 v95, 0x8000
	s_and_saveexec_b32 s21, s5
	s_cbranch_execz .LBB281_441
; %bb.436:                              ;   in Loop: Header=BB281_15 Depth=1
	v_and_b32_e32 v2, 0x7f, v28
	v_mov_b32_e32 v95, 0x7c01
	s_mov_b32 s22, exec_lo
	v_cmpx_ne_u32_e32 0x7f, v2
	s_cbranch_execz .LBB281_440
; %bb.437:                              ;   in Loop: Header=BB281_15 Depth=1
	v_and_b32_e32 v0, 7, v28
	v_lshrrev_b32_e32 v1, 3, v2
	s_mov_b32 s23, exec_lo
	v_cmpx_gt_u32_e32 8, v2
; %bb.438:                              ;   in Loop: Header=BB281_15 Depth=1
	v_ffbh_u32_e32 v0, v0
	v_min_u32_e32 v2, 32, v0
	v_subrev_nc_u32_e32 v0, 28, v2
	v_lshlrev_b64 v[0:1], v0, v[3:4]
	v_sub_nc_u32_e32 v1, 29, v2
	v_and_b32_e32 v0, 7, v0
; %bb.439:                              ;   in Loop: Header=BB281_15 Depth=1
	s_or_b32 exec_lo, exec_lo, s23
	v_lshlrev_b32_e32 v2, 8, v28
	v_lshl_add_u32 v1, v1, 10, 0x2000
	v_lshlrev_b32_e32 v0, 7, v0
	v_and_b32_e32 v2, 0x8000, v2
	v_and_b32_e32 v1, 0xfc00, v1
	v_or3_b32 v95, v2, v1, v0
.LBB281_440:                            ;   in Loop: Header=BB281_15 Depth=1
	s_or_b32 exec_lo, exec_lo, s22
.LBB281_441:                            ;   in Loop: Header=BB281_15 Depth=1
	s_or_b32 exec_lo, exec_lo, s21
.LBB281_442:                            ;   in Loop: Header=BB281_15 Depth=1
	s_or_b32 exec_lo, exec_lo, s20
	v_lshrrev_b16 v3, 8, v3
	v_mov_b32_e32 v109, 0
	v_mov_b32_e32 v110, 0
	s_mov_b32 s20, exec_lo
	v_cmpx_ne_u16_e32 0, v3
	s_cbranch_execz .LBB281_450
; %bb.443:                              ;   in Loop: Header=BB281_15 Depth=1
	v_bfrev_b32_e32 v110, 1
	s_mov_b32 s21, exec_lo
	v_cmpx_ne_u16_e32 0x80, v3
	s_cbranch_execz .LBB281_449
; %bb.444:                              ;   in Loop: Header=BB281_15 Depth=1
	v_mov_b32_e32 v0, 0x7f
	v_mov_b32_e32 v110, 0x7c010000
	s_mov_b32 s22, exec_lo
	v_and_b32_sdwa v2, v3, v0 dst_sel:DWORD dst_unused:UNUSED_PAD src0_sel:WORD_0 src1_sel:DWORD
	v_cmpx_ne_u32_e32 0x7f, v2
	s_cbranch_execz .LBB281_448
; %bb.445:                              ;   in Loop: Header=BB281_15 Depth=1
	v_mov_b32_e32 v0, 7
	v_lshrrev_b32_e32 v1, 3, v2
	s_mov_b32 s23, exec_lo
	v_and_b32_sdwa v0, v3, v0 dst_sel:DWORD dst_unused:UNUSED_PAD src0_sel:WORD_0 src1_sel:DWORD
	v_cmpx_gt_u32_e32 8, v2
; %bb.446:                              ;   in Loop: Header=BB281_15 Depth=1
	v_ffbh_u32_e32 v0, v0
	v_min_u32_e32 v2, 32, v0
	v_subrev_nc_u32_e32 v0, 28, v2
	v_lshlrev_b64 v[0:1], v0, v[3:4]
	v_sub_nc_u32_e32 v1, 29, v2
	v_and_b32_e32 v0, 7, v0
; %bb.447:                              ;   in Loop: Header=BB281_15 Depth=1
	s_or_b32 exec_lo, exec_lo, s23
	v_mov_b32_e32 v2, 8
	v_lshl_add_u32 v1, v1, 10, 0x2000
	v_lshlrev_b32_e32 v0, 23, v0
	v_lshlrev_b32_sdwa v2, v2, v3 dst_sel:DWORD dst_unused:UNUSED_PAD src0_sel:DWORD src1_sel:WORD_0
	v_and_or_b32 v1, 0x8000, v2, v1
	v_lshl_or_b32 v110, v1, 16, v0
.LBB281_448:                            ;   in Loop: Header=BB281_15 Depth=1
	s_or_b32 exec_lo, exec_lo, s22
.LBB281_449:                            ;   in Loop: Header=BB281_15 Depth=1
	s_or_b32 exec_lo, exec_lo, s21
.LBB281_450:                            ;   in Loop: Header=BB281_15 Depth=1
	s_or_b32 exec_lo, exec_lo, s20
	v_lshrrev_b32_e32 v3, 16, v28
	v_cmp_ne_u16_sdwa s5, v3, v4 src0_sel:BYTE_0 src1_sel:DWORD
	s_and_saveexec_b32 s20, s5
	s_cbranch_execz .LBB281_458
; %bb.451:                              ;   in Loop: Header=BB281_15 Depth=1
	v_cmp_ne_u16_sdwa s5, v3, v54 src0_sel:BYTE_0 src1_sel:DWORD
	v_mov_b32_e32 v109, 0x8000
	s_and_saveexec_b32 s21, s5
	s_cbranch_execz .LBB281_457
; %bb.452:                              ;   in Loop: Header=BB281_15 Depth=1
	v_bfe_u32 v2, v28, 16, 7
	v_mov_b32_e32 v109, 0x7c01
	s_mov_b32 s22, exec_lo
	v_cmpx_ne_u32_e32 0x7f, v2
	s_cbranch_execz .LBB281_456
; %bb.453:                              ;   in Loop: Header=BB281_15 Depth=1
	v_and_b32_e32 v0, 7, v3
	v_lshrrev_b32_e32 v1, 3, v2
	s_mov_b32 s23, exec_lo
	v_cmpx_gt_u32_e32 8, v2
; %bb.454:                              ;   in Loop: Header=BB281_15 Depth=1
	v_ffbh_u32_e32 v0, v0
	v_min_u32_e32 v2, 32, v0
	v_subrev_nc_u32_e32 v0, 28, v2
	v_lshlrev_b64 v[0:1], v0, v[3:4]
	v_sub_nc_u32_e32 v1, 29, v2
	v_and_b32_e32 v0, 7, v0
; %bb.455:                              ;   in Loop: Header=BB281_15 Depth=1
	s_or_b32 exec_lo, exec_lo, s23
	v_lshlrev_b32_e32 v2, 8, v3
	v_lshl_add_u32 v1, v1, 10, 0x2000
	v_lshlrev_b32_e32 v0, 7, v0
	v_and_b32_e32 v2, 0x8000, v2
	v_and_b32_e32 v1, 0xfc00, v1
	v_or3_b32 v109, v2, v1, v0
.LBB281_456:                            ;   in Loop: Header=BB281_15 Depth=1
	s_or_b32 exec_lo, exec_lo, s22
.LBB281_457:                            ;   in Loop: Header=BB281_15 Depth=1
	s_or_b32 exec_lo, exec_lo, s21
.LBB281_458:                            ;   in Loop: Header=BB281_15 Depth=1
	s_or_b32 exec_lo, exec_lo, s20
	v_mov_b32_e32 v101, 0
	v_mov_b32_e32 v123, 0
	s_mov_b32 s20, exec_lo
	v_cmpx_lt_u64_e64 s[12:13], v[27:28]
	s_cbranch_execz .LBB281_466
; %bb.459:                              ;   in Loop: Header=BB281_15 Depth=1
	v_lshrrev_b32_e32 v3, 24, v28
	v_bfrev_b32_e32 v123, 1
	s_mov_b32 s21, exec_lo
	v_cmpx_ne_u32_e32 0x80, v3
	s_cbranch_execz .LBB281_465
; %bb.460:                              ;   in Loop: Header=BB281_15 Depth=1
	v_and_b32_e32 v2, 0x7f, v3
	v_mov_b32_e32 v123, 0x7c010000
	s_mov_b32 s22, exec_lo
	v_cmpx_ne_u32_e32 0x7f, v2
	s_cbranch_execz .LBB281_464
; %bb.461:                              ;   in Loop: Header=BB281_15 Depth=1
	v_and_b32_e32 v0, 7, v3
	v_lshrrev_b32_e32 v1, 3, v2
	s_mov_b32 s23, exec_lo
	v_cmpx_gt_u32_e32 8, v2
; %bb.462:                              ;   in Loop: Header=BB281_15 Depth=1
	v_ffbh_u32_e32 v0, v0
	v_min_u32_e32 v2, 32, v0
	v_subrev_nc_u32_e32 v0, 28, v2
	v_lshlrev_b64 v[0:1], v0, v[3:4]
	v_sub_nc_u32_e32 v1, 29, v2
	v_and_b32_e32 v0, 7, v0
; %bb.463:                              ;   in Loop: Header=BB281_15 Depth=1
	s_or_b32 exec_lo, exec_lo, s23
	v_lshlrev_b32_e32 v2, 8, v3
	v_lshl_add_u32 v1, v1, 10, 0x2000
	v_lshlrev_b32_e32 v0, 23, v0
	v_and_or_b32 v1, 0x8000, v2, v1
	v_lshl_or_b32 v123, v1, 16, v0
.LBB281_464:                            ;   in Loop: Header=BB281_15 Depth=1
	s_or_b32 exec_lo, exec_lo, s22
.LBB281_465:                            ;   in Loop: Header=BB281_15 Depth=1
	s_or_b32 exec_lo, exec_lo, s21
.LBB281_466:                            ;   in Loop: Header=BB281_15 Depth=1
	s_or_b32 exec_lo, exec_lo, s20
	flat_load_dwordx2 v[27:28], v[24:25] offset:1544
	s_waitcnt vmcnt(0) lgkmcnt(0)
	v_cmp_ne_u16_sdwa s5, v27, v4 src0_sel:BYTE_0 src1_sel:DWORD
	s_and_saveexec_b32 s20, s5
	s_cbranch_execz .LBB281_474
; %bb.467:                              ;   in Loop: Header=BB281_15 Depth=1
	v_cmp_ne_u16_sdwa s5, v27, v54 src0_sel:BYTE_0 src1_sel:DWORD
	v_mov_b32_e32 v101, 0x8000
	s_and_saveexec_b32 s21, s5
	s_cbranch_execz .LBB281_473
; %bb.468:                              ;   in Loop: Header=BB281_15 Depth=1
	v_and_b32_e32 v2, 0x7f, v27
	v_mov_b32_e32 v101, 0x7c01
	s_mov_b32 s22, exec_lo
	v_cmpx_ne_u32_e32 0x7f, v2
	s_cbranch_execz .LBB281_472
; %bb.469:                              ;   in Loop: Header=BB281_15 Depth=1
	v_and_b32_e32 v0, 7, v27
	v_lshrrev_b32_e32 v1, 3, v2
	s_mov_b32 s23, exec_lo
	v_cmpx_gt_u32_e32 8, v2
; %bb.470:                              ;   in Loop: Header=BB281_15 Depth=1
	v_ffbh_u32_e32 v0, v0
	v_min_u32_e32 v2, 32, v0
	v_subrev_nc_u32_e32 v0, 28, v2
	v_lshlrev_b64 v[0:1], v0, v[27:28]
	v_sub_nc_u32_e32 v1, 29, v2
	v_and_b32_e32 v0, 7, v0
; %bb.471:                              ;   in Loop: Header=BB281_15 Depth=1
	s_or_b32 exec_lo, exec_lo, s23
	v_lshlrev_b32_e32 v2, 8, v27
	v_lshl_add_u32 v1, v1, 10, 0x2000
	v_lshlrev_b32_e32 v0, 7, v0
	v_and_b32_e32 v2, 0x8000, v2
	v_and_b32_e32 v1, 0xfc00, v1
	v_or3_b32 v101, v2, v1, v0
.LBB281_472:                            ;   in Loop: Header=BB281_15 Depth=1
	s_or_b32 exec_lo, exec_lo, s22
.LBB281_473:                            ;   in Loop: Header=BB281_15 Depth=1
	s_or_b32 exec_lo, exec_lo, s21
.LBB281_474:                            ;   in Loop: Header=BB281_15 Depth=1
	s_or_b32 exec_lo, exec_lo, s20
	v_lshrrev_b16 v3, 8, v27
	v_mov_b32_e32 v0, 0
	v_mov_b32_e32 v1, 0
	s_mov_b32 s20, exec_lo
	v_cmpx_ne_u16_e32 0, v3
	s_cbranch_execz .LBB281_482
; %bb.475:                              ;   in Loop: Header=BB281_15 Depth=1
	v_bfrev_b32_e32 v1, 1
	s_mov_b32 s21, exec_lo
	v_cmpx_ne_u16_e32 0x80, v3
	s_cbranch_execz .LBB281_481
; %bb.476:                              ;   in Loop: Header=BB281_15 Depth=1
	v_mov_b32_e32 v1, 0x7f
	s_mov_b32 s22, exec_lo
	v_and_b32_sdwa v6, v3, v1 dst_sel:DWORD dst_unused:UNUSED_PAD src0_sel:WORD_0 src1_sel:DWORD
	v_mov_b32_e32 v1, 0x7c010000
	v_cmpx_ne_u32_e32 0x7f, v6
	s_cbranch_execz .LBB281_480
; %bb.477:                              ;   in Loop: Header=BB281_15 Depth=1
	v_mov_b32_e32 v1, 7
	v_lshrrev_b32_e32 v2, 3, v6
	s_mov_b32 s23, exec_lo
	v_and_b32_sdwa v1, v3, v1 dst_sel:DWORD dst_unused:UNUSED_PAD src0_sel:WORD_0 src1_sel:DWORD
	v_cmpx_gt_u32_e32 8, v6
; %bb.478:                              ;   in Loop: Header=BB281_15 Depth=1
	v_ffbh_u32_e32 v1, v1
	v_min_u32_e32 v6, 32, v1
	v_subrev_nc_u32_e32 v1, 28, v6
	v_lshlrev_b64 v[1:2], v1, v[3:4]
	v_sub_nc_u32_e32 v2, 29, v6
	v_and_b32_e32 v1, 7, v1
; %bb.479:                              ;   in Loop: Header=BB281_15 Depth=1
	s_or_b32 exec_lo, exec_lo, s23
	v_mov_b32_e32 v6, 8
	v_lshl_add_u32 v2, v2, 10, 0x2000
	v_lshlrev_b32_e32 v1, 23, v1
	v_lshlrev_b32_sdwa v3, v6, v3 dst_sel:DWORD dst_unused:UNUSED_PAD src0_sel:DWORD src1_sel:WORD_0
	v_and_or_b32 v2, 0x8000, v3, v2
	v_lshl_or_b32 v1, v2, 16, v1
.LBB281_480:                            ;   in Loop: Header=BB281_15 Depth=1
	s_or_b32 exec_lo, exec_lo, s22
.LBB281_481:                            ;   in Loop: Header=BB281_15 Depth=1
	s_or_b32 exec_lo, exec_lo, s21
.LBB281_482:                            ;   in Loop: Header=BB281_15 Depth=1
	s_or_b32 exec_lo, exec_lo, s20
	v_lshrrev_b32_e32 v3, 16, v27
	v_cmp_ne_u16_sdwa s5, v3, v4 src0_sel:BYTE_0 src1_sel:DWORD
	s_and_saveexec_b32 s20, s5
	s_cbranch_execz .LBB281_490
; %bb.483:                              ;   in Loop: Header=BB281_15 Depth=1
	v_cmp_ne_u16_sdwa s5, v3, v54 src0_sel:BYTE_0 src1_sel:DWORD
	v_mov_b32_e32 v0, 0x8000
	s_and_saveexec_b32 s21, s5
	s_cbranch_execz .LBB281_489
; %bb.484:                              ;   in Loop: Header=BB281_15 Depth=1
	v_bfe_u32 v6, v27, 16, 7
	v_mov_b32_e32 v0, 0x7c01
	s_mov_b32 s22, exec_lo
	v_cmpx_ne_u32_e32 0x7f, v6
	s_cbranch_execz .LBB281_488
; %bb.485:                              ;   in Loop: Header=BB281_15 Depth=1
	v_and_b32_e32 v0, 7, v3
	v_lshrrev_b32_e32 v2, 3, v6
	s_mov_b32 s23, exec_lo
	v_cmpx_gt_u32_e32 8, v6
; %bb.486:                              ;   in Loop: Header=BB281_15 Depth=1
	v_ffbh_u32_e32 v0, v0
	v_min_u32_e32 v0, 32, v0
	v_subrev_nc_u32_e32 v2, 28, v0
	v_lshlrev_b64 v[6:7], v2, v[3:4]
	v_sub_nc_u32_e32 v2, 29, v0
	v_and_b32_e32 v0, 7, v6
; %bb.487:                              ;   in Loop: Header=BB281_15 Depth=1
	s_or_b32 exec_lo, exec_lo, s23
	v_lshlrev_b32_e32 v3, 8, v3
	v_lshl_add_u32 v2, v2, 10, 0x2000
	v_lshlrev_b32_e32 v0, 7, v0
	v_and_b32_e32 v3, 0x8000, v3
	v_and_b32_e32 v2, 0xfc00, v2
	v_or3_b32 v0, v3, v2, v0
.LBB281_488:                            ;   in Loop: Header=BB281_15 Depth=1
	s_or_b32 exec_lo, exec_lo, s22
.LBB281_489:                            ;   in Loop: Header=BB281_15 Depth=1
	s_or_b32 exec_lo, exec_lo, s21
.LBB281_490:                            ;   in Loop: Header=BB281_15 Depth=1
	s_or_b32 exec_lo, exec_lo, s20
	v_mov_b32_e32 v39, 0
	v_mov_b32_e32 v50, 0
	s_mov_b32 s20, exec_lo
	v_cmpx_lt_u32_e32 0xffffff, v27
	s_cbranch_execz .LBB281_498
; %bb.491:                              ;   in Loop: Header=BB281_15 Depth=1
	v_lshrrev_b32_e32 v3, 24, v27
	v_bfrev_b32_e32 v50, 1
	s_mov_b32 s21, exec_lo
	v_cmpx_ne_u32_e32 0x80, v3
	s_cbranch_execz .LBB281_497
; %bb.492:                              ;   in Loop: Header=BB281_15 Depth=1
	v_and_b32_e32 v7, 0x7f, v3
	v_mov_b32_e32 v50, 0x7c010000
	s_mov_b32 s22, exec_lo
	v_cmpx_ne_u32_e32 0x7f, v7
	s_cbranch_execz .LBB281_496
; %bb.493:                              ;   in Loop: Header=BB281_15 Depth=1
	v_and_b32_e32 v2, 7, v3
	v_lshrrev_b32_e32 v6, 3, v7
	s_mov_b32 s23, exec_lo
	v_cmpx_gt_u32_e32 8, v7
; %bb.494:                              ;   in Loop: Header=BB281_15 Depth=1
	v_ffbh_u32_e32 v2, v2
	v_min_u32_e32 v2, 32, v2
	v_subrev_nc_u32_e32 v6, 28, v2
	v_lshlrev_b64 v[7:8], v6, v[3:4]
	v_sub_nc_u32_e32 v6, 29, v2
	v_and_b32_e32 v2, 7, v7
; %bb.495:                              ;   in Loop: Header=BB281_15 Depth=1
	s_or_b32 exec_lo, exec_lo, s23
	v_lshlrev_b32_e32 v3, 8, v3
	v_lshl_add_u32 v6, v6, 10, 0x2000
	v_lshlrev_b32_e32 v2, 23, v2
	v_and_or_b32 v3, 0x8000, v3, v6
	v_lshl_or_b32 v50, v3, 16, v2
.LBB281_496:                            ;   in Loop: Header=BB281_15 Depth=1
	s_or_b32 exec_lo, exec_lo, s22
.LBB281_497:                            ;   in Loop: Header=BB281_15 Depth=1
	s_or_b32 exec_lo, exec_lo, s21
.LBB281_498:                            ;   in Loop: Header=BB281_15 Depth=1
	s_or_b32 exec_lo, exec_lo, s20
	v_mov_b32_e32 v3, v28
	v_cmp_ne_u16_sdwa s5, v28, v4 src0_sel:BYTE_0 src1_sel:DWORD
	s_and_saveexec_b32 s20, s5
	s_cbranch_execz .LBB281_506
; %bb.499:                              ;   in Loop: Header=BB281_15 Depth=1
	v_cmp_ne_u16_sdwa s5, v28, v54 src0_sel:BYTE_0 src1_sel:DWORD
	v_mov_b32_e32 v39, 0x8000
	s_and_saveexec_b32 s21, s5
	s_cbranch_execz .LBB281_505
; %bb.500:                              ;   in Loop: Header=BB281_15 Depth=1
	v_and_b32_e32 v7, 0x7f, v28
	v_mov_b32_e32 v39, 0x7c01
	s_mov_b32 s22, exec_lo
	v_cmpx_ne_u32_e32 0x7f, v7
	s_cbranch_execz .LBB281_504
; %bb.501:                              ;   in Loop: Header=BB281_15 Depth=1
	v_and_b32_e32 v2, 7, v28
	v_lshrrev_b32_e32 v6, 3, v7
	s_mov_b32 s23, exec_lo
	v_cmpx_gt_u32_e32 8, v7
; %bb.502:                              ;   in Loop: Header=BB281_15 Depth=1
	v_ffbh_u32_e32 v2, v2
	v_min_u32_e32 v2, 32, v2
	v_subrev_nc_u32_e32 v6, 28, v2
	v_lshlrev_b64 v[7:8], v6, v[3:4]
	v_sub_nc_u32_e32 v6, 29, v2
	v_and_b32_e32 v2, 7, v7
; %bb.503:                              ;   in Loop: Header=BB281_15 Depth=1
	s_or_b32 exec_lo, exec_lo, s23
	v_lshlrev_b32_e32 v7, 8, v28
	v_lshl_add_u32 v6, v6, 10, 0x2000
	v_lshlrev_b32_e32 v2, 7, v2
	v_and_b32_e32 v7, 0x8000, v7
	v_and_b32_e32 v6, 0xfc00, v6
	v_or3_b32 v39, v7, v6, v2
.LBB281_504:                            ;   in Loop: Header=BB281_15 Depth=1
	s_or_b32 exec_lo, exec_lo, s22
.LBB281_505:                            ;   in Loop: Header=BB281_15 Depth=1
	s_or_b32 exec_lo, exec_lo, s21
.LBB281_506:                            ;   in Loop: Header=BB281_15 Depth=1
	s_or_b32 exec_lo, exec_lo, s20
	v_lshrrev_b16 v3, 8, v3
	v_mov_b32_e32 v48, 0
	v_mov_b32_e32 v7, 0
	s_mov_b32 s20, exec_lo
	v_cmpx_ne_u16_e32 0, v3
	s_cbranch_execz .LBB281_514
; %bb.507:                              ;   in Loop: Header=BB281_15 Depth=1
	v_bfrev_b32_e32 v7, 1
	s_mov_b32 s21, exec_lo
	v_cmpx_ne_u16_e32 0x80, v3
	s_cbranch_execz .LBB281_513
; %bb.508:                              ;   in Loop: Header=BB281_15 Depth=1
	v_mov_b32_e32 v2, 0x7f
	v_mov_b32_e32 v7, 0x7c010000
	s_mov_b32 s22, exec_lo
	v_and_b32_sdwa v8, v3, v2 dst_sel:DWORD dst_unused:UNUSED_PAD src0_sel:WORD_0 src1_sel:DWORD
	v_cmpx_ne_u32_e32 0x7f, v8
	s_cbranch_execz .LBB281_512
; %bb.509:                              ;   in Loop: Header=BB281_15 Depth=1
	v_mov_b32_e32 v2, 7
	v_lshrrev_b32_e32 v6, 3, v8
	s_mov_b32 s23, exec_lo
	v_and_b32_sdwa v2, v3, v2 dst_sel:DWORD dst_unused:UNUSED_PAD src0_sel:WORD_0 src1_sel:DWORD
	v_cmpx_gt_u32_e32 8, v8
; %bb.510:                              ;   in Loop: Header=BB281_15 Depth=1
	v_ffbh_u32_e32 v2, v2
	v_min_u32_e32 v2, 32, v2
	v_subrev_nc_u32_e32 v6, 28, v2
	v_lshlrev_b64 v[7:8], v6, v[3:4]
	v_sub_nc_u32_e32 v6, 29, v2
	v_and_b32_e32 v2, 7, v7
; %bb.511:                              ;   in Loop: Header=BB281_15 Depth=1
	s_or_b32 exec_lo, exec_lo, s23
	v_mov_b32_e32 v7, 8
	v_lshl_add_u32 v6, v6, 10, 0x2000
	v_lshlrev_b32_e32 v2, 23, v2
	v_lshlrev_b32_sdwa v3, v7, v3 dst_sel:DWORD dst_unused:UNUSED_PAD src0_sel:DWORD src1_sel:WORD_0
	v_and_or_b32 v3, 0x8000, v3, v6
	v_lshl_or_b32 v7, v3, 16, v2
.LBB281_512:                            ;   in Loop: Header=BB281_15 Depth=1
	s_or_b32 exec_lo, exec_lo, s22
.LBB281_513:                            ;   in Loop: Header=BB281_15 Depth=1
	s_or_b32 exec_lo, exec_lo, s21
.LBB281_514:                            ;   in Loop: Header=BB281_15 Depth=1
	s_or_b32 exec_lo, exec_lo, s20
	v_lshrrev_b32_e32 v3, 16, v28
	v_cmp_ne_u16_sdwa s5, v3, v4 src0_sel:BYTE_0 src1_sel:DWORD
	s_and_saveexec_b32 s20, s5
	s_cbranch_execz .LBB281_522
; %bb.515:                              ;   in Loop: Header=BB281_15 Depth=1
	v_cmp_ne_u16_sdwa s5, v3, v54 src0_sel:BYTE_0 src1_sel:DWORD
	v_mov_b32_e32 v48, 0x8000
	s_and_saveexec_b32 s21, s5
	s_cbranch_execz .LBB281_521
; %bb.516:                              ;   in Loop: Header=BB281_15 Depth=1
	v_bfe_u32 v8, v28, 16, 7
	v_mov_b32_e32 v48, 0x7c01
	s_mov_b32 s22, exec_lo
	v_cmpx_ne_u32_e32 0x7f, v8
	s_cbranch_execz .LBB281_520
; %bb.517:                              ;   in Loop: Header=BB281_15 Depth=1
	v_and_b32_e32 v2, 7, v3
	v_lshrrev_b32_e32 v6, 3, v8
	s_mov_b32 s23, exec_lo
	v_cmpx_gt_u32_e32 8, v8
; %bb.518:                              ;   in Loop: Header=BB281_15 Depth=1
	v_ffbh_u32_e32 v2, v2
	v_min_u32_e32 v2, 32, v2
	v_subrev_nc_u32_e32 v6, 28, v2
	v_lshlrev_b64 v[8:9], v6, v[3:4]
	v_sub_nc_u32_e32 v6, 29, v2
	v_and_b32_e32 v2, 7, v8
; %bb.519:                              ;   in Loop: Header=BB281_15 Depth=1
	s_or_b32 exec_lo, exec_lo, s23
	v_lshlrev_b32_e32 v3, 8, v3
	v_lshl_add_u32 v6, v6, 10, 0x2000
	v_lshlrev_b32_e32 v2, 7, v2
	v_and_b32_e32 v3, 0x8000, v3
	v_and_b32_e32 v6, 0xfc00, v6
	v_or3_b32 v48, v3, v6, v2
.LBB281_520:                            ;   in Loop: Header=BB281_15 Depth=1
	s_or_b32 exec_lo, exec_lo, s22
.LBB281_521:                            ;   in Loop: Header=BB281_15 Depth=1
	s_or_b32 exec_lo, exec_lo, s21
.LBB281_522:                            ;   in Loop: Header=BB281_15 Depth=1
	s_or_b32 exec_lo, exec_lo, s20
	v_mov_b32_e32 v32, 0
	v_mov_b32_e32 v38, 0
	s_mov_b32 s20, exec_lo
	v_cmpx_lt_u64_e64 s[12:13], v[27:28]
	s_cbranch_execz .LBB281_530
; %bb.523:                              ;   in Loop: Header=BB281_15 Depth=1
	v_lshrrev_b32_e32 v3, 24, v28
	v_bfrev_b32_e32 v38, 1
	s_mov_b32 s21, exec_lo
	v_cmpx_ne_u32_e32 0x80, v3
	s_cbranch_execz .LBB281_529
; %bb.524:                              ;   in Loop: Header=BB281_15 Depth=1
	v_and_b32_e32 v8, 0x7f, v3
	v_mov_b32_e32 v38, 0x7c010000
	s_mov_b32 s22, exec_lo
	v_cmpx_ne_u32_e32 0x7f, v8
	s_cbranch_execz .LBB281_528
; %bb.525:                              ;   in Loop: Header=BB281_15 Depth=1
	v_and_b32_e32 v2, 7, v3
	v_lshrrev_b32_e32 v6, 3, v8
	s_mov_b32 s23, exec_lo
	v_cmpx_gt_u32_e32 8, v8
; %bb.526:                              ;   in Loop: Header=BB281_15 Depth=1
	v_ffbh_u32_e32 v2, v2
	v_min_u32_e32 v2, 32, v2
	v_subrev_nc_u32_e32 v6, 28, v2
	v_lshlrev_b64 v[8:9], v6, v[3:4]
	v_sub_nc_u32_e32 v6, 29, v2
	v_and_b32_e32 v2, 7, v8
; %bb.527:                              ;   in Loop: Header=BB281_15 Depth=1
	s_or_b32 exec_lo, exec_lo, s23
	v_lshlrev_b32_e32 v3, 8, v3
	v_lshl_add_u32 v6, v6, 10, 0x2000
	v_lshlrev_b32_e32 v2, 23, v2
	v_and_or_b32 v3, 0x8000, v3, v6
	v_lshl_or_b32 v38, v3, 16, v2
.LBB281_528:                            ;   in Loop: Header=BB281_15 Depth=1
	s_or_b32 exec_lo, exec_lo, s22
.LBB281_529:                            ;   in Loop: Header=BB281_15 Depth=1
	s_or_b32 exec_lo, exec_lo, s21
.LBB281_530:                            ;   in Loop: Header=BB281_15 Depth=1
	s_or_b32 exec_lo, exec_lo, s20
	v_add_co_u32 v24, s5, 0x800, v24
	v_add_co_ci_u32_e64 v25, null, 0, v25, s5
	flat_load_dwordx2 v[27:28], v[24:25]
	s_waitcnt vmcnt(0) lgkmcnt(0)
	v_cmp_ne_u16_sdwa s5, v27, v4 src0_sel:BYTE_0 src1_sel:DWORD
	s_and_saveexec_b32 s20, s5
	s_cbranch_execz .LBB281_538
; %bb.531:                              ;   in Loop: Header=BB281_15 Depth=1
	v_cmp_ne_u16_sdwa s5, v27, v54 src0_sel:BYTE_0 src1_sel:DWORD
	v_mov_b32_e32 v32, 0x8000
	s_and_saveexec_b32 s21, s5
	s_cbranch_execz .LBB281_537
; %bb.532:                              ;   in Loop: Header=BB281_15 Depth=1
	v_and_b32_e32 v6, 0x7f, v27
	v_mov_b32_e32 v32, 0x7c01
	s_mov_b32 s22, exec_lo
	v_cmpx_ne_u32_e32 0x7f, v6
	s_cbranch_execz .LBB281_536
; %bb.533:                              ;   in Loop: Header=BB281_15 Depth=1
	v_and_b32_e32 v2, 7, v27
	v_lshrrev_b32_e32 v3, 3, v6
	s_mov_b32 s23, exec_lo
	v_cmpx_gt_u32_e32 8, v6
; %bb.534:                              ;   in Loop: Header=BB281_15 Depth=1
	v_ffbh_u32_e32 v2, v2
	v_min_u32_e32 v6, 32, v2
	v_subrev_nc_u32_e32 v2, 28, v6
	v_lshlrev_b64 v[2:3], v2, v[27:28]
	v_sub_nc_u32_e32 v3, 29, v6
	v_and_b32_e32 v2, 7, v2
; %bb.535:                              ;   in Loop: Header=BB281_15 Depth=1
	s_or_b32 exec_lo, exec_lo, s23
	v_lshlrev_b32_e32 v6, 8, v27
	v_lshl_add_u32 v3, v3, 10, 0x2000
	v_lshlrev_b32_e32 v2, 7, v2
	v_and_b32_e32 v6, 0x8000, v6
	v_and_b32_e32 v3, 0xfc00, v3
	v_or3_b32 v32, v6, v3, v2
.LBB281_536:                            ;   in Loop: Header=BB281_15 Depth=1
	s_or_b32 exec_lo, exec_lo, s22
.LBB281_537:                            ;   in Loop: Header=BB281_15 Depth=1
	s_or_b32 exec_lo, exec_lo, s21
.LBB281_538:                            ;   in Loop: Header=BB281_15 Depth=1
	s_or_b32 exec_lo, exec_lo, s20
	v_lshrrev_b16 v3, 8, v27
	v_mov_b32_e32 v14, 0
	v_mov_b32_e32 v26, 0
	s_mov_b32 s20, exec_lo
	v_cmpx_ne_u16_e32 0, v3
	s_cbranch_execz .LBB281_546
; %bb.539:                              ;   in Loop: Header=BB281_15 Depth=1
	v_bfrev_b32_e32 v26, 1
	s_mov_b32 s21, exec_lo
	v_cmpx_ne_u16_e32 0x80, v3
	s_cbranch_execz .LBB281_545
; %bb.540:                              ;   in Loop: Header=BB281_15 Depth=1
	v_mov_b32_e32 v2, 0x7f
	v_mov_b32_e32 v26, 0x7c010000
	s_mov_b32 s22, exec_lo
	v_and_b32_sdwa v8, v3, v2 dst_sel:DWORD dst_unused:UNUSED_PAD src0_sel:WORD_0 src1_sel:DWORD
	v_cmpx_ne_u32_e32 0x7f, v8
	s_cbranch_execz .LBB281_544
; %bb.541:                              ;   in Loop: Header=BB281_15 Depth=1
	v_mov_b32_e32 v2, 7
	v_lshrrev_b32_e32 v6, 3, v8
	s_mov_b32 s23, exec_lo
	v_and_b32_sdwa v2, v3, v2 dst_sel:DWORD dst_unused:UNUSED_PAD src0_sel:WORD_0 src1_sel:DWORD
	v_cmpx_gt_u32_e32 8, v8
; %bb.542:                              ;   in Loop: Header=BB281_15 Depth=1
	v_ffbh_u32_e32 v2, v2
	v_min_u32_e32 v2, 32, v2
	v_subrev_nc_u32_e32 v6, 28, v2
	v_lshlrev_b64 v[8:9], v6, v[3:4]
	v_sub_nc_u32_e32 v6, 29, v2
	v_and_b32_e32 v2, 7, v8
; %bb.543:                              ;   in Loop: Header=BB281_15 Depth=1
	s_or_b32 exec_lo, exec_lo, s23
	v_mov_b32_e32 v8, 8
	v_lshl_add_u32 v6, v6, 10, 0x2000
	v_lshlrev_b32_e32 v2, 23, v2
	v_lshlrev_b32_sdwa v3, v8, v3 dst_sel:DWORD dst_unused:UNUSED_PAD src0_sel:DWORD src1_sel:WORD_0
	v_and_or_b32 v3, 0x8000, v3, v6
	v_lshl_or_b32 v26, v3, 16, v2
.LBB281_544:                            ;   in Loop: Header=BB281_15 Depth=1
	s_or_b32 exec_lo, exec_lo, s22
.LBB281_545:                            ;   in Loop: Header=BB281_15 Depth=1
	s_or_b32 exec_lo, exec_lo, s21
.LBB281_546:                            ;   in Loop: Header=BB281_15 Depth=1
	s_or_b32 exec_lo, exec_lo, s20
	v_lshrrev_b32_e32 v3, 16, v27
	v_cmp_ne_u16_sdwa s5, v3, v4 src0_sel:BYTE_0 src1_sel:DWORD
	s_and_saveexec_b32 s20, s5
	s_cbranch_execz .LBB281_554
; %bb.547:                              ;   in Loop: Header=BB281_15 Depth=1
	v_cmp_ne_u16_sdwa s5, v3, v54 src0_sel:BYTE_0 src1_sel:DWORD
	v_mov_b32_e32 v14, 0x8000
	s_and_saveexec_b32 s21, s5
	s_cbranch_execz .LBB281_553
; %bb.548:                              ;   in Loop: Header=BB281_15 Depth=1
	v_bfe_u32 v8, v27, 16, 7
	v_mov_b32_e32 v14, 0x7c01
	s_mov_b32 s22, exec_lo
	v_cmpx_ne_u32_e32 0x7f, v8
	s_cbranch_execz .LBB281_552
; %bb.549:                              ;   in Loop: Header=BB281_15 Depth=1
	v_and_b32_e32 v2, 7, v3
	v_lshrrev_b32_e32 v6, 3, v8
	s_mov_b32 s23, exec_lo
	v_cmpx_gt_u32_e32 8, v8
; %bb.550:                              ;   in Loop: Header=BB281_15 Depth=1
	v_ffbh_u32_e32 v2, v2
	v_min_u32_e32 v2, 32, v2
	v_subrev_nc_u32_e32 v6, 28, v2
	v_lshlrev_b64 v[8:9], v6, v[3:4]
	v_sub_nc_u32_e32 v6, 29, v2
	v_and_b32_e32 v2, 7, v8
; %bb.551:                              ;   in Loop: Header=BB281_15 Depth=1
	s_or_b32 exec_lo, exec_lo, s23
	v_lshlrev_b32_e32 v3, 8, v3
	v_lshl_add_u32 v6, v6, 10, 0x2000
	v_lshlrev_b32_e32 v2, 7, v2
	v_and_b32_e32 v3, 0x8000, v3
	v_and_b32_e32 v6, 0xfc00, v6
	v_or3_b32 v14, v3, v6, v2
.LBB281_552:                            ;   in Loop: Header=BB281_15 Depth=1
	s_or_b32 exec_lo, exec_lo, s22
.LBB281_553:                            ;   in Loop: Header=BB281_15 Depth=1
	s_or_b32 exec_lo, exec_lo, s21
.LBB281_554:                            ;   in Loop: Header=BB281_15 Depth=1
	s_or_b32 exec_lo, exec_lo, s20
	v_mov_b32_e32 v20, 0
	v_mov_b32_e32 v65, 0
	s_mov_b32 s20, exec_lo
	v_cmpx_lt_u32_e32 0xffffff, v27
	s_cbranch_execz .LBB281_562
; %bb.555:                              ;   in Loop: Header=BB281_15 Depth=1
	v_lshrrev_b32_e32 v3, 24, v27
	v_bfrev_b32_e32 v65, 1
	s_mov_b32 s21, exec_lo
	v_cmpx_ne_u32_e32 0x80, v3
	s_cbranch_execz .LBB281_561
; %bb.556:                              ;   in Loop: Header=BB281_15 Depth=1
	v_and_b32_e32 v8, 0x7f, v3
	v_mov_b32_e32 v65, 0x7c010000
	s_mov_b32 s22, exec_lo
	v_cmpx_ne_u32_e32 0x7f, v8
	s_cbranch_execz .LBB281_560
; %bb.557:                              ;   in Loop: Header=BB281_15 Depth=1
	v_and_b32_e32 v2, 7, v3
	v_lshrrev_b32_e32 v6, 3, v8
	s_mov_b32 s23, exec_lo
	v_cmpx_gt_u32_e32 8, v8
; %bb.558:                              ;   in Loop: Header=BB281_15 Depth=1
	v_ffbh_u32_e32 v2, v2
	v_min_u32_e32 v2, 32, v2
	v_subrev_nc_u32_e32 v6, 28, v2
	v_lshlrev_b64 v[8:9], v6, v[3:4]
	v_sub_nc_u32_e32 v6, 29, v2
	v_and_b32_e32 v2, 7, v8
; %bb.559:                              ;   in Loop: Header=BB281_15 Depth=1
	s_or_b32 exec_lo, exec_lo, s23
	v_lshlrev_b32_e32 v3, 8, v3
	v_lshl_add_u32 v6, v6, 10, 0x2000
	v_lshlrev_b32_e32 v2, 23, v2
	v_and_or_b32 v3, 0x8000, v3, v6
	v_lshl_or_b32 v65, v3, 16, v2
.LBB281_560:                            ;   in Loop: Header=BB281_15 Depth=1
	s_or_b32 exec_lo, exec_lo, s22
.LBB281_561:                            ;   in Loop: Header=BB281_15 Depth=1
	s_or_b32 exec_lo, exec_lo, s21
.LBB281_562:                            ;   in Loop: Header=BB281_15 Depth=1
	s_or_b32 exec_lo, exec_lo, s20
	v_mov_b32_e32 v3, v28
	v_cmp_ne_u16_sdwa s5, v28, v4 src0_sel:BYTE_0 src1_sel:DWORD
	s_and_saveexec_b32 s20, s5
	s_cbranch_execz .LBB281_570
; %bb.563:                              ;   in Loop: Header=BB281_15 Depth=1
	v_cmp_ne_u16_sdwa s5, v28, v54 src0_sel:BYTE_0 src1_sel:DWORD
	v_mov_b32_e32 v20, 0x8000
	s_and_saveexec_b32 s21, s5
	s_cbranch_execz .LBB281_569
; %bb.564:                              ;   in Loop: Header=BB281_15 Depth=1
	v_and_b32_e32 v8, 0x7f, v28
	v_mov_b32_e32 v20, 0x7c01
	s_mov_b32 s22, exec_lo
	v_cmpx_ne_u32_e32 0x7f, v8
	s_cbranch_execz .LBB281_568
; %bb.565:                              ;   in Loop: Header=BB281_15 Depth=1
	v_and_b32_e32 v2, 7, v28
	v_lshrrev_b32_e32 v6, 3, v8
	s_mov_b32 s23, exec_lo
	v_cmpx_gt_u32_e32 8, v8
; %bb.566:                              ;   in Loop: Header=BB281_15 Depth=1
	v_ffbh_u32_e32 v2, v2
	v_min_u32_e32 v2, 32, v2
	v_subrev_nc_u32_e32 v6, 28, v2
	v_lshlrev_b64 v[8:9], v6, v[3:4]
	v_sub_nc_u32_e32 v6, 29, v2
	v_and_b32_e32 v2, 7, v8
; %bb.567:                              ;   in Loop: Header=BB281_15 Depth=1
	s_or_b32 exec_lo, exec_lo, s23
	v_lshlrev_b32_e32 v8, 8, v28
	v_lshl_add_u32 v6, v6, 10, 0x2000
	v_lshlrev_b32_e32 v2, 7, v2
	v_and_b32_e32 v8, 0x8000, v8
	v_and_b32_e32 v6, 0xfc00, v6
	v_or3_b32 v20, v8, v6, v2
.LBB281_568:                            ;   in Loop: Header=BB281_15 Depth=1
	s_or_b32 exec_lo, exec_lo, s22
.LBB281_569:                            ;   in Loop: Header=BB281_15 Depth=1
	s_or_b32 exec_lo, exec_lo, s21
.LBB281_570:                            ;   in Loop: Header=BB281_15 Depth=1
	s_or_b32 exec_lo, exec_lo, s20
	v_lshrrev_b16 v3, 8, v3
	v_mov_b32_e32 v37, 0
	v_mov_b32_e32 v34, 0
	s_mov_b32 s20, exec_lo
	v_cmpx_ne_u16_e32 0, v3
	s_cbranch_execz .LBB281_578
; %bb.571:                              ;   in Loop: Header=BB281_15 Depth=1
	v_bfrev_b32_e32 v34, 1
	s_mov_b32 s21, exec_lo
	v_cmpx_ne_u16_e32 0x80, v3
	s_cbranch_execz .LBB281_577
; %bb.572:                              ;   in Loop: Header=BB281_15 Depth=1
	v_mov_b32_e32 v2, 0x7f
	v_mov_b32_e32 v34, 0x7c010000
	s_mov_b32 s22, exec_lo
	v_and_b32_sdwa v8, v3, v2 dst_sel:DWORD dst_unused:UNUSED_PAD src0_sel:WORD_0 src1_sel:DWORD
	v_cmpx_ne_u32_e32 0x7f, v8
	s_cbranch_execz .LBB281_576
; %bb.573:                              ;   in Loop: Header=BB281_15 Depth=1
	v_mov_b32_e32 v2, 7
	v_lshrrev_b32_e32 v6, 3, v8
	s_mov_b32 s23, exec_lo
	v_and_b32_sdwa v2, v3, v2 dst_sel:DWORD dst_unused:UNUSED_PAD src0_sel:WORD_0 src1_sel:DWORD
	v_cmpx_gt_u32_e32 8, v8
; %bb.574:                              ;   in Loop: Header=BB281_15 Depth=1
	v_ffbh_u32_e32 v2, v2
	v_min_u32_e32 v2, 32, v2
	v_subrev_nc_u32_e32 v6, 28, v2
	v_lshlrev_b64 v[8:9], v6, v[3:4]
	v_sub_nc_u32_e32 v6, 29, v2
	v_and_b32_e32 v2, 7, v8
; %bb.575:                              ;   in Loop: Header=BB281_15 Depth=1
	s_or_b32 exec_lo, exec_lo, s23
	v_mov_b32_e32 v8, 8
	v_lshl_add_u32 v6, v6, 10, 0x2000
	v_lshlrev_b32_e32 v2, 23, v2
	v_lshlrev_b32_sdwa v3, v8, v3 dst_sel:DWORD dst_unused:UNUSED_PAD src0_sel:DWORD src1_sel:WORD_0
	v_and_or_b32 v3, 0x8000, v3, v6
	v_lshl_or_b32 v34, v3, 16, v2
.LBB281_576:                            ;   in Loop: Header=BB281_15 Depth=1
	s_or_b32 exec_lo, exec_lo, s22
.LBB281_577:                            ;   in Loop: Header=BB281_15 Depth=1
	s_or_b32 exec_lo, exec_lo, s21
.LBB281_578:                            ;   in Loop: Header=BB281_15 Depth=1
	s_or_b32 exec_lo, exec_lo, s20
	v_lshrrev_b32_e32 v3, 16, v28
	v_cmp_ne_u16_sdwa s5, v3, v4 src0_sel:BYTE_0 src1_sel:DWORD
	s_and_saveexec_b32 s20, s5
	s_cbranch_execz .LBB281_586
; %bb.579:                              ;   in Loop: Header=BB281_15 Depth=1
	v_cmp_ne_u16_sdwa s5, v3, v54 src0_sel:BYTE_0 src1_sel:DWORD
	v_mov_b32_e32 v37, 0x8000
	s_and_saveexec_b32 s21, s5
	s_cbranch_execz .LBB281_585
; %bb.580:                              ;   in Loop: Header=BB281_15 Depth=1
	v_bfe_u32 v8, v28, 16, 7
	v_mov_b32_e32 v37, 0x7c01
	s_mov_b32 s22, exec_lo
	v_cmpx_ne_u32_e32 0x7f, v8
	s_cbranch_execz .LBB281_584
; %bb.581:                              ;   in Loop: Header=BB281_15 Depth=1
	v_and_b32_e32 v2, 7, v3
	v_lshrrev_b32_e32 v6, 3, v8
	s_mov_b32 s23, exec_lo
	v_cmpx_gt_u32_e32 8, v8
; %bb.582:                              ;   in Loop: Header=BB281_15 Depth=1
	v_ffbh_u32_e32 v2, v2
	v_min_u32_e32 v2, 32, v2
	v_subrev_nc_u32_e32 v6, 28, v2
	v_lshlrev_b64 v[8:9], v6, v[3:4]
	v_sub_nc_u32_e32 v6, 29, v2
	v_and_b32_e32 v2, 7, v8
; %bb.583:                              ;   in Loop: Header=BB281_15 Depth=1
	s_or_b32 exec_lo, exec_lo, s23
	v_lshlrev_b32_e32 v3, 8, v3
	v_lshl_add_u32 v6, v6, 10, 0x2000
	v_lshlrev_b32_e32 v2, 7, v2
	v_and_b32_e32 v3, 0x8000, v3
	v_and_b32_e32 v6, 0xfc00, v6
	v_or3_b32 v37, v3, v6, v2
.LBB281_584:                            ;   in Loop: Header=BB281_15 Depth=1
	s_or_b32 exec_lo, exec_lo, s22
.LBB281_585:                            ;   in Loop: Header=BB281_15 Depth=1
	s_or_b32 exec_lo, exec_lo, s21
.LBB281_586:                            ;   in Loop: Header=BB281_15 Depth=1
	s_or_b32 exec_lo, exec_lo, s20
	v_mov_b32_e32 v2, 0
	v_mov_b32_e32 v81, 0
	s_mov_b32 s20, exec_lo
	v_cmpx_lt_u64_e64 s[12:13], v[27:28]
	s_cbranch_execz .LBB281_594
; %bb.587:                              ;   in Loop: Header=BB281_15 Depth=1
	v_lshrrev_b32_e32 v3, 24, v28
	v_bfrev_b32_e32 v81, 1
	s_mov_b32 s21, exec_lo
	v_cmpx_ne_u32_e32 0x80, v3
	s_cbranch_execz .LBB281_593
; %bb.588:                              ;   in Loop: Header=BB281_15 Depth=1
	v_and_b32_e32 v9, 0x7f, v3
	v_mov_b32_e32 v81, 0x7c010000
	s_mov_b32 s22, exec_lo
	v_cmpx_ne_u32_e32 0x7f, v9
	s_cbranch_execz .LBB281_592
; %bb.589:                              ;   in Loop: Header=BB281_15 Depth=1
	v_and_b32_e32 v6, 7, v3
	v_lshrrev_b32_e32 v8, 3, v9
	s_mov_b32 s23, exec_lo
	v_cmpx_gt_u32_e32 8, v9
; %bb.590:                              ;   in Loop: Header=BB281_15 Depth=1
	v_ffbh_u32_e32 v6, v6
	v_min_u32_e32 v6, 32, v6
	v_subrev_nc_u32_e32 v8, 28, v6
	v_lshlrev_b64 v[9:10], v8, v[3:4]
	v_sub_nc_u32_e32 v8, 29, v6
	v_and_b32_e32 v6, 7, v9
; %bb.591:                              ;   in Loop: Header=BB281_15 Depth=1
	s_or_b32 exec_lo, exec_lo, s23
	v_lshlrev_b32_e32 v3, 8, v3
	v_lshl_add_u32 v8, v8, 10, 0x2000
	v_lshlrev_b32_e32 v6, 23, v6
	v_and_or_b32 v3, 0x8000, v3, v8
	v_lshl_or_b32 v81, v3, 16, v6
.LBB281_592:                            ;   in Loop: Header=BB281_15 Depth=1
	s_or_b32 exec_lo, exec_lo, s22
.LBB281_593:                            ;   in Loop: Header=BB281_15 Depth=1
	s_or_b32 exec_lo, exec_lo, s21
.LBB281_594:                            ;   in Loop: Header=BB281_15 Depth=1
	s_or_b32 exec_lo, exec_lo, s20
	flat_load_dwordx2 v[27:28], v[24:25] offset:8
	s_waitcnt vmcnt(0) lgkmcnt(0)
	v_cmp_ne_u16_sdwa s5, v27, v4 src0_sel:BYTE_0 src1_sel:DWORD
	s_and_saveexec_b32 s20, s5
	s_cbranch_execz .LBB281_602
; %bb.595:                              ;   in Loop: Header=BB281_15 Depth=1
	v_cmp_ne_u16_sdwa s5, v27, v54 src0_sel:BYTE_0 src1_sel:DWORD
	v_mov_b32_e32 v2, 0x8000
	s_and_saveexec_b32 s21, s5
	s_cbranch_execz .LBB281_601
; %bb.596:                              ;   in Loop: Header=BB281_15 Depth=1
	v_and_b32_e32 v6, 0x7f, v27
	v_mov_b32_e32 v2, 0x7c01
	s_mov_b32 s22, exec_lo
	v_cmpx_ne_u32_e32 0x7f, v6
	s_cbranch_execz .LBB281_600
; %bb.597:                              ;   in Loop: Header=BB281_15 Depth=1
	v_and_b32_e32 v2, 7, v27
	v_lshrrev_b32_e32 v3, 3, v6
	s_mov_b32 s23, exec_lo
	v_cmpx_gt_u32_e32 8, v6
; %bb.598:                              ;   in Loop: Header=BB281_15 Depth=1
	v_ffbh_u32_e32 v2, v2
	v_min_u32_e32 v6, 32, v2
	v_subrev_nc_u32_e32 v2, 28, v6
	v_lshlrev_b64 v[2:3], v2, v[27:28]
	v_sub_nc_u32_e32 v3, 29, v6
	v_and_b32_e32 v2, 7, v2
; %bb.599:                              ;   in Loop: Header=BB281_15 Depth=1
	s_or_b32 exec_lo, exec_lo, s23
	v_lshlrev_b32_e32 v6, 8, v27
	v_lshl_add_u32 v3, v3, 10, 0x2000
	v_lshlrev_b32_e32 v2, 7, v2
	v_and_b32_e32 v6, 0x8000, v6
	v_and_b32_e32 v3, 0xfc00, v3
	v_or3_b32 v2, v6, v3, v2
.LBB281_600:                            ;   in Loop: Header=BB281_15 Depth=1
	s_or_b32 exec_lo, exec_lo, s22
.LBB281_601:                            ;   in Loop: Header=BB281_15 Depth=1
	s_or_b32 exec_lo, exec_lo, s21
.LBB281_602:                            ;   in Loop: Header=BB281_15 Depth=1
	s_or_b32 exec_lo, exec_lo, s20
	v_lshrrev_b16 v3, 8, v27
	v_mov_b32_e32 v35, 0
	v_mov_b32_e32 v36, 0
	s_mov_b32 s20, exec_lo
	v_cmpx_ne_u16_e32 0, v3
	s_cbranch_execz .LBB281_610
; %bb.603:                              ;   in Loop: Header=BB281_15 Depth=1
	v_bfrev_b32_e32 v36, 1
	s_mov_b32 s21, exec_lo
	v_cmpx_ne_u16_e32 0x80, v3
	s_cbranch_execz .LBB281_609
; %bb.604:                              ;   in Loop: Header=BB281_15 Depth=1
	v_mov_b32_e32 v6, 0x7f
	v_mov_b32_e32 v36, 0x7c010000
	s_mov_b32 s22, exec_lo
	v_and_b32_sdwa v9, v3, v6 dst_sel:DWORD dst_unused:UNUSED_PAD src0_sel:WORD_0 src1_sel:DWORD
	v_cmpx_ne_u32_e32 0x7f, v9
	s_cbranch_execz .LBB281_608
; %bb.605:                              ;   in Loop: Header=BB281_15 Depth=1
	v_mov_b32_e32 v6, 7
	v_lshrrev_b32_e32 v8, 3, v9
	s_mov_b32 s23, exec_lo
	v_and_b32_sdwa v6, v3, v6 dst_sel:DWORD dst_unused:UNUSED_PAD src0_sel:WORD_0 src1_sel:DWORD
	v_cmpx_gt_u32_e32 8, v9
; %bb.606:                              ;   in Loop: Header=BB281_15 Depth=1
	v_ffbh_u32_e32 v6, v6
	v_min_u32_e32 v6, 32, v6
	v_subrev_nc_u32_e32 v8, 28, v6
	v_lshlrev_b64 v[9:10], v8, v[3:4]
	v_sub_nc_u32_e32 v8, 29, v6
	v_and_b32_e32 v6, 7, v9
; %bb.607:                              ;   in Loop: Header=BB281_15 Depth=1
	s_or_b32 exec_lo, exec_lo, s23
	v_mov_b32_e32 v9, 8
	v_lshl_add_u32 v8, v8, 10, 0x2000
	v_lshlrev_b32_e32 v6, 23, v6
	v_lshlrev_b32_sdwa v3, v9, v3 dst_sel:DWORD dst_unused:UNUSED_PAD src0_sel:DWORD src1_sel:WORD_0
	v_and_or_b32 v3, 0x8000, v3, v8
	v_lshl_or_b32 v36, v3, 16, v6
.LBB281_608:                            ;   in Loop: Header=BB281_15 Depth=1
	s_or_b32 exec_lo, exec_lo, s22
.LBB281_609:                            ;   in Loop: Header=BB281_15 Depth=1
	s_or_b32 exec_lo, exec_lo, s21
.LBB281_610:                            ;   in Loop: Header=BB281_15 Depth=1
	s_or_b32 exec_lo, exec_lo, s20
	v_lshrrev_b32_e32 v3, 16, v27
	v_cmp_ne_u16_sdwa s5, v3, v4 src0_sel:BYTE_0 src1_sel:DWORD
	s_and_saveexec_b32 s20, s5
	s_cbranch_execz .LBB281_618
; %bb.611:                              ;   in Loop: Header=BB281_15 Depth=1
	v_cmp_ne_u16_sdwa s5, v3, v54 src0_sel:BYTE_0 src1_sel:DWORD
	v_mov_b32_e32 v35, 0x8000
	s_and_saveexec_b32 s21, s5
	s_cbranch_execz .LBB281_617
; %bb.612:                              ;   in Loop: Header=BB281_15 Depth=1
	v_bfe_u32 v9, v27, 16, 7
	v_mov_b32_e32 v35, 0x7c01
	s_mov_b32 s22, exec_lo
	v_cmpx_ne_u32_e32 0x7f, v9
	s_cbranch_execz .LBB281_616
; %bb.613:                              ;   in Loop: Header=BB281_15 Depth=1
	v_and_b32_e32 v6, 7, v3
	v_lshrrev_b32_e32 v8, 3, v9
	s_mov_b32 s23, exec_lo
	v_cmpx_gt_u32_e32 8, v9
; %bb.614:                              ;   in Loop: Header=BB281_15 Depth=1
	v_ffbh_u32_e32 v6, v6
	v_min_u32_e32 v6, 32, v6
	v_subrev_nc_u32_e32 v8, 28, v6
	v_lshlrev_b64 v[9:10], v8, v[3:4]
	v_sub_nc_u32_e32 v8, 29, v6
	v_and_b32_e32 v6, 7, v9
; %bb.615:                              ;   in Loop: Header=BB281_15 Depth=1
	s_or_b32 exec_lo, exec_lo, s23
	v_lshlrev_b32_e32 v3, 8, v3
	v_lshl_add_u32 v8, v8, 10, 0x2000
	v_lshlrev_b32_e32 v6, 7, v6
	v_and_b32_e32 v3, 0x8000, v3
	v_and_b32_e32 v8, 0xfc00, v8
	v_or3_b32 v35, v3, v8, v6
.LBB281_616:                            ;   in Loop: Header=BB281_15 Depth=1
	s_or_b32 exec_lo, exec_lo, s22
.LBB281_617:                            ;   in Loop: Header=BB281_15 Depth=1
	s_or_b32 exec_lo, exec_lo, s21
.LBB281_618:                            ;   in Loop: Header=BB281_15 Depth=1
	s_or_b32 exec_lo, exec_lo, s20
	v_mov_b32_e32 v51, 0
	v_mov_b32_e32 v52, 0
	s_mov_b32 s20, exec_lo
	v_cmpx_lt_u32_e32 0xffffff, v27
	s_cbranch_execz .LBB281_626
; %bb.619:                              ;   in Loop: Header=BB281_15 Depth=1
	v_lshrrev_b32_e32 v3, 24, v27
	v_bfrev_b32_e32 v52, 1
	s_mov_b32 s21, exec_lo
	v_cmpx_ne_u32_e32 0x80, v3
	s_cbranch_execz .LBB281_625
; %bb.620:                              ;   in Loop: Header=BB281_15 Depth=1
	v_and_b32_e32 v9, 0x7f, v3
	v_mov_b32_e32 v52, 0x7c010000
	s_mov_b32 s22, exec_lo
	v_cmpx_ne_u32_e32 0x7f, v9
	s_cbranch_execz .LBB281_624
; %bb.621:                              ;   in Loop: Header=BB281_15 Depth=1
	v_and_b32_e32 v6, 7, v3
	v_lshrrev_b32_e32 v8, 3, v9
	s_mov_b32 s23, exec_lo
	v_cmpx_gt_u32_e32 8, v9
; %bb.622:                              ;   in Loop: Header=BB281_15 Depth=1
	v_ffbh_u32_e32 v6, v6
	v_min_u32_e32 v6, 32, v6
	v_subrev_nc_u32_e32 v8, 28, v6
	v_lshlrev_b64 v[9:10], v8, v[3:4]
	v_sub_nc_u32_e32 v8, 29, v6
	v_and_b32_e32 v6, 7, v9
; %bb.623:                              ;   in Loop: Header=BB281_15 Depth=1
	s_or_b32 exec_lo, exec_lo, s23
	v_lshlrev_b32_e32 v3, 8, v3
	v_lshl_add_u32 v8, v8, 10, 0x2000
	v_lshlrev_b32_e32 v6, 23, v6
	v_and_or_b32 v3, 0x8000, v3, v8
	v_lshl_or_b32 v52, v3, 16, v6
.LBB281_624:                            ;   in Loop: Header=BB281_15 Depth=1
	s_or_b32 exec_lo, exec_lo, s22
.LBB281_625:                            ;   in Loop: Header=BB281_15 Depth=1
	s_or_b32 exec_lo, exec_lo, s21
.LBB281_626:                            ;   in Loop: Header=BB281_15 Depth=1
	s_or_b32 exec_lo, exec_lo, s20
	v_mov_b32_e32 v3, v28
	v_cmp_ne_u16_sdwa s5, v28, v4 src0_sel:BYTE_0 src1_sel:DWORD
	s_and_saveexec_b32 s20, s5
	s_cbranch_execz .LBB281_634
; %bb.627:                              ;   in Loop: Header=BB281_15 Depth=1
	v_cmp_ne_u16_sdwa s5, v28, v54 src0_sel:BYTE_0 src1_sel:DWORD
	v_mov_b32_e32 v51, 0x8000
	s_and_saveexec_b32 s21, s5
	s_cbranch_execz .LBB281_633
; %bb.628:                              ;   in Loop: Header=BB281_15 Depth=1
	v_and_b32_e32 v9, 0x7f, v28
	v_mov_b32_e32 v51, 0x7c01
	s_mov_b32 s22, exec_lo
	v_cmpx_ne_u32_e32 0x7f, v9
	s_cbranch_execz .LBB281_632
; %bb.629:                              ;   in Loop: Header=BB281_15 Depth=1
	v_and_b32_e32 v6, 7, v28
	v_lshrrev_b32_e32 v8, 3, v9
	s_mov_b32 s23, exec_lo
	v_cmpx_gt_u32_e32 8, v9
; %bb.630:                              ;   in Loop: Header=BB281_15 Depth=1
	v_ffbh_u32_e32 v6, v6
	v_min_u32_e32 v6, 32, v6
	v_subrev_nc_u32_e32 v8, 28, v6
	v_lshlrev_b64 v[9:10], v8, v[3:4]
	v_sub_nc_u32_e32 v8, 29, v6
	v_and_b32_e32 v6, 7, v9
; %bb.631:                              ;   in Loop: Header=BB281_15 Depth=1
	s_or_b32 exec_lo, exec_lo, s23
	v_lshlrev_b32_e32 v9, 8, v28
	v_lshl_add_u32 v8, v8, 10, 0x2000
	v_lshlrev_b32_e32 v6, 7, v6
	v_and_b32_e32 v9, 0x8000, v9
	v_and_b32_e32 v8, 0xfc00, v8
	v_or3_b32 v51, v9, v8, v6
.LBB281_632:                            ;   in Loop: Header=BB281_15 Depth=1
	s_or_b32 exec_lo, exec_lo, s22
.LBB281_633:                            ;   in Loop: Header=BB281_15 Depth=1
	s_or_b32 exec_lo, exec_lo, s21
.LBB281_634:                            ;   in Loop: Header=BB281_15 Depth=1
	s_or_b32 exec_lo, exec_lo, s20
	v_lshrrev_b16 v3, 8, v3
	v_mov_b32_e32 v67, 0
	v_mov_b32_e32 v96, 0
	s_mov_b32 s20, exec_lo
	v_cmpx_ne_u16_e32 0, v3
	s_cbranch_execz .LBB281_642
; %bb.635:                              ;   in Loop: Header=BB281_15 Depth=1
	v_bfrev_b32_e32 v96, 1
	s_mov_b32 s21, exec_lo
	v_cmpx_ne_u16_e32 0x80, v3
	s_cbranch_execz .LBB281_641
; %bb.636:                              ;   in Loop: Header=BB281_15 Depth=1
	v_mov_b32_e32 v6, 0x7f
	v_mov_b32_e32 v96, 0x7c010000
	s_mov_b32 s22, exec_lo
	v_and_b32_sdwa v9, v3, v6 dst_sel:DWORD dst_unused:UNUSED_PAD src0_sel:WORD_0 src1_sel:DWORD
	v_cmpx_ne_u32_e32 0x7f, v9
	s_cbranch_execz .LBB281_640
; %bb.637:                              ;   in Loop: Header=BB281_15 Depth=1
	v_mov_b32_e32 v6, 7
	v_lshrrev_b32_e32 v8, 3, v9
	s_mov_b32 s23, exec_lo
	v_and_b32_sdwa v6, v3, v6 dst_sel:DWORD dst_unused:UNUSED_PAD src0_sel:WORD_0 src1_sel:DWORD
	v_cmpx_gt_u32_e32 8, v9
; %bb.638:                              ;   in Loop: Header=BB281_15 Depth=1
	v_ffbh_u32_e32 v6, v6
	v_min_u32_e32 v6, 32, v6
	v_subrev_nc_u32_e32 v8, 28, v6
	v_lshlrev_b64 v[9:10], v8, v[3:4]
	v_sub_nc_u32_e32 v8, 29, v6
	v_and_b32_e32 v6, 7, v9
; %bb.639:                              ;   in Loop: Header=BB281_15 Depth=1
	s_or_b32 exec_lo, exec_lo, s23
	v_mov_b32_e32 v9, 8
	v_lshl_add_u32 v8, v8, 10, 0x2000
	v_lshlrev_b32_e32 v6, 23, v6
	v_lshlrev_b32_sdwa v3, v9, v3 dst_sel:DWORD dst_unused:UNUSED_PAD src0_sel:DWORD src1_sel:WORD_0
	v_and_or_b32 v3, 0x8000, v3, v8
	v_lshl_or_b32 v96, v3, 16, v6
.LBB281_640:                            ;   in Loop: Header=BB281_15 Depth=1
	s_or_b32 exec_lo, exec_lo, s22
.LBB281_641:                            ;   in Loop: Header=BB281_15 Depth=1
	s_or_b32 exec_lo, exec_lo, s21
.LBB281_642:                            ;   in Loop: Header=BB281_15 Depth=1
	s_or_b32 exec_lo, exec_lo, s20
	v_lshrrev_b32_e32 v3, 16, v28
	v_cmp_ne_u16_sdwa s5, v3, v4 src0_sel:BYTE_0 src1_sel:DWORD
	s_and_saveexec_b32 s20, s5
	s_cbranch_execz .LBB281_650
; %bb.643:                              ;   in Loop: Header=BB281_15 Depth=1
	v_cmp_ne_u16_sdwa s5, v3, v54 src0_sel:BYTE_0 src1_sel:DWORD
	v_mov_b32_e32 v67, 0x8000
	s_and_saveexec_b32 s21, s5
	s_cbranch_execz .LBB281_649
; %bb.644:                              ;   in Loop: Header=BB281_15 Depth=1
	v_bfe_u32 v9, v28, 16, 7
	v_mov_b32_e32 v67, 0x7c01
	s_mov_b32 s22, exec_lo
	v_cmpx_ne_u32_e32 0x7f, v9
	s_cbranch_execz .LBB281_648
; %bb.645:                              ;   in Loop: Header=BB281_15 Depth=1
	v_and_b32_e32 v6, 7, v3
	v_lshrrev_b32_e32 v8, 3, v9
	s_mov_b32 s23, exec_lo
	v_cmpx_gt_u32_e32 8, v9
; %bb.646:                              ;   in Loop: Header=BB281_15 Depth=1
	v_ffbh_u32_e32 v6, v6
	v_min_u32_e32 v6, 32, v6
	v_subrev_nc_u32_e32 v8, 28, v6
	v_lshlrev_b64 v[9:10], v8, v[3:4]
	v_sub_nc_u32_e32 v8, 29, v6
	v_and_b32_e32 v6, 7, v9
; %bb.647:                              ;   in Loop: Header=BB281_15 Depth=1
	s_or_b32 exec_lo, exec_lo, s23
	v_lshlrev_b32_e32 v3, 8, v3
	v_lshl_add_u32 v8, v8, 10, 0x2000
	v_lshlrev_b32_e32 v6, 7, v6
	v_and_b32_e32 v3, 0x8000, v3
	v_and_b32_e32 v8, 0xfc00, v8
	v_or3_b32 v67, v3, v8, v6
.LBB281_648:                            ;   in Loop: Header=BB281_15 Depth=1
	s_or_b32 exec_lo, exec_lo, s22
.LBB281_649:                            ;   in Loop: Header=BB281_15 Depth=1
	s_or_b32 exec_lo, exec_lo, s21
.LBB281_650:                            ;   in Loop: Header=BB281_15 Depth=1
	s_or_b32 exec_lo, exec_lo, s20
	v_mov_b32_e32 v15, 0
	v_mov_b32_e32 v97, 0
	s_mov_b32 s20, exec_lo
	v_cmpx_lt_u64_e64 s[12:13], v[27:28]
	s_cbranch_execz .LBB281_658
; %bb.651:                              ;   in Loop: Header=BB281_15 Depth=1
	v_lshrrev_b32_e32 v3, 24, v28
	v_bfrev_b32_e32 v97, 1
	s_mov_b32 s21, exec_lo
	v_cmpx_ne_u32_e32 0x80, v3
	s_cbranch_execz .LBB281_657
; %bb.652:                              ;   in Loop: Header=BB281_15 Depth=1
	v_and_b32_e32 v9, 0x7f, v3
	v_mov_b32_e32 v97, 0x7c010000
	s_mov_b32 s22, exec_lo
	v_cmpx_ne_u32_e32 0x7f, v9
	s_cbranch_execz .LBB281_656
; %bb.653:                              ;   in Loop: Header=BB281_15 Depth=1
	v_and_b32_e32 v6, 7, v3
	v_lshrrev_b32_e32 v8, 3, v9
	s_mov_b32 s23, exec_lo
	v_cmpx_gt_u32_e32 8, v9
; %bb.654:                              ;   in Loop: Header=BB281_15 Depth=1
	v_ffbh_u32_e32 v6, v6
	v_min_u32_e32 v6, 32, v6
	v_subrev_nc_u32_e32 v8, 28, v6
	v_lshlrev_b64 v[9:10], v8, v[3:4]
	v_sub_nc_u32_e32 v8, 29, v6
	v_and_b32_e32 v6, 7, v9
; %bb.655:                              ;   in Loop: Header=BB281_15 Depth=1
	s_or_b32 exec_lo, exec_lo, s23
	v_lshlrev_b32_e32 v3, 8, v3
	v_lshl_add_u32 v8, v8, 10, 0x2000
	v_lshlrev_b32_e32 v6, 23, v6
	v_and_or_b32 v3, 0x8000, v3, v8
	v_lshl_or_b32 v97, v3, 16, v6
.LBB281_656:                            ;   in Loop: Header=BB281_15 Depth=1
	s_or_b32 exec_lo, exec_lo, s22
.LBB281_657:                            ;   in Loop: Header=BB281_15 Depth=1
	s_or_b32 exec_lo, exec_lo, s21
.LBB281_658:                            ;   in Loop: Header=BB281_15 Depth=1
	s_or_b32 exec_lo, exec_lo, s20
	flat_load_dwordx2 v[27:28], v[24:25] offset:512
	s_waitcnt vmcnt(0) lgkmcnt(0)
	v_cmp_ne_u16_sdwa s5, v27, v4 src0_sel:BYTE_0 src1_sel:DWORD
	s_and_saveexec_b32 s20, s5
	s_cbranch_execz .LBB281_666
; %bb.659:                              ;   in Loop: Header=BB281_15 Depth=1
	v_cmp_ne_u16_sdwa s5, v27, v54 src0_sel:BYTE_0 src1_sel:DWORD
	v_mov_b32_e32 v15, 0x8000
	s_and_saveexec_b32 s21, s5
	s_cbranch_execz .LBB281_665
; %bb.660:                              ;   in Loop: Header=BB281_15 Depth=1
	v_and_b32_e32 v8, 0x7f, v27
	v_mov_b32_e32 v15, 0x7c01
	s_mov_b32 s22, exec_lo
	v_cmpx_ne_u32_e32 0x7f, v8
	s_cbranch_execz .LBB281_664
; %bb.661:                              ;   in Loop: Header=BB281_15 Depth=1
	v_and_b32_e32 v3, 7, v27
	v_lshrrev_b32_e32 v6, 3, v8
	s_mov_b32 s23, exec_lo
	v_cmpx_gt_u32_e32 8, v8
; %bb.662:                              ;   in Loop: Header=BB281_15 Depth=1
	v_ffbh_u32_e32 v3, v3
	v_min_u32_e32 v3, 32, v3
	v_subrev_nc_u32_e32 v6, 28, v3
	v_lshlrev_b64 v[8:9], v6, v[27:28]
	v_sub_nc_u32_e32 v6, 29, v3
	v_and_b32_e32 v3, 7, v8
; %bb.663:                              ;   in Loop: Header=BB281_15 Depth=1
	s_or_b32 exec_lo, exec_lo, s23
	v_lshlrev_b32_e32 v8, 8, v27
	v_lshl_add_u32 v6, v6, 10, 0x2000
	v_lshlrev_b32_e32 v3, 7, v3
	v_and_b32_e32 v8, 0x8000, v8
	v_and_b32_e32 v6, 0xfc00, v6
	v_or3_b32 v15, v8, v6, v3
.LBB281_664:                            ;   in Loop: Header=BB281_15 Depth=1
	s_or_b32 exec_lo, exec_lo, s22
.LBB281_665:                            ;   in Loop: Header=BB281_15 Depth=1
	s_or_b32 exec_lo, exec_lo, s21
.LBB281_666:                            ;   in Loop: Header=BB281_15 Depth=1
	s_or_b32 exec_lo, exec_lo, s20
	v_lshrrev_b16 v3, 8, v27
	v_mov_b32_e32 v9, 0
	v_mov_b32_e32 v21, 0
	s_mov_b32 s20, exec_lo
	v_cmpx_ne_u16_e32 0, v3
	s_cbranch_execz .LBB281_674
; %bb.667:                              ;   in Loop: Header=BB281_15 Depth=1
	v_bfrev_b32_e32 v21, 1
	s_mov_b32 s21, exec_lo
	v_cmpx_ne_u16_e32 0x80, v3
	s_cbranch_execz .LBB281_673
; %bb.668:                              ;   in Loop: Header=BB281_15 Depth=1
	v_mov_b32_e32 v6, 0x7f
	v_mov_b32_e32 v21, 0x7c010000
	s_mov_b32 s22, exec_lo
	v_and_b32_sdwa v10, v3, v6 dst_sel:DWORD dst_unused:UNUSED_PAD src0_sel:WORD_0 src1_sel:DWORD
	v_cmpx_ne_u32_e32 0x7f, v10
	s_cbranch_execz .LBB281_672
; %bb.669:                              ;   in Loop: Header=BB281_15 Depth=1
	v_mov_b32_e32 v6, 7
	v_lshrrev_b32_e32 v8, 3, v10
	s_mov_b32 s23, exec_lo
	v_and_b32_sdwa v6, v3, v6 dst_sel:DWORD dst_unused:UNUSED_PAD src0_sel:WORD_0 src1_sel:DWORD
	v_cmpx_gt_u32_e32 8, v10
; %bb.670:                              ;   in Loop: Header=BB281_15 Depth=1
	v_ffbh_u32_e32 v6, v6
	v_min_u32_e32 v6, 32, v6
	v_subrev_nc_u32_e32 v8, 28, v6
	v_lshlrev_b64 v[10:11], v8, v[3:4]
	v_sub_nc_u32_e32 v8, 29, v6
	v_and_b32_e32 v6, 7, v10
; %bb.671:                              ;   in Loop: Header=BB281_15 Depth=1
	s_or_b32 exec_lo, exec_lo, s23
	v_mov_b32_e32 v10, 8
	v_lshl_add_u32 v8, v8, 10, 0x2000
	v_lshlrev_b32_e32 v6, 23, v6
	v_lshlrev_b32_sdwa v3, v10, v3 dst_sel:DWORD dst_unused:UNUSED_PAD src0_sel:DWORD src1_sel:WORD_0
	v_and_or_b32 v3, 0x8000, v3, v8
	v_lshl_or_b32 v21, v3, 16, v6
.LBB281_672:                            ;   in Loop: Header=BB281_15 Depth=1
	s_or_b32 exec_lo, exec_lo, s22
.LBB281_673:                            ;   in Loop: Header=BB281_15 Depth=1
	s_or_b32 exec_lo, exec_lo, s21
.LBB281_674:                            ;   in Loop: Header=BB281_15 Depth=1
	s_or_b32 exec_lo, exec_lo, s20
	v_lshrrev_b32_e32 v3, 16, v27
	v_cmp_ne_u16_sdwa s5, v3, v4 src0_sel:BYTE_0 src1_sel:DWORD
	s_and_saveexec_b32 s20, s5
	s_cbranch_execz .LBB281_682
; %bb.675:                              ;   in Loop: Header=BB281_15 Depth=1
	v_cmp_ne_u16_sdwa s5, v3, v54 src0_sel:BYTE_0 src1_sel:DWORD
	v_mov_b32_e32 v9, 0x8000
	s_and_saveexec_b32 s21, s5
	s_cbranch_execz .LBB281_681
; %bb.676:                              ;   in Loop: Header=BB281_15 Depth=1
	v_bfe_u32 v10, v27, 16, 7
	v_mov_b32_e32 v9, 0x7c01
	s_mov_b32 s22, exec_lo
	v_cmpx_ne_u32_e32 0x7f, v10
	s_cbranch_execz .LBB281_680
; %bb.677:                              ;   in Loop: Header=BB281_15 Depth=1
	v_and_b32_e32 v6, 7, v3
	v_lshrrev_b32_e32 v8, 3, v10
	s_mov_b32 s23, exec_lo
	v_cmpx_gt_u32_e32 8, v10
; %bb.678:                              ;   in Loop: Header=BB281_15 Depth=1
	v_ffbh_u32_e32 v6, v6
	v_min_u32_e32 v6, 32, v6
	v_subrev_nc_u32_e32 v8, 28, v6
	v_lshlrev_b64 v[9:10], v8, v[3:4]
	v_sub_nc_u32_e32 v8, 29, v6
	v_and_b32_e32 v6, 7, v9
; %bb.679:                              ;   in Loop: Header=BB281_15 Depth=1
	s_or_b32 exec_lo, exec_lo, s23
	v_lshlrev_b32_e32 v3, 8, v3
	v_lshl_add_u32 v8, v8, 10, 0x2000
	v_lshlrev_b32_e32 v6, 7, v6
	v_and_b32_e32 v3, 0x8000, v3
	v_and_b32_e32 v8, 0xfc00, v8
	v_or3_b32 v9, v3, v8, v6
.LBB281_680:                            ;   in Loop: Header=BB281_15 Depth=1
	s_or_b32 exec_lo, exec_lo, s22
.LBB281_681:                            ;   in Loop: Header=BB281_15 Depth=1
	s_or_b32 exec_lo, exec_lo, s21
.LBB281_682:                            ;   in Loop: Header=BB281_15 Depth=1
	s_or_b32 exec_lo, exec_lo, s20
	v_mov_b32_e32 v29, 0
	v_mov_b32_e32 v18, 0
	s_mov_b32 s20, exec_lo
	v_cmpx_lt_u32_e32 0xffffff, v27
	s_cbranch_execz .LBB281_690
; %bb.683:                              ;   in Loop: Header=BB281_15 Depth=1
	v_lshrrev_b32_e32 v3, 24, v27
	v_bfrev_b32_e32 v18, 1
	s_mov_b32 s21, exec_lo
	v_cmpx_ne_u32_e32 0x80, v3
	s_cbranch_execz .LBB281_689
; %bb.684:                              ;   in Loop: Header=BB281_15 Depth=1
	v_and_b32_e32 v10, 0x7f, v3
	v_mov_b32_e32 v18, 0x7c010000
	s_mov_b32 s22, exec_lo
	v_cmpx_ne_u32_e32 0x7f, v10
	s_cbranch_execz .LBB281_688
; %bb.685:                              ;   in Loop: Header=BB281_15 Depth=1
	v_and_b32_e32 v6, 7, v3
	v_lshrrev_b32_e32 v8, 3, v10
	s_mov_b32 s23, exec_lo
	v_cmpx_gt_u32_e32 8, v10
; %bb.686:                              ;   in Loop: Header=BB281_15 Depth=1
	v_ffbh_u32_e32 v6, v6
	v_min_u32_e32 v6, 32, v6
	v_subrev_nc_u32_e32 v8, 28, v6
	v_lshlrev_b64 v[10:11], v8, v[3:4]
	v_sub_nc_u32_e32 v8, 29, v6
	v_and_b32_e32 v6, 7, v10
; %bb.687:                              ;   in Loop: Header=BB281_15 Depth=1
	s_or_b32 exec_lo, exec_lo, s23
	v_lshlrev_b32_e32 v3, 8, v3
	v_lshl_add_u32 v8, v8, 10, 0x2000
	v_lshlrev_b32_e32 v6, 23, v6
	v_and_or_b32 v3, 0x8000, v3, v8
	v_lshl_or_b32 v18, v3, 16, v6
.LBB281_688:                            ;   in Loop: Header=BB281_15 Depth=1
	s_or_b32 exec_lo, exec_lo, s22
.LBB281_689:                            ;   in Loop: Header=BB281_15 Depth=1
	s_or_b32 exec_lo, exec_lo, s21
.LBB281_690:                            ;   in Loop: Header=BB281_15 Depth=1
	s_or_b32 exec_lo, exec_lo, s20
	v_mov_b32_e32 v3, v28
	v_cmp_ne_u16_sdwa s5, v28, v4 src0_sel:BYTE_0 src1_sel:DWORD
	s_and_saveexec_b32 s20, s5
	s_cbranch_execz .LBB281_698
; %bb.691:                              ;   in Loop: Header=BB281_15 Depth=1
	v_cmp_ne_u16_sdwa s5, v28, v54 src0_sel:BYTE_0 src1_sel:DWORD
	v_mov_b32_e32 v29, 0x8000
	s_and_saveexec_b32 s21, s5
	s_cbranch_execz .LBB281_697
; %bb.692:                              ;   in Loop: Header=BB281_15 Depth=1
	v_and_b32_e32 v10, 0x7f, v28
	v_mov_b32_e32 v29, 0x7c01
	s_mov_b32 s22, exec_lo
	v_cmpx_ne_u32_e32 0x7f, v10
	s_cbranch_execz .LBB281_696
; %bb.693:                              ;   in Loop: Header=BB281_15 Depth=1
	v_and_b32_e32 v6, 7, v28
	v_lshrrev_b32_e32 v8, 3, v10
	s_mov_b32 s23, exec_lo
	v_cmpx_gt_u32_e32 8, v10
; %bb.694:                              ;   in Loop: Header=BB281_15 Depth=1
	v_ffbh_u32_e32 v6, v6
	v_min_u32_e32 v6, 32, v6
	v_subrev_nc_u32_e32 v8, 28, v6
	v_lshlrev_b64 v[10:11], v8, v[3:4]
	v_sub_nc_u32_e32 v8, 29, v6
	v_and_b32_e32 v6, 7, v10
; %bb.695:                              ;   in Loop: Header=BB281_15 Depth=1
	s_or_b32 exec_lo, exec_lo, s23
	v_lshlrev_b32_e32 v10, 8, v28
	v_lshl_add_u32 v8, v8, 10, 0x2000
	v_lshlrev_b32_e32 v6, 7, v6
	v_and_b32_e32 v10, 0x8000, v10
	v_and_b32_e32 v8, 0xfc00, v8
	v_or3_b32 v29, v10, v8, v6
.LBB281_696:                            ;   in Loop: Header=BB281_15 Depth=1
	s_or_b32 exec_lo, exec_lo, s22
.LBB281_697:                            ;   in Loop: Header=BB281_15 Depth=1
	s_or_b32 exec_lo, exec_lo, s21
.LBB281_698:                            ;   in Loop: Header=BB281_15 Depth=1
	s_or_b32 exec_lo, exec_lo, s20
	v_lshrrev_b16 v3, 8, v3
	v_mov_b32_e32 v55, 0
	v_mov_b32_e32 v49, 0
	s_mov_b32 s20, exec_lo
	v_cmpx_ne_u16_e32 0, v3
	s_cbranch_execz .LBB281_706
; %bb.699:                              ;   in Loop: Header=BB281_15 Depth=1
	v_bfrev_b32_e32 v49, 1
	s_mov_b32 s21, exec_lo
	v_cmpx_ne_u16_e32 0x80, v3
	s_cbranch_execz .LBB281_705
; %bb.700:                              ;   in Loop: Header=BB281_15 Depth=1
	v_mov_b32_e32 v6, 0x7f
	v_mov_b32_e32 v49, 0x7c010000
	s_mov_b32 s22, exec_lo
	v_and_b32_sdwa v10, v3, v6 dst_sel:DWORD dst_unused:UNUSED_PAD src0_sel:WORD_0 src1_sel:DWORD
	v_cmpx_ne_u32_e32 0x7f, v10
	s_cbranch_execz .LBB281_704
; %bb.701:                              ;   in Loop: Header=BB281_15 Depth=1
	v_mov_b32_e32 v6, 7
	v_lshrrev_b32_e32 v8, 3, v10
	s_mov_b32 s23, exec_lo
	v_and_b32_sdwa v6, v3, v6 dst_sel:DWORD dst_unused:UNUSED_PAD src0_sel:WORD_0 src1_sel:DWORD
	v_cmpx_gt_u32_e32 8, v10
; %bb.702:                              ;   in Loop: Header=BB281_15 Depth=1
	v_ffbh_u32_e32 v6, v6
	v_min_u32_e32 v6, 32, v6
	v_subrev_nc_u32_e32 v8, 28, v6
	v_lshlrev_b64 v[10:11], v8, v[3:4]
	v_sub_nc_u32_e32 v8, 29, v6
	v_and_b32_e32 v6, 7, v10
; %bb.703:                              ;   in Loop: Header=BB281_15 Depth=1
	s_or_b32 exec_lo, exec_lo, s23
	v_mov_b32_e32 v10, 8
	v_lshl_add_u32 v8, v8, 10, 0x2000
	v_lshlrev_b32_e32 v6, 23, v6
	v_lshlrev_b32_sdwa v3, v10, v3 dst_sel:DWORD dst_unused:UNUSED_PAD src0_sel:DWORD src1_sel:WORD_0
	v_and_or_b32 v3, 0x8000, v3, v8
	v_lshl_or_b32 v49, v3, 16, v6
.LBB281_704:                            ;   in Loop: Header=BB281_15 Depth=1
	s_or_b32 exec_lo, exec_lo, s22
.LBB281_705:                            ;   in Loop: Header=BB281_15 Depth=1
	s_or_b32 exec_lo, exec_lo, s21
.LBB281_706:                            ;   in Loop: Header=BB281_15 Depth=1
	s_or_b32 exec_lo, exec_lo, s20
	v_lshrrev_b32_e32 v3, 16, v28
	v_cmp_ne_u16_sdwa s5, v3, v4 src0_sel:BYTE_0 src1_sel:DWORD
	s_and_saveexec_b32 s20, s5
	s_cbranch_execz .LBB281_714
; %bb.707:                              ;   in Loop: Header=BB281_15 Depth=1
	v_cmp_ne_u16_sdwa s5, v3, v54 src0_sel:BYTE_0 src1_sel:DWORD
	v_mov_b32_e32 v55, 0x8000
	s_and_saveexec_b32 s21, s5
	s_cbranch_execz .LBB281_713
; %bb.708:                              ;   in Loop: Header=BB281_15 Depth=1
	v_bfe_u32 v10, v28, 16, 7
	v_mov_b32_e32 v55, 0x7c01
	s_mov_b32 s22, exec_lo
	v_cmpx_ne_u32_e32 0x7f, v10
	s_cbranch_execz .LBB281_712
; %bb.709:                              ;   in Loop: Header=BB281_15 Depth=1
	v_and_b32_e32 v6, 7, v3
	v_lshrrev_b32_e32 v8, 3, v10
	s_mov_b32 s23, exec_lo
	v_cmpx_gt_u32_e32 8, v10
; %bb.710:                              ;   in Loop: Header=BB281_15 Depth=1
	v_ffbh_u32_e32 v6, v6
	v_min_u32_e32 v6, 32, v6
	v_subrev_nc_u32_e32 v8, 28, v6
	v_lshlrev_b64 v[10:11], v8, v[3:4]
	v_sub_nc_u32_e32 v8, 29, v6
	v_and_b32_e32 v6, 7, v10
; %bb.711:                              ;   in Loop: Header=BB281_15 Depth=1
	s_or_b32 exec_lo, exec_lo, s23
	v_lshlrev_b32_e32 v3, 8, v3
	v_lshl_add_u32 v8, v8, 10, 0x2000
	v_lshlrev_b32_e32 v6, 7, v6
	v_and_b32_e32 v3, 0x8000, v3
	v_and_b32_e32 v8, 0xfc00, v8
	v_or3_b32 v55, v3, v8, v6
.LBB281_712:                            ;   in Loop: Header=BB281_15 Depth=1
	s_or_b32 exec_lo, exec_lo, s22
.LBB281_713:                            ;   in Loop: Header=BB281_15 Depth=1
	s_or_b32 exec_lo, exec_lo, s21
.LBB281_714:                            ;   in Loop: Header=BB281_15 Depth=1
	s_or_b32 exec_lo, exec_lo, s20
	v_mov_b32_e32 v6, 0
	v_mov_b32_e32 v71, 0
	s_mov_b32 s20, exec_lo
	v_cmpx_lt_u64_e64 s[12:13], v[27:28]
	s_cbranch_execz .LBB281_722
; %bb.715:                              ;   in Loop: Header=BB281_15 Depth=1
	v_lshrrev_b32_e32 v3, 24, v28
	v_bfrev_b32_e32 v71, 1
	s_mov_b32 s21, exec_lo
	v_cmpx_ne_u32_e32 0x80, v3
	s_cbranch_execz .LBB281_721
; %bb.716:                              ;   in Loop: Header=BB281_15 Depth=1
	v_and_b32_e32 v11, 0x7f, v3
	v_mov_b32_e32 v71, 0x7c010000
	s_mov_b32 s22, exec_lo
	v_cmpx_ne_u32_e32 0x7f, v11
	s_cbranch_execz .LBB281_720
; %bb.717:                              ;   in Loop: Header=BB281_15 Depth=1
	v_and_b32_e32 v8, 7, v3
	v_lshrrev_b32_e32 v10, 3, v11
	s_mov_b32 s23, exec_lo
	v_cmpx_gt_u32_e32 8, v11
; %bb.718:                              ;   in Loop: Header=BB281_15 Depth=1
	v_ffbh_u32_e32 v8, v8
	v_min_u32_e32 v8, 32, v8
	v_subrev_nc_u32_e32 v10, 28, v8
	v_lshlrev_b64 v[11:12], v10, v[3:4]
	v_sub_nc_u32_e32 v10, 29, v8
	v_and_b32_e32 v8, 7, v11
; %bb.719:                              ;   in Loop: Header=BB281_15 Depth=1
	s_or_b32 exec_lo, exec_lo, s23
	v_lshlrev_b32_e32 v3, 8, v3
	v_lshl_add_u32 v10, v10, 10, 0x2000
	v_lshlrev_b32_e32 v8, 23, v8
	v_and_or_b32 v3, 0x8000, v3, v10
	v_lshl_or_b32 v71, v3, 16, v8
.LBB281_720:                            ;   in Loop: Header=BB281_15 Depth=1
	s_or_b32 exec_lo, exec_lo, s22
.LBB281_721:                            ;   in Loop: Header=BB281_15 Depth=1
	s_or_b32 exec_lo, exec_lo, s21
.LBB281_722:                            ;   in Loop: Header=BB281_15 Depth=1
	s_or_b32 exec_lo, exec_lo, s20
	flat_load_dwordx2 v[27:28], v[24:25] offset:520
	s_waitcnt vmcnt(0) lgkmcnt(0)
	v_cmp_ne_u16_sdwa s5, v27, v4 src0_sel:BYTE_0 src1_sel:DWORD
	s_and_saveexec_b32 s20, s5
	s_cbranch_execz .LBB281_730
; %bb.723:                              ;   in Loop: Header=BB281_15 Depth=1
	v_cmp_ne_u16_sdwa s5, v27, v54 src0_sel:BYTE_0 src1_sel:DWORD
	v_mov_b32_e32 v6, 0x8000
	s_and_saveexec_b32 s21, s5
	s_cbranch_execz .LBB281_729
; %bb.724:                              ;   in Loop: Header=BB281_15 Depth=1
	v_and_b32_e32 v8, 0x7f, v27
	v_mov_b32_e32 v6, 0x7c01
	s_mov_b32 s22, exec_lo
	v_cmpx_ne_u32_e32 0x7f, v8
	s_cbranch_execz .LBB281_728
; %bb.725:                              ;   in Loop: Header=BB281_15 Depth=1
	v_and_b32_e32 v3, 7, v27
	v_lshrrev_b32_e32 v6, 3, v8
	s_mov_b32 s23, exec_lo
	v_cmpx_gt_u32_e32 8, v8
; %bb.726:                              ;   in Loop: Header=BB281_15 Depth=1
	v_ffbh_u32_e32 v3, v3
	v_min_u32_e32 v3, 32, v3
	v_subrev_nc_u32_e32 v6, 28, v3
	v_lshlrev_b64 v[10:11], v6, v[27:28]
	v_sub_nc_u32_e32 v6, 29, v3
	v_and_b32_e32 v3, 7, v10
; %bb.727:                              ;   in Loop: Header=BB281_15 Depth=1
	s_or_b32 exec_lo, exec_lo, s23
	v_lshlrev_b32_e32 v8, 8, v27
	v_lshl_add_u32 v6, v6, 10, 0x2000
	v_lshlrev_b32_e32 v3, 7, v3
	v_and_b32_e32 v8, 0x8000, v8
	v_and_b32_e32 v6, 0xfc00, v6
	v_or3_b32 v6, v8, v6, v3
.LBB281_728:                            ;   in Loop: Header=BB281_15 Depth=1
	s_or_b32 exec_lo, exec_lo, s22
.LBB281_729:                            ;   in Loop: Header=BB281_15 Depth=1
	s_or_b32 exec_lo, exec_lo, s21
.LBB281_730:                            ;   in Loop: Header=BB281_15 Depth=1
	s_or_b32 exec_lo, exec_lo, s20
	v_lshrrev_b16 v3, 8, v27
	v_mov_b32_e32 v10, 0
	v_mov_b32_e32 v8, 0
	s_mov_b32 s20, exec_lo
	v_cmpx_ne_u16_e32 0, v3
	s_cbranch_execz .LBB281_738
; %bb.731:                              ;   in Loop: Header=BB281_15 Depth=1
	v_bfrev_b32_e32 v8, 1
	s_mov_b32 s21, exec_lo
	v_cmpx_ne_u16_e32 0x80, v3
	s_cbranch_execz .LBB281_737
; %bb.732:                              ;   in Loop: Header=BB281_15 Depth=1
	v_mov_b32_e32 v8, 0x7f
	s_mov_b32 s22, exec_lo
	v_and_b32_sdwa v12, v3, v8 dst_sel:DWORD dst_unused:UNUSED_PAD src0_sel:WORD_0 src1_sel:DWORD
	v_mov_b32_e32 v8, 0x7c010000
	v_cmpx_ne_u32_e32 0x7f, v12
	s_cbranch_execz .LBB281_736
; %bb.733:                              ;   in Loop: Header=BB281_15 Depth=1
	v_mov_b32_e32 v8, 7
	v_lshrrev_b32_e32 v11, 3, v12
	s_mov_b32 s23, exec_lo
	v_and_b32_sdwa v8, v3, v8 dst_sel:DWORD dst_unused:UNUSED_PAD src0_sel:WORD_0 src1_sel:DWORD
	v_cmpx_gt_u32_e32 8, v12
; %bb.734:                              ;   in Loop: Header=BB281_15 Depth=1
	v_ffbh_u32_e32 v8, v8
	v_min_u32_e32 v8, 32, v8
	v_subrev_nc_u32_e32 v11, 28, v8
	v_lshlrev_b64 v[12:13], v11, v[3:4]
	v_sub_nc_u32_e32 v11, 29, v8
	v_and_b32_e32 v8, 7, v12
; %bb.735:                              ;   in Loop: Header=BB281_15 Depth=1
	s_or_b32 exec_lo, exec_lo, s23
	v_mov_b32_e32 v12, 8
	v_lshl_add_u32 v11, v11, 10, 0x2000
	v_lshlrev_b32_e32 v8, 23, v8
	v_lshlrev_b32_sdwa v3, v12, v3 dst_sel:DWORD dst_unused:UNUSED_PAD src0_sel:DWORD src1_sel:WORD_0
	v_and_or_b32 v3, 0x8000, v3, v11
	v_lshl_or_b32 v8, v3, 16, v8
.LBB281_736:                            ;   in Loop: Header=BB281_15 Depth=1
	s_or_b32 exec_lo, exec_lo, s22
.LBB281_737:                            ;   in Loop: Header=BB281_15 Depth=1
	s_or_b32 exec_lo, exec_lo, s21
.LBB281_738:                            ;   in Loop: Header=BB281_15 Depth=1
	s_or_b32 exec_lo, exec_lo, s20
	v_lshrrev_b32_e32 v3, 16, v27
	v_cmp_ne_u16_sdwa s5, v3, v4 src0_sel:BYTE_0 src1_sel:DWORD
	s_and_saveexec_b32 s20, s5
	s_cbranch_execz .LBB281_746
; %bb.739:                              ;   in Loop: Header=BB281_15 Depth=1
	v_cmp_ne_u16_sdwa s5, v3, v54 src0_sel:BYTE_0 src1_sel:DWORD
	v_mov_b32_e32 v10, 0x8000
	s_and_saveexec_b32 s21, s5
	s_cbranch_execz .LBB281_745
; %bb.740:                              ;   in Loop: Header=BB281_15 Depth=1
	v_bfe_u32 v12, v27, 16, 7
	v_mov_b32_e32 v10, 0x7c01
	s_mov_b32 s22, exec_lo
	v_cmpx_ne_u32_e32 0x7f, v12
	s_cbranch_execz .LBB281_744
; %bb.741:                              ;   in Loop: Header=BB281_15 Depth=1
	v_and_b32_e32 v10, 7, v3
	v_lshrrev_b32_e32 v11, 3, v12
	s_mov_b32 s23, exec_lo
	v_cmpx_gt_u32_e32 8, v12
; %bb.742:                              ;   in Loop: Header=BB281_15 Depth=1
	v_ffbh_u32_e32 v10, v10
	v_min_u32_e32 v12, 32, v10
	v_subrev_nc_u32_e32 v10, 28, v12
	v_lshlrev_b64 v[10:11], v10, v[3:4]
	v_sub_nc_u32_e32 v11, 29, v12
	v_and_b32_e32 v10, 7, v10
; %bb.743:                              ;   in Loop: Header=BB281_15 Depth=1
	s_or_b32 exec_lo, exec_lo, s23
	v_lshlrev_b32_e32 v3, 8, v3
	v_lshl_add_u32 v11, v11, 10, 0x2000
	v_lshlrev_b32_e32 v10, 7, v10
	v_and_b32_e32 v3, 0x8000, v3
	v_and_b32_e32 v11, 0xfc00, v11
	v_or3_b32 v10, v3, v11, v10
.LBB281_744:                            ;   in Loop: Header=BB281_15 Depth=1
	s_or_b32 exec_lo, exec_lo, s22
.LBB281_745:                            ;   in Loop: Header=BB281_15 Depth=1
	s_or_b32 exec_lo, exec_lo, s21
.LBB281_746:                            ;   in Loop: Header=BB281_15 Depth=1
	s_or_b32 exec_lo, exec_lo, s20
	v_mov_b32_e32 v11, 0
	v_mov_b32_e32 v12, 0
	s_mov_b32 s20, exec_lo
	v_cmpx_lt_u32_e32 0xffffff, v27
	s_cbranch_execz .LBB281_754
; %bb.747:                              ;   in Loop: Header=BB281_15 Depth=1
	v_lshrrev_b32_e32 v3, 24, v27
	v_bfrev_b32_e32 v12, 1
	s_mov_b32 s21, exec_lo
	v_cmpx_ne_u32_e32 0x80, v3
	s_cbranch_execz .LBB281_753
; %bb.748:                              ;   in Loop: Header=BB281_15 Depth=1
	v_and_b32_e32 v23, 0x7f, v3
	v_mov_b32_e32 v12, 0x7c010000
	s_mov_b32 s22, exec_lo
	v_cmpx_ne_u32_e32 0x7f, v23
	s_cbranch_execz .LBB281_752
; %bb.749:                              ;   in Loop: Header=BB281_15 Depth=1
	v_and_b32_e32 v12, 7, v3
	v_lshrrev_b32_e32 v13, 3, v23
	s_mov_b32 s23, exec_lo
	v_cmpx_gt_u32_e32 8, v23
; %bb.750:                              ;   in Loop: Header=BB281_15 Depth=1
	v_ffbh_u32_e32 v12, v12
	v_min_u32_e32 v19, 32, v12
	v_subrev_nc_u32_e32 v12, 28, v19
	v_lshlrev_b64 v[12:13], v12, v[3:4]
	v_sub_nc_u32_e32 v13, 29, v19
	v_and_b32_e32 v12, 7, v12
; %bb.751:                              ;   in Loop: Header=BB281_15 Depth=1
	s_or_b32 exec_lo, exec_lo, s23
	v_lshlrev_b32_e32 v3, 8, v3
	v_lshl_add_u32 v13, v13, 10, 0x2000
	v_lshlrev_b32_e32 v12, 23, v12
	v_and_or_b32 v3, 0x8000, v3, v13
	v_lshl_or_b32 v12, v3, 16, v12
.LBB281_752:                            ;   in Loop: Header=BB281_15 Depth=1
	s_or_b32 exec_lo, exec_lo, s22
.LBB281_753:                            ;   in Loop: Header=BB281_15 Depth=1
	s_or_b32 exec_lo, exec_lo, s21
.LBB281_754:                            ;   in Loop: Header=BB281_15 Depth=1
	s_or_b32 exec_lo, exec_lo, s20
	v_mov_b32_e32 v3, v28
	v_cmp_ne_u16_sdwa s5, v28, v4 src0_sel:BYTE_0 src1_sel:DWORD
	s_and_saveexec_b32 s20, s5
	s_cbranch_execz .LBB281_762
; %bb.755:                              ;   in Loop: Header=BB281_15 Depth=1
	v_cmp_ne_u16_sdwa s5, v28, v54 src0_sel:BYTE_0 src1_sel:DWORD
	v_mov_b32_e32 v11, 0x8000
	s_and_saveexec_b32 s21, s5
	s_cbranch_execz .LBB281_761
; %bb.756:                              ;   in Loop: Header=BB281_15 Depth=1
	v_and_b32_e32 v23, 0x7f, v28
	v_mov_b32_e32 v11, 0x7c01
	s_mov_b32 s22, exec_lo
	v_cmpx_ne_u32_e32 0x7f, v23
	s_cbranch_execz .LBB281_760
; %bb.757:                              ;   in Loop: Header=BB281_15 Depth=1
	v_and_b32_e32 v11, 7, v28
	v_lshrrev_b32_e32 v13, 3, v23
	s_mov_b32 s23, exec_lo
	v_cmpx_gt_u32_e32 8, v23
; %bb.758:                              ;   in Loop: Header=BB281_15 Depth=1
	v_ffbh_u32_e32 v11, v11
	v_min_u32_e32 v11, 32, v11
	v_subrev_nc_u32_e32 v13, 28, v11
	v_lshlrev_b64 v[22:23], v13, v[3:4]
	v_sub_nc_u32_e32 v13, 29, v11
	v_and_b32_e32 v11, 7, v22
; %bb.759:                              ;   in Loop: Header=BB281_15 Depth=1
	s_or_b32 exec_lo, exec_lo, s23
	v_lshlrev_b32_e32 v19, 8, v28
	v_lshl_add_u32 v13, v13, 10, 0x2000
	v_lshlrev_b32_e32 v11, 7, v11
	v_and_b32_e32 v19, 0x8000, v19
	v_and_b32_e32 v13, 0xfc00, v13
	v_or3_b32 v11, v19, v13, v11
.LBB281_760:                            ;   in Loop: Header=BB281_15 Depth=1
	s_or_b32 exec_lo, exec_lo, s22
.LBB281_761:                            ;   in Loop: Header=BB281_15 Depth=1
	s_or_b32 exec_lo, exec_lo, s21
.LBB281_762:                            ;   in Loop: Header=BB281_15 Depth=1
	s_or_b32 exec_lo, exec_lo, s20
	v_lshrrev_b16 v3, 8, v3
	v_mov_b32_e32 v64, 0
	v_mov_b32_e32 v66, 0
	s_mov_b32 s20, exec_lo
	v_cmpx_ne_u16_e32 0, v3
	s_cbranch_execz .LBB281_770
; %bb.763:                              ;   in Loop: Header=BB281_15 Depth=1
	v_bfrev_b32_e32 v66, 1
	s_mov_b32 s21, exec_lo
	v_cmpx_ne_u16_e32 0x80, v3
	s_cbranch_execz .LBB281_769
; %bb.764:                              ;   in Loop: Header=BB281_15 Depth=1
	v_mov_b32_e32 v13, 0x7f
	v_mov_b32_e32 v66, 0x7c010000
	s_mov_b32 s22, exec_lo
	v_and_b32_sdwa v31, v3, v13 dst_sel:DWORD dst_unused:UNUSED_PAD src0_sel:WORD_0 src1_sel:DWORD
	v_cmpx_ne_u32_e32 0x7f, v31
	s_cbranch_execz .LBB281_768
; %bb.765:                              ;   in Loop: Header=BB281_15 Depth=1
	v_mov_b32_e32 v13, 7
	v_lshrrev_b32_e32 v23, 3, v31
	s_mov_b32 s23, exec_lo
	v_and_b32_sdwa v13, v3, v13 dst_sel:DWORD dst_unused:UNUSED_PAD src0_sel:WORD_0 src1_sel:DWORD
	v_cmpx_gt_u32_e32 8, v31
; %bb.766:                              ;   in Loop: Header=BB281_15 Depth=1
	v_ffbh_u32_e32 v13, v13
	v_min_u32_e32 v13, 32, v13
	v_subrev_nc_u32_e32 v19, 28, v13
	v_lshlrev_b64 v[22:23], v19, v[3:4]
	v_sub_nc_u32_e32 v23, 29, v13
	v_and_b32_e32 v13, 7, v22
; %bb.767:                              ;   in Loop: Header=BB281_15 Depth=1
	s_or_b32 exec_lo, exec_lo, s23
	v_mov_b32_e32 v19, 8
	v_lshlrev_b32_e32 v13, 23, v13
	v_lshlrev_b32_sdwa v3, v19, v3 dst_sel:DWORD dst_unused:UNUSED_PAD src0_sel:DWORD src1_sel:WORD_0
	v_lshl_add_u32 v19, v23, 10, 0x2000
	v_and_or_b32 v3, 0x8000, v3, v19
	v_lshl_or_b32 v66, v3, 16, v13
.LBB281_768:                            ;   in Loop: Header=BB281_15 Depth=1
	s_or_b32 exec_lo, exec_lo, s22
.LBB281_769:                            ;   in Loop: Header=BB281_15 Depth=1
	s_or_b32 exec_lo, exec_lo, s21
.LBB281_770:                            ;   in Loop: Header=BB281_15 Depth=1
	s_or_b32 exec_lo, exec_lo, s20
	v_lshrrev_b32_e32 v3, 16, v28
	v_cmp_ne_u16_sdwa s5, v3, v4 src0_sel:BYTE_0 src1_sel:DWORD
	s_and_saveexec_b32 s20, s5
	s_cbranch_execz .LBB281_778
; %bb.771:                              ;   in Loop: Header=BB281_15 Depth=1
	v_cmp_ne_u16_sdwa s5, v3, v54 src0_sel:BYTE_0 src1_sel:DWORD
	v_mov_b32_e32 v64, 0x8000
	s_and_saveexec_b32 s21, s5
	s_cbranch_execz .LBB281_777
; %bb.772:                              ;   in Loop: Header=BB281_15 Depth=1
	v_bfe_u32 v31, v28, 16, 7
	v_mov_b32_e32 v64, 0x7c01
	s_mov_b32 s22, exec_lo
	v_cmpx_ne_u32_e32 0x7f, v31
	s_cbranch_execz .LBB281_776
; %bb.773:                              ;   in Loop: Header=BB281_15 Depth=1
	v_and_b32_e32 v13, 7, v3
	v_lshrrev_b32_e32 v23, 3, v31
	s_mov_b32 s23, exec_lo
	v_cmpx_gt_u32_e32 8, v31
; %bb.774:                              ;   in Loop: Header=BB281_15 Depth=1
	v_ffbh_u32_e32 v13, v13
	v_min_u32_e32 v13, 32, v13
	v_subrev_nc_u32_e32 v19, 28, v13
	v_lshlrev_b64 v[22:23], v19, v[3:4]
	v_sub_nc_u32_e32 v23, 29, v13
	v_and_b32_e32 v13, 7, v22
; %bb.775:                              ;   in Loop: Header=BB281_15 Depth=1
	s_or_b32 exec_lo, exec_lo, s23
	v_lshlrev_b32_e32 v3, 8, v3
	v_lshl_add_u32 v19, v23, 10, 0x2000
	v_lshlrev_b32_e32 v13, 7, v13
	v_and_b32_e32 v3, 0x8000, v3
	v_and_b32_e32 v19, 0xfc00, v19
	v_or3_b32 v64, v3, v19, v13
.LBB281_776:                            ;   in Loop: Header=BB281_15 Depth=1
	s_or_b32 exec_lo, exec_lo, s22
.LBB281_777:                            ;   in Loop: Header=BB281_15 Depth=1
	s_or_b32 exec_lo, exec_lo, s21
.LBB281_778:                            ;   in Loop: Header=BB281_15 Depth=1
	s_or_b32 exec_lo, exec_lo, s20
	v_mov_b32_e32 v13, 0
	v_mov_b32_e32 v86, 0
	s_mov_b32 s20, exec_lo
	v_cmpx_lt_u64_e64 s[12:13], v[27:28]
	s_cbranch_execz .LBB281_786
; %bb.779:                              ;   in Loop: Header=BB281_15 Depth=1
	v_lshrrev_b32_e32 v3, 24, v28
	v_bfrev_b32_e32 v86, 1
	s_mov_b32 s21, exec_lo
	v_cmpx_ne_u32_e32 0x80, v3
	s_cbranch_execz .LBB281_785
; %bb.780:                              ;   in Loop: Header=BB281_15 Depth=1
	v_and_b32_e32 v28, 0x7f, v3
	v_mov_b32_e32 v86, 0x7c010000
	s_mov_b32 s22, exec_lo
	v_cmpx_ne_u32_e32 0x7f, v28
	s_cbranch_execz .LBB281_784
; %bb.781:                              ;   in Loop: Header=BB281_15 Depth=1
	v_and_b32_e32 v23, 7, v3
	v_lshrrev_b32_e32 v27, 3, v28
	s_mov_b32 s23, exec_lo
	v_cmpx_gt_u32_e32 8, v28
; %bb.782:                              ;   in Loop: Header=BB281_15 Depth=1
	v_ffbh_u32_e32 v19, v23
	v_min_u32_e32 v19, 32, v19
	v_subrev_nc_u32_e32 v22, 28, v19
	v_sub_nc_u32_e32 v27, 29, v19
	v_lshlrev_b64 v[22:23], v22, v[3:4]
	v_and_b32_e32 v23, 7, v22
; %bb.783:                              ;   in Loop: Header=BB281_15 Depth=1
	s_or_b32 exec_lo, exec_lo, s23
	v_lshlrev_b32_e32 v3, 8, v3
	v_lshl_add_u32 v19, v27, 10, 0x2000
	v_and_or_b32 v3, 0x8000, v3, v19
	v_lshlrev_b32_e32 v19, 23, v23
	v_lshl_or_b32 v86, v3, 16, v19
.LBB281_784:                            ;   in Loop: Header=BB281_15 Depth=1
	s_or_b32 exec_lo, exec_lo, s22
.LBB281_785:                            ;   in Loop: Header=BB281_15 Depth=1
	s_or_b32 exec_lo, exec_lo, s21
.LBB281_786:                            ;   in Loop: Header=BB281_15 Depth=1
	s_or_b32 exec_lo, exec_lo, s20
	flat_load_dwordx2 v[27:28], v[24:25] offset:1024
	s_waitcnt vmcnt(0) lgkmcnt(0)
	v_cmp_ne_u16_sdwa s5, v27, v4 src0_sel:BYTE_0 src1_sel:DWORD
	s_and_saveexec_b32 s20, s5
	s_cbranch_execz .LBB281_794
; %bb.787:                              ;   in Loop: Header=BB281_15 Depth=1
	v_cmp_ne_u16_sdwa s5, v27, v54 src0_sel:BYTE_0 src1_sel:DWORD
	v_mov_b32_e32 v13, 0x8000
	s_and_saveexec_b32 s21, s5
	s_cbranch_execz .LBB281_793
; %bb.788:                              ;   in Loop: Header=BB281_15 Depth=1
	v_and_b32_e32 v23, 0x7f, v27
	v_mov_b32_e32 v13, 0x7c01
	s_mov_b32 s22, exec_lo
	v_cmpx_ne_u32_e32 0x7f, v23
	s_cbranch_execz .LBB281_792
; %bb.789:                              ;   in Loop: Header=BB281_15 Depth=1
	v_and_b32_e32 v3, 7, v27
	v_lshrrev_b32_e32 v13, 3, v23
	s_mov_b32 s23, exec_lo
	v_cmpx_gt_u32_e32 8, v23
; %bb.790:                              ;   in Loop: Header=BB281_15 Depth=1
	v_ffbh_u32_e32 v3, v3
	v_min_u32_e32 v3, 32, v3
	v_subrev_nc_u32_e32 v13, 28, v3
	v_lshlrev_b64 v[22:23], v13, v[27:28]
	v_sub_nc_u32_e32 v13, 29, v3
	v_and_b32_e32 v3, 7, v22
; %bb.791:                              ;   in Loop: Header=BB281_15 Depth=1
	s_or_b32 exec_lo, exec_lo, s23
	v_lshlrev_b32_e32 v19, 8, v27
	v_lshl_add_u32 v13, v13, 10, 0x2000
	v_lshlrev_b32_e32 v3, 7, v3
	v_and_b32_e32 v19, 0x8000, v19
	v_and_b32_e32 v13, 0xfc00, v13
	v_or3_b32 v13, v19, v13, v3
.LBB281_792:                            ;   in Loop: Header=BB281_15 Depth=1
	s_or_b32 exec_lo, exec_lo, s22
.LBB281_793:                            ;   in Loop: Header=BB281_15 Depth=1
	s_or_b32 exec_lo, exec_lo, s21
.LBB281_794:                            ;   in Loop: Header=BB281_15 Depth=1
	s_or_b32 exec_lo, exec_lo, s20
	v_lshrrev_b16 v3, 8, v27
	v_mov_b32_e32 v99, 0
	v_mov_b32_e32 v31, 0
	s_mov_b32 s20, exec_lo
	v_cmpx_ne_u16_e32 0, v3
	s_cbranch_execz .LBB281_802
; %bb.795:                              ;   in Loop: Header=BB281_15 Depth=1
	v_bfrev_b32_e32 v31, 1
	s_mov_b32 s21, exec_lo
	v_cmpx_ne_u16_e32 0x80, v3
	s_cbranch_execz .LBB281_801
; %bb.796:                              ;   in Loop: Header=BB281_15 Depth=1
	v_mov_b32_e32 v19, 0x7f
	v_mov_b32_e32 v31, 0x7c010000
	s_mov_b32 s22, exec_lo
	v_and_b32_sdwa v33, v3, v19 dst_sel:DWORD dst_unused:UNUSED_PAD src0_sel:WORD_0 src1_sel:DWORD
	v_cmpx_ne_u32_e32 0x7f, v33
	s_cbranch_execz .LBB281_800
; %bb.797:                              ;   in Loop: Header=BB281_15 Depth=1
	v_mov_b32_e32 v19, 7
	v_lshrrev_b32_e32 v31, 3, v33
	s_mov_b32 s23, exec_lo
	v_and_b32_sdwa v23, v3, v19 dst_sel:DWORD dst_unused:UNUSED_PAD src0_sel:WORD_0 src1_sel:DWORD
	v_cmpx_gt_u32_e32 8, v33
; %bb.798:                              ;   in Loop: Header=BB281_15 Depth=1
	v_ffbh_u32_e32 v19, v23
	v_min_u32_e32 v19, 32, v19
	v_subrev_nc_u32_e32 v22, 28, v19
	v_sub_nc_u32_e32 v31, 29, v19
	v_lshlrev_b64 v[22:23], v22, v[3:4]
	v_and_b32_e32 v23, 7, v22
; %bb.799:                              ;   in Loop: Header=BB281_15 Depth=1
	s_or_b32 exec_lo, exec_lo, s23
	v_mov_b32_e32 v19, 8
	v_lshlrev_b32_sdwa v3, v19, v3 dst_sel:DWORD dst_unused:UNUSED_PAD src0_sel:DWORD src1_sel:WORD_0
	v_lshl_add_u32 v19, v31, 10, 0x2000
	v_and_or_b32 v3, 0x8000, v3, v19
	v_lshlrev_b32_e32 v19, 23, v23
	v_lshl_or_b32 v31, v3, 16, v19
.LBB281_800:                            ;   in Loop: Header=BB281_15 Depth=1
	s_or_b32 exec_lo, exec_lo, s22
.LBB281_801:                            ;   in Loop: Header=BB281_15 Depth=1
	s_or_b32 exec_lo, exec_lo, s21
.LBB281_802:                            ;   in Loop: Header=BB281_15 Depth=1
	s_or_b32 exec_lo, exec_lo, s20
	v_lshrrev_b32_e32 v3, 16, v27
	v_cmp_ne_u16_sdwa s5, v3, v4 src0_sel:BYTE_0 src1_sel:DWORD
	s_and_saveexec_b32 s20, s5
	s_cbranch_execz .LBB281_810
; %bb.803:                              ;   in Loop: Header=BB281_15 Depth=1
	v_cmp_ne_u16_sdwa s5, v3, v54 src0_sel:BYTE_0 src1_sel:DWORD
	v_mov_b32_e32 v99, 0x8000
	s_and_saveexec_b32 s21, s5
	s_cbranch_execz .LBB281_809
; %bb.804:                              ;   in Loop: Header=BB281_15 Depth=1
	v_bfe_u32 v70, v27, 16, 7
	v_mov_b32_e32 v99, 0x7c01
	s_mov_b32 s22, exec_lo
	v_cmpx_ne_u32_e32 0x7f, v70
	s_cbranch_execz .LBB281_808
; %bb.805:                              ;   in Loop: Header=BB281_15 Depth=1
	v_and_b32_e32 v23, 7, v3
	v_lshrrev_b32_e32 v33, 3, v70
	s_mov_b32 s23, exec_lo
	v_cmpx_gt_u32_e32 8, v70
; %bb.806:                              ;   in Loop: Header=BB281_15 Depth=1
	v_ffbh_u32_e32 v19, v23
	v_min_u32_e32 v19, 32, v19
	v_subrev_nc_u32_e32 v22, 28, v19
	v_sub_nc_u32_e32 v33, 29, v19
	v_lshlrev_b64 v[22:23], v22, v[3:4]
	v_and_b32_e32 v23, 7, v22
; %bb.807:                              ;   in Loop: Header=BB281_15 Depth=1
	s_or_b32 exec_lo, exec_lo, s23
	v_lshlrev_b32_e32 v3, 8, v3
	v_lshl_add_u32 v19, v33, 10, 0x2000
	v_lshlrev_b32_e32 v22, 7, v23
	v_and_b32_e32 v3, 0x8000, v3
	v_and_b32_e32 v19, 0xfc00, v19
	v_or3_b32 v99, v3, v19, v22
.LBB281_808:                            ;   in Loop: Header=BB281_15 Depth=1
	s_or_b32 exec_lo, exec_lo, s22
.LBB281_809:                            ;   in Loop: Header=BB281_15 Depth=1
	s_or_b32 exec_lo, exec_lo, s21
.LBB281_810:                            ;   in Loop: Header=BB281_15 Depth=1
	s_or_b32 exec_lo, exec_lo, s20
	v_mov_b32_e32 v102, 0
	v_mov_b32_e32 v107, 0
	s_mov_b32 s20, exec_lo
	v_cmpx_lt_u32_e32 0xffffff, v27
	s_cbranch_execz .LBB281_818
; %bb.811:                              ;   in Loop: Header=BB281_15 Depth=1
	v_lshrrev_b32_e32 v3, 24, v27
	v_bfrev_b32_e32 v107, 1
	s_mov_b32 s21, exec_lo
	v_cmpx_ne_u32_e32 0x80, v3
	s_cbranch_execz .LBB281_817
; %bb.812:                              ;   in Loop: Header=BB281_15 Depth=1
	v_and_b32_e32 v70, 0x7f, v3
	v_mov_b32_e32 v107, 0x7c010000
	s_mov_b32 s22, exec_lo
	v_cmpx_ne_u32_e32 0x7f, v70
	s_cbranch_execz .LBB281_816
; %bb.813:                              ;   in Loop: Header=BB281_15 Depth=1
	v_and_b32_e32 v23, 7, v3
	v_lshrrev_b32_e32 v33, 3, v70
	s_mov_b32 s23, exec_lo
	v_cmpx_gt_u32_e32 8, v70
; %bb.814:                              ;   in Loop: Header=BB281_15 Depth=1
	v_ffbh_u32_e32 v19, v23
	v_min_u32_e32 v19, 32, v19
	v_subrev_nc_u32_e32 v22, 28, v19
	v_sub_nc_u32_e32 v33, 29, v19
	v_lshlrev_b64 v[22:23], v22, v[3:4]
	v_and_b32_e32 v23, 7, v22
; %bb.815:                              ;   in Loop: Header=BB281_15 Depth=1
	s_or_b32 exec_lo, exec_lo, s23
	v_lshlrev_b32_e32 v3, 8, v3
	v_lshl_add_u32 v19, v33, 10, 0x2000
	v_and_or_b32 v3, 0x8000, v3, v19
	v_lshlrev_b32_e32 v19, 23, v23
	v_lshl_or_b32 v107, v3, 16, v19
.LBB281_816:                            ;   in Loop: Header=BB281_15 Depth=1
	s_or_b32 exec_lo, exec_lo, s22
.LBB281_817:                            ;   in Loop: Header=BB281_15 Depth=1
	s_or_b32 exec_lo, exec_lo, s21
.LBB281_818:                            ;   in Loop: Header=BB281_15 Depth=1
	s_or_b32 exec_lo, exec_lo, s20
	v_mov_b32_e32 v3, v28
	v_cmp_ne_u16_sdwa s5, v28, v4 src0_sel:BYTE_0 src1_sel:DWORD
	s_and_saveexec_b32 s20, s5
	s_cbranch_execz .LBB281_826
; %bb.819:                              ;   in Loop: Header=BB281_15 Depth=1
	v_cmp_ne_u16_sdwa s5, v28, v54 src0_sel:BYTE_0 src1_sel:DWORD
	v_mov_b32_e32 v102, 0x8000
	s_and_saveexec_b32 s21, s5
	s_cbranch_execz .LBB281_825
; %bb.820:                              ;   in Loop: Header=BB281_15 Depth=1
	v_and_b32_e32 v70, 0x7f, v28
	v_mov_b32_e32 v102, 0x7c01
	s_mov_b32 s22, exec_lo
	v_cmpx_ne_u32_e32 0x7f, v70
	s_cbranch_execz .LBB281_824
; %bb.821:                              ;   in Loop: Header=BB281_15 Depth=1
	v_and_b32_e32 v23, 7, v28
	v_lshrrev_b32_e32 v33, 3, v70
	s_mov_b32 s23, exec_lo
	v_cmpx_gt_u32_e32 8, v70
; %bb.822:                              ;   in Loop: Header=BB281_15 Depth=1
	v_ffbh_u32_e32 v19, v23
	v_min_u32_e32 v19, 32, v19
	v_subrev_nc_u32_e32 v22, 28, v19
	v_sub_nc_u32_e32 v33, 29, v19
	v_lshlrev_b64 v[22:23], v22, v[3:4]
	v_and_b32_e32 v23, 7, v22
; %bb.823:                              ;   in Loop: Header=BB281_15 Depth=1
	s_or_b32 exec_lo, exec_lo, s23
	v_lshlrev_b32_e32 v19, 8, v28
	v_lshl_add_u32 v22, v33, 10, 0x2000
	v_lshlrev_b32_e32 v23, 7, v23
	v_and_b32_e32 v19, 0x8000, v19
	v_and_b32_e32 v22, 0xfc00, v22
	v_or3_b32 v102, v19, v22, v23
.LBB281_824:                            ;   in Loop: Header=BB281_15 Depth=1
	s_or_b32 exec_lo, exec_lo, s22
.LBB281_825:                            ;   in Loop: Header=BB281_15 Depth=1
	s_or_b32 exec_lo, exec_lo, s21
.LBB281_826:                            ;   in Loop: Header=BB281_15 Depth=1
	s_or_b32 exec_lo, exec_lo, s20
	v_lshrrev_b16 v3, 8, v3
	v_mov_b32_e32 v82, 0
	v_mov_b32_e32 v108, 0
	s_mov_b32 s20, exec_lo
	v_cmpx_ne_u16_e32 0, v3
	s_cbranch_execz .LBB281_834
; %bb.827:                              ;   in Loop: Header=BB281_15 Depth=1
	v_bfrev_b32_e32 v108, 1
	s_mov_b32 s21, exec_lo
	v_cmpx_ne_u16_e32 0x80, v3
	s_cbranch_execz .LBB281_833
; %bb.828:                              ;   in Loop: Header=BB281_15 Depth=1
	v_mov_b32_e32 v19, 0x7f
	v_mov_b32_e32 v108, 0x7c010000
	s_mov_b32 s22, exec_lo
	v_and_b32_sdwa v70, v3, v19 dst_sel:DWORD dst_unused:UNUSED_PAD src0_sel:WORD_0 src1_sel:DWORD
	v_cmpx_ne_u32_e32 0x7f, v70
	s_cbranch_execz .LBB281_832
; %bb.829:                              ;   in Loop: Header=BB281_15 Depth=1
	v_mov_b32_e32 v19, 7
	v_lshrrev_b32_e32 v33, 3, v70
	s_mov_b32 s23, exec_lo
	v_and_b32_sdwa v23, v3, v19 dst_sel:DWORD dst_unused:UNUSED_PAD src0_sel:WORD_0 src1_sel:DWORD
	v_cmpx_gt_u32_e32 8, v70
; %bb.830:                              ;   in Loop: Header=BB281_15 Depth=1
	v_ffbh_u32_e32 v19, v23
	v_min_u32_e32 v19, 32, v19
	v_subrev_nc_u32_e32 v22, 28, v19
	v_sub_nc_u32_e32 v33, 29, v19
	v_lshlrev_b64 v[22:23], v22, v[3:4]
	v_and_b32_e32 v23, 7, v22
; %bb.831:                              ;   in Loop: Header=BB281_15 Depth=1
	s_or_b32 exec_lo, exec_lo, s23
	v_mov_b32_e32 v19, 8
	v_lshlrev_b32_sdwa v3, v19, v3 dst_sel:DWORD dst_unused:UNUSED_PAD src0_sel:DWORD src1_sel:WORD_0
	v_lshl_add_u32 v19, v33, 10, 0x2000
	v_and_or_b32 v3, 0x8000, v3, v19
	v_lshlrev_b32_e32 v19, 23, v23
	v_lshl_or_b32 v108, v3, 16, v19
.LBB281_832:                            ;   in Loop: Header=BB281_15 Depth=1
	s_or_b32 exec_lo, exec_lo, s22
.LBB281_833:                            ;   in Loop: Header=BB281_15 Depth=1
	s_or_b32 exec_lo, exec_lo, s21
.LBB281_834:                            ;   in Loop: Header=BB281_15 Depth=1
	s_or_b32 exec_lo, exec_lo, s20
	v_lshrrev_b32_e32 v3, 16, v28
	v_cmp_ne_u16_sdwa s5, v3, v4 src0_sel:BYTE_0 src1_sel:DWORD
	s_and_saveexec_b32 s20, s5
	s_cbranch_execz .LBB281_842
; %bb.835:                              ;   in Loop: Header=BB281_15 Depth=1
	v_cmp_ne_u16_sdwa s5, v3, v54 src0_sel:BYTE_0 src1_sel:DWORD
	v_mov_b32_e32 v82, 0x8000
	s_and_saveexec_b32 s21, s5
	s_cbranch_execz .LBB281_841
; %bb.836:                              ;   in Loop: Header=BB281_15 Depth=1
	v_bfe_u32 v70, v28, 16, 7
	v_mov_b32_e32 v82, 0x7c01
	s_mov_b32 s22, exec_lo
	v_cmpx_ne_u32_e32 0x7f, v70
	s_cbranch_execz .LBB281_840
; %bb.837:                              ;   in Loop: Header=BB281_15 Depth=1
	v_and_b32_e32 v23, 7, v3
	v_lshrrev_b32_e32 v33, 3, v70
	s_mov_b32 s23, exec_lo
	v_cmpx_gt_u32_e32 8, v70
; %bb.838:                              ;   in Loop: Header=BB281_15 Depth=1
	v_ffbh_u32_e32 v19, v23
	v_min_u32_e32 v19, 32, v19
	v_subrev_nc_u32_e32 v22, 28, v19
	v_sub_nc_u32_e32 v33, 29, v19
	v_lshlrev_b64 v[22:23], v22, v[3:4]
	v_and_b32_e32 v23, 7, v22
; %bb.839:                              ;   in Loop: Header=BB281_15 Depth=1
	s_or_b32 exec_lo, exec_lo, s23
	v_lshlrev_b32_e32 v3, 8, v3
	v_lshl_add_u32 v19, v33, 10, 0x2000
	v_lshlrev_b32_e32 v22, 7, v23
	v_and_b32_e32 v3, 0x8000, v3
	v_and_b32_e32 v19, 0xfc00, v19
	v_or3_b32 v82, v3, v19, v22
.LBB281_840:                            ;   in Loop: Header=BB281_15 Depth=1
	s_or_b32 exec_lo, exec_lo, s22
.LBB281_841:                            ;   in Loop: Header=BB281_15 Depth=1
	s_or_b32 exec_lo, exec_lo, s21
.LBB281_842:                            ;   in Loop: Header=BB281_15 Depth=1
	s_or_b32 exec_lo, exec_lo, s20
	v_mov_b32_e32 v79, 0
	v_mov_b32_e32 v127, 0
	s_mov_b32 s20, exec_lo
	v_cmpx_lt_u64_e64 s[12:13], v[27:28]
	s_cbranch_execz .LBB281_850
; %bb.843:                              ;   in Loop: Header=BB281_15 Depth=1
	v_lshrrev_b32_e32 v3, 24, v28
	v_bfrev_b32_e32 v127, 1
	s_mov_b32 s21, exec_lo
	v_cmpx_ne_u32_e32 0x80, v3
	s_cbranch_execz .LBB281_849
; %bb.844:                              ;   in Loop: Header=BB281_15 Depth=1
	v_and_b32_e32 v28, 0x7f, v3
	v_mov_b32_e32 v127, 0x7c010000
	s_mov_b32 s22, exec_lo
	v_cmpx_ne_u32_e32 0x7f, v28
	s_cbranch_execz .LBB281_848
; %bb.845:                              ;   in Loop: Header=BB281_15 Depth=1
	v_and_b32_e32 v23, 7, v3
	v_lshrrev_b32_e32 v27, 3, v28
	s_mov_b32 s23, exec_lo
	v_cmpx_gt_u32_e32 8, v28
; %bb.846:                              ;   in Loop: Header=BB281_15 Depth=1
	v_ffbh_u32_e32 v19, v23
	v_min_u32_e32 v19, 32, v19
	v_subrev_nc_u32_e32 v22, 28, v19
	v_sub_nc_u32_e32 v27, 29, v19
	v_lshlrev_b64 v[22:23], v22, v[3:4]
	v_and_b32_e32 v23, 7, v22
; %bb.847:                              ;   in Loop: Header=BB281_15 Depth=1
	s_or_b32 exec_lo, exec_lo, s23
	v_lshlrev_b32_e32 v3, 8, v3
	v_lshl_add_u32 v19, v27, 10, 0x2000
	v_and_or_b32 v3, 0x8000, v3, v19
	v_lshlrev_b32_e32 v19, 23, v23
	v_lshl_or_b32 v127, v3, 16, v19
.LBB281_848:                            ;   in Loop: Header=BB281_15 Depth=1
	s_or_b32 exec_lo, exec_lo, s22
.LBB281_849:                            ;   in Loop: Header=BB281_15 Depth=1
	s_or_b32 exec_lo, exec_lo, s21
.LBB281_850:                            ;   in Loop: Header=BB281_15 Depth=1
	s_or_b32 exec_lo, exec_lo, s20
	flat_load_dwordx2 v[27:28], v[24:25] offset:1032
	s_waitcnt vmcnt(0) lgkmcnt(0)
	v_cmp_ne_u16_sdwa s5, v27, v4 src0_sel:BYTE_0 src1_sel:DWORD
	s_and_saveexec_b32 s20, s5
	s_cbranch_execz .LBB281_858
; %bb.851:                              ;   in Loop: Header=BB281_15 Depth=1
	v_cmp_ne_u16_sdwa s5, v27, v54 src0_sel:BYTE_0 src1_sel:DWORD
	v_mov_b32_e32 v79, 0x8000
	s_and_saveexec_b32 s21, s5
	s_cbranch_execz .LBB281_857
; %bb.852:                              ;   in Loop: Header=BB281_15 Depth=1
	v_and_b32_e32 v33, 0x7f, v27
	v_mov_b32_e32 v79, 0x7c01
	s_mov_b32 s22, exec_lo
	v_cmpx_ne_u32_e32 0x7f, v33
	s_cbranch_execz .LBB281_856
; %bb.853:                              ;   in Loop: Header=BB281_15 Depth=1
	v_and_b32_e32 v3, 7, v27
	v_lshrrev_b32_e32 v23, 3, v33
	s_mov_b32 s23, exec_lo
	v_cmpx_gt_u32_e32 8, v33
; %bb.854:                              ;   in Loop: Header=BB281_15 Depth=1
	v_ffbh_u32_e32 v3, v3
	v_min_u32_e32 v3, 32, v3
	v_subrev_nc_u32_e32 v19, 28, v3
	v_lshlrev_b64 v[22:23], v19, v[27:28]
	v_sub_nc_u32_e32 v23, 29, v3
	v_and_b32_e32 v3, 7, v22
; %bb.855:                              ;   in Loop: Header=BB281_15 Depth=1
	s_or_b32 exec_lo, exec_lo, s23
	v_lshlrev_b32_e32 v19, 8, v27
	v_lshl_add_u32 v22, v23, 10, 0x2000
	v_lshlrev_b32_e32 v3, 7, v3
	v_and_b32_e32 v19, 0x8000, v19
	v_and_b32_e32 v22, 0xfc00, v22
	v_or3_b32 v79, v19, v22, v3
.LBB281_856:                            ;   in Loop: Header=BB281_15 Depth=1
	s_or_b32 exec_lo, exec_lo, s22
.LBB281_857:                            ;   in Loop: Header=BB281_15 Depth=1
	s_or_b32 exec_lo, exec_lo, s21
.LBB281_858:                            ;   in Loop: Header=BB281_15 Depth=1
	s_or_b32 exec_lo, exec_lo, s20
	v_lshrrev_b16 v3, 8, v27
	v_mov_b32_e32 v91, 0
	v_mov_b32_e32 v88, 0
	s_mov_b32 s20, exec_lo
	v_cmpx_ne_u16_e32 0, v3
	s_cbranch_execz .LBB281_866
; %bb.859:                              ;   in Loop: Header=BB281_15 Depth=1
	v_bfrev_b32_e32 v88, 1
	s_mov_b32 s21, exec_lo
	v_cmpx_ne_u16_e32 0x80, v3
	s_cbranch_execz .LBB281_865
; %bb.860:                              ;   in Loop: Header=BB281_15 Depth=1
	v_mov_b32_e32 v19, 0x7f
	v_mov_b32_e32 v88, 0x7c010000
	s_mov_b32 s22, exec_lo
	v_and_b32_sdwa v70, v3, v19 dst_sel:DWORD dst_unused:UNUSED_PAD src0_sel:WORD_0 src1_sel:DWORD
	v_cmpx_ne_u32_e32 0x7f, v70
	s_cbranch_execz .LBB281_864
; %bb.861:                              ;   in Loop: Header=BB281_15 Depth=1
	v_mov_b32_e32 v19, 7
	v_lshrrev_b32_e32 v33, 3, v70
	s_mov_b32 s23, exec_lo
	v_and_b32_sdwa v23, v3, v19 dst_sel:DWORD dst_unused:UNUSED_PAD src0_sel:WORD_0 src1_sel:DWORD
	v_cmpx_gt_u32_e32 8, v70
; %bb.862:                              ;   in Loop: Header=BB281_15 Depth=1
	v_ffbh_u32_e32 v19, v23
	v_min_u32_e32 v19, 32, v19
	v_subrev_nc_u32_e32 v22, 28, v19
	v_sub_nc_u32_e32 v33, 29, v19
	v_lshlrev_b64 v[22:23], v22, v[3:4]
	v_and_b32_e32 v23, 7, v22
; %bb.863:                              ;   in Loop: Header=BB281_15 Depth=1
	s_or_b32 exec_lo, exec_lo, s23
	v_mov_b32_e32 v19, 8
	v_lshlrev_b32_sdwa v3, v19, v3 dst_sel:DWORD dst_unused:UNUSED_PAD src0_sel:DWORD src1_sel:WORD_0
	v_lshl_add_u32 v19, v33, 10, 0x2000
	v_and_or_b32 v3, 0x8000, v3, v19
	v_lshlrev_b32_e32 v19, 23, v23
	v_lshl_or_b32 v88, v3, 16, v19
.LBB281_864:                            ;   in Loop: Header=BB281_15 Depth=1
	s_or_b32 exec_lo, exec_lo, s22
.LBB281_865:                            ;   in Loop: Header=BB281_15 Depth=1
	s_or_b32 exec_lo, exec_lo, s21
.LBB281_866:                            ;   in Loop: Header=BB281_15 Depth=1
	s_or_b32 exec_lo, exec_lo, s20
	v_lshrrev_b32_e32 v3, 16, v27
	v_cmp_ne_u16_sdwa s5, v3, v4 src0_sel:BYTE_0 src1_sel:DWORD
	s_and_saveexec_b32 s20, s5
	s_cbranch_execz .LBB281_874
; %bb.867:                              ;   in Loop: Header=BB281_15 Depth=1
	v_cmp_ne_u16_sdwa s5, v3, v54 src0_sel:BYTE_0 src1_sel:DWORD
	v_mov_b32_e32 v91, 0x8000
	s_and_saveexec_b32 s21, s5
	s_cbranch_execz .LBB281_873
; %bb.868:                              ;   in Loop: Header=BB281_15 Depth=1
	v_bfe_u32 v70, v27, 16, 7
	v_mov_b32_e32 v91, 0x7c01
	s_mov_b32 s22, exec_lo
	v_cmpx_ne_u32_e32 0x7f, v70
	s_cbranch_execz .LBB281_872
; %bb.869:                              ;   in Loop: Header=BB281_15 Depth=1
	v_and_b32_e32 v23, 7, v3
	v_lshrrev_b32_e32 v33, 3, v70
	s_mov_b32 s23, exec_lo
	v_cmpx_gt_u32_e32 8, v70
; %bb.870:                              ;   in Loop: Header=BB281_15 Depth=1
	v_ffbh_u32_e32 v19, v23
	v_min_u32_e32 v19, 32, v19
	v_subrev_nc_u32_e32 v22, 28, v19
	v_sub_nc_u32_e32 v33, 29, v19
	v_lshlrev_b64 v[22:23], v22, v[3:4]
	v_and_b32_e32 v23, 7, v22
; %bb.871:                              ;   in Loop: Header=BB281_15 Depth=1
	s_or_b32 exec_lo, exec_lo, s23
	v_lshlrev_b32_e32 v3, 8, v3
	v_lshl_add_u32 v19, v33, 10, 0x2000
	v_lshlrev_b32_e32 v22, 7, v23
	v_and_b32_e32 v3, 0x8000, v3
	v_and_b32_e32 v19, 0xfc00, v19
	v_or3_b32 v91, v3, v19, v22
.LBB281_872:                            ;   in Loop: Header=BB281_15 Depth=1
	s_or_b32 exec_lo, exec_lo, s22
.LBB281_873:                            ;   in Loop: Header=BB281_15 Depth=1
	s_or_b32 exec_lo, exec_lo, s21
.LBB281_874:                            ;   in Loop: Header=BB281_15 Depth=1
	s_or_b32 exec_lo, exec_lo, s20
	v_mov_b32_e32 v33, 0
	v_mov_b32_e32 v93, 0
	s_mov_b32 s20, exec_lo
	v_cmpx_lt_u32_e32 0xffffff, v27
	s_cbranch_execz .LBB281_882
; %bb.875:                              ;   in Loop: Header=BB281_15 Depth=1
	v_lshrrev_b32_e32 v3, 24, v27
	v_bfrev_b32_e32 v93, 1
	s_mov_b32 s21, exec_lo
	v_cmpx_ne_u32_e32 0x80, v3
	s_cbranch_execz .LBB281_881
; %bb.876:                              ;   in Loop: Header=BB281_15 Depth=1
	v_and_b32_e32 v80, 0x7f, v3
	v_mov_b32_e32 v93, 0x7c010000
	s_mov_b32 s22, exec_lo
	v_cmpx_ne_u32_e32 0x7f, v80
	s_cbranch_execz .LBB281_880
; %bb.877:                              ;   in Loop: Header=BB281_15 Depth=1
	v_and_b32_e32 v23, 7, v3
	v_lshrrev_b32_e32 v70, 3, v80
	s_mov_b32 s23, exec_lo
	v_cmpx_gt_u32_e32 8, v80
; %bb.878:                              ;   in Loop: Header=BB281_15 Depth=1
	v_ffbh_u32_e32 v19, v23
	v_min_u32_e32 v19, 32, v19
	v_subrev_nc_u32_e32 v22, 28, v19
	v_sub_nc_u32_e32 v70, 29, v19
	v_lshlrev_b64 v[22:23], v22, v[3:4]
	v_and_b32_e32 v23, 7, v22
; %bb.879:                              ;   in Loop: Header=BB281_15 Depth=1
	s_or_b32 exec_lo, exec_lo, s23
	v_lshlrev_b32_e32 v3, 8, v3
	v_lshl_add_u32 v19, v70, 10, 0x2000
	v_and_or_b32 v3, 0x8000, v3, v19
	v_lshlrev_b32_e32 v19, 23, v23
	v_lshl_or_b32 v93, v3, 16, v19
.LBB281_880:                            ;   in Loop: Header=BB281_15 Depth=1
	s_or_b32 exec_lo, exec_lo, s22
.LBB281_881:                            ;   in Loop: Header=BB281_15 Depth=1
	s_or_b32 exec_lo, exec_lo, s21
.LBB281_882:                            ;   in Loop: Header=BB281_15 Depth=1
	s_or_b32 exec_lo, exec_lo, s20
	v_mov_b32_e32 v3, v28
	v_cmp_ne_u16_sdwa s5, v28, v4 src0_sel:BYTE_0 src1_sel:DWORD
	s_and_saveexec_b32 s20, s5
	s_cbranch_execz .LBB281_890
; %bb.883:                              ;   in Loop: Header=BB281_15 Depth=1
	v_cmp_ne_u16_sdwa s5, v28, v54 src0_sel:BYTE_0 src1_sel:DWORD
	v_mov_b32_e32 v33, 0x8000
	s_and_saveexec_b32 s21, s5
	s_cbranch_execz .LBB281_889
; %bb.884:                              ;   in Loop: Header=BB281_15 Depth=1
	v_and_b32_e32 v70, 0x7f, v28
	v_mov_b32_e32 v33, 0x7c01
	s_mov_b32 s22, exec_lo
	v_cmpx_ne_u32_e32 0x7f, v70
	s_cbranch_execz .LBB281_888
; %bb.885:                              ;   in Loop: Header=BB281_15 Depth=1
	v_and_b32_e32 v23, 7, v28
	v_lshrrev_b32_e32 v33, 3, v70
	s_mov_b32 s23, exec_lo
	v_cmpx_gt_u32_e32 8, v70
; %bb.886:                              ;   in Loop: Header=BB281_15 Depth=1
	v_ffbh_u32_e32 v19, v23
	v_min_u32_e32 v19, 32, v19
	v_subrev_nc_u32_e32 v22, 28, v19
	v_sub_nc_u32_e32 v33, 29, v19
	v_lshlrev_b64 v[22:23], v22, v[3:4]
	v_and_b32_e32 v23, 7, v22
; %bb.887:                              ;   in Loop: Header=BB281_15 Depth=1
	s_or_b32 exec_lo, exec_lo, s23
	v_lshlrev_b32_e32 v19, 8, v28
	v_lshl_add_u32 v22, v33, 10, 0x2000
	v_lshlrev_b32_e32 v23, 7, v23
	v_and_b32_e32 v19, 0x8000, v19
	v_and_b32_e32 v22, 0xfc00, v22
	v_or3_b32 v33, v19, v22, v23
.LBB281_888:                            ;   in Loop: Header=BB281_15 Depth=1
	s_or_b32 exec_lo, exec_lo, s22
.LBB281_889:                            ;   in Loop: Header=BB281_15 Depth=1
	s_or_b32 exec_lo, exec_lo, s21
.LBB281_890:                            ;   in Loop: Header=BB281_15 Depth=1
	s_or_b32 exec_lo, exec_lo, s20
	v_lshrrev_b16 v3, 8, v3
	v_mov_b32_e32 v115, 0
	v_mov_b32_e32 v94, 0
	s_mov_b32 s20, exec_lo
	v_cmpx_ne_u16_e32 0, v3
	s_cbranch_execz .LBB281_898
; %bb.891:                              ;   in Loop: Header=BB281_15 Depth=1
	v_bfrev_b32_e32 v94, 1
	s_mov_b32 s21, exec_lo
	v_cmpx_ne_u16_e32 0x80, v3
	s_cbranch_execz .LBB281_897
; %bb.892:                              ;   in Loop: Header=BB281_15 Depth=1
	v_mov_b32_e32 v19, 0x7f
	v_mov_b32_e32 v94, 0x7c010000
	s_mov_b32 s22, exec_lo
	v_and_b32_sdwa v80, v3, v19 dst_sel:DWORD dst_unused:UNUSED_PAD src0_sel:WORD_0 src1_sel:DWORD
	v_cmpx_ne_u32_e32 0x7f, v80
	s_cbranch_execz .LBB281_896
; %bb.893:                              ;   in Loop: Header=BB281_15 Depth=1
	v_mov_b32_e32 v19, 7
	v_lshrrev_b32_e32 v70, 3, v80
	s_mov_b32 s23, exec_lo
	v_and_b32_sdwa v23, v3, v19 dst_sel:DWORD dst_unused:UNUSED_PAD src0_sel:WORD_0 src1_sel:DWORD
	v_cmpx_gt_u32_e32 8, v80
; %bb.894:                              ;   in Loop: Header=BB281_15 Depth=1
	v_ffbh_u32_e32 v19, v23
	v_min_u32_e32 v19, 32, v19
	v_subrev_nc_u32_e32 v22, 28, v19
	v_sub_nc_u32_e32 v70, 29, v19
	v_lshlrev_b64 v[22:23], v22, v[3:4]
	v_and_b32_e32 v23, 7, v22
; %bb.895:                              ;   in Loop: Header=BB281_15 Depth=1
	s_or_b32 exec_lo, exec_lo, s23
	v_mov_b32_e32 v19, 8
	v_lshlrev_b32_sdwa v3, v19, v3 dst_sel:DWORD dst_unused:UNUSED_PAD src0_sel:DWORD src1_sel:WORD_0
	v_lshl_add_u32 v19, v70, 10, 0x2000
	v_and_or_b32 v3, 0x8000, v3, v19
	v_lshlrev_b32_e32 v19, 23, v23
	v_lshl_or_b32 v94, v3, 16, v19
.LBB281_896:                            ;   in Loop: Header=BB281_15 Depth=1
	s_or_b32 exec_lo, exec_lo, s22
.LBB281_897:                            ;   in Loop: Header=BB281_15 Depth=1
	s_or_b32 exec_lo, exec_lo, s21
.LBB281_898:                            ;   in Loop: Header=BB281_15 Depth=1
	s_or_b32 exec_lo, exec_lo, s20
	v_lshrrev_b32_e32 v3, 16, v28
	v_cmp_ne_u16_sdwa s5, v3, v4 src0_sel:BYTE_0 src1_sel:DWORD
	s_and_saveexec_b32 s20, s5
	s_cbranch_execz .LBB281_906
; %bb.899:                              ;   in Loop: Header=BB281_15 Depth=1
	v_cmp_ne_u16_sdwa s5, v3, v54 src0_sel:BYTE_0 src1_sel:DWORD
	v_mov_b32_e32 v115, 0x8000
	s_and_saveexec_b32 s21, s5
	s_cbranch_execz .LBB281_905
; %bb.900:                              ;   in Loop: Header=BB281_15 Depth=1
	v_bfe_u32 v80, v28, 16, 7
	v_mov_b32_e32 v115, 0x7c01
	s_mov_b32 s22, exec_lo
	v_cmpx_ne_u32_e32 0x7f, v80
	s_cbranch_execz .LBB281_904
; %bb.901:                              ;   in Loop: Header=BB281_15 Depth=1
	v_and_b32_e32 v23, 7, v3
	v_lshrrev_b32_e32 v70, 3, v80
	s_mov_b32 s23, exec_lo
	v_cmpx_gt_u32_e32 8, v80
; %bb.902:                              ;   in Loop: Header=BB281_15 Depth=1
	v_ffbh_u32_e32 v19, v23
	v_min_u32_e32 v19, 32, v19
	v_subrev_nc_u32_e32 v22, 28, v19
	v_sub_nc_u32_e32 v70, 29, v19
	v_lshlrev_b64 v[22:23], v22, v[3:4]
	v_and_b32_e32 v23, 7, v22
; %bb.903:                              ;   in Loop: Header=BB281_15 Depth=1
	s_or_b32 exec_lo, exec_lo, s23
	v_lshlrev_b32_e32 v3, 8, v3
	v_lshl_add_u32 v19, v70, 10, 0x2000
	v_lshlrev_b32_e32 v22, 7, v23
	v_and_b32_e32 v3, 0x8000, v3
	v_and_b32_e32 v19, 0xfc00, v19
	v_or3_b32 v115, v3, v19, v22
.LBB281_904:                            ;   in Loop: Header=BB281_15 Depth=1
	s_or_b32 exec_lo, exec_lo, s22
.LBB281_905:                            ;   in Loop: Header=BB281_15 Depth=1
	s_or_b32 exec_lo, exec_lo, s21
.LBB281_906:                            ;   in Loop: Header=BB281_15 Depth=1
	s_or_b32 exec_lo, exec_lo, s20
	v_cmp_lt_u64_e64 s5, s[12:13], v[27:28]
	v_mov_b32_e32 v111, 0
	v_mov_b32_e32 v27, 0
	s_and_saveexec_b32 s20, s5
	s_cbranch_execz .LBB281_914
; %bb.907:                              ;   in Loop: Header=BB281_15 Depth=1
	v_lshrrev_b32_e32 v3, 24, v28
	v_bfrev_b32_e32 v27, 1
	s_mov_b32 s21, exec_lo
	v_cmpx_ne_u32_e32 0x80, v3
	s_cbranch_execz .LBB281_913
; %bb.908:                              ;   in Loop: Header=BB281_15 Depth=1
	v_and_b32_e32 v28, 0x7f, v3
	v_mov_b32_e32 v27, 0x7c010000
	s_mov_b32 s22, exec_lo
	v_cmpx_ne_u32_e32 0x7f, v28
	s_cbranch_execz .LBB281_912
; %bb.909:                              ;   in Loop: Header=BB281_15 Depth=1
	v_and_b32_e32 v23, 7, v3
	v_lshrrev_b32_e32 v27, 3, v28
	s_mov_b32 s23, exec_lo
	v_cmpx_gt_u32_e32 8, v28
; %bb.910:                              ;   in Loop: Header=BB281_15 Depth=1
	v_ffbh_u32_e32 v19, v23
	v_min_u32_e32 v19, 32, v19
	v_subrev_nc_u32_e32 v22, 28, v19
	v_sub_nc_u32_e32 v27, 29, v19
	v_lshlrev_b64 v[22:23], v22, v[3:4]
	v_and_b32_e32 v23, 7, v22
; %bb.911:                              ;   in Loop: Header=BB281_15 Depth=1
	s_or_b32 exec_lo, exec_lo, s23
	v_lshlrev_b32_e32 v3, 8, v3
	v_lshl_add_u32 v19, v27, 10, 0x2000
	v_and_or_b32 v3, 0x8000, v3, v19
	v_lshlrev_b32_e32 v19, 23, v23
	v_lshl_or_b32 v27, v3, 16, v19
.LBB281_912:                            ;   in Loop: Header=BB281_15 Depth=1
	s_or_b32 exec_lo, exec_lo, s22
.LBB281_913:                            ;   in Loop: Header=BB281_15 Depth=1
	s_or_b32 exec_lo, exec_lo, s21
.LBB281_914:                            ;   in Loop: Header=BB281_15 Depth=1
	s_or_b32 exec_lo, exec_lo, s20
	flat_load_dwordx2 v[24:25], v[24:25] offset:1536
	s_waitcnt vmcnt(0) lgkmcnt(0)
	v_cmp_ne_u16_sdwa s5, v24, v4 src0_sel:BYTE_0 src1_sel:DWORD
	s_and_saveexec_b32 s20, s5
	s_cbranch_execz .LBB281_922
; %bb.915:                              ;   in Loop: Header=BB281_15 Depth=1
	v_cmp_ne_u16_sdwa s5, v24, v54 src0_sel:BYTE_0 src1_sel:DWORD
	v_mov_b32_e32 v111, 0x8000
	s_and_saveexec_b32 s21, s5
	s_cbranch_execz .LBB281_921
; %bb.916:                              ;   in Loop: Header=BB281_15 Depth=1
	v_and_b32_e32 v28, 0x7f, v24
	v_mov_b32_e32 v111, 0x7c01
	s_mov_b32 s22, exec_lo
	v_cmpx_ne_u32_e32 0x7f, v28
	s_cbranch_execz .LBB281_920
; %bb.917:                              ;   in Loop: Header=BB281_15 Depth=1
	v_and_b32_e32 v3, 7, v24
	v_lshrrev_b32_e32 v23, 3, v28
	s_mov_b32 s23, exec_lo
	v_cmpx_gt_u32_e32 8, v28
; %bb.918:                              ;   in Loop: Header=BB281_15 Depth=1
	v_ffbh_u32_e32 v3, v3
	v_min_u32_e32 v3, 32, v3
	v_subrev_nc_u32_e32 v19, 28, v3
	v_lshlrev_b64 v[22:23], v19, v[24:25]
	v_sub_nc_u32_e32 v23, 29, v3
	v_and_b32_e32 v3, 7, v22
; %bb.919:                              ;   in Loop: Header=BB281_15 Depth=1
	s_or_b32 exec_lo, exec_lo, s23
	v_lshlrev_b32_e32 v19, 8, v24
	v_lshl_add_u32 v22, v23, 10, 0x2000
	v_lshlrev_b32_e32 v3, 7, v3
	v_and_b32_e32 v19, 0x8000, v19
	v_and_b32_e32 v22, 0xfc00, v22
	v_or3_b32 v111, v19, v22, v3
.LBB281_920:                            ;   in Loop: Header=BB281_15 Depth=1
	s_or_b32 exec_lo, exec_lo, s22
.LBB281_921:                            ;   in Loop: Header=BB281_15 Depth=1
	s_or_b32 exec_lo, exec_lo, s21
.LBB281_922:                            ;   in Loop: Header=BB281_15 Depth=1
	s_or_b32 exec_lo, exec_lo, s20
	v_lshrrev_b16 v3, 8, v24
	v_mov_b32_e32 v122, 0
	v_mov_b32_e32 v121, 0
	s_mov_b32 s20, exec_lo
	v_cmpx_ne_u16_e32 0, v3
	s_cbranch_execz .LBB281_930
; %bb.923:                              ;   in Loop: Header=BB281_15 Depth=1
	v_bfrev_b32_e32 v121, 1
	s_mov_b32 s21, exec_lo
	v_cmpx_ne_u16_e32 0x80, v3
	s_cbranch_execz .LBB281_929
; %bb.924:                              ;   in Loop: Header=BB281_15 Depth=1
	v_mov_b32_e32 v19, 0x7f
	v_mov_b32_e32 v121, 0x7c010000
	s_mov_b32 s22, exec_lo
	v_and_b32_sdwa v70, v3, v19 dst_sel:DWORD dst_unused:UNUSED_PAD src0_sel:WORD_0 src1_sel:DWORD
	v_cmpx_ne_u32_e32 0x7f, v70
	s_cbranch_execz .LBB281_928
; %bb.925:                              ;   in Loop: Header=BB281_15 Depth=1
	v_mov_b32_e32 v19, 7
	v_lshrrev_b32_e32 v28, 3, v70
	s_mov_b32 s23, exec_lo
	v_and_b32_sdwa v23, v3, v19 dst_sel:DWORD dst_unused:UNUSED_PAD src0_sel:WORD_0 src1_sel:DWORD
	v_cmpx_gt_u32_e32 8, v70
; %bb.926:                              ;   in Loop: Header=BB281_15 Depth=1
	v_ffbh_u32_e32 v19, v23
	v_min_u32_e32 v19, 32, v19
	v_subrev_nc_u32_e32 v22, 28, v19
	v_sub_nc_u32_e32 v28, 29, v19
	v_lshlrev_b64 v[22:23], v22, v[3:4]
	v_and_b32_e32 v23, 7, v22
; %bb.927:                              ;   in Loop: Header=BB281_15 Depth=1
	s_or_b32 exec_lo, exec_lo, s23
	v_mov_b32_e32 v19, 8
	v_lshlrev_b32_sdwa v3, v19, v3 dst_sel:DWORD dst_unused:UNUSED_PAD src0_sel:DWORD src1_sel:WORD_0
	v_lshl_add_u32 v19, v28, 10, 0x2000
	v_and_or_b32 v3, 0x8000, v3, v19
	v_lshlrev_b32_e32 v19, 23, v23
	v_lshl_or_b32 v121, v3, 16, v19
.LBB281_928:                            ;   in Loop: Header=BB281_15 Depth=1
	s_or_b32 exec_lo, exec_lo, s22
.LBB281_929:                            ;   in Loop: Header=BB281_15 Depth=1
	s_or_b32 exec_lo, exec_lo, s21
.LBB281_930:                            ;   in Loop: Header=BB281_15 Depth=1
	s_or_b32 exec_lo, exec_lo, s20
	v_lshrrev_b32_e32 v3, 16, v24
	v_cmp_ne_u16_sdwa s5, v3, v4 src0_sel:BYTE_0 src1_sel:DWORD
	s_and_saveexec_b32 s20, s5
	s_cbranch_execz .LBB281_938
; %bb.931:                              ;   in Loop: Header=BB281_15 Depth=1
	v_cmp_ne_u16_sdwa s5, v3, v54 src0_sel:BYTE_0 src1_sel:DWORD
	v_mov_b32_e32 v122, 0x8000
	s_and_saveexec_b32 s21, s5
	s_cbranch_execz .LBB281_937
; %bb.932:                              ;   in Loop: Header=BB281_15 Depth=1
	v_bfe_u32 v70, v24, 16, 7
	v_mov_b32_e32 v122, 0x7c01
	s_mov_b32 s22, exec_lo
	v_cmpx_ne_u32_e32 0x7f, v70
	s_cbranch_execz .LBB281_936
; %bb.933:                              ;   in Loop: Header=BB281_15 Depth=1
	v_and_b32_e32 v23, 7, v3
	v_lshrrev_b32_e32 v28, 3, v70
	s_mov_b32 s23, exec_lo
	v_cmpx_gt_u32_e32 8, v70
; %bb.934:                              ;   in Loop: Header=BB281_15 Depth=1
	v_ffbh_u32_e32 v19, v23
	v_min_u32_e32 v19, 32, v19
	v_subrev_nc_u32_e32 v22, 28, v19
	v_sub_nc_u32_e32 v28, 29, v19
	v_lshlrev_b64 v[22:23], v22, v[3:4]
	v_and_b32_e32 v23, 7, v22
; %bb.935:                              ;   in Loop: Header=BB281_15 Depth=1
	s_or_b32 exec_lo, exec_lo, s23
	v_lshlrev_b32_e32 v3, 8, v3
	v_lshl_add_u32 v19, v28, 10, 0x2000
	v_lshlrev_b32_e32 v22, 7, v23
	v_and_b32_e32 v3, 0x8000, v3
	v_and_b32_e32 v19, 0xfc00, v19
	v_or3_b32 v122, v3, v19, v22
.LBB281_936:                            ;   in Loop: Header=BB281_15 Depth=1
	s_or_b32 exec_lo, exec_lo, s22
.LBB281_937:                            ;   in Loop: Header=BB281_15 Depth=1
	s_or_b32 exec_lo, exec_lo, s21
.LBB281_938:                            ;   in Loop: Header=BB281_15 Depth=1
	s_or_b32 exec_lo, exec_lo, s20
	v_mov_b32_e32 v125, 0
	v_mov_b32_e32 v126, 0
	s_mov_b32 s20, exec_lo
	v_cmpx_lt_u32_e32 0xffffff, v24
	s_cbranch_execz .LBB281_946
; %bb.939:                              ;   in Loop: Header=BB281_15 Depth=1
	v_lshrrev_b32_e32 v3, 24, v24
	v_bfrev_b32_e32 v126, 1
	s_mov_b32 s21, exec_lo
	v_cmpx_ne_u32_e32 0x80, v3
	s_cbranch_execz .LBB281_945
; %bb.940:                              ;   in Loop: Header=BB281_15 Depth=1
	v_and_b32_e32 v70, 0x7f, v3
	v_mov_b32_e32 v126, 0x7c010000
	s_mov_b32 s22, exec_lo
	v_cmpx_ne_u32_e32 0x7f, v70
	s_cbranch_execz .LBB281_944
; %bb.941:                              ;   in Loop: Header=BB281_15 Depth=1
	v_and_b32_e32 v23, 7, v3
	v_lshrrev_b32_e32 v28, 3, v70
	s_mov_b32 s23, exec_lo
	v_cmpx_gt_u32_e32 8, v70
; %bb.942:                              ;   in Loop: Header=BB281_15 Depth=1
	v_ffbh_u32_e32 v19, v23
	v_min_u32_e32 v19, 32, v19
	v_subrev_nc_u32_e32 v22, 28, v19
	v_sub_nc_u32_e32 v28, 29, v19
	v_lshlrev_b64 v[22:23], v22, v[3:4]
	v_and_b32_e32 v23, 7, v22
; %bb.943:                              ;   in Loop: Header=BB281_15 Depth=1
	s_or_b32 exec_lo, exec_lo, s23
	v_lshlrev_b32_e32 v3, 8, v3
	v_lshl_add_u32 v19, v28, 10, 0x2000
	v_and_or_b32 v3, 0x8000, v3, v19
	v_lshlrev_b32_e32 v19, 23, v23
	v_lshl_or_b32 v126, v3, 16, v19
.LBB281_944:                            ;   in Loop: Header=BB281_15 Depth=1
	s_or_b32 exec_lo, exec_lo, s22
.LBB281_945:                            ;   in Loop: Header=BB281_15 Depth=1
	s_or_b32 exec_lo, exec_lo, s21
.LBB281_946:                            ;   in Loop: Header=BB281_15 Depth=1
	s_or_b32 exec_lo, exec_lo, s20
	v_mov_b32_e32 v3, v25
	v_cmp_ne_u16_sdwa s5, v25, v4 src0_sel:BYTE_0 src1_sel:DWORD
	s_and_saveexec_b32 s20, s5
	s_cbranch_execz .LBB281_954
; %bb.947:                              ;   in Loop: Header=BB281_15 Depth=1
	v_cmp_ne_u16_sdwa s5, v25, v54 src0_sel:BYTE_0 src1_sel:DWORD
	v_mov_b32_e32 v125, 0x8000
	s_and_saveexec_b32 s21, s5
	s_cbranch_execz .LBB281_953
; %bb.948:                              ;   in Loop: Header=BB281_15 Depth=1
	v_and_b32_e32 v70, 0x7f, v25
	v_mov_b32_e32 v125, 0x7c01
	s_mov_b32 s22, exec_lo
	v_cmpx_ne_u32_e32 0x7f, v70
	s_cbranch_execz .LBB281_952
; %bb.949:                              ;   in Loop: Header=BB281_15 Depth=1
	v_and_b32_e32 v23, 7, v25
	v_lshrrev_b32_e32 v28, 3, v70
	s_mov_b32 s23, exec_lo
	v_cmpx_gt_u32_e32 8, v70
; %bb.950:                              ;   in Loop: Header=BB281_15 Depth=1
	v_ffbh_u32_e32 v19, v23
	v_min_u32_e32 v19, 32, v19
	v_subrev_nc_u32_e32 v22, 28, v19
	v_sub_nc_u32_e32 v28, 29, v19
	v_lshlrev_b64 v[22:23], v22, v[3:4]
	v_and_b32_e32 v23, 7, v22
; %bb.951:                              ;   in Loop: Header=BB281_15 Depth=1
	s_or_b32 exec_lo, exec_lo, s23
	v_lshlrev_b32_e32 v19, 8, v25
	v_lshl_add_u32 v22, v28, 10, 0x2000
	v_lshlrev_b32_e32 v23, 7, v23
	v_and_b32_e32 v19, 0x8000, v19
	v_and_b32_e32 v22, 0xfc00, v22
	v_or3_b32 v125, v19, v22, v23
.LBB281_952:                            ;   in Loop: Header=BB281_15 Depth=1
	s_or_b32 exec_lo, exec_lo, s22
.LBB281_953:                            ;   in Loop: Header=BB281_15 Depth=1
	s_or_b32 exec_lo, exec_lo, s21
.LBB281_954:                            ;   in Loop: Header=BB281_15 Depth=1
	s_or_b32 exec_lo, exec_lo, s20
	v_lshrrev_b16 v3, 8, v3
	v_mov_b32_e32 v70, 0
	v_mov_b32_e32 v80, 0
	s_mov_b32 s20, exec_lo
	v_cmpx_ne_u16_e32 0, v3
	s_cbranch_execz .LBB281_962
; %bb.955:                              ;   in Loop: Header=BB281_15 Depth=1
	v_bfrev_b32_e32 v80, 1
	s_mov_b32 s21, exec_lo
	v_cmpx_ne_u16_e32 0x80, v3
	s_cbranch_execz .LBB281_961
; %bb.956:                              ;   in Loop: Header=BB281_15 Depth=1
	v_mov_b32_e32 v19, 0x7f
	v_mov_b32_e32 v80, 0x7c010000
	s_mov_b32 s22, exec_lo
	v_and_b32_sdwa v124, v3, v19 dst_sel:DWORD dst_unused:UNUSED_PAD src0_sel:WORD_0 src1_sel:DWORD
	v_cmpx_ne_u32_e32 0x7f, v124
	s_cbranch_execz .LBB281_960
; %bb.957:                              ;   in Loop: Header=BB281_15 Depth=1
	v_mov_b32_e32 v19, 7
	v_lshrrev_b32_e32 v28, 3, v124
	s_mov_b32 s23, exec_lo
	v_and_b32_sdwa v23, v3, v19 dst_sel:DWORD dst_unused:UNUSED_PAD src0_sel:WORD_0 src1_sel:DWORD
	v_cmpx_gt_u32_e32 8, v124
; %bb.958:                              ;   in Loop: Header=BB281_15 Depth=1
	v_ffbh_u32_e32 v19, v23
	v_min_u32_e32 v19, 32, v19
	v_subrev_nc_u32_e32 v22, 28, v19
	v_sub_nc_u32_e32 v28, 29, v19
	v_lshlrev_b64 v[22:23], v22, v[3:4]
	v_and_b32_e32 v23, 7, v22
; %bb.959:                              ;   in Loop: Header=BB281_15 Depth=1
	s_or_b32 exec_lo, exec_lo, s23
	v_mov_b32_e32 v19, 8
	v_lshlrev_b32_sdwa v3, v19, v3 dst_sel:DWORD dst_unused:UNUSED_PAD src0_sel:DWORD src1_sel:WORD_0
	v_lshl_add_u32 v19, v28, 10, 0x2000
	v_and_or_b32 v3, 0x8000, v3, v19
	v_lshlrev_b32_e32 v19, 23, v23
	v_lshl_or_b32 v80, v3, 16, v19
.LBB281_960:                            ;   in Loop: Header=BB281_15 Depth=1
	s_or_b32 exec_lo, exec_lo, s22
.LBB281_961:                            ;   in Loop: Header=BB281_15 Depth=1
	s_or_b32 exec_lo, exec_lo, s21
.LBB281_962:                            ;   in Loop: Header=BB281_15 Depth=1
	s_or_b32 exec_lo, exec_lo, s20
	v_lshrrev_b32_e32 v3, 16, v25
	v_cmp_ne_u16_sdwa s5, v3, v4 src0_sel:BYTE_0 src1_sel:DWORD
	s_and_saveexec_b32 s20, s5
	s_cbranch_execz .LBB281_970
; %bb.963:                              ;   in Loop: Header=BB281_15 Depth=1
	v_cmp_ne_u16_sdwa s5, v3, v54 src0_sel:BYTE_0 src1_sel:DWORD
	v_mov_b32_e32 v70, 0x8000
	s_and_saveexec_b32 s21, s5
	s_cbranch_execz .LBB281_969
; %bb.964:                              ;   in Loop: Header=BB281_15 Depth=1
	v_bfe_u32 v124, v25, 16, 7
	v_mov_b32_e32 v70, 0x7c01
	s_mov_b32 s22, exec_lo
	v_cmpx_ne_u32_e32 0x7f, v124
	s_cbranch_execz .LBB281_968
; %bb.965:                              ;   in Loop: Header=BB281_15 Depth=1
	v_and_b32_e32 v23, 7, v3
	v_lshrrev_b32_e32 v28, 3, v124
	s_mov_b32 s23, exec_lo
	v_cmpx_gt_u32_e32 8, v124
; %bb.966:                              ;   in Loop: Header=BB281_15 Depth=1
	v_ffbh_u32_e32 v19, v23
	v_min_u32_e32 v19, 32, v19
	v_subrev_nc_u32_e32 v22, 28, v19
	v_sub_nc_u32_e32 v28, 29, v19
	v_lshlrev_b64 v[22:23], v22, v[3:4]
	v_and_b32_e32 v23, 7, v22
; %bb.967:                              ;   in Loop: Header=BB281_15 Depth=1
	s_or_b32 exec_lo, exec_lo, s23
	v_lshlrev_b32_e32 v3, 8, v3
	v_lshl_add_u32 v19, v28, 10, 0x2000
	v_lshlrev_b32_e32 v22, 7, v23
	v_and_b32_e32 v3, 0x8000, v3
	v_and_b32_e32 v19, 0xfc00, v19
	v_or3_b32 v70, v3, v19, v22
.LBB281_968:                            ;   in Loop: Header=BB281_15 Depth=1
	s_or_b32 exec_lo, exec_lo, s22
.LBB281_969:                            ;   in Loop: Header=BB281_15 Depth=1
	s_or_b32 exec_lo, exec_lo, s21
.LBB281_970:                            ;   in Loop: Header=BB281_15 Depth=1
	s_or_b32 exec_lo, exec_lo, s20
	v_mov_b32_e32 v23, 0
	s_mov_b32 s20, exec_lo
	v_cmpx_lt_u64_e64 s[12:13], v[24:25]
	s_cbranch_execz .LBB281_13
; %bb.971:                              ;   in Loop: Header=BB281_15 Depth=1
	v_lshrrev_b32_e32 v3, 24, v25
	v_bfrev_b32_e32 v23, 1
	s_mov_b32 s21, exec_lo
	v_cmpx_ne_u32_e32 0x80, v3
	s_cbranch_execz .LBB281_12
; %bb.972:                              ;   in Loop: Header=BB281_15 Depth=1
	v_and_b32_e32 v25, 0x7f, v3
	v_mov_b32_e32 v23, 0x7c010000
	s_mov_b32 s22, exec_lo
	v_cmpx_ne_u32_e32 0x7f, v25
	s_cbranch_execz .LBB281_11
; %bb.973:                              ;   in Loop: Header=BB281_15 Depth=1
	v_and_b32_e32 v23, 7, v3
	v_lshrrev_b32_e32 v24, 3, v25
	s_mov_b32 s23, exec_lo
	v_cmpx_gt_u32_e32 8, v25
	s_cbranch_execz .LBB281_10
; %bb.974:                              ;   in Loop: Header=BB281_15 Depth=1
	v_ffbh_u32_e32 v19, v23
	v_min_u32_e32 v19, 32, v19
	v_subrev_nc_u32_e32 v22, 28, v19
	v_sub_nc_u32_e32 v24, 29, v19
	v_lshlrev_b64 v[22:23], v22, v[3:4]
	v_and_b32_e32 v23, 7, v22
	s_branch .LBB281_10
.LBB281_975:
	s_or_b32 exec_lo, exec_lo, s19
	s_clause 0x8
	buffer_load_dword v37, off, s[0:3], s32 offset:392
	buffer_load_dword v68, off, s[0:3], s32 offset:396
	;; [unrolled: 1-line block ×9, first 2 shown]
.LBB281_976:
	s_or_b32 exec_lo, exec_lo, s17
	v_mbcnt_lo_u32_b32 v0, -1, 0
	v_max_f32_e32 v4, v14, v14
	s_waitcnt lgkmcnt(0)
	s_lshr_b32 s12, s7, 16
	v_xor_b32_e32 v1, 16, v0
	v_xor_b32_e32 v3, 8, v0
	v_cmp_gt_i32_e32 vcc_lo, 32, v1
	v_cndmask_b32_e32 v1, v0, v1, vcc_lo
	v_cmp_gt_i32_e32 vcc_lo, 32, v3
	v_lshlrev_b32_e32 v1, 2, v1
	v_cndmask_b32_e32 v3, v0, v3, vcc_lo
	ds_bpermute_b32 v2, v1, v14
	s_waitcnt lgkmcnt(0)
	v_max_f32_e32 v5, v2, v2
	v_lshlrev_b32_e32 v2, 2, v3
	v_max_f32_e32 v4, v4, v5
	v_xor_b32_e32 v5, 4, v0
	ds_bpermute_b32 v3, v2, v4
	v_cmp_gt_i32_e32 vcc_lo, 32, v5
	v_cndmask_b32_e32 v5, v0, v5, vcc_lo
	s_waitcnt lgkmcnt(0)
	v_max_f32_e32 v6, v3, v3
	v_lshlrev_b32_e32 v3, 2, v5
	v_max_f32_e32 v4, v4, v6
	v_xor_b32_e32 v6, 2, v0
	ds_bpermute_b32 v5, v3, v4
	v_cmp_gt_i32_e32 vcc_lo, 32, v6
	v_cndmask_b32_e32 v6, v0, v6, vcc_lo
	v_lshlrev_b32_e32 v15, 2, v6
	v_xor_b32_e32 v6, 1, v0
	v_cmp_gt_i32_e32 vcc_lo, 32, v6
	s_waitcnt lgkmcnt(0)
	v_max_f32_e32 v5, v5, v5
	v_cndmask_b32_e32 v6, v0, v6, vcc_lo
	v_max_f32_e32 v4, v4, v5
	v_lshlrev_b32_e32 v14, 2, v6
	ds_bpermute_b32 v5, v15, v4
	s_waitcnt lgkmcnt(0)
	v_max_f32_e32 v5, v5, v5
	v_max_f32_e32 v0, v4, v5
	buffer_load_dword v4, off, s[0:3], s32 offset:328 ; 4-byte Folded Reload
	ds_bpermute_b32 v5, v14, v0
	s_waitcnt vmcnt(0)
	v_cmp_eq_u32_e32 vcc_lo, 0, v4
	v_lshlrev_b32_e32 v4, 2, v68
	s_and_saveexec_b32 s5, vcc_lo
	s_cbranch_execz .LBB281_978
; %bb.977:
	s_waitcnt lgkmcnt(0)
	v_max_f32_e32 v5, v5, v5
	v_max_f32_e32 v0, v0, v0
	;; [unrolled: 1-line block ×3, first 2 shown]
	ds_write_b32 v4, v0 offset:240
.LBB281_978:
	s_or_b32 exec_lo, exec_lo, s5
	buffer_load_dword v0, off, s[0:3], s32 offset:328 ; 4-byte Folded Reload
	s_waitcnt vmcnt(0) lgkmcnt(0)
	s_waitcnt_vscnt null, 0x0
	s_barrier
	buffer_gl0_inv
	v_cmp_gt_u32_e64 s5, 4, v0
	v_mov_b32_e32 v0, 0xff7fffff
	s_and_saveexec_b32 s6, s5
; %bb.979:
	ds_read_b32 v0, v13 offset:240
; %bb.980:
	s_or_b32 exec_lo, exec_lo, s6
	s_waitcnt lgkmcnt(0)
	ds_bpermute_b32 v5, v15, v0
	v_max_f32_e32 v0, v0, v0
	s_waitcnt lgkmcnt(0)
	v_max_f32_e32 v5, v5, v5
	v_max_f32_e32 v0, v0, v5
	ds_bpermute_b32 v5, v14, v0
	s_waitcnt lgkmcnt(0)
	v_max_f32_e32 v5, v5, v5
	v_max_f32_e32 v0, v0, v5
	v_mov_b32_e32 v5, 0
	ds_bpermute_b32 v6, v5, v0
	buffer_load_dword v0, off, s[0:3], s32 offset:200 ; 4-byte Folded Reload
	s_waitcnt vmcnt(0)
	v_lshlrev_b32_e32 v0, 5, v0
	v_min_i32_e32 v0, v0, v30
	v_cmp_lt_i32_e64 s6, v37, v0
	s_and_saveexec_b32 s13, s6
	s_cbranch_execz .LBB281_984
; %bb.981:
	s_load_dword s7, s[8:9], 0x0
	v_mov_b32_e32 v5, 0
	v_mov_b32_e32 v8, v37
	s_mov_b32 s17, 0
	s_waitcnt lgkmcnt(0)
	v_lshl_add_u32 v7, v37, 2, s7
	.p2align	6
.LBB281_982:                            ; =>This Inner Loop Header: Depth=1
	ds_read_b32 v9, v7
	v_add_nc_u32_e32 v8, 0x80, v8
	v_cmp_ge_i32_e64 s7, v8, v0
	s_or_b32 s17, s7, s17
	s_waitcnt lgkmcnt(0)
	v_sub_f32_e32 v9, v9, v6
	v_mul_f32_e32 v9, 0x3fb8aa3b, v9
	v_exp_f32_e32 v9, v9
	ds_write_b32 v7, v9
	v_add_f32_e32 v5, v5, v9
	v_add_nc_u32_e32 v7, 0x200, v7
	s_andn2_b32 exec_lo, exec_lo, s17
	s_cbranch_execnz .LBB281_982
; %bb.983:
	s_or_b32 exec_lo, exec_lo, s17
.LBB281_984:
	s_or_b32 exec_lo, exec_lo, s13
	ds_bpermute_b32 v1, v1, v5
	s_waitcnt lgkmcnt(0)
	v_add_f32_e32 v1, v5, v1
	ds_bpermute_b32 v2, v2, v1
	s_waitcnt lgkmcnt(0)
	v_add_f32_e32 v1, v1, v2
	;; [unrolled: 3-line block ×5, first 2 shown]
	s_and_saveexec_b32 s7, vcc_lo
; %bb.985:
	ds_write_b32 v4, v1 offset:256
; %bb.986:
	s_or_b32 exec_lo, exec_lo, s7
	s_waitcnt lgkmcnt(0)
	s_barrier
	buffer_gl0_inv
	s_and_saveexec_b32 s7, s5
; %bb.987:
	ds_read_b32 v1, v13 offset:256
; %bb.988:
	s_or_b32 exec_lo, exec_lo, s7
	s_waitcnt lgkmcnt(0)
	ds_bpermute_b32 v2, v15, v1
	s_waitcnt lgkmcnt(0)
	v_add_f32_e32 v1, v1, v2
	ds_bpermute_b32 v2, v14, v1
	s_waitcnt lgkmcnt(0)
	v_add_f32_e32 v1, v1, v2
	v_mov_b32_e32 v2, 0
	ds_bpermute_b32 v1, v2, v1
	s_and_saveexec_b32 s5, s6
	s_cbranch_execz .LBB281_991
; %bb.989:
	s_waitcnt lgkmcnt(0)
	v_add_f32_e32 v2, 0x358637bd, v1
	s_load_dword s6, s[8:9], 0x0
	v_div_scale_f32 v1, null, v2, v2, 1.0
	v_div_scale_f32 v5, vcc_lo, 1.0, v2, 1.0
	v_rcp_f32_e32 v3, v1
	v_fma_f32 v4, -v1, v3, 1.0
	v_fmac_f32_e32 v3, v4, v3
	v_mul_f32_e32 v4, v5, v3
	v_fma_f32 v6, -v1, v4, v5
	v_fmac_f32_e32 v4, v6, v3
	v_fma_f32 v1, -v1, v4, v5
	v_div_fmas_f32 v3, v1, v3, v4
	s_waitcnt lgkmcnt(0)
	v_lshl_add_u32 v1, v37, 2, s6
	s_mov_b32 s6, 0
	v_div_fixup_f32 v2, v3, v2, 1.0
	v_mov_b32_e32 v3, v37
.LBB281_990:                            ; =>This Inner Loop Header: Depth=1
	ds_read_b32 v4, v1
	v_add_nc_u32_e32 v3, 0x80, v3
	v_cmp_ge_i32_e32 vcc_lo, v3, v0
	s_or_b32 s6, vcc_lo, s6
	s_waitcnt lgkmcnt(0)
	v_mul_f32_e32 v4, v2, v4
	ds_write_b32 v1, v4
	v_add_nc_u32_e32 v1, 0x200, v1
	s_andn2_b32 exec_lo, exec_lo, s6
	s_cbranch_execnz .LBB281_990
.LBB281_991:
	s_or_b32 exec_lo, exec_lo, s5
	v_mov_b32_e32 v55, 0
	v_and_b32_e32 v16, 3, v37
	v_mov_b32_e32 v64, 0
	v_mov_b32_e32 v54, 0
	;; [unrolled: 1-line block ×14, first 2 shown]
	s_waitcnt lgkmcnt(0)
	s_barrier
	buffer_gl0_inv
	s_and_saveexec_b32 s5, s4
	s_cbranch_execz .LBB281_1987
; %bb.992:
	s_clause 0x3
	buffer_load_dword v4, off, s[0:3], s32 offset:200
	buffer_load_dword v6, off, s[0:3], s32 offset:376
	;; [unrolled: 1-line block ×4, first 2 shown]
	v_lshlrev_b32_e32 v0, 3, v37
	v_add_co_u32 v2, vcc_lo, v22, v10
	v_lshlrev_b32_e32 v5, 5, v16
	v_mov_b32_e32 v69, v68
	v_and_b32_e32 v67, 24, v0
	v_and_b32_e32 v0, 0xf8, v0
	v_add_co_ci_u32_e64 v3, null, v18, v12, vcc_lo
	v_lshl_or_b32 v68, v69, 7, v5
	v_max_i32_e32 v26, v26, v11
	v_mov_b32_e32 v58, v37
	v_mov_b32_e32 v39, 0x80
	;; [unrolled: 1-line block ×4, first 2 shown]
	v_cvt_f32_u32_e32 v1, v26
	v_sub_nc_u32_e32 v7, 0, v26
	v_mov_b32_e32 v66, 8
	v_mov_b32_e32 v17, 0
	;; [unrolled: 1-line block ×3, first 2 shown]
	v_rcp_iflag_f32_e32 v1, v1
	v_mov_b32_e32 v21, 0
	v_mov_b32_e32 v24, 0
	;; [unrolled: 1-line block ×9, first 2 shown]
	v_mul_f32_e32 v1, 0x4f7ffffe, v1
	v_mov_b32_e32 v53, 0
	v_mov_b32_e32 v54, 0
	;; [unrolled: 1-line block ×4, first 2 shown]
	v_cvt_u32_f32_e32 v1, v1
	v_mov_b32_e32 v59, v69
	s_mov_b32 s6, -1
	s_mov_b32 s7, 0xffffff
	s_mov_b32 s13, 0
	v_mul_lo_u32 v7, v7, v1
	v_mul_hi_u32 v10, v1, v7
	v_add_nc_u32_e32 v13, v1, v10
	s_waitcnt vmcnt(3)
	v_add_nc_u32_e32 v38, -1, v4
	s_waitcnt vmcnt(2)
	v_and_b32_e32 v6, 0x7c, v6
	v_mov_b32_e32 v4, 0
	s_waitcnt vmcnt(1)
	v_add_co_u32 v8, vcc_lo, v6, v8
	s_waitcnt vmcnt(0)
	v_add_co_ci_u32_e64 v9, null, 0, v9, vcc_lo
	v_add_co_u32 v5, vcc_lo, v2, v0
	buffer_load_dword v0, off, s[0:3], s32 offset:364 ; 4-byte Folded Reload
	v_add_co_ci_u32_e64 v6, null, 0, v3, vcc_lo
	buffer_load_dword v2, off, s[0:3], s32 offset:388 ; 4-byte Folded Reload
	s_waitcnt vmcnt(1)
	v_add_co_u32 v7, vcc_lo, v0, v8
	buffer_load_dword v0, off, s[0:3], s32 offset:360 ; 4-byte Folded Reload
	s_waitcnt vmcnt(0)
	v_add_co_ci_u32_e64 v8, null, v0, v9, vcc_lo
	s_branch .LBB281_995
.LBB281_993:                            ;   in Loop: Header=BB281_995 Depth=1
	s_or_b32 exec_lo, exec_lo, s4
	v_add_f32_e32 v2, v2, v18
	v_add_f32_e32 v0, v0, v1
	;; [unrolled: 1-line block ×8, first 2 shown]
	;;#ASMSTART
	v_pk_mul_f16 v1, v84, v23;

	;;#ASMEND
	v_add_f32_e32 v19, v32, v34
	v_add_f32_e32 v22, v29, v31
	v_add_f32_e32 v50, v50, v2
	;;#ASMSTART
	v_pk_mul_f16 v2, v83, v10;

	;;#ASMEND
	;;#ASMSTART
	v_pk_mul_f16 v9, v82, v9;

	;;#ASMEND
	;;#ASMSTART
	v_pk_mul_f16 v3, v81, v3;

	;;#ASMEND
	;;#ASMSTART
	v_pk_add_f16 v1, v1, v2;

	;;#ASMEND
	;;#ASMSTART
	v_pk_add_f16 v1, v1, v9;

	;;#ASMEND
	;; [unrolled: 4-line block ×3, first 2 shown]
	v_and_b32_e32 v9, 0xffff, v1
	v_lshrrev_b32_e32 v10, 16, v1
	;;#ASMSTART
	v_cvt_f32_f16 v9, v9;
	;;#ASMEND
	v_add_f32_e32 v20, v20, v11
	v_add_f32_e32 v21, v21, v12
	;; [unrolled: 1-line block ×9, first 2 shown]
	;;#ASMSTART
	v_cvt_f32_f16 v10, v10;
	;;#ASMEND
	v_add_f32_e32 v9, v9, v10
	v_add_f32_e32 v24, v24, v19
	;; [unrolled: 1-line block ×10, first 2 shown]
.LBB281_994:                            ;   in Loop: Header=BB281_995 Depth=1
	s_or_b32 exec_lo, exec_lo, s17
	buffer_load_dword v0, off, s[0:3], s32 offset:200 ; 4-byte Folded Reload
	v_add_nc_u32_e32 v69, 4, v69
	v_mov_b32_e32 v2, v60
	v_add_co_u32 v7, s4, v7, 16
	v_add_nc_u32_e32 v68, 0x200, v68
	v_add_co_ci_u32_e64 v8, null, 0, v8, s4
	v_add_nc_u32_e32 v2, 0x80, v2
	s_waitcnt vmcnt(0)
	v_cmp_ge_i32_e32 vcc_lo, v69, v0
	s_or_b32 s13, vcc_lo, s13
	s_andn2_b32 exec_lo, exec_lo, s13
	s_cbranch_execz .LBB281_1986
.LBB281_995:                            ; =>This Inner Loop Header: Depth=1
	s_clause 0x1
	buffer_load_dword v0, off, s[0:3], s32 offset:220
	buffer_load_dword v9, off, s[0:3], s32 offset:204
	v_mov_b32_e32 v60, v2
	s_waitcnt vmcnt(1)
	v_mul_hi_u32 v0, v2, v0
	s_waitcnt vmcnt(0)
	v_mul_lo_u32 v1, v0, v9
	v_sub_nc_u32_e32 v1, v2, v1
	v_add_nc_u32_e32 v2, 1, v0
	v_sub_nc_u32_e32 v3, v1, v9
	v_cmp_ge_u32_e32 vcc_lo, v1, v9
	v_cndmask_b32_e32 v1, v1, v3, vcc_lo
	v_cndmask_b32_e32 v0, v0, v2, vcc_lo
	v_cmp_ge_u32_e32 vcc_lo, v1, v9
	buffer_load_dword v1, off, s[0:3], s32 offset:216 ; 4-byte Folded Reload
	v_add_nc_u32_e32 v2, 1, v0
	v_cndmask_b32_e32 v0, v0, v2, vcc_lo
	s_waitcnt vmcnt(0)
	v_xor_b32_e32 v0, v0, v1
	v_sub_nc_u32_e32 v0, v0, v1
	s_clause 0x1
	buffer_load_dword v1, off, s[0:3], s32 offset:208
	buffer_load_dword v2, off, s[0:3], s32 offset:212
	s_waitcnt vmcnt(1)
	v_add_nc_u32_e32 v1, v0, v1
	s_waitcnt vmcnt(0)
	v_sub_nc_u32_e32 v2, 0, v1
	v_max_i32_e32 v2, v1, v2
	v_ashrrev_i32_e32 v1, 31, v1
	v_mul_hi_u32 v3, v2, v13
	v_mul_lo_u32 v3, v3, v26
	v_sub_nc_u32_e32 v2, v2, v3
	v_sub_nc_u32_e32 v3, v2, v26
	v_cmp_ge_u32_e32 vcc_lo, v2, v26
	v_cndmask_b32_e32 v2, v2, v3, vcc_lo
	v_sub_nc_u32_e32 v3, v2, v26
	v_cmp_ge_u32_e32 vcc_lo, v2, v26
	v_cndmask_b32_e32 v2, v2, v3, vcc_lo
	v_xor_b32_e32 v2, v2, v1
	v_sub_nc_u32_e32 v1, v2, v1
	v_cmp_eq_u32_e32 vcc_lo, 0, v1
	buffer_load_dword v1, off, s[0:3], s32 offset:224 ; 4-byte Folded Reload
	s_waitcnt vmcnt(0)
	v_cmp_gt_i32_e64 s4, v0, v1
	s_or_b32 s4, vcc_lo, s4
	s_and_saveexec_b32 s17, s4
	s_cbranch_execz .LBB281_994
; %bb.996:                              ;   in Loop: Header=BB281_995 Depth=1
	s_load_dword s4, s[8:9], 0x0
	flat_load_dword v9, v[7:8]
	v_mov_b32_e32 v36, 0
	s_waitcnt lgkmcnt(0)
	v_add_nc_u32_e32 v10, s4, v68
	ds_read2_b64 v[0:3], v10 offset1:1
	ds_read2_b64 v[32:35], v10 offset0:2 offset1:3
	s_waitcnt lgkmcnt(1)
	;;#ASMSTART
	v_cvt_f16_f32 v0, v0;

	;;#ASMEND
	buffer_load_dword v10, off, s[0:3], s32 offset:260 ; 4-byte Folded Reload
	;;#ASMSTART
	v_cvt_f16_f32 v1, v1;

	;;#ASMEND
	;;#ASMSTART
	v_cvt_f16_f32 v31, v2;

	;;#ASMEND
	;; [unrolled: 4-line block ×3, first 2 shown]
	s_waitcnt lgkmcnt(0)
	;;#ASMSTART
	v_cvt_f16_f32 v32, v32;

	;;#ASMEND
	;;#ASMSTART
	v_cvt_f16_f32 v18, v33;

	;;#ASMEND
	;; [unrolled: 4-line block ×4, first 2 shown]
	v_mov_b32_e32 v35, 0
	s_waitcnt vmcnt(0)
	v_mad_i64_i32 v[9:10], null, v9, v10, v[5:6]
	flat_load_dwordx2 v[11:12], v[9:10]
	s_clause 0x1
	buffer_load_dword v22, off, s[0:3], s32 offset:192
	buffer_load_dword v23, off, s[0:3], s32 offset:196
	s_waitcnt vmcnt(2) lgkmcnt(0)
	v_cmp_ne_u16_sdwa s18, v11, v4 src0_sel:BYTE_0 src1_sel:DWORD
	s_waitcnt vmcnt(0)
	flat_load_dword v34, v[22:23]
	s_and_saveexec_b32 s4, s18
	s_cbranch_execz .LBB281_1004
; %bb.997:                              ;   in Loop: Header=BB281_995 Depth=1
	v_cmp_ne_u16_sdwa s19, v11, v39 src0_sel:BYTE_0 src1_sel:DWORD
	v_mov_b32_e32 v36, 0x8000
	s_and_saveexec_b32 s18, s19
	s_cbranch_execz .LBB281_1003
; %bb.998:                              ;   in Loop: Header=BB281_995 Depth=1
	v_and_b32_e32 v37, 0x7f, v11
	v_mov_b32_e32 v36, 0x7c01
	s_mov_b32 s19, exec_lo
	v_cmpx_ne_u32_e32 0x7f, v37
	s_cbranch_execz .LBB281_1002
; %bb.999:                              ;   in Loop: Header=BB281_995 Depth=1
	v_and_b32_e32 v3, 7, v11
	v_lshrrev_b32_e32 v23, 3, v37
	s_mov_b32 s20, exec_lo
	v_cmpx_gt_u32_e32 8, v37
; %bb.1000:                             ;   in Loop: Header=BB281_995 Depth=1
	v_ffbh_u32_e32 v3, v3
	v_min_u32_e32 v3, 32, v3
	v_subrev_nc_u32_e32 v19, 28, v3
	v_lshlrev_b64 v[22:23], v19, v[11:12]
	v_sub_nc_u32_e32 v23, 29, v3
	v_and_b32_e32 v3, 7, v22
; %bb.1001:                             ;   in Loop: Header=BB281_995 Depth=1
	s_or_b32 exec_lo, exec_lo, s20
	v_lshlrev_b32_e32 v19, 8, v11
	v_lshl_add_u32 v22, v23, 10, 0x2000
	v_lshlrev_b32_e32 v3, 7, v3
	v_and_b32_e32 v19, 0x8000, v19
	v_and_b32_e32 v22, 0xfc00, v22
	v_or3_b32 v36, v19, v22, v3
.LBB281_1002:                           ;   in Loop: Header=BB281_995 Depth=1
	s_or_b32 exec_lo, exec_lo, s19
.LBB281_1003:                           ;   in Loop: Header=BB281_995 Depth=1
	s_or_b32 exec_lo, exec_lo, s18
.LBB281_1004:                           ;   in Loop: Header=BB281_995 Depth=1
	s_or_b32 exec_lo, exec_lo, s4
	v_lshrrev_b16 v3, 8, v11
	s_mov_b32 s4, exec_lo
	v_cmpx_ne_u16_e32 0, v3
	s_cbranch_execz .LBB281_1012
; %bb.1005:                             ;   in Loop: Header=BB281_995 Depth=1
	v_bfrev_b32_e32 v35, 1
	s_mov_b32 s18, exec_lo
	v_cmpx_ne_u16_e32 0x80, v3
	s_cbranch_execz .LBB281_1011
; %bb.1006:                             ;   in Loop: Header=BB281_995 Depth=1
	v_and_b32_sdwa v37, v3, v48 dst_sel:DWORD dst_unused:UNUSED_PAD src0_sel:WORD_0 src1_sel:DWORD
	v_mov_b32_e32 v35, 0x7c010000
	s_mov_b32 s19, exec_lo
	v_cmpx_ne_u32_e32 0x7f, v37
	s_cbranch_execz .LBB281_1010
; %bb.1007:                             ;   in Loop: Header=BB281_995 Depth=1
	v_and_b32_sdwa v23, v3, v65 dst_sel:DWORD dst_unused:UNUSED_PAD src0_sel:WORD_0 src1_sel:DWORD
	v_lshrrev_b32_e32 v35, 3, v37
	s_mov_b32 s20, exec_lo
	v_cmpx_gt_u32_e32 8, v37
; %bb.1008:                             ;   in Loop: Header=BB281_995 Depth=1
	v_ffbh_u32_e32 v19, v23
	v_min_u32_e32 v19, 32, v19
	v_subrev_nc_u32_e32 v22, 28, v19
	v_sub_nc_u32_e32 v35, 29, v19
	v_lshlrev_b64 v[22:23], v22, v[3:4]
	v_and_b32_e32 v23, 7, v22
; %bb.1009:                             ;   in Loop: Header=BB281_995 Depth=1
	s_or_b32 exec_lo, exec_lo, s20
	v_lshlrev_b32_sdwa v3, v66, v3 dst_sel:DWORD dst_unused:UNUSED_PAD src0_sel:DWORD src1_sel:WORD_0
	v_lshl_add_u32 v19, v35, 10, 0x2000
	v_and_or_b32 v3, 0x8000, v3, v19
	v_lshlrev_b32_e32 v19, 23, v23
	v_lshl_or_b32 v35, v3, 16, v19
.LBB281_1010:                           ;   in Loop: Header=BB281_995 Depth=1
	s_or_b32 exec_lo, exec_lo, s19
.LBB281_1011:                           ;   in Loop: Header=BB281_995 Depth=1
	s_or_b32 exec_lo, exec_lo, s18
.LBB281_1012:                           ;   in Loop: Header=BB281_995 Depth=1
	s_or_b32 exec_lo, exec_lo, s4
	v_lshrrev_b32_e32 v3, 16, v11
	v_mov_b32_e32 v37, 0
	v_mov_b32_e32 v70, 0
	v_cmp_ne_u16_sdwa s18, v3, v4 src0_sel:BYTE_0 src1_sel:DWORD
	s_and_saveexec_b32 s4, s18
	s_cbranch_execz .LBB281_1020
; %bb.1013:                             ;   in Loop: Header=BB281_995 Depth=1
	v_cmp_ne_u16_sdwa s19, v3, v39 src0_sel:BYTE_0 src1_sel:DWORD
	v_mov_b32_e32 v70, 0x8000
	s_and_saveexec_b32 s18, s19
	s_cbranch_execz .LBB281_1019
; %bb.1014:                             ;   in Loop: Header=BB281_995 Depth=1
	v_bfe_u32 v71, v11, 16, 7
	v_mov_b32_e32 v70, 0x7c01
	s_mov_b32 s19, exec_lo
	v_cmpx_ne_u32_e32 0x7f, v71
	s_cbranch_execz .LBB281_1018
; %bb.1015:                             ;   in Loop: Header=BB281_995 Depth=1
	v_and_b32_e32 v23, 7, v3
	v_lshrrev_b32_e32 v70, 3, v71
	s_mov_b32 s20, exec_lo
	v_cmpx_gt_u32_e32 8, v71
; %bb.1016:                             ;   in Loop: Header=BB281_995 Depth=1
	v_ffbh_u32_e32 v19, v23
	v_min_u32_e32 v19, 32, v19
	v_subrev_nc_u32_e32 v22, 28, v19
	v_sub_nc_u32_e32 v70, 29, v19
	v_lshlrev_b64 v[22:23], v22, v[3:4]
	v_and_b32_e32 v23, 7, v22
; %bb.1017:                             ;   in Loop: Header=BB281_995 Depth=1
	s_or_b32 exec_lo, exec_lo, s20
	v_lshlrev_b32_e32 v3, 8, v3
	v_lshl_add_u32 v19, v70, 10, 0x2000
	v_lshlrev_b32_e32 v22, 7, v23
	v_and_b32_e32 v3, 0x8000, v3
	v_and_b32_e32 v19, 0xfc00, v19
	v_or3_b32 v70, v3, v19, v22
.LBB281_1018:                           ;   in Loop: Header=BB281_995 Depth=1
	s_or_b32 exec_lo, exec_lo, s19
.LBB281_1019:                           ;   in Loop: Header=BB281_995 Depth=1
	s_or_b32 exec_lo, exec_lo, s18
.LBB281_1020:                           ;   in Loop: Header=BB281_995 Depth=1
	s_or_b32 exec_lo, exec_lo, s4
	s_mov_b32 s4, exec_lo
	v_cmpx_lt_u32_e32 0xffffff, v11
	s_cbranch_execz .LBB281_1028
; %bb.1021:                             ;   in Loop: Header=BB281_995 Depth=1
	v_lshrrev_b32_e32 v3, 24, v11
	v_bfrev_b32_e32 v37, 1
	s_mov_b32 s18, exec_lo
	v_cmpx_ne_u32_e32 0x80, v3
	s_cbranch_execz .LBB281_1027
; %bb.1022:                             ;   in Loop: Header=BB281_995 Depth=1
	v_and_b32_e32 v71, 0x7f, v3
	v_mov_b32_e32 v37, 0x7c010000
	s_mov_b32 s19, exec_lo
	v_cmpx_ne_u32_e32 0x7f, v71
	s_cbranch_execz .LBB281_1026
; %bb.1023:                             ;   in Loop: Header=BB281_995 Depth=1
	v_and_b32_e32 v23, 7, v3
	v_lshrrev_b32_e32 v37, 3, v71
	s_mov_b32 s20, exec_lo
	v_cmpx_gt_u32_e32 8, v71
; %bb.1024:                             ;   in Loop: Header=BB281_995 Depth=1
	v_ffbh_u32_e32 v19, v23
	v_min_u32_e32 v19, 32, v19
	v_subrev_nc_u32_e32 v22, 28, v19
	v_sub_nc_u32_e32 v37, 29, v19
	v_lshlrev_b64 v[22:23], v22, v[3:4]
	v_and_b32_e32 v23, 7, v22
; %bb.1025:                             ;   in Loop: Header=BB281_995 Depth=1
	s_or_b32 exec_lo, exec_lo, s20
	v_lshlrev_b32_e32 v3, 8, v3
	v_lshl_add_u32 v19, v37, 10, 0x2000
	v_and_or_b32 v3, 0x8000, v3, v19
	v_lshlrev_b32_e32 v19, 23, v23
	v_lshl_or_b32 v37, v3, 16, v19
.LBB281_1026:                           ;   in Loop: Header=BB281_995 Depth=1
	s_or_b32 exec_lo, exec_lo, s19
.LBB281_1027:                           ;   in Loop: Header=BB281_995 Depth=1
	s_or_b32 exec_lo, exec_lo, s18
.LBB281_1028:                           ;   in Loop: Header=BB281_995 Depth=1
	s_or_b32 exec_lo, exec_lo, s4
	v_mov_b32_e32 v3, v12
	v_cmp_ne_u16_sdwa s18, v12, v4 src0_sel:BYTE_0 src1_sel:DWORD
	v_mov_b32_e32 v71, 0
	v_mov_b32_e32 v80, 0
	s_and_saveexec_b32 s4, s18
	s_cbranch_execz .LBB281_1036
; %bb.1029:                             ;   in Loop: Header=BB281_995 Depth=1
	v_cmp_ne_u16_sdwa s19, v12, v39 src0_sel:BYTE_0 src1_sel:DWORD
	v_mov_b32_e32 v80, 0x8000
	s_and_saveexec_b32 s18, s19
	s_cbranch_execz .LBB281_1035
; %bb.1030:                             ;   in Loop: Header=BB281_995 Depth=1
	v_and_b32_e32 v81, 0x7f, v12
	v_mov_b32_e32 v80, 0x7c01
	s_mov_b32 s19, exec_lo
	v_cmpx_ne_u32_e32 0x7f, v81
	s_cbranch_execz .LBB281_1034
; %bb.1031:                             ;   in Loop: Header=BB281_995 Depth=1
	v_and_b32_e32 v23, 7, v12
	v_lshrrev_b32_e32 v80, 3, v81
	s_mov_b32 s20, exec_lo
	v_cmpx_gt_u32_e32 8, v81
; %bb.1032:                             ;   in Loop: Header=BB281_995 Depth=1
	v_ffbh_u32_e32 v19, v23
	v_min_u32_e32 v19, 32, v19
	v_subrev_nc_u32_e32 v22, 28, v19
	v_sub_nc_u32_e32 v80, 29, v19
	v_lshlrev_b64 v[22:23], v22, v[3:4]
	v_and_b32_e32 v23, 7, v22
; %bb.1033:                             ;   in Loop: Header=BB281_995 Depth=1
	s_or_b32 exec_lo, exec_lo, s20
	v_lshlrev_b32_e32 v19, 8, v12
	v_lshl_add_u32 v22, v80, 10, 0x2000
	v_lshlrev_b32_e32 v23, 7, v23
	v_and_b32_e32 v19, 0x8000, v19
	v_and_b32_e32 v22, 0xfc00, v22
	v_or3_b32 v80, v19, v22, v23
.LBB281_1034:                           ;   in Loop: Header=BB281_995 Depth=1
	s_or_b32 exec_lo, exec_lo, s19
.LBB281_1035:                           ;   in Loop: Header=BB281_995 Depth=1
	s_or_b32 exec_lo, exec_lo, s18
.LBB281_1036:                           ;   in Loop: Header=BB281_995 Depth=1
	s_or_b32 exec_lo, exec_lo, s4
	v_lshrrev_b16 v3, 8, v3
	v_mov_b32_e32 v23, 0
	s_mov_b32 s4, exec_lo
	v_cmpx_ne_u16_e32 0, v3
	s_cbranch_execz .LBB281_1044
; %bb.1037:                             ;   in Loop: Header=BB281_995 Depth=1
	v_bfrev_b32_e32 v23, 1
	s_mov_b32 s18, exec_lo
	v_cmpx_ne_u16_e32 0x80, v3
	s_cbranch_execz .LBB281_1043
; %bb.1038:                             ;   in Loop: Header=BB281_995 Depth=1
	v_and_b32_sdwa v82, v3, v48 dst_sel:DWORD dst_unused:UNUSED_PAD src0_sel:WORD_0 src1_sel:DWORD
	v_mov_b32_e32 v23, 0x7c010000
	s_mov_b32 s19, exec_lo
	v_cmpx_ne_u32_e32 0x7f, v82
	s_cbranch_execz .LBB281_1042
; %bb.1039:                             ;   in Loop: Header=BB281_995 Depth=1
	v_and_b32_sdwa v23, v3, v65 dst_sel:DWORD dst_unused:UNUSED_PAD src0_sel:WORD_0 src1_sel:DWORD
	v_lshrrev_b32_e32 v81, 3, v82
	s_mov_b32 s20, exec_lo
	v_cmpx_gt_u32_e32 8, v82
; %bb.1040:                             ;   in Loop: Header=BB281_995 Depth=1
	v_ffbh_u32_e32 v19, v23
	v_min_u32_e32 v19, 32, v19
	v_subrev_nc_u32_e32 v22, 28, v19
	v_sub_nc_u32_e32 v81, 29, v19
	v_lshlrev_b64 v[22:23], v22, v[3:4]
	v_and_b32_e32 v23, 7, v22
; %bb.1041:                             ;   in Loop: Header=BB281_995 Depth=1
	s_or_b32 exec_lo, exec_lo, s20
	v_lshlrev_b32_sdwa v3, v66, v3 dst_sel:DWORD dst_unused:UNUSED_PAD src0_sel:DWORD src1_sel:WORD_0
	v_lshl_add_u32 v19, v81, 10, 0x2000
	v_and_or_b32 v3, 0x8000, v3, v19
	v_lshlrev_b32_e32 v19, 23, v23
	v_lshl_or_b32 v23, v3, 16, v19
.LBB281_1042:                           ;   in Loop: Header=BB281_995 Depth=1
	s_or_b32 exec_lo, exec_lo, s19
.LBB281_1043:                           ;   in Loop: Header=BB281_995 Depth=1
	s_or_b32 exec_lo, exec_lo, s18
.LBB281_1044:                           ;   in Loop: Header=BB281_995 Depth=1
	s_or_b32 exec_lo, exec_lo, s4
	v_lshrrev_b32_e32 v3, 16, v12
	v_cmp_ne_u16_sdwa s18, v3, v4 src0_sel:BYTE_0 src1_sel:DWORD
	s_and_saveexec_b32 s4, s18
	s_cbranch_execz .LBB281_1052
; %bb.1045:                             ;   in Loop: Header=BB281_995 Depth=1
	v_cmp_ne_u16_sdwa s19, v3, v39 src0_sel:BYTE_0 src1_sel:DWORD
	v_mov_b32_e32 v71, 0x8000
	s_and_saveexec_b32 s18, s19
	s_cbranch_execz .LBB281_1051
; %bb.1046:                             ;   in Loop: Header=BB281_995 Depth=1
	v_bfe_u32 v82, v12, 16, 7
	v_mov_b32_e32 v71, 0x7c01
	s_mov_b32 s19, exec_lo
	v_cmpx_ne_u32_e32 0x7f, v82
	s_cbranch_execz .LBB281_1050
; %bb.1047:                             ;   in Loop: Header=BB281_995 Depth=1
	v_and_b32_e32 v71, 7, v3
	v_lshrrev_b32_e32 v81, 3, v82
	s_mov_b32 s20, exec_lo
	v_cmpx_gt_u32_e32 8, v82
; %bb.1048:                             ;   in Loop: Header=BB281_995 Depth=1
	v_ffbh_u32_e32 v19, v71
	v_min_u32_e32 v19, 32, v19
	v_subrev_nc_u32_e32 v22, 28, v19
	v_sub_nc_u32_e32 v81, 29, v19
	v_lshlrev_b64 v[82:83], v22, v[3:4]
	v_and_b32_e32 v71, 7, v82
; %bb.1049:                             ;   in Loop: Header=BB281_995 Depth=1
	s_or_b32 exec_lo, exec_lo, s20
	v_lshlrev_b32_e32 v3, 8, v3
	v_lshl_add_u32 v19, v81, 10, 0x2000
	v_lshlrev_b32_e32 v22, 7, v71
	v_and_b32_e32 v3, 0x8000, v3
	v_and_b32_e32 v19, 0xfc00, v19
	v_or3_b32 v71, v3, v19, v22
.LBB281_1050:                           ;   in Loop: Header=BB281_995 Depth=1
	s_or_b32 exec_lo, exec_lo, s19
.LBB281_1051:                           ;   in Loop: Header=BB281_995 Depth=1
	s_or_b32 exec_lo, exec_lo, s18
.LBB281_1052:                           ;   in Loop: Header=BB281_995 Depth=1
	s_or_b32 exec_lo, exec_lo, s4
	v_cmp_lt_u64_e32 vcc_lo, s[6:7], v[11:12]
	v_mov_b32_e32 v11, 0
	s_and_saveexec_b32 s4, vcc_lo
	s_cbranch_execz .LBB281_1060
; %bb.1053:                             ;   in Loop: Header=BB281_995 Depth=1
	v_lshrrev_b32_e32 v3, 24, v12
	v_bfrev_b32_e32 v11, 1
	s_mov_b32 s18, exec_lo
	v_cmpx_ne_u32_e32 0x80, v3
	s_cbranch_execz .LBB281_1059
; %bb.1054:                             ;   in Loop: Header=BB281_995 Depth=1
	v_and_b32_e32 v81, 0x7f, v3
	v_mov_b32_e32 v11, 0x7c010000
	s_mov_b32 s19, exec_lo
	v_cmpx_ne_u32_e32 0x7f, v81
	s_cbranch_execz .LBB281_1058
; %bb.1055:                             ;   in Loop: Header=BB281_995 Depth=1
	v_and_b32_e32 v11, 7, v3
	v_lshrrev_b32_e32 v12, 3, v81
	s_mov_b32 s20, exec_lo
	v_cmpx_gt_u32_e32 8, v81
; %bb.1056:                             ;   in Loop: Header=BB281_995 Depth=1
	v_ffbh_u32_e32 v11, v11
	v_min_u32_e32 v19, 32, v11
	v_subrev_nc_u32_e32 v11, 28, v19
	v_lshlrev_b64 v[11:12], v11, v[3:4]
	v_sub_nc_u32_e32 v12, 29, v19
	v_and_b32_e32 v11, 7, v11
; %bb.1057:                             ;   in Loop: Header=BB281_995 Depth=1
	s_or_b32 exec_lo, exec_lo, s20
	v_lshlrev_b32_e32 v3, 8, v3
	v_lshl_add_u32 v12, v12, 10, 0x2000
	v_lshlrev_b32_e32 v11, 23, v11
	v_and_or_b32 v3, 0x8000, v3, v12
	v_lshl_or_b32 v11, v3, 16, v11
.LBB281_1058:                           ;   in Loop: Header=BB281_995 Depth=1
	s_or_b32 exec_lo, exec_lo, s19
.LBB281_1059:                           ;   in Loop: Header=BB281_995 Depth=1
	s_or_b32 exec_lo, exec_lo, s18
.LBB281_1060:                           ;   in Loop: Header=BB281_995 Depth=1
	s_or_b32 exec_lo, exec_lo, s4
	v_or_b32_e32 v3, v37, v70
	s_waitcnt vmcnt(0) lgkmcnt(0)
	v_fma_mixlo_f16 v12, v34, v37, 0 op_sel:[0,1,0] op_sel_hi:[0,1,0]
	v_or_b32_e32 v19, v35, v36
	v_fma_mixlo_f16 v22, v34, v35, 0 op_sel:[0,1,0] op_sel_hi:[0,1,0]
	v_or_b32_e32 v35, v23, v80
	v_fma_mixlo_f16 v3, v34, v3, 0 op_sel_hi:[0,1,0]
	v_or_b32_e32 v37, v11, v71
	v_fma_mixlo_f16 v11, v34, v11, 0 op_sel:[0,1,0] op_sel_hi:[0,1,0]
	v_lshlrev_b32_e32 v80, 16, v22
	v_fma_mixlo_f16 v22, v34, v35, 0 op_sel_hi:[0,1,0]
	v_and_b32_e32 v36, 0xffff, v3
	v_fma_mixlo_f16 v3, v34, v19, 0 op_sel_hi:[0,1,0]
	v_fma_mixlo_f16 v19, v34, v23, 0 op_sel:[0,1,0] op_sel_hi:[0,1,0]
	v_fma_mixlo_f16 v23, v34, v37, 0 op_sel_hi:[0,1,0]
	v_add_nc_u32_e32 v70, v67, v60
	v_lshlrev_b32_e32 v12, 16, v12
	v_and_b32_e32 v82, 0xffff, v3
	v_lshlrev_b32_e32 v37, 16, v19
	v_and_b32_e32 v81, 0xffff, v22
	;; [unrolled: 2-line block ×3, first 2 shown]
	v_cmp_eq_u32_e32 vcc_lo, v38, v69
	v_or_b32_e32 v3, v12, v36
	v_or_b32_e32 v11, v80, v82
	;; [unrolled: 1-line block ×4, first 2 shown]
	v_add_nc_u32_e32 v99, 1, v70
	v_add_nc_u32_e32 v98, 2, v70
	;; [unrolled: 1-line block ×7, first 2 shown]
	s_and_saveexec_b32 s18, vcc_lo
	s_cbranch_execz .LBB281_1062
; %bb.1061:                             ;   in Loop: Header=BB281_995 Depth=1
	v_cmp_lt_i32_e64 s4, v70, v30
	v_cndmask_b32_e64 v3, 0, v82, s4
	v_cmp_lt_i32_e64 s4, v99, v30
	v_cndmask_b32_e64 v11, 0, v80, s4
	v_cmp_lt_i32_e64 s4, v98, v30
	v_or_b32_e32 v11, v3, v11
	v_cndmask_b32_e64 v19, 0, v36, s4
	v_cmp_lt_i32_e64 s4, v97, v30
	v_cndmask_b32_e64 v12, 0, v12, s4
	v_cmp_lt_i32_e64 s4, v96, v30
	v_or_b32_e32 v3, v19, v12
	;; [unrolled: 5-line block ×3, first 2 shown]
	v_cndmask_b32_e64 v35, 0, v71, s4
	v_cmp_lt_i32_e64 s4, v85, v30
	v_cndmask_b32_e64 v34, 0, v34, s4
	v_or_b32_e32 v35, v35, v34
.LBB281_1062:                           ;   in Loop: Header=BB281_995 Depth=1
	s_or_b32 exec_lo, exec_lo, s18
	v_and_b32_e32 v0, 0xffff, v0
	v_and_b32_e32 v12, 0xffff, v31
	;; [unrolled: 1-line block ×4, first 2 shown]
	v_lshl_or_b32 v84, v1, 16, v0
	;;#ASMSTART
	v_pk_mul_f16 v0, v84, v11;

	;;#ASMEND
	v_lshl_or_b32 v83, v2, 16, v12
	v_lshl_or_b32 v82, v18, 16, v19
	;; [unrolled: 1-line block ×3, first 2 shown]
	;;#ASMSTART
	v_pk_mul_f16 v1, v83, v3;

	;;#ASMEND
	;;#ASMSTART
	v_pk_mul_f16 v2, v82, v23;

	;;#ASMEND
	;; [unrolled: 4-line block ×3, first 2 shown]
	;;#ASMSTART
	v_pk_add_f16 v0, v0, v1;

	;;#ASMEND
	;;#ASMSTART
	v_pk_add_f16 v0, v0, v2;

	;;#ASMEND
	;; [unrolled: 4-line block ×3, first 2 shown]
	v_and_b32_e32 v1, 0xffff, v0
	v_lshrrev_b32_e32 v0, 16, v0
	;;#ASMSTART
	v_cvt_f32_f16 v71, v1;
	;;#ASMEND
	;;#ASMSTART
	v_cvt_f32_f16 v80, v0;
	;;#ASMEND
	flat_load_dwordx2 v[11:12], v[9:10] offset:256
	s_clause 0x1
	buffer_load_dword v0, off, s[0:3], s32 offset:192
	buffer_load_dword v1, off, s[0:3], s32 offset:196
	v_mov_b32_e32 v2, 0
	s_waitcnt vmcnt(2) lgkmcnt(0)
	v_cmp_ne_u16_sdwa s4, v11, v4 src0_sel:BYTE_0 src1_sel:DWORD
	s_waitcnt vmcnt(0)
	flat_load_dword v0, v[0:1]
	v_mov_b32_e32 v1, 0
	s_and_saveexec_b32 s18, s4
	s_cbranch_execz .LBB281_1070
; %bb.1063:                             ;   in Loop: Header=BB281_995 Depth=1
	v_cmp_ne_u16_sdwa s4, v11, v39 src0_sel:BYTE_0 src1_sel:DWORD
	v_mov_b32_e32 v2, 0x8000
	s_and_saveexec_b32 s19, s4
	s_cbranch_execz .LBB281_1069
; %bb.1064:                             ;   in Loop: Header=BB281_995 Depth=1
	v_and_b32_e32 v18, 0x7f, v11
	v_mov_b32_e32 v2, 0x7c01
	s_mov_b32 s20, exec_lo
	v_cmpx_ne_u32_e32 0x7f, v18
	s_cbranch_execz .LBB281_1068
; %bb.1065:                             ;   in Loop: Header=BB281_995 Depth=1
	v_and_b32_e32 v2, 7, v11
	v_lshrrev_b32_e32 v3, 3, v18
	s_mov_b32 s21, exec_lo
	v_cmpx_gt_u32_e32 8, v18
; %bb.1066:                             ;   in Loop: Header=BB281_995 Depth=1
	v_ffbh_u32_e32 v2, v2
	v_min_u32_e32 v18, 32, v2
	v_subrev_nc_u32_e32 v2, 28, v18
	v_lshlrev_b64 v[2:3], v2, v[11:12]
	v_sub_nc_u32_e32 v3, 29, v18
	v_and_b32_e32 v2, 7, v2
; %bb.1067:                             ;   in Loop: Header=BB281_995 Depth=1
	s_or_b32 exec_lo, exec_lo, s21
	v_lshlrev_b32_e32 v18, 8, v11
	v_lshl_add_u32 v3, v3, 10, 0x2000
	v_lshlrev_b32_e32 v2, 7, v2
	v_and_b32_e32 v18, 0x8000, v18
	v_and_b32_e32 v3, 0xfc00, v3
	v_or3_b32 v2, v18, v3, v2
.LBB281_1068:                           ;   in Loop: Header=BB281_995 Depth=1
	s_or_b32 exec_lo, exec_lo, s20
.LBB281_1069:                           ;   in Loop: Header=BB281_995 Depth=1
	s_or_b32 exec_lo, exec_lo, s19
.LBB281_1070:                           ;   in Loop: Header=BB281_995 Depth=1
	s_or_b32 exec_lo, exec_lo, s18
	v_lshrrev_b16 v3, 8, v11
	s_mov_b32 s18, exec_lo
	v_cmpx_ne_u16_e32 0, v3
	s_cbranch_execz .LBB281_1078
; %bb.1071:                             ;   in Loop: Header=BB281_995 Depth=1
	v_bfrev_b32_e32 v1, 1
	s_mov_b32 s19, exec_lo
	v_cmpx_ne_u16_e32 0x80, v3
	s_cbranch_execz .LBB281_1077
; %bb.1072:                             ;   in Loop: Header=BB281_995 Depth=1
	v_and_b32_sdwa v23, v3, v48 dst_sel:DWORD dst_unused:UNUSED_PAD src0_sel:WORD_0 src1_sel:DWORD
	v_mov_b32_e32 v1, 0x7c010000
	s_mov_b32 s20, exec_lo
	v_cmpx_ne_u32_e32 0x7f, v23
	s_cbranch_execz .LBB281_1076
; %bb.1073:                             ;   in Loop: Header=BB281_995 Depth=1
	v_and_b32_sdwa v1, v3, v65 dst_sel:DWORD dst_unused:UNUSED_PAD src0_sel:WORD_0 src1_sel:DWORD
	v_lshrrev_b32_e32 v18, 3, v23
	s_mov_b32 s21, exec_lo
	v_cmpx_gt_u32_e32 8, v23
; %bb.1074:                             ;   in Loop: Header=BB281_995 Depth=1
	v_ffbh_u32_e32 v1, v1
	v_min_u32_e32 v1, 32, v1
	v_subrev_nc_u32_e32 v18, 28, v1
	v_lshlrev_b64 v[22:23], v18, v[3:4]
	v_sub_nc_u32_e32 v18, 29, v1
	v_and_b32_e32 v1, 7, v22
; %bb.1075:                             ;   in Loop: Header=BB281_995 Depth=1
	s_or_b32 exec_lo, exec_lo, s21
	v_lshlrev_b32_sdwa v3, v66, v3 dst_sel:DWORD dst_unused:UNUSED_PAD src0_sel:DWORD src1_sel:WORD_0
	v_lshl_add_u32 v18, v18, 10, 0x2000
	v_lshlrev_b32_e32 v1, 23, v1
	v_and_or_b32 v3, 0x8000, v3, v18
	v_lshl_or_b32 v1, v3, 16, v1
.LBB281_1076:                           ;   in Loop: Header=BB281_995 Depth=1
	s_or_b32 exec_lo, exec_lo, s20
.LBB281_1077:                           ;   in Loop: Header=BB281_995 Depth=1
	s_or_b32 exec_lo, exec_lo, s19
.LBB281_1078:                           ;   in Loop: Header=BB281_995 Depth=1
	s_or_b32 exec_lo, exec_lo, s18
	v_lshrrev_b32_e32 v3, 16, v11
	v_mov_b32_e32 v18, 0
	v_mov_b32_e32 v29, 0
	v_cmp_ne_u16_sdwa s4, v3, v4 src0_sel:BYTE_0 src1_sel:DWORD
	s_and_saveexec_b32 s18, s4
	s_cbranch_execz .LBB281_1086
; %bb.1079:                             ;   in Loop: Header=BB281_995 Depth=1
	v_cmp_ne_u16_sdwa s4, v3, v39 src0_sel:BYTE_0 src1_sel:DWORD
	v_mov_b32_e32 v29, 0x8000
	s_and_saveexec_b32 s19, s4
	s_cbranch_execz .LBB281_1085
; %bb.1080:                             ;   in Loop: Header=BB281_995 Depth=1
	v_bfe_u32 v31, v11, 16, 7
	v_mov_b32_e32 v29, 0x7c01
	s_mov_b32 s20, exec_lo
	v_cmpx_ne_u32_e32 0x7f, v31
	s_cbranch_execz .LBB281_1084
; %bb.1081:                             ;   in Loop: Header=BB281_995 Depth=1
	v_and_b32_e32 v23, 7, v3
	v_lshrrev_b32_e32 v29, 3, v31
	s_mov_b32 s21, exec_lo
	v_cmpx_gt_u32_e32 8, v31
; %bb.1082:                             ;   in Loop: Header=BB281_995 Depth=1
	v_ffbh_u32_e32 v19, v23
	v_min_u32_e32 v19, 32, v19
	v_subrev_nc_u32_e32 v22, 28, v19
	v_sub_nc_u32_e32 v29, 29, v19
	v_lshlrev_b64 v[22:23], v22, v[3:4]
	v_and_b32_e32 v23, 7, v22
; %bb.1083:                             ;   in Loop: Header=BB281_995 Depth=1
	s_or_b32 exec_lo, exec_lo, s21
	v_lshlrev_b32_e32 v3, 8, v3
	v_lshl_add_u32 v19, v29, 10, 0x2000
	v_lshlrev_b32_e32 v22, 7, v23
	v_and_b32_e32 v3, 0x8000, v3
	v_and_b32_e32 v19, 0xfc00, v19
	v_or3_b32 v29, v3, v19, v22
.LBB281_1084:                           ;   in Loop: Header=BB281_995 Depth=1
	s_or_b32 exec_lo, exec_lo, s20
.LBB281_1085:                           ;   in Loop: Header=BB281_995 Depth=1
	s_or_b32 exec_lo, exec_lo, s19
.LBB281_1086:                           ;   in Loop: Header=BB281_995 Depth=1
	s_or_b32 exec_lo, exec_lo, s18
	s_mov_b32 s18, exec_lo
	v_cmpx_lt_u32_e32 0xffffff, v11
	s_cbranch_execz .LBB281_1094
; %bb.1087:                             ;   in Loop: Header=BB281_995 Depth=1
	v_lshrrev_b32_e32 v3, 24, v11
	v_bfrev_b32_e32 v18, 1
	s_mov_b32 s19, exec_lo
	v_cmpx_ne_u32_e32 0x80, v3
	s_cbranch_execz .LBB281_1093
; %bb.1088:                             ;   in Loop: Header=BB281_995 Depth=1
	v_and_b32_e32 v31, 0x7f, v3
	v_mov_b32_e32 v18, 0x7c010000
	s_mov_b32 s20, exec_lo
	v_cmpx_ne_u32_e32 0x7f, v31
	s_cbranch_execz .LBB281_1092
; %bb.1089:                             ;   in Loop: Header=BB281_995 Depth=1
	v_and_b32_e32 v18, 7, v3
	v_lshrrev_b32_e32 v23, 3, v31
	s_mov_b32 s21, exec_lo
	v_cmpx_gt_u32_e32 8, v31
; %bb.1090:                             ;   in Loop: Header=BB281_995 Depth=1
	v_ffbh_u32_e32 v18, v18
	v_min_u32_e32 v22, 32, v18
	v_subrev_nc_u32_e32 v18, 28, v22
	v_sub_nc_u32_e32 v23, 29, v22
	v_lshlrev_b64 v[18:19], v18, v[3:4]
	v_and_b32_e32 v18, 7, v18
; %bb.1091:                             ;   in Loop: Header=BB281_995 Depth=1
	s_or_b32 exec_lo, exec_lo, s21
	v_lshlrev_b32_e32 v3, 8, v3
	v_lshl_add_u32 v19, v23, 10, 0x2000
	v_lshlrev_b32_e32 v18, 23, v18
	v_and_or_b32 v3, 0x8000, v3, v19
	v_lshl_or_b32 v18, v3, 16, v18
.LBB281_1092:                           ;   in Loop: Header=BB281_995 Depth=1
	s_or_b32 exec_lo, exec_lo, s20
.LBB281_1093:                           ;   in Loop: Header=BB281_995 Depth=1
	s_or_b32 exec_lo, exec_lo, s19
.LBB281_1094:                           ;   in Loop: Header=BB281_995 Depth=1
	s_or_b32 exec_lo, exec_lo, s18
	v_mov_b32_e32 v3, v12
	v_cmp_ne_u16_sdwa s4, v12, v4 src0_sel:BYTE_0 src1_sel:DWORD
	v_mov_b32_e32 v31, 0
	v_mov_b32_e32 v23, 0
	s_and_saveexec_b32 s18, s4
	s_cbranch_execz .LBB281_1102
; %bb.1095:                             ;   in Loop: Header=BB281_995 Depth=1
	v_cmp_ne_u16_sdwa s4, v12, v39 src0_sel:BYTE_0 src1_sel:DWORD
	v_mov_b32_e32 v23, 0x8000
	s_and_saveexec_b32 s19, s4
	s_cbranch_execz .LBB281_1101
; %bb.1096:                             ;   in Loop: Header=BB281_995 Depth=1
	v_and_b32_e32 v33, 0x7f, v12
	v_mov_b32_e32 v23, 0x7c01
	s_mov_b32 s20, exec_lo
	v_cmpx_ne_u32_e32 0x7f, v33
	s_cbranch_execz .LBB281_1100
; %bb.1097:                             ;   in Loop: Header=BB281_995 Depth=1
	v_and_b32_e32 v23, 7, v12
	v_lshrrev_b32_e32 v32, 3, v33
	s_mov_b32 s21, exec_lo
	v_cmpx_gt_u32_e32 8, v33
; %bb.1098:                             ;   in Loop: Header=BB281_995 Depth=1
	v_ffbh_u32_e32 v19, v23
	v_min_u32_e32 v19, 32, v19
	v_subrev_nc_u32_e32 v22, 28, v19
	v_sub_nc_u32_e32 v32, 29, v19
	v_lshlrev_b64 v[22:23], v22, v[3:4]
	v_and_b32_e32 v23, 7, v22
; %bb.1099:                             ;   in Loop: Header=BB281_995 Depth=1
	s_or_b32 exec_lo, exec_lo, s21
	v_lshlrev_b32_e32 v19, 8, v12
	v_lshl_add_u32 v22, v32, 10, 0x2000
	v_lshlrev_b32_e32 v23, 7, v23
	v_and_b32_e32 v19, 0x8000, v19
	v_and_b32_e32 v22, 0xfc00, v22
	v_or3_b32 v23, v19, v22, v23
.LBB281_1100:                           ;   in Loop: Header=BB281_995 Depth=1
	s_or_b32 exec_lo, exec_lo, s20
.LBB281_1101:                           ;   in Loop: Header=BB281_995 Depth=1
	s_or_b32 exec_lo, exec_lo, s19
.LBB281_1102:                           ;   in Loop: Header=BB281_995 Depth=1
	s_or_b32 exec_lo, exec_lo, s18
	v_lshrrev_b16 v3, 8, v3
	v_mov_b32_e32 v32, 0
	s_mov_b32 s18, exec_lo
	v_cmpx_ne_u16_e32 0, v3
	s_cbranch_execz .LBB281_1110
; %bb.1103:                             ;   in Loop: Header=BB281_995 Depth=1
	v_bfrev_b32_e32 v32, 1
	s_mov_b32 s19, exec_lo
	v_cmpx_ne_u16_e32 0x80, v3
	s_cbranch_execz .LBB281_1109
; %bb.1104:                             ;   in Loop: Header=BB281_995 Depth=1
	v_and_b32_sdwa v34, v3, v48 dst_sel:DWORD dst_unused:UNUSED_PAD src0_sel:WORD_0 src1_sel:DWORD
	v_mov_b32_e32 v32, 0x7c010000
	s_mov_b32 s20, exec_lo
	v_cmpx_ne_u32_e32 0x7f, v34
	s_cbranch_execz .LBB281_1108
; %bb.1105:                             ;   in Loop: Header=BB281_995 Depth=1
	v_and_b32_sdwa v32, v3, v65 dst_sel:DWORD dst_unused:UNUSED_PAD src0_sel:WORD_0 src1_sel:DWORD
	v_lshrrev_b32_e32 v33, 3, v34
	s_mov_b32 s21, exec_lo
	v_cmpx_gt_u32_e32 8, v34
; %bb.1106:                             ;   in Loop: Header=BB281_995 Depth=1
	v_ffbh_u32_e32 v19, v32
	v_min_u32_e32 v19, 32, v19
	v_subrev_nc_u32_e32 v22, 28, v19
	v_lshlrev_b64 v[32:33], v22, v[3:4]
	v_sub_nc_u32_e32 v33, 29, v19
	v_and_b32_e32 v32, 7, v32
; %bb.1107:                             ;   in Loop: Header=BB281_995 Depth=1
	s_or_b32 exec_lo, exec_lo, s21
	v_lshlrev_b32_sdwa v3, v66, v3 dst_sel:DWORD dst_unused:UNUSED_PAD src0_sel:DWORD src1_sel:WORD_0
	v_lshl_add_u32 v19, v33, 10, 0x2000
	v_and_or_b32 v3, 0x8000, v3, v19
	v_lshlrev_b32_e32 v19, 23, v32
	v_lshl_or_b32 v32, v3, 16, v19
.LBB281_1108:                           ;   in Loop: Header=BB281_995 Depth=1
	s_or_b32 exec_lo, exec_lo, s20
.LBB281_1109:                           ;   in Loop: Header=BB281_995 Depth=1
	s_or_b32 exec_lo, exec_lo, s19
.LBB281_1110:                           ;   in Loop: Header=BB281_995 Depth=1
	s_or_b32 exec_lo, exec_lo, s18
	v_lshrrev_b32_e32 v3, 16, v12
	v_cmp_ne_u16_sdwa s4, v3, v4 src0_sel:BYTE_0 src1_sel:DWORD
	s_and_saveexec_b32 s18, s4
	s_cbranch_execz .LBB281_1118
; %bb.1111:                             ;   in Loop: Header=BB281_995 Depth=1
	v_cmp_ne_u16_sdwa s4, v3, v39 src0_sel:BYTE_0 src1_sel:DWORD
	v_mov_b32_e32 v31, 0x8000
	s_and_saveexec_b32 s19, s4
	s_cbranch_execz .LBB281_1117
; %bb.1112:                             ;   in Loop: Header=BB281_995 Depth=1
	v_bfe_u32 v34, v12, 16, 7
	v_mov_b32_e32 v31, 0x7c01
	s_mov_b32 s20, exec_lo
	v_cmpx_ne_u32_e32 0x7f, v34
	s_cbranch_execz .LBB281_1116
; %bb.1113:                             ;   in Loop: Header=BB281_995 Depth=1
	v_and_b32_e32 v31, 7, v3
	v_lshrrev_b32_e32 v33, 3, v34
	s_mov_b32 s21, exec_lo
	v_cmpx_gt_u32_e32 8, v34
; %bb.1114:                             ;   in Loop: Header=BB281_995 Depth=1
	v_ffbh_u32_e32 v19, v31
	v_min_u32_e32 v19, 32, v19
	v_subrev_nc_u32_e32 v22, 28, v19
	v_sub_nc_u32_e32 v33, 29, v19
	v_lshlrev_b64 v[34:35], v22, v[3:4]
	v_and_b32_e32 v31, 7, v34
; %bb.1115:                             ;   in Loop: Header=BB281_995 Depth=1
	s_or_b32 exec_lo, exec_lo, s21
	v_lshlrev_b32_e32 v3, 8, v3
	v_lshl_add_u32 v19, v33, 10, 0x2000
	v_lshlrev_b32_e32 v22, 7, v31
	v_and_b32_e32 v3, 0x8000, v3
	v_and_b32_e32 v19, 0xfc00, v19
	v_or3_b32 v31, v3, v19, v22
.LBB281_1116:                           ;   in Loop: Header=BB281_995 Depth=1
	s_or_b32 exec_lo, exec_lo, s20
.LBB281_1117:                           ;   in Loop: Header=BB281_995 Depth=1
	s_or_b32 exec_lo, exec_lo, s19
.LBB281_1118:                           ;   in Loop: Header=BB281_995 Depth=1
	s_or_b32 exec_lo, exec_lo, s18
	v_cmp_lt_u64_e64 s4, s[6:7], v[11:12]
	v_mov_b32_e32 v11, 0
	s_and_saveexec_b32 s18, s4
	s_cbranch_execz .LBB281_1126
; %bb.1119:                             ;   in Loop: Header=BB281_995 Depth=1
	v_lshrrev_b32_e32 v3, 24, v12
	v_bfrev_b32_e32 v11, 1
	s_mov_b32 s19, exec_lo
	v_cmpx_ne_u32_e32 0x80, v3
	s_cbranch_execz .LBB281_1125
; %bb.1120:                             ;   in Loop: Header=BB281_995 Depth=1
	v_and_b32_e32 v33, 0x7f, v3
	v_mov_b32_e32 v11, 0x7c010000
	s_mov_b32 s20, exec_lo
	v_cmpx_ne_u32_e32 0x7f, v33
	s_cbranch_execz .LBB281_1124
; %bb.1121:                             ;   in Loop: Header=BB281_995 Depth=1
	v_and_b32_e32 v11, 7, v3
	v_lshrrev_b32_e32 v12, 3, v33
	s_mov_b32 s21, exec_lo
	v_cmpx_gt_u32_e32 8, v33
; %bb.1122:                             ;   in Loop: Header=BB281_995 Depth=1
	v_ffbh_u32_e32 v11, v11
	v_min_u32_e32 v19, 32, v11
	v_subrev_nc_u32_e32 v11, 28, v19
	v_lshlrev_b64 v[11:12], v11, v[3:4]
	v_sub_nc_u32_e32 v12, 29, v19
	v_and_b32_e32 v11, 7, v11
; %bb.1123:                             ;   in Loop: Header=BB281_995 Depth=1
	s_or_b32 exec_lo, exec_lo, s21
	v_lshlrev_b32_e32 v3, 8, v3
	v_lshl_add_u32 v12, v12, 10, 0x2000
	v_lshlrev_b32_e32 v11, 23, v11
	v_and_or_b32 v3, 0x8000, v3, v12
	v_lshl_or_b32 v11, v3, 16, v11
.LBB281_1124:                           ;   in Loop: Header=BB281_995 Depth=1
	s_or_b32 exec_lo, exec_lo, s20
.LBB281_1125:                           ;   in Loop: Header=BB281_995 Depth=1
	s_or_b32 exec_lo, exec_lo, s19
.LBB281_1126:                           ;   in Loop: Header=BB281_995 Depth=1
	s_or_b32 exec_lo, exec_lo, s18
	v_or_b32_e32 v3, v18, v29
	s_waitcnt vmcnt(0) lgkmcnt(0)
	v_fma_mixlo_f16 v12, v0, v18, 0 op_sel:[0,1,0] op_sel_hi:[0,1,0]
	v_or_b32_e32 v2, v1, v2
	v_fma_mixlo_f16 v18, v0, v1, 0 op_sel:[0,1,0] op_sel_hi:[0,1,0]
	v_or_b32_e32 v19, v32, v23
	v_fma_mixlo_f16 v3, v0, v3, 0 op_sel_hi:[0,1,0]
	v_or_b32_e32 v22, v11, v31
	v_lshlrev_b32_e32 v1, 16, v12
	v_lshlrev_b32_e32 v12, 16, v18
	v_fma_mixlo_f16 v18, v0, v2, 0 op_sel_hi:[0,1,0]
	v_and_b32_e32 v2, 0xffff, v3
	v_fma_mixlo_f16 v3, v0, v32, 0 op_sel:[0,1,0] op_sel_hi:[0,1,0]
	v_fma_mixlo_f16 v19, v0, v19, 0 op_sel_hi:[0,1,0]
	v_fma_mixlo_f16 v11, v0, v11, 0 op_sel:[0,1,0] op_sel_hi:[0,1,0]
	v_fma_mixlo_f16 v22, v0, v22, 0 op_sel_hi:[0,1,0]
	v_and_b32_e32 v33, 0xffff, v18
	v_lshlrev_b32_e32 v3, 16, v3
	v_and_b32_e32 v23, 0xffff, v19
	v_lshlrev_b32_e32 v0, 16, v11
	v_and_b32_e32 v11, 0xffff, v22
	v_or_b32_e32 v18, v1, v2
	v_or_b32_e32 v32, v12, v33
	;; [unrolled: 1-line block ×4, first 2 shown]
	s_and_saveexec_b32 s18, vcc_lo
	s_cbranch_execz .LBB281_1128
; %bb.1127:                             ;   in Loop: Header=BB281_995 Depth=1
	v_cmp_lt_i32_e64 s4, v70, v30
	v_cndmask_b32_e64 v18, 0, v33, s4
	v_cmp_lt_i32_e64 s4, v99, v30
	v_cndmask_b32_e64 v12, 0, v12, s4
	v_cmp_lt_i32_e64 s4, v98, v30
	v_or_b32_e32 v32, v18, v12
	v_cndmask_b32_e64 v2, 0, v2, s4
	v_cmp_lt_i32_e64 s4, v97, v30
	v_cndmask_b32_e64 v1, 0, v1, s4
	v_cmp_lt_i32_e64 s4, v96, v30
	v_or_b32_e32 v18, v2, v1
	;; [unrolled: 5-line block ×3, first 2 shown]
	v_cndmask_b32_e64 v11, 0, v11, s4
	v_cmp_lt_i32_e64 s4, v85, v30
	v_cndmask_b32_e64 v0, 0, v0, s4
	v_or_b32_e32 v29, v11, v0
.LBB281_1128:                           ;   in Loop: Header=BB281_995 Depth=1
	s_or_b32 exec_lo, exec_lo, s18
	;;#ASMSTART
	v_pk_mul_f16 v0, v84, v32;

	;;#ASMEND
	;;#ASMSTART
	v_pk_mul_f16 v1, v83, v18;

	;;#ASMEND
	;; [unrolled: 4-line block ×4, first 2 shown]
	;;#ASMSTART
	v_pk_add_f16 v0, v0, v1;

	;;#ASMEND
	;;#ASMSTART
	v_pk_add_f16 v0, v0, v2;

	;;#ASMEND
	;; [unrolled: 4-line block ×3, first 2 shown]
	v_and_b32_e32 v1, 0xffff, v0
	v_lshrrev_b32_e32 v0, 16, v0
	;;#ASMSTART
	v_cvt_f32_f16 v100, v1;
	;;#ASMEND
	;;#ASMSTART
	v_cvt_f32_f16 v45, v0;
	;;#ASMEND
	flat_load_dwordx2 v[11:12], v[9:10] offset:512
	s_clause 0x1
	buffer_load_dword v0, off, s[0:3], s32 offset:192
	buffer_load_dword v1, off, s[0:3], s32 offset:196
	v_mov_b32_e32 v2, 0
	s_waitcnt vmcnt(2) lgkmcnt(0)
	v_cmp_ne_u16_sdwa s4, v11, v4 src0_sel:BYTE_0 src1_sel:DWORD
	s_waitcnt vmcnt(0)
	flat_load_dword v0, v[0:1]
	v_mov_b32_e32 v1, 0
	s_and_saveexec_b32 s18, s4
	s_cbranch_execz .LBB281_1136
; %bb.1129:                             ;   in Loop: Header=BB281_995 Depth=1
	v_cmp_ne_u16_sdwa s4, v11, v39 src0_sel:BYTE_0 src1_sel:DWORD
	v_mov_b32_e32 v2, 0x8000
	s_and_saveexec_b32 s19, s4
	s_cbranch_execz .LBB281_1135
; %bb.1130:                             ;   in Loop: Header=BB281_995 Depth=1
	v_and_b32_e32 v18, 0x7f, v11
	v_mov_b32_e32 v2, 0x7c01
	s_mov_b32 s20, exec_lo
	v_cmpx_ne_u32_e32 0x7f, v18
	s_cbranch_execz .LBB281_1134
; %bb.1131:                             ;   in Loop: Header=BB281_995 Depth=1
	v_and_b32_e32 v2, 7, v11
	v_lshrrev_b32_e32 v3, 3, v18
	s_mov_b32 s21, exec_lo
	v_cmpx_gt_u32_e32 8, v18
; %bb.1132:                             ;   in Loop: Header=BB281_995 Depth=1
	v_ffbh_u32_e32 v2, v2
	v_min_u32_e32 v18, 32, v2
	v_subrev_nc_u32_e32 v2, 28, v18
	v_lshlrev_b64 v[2:3], v2, v[11:12]
	v_sub_nc_u32_e32 v3, 29, v18
	v_and_b32_e32 v2, 7, v2
; %bb.1133:                             ;   in Loop: Header=BB281_995 Depth=1
	s_or_b32 exec_lo, exec_lo, s21
	v_lshlrev_b32_e32 v18, 8, v11
	v_lshl_add_u32 v3, v3, 10, 0x2000
	v_lshlrev_b32_e32 v2, 7, v2
	v_and_b32_e32 v18, 0x8000, v18
	v_and_b32_e32 v3, 0xfc00, v3
	v_or3_b32 v2, v18, v3, v2
.LBB281_1134:                           ;   in Loop: Header=BB281_995 Depth=1
	s_or_b32 exec_lo, exec_lo, s20
.LBB281_1135:                           ;   in Loop: Header=BB281_995 Depth=1
	s_or_b32 exec_lo, exec_lo, s19
.LBB281_1136:                           ;   in Loop: Header=BB281_995 Depth=1
	s_or_b32 exec_lo, exec_lo, s18
	v_lshrrev_b16 v3, 8, v11
	s_mov_b32 s18, exec_lo
	v_cmpx_ne_u16_e32 0, v3
	s_cbranch_execz .LBB281_1144
; %bb.1137:                             ;   in Loop: Header=BB281_995 Depth=1
	v_bfrev_b32_e32 v1, 1
	s_mov_b32 s19, exec_lo
	v_cmpx_ne_u16_e32 0x80, v3
	s_cbranch_execz .LBB281_1143
; %bb.1138:                             ;   in Loop: Header=BB281_995 Depth=1
	v_and_b32_sdwa v23, v3, v48 dst_sel:DWORD dst_unused:UNUSED_PAD src0_sel:WORD_0 src1_sel:DWORD
	v_mov_b32_e32 v1, 0x7c010000
	s_mov_b32 s20, exec_lo
	v_cmpx_ne_u32_e32 0x7f, v23
	s_cbranch_execz .LBB281_1142
; %bb.1139:                             ;   in Loop: Header=BB281_995 Depth=1
	v_and_b32_sdwa v1, v3, v65 dst_sel:DWORD dst_unused:UNUSED_PAD src0_sel:WORD_0 src1_sel:DWORD
	v_lshrrev_b32_e32 v18, 3, v23
	s_mov_b32 s21, exec_lo
	v_cmpx_gt_u32_e32 8, v23
; %bb.1140:                             ;   in Loop: Header=BB281_995 Depth=1
	v_ffbh_u32_e32 v1, v1
	v_min_u32_e32 v1, 32, v1
	v_subrev_nc_u32_e32 v18, 28, v1
	v_lshlrev_b64 v[22:23], v18, v[3:4]
	v_sub_nc_u32_e32 v18, 29, v1
	v_and_b32_e32 v1, 7, v22
; %bb.1141:                             ;   in Loop: Header=BB281_995 Depth=1
	s_or_b32 exec_lo, exec_lo, s21
	v_lshlrev_b32_sdwa v3, v66, v3 dst_sel:DWORD dst_unused:UNUSED_PAD src0_sel:DWORD src1_sel:WORD_0
	v_lshl_add_u32 v18, v18, 10, 0x2000
	v_lshlrev_b32_e32 v1, 23, v1
	v_and_or_b32 v3, 0x8000, v3, v18
	v_lshl_or_b32 v1, v3, 16, v1
.LBB281_1142:                           ;   in Loop: Header=BB281_995 Depth=1
	s_or_b32 exec_lo, exec_lo, s20
.LBB281_1143:                           ;   in Loop: Header=BB281_995 Depth=1
	s_or_b32 exec_lo, exec_lo, s19
.LBB281_1144:                           ;   in Loop: Header=BB281_995 Depth=1
	s_or_b32 exec_lo, exec_lo, s18
	v_lshrrev_b32_e32 v3, 16, v11
	v_mov_b32_e32 v18, 0
	v_mov_b32_e32 v29, 0
	v_cmp_ne_u16_sdwa s4, v3, v4 src0_sel:BYTE_0 src1_sel:DWORD
	s_and_saveexec_b32 s18, s4
	s_cbranch_execz .LBB281_1152
; %bb.1145:                             ;   in Loop: Header=BB281_995 Depth=1
	v_cmp_ne_u16_sdwa s4, v3, v39 src0_sel:BYTE_0 src1_sel:DWORD
	v_mov_b32_e32 v29, 0x8000
	s_and_saveexec_b32 s19, s4
	s_cbranch_execz .LBB281_1151
; %bb.1146:                             ;   in Loop: Header=BB281_995 Depth=1
	v_bfe_u32 v31, v11, 16, 7
	v_mov_b32_e32 v29, 0x7c01
	s_mov_b32 s20, exec_lo
	v_cmpx_ne_u32_e32 0x7f, v31
	s_cbranch_execz .LBB281_1150
; %bb.1147:                             ;   in Loop: Header=BB281_995 Depth=1
	v_and_b32_e32 v23, 7, v3
	v_lshrrev_b32_e32 v29, 3, v31
	s_mov_b32 s21, exec_lo
	v_cmpx_gt_u32_e32 8, v31
; %bb.1148:                             ;   in Loop: Header=BB281_995 Depth=1
	v_ffbh_u32_e32 v19, v23
	v_min_u32_e32 v19, 32, v19
	v_subrev_nc_u32_e32 v22, 28, v19
	v_sub_nc_u32_e32 v29, 29, v19
	v_lshlrev_b64 v[22:23], v22, v[3:4]
	v_and_b32_e32 v23, 7, v22
; %bb.1149:                             ;   in Loop: Header=BB281_995 Depth=1
	s_or_b32 exec_lo, exec_lo, s21
	v_lshlrev_b32_e32 v3, 8, v3
	v_lshl_add_u32 v19, v29, 10, 0x2000
	v_lshlrev_b32_e32 v22, 7, v23
	v_and_b32_e32 v3, 0x8000, v3
	v_and_b32_e32 v19, 0xfc00, v19
	v_or3_b32 v29, v3, v19, v22
.LBB281_1150:                           ;   in Loop: Header=BB281_995 Depth=1
	s_or_b32 exec_lo, exec_lo, s20
.LBB281_1151:                           ;   in Loop: Header=BB281_995 Depth=1
	s_or_b32 exec_lo, exec_lo, s19
.LBB281_1152:                           ;   in Loop: Header=BB281_995 Depth=1
	s_or_b32 exec_lo, exec_lo, s18
	s_mov_b32 s18, exec_lo
	v_cmpx_lt_u32_e32 0xffffff, v11
	s_cbranch_execz .LBB281_1160
; %bb.1153:                             ;   in Loop: Header=BB281_995 Depth=1
	v_lshrrev_b32_e32 v3, 24, v11
	v_bfrev_b32_e32 v18, 1
	s_mov_b32 s19, exec_lo
	v_cmpx_ne_u32_e32 0x80, v3
	s_cbranch_execz .LBB281_1159
; %bb.1154:                             ;   in Loop: Header=BB281_995 Depth=1
	v_and_b32_e32 v31, 0x7f, v3
	v_mov_b32_e32 v18, 0x7c010000
	s_mov_b32 s20, exec_lo
	v_cmpx_ne_u32_e32 0x7f, v31
	s_cbranch_execz .LBB281_1158
; %bb.1155:                             ;   in Loop: Header=BB281_995 Depth=1
	v_and_b32_e32 v18, 7, v3
	v_lshrrev_b32_e32 v23, 3, v31
	s_mov_b32 s21, exec_lo
	v_cmpx_gt_u32_e32 8, v31
; %bb.1156:                             ;   in Loop: Header=BB281_995 Depth=1
	v_ffbh_u32_e32 v18, v18
	v_min_u32_e32 v22, 32, v18
	v_subrev_nc_u32_e32 v18, 28, v22
	v_sub_nc_u32_e32 v23, 29, v22
	v_lshlrev_b64 v[18:19], v18, v[3:4]
	v_and_b32_e32 v18, 7, v18
; %bb.1157:                             ;   in Loop: Header=BB281_995 Depth=1
	s_or_b32 exec_lo, exec_lo, s21
	v_lshlrev_b32_e32 v3, 8, v3
	v_lshl_add_u32 v19, v23, 10, 0x2000
	v_lshlrev_b32_e32 v18, 23, v18
	v_and_or_b32 v3, 0x8000, v3, v19
	v_lshl_or_b32 v18, v3, 16, v18
.LBB281_1158:                           ;   in Loop: Header=BB281_995 Depth=1
	s_or_b32 exec_lo, exec_lo, s20
.LBB281_1159:                           ;   in Loop: Header=BB281_995 Depth=1
	s_or_b32 exec_lo, exec_lo, s19
.LBB281_1160:                           ;   in Loop: Header=BB281_995 Depth=1
	s_or_b32 exec_lo, exec_lo, s18
	v_mov_b32_e32 v3, v12
	v_cmp_ne_u16_sdwa s4, v12, v4 src0_sel:BYTE_0 src1_sel:DWORD
	v_mov_b32_e32 v31, 0
	v_mov_b32_e32 v23, 0
	s_and_saveexec_b32 s18, s4
	s_cbranch_execz .LBB281_1168
; %bb.1161:                             ;   in Loop: Header=BB281_995 Depth=1
	v_cmp_ne_u16_sdwa s4, v12, v39 src0_sel:BYTE_0 src1_sel:DWORD
	v_mov_b32_e32 v23, 0x8000
	s_and_saveexec_b32 s19, s4
	s_cbranch_execz .LBB281_1167
; %bb.1162:                             ;   in Loop: Header=BB281_995 Depth=1
	v_and_b32_e32 v33, 0x7f, v12
	v_mov_b32_e32 v23, 0x7c01
	s_mov_b32 s20, exec_lo
	v_cmpx_ne_u32_e32 0x7f, v33
	s_cbranch_execz .LBB281_1166
; %bb.1163:                             ;   in Loop: Header=BB281_995 Depth=1
	v_and_b32_e32 v23, 7, v12
	v_lshrrev_b32_e32 v32, 3, v33
	s_mov_b32 s21, exec_lo
	v_cmpx_gt_u32_e32 8, v33
; %bb.1164:                             ;   in Loop: Header=BB281_995 Depth=1
	v_ffbh_u32_e32 v19, v23
	v_min_u32_e32 v19, 32, v19
	v_subrev_nc_u32_e32 v22, 28, v19
	v_sub_nc_u32_e32 v32, 29, v19
	v_lshlrev_b64 v[22:23], v22, v[3:4]
	v_and_b32_e32 v23, 7, v22
; %bb.1165:                             ;   in Loop: Header=BB281_995 Depth=1
	s_or_b32 exec_lo, exec_lo, s21
	v_lshlrev_b32_e32 v19, 8, v12
	v_lshl_add_u32 v22, v32, 10, 0x2000
	v_lshlrev_b32_e32 v23, 7, v23
	v_and_b32_e32 v19, 0x8000, v19
	v_and_b32_e32 v22, 0xfc00, v22
	v_or3_b32 v23, v19, v22, v23
.LBB281_1166:                           ;   in Loop: Header=BB281_995 Depth=1
	s_or_b32 exec_lo, exec_lo, s20
.LBB281_1167:                           ;   in Loop: Header=BB281_995 Depth=1
	s_or_b32 exec_lo, exec_lo, s19
.LBB281_1168:                           ;   in Loop: Header=BB281_995 Depth=1
	s_or_b32 exec_lo, exec_lo, s18
	v_lshrrev_b16 v3, 8, v3
	v_mov_b32_e32 v32, 0
	s_mov_b32 s18, exec_lo
	v_cmpx_ne_u16_e32 0, v3
	s_cbranch_execz .LBB281_1176
; %bb.1169:                             ;   in Loop: Header=BB281_995 Depth=1
	v_bfrev_b32_e32 v32, 1
	s_mov_b32 s19, exec_lo
	v_cmpx_ne_u16_e32 0x80, v3
	s_cbranch_execz .LBB281_1175
; %bb.1170:                             ;   in Loop: Header=BB281_995 Depth=1
	v_and_b32_sdwa v34, v3, v48 dst_sel:DWORD dst_unused:UNUSED_PAD src0_sel:WORD_0 src1_sel:DWORD
	v_mov_b32_e32 v32, 0x7c010000
	s_mov_b32 s20, exec_lo
	v_cmpx_ne_u32_e32 0x7f, v34
	s_cbranch_execz .LBB281_1174
; %bb.1171:                             ;   in Loop: Header=BB281_995 Depth=1
	v_and_b32_sdwa v32, v3, v65 dst_sel:DWORD dst_unused:UNUSED_PAD src0_sel:WORD_0 src1_sel:DWORD
	v_lshrrev_b32_e32 v33, 3, v34
	s_mov_b32 s21, exec_lo
	v_cmpx_gt_u32_e32 8, v34
; %bb.1172:                             ;   in Loop: Header=BB281_995 Depth=1
	v_ffbh_u32_e32 v19, v32
	v_min_u32_e32 v19, 32, v19
	v_subrev_nc_u32_e32 v22, 28, v19
	v_lshlrev_b64 v[32:33], v22, v[3:4]
	v_sub_nc_u32_e32 v33, 29, v19
	v_and_b32_e32 v32, 7, v32
; %bb.1173:                             ;   in Loop: Header=BB281_995 Depth=1
	s_or_b32 exec_lo, exec_lo, s21
	v_lshlrev_b32_sdwa v3, v66, v3 dst_sel:DWORD dst_unused:UNUSED_PAD src0_sel:DWORD src1_sel:WORD_0
	v_lshl_add_u32 v19, v33, 10, 0x2000
	v_and_or_b32 v3, 0x8000, v3, v19
	v_lshlrev_b32_e32 v19, 23, v32
	v_lshl_or_b32 v32, v3, 16, v19
.LBB281_1174:                           ;   in Loop: Header=BB281_995 Depth=1
	s_or_b32 exec_lo, exec_lo, s20
.LBB281_1175:                           ;   in Loop: Header=BB281_995 Depth=1
	s_or_b32 exec_lo, exec_lo, s19
.LBB281_1176:                           ;   in Loop: Header=BB281_995 Depth=1
	s_or_b32 exec_lo, exec_lo, s18
	v_lshrrev_b32_e32 v3, 16, v12
	v_cmp_ne_u16_sdwa s4, v3, v4 src0_sel:BYTE_0 src1_sel:DWORD
	s_and_saveexec_b32 s18, s4
	s_cbranch_execz .LBB281_1184
; %bb.1177:                             ;   in Loop: Header=BB281_995 Depth=1
	v_cmp_ne_u16_sdwa s4, v3, v39 src0_sel:BYTE_0 src1_sel:DWORD
	v_mov_b32_e32 v31, 0x8000
	s_and_saveexec_b32 s19, s4
	s_cbranch_execz .LBB281_1183
; %bb.1178:                             ;   in Loop: Header=BB281_995 Depth=1
	v_bfe_u32 v34, v12, 16, 7
	v_mov_b32_e32 v31, 0x7c01
	s_mov_b32 s20, exec_lo
	v_cmpx_ne_u32_e32 0x7f, v34
	s_cbranch_execz .LBB281_1182
; %bb.1179:                             ;   in Loop: Header=BB281_995 Depth=1
	v_and_b32_e32 v31, 7, v3
	v_lshrrev_b32_e32 v33, 3, v34
	s_mov_b32 s21, exec_lo
	v_cmpx_gt_u32_e32 8, v34
; %bb.1180:                             ;   in Loop: Header=BB281_995 Depth=1
	v_ffbh_u32_e32 v19, v31
	v_min_u32_e32 v19, 32, v19
	v_subrev_nc_u32_e32 v22, 28, v19
	v_sub_nc_u32_e32 v33, 29, v19
	v_lshlrev_b64 v[34:35], v22, v[3:4]
	v_and_b32_e32 v31, 7, v34
; %bb.1181:                             ;   in Loop: Header=BB281_995 Depth=1
	s_or_b32 exec_lo, exec_lo, s21
	v_lshlrev_b32_e32 v3, 8, v3
	v_lshl_add_u32 v19, v33, 10, 0x2000
	v_lshlrev_b32_e32 v22, 7, v31
	v_and_b32_e32 v3, 0x8000, v3
	v_and_b32_e32 v19, 0xfc00, v19
	v_or3_b32 v31, v3, v19, v22
.LBB281_1182:                           ;   in Loop: Header=BB281_995 Depth=1
	s_or_b32 exec_lo, exec_lo, s20
.LBB281_1183:                           ;   in Loop: Header=BB281_995 Depth=1
	s_or_b32 exec_lo, exec_lo, s19
.LBB281_1184:                           ;   in Loop: Header=BB281_995 Depth=1
	s_or_b32 exec_lo, exec_lo, s18
	v_cmp_lt_u64_e64 s4, s[6:7], v[11:12]
	v_mov_b32_e32 v11, 0
	s_and_saveexec_b32 s18, s4
	s_cbranch_execz .LBB281_1192
; %bb.1185:                             ;   in Loop: Header=BB281_995 Depth=1
	v_lshrrev_b32_e32 v3, 24, v12
	v_bfrev_b32_e32 v11, 1
	s_mov_b32 s19, exec_lo
	v_cmpx_ne_u32_e32 0x80, v3
	s_cbranch_execz .LBB281_1191
; %bb.1186:                             ;   in Loop: Header=BB281_995 Depth=1
	v_and_b32_e32 v33, 0x7f, v3
	v_mov_b32_e32 v11, 0x7c010000
	s_mov_b32 s20, exec_lo
	v_cmpx_ne_u32_e32 0x7f, v33
	s_cbranch_execz .LBB281_1190
; %bb.1187:                             ;   in Loop: Header=BB281_995 Depth=1
	v_and_b32_e32 v11, 7, v3
	v_lshrrev_b32_e32 v12, 3, v33
	s_mov_b32 s21, exec_lo
	v_cmpx_gt_u32_e32 8, v33
; %bb.1188:                             ;   in Loop: Header=BB281_995 Depth=1
	v_ffbh_u32_e32 v11, v11
	v_min_u32_e32 v19, 32, v11
	v_subrev_nc_u32_e32 v11, 28, v19
	v_lshlrev_b64 v[11:12], v11, v[3:4]
	v_sub_nc_u32_e32 v12, 29, v19
	v_and_b32_e32 v11, 7, v11
; %bb.1189:                             ;   in Loop: Header=BB281_995 Depth=1
	s_or_b32 exec_lo, exec_lo, s21
	v_lshlrev_b32_e32 v3, 8, v3
	v_lshl_add_u32 v12, v12, 10, 0x2000
	v_lshlrev_b32_e32 v11, 23, v11
	v_and_or_b32 v3, 0x8000, v3, v12
	v_lshl_or_b32 v11, v3, 16, v11
.LBB281_1190:                           ;   in Loop: Header=BB281_995 Depth=1
	s_or_b32 exec_lo, exec_lo, s20
.LBB281_1191:                           ;   in Loop: Header=BB281_995 Depth=1
	s_or_b32 exec_lo, exec_lo, s19
.LBB281_1192:                           ;   in Loop: Header=BB281_995 Depth=1
	s_or_b32 exec_lo, exec_lo, s18
	v_or_b32_e32 v3, v18, v29
	s_waitcnt vmcnt(0) lgkmcnt(0)
	v_fma_mixlo_f16 v12, v0, v18, 0 op_sel:[0,1,0] op_sel_hi:[0,1,0]
	v_or_b32_e32 v2, v1, v2
	v_fma_mixlo_f16 v18, v0, v1, 0 op_sel:[0,1,0] op_sel_hi:[0,1,0]
	v_or_b32_e32 v19, v32, v23
	v_fma_mixlo_f16 v3, v0, v3, 0 op_sel_hi:[0,1,0]
	v_or_b32_e32 v22, v11, v31
	v_lshlrev_b32_e32 v1, 16, v12
	v_lshlrev_b32_e32 v12, 16, v18
	v_fma_mixlo_f16 v18, v0, v2, 0 op_sel_hi:[0,1,0]
	v_and_b32_e32 v2, 0xffff, v3
	v_fma_mixlo_f16 v3, v0, v32, 0 op_sel:[0,1,0] op_sel_hi:[0,1,0]
	v_fma_mixlo_f16 v19, v0, v19, 0 op_sel_hi:[0,1,0]
	v_fma_mixlo_f16 v11, v0, v11, 0 op_sel:[0,1,0] op_sel_hi:[0,1,0]
	v_fma_mixlo_f16 v22, v0, v22, 0 op_sel_hi:[0,1,0]
	v_and_b32_e32 v33, 0xffff, v18
	v_lshlrev_b32_e32 v3, 16, v3
	v_and_b32_e32 v23, 0xffff, v19
	v_lshlrev_b32_e32 v0, 16, v11
	v_and_b32_e32 v11, 0xffff, v22
	v_or_b32_e32 v18, v1, v2
	v_or_b32_e32 v32, v12, v33
	;; [unrolled: 1-line block ×4, first 2 shown]
	s_and_saveexec_b32 s18, vcc_lo
	s_cbranch_execz .LBB281_1194
; %bb.1193:                             ;   in Loop: Header=BB281_995 Depth=1
	v_cmp_lt_i32_e64 s4, v70, v30
	v_cndmask_b32_e64 v18, 0, v33, s4
	v_cmp_lt_i32_e64 s4, v99, v30
	v_cndmask_b32_e64 v12, 0, v12, s4
	v_cmp_lt_i32_e64 s4, v98, v30
	v_or_b32_e32 v32, v18, v12
	v_cndmask_b32_e64 v2, 0, v2, s4
	v_cmp_lt_i32_e64 s4, v97, v30
	v_cndmask_b32_e64 v1, 0, v1, s4
	v_cmp_lt_i32_e64 s4, v96, v30
	v_or_b32_e32 v18, v2, v1
	;; [unrolled: 5-line block ×3, first 2 shown]
	v_cndmask_b32_e64 v11, 0, v11, s4
	v_cmp_lt_i32_e64 s4, v85, v30
	v_cndmask_b32_e64 v0, 0, v0, s4
	v_or_b32_e32 v29, v11, v0
.LBB281_1194:                           ;   in Loop: Header=BB281_995 Depth=1
	s_or_b32 exec_lo, exec_lo, s18
	;;#ASMSTART
	v_pk_mul_f16 v0, v84, v32;

	;;#ASMEND
	;;#ASMSTART
	v_pk_mul_f16 v1, v83, v18;

	;;#ASMEND
	;;#ASMSTART
	v_pk_mul_f16 v2, v82, v31;

	;;#ASMEND
	;;#ASMSTART
	v_pk_mul_f16 v3, v81, v29;

	;;#ASMEND
	;;#ASMSTART
	v_pk_add_f16 v0, v0, v1;

	;;#ASMEND
	;;#ASMSTART
	v_pk_add_f16 v0, v0, v2;

	;;#ASMEND
	;; [unrolled: 4-line block ×3, first 2 shown]
	v_and_b32_e32 v1, 0xffff, v0
	v_lshrrev_b32_e32 v0, 16, v0
	;;#ASMSTART
	v_cvt_f32_f16 v102, v1;
	;;#ASMEND
	;;#ASMSTART
	v_cvt_f32_f16 v103, v0;
	;;#ASMEND
	flat_load_dwordx2 v[11:12], v[9:10] offset:768
	s_clause 0x1
	buffer_load_dword v0, off, s[0:3], s32 offset:192
	buffer_load_dword v1, off, s[0:3], s32 offset:196
	v_mov_b32_e32 v2, 0
	s_waitcnt vmcnt(2) lgkmcnt(0)
	v_cmp_ne_u16_sdwa s4, v11, v4 src0_sel:BYTE_0 src1_sel:DWORD
	s_waitcnt vmcnt(0)
	flat_load_dword v0, v[0:1]
	v_mov_b32_e32 v1, 0
	s_and_saveexec_b32 s18, s4
	s_cbranch_execz .LBB281_1202
; %bb.1195:                             ;   in Loop: Header=BB281_995 Depth=1
	v_cmp_ne_u16_sdwa s4, v11, v39 src0_sel:BYTE_0 src1_sel:DWORD
	v_mov_b32_e32 v2, 0x8000
	s_and_saveexec_b32 s19, s4
	s_cbranch_execz .LBB281_1201
; %bb.1196:                             ;   in Loop: Header=BB281_995 Depth=1
	v_and_b32_e32 v18, 0x7f, v11
	v_mov_b32_e32 v2, 0x7c01
	s_mov_b32 s20, exec_lo
	v_cmpx_ne_u32_e32 0x7f, v18
	s_cbranch_execz .LBB281_1200
; %bb.1197:                             ;   in Loop: Header=BB281_995 Depth=1
	v_and_b32_e32 v2, 7, v11
	v_lshrrev_b32_e32 v3, 3, v18
	s_mov_b32 s21, exec_lo
	v_cmpx_gt_u32_e32 8, v18
; %bb.1198:                             ;   in Loop: Header=BB281_995 Depth=1
	v_ffbh_u32_e32 v2, v2
	v_min_u32_e32 v18, 32, v2
	v_subrev_nc_u32_e32 v2, 28, v18
	v_lshlrev_b64 v[2:3], v2, v[11:12]
	v_sub_nc_u32_e32 v3, 29, v18
	v_and_b32_e32 v2, 7, v2
; %bb.1199:                             ;   in Loop: Header=BB281_995 Depth=1
	s_or_b32 exec_lo, exec_lo, s21
	v_lshlrev_b32_e32 v18, 8, v11
	v_lshl_add_u32 v3, v3, 10, 0x2000
	v_lshlrev_b32_e32 v2, 7, v2
	v_and_b32_e32 v18, 0x8000, v18
	v_and_b32_e32 v3, 0xfc00, v3
	v_or3_b32 v2, v18, v3, v2
.LBB281_1200:                           ;   in Loop: Header=BB281_995 Depth=1
	s_or_b32 exec_lo, exec_lo, s20
.LBB281_1201:                           ;   in Loop: Header=BB281_995 Depth=1
	s_or_b32 exec_lo, exec_lo, s19
.LBB281_1202:                           ;   in Loop: Header=BB281_995 Depth=1
	s_or_b32 exec_lo, exec_lo, s18
	v_lshrrev_b16 v3, 8, v11
	s_mov_b32 s18, exec_lo
	v_cmpx_ne_u16_e32 0, v3
	s_cbranch_execz .LBB281_1210
; %bb.1203:                             ;   in Loop: Header=BB281_995 Depth=1
	v_bfrev_b32_e32 v1, 1
	s_mov_b32 s19, exec_lo
	v_cmpx_ne_u16_e32 0x80, v3
	s_cbranch_execz .LBB281_1209
; %bb.1204:                             ;   in Loop: Header=BB281_995 Depth=1
	v_and_b32_sdwa v23, v3, v48 dst_sel:DWORD dst_unused:UNUSED_PAD src0_sel:WORD_0 src1_sel:DWORD
	v_mov_b32_e32 v1, 0x7c010000
	s_mov_b32 s20, exec_lo
	v_cmpx_ne_u32_e32 0x7f, v23
	s_cbranch_execz .LBB281_1208
; %bb.1205:                             ;   in Loop: Header=BB281_995 Depth=1
	v_and_b32_sdwa v1, v3, v65 dst_sel:DWORD dst_unused:UNUSED_PAD src0_sel:WORD_0 src1_sel:DWORD
	v_lshrrev_b32_e32 v18, 3, v23
	s_mov_b32 s21, exec_lo
	v_cmpx_gt_u32_e32 8, v23
; %bb.1206:                             ;   in Loop: Header=BB281_995 Depth=1
	v_ffbh_u32_e32 v1, v1
	v_min_u32_e32 v1, 32, v1
	v_subrev_nc_u32_e32 v18, 28, v1
	v_lshlrev_b64 v[22:23], v18, v[3:4]
	v_sub_nc_u32_e32 v18, 29, v1
	v_and_b32_e32 v1, 7, v22
; %bb.1207:                             ;   in Loop: Header=BB281_995 Depth=1
	s_or_b32 exec_lo, exec_lo, s21
	v_lshlrev_b32_sdwa v3, v66, v3 dst_sel:DWORD dst_unused:UNUSED_PAD src0_sel:DWORD src1_sel:WORD_0
	v_lshl_add_u32 v18, v18, 10, 0x2000
	v_lshlrev_b32_e32 v1, 23, v1
	v_and_or_b32 v3, 0x8000, v3, v18
	v_lshl_or_b32 v1, v3, 16, v1
.LBB281_1208:                           ;   in Loop: Header=BB281_995 Depth=1
	s_or_b32 exec_lo, exec_lo, s20
.LBB281_1209:                           ;   in Loop: Header=BB281_995 Depth=1
	s_or_b32 exec_lo, exec_lo, s19
.LBB281_1210:                           ;   in Loop: Header=BB281_995 Depth=1
	s_or_b32 exec_lo, exec_lo, s18
	v_lshrrev_b32_e32 v3, 16, v11
	v_mov_b32_e32 v18, 0
	v_mov_b32_e32 v29, 0
	v_cmp_ne_u16_sdwa s4, v3, v4 src0_sel:BYTE_0 src1_sel:DWORD
	s_and_saveexec_b32 s18, s4
	s_cbranch_execz .LBB281_1218
; %bb.1211:                             ;   in Loop: Header=BB281_995 Depth=1
	v_cmp_ne_u16_sdwa s4, v3, v39 src0_sel:BYTE_0 src1_sel:DWORD
	v_mov_b32_e32 v29, 0x8000
	s_and_saveexec_b32 s19, s4
	s_cbranch_execz .LBB281_1217
; %bb.1212:                             ;   in Loop: Header=BB281_995 Depth=1
	v_bfe_u32 v31, v11, 16, 7
	v_mov_b32_e32 v29, 0x7c01
	s_mov_b32 s20, exec_lo
	v_cmpx_ne_u32_e32 0x7f, v31
	s_cbranch_execz .LBB281_1216
; %bb.1213:                             ;   in Loop: Header=BB281_995 Depth=1
	v_and_b32_e32 v23, 7, v3
	v_lshrrev_b32_e32 v29, 3, v31
	s_mov_b32 s21, exec_lo
	v_cmpx_gt_u32_e32 8, v31
; %bb.1214:                             ;   in Loop: Header=BB281_995 Depth=1
	v_ffbh_u32_e32 v19, v23
	v_min_u32_e32 v19, 32, v19
	v_subrev_nc_u32_e32 v22, 28, v19
	v_sub_nc_u32_e32 v29, 29, v19
	v_lshlrev_b64 v[22:23], v22, v[3:4]
	v_and_b32_e32 v23, 7, v22
; %bb.1215:                             ;   in Loop: Header=BB281_995 Depth=1
	s_or_b32 exec_lo, exec_lo, s21
	v_lshlrev_b32_e32 v3, 8, v3
	v_lshl_add_u32 v19, v29, 10, 0x2000
	v_lshlrev_b32_e32 v22, 7, v23
	v_and_b32_e32 v3, 0x8000, v3
	v_and_b32_e32 v19, 0xfc00, v19
	v_or3_b32 v29, v3, v19, v22
.LBB281_1216:                           ;   in Loop: Header=BB281_995 Depth=1
	s_or_b32 exec_lo, exec_lo, s20
.LBB281_1217:                           ;   in Loop: Header=BB281_995 Depth=1
	s_or_b32 exec_lo, exec_lo, s19
.LBB281_1218:                           ;   in Loop: Header=BB281_995 Depth=1
	s_or_b32 exec_lo, exec_lo, s18
	s_mov_b32 s18, exec_lo
	v_cmpx_lt_u32_e32 0xffffff, v11
	s_cbranch_execz .LBB281_1226
; %bb.1219:                             ;   in Loop: Header=BB281_995 Depth=1
	v_lshrrev_b32_e32 v3, 24, v11
	v_bfrev_b32_e32 v18, 1
	s_mov_b32 s19, exec_lo
	v_cmpx_ne_u32_e32 0x80, v3
	s_cbranch_execz .LBB281_1225
; %bb.1220:                             ;   in Loop: Header=BB281_995 Depth=1
	v_and_b32_e32 v31, 0x7f, v3
	v_mov_b32_e32 v18, 0x7c010000
	s_mov_b32 s20, exec_lo
	v_cmpx_ne_u32_e32 0x7f, v31
	s_cbranch_execz .LBB281_1224
; %bb.1221:                             ;   in Loop: Header=BB281_995 Depth=1
	v_and_b32_e32 v18, 7, v3
	v_lshrrev_b32_e32 v23, 3, v31
	s_mov_b32 s21, exec_lo
	v_cmpx_gt_u32_e32 8, v31
; %bb.1222:                             ;   in Loop: Header=BB281_995 Depth=1
	v_ffbh_u32_e32 v18, v18
	v_min_u32_e32 v22, 32, v18
	v_subrev_nc_u32_e32 v18, 28, v22
	v_sub_nc_u32_e32 v23, 29, v22
	v_lshlrev_b64 v[18:19], v18, v[3:4]
	v_and_b32_e32 v18, 7, v18
; %bb.1223:                             ;   in Loop: Header=BB281_995 Depth=1
	s_or_b32 exec_lo, exec_lo, s21
	v_lshlrev_b32_e32 v3, 8, v3
	v_lshl_add_u32 v19, v23, 10, 0x2000
	v_lshlrev_b32_e32 v18, 23, v18
	v_and_or_b32 v3, 0x8000, v3, v19
	v_lshl_or_b32 v18, v3, 16, v18
.LBB281_1224:                           ;   in Loop: Header=BB281_995 Depth=1
	s_or_b32 exec_lo, exec_lo, s20
.LBB281_1225:                           ;   in Loop: Header=BB281_995 Depth=1
	s_or_b32 exec_lo, exec_lo, s19
.LBB281_1226:                           ;   in Loop: Header=BB281_995 Depth=1
	s_or_b32 exec_lo, exec_lo, s18
	v_mov_b32_e32 v3, v12
	v_cmp_ne_u16_sdwa s4, v12, v4 src0_sel:BYTE_0 src1_sel:DWORD
	v_mov_b32_e32 v31, 0
	v_mov_b32_e32 v23, 0
	s_and_saveexec_b32 s18, s4
	s_cbranch_execz .LBB281_1234
; %bb.1227:                             ;   in Loop: Header=BB281_995 Depth=1
	v_cmp_ne_u16_sdwa s4, v12, v39 src0_sel:BYTE_0 src1_sel:DWORD
	v_mov_b32_e32 v23, 0x8000
	s_and_saveexec_b32 s19, s4
	s_cbranch_execz .LBB281_1233
; %bb.1228:                             ;   in Loop: Header=BB281_995 Depth=1
	v_and_b32_e32 v33, 0x7f, v12
	v_mov_b32_e32 v23, 0x7c01
	s_mov_b32 s20, exec_lo
	v_cmpx_ne_u32_e32 0x7f, v33
	s_cbranch_execz .LBB281_1232
; %bb.1229:                             ;   in Loop: Header=BB281_995 Depth=1
	v_and_b32_e32 v23, 7, v12
	v_lshrrev_b32_e32 v32, 3, v33
	s_mov_b32 s21, exec_lo
	v_cmpx_gt_u32_e32 8, v33
; %bb.1230:                             ;   in Loop: Header=BB281_995 Depth=1
	v_ffbh_u32_e32 v19, v23
	v_min_u32_e32 v19, 32, v19
	v_subrev_nc_u32_e32 v22, 28, v19
	v_sub_nc_u32_e32 v32, 29, v19
	v_lshlrev_b64 v[22:23], v22, v[3:4]
	v_and_b32_e32 v23, 7, v22
; %bb.1231:                             ;   in Loop: Header=BB281_995 Depth=1
	s_or_b32 exec_lo, exec_lo, s21
	v_lshlrev_b32_e32 v19, 8, v12
	v_lshl_add_u32 v22, v32, 10, 0x2000
	v_lshlrev_b32_e32 v23, 7, v23
	v_and_b32_e32 v19, 0x8000, v19
	v_and_b32_e32 v22, 0xfc00, v22
	v_or3_b32 v23, v19, v22, v23
.LBB281_1232:                           ;   in Loop: Header=BB281_995 Depth=1
	s_or_b32 exec_lo, exec_lo, s20
.LBB281_1233:                           ;   in Loop: Header=BB281_995 Depth=1
	s_or_b32 exec_lo, exec_lo, s19
.LBB281_1234:                           ;   in Loop: Header=BB281_995 Depth=1
	s_or_b32 exec_lo, exec_lo, s18
	v_lshrrev_b16 v3, 8, v3
	v_mov_b32_e32 v32, 0
	s_mov_b32 s18, exec_lo
	v_cmpx_ne_u16_e32 0, v3
	s_cbranch_execz .LBB281_1242
; %bb.1235:                             ;   in Loop: Header=BB281_995 Depth=1
	v_bfrev_b32_e32 v32, 1
	s_mov_b32 s19, exec_lo
	v_cmpx_ne_u16_e32 0x80, v3
	s_cbranch_execz .LBB281_1241
; %bb.1236:                             ;   in Loop: Header=BB281_995 Depth=1
	v_and_b32_sdwa v34, v3, v48 dst_sel:DWORD dst_unused:UNUSED_PAD src0_sel:WORD_0 src1_sel:DWORD
	v_mov_b32_e32 v32, 0x7c010000
	s_mov_b32 s20, exec_lo
	v_cmpx_ne_u32_e32 0x7f, v34
	s_cbranch_execz .LBB281_1240
; %bb.1237:                             ;   in Loop: Header=BB281_995 Depth=1
	v_and_b32_sdwa v32, v3, v65 dst_sel:DWORD dst_unused:UNUSED_PAD src0_sel:WORD_0 src1_sel:DWORD
	v_lshrrev_b32_e32 v33, 3, v34
	s_mov_b32 s21, exec_lo
	v_cmpx_gt_u32_e32 8, v34
; %bb.1238:                             ;   in Loop: Header=BB281_995 Depth=1
	v_ffbh_u32_e32 v19, v32
	v_min_u32_e32 v19, 32, v19
	v_subrev_nc_u32_e32 v22, 28, v19
	v_lshlrev_b64 v[32:33], v22, v[3:4]
	v_sub_nc_u32_e32 v33, 29, v19
	v_and_b32_e32 v32, 7, v32
; %bb.1239:                             ;   in Loop: Header=BB281_995 Depth=1
	s_or_b32 exec_lo, exec_lo, s21
	v_lshlrev_b32_sdwa v3, v66, v3 dst_sel:DWORD dst_unused:UNUSED_PAD src0_sel:DWORD src1_sel:WORD_0
	v_lshl_add_u32 v19, v33, 10, 0x2000
	v_and_or_b32 v3, 0x8000, v3, v19
	v_lshlrev_b32_e32 v19, 23, v32
	v_lshl_or_b32 v32, v3, 16, v19
.LBB281_1240:                           ;   in Loop: Header=BB281_995 Depth=1
	s_or_b32 exec_lo, exec_lo, s20
.LBB281_1241:                           ;   in Loop: Header=BB281_995 Depth=1
	s_or_b32 exec_lo, exec_lo, s19
.LBB281_1242:                           ;   in Loop: Header=BB281_995 Depth=1
	s_or_b32 exec_lo, exec_lo, s18
	v_lshrrev_b32_e32 v3, 16, v12
	v_cmp_ne_u16_sdwa s4, v3, v4 src0_sel:BYTE_0 src1_sel:DWORD
	s_and_saveexec_b32 s18, s4
	s_cbranch_execz .LBB281_1250
; %bb.1243:                             ;   in Loop: Header=BB281_995 Depth=1
	v_cmp_ne_u16_sdwa s4, v3, v39 src0_sel:BYTE_0 src1_sel:DWORD
	v_mov_b32_e32 v31, 0x8000
	s_and_saveexec_b32 s19, s4
	s_cbranch_execz .LBB281_1249
; %bb.1244:                             ;   in Loop: Header=BB281_995 Depth=1
	v_bfe_u32 v34, v12, 16, 7
	v_mov_b32_e32 v31, 0x7c01
	s_mov_b32 s20, exec_lo
	v_cmpx_ne_u32_e32 0x7f, v34
	s_cbranch_execz .LBB281_1248
; %bb.1245:                             ;   in Loop: Header=BB281_995 Depth=1
	v_and_b32_e32 v31, 7, v3
	v_lshrrev_b32_e32 v33, 3, v34
	s_mov_b32 s21, exec_lo
	v_cmpx_gt_u32_e32 8, v34
; %bb.1246:                             ;   in Loop: Header=BB281_995 Depth=1
	v_ffbh_u32_e32 v19, v31
	v_min_u32_e32 v19, 32, v19
	v_subrev_nc_u32_e32 v22, 28, v19
	v_sub_nc_u32_e32 v33, 29, v19
	v_lshlrev_b64 v[34:35], v22, v[3:4]
	v_and_b32_e32 v31, 7, v34
; %bb.1247:                             ;   in Loop: Header=BB281_995 Depth=1
	s_or_b32 exec_lo, exec_lo, s21
	v_lshlrev_b32_e32 v3, 8, v3
	v_lshl_add_u32 v19, v33, 10, 0x2000
	v_lshlrev_b32_e32 v22, 7, v31
	v_and_b32_e32 v3, 0x8000, v3
	v_and_b32_e32 v19, 0xfc00, v19
	v_or3_b32 v31, v3, v19, v22
.LBB281_1248:                           ;   in Loop: Header=BB281_995 Depth=1
	s_or_b32 exec_lo, exec_lo, s20
.LBB281_1249:                           ;   in Loop: Header=BB281_995 Depth=1
	s_or_b32 exec_lo, exec_lo, s19
.LBB281_1250:                           ;   in Loop: Header=BB281_995 Depth=1
	s_or_b32 exec_lo, exec_lo, s18
	v_cmp_lt_u64_e64 s4, s[6:7], v[11:12]
	v_mov_b32_e32 v11, 0
	s_and_saveexec_b32 s18, s4
	s_cbranch_execz .LBB281_1258
; %bb.1251:                             ;   in Loop: Header=BB281_995 Depth=1
	v_lshrrev_b32_e32 v3, 24, v12
	v_bfrev_b32_e32 v11, 1
	s_mov_b32 s19, exec_lo
	v_cmpx_ne_u32_e32 0x80, v3
	s_cbranch_execz .LBB281_1257
; %bb.1252:                             ;   in Loop: Header=BB281_995 Depth=1
	v_and_b32_e32 v33, 0x7f, v3
	v_mov_b32_e32 v11, 0x7c010000
	s_mov_b32 s20, exec_lo
	v_cmpx_ne_u32_e32 0x7f, v33
	s_cbranch_execz .LBB281_1256
; %bb.1253:                             ;   in Loop: Header=BB281_995 Depth=1
	v_and_b32_e32 v11, 7, v3
	v_lshrrev_b32_e32 v12, 3, v33
	s_mov_b32 s21, exec_lo
	v_cmpx_gt_u32_e32 8, v33
; %bb.1254:                             ;   in Loop: Header=BB281_995 Depth=1
	v_ffbh_u32_e32 v11, v11
	v_min_u32_e32 v19, 32, v11
	v_subrev_nc_u32_e32 v11, 28, v19
	v_lshlrev_b64 v[11:12], v11, v[3:4]
	v_sub_nc_u32_e32 v12, 29, v19
	v_and_b32_e32 v11, 7, v11
; %bb.1255:                             ;   in Loop: Header=BB281_995 Depth=1
	s_or_b32 exec_lo, exec_lo, s21
	v_lshlrev_b32_e32 v3, 8, v3
	v_lshl_add_u32 v12, v12, 10, 0x2000
	v_lshlrev_b32_e32 v11, 23, v11
	v_and_or_b32 v3, 0x8000, v3, v12
	v_lshl_or_b32 v11, v3, 16, v11
.LBB281_1256:                           ;   in Loop: Header=BB281_995 Depth=1
	s_or_b32 exec_lo, exec_lo, s20
.LBB281_1257:                           ;   in Loop: Header=BB281_995 Depth=1
	s_or_b32 exec_lo, exec_lo, s19
.LBB281_1258:                           ;   in Loop: Header=BB281_995 Depth=1
	s_or_b32 exec_lo, exec_lo, s18
	v_or_b32_e32 v3, v18, v29
	s_waitcnt vmcnt(0) lgkmcnt(0)
	v_fma_mixlo_f16 v12, v0, v18, 0 op_sel:[0,1,0] op_sel_hi:[0,1,0]
	v_or_b32_e32 v2, v1, v2
	v_fma_mixlo_f16 v18, v0, v1, 0 op_sel:[0,1,0] op_sel_hi:[0,1,0]
	v_or_b32_e32 v19, v32, v23
	v_fma_mixlo_f16 v3, v0, v3, 0 op_sel_hi:[0,1,0]
	v_or_b32_e32 v22, v11, v31
	v_lshlrev_b32_e32 v1, 16, v12
	v_lshlrev_b32_e32 v12, 16, v18
	v_fma_mixlo_f16 v18, v0, v2, 0 op_sel_hi:[0,1,0]
	v_and_b32_e32 v2, 0xffff, v3
	v_fma_mixlo_f16 v3, v0, v32, 0 op_sel:[0,1,0] op_sel_hi:[0,1,0]
	v_fma_mixlo_f16 v19, v0, v19, 0 op_sel_hi:[0,1,0]
	v_fma_mixlo_f16 v11, v0, v11, 0 op_sel:[0,1,0] op_sel_hi:[0,1,0]
	v_fma_mixlo_f16 v22, v0, v22, 0 op_sel_hi:[0,1,0]
	v_and_b32_e32 v33, 0xffff, v18
	v_lshlrev_b32_e32 v3, 16, v3
	v_and_b32_e32 v23, 0xffff, v19
	v_lshlrev_b32_e32 v0, 16, v11
	v_and_b32_e32 v11, 0xffff, v22
	v_or_b32_e32 v18, v1, v2
	v_or_b32_e32 v32, v12, v33
	;; [unrolled: 1-line block ×4, first 2 shown]
	s_and_saveexec_b32 s18, vcc_lo
	s_cbranch_execz .LBB281_1260
; %bb.1259:                             ;   in Loop: Header=BB281_995 Depth=1
	v_cmp_lt_i32_e64 s4, v70, v30
	v_cndmask_b32_e64 v18, 0, v33, s4
	v_cmp_lt_i32_e64 s4, v99, v30
	v_cndmask_b32_e64 v12, 0, v12, s4
	v_cmp_lt_i32_e64 s4, v98, v30
	v_or_b32_e32 v32, v18, v12
	v_cndmask_b32_e64 v2, 0, v2, s4
	v_cmp_lt_i32_e64 s4, v97, v30
	v_cndmask_b32_e64 v1, 0, v1, s4
	v_cmp_lt_i32_e64 s4, v96, v30
	v_or_b32_e32 v18, v2, v1
	;; [unrolled: 5-line block ×3, first 2 shown]
	v_cndmask_b32_e64 v11, 0, v11, s4
	v_cmp_lt_i32_e64 s4, v85, v30
	v_cndmask_b32_e64 v0, 0, v0, s4
	v_or_b32_e32 v29, v11, v0
.LBB281_1260:                           ;   in Loop: Header=BB281_995 Depth=1
	s_or_b32 exec_lo, exec_lo, s18
	;;#ASMSTART
	v_pk_mul_f16 v0, v84, v32;

	;;#ASMEND
	;;#ASMSTART
	v_pk_mul_f16 v1, v83, v18;

	;;#ASMEND
	;; [unrolled: 4-line block ×4, first 2 shown]
	;;#ASMSTART
	v_pk_add_f16 v0, v0, v1;

	;;#ASMEND
	;;#ASMSTART
	v_pk_add_f16 v0, v0, v2;

	;;#ASMEND
	;; [unrolled: 4-line block ×3, first 2 shown]
	v_and_b32_e32 v1, 0xffff, v0
	v_lshrrev_b32_e32 v0, 16, v0
	;;#ASMSTART
	v_cvt_f32_f16 v112, v1;
	;;#ASMEND
	;;#ASMSTART
	v_cvt_f32_f16 v113, v0;
	;;#ASMEND
	flat_load_dwordx2 v[11:12], v[9:10] offset:1024
	s_clause 0x1
	buffer_load_dword v0, off, s[0:3], s32 offset:192
	buffer_load_dword v1, off, s[0:3], s32 offset:196
	v_mov_b32_e32 v2, 0
	s_waitcnt vmcnt(2) lgkmcnt(0)
	v_cmp_ne_u16_sdwa s4, v11, v4 src0_sel:BYTE_0 src1_sel:DWORD
	s_waitcnt vmcnt(0)
	flat_load_dword v0, v[0:1]
	v_mov_b32_e32 v1, 0
	s_and_saveexec_b32 s18, s4
	s_cbranch_execz .LBB281_1268
; %bb.1261:                             ;   in Loop: Header=BB281_995 Depth=1
	v_cmp_ne_u16_sdwa s4, v11, v39 src0_sel:BYTE_0 src1_sel:DWORD
	v_mov_b32_e32 v2, 0x8000
	s_and_saveexec_b32 s19, s4
	s_cbranch_execz .LBB281_1267
; %bb.1262:                             ;   in Loop: Header=BB281_995 Depth=1
	v_and_b32_e32 v18, 0x7f, v11
	v_mov_b32_e32 v2, 0x7c01
	s_mov_b32 s20, exec_lo
	v_cmpx_ne_u32_e32 0x7f, v18
	s_cbranch_execz .LBB281_1266
; %bb.1263:                             ;   in Loop: Header=BB281_995 Depth=1
	v_and_b32_e32 v2, 7, v11
	v_lshrrev_b32_e32 v3, 3, v18
	s_mov_b32 s21, exec_lo
	v_cmpx_gt_u32_e32 8, v18
; %bb.1264:                             ;   in Loop: Header=BB281_995 Depth=1
	v_ffbh_u32_e32 v2, v2
	v_min_u32_e32 v18, 32, v2
	v_subrev_nc_u32_e32 v2, 28, v18
	v_lshlrev_b64 v[2:3], v2, v[11:12]
	v_sub_nc_u32_e32 v3, 29, v18
	v_and_b32_e32 v2, 7, v2
; %bb.1265:                             ;   in Loop: Header=BB281_995 Depth=1
	s_or_b32 exec_lo, exec_lo, s21
	v_lshlrev_b32_e32 v18, 8, v11
	v_lshl_add_u32 v3, v3, 10, 0x2000
	v_lshlrev_b32_e32 v2, 7, v2
	v_and_b32_e32 v18, 0x8000, v18
	v_and_b32_e32 v3, 0xfc00, v3
	v_or3_b32 v2, v18, v3, v2
.LBB281_1266:                           ;   in Loop: Header=BB281_995 Depth=1
	s_or_b32 exec_lo, exec_lo, s20
.LBB281_1267:                           ;   in Loop: Header=BB281_995 Depth=1
	s_or_b32 exec_lo, exec_lo, s19
.LBB281_1268:                           ;   in Loop: Header=BB281_995 Depth=1
	s_or_b32 exec_lo, exec_lo, s18
	v_lshrrev_b16 v3, 8, v11
	s_mov_b32 s18, exec_lo
	v_cmpx_ne_u16_e32 0, v3
	s_cbranch_execz .LBB281_1276
; %bb.1269:                             ;   in Loop: Header=BB281_995 Depth=1
	v_bfrev_b32_e32 v1, 1
	s_mov_b32 s19, exec_lo
	v_cmpx_ne_u16_e32 0x80, v3
	s_cbranch_execz .LBB281_1275
; %bb.1270:                             ;   in Loop: Header=BB281_995 Depth=1
	v_and_b32_sdwa v23, v3, v48 dst_sel:DWORD dst_unused:UNUSED_PAD src0_sel:WORD_0 src1_sel:DWORD
	v_mov_b32_e32 v1, 0x7c010000
	s_mov_b32 s20, exec_lo
	v_cmpx_ne_u32_e32 0x7f, v23
	s_cbranch_execz .LBB281_1274
; %bb.1271:                             ;   in Loop: Header=BB281_995 Depth=1
	v_and_b32_sdwa v1, v3, v65 dst_sel:DWORD dst_unused:UNUSED_PAD src0_sel:WORD_0 src1_sel:DWORD
	v_lshrrev_b32_e32 v18, 3, v23
	s_mov_b32 s21, exec_lo
	v_cmpx_gt_u32_e32 8, v23
; %bb.1272:                             ;   in Loop: Header=BB281_995 Depth=1
	v_ffbh_u32_e32 v1, v1
	v_min_u32_e32 v1, 32, v1
	v_subrev_nc_u32_e32 v18, 28, v1
	v_lshlrev_b64 v[22:23], v18, v[3:4]
	v_sub_nc_u32_e32 v18, 29, v1
	v_and_b32_e32 v1, 7, v22
; %bb.1273:                             ;   in Loop: Header=BB281_995 Depth=1
	s_or_b32 exec_lo, exec_lo, s21
	v_lshlrev_b32_sdwa v3, v66, v3 dst_sel:DWORD dst_unused:UNUSED_PAD src0_sel:DWORD src1_sel:WORD_0
	v_lshl_add_u32 v18, v18, 10, 0x2000
	v_lshlrev_b32_e32 v1, 23, v1
	v_and_or_b32 v3, 0x8000, v3, v18
	v_lshl_or_b32 v1, v3, 16, v1
.LBB281_1274:                           ;   in Loop: Header=BB281_995 Depth=1
	s_or_b32 exec_lo, exec_lo, s20
.LBB281_1275:                           ;   in Loop: Header=BB281_995 Depth=1
	s_or_b32 exec_lo, exec_lo, s19
.LBB281_1276:                           ;   in Loop: Header=BB281_995 Depth=1
	s_or_b32 exec_lo, exec_lo, s18
	v_lshrrev_b32_e32 v3, 16, v11
	v_mov_b32_e32 v18, 0
	v_mov_b32_e32 v29, 0
	v_cmp_ne_u16_sdwa s4, v3, v4 src0_sel:BYTE_0 src1_sel:DWORD
	s_and_saveexec_b32 s18, s4
	s_cbranch_execz .LBB281_1284
; %bb.1277:                             ;   in Loop: Header=BB281_995 Depth=1
	v_cmp_ne_u16_sdwa s4, v3, v39 src0_sel:BYTE_0 src1_sel:DWORD
	v_mov_b32_e32 v29, 0x8000
	s_and_saveexec_b32 s19, s4
	s_cbranch_execz .LBB281_1283
; %bb.1278:                             ;   in Loop: Header=BB281_995 Depth=1
	v_bfe_u32 v31, v11, 16, 7
	v_mov_b32_e32 v29, 0x7c01
	s_mov_b32 s20, exec_lo
	v_cmpx_ne_u32_e32 0x7f, v31
	s_cbranch_execz .LBB281_1282
; %bb.1279:                             ;   in Loop: Header=BB281_995 Depth=1
	v_and_b32_e32 v23, 7, v3
	v_lshrrev_b32_e32 v29, 3, v31
	s_mov_b32 s21, exec_lo
	v_cmpx_gt_u32_e32 8, v31
; %bb.1280:                             ;   in Loop: Header=BB281_995 Depth=1
	v_ffbh_u32_e32 v19, v23
	v_min_u32_e32 v19, 32, v19
	v_subrev_nc_u32_e32 v22, 28, v19
	v_sub_nc_u32_e32 v29, 29, v19
	v_lshlrev_b64 v[22:23], v22, v[3:4]
	v_and_b32_e32 v23, 7, v22
; %bb.1281:                             ;   in Loop: Header=BB281_995 Depth=1
	s_or_b32 exec_lo, exec_lo, s21
	v_lshlrev_b32_e32 v3, 8, v3
	v_lshl_add_u32 v19, v29, 10, 0x2000
	v_lshlrev_b32_e32 v22, 7, v23
	v_and_b32_e32 v3, 0x8000, v3
	v_and_b32_e32 v19, 0xfc00, v19
	v_or3_b32 v29, v3, v19, v22
.LBB281_1282:                           ;   in Loop: Header=BB281_995 Depth=1
	s_or_b32 exec_lo, exec_lo, s20
.LBB281_1283:                           ;   in Loop: Header=BB281_995 Depth=1
	s_or_b32 exec_lo, exec_lo, s19
.LBB281_1284:                           ;   in Loop: Header=BB281_995 Depth=1
	s_or_b32 exec_lo, exec_lo, s18
	s_mov_b32 s18, exec_lo
	v_cmpx_lt_u32_e32 0xffffff, v11
	s_cbranch_execz .LBB281_1292
; %bb.1285:                             ;   in Loop: Header=BB281_995 Depth=1
	v_lshrrev_b32_e32 v3, 24, v11
	v_bfrev_b32_e32 v18, 1
	s_mov_b32 s19, exec_lo
	v_cmpx_ne_u32_e32 0x80, v3
	s_cbranch_execz .LBB281_1291
; %bb.1286:                             ;   in Loop: Header=BB281_995 Depth=1
	v_and_b32_e32 v31, 0x7f, v3
	v_mov_b32_e32 v18, 0x7c010000
	s_mov_b32 s20, exec_lo
	v_cmpx_ne_u32_e32 0x7f, v31
	s_cbranch_execz .LBB281_1290
; %bb.1287:                             ;   in Loop: Header=BB281_995 Depth=1
	v_and_b32_e32 v18, 7, v3
	v_lshrrev_b32_e32 v23, 3, v31
	s_mov_b32 s21, exec_lo
	v_cmpx_gt_u32_e32 8, v31
; %bb.1288:                             ;   in Loop: Header=BB281_995 Depth=1
	v_ffbh_u32_e32 v18, v18
	v_min_u32_e32 v22, 32, v18
	v_subrev_nc_u32_e32 v18, 28, v22
	v_sub_nc_u32_e32 v23, 29, v22
	v_lshlrev_b64 v[18:19], v18, v[3:4]
	v_and_b32_e32 v18, 7, v18
; %bb.1289:                             ;   in Loop: Header=BB281_995 Depth=1
	s_or_b32 exec_lo, exec_lo, s21
	v_lshlrev_b32_e32 v3, 8, v3
	v_lshl_add_u32 v19, v23, 10, 0x2000
	v_lshlrev_b32_e32 v18, 23, v18
	v_and_or_b32 v3, 0x8000, v3, v19
	v_lshl_or_b32 v18, v3, 16, v18
.LBB281_1290:                           ;   in Loop: Header=BB281_995 Depth=1
	s_or_b32 exec_lo, exec_lo, s20
.LBB281_1291:                           ;   in Loop: Header=BB281_995 Depth=1
	s_or_b32 exec_lo, exec_lo, s19
.LBB281_1292:                           ;   in Loop: Header=BB281_995 Depth=1
	s_or_b32 exec_lo, exec_lo, s18
	v_mov_b32_e32 v3, v12
	v_cmp_ne_u16_sdwa s4, v12, v4 src0_sel:BYTE_0 src1_sel:DWORD
	v_mov_b32_e32 v31, 0
	v_mov_b32_e32 v23, 0
	s_and_saveexec_b32 s18, s4
	s_cbranch_execz .LBB281_1300
; %bb.1293:                             ;   in Loop: Header=BB281_995 Depth=1
	v_cmp_ne_u16_sdwa s4, v12, v39 src0_sel:BYTE_0 src1_sel:DWORD
	v_mov_b32_e32 v23, 0x8000
	s_and_saveexec_b32 s19, s4
	s_cbranch_execz .LBB281_1299
; %bb.1294:                             ;   in Loop: Header=BB281_995 Depth=1
	v_and_b32_e32 v33, 0x7f, v12
	v_mov_b32_e32 v23, 0x7c01
	s_mov_b32 s20, exec_lo
	v_cmpx_ne_u32_e32 0x7f, v33
	s_cbranch_execz .LBB281_1298
; %bb.1295:                             ;   in Loop: Header=BB281_995 Depth=1
	v_and_b32_e32 v23, 7, v12
	v_lshrrev_b32_e32 v32, 3, v33
	s_mov_b32 s21, exec_lo
	v_cmpx_gt_u32_e32 8, v33
; %bb.1296:                             ;   in Loop: Header=BB281_995 Depth=1
	v_ffbh_u32_e32 v19, v23
	v_min_u32_e32 v19, 32, v19
	v_subrev_nc_u32_e32 v22, 28, v19
	v_sub_nc_u32_e32 v32, 29, v19
	v_lshlrev_b64 v[22:23], v22, v[3:4]
	v_and_b32_e32 v23, 7, v22
; %bb.1297:                             ;   in Loop: Header=BB281_995 Depth=1
	s_or_b32 exec_lo, exec_lo, s21
	v_lshlrev_b32_e32 v19, 8, v12
	v_lshl_add_u32 v22, v32, 10, 0x2000
	v_lshlrev_b32_e32 v23, 7, v23
	v_and_b32_e32 v19, 0x8000, v19
	v_and_b32_e32 v22, 0xfc00, v22
	v_or3_b32 v23, v19, v22, v23
.LBB281_1298:                           ;   in Loop: Header=BB281_995 Depth=1
	s_or_b32 exec_lo, exec_lo, s20
.LBB281_1299:                           ;   in Loop: Header=BB281_995 Depth=1
	s_or_b32 exec_lo, exec_lo, s19
.LBB281_1300:                           ;   in Loop: Header=BB281_995 Depth=1
	s_or_b32 exec_lo, exec_lo, s18
	v_lshrrev_b16 v3, 8, v3
	v_mov_b32_e32 v32, 0
	s_mov_b32 s18, exec_lo
	v_cmpx_ne_u16_e32 0, v3
	s_cbranch_execz .LBB281_1308
; %bb.1301:                             ;   in Loop: Header=BB281_995 Depth=1
	v_bfrev_b32_e32 v32, 1
	s_mov_b32 s19, exec_lo
	v_cmpx_ne_u16_e32 0x80, v3
	s_cbranch_execz .LBB281_1307
; %bb.1302:                             ;   in Loop: Header=BB281_995 Depth=1
	v_and_b32_sdwa v34, v3, v48 dst_sel:DWORD dst_unused:UNUSED_PAD src0_sel:WORD_0 src1_sel:DWORD
	v_mov_b32_e32 v32, 0x7c010000
	s_mov_b32 s20, exec_lo
	v_cmpx_ne_u32_e32 0x7f, v34
	s_cbranch_execz .LBB281_1306
; %bb.1303:                             ;   in Loop: Header=BB281_995 Depth=1
	v_and_b32_sdwa v32, v3, v65 dst_sel:DWORD dst_unused:UNUSED_PAD src0_sel:WORD_0 src1_sel:DWORD
	v_lshrrev_b32_e32 v33, 3, v34
	s_mov_b32 s21, exec_lo
	v_cmpx_gt_u32_e32 8, v34
; %bb.1304:                             ;   in Loop: Header=BB281_995 Depth=1
	v_ffbh_u32_e32 v19, v32
	v_min_u32_e32 v19, 32, v19
	v_subrev_nc_u32_e32 v22, 28, v19
	v_lshlrev_b64 v[32:33], v22, v[3:4]
	v_sub_nc_u32_e32 v33, 29, v19
	v_and_b32_e32 v32, 7, v32
; %bb.1305:                             ;   in Loop: Header=BB281_995 Depth=1
	s_or_b32 exec_lo, exec_lo, s21
	v_lshlrev_b32_sdwa v3, v66, v3 dst_sel:DWORD dst_unused:UNUSED_PAD src0_sel:DWORD src1_sel:WORD_0
	v_lshl_add_u32 v19, v33, 10, 0x2000
	v_and_or_b32 v3, 0x8000, v3, v19
	v_lshlrev_b32_e32 v19, 23, v32
	v_lshl_or_b32 v32, v3, 16, v19
.LBB281_1306:                           ;   in Loop: Header=BB281_995 Depth=1
	s_or_b32 exec_lo, exec_lo, s20
.LBB281_1307:                           ;   in Loop: Header=BB281_995 Depth=1
	s_or_b32 exec_lo, exec_lo, s19
.LBB281_1308:                           ;   in Loop: Header=BB281_995 Depth=1
	s_or_b32 exec_lo, exec_lo, s18
	v_lshrrev_b32_e32 v3, 16, v12
	v_cmp_ne_u16_sdwa s4, v3, v4 src0_sel:BYTE_0 src1_sel:DWORD
	s_and_saveexec_b32 s18, s4
	s_cbranch_execz .LBB281_1316
; %bb.1309:                             ;   in Loop: Header=BB281_995 Depth=1
	v_cmp_ne_u16_sdwa s4, v3, v39 src0_sel:BYTE_0 src1_sel:DWORD
	v_mov_b32_e32 v31, 0x8000
	s_and_saveexec_b32 s19, s4
	s_cbranch_execz .LBB281_1315
; %bb.1310:                             ;   in Loop: Header=BB281_995 Depth=1
	v_bfe_u32 v34, v12, 16, 7
	v_mov_b32_e32 v31, 0x7c01
	s_mov_b32 s20, exec_lo
	v_cmpx_ne_u32_e32 0x7f, v34
	s_cbranch_execz .LBB281_1314
; %bb.1311:                             ;   in Loop: Header=BB281_995 Depth=1
	v_and_b32_e32 v31, 7, v3
	v_lshrrev_b32_e32 v33, 3, v34
	s_mov_b32 s21, exec_lo
	v_cmpx_gt_u32_e32 8, v34
; %bb.1312:                             ;   in Loop: Header=BB281_995 Depth=1
	v_ffbh_u32_e32 v19, v31
	v_min_u32_e32 v19, 32, v19
	v_subrev_nc_u32_e32 v22, 28, v19
	v_sub_nc_u32_e32 v33, 29, v19
	v_lshlrev_b64 v[34:35], v22, v[3:4]
	v_and_b32_e32 v31, 7, v34
; %bb.1313:                             ;   in Loop: Header=BB281_995 Depth=1
	s_or_b32 exec_lo, exec_lo, s21
	v_lshlrev_b32_e32 v3, 8, v3
	v_lshl_add_u32 v19, v33, 10, 0x2000
	v_lshlrev_b32_e32 v22, 7, v31
	v_and_b32_e32 v3, 0x8000, v3
	v_and_b32_e32 v19, 0xfc00, v19
	v_or3_b32 v31, v3, v19, v22
.LBB281_1314:                           ;   in Loop: Header=BB281_995 Depth=1
	s_or_b32 exec_lo, exec_lo, s20
.LBB281_1315:                           ;   in Loop: Header=BB281_995 Depth=1
	s_or_b32 exec_lo, exec_lo, s19
.LBB281_1316:                           ;   in Loop: Header=BB281_995 Depth=1
	s_or_b32 exec_lo, exec_lo, s18
	v_cmp_lt_u64_e64 s4, s[6:7], v[11:12]
	v_mov_b32_e32 v11, 0
	s_and_saveexec_b32 s18, s4
	s_cbranch_execz .LBB281_1324
; %bb.1317:                             ;   in Loop: Header=BB281_995 Depth=1
	v_lshrrev_b32_e32 v3, 24, v12
	v_bfrev_b32_e32 v11, 1
	s_mov_b32 s19, exec_lo
	v_cmpx_ne_u32_e32 0x80, v3
	s_cbranch_execz .LBB281_1323
; %bb.1318:                             ;   in Loop: Header=BB281_995 Depth=1
	v_and_b32_e32 v33, 0x7f, v3
	v_mov_b32_e32 v11, 0x7c010000
	s_mov_b32 s20, exec_lo
	v_cmpx_ne_u32_e32 0x7f, v33
	s_cbranch_execz .LBB281_1322
; %bb.1319:                             ;   in Loop: Header=BB281_995 Depth=1
	v_and_b32_e32 v11, 7, v3
	v_lshrrev_b32_e32 v12, 3, v33
	s_mov_b32 s21, exec_lo
	v_cmpx_gt_u32_e32 8, v33
; %bb.1320:                             ;   in Loop: Header=BB281_995 Depth=1
	v_ffbh_u32_e32 v11, v11
	v_min_u32_e32 v19, 32, v11
	v_subrev_nc_u32_e32 v11, 28, v19
	v_lshlrev_b64 v[11:12], v11, v[3:4]
	v_sub_nc_u32_e32 v12, 29, v19
	v_and_b32_e32 v11, 7, v11
; %bb.1321:                             ;   in Loop: Header=BB281_995 Depth=1
	s_or_b32 exec_lo, exec_lo, s21
	v_lshlrev_b32_e32 v3, 8, v3
	v_lshl_add_u32 v12, v12, 10, 0x2000
	v_lshlrev_b32_e32 v11, 23, v11
	v_and_or_b32 v3, 0x8000, v3, v12
	v_lshl_or_b32 v11, v3, 16, v11
.LBB281_1322:                           ;   in Loop: Header=BB281_995 Depth=1
	s_or_b32 exec_lo, exec_lo, s20
.LBB281_1323:                           ;   in Loop: Header=BB281_995 Depth=1
	s_or_b32 exec_lo, exec_lo, s19
.LBB281_1324:                           ;   in Loop: Header=BB281_995 Depth=1
	s_or_b32 exec_lo, exec_lo, s18
	v_or_b32_e32 v3, v18, v29
	s_waitcnt vmcnt(0) lgkmcnt(0)
	v_fma_mixlo_f16 v12, v0, v18, 0 op_sel:[0,1,0] op_sel_hi:[0,1,0]
	v_or_b32_e32 v2, v1, v2
	v_fma_mixlo_f16 v18, v0, v1, 0 op_sel:[0,1,0] op_sel_hi:[0,1,0]
	v_or_b32_e32 v19, v32, v23
	v_fma_mixlo_f16 v3, v0, v3, 0 op_sel_hi:[0,1,0]
	v_or_b32_e32 v22, v11, v31
	v_lshlrev_b32_e32 v1, 16, v12
	v_lshlrev_b32_e32 v12, 16, v18
	v_fma_mixlo_f16 v18, v0, v2, 0 op_sel_hi:[0,1,0]
	v_and_b32_e32 v2, 0xffff, v3
	v_fma_mixlo_f16 v3, v0, v32, 0 op_sel:[0,1,0] op_sel_hi:[0,1,0]
	v_fma_mixlo_f16 v19, v0, v19, 0 op_sel_hi:[0,1,0]
	v_fma_mixlo_f16 v11, v0, v11, 0 op_sel:[0,1,0] op_sel_hi:[0,1,0]
	v_fma_mixlo_f16 v22, v0, v22, 0 op_sel_hi:[0,1,0]
	v_and_b32_e32 v33, 0xffff, v18
	v_lshlrev_b32_e32 v3, 16, v3
	v_and_b32_e32 v23, 0xffff, v19
	v_lshlrev_b32_e32 v0, 16, v11
	v_and_b32_e32 v11, 0xffff, v22
	v_or_b32_e32 v18, v1, v2
	v_or_b32_e32 v32, v12, v33
	;; [unrolled: 1-line block ×4, first 2 shown]
	s_and_saveexec_b32 s18, vcc_lo
	s_cbranch_execz .LBB281_1326
; %bb.1325:                             ;   in Loop: Header=BB281_995 Depth=1
	v_cmp_lt_i32_e64 s4, v70, v30
	v_cndmask_b32_e64 v18, 0, v33, s4
	v_cmp_lt_i32_e64 s4, v99, v30
	v_cndmask_b32_e64 v12, 0, v12, s4
	v_cmp_lt_i32_e64 s4, v98, v30
	v_or_b32_e32 v32, v18, v12
	v_cndmask_b32_e64 v2, 0, v2, s4
	v_cmp_lt_i32_e64 s4, v97, v30
	v_cndmask_b32_e64 v1, 0, v1, s4
	v_cmp_lt_i32_e64 s4, v96, v30
	v_or_b32_e32 v18, v2, v1
	v_cndmask_b32_e64 v19, 0, v23, s4
	v_cmp_lt_i32_e64 s4, v87, v30
	v_cndmask_b32_e64 v3, 0, v3, s4
	v_cmp_lt_i32_e64 s4, v86, v30
	v_or_b32_e32 v31, v19, v3
	v_cndmask_b32_e64 v11, 0, v11, s4
	v_cmp_lt_i32_e64 s4, v85, v30
	v_cndmask_b32_e64 v0, 0, v0, s4
	v_or_b32_e32 v29, v11, v0
.LBB281_1326:                           ;   in Loop: Header=BB281_995 Depth=1
	s_or_b32 exec_lo, exec_lo, s18
	;;#ASMSTART
	v_pk_mul_f16 v0, v84, v32;

	;;#ASMEND
	;;#ASMSTART
	v_pk_mul_f16 v1, v83, v18;

	;;#ASMEND
	;; [unrolled: 4-line block ×4, first 2 shown]
	;;#ASMSTART
	v_pk_add_f16 v0, v0, v1;

	;;#ASMEND
	;;#ASMSTART
	v_pk_add_f16 v0, v0, v2;

	;;#ASMEND
	;; [unrolled: 4-line block ×3, first 2 shown]
	v_and_b32_e32 v1, 0xffff, v0
	v_lshrrev_b32_e32 v0, 16, v0
	;;#ASMSTART
	v_cvt_f32_f16 v114, v1;
	;;#ASMEND
	;;#ASMSTART
	v_cvt_f32_f16 v33, v0;
	;;#ASMEND
	flat_load_dwordx2 v[11:12], v[9:10] offset:1280
	s_clause 0x1
	buffer_load_dword v0, off, s[0:3], s32 offset:192
	buffer_load_dword v1, off, s[0:3], s32 offset:196
	v_mov_b32_e32 v2, 0
	s_waitcnt vmcnt(2) lgkmcnt(0)
	v_cmp_ne_u16_sdwa s4, v11, v4 src0_sel:BYTE_0 src1_sel:DWORD
	s_waitcnt vmcnt(0)
	flat_load_dword v0, v[0:1]
	v_mov_b32_e32 v1, 0
	s_and_saveexec_b32 s18, s4
	s_cbranch_execz .LBB281_1334
; %bb.1327:                             ;   in Loop: Header=BB281_995 Depth=1
	v_cmp_ne_u16_sdwa s4, v11, v39 src0_sel:BYTE_0 src1_sel:DWORD
	v_mov_b32_e32 v2, 0x8000
	s_and_saveexec_b32 s19, s4
	s_cbranch_execz .LBB281_1333
; %bb.1328:                             ;   in Loop: Header=BB281_995 Depth=1
	v_and_b32_e32 v18, 0x7f, v11
	v_mov_b32_e32 v2, 0x7c01
	s_mov_b32 s20, exec_lo
	v_cmpx_ne_u32_e32 0x7f, v18
	s_cbranch_execz .LBB281_1332
; %bb.1329:                             ;   in Loop: Header=BB281_995 Depth=1
	v_and_b32_e32 v2, 7, v11
	v_lshrrev_b32_e32 v3, 3, v18
	s_mov_b32 s21, exec_lo
	v_cmpx_gt_u32_e32 8, v18
; %bb.1330:                             ;   in Loop: Header=BB281_995 Depth=1
	v_ffbh_u32_e32 v2, v2
	v_min_u32_e32 v18, 32, v2
	v_subrev_nc_u32_e32 v2, 28, v18
	v_lshlrev_b64 v[2:3], v2, v[11:12]
	v_sub_nc_u32_e32 v3, 29, v18
	v_and_b32_e32 v2, 7, v2
; %bb.1331:                             ;   in Loop: Header=BB281_995 Depth=1
	s_or_b32 exec_lo, exec_lo, s21
	v_lshlrev_b32_e32 v18, 8, v11
	v_lshl_add_u32 v3, v3, 10, 0x2000
	v_lshlrev_b32_e32 v2, 7, v2
	v_and_b32_e32 v18, 0x8000, v18
	v_and_b32_e32 v3, 0xfc00, v3
	v_or3_b32 v2, v18, v3, v2
.LBB281_1332:                           ;   in Loop: Header=BB281_995 Depth=1
	s_or_b32 exec_lo, exec_lo, s20
.LBB281_1333:                           ;   in Loop: Header=BB281_995 Depth=1
	s_or_b32 exec_lo, exec_lo, s19
.LBB281_1334:                           ;   in Loop: Header=BB281_995 Depth=1
	s_or_b32 exec_lo, exec_lo, s18
	v_lshrrev_b16 v3, 8, v11
	s_mov_b32 s18, exec_lo
	v_cmpx_ne_u16_e32 0, v3
	s_cbranch_execz .LBB281_1342
; %bb.1335:                             ;   in Loop: Header=BB281_995 Depth=1
	v_bfrev_b32_e32 v1, 1
	s_mov_b32 s19, exec_lo
	v_cmpx_ne_u16_e32 0x80, v3
	s_cbranch_execz .LBB281_1341
; %bb.1336:                             ;   in Loop: Header=BB281_995 Depth=1
	v_and_b32_sdwa v23, v3, v48 dst_sel:DWORD dst_unused:UNUSED_PAD src0_sel:WORD_0 src1_sel:DWORD
	v_mov_b32_e32 v1, 0x7c010000
	s_mov_b32 s20, exec_lo
	v_cmpx_ne_u32_e32 0x7f, v23
	s_cbranch_execz .LBB281_1340
; %bb.1337:                             ;   in Loop: Header=BB281_995 Depth=1
	v_and_b32_sdwa v1, v3, v65 dst_sel:DWORD dst_unused:UNUSED_PAD src0_sel:WORD_0 src1_sel:DWORD
	v_lshrrev_b32_e32 v18, 3, v23
	s_mov_b32 s21, exec_lo
	v_cmpx_gt_u32_e32 8, v23
; %bb.1338:                             ;   in Loop: Header=BB281_995 Depth=1
	v_ffbh_u32_e32 v1, v1
	v_min_u32_e32 v1, 32, v1
	v_subrev_nc_u32_e32 v18, 28, v1
	v_lshlrev_b64 v[22:23], v18, v[3:4]
	v_sub_nc_u32_e32 v18, 29, v1
	v_and_b32_e32 v1, 7, v22
; %bb.1339:                             ;   in Loop: Header=BB281_995 Depth=1
	s_or_b32 exec_lo, exec_lo, s21
	v_lshlrev_b32_sdwa v3, v66, v3 dst_sel:DWORD dst_unused:UNUSED_PAD src0_sel:DWORD src1_sel:WORD_0
	v_lshl_add_u32 v18, v18, 10, 0x2000
	v_lshlrev_b32_e32 v1, 23, v1
	v_and_or_b32 v3, 0x8000, v3, v18
	v_lshl_or_b32 v1, v3, 16, v1
.LBB281_1340:                           ;   in Loop: Header=BB281_995 Depth=1
	s_or_b32 exec_lo, exec_lo, s20
.LBB281_1341:                           ;   in Loop: Header=BB281_995 Depth=1
	s_or_b32 exec_lo, exec_lo, s19
.LBB281_1342:                           ;   in Loop: Header=BB281_995 Depth=1
	s_or_b32 exec_lo, exec_lo, s18
	v_lshrrev_b32_e32 v3, 16, v11
	v_mov_b32_e32 v18, 0
	v_mov_b32_e32 v29, 0
	v_cmp_ne_u16_sdwa s4, v3, v4 src0_sel:BYTE_0 src1_sel:DWORD
	s_and_saveexec_b32 s18, s4
	s_cbranch_execz .LBB281_1350
; %bb.1343:                             ;   in Loop: Header=BB281_995 Depth=1
	v_cmp_ne_u16_sdwa s4, v3, v39 src0_sel:BYTE_0 src1_sel:DWORD
	v_mov_b32_e32 v29, 0x8000
	s_and_saveexec_b32 s19, s4
	s_cbranch_execz .LBB281_1349
; %bb.1344:                             ;   in Loop: Header=BB281_995 Depth=1
	v_bfe_u32 v31, v11, 16, 7
	v_mov_b32_e32 v29, 0x7c01
	s_mov_b32 s20, exec_lo
	v_cmpx_ne_u32_e32 0x7f, v31
	s_cbranch_execz .LBB281_1348
; %bb.1345:                             ;   in Loop: Header=BB281_995 Depth=1
	v_and_b32_e32 v23, 7, v3
	v_lshrrev_b32_e32 v29, 3, v31
	s_mov_b32 s21, exec_lo
	v_cmpx_gt_u32_e32 8, v31
; %bb.1346:                             ;   in Loop: Header=BB281_995 Depth=1
	v_ffbh_u32_e32 v19, v23
	v_min_u32_e32 v19, 32, v19
	v_subrev_nc_u32_e32 v22, 28, v19
	v_sub_nc_u32_e32 v29, 29, v19
	v_lshlrev_b64 v[22:23], v22, v[3:4]
	v_and_b32_e32 v23, 7, v22
; %bb.1347:                             ;   in Loop: Header=BB281_995 Depth=1
	s_or_b32 exec_lo, exec_lo, s21
	v_lshlrev_b32_e32 v3, 8, v3
	v_lshl_add_u32 v19, v29, 10, 0x2000
	v_lshlrev_b32_e32 v22, 7, v23
	v_and_b32_e32 v3, 0x8000, v3
	v_and_b32_e32 v19, 0xfc00, v19
	v_or3_b32 v29, v3, v19, v22
.LBB281_1348:                           ;   in Loop: Header=BB281_995 Depth=1
	s_or_b32 exec_lo, exec_lo, s20
.LBB281_1349:                           ;   in Loop: Header=BB281_995 Depth=1
	s_or_b32 exec_lo, exec_lo, s19
.LBB281_1350:                           ;   in Loop: Header=BB281_995 Depth=1
	s_or_b32 exec_lo, exec_lo, s18
	s_mov_b32 s18, exec_lo
	v_cmpx_lt_u32_e32 0xffffff, v11
	s_cbranch_execz .LBB281_1358
; %bb.1351:                             ;   in Loop: Header=BB281_995 Depth=1
	v_lshrrev_b32_e32 v3, 24, v11
	v_bfrev_b32_e32 v18, 1
	s_mov_b32 s19, exec_lo
	v_cmpx_ne_u32_e32 0x80, v3
	s_cbranch_execz .LBB281_1357
; %bb.1352:                             ;   in Loop: Header=BB281_995 Depth=1
	v_and_b32_e32 v31, 0x7f, v3
	v_mov_b32_e32 v18, 0x7c010000
	s_mov_b32 s20, exec_lo
	v_cmpx_ne_u32_e32 0x7f, v31
	s_cbranch_execz .LBB281_1356
; %bb.1353:                             ;   in Loop: Header=BB281_995 Depth=1
	v_and_b32_e32 v18, 7, v3
	v_lshrrev_b32_e32 v23, 3, v31
	s_mov_b32 s21, exec_lo
	v_cmpx_gt_u32_e32 8, v31
; %bb.1354:                             ;   in Loop: Header=BB281_995 Depth=1
	v_ffbh_u32_e32 v18, v18
	v_min_u32_e32 v22, 32, v18
	v_subrev_nc_u32_e32 v18, 28, v22
	v_sub_nc_u32_e32 v23, 29, v22
	v_lshlrev_b64 v[18:19], v18, v[3:4]
	v_and_b32_e32 v18, 7, v18
; %bb.1355:                             ;   in Loop: Header=BB281_995 Depth=1
	s_or_b32 exec_lo, exec_lo, s21
	v_lshlrev_b32_e32 v3, 8, v3
	v_lshl_add_u32 v19, v23, 10, 0x2000
	v_lshlrev_b32_e32 v18, 23, v18
	v_and_or_b32 v3, 0x8000, v3, v19
	v_lshl_or_b32 v18, v3, 16, v18
.LBB281_1356:                           ;   in Loop: Header=BB281_995 Depth=1
	s_or_b32 exec_lo, exec_lo, s20
.LBB281_1357:                           ;   in Loop: Header=BB281_995 Depth=1
	s_or_b32 exec_lo, exec_lo, s19
.LBB281_1358:                           ;   in Loop: Header=BB281_995 Depth=1
	s_or_b32 exec_lo, exec_lo, s18
	v_mov_b32_e32 v3, v12
	v_cmp_ne_u16_sdwa s4, v12, v4 src0_sel:BYTE_0 src1_sel:DWORD
	v_mov_b32_e32 v31, 0
	v_mov_b32_e32 v23, 0
	s_and_saveexec_b32 s18, s4
	s_cbranch_execz .LBB281_1366
; %bb.1359:                             ;   in Loop: Header=BB281_995 Depth=1
	v_cmp_ne_u16_sdwa s4, v12, v39 src0_sel:BYTE_0 src1_sel:DWORD
	v_mov_b32_e32 v23, 0x8000
	s_and_saveexec_b32 s19, s4
	s_cbranch_execz .LBB281_1365
; %bb.1360:                             ;   in Loop: Header=BB281_995 Depth=1
	v_and_b32_e32 v34, 0x7f, v12
	v_mov_b32_e32 v23, 0x7c01
	s_mov_b32 s20, exec_lo
	v_cmpx_ne_u32_e32 0x7f, v34
	s_cbranch_execz .LBB281_1364
; %bb.1361:                             ;   in Loop: Header=BB281_995 Depth=1
	v_and_b32_e32 v23, 7, v12
	v_lshrrev_b32_e32 v32, 3, v34
	s_mov_b32 s21, exec_lo
	v_cmpx_gt_u32_e32 8, v34
; %bb.1362:                             ;   in Loop: Header=BB281_995 Depth=1
	v_ffbh_u32_e32 v19, v23
	v_min_u32_e32 v19, 32, v19
	v_subrev_nc_u32_e32 v22, 28, v19
	v_sub_nc_u32_e32 v32, 29, v19
	v_lshlrev_b64 v[22:23], v22, v[3:4]
	v_and_b32_e32 v23, 7, v22
; %bb.1363:                             ;   in Loop: Header=BB281_995 Depth=1
	s_or_b32 exec_lo, exec_lo, s21
	v_lshlrev_b32_e32 v19, 8, v12
	v_lshl_add_u32 v22, v32, 10, 0x2000
	v_lshlrev_b32_e32 v23, 7, v23
	v_and_b32_e32 v19, 0x8000, v19
	v_and_b32_e32 v22, 0xfc00, v22
	v_or3_b32 v23, v19, v22, v23
.LBB281_1364:                           ;   in Loop: Header=BB281_995 Depth=1
	s_or_b32 exec_lo, exec_lo, s20
.LBB281_1365:                           ;   in Loop: Header=BB281_995 Depth=1
	s_or_b32 exec_lo, exec_lo, s19
.LBB281_1366:                           ;   in Loop: Header=BB281_995 Depth=1
	s_or_b32 exec_lo, exec_lo, s18
	v_lshrrev_b16 v3, 8, v3
	v_mov_b32_e32 v32, 0
	s_mov_b32 s18, exec_lo
	v_cmpx_ne_u16_e32 0, v3
	s_cbranch_execz .LBB281_1374
; %bb.1367:                             ;   in Loop: Header=BB281_995 Depth=1
	v_bfrev_b32_e32 v32, 1
	s_mov_b32 s19, exec_lo
	v_cmpx_ne_u16_e32 0x80, v3
	s_cbranch_execz .LBB281_1373
; %bb.1368:                             ;   in Loop: Header=BB281_995 Depth=1
	v_and_b32_sdwa v35, v3, v48 dst_sel:DWORD dst_unused:UNUSED_PAD src0_sel:WORD_0 src1_sel:DWORD
	v_mov_b32_e32 v32, 0x7c010000
	s_mov_b32 s20, exec_lo
	v_cmpx_ne_u32_e32 0x7f, v35
	s_cbranch_execz .LBB281_1372
; %bb.1369:                             ;   in Loop: Header=BB281_995 Depth=1
	v_and_b32_sdwa v32, v3, v65 dst_sel:DWORD dst_unused:UNUSED_PAD src0_sel:WORD_0 src1_sel:DWORD
	v_lshrrev_b32_e32 v34, 3, v35
	s_mov_b32 s21, exec_lo
	v_cmpx_gt_u32_e32 8, v35
; %bb.1370:                             ;   in Loop: Header=BB281_995 Depth=1
	v_ffbh_u32_e32 v19, v32
	v_min_u32_e32 v19, 32, v19
	v_subrev_nc_u32_e32 v22, 28, v19
	v_sub_nc_u32_e32 v34, 29, v19
	v_lshlrev_b64 v[35:36], v22, v[3:4]
	v_and_b32_e32 v32, 7, v35
; %bb.1371:                             ;   in Loop: Header=BB281_995 Depth=1
	s_or_b32 exec_lo, exec_lo, s21
	v_lshlrev_b32_sdwa v3, v66, v3 dst_sel:DWORD dst_unused:UNUSED_PAD src0_sel:DWORD src1_sel:WORD_0
	v_lshl_add_u32 v19, v34, 10, 0x2000
	v_and_or_b32 v3, 0x8000, v3, v19
	v_lshlrev_b32_e32 v19, 23, v32
	v_lshl_or_b32 v32, v3, 16, v19
.LBB281_1372:                           ;   in Loop: Header=BB281_995 Depth=1
	s_or_b32 exec_lo, exec_lo, s20
.LBB281_1373:                           ;   in Loop: Header=BB281_995 Depth=1
	s_or_b32 exec_lo, exec_lo, s19
.LBB281_1374:                           ;   in Loop: Header=BB281_995 Depth=1
	s_or_b32 exec_lo, exec_lo, s18
	v_lshrrev_b32_e32 v3, 16, v12
	v_cmp_ne_u16_sdwa s4, v3, v4 src0_sel:BYTE_0 src1_sel:DWORD
	s_and_saveexec_b32 s18, s4
	s_cbranch_execz .LBB281_1382
; %bb.1375:                             ;   in Loop: Header=BB281_995 Depth=1
	v_cmp_ne_u16_sdwa s4, v3, v39 src0_sel:BYTE_0 src1_sel:DWORD
	v_mov_b32_e32 v31, 0x8000
	s_and_saveexec_b32 s19, s4
	s_cbranch_execz .LBB281_1381
; %bb.1376:                             ;   in Loop: Header=BB281_995 Depth=1
	v_bfe_u32 v35, v12, 16, 7
	v_mov_b32_e32 v31, 0x7c01
	s_mov_b32 s20, exec_lo
	v_cmpx_ne_u32_e32 0x7f, v35
	s_cbranch_execz .LBB281_1380
; %bb.1377:                             ;   in Loop: Header=BB281_995 Depth=1
	v_and_b32_e32 v31, 7, v3
	v_lshrrev_b32_e32 v34, 3, v35
	s_mov_b32 s21, exec_lo
	v_cmpx_gt_u32_e32 8, v35
; %bb.1378:                             ;   in Loop: Header=BB281_995 Depth=1
	v_ffbh_u32_e32 v19, v31
	v_min_u32_e32 v19, 32, v19
	v_subrev_nc_u32_e32 v22, 28, v19
	v_sub_nc_u32_e32 v34, 29, v19
	v_lshlrev_b64 v[35:36], v22, v[3:4]
	v_and_b32_e32 v31, 7, v35
; %bb.1379:                             ;   in Loop: Header=BB281_995 Depth=1
	s_or_b32 exec_lo, exec_lo, s21
	v_lshlrev_b32_e32 v3, 8, v3
	v_lshl_add_u32 v19, v34, 10, 0x2000
	v_lshlrev_b32_e32 v22, 7, v31
	v_and_b32_e32 v3, 0x8000, v3
	v_and_b32_e32 v19, 0xfc00, v19
	v_or3_b32 v31, v3, v19, v22
.LBB281_1380:                           ;   in Loop: Header=BB281_995 Depth=1
	s_or_b32 exec_lo, exec_lo, s20
.LBB281_1381:                           ;   in Loop: Header=BB281_995 Depth=1
	s_or_b32 exec_lo, exec_lo, s19
.LBB281_1382:                           ;   in Loop: Header=BB281_995 Depth=1
	s_or_b32 exec_lo, exec_lo, s18
	v_cmp_lt_u64_e64 s4, s[6:7], v[11:12]
	v_mov_b32_e32 v11, 0
	s_and_saveexec_b32 s18, s4
	s_cbranch_execz .LBB281_1390
; %bb.1383:                             ;   in Loop: Header=BB281_995 Depth=1
	v_lshrrev_b32_e32 v3, 24, v12
	v_bfrev_b32_e32 v11, 1
	s_mov_b32 s19, exec_lo
	v_cmpx_ne_u32_e32 0x80, v3
	s_cbranch_execz .LBB281_1389
; %bb.1384:                             ;   in Loop: Header=BB281_995 Depth=1
	v_and_b32_e32 v34, 0x7f, v3
	v_mov_b32_e32 v11, 0x7c010000
	s_mov_b32 s20, exec_lo
	v_cmpx_ne_u32_e32 0x7f, v34
	s_cbranch_execz .LBB281_1388
; %bb.1385:                             ;   in Loop: Header=BB281_995 Depth=1
	v_and_b32_e32 v11, 7, v3
	v_lshrrev_b32_e32 v12, 3, v34
	s_mov_b32 s21, exec_lo
	v_cmpx_gt_u32_e32 8, v34
; %bb.1386:                             ;   in Loop: Header=BB281_995 Depth=1
	v_ffbh_u32_e32 v11, v11
	v_min_u32_e32 v19, 32, v11
	v_subrev_nc_u32_e32 v11, 28, v19
	v_lshlrev_b64 v[11:12], v11, v[3:4]
	v_sub_nc_u32_e32 v12, 29, v19
	v_and_b32_e32 v11, 7, v11
; %bb.1387:                             ;   in Loop: Header=BB281_995 Depth=1
	s_or_b32 exec_lo, exec_lo, s21
	v_lshlrev_b32_e32 v3, 8, v3
	v_lshl_add_u32 v12, v12, 10, 0x2000
	v_lshlrev_b32_e32 v11, 23, v11
	v_and_or_b32 v3, 0x8000, v3, v12
	v_lshl_or_b32 v11, v3, 16, v11
.LBB281_1388:                           ;   in Loop: Header=BB281_995 Depth=1
	s_or_b32 exec_lo, exec_lo, s20
.LBB281_1389:                           ;   in Loop: Header=BB281_995 Depth=1
	s_or_b32 exec_lo, exec_lo, s19
.LBB281_1390:                           ;   in Loop: Header=BB281_995 Depth=1
	s_or_b32 exec_lo, exec_lo, s18
	v_or_b32_e32 v3, v18, v29
	s_waitcnt vmcnt(0) lgkmcnt(0)
	v_fma_mixlo_f16 v12, v0, v18, 0 op_sel:[0,1,0] op_sel_hi:[0,1,0]
	v_or_b32_e32 v2, v1, v2
	v_fma_mixlo_f16 v18, v0, v1, 0 op_sel:[0,1,0] op_sel_hi:[0,1,0]
	v_or_b32_e32 v19, v32, v23
	v_fma_mixlo_f16 v3, v0, v3, 0 op_sel_hi:[0,1,0]
	v_or_b32_e32 v22, v11, v31
	v_lshlrev_b32_e32 v1, 16, v12
	v_lshlrev_b32_e32 v12, 16, v18
	v_fma_mixlo_f16 v18, v0, v2, 0 op_sel_hi:[0,1,0]
	v_and_b32_e32 v2, 0xffff, v3
	v_fma_mixlo_f16 v3, v0, v32, 0 op_sel:[0,1,0] op_sel_hi:[0,1,0]
	v_fma_mixlo_f16 v19, v0, v19, 0 op_sel_hi:[0,1,0]
	v_fma_mixlo_f16 v11, v0, v11, 0 op_sel:[0,1,0] op_sel_hi:[0,1,0]
	v_fma_mixlo_f16 v22, v0, v22, 0 op_sel_hi:[0,1,0]
	v_and_b32_e32 v34, 0xffff, v18
	v_lshlrev_b32_e32 v3, 16, v3
	v_and_b32_e32 v23, 0xffff, v19
	v_lshlrev_b32_e32 v0, 16, v11
	v_and_b32_e32 v11, 0xffff, v22
	v_or_b32_e32 v18, v1, v2
	v_or_b32_e32 v32, v12, v34
	;; [unrolled: 1-line block ×4, first 2 shown]
	s_and_saveexec_b32 s18, vcc_lo
	s_cbranch_execz .LBB281_1392
; %bb.1391:                             ;   in Loop: Header=BB281_995 Depth=1
	v_cmp_lt_i32_e64 s4, v70, v30
	v_cndmask_b32_e64 v18, 0, v34, s4
	v_cmp_lt_i32_e64 s4, v99, v30
	v_cndmask_b32_e64 v12, 0, v12, s4
	v_cmp_lt_i32_e64 s4, v98, v30
	v_or_b32_e32 v32, v18, v12
	v_cndmask_b32_e64 v2, 0, v2, s4
	v_cmp_lt_i32_e64 s4, v97, v30
	v_cndmask_b32_e64 v1, 0, v1, s4
	v_cmp_lt_i32_e64 s4, v96, v30
	v_or_b32_e32 v18, v2, v1
	;; [unrolled: 5-line block ×3, first 2 shown]
	v_cndmask_b32_e64 v11, 0, v11, s4
	v_cmp_lt_i32_e64 s4, v85, v30
	v_cndmask_b32_e64 v0, 0, v0, s4
	v_or_b32_e32 v29, v11, v0
.LBB281_1392:                           ;   in Loop: Header=BB281_995 Depth=1
	s_or_b32 exec_lo, exec_lo, s18
	;;#ASMSTART
	v_pk_mul_f16 v0, v84, v32;

	;;#ASMEND
	;;#ASMSTART
	v_pk_mul_f16 v1, v83, v18;

	;;#ASMEND
	;; [unrolled: 4-line block ×4, first 2 shown]
	;;#ASMSTART
	v_pk_add_f16 v0, v0, v1;

	;;#ASMEND
	;;#ASMSTART
	v_pk_add_f16 v0, v0, v2;

	;;#ASMEND
	;; [unrolled: 4-line block ×3, first 2 shown]
	v_and_b32_e32 v1, 0xffff, v0
	v_lshrrev_b32_e32 v0, 16, v0
	;;#ASMSTART
	v_cvt_f32_f16 v116, v1;
	;;#ASMEND
	;;#ASMSTART
	v_cvt_f32_f16 v117, v0;
	;;#ASMEND
	flat_load_dwordx2 v[11:12], v[9:10] offset:1536
	s_clause 0x1
	buffer_load_dword v0, off, s[0:3], s32 offset:192
	buffer_load_dword v1, off, s[0:3], s32 offset:196
	v_mov_b32_e32 v2, 0
	s_waitcnt vmcnt(2) lgkmcnt(0)
	v_cmp_ne_u16_sdwa s4, v11, v4 src0_sel:BYTE_0 src1_sel:DWORD
	s_waitcnt vmcnt(0)
	flat_load_dword v0, v[0:1]
	v_mov_b32_e32 v1, 0
	s_and_saveexec_b32 s18, s4
	s_cbranch_execz .LBB281_1400
; %bb.1393:                             ;   in Loop: Header=BB281_995 Depth=1
	v_cmp_ne_u16_sdwa s4, v11, v39 src0_sel:BYTE_0 src1_sel:DWORD
	v_mov_b32_e32 v2, 0x8000
	s_and_saveexec_b32 s19, s4
	s_cbranch_execz .LBB281_1399
; %bb.1394:                             ;   in Loop: Header=BB281_995 Depth=1
	v_and_b32_e32 v18, 0x7f, v11
	v_mov_b32_e32 v2, 0x7c01
	s_mov_b32 s20, exec_lo
	v_cmpx_ne_u32_e32 0x7f, v18
	s_cbranch_execz .LBB281_1398
; %bb.1395:                             ;   in Loop: Header=BB281_995 Depth=1
	v_and_b32_e32 v2, 7, v11
	v_lshrrev_b32_e32 v3, 3, v18
	s_mov_b32 s21, exec_lo
	v_cmpx_gt_u32_e32 8, v18
; %bb.1396:                             ;   in Loop: Header=BB281_995 Depth=1
	v_ffbh_u32_e32 v2, v2
	v_min_u32_e32 v18, 32, v2
	v_subrev_nc_u32_e32 v2, 28, v18
	v_lshlrev_b64 v[2:3], v2, v[11:12]
	v_sub_nc_u32_e32 v3, 29, v18
	v_and_b32_e32 v2, 7, v2
; %bb.1397:                             ;   in Loop: Header=BB281_995 Depth=1
	s_or_b32 exec_lo, exec_lo, s21
	v_lshlrev_b32_e32 v18, 8, v11
	v_lshl_add_u32 v3, v3, 10, 0x2000
	v_lshlrev_b32_e32 v2, 7, v2
	v_and_b32_e32 v18, 0x8000, v18
	v_and_b32_e32 v3, 0xfc00, v3
	v_or3_b32 v2, v18, v3, v2
.LBB281_1398:                           ;   in Loop: Header=BB281_995 Depth=1
	s_or_b32 exec_lo, exec_lo, s20
.LBB281_1399:                           ;   in Loop: Header=BB281_995 Depth=1
	s_or_b32 exec_lo, exec_lo, s19
.LBB281_1400:                           ;   in Loop: Header=BB281_995 Depth=1
	s_or_b32 exec_lo, exec_lo, s18
	v_lshrrev_b16 v3, 8, v11
	s_mov_b32 s18, exec_lo
	v_cmpx_ne_u16_e32 0, v3
	s_cbranch_execz .LBB281_1408
; %bb.1401:                             ;   in Loop: Header=BB281_995 Depth=1
	v_bfrev_b32_e32 v1, 1
	s_mov_b32 s19, exec_lo
	v_cmpx_ne_u16_e32 0x80, v3
	s_cbranch_execz .LBB281_1407
; %bb.1402:                             ;   in Loop: Header=BB281_995 Depth=1
	v_and_b32_sdwa v23, v3, v48 dst_sel:DWORD dst_unused:UNUSED_PAD src0_sel:WORD_0 src1_sel:DWORD
	v_mov_b32_e32 v1, 0x7c010000
	s_mov_b32 s20, exec_lo
	v_cmpx_ne_u32_e32 0x7f, v23
	s_cbranch_execz .LBB281_1406
; %bb.1403:                             ;   in Loop: Header=BB281_995 Depth=1
	v_and_b32_sdwa v1, v3, v65 dst_sel:DWORD dst_unused:UNUSED_PAD src0_sel:WORD_0 src1_sel:DWORD
	v_lshrrev_b32_e32 v18, 3, v23
	s_mov_b32 s21, exec_lo
	v_cmpx_gt_u32_e32 8, v23
; %bb.1404:                             ;   in Loop: Header=BB281_995 Depth=1
	v_ffbh_u32_e32 v1, v1
	v_min_u32_e32 v1, 32, v1
	v_subrev_nc_u32_e32 v18, 28, v1
	v_lshlrev_b64 v[22:23], v18, v[3:4]
	v_sub_nc_u32_e32 v18, 29, v1
	v_and_b32_e32 v1, 7, v22
; %bb.1405:                             ;   in Loop: Header=BB281_995 Depth=1
	s_or_b32 exec_lo, exec_lo, s21
	v_lshlrev_b32_sdwa v3, v66, v3 dst_sel:DWORD dst_unused:UNUSED_PAD src0_sel:DWORD src1_sel:WORD_0
	v_lshl_add_u32 v18, v18, 10, 0x2000
	v_lshlrev_b32_e32 v1, 23, v1
	v_and_or_b32 v3, 0x8000, v3, v18
	v_lshl_or_b32 v1, v3, 16, v1
.LBB281_1406:                           ;   in Loop: Header=BB281_995 Depth=1
	s_or_b32 exec_lo, exec_lo, s20
.LBB281_1407:                           ;   in Loop: Header=BB281_995 Depth=1
	s_or_b32 exec_lo, exec_lo, s19
.LBB281_1408:                           ;   in Loop: Header=BB281_995 Depth=1
	s_or_b32 exec_lo, exec_lo, s18
	v_lshrrev_b32_e32 v3, 16, v11
	v_mov_b32_e32 v18, 0
	v_mov_b32_e32 v29, 0
	v_cmp_ne_u16_sdwa s4, v3, v4 src0_sel:BYTE_0 src1_sel:DWORD
	s_and_saveexec_b32 s18, s4
	s_cbranch_execz .LBB281_1416
; %bb.1409:                             ;   in Loop: Header=BB281_995 Depth=1
	v_cmp_ne_u16_sdwa s4, v3, v39 src0_sel:BYTE_0 src1_sel:DWORD
	v_mov_b32_e32 v29, 0x8000
	s_and_saveexec_b32 s19, s4
	s_cbranch_execz .LBB281_1415
; %bb.1410:                             ;   in Loop: Header=BB281_995 Depth=1
	v_bfe_u32 v31, v11, 16, 7
	v_mov_b32_e32 v29, 0x7c01
	s_mov_b32 s20, exec_lo
	v_cmpx_ne_u32_e32 0x7f, v31
	s_cbranch_execz .LBB281_1414
; %bb.1411:                             ;   in Loop: Header=BB281_995 Depth=1
	v_and_b32_e32 v23, 7, v3
	v_lshrrev_b32_e32 v29, 3, v31
	s_mov_b32 s21, exec_lo
	v_cmpx_gt_u32_e32 8, v31
; %bb.1412:                             ;   in Loop: Header=BB281_995 Depth=1
	v_ffbh_u32_e32 v19, v23
	v_min_u32_e32 v19, 32, v19
	v_subrev_nc_u32_e32 v22, 28, v19
	v_sub_nc_u32_e32 v29, 29, v19
	v_lshlrev_b64 v[22:23], v22, v[3:4]
	v_and_b32_e32 v23, 7, v22
; %bb.1413:                             ;   in Loop: Header=BB281_995 Depth=1
	s_or_b32 exec_lo, exec_lo, s21
	v_lshlrev_b32_e32 v3, 8, v3
	v_lshl_add_u32 v19, v29, 10, 0x2000
	v_lshlrev_b32_e32 v22, 7, v23
	v_and_b32_e32 v3, 0x8000, v3
	v_and_b32_e32 v19, 0xfc00, v19
	v_or3_b32 v29, v3, v19, v22
.LBB281_1414:                           ;   in Loop: Header=BB281_995 Depth=1
	s_or_b32 exec_lo, exec_lo, s20
.LBB281_1415:                           ;   in Loop: Header=BB281_995 Depth=1
	s_or_b32 exec_lo, exec_lo, s19
.LBB281_1416:                           ;   in Loop: Header=BB281_995 Depth=1
	s_or_b32 exec_lo, exec_lo, s18
	s_mov_b32 s18, exec_lo
	v_cmpx_lt_u32_e32 0xffffff, v11
	s_cbranch_execz .LBB281_1424
; %bb.1417:                             ;   in Loop: Header=BB281_995 Depth=1
	v_lshrrev_b32_e32 v3, 24, v11
	v_bfrev_b32_e32 v18, 1
	s_mov_b32 s19, exec_lo
	v_cmpx_ne_u32_e32 0x80, v3
	s_cbranch_execz .LBB281_1423
; %bb.1418:                             ;   in Loop: Header=BB281_995 Depth=1
	v_and_b32_e32 v31, 0x7f, v3
	v_mov_b32_e32 v18, 0x7c010000
	s_mov_b32 s20, exec_lo
	v_cmpx_ne_u32_e32 0x7f, v31
	s_cbranch_execz .LBB281_1422
; %bb.1419:                             ;   in Loop: Header=BB281_995 Depth=1
	v_and_b32_e32 v18, 7, v3
	v_lshrrev_b32_e32 v23, 3, v31
	s_mov_b32 s21, exec_lo
	v_cmpx_gt_u32_e32 8, v31
; %bb.1420:                             ;   in Loop: Header=BB281_995 Depth=1
	v_ffbh_u32_e32 v18, v18
	v_min_u32_e32 v22, 32, v18
	v_subrev_nc_u32_e32 v18, 28, v22
	v_sub_nc_u32_e32 v23, 29, v22
	v_lshlrev_b64 v[18:19], v18, v[3:4]
	v_and_b32_e32 v18, 7, v18
; %bb.1421:                             ;   in Loop: Header=BB281_995 Depth=1
	s_or_b32 exec_lo, exec_lo, s21
	v_lshlrev_b32_e32 v3, 8, v3
	v_lshl_add_u32 v19, v23, 10, 0x2000
	v_lshlrev_b32_e32 v18, 23, v18
	v_and_or_b32 v3, 0x8000, v3, v19
	v_lshl_or_b32 v18, v3, 16, v18
.LBB281_1422:                           ;   in Loop: Header=BB281_995 Depth=1
	s_or_b32 exec_lo, exec_lo, s20
.LBB281_1423:                           ;   in Loop: Header=BB281_995 Depth=1
	s_or_b32 exec_lo, exec_lo, s19
.LBB281_1424:                           ;   in Loop: Header=BB281_995 Depth=1
	s_or_b32 exec_lo, exec_lo, s18
	v_mov_b32_e32 v3, v12
	v_cmp_ne_u16_sdwa s4, v12, v4 src0_sel:BYTE_0 src1_sel:DWORD
	v_mov_b32_e32 v31, 0
	v_mov_b32_e32 v23, 0
	s_and_saveexec_b32 s18, s4
	s_cbranch_execz .LBB281_1432
; %bb.1425:                             ;   in Loop: Header=BB281_995 Depth=1
	v_cmp_ne_u16_sdwa s4, v12, v39 src0_sel:BYTE_0 src1_sel:DWORD
	v_mov_b32_e32 v23, 0x8000
	s_and_saveexec_b32 s19, s4
	s_cbranch_execz .LBB281_1431
; %bb.1426:                             ;   in Loop: Header=BB281_995 Depth=1
	v_and_b32_e32 v34, 0x7f, v12
	v_mov_b32_e32 v23, 0x7c01
	s_mov_b32 s20, exec_lo
	v_cmpx_ne_u32_e32 0x7f, v34
	s_cbranch_execz .LBB281_1430
; %bb.1427:                             ;   in Loop: Header=BB281_995 Depth=1
	v_and_b32_e32 v23, 7, v12
	v_lshrrev_b32_e32 v32, 3, v34
	s_mov_b32 s21, exec_lo
	v_cmpx_gt_u32_e32 8, v34
; %bb.1428:                             ;   in Loop: Header=BB281_995 Depth=1
	v_ffbh_u32_e32 v19, v23
	v_min_u32_e32 v19, 32, v19
	v_subrev_nc_u32_e32 v22, 28, v19
	v_sub_nc_u32_e32 v32, 29, v19
	v_lshlrev_b64 v[22:23], v22, v[3:4]
	v_and_b32_e32 v23, 7, v22
; %bb.1429:                             ;   in Loop: Header=BB281_995 Depth=1
	s_or_b32 exec_lo, exec_lo, s21
	v_lshlrev_b32_e32 v19, 8, v12
	v_lshl_add_u32 v22, v32, 10, 0x2000
	v_lshlrev_b32_e32 v23, 7, v23
	v_and_b32_e32 v19, 0x8000, v19
	v_and_b32_e32 v22, 0xfc00, v22
	v_or3_b32 v23, v19, v22, v23
.LBB281_1430:                           ;   in Loop: Header=BB281_995 Depth=1
	s_or_b32 exec_lo, exec_lo, s20
.LBB281_1431:                           ;   in Loop: Header=BB281_995 Depth=1
	s_or_b32 exec_lo, exec_lo, s19
.LBB281_1432:                           ;   in Loop: Header=BB281_995 Depth=1
	s_or_b32 exec_lo, exec_lo, s18
	v_lshrrev_b16 v3, 8, v3
	v_mov_b32_e32 v32, 0
	s_mov_b32 s18, exec_lo
	v_cmpx_ne_u16_e32 0, v3
	s_cbranch_execz .LBB281_1440
; %bb.1433:                             ;   in Loop: Header=BB281_995 Depth=1
	v_bfrev_b32_e32 v32, 1
	s_mov_b32 s19, exec_lo
	v_cmpx_ne_u16_e32 0x80, v3
	s_cbranch_execz .LBB281_1439
; %bb.1434:                             ;   in Loop: Header=BB281_995 Depth=1
	v_and_b32_sdwa v35, v3, v48 dst_sel:DWORD dst_unused:UNUSED_PAD src0_sel:WORD_0 src1_sel:DWORD
	v_mov_b32_e32 v32, 0x7c010000
	s_mov_b32 s20, exec_lo
	v_cmpx_ne_u32_e32 0x7f, v35
	s_cbranch_execz .LBB281_1438
; %bb.1435:                             ;   in Loop: Header=BB281_995 Depth=1
	v_and_b32_sdwa v32, v3, v65 dst_sel:DWORD dst_unused:UNUSED_PAD src0_sel:WORD_0 src1_sel:DWORD
	v_lshrrev_b32_e32 v34, 3, v35
	s_mov_b32 s21, exec_lo
	v_cmpx_gt_u32_e32 8, v35
; %bb.1436:                             ;   in Loop: Header=BB281_995 Depth=1
	v_ffbh_u32_e32 v19, v32
	v_min_u32_e32 v19, 32, v19
	v_subrev_nc_u32_e32 v22, 28, v19
	v_sub_nc_u32_e32 v34, 29, v19
	v_lshlrev_b64 v[35:36], v22, v[3:4]
	v_and_b32_e32 v32, 7, v35
; %bb.1437:                             ;   in Loop: Header=BB281_995 Depth=1
	s_or_b32 exec_lo, exec_lo, s21
	v_lshlrev_b32_sdwa v3, v66, v3 dst_sel:DWORD dst_unused:UNUSED_PAD src0_sel:DWORD src1_sel:WORD_0
	v_lshl_add_u32 v19, v34, 10, 0x2000
	v_and_or_b32 v3, 0x8000, v3, v19
	v_lshlrev_b32_e32 v19, 23, v32
	v_lshl_or_b32 v32, v3, 16, v19
.LBB281_1438:                           ;   in Loop: Header=BB281_995 Depth=1
	s_or_b32 exec_lo, exec_lo, s20
.LBB281_1439:                           ;   in Loop: Header=BB281_995 Depth=1
	s_or_b32 exec_lo, exec_lo, s19
.LBB281_1440:                           ;   in Loop: Header=BB281_995 Depth=1
	s_or_b32 exec_lo, exec_lo, s18
	v_lshrrev_b32_e32 v3, 16, v12
	v_cmp_ne_u16_sdwa s4, v3, v4 src0_sel:BYTE_0 src1_sel:DWORD
	s_and_saveexec_b32 s18, s4
	s_cbranch_execz .LBB281_1448
; %bb.1441:                             ;   in Loop: Header=BB281_995 Depth=1
	v_cmp_ne_u16_sdwa s4, v3, v39 src0_sel:BYTE_0 src1_sel:DWORD
	v_mov_b32_e32 v31, 0x8000
	s_and_saveexec_b32 s19, s4
	s_cbranch_execz .LBB281_1447
; %bb.1442:                             ;   in Loop: Header=BB281_995 Depth=1
	v_bfe_u32 v35, v12, 16, 7
	v_mov_b32_e32 v31, 0x7c01
	s_mov_b32 s20, exec_lo
	v_cmpx_ne_u32_e32 0x7f, v35
	s_cbranch_execz .LBB281_1446
; %bb.1443:                             ;   in Loop: Header=BB281_995 Depth=1
	v_and_b32_e32 v31, 7, v3
	v_lshrrev_b32_e32 v34, 3, v35
	s_mov_b32 s21, exec_lo
	v_cmpx_gt_u32_e32 8, v35
; %bb.1444:                             ;   in Loop: Header=BB281_995 Depth=1
	v_ffbh_u32_e32 v19, v31
	v_min_u32_e32 v19, 32, v19
	v_subrev_nc_u32_e32 v22, 28, v19
	v_sub_nc_u32_e32 v34, 29, v19
	v_lshlrev_b64 v[35:36], v22, v[3:4]
	v_and_b32_e32 v31, 7, v35
; %bb.1445:                             ;   in Loop: Header=BB281_995 Depth=1
	s_or_b32 exec_lo, exec_lo, s21
	v_lshlrev_b32_e32 v3, 8, v3
	v_lshl_add_u32 v19, v34, 10, 0x2000
	v_lshlrev_b32_e32 v22, 7, v31
	v_and_b32_e32 v3, 0x8000, v3
	v_and_b32_e32 v19, 0xfc00, v19
	v_or3_b32 v31, v3, v19, v22
.LBB281_1446:                           ;   in Loop: Header=BB281_995 Depth=1
	s_or_b32 exec_lo, exec_lo, s20
.LBB281_1447:                           ;   in Loop: Header=BB281_995 Depth=1
	s_or_b32 exec_lo, exec_lo, s19
.LBB281_1448:                           ;   in Loop: Header=BB281_995 Depth=1
	s_or_b32 exec_lo, exec_lo, s18
	v_cmp_lt_u64_e64 s4, s[6:7], v[11:12]
	v_mov_b32_e32 v11, 0
	s_and_saveexec_b32 s18, s4
	s_cbranch_execz .LBB281_1456
; %bb.1449:                             ;   in Loop: Header=BB281_995 Depth=1
	v_lshrrev_b32_e32 v3, 24, v12
	v_bfrev_b32_e32 v11, 1
	s_mov_b32 s19, exec_lo
	v_cmpx_ne_u32_e32 0x80, v3
	s_cbranch_execz .LBB281_1455
; %bb.1450:                             ;   in Loop: Header=BB281_995 Depth=1
	v_and_b32_e32 v34, 0x7f, v3
	v_mov_b32_e32 v11, 0x7c010000
	s_mov_b32 s20, exec_lo
	v_cmpx_ne_u32_e32 0x7f, v34
	s_cbranch_execz .LBB281_1454
; %bb.1451:                             ;   in Loop: Header=BB281_995 Depth=1
	v_and_b32_e32 v11, 7, v3
	v_lshrrev_b32_e32 v12, 3, v34
	s_mov_b32 s21, exec_lo
	v_cmpx_gt_u32_e32 8, v34
; %bb.1452:                             ;   in Loop: Header=BB281_995 Depth=1
	v_ffbh_u32_e32 v11, v11
	v_min_u32_e32 v19, 32, v11
	v_subrev_nc_u32_e32 v11, 28, v19
	v_lshlrev_b64 v[11:12], v11, v[3:4]
	v_sub_nc_u32_e32 v12, 29, v19
	v_and_b32_e32 v11, 7, v11
; %bb.1453:                             ;   in Loop: Header=BB281_995 Depth=1
	s_or_b32 exec_lo, exec_lo, s21
	v_lshlrev_b32_e32 v3, 8, v3
	v_lshl_add_u32 v12, v12, 10, 0x2000
	v_lshlrev_b32_e32 v11, 23, v11
	v_and_or_b32 v3, 0x8000, v3, v12
	v_lshl_or_b32 v11, v3, 16, v11
.LBB281_1454:                           ;   in Loop: Header=BB281_995 Depth=1
	s_or_b32 exec_lo, exec_lo, s20
.LBB281_1455:                           ;   in Loop: Header=BB281_995 Depth=1
	s_or_b32 exec_lo, exec_lo, s19
.LBB281_1456:                           ;   in Loop: Header=BB281_995 Depth=1
	s_or_b32 exec_lo, exec_lo, s18
	v_or_b32_e32 v3, v18, v29
	s_waitcnt vmcnt(0) lgkmcnt(0)
	v_fma_mixlo_f16 v12, v0, v18, 0 op_sel:[0,1,0] op_sel_hi:[0,1,0]
	v_or_b32_e32 v2, v1, v2
	v_fma_mixlo_f16 v18, v0, v1, 0 op_sel:[0,1,0] op_sel_hi:[0,1,0]
	v_or_b32_e32 v19, v32, v23
	v_fma_mixlo_f16 v3, v0, v3, 0 op_sel_hi:[0,1,0]
	v_or_b32_e32 v22, v11, v31
	v_lshlrev_b32_e32 v1, 16, v12
	v_lshlrev_b32_e32 v12, 16, v18
	v_fma_mixlo_f16 v18, v0, v2, 0 op_sel_hi:[0,1,0]
	v_and_b32_e32 v2, 0xffff, v3
	v_fma_mixlo_f16 v3, v0, v32, 0 op_sel:[0,1,0] op_sel_hi:[0,1,0]
	v_fma_mixlo_f16 v19, v0, v19, 0 op_sel_hi:[0,1,0]
	v_fma_mixlo_f16 v11, v0, v11, 0 op_sel:[0,1,0] op_sel_hi:[0,1,0]
	v_fma_mixlo_f16 v22, v0, v22, 0 op_sel_hi:[0,1,0]
	v_and_b32_e32 v34, 0xffff, v18
	v_lshlrev_b32_e32 v3, 16, v3
	v_and_b32_e32 v23, 0xffff, v19
	v_lshlrev_b32_e32 v0, 16, v11
	v_and_b32_e32 v11, 0xffff, v22
	v_or_b32_e32 v18, v1, v2
	v_or_b32_e32 v32, v12, v34
	;; [unrolled: 1-line block ×4, first 2 shown]
	s_and_saveexec_b32 s18, vcc_lo
	s_cbranch_execz .LBB281_1458
; %bb.1457:                             ;   in Loop: Header=BB281_995 Depth=1
	v_cmp_lt_i32_e64 s4, v70, v30
	v_cndmask_b32_e64 v18, 0, v34, s4
	v_cmp_lt_i32_e64 s4, v99, v30
	v_cndmask_b32_e64 v12, 0, v12, s4
	v_cmp_lt_i32_e64 s4, v98, v30
	v_or_b32_e32 v32, v18, v12
	v_cndmask_b32_e64 v2, 0, v2, s4
	v_cmp_lt_i32_e64 s4, v97, v30
	v_cndmask_b32_e64 v1, 0, v1, s4
	v_cmp_lt_i32_e64 s4, v96, v30
	v_or_b32_e32 v18, v2, v1
	;; [unrolled: 5-line block ×3, first 2 shown]
	v_cndmask_b32_e64 v11, 0, v11, s4
	v_cmp_lt_i32_e64 s4, v85, v30
	v_cndmask_b32_e64 v0, 0, v0, s4
	v_or_b32_e32 v29, v11, v0
.LBB281_1458:                           ;   in Loop: Header=BB281_995 Depth=1
	s_or_b32 exec_lo, exec_lo, s18
	;;#ASMSTART
	v_pk_mul_f16 v0, v84, v32;

	;;#ASMEND
	;;#ASMSTART
	v_pk_mul_f16 v1, v83, v18;

	;;#ASMEND
	;; [unrolled: 4-line block ×4, first 2 shown]
	;;#ASMSTART
	v_pk_add_f16 v0, v0, v1;

	;;#ASMEND
	;;#ASMSTART
	v_pk_add_f16 v0, v0, v2;

	;;#ASMEND
	;; [unrolled: 4-line block ×3, first 2 shown]
	v_and_b32_e32 v1, 0xffff, v0
	v_lshrrev_b32_e32 v0, 16, v0
	;;#ASMSTART
	v_cvt_f32_f16 v118, v1;
	;;#ASMEND
	;;#ASMSTART
	v_cvt_f32_f16 v119, v0;
	;;#ASMEND
	flat_load_dwordx2 v[11:12], v[9:10] offset:1792
	s_clause 0x1
	buffer_load_dword v0, off, s[0:3], s32 offset:192
	buffer_load_dword v1, off, s[0:3], s32 offset:196
	v_mov_b32_e32 v2, 0
	s_waitcnt vmcnt(2) lgkmcnt(0)
	v_cmp_ne_u16_sdwa s4, v11, v4 src0_sel:BYTE_0 src1_sel:DWORD
	s_waitcnt vmcnt(0)
	flat_load_dword v0, v[0:1]
	v_mov_b32_e32 v1, 0
	s_and_saveexec_b32 s18, s4
	s_cbranch_execz .LBB281_1466
; %bb.1459:                             ;   in Loop: Header=BB281_995 Depth=1
	v_cmp_ne_u16_sdwa s4, v11, v39 src0_sel:BYTE_0 src1_sel:DWORD
	v_mov_b32_e32 v2, 0x8000
	s_and_saveexec_b32 s19, s4
	s_cbranch_execz .LBB281_1465
; %bb.1460:                             ;   in Loop: Header=BB281_995 Depth=1
	v_and_b32_e32 v18, 0x7f, v11
	v_mov_b32_e32 v2, 0x7c01
	s_mov_b32 s20, exec_lo
	v_cmpx_ne_u32_e32 0x7f, v18
	s_cbranch_execz .LBB281_1464
; %bb.1461:                             ;   in Loop: Header=BB281_995 Depth=1
	v_and_b32_e32 v2, 7, v11
	v_lshrrev_b32_e32 v3, 3, v18
	s_mov_b32 s21, exec_lo
	v_cmpx_gt_u32_e32 8, v18
; %bb.1462:                             ;   in Loop: Header=BB281_995 Depth=1
	v_ffbh_u32_e32 v2, v2
	v_min_u32_e32 v18, 32, v2
	v_subrev_nc_u32_e32 v2, 28, v18
	v_lshlrev_b64 v[2:3], v2, v[11:12]
	v_sub_nc_u32_e32 v3, 29, v18
	v_and_b32_e32 v2, 7, v2
; %bb.1463:                             ;   in Loop: Header=BB281_995 Depth=1
	s_or_b32 exec_lo, exec_lo, s21
	v_lshlrev_b32_e32 v18, 8, v11
	v_lshl_add_u32 v3, v3, 10, 0x2000
	v_lshlrev_b32_e32 v2, 7, v2
	v_and_b32_e32 v18, 0x8000, v18
	v_and_b32_e32 v3, 0xfc00, v3
	v_or3_b32 v2, v18, v3, v2
.LBB281_1464:                           ;   in Loop: Header=BB281_995 Depth=1
	s_or_b32 exec_lo, exec_lo, s20
.LBB281_1465:                           ;   in Loop: Header=BB281_995 Depth=1
	s_or_b32 exec_lo, exec_lo, s19
.LBB281_1466:                           ;   in Loop: Header=BB281_995 Depth=1
	s_or_b32 exec_lo, exec_lo, s18
	v_lshrrev_b16 v3, 8, v11
	s_mov_b32 s18, exec_lo
	v_cmpx_ne_u16_e32 0, v3
	s_cbranch_execz .LBB281_1474
; %bb.1467:                             ;   in Loop: Header=BB281_995 Depth=1
	v_bfrev_b32_e32 v1, 1
	s_mov_b32 s19, exec_lo
	v_cmpx_ne_u16_e32 0x80, v3
	s_cbranch_execz .LBB281_1473
; %bb.1468:                             ;   in Loop: Header=BB281_995 Depth=1
	v_and_b32_sdwa v23, v3, v48 dst_sel:DWORD dst_unused:UNUSED_PAD src0_sel:WORD_0 src1_sel:DWORD
	v_mov_b32_e32 v1, 0x7c010000
	s_mov_b32 s20, exec_lo
	v_cmpx_ne_u32_e32 0x7f, v23
	s_cbranch_execz .LBB281_1472
; %bb.1469:                             ;   in Loop: Header=BB281_995 Depth=1
	v_and_b32_sdwa v1, v3, v65 dst_sel:DWORD dst_unused:UNUSED_PAD src0_sel:WORD_0 src1_sel:DWORD
	v_lshrrev_b32_e32 v18, 3, v23
	s_mov_b32 s21, exec_lo
	v_cmpx_gt_u32_e32 8, v23
; %bb.1470:                             ;   in Loop: Header=BB281_995 Depth=1
	v_ffbh_u32_e32 v1, v1
	v_min_u32_e32 v1, 32, v1
	v_subrev_nc_u32_e32 v18, 28, v1
	v_lshlrev_b64 v[22:23], v18, v[3:4]
	v_sub_nc_u32_e32 v18, 29, v1
	v_and_b32_e32 v1, 7, v22
; %bb.1471:                             ;   in Loop: Header=BB281_995 Depth=1
	s_or_b32 exec_lo, exec_lo, s21
	v_lshlrev_b32_sdwa v3, v66, v3 dst_sel:DWORD dst_unused:UNUSED_PAD src0_sel:DWORD src1_sel:WORD_0
	v_lshl_add_u32 v18, v18, 10, 0x2000
	v_lshlrev_b32_e32 v1, 23, v1
	v_and_or_b32 v3, 0x8000, v3, v18
	v_lshl_or_b32 v1, v3, 16, v1
.LBB281_1472:                           ;   in Loop: Header=BB281_995 Depth=1
	s_or_b32 exec_lo, exec_lo, s20
.LBB281_1473:                           ;   in Loop: Header=BB281_995 Depth=1
	s_or_b32 exec_lo, exec_lo, s19
.LBB281_1474:                           ;   in Loop: Header=BB281_995 Depth=1
	s_or_b32 exec_lo, exec_lo, s18
	v_lshrrev_b32_e32 v3, 16, v11
	v_mov_b32_e32 v18, 0
	v_mov_b32_e32 v29, 0
	v_cmp_ne_u16_sdwa s4, v3, v4 src0_sel:BYTE_0 src1_sel:DWORD
	s_and_saveexec_b32 s18, s4
	s_cbranch_execz .LBB281_1482
; %bb.1475:                             ;   in Loop: Header=BB281_995 Depth=1
	v_cmp_ne_u16_sdwa s4, v3, v39 src0_sel:BYTE_0 src1_sel:DWORD
	v_mov_b32_e32 v29, 0x8000
	s_and_saveexec_b32 s19, s4
	s_cbranch_execz .LBB281_1481
; %bb.1476:                             ;   in Loop: Header=BB281_995 Depth=1
	v_bfe_u32 v31, v11, 16, 7
	v_mov_b32_e32 v29, 0x7c01
	s_mov_b32 s20, exec_lo
	v_cmpx_ne_u32_e32 0x7f, v31
	s_cbranch_execz .LBB281_1480
; %bb.1477:                             ;   in Loop: Header=BB281_995 Depth=1
	v_and_b32_e32 v23, 7, v3
	v_lshrrev_b32_e32 v29, 3, v31
	s_mov_b32 s21, exec_lo
	v_cmpx_gt_u32_e32 8, v31
; %bb.1478:                             ;   in Loop: Header=BB281_995 Depth=1
	v_ffbh_u32_e32 v19, v23
	v_min_u32_e32 v19, 32, v19
	v_subrev_nc_u32_e32 v22, 28, v19
	v_sub_nc_u32_e32 v29, 29, v19
	v_lshlrev_b64 v[22:23], v22, v[3:4]
	v_and_b32_e32 v23, 7, v22
; %bb.1479:                             ;   in Loop: Header=BB281_995 Depth=1
	s_or_b32 exec_lo, exec_lo, s21
	v_lshlrev_b32_e32 v3, 8, v3
	v_lshl_add_u32 v19, v29, 10, 0x2000
	v_lshlrev_b32_e32 v22, 7, v23
	v_and_b32_e32 v3, 0x8000, v3
	v_and_b32_e32 v19, 0xfc00, v19
	v_or3_b32 v29, v3, v19, v22
.LBB281_1480:                           ;   in Loop: Header=BB281_995 Depth=1
	s_or_b32 exec_lo, exec_lo, s20
.LBB281_1481:                           ;   in Loop: Header=BB281_995 Depth=1
	s_or_b32 exec_lo, exec_lo, s19
.LBB281_1482:                           ;   in Loop: Header=BB281_995 Depth=1
	s_or_b32 exec_lo, exec_lo, s18
	s_mov_b32 s18, exec_lo
	v_cmpx_lt_u32_e32 0xffffff, v11
	s_cbranch_execz .LBB281_1490
; %bb.1483:                             ;   in Loop: Header=BB281_995 Depth=1
	v_lshrrev_b32_e32 v3, 24, v11
	v_bfrev_b32_e32 v18, 1
	s_mov_b32 s19, exec_lo
	v_cmpx_ne_u32_e32 0x80, v3
	s_cbranch_execz .LBB281_1489
; %bb.1484:                             ;   in Loop: Header=BB281_995 Depth=1
	v_and_b32_e32 v31, 0x7f, v3
	v_mov_b32_e32 v18, 0x7c010000
	s_mov_b32 s20, exec_lo
	v_cmpx_ne_u32_e32 0x7f, v31
	s_cbranch_execz .LBB281_1488
; %bb.1485:                             ;   in Loop: Header=BB281_995 Depth=1
	v_and_b32_e32 v18, 7, v3
	v_lshrrev_b32_e32 v23, 3, v31
	s_mov_b32 s21, exec_lo
	v_cmpx_gt_u32_e32 8, v31
; %bb.1486:                             ;   in Loop: Header=BB281_995 Depth=1
	v_ffbh_u32_e32 v18, v18
	v_min_u32_e32 v22, 32, v18
	v_subrev_nc_u32_e32 v18, 28, v22
	v_sub_nc_u32_e32 v23, 29, v22
	v_lshlrev_b64 v[18:19], v18, v[3:4]
	v_and_b32_e32 v18, 7, v18
; %bb.1487:                             ;   in Loop: Header=BB281_995 Depth=1
	s_or_b32 exec_lo, exec_lo, s21
	v_lshlrev_b32_e32 v3, 8, v3
	v_lshl_add_u32 v19, v23, 10, 0x2000
	v_lshlrev_b32_e32 v18, 23, v18
	v_and_or_b32 v3, 0x8000, v3, v19
	v_lshl_or_b32 v18, v3, 16, v18
.LBB281_1488:                           ;   in Loop: Header=BB281_995 Depth=1
	s_or_b32 exec_lo, exec_lo, s20
.LBB281_1489:                           ;   in Loop: Header=BB281_995 Depth=1
	s_or_b32 exec_lo, exec_lo, s19
.LBB281_1490:                           ;   in Loop: Header=BB281_995 Depth=1
	s_or_b32 exec_lo, exec_lo, s18
	v_mov_b32_e32 v3, v12
	v_cmp_ne_u16_sdwa s4, v12, v4 src0_sel:BYTE_0 src1_sel:DWORD
	v_mov_b32_e32 v31, 0
	v_mov_b32_e32 v23, 0
	s_and_saveexec_b32 s18, s4
	s_cbranch_execz .LBB281_1498
; %bb.1491:                             ;   in Loop: Header=BB281_995 Depth=1
	v_cmp_ne_u16_sdwa s4, v12, v39 src0_sel:BYTE_0 src1_sel:DWORD
	v_mov_b32_e32 v23, 0x8000
	s_and_saveexec_b32 s19, s4
	s_cbranch_execz .LBB281_1497
; %bb.1492:                             ;   in Loop: Header=BB281_995 Depth=1
	v_and_b32_e32 v34, 0x7f, v12
	v_mov_b32_e32 v23, 0x7c01
	s_mov_b32 s20, exec_lo
	v_cmpx_ne_u32_e32 0x7f, v34
	s_cbranch_execz .LBB281_1496
; %bb.1493:                             ;   in Loop: Header=BB281_995 Depth=1
	v_and_b32_e32 v23, 7, v12
	v_lshrrev_b32_e32 v32, 3, v34
	s_mov_b32 s21, exec_lo
	v_cmpx_gt_u32_e32 8, v34
; %bb.1494:                             ;   in Loop: Header=BB281_995 Depth=1
	v_ffbh_u32_e32 v19, v23
	v_min_u32_e32 v19, 32, v19
	v_subrev_nc_u32_e32 v22, 28, v19
	v_sub_nc_u32_e32 v32, 29, v19
	v_lshlrev_b64 v[22:23], v22, v[3:4]
	v_and_b32_e32 v23, 7, v22
; %bb.1495:                             ;   in Loop: Header=BB281_995 Depth=1
	s_or_b32 exec_lo, exec_lo, s21
	v_lshlrev_b32_e32 v19, 8, v12
	v_lshl_add_u32 v22, v32, 10, 0x2000
	v_lshlrev_b32_e32 v23, 7, v23
	v_and_b32_e32 v19, 0x8000, v19
	v_and_b32_e32 v22, 0xfc00, v22
	v_or3_b32 v23, v19, v22, v23
.LBB281_1496:                           ;   in Loop: Header=BB281_995 Depth=1
	s_or_b32 exec_lo, exec_lo, s20
.LBB281_1497:                           ;   in Loop: Header=BB281_995 Depth=1
	s_or_b32 exec_lo, exec_lo, s19
.LBB281_1498:                           ;   in Loop: Header=BB281_995 Depth=1
	s_or_b32 exec_lo, exec_lo, s18
	v_lshrrev_b16 v3, 8, v3
	v_mov_b32_e32 v32, 0
	s_mov_b32 s18, exec_lo
	v_cmpx_ne_u16_e32 0, v3
	s_cbranch_execz .LBB281_1506
; %bb.1499:                             ;   in Loop: Header=BB281_995 Depth=1
	v_bfrev_b32_e32 v32, 1
	s_mov_b32 s19, exec_lo
	v_cmpx_ne_u16_e32 0x80, v3
	s_cbranch_execz .LBB281_1505
; %bb.1500:                             ;   in Loop: Header=BB281_995 Depth=1
	v_and_b32_sdwa v35, v3, v48 dst_sel:DWORD dst_unused:UNUSED_PAD src0_sel:WORD_0 src1_sel:DWORD
	v_mov_b32_e32 v32, 0x7c010000
	s_mov_b32 s20, exec_lo
	v_cmpx_ne_u32_e32 0x7f, v35
	s_cbranch_execz .LBB281_1504
; %bb.1501:                             ;   in Loop: Header=BB281_995 Depth=1
	v_and_b32_sdwa v32, v3, v65 dst_sel:DWORD dst_unused:UNUSED_PAD src0_sel:WORD_0 src1_sel:DWORD
	v_lshrrev_b32_e32 v34, 3, v35
	s_mov_b32 s21, exec_lo
	v_cmpx_gt_u32_e32 8, v35
; %bb.1502:                             ;   in Loop: Header=BB281_995 Depth=1
	v_ffbh_u32_e32 v19, v32
	v_min_u32_e32 v19, 32, v19
	v_subrev_nc_u32_e32 v22, 28, v19
	v_sub_nc_u32_e32 v34, 29, v19
	v_lshlrev_b64 v[35:36], v22, v[3:4]
	v_and_b32_e32 v32, 7, v35
; %bb.1503:                             ;   in Loop: Header=BB281_995 Depth=1
	s_or_b32 exec_lo, exec_lo, s21
	v_lshlrev_b32_sdwa v3, v66, v3 dst_sel:DWORD dst_unused:UNUSED_PAD src0_sel:DWORD src1_sel:WORD_0
	v_lshl_add_u32 v19, v34, 10, 0x2000
	v_and_or_b32 v3, 0x8000, v3, v19
	v_lshlrev_b32_e32 v19, 23, v32
	v_lshl_or_b32 v32, v3, 16, v19
.LBB281_1504:                           ;   in Loop: Header=BB281_995 Depth=1
	s_or_b32 exec_lo, exec_lo, s20
.LBB281_1505:                           ;   in Loop: Header=BB281_995 Depth=1
	s_or_b32 exec_lo, exec_lo, s19
.LBB281_1506:                           ;   in Loop: Header=BB281_995 Depth=1
	s_or_b32 exec_lo, exec_lo, s18
	v_lshrrev_b32_e32 v3, 16, v12
	v_cmp_ne_u16_sdwa s4, v3, v4 src0_sel:BYTE_0 src1_sel:DWORD
	s_and_saveexec_b32 s18, s4
	s_cbranch_execz .LBB281_1514
; %bb.1507:                             ;   in Loop: Header=BB281_995 Depth=1
	v_cmp_ne_u16_sdwa s4, v3, v39 src0_sel:BYTE_0 src1_sel:DWORD
	v_mov_b32_e32 v31, 0x8000
	s_and_saveexec_b32 s19, s4
	s_cbranch_execz .LBB281_1513
; %bb.1508:                             ;   in Loop: Header=BB281_995 Depth=1
	v_bfe_u32 v35, v12, 16, 7
	v_mov_b32_e32 v31, 0x7c01
	s_mov_b32 s20, exec_lo
	v_cmpx_ne_u32_e32 0x7f, v35
	s_cbranch_execz .LBB281_1512
; %bb.1509:                             ;   in Loop: Header=BB281_995 Depth=1
	v_and_b32_e32 v31, 7, v3
	v_lshrrev_b32_e32 v34, 3, v35
	s_mov_b32 s21, exec_lo
	v_cmpx_gt_u32_e32 8, v35
; %bb.1510:                             ;   in Loop: Header=BB281_995 Depth=1
	v_ffbh_u32_e32 v19, v31
	v_min_u32_e32 v19, 32, v19
	v_subrev_nc_u32_e32 v22, 28, v19
	v_sub_nc_u32_e32 v34, 29, v19
	v_lshlrev_b64 v[35:36], v22, v[3:4]
	v_and_b32_e32 v31, 7, v35
; %bb.1511:                             ;   in Loop: Header=BB281_995 Depth=1
	s_or_b32 exec_lo, exec_lo, s21
	v_lshlrev_b32_e32 v3, 8, v3
	v_lshl_add_u32 v19, v34, 10, 0x2000
	v_lshlrev_b32_e32 v22, 7, v31
	v_and_b32_e32 v3, 0x8000, v3
	v_and_b32_e32 v19, 0xfc00, v19
	v_or3_b32 v31, v3, v19, v22
.LBB281_1512:                           ;   in Loop: Header=BB281_995 Depth=1
	s_or_b32 exec_lo, exec_lo, s20
.LBB281_1513:                           ;   in Loop: Header=BB281_995 Depth=1
	s_or_b32 exec_lo, exec_lo, s19
.LBB281_1514:                           ;   in Loop: Header=BB281_995 Depth=1
	s_or_b32 exec_lo, exec_lo, s18
	v_cmp_lt_u64_e64 s4, s[6:7], v[11:12]
	v_mov_b32_e32 v11, 0
	s_and_saveexec_b32 s18, s4
	s_cbranch_execz .LBB281_1522
; %bb.1515:                             ;   in Loop: Header=BB281_995 Depth=1
	v_lshrrev_b32_e32 v3, 24, v12
	v_bfrev_b32_e32 v11, 1
	s_mov_b32 s19, exec_lo
	v_cmpx_ne_u32_e32 0x80, v3
	s_cbranch_execz .LBB281_1521
; %bb.1516:                             ;   in Loop: Header=BB281_995 Depth=1
	v_and_b32_e32 v34, 0x7f, v3
	v_mov_b32_e32 v11, 0x7c010000
	s_mov_b32 s20, exec_lo
	v_cmpx_ne_u32_e32 0x7f, v34
	s_cbranch_execz .LBB281_1520
; %bb.1517:                             ;   in Loop: Header=BB281_995 Depth=1
	v_and_b32_e32 v11, 7, v3
	v_lshrrev_b32_e32 v12, 3, v34
	s_mov_b32 s21, exec_lo
	v_cmpx_gt_u32_e32 8, v34
; %bb.1518:                             ;   in Loop: Header=BB281_995 Depth=1
	v_ffbh_u32_e32 v11, v11
	v_min_u32_e32 v19, 32, v11
	v_subrev_nc_u32_e32 v11, 28, v19
	v_lshlrev_b64 v[11:12], v11, v[3:4]
	v_sub_nc_u32_e32 v12, 29, v19
	v_and_b32_e32 v11, 7, v11
; %bb.1519:                             ;   in Loop: Header=BB281_995 Depth=1
	s_or_b32 exec_lo, exec_lo, s21
	v_lshlrev_b32_e32 v3, 8, v3
	v_lshl_add_u32 v12, v12, 10, 0x2000
	v_lshlrev_b32_e32 v11, 23, v11
	v_and_or_b32 v3, 0x8000, v3, v12
	v_lshl_or_b32 v11, v3, 16, v11
.LBB281_1520:                           ;   in Loop: Header=BB281_995 Depth=1
	s_or_b32 exec_lo, exec_lo, s20
.LBB281_1521:                           ;   in Loop: Header=BB281_995 Depth=1
	s_or_b32 exec_lo, exec_lo, s19
.LBB281_1522:                           ;   in Loop: Header=BB281_995 Depth=1
	s_or_b32 exec_lo, exec_lo, s18
	v_or_b32_e32 v3, v18, v29
	s_waitcnt vmcnt(0) lgkmcnt(0)
	v_fma_mixlo_f16 v12, v0, v18, 0 op_sel:[0,1,0] op_sel_hi:[0,1,0]
	v_or_b32_e32 v2, v1, v2
	v_fma_mixlo_f16 v18, v0, v1, 0 op_sel:[0,1,0] op_sel_hi:[0,1,0]
	v_or_b32_e32 v19, v32, v23
	v_fma_mixlo_f16 v3, v0, v3, 0 op_sel_hi:[0,1,0]
	v_or_b32_e32 v22, v11, v31
	v_lshlrev_b32_e32 v1, 16, v12
	v_lshlrev_b32_e32 v12, 16, v18
	v_fma_mixlo_f16 v18, v0, v2, 0 op_sel_hi:[0,1,0]
	v_and_b32_e32 v2, 0xffff, v3
	v_fma_mixlo_f16 v3, v0, v32, 0 op_sel:[0,1,0] op_sel_hi:[0,1,0]
	v_fma_mixlo_f16 v19, v0, v19, 0 op_sel_hi:[0,1,0]
	v_fma_mixlo_f16 v11, v0, v11, 0 op_sel:[0,1,0] op_sel_hi:[0,1,0]
	v_fma_mixlo_f16 v22, v0, v22, 0 op_sel_hi:[0,1,0]
	v_and_b32_e32 v34, 0xffff, v18
	v_lshlrev_b32_e32 v3, 16, v3
	v_and_b32_e32 v23, 0xffff, v19
	v_lshlrev_b32_e32 v0, 16, v11
	v_and_b32_e32 v11, 0xffff, v22
	v_or_b32_e32 v18, v1, v2
	v_or_b32_e32 v32, v12, v34
	;; [unrolled: 1-line block ×4, first 2 shown]
	s_and_saveexec_b32 s18, vcc_lo
	s_cbranch_execz .LBB281_1524
; %bb.1523:                             ;   in Loop: Header=BB281_995 Depth=1
	v_cmp_lt_i32_e64 s4, v70, v30
	v_cndmask_b32_e64 v18, 0, v34, s4
	v_cmp_lt_i32_e64 s4, v99, v30
	v_cndmask_b32_e64 v12, 0, v12, s4
	v_cmp_lt_i32_e64 s4, v98, v30
	v_or_b32_e32 v32, v18, v12
	v_cndmask_b32_e64 v2, 0, v2, s4
	v_cmp_lt_i32_e64 s4, v97, v30
	v_cndmask_b32_e64 v1, 0, v1, s4
	v_cmp_lt_i32_e64 s4, v96, v30
	v_or_b32_e32 v18, v2, v1
	;; [unrolled: 5-line block ×3, first 2 shown]
	v_cndmask_b32_e64 v11, 0, v11, s4
	v_cmp_lt_i32_e64 s4, v85, v30
	v_cndmask_b32_e64 v0, 0, v0, s4
	v_or_b32_e32 v29, v11, v0
.LBB281_1524:                           ;   in Loop: Header=BB281_995 Depth=1
	s_or_b32 exec_lo, exec_lo, s18
	v_add_co_u32 v9, s4, 0x800, v9
	;;#ASMSTART
	v_pk_mul_f16 v0, v84, v32;

	;;#ASMEND
	v_add_co_ci_u32_e64 v10, null, 0, v10, s4
	;;#ASMSTART
	v_pk_mul_f16 v1, v83, v18;

	;;#ASMEND
	;;#ASMSTART
	v_pk_mul_f16 v2, v82, v31;

	;;#ASMEND
	;; [unrolled: 4-line block ×3, first 2 shown]
	;;#ASMSTART
	v_pk_add_f16 v0, v0, v1;

	;;#ASMEND
	;;#ASMSTART
	v_pk_add_f16 v0, v0, v2;

	;;#ASMEND
	;; [unrolled: 4-line block ×3, first 2 shown]
	v_lshrrev_b32_e32 v1, 16, v0
	v_and_b32_e32 v0, 0xffff, v0
	;;#ASMSTART
	v_cvt_f32_f16 v40, v0;
	;;#ASMEND
	;;#ASMSTART
	v_cvt_f32_f16 v41, v1;
	;;#ASMEND
	flat_load_dwordx2 v[11:12], v[9:10]
	s_clause 0x1
	buffer_load_dword v0, off, s[0:3], s32 offset:192
	buffer_load_dword v1, off, s[0:3], s32 offset:196
	v_mov_b32_e32 v2, 0
	s_waitcnt vmcnt(2) lgkmcnt(0)
	v_cmp_ne_u16_sdwa s4, v11, v4 src0_sel:BYTE_0 src1_sel:DWORD
	s_waitcnt vmcnt(0)
	flat_load_dword v0, v[0:1]
	v_mov_b32_e32 v1, 0
	s_and_saveexec_b32 s18, s4
	s_cbranch_execz .LBB281_1532
; %bb.1525:                             ;   in Loop: Header=BB281_995 Depth=1
	v_cmp_ne_u16_sdwa s4, v11, v39 src0_sel:BYTE_0 src1_sel:DWORD
	v_mov_b32_e32 v2, 0x8000
	s_and_saveexec_b32 s19, s4
	s_cbranch_execz .LBB281_1531
; %bb.1526:                             ;   in Loop: Header=BB281_995 Depth=1
	v_and_b32_e32 v18, 0x7f, v11
	v_mov_b32_e32 v2, 0x7c01
	s_mov_b32 s20, exec_lo
	v_cmpx_ne_u32_e32 0x7f, v18
	s_cbranch_execz .LBB281_1530
; %bb.1527:                             ;   in Loop: Header=BB281_995 Depth=1
	v_and_b32_e32 v2, 7, v11
	v_lshrrev_b32_e32 v3, 3, v18
	s_mov_b32 s21, exec_lo
	v_cmpx_gt_u32_e32 8, v18
; %bb.1528:                             ;   in Loop: Header=BB281_995 Depth=1
	v_ffbh_u32_e32 v2, v2
	v_min_u32_e32 v18, 32, v2
	v_subrev_nc_u32_e32 v2, 28, v18
	v_lshlrev_b64 v[2:3], v2, v[11:12]
	v_sub_nc_u32_e32 v3, 29, v18
	v_and_b32_e32 v2, 7, v2
; %bb.1529:                             ;   in Loop: Header=BB281_995 Depth=1
	s_or_b32 exec_lo, exec_lo, s21
	v_lshlrev_b32_e32 v18, 8, v11
	v_lshl_add_u32 v3, v3, 10, 0x2000
	v_lshlrev_b32_e32 v2, 7, v2
	v_and_b32_e32 v18, 0x8000, v18
	v_and_b32_e32 v3, 0xfc00, v3
	v_or3_b32 v2, v18, v3, v2
.LBB281_1530:                           ;   in Loop: Header=BB281_995 Depth=1
	s_or_b32 exec_lo, exec_lo, s20
.LBB281_1531:                           ;   in Loop: Header=BB281_995 Depth=1
	s_or_b32 exec_lo, exec_lo, s19
.LBB281_1532:                           ;   in Loop: Header=BB281_995 Depth=1
	s_or_b32 exec_lo, exec_lo, s18
	v_lshrrev_b16 v3, 8, v11
	s_mov_b32 s18, exec_lo
	v_cmpx_ne_u16_e32 0, v3
	s_cbranch_execz .LBB281_1540
; %bb.1533:                             ;   in Loop: Header=BB281_995 Depth=1
	v_bfrev_b32_e32 v1, 1
	s_mov_b32 s19, exec_lo
	v_cmpx_ne_u16_e32 0x80, v3
	s_cbranch_execz .LBB281_1539
; %bb.1534:                             ;   in Loop: Header=BB281_995 Depth=1
	v_and_b32_sdwa v23, v3, v48 dst_sel:DWORD dst_unused:UNUSED_PAD src0_sel:WORD_0 src1_sel:DWORD
	v_mov_b32_e32 v1, 0x7c010000
	s_mov_b32 s20, exec_lo
	v_cmpx_ne_u32_e32 0x7f, v23
	s_cbranch_execz .LBB281_1538
; %bb.1535:                             ;   in Loop: Header=BB281_995 Depth=1
	v_and_b32_sdwa v1, v3, v65 dst_sel:DWORD dst_unused:UNUSED_PAD src0_sel:WORD_0 src1_sel:DWORD
	v_lshrrev_b32_e32 v18, 3, v23
	s_mov_b32 s21, exec_lo
	v_cmpx_gt_u32_e32 8, v23
; %bb.1536:                             ;   in Loop: Header=BB281_995 Depth=1
	v_ffbh_u32_e32 v1, v1
	v_min_u32_e32 v1, 32, v1
	v_subrev_nc_u32_e32 v18, 28, v1
	v_lshlrev_b64 v[22:23], v18, v[3:4]
	v_sub_nc_u32_e32 v18, 29, v1
	v_and_b32_e32 v1, 7, v22
; %bb.1537:                             ;   in Loop: Header=BB281_995 Depth=1
	s_or_b32 exec_lo, exec_lo, s21
	v_lshlrev_b32_sdwa v3, v66, v3 dst_sel:DWORD dst_unused:UNUSED_PAD src0_sel:DWORD src1_sel:WORD_0
	v_lshl_add_u32 v18, v18, 10, 0x2000
	v_lshlrev_b32_e32 v1, 23, v1
	v_and_or_b32 v3, 0x8000, v3, v18
	v_lshl_or_b32 v1, v3, 16, v1
.LBB281_1538:                           ;   in Loop: Header=BB281_995 Depth=1
	s_or_b32 exec_lo, exec_lo, s20
.LBB281_1539:                           ;   in Loop: Header=BB281_995 Depth=1
	s_or_b32 exec_lo, exec_lo, s19
.LBB281_1540:                           ;   in Loop: Header=BB281_995 Depth=1
	s_or_b32 exec_lo, exec_lo, s18
	v_lshrrev_b32_e32 v3, 16, v11
	v_mov_b32_e32 v18, 0
	v_mov_b32_e32 v29, 0
	v_cmp_ne_u16_sdwa s4, v3, v4 src0_sel:BYTE_0 src1_sel:DWORD
	s_and_saveexec_b32 s18, s4
	s_cbranch_execz .LBB281_1548
; %bb.1541:                             ;   in Loop: Header=BB281_995 Depth=1
	v_cmp_ne_u16_sdwa s4, v3, v39 src0_sel:BYTE_0 src1_sel:DWORD
	v_mov_b32_e32 v29, 0x8000
	s_and_saveexec_b32 s19, s4
	s_cbranch_execz .LBB281_1547
; %bb.1542:                             ;   in Loop: Header=BB281_995 Depth=1
	v_bfe_u32 v31, v11, 16, 7
	v_mov_b32_e32 v29, 0x7c01
	s_mov_b32 s20, exec_lo
	v_cmpx_ne_u32_e32 0x7f, v31
	s_cbranch_execz .LBB281_1546
; %bb.1543:                             ;   in Loop: Header=BB281_995 Depth=1
	v_and_b32_e32 v23, 7, v3
	v_lshrrev_b32_e32 v29, 3, v31
	s_mov_b32 s21, exec_lo
	v_cmpx_gt_u32_e32 8, v31
; %bb.1544:                             ;   in Loop: Header=BB281_995 Depth=1
	v_ffbh_u32_e32 v19, v23
	v_min_u32_e32 v19, 32, v19
	v_subrev_nc_u32_e32 v22, 28, v19
	v_sub_nc_u32_e32 v29, 29, v19
	v_lshlrev_b64 v[22:23], v22, v[3:4]
	v_and_b32_e32 v23, 7, v22
; %bb.1545:                             ;   in Loop: Header=BB281_995 Depth=1
	s_or_b32 exec_lo, exec_lo, s21
	v_lshlrev_b32_e32 v3, 8, v3
	v_lshl_add_u32 v19, v29, 10, 0x2000
	v_lshlrev_b32_e32 v22, 7, v23
	v_and_b32_e32 v3, 0x8000, v3
	v_and_b32_e32 v19, 0xfc00, v19
	v_or3_b32 v29, v3, v19, v22
.LBB281_1546:                           ;   in Loop: Header=BB281_995 Depth=1
	s_or_b32 exec_lo, exec_lo, s20
.LBB281_1547:                           ;   in Loop: Header=BB281_995 Depth=1
	s_or_b32 exec_lo, exec_lo, s19
.LBB281_1548:                           ;   in Loop: Header=BB281_995 Depth=1
	s_or_b32 exec_lo, exec_lo, s18
	s_mov_b32 s18, exec_lo
	v_cmpx_lt_u32_e32 0xffffff, v11
	s_cbranch_execz .LBB281_1556
; %bb.1549:                             ;   in Loop: Header=BB281_995 Depth=1
	v_lshrrev_b32_e32 v3, 24, v11
	v_bfrev_b32_e32 v18, 1
	s_mov_b32 s19, exec_lo
	v_cmpx_ne_u32_e32 0x80, v3
	s_cbranch_execz .LBB281_1555
; %bb.1550:                             ;   in Loop: Header=BB281_995 Depth=1
	v_and_b32_e32 v31, 0x7f, v3
	v_mov_b32_e32 v18, 0x7c010000
	s_mov_b32 s20, exec_lo
	v_cmpx_ne_u32_e32 0x7f, v31
	s_cbranch_execz .LBB281_1554
; %bb.1551:                             ;   in Loop: Header=BB281_995 Depth=1
	v_and_b32_e32 v18, 7, v3
	v_lshrrev_b32_e32 v23, 3, v31
	s_mov_b32 s21, exec_lo
	v_cmpx_gt_u32_e32 8, v31
; %bb.1552:                             ;   in Loop: Header=BB281_995 Depth=1
	v_ffbh_u32_e32 v18, v18
	v_min_u32_e32 v22, 32, v18
	v_subrev_nc_u32_e32 v18, 28, v22
	v_sub_nc_u32_e32 v23, 29, v22
	v_lshlrev_b64 v[18:19], v18, v[3:4]
	v_and_b32_e32 v18, 7, v18
; %bb.1553:                             ;   in Loop: Header=BB281_995 Depth=1
	s_or_b32 exec_lo, exec_lo, s21
	v_lshlrev_b32_e32 v3, 8, v3
	v_lshl_add_u32 v19, v23, 10, 0x2000
	v_lshlrev_b32_e32 v18, 23, v18
	v_and_or_b32 v3, 0x8000, v3, v19
	v_lshl_or_b32 v18, v3, 16, v18
.LBB281_1554:                           ;   in Loop: Header=BB281_995 Depth=1
	s_or_b32 exec_lo, exec_lo, s20
.LBB281_1555:                           ;   in Loop: Header=BB281_995 Depth=1
	s_or_b32 exec_lo, exec_lo, s19
.LBB281_1556:                           ;   in Loop: Header=BB281_995 Depth=1
	s_or_b32 exec_lo, exec_lo, s18
	v_mov_b32_e32 v3, v12
	v_cmp_ne_u16_sdwa s4, v12, v4 src0_sel:BYTE_0 src1_sel:DWORD
	v_mov_b32_e32 v31, 0
	v_mov_b32_e32 v23, 0
	s_and_saveexec_b32 s18, s4
	s_cbranch_execz .LBB281_1564
; %bb.1557:                             ;   in Loop: Header=BB281_995 Depth=1
	v_cmp_ne_u16_sdwa s4, v12, v39 src0_sel:BYTE_0 src1_sel:DWORD
	v_mov_b32_e32 v23, 0x8000
	s_and_saveexec_b32 s19, s4
	s_cbranch_execz .LBB281_1563
; %bb.1558:                             ;   in Loop: Header=BB281_995 Depth=1
	v_and_b32_e32 v34, 0x7f, v12
	v_mov_b32_e32 v23, 0x7c01
	s_mov_b32 s20, exec_lo
	v_cmpx_ne_u32_e32 0x7f, v34
	s_cbranch_execz .LBB281_1562
; %bb.1559:                             ;   in Loop: Header=BB281_995 Depth=1
	v_and_b32_e32 v23, 7, v12
	v_lshrrev_b32_e32 v32, 3, v34
	s_mov_b32 s21, exec_lo
	v_cmpx_gt_u32_e32 8, v34
; %bb.1560:                             ;   in Loop: Header=BB281_995 Depth=1
	v_ffbh_u32_e32 v19, v23
	v_min_u32_e32 v19, 32, v19
	v_subrev_nc_u32_e32 v22, 28, v19
	v_sub_nc_u32_e32 v32, 29, v19
	v_lshlrev_b64 v[22:23], v22, v[3:4]
	v_and_b32_e32 v23, 7, v22
; %bb.1561:                             ;   in Loop: Header=BB281_995 Depth=1
	s_or_b32 exec_lo, exec_lo, s21
	v_lshlrev_b32_e32 v19, 8, v12
	v_lshl_add_u32 v22, v32, 10, 0x2000
	v_lshlrev_b32_e32 v23, 7, v23
	v_and_b32_e32 v19, 0x8000, v19
	v_and_b32_e32 v22, 0xfc00, v22
	v_or3_b32 v23, v19, v22, v23
.LBB281_1562:                           ;   in Loop: Header=BB281_995 Depth=1
	s_or_b32 exec_lo, exec_lo, s20
.LBB281_1563:                           ;   in Loop: Header=BB281_995 Depth=1
	s_or_b32 exec_lo, exec_lo, s19
.LBB281_1564:                           ;   in Loop: Header=BB281_995 Depth=1
	s_or_b32 exec_lo, exec_lo, s18
	v_lshrrev_b16 v3, 8, v3
	v_mov_b32_e32 v32, 0
	s_mov_b32 s18, exec_lo
	v_cmpx_ne_u16_e32 0, v3
	s_cbranch_execz .LBB281_1572
; %bb.1565:                             ;   in Loop: Header=BB281_995 Depth=1
	v_bfrev_b32_e32 v32, 1
	s_mov_b32 s19, exec_lo
	v_cmpx_ne_u16_e32 0x80, v3
	s_cbranch_execz .LBB281_1571
; %bb.1566:                             ;   in Loop: Header=BB281_995 Depth=1
	v_and_b32_sdwa v35, v3, v48 dst_sel:DWORD dst_unused:UNUSED_PAD src0_sel:WORD_0 src1_sel:DWORD
	v_mov_b32_e32 v32, 0x7c010000
	s_mov_b32 s20, exec_lo
	v_cmpx_ne_u32_e32 0x7f, v35
	s_cbranch_execz .LBB281_1570
; %bb.1567:                             ;   in Loop: Header=BB281_995 Depth=1
	v_and_b32_sdwa v32, v3, v65 dst_sel:DWORD dst_unused:UNUSED_PAD src0_sel:WORD_0 src1_sel:DWORD
	v_lshrrev_b32_e32 v34, 3, v35
	s_mov_b32 s21, exec_lo
	v_cmpx_gt_u32_e32 8, v35
; %bb.1568:                             ;   in Loop: Header=BB281_995 Depth=1
	v_ffbh_u32_e32 v19, v32
	v_min_u32_e32 v19, 32, v19
	v_subrev_nc_u32_e32 v22, 28, v19
	v_sub_nc_u32_e32 v34, 29, v19
	v_lshlrev_b64 v[35:36], v22, v[3:4]
	v_and_b32_e32 v32, 7, v35
; %bb.1569:                             ;   in Loop: Header=BB281_995 Depth=1
	s_or_b32 exec_lo, exec_lo, s21
	v_lshlrev_b32_sdwa v3, v66, v3 dst_sel:DWORD dst_unused:UNUSED_PAD src0_sel:DWORD src1_sel:WORD_0
	v_lshl_add_u32 v19, v34, 10, 0x2000
	v_and_or_b32 v3, 0x8000, v3, v19
	v_lshlrev_b32_e32 v19, 23, v32
	v_lshl_or_b32 v32, v3, 16, v19
.LBB281_1570:                           ;   in Loop: Header=BB281_995 Depth=1
	s_or_b32 exec_lo, exec_lo, s20
.LBB281_1571:                           ;   in Loop: Header=BB281_995 Depth=1
	s_or_b32 exec_lo, exec_lo, s19
.LBB281_1572:                           ;   in Loop: Header=BB281_995 Depth=1
	s_or_b32 exec_lo, exec_lo, s18
	v_lshrrev_b32_e32 v3, 16, v12
	v_cmp_ne_u16_sdwa s4, v3, v4 src0_sel:BYTE_0 src1_sel:DWORD
	s_and_saveexec_b32 s18, s4
	s_cbranch_execz .LBB281_1580
; %bb.1573:                             ;   in Loop: Header=BB281_995 Depth=1
	v_cmp_ne_u16_sdwa s4, v3, v39 src0_sel:BYTE_0 src1_sel:DWORD
	v_mov_b32_e32 v31, 0x8000
	s_and_saveexec_b32 s19, s4
	s_cbranch_execz .LBB281_1579
; %bb.1574:                             ;   in Loop: Header=BB281_995 Depth=1
	v_bfe_u32 v35, v12, 16, 7
	v_mov_b32_e32 v31, 0x7c01
	s_mov_b32 s20, exec_lo
	v_cmpx_ne_u32_e32 0x7f, v35
	s_cbranch_execz .LBB281_1578
; %bb.1575:                             ;   in Loop: Header=BB281_995 Depth=1
	v_and_b32_e32 v31, 7, v3
	v_lshrrev_b32_e32 v34, 3, v35
	s_mov_b32 s21, exec_lo
	v_cmpx_gt_u32_e32 8, v35
; %bb.1576:                             ;   in Loop: Header=BB281_995 Depth=1
	v_ffbh_u32_e32 v19, v31
	v_min_u32_e32 v19, 32, v19
	v_subrev_nc_u32_e32 v22, 28, v19
	v_sub_nc_u32_e32 v34, 29, v19
	v_lshlrev_b64 v[35:36], v22, v[3:4]
	v_and_b32_e32 v31, 7, v35
; %bb.1577:                             ;   in Loop: Header=BB281_995 Depth=1
	s_or_b32 exec_lo, exec_lo, s21
	v_lshlrev_b32_e32 v3, 8, v3
	v_lshl_add_u32 v19, v34, 10, 0x2000
	v_lshlrev_b32_e32 v22, 7, v31
	v_and_b32_e32 v3, 0x8000, v3
	v_and_b32_e32 v19, 0xfc00, v19
	v_or3_b32 v31, v3, v19, v22
.LBB281_1578:                           ;   in Loop: Header=BB281_995 Depth=1
	s_or_b32 exec_lo, exec_lo, s20
.LBB281_1579:                           ;   in Loop: Header=BB281_995 Depth=1
	s_or_b32 exec_lo, exec_lo, s19
.LBB281_1580:                           ;   in Loop: Header=BB281_995 Depth=1
	s_or_b32 exec_lo, exec_lo, s18
	v_cmp_lt_u64_e64 s4, s[6:7], v[11:12]
	v_mov_b32_e32 v11, 0
	s_and_saveexec_b32 s18, s4
	s_cbranch_execz .LBB281_1588
; %bb.1581:                             ;   in Loop: Header=BB281_995 Depth=1
	v_lshrrev_b32_e32 v3, 24, v12
	v_bfrev_b32_e32 v11, 1
	s_mov_b32 s19, exec_lo
	v_cmpx_ne_u32_e32 0x80, v3
	s_cbranch_execz .LBB281_1587
; %bb.1582:                             ;   in Loop: Header=BB281_995 Depth=1
	v_and_b32_e32 v34, 0x7f, v3
	v_mov_b32_e32 v11, 0x7c010000
	s_mov_b32 s20, exec_lo
	v_cmpx_ne_u32_e32 0x7f, v34
	s_cbranch_execz .LBB281_1586
; %bb.1583:                             ;   in Loop: Header=BB281_995 Depth=1
	v_and_b32_e32 v11, 7, v3
	v_lshrrev_b32_e32 v12, 3, v34
	s_mov_b32 s21, exec_lo
	v_cmpx_gt_u32_e32 8, v34
; %bb.1584:                             ;   in Loop: Header=BB281_995 Depth=1
	v_ffbh_u32_e32 v11, v11
	v_min_u32_e32 v19, 32, v11
	v_subrev_nc_u32_e32 v11, 28, v19
	v_lshlrev_b64 v[11:12], v11, v[3:4]
	v_sub_nc_u32_e32 v12, 29, v19
	v_and_b32_e32 v11, 7, v11
; %bb.1585:                             ;   in Loop: Header=BB281_995 Depth=1
	s_or_b32 exec_lo, exec_lo, s21
	v_lshlrev_b32_e32 v3, 8, v3
	v_lshl_add_u32 v12, v12, 10, 0x2000
	v_lshlrev_b32_e32 v11, 23, v11
	v_and_or_b32 v3, 0x8000, v3, v12
	v_lshl_or_b32 v11, v3, 16, v11
.LBB281_1586:                           ;   in Loop: Header=BB281_995 Depth=1
	s_or_b32 exec_lo, exec_lo, s20
.LBB281_1587:                           ;   in Loop: Header=BB281_995 Depth=1
	s_or_b32 exec_lo, exec_lo, s19
.LBB281_1588:                           ;   in Loop: Header=BB281_995 Depth=1
	s_or_b32 exec_lo, exec_lo, s18
	v_or_b32_e32 v3, v18, v29
	s_waitcnt vmcnt(0) lgkmcnt(0)
	v_fma_mixlo_f16 v12, v0, v18, 0 op_sel:[0,1,0] op_sel_hi:[0,1,0]
	v_or_b32_e32 v2, v1, v2
	v_fma_mixlo_f16 v18, v0, v1, 0 op_sel:[0,1,0] op_sel_hi:[0,1,0]
	v_or_b32_e32 v19, v32, v23
	v_fma_mixlo_f16 v3, v0, v3, 0 op_sel_hi:[0,1,0]
	v_or_b32_e32 v22, v11, v31
	v_lshlrev_b32_e32 v1, 16, v12
	v_lshlrev_b32_e32 v12, 16, v18
	v_fma_mixlo_f16 v18, v0, v2, 0 op_sel_hi:[0,1,0]
	v_and_b32_e32 v2, 0xffff, v3
	v_fma_mixlo_f16 v3, v0, v32, 0 op_sel:[0,1,0] op_sel_hi:[0,1,0]
	v_fma_mixlo_f16 v19, v0, v19, 0 op_sel_hi:[0,1,0]
	v_fma_mixlo_f16 v11, v0, v11, 0 op_sel:[0,1,0] op_sel_hi:[0,1,0]
	v_fma_mixlo_f16 v22, v0, v22, 0 op_sel_hi:[0,1,0]
	v_and_b32_e32 v34, 0xffff, v18
	v_lshlrev_b32_e32 v3, 16, v3
	v_and_b32_e32 v23, 0xffff, v19
	v_lshlrev_b32_e32 v0, 16, v11
	v_and_b32_e32 v11, 0xffff, v22
	v_or_b32_e32 v18, v1, v2
	v_or_b32_e32 v32, v12, v34
	;; [unrolled: 1-line block ×4, first 2 shown]
	s_and_saveexec_b32 s18, vcc_lo
	s_cbranch_execz .LBB281_1590
; %bb.1589:                             ;   in Loop: Header=BB281_995 Depth=1
	v_cmp_lt_i32_e64 s4, v70, v30
	v_cndmask_b32_e64 v18, 0, v34, s4
	v_cmp_lt_i32_e64 s4, v99, v30
	v_cndmask_b32_e64 v12, 0, v12, s4
	v_cmp_lt_i32_e64 s4, v98, v30
	v_or_b32_e32 v32, v18, v12
	v_cndmask_b32_e64 v2, 0, v2, s4
	v_cmp_lt_i32_e64 s4, v97, v30
	v_cndmask_b32_e64 v1, 0, v1, s4
	v_cmp_lt_i32_e64 s4, v96, v30
	v_or_b32_e32 v18, v2, v1
	;; [unrolled: 5-line block ×3, first 2 shown]
	v_cndmask_b32_e64 v11, 0, v11, s4
	v_cmp_lt_i32_e64 s4, v85, v30
	v_cndmask_b32_e64 v0, 0, v0, s4
	v_or_b32_e32 v29, v11, v0
.LBB281_1590:                           ;   in Loop: Header=BB281_995 Depth=1
	s_or_b32 exec_lo, exec_lo, s18
	;;#ASMSTART
	v_pk_mul_f16 v0, v84, v32;

	;;#ASMEND
	;;#ASMSTART
	v_pk_mul_f16 v1, v83, v18;

	;;#ASMEND
	;; [unrolled: 4-line block ×4, first 2 shown]
	;;#ASMSTART
	v_pk_add_f16 v0, v0, v1;

	;;#ASMEND
	;;#ASMSTART
	v_pk_add_f16 v0, v0, v2;

	;;#ASMEND
	;; [unrolled: 4-line block ×3, first 2 shown]
	v_and_b32_e32 v1, 0xffff, v0
	v_lshrrev_b32_e32 v2, 16, v0
	;;#ASMSTART
	v_cvt_f32_f16 v0, v1;
	;;#ASMEND
	;;#ASMSTART
	v_cvt_f32_f16 v1, v2;
	;;#ASMEND
	flat_load_dwordx2 v[11:12], v[9:10] offset:256
	s_clause 0x1
	buffer_load_dword v2, off, s[0:3], s32 offset:192
	buffer_load_dword v3, off, s[0:3], s32 offset:196
	v_mov_b32_e32 v18, 0
	v_mov_b32_e32 v29, 0
	s_waitcnt vmcnt(2) lgkmcnt(0)
	v_cmp_ne_u16_sdwa s4, v11, v4 src0_sel:BYTE_0 src1_sel:DWORD
	s_waitcnt vmcnt(0)
	flat_load_dword v2, v[2:3]
	s_and_saveexec_b32 s18, s4
	s_cbranch_execz .LBB281_1598
; %bb.1591:                             ;   in Loop: Header=BB281_995 Depth=1
	v_cmp_ne_u16_sdwa s4, v11, v39 src0_sel:BYTE_0 src1_sel:DWORD
	v_mov_b32_e32 v29, 0x8000
	s_and_saveexec_b32 s19, s4
	s_cbranch_execz .LBB281_1597
; %bb.1592:                             ;   in Loop: Header=BB281_995 Depth=1
	v_and_b32_e32 v31, 0x7f, v11
	v_mov_b32_e32 v29, 0x7c01
	s_mov_b32 s20, exec_lo
	v_cmpx_ne_u32_e32 0x7f, v31
	s_cbranch_execz .LBB281_1596
; %bb.1593:                             ;   in Loop: Header=BB281_995 Depth=1
	v_and_b32_e32 v3, 7, v11
	v_lshrrev_b32_e32 v23, 3, v31
	s_mov_b32 s21, exec_lo
	v_cmpx_gt_u32_e32 8, v31
; %bb.1594:                             ;   in Loop: Header=BB281_995 Depth=1
	v_ffbh_u32_e32 v3, v3
	v_min_u32_e32 v3, 32, v3
	v_subrev_nc_u32_e32 v19, 28, v3
	v_lshlrev_b64 v[22:23], v19, v[11:12]
	v_sub_nc_u32_e32 v23, 29, v3
	v_and_b32_e32 v3, 7, v22
; %bb.1595:                             ;   in Loop: Header=BB281_995 Depth=1
	s_or_b32 exec_lo, exec_lo, s21
	v_lshlrev_b32_e32 v19, 8, v11
	v_lshl_add_u32 v22, v23, 10, 0x2000
	v_lshlrev_b32_e32 v3, 7, v3
	v_and_b32_e32 v19, 0x8000, v19
	v_and_b32_e32 v22, 0xfc00, v22
	v_or3_b32 v29, v19, v22, v3
.LBB281_1596:                           ;   in Loop: Header=BB281_995 Depth=1
	s_or_b32 exec_lo, exec_lo, s20
.LBB281_1597:                           ;   in Loop: Header=BB281_995 Depth=1
	s_or_b32 exec_lo, exec_lo, s19
.LBB281_1598:                           ;   in Loop: Header=BB281_995 Depth=1
	s_or_b32 exec_lo, exec_lo, s18
	v_lshrrev_b16 v3, 8, v11
	s_mov_b32 s18, exec_lo
	v_cmpx_ne_u16_e32 0, v3
	s_cbranch_execz .LBB281_1606
; %bb.1599:                             ;   in Loop: Header=BB281_995 Depth=1
	v_bfrev_b32_e32 v18, 1
	s_mov_b32 s19, exec_lo
	v_cmpx_ne_u16_e32 0x80, v3
	s_cbranch_execz .LBB281_1605
; %bb.1600:                             ;   in Loop: Header=BB281_995 Depth=1
	v_and_b32_sdwa v31, v3, v48 dst_sel:DWORD dst_unused:UNUSED_PAD src0_sel:WORD_0 src1_sel:DWORD
	v_mov_b32_e32 v18, 0x7c010000
	s_mov_b32 s20, exec_lo
	v_cmpx_ne_u32_e32 0x7f, v31
	s_cbranch_execz .LBB281_1604
; %bb.1601:                             ;   in Loop: Header=BB281_995 Depth=1
	v_and_b32_sdwa v18, v3, v65 dst_sel:DWORD dst_unused:UNUSED_PAD src0_sel:WORD_0 src1_sel:DWORD
	v_lshrrev_b32_e32 v23, 3, v31
	s_mov_b32 s21, exec_lo
	v_cmpx_gt_u32_e32 8, v31
; %bb.1602:                             ;   in Loop: Header=BB281_995 Depth=1
	v_ffbh_u32_e32 v18, v18
	v_min_u32_e32 v22, 32, v18
	v_subrev_nc_u32_e32 v18, 28, v22
	v_sub_nc_u32_e32 v23, 29, v22
	v_lshlrev_b64 v[18:19], v18, v[3:4]
	v_and_b32_e32 v18, 7, v18
; %bb.1603:                             ;   in Loop: Header=BB281_995 Depth=1
	s_or_b32 exec_lo, exec_lo, s21
	v_lshlrev_b32_sdwa v3, v66, v3 dst_sel:DWORD dst_unused:UNUSED_PAD src0_sel:DWORD src1_sel:WORD_0
	v_lshl_add_u32 v19, v23, 10, 0x2000
	v_lshlrev_b32_e32 v18, 23, v18
	v_and_or_b32 v3, 0x8000, v3, v19
	v_lshl_or_b32 v18, v3, 16, v18
.LBB281_1604:                           ;   in Loop: Header=BB281_995 Depth=1
	s_or_b32 exec_lo, exec_lo, s20
.LBB281_1605:                           ;   in Loop: Header=BB281_995 Depth=1
	s_or_b32 exec_lo, exec_lo, s19
.LBB281_1606:                           ;   in Loop: Header=BB281_995 Depth=1
	s_or_b32 exec_lo, exec_lo, s18
	v_lshrrev_b32_e32 v3, 16, v11
	v_mov_b32_e32 v31, 0
	v_mov_b32_e32 v32, 0
	v_cmp_ne_u16_sdwa s4, v3, v4 src0_sel:BYTE_0 src1_sel:DWORD
	s_and_saveexec_b32 s18, s4
	s_cbranch_execz .LBB281_1614
; %bb.1607:                             ;   in Loop: Header=BB281_995 Depth=1
	v_cmp_ne_u16_sdwa s4, v3, v39 src0_sel:BYTE_0 src1_sel:DWORD
	v_mov_b32_e32 v32, 0x8000
	s_and_saveexec_b32 s19, s4
	s_cbranch_execz .LBB281_1613
; %bb.1608:                             ;   in Loop: Header=BB281_995 Depth=1
	v_bfe_u32 v34, v11, 16, 7
	v_mov_b32_e32 v32, 0x7c01
	s_mov_b32 s20, exec_lo
	v_cmpx_ne_u32_e32 0x7f, v34
	s_cbranch_execz .LBB281_1612
; %bb.1609:                             ;   in Loop: Header=BB281_995 Depth=1
	v_and_b32_e32 v23, 7, v3
	v_lshrrev_b32_e32 v32, 3, v34
	s_mov_b32 s21, exec_lo
	v_cmpx_gt_u32_e32 8, v34
; %bb.1610:                             ;   in Loop: Header=BB281_995 Depth=1
	v_ffbh_u32_e32 v19, v23
	v_min_u32_e32 v19, 32, v19
	v_subrev_nc_u32_e32 v22, 28, v19
	v_sub_nc_u32_e32 v32, 29, v19
	v_lshlrev_b64 v[22:23], v22, v[3:4]
	v_and_b32_e32 v23, 7, v22
; %bb.1611:                             ;   in Loop: Header=BB281_995 Depth=1
	s_or_b32 exec_lo, exec_lo, s21
	v_lshlrev_b32_e32 v3, 8, v3
	v_lshl_add_u32 v19, v32, 10, 0x2000
	v_lshlrev_b32_e32 v22, 7, v23
	v_and_b32_e32 v3, 0x8000, v3
	v_and_b32_e32 v19, 0xfc00, v19
	v_or3_b32 v32, v3, v19, v22
.LBB281_1612:                           ;   in Loop: Header=BB281_995 Depth=1
	s_or_b32 exec_lo, exec_lo, s20
.LBB281_1613:                           ;   in Loop: Header=BB281_995 Depth=1
	s_or_b32 exec_lo, exec_lo, s19
.LBB281_1614:                           ;   in Loop: Header=BB281_995 Depth=1
	s_or_b32 exec_lo, exec_lo, s18
	s_mov_b32 s18, exec_lo
	v_cmpx_lt_u32_e32 0xffffff, v11
	s_cbranch_execz .LBB281_1622
; %bb.1615:                             ;   in Loop: Header=BB281_995 Depth=1
	v_lshrrev_b32_e32 v3, 24, v11
	v_bfrev_b32_e32 v31, 1
	s_mov_b32 s19, exec_lo
	v_cmpx_ne_u32_e32 0x80, v3
	s_cbranch_execz .LBB281_1621
; %bb.1616:                             ;   in Loop: Header=BB281_995 Depth=1
	v_and_b32_e32 v34, 0x7f, v3
	v_mov_b32_e32 v31, 0x7c010000
	s_mov_b32 s20, exec_lo
	v_cmpx_ne_u32_e32 0x7f, v34
	s_cbranch_execz .LBB281_1620
; %bb.1617:                             ;   in Loop: Header=BB281_995 Depth=1
	v_and_b32_e32 v23, 7, v3
	v_lshrrev_b32_e32 v31, 3, v34
	s_mov_b32 s21, exec_lo
	v_cmpx_gt_u32_e32 8, v34
; %bb.1618:                             ;   in Loop: Header=BB281_995 Depth=1
	v_ffbh_u32_e32 v19, v23
	v_min_u32_e32 v19, 32, v19
	v_subrev_nc_u32_e32 v22, 28, v19
	v_sub_nc_u32_e32 v31, 29, v19
	v_lshlrev_b64 v[22:23], v22, v[3:4]
	v_and_b32_e32 v23, 7, v22
; %bb.1619:                             ;   in Loop: Header=BB281_995 Depth=1
	s_or_b32 exec_lo, exec_lo, s21
	v_lshlrev_b32_e32 v3, 8, v3
	v_lshl_add_u32 v19, v31, 10, 0x2000
	v_and_or_b32 v3, 0x8000, v3, v19
	v_lshlrev_b32_e32 v19, 23, v23
	v_lshl_or_b32 v31, v3, 16, v19
.LBB281_1620:                           ;   in Loop: Header=BB281_995 Depth=1
	s_or_b32 exec_lo, exec_lo, s20
.LBB281_1621:                           ;   in Loop: Header=BB281_995 Depth=1
	s_or_b32 exec_lo, exec_lo, s19
.LBB281_1622:                           ;   in Loop: Header=BB281_995 Depth=1
	s_or_b32 exec_lo, exec_lo, s18
	v_mov_b32_e32 v3, v12
	v_cmp_ne_u16_sdwa s4, v12, v4 src0_sel:BYTE_0 src1_sel:DWORD
	v_mov_b32_e32 v34, 0
	v_mov_b32_e32 v23, 0
	s_and_saveexec_b32 s18, s4
	s_cbranch_execz .LBB281_1630
; %bb.1623:                             ;   in Loop: Header=BB281_995 Depth=1
	v_cmp_ne_u16_sdwa s4, v12, v39 src0_sel:BYTE_0 src1_sel:DWORD
	v_mov_b32_e32 v23, 0x8000
	s_and_saveexec_b32 s19, s4
	s_cbranch_execz .LBB281_1629
; %bb.1624:                             ;   in Loop: Header=BB281_995 Depth=1
	v_and_b32_e32 v36, 0x7f, v12
	v_mov_b32_e32 v23, 0x7c01
	s_mov_b32 s20, exec_lo
	v_cmpx_ne_u32_e32 0x7f, v36
	s_cbranch_execz .LBB281_1628
; %bb.1625:                             ;   in Loop: Header=BB281_995 Depth=1
	v_and_b32_e32 v23, 7, v12
	v_lshrrev_b32_e32 v35, 3, v36
	s_mov_b32 s21, exec_lo
	v_cmpx_gt_u32_e32 8, v36
; %bb.1626:                             ;   in Loop: Header=BB281_995 Depth=1
	v_ffbh_u32_e32 v19, v23
	v_min_u32_e32 v19, 32, v19
	v_subrev_nc_u32_e32 v22, 28, v19
	v_sub_nc_u32_e32 v35, 29, v19
	v_lshlrev_b64 v[22:23], v22, v[3:4]
	v_and_b32_e32 v23, 7, v22
; %bb.1627:                             ;   in Loop: Header=BB281_995 Depth=1
	s_or_b32 exec_lo, exec_lo, s21
	v_lshlrev_b32_e32 v19, 8, v12
	v_lshl_add_u32 v22, v35, 10, 0x2000
	v_lshlrev_b32_e32 v23, 7, v23
	v_and_b32_e32 v19, 0x8000, v19
	v_and_b32_e32 v22, 0xfc00, v22
	v_or3_b32 v23, v19, v22, v23
.LBB281_1628:                           ;   in Loop: Header=BB281_995 Depth=1
	s_or_b32 exec_lo, exec_lo, s20
.LBB281_1629:                           ;   in Loop: Header=BB281_995 Depth=1
	s_or_b32 exec_lo, exec_lo, s19
.LBB281_1630:                           ;   in Loop: Header=BB281_995 Depth=1
	s_or_b32 exec_lo, exec_lo, s18
	v_lshrrev_b16 v3, 8, v3
	v_mov_b32_e32 v35, 0
	s_mov_b32 s18, exec_lo
	v_cmpx_ne_u16_e32 0, v3
	s_cbranch_execz .LBB281_1638
; %bb.1631:                             ;   in Loop: Header=BB281_995 Depth=1
	v_bfrev_b32_e32 v35, 1
	s_mov_b32 s19, exec_lo
	v_cmpx_ne_u16_e32 0x80, v3
	s_cbranch_execz .LBB281_1637
; %bb.1632:                             ;   in Loop: Header=BB281_995 Depth=1
	v_and_b32_sdwa v37, v3, v48 dst_sel:DWORD dst_unused:UNUSED_PAD src0_sel:WORD_0 src1_sel:DWORD
	v_mov_b32_e32 v35, 0x7c010000
	s_mov_b32 s20, exec_lo
	v_cmpx_ne_u32_e32 0x7f, v37
	s_cbranch_execz .LBB281_1636
; %bb.1633:                             ;   in Loop: Header=BB281_995 Depth=1
	v_and_b32_sdwa v35, v3, v65 dst_sel:DWORD dst_unused:UNUSED_PAD src0_sel:WORD_0 src1_sel:DWORD
	v_lshrrev_b32_e32 v36, 3, v37
	s_mov_b32 s21, exec_lo
	v_cmpx_gt_u32_e32 8, v37
; %bb.1634:                             ;   in Loop: Header=BB281_995 Depth=1
	v_ffbh_u32_e32 v19, v35
	v_min_u32_e32 v19, 32, v19
	v_subrev_nc_u32_e32 v22, 28, v19
	v_lshlrev_b64 v[35:36], v22, v[3:4]
	v_sub_nc_u32_e32 v36, 29, v19
	v_and_b32_e32 v35, 7, v35
; %bb.1635:                             ;   in Loop: Header=BB281_995 Depth=1
	s_or_b32 exec_lo, exec_lo, s21
	v_lshlrev_b32_sdwa v3, v66, v3 dst_sel:DWORD dst_unused:UNUSED_PAD src0_sel:DWORD src1_sel:WORD_0
	v_lshl_add_u32 v19, v36, 10, 0x2000
	v_and_or_b32 v3, 0x8000, v3, v19
	v_lshlrev_b32_e32 v19, 23, v35
	v_lshl_or_b32 v35, v3, 16, v19
.LBB281_1636:                           ;   in Loop: Header=BB281_995 Depth=1
	s_or_b32 exec_lo, exec_lo, s20
.LBB281_1637:                           ;   in Loop: Header=BB281_995 Depth=1
	s_or_b32 exec_lo, exec_lo, s19
.LBB281_1638:                           ;   in Loop: Header=BB281_995 Depth=1
	s_or_b32 exec_lo, exec_lo, s18
	v_lshrrev_b32_e32 v3, 16, v12
	v_cmp_ne_u16_sdwa s4, v3, v4 src0_sel:BYTE_0 src1_sel:DWORD
	s_and_saveexec_b32 s18, s4
	s_cbranch_execz .LBB281_1646
; %bb.1639:                             ;   in Loop: Header=BB281_995 Depth=1
	v_cmp_ne_u16_sdwa s4, v3, v39 src0_sel:BYTE_0 src1_sel:DWORD
	v_mov_b32_e32 v34, 0x8000
	s_and_saveexec_b32 s19, s4
	s_cbranch_execz .LBB281_1645
; %bb.1640:                             ;   in Loop: Header=BB281_995 Depth=1
	v_bfe_u32 v37, v12, 16, 7
	v_mov_b32_e32 v34, 0x7c01
	s_mov_b32 s20, exec_lo
	v_cmpx_ne_u32_e32 0x7f, v37
	s_cbranch_execz .LBB281_1644
; %bb.1641:                             ;   in Loop: Header=BB281_995 Depth=1
	v_and_b32_e32 v34, 7, v3
	v_lshrrev_b32_e32 v36, 3, v37
	s_mov_b32 s21, exec_lo
	v_cmpx_gt_u32_e32 8, v37
; %bb.1642:                             ;   in Loop: Header=BB281_995 Depth=1
	v_ffbh_u32_e32 v19, v34
	v_min_u32_e32 v19, 32, v19
	v_subrev_nc_u32_e32 v22, 28, v19
	v_sub_nc_u32_e32 v36, 29, v19
	v_lshlrev_b64 v[42:43], v22, v[3:4]
	v_and_b32_e32 v34, 7, v42
; %bb.1643:                             ;   in Loop: Header=BB281_995 Depth=1
	s_or_b32 exec_lo, exec_lo, s21
	v_lshlrev_b32_e32 v3, 8, v3
	v_lshl_add_u32 v19, v36, 10, 0x2000
	v_lshlrev_b32_e32 v22, 7, v34
	v_and_b32_e32 v3, 0x8000, v3
	v_and_b32_e32 v19, 0xfc00, v19
	v_or3_b32 v34, v3, v19, v22
.LBB281_1644:                           ;   in Loop: Header=BB281_995 Depth=1
	s_or_b32 exec_lo, exec_lo, s20
.LBB281_1645:                           ;   in Loop: Header=BB281_995 Depth=1
	s_or_b32 exec_lo, exec_lo, s19
.LBB281_1646:                           ;   in Loop: Header=BB281_995 Depth=1
	s_or_b32 exec_lo, exec_lo, s18
	v_cmp_lt_u64_e64 s4, s[6:7], v[11:12]
	v_mov_b32_e32 v11, 0
	s_and_saveexec_b32 s18, s4
	s_cbranch_execz .LBB281_1654
; %bb.1647:                             ;   in Loop: Header=BB281_995 Depth=1
	v_lshrrev_b32_e32 v3, 24, v12
	v_bfrev_b32_e32 v11, 1
	s_mov_b32 s19, exec_lo
	v_cmpx_ne_u32_e32 0x80, v3
	s_cbranch_execz .LBB281_1653
; %bb.1648:                             ;   in Loop: Header=BB281_995 Depth=1
	v_and_b32_e32 v36, 0x7f, v3
	v_mov_b32_e32 v11, 0x7c010000
	s_mov_b32 s20, exec_lo
	v_cmpx_ne_u32_e32 0x7f, v36
	s_cbranch_execz .LBB281_1652
; %bb.1649:                             ;   in Loop: Header=BB281_995 Depth=1
	v_and_b32_e32 v11, 7, v3
	v_lshrrev_b32_e32 v12, 3, v36
	s_mov_b32 s21, exec_lo
	v_cmpx_gt_u32_e32 8, v36
; %bb.1650:                             ;   in Loop: Header=BB281_995 Depth=1
	v_ffbh_u32_e32 v11, v11
	v_min_u32_e32 v19, 32, v11
	v_subrev_nc_u32_e32 v11, 28, v19
	v_lshlrev_b64 v[11:12], v11, v[3:4]
	v_sub_nc_u32_e32 v12, 29, v19
	v_and_b32_e32 v11, 7, v11
; %bb.1651:                             ;   in Loop: Header=BB281_995 Depth=1
	s_or_b32 exec_lo, exec_lo, s21
	v_lshlrev_b32_e32 v3, 8, v3
	v_lshl_add_u32 v12, v12, 10, 0x2000
	v_lshlrev_b32_e32 v11, 23, v11
	v_and_or_b32 v3, 0x8000, v3, v12
	v_lshl_or_b32 v11, v3, 16, v11
.LBB281_1652:                           ;   in Loop: Header=BB281_995 Depth=1
	s_or_b32 exec_lo, exec_lo, s20
.LBB281_1653:                           ;   in Loop: Header=BB281_995 Depth=1
	s_or_b32 exec_lo, exec_lo, s19
.LBB281_1654:                           ;   in Loop: Header=BB281_995 Depth=1
	s_or_b32 exec_lo, exec_lo, s18
	v_or_b32_e32 v3, v31, v32
	s_waitcnt vmcnt(0) lgkmcnt(0)
	v_fma_mixlo_f16 v12, v2, v31, 0 op_sel:[0,1,0] op_sel_hi:[0,1,0]
	v_or_b32_e32 v19, v18, v29
	v_fma_mixlo_f16 v18, v2, v18, 0 op_sel:[0,1,0] op_sel_hi:[0,1,0]
	v_or_b32_e32 v22, v35, v23
	v_fma_mixlo_f16 v29, v2, v3, 0 op_sel_hi:[0,1,0]
	v_or_b32_e32 v31, v11, v34
	v_lshlrev_b32_e32 v3, 16, v12
	v_lshlrev_b32_e32 v23, 16, v18
	v_fma_mixlo_f16 v18, v2, v19, 0 op_sel_hi:[0,1,0]
	v_and_b32_e32 v12, 0xffff, v29
	v_fma_mixlo_f16 v19, v2, v35, 0 op_sel:[0,1,0] op_sel_hi:[0,1,0]
	v_fma_mixlo_f16 v22, v2, v22, 0 op_sel_hi:[0,1,0]
	v_fma_mixlo_f16 v29, v2, v11, 0 op_sel:[0,1,0] op_sel_hi:[0,1,0]
	v_fma_mixlo_f16 v32, v2, v31, 0 op_sel_hi:[0,1,0]
	v_and_b32_e32 v36, 0xffff, v18
	v_lshlrev_b32_e32 v11, 16, v19
	v_and_b32_e32 v31, 0xffff, v22
	v_lshlrev_b32_e32 v2, 16, v29
	v_and_b32_e32 v18, 0xffff, v32
	v_or_b32_e32 v29, v3, v12
	v_or_b32_e32 v35, v23, v36
	;; [unrolled: 1-line block ×4, first 2 shown]
	s_and_saveexec_b32 s18, vcc_lo
	s_cbranch_execz .LBB281_1656
; %bb.1655:                             ;   in Loop: Header=BB281_995 Depth=1
	v_cmp_lt_i32_e64 s4, v70, v30
	v_cndmask_b32_e64 v19, 0, v36, s4
	v_cmp_lt_i32_e64 s4, v99, v30
	v_cndmask_b32_e64 v22, 0, v23, s4
	v_cmp_lt_i32_e64 s4, v98, v30
	v_or_b32_e32 v35, v19, v22
	v_cndmask_b32_e64 v12, 0, v12, s4
	v_cmp_lt_i32_e64 s4, v97, v30
	v_cndmask_b32_e64 v3, 0, v3, s4
	v_cmp_lt_i32_e64 s4, v96, v30
	v_or_b32_e32 v29, v12, v3
	;; [unrolled: 5-line block ×3, first 2 shown]
	v_cndmask_b32_e64 v18, 0, v18, s4
	v_cmp_lt_i32_e64 s4, v85, v30
	v_cndmask_b32_e64 v2, 0, v2, s4
	v_or_b32_e32 v32, v18, v2
.LBB281_1656:                           ;   in Loop: Header=BB281_995 Depth=1
	s_or_b32 exec_lo, exec_lo, s18
	;;#ASMSTART
	v_pk_mul_f16 v2, v84, v35;

	;;#ASMEND
	;;#ASMSTART
	v_pk_mul_f16 v3, v83, v29;

	;;#ASMEND
	;; [unrolled: 4-line block ×4, first 2 shown]
	;;#ASMSTART
	v_pk_add_f16 v2, v2, v3;

	;;#ASMEND
	;;#ASMSTART
	v_pk_add_f16 v2, v2, v11;

	;;#ASMEND
	;; [unrolled: 4-line block ×3, first 2 shown]
	v_lshrrev_b32_e32 v11, 16, v2
	v_and_b32_e32 v3, 0xffff, v2
	;;#ASMSTART
	v_cvt_f32_f16 v2, v3;
	;;#ASMEND
	;;#ASMSTART
	v_cvt_f32_f16 v18, v11;
	;;#ASMEND
	flat_load_dwordx2 v[11:12], v[9:10] offset:512
	s_clause 0x1
	buffer_load_dword v22, off, s[0:3], s32 offset:192
	buffer_load_dword v23, off, s[0:3], s32 offset:196
	v_mov_b32_e32 v31, 0
	v_mov_b32_e32 v32, 0
	s_waitcnt vmcnt(2) lgkmcnt(0)
	v_cmp_ne_u16_sdwa s4, v11, v4 src0_sel:BYTE_0 src1_sel:DWORD
	s_waitcnt vmcnt(0)
	flat_load_dword v29, v[22:23]
	s_and_saveexec_b32 s18, s4
	s_cbranch_execz .LBB281_1664
; %bb.1657:                             ;   in Loop: Header=BB281_995 Depth=1
	v_cmp_ne_u16_sdwa s4, v11, v39 src0_sel:BYTE_0 src1_sel:DWORD
	v_mov_b32_e32 v32, 0x8000
	s_and_saveexec_b32 s19, s4
	s_cbranch_execz .LBB281_1663
; %bb.1658:                             ;   in Loop: Header=BB281_995 Depth=1
	v_and_b32_e32 v34, 0x7f, v11
	v_mov_b32_e32 v32, 0x7c01
	s_mov_b32 s20, exec_lo
	v_cmpx_ne_u32_e32 0x7f, v34
	s_cbranch_execz .LBB281_1662
; %bb.1659:                             ;   in Loop: Header=BB281_995 Depth=1
	v_and_b32_e32 v3, 7, v11
	v_lshrrev_b32_e32 v23, 3, v34
	s_mov_b32 s21, exec_lo
	v_cmpx_gt_u32_e32 8, v34
; %bb.1660:                             ;   in Loop: Header=BB281_995 Depth=1
	v_ffbh_u32_e32 v3, v3
	v_min_u32_e32 v3, 32, v3
	v_subrev_nc_u32_e32 v19, 28, v3
	v_lshlrev_b64 v[22:23], v19, v[11:12]
	v_sub_nc_u32_e32 v23, 29, v3
	v_and_b32_e32 v3, 7, v22
; %bb.1661:                             ;   in Loop: Header=BB281_995 Depth=1
	s_or_b32 exec_lo, exec_lo, s21
	v_lshlrev_b32_e32 v19, 8, v11
	v_lshl_add_u32 v22, v23, 10, 0x2000
	v_lshlrev_b32_e32 v3, 7, v3
	v_and_b32_e32 v19, 0x8000, v19
	v_and_b32_e32 v22, 0xfc00, v22
	v_or3_b32 v32, v19, v22, v3
.LBB281_1662:                           ;   in Loop: Header=BB281_995 Depth=1
	s_or_b32 exec_lo, exec_lo, s20
.LBB281_1663:                           ;   in Loop: Header=BB281_995 Depth=1
	s_or_b32 exec_lo, exec_lo, s19
.LBB281_1664:                           ;   in Loop: Header=BB281_995 Depth=1
	s_or_b32 exec_lo, exec_lo, s18
	v_lshrrev_b16 v3, 8, v11
	s_mov_b32 s18, exec_lo
	v_cmpx_ne_u16_e32 0, v3
	s_cbranch_execz .LBB281_1672
; %bb.1665:                             ;   in Loop: Header=BB281_995 Depth=1
	v_bfrev_b32_e32 v31, 1
	s_mov_b32 s19, exec_lo
	v_cmpx_ne_u16_e32 0x80, v3
	s_cbranch_execz .LBB281_1671
; %bb.1666:                             ;   in Loop: Header=BB281_995 Depth=1
	v_and_b32_sdwa v34, v3, v48 dst_sel:DWORD dst_unused:UNUSED_PAD src0_sel:WORD_0 src1_sel:DWORD
	v_mov_b32_e32 v31, 0x7c010000
	s_mov_b32 s20, exec_lo
	v_cmpx_ne_u32_e32 0x7f, v34
	s_cbranch_execz .LBB281_1670
; %bb.1667:                             ;   in Loop: Header=BB281_995 Depth=1
	v_and_b32_sdwa v23, v3, v65 dst_sel:DWORD dst_unused:UNUSED_PAD src0_sel:WORD_0 src1_sel:DWORD
	v_lshrrev_b32_e32 v31, 3, v34
	s_mov_b32 s21, exec_lo
	v_cmpx_gt_u32_e32 8, v34
; %bb.1668:                             ;   in Loop: Header=BB281_995 Depth=1
	v_ffbh_u32_e32 v19, v23
	v_min_u32_e32 v19, 32, v19
	v_subrev_nc_u32_e32 v22, 28, v19
	v_sub_nc_u32_e32 v31, 29, v19
	v_lshlrev_b64 v[22:23], v22, v[3:4]
	v_and_b32_e32 v23, 7, v22
; %bb.1669:                             ;   in Loop: Header=BB281_995 Depth=1
	s_or_b32 exec_lo, exec_lo, s21
	v_lshlrev_b32_sdwa v3, v66, v3 dst_sel:DWORD dst_unused:UNUSED_PAD src0_sel:DWORD src1_sel:WORD_0
	v_lshl_add_u32 v19, v31, 10, 0x2000
	v_and_or_b32 v3, 0x8000, v3, v19
	v_lshlrev_b32_e32 v19, 23, v23
	v_lshl_or_b32 v31, v3, 16, v19
.LBB281_1670:                           ;   in Loop: Header=BB281_995 Depth=1
	s_or_b32 exec_lo, exec_lo, s20
.LBB281_1671:                           ;   in Loop: Header=BB281_995 Depth=1
	s_or_b32 exec_lo, exec_lo, s19
.LBB281_1672:                           ;   in Loop: Header=BB281_995 Depth=1
	s_or_b32 exec_lo, exec_lo, s18
	v_lshrrev_b32_e32 v3, 16, v11
	v_mov_b32_e32 v34, 0
	v_mov_b32_e32 v35, 0
	v_cmp_ne_u16_sdwa s4, v3, v4 src0_sel:BYTE_0 src1_sel:DWORD
	s_and_saveexec_b32 s18, s4
	s_cbranch_execz .LBB281_1680
; %bb.1673:                             ;   in Loop: Header=BB281_995 Depth=1
	v_cmp_ne_u16_sdwa s4, v3, v39 src0_sel:BYTE_0 src1_sel:DWORD
	v_mov_b32_e32 v35, 0x8000
	s_and_saveexec_b32 s19, s4
	s_cbranch_execz .LBB281_1679
; %bb.1674:                             ;   in Loop: Header=BB281_995 Depth=1
	v_bfe_u32 v36, v11, 16, 7
	v_mov_b32_e32 v35, 0x7c01
	s_mov_b32 s20, exec_lo
	v_cmpx_ne_u32_e32 0x7f, v36
	s_cbranch_execz .LBB281_1678
; %bb.1675:                             ;   in Loop: Header=BB281_995 Depth=1
	v_and_b32_e32 v23, 7, v3
	v_lshrrev_b32_e32 v35, 3, v36
	s_mov_b32 s21, exec_lo
	v_cmpx_gt_u32_e32 8, v36
; %bb.1676:                             ;   in Loop: Header=BB281_995 Depth=1
	v_ffbh_u32_e32 v19, v23
	v_min_u32_e32 v19, 32, v19
	v_subrev_nc_u32_e32 v22, 28, v19
	v_sub_nc_u32_e32 v35, 29, v19
	v_lshlrev_b64 v[22:23], v22, v[3:4]
	v_and_b32_e32 v23, 7, v22
; %bb.1677:                             ;   in Loop: Header=BB281_995 Depth=1
	s_or_b32 exec_lo, exec_lo, s21
	v_lshlrev_b32_e32 v3, 8, v3
	v_lshl_add_u32 v19, v35, 10, 0x2000
	v_lshlrev_b32_e32 v22, 7, v23
	v_and_b32_e32 v3, 0x8000, v3
	v_and_b32_e32 v19, 0xfc00, v19
	v_or3_b32 v35, v3, v19, v22
.LBB281_1678:                           ;   in Loop: Header=BB281_995 Depth=1
	s_or_b32 exec_lo, exec_lo, s20
.LBB281_1679:                           ;   in Loop: Header=BB281_995 Depth=1
	s_or_b32 exec_lo, exec_lo, s19
.LBB281_1680:                           ;   in Loop: Header=BB281_995 Depth=1
	s_or_b32 exec_lo, exec_lo, s18
	s_mov_b32 s18, exec_lo
	v_cmpx_lt_u32_e32 0xffffff, v11
	s_cbranch_execz .LBB281_1688
; %bb.1681:                             ;   in Loop: Header=BB281_995 Depth=1
	v_lshrrev_b32_e32 v3, 24, v11
	v_bfrev_b32_e32 v34, 1
	s_mov_b32 s19, exec_lo
	v_cmpx_ne_u32_e32 0x80, v3
	s_cbranch_execz .LBB281_1687
; %bb.1682:                             ;   in Loop: Header=BB281_995 Depth=1
	v_and_b32_e32 v36, 0x7f, v3
	v_mov_b32_e32 v34, 0x7c010000
	s_mov_b32 s20, exec_lo
	v_cmpx_ne_u32_e32 0x7f, v36
	s_cbranch_execz .LBB281_1686
; %bb.1683:                             ;   in Loop: Header=BB281_995 Depth=1
	v_and_b32_e32 v23, 7, v3
	v_lshrrev_b32_e32 v34, 3, v36
	s_mov_b32 s21, exec_lo
	v_cmpx_gt_u32_e32 8, v36
; %bb.1684:                             ;   in Loop: Header=BB281_995 Depth=1
	v_ffbh_u32_e32 v19, v23
	v_min_u32_e32 v19, 32, v19
	v_subrev_nc_u32_e32 v22, 28, v19
	v_sub_nc_u32_e32 v34, 29, v19
	v_lshlrev_b64 v[22:23], v22, v[3:4]
	v_and_b32_e32 v23, 7, v22
; %bb.1685:                             ;   in Loop: Header=BB281_995 Depth=1
	s_or_b32 exec_lo, exec_lo, s21
	v_lshlrev_b32_e32 v3, 8, v3
	v_lshl_add_u32 v19, v34, 10, 0x2000
	v_and_or_b32 v3, 0x8000, v3, v19
	v_lshlrev_b32_e32 v19, 23, v23
	v_lshl_or_b32 v34, v3, 16, v19
.LBB281_1686:                           ;   in Loop: Header=BB281_995 Depth=1
	s_or_b32 exec_lo, exec_lo, s20
.LBB281_1687:                           ;   in Loop: Header=BB281_995 Depth=1
	s_or_b32 exec_lo, exec_lo, s19
.LBB281_1688:                           ;   in Loop: Header=BB281_995 Depth=1
	s_or_b32 exec_lo, exec_lo, s18
	v_mov_b32_e32 v3, v12
	v_cmp_ne_u16_sdwa s4, v12, v4 src0_sel:BYTE_0 src1_sel:DWORD
	v_mov_b32_e32 v36, 0
	v_mov_b32_e32 v23, 0
	s_and_saveexec_b32 s18, s4
	s_cbranch_execz .LBB281_1696
; %bb.1689:                             ;   in Loop: Header=BB281_995 Depth=1
	v_cmp_ne_u16_sdwa s4, v12, v39 src0_sel:BYTE_0 src1_sel:DWORD
	v_mov_b32_e32 v23, 0x8000
	s_and_saveexec_b32 s19, s4
	s_cbranch_execz .LBB281_1695
; %bb.1690:                             ;   in Loop: Header=BB281_995 Depth=1
	v_and_b32_e32 v101, 0x7f, v12
	v_mov_b32_e32 v23, 0x7c01
	s_mov_b32 s20, exec_lo
	v_cmpx_ne_u32_e32 0x7f, v101
	s_cbranch_execz .LBB281_1694
; %bb.1691:                             ;   in Loop: Header=BB281_995 Depth=1
	v_and_b32_e32 v23, 7, v12
	v_lshrrev_b32_e32 v37, 3, v101
	s_mov_b32 s21, exec_lo
	v_cmpx_gt_u32_e32 8, v101
; %bb.1692:                             ;   in Loop: Header=BB281_995 Depth=1
	v_ffbh_u32_e32 v19, v23
	v_min_u32_e32 v19, 32, v19
	v_subrev_nc_u32_e32 v22, 28, v19
	v_sub_nc_u32_e32 v37, 29, v19
	v_lshlrev_b64 v[22:23], v22, v[3:4]
	v_and_b32_e32 v23, 7, v22
; %bb.1693:                             ;   in Loop: Header=BB281_995 Depth=1
	s_or_b32 exec_lo, exec_lo, s21
	v_lshlrev_b32_e32 v19, 8, v12
	v_lshl_add_u32 v22, v37, 10, 0x2000
	v_lshlrev_b32_e32 v23, 7, v23
	v_and_b32_e32 v19, 0x8000, v19
	v_and_b32_e32 v22, 0xfc00, v22
	v_or3_b32 v23, v19, v22, v23
.LBB281_1694:                           ;   in Loop: Header=BB281_995 Depth=1
	s_or_b32 exec_lo, exec_lo, s20
.LBB281_1695:                           ;   in Loop: Header=BB281_995 Depth=1
	s_or_b32 exec_lo, exec_lo, s19
.LBB281_1696:                           ;   in Loop: Header=BB281_995 Depth=1
	s_or_b32 exec_lo, exec_lo, s18
	v_lshrrev_b16 v3, 8, v3
	v_mov_b32_e32 v37, 0
	s_mov_b32 s18, exec_lo
	v_cmpx_ne_u16_e32 0, v3
	s_cbranch_execz .LBB281_1704
; %bb.1697:                             ;   in Loop: Header=BB281_995 Depth=1
	v_bfrev_b32_e32 v37, 1
	s_mov_b32 s19, exec_lo
	v_cmpx_ne_u16_e32 0x80, v3
	s_cbranch_execz .LBB281_1703
; %bb.1698:                             ;   in Loop: Header=BB281_995 Depth=1
	v_and_b32_sdwa v115, v3, v48 dst_sel:DWORD dst_unused:UNUSED_PAD src0_sel:WORD_0 src1_sel:DWORD
	v_mov_b32_e32 v37, 0x7c010000
	s_mov_b32 s20, exec_lo
	v_cmpx_ne_u32_e32 0x7f, v115
	s_cbranch_execz .LBB281_1702
; %bb.1699:                             ;   in Loop: Header=BB281_995 Depth=1
	v_and_b32_sdwa v37, v3, v65 dst_sel:DWORD dst_unused:UNUSED_PAD src0_sel:WORD_0 src1_sel:DWORD
	v_lshrrev_b32_e32 v101, 3, v115
	s_mov_b32 s21, exec_lo
	v_cmpx_gt_u32_e32 8, v115
; %bb.1700:                             ;   in Loop: Header=BB281_995 Depth=1
	v_ffbh_u32_e32 v19, v37
	v_min_u32_e32 v19, 32, v19
	v_subrev_nc_u32_e32 v22, 28, v19
	v_sub_nc_u32_e32 v101, 29, v19
	v_lshlrev_b64 v[42:43], v22, v[3:4]
	v_and_b32_e32 v37, 7, v42
; %bb.1701:                             ;   in Loop: Header=BB281_995 Depth=1
	s_or_b32 exec_lo, exec_lo, s21
	v_lshlrev_b32_sdwa v3, v66, v3 dst_sel:DWORD dst_unused:UNUSED_PAD src0_sel:DWORD src1_sel:WORD_0
	v_lshl_add_u32 v19, v101, 10, 0x2000
	v_and_or_b32 v3, 0x8000, v3, v19
	v_lshlrev_b32_e32 v19, 23, v37
	v_lshl_or_b32 v37, v3, 16, v19
.LBB281_1702:                           ;   in Loop: Header=BB281_995 Depth=1
	s_or_b32 exec_lo, exec_lo, s20
.LBB281_1703:                           ;   in Loop: Header=BB281_995 Depth=1
	s_or_b32 exec_lo, exec_lo, s19
.LBB281_1704:                           ;   in Loop: Header=BB281_995 Depth=1
	s_or_b32 exec_lo, exec_lo, s18
	v_lshrrev_b32_e32 v3, 16, v12
	v_cmp_ne_u16_sdwa s4, v3, v4 src0_sel:BYTE_0 src1_sel:DWORD
	s_and_saveexec_b32 s18, s4
	s_cbranch_execz .LBB281_1712
; %bb.1705:                             ;   in Loop: Header=BB281_995 Depth=1
	v_cmp_ne_u16_sdwa s4, v3, v39 src0_sel:BYTE_0 src1_sel:DWORD
	v_mov_b32_e32 v36, 0x8000
	s_and_saveexec_b32 s19, s4
	s_cbranch_execz .LBB281_1711
; %bb.1706:                             ;   in Loop: Header=BB281_995 Depth=1
	v_bfe_u32 v115, v12, 16, 7
	v_mov_b32_e32 v36, 0x7c01
	s_mov_b32 s20, exec_lo
	v_cmpx_ne_u32_e32 0x7f, v115
	s_cbranch_execz .LBB281_1710
; %bb.1707:                             ;   in Loop: Header=BB281_995 Depth=1
	v_and_b32_e32 v36, 7, v3
	v_lshrrev_b32_e32 v101, 3, v115
	s_mov_b32 s21, exec_lo
	v_cmpx_gt_u32_e32 8, v115
; %bb.1708:                             ;   in Loop: Header=BB281_995 Depth=1
	v_ffbh_u32_e32 v19, v36
	v_min_u32_e32 v19, 32, v19
	v_subrev_nc_u32_e32 v22, 28, v19
	v_sub_nc_u32_e32 v101, 29, v19
	v_lshlrev_b64 v[42:43], v22, v[3:4]
	v_and_b32_e32 v36, 7, v42
; %bb.1709:                             ;   in Loop: Header=BB281_995 Depth=1
	s_or_b32 exec_lo, exec_lo, s21
	v_lshlrev_b32_e32 v3, 8, v3
	v_lshl_add_u32 v19, v101, 10, 0x2000
	v_lshlrev_b32_e32 v22, 7, v36
	v_and_b32_e32 v3, 0x8000, v3
	v_and_b32_e32 v19, 0xfc00, v19
	v_or3_b32 v36, v3, v19, v22
.LBB281_1710:                           ;   in Loop: Header=BB281_995 Depth=1
	s_or_b32 exec_lo, exec_lo, s20
.LBB281_1711:                           ;   in Loop: Header=BB281_995 Depth=1
	s_or_b32 exec_lo, exec_lo, s19
.LBB281_1712:                           ;   in Loop: Header=BB281_995 Depth=1
	s_or_b32 exec_lo, exec_lo, s18
	v_cmp_lt_u64_e64 s4, s[6:7], v[11:12]
	v_mov_b32_e32 v11, 0
	s_and_saveexec_b32 s18, s4
	s_cbranch_execz .LBB281_1720
; %bb.1713:                             ;   in Loop: Header=BB281_995 Depth=1
	v_lshrrev_b32_e32 v3, 24, v12
	v_bfrev_b32_e32 v11, 1
	s_mov_b32 s19, exec_lo
	v_cmpx_ne_u32_e32 0x80, v3
	s_cbranch_execz .LBB281_1719
; %bb.1714:                             ;   in Loop: Header=BB281_995 Depth=1
	v_and_b32_e32 v101, 0x7f, v3
	v_mov_b32_e32 v11, 0x7c010000
	s_mov_b32 s20, exec_lo
	v_cmpx_ne_u32_e32 0x7f, v101
	s_cbranch_execz .LBB281_1718
; %bb.1715:                             ;   in Loop: Header=BB281_995 Depth=1
	v_and_b32_e32 v11, 7, v3
	v_lshrrev_b32_e32 v12, 3, v101
	s_mov_b32 s21, exec_lo
	v_cmpx_gt_u32_e32 8, v101
; %bb.1716:                             ;   in Loop: Header=BB281_995 Depth=1
	v_ffbh_u32_e32 v11, v11
	v_min_u32_e32 v19, 32, v11
	v_subrev_nc_u32_e32 v11, 28, v19
	v_lshlrev_b64 v[11:12], v11, v[3:4]
	v_sub_nc_u32_e32 v12, 29, v19
	v_and_b32_e32 v11, 7, v11
; %bb.1717:                             ;   in Loop: Header=BB281_995 Depth=1
	s_or_b32 exec_lo, exec_lo, s21
	v_lshlrev_b32_e32 v3, 8, v3
	v_lshl_add_u32 v12, v12, 10, 0x2000
	v_lshlrev_b32_e32 v11, 23, v11
	v_and_or_b32 v3, 0x8000, v3, v12
	v_lshl_or_b32 v11, v3, 16, v11
.LBB281_1718:                           ;   in Loop: Header=BB281_995 Depth=1
	s_or_b32 exec_lo, exec_lo, s20
.LBB281_1719:                           ;   in Loop: Header=BB281_995 Depth=1
	s_or_b32 exec_lo, exec_lo, s19
.LBB281_1720:                           ;   in Loop: Header=BB281_995 Depth=1
	s_or_b32 exec_lo, exec_lo, s18
	v_or_b32_e32 v3, v34, v35
	s_waitcnt vmcnt(0) lgkmcnt(0)
	v_fma_mixlo_f16 v12, v29, v34, 0 op_sel:[0,1,0] op_sel_hi:[0,1,0]
	v_or_b32_e32 v19, v31, v32
	v_fma_mixlo_f16 v22, v29, v31, 0 op_sel:[0,1,0] op_sel_hi:[0,1,0]
	v_or_b32_e32 v23, v37, v23
	v_fma_mixlo_f16 v32, v29, v3, 0 op_sel_hi:[0,1,0]
	v_or_b32_e32 v34, v11, v36
	v_lshlrev_b32_e32 v3, 16, v12
	v_lshlrev_b32_e32 v31, 16, v22
	v_fma_mixlo_f16 v19, v29, v19, 0 op_sel_hi:[0,1,0]
	v_and_b32_e32 v12, 0xffff, v32
	v_fma_mixlo_f16 v22, v29, v37, 0 op_sel:[0,1,0] op_sel_hi:[0,1,0]
	v_fma_mixlo_f16 v32, v29, v23, 0 op_sel_hi:[0,1,0]
	v_fma_mixlo_f16 v11, v29, v11, 0 op_sel:[0,1,0] op_sel_hi:[0,1,0]
	v_fma_mixlo_f16 v29, v29, v34, 0 op_sel_hi:[0,1,0]
	v_and_b32_e32 v101, 0xffff, v19
	v_lshlrev_b32_e32 v23, 16, v22
	v_and_b32_e32 v34, 0xffff, v32
	v_lshlrev_b32_e32 v11, 16, v11
	v_and_b32_e32 v29, 0xffff, v29
	v_or_b32_e32 v32, v3, v12
	v_or_b32_e32 v37, v31, v101
	;; [unrolled: 1-line block ×4, first 2 shown]
	s_and_saveexec_b32 s18, vcc_lo
	s_cbranch_execz .LBB281_1722
; %bb.1721:                             ;   in Loop: Header=BB281_995 Depth=1
	v_cmp_lt_i32_e64 s4, v70, v30
	v_cndmask_b32_e64 v19, 0, v101, s4
	v_cmp_lt_i32_e64 s4, v99, v30
	v_cndmask_b32_e64 v22, 0, v31, s4
	v_cmp_lt_i32_e64 s4, v98, v30
	v_or_b32_e32 v37, v19, v22
	v_cndmask_b32_e64 v12, 0, v12, s4
	v_cmp_lt_i32_e64 s4, v97, v30
	v_cndmask_b32_e64 v3, 0, v3, s4
	v_cmp_lt_i32_e64 s4, v96, v30
	v_or_b32_e32 v32, v12, v3
	;; [unrolled: 5-line block ×3, first 2 shown]
	v_cndmask_b32_e64 v29, 0, v29, s4
	v_cmp_lt_i32_e64 s4, v85, v30
	v_cndmask_b32_e64 v11, 0, v11, s4
	v_or_b32_e32 v35, v29, v11
.LBB281_1722:                           ;   in Loop: Header=BB281_995 Depth=1
	s_or_b32 exec_lo, exec_lo, s18
	;;#ASMSTART
	v_pk_mul_f16 v3, v84, v37;

	;;#ASMEND
	;;#ASMSTART
	v_pk_mul_f16 v11, v83, v32;

	;;#ASMEND
	;; [unrolled: 4-line block ×4, first 2 shown]
	;;#ASMSTART
	v_pk_add_f16 v3, v3, v11;

	;;#ASMEND
	;;#ASMSTART
	v_pk_add_f16 v3, v3, v12;

	;;#ASMEND
	;; [unrolled: 4-line block ×3, first 2 shown]
	v_and_b32_e32 v11, 0xffff, v3
	v_lshrrev_b32_e32 v3, 16, v3
	;;#ASMSTART
	v_cvt_f32_f16 v29, v11;
	;;#ASMEND
	;;#ASMSTART
	v_cvt_f32_f16 v31, v3;
	;;#ASMEND
	flat_load_dwordx2 v[11:12], v[9:10] offset:768
	s_clause 0x1
	buffer_load_dword v22, off, s[0:3], s32 offset:192
	buffer_load_dword v23, off, s[0:3], s32 offset:196
	v_mov_b32_e32 v34, 0
	v_mov_b32_e32 v35, 0
	s_waitcnt vmcnt(2) lgkmcnt(0)
	v_cmp_ne_u16_sdwa s4, v11, v4 src0_sel:BYTE_0 src1_sel:DWORD
	s_waitcnt vmcnt(0)
	flat_load_dword v32, v[22:23]
	s_and_saveexec_b32 s18, s4
	s_cbranch_execz .LBB281_1730
; %bb.1723:                             ;   in Loop: Header=BB281_995 Depth=1
	v_cmp_ne_u16_sdwa s4, v11, v39 src0_sel:BYTE_0 src1_sel:DWORD
	v_mov_b32_e32 v35, 0x8000
	s_and_saveexec_b32 s19, s4
	s_cbranch_execz .LBB281_1729
; %bb.1724:                             ;   in Loop: Header=BB281_995 Depth=1
	v_and_b32_e32 v36, 0x7f, v11
	v_mov_b32_e32 v35, 0x7c01
	s_mov_b32 s20, exec_lo
	v_cmpx_ne_u32_e32 0x7f, v36
	s_cbranch_execz .LBB281_1728
; %bb.1725:                             ;   in Loop: Header=BB281_995 Depth=1
	v_and_b32_e32 v3, 7, v11
	v_lshrrev_b32_e32 v23, 3, v36
	s_mov_b32 s21, exec_lo
	v_cmpx_gt_u32_e32 8, v36
; %bb.1726:                             ;   in Loop: Header=BB281_995 Depth=1
	v_ffbh_u32_e32 v3, v3
	v_min_u32_e32 v3, 32, v3
	v_subrev_nc_u32_e32 v19, 28, v3
	v_lshlrev_b64 v[22:23], v19, v[11:12]
	v_sub_nc_u32_e32 v23, 29, v3
	v_and_b32_e32 v3, 7, v22
; %bb.1727:                             ;   in Loop: Header=BB281_995 Depth=1
	s_or_b32 exec_lo, exec_lo, s21
	v_lshlrev_b32_e32 v19, 8, v11
	v_lshl_add_u32 v22, v23, 10, 0x2000
	v_lshlrev_b32_e32 v3, 7, v3
	v_and_b32_e32 v19, 0x8000, v19
	v_and_b32_e32 v22, 0xfc00, v22
	v_or3_b32 v35, v19, v22, v3
.LBB281_1728:                           ;   in Loop: Header=BB281_995 Depth=1
	s_or_b32 exec_lo, exec_lo, s20
.LBB281_1729:                           ;   in Loop: Header=BB281_995 Depth=1
	s_or_b32 exec_lo, exec_lo, s19
.LBB281_1730:                           ;   in Loop: Header=BB281_995 Depth=1
	s_or_b32 exec_lo, exec_lo, s18
	v_lshrrev_b16 v3, 8, v11
	s_mov_b32 s18, exec_lo
	v_cmpx_ne_u16_e32 0, v3
	s_cbranch_execz .LBB281_1738
; %bb.1731:                             ;   in Loop: Header=BB281_995 Depth=1
	v_bfrev_b32_e32 v34, 1
	s_mov_b32 s19, exec_lo
	v_cmpx_ne_u16_e32 0x80, v3
	s_cbranch_execz .LBB281_1737
; %bb.1732:                             ;   in Loop: Header=BB281_995 Depth=1
	v_and_b32_sdwa v36, v3, v48 dst_sel:DWORD dst_unused:UNUSED_PAD src0_sel:WORD_0 src1_sel:DWORD
	v_mov_b32_e32 v34, 0x7c010000
	s_mov_b32 s20, exec_lo
	v_cmpx_ne_u32_e32 0x7f, v36
	s_cbranch_execz .LBB281_1736
; %bb.1733:                             ;   in Loop: Header=BB281_995 Depth=1
	v_and_b32_sdwa v23, v3, v65 dst_sel:DWORD dst_unused:UNUSED_PAD src0_sel:WORD_0 src1_sel:DWORD
	v_lshrrev_b32_e32 v34, 3, v36
	s_mov_b32 s21, exec_lo
	v_cmpx_gt_u32_e32 8, v36
; %bb.1734:                             ;   in Loop: Header=BB281_995 Depth=1
	v_ffbh_u32_e32 v19, v23
	v_min_u32_e32 v19, 32, v19
	v_subrev_nc_u32_e32 v22, 28, v19
	v_sub_nc_u32_e32 v34, 29, v19
	v_lshlrev_b64 v[22:23], v22, v[3:4]
	v_and_b32_e32 v23, 7, v22
; %bb.1735:                             ;   in Loop: Header=BB281_995 Depth=1
	s_or_b32 exec_lo, exec_lo, s21
	v_lshlrev_b32_sdwa v3, v66, v3 dst_sel:DWORD dst_unused:UNUSED_PAD src0_sel:DWORD src1_sel:WORD_0
	v_lshl_add_u32 v19, v34, 10, 0x2000
	v_and_or_b32 v3, 0x8000, v3, v19
	v_lshlrev_b32_e32 v19, 23, v23
	v_lshl_or_b32 v34, v3, 16, v19
.LBB281_1736:                           ;   in Loop: Header=BB281_995 Depth=1
	s_or_b32 exec_lo, exec_lo, s20
.LBB281_1737:                           ;   in Loop: Header=BB281_995 Depth=1
	s_or_b32 exec_lo, exec_lo, s19
.LBB281_1738:                           ;   in Loop: Header=BB281_995 Depth=1
	s_or_b32 exec_lo, exec_lo, s18
	v_lshrrev_b32_e32 v3, 16, v11
	v_mov_b32_e32 v36, 0
	v_mov_b32_e32 v37, 0
	v_cmp_ne_u16_sdwa s4, v3, v4 src0_sel:BYTE_0 src1_sel:DWORD
	s_and_saveexec_b32 s18, s4
	s_cbranch_execz .LBB281_1746
; %bb.1739:                             ;   in Loop: Header=BB281_995 Depth=1
	v_cmp_ne_u16_sdwa s4, v3, v39 src0_sel:BYTE_0 src1_sel:DWORD
	v_mov_b32_e32 v37, 0x8000
	s_and_saveexec_b32 s19, s4
	s_cbranch_execz .LBB281_1745
; %bb.1740:                             ;   in Loop: Header=BB281_995 Depth=1
	v_bfe_u32 v101, v11, 16, 7
	v_mov_b32_e32 v37, 0x7c01
	s_mov_b32 s20, exec_lo
	v_cmpx_ne_u32_e32 0x7f, v101
	s_cbranch_execz .LBB281_1744
; %bb.1741:                             ;   in Loop: Header=BB281_995 Depth=1
	v_and_b32_e32 v23, 7, v3
	v_lshrrev_b32_e32 v37, 3, v101
	s_mov_b32 s21, exec_lo
	v_cmpx_gt_u32_e32 8, v101
; %bb.1742:                             ;   in Loop: Header=BB281_995 Depth=1
	v_ffbh_u32_e32 v19, v23
	v_min_u32_e32 v19, 32, v19
	v_subrev_nc_u32_e32 v22, 28, v19
	v_sub_nc_u32_e32 v37, 29, v19
	v_lshlrev_b64 v[22:23], v22, v[3:4]
	v_and_b32_e32 v23, 7, v22
; %bb.1743:                             ;   in Loop: Header=BB281_995 Depth=1
	s_or_b32 exec_lo, exec_lo, s21
	v_lshlrev_b32_e32 v3, 8, v3
	v_lshl_add_u32 v19, v37, 10, 0x2000
	v_lshlrev_b32_e32 v22, 7, v23
	v_and_b32_e32 v3, 0x8000, v3
	v_and_b32_e32 v19, 0xfc00, v19
	v_or3_b32 v37, v3, v19, v22
.LBB281_1744:                           ;   in Loop: Header=BB281_995 Depth=1
	s_or_b32 exec_lo, exec_lo, s20
.LBB281_1745:                           ;   in Loop: Header=BB281_995 Depth=1
	s_or_b32 exec_lo, exec_lo, s19
.LBB281_1746:                           ;   in Loop: Header=BB281_995 Depth=1
	s_or_b32 exec_lo, exec_lo, s18
	s_mov_b32 s18, exec_lo
	v_cmpx_lt_u32_e32 0xffffff, v11
	s_cbranch_execz .LBB281_1754
; %bb.1747:                             ;   in Loop: Header=BB281_995 Depth=1
	v_lshrrev_b32_e32 v3, 24, v11
	v_bfrev_b32_e32 v36, 1
	s_mov_b32 s19, exec_lo
	v_cmpx_ne_u32_e32 0x80, v3
	s_cbranch_execz .LBB281_1753
; %bb.1748:                             ;   in Loop: Header=BB281_995 Depth=1
	v_and_b32_e32 v101, 0x7f, v3
	v_mov_b32_e32 v36, 0x7c010000
	s_mov_b32 s20, exec_lo
	v_cmpx_ne_u32_e32 0x7f, v101
	s_cbranch_execz .LBB281_1752
; %bb.1749:                             ;   in Loop: Header=BB281_995 Depth=1
	v_and_b32_e32 v23, 7, v3
	v_lshrrev_b32_e32 v36, 3, v101
	s_mov_b32 s21, exec_lo
	v_cmpx_gt_u32_e32 8, v101
; %bb.1750:                             ;   in Loop: Header=BB281_995 Depth=1
	v_ffbh_u32_e32 v19, v23
	v_min_u32_e32 v19, 32, v19
	v_subrev_nc_u32_e32 v22, 28, v19
	v_sub_nc_u32_e32 v36, 29, v19
	v_lshlrev_b64 v[22:23], v22, v[3:4]
	v_and_b32_e32 v23, 7, v22
; %bb.1751:                             ;   in Loop: Header=BB281_995 Depth=1
	s_or_b32 exec_lo, exec_lo, s21
	v_lshlrev_b32_e32 v3, 8, v3
	v_lshl_add_u32 v19, v36, 10, 0x2000
	v_and_or_b32 v3, 0x8000, v3, v19
	v_lshlrev_b32_e32 v19, 23, v23
	v_lshl_or_b32 v36, v3, 16, v19
.LBB281_1752:                           ;   in Loop: Header=BB281_995 Depth=1
	s_or_b32 exec_lo, exec_lo, s20
.LBB281_1753:                           ;   in Loop: Header=BB281_995 Depth=1
	s_or_b32 exec_lo, exec_lo, s19
.LBB281_1754:                           ;   in Loop: Header=BB281_995 Depth=1
	s_or_b32 exec_lo, exec_lo, s18
	v_mov_b32_e32 v3, v12
	v_cmp_ne_u16_sdwa s4, v12, v4 src0_sel:BYTE_0 src1_sel:DWORD
	v_mov_b32_e32 v115, 0
	v_mov_b32_e32 v23, 0
	s_and_saveexec_b32 s18, s4
	s_cbranch_execz .LBB281_1762
; %bb.1755:                             ;   in Loop: Header=BB281_995 Depth=1
	v_cmp_ne_u16_sdwa s4, v12, v39 src0_sel:BYTE_0 src1_sel:DWORD
	v_mov_b32_e32 v23, 0x8000
	s_and_saveexec_b32 s19, s4
	s_cbranch_execz .LBB281_1761
; %bb.1756:                             ;   in Loop: Header=BB281_995 Depth=1
	v_and_b32_e32 v42, 0x7f, v12
	v_mov_b32_e32 v23, 0x7c01
	s_mov_b32 s20, exec_lo
	v_cmpx_ne_u32_e32 0x7f, v42
	s_cbranch_execz .LBB281_1760
; %bb.1757:                             ;   in Loop: Header=BB281_995 Depth=1
	v_and_b32_e32 v23, 7, v12
	v_lshrrev_b32_e32 v101, 3, v42
	s_mov_b32 s21, exec_lo
	v_cmpx_gt_u32_e32 8, v42
; %bb.1758:                             ;   in Loop: Header=BB281_995 Depth=1
	v_ffbh_u32_e32 v19, v23
	v_min_u32_e32 v19, 32, v19
	v_subrev_nc_u32_e32 v22, 28, v19
	v_sub_nc_u32_e32 v101, 29, v19
	v_lshlrev_b64 v[22:23], v22, v[3:4]
	v_and_b32_e32 v23, 7, v22
; %bb.1759:                             ;   in Loop: Header=BB281_995 Depth=1
	s_or_b32 exec_lo, exec_lo, s21
	v_lshlrev_b32_e32 v19, 8, v12
	v_lshl_add_u32 v22, v101, 10, 0x2000
	v_lshlrev_b32_e32 v23, 7, v23
	v_and_b32_e32 v19, 0x8000, v19
	v_and_b32_e32 v22, 0xfc00, v22
	v_or3_b32 v23, v19, v22, v23
.LBB281_1760:                           ;   in Loop: Header=BB281_995 Depth=1
	s_or_b32 exec_lo, exec_lo, s20
.LBB281_1761:                           ;   in Loop: Header=BB281_995 Depth=1
	s_or_b32 exec_lo, exec_lo, s19
.LBB281_1762:                           ;   in Loop: Header=BB281_995 Depth=1
	s_or_b32 exec_lo, exec_lo, s18
	v_lshrrev_b16 v3, 8, v3
	v_mov_b32_e32 v101, 0
	s_mov_b32 s18, exec_lo
	v_cmpx_ne_u16_e32 0, v3
	s_cbranch_execz .LBB281_1770
; %bb.1763:                             ;   in Loop: Header=BB281_995 Depth=1
	v_bfrev_b32_e32 v101, 1
	s_mov_b32 s19, exec_lo
	v_cmpx_ne_u16_e32 0x80, v3
	s_cbranch_execz .LBB281_1769
; %bb.1764:                             ;   in Loop: Header=BB281_995 Depth=1
	v_and_b32_sdwa v43, v3, v48 dst_sel:DWORD dst_unused:UNUSED_PAD src0_sel:WORD_0 src1_sel:DWORD
	v_mov_b32_e32 v101, 0x7c010000
	s_mov_b32 s20, exec_lo
	v_cmpx_ne_u32_e32 0x7f, v43
	s_cbranch_execz .LBB281_1768
; %bb.1765:                             ;   in Loop: Header=BB281_995 Depth=1
	v_and_b32_sdwa v101, v3, v65 dst_sel:DWORD dst_unused:UNUSED_PAD src0_sel:WORD_0 src1_sel:DWORD
	v_lshrrev_b32_e32 v42, 3, v43
	s_mov_b32 s21, exec_lo
	v_cmpx_gt_u32_e32 8, v43
; %bb.1766:                             ;   in Loop: Header=BB281_995 Depth=1
	v_ffbh_u32_e32 v19, v101
	v_min_u32_e32 v19, 32, v19
	v_subrev_nc_u32_e32 v22, 28, v19
	v_sub_nc_u32_e32 v42, 29, v19
	v_lshlrev_b64 v[43:44], v22, v[3:4]
	v_and_b32_e32 v101, 7, v43
; %bb.1767:                             ;   in Loop: Header=BB281_995 Depth=1
	s_or_b32 exec_lo, exec_lo, s21
	v_lshlrev_b32_sdwa v3, v66, v3 dst_sel:DWORD dst_unused:UNUSED_PAD src0_sel:DWORD src1_sel:WORD_0
	v_lshl_add_u32 v19, v42, 10, 0x2000
	v_and_or_b32 v3, 0x8000, v3, v19
	v_lshlrev_b32_e32 v19, 23, v101
	v_lshl_or_b32 v101, v3, 16, v19
.LBB281_1768:                           ;   in Loop: Header=BB281_995 Depth=1
	s_or_b32 exec_lo, exec_lo, s20
.LBB281_1769:                           ;   in Loop: Header=BB281_995 Depth=1
	s_or_b32 exec_lo, exec_lo, s19
.LBB281_1770:                           ;   in Loop: Header=BB281_995 Depth=1
	s_or_b32 exec_lo, exec_lo, s18
	v_lshrrev_b32_e32 v3, 16, v12
	v_cmp_ne_u16_sdwa s4, v3, v4 src0_sel:BYTE_0 src1_sel:DWORD
	s_and_saveexec_b32 s18, s4
	s_cbranch_execz .LBB281_1778
; %bb.1771:                             ;   in Loop: Header=BB281_995 Depth=1
	v_cmp_ne_u16_sdwa s4, v3, v39 src0_sel:BYTE_0 src1_sel:DWORD
	v_mov_b32_e32 v115, 0x8000
	s_and_saveexec_b32 s19, s4
	s_cbranch_execz .LBB281_1777
; %bb.1772:                             ;   in Loop: Header=BB281_995 Depth=1
	v_bfe_u32 v43, v12, 16, 7
	v_mov_b32_e32 v115, 0x7c01
	s_mov_b32 s20, exec_lo
	v_cmpx_ne_u32_e32 0x7f, v43
	s_cbranch_execz .LBB281_1776
; %bb.1773:                             ;   in Loop: Header=BB281_995 Depth=1
	v_and_b32_e32 v115, 7, v3
	v_lshrrev_b32_e32 v42, 3, v43
	s_mov_b32 s21, exec_lo
	v_cmpx_gt_u32_e32 8, v43
; %bb.1774:                             ;   in Loop: Header=BB281_995 Depth=1
	v_ffbh_u32_e32 v19, v115
	v_min_u32_e32 v19, 32, v19
	v_subrev_nc_u32_e32 v22, 28, v19
	v_sub_nc_u32_e32 v42, 29, v19
	v_lshlrev_b64 v[43:44], v22, v[3:4]
	v_and_b32_e32 v115, 7, v43
; %bb.1775:                             ;   in Loop: Header=BB281_995 Depth=1
	s_or_b32 exec_lo, exec_lo, s21
	v_lshlrev_b32_e32 v3, 8, v3
	v_lshl_add_u32 v19, v42, 10, 0x2000
	v_lshlrev_b32_e32 v22, 7, v115
	v_and_b32_e32 v3, 0x8000, v3
	v_and_b32_e32 v19, 0xfc00, v19
	v_or3_b32 v115, v3, v19, v22
.LBB281_1776:                           ;   in Loop: Header=BB281_995 Depth=1
	s_or_b32 exec_lo, exec_lo, s20
.LBB281_1777:                           ;   in Loop: Header=BB281_995 Depth=1
	s_or_b32 exec_lo, exec_lo, s19
.LBB281_1778:                           ;   in Loop: Header=BB281_995 Depth=1
	s_or_b32 exec_lo, exec_lo, s18
	v_cmp_lt_u64_e64 s4, s[6:7], v[11:12]
	v_mov_b32_e32 v11, 0
	s_and_saveexec_b32 s18, s4
	s_cbranch_execz .LBB281_1786
; %bb.1779:                             ;   in Loop: Header=BB281_995 Depth=1
	v_lshrrev_b32_e32 v3, 24, v12
	v_bfrev_b32_e32 v11, 1
	s_mov_b32 s19, exec_lo
	v_cmpx_ne_u32_e32 0x80, v3
	s_cbranch_execz .LBB281_1785
; %bb.1780:                             ;   in Loop: Header=BB281_995 Depth=1
	v_and_b32_e32 v42, 0x7f, v3
	v_mov_b32_e32 v11, 0x7c010000
	s_mov_b32 s20, exec_lo
	v_cmpx_ne_u32_e32 0x7f, v42
	s_cbranch_execz .LBB281_1784
; %bb.1781:                             ;   in Loop: Header=BB281_995 Depth=1
	v_and_b32_e32 v11, 7, v3
	v_lshrrev_b32_e32 v12, 3, v42
	s_mov_b32 s21, exec_lo
	v_cmpx_gt_u32_e32 8, v42
; %bb.1782:                             ;   in Loop: Header=BB281_995 Depth=1
	v_ffbh_u32_e32 v11, v11
	v_min_u32_e32 v19, 32, v11
	v_subrev_nc_u32_e32 v11, 28, v19
	v_lshlrev_b64 v[11:12], v11, v[3:4]
	v_sub_nc_u32_e32 v12, 29, v19
	v_and_b32_e32 v11, 7, v11
; %bb.1783:                             ;   in Loop: Header=BB281_995 Depth=1
	s_or_b32 exec_lo, exec_lo, s21
	v_lshlrev_b32_e32 v3, 8, v3
	v_lshl_add_u32 v12, v12, 10, 0x2000
	v_lshlrev_b32_e32 v11, 23, v11
	v_and_or_b32 v3, 0x8000, v3, v12
	v_lshl_or_b32 v11, v3, 16, v11
.LBB281_1784:                           ;   in Loop: Header=BB281_995 Depth=1
	s_or_b32 exec_lo, exec_lo, s20
.LBB281_1785:                           ;   in Loop: Header=BB281_995 Depth=1
	s_or_b32 exec_lo, exec_lo, s19
.LBB281_1786:                           ;   in Loop: Header=BB281_995 Depth=1
	s_or_b32 exec_lo, exec_lo, s18
	v_or_b32_e32 v3, v36, v37
	s_waitcnt vmcnt(0) lgkmcnt(0)
	v_fma_mixlo_f16 v12, v32, v36, 0 op_sel:[0,1,0] op_sel_hi:[0,1,0]
	v_or_b32_e32 v19, v34, v35
	v_fma_mixlo_f16 v22, v32, v34, 0 op_sel:[0,1,0] op_sel_hi:[0,1,0]
	v_or_b32_e32 v23, v101, v23
	v_fma_mixlo_f16 v35, v32, v3, 0 op_sel_hi:[0,1,0]
	v_or_b32_e32 v36, v11, v115
	v_lshlrev_b32_e32 v3, 16, v12
	v_lshlrev_b32_e32 v34, 16, v22
	v_fma_mixlo_f16 v19, v32, v19, 0 op_sel_hi:[0,1,0]
	v_and_b32_e32 v12, 0xffff, v35
	v_fma_mixlo_f16 v22, v32, v101, 0 op_sel:[0,1,0] op_sel_hi:[0,1,0]
	v_fma_mixlo_f16 v35, v32, v23, 0 op_sel_hi:[0,1,0]
	v_fma_mixlo_f16 v11, v32, v11, 0 op_sel:[0,1,0] op_sel_hi:[0,1,0]
	v_fma_mixlo_f16 v32, v32, v36, 0 op_sel_hi:[0,1,0]
	v_and_b32_e32 v42, 0xffff, v19
	v_lshlrev_b32_e32 v23, 16, v22
	v_and_b32_e32 v36, 0xffff, v35
	v_lshlrev_b32_e32 v11, 16, v11
	v_and_b32_e32 v32, 0xffff, v32
	v_or_b32_e32 v35, v3, v12
	v_or_b32_e32 v115, v34, v42
	;; [unrolled: 1-line block ×4, first 2 shown]
	s_and_saveexec_b32 s18, vcc_lo
	s_cbranch_execz .LBB281_1788
; %bb.1787:                             ;   in Loop: Header=BB281_995 Depth=1
	v_cmp_lt_i32_e64 s4, v70, v30
	v_cndmask_b32_e64 v19, 0, v42, s4
	v_cmp_lt_i32_e64 s4, v99, v30
	v_cndmask_b32_e64 v22, 0, v34, s4
	v_cmp_lt_i32_e64 s4, v98, v30
	v_or_b32_e32 v115, v19, v22
	v_cndmask_b32_e64 v12, 0, v12, s4
	v_cmp_lt_i32_e64 s4, v97, v30
	v_cndmask_b32_e64 v3, 0, v3, s4
	v_cmp_lt_i32_e64 s4, v96, v30
	v_or_b32_e32 v35, v12, v3
	;; [unrolled: 5-line block ×3, first 2 shown]
	v_cndmask_b32_e64 v32, 0, v32, s4
	v_cmp_lt_i32_e64 s4, v85, v30
	v_cndmask_b32_e64 v11, 0, v11, s4
	v_or_b32_e32 v37, v32, v11
.LBB281_1788:                           ;   in Loop: Header=BB281_995 Depth=1
	s_or_b32 exec_lo, exec_lo, s18
	;;#ASMSTART
	v_pk_mul_f16 v3, v84, v115;

	;;#ASMEND
	;;#ASMSTART
	v_pk_mul_f16 v11, v83, v35;

	;;#ASMEND
	;; [unrolled: 4-line block ×4, first 2 shown]
	;;#ASMSTART
	v_pk_add_f16 v3, v3, v11;

	;;#ASMEND
	;;#ASMSTART
	v_pk_add_f16 v3, v3, v12;

	;;#ASMEND
	;; [unrolled: 4-line block ×3, first 2 shown]
	v_and_b32_e32 v11, 0xffff, v3
	v_lshrrev_b32_e32 v3, 16, v3
	;;#ASMSTART
	v_cvt_f32_f16 v32, v11;
	;;#ASMEND
	;;#ASMSTART
	v_cvt_f32_f16 v34, v3;
	;;#ASMEND
	flat_load_dwordx2 v[11:12], v[9:10] offset:1024
	s_clause 0x1
	buffer_load_dword v22, off, s[0:3], s32 offset:192
	buffer_load_dword v23, off, s[0:3], s32 offset:196
	v_mov_b32_e32 v36, 0
	v_mov_b32_e32 v37, 0
	s_waitcnt vmcnt(2) lgkmcnt(0)
	v_cmp_ne_u16_sdwa s4, v11, v4 src0_sel:BYTE_0 src1_sel:DWORD
	s_waitcnt vmcnt(0)
	flat_load_dword v35, v[22:23]
	s_and_saveexec_b32 s18, s4
	s_cbranch_execz .LBB281_1796
; %bb.1789:                             ;   in Loop: Header=BB281_995 Depth=1
	v_cmp_ne_u16_sdwa s4, v11, v39 src0_sel:BYTE_0 src1_sel:DWORD
	v_mov_b32_e32 v37, 0x8000
	s_and_saveexec_b32 s19, s4
	s_cbranch_execz .LBB281_1795
; %bb.1790:                             ;   in Loop: Header=BB281_995 Depth=1
	v_and_b32_e32 v101, 0x7f, v11
	v_mov_b32_e32 v37, 0x7c01
	s_mov_b32 s20, exec_lo
	v_cmpx_ne_u32_e32 0x7f, v101
	s_cbranch_execz .LBB281_1794
; %bb.1791:                             ;   in Loop: Header=BB281_995 Depth=1
	v_and_b32_e32 v3, 7, v11
	v_lshrrev_b32_e32 v23, 3, v101
	s_mov_b32 s21, exec_lo
	v_cmpx_gt_u32_e32 8, v101
; %bb.1792:                             ;   in Loop: Header=BB281_995 Depth=1
	v_ffbh_u32_e32 v3, v3
	v_min_u32_e32 v3, 32, v3
	v_subrev_nc_u32_e32 v19, 28, v3
	v_lshlrev_b64 v[22:23], v19, v[11:12]
	v_sub_nc_u32_e32 v23, 29, v3
	v_and_b32_e32 v3, 7, v22
; %bb.1793:                             ;   in Loop: Header=BB281_995 Depth=1
	s_or_b32 exec_lo, exec_lo, s21
	v_lshlrev_b32_e32 v19, 8, v11
	v_lshl_add_u32 v22, v23, 10, 0x2000
	v_lshlrev_b32_e32 v3, 7, v3
	v_and_b32_e32 v19, 0x8000, v19
	v_and_b32_e32 v22, 0xfc00, v22
	v_or3_b32 v37, v19, v22, v3
.LBB281_1794:                           ;   in Loop: Header=BB281_995 Depth=1
	s_or_b32 exec_lo, exec_lo, s20
.LBB281_1795:                           ;   in Loop: Header=BB281_995 Depth=1
	s_or_b32 exec_lo, exec_lo, s19
.LBB281_1796:                           ;   in Loop: Header=BB281_995 Depth=1
	s_or_b32 exec_lo, exec_lo, s18
	v_lshrrev_b16 v3, 8, v11
	s_mov_b32 s18, exec_lo
	v_cmpx_ne_u16_e32 0, v3
	s_cbranch_execz .LBB281_1804
; %bb.1797:                             ;   in Loop: Header=BB281_995 Depth=1
	v_bfrev_b32_e32 v36, 1
	s_mov_b32 s19, exec_lo
	v_cmpx_ne_u16_e32 0x80, v3
	s_cbranch_execz .LBB281_1803
; %bb.1798:                             ;   in Loop: Header=BB281_995 Depth=1
	v_and_b32_sdwa v101, v3, v48 dst_sel:DWORD dst_unused:UNUSED_PAD src0_sel:WORD_0 src1_sel:DWORD
	v_mov_b32_e32 v36, 0x7c010000
	s_mov_b32 s20, exec_lo
	v_cmpx_ne_u32_e32 0x7f, v101
	s_cbranch_execz .LBB281_1802
; %bb.1799:                             ;   in Loop: Header=BB281_995 Depth=1
	v_and_b32_sdwa v23, v3, v65 dst_sel:DWORD dst_unused:UNUSED_PAD src0_sel:WORD_0 src1_sel:DWORD
	v_lshrrev_b32_e32 v36, 3, v101
	s_mov_b32 s21, exec_lo
	v_cmpx_gt_u32_e32 8, v101
; %bb.1800:                             ;   in Loop: Header=BB281_995 Depth=1
	v_ffbh_u32_e32 v19, v23
	v_min_u32_e32 v19, 32, v19
	v_subrev_nc_u32_e32 v22, 28, v19
	v_sub_nc_u32_e32 v36, 29, v19
	v_lshlrev_b64 v[22:23], v22, v[3:4]
	v_and_b32_e32 v23, 7, v22
; %bb.1801:                             ;   in Loop: Header=BB281_995 Depth=1
	s_or_b32 exec_lo, exec_lo, s21
	v_lshlrev_b32_sdwa v3, v66, v3 dst_sel:DWORD dst_unused:UNUSED_PAD src0_sel:DWORD src1_sel:WORD_0
	v_lshl_add_u32 v19, v36, 10, 0x2000
	v_and_or_b32 v3, 0x8000, v3, v19
	v_lshlrev_b32_e32 v19, 23, v23
	v_lshl_or_b32 v36, v3, 16, v19
.LBB281_1802:                           ;   in Loop: Header=BB281_995 Depth=1
	s_or_b32 exec_lo, exec_lo, s20
.LBB281_1803:                           ;   in Loop: Header=BB281_995 Depth=1
	s_or_b32 exec_lo, exec_lo, s19
.LBB281_1804:                           ;   in Loop: Header=BB281_995 Depth=1
	s_or_b32 exec_lo, exec_lo, s18
	v_lshrrev_b32_e32 v3, 16, v11
	v_mov_b32_e32 v115, 0
	v_mov_b32_e32 v42, 0
	v_cmp_ne_u16_sdwa s4, v3, v4 src0_sel:BYTE_0 src1_sel:DWORD
	s_and_saveexec_b32 s18, s4
	s_cbranch_execz .LBB281_1812
; %bb.1805:                             ;   in Loop: Header=BB281_995 Depth=1
	v_cmp_ne_u16_sdwa s4, v3, v39 src0_sel:BYTE_0 src1_sel:DWORD
	v_mov_b32_e32 v42, 0x8000
	s_and_saveexec_b32 s19, s4
	s_cbranch_execz .LBB281_1811
; %bb.1806:                             ;   in Loop: Header=BB281_995 Depth=1
	v_bfe_u32 v43, v11, 16, 7
	v_mov_b32_e32 v42, 0x7c01
	s_mov_b32 s20, exec_lo
	v_cmpx_ne_u32_e32 0x7f, v43
	s_cbranch_execz .LBB281_1810
; %bb.1807:                             ;   in Loop: Header=BB281_995 Depth=1
	v_and_b32_e32 v23, 7, v3
	v_lshrrev_b32_e32 v101, 3, v43
	s_mov_b32 s21, exec_lo
	v_cmpx_gt_u32_e32 8, v43
; %bb.1808:                             ;   in Loop: Header=BB281_995 Depth=1
	v_ffbh_u32_e32 v19, v23
	v_min_u32_e32 v19, 32, v19
	v_subrev_nc_u32_e32 v22, 28, v19
	v_sub_nc_u32_e32 v101, 29, v19
	v_lshlrev_b64 v[22:23], v22, v[3:4]
	v_and_b32_e32 v23, 7, v22
; %bb.1809:                             ;   in Loop: Header=BB281_995 Depth=1
	s_or_b32 exec_lo, exec_lo, s21
	v_lshlrev_b32_e32 v3, 8, v3
	v_lshl_add_u32 v19, v101, 10, 0x2000
	v_lshlrev_b32_e32 v22, 7, v23
	v_and_b32_e32 v3, 0x8000, v3
	v_and_b32_e32 v19, 0xfc00, v19
	v_or3_b32 v42, v3, v19, v22
.LBB281_1810:                           ;   in Loop: Header=BB281_995 Depth=1
	s_or_b32 exec_lo, exec_lo, s20
.LBB281_1811:                           ;   in Loop: Header=BB281_995 Depth=1
	s_or_b32 exec_lo, exec_lo, s19
.LBB281_1812:                           ;   in Loop: Header=BB281_995 Depth=1
	s_or_b32 exec_lo, exec_lo, s18
	s_mov_b32 s18, exec_lo
	v_cmpx_lt_u32_e32 0xffffff, v11
	s_cbranch_execz .LBB281_1820
; %bb.1813:                             ;   in Loop: Header=BB281_995 Depth=1
	v_lshrrev_b32_e32 v3, 24, v11
	v_bfrev_b32_e32 v115, 1
	s_mov_b32 s19, exec_lo
	v_cmpx_ne_u32_e32 0x80, v3
	s_cbranch_execz .LBB281_1819
; %bb.1814:                             ;   in Loop: Header=BB281_995 Depth=1
	v_and_b32_e32 v43, 0x7f, v3
	v_mov_b32_e32 v115, 0x7c010000
	s_mov_b32 s20, exec_lo
	v_cmpx_ne_u32_e32 0x7f, v43
	s_cbranch_execz .LBB281_1818
; %bb.1815:                             ;   in Loop: Header=BB281_995 Depth=1
	v_and_b32_e32 v23, 7, v3
	v_lshrrev_b32_e32 v101, 3, v43
	s_mov_b32 s21, exec_lo
	v_cmpx_gt_u32_e32 8, v43
; %bb.1816:                             ;   in Loop: Header=BB281_995 Depth=1
	v_ffbh_u32_e32 v19, v23
	v_min_u32_e32 v19, 32, v19
	v_subrev_nc_u32_e32 v22, 28, v19
	v_sub_nc_u32_e32 v101, 29, v19
	v_lshlrev_b64 v[22:23], v22, v[3:4]
	v_and_b32_e32 v23, 7, v22
; %bb.1817:                             ;   in Loop: Header=BB281_995 Depth=1
	s_or_b32 exec_lo, exec_lo, s21
	v_lshlrev_b32_e32 v3, 8, v3
	v_lshl_add_u32 v19, v101, 10, 0x2000
	v_and_or_b32 v3, 0x8000, v3, v19
	v_lshlrev_b32_e32 v19, 23, v23
	v_lshl_or_b32 v115, v3, 16, v19
.LBB281_1818:                           ;   in Loop: Header=BB281_995 Depth=1
	s_or_b32 exec_lo, exec_lo, s20
.LBB281_1819:                           ;   in Loop: Header=BB281_995 Depth=1
	s_or_b32 exec_lo, exec_lo, s19
.LBB281_1820:                           ;   in Loop: Header=BB281_995 Depth=1
	s_or_b32 exec_lo, exec_lo, s18
	v_mov_b32_e32 v3, v12
	v_cmp_ne_u16_sdwa s4, v12, v4 src0_sel:BYTE_0 src1_sel:DWORD
	v_mov_b32_e32 v43, 0
	v_mov_b32_e32 v23, 0
	s_and_saveexec_b32 s18, s4
	s_cbranch_execz .LBB281_1828
; %bb.1821:                             ;   in Loop: Header=BB281_995 Depth=1
	v_cmp_ne_u16_sdwa s4, v12, v39 src0_sel:BYTE_0 src1_sel:DWORD
	v_mov_b32_e32 v23, 0x8000
	s_and_saveexec_b32 s19, s4
	s_cbranch_execz .LBB281_1827
; %bb.1822:                             ;   in Loop: Header=BB281_995 Depth=1
	v_and_b32_e32 v44, 0x7f, v12
	v_mov_b32_e32 v23, 0x7c01
	s_mov_b32 s20, exec_lo
	v_cmpx_ne_u32_e32 0x7f, v44
	s_cbranch_execz .LBB281_1826
; %bb.1823:                             ;   in Loop: Header=BB281_995 Depth=1
	v_and_b32_e32 v23, 7, v12
	v_lshrrev_b32_e32 v101, 3, v44
	s_mov_b32 s21, exec_lo
	v_cmpx_gt_u32_e32 8, v44
; %bb.1824:                             ;   in Loop: Header=BB281_995 Depth=1
	v_ffbh_u32_e32 v19, v23
	v_min_u32_e32 v19, 32, v19
	v_subrev_nc_u32_e32 v22, 28, v19
	v_sub_nc_u32_e32 v101, 29, v19
	v_lshlrev_b64 v[22:23], v22, v[3:4]
	v_and_b32_e32 v23, 7, v22
; %bb.1825:                             ;   in Loop: Header=BB281_995 Depth=1
	s_or_b32 exec_lo, exec_lo, s21
	v_lshlrev_b32_e32 v19, 8, v12
	v_lshl_add_u32 v22, v101, 10, 0x2000
	v_lshlrev_b32_e32 v23, 7, v23
	v_and_b32_e32 v19, 0x8000, v19
	v_and_b32_e32 v22, 0xfc00, v22
	v_or3_b32 v23, v19, v22, v23
.LBB281_1826:                           ;   in Loop: Header=BB281_995 Depth=1
	s_or_b32 exec_lo, exec_lo, s20
.LBB281_1827:                           ;   in Loop: Header=BB281_995 Depth=1
	s_or_b32 exec_lo, exec_lo, s19
.LBB281_1828:                           ;   in Loop: Header=BB281_995 Depth=1
	s_or_b32 exec_lo, exec_lo, s18
	v_lshrrev_b16 v3, 8, v3
	v_mov_b32_e32 v101, 0
	s_mov_b32 s18, exec_lo
	v_cmpx_ne_u16_e32 0, v3
	s_cbranch_execz .LBB281_1836
; %bb.1829:                             ;   in Loop: Header=BB281_995 Depth=1
	v_bfrev_b32_e32 v101, 1
	s_mov_b32 s19, exec_lo
	v_cmpx_ne_u16_e32 0x80, v3
	s_cbranch_execz .LBB281_1835
; %bb.1830:                             ;   in Loop: Header=BB281_995 Depth=1
	v_and_b32_sdwa v46, v3, v48 dst_sel:DWORD dst_unused:UNUSED_PAD src0_sel:WORD_0 src1_sel:DWORD
	v_mov_b32_e32 v101, 0x7c010000
	s_mov_b32 s20, exec_lo
	v_cmpx_ne_u32_e32 0x7f, v46
	s_cbranch_execz .LBB281_1834
; %bb.1831:                             ;   in Loop: Header=BB281_995 Depth=1
	v_and_b32_sdwa v101, v3, v65 dst_sel:DWORD dst_unused:UNUSED_PAD src0_sel:WORD_0 src1_sel:DWORD
	v_lshrrev_b32_e32 v44, 3, v46
	s_mov_b32 s21, exec_lo
	v_cmpx_gt_u32_e32 8, v46
; %bb.1832:                             ;   in Loop: Header=BB281_995 Depth=1
	v_ffbh_u32_e32 v19, v101
	v_min_u32_e32 v19, 32, v19
	v_subrev_nc_u32_e32 v22, 28, v19
	v_sub_nc_u32_e32 v44, 29, v19
	v_lshlrev_b64 v[46:47], v22, v[3:4]
	v_and_b32_e32 v101, 7, v46
; %bb.1833:                             ;   in Loop: Header=BB281_995 Depth=1
	s_or_b32 exec_lo, exec_lo, s21
	v_lshlrev_b32_sdwa v3, v66, v3 dst_sel:DWORD dst_unused:UNUSED_PAD src0_sel:DWORD src1_sel:WORD_0
	v_lshl_add_u32 v19, v44, 10, 0x2000
	v_and_or_b32 v3, 0x8000, v3, v19
	v_lshlrev_b32_e32 v19, 23, v101
	v_lshl_or_b32 v101, v3, 16, v19
.LBB281_1834:                           ;   in Loop: Header=BB281_995 Depth=1
	s_or_b32 exec_lo, exec_lo, s20
.LBB281_1835:                           ;   in Loop: Header=BB281_995 Depth=1
	s_or_b32 exec_lo, exec_lo, s19
.LBB281_1836:                           ;   in Loop: Header=BB281_995 Depth=1
	s_or_b32 exec_lo, exec_lo, s18
	v_lshrrev_b32_e32 v3, 16, v12
	v_cmp_ne_u16_sdwa s4, v3, v4 src0_sel:BYTE_0 src1_sel:DWORD
	s_and_saveexec_b32 s18, s4
	s_cbranch_execz .LBB281_1844
; %bb.1837:                             ;   in Loop: Header=BB281_995 Depth=1
	v_cmp_ne_u16_sdwa s4, v3, v39 src0_sel:BYTE_0 src1_sel:DWORD
	v_mov_b32_e32 v43, 0x8000
	s_and_saveexec_b32 s19, s4
	s_cbranch_execz .LBB281_1843
; %bb.1838:                             ;   in Loop: Header=BB281_995 Depth=1
	v_bfe_u32 v46, v12, 16, 7
	v_mov_b32_e32 v43, 0x7c01
	s_mov_b32 s20, exec_lo
	v_cmpx_ne_u32_e32 0x7f, v46
	s_cbranch_execz .LBB281_1842
; %bb.1839:                             ;   in Loop: Header=BB281_995 Depth=1
	v_and_b32_e32 v43, 7, v3
	v_lshrrev_b32_e32 v44, 3, v46
	s_mov_b32 s21, exec_lo
	v_cmpx_gt_u32_e32 8, v46
; %bb.1840:                             ;   in Loop: Header=BB281_995 Depth=1
	v_ffbh_u32_e32 v19, v43
	v_min_u32_e32 v19, 32, v19
	v_subrev_nc_u32_e32 v22, 28, v19
	v_lshlrev_b64 v[43:44], v22, v[3:4]
	v_sub_nc_u32_e32 v44, 29, v19
	v_and_b32_e32 v43, 7, v43
; %bb.1841:                             ;   in Loop: Header=BB281_995 Depth=1
	s_or_b32 exec_lo, exec_lo, s21
	v_lshlrev_b32_e32 v3, 8, v3
	v_lshl_add_u32 v19, v44, 10, 0x2000
	v_lshlrev_b32_e32 v22, 7, v43
	v_and_b32_e32 v3, 0x8000, v3
	v_and_b32_e32 v19, 0xfc00, v19
	v_or3_b32 v43, v3, v19, v22
.LBB281_1842:                           ;   in Loop: Header=BB281_995 Depth=1
	s_or_b32 exec_lo, exec_lo, s20
.LBB281_1843:                           ;   in Loop: Header=BB281_995 Depth=1
	s_or_b32 exec_lo, exec_lo, s19
.LBB281_1844:                           ;   in Loop: Header=BB281_995 Depth=1
	s_or_b32 exec_lo, exec_lo, s18
	v_cmp_lt_u64_e64 s4, s[6:7], v[11:12]
	v_mov_b32_e32 v11, 0
	s_and_saveexec_b32 s18, s4
	s_cbranch_execz .LBB281_1852
; %bb.1845:                             ;   in Loop: Header=BB281_995 Depth=1
	v_lshrrev_b32_e32 v3, 24, v12
	v_bfrev_b32_e32 v11, 1
	s_mov_b32 s19, exec_lo
	v_cmpx_ne_u32_e32 0x80, v3
	s_cbranch_execz .LBB281_1851
; %bb.1846:                             ;   in Loop: Header=BB281_995 Depth=1
	v_and_b32_e32 v44, 0x7f, v3
	v_mov_b32_e32 v11, 0x7c010000
	s_mov_b32 s20, exec_lo
	v_cmpx_ne_u32_e32 0x7f, v44
	s_cbranch_execz .LBB281_1850
; %bb.1847:                             ;   in Loop: Header=BB281_995 Depth=1
	v_and_b32_e32 v11, 7, v3
	v_lshrrev_b32_e32 v12, 3, v44
	s_mov_b32 s21, exec_lo
	v_cmpx_gt_u32_e32 8, v44
; %bb.1848:                             ;   in Loop: Header=BB281_995 Depth=1
	v_ffbh_u32_e32 v11, v11
	v_min_u32_e32 v19, 32, v11
	v_subrev_nc_u32_e32 v11, 28, v19
	v_lshlrev_b64 v[11:12], v11, v[3:4]
	v_sub_nc_u32_e32 v12, 29, v19
	v_and_b32_e32 v11, 7, v11
; %bb.1849:                             ;   in Loop: Header=BB281_995 Depth=1
	s_or_b32 exec_lo, exec_lo, s21
	v_lshlrev_b32_e32 v3, 8, v3
	v_lshl_add_u32 v12, v12, 10, 0x2000
	v_lshlrev_b32_e32 v11, 23, v11
	v_and_or_b32 v3, 0x8000, v3, v12
	v_lshl_or_b32 v11, v3, 16, v11
.LBB281_1850:                           ;   in Loop: Header=BB281_995 Depth=1
	s_or_b32 exec_lo, exec_lo, s20
.LBB281_1851:                           ;   in Loop: Header=BB281_995 Depth=1
	s_or_b32 exec_lo, exec_lo, s19
.LBB281_1852:                           ;   in Loop: Header=BB281_995 Depth=1
	s_or_b32 exec_lo, exec_lo, s18
	v_or_b32_e32 v3, v115, v42
	s_waitcnt vmcnt(0) lgkmcnt(0)
	v_fma_mixlo_f16 v12, v35, v115, 0 op_sel:[0,1,0] op_sel_hi:[0,1,0]
	v_or_b32_e32 v19, v36, v37
	v_fma_mixlo_f16 v22, v35, v36, 0 op_sel:[0,1,0] op_sel_hi:[0,1,0]
	v_or_b32_e32 v23, v101, v23
	v_fma_mixlo_f16 v37, v35, v3, 0 op_sel_hi:[0,1,0]
	v_or_b32_e32 v115, v11, v43
	v_lshlrev_b32_e32 v3, 16, v12
	v_lshlrev_b32_e32 v36, 16, v22
	v_fma_mixlo_f16 v19, v35, v19, 0 op_sel_hi:[0,1,0]
	v_and_b32_e32 v12, 0xffff, v37
	v_fma_mixlo_f16 v22, v35, v101, 0 op_sel:[0,1,0] op_sel_hi:[0,1,0]
	v_fma_mixlo_f16 v37, v35, v23, 0 op_sel_hi:[0,1,0]
	v_fma_mixlo_f16 v11, v35, v11, 0 op_sel:[0,1,0] op_sel_hi:[0,1,0]
	v_fma_mixlo_f16 v35, v35, v115, 0 op_sel_hi:[0,1,0]
	v_and_b32_e32 v44, 0xffff, v19
	v_lshlrev_b32_e32 v23, 16, v22
	v_and_b32_e32 v101, 0xffff, v37
	v_lshlrev_b32_e32 v11, 16, v11
	v_and_b32_e32 v35, 0xffff, v35
	v_or_b32_e32 v37, v3, v12
	v_or_b32_e32 v43, v36, v44
	;; [unrolled: 1-line block ×4, first 2 shown]
	s_and_saveexec_b32 s18, vcc_lo
	s_cbranch_execz .LBB281_1854
; %bb.1853:                             ;   in Loop: Header=BB281_995 Depth=1
	v_cmp_lt_i32_e64 s4, v70, v30
	v_cndmask_b32_e64 v19, 0, v44, s4
	v_cmp_lt_i32_e64 s4, v99, v30
	v_cndmask_b32_e64 v22, 0, v36, s4
	v_cmp_lt_i32_e64 s4, v98, v30
	v_or_b32_e32 v43, v19, v22
	v_cndmask_b32_e64 v12, 0, v12, s4
	v_cmp_lt_i32_e64 s4, v97, v30
	v_cndmask_b32_e64 v3, 0, v3, s4
	v_cmp_lt_i32_e64 s4, v96, v30
	v_or_b32_e32 v37, v12, v3
	;; [unrolled: 5-line block ×3, first 2 shown]
	v_cndmask_b32_e64 v35, 0, v35, s4
	v_cmp_lt_i32_e64 s4, v85, v30
	v_cndmask_b32_e64 v11, 0, v11, s4
	v_or_b32_e32 v115, v35, v11
.LBB281_1854:                           ;   in Loop: Header=BB281_995 Depth=1
	s_or_b32 exec_lo, exec_lo, s18
	;;#ASMSTART
	v_pk_mul_f16 v3, v84, v43;

	;;#ASMEND
	;;#ASMSTART
	v_pk_mul_f16 v11, v83, v37;

	;;#ASMEND
	;; [unrolled: 4-line block ×4, first 2 shown]
	;;#ASMSTART
	v_pk_add_f16 v3, v3, v11;

	;;#ASMEND
	;;#ASMSTART
	v_pk_add_f16 v3, v3, v12;

	;;#ASMEND
	;; [unrolled: 4-line block ×3, first 2 shown]
	v_and_b32_e32 v11, 0xffff, v3
	v_lshrrev_b32_e32 v3, 16, v3
	;;#ASMSTART
	v_cvt_f32_f16 v35, v11;
	;;#ASMEND
	;;#ASMSTART
	v_cvt_f32_f16 v36, v3;
	;;#ASMEND
	flat_load_dwordx2 v[11:12], v[9:10] offset:1280
	s_clause 0x1
	buffer_load_dword v22, off, s[0:3], s32 offset:192
	buffer_load_dword v23, off, s[0:3], s32 offset:196
	v_mov_b32_e32 v115, 0
	v_mov_b32_e32 v42, 0
	s_waitcnt vmcnt(2) lgkmcnt(0)
	v_cmp_ne_u16_sdwa s4, v11, v4 src0_sel:BYTE_0 src1_sel:DWORD
	s_waitcnt vmcnt(0)
	flat_load_dword v37, v[22:23]
	s_and_saveexec_b32 s18, s4
	s_cbranch_execz .LBB281_1862
; %bb.1855:                             ;   in Loop: Header=BB281_995 Depth=1
	v_cmp_ne_u16_sdwa s4, v11, v39 src0_sel:BYTE_0 src1_sel:DWORD
	v_mov_b32_e32 v42, 0x8000
	s_and_saveexec_b32 s19, s4
	s_cbranch_execz .LBB281_1861
; %bb.1856:                             ;   in Loop: Header=BB281_995 Depth=1
	v_and_b32_e32 v101, 0x7f, v11
	v_mov_b32_e32 v42, 0x7c01
	s_mov_b32 s20, exec_lo
	v_cmpx_ne_u32_e32 0x7f, v101
	s_cbranch_execz .LBB281_1860
; %bb.1857:                             ;   in Loop: Header=BB281_995 Depth=1
	v_and_b32_e32 v3, 7, v11
	v_lshrrev_b32_e32 v23, 3, v101
	s_mov_b32 s21, exec_lo
	v_cmpx_gt_u32_e32 8, v101
; %bb.1858:                             ;   in Loop: Header=BB281_995 Depth=1
	v_ffbh_u32_e32 v3, v3
	v_min_u32_e32 v3, 32, v3
	v_subrev_nc_u32_e32 v19, 28, v3
	v_lshlrev_b64 v[22:23], v19, v[11:12]
	v_sub_nc_u32_e32 v23, 29, v3
	v_and_b32_e32 v3, 7, v22
; %bb.1859:                             ;   in Loop: Header=BB281_995 Depth=1
	s_or_b32 exec_lo, exec_lo, s21
	v_lshlrev_b32_e32 v19, 8, v11
	v_lshl_add_u32 v22, v23, 10, 0x2000
	v_lshlrev_b32_e32 v3, 7, v3
	v_and_b32_e32 v19, 0x8000, v19
	v_and_b32_e32 v22, 0xfc00, v22
	v_or3_b32 v42, v19, v22, v3
.LBB281_1860:                           ;   in Loop: Header=BB281_995 Depth=1
	s_or_b32 exec_lo, exec_lo, s20
.LBB281_1861:                           ;   in Loop: Header=BB281_995 Depth=1
	s_or_b32 exec_lo, exec_lo, s19
.LBB281_1862:                           ;   in Loop: Header=BB281_995 Depth=1
	s_or_b32 exec_lo, exec_lo, s18
	v_lshrrev_b16 v3, 8, v11
	s_mov_b32 s18, exec_lo
	v_cmpx_ne_u16_e32 0, v3
	s_cbranch_execz .LBB281_1870
; %bb.1863:                             ;   in Loop: Header=BB281_995 Depth=1
	v_bfrev_b32_e32 v115, 1
	s_mov_b32 s19, exec_lo
	v_cmpx_ne_u16_e32 0x80, v3
	s_cbranch_execz .LBB281_1869
; %bb.1864:                             ;   in Loop: Header=BB281_995 Depth=1
	v_and_b32_sdwa v43, v3, v48 dst_sel:DWORD dst_unused:UNUSED_PAD src0_sel:WORD_0 src1_sel:DWORD
	v_mov_b32_e32 v115, 0x7c010000
	s_mov_b32 s20, exec_lo
	v_cmpx_ne_u32_e32 0x7f, v43
	s_cbranch_execz .LBB281_1868
; %bb.1865:                             ;   in Loop: Header=BB281_995 Depth=1
	v_and_b32_sdwa v23, v3, v65 dst_sel:DWORD dst_unused:UNUSED_PAD src0_sel:WORD_0 src1_sel:DWORD
	v_lshrrev_b32_e32 v101, 3, v43
	s_mov_b32 s21, exec_lo
	v_cmpx_gt_u32_e32 8, v43
; %bb.1866:                             ;   in Loop: Header=BB281_995 Depth=1
	v_ffbh_u32_e32 v19, v23
	v_min_u32_e32 v19, 32, v19
	v_subrev_nc_u32_e32 v22, 28, v19
	v_sub_nc_u32_e32 v101, 29, v19
	v_lshlrev_b64 v[22:23], v22, v[3:4]
	v_and_b32_e32 v23, 7, v22
; %bb.1867:                             ;   in Loop: Header=BB281_995 Depth=1
	s_or_b32 exec_lo, exec_lo, s21
	v_lshlrev_b32_sdwa v3, v66, v3 dst_sel:DWORD dst_unused:UNUSED_PAD src0_sel:DWORD src1_sel:WORD_0
	v_lshl_add_u32 v19, v101, 10, 0x2000
	v_and_or_b32 v3, 0x8000, v3, v19
	v_lshlrev_b32_e32 v19, 23, v23
	v_lshl_or_b32 v115, v3, 16, v19
.LBB281_1868:                           ;   in Loop: Header=BB281_995 Depth=1
	s_or_b32 exec_lo, exec_lo, s20
.LBB281_1869:                           ;   in Loop: Header=BB281_995 Depth=1
	s_or_b32 exec_lo, exec_lo, s19
.LBB281_1870:                           ;   in Loop: Header=BB281_995 Depth=1
	s_or_b32 exec_lo, exec_lo, s18
	v_lshrrev_b32_e32 v3, 16, v11
	v_mov_b32_e32 v43, 0
	v_mov_b32_e32 v44, 0
	v_cmp_ne_u16_sdwa s4, v3, v4 src0_sel:BYTE_0 src1_sel:DWORD
	s_and_saveexec_b32 s18, s4
	s_cbranch_execz .LBB281_1878
; %bb.1871:                             ;   in Loop: Header=BB281_995 Depth=1
	v_cmp_ne_u16_sdwa s4, v3, v39 src0_sel:BYTE_0 src1_sel:DWORD
	v_mov_b32_e32 v44, 0x8000
	s_and_saveexec_b32 s19, s4
	s_cbranch_execz .LBB281_1877
; %bb.1872:                             ;   in Loop: Header=BB281_995 Depth=1
	v_bfe_u32 v46, v11, 16, 7
	v_mov_b32_e32 v44, 0x7c01
	s_mov_b32 s20, exec_lo
	v_cmpx_ne_u32_e32 0x7f, v46
	s_cbranch_execz .LBB281_1876
; %bb.1873:                             ;   in Loop: Header=BB281_995 Depth=1
	v_and_b32_e32 v23, 7, v3
	v_lshrrev_b32_e32 v101, 3, v46
	s_mov_b32 s21, exec_lo
	v_cmpx_gt_u32_e32 8, v46
; %bb.1874:                             ;   in Loop: Header=BB281_995 Depth=1
	v_ffbh_u32_e32 v19, v23
	v_min_u32_e32 v19, 32, v19
	v_subrev_nc_u32_e32 v22, 28, v19
	v_sub_nc_u32_e32 v101, 29, v19
	v_lshlrev_b64 v[22:23], v22, v[3:4]
	v_and_b32_e32 v23, 7, v22
; %bb.1875:                             ;   in Loop: Header=BB281_995 Depth=1
	s_or_b32 exec_lo, exec_lo, s21
	v_lshlrev_b32_e32 v3, 8, v3
	v_lshl_add_u32 v19, v101, 10, 0x2000
	v_lshlrev_b32_e32 v22, 7, v23
	v_and_b32_e32 v3, 0x8000, v3
	v_and_b32_e32 v19, 0xfc00, v19
	v_or3_b32 v44, v3, v19, v22
.LBB281_1876:                           ;   in Loop: Header=BB281_995 Depth=1
	s_or_b32 exec_lo, exec_lo, s20
.LBB281_1877:                           ;   in Loop: Header=BB281_995 Depth=1
	s_or_b32 exec_lo, exec_lo, s19
.LBB281_1878:                           ;   in Loop: Header=BB281_995 Depth=1
	s_or_b32 exec_lo, exec_lo, s18
	s_mov_b32 s18, exec_lo
	v_cmpx_lt_u32_e32 0xffffff, v11
	s_cbranch_execz .LBB281_1886
; %bb.1879:                             ;   in Loop: Header=BB281_995 Depth=1
	v_lshrrev_b32_e32 v3, 24, v11
	v_bfrev_b32_e32 v43, 1
	s_mov_b32 s19, exec_lo
	v_cmpx_ne_u32_e32 0x80, v3
	s_cbranch_execz .LBB281_1885
; %bb.1880:                             ;   in Loop: Header=BB281_995 Depth=1
	v_and_b32_e32 v46, 0x7f, v3
	v_mov_b32_e32 v43, 0x7c010000
	s_mov_b32 s20, exec_lo
	v_cmpx_ne_u32_e32 0x7f, v46
	s_cbranch_execz .LBB281_1884
; %bb.1881:                             ;   in Loop: Header=BB281_995 Depth=1
	v_and_b32_e32 v23, 7, v3
	v_lshrrev_b32_e32 v101, 3, v46
	s_mov_b32 s21, exec_lo
	v_cmpx_gt_u32_e32 8, v46
; %bb.1882:                             ;   in Loop: Header=BB281_995 Depth=1
	v_ffbh_u32_e32 v19, v23
	v_min_u32_e32 v19, 32, v19
	v_subrev_nc_u32_e32 v22, 28, v19
	v_sub_nc_u32_e32 v101, 29, v19
	v_lshlrev_b64 v[22:23], v22, v[3:4]
	v_and_b32_e32 v23, 7, v22
; %bb.1883:                             ;   in Loop: Header=BB281_995 Depth=1
	s_or_b32 exec_lo, exec_lo, s21
	v_lshlrev_b32_e32 v3, 8, v3
	v_lshl_add_u32 v19, v101, 10, 0x2000
	v_and_or_b32 v3, 0x8000, v3, v19
	v_lshlrev_b32_e32 v19, 23, v23
	v_lshl_or_b32 v43, v3, 16, v19
.LBB281_1884:                           ;   in Loop: Header=BB281_995 Depth=1
	s_or_b32 exec_lo, exec_lo, s20
.LBB281_1885:                           ;   in Loop: Header=BB281_995 Depth=1
	s_or_b32 exec_lo, exec_lo, s19
.LBB281_1886:                           ;   in Loop: Header=BB281_995 Depth=1
	s_or_b32 exec_lo, exec_lo, s18
	v_mov_b32_e32 v3, v12
	v_cmp_ne_u16_sdwa s4, v12, v4 src0_sel:BYTE_0 src1_sel:DWORD
	v_mov_b32_e32 v46, 0
	v_mov_b32_e32 v23, 0
	s_and_saveexec_b32 s18, s4
	s_cbranch_execz .LBB281_1894
; %bb.1887:                             ;   in Loop: Header=BB281_995 Depth=1
	v_cmp_ne_u16_sdwa s4, v12, v39 src0_sel:BYTE_0 src1_sel:DWORD
	v_mov_b32_e32 v23, 0x8000
	s_and_saveexec_b32 s19, s4
	s_cbranch_execz .LBB281_1893
; %bb.1888:                             ;   in Loop: Header=BB281_995 Depth=1
	v_and_b32_e32 v47, 0x7f, v12
	v_mov_b32_e32 v23, 0x7c01
	s_mov_b32 s20, exec_lo
	v_cmpx_ne_u32_e32 0x7f, v47
	s_cbranch_execz .LBB281_1892
; %bb.1889:                             ;   in Loop: Header=BB281_995 Depth=1
	v_and_b32_e32 v23, 7, v12
	v_lshrrev_b32_e32 v101, 3, v47
	s_mov_b32 s21, exec_lo
	v_cmpx_gt_u32_e32 8, v47
; %bb.1890:                             ;   in Loop: Header=BB281_995 Depth=1
	v_ffbh_u32_e32 v19, v23
	v_min_u32_e32 v19, 32, v19
	v_subrev_nc_u32_e32 v22, 28, v19
	v_sub_nc_u32_e32 v101, 29, v19
	v_lshlrev_b64 v[22:23], v22, v[3:4]
	v_and_b32_e32 v23, 7, v22
; %bb.1891:                             ;   in Loop: Header=BB281_995 Depth=1
	s_or_b32 exec_lo, exec_lo, s21
	v_lshlrev_b32_e32 v19, 8, v12
	v_lshl_add_u32 v22, v101, 10, 0x2000
	v_lshlrev_b32_e32 v23, 7, v23
	v_and_b32_e32 v19, 0x8000, v19
	v_and_b32_e32 v22, 0xfc00, v22
	v_or3_b32 v23, v19, v22, v23
.LBB281_1892:                           ;   in Loop: Header=BB281_995 Depth=1
	s_or_b32 exec_lo, exec_lo, s20
.LBB281_1893:                           ;   in Loop: Header=BB281_995 Depth=1
	s_or_b32 exec_lo, exec_lo, s19
.LBB281_1894:                           ;   in Loop: Header=BB281_995 Depth=1
	s_or_b32 exec_lo, exec_lo, s18
	v_lshrrev_b16 v3, 8, v3
	v_mov_b32_e32 v101, 0
	s_mov_b32 s18, exec_lo
	v_cmpx_ne_u16_e32 0, v3
	s_cbranch_execz .LBB281_1902
; %bb.1895:                             ;   in Loop: Header=BB281_995 Depth=1
	v_bfrev_b32_e32 v101, 1
	s_mov_b32 s19, exec_lo
	v_cmpx_ne_u16_e32 0x80, v3
	s_cbranch_execz .LBB281_1901
; %bb.1896:                             ;   in Loop: Header=BB281_995 Depth=1
	v_and_b32_sdwa v56, v3, v48 dst_sel:DWORD dst_unused:UNUSED_PAD src0_sel:WORD_0 src1_sel:DWORD
	v_mov_b32_e32 v101, 0x7c010000
	s_mov_b32 s20, exec_lo
	v_cmpx_ne_u32_e32 0x7f, v56
	s_cbranch_execz .LBB281_1900
; %bb.1897:                             ;   in Loop: Header=BB281_995 Depth=1
	v_and_b32_sdwa v101, v3, v65 dst_sel:DWORD dst_unused:UNUSED_PAD src0_sel:WORD_0 src1_sel:DWORD
	v_lshrrev_b32_e32 v47, 3, v56
	s_mov_b32 s21, exec_lo
	v_cmpx_gt_u32_e32 8, v56
; %bb.1898:                             ;   in Loop: Header=BB281_995 Depth=1
	v_ffbh_u32_e32 v19, v101
	v_min_u32_e32 v19, 32, v19
	v_subrev_nc_u32_e32 v22, 28, v19
	v_sub_nc_u32_e32 v47, 29, v19
	v_lshlrev_b64 v[56:57], v22, v[3:4]
	v_and_b32_e32 v101, 7, v56
; %bb.1899:                             ;   in Loop: Header=BB281_995 Depth=1
	s_or_b32 exec_lo, exec_lo, s21
	v_lshlrev_b32_sdwa v3, v66, v3 dst_sel:DWORD dst_unused:UNUSED_PAD src0_sel:DWORD src1_sel:WORD_0
	v_lshl_add_u32 v19, v47, 10, 0x2000
	v_and_or_b32 v3, 0x8000, v3, v19
	v_lshlrev_b32_e32 v19, 23, v101
	v_lshl_or_b32 v101, v3, 16, v19
.LBB281_1900:                           ;   in Loop: Header=BB281_995 Depth=1
	s_or_b32 exec_lo, exec_lo, s20
.LBB281_1901:                           ;   in Loop: Header=BB281_995 Depth=1
	s_or_b32 exec_lo, exec_lo, s19
.LBB281_1902:                           ;   in Loop: Header=BB281_995 Depth=1
	s_or_b32 exec_lo, exec_lo, s18
	v_lshrrev_b32_e32 v3, 16, v12
	v_cmp_ne_u16_sdwa s4, v3, v4 src0_sel:BYTE_0 src1_sel:DWORD
	s_and_saveexec_b32 s18, s4
	s_cbranch_execz .LBB281_1910
; %bb.1903:                             ;   in Loop: Header=BB281_995 Depth=1
	v_cmp_ne_u16_sdwa s4, v3, v39 src0_sel:BYTE_0 src1_sel:DWORD
	v_mov_b32_e32 v46, 0x8000
	s_and_saveexec_b32 s19, s4
	s_cbranch_execz .LBB281_1909
; %bb.1904:                             ;   in Loop: Header=BB281_995 Depth=1
	v_bfe_u32 v56, v12, 16, 7
	v_mov_b32_e32 v46, 0x7c01
	s_mov_b32 s20, exec_lo
	v_cmpx_ne_u32_e32 0x7f, v56
	s_cbranch_execz .LBB281_1908
; %bb.1905:                             ;   in Loop: Header=BB281_995 Depth=1
	v_and_b32_e32 v46, 7, v3
	v_lshrrev_b32_e32 v47, 3, v56
	s_mov_b32 s21, exec_lo
	v_cmpx_gt_u32_e32 8, v56
; %bb.1906:                             ;   in Loop: Header=BB281_995 Depth=1
	v_ffbh_u32_e32 v19, v46
	v_min_u32_e32 v19, 32, v19
	v_subrev_nc_u32_e32 v22, 28, v19
	v_lshlrev_b64 v[46:47], v22, v[3:4]
	v_sub_nc_u32_e32 v47, 29, v19
	v_and_b32_e32 v46, 7, v46
; %bb.1907:                             ;   in Loop: Header=BB281_995 Depth=1
	s_or_b32 exec_lo, exec_lo, s21
	v_lshlrev_b32_e32 v3, 8, v3
	v_lshl_add_u32 v19, v47, 10, 0x2000
	v_lshlrev_b32_e32 v22, 7, v46
	v_and_b32_e32 v3, 0x8000, v3
	v_and_b32_e32 v19, 0xfc00, v19
	v_or3_b32 v46, v3, v19, v22
.LBB281_1908:                           ;   in Loop: Header=BB281_995 Depth=1
	s_or_b32 exec_lo, exec_lo, s20
.LBB281_1909:                           ;   in Loop: Header=BB281_995 Depth=1
	s_or_b32 exec_lo, exec_lo, s19
.LBB281_1910:                           ;   in Loop: Header=BB281_995 Depth=1
	s_or_b32 exec_lo, exec_lo, s18
	v_cmp_lt_u64_e64 s4, s[6:7], v[11:12]
	v_mov_b32_e32 v11, 0
	s_and_saveexec_b32 s18, s4
	s_cbranch_execz .LBB281_1918
; %bb.1911:                             ;   in Loop: Header=BB281_995 Depth=1
	v_lshrrev_b32_e32 v3, 24, v12
	v_bfrev_b32_e32 v11, 1
	s_mov_b32 s19, exec_lo
	v_cmpx_ne_u32_e32 0x80, v3
	s_cbranch_execz .LBB281_1917
; %bb.1912:                             ;   in Loop: Header=BB281_995 Depth=1
	v_and_b32_e32 v47, 0x7f, v3
	v_mov_b32_e32 v11, 0x7c010000
	s_mov_b32 s20, exec_lo
	v_cmpx_ne_u32_e32 0x7f, v47
	s_cbranch_execz .LBB281_1916
; %bb.1913:                             ;   in Loop: Header=BB281_995 Depth=1
	v_and_b32_e32 v11, 7, v3
	v_lshrrev_b32_e32 v12, 3, v47
	s_mov_b32 s21, exec_lo
	v_cmpx_gt_u32_e32 8, v47
; %bb.1914:                             ;   in Loop: Header=BB281_995 Depth=1
	v_ffbh_u32_e32 v11, v11
	v_min_u32_e32 v19, 32, v11
	v_subrev_nc_u32_e32 v11, 28, v19
	v_lshlrev_b64 v[11:12], v11, v[3:4]
	v_sub_nc_u32_e32 v12, 29, v19
	v_and_b32_e32 v11, 7, v11
; %bb.1915:                             ;   in Loop: Header=BB281_995 Depth=1
	s_or_b32 exec_lo, exec_lo, s21
	v_lshlrev_b32_e32 v3, 8, v3
	v_lshl_add_u32 v12, v12, 10, 0x2000
	v_lshlrev_b32_e32 v11, 23, v11
	v_and_or_b32 v3, 0x8000, v3, v12
	v_lshl_or_b32 v11, v3, 16, v11
.LBB281_1916:                           ;   in Loop: Header=BB281_995 Depth=1
	s_or_b32 exec_lo, exec_lo, s20
.LBB281_1917:                           ;   in Loop: Header=BB281_995 Depth=1
	s_or_b32 exec_lo, exec_lo, s19
.LBB281_1918:                           ;   in Loop: Header=BB281_995 Depth=1
	s_or_b32 exec_lo, exec_lo, s18
	v_or_b32_e32 v3, v43, v44
	s_waitcnt vmcnt(0) lgkmcnt(0)
	v_fma_mixlo_f16 v12, v37, v43, 0 op_sel:[0,1,0] op_sel_hi:[0,1,0]
	v_or_b32_e32 v19, v115, v42
	v_fma_mixlo_f16 v22, v37, v115, 0 op_sel:[0,1,0] op_sel_hi:[0,1,0]
	v_or_b32_e32 v23, v101, v23
	v_or_b32_e32 v43, v11, v46
	v_fma_mixlo_f16 v42, v37, v3, 0 op_sel_hi:[0,1,0]
	v_fma_mixlo_f16 v19, v37, v19, 0 op_sel_hi:[0,1,0]
	v_lshlrev_b32_e32 v115, 16, v22
	v_fma_mixlo_f16 v22, v37, v101, 0 op_sel:[0,1,0] op_sel_hi:[0,1,0]
	v_fma_mixlo_f16 v101, v37, v23, 0 op_sel_hi:[0,1,0]
	v_fma_mixlo_f16 v11, v37, v11, 0 op_sel:[0,1,0] op_sel_hi:[0,1,0]
	v_fma_mixlo_f16 v37, v37, v43, 0 op_sel_hi:[0,1,0]
	v_lshlrev_b32_e32 v3, 16, v12
	v_and_b32_e32 v12, 0xffff, v42
	v_and_b32_e32 v47, 0xffff, v19
	v_lshlrev_b32_e32 v23, 16, v22
	v_and_b32_e32 v42, 0xffff, v101
	v_lshlrev_b32_e32 v11, 16, v11
	v_and_b32_e32 v37, 0xffff, v37
	v_or_b32_e32 v101, v3, v12
	v_or_b32_e32 v46, v115, v47
	;; [unrolled: 1-line block ×4, first 2 shown]
	s_and_saveexec_b32 s18, vcc_lo
	s_cbranch_execz .LBB281_1920
; %bb.1919:                             ;   in Loop: Header=BB281_995 Depth=1
	v_cmp_lt_i32_e64 s4, v70, v30
	v_cndmask_b32_e64 v19, 0, v47, s4
	v_cmp_lt_i32_e64 s4, v99, v30
	v_cndmask_b32_e64 v22, 0, v115, s4
	v_cmp_lt_i32_e64 s4, v98, v30
	v_or_b32_e32 v46, v19, v22
	v_cndmask_b32_e64 v12, 0, v12, s4
	v_cmp_lt_i32_e64 s4, v97, v30
	v_cndmask_b32_e64 v3, 0, v3, s4
	v_cmp_lt_i32_e64 s4, v96, v30
	v_or_b32_e32 v101, v12, v3
	;; [unrolled: 5-line block ×3, first 2 shown]
	v_cndmask_b32_e64 v37, 0, v37, s4
	v_cmp_lt_i32_e64 s4, v85, v30
	v_cndmask_b32_e64 v11, 0, v11, s4
	v_or_b32_e32 v43, v37, v11
.LBB281_1920:                           ;   in Loop: Header=BB281_995 Depth=1
	s_or_b32 exec_lo, exec_lo, s18
	;;#ASMSTART
	v_pk_mul_f16 v3, v84, v46;

	;;#ASMEND
	;;#ASMSTART
	v_pk_mul_f16 v11, v83, v101;

	;;#ASMEND
	;; [unrolled: 4-line block ×4, first 2 shown]
	;;#ASMSTART
	v_pk_add_f16 v3, v3, v11;

	;;#ASMEND
	;;#ASMSTART
	v_pk_add_f16 v3, v3, v12;

	;;#ASMEND
	;; [unrolled: 4-line block ×3, first 2 shown]
	v_and_b32_e32 v11, 0xffff, v3
	v_lshrrev_b32_e32 v3, 16, v3
	;;#ASMSTART
	v_cvt_f32_f16 v11, v11;
	;;#ASMEND
	;;#ASMSTART
	v_cvt_f32_f16 v12, v3;
	;;#ASMEND
	flat_load_dwordx2 v[9:10], v[9:10] offset:1536
	s_clause 0x1
	buffer_load_dword v22, off, s[0:3], s32 offset:192
	buffer_load_dword v23, off, s[0:3], s32 offset:196
	v_mov_b32_e32 v115, 0
	v_mov_b32_e32 v42, 0
	s_waitcnt vmcnt(2) lgkmcnt(0)
	v_cmp_ne_u16_sdwa s4, v9, v4 src0_sel:BYTE_0 src1_sel:DWORD
	s_waitcnt vmcnt(0)
	flat_load_dword v37, v[22:23]
	s_and_saveexec_b32 s18, s4
	s_cbranch_execz .LBB281_1928
; %bb.1921:                             ;   in Loop: Header=BB281_995 Depth=1
	v_cmp_ne_u16_sdwa s4, v9, v39 src0_sel:BYTE_0 src1_sel:DWORD
	v_mov_b32_e32 v42, 0x8000
	s_and_saveexec_b32 s19, s4
	s_cbranch_execz .LBB281_1927
; %bb.1922:                             ;   in Loop: Header=BB281_995 Depth=1
	v_and_b32_e32 v101, 0x7f, v9
	v_mov_b32_e32 v42, 0x7c01
	s_mov_b32 s20, exec_lo
	v_cmpx_ne_u32_e32 0x7f, v101
	s_cbranch_execz .LBB281_1926
; %bb.1923:                             ;   in Loop: Header=BB281_995 Depth=1
	v_and_b32_e32 v3, 7, v9
	v_lshrrev_b32_e32 v23, 3, v101
	s_mov_b32 s21, exec_lo
	v_cmpx_gt_u32_e32 8, v101
; %bb.1924:                             ;   in Loop: Header=BB281_995 Depth=1
	v_ffbh_u32_e32 v3, v3
	v_min_u32_e32 v3, 32, v3
	v_subrev_nc_u32_e32 v19, 28, v3
	v_lshlrev_b64 v[22:23], v19, v[9:10]
	v_sub_nc_u32_e32 v23, 29, v3
	v_and_b32_e32 v3, 7, v22
; %bb.1925:                             ;   in Loop: Header=BB281_995 Depth=1
	s_or_b32 exec_lo, exec_lo, s21
	v_lshlrev_b32_e32 v19, 8, v9
	v_lshl_add_u32 v22, v23, 10, 0x2000
	v_lshlrev_b32_e32 v3, 7, v3
	v_and_b32_e32 v19, 0x8000, v19
	v_and_b32_e32 v22, 0xfc00, v22
	v_or3_b32 v42, v19, v22, v3
.LBB281_1926:                           ;   in Loop: Header=BB281_995 Depth=1
	s_or_b32 exec_lo, exec_lo, s20
.LBB281_1927:                           ;   in Loop: Header=BB281_995 Depth=1
	s_or_b32 exec_lo, exec_lo, s19
.LBB281_1928:                           ;   in Loop: Header=BB281_995 Depth=1
	s_or_b32 exec_lo, exec_lo, s18
	v_lshrrev_b16 v3, 8, v9
	s_mov_b32 s18, exec_lo
	v_cmpx_ne_u16_e32 0, v3
	s_cbranch_execz .LBB281_1936
; %bb.1929:                             ;   in Loop: Header=BB281_995 Depth=1
	v_bfrev_b32_e32 v115, 1
	s_mov_b32 s19, exec_lo
	v_cmpx_ne_u16_e32 0x80, v3
	s_cbranch_execz .LBB281_1935
; %bb.1930:                             ;   in Loop: Header=BB281_995 Depth=1
	v_and_b32_sdwa v43, v3, v48 dst_sel:DWORD dst_unused:UNUSED_PAD src0_sel:WORD_0 src1_sel:DWORD
	v_mov_b32_e32 v115, 0x7c010000
	s_mov_b32 s20, exec_lo
	v_cmpx_ne_u32_e32 0x7f, v43
	s_cbranch_execz .LBB281_1934
; %bb.1931:                             ;   in Loop: Header=BB281_995 Depth=1
	v_and_b32_sdwa v23, v3, v65 dst_sel:DWORD dst_unused:UNUSED_PAD src0_sel:WORD_0 src1_sel:DWORD
	v_lshrrev_b32_e32 v101, 3, v43
	s_mov_b32 s21, exec_lo
	v_cmpx_gt_u32_e32 8, v43
; %bb.1932:                             ;   in Loop: Header=BB281_995 Depth=1
	v_ffbh_u32_e32 v19, v23
	v_min_u32_e32 v19, 32, v19
	v_subrev_nc_u32_e32 v22, 28, v19
	v_sub_nc_u32_e32 v101, 29, v19
	v_lshlrev_b64 v[22:23], v22, v[3:4]
	v_and_b32_e32 v23, 7, v22
; %bb.1933:                             ;   in Loop: Header=BB281_995 Depth=1
	s_or_b32 exec_lo, exec_lo, s21
	v_lshlrev_b32_sdwa v3, v66, v3 dst_sel:DWORD dst_unused:UNUSED_PAD src0_sel:DWORD src1_sel:WORD_0
	v_lshl_add_u32 v19, v101, 10, 0x2000
	v_and_or_b32 v3, 0x8000, v3, v19
	v_lshlrev_b32_e32 v19, 23, v23
	v_lshl_or_b32 v115, v3, 16, v19
.LBB281_1934:                           ;   in Loop: Header=BB281_995 Depth=1
	s_or_b32 exec_lo, exec_lo, s20
.LBB281_1935:                           ;   in Loop: Header=BB281_995 Depth=1
	s_or_b32 exec_lo, exec_lo, s19
.LBB281_1936:                           ;   in Loop: Header=BB281_995 Depth=1
	s_or_b32 exec_lo, exec_lo, s18
	v_lshrrev_b32_e32 v3, 16, v9
	v_mov_b32_e32 v43, 0
	v_mov_b32_e32 v44, 0
	v_cmp_ne_u16_sdwa s4, v3, v4 src0_sel:BYTE_0 src1_sel:DWORD
	s_and_saveexec_b32 s18, s4
	s_cbranch_execz .LBB281_1944
; %bb.1937:                             ;   in Loop: Header=BB281_995 Depth=1
	v_cmp_ne_u16_sdwa s4, v3, v39 src0_sel:BYTE_0 src1_sel:DWORD
	v_mov_b32_e32 v44, 0x8000
	s_and_saveexec_b32 s19, s4
	s_cbranch_execz .LBB281_1943
; %bb.1938:                             ;   in Loop: Header=BB281_995 Depth=1
	v_bfe_u32 v46, v9, 16, 7
	v_mov_b32_e32 v44, 0x7c01
	s_mov_b32 s20, exec_lo
	v_cmpx_ne_u32_e32 0x7f, v46
	s_cbranch_execz .LBB281_1942
; %bb.1939:                             ;   in Loop: Header=BB281_995 Depth=1
	v_and_b32_e32 v23, 7, v3
	v_lshrrev_b32_e32 v101, 3, v46
	s_mov_b32 s21, exec_lo
	v_cmpx_gt_u32_e32 8, v46
; %bb.1940:                             ;   in Loop: Header=BB281_995 Depth=1
	v_ffbh_u32_e32 v19, v23
	v_min_u32_e32 v19, 32, v19
	v_subrev_nc_u32_e32 v22, 28, v19
	v_sub_nc_u32_e32 v101, 29, v19
	v_lshlrev_b64 v[22:23], v22, v[3:4]
	v_and_b32_e32 v23, 7, v22
; %bb.1941:                             ;   in Loop: Header=BB281_995 Depth=1
	s_or_b32 exec_lo, exec_lo, s21
	v_lshlrev_b32_e32 v3, 8, v3
	v_lshl_add_u32 v19, v101, 10, 0x2000
	v_lshlrev_b32_e32 v22, 7, v23
	v_and_b32_e32 v3, 0x8000, v3
	v_and_b32_e32 v19, 0xfc00, v19
	v_or3_b32 v44, v3, v19, v22
.LBB281_1942:                           ;   in Loop: Header=BB281_995 Depth=1
	s_or_b32 exec_lo, exec_lo, s20
.LBB281_1943:                           ;   in Loop: Header=BB281_995 Depth=1
	s_or_b32 exec_lo, exec_lo, s19
.LBB281_1944:                           ;   in Loop: Header=BB281_995 Depth=1
	s_or_b32 exec_lo, exec_lo, s18
	s_mov_b32 s18, exec_lo
	v_cmpx_lt_u32_e32 0xffffff, v9
	s_cbranch_execz .LBB281_1952
; %bb.1945:                             ;   in Loop: Header=BB281_995 Depth=1
	v_lshrrev_b32_e32 v3, 24, v9
	v_bfrev_b32_e32 v43, 1
	s_mov_b32 s19, exec_lo
	v_cmpx_ne_u32_e32 0x80, v3
	s_cbranch_execz .LBB281_1951
; %bb.1946:                             ;   in Loop: Header=BB281_995 Depth=1
	v_and_b32_e32 v46, 0x7f, v3
	v_mov_b32_e32 v43, 0x7c010000
	s_mov_b32 s20, exec_lo
	v_cmpx_ne_u32_e32 0x7f, v46
	s_cbranch_execz .LBB281_1950
; %bb.1947:                             ;   in Loop: Header=BB281_995 Depth=1
	v_and_b32_e32 v23, 7, v3
	v_lshrrev_b32_e32 v101, 3, v46
	s_mov_b32 s21, exec_lo
	v_cmpx_gt_u32_e32 8, v46
; %bb.1948:                             ;   in Loop: Header=BB281_995 Depth=1
	v_ffbh_u32_e32 v19, v23
	v_min_u32_e32 v19, 32, v19
	v_subrev_nc_u32_e32 v22, 28, v19
	v_sub_nc_u32_e32 v101, 29, v19
	v_lshlrev_b64 v[22:23], v22, v[3:4]
	v_and_b32_e32 v23, 7, v22
; %bb.1949:                             ;   in Loop: Header=BB281_995 Depth=1
	s_or_b32 exec_lo, exec_lo, s21
	v_lshlrev_b32_e32 v3, 8, v3
	v_lshl_add_u32 v19, v101, 10, 0x2000
	v_and_or_b32 v3, 0x8000, v3, v19
	v_lshlrev_b32_e32 v19, 23, v23
	v_lshl_or_b32 v43, v3, 16, v19
.LBB281_1950:                           ;   in Loop: Header=BB281_995 Depth=1
	s_or_b32 exec_lo, exec_lo, s20
.LBB281_1951:                           ;   in Loop: Header=BB281_995 Depth=1
	s_or_b32 exec_lo, exec_lo, s19
.LBB281_1952:                           ;   in Loop: Header=BB281_995 Depth=1
	s_or_b32 exec_lo, exec_lo, s18
	v_mov_b32_e32 v3, v10
	v_cmp_ne_u16_sdwa s4, v10, v4 src0_sel:BYTE_0 src1_sel:DWORD
	v_mov_b32_e32 v46, 0
	v_mov_b32_e32 v23, 0
	s_and_saveexec_b32 s18, s4
	s_cbranch_execz .LBB281_1960
; %bb.1953:                             ;   in Loop: Header=BB281_995 Depth=1
	v_cmp_ne_u16_sdwa s4, v10, v39 src0_sel:BYTE_0 src1_sel:DWORD
	v_mov_b32_e32 v23, 0x8000
	s_and_saveexec_b32 s19, s4
	s_cbranch_execz .LBB281_1959
; %bb.1954:                             ;   in Loop: Header=BB281_995 Depth=1
	v_and_b32_e32 v47, 0x7f, v10
	v_mov_b32_e32 v23, 0x7c01
	s_mov_b32 s20, exec_lo
	v_cmpx_ne_u32_e32 0x7f, v47
	s_cbranch_execz .LBB281_1958
; %bb.1955:                             ;   in Loop: Header=BB281_995 Depth=1
	v_and_b32_e32 v23, 7, v10
	v_lshrrev_b32_e32 v101, 3, v47
	s_mov_b32 s21, exec_lo
	v_cmpx_gt_u32_e32 8, v47
; %bb.1956:                             ;   in Loop: Header=BB281_995 Depth=1
	v_ffbh_u32_e32 v19, v23
	v_min_u32_e32 v19, 32, v19
	v_subrev_nc_u32_e32 v22, 28, v19
	v_sub_nc_u32_e32 v101, 29, v19
	v_lshlrev_b64 v[22:23], v22, v[3:4]
	v_and_b32_e32 v23, 7, v22
; %bb.1957:                             ;   in Loop: Header=BB281_995 Depth=1
	s_or_b32 exec_lo, exec_lo, s21
	v_lshlrev_b32_e32 v19, 8, v10
	v_lshl_add_u32 v22, v101, 10, 0x2000
	v_lshlrev_b32_e32 v23, 7, v23
	v_and_b32_e32 v19, 0x8000, v19
	v_and_b32_e32 v22, 0xfc00, v22
	v_or3_b32 v23, v19, v22, v23
.LBB281_1958:                           ;   in Loop: Header=BB281_995 Depth=1
	s_or_b32 exec_lo, exec_lo, s20
.LBB281_1959:                           ;   in Loop: Header=BB281_995 Depth=1
	s_or_b32 exec_lo, exec_lo, s19
.LBB281_1960:                           ;   in Loop: Header=BB281_995 Depth=1
	s_or_b32 exec_lo, exec_lo, s18
	v_lshrrev_b16 v3, 8, v3
	v_mov_b32_e32 v101, 0
	s_mov_b32 s18, exec_lo
	v_cmpx_ne_u16_e32 0, v3
	s_cbranch_execz .LBB281_1968
; %bb.1961:                             ;   in Loop: Header=BB281_995 Depth=1
	v_bfrev_b32_e32 v101, 1
	s_mov_b32 s19, exec_lo
	v_cmpx_ne_u16_e32 0x80, v3
	s_cbranch_execz .LBB281_1967
; %bb.1962:                             ;   in Loop: Header=BB281_995 Depth=1
	v_and_b32_sdwa v56, v3, v48 dst_sel:DWORD dst_unused:UNUSED_PAD src0_sel:WORD_0 src1_sel:DWORD
	v_mov_b32_e32 v101, 0x7c010000
	s_mov_b32 s20, exec_lo
	v_cmpx_ne_u32_e32 0x7f, v56
	s_cbranch_execz .LBB281_1966
; %bb.1963:                             ;   in Loop: Header=BB281_995 Depth=1
	v_and_b32_sdwa v101, v3, v65 dst_sel:DWORD dst_unused:UNUSED_PAD src0_sel:WORD_0 src1_sel:DWORD
	v_lshrrev_b32_e32 v47, 3, v56
	s_mov_b32 s21, exec_lo
	v_cmpx_gt_u32_e32 8, v56
; %bb.1964:                             ;   in Loop: Header=BB281_995 Depth=1
	v_ffbh_u32_e32 v19, v101
	v_min_u32_e32 v19, 32, v19
	v_subrev_nc_u32_e32 v22, 28, v19
	v_sub_nc_u32_e32 v47, 29, v19
	v_lshlrev_b64 v[56:57], v22, v[3:4]
	v_and_b32_e32 v101, 7, v56
; %bb.1965:                             ;   in Loop: Header=BB281_995 Depth=1
	s_or_b32 exec_lo, exec_lo, s21
	v_lshlrev_b32_sdwa v3, v66, v3 dst_sel:DWORD dst_unused:UNUSED_PAD src0_sel:DWORD src1_sel:WORD_0
	v_lshl_add_u32 v19, v47, 10, 0x2000
	v_and_or_b32 v3, 0x8000, v3, v19
	v_lshlrev_b32_e32 v19, 23, v101
	v_lshl_or_b32 v101, v3, 16, v19
.LBB281_1966:                           ;   in Loop: Header=BB281_995 Depth=1
	s_or_b32 exec_lo, exec_lo, s20
.LBB281_1967:                           ;   in Loop: Header=BB281_995 Depth=1
	s_or_b32 exec_lo, exec_lo, s19
.LBB281_1968:                           ;   in Loop: Header=BB281_995 Depth=1
	s_or_b32 exec_lo, exec_lo, s18
	v_lshrrev_b32_e32 v3, 16, v10
	v_cmp_ne_u16_sdwa s4, v3, v4 src0_sel:BYTE_0 src1_sel:DWORD
	s_and_saveexec_b32 s18, s4
	s_cbranch_execz .LBB281_1976
; %bb.1969:                             ;   in Loop: Header=BB281_995 Depth=1
	v_cmp_ne_u16_sdwa s4, v3, v39 src0_sel:BYTE_0 src1_sel:DWORD
	v_mov_b32_e32 v46, 0x8000
	s_and_saveexec_b32 s19, s4
	s_cbranch_execz .LBB281_1975
; %bb.1970:                             ;   in Loop: Header=BB281_995 Depth=1
	v_bfe_u32 v56, v10, 16, 7
	v_mov_b32_e32 v46, 0x7c01
	s_mov_b32 s20, exec_lo
	v_cmpx_ne_u32_e32 0x7f, v56
	s_cbranch_execz .LBB281_1974
; %bb.1971:                             ;   in Loop: Header=BB281_995 Depth=1
	v_and_b32_e32 v46, 7, v3
	v_lshrrev_b32_e32 v47, 3, v56
	s_mov_b32 s21, exec_lo
	v_cmpx_gt_u32_e32 8, v56
; %bb.1972:                             ;   in Loop: Header=BB281_995 Depth=1
	v_ffbh_u32_e32 v19, v46
	v_min_u32_e32 v19, 32, v19
	v_subrev_nc_u32_e32 v22, 28, v19
	v_lshlrev_b64 v[46:47], v22, v[3:4]
	v_sub_nc_u32_e32 v47, 29, v19
	v_and_b32_e32 v46, 7, v46
; %bb.1973:                             ;   in Loop: Header=BB281_995 Depth=1
	s_or_b32 exec_lo, exec_lo, s21
	v_lshlrev_b32_e32 v3, 8, v3
	v_lshl_add_u32 v19, v47, 10, 0x2000
	v_lshlrev_b32_e32 v22, 7, v46
	v_and_b32_e32 v3, 0x8000, v3
	v_and_b32_e32 v19, 0xfc00, v19
	v_or3_b32 v46, v3, v19, v22
.LBB281_1974:                           ;   in Loop: Header=BB281_995 Depth=1
	s_or_b32 exec_lo, exec_lo, s20
.LBB281_1975:                           ;   in Loop: Header=BB281_995 Depth=1
	s_or_b32 exec_lo, exec_lo, s19
.LBB281_1976:                           ;   in Loop: Header=BB281_995 Depth=1
	s_or_b32 exec_lo, exec_lo, s18
	v_cmp_lt_u64_e64 s4, s[6:7], v[9:10]
	v_mov_b32_e32 v9, 0
	s_and_saveexec_b32 s18, s4
	s_cbranch_execz .LBB281_1984
; %bb.1977:                             ;   in Loop: Header=BB281_995 Depth=1
	v_lshrrev_b32_e32 v3, 24, v10
	v_bfrev_b32_e32 v9, 1
	s_mov_b32 s19, exec_lo
	v_cmpx_ne_u32_e32 0x80, v3
	s_cbranch_execz .LBB281_1983
; %bb.1978:                             ;   in Loop: Header=BB281_995 Depth=1
	v_and_b32_e32 v47, 0x7f, v3
	v_mov_b32_e32 v9, 0x7c010000
	s_mov_b32 s20, exec_lo
	v_cmpx_ne_u32_e32 0x7f, v47
	s_cbranch_execz .LBB281_1982
; %bb.1979:                             ;   in Loop: Header=BB281_995 Depth=1
	v_and_b32_e32 v9, 7, v3
	v_lshrrev_b32_e32 v10, 3, v47
	s_mov_b32 s21, exec_lo
	v_cmpx_gt_u32_e32 8, v47
; %bb.1980:                             ;   in Loop: Header=BB281_995 Depth=1
	v_ffbh_u32_e32 v9, v9
	v_min_u32_e32 v19, 32, v9
	v_subrev_nc_u32_e32 v9, 28, v19
	v_lshlrev_b64 v[9:10], v9, v[3:4]
	v_sub_nc_u32_e32 v10, 29, v19
	v_and_b32_e32 v9, 7, v9
; %bb.1981:                             ;   in Loop: Header=BB281_995 Depth=1
	s_or_b32 exec_lo, exec_lo, s21
	v_lshlrev_b32_e32 v3, 8, v3
	v_lshl_add_u32 v10, v10, 10, 0x2000
	v_lshlrev_b32_e32 v9, 23, v9
	v_and_or_b32 v3, 0x8000, v3, v10
	v_lshl_or_b32 v9, v3, 16, v9
.LBB281_1982:                           ;   in Loop: Header=BB281_995 Depth=1
	s_or_b32 exec_lo, exec_lo, s20
.LBB281_1983:                           ;   in Loop: Header=BB281_995 Depth=1
	s_or_b32 exec_lo, exec_lo, s19
.LBB281_1984:                           ;   in Loop: Header=BB281_995 Depth=1
	s_or_b32 exec_lo, exec_lo, s18
	v_or_b32_e32 v3, v43, v44
	s_waitcnt vmcnt(0) lgkmcnt(0)
	v_fma_mixlo_f16 v10, v37, v43, 0 op_sel:[0,1,0] op_sel_hi:[0,1,0]
	v_or_b32_e32 v19, v115, v42
	v_fma_mixlo_f16 v22, v37, v115, 0 op_sel:[0,1,0] op_sel_hi:[0,1,0]
	v_or_b32_e32 v23, v101, v23
	v_fma_mixlo_f16 v3, v37, v3, 0 op_sel_hi:[0,1,0]
	v_or_b32_e32 v43, v9, v46
	v_lshlrev_b32_e32 v115, 16, v10
	v_lshlrev_b32_e32 v44, 16, v22
	v_fma_mixlo_f16 v10, v37, v19, 0 op_sel_hi:[0,1,0]
	v_and_b32_e32 v42, 0xffff, v3
	v_fma_mixlo_f16 v3, v37, v101, 0 op_sel:[0,1,0] op_sel_hi:[0,1,0]
	v_fma_mixlo_f16 v19, v37, v23, 0 op_sel_hi:[0,1,0]
	v_fma_mixlo_f16 v9, v37, v9, 0 op_sel:[0,1,0] op_sel_hi:[0,1,0]
	v_fma_mixlo_f16 v22, v37, v43, 0 op_sel_hi:[0,1,0]
	v_and_b32_e32 v47, 0xffff, v10
	v_lshlrev_b32_e32 v101, 16, v3
	v_and_b32_e32 v46, 0xffff, v19
	v_lshlrev_b32_e32 v37, 16, v9
	v_and_b32_e32 v43, 0xffff, v22
	v_or_b32_e32 v10, v115, v42
	v_or_b32_e32 v23, v44, v47
	;; [unrolled: 1-line block ×4, first 2 shown]
	s_and_saveexec_b32 s4, vcc_lo
	s_cbranch_execz .LBB281_993
; %bb.1985:                             ;   in Loop: Header=BB281_995 Depth=1
	v_cmp_lt_i32_e32 vcc_lo, v70, v30
	v_cndmask_b32_e32 v3, 0, v47, vcc_lo
	v_cmp_lt_i32_e32 vcc_lo, v99, v30
	v_cndmask_b32_e32 v9, 0, v44, vcc_lo
	v_cmp_lt_i32_e32 vcc_lo, v98, v30
	v_or_b32_e32 v23, v3, v9
	v_cndmask_b32_e32 v10, 0, v42, vcc_lo
	v_cmp_lt_i32_e32 vcc_lo, v97, v30
	v_cndmask_b32_e32 v19, 0, v115, vcc_lo
	v_cmp_lt_i32_e32 vcc_lo, v96, v30
	v_or_b32_e32 v10, v10, v19
	;; [unrolled: 5-line block ×3, first 2 shown]
	v_cndmask_b32_e32 v86, 0, v43, vcc_lo
	v_cmp_lt_i32_e32 vcc_lo, v85, v30
	v_cndmask_b32_e32 v37, 0, v37, vcc_lo
	v_or_b32_e32 v3, v86, v37
	s_branch .LBB281_993
.LBB281_1986:
	s_or_b32 exec_lo, exec_lo, s13
	v_mov_b32_e32 v37, v58
	v_mov_b32_e32 v68, v59
.LBB281_1987:
	s_or_b32 exec_lo, exec_lo, s5
	ds_bpermute_b32 v0, v15, v55
	ds_bpermute_b32 v1, v15, v64
	;; [unrolled: 1-line block ×15, first 2 shown]
	s_waitcnt lgkmcnt(0)
	s_barrier
	buffer_gl0_inv
	s_load_dword s4, s[8:9], 0x0
	s_mov_b32 s5, exec_lo
	v_add_f32_e32 v0, v55, v0
	v_add_f32_e32 v1, v64, v1
	;; [unrolled: 1-line block ×5, first 2 shown]
	ds_bpermute_b32 v18, v14, v0
	v_add_f32_e32 v5, v51, v5
	v_add_f32_e32 v6, v50, v6
	;; [unrolled: 1-line block ×10, first 2 shown]
	ds_bpermute_b32 v19, v14, v1
	ds_bpermute_b32 v22, v14, v2
	ds_bpermute_b32 v23, v14, v3
	ds_bpermute_b32 v26, v14, v4
	ds_bpermute_b32 v8, v14, v5
	ds_bpermute_b32 v29, v14, v6
	ds_bpermute_b32 v30, v14, v7
	ds_bpermute_b32 v31, v14, v28
	ds_bpermute_b32 v32, v14, v27
	ds_bpermute_b32 v17, v14, v25
	ds_bpermute_b32 v33, v14, v24
	ds_bpermute_b32 v34, v14, v21
	ds_bpermute_b32 v35, v14, v20
	ds_bpermute_b32 v36, v14, v15
	s_waitcnt lgkmcnt(0)
	v_add_f32_e32 v14, v0, v18
	buffer_load_dword v18, off, s[0:3], s32 offset:328 ; 4-byte Folded Reload
	v_add_f32_e32 v13, v1, v19
	v_add_f32_e32 v12, v2, v22
	;; [unrolled: 1-line block ×13, first 2 shown]
	v_and_b32_e32 v19, 0x3c3, v37
	v_add_f32_e32 v2, v15, v36
	s_waitcnt vmcnt(0)
	v_and_b32_e32 v17, 28, v18
	v_lshrrev_b32_e32 v15, 2, v18
	v_mul_u32_u24_e32 v18, 0x1e0, v68
	v_add_nc_u32_e32 v17, s4, v17
	v_cmpx_eq_u32_e32 64, v19
	s_cbranch_execz .LBB281_1989
; %bb.1988:
	v_add_nc_u32_e32 v19, v17, v18
	v_add_nc_u32_e32 v20, 0xfffffc40, v19
	v_add_nc_u32_e32 v21, 0xfffffc60, v19
	v_add_nc_u32_e32 v22, 0xfffffc80, v19
	v_add_nc_u32_e32 v23, 0xfffffca0, v19
	v_add_nc_u32_e32 v24, 0xfffffcc0, v19
	ds_write_b32 v20, v14
	ds_write_b32 v21, v13
	;; [unrolled: 1-line block ×5, first 2 shown]
	v_add_nc_u32_e32 v20, 0xfffffce0, v19
	v_add_nc_u32_e32 v21, 0xfffffd00, v19
	;; [unrolled: 1-line block ×5, first 2 shown]
	ds_write_b32 v20, v9
	ds_write_b32 v21, v8
	;; [unrolled: 1-line block ×5, first 2 shown]
	v_add_nc_u32_e32 v20, 0xfffffd80, v19
	v_add_nc_u32_e32 v21, 0xfffffda0, v19
	;; [unrolled: 1-line block ×5, first 2 shown]
	ds_write_b32 v20, v4
	ds_write_b32 v21, v3
	;; [unrolled: 1-line block ×5, first 2 shown]
.LBB281_1989:
	s_or_b32 exec_lo, exec_lo, s5
	v_lshlrev_b32_e32 v15, 2, v15
	s_mov_b32 s5, exec_lo
	v_cmp_eq_u32_e32 vcc_lo, 0, v16
	s_waitcnt lgkmcnt(0)
	s_barrier
	v_add3_u32 v15, s4, v18, v15
	buffer_gl0_inv
	v_cmpx_gt_u32_e32 64, v37
	s_cbranch_execz .LBB281_2007
; %bb.1990:
	s_and_saveexec_b32 s4, vcc_lo
	s_cbranch_execnz .LBB281_2030
; %bb.1991:
	s_or_b32 exec_lo, exec_lo, s4
	s_and_saveexec_b32 s4, vcc_lo
	s_cbranch_execnz .LBB281_2031
.LBB281_1992:
	s_or_b32 exec_lo, exec_lo, s4
	s_and_saveexec_b32 s4, vcc_lo
	s_cbranch_execnz .LBB281_2032
.LBB281_1993:
	s_or_b32 exec_lo, exec_lo, s4
	s_and_saveexec_b32 s4, vcc_lo
	s_cbranch_execnz .LBB281_2033
.LBB281_1994:
	s_or_b32 exec_lo, exec_lo, s4
	s_and_saveexec_b32 s4, vcc_lo
	s_cbranch_execnz .LBB281_2034
.LBB281_1995:
	s_or_b32 exec_lo, exec_lo, s4
	s_and_saveexec_b32 s4, vcc_lo
	s_cbranch_execnz .LBB281_2035
.LBB281_1996:
	s_or_b32 exec_lo, exec_lo, s4
	s_and_saveexec_b32 s4, vcc_lo
	s_cbranch_execnz .LBB281_2036
.LBB281_1997:
	s_or_b32 exec_lo, exec_lo, s4
	s_and_saveexec_b32 s4, vcc_lo
	s_cbranch_execnz .LBB281_2037
.LBB281_1998:
	s_or_b32 exec_lo, exec_lo, s4
	s_and_saveexec_b32 s4, vcc_lo
	s_cbranch_execnz .LBB281_2038
.LBB281_1999:
	s_or_b32 exec_lo, exec_lo, s4
	s_and_saveexec_b32 s4, vcc_lo
	s_cbranch_execnz .LBB281_2039
.LBB281_2000:
	s_or_b32 exec_lo, exec_lo, s4
	s_and_saveexec_b32 s4, vcc_lo
	s_cbranch_execnz .LBB281_2040
.LBB281_2001:
	s_or_b32 exec_lo, exec_lo, s4
	s_and_saveexec_b32 s4, vcc_lo
	s_cbranch_execnz .LBB281_2041
.LBB281_2002:
	s_or_b32 exec_lo, exec_lo, s4
	s_and_saveexec_b32 s4, vcc_lo
	s_cbranch_execnz .LBB281_2042
.LBB281_2003:
	s_or_b32 exec_lo, exec_lo, s4
	s_and_saveexec_b32 s4, vcc_lo
	s_cbranch_execnz .LBB281_2043
.LBB281_2004:
	s_or_b32 exec_lo, exec_lo, s4
	s_and_saveexec_b32 s4, vcc_lo
	s_cbranch_execz .LBB281_2006
.LBB281_2005:
	ds_read_b32 v16, v15 offset:448
	s_waitcnt lgkmcnt(0)
	v_add_f32_e32 v2, v16, v2
.LBB281_2006:
	s_or_b32 exec_lo, exec_lo, s4
.LBB281_2007:
	s_or_b32 exec_lo, exec_lo, s5
	v_and_b32_e32 v16, 0x3e3, v37
	s_mov_b32 s5, exec_lo
	s_barrier
	buffer_gl0_inv
	v_cmpx_eq_u32_e32 32, v16
	s_cbranch_execz .LBB281_2009
; %bb.2008:
	ds_write2_b32 v17, v14, v13 offset1:8
	ds_write2_b32 v17, v12, v11 offset0:16 offset1:24
	ds_write2_b32 v17, v10, v9 offset0:32 offset1:40
	;; [unrolled: 1-line block ×6, first 2 shown]
	ds_write_b32 v17, v2 offset:448
.LBB281_2009:
	s_or_b32 exec_lo, exec_lo, s5
	s_mov_b32 s5, exec_lo
	s_waitcnt lgkmcnt(0)
	s_barrier
	buffer_gl0_inv
	v_cmpx_gt_u32_e32 32, v37
	s_cbranch_execz .LBB281_2027
; %bb.2010:
	s_and_saveexec_b32 s4, vcc_lo
	s_cbranch_execnz .LBB281_2044
; %bb.2011:
	s_or_b32 exec_lo, exec_lo, s4
	s_and_saveexec_b32 s4, vcc_lo
	s_cbranch_execnz .LBB281_2045
.LBB281_2012:
	s_or_b32 exec_lo, exec_lo, s4
	s_and_saveexec_b32 s4, vcc_lo
	s_cbranch_execnz .LBB281_2046
.LBB281_2013:
	s_or_b32 exec_lo, exec_lo, s4
	s_and_saveexec_b32 s4, vcc_lo
	s_cbranch_execnz .LBB281_2047
.LBB281_2014:
	s_or_b32 exec_lo, exec_lo, s4
	s_and_saveexec_b32 s4, vcc_lo
	s_cbranch_execnz .LBB281_2048
.LBB281_2015:
	s_or_b32 exec_lo, exec_lo, s4
	s_and_saveexec_b32 s4, vcc_lo
	s_cbranch_execnz .LBB281_2049
.LBB281_2016:
	s_or_b32 exec_lo, exec_lo, s4
	s_and_saveexec_b32 s4, vcc_lo
	s_cbranch_execnz .LBB281_2050
.LBB281_2017:
	s_or_b32 exec_lo, exec_lo, s4
	s_and_saveexec_b32 s4, vcc_lo
	s_cbranch_execnz .LBB281_2051
.LBB281_2018:
	s_or_b32 exec_lo, exec_lo, s4
	s_and_saveexec_b32 s4, vcc_lo
	s_cbranch_execnz .LBB281_2052
.LBB281_2019:
	s_or_b32 exec_lo, exec_lo, s4
	s_and_saveexec_b32 s4, vcc_lo
	s_cbranch_execnz .LBB281_2053
.LBB281_2020:
	s_or_b32 exec_lo, exec_lo, s4
	s_and_saveexec_b32 s4, vcc_lo
	s_cbranch_execnz .LBB281_2054
.LBB281_2021:
	s_or_b32 exec_lo, exec_lo, s4
	s_and_saveexec_b32 s4, vcc_lo
	s_cbranch_execnz .LBB281_2055
.LBB281_2022:
	s_or_b32 exec_lo, exec_lo, s4
	s_and_saveexec_b32 s4, vcc_lo
	s_cbranch_execnz .LBB281_2056
.LBB281_2023:
	s_or_b32 exec_lo, exec_lo, s4
	s_and_saveexec_b32 s4, vcc_lo
	s_cbranch_execnz .LBB281_2057
.LBB281_2024:
	s_or_b32 exec_lo, exec_lo, s4
	s_and_saveexec_b32 s4, vcc_lo
	s_cbranch_execz .LBB281_2026
.LBB281_2025:
	ds_read_b32 v15, v15 offset:448
	s_waitcnt lgkmcnt(0)
	v_add_f32_e32 v2, v15, v2
.LBB281_2026:
	s_or_b32 exec_lo, exec_lo, s4
.LBB281_2027:
	s_or_b32 exec_lo, exec_lo, s5
	s_mov_b32 s4, exec_lo
	s_barrier
	buffer_gl0_inv
	v_cmpx_eq_u32_e32 0, v16
	s_cbranch_execz .LBB281_2029
; %bb.2028:
	s_clause 0x1
	buffer_load_dword v16, off, s[0:3], s32 offset:384
	buffer_load_dword v17, off, s[0:3], s32 offset:380
	s_and_b32 s5, 0xffff, s12
	s_mul_i32 s6, s14, 0x78
	s_cmp_lg_u32 s5, 0
	v_lshrrev_b32_e32 v15, 1, v37
	s_cselect_b32 s5, -1, 0
	;;#ASMSTART
	v_cvt_f16_f32 v14, v14;

	;;#ASMEND
	s_cmp_lg_u32 s5, 0
	s_addc_u32 s5, s15, 0
	s_mul_i32 s7, s5, s10
	s_mul_i32 s10, s16, s5
	;; [unrolled: 1-line block ×3, first 2 shown]
	s_ashr_i32 s11, s10, 31
	s_mulk_i32 s8, 0x78
	s_ashr_i32 s7, s6, 31
	s_ashr_i32 s9, s8, 31
	s_lshl_b64 s[6:7], s[6:7], 1
	s_lshl_b64 s[8:9], s[8:9], 1
	s_waitcnt vmcnt(1)
	v_add_co_u32 v16, vcc_lo, v16, s8
	s_waitcnt vmcnt(0)
	v_add_co_ci_u32_e64 v17, null, s9, v17, vcc_lo
	s_lshl_b64 s[8:9], s[10:11], 1
	v_add_co_u32 v16, vcc_lo, v16, s8
	v_add_co_ci_u32_e64 v17, null, s9, v17, vcc_lo
	v_add_co_u32 v16, vcc_lo, v16, s6
	v_add_co_ci_u32_e64 v17, null, s7, v17, vcc_lo
	;; [unrolled: 2-line block ×3, first 2 shown]
	flat_store_short v[15:16], v14
	;;#ASMSTART
	v_cvt_f16_f32 v13, v13;

	;;#ASMEND
	flat_store_short v[15:16], v13 offset:16
	;;#ASMSTART
	v_cvt_f16_f32 v12, v12;

	;;#ASMEND
	flat_store_short v[15:16], v12 offset:32
	;; [unrolled: 5-line block ×14, first 2 shown]
.LBB281_2029:
	s_or_b32 exec_lo, exec_lo, s4
	s_clause 0x2f
	buffer_load_dword v127, off, s[0:3], s32
	buffer_load_dword v126, off, s[0:3], s32 offset:4
	buffer_load_dword v125, off, s[0:3], s32 offset:8
	;; [unrolled: 1-line block ×47, first 2 shown]
	s_waitcnt vmcnt(0) lgkmcnt(0)
	s_setpc_b64 s[30:31]
.LBB281_2030:
	ds_read_b32 v16, v15
	s_waitcnt lgkmcnt(0)
	v_add_f32_e32 v14, v16, v14
	s_or_b32 exec_lo, exec_lo, s4
	s_and_saveexec_b32 s4, vcc_lo
	s_cbranch_execz .LBB281_1992
.LBB281_2031:
	ds_read_b32 v16, v15 offset:32
	s_waitcnt lgkmcnt(0)
	v_add_f32_e32 v13, v16, v13
	s_or_b32 exec_lo, exec_lo, s4
	s_and_saveexec_b32 s4, vcc_lo
	s_cbranch_execz .LBB281_1993
.LBB281_2032:
	ds_read_b32 v16, v15 offset:64
	s_waitcnt lgkmcnt(0)
	v_add_f32_e32 v12, v16, v12
	s_or_b32 exec_lo, exec_lo, s4
	s_and_saveexec_b32 s4, vcc_lo
	s_cbranch_execz .LBB281_1994
.LBB281_2033:
	ds_read_b32 v16, v15 offset:96
	s_waitcnt lgkmcnt(0)
	v_add_f32_e32 v11, v16, v11
	s_or_b32 exec_lo, exec_lo, s4
	s_and_saveexec_b32 s4, vcc_lo
	s_cbranch_execz .LBB281_1995
.LBB281_2034:
	ds_read_b32 v16, v15 offset:128
	s_waitcnt lgkmcnt(0)
	v_add_f32_e32 v10, v16, v10
	s_or_b32 exec_lo, exec_lo, s4
	s_and_saveexec_b32 s4, vcc_lo
	s_cbranch_execz .LBB281_1996
.LBB281_2035:
	ds_read_b32 v16, v15 offset:160
	s_waitcnt lgkmcnt(0)
	v_add_f32_e32 v9, v16, v9
	s_or_b32 exec_lo, exec_lo, s4
	s_and_saveexec_b32 s4, vcc_lo
	s_cbranch_execz .LBB281_1997
.LBB281_2036:
	ds_read_b32 v16, v15 offset:192
	s_waitcnt lgkmcnt(0)
	v_add_f32_e32 v8, v16, v8
	s_or_b32 exec_lo, exec_lo, s4
	s_and_saveexec_b32 s4, vcc_lo
	s_cbranch_execz .LBB281_1998
.LBB281_2037:
	ds_read_b32 v16, v15 offset:224
	s_waitcnt lgkmcnt(0)
	v_add_f32_e32 v7, v16, v7
	s_or_b32 exec_lo, exec_lo, s4
	s_and_saveexec_b32 s4, vcc_lo
	s_cbranch_execz .LBB281_1999
.LBB281_2038:
	ds_read_b32 v16, v15 offset:256
	s_waitcnt lgkmcnt(0)
	v_add_f32_e32 v6, v16, v6
	s_or_b32 exec_lo, exec_lo, s4
	s_and_saveexec_b32 s4, vcc_lo
	s_cbranch_execz .LBB281_2000
.LBB281_2039:
	ds_read_b32 v16, v15 offset:288
	s_waitcnt lgkmcnt(0)
	v_add_f32_e32 v5, v16, v5
	s_or_b32 exec_lo, exec_lo, s4
	s_and_saveexec_b32 s4, vcc_lo
	s_cbranch_execz .LBB281_2001
.LBB281_2040:
	ds_read_b32 v16, v15 offset:320
	s_waitcnt lgkmcnt(0)
	v_add_f32_e32 v4, v16, v4
	s_or_b32 exec_lo, exec_lo, s4
	s_and_saveexec_b32 s4, vcc_lo
	s_cbranch_execz .LBB281_2002
.LBB281_2041:
	ds_read_b32 v16, v15 offset:352
	s_waitcnt lgkmcnt(0)
	v_add_f32_e32 v3, v16, v3
	s_or_b32 exec_lo, exec_lo, s4
	s_and_saveexec_b32 s4, vcc_lo
	s_cbranch_execz .LBB281_2003
.LBB281_2042:
	ds_read_b32 v16, v15 offset:384
	s_waitcnt lgkmcnt(0)
	v_add_f32_e32 v1, v16, v1
	s_or_b32 exec_lo, exec_lo, s4
	s_and_saveexec_b32 s4, vcc_lo
	s_cbranch_execz .LBB281_2004
.LBB281_2043:
	ds_read_b32 v16, v15 offset:416
	s_waitcnt lgkmcnt(0)
	v_add_f32_e32 v0, v16, v0
	s_or_b32 exec_lo, exec_lo, s4
	s_and_saveexec_b32 s4, vcc_lo
	s_cbranch_execnz .LBB281_2005
	s_branch .LBB281_2006
.LBB281_2044:
	ds_read_b32 v17, v15
	s_waitcnt lgkmcnt(0)
	v_add_f32_e32 v14, v17, v14
	s_or_b32 exec_lo, exec_lo, s4
	s_and_saveexec_b32 s4, vcc_lo
	s_cbranch_execz .LBB281_2012
.LBB281_2045:
	ds_read_b32 v17, v15 offset:32
	s_waitcnt lgkmcnt(0)
	v_add_f32_e32 v13, v17, v13
	s_or_b32 exec_lo, exec_lo, s4
	s_and_saveexec_b32 s4, vcc_lo
	s_cbranch_execz .LBB281_2013
.LBB281_2046:
	ds_read_b32 v17, v15 offset:64
	s_waitcnt lgkmcnt(0)
	v_add_f32_e32 v12, v17, v12
	s_or_b32 exec_lo, exec_lo, s4
	s_and_saveexec_b32 s4, vcc_lo
	s_cbranch_execz .LBB281_2014
.LBB281_2047:
	ds_read_b32 v17, v15 offset:96
	s_waitcnt lgkmcnt(0)
	v_add_f32_e32 v11, v17, v11
	s_or_b32 exec_lo, exec_lo, s4
	s_and_saveexec_b32 s4, vcc_lo
	s_cbranch_execz .LBB281_2015
.LBB281_2048:
	ds_read_b32 v17, v15 offset:128
	s_waitcnt lgkmcnt(0)
	v_add_f32_e32 v10, v17, v10
	s_or_b32 exec_lo, exec_lo, s4
	s_and_saveexec_b32 s4, vcc_lo
	s_cbranch_execz .LBB281_2016
.LBB281_2049:
	ds_read_b32 v17, v15 offset:160
	s_waitcnt lgkmcnt(0)
	v_add_f32_e32 v9, v17, v9
	s_or_b32 exec_lo, exec_lo, s4
	s_and_saveexec_b32 s4, vcc_lo
	s_cbranch_execz .LBB281_2017
.LBB281_2050:
	ds_read_b32 v17, v15 offset:192
	s_waitcnt lgkmcnt(0)
	v_add_f32_e32 v8, v17, v8
	s_or_b32 exec_lo, exec_lo, s4
	s_and_saveexec_b32 s4, vcc_lo
	s_cbranch_execz .LBB281_2018
.LBB281_2051:
	ds_read_b32 v17, v15 offset:224
	s_waitcnt lgkmcnt(0)
	v_add_f32_e32 v7, v17, v7
	s_or_b32 exec_lo, exec_lo, s4
	s_and_saveexec_b32 s4, vcc_lo
	s_cbranch_execz .LBB281_2019
.LBB281_2052:
	ds_read_b32 v17, v15 offset:256
	s_waitcnt lgkmcnt(0)
	v_add_f32_e32 v6, v17, v6
	s_or_b32 exec_lo, exec_lo, s4
	s_and_saveexec_b32 s4, vcc_lo
	s_cbranch_execz .LBB281_2020
.LBB281_2053:
	ds_read_b32 v17, v15 offset:288
	s_waitcnt lgkmcnt(0)
	v_add_f32_e32 v5, v17, v5
	s_or_b32 exec_lo, exec_lo, s4
	s_and_saveexec_b32 s4, vcc_lo
	s_cbranch_execz .LBB281_2021
.LBB281_2054:
	ds_read_b32 v17, v15 offset:320
	s_waitcnt lgkmcnt(0)
	v_add_f32_e32 v4, v17, v4
	s_or_b32 exec_lo, exec_lo, s4
	s_and_saveexec_b32 s4, vcc_lo
	s_cbranch_execz .LBB281_2022
.LBB281_2055:
	ds_read_b32 v17, v15 offset:352
	s_waitcnt lgkmcnt(0)
	v_add_f32_e32 v3, v17, v3
	s_or_b32 exec_lo, exec_lo, s4
	s_and_saveexec_b32 s4, vcc_lo
	s_cbranch_execz .LBB281_2023
.LBB281_2056:
	ds_read_b32 v17, v15 offset:384
	s_waitcnt lgkmcnt(0)
	v_add_f32_e32 v1, v17, v1
	s_or_b32 exec_lo, exec_lo, s4
	s_and_saveexec_b32 s4, vcc_lo
	s_cbranch_execz .LBB281_2024
.LBB281_2057:
	ds_read_b32 v17, v15 offset:416
	s_waitcnt lgkmcnt(0)
	v_add_f32_e32 v0, v17, v0
	s_or_b32 exec_lo, exec_lo, s4
	s_and_saveexec_b32 s4, vcc_lo
	s_cbranch_execnz .LBB281_2025
	s_branch .LBB281_2026
.Lfunc_end281:
	.size	_ZN4vllm22paged_attention_kernelIthLi120ELi32ELi128ELNS_18Fp8KVCacheDataTypeE1ELb1ELi0EEEvPfS2_PT_PKS3_PKT0_S9_ifPKiSB_iPKfiiiSD_SD_iiiii, .Lfunc_end281-_ZN4vllm22paged_attention_kernelIthLi120ELi32ELi128ELNS_18Fp8KVCacheDataTypeE1ELb1ELi0EEEvPfS2_PT_PKS3_PKT0_S9_ifPKiSB_iPKfiiiSD_SD_iiiii
                                        ; -- End function
	.set .L_ZN4vllm22paged_attention_kernelIthLi120ELi32ELi128ELNS_18Fp8KVCacheDataTypeE1ELb1ELi0EEEvPfS2_PT_PKS3_PKT0_S9_ifPKiSB_iPKfiiiSD_SD_iiiii.num_vgpr, 128
	.set .L_ZN4vllm22paged_attention_kernelIthLi120ELi32ELi128ELNS_18Fp8KVCacheDataTypeE1ELb1ELi0EEEvPfS2_PT_PKS3_PKT0_S9_ifPKiSB_iPKfiiiSD_SD_iiiii.num_agpr, 0
	.set .L_ZN4vllm22paged_attention_kernelIthLi120ELi32ELi128ELNS_18Fp8KVCacheDataTypeE1ELb1ELi0EEEvPfS2_PT_PKS3_PKT0_S9_ifPKiSB_iPKfiiiSD_SD_iiiii.numbered_sgpr, 33
	.set .L_ZN4vllm22paged_attention_kernelIthLi120ELi32ELi128ELNS_18Fp8KVCacheDataTypeE1ELb1ELi0EEEvPfS2_PT_PKS3_PKT0_S9_ifPKiSB_iPKfiiiSD_SD_iiiii.num_named_barrier, 0
	.set .L_ZN4vllm22paged_attention_kernelIthLi120ELi32ELi128ELNS_18Fp8KVCacheDataTypeE1ELb1ELi0EEEvPfS2_PT_PKS3_PKT0_S9_ifPKiSB_iPKfiiiSD_SD_iiiii.private_seg_size, 432
	.set .L_ZN4vllm22paged_attention_kernelIthLi120ELi32ELi128ELNS_18Fp8KVCacheDataTypeE1ELb1ELi0EEEvPfS2_PT_PKS3_PKT0_S9_ifPKiSB_iPKfiiiSD_SD_iiiii.uses_vcc, 1
	.set .L_ZN4vllm22paged_attention_kernelIthLi120ELi32ELi128ELNS_18Fp8KVCacheDataTypeE1ELb1ELi0EEEvPfS2_PT_PKS3_PKT0_S9_ifPKiSB_iPKfiiiSD_SD_iiiii.uses_flat_scratch, 0
	.set .L_ZN4vllm22paged_attention_kernelIthLi120ELi32ELi128ELNS_18Fp8KVCacheDataTypeE1ELb1ELi0EEEvPfS2_PT_PKS3_PKT0_S9_ifPKiSB_iPKfiiiSD_SD_iiiii.has_dyn_sized_stack, 0
	.set .L_ZN4vllm22paged_attention_kernelIthLi120ELi32ELi128ELNS_18Fp8KVCacheDataTypeE1ELb1ELi0EEEvPfS2_PT_PKS3_PKT0_S9_ifPKiSB_iPKfiiiSD_SD_iiiii.has_recursion, 0
	.set .L_ZN4vllm22paged_attention_kernelIthLi120ELi32ELi128ELNS_18Fp8KVCacheDataTypeE1ELb1ELi0EEEvPfS2_PT_PKS3_PKT0_S9_ifPKiSB_iPKfiiiSD_SD_iiiii.has_indirect_call, 0
	.section	.AMDGPU.csdata,"",@progbits
; Function info:
; codeLenInByte = 69180
; TotalNumSgprs: 35
; NumVgprs: 128
; ScratchSize: 432
; MemoryBound: 0
	.section	.text._ZN4vllm25paged_attention_v1_kernelIthLi120ELi32ELi128ELNS_18Fp8KVCacheDataTypeE1ELb1EEEvPT_PKS2_PKT0_S8_ifPKiSA_iPKfiiiSC_SC_iiiii,"axG",@progbits,_ZN4vllm25paged_attention_v1_kernelIthLi120ELi32ELi128ELNS_18Fp8KVCacheDataTypeE1ELb1EEEvPT_PKS2_PKT0_S8_ifPKiSA_iPKfiiiSC_SC_iiiii,comdat
	.protected	_ZN4vllm25paged_attention_v1_kernelIthLi120ELi32ELi128ELNS_18Fp8KVCacheDataTypeE1ELb1EEEvPT_PKS2_PKT0_S8_ifPKiSA_iPKfiiiSC_SC_iiiii ; -- Begin function _ZN4vllm25paged_attention_v1_kernelIthLi120ELi32ELi128ELNS_18Fp8KVCacheDataTypeE1ELb1EEEvPT_PKS2_PKT0_S8_ifPKiSA_iPKfiiiSC_SC_iiiii
	.globl	_ZN4vllm25paged_attention_v1_kernelIthLi120ELi32ELi128ELNS_18Fp8KVCacheDataTypeE1ELb1EEEvPT_PKS2_PKT0_S8_ifPKiSA_iPKfiiiSC_SC_iiiii
	.p2align	8
	.type	_ZN4vllm25paged_attention_v1_kernelIthLi120ELi32ELi128ELNS_18Fp8KVCacheDataTypeE1ELb1EEEvPT_PKS2_PKT0_S8_ifPKiSA_iPKfiiiSC_SC_iiiii,@function
_ZN4vllm25paged_attention_v1_kernelIthLi120ELi32ELi128ELNS_18Fp8KVCacheDataTypeE1ELb1EEEvPT_PKS2_PKT0_S8_ifPKiSA_iPKfiiiSC_SC_iiiii: ; @_ZN4vllm25paged_attention_v1_kernelIthLi120ELi32ELi128ELNS_18Fp8KVCacheDataTypeE1ELb1EEEvPT_PKS2_PKT0_S8_ifPKiSA_iPKfiiiSC_SC_iiiii
; %bb.0:
	s_clause 0x7
	s_load_dwordx8 s[16:23], s[4:5], 0x0
	s_load_dwordx4 s[36:39], s[4:5], 0x20
	s_load_dwordx2 s[10:11], s[4:5], 0x30
	s_load_dword s13, s[4:5], 0x38
	s_load_dwordx2 s[34:35], s[4:5], 0x40
	s_load_dwordx8 s[24:31], s[4:5], 0x48
	s_load_dword s15, s[4:5], 0x78
	s_load_dwordx4 s[40:43], s[4:5], 0x68
	s_add_u32 s0, s0, s9
	s_addc_u32 s1, s1, 0
	v_mov_b32_e32 v31, v0
	s_mov_b32 s14, s8
	s_add_u32 s8, s4, 0x80
	s_addc_u32 s9, s5, 0
	s_getpc_b64 s[4:5]
	s_add_u32 s4, s4, _ZN4vllm22paged_attention_kernelIthLi120ELi32ELi128ELNS_18Fp8KVCacheDataTypeE1ELb1ELi0EEEvPfS2_PT_PKS3_PKT0_S9_ifPKiSB_iPKfiiiSD_SD_iiiii@rel32@lo+4
	s_addc_u32 s5, s5, _ZN4vllm22paged_attention_kernelIthLi120ELi32ELi128ELNS_18Fp8KVCacheDataTypeE1ELb1ELi0EEEvPfS2_PT_PKS3_PKT0_S9_ifPKiSB_iPKfiiiSD_SD_iiiii@rel32@hi+12
	s_mov_b32 s12, s6
	s_mov_b32 s32, 0
	s_waitcnt lgkmcnt(0)
	v_mov_b32_e32 v0, s16
	v_mov_b32_e32 v1, s17
	;; [unrolled: 1-line block ×29, first 2 shown]
	s_mov_b32 s13, s7
	s_mov_b32 s15, 37
	s_swappc_b64 s[30:31], s[4:5]
	s_endpgm
	.section	.rodata,"a",@progbits
	.p2align	6, 0x0
	.amdhsa_kernel _ZN4vllm25paged_attention_v1_kernelIthLi120ELi32ELi128ELNS_18Fp8KVCacheDataTypeE1ELb1EEEvPT_PKS2_PKT0_S8_ifPKiSA_iPKfiiiSC_SC_iiiii
		.amdhsa_group_segment_fixed_size 272
		.amdhsa_private_segment_fixed_size 432
		.amdhsa_kernarg_size 384
		.amdhsa_user_sgpr_count 6
		.amdhsa_user_sgpr_private_segment_buffer 1
		.amdhsa_user_sgpr_dispatch_ptr 0
		.amdhsa_user_sgpr_queue_ptr 0
		.amdhsa_user_sgpr_kernarg_segment_ptr 1
		.amdhsa_user_sgpr_dispatch_id 0
		.amdhsa_user_sgpr_flat_scratch_init 0
		.amdhsa_user_sgpr_private_segment_size 0
		.amdhsa_wavefront_size32 1
		.amdhsa_uses_dynamic_stack 0
		.amdhsa_system_sgpr_private_segment_wavefront_offset 1
		.amdhsa_system_sgpr_workgroup_id_x 1
		.amdhsa_system_sgpr_workgroup_id_y 1
		.amdhsa_system_sgpr_workgroup_id_z 1
		.amdhsa_system_sgpr_workgroup_info 0
		.amdhsa_system_vgpr_workitem_id 0
		.amdhsa_next_free_vgpr 128
		.amdhsa_next_free_sgpr 44
		.amdhsa_reserve_vcc 1
		.amdhsa_reserve_flat_scratch 0
		.amdhsa_float_round_mode_32 0
		.amdhsa_float_round_mode_16_64 0
		.amdhsa_float_denorm_mode_32 3
		.amdhsa_float_denorm_mode_16_64 3
		.amdhsa_dx10_clamp 1
		.amdhsa_ieee_mode 1
		.amdhsa_fp16_overflow 0
		.amdhsa_workgroup_processor_mode 1
		.amdhsa_memory_ordered 1
		.amdhsa_forward_progress 1
		.amdhsa_shared_vgpr_count 0
		.amdhsa_exception_fp_ieee_invalid_op 0
		.amdhsa_exception_fp_denorm_src 0
		.amdhsa_exception_fp_ieee_div_zero 0
		.amdhsa_exception_fp_ieee_overflow 0
		.amdhsa_exception_fp_ieee_underflow 0
		.amdhsa_exception_fp_ieee_inexact 0
		.amdhsa_exception_int_div_zero 0
	.end_amdhsa_kernel
	.section	.text._ZN4vllm25paged_attention_v1_kernelIthLi120ELi32ELi128ELNS_18Fp8KVCacheDataTypeE1ELb1EEEvPT_PKS2_PKT0_S8_ifPKiSA_iPKfiiiSC_SC_iiiii,"axG",@progbits,_ZN4vllm25paged_attention_v1_kernelIthLi120ELi32ELi128ELNS_18Fp8KVCacheDataTypeE1ELb1EEEvPT_PKS2_PKT0_S8_ifPKiSA_iPKfiiiSC_SC_iiiii,comdat
.Lfunc_end282:
	.size	_ZN4vllm25paged_attention_v1_kernelIthLi120ELi32ELi128ELNS_18Fp8KVCacheDataTypeE1ELb1EEEvPT_PKS2_PKT0_S8_ifPKiSA_iPKfiiiSC_SC_iiiii, .Lfunc_end282-_ZN4vllm25paged_attention_v1_kernelIthLi120ELi32ELi128ELNS_18Fp8KVCacheDataTypeE1ELb1EEEvPT_PKS2_PKT0_S8_ifPKiSA_iPKfiiiSC_SC_iiiii
                                        ; -- End function
	.set _ZN4vllm25paged_attention_v1_kernelIthLi120ELi32ELi128ELNS_18Fp8KVCacheDataTypeE1ELb1EEEvPT_PKS2_PKT0_S8_ifPKiSA_iPKfiiiSC_SC_iiiii.num_vgpr, max(32, .L_ZN4vllm22paged_attention_kernelIthLi120ELi32ELi128ELNS_18Fp8KVCacheDataTypeE1ELb1ELi0EEEvPfS2_PT_PKS3_PKT0_S9_ifPKiSB_iPKfiiiSD_SD_iiiii.num_vgpr)
	.set _ZN4vllm25paged_attention_v1_kernelIthLi120ELi32ELi128ELNS_18Fp8KVCacheDataTypeE1ELb1EEEvPT_PKS2_PKT0_S8_ifPKiSA_iPKfiiiSC_SC_iiiii.num_agpr, max(0, .L_ZN4vllm22paged_attention_kernelIthLi120ELi32ELi128ELNS_18Fp8KVCacheDataTypeE1ELb1ELi0EEEvPfS2_PT_PKS3_PKT0_S9_ifPKiSB_iPKfiiiSD_SD_iiiii.num_agpr)
	.set _ZN4vllm25paged_attention_v1_kernelIthLi120ELi32ELi128ELNS_18Fp8KVCacheDataTypeE1ELb1EEEvPT_PKS2_PKT0_S8_ifPKiSA_iPKfiiiSC_SC_iiiii.numbered_sgpr, max(44, .L_ZN4vllm22paged_attention_kernelIthLi120ELi32ELi128ELNS_18Fp8KVCacheDataTypeE1ELb1ELi0EEEvPfS2_PT_PKS3_PKT0_S9_ifPKiSB_iPKfiiiSD_SD_iiiii.numbered_sgpr)
	.set _ZN4vllm25paged_attention_v1_kernelIthLi120ELi32ELi128ELNS_18Fp8KVCacheDataTypeE1ELb1EEEvPT_PKS2_PKT0_S8_ifPKiSA_iPKfiiiSC_SC_iiiii.num_named_barrier, max(0, .L_ZN4vllm22paged_attention_kernelIthLi120ELi32ELi128ELNS_18Fp8KVCacheDataTypeE1ELb1ELi0EEEvPfS2_PT_PKS3_PKT0_S9_ifPKiSB_iPKfiiiSD_SD_iiiii.num_named_barrier)
	.set _ZN4vllm25paged_attention_v1_kernelIthLi120ELi32ELi128ELNS_18Fp8KVCacheDataTypeE1ELb1EEEvPT_PKS2_PKT0_S8_ifPKiSA_iPKfiiiSC_SC_iiiii.private_seg_size, 0+max(.L_ZN4vllm22paged_attention_kernelIthLi120ELi32ELi128ELNS_18Fp8KVCacheDataTypeE1ELb1ELi0EEEvPfS2_PT_PKS3_PKT0_S9_ifPKiSB_iPKfiiiSD_SD_iiiii.private_seg_size)
	.set _ZN4vllm25paged_attention_v1_kernelIthLi120ELi32ELi128ELNS_18Fp8KVCacheDataTypeE1ELb1EEEvPT_PKS2_PKT0_S8_ifPKiSA_iPKfiiiSC_SC_iiiii.uses_vcc, or(1, .L_ZN4vllm22paged_attention_kernelIthLi120ELi32ELi128ELNS_18Fp8KVCacheDataTypeE1ELb1ELi0EEEvPfS2_PT_PKS3_PKT0_S9_ifPKiSB_iPKfiiiSD_SD_iiiii.uses_vcc)
	.set _ZN4vllm25paged_attention_v1_kernelIthLi120ELi32ELi128ELNS_18Fp8KVCacheDataTypeE1ELb1EEEvPT_PKS2_PKT0_S8_ifPKiSA_iPKfiiiSC_SC_iiiii.uses_flat_scratch, or(0, .L_ZN4vllm22paged_attention_kernelIthLi120ELi32ELi128ELNS_18Fp8KVCacheDataTypeE1ELb1ELi0EEEvPfS2_PT_PKS3_PKT0_S9_ifPKiSB_iPKfiiiSD_SD_iiiii.uses_flat_scratch)
	.set _ZN4vllm25paged_attention_v1_kernelIthLi120ELi32ELi128ELNS_18Fp8KVCacheDataTypeE1ELb1EEEvPT_PKS2_PKT0_S8_ifPKiSA_iPKfiiiSC_SC_iiiii.has_dyn_sized_stack, or(0, .L_ZN4vllm22paged_attention_kernelIthLi120ELi32ELi128ELNS_18Fp8KVCacheDataTypeE1ELb1ELi0EEEvPfS2_PT_PKS3_PKT0_S9_ifPKiSB_iPKfiiiSD_SD_iiiii.has_dyn_sized_stack)
	.set _ZN4vllm25paged_attention_v1_kernelIthLi120ELi32ELi128ELNS_18Fp8KVCacheDataTypeE1ELb1EEEvPT_PKS2_PKT0_S8_ifPKiSA_iPKfiiiSC_SC_iiiii.has_recursion, or(0, .L_ZN4vllm22paged_attention_kernelIthLi120ELi32ELi128ELNS_18Fp8KVCacheDataTypeE1ELb1ELi0EEEvPfS2_PT_PKS3_PKT0_S9_ifPKiSB_iPKfiiiSD_SD_iiiii.has_recursion)
	.set _ZN4vllm25paged_attention_v1_kernelIthLi120ELi32ELi128ELNS_18Fp8KVCacheDataTypeE1ELb1EEEvPT_PKS2_PKT0_S8_ifPKiSA_iPKfiiiSC_SC_iiiii.has_indirect_call, or(0, .L_ZN4vllm22paged_attention_kernelIthLi120ELi32ELi128ELNS_18Fp8KVCacheDataTypeE1ELb1ELi0EEEvPfS2_PT_PKS3_PKT0_S9_ifPKiSB_iPKfiiiSD_SD_iiiii.has_indirect_call)
	.section	.AMDGPU.csdata,"",@progbits
; Kernel info:
; codeLenInByte = 260
; TotalNumSgprs: 46
; NumVgprs: 128
; ScratchSize: 432
; MemoryBound: 0
; FloatMode: 240
; IeeeMode: 1
; LDSByteSize: 272 bytes/workgroup (compile time only)
; SGPRBlocks: 0
; VGPRBlocks: 15
; NumSGPRsForWavesPerEU: 46
; NumVGPRsForWavesPerEU: 128
; Occupancy: 8
; WaveLimiterHint : 1
; COMPUTE_PGM_RSRC2:SCRATCH_EN: 1
; COMPUTE_PGM_RSRC2:USER_SGPR: 6
; COMPUTE_PGM_RSRC2:TRAP_HANDLER: 0
; COMPUTE_PGM_RSRC2:TGID_X_EN: 1
; COMPUTE_PGM_RSRC2:TGID_Y_EN: 1
; COMPUTE_PGM_RSRC2:TGID_Z_EN: 1
; COMPUTE_PGM_RSRC2:TIDIG_COMP_CNT: 0
	.text
	.p2align	2                               ; -- Begin function _ZN4vllm22paged_attention_kernelIthLi128ELi32ELi128ELNS_18Fp8KVCacheDataTypeE1ELb1ELi0EEEvPfS2_PT_PKS3_PKT0_S9_ifPKiSB_iPKfiiiSD_SD_iiiii
	.type	_ZN4vllm22paged_attention_kernelIthLi128ELi32ELi128ELNS_18Fp8KVCacheDataTypeE1ELb1ELi0EEEvPfS2_PT_PKS3_PKT0_S9_ifPKiSB_iPKfiiiSD_SD_iiiii,@function
_ZN4vllm22paged_attention_kernelIthLi128ELi32ELi128ELNS_18Fp8KVCacheDataTypeE1ELb1ELi0EEEvPfS2_PT_PKS3_PKT0_S9_ifPKiSB_iPKfiiiSD_SD_iiiii: ; @_ZN4vllm22paged_attention_kernelIthLi128ELi32ELi128ELNS_18Fp8KVCacheDataTypeE1ELb1ELi0EEEvPfS2_PT_PKS3_PKT0_S9_ifPKiSB_iPKfiiiSD_SD_iiiii
; %bb.0:
	s_waitcnt vmcnt(0) expcnt(0) lgkmcnt(0)
	buffer_store_dword v40, off, s[0:3], s32 offset:188 ; 4-byte Folded Spill
	buffer_store_dword v41, off, s[0:3], s32 offset:184 ; 4-byte Folded Spill
	;; [unrolled: 1-line block ×47, first 2 shown]
	buffer_store_dword v127, off, s[0:3], s32 ; 4-byte Folded Spill
	s_mov_b32 s10, s13
	s_ashr_i32 s11, s13, 31
	v_mov_b32_e32 v60, v0
	s_lshl_b64 s[6:7], s[10:11], 2
	v_mov_b32_e32 v59, v1
	v_add_co_u32 v0, vcc_lo, v12, s6
	v_add_co_ci_u32_e64 v1, null, s7, v13, vcc_lo
	buffer_store_dword v20, off, s[0:3], s32 offset:400 ; 4-byte Folded Spill
	buffer_store_dword v21, off, s[0:3], s32 offset:404 ; 4-byte Folded Spill
	;; [unrolled: 1-line block ×6, first 2 shown]
	s_clause 0x1
	s_load_dword s5, s[8:9], 0x10
	s_load_dword s6, s[8:9], 0x0
	flat_load_dword v30, v[0:1]
	v_sub_nc_u32_e32 v0, 0, v8
	v_mov_b32_e32 v62, v22
	v_mov_b32_e32 v22, v6
	;; [unrolled: 1-line block ×4, first 2 shown]
	v_max_i32_e32 v0, v8, v0
	s_mov_b32 s4, s15
	v_cvt_f32_u32_e32 v1, v0
	v_sub_nc_u32_e32 v6, 0, v0
	v_rcp_iflag_f32_e32 v1, v1
	s_waitcnt lgkmcnt(0)
	s_lshr_b32 s5, s5, 16
	s_cmp_lg_u32 s5, 0
	s_cselect_b32 s5, -1, 0
	s_cmp_lg_u32 s5, 0
	v_mul_f32_e32 v1, 0x4f7ffffe, v1
	s_addc_u32 s11, s6, 0
	s_mov_b32 s6, exec_lo
	s_abs_i32 s5, s11
	v_cvt_u32_f32_e32 v1, v1
	v_mul_lo_u32 v6, v6, v1
	v_mul_hi_u32 v6, v1, v6
	v_add_nc_u32_e32 v1, v1, v6
	v_mul_hi_u32 v1, s5, v1
	v_mul_lo_u32 v6, v1, v0
	v_add_nc_u32_e32 v7, 1, v1
	v_sub_nc_u32_e32 v6, s5, v6
	s_abs_i32 s5, s12
	v_sub_nc_u32_e32 v9, v6, v0
	v_cmp_ge_u32_e32 vcc_lo, v6, v0
	v_cndmask_b32_e32 v1, v1, v7, vcc_lo
	v_cndmask_b32_e32 v6, v6, v9, vcc_lo
	v_xor_b32_e32 v7, s11, v8
	v_add_nc_u32_e32 v9, 1, v1
	v_cmp_ge_u32_e32 vcc_lo, v6, v0
	v_ashrrev_i32_e32 v7, 31, v7
	v_cndmask_b32_e32 v0, v1, v9, vcc_lo
	v_xor_b32_e32 v0, v0, v7
	v_sub_nc_u32_e32 v1, v0, v7
	v_sub_nc_u32_e32 v0, 0, v1
	v_max_i32_e32 v0, v1, v0
	v_cvt_f32_u32_e32 v6, v0
	v_sub_nc_u32_e32 v7, 0, v0
	v_rcp_iflag_f32_e32 v6, v6
	v_mul_f32_e32 v6, 0x4f7ffffe, v6
	v_cvt_u32_f32_e32 v6, v6
	v_mul_lo_u32 v7, v7, v6
	v_mul_hi_u32 v7, v6, v7
	v_add_nc_u32_e32 v6, v6, v7
	v_mad_u64_u32 v[12:13], null, s5, v6, 0
	v_mov_b32_e32 v6, 0
	buffer_store_dword v6, off, s[0:3], s32 offset:396 ; 4-byte Folded Spill
	v_cmpx_ne_u64_e32 0, v[15:16]
	s_cbranch_execz .LBB283_2
; %bb.1:
	s_ashr_i32 s13, s12, 31
	s_lshl_b64 s[16:17], s[12:13], 2
	v_add_co_u32 v6, vcc_lo, v15, s16
	v_add_co_ci_u32_e64 v7, null, s17, v16, vcc_lo
	flat_load_dword v6, v[6:7]
	s_waitcnt vmcnt(0) lgkmcnt(0)
	buffer_store_dword v6, off, s[0:3], s32 offset:396 ; 4-byte Folded Spill
.LBB283_2:
	s_or_b32 exec_lo, exec_lo, s6
	v_and_b32_e32 v61, 0x3ff, v31
	v_ashrrev_i32_e32 v1, 31, v1
	s_ashr_i32 s6, s12, 31
	s_lshl_b32 s16, s12, 7
	s_mov_b32 s7, exec_lo
	v_cmpx_gt_u32_e32 16, v61
	s_cbranch_execz .LBB283_4
; %bb.3:
	v_mul_lo_u32 v6, v17, s10
	s_ashr_i32 s17, s16, 31
	v_lshlrev_b32_e32 v15, 4, v61
	s_lshl_b64 s[18:19], s[16:17], 1
	v_ashrrev_i32_e32 v7, 31, v6
	v_lshlrev_b64 v[6:7], 1, v[6:7]
	v_add_co_u32 v2, vcc_lo, v2, v6
	v_add_co_ci_u32_e64 v3, null, v3, v7, vcc_lo
	v_add_co_u32 v2, vcc_lo, v2, s18
	v_add_co_ci_u32_e64 v3, null, s19, v3, vcc_lo
	;; [unrolled: 2-line block ×3, first 2 shown]
	flat_load_dwordx4 v[9:12], v[2:3]
	s_waitcnt vmcnt(0) lgkmcnt(0)
	ds_write_b128 v15, v[9:12]
.LBB283_4:
	s_or_b32 exec_lo, exec_lo, s7
	v_sub_nc_u32_e32 v2, 0, v27
	v_mul_lo_u32 v3, v13, v0
	v_add_nc_u32_e32 v7, 1, v13
	v_xor_b32_e32 v1, s6, v1
	v_max_i32_e32 v72, v27, v2
	v_sub_nc_u32_e32 v3, s5, v3
	v_cvt_f32_u32_e32 v2, v72
	s_mov_b32 s5, exec_lo
	v_sub_nc_u32_e32 v9, v3, v0
	v_rcp_iflag_f32_e32 v2, v2
	v_cmp_ge_u32_e32 vcc_lo, v3, v0
	v_cndmask_b32_e32 v7, v13, v7, vcc_lo
	v_cndmask_b32_e32 v3, v3, v9, vcc_lo
	v_mul_f32_e32 v2, 0x4f7ffffe, v2
	v_add_nc_u32_e32 v9, 1, v7
	v_cmp_ge_u32_e32 vcc_lo, v3, v0
	v_cvt_u32_f32_e32 v6, v2
	v_sub_nc_u32_e32 v2, 0, v72
	v_cndmask_b32_e32 v3, v7, v9, vcc_lo
	v_mul_lo_u32 v10, v2, v6
	s_waitcnt vmcnt(0)
	v_add_nc_u32_e32 v2, -1, v30
	v_xor_b32_e32 v3, v3, v1
	v_sub_nc_u32_e32 v11, 0, v2
	v_mul_hi_u32 v10, v6, v10
	v_max_i32_e32 v0, v2, v11
	v_add_nc_u32_e32 v6, v6, v10
	v_mad_u64_u32 v[12:13], null, v0, v6, 0
	v_sub_nc_u32_e32 v12, v3, v1
                                        ; implicit-def: $vgpr1
	buffer_store_dword v6, off, s[0:3], s32 offset:200 ; 4-byte Folded Spill
	s_waitcnt lgkmcnt(0)
	s_waitcnt_vscnt null, 0x0
	s_barrier
	buffer_gl0_inv
	buffer_store_dword v1, off, s[0:3], s32 offset:192 ; 4-byte Folded Spill
	buffer_store_dword v2, off, s[0:3], s32 offset:196 ; 4-byte Folded Spill
	v_cmpx_gt_i32_e32 0, v28
	s_xor_b32 s5, exec_lo, s5
	s_cbranch_execz .LBB283_6
; %bb.5:
	v_mad_u64_u32 v[6:7], null, v24, v8, v[12:13]
                                        ; implicit-def: $vgpr24
	v_mul_lo_u32 v1, v6, v28
                                        ; implicit-def: $vgpr28
	v_sub_nc_u32_e32 v1, 1, v1
	buffer_store_dword v1, off, s[0:3], s32 offset:192 ; 4-byte Folded Spill
	buffer_store_dword v2, off, s[0:3], s32 offset:196 ; 4-byte Folded Spill
.LBB283_6:
	s_or_saveexec_b32 s5, s5
	v_ashrrev_i32_e32 v1, 31, v2
	v_ashrrev_i32_e32 v73, 31, v27
	s_xor_b32 exec_lo, exec_lo, s5
	s_cbranch_execz .LBB283_8
; %bb.7:
	v_mad_u64_u32 v[2:3], null, s11, v24, s[12:13]
	v_mad_u64_u32 v[2:3], null, v2, v28, 1
	buffer_store_dword v2, off, s[0:3], s32 offset:192 ; 4-byte Folded Spill
	buffer_store_dword v3, off, s[0:3], s32 offset:196 ; 4-byte Folded Spill
.LBB283_8:
	s_or_b32 exec_lo, exec_lo, s5
	v_mul_lo_u32 v2, v13, v72
	v_add_nc_u32_e32 v3, 1, v13
	v_xor_b32_e32 v6, v1, v73
	v_add_nc_u32_e32 v1, 31, v30
	s_clause 0x1
	s_load_dword s7, s[8:9], 0x14
	s_load_dword s15, s[8:9], 0x8
	v_mul_lo_u32 v11, v12, v19
	v_and_b32_e32 v9, 31, v61
	v_lshrrev_b32_e32 v88, 5, v61
	v_sub_nc_u32_e32 v2, v0, v2
	v_ashrrev_i32_e32 v8, 31, v1
	v_mul_lo_u32 v0, v14, s10
	s_ashr_i32 s5, s4, 31
	s_getpc_b64 s[8:9]
	s_add_u32 s8, s8, llvm.amdgcn.dynlds.offset.table@rel32@lo+4
	s_addc_u32 s9, s9, llvm.amdgcn.dynlds.offset.table@rel32@hi+12
	v_sub_nc_u32_e32 v7, v2, v72
	v_cmp_ge_u32_e32 vcc_lo, v2, v72
	v_lshrrev_b32_e32 v8, 27, v8
	buffer_store_dword v9, off, s[0:3], s32 offset:392 ; 4-byte Folded Spill
	v_mov_b32_e32 v14, 0xff7fffff
	v_sub_nc_u32_e32 v12, 0, v26
	v_cndmask_b32_e32 v3, v13, v3, vcc_lo
	v_cndmask_b32_e32 v2, v2, v7, vcc_lo
	s_lshl_b64 s[12:13], s[4:5], 2
	v_lshlrev_b32_e32 v74, 5, v88
	v_lshlrev_b32_e32 v16, 2, v9
	v_add_nc_u32_e32 v7, 1, v3
	v_cmp_ge_u32_e32 vcc_lo, v2, v72
	v_ashrrev_i32_e32 v13, 31, v11
	v_lshrrev_b32_e32 v10, 3, v61
	s_add_u32 s8, s8, s12
	s_addc_u32 s9, s9, s13
	v_cndmask_b32_e32 v2, v3, v7, vcc_lo
	v_add_nc_u32_e32 v3, v1, v8
	v_ashrrev_i32_e32 v1, 31, v0
	v_xor_b32_e32 v2, v2, v6
	v_ashrrev_i32_e32 v75, 5, v3
	v_lshlrev_b64 v[0:1], 2, v[0:1]
	buffer_store_dword v0, off, s[0:3], s32 offset:432 ; 4-byte Folded Spill
	buffer_store_dword v1, off, s[0:3], s32 offset:436 ; 4-byte Folded Spill
	v_sub_nc_u32_e32 v2, v2, v6
	v_cmp_lt_i32_e64 s4, v88, v75
	v_sub_nc_u32_e32 v0, v2, v25
	buffer_store_dword v0, off, s[0:3], s32 offset:204 ; 4-byte Folded Spill
	s_and_saveexec_b32 s17, s4
	s_cbranch_execz .LBB283_1040
; %bb.9:
	buffer_store_dword v22, off, s[0:3], s32 offset:476 ; 4-byte Folded Spill
	buffer_store_dword v18, off, s[0:3], s32 offset:472 ; 4-byte Folded Spill
	buffer_store_dword v75, off, s[0:3], s32 offset:276 ; 4-byte Folded Spill
	buffer_store_dword v74, off, s[0:3], s32 offset:464 ; 4-byte Folded Spill
	buffer_store_dword v73, off, s[0:3], s32 offset:272 ; 4-byte Folded Spill
	buffer_store_dword v72, off, s[0:3], s32 offset:268 ; 4-byte Folded Spill
	buffer_store_dword v62, off, s[0:3], s32 offset:452 ; 4-byte Folded Spill
	buffer_store_dword v63, off, s[0:3], s32 offset:456 ; 4-byte Folded Spill
	buffer_store_dword v61, off, s[0:3], s32 offset:448 ; 4-byte Folded Spill
	buffer_store_dword v60, off, s[0:3], s32 offset:444 ; 4-byte Folded Spill
	buffer_store_dword v59, off, s[0:3], s32 offset:440 ; 4-byte Folded Spill
	buffer_store_dword v26, off, s[0:3], s32 offset:468 ; 4-byte Folded Spill
	buffer_store_dword v12, off, s[0:3], s32 offset:488 ; 4-byte Folded Spill
	buffer_load_dword v7, off, s[0:3], s32 offset:392 ; 4-byte Folded Reload
	v_max_i32_e32 v6, v26, v12
	v_add_co_u32 v1, vcc_lo, v4, v11
	v_add_co_ci_u32_e64 v2, null, v5, v13, vcc_lo
	v_cvt_f32_u32_e32 v0, v6
	buffer_load_dword v5, off, s[0:3], s32 offset:396 ; 4-byte Folded Reload
	buffer_store_dword v6, off, s[0:3], s32 offset:280 ; 4-byte Folded Spill
	v_sub_nc_u32_e32 v6, 0, v6
	s_load_dword s18, s[8:9], 0x0
	v_rcp_iflag_f32_e32 v0, v0
	buffer_store_dword v11, off, s[0:3], s32 offset:484 ; 4-byte Folded Spill
	buffer_store_dword v13, off, s[0:3], s32 offset:492 ; 4-byte Folded Spill
	;; [unrolled: 1-line block ×4, first 2 shown]
	v_and_b32_e32 v8, 0x7c, v10
	v_lshl_or_b32 v51, v88, 7, v16
	v_mov_b32_e32 v4, 0
	v_mov_b32_e32 v91, 0x80
	;; [unrolled: 1-line block ×3, first 2 shown]
	v_mul_f32_e32 v0, 0x4f7ffffe, v0
	s_mov_b32 s12, -1
	s_mov_b32 s19, 0
	s_mov_b32 s13, 0xffffff
	v_cvt_u32_f32_e32 v0, v0
	v_mul_lo_u32 v6, v6, v0
	s_waitcnt vmcnt(1)
	v_lshlrev_b32_e32 v3, 4, v7
	v_sub_nc_u32_e32 v7, v7, v30
	v_add_co_u32 v1, s5, v1, v3
	v_add_co_ci_u32_e64 v2, null, 0, v2, s5
	s_waitcnt vmcnt(0)
	v_cmp_neq_f32_e32 vcc_lo, 0, v5
	v_lshlrev_b32_e32 v5, 5, v88
	buffer_store_dword v1, off, s[0:3], s32 offset:412 ; 4-byte Folded Spill
	buffer_store_dword v2, off, s[0:3], s32 offset:416 ; 4-byte Folded Spill
	v_mul_hi_u32 v1, v0, v6
	v_add_nc_u32_e32 v6, 1, v7
	s_clause 0x1
	buffer_load_dword v2, off, s[0:3], s32 offset:432
	buffer_load_dword v3, off, s[0:3], s32 offset:436
	buffer_store_dword v6, off, s[0:3], s32 offset:420 ; 4-byte Folded Spill
	buffer_load_dword v6, off, s[0:3], s32 offset:428 ; 4-byte Folded Reload
	v_add_nc_u32_e32 v0, v0, v1
	s_waitcnt vmcnt(2)
	v_add_co_u32 v2, s5, v8, v2
	s_waitcnt vmcnt(1)
	v_add_co_ci_u32_e64 v3, null, 0, v3, s5
	s_waitcnt vmcnt(0)
	v_add_co_u32 v16, s5, v6, v2
	buffer_load_dword v2, off, s[0:3], s32 offset:424 ; 4-byte Folded Reload
	buffer_store_dword v0, off, s[0:3], s32 offset:284 ; 4-byte Folded Spill
	buffer_store_dword v88, off, s[0:3], s32 offset:460 ; 4-byte Folded Spill
	s_waitcnt vmcnt(0)
	v_add_co_ci_u32_e64 v17, null, v2, v3, s5
	s_branch .LBB283_15
.LBB283_10:                             ;   in Loop: Header=BB283_15 Depth=1
	s_or_b32 exec_lo, exec_lo, s23
	v_lshlrev_b32_e32 v3, 8, v3
	v_lshl_add_u32 v24, v24, 10, 0x2000
	v_lshlrev_b32_e32 v23, 23, v23
	v_and_or_b32 v3, 0x8000, v3, v24
	v_lshl_or_b32 v23, v3, 16, v23
.LBB283_11:                             ;   in Loop: Header=BB283_15 Depth=1
	s_or_b32 exec_lo, exec_lo, s22
.LBB283_12:                             ;   in Loop: Header=BB283_15 Depth=1
	s_or_b32 exec_lo, exec_lo, s21
.LBB283_13:                             ;   in Loop: Header=BB283_15 Depth=1
	s_or_b32 exec_lo, exec_lo, s20
	v_or_b32_e32 v3, v120, v108
	v_fma_mixlo_f16 v24, v69, v120, 0 op_sel:[0,1,0] op_sel_hi:[0,1,0]
	v_fma_mixlo_f16 v28, v69, v81, 0 op_sel:[0,1,0] op_sel_hi:[0,1,0]
	;; [unrolled: 1-line block ×4, first 2 shown]
	v_fma_mixlo_f16 v3, v69, v3, 0 op_sel_hi:[0,1,0]
	buffer_store_dword v24, off, s[0:3], s32 offset:308 ; 4-byte Folded Spill
	v_fma_mixlo_f16 v24, v69, v106, 0 op_sel:[0,1,0] op_sel_hi:[0,1,0]
	buffer_store_dword v3, off, s[0:3], s32 offset:312 ; 4-byte Folded Spill
	v_or_b32_e32 v3, v106, v104
	buffer_store_dword v24, off, s[0:3], s32 offset:316 ; 4-byte Folded Spill
	v_fma_mixlo_f16 v24, v69, v125, 0 op_sel:[0,1,0] op_sel_hi:[0,1,0]
	v_fma_mixlo_f16 v104, v69, v54, 0 op_sel:[0,1,0] op_sel_hi:[0,1,0]
	v_fma_mixlo_f16 v3, v69, v3, 0 op_sel_hi:[0,1,0]
	buffer_store_dword v24, off, s[0:3], s32 offset:300 ; 4-byte Folded Spill
	v_fma_mixlo_f16 v24, v69, v115, 0 op_sel:[0,1,0] op_sel_hi:[0,1,0]
	buffer_store_dword v3, off, s[0:3], s32 offset:320 ; 4-byte Folded Spill
	v_or_b32_e32 v3, v125, v33
	buffer_store_dword v24, off, s[0:3], s32 offset:340 ; 4-byte Folded Spill
	v_fma_mixlo_f16 v3, v69, v3, 0 op_sel_hi:[0,1,0]
	buffer_store_dword v3, off, s[0:3], s32 offset:304 ; 4-byte Folded Spill
	v_or_b32_e32 v3, v27, v124
	v_fma_mixlo_f16 v124, v69, v41, 0 op_sel:[0,1,0] op_sel_hi:[0,1,0]
	v_fma_mixlo_f16 v3, v69, v3, 0 op_sel_hi:[0,1,0]
	buffer_store_dword v3, off, s[0:3], s32 offset:296 ; 4-byte Folded Spill
	v_fma_mixlo_f16 v3, v69, v27, 0 op_sel:[0,1,0] op_sel_hi:[0,1,0]
	v_fma_mixlo_f16 v27, v69, v0, 0 op_sel:[0,1,0] op_sel_hi:[0,1,0]
	buffer_store_dword v3, off, s[0:3], s32 offset:292 ; 4-byte Folded Spill
	v_or_b32_e32 v3, v115, v38
	v_fma_mixlo_f16 v38, v69, v86, 0 op_sel:[0,1,0] op_sel_hi:[0,1,0]
	v_fma_mixlo_f16 v3, v69, v3, 0 op_sel_hi:[0,1,0]
	buffer_store_dword v3, off, s[0:3], s32 offset:344 ; 4-byte Folded Spill
	v_or_b32_e32 v3, v32, v8
	v_fma_mixlo_f16 v8, v69, v32, 0 op_sel:[0,1,0] op_sel_hi:[0,1,0]
	v_fma_mixlo_f16 v32, v69, v18, 0 op_sel:[0,1,0] op_sel_hi:[0,1,0]
	v_fma_mixlo_f16 v3, v69, v3, 0 op_sel_hi:[0,1,0]
	buffer_store_dword v8, off, s[0:3], s32 offset:348 ; 4-byte Folded Spill
	v_fma_mixlo_f16 v8, v69, v118, 0 op_sel:[0,1,0] op_sel_hi:[0,1,0]
	buffer_store_dword v3, off, s[0:3], s32 offset:352 ; 4-byte Folded Spill
	v_or_b32_e32 v3, v118, v96
	buffer_store_dword v8, off, s[0:3], s32 offset:332 ; 4-byte Folded Spill
	v_fma_mixlo_f16 v8, v69, v29, 0 op_sel:[0,1,0] op_sel_hi:[0,1,0]
	v_fma_mixlo_f16 v3, v69, v3, 0 op_sel_hi:[0,1,0]
	buffer_store_dword v8, off, s[0:3], s32 offset:372 ; 4-byte Folded Spill
	v_fma_mixlo_f16 v8, v69, v95, 0 op_sel:[0,1,0] op_sel_hi:[0,1,0]
	buffer_store_dword v3, off, s[0:3], s32 offset:336 ; 4-byte Folded Spill
	v_or_b32_e32 v3, v93, v70
	v_fma_mixlo_f16 v70, v69, v103, 0 op_sel:[0,1,0] op_sel_hi:[0,1,0]
	v_and_b32_e32 v8, 0xffff, v8
	v_fma_mixlo_f16 v3, v69, v3, 0 op_sel_hi:[0,1,0]
	buffer_store_dword v3, off, s[0:3], s32 offset:328 ; 4-byte Folded Spill
	v_fma_mixlo_f16 v3, v69, v93, 0 op_sel:[0,1,0] op_sel_hi:[0,1,0]
	buffer_store_dword v3, off, s[0:3], s32 offset:324 ; 4-byte Folded Spill
	v_or_b32_e32 v3, v29, v12
	v_fma_mixlo_f16 v29, v69, v89, 0 op_sel:[0,1,0] op_sel_hi:[0,1,0]
	v_fma_mixlo_f16 v12, v69, v11, 0 op_sel:[0,1,0] op_sel_hi:[0,1,0]
	v_fma_mixlo_f16 v3, v69, v3, 0 op_sel_hi:[0,1,0]
	buffer_store_dword v3, off, s[0:3], s32 offset:376 ; 4-byte Folded Spill
	v_or_b32_e32 v3, v10, v6
	v_fma_mixlo_f16 v6, v69, v64, 0 op_sel:[0,1,0] op_sel_hi:[0,1,0]
	v_fma_mixlo_f16 v108, v69, v3, 0 op_sel_hi:[0,1,0]
	v_or_b32_e32 v3, v64, v39
	buffer_store_dword v6, off, s[0:3], s32 offset:364 ; 4-byte Folded Spill
	v_fma_mixlo_f16 v6, v69, v49, 0 op_sel:[0,1,0] op_sel_hi:[0,1,0]
	v_fma_mixlo_f16 v64, v69, v21, 0 op_sel:[0,1,0] op_sel_hi:[0,1,0]
	v_fma_mixlo_f16 v3, v69, v3, 0 op_sel_hi:[0,1,0]
	buffer_store_dword v6, off, s[0:3], s32 offset:384 ; 4-byte Folded Spill
	v_fma_mixlo_f16 v6, v69, v44, 0 op_sel:[0,1,0] op_sel_hi:[0,1,0]
	buffer_store_dword v3, off, s[0:3], s32 offset:368 ; 4-byte Folded Spill
	v_or_b32_e32 v3, v65, v50
	v_fma_mixlo_f16 v3, v69, v3, 0 op_sel_hi:[0,1,0]
	buffer_store_dword v3, off, s[0:3], s32 offset:360 ; 4-byte Folded Spill
	v_fma_mixlo_f16 v3, v69, v65, 0 op_sel:[0,1,0] op_sel_hi:[0,1,0]
	buffer_store_dword v3, off, s[0:3], s32 offset:356 ; 4-byte Folded Spill
	v_or_b32_e32 v3, v21, v20
	v_fma_mixlo_f16 v20, v69, v109, 0 op_sel:[0,1,0] op_sel_hi:[0,1,0]
	v_fma_mixlo_f16 v50, v69, v3, 0 op_sel_hi:[0,1,0]
	v_or_b32_e32 v3, v18, v14
	v_fma_mixlo_f16 v14, v69, v9, 0 op_sel:[0,1,0] op_sel_hi:[0,1,0]
	v_fma_mixlo_f16 v65, v69, v3, 0 op_sel_hi:[0,1,0]
	v_or_b32_e32 v3, v49, v26
	v_fma_mixlo_f16 v49, v69, v113, 0 op_sel:[0,1,0] op_sel_hi:[0,1,0]
	v_fma_mixlo_f16 v26, v69, v82, 0 op_sel:[0,1,0] op_sel_hi:[0,1,0]
	v_fma_mixlo_f16 v3, v69, v3, 0 op_sel_hi:[0,1,0]
	buffer_store_dword v3, off, s[0:3], s32 offset:388 ; 4-byte Folded Spill
	v_or_b32_e32 v3, v86, v83
	v_fma_mixlo_f16 v83, v69, v52, 0 op_sel:[0,1,0] op_sel_hi:[0,1,0]
	v_fma_mixlo_f16 v3, v69, v3, 0 op_sel_hi:[0,1,0]
	buffer_store_dword v3, off, s[0:3], s32 offset:380 ; 4-byte Folded Spill
	v_or_b32_e32 v3, v52, v37
	v_fma_mixlo_f16 v52, v69, v35, 0 op_sel:[0,1,0] op_sel_hi:[0,1,0]
	v_fma_mixlo_f16 v86, v69, v3, 0 op_sel_hi:[0,1,0]
	v_or_b32_e32 v3, v35, v34
	v_fma_mixlo_f16 v35, v69, v99, 0 op_sel:[0,1,0] op_sel_hi:[0,1,0]
	v_fma_mixlo_f16 v96, v69, v3, 0 op_sel_hi:[0,1,0]
	;; [unrolled: 3-line block ×3, first 2 shown]
	v_or_b32_e32 v3, v113, v112
	v_fma_mixlo_f16 v113, v69, v121, 0 op_sel:[0,1,0] op_sel_hi:[0,1,0]
	v_fma_mixlo_f16 v112, v69, v13, 0 op_sel:[0,1,0] op_sel_hi:[0,1,0]
	v_fma_mixlo_f16 v39, v69, v3, 0 op_sel_hi:[0,1,0]
	v_or_b32_e32 v3, v82, v71
	v_fma_mixlo_f16 v34, v69, v3, 0 op_sel_hi:[0,1,0]
	v_or_b32_e32 v3, v81, v67
	;; [unrolled: 2-line block ×4, first 2 shown]
	v_fma_mixlo_f16 v102, v69, v36, 0 op_sel:[0,1,0] op_sel_hi:[0,1,0]
	v_fma_mixlo_f16 v97, v69, v3, 0 op_sel_hi:[0,1,0]
	v_or_b32_e32 v3, v9, v19
	v_fma_mixlo_f16 v9, v69, v7, 0 op_sel:[0,1,0] op_sel_hi:[0,1,0]
	v_fma_mixlo_f16 v81, v69, v3, 0 op_sel_hi:[0,1,0]
	v_or_b32_e32 v3, v13, v31
	v_fma_mixlo_f16 v13, v69, v111, 0 op_sel:[0,1,0] op_sel_hi:[0,1,0]
	v_and_b32_e32 v9, 0xffff, v9
	v_fma_mixlo_f16 v90, v69, v3, 0 op_sel_hi:[0,1,0]
	v_or_b32_e32 v3, v2, v15
	v_or_b32_e32 v2, v36, v110
	v_fma_mixlo_f16 v15, v69, v122, 0 op_sel:[0,1,0] op_sel_hi:[0,1,0]
	v_and_b32_e32 v13, 0xffff, v13
	v_fma_mixlo_f16 v21, v69, v3, 0 op_sel_hi:[0,1,0]
	v_fma_mixlo_f16 v89, v69, v2, 0 op_sel_hi:[0,1,0]
	v_or_b32_e32 v2, v0, v22
	v_or_b32_e32 v0, v121, v80
	v_and_b32_e32 v15, 0xffff, v15
	v_fma_mixlo_f16 v82, v69, v2, 0 op_sel_hi:[0,1,0]
	v_fma_mixlo_f16 v115, v69, v0, 0 op_sel_hi:[0,1,0]
	v_or_b32_e32 v0, v7, v1
	v_fma_mixlo_f16 v7, v69, v126, 0 op_sel:[0,1,0] op_sel_hi:[0,1,0]
	v_fma_mixlo_f16 v36, v69, v0, 0 op_sel_hi:[0,1,0]
	v_or_b32_e32 v0, v11, v48
	v_and_b32_e32 v7, 0xffff, v7
	v_fma_mixlo_f16 v121, v69, v0, 0 op_sel_hi:[0,1,0]
	v_or_b32_e32 v0, v92, v78
	v_fma_mixlo_f16 v92, v69, v92, 0 op_sel:[0,1,0] op_sel_hi:[0,1,0]
	v_fma_mixlo_f16 v93, v69, v0, 0 op_sel_hi:[0,1,0]
	v_or_b32_e32 v0, v54, v68
	v_fma_mixlo_f16 v118, v69, v0, 0 op_sel_hi:[0,1,0]
	v_or_b32_e32 v0, v95, v79
	v_fma_mixlo_f16 v95, v69, v63, 0 op_sel:[0,1,0] op_sel_hi:[0,1,0]
	v_fma_mixlo_f16 v18, v69, v0, 0 op_sel_hi:[0,1,0]
	v_or_b32_e32 v0, v109, v94
	v_and_b32_e32 v18, 0xffff, v18
	v_fma_mixlo_f16 v24, v69, v0, 0 op_sel_hi:[0,1,0]
	v_or_b32_e32 v0, v74, v72
	v_fma_mixlo_f16 v72, v69, v76, 0 op_sel:[0,1,0] op_sel_hi:[0,1,0]
	v_fma_mixlo_f16 v74, v69, v74, 0 op_sel:[0,1,0] op_sel_hi:[0,1,0]
	v_fma_mixlo_f16 v94, v69, v0, 0 op_sel_hi:[0,1,0]
	v_or_b32_e32 v0, v63, v62
	v_fma_mixlo_f16 v62, v69, v77, 0 op_sel:[0,1,0] op_sel_hi:[0,1,0]
	v_fma_mixlo_f16 v109, v69, v0, 0 op_sel_hi:[0,1,0]
	v_or_b32_e32 v0, v76, v73
	;; [unrolled: 3-line block ×3, first 2 shown]
	v_fma_mixlo_f16 v63, v69, v0, 0 op_sel_hi:[0,1,0]
	v_or_b32_e32 v0, v58, v56
	v_fma_mixlo_f16 v56, v69, v60, 0 op_sel:[0,1,0] op_sel_hi:[0,1,0]
	v_fma_mixlo_f16 v58, v69, v58, 0 op_sel:[0,1,0] op_sel_hi:[0,1,0]
	v_fma_mixlo_f16 v75, v69, v0, 0 op_sel_hi:[0,1,0]
	v_or_b32_e32 v0, v47, v46
	v_fma_mixlo_f16 v46, v69, v61, 0 op_sel:[0,1,0] op_sel_hi:[0,1,0]
	v_fma_mixlo_f16 v77, v69, v0, 0 op_sel_hi:[0,1,0]
	v_or_b32_e32 v0, v60, v57
	v_fma_mixlo_f16 v57, v69, v0, 0 op_sel_hi:[0,1,0]
	v_or_b32_e32 v0, v61, v59
	v_fma_mixlo_f16 v59, v69, v42, 0 op_sel:[0,1,0] op_sel_hi:[0,1,0]
	v_fma_mixlo_f16 v61, v69, v119, 0 op_sel:[0,1,0] op_sel_hi:[0,1,0]
	v_fma_mixlo_f16 v47, v69, v0, 0 op_sel_hi:[0,1,0]
	v_or_b32_e32 v0, v42, v123
	v_fma_mixlo_f16 v123, v69, v127, 0 op_sel:[0,1,0] op_sel_hi:[0,1,0]
	v_fma_mixlo_f16 v60, v69, v0, 0 op_sel_hi:[0,1,0]
	v_or_b32_e32 v0, v119, v105
	v_fma_mixlo_f16 v119, v69, v45, 0 op_sel:[0,1,0] op_sel_hi:[0,1,0]
	v_fma_mixlo_f16 v105, v69, v0, 0 op_sel_hi:[0,1,0]
	buffer_load_dword v0, off, s[0:3], s32 offset:256 ; 4-byte Folded Reload
	s_waitcnt vmcnt(0)
	v_or_b32_e32 v0, v44, v0
	v_fma_mixlo_f16 v44, v69, v114, 0 op_sel:[0,1,0] op_sel_hi:[0,1,0]
	v_fma_mixlo_f16 v42, v69, v0, 0 op_sel_hi:[0,1,0]
	v_or_b32_e32 v0, v45, v43
	v_fma_mixlo_f16 v40, v69, v0, 0 op_sel_hi:[0,1,0]
	buffer_load_dword v0, off, s[0:3], s32 offset:244 ; 4-byte Folded Reload
	s_waitcnt vmcnt(0)
	v_or_b32_e32 v0, v114, v0
	v_fma_mixlo_f16 v45, v69, v0, 0 op_sel_hi:[0,1,0]
	buffer_load_dword v0, off, s[0:3], s32 offset:240 ; 4-byte Folded Reload
	s_waitcnt vmcnt(0)
	v_or_b32_e32 v0, v103, v0
	v_fma_mixlo_f16 v103, v69, v107, 0 op_sel:[0,1,0] op_sel_hi:[0,1,0]
	v_fma_mixlo_f16 v106, v69, v0, 0 op_sel_hi:[0,1,0]
	buffer_load_dword v0, off, s[0:3], s32 offset:248 ; 4-byte Folded Reload
	s_waitcnt vmcnt(0)
	v_or_b32_e32 v0, v116, v0
	v_fma_mixlo_f16 v116, v69, v116, 0 op_sel:[0,1,0] op_sel_hi:[0,1,0]
	v_fma_mixlo_f16 v43, v69, v0, 0 op_sel_hi:[0,1,0]
	buffer_load_dword v0, off, s[0:3], s32 offset:252 ; 4-byte Folded Reload
	s_waitcnt vmcnt(0)
	v_or_b32_e32 v0, v107, v0
	v_fma_mixlo_f16 v114, v69, v0, 0 op_sel_hi:[0,1,0]
	buffer_load_dword v0, off, s[0:3], s32 offset:228 ; 4-byte Folded Reload
	s_waitcnt vmcnt(0)
	v_or_b32_e32 v0, v126, v0
	v_fma_mixlo_f16 v126, v69, v66, 0 op_sel:[0,1,0] op_sel_hi:[0,1,0]
	v_fma_mixlo_f16 v11, v69, v0, 0 op_sel_hi:[0,1,0]
	buffer_load_dword v0, off, s[0:3], s32 offset:224 ; 4-byte Folded Reload
	v_and_b32_e32 v11, 0xffff, v11
	s_waitcnt vmcnt(0)
	v_or_b32_e32 v0, v127, v0
	v_fma_mixlo_f16 v68, v69, v0, 0 op_sel_hi:[0,1,0]
	buffer_load_dword v0, off, s[0:3], s32 offset:232 ; 4-byte Folded Reload
	s_waitcnt vmcnt(0)
	v_or_b32_e32 v0, v111, v0
	v_fma_mixlo_f16 v31, v69, v0, 0 op_sel_hi:[0,1,0]
	buffer_load_dword v0, off, s[0:3], s32 offset:236 ; 4-byte Folded Reload
	;; [unrolled: 4-line block ×3, first 2 shown]
	s_waitcnt vmcnt(0)
	v_or_b32_e32 v0, v41, v0
	v_fma_mixlo_f16 v125, v69, v0, 0 op_sel_hi:[0,1,0]
	v_or_b32_e32 v0, v66, v53
	v_fma_mixlo_f16 v127, v69, v0, 0 op_sel_hi:[0,1,0]
	s_clause 0x1
	buffer_load_dword v0, off, s[0:3], s32 offset:216
	buffer_load_dword v1, off, s[0:3], s32 offset:220
	s_waitcnt vmcnt(0)
	v_or_b32_e32 v0, v1, v0
	v_fma_mixlo_f16 v111, v69, v1, 0 op_sel:[0,1,0] op_sel_hi:[0,1,0]
	v_fma_mixlo_f16 v122, v69, v0, 0 op_sel_hi:[0,1,0]
	s_clause 0x1
	buffer_load_dword v0, off, s[0:3], s32 offset:212
	buffer_load_dword v1, off, s[0:3], s32 offset:260
	s_load_dword s20, s[8:9], 0x0
	buffer_load_dword v2, off, s[0:3], s32 offset:396 ; 4-byte Folded Reload
	s_waitcnt vmcnt(1)
	v_or_b32_e32 v0, v1, v0
	v_fma_mixlo_f16 v107, v69, v1, 0 op_sel:[0,1,0] op_sel_hi:[0,1,0]
	buffer_load_dword v1, off, s[0:3], s32 offset:420 ; 4-byte Folded Reload
	v_fma_mixlo_f16 v33, v69, v0, 0 op_sel_hi:[0,1,0]
	buffer_load_dword v0, off, s[0:3], s32 offset:392 ; 4-byte Folded Reload
	s_waitcnt vmcnt(1)
	v_add_nc_u32_e32 v1, v1, v5
	s_waitcnt vmcnt(0)
	v_add_nc_u32_e32 v0, v0, v5
	v_cvt_f32_i32_e32 v1, v1
	v_cmp_lt_i32_e64 s5, v0, v30
	v_or_b32_e32 v0, v100, v87
	v_mul_f32_e32 v1, v2, v1
	v_fma_mixlo_f16 v2, v69, v100, 0 op_sel:[0,1,0] op_sel_hi:[0,1,0]
	v_fma_mixlo_f16 v87, v69, v85, 0 op_sel:[0,1,0] op_sel_hi:[0,1,0]
	v_fma_mixlo_f16 v100, v69, v0, 0 op_sel_hi:[0,1,0]
	v_or_b32_e32 v0, v85, v84
	buffer_store_dword v2, off, s[0:3], s32 offset:212 ; 4-byte Folded Spill
	v_cndmask_b32_e32 v10, 0, v1, vcc_lo
	v_fma_mixlo_f16 v85, v69, v117, 0 op_sel:[0,1,0] op_sel_hi:[0,1,0]
	v_fma_mixlo_f16 v84, v69, v0, 0 op_sel_hi:[0,1,0]
	v_or_b32_e32 v0, v117, v98
	v_fma_mixlo_f16 v98, v69, v0, 0 op_sel_hi:[0,1,0]
	v_or_b32_e32 v0, v23, v101
	v_fma_mixlo_f16 v101, v69, v0, 0 op_sel_hi:[0,1,0]
	s_waitcnt lgkmcnt(0)
	v_add_nc_u32_e32 v0, s20, v51
	v_fma_mixlo_f16 v69, v69, v23, 0 op_sel:[0,1,0] op_sel_hi:[0,1,0]
	buffer_store_dword v0, off, s[0:3], s32 offset:208 ; 4-byte Folded Spill
	ds_read_b128 v[0:3], v4
	s_waitcnt lgkmcnt(0)
	v_lshrrev_b32_e32 v22, 16, v0
	v_and_b32_e32 v0, 0xffff, v0
	;;#ASMSTART
	v_cvt_f32_f16 v19, v0;
	;;#ASMEND
	v_and_b32_e32 v0, 0xffff, v127
	;;#ASMSTART
	v_cvt_f32_f16 v22, v22;
	;;#ASMEND
	;;#ASMSTART
	v_cvt_f32_f16 v66, v0;
	;;#ASMEND
	v_and_b32_e32 v0, 0xffff, v126
	;;#ASMSTART
	v_cvt_f32_f16 v53, v0;
	;;#ASMEND
	v_lshrrev_b32_e32 v0, 16, v1
	v_and_b32_e32 v1, 0xffff, v1
	;;#ASMSTART
	v_cvt_f32_f16 v80, v1;
	;;#ASMEND
	;;#ASMSTART
	v_cvt_f32_f16 v54, v0;
	;;#ASMEND
	v_and_b32_e32 v0, 0xffff, v125
	;;#ASMSTART
	v_cvt_f32_f16 v110, v0;
	;;#ASMEND
	v_and_b32_e32 v0, 0xffff, v124
	;;#ASMSTART
	v_cvt_f32_f16 v23, v0;
	;;#ASMEND
	v_lshrrev_b32_e32 v0, 16, v2
	v_and_b32_e32 v1, 0xffff, v2
	;;#ASMSTART
	v_cvt_f32_f16 v67, v1;
	;;#ASMEND
	;;#ASMSTART
	v_cvt_f32_f16 v2, v0;
	;;#ASMEND
	v_and_b32_e32 v0, 0xffff, v122
	;; [unrolled: 16-line block ×3, first 2 shown]
	;;#ASMSTART
	v_cvt_f32_f16 v33, v0;
	;;#ASMEND
	v_and_b32_e32 v0, 0xffff, v107
	;;#ASMSTART
	v_cvt_f32_f16 v117, v0;
	;;#ASMEND
	ds_read_b128 v[124:127], v4 offset:16
	v_and_b32_e32 v3, 0xffff, v68
	v_and_b32_e32 v68, 0xffff, v123
	s_waitcnt lgkmcnt(0)
	v_and_b32_e32 v0, 0xffff, v124
	v_lshrrev_b32_e32 v1, 16, v124
	;;#ASMSTART
	v_cvt_f32_f16 v0, v0;
	;;#ASMEND
	;;#ASMSTART
	v_cvt_f32_f16 v1, v1;
	;;#ASMEND
	;;#ASMSTART
	v_cvt_f32_f16 v3, v3;
	;;#ASMEND
	v_mul_f32_e32 v0, v0, v3
	v_and_b32_e32 v3, 0xffff, v125
	;;#ASMSTART
	v_cvt_f32_f16 v68, v68;
	;;#ASMEND
	v_mul_f32_e32 v1, v1, v68
	;;#ASMSTART
	v_cvt_f32_f16 v3, v3;
	;;#ASMEND
	v_fmac_f32_e32 v0, v19, v66
	v_lshrrev_b32_e32 v19, 16, v125
	;;#ASMSTART
	v_cvt_f32_f16 v19, v19;
	;;#ASMEND
	;;#ASMSTART
	v_cvt_f32_f16 v11, v11;
	;;#ASMEND
	;; [unrolled: 3-line block ×3, first 2 shown]
	v_mul_f32_e32 v7, v19, v7
	v_fmac_f32_e32 v1, v22, v53
	v_mul_f32_e32 v11, v3, v11
	v_lshrrev_b32_e32 v19, 16, v126
	v_and_b32_e32 v3, 0xffff, v126
	v_and_b32_e32 v22, 0xffff, v31
	v_fmac_f32_e32 v7, v54, v23
	;;#ASMSTART
	v_cvt_f32_f16 v3, v3;
	;;#ASMEND
	;;#ASMSTART
	v_cvt_f32_f16 v19, v19;
	;;#ASMEND
	;; [unrolled: 3-line block ×4, first 2 shown]
	v_mul_f32_e32 v31, v19, v23
	v_mul_f32_e32 v13, v3, v22
	v_lshrrev_b32_e32 v3, 16, v127
	v_and_b32_e32 v19, 0xffff, v48
	v_fmac_f32_e32 v11, v80, v110
	v_fmac_f32_e32 v31, v2, v79
	v_and_b32_e32 v2, 0xffff, v127
	;;#ASMSTART
	v_cvt_f32_f16 v2, v2;
	;;#ASMEND
	;;#ASMSTART
	v_cvt_f32_f16 v3, v3;
	;;#ASMEND
	;; [unrolled: 3-line block ×3, first 2 shown]
	v_mul_f32_e32 v48, v2, v19
	;;#ASMSTART
	v_cvt_f32_f16 v15, v15;
	;;#ASMEND
	v_mul_f32_e32 v15, v3, v15
	v_and_b32_e32 v19, 0xffff, v106
	v_and_b32_e32 v22, 0xffff, v70
	v_fmac_f32_e32 v48, v122, v33
	ds_read_b128 v[122:125], v4 offset:32
	v_fmac_f32_e32 v13, v67, v78
	v_fmac_f32_e32 v15, v111, v117
	s_waitcnt lgkmcnt(0)
	v_lshrrev_b32_e32 v3, 16, v122
	v_and_b32_e32 v2, 0xffff, v122
	;;#ASMSTART
	v_cvt_f32_f16 v2, v2;
	;;#ASMEND
	;;#ASMSTART
	v_cvt_f32_f16 v3, v3;
	;;#ASMEND
	;;#ASMSTART
	v_cvt_f32_f16 v19, v19;
	;;#ASMEND
	;;#ASMSTART
	v_cvt_f32_f16 v22, v22;
	;;#ASMEND
	v_fmac_f32_e32 v0, v2, v19
	v_fmac_f32_e32 v1, v3, v22
	v_lshrrev_b32_e32 v3, 16, v123
	v_and_b32_e32 v2, 0xffff, v123
	v_and_b32_e32 v19, 0xffff, v45
	v_and_b32_e32 v22, 0xffff, v44
	;;#ASMSTART
	v_cvt_f32_f16 v2, v2;
	;;#ASMEND
	;;#ASMSTART
	v_cvt_f32_f16 v3, v3;
	;;#ASMEND
	;;#ASMSTART
	v_cvt_f32_f16 v19, v19;
	;;#ASMEND
	;;#ASMSTART
	v_cvt_f32_f16 v22, v22;
	;;#ASMEND
	v_fmac_f32_e32 v11, v2, v19
	v_fmac_f32_e32 v7, v3, v22
	v_lshrrev_b32_e32 v3, 16, v124
	v_and_b32_e32 v2, 0xffff, v124
	v_and_b32_e32 v19, 0xffff, v43
	;; [unrolled: 18-line block ×3, first 2 shown]
	v_and_b32_e32 v22, 0xffff, v103
	;;#ASMSTART
	v_cvt_f32_f16 v2, v2;
	;;#ASMEND
	;;#ASMSTART
	v_cvt_f32_f16 v3, v3;
	;;#ASMEND
	;; [unrolled: 3-line block ×4, first 2 shown]
	ds_read_b128 v[122:125], v4 offset:48
	v_fmac_f32_e32 v48, v2, v19
	v_fmac_f32_e32 v15, v3, v22
	v_and_b32_e32 v19, 0xffff, v105
	v_and_b32_e32 v22, 0xffff, v61
	s_waitcnt lgkmcnt(0)
	v_lshrrev_b32_e32 v3, 16, v122
	v_and_b32_e32 v2, 0xffff, v122
	;;#ASMSTART
	v_cvt_f32_f16 v2, v2;
	;;#ASMEND
	;;#ASMSTART
	v_cvt_f32_f16 v3, v3;
	;;#ASMEND
	;;#ASMSTART
	v_cvt_f32_f16 v19, v19;
	;;#ASMEND
	;;#ASMSTART
	v_cvt_f32_f16 v22, v22;
	;;#ASMEND
	v_fmac_f32_e32 v0, v2, v19
	v_fmac_f32_e32 v1, v3, v22
	v_lshrrev_b32_e32 v3, 16, v123
	v_and_b32_e32 v2, 0xffff, v123
	v_and_b32_e32 v19, 0xffff, v60
	v_and_b32_e32 v22, 0xffff, v59
	;;#ASMSTART
	v_cvt_f32_f16 v2, v2;
	;;#ASMEND
	;;#ASMSTART
	v_cvt_f32_f16 v3, v3;
	;;#ASMEND
	;;#ASMSTART
	v_cvt_f32_f16 v19, v19;
	;;#ASMEND
	;;#ASMSTART
	v_cvt_f32_f16 v22, v22;
	;;#ASMEND
	v_fmac_f32_e32 v11, v2, v19
	v_fmac_f32_e32 v7, v3, v22
	v_lshrrev_b32_e32 v3, 16, v124
	v_and_b32_e32 v2, 0xffff, v124
	v_and_b32_e32 v19, 0xffff, v42
	;; [unrolled: 18-line block ×3, first 2 shown]
	v_and_b32_e32 v22, 0xffff, v119
	;;#ASMSTART
	v_cvt_f32_f16 v2, v2;
	;;#ASMEND
	;;#ASMSTART
	v_cvt_f32_f16 v3, v3;
	;;#ASMEND
	;;#ASMSTART
	v_cvt_f32_f16 v19, v19;
	;;#ASMEND
	;;#ASMSTART
	v_cvt_f32_f16 v22, v22;
	;;#ASMEND
	ds_read_b128 v[40:43], v4 offset:64
	v_fmac_f32_e32 v48, v2, v19
	v_fmac_f32_e32 v15, v3, v22
	v_and_b32_e32 v19, 0xffff, v77
	v_and_b32_e32 v22, 0xffff, v76
	s_waitcnt lgkmcnt(0)
	v_lshrrev_b32_e32 v3, 16, v40
	v_and_b32_e32 v2, 0xffff, v40
	;;#ASMSTART
	v_cvt_f32_f16 v2, v2;
	;;#ASMEND
	;;#ASMSTART
	v_cvt_f32_f16 v3, v3;
	;;#ASMEND
	;;#ASMSTART
	v_cvt_f32_f16 v19, v19;
	;;#ASMEND
	;;#ASMSTART
	v_cvt_f32_f16 v22, v22;
	;;#ASMEND
	v_fmac_f32_e32 v0, v2, v19
	v_fmac_f32_e32 v1, v3, v22
	v_lshrrev_b32_e32 v3, 16, v41
	v_and_b32_e32 v2, 0xffff, v41
	v_and_b32_e32 v19, 0xffff, v75
	v_and_b32_e32 v22, 0xffff, v58
	;;#ASMSTART
	v_cvt_f32_f16 v2, v2;
	;;#ASMEND
	;;#ASMSTART
	v_cvt_f32_f16 v3, v3;
	;;#ASMEND
	;;#ASMSTART
	v_cvt_f32_f16 v19, v19;
	;;#ASMEND
	;;#ASMSTART
	v_cvt_f32_f16 v22, v22;
	;;#ASMEND
	v_fmac_f32_e32 v11, v2, v19
	v_fmac_f32_e32 v7, v3, v22
	v_lshrrev_b32_e32 v3, 16, v42
	v_and_b32_e32 v2, 0xffff, v42
	v_and_b32_e32 v19, 0xffff, v57
	;; [unrolled: 18-line block ×3, first 2 shown]
	v_and_b32_e32 v22, 0xffff, v46
	;;#ASMSTART
	v_cvt_f32_f16 v2, v2;
	;;#ASMEND
	;;#ASMSTART
	v_cvt_f32_f16 v3, v3;
	;;#ASMEND
	;;#ASMSTART
	v_cvt_f32_f16 v19, v19;
	;;#ASMEND
	;;#ASMSTART
	v_cvt_f32_f16 v22, v22;
	;;#ASMEND
	ds_read_b128 v[40:43], v4 offset:80
	v_fmac_f32_e32 v48, v2, v19
	v_fmac_f32_e32 v15, v3, v22
	v_and_b32_e32 v19, 0xffff, v109
	v_and_b32_e32 v22, 0xffff, v95
	s_waitcnt lgkmcnt(0)
	v_lshrrev_b32_e32 v3, 16, v40
	v_and_b32_e32 v2, 0xffff, v40
	;;#ASMSTART
	v_cvt_f32_f16 v2, v2;
	;;#ASMEND
	;;#ASMSTART
	v_cvt_f32_f16 v3, v3;
	;;#ASMEND
	;;#ASMSTART
	v_cvt_f32_f16 v19, v19;
	;;#ASMEND
	;;#ASMSTART
	v_cvt_f32_f16 v22, v22;
	;;#ASMEND
	v_fmac_f32_e32 v0, v2, v19
	v_fmac_f32_e32 v1, v3, v22
	v_lshrrev_b32_e32 v3, 16, v41
	v_and_b32_e32 v2, 0xffff, v41
	v_and_b32_e32 v19, 0xffff, v94
	v_and_b32_e32 v22, 0xffff, v74
	;;#ASMSTART
	v_cvt_f32_f16 v2, v2;
	;;#ASMEND
	;;#ASMSTART
	v_cvt_f32_f16 v3, v3;
	;;#ASMEND
	;;#ASMSTART
	v_cvt_f32_f16 v19, v19;
	;;#ASMEND
	;;#ASMSTART
	v_cvt_f32_f16 v22, v22;
	;;#ASMEND
	v_fmac_f32_e32 v11, v2, v19
	v_fmac_f32_e32 v7, v3, v22
	v_lshrrev_b32_e32 v3, 16, v42
	v_and_b32_e32 v2, 0xffff, v42
	v_and_b32_e32 v19, 0xffff, v73
	;; [unrolled: 18-line block ×3, first 2 shown]
	v_and_b32_e32 v22, 0xffff, v62
	;;#ASMSTART
	v_cvt_f32_f16 v2, v2;
	;;#ASMEND
	;;#ASMSTART
	v_cvt_f32_f16 v3, v3;
	;;#ASMEND
	;;#ASMSTART
	v_cvt_f32_f16 v19, v19;
	;;#ASMEND
	;;#ASMSTART
	v_cvt_f32_f16 v22, v22;
	;;#ASMEND
	ds_read_b128 v[40:43], v4 offset:96
	v_fmac_f32_e32 v48, v2, v19
	v_fmac_f32_e32 v15, v3, v22
	v_and_b32_e32 v19, 0xffff, v118
	v_and_b32_e32 v22, 0xffff, v104
	s_waitcnt lgkmcnt(0)
	v_lshrrev_b32_e32 v3, 16, v40
	v_and_b32_e32 v2, 0xffff, v40
	;;#ASMSTART
	v_cvt_f32_f16 v2, v2;
	;;#ASMEND
	;;#ASMSTART
	v_cvt_f32_f16 v3, v3;
	;;#ASMEND
	;; [unrolled: 3-line block ×4, first 2 shown]
	v_fmac_f32_e32 v0, v2, v19
	v_fmac_f32_e32 v1, v3, v22
	v_lshrrev_b32_e32 v3, 16, v41
	v_and_b32_e32 v2, 0xffff, v41
	;;#ASMSTART
	v_cvt_f32_f16 v2, v2;
	;;#ASMEND
	;;#ASMSTART
	v_cvt_f32_f16 v3, v3;
	;;#ASMEND
	v_and_b32_e32 v19, 0xffff, v93
	v_and_b32_e32 v22, 0xffff, v92
	;;#ASMSTART
	v_cvt_f32_f16 v19, v19;
	;;#ASMEND
	;;#ASMSTART
	v_cvt_f32_f16 v22, v22;
	;;#ASMEND
	v_fmac_f32_e32 v11, v2, v19
	v_fmac_f32_e32 v7, v3, v22
	v_lshrrev_b32_e32 v3, 16, v42
	v_and_b32_e32 v2, 0xffff, v42
	;;#ASMSTART
	v_cvt_f32_f16 v2, v2;
	;;#ASMEND
	;;#ASMSTART
	v_cvt_f32_f16 v3, v3;
	;;#ASMEND
	;; [unrolled: 3-line block ×4, first 2 shown]
	v_fmac_f32_e32 v13, v2, v18
	v_fmac_f32_e32 v31, v3, v8
	v_lshrrev_b32_e32 v3, 16, v43
	v_and_b32_e32 v2, 0xffff, v43
	v_and_b32_e32 v8, 0xffff, v24
	;; [unrolled: 1-line block ×3, first 2 shown]
	;;#ASMSTART
	v_cvt_f32_f16 v2, v2;
	;;#ASMEND
	;;#ASMSTART
	v_cvt_f32_f16 v3, v3;
	;;#ASMEND
	;; [unrolled: 3-line block ×4, first 2 shown]
	ds_read_b128 v[116:119], v4 offset:112
	v_fmac_f32_e32 v48, v2, v8
	v_fmac_f32_e32 v15, v3, v18
	v_and_b32_e32 v8, 0xffff, v115
	v_and_b32_e32 v18, 0xffff, v113
	s_waitcnt lgkmcnt(0)
	v_lshrrev_b32_e32 v3, 16, v116
	v_and_b32_e32 v2, 0xffff, v116
	;;#ASMSTART
	v_cvt_f32_f16 v2, v2;
	;;#ASMEND
	;;#ASMSTART
	v_cvt_f32_f16 v3, v3;
	;;#ASMEND
	;; [unrolled: 3-line block ×4, first 2 shown]
	v_fmac_f32_e32 v0, v2, v8
	v_fmac_f32_e32 v1, v3, v18
	v_lshrrev_b32_e32 v3, 16, v117
	v_and_b32_e32 v2, 0xffff, v117
	v_and_b32_e32 v8, 0xffff, v82
	;;#ASMSTART
	v_cvt_f32_f16 v2, v2;
	;;#ASMEND
	;;#ASMSTART
	v_cvt_f32_f16 v3, v3;
	;;#ASMEND
	;; [unrolled: 3-line block ×3, first 2 shown]
	v_and_b32_e32 v18, 0xffff, v27
	;;#ASMSTART
	v_cvt_f32_f16 v18, v18;
	;;#ASMEND
	v_fmac_f32_e32 v11, v2, v8
	v_fmac_f32_e32 v7, v3, v18
	v_lshrrev_b32_e32 v3, 16, v118
	v_and_b32_e32 v2, 0xffff, v118
	v_and_b32_e32 v8, 0xffff, v36
	;;#ASMSTART
	v_cvt_f32_f16 v2, v2;
	;;#ASMEND
	;;#ASMSTART
	v_cvt_f32_f16 v3, v3;
	;;#ASMEND
	;; [unrolled: 3-line block ×4, first 2 shown]
	v_fmac_f32_e32 v13, v2, v8
	v_fmac_f32_e32 v31, v3, v9
	v_lshrrev_b32_e32 v3, 16, v119
	v_and_b32_e32 v2, 0xffff, v119
	v_and_b32_e32 v8, 0xffff, v121
	;; [unrolled: 1-line block ×3, first 2 shown]
	;;#ASMSTART
	v_cvt_f32_f16 v2, v2;
	;;#ASMEND
	;;#ASMSTART
	v_cvt_f32_f16 v3, v3;
	;;#ASMEND
	;; [unrolled: 3-line block ×4, first 2 shown]
	ds_read_b128 v[113:116], v4 offset:128
	v_fmac_f32_e32 v48, v2, v8
	v_fmac_f32_e32 v15, v3, v9
	v_and_b32_e32 v8, 0xffff, v90
	v_and_b32_e32 v9, 0xffff, v112
	s_waitcnt lgkmcnt(0)
	v_lshrrev_b32_e32 v3, 16, v113
	v_and_b32_e32 v2, 0xffff, v113
	;;#ASMSTART
	v_cvt_f32_f16 v2, v2;
	;;#ASMEND
	;;#ASMSTART
	v_cvt_f32_f16 v3, v3;
	;;#ASMEND
	;;#ASMSTART
	v_cvt_f32_f16 v8, v8;
	;;#ASMEND
	;;#ASMSTART
	v_cvt_f32_f16 v9, v9;
	;;#ASMEND
	v_fmac_f32_e32 v0, v2, v8
	v_fmac_f32_e32 v1, v3, v9
	v_lshrrev_b32_e32 v3, 16, v114
	v_and_b32_e32 v2, 0xffff, v114
	v_and_b32_e32 v8, 0xffff, v81
	v_and_b32_e32 v9, 0xffff, v14
	;;#ASMSTART
	v_cvt_f32_f16 v2, v2;
	;;#ASMEND
	;;#ASMSTART
	v_cvt_f32_f16 v3, v3;
	;;#ASMEND
	;;#ASMSTART
	v_cvt_f32_f16 v8, v8;
	;;#ASMEND
	;;#ASMSTART
	v_cvt_f32_f16 v9, v9;
	;;#ASMEND
	v_fmac_f32_e32 v11, v2, v8
	v_fmac_f32_e32 v7, v3, v9
	v_lshrrev_b32_e32 v3, 16, v115
	v_and_b32_e32 v2, 0xffff, v115
	v_and_b32_e32 v8, 0xffff, v21
	;; [unrolled: 18-line block ×3, first 2 shown]
	v_and_b32_e32 v9, 0xffff, v102
	;;#ASMSTART
	v_cvt_f32_f16 v2, v2;
	;;#ASMEND
	;;#ASMSTART
	v_cvt_f32_f16 v3, v3;
	;;#ASMEND
	;; [unrolled: 3-line block ×4, first 2 shown]
	ds_read_b128 v[22:25], v4 offset:144
	v_fmac_f32_e32 v48, v2, v8
	v_fmac_f32_e32 v15, v3, v9
	v_and_b32_e32 v8, 0xffff, v71
	v_and_b32_e32 v9, 0xffff, v28
	s_waitcnt lgkmcnt(0)
	v_lshrrev_b32_e32 v3, 16, v22
	v_and_b32_e32 v2, 0xffff, v22
	;;#ASMSTART
	v_cvt_f32_f16 v2, v2;
	;;#ASMEND
	;;#ASMSTART
	v_cvt_f32_f16 v3, v3;
	;;#ASMEND
	;;#ASMSTART
	v_cvt_f32_f16 v8, v8;
	;;#ASMEND
	;;#ASMSTART
	v_cvt_f32_f16 v9, v9;
	;;#ASMEND
	v_fmac_f32_e32 v0, v2, v8
	v_fmac_f32_e32 v1, v3, v9
	v_lshrrev_b32_e32 v3, 16, v23
	v_and_b32_e32 v2, 0xffff, v23
	v_and_b32_e32 v8, 0xffff, v34
	v_and_b32_e32 v9, 0xffff, v26
	;;#ASMSTART
	v_cvt_f32_f16 v2, v2;
	;;#ASMEND
	;;#ASMSTART
	v_cvt_f32_f16 v3, v3;
	;;#ASMEND
	;;#ASMSTART
	v_cvt_f32_f16 v8, v8;
	;;#ASMEND
	;;#ASMSTART
	v_cvt_f32_f16 v9, v9;
	;;#ASMEND
	v_fmac_f32_e32 v11, v2, v8
	v_fmac_f32_e32 v7, v3, v9
	v_lshrrev_b32_e32 v3, 16, v24
	v_and_b32_e32 v2, 0xffff, v24
	v_and_b32_e32 v8, 0xffff, v99
	;; [unrolled: 18-line block ×3, first 2 shown]
	v_and_b32_e32 v9, 0xffff, v29
	;;#ASMSTART
	v_cvt_f32_f16 v2, v2;
	;;#ASMEND
	;;#ASMSTART
	v_cvt_f32_f16 v3, v3;
	;;#ASMEND
	;; [unrolled: 3-line block ×4, first 2 shown]
	ds_read_b128 v[18:21], v4 offset:160
	v_fmac_f32_e32 v48, v2, v8
	v_fmac_f32_e32 v15, v3, v9
	v_and_b32_e32 v8, 0xffff, v96
	v_and_b32_e32 v9, 0xffff, v52
	s_waitcnt lgkmcnt(0)
	v_lshrrev_b32_e32 v3, 16, v18
	v_and_b32_e32 v2, 0xffff, v18
	;;#ASMSTART
	v_cvt_f32_f16 v2, v2;
	;;#ASMEND
	;;#ASMSTART
	v_cvt_f32_f16 v3, v3;
	;;#ASMEND
	;;#ASMSTART
	v_cvt_f32_f16 v8, v8;
	;;#ASMEND
	;;#ASMSTART
	v_cvt_f32_f16 v9, v9;
	;;#ASMEND
	v_fmac_f32_e32 v0, v2, v8
	v_fmac_f32_e32 v1, v3, v9
	v_lshrrev_b32_e32 v3, 16, v19
	v_and_b32_e32 v2, 0xffff, v19
	v_and_b32_e32 v8, 0xffff, v86
	v_and_b32_e32 v9, 0xffff, v83
	;;#ASMSTART
	v_cvt_f32_f16 v2, v2;
	;;#ASMEND
	;;#ASMSTART
	v_cvt_f32_f16 v3, v3;
	;;#ASMEND
	;;#ASMSTART
	v_cvt_f32_f16 v8, v8;
	;;#ASMEND
	;;#ASMSTART
	v_cvt_f32_f16 v9, v9;
	;;#ASMEND
	v_fmac_f32_e32 v11, v2, v8
	v_fmac_f32_e32 v7, v3, v9
	v_lshrrev_b32_e32 v3, 16, v20
	v_and_b32_e32 v2, 0xffff, v20
	v_and_b32_e32 v8, 0xffff, v37
	;; [unrolled: 18-line block ×3, first 2 shown]
	v_and_b32_e32 v9, 0xffff, v49
	;;#ASMSTART
	v_cvt_f32_f16 v2, v2;
	;;#ASMEND
	;;#ASMSTART
	v_cvt_f32_f16 v3, v3;
	;;#ASMEND
	;; [unrolled: 3-line block ×4, first 2 shown]
	ds_read_b128 v[18:21], v4 offset:176
	v_fmac_f32_e32 v48, v2, v8
	v_fmac_f32_e32 v15, v3, v9
	v_and_b32_e32 v8, 0xffff, v65
	v_and_b32_e32 v9, 0xffff, v32
	s_waitcnt lgkmcnt(0)
	v_lshrrev_b32_e32 v3, 16, v18
	v_and_b32_e32 v2, 0xffff, v18
	;;#ASMSTART
	v_cvt_f32_f16 v2, v2;
	;;#ASMEND
	;;#ASMSTART
	v_cvt_f32_f16 v3, v3;
	;;#ASMEND
	;; [unrolled: 3-line block ×4, first 2 shown]
	v_fmac_f32_e32 v0, v2, v8
	v_fmac_f32_e32 v1, v3, v9
	v_lshrrev_b32_e32 v3, 16, v19
	v_and_b32_e32 v2, 0xffff, v19
	;;#ASMSTART
	v_cvt_f32_f16 v2, v2;
	;;#ASMEND
	;;#ASMSTART
	v_cvt_f32_f16 v3, v3;
	;;#ASMEND
	v_and_b32_e32 v8, 0xffff, v50
	v_and_b32_e32 v9, 0xffff, v64
	;;#ASMSTART
	v_cvt_f32_f16 v8, v8;
	;;#ASMEND
	;;#ASMSTART
	v_cvt_f32_f16 v9, v9;
	;;#ASMEND
	v_fmac_f32_e32 v11, v2, v8
	v_fmac_f32_e32 v7, v3, v9
	v_lshrrev_b32_e32 v3, 16, v20
	v_and_b32_e32 v2, 0xffff, v20
	;;#ASMSTART
	v_cvt_f32_f16 v2, v2;
	;;#ASMEND
	;;#ASMSTART
	v_cvt_f32_f16 v3, v3;
	;;#ASMEND
	buffer_load_dword v6, off, s[0:3], s32 offset:388 ; 4-byte Folded Reload
	s_waitcnt vmcnt(0)
	v_and_b32_e32 v8, 0xffff, v6
	;;#ASMSTART
	v_cvt_f32_f16 v8, v8;
	;;#ASMEND
	buffer_load_dword v6, off, s[0:3], s32 offset:384 ; 4-byte Folded Reload
	v_fmac_f32_e32 v13, v2, v8
	v_and_b32_e32 v2, 0xffff, v21
	s_waitcnt vmcnt(0)
	v_and_b32_e32 v9, 0xffff, v6
	;;#ASMSTART
	v_cvt_f32_f16 v9, v9;
	;;#ASMEND
	v_fmac_f32_e32 v31, v3, v9
	v_lshrrev_b32_e32 v3, 16, v21
	;;#ASMSTART
	v_cvt_f32_f16 v2, v2;
	;;#ASMEND
	;;#ASMSTART
	v_cvt_f32_f16 v3, v3;
	;;#ASMEND
	buffer_load_dword v6, off, s[0:3], s32 offset:380 ; 4-byte Folded Reload
	v_and_b32_e32 v9, 0xffff, v38
	s_waitcnt vmcnt(0)
	v_and_b32_e32 v8, 0xffff, v6
	;;#ASMSTART
	v_cvt_f32_f16 v8, v8;
	;;#ASMEND
	;;#ASMSTART
	v_cvt_f32_f16 v9, v9;
	;;#ASMEND
	ds_read_b128 v[18:21], v4 offset:192
	v_fmac_f32_e32 v48, v2, v8
	v_fmac_f32_e32 v15, v3, v9
	v_and_b32_e32 v8, 0xffff, v108
	v_and_b32_e32 v9, 0xffff, v120
	s_waitcnt lgkmcnt(0)
	v_lshrrev_b32_e32 v3, 16, v18
	v_and_b32_e32 v2, 0xffff, v18
	;;#ASMSTART
	v_cvt_f32_f16 v2, v2;
	;;#ASMEND
	;;#ASMSTART
	v_cvt_f32_f16 v3, v3;
	;;#ASMEND
	;; [unrolled: 3-line block ×4, first 2 shown]
	v_fmac_f32_e32 v0, v2, v8
	v_fmac_f32_e32 v1, v3, v9
	v_lshrrev_b32_e32 v3, 16, v19
	v_and_b32_e32 v2, 0xffff, v19
	;;#ASMSTART
	v_cvt_f32_f16 v2, v2;
	;;#ASMEND
	;;#ASMSTART
	v_cvt_f32_f16 v3, v3;
	;;#ASMEND
	buffer_load_dword v6, off, s[0:3], s32 offset:376 ; 4-byte Folded Reload
	s_waitcnt vmcnt(0)
	v_and_b32_e32 v8, 0xffff, v6
	;;#ASMSTART
	v_cvt_f32_f16 v8, v8;
	;;#ASMEND
	buffer_load_dword v6, off, s[0:3], s32 offset:372 ; 4-byte Folded Reload
	v_fmac_f32_e32 v11, v2, v8
	v_and_b32_e32 v2, 0xffff, v20
	s_waitcnt vmcnt(0)
	v_and_b32_e32 v9, 0xffff, v6
	;;#ASMSTART
	v_cvt_f32_f16 v9, v9;
	;;#ASMEND
	v_fmac_f32_e32 v7, v3, v9
	v_lshrrev_b32_e32 v3, 16, v20
	;;#ASMSTART
	v_cvt_f32_f16 v2, v2;
	;;#ASMEND
	;;#ASMSTART
	v_cvt_f32_f16 v3, v3;
	;;#ASMEND
	buffer_load_dword v6, off, s[0:3], s32 offset:368 ; 4-byte Folded Reload
	s_waitcnt vmcnt(0)
	v_and_b32_e32 v8, 0xffff, v6
	;;#ASMSTART
	v_cvt_f32_f16 v8, v8;
	;;#ASMEND
	buffer_load_dword v6, off, s[0:3], s32 offset:364 ; 4-byte Folded Reload
	v_fmac_f32_e32 v13, v2, v8
	v_and_b32_e32 v2, 0xffff, v21
	s_waitcnt vmcnt(0)
	v_and_b32_e32 v9, 0xffff, v6
	;;#ASMSTART
	v_cvt_f32_f16 v9, v9;
	;;#ASMEND
	v_fmac_f32_e32 v31, v3, v9
	v_lshrrev_b32_e32 v3, 16, v21
	;;#ASMSTART
	v_cvt_f32_f16 v2, v2;
	;;#ASMEND
	;;#ASMSTART
	v_cvt_f32_f16 v3, v3;
	;;#ASMEND
	buffer_load_dword v6, off, s[0:3], s32 offset:360 ; 4-byte Folded Reload
	s_waitcnt vmcnt(0)
	v_and_b32_e32 v8, 0xffff, v6
	;;#ASMSTART
	v_cvt_f32_f16 v8, v8;
	;;#ASMEND
	buffer_load_dword v6, off, s[0:3], s32 offset:356 ; 4-byte Folded Reload
	v_fmac_f32_e32 v48, v2, v8
	s_waitcnt vmcnt(0)
	v_and_b32_e32 v9, 0xffff, v6
	;;#ASMSTART
	v_cvt_f32_f16 v9, v9;
	;;#ASMEND
	ds_read_b128 v[18:21], v4 offset:208
	v_fmac_f32_e32 v15, v3, v9
	s_waitcnt lgkmcnt(0)
	v_lshrrev_b32_e32 v3, 16, v18
	v_and_b32_e32 v2, 0xffff, v18
	;;#ASMSTART
	v_cvt_f32_f16 v2, v2;
	;;#ASMEND
	;;#ASMSTART
	v_cvt_f32_f16 v3, v3;
	;;#ASMEND
	buffer_load_dword v6, off, s[0:3], s32 offset:352 ; 4-byte Folded Reload
	s_waitcnt vmcnt(0)
	v_and_b32_e32 v8, 0xffff, v6
	;;#ASMSTART
	v_cvt_f32_f16 v8, v8;
	;;#ASMEND
	buffer_load_dword v6, off, s[0:3], s32 offset:348 ; 4-byte Folded Reload
	v_fmac_f32_e32 v0, v2, v8
	v_and_b32_e32 v2, 0xffff, v19
	s_waitcnt vmcnt(0)
	v_and_b32_e32 v9, 0xffff, v6
	;;#ASMSTART
	v_cvt_f32_f16 v9, v9;
	;;#ASMEND
	v_fmac_f32_e32 v1, v3, v9
	v_lshrrev_b32_e32 v3, 16, v19
	;;#ASMSTART
	v_cvt_f32_f16 v2, v2;
	;;#ASMEND
	;;#ASMSTART
	v_cvt_f32_f16 v3, v3;
	;;#ASMEND
	buffer_load_dword v6, off, s[0:3], s32 offset:344 ; 4-byte Folded Reload
	s_waitcnt vmcnt(0)
	v_and_b32_e32 v8, 0xffff, v6
	;;#ASMSTART
	v_cvt_f32_f16 v8, v8;
	;;#ASMEND
	buffer_load_dword v6, off, s[0:3], s32 offset:340 ; 4-byte Folded Reload
	v_fmac_f32_e32 v11, v2, v8
	v_and_b32_e32 v2, 0xffff, v20
	s_waitcnt vmcnt(0)
	v_and_b32_e32 v9, 0xffff, v6
	;;#ASMSTART
	v_cvt_f32_f16 v9, v9;
	;;#ASMEND
	v_fmac_f32_e32 v7, v3, v9
	v_lshrrev_b32_e32 v3, 16, v20
	;; [unrolled: 22-line block ×3, first 2 shown]
	;;#ASMSTART
	v_cvt_f32_f16 v2, v2;
	;;#ASMEND
	;;#ASMSTART
	v_cvt_f32_f16 v3, v3;
	;;#ASMEND
	buffer_load_dword v6, off, s[0:3], s32 offset:328 ; 4-byte Folded Reload
	s_waitcnt vmcnt(0)
	v_and_b32_e32 v8, 0xffff, v6
	;;#ASMSTART
	v_cvt_f32_f16 v8, v8;
	;;#ASMEND
	buffer_load_dword v6, off, s[0:3], s32 offset:324 ; 4-byte Folded Reload
	v_fmac_f32_e32 v48, v2, v8
	s_waitcnt vmcnt(0)
	v_and_b32_e32 v9, 0xffff, v6
	;;#ASMSTART
	v_cvt_f32_f16 v9, v9;
	;;#ASMEND
	ds_read_b128 v[18:21], v4 offset:224
	v_fmac_f32_e32 v15, v3, v9
	s_waitcnt lgkmcnt(0)
	v_lshrrev_b32_e32 v3, 16, v18
	v_and_b32_e32 v2, 0xffff, v18
	;;#ASMSTART
	v_cvt_f32_f16 v2, v2;
	;;#ASMEND
	;;#ASMSTART
	v_cvt_f32_f16 v3, v3;
	;;#ASMEND
	buffer_load_dword v6, off, s[0:3], s32 offset:320 ; 4-byte Folded Reload
	s_waitcnt vmcnt(0)
	v_and_b32_e32 v8, 0xffff, v6
	;;#ASMSTART
	v_cvt_f32_f16 v8, v8;
	;;#ASMEND
	buffer_load_dword v6, off, s[0:3], s32 offset:316 ; 4-byte Folded Reload
	v_fmac_f32_e32 v0, v2, v8
	v_and_b32_e32 v2, 0xffff, v19
	s_waitcnt vmcnt(0)
	v_and_b32_e32 v9, 0xffff, v6
	;;#ASMSTART
	v_cvt_f32_f16 v9, v9;
	;;#ASMEND
	v_fmac_f32_e32 v1, v3, v9
	v_lshrrev_b32_e32 v3, 16, v19
	;;#ASMSTART
	v_cvt_f32_f16 v2, v2;
	;;#ASMEND
	;;#ASMSTART
	v_cvt_f32_f16 v3, v3;
	;;#ASMEND
	buffer_load_dword v6, off, s[0:3], s32 offset:312 ; 4-byte Folded Reload
	s_waitcnt vmcnt(0)
	v_and_b32_e32 v8, 0xffff, v6
	;;#ASMSTART
	v_cvt_f32_f16 v8, v8;
	;;#ASMEND
	buffer_load_dword v6, off, s[0:3], s32 offset:308 ; 4-byte Folded Reload
	v_fmac_f32_e32 v11, v2, v8
	v_and_b32_e32 v2, 0xffff, v20
	s_waitcnt vmcnt(0)
	v_and_b32_e32 v9, 0xffff, v6
	;;#ASMSTART
	v_cvt_f32_f16 v9, v9;
	;;#ASMEND
	v_fmac_f32_e32 v7, v3, v9
	v_lshrrev_b32_e32 v3, 16, v20
	;; [unrolled: 22-line block ×3, first 2 shown]
	;;#ASMSTART
	v_cvt_f32_f16 v2, v2;
	;;#ASMEND
	;;#ASMSTART
	v_cvt_f32_f16 v3, v3;
	;;#ASMEND
	buffer_load_dword v6, off, s[0:3], s32 offset:296 ; 4-byte Folded Reload
	s_waitcnt vmcnt(0)
	v_and_b32_e32 v8, 0xffff, v6
	;;#ASMSTART
	v_cvt_f32_f16 v8, v8;
	;;#ASMEND
	buffer_load_dword v6, off, s[0:3], s32 offset:292 ; 4-byte Folded Reload
	v_fmac_f32_e32 v48, v2, v8
	v_and_b32_e32 v8, 0xffff, v84
	s_waitcnt vmcnt(0)
	v_and_b32_e32 v9, 0xffff, v6
	;;#ASMSTART
	v_cvt_f32_f16 v9, v9;
	;;#ASMEND
	ds_read_b128 v[18:21], v4 offset:240
	v_fmac_f32_e32 v15, v3, v9
	v_and_b32_e32 v9, 0xffff, v87
	s_waitcnt lgkmcnt(0)
	v_lshrrev_b32_e32 v3, 16, v18
	v_and_b32_e32 v2, 0xffff, v18
	;;#ASMSTART
	v_cvt_f32_f16 v2, v2;
	;;#ASMEND
	;;#ASMSTART
	v_cvt_f32_f16 v3, v3;
	;;#ASMEND
	;; [unrolled: 3-line block ×4, first 2 shown]
	v_fmac_f32_e32 v0, v2, v8
	v_fmac_f32_e32 v1, v3, v9
	v_lshrrev_b32_e32 v3, 16, v19
	v_and_b32_e32 v2, 0xffff, v19
	v_and_b32_e32 v8, 0xffff, v100
	;;#ASMSTART
	v_cvt_f32_f16 v2, v2;
	;;#ASMEND
	;;#ASMSTART
	v_cvt_f32_f16 v3, v3;
	;;#ASMEND
	;; [unrolled: 3-line block ×3, first 2 shown]
	buffer_load_dword v6, off, s[0:3], s32 offset:212 ; 4-byte Folded Reload
	v_fmac_f32_e32 v11, v2, v8
	v_and_b32_e32 v2, 0xffff, v20
	v_and_b32_e32 v8, 0xffff, v98
	v_add_f32_e32 v0, v0, v1
	v_add_f32_e32 v0, v0, v11
	s_waitcnt vmcnt(0)
	v_and_b32_e32 v9, 0xffff, v6
	;;#ASMSTART
	v_cvt_f32_f16 v9, v9;
	;;#ASMEND
	v_fmac_f32_e32 v7, v3, v9
	v_lshrrev_b32_e32 v3, 16, v20
	v_and_b32_e32 v9, 0xffff, v85
	;;#ASMSTART
	v_cvt_f32_f16 v2, v2;
	;;#ASMEND
	;;#ASMSTART
	v_cvt_f32_f16 v3, v3;
	;;#ASMEND
	;; [unrolled: 3-line block ×4, first 2 shown]
	v_fmac_f32_e32 v13, v2, v8
	v_fmac_f32_e32 v31, v3, v9
	v_lshrrev_b32_e32 v3, 16, v21
	v_and_b32_e32 v2, 0xffff, v21
	v_and_b32_e32 v8, 0xffff, v101
	;; [unrolled: 1-line block ×3, first 2 shown]
	;;#ASMSTART
	v_cvt_f32_f16 v2, v2;
	;;#ASMEND
	;;#ASMSTART
	v_cvt_f32_f16 v3, v3;
	;;#ASMEND
	;; [unrolled: 3-line block ×4, first 2 shown]
	buffer_load_dword v1, off, s[0:3], s32 offset:408 ; 4-byte Folded Reload
	v_add_f32_e32 v0, v7, v0
	v_fmac_f32_e32 v48, v2, v8
	v_fmac_f32_e32 v15, v3, v9
	buffer_load_dword v14, off, s[0:3], s32 offset:288 ; 4-byte Folded Reload
	v_add_f32_e32 v0, v0, v13
	v_add_f32_e32 v0, v31, v0
	v_add_f32_e32 v0, v0, v48
	v_add_f32_e32 v0, v15, v0
	s_waitcnt vmcnt(1)
	v_fmac_f32_e32 v10, v1, v0
	buffer_load_dword v1, off, s[0:3], s32 offset:208 ; 4-byte Folded Reload
	v_cndmask_b32_e64 v0, 0, v10, s5
	s_waitcnt vmcnt(0)
	ds_write_b32 v1, v0
	v_max_f32_e32 v0, v14, v14
	v_max_f32_e32 v0, v0, v10
	v_cndmask_b32_e64 v14, v14, v0, s5
.LBB283_14:                             ;   in Loop: Header=BB283_15 Depth=1
	s_or_b32 exec_lo, exec_lo, s6
	buffer_load_dword v0, off, s[0:3], s32 offset:276 ; 4-byte Folded Reload
	v_add_nc_u32_e32 v88, 4, v88
	v_add_co_u32 v16, s6, v16, 16
	v_add_nc_u32_e32 v5, 0x80, v5
	v_add_nc_u32_e32 v51, 0x200, v51
	v_add_co_ci_u32_e64 v17, null, 0, v17, s6
	s_waitcnt vmcnt(0)
	v_cmp_ge_i32_e64 s5, v88, v0
	s_or_b32 s19, s5, s19
	s_andn2_b32 exec_lo, exec_lo, s19
	s_cbranch_execz .LBB283_1039
.LBB283_15:                             ; =>This Inner Loop Header: Depth=1
	s_clause 0x1
	buffer_load_dword v0, off, s[0:3], s32 offset:200
	buffer_load_dword v6, off, s[0:3], s32 offset:268
	s_waitcnt vmcnt(1)
	v_mul_hi_u32 v0, v5, v0
	s_waitcnt vmcnt(0)
	v_mul_lo_u32 v1, v0, v6
	v_add_nc_u32_e32 v2, 1, v0
	v_sub_nc_u32_e32 v1, v5, v1
	v_sub_nc_u32_e32 v3, v1, v6
	v_cmp_ge_u32_e64 s5, v1, v6
	v_cndmask_b32_e64 v1, v1, v3, s5
	v_cndmask_b32_e64 v0, v0, v2, s5
	v_cmp_ge_u32_e64 s5, v1, v6
	buffer_load_dword v1, off, s[0:3], s32 offset:272 ; 4-byte Folded Reload
	v_add_nc_u32_e32 v2, 1, v0
	v_cndmask_b32_e64 v0, v0, v2, s5
	s_waitcnt vmcnt(0)
	v_xor_b32_e32 v0, v0, v1
	v_sub_nc_u32_e32 v0, v0, v1
	s_clause 0x3
	buffer_load_dword v1, off, s[0:3], s32 offset:192
	buffer_load_dword v2, off, s[0:3], s32 offset:196
	;; [unrolled: 1-line block ×4, first 2 shown]
	s_waitcnt vmcnt(3)
	v_add_nc_u32_e32 v1, v0, v1
	s_waitcnt vmcnt(2)
	v_sub_nc_u32_e32 v2, 0, v1
	v_max_i32_e32 v2, v1, v2
	v_ashrrev_i32_e32 v1, 31, v1
	s_waitcnt vmcnt(1)
	v_mul_hi_u32 v3, v2, v3
	s_waitcnt vmcnt(0)
	v_mul_lo_u32 v3, v3, v6
	v_sub_nc_u32_e32 v2, v2, v3
	v_sub_nc_u32_e32 v3, v2, v6
	v_cmp_ge_u32_e64 s5, v2, v6
	v_cndmask_b32_e64 v2, v2, v3, s5
	v_sub_nc_u32_e32 v3, v2, v6
	v_cmp_ge_u32_e64 s5, v2, v6
	v_cndmask_b32_e64 v2, v2, v3, s5
	v_xor_b32_e32 v2, v2, v1
	v_sub_nc_u32_e32 v1, v2, v1
	v_cmp_ne_u32_e64 s5, 0, v1
	buffer_load_dword v1, off, s[0:3], s32 offset:204 ; 4-byte Folded Reload
	s_waitcnt vmcnt(0)
	v_cmp_le_i32_e64 s6, v0, v1
	s_and_b32 s5, s5, s6
	s_and_saveexec_b32 s6, s5
	s_xor_b32 s5, exec_lo, s6
	s_cbranch_execz .LBB283_17
; %bb.16:                               ;   in Loop: Header=BB283_15 Depth=1
	s_waitcnt lgkmcnt(0)
	v_add_nc_u32_e32 v0, s18, v51
	v_mov_b32_e32 v1, 0xff7fffff
	ds_write_b32 v0, v1
.LBB283_17:                             ;   in Loop: Header=BB283_15 Depth=1
	s_andn2_saveexec_b32 s6, s5
	s_cbranch_execz .LBB283_14
; %bb.18:                               ;   in Loop: Header=BB283_15 Depth=1
	buffer_store_dword v14, off, s[0:3], s32 offset:288 ; 4-byte Folded Spill
	flat_load_dword v0, v[16:17]
	s_clause 0x2
	buffer_load_dword v1, off, s[0:3], s32 offset:264
	buffer_load_dword v2, off, s[0:3], s32 offset:412
	;; [unrolled: 1-line block ×3, first 2 shown]
	v_mov_b32_e32 v66, 0
	v_mov_b32_e32 v40, 0
	s_waitcnt vmcnt(0) lgkmcnt(0)
	v_mad_i64_i32 v[24:25], null, v0, v1, v[2:3]
	flat_load_dwordx2 v[27:28], v[24:25]
	s_clause 0x1
	buffer_load_dword v0, off, s[0:3], s32 offset:400
	buffer_load_dword v1, off, s[0:3], s32 offset:404
	s_waitcnt vmcnt(2) lgkmcnt(0)
	v_cmp_ne_u16_sdwa s5, v27, v4 src0_sel:BYTE_0 src1_sel:DWORD
	s_waitcnt vmcnt(0)
	flat_load_dword v69, v[0:1]
	s_and_saveexec_b32 s20, s5
	s_cbranch_execz .LBB283_26
; %bb.19:                               ;   in Loop: Header=BB283_15 Depth=1
	v_cmp_ne_u16_sdwa s5, v27, v91 src0_sel:BYTE_0 src1_sel:DWORD
	v_mov_b32_e32 v40, 0x8000
	s_and_saveexec_b32 s21, s5
	s_cbranch_execz .LBB283_25
; %bb.20:                               ;   in Loop: Header=BB283_15 Depth=1
	v_and_b32_e32 v2, 0x7f, v27
	v_mov_b32_e32 v40, 0x7c01
	s_mov_b32 s22, exec_lo
	v_cmpx_ne_u32_e32 0x7f, v2
	s_cbranch_execz .LBB283_24
; %bb.21:                               ;   in Loop: Header=BB283_15 Depth=1
	v_and_b32_e32 v0, 7, v27
	v_lshrrev_b32_e32 v1, 3, v2
	s_mov_b32 s23, exec_lo
	v_cmpx_gt_u32_e32 8, v2
; %bb.22:                               ;   in Loop: Header=BB283_15 Depth=1
	v_ffbh_u32_e32 v0, v0
	v_min_u32_e32 v2, 32, v0
	v_subrev_nc_u32_e32 v0, 28, v2
	v_lshlrev_b64 v[0:1], v0, v[27:28]
	v_sub_nc_u32_e32 v1, 29, v2
	v_and_b32_e32 v0, 7, v0
; %bb.23:                               ;   in Loop: Header=BB283_15 Depth=1
	s_or_b32 exec_lo, exec_lo, s23
	v_lshlrev_b32_e32 v2, 8, v27
	v_lshl_add_u32 v1, v1, 10, 0x2000
	v_lshlrev_b32_e32 v0, 7, v0
	v_and_b32_e32 v2, 0x8000, v2
	v_and_b32_e32 v1, 0xfc00, v1
	v_or3_b32 v40, v2, v1, v0
.LBB283_24:                             ;   in Loop: Header=BB283_15 Depth=1
	s_or_b32 exec_lo, exec_lo, s22
.LBB283_25:                             ;   in Loop: Header=BB283_15 Depth=1
	s_or_b32 exec_lo, exec_lo, s21
.LBB283_26:                             ;   in Loop: Header=BB283_15 Depth=1
	s_or_b32 exec_lo, exec_lo, s20
	v_lshrrev_b16 v3, 8, v27
	s_mov_b32 s20, exec_lo
	v_cmpx_ne_u16_e32 0, v3
	s_cbranch_execz .LBB283_34
; %bb.27:                               ;   in Loop: Header=BB283_15 Depth=1
	v_bfrev_b32_e32 v66, 1
	s_mov_b32 s21, exec_lo
	v_cmpx_ne_u16_e32 0x80, v3
	s_cbranch_execz .LBB283_33
; %bb.28:                               ;   in Loop: Header=BB283_15 Depth=1
	v_mov_b32_e32 v0, 0x7f
	v_mov_b32_e32 v66, 0x7c010000
	s_mov_b32 s22, exec_lo
	v_and_b32_sdwa v2, v3, v0 dst_sel:DWORD dst_unused:UNUSED_PAD src0_sel:WORD_0 src1_sel:DWORD
	v_cmpx_ne_u32_e32 0x7f, v2
	s_cbranch_execz .LBB283_32
; %bb.29:                               ;   in Loop: Header=BB283_15 Depth=1
	v_mov_b32_e32 v0, 7
	v_lshrrev_b32_e32 v1, 3, v2
	s_mov_b32 s23, exec_lo
	v_and_b32_sdwa v0, v3, v0 dst_sel:DWORD dst_unused:UNUSED_PAD src0_sel:WORD_0 src1_sel:DWORD
	v_cmpx_gt_u32_e32 8, v2
; %bb.30:                               ;   in Loop: Header=BB283_15 Depth=1
	v_ffbh_u32_e32 v0, v0
	v_min_u32_e32 v2, 32, v0
	v_subrev_nc_u32_e32 v0, 28, v2
	v_lshlrev_b64 v[0:1], v0, v[3:4]
	v_sub_nc_u32_e32 v1, 29, v2
	v_and_b32_e32 v0, 7, v0
; %bb.31:                               ;   in Loop: Header=BB283_15 Depth=1
	s_or_b32 exec_lo, exec_lo, s23
	v_mov_b32_e32 v2, 8
	v_lshl_add_u32 v1, v1, 10, 0x2000
	v_lshlrev_b32_e32 v0, 23, v0
	v_lshlrev_b32_sdwa v2, v2, v3 dst_sel:DWORD dst_unused:UNUSED_PAD src0_sel:DWORD src1_sel:WORD_0
	v_and_or_b32 v1, 0x8000, v2, v1
	v_lshl_or_b32 v66, v1, 16, v0
.LBB283_32:                             ;   in Loop: Header=BB283_15 Depth=1
	s_or_b32 exec_lo, exec_lo, s22
.LBB283_33:                             ;   in Loop: Header=BB283_15 Depth=1
	s_or_b32 exec_lo, exec_lo, s21
.LBB283_34:                             ;   in Loop: Header=BB283_15 Depth=1
	s_or_b32 exec_lo, exec_lo, s20
	v_lshrrev_b32_e32 v3, 16, v27
	v_mov_b32_e32 v41, 0
	v_mov_b32_e32 v0, 0
	v_cmp_ne_u16_sdwa s5, v3, v4 src0_sel:BYTE_0 src1_sel:DWORD
	buffer_store_dword v0, off, s[0:3], s32 offset:208 ; 4-byte Folded Spill
	s_and_saveexec_b32 s20, s5
	s_cbranch_execz .LBB283_42
; %bb.35:                               ;   in Loop: Header=BB283_15 Depth=1
	v_cmp_ne_u16_sdwa s5, v3, v91 src0_sel:BYTE_0 src1_sel:DWORD
	v_mov_b32_e32 v0, 0x8000
	buffer_store_dword v0, off, s[0:3], s32 offset:208 ; 4-byte Folded Spill
	s_and_saveexec_b32 s21, s5
	s_cbranch_execz .LBB283_41
; %bb.36:                               ;   in Loop: Header=BB283_15 Depth=1
	v_bfe_u32 v2, v27, 16, 7
	v_mov_b32_e32 v0, 0x7c01
	s_mov_b32 s22, exec_lo
	buffer_store_dword v0, off, s[0:3], s32 offset:208 ; 4-byte Folded Spill
	v_cmpx_ne_u32_e32 0x7f, v2
	s_cbranch_execz .LBB283_40
; %bb.37:                               ;   in Loop: Header=BB283_15 Depth=1
	v_and_b32_e32 v0, 7, v3
	v_lshrrev_b32_e32 v1, 3, v2
	s_mov_b32 s23, exec_lo
	v_cmpx_gt_u32_e32 8, v2
; %bb.38:                               ;   in Loop: Header=BB283_15 Depth=1
	v_ffbh_u32_e32 v0, v0
	v_min_u32_e32 v2, 32, v0
	v_subrev_nc_u32_e32 v0, 28, v2
	v_lshlrev_b64 v[0:1], v0, v[3:4]
	v_sub_nc_u32_e32 v1, 29, v2
	v_and_b32_e32 v0, 7, v0
; %bb.39:                               ;   in Loop: Header=BB283_15 Depth=1
	s_or_b32 exec_lo, exec_lo, s23
	v_lshlrev_b32_e32 v2, 8, v3
	v_lshl_add_u32 v1, v1, 10, 0x2000
	v_lshlrev_b32_e32 v0, 7, v0
	v_and_b32_e32 v2, 0x8000, v2
	v_and_b32_e32 v1, 0xfc00, v1
	v_or3_b32 v0, v2, v1, v0
	buffer_store_dword v0, off, s[0:3], s32 offset:208 ; 4-byte Folded Spill
.LBB283_40:                             ;   in Loop: Header=BB283_15 Depth=1
	s_or_b32 exec_lo, exec_lo, s22
.LBB283_41:                             ;   in Loop: Header=BB283_15 Depth=1
	s_or_b32 exec_lo, exec_lo, s21
.LBB283_42:                             ;   in Loop: Header=BB283_15 Depth=1
	s_or_b32 exec_lo, exec_lo, s20
	s_mov_b32 s20, exec_lo
	v_cmpx_lt_u32_e32 0xffffff, v27
	s_cbranch_execz .LBB283_50
; %bb.43:                               ;   in Loop: Header=BB283_15 Depth=1
	v_lshrrev_b32_e32 v3, 24, v27
	v_bfrev_b32_e32 v41, 1
	s_mov_b32 s21, exec_lo
	v_cmpx_ne_u32_e32 0x80, v3
	s_cbranch_execz .LBB283_49
; %bb.44:                               ;   in Loop: Header=BB283_15 Depth=1
	v_and_b32_e32 v2, 0x7f, v3
	v_mov_b32_e32 v41, 0x7c010000
	s_mov_b32 s22, exec_lo
	v_cmpx_ne_u32_e32 0x7f, v2
	s_cbranch_execz .LBB283_48
; %bb.45:                               ;   in Loop: Header=BB283_15 Depth=1
	v_and_b32_e32 v0, 7, v3
	v_lshrrev_b32_e32 v1, 3, v2
	s_mov_b32 s23, exec_lo
	v_cmpx_gt_u32_e32 8, v2
; %bb.46:                               ;   in Loop: Header=BB283_15 Depth=1
	v_ffbh_u32_e32 v0, v0
	v_min_u32_e32 v2, 32, v0
	v_subrev_nc_u32_e32 v0, 28, v2
	v_lshlrev_b64 v[0:1], v0, v[3:4]
	v_sub_nc_u32_e32 v1, 29, v2
	v_and_b32_e32 v0, 7, v0
; %bb.47:                               ;   in Loop: Header=BB283_15 Depth=1
	s_or_b32 exec_lo, exec_lo, s23
	v_lshlrev_b32_e32 v2, 8, v3
	v_lshl_add_u32 v1, v1, 10, 0x2000
	v_lshlrev_b32_e32 v0, 23, v0
	v_and_or_b32 v1, 0x8000, v2, v1
	v_lshl_or_b32 v41, v1, 16, v0
.LBB283_48:                             ;   in Loop: Header=BB283_15 Depth=1
	s_or_b32 exec_lo, exec_lo, s22
.LBB283_49:                             ;   in Loop: Header=BB283_15 Depth=1
	s_or_b32 exec_lo, exec_lo, s21
.LBB283_50:                             ;   in Loop: Header=BB283_15 Depth=1
	s_or_b32 exec_lo, exec_lo, s20
	v_mov_b32_e32 v0, 0
	v_mov_b32_e32 v3, v28
	v_cmp_ne_u16_sdwa s5, v28, v4 src0_sel:BYTE_0 src1_sel:DWORD
	buffer_store_dword v0, off, s[0:3], s32 offset:212 ; 4-byte Folded Spill
	v_mov_b32_e32 v0, 0
	buffer_store_dword v0, off, s[0:3], s32 offset:216 ; 4-byte Folded Spill
	s_and_saveexec_b32 s20, s5
	s_cbranch_execz .LBB283_58
; %bb.51:                               ;   in Loop: Header=BB283_15 Depth=1
	v_cmp_ne_u16_sdwa s5, v28, v91 src0_sel:BYTE_0 src1_sel:DWORD
	v_mov_b32_e32 v0, 0x8000
	buffer_store_dword v0, off, s[0:3], s32 offset:216 ; 4-byte Folded Spill
	s_and_saveexec_b32 s21, s5
	s_cbranch_execz .LBB283_57
; %bb.52:                               ;   in Loop: Header=BB283_15 Depth=1
	v_and_b32_e32 v2, 0x7f, v28
	v_mov_b32_e32 v0, 0x7c01
	s_mov_b32 s22, exec_lo
	buffer_store_dword v0, off, s[0:3], s32 offset:216 ; 4-byte Folded Spill
	v_cmpx_ne_u32_e32 0x7f, v2
	s_cbranch_execz .LBB283_56
; %bb.53:                               ;   in Loop: Header=BB283_15 Depth=1
	v_and_b32_e32 v0, 7, v28
	v_lshrrev_b32_e32 v1, 3, v2
	s_mov_b32 s23, exec_lo
	v_cmpx_gt_u32_e32 8, v2
; %bb.54:                               ;   in Loop: Header=BB283_15 Depth=1
	v_ffbh_u32_e32 v0, v0
	v_min_u32_e32 v2, 32, v0
	v_subrev_nc_u32_e32 v0, 28, v2
	v_lshlrev_b64 v[0:1], v0, v[3:4]
	v_sub_nc_u32_e32 v1, 29, v2
	v_and_b32_e32 v0, 7, v0
; %bb.55:                               ;   in Loop: Header=BB283_15 Depth=1
	s_or_b32 exec_lo, exec_lo, s23
	v_lshlrev_b32_e32 v2, 8, v28
	v_lshl_add_u32 v1, v1, 10, 0x2000
	v_lshlrev_b32_e32 v0, 7, v0
	v_and_b32_e32 v2, 0x8000, v2
	v_and_b32_e32 v1, 0xfc00, v1
	v_or3_b32 v0, v2, v1, v0
	buffer_store_dword v0, off, s[0:3], s32 offset:216 ; 4-byte Folded Spill
.LBB283_56:                             ;   in Loop: Header=BB283_15 Depth=1
	s_or_b32 exec_lo, exec_lo, s22
.LBB283_57:                             ;   in Loop: Header=BB283_15 Depth=1
	s_or_b32 exec_lo, exec_lo, s21
.LBB283_58:                             ;   in Loop: Header=BB283_15 Depth=1
	s_or_b32 exec_lo, exec_lo, s20
	v_lshrrev_b16 v3, 8, v3
	v_mov_b32_e32 v0, 0
	s_mov_b32 s20, exec_lo
	buffer_store_dword v0, off, s[0:3], s32 offset:220 ; 4-byte Folded Spill
	v_cmpx_ne_u16_e32 0, v3
	s_cbranch_execz .LBB283_66
; %bb.59:                               ;   in Loop: Header=BB283_15 Depth=1
	v_bfrev_b32_e32 v0, 1
	s_mov_b32 s21, exec_lo
	buffer_store_dword v0, off, s[0:3], s32 offset:220 ; 4-byte Folded Spill
	v_cmpx_ne_u16_e32 0x80, v3
	s_cbranch_execz .LBB283_65
; %bb.60:                               ;   in Loop: Header=BB283_15 Depth=1
	v_mov_b32_e32 v0, 0x7f
	s_mov_b32 s22, exec_lo
	v_and_b32_sdwa v2, v3, v0 dst_sel:DWORD dst_unused:UNUSED_PAD src0_sel:WORD_0 src1_sel:DWORD
	v_mov_b32_e32 v0, 0x7c010000
	buffer_store_dword v0, off, s[0:3], s32 offset:220 ; 4-byte Folded Spill
	v_cmpx_ne_u32_e32 0x7f, v2
	s_cbranch_execz .LBB283_64
; %bb.61:                               ;   in Loop: Header=BB283_15 Depth=1
	v_mov_b32_e32 v0, 7
	v_lshrrev_b32_e32 v1, 3, v2
	s_mov_b32 s23, exec_lo
	v_and_b32_sdwa v0, v3, v0 dst_sel:DWORD dst_unused:UNUSED_PAD src0_sel:WORD_0 src1_sel:DWORD
	v_cmpx_gt_u32_e32 8, v2
; %bb.62:                               ;   in Loop: Header=BB283_15 Depth=1
	v_ffbh_u32_e32 v0, v0
	v_min_u32_e32 v2, 32, v0
	v_subrev_nc_u32_e32 v0, 28, v2
	v_lshlrev_b64 v[0:1], v0, v[3:4]
	v_sub_nc_u32_e32 v1, 29, v2
	v_and_b32_e32 v0, 7, v0
; %bb.63:                               ;   in Loop: Header=BB283_15 Depth=1
	s_or_b32 exec_lo, exec_lo, s23
	v_mov_b32_e32 v2, 8
	v_lshl_add_u32 v1, v1, 10, 0x2000
	v_lshlrev_b32_e32 v0, 23, v0
	v_lshlrev_b32_sdwa v2, v2, v3 dst_sel:DWORD dst_unused:UNUSED_PAD src0_sel:DWORD src1_sel:WORD_0
	v_and_or_b32 v1, 0x8000, v2, v1
	v_lshl_or_b32 v0, v1, 16, v0
	buffer_store_dword v0, off, s[0:3], s32 offset:220 ; 4-byte Folded Spill
.LBB283_64:                             ;   in Loop: Header=BB283_15 Depth=1
	s_or_b32 exec_lo, exec_lo, s22
.LBB283_65:                             ;   in Loop: Header=BB283_15 Depth=1
	s_or_b32 exec_lo, exec_lo, s21
.LBB283_66:                             ;   in Loop: Header=BB283_15 Depth=1
	s_or_b32 exec_lo, exec_lo, s20
	v_lshrrev_b32_e32 v3, 16, v28
	v_cmp_ne_u16_sdwa s5, v3, v4 src0_sel:BYTE_0 src1_sel:DWORD
	s_and_saveexec_b32 s20, s5
	s_cbranch_execz .LBB283_74
; %bb.67:                               ;   in Loop: Header=BB283_15 Depth=1
	v_cmp_ne_u16_sdwa s5, v3, v91 src0_sel:BYTE_0 src1_sel:DWORD
	v_mov_b32_e32 v0, 0x8000
	buffer_store_dword v0, off, s[0:3], s32 offset:212 ; 4-byte Folded Spill
	s_and_saveexec_b32 s21, s5
	s_cbranch_execz .LBB283_73
; %bb.68:                               ;   in Loop: Header=BB283_15 Depth=1
	v_bfe_u32 v2, v28, 16, 7
	v_mov_b32_e32 v0, 0x7c01
	s_mov_b32 s22, exec_lo
	buffer_store_dword v0, off, s[0:3], s32 offset:212 ; 4-byte Folded Spill
	v_cmpx_ne_u32_e32 0x7f, v2
	s_cbranch_execz .LBB283_72
; %bb.69:                               ;   in Loop: Header=BB283_15 Depth=1
	v_and_b32_e32 v0, 7, v3
	v_lshrrev_b32_e32 v1, 3, v2
	s_mov_b32 s23, exec_lo
	v_cmpx_gt_u32_e32 8, v2
; %bb.70:                               ;   in Loop: Header=BB283_15 Depth=1
	v_ffbh_u32_e32 v0, v0
	v_min_u32_e32 v2, 32, v0
	v_subrev_nc_u32_e32 v0, 28, v2
	v_lshlrev_b64 v[0:1], v0, v[3:4]
	v_sub_nc_u32_e32 v1, 29, v2
	v_and_b32_e32 v0, 7, v0
; %bb.71:                               ;   in Loop: Header=BB283_15 Depth=1
	s_or_b32 exec_lo, exec_lo, s23
	v_lshlrev_b32_e32 v2, 8, v3
	v_lshl_add_u32 v1, v1, 10, 0x2000
	v_lshlrev_b32_e32 v0, 7, v0
	v_and_b32_e32 v2, 0x8000, v2
	v_and_b32_e32 v1, 0xfc00, v1
	v_or3_b32 v0, v2, v1, v0
	buffer_store_dword v0, off, s[0:3], s32 offset:212 ; 4-byte Folded Spill
.LBB283_72:                             ;   in Loop: Header=BB283_15 Depth=1
	s_or_b32 exec_lo, exec_lo, s22
.LBB283_73:                             ;   in Loop: Header=BB283_15 Depth=1
	s_or_b32 exec_lo, exec_lo, s21
.LBB283_74:                             ;   in Loop: Header=BB283_15 Depth=1
	s_or_b32 exec_lo, exec_lo, s20
	v_mov_b32_e32 v0, 0
	s_mov_b32 s20, exec_lo
	buffer_store_dword v0, off, s[0:3], s32 offset:224 ; 4-byte Folded Spill
	v_mov_b32_e32 v0, 0
	buffer_store_dword v0, off, s[0:3], s32 offset:260 ; 4-byte Folded Spill
	v_cmpx_lt_u64_e64 s[12:13], v[27:28]
	s_cbranch_execz .LBB283_82
; %bb.75:                               ;   in Loop: Header=BB283_15 Depth=1
	v_lshrrev_b32_e32 v3, 24, v28
	v_bfrev_b32_e32 v0, 1
	s_mov_b32 s21, exec_lo
	v_cmpx_ne_u32_e32 0x80, v3
	s_cbranch_execz .LBB283_81
; %bb.76:                               ;   in Loop: Header=BB283_15 Depth=1
	v_and_b32_e32 v2, 0x7f, v3
	v_mov_b32_e32 v0, 0x7c010000
	s_mov_b32 s22, exec_lo
	v_cmpx_ne_u32_e32 0x7f, v2
	s_cbranch_execz .LBB283_80
; %bb.77:                               ;   in Loop: Header=BB283_15 Depth=1
	v_and_b32_e32 v0, 7, v3
	v_lshrrev_b32_e32 v1, 3, v2
	s_mov_b32 s23, exec_lo
	v_cmpx_gt_u32_e32 8, v2
; %bb.78:                               ;   in Loop: Header=BB283_15 Depth=1
	v_ffbh_u32_e32 v0, v0
	v_min_u32_e32 v2, 32, v0
	v_subrev_nc_u32_e32 v0, 28, v2
	v_lshlrev_b64 v[0:1], v0, v[3:4]
	v_sub_nc_u32_e32 v1, 29, v2
	v_and_b32_e32 v0, 7, v0
; %bb.79:                               ;   in Loop: Header=BB283_15 Depth=1
	s_or_b32 exec_lo, exec_lo, s23
	v_lshlrev_b32_e32 v2, 8, v3
	v_lshl_add_u32 v1, v1, 10, 0x2000
	v_lshlrev_b32_e32 v0, 23, v0
	v_and_or_b32 v1, 0x8000, v2, v1
	v_lshl_or_b32 v0, v1, 16, v0
.LBB283_80:                             ;   in Loop: Header=BB283_15 Depth=1
	s_or_b32 exec_lo, exec_lo, s22
.LBB283_81:                             ;   in Loop: Header=BB283_15 Depth=1
	s_or_b32 exec_lo, exec_lo, s21
	buffer_store_dword v0, off, s[0:3], s32 offset:260 ; 4-byte Folded Spill
.LBB283_82:                             ;   in Loop: Header=BB283_15 Depth=1
	s_or_b32 exec_lo, exec_lo, s20
	flat_load_dwordx2 v[27:28], v[24:25] offset:8
	s_waitcnt vmcnt(0) lgkmcnt(0)
	v_cmp_ne_u16_sdwa s5, v27, v4 src0_sel:BYTE_0 src1_sel:DWORD
	s_and_saveexec_b32 s20, s5
	s_cbranch_execz .LBB283_90
; %bb.83:                               ;   in Loop: Header=BB283_15 Depth=1
	v_cmp_ne_u16_sdwa s5, v27, v91 src0_sel:BYTE_0 src1_sel:DWORD
	v_mov_b32_e32 v0, 0x8000
	buffer_store_dword v0, off, s[0:3], s32 offset:224 ; 4-byte Folded Spill
	s_and_saveexec_b32 s21, s5
	s_cbranch_execz .LBB283_89
; %bb.84:                               ;   in Loop: Header=BB283_15 Depth=1
	v_and_b32_e32 v2, 0x7f, v27
	v_mov_b32_e32 v0, 0x7c01
	s_mov_b32 s22, exec_lo
	buffer_store_dword v0, off, s[0:3], s32 offset:224 ; 4-byte Folded Spill
	v_cmpx_ne_u32_e32 0x7f, v2
	s_cbranch_execz .LBB283_88
; %bb.85:                               ;   in Loop: Header=BB283_15 Depth=1
	v_and_b32_e32 v0, 7, v27
	v_lshrrev_b32_e32 v1, 3, v2
	s_mov_b32 s23, exec_lo
	v_cmpx_gt_u32_e32 8, v2
; %bb.86:                               ;   in Loop: Header=BB283_15 Depth=1
	v_ffbh_u32_e32 v0, v0
	v_min_u32_e32 v2, 32, v0
	v_subrev_nc_u32_e32 v0, 28, v2
	v_lshlrev_b64 v[0:1], v0, v[27:28]
	v_sub_nc_u32_e32 v1, 29, v2
	v_and_b32_e32 v0, 7, v0
; %bb.87:                               ;   in Loop: Header=BB283_15 Depth=1
	s_or_b32 exec_lo, exec_lo, s23
	v_lshlrev_b32_e32 v2, 8, v27
	v_lshl_add_u32 v1, v1, 10, 0x2000
	v_lshlrev_b32_e32 v0, 7, v0
	v_and_b32_e32 v2, 0x8000, v2
	v_and_b32_e32 v1, 0xfc00, v1
	v_or3_b32 v0, v2, v1, v0
	buffer_store_dword v0, off, s[0:3], s32 offset:224 ; 4-byte Folded Spill
.LBB283_88:                             ;   in Loop: Header=BB283_15 Depth=1
	s_or_b32 exec_lo, exec_lo, s22
.LBB283_89:                             ;   in Loop: Header=BB283_15 Depth=1
	s_or_b32 exec_lo, exec_lo, s21
.LBB283_90:                             ;   in Loop: Header=BB283_15 Depth=1
	s_or_b32 exec_lo, exec_lo, s20
	v_lshrrev_b16 v3, 8, v27
	v_mov_b32_e32 v0, 0
	v_mov_b32_e32 v127, 0
	s_mov_b32 s20, exec_lo
	buffer_store_dword v0, off, s[0:3], s32 offset:228 ; 4-byte Folded Spill
	v_cmpx_ne_u16_e32 0, v3
	s_cbranch_execz .LBB283_98
; %bb.91:                               ;   in Loop: Header=BB283_15 Depth=1
	v_bfrev_b32_e32 v127, 1
	s_mov_b32 s21, exec_lo
	v_cmpx_ne_u16_e32 0x80, v3
	s_cbranch_execz .LBB283_97
; %bb.92:                               ;   in Loop: Header=BB283_15 Depth=1
	v_mov_b32_e32 v0, 0x7f
	v_mov_b32_e32 v127, 0x7c010000
	s_mov_b32 s22, exec_lo
	v_and_b32_sdwa v2, v3, v0 dst_sel:DWORD dst_unused:UNUSED_PAD src0_sel:WORD_0 src1_sel:DWORD
	v_cmpx_ne_u32_e32 0x7f, v2
	s_cbranch_execz .LBB283_96
; %bb.93:                               ;   in Loop: Header=BB283_15 Depth=1
	v_mov_b32_e32 v0, 7
	v_lshrrev_b32_e32 v1, 3, v2
	s_mov_b32 s23, exec_lo
	v_and_b32_sdwa v0, v3, v0 dst_sel:DWORD dst_unused:UNUSED_PAD src0_sel:WORD_0 src1_sel:DWORD
	v_cmpx_gt_u32_e32 8, v2
; %bb.94:                               ;   in Loop: Header=BB283_15 Depth=1
	v_ffbh_u32_e32 v0, v0
	v_min_u32_e32 v2, 32, v0
	v_subrev_nc_u32_e32 v0, 28, v2
	v_lshlrev_b64 v[0:1], v0, v[3:4]
	v_sub_nc_u32_e32 v1, 29, v2
	v_and_b32_e32 v0, 7, v0
; %bb.95:                               ;   in Loop: Header=BB283_15 Depth=1
	s_or_b32 exec_lo, exec_lo, s23
	v_mov_b32_e32 v2, 8
	v_lshl_add_u32 v1, v1, 10, 0x2000
	v_lshlrev_b32_e32 v0, 23, v0
	v_lshlrev_b32_sdwa v2, v2, v3 dst_sel:DWORD dst_unused:UNUSED_PAD src0_sel:DWORD src1_sel:WORD_0
	v_and_or_b32 v1, 0x8000, v2, v1
	v_lshl_or_b32 v127, v1, 16, v0
.LBB283_96:                             ;   in Loop: Header=BB283_15 Depth=1
	s_or_b32 exec_lo, exec_lo, s22
.LBB283_97:                             ;   in Loop: Header=BB283_15 Depth=1
	s_or_b32 exec_lo, exec_lo, s21
.LBB283_98:                             ;   in Loop: Header=BB283_15 Depth=1
	s_or_b32 exec_lo, exec_lo, s20
	v_lshrrev_b32_e32 v3, 16, v27
	v_cmp_ne_u16_sdwa s5, v3, v4 src0_sel:BYTE_0 src1_sel:DWORD
	s_and_saveexec_b32 s20, s5
	s_cbranch_execz .LBB283_106
; %bb.99:                               ;   in Loop: Header=BB283_15 Depth=1
	v_cmp_ne_u16_sdwa s5, v3, v91 src0_sel:BYTE_0 src1_sel:DWORD
	v_mov_b32_e32 v0, 0x8000
	buffer_store_dword v0, off, s[0:3], s32 offset:228 ; 4-byte Folded Spill
	s_and_saveexec_b32 s21, s5
	s_cbranch_execz .LBB283_105
; %bb.100:                              ;   in Loop: Header=BB283_15 Depth=1
	v_bfe_u32 v2, v27, 16, 7
	v_mov_b32_e32 v0, 0x7c01
	s_mov_b32 s22, exec_lo
	buffer_store_dword v0, off, s[0:3], s32 offset:228 ; 4-byte Folded Spill
	v_cmpx_ne_u32_e32 0x7f, v2
	s_cbranch_execz .LBB283_104
; %bb.101:                              ;   in Loop: Header=BB283_15 Depth=1
	v_and_b32_e32 v0, 7, v3
	v_lshrrev_b32_e32 v1, 3, v2
	s_mov_b32 s23, exec_lo
	v_cmpx_gt_u32_e32 8, v2
; %bb.102:                              ;   in Loop: Header=BB283_15 Depth=1
	v_ffbh_u32_e32 v0, v0
	v_min_u32_e32 v2, 32, v0
	v_subrev_nc_u32_e32 v0, 28, v2
	v_lshlrev_b64 v[0:1], v0, v[3:4]
	v_sub_nc_u32_e32 v1, 29, v2
	v_and_b32_e32 v0, 7, v0
; %bb.103:                              ;   in Loop: Header=BB283_15 Depth=1
	s_or_b32 exec_lo, exec_lo, s23
	v_lshlrev_b32_e32 v2, 8, v3
	v_lshl_add_u32 v1, v1, 10, 0x2000
	v_lshlrev_b32_e32 v0, 7, v0
	v_and_b32_e32 v2, 0x8000, v2
	v_and_b32_e32 v1, 0xfc00, v1
	v_or3_b32 v0, v2, v1, v0
	buffer_store_dword v0, off, s[0:3], s32 offset:228 ; 4-byte Folded Spill
.LBB283_104:                            ;   in Loop: Header=BB283_15 Depth=1
	s_or_b32 exec_lo, exec_lo, s22
.LBB283_105:                            ;   in Loop: Header=BB283_15 Depth=1
	s_or_b32 exec_lo, exec_lo, s21
.LBB283_106:                            ;   in Loop: Header=BB283_15 Depth=1
	s_or_b32 exec_lo, exec_lo, s20
	v_mov_b32_e32 v0, 0
	v_mov_b32_e32 v126, 0
	s_mov_b32 s20, exec_lo
	buffer_store_dword v0, off, s[0:3], s32 offset:232 ; 4-byte Folded Spill
	v_cmpx_lt_u32_e32 0xffffff, v27
	s_cbranch_execz .LBB283_114
; %bb.107:                              ;   in Loop: Header=BB283_15 Depth=1
	v_lshrrev_b32_e32 v3, 24, v27
	v_bfrev_b32_e32 v126, 1
	s_mov_b32 s21, exec_lo
	v_cmpx_ne_u32_e32 0x80, v3
	s_cbranch_execz .LBB283_113
; %bb.108:                              ;   in Loop: Header=BB283_15 Depth=1
	v_and_b32_e32 v2, 0x7f, v3
	v_mov_b32_e32 v126, 0x7c010000
	s_mov_b32 s22, exec_lo
	v_cmpx_ne_u32_e32 0x7f, v2
	s_cbranch_execz .LBB283_112
; %bb.109:                              ;   in Loop: Header=BB283_15 Depth=1
	v_and_b32_e32 v0, 7, v3
	v_lshrrev_b32_e32 v1, 3, v2
	s_mov_b32 s23, exec_lo
	v_cmpx_gt_u32_e32 8, v2
; %bb.110:                              ;   in Loop: Header=BB283_15 Depth=1
	v_ffbh_u32_e32 v0, v0
	v_min_u32_e32 v2, 32, v0
	v_subrev_nc_u32_e32 v0, 28, v2
	v_lshlrev_b64 v[0:1], v0, v[3:4]
	v_sub_nc_u32_e32 v1, 29, v2
	v_and_b32_e32 v0, 7, v0
; %bb.111:                              ;   in Loop: Header=BB283_15 Depth=1
	s_or_b32 exec_lo, exec_lo, s23
	v_lshlrev_b32_e32 v2, 8, v3
	v_lshl_add_u32 v1, v1, 10, 0x2000
	v_lshlrev_b32_e32 v0, 23, v0
	v_and_or_b32 v1, 0x8000, v2, v1
	v_lshl_or_b32 v126, v1, 16, v0
.LBB283_112:                            ;   in Loop: Header=BB283_15 Depth=1
	s_or_b32 exec_lo, exec_lo, s22
.LBB283_113:                            ;   in Loop: Header=BB283_15 Depth=1
	s_or_b32 exec_lo, exec_lo, s21
.LBB283_114:                            ;   in Loop: Header=BB283_15 Depth=1
	s_or_b32 exec_lo, exec_lo, s20
	v_mov_b32_e32 v3, v28
	v_cmp_ne_u16_sdwa s5, v28, v4 src0_sel:BYTE_0 src1_sel:DWORD
	s_and_saveexec_b32 s20, s5
	s_cbranch_execz .LBB283_122
; %bb.115:                              ;   in Loop: Header=BB283_15 Depth=1
	v_cmp_ne_u16_sdwa s5, v28, v91 src0_sel:BYTE_0 src1_sel:DWORD
	v_mov_b32_e32 v0, 0x8000
	buffer_store_dword v0, off, s[0:3], s32 offset:232 ; 4-byte Folded Spill
	s_and_saveexec_b32 s21, s5
	s_cbranch_execz .LBB283_121
; %bb.116:                              ;   in Loop: Header=BB283_15 Depth=1
	v_and_b32_e32 v2, 0x7f, v28
	v_mov_b32_e32 v0, 0x7c01
	s_mov_b32 s22, exec_lo
	buffer_store_dword v0, off, s[0:3], s32 offset:232 ; 4-byte Folded Spill
	v_cmpx_ne_u32_e32 0x7f, v2
	s_cbranch_execz .LBB283_120
; %bb.117:                              ;   in Loop: Header=BB283_15 Depth=1
	v_and_b32_e32 v0, 7, v28
	v_lshrrev_b32_e32 v1, 3, v2
	s_mov_b32 s23, exec_lo
	v_cmpx_gt_u32_e32 8, v2
; %bb.118:                              ;   in Loop: Header=BB283_15 Depth=1
	v_ffbh_u32_e32 v0, v0
	v_min_u32_e32 v2, 32, v0
	v_subrev_nc_u32_e32 v0, 28, v2
	v_lshlrev_b64 v[0:1], v0, v[3:4]
	v_sub_nc_u32_e32 v1, 29, v2
	v_and_b32_e32 v0, 7, v0
; %bb.119:                              ;   in Loop: Header=BB283_15 Depth=1
	s_or_b32 exec_lo, exec_lo, s23
	v_lshlrev_b32_e32 v2, 8, v28
	v_lshl_add_u32 v1, v1, 10, 0x2000
	v_lshlrev_b32_e32 v0, 7, v0
	v_and_b32_e32 v2, 0x8000, v2
	v_and_b32_e32 v1, 0xfc00, v1
	v_or3_b32 v0, v2, v1, v0
	buffer_store_dword v0, off, s[0:3], s32 offset:232 ; 4-byte Folded Spill
.LBB283_120:                            ;   in Loop: Header=BB283_15 Depth=1
	s_or_b32 exec_lo, exec_lo, s22
.LBB283_121:                            ;   in Loop: Header=BB283_15 Depth=1
	s_or_b32 exec_lo, exec_lo, s21
.LBB283_122:                            ;   in Loop: Header=BB283_15 Depth=1
	s_or_b32 exec_lo, exec_lo, s20
	v_lshrrev_b16 v3, 8, v3
	v_mov_b32_e32 v0, 0
	v_mov_b32_e32 v111, 0
	s_mov_b32 s20, exec_lo
	buffer_store_dword v0, off, s[0:3], s32 offset:236 ; 4-byte Folded Spill
	v_cmpx_ne_u16_e32 0, v3
	s_cbranch_execz .LBB283_130
; %bb.123:                              ;   in Loop: Header=BB283_15 Depth=1
	v_bfrev_b32_e32 v111, 1
	s_mov_b32 s21, exec_lo
	v_cmpx_ne_u16_e32 0x80, v3
	s_cbranch_execz .LBB283_129
; %bb.124:                              ;   in Loop: Header=BB283_15 Depth=1
	v_mov_b32_e32 v0, 0x7f
	v_mov_b32_e32 v111, 0x7c010000
	s_mov_b32 s22, exec_lo
	v_and_b32_sdwa v2, v3, v0 dst_sel:DWORD dst_unused:UNUSED_PAD src0_sel:WORD_0 src1_sel:DWORD
	v_cmpx_ne_u32_e32 0x7f, v2
	s_cbranch_execz .LBB283_128
; %bb.125:                              ;   in Loop: Header=BB283_15 Depth=1
	v_mov_b32_e32 v0, 7
	v_lshrrev_b32_e32 v1, 3, v2
	s_mov_b32 s23, exec_lo
	v_and_b32_sdwa v0, v3, v0 dst_sel:DWORD dst_unused:UNUSED_PAD src0_sel:WORD_0 src1_sel:DWORD
	v_cmpx_gt_u32_e32 8, v2
; %bb.126:                              ;   in Loop: Header=BB283_15 Depth=1
	v_ffbh_u32_e32 v0, v0
	v_min_u32_e32 v2, 32, v0
	v_subrev_nc_u32_e32 v0, 28, v2
	v_lshlrev_b64 v[0:1], v0, v[3:4]
	v_sub_nc_u32_e32 v1, 29, v2
	v_and_b32_e32 v0, 7, v0
; %bb.127:                              ;   in Loop: Header=BB283_15 Depth=1
	s_or_b32 exec_lo, exec_lo, s23
	v_mov_b32_e32 v2, 8
	v_lshl_add_u32 v1, v1, 10, 0x2000
	v_lshlrev_b32_e32 v0, 23, v0
	v_lshlrev_b32_sdwa v2, v2, v3 dst_sel:DWORD dst_unused:UNUSED_PAD src0_sel:DWORD src1_sel:WORD_0
	v_and_or_b32 v1, 0x8000, v2, v1
	v_lshl_or_b32 v111, v1, 16, v0
.LBB283_128:                            ;   in Loop: Header=BB283_15 Depth=1
	s_or_b32 exec_lo, exec_lo, s22
.LBB283_129:                            ;   in Loop: Header=BB283_15 Depth=1
	s_or_b32 exec_lo, exec_lo, s21
.LBB283_130:                            ;   in Loop: Header=BB283_15 Depth=1
	s_or_b32 exec_lo, exec_lo, s20
	v_lshrrev_b32_e32 v3, 16, v28
	v_cmp_ne_u16_sdwa s5, v3, v4 src0_sel:BYTE_0 src1_sel:DWORD
	s_and_saveexec_b32 s20, s5
	s_cbranch_execz .LBB283_138
; %bb.131:                              ;   in Loop: Header=BB283_15 Depth=1
	v_cmp_ne_u16_sdwa s5, v3, v91 src0_sel:BYTE_0 src1_sel:DWORD
	v_mov_b32_e32 v0, 0x8000
	buffer_store_dword v0, off, s[0:3], s32 offset:236 ; 4-byte Folded Spill
	s_and_saveexec_b32 s21, s5
	s_cbranch_execz .LBB283_137
; %bb.132:                              ;   in Loop: Header=BB283_15 Depth=1
	v_bfe_u32 v2, v28, 16, 7
	v_mov_b32_e32 v0, 0x7c01
	s_mov_b32 s22, exec_lo
	buffer_store_dword v0, off, s[0:3], s32 offset:236 ; 4-byte Folded Spill
	v_cmpx_ne_u32_e32 0x7f, v2
	s_cbranch_execz .LBB283_136
; %bb.133:                              ;   in Loop: Header=BB283_15 Depth=1
	v_and_b32_e32 v0, 7, v3
	v_lshrrev_b32_e32 v1, 3, v2
	s_mov_b32 s23, exec_lo
	v_cmpx_gt_u32_e32 8, v2
; %bb.134:                              ;   in Loop: Header=BB283_15 Depth=1
	v_ffbh_u32_e32 v0, v0
	v_min_u32_e32 v2, 32, v0
	v_subrev_nc_u32_e32 v0, 28, v2
	v_lshlrev_b64 v[0:1], v0, v[3:4]
	v_sub_nc_u32_e32 v1, 29, v2
	v_and_b32_e32 v0, 7, v0
; %bb.135:                              ;   in Loop: Header=BB283_15 Depth=1
	s_or_b32 exec_lo, exec_lo, s23
	v_lshlrev_b32_e32 v2, 8, v3
	v_lshl_add_u32 v1, v1, 10, 0x2000
	v_lshlrev_b32_e32 v0, 7, v0
	v_and_b32_e32 v2, 0x8000, v2
	v_and_b32_e32 v1, 0xfc00, v1
	v_or3_b32 v0, v2, v1, v0
	buffer_store_dword v0, off, s[0:3], s32 offset:236 ; 4-byte Folded Spill
.LBB283_136:                            ;   in Loop: Header=BB283_15 Depth=1
	s_or_b32 exec_lo, exec_lo, s22
.LBB283_137:                            ;   in Loop: Header=BB283_15 Depth=1
	s_or_b32 exec_lo, exec_lo, s21
.LBB283_138:                            ;   in Loop: Header=BB283_15 Depth=1
	s_or_b32 exec_lo, exec_lo, s20
	v_mov_b32_e32 v0, 0
	v_mov_b32_e32 v122, 0
	s_mov_b32 s20, exec_lo
	buffer_store_dword v0, off, s[0:3], s32 offset:240 ; 4-byte Folded Spill
	v_cmpx_lt_u64_e64 s[12:13], v[27:28]
	s_cbranch_execz .LBB283_146
; %bb.139:                              ;   in Loop: Header=BB283_15 Depth=1
	v_lshrrev_b32_e32 v3, 24, v28
	v_bfrev_b32_e32 v122, 1
	s_mov_b32 s21, exec_lo
	v_cmpx_ne_u32_e32 0x80, v3
	s_cbranch_execz .LBB283_145
; %bb.140:                              ;   in Loop: Header=BB283_15 Depth=1
	v_and_b32_e32 v2, 0x7f, v3
	v_mov_b32_e32 v122, 0x7c010000
	s_mov_b32 s22, exec_lo
	v_cmpx_ne_u32_e32 0x7f, v2
	s_cbranch_execz .LBB283_144
; %bb.141:                              ;   in Loop: Header=BB283_15 Depth=1
	v_and_b32_e32 v0, 7, v3
	v_lshrrev_b32_e32 v1, 3, v2
	s_mov_b32 s23, exec_lo
	v_cmpx_gt_u32_e32 8, v2
; %bb.142:                              ;   in Loop: Header=BB283_15 Depth=1
	v_ffbh_u32_e32 v0, v0
	v_min_u32_e32 v2, 32, v0
	v_subrev_nc_u32_e32 v0, 28, v2
	v_lshlrev_b64 v[0:1], v0, v[3:4]
	v_sub_nc_u32_e32 v1, 29, v2
	v_and_b32_e32 v0, 7, v0
; %bb.143:                              ;   in Loop: Header=BB283_15 Depth=1
	s_or_b32 exec_lo, exec_lo, s23
	v_lshlrev_b32_e32 v2, 8, v3
	v_lshl_add_u32 v1, v1, 10, 0x2000
	v_lshlrev_b32_e32 v0, 23, v0
	v_and_or_b32 v1, 0x8000, v2, v1
	v_lshl_or_b32 v122, v1, 16, v0
.LBB283_144:                            ;   in Loop: Header=BB283_15 Depth=1
	s_or_b32 exec_lo, exec_lo, s22
.LBB283_145:                            ;   in Loop: Header=BB283_15 Depth=1
	s_or_b32 exec_lo, exec_lo, s21
.LBB283_146:                            ;   in Loop: Header=BB283_15 Depth=1
	s_or_b32 exec_lo, exec_lo, s20
	flat_load_dwordx2 v[27:28], v[24:25] offset:512
	s_waitcnt vmcnt(0) lgkmcnt(0)
	v_cmp_ne_u16_sdwa s5, v27, v4 src0_sel:BYTE_0 src1_sel:DWORD
	s_and_saveexec_b32 s20, s5
	s_cbranch_execz .LBB283_154
; %bb.147:                              ;   in Loop: Header=BB283_15 Depth=1
	v_cmp_ne_u16_sdwa s5, v27, v91 src0_sel:BYTE_0 src1_sel:DWORD
	v_mov_b32_e32 v0, 0x8000
	buffer_store_dword v0, off, s[0:3], s32 offset:240 ; 4-byte Folded Spill
	s_and_saveexec_b32 s21, s5
	s_cbranch_execz .LBB283_153
; %bb.148:                              ;   in Loop: Header=BB283_15 Depth=1
	v_and_b32_e32 v2, 0x7f, v27
	v_mov_b32_e32 v0, 0x7c01
	s_mov_b32 s22, exec_lo
	buffer_store_dword v0, off, s[0:3], s32 offset:240 ; 4-byte Folded Spill
	v_cmpx_ne_u32_e32 0x7f, v2
	s_cbranch_execz .LBB283_152
; %bb.149:                              ;   in Loop: Header=BB283_15 Depth=1
	v_and_b32_e32 v0, 7, v27
	v_lshrrev_b32_e32 v1, 3, v2
	s_mov_b32 s23, exec_lo
	v_cmpx_gt_u32_e32 8, v2
; %bb.150:                              ;   in Loop: Header=BB283_15 Depth=1
	v_ffbh_u32_e32 v0, v0
	v_min_u32_e32 v2, 32, v0
	v_subrev_nc_u32_e32 v0, 28, v2
	v_lshlrev_b64 v[0:1], v0, v[27:28]
	v_sub_nc_u32_e32 v1, 29, v2
	v_and_b32_e32 v0, 7, v0
; %bb.151:                              ;   in Loop: Header=BB283_15 Depth=1
	s_or_b32 exec_lo, exec_lo, s23
	v_lshlrev_b32_e32 v2, 8, v27
	v_lshl_add_u32 v1, v1, 10, 0x2000
	v_lshlrev_b32_e32 v0, 7, v0
	v_and_b32_e32 v2, 0x8000, v2
	v_and_b32_e32 v1, 0xfc00, v1
	v_or3_b32 v0, v2, v1, v0
	buffer_store_dword v0, off, s[0:3], s32 offset:240 ; 4-byte Folded Spill
.LBB283_152:                            ;   in Loop: Header=BB283_15 Depth=1
	s_or_b32 exec_lo, exec_lo, s22
.LBB283_153:                            ;   in Loop: Header=BB283_15 Depth=1
	s_or_b32 exec_lo, exec_lo, s21
.LBB283_154:                            ;   in Loop: Header=BB283_15 Depth=1
	s_or_b32 exec_lo, exec_lo, s20
	v_lshrrev_b16 v3, 8, v27
	v_mov_b32_e32 v0, 0
	v_mov_b32_e32 v103, 0
	s_mov_b32 s20, exec_lo
	buffer_store_dword v0, off, s[0:3], s32 offset:244 ; 4-byte Folded Spill
	v_cmpx_ne_u16_e32 0, v3
	s_cbranch_execz .LBB283_162
; %bb.155:                              ;   in Loop: Header=BB283_15 Depth=1
	v_bfrev_b32_e32 v103, 1
	s_mov_b32 s21, exec_lo
	v_cmpx_ne_u16_e32 0x80, v3
	s_cbranch_execz .LBB283_161
; %bb.156:                              ;   in Loop: Header=BB283_15 Depth=1
	v_mov_b32_e32 v0, 0x7f
	v_mov_b32_e32 v103, 0x7c010000
	s_mov_b32 s22, exec_lo
	v_and_b32_sdwa v2, v3, v0 dst_sel:DWORD dst_unused:UNUSED_PAD src0_sel:WORD_0 src1_sel:DWORD
	v_cmpx_ne_u32_e32 0x7f, v2
	s_cbranch_execz .LBB283_160
; %bb.157:                              ;   in Loop: Header=BB283_15 Depth=1
	v_mov_b32_e32 v0, 7
	v_lshrrev_b32_e32 v1, 3, v2
	s_mov_b32 s23, exec_lo
	v_and_b32_sdwa v0, v3, v0 dst_sel:DWORD dst_unused:UNUSED_PAD src0_sel:WORD_0 src1_sel:DWORD
	v_cmpx_gt_u32_e32 8, v2
; %bb.158:                              ;   in Loop: Header=BB283_15 Depth=1
	v_ffbh_u32_e32 v0, v0
	v_min_u32_e32 v2, 32, v0
	v_subrev_nc_u32_e32 v0, 28, v2
	v_lshlrev_b64 v[0:1], v0, v[3:4]
	v_sub_nc_u32_e32 v1, 29, v2
	v_and_b32_e32 v0, 7, v0
; %bb.159:                              ;   in Loop: Header=BB283_15 Depth=1
	s_or_b32 exec_lo, exec_lo, s23
	v_mov_b32_e32 v2, 8
	v_lshl_add_u32 v1, v1, 10, 0x2000
	v_lshlrev_b32_e32 v0, 23, v0
	v_lshlrev_b32_sdwa v2, v2, v3 dst_sel:DWORD dst_unused:UNUSED_PAD src0_sel:DWORD src1_sel:WORD_0
	v_and_or_b32 v1, 0x8000, v2, v1
	v_lshl_or_b32 v103, v1, 16, v0
.LBB283_160:                            ;   in Loop: Header=BB283_15 Depth=1
	s_or_b32 exec_lo, exec_lo, s22
.LBB283_161:                            ;   in Loop: Header=BB283_15 Depth=1
	s_or_b32 exec_lo, exec_lo, s21
.LBB283_162:                            ;   in Loop: Header=BB283_15 Depth=1
	s_or_b32 exec_lo, exec_lo, s20
	v_lshrrev_b32_e32 v3, 16, v27
	v_cmp_ne_u16_sdwa s5, v3, v4 src0_sel:BYTE_0 src1_sel:DWORD
	s_and_saveexec_b32 s20, s5
	s_cbranch_execz .LBB283_170
; %bb.163:                              ;   in Loop: Header=BB283_15 Depth=1
	v_cmp_ne_u16_sdwa s5, v3, v91 src0_sel:BYTE_0 src1_sel:DWORD
	v_mov_b32_e32 v0, 0x8000
	buffer_store_dword v0, off, s[0:3], s32 offset:244 ; 4-byte Folded Spill
	s_and_saveexec_b32 s21, s5
	s_cbranch_execz .LBB283_169
; %bb.164:                              ;   in Loop: Header=BB283_15 Depth=1
	v_bfe_u32 v2, v27, 16, 7
	v_mov_b32_e32 v0, 0x7c01
	s_mov_b32 s22, exec_lo
	buffer_store_dword v0, off, s[0:3], s32 offset:244 ; 4-byte Folded Spill
	v_cmpx_ne_u32_e32 0x7f, v2
	s_cbranch_execz .LBB283_168
; %bb.165:                              ;   in Loop: Header=BB283_15 Depth=1
	v_and_b32_e32 v0, 7, v3
	v_lshrrev_b32_e32 v1, 3, v2
	s_mov_b32 s23, exec_lo
	v_cmpx_gt_u32_e32 8, v2
; %bb.166:                              ;   in Loop: Header=BB283_15 Depth=1
	v_ffbh_u32_e32 v0, v0
	v_min_u32_e32 v2, 32, v0
	v_subrev_nc_u32_e32 v0, 28, v2
	v_lshlrev_b64 v[0:1], v0, v[3:4]
	v_sub_nc_u32_e32 v1, 29, v2
	v_and_b32_e32 v0, 7, v0
; %bb.167:                              ;   in Loop: Header=BB283_15 Depth=1
	s_or_b32 exec_lo, exec_lo, s23
	v_lshlrev_b32_e32 v2, 8, v3
	v_lshl_add_u32 v1, v1, 10, 0x2000
	v_lshlrev_b32_e32 v0, 7, v0
	v_and_b32_e32 v2, 0x8000, v2
	v_and_b32_e32 v1, 0xfc00, v1
	v_or3_b32 v0, v2, v1, v0
	buffer_store_dword v0, off, s[0:3], s32 offset:244 ; 4-byte Folded Spill
.LBB283_168:                            ;   in Loop: Header=BB283_15 Depth=1
	s_or_b32 exec_lo, exec_lo, s22
.LBB283_169:                            ;   in Loop: Header=BB283_15 Depth=1
	s_or_b32 exec_lo, exec_lo, s21
.LBB283_170:                            ;   in Loop: Header=BB283_15 Depth=1
	s_or_b32 exec_lo, exec_lo, s20
	v_mov_b32_e32 v0, 0
	v_mov_b32_e32 v114, 0
	s_mov_b32 s20, exec_lo
	buffer_store_dword v0, off, s[0:3], s32 offset:248 ; 4-byte Folded Spill
	v_cmpx_lt_u32_e32 0xffffff, v27
	s_cbranch_execz .LBB283_178
; %bb.171:                              ;   in Loop: Header=BB283_15 Depth=1
	v_lshrrev_b32_e32 v3, 24, v27
	v_bfrev_b32_e32 v114, 1
	s_mov_b32 s21, exec_lo
	v_cmpx_ne_u32_e32 0x80, v3
	s_cbranch_execz .LBB283_177
; %bb.172:                              ;   in Loop: Header=BB283_15 Depth=1
	v_and_b32_e32 v2, 0x7f, v3
	v_mov_b32_e32 v114, 0x7c010000
	s_mov_b32 s22, exec_lo
	v_cmpx_ne_u32_e32 0x7f, v2
	s_cbranch_execz .LBB283_176
; %bb.173:                              ;   in Loop: Header=BB283_15 Depth=1
	v_and_b32_e32 v0, 7, v3
	v_lshrrev_b32_e32 v1, 3, v2
	s_mov_b32 s23, exec_lo
	v_cmpx_gt_u32_e32 8, v2
; %bb.174:                              ;   in Loop: Header=BB283_15 Depth=1
	v_ffbh_u32_e32 v0, v0
	v_min_u32_e32 v2, 32, v0
	v_subrev_nc_u32_e32 v0, 28, v2
	v_lshlrev_b64 v[0:1], v0, v[3:4]
	v_sub_nc_u32_e32 v1, 29, v2
	v_and_b32_e32 v0, 7, v0
; %bb.175:                              ;   in Loop: Header=BB283_15 Depth=1
	s_or_b32 exec_lo, exec_lo, s23
	v_lshlrev_b32_e32 v2, 8, v3
	v_lshl_add_u32 v1, v1, 10, 0x2000
	v_lshlrev_b32_e32 v0, 23, v0
	v_and_or_b32 v1, 0x8000, v2, v1
	v_lshl_or_b32 v114, v1, 16, v0
.LBB283_176:                            ;   in Loop: Header=BB283_15 Depth=1
	s_or_b32 exec_lo, exec_lo, s22
.LBB283_177:                            ;   in Loop: Header=BB283_15 Depth=1
	s_or_b32 exec_lo, exec_lo, s21
.LBB283_178:                            ;   in Loop: Header=BB283_15 Depth=1
	s_or_b32 exec_lo, exec_lo, s20
	v_mov_b32_e32 v3, v28
	v_cmp_ne_u16_sdwa s5, v28, v4 src0_sel:BYTE_0 src1_sel:DWORD
	s_and_saveexec_b32 s20, s5
	s_cbranch_execz .LBB283_186
; %bb.179:                              ;   in Loop: Header=BB283_15 Depth=1
	v_cmp_ne_u16_sdwa s5, v28, v91 src0_sel:BYTE_0 src1_sel:DWORD
	v_mov_b32_e32 v0, 0x8000
	buffer_store_dword v0, off, s[0:3], s32 offset:248 ; 4-byte Folded Spill
	s_and_saveexec_b32 s21, s5
	s_cbranch_execz .LBB283_185
; %bb.180:                              ;   in Loop: Header=BB283_15 Depth=1
	v_and_b32_e32 v2, 0x7f, v28
	v_mov_b32_e32 v0, 0x7c01
	s_mov_b32 s22, exec_lo
	buffer_store_dword v0, off, s[0:3], s32 offset:248 ; 4-byte Folded Spill
	v_cmpx_ne_u32_e32 0x7f, v2
	s_cbranch_execz .LBB283_184
; %bb.181:                              ;   in Loop: Header=BB283_15 Depth=1
	v_and_b32_e32 v0, 7, v28
	v_lshrrev_b32_e32 v1, 3, v2
	s_mov_b32 s23, exec_lo
	v_cmpx_gt_u32_e32 8, v2
; %bb.182:                              ;   in Loop: Header=BB283_15 Depth=1
	v_ffbh_u32_e32 v0, v0
	v_min_u32_e32 v2, 32, v0
	v_subrev_nc_u32_e32 v0, 28, v2
	v_lshlrev_b64 v[0:1], v0, v[3:4]
	v_sub_nc_u32_e32 v1, 29, v2
	v_and_b32_e32 v0, 7, v0
; %bb.183:                              ;   in Loop: Header=BB283_15 Depth=1
	s_or_b32 exec_lo, exec_lo, s23
	v_lshlrev_b32_e32 v2, 8, v28
	v_lshl_add_u32 v1, v1, 10, 0x2000
	v_lshlrev_b32_e32 v0, 7, v0
	v_and_b32_e32 v2, 0x8000, v2
	v_and_b32_e32 v1, 0xfc00, v1
	v_or3_b32 v0, v2, v1, v0
	buffer_store_dword v0, off, s[0:3], s32 offset:248 ; 4-byte Folded Spill
.LBB283_184:                            ;   in Loop: Header=BB283_15 Depth=1
	s_or_b32 exec_lo, exec_lo, s22
.LBB283_185:                            ;   in Loop: Header=BB283_15 Depth=1
	s_or_b32 exec_lo, exec_lo, s21
.LBB283_186:                            ;   in Loop: Header=BB283_15 Depth=1
	s_or_b32 exec_lo, exec_lo, s20
	v_lshrrev_b16 v3, 8, v3
	v_mov_b32_e32 v0, 0
	v_mov_b32_e32 v116, 0
	s_mov_b32 s20, exec_lo
	buffer_store_dword v0, off, s[0:3], s32 offset:252 ; 4-byte Folded Spill
	v_cmpx_ne_u16_e32 0, v3
	s_cbranch_execz .LBB283_194
; %bb.187:                              ;   in Loop: Header=BB283_15 Depth=1
	v_bfrev_b32_e32 v116, 1
	s_mov_b32 s21, exec_lo
	v_cmpx_ne_u16_e32 0x80, v3
	s_cbranch_execz .LBB283_193
; %bb.188:                              ;   in Loop: Header=BB283_15 Depth=1
	v_mov_b32_e32 v0, 0x7f
	v_mov_b32_e32 v116, 0x7c010000
	s_mov_b32 s22, exec_lo
	v_and_b32_sdwa v2, v3, v0 dst_sel:DWORD dst_unused:UNUSED_PAD src0_sel:WORD_0 src1_sel:DWORD
	v_cmpx_ne_u32_e32 0x7f, v2
	s_cbranch_execz .LBB283_192
; %bb.189:                              ;   in Loop: Header=BB283_15 Depth=1
	v_mov_b32_e32 v0, 7
	v_lshrrev_b32_e32 v1, 3, v2
	s_mov_b32 s23, exec_lo
	v_and_b32_sdwa v0, v3, v0 dst_sel:DWORD dst_unused:UNUSED_PAD src0_sel:WORD_0 src1_sel:DWORD
	v_cmpx_gt_u32_e32 8, v2
; %bb.190:                              ;   in Loop: Header=BB283_15 Depth=1
	v_ffbh_u32_e32 v0, v0
	v_min_u32_e32 v2, 32, v0
	v_subrev_nc_u32_e32 v0, 28, v2
	v_lshlrev_b64 v[0:1], v0, v[3:4]
	v_sub_nc_u32_e32 v1, 29, v2
	v_and_b32_e32 v0, 7, v0
; %bb.191:                              ;   in Loop: Header=BB283_15 Depth=1
	s_or_b32 exec_lo, exec_lo, s23
	v_mov_b32_e32 v2, 8
	v_lshl_add_u32 v1, v1, 10, 0x2000
	v_lshlrev_b32_e32 v0, 23, v0
	v_lshlrev_b32_sdwa v2, v2, v3 dst_sel:DWORD dst_unused:UNUSED_PAD src0_sel:DWORD src1_sel:WORD_0
	v_and_or_b32 v1, 0x8000, v2, v1
	v_lshl_or_b32 v116, v1, 16, v0
.LBB283_192:                            ;   in Loop: Header=BB283_15 Depth=1
	s_or_b32 exec_lo, exec_lo, s22
.LBB283_193:                            ;   in Loop: Header=BB283_15 Depth=1
	s_or_b32 exec_lo, exec_lo, s21
.LBB283_194:                            ;   in Loop: Header=BB283_15 Depth=1
	s_or_b32 exec_lo, exec_lo, s20
	v_lshrrev_b32_e32 v3, 16, v28
	v_cmp_ne_u16_sdwa s5, v3, v4 src0_sel:BYTE_0 src1_sel:DWORD
	s_and_saveexec_b32 s20, s5
	s_cbranch_execz .LBB283_202
; %bb.195:                              ;   in Loop: Header=BB283_15 Depth=1
	v_cmp_ne_u16_sdwa s5, v3, v91 src0_sel:BYTE_0 src1_sel:DWORD
	v_mov_b32_e32 v0, 0x8000
	buffer_store_dword v0, off, s[0:3], s32 offset:252 ; 4-byte Folded Spill
	s_and_saveexec_b32 s21, s5
	s_cbranch_execz .LBB283_201
; %bb.196:                              ;   in Loop: Header=BB283_15 Depth=1
	v_bfe_u32 v2, v28, 16, 7
	v_mov_b32_e32 v0, 0x7c01
	s_mov_b32 s22, exec_lo
	buffer_store_dword v0, off, s[0:3], s32 offset:252 ; 4-byte Folded Spill
	v_cmpx_ne_u32_e32 0x7f, v2
	s_cbranch_execz .LBB283_200
; %bb.197:                              ;   in Loop: Header=BB283_15 Depth=1
	v_and_b32_e32 v0, 7, v3
	v_lshrrev_b32_e32 v1, 3, v2
	s_mov_b32 s23, exec_lo
	v_cmpx_gt_u32_e32 8, v2
; %bb.198:                              ;   in Loop: Header=BB283_15 Depth=1
	v_ffbh_u32_e32 v0, v0
	v_min_u32_e32 v2, 32, v0
	v_subrev_nc_u32_e32 v0, 28, v2
	v_lshlrev_b64 v[0:1], v0, v[3:4]
	v_sub_nc_u32_e32 v1, 29, v2
	v_and_b32_e32 v0, 7, v0
; %bb.199:                              ;   in Loop: Header=BB283_15 Depth=1
	s_or_b32 exec_lo, exec_lo, s23
	v_lshlrev_b32_e32 v2, 8, v3
	v_lshl_add_u32 v1, v1, 10, 0x2000
	v_lshlrev_b32_e32 v0, 7, v0
	v_and_b32_e32 v2, 0x8000, v2
	v_and_b32_e32 v1, 0xfc00, v1
	v_or3_b32 v0, v2, v1, v0
	buffer_store_dword v0, off, s[0:3], s32 offset:252 ; 4-byte Folded Spill
.LBB283_200:                            ;   in Loop: Header=BB283_15 Depth=1
	s_or_b32 exec_lo, exec_lo, s22
.LBB283_201:                            ;   in Loop: Header=BB283_15 Depth=1
	s_or_b32 exec_lo, exec_lo, s21
.LBB283_202:                            ;   in Loop: Header=BB283_15 Depth=1
	s_or_b32 exec_lo, exec_lo, s20
	v_mov_b32_e32 v105, 0
	v_mov_b32_e32 v107, 0
	s_mov_b32 s20, exec_lo
	v_cmpx_lt_u64_e64 s[12:13], v[27:28]
	s_cbranch_execz .LBB283_210
; %bb.203:                              ;   in Loop: Header=BB283_15 Depth=1
	v_lshrrev_b32_e32 v3, 24, v28
	v_bfrev_b32_e32 v107, 1
	s_mov_b32 s21, exec_lo
	v_cmpx_ne_u32_e32 0x80, v3
	s_cbranch_execz .LBB283_209
; %bb.204:                              ;   in Loop: Header=BB283_15 Depth=1
	v_and_b32_e32 v2, 0x7f, v3
	v_mov_b32_e32 v107, 0x7c010000
	s_mov_b32 s22, exec_lo
	v_cmpx_ne_u32_e32 0x7f, v2
	s_cbranch_execz .LBB283_208
; %bb.205:                              ;   in Loop: Header=BB283_15 Depth=1
	v_and_b32_e32 v0, 7, v3
	v_lshrrev_b32_e32 v1, 3, v2
	s_mov_b32 s23, exec_lo
	v_cmpx_gt_u32_e32 8, v2
; %bb.206:                              ;   in Loop: Header=BB283_15 Depth=1
	v_ffbh_u32_e32 v0, v0
	v_min_u32_e32 v2, 32, v0
	v_subrev_nc_u32_e32 v0, 28, v2
	v_lshlrev_b64 v[0:1], v0, v[3:4]
	v_sub_nc_u32_e32 v1, 29, v2
	v_and_b32_e32 v0, 7, v0
; %bb.207:                              ;   in Loop: Header=BB283_15 Depth=1
	s_or_b32 exec_lo, exec_lo, s23
	v_lshlrev_b32_e32 v2, 8, v3
	v_lshl_add_u32 v1, v1, 10, 0x2000
	v_lshlrev_b32_e32 v0, 23, v0
	v_and_or_b32 v1, 0x8000, v2, v1
	v_lshl_or_b32 v107, v1, 16, v0
.LBB283_208:                            ;   in Loop: Header=BB283_15 Depth=1
	s_or_b32 exec_lo, exec_lo, s22
.LBB283_209:                            ;   in Loop: Header=BB283_15 Depth=1
	s_or_b32 exec_lo, exec_lo, s21
.LBB283_210:                            ;   in Loop: Header=BB283_15 Depth=1
	s_or_b32 exec_lo, exec_lo, s20
	flat_load_dwordx2 v[27:28], v[24:25] offset:520
	s_waitcnt vmcnt(0) lgkmcnt(0)
	v_cmp_ne_u16_sdwa s5, v27, v4 src0_sel:BYTE_0 src1_sel:DWORD
	s_and_saveexec_b32 s20, s5
	s_cbranch_execz .LBB283_218
; %bb.211:                              ;   in Loop: Header=BB283_15 Depth=1
	v_cmp_ne_u16_sdwa s5, v27, v91 src0_sel:BYTE_0 src1_sel:DWORD
	v_mov_b32_e32 v105, 0x8000
	s_and_saveexec_b32 s21, s5
	s_cbranch_execz .LBB283_217
; %bb.212:                              ;   in Loop: Header=BB283_15 Depth=1
	v_and_b32_e32 v2, 0x7f, v27
	v_mov_b32_e32 v105, 0x7c01
	s_mov_b32 s22, exec_lo
	v_cmpx_ne_u32_e32 0x7f, v2
	s_cbranch_execz .LBB283_216
; %bb.213:                              ;   in Loop: Header=BB283_15 Depth=1
	v_and_b32_e32 v0, 7, v27
	v_lshrrev_b32_e32 v1, 3, v2
	s_mov_b32 s23, exec_lo
	v_cmpx_gt_u32_e32 8, v2
; %bb.214:                              ;   in Loop: Header=BB283_15 Depth=1
	v_ffbh_u32_e32 v0, v0
	v_min_u32_e32 v2, 32, v0
	v_subrev_nc_u32_e32 v0, 28, v2
	v_lshlrev_b64 v[0:1], v0, v[27:28]
	v_sub_nc_u32_e32 v1, 29, v2
	v_and_b32_e32 v0, 7, v0
; %bb.215:                              ;   in Loop: Header=BB283_15 Depth=1
	s_or_b32 exec_lo, exec_lo, s23
	v_lshlrev_b32_e32 v2, 8, v27
	v_lshl_add_u32 v1, v1, 10, 0x2000
	v_lshlrev_b32_e32 v0, 7, v0
	v_and_b32_e32 v2, 0x8000, v2
	v_and_b32_e32 v1, 0xfc00, v1
	v_or3_b32 v105, v2, v1, v0
.LBB283_216:                            ;   in Loop: Header=BB283_15 Depth=1
	s_or_b32 exec_lo, exec_lo, s22
.LBB283_217:                            ;   in Loop: Header=BB283_15 Depth=1
	s_or_b32 exec_lo, exec_lo, s21
.LBB283_218:                            ;   in Loop: Header=BB283_15 Depth=1
	s_or_b32 exec_lo, exec_lo, s20
	v_lshrrev_b16 v3, 8, v27
	v_mov_b32_e32 v123, 0
	v_mov_b32_e32 v119, 0
	s_mov_b32 s20, exec_lo
	v_cmpx_ne_u16_e32 0, v3
	s_cbranch_execz .LBB283_226
; %bb.219:                              ;   in Loop: Header=BB283_15 Depth=1
	v_bfrev_b32_e32 v119, 1
	s_mov_b32 s21, exec_lo
	v_cmpx_ne_u16_e32 0x80, v3
	s_cbranch_execz .LBB283_225
; %bb.220:                              ;   in Loop: Header=BB283_15 Depth=1
	v_mov_b32_e32 v0, 0x7f
	v_mov_b32_e32 v119, 0x7c010000
	s_mov_b32 s22, exec_lo
	v_and_b32_sdwa v2, v3, v0 dst_sel:DWORD dst_unused:UNUSED_PAD src0_sel:WORD_0 src1_sel:DWORD
	v_cmpx_ne_u32_e32 0x7f, v2
	s_cbranch_execz .LBB283_224
; %bb.221:                              ;   in Loop: Header=BB283_15 Depth=1
	v_mov_b32_e32 v0, 7
	v_lshrrev_b32_e32 v1, 3, v2
	s_mov_b32 s23, exec_lo
	v_and_b32_sdwa v0, v3, v0 dst_sel:DWORD dst_unused:UNUSED_PAD src0_sel:WORD_0 src1_sel:DWORD
	v_cmpx_gt_u32_e32 8, v2
; %bb.222:                              ;   in Loop: Header=BB283_15 Depth=1
	v_ffbh_u32_e32 v0, v0
	v_min_u32_e32 v2, 32, v0
	v_subrev_nc_u32_e32 v0, 28, v2
	v_lshlrev_b64 v[0:1], v0, v[3:4]
	v_sub_nc_u32_e32 v1, 29, v2
	v_and_b32_e32 v0, 7, v0
; %bb.223:                              ;   in Loop: Header=BB283_15 Depth=1
	s_or_b32 exec_lo, exec_lo, s23
	v_mov_b32_e32 v2, 8
	v_lshl_add_u32 v1, v1, 10, 0x2000
	v_lshlrev_b32_e32 v0, 23, v0
	v_lshlrev_b32_sdwa v2, v2, v3 dst_sel:DWORD dst_unused:UNUSED_PAD src0_sel:DWORD src1_sel:WORD_0
	v_and_or_b32 v1, 0x8000, v2, v1
	v_lshl_or_b32 v119, v1, 16, v0
.LBB283_224:                            ;   in Loop: Header=BB283_15 Depth=1
	s_or_b32 exec_lo, exec_lo, s22
.LBB283_225:                            ;   in Loop: Header=BB283_15 Depth=1
	s_or_b32 exec_lo, exec_lo, s21
.LBB283_226:                            ;   in Loop: Header=BB283_15 Depth=1
	s_or_b32 exec_lo, exec_lo, s20
	v_lshrrev_b32_e32 v3, 16, v27
	v_cmp_ne_u16_sdwa s5, v3, v4 src0_sel:BYTE_0 src1_sel:DWORD
	s_and_saveexec_b32 s20, s5
	s_cbranch_execz .LBB283_234
; %bb.227:                              ;   in Loop: Header=BB283_15 Depth=1
	v_cmp_ne_u16_sdwa s5, v3, v91 src0_sel:BYTE_0 src1_sel:DWORD
	v_mov_b32_e32 v123, 0x8000
	s_and_saveexec_b32 s21, s5
	s_cbranch_execz .LBB283_233
; %bb.228:                              ;   in Loop: Header=BB283_15 Depth=1
	v_bfe_u32 v2, v27, 16, 7
	v_mov_b32_e32 v123, 0x7c01
	s_mov_b32 s22, exec_lo
	v_cmpx_ne_u32_e32 0x7f, v2
	s_cbranch_execz .LBB283_232
; %bb.229:                              ;   in Loop: Header=BB283_15 Depth=1
	v_and_b32_e32 v0, 7, v3
	v_lshrrev_b32_e32 v1, 3, v2
	s_mov_b32 s23, exec_lo
	v_cmpx_gt_u32_e32 8, v2
; %bb.230:                              ;   in Loop: Header=BB283_15 Depth=1
	v_ffbh_u32_e32 v0, v0
	v_min_u32_e32 v2, 32, v0
	v_subrev_nc_u32_e32 v0, 28, v2
	v_lshlrev_b64 v[0:1], v0, v[3:4]
	v_sub_nc_u32_e32 v1, 29, v2
	v_and_b32_e32 v0, 7, v0
; %bb.231:                              ;   in Loop: Header=BB283_15 Depth=1
	s_or_b32 exec_lo, exec_lo, s23
	v_lshlrev_b32_e32 v2, 8, v3
	v_lshl_add_u32 v1, v1, 10, 0x2000
	v_lshlrev_b32_e32 v0, 7, v0
	v_and_b32_e32 v2, 0x8000, v2
	v_and_b32_e32 v1, 0xfc00, v1
	v_or3_b32 v123, v2, v1, v0
.LBB283_232:                            ;   in Loop: Header=BB283_15 Depth=1
	s_or_b32 exec_lo, exec_lo, s22
.LBB283_233:                            ;   in Loop: Header=BB283_15 Depth=1
	s_or_b32 exec_lo, exec_lo, s21
.LBB283_234:                            ;   in Loop: Header=BB283_15 Depth=1
	s_or_b32 exec_lo, exec_lo, s20
	v_mov_b32_e32 v0, 0
	v_mov_b32_e32 v42, 0
	s_mov_b32 s20, exec_lo
	buffer_store_dword v0, off, s[0:3], s32 offset:256 ; 4-byte Folded Spill
	v_cmpx_lt_u32_e32 0xffffff, v27
	s_cbranch_execz .LBB283_242
; %bb.235:                              ;   in Loop: Header=BB283_15 Depth=1
	v_lshrrev_b32_e32 v3, 24, v27
	v_bfrev_b32_e32 v42, 1
	s_mov_b32 s21, exec_lo
	v_cmpx_ne_u32_e32 0x80, v3
	s_cbranch_execz .LBB283_241
; %bb.236:                              ;   in Loop: Header=BB283_15 Depth=1
	v_and_b32_e32 v2, 0x7f, v3
	v_mov_b32_e32 v42, 0x7c010000
	s_mov_b32 s22, exec_lo
	v_cmpx_ne_u32_e32 0x7f, v2
	s_cbranch_execz .LBB283_240
; %bb.237:                              ;   in Loop: Header=BB283_15 Depth=1
	v_and_b32_e32 v0, 7, v3
	v_lshrrev_b32_e32 v1, 3, v2
	s_mov_b32 s23, exec_lo
	v_cmpx_gt_u32_e32 8, v2
; %bb.238:                              ;   in Loop: Header=BB283_15 Depth=1
	v_ffbh_u32_e32 v0, v0
	v_min_u32_e32 v2, 32, v0
	v_subrev_nc_u32_e32 v0, 28, v2
	v_lshlrev_b64 v[0:1], v0, v[3:4]
	v_sub_nc_u32_e32 v1, 29, v2
	v_and_b32_e32 v0, 7, v0
; %bb.239:                              ;   in Loop: Header=BB283_15 Depth=1
	s_or_b32 exec_lo, exec_lo, s23
	v_lshlrev_b32_e32 v2, 8, v3
	v_lshl_add_u32 v1, v1, 10, 0x2000
	v_lshlrev_b32_e32 v0, 23, v0
	v_and_or_b32 v1, 0x8000, v2, v1
	v_lshl_or_b32 v42, v1, 16, v0
.LBB283_240:                            ;   in Loop: Header=BB283_15 Depth=1
	s_or_b32 exec_lo, exec_lo, s22
.LBB283_241:                            ;   in Loop: Header=BB283_15 Depth=1
	s_or_b32 exec_lo, exec_lo, s21
.LBB283_242:                            ;   in Loop: Header=BB283_15 Depth=1
	s_or_b32 exec_lo, exec_lo, s20
	v_mov_b32_e32 v3, v28
	v_cmp_ne_u16_sdwa s5, v28, v4 src0_sel:BYTE_0 src1_sel:DWORD
	s_and_saveexec_b32 s20, s5
	s_cbranch_execz .LBB283_250
; %bb.243:                              ;   in Loop: Header=BB283_15 Depth=1
	v_cmp_ne_u16_sdwa s5, v28, v91 src0_sel:BYTE_0 src1_sel:DWORD
	v_mov_b32_e32 v0, 0x8000
	buffer_store_dword v0, off, s[0:3], s32 offset:256 ; 4-byte Folded Spill
	s_and_saveexec_b32 s21, s5
	s_cbranch_execz .LBB283_249
; %bb.244:                              ;   in Loop: Header=BB283_15 Depth=1
	v_and_b32_e32 v2, 0x7f, v28
	v_mov_b32_e32 v0, 0x7c01
	s_mov_b32 s22, exec_lo
	buffer_store_dword v0, off, s[0:3], s32 offset:256 ; 4-byte Folded Spill
	v_cmpx_ne_u32_e32 0x7f, v2
	s_cbranch_execz .LBB283_248
; %bb.245:                              ;   in Loop: Header=BB283_15 Depth=1
	v_and_b32_e32 v0, 7, v28
	v_lshrrev_b32_e32 v1, 3, v2
	s_mov_b32 s23, exec_lo
	v_cmpx_gt_u32_e32 8, v2
; %bb.246:                              ;   in Loop: Header=BB283_15 Depth=1
	v_ffbh_u32_e32 v0, v0
	v_min_u32_e32 v2, 32, v0
	v_subrev_nc_u32_e32 v0, 28, v2
	v_lshlrev_b64 v[0:1], v0, v[3:4]
	v_sub_nc_u32_e32 v1, 29, v2
	v_and_b32_e32 v0, 7, v0
; %bb.247:                              ;   in Loop: Header=BB283_15 Depth=1
	s_or_b32 exec_lo, exec_lo, s23
	v_lshlrev_b32_e32 v2, 8, v28
	v_lshl_add_u32 v1, v1, 10, 0x2000
	v_lshlrev_b32_e32 v0, 7, v0
	v_and_b32_e32 v2, 0x8000, v2
	v_and_b32_e32 v1, 0xfc00, v1
	v_or3_b32 v0, v2, v1, v0
	buffer_store_dword v0, off, s[0:3], s32 offset:256 ; 4-byte Folded Spill
.LBB283_248:                            ;   in Loop: Header=BB283_15 Depth=1
	s_or_b32 exec_lo, exec_lo, s22
.LBB283_249:                            ;   in Loop: Header=BB283_15 Depth=1
	s_or_b32 exec_lo, exec_lo, s21
.LBB283_250:                            ;   in Loop: Header=BB283_15 Depth=1
	s_or_b32 exec_lo, exec_lo, s20
	v_lshrrev_b16 v3, 8, v3
	v_mov_b32_e32 v43, 0
	v_mov_b32_e32 v44, 0
	s_mov_b32 s20, exec_lo
	v_cmpx_ne_u16_e32 0, v3
	s_cbranch_execz .LBB283_258
; %bb.251:                              ;   in Loop: Header=BB283_15 Depth=1
	v_bfrev_b32_e32 v44, 1
	s_mov_b32 s21, exec_lo
	v_cmpx_ne_u16_e32 0x80, v3
	s_cbranch_execz .LBB283_257
; %bb.252:                              ;   in Loop: Header=BB283_15 Depth=1
	v_mov_b32_e32 v0, 0x7f
	v_mov_b32_e32 v44, 0x7c010000
	s_mov_b32 s22, exec_lo
	v_and_b32_sdwa v2, v3, v0 dst_sel:DWORD dst_unused:UNUSED_PAD src0_sel:WORD_0 src1_sel:DWORD
	v_cmpx_ne_u32_e32 0x7f, v2
	s_cbranch_execz .LBB283_256
; %bb.253:                              ;   in Loop: Header=BB283_15 Depth=1
	v_mov_b32_e32 v0, 7
	v_lshrrev_b32_e32 v1, 3, v2
	s_mov_b32 s23, exec_lo
	v_and_b32_sdwa v0, v3, v0 dst_sel:DWORD dst_unused:UNUSED_PAD src0_sel:WORD_0 src1_sel:DWORD
	v_cmpx_gt_u32_e32 8, v2
; %bb.254:                              ;   in Loop: Header=BB283_15 Depth=1
	v_ffbh_u32_e32 v0, v0
	v_min_u32_e32 v2, 32, v0
	v_subrev_nc_u32_e32 v0, 28, v2
	v_lshlrev_b64 v[0:1], v0, v[3:4]
	v_sub_nc_u32_e32 v1, 29, v2
	v_and_b32_e32 v0, 7, v0
; %bb.255:                              ;   in Loop: Header=BB283_15 Depth=1
	s_or_b32 exec_lo, exec_lo, s23
	v_mov_b32_e32 v2, 8
	v_lshl_add_u32 v1, v1, 10, 0x2000
	v_lshlrev_b32_e32 v0, 23, v0
	v_lshlrev_b32_sdwa v2, v2, v3 dst_sel:DWORD dst_unused:UNUSED_PAD src0_sel:DWORD src1_sel:WORD_0
	v_and_or_b32 v1, 0x8000, v2, v1
	v_lshl_or_b32 v44, v1, 16, v0
.LBB283_256:                            ;   in Loop: Header=BB283_15 Depth=1
	s_or_b32 exec_lo, exec_lo, s22
.LBB283_257:                            ;   in Loop: Header=BB283_15 Depth=1
	s_or_b32 exec_lo, exec_lo, s21
.LBB283_258:                            ;   in Loop: Header=BB283_15 Depth=1
	s_or_b32 exec_lo, exec_lo, s20
	v_lshrrev_b32_e32 v3, 16, v28
	v_cmp_ne_u16_sdwa s5, v3, v4 src0_sel:BYTE_0 src1_sel:DWORD
	s_and_saveexec_b32 s20, s5
	s_cbranch_execz .LBB283_266
; %bb.259:                              ;   in Loop: Header=BB283_15 Depth=1
	v_cmp_ne_u16_sdwa s5, v3, v91 src0_sel:BYTE_0 src1_sel:DWORD
	v_mov_b32_e32 v43, 0x8000
	s_and_saveexec_b32 s21, s5
	s_cbranch_execz .LBB283_265
; %bb.260:                              ;   in Loop: Header=BB283_15 Depth=1
	v_bfe_u32 v2, v28, 16, 7
	v_mov_b32_e32 v43, 0x7c01
	s_mov_b32 s22, exec_lo
	v_cmpx_ne_u32_e32 0x7f, v2
	s_cbranch_execz .LBB283_264
; %bb.261:                              ;   in Loop: Header=BB283_15 Depth=1
	v_and_b32_e32 v0, 7, v3
	v_lshrrev_b32_e32 v1, 3, v2
	s_mov_b32 s23, exec_lo
	v_cmpx_gt_u32_e32 8, v2
; %bb.262:                              ;   in Loop: Header=BB283_15 Depth=1
	v_ffbh_u32_e32 v0, v0
	v_min_u32_e32 v2, 32, v0
	v_subrev_nc_u32_e32 v0, 28, v2
	v_lshlrev_b64 v[0:1], v0, v[3:4]
	v_sub_nc_u32_e32 v1, 29, v2
	v_and_b32_e32 v0, 7, v0
; %bb.263:                              ;   in Loop: Header=BB283_15 Depth=1
	s_or_b32 exec_lo, exec_lo, s23
	v_lshlrev_b32_e32 v2, 8, v3
	v_lshl_add_u32 v1, v1, 10, 0x2000
	v_lshlrev_b32_e32 v0, 7, v0
	v_and_b32_e32 v2, 0x8000, v2
	v_and_b32_e32 v1, 0xfc00, v1
	v_or3_b32 v43, v2, v1, v0
.LBB283_264:                            ;   in Loop: Header=BB283_15 Depth=1
	s_or_b32 exec_lo, exec_lo, s22
.LBB283_265:                            ;   in Loop: Header=BB283_15 Depth=1
	s_or_b32 exec_lo, exec_lo, s21
.LBB283_266:                            ;   in Loop: Header=BB283_15 Depth=1
	s_or_b32 exec_lo, exec_lo, s20
	v_mov_b32_e32 v46, 0
	v_mov_b32_e32 v45, 0
	s_mov_b32 s20, exec_lo
	v_cmpx_lt_u64_e64 s[12:13], v[27:28]
	s_cbranch_execz .LBB283_274
; %bb.267:                              ;   in Loop: Header=BB283_15 Depth=1
	v_lshrrev_b32_e32 v3, 24, v28
	v_bfrev_b32_e32 v45, 1
	s_mov_b32 s21, exec_lo
	v_cmpx_ne_u32_e32 0x80, v3
	s_cbranch_execz .LBB283_273
; %bb.268:                              ;   in Loop: Header=BB283_15 Depth=1
	v_and_b32_e32 v2, 0x7f, v3
	v_mov_b32_e32 v45, 0x7c010000
	s_mov_b32 s22, exec_lo
	v_cmpx_ne_u32_e32 0x7f, v2
	s_cbranch_execz .LBB283_272
; %bb.269:                              ;   in Loop: Header=BB283_15 Depth=1
	v_and_b32_e32 v0, 7, v3
	v_lshrrev_b32_e32 v1, 3, v2
	s_mov_b32 s23, exec_lo
	v_cmpx_gt_u32_e32 8, v2
; %bb.270:                              ;   in Loop: Header=BB283_15 Depth=1
	v_ffbh_u32_e32 v0, v0
	v_min_u32_e32 v2, 32, v0
	v_subrev_nc_u32_e32 v0, 28, v2
	v_lshlrev_b64 v[0:1], v0, v[3:4]
	v_sub_nc_u32_e32 v1, 29, v2
	v_and_b32_e32 v0, 7, v0
; %bb.271:                              ;   in Loop: Header=BB283_15 Depth=1
	s_or_b32 exec_lo, exec_lo, s23
	v_lshlrev_b32_e32 v2, 8, v3
	v_lshl_add_u32 v1, v1, 10, 0x2000
	v_lshlrev_b32_e32 v0, 23, v0
	v_and_or_b32 v1, 0x8000, v2, v1
	v_lshl_or_b32 v45, v1, 16, v0
.LBB283_272:                            ;   in Loop: Header=BB283_15 Depth=1
	s_or_b32 exec_lo, exec_lo, s22
.LBB283_273:                            ;   in Loop: Header=BB283_15 Depth=1
	s_or_b32 exec_lo, exec_lo, s21
.LBB283_274:                            ;   in Loop: Header=BB283_15 Depth=1
	s_or_b32 exec_lo, exec_lo, s20
	flat_load_dwordx2 v[27:28], v[24:25] offset:1024
	s_waitcnt vmcnt(0) lgkmcnt(0)
	v_cmp_ne_u16_sdwa s5, v27, v4 src0_sel:BYTE_0 src1_sel:DWORD
	s_and_saveexec_b32 s20, s5
	s_cbranch_execz .LBB283_282
; %bb.275:                              ;   in Loop: Header=BB283_15 Depth=1
	v_cmp_ne_u16_sdwa s5, v27, v91 src0_sel:BYTE_0 src1_sel:DWORD
	v_mov_b32_e32 v46, 0x8000
	s_and_saveexec_b32 s21, s5
	s_cbranch_execz .LBB283_281
; %bb.276:                              ;   in Loop: Header=BB283_15 Depth=1
	v_and_b32_e32 v2, 0x7f, v27
	v_mov_b32_e32 v46, 0x7c01
	s_mov_b32 s22, exec_lo
	v_cmpx_ne_u32_e32 0x7f, v2
	s_cbranch_execz .LBB283_280
; %bb.277:                              ;   in Loop: Header=BB283_15 Depth=1
	v_and_b32_e32 v0, 7, v27
	v_lshrrev_b32_e32 v1, 3, v2
	s_mov_b32 s23, exec_lo
	v_cmpx_gt_u32_e32 8, v2
; %bb.278:                              ;   in Loop: Header=BB283_15 Depth=1
	v_ffbh_u32_e32 v0, v0
	v_min_u32_e32 v2, 32, v0
	v_subrev_nc_u32_e32 v0, 28, v2
	v_lshlrev_b64 v[0:1], v0, v[27:28]
	v_sub_nc_u32_e32 v1, 29, v2
	v_and_b32_e32 v0, 7, v0
; %bb.279:                              ;   in Loop: Header=BB283_15 Depth=1
	s_or_b32 exec_lo, exec_lo, s23
	v_lshlrev_b32_e32 v2, 8, v27
	v_lshl_add_u32 v1, v1, 10, 0x2000
	v_lshlrev_b32_e32 v0, 7, v0
	v_and_b32_e32 v2, 0x8000, v2
	v_and_b32_e32 v1, 0xfc00, v1
	v_or3_b32 v46, v2, v1, v0
.LBB283_280:                            ;   in Loop: Header=BB283_15 Depth=1
	s_or_b32 exec_lo, exec_lo, s22
.LBB283_281:                            ;   in Loop: Header=BB283_15 Depth=1
	s_or_b32 exec_lo, exec_lo, s21
.LBB283_282:                            ;   in Loop: Header=BB283_15 Depth=1
	s_or_b32 exec_lo, exec_lo, s20
	v_lshrrev_b16 v3, 8, v27
	v_mov_b32_e32 v56, 0
	v_mov_b32_e32 v47, 0
	s_mov_b32 s20, exec_lo
	v_cmpx_ne_u16_e32 0, v3
	s_cbranch_execz .LBB283_290
; %bb.283:                              ;   in Loop: Header=BB283_15 Depth=1
	v_bfrev_b32_e32 v47, 1
	s_mov_b32 s21, exec_lo
	v_cmpx_ne_u16_e32 0x80, v3
	s_cbranch_execz .LBB283_289
; %bb.284:                              ;   in Loop: Header=BB283_15 Depth=1
	v_mov_b32_e32 v0, 0x7f
	v_mov_b32_e32 v47, 0x7c010000
	s_mov_b32 s22, exec_lo
	v_and_b32_sdwa v2, v3, v0 dst_sel:DWORD dst_unused:UNUSED_PAD src0_sel:WORD_0 src1_sel:DWORD
	v_cmpx_ne_u32_e32 0x7f, v2
	s_cbranch_execz .LBB283_288
; %bb.285:                              ;   in Loop: Header=BB283_15 Depth=1
	v_mov_b32_e32 v0, 7
	v_lshrrev_b32_e32 v1, 3, v2
	s_mov_b32 s23, exec_lo
	v_and_b32_sdwa v0, v3, v0 dst_sel:DWORD dst_unused:UNUSED_PAD src0_sel:WORD_0 src1_sel:DWORD
	v_cmpx_gt_u32_e32 8, v2
; %bb.286:                              ;   in Loop: Header=BB283_15 Depth=1
	v_ffbh_u32_e32 v0, v0
	v_min_u32_e32 v2, 32, v0
	v_subrev_nc_u32_e32 v0, 28, v2
	v_lshlrev_b64 v[0:1], v0, v[3:4]
	v_sub_nc_u32_e32 v1, 29, v2
	v_and_b32_e32 v0, 7, v0
; %bb.287:                              ;   in Loop: Header=BB283_15 Depth=1
	s_or_b32 exec_lo, exec_lo, s23
	v_mov_b32_e32 v2, 8
	v_lshl_add_u32 v1, v1, 10, 0x2000
	v_lshlrev_b32_e32 v0, 23, v0
	v_lshlrev_b32_sdwa v2, v2, v3 dst_sel:DWORD dst_unused:UNUSED_PAD src0_sel:DWORD src1_sel:WORD_0
	v_and_or_b32 v1, 0x8000, v2, v1
	v_lshl_or_b32 v47, v1, 16, v0
.LBB283_288:                            ;   in Loop: Header=BB283_15 Depth=1
	s_or_b32 exec_lo, exec_lo, s22
.LBB283_289:                            ;   in Loop: Header=BB283_15 Depth=1
	s_or_b32 exec_lo, exec_lo, s21
.LBB283_290:                            ;   in Loop: Header=BB283_15 Depth=1
	s_or_b32 exec_lo, exec_lo, s20
	v_lshrrev_b32_e32 v3, 16, v27
	v_cmp_ne_u16_sdwa s5, v3, v4 src0_sel:BYTE_0 src1_sel:DWORD
	s_and_saveexec_b32 s20, s5
	s_cbranch_execz .LBB283_298
; %bb.291:                              ;   in Loop: Header=BB283_15 Depth=1
	v_cmp_ne_u16_sdwa s5, v3, v91 src0_sel:BYTE_0 src1_sel:DWORD
	v_mov_b32_e32 v56, 0x8000
	s_and_saveexec_b32 s21, s5
	s_cbranch_execz .LBB283_297
; %bb.292:                              ;   in Loop: Header=BB283_15 Depth=1
	v_bfe_u32 v2, v27, 16, 7
	v_mov_b32_e32 v56, 0x7c01
	s_mov_b32 s22, exec_lo
	v_cmpx_ne_u32_e32 0x7f, v2
	s_cbranch_execz .LBB283_296
; %bb.293:                              ;   in Loop: Header=BB283_15 Depth=1
	v_and_b32_e32 v0, 7, v3
	v_lshrrev_b32_e32 v1, 3, v2
	s_mov_b32 s23, exec_lo
	v_cmpx_gt_u32_e32 8, v2
; %bb.294:                              ;   in Loop: Header=BB283_15 Depth=1
	v_ffbh_u32_e32 v0, v0
	v_min_u32_e32 v2, 32, v0
	v_subrev_nc_u32_e32 v0, 28, v2
	v_lshlrev_b64 v[0:1], v0, v[3:4]
	v_sub_nc_u32_e32 v1, 29, v2
	v_and_b32_e32 v0, 7, v0
; %bb.295:                              ;   in Loop: Header=BB283_15 Depth=1
	s_or_b32 exec_lo, exec_lo, s23
	v_lshlrev_b32_e32 v2, 8, v3
	v_lshl_add_u32 v1, v1, 10, 0x2000
	v_lshlrev_b32_e32 v0, 7, v0
	v_and_b32_e32 v2, 0x8000, v2
	v_and_b32_e32 v1, 0xfc00, v1
	v_or3_b32 v56, v2, v1, v0
.LBB283_296:                            ;   in Loop: Header=BB283_15 Depth=1
	s_or_b32 exec_lo, exec_lo, s22
.LBB283_297:                            ;   in Loop: Header=BB283_15 Depth=1
	s_or_b32 exec_lo, exec_lo, s21
.LBB283_298:                            ;   in Loop: Header=BB283_15 Depth=1
	s_or_b32 exec_lo, exec_lo, s20
	v_mov_b32_e32 v57, 0
	v_mov_b32_e32 v58, 0
	s_mov_b32 s20, exec_lo
	v_cmpx_lt_u32_e32 0xffffff, v27
	s_cbranch_execz .LBB283_306
; %bb.299:                              ;   in Loop: Header=BB283_15 Depth=1
	v_lshrrev_b32_e32 v3, 24, v27
	v_bfrev_b32_e32 v58, 1
	s_mov_b32 s21, exec_lo
	v_cmpx_ne_u32_e32 0x80, v3
	s_cbranch_execz .LBB283_305
; %bb.300:                              ;   in Loop: Header=BB283_15 Depth=1
	v_and_b32_e32 v2, 0x7f, v3
	v_mov_b32_e32 v58, 0x7c010000
	s_mov_b32 s22, exec_lo
	v_cmpx_ne_u32_e32 0x7f, v2
	s_cbranch_execz .LBB283_304
; %bb.301:                              ;   in Loop: Header=BB283_15 Depth=1
	v_and_b32_e32 v0, 7, v3
	v_lshrrev_b32_e32 v1, 3, v2
	s_mov_b32 s23, exec_lo
	v_cmpx_gt_u32_e32 8, v2
; %bb.302:                              ;   in Loop: Header=BB283_15 Depth=1
	v_ffbh_u32_e32 v0, v0
	v_min_u32_e32 v2, 32, v0
	v_subrev_nc_u32_e32 v0, 28, v2
	v_lshlrev_b64 v[0:1], v0, v[3:4]
	v_sub_nc_u32_e32 v1, 29, v2
	v_and_b32_e32 v0, 7, v0
; %bb.303:                              ;   in Loop: Header=BB283_15 Depth=1
	s_or_b32 exec_lo, exec_lo, s23
	v_lshlrev_b32_e32 v2, 8, v3
	v_lshl_add_u32 v1, v1, 10, 0x2000
	v_lshlrev_b32_e32 v0, 23, v0
	v_and_or_b32 v1, 0x8000, v2, v1
	v_lshl_or_b32 v58, v1, 16, v0
.LBB283_304:                            ;   in Loop: Header=BB283_15 Depth=1
	s_or_b32 exec_lo, exec_lo, s22
.LBB283_305:                            ;   in Loop: Header=BB283_15 Depth=1
	s_or_b32 exec_lo, exec_lo, s21
.LBB283_306:                            ;   in Loop: Header=BB283_15 Depth=1
	s_or_b32 exec_lo, exec_lo, s20
	v_mov_b32_e32 v3, v28
	v_cmp_ne_u16_sdwa s5, v28, v4 src0_sel:BYTE_0 src1_sel:DWORD
	s_and_saveexec_b32 s20, s5
	s_cbranch_execz .LBB283_314
; %bb.307:                              ;   in Loop: Header=BB283_15 Depth=1
	v_cmp_ne_u16_sdwa s5, v28, v91 src0_sel:BYTE_0 src1_sel:DWORD
	v_mov_b32_e32 v57, 0x8000
	s_and_saveexec_b32 s21, s5
	s_cbranch_execz .LBB283_313
; %bb.308:                              ;   in Loop: Header=BB283_15 Depth=1
	v_and_b32_e32 v2, 0x7f, v28
	v_mov_b32_e32 v57, 0x7c01
	s_mov_b32 s22, exec_lo
	v_cmpx_ne_u32_e32 0x7f, v2
	s_cbranch_execz .LBB283_312
; %bb.309:                              ;   in Loop: Header=BB283_15 Depth=1
	v_and_b32_e32 v0, 7, v28
	v_lshrrev_b32_e32 v1, 3, v2
	s_mov_b32 s23, exec_lo
	v_cmpx_gt_u32_e32 8, v2
; %bb.310:                              ;   in Loop: Header=BB283_15 Depth=1
	v_ffbh_u32_e32 v0, v0
	v_min_u32_e32 v2, 32, v0
	v_subrev_nc_u32_e32 v0, 28, v2
	v_lshlrev_b64 v[0:1], v0, v[3:4]
	v_sub_nc_u32_e32 v1, 29, v2
	v_and_b32_e32 v0, 7, v0
; %bb.311:                              ;   in Loop: Header=BB283_15 Depth=1
	s_or_b32 exec_lo, exec_lo, s23
	v_lshlrev_b32_e32 v2, 8, v28
	v_lshl_add_u32 v1, v1, 10, 0x2000
	v_lshlrev_b32_e32 v0, 7, v0
	v_and_b32_e32 v2, 0x8000, v2
	v_and_b32_e32 v1, 0xfc00, v1
	v_or3_b32 v57, v2, v1, v0
.LBB283_312:                            ;   in Loop: Header=BB283_15 Depth=1
	s_or_b32 exec_lo, exec_lo, s22
.LBB283_313:                            ;   in Loop: Header=BB283_15 Depth=1
	s_or_b32 exec_lo, exec_lo, s21
.LBB283_314:                            ;   in Loop: Header=BB283_15 Depth=1
	s_or_b32 exec_lo, exec_lo, s20
	v_lshrrev_b16 v3, 8, v3
	v_mov_b32_e32 v59, 0
	v_mov_b32_e32 v60, 0
	s_mov_b32 s20, exec_lo
	v_cmpx_ne_u16_e32 0, v3
	s_cbranch_execz .LBB283_322
; %bb.315:                              ;   in Loop: Header=BB283_15 Depth=1
	v_bfrev_b32_e32 v60, 1
	s_mov_b32 s21, exec_lo
	v_cmpx_ne_u16_e32 0x80, v3
	s_cbranch_execz .LBB283_321
; %bb.316:                              ;   in Loop: Header=BB283_15 Depth=1
	v_mov_b32_e32 v0, 0x7f
	v_mov_b32_e32 v60, 0x7c010000
	s_mov_b32 s22, exec_lo
	v_and_b32_sdwa v2, v3, v0 dst_sel:DWORD dst_unused:UNUSED_PAD src0_sel:WORD_0 src1_sel:DWORD
	v_cmpx_ne_u32_e32 0x7f, v2
	s_cbranch_execz .LBB283_320
; %bb.317:                              ;   in Loop: Header=BB283_15 Depth=1
	v_mov_b32_e32 v0, 7
	v_lshrrev_b32_e32 v1, 3, v2
	s_mov_b32 s23, exec_lo
	v_and_b32_sdwa v0, v3, v0 dst_sel:DWORD dst_unused:UNUSED_PAD src0_sel:WORD_0 src1_sel:DWORD
	v_cmpx_gt_u32_e32 8, v2
; %bb.318:                              ;   in Loop: Header=BB283_15 Depth=1
	v_ffbh_u32_e32 v0, v0
	v_min_u32_e32 v2, 32, v0
	v_subrev_nc_u32_e32 v0, 28, v2
	v_lshlrev_b64 v[0:1], v0, v[3:4]
	v_sub_nc_u32_e32 v1, 29, v2
	v_and_b32_e32 v0, 7, v0
; %bb.319:                              ;   in Loop: Header=BB283_15 Depth=1
	s_or_b32 exec_lo, exec_lo, s23
	v_mov_b32_e32 v2, 8
	v_lshl_add_u32 v1, v1, 10, 0x2000
	v_lshlrev_b32_e32 v0, 23, v0
	v_lshlrev_b32_sdwa v2, v2, v3 dst_sel:DWORD dst_unused:UNUSED_PAD src0_sel:DWORD src1_sel:WORD_0
	v_and_or_b32 v1, 0x8000, v2, v1
	v_lshl_or_b32 v60, v1, 16, v0
.LBB283_320:                            ;   in Loop: Header=BB283_15 Depth=1
	s_or_b32 exec_lo, exec_lo, s22
.LBB283_321:                            ;   in Loop: Header=BB283_15 Depth=1
	s_or_b32 exec_lo, exec_lo, s21
.LBB283_322:                            ;   in Loop: Header=BB283_15 Depth=1
	s_or_b32 exec_lo, exec_lo, s20
	v_lshrrev_b32_e32 v3, 16, v28
	v_cmp_ne_u16_sdwa s5, v3, v4 src0_sel:BYTE_0 src1_sel:DWORD
	s_and_saveexec_b32 s20, s5
	s_cbranch_execz .LBB283_330
; %bb.323:                              ;   in Loop: Header=BB283_15 Depth=1
	v_cmp_ne_u16_sdwa s5, v3, v91 src0_sel:BYTE_0 src1_sel:DWORD
	v_mov_b32_e32 v59, 0x8000
	s_and_saveexec_b32 s21, s5
	s_cbranch_execz .LBB283_329
; %bb.324:                              ;   in Loop: Header=BB283_15 Depth=1
	v_bfe_u32 v2, v28, 16, 7
	v_mov_b32_e32 v59, 0x7c01
	s_mov_b32 s22, exec_lo
	v_cmpx_ne_u32_e32 0x7f, v2
	s_cbranch_execz .LBB283_328
; %bb.325:                              ;   in Loop: Header=BB283_15 Depth=1
	v_and_b32_e32 v0, 7, v3
	v_lshrrev_b32_e32 v1, 3, v2
	s_mov_b32 s23, exec_lo
	v_cmpx_gt_u32_e32 8, v2
; %bb.326:                              ;   in Loop: Header=BB283_15 Depth=1
	v_ffbh_u32_e32 v0, v0
	v_min_u32_e32 v2, 32, v0
	v_subrev_nc_u32_e32 v0, 28, v2
	v_lshlrev_b64 v[0:1], v0, v[3:4]
	v_sub_nc_u32_e32 v1, 29, v2
	v_and_b32_e32 v0, 7, v0
; %bb.327:                              ;   in Loop: Header=BB283_15 Depth=1
	s_or_b32 exec_lo, exec_lo, s23
	v_lshlrev_b32_e32 v2, 8, v3
	v_lshl_add_u32 v1, v1, 10, 0x2000
	v_lshlrev_b32_e32 v0, 7, v0
	v_and_b32_e32 v2, 0x8000, v2
	v_and_b32_e32 v1, 0xfc00, v1
	v_or3_b32 v59, v2, v1, v0
.LBB283_328:                            ;   in Loop: Header=BB283_15 Depth=1
	s_or_b32 exec_lo, exec_lo, s22
.LBB283_329:                            ;   in Loop: Header=BB283_15 Depth=1
	s_or_b32 exec_lo, exec_lo, s21
.LBB283_330:                            ;   in Loop: Header=BB283_15 Depth=1
	s_or_b32 exec_lo, exec_lo, s20
	v_mov_b32_e32 v62, 0
	v_mov_b32_e32 v61, 0
	s_mov_b32 s20, exec_lo
	v_cmpx_lt_u64_e64 s[12:13], v[27:28]
	s_cbranch_execz .LBB283_338
; %bb.331:                              ;   in Loop: Header=BB283_15 Depth=1
	v_lshrrev_b32_e32 v3, 24, v28
	v_bfrev_b32_e32 v61, 1
	s_mov_b32 s21, exec_lo
	v_cmpx_ne_u32_e32 0x80, v3
	s_cbranch_execz .LBB283_337
; %bb.332:                              ;   in Loop: Header=BB283_15 Depth=1
	v_and_b32_e32 v2, 0x7f, v3
	v_mov_b32_e32 v61, 0x7c010000
	s_mov_b32 s22, exec_lo
	v_cmpx_ne_u32_e32 0x7f, v2
	s_cbranch_execz .LBB283_336
; %bb.333:                              ;   in Loop: Header=BB283_15 Depth=1
	v_and_b32_e32 v0, 7, v3
	v_lshrrev_b32_e32 v1, 3, v2
	s_mov_b32 s23, exec_lo
	v_cmpx_gt_u32_e32 8, v2
; %bb.334:                              ;   in Loop: Header=BB283_15 Depth=1
	v_ffbh_u32_e32 v0, v0
	v_min_u32_e32 v2, 32, v0
	v_subrev_nc_u32_e32 v0, 28, v2
	v_lshlrev_b64 v[0:1], v0, v[3:4]
	v_sub_nc_u32_e32 v1, 29, v2
	v_and_b32_e32 v0, 7, v0
; %bb.335:                              ;   in Loop: Header=BB283_15 Depth=1
	s_or_b32 exec_lo, exec_lo, s23
	v_lshlrev_b32_e32 v2, 8, v3
	v_lshl_add_u32 v1, v1, 10, 0x2000
	v_lshlrev_b32_e32 v0, 23, v0
	v_and_or_b32 v1, 0x8000, v2, v1
	v_lshl_or_b32 v61, v1, 16, v0
.LBB283_336:                            ;   in Loop: Header=BB283_15 Depth=1
	s_or_b32 exec_lo, exec_lo, s22
.LBB283_337:                            ;   in Loop: Header=BB283_15 Depth=1
	s_or_b32 exec_lo, exec_lo, s21
.LBB283_338:                            ;   in Loop: Header=BB283_15 Depth=1
	s_or_b32 exec_lo, exec_lo, s20
	flat_load_dwordx2 v[27:28], v[24:25] offset:1032
	s_waitcnt vmcnt(0) lgkmcnt(0)
	v_cmp_ne_u16_sdwa s5, v27, v4 src0_sel:BYTE_0 src1_sel:DWORD
	s_and_saveexec_b32 s20, s5
	s_cbranch_execz .LBB283_346
; %bb.339:                              ;   in Loop: Header=BB283_15 Depth=1
	v_cmp_ne_u16_sdwa s5, v27, v91 src0_sel:BYTE_0 src1_sel:DWORD
	v_mov_b32_e32 v62, 0x8000
	s_and_saveexec_b32 s21, s5
	s_cbranch_execz .LBB283_345
; %bb.340:                              ;   in Loop: Header=BB283_15 Depth=1
	v_and_b32_e32 v2, 0x7f, v27
	v_mov_b32_e32 v62, 0x7c01
	s_mov_b32 s22, exec_lo
	v_cmpx_ne_u32_e32 0x7f, v2
	s_cbranch_execz .LBB283_344
; %bb.341:                              ;   in Loop: Header=BB283_15 Depth=1
	v_and_b32_e32 v0, 7, v27
	v_lshrrev_b32_e32 v1, 3, v2
	s_mov_b32 s23, exec_lo
	v_cmpx_gt_u32_e32 8, v2
; %bb.342:                              ;   in Loop: Header=BB283_15 Depth=1
	v_ffbh_u32_e32 v0, v0
	v_min_u32_e32 v2, 32, v0
	v_subrev_nc_u32_e32 v0, 28, v2
	v_lshlrev_b64 v[0:1], v0, v[27:28]
	v_sub_nc_u32_e32 v1, 29, v2
	v_and_b32_e32 v0, 7, v0
; %bb.343:                              ;   in Loop: Header=BB283_15 Depth=1
	s_or_b32 exec_lo, exec_lo, s23
	v_lshlrev_b32_e32 v2, 8, v27
	v_lshl_add_u32 v1, v1, 10, 0x2000
	v_lshlrev_b32_e32 v0, 7, v0
	v_and_b32_e32 v2, 0x8000, v2
	v_and_b32_e32 v1, 0xfc00, v1
	v_or3_b32 v62, v2, v1, v0
.LBB283_344:                            ;   in Loop: Header=BB283_15 Depth=1
	s_or_b32 exec_lo, exec_lo, s22
.LBB283_345:                            ;   in Loop: Header=BB283_15 Depth=1
	s_or_b32 exec_lo, exec_lo, s21
.LBB283_346:                            ;   in Loop: Header=BB283_15 Depth=1
	s_or_b32 exec_lo, exec_lo, s20
	v_lshrrev_b16 v3, 8, v27
	v_mov_b32_e32 v72, 0
	v_mov_b32_e32 v63, 0
	s_mov_b32 s20, exec_lo
	v_cmpx_ne_u16_e32 0, v3
	s_cbranch_execz .LBB283_354
; %bb.347:                              ;   in Loop: Header=BB283_15 Depth=1
	v_bfrev_b32_e32 v63, 1
	s_mov_b32 s21, exec_lo
	v_cmpx_ne_u16_e32 0x80, v3
	s_cbranch_execz .LBB283_353
; %bb.348:                              ;   in Loop: Header=BB283_15 Depth=1
	v_mov_b32_e32 v0, 0x7f
	v_mov_b32_e32 v63, 0x7c010000
	s_mov_b32 s22, exec_lo
	v_and_b32_sdwa v2, v3, v0 dst_sel:DWORD dst_unused:UNUSED_PAD src0_sel:WORD_0 src1_sel:DWORD
	v_cmpx_ne_u32_e32 0x7f, v2
	s_cbranch_execz .LBB283_352
; %bb.349:                              ;   in Loop: Header=BB283_15 Depth=1
	v_mov_b32_e32 v0, 7
	v_lshrrev_b32_e32 v1, 3, v2
	s_mov_b32 s23, exec_lo
	v_and_b32_sdwa v0, v3, v0 dst_sel:DWORD dst_unused:UNUSED_PAD src0_sel:WORD_0 src1_sel:DWORD
	v_cmpx_gt_u32_e32 8, v2
; %bb.350:                              ;   in Loop: Header=BB283_15 Depth=1
	v_ffbh_u32_e32 v0, v0
	v_min_u32_e32 v2, 32, v0
	v_subrev_nc_u32_e32 v0, 28, v2
	v_lshlrev_b64 v[0:1], v0, v[3:4]
	v_sub_nc_u32_e32 v1, 29, v2
	v_and_b32_e32 v0, 7, v0
; %bb.351:                              ;   in Loop: Header=BB283_15 Depth=1
	s_or_b32 exec_lo, exec_lo, s23
	v_mov_b32_e32 v2, 8
	v_lshl_add_u32 v1, v1, 10, 0x2000
	v_lshlrev_b32_e32 v0, 23, v0
	v_lshlrev_b32_sdwa v2, v2, v3 dst_sel:DWORD dst_unused:UNUSED_PAD src0_sel:DWORD src1_sel:WORD_0
	v_and_or_b32 v1, 0x8000, v2, v1
	v_lshl_or_b32 v63, v1, 16, v0
.LBB283_352:                            ;   in Loop: Header=BB283_15 Depth=1
	s_or_b32 exec_lo, exec_lo, s22
.LBB283_353:                            ;   in Loop: Header=BB283_15 Depth=1
	s_or_b32 exec_lo, exec_lo, s21
.LBB283_354:                            ;   in Loop: Header=BB283_15 Depth=1
	s_or_b32 exec_lo, exec_lo, s20
	v_lshrrev_b32_e32 v3, 16, v27
	v_cmp_ne_u16_sdwa s5, v3, v4 src0_sel:BYTE_0 src1_sel:DWORD
	s_and_saveexec_b32 s20, s5
	s_cbranch_execz .LBB283_362
; %bb.355:                              ;   in Loop: Header=BB283_15 Depth=1
	v_cmp_ne_u16_sdwa s5, v3, v91 src0_sel:BYTE_0 src1_sel:DWORD
	v_mov_b32_e32 v72, 0x8000
	s_and_saveexec_b32 s21, s5
	s_cbranch_execz .LBB283_361
; %bb.356:                              ;   in Loop: Header=BB283_15 Depth=1
	v_bfe_u32 v2, v27, 16, 7
	v_mov_b32_e32 v72, 0x7c01
	s_mov_b32 s22, exec_lo
	v_cmpx_ne_u32_e32 0x7f, v2
	s_cbranch_execz .LBB283_360
; %bb.357:                              ;   in Loop: Header=BB283_15 Depth=1
	v_and_b32_e32 v0, 7, v3
	v_lshrrev_b32_e32 v1, 3, v2
	s_mov_b32 s23, exec_lo
	v_cmpx_gt_u32_e32 8, v2
; %bb.358:                              ;   in Loop: Header=BB283_15 Depth=1
	v_ffbh_u32_e32 v0, v0
	v_min_u32_e32 v2, 32, v0
	v_subrev_nc_u32_e32 v0, 28, v2
	v_lshlrev_b64 v[0:1], v0, v[3:4]
	v_sub_nc_u32_e32 v1, 29, v2
	v_and_b32_e32 v0, 7, v0
; %bb.359:                              ;   in Loop: Header=BB283_15 Depth=1
	s_or_b32 exec_lo, exec_lo, s23
	v_lshlrev_b32_e32 v2, 8, v3
	v_lshl_add_u32 v1, v1, 10, 0x2000
	v_lshlrev_b32_e32 v0, 7, v0
	v_and_b32_e32 v2, 0x8000, v2
	v_and_b32_e32 v1, 0xfc00, v1
	v_or3_b32 v72, v2, v1, v0
.LBB283_360:                            ;   in Loop: Header=BB283_15 Depth=1
	s_or_b32 exec_lo, exec_lo, s22
.LBB283_361:                            ;   in Loop: Header=BB283_15 Depth=1
	s_or_b32 exec_lo, exec_lo, s21
.LBB283_362:                            ;   in Loop: Header=BB283_15 Depth=1
	s_or_b32 exec_lo, exec_lo, s20
	v_mov_b32_e32 v73, 0
	v_mov_b32_e32 v74, 0
	s_mov_b32 s20, exec_lo
	v_cmpx_lt_u32_e32 0xffffff, v27
	s_cbranch_execz .LBB283_370
; %bb.363:                              ;   in Loop: Header=BB283_15 Depth=1
	v_lshrrev_b32_e32 v3, 24, v27
	v_bfrev_b32_e32 v74, 1
	s_mov_b32 s21, exec_lo
	v_cmpx_ne_u32_e32 0x80, v3
	s_cbranch_execz .LBB283_369
; %bb.364:                              ;   in Loop: Header=BB283_15 Depth=1
	v_and_b32_e32 v2, 0x7f, v3
	v_mov_b32_e32 v74, 0x7c010000
	s_mov_b32 s22, exec_lo
	v_cmpx_ne_u32_e32 0x7f, v2
	s_cbranch_execz .LBB283_368
; %bb.365:                              ;   in Loop: Header=BB283_15 Depth=1
	v_and_b32_e32 v0, 7, v3
	v_lshrrev_b32_e32 v1, 3, v2
	s_mov_b32 s23, exec_lo
	v_cmpx_gt_u32_e32 8, v2
; %bb.366:                              ;   in Loop: Header=BB283_15 Depth=1
	v_ffbh_u32_e32 v0, v0
	v_min_u32_e32 v2, 32, v0
	v_subrev_nc_u32_e32 v0, 28, v2
	v_lshlrev_b64 v[0:1], v0, v[3:4]
	v_sub_nc_u32_e32 v1, 29, v2
	v_and_b32_e32 v0, 7, v0
; %bb.367:                              ;   in Loop: Header=BB283_15 Depth=1
	s_or_b32 exec_lo, exec_lo, s23
	v_lshlrev_b32_e32 v2, 8, v3
	v_lshl_add_u32 v1, v1, 10, 0x2000
	v_lshlrev_b32_e32 v0, 23, v0
	v_and_or_b32 v1, 0x8000, v2, v1
	v_lshl_or_b32 v74, v1, 16, v0
.LBB283_368:                            ;   in Loop: Header=BB283_15 Depth=1
	s_or_b32 exec_lo, exec_lo, s22
.LBB283_369:                            ;   in Loop: Header=BB283_15 Depth=1
	s_or_b32 exec_lo, exec_lo, s21
.LBB283_370:                            ;   in Loop: Header=BB283_15 Depth=1
	s_or_b32 exec_lo, exec_lo, s20
	v_mov_b32_e32 v3, v28
	v_cmp_ne_u16_sdwa s5, v28, v4 src0_sel:BYTE_0 src1_sel:DWORD
	s_and_saveexec_b32 s20, s5
	s_cbranch_execz .LBB283_378
; %bb.371:                              ;   in Loop: Header=BB283_15 Depth=1
	v_cmp_ne_u16_sdwa s5, v28, v91 src0_sel:BYTE_0 src1_sel:DWORD
	v_mov_b32_e32 v73, 0x8000
	s_and_saveexec_b32 s21, s5
	s_cbranch_execz .LBB283_377
; %bb.372:                              ;   in Loop: Header=BB283_15 Depth=1
	v_and_b32_e32 v2, 0x7f, v28
	v_mov_b32_e32 v73, 0x7c01
	s_mov_b32 s22, exec_lo
	v_cmpx_ne_u32_e32 0x7f, v2
	s_cbranch_execz .LBB283_376
; %bb.373:                              ;   in Loop: Header=BB283_15 Depth=1
	v_and_b32_e32 v0, 7, v28
	v_lshrrev_b32_e32 v1, 3, v2
	s_mov_b32 s23, exec_lo
	v_cmpx_gt_u32_e32 8, v2
; %bb.374:                              ;   in Loop: Header=BB283_15 Depth=1
	v_ffbh_u32_e32 v0, v0
	v_min_u32_e32 v2, 32, v0
	v_subrev_nc_u32_e32 v0, 28, v2
	v_lshlrev_b64 v[0:1], v0, v[3:4]
	v_sub_nc_u32_e32 v1, 29, v2
	v_and_b32_e32 v0, 7, v0
; %bb.375:                              ;   in Loop: Header=BB283_15 Depth=1
	s_or_b32 exec_lo, exec_lo, s23
	v_lshlrev_b32_e32 v2, 8, v28
	v_lshl_add_u32 v1, v1, 10, 0x2000
	v_lshlrev_b32_e32 v0, 7, v0
	v_and_b32_e32 v2, 0x8000, v2
	v_and_b32_e32 v1, 0xfc00, v1
	v_or3_b32 v73, v2, v1, v0
.LBB283_376:                            ;   in Loop: Header=BB283_15 Depth=1
	s_or_b32 exec_lo, exec_lo, s22
.LBB283_377:                            ;   in Loop: Header=BB283_15 Depth=1
	s_or_b32 exec_lo, exec_lo, s21
.LBB283_378:                            ;   in Loop: Header=BB283_15 Depth=1
	s_or_b32 exec_lo, exec_lo, s20
	v_lshrrev_b16 v3, 8, v3
	v_mov_b32_e32 v75, 0
	v_mov_b32_e32 v76, 0
	s_mov_b32 s20, exec_lo
	v_cmpx_ne_u16_e32 0, v3
	s_cbranch_execz .LBB283_386
; %bb.379:                              ;   in Loop: Header=BB283_15 Depth=1
	v_bfrev_b32_e32 v76, 1
	s_mov_b32 s21, exec_lo
	v_cmpx_ne_u16_e32 0x80, v3
	s_cbranch_execz .LBB283_385
; %bb.380:                              ;   in Loop: Header=BB283_15 Depth=1
	v_mov_b32_e32 v0, 0x7f
	v_mov_b32_e32 v76, 0x7c010000
	s_mov_b32 s22, exec_lo
	v_and_b32_sdwa v2, v3, v0 dst_sel:DWORD dst_unused:UNUSED_PAD src0_sel:WORD_0 src1_sel:DWORD
	v_cmpx_ne_u32_e32 0x7f, v2
	s_cbranch_execz .LBB283_384
; %bb.381:                              ;   in Loop: Header=BB283_15 Depth=1
	v_mov_b32_e32 v0, 7
	v_lshrrev_b32_e32 v1, 3, v2
	s_mov_b32 s23, exec_lo
	v_and_b32_sdwa v0, v3, v0 dst_sel:DWORD dst_unused:UNUSED_PAD src0_sel:WORD_0 src1_sel:DWORD
	v_cmpx_gt_u32_e32 8, v2
; %bb.382:                              ;   in Loop: Header=BB283_15 Depth=1
	v_ffbh_u32_e32 v0, v0
	v_min_u32_e32 v2, 32, v0
	v_subrev_nc_u32_e32 v0, 28, v2
	v_lshlrev_b64 v[0:1], v0, v[3:4]
	v_sub_nc_u32_e32 v1, 29, v2
	v_and_b32_e32 v0, 7, v0
; %bb.383:                              ;   in Loop: Header=BB283_15 Depth=1
	s_or_b32 exec_lo, exec_lo, s23
	v_mov_b32_e32 v2, 8
	v_lshl_add_u32 v1, v1, 10, 0x2000
	v_lshlrev_b32_e32 v0, 23, v0
	v_lshlrev_b32_sdwa v2, v2, v3 dst_sel:DWORD dst_unused:UNUSED_PAD src0_sel:DWORD src1_sel:WORD_0
	v_and_or_b32 v1, 0x8000, v2, v1
	v_lshl_or_b32 v76, v1, 16, v0
.LBB283_384:                            ;   in Loop: Header=BB283_15 Depth=1
	s_or_b32 exec_lo, exec_lo, s22
.LBB283_385:                            ;   in Loop: Header=BB283_15 Depth=1
	s_or_b32 exec_lo, exec_lo, s21
.LBB283_386:                            ;   in Loop: Header=BB283_15 Depth=1
	s_or_b32 exec_lo, exec_lo, s20
	v_lshrrev_b32_e32 v3, 16, v28
	v_cmp_ne_u16_sdwa s5, v3, v4 src0_sel:BYTE_0 src1_sel:DWORD
	s_and_saveexec_b32 s20, s5
	s_cbranch_execz .LBB283_394
; %bb.387:                              ;   in Loop: Header=BB283_15 Depth=1
	v_cmp_ne_u16_sdwa s5, v3, v91 src0_sel:BYTE_0 src1_sel:DWORD
	v_mov_b32_e32 v75, 0x8000
	s_and_saveexec_b32 s21, s5
	s_cbranch_execz .LBB283_393
; %bb.388:                              ;   in Loop: Header=BB283_15 Depth=1
	v_bfe_u32 v2, v28, 16, 7
	v_mov_b32_e32 v75, 0x7c01
	s_mov_b32 s22, exec_lo
	v_cmpx_ne_u32_e32 0x7f, v2
	s_cbranch_execz .LBB283_392
; %bb.389:                              ;   in Loop: Header=BB283_15 Depth=1
	v_and_b32_e32 v0, 7, v3
	v_lshrrev_b32_e32 v1, 3, v2
	s_mov_b32 s23, exec_lo
	v_cmpx_gt_u32_e32 8, v2
; %bb.390:                              ;   in Loop: Header=BB283_15 Depth=1
	v_ffbh_u32_e32 v0, v0
	v_min_u32_e32 v2, 32, v0
	v_subrev_nc_u32_e32 v0, 28, v2
	v_lshlrev_b64 v[0:1], v0, v[3:4]
	v_sub_nc_u32_e32 v1, 29, v2
	v_and_b32_e32 v0, 7, v0
; %bb.391:                              ;   in Loop: Header=BB283_15 Depth=1
	s_or_b32 exec_lo, exec_lo, s23
	v_lshlrev_b32_e32 v2, 8, v3
	v_lshl_add_u32 v1, v1, 10, 0x2000
	v_lshlrev_b32_e32 v0, 7, v0
	v_and_b32_e32 v2, 0x8000, v2
	v_and_b32_e32 v1, 0xfc00, v1
	v_or3_b32 v75, v2, v1, v0
.LBB283_392:                            ;   in Loop: Header=BB283_15 Depth=1
	s_or_b32 exec_lo, exec_lo, s22
.LBB283_393:                            ;   in Loop: Header=BB283_15 Depth=1
	s_or_b32 exec_lo, exec_lo, s21
.LBB283_394:                            ;   in Loop: Header=BB283_15 Depth=1
	s_or_b32 exec_lo, exec_lo, s20
	v_mov_b32_e32 v68, 0
	v_mov_b32_e32 v77, 0
	s_mov_b32 s20, exec_lo
	v_cmpx_lt_u64_e64 s[12:13], v[27:28]
	s_cbranch_execz .LBB283_402
; %bb.395:                              ;   in Loop: Header=BB283_15 Depth=1
	v_lshrrev_b32_e32 v3, 24, v28
	v_bfrev_b32_e32 v77, 1
	s_mov_b32 s21, exec_lo
	v_cmpx_ne_u32_e32 0x80, v3
	s_cbranch_execz .LBB283_401
; %bb.396:                              ;   in Loop: Header=BB283_15 Depth=1
	v_and_b32_e32 v2, 0x7f, v3
	v_mov_b32_e32 v77, 0x7c010000
	s_mov_b32 s22, exec_lo
	v_cmpx_ne_u32_e32 0x7f, v2
	s_cbranch_execz .LBB283_400
; %bb.397:                              ;   in Loop: Header=BB283_15 Depth=1
	v_and_b32_e32 v0, 7, v3
	v_lshrrev_b32_e32 v1, 3, v2
	s_mov_b32 s23, exec_lo
	v_cmpx_gt_u32_e32 8, v2
; %bb.398:                              ;   in Loop: Header=BB283_15 Depth=1
	v_ffbh_u32_e32 v0, v0
	v_min_u32_e32 v2, 32, v0
	v_subrev_nc_u32_e32 v0, 28, v2
	v_lshlrev_b64 v[0:1], v0, v[3:4]
	v_sub_nc_u32_e32 v1, 29, v2
	v_and_b32_e32 v0, 7, v0
; %bb.399:                              ;   in Loop: Header=BB283_15 Depth=1
	s_or_b32 exec_lo, exec_lo, s23
	v_lshlrev_b32_e32 v2, 8, v3
	v_lshl_add_u32 v1, v1, 10, 0x2000
	v_lshlrev_b32_e32 v0, 23, v0
	v_and_or_b32 v1, 0x8000, v2, v1
	v_lshl_or_b32 v77, v1, 16, v0
.LBB283_400:                            ;   in Loop: Header=BB283_15 Depth=1
	s_or_b32 exec_lo, exec_lo, s22
.LBB283_401:                            ;   in Loop: Header=BB283_15 Depth=1
	s_or_b32 exec_lo, exec_lo, s21
.LBB283_402:                            ;   in Loop: Header=BB283_15 Depth=1
	s_or_b32 exec_lo, exec_lo, s20
	flat_load_dwordx2 v[27:28], v[24:25] offset:1536
	s_waitcnt vmcnt(0) lgkmcnt(0)
	v_cmp_ne_u16_sdwa s5, v27, v4 src0_sel:BYTE_0 src1_sel:DWORD
	s_and_saveexec_b32 s20, s5
	s_cbranch_execz .LBB283_410
; %bb.403:                              ;   in Loop: Header=BB283_15 Depth=1
	v_cmp_ne_u16_sdwa s5, v27, v91 src0_sel:BYTE_0 src1_sel:DWORD
	v_mov_b32_e32 v68, 0x8000
	s_and_saveexec_b32 s21, s5
	s_cbranch_execz .LBB283_409
; %bb.404:                              ;   in Loop: Header=BB283_15 Depth=1
	v_and_b32_e32 v2, 0x7f, v27
	v_mov_b32_e32 v68, 0x7c01
	s_mov_b32 s22, exec_lo
	v_cmpx_ne_u32_e32 0x7f, v2
	s_cbranch_execz .LBB283_408
; %bb.405:                              ;   in Loop: Header=BB283_15 Depth=1
	v_and_b32_e32 v0, 7, v27
	v_lshrrev_b32_e32 v1, 3, v2
	s_mov_b32 s23, exec_lo
	v_cmpx_gt_u32_e32 8, v2
; %bb.406:                              ;   in Loop: Header=BB283_15 Depth=1
	v_ffbh_u32_e32 v0, v0
	v_min_u32_e32 v2, 32, v0
	v_subrev_nc_u32_e32 v0, 28, v2
	v_lshlrev_b64 v[0:1], v0, v[27:28]
	v_sub_nc_u32_e32 v1, 29, v2
	v_and_b32_e32 v0, 7, v0
; %bb.407:                              ;   in Loop: Header=BB283_15 Depth=1
	s_or_b32 exec_lo, exec_lo, s23
	v_lshlrev_b32_e32 v2, 8, v27
	v_lshl_add_u32 v1, v1, 10, 0x2000
	v_lshlrev_b32_e32 v0, 7, v0
	v_and_b32_e32 v2, 0x8000, v2
	v_and_b32_e32 v1, 0xfc00, v1
	v_or3_b32 v68, v2, v1, v0
.LBB283_408:                            ;   in Loop: Header=BB283_15 Depth=1
	s_or_b32 exec_lo, exec_lo, s22
.LBB283_409:                            ;   in Loop: Header=BB283_15 Depth=1
	s_or_b32 exec_lo, exec_lo, s21
.LBB283_410:                            ;   in Loop: Header=BB283_15 Depth=1
	s_or_b32 exec_lo, exec_lo, s20
	v_lshrrev_b16 v3, 8, v27
	v_mov_b32_e32 v78, 0
	v_mov_b32_e32 v54, 0
	s_mov_b32 s20, exec_lo
	v_cmpx_ne_u16_e32 0, v3
	s_cbranch_execz .LBB283_418
; %bb.411:                              ;   in Loop: Header=BB283_15 Depth=1
	v_bfrev_b32_e32 v54, 1
	s_mov_b32 s21, exec_lo
	v_cmpx_ne_u16_e32 0x80, v3
	s_cbranch_execz .LBB283_417
; %bb.412:                              ;   in Loop: Header=BB283_15 Depth=1
	v_mov_b32_e32 v0, 0x7f
	v_mov_b32_e32 v54, 0x7c010000
	s_mov_b32 s22, exec_lo
	v_and_b32_sdwa v2, v3, v0 dst_sel:DWORD dst_unused:UNUSED_PAD src0_sel:WORD_0 src1_sel:DWORD
	v_cmpx_ne_u32_e32 0x7f, v2
	s_cbranch_execz .LBB283_416
; %bb.413:                              ;   in Loop: Header=BB283_15 Depth=1
	v_mov_b32_e32 v0, 7
	v_lshrrev_b32_e32 v1, 3, v2
	s_mov_b32 s23, exec_lo
	v_and_b32_sdwa v0, v3, v0 dst_sel:DWORD dst_unused:UNUSED_PAD src0_sel:WORD_0 src1_sel:DWORD
	v_cmpx_gt_u32_e32 8, v2
; %bb.414:                              ;   in Loop: Header=BB283_15 Depth=1
	v_ffbh_u32_e32 v0, v0
	v_min_u32_e32 v2, 32, v0
	v_subrev_nc_u32_e32 v0, 28, v2
	v_lshlrev_b64 v[0:1], v0, v[3:4]
	v_sub_nc_u32_e32 v1, 29, v2
	v_and_b32_e32 v0, 7, v0
; %bb.415:                              ;   in Loop: Header=BB283_15 Depth=1
	s_or_b32 exec_lo, exec_lo, s23
	v_mov_b32_e32 v2, 8
	v_lshl_add_u32 v1, v1, 10, 0x2000
	v_lshlrev_b32_e32 v0, 23, v0
	v_lshlrev_b32_sdwa v2, v2, v3 dst_sel:DWORD dst_unused:UNUSED_PAD src0_sel:DWORD src1_sel:WORD_0
	v_and_or_b32 v1, 0x8000, v2, v1
	v_lshl_or_b32 v54, v1, 16, v0
.LBB283_416:                            ;   in Loop: Header=BB283_15 Depth=1
	s_or_b32 exec_lo, exec_lo, s22
.LBB283_417:                            ;   in Loop: Header=BB283_15 Depth=1
	s_or_b32 exec_lo, exec_lo, s21
.LBB283_418:                            ;   in Loop: Header=BB283_15 Depth=1
	s_or_b32 exec_lo, exec_lo, s20
	v_lshrrev_b32_e32 v3, 16, v27
	v_cmp_ne_u16_sdwa s5, v3, v4 src0_sel:BYTE_0 src1_sel:DWORD
	s_and_saveexec_b32 s20, s5
	s_cbranch_execz .LBB283_426
; %bb.419:                              ;   in Loop: Header=BB283_15 Depth=1
	v_cmp_ne_u16_sdwa s5, v3, v91 src0_sel:BYTE_0 src1_sel:DWORD
	v_mov_b32_e32 v78, 0x8000
	s_and_saveexec_b32 s21, s5
	s_cbranch_execz .LBB283_425
; %bb.420:                              ;   in Loop: Header=BB283_15 Depth=1
	v_bfe_u32 v2, v27, 16, 7
	v_mov_b32_e32 v78, 0x7c01
	s_mov_b32 s22, exec_lo
	v_cmpx_ne_u32_e32 0x7f, v2
	s_cbranch_execz .LBB283_424
; %bb.421:                              ;   in Loop: Header=BB283_15 Depth=1
	v_and_b32_e32 v0, 7, v3
	v_lshrrev_b32_e32 v1, 3, v2
	s_mov_b32 s23, exec_lo
	v_cmpx_gt_u32_e32 8, v2
; %bb.422:                              ;   in Loop: Header=BB283_15 Depth=1
	v_ffbh_u32_e32 v0, v0
	v_min_u32_e32 v2, 32, v0
	v_subrev_nc_u32_e32 v0, 28, v2
	v_lshlrev_b64 v[0:1], v0, v[3:4]
	v_sub_nc_u32_e32 v1, 29, v2
	v_and_b32_e32 v0, 7, v0
; %bb.423:                              ;   in Loop: Header=BB283_15 Depth=1
	s_or_b32 exec_lo, exec_lo, s23
	v_lshlrev_b32_e32 v2, 8, v3
	v_lshl_add_u32 v1, v1, 10, 0x2000
	v_lshlrev_b32_e32 v0, 7, v0
	v_and_b32_e32 v2, 0x8000, v2
	v_and_b32_e32 v1, 0xfc00, v1
	v_or3_b32 v78, v2, v1, v0
.LBB283_424:                            ;   in Loop: Header=BB283_15 Depth=1
	s_or_b32 exec_lo, exec_lo, s22
.LBB283_425:                            ;   in Loop: Header=BB283_15 Depth=1
	s_or_b32 exec_lo, exec_lo, s21
.LBB283_426:                            ;   in Loop: Header=BB283_15 Depth=1
	s_or_b32 exec_lo, exec_lo, s20
	v_mov_b32_e32 v79, 0
	v_mov_b32_e32 v92, 0
	s_mov_b32 s20, exec_lo
	v_cmpx_lt_u32_e32 0xffffff, v27
	s_cbranch_execz .LBB283_434
; %bb.427:                              ;   in Loop: Header=BB283_15 Depth=1
	v_lshrrev_b32_e32 v3, 24, v27
	v_bfrev_b32_e32 v92, 1
	s_mov_b32 s21, exec_lo
	v_cmpx_ne_u32_e32 0x80, v3
	s_cbranch_execz .LBB283_433
; %bb.428:                              ;   in Loop: Header=BB283_15 Depth=1
	v_and_b32_e32 v2, 0x7f, v3
	v_mov_b32_e32 v92, 0x7c010000
	s_mov_b32 s22, exec_lo
	v_cmpx_ne_u32_e32 0x7f, v2
	s_cbranch_execz .LBB283_432
; %bb.429:                              ;   in Loop: Header=BB283_15 Depth=1
	v_and_b32_e32 v0, 7, v3
	v_lshrrev_b32_e32 v1, 3, v2
	s_mov_b32 s23, exec_lo
	v_cmpx_gt_u32_e32 8, v2
; %bb.430:                              ;   in Loop: Header=BB283_15 Depth=1
	v_ffbh_u32_e32 v0, v0
	v_min_u32_e32 v2, 32, v0
	v_subrev_nc_u32_e32 v0, 28, v2
	v_lshlrev_b64 v[0:1], v0, v[3:4]
	v_sub_nc_u32_e32 v1, 29, v2
	v_and_b32_e32 v0, 7, v0
; %bb.431:                              ;   in Loop: Header=BB283_15 Depth=1
	s_or_b32 exec_lo, exec_lo, s23
	v_lshlrev_b32_e32 v2, 8, v3
	v_lshl_add_u32 v1, v1, 10, 0x2000
	v_lshlrev_b32_e32 v0, 23, v0
	v_and_or_b32 v1, 0x8000, v2, v1
	v_lshl_or_b32 v92, v1, 16, v0
.LBB283_432:                            ;   in Loop: Header=BB283_15 Depth=1
	s_or_b32 exec_lo, exec_lo, s22
.LBB283_433:                            ;   in Loop: Header=BB283_15 Depth=1
	s_or_b32 exec_lo, exec_lo, s21
.LBB283_434:                            ;   in Loop: Header=BB283_15 Depth=1
	s_or_b32 exec_lo, exec_lo, s20
	v_mov_b32_e32 v3, v28
	v_cmp_ne_u16_sdwa s5, v28, v4 src0_sel:BYTE_0 src1_sel:DWORD
	s_and_saveexec_b32 s20, s5
	s_cbranch_execz .LBB283_442
; %bb.435:                              ;   in Loop: Header=BB283_15 Depth=1
	v_cmp_ne_u16_sdwa s5, v28, v91 src0_sel:BYTE_0 src1_sel:DWORD
	v_mov_b32_e32 v79, 0x8000
	s_and_saveexec_b32 s21, s5
	s_cbranch_execz .LBB283_441
; %bb.436:                              ;   in Loop: Header=BB283_15 Depth=1
	v_and_b32_e32 v2, 0x7f, v28
	v_mov_b32_e32 v79, 0x7c01
	s_mov_b32 s22, exec_lo
	v_cmpx_ne_u32_e32 0x7f, v2
	s_cbranch_execz .LBB283_440
; %bb.437:                              ;   in Loop: Header=BB283_15 Depth=1
	v_and_b32_e32 v0, 7, v28
	v_lshrrev_b32_e32 v1, 3, v2
	s_mov_b32 s23, exec_lo
	v_cmpx_gt_u32_e32 8, v2
; %bb.438:                              ;   in Loop: Header=BB283_15 Depth=1
	v_ffbh_u32_e32 v0, v0
	v_min_u32_e32 v2, 32, v0
	v_subrev_nc_u32_e32 v0, 28, v2
	v_lshlrev_b64 v[0:1], v0, v[3:4]
	v_sub_nc_u32_e32 v1, 29, v2
	v_and_b32_e32 v0, 7, v0
; %bb.439:                              ;   in Loop: Header=BB283_15 Depth=1
	s_or_b32 exec_lo, exec_lo, s23
	v_lshlrev_b32_e32 v2, 8, v28
	v_lshl_add_u32 v1, v1, 10, 0x2000
	v_lshlrev_b32_e32 v0, 7, v0
	v_and_b32_e32 v2, 0x8000, v2
	v_and_b32_e32 v1, 0xfc00, v1
	v_or3_b32 v79, v2, v1, v0
.LBB283_440:                            ;   in Loop: Header=BB283_15 Depth=1
	s_or_b32 exec_lo, exec_lo, s22
.LBB283_441:                            ;   in Loop: Header=BB283_15 Depth=1
	s_or_b32 exec_lo, exec_lo, s21
.LBB283_442:                            ;   in Loop: Header=BB283_15 Depth=1
	s_or_b32 exec_lo, exec_lo, s20
	v_lshrrev_b16 v3, 8, v3
	v_mov_b32_e32 v94, 0
	v_mov_b32_e32 v95, 0
	s_mov_b32 s20, exec_lo
	v_cmpx_ne_u16_e32 0, v3
	s_cbranch_execz .LBB283_450
; %bb.443:                              ;   in Loop: Header=BB283_15 Depth=1
	v_bfrev_b32_e32 v95, 1
	s_mov_b32 s21, exec_lo
	v_cmpx_ne_u16_e32 0x80, v3
	s_cbranch_execz .LBB283_449
; %bb.444:                              ;   in Loop: Header=BB283_15 Depth=1
	v_mov_b32_e32 v0, 0x7f
	v_mov_b32_e32 v95, 0x7c010000
	s_mov_b32 s22, exec_lo
	v_and_b32_sdwa v2, v3, v0 dst_sel:DWORD dst_unused:UNUSED_PAD src0_sel:WORD_0 src1_sel:DWORD
	v_cmpx_ne_u32_e32 0x7f, v2
	s_cbranch_execz .LBB283_448
; %bb.445:                              ;   in Loop: Header=BB283_15 Depth=1
	v_mov_b32_e32 v0, 7
	v_lshrrev_b32_e32 v1, 3, v2
	s_mov_b32 s23, exec_lo
	v_and_b32_sdwa v0, v3, v0 dst_sel:DWORD dst_unused:UNUSED_PAD src0_sel:WORD_0 src1_sel:DWORD
	v_cmpx_gt_u32_e32 8, v2
; %bb.446:                              ;   in Loop: Header=BB283_15 Depth=1
	v_ffbh_u32_e32 v0, v0
	v_min_u32_e32 v2, 32, v0
	v_subrev_nc_u32_e32 v0, 28, v2
	v_lshlrev_b64 v[0:1], v0, v[3:4]
	v_sub_nc_u32_e32 v1, 29, v2
	v_and_b32_e32 v0, 7, v0
; %bb.447:                              ;   in Loop: Header=BB283_15 Depth=1
	s_or_b32 exec_lo, exec_lo, s23
	v_mov_b32_e32 v2, 8
	v_lshl_add_u32 v1, v1, 10, 0x2000
	v_lshlrev_b32_e32 v0, 23, v0
	v_lshlrev_b32_sdwa v2, v2, v3 dst_sel:DWORD dst_unused:UNUSED_PAD src0_sel:DWORD src1_sel:WORD_0
	v_and_or_b32 v1, 0x8000, v2, v1
	v_lshl_or_b32 v95, v1, 16, v0
.LBB283_448:                            ;   in Loop: Header=BB283_15 Depth=1
	s_or_b32 exec_lo, exec_lo, s22
.LBB283_449:                            ;   in Loop: Header=BB283_15 Depth=1
	s_or_b32 exec_lo, exec_lo, s21
.LBB283_450:                            ;   in Loop: Header=BB283_15 Depth=1
	s_or_b32 exec_lo, exec_lo, s20
	v_lshrrev_b32_e32 v3, 16, v28
	v_cmp_ne_u16_sdwa s5, v3, v4 src0_sel:BYTE_0 src1_sel:DWORD
	s_and_saveexec_b32 s20, s5
	s_cbranch_execz .LBB283_458
; %bb.451:                              ;   in Loop: Header=BB283_15 Depth=1
	v_cmp_ne_u16_sdwa s5, v3, v91 src0_sel:BYTE_0 src1_sel:DWORD
	v_mov_b32_e32 v94, 0x8000
	s_and_saveexec_b32 s21, s5
	s_cbranch_execz .LBB283_457
; %bb.452:                              ;   in Loop: Header=BB283_15 Depth=1
	v_bfe_u32 v2, v28, 16, 7
	v_mov_b32_e32 v94, 0x7c01
	s_mov_b32 s22, exec_lo
	v_cmpx_ne_u32_e32 0x7f, v2
	s_cbranch_execz .LBB283_456
; %bb.453:                              ;   in Loop: Header=BB283_15 Depth=1
	v_and_b32_e32 v0, 7, v3
	v_lshrrev_b32_e32 v1, 3, v2
	s_mov_b32 s23, exec_lo
	v_cmpx_gt_u32_e32 8, v2
; %bb.454:                              ;   in Loop: Header=BB283_15 Depth=1
	v_ffbh_u32_e32 v0, v0
	v_min_u32_e32 v2, 32, v0
	v_subrev_nc_u32_e32 v0, 28, v2
	v_lshlrev_b64 v[0:1], v0, v[3:4]
	v_sub_nc_u32_e32 v1, 29, v2
	v_and_b32_e32 v0, 7, v0
; %bb.455:                              ;   in Loop: Header=BB283_15 Depth=1
	s_or_b32 exec_lo, exec_lo, s23
	v_lshlrev_b32_e32 v2, 8, v3
	v_lshl_add_u32 v1, v1, 10, 0x2000
	v_lshlrev_b32_e32 v0, 7, v0
	v_and_b32_e32 v2, 0x8000, v2
	v_and_b32_e32 v1, 0xfc00, v1
	v_or3_b32 v94, v2, v1, v0
.LBB283_456:                            ;   in Loop: Header=BB283_15 Depth=1
	s_or_b32 exec_lo, exec_lo, s22
.LBB283_457:                            ;   in Loop: Header=BB283_15 Depth=1
	s_or_b32 exec_lo, exec_lo, s21
.LBB283_458:                            ;   in Loop: Header=BB283_15 Depth=1
	s_or_b32 exec_lo, exec_lo, s20
	v_mov_b32_e32 v80, 0
	v_mov_b32_e32 v109, 0
	s_mov_b32 s20, exec_lo
	v_cmpx_lt_u64_e64 s[12:13], v[27:28]
	s_cbranch_execz .LBB283_466
; %bb.459:                              ;   in Loop: Header=BB283_15 Depth=1
	v_lshrrev_b32_e32 v3, 24, v28
	v_bfrev_b32_e32 v109, 1
	s_mov_b32 s21, exec_lo
	v_cmpx_ne_u32_e32 0x80, v3
	s_cbranch_execz .LBB283_465
; %bb.460:                              ;   in Loop: Header=BB283_15 Depth=1
	v_and_b32_e32 v2, 0x7f, v3
	v_mov_b32_e32 v109, 0x7c010000
	s_mov_b32 s22, exec_lo
	v_cmpx_ne_u32_e32 0x7f, v2
	s_cbranch_execz .LBB283_464
; %bb.461:                              ;   in Loop: Header=BB283_15 Depth=1
	v_and_b32_e32 v0, 7, v3
	v_lshrrev_b32_e32 v1, 3, v2
	s_mov_b32 s23, exec_lo
	v_cmpx_gt_u32_e32 8, v2
; %bb.462:                              ;   in Loop: Header=BB283_15 Depth=1
	v_ffbh_u32_e32 v0, v0
	v_min_u32_e32 v2, 32, v0
	v_subrev_nc_u32_e32 v0, 28, v2
	v_lshlrev_b64 v[0:1], v0, v[3:4]
	v_sub_nc_u32_e32 v1, 29, v2
	v_and_b32_e32 v0, 7, v0
; %bb.463:                              ;   in Loop: Header=BB283_15 Depth=1
	s_or_b32 exec_lo, exec_lo, s23
	v_lshlrev_b32_e32 v2, 8, v3
	v_lshl_add_u32 v1, v1, 10, 0x2000
	v_lshlrev_b32_e32 v0, 23, v0
	v_and_or_b32 v1, 0x8000, v2, v1
	v_lshl_or_b32 v109, v1, 16, v0
.LBB283_464:                            ;   in Loop: Header=BB283_15 Depth=1
	s_or_b32 exec_lo, exec_lo, s22
.LBB283_465:                            ;   in Loop: Header=BB283_15 Depth=1
	s_or_b32 exec_lo, exec_lo, s21
.LBB283_466:                            ;   in Loop: Header=BB283_15 Depth=1
	s_or_b32 exec_lo, exec_lo, s20
	flat_load_dwordx2 v[27:28], v[24:25] offset:1544
	s_waitcnt vmcnt(0) lgkmcnt(0)
	v_cmp_ne_u16_sdwa s5, v27, v4 src0_sel:BYTE_0 src1_sel:DWORD
	s_and_saveexec_b32 s20, s5
	s_cbranch_execz .LBB283_474
; %bb.467:                              ;   in Loop: Header=BB283_15 Depth=1
	v_cmp_ne_u16_sdwa s5, v27, v91 src0_sel:BYTE_0 src1_sel:DWORD
	v_mov_b32_e32 v80, 0x8000
	s_and_saveexec_b32 s21, s5
	s_cbranch_execz .LBB283_473
; %bb.468:                              ;   in Loop: Header=BB283_15 Depth=1
	v_and_b32_e32 v2, 0x7f, v27
	v_mov_b32_e32 v80, 0x7c01
	s_mov_b32 s22, exec_lo
	v_cmpx_ne_u32_e32 0x7f, v2
	s_cbranch_execz .LBB283_472
; %bb.469:                              ;   in Loop: Header=BB283_15 Depth=1
	v_and_b32_e32 v0, 7, v27
	v_lshrrev_b32_e32 v1, 3, v2
	s_mov_b32 s23, exec_lo
	v_cmpx_gt_u32_e32 8, v2
; %bb.470:                              ;   in Loop: Header=BB283_15 Depth=1
	v_ffbh_u32_e32 v0, v0
	v_min_u32_e32 v2, 32, v0
	v_subrev_nc_u32_e32 v0, 28, v2
	v_lshlrev_b64 v[0:1], v0, v[27:28]
	v_sub_nc_u32_e32 v1, 29, v2
	v_and_b32_e32 v0, 7, v0
; %bb.471:                              ;   in Loop: Header=BB283_15 Depth=1
	s_or_b32 exec_lo, exec_lo, s23
	v_lshlrev_b32_e32 v2, 8, v27
	v_lshl_add_u32 v1, v1, 10, 0x2000
	v_lshlrev_b32_e32 v0, 7, v0
	v_and_b32_e32 v2, 0x8000, v2
	v_and_b32_e32 v1, 0xfc00, v1
	v_or3_b32 v80, v2, v1, v0
.LBB283_472:                            ;   in Loop: Header=BB283_15 Depth=1
	s_or_b32 exec_lo, exec_lo, s22
.LBB283_473:                            ;   in Loop: Header=BB283_15 Depth=1
	s_or_b32 exec_lo, exec_lo, s21
.LBB283_474:                            ;   in Loop: Header=BB283_15 Depth=1
	s_or_b32 exec_lo, exec_lo, s20
	v_lshrrev_b16 v3, 8, v27
	v_mov_b32_e32 v22, 0
	v_mov_b32_e32 v121, 0
	s_mov_b32 s20, exec_lo
	v_cmpx_ne_u16_e32 0, v3
	s_cbranch_execz .LBB283_482
; %bb.475:                              ;   in Loop: Header=BB283_15 Depth=1
	v_bfrev_b32_e32 v121, 1
	s_mov_b32 s21, exec_lo
	v_cmpx_ne_u16_e32 0x80, v3
	s_cbranch_execz .LBB283_481
; %bb.476:                              ;   in Loop: Header=BB283_15 Depth=1
	v_mov_b32_e32 v0, 0x7f
	v_mov_b32_e32 v121, 0x7c010000
	s_mov_b32 s22, exec_lo
	v_and_b32_sdwa v2, v3, v0 dst_sel:DWORD dst_unused:UNUSED_PAD src0_sel:WORD_0 src1_sel:DWORD
	v_cmpx_ne_u32_e32 0x7f, v2
	s_cbranch_execz .LBB283_480
; %bb.477:                              ;   in Loop: Header=BB283_15 Depth=1
	v_mov_b32_e32 v0, 7
	v_lshrrev_b32_e32 v1, 3, v2
	s_mov_b32 s23, exec_lo
	v_and_b32_sdwa v0, v3, v0 dst_sel:DWORD dst_unused:UNUSED_PAD src0_sel:WORD_0 src1_sel:DWORD
	v_cmpx_gt_u32_e32 8, v2
; %bb.478:                              ;   in Loop: Header=BB283_15 Depth=1
	v_ffbh_u32_e32 v0, v0
	v_min_u32_e32 v2, 32, v0
	v_subrev_nc_u32_e32 v0, 28, v2
	v_lshlrev_b64 v[0:1], v0, v[3:4]
	v_sub_nc_u32_e32 v1, 29, v2
	v_and_b32_e32 v0, 7, v0
; %bb.479:                              ;   in Loop: Header=BB283_15 Depth=1
	s_or_b32 exec_lo, exec_lo, s23
	v_mov_b32_e32 v2, 8
	v_lshl_add_u32 v1, v1, 10, 0x2000
	v_lshlrev_b32_e32 v0, 23, v0
	v_lshlrev_b32_sdwa v2, v2, v3 dst_sel:DWORD dst_unused:UNUSED_PAD src0_sel:DWORD src1_sel:WORD_0
	v_and_or_b32 v1, 0x8000, v2, v1
	v_lshl_or_b32 v121, v1, 16, v0
.LBB283_480:                            ;   in Loop: Header=BB283_15 Depth=1
	s_or_b32 exec_lo, exec_lo, s22
.LBB283_481:                            ;   in Loop: Header=BB283_15 Depth=1
	s_or_b32 exec_lo, exec_lo, s21
.LBB283_482:                            ;   in Loop: Header=BB283_15 Depth=1
	s_or_b32 exec_lo, exec_lo, s20
	v_lshrrev_b32_e32 v3, 16, v27
	v_cmp_ne_u16_sdwa s5, v3, v4 src0_sel:BYTE_0 src1_sel:DWORD
	s_and_saveexec_b32 s20, s5
	s_cbranch_execz .LBB283_490
; %bb.483:                              ;   in Loop: Header=BB283_15 Depth=1
	v_cmp_ne_u16_sdwa s5, v3, v91 src0_sel:BYTE_0 src1_sel:DWORD
	v_mov_b32_e32 v22, 0x8000
	s_and_saveexec_b32 s21, s5
	s_cbranch_execz .LBB283_489
; %bb.484:                              ;   in Loop: Header=BB283_15 Depth=1
	v_bfe_u32 v2, v27, 16, 7
	v_mov_b32_e32 v22, 0x7c01
	s_mov_b32 s22, exec_lo
	v_cmpx_ne_u32_e32 0x7f, v2
	s_cbranch_execz .LBB283_488
; %bb.485:                              ;   in Loop: Header=BB283_15 Depth=1
	v_and_b32_e32 v0, 7, v3
	v_lshrrev_b32_e32 v1, 3, v2
	s_mov_b32 s23, exec_lo
	v_cmpx_gt_u32_e32 8, v2
; %bb.486:                              ;   in Loop: Header=BB283_15 Depth=1
	v_ffbh_u32_e32 v0, v0
	v_min_u32_e32 v2, 32, v0
	v_subrev_nc_u32_e32 v0, 28, v2
	v_lshlrev_b64 v[0:1], v0, v[3:4]
	v_sub_nc_u32_e32 v1, 29, v2
	v_and_b32_e32 v0, 7, v0
; %bb.487:                              ;   in Loop: Header=BB283_15 Depth=1
	s_or_b32 exec_lo, exec_lo, s23
	v_lshlrev_b32_e32 v2, 8, v3
	v_lshl_add_u32 v1, v1, 10, 0x2000
	v_lshlrev_b32_e32 v0, 7, v0
	v_and_b32_e32 v2, 0x8000, v2
	v_and_b32_e32 v1, 0xfc00, v1
	v_or3_b32 v22, v2, v1, v0
.LBB283_488:                            ;   in Loop: Header=BB283_15 Depth=1
	s_or_b32 exec_lo, exec_lo, s22
.LBB283_489:                            ;   in Loop: Header=BB283_15 Depth=1
	s_or_b32 exec_lo, exec_lo, s21
.LBB283_490:                            ;   in Loop: Header=BB283_15 Depth=1
	s_or_b32 exec_lo, exec_lo, s20
	v_mov_b32_e32 v1, 0
	v_mov_b32_e32 v0, 0
	s_mov_b32 s20, exec_lo
	v_cmpx_lt_u32_e32 0xffffff, v27
	s_cbranch_execz .LBB283_498
; %bb.491:                              ;   in Loop: Header=BB283_15 Depth=1
	v_lshrrev_b32_e32 v3, 24, v27
	v_bfrev_b32_e32 v0, 1
	s_mov_b32 s21, exec_lo
	v_cmpx_ne_u32_e32 0x80, v3
	s_cbranch_execz .LBB283_497
; %bb.492:                              ;   in Loop: Header=BB283_15 Depth=1
	v_and_b32_e32 v6, 0x7f, v3
	v_mov_b32_e32 v0, 0x7c010000
	s_mov_b32 s22, exec_lo
	v_cmpx_ne_u32_e32 0x7f, v6
	s_cbranch_execz .LBB283_496
; %bb.493:                              ;   in Loop: Header=BB283_15 Depth=1
	v_and_b32_e32 v0, 7, v3
	v_lshrrev_b32_e32 v2, 3, v6
	s_mov_b32 s23, exec_lo
	v_cmpx_gt_u32_e32 8, v6
; %bb.494:                              ;   in Loop: Header=BB283_15 Depth=1
	v_ffbh_u32_e32 v0, v0
	v_min_u32_e32 v0, 32, v0
	v_subrev_nc_u32_e32 v2, 28, v0
	v_lshlrev_b64 v[6:7], v2, v[3:4]
	v_sub_nc_u32_e32 v2, 29, v0
	v_and_b32_e32 v0, 7, v6
; %bb.495:                              ;   in Loop: Header=BB283_15 Depth=1
	s_or_b32 exec_lo, exec_lo, s23
	v_lshlrev_b32_e32 v3, 8, v3
	v_lshl_add_u32 v2, v2, 10, 0x2000
	v_lshlrev_b32_e32 v0, 23, v0
	v_and_or_b32 v2, 0x8000, v3, v2
	v_lshl_or_b32 v0, v2, 16, v0
.LBB283_496:                            ;   in Loop: Header=BB283_15 Depth=1
	s_or_b32 exec_lo, exec_lo, s22
.LBB283_497:                            ;   in Loop: Header=BB283_15 Depth=1
	s_or_b32 exec_lo, exec_lo, s21
.LBB283_498:                            ;   in Loop: Header=BB283_15 Depth=1
	s_or_b32 exec_lo, exec_lo, s20
	v_mov_b32_e32 v3, v28
	v_cmp_ne_u16_sdwa s5, v28, v4 src0_sel:BYTE_0 src1_sel:DWORD
	s_and_saveexec_b32 s20, s5
	s_cbranch_execz .LBB283_506
; %bb.499:                              ;   in Loop: Header=BB283_15 Depth=1
	v_cmp_ne_u16_sdwa s5, v28, v91 src0_sel:BYTE_0 src1_sel:DWORD
	v_mov_b32_e32 v1, 0x8000
	s_and_saveexec_b32 s21, s5
	s_cbranch_execz .LBB283_505
; %bb.500:                              ;   in Loop: Header=BB283_15 Depth=1
	v_and_b32_e32 v6, 0x7f, v28
	v_mov_b32_e32 v1, 0x7c01
	s_mov_b32 s22, exec_lo
	v_cmpx_ne_u32_e32 0x7f, v6
	s_cbranch_execz .LBB283_504
; %bb.501:                              ;   in Loop: Header=BB283_15 Depth=1
	v_and_b32_e32 v1, 7, v28
	v_lshrrev_b32_e32 v2, 3, v6
	s_mov_b32 s23, exec_lo
	v_cmpx_gt_u32_e32 8, v6
; %bb.502:                              ;   in Loop: Header=BB283_15 Depth=1
	v_ffbh_u32_e32 v1, v1
	v_min_u32_e32 v6, 32, v1
	v_subrev_nc_u32_e32 v1, 28, v6
	v_lshlrev_b64 v[1:2], v1, v[3:4]
	v_sub_nc_u32_e32 v2, 29, v6
	v_and_b32_e32 v1, 7, v1
; %bb.503:                              ;   in Loop: Header=BB283_15 Depth=1
	s_or_b32 exec_lo, exec_lo, s23
	v_lshlrev_b32_e32 v6, 8, v28
	v_lshl_add_u32 v2, v2, 10, 0x2000
	v_lshlrev_b32_e32 v1, 7, v1
	v_and_b32_e32 v6, 0x8000, v6
	v_and_b32_e32 v2, 0xfc00, v2
	v_or3_b32 v1, v6, v2, v1
.LBB283_504:                            ;   in Loop: Header=BB283_15 Depth=1
	s_or_b32 exec_lo, exec_lo, s22
.LBB283_505:                            ;   in Loop: Header=BB283_15 Depth=1
	s_or_b32 exec_lo, exec_lo, s21
.LBB283_506:                            ;   in Loop: Header=BB283_15 Depth=1
	s_or_b32 exec_lo, exec_lo, s20
	v_lshrrev_b16 v3, 8, v3
	v_mov_b32_e32 v48, 0
	v_mov_b32_e32 v7, 0
	s_mov_b32 s20, exec_lo
	v_cmpx_ne_u16_e32 0, v3
	s_cbranch_execz .LBB283_514
; %bb.507:                              ;   in Loop: Header=BB283_15 Depth=1
	v_bfrev_b32_e32 v7, 1
	s_mov_b32 s21, exec_lo
	v_cmpx_ne_u16_e32 0x80, v3
	s_cbranch_execz .LBB283_513
; %bb.508:                              ;   in Loop: Header=BB283_15 Depth=1
	v_mov_b32_e32 v2, 0x7f
	v_mov_b32_e32 v7, 0x7c010000
	s_mov_b32 s22, exec_lo
	v_and_b32_sdwa v8, v3, v2 dst_sel:DWORD dst_unused:UNUSED_PAD src0_sel:WORD_0 src1_sel:DWORD
	v_cmpx_ne_u32_e32 0x7f, v8
	s_cbranch_execz .LBB283_512
; %bb.509:                              ;   in Loop: Header=BB283_15 Depth=1
	v_mov_b32_e32 v2, 7
	v_lshrrev_b32_e32 v6, 3, v8
	s_mov_b32 s23, exec_lo
	v_and_b32_sdwa v2, v3, v2 dst_sel:DWORD dst_unused:UNUSED_PAD src0_sel:WORD_0 src1_sel:DWORD
	v_cmpx_gt_u32_e32 8, v8
; %bb.510:                              ;   in Loop: Header=BB283_15 Depth=1
	v_ffbh_u32_e32 v2, v2
	v_min_u32_e32 v2, 32, v2
	v_subrev_nc_u32_e32 v6, 28, v2
	v_lshlrev_b64 v[7:8], v6, v[3:4]
	v_sub_nc_u32_e32 v6, 29, v2
	v_and_b32_e32 v2, 7, v7
; %bb.511:                              ;   in Loop: Header=BB283_15 Depth=1
	s_or_b32 exec_lo, exec_lo, s23
	v_mov_b32_e32 v7, 8
	v_lshl_add_u32 v6, v6, 10, 0x2000
	v_lshlrev_b32_e32 v2, 23, v2
	v_lshlrev_b32_sdwa v3, v7, v3 dst_sel:DWORD dst_unused:UNUSED_PAD src0_sel:DWORD src1_sel:WORD_0
	v_and_or_b32 v3, 0x8000, v3, v6
	v_lshl_or_b32 v7, v3, 16, v2
.LBB283_512:                            ;   in Loop: Header=BB283_15 Depth=1
	s_or_b32 exec_lo, exec_lo, s22
.LBB283_513:                            ;   in Loop: Header=BB283_15 Depth=1
	s_or_b32 exec_lo, exec_lo, s21
.LBB283_514:                            ;   in Loop: Header=BB283_15 Depth=1
	s_or_b32 exec_lo, exec_lo, s20
	v_lshrrev_b32_e32 v3, 16, v28
	v_cmp_ne_u16_sdwa s5, v3, v4 src0_sel:BYTE_0 src1_sel:DWORD
	s_and_saveexec_b32 s20, s5
	s_cbranch_execz .LBB283_522
; %bb.515:                              ;   in Loop: Header=BB283_15 Depth=1
	v_cmp_ne_u16_sdwa s5, v3, v91 src0_sel:BYTE_0 src1_sel:DWORD
	v_mov_b32_e32 v48, 0x8000
	s_and_saveexec_b32 s21, s5
	s_cbranch_execz .LBB283_521
; %bb.516:                              ;   in Loop: Header=BB283_15 Depth=1
	v_bfe_u32 v8, v28, 16, 7
	v_mov_b32_e32 v48, 0x7c01
	s_mov_b32 s22, exec_lo
	v_cmpx_ne_u32_e32 0x7f, v8
	s_cbranch_execz .LBB283_520
; %bb.517:                              ;   in Loop: Header=BB283_15 Depth=1
	v_and_b32_e32 v2, 7, v3
	v_lshrrev_b32_e32 v6, 3, v8
	s_mov_b32 s23, exec_lo
	v_cmpx_gt_u32_e32 8, v8
; %bb.518:                              ;   in Loop: Header=BB283_15 Depth=1
	v_ffbh_u32_e32 v2, v2
	v_min_u32_e32 v2, 32, v2
	v_subrev_nc_u32_e32 v6, 28, v2
	v_lshlrev_b64 v[8:9], v6, v[3:4]
	v_sub_nc_u32_e32 v6, 29, v2
	v_and_b32_e32 v2, 7, v8
; %bb.519:                              ;   in Loop: Header=BB283_15 Depth=1
	s_or_b32 exec_lo, exec_lo, s23
	v_lshlrev_b32_e32 v3, 8, v3
	v_lshl_add_u32 v6, v6, 10, 0x2000
	v_lshlrev_b32_e32 v2, 7, v2
	v_and_b32_e32 v3, 0x8000, v3
	v_and_b32_e32 v6, 0xfc00, v6
	v_or3_b32 v48, v3, v6, v2
.LBB283_520:                            ;   in Loop: Header=BB283_15 Depth=1
	s_or_b32 exec_lo, exec_lo, s22
.LBB283_521:                            ;   in Loop: Header=BB283_15 Depth=1
	s_or_b32 exec_lo, exec_lo, s21
.LBB283_522:                            ;   in Loop: Header=BB283_15 Depth=1
	s_or_b32 exec_lo, exec_lo, s20
	v_mov_b32_e32 v31, 0
	v_mov_b32_e32 v11, 0
	s_mov_b32 s20, exec_lo
	v_cmpx_lt_u64_e64 s[12:13], v[27:28]
	s_cbranch_execz .LBB283_530
; %bb.523:                              ;   in Loop: Header=BB283_15 Depth=1
	v_lshrrev_b32_e32 v3, 24, v28
	v_bfrev_b32_e32 v11, 1
	s_mov_b32 s21, exec_lo
	v_cmpx_ne_u32_e32 0x80, v3
	s_cbranch_execz .LBB283_529
; %bb.524:                              ;   in Loop: Header=BB283_15 Depth=1
	v_and_b32_e32 v8, 0x7f, v3
	v_mov_b32_e32 v11, 0x7c010000
	s_mov_b32 s22, exec_lo
	v_cmpx_ne_u32_e32 0x7f, v8
	s_cbranch_execz .LBB283_528
; %bb.525:                              ;   in Loop: Header=BB283_15 Depth=1
	v_and_b32_e32 v2, 7, v3
	v_lshrrev_b32_e32 v6, 3, v8
	s_mov_b32 s23, exec_lo
	v_cmpx_gt_u32_e32 8, v8
; %bb.526:                              ;   in Loop: Header=BB283_15 Depth=1
	v_ffbh_u32_e32 v2, v2
	v_min_u32_e32 v2, 32, v2
	v_subrev_nc_u32_e32 v6, 28, v2
	v_lshlrev_b64 v[8:9], v6, v[3:4]
	v_sub_nc_u32_e32 v6, 29, v2
	v_and_b32_e32 v2, 7, v8
; %bb.527:                              ;   in Loop: Header=BB283_15 Depth=1
	s_or_b32 exec_lo, exec_lo, s23
	v_lshlrev_b32_e32 v3, 8, v3
	v_lshl_add_u32 v6, v6, 10, 0x2000
	v_lshlrev_b32_e32 v2, 23, v2
	v_and_or_b32 v3, 0x8000, v3, v6
	v_lshl_or_b32 v11, v3, 16, v2
.LBB283_528:                            ;   in Loop: Header=BB283_15 Depth=1
	s_or_b32 exec_lo, exec_lo, s22
.LBB283_529:                            ;   in Loop: Header=BB283_15 Depth=1
	s_or_b32 exec_lo, exec_lo, s21
.LBB283_530:                            ;   in Loop: Header=BB283_15 Depth=1
	s_or_b32 exec_lo, exec_lo, s20
	v_add_co_u32 v24, s5, 0x800, v24
	v_add_co_ci_u32_e64 v25, null, 0, v25, s5
	flat_load_dwordx2 v[27:28], v[24:25]
	s_waitcnt vmcnt(0) lgkmcnt(0)
	v_cmp_ne_u16_sdwa s5, v27, v4 src0_sel:BYTE_0 src1_sel:DWORD
	s_and_saveexec_b32 s20, s5
	s_cbranch_execz .LBB283_538
; %bb.531:                              ;   in Loop: Header=BB283_15 Depth=1
	v_cmp_ne_u16_sdwa s5, v27, v91 src0_sel:BYTE_0 src1_sel:DWORD
	v_mov_b32_e32 v31, 0x8000
	s_and_saveexec_b32 s21, s5
	s_cbranch_execz .LBB283_537
; %bb.532:                              ;   in Loop: Header=BB283_15 Depth=1
	v_and_b32_e32 v6, 0x7f, v27
	v_mov_b32_e32 v31, 0x7c01
	s_mov_b32 s22, exec_lo
	v_cmpx_ne_u32_e32 0x7f, v6
	s_cbranch_execz .LBB283_536
; %bb.533:                              ;   in Loop: Header=BB283_15 Depth=1
	v_and_b32_e32 v2, 7, v27
	v_lshrrev_b32_e32 v3, 3, v6
	s_mov_b32 s23, exec_lo
	v_cmpx_gt_u32_e32 8, v6
; %bb.534:                              ;   in Loop: Header=BB283_15 Depth=1
	v_ffbh_u32_e32 v2, v2
	v_min_u32_e32 v6, 32, v2
	v_subrev_nc_u32_e32 v2, 28, v6
	v_lshlrev_b64 v[2:3], v2, v[27:28]
	v_sub_nc_u32_e32 v3, 29, v6
	v_and_b32_e32 v2, 7, v2
; %bb.535:                              ;   in Loop: Header=BB283_15 Depth=1
	s_or_b32 exec_lo, exec_lo, s23
	v_lshlrev_b32_e32 v6, 8, v27
	v_lshl_add_u32 v3, v3, 10, 0x2000
	v_lshlrev_b32_e32 v2, 7, v2
	v_and_b32_e32 v6, 0x8000, v6
	v_and_b32_e32 v3, 0xfc00, v3
	v_or3_b32 v31, v6, v3, v2
.LBB283_536:                            ;   in Loop: Header=BB283_15 Depth=1
	s_or_b32 exec_lo, exec_lo, s22
.LBB283_537:                            ;   in Loop: Header=BB283_15 Depth=1
	s_or_b32 exec_lo, exec_lo, s21
.LBB283_538:                            ;   in Loop: Header=BB283_15 Depth=1
	s_or_b32 exec_lo, exec_lo, s20
	v_lshrrev_b16 v3, 8, v27
	v_mov_b32_e32 v19, 0
	v_mov_b32_e32 v13, 0
	s_mov_b32 s20, exec_lo
	v_cmpx_ne_u16_e32 0, v3
	s_cbranch_execz .LBB283_546
; %bb.539:                              ;   in Loop: Header=BB283_15 Depth=1
	v_bfrev_b32_e32 v13, 1
	s_mov_b32 s21, exec_lo
	v_cmpx_ne_u16_e32 0x80, v3
	s_cbranch_execz .LBB283_545
; %bb.540:                              ;   in Loop: Header=BB283_15 Depth=1
	v_mov_b32_e32 v2, 0x7f
	v_mov_b32_e32 v13, 0x7c010000
	s_mov_b32 s22, exec_lo
	v_and_b32_sdwa v8, v3, v2 dst_sel:DWORD dst_unused:UNUSED_PAD src0_sel:WORD_0 src1_sel:DWORD
	v_cmpx_ne_u32_e32 0x7f, v8
	s_cbranch_execz .LBB283_544
; %bb.541:                              ;   in Loop: Header=BB283_15 Depth=1
	v_mov_b32_e32 v2, 7
	v_lshrrev_b32_e32 v6, 3, v8
	s_mov_b32 s23, exec_lo
	v_and_b32_sdwa v2, v3, v2 dst_sel:DWORD dst_unused:UNUSED_PAD src0_sel:WORD_0 src1_sel:DWORD
	v_cmpx_gt_u32_e32 8, v8
; %bb.542:                              ;   in Loop: Header=BB283_15 Depth=1
	v_ffbh_u32_e32 v2, v2
	v_min_u32_e32 v2, 32, v2
	v_subrev_nc_u32_e32 v6, 28, v2
	v_lshlrev_b64 v[8:9], v6, v[3:4]
	v_sub_nc_u32_e32 v6, 29, v2
	v_and_b32_e32 v2, 7, v8
; %bb.543:                              ;   in Loop: Header=BB283_15 Depth=1
	s_or_b32 exec_lo, exec_lo, s23
	v_mov_b32_e32 v8, 8
	v_lshl_add_u32 v6, v6, 10, 0x2000
	v_lshlrev_b32_e32 v2, 23, v2
	v_lshlrev_b32_sdwa v3, v8, v3 dst_sel:DWORD dst_unused:UNUSED_PAD src0_sel:DWORD src1_sel:WORD_0
	v_and_or_b32 v3, 0x8000, v3, v6
	v_lshl_or_b32 v13, v3, 16, v2
.LBB283_544:                            ;   in Loop: Header=BB283_15 Depth=1
	s_or_b32 exec_lo, exec_lo, s22
.LBB283_545:                            ;   in Loop: Header=BB283_15 Depth=1
	s_or_b32 exec_lo, exec_lo, s21
.LBB283_546:                            ;   in Loop: Header=BB283_15 Depth=1
	s_or_b32 exec_lo, exec_lo, s20
	v_lshrrev_b32_e32 v3, 16, v27
	v_cmp_ne_u16_sdwa s5, v3, v4 src0_sel:BYTE_0 src1_sel:DWORD
	s_and_saveexec_b32 s20, s5
	s_cbranch_execz .LBB283_554
; %bb.547:                              ;   in Loop: Header=BB283_15 Depth=1
	v_cmp_ne_u16_sdwa s5, v3, v91 src0_sel:BYTE_0 src1_sel:DWORD
	v_mov_b32_e32 v19, 0x8000
	s_and_saveexec_b32 s21, s5
	s_cbranch_execz .LBB283_553
; %bb.548:                              ;   in Loop: Header=BB283_15 Depth=1
	v_bfe_u32 v8, v27, 16, 7
	v_mov_b32_e32 v19, 0x7c01
	s_mov_b32 s22, exec_lo
	v_cmpx_ne_u32_e32 0x7f, v8
	s_cbranch_execz .LBB283_552
; %bb.549:                              ;   in Loop: Header=BB283_15 Depth=1
	v_and_b32_e32 v2, 7, v3
	v_lshrrev_b32_e32 v6, 3, v8
	s_mov_b32 s23, exec_lo
	v_cmpx_gt_u32_e32 8, v8
; %bb.550:                              ;   in Loop: Header=BB283_15 Depth=1
	v_ffbh_u32_e32 v2, v2
	v_min_u32_e32 v2, 32, v2
	v_subrev_nc_u32_e32 v6, 28, v2
	v_lshlrev_b64 v[8:9], v6, v[3:4]
	v_sub_nc_u32_e32 v6, 29, v2
	v_and_b32_e32 v2, 7, v8
; %bb.551:                              ;   in Loop: Header=BB283_15 Depth=1
	s_or_b32 exec_lo, exec_lo, s23
	v_lshlrev_b32_e32 v3, 8, v3
	v_lshl_add_u32 v6, v6, 10, 0x2000
	v_lshlrev_b32_e32 v2, 7, v2
	v_and_b32_e32 v3, 0x8000, v3
	v_and_b32_e32 v6, 0xfc00, v6
	v_or3_b32 v19, v3, v6, v2
.LBB283_552:                            ;   in Loop: Header=BB283_15 Depth=1
	s_or_b32 exec_lo, exec_lo, s22
.LBB283_553:                            ;   in Loop: Header=BB283_15 Depth=1
	s_or_b32 exec_lo, exec_lo, s21
.LBB283_554:                            ;   in Loop: Header=BB283_15 Depth=1
	s_or_b32 exec_lo, exec_lo, s20
	v_mov_b32_e32 v15, 0
	v_mov_b32_e32 v9, 0
	s_mov_b32 s20, exec_lo
	v_cmpx_lt_u32_e32 0xffffff, v27
	s_cbranch_execz .LBB283_562
; %bb.555:                              ;   in Loop: Header=BB283_15 Depth=1
	v_lshrrev_b32_e32 v3, 24, v27
	v_bfrev_b32_e32 v9, 1
	s_mov_b32 s21, exec_lo
	v_cmpx_ne_u32_e32 0x80, v3
	s_cbranch_execz .LBB283_561
; %bb.556:                              ;   in Loop: Header=BB283_15 Depth=1
	v_and_b32_e32 v8, 0x7f, v3
	v_mov_b32_e32 v9, 0x7c010000
	s_mov_b32 s22, exec_lo
	v_cmpx_ne_u32_e32 0x7f, v8
	s_cbranch_execz .LBB283_560
; %bb.557:                              ;   in Loop: Header=BB283_15 Depth=1
	v_and_b32_e32 v2, 7, v3
	v_lshrrev_b32_e32 v6, 3, v8
	s_mov_b32 s23, exec_lo
	v_cmpx_gt_u32_e32 8, v8
; %bb.558:                              ;   in Loop: Header=BB283_15 Depth=1
	v_ffbh_u32_e32 v2, v2
	v_min_u32_e32 v2, 32, v2
	v_subrev_nc_u32_e32 v6, 28, v2
	v_lshlrev_b64 v[8:9], v6, v[3:4]
	v_sub_nc_u32_e32 v6, 29, v2
	v_and_b32_e32 v2, 7, v8
; %bb.559:                              ;   in Loop: Header=BB283_15 Depth=1
	s_or_b32 exec_lo, exec_lo, s23
	v_lshlrev_b32_e32 v3, 8, v3
	v_lshl_add_u32 v6, v6, 10, 0x2000
	v_lshlrev_b32_e32 v2, 23, v2
	v_and_or_b32 v3, 0x8000, v3, v6
	v_lshl_or_b32 v9, v3, 16, v2
.LBB283_560:                            ;   in Loop: Header=BB283_15 Depth=1
	s_or_b32 exec_lo, exec_lo, s22
.LBB283_561:                            ;   in Loop: Header=BB283_15 Depth=1
	s_or_b32 exec_lo, exec_lo, s21
.LBB283_562:                            ;   in Loop: Header=BB283_15 Depth=1
	s_or_b32 exec_lo, exec_lo, s20
	v_mov_b32_e32 v3, v28
	v_cmp_ne_u16_sdwa s5, v28, v4 src0_sel:BYTE_0 src1_sel:DWORD
	s_and_saveexec_b32 s20, s5
	s_cbranch_execz .LBB283_570
; %bb.563:                              ;   in Loop: Header=BB283_15 Depth=1
	v_cmp_ne_u16_sdwa s5, v28, v91 src0_sel:BYTE_0 src1_sel:DWORD
	v_mov_b32_e32 v15, 0x8000
	s_and_saveexec_b32 s21, s5
	s_cbranch_execz .LBB283_569
; %bb.564:                              ;   in Loop: Header=BB283_15 Depth=1
	v_and_b32_e32 v8, 0x7f, v28
	v_mov_b32_e32 v15, 0x7c01
	s_mov_b32 s22, exec_lo
	v_cmpx_ne_u32_e32 0x7f, v8
	s_cbranch_execz .LBB283_568
; %bb.565:                              ;   in Loop: Header=BB283_15 Depth=1
	v_and_b32_e32 v2, 7, v28
	v_lshrrev_b32_e32 v6, 3, v8
	s_mov_b32 s23, exec_lo
	v_cmpx_gt_u32_e32 8, v8
; %bb.566:                              ;   in Loop: Header=BB283_15 Depth=1
	v_ffbh_u32_e32 v2, v2
	v_min_u32_e32 v2, 32, v2
	v_subrev_nc_u32_e32 v6, 28, v2
	v_lshlrev_b64 v[14:15], v6, v[3:4]
	v_sub_nc_u32_e32 v6, 29, v2
	v_and_b32_e32 v2, 7, v14
; %bb.567:                              ;   in Loop: Header=BB283_15 Depth=1
	s_or_b32 exec_lo, exec_lo, s23
	v_lshlrev_b32_e32 v8, 8, v28
	v_lshl_add_u32 v6, v6, 10, 0x2000
	v_lshlrev_b32_e32 v2, 7, v2
	v_and_b32_e32 v8, 0x8000, v8
	v_and_b32_e32 v6, 0xfc00, v6
	v_or3_b32 v15, v8, v6, v2
.LBB283_568:                            ;   in Loop: Header=BB283_15 Depth=1
	s_or_b32 exec_lo, exec_lo, s22
.LBB283_569:                            ;   in Loop: Header=BB283_15 Depth=1
	s_or_b32 exec_lo, exec_lo, s21
.LBB283_570:                            ;   in Loop: Header=BB283_15 Depth=1
	s_or_b32 exec_lo, exec_lo, s20
	v_lshrrev_b16 v3, 8, v3
	v_mov_b32_e32 v110, 0
	v_mov_b32_e32 v2, 0
	s_mov_b32 s20, exec_lo
	v_cmpx_ne_u16_e32 0, v3
	s_cbranch_execz .LBB283_578
; %bb.571:                              ;   in Loop: Header=BB283_15 Depth=1
	v_bfrev_b32_e32 v2, 1
	s_mov_b32 s21, exec_lo
	v_cmpx_ne_u16_e32 0x80, v3
	s_cbranch_execz .LBB283_577
; %bb.572:                              ;   in Loop: Header=BB283_15 Depth=1
	v_mov_b32_e32 v2, 0x7f
	s_mov_b32 s22, exec_lo
	v_and_b32_sdwa v8, v3, v2 dst_sel:DWORD dst_unused:UNUSED_PAD src0_sel:WORD_0 src1_sel:DWORD
	v_mov_b32_e32 v2, 0x7c010000
	v_cmpx_ne_u32_e32 0x7f, v8
	s_cbranch_execz .LBB283_576
; %bb.573:                              ;   in Loop: Header=BB283_15 Depth=1
	v_mov_b32_e32 v2, 7
	v_lshrrev_b32_e32 v6, 3, v8
	s_mov_b32 s23, exec_lo
	v_and_b32_sdwa v2, v3, v2 dst_sel:DWORD dst_unused:UNUSED_PAD src0_sel:WORD_0 src1_sel:DWORD
	v_cmpx_gt_u32_e32 8, v8
; %bb.574:                              ;   in Loop: Header=BB283_15 Depth=1
	v_ffbh_u32_e32 v2, v2
	v_min_u32_e32 v2, 32, v2
	v_subrev_nc_u32_e32 v6, 28, v2
	v_lshlrev_b64 v[20:21], v6, v[3:4]
	v_sub_nc_u32_e32 v6, 29, v2
	v_and_b32_e32 v2, 7, v20
; %bb.575:                              ;   in Loop: Header=BB283_15 Depth=1
	s_or_b32 exec_lo, exec_lo, s23
	v_mov_b32_e32 v8, 8
	v_lshl_add_u32 v6, v6, 10, 0x2000
	v_lshlrev_b32_e32 v2, 23, v2
	v_lshlrev_b32_sdwa v3, v8, v3 dst_sel:DWORD dst_unused:UNUSED_PAD src0_sel:DWORD src1_sel:WORD_0
	v_and_or_b32 v3, 0x8000, v3, v6
	v_lshl_or_b32 v2, v3, 16, v2
.LBB283_576:                            ;   in Loop: Header=BB283_15 Depth=1
	s_or_b32 exec_lo, exec_lo, s22
.LBB283_577:                            ;   in Loop: Header=BB283_15 Depth=1
	s_or_b32 exec_lo, exec_lo, s21
.LBB283_578:                            ;   in Loop: Header=BB283_15 Depth=1
	s_or_b32 exec_lo, exec_lo, s20
	v_lshrrev_b32_e32 v3, 16, v28
	v_cmp_ne_u16_sdwa s5, v3, v4 src0_sel:BYTE_0 src1_sel:DWORD
	s_and_saveexec_b32 s20, s5
	s_cbranch_execz .LBB283_586
; %bb.579:                              ;   in Loop: Header=BB283_15 Depth=1
	v_cmp_ne_u16_sdwa s5, v3, v91 src0_sel:BYTE_0 src1_sel:DWORD
	v_mov_b32_e32 v110, 0x8000
	s_and_saveexec_b32 s21, s5
	s_cbranch_execz .LBB283_585
; %bb.580:                              ;   in Loop: Header=BB283_15 Depth=1
	v_bfe_u32 v10, v28, 16, 7
	v_mov_b32_e32 v110, 0x7c01
	s_mov_b32 s22, exec_lo
	v_cmpx_ne_u32_e32 0x7f, v10
	s_cbranch_execz .LBB283_584
; %bb.581:                              ;   in Loop: Header=BB283_15 Depth=1
	v_and_b32_e32 v6, 7, v3
	v_lshrrev_b32_e32 v8, 3, v10
	s_mov_b32 s23, exec_lo
	v_cmpx_gt_u32_e32 8, v10
; %bb.582:                              ;   in Loop: Header=BB283_15 Depth=1
	v_ffbh_u32_e32 v6, v6
	v_min_u32_e32 v6, 32, v6
	v_subrev_nc_u32_e32 v8, 28, v6
	v_lshlrev_b64 v[20:21], v8, v[3:4]
	v_sub_nc_u32_e32 v8, 29, v6
	v_and_b32_e32 v6, 7, v20
; %bb.583:                              ;   in Loop: Header=BB283_15 Depth=1
	s_or_b32 exec_lo, exec_lo, s23
	v_lshlrev_b32_e32 v3, 8, v3
	v_lshl_add_u32 v8, v8, 10, 0x2000
	v_lshlrev_b32_e32 v6, 7, v6
	v_and_b32_e32 v3, 0x8000, v3
	v_and_b32_e32 v8, 0xfc00, v8
	v_or3_b32 v110, v3, v8, v6
.LBB283_584:                            ;   in Loop: Header=BB283_15 Depth=1
	s_or_b32 exec_lo, exec_lo, s22
.LBB283_585:                            ;   in Loop: Header=BB283_15 Depth=1
	s_or_b32 exec_lo, exec_lo, s21
.LBB283_586:                            ;   in Loop: Header=BB283_15 Depth=1
	s_or_b32 exec_lo, exec_lo, s20
	v_mov_b32_e32 v67, 0
	v_mov_b32_e32 v36, 0
	s_mov_b32 s20, exec_lo
	v_cmpx_lt_u64_e64 s[12:13], v[27:28]
	s_cbranch_execz .LBB283_594
; %bb.587:                              ;   in Loop: Header=BB283_15 Depth=1
	v_lshrrev_b32_e32 v3, 24, v28
	v_bfrev_b32_e32 v36, 1
	s_mov_b32 s21, exec_lo
	v_cmpx_ne_u32_e32 0x80, v3
	s_cbranch_execz .LBB283_593
; %bb.588:                              ;   in Loop: Header=BB283_15 Depth=1
	v_and_b32_e32 v10, 0x7f, v3
	v_mov_b32_e32 v36, 0x7c010000
	s_mov_b32 s22, exec_lo
	v_cmpx_ne_u32_e32 0x7f, v10
	s_cbranch_execz .LBB283_592
; %bb.589:                              ;   in Loop: Header=BB283_15 Depth=1
	v_and_b32_e32 v6, 7, v3
	v_lshrrev_b32_e32 v8, 3, v10
	s_mov_b32 s23, exec_lo
	v_cmpx_gt_u32_e32 8, v10
; %bb.590:                              ;   in Loop: Header=BB283_15 Depth=1
	v_ffbh_u32_e32 v6, v6
	v_min_u32_e32 v6, 32, v6
	v_subrev_nc_u32_e32 v8, 28, v6
	v_lshlrev_b64 v[20:21], v8, v[3:4]
	v_sub_nc_u32_e32 v8, 29, v6
	v_and_b32_e32 v6, 7, v20
; %bb.591:                              ;   in Loop: Header=BB283_15 Depth=1
	s_or_b32 exec_lo, exec_lo, s23
	v_lshlrev_b32_e32 v3, 8, v3
	v_lshl_add_u32 v8, v8, 10, 0x2000
	v_lshlrev_b32_e32 v6, 23, v6
	v_and_or_b32 v3, 0x8000, v3, v8
	v_lshl_or_b32 v36, v3, 16, v6
.LBB283_592:                            ;   in Loop: Header=BB283_15 Depth=1
	s_or_b32 exec_lo, exec_lo, s22
.LBB283_593:                            ;   in Loop: Header=BB283_15 Depth=1
	s_or_b32 exec_lo, exec_lo, s21
.LBB283_594:                            ;   in Loop: Header=BB283_15 Depth=1
	s_or_b32 exec_lo, exec_lo, s20
	flat_load_dwordx2 v[27:28], v[24:25] offset:8
	s_waitcnt vmcnt(0) lgkmcnt(0)
	v_cmp_ne_u16_sdwa s5, v27, v4 src0_sel:BYTE_0 src1_sel:DWORD
	s_and_saveexec_b32 s20, s5
	s_cbranch_execz .LBB283_602
; %bb.595:                              ;   in Loop: Header=BB283_15 Depth=1
	v_cmp_ne_u16_sdwa s5, v27, v91 src0_sel:BYTE_0 src1_sel:DWORD
	v_mov_b32_e32 v67, 0x8000
	s_and_saveexec_b32 s21, s5
	s_cbranch_execz .LBB283_601
; %bb.596:                              ;   in Loop: Header=BB283_15 Depth=1
	v_and_b32_e32 v8, 0x7f, v27
	v_mov_b32_e32 v67, 0x7c01
	s_mov_b32 s22, exec_lo
	v_cmpx_ne_u32_e32 0x7f, v8
	s_cbranch_execz .LBB283_600
; %bb.597:                              ;   in Loop: Header=BB283_15 Depth=1
	v_and_b32_e32 v3, 7, v27
	v_lshrrev_b32_e32 v6, 3, v8
	s_mov_b32 s23, exec_lo
	v_cmpx_gt_u32_e32 8, v8
; %bb.598:                              ;   in Loop: Header=BB283_15 Depth=1
	v_ffbh_u32_e32 v3, v3
	v_min_u32_e32 v3, 32, v3
	v_subrev_nc_u32_e32 v6, 28, v3
	v_lshlrev_b64 v[20:21], v6, v[27:28]
	v_sub_nc_u32_e32 v6, 29, v3
	v_and_b32_e32 v3, 7, v20
; %bb.599:                              ;   in Loop: Header=BB283_15 Depth=1
	s_or_b32 exec_lo, exec_lo, s23
	v_lshlrev_b32_e32 v8, 8, v27
	v_lshl_add_u32 v6, v6, 10, 0x2000
	v_lshlrev_b32_e32 v3, 7, v3
	v_and_b32_e32 v8, 0x8000, v8
	v_and_b32_e32 v6, 0xfc00, v6
	v_or3_b32 v67, v8, v6, v3
.LBB283_600:                            ;   in Loop: Header=BB283_15 Depth=1
	s_or_b32 exec_lo, exec_lo, s22
.LBB283_601:                            ;   in Loop: Header=BB283_15 Depth=1
	s_or_b32 exec_lo, exec_lo, s21
.LBB283_602:                            ;   in Loop: Header=BB283_15 Depth=1
	s_or_b32 exec_lo, exec_lo, s20
	v_lshrrev_b16 v3, 8, v27
	v_mov_b32_e32 v71, 0
	v_mov_b32_e32 v81, 0
	s_mov_b32 s20, exec_lo
	v_cmpx_ne_u16_e32 0, v3
	s_cbranch_execz .LBB283_610
; %bb.603:                              ;   in Loop: Header=BB283_15 Depth=1
	v_bfrev_b32_e32 v81, 1
	s_mov_b32 s21, exec_lo
	v_cmpx_ne_u16_e32 0x80, v3
	s_cbranch_execz .LBB283_609
; %bb.604:                              ;   in Loop: Header=BB283_15 Depth=1
	v_mov_b32_e32 v6, 0x7f
	v_mov_b32_e32 v81, 0x7c010000
	s_mov_b32 s22, exec_lo
	v_and_b32_sdwa v10, v3, v6 dst_sel:DWORD dst_unused:UNUSED_PAD src0_sel:WORD_0 src1_sel:DWORD
	v_cmpx_ne_u32_e32 0x7f, v10
	s_cbranch_execz .LBB283_608
; %bb.605:                              ;   in Loop: Header=BB283_15 Depth=1
	v_mov_b32_e32 v6, 7
	v_lshrrev_b32_e32 v8, 3, v10
	s_mov_b32 s23, exec_lo
	v_and_b32_sdwa v6, v3, v6 dst_sel:DWORD dst_unused:UNUSED_PAD src0_sel:WORD_0 src1_sel:DWORD
	v_cmpx_gt_u32_e32 8, v10
; %bb.606:                              ;   in Loop: Header=BB283_15 Depth=1
	v_ffbh_u32_e32 v6, v6
	v_min_u32_e32 v6, 32, v6
	v_subrev_nc_u32_e32 v8, 28, v6
	v_lshlrev_b64 v[20:21], v8, v[3:4]
	v_sub_nc_u32_e32 v8, 29, v6
	v_and_b32_e32 v6, 7, v20
; %bb.607:                              ;   in Loop: Header=BB283_15 Depth=1
	s_or_b32 exec_lo, exec_lo, s23
	v_mov_b32_e32 v10, 8
	v_lshl_add_u32 v8, v8, 10, 0x2000
	v_lshlrev_b32_e32 v6, 23, v6
	v_lshlrev_b32_sdwa v3, v10, v3 dst_sel:DWORD dst_unused:UNUSED_PAD src0_sel:DWORD src1_sel:WORD_0
	v_and_or_b32 v3, 0x8000, v3, v8
	v_lshl_or_b32 v81, v3, 16, v6
.LBB283_608:                            ;   in Loop: Header=BB283_15 Depth=1
	s_or_b32 exec_lo, exec_lo, s22
.LBB283_609:                            ;   in Loop: Header=BB283_15 Depth=1
	s_or_b32 exec_lo, exec_lo, s21
.LBB283_610:                            ;   in Loop: Header=BB283_15 Depth=1
	s_or_b32 exec_lo, exec_lo, s20
	v_lshrrev_b32_e32 v3, 16, v27
	v_cmp_ne_u16_sdwa s5, v3, v4 src0_sel:BYTE_0 src1_sel:DWORD
	s_and_saveexec_b32 s20, s5
	s_cbranch_execz .LBB283_618
; %bb.611:                              ;   in Loop: Header=BB283_15 Depth=1
	v_cmp_ne_u16_sdwa s5, v3, v91 src0_sel:BYTE_0 src1_sel:DWORD
	v_mov_b32_e32 v71, 0x8000
	s_and_saveexec_b32 s21, s5
	s_cbranch_execz .LBB283_617
; %bb.612:                              ;   in Loop: Header=BB283_15 Depth=1
	v_bfe_u32 v10, v27, 16, 7
	v_mov_b32_e32 v71, 0x7c01
	s_mov_b32 s22, exec_lo
	v_cmpx_ne_u32_e32 0x7f, v10
	s_cbranch_execz .LBB283_616
; %bb.613:                              ;   in Loop: Header=BB283_15 Depth=1
	v_and_b32_e32 v6, 7, v3
	v_lshrrev_b32_e32 v8, 3, v10
	s_mov_b32 s23, exec_lo
	v_cmpx_gt_u32_e32 8, v10
; %bb.614:                              ;   in Loop: Header=BB283_15 Depth=1
	v_ffbh_u32_e32 v6, v6
	v_min_u32_e32 v6, 32, v6
	v_subrev_nc_u32_e32 v8, 28, v6
	v_lshlrev_b64 v[20:21], v8, v[3:4]
	v_sub_nc_u32_e32 v8, 29, v6
	v_and_b32_e32 v6, 7, v20
; %bb.615:                              ;   in Loop: Header=BB283_15 Depth=1
	s_or_b32 exec_lo, exec_lo, s23
	v_lshlrev_b32_e32 v3, 8, v3
	v_lshl_add_u32 v8, v8, 10, 0x2000
	v_lshlrev_b32_e32 v6, 7, v6
	v_and_b32_e32 v3, 0x8000, v3
	v_and_b32_e32 v8, 0xfc00, v8
	v_or3_b32 v71, v3, v8, v6
.LBB283_616:                            ;   in Loop: Header=BB283_15 Depth=1
	s_or_b32 exec_lo, exec_lo, s22
.LBB283_617:                            ;   in Loop: Header=BB283_15 Depth=1
	s_or_b32 exec_lo, exec_lo, s21
.LBB283_618:                            ;   in Loop: Header=BB283_15 Depth=1
	s_or_b32 exec_lo, exec_lo, s20
	v_mov_b32_e32 v97, 0
	v_mov_b32_e32 v82, 0
	s_mov_b32 s20, exec_lo
	v_cmpx_lt_u32_e32 0xffffff, v27
	s_cbranch_execz .LBB283_626
; %bb.619:                              ;   in Loop: Header=BB283_15 Depth=1
	v_lshrrev_b32_e32 v3, 24, v27
	v_bfrev_b32_e32 v82, 1
	s_mov_b32 s21, exec_lo
	v_cmpx_ne_u32_e32 0x80, v3
	s_cbranch_execz .LBB283_625
; %bb.620:                              ;   in Loop: Header=BB283_15 Depth=1
	v_and_b32_e32 v10, 0x7f, v3
	v_mov_b32_e32 v82, 0x7c010000
	s_mov_b32 s22, exec_lo
	v_cmpx_ne_u32_e32 0x7f, v10
	s_cbranch_execz .LBB283_624
; %bb.621:                              ;   in Loop: Header=BB283_15 Depth=1
	v_and_b32_e32 v6, 7, v3
	v_lshrrev_b32_e32 v8, 3, v10
	s_mov_b32 s23, exec_lo
	v_cmpx_gt_u32_e32 8, v10
; %bb.622:                              ;   in Loop: Header=BB283_15 Depth=1
	v_ffbh_u32_e32 v6, v6
	v_min_u32_e32 v6, 32, v6
	v_subrev_nc_u32_e32 v8, 28, v6
	v_lshlrev_b64 v[20:21], v8, v[3:4]
	v_sub_nc_u32_e32 v8, 29, v6
	v_and_b32_e32 v6, 7, v20
; %bb.623:                              ;   in Loop: Header=BB283_15 Depth=1
	s_or_b32 exec_lo, exec_lo, s23
	v_lshlrev_b32_e32 v3, 8, v3
	v_lshl_add_u32 v8, v8, 10, 0x2000
	v_lshlrev_b32_e32 v6, 23, v6
	v_and_or_b32 v3, 0x8000, v3, v8
	v_lshl_or_b32 v82, v3, 16, v6
.LBB283_624:                            ;   in Loop: Header=BB283_15 Depth=1
	s_or_b32 exec_lo, exec_lo, s22
.LBB283_625:                            ;   in Loop: Header=BB283_15 Depth=1
	s_or_b32 exec_lo, exec_lo, s21
.LBB283_626:                            ;   in Loop: Header=BB283_15 Depth=1
	s_or_b32 exec_lo, exec_lo, s20
	v_mov_b32_e32 v3, v28
	v_cmp_ne_u16_sdwa s5, v28, v4 src0_sel:BYTE_0 src1_sel:DWORD
	s_and_saveexec_b32 s20, s5
	s_cbranch_execz .LBB283_634
; %bb.627:                              ;   in Loop: Header=BB283_15 Depth=1
	v_cmp_ne_u16_sdwa s5, v28, v91 src0_sel:BYTE_0 src1_sel:DWORD
	v_mov_b32_e32 v97, 0x8000
	s_and_saveexec_b32 s21, s5
	s_cbranch_execz .LBB283_633
; %bb.628:                              ;   in Loop: Header=BB283_15 Depth=1
	v_and_b32_e32 v10, 0x7f, v28
	v_mov_b32_e32 v97, 0x7c01
	s_mov_b32 s22, exec_lo
	v_cmpx_ne_u32_e32 0x7f, v10
	s_cbranch_execz .LBB283_632
; %bb.629:                              ;   in Loop: Header=BB283_15 Depth=1
	v_and_b32_e32 v6, 7, v28
	v_lshrrev_b32_e32 v8, 3, v10
	s_mov_b32 s23, exec_lo
	v_cmpx_gt_u32_e32 8, v10
; %bb.630:                              ;   in Loop: Header=BB283_15 Depth=1
	v_ffbh_u32_e32 v6, v6
	v_min_u32_e32 v6, 32, v6
	v_subrev_nc_u32_e32 v8, 28, v6
	v_lshlrev_b64 v[20:21], v8, v[3:4]
	v_sub_nc_u32_e32 v8, 29, v6
	v_and_b32_e32 v6, 7, v20
; %bb.631:                              ;   in Loop: Header=BB283_15 Depth=1
	s_or_b32 exec_lo, exec_lo, s23
	v_lshlrev_b32_e32 v10, 8, v28
	v_lshl_add_u32 v8, v8, 10, 0x2000
	v_lshlrev_b32_e32 v6, 7, v6
	v_and_b32_e32 v10, 0x8000, v10
	v_and_b32_e32 v8, 0xfc00, v8
	v_or3_b32 v97, v10, v8, v6
.LBB283_632:                            ;   in Loop: Header=BB283_15 Depth=1
	s_or_b32 exec_lo, exec_lo, s22
.LBB283_633:                            ;   in Loop: Header=BB283_15 Depth=1
	s_or_b32 exec_lo, exec_lo, s21
.LBB283_634:                            ;   in Loop: Header=BB283_15 Depth=1
	s_or_b32 exec_lo, exec_lo, s20
	v_lshrrev_b16 v3, 8, v3
	v_mov_b32_e32 v102, 0
	v_mov_b32_e32 v99, 0
	s_mov_b32 s20, exec_lo
	v_cmpx_ne_u16_e32 0, v3
	s_cbranch_execz .LBB283_642
; %bb.635:                              ;   in Loop: Header=BB283_15 Depth=1
	v_bfrev_b32_e32 v99, 1
	s_mov_b32 s21, exec_lo
	v_cmpx_ne_u16_e32 0x80, v3
	s_cbranch_execz .LBB283_641
; %bb.636:                              ;   in Loop: Header=BB283_15 Depth=1
	v_mov_b32_e32 v6, 0x7f
	v_mov_b32_e32 v99, 0x7c010000
	s_mov_b32 s22, exec_lo
	v_and_b32_sdwa v10, v3, v6 dst_sel:DWORD dst_unused:UNUSED_PAD src0_sel:WORD_0 src1_sel:DWORD
	v_cmpx_ne_u32_e32 0x7f, v10
	s_cbranch_execz .LBB283_640
; %bb.637:                              ;   in Loop: Header=BB283_15 Depth=1
	v_mov_b32_e32 v6, 7
	v_lshrrev_b32_e32 v8, 3, v10
	s_mov_b32 s23, exec_lo
	v_and_b32_sdwa v6, v3, v6 dst_sel:DWORD dst_unused:UNUSED_PAD src0_sel:WORD_0 src1_sel:DWORD
	v_cmpx_gt_u32_e32 8, v10
; %bb.638:                              ;   in Loop: Header=BB283_15 Depth=1
	v_ffbh_u32_e32 v6, v6
	v_min_u32_e32 v6, 32, v6
	v_subrev_nc_u32_e32 v8, 28, v6
	v_lshlrev_b64 v[20:21], v8, v[3:4]
	v_sub_nc_u32_e32 v8, 29, v6
	v_and_b32_e32 v6, 7, v20
; %bb.639:                              ;   in Loop: Header=BB283_15 Depth=1
	s_or_b32 exec_lo, exec_lo, s23
	v_mov_b32_e32 v10, 8
	v_lshl_add_u32 v8, v8, 10, 0x2000
	v_lshlrev_b32_e32 v6, 23, v6
	v_lshlrev_b32_sdwa v3, v10, v3 dst_sel:DWORD dst_unused:UNUSED_PAD src0_sel:DWORD src1_sel:WORD_0
	v_and_or_b32 v3, 0x8000, v3, v8
	v_lshl_or_b32 v99, v3, 16, v6
.LBB283_640:                            ;   in Loop: Header=BB283_15 Depth=1
	s_or_b32 exec_lo, exec_lo, s22
.LBB283_641:                            ;   in Loop: Header=BB283_15 Depth=1
	s_or_b32 exec_lo, exec_lo, s21
.LBB283_642:                            ;   in Loop: Header=BB283_15 Depth=1
	s_or_b32 exec_lo, exec_lo, s20
	v_lshrrev_b32_e32 v3, 16, v28
	v_cmp_ne_u16_sdwa s5, v3, v4 src0_sel:BYTE_0 src1_sel:DWORD
	s_and_saveexec_b32 s20, s5
	s_cbranch_execz .LBB283_650
; %bb.643:                              ;   in Loop: Header=BB283_15 Depth=1
	v_cmp_ne_u16_sdwa s5, v3, v91 src0_sel:BYTE_0 src1_sel:DWORD
	v_mov_b32_e32 v102, 0x8000
	s_and_saveexec_b32 s21, s5
	s_cbranch_execz .LBB283_649
; %bb.644:                              ;   in Loop: Header=BB283_15 Depth=1
	v_bfe_u32 v10, v28, 16, 7
	v_mov_b32_e32 v102, 0x7c01
	s_mov_b32 s22, exec_lo
	v_cmpx_ne_u32_e32 0x7f, v10
	s_cbranch_execz .LBB283_648
; %bb.645:                              ;   in Loop: Header=BB283_15 Depth=1
	v_and_b32_e32 v6, 7, v3
	v_lshrrev_b32_e32 v8, 3, v10
	s_mov_b32 s23, exec_lo
	v_cmpx_gt_u32_e32 8, v10
; %bb.646:                              ;   in Loop: Header=BB283_15 Depth=1
	v_ffbh_u32_e32 v6, v6
	v_min_u32_e32 v6, 32, v6
	v_subrev_nc_u32_e32 v8, 28, v6
	v_lshlrev_b64 v[20:21], v8, v[3:4]
	v_sub_nc_u32_e32 v8, 29, v6
	v_and_b32_e32 v6, 7, v20
; %bb.647:                              ;   in Loop: Header=BB283_15 Depth=1
	s_or_b32 exec_lo, exec_lo, s23
	v_lshlrev_b32_e32 v3, 8, v3
	v_lshl_add_u32 v8, v8, 10, 0x2000
	v_lshlrev_b32_e32 v6, 7, v6
	v_and_b32_e32 v3, 0x8000, v3
	v_and_b32_e32 v8, 0xfc00, v8
	v_or3_b32 v102, v3, v8, v6
.LBB283_648:                            ;   in Loop: Header=BB283_15 Depth=1
	s_or_b32 exec_lo, exec_lo, s22
.LBB283_649:                            ;   in Loop: Header=BB283_15 Depth=1
	s_or_b32 exec_lo, exec_lo, s21
.LBB283_650:                            ;   in Loop: Header=BB283_15 Depth=1
	s_or_b32 exec_lo, exec_lo, s20
	v_mov_b32_e32 v34, 0
	v_mov_b32_e32 v89, 0
	s_mov_b32 s20, exec_lo
	v_cmpx_lt_u64_e64 s[12:13], v[27:28]
	s_cbranch_execz .LBB283_658
; %bb.651:                              ;   in Loop: Header=BB283_15 Depth=1
	v_lshrrev_b32_e32 v3, 24, v28
	v_bfrev_b32_e32 v89, 1
	s_mov_b32 s21, exec_lo
	v_cmpx_ne_u32_e32 0x80, v3
	s_cbranch_execz .LBB283_657
; %bb.652:                              ;   in Loop: Header=BB283_15 Depth=1
	v_and_b32_e32 v10, 0x7f, v3
	v_mov_b32_e32 v89, 0x7c010000
	s_mov_b32 s22, exec_lo
	v_cmpx_ne_u32_e32 0x7f, v10
	s_cbranch_execz .LBB283_656
; %bb.653:                              ;   in Loop: Header=BB283_15 Depth=1
	v_and_b32_e32 v6, 7, v3
	v_lshrrev_b32_e32 v8, 3, v10
	s_mov_b32 s23, exec_lo
	v_cmpx_gt_u32_e32 8, v10
; %bb.654:                              ;   in Loop: Header=BB283_15 Depth=1
	v_ffbh_u32_e32 v6, v6
	v_min_u32_e32 v6, 32, v6
	v_subrev_nc_u32_e32 v8, 28, v6
	v_lshlrev_b64 v[20:21], v8, v[3:4]
	v_sub_nc_u32_e32 v8, 29, v6
	v_and_b32_e32 v6, 7, v20
; %bb.655:                              ;   in Loop: Header=BB283_15 Depth=1
	s_or_b32 exec_lo, exec_lo, s23
	v_lshlrev_b32_e32 v3, 8, v3
	v_lshl_add_u32 v8, v8, 10, 0x2000
	v_lshlrev_b32_e32 v6, 23, v6
	v_and_or_b32 v3, 0x8000, v3, v8
	v_lshl_or_b32 v89, v3, 16, v6
.LBB283_656:                            ;   in Loop: Header=BB283_15 Depth=1
	s_or_b32 exec_lo, exec_lo, s22
.LBB283_657:                            ;   in Loop: Header=BB283_15 Depth=1
	s_or_b32 exec_lo, exec_lo, s21
.LBB283_658:                            ;   in Loop: Header=BB283_15 Depth=1
	s_or_b32 exec_lo, exec_lo, s20
	flat_load_dwordx2 v[27:28], v[24:25] offset:512
	s_waitcnt vmcnt(0) lgkmcnt(0)
	v_cmp_ne_u16_sdwa s5, v27, v4 src0_sel:BYTE_0 src1_sel:DWORD
	s_and_saveexec_b32 s20, s5
	s_cbranch_execz .LBB283_666
; %bb.659:                              ;   in Loop: Header=BB283_15 Depth=1
	v_cmp_ne_u16_sdwa s5, v27, v91 src0_sel:BYTE_0 src1_sel:DWORD
	v_mov_b32_e32 v34, 0x8000
	s_and_saveexec_b32 s21, s5
	s_cbranch_execz .LBB283_665
; %bb.660:                              ;   in Loop: Header=BB283_15 Depth=1
	v_and_b32_e32 v8, 0x7f, v27
	v_mov_b32_e32 v34, 0x7c01
	s_mov_b32 s22, exec_lo
	v_cmpx_ne_u32_e32 0x7f, v8
	s_cbranch_execz .LBB283_664
; %bb.661:                              ;   in Loop: Header=BB283_15 Depth=1
	v_and_b32_e32 v3, 7, v27
	v_lshrrev_b32_e32 v6, 3, v8
	s_mov_b32 s23, exec_lo
	v_cmpx_gt_u32_e32 8, v8
; %bb.662:                              ;   in Loop: Header=BB283_15 Depth=1
	v_ffbh_u32_e32 v3, v3
	v_min_u32_e32 v3, 32, v3
	v_subrev_nc_u32_e32 v6, 28, v3
	v_lshlrev_b64 v[20:21], v6, v[27:28]
	v_sub_nc_u32_e32 v6, 29, v3
	v_and_b32_e32 v3, 7, v20
; %bb.663:                              ;   in Loop: Header=BB283_15 Depth=1
	s_or_b32 exec_lo, exec_lo, s23
	v_lshlrev_b32_e32 v8, 8, v27
	v_lshl_add_u32 v6, v6, 10, 0x2000
	v_lshlrev_b32_e32 v3, 7, v3
	v_and_b32_e32 v8, 0x8000, v8
	v_and_b32_e32 v6, 0xfc00, v6
	v_or3_b32 v34, v8, v6, v3
.LBB283_664:                            ;   in Loop: Header=BB283_15 Depth=1
	s_or_b32 exec_lo, exec_lo, s22
.LBB283_665:                            ;   in Loop: Header=BB283_15 Depth=1
	s_or_b32 exec_lo, exec_lo, s21
.LBB283_666:                            ;   in Loop: Header=BB283_15 Depth=1
	s_or_b32 exec_lo, exec_lo, s20
	v_lshrrev_b16 v3, 8, v27
	v_mov_b32_e32 v37, 0
	v_mov_b32_e32 v35, 0
	s_mov_b32 s20, exec_lo
	v_cmpx_ne_u16_e32 0, v3
	s_cbranch_execz .LBB283_674
; %bb.667:                              ;   in Loop: Header=BB283_15 Depth=1
	v_bfrev_b32_e32 v35, 1
	s_mov_b32 s21, exec_lo
	v_cmpx_ne_u16_e32 0x80, v3
	s_cbranch_execz .LBB283_673
; %bb.668:                              ;   in Loop: Header=BB283_15 Depth=1
	v_mov_b32_e32 v6, 0x7f
	v_mov_b32_e32 v35, 0x7c010000
	s_mov_b32 s22, exec_lo
	v_and_b32_sdwa v10, v3, v6 dst_sel:DWORD dst_unused:UNUSED_PAD src0_sel:WORD_0 src1_sel:DWORD
	v_cmpx_ne_u32_e32 0x7f, v10
	s_cbranch_execz .LBB283_672
; %bb.669:                              ;   in Loop: Header=BB283_15 Depth=1
	v_mov_b32_e32 v6, 7
	v_lshrrev_b32_e32 v8, 3, v10
	s_mov_b32 s23, exec_lo
	v_and_b32_sdwa v6, v3, v6 dst_sel:DWORD dst_unused:UNUSED_PAD src0_sel:WORD_0 src1_sel:DWORD
	v_cmpx_gt_u32_e32 8, v10
; %bb.670:                              ;   in Loop: Header=BB283_15 Depth=1
	v_ffbh_u32_e32 v6, v6
	v_min_u32_e32 v6, 32, v6
	v_subrev_nc_u32_e32 v8, 28, v6
	v_lshlrev_b64 v[20:21], v8, v[3:4]
	v_sub_nc_u32_e32 v8, 29, v6
	v_and_b32_e32 v6, 7, v20
; %bb.671:                              ;   in Loop: Header=BB283_15 Depth=1
	s_or_b32 exec_lo, exec_lo, s23
	v_mov_b32_e32 v10, 8
	v_lshl_add_u32 v8, v8, 10, 0x2000
	v_lshlrev_b32_e32 v6, 23, v6
	v_lshlrev_b32_sdwa v3, v10, v3 dst_sel:DWORD dst_unused:UNUSED_PAD src0_sel:DWORD src1_sel:WORD_0
	v_and_or_b32 v3, 0x8000, v3, v8
	v_lshl_or_b32 v35, v3, 16, v6
.LBB283_672:                            ;   in Loop: Header=BB283_15 Depth=1
	s_or_b32 exec_lo, exec_lo, s22
.LBB283_673:                            ;   in Loop: Header=BB283_15 Depth=1
	s_or_b32 exec_lo, exec_lo, s21
.LBB283_674:                            ;   in Loop: Header=BB283_15 Depth=1
	s_or_b32 exec_lo, exec_lo, s20
	v_lshrrev_b32_e32 v3, 16, v27
	v_cmp_ne_u16_sdwa s5, v3, v4 src0_sel:BYTE_0 src1_sel:DWORD
	s_and_saveexec_b32 s20, s5
	s_cbranch_execz .LBB283_682
; %bb.675:                              ;   in Loop: Header=BB283_15 Depth=1
	v_cmp_ne_u16_sdwa s5, v3, v91 src0_sel:BYTE_0 src1_sel:DWORD
	v_mov_b32_e32 v37, 0x8000
	s_and_saveexec_b32 s21, s5
	s_cbranch_execz .LBB283_681
; %bb.676:                              ;   in Loop: Header=BB283_15 Depth=1
	v_bfe_u32 v10, v27, 16, 7
	v_mov_b32_e32 v37, 0x7c01
	s_mov_b32 s22, exec_lo
	v_cmpx_ne_u32_e32 0x7f, v10
	s_cbranch_execz .LBB283_680
; %bb.677:                              ;   in Loop: Header=BB283_15 Depth=1
	v_and_b32_e32 v6, 7, v3
	v_lshrrev_b32_e32 v8, 3, v10
	s_mov_b32 s23, exec_lo
	v_cmpx_gt_u32_e32 8, v10
; %bb.678:                              ;   in Loop: Header=BB283_15 Depth=1
	v_ffbh_u32_e32 v6, v6
	v_min_u32_e32 v6, 32, v6
	v_subrev_nc_u32_e32 v8, 28, v6
	v_lshlrev_b64 v[20:21], v8, v[3:4]
	v_sub_nc_u32_e32 v8, 29, v6
	v_and_b32_e32 v6, 7, v20
; %bb.679:                              ;   in Loop: Header=BB283_15 Depth=1
	s_or_b32 exec_lo, exec_lo, s23
	v_lshlrev_b32_e32 v3, 8, v3
	v_lshl_add_u32 v8, v8, 10, 0x2000
	v_lshlrev_b32_e32 v6, 7, v6
	v_and_b32_e32 v3, 0x8000, v3
	v_and_b32_e32 v8, 0xfc00, v8
	v_or3_b32 v37, v3, v8, v6
.LBB283_680:                            ;   in Loop: Header=BB283_15 Depth=1
	s_or_b32 exec_lo, exec_lo, s22
.LBB283_681:                            ;   in Loop: Header=BB283_15 Depth=1
	s_or_b32 exec_lo, exec_lo, s21
.LBB283_682:                            ;   in Loop: Header=BB283_15 Depth=1
	s_or_b32 exec_lo, exec_lo, s20
	v_mov_b32_e32 v55, 0
	v_mov_b32_e32 v52, 0
	s_mov_b32 s20, exec_lo
	v_cmpx_lt_u32_e32 0xffffff, v27
	s_cbranch_execz .LBB283_690
; %bb.683:                              ;   in Loop: Header=BB283_15 Depth=1
	v_lshrrev_b32_e32 v3, 24, v27
	v_bfrev_b32_e32 v52, 1
	s_mov_b32 s21, exec_lo
	v_cmpx_ne_u32_e32 0x80, v3
	s_cbranch_execz .LBB283_689
; %bb.684:                              ;   in Loop: Header=BB283_15 Depth=1
	v_and_b32_e32 v10, 0x7f, v3
	v_mov_b32_e32 v52, 0x7c010000
	s_mov_b32 s22, exec_lo
	v_cmpx_ne_u32_e32 0x7f, v10
	s_cbranch_execz .LBB283_688
; %bb.685:                              ;   in Loop: Header=BB283_15 Depth=1
	v_and_b32_e32 v6, 7, v3
	v_lshrrev_b32_e32 v8, 3, v10
	s_mov_b32 s23, exec_lo
	v_cmpx_gt_u32_e32 8, v10
; %bb.686:                              ;   in Loop: Header=BB283_15 Depth=1
	v_ffbh_u32_e32 v6, v6
	v_min_u32_e32 v6, 32, v6
	v_subrev_nc_u32_e32 v8, 28, v6
	v_lshlrev_b64 v[20:21], v8, v[3:4]
	v_sub_nc_u32_e32 v8, 29, v6
	v_and_b32_e32 v6, 7, v20
; %bb.687:                              ;   in Loop: Header=BB283_15 Depth=1
	s_or_b32 exec_lo, exec_lo, s23
	v_lshlrev_b32_e32 v3, 8, v3
	v_lshl_add_u32 v8, v8, 10, 0x2000
	v_lshlrev_b32_e32 v6, 23, v6
	v_and_or_b32 v3, 0x8000, v3, v8
	v_lshl_or_b32 v52, v3, 16, v6
.LBB283_688:                            ;   in Loop: Header=BB283_15 Depth=1
	s_or_b32 exec_lo, exec_lo, s22
.LBB283_689:                            ;   in Loop: Header=BB283_15 Depth=1
	s_or_b32 exec_lo, exec_lo, s21
.LBB283_690:                            ;   in Loop: Header=BB283_15 Depth=1
	s_or_b32 exec_lo, exec_lo, s20
	v_mov_b32_e32 v3, v28
	v_cmp_ne_u16_sdwa s5, v28, v4 src0_sel:BYTE_0 src1_sel:DWORD
	s_and_saveexec_b32 s20, s5
	s_cbranch_execz .LBB283_698
; %bb.691:                              ;   in Loop: Header=BB283_15 Depth=1
	v_cmp_ne_u16_sdwa s5, v28, v91 src0_sel:BYTE_0 src1_sel:DWORD
	v_mov_b32_e32 v55, 0x8000
	s_and_saveexec_b32 s21, s5
	s_cbranch_execz .LBB283_697
; %bb.692:                              ;   in Loop: Header=BB283_15 Depth=1
	v_and_b32_e32 v10, 0x7f, v28
	v_mov_b32_e32 v55, 0x7c01
	s_mov_b32 s22, exec_lo
	v_cmpx_ne_u32_e32 0x7f, v10
	s_cbranch_execz .LBB283_696
; %bb.693:                              ;   in Loop: Header=BB283_15 Depth=1
	v_and_b32_e32 v6, 7, v28
	v_lshrrev_b32_e32 v8, 3, v10
	s_mov_b32 s23, exec_lo
	v_cmpx_gt_u32_e32 8, v10
; %bb.694:                              ;   in Loop: Header=BB283_15 Depth=1
	v_ffbh_u32_e32 v6, v6
	v_min_u32_e32 v6, 32, v6
	v_subrev_nc_u32_e32 v8, 28, v6
	v_lshlrev_b64 v[20:21], v8, v[3:4]
	v_sub_nc_u32_e32 v8, 29, v6
	v_and_b32_e32 v6, 7, v20
; %bb.695:                              ;   in Loop: Header=BB283_15 Depth=1
	s_or_b32 exec_lo, exec_lo, s23
	v_lshlrev_b32_e32 v10, 8, v28
	v_lshl_add_u32 v8, v8, 10, 0x2000
	v_lshlrev_b32_e32 v6, 7, v6
	v_and_b32_e32 v10, 0x8000, v10
	v_and_b32_e32 v8, 0xfc00, v8
	v_or3_b32 v55, v10, v8, v6
.LBB283_696:                            ;   in Loop: Header=BB283_15 Depth=1
	s_or_b32 exec_lo, exec_lo, s22
.LBB283_697:                            ;   in Loop: Header=BB283_15 Depth=1
	s_or_b32 exec_lo, exec_lo, s21
.LBB283_698:                            ;   in Loop: Header=BB283_15 Depth=1
	s_or_b32 exec_lo, exec_lo, s20
	v_lshrrev_b16 v3, 8, v3
	v_mov_b32_e32 v112, 0
	v_mov_b32_e32 v90, 0
	s_mov_b32 s20, exec_lo
	v_cmpx_ne_u16_e32 0, v3
	s_cbranch_execz .LBB283_706
; %bb.699:                              ;   in Loop: Header=BB283_15 Depth=1
	v_bfrev_b32_e32 v90, 1
	s_mov_b32 s21, exec_lo
	v_cmpx_ne_u16_e32 0x80, v3
	s_cbranch_execz .LBB283_705
; %bb.700:                              ;   in Loop: Header=BB283_15 Depth=1
	v_mov_b32_e32 v6, 0x7f
	v_mov_b32_e32 v90, 0x7c010000
	s_mov_b32 s22, exec_lo
	v_and_b32_sdwa v10, v3, v6 dst_sel:DWORD dst_unused:UNUSED_PAD src0_sel:WORD_0 src1_sel:DWORD
	v_cmpx_ne_u32_e32 0x7f, v10
	s_cbranch_execz .LBB283_704
; %bb.701:                              ;   in Loop: Header=BB283_15 Depth=1
	v_mov_b32_e32 v6, 7
	v_lshrrev_b32_e32 v8, 3, v10
	s_mov_b32 s23, exec_lo
	v_and_b32_sdwa v6, v3, v6 dst_sel:DWORD dst_unused:UNUSED_PAD src0_sel:WORD_0 src1_sel:DWORD
	v_cmpx_gt_u32_e32 8, v10
; %bb.702:                              ;   in Loop: Header=BB283_15 Depth=1
	v_ffbh_u32_e32 v6, v6
	v_min_u32_e32 v6, 32, v6
	v_subrev_nc_u32_e32 v8, 28, v6
	v_lshlrev_b64 v[20:21], v8, v[3:4]
	v_sub_nc_u32_e32 v8, 29, v6
	v_and_b32_e32 v6, 7, v20
; %bb.703:                              ;   in Loop: Header=BB283_15 Depth=1
	s_or_b32 exec_lo, exec_lo, s23
	v_mov_b32_e32 v10, 8
	v_lshl_add_u32 v8, v8, 10, 0x2000
	v_lshlrev_b32_e32 v6, 23, v6
	v_lshlrev_b32_sdwa v3, v10, v3 dst_sel:DWORD dst_unused:UNUSED_PAD src0_sel:DWORD src1_sel:WORD_0
	v_and_or_b32 v3, 0x8000, v3, v8
	v_lshl_or_b32 v90, v3, 16, v6
.LBB283_704:                            ;   in Loop: Header=BB283_15 Depth=1
	s_or_b32 exec_lo, exec_lo, s22
.LBB283_705:                            ;   in Loop: Header=BB283_15 Depth=1
	s_or_b32 exec_lo, exec_lo, s21
.LBB283_706:                            ;   in Loop: Header=BB283_15 Depth=1
	s_or_b32 exec_lo, exec_lo, s20
	v_lshrrev_b32_e32 v3, 16, v28
	v_cmp_ne_u16_sdwa s5, v3, v4 src0_sel:BYTE_0 src1_sel:DWORD
	s_and_saveexec_b32 s20, s5
	s_cbranch_execz .LBB283_714
; %bb.707:                              ;   in Loop: Header=BB283_15 Depth=1
	v_cmp_ne_u16_sdwa s5, v3, v91 src0_sel:BYTE_0 src1_sel:DWORD
	v_mov_b32_e32 v112, 0x8000
	s_and_saveexec_b32 s21, s5
	s_cbranch_execz .LBB283_713
; %bb.708:                              ;   in Loop: Header=BB283_15 Depth=1
	v_bfe_u32 v10, v28, 16, 7
	v_mov_b32_e32 v112, 0x7c01
	s_mov_b32 s22, exec_lo
	v_cmpx_ne_u32_e32 0x7f, v10
	s_cbranch_execz .LBB283_712
; %bb.709:                              ;   in Loop: Header=BB283_15 Depth=1
	v_and_b32_e32 v6, 7, v3
	v_lshrrev_b32_e32 v8, 3, v10
	s_mov_b32 s23, exec_lo
	v_cmpx_gt_u32_e32 8, v10
; %bb.710:                              ;   in Loop: Header=BB283_15 Depth=1
	v_ffbh_u32_e32 v6, v6
	v_min_u32_e32 v6, 32, v6
	v_subrev_nc_u32_e32 v8, 28, v6
	v_lshlrev_b64 v[20:21], v8, v[3:4]
	v_sub_nc_u32_e32 v8, 29, v6
	v_and_b32_e32 v6, 7, v20
; %bb.711:                              ;   in Loop: Header=BB283_15 Depth=1
	s_or_b32 exec_lo, exec_lo, s23
	v_lshlrev_b32_e32 v3, 8, v3
	v_lshl_add_u32 v8, v8, 10, 0x2000
	v_lshlrev_b32_e32 v6, 7, v6
	v_and_b32_e32 v3, 0x8000, v3
	v_and_b32_e32 v8, 0xfc00, v8
	v_or3_b32 v112, v3, v8, v6
.LBB283_712:                            ;   in Loop: Header=BB283_15 Depth=1
	s_or_b32 exec_lo, exec_lo, s22
.LBB283_713:                            ;   in Loop: Header=BB283_15 Depth=1
	s_or_b32 exec_lo, exec_lo, s21
.LBB283_714:                            ;   in Loop: Header=BB283_15 Depth=1
	s_or_b32 exec_lo, exec_lo, s20
	v_mov_b32_e32 v14, 0
	v_mov_b32_e32 v113, 0
	s_mov_b32 s20, exec_lo
	v_cmpx_lt_u64_e64 s[12:13], v[27:28]
	s_cbranch_execz .LBB283_722
; %bb.715:                              ;   in Loop: Header=BB283_15 Depth=1
	v_lshrrev_b32_e32 v3, 24, v28
	v_bfrev_b32_e32 v113, 1
	s_mov_b32 s21, exec_lo
	v_cmpx_ne_u32_e32 0x80, v3
	s_cbranch_execz .LBB283_721
; %bb.716:                              ;   in Loop: Header=BB283_15 Depth=1
	v_and_b32_e32 v10, 0x7f, v3
	v_mov_b32_e32 v113, 0x7c010000
	s_mov_b32 s22, exec_lo
	v_cmpx_ne_u32_e32 0x7f, v10
	s_cbranch_execz .LBB283_720
; %bb.717:                              ;   in Loop: Header=BB283_15 Depth=1
	v_and_b32_e32 v6, 7, v3
	v_lshrrev_b32_e32 v8, 3, v10
	s_mov_b32 s23, exec_lo
	v_cmpx_gt_u32_e32 8, v10
; %bb.718:                              ;   in Loop: Header=BB283_15 Depth=1
	v_ffbh_u32_e32 v6, v6
	v_min_u32_e32 v6, 32, v6
	v_subrev_nc_u32_e32 v8, 28, v6
	v_lshlrev_b64 v[20:21], v8, v[3:4]
	v_sub_nc_u32_e32 v8, 29, v6
	v_and_b32_e32 v6, 7, v20
; %bb.719:                              ;   in Loop: Header=BB283_15 Depth=1
	s_or_b32 exec_lo, exec_lo, s23
	v_lshlrev_b32_e32 v3, 8, v3
	v_lshl_add_u32 v8, v8, 10, 0x2000
	v_lshlrev_b32_e32 v6, 23, v6
	v_and_or_b32 v3, 0x8000, v3, v8
	v_lshl_or_b32 v113, v3, 16, v6
.LBB283_720:                            ;   in Loop: Header=BB283_15 Depth=1
	s_or_b32 exec_lo, exec_lo, s22
.LBB283_721:                            ;   in Loop: Header=BB283_15 Depth=1
	s_or_b32 exec_lo, exec_lo, s21
.LBB283_722:                            ;   in Loop: Header=BB283_15 Depth=1
	s_or_b32 exec_lo, exec_lo, s20
	flat_load_dwordx2 v[27:28], v[24:25] offset:520
	s_waitcnt vmcnt(0) lgkmcnt(0)
	v_cmp_ne_u16_sdwa s5, v27, v4 src0_sel:BYTE_0 src1_sel:DWORD
	s_and_saveexec_b32 s20, s5
	s_cbranch_execz .LBB283_730
; %bb.723:                              ;   in Loop: Header=BB283_15 Depth=1
	v_cmp_ne_u16_sdwa s5, v27, v91 src0_sel:BYTE_0 src1_sel:DWORD
	v_mov_b32_e32 v14, 0x8000
	s_and_saveexec_b32 s21, s5
	s_cbranch_execz .LBB283_729
; %bb.724:                              ;   in Loop: Header=BB283_15 Depth=1
	v_and_b32_e32 v8, 0x7f, v27
	v_mov_b32_e32 v14, 0x7c01
	s_mov_b32 s22, exec_lo
	v_cmpx_ne_u32_e32 0x7f, v8
	s_cbranch_execz .LBB283_728
; %bb.725:                              ;   in Loop: Header=BB283_15 Depth=1
	v_and_b32_e32 v3, 7, v27
	v_lshrrev_b32_e32 v6, 3, v8
	s_mov_b32 s23, exec_lo
	v_cmpx_gt_u32_e32 8, v8
; %bb.726:                              ;   in Loop: Header=BB283_15 Depth=1
	v_ffbh_u32_e32 v3, v3
	v_min_u32_e32 v3, 32, v3
	v_subrev_nc_u32_e32 v6, 28, v3
	v_lshlrev_b64 v[20:21], v6, v[27:28]
	v_sub_nc_u32_e32 v6, 29, v3
	v_and_b32_e32 v3, 7, v20
; %bb.727:                              ;   in Loop: Header=BB283_15 Depth=1
	s_or_b32 exec_lo, exec_lo, s23
	v_lshlrev_b32_e32 v8, 8, v27
	v_lshl_add_u32 v6, v6, 10, 0x2000
	v_lshlrev_b32_e32 v3, 7, v3
	v_and_b32_e32 v8, 0x8000, v8
	v_and_b32_e32 v6, 0xfc00, v6
	v_or3_b32 v14, v8, v6, v3
.LBB283_728:                            ;   in Loop: Header=BB283_15 Depth=1
	s_or_b32 exec_lo, exec_lo, s22
.LBB283_729:                            ;   in Loop: Header=BB283_15 Depth=1
	s_or_b32 exec_lo, exec_lo, s21
.LBB283_730:                            ;   in Loop: Header=BB283_15 Depth=1
	s_or_b32 exec_lo, exec_lo, s20
	v_lshrrev_b16 v3, 8, v27
	v_mov_b32_e32 v20, 0
	v_mov_b32_e32 v18, 0
	s_mov_b32 s20, exec_lo
	v_cmpx_ne_u16_e32 0, v3
	s_cbranch_execz .LBB283_738
; %bb.731:                              ;   in Loop: Header=BB283_15 Depth=1
	v_bfrev_b32_e32 v18, 1
	s_mov_b32 s21, exec_lo
	v_cmpx_ne_u16_e32 0x80, v3
	s_cbranch_execz .LBB283_737
; %bb.732:                              ;   in Loop: Header=BB283_15 Depth=1
	v_mov_b32_e32 v6, 0x7f
	v_mov_b32_e32 v18, 0x7c010000
	s_mov_b32 s22, exec_lo
	v_and_b32_sdwa v10, v3, v6 dst_sel:DWORD dst_unused:UNUSED_PAD src0_sel:WORD_0 src1_sel:DWORD
	v_cmpx_ne_u32_e32 0x7f, v10
	s_cbranch_execz .LBB283_736
; %bb.733:                              ;   in Loop: Header=BB283_15 Depth=1
	v_mov_b32_e32 v6, 7
	v_lshrrev_b32_e32 v8, 3, v10
	s_mov_b32 s23, exec_lo
	v_and_b32_sdwa v6, v3, v6 dst_sel:DWORD dst_unused:UNUSED_PAD src0_sel:WORD_0 src1_sel:DWORD
	v_cmpx_gt_u32_e32 8, v10
; %bb.734:                              ;   in Loop: Header=BB283_15 Depth=1
	v_ffbh_u32_e32 v6, v6
	v_min_u32_e32 v6, 32, v6
	v_subrev_nc_u32_e32 v8, 28, v6
	v_lshlrev_b64 v[32:33], v8, v[3:4]
	v_sub_nc_u32_e32 v8, 29, v6
	v_and_b32_e32 v6, 7, v32
; %bb.735:                              ;   in Loop: Header=BB283_15 Depth=1
	s_or_b32 exec_lo, exec_lo, s23
	v_mov_b32_e32 v10, 8
	v_lshl_add_u32 v8, v8, 10, 0x2000
	v_lshlrev_b32_e32 v6, 23, v6
	v_lshlrev_b32_sdwa v3, v10, v3 dst_sel:DWORD dst_unused:UNUSED_PAD src0_sel:DWORD src1_sel:WORD_0
	v_and_or_b32 v3, 0x8000, v3, v8
	v_lshl_or_b32 v18, v3, 16, v6
.LBB283_736:                            ;   in Loop: Header=BB283_15 Depth=1
	s_or_b32 exec_lo, exec_lo, s22
.LBB283_737:                            ;   in Loop: Header=BB283_15 Depth=1
	s_or_b32 exec_lo, exec_lo, s21
.LBB283_738:                            ;   in Loop: Header=BB283_15 Depth=1
	s_or_b32 exec_lo, exec_lo, s20
	v_lshrrev_b32_e32 v3, 16, v27
	v_cmp_ne_u16_sdwa s5, v3, v4 src0_sel:BYTE_0 src1_sel:DWORD
	s_and_saveexec_b32 s20, s5
	s_cbranch_execz .LBB283_746
; %bb.739:                              ;   in Loop: Header=BB283_15 Depth=1
	v_cmp_ne_u16_sdwa s5, v3, v91 src0_sel:BYTE_0 src1_sel:DWORD
	v_mov_b32_e32 v20, 0x8000
	s_and_saveexec_b32 s21, s5
	s_cbranch_execz .LBB283_745
; %bb.740:                              ;   in Loop: Header=BB283_15 Depth=1
	v_bfe_u32 v10, v27, 16, 7
	v_mov_b32_e32 v20, 0x7c01
	s_mov_b32 s22, exec_lo
	v_cmpx_ne_u32_e32 0x7f, v10
	s_cbranch_execz .LBB283_744
; %bb.741:                              ;   in Loop: Header=BB283_15 Depth=1
	v_and_b32_e32 v6, 7, v3
	v_lshrrev_b32_e32 v8, 3, v10
	s_mov_b32 s23, exec_lo
	v_cmpx_gt_u32_e32 8, v10
; %bb.742:                              ;   in Loop: Header=BB283_15 Depth=1
	v_ffbh_u32_e32 v6, v6
	v_min_u32_e32 v6, 32, v6
	v_subrev_nc_u32_e32 v8, 28, v6
	v_lshlrev_b64 v[20:21], v8, v[3:4]
	v_sub_nc_u32_e32 v8, 29, v6
	v_and_b32_e32 v6, 7, v20
; %bb.743:                              ;   in Loop: Header=BB283_15 Depth=1
	s_or_b32 exec_lo, exec_lo, s23
	v_lshlrev_b32_e32 v3, 8, v3
	v_lshl_add_u32 v8, v8, 10, 0x2000
	v_lshlrev_b32_e32 v6, 7, v6
	v_and_b32_e32 v3, 0x8000, v3
	v_and_b32_e32 v8, 0xfc00, v8
	v_or3_b32 v20, v3, v8, v6
.LBB283_744:                            ;   in Loop: Header=BB283_15 Depth=1
	s_or_b32 exec_lo, exec_lo, s22
.LBB283_745:                            ;   in Loop: Header=BB283_15 Depth=1
	s_or_b32 exec_lo, exec_lo, s21
.LBB283_746:                            ;   in Loop: Header=BB283_15 Depth=1
	s_or_b32 exec_lo, exec_lo, s20
	v_mov_b32_e32 v26, 0
	v_mov_b32_e32 v21, 0
	s_mov_b32 s20, exec_lo
	v_cmpx_lt_u32_e32 0xffffff, v27
	s_cbranch_execz .LBB283_754
; %bb.747:                              ;   in Loop: Header=BB283_15 Depth=1
	v_lshrrev_b32_e32 v3, 24, v27
	v_bfrev_b32_e32 v21, 1
	s_mov_b32 s21, exec_lo
	v_cmpx_ne_u32_e32 0x80, v3
	s_cbranch_execz .LBB283_753
; %bb.748:                              ;   in Loop: Header=BB283_15 Depth=1
	v_and_b32_e32 v10, 0x7f, v3
	v_mov_b32_e32 v21, 0x7c010000
	s_mov_b32 s22, exec_lo
	v_cmpx_ne_u32_e32 0x7f, v10
	s_cbranch_execz .LBB283_752
; %bb.749:                              ;   in Loop: Header=BB283_15 Depth=1
	v_and_b32_e32 v6, 7, v3
	v_lshrrev_b32_e32 v8, 3, v10
	s_mov_b32 s23, exec_lo
	v_cmpx_gt_u32_e32 8, v10
; %bb.750:                              ;   in Loop: Header=BB283_15 Depth=1
	v_ffbh_u32_e32 v6, v6
	v_min_u32_e32 v6, 32, v6
	v_subrev_nc_u32_e32 v8, 28, v6
	v_lshlrev_b64 v[32:33], v8, v[3:4]
	v_sub_nc_u32_e32 v8, 29, v6
	v_and_b32_e32 v6, 7, v32
; %bb.751:                              ;   in Loop: Header=BB283_15 Depth=1
	s_or_b32 exec_lo, exec_lo, s23
	v_lshlrev_b32_e32 v3, 8, v3
	v_lshl_add_u32 v8, v8, 10, 0x2000
	v_lshlrev_b32_e32 v6, 23, v6
	v_and_or_b32 v3, 0x8000, v3, v8
	v_lshl_or_b32 v21, v3, 16, v6
.LBB283_752:                            ;   in Loop: Header=BB283_15 Depth=1
	s_or_b32 exec_lo, exec_lo, s22
.LBB283_753:                            ;   in Loop: Header=BB283_15 Depth=1
	s_or_b32 exec_lo, exec_lo, s21
.LBB283_754:                            ;   in Loop: Header=BB283_15 Depth=1
	s_or_b32 exec_lo, exec_lo, s20
	v_mov_b32_e32 v3, v28
	v_cmp_ne_u16_sdwa s5, v28, v4 src0_sel:BYTE_0 src1_sel:DWORD
	s_and_saveexec_b32 s20, s5
	s_cbranch_execz .LBB283_762
; %bb.755:                              ;   in Loop: Header=BB283_15 Depth=1
	v_cmp_ne_u16_sdwa s5, v28, v91 src0_sel:BYTE_0 src1_sel:DWORD
	v_mov_b32_e32 v26, 0x8000
	s_and_saveexec_b32 s21, s5
	s_cbranch_execz .LBB283_761
; %bb.756:                              ;   in Loop: Header=BB283_15 Depth=1
	v_and_b32_e32 v10, 0x7f, v28
	v_mov_b32_e32 v26, 0x7c01
	s_mov_b32 s22, exec_lo
	v_cmpx_ne_u32_e32 0x7f, v10
	s_cbranch_execz .LBB283_760
; %bb.757:                              ;   in Loop: Header=BB283_15 Depth=1
	v_and_b32_e32 v6, 7, v28
	v_lshrrev_b32_e32 v8, 3, v10
	s_mov_b32 s23, exec_lo
	v_cmpx_gt_u32_e32 8, v10
; %bb.758:                              ;   in Loop: Header=BB283_15 Depth=1
	v_ffbh_u32_e32 v6, v6
	v_min_u32_e32 v6, 32, v6
	v_subrev_nc_u32_e32 v8, 28, v6
	v_lshlrev_b64 v[32:33], v8, v[3:4]
	v_sub_nc_u32_e32 v8, 29, v6
	v_and_b32_e32 v6, 7, v32
; %bb.759:                              ;   in Loop: Header=BB283_15 Depth=1
	s_or_b32 exec_lo, exec_lo, s23
	v_lshlrev_b32_e32 v10, 8, v28
	v_lshl_add_u32 v8, v8, 10, 0x2000
	v_lshlrev_b32_e32 v6, 7, v6
	v_and_b32_e32 v10, 0x8000, v10
	v_and_b32_e32 v8, 0xfc00, v8
	v_or3_b32 v26, v10, v8, v6
.LBB283_760:                            ;   in Loop: Header=BB283_15 Depth=1
	s_or_b32 exec_lo, exec_lo, s22
.LBB283_761:                            ;   in Loop: Header=BB283_15 Depth=1
	s_or_b32 exec_lo, exec_lo, s21
.LBB283_762:                            ;   in Loop: Header=BB283_15 Depth=1
	s_or_b32 exec_lo, exec_lo, s20
	v_lshrrev_b16 v3, 8, v3
	v_mov_b32_e32 v83, 0
	v_mov_b32_e32 v49, 0
	s_mov_b32 s20, exec_lo
	v_cmpx_ne_u16_e32 0, v3
	s_cbranch_execz .LBB283_770
; %bb.763:                              ;   in Loop: Header=BB283_15 Depth=1
	v_bfrev_b32_e32 v49, 1
	s_mov_b32 s21, exec_lo
	v_cmpx_ne_u16_e32 0x80, v3
	s_cbranch_execz .LBB283_769
; %bb.764:                              ;   in Loop: Header=BB283_15 Depth=1
	v_mov_b32_e32 v6, 0x7f
	v_mov_b32_e32 v49, 0x7c010000
	s_mov_b32 s22, exec_lo
	v_and_b32_sdwa v10, v3, v6 dst_sel:DWORD dst_unused:UNUSED_PAD src0_sel:WORD_0 src1_sel:DWORD
	v_cmpx_ne_u32_e32 0x7f, v10
	s_cbranch_execz .LBB283_768
; %bb.765:                              ;   in Loop: Header=BB283_15 Depth=1
	v_mov_b32_e32 v6, 7
	v_lshrrev_b32_e32 v8, 3, v10
	s_mov_b32 s23, exec_lo
	v_and_b32_sdwa v6, v3, v6 dst_sel:DWORD dst_unused:UNUSED_PAD src0_sel:WORD_0 src1_sel:DWORD
	v_cmpx_gt_u32_e32 8, v10
; %bb.766:                              ;   in Loop: Header=BB283_15 Depth=1
	v_ffbh_u32_e32 v6, v6
	v_min_u32_e32 v6, 32, v6
	v_subrev_nc_u32_e32 v8, 28, v6
	v_lshlrev_b64 v[32:33], v8, v[3:4]
	v_sub_nc_u32_e32 v8, 29, v6
	v_and_b32_e32 v6, 7, v32
; %bb.767:                              ;   in Loop: Header=BB283_15 Depth=1
	s_or_b32 exec_lo, exec_lo, s23
	v_mov_b32_e32 v10, 8
	v_lshl_add_u32 v8, v8, 10, 0x2000
	v_lshlrev_b32_e32 v6, 23, v6
	v_lshlrev_b32_sdwa v3, v10, v3 dst_sel:DWORD dst_unused:UNUSED_PAD src0_sel:DWORD src1_sel:WORD_0
	v_and_or_b32 v3, 0x8000, v3, v8
	v_lshl_or_b32 v49, v3, 16, v6
.LBB283_768:                            ;   in Loop: Header=BB283_15 Depth=1
	s_or_b32 exec_lo, exec_lo, s22
.LBB283_769:                            ;   in Loop: Header=BB283_15 Depth=1
	s_or_b32 exec_lo, exec_lo, s21
.LBB283_770:                            ;   in Loop: Header=BB283_15 Depth=1
	s_or_b32 exec_lo, exec_lo, s20
	v_lshrrev_b32_e32 v3, 16, v28
	v_cmp_ne_u16_sdwa s5, v3, v4 src0_sel:BYTE_0 src1_sel:DWORD
	s_and_saveexec_b32 s20, s5
	s_cbranch_execz .LBB283_778
; %bb.771:                              ;   in Loop: Header=BB283_15 Depth=1
	v_cmp_ne_u16_sdwa s5, v3, v91 src0_sel:BYTE_0 src1_sel:DWORD
	v_mov_b32_e32 v83, 0x8000
	s_and_saveexec_b32 s21, s5
	s_cbranch_execz .LBB283_777
; %bb.772:                              ;   in Loop: Header=BB283_15 Depth=1
	v_bfe_u32 v10, v28, 16, 7
	v_mov_b32_e32 v83, 0x7c01
	s_mov_b32 s22, exec_lo
	v_cmpx_ne_u32_e32 0x7f, v10
	s_cbranch_execz .LBB283_776
; %bb.773:                              ;   in Loop: Header=BB283_15 Depth=1
	v_and_b32_e32 v6, 7, v3
	v_lshrrev_b32_e32 v8, 3, v10
	s_mov_b32 s23, exec_lo
	v_cmpx_gt_u32_e32 8, v10
; %bb.774:                              ;   in Loop: Header=BB283_15 Depth=1
	v_ffbh_u32_e32 v6, v6
	v_min_u32_e32 v6, 32, v6
	v_subrev_nc_u32_e32 v8, 28, v6
	v_lshlrev_b64 v[32:33], v8, v[3:4]
	v_sub_nc_u32_e32 v8, 29, v6
	v_and_b32_e32 v6, 7, v32
; %bb.775:                              ;   in Loop: Header=BB283_15 Depth=1
	s_or_b32 exec_lo, exec_lo, s23
	v_lshlrev_b32_e32 v3, 8, v3
	v_lshl_add_u32 v8, v8, 10, 0x2000
	v_lshlrev_b32_e32 v6, 7, v6
	v_and_b32_e32 v3, 0x8000, v3
	v_and_b32_e32 v8, 0xfc00, v8
	v_or3_b32 v83, v3, v8, v6
.LBB283_776:                            ;   in Loop: Header=BB283_15 Depth=1
	s_or_b32 exec_lo, exec_lo, s22
.LBB283_777:                            ;   in Loop: Header=BB283_15 Depth=1
	s_or_b32 exec_lo, exec_lo, s21
.LBB283_778:                            ;   in Loop: Header=BB283_15 Depth=1
	s_or_b32 exec_lo, exec_lo, s20
	v_mov_b32_e32 v6, 0
	v_mov_b32_e32 v86, 0
	s_mov_b32 s20, exec_lo
	v_cmpx_lt_u64_e64 s[12:13], v[27:28]
	s_cbranch_execz .LBB283_786
; %bb.779:                              ;   in Loop: Header=BB283_15 Depth=1
	v_lshrrev_b32_e32 v3, 24, v28
	v_bfrev_b32_e32 v86, 1
	s_mov_b32 s21, exec_lo
	v_cmpx_ne_u32_e32 0x80, v3
	s_cbranch_execz .LBB283_785
; %bb.780:                              ;   in Loop: Header=BB283_15 Depth=1
	v_and_b32_e32 v12, 0x7f, v3
	v_mov_b32_e32 v86, 0x7c010000
	s_mov_b32 s22, exec_lo
	v_cmpx_ne_u32_e32 0x7f, v12
	s_cbranch_execz .LBB283_784
; %bb.781:                              ;   in Loop: Header=BB283_15 Depth=1
	v_and_b32_e32 v8, 7, v3
	v_lshrrev_b32_e32 v10, 3, v12
	s_mov_b32 s23, exec_lo
	v_cmpx_gt_u32_e32 8, v12
; %bb.782:                              ;   in Loop: Header=BB283_15 Depth=1
	v_ffbh_u32_e32 v8, v8
	v_min_u32_e32 v8, 32, v8
	v_subrev_nc_u32_e32 v10, 28, v8
	v_lshlrev_b64 v[27:28], v10, v[3:4]
	v_sub_nc_u32_e32 v10, 29, v8
	v_and_b32_e32 v8, 7, v27
; %bb.783:                              ;   in Loop: Header=BB283_15 Depth=1
	s_or_b32 exec_lo, exec_lo, s23
	v_lshlrev_b32_e32 v3, 8, v3
	v_lshl_add_u32 v10, v10, 10, 0x2000
	v_lshlrev_b32_e32 v8, 23, v8
	v_and_or_b32 v3, 0x8000, v3, v10
	v_lshl_or_b32 v86, v3, 16, v8
.LBB283_784:                            ;   in Loop: Header=BB283_15 Depth=1
	s_or_b32 exec_lo, exec_lo, s22
.LBB283_785:                            ;   in Loop: Header=BB283_15 Depth=1
	s_or_b32 exec_lo, exec_lo, s21
.LBB283_786:                            ;   in Loop: Header=BB283_15 Depth=1
	s_or_b32 exec_lo, exec_lo, s20
	flat_load_dwordx2 v[27:28], v[24:25] offset:1024
	s_waitcnt vmcnt(0) lgkmcnt(0)
	v_cmp_ne_u16_sdwa s5, v27, v4 src0_sel:BYTE_0 src1_sel:DWORD
	s_and_saveexec_b32 s20, s5
	s_cbranch_execz .LBB283_794
; %bb.787:                              ;   in Loop: Header=BB283_15 Depth=1
	v_cmp_ne_u16_sdwa s5, v27, v91 src0_sel:BYTE_0 src1_sel:DWORD
	v_mov_b32_e32 v6, 0x8000
	s_and_saveexec_b32 s21, s5
	s_cbranch_execz .LBB283_793
; %bb.788:                              ;   in Loop: Header=BB283_15 Depth=1
	v_and_b32_e32 v8, 0x7f, v27
	v_mov_b32_e32 v6, 0x7c01
	s_mov_b32 s22, exec_lo
	v_cmpx_ne_u32_e32 0x7f, v8
	s_cbranch_execz .LBB283_792
; %bb.789:                              ;   in Loop: Header=BB283_15 Depth=1
	v_and_b32_e32 v3, 7, v27
	v_lshrrev_b32_e32 v6, 3, v8
	s_mov_b32 s23, exec_lo
	v_cmpx_gt_u32_e32 8, v8
; %bb.790:                              ;   in Loop: Header=BB283_15 Depth=1
	v_ffbh_u32_e32 v3, v3
	v_min_u32_e32 v3, 32, v3
	v_subrev_nc_u32_e32 v6, 28, v3
	v_lshlrev_b64 v[32:33], v6, v[27:28]
	v_sub_nc_u32_e32 v6, 29, v3
	v_and_b32_e32 v3, 7, v32
; %bb.791:                              ;   in Loop: Header=BB283_15 Depth=1
	s_or_b32 exec_lo, exec_lo, s23
	v_lshlrev_b32_e32 v8, 8, v27
	v_lshl_add_u32 v6, v6, 10, 0x2000
	v_lshlrev_b32_e32 v3, 7, v3
	v_and_b32_e32 v8, 0x8000, v8
	v_and_b32_e32 v6, 0xfc00, v6
	v_or3_b32 v6, v8, v6, v3
.LBB283_792:                            ;   in Loop: Header=BB283_15 Depth=1
	s_or_b32 exec_lo, exec_lo, s22
.LBB283_793:                            ;   in Loop: Header=BB283_15 Depth=1
	s_or_b32 exec_lo, exec_lo, s21
.LBB283_794:                            ;   in Loop: Header=BB283_15 Depth=1
	s_or_b32 exec_lo, exec_lo, s20
	v_lshrrev_b16 v3, 8, v27
	v_mov_b32_e32 v12, 0
	v_mov_b32_e32 v10, 0
	s_mov_b32 s20, exec_lo
	v_cmpx_ne_u16_e32 0, v3
	s_cbranch_execz .LBB283_802
; %bb.795:                              ;   in Loop: Header=BB283_15 Depth=1
	v_bfrev_b32_e32 v10, 1
	s_mov_b32 s21, exec_lo
	v_cmpx_ne_u16_e32 0x80, v3
	s_cbranch_execz .LBB283_801
; %bb.796:                              ;   in Loop: Header=BB283_15 Depth=1
	v_mov_b32_e32 v8, 0x7f
	v_mov_b32_e32 v10, 0x7c010000
	s_mov_b32 s22, exec_lo
	v_and_b32_sdwa v23, v3, v8 dst_sel:DWORD dst_unused:UNUSED_PAD src0_sel:WORD_0 src1_sel:DWORD
	v_cmpx_ne_u32_e32 0x7f, v23
	s_cbranch_execz .LBB283_800
; %bb.797:                              ;   in Loop: Header=BB283_15 Depth=1
	v_mov_b32_e32 v8, 7
	v_lshrrev_b32_e32 v10, 3, v23
	s_mov_b32 s23, exec_lo
	v_and_b32_sdwa v8, v3, v8 dst_sel:DWORD dst_unused:UNUSED_PAD src0_sel:WORD_0 src1_sel:DWORD
	v_cmpx_gt_u32_e32 8, v23
; %bb.798:                              ;   in Loop: Header=BB283_15 Depth=1
	v_ffbh_u32_e32 v8, v8
	v_min_u32_e32 v8, 32, v8
	v_subrev_nc_u32_e32 v10, 28, v8
	v_lshlrev_b64 v[32:33], v10, v[3:4]
	v_sub_nc_u32_e32 v10, 29, v8
	v_and_b32_e32 v8, 7, v32
; %bb.799:                              ;   in Loop: Header=BB283_15 Depth=1
	s_or_b32 exec_lo, exec_lo, s23
	v_mov_b32_e32 v23, 8
	v_lshl_add_u32 v10, v10, 10, 0x2000
	v_lshlrev_b32_e32 v8, 23, v8
	v_lshlrev_b32_sdwa v3, v23, v3 dst_sel:DWORD dst_unused:UNUSED_PAD src0_sel:DWORD src1_sel:WORD_0
	v_and_or_b32 v3, 0x8000, v3, v10
	v_lshl_or_b32 v10, v3, 16, v8
.LBB283_800:                            ;   in Loop: Header=BB283_15 Depth=1
	s_or_b32 exec_lo, exec_lo, s22
.LBB283_801:                            ;   in Loop: Header=BB283_15 Depth=1
	s_or_b32 exec_lo, exec_lo, s21
.LBB283_802:                            ;   in Loop: Header=BB283_15 Depth=1
	s_or_b32 exec_lo, exec_lo, s20
	v_lshrrev_b32_e32 v3, 16, v27
	v_cmp_ne_u16_sdwa s5, v3, v4 src0_sel:BYTE_0 src1_sel:DWORD
	s_and_saveexec_b32 s20, s5
	s_cbranch_execz .LBB283_810
; %bb.803:                              ;   in Loop: Header=BB283_15 Depth=1
	v_cmp_ne_u16_sdwa s5, v3, v91 src0_sel:BYTE_0 src1_sel:DWORD
	v_mov_b32_e32 v12, 0x8000
	s_and_saveexec_b32 s21, s5
	s_cbranch_execz .LBB283_809
; %bb.804:                              ;   in Loop: Header=BB283_15 Depth=1
	v_bfe_u32 v23, v27, 16, 7
	v_mov_b32_e32 v12, 0x7c01
	s_mov_b32 s22, exec_lo
	v_cmpx_ne_u32_e32 0x7f, v23
	s_cbranch_execz .LBB283_808
; %bb.805:                              ;   in Loop: Header=BB283_15 Depth=1
	v_and_b32_e32 v8, 7, v3
	v_lshrrev_b32_e32 v12, 3, v23
	s_mov_b32 s23, exec_lo
	v_cmpx_gt_u32_e32 8, v23
; %bb.806:                              ;   in Loop: Header=BB283_15 Depth=1
	v_ffbh_u32_e32 v8, v8
	v_min_u32_e32 v8, 32, v8
	v_subrev_nc_u32_e32 v12, 28, v8
	v_lshlrev_b64 v[32:33], v12, v[3:4]
	v_sub_nc_u32_e32 v12, 29, v8
	v_and_b32_e32 v8, 7, v32
; %bb.807:                              ;   in Loop: Header=BB283_15 Depth=1
	s_or_b32 exec_lo, exec_lo, s23
	v_lshlrev_b32_e32 v3, 8, v3
	v_lshl_add_u32 v12, v12, 10, 0x2000
	v_lshlrev_b32_e32 v8, 7, v8
	v_and_b32_e32 v3, 0x8000, v3
	v_and_b32_e32 v12, 0xfc00, v12
	v_or3_b32 v12, v3, v12, v8
.LBB283_808:                            ;   in Loop: Header=BB283_15 Depth=1
	s_or_b32 exec_lo, exec_lo, s22
.LBB283_809:                            ;   in Loop: Header=BB283_15 Depth=1
	s_or_b32 exec_lo, exec_lo, s21
.LBB283_810:                            ;   in Loop: Header=BB283_15 Depth=1
	s_or_b32 exec_lo, exec_lo, s20
	v_mov_b32_e32 v39, 0
	v_mov_b32_e32 v29, 0
	s_mov_b32 s20, exec_lo
	v_cmpx_lt_u32_e32 0xffffff, v27
	s_cbranch_execz .LBB283_818
; %bb.811:                              ;   in Loop: Header=BB283_15 Depth=1
	v_lshrrev_b32_e32 v3, 24, v27
	v_bfrev_b32_e32 v29, 1
	s_mov_b32 s21, exec_lo
	v_cmpx_ne_u32_e32 0x80, v3
	s_cbranch_execz .LBB283_817
; %bb.812:                              ;   in Loop: Header=BB283_15 Depth=1
	v_and_b32_e32 v32, 0x7f, v3
	v_mov_b32_e32 v29, 0x7c010000
	s_mov_b32 s22, exec_lo
	v_cmpx_ne_u32_e32 0x7f, v32
	s_cbranch_execz .LBB283_816
; %bb.813:                              ;   in Loop: Header=BB283_15 Depth=1
	v_and_b32_e32 v8, 7, v3
	v_lshrrev_b32_e32 v23, 3, v32
	s_mov_b32 s23, exec_lo
	v_cmpx_gt_u32_e32 8, v32
; %bb.814:                              ;   in Loop: Header=BB283_15 Depth=1
	v_ffbh_u32_e32 v8, v8
	v_min_u32_e32 v8, 32, v8
	v_subrev_nc_u32_e32 v23, 28, v8
	v_lshlrev_b64 v[32:33], v23, v[3:4]
	v_sub_nc_u32_e32 v23, 29, v8
	v_and_b32_e32 v8, 7, v32
; %bb.815:                              ;   in Loop: Header=BB283_15 Depth=1
	s_or_b32 exec_lo, exec_lo, s23
	v_lshlrev_b32_e32 v3, 8, v3
	v_lshl_add_u32 v23, v23, 10, 0x2000
	v_lshlrev_b32_e32 v8, 23, v8
	v_and_or_b32 v3, 0x8000, v3, v23
	v_lshl_or_b32 v29, v3, 16, v8
.LBB283_816:                            ;   in Loop: Header=BB283_15 Depth=1
	s_or_b32 exec_lo, exec_lo, s22
.LBB283_817:                            ;   in Loop: Header=BB283_15 Depth=1
	s_or_b32 exec_lo, exec_lo, s21
.LBB283_818:                            ;   in Loop: Header=BB283_15 Depth=1
	s_or_b32 exec_lo, exec_lo, s20
	v_mov_b32_e32 v3, v28
	v_cmp_ne_u16_sdwa s5, v28, v4 src0_sel:BYTE_0 src1_sel:DWORD
	s_and_saveexec_b32 s20, s5
	s_cbranch_execz .LBB283_826
; %bb.819:                              ;   in Loop: Header=BB283_15 Depth=1
	v_cmp_ne_u16_sdwa s5, v28, v91 src0_sel:BYTE_0 src1_sel:DWORD
	v_mov_b32_e32 v39, 0x8000
	s_and_saveexec_b32 s21, s5
	s_cbranch_execz .LBB283_825
; %bb.820:                              ;   in Loop: Header=BB283_15 Depth=1
	v_and_b32_e32 v32, 0x7f, v28
	v_mov_b32_e32 v39, 0x7c01
	s_mov_b32 s22, exec_lo
	v_cmpx_ne_u32_e32 0x7f, v32
	s_cbranch_execz .LBB283_824
; %bb.821:                              ;   in Loop: Header=BB283_15 Depth=1
	v_and_b32_e32 v8, 7, v28
	v_lshrrev_b32_e32 v23, 3, v32
	s_mov_b32 s23, exec_lo
	v_cmpx_gt_u32_e32 8, v32
; %bb.822:                              ;   in Loop: Header=BB283_15 Depth=1
	v_ffbh_u32_e32 v8, v8
	v_min_u32_e32 v8, 32, v8
	v_subrev_nc_u32_e32 v23, 28, v8
	v_lshlrev_b64 v[32:33], v23, v[3:4]
	v_sub_nc_u32_e32 v23, 29, v8
	v_and_b32_e32 v8, 7, v32
; %bb.823:                              ;   in Loop: Header=BB283_15 Depth=1
	s_or_b32 exec_lo, exec_lo, s23
	v_lshlrev_b32_e32 v32, 8, v28
	v_lshl_add_u32 v23, v23, 10, 0x2000
	v_lshlrev_b32_e32 v8, 7, v8
	v_and_b32_e32 v32, 0x8000, v32
	v_and_b32_e32 v23, 0xfc00, v23
	v_or3_b32 v39, v32, v23, v8
.LBB283_824:                            ;   in Loop: Header=BB283_15 Depth=1
	s_or_b32 exec_lo, exec_lo, s22
.LBB283_825:                            ;   in Loop: Header=BB283_15 Depth=1
	s_or_b32 exec_lo, exec_lo, s21
.LBB283_826:                            ;   in Loop: Header=BB283_15 Depth=1
	s_or_b32 exec_lo, exec_lo, s20
	v_lshrrev_b16 v3, 8, v3
	v_mov_b32_e32 v50, 0
	v_mov_b32_e32 v64, 0
	s_mov_b32 s20, exec_lo
	v_cmpx_ne_u16_e32 0, v3
	s_cbranch_execz .LBB283_834
; %bb.827:                              ;   in Loop: Header=BB283_15 Depth=1
	v_bfrev_b32_e32 v64, 1
	s_mov_b32 s21, exec_lo
	v_cmpx_ne_u16_e32 0x80, v3
	s_cbranch_execz .LBB283_833
; %bb.828:                              ;   in Loop: Header=BB283_15 Depth=1
	v_mov_b32_e32 v8, 0x7f
	v_mov_b32_e32 v64, 0x7c010000
	s_mov_b32 s22, exec_lo
	v_and_b32_sdwa v32, v3, v8 dst_sel:DWORD dst_unused:UNUSED_PAD src0_sel:WORD_0 src1_sel:DWORD
	v_cmpx_ne_u32_e32 0x7f, v32
	s_cbranch_execz .LBB283_832
; %bb.829:                              ;   in Loop: Header=BB283_15 Depth=1
	v_mov_b32_e32 v8, 7
	v_lshrrev_b32_e32 v23, 3, v32
	s_mov_b32 s23, exec_lo
	v_and_b32_sdwa v8, v3, v8 dst_sel:DWORD dst_unused:UNUSED_PAD src0_sel:WORD_0 src1_sel:DWORD
	v_cmpx_gt_u32_e32 8, v32
; %bb.830:                              ;   in Loop: Header=BB283_15 Depth=1
	v_ffbh_u32_e32 v8, v8
	v_min_u32_e32 v8, 32, v8
	v_subrev_nc_u32_e32 v23, 28, v8
	v_lshlrev_b64 v[32:33], v23, v[3:4]
	v_sub_nc_u32_e32 v23, 29, v8
	v_and_b32_e32 v8, 7, v32
; %bb.831:                              ;   in Loop: Header=BB283_15 Depth=1
	s_or_b32 exec_lo, exec_lo, s23
	v_mov_b32_e32 v32, 8
	v_lshl_add_u32 v23, v23, 10, 0x2000
	v_lshlrev_b32_e32 v8, 23, v8
	v_lshlrev_b32_sdwa v3, v32, v3 dst_sel:DWORD dst_unused:UNUSED_PAD src0_sel:DWORD src1_sel:WORD_0
	v_and_or_b32 v3, 0x8000, v3, v23
	v_lshl_or_b32 v64, v3, 16, v8
.LBB283_832:                            ;   in Loop: Header=BB283_15 Depth=1
	s_or_b32 exec_lo, exec_lo, s22
.LBB283_833:                            ;   in Loop: Header=BB283_15 Depth=1
	s_or_b32 exec_lo, exec_lo, s21
.LBB283_834:                            ;   in Loop: Header=BB283_15 Depth=1
	s_or_b32 exec_lo, exec_lo, s20
	v_lshrrev_b32_e32 v3, 16, v28
	v_cmp_ne_u16_sdwa s5, v3, v4 src0_sel:BYTE_0 src1_sel:DWORD
	s_and_saveexec_b32 s20, s5
	s_cbranch_execz .LBB283_842
; %bb.835:                              ;   in Loop: Header=BB283_15 Depth=1
	v_cmp_ne_u16_sdwa s5, v3, v91 src0_sel:BYTE_0 src1_sel:DWORD
	v_mov_b32_e32 v50, 0x8000
	s_and_saveexec_b32 s21, s5
	s_cbranch_execz .LBB283_841
; %bb.836:                              ;   in Loop: Header=BB283_15 Depth=1
	v_bfe_u32 v32, v28, 16, 7
	v_mov_b32_e32 v50, 0x7c01
	s_mov_b32 s22, exec_lo
	v_cmpx_ne_u32_e32 0x7f, v32
	s_cbranch_execz .LBB283_840
; %bb.837:                              ;   in Loop: Header=BB283_15 Depth=1
	v_and_b32_e32 v8, 7, v3
	v_lshrrev_b32_e32 v23, 3, v32
	s_mov_b32 s23, exec_lo
	v_cmpx_gt_u32_e32 8, v32
; %bb.838:                              ;   in Loop: Header=BB283_15 Depth=1
	v_ffbh_u32_e32 v8, v8
	v_min_u32_e32 v8, 32, v8
	v_subrev_nc_u32_e32 v23, 28, v8
	v_lshlrev_b64 v[32:33], v23, v[3:4]
	v_sub_nc_u32_e32 v23, 29, v8
	v_and_b32_e32 v8, 7, v32
; %bb.839:                              ;   in Loop: Header=BB283_15 Depth=1
	s_or_b32 exec_lo, exec_lo, s23
	v_lshlrev_b32_e32 v3, 8, v3
	v_lshl_add_u32 v23, v23, 10, 0x2000
	v_lshlrev_b32_e32 v8, 7, v8
	v_and_b32_e32 v3, 0x8000, v3
	v_and_b32_e32 v23, 0xfc00, v23
	v_or3_b32 v50, v3, v23, v8
.LBB283_840:                            ;   in Loop: Header=BB283_15 Depth=1
	s_or_b32 exec_lo, exec_lo, s22
.LBB283_841:                            ;   in Loop: Header=BB283_15 Depth=1
	s_or_b32 exec_lo, exec_lo, s21
.LBB283_842:                            ;   in Loop: Header=BB283_15 Depth=1
	s_or_b32 exec_lo, exec_lo, s20
	v_mov_b32_e32 v8, 0
	v_mov_b32_e32 v65, 0
	s_mov_b32 s20, exec_lo
	v_cmpx_lt_u64_e64 s[12:13], v[27:28]
	s_cbranch_execz .LBB283_850
; %bb.843:                              ;   in Loop: Header=BB283_15 Depth=1
	v_lshrrev_b32_e32 v3, 24, v28
	v_bfrev_b32_e32 v65, 1
	s_mov_b32 s21, exec_lo
	v_cmpx_ne_u32_e32 0x80, v3
	s_cbranch_execz .LBB283_849
; %bb.844:                              ;   in Loop: Header=BB283_15 Depth=1
	v_and_b32_e32 v28, 0x7f, v3
	v_mov_b32_e32 v65, 0x7c010000
	s_mov_b32 s22, exec_lo
	v_cmpx_ne_u32_e32 0x7f, v28
	s_cbranch_execz .LBB283_848
; %bb.845:                              ;   in Loop: Header=BB283_15 Depth=1
	v_and_b32_e32 v23, 7, v3
	v_lshrrev_b32_e32 v27, 3, v28
	s_mov_b32 s23, exec_lo
	v_cmpx_gt_u32_e32 8, v28
; %bb.846:                              ;   in Loop: Header=BB283_15 Depth=1
	v_ffbh_u32_e32 v23, v23
	v_min_u32_e32 v23, 32, v23
	v_subrev_nc_u32_e32 v27, 28, v23
	v_lshlrev_b64 v[32:33], v27, v[3:4]
	v_sub_nc_u32_e32 v27, 29, v23
	v_and_b32_e32 v23, 7, v32
; %bb.847:                              ;   in Loop: Header=BB283_15 Depth=1
	s_or_b32 exec_lo, exec_lo, s23
	v_lshlrev_b32_e32 v3, 8, v3
	v_lshl_add_u32 v27, v27, 10, 0x2000
	v_lshlrev_b32_e32 v23, 23, v23
	v_and_or_b32 v3, 0x8000, v3, v27
	v_lshl_or_b32 v65, v3, 16, v23
.LBB283_848:                            ;   in Loop: Header=BB283_15 Depth=1
	s_or_b32 exec_lo, exec_lo, s22
.LBB283_849:                            ;   in Loop: Header=BB283_15 Depth=1
	s_or_b32 exec_lo, exec_lo, s21
.LBB283_850:                            ;   in Loop: Header=BB283_15 Depth=1
	s_or_b32 exec_lo, exec_lo, s20
	flat_load_dwordx2 v[27:28], v[24:25] offset:1032
	s_waitcnt vmcnt(0) lgkmcnt(0)
	v_cmp_ne_u16_sdwa s5, v27, v4 src0_sel:BYTE_0 src1_sel:DWORD
	s_and_saveexec_b32 s20, s5
	s_cbranch_execz .LBB283_858
; %bb.851:                              ;   in Loop: Header=BB283_15 Depth=1
	v_cmp_ne_u16_sdwa s5, v27, v91 src0_sel:BYTE_0 src1_sel:DWORD
	v_mov_b32_e32 v8, 0x8000
	s_and_saveexec_b32 s21, s5
	s_cbranch_execz .LBB283_857
; %bb.852:                              ;   in Loop: Header=BB283_15 Depth=1
	v_and_b32_e32 v23, 0x7f, v27
	v_mov_b32_e32 v8, 0x7c01
	s_mov_b32 s22, exec_lo
	v_cmpx_ne_u32_e32 0x7f, v23
	s_cbranch_execz .LBB283_856
; %bb.853:                              ;   in Loop: Header=BB283_15 Depth=1
	v_and_b32_e32 v3, 7, v27
	v_lshrrev_b32_e32 v8, 3, v23
	s_mov_b32 s23, exec_lo
	v_cmpx_gt_u32_e32 8, v23
; %bb.854:                              ;   in Loop: Header=BB283_15 Depth=1
	v_ffbh_u32_e32 v3, v3
	v_min_u32_e32 v3, 32, v3
	v_subrev_nc_u32_e32 v8, 28, v3
	v_lshlrev_b64 v[32:33], v8, v[27:28]
	v_sub_nc_u32_e32 v8, 29, v3
	v_and_b32_e32 v3, 7, v32
; %bb.855:                              ;   in Loop: Header=BB283_15 Depth=1
	s_or_b32 exec_lo, exec_lo, s23
	v_lshlrev_b32_e32 v23, 8, v27
	v_lshl_add_u32 v8, v8, 10, 0x2000
	v_lshlrev_b32_e32 v3, 7, v3
	v_and_b32_e32 v23, 0x8000, v23
	v_and_b32_e32 v8, 0xfc00, v8
	v_or3_b32 v8, v23, v8, v3
.LBB283_856:                            ;   in Loop: Header=BB283_15 Depth=1
	s_or_b32 exec_lo, exec_lo, s22
.LBB283_857:                            ;   in Loop: Header=BB283_15 Depth=1
	s_or_b32 exec_lo, exec_lo, s21
.LBB283_858:                            ;   in Loop: Header=BB283_15 Depth=1
	s_or_b32 exec_lo, exec_lo, s20
	v_lshrrev_b16 v3, 8, v27
	v_mov_b32_e32 v38, 0
	v_mov_b32_e32 v32, 0
	s_mov_b32 s20, exec_lo
	v_cmpx_ne_u16_e32 0, v3
	s_cbranch_execz .LBB283_866
; %bb.859:                              ;   in Loop: Header=BB283_15 Depth=1
	v_bfrev_b32_e32 v32, 1
	s_mov_b32 s21, exec_lo
	v_cmpx_ne_u16_e32 0x80, v3
	s_cbranch_execz .LBB283_865
; %bb.860:                              ;   in Loop: Header=BB283_15 Depth=1
	v_mov_b32_e32 v23, 0x7f
	v_mov_b32_e32 v32, 0x7c010000
	s_mov_b32 s22, exec_lo
	v_and_b32_sdwa v33, v3, v23 dst_sel:DWORD dst_unused:UNUSED_PAD src0_sel:WORD_0 src1_sel:DWORD
	v_cmpx_ne_u32_e32 0x7f, v33
	s_cbranch_execz .LBB283_864
; %bb.861:                              ;   in Loop: Header=BB283_15 Depth=1
	v_mov_b32_e32 v23, 7
	v_lshrrev_b32_e32 v32, 3, v33
	s_mov_b32 s23, exec_lo
	v_and_b32_sdwa v23, v3, v23 dst_sel:DWORD dst_unused:UNUSED_PAD src0_sel:WORD_0 src1_sel:DWORD
	v_cmpx_gt_u32_e32 8, v33
; %bb.862:                              ;   in Loop: Header=BB283_15 Depth=1
	v_ffbh_u32_e32 v23, v23
	v_min_u32_e32 v23, 32, v23
	v_subrev_nc_u32_e32 v32, 28, v23
	v_lshlrev_b64 v[84:85], v32, v[3:4]
	v_sub_nc_u32_e32 v32, 29, v23
	v_and_b32_e32 v23, 7, v84
; %bb.863:                              ;   in Loop: Header=BB283_15 Depth=1
	s_or_b32 exec_lo, exec_lo, s23
	v_mov_b32_e32 v33, 8
	v_lshl_add_u32 v32, v32, 10, 0x2000
	v_lshlrev_b32_e32 v23, 23, v23
	v_lshlrev_b32_sdwa v3, v33, v3 dst_sel:DWORD dst_unused:UNUSED_PAD src0_sel:DWORD src1_sel:WORD_0
	v_and_or_b32 v3, 0x8000, v3, v32
	v_lshl_or_b32 v32, v3, 16, v23
.LBB283_864:                            ;   in Loop: Header=BB283_15 Depth=1
	s_or_b32 exec_lo, exec_lo, s22
.LBB283_865:                            ;   in Loop: Header=BB283_15 Depth=1
	s_or_b32 exec_lo, exec_lo, s21
.LBB283_866:                            ;   in Loop: Header=BB283_15 Depth=1
	s_or_b32 exec_lo, exec_lo, s20
	v_lshrrev_b32_e32 v3, 16, v27
	v_cmp_ne_u16_sdwa s5, v3, v4 src0_sel:BYTE_0 src1_sel:DWORD
	s_and_saveexec_b32 s20, s5
	s_cbranch_execz .LBB283_874
; %bb.867:                              ;   in Loop: Header=BB283_15 Depth=1
	v_cmp_ne_u16_sdwa s5, v3, v91 src0_sel:BYTE_0 src1_sel:DWORD
	v_mov_b32_e32 v38, 0x8000
	s_and_saveexec_b32 s21, s5
	s_cbranch_execz .LBB283_873
; %bb.868:                              ;   in Loop: Header=BB283_15 Depth=1
	v_bfe_u32 v53, v27, 16, 7
	v_mov_b32_e32 v38, 0x7c01
	s_mov_b32 s22, exec_lo
	v_cmpx_ne_u32_e32 0x7f, v53
	s_cbranch_execz .LBB283_872
; %bb.869:                              ;   in Loop: Header=BB283_15 Depth=1
	v_and_b32_e32 v23, 7, v3
	v_lshrrev_b32_e32 v33, 3, v53
	s_mov_b32 s23, exec_lo
	v_cmpx_gt_u32_e32 8, v53
; %bb.870:                              ;   in Loop: Header=BB283_15 Depth=1
	v_ffbh_u32_e32 v23, v23
	v_min_u32_e32 v23, 32, v23
	v_subrev_nc_u32_e32 v33, 28, v23
	v_lshlrev_b64 v[84:85], v33, v[3:4]
	v_sub_nc_u32_e32 v33, 29, v23
	v_and_b32_e32 v23, 7, v84
; %bb.871:                              ;   in Loop: Header=BB283_15 Depth=1
	s_or_b32 exec_lo, exec_lo, s23
	v_lshlrev_b32_e32 v3, 8, v3
	v_lshl_add_u32 v33, v33, 10, 0x2000
	v_lshlrev_b32_e32 v23, 7, v23
	v_and_b32_e32 v3, 0x8000, v3
	v_and_b32_e32 v33, 0xfc00, v33
	v_or3_b32 v38, v3, v33, v23
.LBB283_872:                            ;   in Loop: Header=BB283_15 Depth=1
	s_or_b32 exec_lo, exec_lo, s22
.LBB283_873:                            ;   in Loop: Header=BB283_15 Depth=1
	s_or_b32 exec_lo, exec_lo, s21
.LBB283_874:                            ;   in Loop: Header=BB283_15 Depth=1
	s_or_b32 exec_lo, exec_lo, s20
	v_mov_b32_e32 v96, 0
	v_mov_b32_e32 v115, 0
	s_mov_b32 s20, exec_lo
	v_cmpx_lt_u32_e32 0xffffff, v27
	s_cbranch_execz .LBB283_882
; %bb.875:                              ;   in Loop: Header=BB283_15 Depth=1
	v_lshrrev_b32_e32 v3, 24, v27
	v_bfrev_b32_e32 v115, 1
	s_mov_b32 s21, exec_lo
	v_cmpx_ne_u32_e32 0x80, v3
	s_cbranch_execz .LBB283_881
; %bb.876:                              ;   in Loop: Header=BB283_15 Depth=1
	v_and_b32_e32 v53, 0x7f, v3
	v_mov_b32_e32 v115, 0x7c010000
	s_mov_b32 s22, exec_lo
	v_cmpx_ne_u32_e32 0x7f, v53
	s_cbranch_execz .LBB283_880
; %bb.877:                              ;   in Loop: Header=BB283_15 Depth=1
	v_and_b32_e32 v23, 7, v3
	v_lshrrev_b32_e32 v33, 3, v53
	s_mov_b32 s23, exec_lo
	v_cmpx_gt_u32_e32 8, v53
; %bb.878:                              ;   in Loop: Header=BB283_15 Depth=1
	v_ffbh_u32_e32 v23, v23
	v_min_u32_e32 v23, 32, v23
	v_subrev_nc_u32_e32 v33, 28, v23
	v_lshlrev_b64 v[84:85], v33, v[3:4]
	v_sub_nc_u32_e32 v33, 29, v23
	v_and_b32_e32 v23, 7, v84
; %bb.879:                              ;   in Loop: Header=BB283_15 Depth=1
	s_or_b32 exec_lo, exec_lo, s23
	v_lshlrev_b32_e32 v3, 8, v3
	v_lshl_add_u32 v33, v33, 10, 0x2000
	v_lshlrev_b32_e32 v23, 23, v23
	v_and_or_b32 v3, 0x8000, v3, v33
	v_lshl_or_b32 v115, v3, 16, v23
.LBB283_880:                            ;   in Loop: Header=BB283_15 Depth=1
	s_or_b32 exec_lo, exec_lo, s22
.LBB283_881:                            ;   in Loop: Header=BB283_15 Depth=1
	s_or_b32 exec_lo, exec_lo, s21
.LBB283_882:                            ;   in Loop: Header=BB283_15 Depth=1
	s_or_b32 exec_lo, exec_lo, s20
	v_mov_b32_e32 v3, v28
	v_cmp_ne_u16_sdwa s5, v28, v4 src0_sel:BYTE_0 src1_sel:DWORD
	s_and_saveexec_b32 s20, s5
	s_cbranch_execz .LBB283_890
; %bb.883:                              ;   in Loop: Header=BB283_15 Depth=1
	v_cmp_ne_u16_sdwa s5, v28, v91 src0_sel:BYTE_0 src1_sel:DWORD
	v_mov_b32_e32 v96, 0x8000
	s_and_saveexec_b32 s21, s5
	s_cbranch_execz .LBB283_889
; %bb.884:                              ;   in Loop: Header=BB283_15 Depth=1
	v_and_b32_e32 v53, 0x7f, v28
	v_mov_b32_e32 v96, 0x7c01
	s_mov_b32 s22, exec_lo
	v_cmpx_ne_u32_e32 0x7f, v53
	s_cbranch_execz .LBB283_888
; %bb.885:                              ;   in Loop: Header=BB283_15 Depth=1
	v_and_b32_e32 v23, 7, v28
	v_lshrrev_b32_e32 v33, 3, v53
	s_mov_b32 s23, exec_lo
	v_cmpx_gt_u32_e32 8, v53
; %bb.886:                              ;   in Loop: Header=BB283_15 Depth=1
	v_ffbh_u32_e32 v23, v23
	v_min_u32_e32 v23, 32, v23
	v_subrev_nc_u32_e32 v33, 28, v23
	v_lshlrev_b64 v[84:85], v33, v[3:4]
	v_sub_nc_u32_e32 v33, 29, v23
	v_and_b32_e32 v23, 7, v84
; %bb.887:                              ;   in Loop: Header=BB283_15 Depth=1
	s_or_b32 exec_lo, exec_lo, s23
	v_lshlrev_b32_e32 v53, 8, v28
	v_lshl_add_u32 v33, v33, 10, 0x2000
	v_lshlrev_b32_e32 v23, 7, v23
	v_and_b32_e32 v53, 0x8000, v53
	v_and_b32_e32 v33, 0xfc00, v33
	v_or3_b32 v96, v53, v33, v23
.LBB283_888:                            ;   in Loop: Header=BB283_15 Depth=1
	s_or_b32 exec_lo, exec_lo, s22
.LBB283_889:                            ;   in Loop: Header=BB283_15 Depth=1
	s_or_b32 exec_lo, exec_lo, s21
.LBB283_890:                            ;   in Loop: Header=BB283_15 Depth=1
	s_or_b32 exec_lo, exec_lo, s20
	v_lshrrev_b16 v3, 8, v3
	v_mov_b32_e32 v70, 0
	v_mov_b32_e32 v118, 0
	s_mov_b32 s20, exec_lo
	v_cmpx_ne_u16_e32 0, v3
	s_cbranch_execz .LBB283_898
; %bb.891:                              ;   in Loop: Header=BB283_15 Depth=1
	v_bfrev_b32_e32 v118, 1
	s_mov_b32 s21, exec_lo
	v_cmpx_ne_u16_e32 0x80, v3
	s_cbranch_execz .LBB283_897
; %bb.892:                              ;   in Loop: Header=BB283_15 Depth=1
	v_mov_b32_e32 v23, 0x7f
	v_mov_b32_e32 v118, 0x7c010000
	s_mov_b32 s22, exec_lo
	v_and_b32_sdwa v53, v3, v23 dst_sel:DWORD dst_unused:UNUSED_PAD src0_sel:WORD_0 src1_sel:DWORD
	v_cmpx_ne_u32_e32 0x7f, v53
	s_cbranch_execz .LBB283_896
; %bb.893:                              ;   in Loop: Header=BB283_15 Depth=1
	v_mov_b32_e32 v23, 7
	v_lshrrev_b32_e32 v33, 3, v53
	s_mov_b32 s23, exec_lo
	v_and_b32_sdwa v23, v3, v23 dst_sel:DWORD dst_unused:UNUSED_PAD src0_sel:WORD_0 src1_sel:DWORD
	v_cmpx_gt_u32_e32 8, v53
; %bb.894:                              ;   in Loop: Header=BB283_15 Depth=1
	v_ffbh_u32_e32 v23, v23
	v_min_u32_e32 v23, 32, v23
	v_subrev_nc_u32_e32 v33, 28, v23
	v_lshlrev_b64 v[84:85], v33, v[3:4]
	v_sub_nc_u32_e32 v33, 29, v23
	v_and_b32_e32 v23, 7, v84
; %bb.895:                              ;   in Loop: Header=BB283_15 Depth=1
	s_or_b32 exec_lo, exec_lo, s23
	v_mov_b32_e32 v53, 8
	v_lshl_add_u32 v33, v33, 10, 0x2000
	v_lshlrev_b32_e32 v23, 23, v23
	v_lshlrev_b32_sdwa v3, v53, v3 dst_sel:DWORD dst_unused:UNUSED_PAD src0_sel:DWORD src1_sel:WORD_0
	v_and_or_b32 v3, 0x8000, v3, v33
	v_lshl_or_b32 v118, v3, 16, v23
.LBB283_896:                            ;   in Loop: Header=BB283_15 Depth=1
	s_or_b32 exec_lo, exec_lo, s22
.LBB283_897:                            ;   in Loop: Header=BB283_15 Depth=1
	s_or_b32 exec_lo, exec_lo, s21
.LBB283_898:                            ;   in Loop: Header=BB283_15 Depth=1
	s_or_b32 exec_lo, exec_lo, s20
	v_lshrrev_b32_e32 v3, 16, v28
	v_cmp_ne_u16_sdwa s5, v3, v4 src0_sel:BYTE_0 src1_sel:DWORD
	s_and_saveexec_b32 s20, s5
	s_cbranch_execz .LBB283_906
; %bb.899:                              ;   in Loop: Header=BB283_15 Depth=1
	v_cmp_ne_u16_sdwa s5, v3, v91 src0_sel:BYTE_0 src1_sel:DWORD
	v_mov_b32_e32 v70, 0x8000
	s_and_saveexec_b32 s21, s5
	s_cbranch_execz .LBB283_905
; %bb.900:                              ;   in Loop: Header=BB283_15 Depth=1
	v_bfe_u32 v53, v28, 16, 7
	v_mov_b32_e32 v70, 0x7c01
	s_mov_b32 s22, exec_lo
	v_cmpx_ne_u32_e32 0x7f, v53
	s_cbranch_execz .LBB283_904
; %bb.901:                              ;   in Loop: Header=BB283_15 Depth=1
	v_and_b32_e32 v23, 7, v3
	v_lshrrev_b32_e32 v33, 3, v53
	s_mov_b32 s23, exec_lo
	v_cmpx_gt_u32_e32 8, v53
; %bb.902:                              ;   in Loop: Header=BB283_15 Depth=1
	v_ffbh_u32_e32 v23, v23
	v_min_u32_e32 v23, 32, v23
	v_subrev_nc_u32_e32 v33, 28, v23
	v_lshlrev_b64 v[84:85], v33, v[3:4]
	v_sub_nc_u32_e32 v33, 29, v23
	v_and_b32_e32 v23, 7, v84
; %bb.903:                              ;   in Loop: Header=BB283_15 Depth=1
	s_or_b32 exec_lo, exec_lo, s23
	v_lshlrev_b32_e32 v3, 8, v3
	v_lshl_add_u32 v33, v33, 10, 0x2000
	v_lshlrev_b32_e32 v23, 7, v23
	v_and_b32_e32 v3, 0x8000, v3
	v_and_b32_e32 v33, 0xfc00, v33
	v_or3_b32 v70, v3, v33, v23
.LBB283_904:                            ;   in Loop: Header=BB283_15 Depth=1
	s_or_b32 exec_lo, exec_lo, s22
.LBB283_905:                            ;   in Loop: Header=BB283_15 Depth=1
	s_or_b32 exec_lo, exec_lo, s21
.LBB283_906:                            ;   in Loop: Header=BB283_15 Depth=1
	s_or_b32 exec_lo, exec_lo, s20
	v_mov_b32_e32 v104, 0
	v_mov_b32_e32 v93, 0
	s_mov_b32 s20, exec_lo
	v_cmpx_lt_u64_e64 s[12:13], v[27:28]
	s_cbranch_execz .LBB283_914
; %bb.907:                              ;   in Loop: Header=BB283_15 Depth=1
	v_lshrrev_b32_e32 v3, 24, v28
	v_bfrev_b32_e32 v93, 1
	s_mov_b32 s21, exec_lo
	v_cmpx_ne_u32_e32 0x80, v3
	s_cbranch_execz .LBB283_913
; %bb.908:                              ;   in Loop: Header=BB283_15 Depth=1
	v_and_b32_e32 v28, 0x7f, v3
	v_mov_b32_e32 v93, 0x7c010000
	s_mov_b32 s22, exec_lo
	v_cmpx_ne_u32_e32 0x7f, v28
	s_cbranch_execz .LBB283_912
; %bb.909:                              ;   in Loop: Header=BB283_15 Depth=1
	v_and_b32_e32 v23, 7, v3
	v_lshrrev_b32_e32 v27, 3, v28
	s_mov_b32 s23, exec_lo
	v_cmpx_gt_u32_e32 8, v28
; %bb.910:                              ;   in Loop: Header=BB283_15 Depth=1
	v_ffbh_u32_e32 v23, v23
	v_min_u32_e32 v23, 32, v23
	v_subrev_nc_u32_e32 v27, 28, v23
	v_lshlrev_b64 v[84:85], v27, v[3:4]
	v_sub_nc_u32_e32 v27, 29, v23
	v_and_b32_e32 v23, 7, v84
; %bb.911:                              ;   in Loop: Header=BB283_15 Depth=1
	s_or_b32 exec_lo, exec_lo, s23
	v_lshlrev_b32_e32 v3, 8, v3
	v_lshl_add_u32 v27, v27, 10, 0x2000
	v_lshlrev_b32_e32 v23, 23, v23
	v_and_or_b32 v3, 0x8000, v3, v27
	v_lshl_or_b32 v93, v3, 16, v23
.LBB283_912:                            ;   in Loop: Header=BB283_15 Depth=1
	s_or_b32 exec_lo, exec_lo, s22
.LBB283_913:                            ;   in Loop: Header=BB283_15 Depth=1
	s_or_b32 exec_lo, exec_lo, s21
.LBB283_914:                            ;   in Loop: Header=BB283_15 Depth=1
	s_or_b32 exec_lo, exec_lo, s20
	flat_load_dwordx2 v[27:28], v[24:25] offset:1536
	s_waitcnt vmcnt(0) lgkmcnt(0)
	v_cmp_ne_u16_sdwa s5, v27, v4 src0_sel:BYTE_0 src1_sel:DWORD
	s_and_saveexec_b32 s20, s5
	s_cbranch_execz .LBB283_922
; %bb.915:                              ;   in Loop: Header=BB283_15 Depth=1
	v_cmp_ne_u16_sdwa s5, v27, v91 src0_sel:BYTE_0 src1_sel:DWORD
	v_mov_b32_e32 v104, 0x8000
	s_and_saveexec_b32 s21, s5
	s_cbranch_execz .LBB283_921
; %bb.916:                              ;   in Loop: Header=BB283_15 Depth=1
	v_and_b32_e32 v33, 0x7f, v27
	v_mov_b32_e32 v104, 0x7c01
	s_mov_b32 s22, exec_lo
	v_cmpx_ne_u32_e32 0x7f, v33
	s_cbranch_execz .LBB283_920
; %bb.917:                              ;   in Loop: Header=BB283_15 Depth=1
	v_and_b32_e32 v3, 7, v27
	v_lshrrev_b32_e32 v23, 3, v33
	s_mov_b32 s23, exec_lo
	v_cmpx_gt_u32_e32 8, v33
; %bb.918:                              ;   in Loop: Header=BB283_15 Depth=1
	v_ffbh_u32_e32 v3, v3
	v_min_u32_e32 v3, 32, v3
	v_subrev_nc_u32_e32 v23, 28, v3
	v_lshlrev_b64 v[84:85], v23, v[27:28]
	v_sub_nc_u32_e32 v23, 29, v3
	v_and_b32_e32 v3, 7, v84
; %bb.919:                              ;   in Loop: Header=BB283_15 Depth=1
	s_or_b32 exec_lo, exec_lo, s23
	v_lshlrev_b32_e32 v33, 8, v27
	v_lshl_add_u32 v23, v23, 10, 0x2000
	v_lshlrev_b32_e32 v3, 7, v3
	v_and_b32_e32 v33, 0x8000, v33
	v_and_b32_e32 v23, 0xfc00, v23
	v_or3_b32 v104, v33, v23, v3
.LBB283_920:                            ;   in Loop: Header=BB283_15 Depth=1
	s_or_b32 exec_lo, exec_lo, s22
.LBB283_921:                            ;   in Loop: Header=BB283_15 Depth=1
	s_or_b32 exec_lo, exec_lo, s21
.LBB283_922:                            ;   in Loop: Header=BB283_15 Depth=1
	s_or_b32 exec_lo, exec_lo, s20
	v_lshrrev_b16 v3, 8, v27
	v_mov_b32_e32 v108, 0
	v_mov_b32_e32 v106, 0
	s_mov_b32 s20, exec_lo
	v_cmpx_ne_u16_e32 0, v3
	s_cbranch_execz .LBB283_930
; %bb.923:                              ;   in Loop: Header=BB283_15 Depth=1
	v_bfrev_b32_e32 v106, 1
	s_mov_b32 s21, exec_lo
	v_cmpx_ne_u16_e32 0x80, v3
	s_cbranch_execz .LBB283_929
; %bb.924:                              ;   in Loop: Header=BB283_15 Depth=1
	v_mov_b32_e32 v23, 0x7f
	v_mov_b32_e32 v106, 0x7c010000
	s_mov_b32 s22, exec_lo
	v_and_b32_sdwa v53, v3, v23 dst_sel:DWORD dst_unused:UNUSED_PAD src0_sel:WORD_0 src1_sel:DWORD
	v_cmpx_ne_u32_e32 0x7f, v53
	s_cbranch_execz .LBB283_928
; %bb.925:                              ;   in Loop: Header=BB283_15 Depth=1
	v_mov_b32_e32 v23, 7
	v_lshrrev_b32_e32 v33, 3, v53
	s_mov_b32 s23, exec_lo
	v_and_b32_sdwa v23, v3, v23 dst_sel:DWORD dst_unused:UNUSED_PAD src0_sel:WORD_0 src1_sel:DWORD
	v_cmpx_gt_u32_e32 8, v53
; %bb.926:                              ;   in Loop: Header=BB283_15 Depth=1
	v_ffbh_u32_e32 v23, v23
	v_min_u32_e32 v23, 32, v23
	v_subrev_nc_u32_e32 v33, 28, v23
	v_lshlrev_b64 v[84:85], v33, v[3:4]
	v_sub_nc_u32_e32 v33, 29, v23
	v_and_b32_e32 v23, 7, v84
; %bb.927:                              ;   in Loop: Header=BB283_15 Depth=1
	s_or_b32 exec_lo, exec_lo, s23
	v_mov_b32_e32 v53, 8
	v_lshl_add_u32 v33, v33, 10, 0x2000
	v_lshlrev_b32_e32 v23, 23, v23
	v_lshlrev_b32_sdwa v3, v53, v3 dst_sel:DWORD dst_unused:UNUSED_PAD src0_sel:DWORD src1_sel:WORD_0
	v_and_or_b32 v3, 0x8000, v3, v33
	v_lshl_or_b32 v106, v3, 16, v23
.LBB283_928:                            ;   in Loop: Header=BB283_15 Depth=1
	s_or_b32 exec_lo, exec_lo, s22
.LBB283_929:                            ;   in Loop: Header=BB283_15 Depth=1
	s_or_b32 exec_lo, exec_lo, s21
.LBB283_930:                            ;   in Loop: Header=BB283_15 Depth=1
	s_or_b32 exec_lo, exec_lo, s20
	v_lshrrev_b32_e32 v3, 16, v27
	v_cmp_ne_u16_sdwa s5, v3, v4 src0_sel:BYTE_0 src1_sel:DWORD
	s_and_saveexec_b32 s20, s5
	s_cbranch_execz .LBB283_938
; %bb.931:                              ;   in Loop: Header=BB283_15 Depth=1
	v_cmp_ne_u16_sdwa s5, v3, v91 src0_sel:BYTE_0 src1_sel:DWORD
	v_mov_b32_e32 v108, 0x8000
	s_and_saveexec_b32 s21, s5
	s_cbranch_execz .LBB283_937
; %bb.932:                              ;   in Loop: Header=BB283_15 Depth=1
	v_bfe_u32 v53, v27, 16, 7
	v_mov_b32_e32 v108, 0x7c01
	s_mov_b32 s22, exec_lo
	v_cmpx_ne_u32_e32 0x7f, v53
	s_cbranch_execz .LBB283_936
; %bb.933:                              ;   in Loop: Header=BB283_15 Depth=1
	v_and_b32_e32 v23, 7, v3
	v_lshrrev_b32_e32 v33, 3, v53
	s_mov_b32 s23, exec_lo
	v_cmpx_gt_u32_e32 8, v53
; %bb.934:                              ;   in Loop: Header=BB283_15 Depth=1
	v_ffbh_u32_e32 v23, v23
	v_min_u32_e32 v23, 32, v23
	v_subrev_nc_u32_e32 v33, 28, v23
	v_lshlrev_b64 v[84:85], v33, v[3:4]
	v_sub_nc_u32_e32 v33, 29, v23
	v_and_b32_e32 v23, 7, v84
; %bb.935:                              ;   in Loop: Header=BB283_15 Depth=1
	s_or_b32 exec_lo, exec_lo, s23
	v_lshlrev_b32_e32 v3, 8, v3
	v_lshl_add_u32 v33, v33, 10, 0x2000
	v_lshlrev_b32_e32 v23, 7, v23
	v_and_b32_e32 v3, 0x8000, v3
	v_and_b32_e32 v33, 0xfc00, v33
	v_or3_b32 v108, v3, v33, v23
.LBB283_936:                            ;   in Loop: Header=BB283_15 Depth=1
	s_or_b32 exec_lo, exec_lo, s22
.LBB283_937:                            ;   in Loop: Header=BB283_15 Depth=1
	s_or_b32 exec_lo, exec_lo, s21
.LBB283_938:                            ;   in Loop: Header=BB283_15 Depth=1
	s_or_b32 exec_lo, exec_lo, s20
	v_mov_b32_e32 v33, 0
	v_mov_b32_e32 v120, 0
	s_mov_b32 s20, exec_lo
	v_cmpx_lt_u32_e32 0xffffff, v27
	s_cbranch_execz .LBB283_946
; %bb.939:                              ;   in Loop: Header=BB283_15 Depth=1
	v_lshrrev_b32_e32 v3, 24, v27
	v_bfrev_b32_e32 v120, 1
	s_mov_b32 s21, exec_lo
	v_cmpx_ne_u32_e32 0x80, v3
	s_cbranch_execz .LBB283_945
; %bb.940:                              ;   in Loop: Header=BB283_15 Depth=1
	v_mov_b32_e32 v87, v66
	v_and_b32_e32 v66, 0x7f, v3
	v_mov_b32_e32 v120, 0x7c010000
	s_mov_b32 s22, exec_lo
	v_cmpx_ne_u32_e32 0x7f, v66
	s_cbranch_execz .LBB283_944
; %bb.941:                              ;   in Loop: Header=BB283_15 Depth=1
	v_and_b32_e32 v23, 7, v3
	v_lshrrev_b32_e32 v53, 3, v66
	s_mov_b32 s23, exec_lo
	v_cmpx_gt_u32_e32 8, v66
; %bb.942:                              ;   in Loop: Header=BB283_15 Depth=1
	v_ffbh_u32_e32 v23, v23
	v_min_u32_e32 v23, 32, v23
	v_subrev_nc_u32_e32 v53, 28, v23
	v_lshlrev_b64 v[84:85], v53, v[3:4]
	v_sub_nc_u32_e32 v53, 29, v23
	v_and_b32_e32 v23, 7, v84
; %bb.943:                              ;   in Loop: Header=BB283_15 Depth=1
	s_or_b32 exec_lo, exec_lo, s23
	v_lshlrev_b32_e32 v3, 8, v3
	v_lshl_add_u32 v53, v53, 10, 0x2000
	v_lshlrev_b32_e32 v23, 23, v23
	v_and_or_b32 v3, 0x8000, v3, v53
	v_lshl_or_b32 v120, v3, 16, v23
.LBB283_944:                            ;   in Loop: Header=BB283_15 Depth=1
	s_or_b32 exec_lo, exec_lo, s22
	v_mov_b32_e32 v66, v87
.LBB283_945:                            ;   in Loop: Header=BB283_15 Depth=1
	s_or_b32 exec_lo, exec_lo, s21
.LBB283_946:                            ;   in Loop: Header=BB283_15 Depth=1
	s_or_b32 exec_lo, exec_lo, s20
	v_mov_b32_e32 v3, v28
	v_cmp_ne_u16_sdwa s5, v28, v4 src0_sel:BYTE_0 src1_sel:DWORD
	s_and_saveexec_b32 s20, s5
	s_cbranch_execz .LBB283_954
; %bb.947:                              ;   in Loop: Header=BB283_15 Depth=1
	v_cmp_ne_u16_sdwa s5, v28, v91 src0_sel:BYTE_0 src1_sel:DWORD
	v_mov_b32_e32 v33, 0x8000
	s_and_saveexec_b32 s21, s5
	s_cbranch_execz .LBB283_953
; %bb.948:                              ;   in Loop: Header=BB283_15 Depth=1
	v_and_b32_e32 v53, 0x7f, v28
	v_mov_b32_e32 v33, 0x7c01
	s_mov_b32 s22, exec_lo
	v_cmpx_ne_u32_e32 0x7f, v53
	s_cbranch_execz .LBB283_952
; %bb.949:                              ;   in Loop: Header=BB283_15 Depth=1
	v_and_b32_e32 v23, 7, v28
	v_lshrrev_b32_e32 v33, 3, v53
	s_mov_b32 s23, exec_lo
	v_cmpx_gt_u32_e32 8, v53
; %bb.950:                              ;   in Loop: Header=BB283_15 Depth=1
	v_ffbh_u32_e32 v23, v23
	v_min_u32_e32 v23, 32, v23
	v_subrev_nc_u32_e32 v33, 28, v23
	v_lshlrev_b64 v[84:85], v33, v[3:4]
	v_sub_nc_u32_e32 v33, 29, v23
	v_and_b32_e32 v23, 7, v84
; %bb.951:                              ;   in Loop: Header=BB283_15 Depth=1
	s_or_b32 exec_lo, exec_lo, s23
	v_lshlrev_b32_e32 v53, 8, v28
	v_lshl_add_u32 v33, v33, 10, 0x2000
	v_lshlrev_b32_e32 v23, 7, v23
	v_and_b32_e32 v53, 0x8000, v53
	v_and_b32_e32 v33, 0xfc00, v33
	v_or3_b32 v33, v53, v33, v23
.LBB283_952:                            ;   in Loop: Header=BB283_15 Depth=1
	s_or_b32 exec_lo, exec_lo, s22
.LBB283_953:                            ;   in Loop: Header=BB283_15 Depth=1
	s_or_b32 exec_lo, exec_lo, s21
.LBB283_954:                            ;   in Loop: Header=BB283_15 Depth=1
	s_or_b32 exec_lo, exec_lo, s20
	v_lshrrev_b16 v3, 8, v3
	v_mov_b32_e32 v124, 0
	v_mov_b32_e32 v125, 0
	s_mov_b32 s20, exec_lo
	v_cmpx_ne_u16_e32 0, v3
	s_cbranch_execz .LBB283_962
; %bb.955:                              ;   in Loop: Header=BB283_15 Depth=1
	v_bfrev_b32_e32 v125, 1
	s_mov_b32 s21, exec_lo
	v_cmpx_ne_u16_e32 0x80, v3
	s_cbranch_execz .LBB283_961
; %bb.956:                              ;   in Loop: Header=BB283_15 Depth=1
	v_mov_b32_e32 v23, 0x7f
	v_mov_b32_e32 v87, v66
	;; [unrolled: 1-line block ×3, first 2 shown]
	s_mov_b32 s22, exec_lo
	v_and_b32_sdwa v66, v3, v23 dst_sel:DWORD dst_unused:UNUSED_PAD src0_sel:WORD_0 src1_sel:DWORD
	v_cmpx_ne_u32_e32 0x7f, v66
	s_cbranch_execz .LBB283_960
; %bb.957:                              ;   in Loop: Header=BB283_15 Depth=1
	v_mov_b32_e32 v23, 7
	v_lshrrev_b32_e32 v53, 3, v66
	s_mov_b32 s23, exec_lo
	v_and_b32_sdwa v23, v3, v23 dst_sel:DWORD dst_unused:UNUSED_PAD src0_sel:WORD_0 src1_sel:DWORD
	v_cmpx_gt_u32_e32 8, v66
; %bb.958:                              ;   in Loop: Header=BB283_15 Depth=1
	v_ffbh_u32_e32 v23, v23
	v_min_u32_e32 v23, 32, v23
	v_subrev_nc_u32_e32 v53, 28, v23
	v_lshlrev_b64 v[84:85], v53, v[3:4]
	v_sub_nc_u32_e32 v53, 29, v23
	v_and_b32_e32 v23, 7, v84
; %bb.959:                              ;   in Loop: Header=BB283_15 Depth=1
	s_or_b32 exec_lo, exec_lo, s23
	v_mov_b32_e32 v66, 8
	v_lshl_add_u32 v53, v53, 10, 0x2000
	v_lshlrev_b32_e32 v23, 23, v23
	v_lshlrev_b32_sdwa v3, v66, v3 dst_sel:DWORD dst_unused:UNUSED_PAD src0_sel:DWORD src1_sel:WORD_0
	v_and_or_b32 v3, 0x8000, v3, v53
	v_lshl_or_b32 v125, v3, 16, v23
.LBB283_960:                            ;   in Loop: Header=BB283_15 Depth=1
	s_or_b32 exec_lo, exec_lo, s22
	v_mov_b32_e32 v66, v87
.LBB283_961:                            ;   in Loop: Header=BB283_15 Depth=1
	s_or_b32 exec_lo, exec_lo, s21
.LBB283_962:                            ;   in Loop: Header=BB283_15 Depth=1
	s_or_b32 exec_lo, exec_lo, s20
	v_lshrrev_b32_e32 v3, 16, v28
	v_cmp_ne_u16_sdwa s5, v3, v4 src0_sel:BYTE_0 src1_sel:DWORD
	s_and_saveexec_b32 s20, s5
	s_cbranch_execz .LBB283_970
; %bb.963:                              ;   in Loop: Header=BB283_15 Depth=1
	v_cmp_ne_u16_sdwa s5, v3, v91 src0_sel:BYTE_0 src1_sel:DWORD
	v_mov_b32_e32 v124, 0x8000
	s_and_saveexec_b32 s21, s5
	s_cbranch_execz .LBB283_969
; %bb.964:                              ;   in Loop: Header=BB283_15 Depth=1
	v_mov_b32_e32 v87, v66
	v_bfe_u32 v66, v28, 16, 7
	v_mov_b32_e32 v124, 0x7c01
	s_mov_b32 s22, exec_lo
	v_cmpx_ne_u32_e32 0x7f, v66
	s_cbranch_execz .LBB283_968
; %bb.965:                              ;   in Loop: Header=BB283_15 Depth=1
	v_and_b32_e32 v23, 7, v3
	v_lshrrev_b32_e32 v53, 3, v66
	s_mov_b32 s23, exec_lo
	v_cmpx_gt_u32_e32 8, v66
; %bb.966:                              ;   in Loop: Header=BB283_15 Depth=1
	v_ffbh_u32_e32 v23, v23
	v_min_u32_e32 v23, 32, v23
	v_subrev_nc_u32_e32 v53, 28, v23
	v_lshlrev_b64 v[84:85], v53, v[3:4]
	v_sub_nc_u32_e32 v53, 29, v23
	v_and_b32_e32 v23, 7, v84
; %bb.967:                              ;   in Loop: Header=BB283_15 Depth=1
	s_or_b32 exec_lo, exec_lo, s23
	v_lshlrev_b32_e32 v3, 8, v3
	v_lshl_add_u32 v53, v53, 10, 0x2000
	v_lshlrev_b32_e32 v23, 7, v23
	v_and_b32_e32 v3, 0x8000, v3
	v_and_b32_e32 v53, 0xfc00, v53
	v_or3_b32 v124, v3, v53, v23
.LBB283_968:                            ;   in Loop: Header=BB283_15 Depth=1
	s_or_b32 exec_lo, exec_lo, s22
	v_mov_b32_e32 v66, v87
.LBB283_969:                            ;   in Loop: Header=BB283_15 Depth=1
	s_or_b32 exec_lo, exec_lo, s21
.LBB283_970:                            ;   in Loop: Header=BB283_15 Depth=1
	s_or_b32 exec_lo, exec_lo, s20
	v_cmp_lt_u64_e64 s5, s[12:13], v[27:28]
	v_mov_b32_e32 v84, 0
	v_mov_b32_e32 v27, 0
	s_and_saveexec_b32 s20, s5
	s_cbranch_execz .LBB283_978
; %bb.971:                              ;   in Loop: Header=BB283_15 Depth=1
	v_lshrrev_b32_e32 v3, 24, v28
	v_bfrev_b32_e32 v27, 1
	s_mov_b32 s21, exec_lo
	v_cmpx_ne_u32_e32 0x80, v3
	s_cbranch_execz .LBB283_977
; %bb.972:                              ;   in Loop: Header=BB283_15 Depth=1
	v_and_b32_e32 v28, 0x7f, v3
	v_mov_b32_e32 v27, 0x7c010000
	s_mov_b32 s22, exec_lo
	v_cmpx_ne_u32_e32 0x7f, v28
	s_cbranch_execz .LBB283_976
; %bb.973:                              ;   in Loop: Header=BB283_15 Depth=1
	v_and_b32_e32 v23, 7, v3
	v_lshrrev_b32_e32 v27, 3, v28
	s_mov_b32 s23, exec_lo
	v_cmpx_gt_u32_e32 8, v28
; %bb.974:                              ;   in Loop: Header=BB283_15 Depth=1
	v_ffbh_u32_e32 v23, v23
	v_min_u32_e32 v23, 32, v23
	v_subrev_nc_u32_e32 v27, 28, v23
	v_lshlrev_b64 v[100:101], v27, v[3:4]
	v_sub_nc_u32_e32 v27, 29, v23
	v_and_b32_e32 v23, 7, v100
; %bb.975:                              ;   in Loop: Header=BB283_15 Depth=1
	s_or_b32 exec_lo, exec_lo, s23
	v_lshlrev_b32_e32 v3, 8, v3
	v_lshl_add_u32 v27, v27, 10, 0x2000
	v_lshlrev_b32_e32 v23, 23, v23
	v_and_or_b32 v3, 0x8000, v3, v27
	v_lshl_or_b32 v27, v3, 16, v23
.LBB283_976:                            ;   in Loop: Header=BB283_15 Depth=1
	s_or_b32 exec_lo, exec_lo, s22
.LBB283_977:                            ;   in Loop: Header=BB283_15 Depth=1
	s_or_b32 exec_lo, exec_lo, s21
.LBB283_978:                            ;   in Loop: Header=BB283_15 Depth=1
	s_or_b32 exec_lo, exec_lo, s20
	flat_load_dwordx2 v[24:25], v[24:25] offset:1544
	s_waitcnt vmcnt(0) lgkmcnt(0)
	v_cmp_ne_u16_sdwa s5, v24, v4 src0_sel:BYTE_0 src1_sel:DWORD
	s_and_saveexec_b32 s20, s5
	s_cbranch_execz .LBB283_986
; %bb.979:                              ;   in Loop: Header=BB283_15 Depth=1
	v_cmp_ne_u16_sdwa s5, v24, v91 src0_sel:BYTE_0 src1_sel:DWORD
	v_mov_b32_e32 v84, 0x8000
	s_and_saveexec_b32 s21, s5
	s_cbranch_execz .LBB283_985
; %bb.980:                              ;   in Loop: Header=BB283_15 Depth=1
	v_and_b32_e32 v28, 0x7f, v24
	v_mov_b32_e32 v84, 0x7c01
	s_mov_b32 s22, exec_lo
	v_cmpx_ne_u32_e32 0x7f, v28
	s_cbranch_execz .LBB283_984
; %bb.981:                              ;   in Loop: Header=BB283_15 Depth=1
	v_and_b32_e32 v3, 7, v24
	v_lshrrev_b32_e32 v23, 3, v28
	s_mov_b32 s23, exec_lo
	v_cmpx_gt_u32_e32 8, v28
; %bb.982:                              ;   in Loop: Header=BB283_15 Depth=1
	v_ffbh_u32_e32 v3, v3
	v_min_u32_e32 v3, 32, v3
	v_subrev_nc_u32_e32 v23, 28, v3
	v_lshlrev_b64 v[84:85], v23, v[24:25]
	v_sub_nc_u32_e32 v23, 29, v3
	v_and_b32_e32 v3, 7, v84
; %bb.983:                              ;   in Loop: Header=BB283_15 Depth=1
	s_or_b32 exec_lo, exec_lo, s23
	v_lshlrev_b32_e32 v28, 8, v24
	v_lshl_add_u32 v23, v23, 10, 0x2000
	v_lshlrev_b32_e32 v3, 7, v3
	v_and_b32_e32 v28, 0x8000, v28
	v_and_b32_e32 v23, 0xfc00, v23
	v_or3_b32 v84, v28, v23, v3
.LBB283_984:                            ;   in Loop: Header=BB283_15 Depth=1
	s_or_b32 exec_lo, exec_lo, s22
.LBB283_985:                            ;   in Loop: Header=BB283_15 Depth=1
	s_or_b32 exec_lo, exec_lo, s21
.LBB283_986:                            ;   in Loop: Header=BB283_15 Depth=1
	s_or_b32 exec_lo, exec_lo, s20
	v_lshrrev_b16 v3, 8, v24
	v_mov_b32_e32 v87, 0
	v_mov_b32_e32 v85, 0
	s_mov_b32 s20, exec_lo
	v_cmpx_ne_u16_e32 0, v3
	s_cbranch_execz .LBB283_994
; %bb.987:                              ;   in Loop: Header=BB283_15 Depth=1
	v_bfrev_b32_e32 v85, 1
	s_mov_b32 s21, exec_lo
	v_cmpx_ne_u16_e32 0x80, v3
	s_cbranch_execz .LBB283_993
; %bb.988:                              ;   in Loop: Header=BB283_15 Depth=1
	v_mov_b32_e32 v23, 0x7f
	v_mov_b32_e32 v85, 0x7c010000
	s_mov_b32 s22, exec_lo
	v_and_b32_sdwa v53, v3, v23 dst_sel:DWORD dst_unused:UNUSED_PAD src0_sel:WORD_0 src1_sel:DWORD
	v_cmpx_ne_u32_e32 0x7f, v53
	s_cbranch_execz .LBB283_992
; %bb.989:                              ;   in Loop: Header=BB283_15 Depth=1
	v_mov_b32_e32 v23, 7
	v_lshrrev_b32_e32 v28, 3, v53
	s_mov_b32 s23, exec_lo
	v_and_b32_sdwa v23, v3, v23 dst_sel:DWORD dst_unused:UNUSED_PAD src0_sel:WORD_0 src1_sel:DWORD
	v_cmpx_gt_u32_e32 8, v53
; %bb.990:                              ;   in Loop: Header=BB283_15 Depth=1
	v_ffbh_u32_e32 v23, v23
	v_min_u32_e32 v23, 32, v23
	v_subrev_nc_u32_e32 v28, 28, v23
	v_lshlrev_b64 v[100:101], v28, v[3:4]
	v_sub_nc_u32_e32 v28, 29, v23
	v_and_b32_e32 v23, 7, v100
; %bb.991:                              ;   in Loop: Header=BB283_15 Depth=1
	s_or_b32 exec_lo, exec_lo, s23
	v_mov_b32_e32 v53, 8
	v_lshl_add_u32 v28, v28, 10, 0x2000
	v_lshlrev_b32_e32 v23, 23, v23
	v_lshlrev_b32_sdwa v3, v53, v3 dst_sel:DWORD dst_unused:UNUSED_PAD src0_sel:DWORD src1_sel:WORD_0
	v_and_or_b32 v3, 0x8000, v3, v28
	v_lshl_or_b32 v85, v3, 16, v23
.LBB283_992:                            ;   in Loop: Header=BB283_15 Depth=1
	s_or_b32 exec_lo, exec_lo, s22
.LBB283_993:                            ;   in Loop: Header=BB283_15 Depth=1
	s_or_b32 exec_lo, exec_lo, s21
.LBB283_994:                            ;   in Loop: Header=BB283_15 Depth=1
	s_or_b32 exec_lo, exec_lo, s20
	v_lshrrev_b32_e32 v3, 16, v24
	v_cmp_ne_u16_sdwa s5, v3, v4 src0_sel:BYTE_0 src1_sel:DWORD
	s_and_saveexec_b32 s20, s5
	s_cbranch_execz .LBB283_1002
; %bb.995:                              ;   in Loop: Header=BB283_15 Depth=1
	v_cmp_ne_u16_sdwa s5, v3, v91 src0_sel:BYTE_0 src1_sel:DWORD
	v_mov_b32_e32 v87, 0x8000
	s_and_saveexec_b32 s21, s5
	s_cbranch_execz .LBB283_1001
; %bb.996:                              ;   in Loop: Header=BB283_15 Depth=1
	v_bfe_u32 v53, v24, 16, 7
	v_mov_b32_e32 v87, 0x7c01
	s_mov_b32 s22, exec_lo
	v_cmpx_ne_u32_e32 0x7f, v53
	s_cbranch_execz .LBB283_1000
; %bb.997:                              ;   in Loop: Header=BB283_15 Depth=1
	v_and_b32_e32 v23, 7, v3
	v_lshrrev_b32_e32 v28, 3, v53
	s_mov_b32 s23, exec_lo
	v_cmpx_gt_u32_e32 8, v53
; %bb.998:                              ;   in Loop: Header=BB283_15 Depth=1
	v_ffbh_u32_e32 v23, v23
	v_min_u32_e32 v23, 32, v23
	v_subrev_nc_u32_e32 v28, 28, v23
	v_lshlrev_b64 v[100:101], v28, v[3:4]
	v_sub_nc_u32_e32 v28, 29, v23
	v_and_b32_e32 v23, 7, v100
; %bb.999:                              ;   in Loop: Header=BB283_15 Depth=1
	s_or_b32 exec_lo, exec_lo, s23
	v_lshlrev_b32_e32 v3, 8, v3
	v_lshl_add_u32 v28, v28, 10, 0x2000
	v_lshlrev_b32_e32 v23, 7, v23
	v_and_b32_e32 v3, 0x8000, v3
	v_and_b32_e32 v28, 0xfc00, v28
	v_or3_b32 v87, v3, v28, v23
.LBB283_1000:                           ;   in Loop: Header=BB283_15 Depth=1
	s_or_b32 exec_lo, exec_lo, s22
.LBB283_1001:                           ;   in Loop: Header=BB283_15 Depth=1
	s_or_b32 exec_lo, exec_lo, s21
.LBB283_1002:                           ;   in Loop: Header=BB283_15 Depth=1
	s_or_b32 exec_lo, exec_lo, s20
	v_mov_b32_e32 v98, 0
	v_mov_b32_e32 v100, 0
	s_mov_b32 s20, exec_lo
	v_cmpx_lt_u32_e32 0xffffff, v24
	s_cbranch_execz .LBB283_1010
; %bb.1003:                             ;   in Loop: Header=BB283_15 Depth=1
	v_lshrrev_b32_e32 v3, 24, v24
	v_bfrev_b32_e32 v100, 1
	s_mov_b32 s21, exec_lo
	v_cmpx_ne_u32_e32 0x80, v3
	s_cbranch_execz .LBB283_1009
; %bb.1004:                             ;   in Loop: Header=BB283_15 Depth=1
	v_and_b32_e32 v53, 0x7f, v3
	v_mov_b32_e32 v100, 0x7c010000
	s_mov_b32 s22, exec_lo
	v_cmpx_ne_u32_e32 0x7f, v53
	s_cbranch_execz .LBB283_1008
; %bb.1005:                             ;   in Loop: Header=BB283_15 Depth=1
	v_and_b32_e32 v23, 7, v3
	v_lshrrev_b32_e32 v28, 3, v53
	s_mov_b32 s23, exec_lo
	v_cmpx_gt_u32_e32 8, v53
; %bb.1006:                             ;   in Loop: Header=BB283_15 Depth=1
	v_ffbh_u32_e32 v23, v23
	v_min_u32_e32 v23, 32, v23
	v_subrev_nc_u32_e32 v28, 28, v23
	v_lshlrev_b64 v[100:101], v28, v[3:4]
	v_sub_nc_u32_e32 v28, 29, v23
	v_and_b32_e32 v23, 7, v100
; %bb.1007:                             ;   in Loop: Header=BB283_15 Depth=1
	s_or_b32 exec_lo, exec_lo, s23
	v_lshlrev_b32_e32 v3, 8, v3
	v_lshl_add_u32 v28, v28, 10, 0x2000
	v_lshlrev_b32_e32 v23, 23, v23
	v_and_or_b32 v3, 0x8000, v3, v28
	v_lshl_or_b32 v100, v3, 16, v23
.LBB283_1008:                           ;   in Loop: Header=BB283_15 Depth=1
	s_or_b32 exec_lo, exec_lo, s22
.LBB283_1009:                           ;   in Loop: Header=BB283_15 Depth=1
	s_or_b32 exec_lo, exec_lo, s21
.LBB283_1010:                           ;   in Loop: Header=BB283_15 Depth=1
	s_or_b32 exec_lo, exec_lo, s20
	v_mov_b32_e32 v3, v25
	v_cmp_ne_u16_sdwa s5, v25, v4 src0_sel:BYTE_0 src1_sel:DWORD
	s_and_saveexec_b32 s20, s5
	s_cbranch_execz .LBB283_1018
; %bb.1011:                             ;   in Loop: Header=BB283_15 Depth=1
	v_cmp_ne_u16_sdwa s5, v25, v91 src0_sel:BYTE_0 src1_sel:DWORD
	v_mov_b32_e32 v98, 0x8000
	s_and_saveexec_b32 s21, s5
	s_cbranch_execz .LBB283_1017
; %bb.1012:                             ;   in Loop: Header=BB283_15 Depth=1
	v_and_b32_e32 v53, 0x7f, v25
	v_mov_b32_e32 v98, 0x7c01
	s_mov_b32 s22, exec_lo
	v_cmpx_ne_u32_e32 0x7f, v53
	s_cbranch_execz .LBB283_1016
; %bb.1013:                             ;   in Loop: Header=BB283_15 Depth=1
	v_and_b32_e32 v23, 7, v25
	v_lshrrev_b32_e32 v28, 3, v53
	s_mov_b32 s23, exec_lo
	v_cmpx_gt_u32_e32 8, v53
	s_cbranch_execz .LBB283_1015
; %bb.1014:                             ;   in Loop: Header=BB283_15 Depth=1
	v_ffbh_u32_e32 v23, v23
	v_mov_b32_e32 v53, v40
	v_mov_b32_e32 v98, v41
	v_min_u32_e32 v23, 32, v23
	v_subrev_nc_u32_e32 v28, 28, v23
	v_lshlrev_b64 v[40:41], v28, v[3:4]
	v_mov_b32_e32 v41, v98
	v_sub_nc_u32_e32 v28, 29, v23
	v_and_b32_e32 v23, 7, v40
	v_mov_b32_e32 v40, v53
.LBB283_1015:                           ;   in Loop: Header=BB283_15 Depth=1
	s_or_b32 exec_lo, exec_lo, s23
	v_lshlrev_b32_e32 v53, 8, v25
	v_lshl_add_u32 v28, v28, 10, 0x2000
	v_lshlrev_b32_e32 v23, 7, v23
	v_and_b32_e32 v53, 0x8000, v53
	v_and_b32_e32 v28, 0xfc00, v28
	v_or3_b32 v98, v53, v28, v23
.LBB283_1016:                           ;   in Loop: Header=BB283_15 Depth=1
	s_or_b32 exec_lo, exec_lo, s22
.LBB283_1017:                           ;   in Loop: Header=BB283_15 Depth=1
	s_or_b32 exec_lo, exec_lo, s21
.LBB283_1018:                           ;   in Loop: Header=BB283_15 Depth=1
	s_or_b32 exec_lo, exec_lo, s20
	v_lshrrev_b16 v3, 8, v3
	v_mov_b32_e32 v101, 0
	v_mov_b32_e32 v117, 0
	s_mov_b32 s20, exec_lo
	v_cmpx_ne_u16_e32 0, v3
	s_cbranch_execz .LBB283_1026
; %bb.1019:                             ;   in Loop: Header=BB283_15 Depth=1
	v_bfrev_b32_e32 v117, 1
	s_mov_b32 s21, exec_lo
	v_cmpx_ne_u16_e32 0x80, v3
	s_cbranch_execz .LBB283_1025
; %bb.1020:                             ;   in Loop: Header=BB283_15 Depth=1
	v_mov_b32_e32 v23, 0x7f
	v_mov_b32_e32 v117, 0x7c010000
	s_mov_b32 s22, exec_lo
	v_and_b32_sdwa v53, v3, v23 dst_sel:DWORD dst_unused:UNUSED_PAD src0_sel:WORD_0 src1_sel:DWORD
	v_cmpx_ne_u32_e32 0x7f, v53
	s_cbranch_execz .LBB283_1024
; %bb.1021:                             ;   in Loop: Header=BB283_15 Depth=1
	v_mov_b32_e32 v23, 7
	v_lshrrev_b32_e32 v28, 3, v53
	s_mov_b32 s23, exec_lo
	v_and_b32_sdwa v23, v3, v23 dst_sel:DWORD dst_unused:UNUSED_PAD src0_sel:WORD_0 src1_sel:DWORD
	v_cmpx_gt_u32_e32 8, v53
	s_cbranch_execz .LBB283_1023
; %bb.1022:                             ;   in Loop: Header=BB283_15 Depth=1
	v_ffbh_u32_e32 v23, v23
	v_mov_b32_e32 v53, v40
	v_mov_b32_e32 v117, v41
	v_min_u32_e32 v23, 32, v23
	v_subrev_nc_u32_e32 v28, 28, v23
	v_lshlrev_b64 v[40:41], v28, v[3:4]
	v_mov_b32_e32 v41, v117
	v_sub_nc_u32_e32 v28, 29, v23
	v_and_b32_e32 v23, 7, v40
	v_mov_b32_e32 v40, v53
.LBB283_1023:                           ;   in Loop: Header=BB283_15 Depth=1
	s_or_b32 exec_lo, exec_lo, s23
	v_mov_b32_e32 v53, 8
	v_lshl_add_u32 v28, v28, 10, 0x2000
	v_lshlrev_b32_e32 v23, 23, v23
	v_lshlrev_b32_sdwa v3, v53, v3 dst_sel:DWORD dst_unused:UNUSED_PAD src0_sel:DWORD src1_sel:WORD_0
	v_and_or_b32 v3, 0x8000, v3, v28
	v_lshl_or_b32 v117, v3, 16, v23
.LBB283_1024:                           ;   in Loop: Header=BB283_15 Depth=1
	s_or_b32 exec_lo, exec_lo, s22
.LBB283_1025:                           ;   in Loop: Header=BB283_15 Depth=1
	s_or_b32 exec_lo, exec_lo, s21
.LBB283_1026:                           ;   in Loop: Header=BB283_15 Depth=1
	s_or_b32 exec_lo, exec_lo, s20
	v_lshrrev_b32_e32 v3, 16, v25
	v_cmp_ne_u16_sdwa s5, v3, v4 src0_sel:BYTE_0 src1_sel:DWORD
	s_and_saveexec_b32 s20, s5
	s_cbranch_execz .LBB283_1034
; %bb.1027:                             ;   in Loop: Header=BB283_15 Depth=1
	v_cmp_ne_u16_sdwa s5, v3, v91 src0_sel:BYTE_0 src1_sel:DWORD
	v_mov_b32_e32 v101, 0x8000
	s_and_saveexec_b32 s21, s5
	s_cbranch_execz .LBB283_1033
; %bb.1028:                             ;   in Loop: Header=BB283_15 Depth=1
	v_bfe_u32 v53, v25, 16, 7
	v_mov_b32_e32 v101, 0x7c01
	s_mov_b32 s22, exec_lo
	v_cmpx_ne_u32_e32 0x7f, v53
	s_cbranch_execz .LBB283_1032
; %bb.1029:                             ;   in Loop: Header=BB283_15 Depth=1
	v_and_b32_e32 v23, 7, v3
	v_lshrrev_b32_e32 v28, 3, v53
	s_mov_b32 s23, exec_lo
	v_cmpx_gt_u32_e32 8, v53
	s_cbranch_execz .LBB283_1031
; %bb.1030:                             ;   in Loop: Header=BB283_15 Depth=1
	v_ffbh_u32_e32 v23, v23
	v_mov_b32_e32 v53, v40
	v_mov_b32_e32 v101, v41
	v_min_u32_e32 v23, 32, v23
	v_subrev_nc_u32_e32 v28, 28, v23
	v_lshlrev_b64 v[40:41], v28, v[3:4]
	v_mov_b32_e32 v41, v101
	v_sub_nc_u32_e32 v28, 29, v23
	v_and_b32_e32 v23, 7, v40
	v_mov_b32_e32 v40, v53
.LBB283_1031:                           ;   in Loop: Header=BB283_15 Depth=1
	s_or_b32 exec_lo, exec_lo, s23
	v_lshlrev_b32_e32 v3, 8, v3
	v_lshl_add_u32 v28, v28, 10, 0x2000
	v_lshlrev_b32_e32 v23, 7, v23
	v_and_b32_e32 v3, 0x8000, v3
	v_and_b32_e32 v28, 0xfc00, v28
	v_or3_b32 v101, v3, v28, v23
.LBB283_1032:                           ;   in Loop: Header=BB283_15 Depth=1
	s_or_b32 exec_lo, exec_lo, s22
.LBB283_1033:                           ;   in Loop: Header=BB283_15 Depth=1
	s_or_b32 exec_lo, exec_lo, s21
.LBB283_1034:                           ;   in Loop: Header=BB283_15 Depth=1
	s_or_b32 exec_lo, exec_lo, s20
	v_mov_b32_e32 v53, v40
	v_mov_b32_e32 v23, 0
	s_mov_b32 s20, exec_lo
	v_cmpx_lt_u64_e64 s[12:13], v[24:25]
	s_cbranch_execz .LBB283_13
; %bb.1035:                             ;   in Loop: Header=BB283_15 Depth=1
	v_lshrrev_b32_e32 v3, 24, v25
	v_bfrev_b32_e32 v23, 1
	s_mov_b32 s21, exec_lo
	v_cmpx_ne_u32_e32 0x80, v3
	s_cbranch_execz .LBB283_12
; %bb.1036:                             ;   in Loop: Header=BB283_15 Depth=1
	v_and_b32_e32 v25, 0x7f, v3
	v_mov_b32_e32 v23, 0x7c010000
	s_mov_b32 s22, exec_lo
	v_cmpx_ne_u32_e32 0x7f, v25
	s_cbranch_execz .LBB283_11
; %bb.1037:                             ;   in Loop: Header=BB283_15 Depth=1
	v_and_b32_e32 v23, 7, v3
	v_lshrrev_b32_e32 v24, 3, v25
	s_mov_b32 s23, exec_lo
	v_cmpx_gt_u32_e32 8, v25
	s_cbranch_execz .LBB283_10
; %bb.1038:                             ;   in Loop: Header=BB283_15 Depth=1
	v_ffbh_u32_e32 v23, v23
	v_min_u32_e32 v25, 32, v23
	v_subrev_nc_u32_e32 v23, 28, v25
	v_lshlrev_b64 v[23:24], v23, v[3:4]
	v_sub_nc_u32_e32 v24, 29, v25
	v_and_b32_e32 v23, 7, v23
	s_branch .LBB283_10
.LBB283_1039:
	s_or_b32 exec_lo, exec_lo, s19
	s_clause 0x11
	buffer_load_dword v59, off, s[0:3], s32 offset:440
	buffer_load_dword v60, off, s[0:3], s32 offset:444
	;; [unrolled: 1-line block ×18, first 2 shown]
.LBB283_1040:
	s_or_b32 exec_lo, exec_lo, s17
	v_mbcnt_lo_u32_b32 v0, -1, 0
	v_max_f32_e32 v4, v14, v14
	s_waitcnt lgkmcnt(0)
	s_lshr_b32 s12, s7, 16
	v_xor_b32_e32 v1, 16, v0
	v_xor_b32_e32 v3, 8, v0
	v_cmp_gt_i32_e32 vcc_lo, 32, v1
	v_cndmask_b32_e32 v1, v0, v1, vcc_lo
	v_cmp_gt_i32_e32 vcc_lo, 32, v3
	v_lshlrev_b32_e32 v1, 2, v1
	v_cndmask_b32_e32 v3, v0, v3, vcc_lo
	ds_bpermute_b32 v2, v1, v14
	s_waitcnt lgkmcnt(0)
	v_max_f32_e32 v5, v2, v2
	v_lshlrev_b32_e32 v2, 2, v3
	v_max_f32_e32 v4, v4, v5
	v_xor_b32_e32 v5, 4, v0
	ds_bpermute_b32 v3, v2, v4
	v_cmp_gt_i32_e32 vcc_lo, 32, v5
	v_cndmask_b32_e32 v5, v0, v5, vcc_lo
	s_waitcnt lgkmcnt(0)
	v_max_f32_e32 v6, v3, v3
	v_lshlrev_b32_e32 v3, 2, v5
	v_max_f32_e32 v4, v4, v6
	v_xor_b32_e32 v6, 2, v0
	ds_bpermute_b32 v5, v3, v4
	v_cmp_gt_i32_e32 vcc_lo, 32, v6
	v_cndmask_b32_e32 v6, v0, v6, vcc_lo
	v_lshlrev_b32_e32 v15, 2, v6
	v_xor_b32_e32 v6, 1, v0
	v_cmp_gt_i32_e32 vcc_lo, 32, v6
	s_waitcnt lgkmcnt(0)
	v_max_f32_e32 v5, v5, v5
	v_cndmask_b32_e32 v6, v0, v6, vcc_lo
	v_max_f32_e32 v4, v4, v5
	v_lshlrev_b32_e32 v14, 2, v6
	ds_bpermute_b32 v5, v15, v4
	s_waitcnt lgkmcnt(0)
	v_max_f32_e32 v5, v5, v5
	v_max_f32_e32 v0, v4, v5
	buffer_load_dword v4, off, s[0:3], s32 offset:392 ; 4-byte Folded Reload
	ds_bpermute_b32 v5, v14, v0
	s_waitcnt vmcnt(0)
	v_cmp_eq_u32_e32 vcc_lo, 0, v4
	v_lshlrev_b32_e32 v4, 2, v88
	s_and_saveexec_b32 s5, vcc_lo
	s_cbranch_execz .LBB283_1042
; %bb.1041:
	s_waitcnt lgkmcnt(0)
	v_max_f32_e32 v5, v5, v5
	v_max_f32_e32 v0, v0, v0
	;; [unrolled: 1-line block ×3, first 2 shown]
	ds_write_b32 v4, v0 offset:256
.LBB283_1042:
	s_or_b32 exec_lo, exec_lo, s5
	buffer_load_dword v0, off, s[0:3], s32 offset:392 ; 4-byte Folded Reload
	s_waitcnt vmcnt(0) lgkmcnt(0)
	s_waitcnt_vscnt null, 0x0
	s_barrier
	buffer_gl0_inv
	v_cmp_gt_u32_e64 s5, 4, v0
	v_mov_b32_e32 v0, 0xff7fffff
	s_and_saveexec_b32 s6, s5
; %bb.1043:
	ds_read_b32 v0, v16 offset:256
; %bb.1044:
	s_or_b32 exec_lo, exec_lo, s6
	s_waitcnt lgkmcnt(0)
	ds_bpermute_b32 v5, v15, v0
	v_max_f32_e32 v0, v0, v0
	s_waitcnt lgkmcnt(0)
	v_max_f32_e32 v5, v5, v5
	v_max_f32_e32 v0, v0, v5
	ds_bpermute_b32 v5, v14, v0
	s_waitcnt lgkmcnt(0)
	v_max_f32_e32 v5, v5, v5
	v_max_f32_e32 v0, v0, v5
	v_mov_b32_e32 v5, 0
	ds_bpermute_b32 v6, v5, v0
	v_lshlrev_b32_e32 v0, 5, v75
	v_min_i32_e32 v0, v0, v30
	v_cmp_lt_i32_e64 s6, v61, v0
	s_and_saveexec_b32 s13, s6
	s_cbranch_execz .LBB283_1048
; %bb.1045:
	s_load_dword s7, s[8:9], 0x0
	v_mov_b32_e32 v5, 0
	v_mov_b32_e32 v8, v61
	s_mov_b32 s17, 0
	s_waitcnt lgkmcnt(0)
	v_lshl_add_u32 v7, v61, 2, s7
	.p2align	6
.LBB283_1046:                           ; =>This Inner Loop Header: Depth=1
	ds_read_b32 v9, v7
	v_add_nc_u32_e32 v8, 0x80, v8
	v_cmp_ge_i32_e64 s7, v8, v0
	s_or_b32 s17, s7, s17
	s_waitcnt lgkmcnt(0)
	v_sub_f32_e32 v9, v9, v6
	v_mul_f32_e32 v9, 0x3fb8aa3b, v9
	v_exp_f32_e32 v9, v9
	ds_write_b32 v7, v9
	v_add_f32_e32 v5, v5, v9
	v_add_nc_u32_e32 v7, 0x200, v7
	s_andn2_b32 exec_lo, exec_lo, s17
	s_cbranch_execnz .LBB283_1046
; %bb.1047:
	s_or_b32 exec_lo, exec_lo, s17
.LBB283_1048:
	s_or_b32 exec_lo, exec_lo, s13
	ds_bpermute_b32 v1, v1, v5
	s_waitcnt lgkmcnt(0)
	v_add_f32_e32 v1, v5, v1
	ds_bpermute_b32 v2, v2, v1
	s_waitcnt lgkmcnt(0)
	v_add_f32_e32 v1, v1, v2
	;; [unrolled: 3-line block ×5, first 2 shown]
	s_and_saveexec_b32 s7, vcc_lo
; %bb.1049:
	ds_write_b32 v4, v1 offset:272
; %bb.1050:
	s_or_b32 exec_lo, exec_lo, s7
	s_waitcnt lgkmcnt(0)
	s_barrier
	buffer_gl0_inv
	s_and_saveexec_b32 s7, s5
; %bb.1051:
	ds_read_b32 v1, v16 offset:272
; %bb.1052:
	s_or_b32 exec_lo, exec_lo, s7
	s_waitcnt lgkmcnt(0)
	ds_bpermute_b32 v2, v15, v1
	s_waitcnt lgkmcnt(0)
	v_add_f32_e32 v1, v1, v2
	ds_bpermute_b32 v2, v14, v1
	s_waitcnt lgkmcnt(0)
	v_add_f32_e32 v1, v1, v2
	v_mov_b32_e32 v2, 0
	ds_bpermute_b32 v1, v2, v1
	s_and_saveexec_b32 s5, s6
	s_cbranch_execz .LBB283_1055
; %bb.1053:
	s_waitcnt lgkmcnt(0)
	v_add_f32_e32 v2, 0x358637bd, v1
	s_load_dword s6, s[8:9], 0x0
	v_div_scale_f32 v1, null, v2, v2, 1.0
	v_div_scale_f32 v5, vcc_lo, 1.0, v2, 1.0
	v_rcp_f32_e32 v3, v1
	v_fma_f32 v4, -v1, v3, 1.0
	v_fmac_f32_e32 v3, v4, v3
	v_mul_f32_e32 v4, v5, v3
	v_fma_f32 v6, -v1, v4, v5
	v_fmac_f32_e32 v4, v6, v3
	v_fma_f32 v1, -v1, v4, v5
	v_div_fmas_f32 v3, v1, v3, v4
	s_waitcnt lgkmcnt(0)
	v_lshl_add_u32 v1, v61, 2, s6
	s_mov_b32 s6, 0
	v_div_fixup_f32 v2, v3, v2, 1.0
	v_mov_b32_e32 v3, v61
.LBB283_1054:                           ; =>This Inner Loop Header: Depth=1
	ds_read_b32 v4, v1
	v_add_nc_u32_e32 v3, 0x80, v3
	v_cmp_ge_i32_e32 vcc_lo, v3, v0
	s_or_b32 s6, vcc_lo, s6
	s_waitcnt lgkmcnt(0)
	v_mul_f32_e32 v4, v2, v4
	ds_write_b32 v1, v4
	v_add_nc_u32_e32 v1, 0x200, v1
	s_andn2_b32 exec_lo, exec_lo, s6
	s_cbranch_execnz .LBB283_1054
.LBB283_1055:
	s_or_b32 exec_lo, exec_lo, s5
	v_mov_b32_e32 v64, 0
	v_and_b32_e32 v16, 3, v61
	v_mov_b32_e32 v65, 0
	v_mov_b32_e32 v55, 0
	;; [unrolled: 1-line block ×15, first 2 shown]
	s_waitcnt lgkmcnt(0)
	s_barrier
	buffer_gl0_inv
	s_and_saveexec_b32 s5, s4
	s_cbranch_execz .LBB283_2117
; %bb.1056:
	s_clause 0x1
	buffer_load_dword v8, off, s[0:3], s32 offset:432
	buffer_load_dword v9, off, s[0:3], s32 offset:436
	v_lshlrev_b32_e32 v0, 3, v61
	v_and_b32_e32 v6, 0x7c, v10
	v_add_co_u32 v2, vcc_lo, v22, v11
	v_lshlrev_b32_e32 v5, 5, v16
	v_and_b32_e32 v68, 24, v0
	v_and_b32_e32 v0, 0xf8, v0
	v_add_co_ci_u32_e64 v3, null, v18, v13, vcc_lo
	v_lshl_or_b32 v69, v88, 7, v5
	v_max_i32_e32 v26, v26, v12
	v_add_nc_u32_e32 v38, -1, v75
	v_mov_b32_e32 v4, 0
	v_mov_b32_e32 v39, 0x80
	;; [unrolled: 1-line block ×3, first 2 shown]
	v_cvt_f32_u32_e32 v1, v26
	v_sub_nc_u32_e32 v7, 0, v26
	v_mov_b32_e32 v19, 7
	v_mov_b32_e32 v67, 8
	;; [unrolled: 1-line block ×3, first 2 shown]
	v_rcp_iflag_f32_e32 v1, v1
	v_mov_b32_e32 v20, 0
	v_mov_b32_e32 v21, 0
	;; [unrolled: 1-line block ×9, first 2 shown]
	v_mul_f32_e32 v1, 0x4f7ffffe, v1
	v_mov_b32_e32 v52, 0
	v_mov_b32_e32 v53, 0
	;; [unrolled: 1-line block ×4, first 2 shown]
	v_cvt_u32_f32_e32 v1, v1
	v_mov_b32_e32 v65, 0
	v_mov_b32_e32 v64, 0
	v_mov_b32_e32 v70, v88
	s_mov_b32 s6, -1
	v_mul_lo_u32 v7, v7, v1
	s_mov_b32 s7, 0xffffff
	s_mov_b32 s13, 0
	v_mul_hi_u32 v10, v1, v7
	v_add_nc_u32_e32 v13, v1, v10
	s_waitcnt vmcnt(1)
	v_add_co_u32 v8, vcc_lo, v6, v8
	s_waitcnt vmcnt(0)
	v_add_co_ci_u32_e64 v9, null, 0, v9, vcc_lo
	v_add_co_u32 v5, vcc_lo, v2, v0
	buffer_load_dword v0, off, s[0:3], s32 offset:428 ; 4-byte Folded Reload
	v_add_co_ci_u32_e64 v6, null, 0, v3, vcc_lo
	s_waitcnt vmcnt(0)
	v_add_co_u32 v7, vcc_lo, v0, v8
	buffer_load_dword v0, off, s[0:3], s32 offset:424 ; 4-byte Folded Reload
	s_waitcnt vmcnt(0)
	v_add_co_ci_u32_e64 v8, null, v0, v9, vcc_lo
	s_branch .LBB283_1059
.LBB283_1057:                           ;   in Loop: Header=BB283_1059 Depth=1
	s_or_b32 exec_lo, exec_lo, s4
	v_add_f32_e32 v2, v2, v18
	v_add_f32_e32 v0, v0, v1
	;; [unrolled: 1-line block ×8, first 2 shown]
	;;#ASMSTART
	v_pk_mul_f16 v1, v85, v22;

	;;#ASMEND
	v_add_f32_e32 v23, v35, v36
	v_add_f32_e32 v32, v32, v34
	;; [unrolled: 1-line block ×3, first 2 shown]
	;;#ASMSTART
	v_pk_mul_f16 v2, v84, v10;

	;;#ASMEND
	;;#ASMSTART
	v_pk_mul_f16 v9, v83, v9;

	;;#ASMEND
	;; [unrolled: 4-line block ×3, first 2 shown]
	;;#ASMSTART
	v_pk_add_f16 v1, v1, v2;

	;;#ASMEND
	;;#ASMSTART
	v_pk_add_f16 v1, v1, v9;

	;;#ASMEND
	;; [unrolled: 4-line block ×3, first 2 shown]
	v_and_b32_e32 v9, 0xffff, v1
	v_lshrrev_b32_e32 v10, 16, v1
	;;#ASMSTART
	v_cvt_f32_f16 v9, v9;
	;;#ASMEND
	v_add_f32_e32 v29, v29, v31
	v_add_f32_e32 v20, v20, v11
	;; [unrolled: 1-line block ×10, first 2 shown]
	;;#ASMSTART
	v_cvt_f32_f16 v10, v10;
	;;#ASMEND
	v_add_f32_e32 v9, v9, v10
	v_add_f32_e32 v24, v24, v23
	;; [unrolled: 1-line block ×11, first 2 shown]
.LBB283_1058:                           ;   in Loop: Header=BB283_1059 Depth=1
	s_or_b32 exec_lo, exec_lo, s17
	v_add_nc_u32_e32 v70, 4, v70
	v_add_co_u32 v7, s4, v7, 16
	v_add_nc_u32_e32 v74, 0x80, v74
	v_add_nc_u32_e32 v69, 0x200, v69
	v_cmp_ge_i32_e32 vcc_lo, v70, v75
	v_add_co_ci_u32_e64 v8, null, 0, v8, s4
	s_or_b32 s13, vcc_lo, s13
	s_andn2_b32 exec_lo, exec_lo, s13
	s_cbranch_execz .LBB283_2116
.LBB283_1059:                           ; =>This Inner Loop Header: Depth=1
	buffer_load_dword v0, off, s[0:3], s32 offset:200 ; 4-byte Folded Reload
	s_waitcnt vmcnt(0)
	v_mul_hi_u32 v0, v74, v0
	v_mul_lo_u32 v1, v0, v72
	v_add_nc_u32_e32 v2, 1, v0
	v_sub_nc_u32_e32 v1, v74, v1
	v_sub_nc_u32_e32 v3, v1, v72
	v_cmp_ge_u32_e32 vcc_lo, v1, v72
	v_cndmask_b32_e32 v0, v0, v2, vcc_lo
	v_cndmask_b32_e32 v1, v1, v3, vcc_lo
	v_add_nc_u32_e32 v2, 1, v0
	v_cmp_ge_u32_e32 vcc_lo, v1, v72
	v_cndmask_b32_e32 v0, v0, v2, vcc_lo
	s_clause 0x1
	buffer_load_dword v1, off, s[0:3], s32 offset:192
	buffer_load_dword v2, off, s[0:3], s32 offset:196
	v_xor_b32_e32 v0, v0, v73
	v_sub_nc_u32_e32 v0, v0, v73
	s_waitcnt vmcnt(1)
	v_add_nc_u32_e32 v1, v0, v1
	s_waitcnt vmcnt(0)
	v_sub_nc_u32_e32 v2, 0, v1
	v_max_i32_e32 v2, v1, v2
	v_ashrrev_i32_e32 v1, 31, v1
	v_mul_hi_u32 v3, v2, v13
	v_mul_lo_u32 v3, v3, v26
	v_sub_nc_u32_e32 v2, v2, v3
	v_sub_nc_u32_e32 v3, v2, v26
	v_cmp_ge_u32_e32 vcc_lo, v2, v26
	v_cndmask_b32_e32 v2, v2, v3, vcc_lo
	v_sub_nc_u32_e32 v3, v2, v26
	v_cmp_ge_u32_e32 vcc_lo, v2, v26
	v_cndmask_b32_e32 v2, v2, v3, vcc_lo
	v_xor_b32_e32 v2, v2, v1
	v_sub_nc_u32_e32 v1, v2, v1
	v_cmp_eq_u32_e32 vcc_lo, 0, v1
	buffer_load_dword v1, off, s[0:3], s32 offset:204 ; 4-byte Folded Reload
	s_waitcnt vmcnt(0)
	v_cmp_gt_i32_e64 s4, v0, v1
	s_or_b32 s4, vcc_lo, s4
	s_and_saveexec_b32 s17, s4
	s_cbranch_execz .LBB283_1058
; %bb.1060:                             ;   in Loop: Header=BB283_1059 Depth=1
	s_load_dword s4, s[8:9], 0x0
	flat_load_dword v9, v[7:8]
	v_mov_b32_e32 v36, 0
	s_waitcnt lgkmcnt(0)
	v_add_nc_u32_e32 v10, s4, v69
	ds_read2_b64 v[0:3], v10 offset1:1
	ds_read2_b64 v[32:35], v10 offset0:2 offset1:3
	s_waitcnt lgkmcnt(1)
	;;#ASMSTART
	v_cvt_f16_f32 v0, v0;

	;;#ASMEND
	buffer_load_dword v10, off, s[0:3], s32 offset:264 ; 4-byte Folded Reload
	;;#ASMSTART
	v_cvt_f16_f32 v1, v1;

	;;#ASMEND
	;;#ASMSTART
	v_cvt_f16_f32 v31, v2;

	;;#ASMEND
	;;#ASMSTART
	v_cvt_f16_f32 v2, v3;

	;;#ASMEND
	s_waitcnt lgkmcnt(0)
	;;#ASMSTART
	v_cvt_f16_f32 v32, v32;

	;;#ASMEND
	;;#ASMSTART
	v_cvt_f16_f32 v18, v33;

	;;#ASMEND
	;; [unrolled: 4-line block ×4, first 2 shown]
	v_mov_b32_e32 v35, 0
	s_waitcnt vmcnt(0)
	v_mad_i64_i32 v[9:10], null, v9, v10, v[5:6]
	flat_load_dwordx2 v[11:12], v[9:10]
	flat_load_dword v34, v[62:63]
	s_waitcnt vmcnt(1) lgkmcnt(1)
	v_cmp_ne_u16_sdwa s18, v11, v4 src0_sel:BYTE_0 src1_sel:DWORD
	s_and_saveexec_b32 s4, s18
	s_cbranch_execz .LBB283_1068
; %bb.1061:                             ;   in Loop: Header=BB283_1059 Depth=1
	v_cmp_ne_u16_sdwa s19, v11, v39 src0_sel:BYTE_0 src1_sel:DWORD
	v_mov_b32_e32 v36, 0x8000
	s_and_saveexec_b32 s18, s19
	s_cbranch_execz .LBB283_1067
; %bb.1062:                             ;   in Loop: Header=BB283_1059 Depth=1
	v_and_b32_e32 v23, 0x7f, v11
	v_mov_b32_e32 v36, 0x7c01
	s_mov_b32 s19, exec_lo
	v_cmpx_ne_u32_e32 0x7f, v23
	s_cbranch_execz .LBB283_1066
; %bb.1063:                             ;   in Loop: Header=BB283_1059 Depth=1
	v_and_b32_e32 v3, 7, v11
	v_lshrrev_b32_e32 v22, 3, v23
	s_mov_b32 s20, exec_lo
	v_cmpx_gt_u32_e32 8, v23
; %bb.1064:                             ;   in Loop: Header=BB283_1059 Depth=1
	v_ffbh_u32_e32 v3, v3
	v_min_u32_e32 v3, 32, v3
	v_subrev_nc_u32_e32 v22, 28, v3
	v_lshlrev_b64 v[36:37], v22, v[11:12]
	v_sub_nc_u32_e32 v22, 29, v3
	v_and_b32_e32 v3, 7, v36
; %bb.1065:                             ;   in Loop: Header=BB283_1059 Depth=1
	s_or_b32 exec_lo, exec_lo, s20
	v_lshlrev_b32_e32 v23, 8, v11
	v_lshl_add_u32 v22, v22, 10, 0x2000
	v_lshlrev_b32_e32 v3, 7, v3
	v_and_b32_e32 v23, 0x8000, v23
	v_and_b32_e32 v22, 0xfc00, v22
	v_or3_b32 v36, v23, v22, v3
.LBB283_1066:                           ;   in Loop: Header=BB283_1059 Depth=1
	s_or_b32 exec_lo, exec_lo, s19
.LBB283_1067:                           ;   in Loop: Header=BB283_1059 Depth=1
	s_or_b32 exec_lo, exec_lo, s18
.LBB283_1068:                           ;   in Loop: Header=BB283_1059 Depth=1
	s_or_b32 exec_lo, exec_lo, s4
	v_lshrrev_b16 v3, 8, v11
	s_mov_b32 s4, exec_lo
	v_cmpx_ne_u16_e32 0, v3
	s_cbranch_execz .LBB283_1076
; %bb.1069:                             ;   in Loop: Header=BB283_1059 Depth=1
	v_bfrev_b32_e32 v35, 1
	s_mov_b32 s18, exec_lo
	v_cmpx_ne_u16_e32 0x80, v3
	s_cbranch_execz .LBB283_1075
; %bb.1070:                             ;   in Loop: Header=BB283_1059 Depth=1
	v_and_b32_sdwa v37, v3, v48 dst_sel:DWORD dst_unused:UNUSED_PAD src0_sel:WORD_0 src1_sel:DWORD
	v_mov_b32_e32 v35, 0x7c010000
	s_mov_b32 s19, exec_lo
	v_cmpx_ne_u32_e32 0x7f, v37
	s_cbranch_execz .LBB283_1074
; %bb.1071:                             ;   in Loop: Header=BB283_1059 Depth=1
	v_and_b32_sdwa v22, v3, v19 dst_sel:DWORD dst_unused:UNUSED_PAD src0_sel:WORD_0 src1_sel:DWORD
	v_lshrrev_b32_e32 v23, 3, v37
	s_mov_b32 s20, exec_lo
	v_cmpx_gt_u32_e32 8, v37
; %bb.1072:                             ;   in Loop: Header=BB283_1059 Depth=1
	v_ffbh_u32_e32 v22, v22
	v_min_u32_e32 v35, 32, v22
	v_subrev_nc_u32_e32 v22, 28, v35
	v_lshlrev_b64 v[22:23], v22, v[3:4]
	v_sub_nc_u32_e32 v23, 29, v35
	v_and_b32_e32 v22, 7, v22
; %bb.1073:                             ;   in Loop: Header=BB283_1059 Depth=1
	s_or_b32 exec_lo, exec_lo, s20
	v_lshlrev_b32_sdwa v3, v67, v3 dst_sel:DWORD dst_unused:UNUSED_PAD src0_sel:DWORD src1_sel:WORD_0
	v_lshl_add_u32 v23, v23, 10, 0x2000
	v_lshlrev_b32_e32 v22, 23, v22
	v_and_or_b32 v3, 0x8000, v3, v23
	v_lshl_or_b32 v35, v3, 16, v22
.LBB283_1074:                           ;   in Loop: Header=BB283_1059 Depth=1
	s_or_b32 exec_lo, exec_lo, s19
.LBB283_1075:                           ;   in Loop: Header=BB283_1059 Depth=1
	s_or_b32 exec_lo, exec_lo, s18
.LBB283_1076:                           ;   in Loop: Header=BB283_1059 Depth=1
	s_or_b32 exec_lo, exec_lo, s4
	v_lshrrev_b32_e32 v3, 16, v11
	v_mov_b32_e32 v37, 0
	v_mov_b32_e32 v71, 0
	v_cmp_ne_u16_sdwa s18, v3, v4 src0_sel:BYTE_0 src1_sel:DWORD
	s_and_saveexec_b32 s4, s18
	s_cbranch_execz .LBB283_1084
; %bb.1077:                             ;   in Loop: Header=BB283_1059 Depth=1
	v_cmp_ne_u16_sdwa s19, v3, v39 src0_sel:BYTE_0 src1_sel:DWORD
	v_mov_b32_e32 v71, 0x8000
	s_and_saveexec_b32 s18, s19
	s_cbranch_execz .LBB283_1083
; %bb.1078:                             ;   in Loop: Header=BB283_1059 Depth=1
	v_bfe_u32 v66, v11, 16, 7
	v_mov_b32_e32 v71, 0x7c01
	s_mov_b32 s19, exec_lo
	v_cmpx_ne_u32_e32 0x7f, v66
	s_cbranch_execz .LBB283_1082
; %bb.1079:                             ;   in Loop: Header=BB283_1059 Depth=1
	v_and_b32_e32 v22, 7, v3
	v_lshrrev_b32_e32 v23, 3, v66
	s_mov_b32 s20, exec_lo
	v_cmpx_gt_u32_e32 8, v66
; %bb.1080:                             ;   in Loop: Header=BB283_1059 Depth=1
	v_ffbh_u32_e32 v22, v22
	v_min_u32_e32 v66, 32, v22
	v_subrev_nc_u32_e32 v22, 28, v66
	v_lshlrev_b64 v[22:23], v22, v[3:4]
	v_sub_nc_u32_e32 v23, 29, v66
	v_and_b32_e32 v22, 7, v22
; %bb.1081:                             ;   in Loop: Header=BB283_1059 Depth=1
	s_or_b32 exec_lo, exec_lo, s20
	v_lshlrev_b32_e32 v3, 8, v3
	v_lshl_add_u32 v23, v23, 10, 0x2000
	v_lshlrev_b32_e32 v22, 7, v22
	v_and_b32_e32 v3, 0x8000, v3
	v_and_b32_e32 v23, 0xfc00, v23
	v_or3_b32 v71, v3, v23, v22
.LBB283_1082:                           ;   in Loop: Header=BB283_1059 Depth=1
	s_or_b32 exec_lo, exec_lo, s19
.LBB283_1083:                           ;   in Loop: Header=BB283_1059 Depth=1
	s_or_b32 exec_lo, exec_lo, s18
.LBB283_1084:                           ;   in Loop: Header=BB283_1059 Depth=1
	s_or_b32 exec_lo, exec_lo, s4
	s_mov_b32 s4, exec_lo
	v_cmpx_lt_u32_e32 0xffffff, v11
	s_cbranch_execz .LBB283_1092
; %bb.1085:                             ;   in Loop: Header=BB283_1059 Depth=1
	v_lshrrev_b32_e32 v3, 24, v11
	v_bfrev_b32_e32 v37, 1
	s_mov_b32 s18, exec_lo
	v_cmpx_ne_u32_e32 0x80, v3
	s_cbranch_execz .LBB283_1091
; %bb.1086:                             ;   in Loop: Header=BB283_1059 Depth=1
	v_and_b32_e32 v66, 0x7f, v3
	v_mov_b32_e32 v37, 0x7c010000
	s_mov_b32 s19, exec_lo
	v_cmpx_ne_u32_e32 0x7f, v66
	s_cbranch_execz .LBB283_1090
; %bb.1087:                             ;   in Loop: Header=BB283_1059 Depth=1
	v_and_b32_e32 v22, 7, v3
	v_lshrrev_b32_e32 v23, 3, v66
	s_mov_b32 s20, exec_lo
	v_cmpx_gt_u32_e32 8, v66
; %bb.1088:                             ;   in Loop: Header=BB283_1059 Depth=1
	v_ffbh_u32_e32 v22, v22
	v_min_u32_e32 v37, 32, v22
	v_subrev_nc_u32_e32 v22, 28, v37
	v_lshlrev_b64 v[22:23], v22, v[3:4]
	v_sub_nc_u32_e32 v23, 29, v37
	v_and_b32_e32 v22, 7, v22
; %bb.1089:                             ;   in Loop: Header=BB283_1059 Depth=1
	s_or_b32 exec_lo, exec_lo, s20
	v_lshlrev_b32_e32 v3, 8, v3
	v_lshl_add_u32 v23, v23, 10, 0x2000
	v_lshlrev_b32_e32 v22, 23, v22
	v_and_or_b32 v3, 0x8000, v3, v23
	v_lshl_or_b32 v37, v3, 16, v22
.LBB283_1090:                           ;   in Loop: Header=BB283_1059 Depth=1
	s_or_b32 exec_lo, exec_lo, s19
.LBB283_1091:                           ;   in Loop: Header=BB283_1059 Depth=1
	s_or_b32 exec_lo, exec_lo, s18
.LBB283_1092:                           ;   in Loop: Header=BB283_1059 Depth=1
	s_or_b32 exec_lo, exec_lo, s4
	v_mov_b32_e32 v3, v12
	v_cmp_ne_u16_sdwa s18, v12, v4 src0_sel:BYTE_0 src1_sel:DWORD
	v_mov_b32_e32 v23, 0
	v_mov_b32_e32 v22, 0
	s_and_saveexec_b32 s4, s18
	s_cbranch_execz .LBB283_1100
; %bb.1093:                             ;   in Loop: Header=BB283_1059 Depth=1
	v_cmp_ne_u16_sdwa s19, v12, v39 src0_sel:BYTE_0 src1_sel:DWORD
	v_mov_b32_e32 v22, 0x8000
	s_and_saveexec_b32 s18, s19
	s_cbranch_execz .LBB283_1099
; %bb.1094:                             ;   in Loop: Header=BB283_1059 Depth=1
	v_and_b32_e32 v80, 0x7f, v12
	v_mov_b32_e32 v22, 0x7c01
	s_mov_b32 s19, exec_lo
	v_cmpx_ne_u32_e32 0x7f, v80
	s_cbranch_execz .LBB283_1098
; %bb.1095:                             ;   in Loop: Header=BB283_1059 Depth=1
	v_and_b32_e32 v22, 7, v12
	v_lshrrev_b32_e32 v66, 3, v80
	s_mov_b32 s20, exec_lo
	v_cmpx_gt_u32_e32 8, v80
; %bb.1096:                             ;   in Loop: Header=BB283_1059 Depth=1
	v_ffbh_u32_e32 v22, v22
	v_min_u32_e32 v22, 32, v22
	v_subrev_nc_u32_e32 v66, 28, v22
	v_lshlrev_b64 v[80:81], v66, v[3:4]
	v_sub_nc_u32_e32 v66, 29, v22
	v_and_b32_e32 v22, 7, v80
; %bb.1097:                             ;   in Loop: Header=BB283_1059 Depth=1
	s_or_b32 exec_lo, exec_lo, s20
	v_lshlrev_b32_e32 v80, 8, v12
	v_lshl_add_u32 v66, v66, 10, 0x2000
	v_lshlrev_b32_e32 v22, 7, v22
	v_and_b32_e32 v80, 0x8000, v80
	v_and_b32_e32 v66, 0xfc00, v66
	v_or3_b32 v22, v80, v66, v22
.LBB283_1098:                           ;   in Loop: Header=BB283_1059 Depth=1
	s_or_b32 exec_lo, exec_lo, s19
.LBB283_1099:                           ;   in Loop: Header=BB283_1059 Depth=1
	s_or_b32 exec_lo, exec_lo, s18
.LBB283_1100:                           ;   in Loop: Header=BB283_1059 Depth=1
	s_or_b32 exec_lo, exec_lo, s4
	v_lshrrev_b16 v3, 8, v3
	v_mov_b32_e32 v66, 0
	s_mov_b32 s4, exec_lo
	v_cmpx_ne_u16_e32 0, v3
	s_cbranch_execz .LBB283_1108
; %bb.1101:                             ;   in Loop: Header=BB283_1059 Depth=1
	v_bfrev_b32_e32 v66, 1
	s_mov_b32 s18, exec_lo
	v_cmpx_ne_u16_e32 0x80, v3
	s_cbranch_execz .LBB283_1107
; %bb.1102:                             ;   in Loop: Header=BB283_1059 Depth=1
	v_and_b32_sdwa v81, v3, v48 dst_sel:DWORD dst_unused:UNUSED_PAD src0_sel:WORD_0 src1_sel:DWORD
	v_mov_b32_e32 v66, 0x7c010000
	s_mov_b32 s19, exec_lo
	v_cmpx_ne_u32_e32 0x7f, v81
	s_cbranch_execz .LBB283_1106
; %bb.1103:                             ;   in Loop: Header=BB283_1059 Depth=1
	v_and_b32_sdwa v66, v3, v19 dst_sel:DWORD dst_unused:UNUSED_PAD src0_sel:WORD_0 src1_sel:DWORD
	v_lshrrev_b32_e32 v80, 3, v81
	s_mov_b32 s20, exec_lo
	v_cmpx_gt_u32_e32 8, v81
; %bb.1104:                             ;   in Loop: Header=BB283_1059 Depth=1
	v_ffbh_u32_e32 v66, v66
	v_min_u32_e32 v66, 32, v66
	v_subrev_nc_u32_e32 v80, 28, v66
	v_lshlrev_b64 v[81:82], v80, v[3:4]
	v_sub_nc_u32_e32 v80, 29, v66
	v_and_b32_e32 v66, 7, v81
; %bb.1105:                             ;   in Loop: Header=BB283_1059 Depth=1
	s_or_b32 exec_lo, exec_lo, s20
	v_lshlrev_b32_sdwa v3, v67, v3 dst_sel:DWORD dst_unused:UNUSED_PAD src0_sel:DWORD src1_sel:WORD_0
	v_lshl_add_u32 v80, v80, 10, 0x2000
	v_lshlrev_b32_e32 v66, 23, v66
	v_and_or_b32 v3, 0x8000, v3, v80
	v_lshl_or_b32 v66, v3, 16, v66
.LBB283_1106:                           ;   in Loop: Header=BB283_1059 Depth=1
	s_or_b32 exec_lo, exec_lo, s19
.LBB283_1107:                           ;   in Loop: Header=BB283_1059 Depth=1
	s_or_b32 exec_lo, exec_lo, s18
.LBB283_1108:                           ;   in Loop: Header=BB283_1059 Depth=1
	s_or_b32 exec_lo, exec_lo, s4
	v_lshrrev_b32_e32 v3, 16, v12
	v_cmp_ne_u16_sdwa s18, v3, v4 src0_sel:BYTE_0 src1_sel:DWORD
	s_and_saveexec_b32 s4, s18
	s_cbranch_execz .LBB283_1116
; %bb.1109:                             ;   in Loop: Header=BB283_1059 Depth=1
	v_cmp_ne_u16_sdwa s19, v3, v39 src0_sel:BYTE_0 src1_sel:DWORD
	v_mov_b32_e32 v23, 0x8000
	s_and_saveexec_b32 s18, s19
	s_cbranch_execz .LBB283_1115
; %bb.1110:                             ;   in Loop: Header=BB283_1059 Depth=1
	v_bfe_u32 v81, v12, 16, 7
	v_mov_b32_e32 v23, 0x7c01
	s_mov_b32 s19, exec_lo
	v_cmpx_ne_u32_e32 0x7f, v81
	s_cbranch_execz .LBB283_1114
; %bb.1111:                             ;   in Loop: Header=BB283_1059 Depth=1
	v_and_b32_e32 v23, 7, v3
	v_lshrrev_b32_e32 v80, 3, v81
	s_mov_b32 s20, exec_lo
	v_cmpx_gt_u32_e32 8, v81
; %bb.1112:                             ;   in Loop: Header=BB283_1059 Depth=1
	v_ffbh_u32_e32 v23, v23
	v_min_u32_e32 v23, 32, v23
	v_subrev_nc_u32_e32 v80, 28, v23
	v_lshlrev_b64 v[81:82], v80, v[3:4]
	v_sub_nc_u32_e32 v80, 29, v23
	v_and_b32_e32 v23, 7, v81
; %bb.1113:                             ;   in Loop: Header=BB283_1059 Depth=1
	s_or_b32 exec_lo, exec_lo, s20
	v_lshlrev_b32_e32 v3, 8, v3
	v_lshl_add_u32 v80, v80, 10, 0x2000
	v_lshlrev_b32_e32 v23, 7, v23
	v_and_b32_e32 v3, 0x8000, v3
	v_and_b32_e32 v80, 0xfc00, v80
	v_or3_b32 v23, v3, v80, v23
.LBB283_1114:                           ;   in Loop: Header=BB283_1059 Depth=1
	s_or_b32 exec_lo, exec_lo, s19
.LBB283_1115:                           ;   in Loop: Header=BB283_1059 Depth=1
	s_or_b32 exec_lo, exec_lo, s18
.LBB283_1116:                           ;   in Loop: Header=BB283_1059 Depth=1
	s_or_b32 exec_lo, exec_lo, s4
	v_cmp_lt_u64_e32 vcc_lo, s[6:7], v[11:12]
	v_mov_b32_e32 v11, 0
	s_and_saveexec_b32 s4, vcc_lo
	s_cbranch_execz .LBB283_1124
; %bb.1117:                             ;   in Loop: Header=BB283_1059 Depth=1
	v_lshrrev_b32_e32 v3, 24, v12
	v_bfrev_b32_e32 v11, 1
	s_mov_b32 s18, exec_lo
	v_cmpx_ne_u32_e32 0x80, v3
	s_cbranch_execz .LBB283_1123
; %bb.1118:                             ;   in Loop: Header=BB283_1059 Depth=1
	v_and_b32_e32 v80, 0x7f, v3
	v_mov_b32_e32 v11, 0x7c010000
	s_mov_b32 s19, exec_lo
	v_cmpx_ne_u32_e32 0x7f, v80
	s_cbranch_execz .LBB283_1122
; %bb.1119:                             ;   in Loop: Header=BB283_1059 Depth=1
	v_and_b32_e32 v11, 7, v3
	v_lshrrev_b32_e32 v12, 3, v80
	s_mov_b32 s20, exec_lo
	v_cmpx_gt_u32_e32 8, v80
; %bb.1120:                             ;   in Loop: Header=BB283_1059 Depth=1
	v_ffbh_u32_e32 v11, v11
	v_min_u32_e32 v80, 32, v11
	v_subrev_nc_u32_e32 v11, 28, v80
	v_lshlrev_b64 v[11:12], v11, v[3:4]
	v_sub_nc_u32_e32 v12, 29, v80
	v_and_b32_e32 v11, 7, v11
; %bb.1121:                             ;   in Loop: Header=BB283_1059 Depth=1
	s_or_b32 exec_lo, exec_lo, s20
	v_lshlrev_b32_e32 v3, 8, v3
	v_lshl_add_u32 v12, v12, 10, 0x2000
	v_lshlrev_b32_e32 v11, 23, v11
	v_and_or_b32 v3, 0x8000, v3, v12
	v_lshl_or_b32 v11, v3, 16, v11
.LBB283_1122:                           ;   in Loop: Header=BB283_1059 Depth=1
	s_or_b32 exec_lo, exec_lo, s19
.LBB283_1123:                           ;   in Loop: Header=BB283_1059 Depth=1
	s_or_b32 exec_lo, exec_lo, s18
.LBB283_1124:                           ;   in Loop: Header=BB283_1059 Depth=1
	s_or_b32 exec_lo, exec_lo, s4
	v_or_b32_e32 v3, v37, v71
	v_or_b32_e32 v36, v35, v36
	s_waitcnt vmcnt(0) lgkmcnt(0)
	v_fma_mixlo_f16 v35, v34, v35, 0 op_sel:[0,1,0] op_sel_hi:[0,1,0]
	v_or_b32_e32 v22, v66, v22
	v_or_b32_e32 v23, v11, v23
	v_fma_mixlo_f16 v3, v34, v3, 0 op_sel_hi:[0,1,0]
	v_fma_mixlo_f16 v12, v34, v37, 0 op_sel:[0,1,0] op_sel_hi:[0,1,0]
	v_lshlrev_b32_e32 v80, 16, v35
	v_fma_mixlo_f16 v22, v34, v22, 0 op_sel_hi:[0,1,0]
	v_fma_mixlo_f16 v11, v34, v11, 0 op_sel:[0,1,0] op_sel_hi:[0,1,0]
	v_and_b32_e32 v35, 0xffff, v3
	v_fma_mixlo_f16 v3, v34, v36, 0 op_sel_hi:[0,1,0]
	v_fma_mixlo_f16 v36, v34, v66, 0 op_sel:[0,1,0] op_sel_hi:[0,1,0]
	v_fma_mixlo_f16 v34, v34, v23, 0 op_sel_hi:[0,1,0]
	v_add_nc_u32_e32 v71, v68, v74
	v_lshlrev_b32_e32 v12, 16, v12
	v_and_b32_e32 v81, 0xffff, v3
	v_lshlrev_b32_e32 v36, 16, v36
	v_and_b32_e32 v66, 0xffff, v22
	;; [unrolled: 2-line block ×3, first 2 shown]
	v_cmp_eq_u32_e32 vcc_lo, v38, v70
	v_or_b32_e32 v3, v12, v35
	v_or_b32_e32 v11, v80, v81
	;; [unrolled: 1-line block ×4, first 2 shown]
	v_add_nc_u32_e32 v100, 1, v71
	v_add_nc_u32_e32 v99, 2, v71
	;; [unrolled: 1-line block ×7, first 2 shown]
	s_and_saveexec_b32 s18, vcc_lo
	s_cbranch_execz .LBB283_1126
; %bb.1125:                             ;   in Loop: Header=BB283_1059 Depth=1
	v_cmp_lt_i32_e64 s4, v71, v30
	v_cndmask_b32_e64 v3, 0, v81, s4
	v_cmp_lt_i32_e64 s4, v100, v30
	v_cndmask_b32_e64 v11, 0, v80, s4
	v_cmp_lt_i32_e64 s4, v99, v30
	v_or_b32_e32 v11, v3, v11
	v_cndmask_b32_e64 v22, 0, v35, s4
	v_cmp_lt_i32_e64 s4, v98, v30
	v_cndmask_b32_e64 v12, 0, v12, s4
	v_cmp_lt_i32_e64 s4, v97, v30
	v_or_b32_e32 v3, v22, v12
	;; [unrolled: 5-line block ×3, first 2 shown]
	v_cndmask_b32_e64 v36, 0, v37, s4
	v_cmp_lt_i32_e64 s4, v86, v30
	v_cndmask_b32_e64 v23, 0, v23, s4
	v_or_b32_e32 v34, v36, v23
.LBB283_1126:                           ;   in Loop: Header=BB283_1059 Depth=1
	s_or_b32 exec_lo, exec_lo, s18
	v_and_b32_e32 v0, 0xffff, v0
	v_and_b32_e32 v12, 0xffff, v31
	v_and_b32_e32 v23, 0xffff, v32
	v_and_b32_e32 v31, 0xffff, v33
	v_lshl_or_b32 v85, v1, 16, v0
	;;#ASMSTART
	v_pk_mul_f16 v0, v85, v11;

	;;#ASMEND
	v_lshl_or_b32 v84, v2, 16, v12
	v_lshl_or_b32 v83, v18, 16, v23
	;; [unrolled: 1-line block ×3, first 2 shown]
	;;#ASMSTART
	v_pk_mul_f16 v1, v84, v3;

	;;#ASMEND
	;;#ASMSTART
	v_pk_mul_f16 v2, v83, v22;

	;;#ASMEND
	;; [unrolled: 4-line block ×3, first 2 shown]
	;;#ASMSTART
	v_pk_add_f16 v0, v0, v1;

	;;#ASMEND
	;;#ASMSTART
	v_pk_add_f16 v0, v0, v2;

	;;#ASMEND
	;; [unrolled: 4-line block ×3, first 2 shown]
	v_and_b32_e32 v1, 0xffff, v0
	v_lshrrev_b32_e32 v0, 16, v0
	;;#ASMSTART
	v_cvt_f32_f16 v33, v1;
	;;#ASMEND
	;;#ASMSTART
	v_cvt_f32_f16 v81, v0;
	;;#ASMEND
	flat_load_dwordx2 v[11:12], v[9:10] offset:256
	flat_load_dword v0, v[62:63]
	v_mov_b32_e32 v1, 0
	v_mov_b32_e32 v2, 0
	s_waitcnt vmcnt(1) lgkmcnt(1)
	v_cmp_ne_u16_sdwa s4, v11, v4 src0_sel:BYTE_0 src1_sel:DWORD
	s_and_saveexec_b32 s18, s4
	s_cbranch_execz .LBB283_1134
; %bb.1127:                             ;   in Loop: Header=BB283_1059 Depth=1
	v_cmp_ne_u16_sdwa s4, v11, v39 src0_sel:BYTE_0 src1_sel:DWORD
	v_mov_b32_e32 v2, 0x8000
	s_and_saveexec_b32 s19, s4
	s_cbranch_execz .LBB283_1133
; %bb.1128:                             ;   in Loop: Header=BB283_1059 Depth=1
	v_and_b32_e32 v18, 0x7f, v11
	v_mov_b32_e32 v2, 0x7c01
	s_mov_b32 s20, exec_lo
	v_cmpx_ne_u32_e32 0x7f, v18
	s_cbranch_execz .LBB283_1132
; %bb.1129:                             ;   in Loop: Header=BB283_1059 Depth=1
	v_and_b32_e32 v2, 7, v11
	v_lshrrev_b32_e32 v3, 3, v18
	s_mov_b32 s21, exec_lo
	v_cmpx_gt_u32_e32 8, v18
; %bb.1130:                             ;   in Loop: Header=BB283_1059 Depth=1
	v_ffbh_u32_e32 v2, v2
	v_min_u32_e32 v18, 32, v2
	v_subrev_nc_u32_e32 v2, 28, v18
	v_lshlrev_b64 v[2:3], v2, v[11:12]
	v_sub_nc_u32_e32 v3, 29, v18
	v_and_b32_e32 v2, 7, v2
; %bb.1131:                             ;   in Loop: Header=BB283_1059 Depth=1
	s_or_b32 exec_lo, exec_lo, s21
	v_lshlrev_b32_e32 v18, 8, v11
	v_lshl_add_u32 v3, v3, 10, 0x2000
	v_lshlrev_b32_e32 v2, 7, v2
	v_and_b32_e32 v18, 0x8000, v18
	v_and_b32_e32 v3, 0xfc00, v3
	v_or3_b32 v2, v18, v3, v2
.LBB283_1132:                           ;   in Loop: Header=BB283_1059 Depth=1
	s_or_b32 exec_lo, exec_lo, s20
.LBB283_1133:                           ;   in Loop: Header=BB283_1059 Depth=1
	s_or_b32 exec_lo, exec_lo, s19
.LBB283_1134:                           ;   in Loop: Header=BB283_1059 Depth=1
	s_or_b32 exec_lo, exec_lo, s18
	v_lshrrev_b16 v3, 8, v11
	s_mov_b32 s18, exec_lo
	v_cmpx_ne_u16_e32 0, v3
	s_cbranch_execz .LBB283_1142
; %bb.1135:                             ;   in Loop: Header=BB283_1059 Depth=1
	v_bfrev_b32_e32 v1, 1
	s_mov_b32 s19, exec_lo
	v_cmpx_ne_u16_e32 0x80, v3
	s_cbranch_execz .LBB283_1141
; %bb.1136:                             ;   in Loop: Header=BB283_1059 Depth=1
	v_and_b32_sdwa v22, v3, v48 dst_sel:DWORD dst_unused:UNUSED_PAD src0_sel:WORD_0 src1_sel:DWORD
	v_mov_b32_e32 v1, 0x7c010000
	s_mov_b32 s20, exec_lo
	v_cmpx_ne_u32_e32 0x7f, v22
	s_cbranch_execz .LBB283_1140
; %bb.1137:                             ;   in Loop: Header=BB283_1059 Depth=1
	v_and_b32_sdwa v1, v3, v19 dst_sel:DWORD dst_unused:UNUSED_PAD src0_sel:WORD_0 src1_sel:DWORD
	v_lshrrev_b32_e32 v18, 3, v22
	s_mov_b32 s21, exec_lo
	v_cmpx_gt_u32_e32 8, v22
; %bb.1138:                             ;   in Loop: Header=BB283_1059 Depth=1
	v_ffbh_u32_e32 v1, v1
	v_min_u32_e32 v1, 32, v1
	v_subrev_nc_u32_e32 v18, 28, v1
	v_lshlrev_b64 v[22:23], v18, v[3:4]
	v_sub_nc_u32_e32 v18, 29, v1
	v_and_b32_e32 v1, 7, v22
; %bb.1139:                             ;   in Loop: Header=BB283_1059 Depth=1
	s_or_b32 exec_lo, exec_lo, s21
	v_lshlrev_b32_sdwa v3, v67, v3 dst_sel:DWORD dst_unused:UNUSED_PAD src0_sel:DWORD src1_sel:WORD_0
	v_lshl_add_u32 v18, v18, 10, 0x2000
	v_lshlrev_b32_e32 v1, 23, v1
	v_and_or_b32 v3, 0x8000, v3, v18
	v_lshl_or_b32 v1, v3, 16, v1
.LBB283_1140:                           ;   in Loop: Header=BB283_1059 Depth=1
	s_or_b32 exec_lo, exec_lo, s20
.LBB283_1141:                           ;   in Loop: Header=BB283_1059 Depth=1
	s_or_b32 exec_lo, exec_lo, s19
.LBB283_1142:                           ;   in Loop: Header=BB283_1059 Depth=1
	s_or_b32 exec_lo, exec_lo, s18
	v_lshrrev_b32_e32 v3, 16, v11
	v_mov_b32_e32 v18, 0
	v_mov_b32_e32 v29, 0
	v_cmp_ne_u16_sdwa s4, v3, v4 src0_sel:BYTE_0 src1_sel:DWORD
	s_and_saveexec_b32 s18, s4
	s_cbranch_execz .LBB283_1150
; %bb.1143:                             ;   in Loop: Header=BB283_1059 Depth=1
	v_cmp_ne_u16_sdwa s4, v3, v39 src0_sel:BYTE_0 src1_sel:DWORD
	v_mov_b32_e32 v29, 0x8000
	s_and_saveexec_b32 s19, s4
	s_cbranch_execz .LBB283_1149
; %bb.1144:                             ;   in Loop: Header=BB283_1059 Depth=1
	v_bfe_u32 v31, v11, 16, 7
	v_mov_b32_e32 v29, 0x7c01
	s_mov_b32 s20, exec_lo
	v_cmpx_ne_u32_e32 0x7f, v31
	s_cbranch_execz .LBB283_1148
; %bb.1145:                             ;   in Loop: Header=BB283_1059 Depth=1
	v_and_b32_e32 v22, 7, v3
	v_lshrrev_b32_e32 v23, 3, v31
	s_mov_b32 s21, exec_lo
	v_cmpx_gt_u32_e32 8, v31
; %bb.1146:                             ;   in Loop: Header=BB283_1059 Depth=1
	v_ffbh_u32_e32 v22, v22
	v_min_u32_e32 v29, 32, v22
	v_subrev_nc_u32_e32 v22, 28, v29
	v_lshlrev_b64 v[22:23], v22, v[3:4]
	v_sub_nc_u32_e32 v23, 29, v29
	v_and_b32_e32 v22, 7, v22
; %bb.1147:                             ;   in Loop: Header=BB283_1059 Depth=1
	s_or_b32 exec_lo, exec_lo, s21
	v_lshlrev_b32_e32 v3, 8, v3
	v_lshl_add_u32 v23, v23, 10, 0x2000
	v_lshlrev_b32_e32 v22, 7, v22
	v_and_b32_e32 v3, 0x8000, v3
	v_and_b32_e32 v23, 0xfc00, v23
	v_or3_b32 v29, v3, v23, v22
.LBB283_1148:                           ;   in Loop: Header=BB283_1059 Depth=1
	s_or_b32 exec_lo, exec_lo, s20
.LBB283_1149:                           ;   in Loop: Header=BB283_1059 Depth=1
	s_or_b32 exec_lo, exec_lo, s19
.LBB283_1150:                           ;   in Loop: Header=BB283_1059 Depth=1
	s_or_b32 exec_lo, exec_lo, s18
	s_mov_b32 s18, exec_lo
	v_cmpx_lt_u32_e32 0xffffff, v11
	s_cbranch_execz .LBB283_1158
; %bb.1151:                             ;   in Loop: Header=BB283_1059 Depth=1
	v_lshrrev_b32_e32 v3, 24, v11
	v_bfrev_b32_e32 v18, 1
	s_mov_b32 s19, exec_lo
	v_cmpx_ne_u32_e32 0x80, v3
	s_cbranch_execz .LBB283_1157
; %bb.1152:                             ;   in Loop: Header=BB283_1059 Depth=1
	v_and_b32_e32 v23, 0x7f, v3
	v_mov_b32_e32 v18, 0x7c010000
	s_mov_b32 s20, exec_lo
	v_cmpx_ne_u32_e32 0x7f, v23
	s_cbranch_execz .LBB283_1156
; %bb.1153:                             ;   in Loop: Header=BB283_1059 Depth=1
	v_and_b32_e32 v18, 7, v3
	v_lshrrev_b32_e32 v22, 3, v23
	s_mov_b32 s21, exec_lo
	v_cmpx_gt_u32_e32 8, v23
; %bb.1154:                             ;   in Loop: Header=BB283_1059 Depth=1
	v_ffbh_u32_e32 v18, v18
	v_min_u32_e32 v18, 32, v18
	v_subrev_nc_u32_e32 v22, 28, v18
	v_lshlrev_b64 v[31:32], v22, v[3:4]
	v_sub_nc_u32_e32 v22, 29, v18
	v_and_b32_e32 v18, 7, v31
; %bb.1155:                             ;   in Loop: Header=BB283_1059 Depth=1
	s_or_b32 exec_lo, exec_lo, s21
	v_lshlrev_b32_e32 v3, 8, v3
	v_lshl_add_u32 v22, v22, 10, 0x2000
	v_lshlrev_b32_e32 v18, 23, v18
	v_and_or_b32 v3, 0x8000, v3, v22
	v_lshl_or_b32 v18, v3, 16, v18
.LBB283_1156:                           ;   in Loop: Header=BB283_1059 Depth=1
	s_or_b32 exec_lo, exec_lo, s20
.LBB283_1157:                           ;   in Loop: Header=BB283_1059 Depth=1
	s_or_b32 exec_lo, exec_lo, s19
.LBB283_1158:                           ;   in Loop: Header=BB283_1059 Depth=1
	s_or_b32 exec_lo, exec_lo, s18
	v_mov_b32_e32 v3, v12
	v_cmp_ne_u16_sdwa s4, v12, v4 src0_sel:BYTE_0 src1_sel:DWORD
	v_mov_b32_e32 v22, 0
	v_mov_b32_e32 v23, 0
	s_and_saveexec_b32 s18, s4
	s_cbranch_execz .LBB283_1166
; %bb.1159:                             ;   in Loop: Header=BB283_1059 Depth=1
	v_cmp_ne_u16_sdwa s4, v12, v39 src0_sel:BYTE_0 src1_sel:DWORD
	v_mov_b32_e32 v23, 0x8000
	s_and_saveexec_b32 s19, s4
	s_cbranch_execz .LBB283_1165
; %bb.1160:                             ;   in Loop: Header=BB283_1059 Depth=1
	v_and_b32_e32 v32, 0x7f, v12
	v_mov_b32_e32 v23, 0x7c01
	s_mov_b32 s20, exec_lo
	v_cmpx_ne_u32_e32 0x7f, v32
	s_cbranch_execz .LBB283_1164
; %bb.1161:                             ;   in Loop: Header=BB283_1059 Depth=1
	v_and_b32_e32 v23, 7, v12
	v_lshrrev_b32_e32 v31, 3, v32
	s_mov_b32 s21, exec_lo
	v_cmpx_gt_u32_e32 8, v32
; %bb.1162:                             ;   in Loop: Header=BB283_1059 Depth=1
	v_ffbh_u32_e32 v23, v23
	v_min_u32_e32 v23, 32, v23
	v_subrev_nc_u32_e32 v31, 28, v23
	v_lshlrev_b64 v[34:35], v31, v[3:4]
	v_sub_nc_u32_e32 v31, 29, v23
	v_and_b32_e32 v23, 7, v34
; %bb.1163:                             ;   in Loop: Header=BB283_1059 Depth=1
	s_or_b32 exec_lo, exec_lo, s21
	v_lshlrev_b32_e32 v32, 8, v12
	v_lshl_add_u32 v31, v31, 10, 0x2000
	v_lshlrev_b32_e32 v23, 7, v23
	v_and_b32_e32 v32, 0x8000, v32
	v_and_b32_e32 v31, 0xfc00, v31
	v_or3_b32 v23, v32, v31, v23
.LBB283_1164:                           ;   in Loop: Header=BB283_1059 Depth=1
	s_or_b32 exec_lo, exec_lo, s20
.LBB283_1165:                           ;   in Loop: Header=BB283_1059 Depth=1
	s_or_b32 exec_lo, exec_lo, s19
.LBB283_1166:                           ;   in Loop: Header=BB283_1059 Depth=1
	s_or_b32 exec_lo, exec_lo, s18
	v_lshrrev_b16 v3, 8, v3
	v_mov_b32_e32 v31, 0
	s_mov_b32 s18, exec_lo
	v_cmpx_ne_u16_e32 0, v3
	s_cbranch_execz .LBB283_1174
; %bb.1167:                             ;   in Loop: Header=BB283_1059 Depth=1
	v_bfrev_b32_e32 v31, 1
	s_mov_b32 s19, exec_lo
	v_cmpx_ne_u16_e32 0x80, v3
	s_cbranch_execz .LBB283_1173
; %bb.1168:                             ;   in Loop: Header=BB283_1059 Depth=1
	v_and_b32_sdwa v34, v3, v48 dst_sel:DWORD dst_unused:UNUSED_PAD src0_sel:WORD_0 src1_sel:DWORD
	v_mov_b32_e32 v31, 0x7c010000
	s_mov_b32 s20, exec_lo
	v_cmpx_ne_u32_e32 0x7f, v34
	s_cbranch_execz .LBB283_1172
; %bb.1169:                             ;   in Loop: Header=BB283_1059 Depth=1
	v_and_b32_sdwa v31, v3, v19 dst_sel:DWORD dst_unused:UNUSED_PAD src0_sel:WORD_0 src1_sel:DWORD
	v_lshrrev_b32_e32 v32, 3, v34
	s_mov_b32 s21, exec_lo
	v_cmpx_gt_u32_e32 8, v34
; %bb.1170:                             ;   in Loop: Header=BB283_1059 Depth=1
	v_ffbh_u32_e32 v31, v31
	v_min_u32_e32 v34, 32, v31
	v_subrev_nc_u32_e32 v31, 28, v34
	v_lshlrev_b64 v[31:32], v31, v[3:4]
	v_sub_nc_u32_e32 v32, 29, v34
	v_and_b32_e32 v31, 7, v31
; %bb.1171:                             ;   in Loop: Header=BB283_1059 Depth=1
	s_or_b32 exec_lo, exec_lo, s21
	v_lshlrev_b32_sdwa v3, v67, v3 dst_sel:DWORD dst_unused:UNUSED_PAD src0_sel:DWORD src1_sel:WORD_0
	v_lshl_add_u32 v32, v32, 10, 0x2000
	v_lshlrev_b32_e32 v31, 23, v31
	v_and_or_b32 v3, 0x8000, v3, v32
	v_lshl_or_b32 v31, v3, 16, v31
.LBB283_1172:                           ;   in Loop: Header=BB283_1059 Depth=1
	s_or_b32 exec_lo, exec_lo, s20
.LBB283_1173:                           ;   in Loop: Header=BB283_1059 Depth=1
	s_or_b32 exec_lo, exec_lo, s19
.LBB283_1174:                           ;   in Loop: Header=BB283_1059 Depth=1
	s_or_b32 exec_lo, exec_lo, s18
	v_lshrrev_b32_e32 v3, 16, v12
	v_cmp_ne_u16_sdwa s4, v3, v4 src0_sel:BYTE_0 src1_sel:DWORD
	s_and_saveexec_b32 s18, s4
	s_cbranch_execz .LBB283_1182
; %bb.1175:                             ;   in Loop: Header=BB283_1059 Depth=1
	v_cmp_ne_u16_sdwa s4, v3, v39 src0_sel:BYTE_0 src1_sel:DWORD
	v_mov_b32_e32 v22, 0x8000
	s_and_saveexec_b32 s19, s4
	s_cbranch_execz .LBB283_1181
; %bb.1176:                             ;   in Loop: Header=BB283_1059 Depth=1
	v_bfe_u32 v34, v12, 16, 7
	v_mov_b32_e32 v22, 0x7c01
	s_mov_b32 s20, exec_lo
	v_cmpx_ne_u32_e32 0x7f, v34
	s_cbranch_execz .LBB283_1180
; %bb.1177:                             ;   in Loop: Header=BB283_1059 Depth=1
	v_and_b32_e32 v22, 7, v3
	v_lshrrev_b32_e32 v32, 3, v34
	s_mov_b32 s21, exec_lo
	v_cmpx_gt_u32_e32 8, v34
; %bb.1178:                             ;   in Loop: Header=BB283_1059 Depth=1
	v_ffbh_u32_e32 v22, v22
	v_min_u32_e32 v22, 32, v22
	v_subrev_nc_u32_e32 v32, 28, v22
	v_lshlrev_b64 v[34:35], v32, v[3:4]
	v_sub_nc_u32_e32 v32, 29, v22
	v_and_b32_e32 v22, 7, v34
; %bb.1179:                             ;   in Loop: Header=BB283_1059 Depth=1
	s_or_b32 exec_lo, exec_lo, s21
	v_lshlrev_b32_e32 v3, 8, v3
	v_lshl_add_u32 v32, v32, 10, 0x2000
	v_lshlrev_b32_e32 v22, 7, v22
	v_and_b32_e32 v3, 0x8000, v3
	v_and_b32_e32 v32, 0xfc00, v32
	v_or3_b32 v22, v3, v32, v22
.LBB283_1180:                           ;   in Loop: Header=BB283_1059 Depth=1
	s_or_b32 exec_lo, exec_lo, s20
.LBB283_1181:                           ;   in Loop: Header=BB283_1059 Depth=1
	s_or_b32 exec_lo, exec_lo, s19
.LBB283_1182:                           ;   in Loop: Header=BB283_1059 Depth=1
	s_or_b32 exec_lo, exec_lo, s18
	v_cmp_lt_u64_e64 s4, s[6:7], v[11:12]
	v_mov_b32_e32 v11, 0
	s_and_saveexec_b32 s18, s4
	s_cbranch_execz .LBB283_1190
; %bb.1183:                             ;   in Loop: Header=BB283_1059 Depth=1
	v_lshrrev_b32_e32 v3, 24, v12
	v_bfrev_b32_e32 v11, 1
	s_mov_b32 s19, exec_lo
	v_cmpx_ne_u32_e32 0x80, v3
	s_cbranch_execz .LBB283_1189
; %bb.1184:                             ;   in Loop: Header=BB283_1059 Depth=1
	v_and_b32_e32 v32, 0x7f, v3
	v_mov_b32_e32 v11, 0x7c010000
	s_mov_b32 s20, exec_lo
	v_cmpx_ne_u32_e32 0x7f, v32
	s_cbranch_execz .LBB283_1188
; %bb.1185:                             ;   in Loop: Header=BB283_1059 Depth=1
	v_and_b32_e32 v11, 7, v3
	v_lshrrev_b32_e32 v12, 3, v32
	s_mov_b32 s21, exec_lo
	v_cmpx_gt_u32_e32 8, v32
; %bb.1186:                             ;   in Loop: Header=BB283_1059 Depth=1
	v_ffbh_u32_e32 v11, v11
	v_min_u32_e32 v32, 32, v11
	v_subrev_nc_u32_e32 v11, 28, v32
	v_lshlrev_b64 v[11:12], v11, v[3:4]
	v_sub_nc_u32_e32 v12, 29, v32
	v_and_b32_e32 v11, 7, v11
; %bb.1187:                             ;   in Loop: Header=BB283_1059 Depth=1
	s_or_b32 exec_lo, exec_lo, s21
	v_lshlrev_b32_e32 v3, 8, v3
	v_lshl_add_u32 v12, v12, 10, 0x2000
	v_lshlrev_b32_e32 v11, 23, v11
	v_and_or_b32 v3, 0x8000, v3, v12
	v_lshl_or_b32 v11, v3, 16, v11
.LBB283_1188:                           ;   in Loop: Header=BB283_1059 Depth=1
	s_or_b32 exec_lo, exec_lo, s20
.LBB283_1189:                           ;   in Loop: Header=BB283_1059 Depth=1
	s_or_b32 exec_lo, exec_lo, s19
.LBB283_1190:                           ;   in Loop: Header=BB283_1059 Depth=1
	s_or_b32 exec_lo, exec_lo, s18
	v_or_b32_e32 v3, v18, v29
	s_waitcnt vmcnt(0) lgkmcnt(0)
	v_fma_mixlo_f16 v12, v0, v18, 0 op_sel:[0,1,0] op_sel_hi:[0,1,0]
	v_or_b32_e32 v2, v1, v2
	v_fma_mixlo_f16 v18, v0, v1, 0 op_sel:[0,1,0] op_sel_hi:[0,1,0]
	v_or_b32_e32 v23, v31, v23
	v_fma_mixlo_f16 v3, v0, v3, 0 op_sel_hi:[0,1,0]
	v_or_b32_e32 v22, v11, v22
	v_lshlrev_b32_e32 v1, 16, v12
	v_lshlrev_b32_e32 v12, 16, v18
	v_fma_mixlo_f16 v18, v0, v2, 0 op_sel_hi:[0,1,0]
	v_and_b32_e32 v2, 0xffff, v3
	v_fma_mixlo_f16 v3, v0, v31, 0 op_sel:[0,1,0] op_sel_hi:[0,1,0]
	v_fma_mixlo_f16 v23, v0, v23, 0 op_sel_hi:[0,1,0]
	v_fma_mixlo_f16 v11, v0, v11, 0 op_sel:[0,1,0] op_sel_hi:[0,1,0]
	v_fma_mixlo_f16 v29, v0, v22, 0 op_sel_hi:[0,1,0]
	v_and_b32_e32 v32, 0xffff, v18
	v_lshlrev_b32_e32 v3, 16, v3
	v_and_b32_e32 v22, 0xffff, v23
	v_lshlrev_b32_e32 v0, 16, v11
	v_and_b32_e32 v11, 0xffff, v29
	v_or_b32_e32 v18, v1, v2
	v_or_b32_e32 v31, v12, v32
	;; [unrolled: 1-line block ×4, first 2 shown]
	s_and_saveexec_b32 s18, vcc_lo
	s_cbranch_execz .LBB283_1192
; %bb.1191:                             ;   in Loop: Header=BB283_1059 Depth=1
	v_cmp_lt_i32_e64 s4, v71, v30
	v_cndmask_b32_e64 v18, 0, v32, s4
	v_cmp_lt_i32_e64 s4, v100, v30
	v_cndmask_b32_e64 v12, 0, v12, s4
	v_cmp_lt_i32_e64 s4, v99, v30
	v_or_b32_e32 v31, v18, v12
	v_cndmask_b32_e64 v2, 0, v2, s4
	v_cmp_lt_i32_e64 s4, v98, v30
	v_cndmask_b32_e64 v1, 0, v1, s4
	v_cmp_lt_i32_e64 s4, v97, v30
	v_or_b32_e32 v18, v2, v1
	;; [unrolled: 5-line block ×3, first 2 shown]
	v_cndmask_b32_e64 v11, 0, v11, s4
	v_cmp_lt_i32_e64 s4, v86, v30
	v_cndmask_b32_e64 v0, 0, v0, s4
	v_or_b32_e32 v23, v11, v0
.LBB283_1192:                           ;   in Loop: Header=BB283_1059 Depth=1
	s_or_b32 exec_lo, exec_lo, s18
	;;#ASMSTART
	v_pk_mul_f16 v0, v85, v31;

	;;#ASMEND
	;;#ASMSTART
	v_pk_mul_f16 v1, v84, v18;

	;;#ASMEND
	;; [unrolled: 4-line block ×4, first 2 shown]
	;;#ASMSTART
	v_pk_add_f16 v0, v0, v1;

	;;#ASMEND
	;;#ASMSTART
	v_pk_add_f16 v0, v0, v2;

	;;#ASMEND
	;; [unrolled: 4-line block ×3, first 2 shown]
	v_and_b32_e32 v1, 0xffff, v0
	v_lshrrev_b32_e32 v0, 16, v0
	;;#ASMSTART
	v_cvt_f32_f16 v101, v1;
	;;#ASMEND
	;;#ASMSTART
	v_cvt_f32_f16 v102, v0;
	;;#ASMEND
	flat_load_dwordx2 v[11:12], v[9:10] offset:512
	flat_load_dword v0, v[62:63]
	v_mov_b32_e32 v1, 0
	v_mov_b32_e32 v2, 0
	s_waitcnt vmcnt(1) lgkmcnt(1)
	v_cmp_ne_u16_sdwa s4, v11, v4 src0_sel:BYTE_0 src1_sel:DWORD
	s_and_saveexec_b32 s18, s4
	s_cbranch_execz .LBB283_1200
; %bb.1193:                             ;   in Loop: Header=BB283_1059 Depth=1
	v_cmp_ne_u16_sdwa s4, v11, v39 src0_sel:BYTE_0 src1_sel:DWORD
	v_mov_b32_e32 v2, 0x8000
	s_and_saveexec_b32 s19, s4
	s_cbranch_execz .LBB283_1199
; %bb.1194:                             ;   in Loop: Header=BB283_1059 Depth=1
	v_and_b32_e32 v18, 0x7f, v11
	v_mov_b32_e32 v2, 0x7c01
	s_mov_b32 s20, exec_lo
	v_cmpx_ne_u32_e32 0x7f, v18
	s_cbranch_execz .LBB283_1198
; %bb.1195:                             ;   in Loop: Header=BB283_1059 Depth=1
	v_and_b32_e32 v2, 7, v11
	v_lshrrev_b32_e32 v3, 3, v18
	s_mov_b32 s21, exec_lo
	v_cmpx_gt_u32_e32 8, v18
; %bb.1196:                             ;   in Loop: Header=BB283_1059 Depth=1
	v_ffbh_u32_e32 v2, v2
	v_min_u32_e32 v18, 32, v2
	v_subrev_nc_u32_e32 v2, 28, v18
	v_lshlrev_b64 v[2:3], v2, v[11:12]
	v_sub_nc_u32_e32 v3, 29, v18
	v_and_b32_e32 v2, 7, v2
; %bb.1197:                             ;   in Loop: Header=BB283_1059 Depth=1
	s_or_b32 exec_lo, exec_lo, s21
	v_lshlrev_b32_e32 v18, 8, v11
	v_lshl_add_u32 v3, v3, 10, 0x2000
	v_lshlrev_b32_e32 v2, 7, v2
	v_and_b32_e32 v18, 0x8000, v18
	v_and_b32_e32 v3, 0xfc00, v3
	v_or3_b32 v2, v18, v3, v2
.LBB283_1198:                           ;   in Loop: Header=BB283_1059 Depth=1
	s_or_b32 exec_lo, exec_lo, s20
.LBB283_1199:                           ;   in Loop: Header=BB283_1059 Depth=1
	s_or_b32 exec_lo, exec_lo, s19
.LBB283_1200:                           ;   in Loop: Header=BB283_1059 Depth=1
	s_or_b32 exec_lo, exec_lo, s18
	v_lshrrev_b16 v3, 8, v11
	s_mov_b32 s18, exec_lo
	v_cmpx_ne_u16_e32 0, v3
	s_cbranch_execz .LBB283_1208
; %bb.1201:                             ;   in Loop: Header=BB283_1059 Depth=1
	v_bfrev_b32_e32 v1, 1
	s_mov_b32 s19, exec_lo
	v_cmpx_ne_u16_e32 0x80, v3
	s_cbranch_execz .LBB283_1207
; %bb.1202:                             ;   in Loop: Header=BB283_1059 Depth=1
	v_and_b32_sdwa v22, v3, v48 dst_sel:DWORD dst_unused:UNUSED_PAD src0_sel:WORD_0 src1_sel:DWORD
	v_mov_b32_e32 v1, 0x7c010000
	s_mov_b32 s20, exec_lo
	v_cmpx_ne_u32_e32 0x7f, v22
	s_cbranch_execz .LBB283_1206
; %bb.1203:                             ;   in Loop: Header=BB283_1059 Depth=1
	v_and_b32_sdwa v1, v3, v19 dst_sel:DWORD dst_unused:UNUSED_PAD src0_sel:WORD_0 src1_sel:DWORD
	v_lshrrev_b32_e32 v18, 3, v22
	s_mov_b32 s21, exec_lo
	v_cmpx_gt_u32_e32 8, v22
; %bb.1204:                             ;   in Loop: Header=BB283_1059 Depth=1
	v_ffbh_u32_e32 v1, v1
	v_min_u32_e32 v1, 32, v1
	v_subrev_nc_u32_e32 v18, 28, v1
	v_lshlrev_b64 v[22:23], v18, v[3:4]
	v_sub_nc_u32_e32 v18, 29, v1
	v_and_b32_e32 v1, 7, v22
; %bb.1205:                             ;   in Loop: Header=BB283_1059 Depth=1
	s_or_b32 exec_lo, exec_lo, s21
	v_lshlrev_b32_sdwa v3, v67, v3 dst_sel:DWORD dst_unused:UNUSED_PAD src0_sel:DWORD src1_sel:WORD_0
	v_lshl_add_u32 v18, v18, 10, 0x2000
	v_lshlrev_b32_e32 v1, 23, v1
	v_and_or_b32 v3, 0x8000, v3, v18
	v_lshl_or_b32 v1, v3, 16, v1
.LBB283_1206:                           ;   in Loop: Header=BB283_1059 Depth=1
	s_or_b32 exec_lo, exec_lo, s20
.LBB283_1207:                           ;   in Loop: Header=BB283_1059 Depth=1
	s_or_b32 exec_lo, exec_lo, s19
.LBB283_1208:                           ;   in Loop: Header=BB283_1059 Depth=1
	s_or_b32 exec_lo, exec_lo, s18
	v_lshrrev_b32_e32 v3, 16, v11
	v_mov_b32_e32 v18, 0
	v_mov_b32_e32 v29, 0
	v_cmp_ne_u16_sdwa s4, v3, v4 src0_sel:BYTE_0 src1_sel:DWORD
	s_and_saveexec_b32 s18, s4
	s_cbranch_execz .LBB283_1216
; %bb.1209:                             ;   in Loop: Header=BB283_1059 Depth=1
	v_cmp_ne_u16_sdwa s4, v3, v39 src0_sel:BYTE_0 src1_sel:DWORD
	v_mov_b32_e32 v29, 0x8000
	s_and_saveexec_b32 s19, s4
	s_cbranch_execz .LBB283_1215
; %bb.1210:                             ;   in Loop: Header=BB283_1059 Depth=1
	v_bfe_u32 v31, v11, 16, 7
	v_mov_b32_e32 v29, 0x7c01
	s_mov_b32 s20, exec_lo
	v_cmpx_ne_u32_e32 0x7f, v31
	s_cbranch_execz .LBB283_1214
; %bb.1211:                             ;   in Loop: Header=BB283_1059 Depth=1
	v_and_b32_e32 v22, 7, v3
	v_lshrrev_b32_e32 v23, 3, v31
	s_mov_b32 s21, exec_lo
	v_cmpx_gt_u32_e32 8, v31
; %bb.1212:                             ;   in Loop: Header=BB283_1059 Depth=1
	v_ffbh_u32_e32 v22, v22
	v_min_u32_e32 v29, 32, v22
	v_subrev_nc_u32_e32 v22, 28, v29
	v_lshlrev_b64 v[22:23], v22, v[3:4]
	v_sub_nc_u32_e32 v23, 29, v29
	v_and_b32_e32 v22, 7, v22
; %bb.1213:                             ;   in Loop: Header=BB283_1059 Depth=1
	s_or_b32 exec_lo, exec_lo, s21
	v_lshlrev_b32_e32 v3, 8, v3
	v_lshl_add_u32 v23, v23, 10, 0x2000
	v_lshlrev_b32_e32 v22, 7, v22
	v_and_b32_e32 v3, 0x8000, v3
	v_and_b32_e32 v23, 0xfc00, v23
	v_or3_b32 v29, v3, v23, v22
.LBB283_1214:                           ;   in Loop: Header=BB283_1059 Depth=1
	s_or_b32 exec_lo, exec_lo, s20
.LBB283_1215:                           ;   in Loop: Header=BB283_1059 Depth=1
	s_or_b32 exec_lo, exec_lo, s19
.LBB283_1216:                           ;   in Loop: Header=BB283_1059 Depth=1
	s_or_b32 exec_lo, exec_lo, s18
	s_mov_b32 s18, exec_lo
	v_cmpx_lt_u32_e32 0xffffff, v11
	s_cbranch_execz .LBB283_1224
; %bb.1217:                             ;   in Loop: Header=BB283_1059 Depth=1
	v_lshrrev_b32_e32 v3, 24, v11
	v_bfrev_b32_e32 v18, 1
	s_mov_b32 s19, exec_lo
	v_cmpx_ne_u32_e32 0x80, v3
	s_cbranch_execz .LBB283_1223
; %bb.1218:                             ;   in Loop: Header=BB283_1059 Depth=1
	v_and_b32_e32 v23, 0x7f, v3
	v_mov_b32_e32 v18, 0x7c010000
	s_mov_b32 s20, exec_lo
	v_cmpx_ne_u32_e32 0x7f, v23
	s_cbranch_execz .LBB283_1222
; %bb.1219:                             ;   in Loop: Header=BB283_1059 Depth=1
	v_and_b32_e32 v18, 7, v3
	v_lshrrev_b32_e32 v22, 3, v23
	s_mov_b32 s21, exec_lo
	v_cmpx_gt_u32_e32 8, v23
; %bb.1220:                             ;   in Loop: Header=BB283_1059 Depth=1
	v_ffbh_u32_e32 v18, v18
	v_min_u32_e32 v18, 32, v18
	v_subrev_nc_u32_e32 v22, 28, v18
	v_lshlrev_b64 v[31:32], v22, v[3:4]
	v_sub_nc_u32_e32 v22, 29, v18
	v_and_b32_e32 v18, 7, v31
; %bb.1221:                             ;   in Loop: Header=BB283_1059 Depth=1
	s_or_b32 exec_lo, exec_lo, s21
	v_lshlrev_b32_e32 v3, 8, v3
	v_lshl_add_u32 v22, v22, 10, 0x2000
	v_lshlrev_b32_e32 v18, 23, v18
	v_and_or_b32 v3, 0x8000, v3, v22
	v_lshl_or_b32 v18, v3, 16, v18
.LBB283_1222:                           ;   in Loop: Header=BB283_1059 Depth=1
	s_or_b32 exec_lo, exec_lo, s20
.LBB283_1223:                           ;   in Loop: Header=BB283_1059 Depth=1
	s_or_b32 exec_lo, exec_lo, s19
.LBB283_1224:                           ;   in Loop: Header=BB283_1059 Depth=1
	s_or_b32 exec_lo, exec_lo, s18
	v_mov_b32_e32 v3, v12
	v_cmp_ne_u16_sdwa s4, v12, v4 src0_sel:BYTE_0 src1_sel:DWORD
	v_mov_b32_e32 v22, 0
	v_mov_b32_e32 v23, 0
	s_and_saveexec_b32 s18, s4
	s_cbranch_execz .LBB283_1232
; %bb.1225:                             ;   in Loop: Header=BB283_1059 Depth=1
	v_cmp_ne_u16_sdwa s4, v12, v39 src0_sel:BYTE_0 src1_sel:DWORD
	v_mov_b32_e32 v23, 0x8000
	s_and_saveexec_b32 s19, s4
	s_cbranch_execz .LBB283_1231
; %bb.1226:                             ;   in Loop: Header=BB283_1059 Depth=1
	v_and_b32_e32 v32, 0x7f, v12
	v_mov_b32_e32 v23, 0x7c01
	s_mov_b32 s20, exec_lo
	v_cmpx_ne_u32_e32 0x7f, v32
	s_cbranch_execz .LBB283_1230
; %bb.1227:                             ;   in Loop: Header=BB283_1059 Depth=1
	v_and_b32_e32 v23, 7, v12
	v_lshrrev_b32_e32 v31, 3, v32
	s_mov_b32 s21, exec_lo
	v_cmpx_gt_u32_e32 8, v32
; %bb.1228:                             ;   in Loop: Header=BB283_1059 Depth=1
	v_ffbh_u32_e32 v23, v23
	v_min_u32_e32 v23, 32, v23
	v_subrev_nc_u32_e32 v31, 28, v23
	v_lshlrev_b64 v[34:35], v31, v[3:4]
	v_sub_nc_u32_e32 v31, 29, v23
	v_and_b32_e32 v23, 7, v34
; %bb.1229:                             ;   in Loop: Header=BB283_1059 Depth=1
	s_or_b32 exec_lo, exec_lo, s21
	v_lshlrev_b32_e32 v32, 8, v12
	v_lshl_add_u32 v31, v31, 10, 0x2000
	v_lshlrev_b32_e32 v23, 7, v23
	v_and_b32_e32 v32, 0x8000, v32
	v_and_b32_e32 v31, 0xfc00, v31
	v_or3_b32 v23, v32, v31, v23
.LBB283_1230:                           ;   in Loop: Header=BB283_1059 Depth=1
	s_or_b32 exec_lo, exec_lo, s20
.LBB283_1231:                           ;   in Loop: Header=BB283_1059 Depth=1
	s_or_b32 exec_lo, exec_lo, s19
.LBB283_1232:                           ;   in Loop: Header=BB283_1059 Depth=1
	s_or_b32 exec_lo, exec_lo, s18
	v_lshrrev_b16 v3, 8, v3
	v_mov_b32_e32 v31, 0
	s_mov_b32 s18, exec_lo
	v_cmpx_ne_u16_e32 0, v3
	s_cbranch_execz .LBB283_1240
; %bb.1233:                             ;   in Loop: Header=BB283_1059 Depth=1
	v_bfrev_b32_e32 v31, 1
	s_mov_b32 s19, exec_lo
	v_cmpx_ne_u16_e32 0x80, v3
	s_cbranch_execz .LBB283_1239
; %bb.1234:                             ;   in Loop: Header=BB283_1059 Depth=1
	v_and_b32_sdwa v34, v3, v48 dst_sel:DWORD dst_unused:UNUSED_PAD src0_sel:WORD_0 src1_sel:DWORD
	v_mov_b32_e32 v31, 0x7c010000
	s_mov_b32 s20, exec_lo
	v_cmpx_ne_u32_e32 0x7f, v34
	s_cbranch_execz .LBB283_1238
; %bb.1235:                             ;   in Loop: Header=BB283_1059 Depth=1
	v_and_b32_sdwa v31, v3, v19 dst_sel:DWORD dst_unused:UNUSED_PAD src0_sel:WORD_0 src1_sel:DWORD
	v_lshrrev_b32_e32 v32, 3, v34
	s_mov_b32 s21, exec_lo
	v_cmpx_gt_u32_e32 8, v34
; %bb.1236:                             ;   in Loop: Header=BB283_1059 Depth=1
	v_ffbh_u32_e32 v31, v31
	v_min_u32_e32 v34, 32, v31
	v_subrev_nc_u32_e32 v31, 28, v34
	v_lshlrev_b64 v[31:32], v31, v[3:4]
	v_sub_nc_u32_e32 v32, 29, v34
	v_and_b32_e32 v31, 7, v31
; %bb.1237:                             ;   in Loop: Header=BB283_1059 Depth=1
	s_or_b32 exec_lo, exec_lo, s21
	v_lshlrev_b32_sdwa v3, v67, v3 dst_sel:DWORD dst_unused:UNUSED_PAD src0_sel:DWORD src1_sel:WORD_0
	v_lshl_add_u32 v32, v32, 10, 0x2000
	v_lshlrev_b32_e32 v31, 23, v31
	v_and_or_b32 v3, 0x8000, v3, v32
	v_lshl_or_b32 v31, v3, 16, v31
.LBB283_1238:                           ;   in Loop: Header=BB283_1059 Depth=1
	s_or_b32 exec_lo, exec_lo, s20
.LBB283_1239:                           ;   in Loop: Header=BB283_1059 Depth=1
	s_or_b32 exec_lo, exec_lo, s19
.LBB283_1240:                           ;   in Loop: Header=BB283_1059 Depth=1
	s_or_b32 exec_lo, exec_lo, s18
	v_lshrrev_b32_e32 v3, 16, v12
	v_cmp_ne_u16_sdwa s4, v3, v4 src0_sel:BYTE_0 src1_sel:DWORD
	s_and_saveexec_b32 s18, s4
	s_cbranch_execz .LBB283_1248
; %bb.1241:                             ;   in Loop: Header=BB283_1059 Depth=1
	v_cmp_ne_u16_sdwa s4, v3, v39 src0_sel:BYTE_0 src1_sel:DWORD
	v_mov_b32_e32 v22, 0x8000
	s_and_saveexec_b32 s19, s4
	s_cbranch_execz .LBB283_1247
; %bb.1242:                             ;   in Loop: Header=BB283_1059 Depth=1
	v_bfe_u32 v34, v12, 16, 7
	v_mov_b32_e32 v22, 0x7c01
	s_mov_b32 s20, exec_lo
	v_cmpx_ne_u32_e32 0x7f, v34
	s_cbranch_execz .LBB283_1246
; %bb.1243:                             ;   in Loop: Header=BB283_1059 Depth=1
	v_and_b32_e32 v22, 7, v3
	v_lshrrev_b32_e32 v32, 3, v34
	s_mov_b32 s21, exec_lo
	v_cmpx_gt_u32_e32 8, v34
; %bb.1244:                             ;   in Loop: Header=BB283_1059 Depth=1
	v_ffbh_u32_e32 v22, v22
	v_min_u32_e32 v22, 32, v22
	v_subrev_nc_u32_e32 v32, 28, v22
	v_lshlrev_b64 v[34:35], v32, v[3:4]
	v_sub_nc_u32_e32 v32, 29, v22
	v_and_b32_e32 v22, 7, v34
; %bb.1245:                             ;   in Loop: Header=BB283_1059 Depth=1
	s_or_b32 exec_lo, exec_lo, s21
	v_lshlrev_b32_e32 v3, 8, v3
	v_lshl_add_u32 v32, v32, 10, 0x2000
	v_lshlrev_b32_e32 v22, 7, v22
	v_and_b32_e32 v3, 0x8000, v3
	v_and_b32_e32 v32, 0xfc00, v32
	v_or3_b32 v22, v3, v32, v22
.LBB283_1246:                           ;   in Loop: Header=BB283_1059 Depth=1
	s_or_b32 exec_lo, exec_lo, s20
.LBB283_1247:                           ;   in Loop: Header=BB283_1059 Depth=1
	s_or_b32 exec_lo, exec_lo, s19
.LBB283_1248:                           ;   in Loop: Header=BB283_1059 Depth=1
	s_or_b32 exec_lo, exec_lo, s18
	v_cmp_lt_u64_e64 s4, s[6:7], v[11:12]
	v_mov_b32_e32 v11, 0
	s_and_saveexec_b32 s18, s4
	s_cbranch_execz .LBB283_1256
; %bb.1249:                             ;   in Loop: Header=BB283_1059 Depth=1
	v_lshrrev_b32_e32 v3, 24, v12
	v_bfrev_b32_e32 v11, 1
	s_mov_b32 s19, exec_lo
	v_cmpx_ne_u32_e32 0x80, v3
	s_cbranch_execz .LBB283_1255
; %bb.1250:                             ;   in Loop: Header=BB283_1059 Depth=1
	v_and_b32_e32 v32, 0x7f, v3
	v_mov_b32_e32 v11, 0x7c010000
	s_mov_b32 s20, exec_lo
	v_cmpx_ne_u32_e32 0x7f, v32
	s_cbranch_execz .LBB283_1254
; %bb.1251:                             ;   in Loop: Header=BB283_1059 Depth=1
	v_and_b32_e32 v11, 7, v3
	v_lshrrev_b32_e32 v12, 3, v32
	s_mov_b32 s21, exec_lo
	v_cmpx_gt_u32_e32 8, v32
; %bb.1252:                             ;   in Loop: Header=BB283_1059 Depth=1
	v_ffbh_u32_e32 v11, v11
	v_min_u32_e32 v32, 32, v11
	v_subrev_nc_u32_e32 v11, 28, v32
	v_lshlrev_b64 v[11:12], v11, v[3:4]
	v_sub_nc_u32_e32 v12, 29, v32
	v_and_b32_e32 v11, 7, v11
; %bb.1253:                             ;   in Loop: Header=BB283_1059 Depth=1
	s_or_b32 exec_lo, exec_lo, s21
	v_lshlrev_b32_e32 v3, 8, v3
	v_lshl_add_u32 v12, v12, 10, 0x2000
	v_lshlrev_b32_e32 v11, 23, v11
	v_and_or_b32 v3, 0x8000, v3, v12
	v_lshl_or_b32 v11, v3, 16, v11
.LBB283_1254:                           ;   in Loop: Header=BB283_1059 Depth=1
	s_or_b32 exec_lo, exec_lo, s20
.LBB283_1255:                           ;   in Loop: Header=BB283_1059 Depth=1
	s_or_b32 exec_lo, exec_lo, s19
.LBB283_1256:                           ;   in Loop: Header=BB283_1059 Depth=1
	s_or_b32 exec_lo, exec_lo, s18
	v_or_b32_e32 v3, v18, v29
	s_waitcnt vmcnt(0) lgkmcnt(0)
	v_fma_mixlo_f16 v12, v0, v18, 0 op_sel:[0,1,0] op_sel_hi:[0,1,0]
	v_or_b32_e32 v2, v1, v2
	v_fma_mixlo_f16 v18, v0, v1, 0 op_sel:[0,1,0] op_sel_hi:[0,1,0]
	v_or_b32_e32 v23, v31, v23
	v_fma_mixlo_f16 v3, v0, v3, 0 op_sel_hi:[0,1,0]
	v_or_b32_e32 v22, v11, v22
	v_lshlrev_b32_e32 v1, 16, v12
	v_lshlrev_b32_e32 v12, 16, v18
	v_fma_mixlo_f16 v18, v0, v2, 0 op_sel_hi:[0,1,0]
	v_and_b32_e32 v2, 0xffff, v3
	v_fma_mixlo_f16 v3, v0, v31, 0 op_sel:[0,1,0] op_sel_hi:[0,1,0]
	v_fma_mixlo_f16 v23, v0, v23, 0 op_sel_hi:[0,1,0]
	v_fma_mixlo_f16 v11, v0, v11, 0 op_sel:[0,1,0] op_sel_hi:[0,1,0]
	v_fma_mixlo_f16 v29, v0, v22, 0 op_sel_hi:[0,1,0]
	v_and_b32_e32 v32, 0xffff, v18
	v_lshlrev_b32_e32 v3, 16, v3
	v_and_b32_e32 v22, 0xffff, v23
	v_lshlrev_b32_e32 v0, 16, v11
	v_and_b32_e32 v11, 0xffff, v29
	v_or_b32_e32 v18, v1, v2
	v_or_b32_e32 v31, v12, v32
	;; [unrolled: 1-line block ×4, first 2 shown]
	s_and_saveexec_b32 s18, vcc_lo
	s_cbranch_execz .LBB283_1258
; %bb.1257:                             ;   in Loop: Header=BB283_1059 Depth=1
	v_cmp_lt_i32_e64 s4, v71, v30
	v_cndmask_b32_e64 v18, 0, v32, s4
	v_cmp_lt_i32_e64 s4, v100, v30
	v_cndmask_b32_e64 v12, 0, v12, s4
	v_cmp_lt_i32_e64 s4, v99, v30
	v_or_b32_e32 v31, v18, v12
	v_cndmask_b32_e64 v2, 0, v2, s4
	v_cmp_lt_i32_e64 s4, v98, v30
	v_cndmask_b32_e64 v1, 0, v1, s4
	v_cmp_lt_i32_e64 s4, v97, v30
	v_or_b32_e32 v18, v2, v1
	;; [unrolled: 5-line block ×3, first 2 shown]
	v_cndmask_b32_e64 v11, 0, v11, s4
	v_cmp_lt_i32_e64 s4, v86, v30
	v_cndmask_b32_e64 v0, 0, v0, s4
	v_or_b32_e32 v23, v11, v0
.LBB283_1258:                           ;   in Loop: Header=BB283_1059 Depth=1
	s_or_b32 exec_lo, exec_lo, s18
	;;#ASMSTART
	v_pk_mul_f16 v0, v85, v31;

	;;#ASMEND
	;;#ASMSTART
	v_pk_mul_f16 v1, v84, v18;

	;;#ASMEND
	;; [unrolled: 4-line block ×4, first 2 shown]
	;;#ASMSTART
	v_pk_add_f16 v0, v0, v1;

	;;#ASMEND
	;;#ASMSTART
	v_pk_add_f16 v0, v0, v2;

	;;#ASMEND
	;; [unrolled: 4-line block ×3, first 2 shown]
	v_and_b32_e32 v1, 0xffff, v0
	v_lshrrev_b32_e32 v0, 16, v0
	;;#ASMSTART
	v_cvt_f32_f16 v103, v1;
	;;#ASMEND
	;;#ASMSTART
	v_cvt_f32_f16 v112, v0;
	;;#ASMEND
	flat_load_dwordx2 v[11:12], v[9:10] offset:768
	flat_load_dword v0, v[62:63]
	v_mov_b32_e32 v1, 0
	v_mov_b32_e32 v2, 0
	s_waitcnt vmcnt(1) lgkmcnt(1)
	v_cmp_ne_u16_sdwa s4, v11, v4 src0_sel:BYTE_0 src1_sel:DWORD
	s_and_saveexec_b32 s18, s4
	s_cbranch_execz .LBB283_1266
; %bb.1259:                             ;   in Loop: Header=BB283_1059 Depth=1
	v_cmp_ne_u16_sdwa s4, v11, v39 src0_sel:BYTE_0 src1_sel:DWORD
	v_mov_b32_e32 v2, 0x8000
	s_and_saveexec_b32 s19, s4
	s_cbranch_execz .LBB283_1265
; %bb.1260:                             ;   in Loop: Header=BB283_1059 Depth=1
	v_and_b32_e32 v18, 0x7f, v11
	v_mov_b32_e32 v2, 0x7c01
	s_mov_b32 s20, exec_lo
	v_cmpx_ne_u32_e32 0x7f, v18
	s_cbranch_execz .LBB283_1264
; %bb.1261:                             ;   in Loop: Header=BB283_1059 Depth=1
	v_and_b32_e32 v2, 7, v11
	v_lshrrev_b32_e32 v3, 3, v18
	s_mov_b32 s21, exec_lo
	v_cmpx_gt_u32_e32 8, v18
; %bb.1262:                             ;   in Loop: Header=BB283_1059 Depth=1
	v_ffbh_u32_e32 v2, v2
	v_min_u32_e32 v18, 32, v2
	v_subrev_nc_u32_e32 v2, 28, v18
	v_lshlrev_b64 v[2:3], v2, v[11:12]
	v_sub_nc_u32_e32 v3, 29, v18
	v_and_b32_e32 v2, 7, v2
; %bb.1263:                             ;   in Loop: Header=BB283_1059 Depth=1
	s_or_b32 exec_lo, exec_lo, s21
	v_lshlrev_b32_e32 v18, 8, v11
	v_lshl_add_u32 v3, v3, 10, 0x2000
	v_lshlrev_b32_e32 v2, 7, v2
	v_and_b32_e32 v18, 0x8000, v18
	v_and_b32_e32 v3, 0xfc00, v3
	v_or3_b32 v2, v18, v3, v2
.LBB283_1264:                           ;   in Loop: Header=BB283_1059 Depth=1
	s_or_b32 exec_lo, exec_lo, s20
.LBB283_1265:                           ;   in Loop: Header=BB283_1059 Depth=1
	s_or_b32 exec_lo, exec_lo, s19
.LBB283_1266:                           ;   in Loop: Header=BB283_1059 Depth=1
	s_or_b32 exec_lo, exec_lo, s18
	v_lshrrev_b16 v3, 8, v11
	s_mov_b32 s18, exec_lo
	v_cmpx_ne_u16_e32 0, v3
	s_cbranch_execz .LBB283_1274
; %bb.1267:                             ;   in Loop: Header=BB283_1059 Depth=1
	v_bfrev_b32_e32 v1, 1
	s_mov_b32 s19, exec_lo
	v_cmpx_ne_u16_e32 0x80, v3
	s_cbranch_execz .LBB283_1273
; %bb.1268:                             ;   in Loop: Header=BB283_1059 Depth=1
	v_and_b32_sdwa v22, v3, v48 dst_sel:DWORD dst_unused:UNUSED_PAD src0_sel:WORD_0 src1_sel:DWORD
	v_mov_b32_e32 v1, 0x7c010000
	s_mov_b32 s20, exec_lo
	v_cmpx_ne_u32_e32 0x7f, v22
	s_cbranch_execz .LBB283_1272
; %bb.1269:                             ;   in Loop: Header=BB283_1059 Depth=1
	v_and_b32_sdwa v1, v3, v19 dst_sel:DWORD dst_unused:UNUSED_PAD src0_sel:WORD_0 src1_sel:DWORD
	v_lshrrev_b32_e32 v18, 3, v22
	s_mov_b32 s21, exec_lo
	v_cmpx_gt_u32_e32 8, v22
; %bb.1270:                             ;   in Loop: Header=BB283_1059 Depth=1
	v_ffbh_u32_e32 v1, v1
	v_min_u32_e32 v1, 32, v1
	v_subrev_nc_u32_e32 v18, 28, v1
	v_lshlrev_b64 v[22:23], v18, v[3:4]
	v_sub_nc_u32_e32 v18, 29, v1
	v_and_b32_e32 v1, 7, v22
; %bb.1271:                             ;   in Loop: Header=BB283_1059 Depth=1
	s_or_b32 exec_lo, exec_lo, s21
	v_lshlrev_b32_sdwa v3, v67, v3 dst_sel:DWORD dst_unused:UNUSED_PAD src0_sel:DWORD src1_sel:WORD_0
	v_lshl_add_u32 v18, v18, 10, 0x2000
	v_lshlrev_b32_e32 v1, 23, v1
	v_and_or_b32 v3, 0x8000, v3, v18
	v_lshl_or_b32 v1, v3, 16, v1
.LBB283_1272:                           ;   in Loop: Header=BB283_1059 Depth=1
	s_or_b32 exec_lo, exec_lo, s20
.LBB283_1273:                           ;   in Loop: Header=BB283_1059 Depth=1
	s_or_b32 exec_lo, exec_lo, s19
.LBB283_1274:                           ;   in Loop: Header=BB283_1059 Depth=1
	s_or_b32 exec_lo, exec_lo, s18
	v_lshrrev_b32_e32 v3, 16, v11
	v_mov_b32_e32 v18, 0
	v_mov_b32_e32 v29, 0
	v_cmp_ne_u16_sdwa s4, v3, v4 src0_sel:BYTE_0 src1_sel:DWORD
	s_and_saveexec_b32 s18, s4
	s_cbranch_execz .LBB283_1282
; %bb.1275:                             ;   in Loop: Header=BB283_1059 Depth=1
	v_cmp_ne_u16_sdwa s4, v3, v39 src0_sel:BYTE_0 src1_sel:DWORD
	v_mov_b32_e32 v29, 0x8000
	s_and_saveexec_b32 s19, s4
	s_cbranch_execz .LBB283_1281
; %bb.1276:                             ;   in Loop: Header=BB283_1059 Depth=1
	v_bfe_u32 v31, v11, 16, 7
	v_mov_b32_e32 v29, 0x7c01
	s_mov_b32 s20, exec_lo
	v_cmpx_ne_u32_e32 0x7f, v31
	s_cbranch_execz .LBB283_1280
; %bb.1277:                             ;   in Loop: Header=BB283_1059 Depth=1
	v_and_b32_e32 v22, 7, v3
	v_lshrrev_b32_e32 v23, 3, v31
	s_mov_b32 s21, exec_lo
	v_cmpx_gt_u32_e32 8, v31
; %bb.1278:                             ;   in Loop: Header=BB283_1059 Depth=1
	v_ffbh_u32_e32 v22, v22
	v_min_u32_e32 v29, 32, v22
	v_subrev_nc_u32_e32 v22, 28, v29
	v_lshlrev_b64 v[22:23], v22, v[3:4]
	v_sub_nc_u32_e32 v23, 29, v29
	v_and_b32_e32 v22, 7, v22
; %bb.1279:                             ;   in Loop: Header=BB283_1059 Depth=1
	s_or_b32 exec_lo, exec_lo, s21
	v_lshlrev_b32_e32 v3, 8, v3
	v_lshl_add_u32 v23, v23, 10, 0x2000
	v_lshlrev_b32_e32 v22, 7, v22
	v_and_b32_e32 v3, 0x8000, v3
	v_and_b32_e32 v23, 0xfc00, v23
	v_or3_b32 v29, v3, v23, v22
.LBB283_1280:                           ;   in Loop: Header=BB283_1059 Depth=1
	s_or_b32 exec_lo, exec_lo, s20
.LBB283_1281:                           ;   in Loop: Header=BB283_1059 Depth=1
	s_or_b32 exec_lo, exec_lo, s19
.LBB283_1282:                           ;   in Loop: Header=BB283_1059 Depth=1
	s_or_b32 exec_lo, exec_lo, s18
	s_mov_b32 s18, exec_lo
	v_cmpx_lt_u32_e32 0xffffff, v11
	s_cbranch_execz .LBB283_1290
; %bb.1283:                             ;   in Loop: Header=BB283_1059 Depth=1
	v_lshrrev_b32_e32 v3, 24, v11
	v_bfrev_b32_e32 v18, 1
	s_mov_b32 s19, exec_lo
	v_cmpx_ne_u32_e32 0x80, v3
	s_cbranch_execz .LBB283_1289
; %bb.1284:                             ;   in Loop: Header=BB283_1059 Depth=1
	v_and_b32_e32 v23, 0x7f, v3
	v_mov_b32_e32 v18, 0x7c010000
	s_mov_b32 s20, exec_lo
	v_cmpx_ne_u32_e32 0x7f, v23
	s_cbranch_execz .LBB283_1288
; %bb.1285:                             ;   in Loop: Header=BB283_1059 Depth=1
	v_and_b32_e32 v18, 7, v3
	v_lshrrev_b32_e32 v22, 3, v23
	s_mov_b32 s21, exec_lo
	v_cmpx_gt_u32_e32 8, v23
; %bb.1286:                             ;   in Loop: Header=BB283_1059 Depth=1
	v_ffbh_u32_e32 v18, v18
	v_min_u32_e32 v18, 32, v18
	v_subrev_nc_u32_e32 v22, 28, v18
	v_lshlrev_b64 v[31:32], v22, v[3:4]
	v_sub_nc_u32_e32 v22, 29, v18
	v_and_b32_e32 v18, 7, v31
; %bb.1287:                             ;   in Loop: Header=BB283_1059 Depth=1
	s_or_b32 exec_lo, exec_lo, s21
	v_lshlrev_b32_e32 v3, 8, v3
	v_lshl_add_u32 v22, v22, 10, 0x2000
	v_lshlrev_b32_e32 v18, 23, v18
	v_and_or_b32 v3, 0x8000, v3, v22
	v_lshl_or_b32 v18, v3, 16, v18
.LBB283_1288:                           ;   in Loop: Header=BB283_1059 Depth=1
	s_or_b32 exec_lo, exec_lo, s20
.LBB283_1289:                           ;   in Loop: Header=BB283_1059 Depth=1
	s_or_b32 exec_lo, exec_lo, s19
.LBB283_1290:                           ;   in Loop: Header=BB283_1059 Depth=1
	s_or_b32 exec_lo, exec_lo, s18
	v_mov_b32_e32 v3, v12
	v_cmp_ne_u16_sdwa s4, v12, v4 src0_sel:BYTE_0 src1_sel:DWORD
	v_mov_b32_e32 v22, 0
	v_mov_b32_e32 v23, 0
	s_and_saveexec_b32 s18, s4
	s_cbranch_execz .LBB283_1298
; %bb.1291:                             ;   in Loop: Header=BB283_1059 Depth=1
	v_cmp_ne_u16_sdwa s4, v12, v39 src0_sel:BYTE_0 src1_sel:DWORD
	v_mov_b32_e32 v23, 0x8000
	s_and_saveexec_b32 s19, s4
	s_cbranch_execz .LBB283_1297
; %bb.1292:                             ;   in Loop: Header=BB283_1059 Depth=1
	v_and_b32_e32 v32, 0x7f, v12
	v_mov_b32_e32 v23, 0x7c01
	s_mov_b32 s20, exec_lo
	v_cmpx_ne_u32_e32 0x7f, v32
	s_cbranch_execz .LBB283_1296
; %bb.1293:                             ;   in Loop: Header=BB283_1059 Depth=1
	v_and_b32_e32 v23, 7, v12
	v_lshrrev_b32_e32 v31, 3, v32
	s_mov_b32 s21, exec_lo
	v_cmpx_gt_u32_e32 8, v32
; %bb.1294:                             ;   in Loop: Header=BB283_1059 Depth=1
	v_ffbh_u32_e32 v23, v23
	v_min_u32_e32 v23, 32, v23
	v_subrev_nc_u32_e32 v31, 28, v23
	v_lshlrev_b64 v[34:35], v31, v[3:4]
	v_sub_nc_u32_e32 v31, 29, v23
	v_and_b32_e32 v23, 7, v34
; %bb.1295:                             ;   in Loop: Header=BB283_1059 Depth=1
	s_or_b32 exec_lo, exec_lo, s21
	v_lshlrev_b32_e32 v32, 8, v12
	v_lshl_add_u32 v31, v31, 10, 0x2000
	v_lshlrev_b32_e32 v23, 7, v23
	v_and_b32_e32 v32, 0x8000, v32
	v_and_b32_e32 v31, 0xfc00, v31
	v_or3_b32 v23, v32, v31, v23
.LBB283_1296:                           ;   in Loop: Header=BB283_1059 Depth=1
	s_or_b32 exec_lo, exec_lo, s20
.LBB283_1297:                           ;   in Loop: Header=BB283_1059 Depth=1
	s_or_b32 exec_lo, exec_lo, s19
.LBB283_1298:                           ;   in Loop: Header=BB283_1059 Depth=1
	s_or_b32 exec_lo, exec_lo, s18
	v_lshrrev_b16 v3, 8, v3
	v_mov_b32_e32 v31, 0
	s_mov_b32 s18, exec_lo
	v_cmpx_ne_u16_e32 0, v3
	s_cbranch_execz .LBB283_1306
; %bb.1299:                             ;   in Loop: Header=BB283_1059 Depth=1
	v_bfrev_b32_e32 v31, 1
	s_mov_b32 s19, exec_lo
	v_cmpx_ne_u16_e32 0x80, v3
	s_cbranch_execz .LBB283_1305
; %bb.1300:                             ;   in Loop: Header=BB283_1059 Depth=1
	v_and_b32_sdwa v34, v3, v48 dst_sel:DWORD dst_unused:UNUSED_PAD src0_sel:WORD_0 src1_sel:DWORD
	v_mov_b32_e32 v31, 0x7c010000
	s_mov_b32 s20, exec_lo
	v_cmpx_ne_u32_e32 0x7f, v34
	s_cbranch_execz .LBB283_1304
; %bb.1301:                             ;   in Loop: Header=BB283_1059 Depth=1
	v_and_b32_sdwa v31, v3, v19 dst_sel:DWORD dst_unused:UNUSED_PAD src0_sel:WORD_0 src1_sel:DWORD
	v_lshrrev_b32_e32 v32, 3, v34
	s_mov_b32 s21, exec_lo
	v_cmpx_gt_u32_e32 8, v34
; %bb.1302:                             ;   in Loop: Header=BB283_1059 Depth=1
	v_ffbh_u32_e32 v31, v31
	v_min_u32_e32 v34, 32, v31
	v_subrev_nc_u32_e32 v31, 28, v34
	v_lshlrev_b64 v[31:32], v31, v[3:4]
	v_sub_nc_u32_e32 v32, 29, v34
	v_and_b32_e32 v31, 7, v31
; %bb.1303:                             ;   in Loop: Header=BB283_1059 Depth=1
	s_or_b32 exec_lo, exec_lo, s21
	v_lshlrev_b32_sdwa v3, v67, v3 dst_sel:DWORD dst_unused:UNUSED_PAD src0_sel:DWORD src1_sel:WORD_0
	v_lshl_add_u32 v32, v32, 10, 0x2000
	v_lshlrev_b32_e32 v31, 23, v31
	v_and_or_b32 v3, 0x8000, v3, v32
	v_lshl_or_b32 v31, v3, 16, v31
.LBB283_1304:                           ;   in Loop: Header=BB283_1059 Depth=1
	s_or_b32 exec_lo, exec_lo, s20
.LBB283_1305:                           ;   in Loop: Header=BB283_1059 Depth=1
	s_or_b32 exec_lo, exec_lo, s19
.LBB283_1306:                           ;   in Loop: Header=BB283_1059 Depth=1
	s_or_b32 exec_lo, exec_lo, s18
	v_lshrrev_b32_e32 v3, 16, v12
	v_cmp_ne_u16_sdwa s4, v3, v4 src0_sel:BYTE_0 src1_sel:DWORD
	s_and_saveexec_b32 s18, s4
	s_cbranch_execz .LBB283_1314
; %bb.1307:                             ;   in Loop: Header=BB283_1059 Depth=1
	v_cmp_ne_u16_sdwa s4, v3, v39 src0_sel:BYTE_0 src1_sel:DWORD
	v_mov_b32_e32 v22, 0x8000
	s_and_saveexec_b32 s19, s4
	s_cbranch_execz .LBB283_1313
; %bb.1308:                             ;   in Loop: Header=BB283_1059 Depth=1
	v_bfe_u32 v34, v12, 16, 7
	v_mov_b32_e32 v22, 0x7c01
	s_mov_b32 s20, exec_lo
	v_cmpx_ne_u32_e32 0x7f, v34
	s_cbranch_execz .LBB283_1312
; %bb.1309:                             ;   in Loop: Header=BB283_1059 Depth=1
	v_and_b32_e32 v22, 7, v3
	v_lshrrev_b32_e32 v32, 3, v34
	s_mov_b32 s21, exec_lo
	v_cmpx_gt_u32_e32 8, v34
; %bb.1310:                             ;   in Loop: Header=BB283_1059 Depth=1
	v_ffbh_u32_e32 v22, v22
	v_min_u32_e32 v22, 32, v22
	v_subrev_nc_u32_e32 v32, 28, v22
	v_lshlrev_b64 v[34:35], v32, v[3:4]
	v_sub_nc_u32_e32 v32, 29, v22
	v_and_b32_e32 v22, 7, v34
; %bb.1311:                             ;   in Loop: Header=BB283_1059 Depth=1
	s_or_b32 exec_lo, exec_lo, s21
	v_lshlrev_b32_e32 v3, 8, v3
	v_lshl_add_u32 v32, v32, 10, 0x2000
	v_lshlrev_b32_e32 v22, 7, v22
	v_and_b32_e32 v3, 0x8000, v3
	v_and_b32_e32 v32, 0xfc00, v32
	v_or3_b32 v22, v3, v32, v22
.LBB283_1312:                           ;   in Loop: Header=BB283_1059 Depth=1
	s_or_b32 exec_lo, exec_lo, s20
.LBB283_1313:                           ;   in Loop: Header=BB283_1059 Depth=1
	s_or_b32 exec_lo, exec_lo, s19
.LBB283_1314:                           ;   in Loop: Header=BB283_1059 Depth=1
	s_or_b32 exec_lo, exec_lo, s18
	v_cmp_lt_u64_e64 s4, s[6:7], v[11:12]
	v_mov_b32_e32 v11, 0
	s_and_saveexec_b32 s18, s4
	s_cbranch_execz .LBB283_1322
; %bb.1315:                             ;   in Loop: Header=BB283_1059 Depth=1
	v_lshrrev_b32_e32 v3, 24, v12
	v_bfrev_b32_e32 v11, 1
	s_mov_b32 s19, exec_lo
	v_cmpx_ne_u32_e32 0x80, v3
	s_cbranch_execz .LBB283_1321
; %bb.1316:                             ;   in Loop: Header=BB283_1059 Depth=1
	v_and_b32_e32 v32, 0x7f, v3
	v_mov_b32_e32 v11, 0x7c010000
	s_mov_b32 s20, exec_lo
	v_cmpx_ne_u32_e32 0x7f, v32
	s_cbranch_execz .LBB283_1320
; %bb.1317:                             ;   in Loop: Header=BB283_1059 Depth=1
	v_and_b32_e32 v11, 7, v3
	v_lshrrev_b32_e32 v12, 3, v32
	s_mov_b32 s21, exec_lo
	v_cmpx_gt_u32_e32 8, v32
; %bb.1318:                             ;   in Loop: Header=BB283_1059 Depth=1
	v_ffbh_u32_e32 v11, v11
	v_min_u32_e32 v32, 32, v11
	v_subrev_nc_u32_e32 v11, 28, v32
	v_lshlrev_b64 v[11:12], v11, v[3:4]
	v_sub_nc_u32_e32 v12, 29, v32
	v_and_b32_e32 v11, 7, v11
; %bb.1319:                             ;   in Loop: Header=BB283_1059 Depth=1
	s_or_b32 exec_lo, exec_lo, s21
	v_lshlrev_b32_e32 v3, 8, v3
	v_lshl_add_u32 v12, v12, 10, 0x2000
	v_lshlrev_b32_e32 v11, 23, v11
	v_and_or_b32 v3, 0x8000, v3, v12
	v_lshl_or_b32 v11, v3, 16, v11
.LBB283_1320:                           ;   in Loop: Header=BB283_1059 Depth=1
	s_or_b32 exec_lo, exec_lo, s20
.LBB283_1321:                           ;   in Loop: Header=BB283_1059 Depth=1
	s_or_b32 exec_lo, exec_lo, s19
.LBB283_1322:                           ;   in Loop: Header=BB283_1059 Depth=1
	s_or_b32 exec_lo, exec_lo, s18
	v_or_b32_e32 v3, v18, v29
	s_waitcnt vmcnt(0) lgkmcnt(0)
	v_fma_mixlo_f16 v12, v0, v18, 0 op_sel:[0,1,0] op_sel_hi:[0,1,0]
	v_or_b32_e32 v2, v1, v2
	v_fma_mixlo_f16 v18, v0, v1, 0 op_sel:[0,1,0] op_sel_hi:[0,1,0]
	v_or_b32_e32 v23, v31, v23
	v_fma_mixlo_f16 v3, v0, v3, 0 op_sel_hi:[0,1,0]
	v_or_b32_e32 v22, v11, v22
	v_lshlrev_b32_e32 v1, 16, v12
	v_lshlrev_b32_e32 v12, 16, v18
	v_fma_mixlo_f16 v18, v0, v2, 0 op_sel_hi:[0,1,0]
	v_and_b32_e32 v2, 0xffff, v3
	v_fma_mixlo_f16 v3, v0, v31, 0 op_sel:[0,1,0] op_sel_hi:[0,1,0]
	v_fma_mixlo_f16 v23, v0, v23, 0 op_sel_hi:[0,1,0]
	v_fma_mixlo_f16 v11, v0, v11, 0 op_sel:[0,1,0] op_sel_hi:[0,1,0]
	v_fma_mixlo_f16 v29, v0, v22, 0 op_sel_hi:[0,1,0]
	v_and_b32_e32 v32, 0xffff, v18
	v_lshlrev_b32_e32 v3, 16, v3
	v_and_b32_e32 v22, 0xffff, v23
	v_lshlrev_b32_e32 v0, 16, v11
	v_and_b32_e32 v11, 0xffff, v29
	v_or_b32_e32 v18, v1, v2
	v_or_b32_e32 v31, v12, v32
	;; [unrolled: 1-line block ×4, first 2 shown]
	s_and_saveexec_b32 s18, vcc_lo
	s_cbranch_execz .LBB283_1324
; %bb.1323:                             ;   in Loop: Header=BB283_1059 Depth=1
	v_cmp_lt_i32_e64 s4, v71, v30
	v_cndmask_b32_e64 v18, 0, v32, s4
	v_cmp_lt_i32_e64 s4, v100, v30
	v_cndmask_b32_e64 v12, 0, v12, s4
	v_cmp_lt_i32_e64 s4, v99, v30
	v_or_b32_e32 v31, v18, v12
	v_cndmask_b32_e64 v2, 0, v2, s4
	v_cmp_lt_i32_e64 s4, v98, v30
	v_cndmask_b32_e64 v1, 0, v1, s4
	v_cmp_lt_i32_e64 s4, v97, v30
	v_or_b32_e32 v18, v2, v1
	;; [unrolled: 5-line block ×3, first 2 shown]
	v_cndmask_b32_e64 v11, 0, v11, s4
	v_cmp_lt_i32_e64 s4, v86, v30
	v_cndmask_b32_e64 v0, 0, v0, s4
	v_or_b32_e32 v23, v11, v0
.LBB283_1324:                           ;   in Loop: Header=BB283_1059 Depth=1
	s_or_b32 exec_lo, exec_lo, s18
	;;#ASMSTART
	v_pk_mul_f16 v0, v85, v31;

	;;#ASMEND
	;;#ASMSTART
	v_pk_mul_f16 v1, v84, v18;

	;;#ASMEND
	;; [unrolled: 4-line block ×4, first 2 shown]
	;;#ASMSTART
	v_pk_add_f16 v0, v0, v1;

	;;#ASMEND
	;;#ASMSTART
	v_pk_add_f16 v0, v0, v2;

	;;#ASMEND
	;; [unrolled: 4-line block ×3, first 2 shown]
	v_and_b32_e32 v1, 0xffff, v0
	v_lshrrev_b32_e32 v0, 16, v0
	;;#ASMSTART
	v_cvt_f32_f16 v113, v1;
	;;#ASMEND
	;;#ASMSTART
	v_cvt_f32_f16 v114, v0;
	;;#ASMEND
	flat_load_dwordx2 v[11:12], v[9:10] offset:1024
	flat_load_dword v0, v[62:63]
	v_mov_b32_e32 v1, 0
	v_mov_b32_e32 v2, 0
	s_waitcnt vmcnt(1) lgkmcnt(1)
	v_cmp_ne_u16_sdwa s4, v11, v4 src0_sel:BYTE_0 src1_sel:DWORD
	s_and_saveexec_b32 s18, s4
	s_cbranch_execz .LBB283_1332
; %bb.1325:                             ;   in Loop: Header=BB283_1059 Depth=1
	v_cmp_ne_u16_sdwa s4, v11, v39 src0_sel:BYTE_0 src1_sel:DWORD
	v_mov_b32_e32 v2, 0x8000
	s_and_saveexec_b32 s19, s4
	s_cbranch_execz .LBB283_1331
; %bb.1326:                             ;   in Loop: Header=BB283_1059 Depth=1
	v_and_b32_e32 v18, 0x7f, v11
	v_mov_b32_e32 v2, 0x7c01
	s_mov_b32 s20, exec_lo
	v_cmpx_ne_u32_e32 0x7f, v18
	s_cbranch_execz .LBB283_1330
; %bb.1327:                             ;   in Loop: Header=BB283_1059 Depth=1
	v_and_b32_e32 v2, 7, v11
	v_lshrrev_b32_e32 v3, 3, v18
	s_mov_b32 s21, exec_lo
	v_cmpx_gt_u32_e32 8, v18
; %bb.1328:                             ;   in Loop: Header=BB283_1059 Depth=1
	v_ffbh_u32_e32 v2, v2
	v_min_u32_e32 v18, 32, v2
	v_subrev_nc_u32_e32 v2, 28, v18
	v_lshlrev_b64 v[2:3], v2, v[11:12]
	v_sub_nc_u32_e32 v3, 29, v18
	v_and_b32_e32 v2, 7, v2
; %bb.1329:                             ;   in Loop: Header=BB283_1059 Depth=1
	s_or_b32 exec_lo, exec_lo, s21
	v_lshlrev_b32_e32 v18, 8, v11
	v_lshl_add_u32 v3, v3, 10, 0x2000
	v_lshlrev_b32_e32 v2, 7, v2
	v_and_b32_e32 v18, 0x8000, v18
	v_and_b32_e32 v3, 0xfc00, v3
	v_or3_b32 v2, v18, v3, v2
.LBB283_1330:                           ;   in Loop: Header=BB283_1059 Depth=1
	s_or_b32 exec_lo, exec_lo, s20
.LBB283_1331:                           ;   in Loop: Header=BB283_1059 Depth=1
	s_or_b32 exec_lo, exec_lo, s19
.LBB283_1332:                           ;   in Loop: Header=BB283_1059 Depth=1
	s_or_b32 exec_lo, exec_lo, s18
	v_lshrrev_b16 v3, 8, v11
	s_mov_b32 s18, exec_lo
	v_cmpx_ne_u16_e32 0, v3
	s_cbranch_execz .LBB283_1340
; %bb.1333:                             ;   in Loop: Header=BB283_1059 Depth=1
	v_bfrev_b32_e32 v1, 1
	s_mov_b32 s19, exec_lo
	v_cmpx_ne_u16_e32 0x80, v3
	s_cbranch_execz .LBB283_1339
; %bb.1334:                             ;   in Loop: Header=BB283_1059 Depth=1
	v_and_b32_sdwa v22, v3, v48 dst_sel:DWORD dst_unused:UNUSED_PAD src0_sel:WORD_0 src1_sel:DWORD
	v_mov_b32_e32 v1, 0x7c010000
	s_mov_b32 s20, exec_lo
	v_cmpx_ne_u32_e32 0x7f, v22
	s_cbranch_execz .LBB283_1338
; %bb.1335:                             ;   in Loop: Header=BB283_1059 Depth=1
	v_and_b32_sdwa v1, v3, v19 dst_sel:DWORD dst_unused:UNUSED_PAD src0_sel:WORD_0 src1_sel:DWORD
	v_lshrrev_b32_e32 v18, 3, v22
	s_mov_b32 s21, exec_lo
	v_cmpx_gt_u32_e32 8, v22
; %bb.1336:                             ;   in Loop: Header=BB283_1059 Depth=1
	v_ffbh_u32_e32 v1, v1
	v_min_u32_e32 v1, 32, v1
	v_subrev_nc_u32_e32 v18, 28, v1
	v_lshlrev_b64 v[22:23], v18, v[3:4]
	v_sub_nc_u32_e32 v18, 29, v1
	v_and_b32_e32 v1, 7, v22
; %bb.1337:                             ;   in Loop: Header=BB283_1059 Depth=1
	s_or_b32 exec_lo, exec_lo, s21
	v_lshlrev_b32_sdwa v3, v67, v3 dst_sel:DWORD dst_unused:UNUSED_PAD src0_sel:DWORD src1_sel:WORD_0
	v_lshl_add_u32 v18, v18, 10, 0x2000
	v_lshlrev_b32_e32 v1, 23, v1
	v_and_or_b32 v3, 0x8000, v3, v18
	v_lshl_or_b32 v1, v3, 16, v1
.LBB283_1338:                           ;   in Loop: Header=BB283_1059 Depth=1
	s_or_b32 exec_lo, exec_lo, s20
.LBB283_1339:                           ;   in Loop: Header=BB283_1059 Depth=1
	s_or_b32 exec_lo, exec_lo, s19
.LBB283_1340:                           ;   in Loop: Header=BB283_1059 Depth=1
	s_or_b32 exec_lo, exec_lo, s18
	v_lshrrev_b32_e32 v3, 16, v11
	v_mov_b32_e32 v18, 0
	v_mov_b32_e32 v29, 0
	v_cmp_ne_u16_sdwa s4, v3, v4 src0_sel:BYTE_0 src1_sel:DWORD
	s_and_saveexec_b32 s18, s4
	s_cbranch_execz .LBB283_1348
; %bb.1341:                             ;   in Loop: Header=BB283_1059 Depth=1
	v_cmp_ne_u16_sdwa s4, v3, v39 src0_sel:BYTE_0 src1_sel:DWORD
	v_mov_b32_e32 v29, 0x8000
	s_and_saveexec_b32 s19, s4
	s_cbranch_execz .LBB283_1347
; %bb.1342:                             ;   in Loop: Header=BB283_1059 Depth=1
	v_bfe_u32 v31, v11, 16, 7
	v_mov_b32_e32 v29, 0x7c01
	s_mov_b32 s20, exec_lo
	v_cmpx_ne_u32_e32 0x7f, v31
	s_cbranch_execz .LBB283_1346
; %bb.1343:                             ;   in Loop: Header=BB283_1059 Depth=1
	v_and_b32_e32 v22, 7, v3
	v_lshrrev_b32_e32 v23, 3, v31
	s_mov_b32 s21, exec_lo
	v_cmpx_gt_u32_e32 8, v31
; %bb.1344:                             ;   in Loop: Header=BB283_1059 Depth=1
	v_ffbh_u32_e32 v22, v22
	v_min_u32_e32 v29, 32, v22
	v_subrev_nc_u32_e32 v22, 28, v29
	v_lshlrev_b64 v[22:23], v22, v[3:4]
	v_sub_nc_u32_e32 v23, 29, v29
	v_and_b32_e32 v22, 7, v22
; %bb.1345:                             ;   in Loop: Header=BB283_1059 Depth=1
	s_or_b32 exec_lo, exec_lo, s21
	v_lshlrev_b32_e32 v3, 8, v3
	v_lshl_add_u32 v23, v23, 10, 0x2000
	v_lshlrev_b32_e32 v22, 7, v22
	v_and_b32_e32 v3, 0x8000, v3
	v_and_b32_e32 v23, 0xfc00, v23
	v_or3_b32 v29, v3, v23, v22
.LBB283_1346:                           ;   in Loop: Header=BB283_1059 Depth=1
	s_or_b32 exec_lo, exec_lo, s20
.LBB283_1347:                           ;   in Loop: Header=BB283_1059 Depth=1
	s_or_b32 exec_lo, exec_lo, s19
.LBB283_1348:                           ;   in Loop: Header=BB283_1059 Depth=1
	s_or_b32 exec_lo, exec_lo, s18
	s_mov_b32 s18, exec_lo
	v_cmpx_lt_u32_e32 0xffffff, v11
	s_cbranch_execz .LBB283_1356
; %bb.1349:                             ;   in Loop: Header=BB283_1059 Depth=1
	v_lshrrev_b32_e32 v3, 24, v11
	v_bfrev_b32_e32 v18, 1
	s_mov_b32 s19, exec_lo
	v_cmpx_ne_u32_e32 0x80, v3
	s_cbranch_execz .LBB283_1355
; %bb.1350:                             ;   in Loop: Header=BB283_1059 Depth=1
	v_and_b32_e32 v23, 0x7f, v3
	v_mov_b32_e32 v18, 0x7c010000
	s_mov_b32 s20, exec_lo
	v_cmpx_ne_u32_e32 0x7f, v23
	s_cbranch_execz .LBB283_1354
; %bb.1351:                             ;   in Loop: Header=BB283_1059 Depth=1
	v_and_b32_e32 v18, 7, v3
	v_lshrrev_b32_e32 v22, 3, v23
	s_mov_b32 s21, exec_lo
	v_cmpx_gt_u32_e32 8, v23
; %bb.1352:                             ;   in Loop: Header=BB283_1059 Depth=1
	v_ffbh_u32_e32 v18, v18
	v_min_u32_e32 v18, 32, v18
	v_subrev_nc_u32_e32 v22, 28, v18
	v_lshlrev_b64 v[31:32], v22, v[3:4]
	v_sub_nc_u32_e32 v22, 29, v18
	v_and_b32_e32 v18, 7, v31
; %bb.1353:                             ;   in Loop: Header=BB283_1059 Depth=1
	s_or_b32 exec_lo, exec_lo, s21
	v_lshlrev_b32_e32 v3, 8, v3
	v_lshl_add_u32 v22, v22, 10, 0x2000
	v_lshlrev_b32_e32 v18, 23, v18
	v_and_or_b32 v3, 0x8000, v3, v22
	v_lshl_or_b32 v18, v3, 16, v18
.LBB283_1354:                           ;   in Loop: Header=BB283_1059 Depth=1
	s_or_b32 exec_lo, exec_lo, s20
.LBB283_1355:                           ;   in Loop: Header=BB283_1059 Depth=1
	s_or_b32 exec_lo, exec_lo, s19
.LBB283_1356:                           ;   in Loop: Header=BB283_1059 Depth=1
	s_or_b32 exec_lo, exec_lo, s18
	v_mov_b32_e32 v3, v12
	v_cmp_ne_u16_sdwa s4, v12, v4 src0_sel:BYTE_0 src1_sel:DWORD
	v_mov_b32_e32 v22, 0
	v_mov_b32_e32 v23, 0
	s_and_saveexec_b32 s18, s4
	s_cbranch_execz .LBB283_1364
; %bb.1357:                             ;   in Loop: Header=BB283_1059 Depth=1
	v_cmp_ne_u16_sdwa s4, v12, v39 src0_sel:BYTE_0 src1_sel:DWORD
	v_mov_b32_e32 v23, 0x8000
	s_and_saveexec_b32 s19, s4
	s_cbranch_execz .LBB283_1363
; %bb.1358:                             ;   in Loop: Header=BB283_1059 Depth=1
	v_and_b32_e32 v32, 0x7f, v12
	v_mov_b32_e32 v23, 0x7c01
	s_mov_b32 s20, exec_lo
	v_cmpx_ne_u32_e32 0x7f, v32
	s_cbranch_execz .LBB283_1362
; %bb.1359:                             ;   in Loop: Header=BB283_1059 Depth=1
	v_and_b32_e32 v23, 7, v12
	v_lshrrev_b32_e32 v31, 3, v32
	s_mov_b32 s21, exec_lo
	v_cmpx_gt_u32_e32 8, v32
; %bb.1360:                             ;   in Loop: Header=BB283_1059 Depth=1
	v_ffbh_u32_e32 v23, v23
	v_min_u32_e32 v23, 32, v23
	v_subrev_nc_u32_e32 v31, 28, v23
	v_lshlrev_b64 v[34:35], v31, v[3:4]
	v_sub_nc_u32_e32 v31, 29, v23
	v_and_b32_e32 v23, 7, v34
; %bb.1361:                             ;   in Loop: Header=BB283_1059 Depth=1
	s_or_b32 exec_lo, exec_lo, s21
	v_lshlrev_b32_e32 v32, 8, v12
	v_lshl_add_u32 v31, v31, 10, 0x2000
	v_lshlrev_b32_e32 v23, 7, v23
	v_and_b32_e32 v32, 0x8000, v32
	v_and_b32_e32 v31, 0xfc00, v31
	v_or3_b32 v23, v32, v31, v23
.LBB283_1362:                           ;   in Loop: Header=BB283_1059 Depth=1
	s_or_b32 exec_lo, exec_lo, s20
.LBB283_1363:                           ;   in Loop: Header=BB283_1059 Depth=1
	s_or_b32 exec_lo, exec_lo, s19
.LBB283_1364:                           ;   in Loop: Header=BB283_1059 Depth=1
	s_or_b32 exec_lo, exec_lo, s18
	v_lshrrev_b16 v3, 8, v3
	v_mov_b32_e32 v31, 0
	s_mov_b32 s18, exec_lo
	v_cmpx_ne_u16_e32 0, v3
	s_cbranch_execz .LBB283_1372
; %bb.1365:                             ;   in Loop: Header=BB283_1059 Depth=1
	v_bfrev_b32_e32 v31, 1
	s_mov_b32 s19, exec_lo
	v_cmpx_ne_u16_e32 0x80, v3
	s_cbranch_execz .LBB283_1371
; %bb.1366:                             ;   in Loop: Header=BB283_1059 Depth=1
	v_and_b32_sdwa v34, v3, v48 dst_sel:DWORD dst_unused:UNUSED_PAD src0_sel:WORD_0 src1_sel:DWORD
	v_mov_b32_e32 v31, 0x7c010000
	s_mov_b32 s20, exec_lo
	v_cmpx_ne_u32_e32 0x7f, v34
	s_cbranch_execz .LBB283_1370
; %bb.1367:                             ;   in Loop: Header=BB283_1059 Depth=1
	v_and_b32_sdwa v31, v3, v19 dst_sel:DWORD dst_unused:UNUSED_PAD src0_sel:WORD_0 src1_sel:DWORD
	v_lshrrev_b32_e32 v32, 3, v34
	s_mov_b32 s21, exec_lo
	v_cmpx_gt_u32_e32 8, v34
; %bb.1368:                             ;   in Loop: Header=BB283_1059 Depth=1
	v_ffbh_u32_e32 v31, v31
	v_min_u32_e32 v34, 32, v31
	v_subrev_nc_u32_e32 v31, 28, v34
	v_lshlrev_b64 v[31:32], v31, v[3:4]
	v_sub_nc_u32_e32 v32, 29, v34
	v_and_b32_e32 v31, 7, v31
; %bb.1369:                             ;   in Loop: Header=BB283_1059 Depth=1
	s_or_b32 exec_lo, exec_lo, s21
	v_lshlrev_b32_sdwa v3, v67, v3 dst_sel:DWORD dst_unused:UNUSED_PAD src0_sel:DWORD src1_sel:WORD_0
	v_lshl_add_u32 v32, v32, 10, 0x2000
	v_lshlrev_b32_e32 v31, 23, v31
	v_and_or_b32 v3, 0x8000, v3, v32
	v_lshl_or_b32 v31, v3, 16, v31
.LBB283_1370:                           ;   in Loop: Header=BB283_1059 Depth=1
	s_or_b32 exec_lo, exec_lo, s20
.LBB283_1371:                           ;   in Loop: Header=BB283_1059 Depth=1
	s_or_b32 exec_lo, exec_lo, s19
.LBB283_1372:                           ;   in Loop: Header=BB283_1059 Depth=1
	s_or_b32 exec_lo, exec_lo, s18
	v_lshrrev_b32_e32 v3, 16, v12
	v_cmp_ne_u16_sdwa s4, v3, v4 src0_sel:BYTE_0 src1_sel:DWORD
	s_and_saveexec_b32 s18, s4
	s_cbranch_execz .LBB283_1380
; %bb.1373:                             ;   in Loop: Header=BB283_1059 Depth=1
	v_cmp_ne_u16_sdwa s4, v3, v39 src0_sel:BYTE_0 src1_sel:DWORD
	v_mov_b32_e32 v22, 0x8000
	s_and_saveexec_b32 s19, s4
	s_cbranch_execz .LBB283_1379
; %bb.1374:                             ;   in Loop: Header=BB283_1059 Depth=1
	v_bfe_u32 v34, v12, 16, 7
	v_mov_b32_e32 v22, 0x7c01
	s_mov_b32 s20, exec_lo
	v_cmpx_ne_u32_e32 0x7f, v34
	s_cbranch_execz .LBB283_1378
; %bb.1375:                             ;   in Loop: Header=BB283_1059 Depth=1
	v_and_b32_e32 v22, 7, v3
	v_lshrrev_b32_e32 v32, 3, v34
	s_mov_b32 s21, exec_lo
	v_cmpx_gt_u32_e32 8, v34
; %bb.1376:                             ;   in Loop: Header=BB283_1059 Depth=1
	v_ffbh_u32_e32 v22, v22
	v_min_u32_e32 v22, 32, v22
	v_subrev_nc_u32_e32 v32, 28, v22
	v_lshlrev_b64 v[34:35], v32, v[3:4]
	v_sub_nc_u32_e32 v32, 29, v22
	v_and_b32_e32 v22, 7, v34
; %bb.1377:                             ;   in Loop: Header=BB283_1059 Depth=1
	s_or_b32 exec_lo, exec_lo, s21
	v_lshlrev_b32_e32 v3, 8, v3
	v_lshl_add_u32 v32, v32, 10, 0x2000
	v_lshlrev_b32_e32 v22, 7, v22
	v_and_b32_e32 v3, 0x8000, v3
	v_and_b32_e32 v32, 0xfc00, v32
	v_or3_b32 v22, v3, v32, v22
.LBB283_1378:                           ;   in Loop: Header=BB283_1059 Depth=1
	s_or_b32 exec_lo, exec_lo, s20
.LBB283_1379:                           ;   in Loop: Header=BB283_1059 Depth=1
	s_or_b32 exec_lo, exec_lo, s19
.LBB283_1380:                           ;   in Loop: Header=BB283_1059 Depth=1
	s_or_b32 exec_lo, exec_lo, s18
	v_cmp_lt_u64_e64 s4, s[6:7], v[11:12]
	v_mov_b32_e32 v11, 0
	s_and_saveexec_b32 s18, s4
	s_cbranch_execz .LBB283_1388
; %bb.1381:                             ;   in Loop: Header=BB283_1059 Depth=1
	v_lshrrev_b32_e32 v3, 24, v12
	v_bfrev_b32_e32 v11, 1
	s_mov_b32 s19, exec_lo
	v_cmpx_ne_u32_e32 0x80, v3
	s_cbranch_execz .LBB283_1387
; %bb.1382:                             ;   in Loop: Header=BB283_1059 Depth=1
	v_and_b32_e32 v32, 0x7f, v3
	v_mov_b32_e32 v11, 0x7c010000
	s_mov_b32 s20, exec_lo
	v_cmpx_ne_u32_e32 0x7f, v32
	s_cbranch_execz .LBB283_1386
; %bb.1383:                             ;   in Loop: Header=BB283_1059 Depth=1
	v_and_b32_e32 v11, 7, v3
	v_lshrrev_b32_e32 v12, 3, v32
	s_mov_b32 s21, exec_lo
	v_cmpx_gt_u32_e32 8, v32
; %bb.1384:                             ;   in Loop: Header=BB283_1059 Depth=1
	v_ffbh_u32_e32 v11, v11
	v_min_u32_e32 v32, 32, v11
	v_subrev_nc_u32_e32 v11, 28, v32
	v_lshlrev_b64 v[11:12], v11, v[3:4]
	v_sub_nc_u32_e32 v12, 29, v32
	v_and_b32_e32 v11, 7, v11
; %bb.1385:                             ;   in Loop: Header=BB283_1059 Depth=1
	s_or_b32 exec_lo, exec_lo, s21
	v_lshlrev_b32_e32 v3, 8, v3
	v_lshl_add_u32 v12, v12, 10, 0x2000
	v_lshlrev_b32_e32 v11, 23, v11
	v_and_or_b32 v3, 0x8000, v3, v12
	v_lshl_or_b32 v11, v3, 16, v11
.LBB283_1386:                           ;   in Loop: Header=BB283_1059 Depth=1
	s_or_b32 exec_lo, exec_lo, s20
.LBB283_1387:                           ;   in Loop: Header=BB283_1059 Depth=1
	s_or_b32 exec_lo, exec_lo, s19
.LBB283_1388:                           ;   in Loop: Header=BB283_1059 Depth=1
	s_or_b32 exec_lo, exec_lo, s18
	v_or_b32_e32 v3, v18, v29
	s_waitcnt vmcnt(0) lgkmcnt(0)
	v_fma_mixlo_f16 v12, v0, v18, 0 op_sel:[0,1,0] op_sel_hi:[0,1,0]
	v_or_b32_e32 v2, v1, v2
	v_fma_mixlo_f16 v18, v0, v1, 0 op_sel:[0,1,0] op_sel_hi:[0,1,0]
	v_or_b32_e32 v23, v31, v23
	v_fma_mixlo_f16 v3, v0, v3, 0 op_sel_hi:[0,1,0]
	v_or_b32_e32 v22, v11, v22
	v_lshlrev_b32_e32 v1, 16, v12
	v_lshlrev_b32_e32 v12, 16, v18
	v_fma_mixlo_f16 v18, v0, v2, 0 op_sel_hi:[0,1,0]
	v_and_b32_e32 v2, 0xffff, v3
	v_fma_mixlo_f16 v3, v0, v31, 0 op_sel:[0,1,0] op_sel_hi:[0,1,0]
	v_fma_mixlo_f16 v23, v0, v23, 0 op_sel_hi:[0,1,0]
	v_fma_mixlo_f16 v11, v0, v11, 0 op_sel:[0,1,0] op_sel_hi:[0,1,0]
	v_fma_mixlo_f16 v29, v0, v22, 0 op_sel_hi:[0,1,0]
	v_and_b32_e32 v32, 0xffff, v18
	v_lshlrev_b32_e32 v3, 16, v3
	v_and_b32_e32 v22, 0xffff, v23
	v_lshlrev_b32_e32 v0, 16, v11
	v_and_b32_e32 v11, 0xffff, v29
	v_or_b32_e32 v18, v1, v2
	v_or_b32_e32 v31, v12, v32
	;; [unrolled: 1-line block ×4, first 2 shown]
	s_and_saveexec_b32 s18, vcc_lo
	s_cbranch_execz .LBB283_1390
; %bb.1389:                             ;   in Loop: Header=BB283_1059 Depth=1
	v_cmp_lt_i32_e64 s4, v71, v30
	v_cndmask_b32_e64 v18, 0, v32, s4
	v_cmp_lt_i32_e64 s4, v100, v30
	v_cndmask_b32_e64 v12, 0, v12, s4
	v_cmp_lt_i32_e64 s4, v99, v30
	v_or_b32_e32 v31, v18, v12
	v_cndmask_b32_e64 v2, 0, v2, s4
	v_cmp_lt_i32_e64 s4, v98, v30
	v_cndmask_b32_e64 v1, 0, v1, s4
	v_cmp_lt_i32_e64 s4, v97, v30
	v_or_b32_e32 v18, v2, v1
	;; [unrolled: 5-line block ×3, first 2 shown]
	v_cndmask_b32_e64 v11, 0, v11, s4
	v_cmp_lt_i32_e64 s4, v86, v30
	v_cndmask_b32_e64 v0, 0, v0, s4
	v_or_b32_e32 v23, v11, v0
.LBB283_1390:                           ;   in Loop: Header=BB283_1059 Depth=1
	s_or_b32 exec_lo, exec_lo, s18
	;;#ASMSTART
	v_pk_mul_f16 v0, v85, v31;

	;;#ASMEND
	;;#ASMSTART
	v_pk_mul_f16 v1, v84, v18;

	;;#ASMEND
	;; [unrolled: 4-line block ×4, first 2 shown]
	;;#ASMSTART
	v_pk_add_f16 v0, v0, v1;

	;;#ASMEND
	;;#ASMSTART
	v_pk_add_f16 v0, v0, v2;

	;;#ASMEND
	;; [unrolled: 4-line block ×3, first 2 shown]
	v_and_b32_e32 v1, 0xffff, v0
	v_lshrrev_b32_e32 v0, 16, v0
	;;#ASMSTART
	v_cvt_f32_f16 v115, v1;
	;;#ASMEND
	;;#ASMSTART
	v_cvt_f32_f16 v116, v0;
	;;#ASMEND
	flat_load_dwordx2 v[11:12], v[9:10] offset:1280
	flat_load_dword v0, v[62:63]
	v_mov_b32_e32 v1, 0
	v_mov_b32_e32 v2, 0
	s_waitcnt vmcnt(1) lgkmcnt(1)
	v_cmp_ne_u16_sdwa s4, v11, v4 src0_sel:BYTE_0 src1_sel:DWORD
	s_and_saveexec_b32 s18, s4
	s_cbranch_execz .LBB283_1398
; %bb.1391:                             ;   in Loop: Header=BB283_1059 Depth=1
	v_cmp_ne_u16_sdwa s4, v11, v39 src0_sel:BYTE_0 src1_sel:DWORD
	v_mov_b32_e32 v2, 0x8000
	s_and_saveexec_b32 s19, s4
	s_cbranch_execz .LBB283_1397
; %bb.1392:                             ;   in Loop: Header=BB283_1059 Depth=1
	v_and_b32_e32 v18, 0x7f, v11
	v_mov_b32_e32 v2, 0x7c01
	s_mov_b32 s20, exec_lo
	v_cmpx_ne_u32_e32 0x7f, v18
	s_cbranch_execz .LBB283_1396
; %bb.1393:                             ;   in Loop: Header=BB283_1059 Depth=1
	v_and_b32_e32 v2, 7, v11
	v_lshrrev_b32_e32 v3, 3, v18
	s_mov_b32 s21, exec_lo
	v_cmpx_gt_u32_e32 8, v18
; %bb.1394:                             ;   in Loop: Header=BB283_1059 Depth=1
	v_ffbh_u32_e32 v2, v2
	v_min_u32_e32 v18, 32, v2
	v_subrev_nc_u32_e32 v2, 28, v18
	v_lshlrev_b64 v[2:3], v2, v[11:12]
	v_sub_nc_u32_e32 v3, 29, v18
	v_and_b32_e32 v2, 7, v2
; %bb.1395:                             ;   in Loop: Header=BB283_1059 Depth=1
	s_or_b32 exec_lo, exec_lo, s21
	v_lshlrev_b32_e32 v18, 8, v11
	v_lshl_add_u32 v3, v3, 10, 0x2000
	v_lshlrev_b32_e32 v2, 7, v2
	v_and_b32_e32 v18, 0x8000, v18
	v_and_b32_e32 v3, 0xfc00, v3
	v_or3_b32 v2, v18, v3, v2
.LBB283_1396:                           ;   in Loop: Header=BB283_1059 Depth=1
	s_or_b32 exec_lo, exec_lo, s20
.LBB283_1397:                           ;   in Loop: Header=BB283_1059 Depth=1
	s_or_b32 exec_lo, exec_lo, s19
.LBB283_1398:                           ;   in Loop: Header=BB283_1059 Depth=1
	s_or_b32 exec_lo, exec_lo, s18
	v_lshrrev_b16 v3, 8, v11
	s_mov_b32 s18, exec_lo
	v_cmpx_ne_u16_e32 0, v3
	s_cbranch_execz .LBB283_1406
; %bb.1399:                             ;   in Loop: Header=BB283_1059 Depth=1
	v_bfrev_b32_e32 v1, 1
	s_mov_b32 s19, exec_lo
	v_cmpx_ne_u16_e32 0x80, v3
	s_cbranch_execz .LBB283_1405
; %bb.1400:                             ;   in Loop: Header=BB283_1059 Depth=1
	v_and_b32_sdwa v22, v3, v48 dst_sel:DWORD dst_unused:UNUSED_PAD src0_sel:WORD_0 src1_sel:DWORD
	v_mov_b32_e32 v1, 0x7c010000
	s_mov_b32 s20, exec_lo
	v_cmpx_ne_u32_e32 0x7f, v22
	s_cbranch_execz .LBB283_1404
; %bb.1401:                             ;   in Loop: Header=BB283_1059 Depth=1
	v_and_b32_sdwa v1, v3, v19 dst_sel:DWORD dst_unused:UNUSED_PAD src0_sel:WORD_0 src1_sel:DWORD
	v_lshrrev_b32_e32 v18, 3, v22
	s_mov_b32 s21, exec_lo
	v_cmpx_gt_u32_e32 8, v22
; %bb.1402:                             ;   in Loop: Header=BB283_1059 Depth=1
	v_ffbh_u32_e32 v1, v1
	v_min_u32_e32 v1, 32, v1
	v_subrev_nc_u32_e32 v18, 28, v1
	v_lshlrev_b64 v[22:23], v18, v[3:4]
	v_sub_nc_u32_e32 v18, 29, v1
	v_and_b32_e32 v1, 7, v22
; %bb.1403:                             ;   in Loop: Header=BB283_1059 Depth=1
	s_or_b32 exec_lo, exec_lo, s21
	v_lshlrev_b32_sdwa v3, v67, v3 dst_sel:DWORD dst_unused:UNUSED_PAD src0_sel:DWORD src1_sel:WORD_0
	v_lshl_add_u32 v18, v18, 10, 0x2000
	v_lshlrev_b32_e32 v1, 23, v1
	v_and_or_b32 v3, 0x8000, v3, v18
	v_lshl_or_b32 v1, v3, 16, v1
.LBB283_1404:                           ;   in Loop: Header=BB283_1059 Depth=1
	s_or_b32 exec_lo, exec_lo, s20
.LBB283_1405:                           ;   in Loop: Header=BB283_1059 Depth=1
	s_or_b32 exec_lo, exec_lo, s19
.LBB283_1406:                           ;   in Loop: Header=BB283_1059 Depth=1
	s_or_b32 exec_lo, exec_lo, s18
	v_lshrrev_b32_e32 v3, 16, v11
	v_mov_b32_e32 v18, 0
	v_mov_b32_e32 v29, 0
	v_cmp_ne_u16_sdwa s4, v3, v4 src0_sel:BYTE_0 src1_sel:DWORD
	s_and_saveexec_b32 s18, s4
	s_cbranch_execz .LBB283_1414
; %bb.1407:                             ;   in Loop: Header=BB283_1059 Depth=1
	v_cmp_ne_u16_sdwa s4, v3, v39 src0_sel:BYTE_0 src1_sel:DWORD
	v_mov_b32_e32 v29, 0x8000
	s_and_saveexec_b32 s19, s4
	s_cbranch_execz .LBB283_1413
; %bb.1408:                             ;   in Loop: Header=BB283_1059 Depth=1
	v_bfe_u32 v31, v11, 16, 7
	v_mov_b32_e32 v29, 0x7c01
	s_mov_b32 s20, exec_lo
	v_cmpx_ne_u32_e32 0x7f, v31
	s_cbranch_execz .LBB283_1412
; %bb.1409:                             ;   in Loop: Header=BB283_1059 Depth=1
	v_and_b32_e32 v22, 7, v3
	v_lshrrev_b32_e32 v23, 3, v31
	s_mov_b32 s21, exec_lo
	v_cmpx_gt_u32_e32 8, v31
; %bb.1410:                             ;   in Loop: Header=BB283_1059 Depth=1
	v_ffbh_u32_e32 v22, v22
	v_min_u32_e32 v29, 32, v22
	v_subrev_nc_u32_e32 v22, 28, v29
	v_lshlrev_b64 v[22:23], v22, v[3:4]
	v_sub_nc_u32_e32 v23, 29, v29
	v_and_b32_e32 v22, 7, v22
; %bb.1411:                             ;   in Loop: Header=BB283_1059 Depth=1
	s_or_b32 exec_lo, exec_lo, s21
	v_lshlrev_b32_e32 v3, 8, v3
	v_lshl_add_u32 v23, v23, 10, 0x2000
	v_lshlrev_b32_e32 v22, 7, v22
	v_and_b32_e32 v3, 0x8000, v3
	v_and_b32_e32 v23, 0xfc00, v23
	v_or3_b32 v29, v3, v23, v22
.LBB283_1412:                           ;   in Loop: Header=BB283_1059 Depth=1
	s_or_b32 exec_lo, exec_lo, s20
.LBB283_1413:                           ;   in Loop: Header=BB283_1059 Depth=1
	s_or_b32 exec_lo, exec_lo, s19
.LBB283_1414:                           ;   in Loop: Header=BB283_1059 Depth=1
	s_or_b32 exec_lo, exec_lo, s18
	s_mov_b32 s18, exec_lo
	v_cmpx_lt_u32_e32 0xffffff, v11
	s_cbranch_execz .LBB283_1422
; %bb.1415:                             ;   in Loop: Header=BB283_1059 Depth=1
	v_lshrrev_b32_e32 v3, 24, v11
	v_bfrev_b32_e32 v18, 1
	s_mov_b32 s19, exec_lo
	v_cmpx_ne_u32_e32 0x80, v3
	s_cbranch_execz .LBB283_1421
; %bb.1416:                             ;   in Loop: Header=BB283_1059 Depth=1
	v_and_b32_e32 v23, 0x7f, v3
	v_mov_b32_e32 v18, 0x7c010000
	s_mov_b32 s20, exec_lo
	v_cmpx_ne_u32_e32 0x7f, v23
	s_cbranch_execz .LBB283_1420
; %bb.1417:                             ;   in Loop: Header=BB283_1059 Depth=1
	v_and_b32_e32 v18, 7, v3
	v_lshrrev_b32_e32 v22, 3, v23
	s_mov_b32 s21, exec_lo
	v_cmpx_gt_u32_e32 8, v23
; %bb.1418:                             ;   in Loop: Header=BB283_1059 Depth=1
	v_ffbh_u32_e32 v18, v18
	v_min_u32_e32 v18, 32, v18
	v_subrev_nc_u32_e32 v22, 28, v18
	v_lshlrev_b64 v[31:32], v22, v[3:4]
	v_sub_nc_u32_e32 v22, 29, v18
	v_and_b32_e32 v18, 7, v31
; %bb.1419:                             ;   in Loop: Header=BB283_1059 Depth=1
	s_or_b32 exec_lo, exec_lo, s21
	v_lshlrev_b32_e32 v3, 8, v3
	v_lshl_add_u32 v22, v22, 10, 0x2000
	v_lshlrev_b32_e32 v18, 23, v18
	v_and_or_b32 v3, 0x8000, v3, v22
	v_lshl_or_b32 v18, v3, 16, v18
.LBB283_1420:                           ;   in Loop: Header=BB283_1059 Depth=1
	s_or_b32 exec_lo, exec_lo, s20
.LBB283_1421:                           ;   in Loop: Header=BB283_1059 Depth=1
	s_or_b32 exec_lo, exec_lo, s19
.LBB283_1422:                           ;   in Loop: Header=BB283_1059 Depth=1
	s_or_b32 exec_lo, exec_lo, s18
	v_mov_b32_e32 v3, v12
	v_cmp_ne_u16_sdwa s4, v12, v4 src0_sel:BYTE_0 src1_sel:DWORD
	v_mov_b32_e32 v22, 0
	v_mov_b32_e32 v23, 0
	s_and_saveexec_b32 s18, s4
	s_cbranch_execz .LBB283_1430
; %bb.1423:                             ;   in Loop: Header=BB283_1059 Depth=1
	v_cmp_ne_u16_sdwa s4, v12, v39 src0_sel:BYTE_0 src1_sel:DWORD
	v_mov_b32_e32 v23, 0x8000
	s_and_saveexec_b32 s19, s4
	s_cbranch_execz .LBB283_1429
; %bb.1424:                             ;   in Loop: Header=BB283_1059 Depth=1
	v_and_b32_e32 v32, 0x7f, v12
	v_mov_b32_e32 v23, 0x7c01
	s_mov_b32 s20, exec_lo
	v_cmpx_ne_u32_e32 0x7f, v32
	s_cbranch_execz .LBB283_1428
; %bb.1425:                             ;   in Loop: Header=BB283_1059 Depth=1
	v_and_b32_e32 v23, 7, v12
	v_lshrrev_b32_e32 v31, 3, v32
	s_mov_b32 s21, exec_lo
	v_cmpx_gt_u32_e32 8, v32
; %bb.1426:                             ;   in Loop: Header=BB283_1059 Depth=1
	v_ffbh_u32_e32 v23, v23
	v_min_u32_e32 v23, 32, v23
	v_subrev_nc_u32_e32 v31, 28, v23
	v_lshlrev_b64 v[34:35], v31, v[3:4]
	v_sub_nc_u32_e32 v31, 29, v23
	v_and_b32_e32 v23, 7, v34
; %bb.1427:                             ;   in Loop: Header=BB283_1059 Depth=1
	s_or_b32 exec_lo, exec_lo, s21
	v_lshlrev_b32_e32 v32, 8, v12
	v_lshl_add_u32 v31, v31, 10, 0x2000
	v_lshlrev_b32_e32 v23, 7, v23
	v_and_b32_e32 v32, 0x8000, v32
	v_and_b32_e32 v31, 0xfc00, v31
	v_or3_b32 v23, v32, v31, v23
.LBB283_1428:                           ;   in Loop: Header=BB283_1059 Depth=1
	s_or_b32 exec_lo, exec_lo, s20
.LBB283_1429:                           ;   in Loop: Header=BB283_1059 Depth=1
	s_or_b32 exec_lo, exec_lo, s19
.LBB283_1430:                           ;   in Loop: Header=BB283_1059 Depth=1
	s_or_b32 exec_lo, exec_lo, s18
	v_lshrrev_b16 v3, 8, v3
	v_mov_b32_e32 v31, 0
	s_mov_b32 s18, exec_lo
	v_cmpx_ne_u16_e32 0, v3
	s_cbranch_execz .LBB283_1438
; %bb.1431:                             ;   in Loop: Header=BB283_1059 Depth=1
	v_bfrev_b32_e32 v31, 1
	s_mov_b32 s19, exec_lo
	v_cmpx_ne_u16_e32 0x80, v3
	s_cbranch_execz .LBB283_1437
; %bb.1432:                             ;   in Loop: Header=BB283_1059 Depth=1
	v_and_b32_sdwa v34, v3, v48 dst_sel:DWORD dst_unused:UNUSED_PAD src0_sel:WORD_0 src1_sel:DWORD
	v_mov_b32_e32 v31, 0x7c010000
	s_mov_b32 s20, exec_lo
	v_cmpx_ne_u32_e32 0x7f, v34
	s_cbranch_execz .LBB283_1436
; %bb.1433:                             ;   in Loop: Header=BB283_1059 Depth=1
	v_and_b32_sdwa v31, v3, v19 dst_sel:DWORD dst_unused:UNUSED_PAD src0_sel:WORD_0 src1_sel:DWORD
	v_lshrrev_b32_e32 v32, 3, v34
	s_mov_b32 s21, exec_lo
	v_cmpx_gt_u32_e32 8, v34
; %bb.1434:                             ;   in Loop: Header=BB283_1059 Depth=1
	v_ffbh_u32_e32 v31, v31
	v_min_u32_e32 v34, 32, v31
	v_subrev_nc_u32_e32 v31, 28, v34
	v_lshlrev_b64 v[31:32], v31, v[3:4]
	v_sub_nc_u32_e32 v32, 29, v34
	v_and_b32_e32 v31, 7, v31
; %bb.1435:                             ;   in Loop: Header=BB283_1059 Depth=1
	s_or_b32 exec_lo, exec_lo, s21
	v_lshlrev_b32_sdwa v3, v67, v3 dst_sel:DWORD dst_unused:UNUSED_PAD src0_sel:DWORD src1_sel:WORD_0
	v_lshl_add_u32 v32, v32, 10, 0x2000
	v_lshlrev_b32_e32 v31, 23, v31
	v_and_or_b32 v3, 0x8000, v3, v32
	v_lshl_or_b32 v31, v3, 16, v31
.LBB283_1436:                           ;   in Loop: Header=BB283_1059 Depth=1
	s_or_b32 exec_lo, exec_lo, s20
.LBB283_1437:                           ;   in Loop: Header=BB283_1059 Depth=1
	s_or_b32 exec_lo, exec_lo, s19
.LBB283_1438:                           ;   in Loop: Header=BB283_1059 Depth=1
	s_or_b32 exec_lo, exec_lo, s18
	v_lshrrev_b32_e32 v3, 16, v12
	v_cmp_ne_u16_sdwa s4, v3, v4 src0_sel:BYTE_0 src1_sel:DWORD
	s_and_saveexec_b32 s18, s4
	s_cbranch_execz .LBB283_1446
; %bb.1439:                             ;   in Loop: Header=BB283_1059 Depth=1
	v_cmp_ne_u16_sdwa s4, v3, v39 src0_sel:BYTE_0 src1_sel:DWORD
	v_mov_b32_e32 v22, 0x8000
	s_and_saveexec_b32 s19, s4
	s_cbranch_execz .LBB283_1445
; %bb.1440:                             ;   in Loop: Header=BB283_1059 Depth=1
	v_bfe_u32 v34, v12, 16, 7
	v_mov_b32_e32 v22, 0x7c01
	s_mov_b32 s20, exec_lo
	v_cmpx_ne_u32_e32 0x7f, v34
	s_cbranch_execz .LBB283_1444
; %bb.1441:                             ;   in Loop: Header=BB283_1059 Depth=1
	v_and_b32_e32 v22, 7, v3
	v_lshrrev_b32_e32 v32, 3, v34
	s_mov_b32 s21, exec_lo
	v_cmpx_gt_u32_e32 8, v34
; %bb.1442:                             ;   in Loop: Header=BB283_1059 Depth=1
	v_ffbh_u32_e32 v22, v22
	v_min_u32_e32 v22, 32, v22
	v_subrev_nc_u32_e32 v32, 28, v22
	v_lshlrev_b64 v[34:35], v32, v[3:4]
	v_sub_nc_u32_e32 v32, 29, v22
	v_and_b32_e32 v22, 7, v34
; %bb.1443:                             ;   in Loop: Header=BB283_1059 Depth=1
	s_or_b32 exec_lo, exec_lo, s21
	v_lshlrev_b32_e32 v3, 8, v3
	v_lshl_add_u32 v32, v32, 10, 0x2000
	v_lshlrev_b32_e32 v22, 7, v22
	v_and_b32_e32 v3, 0x8000, v3
	v_and_b32_e32 v32, 0xfc00, v32
	v_or3_b32 v22, v3, v32, v22
.LBB283_1444:                           ;   in Loop: Header=BB283_1059 Depth=1
	s_or_b32 exec_lo, exec_lo, s20
.LBB283_1445:                           ;   in Loop: Header=BB283_1059 Depth=1
	s_or_b32 exec_lo, exec_lo, s19
.LBB283_1446:                           ;   in Loop: Header=BB283_1059 Depth=1
	s_or_b32 exec_lo, exec_lo, s18
	v_cmp_lt_u64_e64 s4, s[6:7], v[11:12]
	v_mov_b32_e32 v11, 0
	s_and_saveexec_b32 s18, s4
	s_cbranch_execz .LBB283_1454
; %bb.1447:                             ;   in Loop: Header=BB283_1059 Depth=1
	v_lshrrev_b32_e32 v3, 24, v12
	v_bfrev_b32_e32 v11, 1
	s_mov_b32 s19, exec_lo
	v_cmpx_ne_u32_e32 0x80, v3
	s_cbranch_execz .LBB283_1453
; %bb.1448:                             ;   in Loop: Header=BB283_1059 Depth=1
	v_and_b32_e32 v32, 0x7f, v3
	v_mov_b32_e32 v11, 0x7c010000
	s_mov_b32 s20, exec_lo
	v_cmpx_ne_u32_e32 0x7f, v32
	s_cbranch_execz .LBB283_1452
; %bb.1449:                             ;   in Loop: Header=BB283_1059 Depth=1
	v_and_b32_e32 v11, 7, v3
	v_lshrrev_b32_e32 v12, 3, v32
	s_mov_b32 s21, exec_lo
	v_cmpx_gt_u32_e32 8, v32
; %bb.1450:                             ;   in Loop: Header=BB283_1059 Depth=1
	v_ffbh_u32_e32 v11, v11
	v_min_u32_e32 v32, 32, v11
	v_subrev_nc_u32_e32 v11, 28, v32
	v_lshlrev_b64 v[11:12], v11, v[3:4]
	v_sub_nc_u32_e32 v12, 29, v32
	v_and_b32_e32 v11, 7, v11
; %bb.1451:                             ;   in Loop: Header=BB283_1059 Depth=1
	s_or_b32 exec_lo, exec_lo, s21
	v_lshlrev_b32_e32 v3, 8, v3
	v_lshl_add_u32 v12, v12, 10, 0x2000
	v_lshlrev_b32_e32 v11, 23, v11
	v_and_or_b32 v3, 0x8000, v3, v12
	v_lshl_or_b32 v11, v3, 16, v11
.LBB283_1452:                           ;   in Loop: Header=BB283_1059 Depth=1
	s_or_b32 exec_lo, exec_lo, s20
.LBB283_1453:                           ;   in Loop: Header=BB283_1059 Depth=1
	s_or_b32 exec_lo, exec_lo, s19
.LBB283_1454:                           ;   in Loop: Header=BB283_1059 Depth=1
	s_or_b32 exec_lo, exec_lo, s18
	v_or_b32_e32 v3, v18, v29
	s_waitcnt vmcnt(0) lgkmcnt(0)
	v_fma_mixlo_f16 v12, v0, v18, 0 op_sel:[0,1,0] op_sel_hi:[0,1,0]
	v_or_b32_e32 v2, v1, v2
	v_fma_mixlo_f16 v18, v0, v1, 0 op_sel:[0,1,0] op_sel_hi:[0,1,0]
	v_or_b32_e32 v23, v31, v23
	v_fma_mixlo_f16 v3, v0, v3, 0 op_sel_hi:[0,1,0]
	v_or_b32_e32 v22, v11, v22
	v_lshlrev_b32_e32 v1, 16, v12
	v_lshlrev_b32_e32 v12, 16, v18
	v_fma_mixlo_f16 v18, v0, v2, 0 op_sel_hi:[0,1,0]
	v_and_b32_e32 v2, 0xffff, v3
	v_fma_mixlo_f16 v3, v0, v31, 0 op_sel:[0,1,0] op_sel_hi:[0,1,0]
	v_fma_mixlo_f16 v23, v0, v23, 0 op_sel_hi:[0,1,0]
	v_fma_mixlo_f16 v11, v0, v11, 0 op_sel:[0,1,0] op_sel_hi:[0,1,0]
	v_fma_mixlo_f16 v29, v0, v22, 0 op_sel_hi:[0,1,0]
	v_and_b32_e32 v32, 0xffff, v18
	v_lshlrev_b32_e32 v3, 16, v3
	v_and_b32_e32 v22, 0xffff, v23
	v_lshlrev_b32_e32 v0, 16, v11
	v_and_b32_e32 v11, 0xffff, v29
	v_or_b32_e32 v18, v1, v2
	v_or_b32_e32 v31, v12, v32
	;; [unrolled: 1-line block ×4, first 2 shown]
	s_and_saveexec_b32 s18, vcc_lo
	s_cbranch_execz .LBB283_1456
; %bb.1455:                             ;   in Loop: Header=BB283_1059 Depth=1
	v_cmp_lt_i32_e64 s4, v71, v30
	v_cndmask_b32_e64 v18, 0, v32, s4
	v_cmp_lt_i32_e64 s4, v100, v30
	v_cndmask_b32_e64 v12, 0, v12, s4
	v_cmp_lt_i32_e64 s4, v99, v30
	v_or_b32_e32 v31, v18, v12
	v_cndmask_b32_e64 v2, 0, v2, s4
	v_cmp_lt_i32_e64 s4, v98, v30
	v_cndmask_b32_e64 v1, 0, v1, s4
	v_cmp_lt_i32_e64 s4, v97, v30
	v_or_b32_e32 v18, v2, v1
	;; [unrolled: 5-line block ×3, first 2 shown]
	v_cndmask_b32_e64 v11, 0, v11, s4
	v_cmp_lt_i32_e64 s4, v86, v30
	v_cndmask_b32_e64 v0, 0, v0, s4
	v_or_b32_e32 v23, v11, v0
.LBB283_1456:                           ;   in Loop: Header=BB283_1059 Depth=1
	s_or_b32 exec_lo, exec_lo, s18
	;;#ASMSTART
	v_pk_mul_f16 v0, v85, v31;

	;;#ASMEND
	;;#ASMSTART
	v_pk_mul_f16 v1, v84, v18;

	;;#ASMEND
	;; [unrolled: 4-line block ×4, first 2 shown]
	;;#ASMSTART
	v_pk_add_f16 v0, v0, v1;

	;;#ASMEND
	;;#ASMSTART
	v_pk_add_f16 v0, v0, v2;

	;;#ASMEND
	;; [unrolled: 4-line block ×3, first 2 shown]
	v_and_b32_e32 v1, 0xffff, v0
	v_lshrrev_b32_e32 v0, 16, v0
	;;#ASMSTART
	v_cvt_f32_f16 v117, v1;
	;;#ASMEND
	;;#ASMSTART
	v_cvt_f32_f16 v118, v0;
	;;#ASMEND
	flat_load_dwordx2 v[11:12], v[9:10] offset:1536
	flat_load_dword v0, v[62:63]
	v_mov_b32_e32 v1, 0
	v_mov_b32_e32 v2, 0
	s_waitcnt vmcnt(1) lgkmcnt(1)
	v_cmp_ne_u16_sdwa s4, v11, v4 src0_sel:BYTE_0 src1_sel:DWORD
	s_and_saveexec_b32 s18, s4
	s_cbranch_execz .LBB283_1464
; %bb.1457:                             ;   in Loop: Header=BB283_1059 Depth=1
	v_cmp_ne_u16_sdwa s4, v11, v39 src0_sel:BYTE_0 src1_sel:DWORD
	v_mov_b32_e32 v2, 0x8000
	s_and_saveexec_b32 s19, s4
	s_cbranch_execz .LBB283_1463
; %bb.1458:                             ;   in Loop: Header=BB283_1059 Depth=1
	v_and_b32_e32 v18, 0x7f, v11
	v_mov_b32_e32 v2, 0x7c01
	s_mov_b32 s20, exec_lo
	v_cmpx_ne_u32_e32 0x7f, v18
	s_cbranch_execz .LBB283_1462
; %bb.1459:                             ;   in Loop: Header=BB283_1059 Depth=1
	v_and_b32_e32 v2, 7, v11
	v_lshrrev_b32_e32 v3, 3, v18
	s_mov_b32 s21, exec_lo
	v_cmpx_gt_u32_e32 8, v18
; %bb.1460:                             ;   in Loop: Header=BB283_1059 Depth=1
	v_ffbh_u32_e32 v2, v2
	v_min_u32_e32 v18, 32, v2
	v_subrev_nc_u32_e32 v2, 28, v18
	v_lshlrev_b64 v[2:3], v2, v[11:12]
	v_sub_nc_u32_e32 v3, 29, v18
	v_and_b32_e32 v2, 7, v2
; %bb.1461:                             ;   in Loop: Header=BB283_1059 Depth=1
	s_or_b32 exec_lo, exec_lo, s21
	v_lshlrev_b32_e32 v18, 8, v11
	v_lshl_add_u32 v3, v3, 10, 0x2000
	v_lshlrev_b32_e32 v2, 7, v2
	v_and_b32_e32 v18, 0x8000, v18
	v_and_b32_e32 v3, 0xfc00, v3
	v_or3_b32 v2, v18, v3, v2
.LBB283_1462:                           ;   in Loop: Header=BB283_1059 Depth=1
	s_or_b32 exec_lo, exec_lo, s20
.LBB283_1463:                           ;   in Loop: Header=BB283_1059 Depth=1
	s_or_b32 exec_lo, exec_lo, s19
.LBB283_1464:                           ;   in Loop: Header=BB283_1059 Depth=1
	s_or_b32 exec_lo, exec_lo, s18
	v_lshrrev_b16 v3, 8, v11
	s_mov_b32 s18, exec_lo
	v_cmpx_ne_u16_e32 0, v3
	s_cbranch_execz .LBB283_1472
; %bb.1465:                             ;   in Loop: Header=BB283_1059 Depth=1
	v_bfrev_b32_e32 v1, 1
	s_mov_b32 s19, exec_lo
	v_cmpx_ne_u16_e32 0x80, v3
	s_cbranch_execz .LBB283_1471
; %bb.1466:                             ;   in Loop: Header=BB283_1059 Depth=1
	v_and_b32_sdwa v22, v3, v48 dst_sel:DWORD dst_unused:UNUSED_PAD src0_sel:WORD_0 src1_sel:DWORD
	v_mov_b32_e32 v1, 0x7c010000
	s_mov_b32 s20, exec_lo
	v_cmpx_ne_u32_e32 0x7f, v22
	s_cbranch_execz .LBB283_1470
; %bb.1467:                             ;   in Loop: Header=BB283_1059 Depth=1
	v_and_b32_sdwa v1, v3, v19 dst_sel:DWORD dst_unused:UNUSED_PAD src0_sel:WORD_0 src1_sel:DWORD
	v_lshrrev_b32_e32 v18, 3, v22
	s_mov_b32 s21, exec_lo
	v_cmpx_gt_u32_e32 8, v22
; %bb.1468:                             ;   in Loop: Header=BB283_1059 Depth=1
	v_ffbh_u32_e32 v1, v1
	v_min_u32_e32 v1, 32, v1
	v_subrev_nc_u32_e32 v18, 28, v1
	v_lshlrev_b64 v[22:23], v18, v[3:4]
	v_sub_nc_u32_e32 v18, 29, v1
	v_and_b32_e32 v1, 7, v22
; %bb.1469:                             ;   in Loop: Header=BB283_1059 Depth=1
	s_or_b32 exec_lo, exec_lo, s21
	v_lshlrev_b32_sdwa v3, v67, v3 dst_sel:DWORD dst_unused:UNUSED_PAD src0_sel:DWORD src1_sel:WORD_0
	v_lshl_add_u32 v18, v18, 10, 0x2000
	v_lshlrev_b32_e32 v1, 23, v1
	v_and_or_b32 v3, 0x8000, v3, v18
	v_lshl_or_b32 v1, v3, 16, v1
.LBB283_1470:                           ;   in Loop: Header=BB283_1059 Depth=1
	s_or_b32 exec_lo, exec_lo, s20
.LBB283_1471:                           ;   in Loop: Header=BB283_1059 Depth=1
	s_or_b32 exec_lo, exec_lo, s19
.LBB283_1472:                           ;   in Loop: Header=BB283_1059 Depth=1
	s_or_b32 exec_lo, exec_lo, s18
	v_lshrrev_b32_e32 v3, 16, v11
	v_mov_b32_e32 v18, 0
	v_mov_b32_e32 v29, 0
	v_cmp_ne_u16_sdwa s4, v3, v4 src0_sel:BYTE_0 src1_sel:DWORD
	s_and_saveexec_b32 s18, s4
	s_cbranch_execz .LBB283_1480
; %bb.1473:                             ;   in Loop: Header=BB283_1059 Depth=1
	v_cmp_ne_u16_sdwa s4, v3, v39 src0_sel:BYTE_0 src1_sel:DWORD
	v_mov_b32_e32 v29, 0x8000
	s_and_saveexec_b32 s19, s4
	s_cbranch_execz .LBB283_1479
; %bb.1474:                             ;   in Loop: Header=BB283_1059 Depth=1
	v_bfe_u32 v31, v11, 16, 7
	v_mov_b32_e32 v29, 0x7c01
	s_mov_b32 s20, exec_lo
	v_cmpx_ne_u32_e32 0x7f, v31
	s_cbranch_execz .LBB283_1478
; %bb.1475:                             ;   in Loop: Header=BB283_1059 Depth=1
	v_and_b32_e32 v22, 7, v3
	v_lshrrev_b32_e32 v23, 3, v31
	s_mov_b32 s21, exec_lo
	v_cmpx_gt_u32_e32 8, v31
; %bb.1476:                             ;   in Loop: Header=BB283_1059 Depth=1
	v_ffbh_u32_e32 v22, v22
	v_min_u32_e32 v29, 32, v22
	v_subrev_nc_u32_e32 v22, 28, v29
	v_lshlrev_b64 v[22:23], v22, v[3:4]
	v_sub_nc_u32_e32 v23, 29, v29
	v_and_b32_e32 v22, 7, v22
; %bb.1477:                             ;   in Loop: Header=BB283_1059 Depth=1
	s_or_b32 exec_lo, exec_lo, s21
	v_lshlrev_b32_e32 v3, 8, v3
	v_lshl_add_u32 v23, v23, 10, 0x2000
	v_lshlrev_b32_e32 v22, 7, v22
	v_and_b32_e32 v3, 0x8000, v3
	v_and_b32_e32 v23, 0xfc00, v23
	v_or3_b32 v29, v3, v23, v22
.LBB283_1478:                           ;   in Loop: Header=BB283_1059 Depth=1
	s_or_b32 exec_lo, exec_lo, s20
.LBB283_1479:                           ;   in Loop: Header=BB283_1059 Depth=1
	s_or_b32 exec_lo, exec_lo, s19
.LBB283_1480:                           ;   in Loop: Header=BB283_1059 Depth=1
	s_or_b32 exec_lo, exec_lo, s18
	s_mov_b32 s18, exec_lo
	v_cmpx_lt_u32_e32 0xffffff, v11
	s_cbranch_execz .LBB283_1488
; %bb.1481:                             ;   in Loop: Header=BB283_1059 Depth=1
	v_lshrrev_b32_e32 v3, 24, v11
	v_bfrev_b32_e32 v18, 1
	s_mov_b32 s19, exec_lo
	v_cmpx_ne_u32_e32 0x80, v3
	s_cbranch_execz .LBB283_1487
; %bb.1482:                             ;   in Loop: Header=BB283_1059 Depth=1
	v_and_b32_e32 v23, 0x7f, v3
	v_mov_b32_e32 v18, 0x7c010000
	s_mov_b32 s20, exec_lo
	v_cmpx_ne_u32_e32 0x7f, v23
	s_cbranch_execz .LBB283_1486
; %bb.1483:                             ;   in Loop: Header=BB283_1059 Depth=1
	v_and_b32_e32 v18, 7, v3
	v_lshrrev_b32_e32 v22, 3, v23
	s_mov_b32 s21, exec_lo
	v_cmpx_gt_u32_e32 8, v23
; %bb.1484:                             ;   in Loop: Header=BB283_1059 Depth=1
	v_ffbh_u32_e32 v18, v18
	v_min_u32_e32 v18, 32, v18
	v_subrev_nc_u32_e32 v22, 28, v18
	v_lshlrev_b64 v[31:32], v22, v[3:4]
	v_sub_nc_u32_e32 v22, 29, v18
	v_and_b32_e32 v18, 7, v31
; %bb.1485:                             ;   in Loop: Header=BB283_1059 Depth=1
	s_or_b32 exec_lo, exec_lo, s21
	v_lshlrev_b32_e32 v3, 8, v3
	v_lshl_add_u32 v22, v22, 10, 0x2000
	v_lshlrev_b32_e32 v18, 23, v18
	v_and_or_b32 v3, 0x8000, v3, v22
	v_lshl_or_b32 v18, v3, 16, v18
.LBB283_1486:                           ;   in Loop: Header=BB283_1059 Depth=1
	s_or_b32 exec_lo, exec_lo, s20
.LBB283_1487:                           ;   in Loop: Header=BB283_1059 Depth=1
	s_or_b32 exec_lo, exec_lo, s19
.LBB283_1488:                           ;   in Loop: Header=BB283_1059 Depth=1
	s_or_b32 exec_lo, exec_lo, s18
	v_mov_b32_e32 v3, v12
	v_cmp_ne_u16_sdwa s4, v12, v4 src0_sel:BYTE_0 src1_sel:DWORD
	v_mov_b32_e32 v22, 0
	v_mov_b32_e32 v23, 0
	s_and_saveexec_b32 s18, s4
	s_cbranch_execz .LBB283_1496
; %bb.1489:                             ;   in Loop: Header=BB283_1059 Depth=1
	v_cmp_ne_u16_sdwa s4, v12, v39 src0_sel:BYTE_0 src1_sel:DWORD
	v_mov_b32_e32 v23, 0x8000
	s_and_saveexec_b32 s19, s4
	s_cbranch_execz .LBB283_1495
; %bb.1490:                             ;   in Loop: Header=BB283_1059 Depth=1
	v_and_b32_e32 v32, 0x7f, v12
	v_mov_b32_e32 v23, 0x7c01
	s_mov_b32 s20, exec_lo
	v_cmpx_ne_u32_e32 0x7f, v32
	s_cbranch_execz .LBB283_1494
; %bb.1491:                             ;   in Loop: Header=BB283_1059 Depth=1
	v_and_b32_e32 v23, 7, v12
	v_lshrrev_b32_e32 v31, 3, v32
	s_mov_b32 s21, exec_lo
	v_cmpx_gt_u32_e32 8, v32
; %bb.1492:                             ;   in Loop: Header=BB283_1059 Depth=1
	v_ffbh_u32_e32 v23, v23
	v_min_u32_e32 v23, 32, v23
	v_subrev_nc_u32_e32 v31, 28, v23
	v_lshlrev_b64 v[34:35], v31, v[3:4]
	v_sub_nc_u32_e32 v31, 29, v23
	v_and_b32_e32 v23, 7, v34
; %bb.1493:                             ;   in Loop: Header=BB283_1059 Depth=1
	s_or_b32 exec_lo, exec_lo, s21
	v_lshlrev_b32_e32 v32, 8, v12
	v_lshl_add_u32 v31, v31, 10, 0x2000
	v_lshlrev_b32_e32 v23, 7, v23
	v_and_b32_e32 v32, 0x8000, v32
	v_and_b32_e32 v31, 0xfc00, v31
	v_or3_b32 v23, v32, v31, v23
.LBB283_1494:                           ;   in Loop: Header=BB283_1059 Depth=1
	s_or_b32 exec_lo, exec_lo, s20
.LBB283_1495:                           ;   in Loop: Header=BB283_1059 Depth=1
	s_or_b32 exec_lo, exec_lo, s19
.LBB283_1496:                           ;   in Loop: Header=BB283_1059 Depth=1
	s_or_b32 exec_lo, exec_lo, s18
	v_lshrrev_b16 v3, 8, v3
	v_mov_b32_e32 v31, 0
	s_mov_b32 s18, exec_lo
	v_cmpx_ne_u16_e32 0, v3
	s_cbranch_execz .LBB283_1504
; %bb.1497:                             ;   in Loop: Header=BB283_1059 Depth=1
	v_bfrev_b32_e32 v31, 1
	s_mov_b32 s19, exec_lo
	v_cmpx_ne_u16_e32 0x80, v3
	s_cbranch_execz .LBB283_1503
; %bb.1498:                             ;   in Loop: Header=BB283_1059 Depth=1
	v_and_b32_sdwa v34, v3, v48 dst_sel:DWORD dst_unused:UNUSED_PAD src0_sel:WORD_0 src1_sel:DWORD
	v_mov_b32_e32 v31, 0x7c010000
	s_mov_b32 s20, exec_lo
	v_cmpx_ne_u32_e32 0x7f, v34
	s_cbranch_execz .LBB283_1502
; %bb.1499:                             ;   in Loop: Header=BB283_1059 Depth=1
	v_and_b32_sdwa v31, v3, v19 dst_sel:DWORD dst_unused:UNUSED_PAD src0_sel:WORD_0 src1_sel:DWORD
	v_lshrrev_b32_e32 v32, 3, v34
	s_mov_b32 s21, exec_lo
	v_cmpx_gt_u32_e32 8, v34
; %bb.1500:                             ;   in Loop: Header=BB283_1059 Depth=1
	v_ffbh_u32_e32 v31, v31
	v_min_u32_e32 v34, 32, v31
	v_subrev_nc_u32_e32 v31, 28, v34
	v_lshlrev_b64 v[31:32], v31, v[3:4]
	v_sub_nc_u32_e32 v32, 29, v34
	v_and_b32_e32 v31, 7, v31
; %bb.1501:                             ;   in Loop: Header=BB283_1059 Depth=1
	s_or_b32 exec_lo, exec_lo, s21
	v_lshlrev_b32_sdwa v3, v67, v3 dst_sel:DWORD dst_unused:UNUSED_PAD src0_sel:DWORD src1_sel:WORD_0
	v_lshl_add_u32 v32, v32, 10, 0x2000
	v_lshlrev_b32_e32 v31, 23, v31
	v_and_or_b32 v3, 0x8000, v3, v32
	v_lshl_or_b32 v31, v3, 16, v31
.LBB283_1502:                           ;   in Loop: Header=BB283_1059 Depth=1
	s_or_b32 exec_lo, exec_lo, s20
.LBB283_1503:                           ;   in Loop: Header=BB283_1059 Depth=1
	s_or_b32 exec_lo, exec_lo, s19
.LBB283_1504:                           ;   in Loop: Header=BB283_1059 Depth=1
	s_or_b32 exec_lo, exec_lo, s18
	v_lshrrev_b32_e32 v3, 16, v12
	v_cmp_ne_u16_sdwa s4, v3, v4 src0_sel:BYTE_0 src1_sel:DWORD
	s_and_saveexec_b32 s18, s4
	s_cbranch_execz .LBB283_1512
; %bb.1505:                             ;   in Loop: Header=BB283_1059 Depth=1
	v_cmp_ne_u16_sdwa s4, v3, v39 src0_sel:BYTE_0 src1_sel:DWORD
	v_mov_b32_e32 v22, 0x8000
	s_and_saveexec_b32 s19, s4
	s_cbranch_execz .LBB283_1511
; %bb.1506:                             ;   in Loop: Header=BB283_1059 Depth=1
	v_bfe_u32 v34, v12, 16, 7
	v_mov_b32_e32 v22, 0x7c01
	s_mov_b32 s20, exec_lo
	v_cmpx_ne_u32_e32 0x7f, v34
	s_cbranch_execz .LBB283_1510
; %bb.1507:                             ;   in Loop: Header=BB283_1059 Depth=1
	v_and_b32_e32 v22, 7, v3
	v_lshrrev_b32_e32 v32, 3, v34
	s_mov_b32 s21, exec_lo
	v_cmpx_gt_u32_e32 8, v34
; %bb.1508:                             ;   in Loop: Header=BB283_1059 Depth=1
	v_ffbh_u32_e32 v22, v22
	v_min_u32_e32 v22, 32, v22
	v_subrev_nc_u32_e32 v32, 28, v22
	v_lshlrev_b64 v[34:35], v32, v[3:4]
	v_sub_nc_u32_e32 v32, 29, v22
	v_and_b32_e32 v22, 7, v34
; %bb.1509:                             ;   in Loop: Header=BB283_1059 Depth=1
	s_or_b32 exec_lo, exec_lo, s21
	v_lshlrev_b32_e32 v3, 8, v3
	v_lshl_add_u32 v32, v32, 10, 0x2000
	v_lshlrev_b32_e32 v22, 7, v22
	v_and_b32_e32 v3, 0x8000, v3
	v_and_b32_e32 v32, 0xfc00, v32
	v_or3_b32 v22, v3, v32, v22
.LBB283_1510:                           ;   in Loop: Header=BB283_1059 Depth=1
	s_or_b32 exec_lo, exec_lo, s20
.LBB283_1511:                           ;   in Loop: Header=BB283_1059 Depth=1
	s_or_b32 exec_lo, exec_lo, s19
.LBB283_1512:                           ;   in Loop: Header=BB283_1059 Depth=1
	s_or_b32 exec_lo, exec_lo, s18
	v_cmp_lt_u64_e64 s4, s[6:7], v[11:12]
	v_mov_b32_e32 v11, 0
	s_and_saveexec_b32 s18, s4
	s_cbranch_execz .LBB283_1520
; %bb.1513:                             ;   in Loop: Header=BB283_1059 Depth=1
	v_lshrrev_b32_e32 v3, 24, v12
	v_bfrev_b32_e32 v11, 1
	s_mov_b32 s19, exec_lo
	v_cmpx_ne_u32_e32 0x80, v3
	s_cbranch_execz .LBB283_1519
; %bb.1514:                             ;   in Loop: Header=BB283_1059 Depth=1
	v_and_b32_e32 v32, 0x7f, v3
	v_mov_b32_e32 v11, 0x7c010000
	s_mov_b32 s20, exec_lo
	v_cmpx_ne_u32_e32 0x7f, v32
	s_cbranch_execz .LBB283_1518
; %bb.1515:                             ;   in Loop: Header=BB283_1059 Depth=1
	v_and_b32_e32 v11, 7, v3
	v_lshrrev_b32_e32 v12, 3, v32
	s_mov_b32 s21, exec_lo
	v_cmpx_gt_u32_e32 8, v32
; %bb.1516:                             ;   in Loop: Header=BB283_1059 Depth=1
	v_ffbh_u32_e32 v11, v11
	v_min_u32_e32 v32, 32, v11
	v_subrev_nc_u32_e32 v11, 28, v32
	v_lshlrev_b64 v[11:12], v11, v[3:4]
	v_sub_nc_u32_e32 v12, 29, v32
	v_and_b32_e32 v11, 7, v11
; %bb.1517:                             ;   in Loop: Header=BB283_1059 Depth=1
	s_or_b32 exec_lo, exec_lo, s21
	v_lshlrev_b32_e32 v3, 8, v3
	v_lshl_add_u32 v12, v12, 10, 0x2000
	v_lshlrev_b32_e32 v11, 23, v11
	v_and_or_b32 v3, 0x8000, v3, v12
	v_lshl_or_b32 v11, v3, 16, v11
.LBB283_1518:                           ;   in Loop: Header=BB283_1059 Depth=1
	s_or_b32 exec_lo, exec_lo, s20
.LBB283_1519:                           ;   in Loop: Header=BB283_1059 Depth=1
	s_or_b32 exec_lo, exec_lo, s19
.LBB283_1520:                           ;   in Loop: Header=BB283_1059 Depth=1
	s_or_b32 exec_lo, exec_lo, s18
	v_or_b32_e32 v3, v18, v29
	s_waitcnt vmcnt(0) lgkmcnt(0)
	v_fma_mixlo_f16 v12, v0, v18, 0 op_sel:[0,1,0] op_sel_hi:[0,1,0]
	v_or_b32_e32 v2, v1, v2
	v_fma_mixlo_f16 v18, v0, v1, 0 op_sel:[0,1,0] op_sel_hi:[0,1,0]
	v_or_b32_e32 v23, v31, v23
	v_fma_mixlo_f16 v3, v0, v3, 0 op_sel_hi:[0,1,0]
	v_or_b32_e32 v22, v11, v22
	v_lshlrev_b32_e32 v1, 16, v12
	v_lshlrev_b32_e32 v12, 16, v18
	v_fma_mixlo_f16 v18, v0, v2, 0 op_sel_hi:[0,1,0]
	v_and_b32_e32 v2, 0xffff, v3
	v_fma_mixlo_f16 v3, v0, v31, 0 op_sel:[0,1,0] op_sel_hi:[0,1,0]
	v_fma_mixlo_f16 v23, v0, v23, 0 op_sel_hi:[0,1,0]
	v_fma_mixlo_f16 v11, v0, v11, 0 op_sel:[0,1,0] op_sel_hi:[0,1,0]
	v_fma_mixlo_f16 v29, v0, v22, 0 op_sel_hi:[0,1,0]
	v_and_b32_e32 v32, 0xffff, v18
	v_lshlrev_b32_e32 v3, 16, v3
	v_and_b32_e32 v22, 0xffff, v23
	v_lshlrev_b32_e32 v0, 16, v11
	v_and_b32_e32 v11, 0xffff, v29
	v_or_b32_e32 v18, v1, v2
	v_or_b32_e32 v31, v12, v32
	;; [unrolled: 1-line block ×4, first 2 shown]
	s_and_saveexec_b32 s18, vcc_lo
	s_cbranch_execz .LBB283_1522
; %bb.1521:                             ;   in Loop: Header=BB283_1059 Depth=1
	v_cmp_lt_i32_e64 s4, v71, v30
	v_cndmask_b32_e64 v18, 0, v32, s4
	v_cmp_lt_i32_e64 s4, v100, v30
	v_cndmask_b32_e64 v12, 0, v12, s4
	v_cmp_lt_i32_e64 s4, v99, v30
	v_or_b32_e32 v31, v18, v12
	v_cndmask_b32_e64 v2, 0, v2, s4
	v_cmp_lt_i32_e64 s4, v98, v30
	v_cndmask_b32_e64 v1, 0, v1, s4
	v_cmp_lt_i32_e64 s4, v97, v30
	v_or_b32_e32 v18, v2, v1
	v_cndmask_b32_e64 v22, 0, v22, s4
	v_cmp_lt_i32_e64 s4, v96, v30
	v_cndmask_b32_e64 v3, 0, v3, s4
	v_cmp_lt_i32_e64 s4, v87, v30
	v_or_b32_e32 v29, v22, v3
	v_cndmask_b32_e64 v11, 0, v11, s4
	v_cmp_lt_i32_e64 s4, v86, v30
	v_cndmask_b32_e64 v0, 0, v0, s4
	v_or_b32_e32 v23, v11, v0
.LBB283_1522:                           ;   in Loop: Header=BB283_1059 Depth=1
	s_or_b32 exec_lo, exec_lo, s18
	;;#ASMSTART
	v_pk_mul_f16 v0, v85, v31;

	;;#ASMEND
	;;#ASMSTART
	v_pk_mul_f16 v1, v84, v18;

	;;#ASMEND
	;; [unrolled: 4-line block ×4, first 2 shown]
	;;#ASMSTART
	v_pk_add_f16 v0, v0, v1;

	;;#ASMEND
	;;#ASMSTART
	v_pk_add_f16 v0, v0, v2;

	;;#ASMEND
	;; [unrolled: 4-line block ×3, first 2 shown]
	v_and_b32_e32 v1, 0xffff, v0
	v_lshrrev_b32_e32 v0, 16, v0
	;;#ASMSTART
	v_cvt_f32_f16 v119, v1;
	;;#ASMEND
	;;#ASMSTART
	v_cvt_f32_f16 v40, v0;
	;;#ASMEND
	flat_load_dwordx2 v[11:12], v[9:10] offset:1792
	flat_load_dword v0, v[62:63]
	v_mov_b32_e32 v1, 0
	v_mov_b32_e32 v2, 0
	s_waitcnt vmcnt(1) lgkmcnt(1)
	v_cmp_ne_u16_sdwa s4, v11, v4 src0_sel:BYTE_0 src1_sel:DWORD
	s_and_saveexec_b32 s18, s4
	s_cbranch_execz .LBB283_1530
; %bb.1523:                             ;   in Loop: Header=BB283_1059 Depth=1
	v_cmp_ne_u16_sdwa s4, v11, v39 src0_sel:BYTE_0 src1_sel:DWORD
	v_mov_b32_e32 v2, 0x8000
	s_and_saveexec_b32 s19, s4
	s_cbranch_execz .LBB283_1529
; %bb.1524:                             ;   in Loop: Header=BB283_1059 Depth=1
	v_and_b32_e32 v18, 0x7f, v11
	v_mov_b32_e32 v2, 0x7c01
	s_mov_b32 s20, exec_lo
	v_cmpx_ne_u32_e32 0x7f, v18
	s_cbranch_execz .LBB283_1528
; %bb.1525:                             ;   in Loop: Header=BB283_1059 Depth=1
	v_and_b32_e32 v2, 7, v11
	v_lshrrev_b32_e32 v3, 3, v18
	s_mov_b32 s21, exec_lo
	v_cmpx_gt_u32_e32 8, v18
; %bb.1526:                             ;   in Loop: Header=BB283_1059 Depth=1
	v_ffbh_u32_e32 v2, v2
	v_min_u32_e32 v18, 32, v2
	v_subrev_nc_u32_e32 v2, 28, v18
	v_lshlrev_b64 v[2:3], v2, v[11:12]
	v_sub_nc_u32_e32 v3, 29, v18
	v_and_b32_e32 v2, 7, v2
; %bb.1527:                             ;   in Loop: Header=BB283_1059 Depth=1
	s_or_b32 exec_lo, exec_lo, s21
	v_lshlrev_b32_e32 v18, 8, v11
	v_lshl_add_u32 v3, v3, 10, 0x2000
	v_lshlrev_b32_e32 v2, 7, v2
	v_and_b32_e32 v18, 0x8000, v18
	v_and_b32_e32 v3, 0xfc00, v3
	v_or3_b32 v2, v18, v3, v2
.LBB283_1528:                           ;   in Loop: Header=BB283_1059 Depth=1
	s_or_b32 exec_lo, exec_lo, s20
.LBB283_1529:                           ;   in Loop: Header=BB283_1059 Depth=1
	s_or_b32 exec_lo, exec_lo, s19
.LBB283_1530:                           ;   in Loop: Header=BB283_1059 Depth=1
	s_or_b32 exec_lo, exec_lo, s18
	v_lshrrev_b16 v3, 8, v11
	s_mov_b32 s18, exec_lo
	v_cmpx_ne_u16_e32 0, v3
	s_cbranch_execz .LBB283_1538
; %bb.1531:                             ;   in Loop: Header=BB283_1059 Depth=1
	v_bfrev_b32_e32 v1, 1
	s_mov_b32 s19, exec_lo
	v_cmpx_ne_u16_e32 0x80, v3
	s_cbranch_execz .LBB283_1537
; %bb.1532:                             ;   in Loop: Header=BB283_1059 Depth=1
	v_and_b32_sdwa v22, v3, v48 dst_sel:DWORD dst_unused:UNUSED_PAD src0_sel:WORD_0 src1_sel:DWORD
	v_mov_b32_e32 v1, 0x7c010000
	s_mov_b32 s20, exec_lo
	v_cmpx_ne_u32_e32 0x7f, v22
	s_cbranch_execz .LBB283_1536
; %bb.1533:                             ;   in Loop: Header=BB283_1059 Depth=1
	v_and_b32_sdwa v1, v3, v19 dst_sel:DWORD dst_unused:UNUSED_PAD src0_sel:WORD_0 src1_sel:DWORD
	v_lshrrev_b32_e32 v18, 3, v22
	s_mov_b32 s21, exec_lo
	v_cmpx_gt_u32_e32 8, v22
; %bb.1534:                             ;   in Loop: Header=BB283_1059 Depth=1
	v_ffbh_u32_e32 v1, v1
	v_min_u32_e32 v1, 32, v1
	v_subrev_nc_u32_e32 v18, 28, v1
	v_lshlrev_b64 v[22:23], v18, v[3:4]
	v_sub_nc_u32_e32 v18, 29, v1
	v_and_b32_e32 v1, 7, v22
; %bb.1535:                             ;   in Loop: Header=BB283_1059 Depth=1
	s_or_b32 exec_lo, exec_lo, s21
	v_lshlrev_b32_sdwa v3, v67, v3 dst_sel:DWORD dst_unused:UNUSED_PAD src0_sel:DWORD src1_sel:WORD_0
	v_lshl_add_u32 v18, v18, 10, 0x2000
	v_lshlrev_b32_e32 v1, 23, v1
	v_and_or_b32 v3, 0x8000, v3, v18
	v_lshl_or_b32 v1, v3, 16, v1
.LBB283_1536:                           ;   in Loop: Header=BB283_1059 Depth=1
	s_or_b32 exec_lo, exec_lo, s20
.LBB283_1537:                           ;   in Loop: Header=BB283_1059 Depth=1
	s_or_b32 exec_lo, exec_lo, s19
.LBB283_1538:                           ;   in Loop: Header=BB283_1059 Depth=1
	s_or_b32 exec_lo, exec_lo, s18
	v_lshrrev_b32_e32 v3, 16, v11
	v_mov_b32_e32 v18, 0
	v_mov_b32_e32 v29, 0
	v_cmp_ne_u16_sdwa s4, v3, v4 src0_sel:BYTE_0 src1_sel:DWORD
	s_and_saveexec_b32 s18, s4
	s_cbranch_execz .LBB283_1546
; %bb.1539:                             ;   in Loop: Header=BB283_1059 Depth=1
	v_cmp_ne_u16_sdwa s4, v3, v39 src0_sel:BYTE_0 src1_sel:DWORD
	v_mov_b32_e32 v29, 0x8000
	s_and_saveexec_b32 s19, s4
	s_cbranch_execz .LBB283_1545
; %bb.1540:                             ;   in Loop: Header=BB283_1059 Depth=1
	v_bfe_u32 v31, v11, 16, 7
	v_mov_b32_e32 v29, 0x7c01
	s_mov_b32 s20, exec_lo
	v_cmpx_ne_u32_e32 0x7f, v31
	s_cbranch_execz .LBB283_1544
; %bb.1541:                             ;   in Loop: Header=BB283_1059 Depth=1
	v_and_b32_e32 v22, 7, v3
	v_lshrrev_b32_e32 v23, 3, v31
	s_mov_b32 s21, exec_lo
	v_cmpx_gt_u32_e32 8, v31
; %bb.1542:                             ;   in Loop: Header=BB283_1059 Depth=1
	v_ffbh_u32_e32 v22, v22
	v_min_u32_e32 v29, 32, v22
	v_subrev_nc_u32_e32 v22, 28, v29
	v_lshlrev_b64 v[22:23], v22, v[3:4]
	v_sub_nc_u32_e32 v23, 29, v29
	v_and_b32_e32 v22, 7, v22
; %bb.1543:                             ;   in Loop: Header=BB283_1059 Depth=1
	s_or_b32 exec_lo, exec_lo, s21
	v_lshlrev_b32_e32 v3, 8, v3
	v_lshl_add_u32 v23, v23, 10, 0x2000
	v_lshlrev_b32_e32 v22, 7, v22
	v_and_b32_e32 v3, 0x8000, v3
	v_and_b32_e32 v23, 0xfc00, v23
	v_or3_b32 v29, v3, v23, v22
.LBB283_1544:                           ;   in Loop: Header=BB283_1059 Depth=1
	s_or_b32 exec_lo, exec_lo, s20
.LBB283_1545:                           ;   in Loop: Header=BB283_1059 Depth=1
	s_or_b32 exec_lo, exec_lo, s19
.LBB283_1546:                           ;   in Loop: Header=BB283_1059 Depth=1
	s_or_b32 exec_lo, exec_lo, s18
	s_mov_b32 s18, exec_lo
	v_cmpx_lt_u32_e32 0xffffff, v11
	s_cbranch_execz .LBB283_1554
; %bb.1547:                             ;   in Loop: Header=BB283_1059 Depth=1
	v_lshrrev_b32_e32 v3, 24, v11
	v_bfrev_b32_e32 v18, 1
	s_mov_b32 s19, exec_lo
	v_cmpx_ne_u32_e32 0x80, v3
	s_cbranch_execz .LBB283_1553
; %bb.1548:                             ;   in Loop: Header=BB283_1059 Depth=1
	v_and_b32_e32 v23, 0x7f, v3
	v_mov_b32_e32 v18, 0x7c010000
	s_mov_b32 s20, exec_lo
	v_cmpx_ne_u32_e32 0x7f, v23
	s_cbranch_execz .LBB283_1552
; %bb.1549:                             ;   in Loop: Header=BB283_1059 Depth=1
	v_and_b32_e32 v18, 7, v3
	v_lshrrev_b32_e32 v22, 3, v23
	s_mov_b32 s21, exec_lo
	v_cmpx_gt_u32_e32 8, v23
; %bb.1550:                             ;   in Loop: Header=BB283_1059 Depth=1
	v_ffbh_u32_e32 v18, v18
	v_min_u32_e32 v18, 32, v18
	v_subrev_nc_u32_e32 v22, 28, v18
	v_lshlrev_b64 v[31:32], v22, v[3:4]
	v_sub_nc_u32_e32 v22, 29, v18
	v_and_b32_e32 v18, 7, v31
; %bb.1551:                             ;   in Loop: Header=BB283_1059 Depth=1
	s_or_b32 exec_lo, exec_lo, s21
	v_lshlrev_b32_e32 v3, 8, v3
	v_lshl_add_u32 v22, v22, 10, 0x2000
	v_lshlrev_b32_e32 v18, 23, v18
	v_and_or_b32 v3, 0x8000, v3, v22
	v_lshl_or_b32 v18, v3, 16, v18
.LBB283_1552:                           ;   in Loop: Header=BB283_1059 Depth=1
	s_or_b32 exec_lo, exec_lo, s20
.LBB283_1553:                           ;   in Loop: Header=BB283_1059 Depth=1
	s_or_b32 exec_lo, exec_lo, s19
.LBB283_1554:                           ;   in Loop: Header=BB283_1059 Depth=1
	s_or_b32 exec_lo, exec_lo, s18
	v_mov_b32_e32 v3, v12
	v_cmp_ne_u16_sdwa s4, v12, v4 src0_sel:BYTE_0 src1_sel:DWORD
	v_mov_b32_e32 v22, 0
	v_mov_b32_e32 v23, 0
	s_and_saveexec_b32 s18, s4
	s_cbranch_execz .LBB283_1562
; %bb.1555:                             ;   in Loop: Header=BB283_1059 Depth=1
	v_cmp_ne_u16_sdwa s4, v12, v39 src0_sel:BYTE_0 src1_sel:DWORD
	v_mov_b32_e32 v23, 0x8000
	s_and_saveexec_b32 s19, s4
	s_cbranch_execz .LBB283_1561
; %bb.1556:                             ;   in Loop: Header=BB283_1059 Depth=1
	v_and_b32_e32 v32, 0x7f, v12
	v_mov_b32_e32 v23, 0x7c01
	s_mov_b32 s20, exec_lo
	v_cmpx_ne_u32_e32 0x7f, v32
	s_cbranch_execz .LBB283_1560
; %bb.1557:                             ;   in Loop: Header=BB283_1059 Depth=1
	v_and_b32_e32 v23, 7, v12
	v_lshrrev_b32_e32 v31, 3, v32
	s_mov_b32 s21, exec_lo
	v_cmpx_gt_u32_e32 8, v32
; %bb.1558:                             ;   in Loop: Header=BB283_1059 Depth=1
	v_ffbh_u32_e32 v23, v23
	v_min_u32_e32 v23, 32, v23
	v_subrev_nc_u32_e32 v31, 28, v23
	v_lshlrev_b64 v[34:35], v31, v[3:4]
	v_sub_nc_u32_e32 v31, 29, v23
	v_and_b32_e32 v23, 7, v34
; %bb.1559:                             ;   in Loop: Header=BB283_1059 Depth=1
	s_or_b32 exec_lo, exec_lo, s21
	v_lshlrev_b32_e32 v32, 8, v12
	v_lshl_add_u32 v31, v31, 10, 0x2000
	v_lshlrev_b32_e32 v23, 7, v23
	v_and_b32_e32 v32, 0x8000, v32
	v_and_b32_e32 v31, 0xfc00, v31
	v_or3_b32 v23, v32, v31, v23
.LBB283_1560:                           ;   in Loop: Header=BB283_1059 Depth=1
	s_or_b32 exec_lo, exec_lo, s20
.LBB283_1561:                           ;   in Loop: Header=BB283_1059 Depth=1
	s_or_b32 exec_lo, exec_lo, s19
.LBB283_1562:                           ;   in Loop: Header=BB283_1059 Depth=1
	s_or_b32 exec_lo, exec_lo, s18
	v_lshrrev_b16 v3, 8, v3
	v_mov_b32_e32 v31, 0
	s_mov_b32 s18, exec_lo
	v_cmpx_ne_u16_e32 0, v3
	s_cbranch_execz .LBB283_1570
; %bb.1563:                             ;   in Loop: Header=BB283_1059 Depth=1
	v_bfrev_b32_e32 v31, 1
	s_mov_b32 s19, exec_lo
	v_cmpx_ne_u16_e32 0x80, v3
	s_cbranch_execz .LBB283_1569
; %bb.1564:                             ;   in Loop: Header=BB283_1059 Depth=1
	v_and_b32_sdwa v34, v3, v48 dst_sel:DWORD dst_unused:UNUSED_PAD src0_sel:WORD_0 src1_sel:DWORD
	v_mov_b32_e32 v31, 0x7c010000
	s_mov_b32 s20, exec_lo
	v_cmpx_ne_u32_e32 0x7f, v34
	s_cbranch_execz .LBB283_1568
; %bb.1565:                             ;   in Loop: Header=BB283_1059 Depth=1
	v_and_b32_sdwa v31, v3, v19 dst_sel:DWORD dst_unused:UNUSED_PAD src0_sel:WORD_0 src1_sel:DWORD
	v_lshrrev_b32_e32 v32, 3, v34
	s_mov_b32 s21, exec_lo
	v_cmpx_gt_u32_e32 8, v34
; %bb.1566:                             ;   in Loop: Header=BB283_1059 Depth=1
	v_ffbh_u32_e32 v31, v31
	v_min_u32_e32 v34, 32, v31
	v_subrev_nc_u32_e32 v31, 28, v34
	v_lshlrev_b64 v[31:32], v31, v[3:4]
	v_sub_nc_u32_e32 v32, 29, v34
	v_and_b32_e32 v31, 7, v31
; %bb.1567:                             ;   in Loop: Header=BB283_1059 Depth=1
	s_or_b32 exec_lo, exec_lo, s21
	v_lshlrev_b32_sdwa v3, v67, v3 dst_sel:DWORD dst_unused:UNUSED_PAD src0_sel:DWORD src1_sel:WORD_0
	v_lshl_add_u32 v32, v32, 10, 0x2000
	v_lshlrev_b32_e32 v31, 23, v31
	v_and_or_b32 v3, 0x8000, v3, v32
	v_lshl_or_b32 v31, v3, 16, v31
.LBB283_1568:                           ;   in Loop: Header=BB283_1059 Depth=1
	s_or_b32 exec_lo, exec_lo, s20
.LBB283_1569:                           ;   in Loop: Header=BB283_1059 Depth=1
	s_or_b32 exec_lo, exec_lo, s19
.LBB283_1570:                           ;   in Loop: Header=BB283_1059 Depth=1
	s_or_b32 exec_lo, exec_lo, s18
	v_lshrrev_b32_e32 v3, 16, v12
	v_cmp_ne_u16_sdwa s4, v3, v4 src0_sel:BYTE_0 src1_sel:DWORD
	s_and_saveexec_b32 s18, s4
	s_cbranch_execz .LBB283_1578
; %bb.1571:                             ;   in Loop: Header=BB283_1059 Depth=1
	v_cmp_ne_u16_sdwa s4, v3, v39 src0_sel:BYTE_0 src1_sel:DWORD
	v_mov_b32_e32 v22, 0x8000
	s_and_saveexec_b32 s19, s4
	s_cbranch_execz .LBB283_1577
; %bb.1572:                             ;   in Loop: Header=BB283_1059 Depth=1
	v_bfe_u32 v34, v12, 16, 7
	v_mov_b32_e32 v22, 0x7c01
	s_mov_b32 s20, exec_lo
	v_cmpx_ne_u32_e32 0x7f, v34
	s_cbranch_execz .LBB283_1576
; %bb.1573:                             ;   in Loop: Header=BB283_1059 Depth=1
	v_and_b32_e32 v22, 7, v3
	v_lshrrev_b32_e32 v32, 3, v34
	s_mov_b32 s21, exec_lo
	v_cmpx_gt_u32_e32 8, v34
; %bb.1574:                             ;   in Loop: Header=BB283_1059 Depth=1
	v_ffbh_u32_e32 v22, v22
	v_min_u32_e32 v22, 32, v22
	v_subrev_nc_u32_e32 v32, 28, v22
	v_lshlrev_b64 v[34:35], v32, v[3:4]
	v_sub_nc_u32_e32 v32, 29, v22
	v_and_b32_e32 v22, 7, v34
; %bb.1575:                             ;   in Loop: Header=BB283_1059 Depth=1
	s_or_b32 exec_lo, exec_lo, s21
	v_lshlrev_b32_e32 v3, 8, v3
	v_lshl_add_u32 v32, v32, 10, 0x2000
	v_lshlrev_b32_e32 v22, 7, v22
	v_and_b32_e32 v3, 0x8000, v3
	v_and_b32_e32 v32, 0xfc00, v32
	v_or3_b32 v22, v3, v32, v22
.LBB283_1576:                           ;   in Loop: Header=BB283_1059 Depth=1
	s_or_b32 exec_lo, exec_lo, s20
.LBB283_1577:                           ;   in Loop: Header=BB283_1059 Depth=1
	s_or_b32 exec_lo, exec_lo, s19
.LBB283_1578:                           ;   in Loop: Header=BB283_1059 Depth=1
	s_or_b32 exec_lo, exec_lo, s18
	v_cmp_lt_u64_e64 s4, s[6:7], v[11:12]
	v_mov_b32_e32 v11, 0
	s_and_saveexec_b32 s18, s4
	s_cbranch_execz .LBB283_1586
; %bb.1579:                             ;   in Loop: Header=BB283_1059 Depth=1
	v_lshrrev_b32_e32 v3, 24, v12
	v_bfrev_b32_e32 v11, 1
	s_mov_b32 s19, exec_lo
	v_cmpx_ne_u32_e32 0x80, v3
	s_cbranch_execz .LBB283_1585
; %bb.1580:                             ;   in Loop: Header=BB283_1059 Depth=1
	v_and_b32_e32 v32, 0x7f, v3
	v_mov_b32_e32 v11, 0x7c010000
	s_mov_b32 s20, exec_lo
	v_cmpx_ne_u32_e32 0x7f, v32
	s_cbranch_execz .LBB283_1584
; %bb.1581:                             ;   in Loop: Header=BB283_1059 Depth=1
	v_and_b32_e32 v11, 7, v3
	v_lshrrev_b32_e32 v12, 3, v32
	s_mov_b32 s21, exec_lo
	v_cmpx_gt_u32_e32 8, v32
; %bb.1582:                             ;   in Loop: Header=BB283_1059 Depth=1
	v_ffbh_u32_e32 v11, v11
	v_min_u32_e32 v32, 32, v11
	v_subrev_nc_u32_e32 v11, 28, v32
	v_lshlrev_b64 v[11:12], v11, v[3:4]
	v_sub_nc_u32_e32 v12, 29, v32
	v_and_b32_e32 v11, 7, v11
; %bb.1583:                             ;   in Loop: Header=BB283_1059 Depth=1
	s_or_b32 exec_lo, exec_lo, s21
	v_lshlrev_b32_e32 v3, 8, v3
	v_lshl_add_u32 v12, v12, 10, 0x2000
	v_lshlrev_b32_e32 v11, 23, v11
	v_and_or_b32 v3, 0x8000, v3, v12
	v_lshl_or_b32 v11, v3, 16, v11
.LBB283_1584:                           ;   in Loop: Header=BB283_1059 Depth=1
	s_or_b32 exec_lo, exec_lo, s20
.LBB283_1585:                           ;   in Loop: Header=BB283_1059 Depth=1
	s_or_b32 exec_lo, exec_lo, s19
.LBB283_1586:                           ;   in Loop: Header=BB283_1059 Depth=1
	s_or_b32 exec_lo, exec_lo, s18
	v_or_b32_e32 v3, v18, v29
	s_waitcnt vmcnt(0) lgkmcnt(0)
	v_fma_mixlo_f16 v12, v0, v18, 0 op_sel:[0,1,0] op_sel_hi:[0,1,0]
	v_or_b32_e32 v2, v1, v2
	v_fma_mixlo_f16 v18, v0, v1, 0 op_sel:[0,1,0] op_sel_hi:[0,1,0]
	v_or_b32_e32 v23, v31, v23
	v_fma_mixlo_f16 v3, v0, v3, 0 op_sel_hi:[0,1,0]
	v_or_b32_e32 v22, v11, v22
	v_lshlrev_b32_e32 v1, 16, v12
	v_lshlrev_b32_e32 v12, 16, v18
	v_fma_mixlo_f16 v18, v0, v2, 0 op_sel_hi:[0,1,0]
	v_and_b32_e32 v2, 0xffff, v3
	v_fma_mixlo_f16 v3, v0, v31, 0 op_sel:[0,1,0] op_sel_hi:[0,1,0]
	v_fma_mixlo_f16 v23, v0, v23, 0 op_sel_hi:[0,1,0]
	v_fma_mixlo_f16 v11, v0, v11, 0 op_sel:[0,1,0] op_sel_hi:[0,1,0]
	v_fma_mixlo_f16 v29, v0, v22, 0 op_sel_hi:[0,1,0]
	v_and_b32_e32 v32, 0xffff, v18
	v_lshlrev_b32_e32 v3, 16, v3
	v_and_b32_e32 v22, 0xffff, v23
	v_lshlrev_b32_e32 v0, 16, v11
	v_and_b32_e32 v11, 0xffff, v29
	v_or_b32_e32 v18, v1, v2
	v_or_b32_e32 v31, v12, v32
	;; [unrolled: 1-line block ×4, first 2 shown]
	s_and_saveexec_b32 s18, vcc_lo
	s_cbranch_execz .LBB283_1588
; %bb.1587:                             ;   in Loop: Header=BB283_1059 Depth=1
	v_cmp_lt_i32_e64 s4, v71, v30
	v_cndmask_b32_e64 v18, 0, v32, s4
	v_cmp_lt_i32_e64 s4, v100, v30
	v_cndmask_b32_e64 v12, 0, v12, s4
	v_cmp_lt_i32_e64 s4, v99, v30
	v_or_b32_e32 v31, v18, v12
	v_cndmask_b32_e64 v2, 0, v2, s4
	v_cmp_lt_i32_e64 s4, v98, v30
	v_cndmask_b32_e64 v1, 0, v1, s4
	v_cmp_lt_i32_e64 s4, v97, v30
	v_or_b32_e32 v18, v2, v1
	;; [unrolled: 5-line block ×3, first 2 shown]
	v_cndmask_b32_e64 v11, 0, v11, s4
	v_cmp_lt_i32_e64 s4, v86, v30
	v_cndmask_b32_e64 v0, 0, v0, s4
	v_or_b32_e32 v23, v11, v0
.LBB283_1588:                           ;   in Loop: Header=BB283_1059 Depth=1
	s_or_b32 exec_lo, exec_lo, s18
	v_add_co_u32 v9, s4, 0x800, v9
	;;#ASMSTART
	v_pk_mul_f16 v0, v85, v31;

	;;#ASMEND
	v_add_co_ci_u32_e64 v10, null, 0, v10, s4
	;;#ASMSTART
	v_pk_mul_f16 v1, v84, v18;

	;;#ASMEND
	;;#ASMSTART
	v_pk_mul_f16 v2, v83, v29;

	;;#ASMEND
	;; [unrolled: 4-line block ×3, first 2 shown]
	;;#ASMSTART
	v_pk_add_f16 v0, v0, v1;

	;;#ASMEND
	;;#ASMSTART
	v_pk_add_f16 v0, v0, v2;

	;;#ASMEND
	;; [unrolled: 4-line block ×3, first 2 shown]
	v_lshrrev_b32_e32 v1, 16, v0
	v_and_b32_e32 v0, 0xffff, v0
	;;#ASMSTART
	v_cvt_f32_f16 v41, v0;
	;;#ASMEND
	;;#ASMSTART
	v_cvt_f32_f16 v42, v1;
	;;#ASMEND
	flat_load_dwordx2 v[11:12], v[9:10]
	flat_load_dword v0, v[62:63]
	v_mov_b32_e32 v1, 0
	v_mov_b32_e32 v2, 0
	s_waitcnt vmcnt(1) lgkmcnt(1)
	v_cmp_ne_u16_sdwa s4, v11, v4 src0_sel:BYTE_0 src1_sel:DWORD
	s_and_saveexec_b32 s18, s4
	s_cbranch_execz .LBB283_1596
; %bb.1589:                             ;   in Loop: Header=BB283_1059 Depth=1
	v_cmp_ne_u16_sdwa s4, v11, v39 src0_sel:BYTE_0 src1_sel:DWORD
	v_mov_b32_e32 v2, 0x8000
	s_and_saveexec_b32 s19, s4
	s_cbranch_execz .LBB283_1595
; %bb.1590:                             ;   in Loop: Header=BB283_1059 Depth=1
	v_and_b32_e32 v18, 0x7f, v11
	v_mov_b32_e32 v2, 0x7c01
	s_mov_b32 s20, exec_lo
	v_cmpx_ne_u32_e32 0x7f, v18
	s_cbranch_execz .LBB283_1594
; %bb.1591:                             ;   in Loop: Header=BB283_1059 Depth=1
	v_and_b32_e32 v2, 7, v11
	v_lshrrev_b32_e32 v3, 3, v18
	s_mov_b32 s21, exec_lo
	v_cmpx_gt_u32_e32 8, v18
; %bb.1592:                             ;   in Loop: Header=BB283_1059 Depth=1
	v_ffbh_u32_e32 v2, v2
	v_min_u32_e32 v18, 32, v2
	v_subrev_nc_u32_e32 v2, 28, v18
	v_lshlrev_b64 v[2:3], v2, v[11:12]
	v_sub_nc_u32_e32 v3, 29, v18
	v_and_b32_e32 v2, 7, v2
; %bb.1593:                             ;   in Loop: Header=BB283_1059 Depth=1
	s_or_b32 exec_lo, exec_lo, s21
	v_lshlrev_b32_e32 v18, 8, v11
	v_lshl_add_u32 v3, v3, 10, 0x2000
	v_lshlrev_b32_e32 v2, 7, v2
	v_and_b32_e32 v18, 0x8000, v18
	v_and_b32_e32 v3, 0xfc00, v3
	v_or3_b32 v2, v18, v3, v2
.LBB283_1594:                           ;   in Loop: Header=BB283_1059 Depth=1
	s_or_b32 exec_lo, exec_lo, s20
.LBB283_1595:                           ;   in Loop: Header=BB283_1059 Depth=1
	s_or_b32 exec_lo, exec_lo, s19
.LBB283_1596:                           ;   in Loop: Header=BB283_1059 Depth=1
	s_or_b32 exec_lo, exec_lo, s18
	v_lshrrev_b16 v3, 8, v11
	s_mov_b32 s18, exec_lo
	v_cmpx_ne_u16_e32 0, v3
	s_cbranch_execz .LBB283_1604
; %bb.1597:                             ;   in Loop: Header=BB283_1059 Depth=1
	v_bfrev_b32_e32 v1, 1
	s_mov_b32 s19, exec_lo
	v_cmpx_ne_u16_e32 0x80, v3
	s_cbranch_execz .LBB283_1603
; %bb.1598:                             ;   in Loop: Header=BB283_1059 Depth=1
	v_and_b32_sdwa v22, v3, v48 dst_sel:DWORD dst_unused:UNUSED_PAD src0_sel:WORD_0 src1_sel:DWORD
	v_mov_b32_e32 v1, 0x7c010000
	s_mov_b32 s20, exec_lo
	v_cmpx_ne_u32_e32 0x7f, v22
	s_cbranch_execz .LBB283_1602
; %bb.1599:                             ;   in Loop: Header=BB283_1059 Depth=1
	v_and_b32_sdwa v1, v3, v19 dst_sel:DWORD dst_unused:UNUSED_PAD src0_sel:WORD_0 src1_sel:DWORD
	v_lshrrev_b32_e32 v18, 3, v22
	s_mov_b32 s21, exec_lo
	v_cmpx_gt_u32_e32 8, v22
; %bb.1600:                             ;   in Loop: Header=BB283_1059 Depth=1
	v_ffbh_u32_e32 v1, v1
	v_min_u32_e32 v1, 32, v1
	v_subrev_nc_u32_e32 v18, 28, v1
	v_lshlrev_b64 v[22:23], v18, v[3:4]
	v_sub_nc_u32_e32 v18, 29, v1
	v_and_b32_e32 v1, 7, v22
; %bb.1601:                             ;   in Loop: Header=BB283_1059 Depth=1
	s_or_b32 exec_lo, exec_lo, s21
	v_lshlrev_b32_sdwa v3, v67, v3 dst_sel:DWORD dst_unused:UNUSED_PAD src0_sel:DWORD src1_sel:WORD_0
	v_lshl_add_u32 v18, v18, 10, 0x2000
	v_lshlrev_b32_e32 v1, 23, v1
	v_and_or_b32 v3, 0x8000, v3, v18
	v_lshl_or_b32 v1, v3, 16, v1
.LBB283_1602:                           ;   in Loop: Header=BB283_1059 Depth=1
	s_or_b32 exec_lo, exec_lo, s20
.LBB283_1603:                           ;   in Loop: Header=BB283_1059 Depth=1
	s_or_b32 exec_lo, exec_lo, s19
.LBB283_1604:                           ;   in Loop: Header=BB283_1059 Depth=1
	s_or_b32 exec_lo, exec_lo, s18
	v_lshrrev_b32_e32 v3, 16, v11
	v_mov_b32_e32 v18, 0
	v_mov_b32_e32 v29, 0
	v_cmp_ne_u16_sdwa s4, v3, v4 src0_sel:BYTE_0 src1_sel:DWORD
	s_and_saveexec_b32 s18, s4
	s_cbranch_execz .LBB283_1612
; %bb.1605:                             ;   in Loop: Header=BB283_1059 Depth=1
	v_cmp_ne_u16_sdwa s4, v3, v39 src0_sel:BYTE_0 src1_sel:DWORD
	v_mov_b32_e32 v29, 0x8000
	s_and_saveexec_b32 s19, s4
	s_cbranch_execz .LBB283_1611
; %bb.1606:                             ;   in Loop: Header=BB283_1059 Depth=1
	v_bfe_u32 v31, v11, 16, 7
	v_mov_b32_e32 v29, 0x7c01
	s_mov_b32 s20, exec_lo
	v_cmpx_ne_u32_e32 0x7f, v31
	s_cbranch_execz .LBB283_1610
; %bb.1607:                             ;   in Loop: Header=BB283_1059 Depth=1
	v_and_b32_e32 v22, 7, v3
	v_lshrrev_b32_e32 v23, 3, v31
	s_mov_b32 s21, exec_lo
	v_cmpx_gt_u32_e32 8, v31
; %bb.1608:                             ;   in Loop: Header=BB283_1059 Depth=1
	v_ffbh_u32_e32 v22, v22
	v_min_u32_e32 v29, 32, v22
	v_subrev_nc_u32_e32 v22, 28, v29
	v_lshlrev_b64 v[22:23], v22, v[3:4]
	v_sub_nc_u32_e32 v23, 29, v29
	v_and_b32_e32 v22, 7, v22
; %bb.1609:                             ;   in Loop: Header=BB283_1059 Depth=1
	s_or_b32 exec_lo, exec_lo, s21
	v_lshlrev_b32_e32 v3, 8, v3
	v_lshl_add_u32 v23, v23, 10, 0x2000
	v_lshlrev_b32_e32 v22, 7, v22
	v_and_b32_e32 v3, 0x8000, v3
	v_and_b32_e32 v23, 0xfc00, v23
	v_or3_b32 v29, v3, v23, v22
.LBB283_1610:                           ;   in Loop: Header=BB283_1059 Depth=1
	s_or_b32 exec_lo, exec_lo, s20
.LBB283_1611:                           ;   in Loop: Header=BB283_1059 Depth=1
	s_or_b32 exec_lo, exec_lo, s19
.LBB283_1612:                           ;   in Loop: Header=BB283_1059 Depth=1
	s_or_b32 exec_lo, exec_lo, s18
	s_mov_b32 s18, exec_lo
	v_cmpx_lt_u32_e32 0xffffff, v11
	s_cbranch_execz .LBB283_1620
; %bb.1613:                             ;   in Loop: Header=BB283_1059 Depth=1
	v_lshrrev_b32_e32 v3, 24, v11
	v_bfrev_b32_e32 v18, 1
	s_mov_b32 s19, exec_lo
	v_cmpx_ne_u32_e32 0x80, v3
	s_cbranch_execz .LBB283_1619
; %bb.1614:                             ;   in Loop: Header=BB283_1059 Depth=1
	v_and_b32_e32 v23, 0x7f, v3
	v_mov_b32_e32 v18, 0x7c010000
	s_mov_b32 s20, exec_lo
	v_cmpx_ne_u32_e32 0x7f, v23
	s_cbranch_execz .LBB283_1618
; %bb.1615:                             ;   in Loop: Header=BB283_1059 Depth=1
	v_and_b32_e32 v18, 7, v3
	v_lshrrev_b32_e32 v22, 3, v23
	s_mov_b32 s21, exec_lo
	v_cmpx_gt_u32_e32 8, v23
; %bb.1616:                             ;   in Loop: Header=BB283_1059 Depth=1
	v_ffbh_u32_e32 v18, v18
	v_min_u32_e32 v18, 32, v18
	v_subrev_nc_u32_e32 v22, 28, v18
	v_lshlrev_b64 v[31:32], v22, v[3:4]
	v_sub_nc_u32_e32 v22, 29, v18
	v_and_b32_e32 v18, 7, v31
; %bb.1617:                             ;   in Loop: Header=BB283_1059 Depth=1
	s_or_b32 exec_lo, exec_lo, s21
	v_lshlrev_b32_e32 v3, 8, v3
	v_lshl_add_u32 v22, v22, 10, 0x2000
	v_lshlrev_b32_e32 v18, 23, v18
	v_and_or_b32 v3, 0x8000, v3, v22
	v_lshl_or_b32 v18, v3, 16, v18
.LBB283_1618:                           ;   in Loop: Header=BB283_1059 Depth=1
	s_or_b32 exec_lo, exec_lo, s20
.LBB283_1619:                           ;   in Loop: Header=BB283_1059 Depth=1
	s_or_b32 exec_lo, exec_lo, s19
.LBB283_1620:                           ;   in Loop: Header=BB283_1059 Depth=1
	s_or_b32 exec_lo, exec_lo, s18
	v_mov_b32_e32 v3, v12
	v_cmp_ne_u16_sdwa s4, v12, v4 src0_sel:BYTE_0 src1_sel:DWORD
	v_mov_b32_e32 v22, 0
	v_mov_b32_e32 v23, 0
	s_and_saveexec_b32 s18, s4
	s_cbranch_execz .LBB283_1628
; %bb.1621:                             ;   in Loop: Header=BB283_1059 Depth=1
	v_cmp_ne_u16_sdwa s4, v12, v39 src0_sel:BYTE_0 src1_sel:DWORD
	v_mov_b32_e32 v23, 0x8000
	s_and_saveexec_b32 s19, s4
	s_cbranch_execz .LBB283_1627
; %bb.1622:                             ;   in Loop: Header=BB283_1059 Depth=1
	v_and_b32_e32 v32, 0x7f, v12
	v_mov_b32_e32 v23, 0x7c01
	s_mov_b32 s20, exec_lo
	v_cmpx_ne_u32_e32 0x7f, v32
	s_cbranch_execz .LBB283_1626
; %bb.1623:                             ;   in Loop: Header=BB283_1059 Depth=1
	v_and_b32_e32 v23, 7, v12
	v_lshrrev_b32_e32 v31, 3, v32
	s_mov_b32 s21, exec_lo
	v_cmpx_gt_u32_e32 8, v32
; %bb.1624:                             ;   in Loop: Header=BB283_1059 Depth=1
	v_ffbh_u32_e32 v23, v23
	v_min_u32_e32 v23, 32, v23
	v_subrev_nc_u32_e32 v31, 28, v23
	v_lshlrev_b64 v[34:35], v31, v[3:4]
	v_sub_nc_u32_e32 v31, 29, v23
	v_and_b32_e32 v23, 7, v34
; %bb.1625:                             ;   in Loop: Header=BB283_1059 Depth=1
	s_or_b32 exec_lo, exec_lo, s21
	v_lshlrev_b32_e32 v32, 8, v12
	v_lshl_add_u32 v31, v31, 10, 0x2000
	v_lshlrev_b32_e32 v23, 7, v23
	v_and_b32_e32 v32, 0x8000, v32
	v_and_b32_e32 v31, 0xfc00, v31
	v_or3_b32 v23, v32, v31, v23
.LBB283_1626:                           ;   in Loop: Header=BB283_1059 Depth=1
	s_or_b32 exec_lo, exec_lo, s20
.LBB283_1627:                           ;   in Loop: Header=BB283_1059 Depth=1
	s_or_b32 exec_lo, exec_lo, s19
.LBB283_1628:                           ;   in Loop: Header=BB283_1059 Depth=1
	s_or_b32 exec_lo, exec_lo, s18
	v_lshrrev_b16 v3, 8, v3
	v_mov_b32_e32 v31, 0
	s_mov_b32 s18, exec_lo
	v_cmpx_ne_u16_e32 0, v3
	s_cbranch_execz .LBB283_1636
; %bb.1629:                             ;   in Loop: Header=BB283_1059 Depth=1
	v_bfrev_b32_e32 v31, 1
	s_mov_b32 s19, exec_lo
	v_cmpx_ne_u16_e32 0x80, v3
	s_cbranch_execz .LBB283_1635
; %bb.1630:                             ;   in Loop: Header=BB283_1059 Depth=1
	v_and_b32_sdwa v34, v3, v48 dst_sel:DWORD dst_unused:UNUSED_PAD src0_sel:WORD_0 src1_sel:DWORD
	v_mov_b32_e32 v31, 0x7c010000
	s_mov_b32 s20, exec_lo
	v_cmpx_ne_u32_e32 0x7f, v34
	s_cbranch_execz .LBB283_1634
; %bb.1631:                             ;   in Loop: Header=BB283_1059 Depth=1
	v_and_b32_sdwa v31, v3, v19 dst_sel:DWORD dst_unused:UNUSED_PAD src0_sel:WORD_0 src1_sel:DWORD
	v_lshrrev_b32_e32 v32, 3, v34
	s_mov_b32 s21, exec_lo
	v_cmpx_gt_u32_e32 8, v34
; %bb.1632:                             ;   in Loop: Header=BB283_1059 Depth=1
	v_ffbh_u32_e32 v31, v31
	v_min_u32_e32 v34, 32, v31
	v_subrev_nc_u32_e32 v31, 28, v34
	v_lshlrev_b64 v[31:32], v31, v[3:4]
	v_sub_nc_u32_e32 v32, 29, v34
	v_and_b32_e32 v31, 7, v31
; %bb.1633:                             ;   in Loop: Header=BB283_1059 Depth=1
	s_or_b32 exec_lo, exec_lo, s21
	v_lshlrev_b32_sdwa v3, v67, v3 dst_sel:DWORD dst_unused:UNUSED_PAD src0_sel:DWORD src1_sel:WORD_0
	v_lshl_add_u32 v32, v32, 10, 0x2000
	v_lshlrev_b32_e32 v31, 23, v31
	v_and_or_b32 v3, 0x8000, v3, v32
	v_lshl_or_b32 v31, v3, 16, v31
.LBB283_1634:                           ;   in Loop: Header=BB283_1059 Depth=1
	s_or_b32 exec_lo, exec_lo, s20
.LBB283_1635:                           ;   in Loop: Header=BB283_1059 Depth=1
	s_or_b32 exec_lo, exec_lo, s19
.LBB283_1636:                           ;   in Loop: Header=BB283_1059 Depth=1
	s_or_b32 exec_lo, exec_lo, s18
	v_lshrrev_b32_e32 v3, 16, v12
	v_cmp_ne_u16_sdwa s4, v3, v4 src0_sel:BYTE_0 src1_sel:DWORD
	s_and_saveexec_b32 s18, s4
	s_cbranch_execz .LBB283_1644
; %bb.1637:                             ;   in Loop: Header=BB283_1059 Depth=1
	v_cmp_ne_u16_sdwa s4, v3, v39 src0_sel:BYTE_0 src1_sel:DWORD
	v_mov_b32_e32 v22, 0x8000
	s_and_saveexec_b32 s19, s4
	s_cbranch_execz .LBB283_1643
; %bb.1638:                             ;   in Loop: Header=BB283_1059 Depth=1
	v_bfe_u32 v34, v12, 16, 7
	v_mov_b32_e32 v22, 0x7c01
	s_mov_b32 s20, exec_lo
	v_cmpx_ne_u32_e32 0x7f, v34
	s_cbranch_execz .LBB283_1642
; %bb.1639:                             ;   in Loop: Header=BB283_1059 Depth=1
	v_and_b32_e32 v22, 7, v3
	v_lshrrev_b32_e32 v32, 3, v34
	s_mov_b32 s21, exec_lo
	v_cmpx_gt_u32_e32 8, v34
; %bb.1640:                             ;   in Loop: Header=BB283_1059 Depth=1
	v_ffbh_u32_e32 v22, v22
	v_min_u32_e32 v22, 32, v22
	v_subrev_nc_u32_e32 v32, 28, v22
	v_lshlrev_b64 v[34:35], v32, v[3:4]
	v_sub_nc_u32_e32 v32, 29, v22
	v_and_b32_e32 v22, 7, v34
; %bb.1641:                             ;   in Loop: Header=BB283_1059 Depth=1
	s_or_b32 exec_lo, exec_lo, s21
	v_lshlrev_b32_e32 v3, 8, v3
	v_lshl_add_u32 v32, v32, 10, 0x2000
	v_lshlrev_b32_e32 v22, 7, v22
	v_and_b32_e32 v3, 0x8000, v3
	v_and_b32_e32 v32, 0xfc00, v32
	v_or3_b32 v22, v3, v32, v22
.LBB283_1642:                           ;   in Loop: Header=BB283_1059 Depth=1
	s_or_b32 exec_lo, exec_lo, s20
.LBB283_1643:                           ;   in Loop: Header=BB283_1059 Depth=1
	s_or_b32 exec_lo, exec_lo, s19
.LBB283_1644:                           ;   in Loop: Header=BB283_1059 Depth=1
	s_or_b32 exec_lo, exec_lo, s18
	v_cmp_lt_u64_e64 s4, s[6:7], v[11:12]
	v_mov_b32_e32 v11, 0
	s_and_saveexec_b32 s18, s4
	s_cbranch_execz .LBB283_1652
; %bb.1645:                             ;   in Loop: Header=BB283_1059 Depth=1
	v_lshrrev_b32_e32 v3, 24, v12
	v_bfrev_b32_e32 v11, 1
	s_mov_b32 s19, exec_lo
	v_cmpx_ne_u32_e32 0x80, v3
	s_cbranch_execz .LBB283_1651
; %bb.1646:                             ;   in Loop: Header=BB283_1059 Depth=1
	v_and_b32_e32 v32, 0x7f, v3
	v_mov_b32_e32 v11, 0x7c010000
	s_mov_b32 s20, exec_lo
	v_cmpx_ne_u32_e32 0x7f, v32
	s_cbranch_execz .LBB283_1650
; %bb.1647:                             ;   in Loop: Header=BB283_1059 Depth=1
	v_and_b32_e32 v11, 7, v3
	v_lshrrev_b32_e32 v12, 3, v32
	s_mov_b32 s21, exec_lo
	v_cmpx_gt_u32_e32 8, v32
; %bb.1648:                             ;   in Loop: Header=BB283_1059 Depth=1
	v_ffbh_u32_e32 v11, v11
	v_min_u32_e32 v32, 32, v11
	v_subrev_nc_u32_e32 v11, 28, v32
	v_lshlrev_b64 v[11:12], v11, v[3:4]
	v_sub_nc_u32_e32 v12, 29, v32
	v_and_b32_e32 v11, 7, v11
; %bb.1649:                             ;   in Loop: Header=BB283_1059 Depth=1
	s_or_b32 exec_lo, exec_lo, s21
	v_lshlrev_b32_e32 v3, 8, v3
	v_lshl_add_u32 v12, v12, 10, 0x2000
	v_lshlrev_b32_e32 v11, 23, v11
	v_and_or_b32 v3, 0x8000, v3, v12
	v_lshl_or_b32 v11, v3, 16, v11
.LBB283_1650:                           ;   in Loop: Header=BB283_1059 Depth=1
	s_or_b32 exec_lo, exec_lo, s20
.LBB283_1651:                           ;   in Loop: Header=BB283_1059 Depth=1
	s_or_b32 exec_lo, exec_lo, s19
.LBB283_1652:                           ;   in Loop: Header=BB283_1059 Depth=1
	s_or_b32 exec_lo, exec_lo, s18
	v_or_b32_e32 v3, v18, v29
	s_waitcnt vmcnt(0) lgkmcnt(0)
	v_fma_mixlo_f16 v12, v0, v18, 0 op_sel:[0,1,0] op_sel_hi:[0,1,0]
	v_or_b32_e32 v2, v1, v2
	v_fma_mixlo_f16 v18, v0, v1, 0 op_sel:[0,1,0] op_sel_hi:[0,1,0]
	v_or_b32_e32 v23, v31, v23
	v_fma_mixlo_f16 v3, v0, v3, 0 op_sel_hi:[0,1,0]
	v_or_b32_e32 v22, v11, v22
	v_lshlrev_b32_e32 v1, 16, v12
	v_lshlrev_b32_e32 v12, 16, v18
	v_fma_mixlo_f16 v18, v0, v2, 0 op_sel_hi:[0,1,0]
	v_and_b32_e32 v2, 0xffff, v3
	v_fma_mixlo_f16 v3, v0, v31, 0 op_sel:[0,1,0] op_sel_hi:[0,1,0]
	v_fma_mixlo_f16 v23, v0, v23, 0 op_sel_hi:[0,1,0]
	v_fma_mixlo_f16 v11, v0, v11, 0 op_sel:[0,1,0] op_sel_hi:[0,1,0]
	v_fma_mixlo_f16 v29, v0, v22, 0 op_sel_hi:[0,1,0]
	v_and_b32_e32 v32, 0xffff, v18
	v_lshlrev_b32_e32 v3, 16, v3
	v_and_b32_e32 v22, 0xffff, v23
	v_lshlrev_b32_e32 v0, 16, v11
	v_and_b32_e32 v11, 0xffff, v29
	v_or_b32_e32 v18, v1, v2
	v_or_b32_e32 v31, v12, v32
	;; [unrolled: 1-line block ×4, first 2 shown]
	s_and_saveexec_b32 s18, vcc_lo
	s_cbranch_execz .LBB283_1654
; %bb.1653:                             ;   in Loop: Header=BB283_1059 Depth=1
	v_cmp_lt_i32_e64 s4, v71, v30
	v_cndmask_b32_e64 v18, 0, v32, s4
	v_cmp_lt_i32_e64 s4, v100, v30
	v_cndmask_b32_e64 v12, 0, v12, s4
	v_cmp_lt_i32_e64 s4, v99, v30
	v_or_b32_e32 v31, v18, v12
	v_cndmask_b32_e64 v2, 0, v2, s4
	v_cmp_lt_i32_e64 s4, v98, v30
	v_cndmask_b32_e64 v1, 0, v1, s4
	v_cmp_lt_i32_e64 s4, v97, v30
	v_or_b32_e32 v18, v2, v1
	;; [unrolled: 5-line block ×3, first 2 shown]
	v_cndmask_b32_e64 v11, 0, v11, s4
	v_cmp_lt_i32_e64 s4, v86, v30
	v_cndmask_b32_e64 v0, 0, v0, s4
	v_or_b32_e32 v23, v11, v0
.LBB283_1654:                           ;   in Loop: Header=BB283_1059 Depth=1
	s_or_b32 exec_lo, exec_lo, s18
	;;#ASMSTART
	v_pk_mul_f16 v0, v85, v31;

	;;#ASMEND
	;;#ASMSTART
	v_pk_mul_f16 v1, v84, v18;

	;;#ASMEND
	;; [unrolled: 4-line block ×4, first 2 shown]
	;;#ASMSTART
	v_pk_add_f16 v0, v0, v1;

	;;#ASMEND
	;;#ASMSTART
	v_pk_add_f16 v0, v0, v2;

	;;#ASMEND
	;; [unrolled: 4-line block ×3, first 2 shown]
	v_and_b32_e32 v1, 0xffff, v0
	v_lshrrev_b32_e32 v2, 16, v0
	;;#ASMSTART
	v_cvt_f32_f16 v0, v1;
	;;#ASMEND
	;;#ASMSTART
	v_cvt_f32_f16 v1, v2;
	;;#ASMEND
	flat_load_dwordx2 v[11:12], v[9:10] offset:256
	flat_load_dword v2, v[62:63]
	v_mov_b32_e32 v18, 0
	v_mov_b32_e32 v29, 0
	s_waitcnt vmcnt(1) lgkmcnt(1)
	v_cmp_ne_u16_sdwa s4, v11, v4 src0_sel:BYTE_0 src1_sel:DWORD
	s_and_saveexec_b32 s18, s4
	s_cbranch_execz .LBB283_1662
; %bb.1655:                             ;   in Loop: Header=BB283_1059 Depth=1
	v_cmp_ne_u16_sdwa s4, v11, v39 src0_sel:BYTE_0 src1_sel:DWORD
	v_mov_b32_e32 v29, 0x8000
	s_and_saveexec_b32 s19, s4
	s_cbranch_execz .LBB283_1661
; %bb.1656:                             ;   in Loop: Header=BB283_1059 Depth=1
	v_and_b32_e32 v23, 0x7f, v11
	v_mov_b32_e32 v29, 0x7c01
	s_mov_b32 s20, exec_lo
	v_cmpx_ne_u32_e32 0x7f, v23
	s_cbranch_execz .LBB283_1660
; %bb.1657:                             ;   in Loop: Header=BB283_1059 Depth=1
	v_and_b32_e32 v3, 7, v11
	v_lshrrev_b32_e32 v22, 3, v23
	s_mov_b32 s21, exec_lo
	v_cmpx_gt_u32_e32 8, v23
; %bb.1658:                             ;   in Loop: Header=BB283_1059 Depth=1
	v_ffbh_u32_e32 v3, v3
	v_min_u32_e32 v3, 32, v3
	v_subrev_nc_u32_e32 v22, 28, v3
	v_lshlrev_b64 v[31:32], v22, v[11:12]
	v_sub_nc_u32_e32 v22, 29, v3
	v_and_b32_e32 v3, 7, v31
; %bb.1659:                             ;   in Loop: Header=BB283_1059 Depth=1
	s_or_b32 exec_lo, exec_lo, s21
	v_lshlrev_b32_e32 v23, 8, v11
	v_lshl_add_u32 v22, v22, 10, 0x2000
	v_lshlrev_b32_e32 v3, 7, v3
	v_and_b32_e32 v23, 0x8000, v23
	v_and_b32_e32 v22, 0xfc00, v22
	v_or3_b32 v29, v23, v22, v3
.LBB283_1660:                           ;   in Loop: Header=BB283_1059 Depth=1
	s_or_b32 exec_lo, exec_lo, s20
.LBB283_1661:                           ;   in Loop: Header=BB283_1059 Depth=1
	s_or_b32 exec_lo, exec_lo, s19
.LBB283_1662:                           ;   in Loop: Header=BB283_1059 Depth=1
	s_or_b32 exec_lo, exec_lo, s18
	v_lshrrev_b16 v3, 8, v11
	s_mov_b32 s18, exec_lo
	v_cmpx_ne_u16_e32 0, v3
	s_cbranch_execz .LBB283_1670
; %bb.1663:                             ;   in Loop: Header=BB283_1059 Depth=1
	v_bfrev_b32_e32 v18, 1
	s_mov_b32 s19, exec_lo
	v_cmpx_ne_u16_e32 0x80, v3
	s_cbranch_execz .LBB283_1669
; %bb.1664:                             ;   in Loop: Header=BB283_1059 Depth=1
	v_and_b32_sdwa v23, v3, v48 dst_sel:DWORD dst_unused:UNUSED_PAD src0_sel:WORD_0 src1_sel:DWORD
	v_mov_b32_e32 v18, 0x7c010000
	s_mov_b32 s20, exec_lo
	v_cmpx_ne_u32_e32 0x7f, v23
	s_cbranch_execz .LBB283_1668
; %bb.1665:                             ;   in Loop: Header=BB283_1059 Depth=1
	v_and_b32_sdwa v18, v3, v19 dst_sel:DWORD dst_unused:UNUSED_PAD src0_sel:WORD_0 src1_sel:DWORD
	v_lshrrev_b32_e32 v22, 3, v23
	s_mov_b32 s21, exec_lo
	v_cmpx_gt_u32_e32 8, v23
; %bb.1666:                             ;   in Loop: Header=BB283_1059 Depth=1
	v_ffbh_u32_e32 v18, v18
	v_min_u32_e32 v18, 32, v18
	v_subrev_nc_u32_e32 v22, 28, v18
	v_lshlrev_b64 v[31:32], v22, v[3:4]
	v_sub_nc_u32_e32 v22, 29, v18
	v_and_b32_e32 v18, 7, v31
; %bb.1667:                             ;   in Loop: Header=BB283_1059 Depth=1
	s_or_b32 exec_lo, exec_lo, s21
	v_lshlrev_b32_sdwa v3, v67, v3 dst_sel:DWORD dst_unused:UNUSED_PAD src0_sel:DWORD src1_sel:WORD_0
	v_lshl_add_u32 v22, v22, 10, 0x2000
	v_lshlrev_b32_e32 v18, 23, v18
	v_and_or_b32 v3, 0x8000, v3, v22
	v_lshl_or_b32 v18, v3, 16, v18
.LBB283_1668:                           ;   in Loop: Header=BB283_1059 Depth=1
	s_or_b32 exec_lo, exec_lo, s20
.LBB283_1669:                           ;   in Loop: Header=BB283_1059 Depth=1
	s_or_b32 exec_lo, exec_lo, s19
.LBB283_1670:                           ;   in Loop: Header=BB283_1059 Depth=1
	s_or_b32 exec_lo, exec_lo, s18
	v_lshrrev_b32_e32 v3, 16, v11
	v_mov_b32_e32 v31, 0
	v_mov_b32_e32 v32, 0
	v_cmp_ne_u16_sdwa s4, v3, v4 src0_sel:BYTE_0 src1_sel:DWORD
	s_and_saveexec_b32 s18, s4
	s_cbranch_execz .LBB283_1678
; %bb.1671:                             ;   in Loop: Header=BB283_1059 Depth=1
	v_cmp_ne_u16_sdwa s4, v3, v39 src0_sel:BYTE_0 src1_sel:DWORD
	v_mov_b32_e32 v32, 0x8000
	s_and_saveexec_b32 s19, s4
	s_cbranch_execz .LBB283_1677
; %bb.1672:                             ;   in Loop: Header=BB283_1059 Depth=1
	v_bfe_u32 v34, v11, 16, 7
	v_mov_b32_e32 v32, 0x7c01
	s_mov_b32 s20, exec_lo
	v_cmpx_ne_u32_e32 0x7f, v34
	s_cbranch_execz .LBB283_1676
; %bb.1673:                             ;   in Loop: Header=BB283_1059 Depth=1
	v_and_b32_e32 v22, 7, v3
	v_lshrrev_b32_e32 v23, 3, v34
	s_mov_b32 s21, exec_lo
	v_cmpx_gt_u32_e32 8, v34
; %bb.1674:                             ;   in Loop: Header=BB283_1059 Depth=1
	v_ffbh_u32_e32 v22, v22
	v_min_u32_e32 v32, 32, v22
	v_subrev_nc_u32_e32 v22, 28, v32
	v_lshlrev_b64 v[22:23], v22, v[3:4]
	v_sub_nc_u32_e32 v23, 29, v32
	v_and_b32_e32 v22, 7, v22
; %bb.1675:                             ;   in Loop: Header=BB283_1059 Depth=1
	s_or_b32 exec_lo, exec_lo, s21
	v_lshlrev_b32_e32 v3, 8, v3
	v_lshl_add_u32 v23, v23, 10, 0x2000
	v_lshlrev_b32_e32 v22, 7, v22
	v_and_b32_e32 v3, 0x8000, v3
	v_and_b32_e32 v23, 0xfc00, v23
	v_or3_b32 v32, v3, v23, v22
.LBB283_1676:                           ;   in Loop: Header=BB283_1059 Depth=1
	s_or_b32 exec_lo, exec_lo, s20
.LBB283_1677:                           ;   in Loop: Header=BB283_1059 Depth=1
	s_or_b32 exec_lo, exec_lo, s19
.LBB283_1678:                           ;   in Loop: Header=BB283_1059 Depth=1
	s_or_b32 exec_lo, exec_lo, s18
	s_mov_b32 s18, exec_lo
	v_cmpx_lt_u32_e32 0xffffff, v11
	s_cbranch_execz .LBB283_1686
; %bb.1679:                             ;   in Loop: Header=BB283_1059 Depth=1
	v_lshrrev_b32_e32 v3, 24, v11
	v_bfrev_b32_e32 v31, 1
	s_mov_b32 s19, exec_lo
	v_cmpx_ne_u32_e32 0x80, v3
	s_cbranch_execz .LBB283_1685
; %bb.1680:                             ;   in Loop: Header=BB283_1059 Depth=1
	v_and_b32_e32 v34, 0x7f, v3
	v_mov_b32_e32 v31, 0x7c010000
	s_mov_b32 s20, exec_lo
	v_cmpx_ne_u32_e32 0x7f, v34
	s_cbranch_execz .LBB283_1684
; %bb.1681:                             ;   in Loop: Header=BB283_1059 Depth=1
	v_and_b32_e32 v22, 7, v3
	v_lshrrev_b32_e32 v23, 3, v34
	s_mov_b32 s21, exec_lo
	v_cmpx_gt_u32_e32 8, v34
; %bb.1682:                             ;   in Loop: Header=BB283_1059 Depth=1
	v_ffbh_u32_e32 v22, v22
	v_min_u32_e32 v31, 32, v22
	v_subrev_nc_u32_e32 v22, 28, v31
	v_lshlrev_b64 v[22:23], v22, v[3:4]
	v_sub_nc_u32_e32 v23, 29, v31
	v_and_b32_e32 v22, 7, v22
; %bb.1683:                             ;   in Loop: Header=BB283_1059 Depth=1
	s_or_b32 exec_lo, exec_lo, s21
	v_lshlrev_b32_e32 v3, 8, v3
	v_lshl_add_u32 v23, v23, 10, 0x2000
	v_lshlrev_b32_e32 v22, 23, v22
	v_and_or_b32 v3, 0x8000, v3, v23
	v_lshl_or_b32 v31, v3, 16, v22
.LBB283_1684:                           ;   in Loop: Header=BB283_1059 Depth=1
	s_or_b32 exec_lo, exec_lo, s20
.LBB283_1685:                           ;   in Loop: Header=BB283_1059 Depth=1
	s_or_b32 exec_lo, exec_lo, s19
.LBB283_1686:                           ;   in Loop: Header=BB283_1059 Depth=1
	s_or_b32 exec_lo, exec_lo, s18
	v_mov_b32_e32 v3, v12
	v_cmp_ne_u16_sdwa s4, v12, v4 src0_sel:BYTE_0 src1_sel:DWORD
	v_mov_b32_e32 v22, 0
	v_mov_b32_e32 v23, 0
	s_and_saveexec_b32 s18, s4
	s_cbranch_execz .LBB283_1694
; %bb.1687:                             ;   in Loop: Header=BB283_1059 Depth=1
	v_cmp_ne_u16_sdwa s4, v12, v39 src0_sel:BYTE_0 src1_sel:DWORD
	v_mov_b32_e32 v23, 0x8000
	s_and_saveexec_b32 s19, s4
	s_cbranch_execz .LBB283_1693
; %bb.1688:                             ;   in Loop: Header=BB283_1059 Depth=1
	v_and_b32_e32 v35, 0x7f, v12
	v_mov_b32_e32 v23, 0x7c01
	s_mov_b32 s20, exec_lo
	v_cmpx_ne_u32_e32 0x7f, v35
	s_cbranch_execz .LBB283_1692
; %bb.1689:                             ;   in Loop: Header=BB283_1059 Depth=1
	v_and_b32_e32 v23, 7, v12
	v_lshrrev_b32_e32 v34, 3, v35
	s_mov_b32 s21, exec_lo
	v_cmpx_gt_u32_e32 8, v35
; %bb.1690:                             ;   in Loop: Header=BB283_1059 Depth=1
	v_ffbh_u32_e32 v23, v23
	v_min_u32_e32 v23, 32, v23
	v_subrev_nc_u32_e32 v34, 28, v23
	v_lshlrev_b64 v[35:36], v34, v[3:4]
	v_sub_nc_u32_e32 v34, 29, v23
	v_and_b32_e32 v23, 7, v35
; %bb.1691:                             ;   in Loop: Header=BB283_1059 Depth=1
	s_or_b32 exec_lo, exec_lo, s21
	v_lshlrev_b32_e32 v35, 8, v12
	v_lshl_add_u32 v34, v34, 10, 0x2000
	v_lshlrev_b32_e32 v23, 7, v23
	v_and_b32_e32 v35, 0x8000, v35
	v_and_b32_e32 v34, 0xfc00, v34
	v_or3_b32 v23, v35, v34, v23
.LBB283_1692:                           ;   in Loop: Header=BB283_1059 Depth=1
	s_or_b32 exec_lo, exec_lo, s20
.LBB283_1693:                           ;   in Loop: Header=BB283_1059 Depth=1
	s_or_b32 exec_lo, exec_lo, s19
.LBB283_1694:                           ;   in Loop: Header=BB283_1059 Depth=1
	s_or_b32 exec_lo, exec_lo, s18
	v_lshrrev_b16 v3, 8, v3
	v_mov_b32_e32 v34, 0
	s_mov_b32 s18, exec_lo
	v_cmpx_ne_u16_e32 0, v3
	s_cbranch_execz .LBB283_1702
; %bb.1695:                             ;   in Loop: Header=BB283_1059 Depth=1
	v_bfrev_b32_e32 v34, 1
	s_mov_b32 s19, exec_lo
	v_cmpx_ne_u16_e32 0x80, v3
	s_cbranch_execz .LBB283_1701
; %bb.1696:                             ;   in Loop: Header=BB283_1059 Depth=1
	v_and_b32_sdwa v36, v3, v48 dst_sel:DWORD dst_unused:UNUSED_PAD src0_sel:WORD_0 src1_sel:DWORD
	v_mov_b32_e32 v34, 0x7c010000
	s_mov_b32 s20, exec_lo
	v_cmpx_ne_u32_e32 0x7f, v36
	s_cbranch_execz .LBB283_1700
; %bb.1697:                             ;   in Loop: Header=BB283_1059 Depth=1
	v_and_b32_sdwa v34, v3, v19 dst_sel:DWORD dst_unused:UNUSED_PAD src0_sel:WORD_0 src1_sel:DWORD
	v_lshrrev_b32_e32 v35, 3, v36
	s_mov_b32 s21, exec_lo
	v_cmpx_gt_u32_e32 8, v36
; %bb.1698:                             ;   in Loop: Header=BB283_1059 Depth=1
	v_ffbh_u32_e32 v34, v34
	v_min_u32_e32 v36, 32, v34
	v_subrev_nc_u32_e32 v34, 28, v36
	v_lshlrev_b64 v[34:35], v34, v[3:4]
	v_sub_nc_u32_e32 v35, 29, v36
	v_and_b32_e32 v34, 7, v34
; %bb.1699:                             ;   in Loop: Header=BB283_1059 Depth=1
	s_or_b32 exec_lo, exec_lo, s21
	v_lshlrev_b32_sdwa v3, v67, v3 dst_sel:DWORD dst_unused:UNUSED_PAD src0_sel:DWORD src1_sel:WORD_0
	v_lshl_add_u32 v35, v35, 10, 0x2000
	v_lshlrev_b32_e32 v34, 23, v34
	v_and_or_b32 v3, 0x8000, v3, v35
	v_lshl_or_b32 v34, v3, 16, v34
.LBB283_1700:                           ;   in Loop: Header=BB283_1059 Depth=1
	s_or_b32 exec_lo, exec_lo, s20
.LBB283_1701:                           ;   in Loop: Header=BB283_1059 Depth=1
	s_or_b32 exec_lo, exec_lo, s19
.LBB283_1702:                           ;   in Loop: Header=BB283_1059 Depth=1
	s_or_b32 exec_lo, exec_lo, s18
	v_lshrrev_b32_e32 v3, 16, v12
	v_cmp_ne_u16_sdwa s4, v3, v4 src0_sel:BYTE_0 src1_sel:DWORD
	s_and_saveexec_b32 s18, s4
	s_cbranch_execz .LBB283_1710
; %bb.1703:                             ;   in Loop: Header=BB283_1059 Depth=1
	v_cmp_ne_u16_sdwa s4, v3, v39 src0_sel:BYTE_0 src1_sel:DWORD
	v_mov_b32_e32 v22, 0x8000
	s_and_saveexec_b32 s19, s4
	s_cbranch_execz .LBB283_1709
; %bb.1704:                             ;   in Loop: Header=BB283_1059 Depth=1
	v_bfe_u32 v36, v12, 16, 7
	v_mov_b32_e32 v22, 0x7c01
	s_mov_b32 s20, exec_lo
	v_cmpx_ne_u32_e32 0x7f, v36
	s_cbranch_execz .LBB283_1708
; %bb.1705:                             ;   in Loop: Header=BB283_1059 Depth=1
	v_and_b32_e32 v22, 7, v3
	v_lshrrev_b32_e32 v35, 3, v36
	s_mov_b32 s21, exec_lo
	v_cmpx_gt_u32_e32 8, v36
; %bb.1706:                             ;   in Loop: Header=BB283_1059 Depth=1
	v_ffbh_u32_e32 v22, v22
	v_min_u32_e32 v22, 32, v22
	v_subrev_nc_u32_e32 v35, 28, v22
	v_lshlrev_b64 v[36:37], v35, v[3:4]
	v_sub_nc_u32_e32 v35, 29, v22
	v_and_b32_e32 v22, 7, v36
; %bb.1707:                             ;   in Loop: Header=BB283_1059 Depth=1
	s_or_b32 exec_lo, exec_lo, s21
	v_lshlrev_b32_e32 v3, 8, v3
	v_lshl_add_u32 v35, v35, 10, 0x2000
	v_lshlrev_b32_e32 v22, 7, v22
	v_and_b32_e32 v3, 0x8000, v3
	v_and_b32_e32 v35, 0xfc00, v35
	v_or3_b32 v22, v3, v35, v22
.LBB283_1708:                           ;   in Loop: Header=BB283_1059 Depth=1
	s_or_b32 exec_lo, exec_lo, s20
.LBB283_1709:                           ;   in Loop: Header=BB283_1059 Depth=1
	s_or_b32 exec_lo, exec_lo, s19
.LBB283_1710:                           ;   in Loop: Header=BB283_1059 Depth=1
	s_or_b32 exec_lo, exec_lo, s18
	v_cmp_lt_u64_e64 s4, s[6:7], v[11:12]
	v_mov_b32_e32 v11, 0
	s_and_saveexec_b32 s18, s4
	s_cbranch_execz .LBB283_1718
; %bb.1711:                             ;   in Loop: Header=BB283_1059 Depth=1
	v_lshrrev_b32_e32 v3, 24, v12
	v_bfrev_b32_e32 v11, 1
	s_mov_b32 s19, exec_lo
	v_cmpx_ne_u32_e32 0x80, v3
	s_cbranch_execz .LBB283_1717
; %bb.1712:                             ;   in Loop: Header=BB283_1059 Depth=1
	v_and_b32_e32 v35, 0x7f, v3
	v_mov_b32_e32 v11, 0x7c010000
	s_mov_b32 s20, exec_lo
	v_cmpx_ne_u32_e32 0x7f, v35
	s_cbranch_execz .LBB283_1716
; %bb.1713:                             ;   in Loop: Header=BB283_1059 Depth=1
	v_and_b32_e32 v11, 7, v3
	v_lshrrev_b32_e32 v12, 3, v35
	s_mov_b32 s21, exec_lo
	v_cmpx_gt_u32_e32 8, v35
; %bb.1714:                             ;   in Loop: Header=BB283_1059 Depth=1
	v_ffbh_u32_e32 v11, v11
	v_min_u32_e32 v35, 32, v11
	v_subrev_nc_u32_e32 v11, 28, v35
	v_lshlrev_b64 v[11:12], v11, v[3:4]
	v_sub_nc_u32_e32 v12, 29, v35
	v_and_b32_e32 v11, 7, v11
; %bb.1715:                             ;   in Loop: Header=BB283_1059 Depth=1
	s_or_b32 exec_lo, exec_lo, s21
	v_lshlrev_b32_e32 v3, 8, v3
	v_lshl_add_u32 v12, v12, 10, 0x2000
	v_lshlrev_b32_e32 v11, 23, v11
	v_and_or_b32 v3, 0x8000, v3, v12
	v_lshl_or_b32 v11, v3, 16, v11
.LBB283_1716:                           ;   in Loop: Header=BB283_1059 Depth=1
	s_or_b32 exec_lo, exec_lo, s20
.LBB283_1717:                           ;   in Loop: Header=BB283_1059 Depth=1
	s_or_b32 exec_lo, exec_lo, s19
.LBB283_1718:                           ;   in Loop: Header=BB283_1059 Depth=1
	s_or_b32 exec_lo, exec_lo, s18
	v_or_b32_e32 v3, v31, v32
	s_waitcnt vmcnt(0) lgkmcnt(0)
	v_fma_mixlo_f16 v12, v2, v31, 0 op_sel:[0,1,0] op_sel_hi:[0,1,0]
	v_or_b32_e32 v29, v18, v29
	v_fma_mixlo_f16 v18, v2, v18, 0 op_sel:[0,1,0] op_sel_hi:[0,1,0]
	v_or_b32_e32 v23, v34, v23
	v_fma_mixlo_f16 v31, v2, v3, 0 op_sel_hi:[0,1,0]
	v_or_b32_e32 v32, v11, v22
	v_lshlrev_b32_e32 v3, 16, v12
	v_lshlrev_b32_e32 v22, 16, v18
	v_fma_mixlo_f16 v18, v2, v29, 0 op_sel_hi:[0,1,0]
	v_and_b32_e32 v12, 0xffff, v31
	v_fma_mixlo_f16 v29, v2, v34, 0 op_sel:[0,1,0] op_sel_hi:[0,1,0]
	v_fma_mixlo_f16 v23, v2, v23, 0 op_sel_hi:[0,1,0]
	v_fma_mixlo_f16 v31, v2, v11, 0 op_sel:[0,1,0] op_sel_hi:[0,1,0]
	v_fma_mixlo_f16 v32, v2, v32, 0 op_sel_hi:[0,1,0]
	v_and_b32_e32 v35, 0xffff, v18
	v_lshlrev_b32_e32 v11, 16, v29
	v_and_b32_e32 v29, 0xffff, v23
	v_lshlrev_b32_e32 v2, 16, v31
	v_and_b32_e32 v18, 0xffff, v32
	v_or_b32_e32 v23, v3, v12
	v_or_b32_e32 v34, v22, v35
	;; [unrolled: 1-line block ×4, first 2 shown]
	s_and_saveexec_b32 s18, vcc_lo
	s_cbranch_execz .LBB283_1720
; %bb.1719:                             ;   in Loop: Header=BB283_1059 Depth=1
	v_cmp_lt_i32_e64 s4, v71, v30
	v_cndmask_b32_e64 v23, 0, v35, s4
	v_cmp_lt_i32_e64 s4, v100, v30
	v_cndmask_b32_e64 v22, 0, v22, s4
	v_cmp_lt_i32_e64 s4, v99, v30
	v_or_b32_e32 v34, v23, v22
	v_cndmask_b32_e64 v12, 0, v12, s4
	v_cmp_lt_i32_e64 s4, v98, v30
	v_cndmask_b32_e64 v3, 0, v3, s4
	v_cmp_lt_i32_e64 s4, v97, v30
	v_or_b32_e32 v23, v12, v3
	;; [unrolled: 5-line block ×3, first 2 shown]
	v_cndmask_b32_e64 v18, 0, v18, s4
	v_cmp_lt_i32_e64 s4, v86, v30
	v_cndmask_b32_e64 v2, 0, v2, s4
	v_or_b32_e32 v31, v18, v2
.LBB283_1720:                           ;   in Loop: Header=BB283_1059 Depth=1
	s_or_b32 exec_lo, exec_lo, s18
	;;#ASMSTART
	v_pk_mul_f16 v2, v85, v34;

	;;#ASMEND
	;;#ASMSTART
	v_pk_mul_f16 v3, v84, v23;

	;;#ASMEND
	;; [unrolled: 4-line block ×4, first 2 shown]
	;;#ASMSTART
	v_pk_add_f16 v2, v2, v3;

	;;#ASMEND
	;;#ASMSTART
	v_pk_add_f16 v2, v2, v11;

	;;#ASMEND
	;; [unrolled: 4-line block ×3, first 2 shown]
	v_lshrrev_b32_e32 v11, 16, v2
	v_and_b32_e32 v3, 0xffff, v2
	;;#ASMSTART
	v_cvt_f32_f16 v2, v3;
	;;#ASMEND
	;;#ASMSTART
	v_cvt_f32_f16 v18, v11;
	;;#ASMEND
	flat_load_dwordx2 v[11:12], v[9:10] offset:512
	flat_load_dword v29, v[62:63]
	v_mov_b32_e32 v31, 0
	v_mov_b32_e32 v32, 0
	s_waitcnt vmcnt(1) lgkmcnt(1)
	v_cmp_ne_u16_sdwa s4, v11, v4 src0_sel:BYTE_0 src1_sel:DWORD
	s_and_saveexec_b32 s18, s4
	s_cbranch_execz .LBB283_1728
; %bb.1721:                             ;   in Loop: Header=BB283_1059 Depth=1
	v_cmp_ne_u16_sdwa s4, v11, v39 src0_sel:BYTE_0 src1_sel:DWORD
	v_mov_b32_e32 v32, 0x8000
	s_and_saveexec_b32 s19, s4
	s_cbranch_execz .LBB283_1727
; %bb.1722:                             ;   in Loop: Header=BB283_1059 Depth=1
	v_and_b32_e32 v23, 0x7f, v11
	v_mov_b32_e32 v32, 0x7c01
	s_mov_b32 s20, exec_lo
	v_cmpx_ne_u32_e32 0x7f, v23
	s_cbranch_execz .LBB283_1726
; %bb.1723:                             ;   in Loop: Header=BB283_1059 Depth=1
	v_and_b32_e32 v3, 7, v11
	v_lshrrev_b32_e32 v22, 3, v23
	s_mov_b32 s21, exec_lo
	v_cmpx_gt_u32_e32 8, v23
; %bb.1724:                             ;   in Loop: Header=BB283_1059 Depth=1
	v_ffbh_u32_e32 v3, v3
	v_min_u32_e32 v3, 32, v3
	v_subrev_nc_u32_e32 v22, 28, v3
	v_lshlrev_b64 v[34:35], v22, v[11:12]
	v_sub_nc_u32_e32 v22, 29, v3
	v_and_b32_e32 v3, 7, v34
; %bb.1725:                             ;   in Loop: Header=BB283_1059 Depth=1
	s_or_b32 exec_lo, exec_lo, s21
	v_lshlrev_b32_e32 v23, 8, v11
	v_lshl_add_u32 v22, v22, 10, 0x2000
	v_lshlrev_b32_e32 v3, 7, v3
	v_and_b32_e32 v23, 0x8000, v23
	v_and_b32_e32 v22, 0xfc00, v22
	v_or3_b32 v32, v23, v22, v3
.LBB283_1726:                           ;   in Loop: Header=BB283_1059 Depth=1
	s_or_b32 exec_lo, exec_lo, s20
.LBB283_1727:                           ;   in Loop: Header=BB283_1059 Depth=1
	s_or_b32 exec_lo, exec_lo, s19
.LBB283_1728:                           ;   in Loop: Header=BB283_1059 Depth=1
	s_or_b32 exec_lo, exec_lo, s18
	v_lshrrev_b16 v3, 8, v11
	s_mov_b32 s18, exec_lo
	v_cmpx_ne_u16_e32 0, v3
	s_cbranch_execz .LBB283_1736
; %bb.1729:                             ;   in Loop: Header=BB283_1059 Depth=1
	v_bfrev_b32_e32 v31, 1
	s_mov_b32 s19, exec_lo
	v_cmpx_ne_u16_e32 0x80, v3
	s_cbranch_execz .LBB283_1735
; %bb.1730:                             ;   in Loop: Header=BB283_1059 Depth=1
	v_and_b32_sdwa v34, v3, v48 dst_sel:DWORD dst_unused:UNUSED_PAD src0_sel:WORD_0 src1_sel:DWORD
	v_mov_b32_e32 v31, 0x7c010000
	s_mov_b32 s20, exec_lo
	v_cmpx_ne_u32_e32 0x7f, v34
	s_cbranch_execz .LBB283_1734
; %bb.1731:                             ;   in Loop: Header=BB283_1059 Depth=1
	v_and_b32_sdwa v22, v3, v19 dst_sel:DWORD dst_unused:UNUSED_PAD src0_sel:WORD_0 src1_sel:DWORD
	v_lshrrev_b32_e32 v23, 3, v34
	s_mov_b32 s21, exec_lo
	v_cmpx_gt_u32_e32 8, v34
; %bb.1732:                             ;   in Loop: Header=BB283_1059 Depth=1
	v_ffbh_u32_e32 v22, v22
	v_min_u32_e32 v31, 32, v22
	v_subrev_nc_u32_e32 v22, 28, v31
	v_lshlrev_b64 v[22:23], v22, v[3:4]
	v_sub_nc_u32_e32 v23, 29, v31
	v_and_b32_e32 v22, 7, v22
; %bb.1733:                             ;   in Loop: Header=BB283_1059 Depth=1
	s_or_b32 exec_lo, exec_lo, s21
	v_lshlrev_b32_sdwa v3, v67, v3 dst_sel:DWORD dst_unused:UNUSED_PAD src0_sel:DWORD src1_sel:WORD_0
	v_lshl_add_u32 v23, v23, 10, 0x2000
	v_lshlrev_b32_e32 v22, 23, v22
	v_and_or_b32 v3, 0x8000, v3, v23
	v_lshl_or_b32 v31, v3, 16, v22
.LBB283_1734:                           ;   in Loop: Header=BB283_1059 Depth=1
	s_or_b32 exec_lo, exec_lo, s20
.LBB283_1735:                           ;   in Loop: Header=BB283_1059 Depth=1
	s_or_b32 exec_lo, exec_lo, s19
.LBB283_1736:                           ;   in Loop: Header=BB283_1059 Depth=1
	s_or_b32 exec_lo, exec_lo, s18
	v_lshrrev_b32_e32 v3, 16, v11
	v_mov_b32_e32 v34, 0
	v_mov_b32_e32 v35, 0
	v_cmp_ne_u16_sdwa s4, v3, v4 src0_sel:BYTE_0 src1_sel:DWORD
	s_and_saveexec_b32 s18, s4
	s_cbranch_execz .LBB283_1744
; %bb.1737:                             ;   in Loop: Header=BB283_1059 Depth=1
	v_cmp_ne_u16_sdwa s4, v3, v39 src0_sel:BYTE_0 src1_sel:DWORD
	v_mov_b32_e32 v35, 0x8000
	s_and_saveexec_b32 s19, s4
	s_cbranch_execz .LBB283_1743
; %bb.1738:                             ;   in Loop: Header=BB283_1059 Depth=1
	v_bfe_u32 v36, v11, 16, 7
	v_mov_b32_e32 v35, 0x7c01
	s_mov_b32 s20, exec_lo
	v_cmpx_ne_u32_e32 0x7f, v36
	s_cbranch_execz .LBB283_1742
; %bb.1739:                             ;   in Loop: Header=BB283_1059 Depth=1
	v_and_b32_e32 v22, 7, v3
	v_lshrrev_b32_e32 v23, 3, v36
	s_mov_b32 s21, exec_lo
	v_cmpx_gt_u32_e32 8, v36
; %bb.1740:                             ;   in Loop: Header=BB283_1059 Depth=1
	v_ffbh_u32_e32 v22, v22
	v_min_u32_e32 v35, 32, v22
	v_subrev_nc_u32_e32 v22, 28, v35
	v_lshlrev_b64 v[22:23], v22, v[3:4]
	v_sub_nc_u32_e32 v23, 29, v35
	v_and_b32_e32 v22, 7, v22
; %bb.1741:                             ;   in Loop: Header=BB283_1059 Depth=1
	s_or_b32 exec_lo, exec_lo, s21
	v_lshlrev_b32_e32 v3, 8, v3
	v_lshl_add_u32 v23, v23, 10, 0x2000
	v_lshlrev_b32_e32 v22, 7, v22
	v_and_b32_e32 v3, 0x8000, v3
	v_and_b32_e32 v23, 0xfc00, v23
	v_or3_b32 v35, v3, v23, v22
.LBB283_1742:                           ;   in Loop: Header=BB283_1059 Depth=1
	s_or_b32 exec_lo, exec_lo, s20
.LBB283_1743:                           ;   in Loop: Header=BB283_1059 Depth=1
	s_or_b32 exec_lo, exec_lo, s19
.LBB283_1744:                           ;   in Loop: Header=BB283_1059 Depth=1
	s_or_b32 exec_lo, exec_lo, s18
	s_mov_b32 s18, exec_lo
	v_cmpx_lt_u32_e32 0xffffff, v11
	s_cbranch_execz .LBB283_1752
; %bb.1745:                             ;   in Loop: Header=BB283_1059 Depth=1
	v_lshrrev_b32_e32 v3, 24, v11
	v_bfrev_b32_e32 v34, 1
	s_mov_b32 s19, exec_lo
	v_cmpx_ne_u32_e32 0x80, v3
	s_cbranch_execz .LBB283_1751
; %bb.1746:                             ;   in Loop: Header=BB283_1059 Depth=1
	v_and_b32_e32 v36, 0x7f, v3
	v_mov_b32_e32 v34, 0x7c010000
	s_mov_b32 s20, exec_lo
	v_cmpx_ne_u32_e32 0x7f, v36
	s_cbranch_execz .LBB283_1750
; %bb.1747:                             ;   in Loop: Header=BB283_1059 Depth=1
	v_and_b32_e32 v22, 7, v3
	v_lshrrev_b32_e32 v23, 3, v36
	s_mov_b32 s21, exec_lo
	v_cmpx_gt_u32_e32 8, v36
; %bb.1748:                             ;   in Loop: Header=BB283_1059 Depth=1
	v_ffbh_u32_e32 v22, v22
	v_min_u32_e32 v34, 32, v22
	v_subrev_nc_u32_e32 v22, 28, v34
	v_lshlrev_b64 v[22:23], v22, v[3:4]
	v_sub_nc_u32_e32 v23, 29, v34
	v_and_b32_e32 v22, 7, v22
; %bb.1749:                             ;   in Loop: Header=BB283_1059 Depth=1
	s_or_b32 exec_lo, exec_lo, s21
	v_lshlrev_b32_e32 v3, 8, v3
	v_lshl_add_u32 v23, v23, 10, 0x2000
	v_lshlrev_b32_e32 v22, 23, v22
	v_and_or_b32 v3, 0x8000, v3, v23
	v_lshl_or_b32 v34, v3, 16, v22
.LBB283_1750:                           ;   in Loop: Header=BB283_1059 Depth=1
	s_or_b32 exec_lo, exec_lo, s20
.LBB283_1751:                           ;   in Loop: Header=BB283_1059 Depth=1
	s_or_b32 exec_lo, exec_lo, s19
.LBB283_1752:                           ;   in Loop: Header=BB283_1059 Depth=1
	s_or_b32 exec_lo, exec_lo, s18
	v_mov_b32_e32 v3, v12
	v_cmp_ne_u16_sdwa s4, v12, v4 src0_sel:BYTE_0 src1_sel:DWORD
	v_mov_b32_e32 v22, 0
	v_mov_b32_e32 v23, 0
	s_and_saveexec_b32 s18, s4
	s_cbranch_execz .LBB283_1760
; %bb.1753:                             ;   in Loop: Header=BB283_1059 Depth=1
	v_cmp_ne_u16_sdwa s4, v12, v39 src0_sel:BYTE_0 src1_sel:DWORD
	v_mov_b32_e32 v23, 0x8000
	s_and_saveexec_b32 s19, s4
	s_cbranch_execz .LBB283_1759
; %bb.1754:                             ;   in Loop: Header=BB283_1059 Depth=1
	v_and_b32_e32 v37, 0x7f, v12
	v_mov_b32_e32 v23, 0x7c01
	s_mov_b32 s20, exec_lo
	v_cmpx_ne_u32_e32 0x7f, v37
	s_cbranch_execz .LBB283_1758
; %bb.1755:                             ;   in Loop: Header=BB283_1059 Depth=1
	v_and_b32_e32 v23, 7, v12
	v_lshrrev_b32_e32 v36, 3, v37
	s_mov_b32 s21, exec_lo
	v_cmpx_gt_u32_e32 8, v37
; %bb.1756:                             ;   in Loop: Header=BB283_1059 Depth=1
	v_ffbh_u32_e32 v23, v23
	v_min_u32_e32 v23, 32, v23
	v_subrev_nc_u32_e32 v36, 28, v23
	v_lshlrev_b64 v[43:44], v36, v[3:4]
	v_sub_nc_u32_e32 v36, 29, v23
	v_and_b32_e32 v23, 7, v43
; %bb.1757:                             ;   in Loop: Header=BB283_1059 Depth=1
	s_or_b32 exec_lo, exec_lo, s21
	v_lshlrev_b32_e32 v37, 8, v12
	v_lshl_add_u32 v36, v36, 10, 0x2000
	v_lshlrev_b32_e32 v23, 7, v23
	v_and_b32_e32 v37, 0x8000, v37
	v_and_b32_e32 v36, 0xfc00, v36
	v_or3_b32 v23, v37, v36, v23
.LBB283_1758:                           ;   in Loop: Header=BB283_1059 Depth=1
	s_or_b32 exec_lo, exec_lo, s20
.LBB283_1759:                           ;   in Loop: Header=BB283_1059 Depth=1
	s_or_b32 exec_lo, exec_lo, s19
.LBB283_1760:                           ;   in Loop: Header=BB283_1059 Depth=1
	s_or_b32 exec_lo, exec_lo, s18
	v_lshrrev_b16 v3, 8, v3
	v_mov_b32_e32 v36, 0
	s_mov_b32 s18, exec_lo
	v_cmpx_ne_u16_e32 0, v3
	s_cbranch_execz .LBB283_1768
; %bb.1761:                             ;   in Loop: Header=BB283_1059 Depth=1
	v_bfrev_b32_e32 v36, 1
	s_mov_b32 s19, exec_lo
	v_cmpx_ne_u16_e32 0x80, v3
	s_cbranch_execz .LBB283_1767
; %bb.1762:                             ;   in Loop: Header=BB283_1059 Depth=1
	v_and_b32_sdwa v66, v3, v48 dst_sel:DWORD dst_unused:UNUSED_PAD src0_sel:WORD_0 src1_sel:DWORD
	v_mov_b32_e32 v36, 0x7c010000
	s_mov_b32 s20, exec_lo
	v_cmpx_ne_u32_e32 0x7f, v66
	s_cbranch_execz .LBB283_1766
; %bb.1763:                             ;   in Loop: Header=BB283_1059 Depth=1
	v_and_b32_sdwa v36, v3, v19 dst_sel:DWORD dst_unused:UNUSED_PAD src0_sel:WORD_0 src1_sel:DWORD
	v_lshrrev_b32_e32 v37, 3, v66
	s_mov_b32 s21, exec_lo
	v_cmpx_gt_u32_e32 8, v66
; %bb.1764:                             ;   in Loop: Header=BB283_1059 Depth=1
	v_ffbh_u32_e32 v36, v36
	v_min_u32_e32 v66, 32, v36
	v_subrev_nc_u32_e32 v36, 28, v66
	v_lshlrev_b64 v[36:37], v36, v[3:4]
	v_sub_nc_u32_e32 v37, 29, v66
	v_and_b32_e32 v36, 7, v36
; %bb.1765:                             ;   in Loop: Header=BB283_1059 Depth=1
	s_or_b32 exec_lo, exec_lo, s21
	v_lshlrev_b32_sdwa v3, v67, v3 dst_sel:DWORD dst_unused:UNUSED_PAD src0_sel:DWORD src1_sel:WORD_0
	v_lshl_add_u32 v37, v37, 10, 0x2000
	v_lshlrev_b32_e32 v36, 23, v36
	v_and_or_b32 v3, 0x8000, v3, v37
	v_lshl_or_b32 v36, v3, 16, v36
.LBB283_1766:                           ;   in Loop: Header=BB283_1059 Depth=1
	s_or_b32 exec_lo, exec_lo, s20
.LBB283_1767:                           ;   in Loop: Header=BB283_1059 Depth=1
	s_or_b32 exec_lo, exec_lo, s19
.LBB283_1768:                           ;   in Loop: Header=BB283_1059 Depth=1
	s_or_b32 exec_lo, exec_lo, s18
	v_lshrrev_b32_e32 v3, 16, v12
	v_cmp_ne_u16_sdwa s4, v3, v4 src0_sel:BYTE_0 src1_sel:DWORD
	s_and_saveexec_b32 s18, s4
	s_cbranch_execz .LBB283_1776
; %bb.1769:                             ;   in Loop: Header=BB283_1059 Depth=1
	v_cmp_ne_u16_sdwa s4, v3, v39 src0_sel:BYTE_0 src1_sel:DWORD
	v_mov_b32_e32 v22, 0x8000
	s_and_saveexec_b32 s19, s4
	s_cbranch_execz .LBB283_1775
; %bb.1770:                             ;   in Loop: Header=BB283_1059 Depth=1
	v_bfe_u32 v66, v12, 16, 7
	v_mov_b32_e32 v22, 0x7c01
	s_mov_b32 s20, exec_lo
	v_cmpx_ne_u32_e32 0x7f, v66
	s_cbranch_execz .LBB283_1774
; %bb.1771:                             ;   in Loop: Header=BB283_1059 Depth=1
	v_and_b32_e32 v22, 7, v3
	v_lshrrev_b32_e32 v37, 3, v66
	s_mov_b32 s21, exec_lo
	v_cmpx_gt_u32_e32 8, v66
; %bb.1772:                             ;   in Loop: Header=BB283_1059 Depth=1
	v_ffbh_u32_e32 v22, v22
	v_min_u32_e32 v22, 32, v22
	v_subrev_nc_u32_e32 v37, 28, v22
	v_lshlrev_b64 v[43:44], v37, v[3:4]
	v_sub_nc_u32_e32 v37, 29, v22
	v_and_b32_e32 v22, 7, v43
; %bb.1773:                             ;   in Loop: Header=BB283_1059 Depth=1
	s_or_b32 exec_lo, exec_lo, s21
	v_lshlrev_b32_e32 v3, 8, v3
	v_lshl_add_u32 v37, v37, 10, 0x2000
	v_lshlrev_b32_e32 v22, 7, v22
	v_and_b32_e32 v3, 0x8000, v3
	v_and_b32_e32 v37, 0xfc00, v37
	v_or3_b32 v22, v3, v37, v22
.LBB283_1774:                           ;   in Loop: Header=BB283_1059 Depth=1
	s_or_b32 exec_lo, exec_lo, s20
.LBB283_1775:                           ;   in Loop: Header=BB283_1059 Depth=1
	s_or_b32 exec_lo, exec_lo, s19
.LBB283_1776:                           ;   in Loop: Header=BB283_1059 Depth=1
	s_or_b32 exec_lo, exec_lo, s18
	v_cmp_lt_u64_e64 s4, s[6:7], v[11:12]
	v_mov_b32_e32 v11, 0
	s_and_saveexec_b32 s18, s4
	s_cbranch_execz .LBB283_1784
; %bb.1777:                             ;   in Loop: Header=BB283_1059 Depth=1
	v_lshrrev_b32_e32 v3, 24, v12
	v_bfrev_b32_e32 v11, 1
	s_mov_b32 s19, exec_lo
	v_cmpx_ne_u32_e32 0x80, v3
	s_cbranch_execz .LBB283_1783
; %bb.1778:                             ;   in Loop: Header=BB283_1059 Depth=1
	v_and_b32_e32 v37, 0x7f, v3
	v_mov_b32_e32 v11, 0x7c010000
	s_mov_b32 s20, exec_lo
	v_cmpx_ne_u32_e32 0x7f, v37
	s_cbranch_execz .LBB283_1782
; %bb.1779:                             ;   in Loop: Header=BB283_1059 Depth=1
	v_and_b32_e32 v11, 7, v3
	v_lshrrev_b32_e32 v12, 3, v37
	s_mov_b32 s21, exec_lo
	v_cmpx_gt_u32_e32 8, v37
; %bb.1780:                             ;   in Loop: Header=BB283_1059 Depth=1
	v_ffbh_u32_e32 v11, v11
	v_min_u32_e32 v37, 32, v11
	v_subrev_nc_u32_e32 v11, 28, v37
	v_lshlrev_b64 v[11:12], v11, v[3:4]
	v_sub_nc_u32_e32 v12, 29, v37
	v_and_b32_e32 v11, 7, v11
; %bb.1781:                             ;   in Loop: Header=BB283_1059 Depth=1
	s_or_b32 exec_lo, exec_lo, s21
	v_lshlrev_b32_e32 v3, 8, v3
	v_lshl_add_u32 v12, v12, 10, 0x2000
	v_lshlrev_b32_e32 v11, 23, v11
	v_and_or_b32 v3, 0x8000, v3, v12
	v_lshl_or_b32 v11, v3, 16, v11
.LBB283_1782:                           ;   in Loop: Header=BB283_1059 Depth=1
	s_or_b32 exec_lo, exec_lo, s20
.LBB283_1783:                           ;   in Loop: Header=BB283_1059 Depth=1
	s_or_b32 exec_lo, exec_lo, s19
.LBB283_1784:                           ;   in Loop: Header=BB283_1059 Depth=1
	s_or_b32 exec_lo, exec_lo, s18
	v_or_b32_e32 v3, v34, v35
	s_waitcnt vmcnt(0) lgkmcnt(0)
	v_fma_mixlo_f16 v12, v29, v34, 0 op_sel:[0,1,0] op_sel_hi:[0,1,0]
	v_or_b32_e32 v32, v31, v32
	v_or_b32_e32 v23, v36, v23
	;; [unrolled: 1-line block ×3, first 2 shown]
	v_fma_mixlo_f16 v34, v29, v3, 0 op_sel_hi:[0,1,0]
	v_fma_mixlo_f16 v31, v29, v31, 0 op_sel:[0,1,0] op_sel_hi:[0,1,0]
	v_lshlrev_b32_e32 v3, 16, v12
	v_fma_mixlo_f16 v32, v29, v32, 0 op_sel_hi:[0,1,0]
	v_fma_mixlo_f16 v23, v29, v23, 0 op_sel_hi:[0,1,0]
	v_and_b32_e32 v12, 0xffff, v34
	v_fma_mixlo_f16 v34, v29, v36, 0 op_sel:[0,1,0] op_sel_hi:[0,1,0]
	v_fma_mixlo_f16 v11, v29, v11, 0 op_sel:[0,1,0] op_sel_hi:[0,1,0]
	v_fma_mixlo_f16 v29, v29, v22, 0 op_sel_hi:[0,1,0]
	v_lshlrev_b32_e32 v31, 16, v31
	v_and_b32_e32 v37, 0xffff, v32
	v_lshlrev_b32_e32 v22, 16, v34
	v_and_b32_e32 v32, 0xffff, v23
	;; [unrolled: 2-line block ×3, first 2 shown]
	v_or_b32_e32 v29, v3, v12
	v_or_b32_e32 v36, v31, v37
	;; [unrolled: 1-line block ×4, first 2 shown]
	s_and_saveexec_b32 s18, vcc_lo
	s_cbranch_execz .LBB283_1786
; %bb.1785:                             ;   in Loop: Header=BB283_1059 Depth=1
	v_cmp_lt_i32_e64 s4, v71, v30
	v_cndmask_b32_e64 v29, 0, v37, s4
	v_cmp_lt_i32_e64 s4, v100, v30
	v_cndmask_b32_e64 v31, 0, v31, s4
	v_cmp_lt_i32_e64 s4, v99, v30
	v_or_b32_e32 v36, v29, v31
	v_cndmask_b32_e64 v12, 0, v12, s4
	v_cmp_lt_i32_e64 s4, v98, v30
	v_cndmask_b32_e64 v3, 0, v3, s4
	v_cmp_lt_i32_e64 s4, v97, v30
	v_or_b32_e32 v29, v12, v3
	;; [unrolled: 5-line block ×3, first 2 shown]
	v_cndmask_b32_e64 v23, 0, v23, s4
	v_cmp_lt_i32_e64 s4, v86, v30
	v_cndmask_b32_e64 v11, 0, v11, s4
	v_or_b32_e32 v34, v23, v11
.LBB283_1786:                           ;   in Loop: Header=BB283_1059 Depth=1
	s_or_b32 exec_lo, exec_lo, s18
	;;#ASMSTART
	v_pk_mul_f16 v3, v85, v36;

	;;#ASMEND
	;;#ASMSTART
	v_pk_mul_f16 v11, v84, v29;

	;;#ASMEND
	;; [unrolled: 4-line block ×4, first 2 shown]
	;;#ASMSTART
	v_pk_add_f16 v3, v3, v11;

	;;#ASMEND
	;;#ASMSTART
	v_pk_add_f16 v3, v3, v12;

	;;#ASMEND
	;; [unrolled: 4-line block ×3, first 2 shown]
	v_and_b32_e32 v11, 0xffff, v3
	v_lshrrev_b32_e32 v3, 16, v3
	;;#ASMSTART
	v_cvt_f32_f16 v29, v11;
	;;#ASMEND
	;;#ASMSTART
	v_cvt_f32_f16 v31, v3;
	;;#ASMEND
	flat_load_dwordx2 v[11:12], v[9:10] offset:768
	flat_load_dword v32, v[62:63]
	v_mov_b32_e32 v34, 0
	v_mov_b32_e32 v35, 0
	s_waitcnt vmcnt(1) lgkmcnt(1)
	v_cmp_ne_u16_sdwa s4, v11, v4 src0_sel:BYTE_0 src1_sel:DWORD
	s_and_saveexec_b32 s18, s4
	s_cbranch_execz .LBB283_1794
; %bb.1787:                             ;   in Loop: Header=BB283_1059 Depth=1
	v_cmp_ne_u16_sdwa s4, v11, v39 src0_sel:BYTE_0 src1_sel:DWORD
	v_mov_b32_e32 v35, 0x8000
	s_and_saveexec_b32 s19, s4
	s_cbranch_execz .LBB283_1793
; %bb.1788:                             ;   in Loop: Header=BB283_1059 Depth=1
	v_and_b32_e32 v23, 0x7f, v11
	v_mov_b32_e32 v35, 0x7c01
	s_mov_b32 s20, exec_lo
	v_cmpx_ne_u32_e32 0x7f, v23
	s_cbranch_execz .LBB283_1792
; %bb.1789:                             ;   in Loop: Header=BB283_1059 Depth=1
	v_and_b32_e32 v3, 7, v11
	v_lshrrev_b32_e32 v22, 3, v23
	s_mov_b32 s21, exec_lo
	v_cmpx_gt_u32_e32 8, v23
; %bb.1790:                             ;   in Loop: Header=BB283_1059 Depth=1
	v_ffbh_u32_e32 v3, v3
	v_min_u32_e32 v3, 32, v3
	v_subrev_nc_u32_e32 v22, 28, v3
	v_lshlrev_b64 v[35:36], v22, v[11:12]
	v_sub_nc_u32_e32 v22, 29, v3
	v_and_b32_e32 v3, 7, v35
; %bb.1791:                             ;   in Loop: Header=BB283_1059 Depth=1
	s_or_b32 exec_lo, exec_lo, s21
	v_lshlrev_b32_e32 v23, 8, v11
	v_lshl_add_u32 v22, v22, 10, 0x2000
	v_lshlrev_b32_e32 v3, 7, v3
	v_and_b32_e32 v23, 0x8000, v23
	v_and_b32_e32 v22, 0xfc00, v22
	v_or3_b32 v35, v23, v22, v3
.LBB283_1792:                           ;   in Loop: Header=BB283_1059 Depth=1
	s_or_b32 exec_lo, exec_lo, s20
.LBB283_1793:                           ;   in Loop: Header=BB283_1059 Depth=1
	s_or_b32 exec_lo, exec_lo, s19
.LBB283_1794:                           ;   in Loop: Header=BB283_1059 Depth=1
	s_or_b32 exec_lo, exec_lo, s18
	v_lshrrev_b16 v3, 8, v11
	s_mov_b32 s18, exec_lo
	v_cmpx_ne_u16_e32 0, v3
	s_cbranch_execz .LBB283_1802
; %bb.1795:                             ;   in Loop: Header=BB283_1059 Depth=1
	v_bfrev_b32_e32 v34, 1
	s_mov_b32 s19, exec_lo
	v_cmpx_ne_u16_e32 0x80, v3
	s_cbranch_execz .LBB283_1801
; %bb.1796:                             ;   in Loop: Header=BB283_1059 Depth=1
	v_and_b32_sdwa v36, v3, v48 dst_sel:DWORD dst_unused:UNUSED_PAD src0_sel:WORD_0 src1_sel:DWORD
	v_mov_b32_e32 v34, 0x7c010000
	s_mov_b32 s20, exec_lo
	v_cmpx_ne_u32_e32 0x7f, v36
	s_cbranch_execz .LBB283_1800
; %bb.1797:                             ;   in Loop: Header=BB283_1059 Depth=1
	v_and_b32_sdwa v22, v3, v19 dst_sel:DWORD dst_unused:UNUSED_PAD src0_sel:WORD_0 src1_sel:DWORD
	v_lshrrev_b32_e32 v23, 3, v36
	s_mov_b32 s21, exec_lo
	v_cmpx_gt_u32_e32 8, v36
; %bb.1798:                             ;   in Loop: Header=BB283_1059 Depth=1
	v_ffbh_u32_e32 v22, v22
	v_min_u32_e32 v34, 32, v22
	v_subrev_nc_u32_e32 v22, 28, v34
	v_lshlrev_b64 v[22:23], v22, v[3:4]
	v_sub_nc_u32_e32 v23, 29, v34
	v_and_b32_e32 v22, 7, v22
; %bb.1799:                             ;   in Loop: Header=BB283_1059 Depth=1
	s_or_b32 exec_lo, exec_lo, s21
	v_lshlrev_b32_sdwa v3, v67, v3 dst_sel:DWORD dst_unused:UNUSED_PAD src0_sel:DWORD src1_sel:WORD_0
	v_lshl_add_u32 v23, v23, 10, 0x2000
	v_lshlrev_b32_e32 v22, 23, v22
	v_and_or_b32 v3, 0x8000, v3, v23
	v_lshl_or_b32 v34, v3, 16, v22
.LBB283_1800:                           ;   in Loop: Header=BB283_1059 Depth=1
	s_or_b32 exec_lo, exec_lo, s20
.LBB283_1801:                           ;   in Loop: Header=BB283_1059 Depth=1
	s_or_b32 exec_lo, exec_lo, s19
.LBB283_1802:                           ;   in Loop: Header=BB283_1059 Depth=1
	s_or_b32 exec_lo, exec_lo, s18
	v_lshrrev_b32_e32 v3, 16, v11
	v_mov_b32_e32 v36, 0
	v_mov_b32_e32 v37, 0
	v_cmp_ne_u16_sdwa s4, v3, v4 src0_sel:BYTE_0 src1_sel:DWORD
	s_and_saveexec_b32 s18, s4
	s_cbranch_execz .LBB283_1810
; %bb.1803:                             ;   in Loop: Header=BB283_1059 Depth=1
	v_cmp_ne_u16_sdwa s4, v3, v39 src0_sel:BYTE_0 src1_sel:DWORD
	v_mov_b32_e32 v37, 0x8000
	s_and_saveexec_b32 s19, s4
	s_cbranch_execz .LBB283_1809
; %bb.1804:                             ;   in Loop: Header=BB283_1059 Depth=1
	v_bfe_u32 v66, v11, 16, 7
	v_mov_b32_e32 v37, 0x7c01
	s_mov_b32 s20, exec_lo
	v_cmpx_ne_u32_e32 0x7f, v66
	s_cbranch_execz .LBB283_1808
; %bb.1805:                             ;   in Loop: Header=BB283_1059 Depth=1
	v_and_b32_e32 v22, 7, v3
	v_lshrrev_b32_e32 v23, 3, v66
	s_mov_b32 s21, exec_lo
	v_cmpx_gt_u32_e32 8, v66
; %bb.1806:                             ;   in Loop: Header=BB283_1059 Depth=1
	v_ffbh_u32_e32 v22, v22
	v_min_u32_e32 v37, 32, v22
	v_subrev_nc_u32_e32 v22, 28, v37
	v_lshlrev_b64 v[22:23], v22, v[3:4]
	v_sub_nc_u32_e32 v23, 29, v37
	v_and_b32_e32 v22, 7, v22
; %bb.1807:                             ;   in Loop: Header=BB283_1059 Depth=1
	s_or_b32 exec_lo, exec_lo, s21
	v_lshlrev_b32_e32 v3, 8, v3
	v_lshl_add_u32 v23, v23, 10, 0x2000
	v_lshlrev_b32_e32 v22, 7, v22
	v_and_b32_e32 v3, 0x8000, v3
	v_and_b32_e32 v23, 0xfc00, v23
	v_or3_b32 v37, v3, v23, v22
.LBB283_1808:                           ;   in Loop: Header=BB283_1059 Depth=1
	s_or_b32 exec_lo, exec_lo, s20
.LBB283_1809:                           ;   in Loop: Header=BB283_1059 Depth=1
	s_or_b32 exec_lo, exec_lo, s19
.LBB283_1810:                           ;   in Loop: Header=BB283_1059 Depth=1
	s_or_b32 exec_lo, exec_lo, s18
	s_mov_b32 s18, exec_lo
	v_cmpx_lt_u32_e32 0xffffff, v11
	s_cbranch_execz .LBB283_1818
; %bb.1811:                             ;   in Loop: Header=BB283_1059 Depth=1
	v_lshrrev_b32_e32 v3, 24, v11
	v_bfrev_b32_e32 v36, 1
	s_mov_b32 s19, exec_lo
	v_cmpx_ne_u32_e32 0x80, v3
	s_cbranch_execz .LBB283_1817
; %bb.1812:                             ;   in Loop: Header=BB283_1059 Depth=1
	v_and_b32_e32 v66, 0x7f, v3
	v_mov_b32_e32 v36, 0x7c010000
	s_mov_b32 s20, exec_lo
	v_cmpx_ne_u32_e32 0x7f, v66
	s_cbranch_execz .LBB283_1816
; %bb.1813:                             ;   in Loop: Header=BB283_1059 Depth=1
	v_and_b32_e32 v22, 7, v3
	v_lshrrev_b32_e32 v23, 3, v66
	s_mov_b32 s21, exec_lo
	v_cmpx_gt_u32_e32 8, v66
; %bb.1814:                             ;   in Loop: Header=BB283_1059 Depth=1
	v_ffbh_u32_e32 v22, v22
	v_min_u32_e32 v36, 32, v22
	v_subrev_nc_u32_e32 v22, 28, v36
	v_lshlrev_b64 v[22:23], v22, v[3:4]
	v_sub_nc_u32_e32 v23, 29, v36
	v_and_b32_e32 v22, 7, v22
; %bb.1815:                             ;   in Loop: Header=BB283_1059 Depth=1
	s_or_b32 exec_lo, exec_lo, s21
	v_lshlrev_b32_e32 v3, 8, v3
	v_lshl_add_u32 v23, v23, 10, 0x2000
	v_lshlrev_b32_e32 v22, 23, v22
	v_and_or_b32 v3, 0x8000, v3, v23
	v_lshl_or_b32 v36, v3, 16, v22
.LBB283_1816:                           ;   in Loop: Header=BB283_1059 Depth=1
	s_or_b32 exec_lo, exec_lo, s20
.LBB283_1817:                           ;   in Loop: Header=BB283_1059 Depth=1
	s_or_b32 exec_lo, exec_lo, s19
.LBB283_1818:                           ;   in Loop: Header=BB283_1059 Depth=1
	s_or_b32 exec_lo, exec_lo, s18
	v_mov_b32_e32 v3, v12
	v_cmp_ne_u16_sdwa s4, v12, v4 src0_sel:BYTE_0 src1_sel:DWORD
	v_mov_b32_e32 v22, 0
	v_mov_b32_e32 v23, 0
	s_and_saveexec_b32 s18, s4
	s_cbranch_execz .LBB283_1826
; %bb.1819:                             ;   in Loop: Header=BB283_1059 Depth=1
	v_cmp_ne_u16_sdwa s4, v12, v39 src0_sel:BYTE_0 src1_sel:DWORD
	v_mov_b32_e32 v23, 0x8000
	s_and_saveexec_b32 s19, s4
	s_cbranch_execz .LBB283_1825
; %bb.1820:                             ;   in Loop: Header=BB283_1059 Depth=1
	v_and_b32_e32 v80, 0x7f, v12
	v_mov_b32_e32 v23, 0x7c01
	s_mov_b32 s20, exec_lo
	v_cmpx_ne_u32_e32 0x7f, v80
	s_cbranch_execz .LBB283_1824
; %bb.1821:                             ;   in Loop: Header=BB283_1059 Depth=1
	v_and_b32_e32 v23, 7, v12
	v_lshrrev_b32_e32 v66, 3, v80
	s_mov_b32 s21, exec_lo
	v_cmpx_gt_u32_e32 8, v80
; %bb.1822:                             ;   in Loop: Header=BB283_1059 Depth=1
	v_ffbh_u32_e32 v23, v23
	v_min_u32_e32 v23, 32, v23
	v_subrev_nc_u32_e32 v66, 28, v23
	v_lshlrev_b64 v[43:44], v66, v[3:4]
	v_sub_nc_u32_e32 v66, 29, v23
	v_and_b32_e32 v23, 7, v43
; %bb.1823:                             ;   in Loop: Header=BB283_1059 Depth=1
	s_or_b32 exec_lo, exec_lo, s21
	v_lshlrev_b32_e32 v80, 8, v12
	v_lshl_add_u32 v66, v66, 10, 0x2000
	v_lshlrev_b32_e32 v23, 7, v23
	v_and_b32_e32 v80, 0x8000, v80
	v_and_b32_e32 v66, 0xfc00, v66
	v_or3_b32 v23, v80, v66, v23
.LBB283_1824:                           ;   in Loop: Header=BB283_1059 Depth=1
	s_or_b32 exec_lo, exec_lo, s20
.LBB283_1825:                           ;   in Loop: Header=BB283_1059 Depth=1
	s_or_b32 exec_lo, exec_lo, s19
.LBB283_1826:                           ;   in Loop: Header=BB283_1059 Depth=1
	s_or_b32 exec_lo, exec_lo, s18
	v_lshrrev_b16 v3, 8, v3
	v_mov_b32_e32 v66, 0
	s_mov_b32 s18, exec_lo
	v_cmpx_ne_u16_e32 0, v3
	s_cbranch_execz .LBB283_1834
; %bb.1827:                             ;   in Loop: Header=BB283_1059 Depth=1
	v_bfrev_b32_e32 v66, 1
	s_mov_b32 s19, exec_lo
	v_cmpx_ne_u16_e32 0x80, v3
	s_cbranch_execz .LBB283_1833
; %bb.1828:                             ;   in Loop: Header=BB283_1059 Depth=1
	v_and_b32_sdwa v43, v3, v48 dst_sel:DWORD dst_unused:UNUSED_PAD src0_sel:WORD_0 src1_sel:DWORD
	v_mov_b32_e32 v66, 0x7c010000
	s_mov_b32 s20, exec_lo
	v_cmpx_ne_u32_e32 0x7f, v43
	s_cbranch_execz .LBB283_1832
; %bb.1829:                             ;   in Loop: Header=BB283_1059 Depth=1
	v_and_b32_sdwa v66, v3, v19 dst_sel:DWORD dst_unused:UNUSED_PAD src0_sel:WORD_0 src1_sel:DWORD
	v_lshrrev_b32_e32 v80, 3, v43
	s_mov_b32 s21, exec_lo
	v_cmpx_gt_u32_e32 8, v43
; %bb.1830:                             ;   in Loop: Header=BB283_1059 Depth=1
	v_ffbh_u32_e32 v66, v66
	v_min_u32_e32 v66, 32, v66
	v_subrev_nc_u32_e32 v80, 28, v66
	v_lshlrev_b64 v[43:44], v80, v[3:4]
	v_sub_nc_u32_e32 v80, 29, v66
	v_and_b32_e32 v66, 7, v43
; %bb.1831:                             ;   in Loop: Header=BB283_1059 Depth=1
	s_or_b32 exec_lo, exec_lo, s21
	v_lshlrev_b32_sdwa v3, v67, v3 dst_sel:DWORD dst_unused:UNUSED_PAD src0_sel:DWORD src1_sel:WORD_0
	v_lshl_add_u32 v80, v80, 10, 0x2000
	v_lshlrev_b32_e32 v66, 23, v66
	v_and_or_b32 v3, 0x8000, v3, v80
	v_lshl_or_b32 v66, v3, 16, v66
.LBB283_1832:                           ;   in Loop: Header=BB283_1059 Depth=1
	s_or_b32 exec_lo, exec_lo, s20
.LBB283_1833:                           ;   in Loop: Header=BB283_1059 Depth=1
	s_or_b32 exec_lo, exec_lo, s19
.LBB283_1834:                           ;   in Loop: Header=BB283_1059 Depth=1
	s_or_b32 exec_lo, exec_lo, s18
	v_lshrrev_b32_e32 v3, 16, v12
	v_cmp_ne_u16_sdwa s4, v3, v4 src0_sel:BYTE_0 src1_sel:DWORD
	s_and_saveexec_b32 s18, s4
	s_cbranch_execz .LBB283_1842
; %bb.1835:                             ;   in Loop: Header=BB283_1059 Depth=1
	v_cmp_ne_u16_sdwa s4, v3, v39 src0_sel:BYTE_0 src1_sel:DWORD
	v_mov_b32_e32 v22, 0x8000
	s_and_saveexec_b32 s19, s4
	s_cbranch_execz .LBB283_1841
; %bb.1836:                             ;   in Loop: Header=BB283_1059 Depth=1
	v_bfe_u32 v43, v12, 16, 7
	v_mov_b32_e32 v22, 0x7c01
	s_mov_b32 s20, exec_lo
	v_cmpx_ne_u32_e32 0x7f, v43
	s_cbranch_execz .LBB283_1840
; %bb.1837:                             ;   in Loop: Header=BB283_1059 Depth=1
	v_and_b32_e32 v22, 7, v3
	v_lshrrev_b32_e32 v80, 3, v43
	s_mov_b32 s21, exec_lo
	v_cmpx_gt_u32_e32 8, v43
; %bb.1838:                             ;   in Loop: Header=BB283_1059 Depth=1
	v_ffbh_u32_e32 v22, v22
	v_min_u32_e32 v22, 32, v22
	v_subrev_nc_u32_e32 v80, 28, v22
	v_lshlrev_b64 v[43:44], v80, v[3:4]
	v_sub_nc_u32_e32 v80, 29, v22
	v_and_b32_e32 v22, 7, v43
; %bb.1839:                             ;   in Loop: Header=BB283_1059 Depth=1
	s_or_b32 exec_lo, exec_lo, s21
	v_lshlrev_b32_e32 v3, 8, v3
	v_lshl_add_u32 v80, v80, 10, 0x2000
	v_lshlrev_b32_e32 v22, 7, v22
	v_and_b32_e32 v3, 0x8000, v3
	v_and_b32_e32 v80, 0xfc00, v80
	v_or3_b32 v22, v3, v80, v22
.LBB283_1840:                           ;   in Loop: Header=BB283_1059 Depth=1
	s_or_b32 exec_lo, exec_lo, s20
.LBB283_1841:                           ;   in Loop: Header=BB283_1059 Depth=1
	s_or_b32 exec_lo, exec_lo, s19
.LBB283_1842:                           ;   in Loop: Header=BB283_1059 Depth=1
	s_or_b32 exec_lo, exec_lo, s18
	v_cmp_lt_u64_e64 s4, s[6:7], v[11:12]
	v_mov_b32_e32 v11, 0
	s_and_saveexec_b32 s18, s4
	s_cbranch_execz .LBB283_1850
; %bb.1843:                             ;   in Loop: Header=BB283_1059 Depth=1
	v_lshrrev_b32_e32 v3, 24, v12
	v_bfrev_b32_e32 v11, 1
	s_mov_b32 s19, exec_lo
	v_cmpx_ne_u32_e32 0x80, v3
	s_cbranch_execz .LBB283_1849
; %bb.1844:                             ;   in Loop: Header=BB283_1059 Depth=1
	v_and_b32_e32 v80, 0x7f, v3
	v_mov_b32_e32 v11, 0x7c010000
	s_mov_b32 s20, exec_lo
	v_cmpx_ne_u32_e32 0x7f, v80
	s_cbranch_execz .LBB283_1848
; %bb.1845:                             ;   in Loop: Header=BB283_1059 Depth=1
	v_and_b32_e32 v11, 7, v3
	v_lshrrev_b32_e32 v12, 3, v80
	s_mov_b32 s21, exec_lo
	v_cmpx_gt_u32_e32 8, v80
; %bb.1846:                             ;   in Loop: Header=BB283_1059 Depth=1
	v_ffbh_u32_e32 v11, v11
	v_min_u32_e32 v80, 32, v11
	v_subrev_nc_u32_e32 v11, 28, v80
	v_lshlrev_b64 v[11:12], v11, v[3:4]
	v_sub_nc_u32_e32 v12, 29, v80
	v_and_b32_e32 v11, 7, v11
; %bb.1847:                             ;   in Loop: Header=BB283_1059 Depth=1
	s_or_b32 exec_lo, exec_lo, s21
	v_lshlrev_b32_e32 v3, 8, v3
	v_lshl_add_u32 v12, v12, 10, 0x2000
	v_lshlrev_b32_e32 v11, 23, v11
	v_and_or_b32 v3, 0x8000, v3, v12
	v_lshl_or_b32 v11, v3, 16, v11
.LBB283_1848:                           ;   in Loop: Header=BB283_1059 Depth=1
	s_or_b32 exec_lo, exec_lo, s20
.LBB283_1849:                           ;   in Loop: Header=BB283_1059 Depth=1
	s_or_b32 exec_lo, exec_lo, s19
.LBB283_1850:                           ;   in Loop: Header=BB283_1059 Depth=1
	s_or_b32 exec_lo, exec_lo, s18
	v_or_b32_e32 v3, v36, v37
	s_waitcnt vmcnt(0) lgkmcnt(0)
	v_fma_mixlo_f16 v12, v32, v36, 0 op_sel:[0,1,0] op_sel_hi:[0,1,0]
	v_or_b32_e32 v35, v34, v35
	v_or_b32_e32 v23, v66, v23
	;; [unrolled: 1-line block ×3, first 2 shown]
	v_fma_mixlo_f16 v36, v32, v3, 0 op_sel_hi:[0,1,0]
	v_fma_mixlo_f16 v34, v32, v34, 0 op_sel:[0,1,0] op_sel_hi:[0,1,0]
	v_lshlrev_b32_e32 v3, 16, v12
	v_fma_mixlo_f16 v35, v32, v35, 0 op_sel_hi:[0,1,0]
	v_fma_mixlo_f16 v23, v32, v23, 0 op_sel_hi:[0,1,0]
	v_and_b32_e32 v12, 0xffff, v36
	v_fma_mixlo_f16 v36, v32, v66, 0 op_sel:[0,1,0] op_sel_hi:[0,1,0]
	v_fma_mixlo_f16 v11, v32, v11, 0 op_sel:[0,1,0] op_sel_hi:[0,1,0]
	v_fma_mixlo_f16 v32, v32, v22, 0 op_sel_hi:[0,1,0]
	v_lshlrev_b32_e32 v34, 16, v34
	v_and_b32_e32 v80, 0xffff, v35
	v_lshlrev_b32_e32 v22, 16, v36
	v_and_b32_e32 v35, 0xffff, v23
	;; [unrolled: 2-line block ×3, first 2 shown]
	v_or_b32_e32 v32, v3, v12
	v_or_b32_e32 v66, v34, v80
	;; [unrolled: 1-line block ×4, first 2 shown]
	s_and_saveexec_b32 s18, vcc_lo
	s_cbranch_execz .LBB283_1852
; %bb.1851:                             ;   in Loop: Header=BB283_1059 Depth=1
	v_cmp_lt_i32_e64 s4, v71, v30
	v_cndmask_b32_e64 v32, 0, v80, s4
	v_cmp_lt_i32_e64 s4, v100, v30
	v_cndmask_b32_e64 v34, 0, v34, s4
	v_cmp_lt_i32_e64 s4, v99, v30
	v_or_b32_e32 v66, v32, v34
	v_cndmask_b32_e64 v12, 0, v12, s4
	v_cmp_lt_i32_e64 s4, v98, v30
	v_cndmask_b32_e64 v3, 0, v3, s4
	v_cmp_lt_i32_e64 s4, v97, v30
	v_or_b32_e32 v32, v12, v3
	;; [unrolled: 5-line block ×3, first 2 shown]
	v_cndmask_b32_e64 v23, 0, v23, s4
	v_cmp_lt_i32_e64 s4, v86, v30
	v_cndmask_b32_e64 v11, 0, v11, s4
	v_or_b32_e32 v36, v23, v11
.LBB283_1852:                           ;   in Loop: Header=BB283_1059 Depth=1
	s_or_b32 exec_lo, exec_lo, s18
	;;#ASMSTART
	v_pk_mul_f16 v3, v85, v66;

	;;#ASMEND
	;;#ASMSTART
	v_pk_mul_f16 v11, v84, v32;

	;;#ASMEND
	;; [unrolled: 4-line block ×4, first 2 shown]
	;;#ASMSTART
	v_pk_add_f16 v3, v3, v11;

	;;#ASMEND
	;;#ASMSTART
	v_pk_add_f16 v3, v3, v12;

	;;#ASMEND
	;; [unrolled: 4-line block ×3, first 2 shown]
	v_and_b32_e32 v11, 0xffff, v3
	v_lshrrev_b32_e32 v3, 16, v3
	;;#ASMSTART
	v_cvt_f32_f16 v32, v11;
	;;#ASMEND
	;;#ASMSTART
	v_cvt_f32_f16 v34, v3;
	;;#ASMEND
	flat_load_dwordx2 v[11:12], v[9:10] offset:1024
	flat_load_dword v35, v[62:63]
	v_mov_b32_e32 v36, 0
	v_mov_b32_e32 v37, 0
	s_waitcnt vmcnt(1) lgkmcnt(1)
	v_cmp_ne_u16_sdwa s4, v11, v4 src0_sel:BYTE_0 src1_sel:DWORD
	s_and_saveexec_b32 s18, s4
	s_cbranch_execz .LBB283_1860
; %bb.1853:                             ;   in Loop: Header=BB283_1059 Depth=1
	v_cmp_ne_u16_sdwa s4, v11, v39 src0_sel:BYTE_0 src1_sel:DWORD
	v_mov_b32_e32 v37, 0x8000
	s_and_saveexec_b32 s19, s4
	s_cbranch_execz .LBB283_1859
; %bb.1854:                             ;   in Loop: Header=BB283_1059 Depth=1
	v_and_b32_e32 v23, 0x7f, v11
	v_mov_b32_e32 v37, 0x7c01
	s_mov_b32 s20, exec_lo
	v_cmpx_ne_u32_e32 0x7f, v23
	s_cbranch_execz .LBB283_1858
; %bb.1855:                             ;   in Loop: Header=BB283_1059 Depth=1
	v_and_b32_e32 v3, 7, v11
	v_lshrrev_b32_e32 v22, 3, v23
	s_mov_b32 s21, exec_lo
	v_cmpx_gt_u32_e32 8, v23
; %bb.1856:                             ;   in Loop: Header=BB283_1059 Depth=1
	v_ffbh_u32_e32 v3, v3
	v_min_u32_e32 v3, 32, v3
	v_subrev_nc_u32_e32 v22, 28, v3
	v_lshlrev_b64 v[43:44], v22, v[11:12]
	v_sub_nc_u32_e32 v22, 29, v3
	v_and_b32_e32 v3, 7, v43
; %bb.1857:                             ;   in Loop: Header=BB283_1059 Depth=1
	s_or_b32 exec_lo, exec_lo, s21
	v_lshlrev_b32_e32 v23, 8, v11
	v_lshl_add_u32 v22, v22, 10, 0x2000
	v_lshlrev_b32_e32 v3, 7, v3
	v_and_b32_e32 v23, 0x8000, v23
	v_and_b32_e32 v22, 0xfc00, v22
	v_or3_b32 v37, v23, v22, v3
.LBB283_1858:                           ;   in Loop: Header=BB283_1059 Depth=1
	s_or_b32 exec_lo, exec_lo, s20
.LBB283_1859:                           ;   in Loop: Header=BB283_1059 Depth=1
	s_or_b32 exec_lo, exec_lo, s19
.LBB283_1860:                           ;   in Loop: Header=BB283_1059 Depth=1
	s_or_b32 exec_lo, exec_lo, s18
	v_lshrrev_b16 v3, 8, v11
	s_mov_b32 s18, exec_lo
	v_cmpx_ne_u16_e32 0, v3
	s_cbranch_execz .LBB283_1868
; %bb.1861:                             ;   in Loop: Header=BB283_1059 Depth=1
	v_bfrev_b32_e32 v36, 1
	s_mov_b32 s19, exec_lo
	v_cmpx_ne_u16_e32 0x80, v3
	s_cbranch_execz .LBB283_1867
; %bb.1862:                             ;   in Loop: Header=BB283_1059 Depth=1
	v_and_b32_sdwa v66, v3, v48 dst_sel:DWORD dst_unused:UNUSED_PAD src0_sel:WORD_0 src1_sel:DWORD
	v_mov_b32_e32 v36, 0x7c010000
	s_mov_b32 s20, exec_lo
	v_cmpx_ne_u32_e32 0x7f, v66
	s_cbranch_execz .LBB283_1866
; %bb.1863:                             ;   in Loop: Header=BB283_1059 Depth=1
	v_and_b32_sdwa v22, v3, v19 dst_sel:DWORD dst_unused:UNUSED_PAD src0_sel:WORD_0 src1_sel:DWORD
	v_lshrrev_b32_e32 v23, 3, v66
	s_mov_b32 s21, exec_lo
	v_cmpx_gt_u32_e32 8, v66
; %bb.1864:                             ;   in Loop: Header=BB283_1059 Depth=1
	v_ffbh_u32_e32 v22, v22
	v_min_u32_e32 v36, 32, v22
	v_subrev_nc_u32_e32 v22, 28, v36
	v_lshlrev_b64 v[22:23], v22, v[3:4]
	v_sub_nc_u32_e32 v23, 29, v36
	v_and_b32_e32 v22, 7, v22
; %bb.1865:                             ;   in Loop: Header=BB283_1059 Depth=1
	s_or_b32 exec_lo, exec_lo, s21
	v_lshlrev_b32_sdwa v3, v67, v3 dst_sel:DWORD dst_unused:UNUSED_PAD src0_sel:DWORD src1_sel:WORD_0
	v_lshl_add_u32 v23, v23, 10, 0x2000
	v_lshlrev_b32_e32 v22, 23, v22
	v_and_or_b32 v3, 0x8000, v3, v23
	v_lshl_or_b32 v36, v3, 16, v22
.LBB283_1866:                           ;   in Loop: Header=BB283_1059 Depth=1
	s_or_b32 exec_lo, exec_lo, s20
.LBB283_1867:                           ;   in Loop: Header=BB283_1059 Depth=1
	s_or_b32 exec_lo, exec_lo, s19
.LBB283_1868:                           ;   in Loop: Header=BB283_1059 Depth=1
	s_or_b32 exec_lo, exec_lo, s18
	v_lshrrev_b32_e32 v3, 16, v11
	v_mov_b32_e32 v43, 0
	v_mov_b32_e32 v44, 0
	v_cmp_ne_u16_sdwa s4, v3, v4 src0_sel:BYTE_0 src1_sel:DWORD
	s_and_saveexec_b32 s18, s4
	s_cbranch_execz .LBB283_1876
; %bb.1869:                             ;   in Loop: Header=BB283_1059 Depth=1
	v_cmp_ne_u16_sdwa s4, v3, v39 src0_sel:BYTE_0 src1_sel:DWORD
	v_mov_b32_e32 v44, 0x8000
	s_and_saveexec_b32 s19, s4
	s_cbranch_execz .LBB283_1875
; %bb.1870:                             ;   in Loop: Header=BB283_1059 Depth=1
	v_bfe_u32 v66, v11, 16, 7
	v_mov_b32_e32 v44, 0x7c01
	s_mov_b32 s20, exec_lo
	v_cmpx_ne_u32_e32 0x7f, v66
	s_cbranch_execz .LBB283_1874
; %bb.1871:                             ;   in Loop: Header=BB283_1059 Depth=1
	v_and_b32_e32 v22, 7, v3
	v_lshrrev_b32_e32 v23, 3, v66
	s_mov_b32 s21, exec_lo
	v_cmpx_gt_u32_e32 8, v66
; %bb.1872:                             ;   in Loop: Header=BB283_1059 Depth=1
	v_ffbh_u32_e32 v22, v22
	v_min_u32_e32 v66, 32, v22
	v_subrev_nc_u32_e32 v22, 28, v66
	v_lshlrev_b64 v[22:23], v22, v[3:4]
	v_sub_nc_u32_e32 v23, 29, v66
	v_and_b32_e32 v22, 7, v22
; %bb.1873:                             ;   in Loop: Header=BB283_1059 Depth=1
	s_or_b32 exec_lo, exec_lo, s21
	v_lshlrev_b32_e32 v3, 8, v3
	v_lshl_add_u32 v23, v23, 10, 0x2000
	v_lshlrev_b32_e32 v22, 7, v22
	v_and_b32_e32 v3, 0x8000, v3
	v_and_b32_e32 v23, 0xfc00, v23
	v_or3_b32 v44, v3, v23, v22
.LBB283_1874:                           ;   in Loop: Header=BB283_1059 Depth=1
	s_or_b32 exec_lo, exec_lo, s20
.LBB283_1875:                           ;   in Loop: Header=BB283_1059 Depth=1
	s_or_b32 exec_lo, exec_lo, s19
.LBB283_1876:                           ;   in Loop: Header=BB283_1059 Depth=1
	s_or_b32 exec_lo, exec_lo, s18
	s_mov_b32 s18, exec_lo
	v_cmpx_lt_u32_e32 0xffffff, v11
	s_cbranch_execz .LBB283_1884
; %bb.1877:                             ;   in Loop: Header=BB283_1059 Depth=1
	v_lshrrev_b32_e32 v3, 24, v11
	v_bfrev_b32_e32 v43, 1
	s_mov_b32 s19, exec_lo
	v_cmpx_ne_u32_e32 0x80, v3
	s_cbranch_execz .LBB283_1883
; %bb.1878:                             ;   in Loop: Header=BB283_1059 Depth=1
	v_and_b32_e32 v66, 0x7f, v3
	v_mov_b32_e32 v43, 0x7c010000
	s_mov_b32 s20, exec_lo
	v_cmpx_ne_u32_e32 0x7f, v66
	s_cbranch_execz .LBB283_1882
; %bb.1879:                             ;   in Loop: Header=BB283_1059 Depth=1
	v_and_b32_e32 v22, 7, v3
	v_lshrrev_b32_e32 v23, 3, v66
	s_mov_b32 s21, exec_lo
	v_cmpx_gt_u32_e32 8, v66
; %bb.1880:                             ;   in Loop: Header=BB283_1059 Depth=1
	v_ffbh_u32_e32 v22, v22
	v_min_u32_e32 v66, 32, v22
	v_subrev_nc_u32_e32 v22, 28, v66
	v_lshlrev_b64 v[22:23], v22, v[3:4]
	v_sub_nc_u32_e32 v23, 29, v66
	v_and_b32_e32 v22, 7, v22
; %bb.1881:                             ;   in Loop: Header=BB283_1059 Depth=1
	s_or_b32 exec_lo, exec_lo, s21
	v_lshlrev_b32_e32 v3, 8, v3
	v_lshl_add_u32 v23, v23, 10, 0x2000
	v_lshlrev_b32_e32 v22, 23, v22
	v_and_or_b32 v3, 0x8000, v3, v23
	v_lshl_or_b32 v43, v3, 16, v22
.LBB283_1882:                           ;   in Loop: Header=BB283_1059 Depth=1
	s_or_b32 exec_lo, exec_lo, s20
.LBB283_1883:                           ;   in Loop: Header=BB283_1059 Depth=1
	s_or_b32 exec_lo, exec_lo, s19
.LBB283_1884:                           ;   in Loop: Header=BB283_1059 Depth=1
	s_or_b32 exec_lo, exec_lo, s18
	v_mov_b32_e32 v3, v12
	v_cmp_ne_u16_sdwa s4, v12, v4 src0_sel:BYTE_0 src1_sel:DWORD
	v_mov_b32_e32 v22, 0
	v_mov_b32_e32 v23, 0
	s_and_saveexec_b32 s18, s4
	s_cbranch_execz .LBB283_1892
; %bb.1885:                             ;   in Loop: Header=BB283_1059 Depth=1
	v_cmp_ne_u16_sdwa s4, v12, v39 src0_sel:BYTE_0 src1_sel:DWORD
	v_mov_b32_e32 v23, 0x8000
	s_and_saveexec_b32 s19, s4
	s_cbranch_execz .LBB283_1891
; %bb.1886:                             ;   in Loop: Header=BB283_1059 Depth=1
	v_and_b32_e32 v80, 0x7f, v12
	v_mov_b32_e32 v23, 0x7c01
	s_mov_b32 s20, exec_lo
	v_cmpx_ne_u32_e32 0x7f, v80
	s_cbranch_execz .LBB283_1890
; %bb.1887:                             ;   in Loop: Header=BB283_1059 Depth=1
	v_and_b32_e32 v23, 7, v12
	v_lshrrev_b32_e32 v66, 3, v80
	s_mov_b32 s21, exec_lo
	v_cmpx_gt_u32_e32 8, v80
; %bb.1888:                             ;   in Loop: Header=BB283_1059 Depth=1
	v_ffbh_u32_e32 v23, v23
	v_min_u32_e32 v23, 32, v23
	v_subrev_nc_u32_e32 v66, 28, v23
	v_lshlrev_b64 v[45:46], v66, v[3:4]
	v_sub_nc_u32_e32 v66, 29, v23
	v_and_b32_e32 v23, 7, v45
; %bb.1889:                             ;   in Loop: Header=BB283_1059 Depth=1
	s_or_b32 exec_lo, exec_lo, s21
	v_lshlrev_b32_e32 v80, 8, v12
	v_lshl_add_u32 v66, v66, 10, 0x2000
	v_lshlrev_b32_e32 v23, 7, v23
	v_and_b32_e32 v80, 0x8000, v80
	v_and_b32_e32 v66, 0xfc00, v66
	v_or3_b32 v23, v80, v66, v23
.LBB283_1890:                           ;   in Loop: Header=BB283_1059 Depth=1
	s_or_b32 exec_lo, exec_lo, s20
.LBB283_1891:                           ;   in Loop: Header=BB283_1059 Depth=1
	s_or_b32 exec_lo, exec_lo, s19
.LBB283_1892:                           ;   in Loop: Header=BB283_1059 Depth=1
	s_or_b32 exec_lo, exec_lo, s18
	v_lshrrev_b16 v3, 8, v3
	v_mov_b32_e32 v66, 0
	s_mov_b32 s18, exec_lo
	v_cmpx_ne_u16_e32 0, v3
	s_cbranch_execz .LBB283_1900
; %bb.1893:                             ;   in Loop: Header=BB283_1059 Depth=1
	v_bfrev_b32_e32 v66, 1
	s_mov_b32 s19, exec_lo
	v_cmpx_ne_u16_e32 0x80, v3
	s_cbranch_execz .LBB283_1899
; %bb.1894:                             ;   in Loop: Header=BB283_1059 Depth=1
	v_and_b32_sdwa v45, v3, v48 dst_sel:DWORD dst_unused:UNUSED_PAD src0_sel:WORD_0 src1_sel:DWORD
	v_mov_b32_e32 v66, 0x7c010000
	s_mov_b32 s20, exec_lo
	v_cmpx_ne_u32_e32 0x7f, v45
	s_cbranch_execz .LBB283_1898
; %bb.1895:                             ;   in Loop: Header=BB283_1059 Depth=1
	v_and_b32_sdwa v66, v3, v19 dst_sel:DWORD dst_unused:UNUSED_PAD src0_sel:WORD_0 src1_sel:DWORD
	v_lshrrev_b32_e32 v80, 3, v45
	s_mov_b32 s21, exec_lo
	v_cmpx_gt_u32_e32 8, v45
; %bb.1896:                             ;   in Loop: Header=BB283_1059 Depth=1
	v_ffbh_u32_e32 v66, v66
	v_min_u32_e32 v66, 32, v66
	v_subrev_nc_u32_e32 v80, 28, v66
	v_lshlrev_b64 v[45:46], v80, v[3:4]
	v_sub_nc_u32_e32 v80, 29, v66
	v_and_b32_e32 v66, 7, v45
; %bb.1897:                             ;   in Loop: Header=BB283_1059 Depth=1
	s_or_b32 exec_lo, exec_lo, s21
	v_lshlrev_b32_sdwa v3, v67, v3 dst_sel:DWORD dst_unused:UNUSED_PAD src0_sel:DWORD src1_sel:WORD_0
	v_lshl_add_u32 v80, v80, 10, 0x2000
	v_lshlrev_b32_e32 v66, 23, v66
	v_and_or_b32 v3, 0x8000, v3, v80
	v_lshl_or_b32 v66, v3, 16, v66
.LBB283_1898:                           ;   in Loop: Header=BB283_1059 Depth=1
	s_or_b32 exec_lo, exec_lo, s20
.LBB283_1899:                           ;   in Loop: Header=BB283_1059 Depth=1
	s_or_b32 exec_lo, exec_lo, s19
.LBB283_1900:                           ;   in Loop: Header=BB283_1059 Depth=1
	s_or_b32 exec_lo, exec_lo, s18
	v_lshrrev_b32_e32 v3, 16, v12
	v_cmp_ne_u16_sdwa s4, v3, v4 src0_sel:BYTE_0 src1_sel:DWORD
	s_and_saveexec_b32 s18, s4
	s_cbranch_execz .LBB283_1908
; %bb.1901:                             ;   in Loop: Header=BB283_1059 Depth=1
	v_cmp_ne_u16_sdwa s4, v3, v39 src0_sel:BYTE_0 src1_sel:DWORD
	v_mov_b32_e32 v22, 0x8000
	s_and_saveexec_b32 s19, s4
	s_cbranch_execz .LBB283_1907
; %bb.1902:                             ;   in Loop: Header=BB283_1059 Depth=1
	v_bfe_u32 v45, v12, 16, 7
	v_mov_b32_e32 v22, 0x7c01
	s_mov_b32 s20, exec_lo
	v_cmpx_ne_u32_e32 0x7f, v45
	s_cbranch_execz .LBB283_1906
; %bb.1903:                             ;   in Loop: Header=BB283_1059 Depth=1
	v_and_b32_e32 v22, 7, v3
	v_lshrrev_b32_e32 v80, 3, v45
	s_mov_b32 s21, exec_lo
	v_cmpx_gt_u32_e32 8, v45
; %bb.1904:                             ;   in Loop: Header=BB283_1059 Depth=1
	v_ffbh_u32_e32 v22, v22
	v_min_u32_e32 v22, 32, v22
	v_subrev_nc_u32_e32 v80, 28, v22
	v_lshlrev_b64 v[45:46], v80, v[3:4]
	v_sub_nc_u32_e32 v80, 29, v22
	v_and_b32_e32 v22, 7, v45
; %bb.1905:                             ;   in Loop: Header=BB283_1059 Depth=1
	s_or_b32 exec_lo, exec_lo, s21
	v_lshlrev_b32_e32 v3, 8, v3
	v_lshl_add_u32 v80, v80, 10, 0x2000
	v_lshlrev_b32_e32 v22, 7, v22
	v_and_b32_e32 v3, 0x8000, v3
	v_and_b32_e32 v80, 0xfc00, v80
	v_or3_b32 v22, v3, v80, v22
.LBB283_1906:                           ;   in Loop: Header=BB283_1059 Depth=1
	s_or_b32 exec_lo, exec_lo, s20
.LBB283_1907:                           ;   in Loop: Header=BB283_1059 Depth=1
	s_or_b32 exec_lo, exec_lo, s19
.LBB283_1908:                           ;   in Loop: Header=BB283_1059 Depth=1
	s_or_b32 exec_lo, exec_lo, s18
	v_cmp_lt_u64_e64 s4, s[6:7], v[11:12]
	v_mov_b32_e32 v11, 0
	s_and_saveexec_b32 s18, s4
	s_cbranch_execz .LBB283_1916
; %bb.1909:                             ;   in Loop: Header=BB283_1059 Depth=1
	v_lshrrev_b32_e32 v3, 24, v12
	v_bfrev_b32_e32 v11, 1
	s_mov_b32 s19, exec_lo
	v_cmpx_ne_u32_e32 0x80, v3
	s_cbranch_execz .LBB283_1915
; %bb.1910:                             ;   in Loop: Header=BB283_1059 Depth=1
	v_and_b32_e32 v80, 0x7f, v3
	v_mov_b32_e32 v11, 0x7c010000
	s_mov_b32 s20, exec_lo
	v_cmpx_ne_u32_e32 0x7f, v80
	s_cbranch_execz .LBB283_1914
; %bb.1911:                             ;   in Loop: Header=BB283_1059 Depth=1
	v_and_b32_e32 v11, 7, v3
	v_lshrrev_b32_e32 v12, 3, v80
	s_mov_b32 s21, exec_lo
	v_cmpx_gt_u32_e32 8, v80
; %bb.1912:                             ;   in Loop: Header=BB283_1059 Depth=1
	v_ffbh_u32_e32 v11, v11
	v_min_u32_e32 v80, 32, v11
	v_subrev_nc_u32_e32 v11, 28, v80
	v_lshlrev_b64 v[11:12], v11, v[3:4]
	v_sub_nc_u32_e32 v12, 29, v80
	v_and_b32_e32 v11, 7, v11
; %bb.1913:                             ;   in Loop: Header=BB283_1059 Depth=1
	s_or_b32 exec_lo, exec_lo, s21
	v_lshlrev_b32_e32 v3, 8, v3
	v_lshl_add_u32 v12, v12, 10, 0x2000
	v_lshlrev_b32_e32 v11, 23, v11
	v_and_or_b32 v3, 0x8000, v3, v12
	v_lshl_or_b32 v11, v3, 16, v11
.LBB283_1914:                           ;   in Loop: Header=BB283_1059 Depth=1
	s_or_b32 exec_lo, exec_lo, s20
.LBB283_1915:                           ;   in Loop: Header=BB283_1059 Depth=1
	s_or_b32 exec_lo, exec_lo, s19
.LBB283_1916:                           ;   in Loop: Header=BB283_1059 Depth=1
	s_or_b32 exec_lo, exec_lo, s18
	v_or_b32_e32 v3, v43, v44
	v_or_b32_e32 v37, v36, v37
	;; [unrolled: 1-line block ×4, first 2 shown]
	s_waitcnt vmcnt(0) lgkmcnt(0)
	v_fma_mixlo_f16 v12, v35, v43, 0 op_sel:[0,1,0] op_sel_hi:[0,1,0]
	v_fma_mixlo_f16 v36, v35, v36, 0 op_sel:[0,1,0] op_sel_hi:[0,1,0]
	v_fma_mixlo_f16 v80, v35, v3, 0 op_sel_hi:[0,1,0]
	v_fma_mixlo_f16 v37, v35, v37, 0 op_sel_hi:[0,1,0]
	v_fma_mixlo_f16 v66, v35, v66, 0 op_sel:[0,1,0] op_sel_hi:[0,1,0]
	v_fma_mixlo_f16 v23, v35, v23, 0 op_sel_hi:[0,1,0]
	v_fma_mixlo_f16 v11, v35, v11, 0 op_sel:[0,1,0] op_sel_hi:[0,1,0]
	v_fma_mixlo_f16 v35, v35, v22, 0 op_sel_hi:[0,1,0]
	v_lshlrev_b32_e32 v3, 16, v12
	v_lshlrev_b32_e32 v36, 16, v36
	v_and_b32_e32 v12, 0xffff, v80
	v_and_b32_e32 v44, 0xffff, v37
	v_lshlrev_b32_e32 v22, 16, v66
	v_and_b32_e32 v37, 0xffff, v23
	v_lshlrev_b32_e32 v11, 16, v11
	v_and_b32_e32 v23, 0xffff, v35
	v_or_b32_e32 v35, v3, v12
	v_or_b32_e32 v43, v36, v44
	v_or_b32_e32 v80, v22, v37
	v_or_b32_e32 v66, v11, v23
	s_and_saveexec_b32 s18, vcc_lo
	s_cbranch_execz .LBB283_1918
; %bb.1917:                             ;   in Loop: Header=BB283_1059 Depth=1
	v_cmp_lt_i32_e64 s4, v71, v30
	v_cndmask_b32_e64 v35, 0, v44, s4
	v_cmp_lt_i32_e64 s4, v100, v30
	v_cndmask_b32_e64 v36, 0, v36, s4
	v_cmp_lt_i32_e64 s4, v99, v30
	v_or_b32_e32 v43, v35, v36
	v_cndmask_b32_e64 v12, 0, v12, s4
	v_cmp_lt_i32_e64 s4, v98, v30
	v_cndmask_b32_e64 v3, 0, v3, s4
	v_cmp_lt_i32_e64 s4, v97, v30
	v_or_b32_e32 v35, v12, v3
	;; [unrolled: 5-line block ×3, first 2 shown]
	v_cndmask_b32_e64 v23, 0, v23, s4
	v_cmp_lt_i32_e64 s4, v86, v30
	v_cndmask_b32_e64 v11, 0, v11, s4
	v_or_b32_e32 v66, v23, v11
.LBB283_1918:                           ;   in Loop: Header=BB283_1059 Depth=1
	s_or_b32 exec_lo, exec_lo, s18
	;;#ASMSTART
	v_pk_mul_f16 v3, v85, v43;

	;;#ASMEND
	;;#ASMSTART
	v_pk_mul_f16 v11, v84, v35;

	;;#ASMEND
	;;#ASMSTART
	v_pk_mul_f16 v12, v83, v80;

	;;#ASMEND
	;;#ASMSTART
	v_pk_mul_f16 v22, v82, v66;

	;;#ASMEND
	;;#ASMSTART
	v_pk_add_f16 v3, v3, v11;

	;;#ASMEND
	;;#ASMSTART
	v_pk_add_f16 v3, v3, v12;

	;;#ASMEND
	;; [unrolled: 4-line block ×3, first 2 shown]
	v_and_b32_e32 v11, 0xffff, v3
	v_lshrrev_b32_e32 v3, 16, v3
	;;#ASMSTART
	v_cvt_f32_f16 v35, v11;
	;;#ASMEND
	;;#ASMSTART
	v_cvt_f32_f16 v36, v3;
	;;#ASMEND
	flat_load_dwordx2 v[11:12], v[9:10] offset:1280
	flat_load_dword v37, v[62:63]
	v_mov_b32_e32 v43, 0
	v_mov_b32_e32 v44, 0
	s_waitcnt vmcnt(1) lgkmcnt(1)
	v_cmp_ne_u16_sdwa s4, v11, v4 src0_sel:BYTE_0 src1_sel:DWORD
	s_and_saveexec_b32 s18, s4
	s_cbranch_execz .LBB283_1926
; %bb.1919:                             ;   in Loop: Header=BB283_1059 Depth=1
	v_cmp_ne_u16_sdwa s4, v11, v39 src0_sel:BYTE_0 src1_sel:DWORD
	v_mov_b32_e32 v44, 0x8000
	s_and_saveexec_b32 s19, s4
	s_cbranch_execz .LBB283_1925
; %bb.1920:                             ;   in Loop: Header=BB283_1059 Depth=1
	v_and_b32_e32 v23, 0x7f, v11
	v_mov_b32_e32 v44, 0x7c01
	s_mov_b32 s20, exec_lo
	v_cmpx_ne_u32_e32 0x7f, v23
	s_cbranch_execz .LBB283_1924
; %bb.1921:                             ;   in Loop: Header=BB283_1059 Depth=1
	v_and_b32_e32 v3, 7, v11
	v_lshrrev_b32_e32 v22, 3, v23
	s_mov_b32 s21, exec_lo
	v_cmpx_gt_u32_e32 8, v23
; %bb.1922:                             ;   in Loop: Header=BB283_1059 Depth=1
	v_ffbh_u32_e32 v3, v3
	v_min_u32_e32 v3, 32, v3
	v_subrev_nc_u32_e32 v22, 28, v3
	v_lshlrev_b64 v[44:45], v22, v[11:12]
	v_sub_nc_u32_e32 v22, 29, v3
	v_and_b32_e32 v3, 7, v44
; %bb.1923:                             ;   in Loop: Header=BB283_1059 Depth=1
	s_or_b32 exec_lo, exec_lo, s21
	v_lshlrev_b32_e32 v23, 8, v11
	v_lshl_add_u32 v22, v22, 10, 0x2000
	v_lshlrev_b32_e32 v3, 7, v3
	v_and_b32_e32 v23, 0x8000, v23
	v_and_b32_e32 v22, 0xfc00, v22
	v_or3_b32 v44, v23, v22, v3
.LBB283_1924:                           ;   in Loop: Header=BB283_1059 Depth=1
	s_or_b32 exec_lo, exec_lo, s20
.LBB283_1925:                           ;   in Loop: Header=BB283_1059 Depth=1
	s_or_b32 exec_lo, exec_lo, s19
.LBB283_1926:                           ;   in Loop: Header=BB283_1059 Depth=1
	s_or_b32 exec_lo, exec_lo, s18
	v_lshrrev_b16 v3, 8, v11
	s_mov_b32 s18, exec_lo
	v_cmpx_ne_u16_e32 0, v3
	s_cbranch_execz .LBB283_1934
; %bb.1927:                             ;   in Loop: Header=BB283_1059 Depth=1
	v_bfrev_b32_e32 v43, 1
	s_mov_b32 s19, exec_lo
	v_cmpx_ne_u16_e32 0x80, v3
	s_cbranch_execz .LBB283_1933
; %bb.1928:                             ;   in Loop: Header=BB283_1059 Depth=1
	v_and_b32_sdwa v66, v3, v48 dst_sel:DWORD dst_unused:UNUSED_PAD src0_sel:WORD_0 src1_sel:DWORD
	v_mov_b32_e32 v43, 0x7c010000
	s_mov_b32 s20, exec_lo
	v_cmpx_ne_u32_e32 0x7f, v66
	s_cbranch_execz .LBB283_1932
; %bb.1929:                             ;   in Loop: Header=BB283_1059 Depth=1
	v_and_b32_sdwa v22, v3, v19 dst_sel:DWORD dst_unused:UNUSED_PAD src0_sel:WORD_0 src1_sel:DWORD
	v_lshrrev_b32_e32 v23, 3, v66
	s_mov_b32 s21, exec_lo
	v_cmpx_gt_u32_e32 8, v66
; %bb.1930:                             ;   in Loop: Header=BB283_1059 Depth=1
	v_ffbh_u32_e32 v22, v22
	v_min_u32_e32 v66, 32, v22
	v_subrev_nc_u32_e32 v22, 28, v66
	v_lshlrev_b64 v[22:23], v22, v[3:4]
	v_sub_nc_u32_e32 v23, 29, v66
	v_and_b32_e32 v22, 7, v22
; %bb.1931:                             ;   in Loop: Header=BB283_1059 Depth=1
	s_or_b32 exec_lo, exec_lo, s21
	v_lshlrev_b32_sdwa v3, v67, v3 dst_sel:DWORD dst_unused:UNUSED_PAD src0_sel:DWORD src1_sel:WORD_0
	v_lshl_add_u32 v23, v23, 10, 0x2000
	v_lshlrev_b32_e32 v22, 23, v22
	v_and_or_b32 v3, 0x8000, v3, v23
	v_lshl_or_b32 v43, v3, 16, v22
.LBB283_1932:                           ;   in Loop: Header=BB283_1059 Depth=1
	s_or_b32 exec_lo, exec_lo, s20
.LBB283_1933:                           ;   in Loop: Header=BB283_1059 Depth=1
	s_or_b32 exec_lo, exec_lo, s19
.LBB283_1934:                           ;   in Loop: Header=BB283_1059 Depth=1
	s_or_b32 exec_lo, exec_lo, s18
	v_lshrrev_b32_e32 v3, 16, v11
	v_mov_b32_e32 v45, 0
	v_mov_b32_e32 v46, 0
	v_cmp_ne_u16_sdwa s4, v3, v4 src0_sel:BYTE_0 src1_sel:DWORD
	s_and_saveexec_b32 s18, s4
	s_cbranch_execz .LBB283_1942
; %bb.1935:                             ;   in Loop: Header=BB283_1059 Depth=1
	v_cmp_ne_u16_sdwa s4, v3, v39 src0_sel:BYTE_0 src1_sel:DWORD
	v_mov_b32_e32 v46, 0x8000
	s_and_saveexec_b32 s19, s4
	s_cbranch_execz .LBB283_1941
; %bb.1936:                             ;   in Loop: Header=BB283_1059 Depth=1
	v_bfe_u32 v66, v11, 16, 7
	v_mov_b32_e32 v46, 0x7c01
	s_mov_b32 s20, exec_lo
	v_cmpx_ne_u32_e32 0x7f, v66
	s_cbranch_execz .LBB283_1940
; %bb.1937:                             ;   in Loop: Header=BB283_1059 Depth=1
	v_and_b32_e32 v22, 7, v3
	v_lshrrev_b32_e32 v23, 3, v66
	s_mov_b32 s21, exec_lo
	v_cmpx_gt_u32_e32 8, v66
; %bb.1938:                             ;   in Loop: Header=BB283_1059 Depth=1
	v_ffbh_u32_e32 v22, v22
	v_min_u32_e32 v66, 32, v22
	v_subrev_nc_u32_e32 v22, 28, v66
	v_lshlrev_b64 v[22:23], v22, v[3:4]
	v_sub_nc_u32_e32 v23, 29, v66
	v_and_b32_e32 v22, 7, v22
; %bb.1939:                             ;   in Loop: Header=BB283_1059 Depth=1
	s_or_b32 exec_lo, exec_lo, s21
	v_lshlrev_b32_e32 v3, 8, v3
	v_lshl_add_u32 v23, v23, 10, 0x2000
	v_lshlrev_b32_e32 v22, 7, v22
	v_and_b32_e32 v3, 0x8000, v3
	v_and_b32_e32 v23, 0xfc00, v23
	v_or3_b32 v46, v3, v23, v22
.LBB283_1940:                           ;   in Loop: Header=BB283_1059 Depth=1
	s_or_b32 exec_lo, exec_lo, s20
.LBB283_1941:                           ;   in Loop: Header=BB283_1059 Depth=1
	s_or_b32 exec_lo, exec_lo, s19
.LBB283_1942:                           ;   in Loop: Header=BB283_1059 Depth=1
	s_or_b32 exec_lo, exec_lo, s18
	s_mov_b32 s18, exec_lo
	v_cmpx_lt_u32_e32 0xffffff, v11
	s_cbranch_execz .LBB283_1950
; %bb.1943:                             ;   in Loop: Header=BB283_1059 Depth=1
	v_lshrrev_b32_e32 v3, 24, v11
	v_bfrev_b32_e32 v45, 1
	s_mov_b32 s19, exec_lo
	v_cmpx_ne_u32_e32 0x80, v3
	s_cbranch_execz .LBB283_1949
; %bb.1944:                             ;   in Loop: Header=BB283_1059 Depth=1
	v_and_b32_e32 v66, 0x7f, v3
	v_mov_b32_e32 v45, 0x7c010000
	s_mov_b32 s20, exec_lo
	v_cmpx_ne_u32_e32 0x7f, v66
	s_cbranch_execz .LBB283_1948
; %bb.1945:                             ;   in Loop: Header=BB283_1059 Depth=1
	v_and_b32_e32 v22, 7, v3
	v_lshrrev_b32_e32 v23, 3, v66
	s_mov_b32 s21, exec_lo
	v_cmpx_gt_u32_e32 8, v66
; %bb.1946:                             ;   in Loop: Header=BB283_1059 Depth=1
	v_ffbh_u32_e32 v22, v22
	v_min_u32_e32 v66, 32, v22
	v_subrev_nc_u32_e32 v22, 28, v66
	v_lshlrev_b64 v[22:23], v22, v[3:4]
	v_sub_nc_u32_e32 v23, 29, v66
	v_and_b32_e32 v22, 7, v22
; %bb.1947:                             ;   in Loop: Header=BB283_1059 Depth=1
	s_or_b32 exec_lo, exec_lo, s21
	v_lshlrev_b32_e32 v3, 8, v3
	v_lshl_add_u32 v23, v23, 10, 0x2000
	v_lshlrev_b32_e32 v22, 23, v22
	v_and_or_b32 v3, 0x8000, v3, v23
	v_lshl_or_b32 v45, v3, 16, v22
.LBB283_1948:                           ;   in Loop: Header=BB283_1059 Depth=1
	s_or_b32 exec_lo, exec_lo, s20
.LBB283_1949:                           ;   in Loop: Header=BB283_1059 Depth=1
	s_or_b32 exec_lo, exec_lo, s19
.LBB283_1950:                           ;   in Loop: Header=BB283_1059 Depth=1
	s_or_b32 exec_lo, exec_lo, s18
	v_mov_b32_e32 v3, v12
	v_cmp_ne_u16_sdwa s4, v12, v4 src0_sel:BYTE_0 src1_sel:DWORD
	v_mov_b32_e32 v22, 0
	v_mov_b32_e32 v23, 0
	s_and_saveexec_b32 s18, s4
	s_cbranch_execz .LBB283_1958
; %bb.1951:                             ;   in Loop: Header=BB283_1059 Depth=1
	v_cmp_ne_u16_sdwa s4, v12, v39 src0_sel:BYTE_0 src1_sel:DWORD
	v_mov_b32_e32 v23, 0x8000
	s_and_saveexec_b32 s19, s4
	s_cbranch_execz .LBB283_1957
; %bb.1952:                             ;   in Loop: Header=BB283_1059 Depth=1
	v_and_b32_e32 v80, 0x7f, v12
	v_mov_b32_e32 v23, 0x7c01
	s_mov_b32 s20, exec_lo
	v_cmpx_ne_u32_e32 0x7f, v80
	s_cbranch_execz .LBB283_1956
; %bb.1953:                             ;   in Loop: Header=BB283_1059 Depth=1
	v_and_b32_e32 v23, 7, v12
	v_lshrrev_b32_e32 v66, 3, v80
	s_mov_b32 s21, exec_lo
	v_cmpx_gt_u32_e32 8, v80
; %bb.1954:                             ;   in Loop: Header=BB283_1059 Depth=1
	v_ffbh_u32_e32 v23, v23
	v_min_u32_e32 v23, 32, v23
	v_subrev_nc_u32_e32 v66, 28, v23
	v_lshlrev_b64 v[56:57], v66, v[3:4]
	v_sub_nc_u32_e32 v66, 29, v23
	v_and_b32_e32 v23, 7, v56
; %bb.1955:                             ;   in Loop: Header=BB283_1059 Depth=1
	s_or_b32 exec_lo, exec_lo, s21
	v_lshlrev_b32_e32 v80, 8, v12
	v_lshl_add_u32 v66, v66, 10, 0x2000
	v_lshlrev_b32_e32 v23, 7, v23
	v_and_b32_e32 v80, 0x8000, v80
	v_and_b32_e32 v66, 0xfc00, v66
	v_or3_b32 v23, v80, v66, v23
.LBB283_1956:                           ;   in Loop: Header=BB283_1059 Depth=1
	s_or_b32 exec_lo, exec_lo, s20
.LBB283_1957:                           ;   in Loop: Header=BB283_1059 Depth=1
	s_or_b32 exec_lo, exec_lo, s19
.LBB283_1958:                           ;   in Loop: Header=BB283_1059 Depth=1
	s_or_b32 exec_lo, exec_lo, s18
	v_lshrrev_b16 v3, 8, v3
	v_mov_b32_e32 v66, 0
	s_mov_b32 s18, exec_lo
	v_cmpx_ne_u16_e32 0, v3
	s_cbranch_execz .LBB283_1966
; %bb.1959:                             ;   in Loop: Header=BB283_1059 Depth=1
	v_bfrev_b32_e32 v66, 1
	s_mov_b32 s19, exec_lo
	v_cmpx_ne_u16_e32 0x80, v3
	s_cbranch_execz .LBB283_1965
; %bb.1960:                             ;   in Loop: Header=BB283_1059 Depth=1
	v_and_b32_sdwa v47, v3, v48 dst_sel:DWORD dst_unused:UNUSED_PAD src0_sel:WORD_0 src1_sel:DWORD
	v_mov_b32_e32 v66, 0x7c010000
	s_mov_b32 s20, exec_lo
	v_cmpx_ne_u32_e32 0x7f, v47
	s_cbranch_execz .LBB283_1964
; %bb.1961:                             ;   in Loop: Header=BB283_1059 Depth=1
	v_and_b32_sdwa v66, v3, v19 dst_sel:DWORD dst_unused:UNUSED_PAD src0_sel:WORD_0 src1_sel:DWORD
	v_lshrrev_b32_e32 v80, 3, v47
	s_mov_b32 s21, exec_lo
	v_cmpx_gt_u32_e32 8, v47
; %bb.1962:                             ;   in Loop: Header=BB283_1059 Depth=1
	v_ffbh_u32_e32 v66, v66
	v_min_u32_e32 v66, 32, v66
	v_subrev_nc_u32_e32 v80, 28, v66
	v_lshlrev_b64 v[56:57], v80, v[3:4]
	v_sub_nc_u32_e32 v80, 29, v66
	v_and_b32_e32 v66, 7, v56
; %bb.1963:                             ;   in Loop: Header=BB283_1059 Depth=1
	s_or_b32 exec_lo, exec_lo, s21
	v_lshlrev_b32_sdwa v3, v67, v3 dst_sel:DWORD dst_unused:UNUSED_PAD src0_sel:DWORD src1_sel:WORD_0
	v_lshl_add_u32 v80, v80, 10, 0x2000
	v_lshlrev_b32_e32 v66, 23, v66
	v_and_or_b32 v3, 0x8000, v3, v80
	v_lshl_or_b32 v66, v3, 16, v66
.LBB283_1964:                           ;   in Loop: Header=BB283_1059 Depth=1
	s_or_b32 exec_lo, exec_lo, s20
.LBB283_1965:                           ;   in Loop: Header=BB283_1059 Depth=1
	s_or_b32 exec_lo, exec_lo, s19
.LBB283_1966:                           ;   in Loop: Header=BB283_1059 Depth=1
	s_or_b32 exec_lo, exec_lo, s18
	v_lshrrev_b32_e32 v3, 16, v12
	v_cmp_ne_u16_sdwa s4, v3, v4 src0_sel:BYTE_0 src1_sel:DWORD
	s_and_saveexec_b32 s18, s4
	s_cbranch_execz .LBB283_1974
; %bb.1967:                             ;   in Loop: Header=BB283_1059 Depth=1
	v_cmp_ne_u16_sdwa s4, v3, v39 src0_sel:BYTE_0 src1_sel:DWORD
	v_mov_b32_e32 v22, 0x8000
	s_and_saveexec_b32 s19, s4
	s_cbranch_execz .LBB283_1973
; %bb.1968:                             ;   in Loop: Header=BB283_1059 Depth=1
	v_bfe_u32 v47, v12, 16, 7
	v_mov_b32_e32 v22, 0x7c01
	s_mov_b32 s20, exec_lo
	v_cmpx_ne_u32_e32 0x7f, v47
	s_cbranch_execz .LBB283_1972
; %bb.1969:                             ;   in Loop: Header=BB283_1059 Depth=1
	v_and_b32_e32 v22, 7, v3
	v_lshrrev_b32_e32 v80, 3, v47
	s_mov_b32 s21, exec_lo
	v_cmpx_gt_u32_e32 8, v47
; %bb.1970:                             ;   in Loop: Header=BB283_1059 Depth=1
	v_ffbh_u32_e32 v22, v22
	v_min_u32_e32 v22, 32, v22
	v_subrev_nc_u32_e32 v80, 28, v22
	v_lshlrev_b64 v[56:57], v80, v[3:4]
	v_sub_nc_u32_e32 v80, 29, v22
	v_and_b32_e32 v22, 7, v56
; %bb.1971:                             ;   in Loop: Header=BB283_1059 Depth=1
	s_or_b32 exec_lo, exec_lo, s21
	v_lshlrev_b32_e32 v3, 8, v3
	v_lshl_add_u32 v80, v80, 10, 0x2000
	v_lshlrev_b32_e32 v22, 7, v22
	v_and_b32_e32 v3, 0x8000, v3
	v_and_b32_e32 v80, 0xfc00, v80
	v_or3_b32 v22, v3, v80, v22
.LBB283_1972:                           ;   in Loop: Header=BB283_1059 Depth=1
	s_or_b32 exec_lo, exec_lo, s20
.LBB283_1973:                           ;   in Loop: Header=BB283_1059 Depth=1
	s_or_b32 exec_lo, exec_lo, s19
.LBB283_1974:                           ;   in Loop: Header=BB283_1059 Depth=1
	s_or_b32 exec_lo, exec_lo, s18
	v_cmp_lt_u64_e64 s4, s[6:7], v[11:12]
	v_mov_b32_e32 v11, 0
	s_and_saveexec_b32 s18, s4
	s_cbranch_execz .LBB283_1982
; %bb.1975:                             ;   in Loop: Header=BB283_1059 Depth=1
	v_lshrrev_b32_e32 v3, 24, v12
	v_bfrev_b32_e32 v11, 1
	s_mov_b32 s19, exec_lo
	v_cmpx_ne_u32_e32 0x80, v3
	s_cbranch_execz .LBB283_1981
; %bb.1976:                             ;   in Loop: Header=BB283_1059 Depth=1
	v_and_b32_e32 v80, 0x7f, v3
	v_mov_b32_e32 v11, 0x7c010000
	s_mov_b32 s20, exec_lo
	v_cmpx_ne_u32_e32 0x7f, v80
	s_cbranch_execz .LBB283_1980
; %bb.1977:                             ;   in Loop: Header=BB283_1059 Depth=1
	v_and_b32_e32 v11, 7, v3
	v_lshrrev_b32_e32 v12, 3, v80
	s_mov_b32 s21, exec_lo
	v_cmpx_gt_u32_e32 8, v80
; %bb.1978:                             ;   in Loop: Header=BB283_1059 Depth=1
	v_ffbh_u32_e32 v11, v11
	v_min_u32_e32 v80, 32, v11
	v_subrev_nc_u32_e32 v11, 28, v80
	v_lshlrev_b64 v[11:12], v11, v[3:4]
	v_sub_nc_u32_e32 v12, 29, v80
	v_and_b32_e32 v11, 7, v11
; %bb.1979:                             ;   in Loop: Header=BB283_1059 Depth=1
	s_or_b32 exec_lo, exec_lo, s21
	v_lshlrev_b32_e32 v3, 8, v3
	v_lshl_add_u32 v12, v12, 10, 0x2000
	v_lshlrev_b32_e32 v11, 23, v11
	v_and_or_b32 v3, 0x8000, v3, v12
	v_lshl_or_b32 v11, v3, 16, v11
.LBB283_1980:                           ;   in Loop: Header=BB283_1059 Depth=1
	s_or_b32 exec_lo, exec_lo, s20
.LBB283_1981:                           ;   in Loop: Header=BB283_1059 Depth=1
	s_or_b32 exec_lo, exec_lo, s19
.LBB283_1982:                           ;   in Loop: Header=BB283_1059 Depth=1
	s_or_b32 exec_lo, exec_lo, s18
	v_or_b32_e32 v3, v45, v46
	v_or_b32_e32 v44, v43, v44
	;; [unrolled: 1-line block ×4, first 2 shown]
	s_waitcnt vmcnt(0) lgkmcnt(0)
	v_fma_mixlo_f16 v12, v37, v45, 0 op_sel:[0,1,0] op_sel_hi:[0,1,0]
	v_fma_mixlo_f16 v80, v37, v43, 0 op_sel:[0,1,0] op_sel_hi:[0,1,0]
	v_fma_mixlo_f16 v43, v37, v3, 0 op_sel_hi:[0,1,0]
	v_fma_mixlo_f16 v44, v37, v44, 0 op_sel_hi:[0,1,0]
	v_fma_mixlo_f16 v66, v37, v66, 0 op_sel:[0,1,0] op_sel_hi:[0,1,0]
	v_fma_mixlo_f16 v23, v37, v23, 0 op_sel_hi:[0,1,0]
	v_fma_mixlo_f16 v11, v37, v11, 0 op_sel:[0,1,0] op_sel_hi:[0,1,0]
	v_fma_mixlo_f16 v37, v37, v22, 0 op_sel_hi:[0,1,0]
	v_lshlrev_b32_e32 v3, 16, v12
	v_lshlrev_b32_e32 v80, 16, v80
	v_and_b32_e32 v12, 0xffff, v43
	v_and_b32_e32 v46, 0xffff, v44
	v_lshlrev_b32_e32 v22, 16, v66
	v_and_b32_e32 v66, 0xffff, v23
	v_lshlrev_b32_e32 v11, 16, v11
	v_and_b32_e32 v23, 0xffff, v37
	v_or_b32_e32 v37, v3, v12
	v_or_b32_e32 v45, v80, v46
	;; [unrolled: 1-line block ×4, first 2 shown]
	s_and_saveexec_b32 s18, vcc_lo
	s_cbranch_execz .LBB283_1984
; %bb.1983:                             ;   in Loop: Header=BB283_1059 Depth=1
	v_cmp_lt_i32_e64 s4, v71, v30
	v_cndmask_b32_e64 v37, 0, v46, s4
	v_cmp_lt_i32_e64 s4, v100, v30
	v_cndmask_b32_e64 v80, 0, v80, s4
	v_cmp_lt_i32_e64 s4, v99, v30
	v_or_b32_e32 v45, v37, v80
	v_cndmask_b32_e64 v12, 0, v12, s4
	v_cmp_lt_i32_e64 s4, v98, v30
	v_cndmask_b32_e64 v3, 0, v3, s4
	v_cmp_lt_i32_e64 s4, v97, v30
	v_or_b32_e32 v37, v12, v3
	;; [unrolled: 5-line block ×3, first 2 shown]
	v_cndmask_b32_e64 v23, 0, v23, s4
	v_cmp_lt_i32_e64 s4, v86, v30
	v_cndmask_b32_e64 v11, 0, v11, s4
	v_or_b32_e32 v43, v23, v11
.LBB283_1984:                           ;   in Loop: Header=BB283_1059 Depth=1
	s_or_b32 exec_lo, exec_lo, s18
	;;#ASMSTART
	v_pk_mul_f16 v3, v85, v45;

	;;#ASMEND
	;;#ASMSTART
	v_pk_mul_f16 v11, v84, v37;

	;;#ASMEND
	;; [unrolled: 4-line block ×4, first 2 shown]
	;;#ASMSTART
	v_pk_add_f16 v3, v3, v11;

	;;#ASMEND
	;;#ASMSTART
	v_pk_add_f16 v3, v3, v12;

	;;#ASMEND
	;; [unrolled: 4-line block ×3, first 2 shown]
	v_and_b32_e32 v11, 0xffff, v3
	v_lshrrev_b32_e32 v3, 16, v3
	;;#ASMSTART
	v_cvt_f32_f16 v37, v11;
	;;#ASMEND
	;;#ASMSTART
	v_cvt_f32_f16 v43, v3;
	;;#ASMEND
	flat_load_dwordx2 v[11:12], v[9:10] offset:1536
	flat_load_dword v44, v[62:63]
	v_mov_b32_e32 v45, 0
	v_mov_b32_e32 v46, 0
	s_waitcnt vmcnt(1) lgkmcnt(1)
	v_cmp_ne_u16_sdwa s4, v11, v4 src0_sel:BYTE_0 src1_sel:DWORD
	s_and_saveexec_b32 s18, s4
	s_cbranch_execz .LBB283_1992
; %bb.1985:                             ;   in Loop: Header=BB283_1059 Depth=1
	v_cmp_ne_u16_sdwa s4, v11, v39 src0_sel:BYTE_0 src1_sel:DWORD
	v_mov_b32_e32 v46, 0x8000
	s_and_saveexec_b32 s19, s4
	s_cbranch_execz .LBB283_1991
; %bb.1986:                             ;   in Loop: Header=BB283_1059 Depth=1
	v_and_b32_e32 v23, 0x7f, v11
	v_mov_b32_e32 v46, 0x7c01
	s_mov_b32 s20, exec_lo
	v_cmpx_ne_u32_e32 0x7f, v23
	s_cbranch_execz .LBB283_1990
; %bb.1987:                             ;   in Loop: Header=BB283_1059 Depth=1
	v_and_b32_e32 v3, 7, v11
	v_lshrrev_b32_e32 v22, 3, v23
	s_mov_b32 s21, exec_lo
	v_cmpx_gt_u32_e32 8, v23
; %bb.1988:                             ;   in Loop: Header=BB283_1059 Depth=1
	v_ffbh_u32_e32 v3, v3
	v_min_u32_e32 v3, 32, v3
	v_subrev_nc_u32_e32 v22, 28, v3
	v_lshlrev_b64 v[46:47], v22, v[11:12]
	v_sub_nc_u32_e32 v22, 29, v3
	v_and_b32_e32 v3, 7, v46
; %bb.1989:                             ;   in Loop: Header=BB283_1059 Depth=1
	s_or_b32 exec_lo, exec_lo, s21
	v_lshlrev_b32_e32 v23, 8, v11
	v_lshl_add_u32 v22, v22, 10, 0x2000
	v_lshlrev_b32_e32 v3, 7, v3
	v_and_b32_e32 v23, 0x8000, v23
	v_and_b32_e32 v22, 0xfc00, v22
	v_or3_b32 v46, v23, v22, v3
.LBB283_1990:                           ;   in Loop: Header=BB283_1059 Depth=1
	s_or_b32 exec_lo, exec_lo, s20
.LBB283_1991:                           ;   in Loop: Header=BB283_1059 Depth=1
	s_or_b32 exec_lo, exec_lo, s19
.LBB283_1992:                           ;   in Loop: Header=BB283_1059 Depth=1
	s_or_b32 exec_lo, exec_lo, s18
	v_lshrrev_b16 v3, 8, v11
	s_mov_b32 s18, exec_lo
	v_cmpx_ne_u16_e32 0, v3
	s_cbranch_execz .LBB283_2000
; %bb.1993:                             ;   in Loop: Header=BB283_1059 Depth=1
	v_bfrev_b32_e32 v45, 1
	s_mov_b32 s19, exec_lo
	v_cmpx_ne_u16_e32 0x80, v3
	s_cbranch_execz .LBB283_1999
; %bb.1994:                             ;   in Loop: Header=BB283_1059 Depth=1
	v_and_b32_sdwa v66, v3, v48 dst_sel:DWORD dst_unused:UNUSED_PAD src0_sel:WORD_0 src1_sel:DWORD
	v_mov_b32_e32 v45, 0x7c010000
	s_mov_b32 s20, exec_lo
	v_cmpx_ne_u32_e32 0x7f, v66
	s_cbranch_execz .LBB283_1998
; %bb.1995:                             ;   in Loop: Header=BB283_1059 Depth=1
	v_and_b32_sdwa v22, v3, v19 dst_sel:DWORD dst_unused:UNUSED_PAD src0_sel:WORD_0 src1_sel:DWORD
	v_lshrrev_b32_e32 v23, 3, v66
	s_mov_b32 s21, exec_lo
	v_cmpx_gt_u32_e32 8, v66
; %bb.1996:                             ;   in Loop: Header=BB283_1059 Depth=1
	v_ffbh_u32_e32 v22, v22
	v_min_u32_e32 v66, 32, v22
	v_subrev_nc_u32_e32 v22, 28, v66
	v_lshlrev_b64 v[22:23], v22, v[3:4]
	v_sub_nc_u32_e32 v23, 29, v66
	v_and_b32_e32 v22, 7, v22
; %bb.1997:                             ;   in Loop: Header=BB283_1059 Depth=1
	s_or_b32 exec_lo, exec_lo, s21
	v_lshlrev_b32_sdwa v3, v67, v3 dst_sel:DWORD dst_unused:UNUSED_PAD src0_sel:DWORD src1_sel:WORD_0
	v_lshl_add_u32 v23, v23, 10, 0x2000
	v_lshlrev_b32_e32 v22, 23, v22
	v_and_or_b32 v3, 0x8000, v3, v23
	v_lshl_or_b32 v45, v3, 16, v22
.LBB283_1998:                           ;   in Loop: Header=BB283_1059 Depth=1
	s_or_b32 exec_lo, exec_lo, s20
.LBB283_1999:                           ;   in Loop: Header=BB283_1059 Depth=1
	s_or_b32 exec_lo, exec_lo, s19
.LBB283_2000:                           ;   in Loop: Header=BB283_1059 Depth=1
	s_or_b32 exec_lo, exec_lo, s18
	v_lshrrev_b32_e32 v3, 16, v11
	v_mov_b32_e32 v47, 0
	v_mov_b32_e32 v56, 0
	v_cmp_ne_u16_sdwa s4, v3, v4 src0_sel:BYTE_0 src1_sel:DWORD
	s_and_saveexec_b32 s18, s4
	s_cbranch_execz .LBB283_2008
; %bb.2001:                             ;   in Loop: Header=BB283_1059 Depth=1
	v_cmp_ne_u16_sdwa s4, v3, v39 src0_sel:BYTE_0 src1_sel:DWORD
	v_mov_b32_e32 v56, 0x8000
	s_and_saveexec_b32 s19, s4
	s_cbranch_execz .LBB283_2007
; %bb.2002:                             ;   in Loop: Header=BB283_1059 Depth=1
	v_bfe_u32 v66, v11, 16, 7
	v_mov_b32_e32 v56, 0x7c01
	s_mov_b32 s20, exec_lo
	v_cmpx_ne_u32_e32 0x7f, v66
	s_cbranch_execz .LBB283_2006
; %bb.2003:                             ;   in Loop: Header=BB283_1059 Depth=1
	v_and_b32_e32 v22, 7, v3
	v_lshrrev_b32_e32 v23, 3, v66
	s_mov_b32 s21, exec_lo
	v_cmpx_gt_u32_e32 8, v66
; %bb.2004:                             ;   in Loop: Header=BB283_1059 Depth=1
	v_ffbh_u32_e32 v22, v22
	v_min_u32_e32 v66, 32, v22
	v_subrev_nc_u32_e32 v22, 28, v66
	v_lshlrev_b64 v[22:23], v22, v[3:4]
	v_sub_nc_u32_e32 v23, 29, v66
	v_and_b32_e32 v22, 7, v22
; %bb.2005:                             ;   in Loop: Header=BB283_1059 Depth=1
	s_or_b32 exec_lo, exec_lo, s21
	v_lshlrev_b32_e32 v3, 8, v3
	v_lshl_add_u32 v23, v23, 10, 0x2000
	v_lshlrev_b32_e32 v22, 7, v22
	v_and_b32_e32 v3, 0x8000, v3
	v_and_b32_e32 v23, 0xfc00, v23
	v_or3_b32 v56, v3, v23, v22
.LBB283_2006:                           ;   in Loop: Header=BB283_1059 Depth=1
	s_or_b32 exec_lo, exec_lo, s20
.LBB283_2007:                           ;   in Loop: Header=BB283_1059 Depth=1
	s_or_b32 exec_lo, exec_lo, s19
.LBB283_2008:                           ;   in Loop: Header=BB283_1059 Depth=1
	s_or_b32 exec_lo, exec_lo, s18
	s_mov_b32 s18, exec_lo
	v_cmpx_lt_u32_e32 0xffffff, v11
	s_cbranch_execz .LBB283_2016
; %bb.2009:                             ;   in Loop: Header=BB283_1059 Depth=1
	v_lshrrev_b32_e32 v3, 24, v11
	v_bfrev_b32_e32 v47, 1
	s_mov_b32 s19, exec_lo
	v_cmpx_ne_u32_e32 0x80, v3
	s_cbranch_execz .LBB283_2015
; %bb.2010:                             ;   in Loop: Header=BB283_1059 Depth=1
	v_and_b32_e32 v66, 0x7f, v3
	v_mov_b32_e32 v47, 0x7c010000
	s_mov_b32 s20, exec_lo
	v_cmpx_ne_u32_e32 0x7f, v66
	s_cbranch_execz .LBB283_2014
; %bb.2011:                             ;   in Loop: Header=BB283_1059 Depth=1
	v_and_b32_e32 v22, 7, v3
	v_lshrrev_b32_e32 v23, 3, v66
	s_mov_b32 s21, exec_lo
	v_cmpx_gt_u32_e32 8, v66
; %bb.2012:                             ;   in Loop: Header=BB283_1059 Depth=1
	v_ffbh_u32_e32 v22, v22
	v_min_u32_e32 v66, 32, v22
	v_subrev_nc_u32_e32 v22, 28, v66
	v_lshlrev_b64 v[22:23], v22, v[3:4]
	v_sub_nc_u32_e32 v23, 29, v66
	v_and_b32_e32 v22, 7, v22
; %bb.2013:                             ;   in Loop: Header=BB283_1059 Depth=1
	s_or_b32 exec_lo, exec_lo, s21
	v_lshlrev_b32_e32 v3, 8, v3
	v_lshl_add_u32 v23, v23, 10, 0x2000
	v_lshlrev_b32_e32 v22, 23, v22
	v_and_or_b32 v3, 0x8000, v3, v23
	v_lshl_or_b32 v47, v3, 16, v22
.LBB283_2014:                           ;   in Loop: Header=BB283_1059 Depth=1
	s_or_b32 exec_lo, exec_lo, s20
.LBB283_2015:                           ;   in Loop: Header=BB283_1059 Depth=1
	s_or_b32 exec_lo, exec_lo, s19
.LBB283_2016:                           ;   in Loop: Header=BB283_1059 Depth=1
	s_or_b32 exec_lo, exec_lo, s18
	v_mov_b32_e32 v3, v12
	v_cmp_ne_u16_sdwa s4, v12, v4 src0_sel:BYTE_0 src1_sel:DWORD
	v_mov_b32_e32 v22, 0
	v_mov_b32_e32 v23, 0
	s_and_saveexec_b32 s18, s4
	s_cbranch_execz .LBB283_2024
; %bb.2017:                             ;   in Loop: Header=BB283_1059 Depth=1
	v_cmp_ne_u16_sdwa s4, v12, v39 src0_sel:BYTE_0 src1_sel:DWORD
	v_mov_b32_e32 v23, 0x8000
	s_and_saveexec_b32 s19, s4
	s_cbranch_execz .LBB283_2023
; %bb.2018:                             ;   in Loop: Header=BB283_1059 Depth=1
	v_and_b32_e32 v80, 0x7f, v12
	v_mov_b32_e32 v23, 0x7c01
	s_mov_b32 s20, exec_lo
	v_cmpx_ne_u32_e32 0x7f, v80
	s_cbranch_execz .LBB283_2022
; %bb.2019:                             ;   in Loop: Header=BB283_1059 Depth=1
	v_and_b32_e32 v23, 7, v12
	v_lshrrev_b32_e32 v66, 3, v80
	s_mov_b32 s21, exec_lo
	v_cmpx_gt_u32_e32 8, v80
; %bb.2020:                             ;   in Loop: Header=BB283_1059 Depth=1
	v_ffbh_u32_e32 v23, v23
	v_min_u32_e32 v23, 32, v23
	v_subrev_nc_u32_e32 v66, 28, v23
	v_lshlrev_b64 v[57:58], v66, v[3:4]
	v_sub_nc_u32_e32 v66, 29, v23
	v_and_b32_e32 v23, 7, v57
; %bb.2021:                             ;   in Loop: Header=BB283_1059 Depth=1
	s_or_b32 exec_lo, exec_lo, s21
	v_lshlrev_b32_e32 v80, 8, v12
	v_lshl_add_u32 v66, v66, 10, 0x2000
	v_lshlrev_b32_e32 v23, 7, v23
	v_and_b32_e32 v80, 0x8000, v80
	v_and_b32_e32 v66, 0xfc00, v66
	v_or3_b32 v23, v80, v66, v23
.LBB283_2022:                           ;   in Loop: Header=BB283_1059 Depth=1
	s_or_b32 exec_lo, exec_lo, s20
.LBB283_2023:                           ;   in Loop: Header=BB283_1059 Depth=1
	s_or_b32 exec_lo, exec_lo, s19
.LBB283_2024:                           ;   in Loop: Header=BB283_1059 Depth=1
	s_or_b32 exec_lo, exec_lo, s18
	v_lshrrev_b16 v3, 8, v3
	v_mov_b32_e32 v66, 0
	s_mov_b32 s18, exec_lo
	v_cmpx_ne_u16_e32 0, v3
	s_cbranch_execz .LBB283_2032
; %bb.2025:                             ;   in Loop: Header=BB283_1059 Depth=1
	v_bfrev_b32_e32 v66, 1
	s_mov_b32 s19, exec_lo
	v_cmpx_ne_u16_e32 0x80, v3
	s_cbranch_execz .LBB283_2031
; %bb.2026:                             ;   in Loop: Header=BB283_1059 Depth=1
	v_and_b32_sdwa v57, v3, v48 dst_sel:DWORD dst_unused:UNUSED_PAD src0_sel:WORD_0 src1_sel:DWORD
	v_mov_b32_e32 v66, 0x7c010000
	s_mov_b32 s20, exec_lo
	v_cmpx_ne_u32_e32 0x7f, v57
	s_cbranch_execz .LBB283_2030
; %bb.2027:                             ;   in Loop: Header=BB283_1059 Depth=1
	v_and_b32_sdwa v66, v3, v19 dst_sel:DWORD dst_unused:UNUSED_PAD src0_sel:WORD_0 src1_sel:DWORD
	v_lshrrev_b32_e32 v80, 3, v57
	s_mov_b32 s21, exec_lo
	v_cmpx_gt_u32_e32 8, v57
; %bb.2028:                             ;   in Loop: Header=BB283_1059 Depth=1
	v_ffbh_u32_e32 v66, v66
	v_min_u32_e32 v66, 32, v66
	v_subrev_nc_u32_e32 v80, 28, v66
	v_lshlrev_b64 v[57:58], v80, v[3:4]
	v_sub_nc_u32_e32 v80, 29, v66
	v_and_b32_e32 v66, 7, v57
; %bb.2029:                             ;   in Loop: Header=BB283_1059 Depth=1
	s_or_b32 exec_lo, exec_lo, s21
	v_lshlrev_b32_sdwa v3, v67, v3 dst_sel:DWORD dst_unused:UNUSED_PAD src0_sel:DWORD src1_sel:WORD_0
	v_lshl_add_u32 v80, v80, 10, 0x2000
	v_lshlrev_b32_e32 v66, 23, v66
	v_and_or_b32 v3, 0x8000, v3, v80
	v_lshl_or_b32 v66, v3, 16, v66
.LBB283_2030:                           ;   in Loop: Header=BB283_1059 Depth=1
	s_or_b32 exec_lo, exec_lo, s20
.LBB283_2031:                           ;   in Loop: Header=BB283_1059 Depth=1
	s_or_b32 exec_lo, exec_lo, s19
.LBB283_2032:                           ;   in Loop: Header=BB283_1059 Depth=1
	s_or_b32 exec_lo, exec_lo, s18
	v_lshrrev_b32_e32 v3, 16, v12
	v_cmp_ne_u16_sdwa s4, v3, v4 src0_sel:BYTE_0 src1_sel:DWORD
	s_and_saveexec_b32 s18, s4
	s_cbranch_execz .LBB283_2040
; %bb.2033:                             ;   in Loop: Header=BB283_1059 Depth=1
	v_cmp_ne_u16_sdwa s4, v3, v39 src0_sel:BYTE_0 src1_sel:DWORD
	v_mov_b32_e32 v22, 0x8000
	s_and_saveexec_b32 s19, s4
	s_cbranch_execz .LBB283_2039
; %bb.2034:                             ;   in Loop: Header=BB283_1059 Depth=1
	v_bfe_u32 v57, v12, 16, 7
	v_mov_b32_e32 v22, 0x7c01
	s_mov_b32 s20, exec_lo
	v_cmpx_ne_u32_e32 0x7f, v57
	s_cbranch_execz .LBB283_2038
; %bb.2035:                             ;   in Loop: Header=BB283_1059 Depth=1
	v_and_b32_e32 v22, 7, v3
	v_lshrrev_b32_e32 v80, 3, v57
	s_mov_b32 s21, exec_lo
	v_cmpx_gt_u32_e32 8, v57
; %bb.2036:                             ;   in Loop: Header=BB283_1059 Depth=1
	v_ffbh_u32_e32 v22, v22
	v_min_u32_e32 v22, 32, v22
	v_subrev_nc_u32_e32 v80, 28, v22
	v_lshlrev_b64 v[57:58], v80, v[3:4]
	v_sub_nc_u32_e32 v80, 29, v22
	v_and_b32_e32 v22, 7, v57
; %bb.2037:                             ;   in Loop: Header=BB283_1059 Depth=1
	s_or_b32 exec_lo, exec_lo, s21
	v_lshlrev_b32_e32 v3, 8, v3
	v_lshl_add_u32 v80, v80, 10, 0x2000
	v_lshlrev_b32_e32 v22, 7, v22
	v_and_b32_e32 v3, 0x8000, v3
	v_and_b32_e32 v80, 0xfc00, v80
	v_or3_b32 v22, v3, v80, v22
.LBB283_2038:                           ;   in Loop: Header=BB283_1059 Depth=1
	s_or_b32 exec_lo, exec_lo, s20
.LBB283_2039:                           ;   in Loop: Header=BB283_1059 Depth=1
	s_or_b32 exec_lo, exec_lo, s19
.LBB283_2040:                           ;   in Loop: Header=BB283_1059 Depth=1
	s_or_b32 exec_lo, exec_lo, s18
	v_cmp_lt_u64_e64 s4, s[6:7], v[11:12]
	v_mov_b32_e32 v11, 0
	s_and_saveexec_b32 s18, s4
	s_cbranch_execz .LBB283_2048
; %bb.2041:                             ;   in Loop: Header=BB283_1059 Depth=1
	v_lshrrev_b32_e32 v3, 24, v12
	v_bfrev_b32_e32 v11, 1
	s_mov_b32 s19, exec_lo
	v_cmpx_ne_u32_e32 0x80, v3
	s_cbranch_execz .LBB283_2047
; %bb.2042:                             ;   in Loop: Header=BB283_1059 Depth=1
	v_and_b32_e32 v80, 0x7f, v3
	v_mov_b32_e32 v11, 0x7c010000
	s_mov_b32 s20, exec_lo
	v_cmpx_ne_u32_e32 0x7f, v80
	s_cbranch_execz .LBB283_2046
; %bb.2043:                             ;   in Loop: Header=BB283_1059 Depth=1
	v_and_b32_e32 v11, 7, v3
	v_lshrrev_b32_e32 v12, 3, v80
	s_mov_b32 s21, exec_lo
	v_cmpx_gt_u32_e32 8, v80
; %bb.2044:                             ;   in Loop: Header=BB283_1059 Depth=1
	v_ffbh_u32_e32 v11, v11
	v_min_u32_e32 v80, 32, v11
	v_subrev_nc_u32_e32 v11, 28, v80
	v_lshlrev_b64 v[11:12], v11, v[3:4]
	v_sub_nc_u32_e32 v12, 29, v80
	v_and_b32_e32 v11, 7, v11
; %bb.2045:                             ;   in Loop: Header=BB283_1059 Depth=1
	s_or_b32 exec_lo, exec_lo, s21
	v_lshlrev_b32_e32 v3, 8, v3
	v_lshl_add_u32 v12, v12, 10, 0x2000
	v_lshlrev_b32_e32 v11, 23, v11
	v_and_or_b32 v3, 0x8000, v3, v12
	v_lshl_or_b32 v11, v3, 16, v11
.LBB283_2046:                           ;   in Loop: Header=BB283_1059 Depth=1
	s_or_b32 exec_lo, exec_lo, s20
.LBB283_2047:                           ;   in Loop: Header=BB283_1059 Depth=1
	s_or_b32 exec_lo, exec_lo, s19
.LBB283_2048:                           ;   in Loop: Header=BB283_1059 Depth=1
	s_or_b32 exec_lo, exec_lo, s18
	v_or_b32_e32 v3, v47, v56
	s_waitcnt vmcnt(0) lgkmcnt(0)
	v_fma_mixlo_f16 v12, v44, v47, 0 op_sel:[0,1,0] op_sel_hi:[0,1,0]
	v_or_b32_e32 v46, v45, v46
	v_fma_mixlo_f16 v80, v44, v45, 0 op_sel:[0,1,0] op_sel_hi:[0,1,0]
	v_or_b32_e32 v23, v66, v23
	v_fma_mixlo_f16 v45, v44, v3, 0 op_sel_hi:[0,1,0]
	v_or_b32_e32 v22, v11, v22
	v_lshlrev_b32_e32 v3, 16, v12
	v_fma_mixlo_f16 v46, v44, v46, 0 op_sel_hi:[0,1,0]
	v_fma_mixlo_f16 v66, v44, v66, 0 op_sel:[0,1,0] op_sel_hi:[0,1,0]
	v_and_b32_e32 v12, 0xffff, v45
	v_fma_mixlo_f16 v23, v44, v23, 0 op_sel_hi:[0,1,0]
	v_fma_mixlo_f16 v11, v44, v11, 0 op_sel:[0,1,0] op_sel_hi:[0,1,0]
	v_fma_mixlo_f16 v45, v44, v22, 0 op_sel_hi:[0,1,0]
	v_lshlrev_b32_e32 v80, 16, v80
	v_and_b32_e32 v56, 0xffff, v46
	v_lshlrev_b32_e32 v22, 16, v66
	v_and_b32_e32 v44, 0xffff, v23
	v_lshlrev_b32_e32 v11, 16, v11
	v_and_b32_e32 v23, 0xffff, v45
	v_or_b32_e32 v66, v3, v12
	v_or_b32_e32 v47, v80, v56
	;; [unrolled: 1-line block ×4, first 2 shown]
	s_and_saveexec_b32 s18, vcc_lo
	s_cbranch_execz .LBB283_2050
; %bb.2049:                             ;   in Loop: Header=BB283_1059 Depth=1
	v_cmp_lt_i32_e64 s4, v71, v30
	v_cndmask_b32_e64 v66, 0, v56, s4
	v_cmp_lt_i32_e64 s4, v100, v30
	v_cndmask_b32_e64 v80, 0, v80, s4
	v_cmp_lt_i32_e64 s4, v99, v30
	v_or_b32_e32 v47, v66, v80
	v_cndmask_b32_e64 v12, 0, v12, s4
	v_cmp_lt_i32_e64 s4, v98, v30
	v_cndmask_b32_e64 v3, 0, v3, s4
	v_cmp_lt_i32_e64 s4, v97, v30
	v_or_b32_e32 v66, v12, v3
	;; [unrolled: 5-line block ×3, first 2 shown]
	v_cndmask_b32_e64 v23, 0, v23, s4
	v_cmp_lt_i32_e64 s4, v86, v30
	v_cndmask_b32_e64 v11, 0, v11, s4
	v_or_b32_e32 v45, v23, v11
.LBB283_2050:                           ;   in Loop: Header=BB283_1059 Depth=1
	s_or_b32 exec_lo, exec_lo, s18
	;;#ASMSTART
	v_pk_mul_f16 v3, v85, v47;

	;;#ASMEND
	;;#ASMSTART
	v_pk_mul_f16 v11, v84, v66;

	;;#ASMEND
	;; [unrolled: 4-line block ×4, first 2 shown]
	;;#ASMSTART
	v_pk_add_f16 v3, v3, v11;

	;;#ASMEND
	;;#ASMSTART
	v_pk_add_f16 v3, v3, v12;

	;;#ASMEND
	;; [unrolled: 4-line block ×3, first 2 shown]
	v_and_b32_e32 v11, 0xffff, v3
	v_lshrrev_b32_e32 v3, 16, v3
	;;#ASMSTART
	v_cvt_f32_f16 v11, v11;
	;;#ASMEND
	;;#ASMSTART
	v_cvt_f32_f16 v12, v3;
	;;#ASMEND
	flat_load_dwordx2 v[9:10], v[9:10] offset:1792
	flat_load_dword v44, v[62:63]
	v_mov_b32_e32 v45, 0
	v_mov_b32_e32 v46, 0
	s_waitcnt vmcnt(1) lgkmcnt(1)
	v_cmp_ne_u16_sdwa s4, v9, v4 src0_sel:BYTE_0 src1_sel:DWORD
	s_and_saveexec_b32 s18, s4
	s_cbranch_execz .LBB283_2058
; %bb.2051:                             ;   in Loop: Header=BB283_1059 Depth=1
	v_cmp_ne_u16_sdwa s4, v9, v39 src0_sel:BYTE_0 src1_sel:DWORD
	v_mov_b32_e32 v46, 0x8000
	s_and_saveexec_b32 s19, s4
	s_cbranch_execz .LBB283_2057
; %bb.2052:                             ;   in Loop: Header=BB283_1059 Depth=1
	v_and_b32_e32 v23, 0x7f, v9
	v_mov_b32_e32 v46, 0x7c01
	s_mov_b32 s20, exec_lo
	v_cmpx_ne_u32_e32 0x7f, v23
	s_cbranch_execz .LBB283_2056
; %bb.2053:                             ;   in Loop: Header=BB283_1059 Depth=1
	v_and_b32_e32 v3, 7, v9
	v_lshrrev_b32_e32 v22, 3, v23
	s_mov_b32 s21, exec_lo
	v_cmpx_gt_u32_e32 8, v23
; %bb.2054:                             ;   in Loop: Header=BB283_1059 Depth=1
	v_ffbh_u32_e32 v3, v3
	v_min_u32_e32 v3, 32, v3
	v_subrev_nc_u32_e32 v22, 28, v3
	v_lshlrev_b64 v[46:47], v22, v[9:10]
	v_sub_nc_u32_e32 v22, 29, v3
	v_and_b32_e32 v3, 7, v46
; %bb.2055:                             ;   in Loop: Header=BB283_1059 Depth=1
	s_or_b32 exec_lo, exec_lo, s21
	v_lshlrev_b32_e32 v23, 8, v9
	v_lshl_add_u32 v22, v22, 10, 0x2000
	v_lshlrev_b32_e32 v3, 7, v3
	v_and_b32_e32 v23, 0x8000, v23
	v_and_b32_e32 v22, 0xfc00, v22
	v_or3_b32 v46, v23, v22, v3
.LBB283_2056:                           ;   in Loop: Header=BB283_1059 Depth=1
	s_or_b32 exec_lo, exec_lo, s20
.LBB283_2057:                           ;   in Loop: Header=BB283_1059 Depth=1
	s_or_b32 exec_lo, exec_lo, s19
.LBB283_2058:                           ;   in Loop: Header=BB283_1059 Depth=1
	s_or_b32 exec_lo, exec_lo, s18
	v_lshrrev_b16 v3, 8, v9
	s_mov_b32 s18, exec_lo
	v_cmpx_ne_u16_e32 0, v3
	s_cbranch_execz .LBB283_2066
; %bb.2059:                             ;   in Loop: Header=BB283_1059 Depth=1
	v_bfrev_b32_e32 v45, 1
	s_mov_b32 s19, exec_lo
	v_cmpx_ne_u16_e32 0x80, v3
	s_cbranch_execz .LBB283_2065
; %bb.2060:                             ;   in Loop: Header=BB283_1059 Depth=1
	v_and_b32_sdwa v66, v3, v48 dst_sel:DWORD dst_unused:UNUSED_PAD src0_sel:WORD_0 src1_sel:DWORD
	v_mov_b32_e32 v45, 0x7c010000
	s_mov_b32 s20, exec_lo
	v_cmpx_ne_u32_e32 0x7f, v66
	s_cbranch_execz .LBB283_2064
; %bb.2061:                             ;   in Loop: Header=BB283_1059 Depth=1
	v_and_b32_sdwa v22, v3, v19 dst_sel:DWORD dst_unused:UNUSED_PAD src0_sel:WORD_0 src1_sel:DWORD
	v_lshrrev_b32_e32 v23, 3, v66
	s_mov_b32 s21, exec_lo
	v_cmpx_gt_u32_e32 8, v66
; %bb.2062:                             ;   in Loop: Header=BB283_1059 Depth=1
	v_ffbh_u32_e32 v22, v22
	v_min_u32_e32 v66, 32, v22
	v_subrev_nc_u32_e32 v22, 28, v66
	v_lshlrev_b64 v[22:23], v22, v[3:4]
	v_sub_nc_u32_e32 v23, 29, v66
	v_and_b32_e32 v22, 7, v22
; %bb.2063:                             ;   in Loop: Header=BB283_1059 Depth=1
	s_or_b32 exec_lo, exec_lo, s21
	v_lshlrev_b32_sdwa v3, v67, v3 dst_sel:DWORD dst_unused:UNUSED_PAD src0_sel:DWORD src1_sel:WORD_0
	v_lshl_add_u32 v23, v23, 10, 0x2000
	v_lshlrev_b32_e32 v22, 23, v22
	v_and_or_b32 v3, 0x8000, v3, v23
	v_lshl_or_b32 v45, v3, 16, v22
.LBB283_2064:                           ;   in Loop: Header=BB283_1059 Depth=1
	s_or_b32 exec_lo, exec_lo, s20
.LBB283_2065:                           ;   in Loop: Header=BB283_1059 Depth=1
	s_or_b32 exec_lo, exec_lo, s19
.LBB283_2066:                           ;   in Loop: Header=BB283_1059 Depth=1
	s_or_b32 exec_lo, exec_lo, s18
	v_lshrrev_b32_e32 v3, 16, v9
	v_mov_b32_e32 v47, 0
	v_mov_b32_e32 v56, 0
	v_cmp_ne_u16_sdwa s4, v3, v4 src0_sel:BYTE_0 src1_sel:DWORD
	s_and_saveexec_b32 s18, s4
	s_cbranch_execz .LBB283_2074
; %bb.2067:                             ;   in Loop: Header=BB283_1059 Depth=1
	v_cmp_ne_u16_sdwa s4, v3, v39 src0_sel:BYTE_0 src1_sel:DWORD
	v_mov_b32_e32 v56, 0x8000
	s_and_saveexec_b32 s19, s4
	s_cbranch_execz .LBB283_2073
; %bb.2068:                             ;   in Loop: Header=BB283_1059 Depth=1
	v_bfe_u32 v66, v9, 16, 7
	v_mov_b32_e32 v56, 0x7c01
	s_mov_b32 s20, exec_lo
	v_cmpx_ne_u32_e32 0x7f, v66
	s_cbranch_execz .LBB283_2072
; %bb.2069:                             ;   in Loop: Header=BB283_1059 Depth=1
	v_and_b32_e32 v22, 7, v3
	v_lshrrev_b32_e32 v23, 3, v66
	s_mov_b32 s21, exec_lo
	v_cmpx_gt_u32_e32 8, v66
; %bb.2070:                             ;   in Loop: Header=BB283_1059 Depth=1
	v_ffbh_u32_e32 v22, v22
	v_min_u32_e32 v66, 32, v22
	v_subrev_nc_u32_e32 v22, 28, v66
	v_lshlrev_b64 v[22:23], v22, v[3:4]
	v_sub_nc_u32_e32 v23, 29, v66
	v_and_b32_e32 v22, 7, v22
; %bb.2071:                             ;   in Loop: Header=BB283_1059 Depth=1
	s_or_b32 exec_lo, exec_lo, s21
	v_lshlrev_b32_e32 v3, 8, v3
	v_lshl_add_u32 v23, v23, 10, 0x2000
	v_lshlrev_b32_e32 v22, 7, v22
	v_and_b32_e32 v3, 0x8000, v3
	v_and_b32_e32 v23, 0xfc00, v23
	v_or3_b32 v56, v3, v23, v22
.LBB283_2072:                           ;   in Loop: Header=BB283_1059 Depth=1
	s_or_b32 exec_lo, exec_lo, s20
.LBB283_2073:                           ;   in Loop: Header=BB283_1059 Depth=1
	s_or_b32 exec_lo, exec_lo, s19
.LBB283_2074:                           ;   in Loop: Header=BB283_1059 Depth=1
	s_or_b32 exec_lo, exec_lo, s18
	s_mov_b32 s18, exec_lo
	v_cmpx_lt_u32_e32 0xffffff, v9
	s_cbranch_execz .LBB283_2082
; %bb.2075:                             ;   in Loop: Header=BB283_1059 Depth=1
	v_lshrrev_b32_e32 v3, 24, v9
	v_bfrev_b32_e32 v47, 1
	s_mov_b32 s19, exec_lo
	v_cmpx_ne_u32_e32 0x80, v3
	s_cbranch_execz .LBB283_2081
; %bb.2076:                             ;   in Loop: Header=BB283_1059 Depth=1
	v_and_b32_e32 v66, 0x7f, v3
	v_mov_b32_e32 v47, 0x7c010000
	s_mov_b32 s20, exec_lo
	v_cmpx_ne_u32_e32 0x7f, v66
	s_cbranch_execz .LBB283_2080
; %bb.2077:                             ;   in Loop: Header=BB283_1059 Depth=1
	v_and_b32_e32 v22, 7, v3
	v_lshrrev_b32_e32 v23, 3, v66
	s_mov_b32 s21, exec_lo
	v_cmpx_gt_u32_e32 8, v66
; %bb.2078:                             ;   in Loop: Header=BB283_1059 Depth=1
	v_ffbh_u32_e32 v22, v22
	v_min_u32_e32 v66, 32, v22
	v_subrev_nc_u32_e32 v22, 28, v66
	v_lshlrev_b64 v[22:23], v22, v[3:4]
	v_sub_nc_u32_e32 v23, 29, v66
	v_and_b32_e32 v22, 7, v22
; %bb.2079:                             ;   in Loop: Header=BB283_1059 Depth=1
	s_or_b32 exec_lo, exec_lo, s21
	v_lshlrev_b32_e32 v3, 8, v3
	v_lshl_add_u32 v23, v23, 10, 0x2000
	v_lshlrev_b32_e32 v22, 23, v22
	v_and_or_b32 v3, 0x8000, v3, v23
	v_lshl_or_b32 v47, v3, 16, v22
.LBB283_2080:                           ;   in Loop: Header=BB283_1059 Depth=1
	s_or_b32 exec_lo, exec_lo, s20
.LBB283_2081:                           ;   in Loop: Header=BB283_1059 Depth=1
	s_or_b32 exec_lo, exec_lo, s19
.LBB283_2082:                           ;   in Loop: Header=BB283_1059 Depth=1
	s_or_b32 exec_lo, exec_lo, s18
	v_mov_b32_e32 v3, v10
	v_cmp_ne_u16_sdwa s4, v10, v4 src0_sel:BYTE_0 src1_sel:DWORD
	v_mov_b32_e32 v22, 0
	v_mov_b32_e32 v23, 0
	s_and_saveexec_b32 s18, s4
	s_cbranch_execz .LBB283_2090
; %bb.2083:                             ;   in Loop: Header=BB283_1059 Depth=1
	v_cmp_ne_u16_sdwa s4, v10, v39 src0_sel:BYTE_0 src1_sel:DWORD
	v_mov_b32_e32 v23, 0x8000
	s_and_saveexec_b32 s19, s4
	s_cbranch_execz .LBB283_2089
; %bb.2084:                             ;   in Loop: Header=BB283_1059 Depth=1
	v_and_b32_e32 v80, 0x7f, v10
	v_mov_b32_e32 v23, 0x7c01
	s_mov_b32 s20, exec_lo
	v_cmpx_ne_u32_e32 0x7f, v80
	s_cbranch_execz .LBB283_2088
; %bb.2085:                             ;   in Loop: Header=BB283_1059 Depth=1
	v_and_b32_e32 v23, 7, v10
	v_lshrrev_b32_e32 v66, 3, v80
	s_mov_b32 s21, exec_lo
	v_cmpx_gt_u32_e32 8, v80
; %bb.2086:                             ;   in Loop: Header=BB283_1059 Depth=1
	v_ffbh_u32_e32 v23, v23
	v_min_u32_e32 v23, 32, v23
	v_subrev_nc_u32_e32 v66, 28, v23
	v_lshlrev_b64 v[57:58], v66, v[3:4]
	v_sub_nc_u32_e32 v66, 29, v23
	v_and_b32_e32 v23, 7, v57
; %bb.2087:                             ;   in Loop: Header=BB283_1059 Depth=1
	s_or_b32 exec_lo, exec_lo, s21
	v_lshlrev_b32_e32 v80, 8, v10
	v_lshl_add_u32 v66, v66, 10, 0x2000
	v_lshlrev_b32_e32 v23, 7, v23
	v_and_b32_e32 v80, 0x8000, v80
	v_and_b32_e32 v66, 0xfc00, v66
	v_or3_b32 v23, v80, v66, v23
.LBB283_2088:                           ;   in Loop: Header=BB283_1059 Depth=1
	s_or_b32 exec_lo, exec_lo, s20
.LBB283_2089:                           ;   in Loop: Header=BB283_1059 Depth=1
	s_or_b32 exec_lo, exec_lo, s19
.LBB283_2090:                           ;   in Loop: Header=BB283_1059 Depth=1
	s_or_b32 exec_lo, exec_lo, s18
	v_lshrrev_b16 v3, 8, v3
	v_mov_b32_e32 v66, 0
	s_mov_b32 s18, exec_lo
	v_cmpx_ne_u16_e32 0, v3
	s_cbranch_execz .LBB283_2098
; %bb.2091:                             ;   in Loop: Header=BB283_1059 Depth=1
	v_bfrev_b32_e32 v66, 1
	s_mov_b32 s19, exec_lo
	v_cmpx_ne_u16_e32 0x80, v3
	s_cbranch_execz .LBB283_2097
; %bb.2092:                             ;   in Loop: Header=BB283_1059 Depth=1
	v_and_b32_sdwa v57, v3, v48 dst_sel:DWORD dst_unused:UNUSED_PAD src0_sel:WORD_0 src1_sel:DWORD
	v_mov_b32_e32 v66, 0x7c010000
	s_mov_b32 s20, exec_lo
	v_cmpx_ne_u32_e32 0x7f, v57
	s_cbranch_execz .LBB283_2096
; %bb.2093:                             ;   in Loop: Header=BB283_1059 Depth=1
	v_and_b32_sdwa v66, v3, v19 dst_sel:DWORD dst_unused:UNUSED_PAD src0_sel:WORD_0 src1_sel:DWORD
	v_lshrrev_b32_e32 v80, 3, v57
	s_mov_b32 s21, exec_lo
	v_cmpx_gt_u32_e32 8, v57
; %bb.2094:                             ;   in Loop: Header=BB283_1059 Depth=1
	v_ffbh_u32_e32 v66, v66
	v_min_u32_e32 v66, 32, v66
	v_subrev_nc_u32_e32 v80, 28, v66
	v_lshlrev_b64 v[57:58], v80, v[3:4]
	v_sub_nc_u32_e32 v80, 29, v66
	v_and_b32_e32 v66, 7, v57
; %bb.2095:                             ;   in Loop: Header=BB283_1059 Depth=1
	s_or_b32 exec_lo, exec_lo, s21
	v_lshlrev_b32_sdwa v3, v67, v3 dst_sel:DWORD dst_unused:UNUSED_PAD src0_sel:DWORD src1_sel:WORD_0
	v_lshl_add_u32 v80, v80, 10, 0x2000
	v_lshlrev_b32_e32 v66, 23, v66
	v_and_or_b32 v3, 0x8000, v3, v80
	v_lshl_or_b32 v66, v3, 16, v66
.LBB283_2096:                           ;   in Loop: Header=BB283_1059 Depth=1
	s_or_b32 exec_lo, exec_lo, s20
.LBB283_2097:                           ;   in Loop: Header=BB283_1059 Depth=1
	s_or_b32 exec_lo, exec_lo, s19
.LBB283_2098:                           ;   in Loop: Header=BB283_1059 Depth=1
	s_or_b32 exec_lo, exec_lo, s18
	v_lshrrev_b32_e32 v3, 16, v10
	v_cmp_ne_u16_sdwa s4, v3, v4 src0_sel:BYTE_0 src1_sel:DWORD
	s_and_saveexec_b32 s18, s4
	s_cbranch_execz .LBB283_2106
; %bb.2099:                             ;   in Loop: Header=BB283_1059 Depth=1
	v_cmp_ne_u16_sdwa s4, v3, v39 src0_sel:BYTE_0 src1_sel:DWORD
	v_mov_b32_e32 v22, 0x8000
	s_and_saveexec_b32 s19, s4
	s_cbranch_execz .LBB283_2105
; %bb.2100:                             ;   in Loop: Header=BB283_1059 Depth=1
	v_bfe_u32 v57, v10, 16, 7
	v_mov_b32_e32 v22, 0x7c01
	s_mov_b32 s20, exec_lo
	v_cmpx_ne_u32_e32 0x7f, v57
	s_cbranch_execz .LBB283_2104
; %bb.2101:                             ;   in Loop: Header=BB283_1059 Depth=1
	v_and_b32_e32 v22, 7, v3
	v_lshrrev_b32_e32 v80, 3, v57
	s_mov_b32 s21, exec_lo
	v_cmpx_gt_u32_e32 8, v57
; %bb.2102:                             ;   in Loop: Header=BB283_1059 Depth=1
	v_ffbh_u32_e32 v22, v22
	v_min_u32_e32 v22, 32, v22
	v_subrev_nc_u32_e32 v80, 28, v22
	v_lshlrev_b64 v[57:58], v80, v[3:4]
	v_sub_nc_u32_e32 v80, 29, v22
	v_and_b32_e32 v22, 7, v57
; %bb.2103:                             ;   in Loop: Header=BB283_1059 Depth=1
	s_or_b32 exec_lo, exec_lo, s21
	v_lshlrev_b32_e32 v3, 8, v3
	v_lshl_add_u32 v80, v80, 10, 0x2000
	v_lshlrev_b32_e32 v22, 7, v22
	v_and_b32_e32 v3, 0x8000, v3
	v_and_b32_e32 v80, 0xfc00, v80
	v_or3_b32 v22, v3, v80, v22
.LBB283_2104:                           ;   in Loop: Header=BB283_1059 Depth=1
	s_or_b32 exec_lo, exec_lo, s20
.LBB283_2105:                           ;   in Loop: Header=BB283_1059 Depth=1
	s_or_b32 exec_lo, exec_lo, s19
.LBB283_2106:                           ;   in Loop: Header=BB283_1059 Depth=1
	s_or_b32 exec_lo, exec_lo, s18
	v_cmp_lt_u64_e64 s4, s[6:7], v[9:10]
	v_mov_b32_e32 v9, 0
	s_and_saveexec_b32 s18, s4
	s_cbranch_execz .LBB283_2114
; %bb.2107:                             ;   in Loop: Header=BB283_1059 Depth=1
	v_lshrrev_b32_e32 v3, 24, v10
	v_bfrev_b32_e32 v9, 1
	s_mov_b32 s19, exec_lo
	v_cmpx_ne_u32_e32 0x80, v3
	s_cbranch_execz .LBB283_2113
; %bb.2108:                             ;   in Loop: Header=BB283_1059 Depth=1
	v_and_b32_e32 v80, 0x7f, v3
	v_mov_b32_e32 v9, 0x7c010000
	s_mov_b32 s20, exec_lo
	v_cmpx_ne_u32_e32 0x7f, v80
	s_cbranch_execz .LBB283_2112
; %bb.2109:                             ;   in Loop: Header=BB283_1059 Depth=1
	v_and_b32_e32 v9, 7, v3
	v_lshrrev_b32_e32 v10, 3, v80
	s_mov_b32 s21, exec_lo
	v_cmpx_gt_u32_e32 8, v80
; %bb.2110:                             ;   in Loop: Header=BB283_1059 Depth=1
	v_ffbh_u32_e32 v9, v9
	v_min_u32_e32 v80, 32, v9
	v_subrev_nc_u32_e32 v9, 28, v80
	v_lshlrev_b64 v[9:10], v9, v[3:4]
	v_sub_nc_u32_e32 v10, 29, v80
	v_and_b32_e32 v9, 7, v9
; %bb.2111:                             ;   in Loop: Header=BB283_1059 Depth=1
	s_or_b32 exec_lo, exec_lo, s21
	v_lshlrev_b32_e32 v3, 8, v3
	v_lshl_add_u32 v10, v10, 10, 0x2000
	v_lshlrev_b32_e32 v9, 23, v9
	v_and_or_b32 v3, 0x8000, v3, v10
	v_lshl_or_b32 v9, v3, 16, v9
.LBB283_2112:                           ;   in Loop: Header=BB283_1059 Depth=1
	s_or_b32 exec_lo, exec_lo, s20
.LBB283_2113:                           ;   in Loop: Header=BB283_1059 Depth=1
	s_or_b32 exec_lo, exec_lo, s19
.LBB283_2114:                           ;   in Loop: Header=BB283_1059 Depth=1
	s_or_b32 exec_lo, exec_lo, s18
	v_or_b32_e32 v3, v47, v56
	s_waitcnt vmcnt(0) lgkmcnt(0)
	v_fma_mixlo_f16 v10, v44, v47, 0 op_sel:[0,1,0] op_sel_hi:[0,1,0]
	v_or_b32_e32 v80, v45, v46
	v_or_b32_e32 v47, v66, v23
	v_or_b32_e32 v22, v9, v22
	v_fma_mixlo_f16 v3, v44, v3, 0 op_sel_hi:[0,1,0]
	v_fma_mixlo_f16 v45, v44, v45, 0 op_sel:[0,1,0] op_sel_hi:[0,1,0]
	v_lshlrev_b32_e32 v23, 16, v10
	v_fma_mixlo_f16 v10, v44, v80, 0 op_sel_hi:[0,1,0]
	v_fma_mixlo_f16 v9, v44, v9, 0 op_sel:[0,1,0] op_sel_hi:[0,1,0]
	v_and_b32_e32 v80, 0xffff, v3
	v_fma_mixlo_f16 v3, v44, v66, 0 op_sel:[0,1,0] op_sel_hi:[0,1,0]
	v_fma_mixlo_f16 v66, v44, v47, 0 op_sel_hi:[0,1,0]
	v_fma_mixlo_f16 v22, v44, v22, 0 op_sel_hi:[0,1,0]
	v_lshlrev_b32_e32 v46, 16, v45
	v_and_b32_e32 v56, 0xffff, v10
	v_lshlrev_b32_e32 v44, 16, v3
	v_and_b32_e32 v47, 0xffff, v66
	;; [unrolled: 2-line block ×3, first 2 shown]
	v_or_b32_e32 v10, v23, v80
	v_or_b32_e32 v22, v46, v56
	;; [unrolled: 1-line block ×4, first 2 shown]
	s_and_saveexec_b32 s4, vcc_lo
	s_cbranch_execz .LBB283_1057
; %bb.2115:                             ;   in Loop: Header=BB283_1059 Depth=1
	v_cmp_lt_i32_e32 vcc_lo, v71, v30
	v_cndmask_b32_e32 v3, 0, v56, vcc_lo
	v_cmp_lt_i32_e32 vcc_lo, v100, v30
	v_cndmask_b32_e32 v9, 0, v46, vcc_lo
	v_cmp_lt_i32_e32 vcc_lo, v99, v30
	v_or_b32_e32 v22, v3, v9
	v_cndmask_b32_e32 v10, 0, v80, vcc_lo
	v_cmp_lt_i32_e32 vcc_lo, v98, v30
	v_cndmask_b32_e32 v23, 0, v23, vcc_lo
	v_cmp_lt_i32_e32 vcc_lo, v97, v30
	v_or_b32_e32 v10, v10, v23
	;; [unrolled: 5-line block ×3, first 2 shown]
	v_cndmask_b32_e32 v87, 0, v45, vcc_lo
	v_cmp_lt_i32_e32 vcc_lo, v86, v30
	v_cndmask_b32_e32 v66, 0, v66, vcc_lo
	v_or_b32_e32 v3, v87, v66
	s_branch .LBB283_1057
.LBB283_2116:
	s_or_b32 exec_lo, exec_lo, s13
.LBB283_2117:
	s_or_b32 exec_lo, exec_lo, s5
	ds_bpermute_b32 v1, v15, v65
	ds_bpermute_b32 v13, v15, v21
	;; [unrolled: 1-line block ×16, first 2 shown]
	s_waitcnt lgkmcnt(0)
	s_barrier
	buffer_gl0_inv
	s_load_dword s4, s[8:9], 0x0
	v_add_f32_e32 v1, v65, v1
	v_add_f32_e32 v21, v21, v13
	;; [unrolled: 1-line block ×5, first 2 shown]
	ds_bpermute_b32 v22, v14, v1
	ds_bpermute_b32 v37, v14, v21
	v_add_f32_e32 v4, v53, v4
	v_add_f32_e32 v5, v52, v5
	;; [unrolled: 1-line block ×11, first 2 shown]
	ds_bpermute_b32 v19, v14, v0
	ds_bpermute_b32 v23, v14, v2
	;; [unrolled: 1-line block ×14, first 2 shown]
	s_waitcnt lgkmcnt(0)
	v_add_f32_e32 v14, v1, v22
	v_add_f32_e32 v1, v21, v37
	buffer_load_dword v21, off, s[0:3], s32 offset:392 ; 4-byte Folded Reload
	s_mov_b32 s5, exec_lo
	v_add_f32_e32 v15, v0, v19
	v_add_f32_e32 v13, v2, v23
	;; [unrolled: 1-line block ×13, first 2 shown]
	v_and_b32_e32 v20, 0x3c3, v61
	v_add_f32_e32 v2, v17, v39
	s_waitcnt vmcnt(0)
	v_and_b32_e32 v19, 28, v21
	v_lshrrev_b32_e32 v18, 2, v21
	v_add_nc_u32_e32 v17, s4, v19
	v_lshlrev_b32_e32 v19, 9, v88
	v_cmpx_eq_u32_e32 64, v20
	s_cbranch_execz .LBB283_2119
; %bb.2118:
	v_add_nc_u32_e32 v20, v17, v19
	v_add_nc_u32_e32 v21, 0xfffffc00, v20
	;; [unrolled: 1-line block ×7, first 2 shown]
	ds_write_b32 v21, v15
	ds_write_b32 v22, v14
	;; [unrolled: 1-line block ×6, first 2 shown]
	v_add_nc_u32_e32 v21, 0xfffffcc0, v20
	v_add_nc_u32_e32 v22, 0xfffffce0, v20
	;; [unrolled: 1-line block ×5, first 2 shown]
	ds_write_b32 v21, v9
	ds_write_b32 v22, v8
	;; [unrolled: 1-line block ×5, first 2 shown]
	v_add_nc_u32_e32 v21, 0xfffffd60, v20
	v_add_nc_u32_e32 v22, 0xfffffd80, v20
	v_add_nc_u32_e32 v23, 0xfffffda0, v20
	v_add_nc_u32_e32 v24, 0xfffffdc0, v20
	v_add_nc_u32_e32 v20, 0xfffffde0, v20
	ds_write_b32 v21, v4
	ds_write_b32 v22, v3
	;; [unrolled: 1-line block ×5, first 2 shown]
.LBB283_2119:
	s_or_b32 exec_lo, exec_lo, s5
	v_lshlrev_b32_e32 v18, 2, v18
	v_cmp_eq_u32_e32 vcc_lo, 0, v16
	s_mov_b32 s5, exec_lo
	s_waitcnt lgkmcnt(0)
	s_barrier
	v_add3_u32 v16, s4, v19, v18
	buffer_gl0_inv
	v_cmpx_gt_u32_e32 64, v61
	s_cbranch_execz .LBB283_2138
; %bb.2120:
	s_and_saveexec_b32 s4, vcc_lo
	s_cbranch_execnz .LBB283_2162
; %bb.2121:
	s_or_b32 exec_lo, exec_lo, s4
	s_and_saveexec_b32 s4, vcc_lo
	s_cbranch_execnz .LBB283_2163
.LBB283_2122:
	s_or_b32 exec_lo, exec_lo, s4
	s_and_saveexec_b32 s4, vcc_lo
	s_cbranch_execnz .LBB283_2164
.LBB283_2123:
	s_or_b32 exec_lo, exec_lo, s4
	s_and_saveexec_b32 s4, vcc_lo
	s_cbranch_execnz .LBB283_2165
.LBB283_2124:
	s_or_b32 exec_lo, exec_lo, s4
	s_and_saveexec_b32 s4, vcc_lo
	s_cbranch_execnz .LBB283_2166
.LBB283_2125:
	s_or_b32 exec_lo, exec_lo, s4
	s_and_saveexec_b32 s4, vcc_lo
	s_cbranch_execnz .LBB283_2167
.LBB283_2126:
	s_or_b32 exec_lo, exec_lo, s4
	s_and_saveexec_b32 s4, vcc_lo
	s_cbranch_execnz .LBB283_2168
.LBB283_2127:
	s_or_b32 exec_lo, exec_lo, s4
	s_and_saveexec_b32 s4, vcc_lo
	s_cbranch_execnz .LBB283_2169
.LBB283_2128:
	s_or_b32 exec_lo, exec_lo, s4
	s_and_saveexec_b32 s4, vcc_lo
	s_cbranch_execnz .LBB283_2170
.LBB283_2129:
	s_or_b32 exec_lo, exec_lo, s4
	s_and_saveexec_b32 s4, vcc_lo
	s_cbranch_execnz .LBB283_2171
.LBB283_2130:
	s_or_b32 exec_lo, exec_lo, s4
	s_and_saveexec_b32 s4, vcc_lo
	s_cbranch_execnz .LBB283_2172
.LBB283_2131:
	s_or_b32 exec_lo, exec_lo, s4
	s_and_saveexec_b32 s4, vcc_lo
	s_cbranch_execnz .LBB283_2173
.LBB283_2132:
	s_or_b32 exec_lo, exec_lo, s4
	s_and_saveexec_b32 s4, vcc_lo
	s_cbranch_execnz .LBB283_2174
.LBB283_2133:
	s_or_b32 exec_lo, exec_lo, s4
	s_and_saveexec_b32 s4, vcc_lo
	s_cbranch_execnz .LBB283_2175
.LBB283_2134:
	s_or_b32 exec_lo, exec_lo, s4
	s_and_saveexec_b32 s4, vcc_lo
	s_cbranch_execnz .LBB283_2176
.LBB283_2135:
	s_or_b32 exec_lo, exec_lo, s4
	s_and_saveexec_b32 s4, vcc_lo
	s_cbranch_execz .LBB283_2137
.LBB283_2136:
	ds_read_b32 v18, v16 offset:480
	s_waitcnt lgkmcnt(0)
	v_add_f32_e32 v2, v18, v2
.LBB283_2137:
	s_or_b32 exec_lo, exec_lo, s4
.LBB283_2138:
	s_or_b32 exec_lo, exec_lo, s5
	v_and_b32_e32 v18, 0x3e3, v61
	s_mov_b32 s5, exec_lo
	s_barrier
	buffer_gl0_inv
	v_cmpx_eq_u32_e32 32, v18
	s_cbranch_execz .LBB283_2140
; %bb.2139:
	ds_write2_b32 v17, v15, v14 offset1:8
	ds_write2_b32 v17, v13, v12 offset0:16 offset1:24
	ds_write2_b32 v17, v11, v10 offset0:32 offset1:40
	;; [unrolled: 1-line block ×7, first 2 shown]
.LBB283_2140:
	s_or_b32 exec_lo, exec_lo, s5
	s_mov_b32 s5, exec_lo
	s_waitcnt lgkmcnt(0)
	s_barrier
	buffer_gl0_inv
	v_cmpx_gt_u32_e32 32, v61
	s_cbranch_execz .LBB283_2159
; %bb.2141:
	s_and_saveexec_b32 s4, vcc_lo
	s_cbranch_execnz .LBB283_2177
; %bb.2142:
	s_or_b32 exec_lo, exec_lo, s4
	s_and_saveexec_b32 s4, vcc_lo
	s_cbranch_execnz .LBB283_2178
.LBB283_2143:
	s_or_b32 exec_lo, exec_lo, s4
	s_and_saveexec_b32 s4, vcc_lo
	s_cbranch_execnz .LBB283_2179
.LBB283_2144:
	s_or_b32 exec_lo, exec_lo, s4
	s_and_saveexec_b32 s4, vcc_lo
	s_cbranch_execnz .LBB283_2180
.LBB283_2145:
	s_or_b32 exec_lo, exec_lo, s4
	s_and_saveexec_b32 s4, vcc_lo
	s_cbranch_execnz .LBB283_2181
.LBB283_2146:
	s_or_b32 exec_lo, exec_lo, s4
	s_and_saveexec_b32 s4, vcc_lo
	s_cbranch_execnz .LBB283_2182
.LBB283_2147:
	s_or_b32 exec_lo, exec_lo, s4
	s_and_saveexec_b32 s4, vcc_lo
	s_cbranch_execnz .LBB283_2183
.LBB283_2148:
	s_or_b32 exec_lo, exec_lo, s4
	s_and_saveexec_b32 s4, vcc_lo
	s_cbranch_execnz .LBB283_2184
.LBB283_2149:
	s_or_b32 exec_lo, exec_lo, s4
	s_and_saveexec_b32 s4, vcc_lo
	s_cbranch_execnz .LBB283_2185
.LBB283_2150:
	s_or_b32 exec_lo, exec_lo, s4
	s_and_saveexec_b32 s4, vcc_lo
	s_cbranch_execnz .LBB283_2186
.LBB283_2151:
	s_or_b32 exec_lo, exec_lo, s4
	s_and_saveexec_b32 s4, vcc_lo
	s_cbranch_execnz .LBB283_2187
.LBB283_2152:
	s_or_b32 exec_lo, exec_lo, s4
	s_and_saveexec_b32 s4, vcc_lo
	s_cbranch_execnz .LBB283_2188
.LBB283_2153:
	s_or_b32 exec_lo, exec_lo, s4
	s_and_saveexec_b32 s4, vcc_lo
	s_cbranch_execnz .LBB283_2189
.LBB283_2154:
	s_or_b32 exec_lo, exec_lo, s4
	s_and_saveexec_b32 s4, vcc_lo
	s_cbranch_execnz .LBB283_2190
.LBB283_2155:
	s_or_b32 exec_lo, exec_lo, s4
	s_and_saveexec_b32 s4, vcc_lo
	s_cbranch_execnz .LBB283_2191
.LBB283_2156:
	s_or_b32 exec_lo, exec_lo, s4
	s_and_saveexec_b32 s4, vcc_lo
	s_cbranch_execz .LBB283_2158
.LBB283_2157:
	ds_read_b32 v16, v16 offset:480
	s_waitcnt lgkmcnt(0)
	v_add_f32_e32 v2, v16, v2
.LBB283_2158:
	s_or_b32 exec_lo, exec_lo, s4
.LBB283_2159:
	s_or_b32 exec_lo, exec_lo, s5
	s_mov_b32 s4, exec_lo
	s_barrier
	buffer_gl0_inv
	v_cmpx_eq_u32_e32 0, v18
	s_cbranch_execz .LBB283_2161
; %bb.2160:
	s_and_b32 s5, 0xffff, s12
	v_lshrrev_b32_e32 v16, 1, v61
	s_cmp_lg_u32 s5, 0
	;;#ASMSTART
	v_cvt_f16_f32 v15, v15;

	;;#ASMEND
	s_cselect_b32 s5, -1, 0
	s_cmp_lg_u32 s5, 0
	s_addc_u32 s5, s15, 0
	s_lshl_b32 s6, s14, 7
	s_mul_i32 s7, s10, s5
	s_mul_i32 s8, s16, s5
	s_mul_i32 s7, s7, s11
	s_ashr_i32 s9, s8, 31
	s_lshl_b32 s10, s7, 7
	s_lshl_b64 s[8:9], s[8:9], 1
	s_ashr_i32 s11, s10, 31
	s_ashr_i32 s7, s6, 31
	s_lshl_b64 s[10:11], s[10:11], 1
	s_lshl_b64 s[6:7], s[6:7], 1
	v_add_co_u32 v17, vcc_lo, v60, s10
	v_add_co_ci_u32_e64 v18, null, s11, v59, vcc_lo
	v_add_co_u32 v17, vcc_lo, v17, s8
	v_add_co_ci_u32_e64 v18, null, s9, v18, vcc_lo
	;; [unrolled: 2-line block ×4, first 2 shown]
	flat_store_short v[16:17], v15
	;;#ASMSTART
	v_cvt_f16_f32 v14, v14;

	;;#ASMEND
	flat_store_short v[16:17], v14 offset:16
	;;#ASMSTART
	v_cvt_f16_f32 v13, v13;

	;;#ASMEND
	flat_store_short v[16:17], v13 offset:32
	;; [unrolled: 5-line block ×15, first 2 shown]
.LBB283_2161:
	s_or_b32 exec_lo, exec_lo, s4
	s_clause 0x2f
	buffer_load_dword v127, off, s[0:3], s32
	buffer_load_dword v126, off, s[0:3], s32 offset:4
	buffer_load_dword v125, off, s[0:3], s32 offset:8
	;; [unrolled: 1-line block ×47, first 2 shown]
	s_waitcnt vmcnt(0) lgkmcnt(0)
	s_setpc_b64 s[30:31]
.LBB283_2162:
	ds_read_b32 v18, v16
	s_waitcnt lgkmcnt(0)
	v_add_f32_e32 v15, v18, v15
	s_or_b32 exec_lo, exec_lo, s4
	s_and_saveexec_b32 s4, vcc_lo
	s_cbranch_execz .LBB283_2122
.LBB283_2163:
	ds_read_b32 v18, v16 offset:32
	s_waitcnt lgkmcnt(0)
	v_add_f32_e32 v14, v18, v14
	s_or_b32 exec_lo, exec_lo, s4
	s_and_saveexec_b32 s4, vcc_lo
	s_cbranch_execz .LBB283_2123
.LBB283_2164:
	ds_read_b32 v18, v16 offset:64
	s_waitcnt lgkmcnt(0)
	v_add_f32_e32 v13, v18, v13
	s_or_b32 exec_lo, exec_lo, s4
	s_and_saveexec_b32 s4, vcc_lo
	s_cbranch_execz .LBB283_2124
.LBB283_2165:
	ds_read_b32 v18, v16 offset:96
	s_waitcnt lgkmcnt(0)
	v_add_f32_e32 v12, v18, v12
	s_or_b32 exec_lo, exec_lo, s4
	s_and_saveexec_b32 s4, vcc_lo
	s_cbranch_execz .LBB283_2125
.LBB283_2166:
	ds_read_b32 v18, v16 offset:128
	s_waitcnt lgkmcnt(0)
	v_add_f32_e32 v11, v18, v11
	s_or_b32 exec_lo, exec_lo, s4
	s_and_saveexec_b32 s4, vcc_lo
	s_cbranch_execz .LBB283_2126
.LBB283_2167:
	ds_read_b32 v18, v16 offset:160
	s_waitcnt lgkmcnt(0)
	v_add_f32_e32 v10, v18, v10
	s_or_b32 exec_lo, exec_lo, s4
	s_and_saveexec_b32 s4, vcc_lo
	s_cbranch_execz .LBB283_2127
.LBB283_2168:
	ds_read_b32 v18, v16 offset:192
	s_waitcnt lgkmcnt(0)
	v_add_f32_e32 v9, v18, v9
	s_or_b32 exec_lo, exec_lo, s4
	s_and_saveexec_b32 s4, vcc_lo
	s_cbranch_execz .LBB283_2128
.LBB283_2169:
	ds_read_b32 v18, v16 offset:224
	s_waitcnt lgkmcnt(0)
	v_add_f32_e32 v8, v18, v8
	s_or_b32 exec_lo, exec_lo, s4
	s_and_saveexec_b32 s4, vcc_lo
	s_cbranch_execz .LBB283_2129
.LBB283_2170:
	ds_read_b32 v18, v16 offset:256
	s_waitcnt lgkmcnt(0)
	v_add_f32_e32 v7, v18, v7
	s_or_b32 exec_lo, exec_lo, s4
	s_and_saveexec_b32 s4, vcc_lo
	s_cbranch_execz .LBB283_2130
.LBB283_2171:
	ds_read_b32 v18, v16 offset:288
	s_waitcnt lgkmcnt(0)
	v_add_f32_e32 v6, v18, v6
	s_or_b32 exec_lo, exec_lo, s4
	s_and_saveexec_b32 s4, vcc_lo
	s_cbranch_execz .LBB283_2131
.LBB283_2172:
	ds_read_b32 v18, v16 offset:320
	s_waitcnt lgkmcnt(0)
	v_add_f32_e32 v5, v18, v5
	s_or_b32 exec_lo, exec_lo, s4
	s_and_saveexec_b32 s4, vcc_lo
	s_cbranch_execz .LBB283_2132
.LBB283_2173:
	ds_read_b32 v18, v16 offset:352
	s_waitcnt lgkmcnt(0)
	v_add_f32_e32 v4, v18, v4
	s_or_b32 exec_lo, exec_lo, s4
	s_and_saveexec_b32 s4, vcc_lo
	s_cbranch_execz .LBB283_2133
.LBB283_2174:
	ds_read_b32 v18, v16 offset:384
	s_waitcnt lgkmcnt(0)
	v_add_f32_e32 v3, v18, v3
	s_or_b32 exec_lo, exec_lo, s4
	s_and_saveexec_b32 s4, vcc_lo
	s_cbranch_execz .LBB283_2134
.LBB283_2175:
	ds_read_b32 v18, v16 offset:416
	s_waitcnt lgkmcnt(0)
	v_add_f32_e32 v1, v18, v1
	s_or_b32 exec_lo, exec_lo, s4
	s_and_saveexec_b32 s4, vcc_lo
	s_cbranch_execz .LBB283_2135
.LBB283_2176:
	ds_read_b32 v18, v16 offset:448
	s_waitcnt lgkmcnt(0)
	v_add_f32_e32 v0, v18, v0
	s_or_b32 exec_lo, exec_lo, s4
	s_and_saveexec_b32 s4, vcc_lo
	s_cbranch_execnz .LBB283_2136
	s_branch .LBB283_2137
.LBB283_2177:
	ds_read_b32 v17, v16
	s_waitcnt lgkmcnt(0)
	v_add_f32_e32 v15, v17, v15
	s_or_b32 exec_lo, exec_lo, s4
	s_and_saveexec_b32 s4, vcc_lo
	s_cbranch_execz .LBB283_2143
.LBB283_2178:
	ds_read_b32 v17, v16 offset:32
	s_waitcnt lgkmcnt(0)
	v_add_f32_e32 v14, v17, v14
	s_or_b32 exec_lo, exec_lo, s4
	s_and_saveexec_b32 s4, vcc_lo
	s_cbranch_execz .LBB283_2144
.LBB283_2179:
	ds_read_b32 v17, v16 offset:64
	s_waitcnt lgkmcnt(0)
	v_add_f32_e32 v13, v17, v13
	s_or_b32 exec_lo, exec_lo, s4
	s_and_saveexec_b32 s4, vcc_lo
	s_cbranch_execz .LBB283_2145
.LBB283_2180:
	ds_read_b32 v17, v16 offset:96
	s_waitcnt lgkmcnt(0)
	v_add_f32_e32 v12, v17, v12
	s_or_b32 exec_lo, exec_lo, s4
	s_and_saveexec_b32 s4, vcc_lo
	s_cbranch_execz .LBB283_2146
.LBB283_2181:
	ds_read_b32 v17, v16 offset:128
	s_waitcnt lgkmcnt(0)
	v_add_f32_e32 v11, v17, v11
	s_or_b32 exec_lo, exec_lo, s4
	s_and_saveexec_b32 s4, vcc_lo
	s_cbranch_execz .LBB283_2147
.LBB283_2182:
	ds_read_b32 v17, v16 offset:160
	s_waitcnt lgkmcnt(0)
	v_add_f32_e32 v10, v17, v10
	s_or_b32 exec_lo, exec_lo, s4
	s_and_saveexec_b32 s4, vcc_lo
	s_cbranch_execz .LBB283_2148
.LBB283_2183:
	ds_read_b32 v17, v16 offset:192
	s_waitcnt lgkmcnt(0)
	v_add_f32_e32 v9, v17, v9
	s_or_b32 exec_lo, exec_lo, s4
	s_and_saveexec_b32 s4, vcc_lo
	s_cbranch_execz .LBB283_2149
.LBB283_2184:
	ds_read_b32 v17, v16 offset:224
	s_waitcnt lgkmcnt(0)
	v_add_f32_e32 v8, v17, v8
	s_or_b32 exec_lo, exec_lo, s4
	s_and_saveexec_b32 s4, vcc_lo
	s_cbranch_execz .LBB283_2150
.LBB283_2185:
	ds_read_b32 v17, v16 offset:256
	s_waitcnt lgkmcnt(0)
	v_add_f32_e32 v7, v17, v7
	s_or_b32 exec_lo, exec_lo, s4
	s_and_saveexec_b32 s4, vcc_lo
	s_cbranch_execz .LBB283_2151
.LBB283_2186:
	ds_read_b32 v17, v16 offset:288
	s_waitcnt lgkmcnt(0)
	v_add_f32_e32 v6, v17, v6
	s_or_b32 exec_lo, exec_lo, s4
	s_and_saveexec_b32 s4, vcc_lo
	s_cbranch_execz .LBB283_2152
.LBB283_2187:
	ds_read_b32 v17, v16 offset:320
	s_waitcnt lgkmcnt(0)
	v_add_f32_e32 v5, v17, v5
	s_or_b32 exec_lo, exec_lo, s4
	s_and_saveexec_b32 s4, vcc_lo
	s_cbranch_execz .LBB283_2153
.LBB283_2188:
	ds_read_b32 v17, v16 offset:352
	s_waitcnt lgkmcnt(0)
	v_add_f32_e32 v4, v17, v4
	s_or_b32 exec_lo, exec_lo, s4
	s_and_saveexec_b32 s4, vcc_lo
	s_cbranch_execz .LBB283_2154
.LBB283_2189:
	ds_read_b32 v17, v16 offset:384
	s_waitcnt lgkmcnt(0)
	v_add_f32_e32 v3, v17, v3
	s_or_b32 exec_lo, exec_lo, s4
	s_and_saveexec_b32 s4, vcc_lo
	s_cbranch_execz .LBB283_2155
.LBB283_2190:
	ds_read_b32 v17, v16 offset:416
	s_waitcnt lgkmcnt(0)
	v_add_f32_e32 v1, v17, v1
	s_or_b32 exec_lo, exec_lo, s4
	s_and_saveexec_b32 s4, vcc_lo
	s_cbranch_execz .LBB283_2156
.LBB283_2191:
	ds_read_b32 v17, v16 offset:448
	s_waitcnt lgkmcnt(0)
	v_add_f32_e32 v0, v17, v0
	s_or_b32 exec_lo, exec_lo, s4
	s_and_saveexec_b32 s4, vcc_lo
	s_cbranch_execnz .LBB283_2157
	s_branch .LBB283_2158
.Lfunc_end283:
	.size	_ZN4vllm22paged_attention_kernelIthLi128ELi32ELi128ELNS_18Fp8KVCacheDataTypeE1ELb1ELi0EEEvPfS2_PT_PKS3_PKT0_S9_ifPKiSB_iPKfiiiSD_SD_iiiii, .Lfunc_end283-_ZN4vllm22paged_attention_kernelIthLi128ELi32ELi128ELNS_18Fp8KVCacheDataTypeE1ELb1ELi0EEEvPfS2_PT_PKS3_PKT0_S9_ifPKiSB_iPKfiiiSD_SD_iiiii
                                        ; -- End function
	.set .L_ZN4vllm22paged_attention_kernelIthLi128ELi32ELi128ELNS_18Fp8KVCacheDataTypeE1ELb1ELi0EEEvPfS2_PT_PKS3_PKT0_S9_ifPKiSB_iPKfiiiSD_SD_iiiii.num_vgpr, 128
	.set .L_ZN4vllm22paged_attention_kernelIthLi128ELi32ELi128ELNS_18Fp8KVCacheDataTypeE1ELb1ELi0EEEvPfS2_PT_PKS3_PKT0_S9_ifPKiSB_iPKfiiiSD_SD_iiiii.num_agpr, 0
	.set .L_ZN4vllm22paged_attention_kernelIthLi128ELi32ELi128ELNS_18Fp8KVCacheDataTypeE1ELb1ELi0EEEvPfS2_PT_PKS3_PKT0_S9_ifPKiSB_iPKfiiiSD_SD_iiiii.numbered_sgpr, 33
	.set .L_ZN4vllm22paged_attention_kernelIthLi128ELi32ELi128ELNS_18Fp8KVCacheDataTypeE1ELb1ELi0EEEvPfS2_PT_PKS3_PKT0_S9_ifPKiSB_iPKfiiiSD_SD_iiiii.num_named_barrier, 0
	.set .L_ZN4vllm22paged_attention_kernelIthLi128ELi32ELi128ELNS_18Fp8KVCacheDataTypeE1ELb1ELi0EEEvPfS2_PT_PKS3_PKT0_S9_ifPKiSB_iPKfiiiSD_SD_iiiii.private_seg_size, 504
	.set .L_ZN4vllm22paged_attention_kernelIthLi128ELi32ELi128ELNS_18Fp8KVCacheDataTypeE1ELb1ELi0EEEvPfS2_PT_PKS3_PKT0_S9_ifPKiSB_iPKfiiiSD_SD_iiiii.uses_vcc, 1
	.set .L_ZN4vllm22paged_attention_kernelIthLi128ELi32ELi128ELNS_18Fp8KVCacheDataTypeE1ELb1ELi0EEEvPfS2_PT_PKS3_PKT0_S9_ifPKiSB_iPKfiiiSD_SD_iiiii.uses_flat_scratch, 0
	.set .L_ZN4vllm22paged_attention_kernelIthLi128ELi32ELi128ELNS_18Fp8KVCacheDataTypeE1ELb1ELi0EEEvPfS2_PT_PKS3_PKT0_S9_ifPKiSB_iPKfiiiSD_SD_iiiii.has_dyn_sized_stack, 0
	.set .L_ZN4vllm22paged_attention_kernelIthLi128ELi32ELi128ELNS_18Fp8KVCacheDataTypeE1ELb1ELi0EEEvPfS2_PT_PKS3_PKT0_S9_ifPKiSB_iPKfiiiSD_SD_iiiii.has_recursion, 0
	.set .L_ZN4vllm22paged_attention_kernelIthLi128ELi32ELi128ELNS_18Fp8KVCacheDataTypeE1ELb1ELi0EEEvPfS2_PT_PKS3_PKT0_S9_ifPKiSB_iPKfiiiSD_SD_iiiii.has_indirect_call, 0
	.section	.AMDGPU.csdata,"",@progbits
; Function info:
; codeLenInByte = 73444
; TotalNumSgprs: 35
; NumVgprs: 128
; ScratchSize: 504
; MemoryBound: 0
	.section	.text._ZN4vllm25paged_attention_v1_kernelIthLi128ELi32ELi128ELNS_18Fp8KVCacheDataTypeE1ELb1EEEvPT_PKS2_PKT0_S8_ifPKiSA_iPKfiiiSC_SC_iiiii,"axG",@progbits,_ZN4vllm25paged_attention_v1_kernelIthLi128ELi32ELi128ELNS_18Fp8KVCacheDataTypeE1ELb1EEEvPT_PKS2_PKT0_S8_ifPKiSA_iPKfiiiSC_SC_iiiii,comdat
	.protected	_ZN4vllm25paged_attention_v1_kernelIthLi128ELi32ELi128ELNS_18Fp8KVCacheDataTypeE1ELb1EEEvPT_PKS2_PKT0_S8_ifPKiSA_iPKfiiiSC_SC_iiiii ; -- Begin function _ZN4vllm25paged_attention_v1_kernelIthLi128ELi32ELi128ELNS_18Fp8KVCacheDataTypeE1ELb1EEEvPT_PKS2_PKT0_S8_ifPKiSA_iPKfiiiSC_SC_iiiii
	.globl	_ZN4vllm25paged_attention_v1_kernelIthLi128ELi32ELi128ELNS_18Fp8KVCacheDataTypeE1ELb1EEEvPT_PKS2_PKT0_S8_ifPKiSA_iPKfiiiSC_SC_iiiii
	.p2align	8
	.type	_ZN4vllm25paged_attention_v1_kernelIthLi128ELi32ELi128ELNS_18Fp8KVCacheDataTypeE1ELb1EEEvPT_PKS2_PKT0_S8_ifPKiSA_iPKfiiiSC_SC_iiiii,@function
_ZN4vllm25paged_attention_v1_kernelIthLi128ELi32ELi128ELNS_18Fp8KVCacheDataTypeE1ELb1EEEvPT_PKS2_PKT0_S8_ifPKiSA_iPKfiiiSC_SC_iiiii: ; @_ZN4vllm25paged_attention_v1_kernelIthLi128ELi32ELi128ELNS_18Fp8KVCacheDataTypeE1ELb1EEEvPT_PKS2_PKT0_S8_ifPKiSA_iPKfiiiSC_SC_iiiii
; %bb.0:
	s_clause 0x7
	s_load_dwordx8 s[16:23], s[4:5], 0x0
	s_load_dwordx4 s[36:39], s[4:5], 0x20
	s_load_dwordx2 s[10:11], s[4:5], 0x30
	s_load_dword s13, s[4:5], 0x38
	s_load_dwordx2 s[34:35], s[4:5], 0x40
	s_load_dwordx8 s[24:31], s[4:5], 0x48
	s_load_dword s15, s[4:5], 0x78
	s_load_dwordx4 s[40:43], s[4:5], 0x68
	s_add_u32 s0, s0, s9
	s_addc_u32 s1, s1, 0
	v_mov_b32_e32 v31, v0
	s_mov_b32 s14, s8
	s_add_u32 s8, s4, 0x80
	s_addc_u32 s9, s5, 0
	s_getpc_b64 s[4:5]
	s_add_u32 s4, s4, _ZN4vllm22paged_attention_kernelIthLi128ELi32ELi128ELNS_18Fp8KVCacheDataTypeE1ELb1ELi0EEEvPfS2_PT_PKS3_PKT0_S9_ifPKiSB_iPKfiiiSD_SD_iiiii@rel32@lo+4
	s_addc_u32 s5, s5, _ZN4vllm22paged_attention_kernelIthLi128ELi32ELi128ELNS_18Fp8KVCacheDataTypeE1ELb1ELi0EEEvPfS2_PT_PKS3_PKT0_S9_ifPKiSB_iPKfiiiSD_SD_iiiii@rel32@hi+12
	s_mov_b32 s12, s6
	s_mov_b32 s32, 0
	s_waitcnt lgkmcnt(0)
	v_mov_b32_e32 v0, s16
	v_mov_b32_e32 v1, s17
	;; [unrolled: 1-line block ×29, first 2 shown]
	s_mov_b32 s13, s7
	s_mov_b32 s15, 39
	s_swappc_b64 s[30:31], s[4:5]
	s_endpgm
	.section	.rodata,"a",@progbits
	.p2align	6, 0x0
	.amdhsa_kernel _ZN4vllm25paged_attention_v1_kernelIthLi128ELi32ELi128ELNS_18Fp8KVCacheDataTypeE1ELb1EEEvPT_PKS2_PKT0_S8_ifPKiSA_iPKfiiiSC_SC_iiiii
		.amdhsa_group_segment_fixed_size 288
		.amdhsa_private_segment_fixed_size 504
		.amdhsa_kernarg_size 384
		.amdhsa_user_sgpr_count 6
		.amdhsa_user_sgpr_private_segment_buffer 1
		.amdhsa_user_sgpr_dispatch_ptr 0
		.amdhsa_user_sgpr_queue_ptr 0
		.amdhsa_user_sgpr_kernarg_segment_ptr 1
		.amdhsa_user_sgpr_dispatch_id 0
		.amdhsa_user_sgpr_flat_scratch_init 0
		.amdhsa_user_sgpr_private_segment_size 0
		.amdhsa_wavefront_size32 1
		.amdhsa_uses_dynamic_stack 0
		.amdhsa_system_sgpr_private_segment_wavefront_offset 1
		.amdhsa_system_sgpr_workgroup_id_x 1
		.amdhsa_system_sgpr_workgroup_id_y 1
		.amdhsa_system_sgpr_workgroup_id_z 1
		.amdhsa_system_sgpr_workgroup_info 0
		.amdhsa_system_vgpr_workitem_id 0
		.amdhsa_next_free_vgpr 128
		.amdhsa_next_free_sgpr 44
		.amdhsa_reserve_vcc 1
		.amdhsa_reserve_flat_scratch 0
		.amdhsa_float_round_mode_32 0
		.amdhsa_float_round_mode_16_64 0
		.amdhsa_float_denorm_mode_32 3
		.amdhsa_float_denorm_mode_16_64 3
		.amdhsa_dx10_clamp 1
		.amdhsa_ieee_mode 1
		.amdhsa_fp16_overflow 0
		.amdhsa_workgroup_processor_mode 1
		.amdhsa_memory_ordered 1
		.amdhsa_forward_progress 1
		.amdhsa_shared_vgpr_count 0
		.amdhsa_exception_fp_ieee_invalid_op 0
		.amdhsa_exception_fp_denorm_src 0
		.amdhsa_exception_fp_ieee_div_zero 0
		.amdhsa_exception_fp_ieee_overflow 0
		.amdhsa_exception_fp_ieee_underflow 0
		.amdhsa_exception_fp_ieee_inexact 0
		.amdhsa_exception_int_div_zero 0
	.end_amdhsa_kernel
	.section	.text._ZN4vllm25paged_attention_v1_kernelIthLi128ELi32ELi128ELNS_18Fp8KVCacheDataTypeE1ELb1EEEvPT_PKS2_PKT0_S8_ifPKiSA_iPKfiiiSC_SC_iiiii,"axG",@progbits,_ZN4vllm25paged_attention_v1_kernelIthLi128ELi32ELi128ELNS_18Fp8KVCacheDataTypeE1ELb1EEEvPT_PKS2_PKT0_S8_ifPKiSA_iPKfiiiSC_SC_iiiii,comdat
.Lfunc_end284:
	.size	_ZN4vllm25paged_attention_v1_kernelIthLi128ELi32ELi128ELNS_18Fp8KVCacheDataTypeE1ELb1EEEvPT_PKS2_PKT0_S8_ifPKiSA_iPKfiiiSC_SC_iiiii, .Lfunc_end284-_ZN4vllm25paged_attention_v1_kernelIthLi128ELi32ELi128ELNS_18Fp8KVCacheDataTypeE1ELb1EEEvPT_PKS2_PKT0_S8_ifPKiSA_iPKfiiiSC_SC_iiiii
                                        ; -- End function
	.set _ZN4vllm25paged_attention_v1_kernelIthLi128ELi32ELi128ELNS_18Fp8KVCacheDataTypeE1ELb1EEEvPT_PKS2_PKT0_S8_ifPKiSA_iPKfiiiSC_SC_iiiii.num_vgpr, max(32, .L_ZN4vllm22paged_attention_kernelIthLi128ELi32ELi128ELNS_18Fp8KVCacheDataTypeE1ELb1ELi0EEEvPfS2_PT_PKS3_PKT0_S9_ifPKiSB_iPKfiiiSD_SD_iiiii.num_vgpr)
	.set _ZN4vllm25paged_attention_v1_kernelIthLi128ELi32ELi128ELNS_18Fp8KVCacheDataTypeE1ELb1EEEvPT_PKS2_PKT0_S8_ifPKiSA_iPKfiiiSC_SC_iiiii.num_agpr, max(0, .L_ZN4vllm22paged_attention_kernelIthLi128ELi32ELi128ELNS_18Fp8KVCacheDataTypeE1ELb1ELi0EEEvPfS2_PT_PKS3_PKT0_S9_ifPKiSB_iPKfiiiSD_SD_iiiii.num_agpr)
	.set _ZN4vllm25paged_attention_v1_kernelIthLi128ELi32ELi128ELNS_18Fp8KVCacheDataTypeE1ELb1EEEvPT_PKS2_PKT0_S8_ifPKiSA_iPKfiiiSC_SC_iiiii.numbered_sgpr, max(44, .L_ZN4vllm22paged_attention_kernelIthLi128ELi32ELi128ELNS_18Fp8KVCacheDataTypeE1ELb1ELi0EEEvPfS2_PT_PKS3_PKT0_S9_ifPKiSB_iPKfiiiSD_SD_iiiii.numbered_sgpr)
	.set _ZN4vllm25paged_attention_v1_kernelIthLi128ELi32ELi128ELNS_18Fp8KVCacheDataTypeE1ELb1EEEvPT_PKS2_PKT0_S8_ifPKiSA_iPKfiiiSC_SC_iiiii.num_named_barrier, max(0, .L_ZN4vllm22paged_attention_kernelIthLi128ELi32ELi128ELNS_18Fp8KVCacheDataTypeE1ELb1ELi0EEEvPfS2_PT_PKS3_PKT0_S9_ifPKiSB_iPKfiiiSD_SD_iiiii.num_named_barrier)
	.set _ZN4vllm25paged_attention_v1_kernelIthLi128ELi32ELi128ELNS_18Fp8KVCacheDataTypeE1ELb1EEEvPT_PKS2_PKT0_S8_ifPKiSA_iPKfiiiSC_SC_iiiii.private_seg_size, 0+max(.L_ZN4vllm22paged_attention_kernelIthLi128ELi32ELi128ELNS_18Fp8KVCacheDataTypeE1ELb1ELi0EEEvPfS2_PT_PKS3_PKT0_S9_ifPKiSB_iPKfiiiSD_SD_iiiii.private_seg_size)
	.set _ZN4vllm25paged_attention_v1_kernelIthLi128ELi32ELi128ELNS_18Fp8KVCacheDataTypeE1ELb1EEEvPT_PKS2_PKT0_S8_ifPKiSA_iPKfiiiSC_SC_iiiii.uses_vcc, or(1, .L_ZN4vllm22paged_attention_kernelIthLi128ELi32ELi128ELNS_18Fp8KVCacheDataTypeE1ELb1ELi0EEEvPfS2_PT_PKS3_PKT0_S9_ifPKiSB_iPKfiiiSD_SD_iiiii.uses_vcc)
	.set _ZN4vllm25paged_attention_v1_kernelIthLi128ELi32ELi128ELNS_18Fp8KVCacheDataTypeE1ELb1EEEvPT_PKS2_PKT0_S8_ifPKiSA_iPKfiiiSC_SC_iiiii.uses_flat_scratch, or(0, .L_ZN4vllm22paged_attention_kernelIthLi128ELi32ELi128ELNS_18Fp8KVCacheDataTypeE1ELb1ELi0EEEvPfS2_PT_PKS3_PKT0_S9_ifPKiSB_iPKfiiiSD_SD_iiiii.uses_flat_scratch)
	.set _ZN4vllm25paged_attention_v1_kernelIthLi128ELi32ELi128ELNS_18Fp8KVCacheDataTypeE1ELb1EEEvPT_PKS2_PKT0_S8_ifPKiSA_iPKfiiiSC_SC_iiiii.has_dyn_sized_stack, or(0, .L_ZN4vllm22paged_attention_kernelIthLi128ELi32ELi128ELNS_18Fp8KVCacheDataTypeE1ELb1ELi0EEEvPfS2_PT_PKS3_PKT0_S9_ifPKiSB_iPKfiiiSD_SD_iiiii.has_dyn_sized_stack)
	.set _ZN4vllm25paged_attention_v1_kernelIthLi128ELi32ELi128ELNS_18Fp8KVCacheDataTypeE1ELb1EEEvPT_PKS2_PKT0_S8_ifPKiSA_iPKfiiiSC_SC_iiiii.has_recursion, or(0, .L_ZN4vllm22paged_attention_kernelIthLi128ELi32ELi128ELNS_18Fp8KVCacheDataTypeE1ELb1ELi0EEEvPfS2_PT_PKS3_PKT0_S9_ifPKiSB_iPKfiiiSD_SD_iiiii.has_recursion)
	.set _ZN4vllm25paged_attention_v1_kernelIthLi128ELi32ELi128ELNS_18Fp8KVCacheDataTypeE1ELb1EEEvPT_PKS2_PKT0_S8_ifPKiSA_iPKfiiiSC_SC_iiiii.has_indirect_call, or(0, .L_ZN4vllm22paged_attention_kernelIthLi128ELi32ELi128ELNS_18Fp8KVCacheDataTypeE1ELb1ELi0EEEvPfS2_PT_PKS3_PKT0_S9_ifPKiSB_iPKfiiiSD_SD_iiiii.has_indirect_call)
	.section	.AMDGPU.csdata,"",@progbits
; Kernel info:
; codeLenInByte = 260
; TotalNumSgprs: 46
; NumVgprs: 128
; ScratchSize: 504
; MemoryBound: 0
; FloatMode: 240
; IeeeMode: 1
; LDSByteSize: 288 bytes/workgroup (compile time only)
; SGPRBlocks: 0
; VGPRBlocks: 15
; NumSGPRsForWavesPerEU: 46
; NumVGPRsForWavesPerEU: 128
; Occupancy: 8
; WaveLimiterHint : 1
; COMPUTE_PGM_RSRC2:SCRATCH_EN: 1
; COMPUTE_PGM_RSRC2:USER_SGPR: 6
; COMPUTE_PGM_RSRC2:TRAP_HANDLER: 0
; COMPUTE_PGM_RSRC2:TGID_X_EN: 1
; COMPUTE_PGM_RSRC2:TGID_Y_EN: 1
; COMPUTE_PGM_RSRC2:TGID_Z_EN: 1
; COMPUTE_PGM_RSRC2:TIDIG_COMP_CNT: 0
	.text
	.p2align	2                               ; -- Begin function _ZN4vllm22paged_attention_kernelIthLi192ELi32ELi128ELNS_18Fp8KVCacheDataTypeE1ELb1ELi0EEEvPfS2_PT_PKS3_PKT0_S9_ifPKiSB_iPKfiiiSD_SD_iiiii
	.type	_ZN4vllm22paged_attention_kernelIthLi192ELi32ELi128ELNS_18Fp8KVCacheDataTypeE1ELb1ELi0EEEvPfS2_PT_PKS3_PKT0_S9_ifPKiSB_iPKfiiiSD_SD_iiiii,@function
_ZN4vllm22paged_attention_kernelIthLi192ELi32ELi128ELNS_18Fp8KVCacheDataTypeE1ELb1ELi0EEEvPfS2_PT_PKS3_PKT0_S9_ifPKiSB_iPKfiiiSD_SD_iiiii: ; @_ZN4vllm22paged_attention_kernelIthLi192ELi32ELi128ELNS_18Fp8KVCacheDataTypeE1ELb1ELi0EEEvPfS2_PT_PKS3_PKT0_S9_ifPKiSB_iPKfiiiSD_SD_iiiii
; %bb.0:
	s_waitcnt vmcnt(0) expcnt(0) lgkmcnt(0)
	buffer_store_dword v40, off, s[0:3], s32 offset:188 ; 4-byte Folded Spill
	buffer_store_dword v41, off, s[0:3], s32 offset:184 ; 4-byte Folded Spill
	;; [unrolled: 1-line block ×47, first 2 shown]
	buffer_store_dword v127, off, s[0:3], s32 ; 4-byte Folded Spill
	s_mov_b32 s10, s13
	s_ashr_i32 s11, s13, 31
	v_mov_b32_e32 v107, v0
	s_lshl_b64 s[6:7], s[10:11], 2
	v_mov_b32_e32 v106, v1
	v_add_co_u32 v0, vcc_lo, v12, s6
	v_add_co_ci_u32_e64 v1, null, s7, v13, vcc_lo
	buffer_store_dword v20, off, s[0:3], s32 offset:884 ; 4-byte Folded Spill
	buffer_store_dword v21, off, s[0:3], s32 offset:888 ; 4-byte Folded Spill
	;; [unrolled: 1-line block ×6, first 2 shown]
	s_clause 0x1
	s_load_dword s5, s[8:9], 0x10
	s_load_dword s6, s[8:9], 0x0
	flat_load_dword v32, v[0:1]
	v_sub_nc_u32_e32 v0, 0, v8
	v_mov_b32_e32 v109, v22
	v_mov_b32_e32 v22, v6
	;; [unrolled: 1-line block ×4, first 2 shown]
	v_max_i32_e32 v0, v8, v0
	s_mov_b32 s4, s15
	v_cvt_f32_u32_e32 v1, v0
	v_sub_nc_u32_e32 v6, 0, v0
	v_rcp_iflag_f32_e32 v1, v1
	s_waitcnt lgkmcnt(0)
	s_lshr_b32 s5, s5, 16
	s_cmp_lg_u32 s5, 0
	s_cselect_b32 s5, -1, 0
	s_cmp_lg_u32 s5, 0
	v_mul_f32_e32 v1, 0x4f7ffffe, v1
	s_addc_u32 s11, s6, 0
	s_mov_b32 s6, exec_lo
	s_abs_i32 s5, s11
	v_cvt_u32_f32_e32 v1, v1
	v_mul_lo_u32 v6, v6, v1
	v_mul_hi_u32 v6, v1, v6
	v_add_nc_u32_e32 v1, v1, v6
	v_mul_hi_u32 v1, s5, v1
	v_mul_lo_u32 v6, v1, v0
	v_add_nc_u32_e32 v7, 1, v1
	v_sub_nc_u32_e32 v6, s5, v6
	s_abs_i32 s5, s12
	v_sub_nc_u32_e32 v9, v6, v0
	v_cmp_ge_u32_e32 vcc_lo, v6, v0
	v_cndmask_b32_e32 v1, v1, v7, vcc_lo
	v_cndmask_b32_e32 v6, v6, v9, vcc_lo
	v_xor_b32_e32 v7, s11, v8
	v_add_nc_u32_e32 v9, 1, v1
	v_cmp_ge_u32_e32 vcc_lo, v6, v0
	v_ashrrev_i32_e32 v7, 31, v7
	v_cndmask_b32_e32 v0, v1, v9, vcc_lo
	v_xor_b32_e32 v0, v0, v7
	v_sub_nc_u32_e32 v1, v0, v7
	v_sub_nc_u32_e32 v0, 0, v1
	v_max_i32_e32 v0, v1, v0
	v_cvt_f32_u32_e32 v6, v0
	v_sub_nc_u32_e32 v7, 0, v0
	v_rcp_iflag_f32_e32 v6, v6
	v_mul_f32_e32 v6, 0x4f7ffffe, v6
	v_cvt_u32_f32_e32 v6, v6
	v_mul_lo_u32 v7, v7, v6
	v_mul_hi_u32 v7, v6, v7
	v_add_nc_u32_e32 v6, v6, v7
	v_mad_u64_u32 v[12:13], null, s5, v6, 0
	v_mov_b32_e32 v6, 0
	buffer_store_dword v6, off, s[0:3], s32 offset:880 ; 4-byte Folded Spill
	v_cmpx_ne_u64_e32 0, v[15:16]
	s_cbranch_execz .LBB285_2
; %bb.1:
	s_ashr_i32 s13, s12, 31
	s_lshl_b64 s[16:17], s[12:13], 2
	v_add_co_u32 v6, vcc_lo, v15, s16
	v_add_co_ci_u32_e64 v7, null, s17, v16, vcc_lo
	flat_load_dword v6, v[6:7]
	s_waitcnt vmcnt(0) lgkmcnt(0)
	buffer_store_dword v6, off, s[0:3], s32 offset:880 ; 4-byte Folded Spill
.LBB285_2:
	s_or_b32 exec_lo, exec_lo, s6
	v_and_b32_e32 v108, 0x3ff, v31
	v_ashrrev_i32_e32 v1, 31, v1
	s_ashr_i32 s6, s12, 31
	s_mul_i32 s16, s12, 0xc0
	s_mov_b32 s7, exec_lo
	v_cmpx_gt_u32_e32 24, v108
	s_cbranch_execz .LBB285_4
; %bb.3:
	v_mul_lo_u32 v6, v17, s10
	s_ashr_i32 s17, s16, 31
	v_lshlrev_b32_e32 v15, 4, v108
	s_lshl_b64 s[18:19], s[16:17], 1
	v_ashrrev_i32_e32 v7, 31, v6
	v_lshlrev_b64 v[6:7], 1, v[6:7]
	v_add_co_u32 v2, vcc_lo, v2, v6
	v_add_co_ci_u32_e64 v3, null, v3, v7, vcc_lo
	v_add_co_u32 v2, vcc_lo, v2, s18
	v_add_co_ci_u32_e64 v3, null, s19, v3, vcc_lo
	;; [unrolled: 2-line block ×3, first 2 shown]
	flat_load_dwordx4 v[9:12], v[2:3]
	s_waitcnt vmcnt(0) lgkmcnt(0)
	ds_write_b128 v15, v[9:12]
.LBB285_4:
	s_or_b32 exec_lo, exec_lo, s7
	v_sub_nc_u32_e32 v2, 0, v27
	v_mul_lo_u32 v3, v13, v0
	v_add_nc_u32_e32 v7, 1, v13
	v_xor_b32_e32 v1, s6, v1
	v_max_i32_e32 v111, v27, v2
	v_sub_nc_u32_e32 v3, s5, v3
	v_cvt_f32_u32_e32 v2, v111
	s_mov_b32 s5, exec_lo
	v_sub_nc_u32_e32 v9, v3, v0
	v_rcp_iflag_f32_e32 v2, v2
	v_cmp_ge_u32_e32 vcc_lo, v3, v0
	v_cndmask_b32_e32 v7, v13, v7, vcc_lo
	v_cndmask_b32_e32 v3, v3, v9, vcc_lo
	v_mul_f32_e32 v2, 0x4f7ffffe, v2
	v_add_nc_u32_e32 v9, 1, v7
	v_cmp_ge_u32_e32 vcc_lo, v3, v0
	v_cvt_u32_f32_e32 v6, v2
	v_sub_nc_u32_e32 v2, 0, v111
	v_cndmask_b32_e32 v3, v7, v9, vcc_lo
	v_mul_lo_u32 v10, v2, v6
	s_waitcnt vmcnt(0)
	v_add_nc_u32_e32 v2, -1, v32
	v_xor_b32_e32 v3, v3, v1
	v_sub_nc_u32_e32 v11, 0, v2
	v_mul_hi_u32 v10, v6, v10
	v_max_i32_e32 v0, v2, v11
	v_add_nc_u32_e32 v6, v6, v10
	v_mad_u64_u32 v[12:13], null, v0, v6, 0
	v_sub_nc_u32_e32 v12, v3, v1
                                        ; implicit-def: $vgpr1
	buffer_store_dword v6, off, s[0:3], s32 offset:200 ; 4-byte Folded Spill
	s_waitcnt lgkmcnt(0)
	s_waitcnt_vscnt null, 0x0
	s_barrier
	buffer_gl0_inv
	buffer_store_dword v1, off, s[0:3], s32 offset:192 ; 4-byte Folded Spill
	buffer_store_dword v2, off, s[0:3], s32 offset:196 ; 4-byte Folded Spill
	v_cmpx_gt_i32_e32 0, v28
	s_xor_b32 s5, exec_lo, s5
	s_cbranch_execz .LBB285_6
; %bb.5:
	v_mad_u64_u32 v[6:7], null, v24, v8, v[12:13]
                                        ; implicit-def: $vgpr24
	v_mul_lo_u32 v1, v6, v28
                                        ; implicit-def: $vgpr28
	v_sub_nc_u32_e32 v1, 1, v1
	buffer_store_dword v1, off, s[0:3], s32 offset:192 ; 4-byte Folded Spill
	buffer_store_dword v2, off, s[0:3], s32 offset:196 ; 4-byte Folded Spill
.LBB285_6:
	s_or_saveexec_b32 s5, s5
	v_ashrrev_i32_e32 v1, 31, v2
	v_ashrrev_i32_e32 v120, 31, v27
	s_xor_b32 exec_lo, exec_lo, s5
	s_cbranch_execz .LBB285_8
; %bb.7:
	v_mad_u64_u32 v[2:3], null, s11, v24, s[12:13]
	v_mad_u64_u32 v[2:3], null, v2, v28, 1
	buffer_store_dword v2, off, s[0:3], s32 offset:192 ; 4-byte Folded Spill
	buffer_store_dword v3, off, s[0:3], s32 offset:196 ; 4-byte Folded Spill
.LBB285_8:
	s_or_b32 exec_lo, exec_lo, s5
	v_mul_lo_u32 v2, v13, v111
	v_add_nc_u32_e32 v3, 31, v32
	v_xor_b32_e32 v8, v1, v120
	s_clause 0x1
	s_load_dword s7, s[8:9], 0x14
	s_load_dword s15, s[8:9], 0x8
	v_mul_lo_u32 v10, v12, v19
	v_lshrrev_b32_e32 v125, 5, v108
	v_ashrrev_i32_e32 v1, 31, v3
	v_and_b32_e32 v9, 31, v108
	v_sub_nc_u32_e32 v2, v0, v2
	v_add_nc_u32_e32 v0, 1, v13
	s_ashr_i32 s5, s4, 31
	v_lshrrev_b32_e32 v1, 27, v1
	s_getpc_b64 s[8:9]
	s_add_u32 s8, s8, llvm.amdgcn.dynlds.offset.table@rel32@lo+4
	s_addc_u32 s9, s9, llvm.amdgcn.dynlds.offset.table@rel32@hi+12
	v_sub_nc_u32_e32 v6, v2, v111
	v_cmp_ge_u32_e32 vcc_lo, v2, v111
	v_sub_nc_u32_e32 v12, 0, v26
	v_add_nc_u32_e32 v3, v3, v1
	s_lshl_b64 s[12:13], s[4:5], 2
	v_ashrrev_i32_e32 v11, 31, v10
	v_cndmask_b32_e32 v7, v13, v0, vcc_lo
	v_cndmask_b32_e32 v2, v2, v6, vcc_lo
	v_mul_lo_u32 v0, v14, s10
	v_ashrrev_i32_e32 v121, 5, v3
	v_mov_b32_e32 v14, 0xff7fffff
	v_add_nc_u32_e32 v6, 1, v7
	v_cmp_ge_u32_e32 vcc_lo, v2, v111
	v_lshlrev_b32_e32 v13, 2, v9
	v_cmp_lt_i32_e64 s4, v125, v121
	s_add_u32 s8, s8, s12
	v_ashrrev_i32_e32 v1, 31, v0
	v_cndmask_b32_e32 v2, v7, v6, vcc_lo
	s_addc_u32 s9, s9, s13
	v_lshlrev_b64 v[0:1], 2, v[0:1]
	v_xor_b32_e32 v2, v2, v8
	buffer_store_dword v0, off, s[0:3], s32 offset:916 ; 4-byte Folded Spill
	buffer_store_dword v1, off, s[0:3], s32 offset:920 ; 4-byte Folded Spill
	v_sub_nc_u32_e32 v2, v2, v8
	v_sub_nc_u32_e32 v0, v2, v25
	buffer_store_dword v0, off, s[0:3], s32 offset:204 ; 4-byte Folded Spill
	buffer_store_dword v9, off, s[0:3], s32 offset:876 ; 4-byte Folded Spill
	s_and_saveexec_b32 s17, s4
	s_cbranch_execz .LBB285_1552
; %bb.9:
	v_add_co_u32 v1, vcc_lo, v4, v10
	v_add_co_ci_u32_e64 v2, null, v5, v11, vcc_lo
	v_and_b32_e32 v5, 31, v108
	buffer_store_dword v22, off, s[0:3], s32 offset:956 ; 4-byte Folded Spill
	buffer_store_dword v18, off, s[0:3], s32 offset:952 ; 4-byte Folded Spill
	;; [unrolled: 1-line block ×11, first 2 shown]
	buffer_load_dword v6, off, s[0:3], s32 offset:880 ; 4-byte Folded Reload
	v_max_i32_e32 v7, v26, v12
	s_load_dword s18, s[8:9], 0x0
	v_lshlrev_b32_e32 v3, 4, v5
	v_sub_nc_u32_e32 v5, v5, v32
	buffer_store_dword v10, off, s[0:3], s32 offset:960 ; 4-byte Folded Spill
	buffer_store_dword v11, off, s[0:3], s32 offset:964 ; 4-byte Folded Spill
	;; [unrolled: 1-line block ×3, first 2 shown]
	v_add_co_u32 v1, s5, v1, v3
	v_add_co_ci_u32_e64 v2, null, 0, v2, s5
	buffer_store_dword v7, off, s[0:3], s32 offset:540 ; 4-byte Folded Spill
	buffer_store_dword v108, off, s[0:3], s32 offset:932 ; 4-byte Folded Spill
	;; [unrolled: 1-line block ×4, first 2 shown]
	v_add_nc_u32_e32 v5, 1, v5
	s_clause 0x1
	buffer_load_dword v2, off, s[0:3], s32 offset:916
	buffer_load_dword v3, off, s[0:3], s32 offset:920
	v_cvt_f32_u32_e32 v0, v7
	v_mov_b32_e32 v4, 0
	v_lshlrev_b32_e32 v92, 5, v125
	buffer_store_dword v5, off, s[0:3], s32 offset:904 ; 4-byte Folded Spill
	buffer_load_dword v5, off, s[0:3], s32 offset:912 ; 4-byte Folded Reload
	v_rcp_iflag_f32_e32 v0, v0
	v_lshl_or_b32 v124, v125, 7, v13
	v_mov_b32_e32 v54, 0x80
	v_mov_b32_e32 v14, 0xff7fffff
	s_mov_b32 s12, -1
	s_mov_b32 s19, 0
	s_mov_b32 s13, 0xffffff
	v_mul_f32_e32 v0, 0x4f7ffffe, v0
	v_cvt_u32_f32_e32 v0, v0
	s_waitcnt vmcnt(3)
	v_cmp_neq_f32_e32 vcc_lo, 0, v6
	v_sub_nc_u32_e32 v6, 0, v7
	v_lshrrev_b32_e32 v7, 3, v108
	v_mul_lo_u32 v6, v6, v0
	v_and_b32_e32 v7, 0x7c, v7
	v_mul_hi_u32 v1, v0, v6
	s_waitcnt vmcnt(2)
	v_add_co_u32 v2, s5, v7, v2
	s_waitcnt vmcnt(1)
	v_add_co_ci_u32_e64 v3, null, 0, v3, s5
	s_waitcnt vmcnt(0)
	v_add_co_u32 v16, s5, v5, v2
	buffer_load_dword v2, off, s[0:3], s32 offset:908 ; 4-byte Folded Reload
	v_add_nc_u32_e32 v0, v0, v1
	buffer_store_dword v0, off, s[0:3], s32 offset:544 ; 4-byte Folded Spill
	buffer_store_dword v125, off, s[0:3], s32 offset:944 ; 4-byte Folded Spill
	s_waitcnt vmcnt(0)
	v_add_co_ci_u32_e64 v17, null, v2, v3, s5
	s_branch .LBB285_15
.LBB285_10:                             ;   in Loop: Header=BB285_15 Depth=1
	s_or_b32 exec_lo, exec_lo, s23
	v_lshlrev_b32_e32 v3, 8, v3
	v_lshl_add_u32 v22, v25, 10, 0x2000
	v_and_or_b32 v3, 0x8000, v3, v22
	v_lshlrev_b32_e32 v22, 23, v24
	v_lshl_or_b32 v24, v3, 16, v22
.LBB285_11:                             ;   in Loop: Header=BB285_15 Depth=1
	s_or_b32 exec_lo, exec_lo, s22
.LBB285_12:                             ;   in Loop: Header=BB285_15 Depth=1
	s_or_b32 exec_lo, exec_lo, s21
.LBB285_13:                             ;   in Loop: Header=BB285_15 Depth=1
	s_or_b32 exec_lo, exec_lo, s20
	v_or_b32_e32 v3, v79, v77
	v_fma_mixlo_f16 v22, v69, v79, 0 op_sel:[0,1,0] op_sel_hi:[0,1,0]
	v_fma_mixlo_f16 v3, v69, v3, 0 op_sel_hi:[0,1,0]
	buffer_store_dword v22, off, s[0:3], s32 offset:568 ; 4-byte Folded Spill
	buffer_store_dword v3, off, s[0:3], s32 offset:572 ; 4-byte Folded Spill
	v_or_b32_e32 v3, v20, v53
	v_fma_mixlo_f16 v20, v69, v20, 0 op_sel:[0,1,0] op_sel_hi:[0,1,0]
	v_fma_mixlo_f16 v3, v69, v3, 0 op_sel_hi:[0,1,0]
	buffer_store_dword v20, off, s[0:3], s32 offset:576 ; 4-byte Folded Spill
	v_fma_mixlo_f16 v20, v69, v90, 0 op_sel:[0,1,0] op_sel_hi:[0,1,0]
	buffer_store_dword v3, off, s[0:3], s32 offset:580 ; 4-byte Folded Spill
	v_or_b32_e32 v3, v90, v52
	buffer_store_dword v20, off, s[0:3], s32 offset:560 ; 4-byte Folded Spill
	v_fma_mixlo_f16 v3, v69, v3, 0 op_sel_hi:[0,1,0]
	buffer_store_dword v3, off, s[0:3], s32 offset:564 ; 4-byte Folded Spill
	v_or_b32_e32 v3, v74, v13
	v_fma_mixlo_f16 v3, v69, v3, 0 op_sel_hi:[0,1,0]
	buffer_store_dword v3, off, s[0:3], s32 offset:556 ; 4-byte Folded Spill
	v_fma_mixlo_f16 v3, v69, v74, 0 op_sel:[0,1,0] op_sel_hi:[0,1,0]
	buffer_store_dword v3, off, s[0:3], s32 offset:552 ; 4-byte Folded Spill
	v_or_b32_e32 v3, v49, v8
	v_fma_mixlo_f16 v8, v69, v49, 0 op_sel:[0,1,0] op_sel_hi:[0,1,0]
	v_fma_mixlo_f16 v3, v69, v3, 0 op_sel_hi:[0,1,0]
	buffer_store_dword v8, off, s[0:3], s32 offset:600 ; 4-byte Folded Spill
	buffer_store_dword v3, off, s[0:3], s32 offset:604 ; 4-byte Folded Spill
	v_or_b32_e32 v3, v44, v6
	v_fma_mixlo_f16 v6, v69, v44, 0 op_sel:[0,1,0] op_sel_hi:[0,1,0]
	v_fma_mixlo_f16 v3, v69, v3, 0 op_sel_hi:[0,1,0]
	buffer_store_dword v6, off, s[0:3], s32 offset:608 ; 4-byte Folded Spill
	v_fma_mixlo_f16 v6, v69, v21, 0 op_sel:[0,1,0] op_sel_hi:[0,1,0]
	buffer_store_dword v3, off, s[0:3], s32 offset:612 ; 4-byte Folded Spill
	v_or_b32_e32 v3, v21, v60
	buffer_store_dword v6, off, s[0:3], s32 offset:592 ; 4-byte Folded Spill
	v_fma_mixlo_f16 v6, v69, v121, 0 op_sel:[0,1,0] op_sel_hi:[0,1,0]
	v_fma_mixlo_f16 v3, v69, v3, 0 op_sel_hi:[0,1,0]
	buffer_store_dword v6, off, s[0:3], s32 offset:632 ; 4-byte Folded Spill
	v_fma_mixlo_f16 v6, v69, v107, 0 op_sel:[0,1,0] op_sel_hi:[0,1,0]
	buffer_store_dword v3, off, s[0:3], s32 offset:596 ; 4-byte Folded Spill
	v_or_b32_e32 v3, v39, v45
	buffer_store_dword v6, off, s[0:3], s32 offset:640 ; 4-byte Folded Spill
	v_fma_mixlo_f16 v6, v69, v51, 0 op_sel:[0,1,0] op_sel_hi:[0,1,0]
	v_fma_mixlo_f16 v3, v69, v3, 0 op_sel_hi:[0,1,0]
	buffer_store_dword v6, off, s[0:3], s32 offset:624 ; 4-byte Folded Spill
	buffer_store_dword v3, off, s[0:3], s32 offset:588 ; 4-byte Folded Spill
	v_fma_mixlo_f16 v3, v69, v39, 0 op_sel:[0,1,0] op_sel_hi:[0,1,0]
	buffer_store_dword v3, off, s[0:3], s32 offset:584 ; 4-byte Folded Spill
	v_or_b32_e32 v3, v121, v110
	v_fma_mixlo_f16 v110, v69, v68, 0 op_sel:[0,1,0] op_sel_hi:[0,1,0]
	v_fma_mixlo_f16 v3, v69, v3, 0 op_sel_hi:[0,1,0]
	buffer_store_dword v3, off, s[0:3], s32 offset:636 ; 4-byte Folded Spill
	v_or_b32_e32 v3, v107, v91
	v_fma_mixlo_f16 v3, v69, v3, 0 op_sel_hi:[0,1,0]
	buffer_store_dword v3, off, s[0:3], s32 offset:644 ; 4-byte Folded Spill
	v_or_b32_e32 v3, v51, v120
	v_fma_mixlo_f16 v120, v69, v10, 0 op_sel:[0,1,0] op_sel_hi:[0,1,0]
	v_fma_mixlo_f16 v3, v69, v3, 0 op_sel_hi:[0,1,0]
	buffer_store_dword v3, off, s[0:3], s32 offset:628 ; 4-byte Folded Spill
	v_or_b32_e32 v3, v1, v123
	v_fma_mixlo_f16 v1, v69, v1, 0 op_sel:[0,1,0] op_sel_hi:[0,1,0]
	v_fma_mixlo_f16 v3, v69, v3, 0 op_sel_hi:[0,1,0]
	buffer_store_dword v1, off, s[0:3], s32 offset:616 ; 4-byte Folded Spill
	v_or_b32_e32 v1, v58, v42
	buffer_store_dword v3, off, s[0:3], s32 offset:620 ; 4-byte Folded Spill
	v_fma_mixlo_f16 v3, v69, v58, 0 op_sel:[0,1,0] op_sel_hi:[0,1,0]
	v_fma_mixlo_f16 v1, v69, v1, 0 op_sel_hi:[0,1,0]
	buffer_store_dword v3, off, s[0:3], s32 offset:664 ; 4-byte Folded Spill
	buffer_store_dword v1, off, s[0:3], s32 offset:668 ; 4-byte Folded Spill
	v_or_b32_e32 v1, v35, v119
	v_fma_mixlo_f16 v3, v69, v35, 0 op_sel:[0,1,0] op_sel_hi:[0,1,0]
	v_fma_mixlo_f16 v1, v69, v1, 0 op_sel_hi:[0,1,0]
	buffer_store_dword v3, off, s[0:3], s32 offset:672 ; 4-byte Folded Spill
	v_fma_mixlo_f16 v3, v69, v89, 0 op_sel:[0,1,0] op_sel_hi:[0,1,0]
	buffer_store_dword v1, off, s[0:3], s32 offset:676 ; 4-byte Folded Spill
	v_or_b32_e32 v1, v89, v47
	buffer_store_dword v3, off, s[0:3], s32 offset:656 ; 4-byte Folded Spill
	v_fma_mixlo_f16 v3, v69, v116, 0 op_sel:[0,1,0] op_sel_hi:[0,1,0]
	v_fma_mixlo_f16 v1, v69, v1, 0 op_sel_hi:[0,1,0]
	buffer_store_dword v3, off, s[0:3], s32 offset:696 ; 4-byte Folded Spill
	v_fma_mixlo_f16 v3, v69, v57, 0 op_sel:[0,1,0] op_sel_hi:[0,1,0]
	buffer_store_dword v1, off, s[0:3], s32 offset:660 ; 4-byte Folded Spill
	v_or_b32_e32 v1, v76, v61
	buffer_store_dword v3, off, s[0:3], s32 offset:704 ; 4-byte Folded Spill
	v_fma_mixlo_f16 v3, v69, v73, 0 op_sel:[0,1,0] op_sel_hi:[0,1,0]
	v_fma_mixlo_f16 v1, v69, v1, 0 op_sel_hi:[0,1,0]
	buffer_store_dword v3, off, s[0:3], s32 offset:688 ; 4-byte Folded Spill
	v_fma_mixlo_f16 v3, v69, v103, 0 op_sel:[0,1,0] op_sel_hi:[0,1,0]
	buffer_store_dword v1, off, s[0:3], s32 offset:652 ; 4-byte Folded Spill
	v_fma_mixlo_f16 v1, v69, v76, 0 op_sel:[0,1,0] op_sel_hi:[0,1,0]
	buffer_store_dword v3, off, s[0:3], s32 offset:728 ; 4-byte Folded Spill
	v_fma_mixlo_f16 v3, v69, v36, 0 op_sel:[0,1,0] op_sel_hi:[0,1,0]
	buffer_store_dword v1, off, s[0:3], s32 offset:648 ; 4-byte Folded Spill
	v_or_b32_e32 v1, v116, v59
	buffer_store_dword v3, off, s[0:3], s32 offset:736 ; 4-byte Folded Spill
	v_fma_mixlo_f16 v3, v69, v62, 0 op_sel:[0,1,0] op_sel_hi:[0,1,0]
	v_fma_mixlo_f16 v1, v69, v1, 0 op_sel_hi:[0,1,0]
	buffer_store_dword v3, off, s[0:3], s32 offset:720 ; 4-byte Folded Spill
	buffer_store_dword v1, off, s[0:3], s32 offset:700 ; 4-byte Folded Spill
	v_or_b32_e32 v1, v57, v30
	v_fma_mixlo_f16 v3, v69, v97, 0 op_sel:[0,1,0] op_sel_hi:[0,1,0]
	v_fma_mixlo_f16 v30, v69, v126, 0 op_sel:[0,1,0] op_sel_hi:[0,1,0]
	;; [unrolled: 1-line block ×3, first 2 shown]
	v_fma_mixlo_f16 v1, v69, v1, 0 op_sel_hi:[0,1,0]
	buffer_store_dword v3, off, s[0:3], s32 offset:760 ; 4-byte Folded Spill
	v_fma_mixlo_f16 v3, v69, v64, 0 op_sel:[0,1,0] op_sel_hi:[0,1,0]
	buffer_store_dword v1, off, s[0:3], s32 offset:708 ; 4-byte Folded Spill
	v_or_b32_e32 v1, v73, v114
	buffer_store_dword v3, off, s[0:3], s32 offset:768 ; 4-byte Folded Spill
	v_fma_mixlo_f16 v3, v69, v100, 0 op_sel:[0,1,0] op_sel_hi:[0,1,0]
	v_fma_mixlo_f16 v1, v69, v1, 0 op_sel_hi:[0,1,0]
	buffer_store_dword v3, off, s[0:3], s32 offset:752 ; 4-byte Folded Spill
	v_fma_mixlo_f16 v3, v69, v84, 0 op_sel:[0,1,0] op_sel_hi:[0,1,0]
	buffer_store_dword v1, off, s[0:3], s32 offset:692 ; 4-byte Folded Spill
	v_or_b32_e32 v1, v117, v72
	buffer_store_dword v3, off, s[0:3], s32 offset:792 ; 4-byte Folded Spill
	v_fma_mixlo_f16 v3, v69, v70, 0 op_sel:[0,1,0] op_sel_hi:[0,1,0]
	v_fma_mixlo_f16 v1, v69, v1, 0 op_sel_hi:[0,1,0]
	buffer_store_dword v3, off, s[0:3], s32 offset:800 ; 4-byte Folded Spill
	v_fma_mixlo_f16 v3, v69, v75, 0 op_sel:[0,1,0] op_sel_hi:[0,1,0]
	buffer_store_dword v1, off, s[0:3], s32 offset:684 ; 4-byte Folded Spill
	v_fma_mixlo_f16 v1, v69, v117, 0 op_sel:[0,1,0] op_sel_hi:[0,1,0]
	;; [unrolled: 2-line block ×3, first 2 shown]
	buffer_store_dword v1, off, s[0:3], s32 offset:680 ; 4-byte Folded Spill
	v_or_b32_e32 v1, v103, v38
	v_fma_mixlo_f16 v38, v69, v12, 0 op_sel:[0,1,0] op_sel_hi:[0,1,0]
	buffer_store_dword v3, off, s[0:3], s32 offset:824 ; 4-byte Folded Spill
	v_fma_mixlo_f16 v3, v69, v94, 0 op_sel:[0,1,0] op_sel_hi:[0,1,0]
	v_fma_mixlo_f16 v1, v69, v1, 0 op_sel_hi:[0,1,0]
	buffer_store_dword v3, off, s[0:3], s32 offset:832 ; 4-byte Folded Spill
	buffer_store_dword v1, off, s[0:3], s32 offset:732 ; 4-byte Folded Spill
	v_or_b32_e32 v1, v36, v9
	v_fma_mixlo_f16 v3, v69, v31, 0 op_sel:[0,1,0] op_sel_hi:[0,1,0]
	v_fma_mixlo_f16 v36, v69, v40, 0 op_sel:[0,1,0] op_sel_hi:[0,1,0]
	v_fma_mixlo_f16 v1, v69, v1, 0 op_sel_hi:[0,1,0]
	buffer_store_dword v3, off, s[0:3], s32 offset:816 ; 4-byte Folded Spill
	v_fma_mixlo_f16 v3, v69, v102, 0 op_sel:[0,1,0] op_sel_hi:[0,1,0]
	buffer_store_dword v1, off, s[0:3], s32 offset:740 ; 4-byte Folded Spill
	v_or_b32_e32 v1, v62, v99
	buffer_store_dword v3, off, s[0:3], s32 offset:856 ; 4-byte Folded Spill
	v_fma_mixlo_f16 v3, v69, v96, 0 op_sel:[0,1,0] op_sel_hi:[0,1,0]
	v_fma_mixlo_f16 v62, v69, v0, 0 op_sel:[0,1,0] op_sel_hi:[0,1,0]
	;; [unrolled: 1-line block ×3, first 2 shown]
	v_fma_mixlo_f16 v1, v69, v1, 0 op_sel_hi:[0,1,0]
	buffer_store_dword v3, off, s[0:3], s32 offset:864 ; 4-byte Folded Spill
	v_fma_mixlo_f16 v3, v69, v88, 0 op_sel:[0,1,0] op_sel_hi:[0,1,0]
	buffer_store_dword v1, off, s[0:3], s32 offset:724 ; 4-byte Folded Spill
	v_or_b32_e32 v1, v29, v46
	buffer_store_dword v3, off, s[0:3], s32 offset:848 ; 4-byte Folded Spill
	v_fma_mixlo_f16 v3, v69, v80, 0 op_sel:[0,1,0] op_sel_hi:[0,1,0]
	v_fma_mixlo_f16 v1, v69, v1, 0 op_sel_hi:[0,1,0]
	buffer_store_dword v3, off, s[0:3], s32 offset:872 ; 4-byte Folded Spill
	v_fma_mixlo_f16 v3, v69, v48, 0 op_sel:[0,1,0] op_sel_hi:[0,1,0]
	buffer_store_dword v1, off, s[0:3], s32 offset:716 ; 4-byte Folded Spill
	v_fma_mixlo_f16 v1, v69, v29, 0 op_sel:[0,1,0] op_sel_hi:[0,1,0]
	buffer_store_dword v1, off, s[0:3], s32 offset:712 ; 4-byte Folded Spill
	v_or_b32_e32 v1, v97, v55
	v_fma_mixlo_f16 v1, v69, v1, 0 op_sel_hi:[0,1,0]
	buffer_store_dword v1, off, s[0:3], s32 offset:764 ; 4-byte Folded Spill
	v_or_b32_e32 v1, v64, v37
	v_fma_mixlo_f16 v64, v69, v78, 0 op_sel:[0,1,0] op_sel_hi:[0,1,0]
	v_fma_mixlo_f16 v1, v69, v1, 0 op_sel_hi:[0,1,0]
	buffer_store_dword v1, off, s[0:3], s32 offset:772 ; 4-byte Folded Spill
	v_or_b32_e32 v1, v100, v85
	v_fma_mixlo_f16 v1, v69, v1, 0 op_sel_hi:[0,1,0]
	buffer_store_dword v1, off, s[0:3], s32 offset:756 ; 4-byte Folded Spill
	v_or_b32_e32 v1, v101, v66
	v_fma_mixlo_f16 v1, v69, v1, 0 op_sel_hi:[0,1,0]
	buffer_store_dword v1, off, s[0:3], s32 offset:748 ; 4-byte Folded Spill
	v_fma_mixlo_f16 v1, v69, v101, 0 op_sel:[0,1,0] op_sel_hi:[0,1,0]
	buffer_store_dword v1, off, s[0:3], s32 offset:744 ; 4-byte Folded Spill
	v_or_b32_e32 v1, v84, v106
	v_fma_mixlo_f16 v84, v69, v2, 0 op_sel:[0,1,0] op_sel_hi:[0,1,0]
	v_fma_mixlo_f16 v1, v69, v1, 0 op_sel_hi:[0,1,0]
	buffer_store_dword v1, off, s[0:3], s32 offset:796 ; 4-byte Folded Spill
	v_or_b32_e32 v1, v70, v112
	v_fma_mixlo_f16 v1, v69, v1, 0 op_sel_hi:[0,1,0]
	buffer_store_dword v1, off, s[0:3], s32 offset:804 ; 4-byte Folded Spill
	v_or_b32_e32 v1, v75, v113
	v_fma_mixlo_f16 v75, v69, v14, 0 op_sel:[0,1,0] op_sel_hi:[0,1,0]
	v_fma_mixlo_f16 v1, v69, v1, 0 op_sel_hi:[0,1,0]
	buffer_store_dword v1, off, s[0:3], s32 offset:788 ; 4-byte Folded Spill
	v_or_b32_e32 v1, v104, v43
	v_fma_mixlo_f16 v1, v69, v1, 0 op_sel_hi:[0,1,0]
	buffer_store_dword v1, off, s[0:3], s32 offset:780 ; 4-byte Folded Spill
	v_fma_mixlo_f16 v1, v69, v104, 0 op_sel:[0,1,0] op_sel_hi:[0,1,0]
	buffer_store_dword v1, off, s[0:3], s32 offset:776 ; 4-byte Folded Spill
	v_or_b32_e32 v1, v11, v65
	v_fma_mixlo_f16 v1, v69, v1, 0 op_sel_hi:[0,1,0]
	buffer_store_dword v1, off, s[0:3], s32 offset:828 ; 4-byte Folded Spill
	v_or_b32_e32 v1, v94, v67
	v_fma_mixlo_f16 v1, v69, v1, 0 op_sel_hi:[0,1,0]
	;; [unrolled: 3-line block ×4, first 2 shown]
	buffer_store_dword v1, off, s[0:3], s32 offset:812 ; 4-byte Folded Spill
	v_fma_mixlo_f16 v1, v69, v105, 0 op_sel:[0,1,0] op_sel_hi:[0,1,0]
	v_fma_mixlo_f16 v105, v69, v56, 0 op_sel:[0,1,0] op_sel_hi:[0,1,0]
	buffer_store_dword v1, off, s[0:3], s32 offset:808 ; 4-byte Folded Spill
	v_or_b32_e32 v1, v102, v83
	v_fma_mixlo_f16 v1, v69, v1, 0 op_sel_hi:[0,1,0]
	buffer_store_dword v1, off, s[0:3], s32 offset:860 ; 4-byte Folded Spill
	v_or_b32_e32 v1, v96, v18
	v_fma_mixlo_f16 v96, v69, v41, 0 op_sel:[0,1,0] op_sel_hi:[0,1,0]
	v_fma_mixlo_f16 v1, v69, v1, 0 op_sel_hi:[0,1,0]
	buffer_store_dword v1, off, s[0:3], s32 offset:868 ; 4-byte Folded Spill
	v_or_b32_e32 v1, v88, v86
	v_fma_mixlo_f16 v1, v69, v1, 0 op_sel_hi:[0,1,0]
	buffer_store_dword v1, off, s[0:3], s32 offset:852 ; 4-byte Folded Spill
	v_or_b32_e32 v1, v118, v127
	v_fma_mixlo_f16 v1, v69, v1, 0 op_sel_hi:[0,1,0]
	buffer_store_dword v1, off, s[0:3], s32 offset:844 ; 4-byte Folded Spill
	v_fma_mixlo_f16 v1, v69, v118, 0 op_sel:[0,1,0] op_sel_hi:[0,1,0]
	v_fma_mixlo_f16 v118, v69, v93, 0 op_sel:[0,1,0] op_sel_hi:[0,1,0]
	buffer_store_dword v1, off, s[0:3], s32 offset:840 ; 4-byte Folded Spill
	v_or_b32_e32 v1, v14, v26
	v_fma_mixlo_f16 v14, v69, v109, 0 op_sel:[0,1,0] op_sel_hi:[0,1,0]
	v_fma_mixlo_f16 v73, v69, v1, 0 op_sel_hi:[0,1,0]
	buffer_load_dword v1, off, s[0:3], s32 offset:492 ; 4-byte Folded Reload
	s_waitcnt vmcnt(0)
	v_or_b32_e32 v1, v80, v1
	v_fma_mixlo_f16 v72, v69, v1, 0 op_sel_hi:[0,1,0]
	v_or_b32_e32 v1, v56, v115
	v_fma_mixlo_f16 v56, v69, v15, 0 op_sel:[0,1,0] op_sel_hi:[0,1,0]
	v_fma_mixlo_f16 v94, v69, v1, 0 op_sel_hi:[0,1,0]
	v_or_b32_e32 v1, v19, v81
	v_fma_mixlo_f16 v23, v69, v1, 0 op_sel_hi:[0,1,0]
	v_fma_mixlo_f16 v1, v69, v19, 0 op_sel:[0,1,0] op_sel_hi:[0,1,0]
	v_fma_mixlo_f16 v19, v69, v5, 0 op_sel:[0,1,0] op_sel_hi:[0,1,0]
	buffer_store_dword v1, off, s[0:3], s32 offset:492 ; 4-byte Folded Spill
	buffer_load_dword v1, off, s[0:3], s32 offset:480 ; 4-byte Folded Reload
	buffer_store_dword v3, off, s[0:3], s32 offset:480 ; 4-byte Folded Spill
	s_waitcnt vmcnt(0)
	v_or_b32_e32 v1, v48, v1
	v_fma_mixlo_f16 v88, v69, v1, 0 op_sel_hi:[0,1,0]
	buffer_load_dword v1, off, s[0:3], s32 offset:476 ; 4-byte Folded Reload
	s_waitcnt vmcnt(0)
	v_or_b32_e32 v1, v87, v1
	v_fma_mixlo_f16 v97, v69, v1, 0 op_sel_hi:[0,1,0]
	buffer_load_dword v1, off, s[0:3], s32 offset:484 ; 4-byte Folded Reload
	;; [unrolled: 4-line block ×3, first 2 shown]
	s_waitcnt vmcnt(0)
	v_or_b32_e32 v1, v0, v1
	buffer_load_dword v0, off, s[0:3], s32 offset:464 ; 4-byte Folded Reload
	v_fma_mixlo_f16 v43, v69, v1, 0 op_sel_hi:[0,1,0]
	v_fma_mixlo_f16 v1, v69, v7, 0 op_sel:[0,1,0] op_sel_hi:[0,1,0]
	buffer_store_dword v1, off, s[0:3], s32 offset:464 ; 4-byte Folded Spill
	s_waitcnt vmcnt(0)
	v_or_b32_e32 v0, v7, v0
	v_fma_mixlo_f16 v0, v69, v0, 0 op_sel_hi:[0,1,0]
	buffer_store_dword v0, off, s[0:3], s32 offset:476 ; 4-byte Folded Spill
	buffer_load_dword v0, off, s[0:3], s32 offset:460 ; 4-byte Folded Reload
	s_waitcnt vmcnt(0)
	v_or_b32_e32 v0, v78, v0
	v_fma_mixlo_f16 v107, v69, v0, 0 op_sel_hi:[0,1,0]
	buffer_load_dword v0, off, s[0:3], s32 offset:468 ; 4-byte Folded Reload
	s_waitcnt vmcnt(0)
	v_or_b32_e32 v0, v2, v0
	v_fma_mixlo_f16 v70, v69, v0, 0 op_sel_hi:[0,1,0]
	;; [unrolled: 4-line block ×11, first 2 shown]
	s_clause 0x1
	buffer_load_dword v0, off, s[0:3], s32 offset:408
	buffer_load_dword v1, off, s[0:3], s32 offset:416
	s_waitcnt vmcnt(0)
	v_or_b32_e32 v0, v1, v0
	v_fma_mixlo_f16 v66, v69, v1, 0 op_sel:[0,1,0] op_sel_hi:[0,1,0]
	buffer_load_dword v1, off, s[0:3], s32 offset:404 ; 4-byte Folded Reload
	v_fma_mixlo_f16 v100, v69, v0, 0 op_sel_hi:[0,1,0]
	s_waitcnt vmcnt(0)
	v_or_b32_e32 v0, v1, v63
	v_fma_mixlo_f16 v114, v69, v1, 0 op_sel:[0,1,0] op_sel_hi:[0,1,0]
	v_fma_mixlo_f16 v116, v69, v0, 0 op_sel_hi:[0,1,0]
	s_clause 0x1
	buffer_load_dword v0, off, s[0:3], s32 offset:412
	buffer_load_dword v1, off, s[0:3], s32 offset:424
	s_waitcnt vmcnt(0)
	v_or_b32_e32 v0, v1, v0
	v_fma_mixlo_f16 v108, v69, v1, 0 op_sel:[0,1,0] op_sel_hi:[0,1,0]
	v_fma_mixlo_f16 v123, v69, v0, 0 op_sel_hi:[0,1,0]
	buffer_load_dword v0, off, s[0:3], s32 offset:420 ; 4-byte Folded Reload
	s_waitcnt vmcnt(0)
	v_or_b32_e32 v0, v109, v0
	v_fma_mixlo_f16 v11, v69, v0, 0 op_sel_hi:[0,1,0]
	s_clause 0x1
	buffer_load_dword v0, off, s[0:3], s32 offset:384
	buffer_load_dword v1, off, s[0:3], s32 offset:392
	s_waitcnt vmcnt(0)
	v_or_b32_e32 v0, v1, v0
	v_fma_mixlo_f16 v117, v69, v1, 0 op_sel:[0,1,0] op_sel_hi:[0,1,0]
	v_fma_mixlo_f16 v119, v69, v0, 0 op_sel_hi:[0,1,0]
	s_clause 0x1
	buffer_load_dword v0, off, s[0:3], s32 offset:376
	buffer_load_dword v1, off, s[0:3], s32 offset:380
	s_waitcnt vmcnt(0)
	v_or_b32_e32 v0, v1, v0
	v_fma_mixlo_f16 v42, v69, v1, 0 op_sel:[0,1,0] op_sel_hi:[0,1,0]
	;; [unrolled: 7-line block ×24, first 2 shown]
	v_fma_mixlo_f16 v49, v69, v0, 0 op_sel_hi:[0,1,0]
	s_clause 0x1
	buffer_load_dword v1, off, s[0:3], s32 offset:216
	buffer_load_dword v0, off, s[0:3], s32 offset:220
	s_waitcnt vmcnt(1)
	v_fma_mixlo_f16 v71, v69, v1, 0 op_sel:[0,1,0] op_sel_hi:[0,1,0]
	s_waitcnt vmcnt(0)
	v_or_b32_e32 v0, v1, v0
	v_fma_mixlo_f16 v111, v69, v0, 0 op_sel_hi:[0,1,0]
	s_clause 0x1
	buffer_load_dword v1, off, s[0:3], s32 offset:208
	buffer_load_dword v0, off, s[0:3], s32 offset:212
	s_waitcnt vmcnt(1)
	v_fma_mixlo_f16 v87, v69, v1, 0 op_sel:[0,1,0] op_sel_hi:[0,1,0]
	s_waitcnt vmcnt(0)
	v_or_b32_e32 v0, v1, v0
	v_fma_mixlo_f16 v82, v69, v0, 0 op_sel_hi:[0,1,0]
	s_clause 0x1
	buffer_load_dword v0, off, s[0:3], s32 offset:228
	buffer_load_dword v1, off, s[0:3], s32 offset:232
	s_waitcnt vmcnt(0)
	v_or_b32_e32 v0, v1, v0
	v_fma_mixlo_f16 v65, v69, v1, 0 op_sel:[0,1,0] op_sel_hi:[0,1,0]
	v_fma_mixlo_f16 v41, v69, v0, 0 op_sel_hi:[0,1,0]
	s_clause 0x1
	buffer_load_dword v0, off, s[0:3], s32 offset:224
	buffer_load_dword v1, off, s[0:3], s32 offset:496
	s_load_dword s20, s[8:9], 0x0
	buffer_load_dword v2, off, s[0:3], s32 offset:880 ; 4-byte Folded Reload
	s_waitcnt vmcnt(1)
	v_or_b32_e32 v0, v1, v0
	v_fma_mixlo_f16 v5, v69, v1, 0 op_sel:[0,1,0] op_sel_hi:[0,1,0]
	buffer_load_dword v1, off, s[0:3], s32 offset:904 ; 4-byte Folded Reload
	v_fma_mixlo_f16 v52, v69, v0, 0 op_sel_hi:[0,1,0]
	buffer_load_dword v0, off, s[0:3], s32 offset:876 ; 4-byte Folded Reload
	s_waitcnt vmcnt(1)
	v_add_nc_u32_e32 v1, v1, v92
	s_waitcnt vmcnt(0)
	v_add_nc_u32_e32 v0, v0, v92
	v_cvt_f32_i32_e32 v1, v1
	v_cmp_lt_i32_e64 s5, v0, v32
	v_or_b32_e32 v0, v34, v122
	v_mul_f32_e32 v1, v2, v1
	v_fma_mixlo_f16 v2, v69, v34, 0 op_sel:[0,1,0] op_sel_hi:[0,1,0]
	v_fma_mixlo_f16 v0, v69, v0, 0 op_sel_hi:[0,1,0]
	v_cndmask_b32_e32 v9, 0, v1, vcc_lo
	buffer_store_dword v2, off, s[0:3], s32 offset:224 ; 4-byte Folded Spill
	v_fma_mixlo_f16 v2, v69, v28, 0 op_sel:[0,1,0] op_sel_hi:[0,1,0]
	buffer_store_dword v0, off, s[0:3], s32 offset:228 ; 4-byte Folded Spill
	v_or_b32_e32 v0, v28, v27
	buffer_store_dword v2, off, s[0:3], s32 offset:232 ; 4-byte Folded Spill
	v_fma_mixlo_f16 v2, v69, v95, 0 op_sel:[0,1,0] op_sel_hi:[0,1,0]
	v_fma_mixlo_f16 v0, v69, v0, 0 op_sel_hi:[0,1,0]
	buffer_store_dword v2, off, s[0:3], s32 offset:216 ; 4-byte Folded Spill
	buffer_store_dword v0, off, s[0:3], s32 offset:236 ; 4-byte Folded Spill
	v_or_b32_e32 v0, v95, v50
	v_fma_mixlo_f16 v0, v69, v0, 0 op_sel_hi:[0,1,0]
	buffer_store_dword v0, off, s[0:3], s32 offset:220 ; 4-byte Folded Spill
	v_or_b32_e32 v0, v24, v33
	v_fma_mixlo_f16 v0, v69, v0, 0 op_sel_hi:[0,1,0]
	v_fma_mixlo_f16 v69, v69, v24, 0 op_sel:[0,1,0] op_sel_hi:[0,1,0]
	buffer_store_dword v0, off, s[0:3], s32 offset:212 ; 4-byte Folded Spill
	s_waitcnt lgkmcnt(0)
	v_add_nc_u32_e32 v0, s20, v124
	buffer_store_dword v0, off, s[0:3], s32 offset:208 ; 4-byte Folded Spill
	ds_read_b128 v[0:3], v4
	s_waitcnt lgkmcnt(0)
	v_lshrrev_b32_e32 v24, 16, v0
	v_and_b32_e32 v0, 0xffff, v0
	;;#ASMSTART
	v_cvt_f32_f16 v98, v0;
	;;#ASMEND
	v_and_b32_e32 v0, 0xffff, v82
	;;#ASMSTART
	v_cvt_f32_f16 v122, v24;
	;;#ASMEND
	;;#ASMSTART
	v_cvt_f32_f16 v106, v0;
	;;#ASMEND
	v_and_b32_e32 v0, 0xffff, v87
	;;#ASMSTART
	v_cvt_f32_f16 v80, v0;
	;;#ASMEND
	v_lshrrev_b32_e32 v0, 16, v1
	v_and_b32_e32 v1, 0xffff, v1
	;;#ASMSTART
	v_cvt_f32_f16 v87, v1;
	;;#ASMEND
	;;#ASMSTART
	v_cvt_f32_f16 v82, v0;
	;;#ASMEND
	v_and_b32_e32 v0, 0xffff, v111
	;;#ASMSTART
	v_cvt_f32_f16 v95, v0;
	;;#ASMEND
	v_and_b32_e32 v0, 0xffff, v71
	;;#ASMSTART
	v_cvt_f32_f16 v71, v0;
	;;#ASMEND
	v_lshrrev_b32_e32 v0, 16, v2
	v_and_b32_e32 v1, 0xffff, v2
	;;#ASMSTART
	v_cvt_f32_f16 v34, v1;
	;;#ASMEND
	;;#ASMSTART
	v_cvt_f32_f16 v24, v0;
	;;#ASMEND
	v_and_b32_e32 v0, 0xffff, v41
	;; [unrolled: 16-line block ×3, first 2 shown]
	;;#ASMSTART
	v_cvt_f32_f16 v33, v0;
	;;#ASMEND
	v_and_b32_e32 v0, 0xffff, v5
	;;#ASMSTART
	v_cvt_f32_f16 v2, v0;
	;;#ASMEND
	ds_read_b128 v[101:104], v4 offset:16
	v_and_b32_e32 v3, 0xffff, v12
	v_and_b32_e32 v5, 0xffff, v8
	s_waitcnt lgkmcnt(0)
	v_lshrrev_b32_e32 v1, 16, v101
	v_and_b32_e32 v0, 0xffff, v101
	;;#ASMSTART
	v_cvt_f32_f16 v0, v0;
	;;#ASMEND
	;;#ASMSTART
	v_cvt_f32_f16 v1, v1;
	;;#ASMEND
	;;#ASMSTART
	v_cvt_f32_f16 v3, v3;
	;;#ASMEND
	;;#ASMSTART
	v_cvt_f32_f16 v5, v5;
	;;#ASMEND
	v_mul_f32_e32 v8, v0, v3
	v_mul_f32_e32 v12, v1, v5
	v_lshrrev_b32_e32 v1, 16, v102
	v_and_b32_e32 v0, 0xffff, v102
	v_and_b32_e32 v3, 0xffff, v20
	v_and_b32_e32 v5, 0xffff, v15
	;;#ASMSTART
	v_cvt_f32_f16 v0, v0;
	;;#ASMEND
	;;#ASMSTART
	v_cvt_f32_f16 v1, v1;
	;;#ASMEND
	;;#ASMSTART
	v_cvt_f32_f16 v3, v3;
	;;#ASMEND
	;;#ASMSTART
	v_cvt_f32_f16 v5, v5;
	;;#ASMEND
	v_mul_f32_e32 v20, v0, v3
	v_mul_f32_e32 v15, v1, v5
	v_lshrrev_b32_e32 v1, 16, v103
	v_and_b32_e32 v0, 0xffff, v103
	v_and_b32_e32 v3, 0xffff, v48
	;; [unrolled: 18-line block ×3, first 2 shown]
	v_and_b32_e32 v5, 0xffff, v68
	;;#ASMSTART
	v_cvt_f32_f16 v0, v0;
	;;#ASMEND
	;;#ASMSTART
	v_cvt_f32_f16 v1, v1;
	;;#ASMEND
	;; [unrolled: 3-line block ×4, first 2 shown]
	ds_read_b128 v[101:104], v4 offset:32
	v_mul_f32_e32 v49, v0, v3
	v_mul_f32_e32 v0, v1, v5
	v_fmac_f32_e32 v8, v98, v106
	v_fmac_f32_e32 v12, v122, v80
	;; [unrolled: 1-line block ×5, first 2 shown]
	v_and_b32_e32 v3, 0xffff, v7
	v_and_b32_e32 v5, 0xffff, v6
	v_fmac_f32_e32 v48, v34, v50
	v_fmac_f32_e32 v21, v24, v65
	;; [unrolled: 1-line block ×3, first 2 shown]
	s_waitcnt lgkmcnt(0)
	v_lshrrev_b32_e32 v2, 16, v101
	v_and_b32_e32 v1, 0xffff, v101
	;;#ASMSTART
	v_cvt_f32_f16 v1, v1;
	;;#ASMEND
	;;#ASMSTART
	v_cvt_f32_f16 v2, v2;
	;;#ASMEND
	;;#ASMSTART
	v_cvt_f32_f16 v3, v3;
	;;#ASMEND
	;;#ASMSTART
	v_cvt_f32_f16 v5, v5;
	;;#ASMEND
	v_fmac_f32_e32 v8, v1, v3
	v_fmac_f32_e32 v12, v2, v5
	v_lshrrev_b32_e32 v2, 16, v102
	v_and_b32_e32 v1, 0xffff, v102
	v_and_b32_e32 v3, 0xffff, v40
	v_and_b32_e32 v5, 0xffff, v67
	;;#ASMSTART
	v_cvt_f32_f16 v1, v1;
	;;#ASMEND
	;;#ASMSTART
	v_cvt_f32_f16 v2, v2;
	;;#ASMEND
	;;#ASMSTART
	v_cvt_f32_f16 v3, v3;
	;;#ASMEND
	;;#ASMSTART
	v_cvt_f32_f16 v5, v5;
	;;#ASMEND
	v_fmac_f32_e32 v20, v1, v3
	v_fmac_f32_e32 v15, v2, v5
	v_lshrrev_b32_e32 v2, 16, v103
	v_and_b32_e32 v1, 0xffff, v103
	v_and_b32_e32 v3, 0xffff, v78
	;; [unrolled: 18-line block ×3, first 2 shown]
	v_and_b32_e32 v5, 0xffff, v51
	;;#ASMSTART
	v_cvt_f32_f16 v1, v1;
	;;#ASMEND
	;;#ASMSTART
	v_cvt_f32_f16 v2, v2;
	;;#ASMEND
	;; [unrolled: 3-line block ×4, first 2 shown]
	ds_read_b128 v[101:104], v4 offset:48
	v_fmac_f32_e32 v49, v1, v3
	v_fmac_f32_e32 v0, v2, v5
	v_and_b32_e32 v3, 0xffff, v86
	v_and_b32_e32 v5, 0xffff, v83
	s_waitcnt lgkmcnt(0)
	v_lshrrev_b32_e32 v2, 16, v101
	v_and_b32_e32 v1, 0xffff, v101
	;;#ASMSTART
	v_cvt_f32_f16 v1, v1;
	;;#ASMEND
	;;#ASMSTART
	v_cvt_f32_f16 v2, v2;
	;;#ASMEND
	;;#ASMSTART
	v_cvt_f32_f16 v3, v3;
	;;#ASMEND
	;;#ASMSTART
	v_cvt_f32_f16 v5, v5;
	;;#ASMEND
	v_fmac_f32_e32 v8, v1, v3
	v_fmac_f32_e32 v12, v2, v5
	v_lshrrev_b32_e32 v2, 16, v102
	v_and_b32_e32 v1, 0xffff, v102
	v_and_b32_e32 v3, 0xffff, v18
	v_and_b32_e32 v5, 0xffff, v81
	;;#ASMSTART
	v_cvt_f32_f16 v1, v1;
	;;#ASMEND
	;;#ASMSTART
	v_cvt_f32_f16 v2, v2;
	;;#ASMEND
	;;#ASMSTART
	v_cvt_f32_f16 v3, v3;
	;;#ASMEND
	;;#ASMSTART
	v_cvt_f32_f16 v5, v5;
	;;#ASMEND
	v_fmac_f32_e32 v20, v1, v3
	v_fmac_f32_e32 v15, v2, v5
	v_lshrrev_b32_e32 v2, 16, v103
	v_and_b32_e32 v1, 0xffff, v103
	v_and_b32_e32 v3, 0xffff, v13
	;; [unrolled: 18-line block ×3, first 2 shown]
	v_and_b32_e32 v5, 0xffff, v112
	;;#ASMSTART
	v_cvt_f32_f16 v1, v1;
	;;#ASMEND
	;;#ASMSTART
	v_cvt_f32_f16 v2, v2;
	;;#ASMEND
	;; [unrolled: 3-line block ×4, first 2 shown]
	ds_read_b128 v[80:83], v4 offset:64
	v_fmac_f32_e32 v49, v1, v3
	v_fmac_f32_e32 v0, v2, v5
	v_and_b32_e32 v3, 0xffff, v76
	v_and_b32_e32 v5, 0xffff, v74
	s_waitcnt lgkmcnt(0)
	v_lshrrev_b32_e32 v2, 16, v80
	v_and_b32_e32 v1, 0xffff, v80
	;;#ASMSTART
	v_cvt_f32_f16 v1, v1;
	;;#ASMEND
	;;#ASMSTART
	v_cvt_f32_f16 v2, v2;
	;;#ASMEND
	;;#ASMSTART
	v_cvt_f32_f16 v3, v3;
	;;#ASMEND
	;;#ASMSTART
	v_cvt_f32_f16 v5, v5;
	;;#ASMEND
	v_fmac_f32_e32 v8, v1, v3
	v_fmac_f32_e32 v12, v2, v5
	v_lshrrev_b32_e32 v2, 16, v81
	v_and_b32_e32 v1, 0xffff, v81
	v_and_b32_e32 v3, 0xffff, v53
	v_and_b32_e32 v5, 0xffff, v10
	;;#ASMSTART
	v_cvt_f32_f16 v1, v1;
	;;#ASMEND
	;;#ASMSTART
	v_cvt_f32_f16 v2, v2;
	;;#ASMEND
	;;#ASMSTART
	v_cvt_f32_f16 v3, v3;
	;;#ASMEND
	;;#ASMSTART
	v_cvt_f32_f16 v5, v5;
	;;#ASMEND
	v_fmac_f32_e32 v20, v1, v3
	v_fmac_f32_e32 v15, v2, v5
	v_lshrrev_b32_e32 v2, 16, v82
	v_and_b32_e32 v1, 0xffff, v82
	v_and_b32_e32 v3, 0xffff, v39
	;; [unrolled: 18-line block ×3, first 2 shown]
	v_and_b32_e32 v5, 0xffff, v60
	;;#ASMSTART
	v_cvt_f32_f16 v1, v1;
	;;#ASMEND
	;;#ASMSTART
	v_cvt_f32_f16 v2, v2;
	;;#ASMEND
	;; [unrolled: 3-line block ×4, first 2 shown]
	ds_read_b128 v[50:53], v4 offset:80
	v_fmac_f32_e32 v49, v1, v3
	v_fmac_f32_e32 v0, v2, v5
	v_and_b32_e32 v3, 0xffff, v58
	v_and_b32_e32 v5, 0xffff, v47
	s_waitcnt lgkmcnt(0)
	v_lshrrev_b32_e32 v2, 16, v50
	v_and_b32_e32 v1, 0xffff, v50
	;;#ASMSTART
	v_cvt_f32_f16 v1, v1;
	;;#ASMEND
	;;#ASMSTART
	v_cvt_f32_f16 v2, v2;
	;;#ASMEND
	;;#ASMSTART
	v_cvt_f32_f16 v3, v3;
	;;#ASMEND
	;;#ASMSTART
	v_cvt_f32_f16 v5, v5;
	;;#ASMEND
	v_fmac_f32_e32 v8, v1, v3
	v_fmac_f32_e32 v12, v2, v5
	v_lshrrev_b32_e32 v2, 16, v51
	v_and_b32_e32 v1, 0xffff, v51
	v_and_b32_e32 v3, 0xffff, v91
	v_and_b32_e32 v5, 0xffff, v89
	;;#ASMSTART
	v_cvt_f32_f16 v1, v1;
	;;#ASMEND
	;;#ASMSTART
	v_cvt_f32_f16 v2, v2;
	;;#ASMEND
	;;#ASMSTART
	v_cvt_f32_f16 v3, v3;
	;;#ASMEND
	;;#ASMSTART
	v_cvt_f32_f16 v5, v5;
	;;#ASMEND
	v_fmac_f32_e32 v20, v1, v3
	v_fmac_f32_e32 v15, v2, v5
	v_lshrrev_b32_e32 v2, 16, v52
	v_and_b32_e32 v1, 0xffff, v52
	v_and_b32_e32 v3, 0xffff, v45
	;; [unrolled: 18-line block ×3, first 2 shown]
	v_and_b32_e32 v5, 0xffff, v77
	;;#ASMSTART
	v_cvt_f32_f16 v1, v1;
	;;#ASMEND
	;;#ASMSTART
	v_cvt_f32_f16 v2, v2;
	;;#ASMEND
	;; [unrolled: 3-line block ×4, first 2 shown]
	ds_read_b128 v[50:53], v4 offset:96
	v_fmac_f32_e32 v49, v1, v3
	v_fmac_f32_e32 v0, v2, v5
	v_and_b32_e32 v3, 0xffff, v44
	v_and_b32_e32 v5, 0xffff, v42
	s_waitcnt lgkmcnt(0)
	v_lshrrev_b32_e32 v2, 16, v50
	v_and_b32_e32 v1, 0xffff, v50
	;;#ASMSTART
	v_cvt_f32_f16 v1, v1;
	;;#ASMEND
	;;#ASMSTART
	v_cvt_f32_f16 v2, v2;
	;;#ASMEND
	;;#ASMSTART
	v_cvt_f32_f16 v3, v3;
	;;#ASMEND
	;;#ASMSTART
	v_cvt_f32_f16 v5, v5;
	;;#ASMEND
	v_fmac_f32_e32 v8, v1, v3
	v_fmac_f32_e32 v12, v2, v5
	v_lshrrev_b32_e32 v2, 16, v51
	v_and_b32_e32 v1, 0xffff, v51
	v_and_b32_e32 v3, 0xffff, v119
	v_and_b32_e32 v5, 0xffff, v117
	;;#ASMSTART
	v_cvt_f32_f16 v1, v1;
	;;#ASMEND
	;;#ASMSTART
	v_cvt_f32_f16 v2, v2;
	;;#ASMEND
	;;#ASMSTART
	v_cvt_f32_f16 v3, v3;
	;;#ASMEND
	;;#ASMSTART
	v_cvt_f32_f16 v5, v5;
	;;#ASMEND
	v_fmac_f32_e32 v20, v1, v3
	v_fmac_f32_e32 v15, v2, v5
	v_lshrrev_b32_e32 v2, 16, v52
	v_and_b32_e32 v1, 0xffff, v52
	v_and_b32_e32 v3, 0xffff, v109
	v_and_b32_e32 v5, 0xffff, v22
	;;#ASMSTART
	v_cvt_f32_f16 v1, v1;
	;;#ASMEND
	;;#ASMSTART
	v_cvt_f32_f16 v2, v2;
	;;#ASMEND
	;;#ASMSTART
	v_cvt_f32_f16 v3, v3;
	;;#ASMEND
	;;#ASMSTART
	v_cvt_f32_f16 v5, v5;
	;;#ASMEND
	v_fmac_f32_e32 v48, v1, v3
	v_fmac_f32_e32 v21, v2, v5
	v_lshrrev_b32_e32 v2, 16, v53
	v_and_b32_e32 v1, 0xffff, v53
	v_and_b32_e32 v3, 0xffff, v90
	v_and_b32_e32 v5, 0xffff, v79
	;;#ASMSTART
	v_cvt_f32_f16 v1, v1;
	;;#ASMEND
	;;#ASMSTART
	v_cvt_f32_f16 v2, v2;
	;;#ASMEND
	;; [unrolled: 3-line block ×4, first 2 shown]
	ds_read_b128 v[50:53], v4 offset:112
	v_fmac_f32_e32 v49, v1, v3
	v_fmac_f32_e32 v0, v2, v5
	v_and_b32_e32 v3, 0xffff, v116
	v_and_b32_e32 v5, 0xffff, v114
	s_waitcnt lgkmcnt(0)
	v_lshrrev_b32_e32 v2, 16, v50
	v_and_b32_e32 v1, 0xffff, v50
	;;#ASMSTART
	v_cvt_f32_f16 v1, v1;
	;;#ASMEND
	;;#ASMSTART
	v_cvt_f32_f16 v2, v2;
	;;#ASMEND
	;;#ASMSTART
	v_cvt_f32_f16 v3, v3;
	;;#ASMEND
	;;#ASMSTART
	v_cvt_f32_f16 v5, v5;
	;;#ASMEND
	v_fmac_f32_e32 v8, v1, v3
	v_fmac_f32_e32 v12, v2, v5
	v_lshrrev_b32_e32 v2, 16, v51
	v_and_b32_e32 v1, 0xffff, v51
	v_and_b32_e32 v3, 0xffff, v100
	v_and_b32_e32 v5, 0xffff, v66
	;;#ASMSTART
	v_cvt_f32_f16 v1, v1;
	;;#ASMEND
	;;#ASMSTART
	v_cvt_f32_f16 v2, v2;
	;;#ASMEND
	;;#ASMSTART
	v_cvt_f32_f16 v3, v3;
	;;#ASMEND
	;;#ASMSTART
	v_cvt_f32_f16 v5, v5;
	;;#ASMEND
	v_fmac_f32_e32 v20, v1, v3
	v_fmac_f32_e32 v15, v2, v5
	v_lshrrev_b32_e32 v2, 16, v52
	v_and_b32_e32 v1, 0xffff, v52
	v_and_b32_e32 v3, 0xffff, v123
	;; [unrolled: 18-line block ×3, first 2 shown]
	v_and_b32_e32 v5, 0xffff, v14
	;;#ASMSTART
	v_cvt_f32_f16 v1, v1;
	;;#ASMEND
	;;#ASMSTART
	v_cvt_f32_f16 v2, v2;
	;;#ASMEND
	;; [unrolled: 3-line block ×4, first 2 shown]
	ds_read_b128 v[50:53], v4 offset:128
	v_fmac_f32_e32 v49, v1, v3
	v_fmac_f32_e32 v0, v2, v5
	v_and_b32_e32 v3, 0xffff, v59
	v_and_b32_e32 v5, 0xffff, v57
	s_waitcnt lgkmcnt(0)
	v_lshrrev_b32_e32 v2, 16, v50
	v_and_b32_e32 v1, 0xffff, v50
	;;#ASMSTART
	v_cvt_f32_f16 v1, v1;
	;;#ASMEND
	;;#ASMSTART
	v_cvt_f32_f16 v2, v2;
	;;#ASMEND
	;;#ASMSTART
	v_cvt_f32_f16 v3, v3;
	;;#ASMEND
	;;#ASMSTART
	v_cvt_f32_f16 v5, v5;
	;;#ASMEND
	v_fmac_f32_e32 v8, v1, v3
	v_fmac_f32_e32 v12, v2, v5
	v_lshrrev_b32_e32 v2, 16, v51
	v_and_b32_e32 v1, 0xffff, v51
	v_and_b32_e32 v3, 0xffff, v46
	v_and_b32_e32 v5, 0xffff, v19
	;;#ASMSTART
	v_cvt_f32_f16 v1, v1;
	;;#ASMEND
	;;#ASMSTART
	v_cvt_f32_f16 v2, v2;
	;;#ASMEND
	;;#ASMSTART
	v_cvt_f32_f16 v3, v3;
	;;#ASMEND
	;;#ASMSTART
	v_cvt_f32_f16 v5, v5;
	;;#ASMEND
	v_fmac_f32_e32 v20, v1, v3
	v_fmac_f32_e32 v15, v2, v5
	v_lshrrev_b32_e32 v2, 16, v52
	v_and_b32_e32 v1, 0xffff, v52
	v_and_b32_e32 v3, 0xffff, v121
	;; [unrolled: 18-line block ×3, first 2 shown]
	v_and_b32_e32 v5, 0xffff, v110
	;;#ASMSTART
	v_cvt_f32_f16 v1, v1;
	;;#ASMEND
	;;#ASMSTART
	v_cvt_f32_f16 v2, v2;
	;;#ASMEND
	;; [unrolled: 3-line block ×4, first 2 shown]
	ds_read_b128 v[24:27], v4 offset:144
	v_fmac_f32_e32 v49, v1, v3
	v_fmac_f32_e32 v0, v2, v5
	v_and_b32_e32 v3, 0xffff, v29
	v_and_b32_e32 v5, 0xffff, v30
	s_waitcnt lgkmcnt(0)
	v_lshrrev_b32_e32 v2, 16, v24
	v_and_b32_e32 v1, 0xffff, v24
	;;#ASMSTART
	v_cvt_f32_f16 v1, v1;
	;;#ASMEND
	;;#ASMSTART
	v_cvt_f32_f16 v2, v2;
	;;#ASMEND
	;;#ASMSTART
	v_cvt_f32_f16 v3, v3;
	;;#ASMEND
	;;#ASMSTART
	v_cvt_f32_f16 v5, v5;
	;;#ASMEND
	v_fmac_f32_e32 v8, v1, v3
	v_fmac_f32_e32 v12, v2, v5
	v_lshrrev_b32_e32 v2, 16, v25
	v_and_b32_e32 v1, 0xffff, v25
	v_and_b32_e32 v3, 0xffff, v31
	v_and_b32_e32 v5, 0xffff, v36
	;;#ASMSTART
	v_cvt_f32_f16 v1, v1;
	;;#ASMEND
	;;#ASMSTART
	v_cvt_f32_f16 v2, v2;
	;;#ASMEND
	;;#ASMSTART
	v_cvt_f32_f16 v3, v3;
	;;#ASMEND
	;;#ASMSTART
	v_cvt_f32_f16 v5, v5;
	;;#ASMEND
	v_fmac_f32_e32 v20, v1, v3
	v_fmac_f32_e32 v15, v2, v5
	v_lshrrev_b32_e32 v2, 16, v26
	v_and_b32_e32 v1, 0xffff, v26
	v_and_b32_e32 v3, 0xffff, v37
	;; [unrolled: 18-line block ×3, first 2 shown]
	v_and_b32_e32 v5, 0xffff, v56
	;;#ASMSTART
	v_cvt_f32_f16 v1, v1;
	;;#ASMEND
	;;#ASMSTART
	v_cvt_f32_f16 v2, v2;
	;;#ASMEND
	;; [unrolled: 3-line block ×4, first 2 shown]
	ds_read_b128 v[24:27], v4 offset:160
	v_fmac_f32_e32 v49, v1, v3
	v_fmac_f32_e32 v0, v2, v5
	v_and_b32_e32 v3, 0xffff, v107
	v_and_b32_e32 v5, 0xffff, v64
	s_waitcnt lgkmcnt(0)
	v_lshrrev_b32_e32 v2, 16, v24
	v_and_b32_e32 v1, 0xffff, v24
	;;#ASMSTART
	v_cvt_f32_f16 v1, v1;
	;;#ASMEND
	;;#ASMSTART
	v_cvt_f32_f16 v2, v2;
	;;#ASMEND
	;; [unrolled: 3-line block ×4, first 2 shown]
	v_fmac_f32_e32 v8, v1, v3
	v_fmac_f32_e32 v12, v2, v5
	v_lshrrev_b32_e32 v2, 16, v25
	v_and_b32_e32 v1, 0xffff, v25
	;;#ASMSTART
	v_cvt_f32_f16 v1, v1;
	;;#ASMEND
	;;#ASMSTART
	v_cvt_f32_f16 v2, v2;
	;;#ASMEND
	buffer_load_dword v3, off, s[0:3], s32 offset:476 ; 4-byte Folded Reload
	s_waitcnt vmcnt(0)
	v_and_b32_e32 v3, 0xffff, v3
	;;#ASMSTART
	v_cvt_f32_f16 v3, v3;
	;;#ASMEND
	buffer_load_dword v5, off, s[0:3], s32 offset:464 ; 4-byte Folded Reload
	v_fmac_f32_e32 v20, v1, v3
	v_and_b32_e32 v1, 0xffff, v26
	v_and_b32_e32 v3, 0xffff, v70
	s_waitcnt vmcnt(0)
	v_and_b32_e32 v5, 0xffff, v5
	;;#ASMSTART
	v_cvt_f32_f16 v5, v5;
	;;#ASMEND
	v_fmac_f32_e32 v15, v2, v5
	v_lshrrev_b32_e32 v2, 16, v26
	v_and_b32_e32 v5, 0xffff, v84
	;;#ASMSTART
	v_cvt_f32_f16 v1, v1;
	;;#ASMEND
	;;#ASMSTART
	v_cvt_f32_f16 v2, v2;
	;;#ASMEND
	;; [unrolled: 3-line block ×4, first 2 shown]
	v_fmac_f32_e32 v48, v1, v3
	v_fmac_f32_e32 v21, v2, v5
	v_lshrrev_b32_e32 v2, 16, v27
	v_and_b32_e32 v1, 0xffff, v27
	v_and_b32_e32 v3, 0xffff, v85
	;; [unrolled: 1-line block ×3, first 2 shown]
	;;#ASMSTART
	v_cvt_f32_f16 v1, v1;
	;;#ASMEND
	;;#ASMSTART
	v_cvt_f32_f16 v2, v2;
	;;#ASMEND
	;; [unrolled: 3-line block ×4, first 2 shown]
	ds_read_b128 v[24:27], v4 offset:176
	v_fmac_f32_e32 v49, v1, v3
	v_fmac_f32_e32 v0, v2, v5
	v_and_b32_e32 v3, 0xffff, v97
	v_and_b32_e32 v5, 0xffff, v99
	s_waitcnt lgkmcnt(0)
	v_lshrrev_b32_e32 v2, 16, v24
	v_and_b32_e32 v1, 0xffff, v24
	;;#ASMSTART
	v_cvt_f32_f16 v1, v1;
	;;#ASMEND
	;;#ASMSTART
	v_cvt_f32_f16 v2, v2;
	;;#ASMEND
	;;#ASMSTART
	v_cvt_f32_f16 v3, v3;
	;;#ASMEND
	;;#ASMSTART
	v_cvt_f32_f16 v5, v5;
	;;#ASMEND
	v_fmac_f32_e32 v8, v1, v3
	v_fmac_f32_e32 v12, v2, v5
	v_lshrrev_b32_e32 v2, 16, v25
	v_and_b32_e32 v1, 0xffff, v25
	v_and_b32_e32 v3, 0xffff, v88
	;;#ASMSTART
	v_cvt_f32_f16 v1, v1;
	;;#ASMEND
	;;#ASMSTART
	v_cvt_f32_f16 v2, v2;
	;;#ASMEND
	;;#ASMSTART
	v_cvt_f32_f16 v3, v3;
	;;#ASMEND
	buffer_load_dword v5, off, s[0:3], s32 offset:480 ; 4-byte Folded Reload
	v_fmac_f32_e32 v20, v1, v3
	v_and_b32_e32 v1, 0xffff, v26
	v_and_b32_e32 v3, 0xffff, v113
	s_waitcnt vmcnt(0)
	v_and_b32_e32 v5, 0xffff, v5
	;;#ASMSTART
	v_cvt_f32_f16 v5, v5;
	;;#ASMEND
	v_fmac_f32_e32 v15, v2, v5
	v_lshrrev_b32_e32 v2, 16, v26
	v_and_b32_e32 v5, 0xffff, v118
	;;#ASMSTART
	v_cvt_f32_f16 v1, v1;
	;;#ASMEND
	;;#ASMSTART
	v_cvt_f32_f16 v2, v2;
	;;#ASMEND
	;;#ASMSTART
	v_cvt_f32_f16 v3, v3;
	;;#ASMEND
	;;#ASMSTART
	v_cvt_f32_f16 v5, v5;
	;;#ASMEND
	v_fmac_f32_e32 v48, v1, v3
	v_fmac_f32_e32 v21, v2, v5
	v_lshrrev_b32_e32 v2, 16, v27
	v_and_b32_e32 v1, 0xffff, v27
	v_and_b32_e32 v3, 0xffff, v43
	;; [unrolled: 1-line block ×3, first 2 shown]
	;;#ASMSTART
	v_cvt_f32_f16 v1, v1;
	;;#ASMEND
	;;#ASMSTART
	v_cvt_f32_f16 v2, v2;
	;;#ASMEND
	;; [unrolled: 3-line block ×4, first 2 shown]
	ds_read_b128 v[24:27], v4 offset:192
	v_fmac_f32_e32 v49, v1, v3
	v_fmac_f32_e32 v0, v2, v5
	v_and_b32_e32 v3, 0xffff, v72
	s_waitcnt lgkmcnt(0)
	v_lshrrev_b32_e32 v2, 16, v24
	v_and_b32_e32 v1, 0xffff, v24
	;;#ASMSTART
	v_cvt_f32_f16 v1, v1;
	;;#ASMEND
	;;#ASMSTART
	v_cvt_f32_f16 v2, v2;
	;;#ASMEND
	;; [unrolled: 3-line block ×3, first 2 shown]
	buffer_load_dword v5, off, s[0:3], s32 offset:872 ; 4-byte Folded Reload
	v_fmac_f32_e32 v8, v1, v3
	v_and_b32_e32 v1, 0xffff, v25
	v_and_b32_e32 v3, 0xffff, v73
	s_waitcnt vmcnt(0)
	v_and_b32_e32 v5, 0xffff, v5
	;;#ASMSTART
	v_cvt_f32_f16 v5, v5;
	;;#ASMEND
	v_fmac_f32_e32 v12, v2, v5
	v_lshrrev_b32_e32 v2, 16, v25
	;;#ASMSTART
	v_cvt_f32_f16 v1, v1;
	;;#ASMEND
	;;#ASMSTART
	v_cvt_f32_f16 v2, v2;
	;;#ASMEND
	;; [unrolled: 3-line block ×3, first 2 shown]
	v_and_b32_e32 v5, 0xffff, v75
	;;#ASMSTART
	v_cvt_f32_f16 v5, v5;
	;;#ASMEND
	v_fmac_f32_e32 v20, v1, v3
	v_fmac_f32_e32 v15, v2, v5
	v_lshrrev_b32_e32 v2, 16, v26
	v_and_b32_e32 v1, 0xffff, v26
	v_and_b32_e32 v3, 0xffff, v94
	;;#ASMSTART
	v_cvt_f32_f16 v1, v1;
	;;#ASMEND
	;;#ASMSTART
	v_cvt_f32_f16 v2, v2;
	;;#ASMEND
	;; [unrolled: 3-line block ×3, first 2 shown]
	v_and_b32_e32 v5, 0xffff, v105
	;;#ASMSTART
	v_cvt_f32_f16 v5, v5;
	;;#ASMEND
	v_fmac_f32_e32 v48, v1, v3
	v_fmac_f32_e32 v21, v2, v5
	v_lshrrev_b32_e32 v2, 16, v27
	v_and_b32_e32 v1, 0xffff, v27
	v_and_b32_e32 v3, 0xffff, v23
	;;#ASMSTART
	v_cvt_f32_f16 v1, v1;
	;;#ASMEND
	;;#ASMSTART
	v_cvt_f32_f16 v2, v2;
	;;#ASMEND
	;; [unrolled: 3-line block ×3, first 2 shown]
	buffer_load_dword v5, off, s[0:3], s32 offset:492 ; 4-byte Folded Reload
	v_fmac_f32_e32 v49, v1, v3
	s_waitcnt vmcnt(0)
	v_and_b32_e32 v5, 0xffff, v5
	;;#ASMSTART
	v_cvt_f32_f16 v5, v5;
	;;#ASMEND
	ds_read_b128 v[22:25], v4 offset:208
	v_fmac_f32_e32 v0, v2, v5
	s_waitcnt lgkmcnt(0)
	v_lshrrev_b32_e32 v2, 16, v22
	v_and_b32_e32 v1, 0xffff, v22
	;;#ASMSTART
	v_cvt_f32_f16 v1, v1;
	;;#ASMEND
	;;#ASMSTART
	v_cvt_f32_f16 v2, v2;
	;;#ASMEND
	buffer_load_dword v3, off, s[0:3], s32 offset:868 ; 4-byte Folded Reload
	s_waitcnt vmcnt(0)
	v_and_b32_e32 v3, 0xffff, v3
	;;#ASMSTART
	v_cvt_f32_f16 v3, v3;
	;;#ASMEND
	buffer_load_dword v5, off, s[0:3], s32 offset:864 ; 4-byte Folded Reload
	v_fmac_f32_e32 v8, v1, v3
	v_and_b32_e32 v1, 0xffff, v23
	s_waitcnt vmcnt(0)
	v_and_b32_e32 v5, 0xffff, v5
	;;#ASMSTART
	v_cvt_f32_f16 v5, v5;
	;;#ASMEND
	v_fmac_f32_e32 v12, v2, v5
	v_lshrrev_b32_e32 v2, 16, v23
	;;#ASMSTART
	v_cvt_f32_f16 v1, v1;
	;;#ASMEND
	;;#ASMSTART
	v_cvt_f32_f16 v2, v2;
	;;#ASMEND
	buffer_load_dword v3, off, s[0:3], s32 offset:860 ; 4-byte Folded Reload
	s_waitcnt vmcnt(0)
	v_and_b32_e32 v3, 0xffff, v3
	;;#ASMSTART
	v_cvt_f32_f16 v3, v3;
	;;#ASMEND
	buffer_load_dword v5, off, s[0:3], s32 offset:856 ; 4-byte Folded Reload
	v_fmac_f32_e32 v20, v1, v3
	v_and_b32_e32 v1, 0xffff, v24
	s_waitcnt vmcnt(0)
	v_and_b32_e32 v5, 0xffff, v5
	;;#ASMSTART
	v_cvt_f32_f16 v5, v5;
	;;#ASMEND
	v_fmac_f32_e32 v15, v2, v5
	v_lshrrev_b32_e32 v2, 16, v24
	;; [unrolled: 22-line block ×3, first 2 shown]
	;;#ASMSTART
	v_cvt_f32_f16 v1, v1;
	;;#ASMEND
	;;#ASMSTART
	v_cvt_f32_f16 v2, v2;
	;;#ASMEND
	buffer_load_dword v3, off, s[0:3], s32 offset:844 ; 4-byte Folded Reload
	s_waitcnt vmcnt(0)
	v_and_b32_e32 v3, 0xffff, v3
	;;#ASMSTART
	v_cvt_f32_f16 v3, v3;
	;;#ASMEND
	buffer_load_dword v5, off, s[0:3], s32 offset:840 ; 4-byte Folded Reload
	v_fmac_f32_e32 v49, v1, v3
	s_waitcnt vmcnt(0)
	v_and_b32_e32 v5, 0xffff, v5
	;;#ASMSTART
	v_cvt_f32_f16 v5, v5;
	;;#ASMEND
	ds_read_b128 v[22:25], v4 offset:224
	v_fmac_f32_e32 v0, v2, v5
	s_waitcnt lgkmcnt(0)
	v_lshrrev_b32_e32 v2, 16, v22
	v_and_b32_e32 v1, 0xffff, v22
	;;#ASMSTART
	v_cvt_f32_f16 v1, v1;
	;;#ASMEND
	;;#ASMSTART
	v_cvt_f32_f16 v2, v2;
	;;#ASMEND
	buffer_load_dword v3, off, s[0:3], s32 offset:836 ; 4-byte Folded Reload
	s_waitcnt vmcnt(0)
	v_and_b32_e32 v3, 0xffff, v3
	;;#ASMSTART
	v_cvt_f32_f16 v3, v3;
	;;#ASMEND
	buffer_load_dword v5, off, s[0:3], s32 offset:832 ; 4-byte Folded Reload
	v_fmac_f32_e32 v8, v1, v3
	v_and_b32_e32 v1, 0xffff, v23
	s_waitcnt vmcnt(0)
	v_and_b32_e32 v5, 0xffff, v5
	;;#ASMSTART
	v_cvt_f32_f16 v5, v5;
	;;#ASMEND
	v_fmac_f32_e32 v12, v2, v5
	v_lshrrev_b32_e32 v2, 16, v23
	;;#ASMSTART
	v_cvt_f32_f16 v1, v1;
	;;#ASMEND
	;;#ASMSTART
	v_cvt_f32_f16 v2, v2;
	;;#ASMEND
	buffer_load_dword v3, off, s[0:3], s32 offset:828 ; 4-byte Folded Reload
	s_waitcnt vmcnt(0)
	v_and_b32_e32 v3, 0xffff, v3
	;;#ASMSTART
	v_cvt_f32_f16 v3, v3;
	;;#ASMEND
	buffer_load_dword v5, off, s[0:3], s32 offset:824 ; 4-byte Folded Reload
	v_fmac_f32_e32 v20, v1, v3
	v_and_b32_e32 v1, 0xffff, v24
	s_waitcnt vmcnt(0)
	v_and_b32_e32 v5, 0xffff, v5
	;;#ASMSTART
	v_cvt_f32_f16 v5, v5;
	;;#ASMEND
	v_fmac_f32_e32 v15, v2, v5
	v_lshrrev_b32_e32 v2, 16, v24
	;; [unrolled: 22-line block ×3, first 2 shown]
	;;#ASMSTART
	v_cvt_f32_f16 v1, v1;
	;;#ASMEND
	;;#ASMSTART
	v_cvt_f32_f16 v2, v2;
	;;#ASMEND
	buffer_load_dword v3, off, s[0:3], s32 offset:812 ; 4-byte Folded Reload
	s_waitcnt vmcnt(0)
	v_and_b32_e32 v3, 0xffff, v3
	;;#ASMSTART
	v_cvt_f32_f16 v3, v3;
	;;#ASMEND
	buffer_load_dword v5, off, s[0:3], s32 offset:808 ; 4-byte Folded Reload
	v_fmac_f32_e32 v49, v1, v3
	s_waitcnt vmcnt(0)
	v_and_b32_e32 v5, 0xffff, v5
	;;#ASMSTART
	v_cvt_f32_f16 v5, v5;
	;;#ASMEND
	ds_read_b128 v[22:25], v4 offset:240
	v_fmac_f32_e32 v0, v2, v5
	s_waitcnt lgkmcnt(0)
	v_lshrrev_b32_e32 v2, 16, v22
	v_and_b32_e32 v1, 0xffff, v22
	;;#ASMSTART
	v_cvt_f32_f16 v1, v1;
	;;#ASMEND
	;;#ASMSTART
	v_cvt_f32_f16 v2, v2;
	;;#ASMEND
	buffer_load_dword v3, off, s[0:3], s32 offset:804 ; 4-byte Folded Reload
	s_waitcnt vmcnt(0)
	v_and_b32_e32 v3, 0xffff, v3
	;;#ASMSTART
	v_cvt_f32_f16 v3, v3;
	;;#ASMEND
	buffer_load_dword v5, off, s[0:3], s32 offset:800 ; 4-byte Folded Reload
	v_fmac_f32_e32 v8, v1, v3
	v_and_b32_e32 v1, 0xffff, v23
	s_waitcnt vmcnt(0)
	v_and_b32_e32 v5, 0xffff, v5
	;;#ASMSTART
	v_cvt_f32_f16 v5, v5;
	;;#ASMEND
	v_fmac_f32_e32 v12, v2, v5
	v_lshrrev_b32_e32 v2, 16, v23
	;;#ASMSTART
	v_cvt_f32_f16 v1, v1;
	;;#ASMEND
	;;#ASMSTART
	v_cvt_f32_f16 v2, v2;
	;;#ASMEND
	buffer_load_dword v3, off, s[0:3], s32 offset:796 ; 4-byte Folded Reload
	s_waitcnt vmcnt(0)
	v_and_b32_e32 v3, 0xffff, v3
	;;#ASMSTART
	v_cvt_f32_f16 v3, v3;
	;;#ASMEND
	buffer_load_dword v5, off, s[0:3], s32 offset:792 ; 4-byte Folded Reload
	v_fmac_f32_e32 v20, v1, v3
	v_and_b32_e32 v1, 0xffff, v24
	s_waitcnt vmcnt(0)
	v_and_b32_e32 v5, 0xffff, v5
	;;#ASMSTART
	v_cvt_f32_f16 v5, v5;
	;;#ASMEND
	v_fmac_f32_e32 v15, v2, v5
	v_lshrrev_b32_e32 v2, 16, v24
	;; [unrolled: 22-line block ×3, first 2 shown]
	;;#ASMSTART
	v_cvt_f32_f16 v1, v1;
	;;#ASMEND
	;;#ASMSTART
	v_cvt_f32_f16 v2, v2;
	;;#ASMEND
	buffer_load_dword v3, off, s[0:3], s32 offset:780 ; 4-byte Folded Reload
	s_waitcnt vmcnt(0)
	v_and_b32_e32 v3, 0xffff, v3
	;;#ASMSTART
	v_cvt_f32_f16 v3, v3;
	;;#ASMEND
	buffer_load_dword v5, off, s[0:3], s32 offset:776 ; 4-byte Folded Reload
	v_fmac_f32_e32 v49, v1, v3
	s_waitcnt vmcnt(0)
	v_and_b32_e32 v5, 0xffff, v5
	;;#ASMSTART
	v_cvt_f32_f16 v5, v5;
	;;#ASMEND
	ds_read_b128 v[22:25], v4 offset:256
	v_fmac_f32_e32 v0, v2, v5
	s_waitcnt lgkmcnt(0)
	v_lshrrev_b32_e32 v2, 16, v22
	v_and_b32_e32 v1, 0xffff, v22
	;;#ASMSTART
	v_cvt_f32_f16 v1, v1;
	;;#ASMEND
	;;#ASMSTART
	v_cvt_f32_f16 v2, v2;
	;;#ASMEND
	buffer_load_dword v3, off, s[0:3], s32 offset:772 ; 4-byte Folded Reload
	s_waitcnt vmcnt(0)
	v_and_b32_e32 v3, 0xffff, v3
	;;#ASMSTART
	v_cvt_f32_f16 v3, v3;
	;;#ASMEND
	buffer_load_dword v5, off, s[0:3], s32 offset:768 ; 4-byte Folded Reload
	v_fmac_f32_e32 v8, v1, v3
	v_and_b32_e32 v1, 0xffff, v23
	s_waitcnt vmcnt(0)
	v_and_b32_e32 v5, 0xffff, v5
	;;#ASMSTART
	v_cvt_f32_f16 v5, v5;
	;;#ASMEND
	v_fmac_f32_e32 v12, v2, v5
	v_lshrrev_b32_e32 v2, 16, v23
	;;#ASMSTART
	v_cvt_f32_f16 v1, v1;
	;;#ASMEND
	;;#ASMSTART
	v_cvt_f32_f16 v2, v2;
	;;#ASMEND
	buffer_load_dword v3, off, s[0:3], s32 offset:764 ; 4-byte Folded Reload
	s_waitcnt vmcnt(0)
	v_and_b32_e32 v3, 0xffff, v3
	;;#ASMSTART
	v_cvt_f32_f16 v3, v3;
	;;#ASMEND
	buffer_load_dword v5, off, s[0:3], s32 offset:760 ; 4-byte Folded Reload
	v_fmac_f32_e32 v20, v1, v3
	v_and_b32_e32 v1, 0xffff, v24
	s_waitcnt vmcnt(0)
	v_and_b32_e32 v5, 0xffff, v5
	;;#ASMSTART
	v_cvt_f32_f16 v5, v5;
	;;#ASMEND
	v_fmac_f32_e32 v15, v2, v5
	v_lshrrev_b32_e32 v2, 16, v24
	;;#ASMSTART
	v_cvt_f32_f16 v1, v1;
	;;#ASMEND
	;;#ASMSTART
	v_cvt_f32_f16 v2, v2;
	;;#ASMEND
	buffer_load_dword v3, off, s[0:3], s32 offset:756 ; 4-byte Folded Reload
	s_waitcnt vmcnt(0)
	v_and_b32_e32 v3, 0xffff, v3
	;;#ASMSTART
	v_cvt_f32_f16 v3, v3;
	;;#ASMEND
	buffer_load_dword v5, off, s[0:3], s32 offset:752 ; 4-byte Folded Reload
	v_fmac_f32_e32 v48, v1, v3
	v_and_b32_e32 v1, 0xffff, v25
	s_waitcnt vmcnt(0)
	v_and_b32_e32 v5, 0xffff, v5
	;;#ASMSTART
	v_cvt_f32_f16 v5, v5;
	;;#ASMEND
	v_fmac_f32_e32 v21, v2, v5
	v_lshrrev_b32_e32 v2, 16, v25
	;;#ASMSTART
	v_cvt_f32_f16 v1, v1;
	;;#ASMEND
	;;#ASMSTART
	v_cvt_f32_f16 v2, v2;
	;;#ASMEND
	buffer_load_dword v3, off, s[0:3], s32 offset:748 ; 4-byte Folded Reload
	s_waitcnt vmcnt(0)
	v_and_b32_e32 v3, 0xffff, v3
	;;#ASMSTART
	v_cvt_f32_f16 v3, v3;
	;;#ASMEND
	buffer_load_dword v5, off, s[0:3], s32 offset:744 ; 4-byte Folded Reload
	v_fmac_f32_e32 v49, v1, v3
	s_waitcnt vmcnt(0)
	v_and_b32_e32 v5, 0xffff, v5
	;;#ASMSTART
	v_cvt_f32_f16 v5, v5;
	;;#ASMEND
	ds_read_b128 v[22:25], v4 offset:272
	v_fmac_f32_e32 v0, v2, v5
	s_waitcnt lgkmcnt(0)
	v_lshrrev_b32_e32 v2, 16, v22
	v_and_b32_e32 v1, 0xffff, v22
	;;#ASMSTART
	v_cvt_f32_f16 v1, v1;
	;;#ASMEND
	;;#ASMSTART
	v_cvt_f32_f16 v2, v2;
	;;#ASMEND
	buffer_load_dword v3, off, s[0:3], s32 offset:740 ; 4-byte Folded Reload
	s_waitcnt vmcnt(0)
	v_and_b32_e32 v3, 0xffff, v3
	;;#ASMSTART
	v_cvt_f32_f16 v3, v3;
	;;#ASMEND
	buffer_load_dword v5, off, s[0:3], s32 offset:736 ; 4-byte Folded Reload
	v_fmac_f32_e32 v8, v1, v3
	v_and_b32_e32 v1, 0xffff, v23
	s_waitcnt vmcnt(0)
	v_and_b32_e32 v5, 0xffff, v5
	;;#ASMSTART
	v_cvt_f32_f16 v5, v5;
	;;#ASMEND
	v_fmac_f32_e32 v12, v2, v5
	v_lshrrev_b32_e32 v2, 16, v23
	;;#ASMSTART
	v_cvt_f32_f16 v1, v1;
	;;#ASMEND
	;;#ASMSTART
	v_cvt_f32_f16 v2, v2;
	;;#ASMEND
	buffer_load_dword v3, off, s[0:3], s32 offset:732 ; 4-byte Folded Reload
	s_waitcnt vmcnt(0)
	v_and_b32_e32 v3, 0xffff, v3
	;;#ASMSTART
	v_cvt_f32_f16 v3, v3;
	;;#ASMEND
	buffer_load_dword v5, off, s[0:3], s32 offset:728 ; 4-byte Folded Reload
	v_fmac_f32_e32 v20, v1, v3
	v_and_b32_e32 v1, 0xffff, v24
	s_waitcnt vmcnt(0)
	v_and_b32_e32 v5, 0xffff, v5
	;;#ASMSTART
	v_cvt_f32_f16 v5, v5;
	;;#ASMEND
	v_fmac_f32_e32 v15, v2, v5
	v_lshrrev_b32_e32 v2, 16, v24
	;; [unrolled: 22-line block ×3, first 2 shown]
	;;#ASMSTART
	v_cvt_f32_f16 v1, v1;
	;;#ASMEND
	;;#ASMSTART
	v_cvt_f32_f16 v2, v2;
	;;#ASMEND
	buffer_load_dword v3, off, s[0:3], s32 offset:716 ; 4-byte Folded Reload
	s_waitcnt vmcnt(0)
	v_and_b32_e32 v3, 0xffff, v3
	;;#ASMSTART
	v_cvt_f32_f16 v3, v3;
	;;#ASMEND
	buffer_load_dword v5, off, s[0:3], s32 offset:712 ; 4-byte Folded Reload
	v_fmac_f32_e32 v49, v1, v3
	s_waitcnt vmcnt(0)
	v_and_b32_e32 v5, 0xffff, v5
	;;#ASMSTART
	v_cvt_f32_f16 v5, v5;
	;;#ASMEND
	ds_read_b128 v[22:25], v4 offset:288
	v_fmac_f32_e32 v0, v2, v5
	s_waitcnt lgkmcnt(0)
	v_lshrrev_b32_e32 v2, 16, v22
	v_and_b32_e32 v1, 0xffff, v22
	;;#ASMSTART
	v_cvt_f32_f16 v1, v1;
	;;#ASMEND
	;;#ASMSTART
	v_cvt_f32_f16 v2, v2;
	;;#ASMEND
	buffer_load_dword v3, off, s[0:3], s32 offset:708 ; 4-byte Folded Reload
	s_waitcnt vmcnt(0)
	v_and_b32_e32 v3, 0xffff, v3
	;;#ASMSTART
	v_cvt_f32_f16 v3, v3;
	;;#ASMEND
	buffer_load_dword v5, off, s[0:3], s32 offset:704 ; 4-byte Folded Reload
	v_fmac_f32_e32 v8, v1, v3
	v_and_b32_e32 v1, 0xffff, v23
	s_waitcnt vmcnt(0)
	v_and_b32_e32 v5, 0xffff, v5
	;;#ASMSTART
	v_cvt_f32_f16 v5, v5;
	;;#ASMEND
	v_fmac_f32_e32 v12, v2, v5
	v_lshrrev_b32_e32 v2, 16, v23
	;;#ASMSTART
	v_cvt_f32_f16 v1, v1;
	;;#ASMEND
	;;#ASMSTART
	v_cvt_f32_f16 v2, v2;
	;;#ASMEND
	buffer_load_dword v3, off, s[0:3], s32 offset:700 ; 4-byte Folded Reload
	s_waitcnt vmcnt(0)
	v_and_b32_e32 v3, 0xffff, v3
	;;#ASMSTART
	v_cvt_f32_f16 v3, v3;
	;;#ASMEND
	buffer_load_dword v5, off, s[0:3], s32 offset:696 ; 4-byte Folded Reload
	v_fmac_f32_e32 v20, v1, v3
	v_and_b32_e32 v1, 0xffff, v24
	s_waitcnt vmcnt(0)
	v_and_b32_e32 v5, 0xffff, v5
	;;#ASMSTART
	v_cvt_f32_f16 v5, v5;
	;;#ASMEND
	v_fmac_f32_e32 v15, v2, v5
	v_lshrrev_b32_e32 v2, 16, v24
	;;#ASMSTART
	v_cvt_f32_f16 v1, v1;
	;;#ASMEND
	;;#ASMSTART
	v_cvt_f32_f16 v2, v2;
	;;#ASMEND
	buffer_load_dword v3, off, s[0:3], s32 offset:692 ; 4-byte Folded Reload
	s_waitcnt vmcnt(0)
	v_and_b32_e32 v3, 0xffff, v3
	;;#ASMSTART
	v_cvt_f32_f16 v3, v3;
	;;#ASMEND
	buffer_load_dword v5, off, s[0:3], s32 offset:688 ; 4-byte Folded Reload
	v_fmac_f32_e32 v48, v1, v3
	v_lshrrev_b32_e32 v1, 16, v25
	s_waitcnt vmcnt(0)
	v_and_b32_e32 v5, 0xffff, v5
	;;#ASMSTART
	v_cvt_f32_f16 v5, v5;
	;;#ASMEND
	v_fmac_f32_e32 v21, v2, v5
	v_and_b32_e32 v2, 0xffff, v25
	;;#ASMSTART
	v_cvt_f32_f16 v2, v2;
	;;#ASMEND
	;;#ASMSTART
	v_cvt_f32_f16 v1, v1;
	;;#ASMEND
	buffer_load_dword v3, off, s[0:3], s32 offset:684 ; 4-byte Folded Reload
	s_waitcnt vmcnt(0)
	v_and_b32_e32 v3, 0xffff, v3
	;;#ASMSTART
	v_cvt_f32_f16 v3, v3;
	;;#ASMEND
	buffer_load_dword v5, off, s[0:3], s32 offset:680 ; 4-byte Folded Reload
	v_fmac_f32_e32 v49, v2, v3
	s_waitcnt vmcnt(0)
	v_and_b32_e32 v5, 0xffff, v5
	;;#ASMSTART
	v_cvt_f32_f16 v5, v5;
	;;#ASMEND
	ds_read_b128 v[22:25], v4 offset:304
	v_fmac_f32_e32 v0, v1, v5
	s_waitcnt lgkmcnt(0)
	v_lshrrev_b32_e32 v2, 16, v22
	v_and_b32_e32 v1, 0xffff, v22
	;;#ASMSTART
	v_cvt_f32_f16 v1, v1;
	;;#ASMEND
	;;#ASMSTART
	v_cvt_f32_f16 v2, v2;
	;;#ASMEND
	buffer_load_dword v3, off, s[0:3], s32 offset:676 ; 4-byte Folded Reload
	s_waitcnt vmcnt(0)
	v_and_b32_e32 v3, 0xffff, v3
	;;#ASMSTART
	v_cvt_f32_f16 v3, v3;
	;;#ASMEND
	buffer_load_dword v5, off, s[0:3], s32 offset:672 ; 4-byte Folded Reload
	v_fmac_f32_e32 v8, v1, v3
	v_and_b32_e32 v1, 0xffff, v23
	s_waitcnt vmcnt(0)
	v_and_b32_e32 v5, 0xffff, v5
	;;#ASMSTART
	v_cvt_f32_f16 v5, v5;
	;;#ASMEND
	v_fmac_f32_e32 v12, v2, v5
	v_lshrrev_b32_e32 v2, 16, v23
	;;#ASMSTART
	v_cvt_f32_f16 v1, v1;
	;;#ASMEND
	;;#ASMSTART
	v_cvt_f32_f16 v2, v2;
	;;#ASMEND
	buffer_load_dword v3, off, s[0:3], s32 offset:668 ; 4-byte Folded Reload
	s_waitcnt vmcnt(0)
	v_and_b32_e32 v3, 0xffff, v3
	;;#ASMSTART
	v_cvt_f32_f16 v3, v3;
	;;#ASMEND
	buffer_load_dword v5, off, s[0:3], s32 offset:664 ; 4-byte Folded Reload
	v_fmac_f32_e32 v20, v1, v3
	v_and_b32_e32 v1, 0xffff, v24
	s_waitcnt vmcnt(0)
	v_and_b32_e32 v5, 0xffff, v5
	;;#ASMSTART
	v_cvt_f32_f16 v5, v5;
	;;#ASMEND
	v_fmac_f32_e32 v15, v2, v5
	v_lshrrev_b32_e32 v2, 16, v24
	;; [unrolled: 22-line block ×3, first 2 shown]
	;;#ASMSTART
	v_cvt_f32_f16 v1, v1;
	;;#ASMEND
	;;#ASMSTART
	v_cvt_f32_f16 v2, v2;
	;;#ASMEND
	buffer_load_dword v3, off, s[0:3], s32 offset:652 ; 4-byte Folded Reload
	s_waitcnt vmcnt(0)
	v_and_b32_e32 v3, 0xffff, v3
	;;#ASMSTART
	v_cvt_f32_f16 v3, v3;
	;;#ASMEND
	buffer_load_dword v5, off, s[0:3], s32 offset:648 ; 4-byte Folded Reload
	v_fmac_f32_e32 v49, v1, v3
	s_waitcnt vmcnt(0)
	v_and_b32_e32 v5, 0xffff, v5
	;;#ASMSTART
	v_cvt_f32_f16 v5, v5;
	;;#ASMEND
	ds_read_b128 v[22:25], v4 offset:320
	v_fmac_f32_e32 v0, v2, v5
	s_waitcnt lgkmcnt(0)
	v_lshrrev_b32_e32 v2, 16, v22
	v_and_b32_e32 v1, 0xffff, v22
	;;#ASMSTART
	v_cvt_f32_f16 v1, v1;
	;;#ASMEND
	;;#ASMSTART
	v_cvt_f32_f16 v2, v2;
	;;#ASMEND
	buffer_load_dword v3, off, s[0:3], s32 offset:644 ; 4-byte Folded Reload
	s_waitcnt vmcnt(0)
	v_and_b32_e32 v3, 0xffff, v3
	;;#ASMSTART
	v_cvt_f32_f16 v3, v3;
	;;#ASMEND
	buffer_load_dword v5, off, s[0:3], s32 offset:640 ; 4-byte Folded Reload
	v_fmac_f32_e32 v8, v1, v3
	v_and_b32_e32 v1, 0xffff, v23
	s_waitcnt vmcnt(0)
	v_and_b32_e32 v5, 0xffff, v5
	;;#ASMSTART
	v_cvt_f32_f16 v5, v5;
	;;#ASMEND
	v_fmac_f32_e32 v12, v2, v5
	v_lshrrev_b32_e32 v2, 16, v23
	;;#ASMSTART
	v_cvt_f32_f16 v1, v1;
	;;#ASMEND
	;;#ASMSTART
	v_cvt_f32_f16 v2, v2;
	;;#ASMEND
	buffer_load_dword v3, off, s[0:3], s32 offset:636 ; 4-byte Folded Reload
	s_waitcnt vmcnt(0)
	v_and_b32_e32 v3, 0xffff, v3
	;;#ASMSTART
	v_cvt_f32_f16 v3, v3;
	;;#ASMEND
	buffer_load_dword v5, off, s[0:3], s32 offset:632 ; 4-byte Folded Reload
	v_fmac_f32_e32 v20, v1, v3
	v_and_b32_e32 v1, 0xffff, v24
	s_waitcnt vmcnt(0)
	v_and_b32_e32 v5, 0xffff, v5
	;;#ASMSTART
	v_cvt_f32_f16 v5, v5;
	;;#ASMEND
	v_fmac_f32_e32 v15, v2, v5
	v_lshrrev_b32_e32 v2, 16, v24
	;; [unrolled: 22-line block ×3, first 2 shown]
	;;#ASMSTART
	v_cvt_f32_f16 v1, v1;
	;;#ASMEND
	;;#ASMSTART
	v_cvt_f32_f16 v2, v2;
	;;#ASMEND
	buffer_load_dword v3, off, s[0:3], s32 offset:620 ; 4-byte Folded Reload
	s_waitcnt vmcnt(0)
	v_and_b32_e32 v3, 0xffff, v3
	;;#ASMSTART
	v_cvt_f32_f16 v3, v3;
	;;#ASMEND
	buffer_load_dword v5, off, s[0:3], s32 offset:616 ; 4-byte Folded Reload
	v_fmac_f32_e32 v49, v1, v3
	s_waitcnt vmcnt(0)
	v_and_b32_e32 v5, 0xffff, v5
	;;#ASMSTART
	v_cvt_f32_f16 v5, v5;
	;;#ASMEND
	ds_read_b128 v[22:25], v4 offset:336
	v_fmac_f32_e32 v0, v2, v5
	s_waitcnt lgkmcnt(0)
	v_lshrrev_b32_e32 v2, 16, v22
	v_and_b32_e32 v1, 0xffff, v22
	;;#ASMSTART
	v_cvt_f32_f16 v1, v1;
	;;#ASMEND
	;;#ASMSTART
	v_cvt_f32_f16 v2, v2;
	;;#ASMEND
	buffer_load_dword v3, off, s[0:3], s32 offset:612 ; 4-byte Folded Reload
	s_waitcnt vmcnt(0)
	v_and_b32_e32 v3, 0xffff, v3
	;;#ASMSTART
	v_cvt_f32_f16 v3, v3;
	;;#ASMEND
	buffer_load_dword v5, off, s[0:3], s32 offset:608 ; 4-byte Folded Reload
	v_fmac_f32_e32 v8, v1, v3
	v_and_b32_e32 v1, 0xffff, v23
	s_waitcnt vmcnt(0)
	v_and_b32_e32 v5, 0xffff, v5
	;;#ASMSTART
	v_cvt_f32_f16 v5, v5;
	;;#ASMEND
	v_fmac_f32_e32 v12, v2, v5
	v_lshrrev_b32_e32 v2, 16, v23
	;;#ASMSTART
	v_cvt_f32_f16 v1, v1;
	;;#ASMEND
	;;#ASMSTART
	v_cvt_f32_f16 v2, v2;
	;;#ASMEND
	buffer_load_dword v3, off, s[0:3], s32 offset:604 ; 4-byte Folded Reload
	s_waitcnt vmcnt(0)
	v_and_b32_e32 v3, 0xffff, v3
	;;#ASMSTART
	v_cvt_f32_f16 v3, v3;
	;;#ASMEND
	buffer_load_dword v5, off, s[0:3], s32 offset:600 ; 4-byte Folded Reload
	v_fmac_f32_e32 v20, v1, v3
	v_and_b32_e32 v1, 0xffff, v24
	s_waitcnt vmcnt(0)
	v_and_b32_e32 v5, 0xffff, v5
	;;#ASMSTART
	v_cvt_f32_f16 v5, v5;
	;;#ASMEND
	v_fmac_f32_e32 v15, v2, v5
	v_lshrrev_b32_e32 v2, 16, v24
	;; [unrolled: 22-line block ×3, first 2 shown]
	;;#ASMSTART
	v_cvt_f32_f16 v1, v1;
	;;#ASMEND
	;;#ASMSTART
	v_cvt_f32_f16 v2, v2;
	;;#ASMEND
	buffer_load_dword v3, off, s[0:3], s32 offset:588 ; 4-byte Folded Reload
	s_waitcnt vmcnt(0)
	v_and_b32_e32 v3, 0xffff, v3
	;;#ASMSTART
	v_cvt_f32_f16 v3, v3;
	;;#ASMEND
	buffer_load_dword v5, off, s[0:3], s32 offset:584 ; 4-byte Folded Reload
	v_fmac_f32_e32 v49, v1, v3
	s_waitcnt vmcnt(0)
	v_and_b32_e32 v5, 0xffff, v5
	;;#ASMSTART
	v_cvt_f32_f16 v5, v5;
	;;#ASMEND
	ds_read_b128 v[22:25], v4 offset:352
	v_fmac_f32_e32 v0, v2, v5
	s_waitcnt lgkmcnt(0)
	v_lshrrev_b32_e32 v2, 16, v22
	v_and_b32_e32 v1, 0xffff, v22
	;;#ASMSTART
	v_cvt_f32_f16 v1, v1;
	;;#ASMEND
	;;#ASMSTART
	v_cvt_f32_f16 v2, v2;
	;;#ASMEND
	buffer_load_dword v3, off, s[0:3], s32 offset:580 ; 4-byte Folded Reload
	s_waitcnt vmcnt(0)
	v_and_b32_e32 v3, 0xffff, v3
	;;#ASMSTART
	v_cvt_f32_f16 v3, v3;
	;;#ASMEND
	buffer_load_dword v5, off, s[0:3], s32 offset:576 ; 4-byte Folded Reload
	v_fmac_f32_e32 v8, v1, v3
	v_and_b32_e32 v1, 0xffff, v23
	s_waitcnt vmcnt(0)
	v_and_b32_e32 v5, 0xffff, v5
	;;#ASMSTART
	v_cvt_f32_f16 v5, v5;
	;;#ASMEND
	v_fmac_f32_e32 v12, v2, v5
	v_lshrrev_b32_e32 v2, 16, v23
	;;#ASMSTART
	v_cvt_f32_f16 v1, v1;
	;;#ASMEND
	;;#ASMSTART
	v_cvt_f32_f16 v2, v2;
	;;#ASMEND
	buffer_load_dword v3, off, s[0:3], s32 offset:572 ; 4-byte Folded Reload
	s_waitcnt vmcnt(0)
	v_and_b32_e32 v3, 0xffff, v3
	;;#ASMSTART
	v_cvt_f32_f16 v3, v3;
	;;#ASMEND
	buffer_load_dword v5, off, s[0:3], s32 offset:568 ; 4-byte Folded Reload
	v_fmac_f32_e32 v20, v1, v3
	v_and_b32_e32 v1, 0xffff, v24
	s_waitcnt vmcnt(0)
	v_and_b32_e32 v5, 0xffff, v5
	;;#ASMSTART
	v_cvt_f32_f16 v5, v5;
	;;#ASMEND
	v_fmac_f32_e32 v15, v2, v5
	v_lshrrev_b32_e32 v2, 16, v24
	;; [unrolled: 22-line block ×3, first 2 shown]
	;;#ASMSTART
	v_cvt_f32_f16 v1, v1;
	;;#ASMEND
	;;#ASMSTART
	v_cvt_f32_f16 v2, v2;
	;;#ASMEND
	buffer_load_dword v3, off, s[0:3], s32 offset:556 ; 4-byte Folded Reload
	s_waitcnt vmcnt(0)
	v_and_b32_e32 v3, 0xffff, v3
	;;#ASMSTART
	v_cvt_f32_f16 v3, v3;
	;;#ASMEND
	buffer_load_dword v5, off, s[0:3], s32 offset:552 ; 4-byte Folded Reload
	v_fmac_f32_e32 v49, v1, v3
	s_waitcnt vmcnt(0)
	v_and_b32_e32 v5, 0xffff, v5
	;;#ASMSTART
	v_cvt_f32_f16 v5, v5;
	;;#ASMEND
	ds_read_b128 v[22:25], v4 offset:368
	v_fmac_f32_e32 v0, v2, v5
	s_waitcnt lgkmcnt(0)
	v_lshrrev_b32_e32 v2, 16, v22
	v_and_b32_e32 v1, 0xffff, v22
	;;#ASMSTART
	v_cvt_f32_f16 v1, v1;
	;;#ASMEND
	;;#ASMSTART
	v_cvt_f32_f16 v2, v2;
	;;#ASMEND
	buffer_load_dword v3, off, s[0:3], s32 offset:236 ; 4-byte Folded Reload
	s_waitcnt vmcnt(0)
	v_and_b32_e32 v3, 0xffff, v3
	;;#ASMSTART
	v_cvt_f32_f16 v3, v3;
	;;#ASMEND
	buffer_load_dword v5, off, s[0:3], s32 offset:232 ; 4-byte Folded Reload
	v_fmac_f32_e32 v8, v1, v3
	v_and_b32_e32 v1, 0xffff, v23
	s_waitcnt vmcnt(0)
	v_and_b32_e32 v5, 0xffff, v5
	;;#ASMSTART
	v_cvt_f32_f16 v5, v5;
	;;#ASMEND
	v_fmac_f32_e32 v12, v2, v5
	v_lshrrev_b32_e32 v2, 16, v23
	;;#ASMSTART
	v_cvt_f32_f16 v1, v1;
	;;#ASMEND
	;;#ASMSTART
	v_cvt_f32_f16 v2, v2;
	;;#ASMEND
	buffer_load_dword v3, off, s[0:3], s32 offset:228 ; 4-byte Folded Reload
	s_waitcnt vmcnt(0)
	v_and_b32_e32 v3, 0xffff, v3
	;;#ASMSTART
	v_cvt_f32_f16 v3, v3;
	;;#ASMEND
	buffer_load_dword v5, off, s[0:3], s32 offset:224 ; 4-byte Folded Reload
	v_fmac_f32_e32 v20, v1, v3
	v_and_b32_e32 v1, 0xffff, v24
	s_waitcnt vmcnt(0)
	v_and_b32_e32 v5, 0xffff, v5
	;;#ASMSTART
	v_cvt_f32_f16 v5, v5;
	;;#ASMEND
	v_fmac_f32_e32 v15, v2, v5
	v_lshrrev_b32_e32 v2, 16, v24
	;;#ASMSTART
	v_cvt_f32_f16 v1, v1;
	;;#ASMEND
	;;#ASMSTART
	v_cvt_f32_f16 v2, v2;
	;;#ASMEND
	buffer_load_dword v3, off, s[0:3], s32 offset:220 ; 4-byte Folded Reload
	s_waitcnt vmcnt(0)
	v_and_b32_e32 v3, 0xffff, v3
	;;#ASMSTART
	v_cvt_f32_f16 v3, v3;
	;;#ASMEND
	buffer_load_dword v5, off, s[0:3], s32 offset:216 ; 4-byte Folded Reload
	v_fmac_f32_e32 v48, v1, v3
	v_and_b32_e32 v1, 0xffff, v25
	s_waitcnt vmcnt(0)
	v_and_b32_e32 v5, 0xffff, v5
	;;#ASMSTART
	v_cvt_f32_f16 v5, v5;
	;;#ASMEND
	v_fmac_f32_e32 v21, v2, v5
	v_lshrrev_b32_e32 v2, 16, v25
	;;#ASMSTART
	v_cvt_f32_f16 v1, v1;
	;;#ASMEND
	;;#ASMSTART
	v_cvt_f32_f16 v2, v2;
	;;#ASMEND
	buffer_load_dword v3, off, s[0:3], s32 offset:212 ; 4-byte Folded Reload
	v_and_b32_e32 v5, 0xffff, v69
	s_waitcnt vmcnt(0)
	v_and_b32_e32 v3, 0xffff, v3
	;;#ASMSTART
	v_cvt_f32_f16 v3, v3;
	;;#ASMEND
	v_fmac_f32_e32 v49, v1, v3
	v_add_f32_e32 v1, v8, v12
	;;#ASMSTART
	v_cvt_f32_f16 v5, v5;
	;;#ASMEND
	v_fmac_f32_e32 v0, v2, v5
	buffer_load_dword v14, off, s[0:3], s32 offset:548 ; 4-byte Folded Reload
	v_add_f32_e32 v1, v1, v20
	v_add_f32_e32 v1, v15, v1
	;; [unrolled: 1-line block ×6, first 2 shown]
	buffer_load_dword v1, off, s[0:3], s32 offset:892 ; 4-byte Folded Reload
	s_waitcnt vmcnt(0)
	v_fmac_f32_e32 v9, v1, v0
	buffer_load_dword v1, off, s[0:3], s32 offset:208 ; 4-byte Folded Reload
	v_cndmask_b32_e64 v0, 0, v9, s5
	s_waitcnt vmcnt(0)
	ds_write_b32 v1, v0
	v_max_f32_e32 v0, v14, v14
	v_max_f32_e32 v0, v0, v9
	v_cndmask_b32_e64 v14, v14, v0, s5
.LBB285_14:                             ;   in Loop: Header=BB285_15 Depth=1
	s_or_b32 exec_lo, exec_lo, s6
	buffer_load_dword v0, off, s[0:3], s32 offset:536 ; 4-byte Folded Reload
	v_add_nc_u32_e32 v125, 4, v125
	v_add_co_u32 v16, s6, v16, 16
	v_add_nc_u32_e32 v92, 0x80, v92
	v_add_nc_u32_e32 v124, 0x200, v124
	v_add_co_ci_u32_e64 v17, null, 0, v17, s6
	s_waitcnt vmcnt(0)
	v_cmp_ge_i32_e64 s5, v125, v0
	s_or_b32 s19, s5, s19
	s_andn2_b32 exec_lo, exec_lo, s19
	s_cbranch_execz .LBB285_1551
.LBB285_15:                             ; =>This Inner Loop Header: Depth=1
	s_clause 0x1
	buffer_load_dword v0, off, s[0:3], s32 offset:200
	buffer_load_dword v5, off, s[0:3], s32 offset:528
	s_waitcnt vmcnt(1)
	v_mul_hi_u32 v0, v92, v0
	s_waitcnt vmcnt(0)
	v_mul_lo_u32 v1, v0, v5
	v_add_nc_u32_e32 v2, 1, v0
	v_sub_nc_u32_e32 v1, v92, v1
	v_sub_nc_u32_e32 v3, v1, v5
	v_cmp_ge_u32_e64 s5, v1, v5
	v_cndmask_b32_e64 v1, v1, v3, s5
	v_cndmask_b32_e64 v0, v0, v2, s5
	v_cmp_ge_u32_e64 s5, v1, v5
	buffer_load_dword v1, off, s[0:3], s32 offset:532 ; 4-byte Folded Reload
	v_add_nc_u32_e32 v2, 1, v0
	v_cndmask_b32_e64 v0, v0, v2, s5
	s_waitcnt vmcnt(0)
	v_xor_b32_e32 v0, v0, v1
	v_sub_nc_u32_e32 v0, v0, v1
	s_clause 0x3
	buffer_load_dword v1, off, s[0:3], s32 offset:192
	buffer_load_dword v2, off, s[0:3], s32 offset:196
	;; [unrolled: 1-line block ×4, first 2 shown]
	s_waitcnt vmcnt(3)
	v_add_nc_u32_e32 v1, v0, v1
	s_waitcnt vmcnt(2)
	v_sub_nc_u32_e32 v2, 0, v1
	v_max_i32_e32 v2, v1, v2
	v_ashrrev_i32_e32 v1, 31, v1
	s_waitcnt vmcnt(1)
	v_mul_hi_u32 v3, v2, v3
	s_waitcnt vmcnt(0)
	v_mul_lo_u32 v3, v3, v5
	v_sub_nc_u32_e32 v2, v2, v3
	v_sub_nc_u32_e32 v3, v2, v5
	v_cmp_ge_u32_e64 s5, v2, v5
	v_cndmask_b32_e64 v2, v2, v3, s5
	v_sub_nc_u32_e32 v3, v2, v5
	v_cmp_ge_u32_e64 s5, v2, v5
	v_cndmask_b32_e64 v2, v2, v3, s5
	v_xor_b32_e32 v2, v2, v1
	v_sub_nc_u32_e32 v1, v2, v1
	v_cmp_ne_u32_e64 s5, 0, v1
	buffer_load_dword v1, off, s[0:3], s32 offset:204 ; 4-byte Folded Reload
	s_waitcnt vmcnt(0)
	v_cmp_le_i32_e64 s6, v0, v1
	s_and_b32 s5, s5, s6
	s_and_saveexec_b32 s6, s5
	s_xor_b32 s5, exec_lo, s6
	s_cbranch_execz .LBB285_17
; %bb.16:                               ;   in Loop: Header=BB285_15 Depth=1
	s_waitcnt lgkmcnt(0)
	v_add_nc_u32_e32 v0, s18, v124
	v_mov_b32_e32 v1, 0xff7fffff
	ds_write_b32 v0, v1
.LBB285_17:                             ;   in Loop: Header=BB285_15 Depth=1
	s_andn2_saveexec_b32 s6, s5
	s_cbranch_execz .LBB285_14
; %bb.18:                               ;   in Loop: Header=BB285_15 Depth=1
	buffer_store_dword v14, off, s[0:3], s32 offset:548 ; 4-byte Folded Spill
	flat_load_dword v0, v[16:17]
	s_clause 0x2
	buffer_load_dword v1, off, s[0:3], s32 offset:524
	buffer_load_dword v2, off, s[0:3], s32 offset:896
	;; [unrolled: 1-line block ×3, first 2 shown]
	s_waitcnt vmcnt(0) lgkmcnt(0)
	v_mad_i64_i32 v[24:25], null, v0, v1, v[2:3]
	flat_load_dwordx2 v[27:28], v[24:25]
	s_clause 0x1
	buffer_load_dword v0, off, s[0:3], s32 offset:884
	buffer_load_dword v1, off, s[0:3], s32 offset:888
	s_waitcnt vmcnt(2) lgkmcnt(0)
	v_cmp_ne_u16_sdwa s5, v27, v4 src0_sel:BYTE_0 src1_sel:DWORD
	s_waitcnt vmcnt(0)
	flat_load_dword v69, v[0:1]
	v_mov_b32_e32 v0, 0
	buffer_store_dword v0, off, s[0:3], s32 offset:208 ; 4-byte Folded Spill
	v_mov_b32_e32 v0, 0
	buffer_store_dword v0, off, s[0:3], s32 offset:212 ; 4-byte Folded Spill
	s_and_saveexec_b32 s20, s5
	s_cbranch_execz .LBB285_26
; %bb.19:                               ;   in Loop: Header=BB285_15 Depth=1
	v_cmp_ne_u16_sdwa s5, v27, v54 src0_sel:BYTE_0 src1_sel:DWORD
	v_mov_b32_e32 v0, 0x8000
	buffer_store_dword v0, off, s[0:3], s32 offset:212 ; 4-byte Folded Spill
	s_and_saveexec_b32 s21, s5
	s_cbranch_execz .LBB285_25
; %bb.20:                               ;   in Loop: Header=BB285_15 Depth=1
	v_and_b32_e32 v2, 0x7f, v27
	v_mov_b32_e32 v0, 0x7c01
	s_mov_b32 s22, exec_lo
	buffer_store_dword v0, off, s[0:3], s32 offset:212 ; 4-byte Folded Spill
	v_cmpx_ne_u32_e32 0x7f, v2
	s_cbranch_execz .LBB285_24
; %bb.21:                               ;   in Loop: Header=BB285_15 Depth=1
	v_and_b32_e32 v0, 7, v27
	v_lshrrev_b32_e32 v1, 3, v2
	s_mov_b32 s23, exec_lo
	v_cmpx_gt_u32_e32 8, v2
; %bb.22:                               ;   in Loop: Header=BB285_15 Depth=1
	v_ffbh_u32_e32 v0, v0
	v_min_u32_e32 v2, 32, v0
	v_subrev_nc_u32_e32 v0, 28, v2
	v_lshlrev_b64 v[0:1], v0, v[27:28]
	v_sub_nc_u32_e32 v1, 29, v2
	v_and_b32_e32 v0, 7, v0
; %bb.23:                               ;   in Loop: Header=BB285_15 Depth=1
	s_or_b32 exec_lo, exec_lo, s23
	v_lshlrev_b32_e32 v2, 8, v27
	v_lshl_add_u32 v1, v1, 10, 0x2000
	v_lshlrev_b32_e32 v0, 7, v0
	v_and_b32_e32 v2, 0x8000, v2
	v_and_b32_e32 v1, 0xfc00, v1
	v_or3_b32 v0, v2, v1, v0
	buffer_store_dword v0, off, s[0:3], s32 offset:212 ; 4-byte Folded Spill
.LBB285_24:                             ;   in Loop: Header=BB285_15 Depth=1
	s_or_b32 exec_lo, exec_lo, s22
.LBB285_25:                             ;   in Loop: Header=BB285_15 Depth=1
	s_or_b32 exec_lo, exec_lo, s21
.LBB285_26:                             ;   in Loop: Header=BB285_15 Depth=1
	s_or_b32 exec_lo, exec_lo, s20
	v_lshrrev_b16 v3, 8, v27
	s_mov_b32 s20, exec_lo
	v_cmpx_ne_u16_e32 0, v3
	s_cbranch_execz .LBB285_34
; %bb.27:                               ;   in Loop: Header=BB285_15 Depth=1
	v_bfrev_b32_e32 v0, 1
	s_mov_b32 s21, exec_lo
	buffer_store_dword v0, off, s[0:3], s32 offset:208 ; 4-byte Folded Spill
	v_cmpx_ne_u16_e32 0x80, v3
	s_cbranch_execz .LBB285_33
; %bb.28:                               ;   in Loop: Header=BB285_15 Depth=1
	v_mov_b32_e32 v0, 0x7f
	s_mov_b32 s22, exec_lo
	v_and_b32_sdwa v2, v3, v0 dst_sel:DWORD dst_unused:UNUSED_PAD src0_sel:WORD_0 src1_sel:DWORD
	v_mov_b32_e32 v0, 0x7c010000
	buffer_store_dword v0, off, s[0:3], s32 offset:208 ; 4-byte Folded Spill
	v_cmpx_ne_u32_e32 0x7f, v2
	s_cbranch_execz .LBB285_32
; %bb.29:                               ;   in Loop: Header=BB285_15 Depth=1
	v_mov_b32_e32 v0, 7
	v_lshrrev_b32_e32 v1, 3, v2
	s_mov_b32 s23, exec_lo
	v_and_b32_sdwa v0, v3, v0 dst_sel:DWORD dst_unused:UNUSED_PAD src0_sel:WORD_0 src1_sel:DWORD
	v_cmpx_gt_u32_e32 8, v2
; %bb.30:                               ;   in Loop: Header=BB285_15 Depth=1
	v_ffbh_u32_e32 v0, v0
	v_min_u32_e32 v2, 32, v0
	v_subrev_nc_u32_e32 v0, 28, v2
	v_lshlrev_b64 v[0:1], v0, v[3:4]
	v_sub_nc_u32_e32 v1, 29, v2
	v_and_b32_e32 v0, 7, v0
; %bb.31:                               ;   in Loop: Header=BB285_15 Depth=1
	s_or_b32 exec_lo, exec_lo, s23
	v_mov_b32_e32 v2, 8
	v_lshl_add_u32 v1, v1, 10, 0x2000
	v_lshlrev_b32_e32 v0, 23, v0
	v_lshlrev_b32_sdwa v2, v2, v3 dst_sel:DWORD dst_unused:UNUSED_PAD src0_sel:DWORD src1_sel:WORD_0
	v_and_or_b32 v1, 0x8000, v2, v1
	v_lshl_or_b32 v0, v1, 16, v0
	buffer_store_dword v0, off, s[0:3], s32 offset:208 ; 4-byte Folded Spill
.LBB285_32:                             ;   in Loop: Header=BB285_15 Depth=1
	s_or_b32 exec_lo, exec_lo, s22
.LBB285_33:                             ;   in Loop: Header=BB285_15 Depth=1
	s_or_b32 exec_lo, exec_lo, s21
.LBB285_34:                             ;   in Loop: Header=BB285_15 Depth=1
	s_or_b32 exec_lo, exec_lo, s20
	v_lshrrev_b32_e32 v3, 16, v27
	v_mov_b32_e32 v0, 0
	v_cmp_ne_u16_sdwa s5, v3, v4 src0_sel:BYTE_0 src1_sel:DWORD
	buffer_store_dword v0, off, s[0:3], s32 offset:216 ; 4-byte Folded Spill
	v_mov_b32_e32 v0, 0
	buffer_store_dword v0, off, s[0:3], s32 offset:220 ; 4-byte Folded Spill
	s_and_saveexec_b32 s20, s5
	s_cbranch_execz .LBB285_42
; %bb.35:                               ;   in Loop: Header=BB285_15 Depth=1
	v_cmp_ne_u16_sdwa s5, v3, v54 src0_sel:BYTE_0 src1_sel:DWORD
	v_mov_b32_e32 v0, 0x8000
	buffer_store_dword v0, off, s[0:3], s32 offset:220 ; 4-byte Folded Spill
	s_and_saveexec_b32 s21, s5
	s_cbranch_execz .LBB285_41
; %bb.36:                               ;   in Loop: Header=BB285_15 Depth=1
	v_bfe_u32 v2, v27, 16, 7
	v_mov_b32_e32 v0, 0x7c01
	s_mov_b32 s22, exec_lo
	buffer_store_dword v0, off, s[0:3], s32 offset:220 ; 4-byte Folded Spill
	v_cmpx_ne_u32_e32 0x7f, v2
	s_cbranch_execz .LBB285_40
; %bb.37:                               ;   in Loop: Header=BB285_15 Depth=1
	v_and_b32_e32 v0, 7, v3
	v_lshrrev_b32_e32 v1, 3, v2
	s_mov_b32 s23, exec_lo
	v_cmpx_gt_u32_e32 8, v2
; %bb.38:                               ;   in Loop: Header=BB285_15 Depth=1
	v_ffbh_u32_e32 v0, v0
	v_min_u32_e32 v2, 32, v0
	v_subrev_nc_u32_e32 v0, 28, v2
	v_lshlrev_b64 v[0:1], v0, v[3:4]
	v_sub_nc_u32_e32 v1, 29, v2
	v_and_b32_e32 v0, 7, v0
; %bb.39:                               ;   in Loop: Header=BB285_15 Depth=1
	s_or_b32 exec_lo, exec_lo, s23
	v_lshlrev_b32_e32 v2, 8, v3
	v_lshl_add_u32 v1, v1, 10, 0x2000
	v_lshlrev_b32_e32 v0, 7, v0
	v_and_b32_e32 v2, 0x8000, v2
	v_and_b32_e32 v1, 0xfc00, v1
	v_or3_b32 v0, v2, v1, v0
	buffer_store_dword v0, off, s[0:3], s32 offset:220 ; 4-byte Folded Spill
.LBB285_40:                             ;   in Loop: Header=BB285_15 Depth=1
	s_or_b32 exec_lo, exec_lo, s22
.LBB285_41:                             ;   in Loop: Header=BB285_15 Depth=1
	s_or_b32 exec_lo, exec_lo, s21
.LBB285_42:                             ;   in Loop: Header=BB285_15 Depth=1
	s_or_b32 exec_lo, exec_lo, s20
	s_mov_b32 s20, exec_lo
	v_cmpx_lt_u32_e32 0xffffff, v27
	s_cbranch_execz .LBB285_50
; %bb.43:                               ;   in Loop: Header=BB285_15 Depth=1
	v_lshrrev_b32_e32 v3, 24, v27
	v_bfrev_b32_e32 v0, 1
	s_mov_b32 s21, exec_lo
	buffer_store_dword v0, off, s[0:3], s32 offset:216 ; 4-byte Folded Spill
	v_cmpx_ne_u32_e32 0x80, v3
	s_cbranch_execz .LBB285_49
; %bb.44:                               ;   in Loop: Header=BB285_15 Depth=1
	v_and_b32_e32 v2, 0x7f, v3
	v_mov_b32_e32 v0, 0x7c010000
	s_mov_b32 s22, exec_lo
	buffer_store_dword v0, off, s[0:3], s32 offset:216 ; 4-byte Folded Spill
	v_cmpx_ne_u32_e32 0x7f, v2
	s_cbranch_execz .LBB285_48
; %bb.45:                               ;   in Loop: Header=BB285_15 Depth=1
	v_and_b32_e32 v0, 7, v3
	v_lshrrev_b32_e32 v1, 3, v2
	s_mov_b32 s23, exec_lo
	v_cmpx_gt_u32_e32 8, v2
; %bb.46:                               ;   in Loop: Header=BB285_15 Depth=1
	v_ffbh_u32_e32 v0, v0
	v_min_u32_e32 v2, 32, v0
	v_subrev_nc_u32_e32 v0, 28, v2
	v_lshlrev_b64 v[0:1], v0, v[3:4]
	v_sub_nc_u32_e32 v1, 29, v2
	v_and_b32_e32 v0, 7, v0
; %bb.47:                               ;   in Loop: Header=BB285_15 Depth=1
	s_or_b32 exec_lo, exec_lo, s23
	v_lshlrev_b32_e32 v2, 8, v3
	v_lshl_add_u32 v1, v1, 10, 0x2000
	v_lshlrev_b32_e32 v0, 23, v0
	v_and_or_b32 v1, 0x8000, v2, v1
	v_lshl_or_b32 v0, v1, 16, v0
	buffer_store_dword v0, off, s[0:3], s32 offset:216 ; 4-byte Folded Spill
.LBB285_48:                             ;   in Loop: Header=BB285_15 Depth=1
	s_or_b32 exec_lo, exec_lo, s22
.LBB285_49:                             ;   in Loop: Header=BB285_15 Depth=1
	s_or_b32 exec_lo, exec_lo, s21
.LBB285_50:                             ;   in Loop: Header=BB285_15 Depth=1
	s_or_b32 exec_lo, exec_lo, s20
	v_mov_b32_e32 v0, 0
	v_mov_b32_e32 v3, v28
	v_cmp_ne_u16_sdwa s5, v28, v4 src0_sel:BYTE_0 src1_sel:DWORD
	buffer_store_dword v0, off, s[0:3], s32 offset:224 ; 4-byte Folded Spill
	v_mov_b32_e32 v0, 0
	buffer_store_dword v0, off, s[0:3], s32 offset:228 ; 4-byte Folded Spill
	s_and_saveexec_b32 s20, s5
	s_cbranch_execz .LBB285_58
; %bb.51:                               ;   in Loop: Header=BB285_15 Depth=1
	v_cmp_ne_u16_sdwa s5, v28, v54 src0_sel:BYTE_0 src1_sel:DWORD
	v_mov_b32_e32 v0, 0x8000
	buffer_store_dword v0, off, s[0:3], s32 offset:228 ; 4-byte Folded Spill
	s_and_saveexec_b32 s21, s5
	s_cbranch_execz .LBB285_57
; %bb.52:                               ;   in Loop: Header=BB285_15 Depth=1
	v_and_b32_e32 v2, 0x7f, v28
	v_mov_b32_e32 v0, 0x7c01
	s_mov_b32 s22, exec_lo
	buffer_store_dword v0, off, s[0:3], s32 offset:228 ; 4-byte Folded Spill
	v_cmpx_ne_u32_e32 0x7f, v2
	s_cbranch_execz .LBB285_56
; %bb.53:                               ;   in Loop: Header=BB285_15 Depth=1
	v_and_b32_e32 v0, 7, v28
	v_lshrrev_b32_e32 v1, 3, v2
	s_mov_b32 s23, exec_lo
	v_cmpx_gt_u32_e32 8, v2
; %bb.54:                               ;   in Loop: Header=BB285_15 Depth=1
	v_ffbh_u32_e32 v0, v0
	v_min_u32_e32 v2, 32, v0
	v_subrev_nc_u32_e32 v0, 28, v2
	v_lshlrev_b64 v[0:1], v0, v[3:4]
	v_sub_nc_u32_e32 v1, 29, v2
	v_and_b32_e32 v0, 7, v0
; %bb.55:                               ;   in Loop: Header=BB285_15 Depth=1
	s_or_b32 exec_lo, exec_lo, s23
	v_lshlrev_b32_e32 v2, 8, v28
	v_lshl_add_u32 v1, v1, 10, 0x2000
	v_lshlrev_b32_e32 v0, 7, v0
	v_and_b32_e32 v2, 0x8000, v2
	v_and_b32_e32 v1, 0xfc00, v1
	v_or3_b32 v0, v2, v1, v0
	buffer_store_dword v0, off, s[0:3], s32 offset:228 ; 4-byte Folded Spill
.LBB285_56:                             ;   in Loop: Header=BB285_15 Depth=1
	s_or_b32 exec_lo, exec_lo, s22
.LBB285_57:                             ;   in Loop: Header=BB285_15 Depth=1
	s_or_b32 exec_lo, exec_lo, s21
.LBB285_58:                             ;   in Loop: Header=BB285_15 Depth=1
	s_or_b32 exec_lo, exec_lo, s20
	v_lshrrev_b16 v3, 8, v3
	v_mov_b32_e32 v0, 0
	s_mov_b32 s20, exec_lo
	buffer_store_dword v0, off, s[0:3], s32 offset:232 ; 4-byte Folded Spill
	v_cmpx_ne_u16_e32 0, v3
	s_cbranch_execz .LBB285_66
; %bb.59:                               ;   in Loop: Header=BB285_15 Depth=1
	v_bfrev_b32_e32 v0, 1
	s_mov_b32 s21, exec_lo
	buffer_store_dword v0, off, s[0:3], s32 offset:232 ; 4-byte Folded Spill
	v_cmpx_ne_u16_e32 0x80, v3
	s_cbranch_execz .LBB285_65
; %bb.60:                               ;   in Loop: Header=BB285_15 Depth=1
	v_mov_b32_e32 v0, 0x7f
	s_mov_b32 s22, exec_lo
	v_and_b32_sdwa v2, v3, v0 dst_sel:DWORD dst_unused:UNUSED_PAD src0_sel:WORD_0 src1_sel:DWORD
	v_mov_b32_e32 v0, 0x7c010000
	buffer_store_dword v0, off, s[0:3], s32 offset:232 ; 4-byte Folded Spill
	v_cmpx_ne_u32_e32 0x7f, v2
	s_cbranch_execz .LBB285_64
; %bb.61:                               ;   in Loop: Header=BB285_15 Depth=1
	v_mov_b32_e32 v0, 7
	v_lshrrev_b32_e32 v1, 3, v2
	s_mov_b32 s23, exec_lo
	v_and_b32_sdwa v0, v3, v0 dst_sel:DWORD dst_unused:UNUSED_PAD src0_sel:WORD_0 src1_sel:DWORD
	v_cmpx_gt_u32_e32 8, v2
; %bb.62:                               ;   in Loop: Header=BB285_15 Depth=1
	v_ffbh_u32_e32 v0, v0
	v_min_u32_e32 v2, 32, v0
	v_subrev_nc_u32_e32 v0, 28, v2
	v_lshlrev_b64 v[0:1], v0, v[3:4]
	v_sub_nc_u32_e32 v1, 29, v2
	v_and_b32_e32 v0, 7, v0
; %bb.63:                               ;   in Loop: Header=BB285_15 Depth=1
	s_or_b32 exec_lo, exec_lo, s23
	v_mov_b32_e32 v2, 8
	v_lshl_add_u32 v1, v1, 10, 0x2000
	v_lshlrev_b32_e32 v0, 23, v0
	v_lshlrev_b32_sdwa v2, v2, v3 dst_sel:DWORD dst_unused:UNUSED_PAD src0_sel:DWORD src1_sel:WORD_0
	v_and_or_b32 v1, 0x8000, v2, v1
	v_lshl_or_b32 v0, v1, 16, v0
	buffer_store_dword v0, off, s[0:3], s32 offset:232 ; 4-byte Folded Spill
.LBB285_64:                             ;   in Loop: Header=BB285_15 Depth=1
	s_or_b32 exec_lo, exec_lo, s22
.LBB285_65:                             ;   in Loop: Header=BB285_15 Depth=1
	s_or_b32 exec_lo, exec_lo, s21
.LBB285_66:                             ;   in Loop: Header=BB285_15 Depth=1
	s_or_b32 exec_lo, exec_lo, s20
	v_lshrrev_b32_e32 v3, 16, v28
	v_cmp_ne_u16_sdwa s5, v3, v4 src0_sel:BYTE_0 src1_sel:DWORD
	s_and_saveexec_b32 s20, s5
	s_cbranch_execz .LBB285_74
; %bb.67:                               ;   in Loop: Header=BB285_15 Depth=1
	v_cmp_ne_u16_sdwa s5, v3, v54 src0_sel:BYTE_0 src1_sel:DWORD
	v_mov_b32_e32 v0, 0x8000
	buffer_store_dword v0, off, s[0:3], s32 offset:224 ; 4-byte Folded Spill
	s_and_saveexec_b32 s21, s5
	s_cbranch_execz .LBB285_73
; %bb.68:                               ;   in Loop: Header=BB285_15 Depth=1
	v_bfe_u32 v2, v28, 16, 7
	v_mov_b32_e32 v0, 0x7c01
	s_mov_b32 s22, exec_lo
	buffer_store_dword v0, off, s[0:3], s32 offset:224 ; 4-byte Folded Spill
	v_cmpx_ne_u32_e32 0x7f, v2
	s_cbranch_execz .LBB285_72
; %bb.69:                               ;   in Loop: Header=BB285_15 Depth=1
	v_and_b32_e32 v0, 7, v3
	v_lshrrev_b32_e32 v1, 3, v2
	s_mov_b32 s23, exec_lo
	v_cmpx_gt_u32_e32 8, v2
; %bb.70:                               ;   in Loop: Header=BB285_15 Depth=1
	v_ffbh_u32_e32 v0, v0
	v_min_u32_e32 v2, 32, v0
	v_subrev_nc_u32_e32 v0, 28, v2
	v_lshlrev_b64 v[0:1], v0, v[3:4]
	v_sub_nc_u32_e32 v1, 29, v2
	v_and_b32_e32 v0, 7, v0
; %bb.71:                               ;   in Loop: Header=BB285_15 Depth=1
	s_or_b32 exec_lo, exec_lo, s23
	v_lshlrev_b32_e32 v2, 8, v3
	v_lshl_add_u32 v1, v1, 10, 0x2000
	v_lshlrev_b32_e32 v0, 7, v0
	v_and_b32_e32 v2, 0x8000, v2
	v_and_b32_e32 v1, 0xfc00, v1
	v_or3_b32 v0, v2, v1, v0
	buffer_store_dword v0, off, s[0:3], s32 offset:224 ; 4-byte Folded Spill
.LBB285_72:                             ;   in Loop: Header=BB285_15 Depth=1
	s_or_b32 exec_lo, exec_lo, s22
.LBB285_73:                             ;   in Loop: Header=BB285_15 Depth=1
	s_or_b32 exec_lo, exec_lo, s21
.LBB285_74:                             ;   in Loop: Header=BB285_15 Depth=1
	s_or_b32 exec_lo, exec_lo, s20
	v_mov_b32_e32 v0, 0
	s_mov_b32 s20, exec_lo
	buffer_store_dword v0, off, s[0:3], s32 offset:236 ; 4-byte Folded Spill
	v_mov_b32_e32 v0, 0
	buffer_store_dword v0, off, s[0:3], s32 offset:496 ; 4-byte Folded Spill
	v_cmpx_lt_u64_e64 s[12:13], v[27:28]
	s_cbranch_execz .LBB285_82
; %bb.75:                               ;   in Loop: Header=BB285_15 Depth=1
	v_lshrrev_b32_e32 v3, 24, v28
	v_bfrev_b32_e32 v0, 1
	s_mov_b32 s21, exec_lo
	v_cmpx_ne_u32_e32 0x80, v3
	s_cbranch_execz .LBB285_81
; %bb.76:                               ;   in Loop: Header=BB285_15 Depth=1
	v_and_b32_e32 v2, 0x7f, v3
	v_mov_b32_e32 v0, 0x7c010000
	s_mov_b32 s22, exec_lo
	v_cmpx_ne_u32_e32 0x7f, v2
	s_cbranch_execz .LBB285_80
; %bb.77:                               ;   in Loop: Header=BB285_15 Depth=1
	v_and_b32_e32 v0, 7, v3
	v_lshrrev_b32_e32 v1, 3, v2
	s_mov_b32 s23, exec_lo
	v_cmpx_gt_u32_e32 8, v2
; %bb.78:                               ;   in Loop: Header=BB285_15 Depth=1
	v_ffbh_u32_e32 v0, v0
	v_min_u32_e32 v2, 32, v0
	v_subrev_nc_u32_e32 v0, 28, v2
	v_lshlrev_b64 v[0:1], v0, v[3:4]
	v_sub_nc_u32_e32 v1, 29, v2
	v_and_b32_e32 v0, 7, v0
; %bb.79:                               ;   in Loop: Header=BB285_15 Depth=1
	s_or_b32 exec_lo, exec_lo, s23
	v_lshlrev_b32_e32 v2, 8, v3
	v_lshl_add_u32 v1, v1, 10, 0x2000
	v_lshlrev_b32_e32 v0, 23, v0
	v_and_or_b32 v1, 0x8000, v2, v1
	v_lshl_or_b32 v0, v1, 16, v0
.LBB285_80:                             ;   in Loop: Header=BB285_15 Depth=1
	s_or_b32 exec_lo, exec_lo, s22
.LBB285_81:                             ;   in Loop: Header=BB285_15 Depth=1
	s_or_b32 exec_lo, exec_lo, s21
	buffer_store_dword v0, off, s[0:3], s32 offset:496 ; 4-byte Folded Spill
.LBB285_82:                             ;   in Loop: Header=BB285_15 Depth=1
	s_or_b32 exec_lo, exec_lo, s20
	flat_load_dwordx2 v[27:28], v[24:25] offset:8
	s_waitcnt vmcnt(0) lgkmcnt(0)
	v_cmp_ne_u16_sdwa s5, v27, v4 src0_sel:BYTE_0 src1_sel:DWORD
	s_and_saveexec_b32 s20, s5
	s_cbranch_execz .LBB285_90
; %bb.83:                               ;   in Loop: Header=BB285_15 Depth=1
	v_cmp_ne_u16_sdwa s5, v27, v54 src0_sel:BYTE_0 src1_sel:DWORD
	v_mov_b32_e32 v0, 0x8000
	buffer_store_dword v0, off, s[0:3], s32 offset:236 ; 4-byte Folded Spill
	s_and_saveexec_b32 s21, s5
	s_cbranch_execz .LBB285_89
; %bb.84:                               ;   in Loop: Header=BB285_15 Depth=1
	v_and_b32_e32 v2, 0x7f, v27
	v_mov_b32_e32 v0, 0x7c01
	s_mov_b32 s22, exec_lo
	buffer_store_dword v0, off, s[0:3], s32 offset:236 ; 4-byte Folded Spill
	v_cmpx_ne_u32_e32 0x7f, v2
	s_cbranch_execz .LBB285_88
; %bb.85:                               ;   in Loop: Header=BB285_15 Depth=1
	v_and_b32_e32 v0, 7, v27
	v_lshrrev_b32_e32 v1, 3, v2
	s_mov_b32 s23, exec_lo
	v_cmpx_gt_u32_e32 8, v2
; %bb.86:                               ;   in Loop: Header=BB285_15 Depth=1
	v_ffbh_u32_e32 v0, v0
	v_min_u32_e32 v2, 32, v0
	v_subrev_nc_u32_e32 v0, 28, v2
	v_lshlrev_b64 v[0:1], v0, v[27:28]
	v_sub_nc_u32_e32 v1, 29, v2
	v_and_b32_e32 v0, 7, v0
; %bb.87:                               ;   in Loop: Header=BB285_15 Depth=1
	s_or_b32 exec_lo, exec_lo, s23
	v_lshlrev_b32_e32 v2, 8, v27
	v_lshl_add_u32 v1, v1, 10, 0x2000
	v_lshlrev_b32_e32 v0, 7, v0
	v_and_b32_e32 v2, 0x8000, v2
	v_and_b32_e32 v1, 0xfc00, v1
	v_or3_b32 v0, v2, v1, v0
	buffer_store_dword v0, off, s[0:3], s32 offset:236 ; 4-byte Folded Spill
.LBB285_88:                             ;   in Loop: Header=BB285_15 Depth=1
	s_or_b32 exec_lo, exec_lo, s22
.LBB285_89:                             ;   in Loop: Header=BB285_15 Depth=1
	s_or_b32 exec_lo, exec_lo, s21
.LBB285_90:                             ;   in Loop: Header=BB285_15 Depth=1
	s_or_b32 exec_lo, exec_lo, s20
	v_mov_b32_e32 v0, 0
	v_lshrrev_b16 v3, 8, v27
	s_mov_b32 s20, exec_lo
	buffer_store_dword v0, off, s[0:3], s32 offset:244 ; 4-byte Folded Spill
	v_mov_b32_e32 v0, 0
	buffer_store_dword v0, off, s[0:3], s32 offset:240 ; 4-byte Folded Spill
	v_cmpx_ne_u16_e32 0, v3
	s_cbranch_execz .LBB285_98
; %bb.91:                               ;   in Loop: Header=BB285_15 Depth=1
	v_bfrev_b32_e32 v0, 1
	s_mov_b32 s21, exec_lo
	buffer_store_dword v0, off, s[0:3], s32 offset:240 ; 4-byte Folded Spill
	v_cmpx_ne_u16_e32 0x80, v3
	s_cbranch_execz .LBB285_97
; %bb.92:                               ;   in Loop: Header=BB285_15 Depth=1
	v_mov_b32_e32 v0, 0x7f
	s_mov_b32 s22, exec_lo
	v_and_b32_sdwa v2, v3, v0 dst_sel:DWORD dst_unused:UNUSED_PAD src0_sel:WORD_0 src1_sel:DWORD
	v_mov_b32_e32 v0, 0x7c010000
	buffer_store_dword v0, off, s[0:3], s32 offset:240 ; 4-byte Folded Spill
	v_cmpx_ne_u32_e32 0x7f, v2
	s_cbranch_execz .LBB285_96
; %bb.93:                               ;   in Loop: Header=BB285_15 Depth=1
	v_mov_b32_e32 v0, 7
	v_lshrrev_b32_e32 v1, 3, v2
	s_mov_b32 s23, exec_lo
	v_and_b32_sdwa v0, v3, v0 dst_sel:DWORD dst_unused:UNUSED_PAD src0_sel:WORD_0 src1_sel:DWORD
	v_cmpx_gt_u32_e32 8, v2
; %bb.94:                               ;   in Loop: Header=BB285_15 Depth=1
	v_ffbh_u32_e32 v0, v0
	v_min_u32_e32 v2, 32, v0
	v_subrev_nc_u32_e32 v0, 28, v2
	v_lshlrev_b64 v[0:1], v0, v[3:4]
	v_sub_nc_u32_e32 v1, 29, v2
	v_and_b32_e32 v0, 7, v0
; %bb.95:                               ;   in Loop: Header=BB285_15 Depth=1
	s_or_b32 exec_lo, exec_lo, s23
	v_mov_b32_e32 v2, 8
	v_lshl_add_u32 v1, v1, 10, 0x2000
	v_lshlrev_b32_e32 v0, 23, v0
	v_lshlrev_b32_sdwa v2, v2, v3 dst_sel:DWORD dst_unused:UNUSED_PAD src0_sel:DWORD src1_sel:WORD_0
	v_and_or_b32 v1, 0x8000, v2, v1
	v_lshl_or_b32 v0, v1, 16, v0
	buffer_store_dword v0, off, s[0:3], s32 offset:240 ; 4-byte Folded Spill
.LBB285_96:                             ;   in Loop: Header=BB285_15 Depth=1
	s_or_b32 exec_lo, exec_lo, s22
.LBB285_97:                             ;   in Loop: Header=BB285_15 Depth=1
	s_or_b32 exec_lo, exec_lo, s21
.LBB285_98:                             ;   in Loop: Header=BB285_15 Depth=1
	s_or_b32 exec_lo, exec_lo, s20
	v_lshrrev_b32_e32 v3, 16, v27
	v_cmp_ne_u16_sdwa s5, v3, v4 src0_sel:BYTE_0 src1_sel:DWORD
	s_and_saveexec_b32 s20, s5
	s_cbranch_execz .LBB285_106
; %bb.99:                               ;   in Loop: Header=BB285_15 Depth=1
	v_cmp_ne_u16_sdwa s5, v3, v54 src0_sel:BYTE_0 src1_sel:DWORD
	v_mov_b32_e32 v0, 0x8000
	buffer_store_dword v0, off, s[0:3], s32 offset:244 ; 4-byte Folded Spill
	s_and_saveexec_b32 s21, s5
	s_cbranch_execz .LBB285_105
; %bb.100:                              ;   in Loop: Header=BB285_15 Depth=1
	v_bfe_u32 v2, v27, 16, 7
	v_mov_b32_e32 v0, 0x7c01
	s_mov_b32 s22, exec_lo
	buffer_store_dword v0, off, s[0:3], s32 offset:244 ; 4-byte Folded Spill
	v_cmpx_ne_u32_e32 0x7f, v2
	s_cbranch_execz .LBB285_104
; %bb.101:                              ;   in Loop: Header=BB285_15 Depth=1
	v_and_b32_e32 v0, 7, v3
	v_lshrrev_b32_e32 v1, 3, v2
	s_mov_b32 s23, exec_lo
	v_cmpx_gt_u32_e32 8, v2
; %bb.102:                              ;   in Loop: Header=BB285_15 Depth=1
	v_ffbh_u32_e32 v0, v0
	v_min_u32_e32 v2, 32, v0
	v_subrev_nc_u32_e32 v0, 28, v2
	v_lshlrev_b64 v[0:1], v0, v[3:4]
	v_sub_nc_u32_e32 v1, 29, v2
	v_and_b32_e32 v0, 7, v0
; %bb.103:                              ;   in Loop: Header=BB285_15 Depth=1
	s_or_b32 exec_lo, exec_lo, s23
	v_lshlrev_b32_e32 v2, 8, v3
	v_lshl_add_u32 v1, v1, 10, 0x2000
	v_lshlrev_b32_e32 v0, 7, v0
	v_and_b32_e32 v2, 0x8000, v2
	v_and_b32_e32 v1, 0xfc00, v1
	v_or3_b32 v0, v2, v1, v0
	buffer_store_dword v0, off, s[0:3], s32 offset:244 ; 4-byte Folded Spill
.LBB285_104:                            ;   in Loop: Header=BB285_15 Depth=1
	s_or_b32 exec_lo, exec_lo, s22
.LBB285_105:                            ;   in Loop: Header=BB285_15 Depth=1
	s_or_b32 exec_lo, exec_lo, s21
.LBB285_106:                            ;   in Loop: Header=BB285_15 Depth=1
	s_or_b32 exec_lo, exec_lo, s20
	v_mov_b32_e32 v0, 0
	s_mov_b32 s20, exec_lo
	buffer_store_dword v0, off, s[0:3], s32 offset:248 ; 4-byte Folded Spill
	v_mov_b32_e32 v0, 0
	buffer_store_dword v0, off, s[0:3], s32 offset:252 ; 4-byte Folded Spill
	v_cmpx_lt_u32_e32 0xffffff, v27
	s_cbranch_execz .LBB285_114
; %bb.107:                              ;   in Loop: Header=BB285_15 Depth=1
	v_lshrrev_b32_e32 v3, 24, v27
	v_bfrev_b32_e32 v0, 1
	s_mov_b32 s21, exec_lo
	buffer_store_dword v0, off, s[0:3], s32 offset:252 ; 4-byte Folded Spill
	v_cmpx_ne_u32_e32 0x80, v3
	s_cbranch_execz .LBB285_113
; %bb.108:                              ;   in Loop: Header=BB285_15 Depth=1
	v_and_b32_e32 v2, 0x7f, v3
	v_mov_b32_e32 v0, 0x7c010000
	s_mov_b32 s22, exec_lo
	buffer_store_dword v0, off, s[0:3], s32 offset:252 ; 4-byte Folded Spill
	v_cmpx_ne_u32_e32 0x7f, v2
	s_cbranch_execz .LBB285_112
; %bb.109:                              ;   in Loop: Header=BB285_15 Depth=1
	v_and_b32_e32 v0, 7, v3
	v_lshrrev_b32_e32 v1, 3, v2
	s_mov_b32 s23, exec_lo
	v_cmpx_gt_u32_e32 8, v2
; %bb.110:                              ;   in Loop: Header=BB285_15 Depth=1
	v_ffbh_u32_e32 v0, v0
	v_min_u32_e32 v2, 32, v0
	v_subrev_nc_u32_e32 v0, 28, v2
	v_lshlrev_b64 v[0:1], v0, v[3:4]
	v_sub_nc_u32_e32 v1, 29, v2
	v_and_b32_e32 v0, 7, v0
; %bb.111:                              ;   in Loop: Header=BB285_15 Depth=1
	s_or_b32 exec_lo, exec_lo, s23
	v_lshlrev_b32_e32 v2, 8, v3
	v_lshl_add_u32 v1, v1, 10, 0x2000
	v_lshlrev_b32_e32 v0, 23, v0
	v_and_or_b32 v1, 0x8000, v2, v1
	v_lshl_or_b32 v0, v1, 16, v0
	buffer_store_dword v0, off, s[0:3], s32 offset:252 ; 4-byte Folded Spill
.LBB285_112:                            ;   in Loop: Header=BB285_15 Depth=1
	s_or_b32 exec_lo, exec_lo, s22
.LBB285_113:                            ;   in Loop: Header=BB285_15 Depth=1
	s_or_b32 exec_lo, exec_lo, s21
.LBB285_114:                            ;   in Loop: Header=BB285_15 Depth=1
	s_or_b32 exec_lo, exec_lo, s20
	v_mov_b32_e32 v3, v28
	v_cmp_ne_u16_sdwa s5, v28, v4 src0_sel:BYTE_0 src1_sel:DWORD
	s_and_saveexec_b32 s20, s5
	s_cbranch_execz .LBB285_122
; %bb.115:                              ;   in Loop: Header=BB285_15 Depth=1
	v_cmp_ne_u16_sdwa s5, v28, v54 src0_sel:BYTE_0 src1_sel:DWORD
	v_mov_b32_e32 v0, 0x8000
	buffer_store_dword v0, off, s[0:3], s32 offset:248 ; 4-byte Folded Spill
	s_and_saveexec_b32 s21, s5
	s_cbranch_execz .LBB285_121
; %bb.116:                              ;   in Loop: Header=BB285_15 Depth=1
	v_and_b32_e32 v2, 0x7f, v28
	v_mov_b32_e32 v0, 0x7c01
	s_mov_b32 s22, exec_lo
	buffer_store_dword v0, off, s[0:3], s32 offset:248 ; 4-byte Folded Spill
	v_cmpx_ne_u32_e32 0x7f, v2
	s_cbranch_execz .LBB285_120
; %bb.117:                              ;   in Loop: Header=BB285_15 Depth=1
	v_and_b32_e32 v0, 7, v28
	v_lshrrev_b32_e32 v1, 3, v2
	s_mov_b32 s23, exec_lo
	v_cmpx_gt_u32_e32 8, v2
; %bb.118:                              ;   in Loop: Header=BB285_15 Depth=1
	v_ffbh_u32_e32 v0, v0
	v_min_u32_e32 v2, 32, v0
	v_subrev_nc_u32_e32 v0, 28, v2
	v_lshlrev_b64 v[0:1], v0, v[3:4]
	v_sub_nc_u32_e32 v1, 29, v2
	v_and_b32_e32 v0, 7, v0
; %bb.119:                              ;   in Loop: Header=BB285_15 Depth=1
	s_or_b32 exec_lo, exec_lo, s23
	v_lshlrev_b32_e32 v2, 8, v28
	v_lshl_add_u32 v1, v1, 10, 0x2000
	v_lshlrev_b32_e32 v0, 7, v0
	v_and_b32_e32 v2, 0x8000, v2
	v_and_b32_e32 v1, 0xfc00, v1
	v_or3_b32 v0, v2, v1, v0
	buffer_store_dword v0, off, s[0:3], s32 offset:248 ; 4-byte Folded Spill
.LBB285_120:                            ;   in Loop: Header=BB285_15 Depth=1
	s_or_b32 exec_lo, exec_lo, s22
.LBB285_121:                            ;   in Loop: Header=BB285_15 Depth=1
	s_or_b32 exec_lo, exec_lo, s21
.LBB285_122:                            ;   in Loop: Header=BB285_15 Depth=1
	s_or_b32 exec_lo, exec_lo, s20
	v_mov_b32_e32 v0, 0
	v_lshrrev_b16 v3, 8, v3
	s_mov_b32 s20, exec_lo
	buffer_store_dword v0, off, s[0:3], s32 offset:256 ; 4-byte Folded Spill
	v_mov_b32_e32 v0, 0
	buffer_store_dword v0, off, s[0:3], s32 offset:260 ; 4-byte Folded Spill
	v_cmpx_ne_u16_e32 0, v3
	s_cbranch_execz .LBB285_130
; %bb.123:                              ;   in Loop: Header=BB285_15 Depth=1
	v_bfrev_b32_e32 v0, 1
	s_mov_b32 s21, exec_lo
	buffer_store_dword v0, off, s[0:3], s32 offset:260 ; 4-byte Folded Spill
	v_cmpx_ne_u16_e32 0x80, v3
	s_cbranch_execz .LBB285_129
; %bb.124:                              ;   in Loop: Header=BB285_15 Depth=1
	v_mov_b32_e32 v0, 0x7f
	s_mov_b32 s22, exec_lo
	v_and_b32_sdwa v2, v3, v0 dst_sel:DWORD dst_unused:UNUSED_PAD src0_sel:WORD_0 src1_sel:DWORD
	v_mov_b32_e32 v0, 0x7c010000
	buffer_store_dword v0, off, s[0:3], s32 offset:260 ; 4-byte Folded Spill
	v_cmpx_ne_u32_e32 0x7f, v2
	s_cbranch_execz .LBB285_128
; %bb.125:                              ;   in Loop: Header=BB285_15 Depth=1
	v_mov_b32_e32 v0, 7
	v_lshrrev_b32_e32 v1, 3, v2
	s_mov_b32 s23, exec_lo
	v_and_b32_sdwa v0, v3, v0 dst_sel:DWORD dst_unused:UNUSED_PAD src0_sel:WORD_0 src1_sel:DWORD
	v_cmpx_gt_u32_e32 8, v2
; %bb.126:                              ;   in Loop: Header=BB285_15 Depth=1
	v_ffbh_u32_e32 v0, v0
	v_min_u32_e32 v2, 32, v0
	v_subrev_nc_u32_e32 v0, 28, v2
	v_lshlrev_b64 v[0:1], v0, v[3:4]
	v_sub_nc_u32_e32 v1, 29, v2
	v_and_b32_e32 v0, 7, v0
; %bb.127:                              ;   in Loop: Header=BB285_15 Depth=1
	s_or_b32 exec_lo, exec_lo, s23
	v_mov_b32_e32 v2, 8
	v_lshl_add_u32 v1, v1, 10, 0x2000
	v_lshlrev_b32_e32 v0, 23, v0
	v_lshlrev_b32_sdwa v2, v2, v3 dst_sel:DWORD dst_unused:UNUSED_PAD src0_sel:DWORD src1_sel:WORD_0
	v_and_or_b32 v1, 0x8000, v2, v1
	v_lshl_or_b32 v0, v1, 16, v0
	buffer_store_dword v0, off, s[0:3], s32 offset:260 ; 4-byte Folded Spill
.LBB285_128:                            ;   in Loop: Header=BB285_15 Depth=1
	s_or_b32 exec_lo, exec_lo, s22
.LBB285_129:                            ;   in Loop: Header=BB285_15 Depth=1
	s_or_b32 exec_lo, exec_lo, s21
.LBB285_130:                            ;   in Loop: Header=BB285_15 Depth=1
	s_or_b32 exec_lo, exec_lo, s20
	v_lshrrev_b32_e32 v3, 16, v28
	v_cmp_ne_u16_sdwa s5, v3, v4 src0_sel:BYTE_0 src1_sel:DWORD
	s_and_saveexec_b32 s20, s5
	s_cbranch_execz .LBB285_138
; %bb.131:                              ;   in Loop: Header=BB285_15 Depth=1
	v_cmp_ne_u16_sdwa s5, v3, v54 src0_sel:BYTE_0 src1_sel:DWORD
	v_mov_b32_e32 v0, 0x8000
	buffer_store_dword v0, off, s[0:3], s32 offset:256 ; 4-byte Folded Spill
	s_and_saveexec_b32 s21, s5
	s_cbranch_execz .LBB285_137
; %bb.132:                              ;   in Loop: Header=BB285_15 Depth=1
	v_bfe_u32 v2, v28, 16, 7
	v_mov_b32_e32 v0, 0x7c01
	s_mov_b32 s22, exec_lo
	buffer_store_dword v0, off, s[0:3], s32 offset:256 ; 4-byte Folded Spill
	v_cmpx_ne_u32_e32 0x7f, v2
	s_cbranch_execz .LBB285_136
; %bb.133:                              ;   in Loop: Header=BB285_15 Depth=1
	v_and_b32_e32 v0, 7, v3
	v_lshrrev_b32_e32 v1, 3, v2
	s_mov_b32 s23, exec_lo
	v_cmpx_gt_u32_e32 8, v2
; %bb.134:                              ;   in Loop: Header=BB285_15 Depth=1
	v_ffbh_u32_e32 v0, v0
	v_min_u32_e32 v2, 32, v0
	v_subrev_nc_u32_e32 v0, 28, v2
	v_lshlrev_b64 v[0:1], v0, v[3:4]
	v_sub_nc_u32_e32 v1, 29, v2
	v_and_b32_e32 v0, 7, v0
; %bb.135:                              ;   in Loop: Header=BB285_15 Depth=1
	s_or_b32 exec_lo, exec_lo, s23
	v_lshlrev_b32_e32 v2, 8, v3
	v_lshl_add_u32 v1, v1, 10, 0x2000
	v_lshlrev_b32_e32 v0, 7, v0
	v_and_b32_e32 v2, 0x8000, v2
	v_and_b32_e32 v1, 0xfc00, v1
	v_or3_b32 v0, v2, v1, v0
	buffer_store_dword v0, off, s[0:3], s32 offset:256 ; 4-byte Folded Spill
.LBB285_136:                            ;   in Loop: Header=BB285_15 Depth=1
	s_or_b32 exec_lo, exec_lo, s22
.LBB285_137:                            ;   in Loop: Header=BB285_15 Depth=1
	s_or_b32 exec_lo, exec_lo, s21
.LBB285_138:                            ;   in Loop: Header=BB285_15 Depth=1
	s_or_b32 exec_lo, exec_lo, s20
	v_mov_b32_e32 v0, 0
	s_mov_b32 s20, exec_lo
	buffer_store_dword v0, off, s[0:3], s32 offset:264 ; 4-byte Folded Spill
	v_mov_b32_e32 v0, 0
	buffer_store_dword v0, off, s[0:3], s32 offset:500 ; 4-byte Folded Spill
	v_cmpx_lt_u64_e64 s[12:13], v[27:28]
	s_cbranch_execz .LBB285_146
; %bb.139:                              ;   in Loop: Header=BB285_15 Depth=1
	v_lshrrev_b32_e32 v3, 24, v28
	v_bfrev_b32_e32 v0, 1
	s_mov_b32 s21, exec_lo
	v_cmpx_ne_u32_e32 0x80, v3
	s_cbranch_execz .LBB285_145
; %bb.140:                              ;   in Loop: Header=BB285_15 Depth=1
	v_and_b32_e32 v2, 0x7f, v3
	v_mov_b32_e32 v0, 0x7c010000
	s_mov_b32 s22, exec_lo
	v_cmpx_ne_u32_e32 0x7f, v2
	s_cbranch_execz .LBB285_144
; %bb.141:                              ;   in Loop: Header=BB285_15 Depth=1
	v_and_b32_e32 v0, 7, v3
	v_lshrrev_b32_e32 v1, 3, v2
	s_mov_b32 s23, exec_lo
	v_cmpx_gt_u32_e32 8, v2
; %bb.142:                              ;   in Loop: Header=BB285_15 Depth=1
	v_ffbh_u32_e32 v0, v0
	v_min_u32_e32 v2, 32, v0
	v_subrev_nc_u32_e32 v0, 28, v2
	v_lshlrev_b64 v[0:1], v0, v[3:4]
	v_sub_nc_u32_e32 v1, 29, v2
	v_and_b32_e32 v0, 7, v0
; %bb.143:                              ;   in Loop: Header=BB285_15 Depth=1
	s_or_b32 exec_lo, exec_lo, s23
	v_lshlrev_b32_e32 v2, 8, v3
	v_lshl_add_u32 v1, v1, 10, 0x2000
	v_lshlrev_b32_e32 v0, 23, v0
	v_and_or_b32 v1, 0x8000, v2, v1
	v_lshl_or_b32 v0, v1, 16, v0
.LBB285_144:                            ;   in Loop: Header=BB285_15 Depth=1
	s_or_b32 exec_lo, exec_lo, s22
.LBB285_145:                            ;   in Loop: Header=BB285_15 Depth=1
	s_or_b32 exec_lo, exec_lo, s21
	buffer_store_dword v0, off, s[0:3], s32 offset:500 ; 4-byte Folded Spill
.LBB285_146:                            ;   in Loop: Header=BB285_15 Depth=1
	s_or_b32 exec_lo, exec_lo, s20
	flat_load_dwordx2 v[27:28], v[24:25] offset:512
	s_waitcnt vmcnt(0) lgkmcnt(0)
	v_cmp_ne_u16_sdwa s5, v27, v4 src0_sel:BYTE_0 src1_sel:DWORD
	s_and_saveexec_b32 s20, s5
	s_cbranch_execz .LBB285_154
; %bb.147:                              ;   in Loop: Header=BB285_15 Depth=1
	v_cmp_ne_u16_sdwa s5, v27, v54 src0_sel:BYTE_0 src1_sel:DWORD
	v_mov_b32_e32 v0, 0x8000
	buffer_store_dword v0, off, s[0:3], s32 offset:264 ; 4-byte Folded Spill
	s_and_saveexec_b32 s21, s5
	s_cbranch_execz .LBB285_153
; %bb.148:                              ;   in Loop: Header=BB285_15 Depth=1
	v_and_b32_e32 v2, 0x7f, v27
	v_mov_b32_e32 v0, 0x7c01
	s_mov_b32 s22, exec_lo
	buffer_store_dword v0, off, s[0:3], s32 offset:264 ; 4-byte Folded Spill
	v_cmpx_ne_u32_e32 0x7f, v2
	s_cbranch_execz .LBB285_152
; %bb.149:                              ;   in Loop: Header=BB285_15 Depth=1
	v_and_b32_e32 v0, 7, v27
	v_lshrrev_b32_e32 v1, 3, v2
	s_mov_b32 s23, exec_lo
	v_cmpx_gt_u32_e32 8, v2
; %bb.150:                              ;   in Loop: Header=BB285_15 Depth=1
	v_ffbh_u32_e32 v0, v0
	v_min_u32_e32 v2, 32, v0
	v_subrev_nc_u32_e32 v0, 28, v2
	v_lshlrev_b64 v[0:1], v0, v[27:28]
	v_sub_nc_u32_e32 v1, 29, v2
	v_and_b32_e32 v0, 7, v0
; %bb.151:                              ;   in Loop: Header=BB285_15 Depth=1
	s_or_b32 exec_lo, exec_lo, s23
	v_lshlrev_b32_e32 v2, 8, v27
	v_lshl_add_u32 v1, v1, 10, 0x2000
	v_lshlrev_b32_e32 v0, 7, v0
	v_and_b32_e32 v2, 0x8000, v2
	v_and_b32_e32 v1, 0xfc00, v1
	v_or3_b32 v0, v2, v1, v0
	buffer_store_dword v0, off, s[0:3], s32 offset:264 ; 4-byte Folded Spill
.LBB285_152:                            ;   in Loop: Header=BB285_15 Depth=1
	s_or_b32 exec_lo, exec_lo, s22
.LBB285_153:                            ;   in Loop: Header=BB285_15 Depth=1
	s_or_b32 exec_lo, exec_lo, s21
.LBB285_154:                            ;   in Loop: Header=BB285_15 Depth=1
	s_or_b32 exec_lo, exec_lo, s20
	v_mov_b32_e32 v0, 0
	v_lshrrev_b16 v3, 8, v27
	s_mov_b32 s20, exec_lo
	buffer_store_dword v0, off, s[0:3], s32 offset:272 ; 4-byte Folded Spill
	v_mov_b32_e32 v0, 0
	buffer_store_dword v0, off, s[0:3], s32 offset:268 ; 4-byte Folded Spill
	v_cmpx_ne_u16_e32 0, v3
	s_cbranch_execz .LBB285_162
; %bb.155:                              ;   in Loop: Header=BB285_15 Depth=1
	v_bfrev_b32_e32 v0, 1
	s_mov_b32 s21, exec_lo
	buffer_store_dword v0, off, s[0:3], s32 offset:268 ; 4-byte Folded Spill
	v_cmpx_ne_u16_e32 0x80, v3
	s_cbranch_execz .LBB285_161
; %bb.156:                              ;   in Loop: Header=BB285_15 Depth=1
	v_mov_b32_e32 v0, 0x7f
	s_mov_b32 s22, exec_lo
	v_and_b32_sdwa v2, v3, v0 dst_sel:DWORD dst_unused:UNUSED_PAD src0_sel:WORD_0 src1_sel:DWORD
	v_mov_b32_e32 v0, 0x7c010000
	buffer_store_dword v0, off, s[0:3], s32 offset:268 ; 4-byte Folded Spill
	v_cmpx_ne_u32_e32 0x7f, v2
	s_cbranch_execz .LBB285_160
; %bb.157:                              ;   in Loop: Header=BB285_15 Depth=1
	v_mov_b32_e32 v0, 7
	v_lshrrev_b32_e32 v1, 3, v2
	s_mov_b32 s23, exec_lo
	v_and_b32_sdwa v0, v3, v0 dst_sel:DWORD dst_unused:UNUSED_PAD src0_sel:WORD_0 src1_sel:DWORD
	v_cmpx_gt_u32_e32 8, v2
; %bb.158:                              ;   in Loop: Header=BB285_15 Depth=1
	v_ffbh_u32_e32 v0, v0
	v_min_u32_e32 v2, 32, v0
	v_subrev_nc_u32_e32 v0, 28, v2
	v_lshlrev_b64 v[0:1], v0, v[3:4]
	v_sub_nc_u32_e32 v1, 29, v2
	v_and_b32_e32 v0, 7, v0
; %bb.159:                              ;   in Loop: Header=BB285_15 Depth=1
	s_or_b32 exec_lo, exec_lo, s23
	v_mov_b32_e32 v2, 8
	v_lshl_add_u32 v1, v1, 10, 0x2000
	v_lshlrev_b32_e32 v0, 23, v0
	v_lshlrev_b32_sdwa v2, v2, v3 dst_sel:DWORD dst_unused:UNUSED_PAD src0_sel:DWORD src1_sel:WORD_0
	v_and_or_b32 v1, 0x8000, v2, v1
	v_lshl_or_b32 v0, v1, 16, v0
	buffer_store_dword v0, off, s[0:3], s32 offset:268 ; 4-byte Folded Spill
.LBB285_160:                            ;   in Loop: Header=BB285_15 Depth=1
	s_or_b32 exec_lo, exec_lo, s22
.LBB285_161:                            ;   in Loop: Header=BB285_15 Depth=1
	s_or_b32 exec_lo, exec_lo, s21
.LBB285_162:                            ;   in Loop: Header=BB285_15 Depth=1
	s_or_b32 exec_lo, exec_lo, s20
	v_lshrrev_b32_e32 v3, 16, v27
	v_cmp_ne_u16_sdwa s5, v3, v4 src0_sel:BYTE_0 src1_sel:DWORD
	s_and_saveexec_b32 s20, s5
	s_cbranch_execz .LBB285_170
; %bb.163:                              ;   in Loop: Header=BB285_15 Depth=1
	v_cmp_ne_u16_sdwa s5, v3, v54 src0_sel:BYTE_0 src1_sel:DWORD
	v_mov_b32_e32 v0, 0x8000
	buffer_store_dword v0, off, s[0:3], s32 offset:272 ; 4-byte Folded Spill
	s_and_saveexec_b32 s21, s5
	s_cbranch_execz .LBB285_169
; %bb.164:                              ;   in Loop: Header=BB285_15 Depth=1
	v_bfe_u32 v2, v27, 16, 7
	v_mov_b32_e32 v0, 0x7c01
	s_mov_b32 s22, exec_lo
	buffer_store_dword v0, off, s[0:3], s32 offset:272 ; 4-byte Folded Spill
	v_cmpx_ne_u32_e32 0x7f, v2
	s_cbranch_execz .LBB285_168
; %bb.165:                              ;   in Loop: Header=BB285_15 Depth=1
	v_and_b32_e32 v0, 7, v3
	v_lshrrev_b32_e32 v1, 3, v2
	s_mov_b32 s23, exec_lo
	v_cmpx_gt_u32_e32 8, v2
; %bb.166:                              ;   in Loop: Header=BB285_15 Depth=1
	v_ffbh_u32_e32 v0, v0
	v_min_u32_e32 v2, 32, v0
	v_subrev_nc_u32_e32 v0, 28, v2
	v_lshlrev_b64 v[0:1], v0, v[3:4]
	v_sub_nc_u32_e32 v1, 29, v2
	v_and_b32_e32 v0, 7, v0
; %bb.167:                              ;   in Loop: Header=BB285_15 Depth=1
	s_or_b32 exec_lo, exec_lo, s23
	v_lshlrev_b32_e32 v2, 8, v3
	v_lshl_add_u32 v1, v1, 10, 0x2000
	v_lshlrev_b32_e32 v0, 7, v0
	v_and_b32_e32 v2, 0x8000, v2
	v_and_b32_e32 v1, 0xfc00, v1
	v_or3_b32 v0, v2, v1, v0
	buffer_store_dword v0, off, s[0:3], s32 offset:272 ; 4-byte Folded Spill
.LBB285_168:                            ;   in Loop: Header=BB285_15 Depth=1
	s_or_b32 exec_lo, exec_lo, s22
.LBB285_169:                            ;   in Loop: Header=BB285_15 Depth=1
	s_or_b32 exec_lo, exec_lo, s21
.LBB285_170:                            ;   in Loop: Header=BB285_15 Depth=1
	s_or_b32 exec_lo, exec_lo, s20
	v_mov_b32_e32 v0, 0
	s_mov_b32 s20, exec_lo
	buffer_store_dword v0, off, s[0:3], s32 offset:276 ; 4-byte Folded Spill
	v_mov_b32_e32 v0, 0
	buffer_store_dword v0, off, s[0:3], s32 offset:280 ; 4-byte Folded Spill
	v_cmpx_lt_u32_e32 0xffffff, v27
	s_cbranch_execz .LBB285_178
; %bb.171:                              ;   in Loop: Header=BB285_15 Depth=1
	v_lshrrev_b32_e32 v3, 24, v27
	v_bfrev_b32_e32 v0, 1
	s_mov_b32 s21, exec_lo
	buffer_store_dword v0, off, s[0:3], s32 offset:280 ; 4-byte Folded Spill
	v_cmpx_ne_u32_e32 0x80, v3
	s_cbranch_execz .LBB285_177
; %bb.172:                              ;   in Loop: Header=BB285_15 Depth=1
	v_and_b32_e32 v2, 0x7f, v3
	v_mov_b32_e32 v0, 0x7c010000
	s_mov_b32 s22, exec_lo
	buffer_store_dword v0, off, s[0:3], s32 offset:280 ; 4-byte Folded Spill
	v_cmpx_ne_u32_e32 0x7f, v2
	s_cbranch_execz .LBB285_176
; %bb.173:                              ;   in Loop: Header=BB285_15 Depth=1
	v_and_b32_e32 v0, 7, v3
	v_lshrrev_b32_e32 v1, 3, v2
	s_mov_b32 s23, exec_lo
	v_cmpx_gt_u32_e32 8, v2
; %bb.174:                              ;   in Loop: Header=BB285_15 Depth=1
	v_ffbh_u32_e32 v0, v0
	v_min_u32_e32 v2, 32, v0
	v_subrev_nc_u32_e32 v0, 28, v2
	v_lshlrev_b64 v[0:1], v0, v[3:4]
	v_sub_nc_u32_e32 v1, 29, v2
	v_and_b32_e32 v0, 7, v0
; %bb.175:                              ;   in Loop: Header=BB285_15 Depth=1
	s_or_b32 exec_lo, exec_lo, s23
	v_lshlrev_b32_e32 v2, 8, v3
	v_lshl_add_u32 v1, v1, 10, 0x2000
	v_lshlrev_b32_e32 v0, 23, v0
	v_and_or_b32 v1, 0x8000, v2, v1
	v_lshl_or_b32 v0, v1, 16, v0
	buffer_store_dword v0, off, s[0:3], s32 offset:280 ; 4-byte Folded Spill
.LBB285_176:                            ;   in Loop: Header=BB285_15 Depth=1
	s_or_b32 exec_lo, exec_lo, s22
.LBB285_177:                            ;   in Loop: Header=BB285_15 Depth=1
	s_or_b32 exec_lo, exec_lo, s21
.LBB285_178:                            ;   in Loop: Header=BB285_15 Depth=1
	s_or_b32 exec_lo, exec_lo, s20
	v_mov_b32_e32 v3, v28
	v_cmp_ne_u16_sdwa s5, v28, v4 src0_sel:BYTE_0 src1_sel:DWORD
	s_and_saveexec_b32 s20, s5
	s_cbranch_execz .LBB285_186
; %bb.179:                              ;   in Loop: Header=BB285_15 Depth=1
	v_cmp_ne_u16_sdwa s5, v28, v54 src0_sel:BYTE_0 src1_sel:DWORD
	v_mov_b32_e32 v0, 0x8000
	buffer_store_dword v0, off, s[0:3], s32 offset:276 ; 4-byte Folded Spill
	s_and_saveexec_b32 s21, s5
	s_cbranch_execz .LBB285_185
; %bb.180:                              ;   in Loop: Header=BB285_15 Depth=1
	v_and_b32_e32 v2, 0x7f, v28
	v_mov_b32_e32 v0, 0x7c01
	s_mov_b32 s22, exec_lo
	buffer_store_dword v0, off, s[0:3], s32 offset:276 ; 4-byte Folded Spill
	v_cmpx_ne_u32_e32 0x7f, v2
	s_cbranch_execz .LBB285_184
; %bb.181:                              ;   in Loop: Header=BB285_15 Depth=1
	v_and_b32_e32 v0, 7, v28
	v_lshrrev_b32_e32 v1, 3, v2
	s_mov_b32 s23, exec_lo
	v_cmpx_gt_u32_e32 8, v2
; %bb.182:                              ;   in Loop: Header=BB285_15 Depth=1
	v_ffbh_u32_e32 v0, v0
	v_min_u32_e32 v2, 32, v0
	v_subrev_nc_u32_e32 v0, 28, v2
	v_lshlrev_b64 v[0:1], v0, v[3:4]
	v_sub_nc_u32_e32 v1, 29, v2
	v_and_b32_e32 v0, 7, v0
; %bb.183:                              ;   in Loop: Header=BB285_15 Depth=1
	s_or_b32 exec_lo, exec_lo, s23
	v_lshlrev_b32_e32 v2, 8, v28
	v_lshl_add_u32 v1, v1, 10, 0x2000
	v_lshlrev_b32_e32 v0, 7, v0
	v_and_b32_e32 v2, 0x8000, v2
	v_and_b32_e32 v1, 0xfc00, v1
	v_or3_b32 v0, v2, v1, v0
	buffer_store_dword v0, off, s[0:3], s32 offset:276 ; 4-byte Folded Spill
.LBB285_184:                            ;   in Loop: Header=BB285_15 Depth=1
	s_or_b32 exec_lo, exec_lo, s22
.LBB285_185:                            ;   in Loop: Header=BB285_15 Depth=1
	s_or_b32 exec_lo, exec_lo, s21
.LBB285_186:                            ;   in Loop: Header=BB285_15 Depth=1
	s_or_b32 exec_lo, exec_lo, s20
	v_mov_b32_e32 v0, 0
	v_lshrrev_b16 v3, 8, v3
	s_mov_b32 s20, exec_lo
	buffer_store_dword v0, off, s[0:3], s32 offset:284 ; 4-byte Folded Spill
	v_mov_b32_e32 v0, 0
	buffer_store_dword v0, off, s[0:3], s32 offset:288 ; 4-byte Folded Spill
	v_cmpx_ne_u16_e32 0, v3
	s_cbranch_execz .LBB285_194
; %bb.187:                              ;   in Loop: Header=BB285_15 Depth=1
	v_bfrev_b32_e32 v0, 1
	s_mov_b32 s21, exec_lo
	buffer_store_dword v0, off, s[0:3], s32 offset:288 ; 4-byte Folded Spill
	v_cmpx_ne_u16_e32 0x80, v3
	s_cbranch_execz .LBB285_193
; %bb.188:                              ;   in Loop: Header=BB285_15 Depth=1
	v_mov_b32_e32 v0, 0x7f
	s_mov_b32 s22, exec_lo
	v_and_b32_sdwa v2, v3, v0 dst_sel:DWORD dst_unused:UNUSED_PAD src0_sel:WORD_0 src1_sel:DWORD
	v_mov_b32_e32 v0, 0x7c010000
	buffer_store_dword v0, off, s[0:3], s32 offset:288 ; 4-byte Folded Spill
	v_cmpx_ne_u32_e32 0x7f, v2
	s_cbranch_execz .LBB285_192
; %bb.189:                              ;   in Loop: Header=BB285_15 Depth=1
	v_mov_b32_e32 v0, 7
	v_lshrrev_b32_e32 v1, 3, v2
	s_mov_b32 s23, exec_lo
	v_and_b32_sdwa v0, v3, v0 dst_sel:DWORD dst_unused:UNUSED_PAD src0_sel:WORD_0 src1_sel:DWORD
	v_cmpx_gt_u32_e32 8, v2
; %bb.190:                              ;   in Loop: Header=BB285_15 Depth=1
	v_ffbh_u32_e32 v0, v0
	v_min_u32_e32 v2, 32, v0
	v_subrev_nc_u32_e32 v0, 28, v2
	v_lshlrev_b64 v[0:1], v0, v[3:4]
	v_sub_nc_u32_e32 v1, 29, v2
	v_and_b32_e32 v0, 7, v0
; %bb.191:                              ;   in Loop: Header=BB285_15 Depth=1
	s_or_b32 exec_lo, exec_lo, s23
	v_mov_b32_e32 v2, 8
	v_lshl_add_u32 v1, v1, 10, 0x2000
	v_lshlrev_b32_e32 v0, 23, v0
	v_lshlrev_b32_sdwa v2, v2, v3 dst_sel:DWORD dst_unused:UNUSED_PAD src0_sel:DWORD src1_sel:WORD_0
	v_and_or_b32 v1, 0x8000, v2, v1
	v_lshl_or_b32 v0, v1, 16, v0
	buffer_store_dword v0, off, s[0:3], s32 offset:288 ; 4-byte Folded Spill
.LBB285_192:                            ;   in Loop: Header=BB285_15 Depth=1
	s_or_b32 exec_lo, exec_lo, s22
.LBB285_193:                            ;   in Loop: Header=BB285_15 Depth=1
	s_or_b32 exec_lo, exec_lo, s21
.LBB285_194:                            ;   in Loop: Header=BB285_15 Depth=1
	s_or_b32 exec_lo, exec_lo, s20
	v_lshrrev_b32_e32 v3, 16, v28
	v_cmp_ne_u16_sdwa s5, v3, v4 src0_sel:BYTE_0 src1_sel:DWORD
	s_and_saveexec_b32 s20, s5
	s_cbranch_execz .LBB285_202
; %bb.195:                              ;   in Loop: Header=BB285_15 Depth=1
	v_cmp_ne_u16_sdwa s5, v3, v54 src0_sel:BYTE_0 src1_sel:DWORD
	v_mov_b32_e32 v0, 0x8000
	buffer_store_dword v0, off, s[0:3], s32 offset:284 ; 4-byte Folded Spill
	s_and_saveexec_b32 s21, s5
	s_cbranch_execz .LBB285_201
; %bb.196:                              ;   in Loop: Header=BB285_15 Depth=1
	v_bfe_u32 v2, v28, 16, 7
	v_mov_b32_e32 v0, 0x7c01
	s_mov_b32 s22, exec_lo
	buffer_store_dword v0, off, s[0:3], s32 offset:284 ; 4-byte Folded Spill
	v_cmpx_ne_u32_e32 0x7f, v2
	s_cbranch_execz .LBB285_200
; %bb.197:                              ;   in Loop: Header=BB285_15 Depth=1
	v_and_b32_e32 v0, 7, v3
	v_lshrrev_b32_e32 v1, 3, v2
	s_mov_b32 s23, exec_lo
	v_cmpx_gt_u32_e32 8, v2
; %bb.198:                              ;   in Loop: Header=BB285_15 Depth=1
	v_ffbh_u32_e32 v0, v0
	v_min_u32_e32 v2, 32, v0
	v_subrev_nc_u32_e32 v0, 28, v2
	v_lshlrev_b64 v[0:1], v0, v[3:4]
	v_sub_nc_u32_e32 v1, 29, v2
	v_and_b32_e32 v0, 7, v0
; %bb.199:                              ;   in Loop: Header=BB285_15 Depth=1
	s_or_b32 exec_lo, exec_lo, s23
	v_lshlrev_b32_e32 v2, 8, v3
	v_lshl_add_u32 v1, v1, 10, 0x2000
	v_lshlrev_b32_e32 v0, 7, v0
	v_and_b32_e32 v2, 0x8000, v2
	v_and_b32_e32 v1, 0xfc00, v1
	v_or3_b32 v0, v2, v1, v0
	buffer_store_dword v0, off, s[0:3], s32 offset:284 ; 4-byte Folded Spill
.LBB285_200:                            ;   in Loop: Header=BB285_15 Depth=1
	s_or_b32 exec_lo, exec_lo, s22
.LBB285_201:                            ;   in Loop: Header=BB285_15 Depth=1
	s_or_b32 exec_lo, exec_lo, s21
.LBB285_202:                            ;   in Loop: Header=BB285_15 Depth=1
	s_or_b32 exec_lo, exec_lo, s20
	v_mov_b32_e32 v0, 0
	s_mov_b32 s20, exec_lo
	buffer_store_dword v0, off, s[0:3], s32 offset:292 ; 4-byte Folded Spill
	v_mov_b32_e32 v0, 0
	buffer_store_dword v0, off, s[0:3], s32 offset:504 ; 4-byte Folded Spill
	v_cmpx_lt_u64_e64 s[12:13], v[27:28]
	s_cbranch_execz .LBB285_210
; %bb.203:                              ;   in Loop: Header=BB285_15 Depth=1
	v_lshrrev_b32_e32 v3, 24, v28
	v_bfrev_b32_e32 v0, 1
	s_mov_b32 s21, exec_lo
	v_cmpx_ne_u32_e32 0x80, v3
	s_cbranch_execz .LBB285_209
; %bb.204:                              ;   in Loop: Header=BB285_15 Depth=1
	v_and_b32_e32 v2, 0x7f, v3
	v_mov_b32_e32 v0, 0x7c010000
	s_mov_b32 s22, exec_lo
	v_cmpx_ne_u32_e32 0x7f, v2
	s_cbranch_execz .LBB285_208
; %bb.205:                              ;   in Loop: Header=BB285_15 Depth=1
	v_and_b32_e32 v0, 7, v3
	v_lshrrev_b32_e32 v1, 3, v2
	s_mov_b32 s23, exec_lo
	v_cmpx_gt_u32_e32 8, v2
; %bb.206:                              ;   in Loop: Header=BB285_15 Depth=1
	v_ffbh_u32_e32 v0, v0
	v_min_u32_e32 v2, 32, v0
	v_subrev_nc_u32_e32 v0, 28, v2
	v_lshlrev_b64 v[0:1], v0, v[3:4]
	v_sub_nc_u32_e32 v1, 29, v2
	v_and_b32_e32 v0, 7, v0
; %bb.207:                              ;   in Loop: Header=BB285_15 Depth=1
	s_or_b32 exec_lo, exec_lo, s23
	v_lshlrev_b32_e32 v2, 8, v3
	v_lshl_add_u32 v1, v1, 10, 0x2000
	v_lshlrev_b32_e32 v0, 23, v0
	v_and_or_b32 v1, 0x8000, v2, v1
	v_lshl_or_b32 v0, v1, 16, v0
.LBB285_208:                            ;   in Loop: Header=BB285_15 Depth=1
	s_or_b32 exec_lo, exec_lo, s22
.LBB285_209:                            ;   in Loop: Header=BB285_15 Depth=1
	s_or_b32 exec_lo, exec_lo, s21
	buffer_store_dword v0, off, s[0:3], s32 offset:504 ; 4-byte Folded Spill
.LBB285_210:                            ;   in Loop: Header=BB285_15 Depth=1
	s_or_b32 exec_lo, exec_lo, s20
	flat_load_dwordx2 v[27:28], v[24:25] offset:520
	s_waitcnt vmcnt(0) lgkmcnt(0)
	v_cmp_ne_u16_sdwa s5, v27, v4 src0_sel:BYTE_0 src1_sel:DWORD
	s_and_saveexec_b32 s20, s5
	s_cbranch_execz .LBB285_218
; %bb.211:                              ;   in Loop: Header=BB285_15 Depth=1
	v_cmp_ne_u16_sdwa s5, v27, v54 src0_sel:BYTE_0 src1_sel:DWORD
	v_mov_b32_e32 v0, 0x8000
	buffer_store_dword v0, off, s[0:3], s32 offset:292 ; 4-byte Folded Spill
	s_and_saveexec_b32 s21, s5
	s_cbranch_execz .LBB285_217
; %bb.212:                              ;   in Loop: Header=BB285_15 Depth=1
	v_and_b32_e32 v2, 0x7f, v27
	v_mov_b32_e32 v0, 0x7c01
	s_mov_b32 s22, exec_lo
	buffer_store_dword v0, off, s[0:3], s32 offset:292 ; 4-byte Folded Spill
	v_cmpx_ne_u32_e32 0x7f, v2
	s_cbranch_execz .LBB285_216
; %bb.213:                              ;   in Loop: Header=BB285_15 Depth=1
	v_and_b32_e32 v0, 7, v27
	v_lshrrev_b32_e32 v1, 3, v2
	s_mov_b32 s23, exec_lo
	v_cmpx_gt_u32_e32 8, v2
; %bb.214:                              ;   in Loop: Header=BB285_15 Depth=1
	v_ffbh_u32_e32 v0, v0
	v_min_u32_e32 v2, 32, v0
	v_subrev_nc_u32_e32 v0, 28, v2
	v_lshlrev_b64 v[0:1], v0, v[27:28]
	v_sub_nc_u32_e32 v1, 29, v2
	v_and_b32_e32 v0, 7, v0
; %bb.215:                              ;   in Loop: Header=BB285_15 Depth=1
	s_or_b32 exec_lo, exec_lo, s23
	v_lshlrev_b32_e32 v2, 8, v27
	v_lshl_add_u32 v1, v1, 10, 0x2000
	v_lshlrev_b32_e32 v0, 7, v0
	v_and_b32_e32 v2, 0x8000, v2
	v_and_b32_e32 v1, 0xfc00, v1
	v_or3_b32 v0, v2, v1, v0
	buffer_store_dword v0, off, s[0:3], s32 offset:292 ; 4-byte Folded Spill
.LBB285_216:                            ;   in Loop: Header=BB285_15 Depth=1
	s_or_b32 exec_lo, exec_lo, s22
.LBB285_217:                            ;   in Loop: Header=BB285_15 Depth=1
	s_or_b32 exec_lo, exec_lo, s21
.LBB285_218:                            ;   in Loop: Header=BB285_15 Depth=1
	s_or_b32 exec_lo, exec_lo, s20
	v_mov_b32_e32 v0, 0
	v_lshrrev_b16 v3, 8, v27
	s_mov_b32 s20, exec_lo
	buffer_store_dword v0, off, s[0:3], s32 offset:300 ; 4-byte Folded Spill
	v_mov_b32_e32 v0, 0
	buffer_store_dword v0, off, s[0:3], s32 offset:296 ; 4-byte Folded Spill
	v_cmpx_ne_u16_e32 0, v3
	s_cbranch_execz .LBB285_226
; %bb.219:                              ;   in Loop: Header=BB285_15 Depth=1
	v_bfrev_b32_e32 v0, 1
	s_mov_b32 s21, exec_lo
	buffer_store_dword v0, off, s[0:3], s32 offset:296 ; 4-byte Folded Spill
	v_cmpx_ne_u16_e32 0x80, v3
	s_cbranch_execz .LBB285_225
; %bb.220:                              ;   in Loop: Header=BB285_15 Depth=1
	v_mov_b32_e32 v0, 0x7f
	s_mov_b32 s22, exec_lo
	v_and_b32_sdwa v2, v3, v0 dst_sel:DWORD dst_unused:UNUSED_PAD src0_sel:WORD_0 src1_sel:DWORD
	v_mov_b32_e32 v0, 0x7c010000
	buffer_store_dword v0, off, s[0:3], s32 offset:296 ; 4-byte Folded Spill
	v_cmpx_ne_u32_e32 0x7f, v2
	s_cbranch_execz .LBB285_224
; %bb.221:                              ;   in Loop: Header=BB285_15 Depth=1
	v_mov_b32_e32 v0, 7
	v_lshrrev_b32_e32 v1, 3, v2
	s_mov_b32 s23, exec_lo
	v_and_b32_sdwa v0, v3, v0 dst_sel:DWORD dst_unused:UNUSED_PAD src0_sel:WORD_0 src1_sel:DWORD
	v_cmpx_gt_u32_e32 8, v2
; %bb.222:                              ;   in Loop: Header=BB285_15 Depth=1
	v_ffbh_u32_e32 v0, v0
	v_min_u32_e32 v2, 32, v0
	v_subrev_nc_u32_e32 v0, 28, v2
	v_lshlrev_b64 v[0:1], v0, v[3:4]
	v_sub_nc_u32_e32 v1, 29, v2
	v_and_b32_e32 v0, 7, v0
; %bb.223:                              ;   in Loop: Header=BB285_15 Depth=1
	s_or_b32 exec_lo, exec_lo, s23
	v_mov_b32_e32 v2, 8
	v_lshl_add_u32 v1, v1, 10, 0x2000
	v_lshlrev_b32_e32 v0, 23, v0
	v_lshlrev_b32_sdwa v2, v2, v3 dst_sel:DWORD dst_unused:UNUSED_PAD src0_sel:DWORD src1_sel:WORD_0
	v_and_or_b32 v1, 0x8000, v2, v1
	v_lshl_or_b32 v0, v1, 16, v0
	buffer_store_dword v0, off, s[0:3], s32 offset:296 ; 4-byte Folded Spill
.LBB285_224:                            ;   in Loop: Header=BB285_15 Depth=1
	s_or_b32 exec_lo, exec_lo, s22
.LBB285_225:                            ;   in Loop: Header=BB285_15 Depth=1
	s_or_b32 exec_lo, exec_lo, s21
.LBB285_226:                            ;   in Loop: Header=BB285_15 Depth=1
	s_or_b32 exec_lo, exec_lo, s20
	v_lshrrev_b32_e32 v3, 16, v27
	v_cmp_ne_u16_sdwa s5, v3, v4 src0_sel:BYTE_0 src1_sel:DWORD
	s_and_saveexec_b32 s20, s5
	s_cbranch_execz .LBB285_234
; %bb.227:                              ;   in Loop: Header=BB285_15 Depth=1
	v_cmp_ne_u16_sdwa s5, v3, v54 src0_sel:BYTE_0 src1_sel:DWORD
	v_mov_b32_e32 v0, 0x8000
	buffer_store_dword v0, off, s[0:3], s32 offset:300 ; 4-byte Folded Spill
	s_and_saveexec_b32 s21, s5
	s_cbranch_execz .LBB285_233
; %bb.228:                              ;   in Loop: Header=BB285_15 Depth=1
	v_bfe_u32 v2, v27, 16, 7
	v_mov_b32_e32 v0, 0x7c01
	s_mov_b32 s22, exec_lo
	buffer_store_dword v0, off, s[0:3], s32 offset:300 ; 4-byte Folded Spill
	v_cmpx_ne_u32_e32 0x7f, v2
	s_cbranch_execz .LBB285_232
; %bb.229:                              ;   in Loop: Header=BB285_15 Depth=1
	v_and_b32_e32 v0, 7, v3
	v_lshrrev_b32_e32 v1, 3, v2
	s_mov_b32 s23, exec_lo
	v_cmpx_gt_u32_e32 8, v2
; %bb.230:                              ;   in Loop: Header=BB285_15 Depth=1
	v_ffbh_u32_e32 v0, v0
	v_min_u32_e32 v2, 32, v0
	v_subrev_nc_u32_e32 v0, 28, v2
	v_lshlrev_b64 v[0:1], v0, v[3:4]
	v_sub_nc_u32_e32 v1, 29, v2
	v_and_b32_e32 v0, 7, v0
; %bb.231:                              ;   in Loop: Header=BB285_15 Depth=1
	s_or_b32 exec_lo, exec_lo, s23
	v_lshlrev_b32_e32 v2, 8, v3
	v_lshl_add_u32 v1, v1, 10, 0x2000
	v_lshlrev_b32_e32 v0, 7, v0
	v_and_b32_e32 v2, 0x8000, v2
	v_and_b32_e32 v1, 0xfc00, v1
	v_or3_b32 v0, v2, v1, v0
	buffer_store_dword v0, off, s[0:3], s32 offset:300 ; 4-byte Folded Spill
.LBB285_232:                            ;   in Loop: Header=BB285_15 Depth=1
	s_or_b32 exec_lo, exec_lo, s22
.LBB285_233:                            ;   in Loop: Header=BB285_15 Depth=1
	s_or_b32 exec_lo, exec_lo, s21
.LBB285_234:                            ;   in Loop: Header=BB285_15 Depth=1
	s_or_b32 exec_lo, exec_lo, s20
	v_mov_b32_e32 v0, 0
	s_mov_b32 s20, exec_lo
	buffer_store_dword v0, off, s[0:3], s32 offset:304 ; 4-byte Folded Spill
	v_mov_b32_e32 v0, 0
	buffer_store_dword v0, off, s[0:3], s32 offset:308 ; 4-byte Folded Spill
	v_cmpx_lt_u32_e32 0xffffff, v27
	s_cbranch_execz .LBB285_242
; %bb.235:                              ;   in Loop: Header=BB285_15 Depth=1
	v_lshrrev_b32_e32 v3, 24, v27
	v_bfrev_b32_e32 v0, 1
	s_mov_b32 s21, exec_lo
	buffer_store_dword v0, off, s[0:3], s32 offset:308 ; 4-byte Folded Spill
	v_cmpx_ne_u32_e32 0x80, v3
	s_cbranch_execz .LBB285_241
; %bb.236:                              ;   in Loop: Header=BB285_15 Depth=1
	v_and_b32_e32 v2, 0x7f, v3
	v_mov_b32_e32 v0, 0x7c010000
	s_mov_b32 s22, exec_lo
	buffer_store_dword v0, off, s[0:3], s32 offset:308 ; 4-byte Folded Spill
	v_cmpx_ne_u32_e32 0x7f, v2
	s_cbranch_execz .LBB285_240
; %bb.237:                              ;   in Loop: Header=BB285_15 Depth=1
	v_and_b32_e32 v0, 7, v3
	v_lshrrev_b32_e32 v1, 3, v2
	s_mov_b32 s23, exec_lo
	v_cmpx_gt_u32_e32 8, v2
; %bb.238:                              ;   in Loop: Header=BB285_15 Depth=1
	v_ffbh_u32_e32 v0, v0
	v_min_u32_e32 v2, 32, v0
	v_subrev_nc_u32_e32 v0, 28, v2
	v_lshlrev_b64 v[0:1], v0, v[3:4]
	v_sub_nc_u32_e32 v1, 29, v2
	v_and_b32_e32 v0, 7, v0
; %bb.239:                              ;   in Loop: Header=BB285_15 Depth=1
	s_or_b32 exec_lo, exec_lo, s23
	v_lshlrev_b32_e32 v2, 8, v3
	v_lshl_add_u32 v1, v1, 10, 0x2000
	v_lshlrev_b32_e32 v0, 23, v0
	v_and_or_b32 v1, 0x8000, v2, v1
	v_lshl_or_b32 v0, v1, 16, v0
	buffer_store_dword v0, off, s[0:3], s32 offset:308 ; 4-byte Folded Spill
.LBB285_240:                            ;   in Loop: Header=BB285_15 Depth=1
	s_or_b32 exec_lo, exec_lo, s22
.LBB285_241:                            ;   in Loop: Header=BB285_15 Depth=1
	s_or_b32 exec_lo, exec_lo, s21
.LBB285_242:                            ;   in Loop: Header=BB285_15 Depth=1
	s_or_b32 exec_lo, exec_lo, s20
	v_mov_b32_e32 v3, v28
	v_cmp_ne_u16_sdwa s5, v28, v4 src0_sel:BYTE_0 src1_sel:DWORD
	s_and_saveexec_b32 s20, s5
	s_cbranch_execz .LBB285_250
; %bb.243:                              ;   in Loop: Header=BB285_15 Depth=1
	v_cmp_ne_u16_sdwa s5, v28, v54 src0_sel:BYTE_0 src1_sel:DWORD
	v_mov_b32_e32 v0, 0x8000
	buffer_store_dword v0, off, s[0:3], s32 offset:304 ; 4-byte Folded Spill
	s_and_saveexec_b32 s21, s5
	s_cbranch_execz .LBB285_249
; %bb.244:                              ;   in Loop: Header=BB285_15 Depth=1
	v_and_b32_e32 v2, 0x7f, v28
	v_mov_b32_e32 v0, 0x7c01
	s_mov_b32 s22, exec_lo
	buffer_store_dword v0, off, s[0:3], s32 offset:304 ; 4-byte Folded Spill
	v_cmpx_ne_u32_e32 0x7f, v2
	s_cbranch_execz .LBB285_248
; %bb.245:                              ;   in Loop: Header=BB285_15 Depth=1
	v_and_b32_e32 v0, 7, v28
	v_lshrrev_b32_e32 v1, 3, v2
	s_mov_b32 s23, exec_lo
	v_cmpx_gt_u32_e32 8, v2
; %bb.246:                              ;   in Loop: Header=BB285_15 Depth=1
	v_ffbh_u32_e32 v0, v0
	v_min_u32_e32 v2, 32, v0
	v_subrev_nc_u32_e32 v0, 28, v2
	v_lshlrev_b64 v[0:1], v0, v[3:4]
	v_sub_nc_u32_e32 v1, 29, v2
	v_and_b32_e32 v0, 7, v0
; %bb.247:                              ;   in Loop: Header=BB285_15 Depth=1
	s_or_b32 exec_lo, exec_lo, s23
	v_lshlrev_b32_e32 v2, 8, v28
	v_lshl_add_u32 v1, v1, 10, 0x2000
	v_lshlrev_b32_e32 v0, 7, v0
	v_and_b32_e32 v2, 0x8000, v2
	v_and_b32_e32 v1, 0xfc00, v1
	v_or3_b32 v0, v2, v1, v0
	buffer_store_dword v0, off, s[0:3], s32 offset:304 ; 4-byte Folded Spill
.LBB285_248:                            ;   in Loop: Header=BB285_15 Depth=1
	s_or_b32 exec_lo, exec_lo, s22
.LBB285_249:                            ;   in Loop: Header=BB285_15 Depth=1
	s_or_b32 exec_lo, exec_lo, s21
.LBB285_250:                            ;   in Loop: Header=BB285_15 Depth=1
	s_or_b32 exec_lo, exec_lo, s20
	v_mov_b32_e32 v0, 0
	v_lshrrev_b16 v3, 8, v3
	s_mov_b32 s20, exec_lo
	buffer_store_dword v0, off, s[0:3], s32 offset:312 ; 4-byte Folded Spill
	v_mov_b32_e32 v0, 0
	buffer_store_dword v0, off, s[0:3], s32 offset:316 ; 4-byte Folded Spill
	v_cmpx_ne_u16_e32 0, v3
	s_cbranch_execz .LBB285_258
; %bb.251:                              ;   in Loop: Header=BB285_15 Depth=1
	v_bfrev_b32_e32 v0, 1
	s_mov_b32 s21, exec_lo
	buffer_store_dword v0, off, s[0:3], s32 offset:316 ; 4-byte Folded Spill
	v_cmpx_ne_u16_e32 0x80, v3
	s_cbranch_execz .LBB285_257
; %bb.252:                              ;   in Loop: Header=BB285_15 Depth=1
	v_mov_b32_e32 v0, 0x7f
	s_mov_b32 s22, exec_lo
	v_and_b32_sdwa v2, v3, v0 dst_sel:DWORD dst_unused:UNUSED_PAD src0_sel:WORD_0 src1_sel:DWORD
	v_mov_b32_e32 v0, 0x7c010000
	buffer_store_dword v0, off, s[0:3], s32 offset:316 ; 4-byte Folded Spill
	v_cmpx_ne_u32_e32 0x7f, v2
	s_cbranch_execz .LBB285_256
; %bb.253:                              ;   in Loop: Header=BB285_15 Depth=1
	v_mov_b32_e32 v0, 7
	v_lshrrev_b32_e32 v1, 3, v2
	s_mov_b32 s23, exec_lo
	v_and_b32_sdwa v0, v3, v0 dst_sel:DWORD dst_unused:UNUSED_PAD src0_sel:WORD_0 src1_sel:DWORD
	v_cmpx_gt_u32_e32 8, v2
; %bb.254:                              ;   in Loop: Header=BB285_15 Depth=1
	v_ffbh_u32_e32 v0, v0
	v_min_u32_e32 v2, 32, v0
	v_subrev_nc_u32_e32 v0, 28, v2
	v_lshlrev_b64 v[0:1], v0, v[3:4]
	v_sub_nc_u32_e32 v1, 29, v2
	v_and_b32_e32 v0, 7, v0
; %bb.255:                              ;   in Loop: Header=BB285_15 Depth=1
	s_or_b32 exec_lo, exec_lo, s23
	v_mov_b32_e32 v2, 8
	v_lshl_add_u32 v1, v1, 10, 0x2000
	v_lshlrev_b32_e32 v0, 23, v0
	v_lshlrev_b32_sdwa v2, v2, v3 dst_sel:DWORD dst_unused:UNUSED_PAD src0_sel:DWORD src1_sel:WORD_0
	v_and_or_b32 v1, 0x8000, v2, v1
	v_lshl_or_b32 v0, v1, 16, v0
	buffer_store_dword v0, off, s[0:3], s32 offset:316 ; 4-byte Folded Spill
.LBB285_256:                            ;   in Loop: Header=BB285_15 Depth=1
	s_or_b32 exec_lo, exec_lo, s22
.LBB285_257:                            ;   in Loop: Header=BB285_15 Depth=1
	s_or_b32 exec_lo, exec_lo, s21
.LBB285_258:                            ;   in Loop: Header=BB285_15 Depth=1
	s_or_b32 exec_lo, exec_lo, s20
	v_lshrrev_b32_e32 v3, 16, v28
	v_cmp_ne_u16_sdwa s5, v3, v4 src0_sel:BYTE_0 src1_sel:DWORD
	s_and_saveexec_b32 s20, s5
	s_cbranch_execz .LBB285_266
; %bb.259:                              ;   in Loop: Header=BB285_15 Depth=1
	v_cmp_ne_u16_sdwa s5, v3, v54 src0_sel:BYTE_0 src1_sel:DWORD
	v_mov_b32_e32 v0, 0x8000
	buffer_store_dword v0, off, s[0:3], s32 offset:312 ; 4-byte Folded Spill
	s_and_saveexec_b32 s21, s5
	s_cbranch_execz .LBB285_265
; %bb.260:                              ;   in Loop: Header=BB285_15 Depth=1
	v_bfe_u32 v2, v28, 16, 7
	v_mov_b32_e32 v0, 0x7c01
	s_mov_b32 s22, exec_lo
	buffer_store_dword v0, off, s[0:3], s32 offset:312 ; 4-byte Folded Spill
	v_cmpx_ne_u32_e32 0x7f, v2
	s_cbranch_execz .LBB285_264
; %bb.261:                              ;   in Loop: Header=BB285_15 Depth=1
	v_and_b32_e32 v0, 7, v3
	v_lshrrev_b32_e32 v1, 3, v2
	s_mov_b32 s23, exec_lo
	v_cmpx_gt_u32_e32 8, v2
; %bb.262:                              ;   in Loop: Header=BB285_15 Depth=1
	v_ffbh_u32_e32 v0, v0
	v_min_u32_e32 v2, 32, v0
	v_subrev_nc_u32_e32 v0, 28, v2
	v_lshlrev_b64 v[0:1], v0, v[3:4]
	v_sub_nc_u32_e32 v1, 29, v2
	v_and_b32_e32 v0, 7, v0
; %bb.263:                              ;   in Loop: Header=BB285_15 Depth=1
	s_or_b32 exec_lo, exec_lo, s23
	v_lshlrev_b32_e32 v2, 8, v3
	v_lshl_add_u32 v1, v1, 10, 0x2000
	v_lshlrev_b32_e32 v0, 7, v0
	v_and_b32_e32 v2, 0x8000, v2
	v_and_b32_e32 v1, 0xfc00, v1
	v_or3_b32 v0, v2, v1, v0
	buffer_store_dword v0, off, s[0:3], s32 offset:312 ; 4-byte Folded Spill
.LBB285_264:                            ;   in Loop: Header=BB285_15 Depth=1
	s_or_b32 exec_lo, exec_lo, s22
.LBB285_265:                            ;   in Loop: Header=BB285_15 Depth=1
	s_or_b32 exec_lo, exec_lo, s21
.LBB285_266:                            ;   in Loop: Header=BB285_15 Depth=1
	s_or_b32 exec_lo, exec_lo, s20
	v_mov_b32_e32 v0, 0
	s_mov_b32 s20, exec_lo
	buffer_store_dword v0, off, s[0:3], s32 offset:320 ; 4-byte Folded Spill
	v_mov_b32_e32 v0, 0
	buffer_store_dword v0, off, s[0:3], s32 offset:508 ; 4-byte Folded Spill
	v_cmpx_lt_u64_e64 s[12:13], v[27:28]
	s_cbranch_execz .LBB285_274
; %bb.267:                              ;   in Loop: Header=BB285_15 Depth=1
	v_lshrrev_b32_e32 v3, 24, v28
	v_bfrev_b32_e32 v0, 1
	s_mov_b32 s21, exec_lo
	v_cmpx_ne_u32_e32 0x80, v3
	s_cbranch_execz .LBB285_273
; %bb.268:                              ;   in Loop: Header=BB285_15 Depth=1
	v_and_b32_e32 v2, 0x7f, v3
	v_mov_b32_e32 v0, 0x7c010000
	s_mov_b32 s22, exec_lo
	v_cmpx_ne_u32_e32 0x7f, v2
	s_cbranch_execz .LBB285_272
; %bb.269:                              ;   in Loop: Header=BB285_15 Depth=1
	v_and_b32_e32 v0, 7, v3
	v_lshrrev_b32_e32 v1, 3, v2
	s_mov_b32 s23, exec_lo
	v_cmpx_gt_u32_e32 8, v2
; %bb.270:                              ;   in Loop: Header=BB285_15 Depth=1
	v_ffbh_u32_e32 v0, v0
	v_min_u32_e32 v2, 32, v0
	v_subrev_nc_u32_e32 v0, 28, v2
	v_lshlrev_b64 v[0:1], v0, v[3:4]
	v_sub_nc_u32_e32 v1, 29, v2
	v_and_b32_e32 v0, 7, v0
; %bb.271:                              ;   in Loop: Header=BB285_15 Depth=1
	s_or_b32 exec_lo, exec_lo, s23
	v_lshlrev_b32_e32 v2, 8, v3
	v_lshl_add_u32 v1, v1, 10, 0x2000
	v_lshlrev_b32_e32 v0, 23, v0
	v_and_or_b32 v1, 0x8000, v2, v1
	v_lshl_or_b32 v0, v1, 16, v0
.LBB285_272:                            ;   in Loop: Header=BB285_15 Depth=1
	s_or_b32 exec_lo, exec_lo, s22
.LBB285_273:                            ;   in Loop: Header=BB285_15 Depth=1
	s_or_b32 exec_lo, exec_lo, s21
	buffer_store_dword v0, off, s[0:3], s32 offset:508 ; 4-byte Folded Spill
.LBB285_274:                            ;   in Loop: Header=BB285_15 Depth=1
	s_or_b32 exec_lo, exec_lo, s20
	flat_load_dwordx2 v[27:28], v[24:25] offset:1024
	s_waitcnt vmcnt(0) lgkmcnt(0)
	v_cmp_ne_u16_sdwa s5, v27, v4 src0_sel:BYTE_0 src1_sel:DWORD
	s_and_saveexec_b32 s20, s5
	s_cbranch_execz .LBB285_282
; %bb.275:                              ;   in Loop: Header=BB285_15 Depth=1
	v_cmp_ne_u16_sdwa s5, v27, v54 src0_sel:BYTE_0 src1_sel:DWORD
	v_mov_b32_e32 v0, 0x8000
	buffer_store_dword v0, off, s[0:3], s32 offset:320 ; 4-byte Folded Spill
	s_and_saveexec_b32 s21, s5
	s_cbranch_execz .LBB285_281
; %bb.276:                              ;   in Loop: Header=BB285_15 Depth=1
	v_and_b32_e32 v2, 0x7f, v27
	v_mov_b32_e32 v0, 0x7c01
	s_mov_b32 s22, exec_lo
	buffer_store_dword v0, off, s[0:3], s32 offset:320 ; 4-byte Folded Spill
	v_cmpx_ne_u32_e32 0x7f, v2
	s_cbranch_execz .LBB285_280
; %bb.277:                              ;   in Loop: Header=BB285_15 Depth=1
	v_and_b32_e32 v0, 7, v27
	v_lshrrev_b32_e32 v1, 3, v2
	s_mov_b32 s23, exec_lo
	v_cmpx_gt_u32_e32 8, v2
; %bb.278:                              ;   in Loop: Header=BB285_15 Depth=1
	v_ffbh_u32_e32 v0, v0
	v_min_u32_e32 v2, 32, v0
	v_subrev_nc_u32_e32 v0, 28, v2
	v_lshlrev_b64 v[0:1], v0, v[27:28]
	v_sub_nc_u32_e32 v1, 29, v2
	v_and_b32_e32 v0, 7, v0
; %bb.279:                              ;   in Loop: Header=BB285_15 Depth=1
	s_or_b32 exec_lo, exec_lo, s23
	v_lshlrev_b32_e32 v2, 8, v27
	v_lshl_add_u32 v1, v1, 10, 0x2000
	v_lshlrev_b32_e32 v0, 7, v0
	v_and_b32_e32 v2, 0x8000, v2
	v_and_b32_e32 v1, 0xfc00, v1
	v_or3_b32 v0, v2, v1, v0
	buffer_store_dword v0, off, s[0:3], s32 offset:320 ; 4-byte Folded Spill
.LBB285_280:                            ;   in Loop: Header=BB285_15 Depth=1
	s_or_b32 exec_lo, exec_lo, s22
.LBB285_281:                            ;   in Loop: Header=BB285_15 Depth=1
	s_or_b32 exec_lo, exec_lo, s21
.LBB285_282:                            ;   in Loop: Header=BB285_15 Depth=1
	s_or_b32 exec_lo, exec_lo, s20
	v_mov_b32_e32 v0, 0
	v_lshrrev_b16 v3, 8, v27
	s_mov_b32 s20, exec_lo
	buffer_store_dword v0, off, s[0:3], s32 offset:328 ; 4-byte Folded Spill
	v_mov_b32_e32 v0, 0
	buffer_store_dword v0, off, s[0:3], s32 offset:324 ; 4-byte Folded Spill
	v_cmpx_ne_u16_e32 0, v3
	s_cbranch_execz .LBB285_290
; %bb.283:                              ;   in Loop: Header=BB285_15 Depth=1
	v_bfrev_b32_e32 v0, 1
	s_mov_b32 s21, exec_lo
	buffer_store_dword v0, off, s[0:3], s32 offset:324 ; 4-byte Folded Spill
	v_cmpx_ne_u16_e32 0x80, v3
	s_cbranch_execz .LBB285_289
; %bb.284:                              ;   in Loop: Header=BB285_15 Depth=1
	v_mov_b32_e32 v0, 0x7f
	s_mov_b32 s22, exec_lo
	v_and_b32_sdwa v2, v3, v0 dst_sel:DWORD dst_unused:UNUSED_PAD src0_sel:WORD_0 src1_sel:DWORD
	v_mov_b32_e32 v0, 0x7c010000
	buffer_store_dword v0, off, s[0:3], s32 offset:324 ; 4-byte Folded Spill
	v_cmpx_ne_u32_e32 0x7f, v2
	s_cbranch_execz .LBB285_288
; %bb.285:                              ;   in Loop: Header=BB285_15 Depth=1
	v_mov_b32_e32 v0, 7
	v_lshrrev_b32_e32 v1, 3, v2
	s_mov_b32 s23, exec_lo
	v_and_b32_sdwa v0, v3, v0 dst_sel:DWORD dst_unused:UNUSED_PAD src0_sel:WORD_0 src1_sel:DWORD
	v_cmpx_gt_u32_e32 8, v2
; %bb.286:                              ;   in Loop: Header=BB285_15 Depth=1
	v_ffbh_u32_e32 v0, v0
	v_min_u32_e32 v2, 32, v0
	v_subrev_nc_u32_e32 v0, 28, v2
	v_lshlrev_b64 v[0:1], v0, v[3:4]
	v_sub_nc_u32_e32 v1, 29, v2
	v_and_b32_e32 v0, 7, v0
; %bb.287:                              ;   in Loop: Header=BB285_15 Depth=1
	s_or_b32 exec_lo, exec_lo, s23
	v_mov_b32_e32 v2, 8
	v_lshl_add_u32 v1, v1, 10, 0x2000
	v_lshlrev_b32_e32 v0, 23, v0
	v_lshlrev_b32_sdwa v2, v2, v3 dst_sel:DWORD dst_unused:UNUSED_PAD src0_sel:DWORD src1_sel:WORD_0
	v_and_or_b32 v1, 0x8000, v2, v1
	v_lshl_or_b32 v0, v1, 16, v0
	buffer_store_dword v0, off, s[0:3], s32 offset:324 ; 4-byte Folded Spill
.LBB285_288:                            ;   in Loop: Header=BB285_15 Depth=1
	s_or_b32 exec_lo, exec_lo, s22
.LBB285_289:                            ;   in Loop: Header=BB285_15 Depth=1
	s_or_b32 exec_lo, exec_lo, s21
.LBB285_290:                            ;   in Loop: Header=BB285_15 Depth=1
	s_or_b32 exec_lo, exec_lo, s20
	v_lshrrev_b32_e32 v3, 16, v27
	v_cmp_ne_u16_sdwa s5, v3, v4 src0_sel:BYTE_0 src1_sel:DWORD
	s_and_saveexec_b32 s20, s5
	s_cbranch_execz .LBB285_298
; %bb.291:                              ;   in Loop: Header=BB285_15 Depth=1
	v_cmp_ne_u16_sdwa s5, v3, v54 src0_sel:BYTE_0 src1_sel:DWORD
	v_mov_b32_e32 v0, 0x8000
	buffer_store_dword v0, off, s[0:3], s32 offset:328 ; 4-byte Folded Spill
	s_and_saveexec_b32 s21, s5
	s_cbranch_execz .LBB285_297
; %bb.292:                              ;   in Loop: Header=BB285_15 Depth=1
	v_bfe_u32 v2, v27, 16, 7
	v_mov_b32_e32 v0, 0x7c01
	s_mov_b32 s22, exec_lo
	buffer_store_dword v0, off, s[0:3], s32 offset:328 ; 4-byte Folded Spill
	v_cmpx_ne_u32_e32 0x7f, v2
	s_cbranch_execz .LBB285_296
; %bb.293:                              ;   in Loop: Header=BB285_15 Depth=1
	v_and_b32_e32 v0, 7, v3
	v_lshrrev_b32_e32 v1, 3, v2
	s_mov_b32 s23, exec_lo
	v_cmpx_gt_u32_e32 8, v2
; %bb.294:                              ;   in Loop: Header=BB285_15 Depth=1
	v_ffbh_u32_e32 v0, v0
	v_min_u32_e32 v2, 32, v0
	v_subrev_nc_u32_e32 v0, 28, v2
	v_lshlrev_b64 v[0:1], v0, v[3:4]
	v_sub_nc_u32_e32 v1, 29, v2
	v_and_b32_e32 v0, 7, v0
; %bb.295:                              ;   in Loop: Header=BB285_15 Depth=1
	s_or_b32 exec_lo, exec_lo, s23
	v_lshlrev_b32_e32 v2, 8, v3
	v_lshl_add_u32 v1, v1, 10, 0x2000
	v_lshlrev_b32_e32 v0, 7, v0
	v_and_b32_e32 v2, 0x8000, v2
	v_and_b32_e32 v1, 0xfc00, v1
	v_or3_b32 v0, v2, v1, v0
	buffer_store_dword v0, off, s[0:3], s32 offset:328 ; 4-byte Folded Spill
.LBB285_296:                            ;   in Loop: Header=BB285_15 Depth=1
	s_or_b32 exec_lo, exec_lo, s22
.LBB285_297:                            ;   in Loop: Header=BB285_15 Depth=1
	s_or_b32 exec_lo, exec_lo, s21
.LBB285_298:                            ;   in Loop: Header=BB285_15 Depth=1
	s_or_b32 exec_lo, exec_lo, s20
	v_mov_b32_e32 v0, 0
	s_mov_b32 s20, exec_lo
	buffer_store_dword v0, off, s[0:3], s32 offset:332 ; 4-byte Folded Spill
	v_mov_b32_e32 v0, 0
	buffer_store_dword v0, off, s[0:3], s32 offset:336 ; 4-byte Folded Spill
	v_cmpx_lt_u32_e32 0xffffff, v27
	s_cbranch_execz .LBB285_306
; %bb.299:                              ;   in Loop: Header=BB285_15 Depth=1
	v_lshrrev_b32_e32 v3, 24, v27
	v_bfrev_b32_e32 v0, 1
	s_mov_b32 s21, exec_lo
	buffer_store_dword v0, off, s[0:3], s32 offset:336 ; 4-byte Folded Spill
	v_cmpx_ne_u32_e32 0x80, v3
	s_cbranch_execz .LBB285_305
; %bb.300:                              ;   in Loop: Header=BB285_15 Depth=1
	v_and_b32_e32 v2, 0x7f, v3
	v_mov_b32_e32 v0, 0x7c010000
	s_mov_b32 s22, exec_lo
	buffer_store_dword v0, off, s[0:3], s32 offset:336 ; 4-byte Folded Spill
	v_cmpx_ne_u32_e32 0x7f, v2
	s_cbranch_execz .LBB285_304
; %bb.301:                              ;   in Loop: Header=BB285_15 Depth=1
	v_and_b32_e32 v0, 7, v3
	v_lshrrev_b32_e32 v1, 3, v2
	s_mov_b32 s23, exec_lo
	v_cmpx_gt_u32_e32 8, v2
; %bb.302:                              ;   in Loop: Header=BB285_15 Depth=1
	v_ffbh_u32_e32 v0, v0
	v_min_u32_e32 v2, 32, v0
	v_subrev_nc_u32_e32 v0, 28, v2
	v_lshlrev_b64 v[0:1], v0, v[3:4]
	v_sub_nc_u32_e32 v1, 29, v2
	v_and_b32_e32 v0, 7, v0
; %bb.303:                              ;   in Loop: Header=BB285_15 Depth=1
	s_or_b32 exec_lo, exec_lo, s23
	v_lshlrev_b32_e32 v2, 8, v3
	v_lshl_add_u32 v1, v1, 10, 0x2000
	v_lshlrev_b32_e32 v0, 23, v0
	v_and_or_b32 v1, 0x8000, v2, v1
	v_lshl_or_b32 v0, v1, 16, v0
	buffer_store_dword v0, off, s[0:3], s32 offset:336 ; 4-byte Folded Spill
.LBB285_304:                            ;   in Loop: Header=BB285_15 Depth=1
	s_or_b32 exec_lo, exec_lo, s22
.LBB285_305:                            ;   in Loop: Header=BB285_15 Depth=1
	s_or_b32 exec_lo, exec_lo, s21
.LBB285_306:                            ;   in Loop: Header=BB285_15 Depth=1
	s_or_b32 exec_lo, exec_lo, s20
	v_mov_b32_e32 v3, v28
	v_cmp_ne_u16_sdwa s5, v28, v4 src0_sel:BYTE_0 src1_sel:DWORD
	s_and_saveexec_b32 s20, s5
	s_cbranch_execz .LBB285_314
; %bb.307:                              ;   in Loop: Header=BB285_15 Depth=1
	v_cmp_ne_u16_sdwa s5, v28, v54 src0_sel:BYTE_0 src1_sel:DWORD
	v_mov_b32_e32 v0, 0x8000
	buffer_store_dword v0, off, s[0:3], s32 offset:332 ; 4-byte Folded Spill
	s_and_saveexec_b32 s21, s5
	s_cbranch_execz .LBB285_313
; %bb.308:                              ;   in Loop: Header=BB285_15 Depth=1
	v_and_b32_e32 v2, 0x7f, v28
	v_mov_b32_e32 v0, 0x7c01
	s_mov_b32 s22, exec_lo
	buffer_store_dword v0, off, s[0:3], s32 offset:332 ; 4-byte Folded Spill
	v_cmpx_ne_u32_e32 0x7f, v2
	s_cbranch_execz .LBB285_312
; %bb.309:                              ;   in Loop: Header=BB285_15 Depth=1
	v_and_b32_e32 v0, 7, v28
	v_lshrrev_b32_e32 v1, 3, v2
	s_mov_b32 s23, exec_lo
	v_cmpx_gt_u32_e32 8, v2
; %bb.310:                              ;   in Loop: Header=BB285_15 Depth=1
	v_ffbh_u32_e32 v0, v0
	v_min_u32_e32 v2, 32, v0
	v_subrev_nc_u32_e32 v0, 28, v2
	v_lshlrev_b64 v[0:1], v0, v[3:4]
	v_sub_nc_u32_e32 v1, 29, v2
	v_and_b32_e32 v0, 7, v0
; %bb.311:                              ;   in Loop: Header=BB285_15 Depth=1
	s_or_b32 exec_lo, exec_lo, s23
	v_lshlrev_b32_e32 v2, 8, v28
	v_lshl_add_u32 v1, v1, 10, 0x2000
	v_lshlrev_b32_e32 v0, 7, v0
	v_and_b32_e32 v2, 0x8000, v2
	v_and_b32_e32 v1, 0xfc00, v1
	v_or3_b32 v0, v2, v1, v0
	buffer_store_dword v0, off, s[0:3], s32 offset:332 ; 4-byte Folded Spill
.LBB285_312:                            ;   in Loop: Header=BB285_15 Depth=1
	s_or_b32 exec_lo, exec_lo, s22
.LBB285_313:                            ;   in Loop: Header=BB285_15 Depth=1
	s_or_b32 exec_lo, exec_lo, s21
.LBB285_314:                            ;   in Loop: Header=BB285_15 Depth=1
	s_or_b32 exec_lo, exec_lo, s20
	v_mov_b32_e32 v0, 0
	v_lshrrev_b16 v3, 8, v3
	s_mov_b32 s20, exec_lo
	buffer_store_dword v0, off, s[0:3], s32 offset:340 ; 4-byte Folded Spill
	v_mov_b32_e32 v0, 0
	buffer_store_dword v0, off, s[0:3], s32 offset:344 ; 4-byte Folded Spill
	v_cmpx_ne_u16_e32 0, v3
	s_cbranch_execz .LBB285_322
; %bb.315:                              ;   in Loop: Header=BB285_15 Depth=1
	v_bfrev_b32_e32 v0, 1
	s_mov_b32 s21, exec_lo
	buffer_store_dword v0, off, s[0:3], s32 offset:344 ; 4-byte Folded Spill
	v_cmpx_ne_u16_e32 0x80, v3
	s_cbranch_execz .LBB285_321
; %bb.316:                              ;   in Loop: Header=BB285_15 Depth=1
	v_mov_b32_e32 v0, 0x7f
	s_mov_b32 s22, exec_lo
	v_and_b32_sdwa v2, v3, v0 dst_sel:DWORD dst_unused:UNUSED_PAD src0_sel:WORD_0 src1_sel:DWORD
	v_mov_b32_e32 v0, 0x7c010000
	buffer_store_dword v0, off, s[0:3], s32 offset:344 ; 4-byte Folded Spill
	v_cmpx_ne_u32_e32 0x7f, v2
	s_cbranch_execz .LBB285_320
; %bb.317:                              ;   in Loop: Header=BB285_15 Depth=1
	v_mov_b32_e32 v0, 7
	v_lshrrev_b32_e32 v1, 3, v2
	s_mov_b32 s23, exec_lo
	v_and_b32_sdwa v0, v3, v0 dst_sel:DWORD dst_unused:UNUSED_PAD src0_sel:WORD_0 src1_sel:DWORD
	v_cmpx_gt_u32_e32 8, v2
; %bb.318:                              ;   in Loop: Header=BB285_15 Depth=1
	v_ffbh_u32_e32 v0, v0
	v_min_u32_e32 v2, 32, v0
	v_subrev_nc_u32_e32 v0, 28, v2
	v_lshlrev_b64 v[0:1], v0, v[3:4]
	v_sub_nc_u32_e32 v1, 29, v2
	v_and_b32_e32 v0, 7, v0
; %bb.319:                              ;   in Loop: Header=BB285_15 Depth=1
	s_or_b32 exec_lo, exec_lo, s23
	v_mov_b32_e32 v2, 8
	v_lshl_add_u32 v1, v1, 10, 0x2000
	v_lshlrev_b32_e32 v0, 23, v0
	v_lshlrev_b32_sdwa v2, v2, v3 dst_sel:DWORD dst_unused:UNUSED_PAD src0_sel:DWORD src1_sel:WORD_0
	v_and_or_b32 v1, 0x8000, v2, v1
	v_lshl_or_b32 v0, v1, 16, v0
	buffer_store_dword v0, off, s[0:3], s32 offset:344 ; 4-byte Folded Spill
.LBB285_320:                            ;   in Loop: Header=BB285_15 Depth=1
	s_or_b32 exec_lo, exec_lo, s22
.LBB285_321:                            ;   in Loop: Header=BB285_15 Depth=1
	s_or_b32 exec_lo, exec_lo, s21
.LBB285_322:                            ;   in Loop: Header=BB285_15 Depth=1
	s_or_b32 exec_lo, exec_lo, s20
	v_lshrrev_b32_e32 v3, 16, v28
	v_cmp_ne_u16_sdwa s5, v3, v4 src0_sel:BYTE_0 src1_sel:DWORD
	s_and_saveexec_b32 s20, s5
	s_cbranch_execz .LBB285_330
; %bb.323:                              ;   in Loop: Header=BB285_15 Depth=1
	v_cmp_ne_u16_sdwa s5, v3, v54 src0_sel:BYTE_0 src1_sel:DWORD
	v_mov_b32_e32 v0, 0x8000
	buffer_store_dword v0, off, s[0:3], s32 offset:340 ; 4-byte Folded Spill
	s_and_saveexec_b32 s21, s5
	s_cbranch_execz .LBB285_329
; %bb.324:                              ;   in Loop: Header=BB285_15 Depth=1
	v_bfe_u32 v2, v28, 16, 7
	v_mov_b32_e32 v0, 0x7c01
	s_mov_b32 s22, exec_lo
	buffer_store_dword v0, off, s[0:3], s32 offset:340 ; 4-byte Folded Spill
	v_cmpx_ne_u32_e32 0x7f, v2
	s_cbranch_execz .LBB285_328
; %bb.325:                              ;   in Loop: Header=BB285_15 Depth=1
	v_and_b32_e32 v0, 7, v3
	v_lshrrev_b32_e32 v1, 3, v2
	s_mov_b32 s23, exec_lo
	v_cmpx_gt_u32_e32 8, v2
; %bb.326:                              ;   in Loop: Header=BB285_15 Depth=1
	v_ffbh_u32_e32 v0, v0
	v_min_u32_e32 v2, 32, v0
	v_subrev_nc_u32_e32 v0, 28, v2
	v_lshlrev_b64 v[0:1], v0, v[3:4]
	v_sub_nc_u32_e32 v1, 29, v2
	v_and_b32_e32 v0, 7, v0
; %bb.327:                              ;   in Loop: Header=BB285_15 Depth=1
	s_or_b32 exec_lo, exec_lo, s23
	v_lshlrev_b32_e32 v2, 8, v3
	v_lshl_add_u32 v1, v1, 10, 0x2000
	v_lshlrev_b32_e32 v0, 7, v0
	v_and_b32_e32 v2, 0x8000, v2
	v_and_b32_e32 v1, 0xfc00, v1
	v_or3_b32 v0, v2, v1, v0
	buffer_store_dword v0, off, s[0:3], s32 offset:340 ; 4-byte Folded Spill
.LBB285_328:                            ;   in Loop: Header=BB285_15 Depth=1
	s_or_b32 exec_lo, exec_lo, s22
.LBB285_329:                            ;   in Loop: Header=BB285_15 Depth=1
	s_or_b32 exec_lo, exec_lo, s21
.LBB285_330:                            ;   in Loop: Header=BB285_15 Depth=1
	s_or_b32 exec_lo, exec_lo, s20
	v_mov_b32_e32 v0, 0
	s_mov_b32 s20, exec_lo
	buffer_store_dword v0, off, s[0:3], s32 offset:348 ; 4-byte Folded Spill
	v_mov_b32_e32 v0, 0
	buffer_store_dword v0, off, s[0:3], s32 offset:512 ; 4-byte Folded Spill
	v_cmpx_lt_u64_e64 s[12:13], v[27:28]
	s_cbranch_execz .LBB285_338
; %bb.331:                              ;   in Loop: Header=BB285_15 Depth=1
	v_lshrrev_b32_e32 v3, 24, v28
	v_bfrev_b32_e32 v0, 1
	s_mov_b32 s21, exec_lo
	v_cmpx_ne_u32_e32 0x80, v3
	s_cbranch_execz .LBB285_337
; %bb.332:                              ;   in Loop: Header=BB285_15 Depth=1
	v_and_b32_e32 v2, 0x7f, v3
	v_mov_b32_e32 v0, 0x7c010000
	s_mov_b32 s22, exec_lo
	v_cmpx_ne_u32_e32 0x7f, v2
	s_cbranch_execz .LBB285_336
; %bb.333:                              ;   in Loop: Header=BB285_15 Depth=1
	v_and_b32_e32 v0, 7, v3
	v_lshrrev_b32_e32 v1, 3, v2
	s_mov_b32 s23, exec_lo
	v_cmpx_gt_u32_e32 8, v2
; %bb.334:                              ;   in Loop: Header=BB285_15 Depth=1
	v_ffbh_u32_e32 v0, v0
	v_min_u32_e32 v2, 32, v0
	v_subrev_nc_u32_e32 v0, 28, v2
	v_lshlrev_b64 v[0:1], v0, v[3:4]
	v_sub_nc_u32_e32 v1, 29, v2
	v_and_b32_e32 v0, 7, v0
; %bb.335:                              ;   in Loop: Header=BB285_15 Depth=1
	s_or_b32 exec_lo, exec_lo, s23
	v_lshlrev_b32_e32 v2, 8, v3
	v_lshl_add_u32 v1, v1, 10, 0x2000
	v_lshlrev_b32_e32 v0, 23, v0
	v_and_or_b32 v1, 0x8000, v2, v1
	v_lshl_or_b32 v0, v1, 16, v0
.LBB285_336:                            ;   in Loop: Header=BB285_15 Depth=1
	s_or_b32 exec_lo, exec_lo, s22
.LBB285_337:                            ;   in Loop: Header=BB285_15 Depth=1
	s_or_b32 exec_lo, exec_lo, s21
	buffer_store_dword v0, off, s[0:3], s32 offset:512 ; 4-byte Folded Spill
.LBB285_338:                            ;   in Loop: Header=BB285_15 Depth=1
	s_or_b32 exec_lo, exec_lo, s20
	flat_load_dwordx2 v[27:28], v[24:25] offset:1032
	s_waitcnt vmcnt(0) lgkmcnt(0)
	v_cmp_ne_u16_sdwa s5, v27, v4 src0_sel:BYTE_0 src1_sel:DWORD
	s_and_saveexec_b32 s20, s5
	s_cbranch_execz .LBB285_346
; %bb.339:                              ;   in Loop: Header=BB285_15 Depth=1
	v_cmp_ne_u16_sdwa s5, v27, v54 src0_sel:BYTE_0 src1_sel:DWORD
	v_mov_b32_e32 v0, 0x8000
	buffer_store_dword v0, off, s[0:3], s32 offset:348 ; 4-byte Folded Spill
	s_and_saveexec_b32 s21, s5
	s_cbranch_execz .LBB285_345
; %bb.340:                              ;   in Loop: Header=BB285_15 Depth=1
	v_and_b32_e32 v2, 0x7f, v27
	v_mov_b32_e32 v0, 0x7c01
	s_mov_b32 s22, exec_lo
	buffer_store_dword v0, off, s[0:3], s32 offset:348 ; 4-byte Folded Spill
	v_cmpx_ne_u32_e32 0x7f, v2
	s_cbranch_execz .LBB285_344
; %bb.341:                              ;   in Loop: Header=BB285_15 Depth=1
	v_and_b32_e32 v0, 7, v27
	v_lshrrev_b32_e32 v1, 3, v2
	s_mov_b32 s23, exec_lo
	v_cmpx_gt_u32_e32 8, v2
; %bb.342:                              ;   in Loop: Header=BB285_15 Depth=1
	v_ffbh_u32_e32 v0, v0
	v_min_u32_e32 v2, 32, v0
	v_subrev_nc_u32_e32 v0, 28, v2
	v_lshlrev_b64 v[0:1], v0, v[27:28]
	v_sub_nc_u32_e32 v1, 29, v2
	v_and_b32_e32 v0, 7, v0
; %bb.343:                              ;   in Loop: Header=BB285_15 Depth=1
	s_or_b32 exec_lo, exec_lo, s23
	v_lshlrev_b32_e32 v2, 8, v27
	v_lshl_add_u32 v1, v1, 10, 0x2000
	v_lshlrev_b32_e32 v0, 7, v0
	v_and_b32_e32 v2, 0x8000, v2
	v_and_b32_e32 v1, 0xfc00, v1
	v_or3_b32 v0, v2, v1, v0
	buffer_store_dword v0, off, s[0:3], s32 offset:348 ; 4-byte Folded Spill
.LBB285_344:                            ;   in Loop: Header=BB285_15 Depth=1
	s_or_b32 exec_lo, exec_lo, s22
.LBB285_345:                            ;   in Loop: Header=BB285_15 Depth=1
	s_or_b32 exec_lo, exec_lo, s21
.LBB285_346:                            ;   in Loop: Header=BB285_15 Depth=1
	s_or_b32 exec_lo, exec_lo, s20
	v_mov_b32_e32 v0, 0
	v_lshrrev_b16 v3, 8, v27
	s_mov_b32 s20, exec_lo
	buffer_store_dword v0, off, s[0:3], s32 offset:356 ; 4-byte Folded Spill
	v_mov_b32_e32 v0, 0
	buffer_store_dword v0, off, s[0:3], s32 offset:352 ; 4-byte Folded Spill
	v_cmpx_ne_u16_e32 0, v3
	s_cbranch_execz .LBB285_354
; %bb.347:                              ;   in Loop: Header=BB285_15 Depth=1
	v_bfrev_b32_e32 v0, 1
	s_mov_b32 s21, exec_lo
	buffer_store_dword v0, off, s[0:3], s32 offset:352 ; 4-byte Folded Spill
	v_cmpx_ne_u16_e32 0x80, v3
	s_cbranch_execz .LBB285_353
; %bb.348:                              ;   in Loop: Header=BB285_15 Depth=1
	v_mov_b32_e32 v0, 0x7f
	s_mov_b32 s22, exec_lo
	v_and_b32_sdwa v2, v3, v0 dst_sel:DWORD dst_unused:UNUSED_PAD src0_sel:WORD_0 src1_sel:DWORD
	v_mov_b32_e32 v0, 0x7c010000
	buffer_store_dword v0, off, s[0:3], s32 offset:352 ; 4-byte Folded Spill
	v_cmpx_ne_u32_e32 0x7f, v2
	s_cbranch_execz .LBB285_352
; %bb.349:                              ;   in Loop: Header=BB285_15 Depth=1
	v_mov_b32_e32 v0, 7
	v_lshrrev_b32_e32 v1, 3, v2
	s_mov_b32 s23, exec_lo
	v_and_b32_sdwa v0, v3, v0 dst_sel:DWORD dst_unused:UNUSED_PAD src0_sel:WORD_0 src1_sel:DWORD
	v_cmpx_gt_u32_e32 8, v2
; %bb.350:                              ;   in Loop: Header=BB285_15 Depth=1
	v_ffbh_u32_e32 v0, v0
	v_min_u32_e32 v2, 32, v0
	v_subrev_nc_u32_e32 v0, 28, v2
	v_lshlrev_b64 v[0:1], v0, v[3:4]
	v_sub_nc_u32_e32 v1, 29, v2
	v_and_b32_e32 v0, 7, v0
; %bb.351:                              ;   in Loop: Header=BB285_15 Depth=1
	s_or_b32 exec_lo, exec_lo, s23
	v_mov_b32_e32 v2, 8
	v_lshl_add_u32 v1, v1, 10, 0x2000
	v_lshlrev_b32_e32 v0, 23, v0
	v_lshlrev_b32_sdwa v2, v2, v3 dst_sel:DWORD dst_unused:UNUSED_PAD src0_sel:DWORD src1_sel:WORD_0
	v_and_or_b32 v1, 0x8000, v2, v1
	v_lshl_or_b32 v0, v1, 16, v0
	buffer_store_dword v0, off, s[0:3], s32 offset:352 ; 4-byte Folded Spill
.LBB285_352:                            ;   in Loop: Header=BB285_15 Depth=1
	s_or_b32 exec_lo, exec_lo, s22
.LBB285_353:                            ;   in Loop: Header=BB285_15 Depth=1
	s_or_b32 exec_lo, exec_lo, s21
.LBB285_354:                            ;   in Loop: Header=BB285_15 Depth=1
	s_or_b32 exec_lo, exec_lo, s20
	v_lshrrev_b32_e32 v3, 16, v27
	v_cmp_ne_u16_sdwa s5, v3, v4 src0_sel:BYTE_0 src1_sel:DWORD
	s_and_saveexec_b32 s20, s5
	s_cbranch_execz .LBB285_362
; %bb.355:                              ;   in Loop: Header=BB285_15 Depth=1
	v_cmp_ne_u16_sdwa s5, v3, v54 src0_sel:BYTE_0 src1_sel:DWORD
	v_mov_b32_e32 v0, 0x8000
	buffer_store_dword v0, off, s[0:3], s32 offset:356 ; 4-byte Folded Spill
	s_and_saveexec_b32 s21, s5
	s_cbranch_execz .LBB285_361
; %bb.356:                              ;   in Loop: Header=BB285_15 Depth=1
	v_bfe_u32 v2, v27, 16, 7
	v_mov_b32_e32 v0, 0x7c01
	s_mov_b32 s22, exec_lo
	buffer_store_dword v0, off, s[0:3], s32 offset:356 ; 4-byte Folded Spill
	v_cmpx_ne_u32_e32 0x7f, v2
	s_cbranch_execz .LBB285_360
; %bb.357:                              ;   in Loop: Header=BB285_15 Depth=1
	v_and_b32_e32 v0, 7, v3
	v_lshrrev_b32_e32 v1, 3, v2
	s_mov_b32 s23, exec_lo
	v_cmpx_gt_u32_e32 8, v2
; %bb.358:                              ;   in Loop: Header=BB285_15 Depth=1
	v_ffbh_u32_e32 v0, v0
	v_min_u32_e32 v2, 32, v0
	v_subrev_nc_u32_e32 v0, 28, v2
	v_lshlrev_b64 v[0:1], v0, v[3:4]
	v_sub_nc_u32_e32 v1, 29, v2
	v_and_b32_e32 v0, 7, v0
; %bb.359:                              ;   in Loop: Header=BB285_15 Depth=1
	s_or_b32 exec_lo, exec_lo, s23
	v_lshlrev_b32_e32 v2, 8, v3
	v_lshl_add_u32 v1, v1, 10, 0x2000
	v_lshlrev_b32_e32 v0, 7, v0
	v_and_b32_e32 v2, 0x8000, v2
	v_and_b32_e32 v1, 0xfc00, v1
	v_or3_b32 v0, v2, v1, v0
	buffer_store_dword v0, off, s[0:3], s32 offset:356 ; 4-byte Folded Spill
.LBB285_360:                            ;   in Loop: Header=BB285_15 Depth=1
	s_or_b32 exec_lo, exec_lo, s22
.LBB285_361:                            ;   in Loop: Header=BB285_15 Depth=1
	s_or_b32 exec_lo, exec_lo, s21
.LBB285_362:                            ;   in Loop: Header=BB285_15 Depth=1
	s_or_b32 exec_lo, exec_lo, s20
	v_mov_b32_e32 v0, 0
	s_mov_b32 s20, exec_lo
	buffer_store_dword v0, off, s[0:3], s32 offset:360 ; 4-byte Folded Spill
	v_mov_b32_e32 v0, 0
	buffer_store_dword v0, off, s[0:3], s32 offset:364 ; 4-byte Folded Spill
	v_cmpx_lt_u32_e32 0xffffff, v27
	s_cbranch_execz .LBB285_370
; %bb.363:                              ;   in Loop: Header=BB285_15 Depth=1
	v_lshrrev_b32_e32 v3, 24, v27
	v_bfrev_b32_e32 v0, 1
	s_mov_b32 s21, exec_lo
	buffer_store_dword v0, off, s[0:3], s32 offset:364 ; 4-byte Folded Spill
	v_cmpx_ne_u32_e32 0x80, v3
	s_cbranch_execz .LBB285_369
; %bb.364:                              ;   in Loop: Header=BB285_15 Depth=1
	v_and_b32_e32 v2, 0x7f, v3
	v_mov_b32_e32 v0, 0x7c010000
	s_mov_b32 s22, exec_lo
	buffer_store_dword v0, off, s[0:3], s32 offset:364 ; 4-byte Folded Spill
	v_cmpx_ne_u32_e32 0x7f, v2
	s_cbranch_execz .LBB285_368
; %bb.365:                              ;   in Loop: Header=BB285_15 Depth=1
	v_and_b32_e32 v0, 7, v3
	v_lshrrev_b32_e32 v1, 3, v2
	s_mov_b32 s23, exec_lo
	v_cmpx_gt_u32_e32 8, v2
; %bb.366:                              ;   in Loop: Header=BB285_15 Depth=1
	v_ffbh_u32_e32 v0, v0
	v_min_u32_e32 v2, 32, v0
	v_subrev_nc_u32_e32 v0, 28, v2
	v_lshlrev_b64 v[0:1], v0, v[3:4]
	v_sub_nc_u32_e32 v1, 29, v2
	v_and_b32_e32 v0, 7, v0
; %bb.367:                              ;   in Loop: Header=BB285_15 Depth=1
	s_or_b32 exec_lo, exec_lo, s23
	v_lshlrev_b32_e32 v2, 8, v3
	v_lshl_add_u32 v1, v1, 10, 0x2000
	v_lshlrev_b32_e32 v0, 23, v0
	v_and_or_b32 v1, 0x8000, v2, v1
	v_lshl_or_b32 v0, v1, 16, v0
	buffer_store_dword v0, off, s[0:3], s32 offset:364 ; 4-byte Folded Spill
.LBB285_368:                            ;   in Loop: Header=BB285_15 Depth=1
	s_or_b32 exec_lo, exec_lo, s22
.LBB285_369:                            ;   in Loop: Header=BB285_15 Depth=1
	s_or_b32 exec_lo, exec_lo, s21
.LBB285_370:                            ;   in Loop: Header=BB285_15 Depth=1
	s_or_b32 exec_lo, exec_lo, s20
	v_mov_b32_e32 v3, v28
	v_cmp_ne_u16_sdwa s5, v28, v4 src0_sel:BYTE_0 src1_sel:DWORD
	s_and_saveexec_b32 s20, s5
	s_cbranch_execz .LBB285_378
; %bb.371:                              ;   in Loop: Header=BB285_15 Depth=1
	v_cmp_ne_u16_sdwa s5, v28, v54 src0_sel:BYTE_0 src1_sel:DWORD
	v_mov_b32_e32 v0, 0x8000
	buffer_store_dword v0, off, s[0:3], s32 offset:360 ; 4-byte Folded Spill
	s_and_saveexec_b32 s21, s5
	s_cbranch_execz .LBB285_377
; %bb.372:                              ;   in Loop: Header=BB285_15 Depth=1
	v_and_b32_e32 v2, 0x7f, v28
	v_mov_b32_e32 v0, 0x7c01
	s_mov_b32 s22, exec_lo
	buffer_store_dword v0, off, s[0:3], s32 offset:360 ; 4-byte Folded Spill
	v_cmpx_ne_u32_e32 0x7f, v2
	s_cbranch_execz .LBB285_376
; %bb.373:                              ;   in Loop: Header=BB285_15 Depth=1
	v_and_b32_e32 v0, 7, v28
	v_lshrrev_b32_e32 v1, 3, v2
	s_mov_b32 s23, exec_lo
	v_cmpx_gt_u32_e32 8, v2
; %bb.374:                              ;   in Loop: Header=BB285_15 Depth=1
	v_ffbh_u32_e32 v0, v0
	v_min_u32_e32 v2, 32, v0
	v_subrev_nc_u32_e32 v0, 28, v2
	v_lshlrev_b64 v[0:1], v0, v[3:4]
	v_sub_nc_u32_e32 v1, 29, v2
	v_and_b32_e32 v0, 7, v0
; %bb.375:                              ;   in Loop: Header=BB285_15 Depth=1
	s_or_b32 exec_lo, exec_lo, s23
	v_lshlrev_b32_e32 v2, 8, v28
	v_lshl_add_u32 v1, v1, 10, 0x2000
	v_lshlrev_b32_e32 v0, 7, v0
	v_and_b32_e32 v2, 0x8000, v2
	v_and_b32_e32 v1, 0xfc00, v1
	v_or3_b32 v0, v2, v1, v0
	buffer_store_dword v0, off, s[0:3], s32 offset:360 ; 4-byte Folded Spill
.LBB285_376:                            ;   in Loop: Header=BB285_15 Depth=1
	s_or_b32 exec_lo, exec_lo, s22
.LBB285_377:                            ;   in Loop: Header=BB285_15 Depth=1
	s_or_b32 exec_lo, exec_lo, s21
.LBB285_378:                            ;   in Loop: Header=BB285_15 Depth=1
	s_or_b32 exec_lo, exec_lo, s20
	v_mov_b32_e32 v0, 0
	v_lshrrev_b16 v3, 8, v3
	s_mov_b32 s20, exec_lo
	buffer_store_dword v0, off, s[0:3], s32 offset:368 ; 4-byte Folded Spill
	v_mov_b32_e32 v0, 0
	buffer_store_dword v0, off, s[0:3], s32 offset:372 ; 4-byte Folded Spill
	v_cmpx_ne_u16_e32 0, v3
	s_cbranch_execz .LBB285_386
; %bb.379:                              ;   in Loop: Header=BB285_15 Depth=1
	v_bfrev_b32_e32 v0, 1
	s_mov_b32 s21, exec_lo
	buffer_store_dword v0, off, s[0:3], s32 offset:372 ; 4-byte Folded Spill
	v_cmpx_ne_u16_e32 0x80, v3
	s_cbranch_execz .LBB285_385
; %bb.380:                              ;   in Loop: Header=BB285_15 Depth=1
	v_mov_b32_e32 v0, 0x7f
	s_mov_b32 s22, exec_lo
	v_and_b32_sdwa v2, v3, v0 dst_sel:DWORD dst_unused:UNUSED_PAD src0_sel:WORD_0 src1_sel:DWORD
	v_mov_b32_e32 v0, 0x7c010000
	buffer_store_dword v0, off, s[0:3], s32 offset:372 ; 4-byte Folded Spill
	v_cmpx_ne_u32_e32 0x7f, v2
	s_cbranch_execz .LBB285_384
; %bb.381:                              ;   in Loop: Header=BB285_15 Depth=1
	v_mov_b32_e32 v0, 7
	v_lshrrev_b32_e32 v1, 3, v2
	s_mov_b32 s23, exec_lo
	v_and_b32_sdwa v0, v3, v0 dst_sel:DWORD dst_unused:UNUSED_PAD src0_sel:WORD_0 src1_sel:DWORD
	v_cmpx_gt_u32_e32 8, v2
; %bb.382:                              ;   in Loop: Header=BB285_15 Depth=1
	v_ffbh_u32_e32 v0, v0
	v_min_u32_e32 v2, 32, v0
	v_subrev_nc_u32_e32 v0, 28, v2
	v_lshlrev_b64 v[0:1], v0, v[3:4]
	v_sub_nc_u32_e32 v1, 29, v2
	v_and_b32_e32 v0, 7, v0
; %bb.383:                              ;   in Loop: Header=BB285_15 Depth=1
	s_or_b32 exec_lo, exec_lo, s23
	v_mov_b32_e32 v2, 8
	v_lshl_add_u32 v1, v1, 10, 0x2000
	v_lshlrev_b32_e32 v0, 23, v0
	v_lshlrev_b32_sdwa v2, v2, v3 dst_sel:DWORD dst_unused:UNUSED_PAD src0_sel:DWORD src1_sel:WORD_0
	v_and_or_b32 v1, 0x8000, v2, v1
	v_lshl_or_b32 v0, v1, 16, v0
	buffer_store_dword v0, off, s[0:3], s32 offset:372 ; 4-byte Folded Spill
.LBB285_384:                            ;   in Loop: Header=BB285_15 Depth=1
	s_or_b32 exec_lo, exec_lo, s22
.LBB285_385:                            ;   in Loop: Header=BB285_15 Depth=1
	s_or_b32 exec_lo, exec_lo, s21
.LBB285_386:                            ;   in Loop: Header=BB285_15 Depth=1
	s_or_b32 exec_lo, exec_lo, s20
	v_lshrrev_b32_e32 v3, 16, v28
	v_cmp_ne_u16_sdwa s5, v3, v4 src0_sel:BYTE_0 src1_sel:DWORD
	s_and_saveexec_b32 s20, s5
	s_cbranch_execz .LBB285_394
; %bb.387:                              ;   in Loop: Header=BB285_15 Depth=1
	v_cmp_ne_u16_sdwa s5, v3, v54 src0_sel:BYTE_0 src1_sel:DWORD
	v_mov_b32_e32 v0, 0x8000
	buffer_store_dword v0, off, s[0:3], s32 offset:368 ; 4-byte Folded Spill
	s_and_saveexec_b32 s21, s5
	s_cbranch_execz .LBB285_393
; %bb.388:                              ;   in Loop: Header=BB285_15 Depth=1
	v_bfe_u32 v2, v28, 16, 7
	v_mov_b32_e32 v0, 0x7c01
	s_mov_b32 s22, exec_lo
	buffer_store_dword v0, off, s[0:3], s32 offset:368 ; 4-byte Folded Spill
	v_cmpx_ne_u32_e32 0x7f, v2
	s_cbranch_execz .LBB285_392
; %bb.389:                              ;   in Loop: Header=BB285_15 Depth=1
	v_and_b32_e32 v0, 7, v3
	v_lshrrev_b32_e32 v1, 3, v2
	s_mov_b32 s23, exec_lo
	v_cmpx_gt_u32_e32 8, v2
; %bb.390:                              ;   in Loop: Header=BB285_15 Depth=1
	v_ffbh_u32_e32 v0, v0
	v_min_u32_e32 v2, 32, v0
	v_subrev_nc_u32_e32 v0, 28, v2
	v_lshlrev_b64 v[0:1], v0, v[3:4]
	v_sub_nc_u32_e32 v1, 29, v2
	v_and_b32_e32 v0, 7, v0
; %bb.391:                              ;   in Loop: Header=BB285_15 Depth=1
	s_or_b32 exec_lo, exec_lo, s23
	v_lshlrev_b32_e32 v2, 8, v3
	v_lshl_add_u32 v1, v1, 10, 0x2000
	v_lshlrev_b32_e32 v0, 7, v0
	v_and_b32_e32 v2, 0x8000, v2
	v_and_b32_e32 v1, 0xfc00, v1
	v_or3_b32 v0, v2, v1, v0
	buffer_store_dword v0, off, s[0:3], s32 offset:368 ; 4-byte Folded Spill
.LBB285_392:                            ;   in Loop: Header=BB285_15 Depth=1
	s_or_b32 exec_lo, exec_lo, s22
.LBB285_393:                            ;   in Loop: Header=BB285_15 Depth=1
	s_or_b32 exec_lo, exec_lo, s21
.LBB285_394:                            ;   in Loop: Header=BB285_15 Depth=1
	s_or_b32 exec_lo, exec_lo, s20
	v_mov_b32_e32 v0, 0
	s_mov_b32 s20, exec_lo
	buffer_store_dword v0, off, s[0:3], s32 offset:376 ; 4-byte Folded Spill
	v_mov_b32_e32 v0, 0
	buffer_store_dword v0, off, s[0:3], s32 offset:516 ; 4-byte Folded Spill
	v_cmpx_lt_u64_e64 s[12:13], v[27:28]
	s_cbranch_execz .LBB285_402
; %bb.395:                              ;   in Loop: Header=BB285_15 Depth=1
	v_lshrrev_b32_e32 v3, 24, v28
	v_bfrev_b32_e32 v0, 1
	s_mov_b32 s21, exec_lo
	v_cmpx_ne_u32_e32 0x80, v3
	s_cbranch_execz .LBB285_401
; %bb.396:                              ;   in Loop: Header=BB285_15 Depth=1
	v_and_b32_e32 v2, 0x7f, v3
	v_mov_b32_e32 v0, 0x7c010000
	s_mov_b32 s22, exec_lo
	v_cmpx_ne_u32_e32 0x7f, v2
	s_cbranch_execz .LBB285_400
; %bb.397:                              ;   in Loop: Header=BB285_15 Depth=1
	v_and_b32_e32 v0, 7, v3
	v_lshrrev_b32_e32 v1, 3, v2
	s_mov_b32 s23, exec_lo
	v_cmpx_gt_u32_e32 8, v2
; %bb.398:                              ;   in Loop: Header=BB285_15 Depth=1
	v_ffbh_u32_e32 v0, v0
	v_min_u32_e32 v2, 32, v0
	v_subrev_nc_u32_e32 v0, 28, v2
	v_lshlrev_b64 v[0:1], v0, v[3:4]
	v_sub_nc_u32_e32 v1, 29, v2
	v_and_b32_e32 v0, 7, v0
; %bb.399:                              ;   in Loop: Header=BB285_15 Depth=1
	s_or_b32 exec_lo, exec_lo, s23
	v_lshlrev_b32_e32 v2, 8, v3
	v_lshl_add_u32 v1, v1, 10, 0x2000
	v_lshlrev_b32_e32 v0, 23, v0
	v_and_or_b32 v1, 0x8000, v2, v1
	v_lshl_or_b32 v0, v1, 16, v0
.LBB285_400:                            ;   in Loop: Header=BB285_15 Depth=1
	s_or_b32 exec_lo, exec_lo, s22
.LBB285_401:                            ;   in Loop: Header=BB285_15 Depth=1
	s_or_b32 exec_lo, exec_lo, s21
	buffer_store_dword v0, off, s[0:3], s32 offset:516 ; 4-byte Folded Spill
.LBB285_402:                            ;   in Loop: Header=BB285_15 Depth=1
	s_or_b32 exec_lo, exec_lo, s20
	flat_load_dwordx2 v[27:28], v[24:25] offset:1536
	s_waitcnt vmcnt(0) lgkmcnt(0)
	v_cmp_ne_u16_sdwa s5, v27, v4 src0_sel:BYTE_0 src1_sel:DWORD
	s_and_saveexec_b32 s20, s5
	s_cbranch_execz .LBB285_410
; %bb.403:                              ;   in Loop: Header=BB285_15 Depth=1
	v_cmp_ne_u16_sdwa s5, v27, v54 src0_sel:BYTE_0 src1_sel:DWORD
	v_mov_b32_e32 v0, 0x8000
	buffer_store_dword v0, off, s[0:3], s32 offset:376 ; 4-byte Folded Spill
	s_and_saveexec_b32 s21, s5
	s_cbranch_execz .LBB285_409
; %bb.404:                              ;   in Loop: Header=BB285_15 Depth=1
	v_and_b32_e32 v2, 0x7f, v27
	v_mov_b32_e32 v0, 0x7c01
	s_mov_b32 s22, exec_lo
	buffer_store_dword v0, off, s[0:3], s32 offset:376 ; 4-byte Folded Spill
	v_cmpx_ne_u32_e32 0x7f, v2
	s_cbranch_execz .LBB285_408
; %bb.405:                              ;   in Loop: Header=BB285_15 Depth=1
	v_and_b32_e32 v0, 7, v27
	v_lshrrev_b32_e32 v1, 3, v2
	s_mov_b32 s23, exec_lo
	v_cmpx_gt_u32_e32 8, v2
; %bb.406:                              ;   in Loop: Header=BB285_15 Depth=1
	v_ffbh_u32_e32 v0, v0
	v_min_u32_e32 v2, 32, v0
	v_subrev_nc_u32_e32 v0, 28, v2
	v_lshlrev_b64 v[0:1], v0, v[27:28]
	v_sub_nc_u32_e32 v1, 29, v2
	v_and_b32_e32 v0, 7, v0
; %bb.407:                              ;   in Loop: Header=BB285_15 Depth=1
	s_or_b32 exec_lo, exec_lo, s23
	v_lshlrev_b32_e32 v2, 8, v27
	v_lshl_add_u32 v1, v1, 10, 0x2000
	v_lshlrev_b32_e32 v0, 7, v0
	v_and_b32_e32 v2, 0x8000, v2
	v_and_b32_e32 v1, 0xfc00, v1
	v_or3_b32 v0, v2, v1, v0
	buffer_store_dword v0, off, s[0:3], s32 offset:376 ; 4-byte Folded Spill
.LBB285_408:                            ;   in Loop: Header=BB285_15 Depth=1
	s_or_b32 exec_lo, exec_lo, s22
.LBB285_409:                            ;   in Loop: Header=BB285_15 Depth=1
	s_or_b32 exec_lo, exec_lo, s21
.LBB285_410:                            ;   in Loop: Header=BB285_15 Depth=1
	s_or_b32 exec_lo, exec_lo, s20
	v_mov_b32_e32 v0, 0
	v_lshrrev_b16 v3, 8, v27
	s_mov_b32 s20, exec_lo
	buffer_store_dword v0, off, s[0:3], s32 offset:384 ; 4-byte Folded Spill
	v_mov_b32_e32 v0, 0
	buffer_store_dword v0, off, s[0:3], s32 offset:380 ; 4-byte Folded Spill
	v_cmpx_ne_u16_e32 0, v3
	s_cbranch_execz .LBB285_418
; %bb.411:                              ;   in Loop: Header=BB285_15 Depth=1
	v_bfrev_b32_e32 v0, 1
	s_mov_b32 s21, exec_lo
	buffer_store_dword v0, off, s[0:3], s32 offset:380 ; 4-byte Folded Spill
	v_cmpx_ne_u16_e32 0x80, v3
	s_cbranch_execz .LBB285_417
; %bb.412:                              ;   in Loop: Header=BB285_15 Depth=1
	v_mov_b32_e32 v0, 0x7f
	s_mov_b32 s22, exec_lo
	v_and_b32_sdwa v2, v3, v0 dst_sel:DWORD dst_unused:UNUSED_PAD src0_sel:WORD_0 src1_sel:DWORD
	v_mov_b32_e32 v0, 0x7c010000
	buffer_store_dword v0, off, s[0:3], s32 offset:380 ; 4-byte Folded Spill
	v_cmpx_ne_u32_e32 0x7f, v2
	s_cbranch_execz .LBB285_416
; %bb.413:                              ;   in Loop: Header=BB285_15 Depth=1
	v_mov_b32_e32 v0, 7
	v_lshrrev_b32_e32 v1, 3, v2
	s_mov_b32 s23, exec_lo
	v_and_b32_sdwa v0, v3, v0 dst_sel:DWORD dst_unused:UNUSED_PAD src0_sel:WORD_0 src1_sel:DWORD
	v_cmpx_gt_u32_e32 8, v2
; %bb.414:                              ;   in Loop: Header=BB285_15 Depth=1
	v_ffbh_u32_e32 v0, v0
	v_min_u32_e32 v2, 32, v0
	v_subrev_nc_u32_e32 v0, 28, v2
	v_lshlrev_b64 v[0:1], v0, v[3:4]
	v_sub_nc_u32_e32 v1, 29, v2
	v_and_b32_e32 v0, 7, v0
; %bb.415:                              ;   in Loop: Header=BB285_15 Depth=1
	s_or_b32 exec_lo, exec_lo, s23
	v_mov_b32_e32 v2, 8
	v_lshl_add_u32 v1, v1, 10, 0x2000
	v_lshlrev_b32_e32 v0, 23, v0
	v_lshlrev_b32_sdwa v2, v2, v3 dst_sel:DWORD dst_unused:UNUSED_PAD src0_sel:DWORD src1_sel:WORD_0
	v_and_or_b32 v1, 0x8000, v2, v1
	v_lshl_or_b32 v0, v1, 16, v0
	buffer_store_dword v0, off, s[0:3], s32 offset:380 ; 4-byte Folded Spill
.LBB285_416:                            ;   in Loop: Header=BB285_15 Depth=1
	s_or_b32 exec_lo, exec_lo, s22
.LBB285_417:                            ;   in Loop: Header=BB285_15 Depth=1
	s_or_b32 exec_lo, exec_lo, s21
.LBB285_418:                            ;   in Loop: Header=BB285_15 Depth=1
	s_or_b32 exec_lo, exec_lo, s20
	v_lshrrev_b32_e32 v3, 16, v27
	v_cmp_ne_u16_sdwa s5, v3, v4 src0_sel:BYTE_0 src1_sel:DWORD
	s_and_saveexec_b32 s20, s5
	s_cbranch_execz .LBB285_426
; %bb.419:                              ;   in Loop: Header=BB285_15 Depth=1
	v_cmp_ne_u16_sdwa s5, v3, v54 src0_sel:BYTE_0 src1_sel:DWORD
	v_mov_b32_e32 v0, 0x8000
	buffer_store_dword v0, off, s[0:3], s32 offset:384 ; 4-byte Folded Spill
	s_and_saveexec_b32 s21, s5
	s_cbranch_execz .LBB285_425
; %bb.420:                              ;   in Loop: Header=BB285_15 Depth=1
	v_bfe_u32 v2, v27, 16, 7
	v_mov_b32_e32 v0, 0x7c01
	s_mov_b32 s22, exec_lo
	buffer_store_dword v0, off, s[0:3], s32 offset:384 ; 4-byte Folded Spill
	v_cmpx_ne_u32_e32 0x7f, v2
	s_cbranch_execz .LBB285_424
; %bb.421:                              ;   in Loop: Header=BB285_15 Depth=1
	v_and_b32_e32 v0, 7, v3
	v_lshrrev_b32_e32 v1, 3, v2
	s_mov_b32 s23, exec_lo
	v_cmpx_gt_u32_e32 8, v2
; %bb.422:                              ;   in Loop: Header=BB285_15 Depth=1
	v_ffbh_u32_e32 v0, v0
	v_min_u32_e32 v2, 32, v0
	v_subrev_nc_u32_e32 v0, 28, v2
	v_lshlrev_b64 v[0:1], v0, v[3:4]
	v_sub_nc_u32_e32 v1, 29, v2
	v_and_b32_e32 v0, 7, v0
; %bb.423:                              ;   in Loop: Header=BB285_15 Depth=1
	s_or_b32 exec_lo, exec_lo, s23
	v_lshlrev_b32_e32 v2, 8, v3
	v_lshl_add_u32 v1, v1, 10, 0x2000
	v_lshlrev_b32_e32 v0, 7, v0
	v_and_b32_e32 v2, 0x8000, v2
	v_and_b32_e32 v1, 0xfc00, v1
	v_or3_b32 v0, v2, v1, v0
	buffer_store_dword v0, off, s[0:3], s32 offset:384 ; 4-byte Folded Spill
.LBB285_424:                            ;   in Loop: Header=BB285_15 Depth=1
	s_or_b32 exec_lo, exec_lo, s22
.LBB285_425:                            ;   in Loop: Header=BB285_15 Depth=1
	s_or_b32 exec_lo, exec_lo, s21
.LBB285_426:                            ;   in Loop: Header=BB285_15 Depth=1
	s_or_b32 exec_lo, exec_lo, s20
	v_mov_b32_e32 v0, 0
	s_mov_b32 s20, exec_lo
	buffer_store_dword v0, off, s[0:3], s32 offset:388 ; 4-byte Folded Spill
	v_mov_b32_e32 v0, 0
	buffer_store_dword v0, off, s[0:3], s32 offset:392 ; 4-byte Folded Spill
	v_cmpx_lt_u32_e32 0xffffff, v27
	s_cbranch_execz .LBB285_434
; %bb.427:                              ;   in Loop: Header=BB285_15 Depth=1
	v_lshrrev_b32_e32 v3, 24, v27
	v_bfrev_b32_e32 v0, 1
	s_mov_b32 s21, exec_lo
	buffer_store_dword v0, off, s[0:3], s32 offset:392 ; 4-byte Folded Spill
	v_cmpx_ne_u32_e32 0x80, v3
	s_cbranch_execz .LBB285_433
; %bb.428:                              ;   in Loop: Header=BB285_15 Depth=1
	v_and_b32_e32 v2, 0x7f, v3
	v_mov_b32_e32 v0, 0x7c010000
	s_mov_b32 s22, exec_lo
	buffer_store_dword v0, off, s[0:3], s32 offset:392 ; 4-byte Folded Spill
	v_cmpx_ne_u32_e32 0x7f, v2
	s_cbranch_execz .LBB285_432
; %bb.429:                              ;   in Loop: Header=BB285_15 Depth=1
	v_and_b32_e32 v0, 7, v3
	v_lshrrev_b32_e32 v1, 3, v2
	s_mov_b32 s23, exec_lo
	v_cmpx_gt_u32_e32 8, v2
; %bb.430:                              ;   in Loop: Header=BB285_15 Depth=1
	v_ffbh_u32_e32 v0, v0
	v_min_u32_e32 v2, 32, v0
	v_subrev_nc_u32_e32 v0, 28, v2
	v_lshlrev_b64 v[0:1], v0, v[3:4]
	v_sub_nc_u32_e32 v1, 29, v2
	v_and_b32_e32 v0, 7, v0
; %bb.431:                              ;   in Loop: Header=BB285_15 Depth=1
	s_or_b32 exec_lo, exec_lo, s23
	v_lshlrev_b32_e32 v2, 8, v3
	v_lshl_add_u32 v1, v1, 10, 0x2000
	v_lshlrev_b32_e32 v0, 23, v0
	v_and_or_b32 v1, 0x8000, v2, v1
	v_lshl_or_b32 v0, v1, 16, v0
	buffer_store_dword v0, off, s[0:3], s32 offset:392 ; 4-byte Folded Spill
.LBB285_432:                            ;   in Loop: Header=BB285_15 Depth=1
	s_or_b32 exec_lo, exec_lo, s22
.LBB285_433:                            ;   in Loop: Header=BB285_15 Depth=1
	s_or_b32 exec_lo, exec_lo, s21
.LBB285_434:                            ;   in Loop: Header=BB285_15 Depth=1
	s_or_b32 exec_lo, exec_lo, s20
	v_mov_b32_e32 v3, v28
	v_cmp_ne_u16_sdwa s5, v28, v4 src0_sel:BYTE_0 src1_sel:DWORD
	s_and_saveexec_b32 s20, s5
	s_cbranch_execz .LBB285_442
; %bb.435:                              ;   in Loop: Header=BB285_15 Depth=1
	v_cmp_ne_u16_sdwa s5, v28, v54 src0_sel:BYTE_0 src1_sel:DWORD
	v_mov_b32_e32 v0, 0x8000
	buffer_store_dword v0, off, s[0:3], s32 offset:388 ; 4-byte Folded Spill
	s_and_saveexec_b32 s21, s5
	s_cbranch_execz .LBB285_441
; %bb.436:                              ;   in Loop: Header=BB285_15 Depth=1
	v_and_b32_e32 v2, 0x7f, v28
	v_mov_b32_e32 v0, 0x7c01
	s_mov_b32 s22, exec_lo
	buffer_store_dword v0, off, s[0:3], s32 offset:388 ; 4-byte Folded Spill
	v_cmpx_ne_u32_e32 0x7f, v2
	s_cbranch_execz .LBB285_440
; %bb.437:                              ;   in Loop: Header=BB285_15 Depth=1
	v_and_b32_e32 v0, 7, v28
	v_lshrrev_b32_e32 v1, 3, v2
	s_mov_b32 s23, exec_lo
	v_cmpx_gt_u32_e32 8, v2
; %bb.438:                              ;   in Loop: Header=BB285_15 Depth=1
	v_ffbh_u32_e32 v0, v0
	v_min_u32_e32 v2, 32, v0
	v_subrev_nc_u32_e32 v0, 28, v2
	v_lshlrev_b64 v[0:1], v0, v[3:4]
	v_sub_nc_u32_e32 v1, 29, v2
	v_and_b32_e32 v0, 7, v0
; %bb.439:                              ;   in Loop: Header=BB285_15 Depth=1
	s_or_b32 exec_lo, exec_lo, s23
	v_lshlrev_b32_e32 v2, 8, v28
	v_lshl_add_u32 v1, v1, 10, 0x2000
	v_lshlrev_b32_e32 v0, 7, v0
	v_and_b32_e32 v2, 0x8000, v2
	v_and_b32_e32 v1, 0xfc00, v1
	v_or3_b32 v0, v2, v1, v0
	buffer_store_dword v0, off, s[0:3], s32 offset:388 ; 4-byte Folded Spill
.LBB285_440:                            ;   in Loop: Header=BB285_15 Depth=1
	s_or_b32 exec_lo, exec_lo, s22
.LBB285_441:                            ;   in Loop: Header=BB285_15 Depth=1
	s_or_b32 exec_lo, exec_lo, s21
.LBB285_442:                            ;   in Loop: Header=BB285_15 Depth=1
	s_or_b32 exec_lo, exec_lo, s20
	v_mov_b32_e32 v0, 0
	v_lshrrev_b16 v3, 8, v3
	s_mov_b32 s20, exec_lo
	buffer_store_dword v0, off, s[0:3], s32 offset:396 ; 4-byte Folded Spill
	v_mov_b32_e32 v0, 0
	buffer_store_dword v0, off, s[0:3], s32 offset:400 ; 4-byte Folded Spill
	v_cmpx_ne_u16_e32 0, v3
	s_cbranch_execz .LBB285_450
; %bb.443:                              ;   in Loop: Header=BB285_15 Depth=1
	v_bfrev_b32_e32 v0, 1
	s_mov_b32 s21, exec_lo
	buffer_store_dword v0, off, s[0:3], s32 offset:400 ; 4-byte Folded Spill
	v_cmpx_ne_u16_e32 0x80, v3
	s_cbranch_execz .LBB285_449
; %bb.444:                              ;   in Loop: Header=BB285_15 Depth=1
	v_mov_b32_e32 v0, 0x7f
	s_mov_b32 s22, exec_lo
	v_and_b32_sdwa v2, v3, v0 dst_sel:DWORD dst_unused:UNUSED_PAD src0_sel:WORD_0 src1_sel:DWORD
	v_mov_b32_e32 v0, 0x7c010000
	buffer_store_dword v0, off, s[0:3], s32 offset:400 ; 4-byte Folded Spill
	v_cmpx_ne_u32_e32 0x7f, v2
	s_cbranch_execz .LBB285_448
; %bb.445:                              ;   in Loop: Header=BB285_15 Depth=1
	v_mov_b32_e32 v0, 7
	v_lshrrev_b32_e32 v1, 3, v2
	s_mov_b32 s23, exec_lo
	v_and_b32_sdwa v0, v3, v0 dst_sel:DWORD dst_unused:UNUSED_PAD src0_sel:WORD_0 src1_sel:DWORD
	v_cmpx_gt_u32_e32 8, v2
; %bb.446:                              ;   in Loop: Header=BB285_15 Depth=1
	v_ffbh_u32_e32 v0, v0
	v_min_u32_e32 v2, 32, v0
	v_subrev_nc_u32_e32 v0, 28, v2
	v_lshlrev_b64 v[0:1], v0, v[3:4]
	v_sub_nc_u32_e32 v1, 29, v2
	v_and_b32_e32 v0, 7, v0
; %bb.447:                              ;   in Loop: Header=BB285_15 Depth=1
	s_or_b32 exec_lo, exec_lo, s23
	v_mov_b32_e32 v2, 8
	v_lshl_add_u32 v1, v1, 10, 0x2000
	v_lshlrev_b32_e32 v0, 23, v0
	v_lshlrev_b32_sdwa v2, v2, v3 dst_sel:DWORD dst_unused:UNUSED_PAD src0_sel:DWORD src1_sel:WORD_0
	v_and_or_b32 v1, 0x8000, v2, v1
	v_lshl_or_b32 v0, v1, 16, v0
	buffer_store_dword v0, off, s[0:3], s32 offset:400 ; 4-byte Folded Spill
.LBB285_448:                            ;   in Loop: Header=BB285_15 Depth=1
	s_or_b32 exec_lo, exec_lo, s22
.LBB285_449:                            ;   in Loop: Header=BB285_15 Depth=1
	s_or_b32 exec_lo, exec_lo, s21
.LBB285_450:                            ;   in Loop: Header=BB285_15 Depth=1
	s_or_b32 exec_lo, exec_lo, s20
	v_lshrrev_b32_e32 v3, 16, v28
	v_cmp_ne_u16_sdwa s5, v3, v4 src0_sel:BYTE_0 src1_sel:DWORD
	s_and_saveexec_b32 s20, s5
	s_cbranch_execz .LBB285_458
; %bb.451:                              ;   in Loop: Header=BB285_15 Depth=1
	v_cmp_ne_u16_sdwa s5, v3, v54 src0_sel:BYTE_0 src1_sel:DWORD
	v_mov_b32_e32 v0, 0x8000
	buffer_store_dword v0, off, s[0:3], s32 offset:396 ; 4-byte Folded Spill
	s_and_saveexec_b32 s21, s5
	s_cbranch_execz .LBB285_457
; %bb.452:                              ;   in Loop: Header=BB285_15 Depth=1
	v_bfe_u32 v2, v28, 16, 7
	v_mov_b32_e32 v0, 0x7c01
	s_mov_b32 s22, exec_lo
	buffer_store_dword v0, off, s[0:3], s32 offset:396 ; 4-byte Folded Spill
	v_cmpx_ne_u32_e32 0x7f, v2
	s_cbranch_execz .LBB285_456
; %bb.453:                              ;   in Loop: Header=BB285_15 Depth=1
	v_and_b32_e32 v0, 7, v3
	v_lshrrev_b32_e32 v1, 3, v2
	s_mov_b32 s23, exec_lo
	v_cmpx_gt_u32_e32 8, v2
; %bb.454:                              ;   in Loop: Header=BB285_15 Depth=1
	v_ffbh_u32_e32 v0, v0
	v_min_u32_e32 v2, 32, v0
	v_subrev_nc_u32_e32 v0, 28, v2
	v_lshlrev_b64 v[0:1], v0, v[3:4]
	v_sub_nc_u32_e32 v1, 29, v2
	v_and_b32_e32 v0, 7, v0
; %bb.455:                              ;   in Loop: Header=BB285_15 Depth=1
	s_or_b32 exec_lo, exec_lo, s23
	v_lshlrev_b32_e32 v2, 8, v3
	v_lshl_add_u32 v1, v1, 10, 0x2000
	v_lshlrev_b32_e32 v0, 7, v0
	v_and_b32_e32 v2, 0x8000, v2
	v_and_b32_e32 v1, 0xfc00, v1
	v_or3_b32 v0, v2, v1, v0
	buffer_store_dword v0, off, s[0:3], s32 offset:396 ; 4-byte Folded Spill
.LBB285_456:                            ;   in Loop: Header=BB285_15 Depth=1
	s_or_b32 exec_lo, exec_lo, s22
.LBB285_457:                            ;   in Loop: Header=BB285_15 Depth=1
	s_or_b32 exec_lo, exec_lo, s21
.LBB285_458:                            ;   in Loop: Header=BB285_15 Depth=1
	s_or_b32 exec_lo, exec_lo, s20
	v_mov_b32_e32 v63, 0
	v_mov_b32_e32 v0, 0
	s_mov_b32 s20, exec_lo
	buffer_store_dword v0, off, s[0:3], s32 offset:520 ; 4-byte Folded Spill
	v_cmpx_lt_u64_e64 s[12:13], v[27:28]
	s_cbranch_execz .LBB285_466
; %bb.459:                              ;   in Loop: Header=BB285_15 Depth=1
	v_lshrrev_b32_e32 v3, 24, v28
	v_bfrev_b32_e32 v0, 1
	s_mov_b32 s21, exec_lo
	v_cmpx_ne_u32_e32 0x80, v3
	s_cbranch_execz .LBB285_465
; %bb.460:                              ;   in Loop: Header=BB285_15 Depth=1
	v_and_b32_e32 v2, 0x7f, v3
	v_mov_b32_e32 v0, 0x7c010000
	s_mov_b32 s22, exec_lo
	v_cmpx_ne_u32_e32 0x7f, v2
	s_cbranch_execz .LBB285_464
; %bb.461:                              ;   in Loop: Header=BB285_15 Depth=1
	v_and_b32_e32 v0, 7, v3
	v_lshrrev_b32_e32 v1, 3, v2
	s_mov_b32 s23, exec_lo
	v_cmpx_gt_u32_e32 8, v2
; %bb.462:                              ;   in Loop: Header=BB285_15 Depth=1
	v_ffbh_u32_e32 v0, v0
	v_min_u32_e32 v2, 32, v0
	v_subrev_nc_u32_e32 v0, 28, v2
	v_lshlrev_b64 v[0:1], v0, v[3:4]
	v_sub_nc_u32_e32 v1, 29, v2
	v_and_b32_e32 v0, 7, v0
; %bb.463:                              ;   in Loop: Header=BB285_15 Depth=1
	s_or_b32 exec_lo, exec_lo, s23
	v_lshlrev_b32_e32 v2, 8, v3
	v_lshl_add_u32 v1, v1, 10, 0x2000
	v_lshlrev_b32_e32 v0, 23, v0
	v_and_or_b32 v1, 0x8000, v2, v1
	v_lshl_or_b32 v0, v1, 16, v0
.LBB285_464:                            ;   in Loop: Header=BB285_15 Depth=1
	s_or_b32 exec_lo, exec_lo, s22
.LBB285_465:                            ;   in Loop: Header=BB285_15 Depth=1
	s_or_b32 exec_lo, exec_lo, s21
	buffer_store_dword v0, off, s[0:3], s32 offset:520 ; 4-byte Folded Spill
.LBB285_466:                            ;   in Loop: Header=BB285_15 Depth=1
	s_or_b32 exec_lo, exec_lo, s20
	flat_load_dwordx2 v[27:28], v[24:25] offset:1544
	s_waitcnt vmcnt(0) lgkmcnt(0)
	v_cmp_ne_u16_sdwa s5, v27, v4 src0_sel:BYTE_0 src1_sel:DWORD
	s_and_saveexec_b32 s20, s5
	s_cbranch_execz .LBB285_474
; %bb.467:                              ;   in Loop: Header=BB285_15 Depth=1
	v_cmp_ne_u16_sdwa s5, v27, v54 src0_sel:BYTE_0 src1_sel:DWORD
	v_mov_b32_e32 v63, 0x8000
	s_and_saveexec_b32 s21, s5
	s_cbranch_execz .LBB285_473
; %bb.468:                              ;   in Loop: Header=BB285_15 Depth=1
	v_and_b32_e32 v2, 0x7f, v27
	v_mov_b32_e32 v63, 0x7c01
	s_mov_b32 s22, exec_lo
	v_cmpx_ne_u32_e32 0x7f, v2
	s_cbranch_execz .LBB285_472
; %bb.469:                              ;   in Loop: Header=BB285_15 Depth=1
	v_and_b32_e32 v0, 7, v27
	v_lshrrev_b32_e32 v1, 3, v2
	s_mov_b32 s23, exec_lo
	v_cmpx_gt_u32_e32 8, v2
; %bb.470:                              ;   in Loop: Header=BB285_15 Depth=1
	v_ffbh_u32_e32 v0, v0
	v_min_u32_e32 v2, 32, v0
	v_subrev_nc_u32_e32 v0, 28, v2
	v_lshlrev_b64 v[0:1], v0, v[27:28]
	v_sub_nc_u32_e32 v1, 29, v2
	v_and_b32_e32 v0, 7, v0
; %bb.471:                              ;   in Loop: Header=BB285_15 Depth=1
	s_or_b32 exec_lo, exec_lo, s23
	v_lshlrev_b32_e32 v2, 8, v27
	v_lshl_add_u32 v1, v1, 10, 0x2000
	v_lshlrev_b32_e32 v0, 7, v0
	v_and_b32_e32 v2, 0x8000, v2
	v_and_b32_e32 v1, 0xfc00, v1
	v_or3_b32 v63, v2, v1, v0
.LBB285_472:                            ;   in Loop: Header=BB285_15 Depth=1
	s_or_b32 exec_lo, exec_lo, s22
.LBB285_473:                            ;   in Loop: Header=BB285_15 Depth=1
	s_or_b32 exec_lo, exec_lo, s21
.LBB285_474:                            ;   in Loop: Header=BB285_15 Depth=1
	s_or_b32 exec_lo, exec_lo, s20
	v_mov_b32_e32 v0, 0
	v_lshrrev_b16 v3, 8, v27
	s_mov_b32 s20, exec_lo
	buffer_store_dword v0, off, s[0:3], s32 offset:408 ; 4-byte Folded Spill
	v_mov_b32_e32 v0, 0
	buffer_store_dword v0, off, s[0:3], s32 offset:404 ; 4-byte Folded Spill
	v_cmpx_ne_u16_e32 0, v3
	s_cbranch_execz .LBB285_482
; %bb.475:                              ;   in Loop: Header=BB285_15 Depth=1
	v_bfrev_b32_e32 v0, 1
	s_mov_b32 s21, exec_lo
	buffer_store_dword v0, off, s[0:3], s32 offset:404 ; 4-byte Folded Spill
	v_cmpx_ne_u16_e32 0x80, v3
	s_cbranch_execz .LBB285_481
; %bb.476:                              ;   in Loop: Header=BB285_15 Depth=1
	v_mov_b32_e32 v0, 0x7f
	s_mov_b32 s22, exec_lo
	v_and_b32_sdwa v2, v3, v0 dst_sel:DWORD dst_unused:UNUSED_PAD src0_sel:WORD_0 src1_sel:DWORD
	v_mov_b32_e32 v0, 0x7c010000
	buffer_store_dword v0, off, s[0:3], s32 offset:404 ; 4-byte Folded Spill
	v_cmpx_ne_u32_e32 0x7f, v2
	s_cbranch_execz .LBB285_480
; %bb.477:                              ;   in Loop: Header=BB285_15 Depth=1
	v_mov_b32_e32 v0, 7
	v_lshrrev_b32_e32 v1, 3, v2
	s_mov_b32 s23, exec_lo
	v_and_b32_sdwa v0, v3, v0 dst_sel:DWORD dst_unused:UNUSED_PAD src0_sel:WORD_0 src1_sel:DWORD
	v_cmpx_gt_u32_e32 8, v2
; %bb.478:                              ;   in Loop: Header=BB285_15 Depth=1
	v_ffbh_u32_e32 v0, v0
	v_min_u32_e32 v2, 32, v0
	v_subrev_nc_u32_e32 v0, 28, v2
	v_lshlrev_b64 v[0:1], v0, v[3:4]
	v_sub_nc_u32_e32 v1, 29, v2
	v_and_b32_e32 v0, 7, v0
; %bb.479:                              ;   in Loop: Header=BB285_15 Depth=1
	s_or_b32 exec_lo, exec_lo, s23
	v_mov_b32_e32 v2, 8
	v_lshl_add_u32 v1, v1, 10, 0x2000
	v_lshlrev_b32_e32 v0, 23, v0
	v_lshlrev_b32_sdwa v2, v2, v3 dst_sel:DWORD dst_unused:UNUSED_PAD src0_sel:DWORD src1_sel:WORD_0
	v_and_or_b32 v1, 0x8000, v2, v1
	v_lshl_or_b32 v0, v1, 16, v0
	buffer_store_dword v0, off, s[0:3], s32 offset:404 ; 4-byte Folded Spill
.LBB285_480:                            ;   in Loop: Header=BB285_15 Depth=1
	s_or_b32 exec_lo, exec_lo, s22
.LBB285_481:                            ;   in Loop: Header=BB285_15 Depth=1
	s_or_b32 exec_lo, exec_lo, s21
.LBB285_482:                            ;   in Loop: Header=BB285_15 Depth=1
	s_or_b32 exec_lo, exec_lo, s20
	v_lshrrev_b32_e32 v3, 16, v27
	v_cmp_ne_u16_sdwa s5, v3, v4 src0_sel:BYTE_0 src1_sel:DWORD
	s_and_saveexec_b32 s20, s5
	s_cbranch_execz .LBB285_490
; %bb.483:                              ;   in Loop: Header=BB285_15 Depth=1
	v_cmp_ne_u16_sdwa s5, v3, v54 src0_sel:BYTE_0 src1_sel:DWORD
	v_mov_b32_e32 v0, 0x8000
	buffer_store_dword v0, off, s[0:3], s32 offset:408 ; 4-byte Folded Spill
	s_and_saveexec_b32 s21, s5
	s_cbranch_execz .LBB285_489
; %bb.484:                              ;   in Loop: Header=BB285_15 Depth=1
	v_bfe_u32 v2, v27, 16, 7
	v_mov_b32_e32 v0, 0x7c01
	s_mov_b32 s22, exec_lo
	buffer_store_dword v0, off, s[0:3], s32 offset:408 ; 4-byte Folded Spill
	v_cmpx_ne_u32_e32 0x7f, v2
	s_cbranch_execz .LBB285_488
; %bb.485:                              ;   in Loop: Header=BB285_15 Depth=1
	v_and_b32_e32 v0, 7, v3
	v_lshrrev_b32_e32 v1, 3, v2
	s_mov_b32 s23, exec_lo
	v_cmpx_gt_u32_e32 8, v2
; %bb.486:                              ;   in Loop: Header=BB285_15 Depth=1
	v_ffbh_u32_e32 v0, v0
	v_min_u32_e32 v2, 32, v0
	v_subrev_nc_u32_e32 v0, 28, v2
	v_lshlrev_b64 v[0:1], v0, v[3:4]
	v_sub_nc_u32_e32 v1, 29, v2
	v_and_b32_e32 v0, 7, v0
; %bb.487:                              ;   in Loop: Header=BB285_15 Depth=1
	s_or_b32 exec_lo, exec_lo, s23
	v_lshlrev_b32_e32 v2, 8, v3
	v_lshl_add_u32 v1, v1, 10, 0x2000
	v_lshlrev_b32_e32 v0, 7, v0
	v_and_b32_e32 v2, 0x8000, v2
	v_and_b32_e32 v1, 0xfc00, v1
	v_or3_b32 v0, v2, v1, v0
	buffer_store_dword v0, off, s[0:3], s32 offset:408 ; 4-byte Folded Spill
.LBB285_488:                            ;   in Loop: Header=BB285_15 Depth=1
	s_or_b32 exec_lo, exec_lo, s22
.LBB285_489:                            ;   in Loop: Header=BB285_15 Depth=1
	s_or_b32 exec_lo, exec_lo, s21
.LBB285_490:                            ;   in Loop: Header=BB285_15 Depth=1
	s_or_b32 exec_lo, exec_lo, s20
	v_mov_b32_e32 v0, 0
	s_mov_b32 s20, exec_lo
	buffer_store_dword v0, off, s[0:3], s32 offset:412 ; 4-byte Folded Spill
	v_mov_b32_e32 v0, 0
	buffer_store_dword v0, off, s[0:3], s32 offset:416 ; 4-byte Folded Spill
	v_cmpx_lt_u32_e32 0xffffff, v27
	s_cbranch_execz .LBB285_498
; %bb.491:                              ;   in Loop: Header=BB285_15 Depth=1
	v_lshrrev_b32_e32 v3, 24, v27
	v_bfrev_b32_e32 v0, 1
	s_mov_b32 s21, exec_lo
	buffer_store_dword v0, off, s[0:3], s32 offset:416 ; 4-byte Folded Spill
	v_cmpx_ne_u32_e32 0x80, v3
	s_cbranch_execz .LBB285_497
; %bb.492:                              ;   in Loop: Header=BB285_15 Depth=1
	v_and_b32_e32 v2, 0x7f, v3
	v_mov_b32_e32 v0, 0x7c010000
	s_mov_b32 s22, exec_lo
	buffer_store_dword v0, off, s[0:3], s32 offset:416 ; 4-byte Folded Spill
	v_cmpx_ne_u32_e32 0x7f, v2
	s_cbranch_execz .LBB285_496
; %bb.493:                              ;   in Loop: Header=BB285_15 Depth=1
	v_and_b32_e32 v0, 7, v3
	v_lshrrev_b32_e32 v1, 3, v2
	s_mov_b32 s23, exec_lo
	v_cmpx_gt_u32_e32 8, v2
; %bb.494:                              ;   in Loop: Header=BB285_15 Depth=1
	v_ffbh_u32_e32 v0, v0
	v_min_u32_e32 v2, 32, v0
	v_subrev_nc_u32_e32 v0, 28, v2
	v_lshlrev_b64 v[0:1], v0, v[3:4]
	v_sub_nc_u32_e32 v1, 29, v2
	v_and_b32_e32 v0, 7, v0
; %bb.495:                              ;   in Loop: Header=BB285_15 Depth=1
	s_or_b32 exec_lo, exec_lo, s23
	v_lshlrev_b32_e32 v2, 8, v3
	v_lshl_add_u32 v1, v1, 10, 0x2000
	v_lshlrev_b32_e32 v0, 23, v0
	v_and_or_b32 v1, 0x8000, v2, v1
	v_lshl_or_b32 v0, v1, 16, v0
	buffer_store_dword v0, off, s[0:3], s32 offset:416 ; 4-byte Folded Spill
.LBB285_496:                            ;   in Loop: Header=BB285_15 Depth=1
	s_or_b32 exec_lo, exec_lo, s22
.LBB285_497:                            ;   in Loop: Header=BB285_15 Depth=1
	s_or_b32 exec_lo, exec_lo, s21
.LBB285_498:                            ;   in Loop: Header=BB285_15 Depth=1
	s_or_b32 exec_lo, exec_lo, s20
	v_mov_b32_e32 v3, v28
	v_cmp_ne_u16_sdwa s5, v28, v4 src0_sel:BYTE_0 src1_sel:DWORD
	s_and_saveexec_b32 s20, s5
	s_cbranch_execz .LBB285_506
; %bb.499:                              ;   in Loop: Header=BB285_15 Depth=1
	v_cmp_ne_u16_sdwa s5, v28, v54 src0_sel:BYTE_0 src1_sel:DWORD
	v_mov_b32_e32 v0, 0x8000
	buffer_store_dword v0, off, s[0:3], s32 offset:412 ; 4-byte Folded Spill
	s_and_saveexec_b32 s21, s5
	s_cbranch_execz .LBB285_505
; %bb.500:                              ;   in Loop: Header=BB285_15 Depth=1
	v_and_b32_e32 v2, 0x7f, v28
	v_mov_b32_e32 v0, 0x7c01
	s_mov_b32 s22, exec_lo
	buffer_store_dword v0, off, s[0:3], s32 offset:412 ; 4-byte Folded Spill
	v_cmpx_ne_u32_e32 0x7f, v2
	s_cbranch_execz .LBB285_504
; %bb.501:                              ;   in Loop: Header=BB285_15 Depth=1
	v_and_b32_e32 v0, 7, v28
	v_lshrrev_b32_e32 v1, 3, v2
	s_mov_b32 s23, exec_lo
	v_cmpx_gt_u32_e32 8, v2
; %bb.502:                              ;   in Loop: Header=BB285_15 Depth=1
	v_ffbh_u32_e32 v0, v0
	v_min_u32_e32 v2, 32, v0
	v_subrev_nc_u32_e32 v0, 28, v2
	v_lshlrev_b64 v[0:1], v0, v[3:4]
	v_sub_nc_u32_e32 v1, 29, v2
	v_and_b32_e32 v0, 7, v0
; %bb.503:                              ;   in Loop: Header=BB285_15 Depth=1
	s_or_b32 exec_lo, exec_lo, s23
	v_lshlrev_b32_e32 v2, 8, v28
	v_lshl_add_u32 v1, v1, 10, 0x2000
	v_lshlrev_b32_e32 v0, 7, v0
	v_and_b32_e32 v2, 0x8000, v2
	v_and_b32_e32 v1, 0xfc00, v1
	v_or3_b32 v0, v2, v1, v0
	buffer_store_dword v0, off, s[0:3], s32 offset:412 ; 4-byte Folded Spill
.LBB285_504:                            ;   in Loop: Header=BB285_15 Depth=1
	s_or_b32 exec_lo, exec_lo, s22
.LBB285_505:                            ;   in Loop: Header=BB285_15 Depth=1
	s_or_b32 exec_lo, exec_lo, s21
.LBB285_506:                            ;   in Loop: Header=BB285_15 Depth=1
	s_or_b32 exec_lo, exec_lo, s20
	v_mov_b32_e32 v0, 0
	v_lshrrev_b16 v3, 8, v3
	s_mov_b32 s20, exec_lo
	buffer_store_dword v0, off, s[0:3], s32 offset:420 ; 4-byte Folded Spill
	v_mov_b32_e32 v0, 0
	buffer_store_dword v0, off, s[0:3], s32 offset:424 ; 4-byte Folded Spill
	v_cmpx_ne_u16_e32 0, v3
	s_cbranch_execz .LBB285_514
; %bb.507:                              ;   in Loop: Header=BB285_15 Depth=1
	v_bfrev_b32_e32 v0, 1
	s_mov_b32 s21, exec_lo
	buffer_store_dword v0, off, s[0:3], s32 offset:424 ; 4-byte Folded Spill
	v_cmpx_ne_u16_e32 0x80, v3
	s_cbranch_execz .LBB285_513
; %bb.508:                              ;   in Loop: Header=BB285_15 Depth=1
	v_mov_b32_e32 v0, 0x7f
	s_mov_b32 s22, exec_lo
	v_and_b32_sdwa v2, v3, v0 dst_sel:DWORD dst_unused:UNUSED_PAD src0_sel:WORD_0 src1_sel:DWORD
	v_mov_b32_e32 v0, 0x7c010000
	buffer_store_dword v0, off, s[0:3], s32 offset:424 ; 4-byte Folded Spill
	v_cmpx_ne_u32_e32 0x7f, v2
	s_cbranch_execz .LBB285_512
; %bb.509:                              ;   in Loop: Header=BB285_15 Depth=1
	v_mov_b32_e32 v0, 7
	v_lshrrev_b32_e32 v1, 3, v2
	s_mov_b32 s23, exec_lo
	v_and_b32_sdwa v0, v3, v0 dst_sel:DWORD dst_unused:UNUSED_PAD src0_sel:WORD_0 src1_sel:DWORD
	v_cmpx_gt_u32_e32 8, v2
; %bb.510:                              ;   in Loop: Header=BB285_15 Depth=1
	v_ffbh_u32_e32 v0, v0
	v_min_u32_e32 v2, 32, v0
	v_subrev_nc_u32_e32 v0, 28, v2
	v_lshlrev_b64 v[0:1], v0, v[3:4]
	v_sub_nc_u32_e32 v1, 29, v2
	v_and_b32_e32 v0, 7, v0
; %bb.511:                              ;   in Loop: Header=BB285_15 Depth=1
	s_or_b32 exec_lo, exec_lo, s23
	v_mov_b32_e32 v2, 8
	v_lshl_add_u32 v1, v1, 10, 0x2000
	v_lshlrev_b32_e32 v0, 23, v0
	v_lshlrev_b32_sdwa v2, v2, v3 dst_sel:DWORD dst_unused:UNUSED_PAD src0_sel:DWORD src1_sel:WORD_0
	v_and_or_b32 v1, 0x8000, v2, v1
	v_lshl_or_b32 v0, v1, 16, v0
	buffer_store_dword v0, off, s[0:3], s32 offset:424 ; 4-byte Folded Spill
.LBB285_512:                            ;   in Loop: Header=BB285_15 Depth=1
	s_or_b32 exec_lo, exec_lo, s22
.LBB285_513:                            ;   in Loop: Header=BB285_15 Depth=1
	s_or_b32 exec_lo, exec_lo, s21
.LBB285_514:                            ;   in Loop: Header=BB285_15 Depth=1
	s_or_b32 exec_lo, exec_lo, s20
	v_lshrrev_b32_e32 v3, 16, v28
	v_cmp_ne_u16_sdwa s5, v3, v4 src0_sel:BYTE_0 src1_sel:DWORD
	s_and_saveexec_b32 s20, s5
	s_cbranch_execz .LBB285_522
; %bb.515:                              ;   in Loop: Header=BB285_15 Depth=1
	v_cmp_ne_u16_sdwa s5, v3, v54 src0_sel:BYTE_0 src1_sel:DWORD
	v_mov_b32_e32 v0, 0x8000
	buffer_store_dword v0, off, s[0:3], s32 offset:420 ; 4-byte Folded Spill
	s_and_saveexec_b32 s21, s5
	s_cbranch_execz .LBB285_521
; %bb.516:                              ;   in Loop: Header=BB285_15 Depth=1
	v_bfe_u32 v2, v28, 16, 7
	v_mov_b32_e32 v0, 0x7c01
	s_mov_b32 s22, exec_lo
	buffer_store_dword v0, off, s[0:3], s32 offset:420 ; 4-byte Folded Spill
	v_cmpx_ne_u32_e32 0x7f, v2
	s_cbranch_execz .LBB285_520
; %bb.517:                              ;   in Loop: Header=BB285_15 Depth=1
	v_and_b32_e32 v0, 7, v3
	v_lshrrev_b32_e32 v1, 3, v2
	s_mov_b32 s23, exec_lo
	v_cmpx_gt_u32_e32 8, v2
; %bb.518:                              ;   in Loop: Header=BB285_15 Depth=1
	v_ffbh_u32_e32 v0, v0
	v_min_u32_e32 v2, 32, v0
	v_subrev_nc_u32_e32 v0, 28, v2
	v_lshlrev_b64 v[0:1], v0, v[3:4]
	v_sub_nc_u32_e32 v1, 29, v2
	v_and_b32_e32 v0, 7, v0
; %bb.519:                              ;   in Loop: Header=BB285_15 Depth=1
	s_or_b32 exec_lo, exec_lo, s23
	v_lshlrev_b32_e32 v2, 8, v3
	v_lshl_add_u32 v1, v1, 10, 0x2000
	v_lshlrev_b32_e32 v0, 7, v0
	v_and_b32_e32 v2, 0x8000, v2
	v_and_b32_e32 v1, 0xfc00, v1
	v_or3_b32 v0, v2, v1, v0
	buffer_store_dword v0, off, s[0:3], s32 offset:420 ; 4-byte Folded Spill
.LBB285_520:                            ;   in Loop: Header=BB285_15 Depth=1
	s_or_b32 exec_lo, exec_lo, s22
.LBB285_521:                            ;   in Loop: Header=BB285_15 Depth=1
	s_or_b32 exec_lo, exec_lo, s21
.LBB285_522:                            ;   in Loop: Header=BB285_15 Depth=1
	s_or_b32 exec_lo, exec_lo, s20
	v_mov_b32_e32 v0, 0
	v_mov_b32_e32 v109, 0
	s_mov_b32 s20, exec_lo
	buffer_store_dword v0, off, s[0:3], s32 offset:428 ; 4-byte Folded Spill
	v_cmpx_lt_u64_e64 s[12:13], v[27:28]
	s_cbranch_execz .LBB285_530
; %bb.523:                              ;   in Loop: Header=BB285_15 Depth=1
	v_lshrrev_b32_e32 v3, 24, v28
	v_bfrev_b32_e32 v109, 1
	s_mov_b32 s21, exec_lo
	v_cmpx_ne_u32_e32 0x80, v3
	s_cbranch_execz .LBB285_529
; %bb.524:                              ;   in Loop: Header=BB285_15 Depth=1
	v_and_b32_e32 v2, 0x7f, v3
	v_mov_b32_e32 v109, 0x7c010000
	s_mov_b32 s22, exec_lo
	v_cmpx_ne_u32_e32 0x7f, v2
	s_cbranch_execz .LBB285_528
; %bb.525:                              ;   in Loop: Header=BB285_15 Depth=1
	v_and_b32_e32 v0, 7, v3
	v_lshrrev_b32_e32 v1, 3, v2
	s_mov_b32 s23, exec_lo
	v_cmpx_gt_u32_e32 8, v2
; %bb.526:                              ;   in Loop: Header=BB285_15 Depth=1
	v_ffbh_u32_e32 v0, v0
	v_min_u32_e32 v2, 32, v0
	v_subrev_nc_u32_e32 v0, 28, v2
	v_lshlrev_b64 v[0:1], v0, v[3:4]
	v_sub_nc_u32_e32 v1, 29, v2
	v_and_b32_e32 v0, 7, v0
; %bb.527:                              ;   in Loop: Header=BB285_15 Depth=1
	s_or_b32 exec_lo, exec_lo, s23
	v_lshlrev_b32_e32 v2, 8, v3
	v_lshl_add_u32 v1, v1, 10, 0x2000
	v_lshlrev_b32_e32 v0, 23, v0
	v_and_or_b32 v1, 0x8000, v2, v1
	v_lshl_or_b32 v109, v1, 16, v0
.LBB285_528:                            ;   in Loop: Header=BB285_15 Depth=1
	s_or_b32 exec_lo, exec_lo, s22
.LBB285_529:                            ;   in Loop: Header=BB285_15 Depth=1
	s_or_b32 exec_lo, exec_lo, s21
.LBB285_530:                            ;   in Loop: Header=BB285_15 Depth=1
	s_or_b32 exec_lo, exec_lo, s20
	v_add_co_u32 v27, s5, 0x800, v24
	v_add_co_ci_u32_e64 v28, null, 0, v25, s5
	flat_load_dwordx2 v[29:30], v[27:28]
	s_waitcnt vmcnt(0) lgkmcnt(0)
	v_cmp_ne_u16_sdwa s5, v29, v4 src0_sel:BYTE_0 src1_sel:DWORD
	s_and_saveexec_b32 s20, s5
	s_cbranch_execz .LBB285_538
; %bb.531:                              ;   in Loop: Header=BB285_15 Depth=1
	v_cmp_ne_u16_sdwa s5, v29, v54 src0_sel:BYTE_0 src1_sel:DWORD
	v_mov_b32_e32 v0, 0x8000
	buffer_store_dword v0, off, s[0:3], s32 offset:428 ; 4-byte Folded Spill
	s_and_saveexec_b32 s21, s5
	s_cbranch_execz .LBB285_537
; %bb.532:                              ;   in Loop: Header=BB285_15 Depth=1
	v_and_b32_e32 v2, 0x7f, v29
	v_mov_b32_e32 v0, 0x7c01
	s_mov_b32 s22, exec_lo
	buffer_store_dword v0, off, s[0:3], s32 offset:428 ; 4-byte Folded Spill
	v_cmpx_ne_u32_e32 0x7f, v2
	s_cbranch_execz .LBB285_536
; %bb.533:                              ;   in Loop: Header=BB285_15 Depth=1
	v_and_b32_e32 v0, 7, v29
	v_lshrrev_b32_e32 v1, 3, v2
	s_mov_b32 s23, exec_lo
	v_cmpx_gt_u32_e32 8, v2
; %bb.534:                              ;   in Loop: Header=BB285_15 Depth=1
	v_ffbh_u32_e32 v0, v0
	v_min_u32_e32 v2, 32, v0
	v_subrev_nc_u32_e32 v0, 28, v2
	v_lshlrev_b64 v[0:1], v0, v[29:30]
	v_sub_nc_u32_e32 v1, 29, v2
	v_and_b32_e32 v0, 7, v0
; %bb.535:                              ;   in Loop: Header=BB285_15 Depth=1
	s_or_b32 exec_lo, exec_lo, s23
	v_lshlrev_b32_e32 v2, 8, v29
	v_lshl_add_u32 v1, v1, 10, 0x2000
	v_lshlrev_b32_e32 v0, 7, v0
	v_and_b32_e32 v2, 0x8000, v2
	v_and_b32_e32 v1, 0xfc00, v1
	v_or3_b32 v0, v2, v1, v0
	buffer_store_dword v0, off, s[0:3], s32 offset:428 ; 4-byte Folded Spill
.LBB285_536:                            ;   in Loop: Header=BB285_15 Depth=1
	s_or_b32 exec_lo, exec_lo, s22
.LBB285_537:                            ;   in Loop: Header=BB285_15 Depth=1
	s_or_b32 exec_lo, exec_lo, s21
.LBB285_538:                            ;   in Loop: Header=BB285_15 Depth=1
	s_or_b32 exec_lo, exec_lo, s20
	v_lshrrev_b16 v3, 8, v29
	v_mov_b32_e32 v0, 0
	v_mov_b32_e32 v71, 0
	s_mov_b32 s20, exec_lo
	buffer_store_dword v0, off, s[0:3], s32 offset:432 ; 4-byte Folded Spill
	v_cmpx_ne_u16_e32 0, v3
	s_cbranch_execz .LBB285_546
; %bb.539:                              ;   in Loop: Header=BB285_15 Depth=1
	v_bfrev_b32_e32 v71, 1
	s_mov_b32 s21, exec_lo
	v_cmpx_ne_u16_e32 0x80, v3
	s_cbranch_execz .LBB285_545
; %bb.540:                              ;   in Loop: Header=BB285_15 Depth=1
	v_mov_b32_e32 v0, 0x7f
	v_mov_b32_e32 v71, 0x7c010000
	s_mov_b32 s22, exec_lo
	v_and_b32_sdwa v2, v3, v0 dst_sel:DWORD dst_unused:UNUSED_PAD src0_sel:WORD_0 src1_sel:DWORD
	v_cmpx_ne_u32_e32 0x7f, v2
	s_cbranch_execz .LBB285_544
; %bb.541:                              ;   in Loop: Header=BB285_15 Depth=1
	v_mov_b32_e32 v0, 7
	v_lshrrev_b32_e32 v1, 3, v2
	s_mov_b32 s23, exec_lo
	v_and_b32_sdwa v0, v3, v0 dst_sel:DWORD dst_unused:UNUSED_PAD src0_sel:WORD_0 src1_sel:DWORD
	v_cmpx_gt_u32_e32 8, v2
; %bb.542:                              ;   in Loop: Header=BB285_15 Depth=1
	v_ffbh_u32_e32 v0, v0
	v_min_u32_e32 v2, 32, v0
	v_subrev_nc_u32_e32 v0, 28, v2
	v_lshlrev_b64 v[0:1], v0, v[3:4]
	v_sub_nc_u32_e32 v1, 29, v2
	v_and_b32_e32 v0, 7, v0
; %bb.543:                              ;   in Loop: Header=BB285_15 Depth=1
	s_or_b32 exec_lo, exec_lo, s23
	v_mov_b32_e32 v2, 8
	v_lshl_add_u32 v1, v1, 10, 0x2000
	v_lshlrev_b32_e32 v0, 23, v0
	v_lshlrev_b32_sdwa v2, v2, v3 dst_sel:DWORD dst_unused:UNUSED_PAD src0_sel:DWORD src1_sel:WORD_0
	v_and_or_b32 v1, 0x8000, v2, v1
	v_lshl_or_b32 v71, v1, 16, v0
.LBB285_544:                            ;   in Loop: Header=BB285_15 Depth=1
	s_or_b32 exec_lo, exec_lo, s22
.LBB285_545:                            ;   in Loop: Header=BB285_15 Depth=1
	s_or_b32 exec_lo, exec_lo, s21
.LBB285_546:                            ;   in Loop: Header=BB285_15 Depth=1
	s_or_b32 exec_lo, exec_lo, s20
	v_lshrrev_b32_e32 v3, 16, v29
	v_cmp_ne_u16_sdwa s5, v3, v4 src0_sel:BYTE_0 src1_sel:DWORD
	s_and_saveexec_b32 s20, s5
	s_cbranch_execz .LBB285_554
; %bb.547:                              ;   in Loop: Header=BB285_15 Depth=1
	v_cmp_ne_u16_sdwa s5, v3, v54 src0_sel:BYTE_0 src1_sel:DWORD
	v_mov_b32_e32 v0, 0x8000
	buffer_store_dword v0, off, s[0:3], s32 offset:432 ; 4-byte Folded Spill
	s_and_saveexec_b32 s21, s5
	s_cbranch_execz .LBB285_553
; %bb.548:                              ;   in Loop: Header=BB285_15 Depth=1
	v_bfe_u32 v2, v29, 16, 7
	v_mov_b32_e32 v0, 0x7c01
	s_mov_b32 s22, exec_lo
	buffer_store_dword v0, off, s[0:3], s32 offset:432 ; 4-byte Folded Spill
	v_cmpx_ne_u32_e32 0x7f, v2
	s_cbranch_execz .LBB285_552
; %bb.549:                              ;   in Loop: Header=BB285_15 Depth=1
	v_and_b32_e32 v0, 7, v3
	v_lshrrev_b32_e32 v1, 3, v2
	s_mov_b32 s23, exec_lo
	v_cmpx_gt_u32_e32 8, v2
; %bb.550:                              ;   in Loop: Header=BB285_15 Depth=1
	v_ffbh_u32_e32 v0, v0
	v_min_u32_e32 v2, 32, v0
	v_subrev_nc_u32_e32 v0, 28, v2
	v_lshlrev_b64 v[0:1], v0, v[3:4]
	v_sub_nc_u32_e32 v1, 29, v2
	v_and_b32_e32 v0, 7, v0
; %bb.551:                              ;   in Loop: Header=BB285_15 Depth=1
	s_or_b32 exec_lo, exec_lo, s23
	v_lshlrev_b32_e32 v2, 8, v3
	v_lshl_add_u32 v1, v1, 10, 0x2000
	v_lshlrev_b32_e32 v0, 7, v0
	v_and_b32_e32 v2, 0x8000, v2
	v_and_b32_e32 v1, 0xfc00, v1
	v_or3_b32 v0, v2, v1, v0
	buffer_store_dword v0, off, s[0:3], s32 offset:432 ; 4-byte Folded Spill
.LBB285_552:                            ;   in Loop: Header=BB285_15 Depth=1
	s_or_b32 exec_lo, exec_lo, s22
.LBB285_553:                            ;   in Loop: Header=BB285_15 Depth=1
	s_or_b32 exec_lo, exec_lo, s21
.LBB285_554:                            ;   in Loop: Header=BB285_15 Depth=1
	s_or_b32 exec_lo, exec_lo, s20
	v_mov_b32_e32 v0, 0
	v_mov_b32_e32 v5, 0
	s_mov_b32 s20, exec_lo
	buffer_store_dword v0, off, s[0:3], s32 offset:436 ; 4-byte Folded Spill
	v_cmpx_lt_u32_e32 0xffffff, v29
	s_cbranch_execz .LBB285_562
; %bb.555:                              ;   in Loop: Header=BB285_15 Depth=1
	v_lshrrev_b32_e32 v3, 24, v29
	v_bfrev_b32_e32 v5, 1
	s_mov_b32 s21, exec_lo
	v_cmpx_ne_u32_e32 0x80, v3
	s_cbranch_execz .LBB285_561
; %bb.556:                              ;   in Loop: Header=BB285_15 Depth=1
	v_and_b32_e32 v2, 0x7f, v3
	v_mov_b32_e32 v5, 0x7c010000
	s_mov_b32 s22, exec_lo
	v_cmpx_ne_u32_e32 0x7f, v2
	s_cbranch_execz .LBB285_560
; %bb.557:                              ;   in Loop: Header=BB285_15 Depth=1
	v_and_b32_e32 v0, 7, v3
	v_lshrrev_b32_e32 v1, 3, v2
	s_mov_b32 s23, exec_lo
	v_cmpx_gt_u32_e32 8, v2
; %bb.558:                              ;   in Loop: Header=BB285_15 Depth=1
	v_ffbh_u32_e32 v0, v0
	v_min_u32_e32 v2, 32, v0
	v_subrev_nc_u32_e32 v0, 28, v2
	v_lshlrev_b64 v[0:1], v0, v[3:4]
	v_sub_nc_u32_e32 v1, 29, v2
	v_and_b32_e32 v0, 7, v0
; %bb.559:                              ;   in Loop: Header=BB285_15 Depth=1
	s_or_b32 exec_lo, exec_lo, s23
	v_lshlrev_b32_e32 v2, 8, v3
	v_lshl_add_u32 v1, v1, 10, 0x2000
	v_lshlrev_b32_e32 v0, 23, v0
	v_and_or_b32 v1, 0x8000, v2, v1
	v_lshl_or_b32 v5, v1, 16, v0
.LBB285_560:                            ;   in Loop: Header=BB285_15 Depth=1
	s_or_b32 exec_lo, exec_lo, s22
.LBB285_561:                            ;   in Loop: Header=BB285_15 Depth=1
	s_or_b32 exec_lo, exec_lo, s21
.LBB285_562:                            ;   in Loop: Header=BB285_15 Depth=1
	s_or_b32 exec_lo, exec_lo, s20
	v_mov_b32_e32 v3, v30
	v_cmp_ne_u16_sdwa s5, v30, v4 src0_sel:BYTE_0 src1_sel:DWORD
	s_and_saveexec_b32 s20, s5
	s_cbranch_execz .LBB285_570
; %bb.563:                              ;   in Loop: Header=BB285_15 Depth=1
	v_cmp_ne_u16_sdwa s5, v30, v54 src0_sel:BYTE_0 src1_sel:DWORD
	v_mov_b32_e32 v0, 0x8000
	buffer_store_dword v0, off, s[0:3], s32 offset:436 ; 4-byte Folded Spill
	s_and_saveexec_b32 s21, s5
	s_cbranch_execz .LBB285_569
; %bb.564:                              ;   in Loop: Header=BB285_15 Depth=1
	v_and_b32_e32 v2, 0x7f, v30
	v_mov_b32_e32 v0, 0x7c01
	s_mov_b32 s22, exec_lo
	buffer_store_dword v0, off, s[0:3], s32 offset:436 ; 4-byte Folded Spill
	v_cmpx_ne_u32_e32 0x7f, v2
	s_cbranch_execz .LBB285_568
; %bb.565:                              ;   in Loop: Header=BB285_15 Depth=1
	v_and_b32_e32 v0, 7, v30
	v_lshrrev_b32_e32 v1, 3, v2
	s_mov_b32 s23, exec_lo
	v_cmpx_gt_u32_e32 8, v2
; %bb.566:                              ;   in Loop: Header=BB285_15 Depth=1
	v_ffbh_u32_e32 v0, v0
	v_min_u32_e32 v2, 32, v0
	v_subrev_nc_u32_e32 v0, 28, v2
	v_lshlrev_b64 v[0:1], v0, v[3:4]
	v_sub_nc_u32_e32 v1, 29, v2
	v_and_b32_e32 v0, 7, v0
; %bb.567:                              ;   in Loop: Header=BB285_15 Depth=1
	s_or_b32 exec_lo, exec_lo, s23
	v_lshlrev_b32_e32 v2, 8, v30
	v_lshl_add_u32 v1, v1, 10, 0x2000
	v_lshlrev_b32_e32 v0, 7, v0
	v_and_b32_e32 v2, 0x8000, v2
	v_and_b32_e32 v1, 0xfc00, v1
	v_or3_b32 v0, v2, v1, v0
	buffer_store_dword v0, off, s[0:3], s32 offset:436 ; 4-byte Folded Spill
.LBB285_568:                            ;   in Loop: Header=BB285_15 Depth=1
	s_or_b32 exec_lo, exec_lo, s22
.LBB285_569:                            ;   in Loop: Header=BB285_15 Depth=1
	s_or_b32 exec_lo, exec_lo, s21
.LBB285_570:                            ;   in Loop: Header=BB285_15 Depth=1
	s_or_b32 exec_lo, exec_lo, s20
	v_lshrrev_b16 v3, 8, v3
	v_mov_b32_e32 v0, 0
	v_mov_b32_e32 v10, 0
	s_mov_b32 s20, exec_lo
	buffer_store_dword v0, off, s[0:3], s32 offset:440 ; 4-byte Folded Spill
	v_cmpx_ne_u16_e32 0, v3
	s_cbranch_execz .LBB285_578
; %bb.571:                              ;   in Loop: Header=BB285_15 Depth=1
	v_bfrev_b32_e32 v10, 1
	s_mov_b32 s21, exec_lo
	v_cmpx_ne_u16_e32 0x80, v3
	s_cbranch_execz .LBB285_577
; %bb.572:                              ;   in Loop: Header=BB285_15 Depth=1
	v_mov_b32_e32 v0, 0x7f
	v_mov_b32_e32 v10, 0x7c010000
	s_mov_b32 s22, exec_lo
	v_and_b32_sdwa v2, v3, v0 dst_sel:DWORD dst_unused:UNUSED_PAD src0_sel:WORD_0 src1_sel:DWORD
	v_cmpx_ne_u32_e32 0x7f, v2
	s_cbranch_execz .LBB285_576
; %bb.573:                              ;   in Loop: Header=BB285_15 Depth=1
	v_mov_b32_e32 v0, 7
	v_lshrrev_b32_e32 v1, 3, v2
	s_mov_b32 s23, exec_lo
	v_and_b32_sdwa v0, v3, v0 dst_sel:DWORD dst_unused:UNUSED_PAD src0_sel:WORD_0 src1_sel:DWORD
	v_cmpx_gt_u32_e32 8, v2
; %bb.574:                              ;   in Loop: Header=BB285_15 Depth=1
	v_ffbh_u32_e32 v0, v0
	v_min_u32_e32 v2, 32, v0
	v_subrev_nc_u32_e32 v0, 28, v2
	v_lshlrev_b64 v[0:1], v0, v[3:4]
	v_sub_nc_u32_e32 v1, 29, v2
	v_and_b32_e32 v0, 7, v0
; %bb.575:                              ;   in Loop: Header=BB285_15 Depth=1
	s_or_b32 exec_lo, exec_lo, s23
	v_mov_b32_e32 v2, 8
	v_lshl_add_u32 v1, v1, 10, 0x2000
	v_lshlrev_b32_e32 v0, 23, v0
	v_lshlrev_b32_sdwa v2, v2, v3 dst_sel:DWORD dst_unused:UNUSED_PAD src0_sel:DWORD src1_sel:WORD_0
	v_and_or_b32 v1, 0x8000, v2, v1
	v_lshl_or_b32 v10, v1, 16, v0
.LBB285_576:                            ;   in Loop: Header=BB285_15 Depth=1
	s_or_b32 exec_lo, exec_lo, s22
.LBB285_577:                            ;   in Loop: Header=BB285_15 Depth=1
	s_or_b32 exec_lo, exec_lo, s21
.LBB285_578:                            ;   in Loop: Header=BB285_15 Depth=1
	s_or_b32 exec_lo, exec_lo, s20
	v_lshrrev_b32_e32 v3, 16, v30
	v_cmp_ne_u16_sdwa s5, v3, v4 src0_sel:BYTE_0 src1_sel:DWORD
	s_and_saveexec_b32 s20, s5
	s_cbranch_execz .LBB285_586
; %bb.579:                              ;   in Loop: Header=BB285_15 Depth=1
	v_cmp_ne_u16_sdwa s5, v3, v54 src0_sel:BYTE_0 src1_sel:DWORD
	v_mov_b32_e32 v0, 0x8000
	buffer_store_dword v0, off, s[0:3], s32 offset:440 ; 4-byte Folded Spill
	s_and_saveexec_b32 s21, s5
	s_cbranch_execz .LBB285_585
; %bb.580:                              ;   in Loop: Header=BB285_15 Depth=1
	v_bfe_u32 v2, v30, 16, 7
	v_mov_b32_e32 v0, 0x7c01
	s_mov_b32 s22, exec_lo
	buffer_store_dword v0, off, s[0:3], s32 offset:440 ; 4-byte Folded Spill
	v_cmpx_ne_u32_e32 0x7f, v2
	s_cbranch_execz .LBB285_584
; %bb.581:                              ;   in Loop: Header=BB285_15 Depth=1
	v_and_b32_e32 v0, 7, v3
	v_lshrrev_b32_e32 v1, 3, v2
	s_mov_b32 s23, exec_lo
	v_cmpx_gt_u32_e32 8, v2
; %bb.582:                              ;   in Loop: Header=BB285_15 Depth=1
	v_ffbh_u32_e32 v0, v0
	v_min_u32_e32 v2, 32, v0
	v_subrev_nc_u32_e32 v0, 28, v2
	v_lshlrev_b64 v[0:1], v0, v[3:4]
	v_sub_nc_u32_e32 v1, 29, v2
	v_and_b32_e32 v0, 7, v0
; %bb.583:                              ;   in Loop: Header=BB285_15 Depth=1
	s_or_b32 exec_lo, exec_lo, s23
	v_lshlrev_b32_e32 v2, 8, v3
	v_lshl_add_u32 v1, v1, 10, 0x2000
	v_lshlrev_b32_e32 v0, 7, v0
	v_and_b32_e32 v2, 0x8000, v2
	v_and_b32_e32 v1, 0xfc00, v1
	v_or3_b32 v0, v2, v1, v0
	buffer_store_dword v0, off, s[0:3], s32 offset:440 ; 4-byte Folded Spill
.LBB285_584:                            ;   in Loop: Header=BB285_15 Depth=1
	s_or_b32 exec_lo, exec_lo, s22
.LBB285_585:                            ;   in Loop: Header=BB285_15 Depth=1
	s_or_b32 exec_lo, exec_lo, s21
.LBB285_586:                            ;   in Loop: Header=BB285_15 Depth=1
	s_or_b32 exec_lo, exec_lo, s20
	v_mov_b32_e32 v0, 0
	v_mov_b32_e32 v68, 0
	s_mov_b32 s20, exec_lo
	buffer_store_dword v0, off, s[0:3], s32 offset:444 ; 4-byte Folded Spill
	v_cmpx_lt_u64_e64 s[12:13], v[29:30]
	s_cbranch_execz .LBB285_594
; %bb.587:                              ;   in Loop: Header=BB285_15 Depth=1
	v_lshrrev_b32_e32 v3, 24, v30
	v_bfrev_b32_e32 v68, 1
	s_mov_b32 s21, exec_lo
	v_cmpx_ne_u32_e32 0x80, v3
	s_cbranch_execz .LBB285_593
; %bb.588:                              ;   in Loop: Header=BB285_15 Depth=1
	v_and_b32_e32 v2, 0x7f, v3
	v_mov_b32_e32 v68, 0x7c010000
	s_mov_b32 s22, exec_lo
	v_cmpx_ne_u32_e32 0x7f, v2
	s_cbranch_execz .LBB285_592
; %bb.589:                              ;   in Loop: Header=BB285_15 Depth=1
	v_and_b32_e32 v0, 7, v3
	v_lshrrev_b32_e32 v1, 3, v2
	s_mov_b32 s23, exec_lo
	v_cmpx_gt_u32_e32 8, v2
; %bb.590:                              ;   in Loop: Header=BB285_15 Depth=1
	v_ffbh_u32_e32 v0, v0
	v_min_u32_e32 v2, 32, v0
	v_subrev_nc_u32_e32 v0, 28, v2
	v_lshlrev_b64 v[0:1], v0, v[3:4]
	v_sub_nc_u32_e32 v1, 29, v2
	v_and_b32_e32 v0, 7, v0
; %bb.591:                              ;   in Loop: Header=BB285_15 Depth=1
	s_or_b32 exec_lo, exec_lo, s23
	v_lshlrev_b32_e32 v2, 8, v3
	v_lshl_add_u32 v1, v1, 10, 0x2000
	v_lshlrev_b32_e32 v0, 23, v0
	v_and_or_b32 v1, 0x8000, v2, v1
	v_lshl_or_b32 v68, v1, 16, v0
.LBB285_592:                            ;   in Loop: Header=BB285_15 Depth=1
	s_or_b32 exec_lo, exec_lo, s22
.LBB285_593:                            ;   in Loop: Header=BB285_15 Depth=1
	s_or_b32 exec_lo, exec_lo, s21
.LBB285_594:                            ;   in Loop: Header=BB285_15 Depth=1
	s_or_b32 exec_lo, exec_lo, s20
	flat_load_dwordx2 v[29:30], v[27:28] offset:8
	s_waitcnt vmcnt(0) lgkmcnt(0)
	v_cmp_ne_u16_sdwa s5, v29, v4 src0_sel:BYTE_0 src1_sel:DWORD
	s_and_saveexec_b32 s20, s5
	s_cbranch_execz .LBB285_602
; %bb.595:                              ;   in Loop: Header=BB285_15 Depth=1
	v_cmp_ne_u16_sdwa s5, v29, v54 src0_sel:BYTE_0 src1_sel:DWORD
	v_mov_b32_e32 v0, 0x8000
	buffer_store_dword v0, off, s[0:3], s32 offset:444 ; 4-byte Folded Spill
	s_and_saveexec_b32 s21, s5
	s_cbranch_execz .LBB285_601
; %bb.596:                              ;   in Loop: Header=BB285_15 Depth=1
	v_and_b32_e32 v2, 0x7f, v29
	v_mov_b32_e32 v0, 0x7c01
	s_mov_b32 s22, exec_lo
	buffer_store_dword v0, off, s[0:3], s32 offset:444 ; 4-byte Folded Spill
	v_cmpx_ne_u32_e32 0x7f, v2
	s_cbranch_execz .LBB285_600
; %bb.597:                              ;   in Loop: Header=BB285_15 Depth=1
	v_and_b32_e32 v0, 7, v29
	v_lshrrev_b32_e32 v1, 3, v2
	s_mov_b32 s23, exec_lo
	v_cmpx_gt_u32_e32 8, v2
; %bb.598:                              ;   in Loop: Header=BB285_15 Depth=1
	v_ffbh_u32_e32 v0, v0
	v_min_u32_e32 v2, 32, v0
	v_subrev_nc_u32_e32 v0, 28, v2
	v_lshlrev_b64 v[0:1], v0, v[29:30]
	v_sub_nc_u32_e32 v1, 29, v2
	v_and_b32_e32 v0, 7, v0
; %bb.599:                              ;   in Loop: Header=BB285_15 Depth=1
	s_or_b32 exec_lo, exec_lo, s23
	v_lshlrev_b32_e32 v2, 8, v29
	v_lshl_add_u32 v1, v1, 10, 0x2000
	v_lshlrev_b32_e32 v0, 7, v0
	v_and_b32_e32 v2, 0x8000, v2
	v_and_b32_e32 v1, 0xfc00, v1
	v_or3_b32 v0, v2, v1, v0
	buffer_store_dword v0, off, s[0:3], s32 offset:444 ; 4-byte Folded Spill
.LBB285_600:                            ;   in Loop: Header=BB285_15 Depth=1
	s_or_b32 exec_lo, exec_lo, s22
.LBB285_601:                            ;   in Loop: Header=BB285_15 Depth=1
	s_or_b32 exec_lo, exec_lo, s21
.LBB285_602:                            ;   in Loop: Header=BB285_15 Depth=1
	s_or_b32 exec_lo, exec_lo, s20
	v_lshrrev_b16 v3, 8, v29
	v_mov_b32_e32 v0, 0
	v_mov_b32_e32 v126, 0
	s_mov_b32 s20, exec_lo
	buffer_store_dword v0, off, s[0:3], s32 offset:448 ; 4-byte Folded Spill
	v_cmpx_ne_u16_e32 0, v3
	s_cbranch_execz .LBB285_610
; %bb.603:                              ;   in Loop: Header=BB285_15 Depth=1
	v_bfrev_b32_e32 v126, 1
	s_mov_b32 s21, exec_lo
	v_cmpx_ne_u16_e32 0x80, v3
	s_cbranch_execz .LBB285_609
; %bb.604:                              ;   in Loop: Header=BB285_15 Depth=1
	v_mov_b32_e32 v0, 0x7f
	v_mov_b32_e32 v126, 0x7c010000
	s_mov_b32 s22, exec_lo
	v_and_b32_sdwa v2, v3, v0 dst_sel:DWORD dst_unused:UNUSED_PAD src0_sel:WORD_0 src1_sel:DWORD
	v_cmpx_ne_u32_e32 0x7f, v2
	s_cbranch_execz .LBB285_608
; %bb.605:                              ;   in Loop: Header=BB285_15 Depth=1
	v_mov_b32_e32 v0, 7
	v_lshrrev_b32_e32 v1, 3, v2
	s_mov_b32 s23, exec_lo
	v_and_b32_sdwa v0, v3, v0 dst_sel:DWORD dst_unused:UNUSED_PAD src0_sel:WORD_0 src1_sel:DWORD
	v_cmpx_gt_u32_e32 8, v2
; %bb.606:                              ;   in Loop: Header=BB285_15 Depth=1
	v_ffbh_u32_e32 v0, v0
	v_min_u32_e32 v2, 32, v0
	v_subrev_nc_u32_e32 v0, 28, v2
	v_lshlrev_b64 v[0:1], v0, v[3:4]
	v_sub_nc_u32_e32 v1, 29, v2
	v_and_b32_e32 v0, 7, v0
; %bb.607:                              ;   in Loop: Header=BB285_15 Depth=1
	s_or_b32 exec_lo, exec_lo, s23
	v_mov_b32_e32 v2, 8
	v_lshl_add_u32 v1, v1, 10, 0x2000
	v_lshlrev_b32_e32 v0, 23, v0
	v_lshlrev_b32_sdwa v2, v2, v3 dst_sel:DWORD dst_unused:UNUSED_PAD src0_sel:DWORD src1_sel:WORD_0
	v_and_or_b32 v1, 0x8000, v2, v1
	v_lshl_or_b32 v126, v1, 16, v0
.LBB285_608:                            ;   in Loop: Header=BB285_15 Depth=1
	s_or_b32 exec_lo, exec_lo, s22
.LBB285_609:                            ;   in Loop: Header=BB285_15 Depth=1
	s_or_b32 exec_lo, exec_lo, s21
.LBB285_610:                            ;   in Loop: Header=BB285_15 Depth=1
	s_or_b32 exec_lo, exec_lo, s20
	v_lshrrev_b32_e32 v3, 16, v29
	v_cmp_ne_u16_sdwa s5, v3, v4 src0_sel:BYTE_0 src1_sel:DWORD
	s_and_saveexec_b32 s20, s5
	s_cbranch_execz .LBB285_618
; %bb.611:                              ;   in Loop: Header=BB285_15 Depth=1
	v_cmp_ne_u16_sdwa s5, v3, v54 src0_sel:BYTE_0 src1_sel:DWORD
	v_mov_b32_e32 v0, 0x8000
	buffer_store_dword v0, off, s[0:3], s32 offset:448 ; 4-byte Folded Spill
	s_and_saveexec_b32 s21, s5
	s_cbranch_execz .LBB285_617
; %bb.612:                              ;   in Loop: Header=BB285_15 Depth=1
	v_bfe_u32 v2, v29, 16, 7
	v_mov_b32_e32 v0, 0x7c01
	s_mov_b32 s22, exec_lo
	buffer_store_dword v0, off, s[0:3], s32 offset:448 ; 4-byte Folded Spill
	v_cmpx_ne_u32_e32 0x7f, v2
	s_cbranch_execz .LBB285_616
; %bb.613:                              ;   in Loop: Header=BB285_15 Depth=1
	v_and_b32_e32 v0, 7, v3
	v_lshrrev_b32_e32 v1, 3, v2
	s_mov_b32 s23, exec_lo
	v_cmpx_gt_u32_e32 8, v2
; %bb.614:                              ;   in Loop: Header=BB285_15 Depth=1
	v_ffbh_u32_e32 v0, v0
	v_min_u32_e32 v2, 32, v0
	v_subrev_nc_u32_e32 v0, 28, v2
	v_lshlrev_b64 v[0:1], v0, v[3:4]
	v_sub_nc_u32_e32 v1, 29, v2
	v_and_b32_e32 v0, 7, v0
; %bb.615:                              ;   in Loop: Header=BB285_15 Depth=1
	s_or_b32 exec_lo, exec_lo, s23
	v_lshlrev_b32_e32 v2, 8, v3
	v_lshl_add_u32 v1, v1, 10, 0x2000
	v_lshlrev_b32_e32 v0, 7, v0
	v_and_b32_e32 v2, 0x8000, v2
	v_and_b32_e32 v1, 0xfc00, v1
	v_or3_b32 v0, v2, v1, v0
	buffer_store_dword v0, off, s[0:3], s32 offset:448 ; 4-byte Folded Spill
.LBB285_616:                            ;   in Loop: Header=BB285_15 Depth=1
	s_or_b32 exec_lo, exec_lo, s22
.LBB285_617:                            ;   in Loop: Header=BB285_15 Depth=1
	s_or_b32 exec_lo, exec_lo, s21
.LBB285_618:                            ;   in Loop: Header=BB285_15 Depth=1
	s_or_b32 exec_lo, exec_lo, s20
	v_mov_b32_e32 v0, 0
	v_mov_b32_e32 v40, 0
	s_mov_b32 s20, exec_lo
	buffer_store_dword v0, off, s[0:3], s32 offset:452 ; 4-byte Folded Spill
	v_cmpx_lt_u32_e32 0xffffff, v29
	s_cbranch_execz .LBB285_626
; %bb.619:                              ;   in Loop: Header=BB285_15 Depth=1
	v_lshrrev_b32_e32 v3, 24, v29
	v_bfrev_b32_e32 v40, 1
	s_mov_b32 s21, exec_lo
	v_cmpx_ne_u32_e32 0x80, v3
	s_cbranch_execz .LBB285_625
; %bb.620:                              ;   in Loop: Header=BB285_15 Depth=1
	v_and_b32_e32 v2, 0x7f, v3
	v_mov_b32_e32 v40, 0x7c010000
	s_mov_b32 s22, exec_lo
	v_cmpx_ne_u32_e32 0x7f, v2
	s_cbranch_execz .LBB285_624
; %bb.621:                              ;   in Loop: Header=BB285_15 Depth=1
	v_and_b32_e32 v0, 7, v3
	v_lshrrev_b32_e32 v1, 3, v2
	s_mov_b32 s23, exec_lo
	v_cmpx_gt_u32_e32 8, v2
; %bb.622:                              ;   in Loop: Header=BB285_15 Depth=1
	v_ffbh_u32_e32 v0, v0
	v_min_u32_e32 v2, 32, v0
	v_subrev_nc_u32_e32 v0, 28, v2
	v_lshlrev_b64 v[0:1], v0, v[3:4]
	v_sub_nc_u32_e32 v1, 29, v2
	v_and_b32_e32 v0, 7, v0
; %bb.623:                              ;   in Loop: Header=BB285_15 Depth=1
	s_or_b32 exec_lo, exec_lo, s23
	v_lshlrev_b32_e32 v2, 8, v3
	v_lshl_add_u32 v1, v1, 10, 0x2000
	v_lshlrev_b32_e32 v0, 23, v0
	v_and_or_b32 v1, 0x8000, v2, v1
	v_lshl_or_b32 v40, v1, 16, v0
.LBB285_624:                            ;   in Loop: Header=BB285_15 Depth=1
	s_or_b32 exec_lo, exec_lo, s22
.LBB285_625:                            ;   in Loop: Header=BB285_15 Depth=1
	s_or_b32 exec_lo, exec_lo, s21
.LBB285_626:                            ;   in Loop: Header=BB285_15 Depth=1
	s_or_b32 exec_lo, exec_lo, s20
	v_mov_b32_e32 v3, v30
	v_cmp_ne_u16_sdwa s5, v30, v4 src0_sel:BYTE_0 src1_sel:DWORD
	s_and_saveexec_b32 s20, s5
	s_cbranch_execz .LBB285_634
; %bb.627:                              ;   in Loop: Header=BB285_15 Depth=1
	v_cmp_ne_u16_sdwa s5, v30, v54 src0_sel:BYTE_0 src1_sel:DWORD
	v_mov_b32_e32 v0, 0x8000
	buffer_store_dword v0, off, s[0:3], s32 offset:452 ; 4-byte Folded Spill
	s_and_saveexec_b32 s21, s5
	s_cbranch_execz .LBB285_633
; %bb.628:                              ;   in Loop: Header=BB285_15 Depth=1
	v_and_b32_e32 v2, 0x7f, v30
	v_mov_b32_e32 v0, 0x7c01
	s_mov_b32 s22, exec_lo
	buffer_store_dword v0, off, s[0:3], s32 offset:452 ; 4-byte Folded Spill
	v_cmpx_ne_u32_e32 0x7f, v2
	s_cbranch_execz .LBB285_632
; %bb.629:                              ;   in Loop: Header=BB285_15 Depth=1
	v_and_b32_e32 v0, 7, v30
	v_lshrrev_b32_e32 v1, 3, v2
	s_mov_b32 s23, exec_lo
	v_cmpx_gt_u32_e32 8, v2
; %bb.630:                              ;   in Loop: Header=BB285_15 Depth=1
	v_ffbh_u32_e32 v0, v0
	v_min_u32_e32 v2, 32, v0
	v_subrev_nc_u32_e32 v0, 28, v2
	v_lshlrev_b64 v[0:1], v0, v[3:4]
	v_sub_nc_u32_e32 v1, 29, v2
	v_and_b32_e32 v0, 7, v0
; %bb.631:                              ;   in Loop: Header=BB285_15 Depth=1
	s_or_b32 exec_lo, exec_lo, s23
	v_lshlrev_b32_e32 v2, 8, v30
	v_lshl_add_u32 v1, v1, 10, 0x2000
	v_lshlrev_b32_e32 v0, 7, v0
	v_and_b32_e32 v2, 0x8000, v2
	v_and_b32_e32 v1, 0xfc00, v1
	v_or3_b32 v0, v2, v1, v0
	buffer_store_dword v0, off, s[0:3], s32 offset:452 ; 4-byte Folded Spill
.LBB285_632:                            ;   in Loop: Header=BB285_15 Depth=1
	s_or_b32 exec_lo, exec_lo, s22
.LBB285_633:                            ;   in Loop: Header=BB285_15 Depth=1
	s_or_b32 exec_lo, exec_lo, s21
.LBB285_634:                            ;   in Loop: Header=BB285_15 Depth=1
	s_or_b32 exec_lo, exec_lo, s20
	v_lshrrev_b16 v3, 8, v3
	v_mov_b32_e32 v0, 0
	v_mov_b32_e32 v12, 0
	s_mov_b32 s20, exec_lo
	buffer_store_dword v0, off, s[0:3], s32 offset:456 ; 4-byte Folded Spill
	v_cmpx_ne_u16_e32 0, v3
	s_cbranch_execz .LBB285_642
; %bb.635:                              ;   in Loop: Header=BB285_15 Depth=1
	v_bfrev_b32_e32 v12, 1
	s_mov_b32 s21, exec_lo
	v_cmpx_ne_u16_e32 0x80, v3
	s_cbranch_execz .LBB285_641
; %bb.636:                              ;   in Loop: Header=BB285_15 Depth=1
	v_mov_b32_e32 v0, 0x7f
	v_mov_b32_e32 v12, 0x7c010000
	s_mov_b32 s22, exec_lo
	v_and_b32_sdwa v2, v3, v0 dst_sel:DWORD dst_unused:UNUSED_PAD src0_sel:WORD_0 src1_sel:DWORD
	v_cmpx_ne_u32_e32 0x7f, v2
	s_cbranch_execz .LBB285_640
; %bb.637:                              ;   in Loop: Header=BB285_15 Depth=1
	v_mov_b32_e32 v0, 7
	v_lshrrev_b32_e32 v1, 3, v2
	s_mov_b32 s23, exec_lo
	v_and_b32_sdwa v0, v3, v0 dst_sel:DWORD dst_unused:UNUSED_PAD src0_sel:WORD_0 src1_sel:DWORD
	v_cmpx_gt_u32_e32 8, v2
; %bb.638:                              ;   in Loop: Header=BB285_15 Depth=1
	v_ffbh_u32_e32 v0, v0
	v_min_u32_e32 v2, 32, v0
	v_subrev_nc_u32_e32 v0, 28, v2
	v_lshlrev_b64 v[0:1], v0, v[3:4]
	v_sub_nc_u32_e32 v1, 29, v2
	v_and_b32_e32 v0, 7, v0
; %bb.639:                              ;   in Loop: Header=BB285_15 Depth=1
	s_or_b32 exec_lo, exec_lo, s23
	v_mov_b32_e32 v2, 8
	v_lshl_add_u32 v1, v1, 10, 0x2000
	v_lshlrev_b32_e32 v0, 23, v0
	v_lshlrev_b32_sdwa v2, v2, v3 dst_sel:DWORD dst_unused:UNUSED_PAD src0_sel:DWORD src1_sel:WORD_0
	v_and_or_b32 v1, 0x8000, v2, v1
	v_lshl_or_b32 v12, v1, 16, v0
.LBB285_640:                            ;   in Loop: Header=BB285_15 Depth=1
	s_or_b32 exec_lo, exec_lo, s22
.LBB285_641:                            ;   in Loop: Header=BB285_15 Depth=1
	s_or_b32 exec_lo, exec_lo, s21
.LBB285_642:                            ;   in Loop: Header=BB285_15 Depth=1
	s_or_b32 exec_lo, exec_lo, s20
	v_lshrrev_b32_e32 v3, 16, v30
	v_cmp_ne_u16_sdwa s5, v3, v4 src0_sel:BYTE_0 src1_sel:DWORD
	s_and_saveexec_b32 s20, s5
	s_cbranch_execz .LBB285_650
; %bb.643:                              ;   in Loop: Header=BB285_15 Depth=1
	v_cmp_ne_u16_sdwa s5, v3, v54 src0_sel:BYTE_0 src1_sel:DWORD
	v_mov_b32_e32 v0, 0x8000
	buffer_store_dword v0, off, s[0:3], s32 offset:456 ; 4-byte Folded Spill
	s_and_saveexec_b32 s21, s5
	s_cbranch_execz .LBB285_649
; %bb.644:                              ;   in Loop: Header=BB285_15 Depth=1
	v_bfe_u32 v2, v30, 16, 7
	v_mov_b32_e32 v0, 0x7c01
	s_mov_b32 s22, exec_lo
	buffer_store_dword v0, off, s[0:3], s32 offset:456 ; 4-byte Folded Spill
	v_cmpx_ne_u32_e32 0x7f, v2
	s_cbranch_execz .LBB285_648
; %bb.645:                              ;   in Loop: Header=BB285_15 Depth=1
	v_and_b32_e32 v0, 7, v3
	v_lshrrev_b32_e32 v1, 3, v2
	s_mov_b32 s23, exec_lo
	v_cmpx_gt_u32_e32 8, v2
; %bb.646:                              ;   in Loop: Header=BB285_15 Depth=1
	v_ffbh_u32_e32 v0, v0
	v_min_u32_e32 v2, 32, v0
	v_subrev_nc_u32_e32 v0, 28, v2
	v_lshlrev_b64 v[0:1], v0, v[3:4]
	v_sub_nc_u32_e32 v1, 29, v2
	v_and_b32_e32 v0, 7, v0
; %bb.647:                              ;   in Loop: Header=BB285_15 Depth=1
	s_or_b32 exec_lo, exec_lo, s23
	v_lshlrev_b32_e32 v2, 8, v3
	v_lshl_add_u32 v1, v1, 10, 0x2000
	v_lshlrev_b32_e32 v0, 7, v0
	v_and_b32_e32 v2, 0x8000, v2
	v_and_b32_e32 v1, 0xfc00, v1
	v_or3_b32 v0, v2, v1, v0
	buffer_store_dword v0, off, s[0:3], s32 offset:456 ; 4-byte Folded Spill
.LBB285_648:                            ;   in Loop: Header=BB285_15 Depth=1
	s_or_b32 exec_lo, exec_lo, s22
.LBB285_649:                            ;   in Loop: Header=BB285_15 Depth=1
	s_or_b32 exec_lo, exec_lo, s21
.LBB285_650:                            ;   in Loop: Header=BB285_15 Depth=1
	s_or_b32 exec_lo, exec_lo, s20
	v_mov_b32_e32 v0, 0
	v_mov_b32_e32 v15, 0
	s_mov_b32 s20, exec_lo
	buffer_store_dword v0, off, s[0:3], s32 offset:460 ; 4-byte Folded Spill
	v_cmpx_lt_u64_e64 s[12:13], v[29:30]
	s_cbranch_execz .LBB285_658
; %bb.651:                              ;   in Loop: Header=BB285_15 Depth=1
	v_lshrrev_b32_e32 v3, 24, v30
	v_bfrev_b32_e32 v15, 1
	s_mov_b32 s21, exec_lo
	v_cmpx_ne_u32_e32 0x80, v3
	s_cbranch_execz .LBB285_657
; %bb.652:                              ;   in Loop: Header=BB285_15 Depth=1
	v_and_b32_e32 v2, 0x7f, v3
	v_mov_b32_e32 v15, 0x7c010000
	s_mov_b32 s22, exec_lo
	v_cmpx_ne_u32_e32 0x7f, v2
	s_cbranch_execz .LBB285_656
; %bb.653:                              ;   in Loop: Header=BB285_15 Depth=1
	v_and_b32_e32 v0, 7, v3
	v_lshrrev_b32_e32 v1, 3, v2
	s_mov_b32 s23, exec_lo
	v_cmpx_gt_u32_e32 8, v2
; %bb.654:                              ;   in Loop: Header=BB285_15 Depth=1
	v_ffbh_u32_e32 v0, v0
	v_min_u32_e32 v2, 32, v0
	v_subrev_nc_u32_e32 v0, 28, v2
	v_lshlrev_b64 v[0:1], v0, v[3:4]
	v_sub_nc_u32_e32 v1, 29, v2
	v_and_b32_e32 v0, 7, v0
; %bb.655:                              ;   in Loop: Header=BB285_15 Depth=1
	s_or_b32 exec_lo, exec_lo, s23
	v_lshlrev_b32_e32 v2, 8, v3
	v_lshl_add_u32 v1, v1, 10, 0x2000
	v_lshlrev_b32_e32 v0, 23, v0
	v_and_or_b32 v1, 0x8000, v2, v1
	v_lshl_or_b32 v15, v1, 16, v0
.LBB285_656:                            ;   in Loop: Header=BB285_15 Depth=1
	s_or_b32 exec_lo, exec_lo, s22
.LBB285_657:                            ;   in Loop: Header=BB285_15 Depth=1
	s_or_b32 exec_lo, exec_lo, s21
.LBB285_658:                            ;   in Loop: Header=BB285_15 Depth=1
	s_or_b32 exec_lo, exec_lo, s20
	flat_load_dwordx2 v[29:30], v[27:28] offset:512
	s_waitcnt vmcnt(0) lgkmcnt(0)
	v_cmp_ne_u16_sdwa s5, v29, v4 src0_sel:BYTE_0 src1_sel:DWORD
	s_and_saveexec_b32 s20, s5
	s_cbranch_execz .LBB285_666
; %bb.659:                              ;   in Loop: Header=BB285_15 Depth=1
	v_cmp_ne_u16_sdwa s5, v29, v54 src0_sel:BYTE_0 src1_sel:DWORD
	v_mov_b32_e32 v0, 0x8000
	buffer_store_dword v0, off, s[0:3], s32 offset:460 ; 4-byte Folded Spill
	s_and_saveexec_b32 s21, s5
	s_cbranch_execz .LBB285_665
; %bb.660:                              ;   in Loop: Header=BB285_15 Depth=1
	v_and_b32_e32 v2, 0x7f, v29
	v_mov_b32_e32 v0, 0x7c01
	s_mov_b32 s22, exec_lo
	buffer_store_dword v0, off, s[0:3], s32 offset:460 ; 4-byte Folded Spill
	v_cmpx_ne_u32_e32 0x7f, v2
	s_cbranch_execz .LBB285_664
; %bb.661:                              ;   in Loop: Header=BB285_15 Depth=1
	v_and_b32_e32 v0, 7, v29
	v_lshrrev_b32_e32 v1, 3, v2
	s_mov_b32 s23, exec_lo
	v_cmpx_gt_u32_e32 8, v2
; %bb.662:                              ;   in Loop: Header=BB285_15 Depth=1
	v_ffbh_u32_e32 v0, v0
	v_min_u32_e32 v2, 32, v0
	v_subrev_nc_u32_e32 v0, 28, v2
	v_lshlrev_b64 v[0:1], v0, v[29:30]
	v_sub_nc_u32_e32 v1, 29, v2
	v_and_b32_e32 v0, 7, v0
; %bb.663:                              ;   in Loop: Header=BB285_15 Depth=1
	s_or_b32 exec_lo, exec_lo, s23
	v_lshlrev_b32_e32 v2, 8, v29
	v_lshl_add_u32 v1, v1, 10, 0x2000
	v_lshlrev_b32_e32 v0, 7, v0
	v_and_b32_e32 v2, 0x8000, v2
	v_and_b32_e32 v1, 0xfc00, v1
	v_or3_b32 v0, v2, v1, v0
	buffer_store_dword v0, off, s[0:3], s32 offset:460 ; 4-byte Folded Spill
.LBB285_664:                            ;   in Loop: Header=BB285_15 Depth=1
	s_or_b32 exec_lo, exec_lo, s22
.LBB285_665:                            ;   in Loop: Header=BB285_15 Depth=1
	s_or_b32 exec_lo, exec_lo, s21
.LBB285_666:                            ;   in Loop: Header=BB285_15 Depth=1
	s_or_b32 exec_lo, exec_lo, s20
	v_lshrrev_b16 v3, 8, v29
	v_mov_b32_e32 v0, 0
	v_mov_b32_e32 v78, 0
	s_mov_b32 s20, exec_lo
	buffer_store_dword v0, off, s[0:3], s32 offset:464 ; 4-byte Folded Spill
	v_cmpx_ne_u16_e32 0, v3
	s_cbranch_execz .LBB285_674
; %bb.667:                              ;   in Loop: Header=BB285_15 Depth=1
	v_bfrev_b32_e32 v78, 1
	s_mov_b32 s21, exec_lo
	v_cmpx_ne_u16_e32 0x80, v3
	s_cbranch_execz .LBB285_673
; %bb.668:                              ;   in Loop: Header=BB285_15 Depth=1
	v_mov_b32_e32 v0, 0x7f
	v_mov_b32_e32 v78, 0x7c010000
	s_mov_b32 s22, exec_lo
	v_and_b32_sdwa v2, v3, v0 dst_sel:DWORD dst_unused:UNUSED_PAD src0_sel:WORD_0 src1_sel:DWORD
	v_cmpx_ne_u32_e32 0x7f, v2
	s_cbranch_execz .LBB285_672
; %bb.669:                              ;   in Loop: Header=BB285_15 Depth=1
	v_mov_b32_e32 v0, 7
	v_lshrrev_b32_e32 v1, 3, v2
	s_mov_b32 s23, exec_lo
	v_and_b32_sdwa v0, v3, v0 dst_sel:DWORD dst_unused:UNUSED_PAD src0_sel:WORD_0 src1_sel:DWORD
	v_cmpx_gt_u32_e32 8, v2
; %bb.670:                              ;   in Loop: Header=BB285_15 Depth=1
	v_ffbh_u32_e32 v0, v0
	v_min_u32_e32 v2, 32, v0
	v_subrev_nc_u32_e32 v0, 28, v2
	v_lshlrev_b64 v[0:1], v0, v[3:4]
	v_sub_nc_u32_e32 v1, 29, v2
	v_and_b32_e32 v0, 7, v0
; %bb.671:                              ;   in Loop: Header=BB285_15 Depth=1
	s_or_b32 exec_lo, exec_lo, s23
	v_mov_b32_e32 v2, 8
	v_lshl_add_u32 v1, v1, 10, 0x2000
	v_lshlrev_b32_e32 v0, 23, v0
	v_lshlrev_b32_sdwa v2, v2, v3 dst_sel:DWORD dst_unused:UNUSED_PAD src0_sel:DWORD src1_sel:WORD_0
	v_and_or_b32 v1, 0x8000, v2, v1
	v_lshl_or_b32 v78, v1, 16, v0
.LBB285_672:                            ;   in Loop: Header=BB285_15 Depth=1
	s_or_b32 exec_lo, exec_lo, s22
.LBB285_673:                            ;   in Loop: Header=BB285_15 Depth=1
	s_or_b32 exec_lo, exec_lo, s21
.LBB285_674:                            ;   in Loop: Header=BB285_15 Depth=1
	s_or_b32 exec_lo, exec_lo, s20
	v_lshrrev_b32_e32 v3, 16, v29
	v_cmp_ne_u16_sdwa s5, v3, v4 src0_sel:BYTE_0 src1_sel:DWORD
	s_and_saveexec_b32 s20, s5
	s_cbranch_execz .LBB285_682
; %bb.675:                              ;   in Loop: Header=BB285_15 Depth=1
	v_cmp_ne_u16_sdwa s5, v3, v54 src0_sel:BYTE_0 src1_sel:DWORD
	v_mov_b32_e32 v0, 0x8000
	buffer_store_dword v0, off, s[0:3], s32 offset:464 ; 4-byte Folded Spill
	s_and_saveexec_b32 s21, s5
	s_cbranch_execz .LBB285_681
; %bb.676:                              ;   in Loop: Header=BB285_15 Depth=1
	v_bfe_u32 v2, v29, 16, 7
	v_mov_b32_e32 v0, 0x7c01
	s_mov_b32 s22, exec_lo
	buffer_store_dword v0, off, s[0:3], s32 offset:464 ; 4-byte Folded Spill
	v_cmpx_ne_u32_e32 0x7f, v2
	s_cbranch_execz .LBB285_680
; %bb.677:                              ;   in Loop: Header=BB285_15 Depth=1
	v_and_b32_e32 v0, 7, v3
	v_lshrrev_b32_e32 v1, 3, v2
	s_mov_b32 s23, exec_lo
	v_cmpx_gt_u32_e32 8, v2
; %bb.678:                              ;   in Loop: Header=BB285_15 Depth=1
	v_ffbh_u32_e32 v0, v0
	v_min_u32_e32 v2, 32, v0
	v_subrev_nc_u32_e32 v0, 28, v2
	v_lshlrev_b64 v[0:1], v0, v[3:4]
	v_sub_nc_u32_e32 v1, 29, v2
	v_and_b32_e32 v0, 7, v0
; %bb.679:                              ;   in Loop: Header=BB285_15 Depth=1
	s_or_b32 exec_lo, exec_lo, s23
	v_lshlrev_b32_e32 v2, 8, v3
	v_lshl_add_u32 v1, v1, 10, 0x2000
	v_lshlrev_b32_e32 v0, 7, v0
	v_and_b32_e32 v2, 0x8000, v2
	v_and_b32_e32 v1, 0xfc00, v1
	v_or3_b32 v0, v2, v1, v0
	buffer_store_dword v0, off, s[0:3], s32 offset:464 ; 4-byte Folded Spill
.LBB285_680:                            ;   in Loop: Header=BB285_15 Depth=1
	s_or_b32 exec_lo, exec_lo, s22
.LBB285_681:                            ;   in Loop: Header=BB285_15 Depth=1
	s_or_b32 exec_lo, exec_lo, s21
.LBB285_682:                            ;   in Loop: Header=BB285_15 Depth=1
	s_or_b32 exec_lo, exec_lo, s20
	v_mov_b32_e32 v0, 0
	v_mov_b32_e32 v7, 0
	s_mov_b32 s20, exec_lo
	buffer_store_dword v0, off, s[0:3], s32 offset:468 ; 4-byte Folded Spill
	v_cmpx_lt_u32_e32 0xffffff, v29
	s_cbranch_execz .LBB285_690
; %bb.683:                              ;   in Loop: Header=BB285_15 Depth=1
	v_lshrrev_b32_e32 v3, 24, v29
	v_bfrev_b32_e32 v7, 1
	s_mov_b32 s21, exec_lo
	v_cmpx_ne_u32_e32 0x80, v3
	s_cbranch_execz .LBB285_689
; %bb.684:                              ;   in Loop: Header=BB285_15 Depth=1
	v_and_b32_e32 v2, 0x7f, v3
	v_mov_b32_e32 v7, 0x7c010000
	s_mov_b32 s22, exec_lo
	v_cmpx_ne_u32_e32 0x7f, v2
	s_cbranch_execz .LBB285_688
; %bb.685:                              ;   in Loop: Header=BB285_15 Depth=1
	v_and_b32_e32 v0, 7, v3
	v_lshrrev_b32_e32 v1, 3, v2
	s_mov_b32 s23, exec_lo
	v_cmpx_gt_u32_e32 8, v2
; %bb.686:                              ;   in Loop: Header=BB285_15 Depth=1
	v_ffbh_u32_e32 v0, v0
	v_min_u32_e32 v2, 32, v0
	v_subrev_nc_u32_e32 v0, 28, v2
	v_lshlrev_b64 v[0:1], v0, v[3:4]
	v_sub_nc_u32_e32 v1, 29, v2
	v_and_b32_e32 v0, 7, v0
; %bb.687:                              ;   in Loop: Header=BB285_15 Depth=1
	s_or_b32 exec_lo, exec_lo, s23
	v_lshlrev_b32_e32 v2, 8, v3
	v_lshl_add_u32 v1, v1, 10, 0x2000
	v_lshlrev_b32_e32 v0, 23, v0
	v_and_or_b32 v1, 0x8000, v2, v1
	v_lshl_or_b32 v7, v1, 16, v0
.LBB285_688:                            ;   in Loop: Header=BB285_15 Depth=1
	s_or_b32 exec_lo, exec_lo, s22
.LBB285_689:                            ;   in Loop: Header=BB285_15 Depth=1
	s_or_b32 exec_lo, exec_lo, s21
.LBB285_690:                            ;   in Loop: Header=BB285_15 Depth=1
	s_or_b32 exec_lo, exec_lo, s20
	v_mov_b32_e32 v3, v30
	v_cmp_ne_u16_sdwa s5, v30, v4 src0_sel:BYTE_0 src1_sel:DWORD
	s_and_saveexec_b32 s20, s5
	s_cbranch_execz .LBB285_698
; %bb.691:                              ;   in Loop: Header=BB285_15 Depth=1
	v_cmp_ne_u16_sdwa s5, v30, v54 src0_sel:BYTE_0 src1_sel:DWORD
	v_mov_b32_e32 v0, 0x8000
	buffer_store_dword v0, off, s[0:3], s32 offset:468 ; 4-byte Folded Spill
	s_and_saveexec_b32 s21, s5
	s_cbranch_execz .LBB285_697
; %bb.692:                              ;   in Loop: Header=BB285_15 Depth=1
	v_and_b32_e32 v2, 0x7f, v30
	v_mov_b32_e32 v0, 0x7c01
	s_mov_b32 s22, exec_lo
	buffer_store_dword v0, off, s[0:3], s32 offset:468 ; 4-byte Folded Spill
	v_cmpx_ne_u32_e32 0x7f, v2
	s_cbranch_execz .LBB285_696
; %bb.693:                              ;   in Loop: Header=BB285_15 Depth=1
	v_and_b32_e32 v0, 7, v30
	v_lshrrev_b32_e32 v1, 3, v2
	s_mov_b32 s23, exec_lo
	v_cmpx_gt_u32_e32 8, v2
; %bb.694:                              ;   in Loop: Header=BB285_15 Depth=1
	v_ffbh_u32_e32 v0, v0
	v_min_u32_e32 v2, 32, v0
	v_subrev_nc_u32_e32 v0, 28, v2
	v_lshlrev_b64 v[0:1], v0, v[3:4]
	v_sub_nc_u32_e32 v1, 29, v2
	v_and_b32_e32 v0, 7, v0
; %bb.695:                              ;   in Loop: Header=BB285_15 Depth=1
	s_or_b32 exec_lo, exec_lo, s23
	v_lshlrev_b32_e32 v2, 8, v30
	v_lshl_add_u32 v1, v1, 10, 0x2000
	v_lshlrev_b32_e32 v0, 7, v0
	v_and_b32_e32 v2, 0x8000, v2
	v_and_b32_e32 v1, 0xfc00, v1
	v_or3_b32 v0, v2, v1, v0
	buffer_store_dword v0, off, s[0:3], s32 offset:468 ; 4-byte Folded Spill
.LBB285_696:                            ;   in Loop: Header=BB285_15 Depth=1
	s_or_b32 exec_lo, exec_lo, s22
.LBB285_697:                            ;   in Loop: Header=BB285_15 Depth=1
	s_or_b32 exec_lo, exec_lo, s21
.LBB285_698:                            ;   in Loop: Header=BB285_15 Depth=1
	s_or_b32 exec_lo, exec_lo, s20
	v_lshrrev_b16 v3, 8, v3
	v_mov_b32_e32 v0, 0
	v_mov_b32_e32 v2, 0
	s_mov_b32 s20, exec_lo
	buffer_store_dword v0, off, s[0:3], s32 offset:472 ; 4-byte Folded Spill
	v_cmpx_ne_u16_e32 0, v3
	s_cbranch_execz .LBB285_706
; %bb.699:                              ;   in Loop: Header=BB285_15 Depth=1
	v_bfrev_b32_e32 v2, 1
	s_mov_b32 s21, exec_lo
	v_cmpx_ne_u16_e32 0x80, v3
	s_cbranch_execz .LBB285_705
; %bb.700:                              ;   in Loop: Header=BB285_15 Depth=1
	v_mov_b32_e32 v0, 0x7f
	v_mov_b32_e32 v2, 0x7c010000
	s_mov_b32 s22, exec_lo
	v_and_b32_sdwa v6, v3, v0 dst_sel:DWORD dst_unused:UNUSED_PAD src0_sel:WORD_0 src1_sel:DWORD
	v_cmpx_ne_u32_e32 0x7f, v6
	s_cbranch_execz .LBB285_704
; %bb.701:                              ;   in Loop: Header=BB285_15 Depth=1
	v_mov_b32_e32 v0, 7
	v_lshrrev_b32_e32 v1, 3, v6
	s_mov_b32 s23, exec_lo
	v_and_b32_sdwa v0, v3, v0 dst_sel:DWORD dst_unused:UNUSED_PAD src0_sel:WORD_0 src1_sel:DWORD
	v_cmpx_gt_u32_e32 8, v6
; %bb.702:                              ;   in Loop: Header=BB285_15 Depth=1
	v_ffbh_u32_e32 v0, v0
	v_min_u32_e32 v2, 32, v0
	v_subrev_nc_u32_e32 v0, 28, v2
	v_lshlrev_b64 v[0:1], v0, v[3:4]
	v_sub_nc_u32_e32 v1, 29, v2
	v_and_b32_e32 v0, 7, v0
; %bb.703:                              ;   in Loop: Header=BB285_15 Depth=1
	s_or_b32 exec_lo, exec_lo, s23
	v_mov_b32_e32 v2, 8
	v_lshl_add_u32 v1, v1, 10, 0x2000
	v_lshlrev_b32_e32 v0, 23, v0
	v_lshlrev_b32_sdwa v2, v2, v3 dst_sel:DWORD dst_unused:UNUSED_PAD src0_sel:DWORD src1_sel:WORD_0
	v_and_or_b32 v1, 0x8000, v2, v1
	v_lshl_or_b32 v2, v1, 16, v0
.LBB285_704:                            ;   in Loop: Header=BB285_15 Depth=1
	s_or_b32 exec_lo, exec_lo, s22
.LBB285_705:                            ;   in Loop: Header=BB285_15 Depth=1
	s_or_b32 exec_lo, exec_lo, s21
.LBB285_706:                            ;   in Loop: Header=BB285_15 Depth=1
	s_or_b32 exec_lo, exec_lo, s20
	v_lshrrev_b32_e32 v3, 16, v30
	v_cmp_ne_u16_sdwa s5, v3, v4 src0_sel:BYTE_0 src1_sel:DWORD
	s_and_saveexec_b32 s20, s5
	s_cbranch_execz .LBB285_714
; %bb.707:                              ;   in Loop: Header=BB285_15 Depth=1
	v_cmp_ne_u16_sdwa s5, v3, v54 src0_sel:BYTE_0 src1_sel:DWORD
	v_mov_b32_e32 v0, 0x8000
	buffer_store_dword v0, off, s[0:3], s32 offset:472 ; 4-byte Folded Spill
	s_and_saveexec_b32 s21, s5
	s_cbranch_execz .LBB285_713
; %bb.708:                              ;   in Loop: Header=BB285_15 Depth=1
	v_bfe_u32 v6, v30, 16, 7
	v_mov_b32_e32 v0, 0x7c01
	s_mov_b32 s22, exec_lo
	buffer_store_dword v0, off, s[0:3], s32 offset:472 ; 4-byte Folded Spill
	v_cmpx_ne_u32_e32 0x7f, v6
	s_cbranch_execz .LBB285_712
; %bb.709:                              ;   in Loop: Header=BB285_15 Depth=1
	v_and_b32_e32 v0, 7, v3
	v_lshrrev_b32_e32 v1, 3, v6
	s_mov_b32 s23, exec_lo
	v_cmpx_gt_u32_e32 8, v6
; %bb.710:                              ;   in Loop: Header=BB285_15 Depth=1
	v_ffbh_u32_e32 v0, v0
	v_min_u32_e32 v6, 32, v0
	v_subrev_nc_u32_e32 v0, 28, v6
	v_lshlrev_b64 v[0:1], v0, v[3:4]
	v_sub_nc_u32_e32 v1, 29, v6
	v_and_b32_e32 v0, 7, v0
; %bb.711:                              ;   in Loop: Header=BB285_15 Depth=1
	s_or_b32 exec_lo, exec_lo, s23
	v_lshlrev_b32_e32 v3, 8, v3
	v_lshl_add_u32 v1, v1, 10, 0x2000
	v_lshlrev_b32_e32 v0, 7, v0
	v_and_b32_e32 v3, 0x8000, v3
	v_and_b32_e32 v1, 0xfc00, v1
	v_or3_b32 v0, v3, v1, v0
	buffer_store_dword v0, off, s[0:3], s32 offset:472 ; 4-byte Folded Spill
.LBB285_712:                            ;   in Loop: Header=BB285_15 Depth=1
	s_or_b32 exec_lo, exec_lo, s22
.LBB285_713:                            ;   in Loop: Header=BB285_15 Depth=1
	s_or_b32 exec_lo, exec_lo, s21
.LBB285_714:                            ;   in Loop: Header=BB285_15 Depth=1
	s_or_b32 exec_lo, exec_lo, s20
	v_mov_b32_e32 v0, 0
	v_mov_b32_e32 v41, 0
	s_mov_b32 s20, exec_lo
	buffer_store_dword v0, off, s[0:3], s32 offset:476 ; 4-byte Folded Spill
	v_cmpx_lt_u64_e64 s[12:13], v[29:30]
	s_cbranch_execz .LBB285_722
; %bb.715:                              ;   in Loop: Header=BB285_15 Depth=1
	v_lshrrev_b32_e32 v3, 24, v30
	v_bfrev_b32_e32 v41, 1
	s_mov_b32 s21, exec_lo
	v_cmpx_ne_u32_e32 0x80, v3
	s_cbranch_execz .LBB285_721
; %bb.716:                              ;   in Loop: Header=BB285_15 Depth=1
	v_and_b32_e32 v6, 0x7f, v3
	v_mov_b32_e32 v41, 0x7c010000
	s_mov_b32 s22, exec_lo
	v_cmpx_ne_u32_e32 0x7f, v6
	s_cbranch_execz .LBB285_720
; %bb.717:                              ;   in Loop: Header=BB285_15 Depth=1
	v_and_b32_e32 v0, 7, v3
	v_lshrrev_b32_e32 v1, 3, v6
	s_mov_b32 s23, exec_lo
	v_cmpx_gt_u32_e32 8, v6
; %bb.718:                              ;   in Loop: Header=BB285_15 Depth=1
	v_ffbh_u32_e32 v0, v0
	v_min_u32_e32 v6, 32, v0
	v_subrev_nc_u32_e32 v0, 28, v6
	v_lshlrev_b64 v[0:1], v0, v[3:4]
	v_sub_nc_u32_e32 v1, 29, v6
	v_and_b32_e32 v0, 7, v0
; %bb.719:                              ;   in Loop: Header=BB285_15 Depth=1
	s_or_b32 exec_lo, exec_lo, s23
	v_lshlrev_b32_e32 v3, 8, v3
	v_lshl_add_u32 v1, v1, 10, 0x2000
	v_lshlrev_b32_e32 v0, 23, v0
	v_and_or_b32 v1, 0x8000, v3, v1
	v_lshl_or_b32 v41, v1, 16, v0
.LBB285_720:                            ;   in Loop: Header=BB285_15 Depth=1
	s_or_b32 exec_lo, exec_lo, s22
.LBB285_721:                            ;   in Loop: Header=BB285_15 Depth=1
	s_or_b32 exec_lo, exec_lo, s21
.LBB285_722:                            ;   in Loop: Header=BB285_15 Depth=1
	s_or_b32 exec_lo, exec_lo, s20
	flat_load_dwordx2 v[29:30], v[27:28] offset:520
	s_waitcnt vmcnt(0) lgkmcnt(0)
	v_cmp_ne_u16_sdwa s5, v29, v4 src0_sel:BYTE_0 src1_sel:DWORD
	s_and_saveexec_b32 s20, s5
	s_cbranch_execz .LBB285_730
; %bb.723:                              ;   in Loop: Header=BB285_15 Depth=1
	v_cmp_ne_u16_sdwa s5, v29, v54 src0_sel:BYTE_0 src1_sel:DWORD
	v_mov_b32_e32 v0, 0x8000
	buffer_store_dword v0, off, s[0:3], s32 offset:476 ; 4-byte Folded Spill
	s_and_saveexec_b32 s21, s5
	s_cbranch_execz .LBB285_729
; %bb.724:                              ;   in Loop: Header=BB285_15 Depth=1
	v_and_b32_e32 v3, 0x7f, v29
	v_mov_b32_e32 v0, 0x7c01
	s_mov_b32 s22, exec_lo
	buffer_store_dword v0, off, s[0:3], s32 offset:476 ; 4-byte Folded Spill
	v_cmpx_ne_u32_e32 0x7f, v3
	s_cbranch_execz .LBB285_728
; %bb.725:                              ;   in Loop: Header=BB285_15 Depth=1
	v_and_b32_e32 v0, 7, v29
	v_lshrrev_b32_e32 v1, 3, v3
	s_mov_b32 s23, exec_lo
	v_cmpx_gt_u32_e32 8, v3
; %bb.726:                              ;   in Loop: Header=BB285_15 Depth=1
	v_ffbh_u32_e32 v0, v0
	v_min_u32_e32 v3, 32, v0
	v_subrev_nc_u32_e32 v0, 28, v3
	v_lshlrev_b64 v[0:1], v0, v[29:30]
	v_sub_nc_u32_e32 v1, 29, v3
	v_and_b32_e32 v0, 7, v0
; %bb.727:                              ;   in Loop: Header=BB285_15 Depth=1
	s_or_b32 exec_lo, exec_lo, s23
	v_lshlrev_b32_e32 v3, 8, v29
	v_lshl_add_u32 v1, v1, 10, 0x2000
	v_lshlrev_b32_e32 v0, 7, v0
	v_and_b32_e32 v3, 0x8000, v3
	v_and_b32_e32 v1, 0xfc00, v1
	v_or3_b32 v0, v3, v1, v0
	buffer_store_dword v0, off, s[0:3], s32 offset:476 ; 4-byte Folded Spill
.LBB285_728:                            ;   in Loop: Header=BB285_15 Depth=1
	s_or_b32 exec_lo, exec_lo, s22
.LBB285_729:                            ;   in Loop: Header=BB285_15 Depth=1
	s_or_b32 exec_lo, exec_lo, s21
.LBB285_730:                            ;   in Loop: Header=BB285_15 Depth=1
	s_or_b32 exec_lo, exec_lo, s20
	v_lshrrev_b16 v3, 8, v29
	v_mov_b32_e32 v0, 0
	v_mov_b32_e32 v87, 0
	s_mov_b32 s20, exec_lo
	buffer_store_dword v0, off, s[0:3], s32 offset:480 ; 4-byte Folded Spill
	v_cmpx_ne_u16_e32 0, v3
	s_cbranch_execz .LBB285_738
; %bb.731:                              ;   in Loop: Header=BB285_15 Depth=1
	v_bfrev_b32_e32 v87, 1
	s_mov_b32 s21, exec_lo
	v_cmpx_ne_u16_e32 0x80, v3
	s_cbranch_execz .LBB285_737
; %bb.732:                              ;   in Loop: Header=BB285_15 Depth=1
	v_mov_b32_e32 v0, 0x7f
	v_mov_b32_e32 v87, 0x7c010000
	s_mov_b32 s22, exec_lo
	v_and_b32_sdwa v6, v3, v0 dst_sel:DWORD dst_unused:UNUSED_PAD src0_sel:WORD_0 src1_sel:DWORD
	v_cmpx_ne_u32_e32 0x7f, v6
	s_cbranch_execz .LBB285_736
; %bb.733:                              ;   in Loop: Header=BB285_15 Depth=1
	v_mov_b32_e32 v0, 7
	v_lshrrev_b32_e32 v1, 3, v6
	s_mov_b32 s23, exec_lo
	v_and_b32_sdwa v0, v3, v0 dst_sel:DWORD dst_unused:UNUSED_PAD src0_sel:WORD_0 src1_sel:DWORD
	v_cmpx_gt_u32_e32 8, v6
; %bb.734:                              ;   in Loop: Header=BB285_15 Depth=1
	v_ffbh_u32_e32 v0, v0
	v_min_u32_e32 v6, 32, v0
	v_subrev_nc_u32_e32 v0, 28, v6
	v_lshlrev_b64 v[0:1], v0, v[3:4]
	v_sub_nc_u32_e32 v1, 29, v6
	v_and_b32_e32 v0, 7, v0
; %bb.735:                              ;   in Loop: Header=BB285_15 Depth=1
	s_or_b32 exec_lo, exec_lo, s23
	v_mov_b32_e32 v6, 8
	v_lshl_add_u32 v1, v1, 10, 0x2000
	v_lshlrev_b32_e32 v0, 23, v0
	v_lshlrev_b32_sdwa v3, v6, v3 dst_sel:DWORD dst_unused:UNUSED_PAD src0_sel:DWORD src1_sel:WORD_0
	v_and_or_b32 v1, 0x8000, v3, v1
	v_lshl_or_b32 v87, v1, 16, v0
.LBB285_736:                            ;   in Loop: Header=BB285_15 Depth=1
	s_or_b32 exec_lo, exec_lo, s22
.LBB285_737:                            ;   in Loop: Header=BB285_15 Depth=1
	s_or_b32 exec_lo, exec_lo, s21
.LBB285_738:                            ;   in Loop: Header=BB285_15 Depth=1
	s_or_b32 exec_lo, exec_lo, s20
	v_lshrrev_b32_e32 v3, 16, v29
	v_cmp_ne_u16_sdwa s5, v3, v4 src0_sel:BYTE_0 src1_sel:DWORD
	s_and_saveexec_b32 s20, s5
	s_cbranch_execz .LBB285_746
; %bb.739:                              ;   in Loop: Header=BB285_15 Depth=1
	v_cmp_ne_u16_sdwa s5, v3, v54 src0_sel:BYTE_0 src1_sel:DWORD
	v_mov_b32_e32 v0, 0x8000
	buffer_store_dword v0, off, s[0:3], s32 offset:480 ; 4-byte Folded Spill
	s_and_saveexec_b32 s21, s5
	s_cbranch_execz .LBB285_745
; %bb.740:                              ;   in Loop: Header=BB285_15 Depth=1
	v_bfe_u32 v6, v29, 16, 7
	v_mov_b32_e32 v0, 0x7c01
	s_mov_b32 s22, exec_lo
	buffer_store_dword v0, off, s[0:3], s32 offset:480 ; 4-byte Folded Spill
	v_cmpx_ne_u32_e32 0x7f, v6
	s_cbranch_execz .LBB285_744
; %bb.741:                              ;   in Loop: Header=BB285_15 Depth=1
	v_and_b32_e32 v0, 7, v3
	v_lshrrev_b32_e32 v1, 3, v6
	s_mov_b32 s23, exec_lo
	v_cmpx_gt_u32_e32 8, v6
; %bb.742:                              ;   in Loop: Header=BB285_15 Depth=1
	v_ffbh_u32_e32 v0, v0
	v_min_u32_e32 v6, 32, v0
	v_subrev_nc_u32_e32 v0, 28, v6
	v_lshlrev_b64 v[0:1], v0, v[3:4]
	v_sub_nc_u32_e32 v1, 29, v6
	v_and_b32_e32 v0, 7, v0
; %bb.743:                              ;   in Loop: Header=BB285_15 Depth=1
	s_or_b32 exec_lo, exec_lo, s23
	v_lshlrev_b32_e32 v3, 8, v3
	v_lshl_add_u32 v1, v1, 10, 0x2000
	v_lshlrev_b32_e32 v0, 7, v0
	v_and_b32_e32 v3, 0x8000, v3
	v_and_b32_e32 v1, 0xfc00, v1
	v_or3_b32 v0, v3, v1, v0
	buffer_store_dword v0, off, s[0:3], s32 offset:480 ; 4-byte Folded Spill
.LBB285_744:                            ;   in Loop: Header=BB285_15 Depth=1
	s_or_b32 exec_lo, exec_lo, s22
.LBB285_745:                            ;   in Loop: Header=BB285_15 Depth=1
	s_or_b32 exec_lo, exec_lo, s21
.LBB285_746:                            ;   in Loop: Header=BB285_15 Depth=1
	s_or_b32 exec_lo, exec_lo, s20
	v_mov_b32_e32 v0, 0
	v_mov_b32_e32 v48, 0
	s_mov_b32 s20, exec_lo
	buffer_store_dword v0, off, s[0:3], s32 offset:484 ; 4-byte Folded Spill
	v_cmpx_lt_u32_e32 0xffffff, v29
	s_cbranch_execz .LBB285_754
; %bb.747:                              ;   in Loop: Header=BB285_15 Depth=1
	v_lshrrev_b32_e32 v3, 24, v29
	v_bfrev_b32_e32 v48, 1
	s_mov_b32 s21, exec_lo
	v_cmpx_ne_u32_e32 0x80, v3
	s_cbranch_execz .LBB285_753
; %bb.748:                              ;   in Loop: Header=BB285_15 Depth=1
	v_and_b32_e32 v6, 0x7f, v3
	v_mov_b32_e32 v48, 0x7c010000
	s_mov_b32 s22, exec_lo
	v_cmpx_ne_u32_e32 0x7f, v6
	s_cbranch_execz .LBB285_752
; %bb.749:                              ;   in Loop: Header=BB285_15 Depth=1
	v_and_b32_e32 v0, 7, v3
	v_lshrrev_b32_e32 v1, 3, v6
	s_mov_b32 s23, exec_lo
	v_cmpx_gt_u32_e32 8, v6
; %bb.750:                              ;   in Loop: Header=BB285_15 Depth=1
	v_ffbh_u32_e32 v0, v0
	v_min_u32_e32 v6, 32, v0
	v_subrev_nc_u32_e32 v0, 28, v6
	v_lshlrev_b64 v[0:1], v0, v[3:4]
	v_sub_nc_u32_e32 v1, 29, v6
	v_and_b32_e32 v0, 7, v0
; %bb.751:                              ;   in Loop: Header=BB285_15 Depth=1
	s_or_b32 exec_lo, exec_lo, s23
	v_lshlrev_b32_e32 v3, 8, v3
	v_lshl_add_u32 v1, v1, 10, 0x2000
	v_lshlrev_b32_e32 v0, 23, v0
	v_and_or_b32 v1, 0x8000, v3, v1
	v_lshl_or_b32 v48, v1, 16, v0
.LBB285_752:                            ;   in Loop: Header=BB285_15 Depth=1
	s_or_b32 exec_lo, exec_lo, s22
.LBB285_753:                            ;   in Loop: Header=BB285_15 Depth=1
	s_or_b32 exec_lo, exec_lo, s21
.LBB285_754:                            ;   in Loop: Header=BB285_15 Depth=1
	s_or_b32 exec_lo, exec_lo, s20
	v_mov_b32_e32 v3, v30
	v_cmp_ne_u16_sdwa s5, v30, v4 src0_sel:BYTE_0 src1_sel:DWORD
	s_and_saveexec_b32 s20, s5
	s_cbranch_execz .LBB285_762
; %bb.755:                              ;   in Loop: Header=BB285_15 Depth=1
	v_cmp_ne_u16_sdwa s5, v30, v54 src0_sel:BYTE_0 src1_sel:DWORD
	v_mov_b32_e32 v0, 0x8000
	buffer_store_dword v0, off, s[0:3], s32 offset:484 ; 4-byte Folded Spill
	s_and_saveexec_b32 s21, s5
	s_cbranch_execz .LBB285_761
; %bb.756:                              ;   in Loop: Header=BB285_15 Depth=1
	v_and_b32_e32 v6, 0x7f, v30
	v_mov_b32_e32 v0, 0x7c01
	s_mov_b32 s22, exec_lo
	buffer_store_dword v0, off, s[0:3], s32 offset:484 ; 4-byte Folded Spill
	v_cmpx_ne_u32_e32 0x7f, v6
	s_cbranch_execz .LBB285_760
; %bb.757:                              ;   in Loop: Header=BB285_15 Depth=1
	v_and_b32_e32 v0, 7, v30
	v_lshrrev_b32_e32 v1, 3, v6
	s_mov_b32 s23, exec_lo
	v_cmpx_gt_u32_e32 8, v6
; %bb.758:                              ;   in Loop: Header=BB285_15 Depth=1
	v_ffbh_u32_e32 v0, v0
	v_min_u32_e32 v6, 32, v0
	v_subrev_nc_u32_e32 v0, 28, v6
	v_lshlrev_b64 v[0:1], v0, v[3:4]
	v_sub_nc_u32_e32 v1, 29, v6
	v_and_b32_e32 v0, 7, v0
; %bb.759:                              ;   in Loop: Header=BB285_15 Depth=1
	s_or_b32 exec_lo, exec_lo, s23
	v_lshlrev_b32_e32 v6, 8, v30
	v_lshl_add_u32 v1, v1, 10, 0x2000
	v_lshlrev_b32_e32 v0, 7, v0
	v_and_b32_e32 v6, 0x8000, v6
	v_and_b32_e32 v1, 0xfc00, v1
	v_or3_b32 v0, v6, v1, v0
	buffer_store_dword v0, off, s[0:3], s32 offset:484 ; 4-byte Folded Spill
.LBB285_760:                            ;   in Loop: Header=BB285_15 Depth=1
	s_or_b32 exec_lo, exec_lo, s22
.LBB285_761:                            ;   in Loop: Header=BB285_15 Depth=1
	s_or_b32 exec_lo, exec_lo, s21
.LBB285_762:                            ;   in Loop: Header=BB285_15 Depth=1
	s_or_b32 exec_lo, exec_lo, s20
	v_lshrrev_b16 v3, 8, v3
	v_mov_b32_e32 v0, 0
	v_mov_b32_e32 v93, 0
	s_mov_b32 s20, exec_lo
	buffer_store_dword v0, off, s[0:3], s32 offset:488 ; 4-byte Folded Spill
	v_cmpx_ne_u16_e32 0, v3
	s_cbranch_execz .LBB285_770
; %bb.763:                              ;   in Loop: Header=BB285_15 Depth=1
	v_bfrev_b32_e32 v93, 1
	s_mov_b32 s21, exec_lo
	v_cmpx_ne_u16_e32 0x80, v3
	s_cbranch_execz .LBB285_769
; %bb.764:                              ;   in Loop: Header=BB285_15 Depth=1
	v_mov_b32_e32 v0, 0x7f
	v_mov_b32_e32 v93, 0x7c010000
	s_mov_b32 s22, exec_lo
	v_and_b32_sdwa v6, v3, v0 dst_sel:DWORD dst_unused:UNUSED_PAD src0_sel:WORD_0 src1_sel:DWORD
	v_cmpx_ne_u32_e32 0x7f, v6
	s_cbranch_execz .LBB285_768
; %bb.765:                              ;   in Loop: Header=BB285_15 Depth=1
	v_mov_b32_e32 v0, 7
	v_lshrrev_b32_e32 v1, 3, v6
	s_mov_b32 s23, exec_lo
	v_and_b32_sdwa v0, v3, v0 dst_sel:DWORD dst_unused:UNUSED_PAD src0_sel:WORD_0 src1_sel:DWORD
	v_cmpx_gt_u32_e32 8, v6
; %bb.766:                              ;   in Loop: Header=BB285_15 Depth=1
	v_ffbh_u32_e32 v0, v0
	v_min_u32_e32 v6, 32, v0
	v_subrev_nc_u32_e32 v0, 28, v6
	v_lshlrev_b64 v[0:1], v0, v[3:4]
	v_sub_nc_u32_e32 v1, 29, v6
	v_and_b32_e32 v0, 7, v0
; %bb.767:                              ;   in Loop: Header=BB285_15 Depth=1
	s_or_b32 exec_lo, exec_lo, s23
	v_mov_b32_e32 v6, 8
	v_lshl_add_u32 v1, v1, 10, 0x2000
	v_lshlrev_b32_e32 v0, 23, v0
	v_lshlrev_b32_sdwa v3, v6, v3 dst_sel:DWORD dst_unused:UNUSED_PAD src0_sel:DWORD src1_sel:WORD_0
	v_and_or_b32 v1, 0x8000, v3, v1
	v_lshl_or_b32 v93, v1, 16, v0
.LBB285_768:                            ;   in Loop: Header=BB285_15 Depth=1
	s_or_b32 exec_lo, exec_lo, s22
.LBB285_769:                            ;   in Loop: Header=BB285_15 Depth=1
	s_or_b32 exec_lo, exec_lo, s21
.LBB285_770:                            ;   in Loop: Header=BB285_15 Depth=1
	s_or_b32 exec_lo, exec_lo, s20
	v_lshrrev_b32_e32 v3, 16, v30
	v_cmp_ne_u16_sdwa s5, v3, v4 src0_sel:BYTE_0 src1_sel:DWORD
	s_and_saveexec_b32 s20, s5
	s_cbranch_execz .LBB285_778
; %bb.771:                              ;   in Loop: Header=BB285_15 Depth=1
	v_cmp_ne_u16_sdwa s5, v3, v54 src0_sel:BYTE_0 src1_sel:DWORD
	v_mov_b32_e32 v0, 0x8000
	buffer_store_dword v0, off, s[0:3], s32 offset:488 ; 4-byte Folded Spill
	s_and_saveexec_b32 s21, s5
	s_cbranch_execz .LBB285_777
; %bb.772:                              ;   in Loop: Header=BB285_15 Depth=1
	v_bfe_u32 v6, v30, 16, 7
	v_mov_b32_e32 v0, 0x7c01
	s_mov_b32 s22, exec_lo
	buffer_store_dword v0, off, s[0:3], s32 offset:488 ; 4-byte Folded Spill
	v_cmpx_ne_u32_e32 0x7f, v6
	s_cbranch_execz .LBB285_776
; %bb.773:                              ;   in Loop: Header=BB285_15 Depth=1
	v_and_b32_e32 v0, 7, v3
	v_lshrrev_b32_e32 v1, 3, v6
	s_mov_b32 s23, exec_lo
	v_cmpx_gt_u32_e32 8, v6
; %bb.774:                              ;   in Loop: Header=BB285_15 Depth=1
	v_ffbh_u32_e32 v0, v0
	v_min_u32_e32 v6, 32, v0
	v_subrev_nc_u32_e32 v0, 28, v6
	v_lshlrev_b64 v[0:1], v0, v[3:4]
	v_sub_nc_u32_e32 v1, 29, v6
	v_and_b32_e32 v0, 7, v0
; %bb.775:                              ;   in Loop: Header=BB285_15 Depth=1
	s_or_b32 exec_lo, exec_lo, s23
	v_lshlrev_b32_e32 v3, 8, v3
	v_lshl_add_u32 v1, v1, 10, 0x2000
	v_lshlrev_b32_e32 v0, 7, v0
	v_and_b32_e32 v3, 0x8000, v3
	v_and_b32_e32 v1, 0xfc00, v1
	v_or3_b32 v0, v3, v1, v0
	buffer_store_dword v0, off, s[0:3], s32 offset:488 ; 4-byte Folded Spill
.LBB285_776:                            ;   in Loop: Header=BB285_15 Depth=1
	s_or_b32 exec_lo, exec_lo, s22
.LBB285_777:                            ;   in Loop: Header=BB285_15 Depth=1
	s_or_b32 exec_lo, exec_lo, s21
.LBB285_778:                            ;   in Loop: Header=BB285_15 Depth=1
	s_or_b32 exec_lo, exec_lo, s20
	v_mov_b32_e32 v0, 0
	s_mov_b32 s20, exec_lo
	buffer_store_dword v0, off, s[0:3], s32 offset:492 ; 4-byte Folded Spill
	v_mov_b32_e32 v0, 0
	v_cmpx_lt_u64_e64 s[12:13], v[29:30]
	s_cbranch_execz .LBB285_786
; %bb.779:                              ;   in Loop: Header=BB285_15 Depth=1
	v_lshrrev_b32_e32 v3, 24, v30
	v_bfrev_b32_e32 v0, 1
	s_mov_b32 s21, exec_lo
	v_cmpx_ne_u32_e32 0x80, v3
	s_cbranch_execz .LBB285_785
; %bb.780:                              ;   in Loop: Header=BB285_15 Depth=1
	v_and_b32_e32 v6, 0x7f, v3
	v_mov_b32_e32 v0, 0x7c010000
	s_mov_b32 s22, exec_lo
	v_cmpx_ne_u32_e32 0x7f, v6
	s_cbranch_execz .LBB285_784
; %bb.781:                              ;   in Loop: Header=BB285_15 Depth=1
	v_and_b32_e32 v0, 7, v3
	v_lshrrev_b32_e32 v1, 3, v6
	s_mov_b32 s23, exec_lo
	v_cmpx_gt_u32_e32 8, v6
; %bb.782:                              ;   in Loop: Header=BB285_15 Depth=1
	v_ffbh_u32_e32 v0, v0
	v_min_u32_e32 v6, 32, v0
	v_subrev_nc_u32_e32 v0, 28, v6
	v_lshlrev_b64 v[0:1], v0, v[3:4]
	v_sub_nc_u32_e32 v1, 29, v6
	v_and_b32_e32 v0, 7, v0
; %bb.783:                              ;   in Loop: Header=BB285_15 Depth=1
	s_or_b32 exec_lo, exec_lo, s23
	v_lshlrev_b32_e32 v3, 8, v3
	v_lshl_add_u32 v1, v1, 10, 0x2000
	v_lshlrev_b32_e32 v0, 23, v0
	v_and_or_b32 v1, 0x8000, v3, v1
	v_lshl_or_b32 v0, v1, 16, v0
.LBB285_784:                            ;   in Loop: Header=BB285_15 Depth=1
	s_or_b32 exec_lo, exec_lo, s22
.LBB285_785:                            ;   in Loop: Header=BB285_15 Depth=1
	s_or_b32 exec_lo, exec_lo, s21
.LBB285_786:                            ;   in Loop: Header=BB285_15 Depth=1
	s_or_b32 exec_lo, exec_lo, s20
	flat_load_dwordx2 v[29:30], v[27:28] offset:1024
	s_waitcnt vmcnt(0) lgkmcnt(0)
	v_cmp_ne_u16_sdwa s5, v29, v4 src0_sel:BYTE_0 src1_sel:DWORD
	s_and_saveexec_b32 s20, s5
	s_cbranch_execz .LBB285_794
; %bb.787:                              ;   in Loop: Header=BB285_15 Depth=1
	v_cmp_ne_u16_sdwa s5, v29, v54 src0_sel:BYTE_0 src1_sel:DWORD
	v_mov_b32_e32 v1, 0x8000
	buffer_store_dword v1, off, s[0:3], s32 offset:492 ; 4-byte Folded Spill
	s_and_saveexec_b32 s21, s5
	s_cbranch_execz .LBB285_793
; %bb.788:                              ;   in Loop: Header=BB285_15 Depth=1
	v_and_b32_e32 v6, 0x7f, v29
	v_mov_b32_e32 v1, 0x7c01
	s_mov_b32 s22, exec_lo
	buffer_store_dword v1, off, s[0:3], s32 offset:492 ; 4-byte Folded Spill
	v_cmpx_ne_u32_e32 0x7f, v6
	s_cbranch_execz .LBB285_792
; %bb.789:                              ;   in Loop: Header=BB285_15 Depth=1
	v_and_b32_e32 v1, 7, v29
	v_lshrrev_b32_e32 v3, 3, v6
	s_mov_b32 s23, exec_lo
	v_cmpx_gt_u32_e32 8, v6
; %bb.790:                              ;   in Loop: Header=BB285_15 Depth=1
	v_ffbh_u32_e32 v1, v1
	v_min_u32_e32 v1, 32, v1
	v_subrev_nc_u32_e32 v3, 28, v1
	v_lshlrev_b64 v[8:9], v3, v[29:30]
	v_sub_nc_u32_e32 v3, 29, v1
	v_and_b32_e32 v1, 7, v8
; %bb.791:                              ;   in Loop: Header=BB285_15 Depth=1
	s_or_b32 exec_lo, exec_lo, s23
	v_lshlrev_b32_e32 v6, 8, v29
	v_lshl_add_u32 v3, v3, 10, 0x2000
	v_lshlrev_b32_e32 v1, 7, v1
	v_and_b32_e32 v6, 0x8000, v6
	v_and_b32_e32 v3, 0xfc00, v3
	v_or3_b32 v1, v6, v3, v1
	buffer_store_dword v1, off, s[0:3], s32 offset:492 ; 4-byte Folded Spill
.LBB285_792:                            ;   in Loop: Header=BB285_15 Depth=1
	s_or_b32 exec_lo, exec_lo, s22
.LBB285_793:                            ;   in Loop: Header=BB285_15 Depth=1
	s_or_b32 exec_lo, exec_lo, s21
.LBB285_794:                            ;   in Loop: Header=BB285_15 Depth=1
	s_or_b32 exec_lo, exec_lo, s20
	v_lshrrev_b16 v3, 8, v29
	v_mov_b32_e32 v26, 0
	v_mov_b32_e32 v80, 0
	s_mov_b32 s20, exec_lo
	v_cmpx_ne_u16_e32 0, v3
	s_cbranch_execz .LBB285_802
; %bb.795:                              ;   in Loop: Header=BB285_15 Depth=1
	v_bfrev_b32_e32 v80, 1
	s_mov_b32 s21, exec_lo
	v_cmpx_ne_u16_e32 0x80, v3
	s_cbranch_execz .LBB285_801
; %bb.796:                              ;   in Loop: Header=BB285_15 Depth=1
	v_mov_b32_e32 v1, 0x7f
	v_mov_b32_e32 v80, 0x7c010000
	s_mov_b32 s22, exec_lo
	v_and_b32_sdwa v8, v3, v1 dst_sel:DWORD dst_unused:UNUSED_PAD src0_sel:WORD_0 src1_sel:DWORD
	v_cmpx_ne_u32_e32 0x7f, v8
	s_cbranch_execz .LBB285_800
; %bb.797:                              ;   in Loop: Header=BB285_15 Depth=1
	v_mov_b32_e32 v1, 7
	v_lshrrev_b32_e32 v6, 3, v8
	s_mov_b32 s23, exec_lo
	v_and_b32_sdwa v1, v3, v1 dst_sel:DWORD dst_unused:UNUSED_PAD src0_sel:WORD_0 src1_sel:DWORD
	v_cmpx_gt_u32_e32 8, v8
; %bb.798:                              ;   in Loop: Header=BB285_15 Depth=1
	v_ffbh_u32_e32 v1, v1
	v_min_u32_e32 v1, 32, v1
	v_subrev_nc_u32_e32 v6, 28, v1
	v_lshlrev_b64 v[8:9], v6, v[3:4]
	v_sub_nc_u32_e32 v6, 29, v1
	v_and_b32_e32 v1, 7, v8
; %bb.799:                              ;   in Loop: Header=BB285_15 Depth=1
	s_or_b32 exec_lo, exec_lo, s23
	v_mov_b32_e32 v8, 8
	v_lshl_add_u32 v6, v6, 10, 0x2000
	v_lshlrev_b32_e32 v1, 23, v1
	v_lshlrev_b32_sdwa v3, v8, v3 dst_sel:DWORD dst_unused:UNUSED_PAD src0_sel:DWORD src1_sel:WORD_0
	v_and_or_b32 v3, 0x8000, v3, v6
	v_lshl_or_b32 v80, v3, 16, v1
.LBB285_800:                            ;   in Loop: Header=BB285_15 Depth=1
	s_or_b32 exec_lo, exec_lo, s22
.LBB285_801:                            ;   in Loop: Header=BB285_15 Depth=1
	s_or_b32 exec_lo, exec_lo, s21
.LBB285_802:                            ;   in Loop: Header=BB285_15 Depth=1
	s_or_b32 exec_lo, exec_lo, s20
	v_lshrrev_b32_e32 v3, 16, v29
	v_cmp_ne_u16_sdwa s5, v3, v4 src0_sel:BYTE_0 src1_sel:DWORD
	s_and_saveexec_b32 s20, s5
	s_cbranch_execz .LBB285_810
; %bb.803:                              ;   in Loop: Header=BB285_15 Depth=1
	v_cmp_ne_u16_sdwa s5, v3, v54 src0_sel:BYTE_0 src1_sel:DWORD
	v_mov_b32_e32 v26, 0x8000
	s_and_saveexec_b32 s21, s5
	s_cbranch_execz .LBB285_809
; %bb.804:                              ;   in Loop: Header=BB285_15 Depth=1
	v_bfe_u32 v8, v29, 16, 7
	v_mov_b32_e32 v26, 0x7c01
	s_mov_b32 s22, exec_lo
	v_cmpx_ne_u32_e32 0x7f, v8
	s_cbranch_execz .LBB285_808
; %bb.805:                              ;   in Loop: Header=BB285_15 Depth=1
	v_and_b32_e32 v1, 7, v3
	v_lshrrev_b32_e32 v6, 3, v8
	s_mov_b32 s23, exec_lo
	v_cmpx_gt_u32_e32 8, v8
; %bb.806:                              ;   in Loop: Header=BB285_15 Depth=1
	v_ffbh_u32_e32 v1, v1
	v_min_u32_e32 v1, 32, v1
	v_subrev_nc_u32_e32 v6, 28, v1
	v_lshlrev_b64 v[8:9], v6, v[3:4]
	v_sub_nc_u32_e32 v6, 29, v1
	v_and_b32_e32 v1, 7, v8
; %bb.807:                              ;   in Loop: Header=BB285_15 Depth=1
	s_or_b32 exec_lo, exec_lo, s23
	v_lshlrev_b32_e32 v3, 8, v3
	v_lshl_add_u32 v6, v6, 10, 0x2000
	v_lshlrev_b32_e32 v1, 7, v1
	v_and_b32_e32 v3, 0x8000, v3
	v_and_b32_e32 v6, 0xfc00, v6
	v_or3_b32 v26, v3, v6, v1
.LBB285_808:                            ;   in Loop: Header=BB285_15 Depth=1
	s_or_b32 exec_lo, exec_lo, s22
.LBB285_809:                            ;   in Loop: Header=BB285_15 Depth=1
	s_or_b32 exec_lo, exec_lo, s21
.LBB285_810:                            ;   in Loop: Header=BB285_15 Depth=1
	s_or_b32 exec_lo, exec_lo, s20
	v_mov_b32_e32 v115, 0
	v_mov_b32_e32 v14, 0
	s_mov_b32 s20, exec_lo
	v_cmpx_lt_u32_e32 0xffffff, v29
	s_cbranch_execz .LBB285_818
; %bb.811:                              ;   in Loop: Header=BB285_15 Depth=1
	v_lshrrev_b32_e32 v3, 24, v29
	v_bfrev_b32_e32 v14, 1
	s_mov_b32 s21, exec_lo
	v_cmpx_ne_u32_e32 0x80, v3
	s_cbranch_execz .LBB285_817
; %bb.812:                              ;   in Loop: Header=BB285_15 Depth=1
	v_and_b32_e32 v8, 0x7f, v3
	v_mov_b32_e32 v14, 0x7c010000
	s_mov_b32 s22, exec_lo
	v_cmpx_ne_u32_e32 0x7f, v8
	s_cbranch_execz .LBB285_816
; %bb.813:                              ;   in Loop: Header=BB285_15 Depth=1
	v_and_b32_e32 v1, 7, v3
	v_lshrrev_b32_e32 v6, 3, v8
	s_mov_b32 s23, exec_lo
	v_cmpx_gt_u32_e32 8, v8
; %bb.814:                              ;   in Loop: Header=BB285_15 Depth=1
	v_ffbh_u32_e32 v1, v1
	v_min_u32_e32 v1, 32, v1
	v_subrev_nc_u32_e32 v6, 28, v1
	v_lshlrev_b64 v[8:9], v6, v[3:4]
	v_sub_nc_u32_e32 v6, 29, v1
	v_and_b32_e32 v1, 7, v8
; %bb.815:                              ;   in Loop: Header=BB285_15 Depth=1
	s_or_b32 exec_lo, exec_lo, s23
	v_lshlrev_b32_e32 v3, 8, v3
	v_lshl_add_u32 v6, v6, 10, 0x2000
	v_lshlrev_b32_e32 v1, 23, v1
	v_and_or_b32 v3, 0x8000, v3, v6
	v_lshl_or_b32 v14, v3, 16, v1
.LBB285_816:                            ;   in Loop: Header=BB285_15 Depth=1
	s_or_b32 exec_lo, exec_lo, s22
.LBB285_817:                            ;   in Loop: Header=BB285_15 Depth=1
	s_or_b32 exec_lo, exec_lo, s21
.LBB285_818:                            ;   in Loop: Header=BB285_15 Depth=1
	s_or_b32 exec_lo, exec_lo, s20
	v_mov_b32_e32 v3, v30
	v_cmp_ne_u16_sdwa s5, v30, v4 src0_sel:BYTE_0 src1_sel:DWORD
	s_and_saveexec_b32 s20, s5
	s_cbranch_execz .LBB285_826
; %bb.819:                              ;   in Loop: Header=BB285_15 Depth=1
	v_cmp_ne_u16_sdwa s5, v30, v54 src0_sel:BYTE_0 src1_sel:DWORD
	v_mov_b32_e32 v115, 0x8000
	s_and_saveexec_b32 s21, s5
	s_cbranch_execz .LBB285_825
; %bb.820:                              ;   in Loop: Header=BB285_15 Depth=1
	v_and_b32_e32 v8, 0x7f, v30
	v_mov_b32_e32 v115, 0x7c01
	s_mov_b32 s22, exec_lo
	v_cmpx_ne_u32_e32 0x7f, v8
	s_cbranch_execz .LBB285_824
; %bb.821:                              ;   in Loop: Header=BB285_15 Depth=1
	v_and_b32_e32 v1, 7, v30
	v_lshrrev_b32_e32 v6, 3, v8
	s_mov_b32 s23, exec_lo
	v_cmpx_gt_u32_e32 8, v8
; %bb.822:                              ;   in Loop: Header=BB285_15 Depth=1
	v_ffbh_u32_e32 v1, v1
	v_min_u32_e32 v1, 32, v1
	v_subrev_nc_u32_e32 v6, 28, v1
	v_lshlrev_b64 v[8:9], v6, v[3:4]
	v_sub_nc_u32_e32 v6, 29, v1
	v_and_b32_e32 v1, 7, v8
; %bb.823:                              ;   in Loop: Header=BB285_15 Depth=1
	s_or_b32 exec_lo, exec_lo, s23
	v_lshlrev_b32_e32 v8, 8, v30
	v_lshl_add_u32 v6, v6, 10, 0x2000
	v_lshlrev_b32_e32 v1, 7, v1
	v_and_b32_e32 v8, 0x8000, v8
	v_and_b32_e32 v6, 0xfc00, v6
	v_or3_b32 v115, v8, v6, v1
.LBB285_824:                            ;   in Loop: Header=BB285_15 Depth=1
	s_or_b32 exec_lo, exec_lo, s22
.LBB285_825:                            ;   in Loop: Header=BB285_15 Depth=1
	s_or_b32 exec_lo, exec_lo, s21
.LBB285_826:                            ;   in Loop: Header=BB285_15 Depth=1
	s_or_b32 exec_lo, exec_lo, s20
	v_lshrrev_b16 v3, 8, v3
	v_mov_b32_e32 v81, 0
	v_mov_b32_e32 v56, 0
	s_mov_b32 s20, exec_lo
	v_cmpx_ne_u16_e32 0, v3
	s_cbranch_execz .LBB285_834
; %bb.827:                              ;   in Loop: Header=BB285_15 Depth=1
	v_bfrev_b32_e32 v56, 1
	s_mov_b32 s21, exec_lo
	v_cmpx_ne_u16_e32 0x80, v3
	s_cbranch_execz .LBB285_833
; %bb.828:                              ;   in Loop: Header=BB285_15 Depth=1
	v_mov_b32_e32 v1, 0x7f
	v_mov_b32_e32 v56, 0x7c010000
	s_mov_b32 s22, exec_lo
	v_and_b32_sdwa v8, v3, v1 dst_sel:DWORD dst_unused:UNUSED_PAD src0_sel:WORD_0 src1_sel:DWORD
	v_cmpx_ne_u32_e32 0x7f, v8
	s_cbranch_execz .LBB285_832
; %bb.829:                              ;   in Loop: Header=BB285_15 Depth=1
	v_mov_b32_e32 v1, 7
	v_lshrrev_b32_e32 v6, 3, v8
	s_mov_b32 s23, exec_lo
	v_and_b32_sdwa v1, v3, v1 dst_sel:DWORD dst_unused:UNUSED_PAD src0_sel:WORD_0 src1_sel:DWORD
	v_cmpx_gt_u32_e32 8, v8
; %bb.830:                              ;   in Loop: Header=BB285_15 Depth=1
	v_ffbh_u32_e32 v1, v1
	v_min_u32_e32 v1, 32, v1
	v_subrev_nc_u32_e32 v6, 28, v1
	v_lshlrev_b64 v[8:9], v6, v[3:4]
	v_sub_nc_u32_e32 v6, 29, v1
	v_and_b32_e32 v1, 7, v8
; %bb.831:                              ;   in Loop: Header=BB285_15 Depth=1
	s_or_b32 exec_lo, exec_lo, s23
	v_mov_b32_e32 v8, 8
	v_lshl_add_u32 v6, v6, 10, 0x2000
	v_lshlrev_b32_e32 v1, 23, v1
	v_lshlrev_b32_sdwa v3, v8, v3 dst_sel:DWORD dst_unused:UNUSED_PAD src0_sel:DWORD src1_sel:WORD_0
	v_and_or_b32 v3, 0x8000, v3, v6
	v_lshl_or_b32 v56, v3, 16, v1
.LBB285_832:                            ;   in Loop: Header=BB285_15 Depth=1
	s_or_b32 exec_lo, exec_lo, s22
.LBB285_833:                            ;   in Loop: Header=BB285_15 Depth=1
	s_or_b32 exec_lo, exec_lo, s21
.LBB285_834:                            ;   in Loop: Header=BB285_15 Depth=1
	s_or_b32 exec_lo, exec_lo, s20
	v_lshrrev_b32_e32 v3, 16, v30
	v_cmp_ne_u16_sdwa s5, v3, v4 src0_sel:BYTE_0 src1_sel:DWORD
	s_and_saveexec_b32 s20, s5
	s_cbranch_execz .LBB285_842
; %bb.835:                              ;   in Loop: Header=BB285_15 Depth=1
	v_cmp_ne_u16_sdwa s5, v3, v54 src0_sel:BYTE_0 src1_sel:DWORD
	v_mov_b32_e32 v81, 0x8000
	s_and_saveexec_b32 s21, s5
	s_cbranch_execz .LBB285_841
; %bb.836:                              ;   in Loop: Header=BB285_15 Depth=1
	v_bfe_u32 v8, v30, 16, 7
	v_mov_b32_e32 v81, 0x7c01
	s_mov_b32 s22, exec_lo
	v_cmpx_ne_u32_e32 0x7f, v8
	s_cbranch_execz .LBB285_840
; %bb.837:                              ;   in Loop: Header=BB285_15 Depth=1
	v_and_b32_e32 v1, 7, v3
	v_lshrrev_b32_e32 v6, 3, v8
	s_mov_b32 s23, exec_lo
	v_cmpx_gt_u32_e32 8, v8
; %bb.838:                              ;   in Loop: Header=BB285_15 Depth=1
	v_ffbh_u32_e32 v1, v1
	v_min_u32_e32 v1, 32, v1
	v_subrev_nc_u32_e32 v6, 28, v1
	v_lshlrev_b64 v[8:9], v6, v[3:4]
	v_sub_nc_u32_e32 v6, 29, v1
	v_and_b32_e32 v1, 7, v8
; %bb.839:                              ;   in Loop: Header=BB285_15 Depth=1
	s_or_b32 exec_lo, exec_lo, s23
	v_lshlrev_b32_e32 v3, 8, v3
	v_lshl_add_u32 v6, v6, 10, 0x2000
	v_lshlrev_b32_e32 v1, 7, v1
	v_and_b32_e32 v3, 0x8000, v3
	v_and_b32_e32 v6, 0xfc00, v6
	v_or3_b32 v81, v3, v6, v1
.LBB285_840:                            ;   in Loop: Header=BB285_15 Depth=1
	s_or_b32 exec_lo, exec_lo, s22
.LBB285_841:                            ;   in Loop: Header=BB285_15 Depth=1
	s_or_b32 exec_lo, exec_lo, s21
.LBB285_842:                            ;   in Loop: Header=BB285_15 Depth=1
	s_or_b32 exec_lo, exec_lo, s20
	v_mov_b32_e32 v18, 0
	v_mov_b32_e32 v19, 0
	s_mov_b32 s20, exec_lo
	v_cmpx_lt_u64_e64 s[12:13], v[29:30]
	s_cbranch_execz .LBB285_850
; %bb.843:                              ;   in Loop: Header=BB285_15 Depth=1
	v_lshrrev_b32_e32 v3, 24, v30
	v_bfrev_b32_e32 v19, 1
	s_mov_b32 s21, exec_lo
	v_cmpx_ne_u32_e32 0x80, v3
	s_cbranch_execz .LBB285_849
; %bb.844:                              ;   in Loop: Header=BB285_15 Depth=1
	v_and_b32_e32 v8, 0x7f, v3
	v_mov_b32_e32 v19, 0x7c010000
	s_mov_b32 s22, exec_lo
	v_cmpx_ne_u32_e32 0x7f, v8
	s_cbranch_execz .LBB285_848
; %bb.845:                              ;   in Loop: Header=BB285_15 Depth=1
	v_and_b32_e32 v1, 7, v3
	v_lshrrev_b32_e32 v6, 3, v8
	s_mov_b32 s23, exec_lo
	v_cmpx_gt_u32_e32 8, v8
; %bb.846:                              ;   in Loop: Header=BB285_15 Depth=1
	v_ffbh_u32_e32 v1, v1
	v_min_u32_e32 v1, 32, v1
	v_subrev_nc_u32_e32 v6, 28, v1
	v_lshlrev_b64 v[8:9], v6, v[3:4]
	v_sub_nc_u32_e32 v6, 29, v1
	v_and_b32_e32 v1, 7, v8
; %bb.847:                              ;   in Loop: Header=BB285_15 Depth=1
	s_or_b32 exec_lo, exec_lo, s23
	v_lshlrev_b32_e32 v3, 8, v3
	v_lshl_add_u32 v6, v6, 10, 0x2000
	v_lshlrev_b32_e32 v1, 23, v1
	v_and_or_b32 v3, 0x8000, v3, v6
	v_lshl_or_b32 v19, v3, 16, v1
.LBB285_848:                            ;   in Loop: Header=BB285_15 Depth=1
	s_or_b32 exec_lo, exec_lo, s22
.LBB285_849:                            ;   in Loop: Header=BB285_15 Depth=1
	s_or_b32 exec_lo, exec_lo, s21
.LBB285_850:                            ;   in Loop: Header=BB285_15 Depth=1
	s_or_b32 exec_lo, exec_lo, s20
	flat_load_dwordx2 v[29:30], v[27:28] offset:1032
	s_waitcnt vmcnt(0) lgkmcnt(0)
	v_cmp_ne_u16_sdwa s5, v29, v4 src0_sel:BYTE_0 src1_sel:DWORD
	s_and_saveexec_b32 s20, s5
	s_cbranch_execz .LBB285_858
; %bb.851:                              ;   in Loop: Header=BB285_15 Depth=1
	v_cmp_ne_u16_sdwa s5, v29, v54 src0_sel:BYTE_0 src1_sel:DWORD
	v_mov_b32_e32 v18, 0x8000
	s_and_saveexec_b32 s21, s5
	s_cbranch_execz .LBB285_857
; %bb.852:                              ;   in Loop: Header=BB285_15 Depth=1
	v_and_b32_e32 v6, 0x7f, v29
	v_mov_b32_e32 v18, 0x7c01
	s_mov_b32 s22, exec_lo
	v_cmpx_ne_u32_e32 0x7f, v6
	s_cbranch_execz .LBB285_856
; %bb.853:                              ;   in Loop: Header=BB285_15 Depth=1
	v_and_b32_e32 v1, 7, v29
	v_lshrrev_b32_e32 v3, 3, v6
	s_mov_b32 s23, exec_lo
	v_cmpx_gt_u32_e32 8, v6
; %bb.854:                              ;   in Loop: Header=BB285_15 Depth=1
	v_ffbh_u32_e32 v1, v1
	v_min_u32_e32 v1, 32, v1
	v_subrev_nc_u32_e32 v3, 28, v1
	v_lshlrev_b64 v[8:9], v3, v[29:30]
	v_sub_nc_u32_e32 v3, 29, v1
	v_and_b32_e32 v1, 7, v8
; %bb.855:                              ;   in Loop: Header=BB285_15 Depth=1
	s_or_b32 exec_lo, exec_lo, s23
	v_lshlrev_b32_e32 v6, 8, v29
	v_lshl_add_u32 v3, v3, 10, 0x2000
	v_lshlrev_b32_e32 v1, 7, v1
	v_and_b32_e32 v6, 0x8000, v6
	v_and_b32_e32 v3, 0xfc00, v3
	v_or3_b32 v18, v6, v3, v1
.LBB285_856:                            ;   in Loop: Header=BB285_15 Depth=1
	s_or_b32 exec_lo, exec_lo, s22
.LBB285_857:                            ;   in Loop: Header=BB285_15 Depth=1
	s_or_b32 exec_lo, exec_lo, s21
.LBB285_858:                            ;   in Loop: Header=BB285_15 Depth=1
	s_or_b32 exec_lo, exec_lo, s20
	v_lshrrev_b16 v3, 8, v29
	v_mov_b32_e32 v83, 0
	v_mov_b32_e32 v96, 0
	s_mov_b32 s20, exec_lo
	v_cmpx_ne_u16_e32 0, v3
	s_cbranch_execz .LBB285_866
; %bb.859:                              ;   in Loop: Header=BB285_15 Depth=1
	v_bfrev_b32_e32 v96, 1
	s_mov_b32 s21, exec_lo
	v_cmpx_ne_u16_e32 0x80, v3
	s_cbranch_execz .LBB285_865
; %bb.860:                              ;   in Loop: Header=BB285_15 Depth=1
	v_mov_b32_e32 v1, 0x7f
	v_mov_b32_e32 v96, 0x7c010000
	s_mov_b32 s22, exec_lo
	v_and_b32_sdwa v8, v3, v1 dst_sel:DWORD dst_unused:UNUSED_PAD src0_sel:WORD_0 src1_sel:DWORD
	v_cmpx_ne_u32_e32 0x7f, v8
	s_cbranch_execz .LBB285_864
; %bb.861:                              ;   in Loop: Header=BB285_15 Depth=1
	v_mov_b32_e32 v1, 7
	v_lshrrev_b32_e32 v6, 3, v8
	s_mov_b32 s23, exec_lo
	v_and_b32_sdwa v1, v3, v1 dst_sel:DWORD dst_unused:UNUSED_PAD src0_sel:WORD_0 src1_sel:DWORD
	v_cmpx_gt_u32_e32 8, v8
; %bb.862:                              ;   in Loop: Header=BB285_15 Depth=1
	v_ffbh_u32_e32 v1, v1
	v_min_u32_e32 v1, 32, v1
	v_subrev_nc_u32_e32 v6, 28, v1
	v_lshlrev_b64 v[8:9], v6, v[3:4]
	v_sub_nc_u32_e32 v6, 29, v1
	v_and_b32_e32 v1, 7, v8
; %bb.863:                              ;   in Loop: Header=BB285_15 Depth=1
	s_or_b32 exec_lo, exec_lo, s23
	v_mov_b32_e32 v8, 8
	v_lshl_add_u32 v6, v6, 10, 0x2000
	v_lshlrev_b32_e32 v1, 23, v1
	v_lshlrev_b32_sdwa v3, v8, v3 dst_sel:DWORD dst_unused:UNUSED_PAD src0_sel:DWORD src1_sel:WORD_0
	v_and_or_b32 v3, 0x8000, v3, v6
	v_lshl_or_b32 v96, v3, 16, v1
.LBB285_864:                            ;   in Loop: Header=BB285_15 Depth=1
	s_or_b32 exec_lo, exec_lo, s22
.LBB285_865:                            ;   in Loop: Header=BB285_15 Depth=1
	s_or_b32 exec_lo, exec_lo, s21
.LBB285_866:                            ;   in Loop: Header=BB285_15 Depth=1
	s_or_b32 exec_lo, exec_lo, s20
	v_lshrrev_b32_e32 v3, 16, v29
	v_cmp_ne_u16_sdwa s5, v3, v4 src0_sel:BYTE_0 src1_sel:DWORD
	s_and_saveexec_b32 s20, s5
	s_cbranch_execz .LBB285_874
; %bb.867:                              ;   in Loop: Header=BB285_15 Depth=1
	v_cmp_ne_u16_sdwa s5, v3, v54 src0_sel:BYTE_0 src1_sel:DWORD
	v_mov_b32_e32 v83, 0x8000
	s_and_saveexec_b32 s21, s5
	s_cbranch_execz .LBB285_873
; %bb.868:                              ;   in Loop: Header=BB285_15 Depth=1
	v_bfe_u32 v8, v29, 16, 7
	v_mov_b32_e32 v83, 0x7c01
	s_mov_b32 s22, exec_lo
	v_cmpx_ne_u32_e32 0x7f, v8
	s_cbranch_execz .LBB285_872
; %bb.869:                              ;   in Loop: Header=BB285_15 Depth=1
	v_and_b32_e32 v1, 7, v3
	v_lshrrev_b32_e32 v6, 3, v8
	s_mov_b32 s23, exec_lo
	v_cmpx_gt_u32_e32 8, v8
; %bb.870:                              ;   in Loop: Header=BB285_15 Depth=1
	v_ffbh_u32_e32 v1, v1
	v_min_u32_e32 v1, 32, v1
	v_subrev_nc_u32_e32 v6, 28, v1
	v_lshlrev_b64 v[8:9], v6, v[3:4]
	v_sub_nc_u32_e32 v6, 29, v1
	v_and_b32_e32 v1, 7, v8
; %bb.871:                              ;   in Loop: Header=BB285_15 Depth=1
	s_or_b32 exec_lo, exec_lo, s23
	v_lshlrev_b32_e32 v3, 8, v3
	v_lshl_add_u32 v6, v6, 10, 0x2000
	v_lshlrev_b32_e32 v1, 7, v1
	v_and_b32_e32 v3, 0x8000, v3
	v_and_b32_e32 v6, 0xfc00, v6
	v_or3_b32 v83, v3, v6, v1
.LBB285_872:                            ;   in Loop: Header=BB285_15 Depth=1
	s_or_b32 exec_lo, exec_lo, s22
.LBB285_873:                            ;   in Loop: Header=BB285_15 Depth=1
	s_or_b32 exec_lo, exec_lo, s21
.LBB285_874:                            ;   in Loop: Header=BB285_15 Depth=1
	s_or_b32 exec_lo, exec_lo, s20
	v_mov_b32_e32 v86, 0
	v_mov_b32_e32 v102, 0
	s_mov_b32 s20, exec_lo
	v_cmpx_lt_u32_e32 0xffffff, v29
	s_cbranch_execz .LBB285_882
; %bb.875:                              ;   in Loop: Header=BB285_15 Depth=1
	v_lshrrev_b32_e32 v3, 24, v29
	v_bfrev_b32_e32 v102, 1
	s_mov_b32 s21, exec_lo
	v_cmpx_ne_u32_e32 0x80, v3
	s_cbranch_execz .LBB285_881
; %bb.876:                              ;   in Loop: Header=BB285_15 Depth=1
	v_and_b32_e32 v8, 0x7f, v3
	v_mov_b32_e32 v102, 0x7c010000
	s_mov_b32 s22, exec_lo
	v_cmpx_ne_u32_e32 0x7f, v8
	s_cbranch_execz .LBB285_880
; %bb.877:                              ;   in Loop: Header=BB285_15 Depth=1
	v_and_b32_e32 v1, 7, v3
	v_lshrrev_b32_e32 v6, 3, v8
	s_mov_b32 s23, exec_lo
	v_cmpx_gt_u32_e32 8, v8
; %bb.878:                              ;   in Loop: Header=BB285_15 Depth=1
	v_ffbh_u32_e32 v1, v1
	v_min_u32_e32 v1, 32, v1
	v_subrev_nc_u32_e32 v6, 28, v1
	v_lshlrev_b64 v[8:9], v6, v[3:4]
	v_sub_nc_u32_e32 v6, 29, v1
	v_and_b32_e32 v1, 7, v8
; %bb.879:                              ;   in Loop: Header=BB285_15 Depth=1
	s_or_b32 exec_lo, exec_lo, s23
	v_lshlrev_b32_e32 v3, 8, v3
	v_lshl_add_u32 v6, v6, 10, 0x2000
	v_lshlrev_b32_e32 v1, 23, v1
	v_and_or_b32 v3, 0x8000, v3, v6
	v_lshl_or_b32 v102, v3, 16, v1
.LBB285_880:                            ;   in Loop: Header=BB285_15 Depth=1
	s_or_b32 exec_lo, exec_lo, s22
.LBB285_881:                            ;   in Loop: Header=BB285_15 Depth=1
	s_or_b32 exec_lo, exec_lo, s21
.LBB285_882:                            ;   in Loop: Header=BB285_15 Depth=1
	s_or_b32 exec_lo, exec_lo, s20
	v_mov_b32_e32 v3, v30
	v_cmp_ne_u16_sdwa s5, v30, v4 src0_sel:BYTE_0 src1_sel:DWORD
	s_and_saveexec_b32 s20, s5
	s_cbranch_execz .LBB285_890
; %bb.883:                              ;   in Loop: Header=BB285_15 Depth=1
	v_cmp_ne_u16_sdwa s5, v30, v54 src0_sel:BYTE_0 src1_sel:DWORD
	v_mov_b32_e32 v86, 0x8000
	s_and_saveexec_b32 s21, s5
	s_cbranch_execz .LBB285_889
; %bb.884:                              ;   in Loop: Header=BB285_15 Depth=1
	v_and_b32_e32 v8, 0x7f, v30
	v_mov_b32_e32 v86, 0x7c01
	s_mov_b32 s22, exec_lo
	v_cmpx_ne_u32_e32 0x7f, v8
	s_cbranch_execz .LBB285_888
; %bb.885:                              ;   in Loop: Header=BB285_15 Depth=1
	v_and_b32_e32 v1, 7, v30
	v_lshrrev_b32_e32 v6, 3, v8
	s_mov_b32 s23, exec_lo
	v_cmpx_gt_u32_e32 8, v8
; %bb.886:                              ;   in Loop: Header=BB285_15 Depth=1
	v_ffbh_u32_e32 v1, v1
	v_min_u32_e32 v1, 32, v1
	v_subrev_nc_u32_e32 v6, 28, v1
	v_lshlrev_b64 v[8:9], v6, v[3:4]
	v_sub_nc_u32_e32 v6, 29, v1
	v_and_b32_e32 v1, 7, v8
; %bb.887:                              ;   in Loop: Header=BB285_15 Depth=1
	s_or_b32 exec_lo, exec_lo, s23
	v_lshlrev_b32_e32 v8, 8, v30
	v_lshl_add_u32 v6, v6, 10, 0x2000
	v_lshlrev_b32_e32 v1, 7, v1
	v_and_b32_e32 v8, 0x8000, v8
	v_and_b32_e32 v6, 0xfc00, v6
	v_or3_b32 v86, v8, v6, v1
.LBB285_888:                            ;   in Loop: Header=BB285_15 Depth=1
	s_or_b32 exec_lo, exec_lo, s22
.LBB285_889:                            ;   in Loop: Header=BB285_15 Depth=1
	s_or_b32 exec_lo, exec_lo, s21
.LBB285_890:                            ;   in Loop: Header=BB285_15 Depth=1
	s_or_b32 exec_lo, exec_lo, s20
	v_lshrrev_b16 v3, 8, v3
	v_mov_b32_e32 v127, 0
	v_mov_b32_e32 v88, 0
	s_mov_b32 s20, exec_lo
	v_cmpx_ne_u16_e32 0, v3
	s_cbranch_execz .LBB285_898
; %bb.891:                              ;   in Loop: Header=BB285_15 Depth=1
	v_bfrev_b32_e32 v88, 1
	s_mov_b32 s21, exec_lo
	v_cmpx_ne_u16_e32 0x80, v3
	s_cbranch_execz .LBB285_897
; %bb.892:                              ;   in Loop: Header=BB285_15 Depth=1
	v_mov_b32_e32 v1, 0x7f
	v_mov_b32_e32 v88, 0x7c010000
	s_mov_b32 s22, exec_lo
	v_and_b32_sdwa v8, v3, v1 dst_sel:DWORD dst_unused:UNUSED_PAD src0_sel:WORD_0 src1_sel:DWORD
	v_cmpx_ne_u32_e32 0x7f, v8
	s_cbranch_execz .LBB285_896
; %bb.893:                              ;   in Loop: Header=BB285_15 Depth=1
	v_mov_b32_e32 v1, 7
	v_lshrrev_b32_e32 v6, 3, v8
	s_mov_b32 s23, exec_lo
	v_and_b32_sdwa v1, v3, v1 dst_sel:DWORD dst_unused:UNUSED_PAD src0_sel:WORD_0 src1_sel:DWORD
	v_cmpx_gt_u32_e32 8, v8
; %bb.894:                              ;   in Loop: Header=BB285_15 Depth=1
	v_ffbh_u32_e32 v1, v1
	v_min_u32_e32 v1, 32, v1
	v_subrev_nc_u32_e32 v6, 28, v1
	v_lshlrev_b64 v[8:9], v6, v[3:4]
	v_sub_nc_u32_e32 v6, 29, v1
	v_and_b32_e32 v1, 7, v8
; %bb.895:                              ;   in Loop: Header=BB285_15 Depth=1
	s_or_b32 exec_lo, exec_lo, s23
	v_mov_b32_e32 v8, 8
	v_lshl_add_u32 v6, v6, 10, 0x2000
	v_lshlrev_b32_e32 v1, 23, v1
	v_lshlrev_b32_sdwa v3, v8, v3 dst_sel:DWORD dst_unused:UNUSED_PAD src0_sel:DWORD src1_sel:WORD_0
	v_and_or_b32 v3, 0x8000, v3, v6
	v_lshl_or_b32 v88, v3, 16, v1
.LBB285_896:                            ;   in Loop: Header=BB285_15 Depth=1
	s_or_b32 exec_lo, exec_lo, s22
.LBB285_897:                            ;   in Loop: Header=BB285_15 Depth=1
	s_or_b32 exec_lo, exec_lo, s21
.LBB285_898:                            ;   in Loop: Header=BB285_15 Depth=1
	s_or_b32 exec_lo, exec_lo, s20
	v_lshrrev_b32_e32 v3, 16, v30
	v_cmp_ne_u16_sdwa s5, v3, v4 src0_sel:BYTE_0 src1_sel:DWORD
	s_and_saveexec_b32 s20, s5
	s_cbranch_execz .LBB285_906
; %bb.899:                              ;   in Loop: Header=BB285_15 Depth=1
	v_cmp_ne_u16_sdwa s5, v3, v54 src0_sel:BYTE_0 src1_sel:DWORD
	v_mov_b32_e32 v127, 0x8000
	s_and_saveexec_b32 s21, s5
	s_cbranch_execz .LBB285_905
; %bb.900:                              ;   in Loop: Header=BB285_15 Depth=1
	v_bfe_u32 v8, v30, 16, 7
	v_mov_b32_e32 v127, 0x7c01
	s_mov_b32 s22, exec_lo
	v_cmpx_ne_u32_e32 0x7f, v8
	s_cbranch_execz .LBB285_904
; %bb.901:                              ;   in Loop: Header=BB285_15 Depth=1
	v_and_b32_e32 v1, 7, v3
	v_lshrrev_b32_e32 v6, 3, v8
	s_mov_b32 s23, exec_lo
	v_cmpx_gt_u32_e32 8, v8
; %bb.902:                              ;   in Loop: Header=BB285_15 Depth=1
	v_ffbh_u32_e32 v1, v1
	v_min_u32_e32 v1, 32, v1
	v_subrev_nc_u32_e32 v6, 28, v1
	v_lshlrev_b64 v[8:9], v6, v[3:4]
	v_sub_nc_u32_e32 v6, 29, v1
	v_and_b32_e32 v1, 7, v8
; %bb.903:                              ;   in Loop: Header=BB285_15 Depth=1
	s_or_b32 exec_lo, exec_lo, s23
	v_lshlrev_b32_e32 v3, 8, v3
	v_lshl_add_u32 v6, v6, 10, 0x2000
	v_lshlrev_b32_e32 v1, 7, v1
	v_and_b32_e32 v3, 0x8000, v3
	v_and_b32_e32 v6, 0xfc00, v6
	v_or3_b32 v127, v3, v6, v1
.LBB285_904:                            ;   in Loop: Header=BB285_15 Depth=1
	s_or_b32 exec_lo, exec_lo, s22
.LBB285_905:                            ;   in Loop: Header=BB285_15 Depth=1
	s_or_b32 exec_lo, exec_lo, s21
.LBB285_906:                            ;   in Loop: Header=BB285_15 Depth=1
	s_or_b32 exec_lo, exec_lo, s20
	v_mov_b32_e32 v67, 0
	v_mov_b32_e32 v118, 0
	s_mov_b32 s20, exec_lo
	v_cmpx_lt_u64_e64 s[12:13], v[29:30]
	s_cbranch_execz .LBB285_914
; %bb.907:                              ;   in Loop: Header=BB285_15 Depth=1
	v_lshrrev_b32_e32 v3, 24, v30
	v_bfrev_b32_e32 v118, 1
	s_mov_b32 s21, exec_lo
	v_cmpx_ne_u32_e32 0x80, v3
	s_cbranch_execz .LBB285_913
; %bb.908:                              ;   in Loop: Header=BB285_15 Depth=1
	v_and_b32_e32 v8, 0x7f, v3
	v_mov_b32_e32 v118, 0x7c010000
	s_mov_b32 s22, exec_lo
	v_cmpx_ne_u32_e32 0x7f, v8
	s_cbranch_execz .LBB285_912
; %bb.909:                              ;   in Loop: Header=BB285_15 Depth=1
	v_and_b32_e32 v1, 7, v3
	v_lshrrev_b32_e32 v6, 3, v8
	s_mov_b32 s23, exec_lo
	v_cmpx_gt_u32_e32 8, v8
; %bb.910:                              ;   in Loop: Header=BB285_15 Depth=1
	v_ffbh_u32_e32 v1, v1
	v_min_u32_e32 v1, 32, v1
	v_subrev_nc_u32_e32 v6, 28, v1
	v_lshlrev_b64 v[8:9], v6, v[3:4]
	v_sub_nc_u32_e32 v6, 29, v1
	v_and_b32_e32 v1, 7, v8
; %bb.911:                              ;   in Loop: Header=BB285_15 Depth=1
	s_or_b32 exec_lo, exec_lo, s23
	v_lshlrev_b32_e32 v3, 8, v3
	v_lshl_add_u32 v6, v6, 10, 0x2000
	v_lshlrev_b32_e32 v1, 23, v1
	v_and_or_b32 v3, 0x8000, v3, v6
	v_lshl_or_b32 v118, v3, 16, v1
.LBB285_912:                            ;   in Loop: Header=BB285_15 Depth=1
	s_or_b32 exec_lo, exec_lo, s22
.LBB285_913:                            ;   in Loop: Header=BB285_15 Depth=1
	s_or_b32 exec_lo, exec_lo, s21
.LBB285_914:                            ;   in Loop: Header=BB285_15 Depth=1
	s_or_b32 exec_lo, exec_lo, s20
	flat_load_dwordx2 v[29:30], v[27:28] offset:1536
	s_waitcnt vmcnt(0) lgkmcnt(0)
	v_cmp_ne_u16_sdwa s5, v29, v4 src0_sel:BYTE_0 src1_sel:DWORD
	s_and_saveexec_b32 s20, s5
	s_cbranch_execz .LBB285_922
; %bb.915:                              ;   in Loop: Header=BB285_15 Depth=1
	v_cmp_ne_u16_sdwa s5, v29, v54 src0_sel:BYTE_0 src1_sel:DWORD
	v_mov_b32_e32 v67, 0x8000
	s_and_saveexec_b32 s21, s5
	s_cbranch_execz .LBB285_921
; %bb.916:                              ;   in Loop: Header=BB285_15 Depth=1
	v_and_b32_e32 v6, 0x7f, v29
	v_mov_b32_e32 v67, 0x7c01
	s_mov_b32 s22, exec_lo
	v_cmpx_ne_u32_e32 0x7f, v6
	s_cbranch_execz .LBB285_920
; %bb.917:                              ;   in Loop: Header=BB285_15 Depth=1
	v_and_b32_e32 v1, 7, v29
	v_lshrrev_b32_e32 v3, 3, v6
	s_mov_b32 s23, exec_lo
	v_cmpx_gt_u32_e32 8, v6
; %bb.918:                              ;   in Loop: Header=BB285_15 Depth=1
	v_ffbh_u32_e32 v1, v1
	v_min_u32_e32 v1, 32, v1
	v_subrev_nc_u32_e32 v3, 28, v1
	v_lshlrev_b64 v[8:9], v3, v[29:30]
	v_sub_nc_u32_e32 v3, 29, v1
	v_and_b32_e32 v1, 7, v8
; %bb.919:                              ;   in Loop: Header=BB285_15 Depth=1
	s_or_b32 exec_lo, exec_lo, s23
	v_lshlrev_b32_e32 v6, 8, v29
	v_lshl_add_u32 v3, v3, 10, 0x2000
	v_lshlrev_b32_e32 v1, 7, v1
	v_and_b32_e32 v6, 0x8000, v6
	v_and_b32_e32 v3, 0xfc00, v3
	v_or3_b32 v67, v6, v3, v1
.LBB285_920:                            ;   in Loop: Header=BB285_15 Depth=1
	s_or_b32 exec_lo, exec_lo, s22
.LBB285_921:                            ;   in Loop: Header=BB285_15 Depth=1
	s_or_b32 exec_lo, exec_lo, s21
.LBB285_922:                            ;   in Loop: Header=BB285_15 Depth=1
	s_or_b32 exec_lo, exec_lo, s20
	v_lshrrev_b16 v3, 8, v29
	v_mov_b32_e32 v65, 0
	v_mov_b32_e32 v94, 0
	s_mov_b32 s20, exec_lo
	v_cmpx_ne_u16_e32 0, v3
	s_cbranch_execz .LBB285_930
; %bb.923:                              ;   in Loop: Header=BB285_15 Depth=1
	v_bfrev_b32_e32 v94, 1
	s_mov_b32 s21, exec_lo
	v_cmpx_ne_u16_e32 0x80, v3
	s_cbranch_execz .LBB285_929
; %bb.924:                              ;   in Loop: Header=BB285_15 Depth=1
	v_mov_b32_e32 v1, 0x7f
	v_mov_b32_e32 v94, 0x7c010000
	s_mov_b32 s22, exec_lo
	v_and_b32_sdwa v8, v3, v1 dst_sel:DWORD dst_unused:UNUSED_PAD src0_sel:WORD_0 src1_sel:DWORD
	v_cmpx_ne_u32_e32 0x7f, v8
	s_cbranch_execz .LBB285_928
; %bb.925:                              ;   in Loop: Header=BB285_15 Depth=1
	v_mov_b32_e32 v1, 7
	v_lshrrev_b32_e32 v6, 3, v8
	s_mov_b32 s23, exec_lo
	v_and_b32_sdwa v1, v3, v1 dst_sel:DWORD dst_unused:UNUSED_PAD src0_sel:WORD_0 src1_sel:DWORD
	v_cmpx_gt_u32_e32 8, v8
; %bb.926:                              ;   in Loop: Header=BB285_15 Depth=1
	v_ffbh_u32_e32 v1, v1
	v_min_u32_e32 v1, 32, v1
	v_subrev_nc_u32_e32 v6, 28, v1
	v_lshlrev_b64 v[8:9], v6, v[3:4]
	v_sub_nc_u32_e32 v6, 29, v1
	v_and_b32_e32 v1, 7, v8
; %bb.927:                              ;   in Loop: Header=BB285_15 Depth=1
	s_or_b32 exec_lo, exec_lo, s23
	v_mov_b32_e32 v8, 8
	v_lshl_add_u32 v6, v6, 10, 0x2000
	v_lshlrev_b32_e32 v1, 23, v1
	v_lshlrev_b32_sdwa v3, v8, v3 dst_sel:DWORD dst_unused:UNUSED_PAD src0_sel:DWORD src1_sel:WORD_0
	v_and_or_b32 v3, 0x8000, v3, v6
	v_lshl_or_b32 v94, v3, 16, v1
.LBB285_928:                            ;   in Loop: Header=BB285_15 Depth=1
	s_or_b32 exec_lo, exec_lo, s22
.LBB285_929:                            ;   in Loop: Header=BB285_15 Depth=1
	s_or_b32 exec_lo, exec_lo, s21
.LBB285_930:                            ;   in Loop: Header=BB285_15 Depth=1
	s_or_b32 exec_lo, exec_lo, s20
	v_lshrrev_b32_e32 v3, 16, v29
	v_cmp_ne_u16_sdwa s5, v3, v4 src0_sel:BYTE_0 src1_sel:DWORD
	s_and_saveexec_b32 s20, s5
	s_cbranch_execz .LBB285_938
; %bb.931:                              ;   in Loop: Header=BB285_15 Depth=1
	v_cmp_ne_u16_sdwa s5, v3, v54 src0_sel:BYTE_0 src1_sel:DWORD
	v_mov_b32_e32 v65, 0x8000
	s_and_saveexec_b32 s21, s5
	s_cbranch_execz .LBB285_937
; %bb.932:                              ;   in Loop: Header=BB285_15 Depth=1
	v_bfe_u32 v8, v29, 16, 7
	v_mov_b32_e32 v65, 0x7c01
	s_mov_b32 s22, exec_lo
	v_cmpx_ne_u32_e32 0x7f, v8
	s_cbranch_execz .LBB285_936
; %bb.933:                              ;   in Loop: Header=BB285_15 Depth=1
	v_and_b32_e32 v1, 7, v3
	v_lshrrev_b32_e32 v6, 3, v8
	s_mov_b32 s23, exec_lo
	v_cmpx_gt_u32_e32 8, v8
; %bb.934:                              ;   in Loop: Header=BB285_15 Depth=1
	v_ffbh_u32_e32 v1, v1
	v_min_u32_e32 v1, 32, v1
	v_subrev_nc_u32_e32 v6, 28, v1
	v_lshlrev_b64 v[8:9], v6, v[3:4]
	v_sub_nc_u32_e32 v6, 29, v1
	v_and_b32_e32 v1, 7, v8
; %bb.935:                              ;   in Loop: Header=BB285_15 Depth=1
	s_or_b32 exec_lo, exec_lo, s23
	v_lshlrev_b32_e32 v3, 8, v3
	v_lshl_add_u32 v6, v6, 10, 0x2000
	v_lshlrev_b32_e32 v1, 7, v1
	v_and_b32_e32 v3, 0x8000, v3
	v_and_b32_e32 v6, 0xfc00, v6
	v_or3_b32 v65, v3, v6, v1
.LBB285_936:                            ;   in Loop: Header=BB285_15 Depth=1
	s_or_b32 exec_lo, exec_lo, s22
.LBB285_937:                            ;   in Loop: Header=BB285_15 Depth=1
	s_or_b32 exec_lo, exec_lo, s21
.LBB285_938:                            ;   in Loop: Header=BB285_15 Depth=1
	s_or_b32 exec_lo, exec_lo, s20
	v_mov_b32_e32 v111, 0
	v_mov_b32_e32 v11, 0
	s_mov_b32 s20, exec_lo
	v_cmpx_lt_u32_e32 0xffffff, v29
	s_cbranch_execz .LBB285_946
; %bb.939:                              ;   in Loop: Header=BB285_15 Depth=1
	v_lshrrev_b32_e32 v3, 24, v29
	v_bfrev_b32_e32 v11, 1
	s_mov_b32 s21, exec_lo
	v_cmpx_ne_u32_e32 0x80, v3
	s_cbranch_execz .LBB285_945
; %bb.940:                              ;   in Loop: Header=BB285_15 Depth=1
	v_and_b32_e32 v8, 0x7f, v3
	v_mov_b32_e32 v11, 0x7c010000
	s_mov_b32 s22, exec_lo
	v_cmpx_ne_u32_e32 0x7f, v8
	s_cbranch_execz .LBB285_944
; %bb.941:                              ;   in Loop: Header=BB285_15 Depth=1
	v_and_b32_e32 v1, 7, v3
	v_lshrrev_b32_e32 v6, 3, v8
	s_mov_b32 s23, exec_lo
	v_cmpx_gt_u32_e32 8, v8
; %bb.942:                              ;   in Loop: Header=BB285_15 Depth=1
	v_ffbh_u32_e32 v1, v1
	v_min_u32_e32 v1, 32, v1
	v_subrev_nc_u32_e32 v6, 28, v1
	v_lshlrev_b64 v[8:9], v6, v[3:4]
	v_sub_nc_u32_e32 v6, 29, v1
	v_and_b32_e32 v1, 7, v8
; %bb.943:                              ;   in Loop: Header=BB285_15 Depth=1
	s_or_b32 exec_lo, exec_lo, s23
	v_lshlrev_b32_e32 v3, 8, v3
	v_lshl_add_u32 v6, v6, 10, 0x2000
	v_lshlrev_b32_e32 v1, 23, v1
	v_and_or_b32 v3, 0x8000, v3, v6
	v_lshl_or_b32 v11, v3, 16, v1
.LBB285_944:                            ;   in Loop: Header=BB285_15 Depth=1
	s_or_b32 exec_lo, exec_lo, s22
.LBB285_945:                            ;   in Loop: Header=BB285_15 Depth=1
	s_or_b32 exec_lo, exec_lo, s21
.LBB285_946:                            ;   in Loop: Header=BB285_15 Depth=1
	s_or_b32 exec_lo, exec_lo, s20
	v_mov_b32_e32 v3, v30
	v_cmp_ne_u16_sdwa s5, v30, v4 src0_sel:BYTE_0 src1_sel:DWORD
	s_and_saveexec_b32 s20, s5
	s_cbranch_execz .LBB285_954
; %bb.947:                              ;   in Loop: Header=BB285_15 Depth=1
	v_cmp_ne_u16_sdwa s5, v30, v54 src0_sel:BYTE_0 src1_sel:DWORD
	v_mov_b32_e32 v111, 0x8000
	s_and_saveexec_b32 s21, s5
	s_cbranch_execz .LBB285_953
; %bb.948:                              ;   in Loop: Header=BB285_15 Depth=1
	v_and_b32_e32 v8, 0x7f, v30
	v_mov_b32_e32 v111, 0x7c01
	s_mov_b32 s22, exec_lo
	v_cmpx_ne_u32_e32 0x7f, v8
	s_cbranch_execz .LBB285_952
; %bb.949:                              ;   in Loop: Header=BB285_15 Depth=1
	v_and_b32_e32 v1, 7, v30
	v_lshrrev_b32_e32 v6, 3, v8
	s_mov_b32 s23, exec_lo
	v_cmpx_gt_u32_e32 8, v8
; %bb.950:                              ;   in Loop: Header=BB285_15 Depth=1
	v_ffbh_u32_e32 v1, v1
	v_min_u32_e32 v1, 32, v1
	v_subrev_nc_u32_e32 v6, 28, v1
	v_lshlrev_b64 v[8:9], v6, v[3:4]
	v_sub_nc_u32_e32 v6, 29, v1
	v_and_b32_e32 v1, 7, v8
; %bb.951:                              ;   in Loop: Header=BB285_15 Depth=1
	s_or_b32 exec_lo, exec_lo, s23
	v_lshlrev_b32_e32 v8, 8, v30
	v_lshl_add_u32 v6, v6, 10, 0x2000
	v_lshlrev_b32_e32 v1, 7, v1
	v_and_b32_e32 v8, 0x8000, v8
	v_and_b32_e32 v6, 0xfc00, v6
	v_or3_b32 v111, v8, v6, v1
.LBB285_952:                            ;   in Loop: Header=BB285_15 Depth=1
	s_or_b32 exec_lo, exec_lo, s22
.LBB285_953:                            ;   in Loop: Header=BB285_15 Depth=1
	s_or_b32 exec_lo, exec_lo, s21
.LBB285_954:                            ;   in Loop: Header=BB285_15 Depth=1
	s_or_b32 exec_lo, exec_lo, s20
	v_lshrrev_b16 v3, 8, v3
	v_mov_b32_e32 v82, 0
	v_mov_b32_e32 v31, 0
	s_mov_b32 s20, exec_lo
	v_cmpx_ne_u16_e32 0, v3
	s_cbranch_execz .LBB285_962
; %bb.955:                              ;   in Loop: Header=BB285_15 Depth=1
	v_bfrev_b32_e32 v31, 1
	s_mov_b32 s21, exec_lo
	v_cmpx_ne_u16_e32 0x80, v3
	s_cbranch_execz .LBB285_961
; %bb.956:                              ;   in Loop: Header=BB285_15 Depth=1
	v_mov_b32_e32 v1, 0x7f
	v_mov_b32_e32 v31, 0x7c010000
	s_mov_b32 s22, exec_lo
	v_and_b32_sdwa v8, v3, v1 dst_sel:DWORD dst_unused:UNUSED_PAD src0_sel:WORD_0 src1_sel:DWORD
	v_cmpx_ne_u32_e32 0x7f, v8
	s_cbranch_execz .LBB285_960
; %bb.957:                              ;   in Loop: Header=BB285_15 Depth=1
	v_mov_b32_e32 v1, 7
	v_lshrrev_b32_e32 v6, 3, v8
	s_mov_b32 s23, exec_lo
	v_and_b32_sdwa v1, v3, v1 dst_sel:DWORD dst_unused:UNUSED_PAD src0_sel:WORD_0 src1_sel:DWORD
	v_cmpx_gt_u32_e32 8, v8
; %bb.958:                              ;   in Loop: Header=BB285_15 Depth=1
	v_ffbh_u32_e32 v1, v1
	v_min_u32_e32 v1, 32, v1
	v_subrev_nc_u32_e32 v6, 28, v1
	v_lshlrev_b64 v[8:9], v6, v[3:4]
	v_sub_nc_u32_e32 v6, 29, v1
	v_and_b32_e32 v1, 7, v8
; %bb.959:                              ;   in Loop: Header=BB285_15 Depth=1
	s_or_b32 exec_lo, exec_lo, s23
	v_mov_b32_e32 v8, 8
	v_lshl_add_u32 v6, v6, 10, 0x2000
	v_lshlrev_b32_e32 v1, 23, v1
	v_lshlrev_b32_sdwa v3, v8, v3 dst_sel:DWORD dst_unused:UNUSED_PAD src0_sel:DWORD src1_sel:WORD_0
	v_and_or_b32 v3, 0x8000, v3, v6
	v_lshl_or_b32 v31, v3, 16, v1
.LBB285_960:                            ;   in Loop: Header=BB285_15 Depth=1
	s_or_b32 exec_lo, exec_lo, s22
.LBB285_961:                            ;   in Loop: Header=BB285_15 Depth=1
	s_or_b32 exec_lo, exec_lo, s21
.LBB285_962:                            ;   in Loop: Header=BB285_15 Depth=1
	s_or_b32 exec_lo, exec_lo, s20
	v_lshrrev_b32_e32 v3, 16, v30
	v_cmp_ne_u16_sdwa s5, v3, v4 src0_sel:BYTE_0 src1_sel:DWORD
	s_and_saveexec_b32 s20, s5
	s_cbranch_execz .LBB285_970
; %bb.963:                              ;   in Loop: Header=BB285_15 Depth=1
	v_cmp_ne_u16_sdwa s5, v3, v54 src0_sel:BYTE_0 src1_sel:DWORD
	v_mov_b32_e32 v82, 0x8000
	s_and_saveexec_b32 s21, s5
	s_cbranch_execz .LBB285_969
; %bb.964:                              ;   in Loop: Header=BB285_15 Depth=1
	v_bfe_u32 v8, v30, 16, 7
	v_mov_b32_e32 v82, 0x7c01
	s_mov_b32 s22, exec_lo
	v_cmpx_ne_u32_e32 0x7f, v8
	s_cbranch_execz .LBB285_968
; %bb.965:                              ;   in Loop: Header=BB285_15 Depth=1
	v_and_b32_e32 v1, 7, v3
	v_lshrrev_b32_e32 v6, 3, v8
	s_mov_b32 s23, exec_lo
	v_cmpx_gt_u32_e32 8, v8
; %bb.966:                              ;   in Loop: Header=BB285_15 Depth=1
	v_ffbh_u32_e32 v1, v1
	v_min_u32_e32 v1, 32, v1
	v_subrev_nc_u32_e32 v6, 28, v1
	v_lshlrev_b64 v[8:9], v6, v[3:4]
	v_sub_nc_u32_e32 v6, 29, v1
	v_and_b32_e32 v1, 7, v8
; %bb.967:                              ;   in Loop: Header=BB285_15 Depth=1
	s_or_b32 exec_lo, exec_lo, s23
	v_lshlrev_b32_e32 v3, 8, v3
	v_lshl_add_u32 v6, v6, 10, 0x2000
	v_lshlrev_b32_e32 v1, 7, v1
	v_and_b32_e32 v3, 0x8000, v3
	v_and_b32_e32 v6, 0xfc00, v6
	v_or3_b32 v82, v3, v6, v1
.LBB285_968:                            ;   in Loop: Header=BB285_15 Depth=1
	s_or_b32 exec_lo, exec_lo, s22
.LBB285_969:                            ;   in Loop: Header=BB285_15 Depth=1
	s_or_b32 exec_lo, exec_lo, s21
.LBB285_970:                            ;   in Loop: Header=BB285_15 Depth=1
	s_or_b32 exec_lo, exec_lo, s20
	v_mov_b32_e32 v112, 0
	v_mov_b32_e32 v105, 0
	s_mov_b32 s20, exec_lo
	v_cmpx_lt_u64_e64 s[12:13], v[29:30]
	s_cbranch_execz .LBB285_978
; %bb.971:                              ;   in Loop: Header=BB285_15 Depth=1
	v_lshrrev_b32_e32 v3, 24, v30
	v_bfrev_b32_e32 v105, 1
	s_mov_b32 s21, exec_lo
	v_cmpx_ne_u32_e32 0x80, v3
	s_cbranch_execz .LBB285_977
; %bb.972:                              ;   in Loop: Header=BB285_15 Depth=1
	v_and_b32_e32 v8, 0x7f, v3
	v_mov_b32_e32 v105, 0x7c010000
	s_mov_b32 s22, exec_lo
	v_cmpx_ne_u32_e32 0x7f, v8
	s_cbranch_execz .LBB285_976
; %bb.973:                              ;   in Loop: Header=BB285_15 Depth=1
	v_and_b32_e32 v1, 7, v3
	v_lshrrev_b32_e32 v6, 3, v8
	s_mov_b32 s23, exec_lo
	v_cmpx_gt_u32_e32 8, v8
; %bb.974:                              ;   in Loop: Header=BB285_15 Depth=1
	v_ffbh_u32_e32 v1, v1
	v_min_u32_e32 v1, 32, v1
	v_subrev_nc_u32_e32 v6, 28, v1
	v_lshlrev_b64 v[8:9], v6, v[3:4]
	v_sub_nc_u32_e32 v6, 29, v1
	v_and_b32_e32 v1, 7, v8
; %bb.975:                              ;   in Loop: Header=BB285_15 Depth=1
	s_or_b32 exec_lo, exec_lo, s23
	v_lshlrev_b32_e32 v3, 8, v3
	v_lshl_add_u32 v6, v6, 10, 0x2000
	v_lshlrev_b32_e32 v1, 23, v1
	v_and_or_b32 v3, 0x8000, v3, v6
	v_lshl_or_b32 v105, v3, 16, v1
.LBB285_976:                            ;   in Loop: Header=BB285_15 Depth=1
	s_or_b32 exec_lo, exec_lo, s22
.LBB285_977:                            ;   in Loop: Header=BB285_15 Depth=1
	s_or_b32 exec_lo, exec_lo, s21
.LBB285_978:                            ;   in Loop: Header=BB285_15 Depth=1
	s_or_b32 exec_lo, exec_lo, s20
	flat_load_dwordx2 v[27:28], v[27:28] offset:1544
	s_waitcnt vmcnt(0) lgkmcnt(0)
	v_cmp_ne_u16_sdwa s5, v27, v4 src0_sel:BYTE_0 src1_sel:DWORD
	s_and_saveexec_b32 s20, s5
	s_cbranch_execz .LBB285_986
; %bb.979:                              ;   in Loop: Header=BB285_15 Depth=1
	v_cmp_ne_u16_sdwa s5, v27, v54 src0_sel:BYTE_0 src1_sel:DWORD
	v_mov_b32_e32 v112, 0x8000
	s_and_saveexec_b32 s21, s5
	s_cbranch_execz .LBB285_985
; %bb.980:                              ;   in Loop: Header=BB285_15 Depth=1
	v_and_b32_e32 v6, 0x7f, v27
	v_mov_b32_e32 v112, 0x7c01
	s_mov_b32 s22, exec_lo
	v_cmpx_ne_u32_e32 0x7f, v6
	s_cbranch_execz .LBB285_984
; %bb.981:                              ;   in Loop: Header=BB285_15 Depth=1
	v_and_b32_e32 v1, 7, v27
	v_lshrrev_b32_e32 v3, 3, v6
	s_mov_b32 s23, exec_lo
	v_cmpx_gt_u32_e32 8, v6
; %bb.982:                              ;   in Loop: Header=BB285_15 Depth=1
	v_ffbh_u32_e32 v1, v1
	v_min_u32_e32 v1, 32, v1
	v_subrev_nc_u32_e32 v3, 28, v1
	v_lshlrev_b64 v[8:9], v3, v[27:28]
	v_sub_nc_u32_e32 v3, 29, v1
	v_and_b32_e32 v1, 7, v8
; %bb.983:                              ;   in Loop: Header=BB285_15 Depth=1
	s_or_b32 exec_lo, exec_lo, s23
	v_lshlrev_b32_e32 v6, 8, v27
	v_lshl_add_u32 v3, v3, 10, 0x2000
	v_lshlrev_b32_e32 v1, 7, v1
	v_and_b32_e32 v6, 0x8000, v6
	v_and_b32_e32 v3, 0xfc00, v3
	v_or3_b32 v112, v6, v3, v1
.LBB285_984:                            ;   in Loop: Header=BB285_15 Depth=1
	s_or_b32 exec_lo, exec_lo, s22
.LBB285_985:                            ;   in Loop: Header=BB285_15 Depth=1
	s_or_b32 exec_lo, exec_lo, s21
.LBB285_986:                            ;   in Loop: Header=BB285_15 Depth=1
	s_or_b32 exec_lo, exec_lo, s20
	v_lshrrev_b16 v3, 8, v27
	v_mov_b32_e32 v106, 0
	v_mov_b32_e32 v70, 0
	s_mov_b32 s20, exec_lo
	v_cmpx_ne_u16_e32 0, v3
	s_cbranch_execz .LBB285_994
; %bb.987:                              ;   in Loop: Header=BB285_15 Depth=1
	v_bfrev_b32_e32 v70, 1
	s_mov_b32 s21, exec_lo
	v_cmpx_ne_u16_e32 0x80, v3
	s_cbranch_execz .LBB285_993
; %bb.988:                              ;   in Loop: Header=BB285_15 Depth=1
	v_mov_b32_e32 v1, 0x7f
	v_mov_b32_e32 v70, 0x7c010000
	s_mov_b32 s22, exec_lo
	v_and_b32_sdwa v8, v3, v1 dst_sel:DWORD dst_unused:UNUSED_PAD src0_sel:WORD_0 src1_sel:DWORD
	v_cmpx_ne_u32_e32 0x7f, v8
	s_cbranch_execz .LBB285_992
; %bb.989:                              ;   in Loop: Header=BB285_15 Depth=1
	v_mov_b32_e32 v1, 7
	v_lshrrev_b32_e32 v6, 3, v8
	s_mov_b32 s23, exec_lo
	v_and_b32_sdwa v1, v3, v1 dst_sel:DWORD dst_unused:UNUSED_PAD src0_sel:WORD_0 src1_sel:DWORD
	v_cmpx_gt_u32_e32 8, v8
; %bb.990:                              ;   in Loop: Header=BB285_15 Depth=1
	v_ffbh_u32_e32 v1, v1
	v_min_u32_e32 v1, 32, v1
	v_subrev_nc_u32_e32 v6, 28, v1
	v_lshlrev_b64 v[8:9], v6, v[3:4]
	v_sub_nc_u32_e32 v6, 29, v1
	v_and_b32_e32 v1, 7, v8
; %bb.991:                              ;   in Loop: Header=BB285_15 Depth=1
	s_or_b32 exec_lo, exec_lo, s23
	v_mov_b32_e32 v8, 8
	v_lshl_add_u32 v6, v6, 10, 0x2000
	v_lshlrev_b32_e32 v1, 23, v1
	v_lshlrev_b32_sdwa v3, v8, v3 dst_sel:DWORD dst_unused:UNUSED_PAD src0_sel:DWORD src1_sel:WORD_0
	v_and_or_b32 v3, 0x8000, v3, v6
	v_lshl_or_b32 v70, v3, 16, v1
.LBB285_992:                            ;   in Loop: Header=BB285_15 Depth=1
	s_or_b32 exec_lo, exec_lo, s22
.LBB285_993:                            ;   in Loop: Header=BB285_15 Depth=1
	s_or_b32 exec_lo, exec_lo, s21
.LBB285_994:                            ;   in Loop: Header=BB285_15 Depth=1
	s_or_b32 exec_lo, exec_lo, s20
	v_lshrrev_b32_e32 v3, 16, v27
	v_cmp_ne_u16_sdwa s5, v3, v4 src0_sel:BYTE_0 src1_sel:DWORD
	s_and_saveexec_b32 s20, s5
	s_cbranch_execz .LBB285_1002
; %bb.995:                              ;   in Loop: Header=BB285_15 Depth=1
	v_cmp_ne_u16_sdwa s5, v3, v54 src0_sel:BYTE_0 src1_sel:DWORD
	v_mov_b32_e32 v106, 0x8000
	s_and_saveexec_b32 s21, s5
	s_cbranch_execz .LBB285_1001
; %bb.996:                              ;   in Loop: Header=BB285_15 Depth=1
	v_bfe_u32 v8, v27, 16, 7
	v_mov_b32_e32 v106, 0x7c01
	s_mov_b32 s22, exec_lo
	v_cmpx_ne_u32_e32 0x7f, v8
	s_cbranch_execz .LBB285_1000
; %bb.997:                              ;   in Loop: Header=BB285_15 Depth=1
	v_and_b32_e32 v1, 7, v3
	v_lshrrev_b32_e32 v6, 3, v8
	s_mov_b32 s23, exec_lo
	v_cmpx_gt_u32_e32 8, v8
; %bb.998:                              ;   in Loop: Header=BB285_15 Depth=1
	v_ffbh_u32_e32 v1, v1
	v_min_u32_e32 v1, 32, v1
	v_subrev_nc_u32_e32 v6, 28, v1
	v_lshlrev_b64 v[8:9], v6, v[3:4]
	v_sub_nc_u32_e32 v6, 29, v1
	v_and_b32_e32 v1, 7, v8
; %bb.999:                              ;   in Loop: Header=BB285_15 Depth=1
	s_or_b32 exec_lo, exec_lo, s23
	v_lshlrev_b32_e32 v3, 8, v3
	v_lshl_add_u32 v6, v6, 10, 0x2000
	v_lshlrev_b32_e32 v1, 7, v1
	v_and_b32_e32 v3, 0x8000, v3
	v_and_b32_e32 v6, 0xfc00, v6
	v_or3_b32 v106, v3, v6, v1
.LBB285_1000:                           ;   in Loop: Header=BB285_15 Depth=1
	s_or_b32 exec_lo, exec_lo, s22
.LBB285_1001:                           ;   in Loop: Header=BB285_15 Depth=1
	s_or_b32 exec_lo, exec_lo, s21
.LBB285_1002:                           ;   in Loop: Header=BB285_15 Depth=1
	s_or_b32 exec_lo, exec_lo, s20
	v_mov_b32_e32 v113, 0
	v_mov_b32_e32 v84, 0
	s_mov_b32 s20, exec_lo
	v_cmpx_lt_u32_e32 0xffffff, v27
	s_cbranch_execz .LBB285_1010
; %bb.1003:                             ;   in Loop: Header=BB285_15 Depth=1
	v_lshrrev_b32_e32 v3, 24, v27
	v_bfrev_b32_e32 v84, 1
	s_mov_b32 s21, exec_lo
	v_cmpx_ne_u32_e32 0x80, v3
	s_cbranch_execz .LBB285_1009
; %bb.1004:                             ;   in Loop: Header=BB285_15 Depth=1
	v_and_b32_e32 v8, 0x7f, v3
	v_mov_b32_e32 v84, 0x7c010000
	s_mov_b32 s22, exec_lo
	v_cmpx_ne_u32_e32 0x7f, v8
	s_cbranch_execz .LBB285_1008
; %bb.1005:                             ;   in Loop: Header=BB285_15 Depth=1
	v_and_b32_e32 v1, 7, v3
	v_lshrrev_b32_e32 v6, 3, v8
	s_mov_b32 s23, exec_lo
	v_cmpx_gt_u32_e32 8, v8
; %bb.1006:                             ;   in Loop: Header=BB285_15 Depth=1
	v_ffbh_u32_e32 v1, v1
	v_min_u32_e32 v1, 32, v1
	v_subrev_nc_u32_e32 v6, 28, v1
	v_lshlrev_b64 v[8:9], v6, v[3:4]
	v_sub_nc_u32_e32 v6, 29, v1
	v_and_b32_e32 v1, 7, v8
; %bb.1007:                             ;   in Loop: Header=BB285_15 Depth=1
	s_or_b32 exec_lo, exec_lo, s23
	v_lshlrev_b32_e32 v3, 8, v3
	v_lshl_add_u32 v6, v6, 10, 0x2000
	v_lshlrev_b32_e32 v1, 23, v1
	v_and_or_b32 v3, 0x8000, v3, v6
	v_lshl_or_b32 v84, v3, 16, v1
.LBB285_1008:                           ;   in Loop: Header=BB285_15 Depth=1
	s_or_b32 exec_lo, exec_lo, s22
.LBB285_1009:                           ;   in Loop: Header=BB285_15 Depth=1
	s_or_b32 exec_lo, exec_lo, s21
.LBB285_1010:                           ;   in Loop: Header=BB285_15 Depth=1
	s_or_b32 exec_lo, exec_lo, s20
	v_mov_b32_e32 v3, v28
	v_cmp_ne_u16_sdwa s5, v28, v4 src0_sel:BYTE_0 src1_sel:DWORD
	s_and_saveexec_b32 s20, s5
	s_cbranch_execz .LBB285_1018
; %bb.1011:                             ;   in Loop: Header=BB285_15 Depth=1
	v_cmp_ne_u16_sdwa s5, v28, v54 src0_sel:BYTE_0 src1_sel:DWORD
	v_mov_b32_e32 v113, 0x8000
	s_and_saveexec_b32 s21, s5
	s_cbranch_execz .LBB285_1017
; %bb.1012:                             ;   in Loop: Header=BB285_15 Depth=1
	v_and_b32_e32 v8, 0x7f, v28
	v_mov_b32_e32 v113, 0x7c01
	s_mov_b32 s22, exec_lo
	v_cmpx_ne_u32_e32 0x7f, v8
	s_cbranch_execz .LBB285_1016
; %bb.1013:                             ;   in Loop: Header=BB285_15 Depth=1
	v_and_b32_e32 v1, 7, v28
	v_lshrrev_b32_e32 v6, 3, v8
	s_mov_b32 s23, exec_lo
	v_cmpx_gt_u32_e32 8, v8
; %bb.1014:                             ;   in Loop: Header=BB285_15 Depth=1
	v_ffbh_u32_e32 v1, v1
	v_min_u32_e32 v1, 32, v1
	v_subrev_nc_u32_e32 v6, 28, v1
	v_lshlrev_b64 v[8:9], v6, v[3:4]
	v_sub_nc_u32_e32 v6, 29, v1
	v_and_b32_e32 v1, 7, v8
; %bb.1015:                             ;   in Loop: Header=BB285_15 Depth=1
	s_or_b32 exec_lo, exec_lo, s23
	v_lshlrev_b32_e32 v8, 8, v28
	v_lshl_add_u32 v6, v6, 10, 0x2000
	v_lshlrev_b32_e32 v1, 7, v1
	v_and_b32_e32 v8, 0x8000, v8
	v_and_b32_e32 v6, 0xfc00, v6
	v_or3_b32 v113, v8, v6, v1
.LBB285_1016:                           ;   in Loop: Header=BB285_15 Depth=1
	s_or_b32 exec_lo, exec_lo, s22
.LBB285_1017:                           ;   in Loop: Header=BB285_15 Depth=1
	s_or_b32 exec_lo, exec_lo, s21
.LBB285_1018:                           ;   in Loop: Header=BB285_15 Depth=1
	s_or_b32 exec_lo, exec_lo, s20
	v_lshrrev_b16 v3, 8, v3
	v_mov_b32_e32 v43, 0
	v_mov_b32_e32 v75, 0
	s_mov_b32 s20, exec_lo
	v_cmpx_ne_u16_e32 0, v3
	s_cbranch_execz .LBB285_1026
; %bb.1019:                             ;   in Loop: Header=BB285_15 Depth=1
	v_bfrev_b32_e32 v75, 1
	s_mov_b32 s21, exec_lo
	v_cmpx_ne_u16_e32 0x80, v3
	s_cbranch_execz .LBB285_1025
; %bb.1020:                             ;   in Loop: Header=BB285_15 Depth=1
	v_mov_b32_e32 v1, 0x7f
	v_mov_b32_e32 v75, 0x7c010000
	s_mov_b32 s22, exec_lo
	v_and_b32_sdwa v8, v3, v1 dst_sel:DWORD dst_unused:UNUSED_PAD src0_sel:WORD_0 src1_sel:DWORD
	v_cmpx_ne_u32_e32 0x7f, v8
	s_cbranch_execz .LBB285_1024
; %bb.1021:                             ;   in Loop: Header=BB285_15 Depth=1
	v_mov_b32_e32 v1, 7
	v_lshrrev_b32_e32 v6, 3, v8
	s_mov_b32 s23, exec_lo
	v_and_b32_sdwa v1, v3, v1 dst_sel:DWORD dst_unused:UNUSED_PAD src0_sel:WORD_0 src1_sel:DWORD
	v_cmpx_gt_u32_e32 8, v8
; %bb.1022:                             ;   in Loop: Header=BB285_15 Depth=1
	v_ffbh_u32_e32 v1, v1
	v_min_u32_e32 v1, 32, v1
	v_subrev_nc_u32_e32 v6, 28, v1
	v_lshlrev_b64 v[8:9], v6, v[3:4]
	v_sub_nc_u32_e32 v6, 29, v1
	v_and_b32_e32 v1, 7, v8
; %bb.1023:                             ;   in Loop: Header=BB285_15 Depth=1
	s_or_b32 exec_lo, exec_lo, s23
	v_mov_b32_e32 v8, 8
	v_lshl_add_u32 v6, v6, 10, 0x2000
	v_lshlrev_b32_e32 v1, 23, v1
	v_lshlrev_b32_sdwa v3, v8, v3 dst_sel:DWORD dst_unused:UNUSED_PAD src0_sel:DWORD src1_sel:WORD_0
	v_and_or_b32 v3, 0x8000, v3, v6
	v_lshl_or_b32 v75, v3, 16, v1
.LBB285_1024:                           ;   in Loop: Header=BB285_15 Depth=1
	s_or_b32 exec_lo, exec_lo, s22
.LBB285_1025:                           ;   in Loop: Header=BB285_15 Depth=1
	s_or_b32 exec_lo, exec_lo, s21
.LBB285_1026:                           ;   in Loop: Header=BB285_15 Depth=1
	s_or_b32 exec_lo, exec_lo, s20
	v_lshrrev_b32_e32 v3, 16, v28
	v_cmp_ne_u16_sdwa s5, v3, v4 src0_sel:BYTE_0 src1_sel:DWORD
	s_and_saveexec_b32 s20, s5
	s_cbranch_execz .LBB285_1034
; %bb.1027:                             ;   in Loop: Header=BB285_15 Depth=1
	v_cmp_ne_u16_sdwa s5, v3, v54 src0_sel:BYTE_0 src1_sel:DWORD
	v_mov_b32_e32 v43, 0x8000
	s_and_saveexec_b32 s21, s5
	s_cbranch_execz .LBB285_1033
; %bb.1028:                             ;   in Loop: Header=BB285_15 Depth=1
	v_bfe_u32 v8, v28, 16, 7
	v_mov_b32_e32 v43, 0x7c01
	s_mov_b32 s22, exec_lo
	v_cmpx_ne_u32_e32 0x7f, v8
	s_cbranch_execz .LBB285_1032
; %bb.1029:                             ;   in Loop: Header=BB285_15 Depth=1
	v_and_b32_e32 v1, 7, v3
	v_lshrrev_b32_e32 v6, 3, v8
	s_mov_b32 s23, exec_lo
	v_cmpx_gt_u32_e32 8, v8
; %bb.1030:                             ;   in Loop: Header=BB285_15 Depth=1
	v_ffbh_u32_e32 v1, v1
	v_min_u32_e32 v1, 32, v1
	v_subrev_nc_u32_e32 v6, 28, v1
	v_lshlrev_b64 v[8:9], v6, v[3:4]
	v_sub_nc_u32_e32 v6, 29, v1
	v_and_b32_e32 v1, 7, v8
; %bb.1031:                             ;   in Loop: Header=BB285_15 Depth=1
	s_or_b32 exec_lo, exec_lo, s23
	v_lshlrev_b32_e32 v3, 8, v3
	v_lshl_add_u32 v6, v6, 10, 0x2000
	v_lshlrev_b32_e32 v1, 7, v1
	v_and_b32_e32 v3, 0x8000, v3
	v_and_b32_e32 v6, 0xfc00, v6
	v_or3_b32 v43, v3, v6, v1
.LBB285_1032:                           ;   in Loop: Header=BB285_15 Depth=1
	s_or_b32 exec_lo, exec_lo, s22
.LBB285_1033:                           ;   in Loop: Header=BB285_15 Depth=1
	s_or_b32 exec_lo, exec_lo, s21
.LBB285_1034:                           ;   in Loop: Header=BB285_15 Depth=1
	s_or_b32 exec_lo, exec_lo, s20
	v_mov_b32_e32 v37, 0
	v_mov_b32_e32 v104, 0
	s_mov_b32 s20, exec_lo
	v_cmpx_lt_u64_e64 s[12:13], v[27:28]
	s_cbranch_execz .LBB285_1042
; %bb.1035:                             ;   in Loop: Header=BB285_15 Depth=1
	v_lshrrev_b32_e32 v3, 24, v28
	v_bfrev_b32_e32 v104, 1
	s_mov_b32 s21, exec_lo
	v_cmpx_ne_u32_e32 0x80, v3
	s_cbranch_execz .LBB285_1041
; %bb.1036:                             ;   in Loop: Header=BB285_15 Depth=1
	v_and_b32_e32 v8, 0x7f, v3
	v_mov_b32_e32 v104, 0x7c010000
	s_mov_b32 s22, exec_lo
	v_cmpx_ne_u32_e32 0x7f, v8
	s_cbranch_execz .LBB285_1040
; %bb.1037:                             ;   in Loop: Header=BB285_15 Depth=1
	v_and_b32_e32 v1, 7, v3
	v_lshrrev_b32_e32 v6, 3, v8
	s_mov_b32 s23, exec_lo
	v_cmpx_gt_u32_e32 8, v8
; %bb.1038:                             ;   in Loop: Header=BB285_15 Depth=1
	v_ffbh_u32_e32 v1, v1
	v_min_u32_e32 v1, 32, v1
	v_subrev_nc_u32_e32 v6, 28, v1
	v_lshlrev_b64 v[8:9], v6, v[3:4]
	v_sub_nc_u32_e32 v6, 29, v1
	v_and_b32_e32 v1, 7, v8
; %bb.1039:                             ;   in Loop: Header=BB285_15 Depth=1
	s_or_b32 exec_lo, exec_lo, s23
	v_lshlrev_b32_e32 v3, 8, v3
	v_lshl_add_u32 v6, v6, 10, 0x2000
	v_lshlrev_b32_e32 v1, 23, v1
	v_and_or_b32 v3, 0x8000, v3, v6
	v_lshl_or_b32 v104, v3, 16, v1
.LBB285_1040:                           ;   in Loop: Header=BB285_15 Depth=1
	s_or_b32 exec_lo, exec_lo, s22
.LBB285_1041:                           ;   in Loop: Header=BB285_15 Depth=1
	s_or_b32 exec_lo, exec_lo, s21
.LBB285_1042:                           ;   in Loop: Header=BB285_15 Depth=1
	s_or_b32 exec_lo, exec_lo, s20
	v_add_co_u32 v24, s5, 0x1000, v24
	v_add_co_ci_u32_e64 v25, null, 0, v25, s5
	flat_load_dwordx2 v[27:28], v[24:25]
	s_waitcnt vmcnt(0) lgkmcnt(0)
	v_cmp_ne_u16_sdwa s5, v27, v4 src0_sel:BYTE_0 src1_sel:DWORD
	s_and_saveexec_b32 s20, s5
	s_cbranch_execz .LBB285_1050
; %bb.1043:                             ;   in Loop: Header=BB285_15 Depth=1
	v_cmp_ne_u16_sdwa s5, v27, v54 src0_sel:BYTE_0 src1_sel:DWORD
	v_mov_b32_e32 v37, 0x8000
	s_and_saveexec_b32 s21, s5
	s_cbranch_execz .LBB285_1049
; %bb.1044:                             ;   in Loop: Header=BB285_15 Depth=1
	v_and_b32_e32 v6, 0x7f, v27
	v_mov_b32_e32 v37, 0x7c01
	s_mov_b32 s22, exec_lo
	v_cmpx_ne_u32_e32 0x7f, v6
	s_cbranch_execz .LBB285_1048
; %bb.1045:                             ;   in Loop: Header=BB285_15 Depth=1
	v_and_b32_e32 v1, 7, v27
	v_lshrrev_b32_e32 v3, 3, v6
	s_mov_b32 s23, exec_lo
	v_cmpx_gt_u32_e32 8, v6
; %bb.1046:                             ;   in Loop: Header=BB285_15 Depth=1
	v_ffbh_u32_e32 v1, v1
	v_min_u32_e32 v1, 32, v1
	v_subrev_nc_u32_e32 v3, 28, v1
	v_lshlrev_b64 v[8:9], v3, v[27:28]
	v_sub_nc_u32_e32 v3, 29, v1
	v_and_b32_e32 v1, 7, v8
; %bb.1047:                             ;   in Loop: Header=BB285_15 Depth=1
	s_or_b32 exec_lo, exec_lo, s23
	v_lshlrev_b32_e32 v6, 8, v27
	v_lshl_add_u32 v3, v3, 10, 0x2000
	v_lshlrev_b32_e32 v1, 7, v1
	v_and_b32_e32 v6, 0x8000, v6
	v_and_b32_e32 v3, 0xfc00, v3
	v_or3_b32 v37, v6, v3, v1
.LBB285_1048:                           ;   in Loop: Header=BB285_15 Depth=1
	s_or_b32 exec_lo, exec_lo, s22
.LBB285_1049:                           ;   in Loop: Header=BB285_15 Depth=1
	s_or_b32 exec_lo, exec_lo, s21
.LBB285_1050:                           ;   in Loop: Header=BB285_15 Depth=1
	s_or_b32 exec_lo, exec_lo, s20
	v_lshrrev_b16 v3, 8, v27
	v_mov_b32_e32 v55, 0
	v_mov_b32_e32 v64, 0
	s_mov_b32 s20, exec_lo
	v_cmpx_ne_u16_e32 0, v3
	s_cbranch_execz .LBB285_1058
; %bb.1051:                             ;   in Loop: Header=BB285_15 Depth=1
	v_bfrev_b32_e32 v64, 1
	s_mov_b32 s21, exec_lo
	v_cmpx_ne_u16_e32 0x80, v3
	s_cbranch_execz .LBB285_1057
; %bb.1052:                             ;   in Loop: Header=BB285_15 Depth=1
	v_mov_b32_e32 v1, 0x7f
	v_mov_b32_e32 v64, 0x7c010000
	s_mov_b32 s22, exec_lo
	v_and_b32_sdwa v8, v3, v1 dst_sel:DWORD dst_unused:UNUSED_PAD src0_sel:WORD_0 src1_sel:DWORD
	v_cmpx_ne_u32_e32 0x7f, v8
	s_cbranch_execz .LBB285_1056
; %bb.1053:                             ;   in Loop: Header=BB285_15 Depth=1
	v_mov_b32_e32 v1, 7
	v_lshrrev_b32_e32 v6, 3, v8
	s_mov_b32 s23, exec_lo
	v_and_b32_sdwa v1, v3, v1 dst_sel:DWORD dst_unused:UNUSED_PAD src0_sel:WORD_0 src1_sel:DWORD
	v_cmpx_gt_u32_e32 8, v8
; %bb.1054:                             ;   in Loop: Header=BB285_15 Depth=1
	v_ffbh_u32_e32 v1, v1
	v_min_u32_e32 v1, 32, v1
	v_subrev_nc_u32_e32 v6, 28, v1
	v_lshlrev_b64 v[8:9], v6, v[3:4]
	v_sub_nc_u32_e32 v6, 29, v1
	v_and_b32_e32 v1, 7, v8
; %bb.1055:                             ;   in Loop: Header=BB285_15 Depth=1
	s_or_b32 exec_lo, exec_lo, s23
	v_mov_b32_e32 v8, 8
	v_lshl_add_u32 v6, v6, 10, 0x2000
	v_lshlrev_b32_e32 v1, 23, v1
	v_lshlrev_b32_sdwa v3, v8, v3 dst_sel:DWORD dst_unused:UNUSED_PAD src0_sel:DWORD src1_sel:WORD_0
	v_and_or_b32 v3, 0x8000, v3, v6
	v_lshl_or_b32 v64, v3, 16, v1
.LBB285_1056:                           ;   in Loop: Header=BB285_15 Depth=1
	s_or_b32 exec_lo, exec_lo, s22
.LBB285_1057:                           ;   in Loop: Header=BB285_15 Depth=1
	s_or_b32 exec_lo, exec_lo, s21
.LBB285_1058:                           ;   in Loop: Header=BB285_15 Depth=1
	s_or_b32 exec_lo, exec_lo, s20
	v_lshrrev_b32_e32 v3, 16, v27
	v_cmp_ne_u16_sdwa s5, v3, v4 src0_sel:BYTE_0 src1_sel:DWORD
	s_and_saveexec_b32 s20, s5
	s_cbranch_execz .LBB285_1066
; %bb.1059:                             ;   in Loop: Header=BB285_15 Depth=1
	v_cmp_ne_u16_sdwa s5, v3, v54 src0_sel:BYTE_0 src1_sel:DWORD
	v_mov_b32_e32 v55, 0x8000
	s_and_saveexec_b32 s21, s5
	s_cbranch_execz .LBB285_1065
; %bb.1060:                             ;   in Loop: Header=BB285_15 Depth=1
	v_bfe_u32 v8, v27, 16, 7
	v_mov_b32_e32 v55, 0x7c01
	s_mov_b32 s22, exec_lo
	v_cmpx_ne_u32_e32 0x7f, v8
	s_cbranch_execz .LBB285_1064
; %bb.1061:                             ;   in Loop: Header=BB285_15 Depth=1
	v_and_b32_e32 v1, 7, v3
	v_lshrrev_b32_e32 v6, 3, v8
	s_mov_b32 s23, exec_lo
	v_cmpx_gt_u32_e32 8, v8
; %bb.1062:                             ;   in Loop: Header=BB285_15 Depth=1
	v_ffbh_u32_e32 v1, v1
	v_min_u32_e32 v1, 32, v1
	v_subrev_nc_u32_e32 v6, 28, v1
	v_lshlrev_b64 v[8:9], v6, v[3:4]
	v_sub_nc_u32_e32 v6, 29, v1
	v_and_b32_e32 v1, 7, v8
; %bb.1063:                             ;   in Loop: Header=BB285_15 Depth=1
	s_or_b32 exec_lo, exec_lo, s23
	v_lshlrev_b32_e32 v3, 8, v3
	v_lshl_add_u32 v6, v6, 10, 0x2000
	v_lshlrev_b32_e32 v1, 7, v1
	v_and_b32_e32 v3, 0x8000, v3
	v_and_b32_e32 v6, 0xfc00, v6
	v_or3_b32 v55, v3, v6, v1
.LBB285_1064:                           ;   in Loop: Header=BB285_15 Depth=1
	s_or_b32 exec_lo, exec_lo, s22
.LBB285_1065:                           ;   in Loop: Header=BB285_15 Depth=1
	s_or_b32 exec_lo, exec_lo, s21
.LBB285_1066:                           ;   in Loop: Header=BB285_15 Depth=1
	s_or_b32 exec_lo, exec_lo, s20
	v_mov_b32_e32 v85, 0
	v_mov_b32_e32 v97, 0
	s_mov_b32 s20, exec_lo
	v_cmpx_lt_u32_e32 0xffffff, v27
	s_cbranch_execz .LBB285_1074
; %bb.1067:                             ;   in Loop: Header=BB285_15 Depth=1
	v_lshrrev_b32_e32 v3, 24, v27
	v_bfrev_b32_e32 v97, 1
	s_mov_b32 s21, exec_lo
	v_cmpx_ne_u32_e32 0x80, v3
	s_cbranch_execz .LBB285_1073
; %bb.1068:                             ;   in Loop: Header=BB285_15 Depth=1
	v_and_b32_e32 v8, 0x7f, v3
	v_mov_b32_e32 v97, 0x7c010000
	s_mov_b32 s22, exec_lo
	v_cmpx_ne_u32_e32 0x7f, v8
	s_cbranch_execz .LBB285_1072
; %bb.1069:                             ;   in Loop: Header=BB285_15 Depth=1
	v_and_b32_e32 v1, 7, v3
	v_lshrrev_b32_e32 v6, 3, v8
	s_mov_b32 s23, exec_lo
	v_cmpx_gt_u32_e32 8, v8
; %bb.1070:                             ;   in Loop: Header=BB285_15 Depth=1
	v_ffbh_u32_e32 v1, v1
	v_min_u32_e32 v1, 32, v1
	v_subrev_nc_u32_e32 v6, 28, v1
	v_lshlrev_b64 v[8:9], v6, v[3:4]
	v_sub_nc_u32_e32 v6, 29, v1
	v_and_b32_e32 v1, 7, v8
; %bb.1071:                             ;   in Loop: Header=BB285_15 Depth=1
	s_or_b32 exec_lo, exec_lo, s23
	v_lshlrev_b32_e32 v3, 8, v3
	v_lshl_add_u32 v6, v6, 10, 0x2000
	v_lshlrev_b32_e32 v1, 23, v1
	v_and_or_b32 v3, 0x8000, v3, v6
	v_lshl_or_b32 v97, v3, 16, v1
.LBB285_1072:                           ;   in Loop: Header=BB285_15 Depth=1
	s_or_b32 exec_lo, exec_lo, s22
.LBB285_1073:                           ;   in Loop: Header=BB285_15 Depth=1
	s_or_b32 exec_lo, exec_lo, s21
.LBB285_1074:                           ;   in Loop: Header=BB285_15 Depth=1
	s_or_b32 exec_lo, exec_lo, s20
	v_mov_b32_e32 v3, v28
	v_cmp_ne_u16_sdwa s5, v28, v4 src0_sel:BYTE_0 src1_sel:DWORD
	s_and_saveexec_b32 s20, s5
	s_cbranch_execz .LBB285_1082
; %bb.1075:                             ;   in Loop: Header=BB285_15 Depth=1
	v_cmp_ne_u16_sdwa s5, v28, v54 src0_sel:BYTE_0 src1_sel:DWORD
	v_mov_b32_e32 v85, 0x8000
	s_and_saveexec_b32 s21, s5
	s_cbranch_execz .LBB285_1081
; %bb.1076:                             ;   in Loop: Header=BB285_15 Depth=1
	v_and_b32_e32 v8, 0x7f, v28
	v_mov_b32_e32 v85, 0x7c01
	s_mov_b32 s22, exec_lo
	v_cmpx_ne_u32_e32 0x7f, v8
	s_cbranch_execz .LBB285_1080
; %bb.1077:                             ;   in Loop: Header=BB285_15 Depth=1
	v_and_b32_e32 v1, 7, v28
	v_lshrrev_b32_e32 v6, 3, v8
	s_mov_b32 s23, exec_lo
	v_cmpx_gt_u32_e32 8, v8
; %bb.1078:                             ;   in Loop: Header=BB285_15 Depth=1
	v_ffbh_u32_e32 v1, v1
	v_min_u32_e32 v1, 32, v1
	v_subrev_nc_u32_e32 v6, 28, v1
	v_lshlrev_b64 v[8:9], v6, v[3:4]
	v_sub_nc_u32_e32 v6, 29, v1
	v_and_b32_e32 v1, 7, v8
; %bb.1079:                             ;   in Loop: Header=BB285_15 Depth=1
	s_or_b32 exec_lo, exec_lo, s23
	v_lshlrev_b32_e32 v8, 8, v28
	v_lshl_add_u32 v6, v6, 10, 0x2000
	v_lshlrev_b32_e32 v1, 7, v1
	v_and_b32_e32 v8, 0x8000, v8
	v_and_b32_e32 v6, 0xfc00, v6
	v_or3_b32 v85, v8, v6, v1
.LBB285_1080:                           ;   in Loop: Header=BB285_15 Depth=1
	s_or_b32 exec_lo, exec_lo, s22
.LBB285_1081:                           ;   in Loop: Header=BB285_15 Depth=1
	s_or_b32 exec_lo, exec_lo, s21
.LBB285_1082:                           ;   in Loop: Header=BB285_15 Depth=1
	s_or_b32 exec_lo, exec_lo, s20
	v_lshrrev_b16 v3, 8, v3
	v_mov_b32_e32 v66, 0
	v_mov_b32_e32 v100, 0
	s_mov_b32 s20, exec_lo
	v_cmpx_ne_u16_e32 0, v3
	s_cbranch_execz .LBB285_1090
; %bb.1083:                             ;   in Loop: Header=BB285_15 Depth=1
	v_bfrev_b32_e32 v100, 1
	s_mov_b32 s21, exec_lo
	v_cmpx_ne_u16_e32 0x80, v3
	s_cbranch_execz .LBB285_1089
; %bb.1084:                             ;   in Loop: Header=BB285_15 Depth=1
	v_mov_b32_e32 v1, 0x7f
	v_mov_b32_e32 v100, 0x7c010000
	s_mov_b32 s22, exec_lo
	v_and_b32_sdwa v8, v3, v1 dst_sel:DWORD dst_unused:UNUSED_PAD src0_sel:WORD_0 src1_sel:DWORD
	v_cmpx_ne_u32_e32 0x7f, v8
	s_cbranch_execz .LBB285_1088
; %bb.1085:                             ;   in Loop: Header=BB285_15 Depth=1
	v_mov_b32_e32 v1, 7
	v_lshrrev_b32_e32 v6, 3, v8
	s_mov_b32 s23, exec_lo
	v_and_b32_sdwa v1, v3, v1 dst_sel:DWORD dst_unused:UNUSED_PAD src0_sel:WORD_0 src1_sel:DWORD
	v_cmpx_gt_u32_e32 8, v8
; %bb.1086:                             ;   in Loop: Header=BB285_15 Depth=1
	v_ffbh_u32_e32 v1, v1
	v_min_u32_e32 v1, 32, v1
	v_subrev_nc_u32_e32 v6, 28, v1
	v_lshlrev_b64 v[8:9], v6, v[3:4]
	v_sub_nc_u32_e32 v6, 29, v1
	v_and_b32_e32 v1, 7, v8
; %bb.1087:                             ;   in Loop: Header=BB285_15 Depth=1
	s_or_b32 exec_lo, exec_lo, s23
	v_mov_b32_e32 v8, 8
	v_lshl_add_u32 v6, v6, 10, 0x2000
	v_lshlrev_b32_e32 v1, 23, v1
	v_lshlrev_b32_sdwa v3, v8, v3 dst_sel:DWORD dst_unused:UNUSED_PAD src0_sel:DWORD src1_sel:WORD_0
	v_and_or_b32 v3, 0x8000, v3, v6
	v_lshl_or_b32 v100, v3, 16, v1
.LBB285_1088:                           ;   in Loop: Header=BB285_15 Depth=1
	s_or_b32 exec_lo, exec_lo, s22
.LBB285_1089:                           ;   in Loop: Header=BB285_15 Depth=1
	s_or_b32 exec_lo, exec_lo, s21
.LBB285_1090:                           ;   in Loop: Header=BB285_15 Depth=1
	s_or_b32 exec_lo, exec_lo, s20
	v_lshrrev_b32_e32 v3, 16, v28
	v_cmp_ne_u16_sdwa s5, v3, v4 src0_sel:BYTE_0 src1_sel:DWORD
	s_and_saveexec_b32 s20, s5
	s_cbranch_execz .LBB285_1098
; %bb.1091:                             ;   in Loop: Header=BB285_15 Depth=1
	v_cmp_ne_u16_sdwa s5, v3, v54 src0_sel:BYTE_0 src1_sel:DWORD
	v_mov_b32_e32 v66, 0x8000
	s_and_saveexec_b32 s21, s5
	s_cbranch_execz .LBB285_1097
; %bb.1092:                             ;   in Loop: Header=BB285_15 Depth=1
	v_bfe_u32 v8, v28, 16, 7
	v_mov_b32_e32 v66, 0x7c01
	s_mov_b32 s22, exec_lo
	v_cmpx_ne_u32_e32 0x7f, v8
	s_cbranch_execz .LBB285_1096
; %bb.1093:                             ;   in Loop: Header=BB285_15 Depth=1
	v_and_b32_e32 v1, 7, v3
	v_lshrrev_b32_e32 v6, 3, v8
	s_mov_b32 s23, exec_lo
	v_cmpx_gt_u32_e32 8, v8
; %bb.1094:                             ;   in Loop: Header=BB285_15 Depth=1
	v_ffbh_u32_e32 v1, v1
	v_min_u32_e32 v1, 32, v1
	v_subrev_nc_u32_e32 v6, 28, v1
	v_lshlrev_b64 v[8:9], v6, v[3:4]
	v_sub_nc_u32_e32 v6, 29, v1
	v_and_b32_e32 v1, 7, v8
; %bb.1095:                             ;   in Loop: Header=BB285_15 Depth=1
	s_or_b32 exec_lo, exec_lo, s23
	v_lshlrev_b32_e32 v3, 8, v3
	v_lshl_add_u32 v6, v6, 10, 0x2000
	v_lshlrev_b32_e32 v1, 7, v1
	v_and_b32_e32 v3, 0x8000, v3
	v_and_b32_e32 v6, 0xfc00, v6
	v_or3_b32 v66, v3, v6, v1
.LBB285_1096:                           ;   in Loop: Header=BB285_15 Depth=1
	s_or_b32 exec_lo, exec_lo, s22
.LBB285_1097:                           ;   in Loop: Header=BB285_15 Depth=1
	s_or_b32 exec_lo, exec_lo, s21
.LBB285_1098:                           ;   in Loop: Header=BB285_15 Depth=1
	s_or_b32 exec_lo, exec_lo, s20
	v_mov_b32_e32 v9, 0
	v_mov_b32_e32 v101, 0
	s_mov_b32 s20, exec_lo
	v_cmpx_lt_u64_e64 s[12:13], v[27:28]
	s_cbranch_execz .LBB285_1106
; %bb.1099:                             ;   in Loop: Header=BB285_15 Depth=1
	v_lshrrev_b32_e32 v3, 24, v28
	v_bfrev_b32_e32 v101, 1
	s_mov_b32 s21, exec_lo
	v_cmpx_ne_u32_e32 0x80, v3
	s_cbranch_execz .LBB285_1105
; %bb.1100:                             ;   in Loop: Header=BB285_15 Depth=1
	v_and_b32_e32 v8, 0x7f, v3
	v_mov_b32_e32 v101, 0x7c010000
	s_mov_b32 s22, exec_lo
	v_cmpx_ne_u32_e32 0x7f, v8
	s_cbranch_execz .LBB285_1104
; %bb.1101:                             ;   in Loop: Header=BB285_15 Depth=1
	v_and_b32_e32 v1, 7, v3
	v_lshrrev_b32_e32 v6, 3, v8
	s_mov_b32 s23, exec_lo
	v_cmpx_gt_u32_e32 8, v8
; %bb.1102:                             ;   in Loop: Header=BB285_15 Depth=1
	v_ffbh_u32_e32 v1, v1
	v_min_u32_e32 v1, 32, v1
	v_subrev_nc_u32_e32 v6, 28, v1
	v_lshlrev_b64 v[20:21], v6, v[3:4]
	v_sub_nc_u32_e32 v6, 29, v1
	v_and_b32_e32 v1, 7, v20
; %bb.1103:                             ;   in Loop: Header=BB285_15 Depth=1
	s_or_b32 exec_lo, exec_lo, s23
	v_lshlrev_b32_e32 v3, 8, v3
	v_lshl_add_u32 v6, v6, 10, 0x2000
	v_lshlrev_b32_e32 v1, 23, v1
	v_and_or_b32 v3, 0x8000, v3, v6
	v_lshl_or_b32 v101, v3, 16, v1
.LBB285_1104:                           ;   in Loop: Header=BB285_15 Depth=1
	s_or_b32 exec_lo, exec_lo, s22
.LBB285_1105:                           ;   in Loop: Header=BB285_15 Depth=1
	s_or_b32 exec_lo, exec_lo, s21
.LBB285_1106:                           ;   in Loop: Header=BB285_15 Depth=1
	s_or_b32 exec_lo, exec_lo, s20
	flat_load_dwordx2 v[27:28], v[24:25] offset:8
	s_waitcnt vmcnt(0) lgkmcnt(0)
	v_cmp_ne_u16_sdwa s5, v27, v4 src0_sel:BYTE_0 src1_sel:DWORD
	s_and_saveexec_b32 s20, s5
	s_cbranch_execz .LBB285_1114
; %bb.1107:                             ;   in Loop: Header=BB285_15 Depth=1
	v_cmp_ne_u16_sdwa s5, v27, v54 src0_sel:BYTE_0 src1_sel:DWORD
	v_mov_b32_e32 v9, 0x8000
	s_and_saveexec_b32 s21, s5
	s_cbranch_execz .LBB285_1113
; %bb.1108:                             ;   in Loop: Header=BB285_15 Depth=1
	v_and_b32_e32 v6, 0x7f, v27
	v_mov_b32_e32 v9, 0x7c01
	s_mov_b32 s22, exec_lo
	v_cmpx_ne_u32_e32 0x7f, v6
	s_cbranch_execz .LBB285_1112
; %bb.1109:                             ;   in Loop: Header=BB285_15 Depth=1
	v_and_b32_e32 v1, 7, v27
	v_lshrrev_b32_e32 v3, 3, v6
	s_mov_b32 s23, exec_lo
	v_cmpx_gt_u32_e32 8, v6
; %bb.1110:                             ;   in Loop: Header=BB285_15 Depth=1
	v_ffbh_u32_e32 v1, v1
	v_min_u32_e32 v1, 32, v1
	v_subrev_nc_u32_e32 v3, 28, v1
	v_lshlrev_b64 v[8:9], v3, v[27:28]
	v_sub_nc_u32_e32 v3, 29, v1
	v_and_b32_e32 v1, 7, v8
; %bb.1111:                             ;   in Loop: Header=BB285_15 Depth=1
	s_or_b32 exec_lo, exec_lo, s23
	v_lshlrev_b32_e32 v6, 8, v27
	v_lshl_add_u32 v3, v3, 10, 0x2000
	v_lshlrev_b32_e32 v1, 7, v1
	v_and_b32_e32 v6, 0x8000, v6
	v_and_b32_e32 v3, 0xfc00, v3
	v_or3_b32 v9, v6, v3, v1
.LBB285_1112:                           ;   in Loop: Header=BB285_15 Depth=1
	s_or_b32 exec_lo, exec_lo, s22
.LBB285_1113:                           ;   in Loop: Header=BB285_15 Depth=1
	s_or_b32 exec_lo, exec_lo, s21
.LBB285_1114:                           ;   in Loop: Header=BB285_15 Depth=1
	s_or_b32 exec_lo, exec_lo, s20
	v_lshrrev_b16 v3, 8, v27
	v_mov_b32_e32 v38, 0
	v_mov_b32_e32 v36, 0
	s_mov_b32 s20, exec_lo
	v_cmpx_ne_u16_e32 0, v3
	s_cbranch_execz .LBB285_1122
; %bb.1115:                             ;   in Loop: Header=BB285_15 Depth=1
	v_bfrev_b32_e32 v36, 1
	s_mov_b32 s21, exec_lo
	v_cmpx_ne_u16_e32 0x80, v3
	s_cbranch_execz .LBB285_1121
; %bb.1116:                             ;   in Loop: Header=BB285_15 Depth=1
	v_mov_b32_e32 v1, 0x7f
	v_mov_b32_e32 v36, 0x7c010000
	s_mov_b32 s22, exec_lo
	v_and_b32_sdwa v8, v3, v1 dst_sel:DWORD dst_unused:UNUSED_PAD src0_sel:WORD_0 src1_sel:DWORD
	v_cmpx_ne_u32_e32 0x7f, v8
	s_cbranch_execz .LBB285_1120
; %bb.1117:                             ;   in Loop: Header=BB285_15 Depth=1
	v_mov_b32_e32 v1, 7
	v_lshrrev_b32_e32 v6, 3, v8
	s_mov_b32 s23, exec_lo
	v_and_b32_sdwa v1, v3, v1 dst_sel:DWORD dst_unused:UNUSED_PAD src0_sel:WORD_0 src1_sel:DWORD
	v_cmpx_gt_u32_e32 8, v8
; %bb.1118:                             ;   in Loop: Header=BB285_15 Depth=1
	v_ffbh_u32_e32 v1, v1
	v_min_u32_e32 v1, 32, v1
	v_subrev_nc_u32_e32 v6, 28, v1
	v_lshlrev_b64 v[20:21], v6, v[3:4]
	v_sub_nc_u32_e32 v6, 29, v1
	v_and_b32_e32 v1, 7, v20
; %bb.1119:                             ;   in Loop: Header=BB285_15 Depth=1
	s_or_b32 exec_lo, exec_lo, s23
	v_mov_b32_e32 v8, 8
	v_lshl_add_u32 v6, v6, 10, 0x2000
	v_lshlrev_b32_e32 v1, 23, v1
	v_lshlrev_b32_sdwa v3, v8, v3 dst_sel:DWORD dst_unused:UNUSED_PAD src0_sel:DWORD src1_sel:WORD_0
	v_and_or_b32 v3, 0x8000, v3, v6
	v_lshl_or_b32 v36, v3, 16, v1
.LBB285_1120:                           ;   in Loop: Header=BB285_15 Depth=1
	s_or_b32 exec_lo, exec_lo, s22
.LBB285_1121:                           ;   in Loop: Header=BB285_15 Depth=1
	s_or_b32 exec_lo, exec_lo, s21
.LBB285_1122:                           ;   in Loop: Header=BB285_15 Depth=1
	s_or_b32 exec_lo, exec_lo, s20
	v_lshrrev_b32_e32 v3, 16, v27
	v_cmp_ne_u16_sdwa s5, v3, v4 src0_sel:BYTE_0 src1_sel:DWORD
	s_and_saveexec_b32 s20, s5
	s_cbranch_execz .LBB285_1130
; %bb.1123:                             ;   in Loop: Header=BB285_15 Depth=1
	v_cmp_ne_u16_sdwa s5, v3, v54 src0_sel:BYTE_0 src1_sel:DWORD
	v_mov_b32_e32 v38, 0x8000
	s_and_saveexec_b32 s21, s5
	s_cbranch_execz .LBB285_1129
; %bb.1124:                             ;   in Loop: Header=BB285_15 Depth=1
	v_bfe_u32 v8, v27, 16, 7
	v_mov_b32_e32 v38, 0x7c01
	s_mov_b32 s22, exec_lo
	v_cmpx_ne_u32_e32 0x7f, v8
	s_cbranch_execz .LBB285_1128
; %bb.1125:                             ;   in Loop: Header=BB285_15 Depth=1
	v_and_b32_e32 v1, 7, v3
	v_lshrrev_b32_e32 v6, 3, v8
	s_mov_b32 s23, exec_lo
	v_cmpx_gt_u32_e32 8, v8
; %bb.1126:                             ;   in Loop: Header=BB285_15 Depth=1
	v_ffbh_u32_e32 v1, v1
	v_min_u32_e32 v1, 32, v1
	v_subrev_nc_u32_e32 v6, 28, v1
	v_lshlrev_b64 v[20:21], v6, v[3:4]
	v_sub_nc_u32_e32 v6, 29, v1
	v_and_b32_e32 v1, 7, v20
; %bb.1127:                             ;   in Loop: Header=BB285_15 Depth=1
	s_or_b32 exec_lo, exec_lo, s23
	v_lshlrev_b32_e32 v3, 8, v3
	v_lshl_add_u32 v6, v6, 10, 0x2000
	v_lshlrev_b32_e32 v1, 7, v1
	v_and_b32_e32 v3, 0x8000, v3
	v_and_b32_e32 v6, 0xfc00, v6
	v_or3_b32 v38, v3, v6, v1
.LBB285_1128:                           ;   in Loop: Header=BB285_15 Depth=1
	s_or_b32 exec_lo, exec_lo, s22
.LBB285_1129:                           ;   in Loop: Header=BB285_15 Depth=1
	s_or_b32 exec_lo, exec_lo, s21
.LBB285_1130:                           ;   in Loop: Header=BB285_15 Depth=1
	s_or_b32 exec_lo, exec_lo, s20
	v_mov_b32_e32 v99, 0
	v_mov_b32_e32 v103, 0
	s_mov_b32 s20, exec_lo
	v_cmpx_lt_u32_e32 0xffffff, v27
	s_cbranch_execz .LBB285_1138
; %bb.1131:                             ;   in Loop: Header=BB285_15 Depth=1
	v_lshrrev_b32_e32 v3, 24, v27
	v_bfrev_b32_e32 v103, 1
	s_mov_b32 s21, exec_lo
	v_cmpx_ne_u32_e32 0x80, v3
	s_cbranch_execz .LBB285_1137
; %bb.1132:                             ;   in Loop: Header=BB285_15 Depth=1
	v_and_b32_e32 v8, 0x7f, v3
	v_mov_b32_e32 v103, 0x7c010000
	s_mov_b32 s22, exec_lo
	v_cmpx_ne_u32_e32 0x7f, v8
	s_cbranch_execz .LBB285_1136
; %bb.1133:                             ;   in Loop: Header=BB285_15 Depth=1
	v_and_b32_e32 v1, 7, v3
	v_lshrrev_b32_e32 v6, 3, v8
	s_mov_b32 s23, exec_lo
	v_cmpx_gt_u32_e32 8, v8
; %bb.1134:                             ;   in Loop: Header=BB285_15 Depth=1
	v_ffbh_u32_e32 v1, v1
	v_min_u32_e32 v1, 32, v1
	v_subrev_nc_u32_e32 v6, 28, v1
	v_lshlrev_b64 v[20:21], v6, v[3:4]
	v_sub_nc_u32_e32 v6, 29, v1
	v_and_b32_e32 v1, 7, v20
; %bb.1135:                             ;   in Loop: Header=BB285_15 Depth=1
	s_or_b32 exec_lo, exec_lo, s23
	v_lshlrev_b32_e32 v3, 8, v3
	v_lshl_add_u32 v6, v6, 10, 0x2000
	v_lshlrev_b32_e32 v1, 23, v1
	v_and_or_b32 v3, 0x8000, v3, v6
	v_lshl_or_b32 v103, v3, 16, v1
.LBB285_1136:                           ;   in Loop: Header=BB285_15 Depth=1
	s_or_b32 exec_lo, exec_lo, s22
.LBB285_1137:                           ;   in Loop: Header=BB285_15 Depth=1
	s_or_b32 exec_lo, exec_lo, s21
.LBB285_1138:                           ;   in Loop: Header=BB285_15 Depth=1
	s_or_b32 exec_lo, exec_lo, s20
	v_mov_b32_e32 v3, v28
	v_cmp_ne_u16_sdwa s5, v28, v4 src0_sel:BYTE_0 src1_sel:DWORD
	s_and_saveexec_b32 s20, s5
	s_cbranch_execz .LBB285_1146
; %bb.1139:                             ;   in Loop: Header=BB285_15 Depth=1
	v_cmp_ne_u16_sdwa s5, v28, v54 src0_sel:BYTE_0 src1_sel:DWORD
	v_mov_b32_e32 v99, 0x8000
	s_and_saveexec_b32 s21, s5
	s_cbranch_execz .LBB285_1145
; %bb.1140:                             ;   in Loop: Header=BB285_15 Depth=1
	v_and_b32_e32 v8, 0x7f, v28
	v_mov_b32_e32 v99, 0x7c01
	s_mov_b32 s22, exec_lo
	v_cmpx_ne_u32_e32 0x7f, v8
	s_cbranch_execz .LBB285_1144
; %bb.1141:                             ;   in Loop: Header=BB285_15 Depth=1
	v_and_b32_e32 v1, 7, v28
	v_lshrrev_b32_e32 v6, 3, v8
	s_mov_b32 s23, exec_lo
	v_cmpx_gt_u32_e32 8, v8
; %bb.1142:                             ;   in Loop: Header=BB285_15 Depth=1
	v_ffbh_u32_e32 v1, v1
	v_min_u32_e32 v1, 32, v1
	v_subrev_nc_u32_e32 v6, 28, v1
	v_lshlrev_b64 v[20:21], v6, v[3:4]
	v_sub_nc_u32_e32 v6, 29, v1
	v_and_b32_e32 v1, 7, v20
; %bb.1143:                             ;   in Loop: Header=BB285_15 Depth=1
	s_or_b32 exec_lo, exec_lo, s23
	v_lshlrev_b32_e32 v8, 8, v28
	v_lshl_add_u32 v6, v6, 10, 0x2000
	v_lshlrev_b32_e32 v1, 7, v1
	v_and_b32_e32 v8, 0x8000, v8
	v_and_b32_e32 v6, 0xfc00, v6
	v_or3_b32 v99, v8, v6, v1
.LBB285_1144:                           ;   in Loop: Header=BB285_15 Depth=1
	s_or_b32 exec_lo, exec_lo, s22
.LBB285_1145:                           ;   in Loop: Header=BB285_15 Depth=1
	s_or_b32 exec_lo, exec_lo, s21
.LBB285_1146:                           ;   in Loop: Header=BB285_15 Depth=1
	s_or_b32 exec_lo, exec_lo, s20
	v_lshrrev_b16 v3, 8, v3
	v_mov_b32_e32 v46, 0
	v_mov_b32_e32 v62, 0
	s_mov_b32 s20, exec_lo
	v_cmpx_ne_u16_e32 0, v3
	s_cbranch_execz .LBB285_1154
; %bb.1147:                             ;   in Loop: Header=BB285_15 Depth=1
	v_bfrev_b32_e32 v62, 1
	s_mov_b32 s21, exec_lo
	v_cmpx_ne_u16_e32 0x80, v3
	s_cbranch_execz .LBB285_1153
; %bb.1148:                             ;   in Loop: Header=BB285_15 Depth=1
	v_mov_b32_e32 v1, 0x7f
	v_mov_b32_e32 v62, 0x7c010000
	s_mov_b32 s22, exec_lo
	v_and_b32_sdwa v8, v3, v1 dst_sel:DWORD dst_unused:UNUSED_PAD src0_sel:WORD_0 src1_sel:DWORD
	v_cmpx_ne_u32_e32 0x7f, v8
	s_cbranch_execz .LBB285_1152
; %bb.1149:                             ;   in Loop: Header=BB285_15 Depth=1
	v_mov_b32_e32 v1, 7
	v_lshrrev_b32_e32 v6, 3, v8
	s_mov_b32 s23, exec_lo
	v_and_b32_sdwa v1, v3, v1 dst_sel:DWORD dst_unused:UNUSED_PAD src0_sel:WORD_0 src1_sel:DWORD
	v_cmpx_gt_u32_e32 8, v8
; %bb.1150:                             ;   in Loop: Header=BB285_15 Depth=1
	v_ffbh_u32_e32 v1, v1
	v_min_u32_e32 v1, 32, v1
	v_subrev_nc_u32_e32 v6, 28, v1
	v_lshlrev_b64 v[20:21], v6, v[3:4]
	v_sub_nc_u32_e32 v6, 29, v1
	v_and_b32_e32 v1, 7, v20
; %bb.1151:                             ;   in Loop: Header=BB285_15 Depth=1
	s_or_b32 exec_lo, exec_lo, s23
	v_mov_b32_e32 v8, 8
	v_lshl_add_u32 v6, v6, 10, 0x2000
	v_lshlrev_b32_e32 v1, 23, v1
	v_lshlrev_b32_sdwa v3, v8, v3 dst_sel:DWORD dst_unused:UNUSED_PAD src0_sel:DWORD src1_sel:WORD_0
	v_and_or_b32 v3, 0x8000, v3, v6
	v_lshl_or_b32 v62, v3, 16, v1
.LBB285_1152:                           ;   in Loop: Header=BB285_15 Depth=1
	s_or_b32 exec_lo, exec_lo, s22
.LBB285_1153:                           ;   in Loop: Header=BB285_15 Depth=1
	s_or_b32 exec_lo, exec_lo, s21
.LBB285_1154:                           ;   in Loop: Header=BB285_15 Depth=1
	s_or_b32 exec_lo, exec_lo, s20
	v_lshrrev_b32_e32 v3, 16, v28
	v_cmp_ne_u16_sdwa s5, v3, v4 src0_sel:BYTE_0 src1_sel:DWORD
	s_and_saveexec_b32 s20, s5
	s_cbranch_execz .LBB285_1162
; %bb.1155:                             ;   in Loop: Header=BB285_15 Depth=1
	v_cmp_ne_u16_sdwa s5, v3, v54 src0_sel:BYTE_0 src1_sel:DWORD
	v_mov_b32_e32 v46, 0x8000
	s_and_saveexec_b32 s21, s5
	s_cbranch_execz .LBB285_1161
; %bb.1156:                             ;   in Loop: Header=BB285_15 Depth=1
	v_bfe_u32 v8, v28, 16, 7
	v_mov_b32_e32 v46, 0x7c01
	s_mov_b32 s22, exec_lo
	v_cmpx_ne_u32_e32 0x7f, v8
	s_cbranch_execz .LBB285_1160
; %bb.1157:                             ;   in Loop: Header=BB285_15 Depth=1
	v_and_b32_e32 v1, 7, v3
	v_lshrrev_b32_e32 v6, 3, v8
	s_mov_b32 s23, exec_lo
	v_cmpx_gt_u32_e32 8, v8
; %bb.1158:                             ;   in Loop: Header=BB285_15 Depth=1
	v_ffbh_u32_e32 v1, v1
	v_min_u32_e32 v1, 32, v1
	v_subrev_nc_u32_e32 v6, 28, v1
	v_lshlrev_b64 v[20:21], v6, v[3:4]
	v_sub_nc_u32_e32 v6, 29, v1
	v_and_b32_e32 v1, 7, v20
; %bb.1159:                             ;   in Loop: Header=BB285_15 Depth=1
	s_or_b32 exec_lo, exec_lo, s23
	v_lshlrev_b32_e32 v3, 8, v3
	v_lshl_add_u32 v6, v6, 10, 0x2000
	v_lshlrev_b32_e32 v1, 7, v1
	v_and_b32_e32 v3, 0x8000, v3
	v_and_b32_e32 v6, 0xfc00, v6
	v_or3_b32 v46, v3, v6, v1
.LBB285_1160:                           ;   in Loop: Header=BB285_15 Depth=1
	s_or_b32 exec_lo, exec_lo, s22
.LBB285_1161:                           ;   in Loop: Header=BB285_15 Depth=1
	s_or_b32 exec_lo, exec_lo, s21
.LBB285_1162:                           ;   in Loop: Header=BB285_15 Depth=1
	s_or_b32 exec_lo, exec_lo, s20
	v_mov_b32_e32 v30, 0
	v_mov_b32_e32 v29, 0
	s_mov_b32 s20, exec_lo
	v_cmpx_lt_u64_e64 s[12:13], v[27:28]
	s_cbranch_execz .LBB285_1170
; %bb.1163:                             ;   in Loop: Header=BB285_15 Depth=1
	v_lshrrev_b32_e32 v3, 24, v28
	v_bfrev_b32_e32 v29, 1
	s_mov_b32 s21, exec_lo
	v_cmpx_ne_u32_e32 0x80, v3
	s_cbranch_execz .LBB285_1169
; %bb.1164:                             ;   in Loop: Header=BB285_15 Depth=1
	v_and_b32_e32 v8, 0x7f, v3
	v_mov_b32_e32 v29, 0x7c010000
	s_mov_b32 s22, exec_lo
	v_cmpx_ne_u32_e32 0x7f, v8
	s_cbranch_execz .LBB285_1168
; %bb.1165:                             ;   in Loop: Header=BB285_15 Depth=1
	v_and_b32_e32 v1, 7, v3
	v_lshrrev_b32_e32 v6, 3, v8
	s_mov_b32 s23, exec_lo
	v_cmpx_gt_u32_e32 8, v8
; %bb.1166:                             ;   in Loop: Header=BB285_15 Depth=1
	v_ffbh_u32_e32 v1, v1
	v_min_u32_e32 v1, 32, v1
	v_subrev_nc_u32_e32 v6, 28, v1
	v_lshlrev_b64 v[20:21], v6, v[3:4]
	v_sub_nc_u32_e32 v6, 29, v1
	v_and_b32_e32 v1, 7, v20
; %bb.1167:                             ;   in Loop: Header=BB285_15 Depth=1
	s_or_b32 exec_lo, exec_lo, s23
	v_lshlrev_b32_e32 v3, 8, v3
	v_lshl_add_u32 v6, v6, 10, 0x2000
	v_lshlrev_b32_e32 v1, 23, v1
	v_and_or_b32 v3, 0x8000, v3, v6
	v_lshl_or_b32 v29, v3, 16, v1
.LBB285_1168:                           ;   in Loop: Header=BB285_15 Depth=1
	s_or_b32 exec_lo, exec_lo, s22
.LBB285_1169:                           ;   in Loop: Header=BB285_15 Depth=1
	s_or_b32 exec_lo, exec_lo, s21
.LBB285_1170:                           ;   in Loop: Header=BB285_15 Depth=1
	s_or_b32 exec_lo, exec_lo, s20
	flat_load_dwordx2 v[27:28], v[24:25] offset:512
	s_waitcnt vmcnt(0) lgkmcnt(0)
	v_cmp_ne_u16_sdwa s5, v27, v4 src0_sel:BYTE_0 src1_sel:DWORD
	s_and_saveexec_b32 s20, s5
	s_cbranch_execz .LBB285_1178
; %bb.1171:                             ;   in Loop: Header=BB285_15 Depth=1
	v_cmp_ne_u16_sdwa s5, v27, v54 src0_sel:BYTE_0 src1_sel:DWORD
	v_mov_b32_e32 v30, 0x8000
	s_and_saveexec_b32 s21, s5
	s_cbranch_execz .LBB285_1177
; %bb.1172:                             ;   in Loop: Header=BB285_15 Depth=1
	v_and_b32_e32 v6, 0x7f, v27
	v_mov_b32_e32 v30, 0x7c01
	s_mov_b32 s22, exec_lo
	v_cmpx_ne_u32_e32 0x7f, v6
	s_cbranch_execz .LBB285_1176
; %bb.1173:                             ;   in Loop: Header=BB285_15 Depth=1
	v_and_b32_e32 v1, 7, v27
	v_lshrrev_b32_e32 v3, 3, v6
	s_mov_b32 s23, exec_lo
	v_cmpx_gt_u32_e32 8, v6
; %bb.1174:                             ;   in Loop: Header=BB285_15 Depth=1
	v_ffbh_u32_e32 v1, v1
	v_min_u32_e32 v1, 32, v1
	v_subrev_nc_u32_e32 v3, 28, v1
	v_lshlrev_b64 v[20:21], v3, v[27:28]
	v_sub_nc_u32_e32 v3, 29, v1
	v_and_b32_e32 v1, 7, v20
; %bb.1175:                             ;   in Loop: Header=BB285_15 Depth=1
	s_or_b32 exec_lo, exec_lo, s23
	v_lshlrev_b32_e32 v6, 8, v27
	v_lshl_add_u32 v3, v3, 10, 0x2000
	v_lshlrev_b32_e32 v1, 7, v1
	v_and_b32_e32 v6, 0x8000, v6
	v_and_b32_e32 v3, 0xfc00, v3
	v_or3_b32 v30, v6, v3, v1
.LBB285_1176:                           ;   in Loop: Header=BB285_15 Depth=1
	s_or_b32 exec_lo, exec_lo, s22
.LBB285_1177:                           ;   in Loop: Header=BB285_15 Depth=1
	s_or_b32 exec_lo, exec_lo, s21
.LBB285_1178:                           ;   in Loop: Header=BB285_15 Depth=1
	s_or_b32 exec_lo, exec_lo, s20
	v_lshrrev_b16 v3, 8, v27
	v_mov_b32_e32 v59, 0
	v_mov_b32_e32 v57, 0
	s_mov_b32 s20, exec_lo
	v_cmpx_ne_u16_e32 0, v3
	s_cbranch_execz .LBB285_1186
; %bb.1179:                             ;   in Loop: Header=BB285_15 Depth=1
	v_bfrev_b32_e32 v57, 1
	s_mov_b32 s21, exec_lo
	v_cmpx_ne_u16_e32 0x80, v3
	s_cbranch_execz .LBB285_1185
; %bb.1180:                             ;   in Loop: Header=BB285_15 Depth=1
	v_mov_b32_e32 v1, 0x7f
	v_mov_b32_e32 v57, 0x7c010000
	s_mov_b32 s22, exec_lo
	v_and_b32_sdwa v8, v3, v1 dst_sel:DWORD dst_unused:UNUSED_PAD src0_sel:WORD_0 src1_sel:DWORD
	v_cmpx_ne_u32_e32 0x7f, v8
	s_cbranch_execz .LBB285_1184
; %bb.1181:                             ;   in Loop: Header=BB285_15 Depth=1
	v_mov_b32_e32 v1, 7
	v_lshrrev_b32_e32 v6, 3, v8
	s_mov_b32 s23, exec_lo
	v_and_b32_sdwa v1, v3, v1 dst_sel:DWORD dst_unused:UNUSED_PAD src0_sel:WORD_0 src1_sel:DWORD
	v_cmpx_gt_u32_e32 8, v8
; %bb.1182:                             ;   in Loop: Header=BB285_15 Depth=1
	v_ffbh_u32_e32 v1, v1
	v_min_u32_e32 v1, 32, v1
	v_subrev_nc_u32_e32 v6, 28, v1
	v_lshlrev_b64 v[20:21], v6, v[3:4]
	v_sub_nc_u32_e32 v6, 29, v1
	v_and_b32_e32 v1, 7, v20
; %bb.1183:                             ;   in Loop: Header=BB285_15 Depth=1
	s_or_b32 exec_lo, exec_lo, s23
	v_mov_b32_e32 v8, 8
	v_lshl_add_u32 v6, v6, 10, 0x2000
	v_lshlrev_b32_e32 v1, 23, v1
	v_lshlrev_b32_sdwa v3, v8, v3 dst_sel:DWORD dst_unused:UNUSED_PAD src0_sel:DWORD src1_sel:WORD_0
	v_and_or_b32 v3, 0x8000, v3, v6
	v_lshl_or_b32 v57, v3, 16, v1
.LBB285_1184:                           ;   in Loop: Header=BB285_15 Depth=1
	s_or_b32 exec_lo, exec_lo, s22
.LBB285_1185:                           ;   in Loop: Header=BB285_15 Depth=1
	s_or_b32 exec_lo, exec_lo, s21
.LBB285_1186:                           ;   in Loop: Header=BB285_15 Depth=1
	s_or_b32 exec_lo, exec_lo, s20
	v_lshrrev_b32_e32 v3, 16, v27
	v_cmp_ne_u16_sdwa s5, v3, v4 src0_sel:BYTE_0 src1_sel:DWORD
	s_and_saveexec_b32 s20, s5
	s_cbranch_execz .LBB285_1194
; %bb.1187:                             ;   in Loop: Header=BB285_15 Depth=1
	v_cmp_ne_u16_sdwa s5, v3, v54 src0_sel:BYTE_0 src1_sel:DWORD
	v_mov_b32_e32 v59, 0x8000
	s_and_saveexec_b32 s21, s5
	s_cbranch_execz .LBB285_1193
; %bb.1188:                             ;   in Loop: Header=BB285_15 Depth=1
	v_bfe_u32 v8, v27, 16, 7
	v_mov_b32_e32 v59, 0x7c01
	s_mov_b32 s22, exec_lo
	v_cmpx_ne_u32_e32 0x7f, v8
	s_cbranch_execz .LBB285_1192
; %bb.1189:                             ;   in Loop: Header=BB285_15 Depth=1
	v_and_b32_e32 v1, 7, v3
	v_lshrrev_b32_e32 v6, 3, v8
	s_mov_b32 s23, exec_lo
	v_cmpx_gt_u32_e32 8, v8
; %bb.1190:                             ;   in Loop: Header=BB285_15 Depth=1
	v_ffbh_u32_e32 v1, v1
	v_min_u32_e32 v1, 32, v1
	v_subrev_nc_u32_e32 v6, 28, v1
	v_lshlrev_b64 v[20:21], v6, v[3:4]
	v_sub_nc_u32_e32 v6, 29, v1
	v_and_b32_e32 v1, 7, v20
; %bb.1191:                             ;   in Loop: Header=BB285_15 Depth=1
	s_or_b32 exec_lo, exec_lo, s23
	v_lshlrev_b32_e32 v3, 8, v3
	v_lshl_add_u32 v6, v6, 10, 0x2000
	v_lshlrev_b32_e32 v1, 7, v1
	v_and_b32_e32 v3, 0x8000, v3
	v_and_b32_e32 v6, 0xfc00, v6
	v_or3_b32 v59, v3, v6, v1
.LBB285_1192:                           ;   in Loop: Header=BB285_15 Depth=1
	s_or_b32 exec_lo, exec_lo, s22
.LBB285_1193:                           ;   in Loop: Header=BB285_15 Depth=1
	s_or_b32 exec_lo, exec_lo, s21
.LBB285_1194:                           ;   in Loop: Header=BB285_15 Depth=1
	s_or_b32 exec_lo, exec_lo, s20
	v_mov_b32_e32 v114, 0
	v_mov_b32_e32 v116, 0
	s_mov_b32 s20, exec_lo
	v_cmpx_lt_u32_e32 0xffffff, v27
	s_cbranch_execz .LBB285_1202
; %bb.1195:                             ;   in Loop: Header=BB285_15 Depth=1
	v_lshrrev_b32_e32 v3, 24, v27
	v_bfrev_b32_e32 v116, 1
	s_mov_b32 s21, exec_lo
	v_cmpx_ne_u32_e32 0x80, v3
	s_cbranch_execz .LBB285_1201
; %bb.1196:                             ;   in Loop: Header=BB285_15 Depth=1
	v_and_b32_e32 v8, 0x7f, v3
	v_mov_b32_e32 v116, 0x7c010000
	s_mov_b32 s22, exec_lo
	v_cmpx_ne_u32_e32 0x7f, v8
	s_cbranch_execz .LBB285_1200
; %bb.1197:                             ;   in Loop: Header=BB285_15 Depth=1
	v_and_b32_e32 v1, 7, v3
	v_lshrrev_b32_e32 v6, 3, v8
	s_mov_b32 s23, exec_lo
	v_cmpx_gt_u32_e32 8, v8
; %bb.1198:                             ;   in Loop: Header=BB285_15 Depth=1
	v_ffbh_u32_e32 v1, v1
	v_min_u32_e32 v1, 32, v1
	v_subrev_nc_u32_e32 v6, 28, v1
	v_lshlrev_b64 v[20:21], v6, v[3:4]
	v_sub_nc_u32_e32 v6, 29, v1
	v_and_b32_e32 v1, 7, v20
; %bb.1199:                             ;   in Loop: Header=BB285_15 Depth=1
	s_or_b32 exec_lo, exec_lo, s23
	v_lshlrev_b32_e32 v3, 8, v3
	v_lshl_add_u32 v6, v6, 10, 0x2000
	v_lshlrev_b32_e32 v1, 23, v1
	v_and_or_b32 v3, 0x8000, v3, v6
	v_lshl_or_b32 v116, v3, 16, v1
.LBB285_1200:                           ;   in Loop: Header=BB285_15 Depth=1
	s_or_b32 exec_lo, exec_lo, s22
.LBB285_1201:                           ;   in Loop: Header=BB285_15 Depth=1
	s_or_b32 exec_lo, exec_lo, s21
.LBB285_1202:                           ;   in Loop: Header=BB285_15 Depth=1
	s_or_b32 exec_lo, exec_lo, s20
	v_mov_b32_e32 v3, v28
	v_cmp_ne_u16_sdwa s5, v28, v4 src0_sel:BYTE_0 src1_sel:DWORD
	s_and_saveexec_b32 s20, s5
	s_cbranch_execz .LBB285_1210
; %bb.1203:                             ;   in Loop: Header=BB285_15 Depth=1
	v_cmp_ne_u16_sdwa s5, v28, v54 src0_sel:BYTE_0 src1_sel:DWORD
	v_mov_b32_e32 v114, 0x8000
	s_and_saveexec_b32 s21, s5
	s_cbranch_execz .LBB285_1209
; %bb.1204:                             ;   in Loop: Header=BB285_15 Depth=1
	v_and_b32_e32 v8, 0x7f, v28
	v_mov_b32_e32 v114, 0x7c01
	s_mov_b32 s22, exec_lo
	v_cmpx_ne_u32_e32 0x7f, v8
	s_cbranch_execz .LBB285_1208
; %bb.1205:                             ;   in Loop: Header=BB285_15 Depth=1
	v_and_b32_e32 v1, 7, v28
	v_lshrrev_b32_e32 v6, 3, v8
	s_mov_b32 s23, exec_lo
	v_cmpx_gt_u32_e32 8, v8
; %bb.1206:                             ;   in Loop: Header=BB285_15 Depth=1
	v_ffbh_u32_e32 v1, v1
	v_min_u32_e32 v1, 32, v1
	v_subrev_nc_u32_e32 v6, 28, v1
	v_lshlrev_b64 v[20:21], v6, v[3:4]
	v_sub_nc_u32_e32 v6, 29, v1
	v_and_b32_e32 v1, 7, v20
; %bb.1207:                             ;   in Loop: Header=BB285_15 Depth=1
	s_or_b32 exec_lo, exec_lo, s23
	v_lshlrev_b32_e32 v8, 8, v28
	v_lshl_add_u32 v6, v6, 10, 0x2000
	v_lshlrev_b32_e32 v1, 7, v1
	v_and_b32_e32 v8, 0x8000, v8
	v_and_b32_e32 v6, 0xfc00, v6
	v_or3_b32 v114, v8, v6, v1
.LBB285_1208:                           ;   in Loop: Header=BB285_15 Depth=1
	s_or_b32 exec_lo, exec_lo, s22
.LBB285_1209:                           ;   in Loop: Header=BB285_15 Depth=1
	s_or_b32 exec_lo, exec_lo, s21
.LBB285_1210:                           ;   in Loop: Header=BB285_15 Depth=1
	s_or_b32 exec_lo, exec_lo, s20
	v_lshrrev_b16 v3, 8, v3
	v_mov_b32_e32 v72, 0
	v_mov_b32_e32 v73, 0
	s_mov_b32 s20, exec_lo
	v_cmpx_ne_u16_e32 0, v3
	s_cbranch_execz .LBB285_1218
; %bb.1211:                             ;   in Loop: Header=BB285_15 Depth=1
	v_bfrev_b32_e32 v73, 1
	s_mov_b32 s21, exec_lo
	v_cmpx_ne_u16_e32 0x80, v3
	s_cbranch_execz .LBB285_1217
; %bb.1212:                             ;   in Loop: Header=BB285_15 Depth=1
	v_mov_b32_e32 v1, 0x7f
	v_mov_b32_e32 v73, 0x7c010000
	s_mov_b32 s22, exec_lo
	v_and_b32_sdwa v8, v3, v1 dst_sel:DWORD dst_unused:UNUSED_PAD src0_sel:WORD_0 src1_sel:DWORD
	v_cmpx_ne_u32_e32 0x7f, v8
	s_cbranch_execz .LBB285_1216
; %bb.1213:                             ;   in Loop: Header=BB285_15 Depth=1
	v_mov_b32_e32 v1, 7
	v_lshrrev_b32_e32 v6, 3, v8
	s_mov_b32 s23, exec_lo
	v_and_b32_sdwa v1, v3, v1 dst_sel:DWORD dst_unused:UNUSED_PAD src0_sel:WORD_0 src1_sel:DWORD
	v_cmpx_gt_u32_e32 8, v8
; %bb.1214:                             ;   in Loop: Header=BB285_15 Depth=1
	v_ffbh_u32_e32 v1, v1
	v_min_u32_e32 v1, 32, v1
	v_subrev_nc_u32_e32 v6, 28, v1
	v_lshlrev_b64 v[20:21], v6, v[3:4]
	v_sub_nc_u32_e32 v6, 29, v1
	v_and_b32_e32 v1, 7, v20
; %bb.1215:                             ;   in Loop: Header=BB285_15 Depth=1
	s_or_b32 exec_lo, exec_lo, s23
	v_mov_b32_e32 v8, 8
	v_lshl_add_u32 v6, v6, 10, 0x2000
	v_lshlrev_b32_e32 v1, 23, v1
	v_lshlrev_b32_sdwa v3, v8, v3 dst_sel:DWORD dst_unused:UNUSED_PAD src0_sel:DWORD src1_sel:WORD_0
	v_and_or_b32 v3, 0x8000, v3, v6
	v_lshl_or_b32 v73, v3, 16, v1
.LBB285_1216:                           ;   in Loop: Header=BB285_15 Depth=1
	s_or_b32 exec_lo, exec_lo, s22
.LBB285_1217:                           ;   in Loop: Header=BB285_15 Depth=1
	s_or_b32 exec_lo, exec_lo, s21
.LBB285_1218:                           ;   in Loop: Header=BB285_15 Depth=1
	s_or_b32 exec_lo, exec_lo, s20
	v_lshrrev_b32_e32 v3, 16, v28
	v_cmp_ne_u16_sdwa s5, v3, v4 src0_sel:BYTE_0 src1_sel:DWORD
	s_and_saveexec_b32 s20, s5
	s_cbranch_execz .LBB285_1226
; %bb.1219:                             ;   in Loop: Header=BB285_15 Depth=1
	v_cmp_ne_u16_sdwa s5, v3, v54 src0_sel:BYTE_0 src1_sel:DWORD
	v_mov_b32_e32 v72, 0x8000
	s_and_saveexec_b32 s21, s5
	s_cbranch_execz .LBB285_1225
; %bb.1220:                             ;   in Loop: Header=BB285_15 Depth=1
	v_bfe_u32 v8, v28, 16, 7
	v_mov_b32_e32 v72, 0x7c01
	s_mov_b32 s22, exec_lo
	v_cmpx_ne_u32_e32 0x7f, v8
	s_cbranch_execz .LBB285_1224
; %bb.1221:                             ;   in Loop: Header=BB285_15 Depth=1
	v_and_b32_e32 v1, 7, v3
	v_lshrrev_b32_e32 v6, 3, v8
	s_mov_b32 s23, exec_lo
	v_cmpx_gt_u32_e32 8, v8
; %bb.1222:                             ;   in Loop: Header=BB285_15 Depth=1
	v_ffbh_u32_e32 v1, v1
	v_min_u32_e32 v1, 32, v1
	v_subrev_nc_u32_e32 v6, 28, v1
	v_lshlrev_b64 v[20:21], v6, v[3:4]
	v_sub_nc_u32_e32 v6, 29, v1
	v_and_b32_e32 v1, 7, v20
; %bb.1223:                             ;   in Loop: Header=BB285_15 Depth=1
	s_or_b32 exec_lo, exec_lo, s23
	v_lshlrev_b32_e32 v3, 8, v3
	v_lshl_add_u32 v6, v6, 10, 0x2000
	v_lshlrev_b32_e32 v1, 7, v1
	v_and_b32_e32 v3, 0x8000, v3
	v_and_b32_e32 v6, 0xfc00, v6
	v_or3_b32 v72, v3, v6, v1
.LBB285_1224:                           ;   in Loop: Header=BB285_15 Depth=1
	s_or_b32 exec_lo, exec_lo, s22
.LBB285_1225:                           ;   in Loop: Header=BB285_15 Depth=1
	s_or_b32 exec_lo, exec_lo, s21
.LBB285_1226:                           ;   in Loop: Header=BB285_15 Depth=1
	s_or_b32 exec_lo, exec_lo, s20
	v_mov_b32_e32 v119, 0
	v_mov_b32_e32 v117, 0
	s_mov_b32 s20, exec_lo
	v_cmpx_lt_u64_e64 s[12:13], v[27:28]
	s_cbranch_execz .LBB285_1234
; %bb.1227:                             ;   in Loop: Header=BB285_15 Depth=1
	v_lshrrev_b32_e32 v3, 24, v28
	v_bfrev_b32_e32 v117, 1
	s_mov_b32 s21, exec_lo
	v_cmpx_ne_u32_e32 0x80, v3
	s_cbranch_execz .LBB285_1233
; %bb.1228:                             ;   in Loop: Header=BB285_15 Depth=1
	v_and_b32_e32 v8, 0x7f, v3
	v_mov_b32_e32 v117, 0x7c010000
	s_mov_b32 s22, exec_lo
	v_cmpx_ne_u32_e32 0x7f, v8
	s_cbranch_execz .LBB285_1232
; %bb.1229:                             ;   in Loop: Header=BB285_15 Depth=1
	v_and_b32_e32 v1, 7, v3
	v_lshrrev_b32_e32 v6, 3, v8
	s_mov_b32 s23, exec_lo
	v_cmpx_gt_u32_e32 8, v8
; %bb.1230:                             ;   in Loop: Header=BB285_15 Depth=1
	v_ffbh_u32_e32 v1, v1
	v_min_u32_e32 v1, 32, v1
	v_subrev_nc_u32_e32 v6, 28, v1
	v_lshlrev_b64 v[20:21], v6, v[3:4]
	v_sub_nc_u32_e32 v6, 29, v1
	v_and_b32_e32 v1, 7, v20
; %bb.1231:                             ;   in Loop: Header=BB285_15 Depth=1
	s_or_b32 exec_lo, exec_lo, s23
	v_lshlrev_b32_e32 v3, 8, v3
	v_lshl_add_u32 v6, v6, 10, 0x2000
	v_lshlrev_b32_e32 v1, 23, v1
	v_and_or_b32 v3, 0x8000, v3, v6
	v_lshl_or_b32 v117, v3, 16, v1
.LBB285_1232:                           ;   in Loop: Header=BB285_15 Depth=1
	s_or_b32 exec_lo, exec_lo, s22
.LBB285_1233:                           ;   in Loop: Header=BB285_15 Depth=1
	s_or_b32 exec_lo, exec_lo, s21
.LBB285_1234:                           ;   in Loop: Header=BB285_15 Depth=1
	s_or_b32 exec_lo, exec_lo, s20
	flat_load_dwordx2 v[27:28], v[24:25] offset:520
	s_waitcnt vmcnt(0) lgkmcnt(0)
	v_cmp_ne_u16_sdwa s5, v27, v4 src0_sel:BYTE_0 src1_sel:DWORD
	s_and_saveexec_b32 s20, s5
	s_cbranch_execz .LBB285_1242
; %bb.1235:                             ;   in Loop: Header=BB285_15 Depth=1
	v_cmp_ne_u16_sdwa s5, v27, v54 src0_sel:BYTE_0 src1_sel:DWORD
	v_mov_b32_e32 v119, 0x8000
	s_and_saveexec_b32 s21, s5
	s_cbranch_execz .LBB285_1241
; %bb.1236:                             ;   in Loop: Header=BB285_15 Depth=1
	v_and_b32_e32 v6, 0x7f, v27
	v_mov_b32_e32 v119, 0x7c01
	s_mov_b32 s22, exec_lo
	v_cmpx_ne_u32_e32 0x7f, v6
	s_cbranch_execz .LBB285_1240
; %bb.1237:                             ;   in Loop: Header=BB285_15 Depth=1
	v_and_b32_e32 v1, 7, v27
	v_lshrrev_b32_e32 v3, 3, v6
	s_mov_b32 s23, exec_lo
	v_cmpx_gt_u32_e32 8, v6
; %bb.1238:                             ;   in Loop: Header=BB285_15 Depth=1
	v_ffbh_u32_e32 v1, v1
	v_min_u32_e32 v1, 32, v1
	v_subrev_nc_u32_e32 v3, 28, v1
	v_lshlrev_b64 v[20:21], v3, v[27:28]
	v_sub_nc_u32_e32 v3, 29, v1
	v_and_b32_e32 v1, 7, v20
; %bb.1239:                             ;   in Loop: Header=BB285_15 Depth=1
	s_or_b32 exec_lo, exec_lo, s23
	v_lshlrev_b32_e32 v6, 8, v27
	v_lshl_add_u32 v3, v3, 10, 0x2000
	v_lshlrev_b32_e32 v1, 7, v1
	v_and_b32_e32 v6, 0x8000, v6
	v_and_b32_e32 v3, 0xfc00, v3
	v_or3_b32 v119, v6, v3, v1
.LBB285_1240:                           ;   in Loop: Header=BB285_15 Depth=1
	s_or_b32 exec_lo, exec_lo, s22
.LBB285_1241:                           ;   in Loop: Header=BB285_15 Depth=1
	s_or_b32 exec_lo, exec_lo, s21
.LBB285_1242:                           ;   in Loop: Header=BB285_15 Depth=1
	s_or_b32 exec_lo, exec_lo, s20
	v_lshrrev_b16 v3, 8, v27
	v_mov_b32_e32 v42, 0
	v_mov_b32_e32 v35, 0
	s_mov_b32 s20, exec_lo
	v_cmpx_ne_u16_e32 0, v3
	s_cbranch_execz .LBB285_1250
; %bb.1243:                             ;   in Loop: Header=BB285_15 Depth=1
	v_bfrev_b32_e32 v35, 1
	s_mov_b32 s21, exec_lo
	v_cmpx_ne_u16_e32 0x80, v3
	s_cbranch_execz .LBB285_1249
; %bb.1244:                             ;   in Loop: Header=BB285_15 Depth=1
	v_mov_b32_e32 v1, 0x7f
	v_mov_b32_e32 v35, 0x7c010000
	s_mov_b32 s22, exec_lo
	v_and_b32_sdwa v8, v3, v1 dst_sel:DWORD dst_unused:UNUSED_PAD src0_sel:WORD_0 src1_sel:DWORD
	v_cmpx_ne_u32_e32 0x7f, v8
	s_cbranch_execz .LBB285_1248
; %bb.1245:                             ;   in Loop: Header=BB285_15 Depth=1
	v_mov_b32_e32 v1, 7
	v_lshrrev_b32_e32 v6, 3, v8
	s_mov_b32 s23, exec_lo
	v_and_b32_sdwa v1, v3, v1 dst_sel:DWORD dst_unused:UNUSED_PAD src0_sel:WORD_0 src1_sel:DWORD
	v_cmpx_gt_u32_e32 8, v8
; %bb.1246:                             ;   in Loop: Header=BB285_15 Depth=1
	v_ffbh_u32_e32 v1, v1
	v_min_u32_e32 v1, 32, v1
	v_subrev_nc_u32_e32 v6, 28, v1
	v_lshlrev_b64 v[20:21], v6, v[3:4]
	v_sub_nc_u32_e32 v6, 29, v1
	v_and_b32_e32 v1, 7, v20
; %bb.1247:                             ;   in Loop: Header=BB285_15 Depth=1
	s_or_b32 exec_lo, exec_lo, s23
	v_mov_b32_e32 v8, 8
	v_lshl_add_u32 v6, v6, 10, 0x2000
	v_lshlrev_b32_e32 v1, 23, v1
	v_lshlrev_b32_sdwa v3, v8, v3 dst_sel:DWORD dst_unused:UNUSED_PAD src0_sel:DWORD src1_sel:WORD_0
	v_and_or_b32 v3, 0x8000, v3, v6
	v_lshl_or_b32 v35, v3, 16, v1
.LBB285_1248:                           ;   in Loop: Header=BB285_15 Depth=1
	s_or_b32 exec_lo, exec_lo, s22
.LBB285_1249:                           ;   in Loop: Header=BB285_15 Depth=1
	s_or_b32 exec_lo, exec_lo, s21
.LBB285_1250:                           ;   in Loop: Header=BB285_15 Depth=1
	s_or_b32 exec_lo, exec_lo, s20
	v_lshrrev_b32_e32 v3, 16, v27
	v_cmp_ne_u16_sdwa s5, v3, v4 src0_sel:BYTE_0 src1_sel:DWORD
	s_and_saveexec_b32 s20, s5
	s_cbranch_execz .LBB285_1258
; %bb.1251:                             ;   in Loop: Header=BB285_15 Depth=1
	v_cmp_ne_u16_sdwa s5, v3, v54 src0_sel:BYTE_0 src1_sel:DWORD
	v_mov_b32_e32 v42, 0x8000
	s_and_saveexec_b32 s21, s5
	s_cbranch_execz .LBB285_1257
; %bb.1252:                             ;   in Loop: Header=BB285_15 Depth=1
	v_bfe_u32 v8, v27, 16, 7
	v_mov_b32_e32 v42, 0x7c01
	s_mov_b32 s22, exec_lo
	v_cmpx_ne_u32_e32 0x7f, v8
	s_cbranch_execz .LBB285_1256
; %bb.1253:                             ;   in Loop: Header=BB285_15 Depth=1
	v_and_b32_e32 v1, 7, v3
	v_lshrrev_b32_e32 v6, 3, v8
	s_mov_b32 s23, exec_lo
	v_cmpx_gt_u32_e32 8, v8
; %bb.1254:                             ;   in Loop: Header=BB285_15 Depth=1
	v_ffbh_u32_e32 v1, v1
	v_min_u32_e32 v1, 32, v1
	v_subrev_nc_u32_e32 v6, 28, v1
	v_lshlrev_b64 v[20:21], v6, v[3:4]
	v_sub_nc_u32_e32 v6, 29, v1
	v_and_b32_e32 v1, 7, v20
; %bb.1255:                             ;   in Loop: Header=BB285_15 Depth=1
	s_or_b32 exec_lo, exec_lo, s23
	v_lshlrev_b32_e32 v3, 8, v3
	v_lshl_add_u32 v6, v6, 10, 0x2000
	v_lshlrev_b32_e32 v1, 7, v1
	v_and_b32_e32 v3, 0x8000, v3
	v_and_b32_e32 v6, 0xfc00, v6
	v_or3_b32 v42, v3, v6, v1
.LBB285_1256:                           ;   in Loop: Header=BB285_15 Depth=1
	s_or_b32 exec_lo, exec_lo, s22
.LBB285_1257:                           ;   in Loop: Header=BB285_15 Depth=1
	s_or_b32 exec_lo, exec_lo, s21
.LBB285_1258:                           ;   in Loop: Header=BB285_15 Depth=1
	s_or_b32 exec_lo, exec_lo, s20
	v_mov_b32_e32 v47, 0
	v_mov_b32_e32 v58, 0
	s_mov_b32 s20, exec_lo
	v_cmpx_lt_u32_e32 0xffffff, v27
	s_cbranch_execz .LBB285_1266
; %bb.1259:                             ;   in Loop: Header=BB285_15 Depth=1
	v_lshrrev_b32_e32 v3, 24, v27
	v_bfrev_b32_e32 v58, 1
	s_mov_b32 s21, exec_lo
	v_cmpx_ne_u32_e32 0x80, v3
	s_cbranch_execz .LBB285_1265
; %bb.1260:                             ;   in Loop: Header=BB285_15 Depth=1
	v_and_b32_e32 v8, 0x7f, v3
	v_mov_b32_e32 v58, 0x7c010000
	s_mov_b32 s22, exec_lo
	v_cmpx_ne_u32_e32 0x7f, v8
	s_cbranch_execz .LBB285_1264
; %bb.1261:                             ;   in Loop: Header=BB285_15 Depth=1
	v_and_b32_e32 v1, 7, v3
	v_lshrrev_b32_e32 v6, 3, v8
	s_mov_b32 s23, exec_lo
	v_cmpx_gt_u32_e32 8, v8
; %bb.1262:                             ;   in Loop: Header=BB285_15 Depth=1
	v_ffbh_u32_e32 v1, v1
	v_min_u32_e32 v1, 32, v1
	v_subrev_nc_u32_e32 v6, 28, v1
	v_lshlrev_b64 v[20:21], v6, v[3:4]
	v_sub_nc_u32_e32 v6, 29, v1
	v_and_b32_e32 v1, 7, v20
; %bb.1263:                             ;   in Loop: Header=BB285_15 Depth=1
	s_or_b32 exec_lo, exec_lo, s23
	v_lshlrev_b32_e32 v3, 8, v3
	v_lshl_add_u32 v6, v6, 10, 0x2000
	v_lshlrev_b32_e32 v1, 23, v1
	v_and_or_b32 v3, 0x8000, v3, v6
	v_lshl_or_b32 v58, v3, 16, v1
.LBB285_1264:                           ;   in Loop: Header=BB285_15 Depth=1
	s_or_b32 exec_lo, exec_lo, s22
.LBB285_1265:                           ;   in Loop: Header=BB285_15 Depth=1
	s_or_b32 exec_lo, exec_lo, s21
.LBB285_1266:                           ;   in Loop: Header=BB285_15 Depth=1
	s_or_b32 exec_lo, exec_lo, s20
	v_mov_b32_e32 v3, v28
	v_cmp_ne_u16_sdwa s5, v28, v4 src0_sel:BYTE_0 src1_sel:DWORD
	s_and_saveexec_b32 s20, s5
	s_cbranch_execz .LBB285_1274
; %bb.1267:                             ;   in Loop: Header=BB285_15 Depth=1
	v_cmp_ne_u16_sdwa s5, v28, v54 src0_sel:BYTE_0 src1_sel:DWORD
	v_mov_b32_e32 v47, 0x8000
	s_and_saveexec_b32 s21, s5
	s_cbranch_execz .LBB285_1273
; %bb.1268:                             ;   in Loop: Header=BB285_15 Depth=1
	v_and_b32_e32 v8, 0x7f, v28
	v_mov_b32_e32 v47, 0x7c01
	s_mov_b32 s22, exec_lo
	v_cmpx_ne_u32_e32 0x7f, v8
	s_cbranch_execz .LBB285_1272
; %bb.1269:                             ;   in Loop: Header=BB285_15 Depth=1
	v_and_b32_e32 v1, 7, v28
	v_lshrrev_b32_e32 v6, 3, v8
	s_mov_b32 s23, exec_lo
	v_cmpx_gt_u32_e32 8, v8
; %bb.1270:                             ;   in Loop: Header=BB285_15 Depth=1
	v_ffbh_u32_e32 v1, v1
	v_min_u32_e32 v1, 32, v1
	v_subrev_nc_u32_e32 v6, 28, v1
	v_lshlrev_b64 v[20:21], v6, v[3:4]
	v_sub_nc_u32_e32 v6, 29, v1
	v_and_b32_e32 v1, 7, v20
; %bb.1271:                             ;   in Loop: Header=BB285_15 Depth=1
	s_or_b32 exec_lo, exec_lo, s23
	v_lshlrev_b32_e32 v8, 8, v28
	v_lshl_add_u32 v6, v6, 10, 0x2000
	v_lshlrev_b32_e32 v1, 7, v1
	v_and_b32_e32 v8, 0x8000, v8
	v_and_b32_e32 v6, 0xfc00, v6
	v_or3_b32 v47, v8, v6, v1
.LBB285_1272:                           ;   in Loop: Header=BB285_15 Depth=1
	s_or_b32 exec_lo, exec_lo, s22
.LBB285_1273:                           ;   in Loop: Header=BB285_15 Depth=1
	s_or_b32 exec_lo, exec_lo, s21
.LBB285_1274:                           ;   in Loop: Header=BB285_15 Depth=1
	s_or_b32 exec_lo, exec_lo, s20
	v_lshrrev_b16 v3, 8, v3
	v_mov_b32_e32 v61, 0
	v_mov_b32_e32 v89, 0
	s_mov_b32 s20, exec_lo
	v_cmpx_ne_u16_e32 0, v3
	s_cbranch_execz .LBB285_1282
; %bb.1275:                             ;   in Loop: Header=BB285_15 Depth=1
	v_bfrev_b32_e32 v89, 1
	s_mov_b32 s21, exec_lo
	v_cmpx_ne_u16_e32 0x80, v3
	s_cbranch_execz .LBB285_1281
; %bb.1276:                             ;   in Loop: Header=BB285_15 Depth=1
	v_mov_b32_e32 v1, 0x7f
	v_mov_b32_e32 v89, 0x7c010000
	s_mov_b32 s22, exec_lo
	v_and_b32_sdwa v8, v3, v1 dst_sel:DWORD dst_unused:UNUSED_PAD src0_sel:WORD_0 src1_sel:DWORD
	v_cmpx_ne_u32_e32 0x7f, v8
	s_cbranch_execz .LBB285_1280
; %bb.1277:                             ;   in Loop: Header=BB285_15 Depth=1
	v_mov_b32_e32 v1, 7
	v_lshrrev_b32_e32 v6, 3, v8
	s_mov_b32 s23, exec_lo
	v_and_b32_sdwa v1, v3, v1 dst_sel:DWORD dst_unused:UNUSED_PAD src0_sel:WORD_0 src1_sel:DWORD
	v_cmpx_gt_u32_e32 8, v8
; %bb.1278:                             ;   in Loop: Header=BB285_15 Depth=1
	v_ffbh_u32_e32 v1, v1
	v_min_u32_e32 v1, 32, v1
	v_subrev_nc_u32_e32 v6, 28, v1
	v_lshlrev_b64 v[20:21], v6, v[3:4]
	v_sub_nc_u32_e32 v6, 29, v1
	v_and_b32_e32 v1, 7, v20
; %bb.1279:                             ;   in Loop: Header=BB285_15 Depth=1
	s_or_b32 exec_lo, exec_lo, s23
	v_mov_b32_e32 v8, 8
	v_lshl_add_u32 v6, v6, 10, 0x2000
	v_lshlrev_b32_e32 v1, 23, v1
	v_lshlrev_b32_sdwa v3, v8, v3 dst_sel:DWORD dst_unused:UNUSED_PAD src0_sel:DWORD src1_sel:WORD_0
	v_and_or_b32 v3, 0x8000, v3, v6
	v_lshl_or_b32 v89, v3, 16, v1
.LBB285_1280:                           ;   in Loop: Header=BB285_15 Depth=1
	s_or_b32 exec_lo, exec_lo, s22
.LBB285_1281:                           ;   in Loop: Header=BB285_15 Depth=1
	s_or_b32 exec_lo, exec_lo, s21
.LBB285_1282:                           ;   in Loop: Header=BB285_15 Depth=1
	s_or_b32 exec_lo, exec_lo, s20
	v_lshrrev_b32_e32 v3, 16, v28
	v_cmp_ne_u16_sdwa s5, v3, v4 src0_sel:BYTE_0 src1_sel:DWORD
	s_and_saveexec_b32 s20, s5
	s_cbranch_execz .LBB285_1290
; %bb.1283:                             ;   in Loop: Header=BB285_15 Depth=1
	v_cmp_ne_u16_sdwa s5, v3, v54 src0_sel:BYTE_0 src1_sel:DWORD
	v_mov_b32_e32 v61, 0x8000
	s_and_saveexec_b32 s21, s5
	s_cbranch_execz .LBB285_1289
; %bb.1284:                             ;   in Loop: Header=BB285_15 Depth=1
	v_bfe_u32 v8, v28, 16, 7
	v_mov_b32_e32 v61, 0x7c01
	s_mov_b32 s22, exec_lo
	v_cmpx_ne_u32_e32 0x7f, v8
	s_cbranch_execz .LBB285_1288
; %bb.1285:                             ;   in Loop: Header=BB285_15 Depth=1
	v_and_b32_e32 v1, 7, v3
	v_lshrrev_b32_e32 v6, 3, v8
	s_mov_b32 s23, exec_lo
	v_cmpx_gt_u32_e32 8, v8
; %bb.1286:                             ;   in Loop: Header=BB285_15 Depth=1
	v_ffbh_u32_e32 v1, v1
	v_min_u32_e32 v1, 32, v1
	v_subrev_nc_u32_e32 v6, 28, v1
	v_lshlrev_b64 v[20:21], v6, v[3:4]
	v_sub_nc_u32_e32 v6, 29, v1
	v_and_b32_e32 v1, 7, v20
; %bb.1287:                             ;   in Loop: Header=BB285_15 Depth=1
	s_or_b32 exec_lo, exec_lo, s23
	v_lshlrev_b32_e32 v3, 8, v3
	v_lshl_add_u32 v6, v6, 10, 0x2000
	v_lshlrev_b32_e32 v1, 7, v1
	v_and_b32_e32 v3, 0x8000, v3
	v_and_b32_e32 v6, 0xfc00, v6
	v_or3_b32 v61, v3, v6, v1
.LBB285_1288:                           ;   in Loop: Header=BB285_15 Depth=1
	s_or_b32 exec_lo, exec_lo, s22
.LBB285_1289:                           ;   in Loop: Header=BB285_15 Depth=1
	s_or_b32 exec_lo, exec_lo, s21
.LBB285_1290:                           ;   in Loop: Header=BB285_15 Depth=1
	s_or_b32 exec_lo, exec_lo, s20
	v_mov_b32_e32 v91, 0
	v_mov_b32_e32 v76, 0
	s_mov_b32 s20, exec_lo
	v_cmpx_lt_u64_e64 s[12:13], v[27:28]
	s_cbranch_execz .LBB285_1298
; %bb.1291:                             ;   in Loop: Header=BB285_15 Depth=1
	v_lshrrev_b32_e32 v3, 24, v28
	v_bfrev_b32_e32 v76, 1
	s_mov_b32 s21, exec_lo
	v_cmpx_ne_u32_e32 0x80, v3
	s_cbranch_execz .LBB285_1297
; %bb.1292:                             ;   in Loop: Header=BB285_15 Depth=1
	v_and_b32_e32 v8, 0x7f, v3
	v_mov_b32_e32 v76, 0x7c010000
	s_mov_b32 s22, exec_lo
	v_cmpx_ne_u32_e32 0x7f, v8
	s_cbranch_execz .LBB285_1296
; %bb.1293:                             ;   in Loop: Header=BB285_15 Depth=1
	v_and_b32_e32 v1, 7, v3
	v_lshrrev_b32_e32 v6, 3, v8
	s_mov_b32 s23, exec_lo
	v_cmpx_gt_u32_e32 8, v8
; %bb.1294:                             ;   in Loop: Header=BB285_15 Depth=1
	v_ffbh_u32_e32 v1, v1
	v_min_u32_e32 v1, 32, v1
	v_subrev_nc_u32_e32 v6, 28, v1
	v_lshlrev_b64 v[20:21], v6, v[3:4]
	v_sub_nc_u32_e32 v6, 29, v1
	v_and_b32_e32 v1, 7, v20
; %bb.1295:                             ;   in Loop: Header=BB285_15 Depth=1
	s_or_b32 exec_lo, exec_lo, s23
	v_lshlrev_b32_e32 v3, 8, v3
	v_lshl_add_u32 v6, v6, 10, 0x2000
	v_lshlrev_b32_e32 v1, 23, v1
	v_and_or_b32 v3, 0x8000, v3, v6
	v_lshl_or_b32 v76, v3, 16, v1
.LBB285_1296:                           ;   in Loop: Header=BB285_15 Depth=1
	s_or_b32 exec_lo, exec_lo, s22
.LBB285_1297:                           ;   in Loop: Header=BB285_15 Depth=1
	s_or_b32 exec_lo, exec_lo, s21
.LBB285_1298:                           ;   in Loop: Header=BB285_15 Depth=1
	s_or_b32 exec_lo, exec_lo, s20
	flat_load_dwordx2 v[27:28], v[24:25] offset:1024
	s_waitcnt vmcnt(0) lgkmcnt(0)
	v_cmp_ne_u16_sdwa s5, v27, v4 src0_sel:BYTE_0 src1_sel:DWORD
	s_and_saveexec_b32 s20, s5
	s_cbranch_execz .LBB285_1306
; %bb.1299:                             ;   in Loop: Header=BB285_15 Depth=1
	v_cmp_ne_u16_sdwa s5, v27, v54 src0_sel:BYTE_0 src1_sel:DWORD
	v_mov_b32_e32 v91, 0x8000
	s_and_saveexec_b32 s21, s5
	s_cbranch_execz .LBB285_1305
; %bb.1300:                             ;   in Loop: Header=BB285_15 Depth=1
	v_and_b32_e32 v6, 0x7f, v27
	v_mov_b32_e32 v91, 0x7c01
	s_mov_b32 s22, exec_lo
	v_cmpx_ne_u32_e32 0x7f, v6
	s_cbranch_execz .LBB285_1304
; %bb.1301:                             ;   in Loop: Header=BB285_15 Depth=1
	v_and_b32_e32 v1, 7, v27
	v_lshrrev_b32_e32 v3, 3, v6
	s_mov_b32 s23, exec_lo
	v_cmpx_gt_u32_e32 8, v6
; %bb.1302:                             ;   in Loop: Header=BB285_15 Depth=1
	v_ffbh_u32_e32 v1, v1
	v_min_u32_e32 v1, 32, v1
	v_subrev_nc_u32_e32 v3, 28, v1
	v_lshlrev_b64 v[20:21], v3, v[27:28]
	v_sub_nc_u32_e32 v3, 29, v1
	v_and_b32_e32 v1, 7, v20
; %bb.1303:                             ;   in Loop: Header=BB285_15 Depth=1
	s_or_b32 exec_lo, exec_lo, s23
	v_lshlrev_b32_e32 v6, 8, v27
	v_lshl_add_u32 v3, v3, 10, 0x2000
	v_lshlrev_b32_e32 v1, 7, v1
	v_and_b32_e32 v6, 0x8000, v6
	v_and_b32_e32 v3, 0xfc00, v3
	v_or3_b32 v91, v6, v3, v1
.LBB285_1304:                           ;   in Loop: Header=BB285_15 Depth=1
	s_or_b32 exec_lo, exec_lo, s22
.LBB285_1305:                           ;   in Loop: Header=BB285_15 Depth=1
	s_or_b32 exec_lo, exec_lo, s21
.LBB285_1306:                           ;   in Loop: Header=BB285_15 Depth=1
	s_or_b32 exec_lo, exec_lo, s20
	v_lshrrev_b16 v3, 8, v27
	v_mov_b32_e32 v110, 0
	v_mov_b32_e32 v107, 0
	s_mov_b32 s20, exec_lo
	v_cmpx_ne_u16_e32 0, v3
	s_cbranch_execz .LBB285_1314
; %bb.1307:                             ;   in Loop: Header=BB285_15 Depth=1
	v_bfrev_b32_e32 v107, 1
	s_mov_b32 s21, exec_lo
	v_cmpx_ne_u16_e32 0x80, v3
	s_cbranch_execz .LBB285_1313
; %bb.1308:                             ;   in Loop: Header=BB285_15 Depth=1
	v_mov_b32_e32 v1, 0x7f
	v_mov_b32_e32 v107, 0x7c010000
	s_mov_b32 s22, exec_lo
	v_and_b32_sdwa v8, v3, v1 dst_sel:DWORD dst_unused:UNUSED_PAD src0_sel:WORD_0 src1_sel:DWORD
	v_cmpx_ne_u32_e32 0x7f, v8
	s_cbranch_execz .LBB285_1312
; %bb.1309:                             ;   in Loop: Header=BB285_15 Depth=1
	v_mov_b32_e32 v1, 7
	v_lshrrev_b32_e32 v6, 3, v8
	s_mov_b32 s23, exec_lo
	v_and_b32_sdwa v1, v3, v1 dst_sel:DWORD dst_unused:UNUSED_PAD src0_sel:WORD_0 src1_sel:DWORD
	v_cmpx_gt_u32_e32 8, v8
; %bb.1310:                             ;   in Loop: Header=BB285_15 Depth=1
	v_ffbh_u32_e32 v1, v1
	v_min_u32_e32 v1, 32, v1
	v_subrev_nc_u32_e32 v6, 28, v1
	v_lshlrev_b64 v[20:21], v6, v[3:4]
	v_sub_nc_u32_e32 v6, 29, v1
	v_and_b32_e32 v1, 7, v20
; %bb.1311:                             ;   in Loop: Header=BB285_15 Depth=1
	s_or_b32 exec_lo, exec_lo, s23
	v_mov_b32_e32 v8, 8
	v_lshl_add_u32 v6, v6, 10, 0x2000
	v_lshlrev_b32_e32 v1, 23, v1
	v_lshlrev_b32_sdwa v3, v8, v3 dst_sel:DWORD dst_unused:UNUSED_PAD src0_sel:DWORD src1_sel:WORD_0
	v_and_or_b32 v3, 0x8000, v3, v6
	v_lshl_or_b32 v107, v3, 16, v1
.LBB285_1312:                           ;   in Loop: Header=BB285_15 Depth=1
	s_or_b32 exec_lo, exec_lo, s22
.LBB285_1313:                           ;   in Loop: Header=BB285_15 Depth=1
	s_or_b32 exec_lo, exec_lo, s21
.LBB285_1314:                           ;   in Loop: Header=BB285_15 Depth=1
	s_or_b32 exec_lo, exec_lo, s20
	v_lshrrev_b32_e32 v3, 16, v27
	v_cmp_ne_u16_sdwa s5, v3, v4 src0_sel:BYTE_0 src1_sel:DWORD
	s_and_saveexec_b32 s20, s5
	s_cbranch_execz .LBB285_1322
; %bb.1315:                             ;   in Loop: Header=BB285_15 Depth=1
	v_cmp_ne_u16_sdwa s5, v3, v54 src0_sel:BYTE_0 src1_sel:DWORD
	v_mov_b32_e32 v110, 0x8000
	s_and_saveexec_b32 s21, s5
	s_cbranch_execz .LBB285_1321
; %bb.1316:                             ;   in Loop: Header=BB285_15 Depth=1
	v_bfe_u32 v8, v27, 16, 7
	v_mov_b32_e32 v110, 0x7c01
	s_mov_b32 s22, exec_lo
	v_cmpx_ne_u32_e32 0x7f, v8
	s_cbranch_execz .LBB285_1320
; %bb.1317:                             ;   in Loop: Header=BB285_15 Depth=1
	v_and_b32_e32 v1, 7, v3
	v_lshrrev_b32_e32 v6, 3, v8
	s_mov_b32 s23, exec_lo
	v_cmpx_gt_u32_e32 8, v8
; %bb.1318:                             ;   in Loop: Header=BB285_15 Depth=1
	v_ffbh_u32_e32 v1, v1
	v_min_u32_e32 v1, 32, v1
	v_subrev_nc_u32_e32 v6, 28, v1
	v_lshlrev_b64 v[20:21], v6, v[3:4]
	v_sub_nc_u32_e32 v6, 29, v1
	v_and_b32_e32 v1, 7, v20
; %bb.1319:                             ;   in Loop: Header=BB285_15 Depth=1
	s_or_b32 exec_lo, exec_lo, s23
	v_lshlrev_b32_e32 v3, 8, v3
	v_lshl_add_u32 v6, v6, 10, 0x2000
	v_lshlrev_b32_e32 v1, 7, v1
	v_and_b32_e32 v3, 0x8000, v3
	v_and_b32_e32 v6, 0xfc00, v6
	v_or3_b32 v110, v3, v6, v1
.LBB285_1320:                           ;   in Loop: Header=BB285_15 Depth=1
	s_or_b32 exec_lo, exec_lo, s22
.LBB285_1321:                           ;   in Loop: Header=BB285_15 Depth=1
	s_or_b32 exec_lo, exec_lo, s21
.LBB285_1322:                           ;   in Loop: Header=BB285_15 Depth=1
	s_or_b32 exec_lo, exec_lo, s20
	v_mov_b32_e32 v120, 0
	v_mov_b32_e32 v121, 0
	s_mov_b32 s20, exec_lo
	v_cmpx_lt_u32_e32 0xffffff, v27
	s_cbranch_execz .LBB285_1330
; %bb.1323:                             ;   in Loop: Header=BB285_15 Depth=1
	v_lshrrev_b32_e32 v3, 24, v27
	v_bfrev_b32_e32 v121, 1
	s_mov_b32 s21, exec_lo
	v_cmpx_ne_u32_e32 0x80, v3
	s_cbranch_execz .LBB285_1329
; %bb.1324:                             ;   in Loop: Header=BB285_15 Depth=1
	v_and_b32_e32 v8, 0x7f, v3
	v_mov_b32_e32 v121, 0x7c010000
	s_mov_b32 s22, exec_lo
	v_cmpx_ne_u32_e32 0x7f, v8
	s_cbranch_execz .LBB285_1328
; %bb.1325:                             ;   in Loop: Header=BB285_15 Depth=1
	v_and_b32_e32 v1, 7, v3
	v_lshrrev_b32_e32 v6, 3, v8
	s_mov_b32 s23, exec_lo
	v_cmpx_gt_u32_e32 8, v8
; %bb.1326:                             ;   in Loop: Header=BB285_15 Depth=1
	v_ffbh_u32_e32 v1, v1
	v_min_u32_e32 v1, 32, v1
	v_subrev_nc_u32_e32 v6, 28, v1
	v_lshlrev_b64 v[20:21], v6, v[3:4]
	v_sub_nc_u32_e32 v6, 29, v1
	v_and_b32_e32 v1, 7, v20
; %bb.1327:                             ;   in Loop: Header=BB285_15 Depth=1
	s_or_b32 exec_lo, exec_lo, s23
	v_lshlrev_b32_e32 v3, 8, v3
	v_lshl_add_u32 v6, v6, 10, 0x2000
	v_lshlrev_b32_e32 v1, 23, v1
	v_and_or_b32 v3, 0x8000, v3, v6
	v_lshl_or_b32 v121, v3, 16, v1
.LBB285_1328:                           ;   in Loop: Header=BB285_15 Depth=1
	s_or_b32 exec_lo, exec_lo, s22
.LBB285_1329:                           ;   in Loop: Header=BB285_15 Depth=1
	s_or_b32 exec_lo, exec_lo, s21
.LBB285_1330:                           ;   in Loop: Header=BB285_15 Depth=1
	s_or_b32 exec_lo, exec_lo, s20
	v_mov_b32_e32 v3, v28
	v_cmp_ne_u16_sdwa s5, v28, v4 src0_sel:BYTE_0 src1_sel:DWORD
	s_and_saveexec_b32 s20, s5
	s_cbranch_execz .LBB285_1338
; %bb.1331:                             ;   in Loop: Header=BB285_15 Depth=1
	v_cmp_ne_u16_sdwa s5, v28, v54 src0_sel:BYTE_0 src1_sel:DWORD
	v_mov_b32_e32 v120, 0x8000
	s_and_saveexec_b32 s21, s5
	s_cbranch_execz .LBB285_1337
; %bb.1332:                             ;   in Loop: Header=BB285_15 Depth=1
	v_and_b32_e32 v8, 0x7f, v28
	v_mov_b32_e32 v120, 0x7c01
	s_mov_b32 s22, exec_lo
	v_cmpx_ne_u32_e32 0x7f, v8
	s_cbranch_execz .LBB285_1336
; %bb.1333:                             ;   in Loop: Header=BB285_15 Depth=1
	v_and_b32_e32 v1, 7, v28
	v_lshrrev_b32_e32 v6, 3, v8
	s_mov_b32 s23, exec_lo
	v_cmpx_gt_u32_e32 8, v8
; %bb.1334:                             ;   in Loop: Header=BB285_15 Depth=1
	v_ffbh_u32_e32 v1, v1
	v_min_u32_e32 v1, 32, v1
	v_subrev_nc_u32_e32 v6, 28, v1
	v_lshlrev_b64 v[20:21], v6, v[3:4]
	v_sub_nc_u32_e32 v6, 29, v1
	v_and_b32_e32 v1, 7, v20
; %bb.1335:                             ;   in Loop: Header=BB285_15 Depth=1
	s_or_b32 exec_lo, exec_lo, s23
	v_lshlrev_b32_e32 v8, 8, v28
	v_lshl_add_u32 v6, v6, 10, 0x2000
	v_lshlrev_b32_e32 v1, 7, v1
	v_and_b32_e32 v8, 0x8000, v8
	v_and_b32_e32 v6, 0xfc00, v6
	v_or3_b32 v120, v8, v6, v1
.LBB285_1336:                           ;   in Loop: Header=BB285_15 Depth=1
	s_or_b32 exec_lo, exec_lo, s22
.LBB285_1337:                           ;   in Loop: Header=BB285_15 Depth=1
	s_or_b32 exec_lo, exec_lo, s21
.LBB285_1338:                           ;   in Loop: Header=BB285_15 Depth=1
	s_or_b32 exec_lo, exec_lo, s20
	v_lshrrev_b16 v3, 8, v3
	v_mov_b32_e32 v123, 0
	v_mov_b32_e32 v51, 0
	s_mov_b32 s20, exec_lo
	v_cmpx_ne_u16_e32 0, v3
	s_cbranch_execz .LBB285_1346
; %bb.1339:                             ;   in Loop: Header=BB285_15 Depth=1
	v_bfrev_b32_e32 v51, 1
	s_mov_b32 s21, exec_lo
	v_cmpx_ne_u16_e32 0x80, v3
	s_cbranch_execz .LBB285_1345
; %bb.1340:                             ;   in Loop: Header=BB285_15 Depth=1
	v_mov_b32_e32 v1, 0x7f
	v_mov_b32_e32 v51, 0x7c010000
	s_mov_b32 s22, exec_lo
	v_and_b32_sdwa v8, v3, v1 dst_sel:DWORD dst_unused:UNUSED_PAD src0_sel:WORD_0 src1_sel:DWORD
	v_cmpx_ne_u32_e32 0x7f, v8
	s_cbranch_execz .LBB285_1344
; %bb.1341:                             ;   in Loop: Header=BB285_15 Depth=1
	v_mov_b32_e32 v1, 7
	v_lshrrev_b32_e32 v6, 3, v8
	s_mov_b32 s23, exec_lo
	v_and_b32_sdwa v1, v3, v1 dst_sel:DWORD dst_unused:UNUSED_PAD src0_sel:WORD_0 src1_sel:DWORD
	v_cmpx_gt_u32_e32 8, v8
; %bb.1342:                             ;   in Loop: Header=BB285_15 Depth=1
	v_ffbh_u32_e32 v1, v1
	v_min_u32_e32 v1, 32, v1
	v_subrev_nc_u32_e32 v6, 28, v1
	v_lshlrev_b64 v[20:21], v6, v[3:4]
	v_sub_nc_u32_e32 v6, 29, v1
	v_and_b32_e32 v1, 7, v20
; %bb.1343:                             ;   in Loop: Header=BB285_15 Depth=1
	s_or_b32 exec_lo, exec_lo, s23
	v_mov_b32_e32 v8, 8
	v_lshl_add_u32 v6, v6, 10, 0x2000
	v_lshlrev_b32_e32 v1, 23, v1
	v_lshlrev_b32_sdwa v3, v8, v3 dst_sel:DWORD dst_unused:UNUSED_PAD src0_sel:DWORD src1_sel:WORD_0
	v_and_or_b32 v3, 0x8000, v3, v6
	v_lshl_or_b32 v51, v3, 16, v1
.LBB285_1344:                           ;   in Loop: Header=BB285_15 Depth=1
	s_or_b32 exec_lo, exec_lo, s22
.LBB285_1345:                           ;   in Loop: Header=BB285_15 Depth=1
	s_or_b32 exec_lo, exec_lo, s21
.LBB285_1346:                           ;   in Loop: Header=BB285_15 Depth=1
	s_or_b32 exec_lo, exec_lo, s20
	v_lshrrev_b32_e32 v3, 16, v28
	v_cmp_ne_u16_sdwa s5, v3, v4 src0_sel:BYTE_0 src1_sel:DWORD
	s_and_saveexec_b32 s20, s5
	s_cbranch_execz .LBB285_1354
; %bb.1347:                             ;   in Loop: Header=BB285_15 Depth=1
	v_cmp_ne_u16_sdwa s5, v3, v54 src0_sel:BYTE_0 src1_sel:DWORD
	v_mov_b32_e32 v123, 0x8000
	s_and_saveexec_b32 s21, s5
	s_cbranch_execz .LBB285_1353
; %bb.1348:                             ;   in Loop: Header=BB285_15 Depth=1
	v_bfe_u32 v8, v28, 16, 7
	v_mov_b32_e32 v123, 0x7c01
	s_mov_b32 s22, exec_lo
	v_cmpx_ne_u32_e32 0x7f, v8
	s_cbranch_execz .LBB285_1352
; %bb.1349:                             ;   in Loop: Header=BB285_15 Depth=1
	v_and_b32_e32 v1, 7, v3
	v_lshrrev_b32_e32 v6, 3, v8
	s_mov_b32 s23, exec_lo
	v_cmpx_gt_u32_e32 8, v8
; %bb.1350:                             ;   in Loop: Header=BB285_15 Depth=1
	v_ffbh_u32_e32 v1, v1
	v_min_u32_e32 v1, 32, v1
	v_subrev_nc_u32_e32 v6, 28, v1
	v_lshlrev_b64 v[20:21], v6, v[3:4]
	v_sub_nc_u32_e32 v6, 29, v1
	v_and_b32_e32 v1, 7, v20
; %bb.1351:                             ;   in Loop: Header=BB285_15 Depth=1
	s_or_b32 exec_lo, exec_lo, s23
	v_lshlrev_b32_e32 v3, 8, v3
	v_lshl_add_u32 v6, v6, 10, 0x2000
	v_lshlrev_b32_e32 v1, 7, v1
	v_and_b32_e32 v3, 0x8000, v3
	v_and_b32_e32 v6, 0xfc00, v6
	v_or3_b32 v123, v3, v6, v1
.LBB285_1352:                           ;   in Loop: Header=BB285_15 Depth=1
	s_or_b32 exec_lo, exec_lo, s22
.LBB285_1353:                           ;   in Loop: Header=BB285_15 Depth=1
	s_or_b32 exec_lo, exec_lo, s21
.LBB285_1354:                           ;   in Loop: Header=BB285_15 Depth=1
	s_or_b32 exec_lo, exec_lo, s20
	v_mov_b32_e32 v6, 0
	v_mov_b32_e32 v1, 0
	s_mov_b32 s20, exec_lo
	v_cmpx_lt_u64_e64 s[12:13], v[27:28]
	s_cbranch_execz .LBB285_1362
; %bb.1355:                             ;   in Loop: Header=BB285_15 Depth=1
	v_lshrrev_b32_e32 v3, 24, v28
	v_bfrev_b32_e32 v1, 1
	s_mov_b32 s21, exec_lo
	v_cmpx_ne_u32_e32 0x80, v3
	s_cbranch_execz .LBB285_1361
; %bb.1356:                             ;   in Loop: Header=BB285_15 Depth=1
	v_and_b32_e32 v13, 0x7f, v3
	v_mov_b32_e32 v1, 0x7c010000
	s_mov_b32 s22, exec_lo
	v_cmpx_ne_u32_e32 0x7f, v13
	s_cbranch_execz .LBB285_1360
; %bb.1357:                             ;   in Loop: Header=BB285_15 Depth=1
	v_and_b32_e32 v1, 7, v3
	v_lshrrev_b32_e32 v8, 3, v13
	s_mov_b32 s23, exec_lo
	v_cmpx_gt_u32_e32 8, v13
; %bb.1358:                             ;   in Loop: Header=BB285_15 Depth=1
	v_ffbh_u32_e32 v1, v1
	v_min_u32_e32 v1, 32, v1
	v_subrev_nc_u32_e32 v8, 28, v1
	v_lshlrev_b64 v[20:21], v8, v[3:4]
	v_sub_nc_u32_e32 v8, 29, v1
	v_and_b32_e32 v1, 7, v20
; %bb.1359:                             ;   in Loop: Header=BB285_15 Depth=1
	s_or_b32 exec_lo, exec_lo, s23
	v_lshlrev_b32_e32 v3, 8, v3
	v_lshl_add_u32 v8, v8, 10, 0x2000
	v_lshlrev_b32_e32 v1, 23, v1
	v_and_or_b32 v3, 0x8000, v3, v8
	v_lshl_or_b32 v1, v3, 16, v1
.LBB285_1360:                           ;   in Loop: Header=BB285_15 Depth=1
	s_or_b32 exec_lo, exec_lo, s22
.LBB285_1361:                           ;   in Loop: Header=BB285_15 Depth=1
	s_or_b32 exec_lo, exec_lo, s21
.LBB285_1362:                           ;   in Loop: Header=BB285_15 Depth=1
	s_or_b32 exec_lo, exec_lo, s20
	flat_load_dwordx2 v[27:28], v[24:25] offset:1032
	s_waitcnt vmcnt(0) lgkmcnt(0)
	v_cmp_ne_u16_sdwa s5, v27, v4 src0_sel:BYTE_0 src1_sel:DWORD
	s_and_saveexec_b32 s20, s5
	s_cbranch_execz .LBB285_1370
; %bb.1363:                             ;   in Loop: Header=BB285_15 Depth=1
	v_cmp_ne_u16_sdwa s5, v27, v54 src0_sel:BYTE_0 src1_sel:DWORD
	v_mov_b32_e32 v6, 0x8000
	s_and_saveexec_b32 s21, s5
	s_cbranch_execz .LBB285_1369
; %bb.1364:                             ;   in Loop: Header=BB285_15 Depth=1
	v_and_b32_e32 v8, 0x7f, v27
	v_mov_b32_e32 v6, 0x7c01
	s_mov_b32 s22, exec_lo
	v_cmpx_ne_u32_e32 0x7f, v8
	s_cbranch_execz .LBB285_1368
; %bb.1365:                             ;   in Loop: Header=BB285_15 Depth=1
	v_and_b32_e32 v3, 7, v27
	v_lshrrev_b32_e32 v6, 3, v8
	s_mov_b32 s23, exec_lo
	v_cmpx_gt_u32_e32 8, v8
; %bb.1366:                             ;   in Loop: Header=BB285_15 Depth=1
	v_ffbh_u32_e32 v3, v3
	v_min_u32_e32 v3, 32, v3
	v_subrev_nc_u32_e32 v6, 28, v3
	v_lshlrev_b64 v[20:21], v6, v[27:28]
	v_sub_nc_u32_e32 v6, 29, v3
	v_and_b32_e32 v3, 7, v20
; %bb.1367:                             ;   in Loop: Header=BB285_15 Depth=1
	s_or_b32 exec_lo, exec_lo, s23
	v_lshlrev_b32_e32 v8, 8, v27
	v_lshl_add_u32 v6, v6, 10, 0x2000
	v_lshlrev_b32_e32 v3, 7, v3
	v_and_b32_e32 v8, 0x8000, v8
	v_and_b32_e32 v6, 0xfc00, v6
	v_or3_b32 v6, v8, v6, v3
.LBB285_1368:                           ;   in Loop: Header=BB285_15 Depth=1
	s_or_b32 exec_lo, exec_lo, s22
.LBB285_1369:                           ;   in Loop: Header=BB285_15 Depth=1
	s_or_b32 exec_lo, exec_lo, s21
.LBB285_1370:                           ;   in Loop: Header=BB285_15 Depth=1
	s_or_b32 exec_lo, exec_lo, s20
	v_lshrrev_b16 v3, 8, v27
	v_mov_b32_e32 v8, 0
	v_mov_b32_e32 v44, 0
	s_mov_b32 s20, exec_lo
	v_cmpx_ne_u16_e32 0, v3
	s_cbranch_execz .LBB285_1378
; %bb.1371:                             ;   in Loop: Header=BB285_15 Depth=1
	v_bfrev_b32_e32 v44, 1
	s_mov_b32 s21, exec_lo
	v_cmpx_ne_u16_e32 0x80, v3
	s_cbranch_execz .LBB285_1377
; %bb.1372:                             ;   in Loop: Header=BB285_15 Depth=1
	v_mov_b32_e32 v13, 0x7f
	v_mov_b32_e32 v44, 0x7c010000
	s_mov_b32 s22, exec_lo
	v_and_b32_sdwa v21, v3, v13 dst_sel:DWORD dst_unused:UNUSED_PAD src0_sel:WORD_0 src1_sel:DWORD
	v_cmpx_ne_u32_e32 0x7f, v21
	s_cbranch_execz .LBB285_1376
; %bb.1373:                             ;   in Loop: Header=BB285_15 Depth=1
	v_mov_b32_e32 v13, 7
	v_lshrrev_b32_e32 v20, 3, v21
	s_mov_b32 s23, exec_lo
	v_and_b32_sdwa v13, v3, v13 dst_sel:DWORD dst_unused:UNUSED_PAD src0_sel:WORD_0 src1_sel:DWORD
	v_cmpx_gt_u32_e32 8, v21
; %bb.1374:                             ;   in Loop: Header=BB285_15 Depth=1
	v_ffbh_u32_e32 v13, v13
	v_min_u32_e32 v13, 32, v13
	v_subrev_nc_u32_e32 v20, 28, v13
	v_lshlrev_b64 v[21:22], v20, v[3:4]
	v_sub_nc_u32_e32 v20, 29, v13
	v_and_b32_e32 v13, 7, v21
; %bb.1375:                             ;   in Loop: Header=BB285_15 Depth=1
	s_or_b32 exec_lo, exec_lo, s23
	v_mov_b32_e32 v21, 8
	v_lshl_add_u32 v20, v20, 10, 0x2000
	v_lshlrev_b32_e32 v13, 23, v13
	v_lshlrev_b32_sdwa v3, v21, v3 dst_sel:DWORD dst_unused:UNUSED_PAD src0_sel:DWORD src1_sel:WORD_0
	v_and_or_b32 v3, 0x8000, v3, v20
	v_lshl_or_b32 v44, v3, 16, v13
.LBB285_1376:                           ;   in Loop: Header=BB285_15 Depth=1
	s_or_b32 exec_lo, exec_lo, s22
.LBB285_1377:                           ;   in Loop: Header=BB285_15 Depth=1
	s_or_b32 exec_lo, exec_lo, s21
.LBB285_1378:                           ;   in Loop: Header=BB285_15 Depth=1
	s_or_b32 exec_lo, exec_lo, s20
	v_lshrrev_b32_e32 v3, 16, v27
	v_cmp_ne_u16_sdwa s5, v3, v4 src0_sel:BYTE_0 src1_sel:DWORD
	s_and_saveexec_b32 s20, s5
	s_cbranch_execz .LBB285_1386
; %bb.1379:                             ;   in Loop: Header=BB285_15 Depth=1
	v_cmp_ne_u16_sdwa s5, v3, v54 src0_sel:BYTE_0 src1_sel:DWORD
	v_mov_b32_e32 v8, 0x8000
	s_and_saveexec_b32 s21, s5
	s_cbranch_execz .LBB285_1385
; %bb.1380:                             ;   in Loop: Header=BB285_15 Depth=1
	v_bfe_u32 v20, v27, 16, 7
	v_mov_b32_e32 v8, 0x7c01
	s_mov_b32 s22, exec_lo
	v_cmpx_ne_u32_e32 0x7f, v20
	s_cbranch_execz .LBB285_1384
; %bb.1381:                             ;   in Loop: Header=BB285_15 Depth=1
	v_and_b32_e32 v8, 7, v3
	v_lshrrev_b32_e32 v13, 3, v20
	s_mov_b32 s23, exec_lo
	v_cmpx_gt_u32_e32 8, v20
; %bb.1382:                             ;   in Loop: Header=BB285_15 Depth=1
	v_ffbh_u32_e32 v8, v8
	v_min_u32_e32 v8, 32, v8
	v_subrev_nc_u32_e32 v13, 28, v8
	v_lshlrev_b64 v[20:21], v13, v[3:4]
	v_sub_nc_u32_e32 v13, 29, v8
	v_and_b32_e32 v8, 7, v20
; %bb.1383:                             ;   in Loop: Header=BB285_15 Depth=1
	s_or_b32 exec_lo, exec_lo, s23
	v_lshlrev_b32_e32 v3, 8, v3
	v_lshl_add_u32 v13, v13, 10, 0x2000
	v_lshlrev_b32_e32 v8, 7, v8
	v_and_b32_e32 v3, 0x8000, v3
	v_and_b32_e32 v13, 0xfc00, v13
	v_or3_b32 v8, v3, v13, v8
.LBB285_1384:                           ;   in Loop: Header=BB285_15 Depth=1
	s_or_b32 exec_lo, exec_lo, s22
.LBB285_1385:                           ;   in Loop: Header=BB285_15 Depth=1
	s_or_b32 exec_lo, exec_lo, s21
.LBB285_1386:                           ;   in Loop: Header=BB285_15 Depth=1
	s_or_b32 exec_lo, exec_lo, s20
	v_mov_b32_e32 v60, 0
	v_mov_b32_e32 v49, 0
	s_mov_b32 s20, exec_lo
	v_cmpx_lt_u32_e32 0xffffff, v27
	s_cbranch_execz .LBB285_1394
; %bb.1387:                             ;   in Loop: Header=BB285_15 Depth=1
	v_lshrrev_b32_e32 v3, 24, v27
	v_bfrev_b32_e32 v49, 1
	s_mov_b32 s21, exec_lo
	v_cmpx_ne_u32_e32 0x80, v3
	s_cbranch_execz .LBB285_1393
; %bb.1388:                             ;   in Loop: Header=BB285_15 Depth=1
	v_and_b32_e32 v21, 0x7f, v3
	v_mov_b32_e32 v49, 0x7c010000
	s_mov_b32 s22, exec_lo
	v_cmpx_ne_u32_e32 0x7f, v21
	s_cbranch_execz .LBB285_1392
; %bb.1389:                             ;   in Loop: Header=BB285_15 Depth=1
	v_and_b32_e32 v13, 7, v3
	v_lshrrev_b32_e32 v20, 3, v21
	s_mov_b32 s23, exec_lo
	v_cmpx_gt_u32_e32 8, v21
; %bb.1390:                             ;   in Loop: Header=BB285_15 Depth=1
	v_ffbh_u32_e32 v13, v13
	v_min_u32_e32 v13, 32, v13
	v_subrev_nc_u32_e32 v20, 28, v13
	v_lshlrev_b64 v[21:22], v20, v[3:4]
	v_sub_nc_u32_e32 v20, 29, v13
	v_and_b32_e32 v13, 7, v21
; %bb.1391:                             ;   in Loop: Header=BB285_15 Depth=1
	s_or_b32 exec_lo, exec_lo, s23
	v_lshlrev_b32_e32 v3, 8, v3
	v_lshl_add_u32 v20, v20, 10, 0x2000
	v_lshlrev_b32_e32 v13, 23, v13
	v_and_or_b32 v3, 0x8000, v3, v20
	v_lshl_or_b32 v49, v3, 16, v13
.LBB285_1392:                           ;   in Loop: Header=BB285_15 Depth=1
	s_or_b32 exec_lo, exec_lo, s22
.LBB285_1393:                           ;   in Loop: Header=BB285_15 Depth=1
	s_or_b32 exec_lo, exec_lo, s21
.LBB285_1394:                           ;   in Loop: Header=BB285_15 Depth=1
	s_or_b32 exec_lo, exec_lo, s20
	v_mov_b32_e32 v3, v28
	v_cmp_ne_u16_sdwa s5, v28, v4 src0_sel:BYTE_0 src1_sel:DWORD
	s_and_saveexec_b32 s20, s5
	s_cbranch_execz .LBB285_1402
; %bb.1395:                             ;   in Loop: Header=BB285_15 Depth=1
	v_cmp_ne_u16_sdwa s5, v28, v54 src0_sel:BYTE_0 src1_sel:DWORD
	v_mov_b32_e32 v60, 0x8000
	s_and_saveexec_b32 s21, s5
	s_cbranch_execz .LBB285_1401
; %bb.1396:                             ;   in Loop: Header=BB285_15 Depth=1
	v_and_b32_e32 v21, 0x7f, v28
	v_mov_b32_e32 v60, 0x7c01
	s_mov_b32 s22, exec_lo
	v_cmpx_ne_u32_e32 0x7f, v21
	s_cbranch_execz .LBB285_1400
; %bb.1397:                             ;   in Loop: Header=BB285_15 Depth=1
	v_and_b32_e32 v13, 7, v28
	v_lshrrev_b32_e32 v20, 3, v21
	s_mov_b32 s23, exec_lo
	v_cmpx_gt_u32_e32 8, v21
; %bb.1398:                             ;   in Loop: Header=BB285_15 Depth=1
	v_ffbh_u32_e32 v13, v13
	v_min_u32_e32 v13, 32, v13
	v_subrev_nc_u32_e32 v20, 28, v13
	v_lshlrev_b64 v[21:22], v20, v[3:4]
	v_sub_nc_u32_e32 v20, 29, v13
	v_and_b32_e32 v13, 7, v21
; %bb.1399:                             ;   in Loop: Header=BB285_15 Depth=1
	s_or_b32 exec_lo, exec_lo, s23
	v_lshlrev_b32_e32 v21, 8, v28
	v_lshl_add_u32 v20, v20, 10, 0x2000
	v_lshlrev_b32_e32 v13, 7, v13
	v_and_b32_e32 v21, 0x8000, v21
	v_and_b32_e32 v20, 0xfc00, v20
	v_or3_b32 v60, v21, v20, v13
.LBB285_1400:                           ;   in Loop: Header=BB285_15 Depth=1
	s_or_b32 exec_lo, exec_lo, s22
.LBB285_1401:                           ;   in Loop: Header=BB285_15 Depth=1
	s_or_b32 exec_lo, exec_lo, s21
.LBB285_1402:                           ;   in Loop: Header=BB285_15 Depth=1
	s_or_b32 exec_lo, exec_lo, s20
	v_lshrrev_b16 v3, 8, v3
	v_mov_b32_e32 v45, 0
	v_mov_b32_e32 v21, 0
	s_mov_b32 s20, exec_lo
	v_cmpx_ne_u16_e32 0, v3
	s_cbranch_execz .LBB285_1410
; %bb.1403:                             ;   in Loop: Header=BB285_15 Depth=1
	v_bfrev_b32_e32 v21, 1
	s_mov_b32 s21, exec_lo
	v_cmpx_ne_u16_e32 0x80, v3
	s_cbranch_execz .LBB285_1409
; %bb.1404:                             ;   in Loop: Header=BB285_15 Depth=1
	v_mov_b32_e32 v13, 0x7f
	v_mov_b32_e32 v21, 0x7c010000
	s_mov_b32 s22, exec_lo
	v_and_b32_sdwa v33, v3, v13 dst_sel:DWORD dst_unused:UNUSED_PAD src0_sel:WORD_0 src1_sel:DWORD
	v_cmpx_ne_u32_e32 0x7f, v33
	s_cbranch_execz .LBB285_1408
; %bb.1405:                             ;   in Loop: Header=BB285_15 Depth=1
	v_mov_b32_e32 v13, 7
	v_lshrrev_b32_e32 v20, 3, v33
	s_mov_b32 s23, exec_lo
	v_and_b32_sdwa v13, v3, v13 dst_sel:DWORD dst_unused:UNUSED_PAD src0_sel:WORD_0 src1_sel:DWORD
	v_cmpx_gt_u32_e32 8, v33
; %bb.1406:                             ;   in Loop: Header=BB285_15 Depth=1
	v_ffbh_u32_e32 v13, v13
	v_min_u32_e32 v13, 32, v13
	v_subrev_nc_u32_e32 v20, 28, v13
	v_lshlrev_b64 v[21:22], v20, v[3:4]
	v_sub_nc_u32_e32 v20, 29, v13
	v_and_b32_e32 v13, 7, v21
; %bb.1407:                             ;   in Loop: Header=BB285_15 Depth=1
	s_or_b32 exec_lo, exec_lo, s23
	v_mov_b32_e32 v21, 8
	v_lshl_add_u32 v20, v20, 10, 0x2000
	v_lshlrev_b32_e32 v13, 23, v13
	v_lshlrev_b32_sdwa v3, v21, v3 dst_sel:DWORD dst_unused:UNUSED_PAD src0_sel:DWORD src1_sel:WORD_0
	v_and_or_b32 v3, 0x8000, v3, v20
	v_lshl_or_b32 v21, v3, 16, v13
.LBB285_1408:                           ;   in Loop: Header=BB285_15 Depth=1
	s_or_b32 exec_lo, exec_lo, s22
.LBB285_1409:                           ;   in Loop: Header=BB285_15 Depth=1
	s_or_b32 exec_lo, exec_lo, s21
.LBB285_1410:                           ;   in Loop: Header=BB285_15 Depth=1
	s_or_b32 exec_lo, exec_lo, s20
	v_lshrrev_b32_e32 v3, 16, v28
	v_cmp_ne_u16_sdwa s5, v3, v4 src0_sel:BYTE_0 src1_sel:DWORD
	s_and_saveexec_b32 s20, s5
	s_cbranch_execz .LBB285_1418
; %bb.1411:                             ;   in Loop: Header=BB285_15 Depth=1
	v_cmp_ne_u16_sdwa s5, v3, v54 src0_sel:BYTE_0 src1_sel:DWORD
	v_mov_b32_e32 v45, 0x8000
	s_and_saveexec_b32 s21, s5
	s_cbranch_execz .LBB285_1417
; %bb.1412:                             ;   in Loop: Header=BB285_15 Depth=1
	v_bfe_u32 v33, v28, 16, 7
	v_mov_b32_e32 v45, 0x7c01
	s_mov_b32 s22, exec_lo
	v_cmpx_ne_u32_e32 0x7f, v33
	s_cbranch_execz .LBB285_1416
; %bb.1413:                             ;   in Loop: Header=BB285_15 Depth=1
	v_and_b32_e32 v13, 7, v3
	v_lshrrev_b32_e32 v20, 3, v33
	s_mov_b32 s23, exec_lo
	v_cmpx_gt_u32_e32 8, v33
; %bb.1414:                             ;   in Loop: Header=BB285_15 Depth=1
	v_ffbh_u32_e32 v13, v13
	v_min_u32_e32 v13, 32, v13
	v_subrev_nc_u32_e32 v20, 28, v13
	v_lshlrev_b64 v[22:23], v20, v[3:4]
	v_sub_nc_u32_e32 v20, 29, v13
	v_and_b32_e32 v13, 7, v22
; %bb.1415:                             ;   in Loop: Header=BB285_15 Depth=1
	s_or_b32 exec_lo, exec_lo, s23
	v_lshlrev_b32_e32 v3, 8, v3
	v_lshl_add_u32 v20, v20, 10, 0x2000
	v_lshlrev_b32_e32 v13, 7, v13
	v_and_b32_e32 v3, 0x8000, v3
	v_and_b32_e32 v20, 0xfc00, v20
	v_or3_b32 v45, v3, v20, v13
.LBB285_1416:                           ;   in Loop: Header=BB285_15 Depth=1
	s_or_b32 exec_lo, exec_lo, s22
.LBB285_1417:                           ;   in Loop: Header=BB285_15 Depth=1
	s_or_b32 exec_lo, exec_lo, s21
.LBB285_1418:                           ;   in Loop: Header=BB285_15 Depth=1
	s_or_b32 exec_lo, exec_lo, s20
	v_mov_b32_e32 v53, 0
	v_mov_b32_e32 v39, 0
	s_mov_b32 s20, exec_lo
	v_cmpx_lt_u64_e64 s[12:13], v[27:28]
	s_cbranch_execz .LBB285_1426
; %bb.1419:                             ;   in Loop: Header=BB285_15 Depth=1
	v_lshrrev_b32_e32 v3, 24, v28
	v_bfrev_b32_e32 v39, 1
	s_mov_b32 s21, exec_lo
	v_cmpx_ne_u32_e32 0x80, v3
	s_cbranch_execz .LBB285_1425
; %bb.1420:                             ;   in Loop: Header=BB285_15 Depth=1
	v_and_b32_e32 v27, 0x7f, v3
	v_mov_b32_e32 v39, 0x7c010000
	s_mov_b32 s22, exec_lo
	v_cmpx_ne_u32_e32 0x7f, v27
	s_cbranch_execz .LBB285_1424
; %bb.1421:                             ;   in Loop: Header=BB285_15 Depth=1
	v_and_b32_e32 v13, 7, v3
	v_lshrrev_b32_e32 v20, 3, v27
	s_mov_b32 s23, exec_lo
	v_cmpx_gt_u32_e32 8, v27
; %bb.1422:                             ;   in Loop: Header=BB285_15 Depth=1
	v_ffbh_u32_e32 v13, v13
	v_min_u32_e32 v13, 32, v13
	v_subrev_nc_u32_e32 v20, 28, v13
	v_lshlrev_b64 v[22:23], v20, v[3:4]
	v_sub_nc_u32_e32 v20, 29, v13
	v_and_b32_e32 v13, 7, v22
; %bb.1423:                             ;   in Loop: Header=BB285_15 Depth=1
	s_or_b32 exec_lo, exec_lo, s23
	v_lshlrev_b32_e32 v3, 8, v3
	v_lshl_add_u32 v20, v20, 10, 0x2000
	v_lshlrev_b32_e32 v13, 23, v13
	v_and_or_b32 v3, 0x8000, v3, v20
	v_lshl_or_b32 v39, v3, 16, v13
.LBB285_1424:                           ;   in Loop: Header=BB285_15 Depth=1
	s_or_b32 exec_lo, exec_lo, s22
.LBB285_1425:                           ;   in Loop: Header=BB285_15 Depth=1
	s_or_b32 exec_lo, exec_lo, s21
.LBB285_1426:                           ;   in Loop: Header=BB285_15 Depth=1
	s_or_b32 exec_lo, exec_lo, s20
	flat_load_dwordx2 v[27:28], v[24:25] offset:1536
	s_waitcnt vmcnt(0) lgkmcnt(0)
	v_cmp_ne_u16_sdwa s5, v27, v4 src0_sel:BYTE_0 src1_sel:DWORD
	s_and_saveexec_b32 s20, s5
	s_cbranch_execz .LBB285_1434
; %bb.1427:                             ;   in Loop: Header=BB285_15 Depth=1
	v_cmp_ne_u16_sdwa s5, v27, v54 src0_sel:BYTE_0 src1_sel:DWORD
	v_mov_b32_e32 v53, 0x8000
	s_and_saveexec_b32 s21, s5
	s_cbranch_execz .LBB285_1433
; %bb.1428:                             ;   in Loop: Header=BB285_15 Depth=1
	v_and_b32_e32 v20, 0x7f, v27
	v_mov_b32_e32 v53, 0x7c01
	s_mov_b32 s22, exec_lo
	v_cmpx_ne_u32_e32 0x7f, v20
	s_cbranch_execz .LBB285_1432
; %bb.1429:                             ;   in Loop: Header=BB285_15 Depth=1
	v_and_b32_e32 v3, 7, v27
	v_lshrrev_b32_e32 v13, 3, v20
	s_mov_b32 s23, exec_lo
	v_cmpx_gt_u32_e32 8, v20
; %bb.1430:                             ;   in Loop: Header=BB285_15 Depth=1
	v_ffbh_u32_e32 v3, v3
	v_min_u32_e32 v3, 32, v3
	v_subrev_nc_u32_e32 v13, 28, v3
	v_lshlrev_b64 v[22:23], v13, v[27:28]
	v_sub_nc_u32_e32 v13, 29, v3
	v_and_b32_e32 v3, 7, v22
; %bb.1431:                             ;   in Loop: Header=BB285_15 Depth=1
	s_or_b32 exec_lo, exec_lo, s23
	v_lshlrev_b32_e32 v20, 8, v27
	v_lshl_add_u32 v13, v13, 10, 0x2000
	v_lshlrev_b32_e32 v3, 7, v3
	v_and_b32_e32 v20, 0x8000, v20
	v_and_b32_e32 v13, 0xfc00, v13
	v_or3_b32 v53, v20, v13, v3
.LBB285_1432:                           ;   in Loop: Header=BB285_15 Depth=1
	s_or_b32 exec_lo, exec_lo, s22
.LBB285_1433:                           ;   in Loop: Header=BB285_15 Depth=1
	s_or_b32 exec_lo, exec_lo, s21
.LBB285_1434:                           ;   in Loop: Header=BB285_15 Depth=1
	s_or_b32 exec_lo, exec_lo, s20
	v_lshrrev_b16 v3, 8, v27
	v_mov_b32_e32 v77, 0
	v_mov_b32_e32 v20, 0
	s_mov_b32 s20, exec_lo
	v_cmpx_ne_u16_e32 0, v3
	s_cbranch_execz .LBB285_1442
; %bb.1435:                             ;   in Loop: Header=BB285_15 Depth=1
	v_bfrev_b32_e32 v20, 1
	s_mov_b32 s21, exec_lo
	v_cmpx_ne_u16_e32 0x80, v3
	s_cbranch_execz .LBB285_1441
; %bb.1436:                             ;   in Loop: Header=BB285_15 Depth=1
	v_mov_b32_e32 v13, 0x7f
	v_mov_b32_e32 v20, 0x7c010000
	s_mov_b32 s22, exec_lo
	v_and_b32_sdwa v33, v3, v13 dst_sel:DWORD dst_unused:UNUSED_PAD src0_sel:WORD_0 src1_sel:DWORD
	v_cmpx_ne_u32_e32 0x7f, v33
	s_cbranch_execz .LBB285_1440
; %bb.1437:                             ;   in Loop: Header=BB285_15 Depth=1
	v_mov_b32_e32 v13, 7
	v_lshrrev_b32_e32 v20, 3, v33
	s_mov_b32 s23, exec_lo
	v_and_b32_sdwa v13, v3, v13 dst_sel:DWORD dst_unused:UNUSED_PAD src0_sel:WORD_0 src1_sel:DWORD
	v_cmpx_gt_u32_e32 8, v33
; %bb.1438:                             ;   in Loop: Header=BB285_15 Depth=1
	v_ffbh_u32_e32 v13, v13
	v_min_u32_e32 v13, 32, v13
	v_subrev_nc_u32_e32 v20, 28, v13
	v_lshlrev_b64 v[22:23], v20, v[3:4]
	v_sub_nc_u32_e32 v20, 29, v13
	v_and_b32_e32 v13, 7, v22
; %bb.1439:                             ;   in Loop: Header=BB285_15 Depth=1
	s_or_b32 exec_lo, exec_lo, s23
	v_mov_b32_e32 v22, 8
	v_lshl_add_u32 v20, v20, 10, 0x2000
	v_lshlrev_b32_e32 v13, 23, v13
	v_lshlrev_b32_sdwa v3, v22, v3 dst_sel:DWORD dst_unused:UNUSED_PAD src0_sel:DWORD src1_sel:WORD_0
	v_and_or_b32 v3, 0x8000, v3, v20
	v_lshl_or_b32 v20, v3, 16, v13
.LBB285_1440:                           ;   in Loop: Header=BB285_15 Depth=1
	s_or_b32 exec_lo, exec_lo, s22
.LBB285_1441:                           ;   in Loop: Header=BB285_15 Depth=1
	s_or_b32 exec_lo, exec_lo, s21
.LBB285_1442:                           ;   in Loop: Header=BB285_15 Depth=1
	s_or_b32 exec_lo, exec_lo, s20
	v_lshrrev_b32_e32 v3, 16, v27
	v_cmp_ne_u16_sdwa s5, v3, v4 src0_sel:BYTE_0 src1_sel:DWORD
	s_and_saveexec_b32 s20, s5
	s_cbranch_execz .LBB285_1450
; %bb.1443:                             ;   in Loop: Header=BB285_15 Depth=1
	v_cmp_ne_u16_sdwa s5, v3, v54 src0_sel:BYTE_0 src1_sel:DWORD
	v_mov_b32_e32 v77, 0x8000
	s_and_saveexec_b32 s21, s5
	s_cbranch_execz .LBB285_1449
; %bb.1444:                             ;   in Loop: Header=BB285_15 Depth=1
	v_bfe_u32 v34, v27, 16, 7
	v_mov_b32_e32 v77, 0x7c01
	s_mov_b32 s22, exec_lo
	v_cmpx_ne_u32_e32 0x7f, v34
	s_cbranch_execz .LBB285_1448
; %bb.1445:                             ;   in Loop: Header=BB285_15 Depth=1
	v_and_b32_e32 v13, 7, v3
	v_lshrrev_b32_e32 v33, 3, v34
	s_mov_b32 s23, exec_lo
	v_cmpx_gt_u32_e32 8, v34
; %bb.1446:                             ;   in Loop: Header=BB285_15 Depth=1
	v_ffbh_u32_e32 v13, v13
	v_min_u32_e32 v13, 32, v13
	v_subrev_nc_u32_e32 v22, 28, v13
	v_sub_nc_u32_e32 v33, 29, v13
	v_lshlrev_b64 v[22:23], v22, v[3:4]
	v_and_b32_e32 v13, 7, v22
; %bb.1447:                             ;   in Loop: Header=BB285_15 Depth=1
	s_or_b32 exec_lo, exec_lo, s23
	v_lshlrev_b32_e32 v3, 8, v3
	v_lshl_add_u32 v22, v33, 10, 0x2000
	v_lshlrev_b32_e32 v13, 7, v13
	v_and_b32_e32 v3, 0x8000, v3
	v_and_b32_e32 v22, 0xfc00, v22
	v_or3_b32 v77, v3, v22, v13
.LBB285_1448:                           ;   in Loop: Header=BB285_15 Depth=1
	s_or_b32 exec_lo, exec_lo, s22
.LBB285_1449:                           ;   in Loop: Header=BB285_15 Depth=1
	s_or_b32 exec_lo, exec_lo, s21
.LBB285_1450:                           ;   in Loop: Header=BB285_15 Depth=1
	s_or_b32 exec_lo, exec_lo, s20
	v_mov_b32_e32 v52, 0
	v_mov_b32_e32 v79, 0
	s_mov_b32 s20, exec_lo
	v_cmpx_lt_u32_e32 0xffffff, v27
	s_cbranch_execz .LBB285_1458
; %bb.1451:                             ;   in Loop: Header=BB285_15 Depth=1
	v_lshrrev_b32_e32 v3, 24, v27
	v_bfrev_b32_e32 v79, 1
	s_mov_b32 s21, exec_lo
	v_cmpx_ne_u32_e32 0x80, v3
	s_cbranch_execz .LBB285_1457
; %bb.1452:                             ;   in Loop: Header=BB285_15 Depth=1
	v_and_b32_e32 v34, 0x7f, v3
	v_mov_b32_e32 v79, 0x7c010000
	s_mov_b32 s22, exec_lo
	v_cmpx_ne_u32_e32 0x7f, v34
	s_cbranch_execz .LBB285_1456
; %bb.1453:                             ;   in Loop: Header=BB285_15 Depth=1
	v_and_b32_e32 v13, 7, v3
	v_lshrrev_b32_e32 v33, 3, v34
	s_mov_b32 s23, exec_lo
	v_cmpx_gt_u32_e32 8, v34
; %bb.1454:                             ;   in Loop: Header=BB285_15 Depth=1
	v_ffbh_u32_e32 v13, v13
	v_min_u32_e32 v13, 32, v13
	v_subrev_nc_u32_e32 v22, 28, v13
	v_sub_nc_u32_e32 v33, 29, v13
	v_lshlrev_b64 v[22:23], v22, v[3:4]
	v_and_b32_e32 v13, 7, v22
; %bb.1455:                             ;   in Loop: Header=BB285_15 Depth=1
	s_or_b32 exec_lo, exec_lo, s23
	v_lshlrev_b32_e32 v3, 8, v3
	v_lshl_add_u32 v22, v33, 10, 0x2000
	v_lshlrev_b32_e32 v13, 23, v13
	v_and_or_b32 v3, 0x8000, v3, v22
	v_lshl_or_b32 v79, v3, 16, v13
.LBB285_1456:                           ;   in Loop: Header=BB285_15 Depth=1
	s_or_b32 exec_lo, exec_lo, s22
.LBB285_1457:                           ;   in Loop: Header=BB285_15 Depth=1
	s_or_b32 exec_lo, exec_lo, s21
.LBB285_1458:                           ;   in Loop: Header=BB285_15 Depth=1
	s_or_b32 exec_lo, exec_lo, s20
	v_mov_b32_e32 v3, v28
	v_cmp_ne_u16_sdwa s5, v28, v4 src0_sel:BYTE_0 src1_sel:DWORD
	s_and_saveexec_b32 s20, s5
	s_cbranch_execz .LBB285_1466
; %bb.1459:                             ;   in Loop: Header=BB285_15 Depth=1
	v_cmp_ne_u16_sdwa s5, v28, v54 src0_sel:BYTE_0 src1_sel:DWORD
	v_mov_b32_e32 v52, 0x8000
	s_and_saveexec_b32 s21, s5
	s_cbranch_execz .LBB285_1465
; %bb.1460:                             ;   in Loop: Header=BB285_15 Depth=1
	v_and_b32_e32 v34, 0x7f, v28
	v_mov_b32_e32 v52, 0x7c01
	s_mov_b32 s22, exec_lo
	v_cmpx_ne_u32_e32 0x7f, v34
	s_cbranch_execz .LBB285_1464
; %bb.1461:                             ;   in Loop: Header=BB285_15 Depth=1
	v_and_b32_e32 v13, 7, v28
	v_lshrrev_b32_e32 v33, 3, v34
	s_mov_b32 s23, exec_lo
	v_cmpx_gt_u32_e32 8, v34
; %bb.1462:                             ;   in Loop: Header=BB285_15 Depth=1
	v_ffbh_u32_e32 v13, v13
	v_min_u32_e32 v13, 32, v13
	v_subrev_nc_u32_e32 v22, 28, v13
	v_sub_nc_u32_e32 v33, 29, v13
	v_lshlrev_b64 v[22:23], v22, v[3:4]
	v_and_b32_e32 v13, 7, v22
; %bb.1463:                             ;   in Loop: Header=BB285_15 Depth=1
	s_or_b32 exec_lo, exec_lo, s23
	v_lshlrev_b32_e32 v22, 8, v28
	v_lshl_add_u32 v23, v33, 10, 0x2000
	v_lshlrev_b32_e32 v13, 7, v13
	v_and_b32_e32 v22, 0x8000, v22
	v_and_b32_e32 v23, 0xfc00, v23
	v_or3_b32 v52, v22, v23, v13
.LBB285_1464:                           ;   in Loop: Header=BB285_15 Depth=1
	s_or_b32 exec_lo, exec_lo, s22
.LBB285_1465:                           ;   in Loop: Header=BB285_15 Depth=1
	s_or_b32 exec_lo, exec_lo, s21
.LBB285_1466:                           ;   in Loop: Header=BB285_15 Depth=1
	s_or_b32 exec_lo, exec_lo, s20
	v_lshrrev_b16 v3, 8, v3
	v_mov_b32_e32 v13, 0
	v_mov_b32_e32 v90, 0
	s_mov_b32 s20, exec_lo
	v_cmpx_ne_u16_e32 0, v3
	s_cbranch_execz .LBB285_1474
; %bb.1467:                             ;   in Loop: Header=BB285_15 Depth=1
	v_bfrev_b32_e32 v90, 1
	s_mov_b32 s21, exec_lo
	v_cmpx_ne_u16_e32 0x80, v3
	s_cbranch_execz .LBB285_1473
; %bb.1468:                             ;   in Loop: Header=BB285_15 Depth=1
	v_mov_b32_e32 v22, 0x7f
	v_mov_b32_e32 v90, 0x7c010000
	s_mov_b32 s22, exec_lo
	v_and_b32_sdwa v50, v3, v22 dst_sel:DWORD dst_unused:UNUSED_PAD src0_sel:WORD_0 src1_sel:DWORD
	v_cmpx_ne_u32_e32 0x7f, v50
	s_cbranch_execz .LBB285_1472
; %bb.1469:                             ;   in Loop: Header=BB285_15 Depth=1
	v_mov_b32_e32 v22, 7
	v_lshrrev_b32_e32 v34, 3, v50
	s_mov_b32 s23, exec_lo
	v_and_b32_sdwa v33, v3, v22 dst_sel:DWORD dst_unused:UNUSED_PAD src0_sel:WORD_0 src1_sel:DWORD
	v_cmpx_gt_u32_e32 8, v50
; %bb.1470:                             ;   in Loop: Header=BB285_15 Depth=1
	v_ffbh_u32_e32 v22, v33
	v_min_u32_e32 v33, 32, v22
	v_subrev_nc_u32_e32 v22, 28, v33
	v_sub_nc_u32_e32 v34, 29, v33
	v_lshlrev_b64 v[22:23], v22, v[3:4]
	v_and_b32_e32 v33, 7, v22
; %bb.1471:                             ;   in Loop: Header=BB285_15 Depth=1
	s_or_b32 exec_lo, exec_lo, s23
	v_mov_b32_e32 v22, 8
	v_lshlrev_b32_sdwa v3, v22, v3 dst_sel:DWORD dst_unused:UNUSED_PAD src0_sel:DWORD src1_sel:WORD_0
	v_lshl_add_u32 v22, v34, 10, 0x2000
	v_and_or_b32 v3, 0x8000, v3, v22
	v_lshlrev_b32_e32 v22, 23, v33
	v_lshl_or_b32 v90, v3, 16, v22
.LBB285_1472:                           ;   in Loop: Header=BB285_15 Depth=1
	s_or_b32 exec_lo, exec_lo, s22
.LBB285_1473:                           ;   in Loop: Header=BB285_15 Depth=1
	s_or_b32 exec_lo, exec_lo, s21
.LBB285_1474:                           ;   in Loop: Header=BB285_15 Depth=1
	s_or_b32 exec_lo, exec_lo, s20
	v_lshrrev_b32_e32 v3, 16, v28
	v_cmp_ne_u16_sdwa s5, v3, v4 src0_sel:BYTE_0 src1_sel:DWORD
	s_and_saveexec_b32 s20, s5
	s_cbranch_execz .LBB285_1482
; %bb.1475:                             ;   in Loop: Header=BB285_15 Depth=1
	v_cmp_ne_u16_sdwa s5, v3, v54 src0_sel:BYTE_0 src1_sel:DWORD
	v_mov_b32_e32 v13, 0x8000
	s_and_saveexec_b32 s21, s5
	s_cbranch_execz .LBB285_1481
; %bb.1476:                             ;   in Loop: Header=BB285_15 Depth=1
	v_bfe_u32 v34, v28, 16, 7
	v_mov_b32_e32 v13, 0x7c01
	s_mov_b32 s22, exec_lo
	v_cmpx_ne_u32_e32 0x7f, v34
	s_cbranch_execz .LBB285_1480
; %bb.1477:                             ;   in Loop: Header=BB285_15 Depth=1
	v_and_b32_e32 v13, 7, v3
	v_lshrrev_b32_e32 v33, 3, v34
	s_mov_b32 s23, exec_lo
	v_cmpx_gt_u32_e32 8, v34
; %bb.1478:                             ;   in Loop: Header=BB285_15 Depth=1
	v_ffbh_u32_e32 v13, v13
	v_min_u32_e32 v13, 32, v13
	v_subrev_nc_u32_e32 v22, 28, v13
	v_sub_nc_u32_e32 v33, 29, v13
	v_lshlrev_b64 v[22:23], v22, v[3:4]
	v_and_b32_e32 v13, 7, v22
; %bb.1479:                             ;   in Loop: Header=BB285_15 Depth=1
	s_or_b32 exec_lo, exec_lo, s23
	v_lshlrev_b32_e32 v3, 8, v3
	v_lshl_add_u32 v22, v33, 10, 0x2000
	v_lshlrev_b32_e32 v13, 7, v13
	v_and_b32_e32 v3, 0x8000, v3
	v_and_b32_e32 v22, 0xfc00, v22
	v_or3_b32 v13, v3, v22, v13
.LBB285_1480:                           ;   in Loop: Header=BB285_15 Depth=1
	s_or_b32 exec_lo, exec_lo, s22
.LBB285_1481:                           ;   in Loop: Header=BB285_15 Depth=1
	s_or_b32 exec_lo, exec_lo, s21
.LBB285_1482:                           ;   in Loop: Header=BB285_15 Depth=1
	s_or_b32 exec_lo, exec_lo, s20
	v_cmp_lt_u64_e64 s5, s[12:13], v[27:28]
	v_mov_b32_e32 v27, 0
	v_mov_b32_e32 v74, 0
	s_and_saveexec_b32 s20, s5
	s_cbranch_execz .LBB285_1490
; %bb.1483:                             ;   in Loop: Header=BB285_15 Depth=1
	v_lshrrev_b32_e32 v3, 24, v28
	v_bfrev_b32_e32 v74, 1
	s_mov_b32 s21, exec_lo
	v_cmpx_ne_u32_e32 0x80, v3
	s_cbranch_execz .LBB285_1489
; %bb.1484:                             ;   in Loop: Header=BB285_15 Depth=1
	v_and_b32_e32 v34, 0x7f, v3
	v_mov_b32_e32 v74, 0x7c010000
	s_mov_b32 s22, exec_lo
	v_cmpx_ne_u32_e32 0x7f, v34
	s_cbranch_execz .LBB285_1488
; %bb.1485:                             ;   in Loop: Header=BB285_15 Depth=1
	v_and_b32_e32 v28, 7, v3
	v_lshrrev_b32_e32 v33, 3, v34
	s_mov_b32 s23, exec_lo
	v_cmpx_gt_u32_e32 8, v34
; %bb.1486:                             ;   in Loop: Header=BB285_15 Depth=1
	v_ffbh_u32_e32 v22, v28
	v_min_u32_e32 v28, 32, v22
	v_subrev_nc_u32_e32 v22, 28, v28
	v_sub_nc_u32_e32 v33, 29, v28
	v_lshlrev_b64 v[22:23], v22, v[3:4]
	v_and_b32_e32 v28, 7, v22
; %bb.1487:                             ;   in Loop: Header=BB285_15 Depth=1
	s_or_b32 exec_lo, exec_lo, s23
	v_lshlrev_b32_e32 v3, 8, v3
	v_lshl_add_u32 v22, v33, 10, 0x2000
	v_and_or_b32 v3, 0x8000, v3, v22
	v_lshlrev_b32_e32 v22, 23, v28
	v_lshl_or_b32 v74, v3, 16, v22
.LBB285_1488:                           ;   in Loop: Header=BB285_15 Depth=1
	s_or_b32 exec_lo, exec_lo, s22
.LBB285_1489:                           ;   in Loop: Header=BB285_15 Depth=1
	s_or_b32 exec_lo, exec_lo, s21
.LBB285_1490:                           ;   in Loop: Header=BB285_15 Depth=1
	s_or_b32 exec_lo, exec_lo, s20
	flat_load_dwordx2 v[24:25], v[24:25] offset:1544
	s_waitcnt vmcnt(0) lgkmcnt(0)
	v_cmp_ne_u16_sdwa s5, v24, v4 src0_sel:BYTE_0 src1_sel:DWORD
	s_and_saveexec_b32 s20, s5
	s_cbranch_execz .LBB285_1498
; %bb.1491:                             ;   in Loop: Header=BB285_15 Depth=1
	v_cmp_ne_u16_sdwa s5, v24, v54 src0_sel:BYTE_0 src1_sel:DWORD
	v_mov_b32_e32 v27, 0x8000
	s_and_saveexec_b32 s21, s5
	s_cbranch_execz .LBB285_1497
; %bb.1492:                             ;   in Loop: Header=BB285_15 Depth=1
	v_and_b32_e32 v28, 0x7f, v24
	v_mov_b32_e32 v27, 0x7c01
	s_mov_b32 s22, exec_lo
	v_cmpx_ne_u32_e32 0x7f, v28
	s_cbranch_execz .LBB285_1496
; %bb.1493:                             ;   in Loop: Header=BB285_15 Depth=1
	v_and_b32_e32 v3, 7, v24
	v_lshrrev_b32_e32 v27, 3, v28
	s_mov_b32 s23, exec_lo
	v_cmpx_gt_u32_e32 8, v28
; %bb.1494:                             ;   in Loop: Header=BB285_15 Depth=1
	v_ffbh_u32_e32 v3, v3
	v_min_u32_e32 v3, 32, v3
	v_subrev_nc_u32_e32 v22, 28, v3
	v_sub_nc_u32_e32 v27, 29, v3
	v_lshlrev_b64 v[22:23], v22, v[24:25]
	v_and_b32_e32 v3, 7, v22
; %bb.1495:                             ;   in Loop: Header=BB285_15 Depth=1
	s_or_b32 exec_lo, exec_lo, s23
	v_lshlrev_b32_e32 v22, 8, v24
	v_lshl_add_u32 v23, v27, 10, 0x2000
	v_lshlrev_b32_e32 v3, 7, v3
	v_and_b32_e32 v22, 0x8000, v22
	v_and_b32_e32 v23, 0xfc00, v23
	v_or3_b32 v27, v22, v23, v3
.LBB285_1496:                           ;   in Loop: Header=BB285_15 Depth=1
	s_or_b32 exec_lo, exec_lo, s22
.LBB285_1497:                           ;   in Loop: Header=BB285_15 Depth=1
	s_or_b32 exec_lo, exec_lo, s21
.LBB285_1498:                           ;   in Loop: Header=BB285_15 Depth=1
	s_or_b32 exec_lo, exec_lo, s20
	v_lshrrev_b16 v3, 8, v24
	v_mov_b32_e32 v122, 0
	v_mov_b32_e32 v28, 0
	s_mov_b32 s20, exec_lo
	v_cmpx_ne_u16_e32 0, v3
	s_cbranch_execz .LBB285_1506
; %bb.1499:                             ;   in Loop: Header=BB285_15 Depth=1
	v_bfrev_b32_e32 v28, 1
	s_mov_b32 s21, exec_lo
	v_cmpx_ne_u16_e32 0x80, v3
	s_cbranch_execz .LBB285_1505
; %bb.1500:                             ;   in Loop: Header=BB285_15 Depth=1
	v_mov_b32_e32 v22, 0x7f
	v_mov_b32_e32 v28, 0x7c010000
	s_mov_b32 s22, exec_lo
	v_and_b32_sdwa v34, v3, v22 dst_sel:DWORD dst_unused:UNUSED_PAD src0_sel:WORD_0 src1_sel:DWORD
	v_cmpx_ne_u32_e32 0x7f, v34
	s_cbranch_execz .LBB285_1504
; %bb.1501:                             ;   in Loop: Header=BB285_15 Depth=1
	v_mov_b32_e32 v22, 7
	v_lshrrev_b32_e32 v33, 3, v34
	s_mov_b32 s23, exec_lo
	v_and_b32_sdwa v28, v3, v22 dst_sel:DWORD dst_unused:UNUSED_PAD src0_sel:WORD_0 src1_sel:DWORD
	v_cmpx_gt_u32_e32 8, v34
; %bb.1502:                             ;   in Loop: Header=BB285_15 Depth=1
	v_ffbh_u32_e32 v22, v28
	v_min_u32_e32 v28, 32, v22
	v_subrev_nc_u32_e32 v22, 28, v28
	v_sub_nc_u32_e32 v33, 29, v28
	v_lshlrev_b64 v[22:23], v22, v[3:4]
	v_and_b32_e32 v28, 7, v22
; %bb.1503:                             ;   in Loop: Header=BB285_15 Depth=1
	s_or_b32 exec_lo, exec_lo, s23
	v_mov_b32_e32 v22, 8
	v_lshlrev_b32_sdwa v3, v22, v3 dst_sel:DWORD dst_unused:UNUSED_PAD src0_sel:DWORD src1_sel:WORD_0
	v_lshl_add_u32 v22, v33, 10, 0x2000
	v_and_or_b32 v3, 0x8000, v3, v22
	v_lshlrev_b32_e32 v22, 23, v28
	v_lshl_or_b32 v28, v3, 16, v22
.LBB285_1504:                           ;   in Loop: Header=BB285_15 Depth=1
	s_or_b32 exec_lo, exec_lo, s22
.LBB285_1505:                           ;   in Loop: Header=BB285_15 Depth=1
	s_or_b32 exec_lo, exec_lo, s21
.LBB285_1506:                           ;   in Loop: Header=BB285_15 Depth=1
	s_or_b32 exec_lo, exec_lo, s20
	v_lshrrev_b32_e32 v3, 16, v24
	v_cmp_ne_u16_sdwa s5, v3, v4 src0_sel:BYTE_0 src1_sel:DWORD
	s_and_saveexec_b32 s20, s5
	s_cbranch_execz .LBB285_1514
; %bb.1507:                             ;   in Loop: Header=BB285_15 Depth=1
	v_cmp_ne_u16_sdwa s5, v3, v54 src0_sel:BYTE_0 src1_sel:DWORD
	v_mov_b32_e32 v122, 0x8000
	s_and_saveexec_b32 s21, s5
	s_cbranch_execz .LBB285_1513
; %bb.1508:                             ;   in Loop: Header=BB285_15 Depth=1
	v_bfe_u32 v50, v24, 16, 7
	v_mov_b32_e32 v122, 0x7c01
	s_mov_b32 s22, exec_lo
	v_cmpx_ne_u32_e32 0x7f, v50
	s_cbranch_execz .LBB285_1512
; %bb.1509:                             ;   in Loop: Header=BB285_15 Depth=1
	v_and_b32_e32 v33, 7, v3
	v_lshrrev_b32_e32 v34, 3, v50
	s_mov_b32 s23, exec_lo
	v_cmpx_gt_u32_e32 8, v50
; %bb.1510:                             ;   in Loop: Header=BB285_15 Depth=1
	v_ffbh_u32_e32 v22, v33
	v_min_u32_e32 v33, 32, v22
	v_subrev_nc_u32_e32 v22, 28, v33
	v_sub_nc_u32_e32 v34, 29, v33
	v_lshlrev_b64 v[22:23], v22, v[3:4]
	v_and_b32_e32 v33, 7, v22
; %bb.1511:                             ;   in Loop: Header=BB285_15 Depth=1
	s_or_b32 exec_lo, exec_lo, s23
	v_lshlrev_b32_e32 v3, 8, v3
	v_lshl_add_u32 v22, v34, 10, 0x2000
	v_lshlrev_b32_e32 v23, 7, v33
	v_and_b32_e32 v3, 0x8000, v3
	v_and_b32_e32 v22, 0xfc00, v22
	v_or3_b32 v122, v3, v22, v23
.LBB285_1512:                           ;   in Loop: Header=BB285_15 Depth=1
	s_or_b32 exec_lo, exec_lo, s22
.LBB285_1513:                           ;   in Loop: Header=BB285_15 Depth=1
	s_or_b32 exec_lo, exec_lo, s21
.LBB285_1514:                           ;   in Loop: Header=BB285_15 Depth=1
	s_or_b32 exec_lo, exec_lo, s20
	v_mov_b32_e32 v50, 0
	v_mov_b32_e32 v34, 0
	s_mov_b32 s20, exec_lo
	v_cmpx_lt_u32_e32 0xffffff, v24
	s_cbranch_execz .LBB285_1522
; %bb.1515:                             ;   in Loop: Header=BB285_15 Depth=1
	v_lshrrev_b32_e32 v3, 24, v24
	v_bfrev_b32_e32 v34, 1
	s_mov_b32 s21, exec_lo
	v_cmpx_ne_u32_e32 0x80, v3
	s_cbranch_execz .LBB285_1521
; %bb.1516:                             ;   in Loop: Header=BB285_15 Depth=1
	v_and_b32_e32 v98, 0x7f, v3
	v_mov_b32_e32 v34, 0x7c010000
	s_mov_b32 s22, exec_lo
	v_cmpx_ne_u32_e32 0x7f, v98
	s_cbranch_execz .LBB285_1520
; %bb.1517:                             ;   in Loop: Header=BB285_15 Depth=1
	v_and_b32_e32 v33, 7, v3
	v_lshrrev_b32_e32 v34, 3, v98
	s_mov_b32 s23, exec_lo
	v_cmpx_gt_u32_e32 8, v98
; %bb.1518:                             ;   in Loop: Header=BB285_15 Depth=1
	v_ffbh_u32_e32 v22, v33
	v_min_u32_e32 v33, 32, v22
	v_subrev_nc_u32_e32 v22, 28, v33
	v_sub_nc_u32_e32 v34, 29, v33
	v_lshlrev_b64 v[22:23], v22, v[3:4]
	v_and_b32_e32 v33, 7, v22
; %bb.1519:                             ;   in Loop: Header=BB285_15 Depth=1
	s_or_b32 exec_lo, exec_lo, s23
	v_lshlrev_b32_e32 v3, 8, v3
	v_lshl_add_u32 v22, v34, 10, 0x2000
	v_and_or_b32 v3, 0x8000, v3, v22
	v_lshlrev_b32_e32 v22, 23, v33
	v_lshl_or_b32 v34, v3, 16, v22
.LBB285_1520:                           ;   in Loop: Header=BB285_15 Depth=1
	s_or_b32 exec_lo, exec_lo, s22
.LBB285_1521:                           ;   in Loop: Header=BB285_15 Depth=1
	s_or_b32 exec_lo, exec_lo, s21
.LBB285_1522:                           ;   in Loop: Header=BB285_15 Depth=1
	s_or_b32 exec_lo, exec_lo, s20
	v_mov_b32_e32 v3, v25
	v_cmp_ne_u16_sdwa s5, v25, v4 src0_sel:BYTE_0 src1_sel:DWORD
	s_and_saveexec_b32 s20, s5
	s_cbranch_execz .LBB285_1530
; %bb.1523:                             ;   in Loop: Header=BB285_15 Depth=1
	v_cmp_ne_u16_sdwa s5, v25, v54 src0_sel:BYTE_0 src1_sel:DWORD
	v_mov_b32_e32 v50, 0x8000
	s_and_saveexec_b32 s21, s5
	s_cbranch_execz .LBB285_1529
; %bb.1524:                             ;   in Loop: Header=BB285_15 Depth=1
	v_and_b32_e32 v98, 0x7f, v25
	v_mov_b32_e32 v50, 0x7c01
	s_mov_b32 s22, exec_lo
	v_cmpx_ne_u32_e32 0x7f, v98
	s_cbranch_execz .LBB285_1528
; %bb.1525:                             ;   in Loop: Header=BB285_15 Depth=1
	v_and_b32_e32 v33, 7, v25
	v_lshrrev_b32_e32 v50, 3, v98
	s_mov_b32 s23, exec_lo
	v_cmpx_gt_u32_e32 8, v98
; %bb.1526:                             ;   in Loop: Header=BB285_15 Depth=1
	v_ffbh_u32_e32 v22, v33
	v_min_u32_e32 v33, 32, v22
	v_subrev_nc_u32_e32 v22, 28, v33
	v_sub_nc_u32_e32 v50, 29, v33
	v_lshlrev_b64 v[22:23], v22, v[3:4]
	v_and_b32_e32 v33, 7, v22
; %bb.1527:                             ;   in Loop: Header=BB285_15 Depth=1
	s_or_b32 exec_lo, exec_lo, s23
	v_lshlrev_b32_e32 v22, 8, v25
	v_lshl_add_u32 v23, v50, 10, 0x2000
	v_lshlrev_b32_e32 v33, 7, v33
	v_and_b32_e32 v22, 0x8000, v22
	v_and_b32_e32 v23, 0xfc00, v23
	v_or3_b32 v50, v22, v23, v33
.LBB285_1528:                           ;   in Loop: Header=BB285_15 Depth=1
	s_or_b32 exec_lo, exec_lo, s22
.LBB285_1529:                           ;   in Loop: Header=BB285_15 Depth=1
	s_or_b32 exec_lo, exec_lo, s21
.LBB285_1530:                           ;   in Loop: Header=BB285_15 Depth=1
	s_or_b32 exec_lo, exec_lo, s20
	v_lshrrev_b16 v3, 8, v3
	v_mov_b32_e32 v33, 0
	v_mov_b32_e32 v95, 0
	s_mov_b32 s20, exec_lo
	v_cmpx_ne_u16_e32 0, v3
	s_cbranch_execz .LBB285_1538
; %bb.1531:                             ;   in Loop: Header=BB285_15 Depth=1
	v_bfrev_b32_e32 v95, 1
	s_mov_b32 s21, exec_lo
	v_cmpx_ne_u16_e32 0x80, v3
	s_cbranch_execz .LBB285_1537
; %bb.1532:                             ;   in Loop: Header=BB285_15 Depth=1
	v_mov_b32_e32 v22, 0x7f
	v_mov_b32_e32 v95, 0x7c010000
	s_mov_b32 s22, exec_lo
	v_and_b32_sdwa v108, v3, v22 dst_sel:DWORD dst_unused:UNUSED_PAD src0_sel:WORD_0 src1_sel:DWORD
	v_cmpx_ne_u32_e32 0x7f, v108
	s_cbranch_execz .LBB285_1536
; %bb.1533:                             ;   in Loop: Header=BB285_15 Depth=1
	v_mov_b32_e32 v22, 7
	v_lshrrev_b32_e32 v98, 3, v108
	s_mov_b32 s23, exec_lo
	v_and_b32_sdwa v95, v3, v22 dst_sel:DWORD dst_unused:UNUSED_PAD src0_sel:WORD_0 src1_sel:DWORD
	v_cmpx_gt_u32_e32 8, v108
; %bb.1534:                             ;   in Loop: Header=BB285_15 Depth=1
	v_ffbh_u32_e32 v22, v95
	v_min_u32_e32 v98, 32, v22
	v_subrev_nc_u32_e32 v22, 28, v98
	v_sub_nc_u32_e32 v98, 29, v98
	v_lshlrev_b64 v[22:23], v22, v[3:4]
	v_and_b32_e32 v95, 7, v22
; %bb.1535:                             ;   in Loop: Header=BB285_15 Depth=1
	s_or_b32 exec_lo, exec_lo, s23
	v_mov_b32_e32 v22, 8
	v_lshlrev_b32_sdwa v3, v22, v3 dst_sel:DWORD dst_unused:UNUSED_PAD src0_sel:DWORD src1_sel:WORD_0
	v_lshl_add_u32 v22, v98, 10, 0x2000
	v_and_or_b32 v3, 0x8000, v3, v22
	v_lshlrev_b32_e32 v22, 23, v95
	v_lshl_or_b32 v95, v3, 16, v22
.LBB285_1536:                           ;   in Loop: Header=BB285_15 Depth=1
	s_or_b32 exec_lo, exec_lo, s22
.LBB285_1537:                           ;   in Loop: Header=BB285_15 Depth=1
	s_or_b32 exec_lo, exec_lo, s21
.LBB285_1538:                           ;   in Loop: Header=BB285_15 Depth=1
	s_or_b32 exec_lo, exec_lo, s20
	v_lshrrev_b32_e32 v3, 16, v25
	v_cmp_ne_u16_sdwa s5, v3, v4 src0_sel:BYTE_0 src1_sel:DWORD
	s_and_saveexec_b32 s20, s5
	s_cbranch_execz .LBB285_1546
; %bb.1539:                             ;   in Loop: Header=BB285_15 Depth=1
	v_cmp_ne_u16_sdwa s5, v3, v54 src0_sel:BYTE_0 src1_sel:DWORD
	v_mov_b32_e32 v33, 0x8000
	s_and_saveexec_b32 s21, s5
	s_cbranch_execz .LBB285_1545
; %bb.1540:                             ;   in Loop: Header=BB285_15 Depth=1
	v_bfe_u32 v108, v25, 16, 7
	v_mov_b32_e32 v33, 0x7c01
	s_mov_b32 s22, exec_lo
	v_cmpx_ne_u32_e32 0x7f, v108
	s_cbranch_execz .LBB285_1544
; %bb.1541:                             ;   in Loop: Header=BB285_15 Depth=1
	v_and_b32_e32 v33, 7, v3
	v_lshrrev_b32_e32 v98, 3, v108
	s_mov_b32 s23, exec_lo
	v_cmpx_gt_u32_e32 8, v108
; %bb.1542:                             ;   in Loop: Header=BB285_15 Depth=1
	v_ffbh_u32_e32 v22, v33
	v_min_u32_e32 v33, 32, v22
	v_subrev_nc_u32_e32 v22, 28, v33
	v_sub_nc_u32_e32 v98, 29, v33
	v_lshlrev_b64 v[22:23], v22, v[3:4]
	v_and_b32_e32 v33, 7, v22
; %bb.1543:                             ;   in Loop: Header=BB285_15 Depth=1
	s_or_b32 exec_lo, exec_lo, s23
	v_lshlrev_b32_e32 v3, 8, v3
	v_lshl_add_u32 v22, v98, 10, 0x2000
	v_lshlrev_b32_e32 v23, 7, v33
	v_and_b32_e32 v3, 0x8000, v3
	v_and_b32_e32 v22, 0xfc00, v22
	v_or3_b32 v33, v3, v22, v23
.LBB285_1544:                           ;   in Loop: Header=BB285_15 Depth=1
	s_or_b32 exec_lo, exec_lo, s22
.LBB285_1545:                           ;   in Loop: Header=BB285_15 Depth=1
	s_or_b32 exec_lo, exec_lo, s21
.LBB285_1546:                           ;   in Loop: Header=BB285_15 Depth=1
	s_or_b32 exec_lo, exec_lo, s20
	v_cmp_lt_u64_e64 s5, s[12:13], v[24:25]
	v_mov_b32_e32 v24, 0
	s_and_saveexec_b32 s20, s5
	s_cbranch_execz .LBB285_13
; %bb.1547:                             ;   in Loop: Header=BB285_15 Depth=1
	v_lshrrev_b32_e32 v3, 24, v25
	v_bfrev_b32_e32 v24, 1
	s_mov_b32 s21, exec_lo
	v_cmpx_ne_u32_e32 0x80, v3
	s_cbranch_execz .LBB285_12
; %bb.1548:                             ;   in Loop: Header=BB285_15 Depth=1
	v_and_b32_e32 v98, 0x7f, v3
	v_mov_b32_e32 v24, 0x7c010000
	s_mov_b32 s22, exec_lo
	v_cmpx_ne_u32_e32 0x7f, v98
	s_cbranch_execz .LBB285_11
; %bb.1549:                             ;   in Loop: Header=BB285_15 Depth=1
	v_and_b32_e32 v24, 7, v3
	v_lshrrev_b32_e32 v25, 3, v98
	s_mov_b32 s23, exec_lo
	v_cmpx_gt_u32_e32 8, v98
	s_cbranch_execz .LBB285_10
; %bb.1550:                             ;   in Loop: Header=BB285_15 Depth=1
	v_ffbh_u32_e32 v22, v24
	v_min_u32_e32 v24, 32, v22
	v_subrev_nc_u32_e32 v22, 28, v24
	v_sub_nc_u32_e32 v25, 29, v24
	v_lshlrev_b64 v[22:23], v22, v[3:4]
	v_and_b32_e32 v24, 7, v22
	s_branch .LBB285_10
.LBB285_1551:
	s_or_b32 exec_lo, exec_lo, s19
	s_clause 0xf
	buffer_load_dword v106, off, s[0:3], s32 offset:924
	buffer_load_dword v107, off, s[0:3], s32 offset:928
	;; [unrolled: 1-line block ×16, first 2 shown]
.LBB285_1552:
	s_or_b32 exec_lo, exec_lo, s17
	v_mbcnt_lo_u32_b32 v0, -1, 0
	v_max_f32_e32 v4, v14, v14
	s_waitcnt lgkmcnt(0)
	s_lshr_b32 s12, s7, 16
	v_xor_b32_e32 v1, 16, v0
	v_xor_b32_e32 v3, 8, v0
	v_cmp_gt_i32_e32 vcc_lo, 32, v1
	v_cndmask_b32_e32 v1, v0, v1, vcc_lo
	v_cmp_gt_i32_e32 vcc_lo, 32, v3
	v_lshlrev_b32_e32 v1, 2, v1
	v_cndmask_b32_e32 v3, v0, v3, vcc_lo
	ds_bpermute_b32 v2, v1, v14
	s_waitcnt lgkmcnt(0)
	v_max_f32_e32 v5, v2, v2
	v_lshlrev_b32_e32 v2, 2, v3
	v_max_f32_e32 v4, v4, v5
	v_xor_b32_e32 v5, 4, v0
	ds_bpermute_b32 v3, v2, v4
	v_cmp_gt_i32_e32 vcc_lo, 32, v5
	v_cndmask_b32_e32 v5, v0, v5, vcc_lo
	s_waitcnt lgkmcnt(0)
	v_max_f32_e32 v6, v3, v3
	v_lshlrev_b32_e32 v3, 2, v5
	v_max_f32_e32 v4, v4, v6
	v_xor_b32_e32 v6, 2, v0
	ds_bpermute_b32 v5, v3, v4
	v_cmp_gt_i32_e32 vcc_lo, 32, v6
	v_cndmask_b32_e32 v6, v0, v6, vcc_lo
	v_lshlrev_b32_e32 v15, 2, v6
	v_xor_b32_e32 v6, 1, v0
	v_cmp_gt_i32_e32 vcc_lo, 32, v6
	s_waitcnt lgkmcnt(0)
	v_max_f32_e32 v5, v5, v5
	v_cndmask_b32_e32 v6, v0, v6, vcc_lo
	v_max_f32_e32 v4, v4, v5
	v_lshlrev_b32_e32 v14, 2, v6
	ds_bpermute_b32 v5, v15, v4
	s_waitcnt lgkmcnt(0)
	v_max_f32_e32 v5, v5, v5
	v_max_f32_e32 v0, v4, v5
	buffer_load_dword v4, off, s[0:3], s32 offset:876 ; 4-byte Folded Reload
	ds_bpermute_b32 v5, v14, v0
	s_waitcnt vmcnt(0)
	v_cmp_eq_u32_e32 vcc_lo, 0, v4
	v_lshlrev_b32_e32 v4, 2, v125
	s_and_saveexec_b32 s5, vcc_lo
	s_cbranch_execz .LBB285_1554
; %bb.1553:
	s_waitcnt lgkmcnt(0)
	v_max_f32_e32 v5, v5, v5
	v_max_f32_e32 v0, v0, v0
	;; [unrolled: 1-line block ×3, first 2 shown]
	ds_write_b32 v4, v0 offset:384
.LBB285_1554:
	s_or_b32 exec_lo, exec_lo, s5
	buffer_load_dword v0, off, s[0:3], s32 offset:876 ; 4-byte Folded Reload
	s_waitcnt vmcnt(0) lgkmcnt(0)
	s_waitcnt_vscnt null, 0x0
	s_barrier
	buffer_gl0_inv
	v_cmp_gt_u32_e64 s5, 4, v0
	v_mov_b32_e32 v0, 0xff7fffff
	s_and_saveexec_b32 s6, s5
; %bb.1555:
	ds_read_b32 v0, v13 offset:384
; %bb.1556:
	s_or_b32 exec_lo, exec_lo, s6
	s_waitcnt lgkmcnt(0)
	ds_bpermute_b32 v5, v15, v0
	v_max_f32_e32 v0, v0, v0
	s_waitcnt lgkmcnt(0)
	v_max_f32_e32 v5, v5, v5
	v_max_f32_e32 v0, v0, v5
	ds_bpermute_b32 v5, v14, v0
	s_waitcnt lgkmcnt(0)
	v_max_f32_e32 v5, v5, v5
	v_max_f32_e32 v0, v0, v5
	v_mov_b32_e32 v5, 0
	ds_bpermute_b32 v6, v5, v0
	v_lshlrev_b32_e32 v0, 5, v121
	v_min_i32_e32 v0, v0, v32
	v_cmp_lt_i32_e64 s6, v108, v0
	s_and_saveexec_b32 s13, s6
	s_cbranch_execz .LBB285_1560
; %bb.1557:
	s_load_dword s7, s[8:9], 0x0
	v_mov_b32_e32 v5, 0
	v_mov_b32_e32 v8, v108
	s_mov_b32 s17, 0
	s_waitcnt lgkmcnt(0)
	v_lshl_add_u32 v7, v108, 2, s7
	.p2align	6
.LBB285_1558:                           ; =>This Inner Loop Header: Depth=1
	ds_read_b32 v9, v7
	v_add_nc_u32_e32 v8, 0x80, v8
	v_cmp_ge_i32_e64 s7, v8, v0
	s_or_b32 s17, s7, s17
	s_waitcnt lgkmcnt(0)
	v_sub_f32_e32 v9, v9, v6
	v_mul_f32_e32 v9, 0x3fb8aa3b, v9
	v_exp_f32_e32 v9, v9
	ds_write_b32 v7, v9
	v_add_f32_e32 v5, v5, v9
	v_add_nc_u32_e32 v7, 0x200, v7
	s_andn2_b32 exec_lo, exec_lo, s17
	s_cbranch_execnz .LBB285_1558
; %bb.1559:
	s_or_b32 exec_lo, exec_lo, s17
.LBB285_1560:
	s_or_b32 exec_lo, exec_lo, s13
	ds_bpermute_b32 v1, v1, v5
	s_waitcnt lgkmcnt(0)
	v_add_f32_e32 v1, v5, v1
	ds_bpermute_b32 v2, v2, v1
	s_waitcnt lgkmcnt(0)
	v_add_f32_e32 v1, v1, v2
	;; [unrolled: 3-line block ×5, first 2 shown]
	s_and_saveexec_b32 s7, vcc_lo
; %bb.1561:
	ds_write_b32 v4, v1 offset:400
; %bb.1562:
	s_or_b32 exec_lo, exec_lo, s7
	s_waitcnt lgkmcnt(0)
	s_barrier
	buffer_gl0_inv
	s_and_saveexec_b32 s7, s5
; %bb.1563:
	ds_read_b32 v1, v13 offset:400
; %bb.1564:
	s_or_b32 exec_lo, exec_lo, s7
	s_waitcnt lgkmcnt(0)
	ds_bpermute_b32 v2, v15, v1
	s_waitcnt lgkmcnt(0)
	v_add_f32_e32 v1, v1, v2
	ds_bpermute_b32 v2, v14, v1
	s_waitcnt lgkmcnt(0)
	v_add_f32_e32 v1, v1, v2
	v_mov_b32_e32 v2, 0
	ds_bpermute_b32 v1, v2, v1
	s_and_saveexec_b32 s5, s6
	s_cbranch_execz .LBB285_1567
; %bb.1565:
	s_waitcnt lgkmcnt(0)
	v_add_f32_e32 v2, 0x358637bd, v1
	s_load_dword s6, s[8:9], 0x0
	v_div_scale_f32 v1, null, v2, v2, 1.0
	v_div_scale_f32 v5, vcc_lo, 1.0, v2, 1.0
	v_rcp_f32_e32 v3, v1
	v_fma_f32 v4, -v1, v3, 1.0
	v_fmac_f32_e32 v3, v4, v3
	v_mul_f32_e32 v4, v5, v3
	v_fma_f32 v6, -v1, v4, v5
	v_fmac_f32_e32 v4, v6, v3
	v_fma_f32 v1, -v1, v4, v5
	v_div_fmas_f32 v3, v1, v3, v4
	s_waitcnt lgkmcnt(0)
	v_lshl_add_u32 v1, v108, 2, s6
	s_mov_b32 s6, 0
	v_div_fixup_f32 v2, v3, v2, 1.0
	v_mov_b32_e32 v3, v108
.LBB285_1566:                           ; =>This Inner Loop Header: Depth=1
	ds_read_b32 v4, v1
	v_add_nc_u32_e32 v3, 0x80, v3
	v_cmp_ge_i32_e32 vcc_lo, v3, v0
	s_or_b32 s6, vcc_lo, s6
	s_waitcnt lgkmcnt(0)
	v_mul_f32_e32 v4, v2, v4
	ds_write_b32 v1, v4
	v_add_nc_u32_e32 v1, 0x200, v1
	s_andn2_b32 exec_lo, exec_lo, s6
	s_cbranch_execnz .LBB285_1566
.LBB285_1567:
	s_or_b32 exec_lo, exec_lo, s5
	v_mov_b32_e32 v70, 0
	v_mov_b32_e32 v69, 0
	;; [unrolled: 1-line block ×24, first 2 shown]
	s_waitcnt lgkmcnt(0)
	s_barrier
	buffer_gl0_inv
	s_and_saveexec_b32 s5, s4
	s_cbranch_execz .LBB285_3157
; %bb.1568:
	s_clause 0x2
	buffer_load_dword v1, off, s[0:3], s32 offset:912
	buffer_load_dword v2, off, s[0:3], s32 offset:916
	;; [unrolled: 1-line block ×3, first 2 shown]
	v_max_i32_e32 v26, v26, v12
	v_add_nc_u32_e32 v63, -1, v121
	v_mov_b32_e32 v4, 0
	v_mov_b32_e32 v80, 0x80
	;; [unrolled: 1-line block ×3, first 2 shown]
	v_cvt_f32_u32_e32 v0, v26
	v_sub_nc_u32_e32 v5, 0, v26
	v_mov_b32_e32 v82, 7
	v_mov_b32_e32 v83, 8
	v_mov_b32_e32 v16, 0
	v_rcp_iflag_f32_e32 v0, v0
	v_mov_b32_e32 v17, 0
	v_mov_b32_e32 v20, 0
	;; [unrolled: 1-line block ×9, first 2 shown]
	v_mul_f32_e32 v0, 0x4f7ffffe, v0
	v_mov_b32_e32 v49, 0
	v_mov_b32_e32 v50, 0
	;; [unrolled: 1-line block ×4, first 2 shown]
	v_cvt_u32_f32_e32 v0, v0
	v_mov_b32_e32 v53, 0
	v_mov_b32_e32 v54, 0
	;; [unrolled: 1-line block ×4, first 2 shown]
	v_mul_lo_u32 v5, v5, v0
	v_mov_b32_e32 v65, 0
	v_mov_b32_e32 v66, 0
	;; [unrolled: 1-line block ×6, first 2 shown]
	s_mov_b32 s6, -1
	v_mul_hi_u32 v7, v0, v5
	s_mov_b32 s7, 0xffffff
	s_mov_b32 s13, 0
	v_add_nc_u32_e32 v85, v0, v7
	v_mov_b32_e32 v7, v125
	s_waitcnt vmcnt(1)
	v_add_co_u32 v48, vcc_lo, v1, v2
	buffer_load_dword v1, off, s[0:3], s32 offset:908 ; 4-byte Folded Reload
	s_waitcnt vmcnt(0)
	v_add_co_ci_u32_e64 v71, null, v1, v3, vcc_lo
	v_lshlrev_b32_e32 v1, 3, v108
	v_add_co_u32 v2, vcc_lo, v22, v10
	v_add_co_ci_u32_e64 v3, null, v18, v11, vcc_lo
	v_and_b32_e32 v6, 0xf8, v1
	v_and_b32_e32 v84, 24, v1
	v_add_co_u32 v5, vcc_lo, v2, v6
	v_add_co_ci_u32_e64 v6, null, 0, v3, vcc_lo
	s_branch .LBB285_1571
.LBB285_1569:                           ;   in Loop: Header=BB285_1571 Depth=1
	s_or_b32 exec_lo, exec_lo, s4
	v_add_f32_e32 v10, v10, v11
	v_add_f32_e32 v11, v78, v79
	;; [unrolled: 1-line block ×22, first 2 shown]
	;;#ASMSTART
	v_pk_mul_f16 v1, v100, v88;

	;;#ASMEND
	v_add_f32_e32 v64, v64, v2
	;;#ASMSTART
	v_pk_mul_f16 v2, v99, v9;

	;;#ASMEND
	;;#ASMSTART
	v_pk_mul_f16 v8, v98, v8;

	;;#ASMEND
	;; [unrolled: 4-line block ×3, first 2 shown]
	;;#ASMSTART
	v_pk_add_f16 v1, v1, v2;

	;;#ASMEND
	;;#ASMSTART
	v_pk_add_f16 v1, v1, v8;

	;;#ASMEND
	;;#ASMSTART
	v_pk_add_f16 v1, v1, v3;

	;;#ASMEND
	v_and_b32_e32 v8, 0xffff, v1
	v_lshrrev_b32_e32 v9, 16, v1
	;;#ASMSTART
	v_cvt_f32_f16 v8, v8;
	;;#ASMEND
	v_add_f32_e32 v21, v21, v22
	v_add_f32_e32 v24, v24, v23
	;; [unrolled: 1-line block ×14, first 2 shown]
	;;#ASMSTART
	v_cvt_f32_f16 v9, v9;
	;;#ASMEND
	v_add_f32_e32 v8, v8, v9
	v_add_f32_e32 v28, v28, v22
	;; [unrolled: 1-line block ×11, first 2 shown]
.LBB285_1570:                           ;   in Loop: Header=BB285_1571 Depth=1
	s_or_b32 exec_lo, exec_lo, s17
	v_add_nc_u32_e32 v7, 4, v7
	v_cmp_ge_i32_e32 vcc_lo, v7, v121
	s_or_b32 s13, vcc_lo, s13
	s_andn2_b32 exec_lo, exec_lo, s13
	s_cbranch_execz .LBB285_3156
.LBB285_1571:                           ; =>This Inner Loop Header: Depth=1
	buffer_load_dword v1, off, s[0:3], s32 offset:200 ; 4-byte Folded Reload
	v_lshlrev_b32_e32 v0, 5, v7
	s_waitcnt vmcnt(0)
	v_mul_hi_u32 v1, v0, v1
	v_mul_lo_u32 v2, v1, v111
	v_add_nc_u32_e32 v3, 1, v1
	v_sub_nc_u32_e32 v2, v0, v2
	v_sub_nc_u32_e32 v8, v2, v111
	v_cmp_ge_u32_e32 vcc_lo, v2, v111
	v_cndmask_b32_e32 v1, v1, v3, vcc_lo
	v_cndmask_b32_e32 v2, v2, v8, vcc_lo
	v_add_nc_u32_e32 v3, 1, v1
	v_cmp_ge_u32_e32 vcc_lo, v2, v111
	v_cndmask_b32_e32 v1, v1, v3, vcc_lo
	s_clause 0x1
	buffer_load_dword v2, off, s[0:3], s32 offset:192
	buffer_load_dword v3, off, s[0:3], s32 offset:196
	v_xor_b32_e32 v1, v1, v120
	v_sub_nc_u32_e32 v1, v1, v120
	s_waitcnt vmcnt(1)
	v_add_nc_u32_e32 v2, v1, v2
	s_waitcnt vmcnt(0)
	v_sub_nc_u32_e32 v3, 0, v2
	v_max_i32_e32 v3, v2, v3
	v_ashrrev_i32_e32 v2, 31, v2
	v_mul_hi_u32 v8, v3, v85
	v_mul_lo_u32 v8, v8, v26
	v_sub_nc_u32_e32 v3, v3, v8
	v_sub_nc_u32_e32 v8, v3, v26
	v_cmp_ge_u32_e32 vcc_lo, v3, v26
	v_cndmask_b32_e32 v3, v3, v8, vcc_lo
	v_sub_nc_u32_e32 v8, v3, v26
	v_cmp_ge_u32_e32 vcc_lo, v3, v26
	v_cndmask_b32_e32 v3, v3, v8, vcc_lo
	v_xor_b32_e32 v3, v3, v2
	v_sub_nc_u32_e32 v2, v3, v2
	v_cmp_eq_u32_e32 vcc_lo, 0, v2
	buffer_load_dword v2, off, s[0:3], s32 offset:204 ; 4-byte Folded Reload
	s_waitcnt vmcnt(0)
	v_cmp_gt_i32_e64 s4, v1, v2
	s_or_b32 s4, vcc_lo, s4
	s_and_saveexec_b32 s17, s4
	s_cbranch_execz .LBB285_1570
; %bb.1572:                             ;   in Loop: Header=BB285_1571 Depth=1
	s_load_dword s4, s[8:9], 0x0
	v_mov_b32_e32 v8, v4
	v_or_b32_e32 v86, v0, v84
	v_lshlrev_b64 v[1:2], 2, v[7:8]
	v_add_co_u32 v1, vcc_lo, v48, v1
	v_add_co_ci_u32_e64 v2, null, v71, v2, vcc_lo
	flat_load_dword v8, v[1:2]
	s_waitcnt lgkmcnt(0)
	v_lshl_add_u32 v9, v86, 2, s4
	ds_read2_b64 v[0:3], v9 offset1:1
	ds_read2_b64 v[33:36], v9 offset0:2 offset1:3
	s_waitcnt lgkmcnt(1)
	;;#ASMSTART
	v_cvt_f16_f32 v0, v0;

	;;#ASMEND
	buffer_load_dword v9, off, s[0:3], s32 offset:524 ; 4-byte Folded Reload
	;;#ASMSTART
	v_cvt_f16_f32 v1, v1;

	;;#ASMEND
	;;#ASMSTART
	v_cvt_f16_f32 v18, v2;

	;;#ASMEND
	;; [unrolled: 4-line block ×3, first 2 shown]
	s_waitcnt lgkmcnt(0)
	;;#ASMSTART
	v_cvt_f16_f32 v19, v33;

	;;#ASMEND
	;;#ASMSTART
	v_cvt_f16_f32 v12, v34;

	;;#ASMEND
	;; [unrolled: 4-line block ×4, first 2 shown]
	v_mov_b32_e32 v34, 0
	v_mov_b32_e32 v35, 0
	s_waitcnt vmcnt(0)
	v_mad_i64_i32 v[8:9], null, v8, v9, v[5:6]
	flat_load_dwordx2 v[10:11], v[8:9]
	flat_load_dword v33, v[109:110]
	s_waitcnt vmcnt(1) lgkmcnt(1)
	v_cmp_ne_u16_sdwa s18, v10, v4 src0_sel:BYTE_0 src1_sel:DWORD
	s_and_saveexec_b32 s4, s18
	s_cbranch_execz .LBB285_1580
; %bb.1573:                             ;   in Loop: Header=BB285_1571 Depth=1
	v_cmp_ne_u16_sdwa s19, v10, v80 src0_sel:BYTE_0 src1_sel:DWORD
	v_mov_b32_e32 v35, 0x8000
	s_and_saveexec_b32 s18, s19
	s_cbranch_execz .LBB285_1579
; %bb.1574:                             ;   in Loop: Header=BB285_1571 Depth=1
	v_and_b32_e32 v36, 0x7f, v10
	v_mov_b32_e32 v35, 0x7c01
	s_mov_b32 s19, exec_lo
	v_cmpx_ne_u32_e32 0x7f, v36
	s_cbranch_execz .LBB285_1578
; %bb.1575:                             ;   in Loop: Header=BB285_1571 Depth=1
	v_and_b32_e32 v3, 7, v10
	v_lshrrev_b32_e32 v35, 3, v36
	s_mov_b32 s20, exec_lo
	v_cmpx_gt_u32_e32 8, v36
; %bb.1576:                             ;   in Loop: Header=BB285_1571 Depth=1
	v_ffbh_u32_e32 v3, v3
	v_min_u32_e32 v3, 32, v3
	v_subrev_nc_u32_e32 v22, 28, v3
	v_sub_nc_u32_e32 v35, 29, v3
	v_lshlrev_b64 v[22:23], v22, v[10:11]
	v_and_b32_e32 v3, 7, v22
; %bb.1577:                             ;   in Loop: Header=BB285_1571 Depth=1
	s_or_b32 exec_lo, exec_lo, s20
	v_lshlrev_b32_e32 v22, 8, v10
	v_lshl_add_u32 v23, v35, 10, 0x2000
	v_lshlrev_b32_e32 v3, 7, v3
	v_and_b32_e32 v22, 0x8000, v22
	v_and_b32_e32 v23, 0xfc00, v23
	v_or3_b32 v35, v22, v23, v3
.LBB285_1578:                           ;   in Loop: Header=BB285_1571 Depth=1
	s_or_b32 exec_lo, exec_lo, s19
.LBB285_1579:                           ;   in Loop: Header=BB285_1571 Depth=1
	s_or_b32 exec_lo, exec_lo, s18
.LBB285_1580:                           ;   in Loop: Header=BB285_1571 Depth=1
	s_or_b32 exec_lo, exec_lo, s4
	v_lshrrev_b16 v3, 8, v10
	s_mov_b32 s4, exec_lo
	v_cmpx_ne_u16_e32 0, v3
	s_cbranch_execz .LBB285_1588
; %bb.1581:                             ;   in Loop: Header=BB285_1571 Depth=1
	v_bfrev_b32_e32 v34, 1
	s_mov_b32 s18, exec_lo
	v_cmpx_ne_u16_e32 0x80, v3
	s_cbranch_execz .LBB285_1587
; %bb.1582:                             ;   in Loop: Header=BB285_1571 Depth=1
	v_and_b32_sdwa v37, v3, v81 dst_sel:DWORD dst_unused:UNUSED_PAD src0_sel:WORD_0 src1_sel:DWORD
	v_mov_b32_e32 v34, 0x7c010000
	s_mov_b32 s19, exec_lo
	v_cmpx_ne_u32_e32 0x7f, v37
	s_cbranch_execz .LBB285_1586
; %bb.1583:                             ;   in Loop: Header=BB285_1571 Depth=1
	v_and_b32_sdwa v34, v3, v82 dst_sel:DWORD dst_unused:UNUSED_PAD src0_sel:WORD_0 src1_sel:DWORD
	v_lshrrev_b32_e32 v36, 3, v37
	s_mov_b32 s20, exec_lo
	v_cmpx_gt_u32_e32 8, v37
; %bb.1584:                             ;   in Loop: Header=BB285_1571 Depth=1
	v_ffbh_u32_e32 v22, v34
	v_min_u32_e32 v34, 32, v22
	v_subrev_nc_u32_e32 v22, 28, v34
	v_sub_nc_u32_e32 v36, 29, v34
	v_lshlrev_b64 v[22:23], v22, v[3:4]
	v_and_b32_e32 v34, 7, v22
; %bb.1585:                             ;   in Loop: Header=BB285_1571 Depth=1
	s_or_b32 exec_lo, exec_lo, s20
	v_lshlrev_b32_sdwa v3, v83, v3 dst_sel:DWORD dst_unused:UNUSED_PAD src0_sel:DWORD src1_sel:WORD_0
	v_lshl_add_u32 v22, v36, 10, 0x2000
	v_and_or_b32 v3, 0x8000, v3, v22
	v_lshlrev_b32_e32 v22, 23, v34
	v_lshl_or_b32 v34, v3, 16, v22
.LBB285_1586:                           ;   in Loop: Header=BB285_1571 Depth=1
	s_or_b32 exec_lo, exec_lo, s19
.LBB285_1587:                           ;   in Loop: Header=BB285_1571 Depth=1
	s_or_b32 exec_lo, exec_lo, s18
.LBB285_1588:                           ;   in Loop: Header=BB285_1571 Depth=1
	s_or_b32 exec_lo, exec_lo, s4
	v_lshrrev_b32_e32 v3, 16, v10
	v_mov_b32_e32 v36, 0
	v_mov_b32_e32 v37, 0
	v_cmp_ne_u16_sdwa s18, v3, v4 src0_sel:BYTE_0 src1_sel:DWORD
	s_and_saveexec_b32 s4, s18
	s_cbranch_execz .LBB285_1596
; %bb.1589:                             ;   in Loop: Header=BB285_1571 Depth=1
	v_cmp_ne_u16_sdwa s19, v3, v80 src0_sel:BYTE_0 src1_sel:DWORD
	v_mov_b32_e32 v37, 0x8000
	s_and_saveexec_b32 s18, s19
	s_cbranch_execz .LBB285_1595
; %bb.1590:                             ;   in Loop: Header=BB285_1571 Depth=1
	v_bfe_u32 v39, v10, 16, 7
	v_mov_b32_e32 v37, 0x7c01
	s_mov_b32 s19, exec_lo
	v_cmpx_ne_u32_e32 0x7f, v39
	s_cbranch_execz .LBB285_1594
; %bb.1591:                             ;   in Loop: Header=BB285_1571 Depth=1
	v_and_b32_e32 v37, 7, v3
	v_lshrrev_b32_e32 v38, 3, v39
	s_mov_b32 s20, exec_lo
	v_cmpx_gt_u32_e32 8, v39
; %bb.1592:                             ;   in Loop: Header=BB285_1571 Depth=1
	v_ffbh_u32_e32 v22, v37
	v_min_u32_e32 v37, 32, v22
	v_subrev_nc_u32_e32 v22, 28, v37
	v_sub_nc_u32_e32 v38, 29, v37
	v_lshlrev_b64 v[22:23], v22, v[3:4]
	v_and_b32_e32 v37, 7, v22
; %bb.1593:                             ;   in Loop: Header=BB285_1571 Depth=1
	s_or_b32 exec_lo, exec_lo, s20
	v_lshlrev_b32_e32 v3, 8, v3
	v_lshl_add_u32 v22, v38, 10, 0x2000
	v_lshlrev_b32_e32 v23, 7, v37
	v_and_b32_e32 v3, 0x8000, v3
	v_and_b32_e32 v22, 0xfc00, v22
	v_or3_b32 v37, v3, v22, v23
.LBB285_1594:                           ;   in Loop: Header=BB285_1571 Depth=1
	s_or_b32 exec_lo, exec_lo, s19
.LBB285_1595:                           ;   in Loop: Header=BB285_1571 Depth=1
	s_or_b32 exec_lo, exec_lo, s18
.LBB285_1596:                           ;   in Loop: Header=BB285_1571 Depth=1
	s_or_b32 exec_lo, exec_lo, s4
	s_mov_b32 s4, exec_lo
	v_cmpx_lt_u32_e32 0xffffff, v10
	s_cbranch_execz .LBB285_1604
; %bb.1597:                             ;   in Loop: Header=BB285_1571 Depth=1
	v_lshrrev_b32_e32 v3, 24, v10
	v_bfrev_b32_e32 v36, 1
	s_mov_b32 s18, exec_lo
	v_cmpx_ne_u32_e32 0x80, v3
	s_cbranch_execz .LBB285_1603
; %bb.1598:                             ;   in Loop: Header=BB285_1571 Depth=1
	v_and_b32_e32 v39, 0x7f, v3
	v_mov_b32_e32 v36, 0x7c010000
	s_mov_b32 s19, exec_lo
	v_cmpx_ne_u32_e32 0x7f, v39
	s_cbranch_execz .LBB285_1602
; %bb.1599:                             ;   in Loop: Header=BB285_1571 Depth=1
	v_and_b32_e32 v36, 7, v3
	v_lshrrev_b32_e32 v38, 3, v39
	s_mov_b32 s20, exec_lo
	v_cmpx_gt_u32_e32 8, v39
; %bb.1600:                             ;   in Loop: Header=BB285_1571 Depth=1
	v_ffbh_u32_e32 v22, v36
	v_min_u32_e32 v36, 32, v22
	v_subrev_nc_u32_e32 v22, 28, v36
	v_sub_nc_u32_e32 v38, 29, v36
	v_lshlrev_b64 v[22:23], v22, v[3:4]
	v_and_b32_e32 v36, 7, v22
; %bb.1601:                             ;   in Loop: Header=BB285_1571 Depth=1
	s_or_b32 exec_lo, exec_lo, s20
	v_lshlrev_b32_e32 v3, 8, v3
	v_lshl_add_u32 v22, v38, 10, 0x2000
	v_and_or_b32 v3, 0x8000, v3, v22
	v_lshlrev_b32_e32 v22, 23, v36
	v_lshl_or_b32 v36, v3, 16, v22
.LBB285_1602:                           ;   in Loop: Header=BB285_1571 Depth=1
	s_or_b32 exec_lo, exec_lo, s19
.LBB285_1603:                           ;   in Loop: Header=BB285_1571 Depth=1
	s_or_b32 exec_lo, exec_lo, s18
.LBB285_1604:                           ;   in Loop: Header=BB285_1571 Depth=1
	s_or_b32 exec_lo, exec_lo, s4
	v_mov_b32_e32 v3, v11
	v_cmp_ne_u16_sdwa s18, v11, v4 src0_sel:BYTE_0 src1_sel:DWORD
	v_mov_b32_e32 v38, 0
	v_mov_b32_e32 v39, 0
	s_and_saveexec_b32 s4, s18
	s_cbranch_execz .LBB285_1612
; %bb.1605:                             ;   in Loop: Header=BB285_1571 Depth=1
	v_cmp_ne_u16_sdwa s19, v11, v80 src0_sel:BYTE_0 src1_sel:DWORD
	v_mov_b32_e32 v39, 0x8000
	s_and_saveexec_b32 s18, s19
	s_cbranch_execz .LBB285_1611
; %bb.1606:                             ;   in Loop: Header=BB285_1571 Depth=1
	v_and_b32_e32 v96, 0x7f, v11
	v_mov_b32_e32 v39, 0x7c01
	s_mov_b32 s19, exec_lo
	v_cmpx_ne_u32_e32 0x7f, v96
	s_cbranch_execz .LBB285_1610
; %bb.1607:                             ;   in Loop: Header=BB285_1571 Depth=1
	v_and_b32_e32 v39, 7, v11
	v_lshrrev_b32_e32 v87, 3, v96
	s_mov_b32 s20, exec_lo
	v_cmpx_gt_u32_e32 8, v96
; %bb.1608:                             ;   in Loop: Header=BB285_1571 Depth=1
	v_ffbh_u32_e32 v22, v39
	v_min_u32_e32 v39, 32, v22
	v_subrev_nc_u32_e32 v22, 28, v39
	v_sub_nc_u32_e32 v87, 29, v39
	v_lshlrev_b64 v[22:23], v22, v[3:4]
	v_and_b32_e32 v39, 7, v22
; %bb.1609:                             ;   in Loop: Header=BB285_1571 Depth=1
	s_or_b32 exec_lo, exec_lo, s20
	v_lshlrev_b32_e32 v22, 8, v11
	v_lshl_add_u32 v23, v87, 10, 0x2000
	v_lshlrev_b32_e32 v39, 7, v39
	v_and_b32_e32 v22, 0x8000, v22
	v_and_b32_e32 v23, 0xfc00, v23
	v_or3_b32 v39, v22, v23, v39
.LBB285_1610:                           ;   in Loop: Header=BB285_1571 Depth=1
	s_or_b32 exec_lo, exec_lo, s19
.LBB285_1611:                           ;   in Loop: Header=BB285_1571 Depth=1
	s_or_b32 exec_lo, exec_lo, s18
.LBB285_1612:                           ;   in Loop: Header=BB285_1571 Depth=1
	s_or_b32 exec_lo, exec_lo, s4
	v_lshrrev_b16 v3, 8, v3
	v_mov_b32_e32 v87, 0
	s_mov_b32 s4, exec_lo
	v_cmpx_ne_u16_e32 0, v3
	s_cbranch_execz .LBB285_1620
; %bb.1613:                             ;   in Loop: Header=BB285_1571 Depth=1
	v_bfrev_b32_e32 v87, 1
	s_mov_b32 s18, exec_lo
	v_cmpx_ne_u16_e32 0x80, v3
	s_cbranch_execz .LBB285_1619
; %bb.1614:                             ;   in Loop: Header=BB285_1571 Depth=1
	v_and_b32_sdwa v97, v3, v81 dst_sel:DWORD dst_unused:UNUSED_PAD src0_sel:WORD_0 src1_sel:DWORD
	v_mov_b32_e32 v87, 0x7c010000
	s_mov_b32 s19, exec_lo
	v_cmpx_ne_u32_e32 0x7f, v97
	s_cbranch_execz .LBB285_1618
; %bb.1615:                             ;   in Loop: Header=BB285_1571 Depth=1
	v_and_b32_sdwa v87, v3, v82 dst_sel:DWORD dst_unused:UNUSED_PAD src0_sel:WORD_0 src1_sel:DWORD
	v_lshrrev_b32_e32 v96, 3, v97
	s_mov_b32 s20, exec_lo
	v_cmpx_gt_u32_e32 8, v97
; %bb.1616:                             ;   in Loop: Header=BB285_1571 Depth=1
	v_ffbh_u32_e32 v22, v87
	v_min_u32_e32 v87, 32, v22
	v_subrev_nc_u32_e32 v22, 28, v87
	v_sub_nc_u32_e32 v96, 29, v87
	v_lshlrev_b64 v[22:23], v22, v[3:4]
	v_and_b32_e32 v87, 7, v22
; %bb.1617:                             ;   in Loop: Header=BB285_1571 Depth=1
	s_or_b32 exec_lo, exec_lo, s20
	v_lshlrev_b32_sdwa v3, v83, v3 dst_sel:DWORD dst_unused:UNUSED_PAD src0_sel:DWORD src1_sel:WORD_0
	v_lshl_add_u32 v22, v96, 10, 0x2000
	v_and_or_b32 v3, 0x8000, v3, v22
	v_lshlrev_b32_e32 v22, 23, v87
	v_lshl_or_b32 v87, v3, 16, v22
.LBB285_1618:                           ;   in Loop: Header=BB285_1571 Depth=1
	s_or_b32 exec_lo, exec_lo, s19
.LBB285_1619:                           ;   in Loop: Header=BB285_1571 Depth=1
	s_or_b32 exec_lo, exec_lo, s18
.LBB285_1620:                           ;   in Loop: Header=BB285_1571 Depth=1
	s_or_b32 exec_lo, exec_lo, s4
	v_lshrrev_b32_e32 v3, 16, v11
	v_cmp_ne_u16_sdwa s18, v3, v4 src0_sel:BYTE_0 src1_sel:DWORD
	s_and_saveexec_b32 s4, s18
	s_cbranch_execz .LBB285_1628
; %bb.1621:                             ;   in Loop: Header=BB285_1571 Depth=1
	v_cmp_ne_u16_sdwa s19, v3, v80 src0_sel:BYTE_0 src1_sel:DWORD
	v_mov_b32_e32 v38, 0x8000
	s_and_saveexec_b32 s18, s19
	s_cbranch_execz .LBB285_1627
; %bb.1622:                             ;   in Loop: Header=BB285_1571 Depth=1
	v_bfe_u32 v97, v11, 16, 7
	v_mov_b32_e32 v38, 0x7c01
	s_mov_b32 s19, exec_lo
	v_cmpx_ne_u32_e32 0x7f, v97
	s_cbranch_execz .LBB285_1626
; %bb.1623:                             ;   in Loop: Header=BB285_1571 Depth=1
	v_and_b32_e32 v38, 7, v3
	v_lshrrev_b32_e32 v96, 3, v97
	s_mov_b32 s20, exec_lo
	v_cmpx_gt_u32_e32 8, v97
; %bb.1624:                             ;   in Loop: Header=BB285_1571 Depth=1
	v_ffbh_u32_e32 v22, v38
	v_min_u32_e32 v38, 32, v22
	v_subrev_nc_u32_e32 v22, 28, v38
	v_sub_nc_u32_e32 v96, 29, v38
	v_lshlrev_b64 v[22:23], v22, v[3:4]
	v_and_b32_e32 v38, 7, v22
; %bb.1625:                             ;   in Loop: Header=BB285_1571 Depth=1
	s_or_b32 exec_lo, exec_lo, s20
	v_lshlrev_b32_e32 v3, 8, v3
	v_lshl_add_u32 v22, v96, 10, 0x2000
	v_lshlrev_b32_e32 v23, 7, v38
	v_and_b32_e32 v3, 0x8000, v3
	v_and_b32_e32 v22, 0xfc00, v22
	v_or3_b32 v38, v3, v22, v23
.LBB285_1626:                           ;   in Loop: Header=BB285_1571 Depth=1
	s_or_b32 exec_lo, exec_lo, s19
.LBB285_1627:                           ;   in Loop: Header=BB285_1571 Depth=1
	s_or_b32 exec_lo, exec_lo, s18
.LBB285_1628:                           ;   in Loop: Header=BB285_1571 Depth=1
	s_or_b32 exec_lo, exec_lo, s4
	v_cmp_lt_u64_e32 vcc_lo, s[6:7], v[10:11]
	v_mov_b32_e32 v10, 0
	s_and_saveexec_b32 s4, vcc_lo
	s_cbranch_execz .LBB285_1636
; %bb.1629:                             ;   in Loop: Header=BB285_1571 Depth=1
	v_lshrrev_b32_e32 v3, 24, v11
	v_bfrev_b32_e32 v10, 1
	s_mov_b32 s18, exec_lo
	v_cmpx_ne_u32_e32 0x80, v3
	s_cbranch_execz .LBB285_1635
; %bb.1630:                             ;   in Loop: Header=BB285_1571 Depth=1
	v_and_b32_e32 v96, 0x7f, v3
	v_mov_b32_e32 v10, 0x7c010000
	s_mov_b32 s19, exec_lo
	v_cmpx_ne_u32_e32 0x7f, v96
	s_cbranch_execz .LBB285_1634
; %bb.1631:                             ;   in Loop: Header=BB285_1571 Depth=1
	v_and_b32_e32 v10, 7, v3
	v_lshrrev_b32_e32 v11, 3, v96
	s_mov_b32 s20, exec_lo
	v_cmpx_gt_u32_e32 8, v96
; %bb.1632:                             ;   in Loop: Header=BB285_1571 Depth=1
	v_ffbh_u32_e32 v10, v10
	v_min_u32_e32 v22, 32, v10
	v_subrev_nc_u32_e32 v10, 28, v22
	v_lshlrev_b64 v[10:11], v10, v[3:4]
	v_sub_nc_u32_e32 v11, 29, v22
	v_and_b32_e32 v10, 7, v10
; %bb.1633:                             ;   in Loop: Header=BB285_1571 Depth=1
	s_or_b32 exec_lo, exec_lo, s20
	v_lshlrev_b32_e32 v3, 8, v3
	v_lshl_add_u32 v11, v11, 10, 0x2000
	v_lshlrev_b32_e32 v10, 23, v10
	v_and_or_b32 v3, 0x8000, v3, v11
	v_lshl_or_b32 v10, v3, 16, v10
.LBB285_1634:                           ;   in Loop: Header=BB285_1571 Depth=1
	s_or_b32 exec_lo, exec_lo, s19
.LBB285_1635:                           ;   in Loop: Header=BB285_1571 Depth=1
	s_or_b32 exec_lo, exec_lo, s18
.LBB285_1636:                           ;   in Loop: Header=BB285_1571 Depth=1
	s_or_b32 exec_lo, exec_lo, s4
	v_or_b32_e32 v3, v36, v37
	v_or_b32_e32 v22, v34, v35
	s_waitcnt vmcnt(0) lgkmcnt(0)
	v_fma_mixlo_f16 v23, v33, v34, 0 op_sel:[0,1,0] op_sel_hi:[0,1,0]
	v_or_b32_e32 v34, v87, v39
	v_or_b32_e32 v35, v10, v38
	v_fma_mixlo_f16 v3, v33, v3, 0 op_sel_hi:[0,1,0]
	v_fma_mixlo_f16 v11, v33, v36, 0 op_sel:[0,1,0] op_sel_hi:[0,1,0]
	v_lshlrev_b32_e32 v39, 16, v23
	v_fma_mixlo_f16 v22, v33, v22, 0 op_sel_hi:[0,1,0]
	v_fma_mixlo_f16 v23, v33, v34, 0 op_sel_hi:[0,1,0]
	v_and_b32_e32 v36, 0xffff, v3
	v_fma_mixlo_f16 v3, v33, v87, 0 op_sel:[0,1,0] op_sel_hi:[0,1,0]
	v_fma_mixlo_f16 v10, v33, v10, 0 op_sel:[0,1,0] op_sel_hi:[0,1,0]
	v_fma_mixlo_f16 v33, v33, v35, 0 op_sel_hi:[0,1,0]
	v_lshlrev_b32_e32 v11, 16, v11
	v_and_b32_e32 v96, 0xffff, v22
	v_lshlrev_b32_e32 v37, 16, v3
	v_and_b32_e32 v87, 0xffff, v23
	;; [unrolled: 2-line block ×3, first 2 shown]
	v_cmp_eq_u32_e32 vcc_lo, v7, v63
	v_or_b32_e32 v3, v11, v36
	v_or_b32_e32 v10, v39, v96
	;; [unrolled: 1-line block ×11, first 2 shown]
	s_and_saveexec_b32 s18, vcc_lo
	s_cbranch_execz .LBB285_1638
; %bb.1637:                             ;   in Loop: Header=BB285_1571 Depth=1
	v_cmp_lt_i32_e64 s4, v86, v32
	v_cndmask_b32_e64 v3, 0, v96, s4
	v_cmp_lt_i32_e64 s4, v115, v32
	v_cndmask_b32_e64 v10, 0, v39, s4
	v_cmp_lt_i32_e64 s4, v114, v32
	v_or_b32_e32 v10, v3, v10
	v_cndmask_b32_e64 v22, 0, v36, s4
	v_cmp_lt_i32_e64 s4, v113, v32
	v_cndmask_b32_e64 v11, 0, v11, s4
	v_cmp_lt_i32_e64 s4, v112, v32
	v_or_b32_e32 v3, v22, v11
	;; [unrolled: 5-line block ×3, first 2 shown]
	v_cndmask_b32_e64 v35, 0, v38, s4
	v_cmp_lt_i32_e64 s4, v101, v32
	v_cndmask_b32_e64 v34, 0, v34, s4
	v_or_b32_e32 v35, v35, v34
.LBB285_1638:                           ;   in Loop: Header=BB285_1571 Depth=1
	s_or_b32 exec_lo, exec_lo, s18
	v_and_b32_e32 v0, 0xffff, v0
	v_and_b32_e32 v11, 0xffff, v18
	v_and_b32_e32 v18, 0xffff, v19
	v_and_b32_e32 v19, 0xffff, v31
	v_lshl_or_b32 v100, v1, 16, v0
	;;#ASMSTART
	v_pk_mul_f16 v0, v100, v10;

	;;#ASMEND
	v_lshl_or_b32 v99, v2, 16, v11
	v_lshl_or_b32 v98, v12, 16, v18
	;; [unrolled: 1-line block ×3, first 2 shown]
	;;#ASMSTART
	v_pk_mul_f16 v1, v99, v3;

	;;#ASMEND
	;;#ASMSTART
	v_pk_mul_f16 v2, v98, v33;

	;;#ASMEND
	;; [unrolled: 4-line block ×3, first 2 shown]
	;;#ASMSTART
	v_pk_add_f16 v0, v0, v1;

	;;#ASMEND
	;;#ASMSTART
	v_pk_add_f16 v0, v0, v2;

	;;#ASMEND
	;; [unrolled: 4-line block ×3, first 2 shown]
	v_and_b32_e32 v1, 0xffff, v0
	v_lshrrev_b32_e32 v0, 16, v0
	;;#ASMSTART
	v_cvt_f32_f16 v87, v1;
	;;#ASMEND
	;;#ASMSTART
	v_cvt_f32_f16 v96, v0;
	;;#ASMEND
	flat_load_dwordx2 v[10:11], v[8:9] offset:256
	flat_load_dword v0, v[109:110]
	v_mov_b32_e32 v1, 0
	v_mov_b32_e32 v2, 0
	s_waitcnt vmcnt(1) lgkmcnt(1)
	v_cmp_ne_u16_sdwa s4, v10, v4 src0_sel:BYTE_0 src1_sel:DWORD
	s_and_saveexec_b32 s18, s4
	s_cbranch_execz .LBB285_1646
; %bb.1639:                             ;   in Loop: Header=BB285_1571 Depth=1
	v_cmp_ne_u16_sdwa s4, v10, v80 src0_sel:BYTE_0 src1_sel:DWORD
	v_mov_b32_e32 v2, 0x8000
	s_and_saveexec_b32 s19, s4
	s_cbranch_execz .LBB285_1645
; %bb.1640:                             ;   in Loop: Header=BB285_1571 Depth=1
	v_and_b32_e32 v12, 0x7f, v10
	v_mov_b32_e32 v2, 0x7c01
	s_mov_b32 s20, exec_lo
	v_cmpx_ne_u32_e32 0x7f, v12
	s_cbranch_execz .LBB285_1644
; %bb.1641:                             ;   in Loop: Header=BB285_1571 Depth=1
	v_and_b32_e32 v2, 7, v10
	v_lshrrev_b32_e32 v3, 3, v12
	s_mov_b32 s21, exec_lo
	v_cmpx_gt_u32_e32 8, v12
; %bb.1642:                             ;   in Loop: Header=BB285_1571 Depth=1
	v_ffbh_u32_e32 v2, v2
	v_min_u32_e32 v12, 32, v2
	v_subrev_nc_u32_e32 v2, 28, v12
	v_lshlrev_b64 v[2:3], v2, v[10:11]
	v_sub_nc_u32_e32 v3, 29, v12
	v_and_b32_e32 v2, 7, v2
; %bb.1643:                             ;   in Loop: Header=BB285_1571 Depth=1
	s_or_b32 exec_lo, exec_lo, s21
	v_lshlrev_b32_e32 v12, 8, v10
	v_lshl_add_u32 v3, v3, 10, 0x2000
	v_lshlrev_b32_e32 v2, 7, v2
	v_and_b32_e32 v12, 0x8000, v12
	v_and_b32_e32 v3, 0xfc00, v3
	v_or3_b32 v2, v12, v3, v2
.LBB285_1644:                           ;   in Loop: Header=BB285_1571 Depth=1
	s_or_b32 exec_lo, exec_lo, s20
.LBB285_1645:                           ;   in Loop: Header=BB285_1571 Depth=1
	s_or_b32 exec_lo, exec_lo, s19
.LBB285_1646:                           ;   in Loop: Header=BB285_1571 Depth=1
	s_or_b32 exec_lo, exec_lo, s18
	v_lshrrev_b16 v3, 8, v10
	s_mov_b32 s18, exec_lo
	v_cmpx_ne_u16_e32 0, v3
	s_cbranch_execz .LBB285_1654
; %bb.1647:                             ;   in Loop: Header=BB285_1571 Depth=1
	v_bfrev_b32_e32 v1, 1
	s_mov_b32 s19, exec_lo
	v_cmpx_ne_u16_e32 0x80, v3
	s_cbranch_execz .LBB285_1653
; %bb.1648:                             ;   in Loop: Header=BB285_1571 Depth=1
	v_and_b32_sdwa v13, v3, v81 dst_sel:DWORD dst_unused:UNUSED_PAD src0_sel:WORD_0 src1_sel:DWORD
	v_mov_b32_e32 v1, 0x7c010000
	s_mov_b32 s20, exec_lo
	v_cmpx_ne_u32_e32 0x7f, v13
	s_cbranch_execz .LBB285_1652
; %bb.1649:                             ;   in Loop: Header=BB285_1571 Depth=1
	v_and_b32_sdwa v1, v3, v82 dst_sel:DWORD dst_unused:UNUSED_PAD src0_sel:WORD_0 src1_sel:DWORD
	v_lshrrev_b32_e32 v12, 3, v13
	s_mov_b32 s21, exec_lo
	v_cmpx_gt_u32_e32 8, v13
; %bb.1650:                             ;   in Loop: Header=BB285_1571 Depth=1
	v_ffbh_u32_e32 v1, v1
	v_min_u32_e32 v1, 32, v1
	v_subrev_nc_u32_e32 v12, 28, v1
	v_lshlrev_b64 v[18:19], v12, v[3:4]
	v_sub_nc_u32_e32 v12, 29, v1
	v_and_b32_e32 v1, 7, v18
; %bb.1651:                             ;   in Loop: Header=BB285_1571 Depth=1
	s_or_b32 exec_lo, exec_lo, s21
	v_lshlrev_b32_sdwa v3, v83, v3 dst_sel:DWORD dst_unused:UNUSED_PAD src0_sel:DWORD src1_sel:WORD_0
	v_lshl_add_u32 v12, v12, 10, 0x2000
	v_lshlrev_b32_e32 v1, 23, v1
	v_and_or_b32 v3, 0x8000, v3, v12
	v_lshl_or_b32 v1, v3, 16, v1
.LBB285_1652:                           ;   in Loop: Header=BB285_1571 Depth=1
	s_or_b32 exec_lo, exec_lo, s20
.LBB285_1653:                           ;   in Loop: Header=BB285_1571 Depth=1
	s_or_b32 exec_lo, exec_lo, s19
.LBB285_1654:                           ;   in Loop: Header=BB285_1571 Depth=1
	s_or_b32 exec_lo, exec_lo, s18
	v_lshrrev_b32_e32 v3, 16, v10
	v_mov_b32_e32 v12, 0
	v_mov_b32_e32 v13, 0
	v_cmp_ne_u16_sdwa s4, v3, v4 src0_sel:BYTE_0 src1_sel:DWORD
	s_and_saveexec_b32 s18, s4
	s_cbranch_execz .LBB285_1662
; %bb.1655:                             ;   in Loop: Header=BB285_1571 Depth=1
	v_cmp_ne_u16_sdwa s4, v3, v80 src0_sel:BYTE_0 src1_sel:DWORD
	v_mov_b32_e32 v13, 0x8000
	s_and_saveexec_b32 s19, s4
	s_cbranch_execz .LBB285_1661
; %bb.1656:                             ;   in Loop: Header=BB285_1571 Depth=1
	v_bfe_u32 v19, v10, 16, 7
	v_mov_b32_e32 v13, 0x7c01
	s_mov_b32 s20, exec_lo
	v_cmpx_ne_u32_e32 0x7f, v19
	s_cbranch_execz .LBB285_1660
; %bb.1657:                             ;   in Loop: Header=BB285_1571 Depth=1
	v_and_b32_e32 v13, 7, v3
	v_lshrrev_b32_e32 v18, 3, v19
	s_mov_b32 s21, exec_lo
	v_cmpx_gt_u32_e32 8, v19
; %bb.1658:                             ;   in Loop: Header=BB285_1571 Depth=1
	v_ffbh_u32_e32 v13, v13
	v_min_u32_e32 v13, 32, v13
	v_subrev_nc_u32_e32 v18, 28, v13
	v_lshlrev_b64 v[22:23], v18, v[3:4]
	v_sub_nc_u32_e32 v18, 29, v13
	v_and_b32_e32 v13, 7, v22
; %bb.1659:                             ;   in Loop: Header=BB285_1571 Depth=1
	s_or_b32 exec_lo, exec_lo, s21
	v_lshlrev_b32_e32 v3, 8, v3
	v_lshl_add_u32 v18, v18, 10, 0x2000
	v_lshlrev_b32_e32 v13, 7, v13
	v_and_b32_e32 v3, 0x8000, v3
	v_and_b32_e32 v18, 0xfc00, v18
	v_or3_b32 v13, v3, v18, v13
.LBB285_1660:                           ;   in Loop: Header=BB285_1571 Depth=1
	s_or_b32 exec_lo, exec_lo, s20
.LBB285_1661:                           ;   in Loop: Header=BB285_1571 Depth=1
	s_or_b32 exec_lo, exec_lo, s19
.LBB285_1662:                           ;   in Loop: Header=BB285_1571 Depth=1
	s_or_b32 exec_lo, exec_lo, s18
	s_mov_b32 s18, exec_lo
	v_cmpx_lt_u32_e32 0xffffff, v10
	s_cbranch_execz .LBB285_1670
; %bb.1663:                             ;   in Loop: Header=BB285_1571 Depth=1
	v_lshrrev_b32_e32 v3, 24, v10
	v_bfrev_b32_e32 v12, 1
	s_mov_b32 s19, exec_lo
	v_cmpx_ne_u32_e32 0x80, v3
	s_cbranch_execz .LBB285_1669
; %bb.1664:                             ;   in Loop: Header=BB285_1571 Depth=1
	v_and_b32_e32 v19, 0x7f, v3
	v_mov_b32_e32 v12, 0x7c010000
	s_mov_b32 s20, exec_lo
	v_cmpx_ne_u32_e32 0x7f, v19
	s_cbranch_execz .LBB285_1668
; %bb.1665:                             ;   in Loop: Header=BB285_1571 Depth=1
	v_and_b32_e32 v12, 7, v3
	v_lshrrev_b32_e32 v18, 3, v19
	s_mov_b32 s21, exec_lo
	v_cmpx_gt_u32_e32 8, v19
; %bb.1666:                             ;   in Loop: Header=BB285_1571 Depth=1
	v_ffbh_u32_e32 v12, v12
	v_min_u32_e32 v12, 32, v12
	v_subrev_nc_u32_e32 v18, 28, v12
	v_lshlrev_b64 v[22:23], v18, v[3:4]
	v_sub_nc_u32_e32 v18, 29, v12
	v_and_b32_e32 v12, 7, v22
; %bb.1667:                             ;   in Loop: Header=BB285_1571 Depth=1
	s_or_b32 exec_lo, exec_lo, s21
	v_lshlrev_b32_e32 v3, 8, v3
	v_lshl_add_u32 v18, v18, 10, 0x2000
	v_lshlrev_b32_e32 v12, 23, v12
	v_and_or_b32 v3, 0x8000, v3, v18
	v_lshl_or_b32 v12, v3, 16, v12
.LBB285_1668:                           ;   in Loop: Header=BB285_1571 Depth=1
	s_or_b32 exec_lo, exec_lo, s20
.LBB285_1669:                           ;   in Loop: Header=BB285_1571 Depth=1
	s_or_b32 exec_lo, exec_lo, s19
.LBB285_1670:                           ;   in Loop: Header=BB285_1571 Depth=1
	s_or_b32 exec_lo, exec_lo, s18
	v_mov_b32_e32 v3, v11
	v_cmp_ne_u16_sdwa s4, v11, v4 src0_sel:BYTE_0 src1_sel:DWORD
	v_mov_b32_e32 v18, 0
	v_mov_b32_e32 v19, 0
	s_and_saveexec_b32 s18, s4
	s_cbranch_execz .LBB285_1678
; %bb.1671:                             ;   in Loop: Header=BB285_1571 Depth=1
	v_cmp_ne_u16_sdwa s4, v11, v80 src0_sel:BYTE_0 src1_sel:DWORD
	v_mov_b32_e32 v19, 0x8000
	s_and_saveexec_b32 s19, s4
	s_cbranch_execz .LBB285_1677
; %bb.1672:                             ;   in Loop: Header=BB285_1571 Depth=1
	v_and_b32_e32 v33, 0x7f, v11
	v_mov_b32_e32 v19, 0x7c01
	s_mov_b32 s20, exec_lo
	v_cmpx_ne_u32_e32 0x7f, v33
	s_cbranch_execz .LBB285_1676
; %bb.1673:                             ;   in Loop: Header=BB285_1571 Depth=1
	v_and_b32_e32 v19, 7, v11
	v_lshrrev_b32_e32 v31, 3, v33
	s_mov_b32 s21, exec_lo
	v_cmpx_gt_u32_e32 8, v33
; %bb.1674:                             ;   in Loop: Header=BB285_1571 Depth=1
	v_ffbh_u32_e32 v19, v19
	v_min_u32_e32 v19, 32, v19
	v_subrev_nc_u32_e32 v22, 28, v19
	v_sub_nc_u32_e32 v31, 29, v19
	v_lshlrev_b64 v[22:23], v22, v[3:4]
	v_and_b32_e32 v19, 7, v22
; %bb.1675:                             ;   in Loop: Header=BB285_1571 Depth=1
	s_or_b32 exec_lo, exec_lo, s21
	v_lshlrev_b32_e32 v22, 8, v11
	v_lshl_add_u32 v23, v31, 10, 0x2000
	v_lshlrev_b32_e32 v19, 7, v19
	v_and_b32_e32 v22, 0x8000, v22
	v_and_b32_e32 v23, 0xfc00, v23
	v_or3_b32 v19, v22, v23, v19
.LBB285_1676:                           ;   in Loop: Header=BB285_1571 Depth=1
	s_or_b32 exec_lo, exec_lo, s20
.LBB285_1677:                           ;   in Loop: Header=BB285_1571 Depth=1
	s_or_b32 exec_lo, exec_lo, s19
.LBB285_1678:                           ;   in Loop: Header=BB285_1571 Depth=1
	s_or_b32 exec_lo, exec_lo, s18
	v_lshrrev_b16 v3, 8, v3
	v_mov_b32_e32 v31, 0
	s_mov_b32 s18, exec_lo
	v_cmpx_ne_u16_e32 0, v3
	s_cbranch_execz .LBB285_1686
; %bb.1679:                             ;   in Loop: Header=BB285_1571 Depth=1
	v_bfrev_b32_e32 v31, 1
	s_mov_b32 s19, exec_lo
	v_cmpx_ne_u16_e32 0x80, v3
	s_cbranch_execz .LBB285_1685
; %bb.1680:                             ;   in Loop: Header=BB285_1571 Depth=1
	v_and_b32_sdwa v34, v3, v81 dst_sel:DWORD dst_unused:UNUSED_PAD src0_sel:WORD_0 src1_sel:DWORD
	v_mov_b32_e32 v31, 0x7c010000
	s_mov_b32 s20, exec_lo
	v_cmpx_ne_u32_e32 0x7f, v34
	s_cbranch_execz .LBB285_1684
; %bb.1681:                             ;   in Loop: Header=BB285_1571 Depth=1
	v_and_b32_sdwa v31, v3, v82 dst_sel:DWORD dst_unused:UNUSED_PAD src0_sel:WORD_0 src1_sel:DWORD
	v_lshrrev_b32_e32 v33, 3, v34
	s_mov_b32 s21, exec_lo
	v_cmpx_gt_u32_e32 8, v34
; %bb.1682:                             ;   in Loop: Header=BB285_1571 Depth=1
	v_ffbh_u32_e32 v22, v31
	v_min_u32_e32 v31, 32, v22
	v_subrev_nc_u32_e32 v22, 28, v31
	v_sub_nc_u32_e32 v33, 29, v31
	v_lshlrev_b64 v[22:23], v22, v[3:4]
	v_and_b32_e32 v31, 7, v22
; %bb.1683:                             ;   in Loop: Header=BB285_1571 Depth=1
	s_or_b32 exec_lo, exec_lo, s21
	v_lshlrev_b32_sdwa v3, v83, v3 dst_sel:DWORD dst_unused:UNUSED_PAD src0_sel:DWORD src1_sel:WORD_0
	v_lshl_add_u32 v22, v33, 10, 0x2000
	v_and_or_b32 v3, 0x8000, v3, v22
	v_lshlrev_b32_e32 v22, 23, v31
	v_lshl_or_b32 v31, v3, 16, v22
.LBB285_1684:                           ;   in Loop: Header=BB285_1571 Depth=1
	s_or_b32 exec_lo, exec_lo, s20
.LBB285_1685:                           ;   in Loop: Header=BB285_1571 Depth=1
	s_or_b32 exec_lo, exec_lo, s19
.LBB285_1686:                           ;   in Loop: Header=BB285_1571 Depth=1
	s_or_b32 exec_lo, exec_lo, s18
	v_lshrrev_b32_e32 v3, 16, v11
	v_cmp_ne_u16_sdwa s4, v3, v4 src0_sel:BYTE_0 src1_sel:DWORD
	s_and_saveexec_b32 s18, s4
	s_cbranch_execz .LBB285_1694
; %bb.1687:                             ;   in Loop: Header=BB285_1571 Depth=1
	v_cmp_ne_u16_sdwa s4, v3, v80 src0_sel:BYTE_0 src1_sel:DWORD
	v_mov_b32_e32 v18, 0x8000
	s_and_saveexec_b32 s19, s4
	s_cbranch_execz .LBB285_1693
; %bb.1688:                             ;   in Loop: Header=BB285_1571 Depth=1
	v_bfe_u32 v34, v11, 16, 7
	v_mov_b32_e32 v18, 0x7c01
	s_mov_b32 s20, exec_lo
	v_cmpx_ne_u32_e32 0x7f, v34
	s_cbranch_execz .LBB285_1692
; %bb.1689:                             ;   in Loop: Header=BB285_1571 Depth=1
	v_and_b32_e32 v18, 7, v3
	v_lshrrev_b32_e32 v33, 3, v34
	s_mov_b32 s21, exec_lo
	v_cmpx_gt_u32_e32 8, v34
; %bb.1690:                             ;   in Loop: Header=BB285_1571 Depth=1
	v_ffbh_u32_e32 v18, v18
	v_min_u32_e32 v18, 32, v18
	v_subrev_nc_u32_e32 v22, 28, v18
	v_sub_nc_u32_e32 v33, 29, v18
	v_lshlrev_b64 v[22:23], v22, v[3:4]
	v_and_b32_e32 v18, 7, v22
; %bb.1691:                             ;   in Loop: Header=BB285_1571 Depth=1
	s_or_b32 exec_lo, exec_lo, s21
	v_lshlrev_b32_e32 v3, 8, v3
	v_lshl_add_u32 v22, v33, 10, 0x2000
	v_lshlrev_b32_e32 v18, 7, v18
	v_and_b32_e32 v3, 0x8000, v3
	v_and_b32_e32 v22, 0xfc00, v22
	v_or3_b32 v18, v3, v22, v18
.LBB285_1692:                           ;   in Loop: Header=BB285_1571 Depth=1
	s_or_b32 exec_lo, exec_lo, s20
.LBB285_1693:                           ;   in Loop: Header=BB285_1571 Depth=1
	s_or_b32 exec_lo, exec_lo, s19
.LBB285_1694:                           ;   in Loop: Header=BB285_1571 Depth=1
	s_or_b32 exec_lo, exec_lo, s18
	v_cmp_lt_u64_e64 s4, s[6:7], v[10:11]
	v_mov_b32_e32 v10, 0
	s_and_saveexec_b32 s18, s4
	s_cbranch_execz .LBB285_1702
; %bb.1695:                             ;   in Loop: Header=BB285_1571 Depth=1
	v_lshrrev_b32_e32 v3, 24, v11
	v_bfrev_b32_e32 v10, 1
	s_mov_b32 s19, exec_lo
	v_cmpx_ne_u32_e32 0x80, v3
	s_cbranch_execz .LBB285_1701
; %bb.1696:                             ;   in Loop: Header=BB285_1571 Depth=1
	v_and_b32_e32 v33, 0x7f, v3
	v_mov_b32_e32 v10, 0x7c010000
	s_mov_b32 s20, exec_lo
	v_cmpx_ne_u32_e32 0x7f, v33
	s_cbranch_execz .LBB285_1700
; %bb.1697:                             ;   in Loop: Header=BB285_1571 Depth=1
	v_and_b32_e32 v10, 7, v3
	v_lshrrev_b32_e32 v11, 3, v33
	s_mov_b32 s21, exec_lo
	v_cmpx_gt_u32_e32 8, v33
; %bb.1698:                             ;   in Loop: Header=BB285_1571 Depth=1
	v_ffbh_u32_e32 v10, v10
	v_min_u32_e32 v22, 32, v10
	v_subrev_nc_u32_e32 v10, 28, v22
	v_lshlrev_b64 v[10:11], v10, v[3:4]
	v_sub_nc_u32_e32 v11, 29, v22
	v_and_b32_e32 v10, 7, v10
; %bb.1699:                             ;   in Loop: Header=BB285_1571 Depth=1
	s_or_b32 exec_lo, exec_lo, s21
	v_lshlrev_b32_e32 v3, 8, v3
	v_lshl_add_u32 v11, v11, 10, 0x2000
	v_lshlrev_b32_e32 v10, 23, v10
	v_and_or_b32 v3, 0x8000, v3, v11
	v_lshl_or_b32 v10, v3, 16, v10
.LBB285_1700:                           ;   in Loop: Header=BB285_1571 Depth=1
	s_or_b32 exec_lo, exec_lo, s20
.LBB285_1701:                           ;   in Loop: Header=BB285_1571 Depth=1
	s_or_b32 exec_lo, exec_lo, s19
.LBB285_1702:                           ;   in Loop: Header=BB285_1571 Depth=1
	s_or_b32 exec_lo, exec_lo, s18
	v_or_b32_e32 v3, v12, v13
	s_waitcnt vmcnt(0) lgkmcnt(0)
	v_fma_mixlo_f16 v11, v0, v12, 0 op_sel:[0,1,0] op_sel_hi:[0,1,0]
	v_or_b32_e32 v2, v1, v2
	v_fma_mixlo_f16 v12, v0, v1, 0 op_sel:[0,1,0] op_sel_hi:[0,1,0]
	v_or_b32_e32 v13, v31, v19
	v_fma_mixlo_f16 v3, v0, v3, 0 op_sel_hi:[0,1,0]
	v_or_b32_e32 v18, v10, v18
	v_lshlrev_b32_e32 v1, 16, v11
	v_lshlrev_b32_e32 v11, 16, v12
	v_fma_mixlo_f16 v12, v0, v2, 0 op_sel_hi:[0,1,0]
	v_and_b32_e32 v2, 0xffff, v3
	v_fma_mixlo_f16 v3, v0, v31, 0 op_sel:[0,1,0] op_sel_hi:[0,1,0]
	v_fma_mixlo_f16 v13, v0, v13, 0 op_sel_hi:[0,1,0]
	v_fma_mixlo_f16 v10, v0, v10, 0 op_sel:[0,1,0] op_sel_hi:[0,1,0]
	v_fma_mixlo_f16 v18, v0, v18, 0 op_sel_hi:[0,1,0]
	v_and_b32_e32 v33, 0xffff, v12
	v_lshlrev_b32_e32 v3, 16, v3
	v_and_b32_e32 v13, 0xffff, v13
	v_lshlrev_b32_e32 v0, 16, v10
	v_and_b32_e32 v10, 0xffff, v18
	v_or_b32_e32 v12, v1, v2
	v_or_b32_e32 v31, v11, v33
	;; [unrolled: 1-line block ×4, first 2 shown]
	s_and_saveexec_b32 s18, vcc_lo
	s_cbranch_execz .LBB285_1704
; %bb.1703:                             ;   in Loop: Header=BB285_1571 Depth=1
	v_cmp_lt_i32_e64 s4, v86, v32
	v_cndmask_b32_e64 v12, 0, v33, s4
	v_cmp_lt_i32_e64 s4, v115, v32
	v_cndmask_b32_e64 v11, 0, v11, s4
	v_cmp_lt_i32_e64 s4, v114, v32
	v_or_b32_e32 v31, v12, v11
	v_cndmask_b32_e64 v2, 0, v2, s4
	v_cmp_lt_i32_e64 s4, v113, v32
	v_cndmask_b32_e64 v1, 0, v1, s4
	v_cmp_lt_i32_e64 s4, v112, v32
	v_or_b32_e32 v12, v2, v1
	v_cndmask_b32_e64 v13, 0, v13, s4
	v_cmp_lt_i32_e64 s4, v103, v32
	v_cndmask_b32_e64 v3, 0, v3, s4
	v_cmp_lt_i32_e64 s4, v102, v32
	v_or_b32_e32 v19, v13, v3
	v_cndmask_b32_e64 v10, 0, v10, s4
	v_cmp_lt_i32_e64 s4, v101, v32
	v_cndmask_b32_e64 v0, 0, v0, s4
	v_or_b32_e32 v18, v10, v0
.LBB285_1704:                           ;   in Loop: Header=BB285_1571 Depth=1
	s_or_b32 exec_lo, exec_lo, s18
	;;#ASMSTART
	v_pk_mul_f16 v0, v100, v31;

	;;#ASMEND
	;;#ASMSTART
	v_pk_mul_f16 v1, v99, v12;

	;;#ASMEND
	;; [unrolled: 4-line block ×4, first 2 shown]
	;;#ASMSTART
	v_pk_add_f16 v0, v0, v1;

	;;#ASMEND
	;;#ASMSTART
	v_pk_add_f16 v0, v0, v2;

	;;#ASMEND
	;;#ASMSTART
	v_pk_add_f16 v0, v0, v3;

	;;#ASMEND
	v_and_b32_e32 v1, 0xffff, v0
	v_lshrrev_b32_e32 v0, 16, v0
	;;#ASMSTART
	v_cvt_f32_f16 v116, v1;
	;;#ASMEND
	;;#ASMSTART
	v_cvt_f32_f16 v117, v0;
	;;#ASMEND
	flat_load_dwordx2 v[10:11], v[8:9] offset:512
	flat_load_dword v0, v[109:110]
	v_mov_b32_e32 v1, 0
	v_mov_b32_e32 v2, 0
	s_waitcnt vmcnt(1) lgkmcnt(1)
	v_cmp_ne_u16_sdwa s4, v10, v4 src0_sel:BYTE_0 src1_sel:DWORD
	s_and_saveexec_b32 s18, s4
	s_cbranch_execz .LBB285_1712
; %bb.1705:                             ;   in Loop: Header=BB285_1571 Depth=1
	v_cmp_ne_u16_sdwa s4, v10, v80 src0_sel:BYTE_0 src1_sel:DWORD
	v_mov_b32_e32 v2, 0x8000
	s_and_saveexec_b32 s19, s4
	s_cbranch_execz .LBB285_1711
; %bb.1706:                             ;   in Loop: Header=BB285_1571 Depth=1
	v_and_b32_e32 v12, 0x7f, v10
	v_mov_b32_e32 v2, 0x7c01
	s_mov_b32 s20, exec_lo
	v_cmpx_ne_u32_e32 0x7f, v12
	s_cbranch_execz .LBB285_1710
; %bb.1707:                             ;   in Loop: Header=BB285_1571 Depth=1
	v_and_b32_e32 v2, 7, v10
	v_lshrrev_b32_e32 v3, 3, v12
	s_mov_b32 s21, exec_lo
	v_cmpx_gt_u32_e32 8, v12
; %bb.1708:                             ;   in Loop: Header=BB285_1571 Depth=1
	v_ffbh_u32_e32 v2, v2
	v_min_u32_e32 v12, 32, v2
	v_subrev_nc_u32_e32 v2, 28, v12
	v_lshlrev_b64 v[2:3], v2, v[10:11]
	v_sub_nc_u32_e32 v3, 29, v12
	v_and_b32_e32 v2, 7, v2
; %bb.1709:                             ;   in Loop: Header=BB285_1571 Depth=1
	s_or_b32 exec_lo, exec_lo, s21
	v_lshlrev_b32_e32 v12, 8, v10
	v_lshl_add_u32 v3, v3, 10, 0x2000
	v_lshlrev_b32_e32 v2, 7, v2
	v_and_b32_e32 v12, 0x8000, v12
	v_and_b32_e32 v3, 0xfc00, v3
	v_or3_b32 v2, v12, v3, v2
.LBB285_1710:                           ;   in Loop: Header=BB285_1571 Depth=1
	s_or_b32 exec_lo, exec_lo, s20
.LBB285_1711:                           ;   in Loop: Header=BB285_1571 Depth=1
	s_or_b32 exec_lo, exec_lo, s19
.LBB285_1712:                           ;   in Loop: Header=BB285_1571 Depth=1
	s_or_b32 exec_lo, exec_lo, s18
	v_lshrrev_b16 v3, 8, v10
	s_mov_b32 s18, exec_lo
	v_cmpx_ne_u16_e32 0, v3
	s_cbranch_execz .LBB285_1720
; %bb.1713:                             ;   in Loop: Header=BB285_1571 Depth=1
	v_bfrev_b32_e32 v1, 1
	s_mov_b32 s19, exec_lo
	v_cmpx_ne_u16_e32 0x80, v3
	s_cbranch_execz .LBB285_1719
; %bb.1714:                             ;   in Loop: Header=BB285_1571 Depth=1
	v_and_b32_sdwa v13, v3, v81 dst_sel:DWORD dst_unused:UNUSED_PAD src0_sel:WORD_0 src1_sel:DWORD
	v_mov_b32_e32 v1, 0x7c010000
	s_mov_b32 s20, exec_lo
	v_cmpx_ne_u32_e32 0x7f, v13
	s_cbranch_execz .LBB285_1718
; %bb.1715:                             ;   in Loop: Header=BB285_1571 Depth=1
	v_and_b32_sdwa v1, v3, v82 dst_sel:DWORD dst_unused:UNUSED_PAD src0_sel:WORD_0 src1_sel:DWORD
	v_lshrrev_b32_e32 v12, 3, v13
	s_mov_b32 s21, exec_lo
	v_cmpx_gt_u32_e32 8, v13
; %bb.1716:                             ;   in Loop: Header=BB285_1571 Depth=1
	v_ffbh_u32_e32 v1, v1
	v_min_u32_e32 v1, 32, v1
	v_subrev_nc_u32_e32 v12, 28, v1
	v_lshlrev_b64 v[18:19], v12, v[3:4]
	v_sub_nc_u32_e32 v12, 29, v1
	v_and_b32_e32 v1, 7, v18
; %bb.1717:                             ;   in Loop: Header=BB285_1571 Depth=1
	s_or_b32 exec_lo, exec_lo, s21
	v_lshlrev_b32_sdwa v3, v83, v3 dst_sel:DWORD dst_unused:UNUSED_PAD src0_sel:DWORD src1_sel:WORD_0
	v_lshl_add_u32 v12, v12, 10, 0x2000
	v_lshlrev_b32_e32 v1, 23, v1
	v_and_or_b32 v3, 0x8000, v3, v12
	v_lshl_or_b32 v1, v3, 16, v1
.LBB285_1718:                           ;   in Loop: Header=BB285_1571 Depth=1
	s_or_b32 exec_lo, exec_lo, s20
.LBB285_1719:                           ;   in Loop: Header=BB285_1571 Depth=1
	s_or_b32 exec_lo, exec_lo, s19
.LBB285_1720:                           ;   in Loop: Header=BB285_1571 Depth=1
	s_or_b32 exec_lo, exec_lo, s18
	v_lshrrev_b32_e32 v3, 16, v10
	v_mov_b32_e32 v12, 0
	v_mov_b32_e32 v13, 0
	v_cmp_ne_u16_sdwa s4, v3, v4 src0_sel:BYTE_0 src1_sel:DWORD
	s_and_saveexec_b32 s18, s4
	s_cbranch_execz .LBB285_1728
; %bb.1721:                             ;   in Loop: Header=BB285_1571 Depth=1
	v_cmp_ne_u16_sdwa s4, v3, v80 src0_sel:BYTE_0 src1_sel:DWORD
	v_mov_b32_e32 v13, 0x8000
	s_and_saveexec_b32 s19, s4
	s_cbranch_execz .LBB285_1727
; %bb.1722:                             ;   in Loop: Header=BB285_1571 Depth=1
	v_bfe_u32 v19, v10, 16, 7
	v_mov_b32_e32 v13, 0x7c01
	s_mov_b32 s20, exec_lo
	v_cmpx_ne_u32_e32 0x7f, v19
	s_cbranch_execz .LBB285_1726
; %bb.1723:                             ;   in Loop: Header=BB285_1571 Depth=1
	v_and_b32_e32 v13, 7, v3
	v_lshrrev_b32_e32 v18, 3, v19
	s_mov_b32 s21, exec_lo
	v_cmpx_gt_u32_e32 8, v19
; %bb.1724:                             ;   in Loop: Header=BB285_1571 Depth=1
	v_ffbh_u32_e32 v13, v13
	v_min_u32_e32 v13, 32, v13
	v_subrev_nc_u32_e32 v18, 28, v13
	v_lshlrev_b64 v[22:23], v18, v[3:4]
	v_sub_nc_u32_e32 v18, 29, v13
	v_and_b32_e32 v13, 7, v22
; %bb.1725:                             ;   in Loop: Header=BB285_1571 Depth=1
	s_or_b32 exec_lo, exec_lo, s21
	v_lshlrev_b32_e32 v3, 8, v3
	v_lshl_add_u32 v18, v18, 10, 0x2000
	v_lshlrev_b32_e32 v13, 7, v13
	v_and_b32_e32 v3, 0x8000, v3
	v_and_b32_e32 v18, 0xfc00, v18
	v_or3_b32 v13, v3, v18, v13
.LBB285_1726:                           ;   in Loop: Header=BB285_1571 Depth=1
	s_or_b32 exec_lo, exec_lo, s20
.LBB285_1727:                           ;   in Loop: Header=BB285_1571 Depth=1
	s_or_b32 exec_lo, exec_lo, s19
.LBB285_1728:                           ;   in Loop: Header=BB285_1571 Depth=1
	s_or_b32 exec_lo, exec_lo, s18
	s_mov_b32 s18, exec_lo
	v_cmpx_lt_u32_e32 0xffffff, v10
	s_cbranch_execz .LBB285_1736
; %bb.1729:                             ;   in Loop: Header=BB285_1571 Depth=1
	v_lshrrev_b32_e32 v3, 24, v10
	v_bfrev_b32_e32 v12, 1
	s_mov_b32 s19, exec_lo
	v_cmpx_ne_u32_e32 0x80, v3
	s_cbranch_execz .LBB285_1735
; %bb.1730:                             ;   in Loop: Header=BB285_1571 Depth=1
	v_and_b32_e32 v19, 0x7f, v3
	v_mov_b32_e32 v12, 0x7c010000
	s_mov_b32 s20, exec_lo
	v_cmpx_ne_u32_e32 0x7f, v19
	s_cbranch_execz .LBB285_1734
; %bb.1731:                             ;   in Loop: Header=BB285_1571 Depth=1
	v_and_b32_e32 v12, 7, v3
	v_lshrrev_b32_e32 v18, 3, v19
	s_mov_b32 s21, exec_lo
	v_cmpx_gt_u32_e32 8, v19
; %bb.1732:                             ;   in Loop: Header=BB285_1571 Depth=1
	v_ffbh_u32_e32 v12, v12
	v_min_u32_e32 v12, 32, v12
	v_subrev_nc_u32_e32 v18, 28, v12
	v_lshlrev_b64 v[22:23], v18, v[3:4]
	v_sub_nc_u32_e32 v18, 29, v12
	v_and_b32_e32 v12, 7, v22
; %bb.1733:                             ;   in Loop: Header=BB285_1571 Depth=1
	s_or_b32 exec_lo, exec_lo, s21
	v_lshlrev_b32_e32 v3, 8, v3
	v_lshl_add_u32 v18, v18, 10, 0x2000
	v_lshlrev_b32_e32 v12, 23, v12
	v_and_or_b32 v3, 0x8000, v3, v18
	v_lshl_or_b32 v12, v3, 16, v12
.LBB285_1734:                           ;   in Loop: Header=BB285_1571 Depth=1
	s_or_b32 exec_lo, exec_lo, s20
.LBB285_1735:                           ;   in Loop: Header=BB285_1571 Depth=1
	s_or_b32 exec_lo, exec_lo, s19
.LBB285_1736:                           ;   in Loop: Header=BB285_1571 Depth=1
	s_or_b32 exec_lo, exec_lo, s18
	v_mov_b32_e32 v3, v11
	v_cmp_ne_u16_sdwa s4, v11, v4 src0_sel:BYTE_0 src1_sel:DWORD
	v_mov_b32_e32 v18, 0
	v_mov_b32_e32 v19, 0
	s_and_saveexec_b32 s18, s4
	s_cbranch_execz .LBB285_1744
; %bb.1737:                             ;   in Loop: Header=BB285_1571 Depth=1
	v_cmp_ne_u16_sdwa s4, v11, v80 src0_sel:BYTE_0 src1_sel:DWORD
	v_mov_b32_e32 v19, 0x8000
	s_and_saveexec_b32 s19, s4
	s_cbranch_execz .LBB285_1743
; %bb.1738:                             ;   in Loop: Header=BB285_1571 Depth=1
	v_and_b32_e32 v33, 0x7f, v11
	v_mov_b32_e32 v19, 0x7c01
	s_mov_b32 s20, exec_lo
	v_cmpx_ne_u32_e32 0x7f, v33
	s_cbranch_execz .LBB285_1742
; %bb.1739:                             ;   in Loop: Header=BB285_1571 Depth=1
	v_and_b32_e32 v19, 7, v11
	v_lshrrev_b32_e32 v31, 3, v33
	s_mov_b32 s21, exec_lo
	v_cmpx_gt_u32_e32 8, v33
; %bb.1740:                             ;   in Loop: Header=BB285_1571 Depth=1
	v_ffbh_u32_e32 v19, v19
	v_min_u32_e32 v19, 32, v19
	v_subrev_nc_u32_e32 v22, 28, v19
	v_sub_nc_u32_e32 v31, 29, v19
	v_lshlrev_b64 v[22:23], v22, v[3:4]
	v_and_b32_e32 v19, 7, v22
; %bb.1741:                             ;   in Loop: Header=BB285_1571 Depth=1
	s_or_b32 exec_lo, exec_lo, s21
	v_lshlrev_b32_e32 v22, 8, v11
	v_lshl_add_u32 v23, v31, 10, 0x2000
	v_lshlrev_b32_e32 v19, 7, v19
	v_and_b32_e32 v22, 0x8000, v22
	v_and_b32_e32 v23, 0xfc00, v23
	v_or3_b32 v19, v22, v23, v19
.LBB285_1742:                           ;   in Loop: Header=BB285_1571 Depth=1
	s_or_b32 exec_lo, exec_lo, s20
.LBB285_1743:                           ;   in Loop: Header=BB285_1571 Depth=1
	s_or_b32 exec_lo, exec_lo, s19
.LBB285_1744:                           ;   in Loop: Header=BB285_1571 Depth=1
	s_or_b32 exec_lo, exec_lo, s18
	v_lshrrev_b16 v3, 8, v3
	v_mov_b32_e32 v31, 0
	s_mov_b32 s18, exec_lo
	v_cmpx_ne_u16_e32 0, v3
	s_cbranch_execz .LBB285_1752
; %bb.1745:                             ;   in Loop: Header=BB285_1571 Depth=1
	v_bfrev_b32_e32 v31, 1
	s_mov_b32 s19, exec_lo
	v_cmpx_ne_u16_e32 0x80, v3
	s_cbranch_execz .LBB285_1751
; %bb.1746:                             ;   in Loop: Header=BB285_1571 Depth=1
	v_and_b32_sdwa v34, v3, v81 dst_sel:DWORD dst_unused:UNUSED_PAD src0_sel:WORD_0 src1_sel:DWORD
	v_mov_b32_e32 v31, 0x7c010000
	s_mov_b32 s20, exec_lo
	v_cmpx_ne_u32_e32 0x7f, v34
	s_cbranch_execz .LBB285_1750
; %bb.1747:                             ;   in Loop: Header=BB285_1571 Depth=1
	v_and_b32_sdwa v31, v3, v82 dst_sel:DWORD dst_unused:UNUSED_PAD src0_sel:WORD_0 src1_sel:DWORD
	v_lshrrev_b32_e32 v33, 3, v34
	s_mov_b32 s21, exec_lo
	v_cmpx_gt_u32_e32 8, v34
; %bb.1748:                             ;   in Loop: Header=BB285_1571 Depth=1
	v_ffbh_u32_e32 v22, v31
	v_min_u32_e32 v31, 32, v22
	v_subrev_nc_u32_e32 v22, 28, v31
	v_sub_nc_u32_e32 v33, 29, v31
	v_lshlrev_b64 v[22:23], v22, v[3:4]
	v_and_b32_e32 v31, 7, v22
; %bb.1749:                             ;   in Loop: Header=BB285_1571 Depth=1
	s_or_b32 exec_lo, exec_lo, s21
	v_lshlrev_b32_sdwa v3, v83, v3 dst_sel:DWORD dst_unused:UNUSED_PAD src0_sel:DWORD src1_sel:WORD_0
	v_lshl_add_u32 v22, v33, 10, 0x2000
	v_and_or_b32 v3, 0x8000, v3, v22
	v_lshlrev_b32_e32 v22, 23, v31
	v_lshl_or_b32 v31, v3, 16, v22
.LBB285_1750:                           ;   in Loop: Header=BB285_1571 Depth=1
	s_or_b32 exec_lo, exec_lo, s20
.LBB285_1751:                           ;   in Loop: Header=BB285_1571 Depth=1
	s_or_b32 exec_lo, exec_lo, s19
.LBB285_1752:                           ;   in Loop: Header=BB285_1571 Depth=1
	s_or_b32 exec_lo, exec_lo, s18
	v_lshrrev_b32_e32 v3, 16, v11
	v_cmp_ne_u16_sdwa s4, v3, v4 src0_sel:BYTE_0 src1_sel:DWORD
	s_and_saveexec_b32 s18, s4
	s_cbranch_execz .LBB285_1760
; %bb.1753:                             ;   in Loop: Header=BB285_1571 Depth=1
	v_cmp_ne_u16_sdwa s4, v3, v80 src0_sel:BYTE_0 src1_sel:DWORD
	v_mov_b32_e32 v18, 0x8000
	s_and_saveexec_b32 s19, s4
	s_cbranch_execz .LBB285_1759
; %bb.1754:                             ;   in Loop: Header=BB285_1571 Depth=1
	v_bfe_u32 v34, v11, 16, 7
	v_mov_b32_e32 v18, 0x7c01
	s_mov_b32 s20, exec_lo
	v_cmpx_ne_u32_e32 0x7f, v34
	s_cbranch_execz .LBB285_1758
; %bb.1755:                             ;   in Loop: Header=BB285_1571 Depth=1
	v_and_b32_e32 v18, 7, v3
	v_lshrrev_b32_e32 v33, 3, v34
	s_mov_b32 s21, exec_lo
	v_cmpx_gt_u32_e32 8, v34
; %bb.1756:                             ;   in Loop: Header=BB285_1571 Depth=1
	v_ffbh_u32_e32 v18, v18
	v_min_u32_e32 v18, 32, v18
	v_subrev_nc_u32_e32 v22, 28, v18
	v_sub_nc_u32_e32 v33, 29, v18
	v_lshlrev_b64 v[22:23], v22, v[3:4]
	v_and_b32_e32 v18, 7, v22
; %bb.1757:                             ;   in Loop: Header=BB285_1571 Depth=1
	s_or_b32 exec_lo, exec_lo, s21
	v_lshlrev_b32_e32 v3, 8, v3
	v_lshl_add_u32 v22, v33, 10, 0x2000
	v_lshlrev_b32_e32 v18, 7, v18
	v_and_b32_e32 v3, 0x8000, v3
	v_and_b32_e32 v22, 0xfc00, v22
	v_or3_b32 v18, v3, v22, v18
.LBB285_1758:                           ;   in Loop: Header=BB285_1571 Depth=1
	s_or_b32 exec_lo, exec_lo, s20
.LBB285_1759:                           ;   in Loop: Header=BB285_1571 Depth=1
	s_or_b32 exec_lo, exec_lo, s19
.LBB285_1760:                           ;   in Loop: Header=BB285_1571 Depth=1
	s_or_b32 exec_lo, exec_lo, s18
	v_cmp_lt_u64_e64 s4, s[6:7], v[10:11]
	v_mov_b32_e32 v10, 0
	s_and_saveexec_b32 s18, s4
	s_cbranch_execz .LBB285_1768
; %bb.1761:                             ;   in Loop: Header=BB285_1571 Depth=1
	v_lshrrev_b32_e32 v3, 24, v11
	v_bfrev_b32_e32 v10, 1
	s_mov_b32 s19, exec_lo
	v_cmpx_ne_u32_e32 0x80, v3
	s_cbranch_execz .LBB285_1767
; %bb.1762:                             ;   in Loop: Header=BB285_1571 Depth=1
	v_and_b32_e32 v33, 0x7f, v3
	v_mov_b32_e32 v10, 0x7c010000
	s_mov_b32 s20, exec_lo
	v_cmpx_ne_u32_e32 0x7f, v33
	s_cbranch_execz .LBB285_1766
; %bb.1763:                             ;   in Loop: Header=BB285_1571 Depth=1
	v_and_b32_e32 v10, 7, v3
	v_lshrrev_b32_e32 v11, 3, v33
	s_mov_b32 s21, exec_lo
	v_cmpx_gt_u32_e32 8, v33
; %bb.1764:                             ;   in Loop: Header=BB285_1571 Depth=1
	v_ffbh_u32_e32 v10, v10
	v_min_u32_e32 v22, 32, v10
	v_subrev_nc_u32_e32 v10, 28, v22
	v_lshlrev_b64 v[10:11], v10, v[3:4]
	v_sub_nc_u32_e32 v11, 29, v22
	v_and_b32_e32 v10, 7, v10
; %bb.1765:                             ;   in Loop: Header=BB285_1571 Depth=1
	s_or_b32 exec_lo, exec_lo, s21
	v_lshlrev_b32_e32 v3, 8, v3
	v_lshl_add_u32 v11, v11, 10, 0x2000
	v_lshlrev_b32_e32 v10, 23, v10
	v_and_or_b32 v3, 0x8000, v3, v11
	v_lshl_or_b32 v10, v3, 16, v10
.LBB285_1766:                           ;   in Loop: Header=BB285_1571 Depth=1
	s_or_b32 exec_lo, exec_lo, s20
.LBB285_1767:                           ;   in Loop: Header=BB285_1571 Depth=1
	s_or_b32 exec_lo, exec_lo, s19
.LBB285_1768:                           ;   in Loop: Header=BB285_1571 Depth=1
	s_or_b32 exec_lo, exec_lo, s18
	v_or_b32_e32 v3, v12, v13
	s_waitcnt vmcnt(0) lgkmcnt(0)
	v_fma_mixlo_f16 v11, v0, v12, 0 op_sel:[0,1,0] op_sel_hi:[0,1,0]
	v_or_b32_e32 v2, v1, v2
	v_fma_mixlo_f16 v12, v0, v1, 0 op_sel:[0,1,0] op_sel_hi:[0,1,0]
	v_or_b32_e32 v13, v31, v19
	v_fma_mixlo_f16 v3, v0, v3, 0 op_sel_hi:[0,1,0]
	v_or_b32_e32 v18, v10, v18
	v_lshlrev_b32_e32 v1, 16, v11
	v_lshlrev_b32_e32 v11, 16, v12
	v_fma_mixlo_f16 v12, v0, v2, 0 op_sel_hi:[0,1,0]
	v_and_b32_e32 v2, 0xffff, v3
	v_fma_mixlo_f16 v3, v0, v31, 0 op_sel:[0,1,0] op_sel_hi:[0,1,0]
	v_fma_mixlo_f16 v13, v0, v13, 0 op_sel_hi:[0,1,0]
	v_fma_mixlo_f16 v10, v0, v10, 0 op_sel:[0,1,0] op_sel_hi:[0,1,0]
	v_fma_mixlo_f16 v18, v0, v18, 0 op_sel_hi:[0,1,0]
	v_and_b32_e32 v33, 0xffff, v12
	v_lshlrev_b32_e32 v3, 16, v3
	v_and_b32_e32 v13, 0xffff, v13
	v_lshlrev_b32_e32 v0, 16, v10
	v_and_b32_e32 v10, 0xffff, v18
	v_or_b32_e32 v12, v1, v2
	v_or_b32_e32 v31, v11, v33
	;; [unrolled: 1-line block ×4, first 2 shown]
	s_and_saveexec_b32 s18, vcc_lo
	s_cbranch_execz .LBB285_1770
; %bb.1769:                             ;   in Loop: Header=BB285_1571 Depth=1
	v_cmp_lt_i32_e64 s4, v86, v32
	v_cndmask_b32_e64 v12, 0, v33, s4
	v_cmp_lt_i32_e64 s4, v115, v32
	v_cndmask_b32_e64 v11, 0, v11, s4
	v_cmp_lt_i32_e64 s4, v114, v32
	v_or_b32_e32 v31, v12, v11
	v_cndmask_b32_e64 v2, 0, v2, s4
	v_cmp_lt_i32_e64 s4, v113, v32
	v_cndmask_b32_e64 v1, 0, v1, s4
	v_cmp_lt_i32_e64 s4, v112, v32
	v_or_b32_e32 v12, v2, v1
	v_cndmask_b32_e64 v13, 0, v13, s4
	v_cmp_lt_i32_e64 s4, v103, v32
	v_cndmask_b32_e64 v3, 0, v3, s4
	v_cmp_lt_i32_e64 s4, v102, v32
	v_or_b32_e32 v19, v13, v3
	v_cndmask_b32_e64 v10, 0, v10, s4
	v_cmp_lt_i32_e64 s4, v101, v32
	v_cndmask_b32_e64 v0, 0, v0, s4
	v_or_b32_e32 v18, v10, v0
.LBB285_1770:                           ;   in Loop: Header=BB285_1571 Depth=1
	s_or_b32 exec_lo, exec_lo, s18
	;;#ASMSTART
	v_pk_mul_f16 v0, v100, v31;

	;;#ASMEND
	;;#ASMSTART
	v_pk_mul_f16 v1, v99, v12;

	;;#ASMEND
	;; [unrolled: 4-line block ×4, first 2 shown]
	;;#ASMSTART
	v_pk_add_f16 v0, v0, v1;

	;;#ASMEND
	;;#ASMSTART
	v_pk_add_f16 v0, v0, v2;

	;;#ASMEND
	;; [unrolled: 4-line block ×3, first 2 shown]
	v_and_b32_e32 v1, 0xffff, v0
	v_lshrrev_b32_e32 v0, 16, v0
	;;#ASMSTART
	v_cvt_f32_f16 v118, v1;
	;;#ASMEND
	;;#ASMSTART
	v_cvt_f32_f16 v119, v0;
	;;#ASMEND
	flat_load_dwordx2 v[10:11], v[8:9] offset:768
	flat_load_dword v0, v[109:110]
	v_mov_b32_e32 v1, 0
	v_mov_b32_e32 v2, 0
	s_waitcnt vmcnt(1) lgkmcnt(1)
	v_cmp_ne_u16_sdwa s4, v10, v4 src0_sel:BYTE_0 src1_sel:DWORD
	s_and_saveexec_b32 s18, s4
	s_cbranch_execz .LBB285_1778
; %bb.1771:                             ;   in Loop: Header=BB285_1571 Depth=1
	v_cmp_ne_u16_sdwa s4, v10, v80 src0_sel:BYTE_0 src1_sel:DWORD
	v_mov_b32_e32 v2, 0x8000
	s_and_saveexec_b32 s19, s4
	s_cbranch_execz .LBB285_1777
; %bb.1772:                             ;   in Loop: Header=BB285_1571 Depth=1
	v_and_b32_e32 v12, 0x7f, v10
	v_mov_b32_e32 v2, 0x7c01
	s_mov_b32 s20, exec_lo
	v_cmpx_ne_u32_e32 0x7f, v12
	s_cbranch_execz .LBB285_1776
; %bb.1773:                             ;   in Loop: Header=BB285_1571 Depth=1
	v_and_b32_e32 v2, 7, v10
	v_lshrrev_b32_e32 v3, 3, v12
	s_mov_b32 s21, exec_lo
	v_cmpx_gt_u32_e32 8, v12
; %bb.1774:                             ;   in Loop: Header=BB285_1571 Depth=1
	v_ffbh_u32_e32 v2, v2
	v_min_u32_e32 v12, 32, v2
	v_subrev_nc_u32_e32 v2, 28, v12
	v_lshlrev_b64 v[2:3], v2, v[10:11]
	v_sub_nc_u32_e32 v3, 29, v12
	v_and_b32_e32 v2, 7, v2
; %bb.1775:                             ;   in Loop: Header=BB285_1571 Depth=1
	s_or_b32 exec_lo, exec_lo, s21
	v_lshlrev_b32_e32 v12, 8, v10
	v_lshl_add_u32 v3, v3, 10, 0x2000
	v_lshlrev_b32_e32 v2, 7, v2
	v_and_b32_e32 v12, 0x8000, v12
	v_and_b32_e32 v3, 0xfc00, v3
	v_or3_b32 v2, v12, v3, v2
.LBB285_1776:                           ;   in Loop: Header=BB285_1571 Depth=1
	s_or_b32 exec_lo, exec_lo, s20
.LBB285_1777:                           ;   in Loop: Header=BB285_1571 Depth=1
	s_or_b32 exec_lo, exec_lo, s19
.LBB285_1778:                           ;   in Loop: Header=BB285_1571 Depth=1
	s_or_b32 exec_lo, exec_lo, s18
	v_lshrrev_b16 v3, 8, v10
	s_mov_b32 s18, exec_lo
	v_cmpx_ne_u16_e32 0, v3
	s_cbranch_execz .LBB285_1786
; %bb.1779:                             ;   in Loop: Header=BB285_1571 Depth=1
	v_bfrev_b32_e32 v1, 1
	s_mov_b32 s19, exec_lo
	v_cmpx_ne_u16_e32 0x80, v3
	s_cbranch_execz .LBB285_1785
; %bb.1780:                             ;   in Loop: Header=BB285_1571 Depth=1
	v_and_b32_sdwa v13, v3, v81 dst_sel:DWORD dst_unused:UNUSED_PAD src0_sel:WORD_0 src1_sel:DWORD
	v_mov_b32_e32 v1, 0x7c010000
	s_mov_b32 s20, exec_lo
	v_cmpx_ne_u32_e32 0x7f, v13
	s_cbranch_execz .LBB285_1784
; %bb.1781:                             ;   in Loop: Header=BB285_1571 Depth=1
	v_and_b32_sdwa v1, v3, v82 dst_sel:DWORD dst_unused:UNUSED_PAD src0_sel:WORD_0 src1_sel:DWORD
	v_lshrrev_b32_e32 v12, 3, v13
	s_mov_b32 s21, exec_lo
	v_cmpx_gt_u32_e32 8, v13
; %bb.1782:                             ;   in Loop: Header=BB285_1571 Depth=1
	v_ffbh_u32_e32 v1, v1
	v_min_u32_e32 v1, 32, v1
	v_subrev_nc_u32_e32 v12, 28, v1
	v_lshlrev_b64 v[18:19], v12, v[3:4]
	v_sub_nc_u32_e32 v12, 29, v1
	v_and_b32_e32 v1, 7, v18
; %bb.1783:                             ;   in Loop: Header=BB285_1571 Depth=1
	s_or_b32 exec_lo, exec_lo, s21
	v_lshlrev_b32_sdwa v3, v83, v3 dst_sel:DWORD dst_unused:UNUSED_PAD src0_sel:DWORD src1_sel:WORD_0
	v_lshl_add_u32 v12, v12, 10, 0x2000
	v_lshlrev_b32_e32 v1, 23, v1
	v_and_or_b32 v3, 0x8000, v3, v12
	v_lshl_or_b32 v1, v3, 16, v1
.LBB285_1784:                           ;   in Loop: Header=BB285_1571 Depth=1
	s_or_b32 exec_lo, exec_lo, s20
.LBB285_1785:                           ;   in Loop: Header=BB285_1571 Depth=1
	s_or_b32 exec_lo, exec_lo, s19
.LBB285_1786:                           ;   in Loop: Header=BB285_1571 Depth=1
	s_or_b32 exec_lo, exec_lo, s18
	v_lshrrev_b32_e32 v3, 16, v10
	v_mov_b32_e32 v12, 0
	v_mov_b32_e32 v13, 0
	v_cmp_ne_u16_sdwa s4, v3, v4 src0_sel:BYTE_0 src1_sel:DWORD
	s_and_saveexec_b32 s18, s4
	s_cbranch_execz .LBB285_1794
; %bb.1787:                             ;   in Loop: Header=BB285_1571 Depth=1
	v_cmp_ne_u16_sdwa s4, v3, v80 src0_sel:BYTE_0 src1_sel:DWORD
	v_mov_b32_e32 v13, 0x8000
	s_and_saveexec_b32 s19, s4
	s_cbranch_execz .LBB285_1793
; %bb.1788:                             ;   in Loop: Header=BB285_1571 Depth=1
	v_bfe_u32 v19, v10, 16, 7
	v_mov_b32_e32 v13, 0x7c01
	s_mov_b32 s20, exec_lo
	v_cmpx_ne_u32_e32 0x7f, v19
	s_cbranch_execz .LBB285_1792
; %bb.1789:                             ;   in Loop: Header=BB285_1571 Depth=1
	v_and_b32_e32 v13, 7, v3
	v_lshrrev_b32_e32 v18, 3, v19
	s_mov_b32 s21, exec_lo
	v_cmpx_gt_u32_e32 8, v19
; %bb.1790:                             ;   in Loop: Header=BB285_1571 Depth=1
	v_ffbh_u32_e32 v13, v13
	v_min_u32_e32 v13, 32, v13
	v_subrev_nc_u32_e32 v18, 28, v13
	v_lshlrev_b64 v[22:23], v18, v[3:4]
	v_sub_nc_u32_e32 v18, 29, v13
	v_and_b32_e32 v13, 7, v22
; %bb.1791:                             ;   in Loop: Header=BB285_1571 Depth=1
	s_or_b32 exec_lo, exec_lo, s21
	v_lshlrev_b32_e32 v3, 8, v3
	v_lshl_add_u32 v18, v18, 10, 0x2000
	v_lshlrev_b32_e32 v13, 7, v13
	v_and_b32_e32 v3, 0x8000, v3
	v_and_b32_e32 v18, 0xfc00, v18
	v_or3_b32 v13, v3, v18, v13
.LBB285_1792:                           ;   in Loop: Header=BB285_1571 Depth=1
	s_or_b32 exec_lo, exec_lo, s20
.LBB285_1793:                           ;   in Loop: Header=BB285_1571 Depth=1
	s_or_b32 exec_lo, exec_lo, s19
.LBB285_1794:                           ;   in Loop: Header=BB285_1571 Depth=1
	s_or_b32 exec_lo, exec_lo, s18
	s_mov_b32 s18, exec_lo
	v_cmpx_lt_u32_e32 0xffffff, v10
	s_cbranch_execz .LBB285_1802
; %bb.1795:                             ;   in Loop: Header=BB285_1571 Depth=1
	v_lshrrev_b32_e32 v3, 24, v10
	v_bfrev_b32_e32 v12, 1
	s_mov_b32 s19, exec_lo
	v_cmpx_ne_u32_e32 0x80, v3
	s_cbranch_execz .LBB285_1801
; %bb.1796:                             ;   in Loop: Header=BB285_1571 Depth=1
	v_and_b32_e32 v19, 0x7f, v3
	v_mov_b32_e32 v12, 0x7c010000
	s_mov_b32 s20, exec_lo
	v_cmpx_ne_u32_e32 0x7f, v19
	s_cbranch_execz .LBB285_1800
; %bb.1797:                             ;   in Loop: Header=BB285_1571 Depth=1
	v_and_b32_e32 v12, 7, v3
	v_lshrrev_b32_e32 v18, 3, v19
	s_mov_b32 s21, exec_lo
	v_cmpx_gt_u32_e32 8, v19
; %bb.1798:                             ;   in Loop: Header=BB285_1571 Depth=1
	v_ffbh_u32_e32 v12, v12
	v_min_u32_e32 v12, 32, v12
	v_subrev_nc_u32_e32 v18, 28, v12
	v_lshlrev_b64 v[22:23], v18, v[3:4]
	v_sub_nc_u32_e32 v18, 29, v12
	v_and_b32_e32 v12, 7, v22
; %bb.1799:                             ;   in Loop: Header=BB285_1571 Depth=1
	s_or_b32 exec_lo, exec_lo, s21
	v_lshlrev_b32_e32 v3, 8, v3
	v_lshl_add_u32 v18, v18, 10, 0x2000
	v_lshlrev_b32_e32 v12, 23, v12
	v_and_or_b32 v3, 0x8000, v3, v18
	v_lshl_or_b32 v12, v3, 16, v12
.LBB285_1800:                           ;   in Loop: Header=BB285_1571 Depth=1
	s_or_b32 exec_lo, exec_lo, s20
.LBB285_1801:                           ;   in Loop: Header=BB285_1571 Depth=1
	s_or_b32 exec_lo, exec_lo, s19
.LBB285_1802:                           ;   in Loop: Header=BB285_1571 Depth=1
	s_or_b32 exec_lo, exec_lo, s18
	v_mov_b32_e32 v3, v11
	v_cmp_ne_u16_sdwa s4, v11, v4 src0_sel:BYTE_0 src1_sel:DWORD
	v_mov_b32_e32 v18, 0
	v_mov_b32_e32 v19, 0
	s_and_saveexec_b32 s18, s4
	s_cbranch_execz .LBB285_1810
; %bb.1803:                             ;   in Loop: Header=BB285_1571 Depth=1
	v_cmp_ne_u16_sdwa s4, v11, v80 src0_sel:BYTE_0 src1_sel:DWORD
	v_mov_b32_e32 v19, 0x8000
	s_and_saveexec_b32 s19, s4
	s_cbranch_execz .LBB285_1809
; %bb.1804:                             ;   in Loop: Header=BB285_1571 Depth=1
	v_and_b32_e32 v33, 0x7f, v11
	v_mov_b32_e32 v19, 0x7c01
	s_mov_b32 s20, exec_lo
	v_cmpx_ne_u32_e32 0x7f, v33
	s_cbranch_execz .LBB285_1808
; %bb.1805:                             ;   in Loop: Header=BB285_1571 Depth=1
	v_and_b32_e32 v19, 7, v11
	v_lshrrev_b32_e32 v31, 3, v33
	s_mov_b32 s21, exec_lo
	v_cmpx_gt_u32_e32 8, v33
; %bb.1806:                             ;   in Loop: Header=BB285_1571 Depth=1
	v_ffbh_u32_e32 v19, v19
	v_min_u32_e32 v19, 32, v19
	v_subrev_nc_u32_e32 v22, 28, v19
	v_sub_nc_u32_e32 v31, 29, v19
	v_lshlrev_b64 v[22:23], v22, v[3:4]
	v_and_b32_e32 v19, 7, v22
; %bb.1807:                             ;   in Loop: Header=BB285_1571 Depth=1
	s_or_b32 exec_lo, exec_lo, s21
	v_lshlrev_b32_e32 v22, 8, v11
	v_lshl_add_u32 v23, v31, 10, 0x2000
	v_lshlrev_b32_e32 v19, 7, v19
	v_and_b32_e32 v22, 0x8000, v22
	v_and_b32_e32 v23, 0xfc00, v23
	v_or3_b32 v19, v22, v23, v19
.LBB285_1808:                           ;   in Loop: Header=BB285_1571 Depth=1
	s_or_b32 exec_lo, exec_lo, s20
.LBB285_1809:                           ;   in Loop: Header=BB285_1571 Depth=1
	s_or_b32 exec_lo, exec_lo, s19
.LBB285_1810:                           ;   in Loop: Header=BB285_1571 Depth=1
	s_or_b32 exec_lo, exec_lo, s18
	v_lshrrev_b16 v3, 8, v3
	v_mov_b32_e32 v31, 0
	s_mov_b32 s18, exec_lo
	v_cmpx_ne_u16_e32 0, v3
	s_cbranch_execz .LBB285_1818
; %bb.1811:                             ;   in Loop: Header=BB285_1571 Depth=1
	v_bfrev_b32_e32 v31, 1
	s_mov_b32 s19, exec_lo
	v_cmpx_ne_u16_e32 0x80, v3
	s_cbranch_execz .LBB285_1817
; %bb.1812:                             ;   in Loop: Header=BB285_1571 Depth=1
	v_and_b32_sdwa v34, v3, v81 dst_sel:DWORD dst_unused:UNUSED_PAD src0_sel:WORD_0 src1_sel:DWORD
	v_mov_b32_e32 v31, 0x7c010000
	s_mov_b32 s20, exec_lo
	v_cmpx_ne_u32_e32 0x7f, v34
	s_cbranch_execz .LBB285_1816
; %bb.1813:                             ;   in Loop: Header=BB285_1571 Depth=1
	v_and_b32_sdwa v31, v3, v82 dst_sel:DWORD dst_unused:UNUSED_PAD src0_sel:WORD_0 src1_sel:DWORD
	v_lshrrev_b32_e32 v33, 3, v34
	s_mov_b32 s21, exec_lo
	v_cmpx_gt_u32_e32 8, v34
; %bb.1814:                             ;   in Loop: Header=BB285_1571 Depth=1
	v_ffbh_u32_e32 v22, v31
	v_min_u32_e32 v31, 32, v22
	v_subrev_nc_u32_e32 v22, 28, v31
	v_sub_nc_u32_e32 v33, 29, v31
	v_lshlrev_b64 v[22:23], v22, v[3:4]
	v_and_b32_e32 v31, 7, v22
; %bb.1815:                             ;   in Loop: Header=BB285_1571 Depth=1
	s_or_b32 exec_lo, exec_lo, s21
	v_lshlrev_b32_sdwa v3, v83, v3 dst_sel:DWORD dst_unused:UNUSED_PAD src0_sel:DWORD src1_sel:WORD_0
	v_lshl_add_u32 v22, v33, 10, 0x2000
	v_and_or_b32 v3, 0x8000, v3, v22
	v_lshlrev_b32_e32 v22, 23, v31
	v_lshl_or_b32 v31, v3, 16, v22
.LBB285_1816:                           ;   in Loop: Header=BB285_1571 Depth=1
	s_or_b32 exec_lo, exec_lo, s20
.LBB285_1817:                           ;   in Loop: Header=BB285_1571 Depth=1
	s_or_b32 exec_lo, exec_lo, s19
.LBB285_1818:                           ;   in Loop: Header=BB285_1571 Depth=1
	s_or_b32 exec_lo, exec_lo, s18
	v_lshrrev_b32_e32 v3, 16, v11
	v_cmp_ne_u16_sdwa s4, v3, v4 src0_sel:BYTE_0 src1_sel:DWORD
	s_and_saveexec_b32 s18, s4
	s_cbranch_execz .LBB285_1826
; %bb.1819:                             ;   in Loop: Header=BB285_1571 Depth=1
	v_cmp_ne_u16_sdwa s4, v3, v80 src0_sel:BYTE_0 src1_sel:DWORD
	v_mov_b32_e32 v18, 0x8000
	s_and_saveexec_b32 s19, s4
	s_cbranch_execz .LBB285_1825
; %bb.1820:                             ;   in Loop: Header=BB285_1571 Depth=1
	v_bfe_u32 v34, v11, 16, 7
	v_mov_b32_e32 v18, 0x7c01
	s_mov_b32 s20, exec_lo
	v_cmpx_ne_u32_e32 0x7f, v34
	s_cbranch_execz .LBB285_1824
; %bb.1821:                             ;   in Loop: Header=BB285_1571 Depth=1
	v_and_b32_e32 v18, 7, v3
	v_lshrrev_b32_e32 v33, 3, v34
	s_mov_b32 s21, exec_lo
	v_cmpx_gt_u32_e32 8, v34
; %bb.1822:                             ;   in Loop: Header=BB285_1571 Depth=1
	v_ffbh_u32_e32 v18, v18
	v_min_u32_e32 v18, 32, v18
	v_subrev_nc_u32_e32 v22, 28, v18
	v_sub_nc_u32_e32 v33, 29, v18
	v_lshlrev_b64 v[22:23], v22, v[3:4]
	v_and_b32_e32 v18, 7, v22
; %bb.1823:                             ;   in Loop: Header=BB285_1571 Depth=1
	s_or_b32 exec_lo, exec_lo, s21
	v_lshlrev_b32_e32 v3, 8, v3
	v_lshl_add_u32 v22, v33, 10, 0x2000
	v_lshlrev_b32_e32 v18, 7, v18
	v_and_b32_e32 v3, 0x8000, v3
	v_and_b32_e32 v22, 0xfc00, v22
	v_or3_b32 v18, v3, v22, v18
.LBB285_1824:                           ;   in Loop: Header=BB285_1571 Depth=1
	s_or_b32 exec_lo, exec_lo, s20
.LBB285_1825:                           ;   in Loop: Header=BB285_1571 Depth=1
	s_or_b32 exec_lo, exec_lo, s19
.LBB285_1826:                           ;   in Loop: Header=BB285_1571 Depth=1
	s_or_b32 exec_lo, exec_lo, s18
	v_cmp_lt_u64_e64 s4, s[6:7], v[10:11]
	v_mov_b32_e32 v10, 0
	s_and_saveexec_b32 s18, s4
	s_cbranch_execz .LBB285_1834
; %bb.1827:                             ;   in Loop: Header=BB285_1571 Depth=1
	v_lshrrev_b32_e32 v3, 24, v11
	v_bfrev_b32_e32 v10, 1
	s_mov_b32 s19, exec_lo
	v_cmpx_ne_u32_e32 0x80, v3
	s_cbranch_execz .LBB285_1833
; %bb.1828:                             ;   in Loop: Header=BB285_1571 Depth=1
	v_and_b32_e32 v33, 0x7f, v3
	v_mov_b32_e32 v10, 0x7c010000
	s_mov_b32 s20, exec_lo
	v_cmpx_ne_u32_e32 0x7f, v33
	s_cbranch_execz .LBB285_1832
; %bb.1829:                             ;   in Loop: Header=BB285_1571 Depth=1
	v_and_b32_e32 v10, 7, v3
	v_lshrrev_b32_e32 v11, 3, v33
	s_mov_b32 s21, exec_lo
	v_cmpx_gt_u32_e32 8, v33
; %bb.1830:                             ;   in Loop: Header=BB285_1571 Depth=1
	v_ffbh_u32_e32 v10, v10
	v_min_u32_e32 v22, 32, v10
	v_subrev_nc_u32_e32 v10, 28, v22
	v_lshlrev_b64 v[10:11], v10, v[3:4]
	v_sub_nc_u32_e32 v11, 29, v22
	v_and_b32_e32 v10, 7, v10
; %bb.1831:                             ;   in Loop: Header=BB285_1571 Depth=1
	s_or_b32 exec_lo, exec_lo, s21
	v_lshlrev_b32_e32 v3, 8, v3
	v_lshl_add_u32 v11, v11, 10, 0x2000
	v_lshlrev_b32_e32 v10, 23, v10
	v_and_or_b32 v3, 0x8000, v3, v11
	v_lshl_or_b32 v10, v3, 16, v10
.LBB285_1832:                           ;   in Loop: Header=BB285_1571 Depth=1
	s_or_b32 exec_lo, exec_lo, s20
.LBB285_1833:                           ;   in Loop: Header=BB285_1571 Depth=1
	s_or_b32 exec_lo, exec_lo, s19
.LBB285_1834:                           ;   in Loop: Header=BB285_1571 Depth=1
	s_or_b32 exec_lo, exec_lo, s18
	v_or_b32_e32 v3, v12, v13
	s_waitcnt vmcnt(0) lgkmcnt(0)
	v_fma_mixlo_f16 v11, v0, v12, 0 op_sel:[0,1,0] op_sel_hi:[0,1,0]
	v_or_b32_e32 v2, v1, v2
	v_fma_mixlo_f16 v12, v0, v1, 0 op_sel:[0,1,0] op_sel_hi:[0,1,0]
	v_or_b32_e32 v13, v31, v19
	v_fma_mixlo_f16 v3, v0, v3, 0 op_sel_hi:[0,1,0]
	v_or_b32_e32 v18, v10, v18
	v_lshlrev_b32_e32 v1, 16, v11
	v_lshlrev_b32_e32 v11, 16, v12
	v_fma_mixlo_f16 v12, v0, v2, 0 op_sel_hi:[0,1,0]
	v_and_b32_e32 v2, 0xffff, v3
	v_fma_mixlo_f16 v3, v0, v31, 0 op_sel:[0,1,0] op_sel_hi:[0,1,0]
	v_fma_mixlo_f16 v13, v0, v13, 0 op_sel_hi:[0,1,0]
	v_fma_mixlo_f16 v10, v0, v10, 0 op_sel:[0,1,0] op_sel_hi:[0,1,0]
	v_fma_mixlo_f16 v18, v0, v18, 0 op_sel_hi:[0,1,0]
	v_and_b32_e32 v33, 0xffff, v12
	v_lshlrev_b32_e32 v3, 16, v3
	v_and_b32_e32 v13, 0xffff, v13
	v_lshlrev_b32_e32 v0, 16, v10
	v_and_b32_e32 v10, 0xffff, v18
	v_or_b32_e32 v12, v1, v2
	v_or_b32_e32 v31, v11, v33
	;; [unrolled: 1-line block ×4, first 2 shown]
	s_and_saveexec_b32 s18, vcc_lo
	s_cbranch_execz .LBB285_1836
; %bb.1835:                             ;   in Loop: Header=BB285_1571 Depth=1
	v_cmp_lt_i32_e64 s4, v86, v32
	v_cndmask_b32_e64 v12, 0, v33, s4
	v_cmp_lt_i32_e64 s4, v115, v32
	v_cndmask_b32_e64 v11, 0, v11, s4
	v_cmp_lt_i32_e64 s4, v114, v32
	v_or_b32_e32 v31, v12, v11
	v_cndmask_b32_e64 v2, 0, v2, s4
	v_cmp_lt_i32_e64 s4, v113, v32
	v_cndmask_b32_e64 v1, 0, v1, s4
	v_cmp_lt_i32_e64 s4, v112, v32
	v_or_b32_e32 v12, v2, v1
	;; [unrolled: 5-line block ×3, first 2 shown]
	v_cndmask_b32_e64 v10, 0, v10, s4
	v_cmp_lt_i32_e64 s4, v101, v32
	v_cndmask_b32_e64 v0, 0, v0, s4
	v_or_b32_e32 v18, v10, v0
.LBB285_1836:                           ;   in Loop: Header=BB285_1571 Depth=1
	s_or_b32 exec_lo, exec_lo, s18
	;;#ASMSTART
	v_pk_mul_f16 v0, v100, v31;

	;;#ASMEND
	;;#ASMSTART
	v_pk_mul_f16 v1, v99, v12;

	;;#ASMEND
	;; [unrolled: 4-line block ×4, first 2 shown]
	;;#ASMSTART
	v_pk_add_f16 v0, v0, v1;

	;;#ASMEND
	;;#ASMSTART
	v_pk_add_f16 v0, v0, v2;

	;;#ASMEND
	;; [unrolled: 4-line block ×3, first 2 shown]
	v_and_b32_e32 v1, 0xffff, v0
	v_lshrrev_b32_e32 v0, 16, v0
	;;#ASMSTART
	v_cvt_f32_f16 v40, v1;
	;;#ASMEND
	;;#ASMSTART
	v_cvt_f32_f16 v41, v0;
	;;#ASMEND
	flat_load_dwordx2 v[10:11], v[8:9] offset:1024
	flat_load_dword v0, v[109:110]
	v_mov_b32_e32 v1, 0
	v_mov_b32_e32 v2, 0
	s_waitcnt vmcnt(1) lgkmcnt(1)
	v_cmp_ne_u16_sdwa s4, v10, v4 src0_sel:BYTE_0 src1_sel:DWORD
	s_and_saveexec_b32 s18, s4
	s_cbranch_execz .LBB285_1844
; %bb.1837:                             ;   in Loop: Header=BB285_1571 Depth=1
	v_cmp_ne_u16_sdwa s4, v10, v80 src0_sel:BYTE_0 src1_sel:DWORD
	v_mov_b32_e32 v2, 0x8000
	s_and_saveexec_b32 s19, s4
	s_cbranch_execz .LBB285_1843
; %bb.1838:                             ;   in Loop: Header=BB285_1571 Depth=1
	v_and_b32_e32 v12, 0x7f, v10
	v_mov_b32_e32 v2, 0x7c01
	s_mov_b32 s20, exec_lo
	v_cmpx_ne_u32_e32 0x7f, v12
	s_cbranch_execz .LBB285_1842
; %bb.1839:                             ;   in Loop: Header=BB285_1571 Depth=1
	v_and_b32_e32 v2, 7, v10
	v_lshrrev_b32_e32 v3, 3, v12
	s_mov_b32 s21, exec_lo
	v_cmpx_gt_u32_e32 8, v12
; %bb.1840:                             ;   in Loop: Header=BB285_1571 Depth=1
	v_ffbh_u32_e32 v2, v2
	v_min_u32_e32 v12, 32, v2
	v_subrev_nc_u32_e32 v2, 28, v12
	v_lshlrev_b64 v[2:3], v2, v[10:11]
	v_sub_nc_u32_e32 v3, 29, v12
	v_and_b32_e32 v2, 7, v2
; %bb.1841:                             ;   in Loop: Header=BB285_1571 Depth=1
	s_or_b32 exec_lo, exec_lo, s21
	v_lshlrev_b32_e32 v12, 8, v10
	v_lshl_add_u32 v3, v3, 10, 0x2000
	v_lshlrev_b32_e32 v2, 7, v2
	v_and_b32_e32 v12, 0x8000, v12
	v_and_b32_e32 v3, 0xfc00, v3
	v_or3_b32 v2, v12, v3, v2
.LBB285_1842:                           ;   in Loop: Header=BB285_1571 Depth=1
	s_or_b32 exec_lo, exec_lo, s20
.LBB285_1843:                           ;   in Loop: Header=BB285_1571 Depth=1
	s_or_b32 exec_lo, exec_lo, s19
.LBB285_1844:                           ;   in Loop: Header=BB285_1571 Depth=1
	s_or_b32 exec_lo, exec_lo, s18
	v_lshrrev_b16 v3, 8, v10
	s_mov_b32 s18, exec_lo
	v_cmpx_ne_u16_e32 0, v3
	s_cbranch_execz .LBB285_1852
; %bb.1845:                             ;   in Loop: Header=BB285_1571 Depth=1
	v_bfrev_b32_e32 v1, 1
	s_mov_b32 s19, exec_lo
	v_cmpx_ne_u16_e32 0x80, v3
	s_cbranch_execz .LBB285_1851
; %bb.1846:                             ;   in Loop: Header=BB285_1571 Depth=1
	v_and_b32_sdwa v13, v3, v81 dst_sel:DWORD dst_unused:UNUSED_PAD src0_sel:WORD_0 src1_sel:DWORD
	v_mov_b32_e32 v1, 0x7c010000
	s_mov_b32 s20, exec_lo
	v_cmpx_ne_u32_e32 0x7f, v13
	s_cbranch_execz .LBB285_1850
; %bb.1847:                             ;   in Loop: Header=BB285_1571 Depth=1
	v_and_b32_sdwa v1, v3, v82 dst_sel:DWORD dst_unused:UNUSED_PAD src0_sel:WORD_0 src1_sel:DWORD
	v_lshrrev_b32_e32 v12, 3, v13
	s_mov_b32 s21, exec_lo
	v_cmpx_gt_u32_e32 8, v13
; %bb.1848:                             ;   in Loop: Header=BB285_1571 Depth=1
	v_ffbh_u32_e32 v1, v1
	v_min_u32_e32 v1, 32, v1
	v_subrev_nc_u32_e32 v12, 28, v1
	v_lshlrev_b64 v[18:19], v12, v[3:4]
	v_sub_nc_u32_e32 v12, 29, v1
	v_and_b32_e32 v1, 7, v18
; %bb.1849:                             ;   in Loop: Header=BB285_1571 Depth=1
	s_or_b32 exec_lo, exec_lo, s21
	v_lshlrev_b32_sdwa v3, v83, v3 dst_sel:DWORD dst_unused:UNUSED_PAD src0_sel:DWORD src1_sel:WORD_0
	v_lshl_add_u32 v12, v12, 10, 0x2000
	v_lshlrev_b32_e32 v1, 23, v1
	v_and_or_b32 v3, 0x8000, v3, v12
	v_lshl_or_b32 v1, v3, 16, v1
.LBB285_1850:                           ;   in Loop: Header=BB285_1571 Depth=1
	s_or_b32 exec_lo, exec_lo, s20
.LBB285_1851:                           ;   in Loop: Header=BB285_1571 Depth=1
	s_or_b32 exec_lo, exec_lo, s19
.LBB285_1852:                           ;   in Loop: Header=BB285_1571 Depth=1
	s_or_b32 exec_lo, exec_lo, s18
	v_lshrrev_b32_e32 v3, 16, v10
	v_mov_b32_e32 v12, 0
	v_mov_b32_e32 v13, 0
	v_cmp_ne_u16_sdwa s4, v3, v4 src0_sel:BYTE_0 src1_sel:DWORD
	s_and_saveexec_b32 s18, s4
	s_cbranch_execz .LBB285_1860
; %bb.1853:                             ;   in Loop: Header=BB285_1571 Depth=1
	v_cmp_ne_u16_sdwa s4, v3, v80 src0_sel:BYTE_0 src1_sel:DWORD
	v_mov_b32_e32 v13, 0x8000
	s_and_saveexec_b32 s19, s4
	s_cbranch_execz .LBB285_1859
; %bb.1854:                             ;   in Loop: Header=BB285_1571 Depth=1
	v_bfe_u32 v19, v10, 16, 7
	v_mov_b32_e32 v13, 0x7c01
	s_mov_b32 s20, exec_lo
	v_cmpx_ne_u32_e32 0x7f, v19
	s_cbranch_execz .LBB285_1858
; %bb.1855:                             ;   in Loop: Header=BB285_1571 Depth=1
	v_and_b32_e32 v13, 7, v3
	v_lshrrev_b32_e32 v18, 3, v19
	s_mov_b32 s21, exec_lo
	v_cmpx_gt_u32_e32 8, v19
; %bb.1856:                             ;   in Loop: Header=BB285_1571 Depth=1
	v_ffbh_u32_e32 v13, v13
	v_min_u32_e32 v13, 32, v13
	v_subrev_nc_u32_e32 v18, 28, v13
	v_lshlrev_b64 v[22:23], v18, v[3:4]
	v_sub_nc_u32_e32 v18, 29, v13
	v_and_b32_e32 v13, 7, v22
; %bb.1857:                             ;   in Loop: Header=BB285_1571 Depth=1
	s_or_b32 exec_lo, exec_lo, s21
	v_lshlrev_b32_e32 v3, 8, v3
	v_lshl_add_u32 v18, v18, 10, 0x2000
	v_lshlrev_b32_e32 v13, 7, v13
	v_and_b32_e32 v3, 0x8000, v3
	v_and_b32_e32 v18, 0xfc00, v18
	v_or3_b32 v13, v3, v18, v13
.LBB285_1858:                           ;   in Loop: Header=BB285_1571 Depth=1
	s_or_b32 exec_lo, exec_lo, s20
.LBB285_1859:                           ;   in Loop: Header=BB285_1571 Depth=1
	s_or_b32 exec_lo, exec_lo, s19
.LBB285_1860:                           ;   in Loop: Header=BB285_1571 Depth=1
	s_or_b32 exec_lo, exec_lo, s18
	s_mov_b32 s18, exec_lo
	v_cmpx_lt_u32_e32 0xffffff, v10
	s_cbranch_execz .LBB285_1868
; %bb.1861:                             ;   in Loop: Header=BB285_1571 Depth=1
	v_lshrrev_b32_e32 v3, 24, v10
	v_bfrev_b32_e32 v12, 1
	s_mov_b32 s19, exec_lo
	v_cmpx_ne_u32_e32 0x80, v3
	s_cbranch_execz .LBB285_1867
; %bb.1862:                             ;   in Loop: Header=BB285_1571 Depth=1
	v_and_b32_e32 v19, 0x7f, v3
	v_mov_b32_e32 v12, 0x7c010000
	s_mov_b32 s20, exec_lo
	v_cmpx_ne_u32_e32 0x7f, v19
	s_cbranch_execz .LBB285_1866
; %bb.1863:                             ;   in Loop: Header=BB285_1571 Depth=1
	v_and_b32_e32 v12, 7, v3
	v_lshrrev_b32_e32 v18, 3, v19
	s_mov_b32 s21, exec_lo
	v_cmpx_gt_u32_e32 8, v19
; %bb.1864:                             ;   in Loop: Header=BB285_1571 Depth=1
	v_ffbh_u32_e32 v12, v12
	v_min_u32_e32 v12, 32, v12
	v_subrev_nc_u32_e32 v18, 28, v12
	v_lshlrev_b64 v[22:23], v18, v[3:4]
	v_sub_nc_u32_e32 v18, 29, v12
	v_and_b32_e32 v12, 7, v22
; %bb.1865:                             ;   in Loop: Header=BB285_1571 Depth=1
	s_or_b32 exec_lo, exec_lo, s21
	v_lshlrev_b32_e32 v3, 8, v3
	v_lshl_add_u32 v18, v18, 10, 0x2000
	v_lshlrev_b32_e32 v12, 23, v12
	v_and_or_b32 v3, 0x8000, v3, v18
	v_lshl_or_b32 v12, v3, 16, v12
.LBB285_1866:                           ;   in Loop: Header=BB285_1571 Depth=1
	s_or_b32 exec_lo, exec_lo, s20
.LBB285_1867:                           ;   in Loop: Header=BB285_1571 Depth=1
	s_or_b32 exec_lo, exec_lo, s19
.LBB285_1868:                           ;   in Loop: Header=BB285_1571 Depth=1
	s_or_b32 exec_lo, exec_lo, s18
	v_mov_b32_e32 v3, v11
	v_cmp_ne_u16_sdwa s4, v11, v4 src0_sel:BYTE_0 src1_sel:DWORD
	v_mov_b32_e32 v18, 0
	v_mov_b32_e32 v19, 0
	s_and_saveexec_b32 s18, s4
	s_cbranch_execz .LBB285_1876
; %bb.1869:                             ;   in Loop: Header=BB285_1571 Depth=1
	v_cmp_ne_u16_sdwa s4, v11, v80 src0_sel:BYTE_0 src1_sel:DWORD
	v_mov_b32_e32 v19, 0x8000
	s_and_saveexec_b32 s19, s4
	s_cbranch_execz .LBB285_1875
; %bb.1870:                             ;   in Loop: Header=BB285_1571 Depth=1
	v_and_b32_e32 v33, 0x7f, v11
	v_mov_b32_e32 v19, 0x7c01
	s_mov_b32 s20, exec_lo
	v_cmpx_ne_u32_e32 0x7f, v33
	s_cbranch_execz .LBB285_1874
; %bb.1871:                             ;   in Loop: Header=BB285_1571 Depth=1
	v_and_b32_e32 v19, 7, v11
	v_lshrrev_b32_e32 v31, 3, v33
	s_mov_b32 s21, exec_lo
	v_cmpx_gt_u32_e32 8, v33
; %bb.1872:                             ;   in Loop: Header=BB285_1571 Depth=1
	v_ffbh_u32_e32 v19, v19
	v_min_u32_e32 v19, 32, v19
	v_subrev_nc_u32_e32 v22, 28, v19
	v_sub_nc_u32_e32 v31, 29, v19
	v_lshlrev_b64 v[22:23], v22, v[3:4]
	v_and_b32_e32 v19, 7, v22
; %bb.1873:                             ;   in Loop: Header=BB285_1571 Depth=1
	s_or_b32 exec_lo, exec_lo, s21
	v_lshlrev_b32_e32 v22, 8, v11
	v_lshl_add_u32 v23, v31, 10, 0x2000
	v_lshlrev_b32_e32 v19, 7, v19
	v_and_b32_e32 v22, 0x8000, v22
	v_and_b32_e32 v23, 0xfc00, v23
	v_or3_b32 v19, v22, v23, v19
.LBB285_1874:                           ;   in Loop: Header=BB285_1571 Depth=1
	s_or_b32 exec_lo, exec_lo, s20
.LBB285_1875:                           ;   in Loop: Header=BB285_1571 Depth=1
	s_or_b32 exec_lo, exec_lo, s19
.LBB285_1876:                           ;   in Loop: Header=BB285_1571 Depth=1
	s_or_b32 exec_lo, exec_lo, s18
	v_lshrrev_b16 v3, 8, v3
	v_mov_b32_e32 v31, 0
	s_mov_b32 s18, exec_lo
	v_cmpx_ne_u16_e32 0, v3
	s_cbranch_execz .LBB285_1884
; %bb.1877:                             ;   in Loop: Header=BB285_1571 Depth=1
	v_bfrev_b32_e32 v31, 1
	s_mov_b32 s19, exec_lo
	v_cmpx_ne_u16_e32 0x80, v3
	s_cbranch_execz .LBB285_1883
; %bb.1878:                             ;   in Loop: Header=BB285_1571 Depth=1
	v_and_b32_sdwa v34, v3, v81 dst_sel:DWORD dst_unused:UNUSED_PAD src0_sel:WORD_0 src1_sel:DWORD
	v_mov_b32_e32 v31, 0x7c010000
	s_mov_b32 s20, exec_lo
	v_cmpx_ne_u32_e32 0x7f, v34
	s_cbranch_execz .LBB285_1882
; %bb.1879:                             ;   in Loop: Header=BB285_1571 Depth=1
	v_and_b32_sdwa v31, v3, v82 dst_sel:DWORD dst_unused:UNUSED_PAD src0_sel:WORD_0 src1_sel:DWORD
	v_lshrrev_b32_e32 v33, 3, v34
	s_mov_b32 s21, exec_lo
	v_cmpx_gt_u32_e32 8, v34
; %bb.1880:                             ;   in Loop: Header=BB285_1571 Depth=1
	v_ffbh_u32_e32 v22, v31
	v_min_u32_e32 v31, 32, v22
	v_subrev_nc_u32_e32 v22, 28, v31
	v_sub_nc_u32_e32 v33, 29, v31
	v_lshlrev_b64 v[22:23], v22, v[3:4]
	v_and_b32_e32 v31, 7, v22
; %bb.1881:                             ;   in Loop: Header=BB285_1571 Depth=1
	s_or_b32 exec_lo, exec_lo, s21
	v_lshlrev_b32_sdwa v3, v83, v3 dst_sel:DWORD dst_unused:UNUSED_PAD src0_sel:DWORD src1_sel:WORD_0
	v_lshl_add_u32 v22, v33, 10, 0x2000
	v_and_or_b32 v3, 0x8000, v3, v22
	v_lshlrev_b32_e32 v22, 23, v31
	v_lshl_or_b32 v31, v3, 16, v22
.LBB285_1882:                           ;   in Loop: Header=BB285_1571 Depth=1
	s_or_b32 exec_lo, exec_lo, s20
.LBB285_1883:                           ;   in Loop: Header=BB285_1571 Depth=1
	s_or_b32 exec_lo, exec_lo, s19
.LBB285_1884:                           ;   in Loop: Header=BB285_1571 Depth=1
	s_or_b32 exec_lo, exec_lo, s18
	v_lshrrev_b32_e32 v3, 16, v11
	v_cmp_ne_u16_sdwa s4, v3, v4 src0_sel:BYTE_0 src1_sel:DWORD
	s_and_saveexec_b32 s18, s4
	s_cbranch_execz .LBB285_1892
; %bb.1885:                             ;   in Loop: Header=BB285_1571 Depth=1
	v_cmp_ne_u16_sdwa s4, v3, v80 src0_sel:BYTE_0 src1_sel:DWORD
	v_mov_b32_e32 v18, 0x8000
	s_and_saveexec_b32 s19, s4
	s_cbranch_execz .LBB285_1891
; %bb.1886:                             ;   in Loop: Header=BB285_1571 Depth=1
	v_bfe_u32 v34, v11, 16, 7
	v_mov_b32_e32 v18, 0x7c01
	s_mov_b32 s20, exec_lo
	v_cmpx_ne_u32_e32 0x7f, v34
	s_cbranch_execz .LBB285_1890
; %bb.1887:                             ;   in Loop: Header=BB285_1571 Depth=1
	v_and_b32_e32 v18, 7, v3
	v_lshrrev_b32_e32 v33, 3, v34
	s_mov_b32 s21, exec_lo
	v_cmpx_gt_u32_e32 8, v34
; %bb.1888:                             ;   in Loop: Header=BB285_1571 Depth=1
	v_ffbh_u32_e32 v18, v18
	v_min_u32_e32 v18, 32, v18
	v_subrev_nc_u32_e32 v22, 28, v18
	v_sub_nc_u32_e32 v33, 29, v18
	v_lshlrev_b64 v[22:23], v22, v[3:4]
	v_and_b32_e32 v18, 7, v22
; %bb.1889:                             ;   in Loop: Header=BB285_1571 Depth=1
	s_or_b32 exec_lo, exec_lo, s21
	v_lshlrev_b32_e32 v3, 8, v3
	v_lshl_add_u32 v22, v33, 10, 0x2000
	v_lshlrev_b32_e32 v18, 7, v18
	v_and_b32_e32 v3, 0x8000, v3
	v_and_b32_e32 v22, 0xfc00, v22
	v_or3_b32 v18, v3, v22, v18
.LBB285_1890:                           ;   in Loop: Header=BB285_1571 Depth=1
	s_or_b32 exec_lo, exec_lo, s20
.LBB285_1891:                           ;   in Loop: Header=BB285_1571 Depth=1
	s_or_b32 exec_lo, exec_lo, s19
.LBB285_1892:                           ;   in Loop: Header=BB285_1571 Depth=1
	s_or_b32 exec_lo, exec_lo, s18
	v_cmp_lt_u64_e64 s4, s[6:7], v[10:11]
	v_mov_b32_e32 v10, 0
	s_and_saveexec_b32 s18, s4
	s_cbranch_execz .LBB285_1900
; %bb.1893:                             ;   in Loop: Header=BB285_1571 Depth=1
	v_lshrrev_b32_e32 v3, 24, v11
	v_bfrev_b32_e32 v10, 1
	s_mov_b32 s19, exec_lo
	v_cmpx_ne_u32_e32 0x80, v3
	s_cbranch_execz .LBB285_1899
; %bb.1894:                             ;   in Loop: Header=BB285_1571 Depth=1
	v_and_b32_e32 v33, 0x7f, v3
	v_mov_b32_e32 v10, 0x7c010000
	s_mov_b32 s20, exec_lo
	v_cmpx_ne_u32_e32 0x7f, v33
	s_cbranch_execz .LBB285_1898
; %bb.1895:                             ;   in Loop: Header=BB285_1571 Depth=1
	v_and_b32_e32 v10, 7, v3
	v_lshrrev_b32_e32 v11, 3, v33
	s_mov_b32 s21, exec_lo
	v_cmpx_gt_u32_e32 8, v33
; %bb.1896:                             ;   in Loop: Header=BB285_1571 Depth=1
	v_ffbh_u32_e32 v10, v10
	v_min_u32_e32 v22, 32, v10
	v_subrev_nc_u32_e32 v10, 28, v22
	v_lshlrev_b64 v[10:11], v10, v[3:4]
	v_sub_nc_u32_e32 v11, 29, v22
	v_and_b32_e32 v10, 7, v10
; %bb.1897:                             ;   in Loop: Header=BB285_1571 Depth=1
	s_or_b32 exec_lo, exec_lo, s21
	v_lshlrev_b32_e32 v3, 8, v3
	v_lshl_add_u32 v11, v11, 10, 0x2000
	v_lshlrev_b32_e32 v10, 23, v10
	v_and_or_b32 v3, 0x8000, v3, v11
	v_lshl_or_b32 v10, v3, 16, v10
.LBB285_1898:                           ;   in Loop: Header=BB285_1571 Depth=1
	s_or_b32 exec_lo, exec_lo, s20
.LBB285_1899:                           ;   in Loop: Header=BB285_1571 Depth=1
	s_or_b32 exec_lo, exec_lo, s19
.LBB285_1900:                           ;   in Loop: Header=BB285_1571 Depth=1
	s_or_b32 exec_lo, exec_lo, s18
	v_or_b32_e32 v3, v12, v13
	s_waitcnt vmcnt(0) lgkmcnt(0)
	v_fma_mixlo_f16 v11, v0, v12, 0 op_sel:[0,1,0] op_sel_hi:[0,1,0]
	v_or_b32_e32 v2, v1, v2
	v_fma_mixlo_f16 v12, v0, v1, 0 op_sel:[0,1,0] op_sel_hi:[0,1,0]
	v_or_b32_e32 v13, v31, v19
	v_fma_mixlo_f16 v3, v0, v3, 0 op_sel_hi:[0,1,0]
	v_or_b32_e32 v18, v10, v18
	v_lshlrev_b32_e32 v1, 16, v11
	v_lshlrev_b32_e32 v11, 16, v12
	v_fma_mixlo_f16 v12, v0, v2, 0 op_sel_hi:[0,1,0]
	v_and_b32_e32 v2, 0xffff, v3
	v_fma_mixlo_f16 v3, v0, v31, 0 op_sel:[0,1,0] op_sel_hi:[0,1,0]
	v_fma_mixlo_f16 v13, v0, v13, 0 op_sel_hi:[0,1,0]
	v_fma_mixlo_f16 v10, v0, v10, 0 op_sel:[0,1,0] op_sel_hi:[0,1,0]
	v_fma_mixlo_f16 v18, v0, v18, 0 op_sel_hi:[0,1,0]
	v_and_b32_e32 v33, 0xffff, v12
	v_lshlrev_b32_e32 v3, 16, v3
	v_and_b32_e32 v13, 0xffff, v13
	v_lshlrev_b32_e32 v0, 16, v10
	v_and_b32_e32 v10, 0xffff, v18
	v_or_b32_e32 v12, v1, v2
	v_or_b32_e32 v31, v11, v33
	;; [unrolled: 1-line block ×4, first 2 shown]
	s_and_saveexec_b32 s18, vcc_lo
	s_cbranch_execz .LBB285_1902
; %bb.1901:                             ;   in Loop: Header=BB285_1571 Depth=1
	v_cmp_lt_i32_e64 s4, v86, v32
	v_cndmask_b32_e64 v12, 0, v33, s4
	v_cmp_lt_i32_e64 s4, v115, v32
	v_cndmask_b32_e64 v11, 0, v11, s4
	v_cmp_lt_i32_e64 s4, v114, v32
	v_or_b32_e32 v31, v12, v11
	v_cndmask_b32_e64 v2, 0, v2, s4
	v_cmp_lt_i32_e64 s4, v113, v32
	v_cndmask_b32_e64 v1, 0, v1, s4
	v_cmp_lt_i32_e64 s4, v112, v32
	v_or_b32_e32 v12, v2, v1
	;; [unrolled: 5-line block ×3, first 2 shown]
	v_cndmask_b32_e64 v10, 0, v10, s4
	v_cmp_lt_i32_e64 s4, v101, v32
	v_cndmask_b32_e64 v0, 0, v0, s4
	v_or_b32_e32 v18, v10, v0
.LBB285_1902:                           ;   in Loop: Header=BB285_1571 Depth=1
	s_or_b32 exec_lo, exec_lo, s18
	;;#ASMSTART
	v_pk_mul_f16 v0, v100, v31;

	;;#ASMEND
	;;#ASMSTART
	v_pk_mul_f16 v1, v99, v12;

	;;#ASMEND
	;; [unrolled: 4-line block ×4, first 2 shown]
	;;#ASMSTART
	v_pk_add_f16 v0, v0, v1;

	;;#ASMEND
	;;#ASMSTART
	v_pk_add_f16 v0, v0, v2;

	;;#ASMEND
	;; [unrolled: 4-line block ×3, first 2 shown]
	v_and_b32_e32 v1, 0xffff, v0
	v_lshrrev_b32_e32 v0, 16, v0
	;;#ASMSTART
	v_cvt_f32_f16 v42, v1;
	;;#ASMEND
	;;#ASMSTART
	v_cvt_f32_f16 v43, v0;
	;;#ASMEND
	flat_load_dwordx2 v[10:11], v[8:9] offset:1280
	flat_load_dword v0, v[109:110]
	v_mov_b32_e32 v1, 0
	v_mov_b32_e32 v2, 0
	s_waitcnt vmcnt(1) lgkmcnt(1)
	v_cmp_ne_u16_sdwa s4, v10, v4 src0_sel:BYTE_0 src1_sel:DWORD
	s_and_saveexec_b32 s18, s4
	s_cbranch_execz .LBB285_1910
; %bb.1903:                             ;   in Loop: Header=BB285_1571 Depth=1
	v_cmp_ne_u16_sdwa s4, v10, v80 src0_sel:BYTE_0 src1_sel:DWORD
	v_mov_b32_e32 v2, 0x8000
	s_and_saveexec_b32 s19, s4
	s_cbranch_execz .LBB285_1909
; %bb.1904:                             ;   in Loop: Header=BB285_1571 Depth=1
	v_and_b32_e32 v12, 0x7f, v10
	v_mov_b32_e32 v2, 0x7c01
	s_mov_b32 s20, exec_lo
	v_cmpx_ne_u32_e32 0x7f, v12
	s_cbranch_execz .LBB285_1908
; %bb.1905:                             ;   in Loop: Header=BB285_1571 Depth=1
	v_and_b32_e32 v2, 7, v10
	v_lshrrev_b32_e32 v3, 3, v12
	s_mov_b32 s21, exec_lo
	v_cmpx_gt_u32_e32 8, v12
; %bb.1906:                             ;   in Loop: Header=BB285_1571 Depth=1
	v_ffbh_u32_e32 v2, v2
	v_min_u32_e32 v12, 32, v2
	v_subrev_nc_u32_e32 v2, 28, v12
	v_lshlrev_b64 v[2:3], v2, v[10:11]
	v_sub_nc_u32_e32 v3, 29, v12
	v_and_b32_e32 v2, 7, v2
; %bb.1907:                             ;   in Loop: Header=BB285_1571 Depth=1
	s_or_b32 exec_lo, exec_lo, s21
	v_lshlrev_b32_e32 v12, 8, v10
	v_lshl_add_u32 v3, v3, 10, 0x2000
	v_lshlrev_b32_e32 v2, 7, v2
	v_and_b32_e32 v12, 0x8000, v12
	v_and_b32_e32 v3, 0xfc00, v3
	v_or3_b32 v2, v12, v3, v2
.LBB285_1908:                           ;   in Loop: Header=BB285_1571 Depth=1
	s_or_b32 exec_lo, exec_lo, s20
.LBB285_1909:                           ;   in Loop: Header=BB285_1571 Depth=1
	s_or_b32 exec_lo, exec_lo, s19
.LBB285_1910:                           ;   in Loop: Header=BB285_1571 Depth=1
	s_or_b32 exec_lo, exec_lo, s18
	v_lshrrev_b16 v3, 8, v10
	s_mov_b32 s18, exec_lo
	v_cmpx_ne_u16_e32 0, v3
	s_cbranch_execz .LBB285_1918
; %bb.1911:                             ;   in Loop: Header=BB285_1571 Depth=1
	v_bfrev_b32_e32 v1, 1
	s_mov_b32 s19, exec_lo
	v_cmpx_ne_u16_e32 0x80, v3
	s_cbranch_execz .LBB285_1917
; %bb.1912:                             ;   in Loop: Header=BB285_1571 Depth=1
	v_and_b32_sdwa v13, v3, v81 dst_sel:DWORD dst_unused:UNUSED_PAD src0_sel:WORD_0 src1_sel:DWORD
	v_mov_b32_e32 v1, 0x7c010000
	s_mov_b32 s20, exec_lo
	v_cmpx_ne_u32_e32 0x7f, v13
	s_cbranch_execz .LBB285_1916
; %bb.1913:                             ;   in Loop: Header=BB285_1571 Depth=1
	v_and_b32_sdwa v1, v3, v82 dst_sel:DWORD dst_unused:UNUSED_PAD src0_sel:WORD_0 src1_sel:DWORD
	v_lshrrev_b32_e32 v12, 3, v13
	s_mov_b32 s21, exec_lo
	v_cmpx_gt_u32_e32 8, v13
; %bb.1914:                             ;   in Loop: Header=BB285_1571 Depth=1
	v_ffbh_u32_e32 v1, v1
	v_min_u32_e32 v1, 32, v1
	v_subrev_nc_u32_e32 v12, 28, v1
	v_lshlrev_b64 v[18:19], v12, v[3:4]
	v_sub_nc_u32_e32 v12, 29, v1
	v_and_b32_e32 v1, 7, v18
; %bb.1915:                             ;   in Loop: Header=BB285_1571 Depth=1
	s_or_b32 exec_lo, exec_lo, s21
	v_lshlrev_b32_sdwa v3, v83, v3 dst_sel:DWORD dst_unused:UNUSED_PAD src0_sel:DWORD src1_sel:WORD_0
	v_lshl_add_u32 v12, v12, 10, 0x2000
	v_lshlrev_b32_e32 v1, 23, v1
	v_and_or_b32 v3, 0x8000, v3, v12
	v_lshl_or_b32 v1, v3, 16, v1
.LBB285_1916:                           ;   in Loop: Header=BB285_1571 Depth=1
	s_or_b32 exec_lo, exec_lo, s20
.LBB285_1917:                           ;   in Loop: Header=BB285_1571 Depth=1
	s_or_b32 exec_lo, exec_lo, s19
.LBB285_1918:                           ;   in Loop: Header=BB285_1571 Depth=1
	s_or_b32 exec_lo, exec_lo, s18
	v_lshrrev_b32_e32 v3, 16, v10
	v_mov_b32_e32 v12, 0
	v_mov_b32_e32 v13, 0
	v_cmp_ne_u16_sdwa s4, v3, v4 src0_sel:BYTE_0 src1_sel:DWORD
	s_and_saveexec_b32 s18, s4
	s_cbranch_execz .LBB285_1926
; %bb.1919:                             ;   in Loop: Header=BB285_1571 Depth=1
	v_cmp_ne_u16_sdwa s4, v3, v80 src0_sel:BYTE_0 src1_sel:DWORD
	v_mov_b32_e32 v13, 0x8000
	s_and_saveexec_b32 s19, s4
	s_cbranch_execz .LBB285_1925
; %bb.1920:                             ;   in Loop: Header=BB285_1571 Depth=1
	v_bfe_u32 v19, v10, 16, 7
	v_mov_b32_e32 v13, 0x7c01
	s_mov_b32 s20, exec_lo
	v_cmpx_ne_u32_e32 0x7f, v19
	s_cbranch_execz .LBB285_1924
; %bb.1921:                             ;   in Loop: Header=BB285_1571 Depth=1
	v_and_b32_e32 v13, 7, v3
	v_lshrrev_b32_e32 v18, 3, v19
	s_mov_b32 s21, exec_lo
	v_cmpx_gt_u32_e32 8, v19
; %bb.1922:                             ;   in Loop: Header=BB285_1571 Depth=1
	v_ffbh_u32_e32 v13, v13
	v_min_u32_e32 v13, 32, v13
	v_subrev_nc_u32_e32 v18, 28, v13
	v_lshlrev_b64 v[22:23], v18, v[3:4]
	v_sub_nc_u32_e32 v18, 29, v13
	v_and_b32_e32 v13, 7, v22
; %bb.1923:                             ;   in Loop: Header=BB285_1571 Depth=1
	s_or_b32 exec_lo, exec_lo, s21
	v_lshlrev_b32_e32 v3, 8, v3
	v_lshl_add_u32 v18, v18, 10, 0x2000
	v_lshlrev_b32_e32 v13, 7, v13
	v_and_b32_e32 v3, 0x8000, v3
	v_and_b32_e32 v18, 0xfc00, v18
	v_or3_b32 v13, v3, v18, v13
.LBB285_1924:                           ;   in Loop: Header=BB285_1571 Depth=1
	s_or_b32 exec_lo, exec_lo, s20
.LBB285_1925:                           ;   in Loop: Header=BB285_1571 Depth=1
	s_or_b32 exec_lo, exec_lo, s19
.LBB285_1926:                           ;   in Loop: Header=BB285_1571 Depth=1
	s_or_b32 exec_lo, exec_lo, s18
	s_mov_b32 s18, exec_lo
	v_cmpx_lt_u32_e32 0xffffff, v10
	s_cbranch_execz .LBB285_1934
; %bb.1927:                             ;   in Loop: Header=BB285_1571 Depth=1
	v_lshrrev_b32_e32 v3, 24, v10
	v_bfrev_b32_e32 v12, 1
	s_mov_b32 s19, exec_lo
	v_cmpx_ne_u32_e32 0x80, v3
	s_cbranch_execz .LBB285_1933
; %bb.1928:                             ;   in Loop: Header=BB285_1571 Depth=1
	v_and_b32_e32 v19, 0x7f, v3
	v_mov_b32_e32 v12, 0x7c010000
	s_mov_b32 s20, exec_lo
	v_cmpx_ne_u32_e32 0x7f, v19
	s_cbranch_execz .LBB285_1932
; %bb.1929:                             ;   in Loop: Header=BB285_1571 Depth=1
	v_and_b32_e32 v12, 7, v3
	v_lshrrev_b32_e32 v18, 3, v19
	s_mov_b32 s21, exec_lo
	v_cmpx_gt_u32_e32 8, v19
; %bb.1930:                             ;   in Loop: Header=BB285_1571 Depth=1
	v_ffbh_u32_e32 v12, v12
	v_min_u32_e32 v12, 32, v12
	v_subrev_nc_u32_e32 v18, 28, v12
	v_lshlrev_b64 v[22:23], v18, v[3:4]
	v_sub_nc_u32_e32 v18, 29, v12
	v_and_b32_e32 v12, 7, v22
; %bb.1931:                             ;   in Loop: Header=BB285_1571 Depth=1
	s_or_b32 exec_lo, exec_lo, s21
	v_lshlrev_b32_e32 v3, 8, v3
	v_lshl_add_u32 v18, v18, 10, 0x2000
	v_lshlrev_b32_e32 v12, 23, v12
	v_and_or_b32 v3, 0x8000, v3, v18
	v_lshl_or_b32 v12, v3, 16, v12
.LBB285_1932:                           ;   in Loop: Header=BB285_1571 Depth=1
	s_or_b32 exec_lo, exec_lo, s20
.LBB285_1933:                           ;   in Loop: Header=BB285_1571 Depth=1
	s_or_b32 exec_lo, exec_lo, s19
.LBB285_1934:                           ;   in Loop: Header=BB285_1571 Depth=1
	s_or_b32 exec_lo, exec_lo, s18
	v_mov_b32_e32 v3, v11
	v_cmp_ne_u16_sdwa s4, v11, v4 src0_sel:BYTE_0 src1_sel:DWORD
	v_mov_b32_e32 v18, 0
	v_mov_b32_e32 v19, 0
	s_and_saveexec_b32 s18, s4
	s_cbranch_execz .LBB285_1942
; %bb.1935:                             ;   in Loop: Header=BB285_1571 Depth=1
	v_cmp_ne_u16_sdwa s4, v11, v80 src0_sel:BYTE_0 src1_sel:DWORD
	v_mov_b32_e32 v19, 0x8000
	s_and_saveexec_b32 s19, s4
	s_cbranch_execz .LBB285_1941
; %bb.1936:                             ;   in Loop: Header=BB285_1571 Depth=1
	v_and_b32_e32 v33, 0x7f, v11
	v_mov_b32_e32 v19, 0x7c01
	s_mov_b32 s20, exec_lo
	v_cmpx_ne_u32_e32 0x7f, v33
	s_cbranch_execz .LBB285_1940
; %bb.1937:                             ;   in Loop: Header=BB285_1571 Depth=1
	v_and_b32_e32 v19, 7, v11
	v_lshrrev_b32_e32 v31, 3, v33
	s_mov_b32 s21, exec_lo
	v_cmpx_gt_u32_e32 8, v33
; %bb.1938:                             ;   in Loop: Header=BB285_1571 Depth=1
	v_ffbh_u32_e32 v19, v19
	v_min_u32_e32 v19, 32, v19
	v_subrev_nc_u32_e32 v22, 28, v19
	v_sub_nc_u32_e32 v31, 29, v19
	v_lshlrev_b64 v[22:23], v22, v[3:4]
	v_and_b32_e32 v19, 7, v22
; %bb.1939:                             ;   in Loop: Header=BB285_1571 Depth=1
	s_or_b32 exec_lo, exec_lo, s21
	v_lshlrev_b32_e32 v22, 8, v11
	v_lshl_add_u32 v23, v31, 10, 0x2000
	v_lshlrev_b32_e32 v19, 7, v19
	v_and_b32_e32 v22, 0x8000, v22
	v_and_b32_e32 v23, 0xfc00, v23
	v_or3_b32 v19, v22, v23, v19
.LBB285_1940:                           ;   in Loop: Header=BB285_1571 Depth=1
	s_or_b32 exec_lo, exec_lo, s20
.LBB285_1941:                           ;   in Loop: Header=BB285_1571 Depth=1
	s_or_b32 exec_lo, exec_lo, s19
.LBB285_1942:                           ;   in Loop: Header=BB285_1571 Depth=1
	s_or_b32 exec_lo, exec_lo, s18
	v_lshrrev_b16 v3, 8, v3
	v_mov_b32_e32 v31, 0
	s_mov_b32 s18, exec_lo
	v_cmpx_ne_u16_e32 0, v3
	s_cbranch_execz .LBB285_1950
; %bb.1943:                             ;   in Loop: Header=BB285_1571 Depth=1
	v_bfrev_b32_e32 v31, 1
	s_mov_b32 s19, exec_lo
	v_cmpx_ne_u16_e32 0x80, v3
	s_cbranch_execz .LBB285_1949
; %bb.1944:                             ;   in Loop: Header=BB285_1571 Depth=1
	v_and_b32_sdwa v34, v3, v81 dst_sel:DWORD dst_unused:UNUSED_PAD src0_sel:WORD_0 src1_sel:DWORD
	v_mov_b32_e32 v31, 0x7c010000
	s_mov_b32 s20, exec_lo
	v_cmpx_ne_u32_e32 0x7f, v34
	s_cbranch_execz .LBB285_1948
; %bb.1945:                             ;   in Loop: Header=BB285_1571 Depth=1
	v_and_b32_sdwa v31, v3, v82 dst_sel:DWORD dst_unused:UNUSED_PAD src0_sel:WORD_0 src1_sel:DWORD
	v_lshrrev_b32_e32 v33, 3, v34
	s_mov_b32 s21, exec_lo
	v_cmpx_gt_u32_e32 8, v34
; %bb.1946:                             ;   in Loop: Header=BB285_1571 Depth=1
	v_ffbh_u32_e32 v22, v31
	v_min_u32_e32 v31, 32, v22
	v_subrev_nc_u32_e32 v22, 28, v31
	v_sub_nc_u32_e32 v33, 29, v31
	v_lshlrev_b64 v[22:23], v22, v[3:4]
	v_and_b32_e32 v31, 7, v22
; %bb.1947:                             ;   in Loop: Header=BB285_1571 Depth=1
	s_or_b32 exec_lo, exec_lo, s21
	v_lshlrev_b32_sdwa v3, v83, v3 dst_sel:DWORD dst_unused:UNUSED_PAD src0_sel:DWORD src1_sel:WORD_0
	v_lshl_add_u32 v22, v33, 10, 0x2000
	v_and_or_b32 v3, 0x8000, v3, v22
	v_lshlrev_b32_e32 v22, 23, v31
	v_lshl_or_b32 v31, v3, 16, v22
.LBB285_1948:                           ;   in Loop: Header=BB285_1571 Depth=1
	s_or_b32 exec_lo, exec_lo, s20
.LBB285_1949:                           ;   in Loop: Header=BB285_1571 Depth=1
	s_or_b32 exec_lo, exec_lo, s19
.LBB285_1950:                           ;   in Loop: Header=BB285_1571 Depth=1
	s_or_b32 exec_lo, exec_lo, s18
	v_lshrrev_b32_e32 v3, 16, v11
	v_cmp_ne_u16_sdwa s4, v3, v4 src0_sel:BYTE_0 src1_sel:DWORD
	s_and_saveexec_b32 s18, s4
	s_cbranch_execz .LBB285_1958
; %bb.1951:                             ;   in Loop: Header=BB285_1571 Depth=1
	v_cmp_ne_u16_sdwa s4, v3, v80 src0_sel:BYTE_0 src1_sel:DWORD
	v_mov_b32_e32 v18, 0x8000
	s_and_saveexec_b32 s19, s4
	s_cbranch_execz .LBB285_1957
; %bb.1952:                             ;   in Loop: Header=BB285_1571 Depth=1
	v_bfe_u32 v34, v11, 16, 7
	v_mov_b32_e32 v18, 0x7c01
	s_mov_b32 s20, exec_lo
	v_cmpx_ne_u32_e32 0x7f, v34
	s_cbranch_execz .LBB285_1956
; %bb.1953:                             ;   in Loop: Header=BB285_1571 Depth=1
	v_and_b32_e32 v18, 7, v3
	v_lshrrev_b32_e32 v33, 3, v34
	s_mov_b32 s21, exec_lo
	v_cmpx_gt_u32_e32 8, v34
; %bb.1954:                             ;   in Loop: Header=BB285_1571 Depth=1
	v_ffbh_u32_e32 v18, v18
	v_min_u32_e32 v18, 32, v18
	v_subrev_nc_u32_e32 v22, 28, v18
	v_sub_nc_u32_e32 v33, 29, v18
	v_lshlrev_b64 v[22:23], v22, v[3:4]
	v_and_b32_e32 v18, 7, v22
; %bb.1955:                             ;   in Loop: Header=BB285_1571 Depth=1
	s_or_b32 exec_lo, exec_lo, s21
	v_lshlrev_b32_e32 v3, 8, v3
	v_lshl_add_u32 v22, v33, 10, 0x2000
	v_lshlrev_b32_e32 v18, 7, v18
	v_and_b32_e32 v3, 0x8000, v3
	v_and_b32_e32 v22, 0xfc00, v22
	v_or3_b32 v18, v3, v22, v18
.LBB285_1956:                           ;   in Loop: Header=BB285_1571 Depth=1
	s_or_b32 exec_lo, exec_lo, s20
.LBB285_1957:                           ;   in Loop: Header=BB285_1571 Depth=1
	s_or_b32 exec_lo, exec_lo, s19
.LBB285_1958:                           ;   in Loop: Header=BB285_1571 Depth=1
	s_or_b32 exec_lo, exec_lo, s18
	v_cmp_lt_u64_e64 s4, s[6:7], v[10:11]
	v_mov_b32_e32 v10, 0
	s_and_saveexec_b32 s18, s4
	s_cbranch_execz .LBB285_1966
; %bb.1959:                             ;   in Loop: Header=BB285_1571 Depth=1
	v_lshrrev_b32_e32 v3, 24, v11
	v_bfrev_b32_e32 v10, 1
	s_mov_b32 s19, exec_lo
	v_cmpx_ne_u32_e32 0x80, v3
	s_cbranch_execz .LBB285_1965
; %bb.1960:                             ;   in Loop: Header=BB285_1571 Depth=1
	v_and_b32_e32 v33, 0x7f, v3
	v_mov_b32_e32 v10, 0x7c010000
	s_mov_b32 s20, exec_lo
	v_cmpx_ne_u32_e32 0x7f, v33
	s_cbranch_execz .LBB285_1964
; %bb.1961:                             ;   in Loop: Header=BB285_1571 Depth=1
	v_and_b32_e32 v10, 7, v3
	v_lshrrev_b32_e32 v11, 3, v33
	s_mov_b32 s21, exec_lo
	v_cmpx_gt_u32_e32 8, v33
; %bb.1962:                             ;   in Loop: Header=BB285_1571 Depth=1
	v_ffbh_u32_e32 v10, v10
	v_min_u32_e32 v22, 32, v10
	v_subrev_nc_u32_e32 v10, 28, v22
	v_lshlrev_b64 v[10:11], v10, v[3:4]
	v_sub_nc_u32_e32 v11, 29, v22
	v_and_b32_e32 v10, 7, v10
; %bb.1963:                             ;   in Loop: Header=BB285_1571 Depth=1
	s_or_b32 exec_lo, exec_lo, s21
	v_lshlrev_b32_e32 v3, 8, v3
	v_lshl_add_u32 v11, v11, 10, 0x2000
	v_lshlrev_b32_e32 v10, 23, v10
	v_and_or_b32 v3, 0x8000, v3, v11
	v_lshl_or_b32 v10, v3, 16, v10
.LBB285_1964:                           ;   in Loop: Header=BB285_1571 Depth=1
	s_or_b32 exec_lo, exec_lo, s20
.LBB285_1965:                           ;   in Loop: Header=BB285_1571 Depth=1
	s_or_b32 exec_lo, exec_lo, s19
.LBB285_1966:                           ;   in Loop: Header=BB285_1571 Depth=1
	s_or_b32 exec_lo, exec_lo, s18
	v_or_b32_e32 v3, v12, v13
	s_waitcnt vmcnt(0) lgkmcnt(0)
	v_fma_mixlo_f16 v11, v0, v12, 0 op_sel:[0,1,0] op_sel_hi:[0,1,0]
	v_or_b32_e32 v2, v1, v2
	v_fma_mixlo_f16 v12, v0, v1, 0 op_sel:[0,1,0] op_sel_hi:[0,1,0]
	v_or_b32_e32 v13, v31, v19
	v_fma_mixlo_f16 v3, v0, v3, 0 op_sel_hi:[0,1,0]
	v_or_b32_e32 v18, v10, v18
	v_lshlrev_b32_e32 v1, 16, v11
	v_lshlrev_b32_e32 v11, 16, v12
	v_fma_mixlo_f16 v12, v0, v2, 0 op_sel_hi:[0,1,0]
	v_and_b32_e32 v2, 0xffff, v3
	v_fma_mixlo_f16 v3, v0, v31, 0 op_sel:[0,1,0] op_sel_hi:[0,1,0]
	v_fma_mixlo_f16 v13, v0, v13, 0 op_sel_hi:[0,1,0]
	v_fma_mixlo_f16 v10, v0, v10, 0 op_sel:[0,1,0] op_sel_hi:[0,1,0]
	v_fma_mixlo_f16 v18, v0, v18, 0 op_sel_hi:[0,1,0]
	v_and_b32_e32 v33, 0xffff, v12
	v_lshlrev_b32_e32 v3, 16, v3
	v_and_b32_e32 v13, 0xffff, v13
	v_lshlrev_b32_e32 v0, 16, v10
	v_and_b32_e32 v10, 0xffff, v18
	v_or_b32_e32 v12, v1, v2
	v_or_b32_e32 v31, v11, v33
	;; [unrolled: 1-line block ×4, first 2 shown]
	s_and_saveexec_b32 s18, vcc_lo
	s_cbranch_execz .LBB285_1968
; %bb.1967:                             ;   in Loop: Header=BB285_1571 Depth=1
	v_cmp_lt_i32_e64 s4, v86, v32
	v_cndmask_b32_e64 v12, 0, v33, s4
	v_cmp_lt_i32_e64 s4, v115, v32
	v_cndmask_b32_e64 v11, 0, v11, s4
	v_cmp_lt_i32_e64 s4, v114, v32
	v_or_b32_e32 v31, v12, v11
	v_cndmask_b32_e64 v2, 0, v2, s4
	v_cmp_lt_i32_e64 s4, v113, v32
	v_cndmask_b32_e64 v1, 0, v1, s4
	v_cmp_lt_i32_e64 s4, v112, v32
	v_or_b32_e32 v12, v2, v1
	;; [unrolled: 5-line block ×3, first 2 shown]
	v_cndmask_b32_e64 v10, 0, v10, s4
	v_cmp_lt_i32_e64 s4, v101, v32
	v_cndmask_b32_e64 v0, 0, v0, s4
	v_or_b32_e32 v18, v10, v0
.LBB285_1968:                           ;   in Loop: Header=BB285_1571 Depth=1
	s_or_b32 exec_lo, exec_lo, s18
	;;#ASMSTART
	v_pk_mul_f16 v0, v100, v31;

	;;#ASMEND
	;;#ASMSTART
	v_pk_mul_f16 v1, v99, v12;

	;;#ASMEND
	;; [unrolled: 4-line block ×4, first 2 shown]
	;;#ASMSTART
	v_pk_add_f16 v0, v0, v1;

	;;#ASMEND
	;;#ASMSTART
	v_pk_add_f16 v0, v0, v2;

	;;#ASMEND
	;; [unrolled: 4-line block ×3, first 2 shown]
	v_and_b32_e32 v1, 0xffff, v0
	v_lshrrev_b32_e32 v0, 16, v0
	;;#ASMSTART
	v_cvt_f32_f16 v44, v1;
	;;#ASMEND
	;;#ASMSTART
	v_cvt_f32_f16 v35, v0;
	;;#ASMEND
	flat_load_dwordx2 v[10:11], v[8:9] offset:1536
	flat_load_dword v0, v[109:110]
	v_mov_b32_e32 v1, 0
	v_mov_b32_e32 v2, 0
	s_waitcnt vmcnt(1) lgkmcnt(1)
	v_cmp_ne_u16_sdwa s4, v10, v4 src0_sel:BYTE_0 src1_sel:DWORD
	s_and_saveexec_b32 s18, s4
	s_cbranch_execz .LBB285_1976
; %bb.1969:                             ;   in Loop: Header=BB285_1571 Depth=1
	v_cmp_ne_u16_sdwa s4, v10, v80 src0_sel:BYTE_0 src1_sel:DWORD
	v_mov_b32_e32 v2, 0x8000
	s_and_saveexec_b32 s19, s4
	s_cbranch_execz .LBB285_1975
; %bb.1970:                             ;   in Loop: Header=BB285_1571 Depth=1
	v_and_b32_e32 v12, 0x7f, v10
	v_mov_b32_e32 v2, 0x7c01
	s_mov_b32 s20, exec_lo
	v_cmpx_ne_u32_e32 0x7f, v12
	s_cbranch_execz .LBB285_1974
; %bb.1971:                             ;   in Loop: Header=BB285_1571 Depth=1
	v_and_b32_e32 v2, 7, v10
	v_lshrrev_b32_e32 v3, 3, v12
	s_mov_b32 s21, exec_lo
	v_cmpx_gt_u32_e32 8, v12
; %bb.1972:                             ;   in Loop: Header=BB285_1571 Depth=1
	v_ffbh_u32_e32 v2, v2
	v_min_u32_e32 v12, 32, v2
	v_subrev_nc_u32_e32 v2, 28, v12
	v_lshlrev_b64 v[2:3], v2, v[10:11]
	v_sub_nc_u32_e32 v3, 29, v12
	v_and_b32_e32 v2, 7, v2
; %bb.1973:                             ;   in Loop: Header=BB285_1571 Depth=1
	s_or_b32 exec_lo, exec_lo, s21
	v_lshlrev_b32_e32 v12, 8, v10
	v_lshl_add_u32 v3, v3, 10, 0x2000
	v_lshlrev_b32_e32 v2, 7, v2
	v_and_b32_e32 v12, 0x8000, v12
	v_and_b32_e32 v3, 0xfc00, v3
	v_or3_b32 v2, v12, v3, v2
.LBB285_1974:                           ;   in Loop: Header=BB285_1571 Depth=1
	s_or_b32 exec_lo, exec_lo, s20
.LBB285_1975:                           ;   in Loop: Header=BB285_1571 Depth=1
	s_or_b32 exec_lo, exec_lo, s19
.LBB285_1976:                           ;   in Loop: Header=BB285_1571 Depth=1
	s_or_b32 exec_lo, exec_lo, s18
	v_lshrrev_b16 v3, 8, v10
	s_mov_b32 s18, exec_lo
	v_cmpx_ne_u16_e32 0, v3
	s_cbranch_execz .LBB285_1984
; %bb.1977:                             ;   in Loop: Header=BB285_1571 Depth=1
	v_bfrev_b32_e32 v1, 1
	s_mov_b32 s19, exec_lo
	v_cmpx_ne_u16_e32 0x80, v3
	s_cbranch_execz .LBB285_1983
; %bb.1978:                             ;   in Loop: Header=BB285_1571 Depth=1
	v_and_b32_sdwa v13, v3, v81 dst_sel:DWORD dst_unused:UNUSED_PAD src0_sel:WORD_0 src1_sel:DWORD
	v_mov_b32_e32 v1, 0x7c010000
	s_mov_b32 s20, exec_lo
	v_cmpx_ne_u32_e32 0x7f, v13
	s_cbranch_execz .LBB285_1982
; %bb.1979:                             ;   in Loop: Header=BB285_1571 Depth=1
	v_and_b32_sdwa v1, v3, v82 dst_sel:DWORD dst_unused:UNUSED_PAD src0_sel:WORD_0 src1_sel:DWORD
	v_lshrrev_b32_e32 v12, 3, v13
	s_mov_b32 s21, exec_lo
	v_cmpx_gt_u32_e32 8, v13
; %bb.1980:                             ;   in Loop: Header=BB285_1571 Depth=1
	v_ffbh_u32_e32 v1, v1
	v_min_u32_e32 v1, 32, v1
	v_subrev_nc_u32_e32 v12, 28, v1
	v_lshlrev_b64 v[18:19], v12, v[3:4]
	v_sub_nc_u32_e32 v12, 29, v1
	v_and_b32_e32 v1, 7, v18
; %bb.1981:                             ;   in Loop: Header=BB285_1571 Depth=1
	s_or_b32 exec_lo, exec_lo, s21
	v_lshlrev_b32_sdwa v3, v83, v3 dst_sel:DWORD dst_unused:UNUSED_PAD src0_sel:DWORD src1_sel:WORD_0
	v_lshl_add_u32 v12, v12, 10, 0x2000
	v_lshlrev_b32_e32 v1, 23, v1
	v_and_or_b32 v3, 0x8000, v3, v12
	v_lshl_or_b32 v1, v3, 16, v1
.LBB285_1982:                           ;   in Loop: Header=BB285_1571 Depth=1
	s_or_b32 exec_lo, exec_lo, s20
.LBB285_1983:                           ;   in Loop: Header=BB285_1571 Depth=1
	s_or_b32 exec_lo, exec_lo, s19
.LBB285_1984:                           ;   in Loop: Header=BB285_1571 Depth=1
	s_or_b32 exec_lo, exec_lo, s18
	v_lshrrev_b32_e32 v3, 16, v10
	v_mov_b32_e32 v12, 0
	v_mov_b32_e32 v13, 0
	v_cmp_ne_u16_sdwa s4, v3, v4 src0_sel:BYTE_0 src1_sel:DWORD
	s_and_saveexec_b32 s18, s4
	s_cbranch_execz .LBB285_1992
; %bb.1985:                             ;   in Loop: Header=BB285_1571 Depth=1
	v_cmp_ne_u16_sdwa s4, v3, v80 src0_sel:BYTE_0 src1_sel:DWORD
	v_mov_b32_e32 v13, 0x8000
	s_and_saveexec_b32 s19, s4
	s_cbranch_execz .LBB285_1991
; %bb.1986:                             ;   in Loop: Header=BB285_1571 Depth=1
	v_bfe_u32 v19, v10, 16, 7
	v_mov_b32_e32 v13, 0x7c01
	s_mov_b32 s20, exec_lo
	v_cmpx_ne_u32_e32 0x7f, v19
	s_cbranch_execz .LBB285_1990
; %bb.1987:                             ;   in Loop: Header=BB285_1571 Depth=1
	v_and_b32_e32 v13, 7, v3
	v_lshrrev_b32_e32 v18, 3, v19
	s_mov_b32 s21, exec_lo
	v_cmpx_gt_u32_e32 8, v19
; %bb.1988:                             ;   in Loop: Header=BB285_1571 Depth=1
	v_ffbh_u32_e32 v13, v13
	v_min_u32_e32 v13, 32, v13
	v_subrev_nc_u32_e32 v18, 28, v13
	v_lshlrev_b64 v[22:23], v18, v[3:4]
	v_sub_nc_u32_e32 v18, 29, v13
	v_and_b32_e32 v13, 7, v22
; %bb.1989:                             ;   in Loop: Header=BB285_1571 Depth=1
	s_or_b32 exec_lo, exec_lo, s21
	v_lshlrev_b32_e32 v3, 8, v3
	v_lshl_add_u32 v18, v18, 10, 0x2000
	v_lshlrev_b32_e32 v13, 7, v13
	v_and_b32_e32 v3, 0x8000, v3
	v_and_b32_e32 v18, 0xfc00, v18
	v_or3_b32 v13, v3, v18, v13
.LBB285_1990:                           ;   in Loop: Header=BB285_1571 Depth=1
	s_or_b32 exec_lo, exec_lo, s20
.LBB285_1991:                           ;   in Loop: Header=BB285_1571 Depth=1
	s_or_b32 exec_lo, exec_lo, s19
.LBB285_1992:                           ;   in Loop: Header=BB285_1571 Depth=1
	s_or_b32 exec_lo, exec_lo, s18
	s_mov_b32 s18, exec_lo
	v_cmpx_lt_u32_e32 0xffffff, v10
	s_cbranch_execz .LBB285_2000
; %bb.1993:                             ;   in Loop: Header=BB285_1571 Depth=1
	v_lshrrev_b32_e32 v3, 24, v10
	v_bfrev_b32_e32 v12, 1
	s_mov_b32 s19, exec_lo
	v_cmpx_ne_u32_e32 0x80, v3
	s_cbranch_execz .LBB285_1999
; %bb.1994:                             ;   in Loop: Header=BB285_1571 Depth=1
	v_and_b32_e32 v19, 0x7f, v3
	v_mov_b32_e32 v12, 0x7c010000
	s_mov_b32 s20, exec_lo
	v_cmpx_ne_u32_e32 0x7f, v19
	s_cbranch_execz .LBB285_1998
; %bb.1995:                             ;   in Loop: Header=BB285_1571 Depth=1
	v_and_b32_e32 v12, 7, v3
	v_lshrrev_b32_e32 v18, 3, v19
	s_mov_b32 s21, exec_lo
	v_cmpx_gt_u32_e32 8, v19
; %bb.1996:                             ;   in Loop: Header=BB285_1571 Depth=1
	v_ffbh_u32_e32 v12, v12
	v_min_u32_e32 v12, 32, v12
	v_subrev_nc_u32_e32 v18, 28, v12
	v_lshlrev_b64 v[22:23], v18, v[3:4]
	v_sub_nc_u32_e32 v18, 29, v12
	v_and_b32_e32 v12, 7, v22
; %bb.1997:                             ;   in Loop: Header=BB285_1571 Depth=1
	s_or_b32 exec_lo, exec_lo, s21
	v_lshlrev_b32_e32 v3, 8, v3
	v_lshl_add_u32 v18, v18, 10, 0x2000
	v_lshlrev_b32_e32 v12, 23, v12
	v_and_or_b32 v3, 0x8000, v3, v18
	v_lshl_or_b32 v12, v3, 16, v12
.LBB285_1998:                           ;   in Loop: Header=BB285_1571 Depth=1
	s_or_b32 exec_lo, exec_lo, s20
.LBB285_1999:                           ;   in Loop: Header=BB285_1571 Depth=1
	s_or_b32 exec_lo, exec_lo, s19
.LBB285_2000:                           ;   in Loop: Header=BB285_1571 Depth=1
	s_or_b32 exec_lo, exec_lo, s18
	v_mov_b32_e32 v3, v11
	v_cmp_ne_u16_sdwa s4, v11, v4 src0_sel:BYTE_0 src1_sel:DWORD
	v_mov_b32_e32 v18, 0
	v_mov_b32_e32 v19, 0
	s_and_saveexec_b32 s18, s4
	s_cbranch_execz .LBB285_2008
; %bb.2001:                             ;   in Loop: Header=BB285_1571 Depth=1
	v_cmp_ne_u16_sdwa s4, v11, v80 src0_sel:BYTE_0 src1_sel:DWORD
	v_mov_b32_e32 v19, 0x8000
	s_and_saveexec_b32 s19, s4
	s_cbranch_execz .LBB285_2007
; %bb.2002:                             ;   in Loop: Header=BB285_1571 Depth=1
	v_and_b32_e32 v33, 0x7f, v11
	v_mov_b32_e32 v19, 0x7c01
	s_mov_b32 s20, exec_lo
	v_cmpx_ne_u32_e32 0x7f, v33
	s_cbranch_execz .LBB285_2006
; %bb.2003:                             ;   in Loop: Header=BB285_1571 Depth=1
	v_and_b32_e32 v19, 7, v11
	v_lshrrev_b32_e32 v31, 3, v33
	s_mov_b32 s21, exec_lo
	v_cmpx_gt_u32_e32 8, v33
; %bb.2004:                             ;   in Loop: Header=BB285_1571 Depth=1
	v_ffbh_u32_e32 v19, v19
	v_min_u32_e32 v19, 32, v19
	v_subrev_nc_u32_e32 v22, 28, v19
	v_sub_nc_u32_e32 v31, 29, v19
	v_lshlrev_b64 v[22:23], v22, v[3:4]
	v_and_b32_e32 v19, 7, v22
; %bb.2005:                             ;   in Loop: Header=BB285_1571 Depth=1
	s_or_b32 exec_lo, exec_lo, s21
	v_lshlrev_b32_e32 v22, 8, v11
	v_lshl_add_u32 v23, v31, 10, 0x2000
	v_lshlrev_b32_e32 v19, 7, v19
	v_and_b32_e32 v22, 0x8000, v22
	v_and_b32_e32 v23, 0xfc00, v23
	v_or3_b32 v19, v22, v23, v19
.LBB285_2006:                           ;   in Loop: Header=BB285_1571 Depth=1
	s_or_b32 exec_lo, exec_lo, s20
.LBB285_2007:                           ;   in Loop: Header=BB285_1571 Depth=1
	s_or_b32 exec_lo, exec_lo, s19
.LBB285_2008:                           ;   in Loop: Header=BB285_1571 Depth=1
	s_or_b32 exec_lo, exec_lo, s18
	v_lshrrev_b16 v3, 8, v3
	v_mov_b32_e32 v31, 0
	s_mov_b32 s18, exec_lo
	v_cmpx_ne_u16_e32 0, v3
	s_cbranch_execz .LBB285_2016
; %bb.2009:                             ;   in Loop: Header=BB285_1571 Depth=1
	v_bfrev_b32_e32 v31, 1
	s_mov_b32 s19, exec_lo
	v_cmpx_ne_u16_e32 0x80, v3
	s_cbranch_execz .LBB285_2015
; %bb.2010:                             ;   in Loop: Header=BB285_1571 Depth=1
	v_and_b32_sdwa v34, v3, v81 dst_sel:DWORD dst_unused:UNUSED_PAD src0_sel:WORD_0 src1_sel:DWORD
	v_mov_b32_e32 v31, 0x7c010000
	s_mov_b32 s20, exec_lo
	v_cmpx_ne_u32_e32 0x7f, v34
	s_cbranch_execz .LBB285_2014
; %bb.2011:                             ;   in Loop: Header=BB285_1571 Depth=1
	v_and_b32_sdwa v31, v3, v82 dst_sel:DWORD dst_unused:UNUSED_PAD src0_sel:WORD_0 src1_sel:DWORD
	v_lshrrev_b32_e32 v33, 3, v34
	s_mov_b32 s21, exec_lo
	v_cmpx_gt_u32_e32 8, v34
; %bb.2012:                             ;   in Loop: Header=BB285_1571 Depth=1
	v_ffbh_u32_e32 v22, v31
	v_min_u32_e32 v31, 32, v22
	v_subrev_nc_u32_e32 v22, 28, v31
	v_sub_nc_u32_e32 v33, 29, v31
	v_lshlrev_b64 v[22:23], v22, v[3:4]
	v_and_b32_e32 v31, 7, v22
; %bb.2013:                             ;   in Loop: Header=BB285_1571 Depth=1
	s_or_b32 exec_lo, exec_lo, s21
	v_lshlrev_b32_sdwa v3, v83, v3 dst_sel:DWORD dst_unused:UNUSED_PAD src0_sel:DWORD src1_sel:WORD_0
	v_lshl_add_u32 v22, v33, 10, 0x2000
	v_and_or_b32 v3, 0x8000, v3, v22
	v_lshlrev_b32_e32 v22, 23, v31
	v_lshl_or_b32 v31, v3, 16, v22
.LBB285_2014:                           ;   in Loop: Header=BB285_1571 Depth=1
	s_or_b32 exec_lo, exec_lo, s20
.LBB285_2015:                           ;   in Loop: Header=BB285_1571 Depth=1
	s_or_b32 exec_lo, exec_lo, s19
.LBB285_2016:                           ;   in Loop: Header=BB285_1571 Depth=1
	s_or_b32 exec_lo, exec_lo, s18
	v_lshrrev_b32_e32 v3, 16, v11
	v_cmp_ne_u16_sdwa s4, v3, v4 src0_sel:BYTE_0 src1_sel:DWORD
	s_and_saveexec_b32 s18, s4
	s_cbranch_execz .LBB285_2024
; %bb.2017:                             ;   in Loop: Header=BB285_1571 Depth=1
	v_cmp_ne_u16_sdwa s4, v3, v80 src0_sel:BYTE_0 src1_sel:DWORD
	v_mov_b32_e32 v18, 0x8000
	s_and_saveexec_b32 s19, s4
	s_cbranch_execz .LBB285_2023
; %bb.2018:                             ;   in Loop: Header=BB285_1571 Depth=1
	v_bfe_u32 v34, v11, 16, 7
	v_mov_b32_e32 v18, 0x7c01
	s_mov_b32 s20, exec_lo
	v_cmpx_ne_u32_e32 0x7f, v34
	s_cbranch_execz .LBB285_2022
; %bb.2019:                             ;   in Loop: Header=BB285_1571 Depth=1
	v_and_b32_e32 v18, 7, v3
	v_lshrrev_b32_e32 v33, 3, v34
	s_mov_b32 s21, exec_lo
	v_cmpx_gt_u32_e32 8, v34
; %bb.2020:                             ;   in Loop: Header=BB285_1571 Depth=1
	v_ffbh_u32_e32 v18, v18
	v_min_u32_e32 v18, 32, v18
	v_subrev_nc_u32_e32 v22, 28, v18
	v_sub_nc_u32_e32 v33, 29, v18
	v_lshlrev_b64 v[22:23], v22, v[3:4]
	v_and_b32_e32 v18, 7, v22
; %bb.2021:                             ;   in Loop: Header=BB285_1571 Depth=1
	s_or_b32 exec_lo, exec_lo, s21
	v_lshlrev_b32_e32 v3, 8, v3
	v_lshl_add_u32 v22, v33, 10, 0x2000
	v_lshlrev_b32_e32 v18, 7, v18
	v_and_b32_e32 v3, 0x8000, v3
	v_and_b32_e32 v22, 0xfc00, v22
	v_or3_b32 v18, v3, v22, v18
.LBB285_2022:                           ;   in Loop: Header=BB285_1571 Depth=1
	s_or_b32 exec_lo, exec_lo, s20
.LBB285_2023:                           ;   in Loop: Header=BB285_1571 Depth=1
	s_or_b32 exec_lo, exec_lo, s19
.LBB285_2024:                           ;   in Loop: Header=BB285_1571 Depth=1
	s_or_b32 exec_lo, exec_lo, s18
	v_cmp_lt_u64_e64 s4, s[6:7], v[10:11]
	v_mov_b32_e32 v10, 0
	s_and_saveexec_b32 s18, s4
	s_cbranch_execz .LBB285_2032
; %bb.2025:                             ;   in Loop: Header=BB285_1571 Depth=1
	v_lshrrev_b32_e32 v3, 24, v11
	v_bfrev_b32_e32 v10, 1
	s_mov_b32 s19, exec_lo
	v_cmpx_ne_u32_e32 0x80, v3
	s_cbranch_execz .LBB285_2031
; %bb.2026:                             ;   in Loop: Header=BB285_1571 Depth=1
	v_and_b32_e32 v33, 0x7f, v3
	v_mov_b32_e32 v10, 0x7c010000
	s_mov_b32 s20, exec_lo
	v_cmpx_ne_u32_e32 0x7f, v33
	s_cbranch_execz .LBB285_2030
; %bb.2027:                             ;   in Loop: Header=BB285_1571 Depth=1
	v_and_b32_e32 v10, 7, v3
	v_lshrrev_b32_e32 v11, 3, v33
	s_mov_b32 s21, exec_lo
	v_cmpx_gt_u32_e32 8, v33
; %bb.2028:                             ;   in Loop: Header=BB285_1571 Depth=1
	v_ffbh_u32_e32 v10, v10
	v_min_u32_e32 v22, 32, v10
	v_subrev_nc_u32_e32 v10, 28, v22
	v_lshlrev_b64 v[10:11], v10, v[3:4]
	v_sub_nc_u32_e32 v11, 29, v22
	v_and_b32_e32 v10, 7, v10
; %bb.2029:                             ;   in Loop: Header=BB285_1571 Depth=1
	s_or_b32 exec_lo, exec_lo, s21
	v_lshlrev_b32_e32 v3, 8, v3
	v_lshl_add_u32 v11, v11, 10, 0x2000
	v_lshlrev_b32_e32 v10, 23, v10
	v_and_or_b32 v3, 0x8000, v3, v11
	v_lshl_or_b32 v10, v3, 16, v10
.LBB285_2030:                           ;   in Loop: Header=BB285_1571 Depth=1
	s_or_b32 exec_lo, exec_lo, s20
.LBB285_2031:                           ;   in Loop: Header=BB285_1571 Depth=1
	s_or_b32 exec_lo, exec_lo, s19
.LBB285_2032:                           ;   in Loop: Header=BB285_1571 Depth=1
	s_or_b32 exec_lo, exec_lo, s18
	v_or_b32_e32 v3, v12, v13
	s_waitcnt vmcnt(0) lgkmcnt(0)
	v_fma_mixlo_f16 v11, v0, v12, 0 op_sel:[0,1,0] op_sel_hi:[0,1,0]
	v_or_b32_e32 v2, v1, v2
	v_fma_mixlo_f16 v12, v0, v1, 0 op_sel:[0,1,0] op_sel_hi:[0,1,0]
	v_or_b32_e32 v13, v31, v19
	v_fma_mixlo_f16 v3, v0, v3, 0 op_sel_hi:[0,1,0]
	v_or_b32_e32 v18, v10, v18
	v_lshlrev_b32_e32 v1, 16, v11
	v_lshlrev_b32_e32 v11, 16, v12
	v_fma_mixlo_f16 v12, v0, v2, 0 op_sel_hi:[0,1,0]
	v_and_b32_e32 v2, 0xffff, v3
	v_fma_mixlo_f16 v3, v0, v31, 0 op_sel:[0,1,0] op_sel_hi:[0,1,0]
	v_fma_mixlo_f16 v13, v0, v13, 0 op_sel_hi:[0,1,0]
	v_fma_mixlo_f16 v10, v0, v10, 0 op_sel:[0,1,0] op_sel_hi:[0,1,0]
	v_fma_mixlo_f16 v18, v0, v18, 0 op_sel_hi:[0,1,0]
	v_and_b32_e32 v33, 0xffff, v12
	v_lshlrev_b32_e32 v3, 16, v3
	v_and_b32_e32 v13, 0xffff, v13
	v_lshlrev_b32_e32 v0, 16, v10
	v_and_b32_e32 v10, 0xffff, v18
	v_or_b32_e32 v12, v1, v2
	v_or_b32_e32 v31, v11, v33
	;; [unrolled: 1-line block ×4, first 2 shown]
	s_and_saveexec_b32 s18, vcc_lo
	s_cbranch_execz .LBB285_2034
; %bb.2033:                             ;   in Loop: Header=BB285_1571 Depth=1
	v_cmp_lt_i32_e64 s4, v86, v32
	v_cndmask_b32_e64 v12, 0, v33, s4
	v_cmp_lt_i32_e64 s4, v115, v32
	v_cndmask_b32_e64 v11, 0, v11, s4
	v_cmp_lt_i32_e64 s4, v114, v32
	v_or_b32_e32 v31, v12, v11
	v_cndmask_b32_e64 v2, 0, v2, s4
	v_cmp_lt_i32_e64 s4, v113, v32
	v_cndmask_b32_e64 v1, 0, v1, s4
	v_cmp_lt_i32_e64 s4, v112, v32
	v_or_b32_e32 v12, v2, v1
	;; [unrolled: 5-line block ×3, first 2 shown]
	v_cndmask_b32_e64 v10, 0, v10, s4
	v_cmp_lt_i32_e64 s4, v101, v32
	v_cndmask_b32_e64 v0, 0, v0, s4
	v_or_b32_e32 v18, v10, v0
.LBB285_2034:                           ;   in Loop: Header=BB285_1571 Depth=1
	s_or_b32 exec_lo, exec_lo, s18
	;;#ASMSTART
	v_pk_mul_f16 v0, v100, v31;

	;;#ASMEND
	;;#ASMSTART
	v_pk_mul_f16 v1, v99, v12;

	;;#ASMEND
	;; [unrolled: 4-line block ×4, first 2 shown]
	;;#ASMSTART
	v_pk_add_f16 v0, v0, v1;

	;;#ASMEND
	;;#ASMSTART
	v_pk_add_f16 v0, v0, v2;

	;;#ASMEND
	;; [unrolled: 4-line block ×3, first 2 shown]
	v_and_b32_e32 v1, 0xffff, v0
	v_lshrrev_b32_e32 v0, 16, v0
	;;#ASMSTART
	v_cvt_f32_f16 v46, v1;
	;;#ASMEND
	;;#ASMSTART
	v_cvt_f32_f16 v45, v0;
	;;#ASMEND
	flat_load_dwordx2 v[10:11], v[8:9] offset:1792
	flat_load_dword v0, v[109:110]
	v_mov_b32_e32 v1, 0
	v_mov_b32_e32 v2, 0
	s_waitcnt vmcnt(1) lgkmcnt(1)
	v_cmp_ne_u16_sdwa s4, v10, v4 src0_sel:BYTE_0 src1_sel:DWORD
	s_and_saveexec_b32 s18, s4
	s_cbranch_execz .LBB285_2042
; %bb.2035:                             ;   in Loop: Header=BB285_1571 Depth=1
	v_cmp_ne_u16_sdwa s4, v10, v80 src0_sel:BYTE_0 src1_sel:DWORD
	v_mov_b32_e32 v2, 0x8000
	s_and_saveexec_b32 s19, s4
	s_cbranch_execz .LBB285_2041
; %bb.2036:                             ;   in Loop: Header=BB285_1571 Depth=1
	v_and_b32_e32 v12, 0x7f, v10
	v_mov_b32_e32 v2, 0x7c01
	s_mov_b32 s20, exec_lo
	v_cmpx_ne_u32_e32 0x7f, v12
	s_cbranch_execz .LBB285_2040
; %bb.2037:                             ;   in Loop: Header=BB285_1571 Depth=1
	v_and_b32_e32 v2, 7, v10
	v_lshrrev_b32_e32 v3, 3, v12
	s_mov_b32 s21, exec_lo
	v_cmpx_gt_u32_e32 8, v12
; %bb.2038:                             ;   in Loop: Header=BB285_1571 Depth=1
	v_ffbh_u32_e32 v2, v2
	v_min_u32_e32 v12, 32, v2
	v_subrev_nc_u32_e32 v2, 28, v12
	v_lshlrev_b64 v[2:3], v2, v[10:11]
	v_sub_nc_u32_e32 v3, 29, v12
	v_and_b32_e32 v2, 7, v2
; %bb.2039:                             ;   in Loop: Header=BB285_1571 Depth=1
	s_or_b32 exec_lo, exec_lo, s21
	v_lshlrev_b32_e32 v12, 8, v10
	v_lshl_add_u32 v3, v3, 10, 0x2000
	v_lshlrev_b32_e32 v2, 7, v2
	v_and_b32_e32 v12, 0x8000, v12
	v_and_b32_e32 v3, 0xfc00, v3
	v_or3_b32 v2, v12, v3, v2
.LBB285_2040:                           ;   in Loop: Header=BB285_1571 Depth=1
	s_or_b32 exec_lo, exec_lo, s20
.LBB285_2041:                           ;   in Loop: Header=BB285_1571 Depth=1
	s_or_b32 exec_lo, exec_lo, s19
.LBB285_2042:                           ;   in Loop: Header=BB285_1571 Depth=1
	s_or_b32 exec_lo, exec_lo, s18
	v_lshrrev_b16 v3, 8, v10
	s_mov_b32 s18, exec_lo
	v_cmpx_ne_u16_e32 0, v3
	s_cbranch_execz .LBB285_2050
; %bb.2043:                             ;   in Loop: Header=BB285_1571 Depth=1
	v_bfrev_b32_e32 v1, 1
	s_mov_b32 s19, exec_lo
	v_cmpx_ne_u16_e32 0x80, v3
	s_cbranch_execz .LBB285_2049
; %bb.2044:                             ;   in Loop: Header=BB285_1571 Depth=1
	v_and_b32_sdwa v13, v3, v81 dst_sel:DWORD dst_unused:UNUSED_PAD src0_sel:WORD_0 src1_sel:DWORD
	v_mov_b32_e32 v1, 0x7c010000
	s_mov_b32 s20, exec_lo
	v_cmpx_ne_u32_e32 0x7f, v13
	s_cbranch_execz .LBB285_2048
; %bb.2045:                             ;   in Loop: Header=BB285_1571 Depth=1
	v_and_b32_sdwa v1, v3, v82 dst_sel:DWORD dst_unused:UNUSED_PAD src0_sel:WORD_0 src1_sel:DWORD
	v_lshrrev_b32_e32 v12, 3, v13
	s_mov_b32 s21, exec_lo
	v_cmpx_gt_u32_e32 8, v13
; %bb.2046:                             ;   in Loop: Header=BB285_1571 Depth=1
	v_ffbh_u32_e32 v1, v1
	v_min_u32_e32 v1, 32, v1
	v_subrev_nc_u32_e32 v12, 28, v1
	v_lshlrev_b64 v[18:19], v12, v[3:4]
	v_sub_nc_u32_e32 v12, 29, v1
	v_and_b32_e32 v1, 7, v18
; %bb.2047:                             ;   in Loop: Header=BB285_1571 Depth=1
	s_or_b32 exec_lo, exec_lo, s21
	v_lshlrev_b32_sdwa v3, v83, v3 dst_sel:DWORD dst_unused:UNUSED_PAD src0_sel:DWORD src1_sel:WORD_0
	v_lshl_add_u32 v12, v12, 10, 0x2000
	v_lshlrev_b32_e32 v1, 23, v1
	v_and_or_b32 v3, 0x8000, v3, v12
	v_lshl_or_b32 v1, v3, 16, v1
.LBB285_2048:                           ;   in Loop: Header=BB285_1571 Depth=1
	s_or_b32 exec_lo, exec_lo, s20
.LBB285_2049:                           ;   in Loop: Header=BB285_1571 Depth=1
	s_or_b32 exec_lo, exec_lo, s19
.LBB285_2050:                           ;   in Loop: Header=BB285_1571 Depth=1
	s_or_b32 exec_lo, exec_lo, s18
	v_lshrrev_b32_e32 v3, 16, v10
	v_mov_b32_e32 v12, 0
	v_mov_b32_e32 v13, 0
	v_cmp_ne_u16_sdwa s4, v3, v4 src0_sel:BYTE_0 src1_sel:DWORD
	s_and_saveexec_b32 s18, s4
	s_cbranch_execz .LBB285_2058
; %bb.2051:                             ;   in Loop: Header=BB285_1571 Depth=1
	v_cmp_ne_u16_sdwa s4, v3, v80 src0_sel:BYTE_0 src1_sel:DWORD
	v_mov_b32_e32 v13, 0x8000
	s_and_saveexec_b32 s19, s4
	s_cbranch_execz .LBB285_2057
; %bb.2052:                             ;   in Loop: Header=BB285_1571 Depth=1
	v_bfe_u32 v19, v10, 16, 7
	v_mov_b32_e32 v13, 0x7c01
	s_mov_b32 s20, exec_lo
	v_cmpx_ne_u32_e32 0x7f, v19
	s_cbranch_execz .LBB285_2056
; %bb.2053:                             ;   in Loop: Header=BB285_1571 Depth=1
	v_and_b32_e32 v13, 7, v3
	v_lshrrev_b32_e32 v18, 3, v19
	s_mov_b32 s21, exec_lo
	v_cmpx_gt_u32_e32 8, v19
; %bb.2054:                             ;   in Loop: Header=BB285_1571 Depth=1
	v_ffbh_u32_e32 v13, v13
	v_min_u32_e32 v13, 32, v13
	v_subrev_nc_u32_e32 v18, 28, v13
	v_lshlrev_b64 v[22:23], v18, v[3:4]
	v_sub_nc_u32_e32 v18, 29, v13
	v_and_b32_e32 v13, 7, v22
; %bb.2055:                             ;   in Loop: Header=BB285_1571 Depth=1
	s_or_b32 exec_lo, exec_lo, s21
	v_lshlrev_b32_e32 v3, 8, v3
	v_lshl_add_u32 v18, v18, 10, 0x2000
	v_lshlrev_b32_e32 v13, 7, v13
	v_and_b32_e32 v3, 0x8000, v3
	v_and_b32_e32 v18, 0xfc00, v18
	v_or3_b32 v13, v3, v18, v13
.LBB285_2056:                           ;   in Loop: Header=BB285_1571 Depth=1
	s_or_b32 exec_lo, exec_lo, s20
.LBB285_2057:                           ;   in Loop: Header=BB285_1571 Depth=1
	s_or_b32 exec_lo, exec_lo, s19
.LBB285_2058:                           ;   in Loop: Header=BB285_1571 Depth=1
	s_or_b32 exec_lo, exec_lo, s18
	s_mov_b32 s18, exec_lo
	v_cmpx_lt_u32_e32 0xffffff, v10
	s_cbranch_execz .LBB285_2066
; %bb.2059:                             ;   in Loop: Header=BB285_1571 Depth=1
	v_lshrrev_b32_e32 v3, 24, v10
	v_bfrev_b32_e32 v12, 1
	s_mov_b32 s19, exec_lo
	v_cmpx_ne_u32_e32 0x80, v3
	s_cbranch_execz .LBB285_2065
; %bb.2060:                             ;   in Loop: Header=BB285_1571 Depth=1
	v_and_b32_e32 v19, 0x7f, v3
	v_mov_b32_e32 v12, 0x7c010000
	s_mov_b32 s20, exec_lo
	v_cmpx_ne_u32_e32 0x7f, v19
	s_cbranch_execz .LBB285_2064
; %bb.2061:                             ;   in Loop: Header=BB285_1571 Depth=1
	v_and_b32_e32 v12, 7, v3
	v_lshrrev_b32_e32 v18, 3, v19
	s_mov_b32 s21, exec_lo
	v_cmpx_gt_u32_e32 8, v19
; %bb.2062:                             ;   in Loop: Header=BB285_1571 Depth=1
	v_ffbh_u32_e32 v12, v12
	v_min_u32_e32 v12, 32, v12
	v_subrev_nc_u32_e32 v18, 28, v12
	v_lshlrev_b64 v[22:23], v18, v[3:4]
	v_sub_nc_u32_e32 v18, 29, v12
	v_and_b32_e32 v12, 7, v22
; %bb.2063:                             ;   in Loop: Header=BB285_1571 Depth=1
	s_or_b32 exec_lo, exec_lo, s21
	v_lshlrev_b32_e32 v3, 8, v3
	v_lshl_add_u32 v18, v18, 10, 0x2000
	v_lshlrev_b32_e32 v12, 23, v12
	v_and_or_b32 v3, 0x8000, v3, v18
	v_lshl_or_b32 v12, v3, 16, v12
.LBB285_2064:                           ;   in Loop: Header=BB285_1571 Depth=1
	s_or_b32 exec_lo, exec_lo, s20
.LBB285_2065:                           ;   in Loop: Header=BB285_1571 Depth=1
	s_or_b32 exec_lo, exec_lo, s19
.LBB285_2066:                           ;   in Loop: Header=BB285_1571 Depth=1
	s_or_b32 exec_lo, exec_lo, s18
	v_mov_b32_e32 v3, v11
	v_cmp_ne_u16_sdwa s4, v11, v4 src0_sel:BYTE_0 src1_sel:DWORD
	v_mov_b32_e32 v18, 0
	v_mov_b32_e32 v19, 0
	s_and_saveexec_b32 s18, s4
	s_cbranch_execz .LBB285_2074
; %bb.2067:                             ;   in Loop: Header=BB285_1571 Depth=1
	v_cmp_ne_u16_sdwa s4, v11, v80 src0_sel:BYTE_0 src1_sel:DWORD
	v_mov_b32_e32 v19, 0x8000
	s_and_saveexec_b32 s19, s4
	s_cbranch_execz .LBB285_2073
; %bb.2068:                             ;   in Loop: Header=BB285_1571 Depth=1
	v_and_b32_e32 v33, 0x7f, v11
	v_mov_b32_e32 v19, 0x7c01
	s_mov_b32 s20, exec_lo
	v_cmpx_ne_u32_e32 0x7f, v33
	s_cbranch_execz .LBB285_2072
; %bb.2069:                             ;   in Loop: Header=BB285_1571 Depth=1
	v_and_b32_e32 v19, 7, v11
	v_lshrrev_b32_e32 v31, 3, v33
	s_mov_b32 s21, exec_lo
	v_cmpx_gt_u32_e32 8, v33
; %bb.2070:                             ;   in Loop: Header=BB285_1571 Depth=1
	v_ffbh_u32_e32 v19, v19
	v_min_u32_e32 v19, 32, v19
	v_subrev_nc_u32_e32 v22, 28, v19
	v_sub_nc_u32_e32 v31, 29, v19
	v_lshlrev_b64 v[22:23], v22, v[3:4]
	v_and_b32_e32 v19, 7, v22
; %bb.2071:                             ;   in Loop: Header=BB285_1571 Depth=1
	s_or_b32 exec_lo, exec_lo, s21
	v_lshlrev_b32_e32 v22, 8, v11
	v_lshl_add_u32 v23, v31, 10, 0x2000
	v_lshlrev_b32_e32 v19, 7, v19
	v_and_b32_e32 v22, 0x8000, v22
	v_and_b32_e32 v23, 0xfc00, v23
	v_or3_b32 v19, v22, v23, v19
.LBB285_2072:                           ;   in Loop: Header=BB285_1571 Depth=1
	s_or_b32 exec_lo, exec_lo, s20
.LBB285_2073:                           ;   in Loop: Header=BB285_1571 Depth=1
	s_or_b32 exec_lo, exec_lo, s19
.LBB285_2074:                           ;   in Loop: Header=BB285_1571 Depth=1
	s_or_b32 exec_lo, exec_lo, s18
	v_lshrrev_b16 v3, 8, v3
	v_mov_b32_e32 v31, 0
	s_mov_b32 s18, exec_lo
	v_cmpx_ne_u16_e32 0, v3
	s_cbranch_execz .LBB285_2082
; %bb.2075:                             ;   in Loop: Header=BB285_1571 Depth=1
	v_bfrev_b32_e32 v31, 1
	s_mov_b32 s19, exec_lo
	v_cmpx_ne_u16_e32 0x80, v3
	s_cbranch_execz .LBB285_2081
; %bb.2076:                             ;   in Loop: Header=BB285_1571 Depth=1
	v_and_b32_sdwa v34, v3, v81 dst_sel:DWORD dst_unused:UNUSED_PAD src0_sel:WORD_0 src1_sel:DWORD
	v_mov_b32_e32 v31, 0x7c010000
	s_mov_b32 s20, exec_lo
	v_cmpx_ne_u32_e32 0x7f, v34
	s_cbranch_execz .LBB285_2080
; %bb.2077:                             ;   in Loop: Header=BB285_1571 Depth=1
	v_and_b32_sdwa v31, v3, v82 dst_sel:DWORD dst_unused:UNUSED_PAD src0_sel:WORD_0 src1_sel:DWORD
	v_lshrrev_b32_e32 v33, 3, v34
	s_mov_b32 s21, exec_lo
	v_cmpx_gt_u32_e32 8, v34
; %bb.2078:                             ;   in Loop: Header=BB285_1571 Depth=1
	v_ffbh_u32_e32 v22, v31
	v_min_u32_e32 v31, 32, v22
	v_subrev_nc_u32_e32 v22, 28, v31
	v_sub_nc_u32_e32 v33, 29, v31
	v_lshlrev_b64 v[22:23], v22, v[3:4]
	v_and_b32_e32 v31, 7, v22
; %bb.2079:                             ;   in Loop: Header=BB285_1571 Depth=1
	s_or_b32 exec_lo, exec_lo, s21
	v_lshlrev_b32_sdwa v3, v83, v3 dst_sel:DWORD dst_unused:UNUSED_PAD src0_sel:DWORD src1_sel:WORD_0
	v_lshl_add_u32 v22, v33, 10, 0x2000
	v_and_or_b32 v3, 0x8000, v3, v22
	v_lshlrev_b32_e32 v22, 23, v31
	v_lshl_or_b32 v31, v3, 16, v22
.LBB285_2080:                           ;   in Loop: Header=BB285_1571 Depth=1
	s_or_b32 exec_lo, exec_lo, s20
.LBB285_2081:                           ;   in Loop: Header=BB285_1571 Depth=1
	s_or_b32 exec_lo, exec_lo, s19
.LBB285_2082:                           ;   in Loop: Header=BB285_1571 Depth=1
	s_or_b32 exec_lo, exec_lo, s18
	v_lshrrev_b32_e32 v3, 16, v11
	v_cmp_ne_u16_sdwa s4, v3, v4 src0_sel:BYTE_0 src1_sel:DWORD
	s_and_saveexec_b32 s18, s4
	s_cbranch_execz .LBB285_2090
; %bb.2083:                             ;   in Loop: Header=BB285_1571 Depth=1
	v_cmp_ne_u16_sdwa s4, v3, v80 src0_sel:BYTE_0 src1_sel:DWORD
	v_mov_b32_e32 v18, 0x8000
	s_and_saveexec_b32 s19, s4
	s_cbranch_execz .LBB285_2089
; %bb.2084:                             ;   in Loop: Header=BB285_1571 Depth=1
	v_bfe_u32 v34, v11, 16, 7
	v_mov_b32_e32 v18, 0x7c01
	s_mov_b32 s20, exec_lo
	v_cmpx_ne_u32_e32 0x7f, v34
	s_cbranch_execz .LBB285_2088
; %bb.2085:                             ;   in Loop: Header=BB285_1571 Depth=1
	v_and_b32_e32 v18, 7, v3
	v_lshrrev_b32_e32 v33, 3, v34
	s_mov_b32 s21, exec_lo
	v_cmpx_gt_u32_e32 8, v34
; %bb.2086:                             ;   in Loop: Header=BB285_1571 Depth=1
	v_ffbh_u32_e32 v18, v18
	v_min_u32_e32 v18, 32, v18
	v_subrev_nc_u32_e32 v22, 28, v18
	v_sub_nc_u32_e32 v33, 29, v18
	v_lshlrev_b64 v[22:23], v22, v[3:4]
	v_and_b32_e32 v18, 7, v22
; %bb.2087:                             ;   in Loop: Header=BB285_1571 Depth=1
	s_or_b32 exec_lo, exec_lo, s21
	v_lshlrev_b32_e32 v3, 8, v3
	v_lshl_add_u32 v22, v33, 10, 0x2000
	v_lshlrev_b32_e32 v18, 7, v18
	v_and_b32_e32 v3, 0x8000, v3
	v_and_b32_e32 v22, 0xfc00, v22
	v_or3_b32 v18, v3, v22, v18
.LBB285_2088:                           ;   in Loop: Header=BB285_1571 Depth=1
	s_or_b32 exec_lo, exec_lo, s20
.LBB285_2089:                           ;   in Loop: Header=BB285_1571 Depth=1
	s_or_b32 exec_lo, exec_lo, s19
.LBB285_2090:                           ;   in Loop: Header=BB285_1571 Depth=1
	s_or_b32 exec_lo, exec_lo, s18
	v_cmp_lt_u64_e64 s4, s[6:7], v[10:11]
	v_mov_b32_e32 v10, 0
	s_and_saveexec_b32 s18, s4
	s_cbranch_execz .LBB285_2098
; %bb.2091:                             ;   in Loop: Header=BB285_1571 Depth=1
	v_lshrrev_b32_e32 v3, 24, v11
	v_bfrev_b32_e32 v10, 1
	s_mov_b32 s19, exec_lo
	v_cmpx_ne_u32_e32 0x80, v3
	s_cbranch_execz .LBB285_2097
; %bb.2092:                             ;   in Loop: Header=BB285_1571 Depth=1
	v_and_b32_e32 v33, 0x7f, v3
	v_mov_b32_e32 v10, 0x7c010000
	s_mov_b32 s20, exec_lo
	v_cmpx_ne_u32_e32 0x7f, v33
	s_cbranch_execz .LBB285_2096
; %bb.2093:                             ;   in Loop: Header=BB285_1571 Depth=1
	v_and_b32_e32 v10, 7, v3
	v_lshrrev_b32_e32 v11, 3, v33
	s_mov_b32 s21, exec_lo
	v_cmpx_gt_u32_e32 8, v33
; %bb.2094:                             ;   in Loop: Header=BB285_1571 Depth=1
	v_ffbh_u32_e32 v10, v10
	v_min_u32_e32 v22, 32, v10
	v_subrev_nc_u32_e32 v10, 28, v22
	v_lshlrev_b64 v[10:11], v10, v[3:4]
	v_sub_nc_u32_e32 v11, 29, v22
	v_and_b32_e32 v10, 7, v10
; %bb.2095:                             ;   in Loop: Header=BB285_1571 Depth=1
	s_or_b32 exec_lo, exec_lo, s21
	v_lshlrev_b32_e32 v3, 8, v3
	v_lshl_add_u32 v11, v11, 10, 0x2000
	v_lshlrev_b32_e32 v10, 23, v10
	v_and_or_b32 v3, 0x8000, v3, v11
	v_lshl_or_b32 v10, v3, 16, v10
.LBB285_2096:                           ;   in Loop: Header=BB285_1571 Depth=1
	s_or_b32 exec_lo, exec_lo, s20
.LBB285_2097:                           ;   in Loop: Header=BB285_1571 Depth=1
	s_or_b32 exec_lo, exec_lo, s19
.LBB285_2098:                           ;   in Loop: Header=BB285_1571 Depth=1
	s_or_b32 exec_lo, exec_lo, s18
	v_or_b32_e32 v3, v12, v13
	s_waitcnt vmcnt(0) lgkmcnt(0)
	v_fma_mixlo_f16 v11, v0, v12, 0 op_sel:[0,1,0] op_sel_hi:[0,1,0]
	v_or_b32_e32 v2, v1, v2
	v_fma_mixlo_f16 v12, v0, v1, 0 op_sel:[0,1,0] op_sel_hi:[0,1,0]
	v_or_b32_e32 v13, v31, v19
	v_fma_mixlo_f16 v3, v0, v3, 0 op_sel_hi:[0,1,0]
	v_or_b32_e32 v18, v10, v18
	v_lshlrev_b32_e32 v1, 16, v11
	v_lshlrev_b32_e32 v11, 16, v12
	v_fma_mixlo_f16 v12, v0, v2, 0 op_sel_hi:[0,1,0]
	v_and_b32_e32 v2, 0xffff, v3
	v_fma_mixlo_f16 v3, v0, v31, 0 op_sel:[0,1,0] op_sel_hi:[0,1,0]
	v_fma_mixlo_f16 v13, v0, v13, 0 op_sel_hi:[0,1,0]
	v_fma_mixlo_f16 v10, v0, v10, 0 op_sel:[0,1,0] op_sel_hi:[0,1,0]
	v_fma_mixlo_f16 v18, v0, v18, 0 op_sel_hi:[0,1,0]
	v_and_b32_e32 v33, 0xffff, v12
	v_lshlrev_b32_e32 v3, 16, v3
	v_and_b32_e32 v13, 0xffff, v13
	v_lshlrev_b32_e32 v0, 16, v10
	v_and_b32_e32 v10, 0xffff, v18
	v_or_b32_e32 v12, v1, v2
	v_or_b32_e32 v31, v11, v33
	;; [unrolled: 1-line block ×4, first 2 shown]
	s_and_saveexec_b32 s18, vcc_lo
	s_cbranch_execz .LBB285_2100
; %bb.2099:                             ;   in Loop: Header=BB285_1571 Depth=1
	v_cmp_lt_i32_e64 s4, v86, v32
	v_cndmask_b32_e64 v12, 0, v33, s4
	v_cmp_lt_i32_e64 s4, v115, v32
	v_cndmask_b32_e64 v11, 0, v11, s4
	v_cmp_lt_i32_e64 s4, v114, v32
	v_or_b32_e32 v31, v12, v11
	v_cndmask_b32_e64 v2, 0, v2, s4
	v_cmp_lt_i32_e64 s4, v113, v32
	v_cndmask_b32_e64 v1, 0, v1, s4
	v_cmp_lt_i32_e64 s4, v112, v32
	v_or_b32_e32 v12, v2, v1
	v_cndmask_b32_e64 v13, 0, v13, s4
	v_cmp_lt_i32_e64 s4, v103, v32
	v_cndmask_b32_e64 v3, 0, v3, s4
	v_cmp_lt_i32_e64 s4, v102, v32
	v_or_b32_e32 v19, v13, v3
	v_cndmask_b32_e64 v10, 0, v10, s4
	v_cmp_lt_i32_e64 s4, v101, v32
	v_cndmask_b32_e64 v0, 0, v0, s4
	v_or_b32_e32 v18, v10, v0
.LBB285_2100:                           ;   in Loop: Header=BB285_1571 Depth=1
	s_or_b32 exec_lo, exec_lo, s18
	v_add_co_u32 v10, s4, 0x800, v8
	;;#ASMSTART
	v_pk_mul_f16 v0, v100, v31;

	;;#ASMEND
	v_add_co_ci_u32_e64 v11, null, 0, v9, s4
	;;#ASMSTART
	v_pk_mul_f16 v1, v99, v12;

	;;#ASMEND
	;;#ASMSTART
	v_pk_mul_f16 v2, v98, v19;

	;;#ASMEND
	;; [unrolled: 4-line block ×3, first 2 shown]
	;;#ASMSTART
	v_pk_add_f16 v0, v0, v1;

	;;#ASMEND
	;;#ASMSTART
	v_pk_add_f16 v0, v0, v2;

	;;#ASMEND
	;; [unrolled: 4-line block ×3, first 2 shown]
	v_lshrrev_b32_e32 v1, 16, v0
	v_and_b32_e32 v0, 0xffff, v0
	;;#ASMSTART
	v_cvt_f32_f16 v56, v0;
	;;#ASMEND
	;;#ASMSTART
	v_cvt_f32_f16 v57, v1;
	;;#ASMEND
	flat_load_dwordx2 v[12:13], v[10:11]
	flat_load_dword v0, v[109:110]
	v_mov_b32_e32 v1, 0
	v_mov_b32_e32 v2, 0
	s_waitcnt vmcnt(1) lgkmcnt(1)
	v_cmp_ne_u16_sdwa s4, v12, v4 src0_sel:BYTE_0 src1_sel:DWORD
	s_and_saveexec_b32 s18, s4
	s_cbranch_execz .LBB285_2108
; %bb.2101:                             ;   in Loop: Header=BB285_1571 Depth=1
	v_cmp_ne_u16_sdwa s4, v12, v80 src0_sel:BYTE_0 src1_sel:DWORD
	v_mov_b32_e32 v2, 0x8000
	s_and_saveexec_b32 s19, s4
	s_cbranch_execz .LBB285_2107
; %bb.2102:                             ;   in Loop: Header=BB285_1571 Depth=1
	v_and_b32_e32 v18, 0x7f, v12
	v_mov_b32_e32 v2, 0x7c01
	s_mov_b32 s20, exec_lo
	v_cmpx_ne_u32_e32 0x7f, v18
	s_cbranch_execz .LBB285_2106
; %bb.2103:                             ;   in Loop: Header=BB285_1571 Depth=1
	v_and_b32_e32 v2, 7, v12
	v_lshrrev_b32_e32 v3, 3, v18
	s_mov_b32 s21, exec_lo
	v_cmpx_gt_u32_e32 8, v18
; %bb.2104:                             ;   in Loop: Header=BB285_1571 Depth=1
	v_ffbh_u32_e32 v2, v2
	v_min_u32_e32 v18, 32, v2
	v_subrev_nc_u32_e32 v2, 28, v18
	v_lshlrev_b64 v[2:3], v2, v[12:13]
	v_sub_nc_u32_e32 v3, 29, v18
	v_and_b32_e32 v2, 7, v2
; %bb.2105:                             ;   in Loop: Header=BB285_1571 Depth=1
	s_or_b32 exec_lo, exec_lo, s21
	v_lshlrev_b32_e32 v18, 8, v12
	v_lshl_add_u32 v3, v3, 10, 0x2000
	v_lshlrev_b32_e32 v2, 7, v2
	v_and_b32_e32 v18, 0x8000, v18
	v_and_b32_e32 v3, 0xfc00, v3
	v_or3_b32 v2, v18, v3, v2
.LBB285_2106:                           ;   in Loop: Header=BB285_1571 Depth=1
	s_or_b32 exec_lo, exec_lo, s20
.LBB285_2107:                           ;   in Loop: Header=BB285_1571 Depth=1
	s_or_b32 exec_lo, exec_lo, s19
.LBB285_2108:                           ;   in Loop: Header=BB285_1571 Depth=1
	s_or_b32 exec_lo, exec_lo, s18
	v_lshrrev_b16 v3, 8, v12
	s_mov_b32 s18, exec_lo
	v_cmpx_ne_u16_e32 0, v3
	s_cbranch_execz .LBB285_2116
; %bb.2109:                             ;   in Loop: Header=BB285_1571 Depth=1
	v_bfrev_b32_e32 v1, 1
	s_mov_b32 s19, exec_lo
	v_cmpx_ne_u16_e32 0x80, v3
	s_cbranch_execz .LBB285_2115
; %bb.2110:                             ;   in Loop: Header=BB285_1571 Depth=1
	v_and_b32_sdwa v19, v3, v81 dst_sel:DWORD dst_unused:UNUSED_PAD src0_sel:WORD_0 src1_sel:DWORD
	v_mov_b32_e32 v1, 0x7c010000
	s_mov_b32 s20, exec_lo
	v_cmpx_ne_u32_e32 0x7f, v19
	s_cbranch_execz .LBB285_2114
; %bb.2111:                             ;   in Loop: Header=BB285_1571 Depth=1
	v_and_b32_sdwa v1, v3, v82 dst_sel:DWORD dst_unused:UNUSED_PAD src0_sel:WORD_0 src1_sel:DWORD
	v_lshrrev_b32_e32 v18, 3, v19
	s_mov_b32 s21, exec_lo
	v_cmpx_gt_u32_e32 8, v19
; %bb.2112:                             ;   in Loop: Header=BB285_1571 Depth=1
	v_ffbh_u32_e32 v1, v1
	v_min_u32_e32 v1, 32, v1
	v_subrev_nc_u32_e32 v18, 28, v1
	v_lshlrev_b64 v[22:23], v18, v[3:4]
	v_sub_nc_u32_e32 v18, 29, v1
	v_and_b32_e32 v1, 7, v22
; %bb.2113:                             ;   in Loop: Header=BB285_1571 Depth=1
	s_or_b32 exec_lo, exec_lo, s21
	v_lshlrev_b32_sdwa v3, v83, v3 dst_sel:DWORD dst_unused:UNUSED_PAD src0_sel:DWORD src1_sel:WORD_0
	v_lshl_add_u32 v18, v18, 10, 0x2000
	v_lshlrev_b32_e32 v1, 23, v1
	v_and_or_b32 v3, 0x8000, v3, v18
	v_lshl_or_b32 v1, v3, 16, v1
.LBB285_2114:                           ;   in Loop: Header=BB285_1571 Depth=1
	s_or_b32 exec_lo, exec_lo, s20
.LBB285_2115:                           ;   in Loop: Header=BB285_1571 Depth=1
	s_or_b32 exec_lo, exec_lo, s19
.LBB285_2116:                           ;   in Loop: Header=BB285_1571 Depth=1
	s_or_b32 exec_lo, exec_lo, s18
	v_lshrrev_b32_e32 v3, 16, v12
	v_mov_b32_e32 v18, 0
	v_mov_b32_e32 v19, 0
	v_cmp_ne_u16_sdwa s4, v3, v4 src0_sel:BYTE_0 src1_sel:DWORD
	s_and_saveexec_b32 s18, s4
	s_cbranch_execz .LBB285_2124
; %bb.2117:                             ;   in Loop: Header=BB285_1571 Depth=1
	v_cmp_ne_u16_sdwa s4, v3, v80 src0_sel:BYTE_0 src1_sel:DWORD
	v_mov_b32_e32 v19, 0x8000
	s_and_saveexec_b32 s19, s4
	s_cbranch_execz .LBB285_2123
; %bb.2118:                             ;   in Loop: Header=BB285_1571 Depth=1
	v_bfe_u32 v33, v12, 16, 7
	v_mov_b32_e32 v19, 0x7c01
	s_mov_b32 s20, exec_lo
	v_cmpx_ne_u32_e32 0x7f, v33
	s_cbranch_execz .LBB285_2122
; %bb.2119:                             ;   in Loop: Header=BB285_1571 Depth=1
	v_and_b32_e32 v19, 7, v3
	v_lshrrev_b32_e32 v31, 3, v33
	s_mov_b32 s21, exec_lo
	v_cmpx_gt_u32_e32 8, v33
; %bb.2120:                             ;   in Loop: Header=BB285_1571 Depth=1
	v_ffbh_u32_e32 v19, v19
	v_min_u32_e32 v19, 32, v19
	v_subrev_nc_u32_e32 v22, 28, v19
	v_sub_nc_u32_e32 v31, 29, v19
	v_lshlrev_b64 v[22:23], v22, v[3:4]
	v_and_b32_e32 v19, 7, v22
; %bb.2121:                             ;   in Loop: Header=BB285_1571 Depth=1
	s_or_b32 exec_lo, exec_lo, s21
	v_lshlrev_b32_e32 v3, 8, v3
	v_lshl_add_u32 v22, v31, 10, 0x2000
	v_lshlrev_b32_e32 v19, 7, v19
	v_and_b32_e32 v3, 0x8000, v3
	v_and_b32_e32 v22, 0xfc00, v22
	v_or3_b32 v19, v3, v22, v19
.LBB285_2122:                           ;   in Loop: Header=BB285_1571 Depth=1
	s_or_b32 exec_lo, exec_lo, s20
.LBB285_2123:                           ;   in Loop: Header=BB285_1571 Depth=1
	s_or_b32 exec_lo, exec_lo, s19
.LBB285_2124:                           ;   in Loop: Header=BB285_1571 Depth=1
	s_or_b32 exec_lo, exec_lo, s18
	s_mov_b32 s18, exec_lo
	v_cmpx_lt_u32_e32 0xffffff, v12
	s_cbranch_execz .LBB285_2132
; %bb.2125:                             ;   in Loop: Header=BB285_1571 Depth=1
	v_lshrrev_b32_e32 v3, 24, v12
	v_bfrev_b32_e32 v18, 1
	s_mov_b32 s19, exec_lo
	v_cmpx_ne_u32_e32 0x80, v3
	s_cbranch_execz .LBB285_2131
; %bb.2126:                             ;   in Loop: Header=BB285_1571 Depth=1
	v_and_b32_e32 v33, 0x7f, v3
	v_mov_b32_e32 v18, 0x7c010000
	s_mov_b32 s20, exec_lo
	v_cmpx_ne_u32_e32 0x7f, v33
	s_cbranch_execz .LBB285_2130
; %bb.2127:                             ;   in Loop: Header=BB285_1571 Depth=1
	v_and_b32_e32 v18, 7, v3
	v_lshrrev_b32_e32 v31, 3, v33
	s_mov_b32 s21, exec_lo
	v_cmpx_gt_u32_e32 8, v33
; %bb.2128:                             ;   in Loop: Header=BB285_1571 Depth=1
	v_ffbh_u32_e32 v18, v18
	v_min_u32_e32 v18, 32, v18
	v_subrev_nc_u32_e32 v22, 28, v18
	v_sub_nc_u32_e32 v31, 29, v18
	v_lshlrev_b64 v[22:23], v22, v[3:4]
	v_and_b32_e32 v18, 7, v22
; %bb.2129:                             ;   in Loop: Header=BB285_1571 Depth=1
	s_or_b32 exec_lo, exec_lo, s21
	v_lshlrev_b32_e32 v3, 8, v3
	v_lshl_add_u32 v22, v31, 10, 0x2000
	v_lshlrev_b32_e32 v18, 23, v18
	v_and_or_b32 v3, 0x8000, v3, v22
	v_lshl_or_b32 v18, v3, 16, v18
.LBB285_2130:                           ;   in Loop: Header=BB285_1571 Depth=1
	s_or_b32 exec_lo, exec_lo, s20
.LBB285_2131:                           ;   in Loop: Header=BB285_1571 Depth=1
	s_or_b32 exec_lo, exec_lo, s19
.LBB285_2132:                           ;   in Loop: Header=BB285_1571 Depth=1
	s_or_b32 exec_lo, exec_lo, s18
	v_mov_b32_e32 v3, v13
	v_cmp_ne_u16_sdwa s4, v13, v4 src0_sel:BYTE_0 src1_sel:DWORD
	v_mov_b32_e32 v31, 0
	v_mov_b32_e32 v33, 0
	s_and_saveexec_b32 s18, s4
	s_cbranch_execz .LBB285_2140
; %bb.2133:                             ;   in Loop: Header=BB285_1571 Depth=1
	v_cmp_ne_u16_sdwa s4, v13, v80 src0_sel:BYTE_0 src1_sel:DWORD
	v_mov_b32_e32 v33, 0x8000
	s_and_saveexec_b32 s19, s4
	s_cbranch_execz .LBB285_2139
; %bb.2134:                             ;   in Loop: Header=BB285_1571 Depth=1
	v_and_b32_e32 v36, 0x7f, v13
	v_mov_b32_e32 v33, 0x7c01
	s_mov_b32 s20, exec_lo
	v_cmpx_ne_u32_e32 0x7f, v36
	s_cbranch_execz .LBB285_2138
; %bb.2135:                             ;   in Loop: Header=BB285_1571 Depth=1
	v_and_b32_e32 v33, 7, v13
	v_lshrrev_b32_e32 v34, 3, v36
	s_mov_b32 s21, exec_lo
	v_cmpx_gt_u32_e32 8, v36
; %bb.2136:                             ;   in Loop: Header=BB285_1571 Depth=1
	v_ffbh_u32_e32 v22, v33
	v_min_u32_e32 v33, 32, v22
	v_subrev_nc_u32_e32 v22, 28, v33
	v_sub_nc_u32_e32 v34, 29, v33
	v_lshlrev_b64 v[22:23], v22, v[3:4]
	v_and_b32_e32 v33, 7, v22
; %bb.2137:                             ;   in Loop: Header=BB285_1571 Depth=1
	s_or_b32 exec_lo, exec_lo, s21
	v_lshlrev_b32_e32 v22, 8, v13
	v_lshl_add_u32 v23, v34, 10, 0x2000
	v_lshlrev_b32_e32 v33, 7, v33
	v_and_b32_e32 v22, 0x8000, v22
	v_and_b32_e32 v23, 0xfc00, v23
	v_or3_b32 v33, v22, v23, v33
.LBB285_2138:                           ;   in Loop: Header=BB285_1571 Depth=1
	s_or_b32 exec_lo, exec_lo, s20
.LBB285_2139:                           ;   in Loop: Header=BB285_1571 Depth=1
	s_or_b32 exec_lo, exec_lo, s19
.LBB285_2140:                           ;   in Loop: Header=BB285_1571 Depth=1
	s_or_b32 exec_lo, exec_lo, s18
	v_lshrrev_b16 v3, 8, v3
	v_mov_b32_e32 v34, 0
	s_mov_b32 s18, exec_lo
	v_cmpx_ne_u16_e32 0, v3
	s_cbranch_execz .LBB285_2148
; %bb.2141:                             ;   in Loop: Header=BB285_1571 Depth=1
	v_bfrev_b32_e32 v34, 1
	s_mov_b32 s19, exec_lo
	v_cmpx_ne_u16_e32 0x80, v3
	s_cbranch_execz .LBB285_2147
; %bb.2142:                             ;   in Loop: Header=BB285_1571 Depth=1
	v_and_b32_sdwa v37, v3, v81 dst_sel:DWORD dst_unused:UNUSED_PAD src0_sel:WORD_0 src1_sel:DWORD
	v_mov_b32_e32 v34, 0x7c010000
	s_mov_b32 s20, exec_lo
	v_cmpx_ne_u32_e32 0x7f, v37
	s_cbranch_execz .LBB285_2146
; %bb.2143:                             ;   in Loop: Header=BB285_1571 Depth=1
	v_and_b32_sdwa v34, v3, v82 dst_sel:DWORD dst_unused:UNUSED_PAD src0_sel:WORD_0 src1_sel:DWORD
	v_lshrrev_b32_e32 v36, 3, v37
	s_mov_b32 s21, exec_lo
	v_cmpx_gt_u32_e32 8, v37
; %bb.2144:                             ;   in Loop: Header=BB285_1571 Depth=1
	v_ffbh_u32_e32 v22, v34
	v_min_u32_e32 v34, 32, v22
	v_subrev_nc_u32_e32 v22, 28, v34
	v_sub_nc_u32_e32 v36, 29, v34
	v_lshlrev_b64 v[22:23], v22, v[3:4]
	v_and_b32_e32 v34, 7, v22
; %bb.2145:                             ;   in Loop: Header=BB285_1571 Depth=1
	s_or_b32 exec_lo, exec_lo, s21
	v_lshlrev_b32_sdwa v3, v83, v3 dst_sel:DWORD dst_unused:UNUSED_PAD src0_sel:DWORD src1_sel:WORD_0
	v_lshl_add_u32 v22, v36, 10, 0x2000
	v_and_or_b32 v3, 0x8000, v3, v22
	v_lshlrev_b32_e32 v22, 23, v34
	v_lshl_or_b32 v34, v3, 16, v22
.LBB285_2146:                           ;   in Loop: Header=BB285_1571 Depth=1
	s_or_b32 exec_lo, exec_lo, s20
.LBB285_2147:                           ;   in Loop: Header=BB285_1571 Depth=1
	s_or_b32 exec_lo, exec_lo, s19
.LBB285_2148:                           ;   in Loop: Header=BB285_1571 Depth=1
	s_or_b32 exec_lo, exec_lo, s18
	v_lshrrev_b32_e32 v3, 16, v13
	v_cmp_ne_u16_sdwa s4, v3, v4 src0_sel:BYTE_0 src1_sel:DWORD
	s_and_saveexec_b32 s18, s4
	s_cbranch_execz .LBB285_2156
; %bb.2149:                             ;   in Loop: Header=BB285_1571 Depth=1
	v_cmp_ne_u16_sdwa s4, v3, v80 src0_sel:BYTE_0 src1_sel:DWORD
	v_mov_b32_e32 v31, 0x8000
	s_and_saveexec_b32 s19, s4
	s_cbranch_execz .LBB285_2155
; %bb.2150:                             ;   in Loop: Header=BB285_1571 Depth=1
	v_bfe_u32 v37, v13, 16, 7
	v_mov_b32_e32 v31, 0x7c01
	s_mov_b32 s20, exec_lo
	v_cmpx_ne_u32_e32 0x7f, v37
	s_cbranch_execz .LBB285_2154
; %bb.2151:                             ;   in Loop: Header=BB285_1571 Depth=1
	v_and_b32_e32 v31, 7, v3
	v_lshrrev_b32_e32 v36, 3, v37
	s_mov_b32 s21, exec_lo
	v_cmpx_gt_u32_e32 8, v37
; %bb.2152:                             ;   in Loop: Header=BB285_1571 Depth=1
	v_ffbh_u32_e32 v22, v31
	v_min_u32_e32 v31, 32, v22
	v_subrev_nc_u32_e32 v22, 28, v31
	v_sub_nc_u32_e32 v36, 29, v31
	v_lshlrev_b64 v[22:23], v22, v[3:4]
	v_and_b32_e32 v31, 7, v22
; %bb.2153:                             ;   in Loop: Header=BB285_1571 Depth=1
	s_or_b32 exec_lo, exec_lo, s21
	v_lshlrev_b32_e32 v3, 8, v3
	v_lshl_add_u32 v22, v36, 10, 0x2000
	v_lshlrev_b32_e32 v23, 7, v31
	v_and_b32_e32 v3, 0x8000, v3
	v_and_b32_e32 v22, 0xfc00, v22
	v_or3_b32 v31, v3, v22, v23
.LBB285_2154:                           ;   in Loop: Header=BB285_1571 Depth=1
	s_or_b32 exec_lo, exec_lo, s20
.LBB285_2155:                           ;   in Loop: Header=BB285_1571 Depth=1
	s_or_b32 exec_lo, exec_lo, s19
.LBB285_2156:                           ;   in Loop: Header=BB285_1571 Depth=1
	s_or_b32 exec_lo, exec_lo, s18
	v_cmp_lt_u64_e64 s4, s[6:7], v[12:13]
	v_mov_b32_e32 v12, 0
	s_and_saveexec_b32 s18, s4
	s_cbranch_execz .LBB285_2164
; %bb.2157:                             ;   in Loop: Header=BB285_1571 Depth=1
	v_lshrrev_b32_e32 v3, 24, v13
	v_bfrev_b32_e32 v12, 1
	s_mov_b32 s19, exec_lo
	v_cmpx_ne_u32_e32 0x80, v3
	s_cbranch_execz .LBB285_2163
; %bb.2158:                             ;   in Loop: Header=BB285_1571 Depth=1
	v_and_b32_e32 v36, 0x7f, v3
	v_mov_b32_e32 v12, 0x7c010000
	s_mov_b32 s20, exec_lo
	v_cmpx_ne_u32_e32 0x7f, v36
	s_cbranch_execz .LBB285_2162
; %bb.2159:                             ;   in Loop: Header=BB285_1571 Depth=1
	v_and_b32_e32 v12, 7, v3
	v_lshrrev_b32_e32 v13, 3, v36
	s_mov_b32 s21, exec_lo
	v_cmpx_gt_u32_e32 8, v36
; %bb.2160:                             ;   in Loop: Header=BB285_1571 Depth=1
	v_ffbh_u32_e32 v12, v12
	v_min_u32_e32 v22, 32, v12
	v_subrev_nc_u32_e32 v12, 28, v22
	v_lshlrev_b64 v[12:13], v12, v[3:4]
	v_sub_nc_u32_e32 v13, 29, v22
	v_and_b32_e32 v12, 7, v12
; %bb.2161:                             ;   in Loop: Header=BB285_1571 Depth=1
	s_or_b32 exec_lo, exec_lo, s21
	v_lshlrev_b32_e32 v3, 8, v3
	v_lshl_add_u32 v13, v13, 10, 0x2000
	v_lshlrev_b32_e32 v12, 23, v12
	v_and_or_b32 v3, 0x8000, v3, v13
	v_lshl_or_b32 v12, v3, 16, v12
.LBB285_2162:                           ;   in Loop: Header=BB285_1571 Depth=1
	s_or_b32 exec_lo, exec_lo, s20
.LBB285_2163:                           ;   in Loop: Header=BB285_1571 Depth=1
	s_or_b32 exec_lo, exec_lo, s19
.LBB285_2164:                           ;   in Loop: Header=BB285_1571 Depth=1
	s_or_b32 exec_lo, exec_lo, s18
	v_or_b32_e32 v3, v18, v19
	s_waitcnt vmcnt(0) lgkmcnt(0)
	v_fma_mixlo_f16 v13, v0, v18, 0 op_sel:[0,1,0] op_sel_hi:[0,1,0]
	v_or_b32_e32 v2, v1, v2
	v_fma_mixlo_f16 v18, v0, v1, 0 op_sel:[0,1,0] op_sel_hi:[0,1,0]
	v_or_b32_e32 v19, v34, v33
	v_fma_mixlo_f16 v3, v0, v3, 0 op_sel_hi:[0,1,0]
	v_or_b32_e32 v22, v12, v31
	v_lshlrev_b32_e32 v1, 16, v13
	v_lshlrev_b32_e32 v13, 16, v18
	v_fma_mixlo_f16 v18, v0, v2, 0 op_sel_hi:[0,1,0]
	v_and_b32_e32 v2, 0xffff, v3
	v_fma_mixlo_f16 v3, v0, v34, 0 op_sel:[0,1,0] op_sel_hi:[0,1,0]
	v_fma_mixlo_f16 v19, v0, v19, 0 op_sel_hi:[0,1,0]
	v_fma_mixlo_f16 v12, v0, v12, 0 op_sel:[0,1,0] op_sel_hi:[0,1,0]
	v_fma_mixlo_f16 v22, v0, v22, 0 op_sel_hi:[0,1,0]
	v_and_b32_e32 v36, 0xffff, v18
	v_lshlrev_b32_e32 v3, 16, v3
	v_and_b32_e32 v19, 0xffff, v19
	v_lshlrev_b32_e32 v0, 16, v12
	v_and_b32_e32 v12, 0xffff, v22
	v_or_b32_e32 v18, v1, v2
	v_or_b32_e32 v34, v13, v36
	;; [unrolled: 1-line block ×4, first 2 shown]
	s_and_saveexec_b32 s18, vcc_lo
	s_cbranch_execz .LBB285_2166
; %bb.2165:                             ;   in Loop: Header=BB285_1571 Depth=1
	v_cmp_lt_i32_e64 s4, v86, v32
	v_cndmask_b32_e64 v18, 0, v36, s4
	v_cmp_lt_i32_e64 s4, v115, v32
	v_cndmask_b32_e64 v13, 0, v13, s4
	v_cmp_lt_i32_e64 s4, v114, v32
	v_or_b32_e32 v34, v18, v13
	v_cndmask_b32_e64 v2, 0, v2, s4
	v_cmp_lt_i32_e64 s4, v113, v32
	v_cndmask_b32_e64 v1, 0, v1, s4
	v_cmp_lt_i32_e64 s4, v112, v32
	v_or_b32_e32 v18, v2, v1
	;; [unrolled: 5-line block ×3, first 2 shown]
	v_cndmask_b32_e64 v12, 0, v12, s4
	v_cmp_lt_i32_e64 s4, v101, v32
	v_cndmask_b32_e64 v0, 0, v0, s4
	v_or_b32_e32 v31, v12, v0
.LBB285_2166:                           ;   in Loop: Header=BB285_1571 Depth=1
	s_or_b32 exec_lo, exec_lo, s18
	;;#ASMSTART
	v_pk_mul_f16 v0, v100, v34;

	;;#ASMEND
	;;#ASMSTART
	v_pk_mul_f16 v1, v99, v18;

	;;#ASMEND
	;; [unrolled: 4-line block ×4, first 2 shown]
	;;#ASMSTART
	v_pk_add_f16 v0, v0, v1;

	;;#ASMEND
	;;#ASMSTART
	v_pk_add_f16 v0, v0, v2;

	;;#ASMEND
	;; [unrolled: 4-line block ×3, first 2 shown]
	v_and_b32_e32 v1, 0xffff, v0
	v_lshrrev_b32_e32 v0, 16, v0
	;;#ASMSTART
	v_cvt_f32_f16 v47, v1;
	;;#ASMEND
	;;#ASMSTART
	v_cvt_f32_f16 v59, v0;
	;;#ASMEND
	flat_load_dwordx2 v[12:13], v[10:11] offset:256
	flat_load_dword v0, v[109:110]
	v_mov_b32_e32 v1, 0
	v_mov_b32_e32 v2, 0
	s_waitcnt vmcnt(1) lgkmcnt(1)
	v_cmp_ne_u16_sdwa s4, v12, v4 src0_sel:BYTE_0 src1_sel:DWORD
	s_and_saveexec_b32 s18, s4
	s_cbranch_execz .LBB285_2174
; %bb.2167:                             ;   in Loop: Header=BB285_1571 Depth=1
	v_cmp_ne_u16_sdwa s4, v12, v80 src0_sel:BYTE_0 src1_sel:DWORD
	v_mov_b32_e32 v2, 0x8000
	s_and_saveexec_b32 s19, s4
	s_cbranch_execz .LBB285_2173
; %bb.2168:                             ;   in Loop: Header=BB285_1571 Depth=1
	v_and_b32_e32 v18, 0x7f, v12
	v_mov_b32_e32 v2, 0x7c01
	s_mov_b32 s20, exec_lo
	v_cmpx_ne_u32_e32 0x7f, v18
	s_cbranch_execz .LBB285_2172
; %bb.2169:                             ;   in Loop: Header=BB285_1571 Depth=1
	v_and_b32_e32 v2, 7, v12
	v_lshrrev_b32_e32 v3, 3, v18
	s_mov_b32 s21, exec_lo
	v_cmpx_gt_u32_e32 8, v18
; %bb.2170:                             ;   in Loop: Header=BB285_1571 Depth=1
	v_ffbh_u32_e32 v2, v2
	v_min_u32_e32 v18, 32, v2
	v_subrev_nc_u32_e32 v2, 28, v18
	v_lshlrev_b64 v[2:3], v2, v[12:13]
	v_sub_nc_u32_e32 v3, 29, v18
	v_and_b32_e32 v2, 7, v2
; %bb.2171:                             ;   in Loop: Header=BB285_1571 Depth=1
	s_or_b32 exec_lo, exec_lo, s21
	v_lshlrev_b32_e32 v18, 8, v12
	v_lshl_add_u32 v3, v3, 10, 0x2000
	v_lshlrev_b32_e32 v2, 7, v2
	v_and_b32_e32 v18, 0x8000, v18
	v_and_b32_e32 v3, 0xfc00, v3
	v_or3_b32 v2, v18, v3, v2
.LBB285_2172:                           ;   in Loop: Header=BB285_1571 Depth=1
	s_or_b32 exec_lo, exec_lo, s20
.LBB285_2173:                           ;   in Loop: Header=BB285_1571 Depth=1
	s_or_b32 exec_lo, exec_lo, s19
.LBB285_2174:                           ;   in Loop: Header=BB285_1571 Depth=1
	s_or_b32 exec_lo, exec_lo, s18
	v_lshrrev_b16 v3, 8, v12
	s_mov_b32 s18, exec_lo
	v_cmpx_ne_u16_e32 0, v3
	s_cbranch_execz .LBB285_2182
; %bb.2175:                             ;   in Loop: Header=BB285_1571 Depth=1
	v_bfrev_b32_e32 v1, 1
	s_mov_b32 s19, exec_lo
	v_cmpx_ne_u16_e32 0x80, v3
	s_cbranch_execz .LBB285_2181
; %bb.2176:                             ;   in Loop: Header=BB285_1571 Depth=1
	v_and_b32_sdwa v19, v3, v81 dst_sel:DWORD dst_unused:UNUSED_PAD src0_sel:WORD_0 src1_sel:DWORD
	v_mov_b32_e32 v1, 0x7c010000
	s_mov_b32 s20, exec_lo
	v_cmpx_ne_u32_e32 0x7f, v19
	s_cbranch_execz .LBB285_2180
; %bb.2177:                             ;   in Loop: Header=BB285_1571 Depth=1
	v_and_b32_sdwa v1, v3, v82 dst_sel:DWORD dst_unused:UNUSED_PAD src0_sel:WORD_0 src1_sel:DWORD
	v_lshrrev_b32_e32 v18, 3, v19
	s_mov_b32 s21, exec_lo
	v_cmpx_gt_u32_e32 8, v19
; %bb.2178:                             ;   in Loop: Header=BB285_1571 Depth=1
	v_ffbh_u32_e32 v1, v1
	v_min_u32_e32 v1, 32, v1
	v_subrev_nc_u32_e32 v18, 28, v1
	v_lshlrev_b64 v[22:23], v18, v[3:4]
	v_sub_nc_u32_e32 v18, 29, v1
	v_and_b32_e32 v1, 7, v22
; %bb.2179:                             ;   in Loop: Header=BB285_1571 Depth=1
	s_or_b32 exec_lo, exec_lo, s21
	v_lshlrev_b32_sdwa v3, v83, v3 dst_sel:DWORD dst_unused:UNUSED_PAD src0_sel:DWORD src1_sel:WORD_0
	v_lshl_add_u32 v18, v18, 10, 0x2000
	v_lshlrev_b32_e32 v1, 23, v1
	v_and_or_b32 v3, 0x8000, v3, v18
	v_lshl_or_b32 v1, v3, 16, v1
.LBB285_2180:                           ;   in Loop: Header=BB285_1571 Depth=1
	s_or_b32 exec_lo, exec_lo, s20
.LBB285_2181:                           ;   in Loop: Header=BB285_1571 Depth=1
	s_or_b32 exec_lo, exec_lo, s19
.LBB285_2182:                           ;   in Loop: Header=BB285_1571 Depth=1
	s_or_b32 exec_lo, exec_lo, s18
	v_lshrrev_b32_e32 v3, 16, v12
	v_mov_b32_e32 v18, 0
	v_mov_b32_e32 v19, 0
	v_cmp_ne_u16_sdwa s4, v3, v4 src0_sel:BYTE_0 src1_sel:DWORD
	s_and_saveexec_b32 s18, s4
	s_cbranch_execz .LBB285_2190
; %bb.2183:                             ;   in Loop: Header=BB285_1571 Depth=1
	v_cmp_ne_u16_sdwa s4, v3, v80 src0_sel:BYTE_0 src1_sel:DWORD
	v_mov_b32_e32 v19, 0x8000
	s_and_saveexec_b32 s19, s4
	s_cbranch_execz .LBB285_2189
; %bb.2184:                             ;   in Loop: Header=BB285_1571 Depth=1
	v_bfe_u32 v33, v12, 16, 7
	v_mov_b32_e32 v19, 0x7c01
	s_mov_b32 s20, exec_lo
	v_cmpx_ne_u32_e32 0x7f, v33
	s_cbranch_execz .LBB285_2188
; %bb.2185:                             ;   in Loop: Header=BB285_1571 Depth=1
	v_and_b32_e32 v19, 7, v3
	v_lshrrev_b32_e32 v31, 3, v33
	s_mov_b32 s21, exec_lo
	v_cmpx_gt_u32_e32 8, v33
; %bb.2186:                             ;   in Loop: Header=BB285_1571 Depth=1
	v_ffbh_u32_e32 v19, v19
	v_min_u32_e32 v19, 32, v19
	v_subrev_nc_u32_e32 v22, 28, v19
	v_sub_nc_u32_e32 v31, 29, v19
	v_lshlrev_b64 v[22:23], v22, v[3:4]
	v_and_b32_e32 v19, 7, v22
; %bb.2187:                             ;   in Loop: Header=BB285_1571 Depth=1
	s_or_b32 exec_lo, exec_lo, s21
	v_lshlrev_b32_e32 v3, 8, v3
	v_lshl_add_u32 v22, v31, 10, 0x2000
	v_lshlrev_b32_e32 v19, 7, v19
	v_and_b32_e32 v3, 0x8000, v3
	v_and_b32_e32 v22, 0xfc00, v22
	v_or3_b32 v19, v3, v22, v19
.LBB285_2188:                           ;   in Loop: Header=BB285_1571 Depth=1
	s_or_b32 exec_lo, exec_lo, s20
.LBB285_2189:                           ;   in Loop: Header=BB285_1571 Depth=1
	s_or_b32 exec_lo, exec_lo, s19
.LBB285_2190:                           ;   in Loop: Header=BB285_1571 Depth=1
	s_or_b32 exec_lo, exec_lo, s18
	s_mov_b32 s18, exec_lo
	v_cmpx_lt_u32_e32 0xffffff, v12
	s_cbranch_execz .LBB285_2198
; %bb.2191:                             ;   in Loop: Header=BB285_1571 Depth=1
	v_lshrrev_b32_e32 v3, 24, v12
	v_bfrev_b32_e32 v18, 1
	s_mov_b32 s19, exec_lo
	v_cmpx_ne_u32_e32 0x80, v3
	s_cbranch_execz .LBB285_2197
; %bb.2192:                             ;   in Loop: Header=BB285_1571 Depth=1
	v_and_b32_e32 v33, 0x7f, v3
	v_mov_b32_e32 v18, 0x7c010000
	s_mov_b32 s20, exec_lo
	v_cmpx_ne_u32_e32 0x7f, v33
	s_cbranch_execz .LBB285_2196
; %bb.2193:                             ;   in Loop: Header=BB285_1571 Depth=1
	v_and_b32_e32 v18, 7, v3
	v_lshrrev_b32_e32 v31, 3, v33
	s_mov_b32 s21, exec_lo
	v_cmpx_gt_u32_e32 8, v33
; %bb.2194:                             ;   in Loop: Header=BB285_1571 Depth=1
	v_ffbh_u32_e32 v18, v18
	v_min_u32_e32 v18, 32, v18
	v_subrev_nc_u32_e32 v22, 28, v18
	v_sub_nc_u32_e32 v31, 29, v18
	v_lshlrev_b64 v[22:23], v22, v[3:4]
	v_and_b32_e32 v18, 7, v22
; %bb.2195:                             ;   in Loop: Header=BB285_1571 Depth=1
	s_or_b32 exec_lo, exec_lo, s21
	v_lshlrev_b32_e32 v3, 8, v3
	v_lshl_add_u32 v22, v31, 10, 0x2000
	v_lshlrev_b32_e32 v18, 23, v18
	v_and_or_b32 v3, 0x8000, v3, v22
	v_lshl_or_b32 v18, v3, 16, v18
.LBB285_2196:                           ;   in Loop: Header=BB285_1571 Depth=1
	s_or_b32 exec_lo, exec_lo, s20
.LBB285_2197:                           ;   in Loop: Header=BB285_1571 Depth=1
	s_or_b32 exec_lo, exec_lo, s19
.LBB285_2198:                           ;   in Loop: Header=BB285_1571 Depth=1
	s_or_b32 exec_lo, exec_lo, s18
	v_mov_b32_e32 v3, v13
	v_cmp_ne_u16_sdwa s4, v13, v4 src0_sel:BYTE_0 src1_sel:DWORD
	v_mov_b32_e32 v31, 0
	v_mov_b32_e32 v33, 0
	s_and_saveexec_b32 s18, s4
	s_cbranch_execz .LBB285_2206
; %bb.2199:                             ;   in Loop: Header=BB285_1571 Depth=1
	v_cmp_ne_u16_sdwa s4, v13, v80 src0_sel:BYTE_0 src1_sel:DWORD
	v_mov_b32_e32 v33, 0x8000
	s_and_saveexec_b32 s19, s4
	s_cbranch_execz .LBB285_2205
; %bb.2200:                             ;   in Loop: Header=BB285_1571 Depth=1
	v_and_b32_e32 v36, 0x7f, v13
	v_mov_b32_e32 v33, 0x7c01
	s_mov_b32 s20, exec_lo
	v_cmpx_ne_u32_e32 0x7f, v36
	s_cbranch_execz .LBB285_2204
; %bb.2201:                             ;   in Loop: Header=BB285_1571 Depth=1
	v_and_b32_e32 v33, 7, v13
	v_lshrrev_b32_e32 v34, 3, v36
	s_mov_b32 s21, exec_lo
	v_cmpx_gt_u32_e32 8, v36
; %bb.2202:                             ;   in Loop: Header=BB285_1571 Depth=1
	v_ffbh_u32_e32 v22, v33
	v_min_u32_e32 v33, 32, v22
	v_subrev_nc_u32_e32 v22, 28, v33
	v_sub_nc_u32_e32 v34, 29, v33
	v_lshlrev_b64 v[22:23], v22, v[3:4]
	v_and_b32_e32 v33, 7, v22
; %bb.2203:                             ;   in Loop: Header=BB285_1571 Depth=1
	s_or_b32 exec_lo, exec_lo, s21
	v_lshlrev_b32_e32 v22, 8, v13
	v_lshl_add_u32 v23, v34, 10, 0x2000
	v_lshlrev_b32_e32 v33, 7, v33
	v_and_b32_e32 v22, 0x8000, v22
	v_and_b32_e32 v23, 0xfc00, v23
	v_or3_b32 v33, v22, v23, v33
.LBB285_2204:                           ;   in Loop: Header=BB285_1571 Depth=1
	s_or_b32 exec_lo, exec_lo, s20
.LBB285_2205:                           ;   in Loop: Header=BB285_1571 Depth=1
	s_or_b32 exec_lo, exec_lo, s19
.LBB285_2206:                           ;   in Loop: Header=BB285_1571 Depth=1
	s_or_b32 exec_lo, exec_lo, s18
	v_lshrrev_b16 v3, 8, v3
	v_mov_b32_e32 v34, 0
	s_mov_b32 s18, exec_lo
	v_cmpx_ne_u16_e32 0, v3
	s_cbranch_execz .LBB285_2214
; %bb.2207:                             ;   in Loop: Header=BB285_1571 Depth=1
	v_bfrev_b32_e32 v34, 1
	s_mov_b32 s19, exec_lo
	v_cmpx_ne_u16_e32 0x80, v3
	s_cbranch_execz .LBB285_2213
; %bb.2208:                             ;   in Loop: Header=BB285_1571 Depth=1
	v_and_b32_sdwa v37, v3, v81 dst_sel:DWORD dst_unused:UNUSED_PAD src0_sel:WORD_0 src1_sel:DWORD
	v_mov_b32_e32 v34, 0x7c010000
	s_mov_b32 s20, exec_lo
	v_cmpx_ne_u32_e32 0x7f, v37
	s_cbranch_execz .LBB285_2212
; %bb.2209:                             ;   in Loop: Header=BB285_1571 Depth=1
	v_and_b32_sdwa v34, v3, v82 dst_sel:DWORD dst_unused:UNUSED_PAD src0_sel:WORD_0 src1_sel:DWORD
	v_lshrrev_b32_e32 v36, 3, v37
	s_mov_b32 s21, exec_lo
	v_cmpx_gt_u32_e32 8, v37
; %bb.2210:                             ;   in Loop: Header=BB285_1571 Depth=1
	v_ffbh_u32_e32 v22, v34
	v_min_u32_e32 v34, 32, v22
	v_subrev_nc_u32_e32 v22, 28, v34
	v_sub_nc_u32_e32 v36, 29, v34
	v_lshlrev_b64 v[22:23], v22, v[3:4]
	v_and_b32_e32 v34, 7, v22
; %bb.2211:                             ;   in Loop: Header=BB285_1571 Depth=1
	s_or_b32 exec_lo, exec_lo, s21
	v_lshlrev_b32_sdwa v3, v83, v3 dst_sel:DWORD dst_unused:UNUSED_PAD src0_sel:DWORD src1_sel:WORD_0
	v_lshl_add_u32 v22, v36, 10, 0x2000
	v_and_or_b32 v3, 0x8000, v3, v22
	v_lshlrev_b32_e32 v22, 23, v34
	v_lshl_or_b32 v34, v3, 16, v22
.LBB285_2212:                           ;   in Loop: Header=BB285_1571 Depth=1
	s_or_b32 exec_lo, exec_lo, s20
.LBB285_2213:                           ;   in Loop: Header=BB285_1571 Depth=1
	s_or_b32 exec_lo, exec_lo, s19
.LBB285_2214:                           ;   in Loop: Header=BB285_1571 Depth=1
	s_or_b32 exec_lo, exec_lo, s18
	v_lshrrev_b32_e32 v3, 16, v13
	v_cmp_ne_u16_sdwa s4, v3, v4 src0_sel:BYTE_0 src1_sel:DWORD
	s_and_saveexec_b32 s18, s4
	s_cbranch_execz .LBB285_2222
; %bb.2215:                             ;   in Loop: Header=BB285_1571 Depth=1
	v_cmp_ne_u16_sdwa s4, v3, v80 src0_sel:BYTE_0 src1_sel:DWORD
	v_mov_b32_e32 v31, 0x8000
	s_and_saveexec_b32 s19, s4
	s_cbranch_execz .LBB285_2221
; %bb.2216:                             ;   in Loop: Header=BB285_1571 Depth=1
	v_bfe_u32 v37, v13, 16, 7
	v_mov_b32_e32 v31, 0x7c01
	s_mov_b32 s20, exec_lo
	v_cmpx_ne_u32_e32 0x7f, v37
	s_cbranch_execz .LBB285_2220
; %bb.2217:                             ;   in Loop: Header=BB285_1571 Depth=1
	v_and_b32_e32 v31, 7, v3
	v_lshrrev_b32_e32 v36, 3, v37
	s_mov_b32 s21, exec_lo
	v_cmpx_gt_u32_e32 8, v37
; %bb.2218:                             ;   in Loop: Header=BB285_1571 Depth=1
	v_ffbh_u32_e32 v22, v31
	v_min_u32_e32 v31, 32, v22
	v_subrev_nc_u32_e32 v22, 28, v31
	v_sub_nc_u32_e32 v36, 29, v31
	v_lshlrev_b64 v[22:23], v22, v[3:4]
	v_and_b32_e32 v31, 7, v22
; %bb.2219:                             ;   in Loop: Header=BB285_1571 Depth=1
	s_or_b32 exec_lo, exec_lo, s21
	v_lshlrev_b32_e32 v3, 8, v3
	v_lshl_add_u32 v22, v36, 10, 0x2000
	v_lshlrev_b32_e32 v23, 7, v31
	v_and_b32_e32 v3, 0x8000, v3
	v_and_b32_e32 v22, 0xfc00, v22
	v_or3_b32 v31, v3, v22, v23
.LBB285_2220:                           ;   in Loop: Header=BB285_1571 Depth=1
	s_or_b32 exec_lo, exec_lo, s20
.LBB285_2221:                           ;   in Loop: Header=BB285_1571 Depth=1
	s_or_b32 exec_lo, exec_lo, s19
.LBB285_2222:                           ;   in Loop: Header=BB285_1571 Depth=1
	s_or_b32 exec_lo, exec_lo, s18
	v_cmp_lt_u64_e64 s4, s[6:7], v[12:13]
	v_mov_b32_e32 v12, 0
	s_and_saveexec_b32 s18, s4
	s_cbranch_execz .LBB285_2230
; %bb.2223:                             ;   in Loop: Header=BB285_1571 Depth=1
	v_lshrrev_b32_e32 v3, 24, v13
	v_bfrev_b32_e32 v12, 1
	s_mov_b32 s19, exec_lo
	v_cmpx_ne_u32_e32 0x80, v3
	s_cbranch_execz .LBB285_2229
; %bb.2224:                             ;   in Loop: Header=BB285_1571 Depth=1
	v_and_b32_e32 v36, 0x7f, v3
	v_mov_b32_e32 v12, 0x7c010000
	s_mov_b32 s20, exec_lo
	v_cmpx_ne_u32_e32 0x7f, v36
	s_cbranch_execz .LBB285_2228
; %bb.2225:                             ;   in Loop: Header=BB285_1571 Depth=1
	v_and_b32_e32 v12, 7, v3
	v_lshrrev_b32_e32 v13, 3, v36
	s_mov_b32 s21, exec_lo
	v_cmpx_gt_u32_e32 8, v36
; %bb.2226:                             ;   in Loop: Header=BB285_1571 Depth=1
	v_ffbh_u32_e32 v12, v12
	v_min_u32_e32 v22, 32, v12
	v_subrev_nc_u32_e32 v12, 28, v22
	v_lshlrev_b64 v[12:13], v12, v[3:4]
	v_sub_nc_u32_e32 v13, 29, v22
	v_and_b32_e32 v12, 7, v12
; %bb.2227:                             ;   in Loop: Header=BB285_1571 Depth=1
	s_or_b32 exec_lo, exec_lo, s21
	v_lshlrev_b32_e32 v3, 8, v3
	v_lshl_add_u32 v13, v13, 10, 0x2000
	v_lshlrev_b32_e32 v12, 23, v12
	v_and_or_b32 v3, 0x8000, v3, v13
	v_lshl_or_b32 v12, v3, 16, v12
.LBB285_2228:                           ;   in Loop: Header=BB285_1571 Depth=1
	s_or_b32 exec_lo, exec_lo, s20
.LBB285_2229:                           ;   in Loop: Header=BB285_1571 Depth=1
	s_or_b32 exec_lo, exec_lo, s19
.LBB285_2230:                           ;   in Loop: Header=BB285_1571 Depth=1
	s_or_b32 exec_lo, exec_lo, s18
	v_or_b32_e32 v3, v18, v19
	s_waitcnt vmcnt(0) lgkmcnt(0)
	v_fma_mixlo_f16 v13, v0, v18, 0 op_sel:[0,1,0] op_sel_hi:[0,1,0]
	v_or_b32_e32 v2, v1, v2
	v_fma_mixlo_f16 v18, v0, v1, 0 op_sel:[0,1,0] op_sel_hi:[0,1,0]
	v_or_b32_e32 v19, v34, v33
	v_fma_mixlo_f16 v3, v0, v3, 0 op_sel_hi:[0,1,0]
	v_or_b32_e32 v22, v12, v31
	v_lshlrev_b32_e32 v1, 16, v13
	v_lshlrev_b32_e32 v13, 16, v18
	v_fma_mixlo_f16 v18, v0, v2, 0 op_sel_hi:[0,1,0]
	v_and_b32_e32 v2, 0xffff, v3
	v_fma_mixlo_f16 v3, v0, v34, 0 op_sel:[0,1,0] op_sel_hi:[0,1,0]
	v_fma_mixlo_f16 v19, v0, v19, 0 op_sel_hi:[0,1,0]
	v_fma_mixlo_f16 v12, v0, v12, 0 op_sel:[0,1,0] op_sel_hi:[0,1,0]
	v_fma_mixlo_f16 v22, v0, v22, 0 op_sel_hi:[0,1,0]
	v_and_b32_e32 v36, 0xffff, v18
	v_lshlrev_b32_e32 v3, 16, v3
	v_and_b32_e32 v19, 0xffff, v19
	v_lshlrev_b32_e32 v0, 16, v12
	v_and_b32_e32 v12, 0xffff, v22
	v_or_b32_e32 v18, v1, v2
	v_or_b32_e32 v34, v13, v36
	;; [unrolled: 1-line block ×4, first 2 shown]
	s_and_saveexec_b32 s18, vcc_lo
	s_cbranch_execz .LBB285_2232
; %bb.2231:                             ;   in Loop: Header=BB285_1571 Depth=1
	v_cmp_lt_i32_e64 s4, v86, v32
	v_cndmask_b32_e64 v18, 0, v36, s4
	v_cmp_lt_i32_e64 s4, v115, v32
	v_cndmask_b32_e64 v13, 0, v13, s4
	v_cmp_lt_i32_e64 s4, v114, v32
	v_or_b32_e32 v34, v18, v13
	v_cndmask_b32_e64 v2, 0, v2, s4
	v_cmp_lt_i32_e64 s4, v113, v32
	v_cndmask_b32_e64 v1, 0, v1, s4
	v_cmp_lt_i32_e64 s4, v112, v32
	v_or_b32_e32 v18, v2, v1
	;; [unrolled: 5-line block ×3, first 2 shown]
	v_cndmask_b32_e64 v12, 0, v12, s4
	v_cmp_lt_i32_e64 s4, v101, v32
	v_cndmask_b32_e64 v0, 0, v0, s4
	v_or_b32_e32 v31, v12, v0
.LBB285_2232:                           ;   in Loop: Header=BB285_1571 Depth=1
	s_or_b32 exec_lo, exec_lo, s18
	;;#ASMSTART
	v_pk_mul_f16 v0, v100, v34;

	;;#ASMEND
	;;#ASMSTART
	v_pk_mul_f16 v1, v99, v18;

	;;#ASMEND
	;; [unrolled: 4-line block ×4, first 2 shown]
	;;#ASMSTART
	v_pk_add_f16 v0, v0, v1;

	;;#ASMEND
	;;#ASMSTART
	v_pk_add_f16 v0, v0, v2;

	;;#ASMEND
	;; [unrolled: 4-line block ×3, first 2 shown]
	v_and_b32_e32 v1, 0xffff, v0
	v_lshrrev_b32_e32 v0, 16, v0
	;;#ASMSTART
	v_cvt_f32_f16 v58, v1;
	;;#ASMEND
	;;#ASMSTART
	v_cvt_f32_f16 v60, v0;
	;;#ASMEND
	flat_load_dwordx2 v[12:13], v[10:11] offset:512
	flat_load_dword v0, v[109:110]
	v_mov_b32_e32 v1, 0
	v_mov_b32_e32 v2, 0
	s_waitcnt vmcnt(1) lgkmcnt(1)
	v_cmp_ne_u16_sdwa s4, v12, v4 src0_sel:BYTE_0 src1_sel:DWORD
	s_and_saveexec_b32 s18, s4
	s_cbranch_execz .LBB285_2240
; %bb.2233:                             ;   in Loop: Header=BB285_1571 Depth=1
	v_cmp_ne_u16_sdwa s4, v12, v80 src0_sel:BYTE_0 src1_sel:DWORD
	v_mov_b32_e32 v2, 0x8000
	s_and_saveexec_b32 s19, s4
	s_cbranch_execz .LBB285_2239
; %bb.2234:                             ;   in Loop: Header=BB285_1571 Depth=1
	v_and_b32_e32 v18, 0x7f, v12
	v_mov_b32_e32 v2, 0x7c01
	s_mov_b32 s20, exec_lo
	v_cmpx_ne_u32_e32 0x7f, v18
	s_cbranch_execz .LBB285_2238
; %bb.2235:                             ;   in Loop: Header=BB285_1571 Depth=1
	v_and_b32_e32 v2, 7, v12
	v_lshrrev_b32_e32 v3, 3, v18
	s_mov_b32 s21, exec_lo
	v_cmpx_gt_u32_e32 8, v18
; %bb.2236:                             ;   in Loop: Header=BB285_1571 Depth=1
	v_ffbh_u32_e32 v2, v2
	v_min_u32_e32 v18, 32, v2
	v_subrev_nc_u32_e32 v2, 28, v18
	v_lshlrev_b64 v[2:3], v2, v[12:13]
	v_sub_nc_u32_e32 v3, 29, v18
	v_and_b32_e32 v2, 7, v2
; %bb.2237:                             ;   in Loop: Header=BB285_1571 Depth=1
	s_or_b32 exec_lo, exec_lo, s21
	v_lshlrev_b32_e32 v18, 8, v12
	v_lshl_add_u32 v3, v3, 10, 0x2000
	v_lshlrev_b32_e32 v2, 7, v2
	v_and_b32_e32 v18, 0x8000, v18
	v_and_b32_e32 v3, 0xfc00, v3
	v_or3_b32 v2, v18, v3, v2
.LBB285_2238:                           ;   in Loop: Header=BB285_1571 Depth=1
	s_or_b32 exec_lo, exec_lo, s20
.LBB285_2239:                           ;   in Loop: Header=BB285_1571 Depth=1
	s_or_b32 exec_lo, exec_lo, s19
.LBB285_2240:                           ;   in Loop: Header=BB285_1571 Depth=1
	s_or_b32 exec_lo, exec_lo, s18
	v_lshrrev_b16 v3, 8, v12
	s_mov_b32 s18, exec_lo
	v_cmpx_ne_u16_e32 0, v3
	s_cbranch_execz .LBB285_2248
; %bb.2241:                             ;   in Loop: Header=BB285_1571 Depth=1
	v_bfrev_b32_e32 v1, 1
	s_mov_b32 s19, exec_lo
	v_cmpx_ne_u16_e32 0x80, v3
	s_cbranch_execz .LBB285_2247
; %bb.2242:                             ;   in Loop: Header=BB285_1571 Depth=1
	v_and_b32_sdwa v19, v3, v81 dst_sel:DWORD dst_unused:UNUSED_PAD src0_sel:WORD_0 src1_sel:DWORD
	v_mov_b32_e32 v1, 0x7c010000
	s_mov_b32 s20, exec_lo
	v_cmpx_ne_u32_e32 0x7f, v19
	s_cbranch_execz .LBB285_2246
; %bb.2243:                             ;   in Loop: Header=BB285_1571 Depth=1
	v_and_b32_sdwa v1, v3, v82 dst_sel:DWORD dst_unused:UNUSED_PAD src0_sel:WORD_0 src1_sel:DWORD
	v_lshrrev_b32_e32 v18, 3, v19
	s_mov_b32 s21, exec_lo
	v_cmpx_gt_u32_e32 8, v19
; %bb.2244:                             ;   in Loop: Header=BB285_1571 Depth=1
	v_ffbh_u32_e32 v1, v1
	v_min_u32_e32 v1, 32, v1
	v_subrev_nc_u32_e32 v18, 28, v1
	v_lshlrev_b64 v[22:23], v18, v[3:4]
	v_sub_nc_u32_e32 v18, 29, v1
	v_and_b32_e32 v1, 7, v22
; %bb.2245:                             ;   in Loop: Header=BB285_1571 Depth=1
	s_or_b32 exec_lo, exec_lo, s21
	v_lshlrev_b32_sdwa v3, v83, v3 dst_sel:DWORD dst_unused:UNUSED_PAD src0_sel:DWORD src1_sel:WORD_0
	v_lshl_add_u32 v18, v18, 10, 0x2000
	v_lshlrev_b32_e32 v1, 23, v1
	v_and_or_b32 v3, 0x8000, v3, v18
	v_lshl_or_b32 v1, v3, 16, v1
.LBB285_2246:                           ;   in Loop: Header=BB285_1571 Depth=1
	s_or_b32 exec_lo, exec_lo, s20
.LBB285_2247:                           ;   in Loop: Header=BB285_1571 Depth=1
	s_or_b32 exec_lo, exec_lo, s19
.LBB285_2248:                           ;   in Loop: Header=BB285_1571 Depth=1
	s_or_b32 exec_lo, exec_lo, s18
	v_lshrrev_b32_e32 v3, 16, v12
	v_mov_b32_e32 v18, 0
	v_mov_b32_e32 v19, 0
	v_cmp_ne_u16_sdwa s4, v3, v4 src0_sel:BYTE_0 src1_sel:DWORD
	s_and_saveexec_b32 s18, s4
	s_cbranch_execz .LBB285_2256
; %bb.2249:                             ;   in Loop: Header=BB285_1571 Depth=1
	v_cmp_ne_u16_sdwa s4, v3, v80 src0_sel:BYTE_0 src1_sel:DWORD
	v_mov_b32_e32 v19, 0x8000
	s_and_saveexec_b32 s19, s4
	s_cbranch_execz .LBB285_2255
; %bb.2250:                             ;   in Loop: Header=BB285_1571 Depth=1
	v_bfe_u32 v33, v12, 16, 7
	v_mov_b32_e32 v19, 0x7c01
	s_mov_b32 s20, exec_lo
	v_cmpx_ne_u32_e32 0x7f, v33
	s_cbranch_execz .LBB285_2254
; %bb.2251:                             ;   in Loop: Header=BB285_1571 Depth=1
	v_and_b32_e32 v19, 7, v3
	v_lshrrev_b32_e32 v31, 3, v33
	s_mov_b32 s21, exec_lo
	v_cmpx_gt_u32_e32 8, v33
; %bb.2252:                             ;   in Loop: Header=BB285_1571 Depth=1
	v_ffbh_u32_e32 v19, v19
	v_min_u32_e32 v19, 32, v19
	v_subrev_nc_u32_e32 v22, 28, v19
	v_sub_nc_u32_e32 v31, 29, v19
	v_lshlrev_b64 v[22:23], v22, v[3:4]
	v_and_b32_e32 v19, 7, v22
; %bb.2253:                             ;   in Loop: Header=BB285_1571 Depth=1
	s_or_b32 exec_lo, exec_lo, s21
	v_lshlrev_b32_e32 v3, 8, v3
	v_lshl_add_u32 v22, v31, 10, 0x2000
	v_lshlrev_b32_e32 v19, 7, v19
	v_and_b32_e32 v3, 0x8000, v3
	v_and_b32_e32 v22, 0xfc00, v22
	v_or3_b32 v19, v3, v22, v19
.LBB285_2254:                           ;   in Loop: Header=BB285_1571 Depth=1
	s_or_b32 exec_lo, exec_lo, s20
.LBB285_2255:                           ;   in Loop: Header=BB285_1571 Depth=1
	s_or_b32 exec_lo, exec_lo, s19
.LBB285_2256:                           ;   in Loop: Header=BB285_1571 Depth=1
	s_or_b32 exec_lo, exec_lo, s18
	s_mov_b32 s18, exec_lo
	v_cmpx_lt_u32_e32 0xffffff, v12
	s_cbranch_execz .LBB285_2264
; %bb.2257:                             ;   in Loop: Header=BB285_1571 Depth=1
	v_lshrrev_b32_e32 v3, 24, v12
	v_bfrev_b32_e32 v18, 1
	s_mov_b32 s19, exec_lo
	v_cmpx_ne_u32_e32 0x80, v3
	s_cbranch_execz .LBB285_2263
; %bb.2258:                             ;   in Loop: Header=BB285_1571 Depth=1
	v_and_b32_e32 v33, 0x7f, v3
	v_mov_b32_e32 v18, 0x7c010000
	s_mov_b32 s20, exec_lo
	v_cmpx_ne_u32_e32 0x7f, v33
	s_cbranch_execz .LBB285_2262
; %bb.2259:                             ;   in Loop: Header=BB285_1571 Depth=1
	v_and_b32_e32 v18, 7, v3
	v_lshrrev_b32_e32 v31, 3, v33
	s_mov_b32 s21, exec_lo
	v_cmpx_gt_u32_e32 8, v33
; %bb.2260:                             ;   in Loop: Header=BB285_1571 Depth=1
	v_ffbh_u32_e32 v18, v18
	v_min_u32_e32 v18, 32, v18
	v_subrev_nc_u32_e32 v22, 28, v18
	v_sub_nc_u32_e32 v31, 29, v18
	v_lshlrev_b64 v[22:23], v22, v[3:4]
	v_and_b32_e32 v18, 7, v22
; %bb.2261:                             ;   in Loop: Header=BB285_1571 Depth=1
	s_or_b32 exec_lo, exec_lo, s21
	v_lshlrev_b32_e32 v3, 8, v3
	v_lshl_add_u32 v22, v31, 10, 0x2000
	v_lshlrev_b32_e32 v18, 23, v18
	v_and_or_b32 v3, 0x8000, v3, v22
	v_lshl_or_b32 v18, v3, 16, v18
.LBB285_2262:                           ;   in Loop: Header=BB285_1571 Depth=1
	s_or_b32 exec_lo, exec_lo, s20
.LBB285_2263:                           ;   in Loop: Header=BB285_1571 Depth=1
	s_or_b32 exec_lo, exec_lo, s19
.LBB285_2264:                           ;   in Loop: Header=BB285_1571 Depth=1
	s_or_b32 exec_lo, exec_lo, s18
	v_mov_b32_e32 v3, v13
	v_cmp_ne_u16_sdwa s4, v13, v4 src0_sel:BYTE_0 src1_sel:DWORD
	v_mov_b32_e32 v31, 0
	v_mov_b32_e32 v33, 0
	s_and_saveexec_b32 s18, s4
	s_cbranch_execz .LBB285_2272
; %bb.2265:                             ;   in Loop: Header=BB285_1571 Depth=1
	v_cmp_ne_u16_sdwa s4, v13, v80 src0_sel:BYTE_0 src1_sel:DWORD
	v_mov_b32_e32 v33, 0x8000
	s_and_saveexec_b32 s19, s4
	s_cbranch_execz .LBB285_2271
; %bb.2266:                             ;   in Loop: Header=BB285_1571 Depth=1
	v_and_b32_e32 v36, 0x7f, v13
	v_mov_b32_e32 v33, 0x7c01
	s_mov_b32 s20, exec_lo
	v_cmpx_ne_u32_e32 0x7f, v36
	s_cbranch_execz .LBB285_2270
; %bb.2267:                             ;   in Loop: Header=BB285_1571 Depth=1
	v_and_b32_e32 v33, 7, v13
	v_lshrrev_b32_e32 v34, 3, v36
	s_mov_b32 s21, exec_lo
	v_cmpx_gt_u32_e32 8, v36
; %bb.2268:                             ;   in Loop: Header=BB285_1571 Depth=1
	v_ffbh_u32_e32 v22, v33
	v_min_u32_e32 v33, 32, v22
	v_subrev_nc_u32_e32 v22, 28, v33
	v_sub_nc_u32_e32 v34, 29, v33
	v_lshlrev_b64 v[22:23], v22, v[3:4]
	v_and_b32_e32 v33, 7, v22
; %bb.2269:                             ;   in Loop: Header=BB285_1571 Depth=1
	s_or_b32 exec_lo, exec_lo, s21
	v_lshlrev_b32_e32 v22, 8, v13
	v_lshl_add_u32 v23, v34, 10, 0x2000
	v_lshlrev_b32_e32 v33, 7, v33
	v_and_b32_e32 v22, 0x8000, v22
	v_and_b32_e32 v23, 0xfc00, v23
	v_or3_b32 v33, v22, v23, v33
.LBB285_2270:                           ;   in Loop: Header=BB285_1571 Depth=1
	s_or_b32 exec_lo, exec_lo, s20
.LBB285_2271:                           ;   in Loop: Header=BB285_1571 Depth=1
	s_or_b32 exec_lo, exec_lo, s19
.LBB285_2272:                           ;   in Loop: Header=BB285_1571 Depth=1
	s_or_b32 exec_lo, exec_lo, s18
	v_lshrrev_b16 v3, 8, v3
	v_mov_b32_e32 v34, 0
	s_mov_b32 s18, exec_lo
	v_cmpx_ne_u16_e32 0, v3
	s_cbranch_execz .LBB285_2280
; %bb.2273:                             ;   in Loop: Header=BB285_1571 Depth=1
	v_bfrev_b32_e32 v34, 1
	s_mov_b32 s19, exec_lo
	v_cmpx_ne_u16_e32 0x80, v3
	s_cbranch_execz .LBB285_2279
; %bb.2274:                             ;   in Loop: Header=BB285_1571 Depth=1
	v_and_b32_sdwa v37, v3, v81 dst_sel:DWORD dst_unused:UNUSED_PAD src0_sel:WORD_0 src1_sel:DWORD
	v_mov_b32_e32 v34, 0x7c010000
	s_mov_b32 s20, exec_lo
	v_cmpx_ne_u32_e32 0x7f, v37
	s_cbranch_execz .LBB285_2278
; %bb.2275:                             ;   in Loop: Header=BB285_1571 Depth=1
	v_and_b32_sdwa v34, v3, v82 dst_sel:DWORD dst_unused:UNUSED_PAD src0_sel:WORD_0 src1_sel:DWORD
	v_lshrrev_b32_e32 v36, 3, v37
	s_mov_b32 s21, exec_lo
	v_cmpx_gt_u32_e32 8, v37
; %bb.2276:                             ;   in Loop: Header=BB285_1571 Depth=1
	v_ffbh_u32_e32 v22, v34
	v_min_u32_e32 v34, 32, v22
	v_subrev_nc_u32_e32 v22, 28, v34
	v_sub_nc_u32_e32 v36, 29, v34
	v_lshlrev_b64 v[22:23], v22, v[3:4]
	v_and_b32_e32 v34, 7, v22
; %bb.2277:                             ;   in Loop: Header=BB285_1571 Depth=1
	s_or_b32 exec_lo, exec_lo, s21
	v_lshlrev_b32_sdwa v3, v83, v3 dst_sel:DWORD dst_unused:UNUSED_PAD src0_sel:DWORD src1_sel:WORD_0
	v_lshl_add_u32 v22, v36, 10, 0x2000
	v_and_or_b32 v3, 0x8000, v3, v22
	v_lshlrev_b32_e32 v22, 23, v34
	v_lshl_or_b32 v34, v3, 16, v22
.LBB285_2278:                           ;   in Loop: Header=BB285_1571 Depth=1
	s_or_b32 exec_lo, exec_lo, s20
.LBB285_2279:                           ;   in Loop: Header=BB285_1571 Depth=1
	s_or_b32 exec_lo, exec_lo, s19
.LBB285_2280:                           ;   in Loop: Header=BB285_1571 Depth=1
	s_or_b32 exec_lo, exec_lo, s18
	v_lshrrev_b32_e32 v3, 16, v13
	v_cmp_ne_u16_sdwa s4, v3, v4 src0_sel:BYTE_0 src1_sel:DWORD
	s_and_saveexec_b32 s18, s4
	s_cbranch_execz .LBB285_2288
; %bb.2281:                             ;   in Loop: Header=BB285_1571 Depth=1
	v_cmp_ne_u16_sdwa s4, v3, v80 src0_sel:BYTE_0 src1_sel:DWORD
	v_mov_b32_e32 v31, 0x8000
	s_and_saveexec_b32 s19, s4
	s_cbranch_execz .LBB285_2287
; %bb.2282:                             ;   in Loop: Header=BB285_1571 Depth=1
	v_bfe_u32 v37, v13, 16, 7
	v_mov_b32_e32 v31, 0x7c01
	s_mov_b32 s20, exec_lo
	v_cmpx_ne_u32_e32 0x7f, v37
	s_cbranch_execz .LBB285_2286
; %bb.2283:                             ;   in Loop: Header=BB285_1571 Depth=1
	v_and_b32_e32 v31, 7, v3
	v_lshrrev_b32_e32 v36, 3, v37
	s_mov_b32 s21, exec_lo
	v_cmpx_gt_u32_e32 8, v37
; %bb.2284:                             ;   in Loop: Header=BB285_1571 Depth=1
	v_ffbh_u32_e32 v22, v31
	v_min_u32_e32 v31, 32, v22
	v_subrev_nc_u32_e32 v22, 28, v31
	v_sub_nc_u32_e32 v36, 29, v31
	v_lshlrev_b64 v[22:23], v22, v[3:4]
	v_and_b32_e32 v31, 7, v22
; %bb.2285:                             ;   in Loop: Header=BB285_1571 Depth=1
	s_or_b32 exec_lo, exec_lo, s21
	v_lshlrev_b32_e32 v3, 8, v3
	v_lshl_add_u32 v22, v36, 10, 0x2000
	v_lshlrev_b32_e32 v23, 7, v31
	v_and_b32_e32 v3, 0x8000, v3
	v_and_b32_e32 v22, 0xfc00, v22
	v_or3_b32 v31, v3, v22, v23
.LBB285_2286:                           ;   in Loop: Header=BB285_1571 Depth=1
	s_or_b32 exec_lo, exec_lo, s20
.LBB285_2287:                           ;   in Loop: Header=BB285_1571 Depth=1
	s_or_b32 exec_lo, exec_lo, s19
.LBB285_2288:                           ;   in Loop: Header=BB285_1571 Depth=1
	s_or_b32 exec_lo, exec_lo, s18
	v_cmp_lt_u64_e64 s4, s[6:7], v[12:13]
	v_mov_b32_e32 v12, 0
	s_and_saveexec_b32 s18, s4
	s_cbranch_execz .LBB285_2296
; %bb.2289:                             ;   in Loop: Header=BB285_1571 Depth=1
	v_lshrrev_b32_e32 v3, 24, v13
	v_bfrev_b32_e32 v12, 1
	s_mov_b32 s19, exec_lo
	v_cmpx_ne_u32_e32 0x80, v3
	s_cbranch_execz .LBB285_2295
; %bb.2290:                             ;   in Loop: Header=BB285_1571 Depth=1
	v_and_b32_e32 v36, 0x7f, v3
	v_mov_b32_e32 v12, 0x7c010000
	s_mov_b32 s20, exec_lo
	v_cmpx_ne_u32_e32 0x7f, v36
	s_cbranch_execz .LBB285_2294
; %bb.2291:                             ;   in Loop: Header=BB285_1571 Depth=1
	v_and_b32_e32 v12, 7, v3
	v_lshrrev_b32_e32 v13, 3, v36
	s_mov_b32 s21, exec_lo
	v_cmpx_gt_u32_e32 8, v36
; %bb.2292:                             ;   in Loop: Header=BB285_1571 Depth=1
	v_ffbh_u32_e32 v12, v12
	v_min_u32_e32 v22, 32, v12
	v_subrev_nc_u32_e32 v12, 28, v22
	v_lshlrev_b64 v[12:13], v12, v[3:4]
	v_sub_nc_u32_e32 v13, 29, v22
	v_and_b32_e32 v12, 7, v12
; %bb.2293:                             ;   in Loop: Header=BB285_1571 Depth=1
	s_or_b32 exec_lo, exec_lo, s21
	v_lshlrev_b32_e32 v3, 8, v3
	v_lshl_add_u32 v13, v13, 10, 0x2000
	v_lshlrev_b32_e32 v12, 23, v12
	v_and_or_b32 v3, 0x8000, v3, v13
	v_lshl_or_b32 v12, v3, 16, v12
.LBB285_2294:                           ;   in Loop: Header=BB285_1571 Depth=1
	s_or_b32 exec_lo, exec_lo, s20
.LBB285_2295:                           ;   in Loop: Header=BB285_1571 Depth=1
	s_or_b32 exec_lo, exec_lo, s19
.LBB285_2296:                           ;   in Loop: Header=BB285_1571 Depth=1
	s_or_b32 exec_lo, exec_lo, s18
	v_or_b32_e32 v3, v18, v19
	s_waitcnt vmcnt(0) lgkmcnt(0)
	v_fma_mixlo_f16 v13, v0, v18, 0 op_sel:[0,1,0] op_sel_hi:[0,1,0]
	v_or_b32_e32 v2, v1, v2
	v_fma_mixlo_f16 v18, v0, v1, 0 op_sel:[0,1,0] op_sel_hi:[0,1,0]
	v_or_b32_e32 v19, v34, v33
	v_fma_mixlo_f16 v3, v0, v3, 0 op_sel_hi:[0,1,0]
	v_or_b32_e32 v22, v12, v31
	v_lshlrev_b32_e32 v1, 16, v13
	v_lshlrev_b32_e32 v13, 16, v18
	v_fma_mixlo_f16 v18, v0, v2, 0 op_sel_hi:[0,1,0]
	v_and_b32_e32 v2, 0xffff, v3
	v_fma_mixlo_f16 v3, v0, v34, 0 op_sel:[0,1,0] op_sel_hi:[0,1,0]
	v_fma_mixlo_f16 v19, v0, v19, 0 op_sel_hi:[0,1,0]
	v_fma_mixlo_f16 v12, v0, v12, 0 op_sel:[0,1,0] op_sel_hi:[0,1,0]
	v_fma_mixlo_f16 v22, v0, v22, 0 op_sel_hi:[0,1,0]
	v_and_b32_e32 v36, 0xffff, v18
	v_lshlrev_b32_e32 v3, 16, v3
	v_and_b32_e32 v19, 0xffff, v19
	v_lshlrev_b32_e32 v0, 16, v12
	v_and_b32_e32 v12, 0xffff, v22
	v_or_b32_e32 v18, v1, v2
	v_or_b32_e32 v34, v13, v36
	v_or_b32_e32 v33, v3, v19
	v_or_b32_e32 v31, v0, v12
	s_and_saveexec_b32 s18, vcc_lo
	s_cbranch_execz .LBB285_2298
; %bb.2297:                             ;   in Loop: Header=BB285_1571 Depth=1
	v_cmp_lt_i32_e64 s4, v86, v32
	v_cndmask_b32_e64 v18, 0, v36, s4
	v_cmp_lt_i32_e64 s4, v115, v32
	v_cndmask_b32_e64 v13, 0, v13, s4
	v_cmp_lt_i32_e64 s4, v114, v32
	v_or_b32_e32 v34, v18, v13
	v_cndmask_b32_e64 v2, 0, v2, s4
	v_cmp_lt_i32_e64 s4, v113, v32
	v_cndmask_b32_e64 v1, 0, v1, s4
	v_cmp_lt_i32_e64 s4, v112, v32
	v_or_b32_e32 v18, v2, v1
	v_cndmask_b32_e64 v19, 0, v19, s4
	v_cmp_lt_i32_e64 s4, v103, v32
	v_cndmask_b32_e64 v3, 0, v3, s4
	v_cmp_lt_i32_e64 s4, v102, v32
	v_or_b32_e32 v33, v19, v3
	v_cndmask_b32_e64 v12, 0, v12, s4
	v_cmp_lt_i32_e64 s4, v101, v32
	v_cndmask_b32_e64 v0, 0, v0, s4
	v_or_b32_e32 v31, v12, v0
.LBB285_2298:                           ;   in Loop: Header=BB285_1571 Depth=1
	s_or_b32 exec_lo, exec_lo, s18
	;;#ASMSTART
	v_pk_mul_f16 v0, v100, v34;

	;;#ASMEND
	;;#ASMSTART
	v_pk_mul_f16 v1, v99, v18;

	;;#ASMEND
	;; [unrolled: 4-line block ×4, first 2 shown]
	;;#ASMSTART
	v_pk_add_f16 v0, v0, v1;

	;;#ASMEND
	;;#ASMSTART
	v_pk_add_f16 v0, v0, v2;

	;;#ASMEND
	;; [unrolled: 4-line block ×3, first 2 shown]
	v_and_b32_e32 v1, 0xffff, v0
	v_lshrrev_b32_e32 v0, 16, v0
	;;#ASMSTART
	v_cvt_f32_f16 v62, v1;
	;;#ASMEND
	;;#ASMSTART
	v_cvt_f32_f16 v61, v0;
	;;#ASMEND
	flat_load_dwordx2 v[12:13], v[10:11] offset:768
	flat_load_dword v0, v[109:110]
	v_mov_b32_e32 v1, 0
	v_mov_b32_e32 v2, 0
	s_waitcnt vmcnt(1) lgkmcnt(1)
	v_cmp_ne_u16_sdwa s4, v12, v4 src0_sel:BYTE_0 src1_sel:DWORD
	s_and_saveexec_b32 s18, s4
	s_cbranch_execz .LBB285_2306
; %bb.2299:                             ;   in Loop: Header=BB285_1571 Depth=1
	v_cmp_ne_u16_sdwa s4, v12, v80 src0_sel:BYTE_0 src1_sel:DWORD
	v_mov_b32_e32 v2, 0x8000
	s_and_saveexec_b32 s19, s4
	s_cbranch_execz .LBB285_2305
; %bb.2300:                             ;   in Loop: Header=BB285_1571 Depth=1
	v_and_b32_e32 v18, 0x7f, v12
	v_mov_b32_e32 v2, 0x7c01
	s_mov_b32 s20, exec_lo
	v_cmpx_ne_u32_e32 0x7f, v18
	s_cbranch_execz .LBB285_2304
; %bb.2301:                             ;   in Loop: Header=BB285_1571 Depth=1
	v_and_b32_e32 v2, 7, v12
	v_lshrrev_b32_e32 v3, 3, v18
	s_mov_b32 s21, exec_lo
	v_cmpx_gt_u32_e32 8, v18
; %bb.2302:                             ;   in Loop: Header=BB285_1571 Depth=1
	v_ffbh_u32_e32 v2, v2
	v_min_u32_e32 v18, 32, v2
	v_subrev_nc_u32_e32 v2, 28, v18
	v_lshlrev_b64 v[2:3], v2, v[12:13]
	v_sub_nc_u32_e32 v3, 29, v18
	v_and_b32_e32 v2, 7, v2
; %bb.2303:                             ;   in Loop: Header=BB285_1571 Depth=1
	s_or_b32 exec_lo, exec_lo, s21
	v_lshlrev_b32_e32 v18, 8, v12
	v_lshl_add_u32 v3, v3, 10, 0x2000
	v_lshlrev_b32_e32 v2, 7, v2
	v_and_b32_e32 v18, 0x8000, v18
	v_and_b32_e32 v3, 0xfc00, v3
	v_or3_b32 v2, v18, v3, v2
.LBB285_2304:                           ;   in Loop: Header=BB285_1571 Depth=1
	s_or_b32 exec_lo, exec_lo, s20
.LBB285_2305:                           ;   in Loop: Header=BB285_1571 Depth=1
	s_or_b32 exec_lo, exec_lo, s19
.LBB285_2306:                           ;   in Loop: Header=BB285_1571 Depth=1
	s_or_b32 exec_lo, exec_lo, s18
	v_lshrrev_b16 v3, 8, v12
	s_mov_b32 s18, exec_lo
	v_cmpx_ne_u16_e32 0, v3
	s_cbranch_execz .LBB285_2314
; %bb.2307:                             ;   in Loop: Header=BB285_1571 Depth=1
	v_bfrev_b32_e32 v1, 1
	s_mov_b32 s19, exec_lo
	v_cmpx_ne_u16_e32 0x80, v3
	s_cbranch_execz .LBB285_2313
; %bb.2308:                             ;   in Loop: Header=BB285_1571 Depth=1
	v_and_b32_sdwa v19, v3, v81 dst_sel:DWORD dst_unused:UNUSED_PAD src0_sel:WORD_0 src1_sel:DWORD
	v_mov_b32_e32 v1, 0x7c010000
	s_mov_b32 s20, exec_lo
	v_cmpx_ne_u32_e32 0x7f, v19
	s_cbranch_execz .LBB285_2312
; %bb.2309:                             ;   in Loop: Header=BB285_1571 Depth=1
	v_and_b32_sdwa v1, v3, v82 dst_sel:DWORD dst_unused:UNUSED_PAD src0_sel:WORD_0 src1_sel:DWORD
	v_lshrrev_b32_e32 v18, 3, v19
	s_mov_b32 s21, exec_lo
	v_cmpx_gt_u32_e32 8, v19
; %bb.2310:                             ;   in Loop: Header=BB285_1571 Depth=1
	v_ffbh_u32_e32 v1, v1
	v_min_u32_e32 v1, 32, v1
	v_subrev_nc_u32_e32 v18, 28, v1
	v_lshlrev_b64 v[22:23], v18, v[3:4]
	v_sub_nc_u32_e32 v18, 29, v1
	v_and_b32_e32 v1, 7, v22
; %bb.2311:                             ;   in Loop: Header=BB285_1571 Depth=1
	s_or_b32 exec_lo, exec_lo, s21
	v_lshlrev_b32_sdwa v3, v83, v3 dst_sel:DWORD dst_unused:UNUSED_PAD src0_sel:DWORD src1_sel:WORD_0
	v_lshl_add_u32 v18, v18, 10, 0x2000
	v_lshlrev_b32_e32 v1, 23, v1
	v_and_or_b32 v3, 0x8000, v3, v18
	v_lshl_or_b32 v1, v3, 16, v1
.LBB285_2312:                           ;   in Loop: Header=BB285_1571 Depth=1
	s_or_b32 exec_lo, exec_lo, s20
.LBB285_2313:                           ;   in Loop: Header=BB285_1571 Depth=1
	s_or_b32 exec_lo, exec_lo, s19
.LBB285_2314:                           ;   in Loop: Header=BB285_1571 Depth=1
	s_or_b32 exec_lo, exec_lo, s18
	v_lshrrev_b32_e32 v3, 16, v12
	v_mov_b32_e32 v18, 0
	v_mov_b32_e32 v19, 0
	v_cmp_ne_u16_sdwa s4, v3, v4 src0_sel:BYTE_0 src1_sel:DWORD
	s_and_saveexec_b32 s18, s4
	s_cbranch_execz .LBB285_2322
; %bb.2315:                             ;   in Loop: Header=BB285_1571 Depth=1
	v_cmp_ne_u16_sdwa s4, v3, v80 src0_sel:BYTE_0 src1_sel:DWORD
	v_mov_b32_e32 v19, 0x8000
	s_and_saveexec_b32 s19, s4
	s_cbranch_execz .LBB285_2321
; %bb.2316:                             ;   in Loop: Header=BB285_1571 Depth=1
	v_bfe_u32 v33, v12, 16, 7
	v_mov_b32_e32 v19, 0x7c01
	s_mov_b32 s20, exec_lo
	v_cmpx_ne_u32_e32 0x7f, v33
	s_cbranch_execz .LBB285_2320
; %bb.2317:                             ;   in Loop: Header=BB285_1571 Depth=1
	v_and_b32_e32 v19, 7, v3
	v_lshrrev_b32_e32 v31, 3, v33
	s_mov_b32 s21, exec_lo
	v_cmpx_gt_u32_e32 8, v33
; %bb.2318:                             ;   in Loop: Header=BB285_1571 Depth=1
	v_ffbh_u32_e32 v19, v19
	v_min_u32_e32 v19, 32, v19
	v_subrev_nc_u32_e32 v22, 28, v19
	v_sub_nc_u32_e32 v31, 29, v19
	v_lshlrev_b64 v[22:23], v22, v[3:4]
	v_and_b32_e32 v19, 7, v22
; %bb.2319:                             ;   in Loop: Header=BB285_1571 Depth=1
	s_or_b32 exec_lo, exec_lo, s21
	v_lshlrev_b32_e32 v3, 8, v3
	v_lshl_add_u32 v22, v31, 10, 0x2000
	v_lshlrev_b32_e32 v19, 7, v19
	v_and_b32_e32 v3, 0x8000, v3
	v_and_b32_e32 v22, 0xfc00, v22
	v_or3_b32 v19, v3, v22, v19
.LBB285_2320:                           ;   in Loop: Header=BB285_1571 Depth=1
	s_or_b32 exec_lo, exec_lo, s20
.LBB285_2321:                           ;   in Loop: Header=BB285_1571 Depth=1
	s_or_b32 exec_lo, exec_lo, s19
.LBB285_2322:                           ;   in Loop: Header=BB285_1571 Depth=1
	s_or_b32 exec_lo, exec_lo, s18
	s_mov_b32 s18, exec_lo
	v_cmpx_lt_u32_e32 0xffffff, v12
	s_cbranch_execz .LBB285_2330
; %bb.2323:                             ;   in Loop: Header=BB285_1571 Depth=1
	v_lshrrev_b32_e32 v3, 24, v12
	v_bfrev_b32_e32 v18, 1
	s_mov_b32 s19, exec_lo
	v_cmpx_ne_u32_e32 0x80, v3
	s_cbranch_execz .LBB285_2329
; %bb.2324:                             ;   in Loop: Header=BB285_1571 Depth=1
	v_and_b32_e32 v33, 0x7f, v3
	v_mov_b32_e32 v18, 0x7c010000
	s_mov_b32 s20, exec_lo
	v_cmpx_ne_u32_e32 0x7f, v33
	s_cbranch_execz .LBB285_2328
; %bb.2325:                             ;   in Loop: Header=BB285_1571 Depth=1
	v_and_b32_e32 v18, 7, v3
	v_lshrrev_b32_e32 v31, 3, v33
	s_mov_b32 s21, exec_lo
	v_cmpx_gt_u32_e32 8, v33
; %bb.2326:                             ;   in Loop: Header=BB285_1571 Depth=1
	v_ffbh_u32_e32 v18, v18
	v_min_u32_e32 v18, 32, v18
	v_subrev_nc_u32_e32 v22, 28, v18
	v_sub_nc_u32_e32 v31, 29, v18
	v_lshlrev_b64 v[22:23], v22, v[3:4]
	v_and_b32_e32 v18, 7, v22
; %bb.2327:                             ;   in Loop: Header=BB285_1571 Depth=1
	s_or_b32 exec_lo, exec_lo, s21
	v_lshlrev_b32_e32 v3, 8, v3
	v_lshl_add_u32 v22, v31, 10, 0x2000
	v_lshlrev_b32_e32 v18, 23, v18
	v_and_or_b32 v3, 0x8000, v3, v22
	v_lshl_or_b32 v18, v3, 16, v18
.LBB285_2328:                           ;   in Loop: Header=BB285_1571 Depth=1
	s_or_b32 exec_lo, exec_lo, s20
.LBB285_2329:                           ;   in Loop: Header=BB285_1571 Depth=1
	s_or_b32 exec_lo, exec_lo, s19
.LBB285_2330:                           ;   in Loop: Header=BB285_1571 Depth=1
	s_or_b32 exec_lo, exec_lo, s18
	v_mov_b32_e32 v3, v13
	v_cmp_ne_u16_sdwa s4, v13, v4 src0_sel:BYTE_0 src1_sel:DWORD
	v_mov_b32_e32 v31, 0
	v_mov_b32_e32 v33, 0
	s_and_saveexec_b32 s18, s4
	s_cbranch_execz .LBB285_2338
; %bb.2331:                             ;   in Loop: Header=BB285_1571 Depth=1
	v_cmp_ne_u16_sdwa s4, v13, v80 src0_sel:BYTE_0 src1_sel:DWORD
	v_mov_b32_e32 v33, 0x8000
	s_and_saveexec_b32 s19, s4
	s_cbranch_execz .LBB285_2337
; %bb.2332:                             ;   in Loop: Header=BB285_1571 Depth=1
	v_and_b32_e32 v36, 0x7f, v13
	v_mov_b32_e32 v33, 0x7c01
	s_mov_b32 s20, exec_lo
	v_cmpx_ne_u32_e32 0x7f, v36
	s_cbranch_execz .LBB285_2336
; %bb.2333:                             ;   in Loop: Header=BB285_1571 Depth=1
	v_and_b32_e32 v33, 7, v13
	v_lshrrev_b32_e32 v34, 3, v36
	s_mov_b32 s21, exec_lo
	v_cmpx_gt_u32_e32 8, v36
; %bb.2334:                             ;   in Loop: Header=BB285_1571 Depth=1
	v_ffbh_u32_e32 v22, v33
	v_min_u32_e32 v33, 32, v22
	v_subrev_nc_u32_e32 v22, 28, v33
	v_sub_nc_u32_e32 v34, 29, v33
	v_lshlrev_b64 v[22:23], v22, v[3:4]
	v_and_b32_e32 v33, 7, v22
; %bb.2335:                             ;   in Loop: Header=BB285_1571 Depth=1
	s_or_b32 exec_lo, exec_lo, s21
	v_lshlrev_b32_e32 v22, 8, v13
	v_lshl_add_u32 v23, v34, 10, 0x2000
	v_lshlrev_b32_e32 v33, 7, v33
	v_and_b32_e32 v22, 0x8000, v22
	v_and_b32_e32 v23, 0xfc00, v23
	v_or3_b32 v33, v22, v23, v33
.LBB285_2336:                           ;   in Loop: Header=BB285_1571 Depth=1
	s_or_b32 exec_lo, exec_lo, s20
.LBB285_2337:                           ;   in Loop: Header=BB285_1571 Depth=1
	s_or_b32 exec_lo, exec_lo, s19
.LBB285_2338:                           ;   in Loop: Header=BB285_1571 Depth=1
	s_or_b32 exec_lo, exec_lo, s18
	v_lshrrev_b16 v3, 8, v3
	v_mov_b32_e32 v34, 0
	s_mov_b32 s18, exec_lo
	v_cmpx_ne_u16_e32 0, v3
	s_cbranch_execz .LBB285_2346
; %bb.2339:                             ;   in Loop: Header=BB285_1571 Depth=1
	v_bfrev_b32_e32 v34, 1
	s_mov_b32 s19, exec_lo
	v_cmpx_ne_u16_e32 0x80, v3
	s_cbranch_execz .LBB285_2345
; %bb.2340:                             ;   in Loop: Header=BB285_1571 Depth=1
	v_and_b32_sdwa v37, v3, v81 dst_sel:DWORD dst_unused:UNUSED_PAD src0_sel:WORD_0 src1_sel:DWORD
	v_mov_b32_e32 v34, 0x7c010000
	s_mov_b32 s20, exec_lo
	v_cmpx_ne_u32_e32 0x7f, v37
	s_cbranch_execz .LBB285_2344
; %bb.2341:                             ;   in Loop: Header=BB285_1571 Depth=1
	v_and_b32_sdwa v34, v3, v82 dst_sel:DWORD dst_unused:UNUSED_PAD src0_sel:WORD_0 src1_sel:DWORD
	v_lshrrev_b32_e32 v36, 3, v37
	s_mov_b32 s21, exec_lo
	v_cmpx_gt_u32_e32 8, v37
; %bb.2342:                             ;   in Loop: Header=BB285_1571 Depth=1
	v_ffbh_u32_e32 v22, v34
	v_min_u32_e32 v34, 32, v22
	v_subrev_nc_u32_e32 v22, 28, v34
	v_sub_nc_u32_e32 v36, 29, v34
	v_lshlrev_b64 v[22:23], v22, v[3:4]
	v_and_b32_e32 v34, 7, v22
; %bb.2343:                             ;   in Loop: Header=BB285_1571 Depth=1
	s_or_b32 exec_lo, exec_lo, s21
	v_lshlrev_b32_sdwa v3, v83, v3 dst_sel:DWORD dst_unused:UNUSED_PAD src0_sel:DWORD src1_sel:WORD_0
	v_lshl_add_u32 v22, v36, 10, 0x2000
	v_and_or_b32 v3, 0x8000, v3, v22
	v_lshlrev_b32_e32 v22, 23, v34
	v_lshl_or_b32 v34, v3, 16, v22
.LBB285_2344:                           ;   in Loop: Header=BB285_1571 Depth=1
	s_or_b32 exec_lo, exec_lo, s20
.LBB285_2345:                           ;   in Loop: Header=BB285_1571 Depth=1
	s_or_b32 exec_lo, exec_lo, s19
.LBB285_2346:                           ;   in Loop: Header=BB285_1571 Depth=1
	s_or_b32 exec_lo, exec_lo, s18
	v_lshrrev_b32_e32 v3, 16, v13
	v_cmp_ne_u16_sdwa s4, v3, v4 src0_sel:BYTE_0 src1_sel:DWORD
	s_and_saveexec_b32 s18, s4
	s_cbranch_execz .LBB285_2354
; %bb.2347:                             ;   in Loop: Header=BB285_1571 Depth=1
	v_cmp_ne_u16_sdwa s4, v3, v80 src0_sel:BYTE_0 src1_sel:DWORD
	v_mov_b32_e32 v31, 0x8000
	s_and_saveexec_b32 s19, s4
	s_cbranch_execz .LBB285_2353
; %bb.2348:                             ;   in Loop: Header=BB285_1571 Depth=1
	v_bfe_u32 v37, v13, 16, 7
	v_mov_b32_e32 v31, 0x7c01
	s_mov_b32 s20, exec_lo
	v_cmpx_ne_u32_e32 0x7f, v37
	s_cbranch_execz .LBB285_2352
; %bb.2349:                             ;   in Loop: Header=BB285_1571 Depth=1
	v_and_b32_e32 v31, 7, v3
	v_lshrrev_b32_e32 v36, 3, v37
	s_mov_b32 s21, exec_lo
	v_cmpx_gt_u32_e32 8, v37
; %bb.2350:                             ;   in Loop: Header=BB285_1571 Depth=1
	v_ffbh_u32_e32 v22, v31
	v_min_u32_e32 v31, 32, v22
	v_subrev_nc_u32_e32 v22, 28, v31
	v_sub_nc_u32_e32 v36, 29, v31
	v_lshlrev_b64 v[22:23], v22, v[3:4]
	v_and_b32_e32 v31, 7, v22
; %bb.2351:                             ;   in Loop: Header=BB285_1571 Depth=1
	s_or_b32 exec_lo, exec_lo, s21
	v_lshlrev_b32_e32 v3, 8, v3
	v_lshl_add_u32 v22, v36, 10, 0x2000
	v_lshlrev_b32_e32 v23, 7, v31
	v_and_b32_e32 v3, 0x8000, v3
	v_and_b32_e32 v22, 0xfc00, v22
	v_or3_b32 v31, v3, v22, v23
.LBB285_2352:                           ;   in Loop: Header=BB285_1571 Depth=1
	s_or_b32 exec_lo, exec_lo, s20
.LBB285_2353:                           ;   in Loop: Header=BB285_1571 Depth=1
	s_or_b32 exec_lo, exec_lo, s19
.LBB285_2354:                           ;   in Loop: Header=BB285_1571 Depth=1
	s_or_b32 exec_lo, exec_lo, s18
	v_cmp_lt_u64_e64 s4, s[6:7], v[12:13]
	v_mov_b32_e32 v12, 0
	s_and_saveexec_b32 s18, s4
	s_cbranch_execz .LBB285_2362
; %bb.2355:                             ;   in Loop: Header=BB285_1571 Depth=1
	v_lshrrev_b32_e32 v3, 24, v13
	v_bfrev_b32_e32 v12, 1
	s_mov_b32 s19, exec_lo
	v_cmpx_ne_u32_e32 0x80, v3
	s_cbranch_execz .LBB285_2361
; %bb.2356:                             ;   in Loop: Header=BB285_1571 Depth=1
	v_and_b32_e32 v36, 0x7f, v3
	v_mov_b32_e32 v12, 0x7c010000
	s_mov_b32 s20, exec_lo
	v_cmpx_ne_u32_e32 0x7f, v36
	s_cbranch_execz .LBB285_2360
; %bb.2357:                             ;   in Loop: Header=BB285_1571 Depth=1
	v_and_b32_e32 v12, 7, v3
	v_lshrrev_b32_e32 v13, 3, v36
	s_mov_b32 s21, exec_lo
	v_cmpx_gt_u32_e32 8, v36
; %bb.2358:                             ;   in Loop: Header=BB285_1571 Depth=1
	v_ffbh_u32_e32 v12, v12
	v_min_u32_e32 v22, 32, v12
	v_subrev_nc_u32_e32 v12, 28, v22
	v_lshlrev_b64 v[12:13], v12, v[3:4]
	v_sub_nc_u32_e32 v13, 29, v22
	v_and_b32_e32 v12, 7, v12
; %bb.2359:                             ;   in Loop: Header=BB285_1571 Depth=1
	s_or_b32 exec_lo, exec_lo, s21
	v_lshlrev_b32_e32 v3, 8, v3
	v_lshl_add_u32 v13, v13, 10, 0x2000
	v_lshlrev_b32_e32 v12, 23, v12
	v_and_or_b32 v3, 0x8000, v3, v13
	v_lshl_or_b32 v12, v3, 16, v12
.LBB285_2360:                           ;   in Loop: Header=BB285_1571 Depth=1
	s_or_b32 exec_lo, exec_lo, s20
.LBB285_2361:                           ;   in Loop: Header=BB285_1571 Depth=1
	s_or_b32 exec_lo, exec_lo, s19
.LBB285_2362:                           ;   in Loop: Header=BB285_1571 Depth=1
	s_or_b32 exec_lo, exec_lo, s18
	v_or_b32_e32 v3, v18, v19
	s_waitcnt vmcnt(0) lgkmcnt(0)
	v_fma_mixlo_f16 v13, v0, v18, 0 op_sel:[0,1,0] op_sel_hi:[0,1,0]
	v_or_b32_e32 v2, v1, v2
	v_fma_mixlo_f16 v18, v0, v1, 0 op_sel:[0,1,0] op_sel_hi:[0,1,0]
	v_or_b32_e32 v19, v34, v33
	v_fma_mixlo_f16 v3, v0, v3, 0 op_sel_hi:[0,1,0]
	v_or_b32_e32 v22, v12, v31
	v_lshlrev_b32_e32 v1, 16, v13
	v_lshlrev_b32_e32 v13, 16, v18
	v_fma_mixlo_f16 v18, v0, v2, 0 op_sel_hi:[0,1,0]
	v_and_b32_e32 v2, 0xffff, v3
	v_fma_mixlo_f16 v3, v0, v34, 0 op_sel:[0,1,0] op_sel_hi:[0,1,0]
	v_fma_mixlo_f16 v19, v0, v19, 0 op_sel_hi:[0,1,0]
	v_fma_mixlo_f16 v12, v0, v12, 0 op_sel:[0,1,0] op_sel_hi:[0,1,0]
	v_fma_mixlo_f16 v22, v0, v22, 0 op_sel_hi:[0,1,0]
	v_and_b32_e32 v36, 0xffff, v18
	v_lshlrev_b32_e32 v3, 16, v3
	v_and_b32_e32 v19, 0xffff, v19
	v_lshlrev_b32_e32 v0, 16, v12
	v_and_b32_e32 v12, 0xffff, v22
	v_or_b32_e32 v18, v1, v2
	v_or_b32_e32 v34, v13, v36
	;; [unrolled: 1-line block ×4, first 2 shown]
	s_and_saveexec_b32 s18, vcc_lo
	s_cbranch_execz .LBB285_2364
; %bb.2363:                             ;   in Loop: Header=BB285_1571 Depth=1
	v_cmp_lt_i32_e64 s4, v86, v32
	v_cndmask_b32_e64 v18, 0, v36, s4
	v_cmp_lt_i32_e64 s4, v115, v32
	v_cndmask_b32_e64 v13, 0, v13, s4
	v_cmp_lt_i32_e64 s4, v114, v32
	v_or_b32_e32 v34, v18, v13
	v_cndmask_b32_e64 v2, 0, v2, s4
	v_cmp_lt_i32_e64 s4, v113, v32
	v_cndmask_b32_e64 v1, 0, v1, s4
	v_cmp_lt_i32_e64 s4, v112, v32
	v_or_b32_e32 v18, v2, v1
	;; [unrolled: 5-line block ×3, first 2 shown]
	v_cndmask_b32_e64 v12, 0, v12, s4
	v_cmp_lt_i32_e64 s4, v101, v32
	v_cndmask_b32_e64 v0, 0, v0, s4
	v_or_b32_e32 v31, v12, v0
.LBB285_2364:                           ;   in Loop: Header=BB285_1571 Depth=1
	s_or_b32 exec_lo, exec_lo, s18
	;;#ASMSTART
	v_pk_mul_f16 v0, v100, v34;

	;;#ASMEND
	;;#ASMSTART
	v_pk_mul_f16 v1, v99, v18;

	;;#ASMEND
	;; [unrolled: 4-line block ×4, first 2 shown]
	;;#ASMSTART
	v_pk_add_f16 v0, v0, v1;

	;;#ASMEND
	;;#ASMSTART
	v_pk_add_f16 v0, v0, v2;

	;;#ASMEND
	;; [unrolled: 4-line block ×3, first 2 shown]
	v_and_b32_e32 v1, 0xffff, v0
	v_lshrrev_b32_e32 v2, 16, v0
	;;#ASMSTART
	v_cvt_f32_f16 v0, v1;
	;;#ASMEND
	;;#ASMSTART
	v_cvt_f32_f16 v1, v2;
	;;#ASMEND
	flat_load_dwordx2 v[12:13], v[10:11] offset:1024
	flat_load_dword v2, v[109:110]
	v_mov_b32_e32 v18, 0
	v_mov_b32_e32 v19, 0
	s_waitcnt vmcnt(1) lgkmcnt(1)
	v_cmp_ne_u16_sdwa s4, v12, v4 src0_sel:BYTE_0 src1_sel:DWORD
	s_and_saveexec_b32 s18, s4
	s_cbranch_execz .LBB285_2372
; %bb.2365:                             ;   in Loop: Header=BB285_1571 Depth=1
	v_cmp_ne_u16_sdwa s4, v12, v80 src0_sel:BYTE_0 src1_sel:DWORD
	v_mov_b32_e32 v19, 0x8000
	s_and_saveexec_b32 s19, s4
	s_cbranch_execz .LBB285_2371
; %bb.2366:                             ;   in Loop: Header=BB285_1571 Depth=1
	v_and_b32_e32 v31, 0x7f, v12
	v_mov_b32_e32 v19, 0x7c01
	s_mov_b32 s20, exec_lo
	v_cmpx_ne_u32_e32 0x7f, v31
	s_cbranch_execz .LBB285_2370
; %bb.2367:                             ;   in Loop: Header=BB285_1571 Depth=1
	v_and_b32_e32 v3, 7, v12
	v_lshrrev_b32_e32 v19, 3, v31
	s_mov_b32 s21, exec_lo
	v_cmpx_gt_u32_e32 8, v31
; %bb.2368:                             ;   in Loop: Header=BB285_1571 Depth=1
	v_ffbh_u32_e32 v3, v3
	v_min_u32_e32 v3, 32, v3
	v_subrev_nc_u32_e32 v19, 28, v3
	v_lshlrev_b64 v[22:23], v19, v[12:13]
	v_sub_nc_u32_e32 v19, 29, v3
	v_and_b32_e32 v3, 7, v22
; %bb.2369:                             ;   in Loop: Header=BB285_1571 Depth=1
	s_or_b32 exec_lo, exec_lo, s21
	v_lshlrev_b32_e32 v22, 8, v12
	v_lshl_add_u32 v19, v19, 10, 0x2000
	v_lshlrev_b32_e32 v3, 7, v3
	v_and_b32_e32 v22, 0x8000, v22
	v_and_b32_e32 v19, 0xfc00, v19
	v_or3_b32 v19, v22, v19, v3
.LBB285_2370:                           ;   in Loop: Header=BB285_1571 Depth=1
	s_or_b32 exec_lo, exec_lo, s20
.LBB285_2371:                           ;   in Loop: Header=BB285_1571 Depth=1
	s_or_b32 exec_lo, exec_lo, s19
.LBB285_2372:                           ;   in Loop: Header=BB285_1571 Depth=1
	s_or_b32 exec_lo, exec_lo, s18
	v_lshrrev_b16 v3, 8, v12
	s_mov_b32 s18, exec_lo
	v_cmpx_ne_u16_e32 0, v3
	s_cbranch_execz .LBB285_2380
; %bb.2373:                             ;   in Loop: Header=BB285_1571 Depth=1
	v_bfrev_b32_e32 v18, 1
	s_mov_b32 s19, exec_lo
	v_cmpx_ne_u16_e32 0x80, v3
	s_cbranch_execz .LBB285_2379
; %bb.2374:                             ;   in Loop: Header=BB285_1571 Depth=1
	v_and_b32_sdwa v33, v3, v81 dst_sel:DWORD dst_unused:UNUSED_PAD src0_sel:WORD_0 src1_sel:DWORD
	v_mov_b32_e32 v18, 0x7c010000
	s_mov_b32 s20, exec_lo
	v_cmpx_ne_u32_e32 0x7f, v33
	s_cbranch_execz .LBB285_2378
; %bb.2375:                             ;   in Loop: Header=BB285_1571 Depth=1
	v_and_b32_sdwa v18, v3, v82 dst_sel:DWORD dst_unused:UNUSED_PAD src0_sel:WORD_0 src1_sel:DWORD
	v_lshrrev_b32_e32 v31, 3, v33
	s_mov_b32 s21, exec_lo
	v_cmpx_gt_u32_e32 8, v33
; %bb.2376:                             ;   in Loop: Header=BB285_1571 Depth=1
	v_ffbh_u32_e32 v18, v18
	v_min_u32_e32 v18, 32, v18
	v_subrev_nc_u32_e32 v22, 28, v18
	v_sub_nc_u32_e32 v31, 29, v18
	v_lshlrev_b64 v[22:23], v22, v[3:4]
	v_and_b32_e32 v18, 7, v22
; %bb.2377:                             ;   in Loop: Header=BB285_1571 Depth=1
	s_or_b32 exec_lo, exec_lo, s21
	v_lshlrev_b32_sdwa v3, v83, v3 dst_sel:DWORD dst_unused:UNUSED_PAD src0_sel:DWORD src1_sel:WORD_0
	v_lshl_add_u32 v22, v31, 10, 0x2000
	v_lshlrev_b32_e32 v18, 23, v18
	v_and_or_b32 v3, 0x8000, v3, v22
	v_lshl_or_b32 v18, v3, 16, v18
.LBB285_2378:                           ;   in Loop: Header=BB285_1571 Depth=1
	s_or_b32 exec_lo, exec_lo, s20
.LBB285_2379:                           ;   in Loop: Header=BB285_1571 Depth=1
	s_or_b32 exec_lo, exec_lo, s19
.LBB285_2380:                           ;   in Loop: Header=BB285_1571 Depth=1
	s_or_b32 exec_lo, exec_lo, s18
	v_lshrrev_b32_e32 v3, 16, v12
	v_mov_b32_e32 v31, 0
	v_mov_b32_e32 v33, 0
	v_cmp_ne_u16_sdwa s4, v3, v4 src0_sel:BYTE_0 src1_sel:DWORD
	s_and_saveexec_b32 s18, s4
	s_cbranch_execz .LBB285_2388
; %bb.2381:                             ;   in Loop: Header=BB285_1571 Depth=1
	v_cmp_ne_u16_sdwa s4, v3, v80 src0_sel:BYTE_0 src1_sel:DWORD
	v_mov_b32_e32 v33, 0x8000
	s_and_saveexec_b32 s19, s4
	s_cbranch_execz .LBB285_2387
; %bb.2382:                             ;   in Loop: Header=BB285_1571 Depth=1
	v_bfe_u32 v36, v12, 16, 7
	v_mov_b32_e32 v33, 0x7c01
	s_mov_b32 s20, exec_lo
	v_cmpx_ne_u32_e32 0x7f, v36
	s_cbranch_execz .LBB285_2386
; %bb.2383:                             ;   in Loop: Header=BB285_1571 Depth=1
	v_and_b32_e32 v33, 7, v3
	v_lshrrev_b32_e32 v34, 3, v36
	s_mov_b32 s21, exec_lo
	v_cmpx_gt_u32_e32 8, v36
; %bb.2384:                             ;   in Loop: Header=BB285_1571 Depth=1
	v_ffbh_u32_e32 v22, v33
	v_min_u32_e32 v33, 32, v22
	v_subrev_nc_u32_e32 v22, 28, v33
	v_sub_nc_u32_e32 v34, 29, v33
	v_lshlrev_b64 v[22:23], v22, v[3:4]
	v_and_b32_e32 v33, 7, v22
; %bb.2385:                             ;   in Loop: Header=BB285_1571 Depth=1
	s_or_b32 exec_lo, exec_lo, s21
	v_lshlrev_b32_e32 v3, 8, v3
	v_lshl_add_u32 v22, v34, 10, 0x2000
	v_lshlrev_b32_e32 v23, 7, v33
	v_and_b32_e32 v3, 0x8000, v3
	v_and_b32_e32 v22, 0xfc00, v22
	v_or3_b32 v33, v3, v22, v23
.LBB285_2386:                           ;   in Loop: Header=BB285_1571 Depth=1
	s_or_b32 exec_lo, exec_lo, s20
.LBB285_2387:                           ;   in Loop: Header=BB285_1571 Depth=1
	s_or_b32 exec_lo, exec_lo, s19
.LBB285_2388:                           ;   in Loop: Header=BB285_1571 Depth=1
	s_or_b32 exec_lo, exec_lo, s18
	s_mov_b32 s18, exec_lo
	v_cmpx_lt_u32_e32 0xffffff, v12
	s_cbranch_execz .LBB285_2396
; %bb.2389:                             ;   in Loop: Header=BB285_1571 Depth=1
	v_lshrrev_b32_e32 v3, 24, v12
	v_bfrev_b32_e32 v31, 1
	s_mov_b32 s19, exec_lo
	v_cmpx_ne_u32_e32 0x80, v3
	s_cbranch_execz .LBB285_2395
; %bb.2390:                             ;   in Loop: Header=BB285_1571 Depth=1
	v_and_b32_e32 v36, 0x7f, v3
	v_mov_b32_e32 v31, 0x7c010000
	s_mov_b32 s20, exec_lo
	v_cmpx_ne_u32_e32 0x7f, v36
	s_cbranch_execz .LBB285_2394
; %bb.2391:                             ;   in Loop: Header=BB285_1571 Depth=1
	v_and_b32_e32 v31, 7, v3
	v_lshrrev_b32_e32 v34, 3, v36
	s_mov_b32 s21, exec_lo
	v_cmpx_gt_u32_e32 8, v36
; %bb.2392:                             ;   in Loop: Header=BB285_1571 Depth=1
	v_ffbh_u32_e32 v22, v31
	v_min_u32_e32 v31, 32, v22
	v_subrev_nc_u32_e32 v22, 28, v31
	v_sub_nc_u32_e32 v34, 29, v31
	v_lshlrev_b64 v[22:23], v22, v[3:4]
	v_and_b32_e32 v31, 7, v22
; %bb.2393:                             ;   in Loop: Header=BB285_1571 Depth=1
	s_or_b32 exec_lo, exec_lo, s21
	v_lshlrev_b32_e32 v3, 8, v3
	v_lshl_add_u32 v22, v34, 10, 0x2000
	v_and_or_b32 v3, 0x8000, v3, v22
	v_lshlrev_b32_e32 v22, 23, v31
	v_lshl_or_b32 v31, v3, 16, v22
.LBB285_2394:                           ;   in Loop: Header=BB285_1571 Depth=1
	s_or_b32 exec_lo, exec_lo, s20
.LBB285_2395:                           ;   in Loop: Header=BB285_1571 Depth=1
	s_or_b32 exec_lo, exec_lo, s19
.LBB285_2396:                           ;   in Loop: Header=BB285_1571 Depth=1
	s_or_b32 exec_lo, exec_lo, s18
	v_mov_b32_e32 v3, v13
	v_cmp_ne_u16_sdwa s4, v13, v4 src0_sel:BYTE_0 src1_sel:DWORD
	v_mov_b32_e32 v34, 0
	v_mov_b32_e32 v36, 0
	s_and_saveexec_b32 s18, s4
	s_cbranch_execz .LBB285_2404
; %bb.2397:                             ;   in Loop: Header=BB285_1571 Depth=1
	v_cmp_ne_u16_sdwa s4, v13, v80 src0_sel:BYTE_0 src1_sel:DWORD
	v_mov_b32_e32 v36, 0x8000
	s_and_saveexec_b32 s19, s4
	s_cbranch_execz .LBB285_2403
; %bb.2398:                             ;   in Loop: Header=BB285_1571 Depth=1
	v_and_b32_e32 v38, 0x7f, v13
	v_mov_b32_e32 v36, 0x7c01
	s_mov_b32 s20, exec_lo
	v_cmpx_ne_u32_e32 0x7f, v38
	s_cbranch_execz .LBB285_2402
; %bb.2399:                             ;   in Loop: Header=BB285_1571 Depth=1
	v_and_b32_e32 v36, 7, v13
	v_lshrrev_b32_e32 v37, 3, v38
	s_mov_b32 s21, exec_lo
	v_cmpx_gt_u32_e32 8, v38
; %bb.2400:                             ;   in Loop: Header=BB285_1571 Depth=1
	v_ffbh_u32_e32 v22, v36
	v_min_u32_e32 v36, 32, v22
	v_subrev_nc_u32_e32 v22, 28, v36
	v_sub_nc_u32_e32 v37, 29, v36
	v_lshlrev_b64 v[22:23], v22, v[3:4]
	v_and_b32_e32 v36, 7, v22
; %bb.2401:                             ;   in Loop: Header=BB285_1571 Depth=1
	s_or_b32 exec_lo, exec_lo, s21
	v_lshlrev_b32_e32 v22, 8, v13
	v_lshl_add_u32 v23, v37, 10, 0x2000
	v_lshlrev_b32_e32 v36, 7, v36
	v_and_b32_e32 v22, 0x8000, v22
	v_and_b32_e32 v23, 0xfc00, v23
	v_or3_b32 v36, v22, v23, v36
.LBB285_2402:                           ;   in Loop: Header=BB285_1571 Depth=1
	s_or_b32 exec_lo, exec_lo, s20
.LBB285_2403:                           ;   in Loop: Header=BB285_1571 Depth=1
	s_or_b32 exec_lo, exec_lo, s19
.LBB285_2404:                           ;   in Loop: Header=BB285_1571 Depth=1
	s_or_b32 exec_lo, exec_lo, s18
	v_lshrrev_b16 v3, 8, v3
	v_mov_b32_e32 v37, 0
	s_mov_b32 s18, exec_lo
	v_cmpx_ne_u16_e32 0, v3
	s_cbranch_execz .LBB285_2412
; %bb.2405:                             ;   in Loop: Header=BB285_1571 Depth=1
	v_bfrev_b32_e32 v37, 1
	s_mov_b32 s19, exec_lo
	v_cmpx_ne_u16_e32 0x80, v3
	s_cbranch_execz .LBB285_2411
; %bb.2406:                             ;   in Loop: Header=BB285_1571 Depth=1
	v_and_b32_sdwa v39, v3, v81 dst_sel:DWORD dst_unused:UNUSED_PAD src0_sel:WORD_0 src1_sel:DWORD
	v_mov_b32_e32 v37, 0x7c010000
	s_mov_b32 s20, exec_lo
	v_cmpx_ne_u32_e32 0x7f, v39
	s_cbranch_execz .LBB285_2410
; %bb.2407:                             ;   in Loop: Header=BB285_1571 Depth=1
	v_and_b32_sdwa v37, v3, v82 dst_sel:DWORD dst_unused:UNUSED_PAD src0_sel:WORD_0 src1_sel:DWORD
	v_lshrrev_b32_e32 v38, 3, v39
	s_mov_b32 s21, exec_lo
	v_cmpx_gt_u32_e32 8, v39
; %bb.2408:                             ;   in Loop: Header=BB285_1571 Depth=1
	v_ffbh_u32_e32 v22, v37
	v_min_u32_e32 v37, 32, v22
	v_subrev_nc_u32_e32 v22, 28, v37
	v_sub_nc_u32_e32 v38, 29, v37
	v_lshlrev_b64 v[22:23], v22, v[3:4]
	v_and_b32_e32 v37, 7, v22
; %bb.2409:                             ;   in Loop: Header=BB285_1571 Depth=1
	s_or_b32 exec_lo, exec_lo, s21
	v_lshlrev_b32_sdwa v3, v83, v3 dst_sel:DWORD dst_unused:UNUSED_PAD src0_sel:DWORD src1_sel:WORD_0
	v_lshl_add_u32 v22, v38, 10, 0x2000
	v_and_or_b32 v3, 0x8000, v3, v22
	v_lshlrev_b32_e32 v22, 23, v37
	v_lshl_or_b32 v37, v3, 16, v22
.LBB285_2410:                           ;   in Loop: Header=BB285_1571 Depth=1
	s_or_b32 exec_lo, exec_lo, s20
.LBB285_2411:                           ;   in Loop: Header=BB285_1571 Depth=1
	s_or_b32 exec_lo, exec_lo, s19
.LBB285_2412:                           ;   in Loop: Header=BB285_1571 Depth=1
	s_or_b32 exec_lo, exec_lo, s18
	v_lshrrev_b32_e32 v3, 16, v13
	v_cmp_ne_u16_sdwa s4, v3, v4 src0_sel:BYTE_0 src1_sel:DWORD
	s_and_saveexec_b32 s18, s4
	s_cbranch_execz .LBB285_2420
; %bb.2413:                             ;   in Loop: Header=BB285_1571 Depth=1
	v_cmp_ne_u16_sdwa s4, v3, v80 src0_sel:BYTE_0 src1_sel:DWORD
	v_mov_b32_e32 v34, 0x8000
	s_and_saveexec_b32 s19, s4
	s_cbranch_execz .LBB285_2419
; %bb.2414:                             ;   in Loop: Header=BB285_1571 Depth=1
	v_bfe_u32 v39, v13, 16, 7
	v_mov_b32_e32 v34, 0x7c01
	s_mov_b32 s20, exec_lo
	v_cmpx_ne_u32_e32 0x7f, v39
	s_cbranch_execz .LBB285_2418
; %bb.2415:                             ;   in Loop: Header=BB285_1571 Depth=1
	v_and_b32_e32 v34, 7, v3
	v_lshrrev_b32_e32 v38, 3, v39
	s_mov_b32 s21, exec_lo
	v_cmpx_gt_u32_e32 8, v39
; %bb.2416:                             ;   in Loop: Header=BB285_1571 Depth=1
	v_ffbh_u32_e32 v22, v34
	v_min_u32_e32 v34, 32, v22
	v_subrev_nc_u32_e32 v22, 28, v34
	v_sub_nc_u32_e32 v38, 29, v34
	v_lshlrev_b64 v[22:23], v22, v[3:4]
	v_and_b32_e32 v34, 7, v22
; %bb.2417:                             ;   in Loop: Header=BB285_1571 Depth=1
	s_or_b32 exec_lo, exec_lo, s21
	v_lshlrev_b32_e32 v3, 8, v3
	v_lshl_add_u32 v22, v38, 10, 0x2000
	v_lshlrev_b32_e32 v23, 7, v34
	v_and_b32_e32 v3, 0x8000, v3
	v_and_b32_e32 v22, 0xfc00, v22
	v_or3_b32 v34, v3, v22, v23
.LBB285_2418:                           ;   in Loop: Header=BB285_1571 Depth=1
	s_or_b32 exec_lo, exec_lo, s20
.LBB285_2419:                           ;   in Loop: Header=BB285_1571 Depth=1
	s_or_b32 exec_lo, exec_lo, s19
.LBB285_2420:                           ;   in Loop: Header=BB285_1571 Depth=1
	s_or_b32 exec_lo, exec_lo, s18
	v_cmp_lt_u64_e64 s4, s[6:7], v[12:13]
	v_mov_b32_e32 v12, 0
	s_and_saveexec_b32 s18, s4
	s_cbranch_execz .LBB285_2428
; %bb.2421:                             ;   in Loop: Header=BB285_1571 Depth=1
	v_lshrrev_b32_e32 v3, 24, v13
	v_bfrev_b32_e32 v12, 1
	s_mov_b32 s19, exec_lo
	v_cmpx_ne_u32_e32 0x80, v3
	s_cbranch_execz .LBB285_2427
; %bb.2422:                             ;   in Loop: Header=BB285_1571 Depth=1
	v_and_b32_e32 v38, 0x7f, v3
	v_mov_b32_e32 v12, 0x7c010000
	s_mov_b32 s20, exec_lo
	v_cmpx_ne_u32_e32 0x7f, v38
	s_cbranch_execz .LBB285_2426
; %bb.2423:                             ;   in Loop: Header=BB285_1571 Depth=1
	v_and_b32_e32 v12, 7, v3
	v_lshrrev_b32_e32 v13, 3, v38
	s_mov_b32 s21, exec_lo
	v_cmpx_gt_u32_e32 8, v38
; %bb.2424:                             ;   in Loop: Header=BB285_1571 Depth=1
	v_ffbh_u32_e32 v12, v12
	v_min_u32_e32 v22, 32, v12
	v_subrev_nc_u32_e32 v12, 28, v22
	v_lshlrev_b64 v[12:13], v12, v[3:4]
	v_sub_nc_u32_e32 v13, 29, v22
	v_and_b32_e32 v12, 7, v12
; %bb.2425:                             ;   in Loop: Header=BB285_1571 Depth=1
	s_or_b32 exec_lo, exec_lo, s21
	v_lshlrev_b32_e32 v3, 8, v3
	v_lshl_add_u32 v13, v13, 10, 0x2000
	v_lshlrev_b32_e32 v12, 23, v12
	v_and_or_b32 v3, 0x8000, v3, v13
	v_lshl_or_b32 v12, v3, 16, v12
.LBB285_2426:                           ;   in Loop: Header=BB285_1571 Depth=1
	s_or_b32 exec_lo, exec_lo, s20
.LBB285_2427:                           ;   in Loop: Header=BB285_1571 Depth=1
	s_or_b32 exec_lo, exec_lo, s19
.LBB285_2428:                           ;   in Loop: Header=BB285_1571 Depth=1
	s_or_b32 exec_lo, exec_lo, s18
	v_or_b32_e32 v3, v31, v33
	s_waitcnt vmcnt(0) lgkmcnt(0)
	v_fma_mixlo_f16 v13, v2, v31, 0 op_sel:[0,1,0] op_sel_hi:[0,1,0]
	v_or_b32_e32 v22, v18, v19
	v_fma_mixlo_f16 v18, v2, v18, 0 op_sel:[0,1,0] op_sel_hi:[0,1,0]
	v_or_b32_e32 v23, v37, v36
	v_fma_mixlo_f16 v31, v2, v3, 0 op_sel_hi:[0,1,0]
	v_or_b32_e32 v33, v12, v34
	v_lshlrev_b32_e32 v3, 16, v13
	v_lshlrev_b32_e32 v19, 16, v18
	v_fma_mixlo_f16 v18, v2, v22, 0 op_sel_hi:[0,1,0]
	v_and_b32_e32 v13, 0xffff, v31
	v_fma_mixlo_f16 v22, v2, v37, 0 op_sel:[0,1,0] op_sel_hi:[0,1,0]
	v_fma_mixlo_f16 v23, v2, v23, 0 op_sel_hi:[0,1,0]
	v_fma_mixlo_f16 v31, v2, v12, 0 op_sel:[0,1,0] op_sel_hi:[0,1,0]
	v_fma_mixlo_f16 v34, v2, v33, 0 op_sel_hi:[0,1,0]
	v_and_b32_e32 v38, 0xffff, v18
	v_lshlrev_b32_e32 v12, 16, v22
	v_and_b32_e32 v33, 0xffff, v23
	v_lshlrev_b32_e32 v2, 16, v31
	v_and_b32_e32 v18, 0xffff, v34
	v_or_b32_e32 v31, v3, v13
	v_or_b32_e32 v37, v19, v38
	;; [unrolled: 1-line block ×4, first 2 shown]
	s_and_saveexec_b32 s18, vcc_lo
	s_cbranch_execz .LBB285_2430
; %bb.2429:                             ;   in Loop: Header=BB285_1571 Depth=1
	v_cmp_lt_i32_e64 s4, v86, v32
	v_cndmask_b32_e64 v22, 0, v38, s4
	v_cmp_lt_i32_e64 s4, v115, v32
	v_cndmask_b32_e64 v19, 0, v19, s4
	v_cmp_lt_i32_e64 s4, v114, v32
	v_or_b32_e32 v37, v22, v19
	v_cndmask_b32_e64 v13, 0, v13, s4
	v_cmp_lt_i32_e64 s4, v113, v32
	v_cndmask_b32_e64 v3, 0, v3, s4
	v_cmp_lt_i32_e64 s4, v112, v32
	v_or_b32_e32 v31, v13, v3
	;; [unrolled: 5-line block ×3, first 2 shown]
	v_cndmask_b32_e64 v18, 0, v18, s4
	v_cmp_lt_i32_e64 s4, v101, v32
	v_cndmask_b32_e64 v2, 0, v2, s4
	v_or_b32_e32 v34, v18, v2
.LBB285_2430:                           ;   in Loop: Header=BB285_1571 Depth=1
	s_or_b32 exec_lo, exec_lo, s18
	;;#ASMSTART
	v_pk_mul_f16 v2, v100, v37;

	;;#ASMEND
	;;#ASMSTART
	v_pk_mul_f16 v3, v99, v31;

	;;#ASMEND
	;; [unrolled: 4-line block ×4, first 2 shown]
	;;#ASMSTART
	v_pk_add_f16 v2, v2, v3;

	;;#ASMEND
	;;#ASMSTART
	v_pk_add_f16 v2, v2, v12;

	;;#ASMEND
	;; [unrolled: 4-line block ×3, first 2 shown]
	v_lshrrev_b32_e32 v12, 16, v2
	v_and_b32_e32 v3, 0xffff, v2
	;;#ASMSTART
	v_cvt_f32_f16 v2, v3;
	;;#ASMEND
	;;#ASMSTART
	v_cvt_f32_f16 v18, v12;
	;;#ASMEND
	flat_load_dwordx2 v[12:13], v[10:11] offset:1280
	flat_load_dword v19, v[109:110]
	v_mov_b32_e32 v31, 0
	v_mov_b32_e32 v33, 0
	s_waitcnt vmcnt(1) lgkmcnt(1)
	v_cmp_ne_u16_sdwa s4, v12, v4 src0_sel:BYTE_0 src1_sel:DWORD
	s_and_saveexec_b32 s18, s4
	s_cbranch_execz .LBB285_2438
; %bb.2431:                             ;   in Loop: Header=BB285_1571 Depth=1
	v_cmp_ne_u16_sdwa s4, v12, v80 src0_sel:BYTE_0 src1_sel:DWORD
	v_mov_b32_e32 v33, 0x8000
	s_and_saveexec_b32 s19, s4
	s_cbranch_execz .LBB285_2437
; %bb.2432:                             ;   in Loop: Header=BB285_1571 Depth=1
	v_and_b32_e32 v34, 0x7f, v12
	v_mov_b32_e32 v33, 0x7c01
	s_mov_b32 s20, exec_lo
	v_cmpx_ne_u32_e32 0x7f, v34
	s_cbranch_execz .LBB285_2436
; %bb.2433:                             ;   in Loop: Header=BB285_1571 Depth=1
	v_and_b32_e32 v3, 7, v12
	v_lshrrev_b32_e32 v33, 3, v34
	s_mov_b32 s21, exec_lo
	v_cmpx_gt_u32_e32 8, v34
; %bb.2434:                             ;   in Loop: Header=BB285_1571 Depth=1
	v_ffbh_u32_e32 v3, v3
	v_min_u32_e32 v3, 32, v3
	v_subrev_nc_u32_e32 v22, 28, v3
	v_sub_nc_u32_e32 v33, 29, v3
	v_lshlrev_b64 v[22:23], v22, v[12:13]
	v_and_b32_e32 v3, 7, v22
; %bb.2435:                             ;   in Loop: Header=BB285_1571 Depth=1
	s_or_b32 exec_lo, exec_lo, s21
	v_lshlrev_b32_e32 v22, 8, v12
	v_lshl_add_u32 v23, v33, 10, 0x2000
	v_lshlrev_b32_e32 v3, 7, v3
	v_and_b32_e32 v22, 0x8000, v22
	v_and_b32_e32 v23, 0xfc00, v23
	v_or3_b32 v33, v22, v23, v3
.LBB285_2436:                           ;   in Loop: Header=BB285_1571 Depth=1
	s_or_b32 exec_lo, exec_lo, s20
.LBB285_2437:                           ;   in Loop: Header=BB285_1571 Depth=1
	s_or_b32 exec_lo, exec_lo, s19
.LBB285_2438:                           ;   in Loop: Header=BB285_1571 Depth=1
	s_or_b32 exec_lo, exec_lo, s18
	v_lshrrev_b16 v3, 8, v12
	s_mov_b32 s18, exec_lo
	v_cmpx_ne_u16_e32 0, v3
	s_cbranch_execz .LBB285_2446
; %bb.2439:                             ;   in Loop: Header=BB285_1571 Depth=1
	v_bfrev_b32_e32 v31, 1
	s_mov_b32 s19, exec_lo
	v_cmpx_ne_u16_e32 0x80, v3
	s_cbranch_execz .LBB285_2445
; %bb.2440:                             ;   in Loop: Header=BB285_1571 Depth=1
	v_and_b32_sdwa v36, v3, v81 dst_sel:DWORD dst_unused:UNUSED_PAD src0_sel:WORD_0 src1_sel:DWORD
	v_mov_b32_e32 v31, 0x7c010000
	s_mov_b32 s20, exec_lo
	v_cmpx_ne_u32_e32 0x7f, v36
	s_cbranch_execz .LBB285_2444
; %bb.2441:                             ;   in Loop: Header=BB285_1571 Depth=1
	v_and_b32_sdwa v31, v3, v82 dst_sel:DWORD dst_unused:UNUSED_PAD src0_sel:WORD_0 src1_sel:DWORD
	v_lshrrev_b32_e32 v34, 3, v36
	s_mov_b32 s21, exec_lo
	v_cmpx_gt_u32_e32 8, v36
; %bb.2442:                             ;   in Loop: Header=BB285_1571 Depth=1
	v_ffbh_u32_e32 v22, v31
	v_min_u32_e32 v31, 32, v22
	v_subrev_nc_u32_e32 v22, 28, v31
	v_sub_nc_u32_e32 v34, 29, v31
	v_lshlrev_b64 v[22:23], v22, v[3:4]
	v_and_b32_e32 v31, 7, v22
; %bb.2443:                             ;   in Loop: Header=BB285_1571 Depth=1
	s_or_b32 exec_lo, exec_lo, s21
	v_lshlrev_b32_sdwa v3, v83, v3 dst_sel:DWORD dst_unused:UNUSED_PAD src0_sel:DWORD src1_sel:WORD_0
	v_lshl_add_u32 v22, v34, 10, 0x2000
	v_and_or_b32 v3, 0x8000, v3, v22
	v_lshlrev_b32_e32 v22, 23, v31
	v_lshl_or_b32 v31, v3, 16, v22
.LBB285_2444:                           ;   in Loop: Header=BB285_1571 Depth=1
	s_or_b32 exec_lo, exec_lo, s20
.LBB285_2445:                           ;   in Loop: Header=BB285_1571 Depth=1
	s_or_b32 exec_lo, exec_lo, s19
.LBB285_2446:                           ;   in Loop: Header=BB285_1571 Depth=1
	s_or_b32 exec_lo, exec_lo, s18
	v_lshrrev_b32_e32 v3, 16, v12
	v_mov_b32_e32 v34, 0
	v_mov_b32_e32 v36, 0
	v_cmp_ne_u16_sdwa s4, v3, v4 src0_sel:BYTE_0 src1_sel:DWORD
	s_and_saveexec_b32 s18, s4
	s_cbranch_execz .LBB285_2454
; %bb.2447:                             ;   in Loop: Header=BB285_1571 Depth=1
	v_cmp_ne_u16_sdwa s4, v3, v80 src0_sel:BYTE_0 src1_sel:DWORD
	v_mov_b32_e32 v36, 0x8000
	s_and_saveexec_b32 s19, s4
	s_cbranch_execz .LBB285_2453
; %bb.2448:                             ;   in Loop: Header=BB285_1571 Depth=1
	v_bfe_u32 v38, v12, 16, 7
	v_mov_b32_e32 v36, 0x7c01
	s_mov_b32 s20, exec_lo
	v_cmpx_ne_u32_e32 0x7f, v38
	s_cbranch_execz .LBB285_2452
; %bb.2449:                             ;   in Loop: Header=BB285_1571 Depth=1
	v_and_b32_e32 v36, 7, v3
	v_lshrrev_b32_e32 v37, 3, v38
	s_mov_b32 s21, exec_lo
	v_cmpx_gt_u32_e32 8, v38
; %bb.2450:                             ;   in Loop: Header=BB285_1571 Depth=1
	v_ffbh_u32_e32 v22, v36
	v_min_u32_e32 v36, 32, v22
	v_subrev_nc_u32_e32 v22, 28, v36
	v_sub_nc_u32_e32 v37, 29, v36
	v_lshlrev_b64 v[22:23], v22, v[3:4]
	v_and_b32_e32 v36, 7, v22
; %bb.2451:                             ;   in Loop: Header=BB285_1571 Depth=1
	s_or_b32 exec_lo, exec_lo, s21
	v_lshlrev_b32_e32 v3, 8, v3
	v_lshl_add_u32 v22, v37, 10, 0x2000
	v_lshlrev_b32_e32 v23, 7, v36
	v_and_b32_e32 v3, 0x8000, v3
	v_and_b32_e32 v22, 0xfc00, v22
	v_or3_b32 v36, v3, v22, v23
.LBB285_2452:                           ;   in Loop: Header=BB285_1571 Depth=1
	s_or_b32 exec_lo, exec_lo, s20
.LBB285_2453:                           ;   in Loop: Header=BB285_1571 Depth=1
	s_or_b32 exec_lo, exec_lo, s19
.LBB285_2454:                           ;   in Loop: Header=BB285_1571 Depth=1
	s_or_b32 exec_lo, exec_lo, s18
	s_mov_b32 s18, exec_lo
	v_cmpx_lt_u32_e32 0xffffff, v12
	s_cbranch_execz .LBB285_2462
; %bb.2455:                             ;   in Loop: Header=BB285_1571 Depth=1
	v_lshrrev_b32_e32 v3, 24, v12
	v_bfrev_b32_e32 v34, 1
	s_mov_b32 s19, exec_lo
	v_cmpx_ne_u32_e32 0x80, v3
	s_cbranch_execz .LBB285_2461
; %bb.2456:                             ;   in Loop: Header=BB285_1571 Depth=1
	v_and_b32_e32 v38, 0x7f, v3
	v_mov_b32_e32 v34, 0x7c010000
	s_mov_b32 s20, exec_lo
	v_cmpx_ne_u32_e32 0x7f, v38
	s_cbranch_execz .LBB285_2460
; %bb.2457:                             ;   in Loop: Header=BB285_1571 Depth=1
	v_and_b32_e32 v34, 7, v3
	v_lshrrev_b32_e32 v37, 3, v38
	s_mov_b32 s21, exec_lo
	v_cmpx_gt_u32_e32 8, v38
; %bb.2458:                             ;   in Loop: Header=BB285_1571 Depth=1
	v_ffbh_u32_e32 v22, v34
	v_min_u32_e32 v34, 32, v22
	v_subrev_nc_u32_e32 v22, 28, v34
	v_sub_nc_u32_e32 v37, 29, v34
	v_lshlrev_b64 v[22:23], v22, v[3:4]
	v_and_b32_e32 v34, 7, v22
; %bb.2459:                             ;   in Loop: Header=BB285_1571 Depth=1
	s_or_b32 exec_lo, exec_lo, s21
	v_lshlrev_b32_e32 v3, 8, v3
	v_lshl_add_u32 v22, v37, 10, 0x2000
	v_and_or_b32 v3, 0x8000, v3, v22
	v_lshlrev_b32_e32 v22, 23, v34
	v_lshl_or_b32 v34, v3, 16, v22
.LBB285_2460:                           ;   in Loop: Header=BB285_1571 Depth=1
	s_or_b32 exec_lo, exec_lo, s20
.LBB285_2461:                           ;   in Loop: Header=BB285_1571 Depth=1
	s_or_b32 exec_lo, exec_lo, s19
.LBB285_2462:                           ;   in Loop: Header=BB285_1571 Depth=1
	s_or_b32 exec_lo, exec_lo, s18
	v_mov_b32_e32 v3, v13
	v_cmp_ne_u16_sdwa s4, v13, v4 src0_sel:BYTE_0 src1_sel:DWORD
	v_mov_b32_e32 v37, 0
	v_mov_b32_e32 v38, 0
	s_and_saveexec_b32 s18, s4
	s_cbranch_execz .LBB285_2470
; %bb.2463:                             ;   in Loop: Header=BB285_1571 Depth=1
	v_cmp_ne_u16_sdwa s4, v13, v80 src0_sel:BYTE_0 src1_sel:DWORD
	v_mov_b32_e32 v38, 0x8000
	s_and_saveexec_b32 s19, s4
	s_cbranch_execz .LBB285_2469
; %bb.2464:                             ;   in Loop: Header=BB285_1571 Depth=1
	v_and_b32_e32 v72, 0x7f, v13
	v_mov_b32_e32 v38, 0x7c01
	s_mov_b32 s20, exec_lo
	v_cmpx_ne_u32_e32 0x7f, v72
	s_cbranch_execz .LBB285_2468
; %bb.2465:                             ;   in Loop: Header=BB285_1571 Depth=1
	v_and_b32_e32 v38, 7, v13
	v_lshrrev_b32_e32 v39, 3, v72
	s_mov_b32 s21, exec_lo
	v_cmpx_gt_u32_e32 8, v72
; %bb.2466:                             ;   in Loop: Header=BB285_1571 Depth=1
	v_ffbh_u32_e32 v22, v38
	v_min_u32_e32 v38, 32, v22
	v_subrev_nc_u32_e32 v22, 28, v38
	v_sub_nc_u32_e32 v39, 29, v38
	v_lshlrev_b64 v[22:23], v22, v[3:4]
	v_and_b32_e32 v38, 7, v22
; %bb.2467:                             ;   in Loop: Header=BB285_1571 Depth=1
	s_or_b32 exec_lo, exec_lo, s21
	v_lshlrev_b32_e32 v22, 8, v13
	v_lshl_add_u32 v23, v39, 10, 0x2000
	v_lshlrev_b32_e32 v38, 7, v38
	v_and_b32_e32 v22, 0x8000, v22
	v_and_b32_e32 v23, 0xfc00, v23
	v_or3_b32 v38, v22, v23, v38
.LBB285_2468:                           ;   in Loop: Header=BB285_1571 Depth=1
	s_or_b32 exec_lo, exec_lo, s20
.LBB285_2469:                           ;   in Loop: Header=BB285_1571 Depth=1
	s_or_b32 exec_lo, exec_lo, s19
.LBB285_2470:                           ;   in Loop: Header=BB285_1571 Depth=1
	s_or_b32 exec_lo, exec_lo, s18
	v_lshrrev_b16 v3, 8, v3
	v_mov_b32_e32 v39, 0
	s_mov_b32 s18, exec_lo
	v_cmpx_ne_u16_e32 0, v3
	s_cbranch_execz .LBB285_2478
; %bb.2471:                             ;   in Loop: Header=BB285_1571 Depth=1
	v_bfrev_b32_e32 v39, 1
	s_mov_b32 s19, exec_lo
	v_cmpx_ne_u16_e32 0x80, v3
	s_cbranch_execz .LBB285_2477
; %bb.2472:                             ;   in Loop: Header=BB285_1571 Depth=1
	v_and_b32_sdwa v73, v3, v81 dst_sel:DWORD dst_unused:UNUSED_PAD src0_sel:WORD_0 src1_sel:DWORD
	v_mov_b32_e32 v39, 0x7c010000
	s_mov_b32 s20, exec_lo
	v_cmpx_ne_u32_e32 0x7f, v73
	s_cbranch_execz .LBB285_2476
; %bb.2473:                             ;   in Loop: Header=BB285_1571 Depth=1
	v_and_b32_sdwa v39, v3, v82 dst_sel:DWORD dst_unused:UNUSED_PAD src0_sel:WORD_0 src1_sel:DWORD
	v_lshrrev_b32_e32 v72, 3, v73
	s_mov_b32 s21, exec_lo
	v_cmpx_gt_u32_e32 8, v73
; %bb.2474:                             ;   in Loop: Header=BB285_1571 Depth=1
	v_ffbh_u32_e32 v22, v39
	v_min_u32_e32 v39, 32, v22
	v_subrev_nc_u32_e32 v22, 28, v39
	v_sub_nc_u32_e32 v72, 29, v39
	v_lshlrev_b64 v[22:23], v22, v[3:4]
	v_and_b32_e32 v39, 7, v22
; %bb.2475:                             ;   in Loop: Header=BB285_1571 Depth=1
	s_or_b32 exec_lo, exec_lo, s21
	v_lshlrev_b32_sdwa v3, v83, v3 dst_sel:DWORD dst_unused:UNUSED_PAD src0_sel:DWORD src1_sel:WORD_0
	v_lshl_add_u32 v22, v72, 10, 0x2000
	v_and_or_b32 v3, 0x8000, v3, v22
	v_lshlrev_b32_e32 v22, 23, v39
	v_lshl_or_b32 v39, v3, 16, v22
.LBB285_2476:                           ;   in Loop: Header=BB285_1571 Depth=1
	s_or_b32 exec_lo, exec_lo, s20
.LBB285_2477:                           ;   in Loop: Header=BB285_1571 Depth=1
	s_or_b32 exec_lo, exec_lo, s19
.LBB285_2478:                           ;   in Loop: Header=BB285_1571 Depth=1
	s_or_b32 exec_lo, exec_lo, s18
	v_lshrrev_b32_e32 v3, 16, v13
	v_cmp_ne_u16_sdwa s4, v3, v4 src0_sel:BYTE_0 src1_sel:DWORD
	s_and_saveexec_b32 s18, s4
	s_cbranch_execz .LBB285_2486
; %bb.2479:                             ;   in Loop: Header=BB285_1571 Depth=1
	v_cmp_ne_u16_sdwa s4, v3, v80 src0_sel:BYTE_0 src1_sel:DWORD
	v_mov_b32_e32 v37, 0x8000
	s_and_saveexec_b32 s19, s4
	s_cbranch_execz .LBB285_2485
; %bb.2480:                             ;   in Loop: Header=BB285_1571 Depth=1
	v_bfe_u32 v73, v13, 16, 7
	v_mov_b32_e32 v37, 0x7c01
	s_mov_b32 s20, exec_lo
	v_cmpx_ne_u32_e32 0x7f, v73
	s_cbranch_execz .LBB285_2484
; %bb.2481:                             ;   in Loop: Header=BB285_1571 Depth=1
	v_and_b32_e32 v37, 7, v3
	v_lshrrev_b32_e32 v72, 3, v73
	s_mov_b32 s21, exec_lo
	v_cmpx_gt_u32_e32 8, v73
; %bb.2482:                             ;   in Loop: Header=BB285_1571 Depth=1
	v_ffbh_u32_e32 v22, v37
	v_min_u32_e32 v37, 32, v22
	v_subrev_nc_u32_e32 v22, 28, v37
	v_sub_nc_u32_e32 v72, 29, v37
	v_lshlrev_b64 v[22:23], v22, v[3:4]
	v_and_b32_e32 v37, 7, v22
; %bb.2483:                             ;   in Loop: Header=BB285_1571 Depth=1
	s_or_b32 exec_lo, exec_lo, s21
	v_lshlrev_b32_e32 v3, 8, v3
	v_lshl_add_u32 v22, v72, 10, 0x2000
	v_lshlrev_b32_e32 v23, 7, v37
	v_and_b32_e32 v3, 0x8000, v3
	v_and_b32_e32 v22, 0xfc00, v22
	v_or3_b32 v37, v3, v22, v23
.LBB285_2484:                           ;   in Loop: Header=BB285_1571 Depth=1
	s_or_b32 exec_lo, exec_lo, s20
.LBB285_2485:                           ;   in Loop: Header=BB285_1571 Depth=1
	s_or_b32 exec_lo, exec_lo, s19
.LBB285_2486:                           ;   in Loop: Header=BB285_1571 Depth=1
	s_or_b32 exec_lo, exec_lo, s18
	v_cmp_lt_u64_e64 s4, s[6:7], v[12:13]
	v_mov_b32_e32 v12, 0
	s_and_saveexec_b32 s18, s4
	s_cbranch_execz .LBB285_2494
; %bb.2487:                             ;   in Loop: Header=BB285_1571 Depth=1
	v_lshrrev_b32_e32 v3, 24, v13
	v_bfrev_b32_e32 v12, 1
	s_mov_b32 s19, exec_lo
	v_cmpx_ne_u32_e32 0x80, v3
	s_cbranch_execz .LBB285_2493
; %bb.2488:                             ;   in Loop: Header=BB285_1571 Depth=1
	v_and_b32_e32 v72, 0x7f, v3
	v_mov_b32_e32 v12, 0x7c010000
	s_mov_b32 s20, exec_lo
	v_cmpx_ne_u32_e32 0x7f, v72
	s_cbranch_execz .LBB285_2492
; %bb.2489:                             ;   in Loop: Header=BB285_1571 Depth=1
	v_and_b32_e32 v12, 7, v3
	v_lshrrev_b32_e32 v13, 3, v72
	s_mov_b32 s21, exec_lo
	v_cmpx_gt_u32_e32 8, v72
; %bb.2490:                             ;   in Loop: Header=BB285_1571 Depth=1
	v_ffbh_u32_e32 v12, v12
	v_min_u32_e32 v22, 32, v12
	v_subrev_nc_u32_e32 v12, 28, v22
	v_lshlrev_b64 v[12:13], v12, v[3:4]
	v_sub_nc_u32_e32 v13, 29, v22
	v_and_b32_e32 v12, 7, v12
; %bb.2491:                             ;   in Loop: Header=BB285_1571 Depth=1
	s_or_b32 exec_lo, exec_lo, s21
	v_lshlrev_b32_e32 v3, 8, v3
	v_lshl_add_u32 v13, v13, 10, 0x2000
	v_lshlrev_b32_e32 v12, 23, v12
	v_and_or_b32 v3, 0x8000, v3, v13
	v_lshl_or_b32 v12, v3, 16, v12
.LBB285_2492:                           ;   in Loop: Header=BB285_1571 Depth=1
	s_or_b32 exec_lo, exec_lo, s20
.LBB285_2493:                           ;   in Loop: Header=BB285_1571 Depth=1
	s_or_b32 exec_lo, exec_lo, s19
.LBB285_2494:                           ;   in Loop: Header=BB285_1571 Depth=1
	s_or_b32 exec_lo, exec_lo, s18
	v_or_b32_e32 v3, v34, v36
	s_waitcnt vmcnt(0) lgkmcnt(0)
	v_fma_mixlo_f16 v13, v19, v34, 0 op_sel:[0,1,0] op_sel_hi:[0,1,0]
	v_or_b32_e32 v22, v31, v33
	v_fma_mixlo_f16 v23, v19, v31, 0 op_sel:[0,1,0] op_sel_hi:[0,1,0]
	v_or_b32_e32 v31, v39, v38
	v_fma_mixlo_f16 v34, v19, v3, 0 op_sel_hi:[0,1,0]
	v_or_b32_e32 v36, v12, v37
	v_lshlrev_b32_e32 v3, 16, v13
	v_lshlrev_b32_e32 v33, 16, v23
	v_fma_mixlo_f16 v22, v19, v22, 0 op_sel_hi:[0,1,0]
	v_and_b32_e32 v13, 0xffff, v34
	v_fma_mixlo_f16 v23, v19, v39, 0 op_sel:[0,1,0] op_sel_hi:[0,1,0]
	v_fma_mixlo_f16 v31, v19, v31, 0 op_sel_hi:[0,1,0]
	v_fma_mixlo_f16 v12, v19, v12, 0 op_sel:[0,1,0] op_sel_hi:[0,1,0]
	v_fma_mixlo_f16 v34, v19, v36, 0 op_sel_hi:[0,1,0]
	v_and_b32_e32 v72, 0xffff, v22
	v_lshlrev_b32_e32 v19, 16, v23
	v_and_b32_e32 v36, 0xffff, v31
	v_lshlrev_b32_e32 v12, 16, v12
	v_and_b32_e32 v31, 0xffff, v34
	v_or_b32_e32 v34, v3, v13
	v_or_b32_e32 v39, v33, v72
	;; [unrolled: 1-line block ×4, first 2 shown]
	s_and_saveexec_b32 s18, vcc_lo
	s_cbranch_execz .LBB285_2496
; %bb.2495:                             ;   in Loop: Header=BB285_1571 Depth=1
	v_cmp_lt_i32_e64 s4, v86, v32
	v_cndmask_b32_e64 v22, 0, v72, s4
	v_cmp_lt_i32_e64 s4, v115, v32
	v_cndmask_b32_e64 v23, 0, v33, s4
	v_cmp_lt_i32_e64 s4, v114, v32
	v_or_b32_e32 v39, v22, v23
	v_cndmask_b32_e64 v13, 0, v13, s4
	v_cmp_lt_i32_e64 s4, v113, v32
	v_cndmask_b32_e64 v3, 0, v3, s4
	v_cmp_lt_i32_e64 s4, v112, v32
	v_or_b32_e32 v34, v13, v3
	;; [unrolled: 5-line block ×3, first 2 shown]
	v_cndmask_b32_e64 v31, 0, v31, s4
	v_cmp_lt_i32_e64 s4, v101, v32
	v_cndmask_b32_e64 v12, 0, v12, s4
	v_or_b32_e32 v37, v31, v12
.LBB285_2496:                           ;   in Loop: Header=BB285_1571 Depth=1
	s_or_b32 exec_lo, exec_lo, s18
	;;#ASMSTART
	v_pk_mul_f16 v3, v100, v39;

	;;#ASMEND
	;;#ASMSTART
	v_pk_mul_f16 v12, v99, v34;

	;;#ASMEND
	;; [unrolled: 4-line block ×4, first 2 shown]
	;;#ASMSTART
	v_pk_add_f16 v3, v3, v12;

	;;#ASMEND
	;;#ASMSTART
	v_pk_add_f16 v3, v3, v13;

	;;#ASMEND
	;; [unrolled: 4-line block ×3, first 2 shown]
	v_and_b32_e32 v12, 0xffff, v3
	v_lshrrev_b32_e32 v3, 16, v3
	;;#ASMSTART
	v_cvt_f32_f16 v19, v12;
	;;#ASMEND
	;;#ASMSTART
	v_cvt_f32_f16 v31, v3;
	;;#ASMEND
	flat_load_dwordx2 v[12:13], v[10:11] offset:1536
	flat_load_dword v33, v[109:110]
	v_mov_b32_e32 v34, 0
	v_mov_b32_e32 v36, 0
	s_waitcnt vmcnt(1) lgkmcnt(1)
	v_cmp_ne_u16_sdwa s4, v12, v4 src0_sel:BYTE_0 src1_sel:DWORD
	s_and_saveexec_b32 s18, s4
	s_cbranch_execz .LBB285_2504
; %bb.2497:                             ;   in Loop: Header=BB285_1571 Depth=1
	v_cmp_ne_u16_sdwa s4, v12, v80 src0_sel:BYTE_0 src1_sel:DWORD
	v_mov_b32_e32 v36, 0x8000
	s_and_saveexec_b32 s19, s4
	s_cbranch_execz .LBB285_2503
; %bb.2498:                             ;   in Loop: Header=BB285_1571 Depth=1
	v_and_b32_e32 v37, 0x7f, v12
	v_mov_b32_e32 v36, 0x7c01
	s_mov_b32 s20, exec_lo
	v_cmpx_ne_u32_e32 0x7f, v37
	s_cbranch_execz .LBB285_2502
; %bb.2499:                             ;   in Loop: Header=BB285_1571 Depth=1
	v_and_b32_e32 v3, 7, v12
	v_lshrrev_b32_e32 v36, 3, v37
	s_mov_b32 s21, exec_lo
	v_cmpx_gt_u32_e32 8, v37
; %bb.2500:                             ;   in Loop: Header=BB285_1571 Depth=1
	v_ffbh_u32_e32 v3, v3
	v_min_u32_e32 v3, 32, v3
	v_subrev_nc_u32_e32 v22, 28, v3
	v_sub_nc_u32_e32 v36, 29, v3
	v_lshlrev_b64 v[22:23], v22, v[12:13]
	v_and_b32_e32 v3, 7, v22
; %bb.2501:                             ;   in Loop: Header=BB285_1571 Depth=1
	s_or_b32 exec_lo, exec_lo, s21
	v_lshlrev_b32_e32 v22, 8, v12
	v_lshl_add_u32 v23, v36, 10, 0x2000
	v_lshlrev_b32_e32 v3, 7, v3
	v_and_b32_e32 v22, 0x8000, v22
	v_and_b32_e32 v23, 0xfc00, v23
	v_or3_b32 v36, v22, v23, v3
.LBB285_2502:                           ;   in Loop: Header=BB285_1571 Depth=1
	s_or_b32 exec_lo, exec_lo, s20
.LBB285_2503:                           ;   in Loop: Header=BB285_1571 Depth=1
	s_or_b32 exec_lo, exec_lo, s19
.LBB285_2504:                           ;   in Loop: Header=BB285_1571 Depth=1
	s_or_b32 exec_lo, exec_lo, s18
	v_lshrrev_b16 v3, 8, v12
	s_mov_b32 s18, exec_lo
	v_cmpx_ne_u16_e32 0, v3
	s_cbranch_execz .LBB285_2512
; %bb.2505:                             ;   in Loop: Header=BB285_1571 Depth=1
	v_bfrev_b32_e32 v34, 1
	s_mov_b32 s19, exec_lo
	v_cmpx_ne_u16_e32 0x80, v3
	s_cbranch_execz .LBB285_2511
; %bb.2506:                             ;   in Loop: Header=BB285_1571 Depth=1
	v_and_b32_sdwa v38, v3, v81 dst_sel:DWORD dst_unused:UNUSED_PAD src0_sel:WORD_0 src1_sel:DWORD
	v_mov_b32_e32 v34, 0x7c010000
	s_mov_b32 s20, exec_lo
	v_cmpx_ne_u32_e32 0x7f, v38
	s_cbranch_execz .LBB285_2510
; %bb.2507:                             ;   in Loop: Header=BB285_1571 Depth=1
	v_and_b32_sdwa v34, v3, v82 dst_sel:DWORD dst_unused:UNUSED_PAD src0_sel:WORD_0 src1_sel:DWORD
	v_lshrrev_b32_e32 v37, 3, v38
	s_mov_b32 s21, exec_lo
	v_cmpx_gt_u32_e32 8, v38
; %bb.2508:                             ;   in Loop: Header=BB285_1571 Depth=1
	v_ffbh_u32_e32 v22, v34
	v_min_u32_e32 v34, 32, v22
	v_subrev_nc_u32_e32 v22, 28, v34
	v_sub_nc_u32_e32 v37, 29, v34
	v_lshlrev_b64 v[22:23], v22, v[3:4]
	v_and_b32_e32 v34, 7, v22
; %bb.2509:                             ;   in Loop: Header=BB285_1571 Depth=1
	s_or_b32 exec_lo, exec_lo, s21
	v_lshlrev_b32_sdwa v3, v83, v3 dst_sel:DWORD dst_unused:UNUSED_PAD src0_sel:DWORD src1_sel:WORD_0
	v_lshl_add_u32 v22, v37, 10, 0x2000
	v_and_or_b32 v3, 0x8000, v3, v22
	v_lshlrev_b32_e32 v22, 23, v34
	v_lshl_or_b32 v34, v3, 16, v22
.LBB285_2510:                           ;   in Loop: Header=BB285_1571 Depth=1
	s_or_b32 exec_lo, exec_lo, s20
.LBB285_2511:                           ;   in Loop: Header=BB285_1571 Depth=1
	s_or_b32 exec_lo, exec_lo, s19
.LBB285_2512:                           ;   in Loop: Header=BB285_1571 Depth=1
	s_or_b32 exec_lo, exec_lo, s18
	v_lshrrev_b32_e32 v3, 16, v12
	v_mov_b32_e32 v37, 0
	v_mov_b32_e32 v38, 0
	v_cmp_ne_u16_sdwa s4, v3, v4 src0_sel:BYTE_0 src1_sel:DWORD
	s_and_saveexec_b32 s18, s4
	s_cbranch_execz .LBB285_2520
; %bb.2513:                             ;   in Loop: Header=BB285_1571 Depth=1
	v_cmp_ne_u16_sdwa s4, v3, v80 src0_sel:BYTE_0 src1_sel:DWORD
	v_mov_b32_e32 v38, 0x8000
	s_and_saveexec_b32 s19, s4
	s_cbranch_execz .LBB285_2519
; %bb.2514:                             ;   in Loop: Header=BB285_1571 Depth=1
	v_bfe_u32 v72, v12, 16, 7
	v_mov_b32_e32 v38, 0x7c01
	s_mov_b32 s20, exec_lo
	v_cmpx_ne_u32_e32 0x7f, v72
	s_cbranch_execz .LBB285_2518
; %bb.2515:                             ;   in Loop: Header=BB285_1571 Depth=1
	v_and_b32_e32 v38, 7, v3
	v_lshrrev_b32_e32 v39, 3, v72
	s_mov_b32 s21, exec_lo
	v_cmpx_gt_u32_e32 8, v72
; %bb.2516:                             ;   in Loop: Header=BB285_1571 Depth=1
	v_ffbh_u32_e32 v22, v38
	v_min_u32_e32 v38, 32, v22
	v_subrev_nc_u32_e32 v22, 28, v38
	v_sub_nc_u32_e32 v39, 29, v38
	v_lshlrev_b64 v[22:23], v22, v[3:4]
	v_and_b32_e32 v38, 7, v22
; %bb.2517:                             ;   in Loop: Header=BB285_1571 Depth=1
	s_or_b32 exec_lo, exec_lo, s21
	v_lshlrev_b32_e32 v3, 8, v3
	v_lshl_add_u32 v22, v39, 10, 0x2000
	v_lshlrev_b32_e32 v23, 7, v38
	v_and_b32_e32 v3, 0x8000, v3
	v_and_b32_e32 v22, 0xfc00, v22
	v_or3_b32 v38, v3, v22, v23
.LBB285_2518:                           ;   in Loop: Header=BB285_1571 Depth=1
	s_or_b32 exec_lo, exec_lo, s20
.LBB285_2519:                           ;   in Loop: Header=BB285_1571 Depth=1
	s_or_b32 exec_lo, exec_lo, s19
.LBB285_2520:                           ;   in Loop: Header=BB285_1571 Depth=1
	s_or_b32 exec_lo, exec_lo, s18
	s_mov_b32 s18, exec_lo
	v_cmpx_lt_u32_e32 0xffffff, v12
	s_cbranch_execz .LBB285_2528
; %bb.2521:                             ;   in Loop: Header=BB285_1571 Depth=1
	v_lshrrev_b32_e32 v3, 24, v12
	v_bfrev_b32_e32 v37, 1
	s_mov_b32 s19, exec_lo
	v_cmpx_ne_u32_e32 0x80, v3
	s_cbranch_execz .LBB285_2527
; %bb.2522:                             ;   in Loop: Header=BB285_1571 Depth=1
	v_and_b32_e32 v72, 0x7f, v3
	v_mov_b32_e32 v37, 0x7c010000
	s_mov_b32 s20, exec_lo
	v_cmpx_ne_u32_e32 0x7f, v72
	s_cbranch_execz .LBB285_2526
; %bb.2523:                             ;   in Loop: Header=BB285_1571 Depth=1
	v_and_b32_e32 v37, 7, v3
	v_lshrrev_b32_e32 v39, 3, v72
	s_mov_b32 s21, exec_lo
	v_cmpx_gt_u32_e32 8, v72
; %bb.2524:                             ;   in Loop: Header=BB285_1571 Depth=1
	v_ffbh_u32_e32 v22, v37
	v_min_u32_e32 v37, 32, v22
	v_subrev_nc_u32_e32 v22, 28, v37
	v_sub_nc_u32_e32 v39, 29, v37
	v_lshlrev_b64 v[22:23], v22, v[3:4]
	v_and_b32_e32 v37, 7, v22
; %bb.2525:                             ;   in Loop: Header=BB285_1571 Depth=1
	s_or_b32 exec_lo, exec_lo, s21
	v_lshlrev_b32_e32 v3, 8, v3
	v_lshl_add_u32 v22, v39, 10, 0x2000
	v_and_or_b32 v3, 0x8000, v3, v22
	v_lshlrev_b32_e32 v22, 23, v37
	v_lshl_or_b32 v37, v3, 16, v22
.LBB285_2526:                           ;   in Loop: Header=BB285_1571 Depth=1
	s_or_b32 exec_lo, exec_lo, s20
.LBB285_2527:                           ;   in Loop: Header=BB285_1571 Depth=1
	s_or_b32 exec_lo, exec_lo, s19
.LBB285_2528:                           ;   in Loop: Header=BB285_1571 Depth=1
	s_or_b32 exec_lo, exec_lo, s18
	v_mov_b32_e32 v3, v13
	v_cmp_ne_u16_sdwa s4, v13, v4 src0_sel:BYTE_0 src1_sel:DWORD
	v_mov_b32_e32 v39, 0
	v_mov_b32_e32 v72, 0
	s_and_saveexec_b32 s18, s4
	s_cbranch_execz .LBB285_2536
; %bb.2529:                             ;   in Loop: Header=BB285_1571 Depth=1
	v_cmp_ne_u16_sdwa s4, v13, v80 src0_sel:BYTE_0 src1_sel:DWORD
	v_mov_b32_e32 v72, 0x8000
	s_and_saveexec_b32 s19, s4
	s_cbranch_execz .LBB285_2535
; %bb.2530:                             ;   in Loop: Header=BB285_1571 Depth=1
	v_and_b32_e32 v74, 0x7f, v13
	v_mov_b32_e32 v72, 0x7c01
	s_mov_b32 s20, exec_lo
	v_cmpx_ne_u32_e32 0x7f, v74
	s_cbranch_execz .LBB285_2534
; %bb.2531:                             ;   in Loop: Header=BB285_1571 Depth=1
	v_and_b32_e32 v72, 7, v13
	v_lshrrev_b32_e32 v73, 3, v74
	s_mov_b32 s21, exec_lo
	v_cmpx_gt_u32_e32 8, v74
; %bb.2532:                             ;   in Loop: Header=BB285_1571 Depth=1
	v_ffbh_u32_e32 v22, v72
	v_min_u32_e32 v72, 32, v22
	v_subrev_nc_u32_e32 v22, 28, v72
	v_sub_nc_u32_e32 v73, 29, v72
	v_lshlrev_b64 v[22:23], v22, v[3:4]
	v_and_b32_e32 v72, 7, v22
; %bb.2533:                             ;   in Loop: Header=BB285_1571 Depth=1
	s_or_b32 exec_lo, exec_lo, s21
	v_lshlrev_b32_e32 v22, 8, v13
	v_lshl_add_u32 v23, v73, 10, 0x2000
	v_lshlrev_b32_e32 v72, 7, v72
	v_and_b32_e32 v22, 0x8000, v22
	v_and_b32_e32 v23, 0xfc00, v23
	v_or3_b32 v72, v22, v23, v72
.LBB285_2534:                           ;   in Loop: Header=BB285_1571 Depth=1
	s_or_b32 exec_lo, exec_lo, s20
.LBB285_2535:                           ;   in Loop: Header=BB285_1571 Depth=1
	s_or_b32 exec_lo, exec_lo, s19
.LBB285_2536:                           ;   in Loop: Header=BB285_1571 Depth=1
	s_or_b32 exec_lo, exec_lo, s18
	v_lshrrev_b16 v3, 8, v3
	v_mov_b32_e32 v73, 0
	s_mov_b32 s18, exec_lo
	v_cmpx_ne_u16_e32 0, v3
	s_cbranch_execz .LBB285_2544
; %bb.2537:                             ;   in Loop: Header=BB285_1571 Depth=1
	v_bfrev_b32_e32 v73, 1
	s_mov_b32 s19, exec_lo
	v_cmpx_ne_u16_e32 0x80, v3
	s_cbranch_execz .LBB285_2543
; %bb.2538:                             ;   in Loop: Header=BB285_1571 Depth=1
	v_and_b32_sdwa v75, v3, v81 dst_sel:DWORD dst_unused:UNUSED_PAD src0_sel:WORD_0 src1_sel:DWORD
	v_mov_b32_e32 v73, 0x7c010000
	s_mov_b32 s20, exec_lo
	v_cmpx_ne_u32_e32 0x7f, v75
	s_cbranch_execz .LBB285_2542
; %bb.2539:                             ;   in Loop: Header=BB285_1571 Depth=1
	v_and_b32_sdwa v73, v3, v82 dst_sel:DWORD dst_unused:UNUSED_PAD src0_sel:WORD_0 src1_sel:DWORD
	v_lshrrev_b32_e32 v74, 3, v75
	s_mov_b32 s21, exec_lo
	v_cmpx_gt_u32_e32 8, v75
; %bb.2540:                             ;   in Loop: Header=BB285_1571 Depth=1
	v_ffbh_u32_e32 v22, v73
	v_min_u32_e32 v73, 32, v22
	v_subrev_nc_u32_e32 v22, 28, v73
	v_sub_nc_u32_e32 v74, 29, v73
	v_lshlrev_b64 v[22:23], v22, v[3:4]
	v_and_b32_e32 v73, 7, v22
; %bb.2541:                             ;   in Loop: Header=BB285_1571 Depth=1
	s_or_b32 exec_lo, exec_lo, s21
	v_lshlrev_b32_sdwa v3, v83, v3 dst_sel:DWORD dst_unused:UNUSED_PAD src0_sel:DWORD src1_sel:WORD_0
	v_lshl_add_u32 v22, v74, 10, 0x2000
	v_and_or_b32 v3, 0x8000, v3, v22
	v_lshlrev_b32_e32 v22, 23, v73
	v_lshl_or_b32 v73, v3, 16, v22
.LBB285_2542:                           ;   in Loop: Header=BB285_1571 Depth=1
	s_or_b32 exec_lo, exec_lo, s20
.LBB285_2543:                           ;   in Loop: Header=BB285_1571 Depth=1
	s_or_b32 exec_lo, exec_lo, s19
.LBB285_2544:                           ;   in Loop: Header=BB285_1571 Depth=1
	s_or_b32 exec_lo, exec_lo, s18
	v_lshrrev_b32_e32 v3, 16, v13
	v_cmp_ne_u16_sdwa s4, v3, v4 src0_sel:BYTE_0 src1_sel:DWORD
	s_and_saveexec_b32 s18, s4
	s_cbranch_execz .LBB285_2552
; %bb.2545:                             ;   in Loop: Header=BB285_1571 Depth=1
	v_cmp_ne_u16_sdwa s4, v3, v80 src0_sel:BYTE_0 src1_sel:DWORD
	v_mov_b32_e32 v39, 0x8000
	s_and_saveexec_b32 s19, s4
	s_cbranch_execz .LBB285_2551
; %bb.2546:                             ;   in Loop: Header=BB285_1571 Depth=1
	v_bfe_u32 v75, v13, 16, 7
	v_mov_b32_e32 v39, 0x7c01
	s_mov_b32 s20, exec_lo
	v_cmpx_ne_u32_e32 0x7f, v75
	s_cbranch_execz .LBB285_2550
; %bb.2547:                             ;   in Loop: Header=BB285_1571 Depth=1
	v_and_b32_e32 v39, 7, v3
	v_lshrrev_b32_e32 v74, 3, v75
	s_mov_b32 s21, exec_lo
	v_cmpx_gt_u32_e32 8, v75
; %bb.2548:                             ;   in Loop: Header=BB285_1571 Depth=1
	v_ffbh_u32_e32 v22, v39
	v_min_u32_e32 v39, 32, v22
	v_subrev_nc_u32_e32 v22, 28, v39
	v_sub_nc_u32_e32 v74, 29, v39
	v_lshlrev_b64 v[22:23], v22, v[3:4]
	v_and_b32_e32 v39, 7, v22
; %bb.2549:                             ;   in Loop: Header=BB285_1571 Depth=1
	s_or_b32 exec_lo, exec_lo, s21
	v_lshlrev_b32_e32 v3, 8, v3
	v_lshl_add_u32 v22, v74, 10, 0x2000
	v_lshlrev_b32_e32 v23, 7, v39
	v_and_b32_e32 v3, 0x8000, v3
	v_and_b32_e32 v22, 0xfc00, v22
	v_or3_b32 v39, v3, v22, v23
.LBB285_2550:                           ;   in Loop: Header=BB285_1571 Depth=1
	s_or_b32 exec_lo, exec_lo, s20
.LBB285_2551:                           ;   in Loop: Header=BB285_1571 Depth=1
	s_or_b32 exec_lo, exec_lo, s19
.LBB285_2552:                           ;   in Loop: Header=BB285_1571 Depth=1
	s_or_b32 exec_lo, exec_lo, s18
	v_cmp_lt_u64_e64 s4, s[6:7], v[12:13]
	v_mov_b32_e32 v12, 0
	s_and_saveexec_b32 s18, s4
	s_cbranch_execz .LBB285_2560
; %bb.2553:                             ;   in Loop: Header=BB285_1571 Depth=1
	v_lshrrev_b32_e32 v3, 24, v13
	v_bfrev_b32_e32 v12, 1
	s_mov_b32 s19, exec_lo
	v_cmpx_ne_u32_e32 0x80, v3
	s_cbranch_execz .LBB285_2559
; %bb.2554:                             ;   in Loop: Header=BB285_1571 Depth=1
	v_and_b32_e32 v74, 0x7f, v3
	v_mov_b32_e32 v12, 0x7c010000
	s_mov_b32 s20, exec_lo
	v_cmpx_ne_u32_e32 0x7f, v74
	s_cbranch_execz .LBB285_2558
; %bb.2555:                             ;   in Loop: Header=BB285_1571 Depth=1
	v_and_b32_e32 v12, 7, v3
	v_lshrrev_b32_e32 v13, 3, v74
	s_mov_b32 s21, exec_lo
	v_cmpx_gt_u32_e32 8, v74
; %bb.2556:                             ;   in Loop: Header=BB285_1571 Depth=1
	v_ffbh_u32_e32 v12, v12
	v_min_u32_e32 v22, 32, v12
	v_subrev_nc_u32_e32 v12, 28, v22
	v_lshlrev_b64 v[12:13], v12, v[3:4]
	v_sub_nc_u32_e32 v13, 29, v22
	v_and_b32_e32 v12, 7, v12
; %bb.2557:                             ;   in Loop: Header=BB285_1571 Depth=1
	s_or_b32 exec_lo, exec_lo, s21
	v_lshlrev_b32_e32 v3, 8, v3
	v_lshl_add_u32 v13, v13, 10, 0x2000
	v_lshlrev_b32_e32 v12, 23, v12
	v_and_or_b32 v3, 0x8000, v3, v13
	v_lshl_or_b32 v12, v3, 16, v12
.LBB285_2558:                           ;   in Loop: Header=BB285_1571 Depth=1
	s_or_b32 exec_lo, exec_lo, s20
.LBB285_2559:                           ;   in Loop: Header=BB285_1571 Depth=1
	s_or_b32 exec_lo, exec_lo, s19
.LBB285_2560:                           ;   in Loop: Header=BB285_1571 Depth=1
	s_or_b32 exec_lo, exec_lo, s18
	v_or_b32_e32 v3, v37, v38
	s_waitcnt vmcnt(0) lgkmcnt(0)
	v_fma_mixlo_f16 v13, v33, v37, 0 op_sel:[0,1,0] op_sel_hi:[0,1,0]
	v_or_b32_e32 v22, v34, v36
	v_fma_mixlo_f16 v23, v33, v34, 0 op_sel:[0,1,0] op_sel_hi:[0,1,0]
	v_or_b32_e32 v34, v73, v72
	v_fma_mixlo_f16 v37, v33, v3, 0 op_sel_hi:[0,1,0]
	v_or_b32_e32 v38, v12, v39
	v_lshlrev_b32_e32 v3, 16, v13
	v_lshlrev_b32_e32 v36, 16, v23
	v_fma_mixlo_f16 v22, v33, v22, 0 op_sel_hi:[0,1,0]
	v_and_b32_e32 v13, 0xffff, v37
	v_fma_mixlo_f16 v23, v33, v73, 0 op_sel:[0,1,0] op_sel_hi:[0,1,0]
	v_fma_mixlo_f16 v34, v33, v34, 0 op_sel_hi:[0,1,0]
	v_fma_mixlo_f16 v12, v33, v12, 0 op_sel:[0,1,0] op_sel_hi:[0,1,0]
	v_fma_mixlo_f16 v37, v33, v38, 0 op_sel_hi:[0,1,0]
	v_and_b32_e32 v74, 0xffff, v22
	v_lshlrev_b32_e32 v33, 16, v23
	v_and_b32_e32 v38, 0xffff, v34
	v_lshlrev_b32_e32 v12, 16, v12
	v_and_b32_e32 v34, 0xffff, v37
	v_or_b32_e32 v37, v3, v13
	v_or_b32_e32 v73, v36, v74
	;; [unrolled: 1-line block ×4, first 2 shown]
	s_and_saveexec_b32 s18, vcc_lo
	s_cbranch_execz .LBB285_2562
; %bb.2561:                             ;   in Loop: Header=BB285_1571 Depth=1
	v_cmp_lt_i32_e64 s4, v86, v32
	v_cndmask_b32_e64 v22, 0, v74, s4
	v_cmp_lt_i32_e64 s4, v115, v32
	v_cndmask_b32_e64 v23, 0, v36, s4
	v_cmp_lt_i32_e64 s4, v114, v32
	v_or_b32_e32 v73, v22, v23
	v_cndmask_b32_e64 v13, 0, v13, s4
	v_cmp_lt_i32_e64 s4, v113, v32
	v_cndmask_b32_e64 v3, 0, v3, s4
	v_cmp_lt_i32_e64 s4, v112, v32
	v_or_b32_e32 v37, v13, v3
	v_cndmask_b32_e64 v36, 0, v38, s4
	v_cmp_lt_i32_e64 s4, v103, v32
	v_cndmask_b32_e64 v33, 0, v33, s4
	v_cmp_lt_i32_e64 s4, v102, v32
	v_or_b32_e32 v72, v36, v33
	v_cndmask_b32_e64 v34, 0, v34, s4
	v_cmp_lt_i32_e64 s4, v101, v32
	v_cndmask_b32_e64 v12, 0, v12, s4
	v_or_b32_e32 v39, v34, v12
.LBB285_2562:                           ;   in Loop: Header=BB285_1571 Depth=1
	s_or_b32 exec_lo, exec_lo, s18
	;;#ASMSTART
	v_pk_mul_f16 v3, v100, v73;

	;;#ASMEND
	;;#ASMSTART
	v_pk_mul_f16 v12, v99, v37;

	;;#ASMEND
	;; [unrolled: 4-line block ×4, first 2 shown]
	;;#ASMSTART
	v_pk_add_f16 v3, v3, v12;

	;;#ASMEND
	;;#ASMSTART
	v_pk_add_f16 v3, v3, v13;

	;;#ASMEND
	;; [unrolled: 4-line block ×3, first 2 shown]
	v_and_b32_e32 v12, 0xffff, v3
	v_lshrrev_b32_e32 v3, 16, v3
	;;#ASMSTART
	v_cvt_f32_f16 v12, v12;
	;;#ASMEND
	;;#ASMSTART
	v_cvt_f32_f16 v13, v3;
	;;#ASMEND
	flat_load_dwordx2 v[10:11], v[10:11] offset:1792
	flat_load_dword v33, v[109:110]
	v_mov_b32_e32 v34, 0
	v_mov_b32_e32 v36, 0
	s_waitcnt vmcnt(1) lgkmcnt(1)
	v_cmp_ne_u16_sdwa s4, v10, v4 src0_sel:BYTE_0 src1_sel:DWORD
	s_and_saveexec_b32 s18, s4
	s_cbranch_execz .LBB285_2570
; %bb.2563:                             ;   in Loop: Header=BB285_1571 Depth=1
	v_cmp_ne_u16_sdwa s4, v10, v80 src0_sel:BYTE_0 src1_sel:DWORD
	v_mov_b32_e32 v36, 0x8000
	s_and_saveexec_b32 s19, s4
	s_cbranch_execz .LBB285_2569
; %bb.2564:                             ;   in Loop: Header=BB285_1571 Depth=1
	v_and_b32_e32 v37, 0x7f, v10
	v_mov_b32_e32 v36, 0x7c01
	s_mov_b32 s20, exec_lo
	v_cmpx_ne_u32_e32 0x7f, v37
	s_cbranch_execz .LBB285_2568
; %bb.2565:                             ;   in Loop: Header=BB285_1571 Depth=1
	v_and_b32_e32 v3, 7, v10
	v_lshrrev_b32_e32 v36, 3, v37
	s_mov_b32 s21, exec_lo
	v_cmpx_gt_u32_e32 8, v37
; %bb.2566:                             ;   in Loop: Header=BB285_1571 Depth=1
	v_ffbh_u32_e32 v3, v3
	v_min_u32_e32 v3, 32, v3
	v_subrev_nc_u32_e32 v22, 28, v3
	v_sub_nc_u32_e32 v36, 29, v3
	v_lshlrev_b64 v[22:23], v22, v[10:11]
	v_and_b32_e32 v3, 7, v22
; %bb.2567:                             ;   in Loop: Header=BB285_1571 Depth=1
	s_or_b32 exec_lo, exec_lo, s21
	v_lshlrev_b32_e32 v22, 8, v10
	v_lshl_add_u32 v23, v36, 10, 0x2000
	v_lshlrev_b32_e32 v3, 7, v3
	v_and_b32_e32 v22, 0x8000, v22
	v_and_b32_e32 v23, 0xfc00, v23
	v_or3_b32 v36, v22, v23, v3
.LBB285_2568:                           ;   in Loop: Header=BB285_1571 Depth=1
	s_or_b32 exec_lo, exec_lo, s20
.LBB285_2569:                           ;   in Loop: Header=BB285_1571 Depth=1
	s_or_b32 exec_lo, exec_lo, s19
.LBB285_2570:                           ;   in Loop: Header=BB285_1571 Depth=1
	s_or_b32 exec_lo, exec_lo, s18
	v_lshrrev_b16 v3, 8, v10
	s_mov_b32 s18, exec_lo
	v_cmpx_ne_u16_e32 0, v3
	s_cbranch_execz .LBB285_2578
; %bb.2571:                             ;   in Loop: Header=BB285_1571 Depth=1
	v_bfrev_b32_e32 v34, 1
	s_mov_b32 s19, exec_lo
	v_cmpx_ne_u16_e32 0x80, v3
	s_cbranch_execz .LBB285_2577
; %bb.2572:                             ;   in Loop: Header=BB285_1571 Depth=1
	v_and_b32_sdwa v38, v3, v81 dst_sel:DWORD dst_unused:UNUSED_PAD src0_sel:WORD_0 src1_sel:DWORD
	v_mov_b32_e32 v34, 0x7c010000
	s_mov_b32 s20, exec_lo
	v_cmpx_ne_u32_e32 0x7f, v38
	s_cbranch_execz .LBB285_2576
; %bb.2573:                             ;   in Loop: Header=BB285_1571 Depth=1
	v_and_b32_sdwa v34, v3, v82 dst_sel:DWORD dst_unused:UNUSED_PAD src0_sel:WORD_0 src1_sel:DWORD
	v_lshrrev_b32_e32 v37, 3, v38
	s_mov_b32 s21, exec_lo
	v_cmpx_gt_u32_e32 8, v38
; %bb.2574:                             ;   in Loop: Header=BB285_1571 Depth=1
	v_ffbh_u32_e32 v22, v34
	v_min_u32_e32 v34, 32, v22
	v_subrev_nc_u32_e32 v22, 28, v34
	v_sub_nc_u32_e32 v37, 29, v34
	v_lshlrev_b64 v[22:23], v22, v[3:4]
	v_and_b32_e32 v34, 7, v22
; %bb.2575:                             ;   in Loop: Header=BB285_1571 Depth=1
	s_or_b32 exec_lo, exec_lo, s21
	v_lshlrev_b32_sdwa v3, v83, v3 dst_sel:DWORD dst_unused:UNUSED_PAD src0_sel:DWORD src1_sel:WORD_0
	v_lshl_add_u32 v22, v37, 10, 0x2000
	v_and_or_b32 v3, 0x8000, v3, v22
	v_lshlrev_b32_e32 v22, 23, v34
	v_lshl_or_b32 v34, v3, 16, v22
.LBB285_2576:                           ;   in Loop: Header=BB285_1571 Depth=1
	s_or_b32 exec_lo, exec_lo, s20
.LBB285_2577:                           ;   in Loop: Header=BB285_1571 Depth=1
	s_or_b32 exec_lo, exec_lo, s19
.LBB285_2578:                           ;   in Loop: Header=BB285_1571 Depth=1
	s_or_b32 exec_lo, exec_lo, s18
	v_lshrrev_b32_e32 v3, 16, v10
	v_mov_b32_e32 v37, 0
	v_mov_b32_e32 v38, 0
	v_cmp_ne_u16_sdwa s4, v3, v4 src0_sel:BYTE_0 src1_sel:DWORD
	s_and_saveexec_b32 s18, s4
	s_cbranch_execz .LBB285_2586
; %bb.2579:                             ;   in Loop: Header=BB285_1571 Depth=1
	v_cmp_ne_u16_sdwa s4, v3, v80 src0_sel:BYTE_0 src1_sel:DWORD
	v_mov_b32_e32 v38, 0x8000
	s_and_saveexec_b32 s19, s4
	s_cbranch_execz .LBB285_2585
; %bb.2580:                             ;   in Loop: Header=BB285_1571 Depth=1
	v_bfe_u32 v72, v10, 16, 7
	v_mov_b32_e32 v38, 0x7c01
	s_mov_b32 s20, exec_lo
	v_cmpx_ne_u32_e32 0x7f, v72
	s_cbranch_execz .LBB285_2584
; %bb.2581:                             ;   in Loop: Header=BB285_1571 Depth=1
	v_and_b32_e32 v38, 7, v3
	v_lshrrev_b32_e32 v39, 3, v72
	s_mov_b32 s21, exec_lo
	v_cmpx_gt_u32_e32 8, v72
; %bb.2582:                             ;   in Loop: Header=BB285_1571 Depth=1
	v_ffbh_u32_e32 v22, v38
	v_min_u32_e32 v38, 32, v22
	v_subrev_nc_u32_e32 v22, 28, v38
	v_sub_nc_u32_e32 v39, 29, v38
	v_lshlrev_b64 v[22:23], v22, v[3:4]
	v_and_b32_e32 v38, 7, v22
; %bb.2583:                             ;   in Loop: Header=BB285_1571 Depth=1
	s_or_b32 exec_lo, exec_lo, s21
	v_lshlrev_b32_e32 v3, 8, v3
	v_lshl_add_u32 v22, v39, 10, 0x2000
	v_lshlrev_b32_e32 v23, 7, v38
	v_and_b32_e32 v3, 0x8000, v3
	v_and_b32_e32 v22, 0xfc00, v22
	v_or3_b32 v38, v3, v22, v23
.LBB285_2584:                           ;   in Loop: Header=BB285_1571 Depth=1
	s_or_b32 exec_lo, exec_lo, s20
.LBB285_2585:                           ;   in Loop: Header=BB285_1571 Depth=1
	s_or_b32 exec_lo, exec_lo, s19
.LBB285_2586:                           ;   in Loop: Header=BB285_1571 Depth=1
	s_or_b32 exec_lo, exec_lo, s18
	s_mov_b32 s18, exec_lo
	v_cmpx_lt_u32_e32 0xffffff, v10
	s_cbranch_execz .LBB285_2594
; %bb.2587:                             ;   in Loop: Header=BB285_1571 Depth=1
	v_lshrrev_b32_e32 v3, 24, v10
	v_bfrev_b32_e32 v37, 1
	s_mov_b32 s19, exec_lo
	v_cmpx_ne_u32_e32 0x80, v3
	s_cbranch_execz .LBB285_2593
; %bb.2588:                             ;   in Loop: Header=BB285_1571 Depth=1
	v_and_b32_e32 v72, 0x7f, v3
	v_mov_b32_e32 v37, 0x7c010000
	s_mov_b32 s20, exec_lo
	v_cmpx_ne_u32_e32 0x7f, v72
	s_cbranch_execz .LBB285_2592
; %bb.2589:                             ;   in Loop: Header=BB285_1571 Depth=1
	v_and_b32_e32 v37, 7, v3
	v_lshrrev_b32_e32 v39, 3, v72
	s_mov_b32 s21, exec_lo
	v_cmpx_gt_u32_e32 8, v72
; %bb.2590:                             ;   in Loop: Header=BB285_1571 Depth=1
	v_ffbh_u32_e32 v22, v37
	v_min_u32_e32 v37, 32, v22
	v_subrev_nc_u32_e32 v22, 28, v37
	v_sub_nc_u32_e32 v39, 29, v37
	v_lshlrev_b64 v[22:23], v22, v[3:4]
	v_and_b32_e32 v37, 7, v22
; %bb.2591:                             ;   in Loop: Header=BB285_1571 Depth=1
	s_or_b32 exec_lo, exec_lo, s21
	v_lshlrev_b32_e32 v3, 8, v3
	v_lshl_add_u32 v22, v39, 10, 0x2000
	v_and_or_b32 v3, 0x8000, v3, v22
	v_lshlrev_b32_e32 v22, 23, v37
	v_lshl_or_b32 v37, v3, 16, v22
.LBB285_2592:                           ;   in Loop: Header=BB285_1571 Depth=1
	s_or_b32 exec_lo, exec_lo, s20
.LBB285_2593:                           ;   in Loop: Header=BB285_1571 Depth=1
	s_or_b32 exec_lo, exec_lo, s19
.LBB285_2594:                           ;   in Loop: Header=BB285_1571 Depth=1
	s_or_b32 exec_lo, exec_lo, s18
	v_mov_b32_e32 v3, v11
	v_cmp_ne_u16_sdwa s4, v11, v4 src0_sel:BYTE_0 src1_sel:DWORD
	v_mov_b32_e32 v39, 0
	v_mov_b32_e32 v72, 0
	s_and_saveexec_b32 s18, s4
	s_cbranch_execz .LBB285_2602
; %bb.2595:                             ;   in Loop: Header=BB285_1571 Depth=1
	v_cmp_ne_u16_sdwa s4, v11, v80 src0_sel:BYTE_0 src1_sel:DWORD
	v_mov_b32_e32 v72, 0x8000
	s_and_saveexec_b32 s19, s4
	s_cbranch_execz .LBB285_2601
; %bb.2596:                             ;   in Loop: Header=BB285_1571 Depth=1
	v_and_b32_e32 v74, 0x7f, v11
	v_mov_b32_e32 v72, 0x7c01
	s_mov_b32 s20, exec_lo
	v_cmpx_ne_u32_e32 0x7f, v74
	s_cbranch_execz .LBB285_2600
; %bb.2597:                             ;   in Loop: Header=BB285_1571 Depth=1
	v_and_b32_e32 v72, 7, v11
	v_lshrrev_b32_e32 v73, 3, v74
	s_mov_b32 s21, exec_lo
	v_cmpx_gt_u32_e32 8, v74
; %bb.2598:                             ;   in Loop: Header=BB285_1571 Depth=1
	v_ffbh_u32_e32 v22, v72
	v_min_u32_e32 v72, 32, v22
	v_subrev_nc_u32_e32 v22, 28, v72
	v_sub_nc_u32_e32 v73, 29, v72
	v_lshlrev_b64 v[22:23], v22, v[3:4]
	v_and_b32_e32 v72, 7, v22
; %bb.2599:                             ;   in Loop: Header=BB285_1571 Depth=1
	s_or_b32 exec_lo, exec_lo, s21
	v_lshlrev_b32_e32 v22, 8, v11
	v_lshl_add_u32 v23, v73, 10, 0x2000
	v_lshlrev_b32_e32 v72, 7, v72
	v_and_b32_e32 v22, 0x8000, v22
	v_and_b32_e32 v23, 0xfc00, v23
	v_or3_b32 v72, v22, v23, v72
.LBB285_2600:                           ;   in Loop: Header=BB285_1571 Depth=1
	s_or_b32 exec_lo, exec_lo, s20
.LBB285_2601:                           ;   in Loop: Header=BB285_1571 Depth=1
	s_or_b32 exec_lo, exec_lo, s19
.LBB285_2602:                           ;   in Loop: Header=BB285_1571 Depth=1
	s_or_b32 exec_lo, exec_lo, s18
	v_lshrrev_b16 v3, 8, v3
	v_mov_b32_e32 v73, 0
	s_mov_b32 s18, exec_lo
	v_cmpx_ne_u16_e32 0, v3
	s_cbranch_execz .LBB285_2610
; %bb.2603:                             ;   in Loop: Header=BB285_1571 Depth=1
	v_bfrev_b32_e32 v73, 1
	s_mov_b32 s19, exec_lo
	v_cmpx_ne_u16_e32 0x80, v3
	s_cbranch_execz .LBB285_2609
; %bb.2604:                             ;   in Loop: Header=BB285_1571 Depth=1
	v_and_b32_sdwa v75, v3, v81 dst_sel:DWORD dst_unused:UNUSED_PAD src0_sel:WORD_0 src1_sel:DWORD
	v_mov_b32_e32 v73, 0x7c010000
	s_mov_b32 s20, exec_lo
	v_cmpx_ne_u32_e32 0x7f, v75
	s_cbranch_execz .LBB285_2608
; %bb.2605:                             ;   in Loop: Header=BB285_1571 Depth=1
	v_and_b32_sdwa v73, v3, v82 dst_sel:DWORD dst_unused:UNUSED_PAD src0_sel:WORD_0 src1_sel:DWORD
	v_lshrrev_b32_e32 v74, 3, v75
	s_mov_b32 s21, exec_lo
	v_cmpx_gt_u32_e32 8, v75
; %bb.2606:                             ;   in Loop: Header=BB285_1571 Depth=1
	v_ffbh_u32_e32 v22, v73
	v_min_u32_e32 v73, 32, v22
	v_subrev_nc_u32_e32 v22, 28, v73
	v_sub_nc_u32_e32 v74, 29, v73
	v_lshlrev_b64 v[22:23], v22, v[3:4]
	v_and_b32_e32 v73, 7, v22
; %bb.2607:                             ;   in Loop: Header=BB285_1571 Depth=1
	s_or_b32 exec_lo, exec_lo, s21
	v_lshlrev_b32_sdwa v3, v83, v3 dst_sel:DWORD dst_unused:UNUSED_PAD src0_sel:DWORD src1_sel:WORD_0
	v_lshl_add_u32 v22, v74, 10, 0x2000
	v_and_or_b32 v3, 0x8000, v3, v22
	v_lshlrev_b32_e32 v22, 23, v73
	v_lshl_or_b32 v73, v3, 16, v22
.LBB285_2608:                           ;   in Loop: Header=BB285_1571 Depth=1
	s_or_b32 exec_lo, exec_lo, s20
.LBB285_2609:                           ;   in Loop: Header=BB285_1571 Depth=1
	s_or_b32 exec_lo, exec_lo, s19
.LBB285_2610:                           ;   in Loop: Header=BB285_1571 Depth=1
	s_or_b32 exec_lo, exec_lo, s18
	v_lshrrev_b32_e32 v3, 16, v11
	v_cmp_ne_u16_sdwa s4, v3, v4 src0_sel:BYTE_0 src1_sel:DWORD
	s_and_saveexec_b32 s18, s4
	s_cbranch_execz .LBB285_2618
; %bb.2611:                             ;   in Loop: Header=BB285_1571 Depth=1
	v_cmp_ne_u16_sdwa s4, v3, v80 src0_sel:BYTE_0 src1_sel:DWORD
	v_mov_b32_e32 v39, 0x8000
	s_and_saveexec_b32 s19, s4
	s_cbranch_execz .LBB285_2617
; %bb.2612:                             ;   in Loop: Header=BB285_1571 Depth=1
	v_bfe_u32 v75, v11, 16, 7
	v_mov_b32_e32 v39, 0x7c01
	s_mov_b32 s20, exec_lo
	v_cmpx_ne_u32_e32 0x7f, v75
	s_cbranch_execz .LBB285_2616
; %bb.2613:                             ;   in Loop: Header=BB285_1571 Depth=1
	v_and_b32_e32 v39, 7, v3
	v_lshrrev_b32_e32 v74, 3, v75
	s_mov_b32 s21, exec_lo
	v_cmpx_gt_u32_e32 8, v75
; %bb.2614:                             ;   in Loop: Header=BB285_1571 Depth=1
	v_ffbh_u32_e32 v22, v39
	v_min_u32_e32 v39, 32, v22
	v_subrev_nc_u32_e32 v22, 28, v39
	v_sub_nc_u32_e32 v74, 29, v39
	v_lshlrev_b64 v[22:23], v22, v[3:4]
	v_and_b32_e32 v39, 7, v22
; %bb.2615:                             ;   in Loop: Header=BB285_1571 Depth=1
	s_or_b32 exec_lo, exec_lo, s21
	v_lshlrev_b32_e32 v3, 8, v3
	v_lshl_add_u32 v22, v74, 10, 0x2000
	v_lshlrev_b32_e32 v23, 7, v39
	v_and_b32_e32 v3, 0x8000, v3
	v_and_b32_e32 v22, 0xfc00, v22
	v_or3_b32 v39, v3, v22, v23
.LBB285_2616:                           ;   in Loop: Header=BB285_1571 Depth=1
	s_or_b32 exec_lo, exec_lo, s20
.LBB285_2617:                           ;   in Loop: Header=BB285_1571 Depth=1
	s_or_b32 exec_lo, exec_lo, s19
.LBB285_2618:                           ;   in Loop: Header=BB285_1571 Depth=1
	s_or_b32 exec_lo, exec_lo, s18
	v_cmp_lt_u64_e64 s4, s[6:7], v[10:11]
	v_mov_b32_e32 v10, 0
	s_and_saveexec_b32 s18, s4
	s_cbranch_execz .LBB285_2626
; %bb.2619:                             ;   in Loop: Header=BB285_1571 Depth=1
	v_lshrrev_b32_e32 v3, 24, v11
	v_bfrev_b32_e32 v10, 1
	s_mov_b32 s19, exec_lo
	v_cmpx_ne_u32_e32 0x80, v3
	s_cbranch_execz .LBB285_2625
; %bb.2620:                             ;   in Loop: Header=BB285_1571 Depth=1
	v_and_b32_e32 v74, 0x7f, v3
	v_mov_b32_e32 v10, 0x7c010000
	s_mov_b32 s20, exec_lo
	v_cmpx_ne_u32_e32 0x7f, v74
	s_cbranch_execz .LBB285_2624
; %bb.2621:                             ;   in Loop: Header=BB285_1571 Depth=1
	v_and_b32_e32 v10, 7, v3
	v_lshrrev_b32_e32 v11, 3, v74
	s_mov_b32 s21, exec_lo
	v_cmpx_gt_u32_e32 8, v74
; %bb.2622:                             ;   in Loop: Header=BB285_1571 Depth=1
	v_ffbh_u32_e32 v10, v10
	v_min_u32_e32 v22, 32, v10
	v_subrev_nc_u32_e32 v10, 28, v22
	v_lshlrev_b64 v[10:11], v10, v[3:4]
	v_sub_nc_u32_e32 v11, 29, v22
	v_and_b32_e32 v10, 7, v10
; %bb.2623:                             ;   in Loop: Header=BB285_1571 Depth=1
	s_or_b32 exec_lo, exec_lo, s21
	v_lshlrev_b32_e32 v3, 8, v3
	v_lshl_add_u32 v11, v11, 10, 0x2000
	v_lshlrev_b32_e32 v10, 23, v10
	v_and_or_b32 v3, 0x8000, v3, v11
	v_lshl_or_b32 v10, v3, 16, v10
.LBB285_2624:                           ;   in Loop: Header=BB285_1571 Depth=1
	s_or_b32 exec_lo, exec_lo, s20
.LBB285_2625:                           ;   in Loop: Header=BB285_1571 Depth=1
	s_or_b32 exec_lo, exec_lo, s19
.LBB285_2626:                           ;   in Loop: Header=BB285_1571 Depth=1
	s_or_b32 exec_lo, exec_lo, s18
	v_or_b32_e32 v3, v37, v38
	s_waitcnt vmcnt(0) lgkmcnt(0)
	v_fma_mixlo_f16 v11, v33, v37, 0 op_sel:[0,1,0] op_sel_hi:[0,1,0]
	v_or_b32_e32 v22, v34, v36
	v_fma_mixlo_f16 v23, v33, v34, 0 op_sel:[0,1,0] op_sel_hi:[0,1,0]
	v_or_b32_e32 v34, v73, v72
	v_fma_mixlo_f16 v37, v33, v3, 0 op_sel_hi:[0,1,0]
	v_or_b32_e32 v38, v10, v39
	v_lshlrev_b32_e32 v3, 16, v11
	v_lshlrev_b32_e32 v36, 16, v23
	v_fma_mixlo_f16 v22, v33, v22, 0 op_sel_hi:[0,1,0]
	v_and_b32_e32 v11, 0xffff, v37
	v_fma_mixlo_f16 v23, v33, v73, 0 op_sel:[0,1,0] op_sel_hi:[0,1,0]
	v_fma_mixlo_f16 v34, v33, v34, 0 op_sel_hi:[0,1,0]
	v_fma_mixlo_f16 v10, v33, v10, 0 op_sel:[0,1,0] op_sel_hi:[0,1,0]
	v_fma_mixlo_f16 v37, v33, v38, 0 op_sel_hi:[0,1,0]
	v_and_b32_e32 v74, 0xffff, v22
	v_lshlrev_b32_e32 v33, 16, v23
	v_and_b32_e32 v38, 0xffff, v34
	v_lshlrev_b32_e32 v10, 16, v10
	v_and_b32_e32 v34, 0xffff, v37
	v_or_b32_e32 v37, v3, v11
	v_or_b32_e32 v73, v36, v74
	;; [unrolled: 1-line block ×4, first 2 shown]
	s_and_saveexec_b32 s18, vcc_lo
	s_cbranch_execz .LBB285_2628
; %bb.2627:                             ;   in Loop: Header=BB285_1571 Depth=1
	v_cmp_lt_i32_e64 s4, v86, v32
	v_cndmask_b32_e64 v22, 0, v74, s4
	v_cmp_lt_i32_e64 s4, v115, v32
	v_cndmask_b32_e64 v23, 0, v36, s4
	v_cmp_lt_i32_e64 s4, v114, v32
	v_or_b32_e32 v73, v22, v23
	v_cndmask_b32_e64 v11, 0, v11, s4
	v_cmp_lt_i32_e64 s4, v113, v32
	v_cndmask_b32_e64 v3, 0, v3, s4
	v_cmp_lt_i32_e64 s4, v112, v32
	v_or_b32_e32 v37, v11, v3
	;; [unrolled: 5-line block ×3, first 2 shown]
	v_cndmask_b32_e64 v34, 0, v34, s4
	v_cmp_lt_i32_e64 s4, v101, v32
	v_cndmask_b32_e64 v10, 0, v10, s4
	v_or_b32_e32 v39, v34, v10
.LBB285_2628:                           ;   in Loop: Header=BB285_1571 Depth=1
	s_or_b32 exec_lo, exec_lo, s18
	v_add_co_u32 v8, s4, 0x1000, v8
	v_add_co_ci_u32_e64 v9, null, 0, v9, s4
	;;#ASMSTART
	v_pk_mul_f16 v3, v100, v73;

	;;#ASMEND
	;;#ASMSTART
	v_pk_mul_f16 v10, v99, v37;

	;;#ASMEND
	;; [unrolled: 4-line block ×4, first 2 shown]
	;;#ASMSTART
	v_pk_add_f16 v3, v3, v10;

	;;#ASMEND
	;;#ASMSTART
	v_pk_add_f16 v3, v3, v11;

	;;#ASMEND
	;; [unrolled: 4-line block ×3, first 2 shown]
	v_lshrrev_b32_e32 v10, 16, v3
	v_and_b32_e32 v3, 0xffff, v3
	;;#ASMSTART
	v_cvt_f32_f16 v33, v3;
	;;#ASMEND
	;;#ASMSTART
	v_cvt_f32_f16 v34, v10;
	;;#ASMEND
	flat_load_dwordx2 v[10:11], v[8:9]
	flat_load_dword v36, v[109:110]
	v_mov_b32_e32 v37, 0
	v_mov_b32_e32 v38, 0
	s_waitcnt vmcnt(1) lgkmcnt(1)
	v_cmp_ne_u16_sdwa s4, v10, v4 src0_sel:BYTE_0 src1_sel:DWORD
	s_and_saveexec_b32 s18, s4
	s_cbranch_execz .LBB285_2636
; %bb.2629:                             ;   in Loop: Header=BB285_1571 Depth=1
	v_cmp_ne_u16_sdwa s4, v10, v80 src0_sel:BYTE_0 src1_sel:DWORD
	v_mov_b32_e32 v38, 0x8000
	s_and_saveexec_b32 s19, s4
	s_cbranch_execz .LBB285_2635
; %bb.2630:                             ;   in Loop: Header=BB285_1571 Depth=1
	v_and_b32_e32 v39, 0x7f, v10
	v_mov_b32_e32 v38, 0x7c01
	s_mov_b32 s20, exec_lo
	v_cmpx_ne_u32_e32 0x7f, v39
	s_cbranch_execz .LBB285_2634
; %bb.2631:                             ;   in Loop: Header=BB285_1571 Depth=1
	v_and_b32_e32 v3, 7, v10
	v_lshrrev_b32_e32 v38, 3, v39
	s_mov_b32 s21, exec_lo
	v_cmpx_gt_u32_e32 8, v39
; %bb.2632:                             ;   in Loop: Header=BB285_1571 Depth=1
	v_ffbh_u32_e32 v3, v3
	v_min_u32_e32 v3, 32, v3
	v_subrev_nc_u32_e32 v22, 28, v3
	v_sub_nc_u32_e32 v38, 29, v3
	v_lshlrev_b64 v[22:23], v22, v[10:11]
	v_and_b32_e32 v3, 7, v22
; %bb.2633:                             ;   in Loop: Header=BB285_1571 Depth=1
	s_or_b32 exec_lo, exec_lo, s21
	v_lshlrev_b32_e32 v22, 8, v10
	v_lshl_add_u32 v23, v38, 10, 0x2000
	v_lshlrev_b32_e32 v3, 7, v3
	v_and_b32_e32 v22, 0x8000, v22
	v_and_b32_e32 v23, 0xfc00, v23
	v_or3_b32 v38, v22, v23, v3
.LBB285_2634:                           ;   in Loop: Header=BB285_1571 Depth=1
	s_or_b32 exec_lo, exec_lo, s20
.LBB285_2635:                           ;   in Loop: Header=BB285_1571 Depth=1
	s_or_b32 exec_lo, exec_lo, s19
.LBB285_2636:                           ;   in Loop: Header=BB285_1571 Depth=1
	s_or_b32 exec_lo, exec_lo, s18
	v_lshrrev_b16 v3, 8, v10
	s_mov_b32 s18, exec_lo
	v_cmpx_ne_u16_e32 0, v3
	s_cbranch_execz .LBB285_2644
; %bb.2637:                             ;   in Loop: Header=BB285_1571 Depth=1
	v_bfrev_b32_e32 v37, 1
	s_mov_b32 s19, exec_lo
	v_cmpx_ne_u16_e32 0x80, v3
	s_cbranch_execz .LBB285_2643
; %bb.2638:                             ;   in Loop: Header=BB285_1571 Depth=1
	v_and_b32_sdwa v72, v3, v81 dst_sel:DWORD dst_unused:UNUSED_PAD src0_sel:WORD_0 src1_sel:DWORD
	v_mov_b32_e32 v37, 0x7c010000
	s_mov_b32 s20, exec_lo
	v_cmpx_ne_u32_e32 0x7f, v72
	s_cbranch_execz .LBB285_2642
; %bb.2639:                             ;   in Loop: Header=BB285_1571 Depth=1
	v_and_b32_sdwa v37, v3, v82 dst_sel:DWORD dst_unused:UNUSED_PAD src0_sel:WORD_0 src1_sel:DWORD
	v_lshrrev_b32_e32 v39, 3, v72
	s_mov_b32 s21, exec_lo
	v_cmpx_gt_u32_e32 8, v72
; %bb.2640:                             ;   in Loop: Header=BB285_1571 Depth=1
	v_ffbh_u32_e32 v22, v37
	v_min_u32_e32 v37, 32, v22
	v_subrev_nc_u32_e32 v22, 28, v37
	v_sub_nc_u32_e32 v39, 29, v37
	v_lshlrev_b64 v[22:23], v22, v[3:4]
	v_and_b32_e32 v37, 7, v22
; %bb.2641:                             ;   in Loop: Header=BB285_1571 Depth=1
	s_or_b32 exec_lo, exec_lo, s21
	v_lshlrev_b32_sdwa v3, v83, v3 dst_sel:DWORD dst_unused:UNUSED_PAD src0_sel:DWORD src1_sel:WORD_0
	v_lshl_add_u32 v22, v39, 10, 0x2000
	v_and_or_b32 v3, 0x8000, v3, v22
	v_lshlrev_b32_e32 v22, 23, v37
	v_lshl_or_b32 v37, v3, 16, v22
.LBB285_2642:                           ;   in Loop: Header=BB285_1571 Depth=1
	s_or_b32 exec_lo, exec_lo, s20
.LBB285_2643:                           ;   in Loop: Header=BB285_1571 Depth=1
	s_or_b32 exec_lo, exec_lo, s19
.LBB285_2644:                           ;   in Loop: Header=BB285_1571 Depth=1
	s_or_b32 exec_lo, exec_lo, s18
	v_lshrrev_b32_e32 v3, 16, v10
	v_mov_b32_e32 v39, 0
	v_mov_b32_e32 v72, 0
	v_cmp_ne_u16_sdwa s4, v3, v4 src0_sel:BYTE_0 src1_sel:DWORD
	s_and_saveexec_b32 s18, s4
	s_cbranch_execz .LBB285_2652
; %bb.2645:                             ;   in Loop: Header=BB285_1571 Depth=1
	v_cmp_ne_u16_sdwa s4, v3, v80 src0_sel:BYTE_0 src1_sel:DWORD
	v_mov_b32_e32 v72, 0x8000
	s_and_saveexec_b32 s19, s4
	s_cbranch_execz .LBB285_2651
; %bb.2646:                             ;   in Loop: Header=BB285_1571 Depth=1
	v_bfe_u32 v74, v10, 16, 7
	v_mov_b32_e32 v72, 0x7c01
	s_mov_b32 s20, exec_lo
	v_cmpx_ne_u32_e32 0x7f, v74
	s_cbranch_execz .LBB285_2650
; %bb.2647:                             ;   in Loop: Header=BB285_1571 Depth=1
	v_and_b32_e32 v72, 7, v3
	v_lshrrev_b32_e32 v73, 3, v74
	s_mov_b32 s21, exec_lo
	v_cmpx_gt_u32_e32 8, v74
; %bb.2648:                             ;   in Loop: Header=BB285_1571 Depth=1
	v_ffbh_u32_e32 v22, v72
	v_min_u32_e32 v72, 32, v22
	v_subrev_nc_u32_e32 v22, 28, v72
	v_sub_nc_u32_e32 v73, 29, v72
	v_lshlrev_b64 v[22:23], v22, v[3:4]
	v_and_b32_e32 v72, 7, v22
; %bb.2649:                             ;   in Loop: Header=BB285_1571 Depth=1
	s_or_b32 exec_lo, exec_lo, s21
	v_lshlrev_b32_e32 v3, 8, v3
	v_lshl_add_u32 v22, v73, 10, 0x2000
	v_lshlrev_b32_e32 v23, 7, v72
	v_and_b32_e32 v3, 0x8000, v3
	v_and_b32_e32 v22, 0xfc00, v22
	v_or3_b32 v72, v3, v22, v23
.LBB285_2650:                           ;   in Loop: Header=BB285_1571 Depth=1
	s_or_b32 exec_lo, exec_lo, s20
.LBB285_2651:                           ;   in Loop: Header=BB285_1571 Depth=1
	s_or_b32 exec_lo, exec_lo, s19
.LBB285_2652:                           ;   in Loop: Header=BB285_1571 Depth=1
	s_or_b32 exec_lo, exec_lo, s18
	s_mov_b32 s18, exec_lo
	v_cmpx_lt_u32_e32 0xffffff, v10
	s_cbranch_execz .LBB285_2660
; %bb.2653:                             ;   in Loop: Header=BB285_1571 Depth=1
	v_lshrrev_b32_e32 v3, 24, v10
	v_bfrev_b32_e32 v39, 1
	s_mov_b32 s19, exec_lo
	v_cmpx_ne_u32_e32 0x80, v3
	s_cbranch_execz .LBB285_2659
; %bb.2654:                             ;   in Loop: Header=BB285_1571 Depth=1
	v_and_b32_e32 v74, 0x7f, v3
	v_mov_b32_e32 v39, 0x7c010000
	s_mov_b32 s20, exec_lo
	v_cmpx_ne_u32_e32 0x7f, v74
	s_cbranch_execz .LBB285_2658
; %bb.2655:                             ;   in Loop: Header=BB285_1571 Depth=1
	v_and_b32_e32 v39, 7, v3
	v_lshrrev_b32_e32 v73, 3, v74
	s_mov_b32 s21, exec_lo
	v_cmpx_gt_u32_e32 8, v74
; %bb.2656:                             ;   in Loop: Header=BB285_1571 Depth=1
	v_ffbh_u32_e32 v22, v39
	v_min_u32_e32 v39, 32, v22
	v_subrev_nc_u32_e32 v22, 28, v39
	v_sub_nc_u32_e32 v73, 29, v39
	v_lshlrev_b64 v[22:23], v22, v[3:4]
	v_and_b32_e32 v39, 7, v22
; %bb.2657:                             ;   in Loop: Header=BB285_1571 Depth=1
	s_or_b32 exec_lo, exec_lo, s21
	v_lshlrev_b32_e32 v3, 8, v3
	v_lshl_add_u32 v22, v73, 10, 0x2000
	v_and_or_b32 v3, 0x8000, v3, v22
	v_lshlrev_b32_e32 v22, 23, v39
	v_lshl_or_b32 v39, v3, 16, v22
.LBB285_2658:                           ;   in Loop: Header=BB285_1571 Depth=1
	s_or_b32 exec_lo, exec_lo, s20
.LBB285_2659:                           ;   in Loop: Header=BB285_1571 Depth=1
	s_or_b32 exec_lo, exec_lo, s19
.LBB285_2660:                           ;   in Loop: Header=BB285_1571 Depth=1
	s_or_b32 exec_lo, exec_lo, s18
	v_mov_b32_e32 v3, v11
	v_cmp_ne_u16_sdwa s4, v11, v4 src0_sel:BYTE_0 src1_sel:DWORD
	v_mov_b32_e32 v73, 0
	v_mov_b32_e32 v74, 0
	s_and_saveexec_b32 s18, s4
	s_cbranch_execz .LBB285_2668
; %bb.2661:                             ;   in Loop: Header=BB285_1571 Depth=1
	v_cmp_ne_u16_sdwa s4, v11, v80 src0_sel:BYTE_0 src1_sel:DWORD
	v_mov_b32_e32 v74, 0x8000
	s_and_saveexec_b32 s19, s4
	s_cbranch_execz .LBB285_2667
; %bb.2662:                             ;   in Loop: Header=BB285_1571 Depth=1
	v_and_b32_e32 v76, 0x7f, v11
	v_mov_b32_e32 v74, 0x7c01
	s_mov_b32 s20, exec_lo
	v_cmpx_ne_u32_e32 0x7f, v76
	s_cbranch_execz .LBB285_2666
; %bb.2663:                             ;   in Loop: Header=BB285_1571 Depth=1
	v_and_b32_e32 v74, 7, v11
	v_lshrrev_b32_e32 v75, 3, v76
	s_mov_b32 s21, exec_lo
	v_cmpx_gt_u32_e32 8, v76
; %bb.2664:                             ;   in Loop: Header=BB285_1571 Depth=1
	v_ffbh_u32_e32 v22, v74
	v_min_u32_e32 v74, 32, v22
	v_subrev_nc_u32_e32 v22, 28, v74
	v_sub_nc_u32_e32 v75, 29, v74
	v_lshlrev_b64 v[22:23], v22, v[3:4]
	v_and_b32_e32 v74, 7, v22
; %bb.2665:                             ;   in Loop: Header=BB285_1571 Depth=1
	s_or_b32 exec_lo, exec_lo, s21
	v_lshlrev_b32_e32 v22, 8, v11
	v_lshl_add_u32 v23, v75, 10, 0x2000
	v_lshlrev_b32_e32 v74, 7, v74
	v_and_b32_e32 v22, 0x8000, v22
	v_and_b32_e32 v23, 0xfc00, v23
	v_or3_b32 v74, v22, v23, v74
.LBB285_2666:                           ;   in Loop: Header=BB285_1571 Depth=1
	s_or_b32 exec_lo, exec_lo, s20
.LBB285_2667:                           ;   in Loop: Header=BB285_1571 Depth=1
	s_or_b32 exec_lo, exec_lo, s19
.LBB285_2668:                           ;   in Loop: Header=BB285_1571 Depth=1
	s_or_b32 exec_lo, exec_lo, s18
	v_lshrrev_b16 v3, 8, v3
	v_mov_b32_e32 v75, 0
	s_mov_b32 s18, exec_lo
	v_cmpx_ne_u16_e32 0, v3
	s_cbranch_execz .LBB285_2676
; %bb.2669:                             ;   in Loop: Header=BB285_1571 Depth=1
	v_bfrev_b32_e32 v75, 1
	s_mov_b32 s19, exec_lo
	v_cmpx_ne_u16_e32 0x80, v3
	s_cbranch_execz .LBB285_2675
; %bb.2670:                             ;   in Loop: Header=BB285_1571 Depth=1
	v_and_b32_sdwa v77, v3, v81 dst_sel:DWORD dst_unused:UNUSED_PAD src0_sel:WORD_0 src1_sel:DWORD
	v_mov_b32_e32 v75, 0x7c010000
	s_mov_b32 s20, exec_lo
	v_cmpx_ne_u32_e32 0x7f, v77
	s_cbranch_execz .LBB285_2674
; %bb.2671:                             ;   in Loop: Header=BB285_1571 Depth=1
	v_and_b32_sdwa v75, v3, v82 dst_sel:DWORD dst_unused:UNUSED_PAD src0_sel:WORD_0 src1_sel:DWORD
	v_lshrrev_b32_e32 v76, 3, v77
	s_mov_b32 s21, exec_lo
	v_cmpx_gt_u32_e32 8, v77
; %bb.2672:                             ;   in Loop: Header=BB285_1571 Depth=1
	v_ffbh_u32_e32 v22, v75
	v_min_u32_e32 v75, 32, v22
	v_subrev_nc_u32_e32 v22, 28, v75
	v_sub_nc_u32_e32 v76, 29, v75
	v_lshlrev_b64 v[22:23], v22, v[3:4]
	v_and_b32_e32 v75, 7, v22
; %bb.2673:                             ;   in Loop: Header=BB285_1571 Depth=1
	s_or_b32 exec_lo, exec_lo, s21
	v_lshlrev_b32_sdwa v3, v83, v3 dst_sel:DWORD dst_unused:UNUSED_PAD src0_sel:DWORD src1_sel:WORD_0
	v_lshl_add_u32 v22, v76, 10, 0x2000
	v_and_or_b32 v3, 0x8000, v3, v22
	v_lshlrev_b32_e32 v22, 23, v75
	v_lshl_or_b32 v75, v3, 16, v22
.LBB285_2674:                           ;   in Loop: Header=BB285_1571 Depth=1
	s_or_b32 exec_lo, exec_lo, s20
.LBB285_2675:                           ;   in Loop: Header=BB285_1571 Depth=1
	s_or_b32 exec_lo, exec_lo, s19
.LBB285_2676:                           ;   in Loop: Header=BB285_1571 Depth=1
	s_or_b32 exec_lo, exec_lo, s18
	v_lshrrev_b32_e32 v3, 16, v11
	v_cmp_ne_u16_sdwa s4, v3, v4 src0_sel:BYTE_0 src1_sel:DWORD
	s_and_saveexec_b32 s18, s4
	s_cbranch_execz .LBB285_2684
; %bb.2677:                             ;   in Loop: Header=BB285_1571 Depth=1
	v_cmp_ne_u16_sdwa s4, v3, v80 src0_sel:BYTE_0 src1_sel:DWORD
	v_mov_b32_e32 v73, 0x8000
	s_and_saveexec_b32 s19, s4
	s_cbranch_execz .LBB285_2683
; %bb.2678:                             ;   in Loop: Header=BB285_1571 Depth=1
	v_bfe_u32 v77, v11, 16, 7
	v_mov_b32_e32 v73, 0x7c01
	s_mov_b32 s20, exec_lo
	v_cmpx_ne_u32_e32 0x7f, v77
	s_cbranch_execz .LBB285_2682
; %bb.2679:                             ;   in Loop: Header=BB285_1571 Depth=1
	v_and_b32_e32 v73, 7, v3
	v_lshrrev_b32_e32 v76, 3, v77
	s_mov_b32 s21, exec_lo
	v_cmpx_gt_u32_e32 8, v77
; %bb.2680:                             ;   in Loop: Header=BB285_1571 Depth=1
	v_ffbh_u32_e32 v22, v73
	v_min_u32_e32 v73, 32, v22
	v_subrev_nc_u32_e32 v22, 28, v73
	v_sub_nc_u32_e32 v76, 29, v73
	v_lshlrev_b64 v[22:23], v22, v[3:4]
	v_and_b32_e32 v73, 7, v22
; %bb.2681:                             ;   in Loop: Header=BB285_1571 Depth=1
	s_or_b32 exec_lo, exec_lo, s21
	v_lshlrev_b32_e32 v3, 8, v3
	v_lshl_add_u32 v22, v76, 10, 0x2000
	v_lshlrev_b32_e32 v23, 7, v73
	v_and_b32_e32 v3, 0x8000, v3
	v_and_b32_e32 v22, 0xfc00, v22
	v_or3_b32 v73, v3, v22, v23
.LBB285_2682:                           ;   in Loop: Header=BB285_1571 Depth=1
	s_or_b32 exec_lo, exec_lo, s20
.LBB285_2683:                           ;   in Loop: Header=BB285_1571 Depth=1
	s_or_b32 exec_lo, exec_lo, s19
.LBB285_2684:                           ;   in Loop: Header=BB285_1571 Depth=1
	s_or_b32 exec_lo, exec_lo, s18
	v_cmp_lt_u64_e64 s4, s[6:7], v[10:11]
	v_mov_b32_e32 v10, 0
	s_and_saveexec_b32 s18, s4
	s_cbranch_execz .LBB285_2692
; %bb.2685:                             ;   in Loop: Header=BB285_1571 Depth=1
	v_lshrrev_b32_e32 v3, 24, v11
	v_bfrev_b32_e32 v10, 1
	s_mov_b32 s19, exec_lo
	v_cmpx_ne_u32_e32 0x80, v3
	s_cbranch_execz .LBB285_2691
; %bb.2686:                             ;   in Loop: Header=BB285_1571 Depth=1
	v_and_b32_e32 v76, 0x7f, v3
	v_mov_b32_e32 v10, 0x7c010000
	s_mov_b32 s20, exec_lo
	v_cmpx_ne_u32_e32 0x7f, v76
	s_cbranch_execz .LBB285_2690
; %bb.2687:                             ;   in Loop: Header=BB285_1571 Depth=1
	v_and_b32_e32 v10, 7, v3
	v_lshrrev_b32_e32 v11, 3, v76
	s_mov_b32 s21, exec_lo
	v_cmpx_gt_u32_e32 8, v76
; %bb.2688:                             ;   in Loop: Header=BB285_1571 Depth=1
	v_ffbh_u32_e32 v10, v10
	v_min_u32_e32 v22, 32, v10
	v_subrev_nc_u32_e32 v10, 28, v22
	v_lshlrev_b64 v[10:11], v10, v[3:4]
	v_sub_nc_u32_e32 v11, 29, v22
	v_and_b32_e32 v10, 7, v10
; %bb.2689:                             ;   in Loop: Header=BB285_1571 Depth=1
	s_or_b32 exec_lo, exec_lo, s21
	v_lshlrev_b32_e32 v3, 8, v3
	v_lshl_add_u32 v11, v11, 10, 0x2000
	v_lshlrev_b32_e32 v10, 23, v10
	v_and_or_b32 v3, 0x8000, v3, v11
	v_lshl_or_b32 v10, v3, 16, v10
.LBB285_2690:                           ;   in Loop: Header=BB285_1571 Depth=1
	s_or_b32 exec_lo, exec_lo, s20
.LBB285_2691:                           ;   in Loop: Header=BB285_1571 Depth=1
	s_or_b32 exec_lo, exec_lo, s19
.LBB285_2692:                           ;   in Loop: Header=BB285_1571 Depth=1
	s_or_b32 exec_lo, exec_lo, s18
	v_or_b32_e32 v3, v39, v72
	s_waitcnt vmcnt(0) lgkmcnt(0)
	v_fma_mixlo_f16 v11, v36, v39, 0 op_sel:[0,1,0] op_sel_hi:[0,1,0]
	v_or_b32_e32 v22, v37, v38
	v_fma_mixlo_f16 v23, v36, v37, 0 op_sel:[0,1,0] op_sel_hi:[0,1,0]
	v_or_b32_e32 v37, v75, v74
	v_fma_mixlo_f16 v39, v36, v3, 0 op_sel_hi:[0,1,0]
	v_or_b32_e32 v72, v10, v73
	v_lshlrev_b32_e32 v3, 16, v11
	v_lshlrev_b32_e32 v38, 16, v23
	v_fma_mixlo_f16 v22, v36, v22, 0 op_sel_hi:[0,1,0]
	v_and_b32_e32 v11, 0xffff, v39
	v_fma_mixlo_f16 v23, v36, v75, 0 op_sel:[0,1,0] op_sel_hi:[0,1,0]
	v_fma_mixlo_f16 v37, v36, v37, 0 op_sel_hi:[0,1,0]
	v_fma_mixlo_f16 v10, v36, v10, 0 op_sel:[0,1,0] op_sel_hi:[0,1,0]
	v_fma_mixlo_f16 v39, v36, v72, 0 op_sel_hi:[0,1,0]
	v_and_b32_e32 v76, 0xffff, v22
	v_lshlrev_b32_e32 v36, 16, v23
	v_and_b32_e32 v72, 0xffff, v37
	v_lshlrev_b32_e32 v10, 16, v10
	v_and_b32_e32 v37, 0xffff, v39
	v_or_b32_e32 v39, v3, v11
	v_or_b32_e32 v75, v38, v76
	;; [unrolled: 1-line block ×4, first 2 shown]
	s_and_saveexec_b32 s18, vcc_lo
	s_cbranch_execz .LBB285_2694
; %bb.2693:                             ;   in Loop: Header=BB285_1571 Depth=1
	v_cmp_lt_i32_e64 s4, v86, v32
	v_cndmask_b32_e64 v22, 0, v76, s4
	v_cmp_lt_i32_e64 s4, v115, v32
	v_cndmask_b32_e64 v23, 0, v38, s4
	v_cmp_lt_i32_e64 s4, v114, v32
	v_or_b32_e32 v75, v22, v23
	v_cndmask_b32_e64 v11, 0, v11, s4
	v_cmp_lt_i32_e64 s4, v113, v32
	v_cndmask_b32_e64 v3, 0, v3, s4
	v_cmp_lt_i32_e64 s4, v112, v32
	v_or_b32_e32 v39, v11, v3
	;; [unrolled: 5-line block ×3, first 2 shown]
	v_cndmask_b32_e64 v37, 0, v37, s4
	v_cmp_lt_i32_e64 s4, v101, v32
	v_cndmask_b32_e64 v10, 0, v10, s4
	v_or_b32_e32 v73, v37, v10
.LBB285_2694:                           ;   in Loop: Header=BB285_1571 Depth=1
	s_or_b32 exec_lo, exec_lo, s18
	;;#ASMSTART
	v_pk_mul_f16 v3, v100, v75;

	;;#ASMEND
	;;#ASMSTART
	v_pk_mul_f16 v10, v99, v39;

	;;#ASMEND
	;; [unrolled: 4-line block ×4, first 2 shown]
	;;#ASMSTART
	v_pk_add_f16 v3, v3, v10;

	;;#ASMEND
	;;#ASMSTART
	v_pk_add_f16 v3, v3, v11;

	;;#ASMEND
	;; [unrolled: 4-line block ×3, first 2 shown]
	v_and_b32_e32 v10, 0xffff, v3
	v_lshrrev_b32_e32 v3, 16, v3
	;;#ASMSTART
	v_cvt_f32_f16 v36, v10;
	;;#ASMEND
	;;#ASMSTART
	v_cvt_f32_f16 v37, v3;
	;;#ASMEND
	flat_load_dwordx2 v[10:11], v[8:9] offset:256
	flat_load_dword v38, v[109:110]
	v_mov_b32_e32 v39, 0
	v_mov_b32_e32 v72, 0
	s_waitcnt vmcnt(1) lgkmcnt(1)
	v_cmp_ne_u16_sdwa s4, v10, v4 src0_sel:BYTE_0 src1_sel:DWORD
	s_and_saveexec_b32 s18, s4
	s_cbranch_execz .LBB285_2702
; %bb.2695:                             ;   in Loop: Header=BB285_1571 Depth=1
	v_cmp_ne_u16_sdwa s4, v10, v80 src0_sel:BYTE_0 src1_sel:DWORD
	v_mov_b32_e32 v72, 0x8000
	s_and_saveexec_b32 s19, s4
	s_cbranch_execz .LBB285_2701
; %bb.2696:                             ;   in Loop: Header=BB285_1571 Depth=1
	v_and_b32_e32 v73, 0x7f, v10
	v_mov_b32_e32 v72, 0x7c01
	s_mov_b32 s20, exec_lo
	v_cmpx_ne_u32_e32 0x7f, v73
	s_cbranch_execz .LBB285_2700
; %bb.2697:                             ;   in Loop: Header=BB285_1571 Depth=1
	v_and_b32_e32 v3, 7, v10
	v_lshrrev_b32_e32 v72, 3, v73
	s_mov_b32 s21, exec_lo
	v_cmpx_gt_u32_e32 8, v73
; %bb.2698:                             ;   in Loop: Header=BB285_1571 Depth=1
	v_ffbh_u32_e32 v3, v3
	v_min_u32_e32 v3, 32, v3
	v_subrev_nc_u32_e32 v22, 28, v3
	v_sub_nc_u32_e32 v72, 29, v3
	v_lshlrev_b64 v[22:23], v22, v[10:11]
	v_and_b32_e32 v3, 7, v22
; %bb.2699:                             ;   in Loop: Header=BB285_1571 Depth=1
	s_or_b32 exec_lo, exec_lo, s21
	v_lshlrev_b32_e32 v22, 8, v10
	v_lshl_add_u32 v23, v72, 10, 0x2000
	v_lshlrev_b32_e32 v3, 7, v3
	v_and_b32_e32 v22, 0x8000, v22
	v_and_b32_e32 v23, 0xfc00, v23
	v_or3_b32 v72, v22, v23, v3
.LBB285_2700:                           ;   in Loop: Header=BB285_1571 Depth=1
	s_or_b32 exec_lo, exec_lo, s20
.LBB285_2701:                           ;   in Loop: Header=BB285_1571 Depth=1
	s_or_b32 exec_lo, exec_lo, s19
.LBB285_2702:                           ;   in Loop: Header=BB285_1571 Depth=1
	s_or_b32 exec_lo, exec_lo, s18
	v_lshrrev_b16 v3, 8, v10
	s_mov_b32 s18, exec_lo
	v_cmpx_ne_u16_e32 0, v3
	s_cbranch_execz .LBB285_2710
; %bb.2703:                             ;   in Loop: Header=BB285_1571 Depth=1
	v_bfrev_b32_e32 v39, 1
	s_mov_b32 s19, exec_lo
	v_cmpx_ne_u16_e32 0x80, v3
	s_cbranch_execz .LBB285_2709
; %bb.2704:                             ;   in Loop: Header=BB285_1571 Depth=1
	v_and_b32_sdwa v74, v3, v81 dst_sel:DWORD dst_unused:UNUSED_PAD src0_sel:WORD_0 src1_sel:DWORD
	v_mov_b32_e32 v39, 0x7c010000
	s_mov_b32 s20, exec_lo
	v_cmpx_ne_u32_e32 0x7f, v74
	s_cbranch_execz .LBB285_2708
; %bb.2705:                             ;   in Loop: Header=BB285_1571 Depth=1
	v_and_b32_sdwa v39, v3, v82 dst_sel:DWORD dst_unused:UNUSED_PAD src0_sel:WORD_0 src1_sel:DWORD
	v_lshrrev_b32_e32 v73, 3, v74
	s_mov_b32 s21, exec_lo
	v_cmpx_gt_u32_e32 8, v74
; %bb.2706:                             ;   in Loop: Header=BB285_1571 Depth=1
	v_ffbh_u32_e32 v22, v39
	v_min_u32_e32 v39, 32, v22
	v_subrev_nc_u32_e32 v22, 28, v39
	v_sub_nc_u32_e32 v73, 29, v39
	v_lshlrev_b64 v[22:23], v22, v[3:4]
	v_and_b32_e32 v39, 7, v22
; %bb.2707:                             ;   in Loop: Header=BB285_1571 Depth=1
	s_or_b32 exec_lo, exec_lo, s21
	v_lshlrev_b32_sdwa v3, v83, v3 dst_sel:DWORD dst_unused:UNUSED_PAD src0_sel:DWORD src1_sel:WORD_0
	v_lshl_add_u32 v22, v73, 10, 0x2000
	v_and_or_b32 v3, 0x8000, v3, v22
	v_lshlrev_b32_e32 v22, 23, v39
	v_lshl_or_b32 v39, v3, 16, v22
.LBB285_2708:                           ;   in Loop: Header=BB285_1571 Depth=1
	s_or_b32 exec_lo, exec_lo, s20
.LBB285_2709:                           ;   in Loop: Header=BB285_1571 Depth=1
	s_or_b32 exec_lo, exec_lo, s19
.LBB285_2710:                           ;   in Loop: Header=BB285_1571 Depth=1
	s_or_b32 exec_lo, exec_lo, s18
	v_lshrrev_b32_e32 v3, 16, v10
	v_mov_b32_e32 v73, 0
	v_mov_b32_e32 v74, 0
	v_cmp_ne_u16_sdwa s4, v3, v4 src0_sel:BYTE_0 src1_sel:DWORD
	s_and_saveexec_b32 s18, s4
	s_cbranch_execz .LBB285_2718
; %bb.2711:                             ;   in Loop: Header=BB285_1571 Depth=1
	v_cmp_ne_u16_sdwa s4, v3, v80 src0_sel:BYTE_0 src1_sel:DWORD
	v_mov_b32_e32 v74, 0x8000
	s_and_saveexec_b32 s19, s4
	s_cbranch_execz .LBB285_2717
; %bb.2712:                             ;   in Loop: Header=BB285_1571 Depth=1
	v_bfe_u32 v76, v10, 16, 7
	v_mov_b32_e32 v74, 0x7c01
	s_mov_b32 s20, exec_lo
	v_cmpx_ne_u32_e32 0x7f, v76
	s_cbranch_execz .LBB285_2716
; %bb.2713:                             ;   in Loop: Header=BB285_1571 Depth=1
	v_and_b32_e32 v74, 7, v3
	v_lshrrev_b32_e32 v75, 3, v76
	s_mov_b32 s21, exec_lo
	v_cmpx_gt_u32_e32 8, v76
; %bb.2714:                             ;   in Loop: Header=BB285_1571 Depth=1
	v_ffbh_u32_e32 v22, v74
	v_min_u32_e32 v74, 32, v22
	v_subrev_nc_u32_e32 v22, 28, v74
	v_sub_nc_u32_e32 v75, 29, v74
	v_lshlrev_b64 v[22:23], v22, v[3:4]
	v_and_b32_e32 v74, 7, v22
; %bb.2715:                             ;   in Loop: Header=BB285_1571 Depth=1
	s_or_b32 exec_lo, exec_lo, s21
	v_lshlrev_b32_e32 v3, 8, v3
	v_lshl_add_u32 v22, v75, 10, 0x2000
	v_lshlrev_b32_e32 v23, 7, v74
	v_and_b32_e32 v3, 0x8000, v3
	v_and_b32_e32 v22, 0xfc00, v22
	v_or3_b32 v74, v3, v22, v23
.LBB285_2716:                           ;   in Loop: Header=BB285_1571 Depth=1
	s_or_b32 exec_lo, exec_lo, s20
.LBB285_2717:                           ;   in Loop: Header=BB285_1571 Depth=1
	s_or_b32 exec_lo, exec_lo, s19
.LBB285_2718:                           ;   in Loop: Header=BB285_1571 Depth=1
	s_or_b32 exec_lo, exec_lo, s18
	s_mov_b32 s18, exec_lo
	v_cmpx_lt_u32_e32 0xffffff, v10
	s_cbranch_execz .LBB285_2726
; %bb.2719:                             ;   in Loop: Header=BB285_1571 Depth=1
	v_lshrrev_b32_e32 v3, 24, v10
	v_bfrev_b32_e32 v73, 1
	s_mov_b32 s19, exec_lo
	v_cmpx_ne_u32_e32 0x80, v3
	s_cbranch_execz .LBB285_2725
; %bb.2720:                             ;   in Loop: Header=BB285_1571 Depth=1
	v_and_b32_e32 v76, 0x7f, v3
	v_mov_b32_e32 v73, 0x7c010000
	s_mov_b32 s20, exec_lo
	v_cmpx_ne_u32_e32 0x7f, v76
	s_cbranch_execz .LBB285_2724
; %bb.2721:                             ;   in Loop: Header=BB285_1571 Depth=1
	v_and_b32_e32 v73, 7, v3
	v_lshrrev_b32_e32 v75, 3, v76
	s_mov_b32 s21, exec_lo
	v_cmpx_gt_u32_e32 8, v76
; %bb.2722:                             ;   in Loop: Header=BB285_1571 Depth=1
	v_ffbh_u32_e32 v22, v73
	v_min_u32_e32 v73, 32, v22
	v_subrev_nc_u32_e32 v22, 28, v73
	v_sub_nc_u32_e32 v75, 29, v73
	v_lshlrev_b64 v[22:23], v22, v[3:4]
	v_and_b32_e32 v73, 7, v22
; %bb.2723:                             ;   in Loop: Header=BB285_1571 Depth=1
	s_or_b32 exec_lo, exec_lo, s21
	v_lshlrev_b32_e32 v3, 8, v3
	v_lshl_add_u32 v22, v75, 10, 0x2000
	v_and_or_b32 v3, 0x8000, v3, v22
	v_lshlrev_b32_e32 v22, 23, v73
	v_lshl_or_b32 v73, v3, 16, v22
.LBB285_2724:                           ;   in Loop: Header=BB285_1571 Depth=1
	s_or_b32 exec_lo, exec_lo, s20
.LBB285_2725:                           ;   in Loop: Header=BB285_1571 Depth=1
	s_or_b32 exec_lo, exec_lo, s19
.LBB285_2726:                           ;   in Loop: Header=BB285_1571 Depth=1
	s_or_b32 exec_lo, exec_lo, s18
	v_mov_b32_e32 v3, v11
	v_cmp_ne_u16_sdwa s4, v11, v4 src0_sel:BYTE_0 src1_sel:DWORD
	v_mov_b32_e32 v75, 0
	v_mov_b32_e32 v76, 0
	s_and_saveexec_b32 s18, s4
	s_cbranch_execz .LBB285_2734
; %bb.2727:                             ;   in Loop: Header=BB285_1571 Depth=1
	v_cmp_ne_u16_sdwa s4, v11, v80 src0_sel:BYTE_0 src1_sel:DWORD
	v_mov_b32_e32 v76, 0x8000
	s_and_saveexec_b32 s19, s4
	s_cbranch_execz .LBB285_2733
; %bb.2728:                             ;   in Loop: Header=BB285_1571 Depth=1
	v_and_b32_e32 v78, 0x7f, v11
	v_mov_b32_e32 v76, 0x7c01
	s_mov_b32 s20, exec_lo
	v_cmpx_ne_u32_e32 0x7f, v78
	s_cbranch_execz .LBB285_2732
; %bb.2729:                             ;   in Loop: Header=BB285_1571 Depth=1
	v_and_b32_e32 v76, 7, v11
	v_lshrrev_b32_e32 v77, 3, v78
	s_mov_b32 s21, exec_lo
	v_cmpx_gt_u32_e32 8, v78
; %bb.2730:                             ;   in Loop: Header=BB285_1571 Depth=1
	v_ffbh_u32_e32 v22, v76
	v_min_u32_e32 v76, 32, v22
	v_subrev_nc_u32_e32 v22, 28, v76
	v_sub_nc_u32_e32 v77, 29, v76
	v_lshlrev_b64 v[22:23], v22, v[3:4]
	v_and_b32_e32 v76, 7, v22
; %bb.2731:                             ;   in Loop: Header=BB285_1571 Depth=1
	s_or_b32 exec_lo, exec_lo, s21
	v_lshlrev_b32_e32 v22, 8, v11
	v_lshl_add_u32 v23, v77, 10, 0x2000
	v_lshlrev_b32_e32 v76, 7, v76
	v_and_b32_e32 v22, 0x8000, v22
	v_and_b32_e32 v23, 0xfc00, v23
	v_or3_b32 v76, v22, v23, v76
.LBB285_2732:                           ;   in Loop: Header=BB285_1571 Depth=1
	s_or_b32 exec_lo, exec_lo, s20
.LBB285_2733:                           ;   in Loop: Header=BB285_1571 Depth=1
	s_or_b32 exec_lo, exec_lo, s19
.LBB285_2734:                           ;   in Loop: Header=BB285_1571 Depth=1
	s_or_b32 exec_lo, exec_lo, s18
	v_lshrrev_b16 v3, 8, v3
	v_mov_b32_e32 v77, 0
	s_mov_b32 s18, exec_lo
	v_cmpx_ne_u16_e32 0, v3
	s_cbranch_execz .LBB285_2742
; %bb.2735:                             ;   in Loop: Header=BB285_1571 Depth=1
	v_bfrev_b32_e32 v77, 1
	s_mov_b32 s19, exec_lo
	v_cmpx_ne_u16_e32 0x80, v3
	s_cbranch_execz .LBB285_2741
; %bb.2736:                             ;   in Loop: Header=BB285_1571 Depth=1
	v_and_b32_sdwa v79, v3, v81 dst_sel:DWORD dst_unused:UNUSED_PAD src0_sel:WORD_0 src1_sel:DWORD
	v_mov_b32_e32 v77, 0x7c010000
	s_mov_b32 s20, exec_lo
	v_cmpx_ne_u32_e32 0x7f, v79
	s_cbranch_execz .LBB285_2740
; %bb.2737:                             ;   in Loop: Header=BB285_1571 Depth=1
	v_and_b32_sdwa v77, v3, v82 dst_sel:DWORD dst_unused:UNUSED_PAD src0_sel:WORD_0 src1_sel:DWORD
	v_lshrrev_b32_e32 v78, 3, v79
	s_mov_b32 s21, exec_lo
	v_cmpx_gt_u32_e32 8, v79
; %bb.2738:                             ;   in Loop: Header=BB285_1571 Depth=1
	v_ffbh_u32_e32 v22, v77
	v_min_u32_e32 v77, 32, v22
	v_subrev_nc_u32_e32 v22, 28, v77
	v_sub_nc_u32_e32 v78, 29, v77
	v_lshlrev_b64 v[22:23], v22, v[3:4]
	v_and_b32_e32 v77, 7, v22
; %bb.2739:                             ;   in Loop: Header=BB285_1571 Depth=1
	s_or_b32 exec_lo, exec_lo, s21
	v_lshlrev_b32_sdwa v3, v83, v3 dst_sel:DWORD dst_unused:UNUSED_PAD src0_sel:DWORD src1_sel:WORD_0
	v_lshl_add_u32 v22, v78, 10, 0x2000
	v_and_or_b32 v3, 0x8000, v3, v22
	v_lshlrev_b32_e32 v22, 23, v77
	v_lshl_or_b32 v77, v3, 16, v22
.LBB285_2740:                           ;   in Loop: Header=BB285_1571 Depth=1
	s_or_b32 exec_lo, exec_lo, s20
.LBB285_2741:                           ;   in Loop: Header=BB285_1571 Depth=1
	s_or_b32 exec_lo, exec_lo, s19
.LBB285_2742:                           ;   in Loop: Header=BB285_1571 Depth=1
	s_or_b32 exec_lo, exec_lo, s18
	v_lshrrev_b32_e32 v3, 16, v11
	v_cmp_ne_u16_sdwa s4, v3, v4 src0_sel:BYTE_0 src1_sel:DWORD
	s_and_saveexec_b32 s18, s4
	s_cbranch_execz .LBB285_2750
; %bb.2743:                             ;   in Loop: Header=BB285_1571 Depth=1
	v_cmp_ne_u16_sdwa s4, v3, v80 src0_sel:BYTE_0 src1_sel:DWORD
	v_mov_b32_e32 v75, 0x8000
	s_and_saveexec_b32 s19, s4
	s_cbranch_execz .LBB285_2749
; %bb.2744:                             ;   in Loop: Header=BB285_1571 Depth=1
	v_bfe_u32 v79, v11, 16, 7
	v_mov_b32_e32 v75, 0x7c01
	s_mov_b32 s20, exec_lo
	v_cmpx_ne_u32_e32 0x7f, v79
	s_cbranch_execz .LBB285_2748
; %bb.2745:                             ;   in Loop: Header=BB285_1571 Depth=1
	v_and_b32_e32 v75, 7, v3
	v_lshrrev_b32_e32 v78, 3, v79
	s_mov_b32 s21, exec_lo
	v_cmpx_gt_u32_e32 8, v79
; %bb.2746:                             ;   in Loop: Header=BB285_1571 Depth=1
	v_ffbh_u32_e32 v22, v75
	v_min_u32_e32 v75, 32, v22
	v_subrev_nc_u32_e32 v22, 28, v75
	v_sub_nc_u32_e32 v78, 29, v75
	v_lshlrev_b64 v[22:23], v22, v[3:4]
	v_and_b32_e32 v75, 7, v22
; %bb.2747:                             ;   in Loop: Header=BB285_1571 Depth=1
	s_or_b32 exec_lo, exec_lo, s21
	v_lshlrev_b32_e32 v3, 8, v3
	v_lshl_add_u32 v22, v78, 10, 0x2000
	v_lshlrev_b32_e32 v23, 7, v75
	v_and_b32_e32 v3, 0x8000, v3
	v_and_b32_e32 v22, 0xfc00, v22
	v_or3_b32 v75, v3, v22, v23
.LBB285_2748:                           ;   in Loop: Header=BB285_1571 Depth=1
	s_or_b32 exec_lo, exec_lo, s20
.LBB285_2749:                           ;   in Loop: Header=BB285_1571 Depth=1
	s_or_b32 exec_lo, exec_lo, s19
.LBB285_2750:                           ;   in Loop: Header=BB285_1571 Depth=1
	s_or_b32 exec_lo, exec_lo, s18
	v_cmp_lt_u64_e64 s4, s[6:7], v[10:11]
	v_mov_b32_e32 v10, 0
	s_and_saveexec_b32 s18, s4
	s_cbranch_execz .LBB285_2758
; %bb.2751:                             ;   in Loop: Header=BB285_1571 Depth=1
	v_lshrrev_b32_e32 v3, 24, v11
	v_bfrev_b32_e32 v10, 1
	s_mov_b32 s19, exec_lo
	v_cmpx_ne_u32_e32 0x80, v3
	s_cbranch_execz .LBB285_2757
; %bb.2752:                             ;   in Loop: Header=BB285_1571 Depth=1
	v_and_b32_e32 v78, 0x7f, v3
	v_mov_b32_e32 v10, 0x7c010000
	s_mov_b32 s20, exec_lo
	v_cmpx_ne_u32_e32 0x7f, v78
	s_cbranch_execz .LBB285_2756
; %bb.2753:                             ;   in Loop: Header=BB285_1571 Depth=1
	v_and_b32_e32 v10, 7, v3
	v_lshrrev_b32_e32 v11, 3, v78
	s_mov_b32 s21, exec_lo
	v_cmpx_gt_u32_e32 8, v78
; %bb.2754:                             ;   in Loop: Header=BB285_1571 Depth=1
	v_ffbh_u32_e32 v10, v10
	v_min_u32_e32 v22, 32, v10
	v_subrev_nc_u32_e32 v10, 28, v22
	v_lshlrev_b64 v[10:11], v10, v[3:4]
	v_sub_nc_u32_e32 v11, 29, v22
	v_and_b32_e32 v10, 7, v10
; %bb.2755:                             ;   in Loop: Header=BB285_1571 Depth=1
	s_or_b32 exec_lo, exec_lo, s21
	v_lshlrev_b32_e32 v3, 8, v3
	v_lshl_add_u32 v11, v11, 10, 0x2000
	v_lshlrev_b32_e32 v10, 23, v10
	v_and_or_b32 v3, 0x8000, v3, v11
	v_lshl_or_b32 v10, v3, 16, v10
.LBB285_2756:                           ;   in Loop: Header=BB285_1571 Depth=1
	s_or_b32 exec_lo, exec_lo, s20
.LBB285_2757:                           ;   in Loop: Header=BB285_1571 Depth=1
	s_or_b32 exec_lo, exec_lo, s19
.LBB285_2758:                           ;   in Loop: Header=BB285_1571 Depth=1
	s_or_b32 exec_lo, exec_lo, s18
	v_or_b32_e32 v3, v73, v74
	s_waitcnt vmcnt(0) lgkmcnt(0)
	v_fma_mixlo_f16 v11, v38, v73, 0 op_sel:[0,1,0] op_sel_hi:[0,1,0]
	v_or_b32_e32 v22, v39, v72
	v_fma_mixlo_f16 v23, v38, v39, 0 op_sel:[0,1,0] op_sel_hi:[0,1,0]
	v_or_b32_e32 v39, v77, v76
	v_fma_mixlo_f16 v73, v38, v3, 0 op_sel_hi:[0,1,0]
	v_or_b32_e32 v74, v10, v75
	v_lshlrev_b32_e32 v3, 16, v11
	v_lshlrev_b32_e32 v72, 16, v23
	v_fma_mixlo_f16 v22, v38, v22, 0 op_sel_hi:[0,1,0]
	v_and_b32_e32 v11, 0xffff, v73
	v_fma_mixlo_f16 v23, v38, v77, 0 op_sel:[0,1,0] op_sel_hi:[0,1,0]
	v_fma_mixlo_f16 v39, v38, v39, 0 op_sel_hi:[0,1,0]
	v_fma_mixlo_f16 v10, v38, v10, 0 op_sel:[0,1,0] op_sel_hi:[0,1,0]
	v_fma_mixlo_f16 v73, v38, v74, 0 op_sel_hi:[0,1,0]
	v_and_b32_e32 v78, 0xffff, v22
	v_lshlrev_b32_e32 v38, 16, v23
	v_and_b32_e32 v74, 0xffff, v39
	v_lshlrev_b32_e32 v10, 16, v10
	v_and_b32_e32 v39, 0xffff, v73
	v_or_b32_e32 v73, v3, v11
	v_or_b32_e32 v77, v72, v78
	;; [unrolled: 1-line block ×4, first 2 shown]
	s_and_saveexec_b32 s18, vcc_lo
	s_cbranch_execz .LBB285_2760
; %bb.2759:                             ;   in Loop: Header=BB285_1571 Depth=1
	v_cmp_lt_i32_e64 s4, v86, v32
	v_cndmask_b32_e64 v22, 0, v78, s4
	v_cmp_lt_i32_e64 s4, v115, v32
	v_cndmask_b32_e64 v23, 0, v72, s4
	v_cmp_lt_i32_e64 s4, v114, v32
	v_or_b32_e32 v77, v22, v23
	v_cndmask_b32_e64 v11, 0, v11, s4
	v_cmp_lt_i32_e64 s4, v113, v32
	v_cndmask_b32_e64 v3, 0, v3, s4
	v_cmp_lt_i32_e64 s4, v112, v32
	v_or_b32_e32 v73, v11, v3
	;; [unrolled: 5-line block ×3, first 2 shown]
	v_cndmask_b32_e64 v39, 0, v39, s4
	v_cmp_lt_i32_e64 s4, v101, v32
	v_cndmask_b32_e64 v10, 0, v10, s4
	v_or_b32_e32 v75, v39, v10
.LBB285_2760:                           ;   in Loop: Header=BB285_1571 Depth=1
	s_or_b32 exec_lo, exec_lo, s18
	;;#ASMSTART
	v_pk_mul_f16 v3, v100, v77;

	;;#ASMEND
	;;#ASMSTART
	v_pk_mul_f16 v10, v99, v73;

	;;#ASMEND
	;; [unrolled: 4-line block ×4, first 2 shown]
	;;#ASMSTART
	v_pk_add_f16 v3, v3, v10;

	;;#ASMEND
	;;#ASMSTART
	v_pk_add_f16 v3, v3, v11;

	;;#ASMEND
	;; [unrolled: 4-line block ×3, first 2 shown]
	v_and_b32_e32 v10, 0xffff, v3
	v_lshrrev_b32_e32 v3, 16, v3
	;;#ASMSTART
	v_cvt_f32_f16 v38, v10;
	;;#ASMEND
	;;#ASMSTART
	v_cvt_f32_f16 v72, v3;
	;;#ASMEND
	flat_load_dwordx2 v[10:11], v[8:9] offset:512
	flat_load_dword v39, v[109:110]
	v_mov_b32_e32 v73, 0
	v_mov_b32_e32 v74, 0
	s_waitcnt vmcnt(1) lgkmcnt(1)
	v_cmp_ne_u16_sdwa s4, v10, v4 src0_sel:BYTE_0 src1_sel:DWORD
	s_and_saveexec_b32 s18, s4
	s_cbranch_execz .LBB285_2768
; %bb.2761:                             ;   in Loop: Header=BB285_1571 Depth=1
	v_cmp_ne_u16_sdwa s4, v10, v80 src0_sel:BYTE_0 src1_sel:DWORD
	v_mov_b32_e32 v74, 0x8000
	s_and_saveexec_b32 s19, s4
	s_cbranch_execz .LBB285_2767
; %bb.2762:                             ;   in Loop: Header=BB285_1571 Depth=1
	v_and_b32_e32 v75, 0x7f, v10
	v_mov_b32_e32 v74, 0x7c01
	s_mov_b32 s20, exec_lo
	v_cmpx_ne_u32_e32 0x7f, v75
	s_cbranch_execz .LBB285_2766
; %bb.2763:                             ;   in Loop: Header=BB285_1571 Depth=1
	v_and_b32_e32 v3, 7, v10
	v_lshrrev_b32_e32 v74, 3, v75
	s_mov_b32 s21, exec_lo
	v_cmpx_gt_u32_e32 8, v75
; %bb.2764:                             ;   in Loop: Header=BB285_1571 Depth=1
	v_ffbh_u32_e32 v3, v3
	v_min_u32_e32 v3, 32, v3
	v_subrev_nc_u32_e32 v22, 28, v3
	v_sub_nc_u32_e32 v74, 29, v3
	v_lshlrev_b64 v[22:23], v22, v[10:11]
	v_and_b32_e32 v3, 7, v22
; %bb.2765:                             ;   in Loop: Header=BB285_1571 Depth=1
	s_or_b32 exec_lo, exec_lo, s21
	v_lshlrev_b32_e32 v22, 8, v10
	v_lshl_add_u32 v23, v74, 10, 0x2000
	v_lshlrev_b32_e32 v3, 7, v3
	v_and_b32_e32 v22, 0x8000, v22
	v_and_b32_e32 v23, 0xfc00, v23
	v_or3_b32 v74, v22, v23, v3
.LBB285_2766:                           ;   in Loop: Header=BB285_1571 Depth=1
	s_or_b32 exec_lo, exec_lo, s20
.LBB285_2767:                           ;   in Loop: Header=BB285_1571 Depth=1
	s_or_b32 exec_lo, exec_lo, s19
.LBB285_2768:                           ;   in Loop: Header=BB285_1571 Depth=1
	s_or_b32 exec_lo, exec_lo, s18
	v_lshrrev_b16 v3, 8, v10
	s_mov_b32 s18, exec_lo
	v_cmpx_ne_u16_e32 0, v3
	s_cbranch_execz .LBB285_2776
; %bb.2769:                             ;   in Loop: Header=BB285_1571 Depth=1
	v_bfrev_b32_e32 v73, 1
	s_mov_b32 s19, exec_lo
	v_cmpx_ne_u16_e32 0x80, v3
	s_cbranch_execz .LBB285_2775
; %bb.2770:                             ;   in Loop: Header=BB285_1571 Depth=1
	v_and_b32_sdwa v76, v3, v81 dst_sel:DWORD dst_unused:UNUSED_PAD src0_sel:WORD_0 src1_sel:DWORD
	v_mov_b32_e32 v73, 0x7c010000
	s_mov_b32 s20, exec_lo
	v_cmpx_ne_u32_e32 0x7f, v76
	s_cbranch_execz .LBB285_2774
; %bb.2771:                             ;   in Loop: Header=BB285_1571 Depth=1
	v_and_b32_sdwa v73, v3, v82 dst_sel:DWORD dst_unused:UNUSED_PAD src0_sel:WORD_0 src1_sel:DWORD
	v_lshrrev_b32_e32 v75, 3, v76
	s_mov_b32 s21, exec_lo
	v_cmpx_gt_u32_e32 8, v76
; %bb.2772:                             ;   in Loop: Header=BB285_1571 Depth=1
	v_ffbh_u32_e32 v22, v73
	v_min_u32_e32 v73, 32, v22
	v_subrev_nc_u32_e32 v22, 28, v73
	v_sub_nc_u32_e32 v75, 29, v73
	v_lshlrev_b64 v[22:23], v22, v[3:4]
	v_and_b32_e32 v73, 7, v22
; %bb.2773:                             ;   in Loop: Header=BB285_1571 Depth=1
	s_or_b32 exec_lo, exec_lo, s21
	v_lshlrev_b32_sdwa v3, v83, v3 dst_sel:DWORD dst_unused:UNUSED_PAD src0_sel:DWORD src1_sel:WORD_0
	v_lshl_add_u32 v22, v75, 10, 0x2000
	v_and_or_b32 v3, 0x8000, v3, v22
	v_lshlrev_b32_e32 v22, 23, v73
	v_lshl_or_b32 v73, v3, 16, v22
.LBB285_2774:                           ;   in Loop: Header=BB285_1571 Depth=1
	s_or_b32 exec_lo, exec_lo, s20
.LBB285_2775:                           ;   in Loop: Header=BB285_1571 Depth=1
	s_or_b32 exec_lo, exec_lo, s19
.LBB285_2776:                           ;   in Loop: Header=BB285_1571 Depth=1
	s_or_b32 exec_lo, exec_lo, s18
	v_lshrrev_b32_e32 v3, 16, v10
	v_mov_b32_e32 v75, 0
	v_mov_b32_e32 v76, 0
	v_cmp_ne_u16_sdwa s4, v3, v4 src0_sel:BYTE_0 src1_sel:DWORD
	s_and_saveexec_b32 s18, s4
	s_cbranch_execz .LBB285_2784
; %bb.2777:                             ;   in Loop: Header=BB285_1571 Depth=1
	v_cmp_ne_u16_sdwa s4, v3, v80 src0_sel:BYTE_0 src1_sel:DWORD
	v_mov_b32_e32 v76, 0x8000
	s_and_saveexec_b32 s19, s4
	s_cbranch_execz .LBB285_2783
; %bb.2778:                             ;   in Loop: Header=BB285_1571 Depth=1
	v_bfe_u32 v78, v10, 16, 7
	v_mov_b32_e32 v76, 0x7c01
	s_mov_b32 s20, exec_lo
	v_cmpx_ne_u32_e32 0x7f, v78
	s_cbranch_execz .LBB285_2782
; %bb.2779:                             ;   in Loop: Header=BB285_1571 Depth=1
	v_and_b32_e32 v76, 7, v3
	v_lshrrev_b32_e32 v77, 3, v78
	s_mov_b32 s21, exec_lo
	v_cmpx_gt_u32_e32 8, v78
; %bb.2780:                             ;   in Loop: Header=BB285_1571 Depth=1
	v_ffbh_u32_e32 v22, v76
	v_min_u32_e32 v76, 32, v22
	v_subrev_nc_u32_e32 v22, 28, v76
	v_sub_nc_u32_e32 v77, 29, v76
	v_lshlrev_b64 v[22:23], v22, v[3:4]
	v_and_b32_e32 v76, 7, v22
; %bb.2781:                             ;   in Loop: Header=BB285_1571 Depth=1
	s_or_b32 exec_lo, exec_lo, s21
	v_lshlrev_b32_e32 v3, 8, v3
	v_lshl_add_u32 v22, v77, 10, 0x2000
	v_lshlrev_b32_e32 v23, 7, v76
	v_and_b32_e32 v3, 0x8000, v3
	v_and_b32_e32 v22, 0xfc00, v22
	v_or3_b32 v76, v3, v22, v23
.LBB285_2782:                           ;   in Loop: Header=BB285_1571 Depth=1
	s_or_b32 exec_lo, exec_lo, s20
.LBB285_2783:                           ;   in Loop: Header=BB285_1571 Depth=1
	s_or_b32 exec_lo, exec_lo, s19
.LBB285_2784:                           ;   in Loop: Header=BB285_1571 Depth=1
	s_or_b32 exec_lo, exec_lo, s18
	s_mov_b32 s18, exec_lo
	v_cmpx_lt_u32_e32 0xffffff, v10
	s_cbranch_execz .LBB285_2792
; %bb.2785:                             ;   in Loop: Header=BB285_1571 Depth=1
	v_lshrrev_b32_e32 v3, 24, v10
	v_bfrev_b32_e32 v75, 1
	s_mov_b32 s19, exec_lo
	v_cmpx_ne_u32_e32 0x80, v3
	s_cbranch_execz .LBB285_2791
; %bb.2786:                             ;   in Loop: Header=BB285_1571 Depth=1
	v_and_b32_e32 v78, 0x7f, v3
	v_mov_b32_e32 v75, 0x7c010000
	s_mov_b32 s20, exec_lo
	v_cmpx_ne_u32_e32 0x7f, v78
	s_cbranch_execz .LBB285_2790
; %bb.2787:                             ;   in Loop: Header=BB285_1571 Depth=1
	v_and_b32_e32 v75, 7, v3
	v_lshrrev_b32_e32 v77, 3, v78
	s_mov_b32 s21, exec_lo
	v_cmpx_gt_u32_e32 8, v78
; %bb.2788:                             ;   in Loop: Header=BB285_1571 Depth=1
	v_ffbh_u32_e32 v22, v75
	v_min_u32_e32 v75, 32, v22
	v_subrev_nc_u32_e32 v22, 28, v75
	v_sub_nc_u32_e32 v77, 29, v75
	v_lshlrev_b64 v[22:23], v22, v[3:4]
	v_and_b32_e32 v75, 7, v22
; %bb.2789:                             ;   in Loop: Header=BB285_1571 Depth=1
	s_or_b32 exec_lo, exec_lo, s21
	v_lshlrev_b32_e32 v3, 8, v3
	v_lshl_add_u32 v22, v77, 10, 0x2000
	v_and_or_b32 v3, 0x8000, v3, v22
	v_lshlrev_b32_e32 v22, 23, v75
	v_lshl_or_b32 v75, v3, 16, v22
.LBB285_2790:                           ;   in Loop: Header=BB285_1571 Depth=1
	s_or_b32 exec_lo, exec_lo, s20
.LBB285_2791:                           ;   in Loop: Header=BB285_1571 Depth=1
	s_or_b32 exec_lo, exec_lo, s19
.LBB285_2792:                           ;   in Loop: Header=BB285_1571 Depth=1
	s_or_b32 exec_lo, exec_lo, s18
	v_mov_b32_e32 v3, v11
	v_cmp_ne_u16_sdwa s4, v11, v4 src0_sel:BYTE_0 src1_sel:DWORD
	v_mov_b32_e32 v77, 0
	v_mov_b32_e32 v78, 0
	s_and_saveexec_b32 s18, s4
	s_cbranch_execz .LBB285_2800
; %bb.2793:                             ;   in Loop: Header=BB285_1571 Depth=1
	v_cmp_ne_u16_sdwa s4, v11, v80 src0_sel:BYTE_0 src1_sel:DWORD
	v_mov_b32_e32 v78, 0x8000
	s_and_saveexec_b32 s19, s4
	s_cbranch_execz .LBB285_2799
; %bb.2794:                             ;   in Loop: Header=BB285_1571 Depth=1
	v_and_b32_e32 v88, 0x7f, v11
	v_mov_b32_e32 v78, 0x7c01
	s_mov_b32 s20, exec_lo
	v_cmpx_ne_u32_e32 0x7f, v88
	s_cbranch_execz .LBB285_2798
; %bb.2795:                             ;   in Loop: Header=BB285_1571 Depth=1
	v_and_b32_e32 v78, 7, v11
	v_lshrrev_b32_e32 v79, 3, v88
	s_mov_b32 s21, exec_lo
	v_cmpx_gt_u32_e32 8, v88
; %bb.2796:                             ;   in Loop: Header=BB285_1571 Depth=1
	v_ffbh_u32_e32 v22, v78
	v_min_u32_e32 v78, 32, v22
	v_subrev_nc_u32_e32 v22, 28, v78
	v_sub_nc_u32_e32 v79, 29, v78
	v_lshlrev_b64 v[22:23], v22, v[3:4]
	v_and_b32_e32 v78, 7, v22
; %bb.2797:                             ;   in Loop: Header=BB285_1571 Depth=1
	s_or_b32 exec_lo, exec_lo, s21
	v_lshlrev_b32_e32 v22, 8, v11
	v_lshl_add_u32 v23, v79, 10, 0x2000
	v_lshlrev_b32_e32 v78, 7, v78
	v_and_b32_e32 v22, 0x8000, v22
	v_and_b32_e32 v23, 0xfc00, v23
	v_or3_b32 v78, v22, v23, v78
.LBB285_2798:                           ;   in Loop: Header=BB285_1571 Depth=1
	s_or_b32 exec_lo, exec_lo, s20
.LBB285_2799:                           ;   in Loop: Header=BB285_1571 Depth=1
	s_or_b32 exec_lo, exec_lo, s19
.LBB285_2800:                           ;   in Loop: Header=BB285_1571 Depth=1
	s_or_b32 exec_lo, exec_lo, s18
	v_lshrrev_b16 v3, 8, v3
	v_mov_b32_e32 v79, 0
	s_mov_b32 s18, exec_lo
	v_cmpx_ne_u16_e32 0, v3
	s_cbranch_execz .LBB285_2808
; %bb.2801:                             ;   in Loop: Header=BB285_1571 Depth=1
	v_bfrev_b32_e32 v79, 1
	s_mov_b32 s19, exec_lo
	v_cmpx_ne_u16_e32 0x80, v3
	s_cbranch_execz .LBB285_2807
; %bb.2802:                             ;   in Loop: Header=BB285_1571 Depth=1
	v_and_b32_sdwa v89, v3, v81 dst_sel:DWORD dst_unused:UNUSED_PAD src0_sel:WORD_0 src1_sel:DWORD
	v_mov_b32_e32 v79, 0x7c010000
	s_mov_b32 s20, exec_lo
	v_cmpx_ne_u32_e32 0x7f, v89
	s_cbranch_execz .LBB285_2806
; %bb.2803:                             ;   in Loop: Header=BB285_1571 Depth=1
	v_and_b32_sdwa v79, v3, v82 dst_sel:DWORD dst_unused:UNUSED_PAD src0_sel:WORD_0 src1_sel:DWORD
	v_lshrrev_b32_e32 v88, 3, v89
	s_mov_b32 s21, exec_lo
	v_cmpx_gt_u32_e32 8, v89
; %bb.2804:                             ;   in Loop: Header=BB285_1571 Depth=1
	v_ffbh_u32_e32 v22, v79
	v_min_u32_e32 v79, 32, v22
	v_subrev_nc_u32_e32 v22, 28, v79
	v_sub_nc_u32_e32 v88, 29, v79
	v_lshlrev_b64 v[22:23], v22, v[3:4]
	v_and_b32_e32 v79, 7, v22
; %bb.2805:                             ;   in Loop: Header=BB285_1571 Depth=1
	s_or_b32 exec_lo, exec_lo, s21
	v_lshlrev_b32_sdwa v3, v83, v3 dst_sel:DWORD dst_unused:UNUSED_PAD src0_sel:DWORD src1_sel:WORD_0
	v_lshl_add_u32 v22, v88, 10, 0x2000
	v_and_or_b32 v3, 0x8000, v3, v22
	v_lshlrev_b32_e32 v22, 23, v79
	v_lshl_or_b32 v79, v3, 16, v22
.LBB285_2806:                           ;   in Loop: Header=BB285_1571 Depth=1
	s_or_b32 exec_lo, exec_lo, s20
.LBB285_2807:                           ;   in Loop: Header=BB285_1571 Depth=1
	s_or_b32 exec_lo, exec_lo, s19
.LBB285_2808:                           ;   in Loop: Header=BB285_1571 Depth=1
	s_or_b32 exec_lo, exec_lo, s18
	v_lshrrev_b32_e32 v3, 16, v11
	v_cmp_ne_u16_sdwa s4, v3, v4 src0_sel:BYTE_0 src1_sel:DWORD
	s_and_saveexec_b32 s18, s4
	s_cbranch_execz .LBB285_2816
; %bb.2809:                             ;   in Loop: Header=BB285_1571 Depth=1
	v_cmp_ne_u16_sdwa s4, v3, v80 src0_sel:BYTE_0 src1_sel:DWORD
	v_mov_b32_e32 v77, 0x8000
	s_and_saveexec_b32 s19, s4
	s_cbranch_execz .LBB285_2815
; %bb.2810:                             ;   in Loop: Header=BB285_1571 Depth=1
	v_bfe_u32 v89, v11, 16, 7
	v_mov_b32_e32 v77, 0x7c01
	s_mov_b32 s20, exec_lo
	v_cmpx_ne_u32_e32 0x7f, v89
	s_cbranch_execz .LBB285_2814
; %bb.2811:                             ;   in Loop: Header=BB285_1571 Depth=1
	v_and_b32_e32 v77, 7, v3
	v_lshrrev_b32_e32 v88, 3, v89
	s_mov_b32 s21, exec_lo
	v_cmpx_gt_u32_e32 8, v89
; %bb.2812:                             ;   in Loop: Header=BB285_1571 Depth=1
	v_ffbh_u32_e32 v22, v77
	v_min_u32_e32 v77, 32, v22
	v_subrev_nc_u32_e32 v22, 28, v77
	v_sub_nc_u32_e32 v88, 29, v77
	v_lshlrev_b64 v[22:23], v22, v[3:4]
	v_and_b32_e32 v77, 7, v22
; %bb.2813:                             ;   in Loop: Header=BB285_1571 Depth=1
	s_or_b32 exec_lo, exec_lo, s21
	v_lshlrev_b32_e32 v3, 8, v3
	v_lshl_add_u32 v22, v88, 10, 0x2000
	v_lshlrev_b32_e32 v23, 7, v77
	v_and_b32_e32 v3, 0x8000, v3
	v_and_b32_e32 v22, 0xfc00, v22
	v_or3_b32 v77, v3, v22, v23
.LBB285_2814:                           ;   in Loop: Header=BB285_1571 Depth=1
	s_or_b32 exec_lo, exec_lo, s20
.LBB285_2815:                           ;   in Loop: Header=BB285_1571 Depth=1
	s_or_b32 exec_lo, exec_lo, s19
.LBB285_2816:                           ;   in Loop: Header=BB285_1571 Depth=1
	s_or_b32 exec_lo, exec_lo, s18
	v_cmp_lt_u64_e64 s4, s[6:7], v[10:11]
	v_mov_b32_e32 v10, 0
	s_and_saveexec_b32 s18, s4
	s_cbranch_execz .LBB285_2824
; %bb.2817:                             ;   in Loop: Header=BB285_1571 Depth=1
	v_lshrrev_b32_e32 v3, 24, v11
	v_bfrev_b32_e32 v10, 1
	s_mov_b32 s19, exec_lo
	v_cmpx_ne_u32_e32 0x80, v3
	s_cbranch_execz .LBB285_2823
; %bb.2818:                             ;   in Loop: Header=BB285_1571 Depth=1
	v_and_b32_e32 v88, 0x7f, v3
	v_mov_b32_e32 v10, 0x7c010000
	s_mov_b32 s20, exec_lo
	v_cmpx_ne_u32_e32 0x7f, v88
	s_cbranch_execz .LBB285_2822
; %bb.2819:                             ;   in Loop: Header=BB285_1571 Depth=1
	v_and_b32_e32 v10, 7, v3
	v_lshrrev_b32_e32 v11, 3, v88
	s_mov_b32 s21, exec_lo
	v_cmpx_gt_u32_e32 8, v88
; %bb.2820:                             ;   in Loop: Header=BB285_1571 Depth=1
	v_ffbh_u32_e32 v10, v10
	v_min_u32_e32 v22, 32, v10
	v_subrev_nc_u32_e32 v10, 28, v22
	v_lshlrev_b64 v[10:11], v10, v[3:4]
	v_sub_nc_u32_e32 v11, 29, v22
	v_and_b32_e32 v10, 7, v10
; %bb.2821:                             ;   in Loop: Header=BB285_1571 Depth=1
	s_or_b32 exec_lo, exec_lo, s21
	v_lshlrev_b32_e32 v3, 8, v3
	v_lshl_add_u32 v11, v11, 10, 0x2000
	v_lshlrev_b32_e32 v10, 23, v10
	v_and_or_b32 v3, 0x8000, v3, v11
	v_lshl_or_b32 v10, v3, 16, v10
.LBB285_2822:                           ;   in Loop: Header=BB285_1571 Depth=1
	s_or_b32 exec_lo, exec_lo, s20
.LBB285_2823:                           ;   in Loop: Header=BB285_1571 Depth=1
	s_or_b32 exec_lo, exec_lo, s19
.LBB285_2824:                           ;   in Loop: Header=BB285_1571 Depth=1
	s_or_b32 exec_lo, exec_lo, s18
	v_or_b32_e32 v3, v75, v76
	s_waitcnt vmcnt(0) lgkmcnt(0)
	v_fma_mixlo_f16 v11, v39, v75, 0 op_sel:[0,1,0] op_sel_hi:[0,1,0]
	v_or_b32_e32 v22, v73, v74
	v_fma_mixlo_f16 v23, v39, v73, 0 op_sel:[0,1,0] op_sel_hi:[0,1,0]
	v_or_b32_e32 v73, v79, v78
	v_fma_mixlo_f16 v75, v39, v3, 0 op_sel_hi:[0,1,0]
	v_or_b32_e32 v76, v10, v77
	v_lshlrev_b32_e32 v3, 16, v11
	v_lshlrev_b32_e32 v74, 16, v23
	v_fma_mixlo_f16 v22, v39, v22, 0 op_sel_hi:[0,1,0]
	v_and_b32_e32 v11, 0xffff, v75
	v_fma_mixlo_f16 v23, v39, v79, 0 op_sel:[0,1,0] op_sel_hi:[0,1,0]
	v_fma_mixlo_f16 v73, v39, v73, 0 op_sel_hi:[0,1,0]
	v_fma_mixlo_f16 v10, v39, v10, 0 op_sel:[0,1,0] op_sel_hi:[0,1,0]
	v_fma_mixlo_f16 v75, v39, v76, 0 op_sel_hi:[0,1,0]
	v_and_b32_e32 v88, 0xffff, v22
	v_lshlrev_b32_e32 v39, 16, v23
	v_and_b32_e32 v76, 0xffff, v73
	v_lshlrev_b32_e32 v10, 16, v10
	v_and_b32_e32 v73, 0xffff, v75
	v_or_b32_e32 v75, v3, v11
	v_or_b32_e32 v79, v74, v88
	;; [unrolled: 1-line block ×4, first 2 shown]
	s_and_saveexec_b32 s18, vcc_lo
	s_cbranch_execz .LBB285_2826
; %bb.2825:                             ;   in Loop: Header=BB285_1571 Depth=1
	v_cmp_lt_i32_e64 s4, v86, v32
	v_cndmask_b32_e64 v22, 0, v88, s4
	v_cmp_lt_i32_e64 s4, v115, v32
	v_cndmask_b32_e64 v23, 0, v74, s4
	v_cmp_lt_i32_e64 s4, v114, v32
	v_or_b32_e32 v79, v22, v23
	v_cndmask_b32_e64 v11, 0, v11, s4
	v_cmp_lt_i32_e64 s4, v113, v32
	v_cndmask_b32_e64 v3, 0, v3, s4
	v_cmp_lt_i32_e64 s4, v112, v32
	v_or_b32_e32 v75, v11, v3
	;; [unrolled: 5-line block ×3, first 2 shown]
	v_cndmask_b32_e64 v73, 0, v73, s4
	v_cmp_lt_i32_e64 s4, v101, v32
	v_cndmask_b32_e64 v10, 0, v10, s4
	v_or_b32_e32 v77, v73, v10
.LBB285_2826:                           ;   in Loop: Header=BB285_1571 Depth=1
	s_or_b32 exec_lo, exec_lo, s18
	;;#ASMSTART
	v_pk_mul_f16 v3, v100, v79;

	;;#ASMEND
	;;#ASMSTART
	v_pk_mul_f16 v10, v99, v75;

	;;#ASMEND
	;; [unrolled: 4-line block ×4, first 2 shown]
	;;#ASMSTART
	v_pk_add_f16 v3, v3, v10;

	;;#ASMEND
	;;#ASMSTART
	v_pk_add_f16 v3, v3, v11;

	;;#ASMEND
	;; [unrolled: 4-line block ×3, first 2 shown]
	v_and_b32_e32 v10, 0xffff, v3
	v_lshrrev_b32_e32 v3, 16, v3
	;;#ASMSTART
	v_cvt_f32_f16 v73, v10;
	;;#ASMEND
	;;#ASMSTART
	v_cvt_f32_f16 v74, v3;
	;;#ASMEND
	flat_load_dwordx2 v[10:11], v[8:9] offset:768
	flat_load_dword v39, v[109:110]
	v_mov_b32_e32 v75, 0
	v_mov_b32_e32 v76, 0
	s_waitcnt vmcnt(1) lgkmcnt(1)
	v_cmp_ne_u16_sdwa s4, v10, v4 src0_sel:BYTE_0 src1_sel:DWORD
	s_and_saveexec_b32 s18, s4
	s_cbranch_execz .LBB285_2834
; %bb.2827:                             ;   in Loop: Header=BB285_1571 Depth=1
	v_cmp_ne_u16_sdwa s4, v10, v80 src0_sel:BYTE_0 src1_sel:DWORD
	v_mov_b32_e32 v76, 0x8000
	s_and_saveexec_b32 s19, s4
	s_cbranch_execz .LBB285_2833
; %bb.2828:                             ;   in Loop: Header=BB285_1571 Depth=1
	v_and_b32_e32 v77, 0x7f, v10
	v_mov_b32_e32 v76, 0x7c01
	s_mov_b32 s20, exec_lo
	v_cmpx_ne_u32_e32 0x7f, v77
	s_cbranch_execz .LBB285_2832
; %bb.2829:                             ;   in Loop: Header=BB285_1571 Depth=1
	v_and_b32_e32 v3, 7, v10
	v_lshrrev_b32_e32 v76, 3, v77
	s_mov_b32 s21, exec_lo
	v_cmpx_gt_u32_e32 8, v77
; %bb.2830:                             ;   in Loop: Header=BB285_1571 Depth=1
	v_ffbh_u32_e32 v3, v3
	v_min_u32_e32 v3, 32, v3
	v_subrev_nc_u32_e32 v22, 28, v3
	v_sub_nc_u32_e32 v76, 29, v3
	v_lshlrev_b64 v[22:23], v22, v[10:11]
	v_and_b32_e32 v3, 7, v22
; %bb.2831:                             ;   in Loop: Header=BB285_1571 Depth=1
	s_or_b32 exec_lo, exec_lo, s21
	v_lshlrev_b32_e32 v22, 8, v10
	v_lshl_add_u32 v23, v76, 10, 0x2000
	v_lshlrev_b32_e32 v3, 7, v3
	v_and_b32_e32 v22, 0x8000, v22
	v_and_b32_e32 v23, 0xfc00, v23
	v_or3_b32 v76, v22, v23, v3
.LBB285_2832:                           ;   in Loop: Header=BB285_1571 Depth=1
	s_or_b32 exec_lo, exec_lo, s20
.LBB285_2833:                           ;   in Loop: Header=BB285_1571 Depth=1
	s_or_b32 exec_lo, exec_lo, s19
.LBB285_2834:                           ;   in Loop: Header=BB285_1571 Depth=1
	s_or_b32 exec_lo, exec_lo, s18
	v_lshrrev_b16 v3, 8, v10
	s_mov_b32 s18, exec_lo
	v_cmpx_ne_u16_e32 0, v3
	s_cbranch_execz .LBB285_2842
; %bb.2835:                             ;   in Loop: Header=BB285_1571 Depth=1
	v_bfrev_b32_e32 v75, 1
	s_mov_b32 s19, exec_lo
	v_cmpx_ne_u16_e32 0x80, v3
	s_cbranch_execz .LBB285_2841
; %bb.2836:                             ;   in Loop: Header=BB285_1571 Depth=1
	v_and_b32_sdwa v78, v3, v81 dst_sel:DWORD dst_unused:UNUSED_PAD src0_sel:WORD_0 src1_sel:DWORD
	v_mov_b32_e32 v75, 0x7c010000
	s_mov_b32 s20, exec_lo
	v_cmpx_ne_u32_e32 0x7f, v78
	s_cbranch_execz .LBB285_2840
; %bb.2837:                             ;   in Loop: Header=BB285_1571 Depth=1
	v_and_b32_sdwa v75, v3, v82 dst_sel:DWORD dst_unused:UNUSED_PAD src0_sel:WORD_0 src1_sel:DWORD
	v_lshrrev_b32_e32 v77, 3, v78
	s_mov_b32 s21, exec_lo
	v_cmpx_gt_u32_e32 8, v78
; %bb.2838:                             ;   in Loop: Header=BB285_1571 Depth=1
	v_ffbh_u32_e32 v22, v75
	v_min_u32_e32 v75, 32, v22
	v_subrev_nc_u32_e32 v22, 28, v75
	v_sub_nc_u32_e32 v77, 29, v75
	v_lshlrev_b64 v[22:23], v22, v[3:4]
	v_and_b32_e32 v75, 7, v22
; %bb.2839:                             ;   in Loop: Header=BB285_1571 Depth=1
	s_or_b32 exec_lo, exec_lo, s21
	v_lshlrev_b32_sdwa v3, v83, v3 dst_sel:DWORD dst_unused:UNUSED_PAD src0_sel:DWORD src1_sel:WORD_0
	v_lshl_add_u32 v22, v77, 10, 0x2000
	v_and_or_b32 v3, 0x8000, v3, v22
	v_lshlrev_b32_e32 v22, 23, v75
	v_lshl_or_b32 v75, v3, 16, v22
.LBB285_2840:                           ;   in Loop: Header=BB285_1571 Depth=1
	s_or_b32 exec_lo, exec_lo, s20
.LBB285_2841:                           ;   in Loop: Header=BB285_1571 Depth=1
	s_or_b32 exec_lo, exec_lo, s19
.LBB285_2842:                           ;   in Loop: Header=BB285_1571 Depth=1
	s_or_b32 exec_lo, exec_lo, s18
	v_lshrrev_b32_e32 v3, 16, v10
	v_mov_b32_e32 v77, 0
	v_mov_b32_e32 v78, 0
	v_cmp_ne_u16_sdwa s4, v3, v4 src0_sel:BYTE_0 src1_sel:DWORD
	s_and_saveexec_b32 s18, s4
	s_cbranch_execz .LBB285_2850
; %bb.2843:                             ;   in Loop: Header=BB285_1571 Depth=1
	v_cmp_ne_u16_sdwa s4, v3, v80 src0_sel:BYTE_0 src1_sel:DWORD
	v_mov_b32_e32 v78, 0x8000
	s_and_saveexec_b32 s19, s4
	s_cbranch_execz .LBB285_2849
; %bb.2844:                             ;   in Loop: Header=BB285_1571 Depth=1
	v_bfe_u32 v88, v10, 16, 7
	v_mov_b32_e32 v78, 0x7c01
	s_mov_b32 s20, exec_lo
	v_cmpx_ne_u32_e32 0x7f, v88
	s_cbranch_execz .LBB285_2848
; %bb.2845:                             ;   in Loop: Header=BB285_1571 Depth=1
	v_and_b32_e32 v78, 7, v3
	v_lshrrev_b32_e32 v79, 3, v88
	s_mov_b32 s21, exec_lo
	v_cmpx_gt_u32_e32 8, v88
; %bb.2846:                             ;   in Loop: Header=BB285_1571 Depth=1
	v_ffbh_u32_e32 v22, v78
	v_min_u32_e32 v78, 32, v22
	v_subrev_nc_u32_e32 v22, 28, v78
	v_sub_nc_u32_e32 v79, 29, v78
	v_lshlrev_b64 v[22:23], v22, v[3:4]
	v_and_b32_e32 v78, 7, v22
; %bb.2847:                             ;   in Loop: Header=BB285_1571 Depth=1
	s_or_b32 exec_lo, exec_lo, s21
	v_lshlrev_b32_e32 v3, 8, v3
	v_lshl_add_u32 v22, v79, 10, 0x2000
	v_lshlrev_b32_e32 v23, 7, v78
	v_and_b32_e32 v3, 0x8000, v3
	v_and_b32_e32 v22, 0xfc00, v22
	v_or3_b32 v78, v3, v22, v23
.LBB285_2848:                           ;   in Loop: Header=BB285_1571 Depth=1
	s_or_b32 exec_lo, exec_lo, s20
.LBB285_2849:                           ;   in Loop: Header=BB285_1571 Depth=1
	s_or_b32 exec_lo, exec_lo, s19
.LBB285_2850:                           ;   in Loop: Header=BB285_1571 Depth=1
	s_or_b32 exec_lo, exec_lo, s18
	s_mov_b32 s18, exec_lo
	v_cmpx_lt_u32_e32 0xffffff, v10
	s_cbranch_execz .LBB285_2858
; %bb.2851:                             ;   in Loop: Header=BB285_1571 Depth=1
	v_lshrrev_b32_e32 v3, 24, v10
	v_bfrev_b32_e32 v77, 1
	s_mov_b32 s19, exec_lo
	v_cmpx_ne_u32_e32 0x80, v3
	s_cbranch_execz .LBB285_2857
; %bb.2852:                             ;   in Loop: Header=BB285_1571 Depth=1
	v_and_b32_e32 v88, 0x7f, v3
	v_mov_b32_e32 v77, 0x7c010000
	s_mov_b32 s20, exec_lo
	v_cmpx_ne_u32_e32 0x7f, v88
	s_cbranch_execz .LBB285_2856
; %bb.2853:                             ;   in Loop: Header=BB285_1571 Depth=1
	v_and_b32_e32 v77, 7, v3
	v_lshrrev_b32_e32 v79, 3, v88
	s_mov_b32 s21, exec_lo
	v_cmpx_gt_u32_e32 8, v88
; %bb.2854:                             ;   in Loop: Header=BB285_1571 Depth=1
	v_ffbh_u32_e32 v22, v77
	v_min_u32_e32 v77, 32, v22
	v_subrev_nc_u32_e32 v22, 28, v77
	v_sub_nc_u32_e32 v79, 29, v77
	v_lshlrev_b64 v[22:23], v22, v[3:4]
	v_and_b32_e32 v77, 7, v22
; %bb.2855:                             ;   in Loop: Header=BB285_1571 Depth=1
	s_or_b32 exec_lo, exec_lo, s21
	v_lshlrev_b32_e32 v3, 8, v3
	v_lshl_add_u32 v22, v79, 10, 0x2000
	v_and_or_b32 v3, 0x8000, v3, v22
	v_lshlrev_b32_e32 v22, 23, v77
	v_lshl_or_b32 v77, v3, 16, v22
.LBB285_2856:                           ;   in Loop: Header=BB285_1571 Depth=1
	s_or_b32 exec_lo, exec_lo, s20
.LBB285_2857:                           ;   in Loop: Header=BB285_1571 Depth=1
	s_or_b32 exec_lo, exec_lo, s19
.LBB285_2858:                           ;   in Loop: Header=BB285_1571 Depth=1
	s_or_b32 exec_lo, exec_lo, s18
	v_mov_b32_e32 v3, v11
	v_cmp_ne_u16_sdwa s4, v11, v4 src0_sel:BYTE_0 src1_sel:DWORD
	v_mov_b32_e32 v79, 0
	v_mov_b32_e32 v88, 0
	s_and_saveexec_b32 s18, s4
	s_cbranch_execz .LBB285_2866
; %bb.2859:                             ;   in Loop: Header=BB285_1571 Depth=1
	v_cmp_ne_u16_sdwa s4, v11, v80 src0_sel:BYTE_0 src1_sel:DWORD
	v_mov_b32_e32 v88, 0x8000
	s_and_saveexec_b32 s19, s4
	s_cbranch_execz .LBB285_2865
; %bb.2860:                             ;   in Loop: Header=BB285_1571 Depth=1
	v_and_b32_e32 v90, 0x7f, v11
	v_mov_b32_e32 v88, 0x7c01
	s_mov_b32 s20, exec_lo
	v_cmpx_ne_u32_e32 0x7f, v90
	s_cbranch_execz .LBB285_2864
; %bb.2861:                             ;   in Loop: Header=BB285_1571 Depth=1
	v_and_b32_e32 v88, 7, v11
	v_lshrrev_b32_e32 v89, 3, v90
	s_mov_b32 s21, exec_lo
	v_cmpx_gt_u32_e32 8, v90
; %bb.2862:                             ;   in Loop: Header=BB285_1571 Depth=1
	v_ffbh_u32_e32 v22, v88
	v_min_u32_e32 v88, 32, v22
	v_subrev_nc_u32_e32 v22, 28, v88
	v_sub_nc_u32_e32 v89, 29, v88
	v_lshlrev_b64 v[22:23], v22, v[3:4]
	v_and_b32_e32 v88, 7, v22
; %bb.2863:                             ;   in Loop: Header=BB285_1571 Depth=1
	s_or_b32 exec_lo, exec_lo, s21
	v_lshlrev_b32_e32 v22, 8, v11
	v_lshl_add_u32 v23, v89, 10, 0x2000
	v_lshlrev_b32_e32 v88, 7, v88
	v_and_b32_e32 v22, 0x8000, v22
	v_and_b32_e32 v23, 0xfc00, v23
	v_or3_b32 v88, v22, v23, v88
.LBB285_2864:                           ;   in Loop: Header=BB285_1571 Depth=1
	s_or_b32 exec_lo, exec_lo, s20
.LBB285_2865:                           ;   in Loop: Header=BB285_1571 Depth=1
	s_or_b32 exec_lo, exec_lo, s19
.LBB285_2866:                           ;   in Loop: Header=BB285_1571 Depth=1
	s_or_b32 exec_lo, exec_lo, s18
	v_lshrrev_b16 v3, 8, v3
	v_mov_b32_e32 v89, 0
	s_mov_b32 s18, exec_lo
	v_cmpx_ne_u16_e32 0, v3
	s_cbranch_execz .LBB285_2874
; %bb.2867:                             ;   in Loop: Header=BB285_1571 Depth=1
	v_bfrev_b32_e32 v89, 1
	s_mov_b32 s19, exec_lo
	v_cmpx_ne_u16_e32 0x80, v3
	s_cbranch_execz .LBB285_2873
; %bb.2868:                             ;   in Loop: Header=BB285_1571 Depth=1
	v_and_b32_sdwa v91, v3, v81 dst_sel:DWORD dst_unused:UNUSED_PAD src0_sel:WORD_0 src1_sel:DWORD
	v_mov_b32_e32 v89, 0x7c010000
	s_mov_b32 s20, exec_lo
	v_cmpx_ne_u32_e32 0x7f, v91
	s_cbranch_execz .LBB285_2872
; %bb.2869:                             ;   in Loop: Header=BB285_1571 Depth=1
	v_and_b32_sdwa v89, v3, v82 dst_sel:DWORD dst_unused:UNUSED_PAD src0_sel:WORD_0 src1_sel:DWORD
	v_lshrrev_b32_e32 v90, 3, v91
	s_mov_b32 s21, exec_lo
	v_cmpx_gt_u32_e32 8, v91
; %bb.2870:                             ;   in Loop: Header=BB285_1571 Depth=1
	v_ffbh_u32_e32 v22, v89
	v_min_u32_e32 v89, 32, v22
	v_subrev_nc_u32_e32 v22, 28, v89
	v_sub_nc_u32_e32 v90, 29, v89
	v_lshlrev_b64 v[22:23], v22, v[3:4]
	v_and_b32_e32 v89, 7, v22
; %bb.2871:                             ;   in Loop: Header=BB285_1571 Depth=1
	s_or_b32 exec_lo, exec_lo, s21
	v_lshlrev_b32_sdwa v3, v83, v3 dst_sel:DWORD dst_unused:UNUSED_PAD src0_sel:DWORD src1_sel:WORD_0
	v_lshl_add_u32 v22, v90, 10, 0x2000
	v_and_or_b32 v3, 0x8000, v3, v22
	v_lshlrev_b32_e32 v22, 23, v89
	v_lshl_or_b32 v89, v3, 16, v22
.LBB285_2872:                           ;   in Loop: Header=BB285_1571 Depth=1
	s_or_b32 exec_lo, exec_lo, s20
.LBB285_2873:                           ;   in Loop: Header=BB285_1571 Depth=1
	s_or_b32 exec_lo, exec_lo, s19
.LBB285_2874:                           ;   in Loop: Header=BB285_1571 Depth=1
	s_or_b32 exec_lo, exec_lo, s18
	v_lshrrev_b32_e32 v3, 16, v11
	v_cmp_ne_u16_sdwa s4, v3, v4 src0_sel:BYTE_0 src1_sel:DWORD
	s_and_saveexec_b32 s18, s4
	s_cbranch_execz .LBB285_2882
; %bb.2875:                             ;   in Loop: Header=BB285_1571 Depth=1
	v_cmp_ne_u16_sdwa s4, v3, v80 src0_sel:BYTE_0 src1_sel:DWORD
	v_mov_b32_e32 v79, 0x8000
	s_and_saveexec_b32 s19, s4
	s_cbranch_execz .LBB285_2881
; %bb.2876:                             ;   in Loop: Header=BB285_1571 Depth=1
	v_bfe_u32 v91, v11, 16, 7
	v_mov_b32_e32 v79, 0x7c01
	s_mov_b32 s20, exec_lo
	v_cmpx_ne_u32_e32 0x7f, v91
	s_cbranch_execz .LBB285_2880
; %bb.2877:                             ;   in Loop: Header=BB285_1571 Depth=1
	v_and_b32_e32 v79, 7, v3
	v_lshrrev_b32_e32 v90, 3, v91
	s_mov_b32 s21, exec_lo
	v_cmpx_gt_u32_e32 8, v91
; %bb.2878:                             ;   in Loop: Header=BB285_1571 Depth=1
	v_ffbh_u32_e32 v22, v79
	v_min_u32_e32 v79, 32, v22
	v_subrev_nc_u32_e32 v22, 28, v79
	v_sub_nc_u32_e32 v90, 29, v79
	v_lshlrev_b64 v[22:23], v22, v[3:4]
	v_and_b32_e32 v79, 7, v22
; %bb.2879:                             ;   in Loop: Header=BB285_1571 Depth=1
	s_or_b32 exec_lo, exec_lo, s21
	v_lshlrev_b32_e32 v3, 8, v3
	v_lshl_add_u32 v22, v90, 10, 0x2000
	v_lshlrev_b32_e32 v23, 7, v79
	v_and_b32_e32 v3, 0x8000, v3
	v_and_b32_e32 v22, 0xfc00, v22
	v_or3_b32 v79, v3, v22, v23
.LBB285_2880:                           ;   in Loop: Header=BB285_1571 Depth=1
	s_or_b32 exec_lo, exec_lo, s20
.LBB285_2881:                           ;   in Loop: Header=BB285_1571 Depth=1
	s_or_b32 exec_lo, exec_lo, s19
.LBB285_2882:                           ;   in Loop: Header=BB285_1571 Depth=1
	s_or_b32 exec_lo, exec_lo, s18
	v_cmp_lt_u64_e64 s4, s[6:7], v[10:11]
	v_mov_b32_e32 v10, 0
	s_and_saveexec_b32 s18, s4
	s_cbranch_execz .LBB285_2890
; %bb.2883:                             ;   in Loop: Header=BB285_1571 Depth=1
	v_lshrrev_b32_e32 v3, 24, v11
	v_bfrev_b32_e32 v10, 1
	s_mov_b32 s19, exec_lo
	v_cmpx_ne_u32_e32 0x80, v3
	s_cbranch_execz .LBB285_2889
; %bb.2884:                             ;   in Loop: Header=BB285_1571 Depth=1
	v_and_b32_e32 v90, 0x7f, v3
	v_mov_b32_e32 v10, 0x7c010000
	s_mov_b32 s20, exec_lo
	v_cmpx_ne_u32_e32 0x7f, v90
	s_cbranch_execz .LBB285_2888
; %bb.2885:                             ;   in Loop: Header=BB285_1571 Depth=1
	v_and_b32_e32 v10, 7, v3
	v_lshrrev_b32_e32 v11, 3, v90
	s_mov_b32 s21, exec_lo
	v_cmpx_gt_u32_e32 8, v90
; %bb.2886:                             ;   in Loop: Header=BB285_1571 Depth=1
	v_ffbh_u32_e32 v10, v10
	v_min_u32_e32 v22, 32, v10
	v_subrev_nc_u32_e32 v10, 28, v22
	v_lshlrev_b64 v[10:11], v10, v[3:4]
	v_sub_nc_u32_e32 v11, 29, v22
	v_and_b32_e32 v10, 7, v10
; %bb.2887:                             ;   in Loop: Header=BB285_1571 Depth=1
	s_or_b32 exec_lo, exec_lo, s21
	v_lshlrev_b32_e32 v3, 8, v3
	v_lshl_add_u32 v11, v11, 10, 0x2000
	v_lshlrev_b32_e32 v10, 23, v10
	v_and_or_b32 v3, 0x8000, v3, v11
	v_lshl_or_b32 v10, v3, 16, v10
.LBB285_2888:                           ;   in Loop: Header=BB285_1571 Depth=1
	s_or_b32 exec_lo, exec_lo, s20
.LBB285_2889:                           ;   in Loop: Header=BB285_1571 Depth=1
	s_or_b32 exec_lo, exec_lo, s19
.LBB285_2890:                           ;   in Loop: Header=BB285_1571 Depth=1
	s_or_b32 exec_lo, exec_lo, s18
	v_or_b32_e32 v3, v77, v78
	s_waitcnt vmcnt(0) lgkmcnt(0)
	v_fma_mixlo_f16 v11, v39, v77, 0 op_sel:[0,1,0] op_sel_hi:[0,1,0]
	v_or_b32_e32 v22, v75, v76
	v_fma_mixlo_f16 v23, v39, v75, 0 op_sel:[0,1,0] op_sel_hi:[0,1,0]
	v_or_b32_e32 v75, v89, v88
	v_fma_mixlo_f16 v77, v39, v3, 0 op_sel_hi:[0,1,0]
	v_or_b32_e32 v78, v10, v79
	v_lshlrev_b32_e32 v3, 16, v11
	v_lshlrev_b32_e32 v76, 16, v23
	v_fma_mixlo_f16 v22, v39, v22, 0 op_sel_hi:[0,1,0]
	v_and_b32_e32 v11, 0xffff, v77
	v_fma_mixlo_f16 v23, v39, v89, 0 op_sel:[0,1,0] op_sel_hi:[0,1,0]
	v_fma_mixlo_f16 v75, v39, v75, 0 op_sel_hi:[0,1,0]
	v_fma_mixlo_f16 v10, v39, v10, 0 op_sel:[0,1,0] op_sel_hi:[0,1,0]
	v_fma_mixlo_f16 v77, v39, v78, 0 op_sel_hi:[0,1,0]
	v_and_b32_e32 v90, 0xffff, v22
	v_lshlrev_b32_e32 v39, 16, v23
	v_and_b32_e32 v78, 0xffff, v75
	v_lshlrev_b32_e32 v10, 16, v10
	v_and_b32_e32 v75, 0xffff, v77
	v_or_b32_e32 v77, v3, v11
	v_or_b32_e32 v89, v76, v90
	;; [unrolled: 1-line block ×4, first 2 shown]
	s_and_saveexec_b32 s18, vcc_lo
	s_cbranch_execz .LBB285_2892
; %bb.2891:                             ;   in Loop: Header=BB285_1571 Depth=1
	v_cmp_lt_i32_e64 s4, v86, v32
	v_cndmask_b32_e64 v22, 0, v90, s4
	v_cmp_lt_i32_e64 s4, v115, v32
	v_cndmask_b32_e64 v23, 0, v76, s4
	v_cmp_lt_i32_e64 s4, v114, v32
	v_or_b32_e32 v89, v22, v23
	v_cndmask_b32_e64 v11, 0, v11, s4
	v_cmp_lt_i32_e64 s4, v113, v32
	v_cndmask_b32_e64 v3, 0, v3, s4
	v_cmp_lt_i32_e64 s4, v112, v32
	v_or_b32_e32 v77, v11, v3
	;; [unrolled: 5-line block ×3, first 2 shown]
	v_cndmask_b32_e64 v75, 0, v75, s4
	v_cmp_lt_i32_e64 s4, v101, v32
	v_cndmask_b32_e64 v10, 0, v10, s4
	v_or_b32_e32 v79, v75, v10
.LBB285_2892:                           ;   in Loop: Header=BB285_1571 Depth=1
	s_or_b32 exec_lo, exec_lo, s18
	;;#ASMSTART
	v_pk_mul_f16 v3, v100, v89;

	;;#ASMEND
	;;#ASMSTART
	v_pk_mul_f16 v10, v99, v77;

	;;#ASMEND
	;; [unrolled: 4-line block ×4, first 2 shown]
	;;#ASMSTART
	v_pk_add_f16 v3, v3, v10;

	;;#ASMEND
	;;#ASMSTART
	v_pk_add_f16 v3, v3, v11;

	;;#ASMEND
	;; [unrolled: 4-line block ×3, first 2 shown]
	v_and_b32_e32 v10, 0xffff, v3
	v_lshrrev_b32_e32 v3, 16, v3
	;;#ASMSTART
	v_cvt_f32_f16 v75, v10;
	;;#ASMEND
	;;#ASMSTART
	v_cvt_f32_f16 v76, v3;
	;;#ASMEND
	flat_load_dwordx2 v[10:11], v[8:9] offset:1024
	flat_load_dword v39, v[109:110]
	v_mov_b32_e32 v77, 0
	v_mov_b32_e32 v78, 0
	s_waitcnt vmcnt(1) lgkmcnt(1)
	v_cmp_ne_u16_sdwa s4, v10, v4 src0_sel:BYTE_0 src1_sel:DWORD
	s_and_saveexec_b32 s18, s4
	s_cbranch_execz .LBB285_2900
; %bb.2893:                             ;   in Loop: Header=BB285_1571 Depth=1
	v_cmp_ne_u16_sdwa s4, v10, v80 src0_sel:BYTE_0 src1_sel:DWORD
	v_mov_b32_e32 v78, 0x8000
	s_and_saveexec_b32 s19, s4
	s_cbranch_execz .LBB285_2899
; %bb.2894:                             ;   in Loop: Header=BB285_1571 Depth=1
	v_and_b32_e32 v79, 0x7f, v10
	v_mov_b32_e32 v78, 0x7c01
	s_mov_b32 s20, exec_lo
	v_cmpx_ne_u32_e32 0x7f, v79
	s_cbranch_execz .LBB285_2898
; %bb.2895:                             ;   in Loop: Header=BB285_1571 Depth=1
	v_and_b32_e32 v3, 7, v10
	v_lshrrev_b32_e32 v78, 3, v79
	s_mov_b32 s21, exec_lo
	v_cmpx_gt_u32_e32 8, v79
; %bb.2896:                             ;   in Loop: Header=BB285_1571 Depth=1
	v_ffbh_u32_e32 v3, v3
	v_min_u32_e32 v3, 32, v3
	v_subrev_nc_u32_e32 v22, 28, v3
	v_sub_nc_u32_e32 v78, 29, v3
	v_lshlrev_b64 v[22:23], v22, v[10:11]
	v_and_b32_e32 v3, 7, v22
; %bb.2897:                             ;   in Loop: Header=BB285_1571 Depth=1
	s_or_b32 exec_lo, exec_lo, s21
	v_lshlrev_b32_e32 v22, 8, v10
	v_lshl_add_u32 v23, v78, 10, 0x2000
	v_lshlrev_b32_e32 v3, 7, v3
	v_and_b32_e32 v22, 0x8000, v22
	v_and_b32_e32 v23, 0xfc00, v23
	v_or3_b32 v78, v22, v23, v3
.LBB285_2898:                           ;   in Loop: Header=BB285_1571 Depth=1
	s_or_b32 exec_lo, exec_lo, s20
.LBB285_2899:                           ;   in Loop: Header=BB285_1571 Depth=1
	s_or_b32 exec_lo, exec_lo, s19
.LBB285_2900:                           ;   in Loop: Header=BB285_1571 Depth=1
	s_or_b32 exec_lo, exec_lo, s18
	v_lshrrev_b16 v3, 8, v10
	s_mov_b32 s18, exec_lo
	v_cmpx_ne_u16_e32 0, v3
	s_cbranch_execz .LBB285_2908
; %bb.2901:                             ;   in Loop: Header=BB285_1571 Depth=1
	v_bfrev_b32_e32 v77, 1
	s_mov_b32 s19, exec_lo
	v_cmpx_ne_u16_e32 0x80, v3
	s_cbranch_execz .LBB285_2907
; %bb.2902:                             ;   in Loop: Header=BB285_1571 Depth=1
	v_and_b32_sdwa v88, v3, v81 dst_sel:DWORD dst_unused:UNUSED_PAD src0_sel:WORD_0 src1_sel:DWORD
	v_mov_b32_e32 v77, 0x7c010000
	s_mov_b32 s20, exec_lo
	v_cmpx_ne_u32_e32 0x7f, v88
	s_cbranch_execz .LBB285_2906
; %bb.2903:                             ;   in Loop: Header=BB285_1571 Depth=1
	v_and_b32_sdwa v77, v3, v82 dst_sel:DWORD dst_unused:UNUSED_PAD src0_sel:WORD_0 src1_sel:DWORD
	v_lshrrev_b32_e32 v79, 3, v88
	s_mov_b32 s21, exec_lo
	v_cmpx_gt_u32_e32 8, v88
; %bb.2904:                             ;   in Loop: Header=BB285_1571 Depth=1
	v_ffbh_u32_e32 v22, v77
	v_min_u32_e32 v77, 32, v22
	v_subrev_nc_u32_e32 v22, 28, v77
	v_sub_nc_u32_e32 v79, 29, v77
	v_lshlrev_b64 v[22:23], v22, v[3:4]
	v_and_b32_e32 v77, 7, v22
; %bb.2905:                             ;   in Loop: Header=BB285_1571 Depth=1
	s_or_b32 exec_lo, exec_lo, s21
	v_lshlrev_b32_sdwa v3, v83, v3 dst_sel:DWORD dst_unused:UNUSED_PAD src0_sel:DWORD src1_sel:WORD_0
	v_lshl_add_u32 v22, v79, 10, 0x2000
	v_and_or_b32 v3, 0x8000, v3, v22
	v_lshlrev_b32_e32 v22, 23, v77
	v_lshl_or_b32 v77, v3, 16, v22
.LBB285_2906:                           ;   in Loop: Header=BB285_1571 Depth=1
	s_or_b32 exec_lo, exec_lo, s20
.LBB285_2907:                           ;   in Loop: Header=BB285_1571 Depth=1
	s_or_b32 exec_lo, exec_lo, s19
.LBB285_2908:                           ;   in Loop: Header=BB285_1571 Depth=1
	s_or_b32 exec_lo, exec_lo, s18
	v_lshrrev_b32_e32 v3, 16, v10
	v_mov_b32_e32 v79, 0
	v_mov_b32_e32 v88, 0
	v_cmp_ne_u16_sdwa s4, v3, v4 src0_sel:BYTE_0 src1_sel:DWORD
	s_and_saveexec_b32 s18, s4
	s_cbranch_execz .LBB285_2916
; %bb.2909:                             ;   in Loop: Header=BB285_1571 Depth=1
	v_cmp_ne_u16_sdwa s4, v3, v80 src0_sel:BYTE_0 src1_sel:DWORD
	v_mov_b32_e32 v88, 0x8000
	s_and_saveexec_b32 s19, s4
	s_cbranch_execz .LBB285_2915
; %bb.2910:                             ;   in Loop: Header=BB285_1571 Depth=1
	v_bfe_u32 v90, v10, 16, 7
	v_mov_b32_e32 v88, 0x7c01
	s_mov_b32 s20, exec_lo
	v_cmpx_ne_u32_e32 0x7f, v90
	s_cbranch_execz .LBB285_2914
; %bb.2911:                             ;   in Loop: Header=BB285_1571 Depth=1
	v_and_b32_e32 v88, 7, v3
	v_lshrrev_b32_e32 v89, 3, v90
	s_mov_b32 s21, exec_lo
	v_cmpx_gt_u32_e32 8, v90
; %bb.2912:                             ;   in Loop: Header=BB285_1571 Depth=1
	v_ffbh_u32_e32 v22, v88
	v_min_u32_e32 v88, 32, v22
	v_subrev_nc_u32_e32 v22, 28, v88
	v_sub_nc_u32_e32 v89, 29, v88
	v_lshlrev_b64 v[22:23], v22, v[3:4]
	v_and_b32_e32 v88, 7, v22
; %bb.2913:                             ;   in Loop: Header=BB285_1571 Depth=1
	s_or_b32 exec_lo, exec_lo, s21
	v_lshlrev_b32_e32 v3, 8, v3
	v_lshl_add_u32 v22, v89, 10, 0x2000
	v_lshlrev_b32_e32 v23, 7, v88
	v_and_b32_e32 v3, 0x8000, v3
	v_and_b32_e32 v22, 0xfc00, v22
	v_or3_b32 v88, v3, v22, v23
.LBB285_2914:                           ;   in Loop: Header=BB285_1571 Depth=1
	s_or_b32 exec_lo, exec_lo, s20
.LBB285_2915:                           ;   in Loop: Header=BB285_1571 Depth=1
	s_or_b32 exec_lo, exec_lo, s19
.LBB285_2916:                           ;   in Loop: Header=BB285_1571 Depth=1
	s_or_b32 exec_lo, exec_lo, s18
	s_mov_b32 s18, exec_lo
	v_cmpx_lt_u32_e32 0xffffff, v10
	s_cbranch_execz .LBB285_2924
; %bb.2917:                             ;   in Loop: Header=BB285_1571 Depth=1
	v_lshrrev_b32_e32 v3, 24, v10
	v_bfrev_b32_e32 v79, 1
	s_mov_b32 s19, exec_lo
	v_cmpx_ne_u32_e32 0x80, v3
	s_cbranch_execz .LBB285_2923
; %bb.2918:                             ;   in Loop: Header=BB285_1571 Depth=1
	v_and_b32_e32 v90, 0x7f, v3
	v_mov_b32_e32 v79, 0x7c010000
	s_mov_b32 s20, exec_lo
	v_cmpx_ne_u32_e32 0x7f, v90
	s_cbranch_execz .LBB285_2922
; %bb.2919:                             ;   in Loop: Header=BB285_1571 Depth=1
	v_and_b32_e32 v79, 7, v3
	v_lshrrev_b32_e32 v89, 3, v90
	s_mov_b32 s21, exec_lo
	v_cmpx_gt_u32_e32 8, v90
; %bb.2920:                             ;   in Loop: Header=BB285_1571 Depth=1
	v_ffbh_u32_e32 v22, v79
	v_min_u32_e32 v79, 32, v22
	v_subrev_nc_u32_e32 v22, 28, v79
	v_sub_nc_u32_e32 v89, 29, v79
	v_lshlrev_b64 v[22:23], v22, v[3:4]
	v_and_b32_e32 v79, 7, v22
; %bb.2921:                             ;   in Loop: Header=BB285_1571 Depth=1
	s_or_b32 exec_lo, exec_lo, s21
	v_lshlrev_b32_e32 v3, 8, v3
	v_lshl_add_u32 v22, v89, 10, 0x2000
	v_and_or_b32 v3, 0x8000, v3, v22
	v_lshlrev_b32_e32 v22, 23, v79
	v_lshl_or_b32 v79, v3, 16, v22
.LBB285_2922:                           ;   in Loop: Header=BB285_1571 Depth=1
	s_or_b32 exec_lo, exec_lo, s20
.LBB285_2923:                           ;   in Loop: Header=BB285_1571 Depth=1
	s_or_b32 exec_lo, exec_lo, s19
.LBB285_2924:                           ;   in Loop: Header=BB285_1571 Depth=1
	s_or_b32 exec_lo, exec_lo, s18
	v_mov_b32_e32 v3, v11
	v_cmp_ne_u16_sdwa s4, v11, v4 src0_sel:BYTE_0 src1_sel:DWORD
	v_mov_b32_e32 v89, 0
	v_mov_b32_e32 v90, 0
	s_and_saveexec_b32 s18, s4
	s_cbranch_execz .LBB285_2932
; %bb.2925:                             ;   in Loop: Header=BB285_1571 Depth=1
	v_cmp_ne_u16_sdwa s4, v11, v80 src0_sel:BYTE_0 src1_sel:DWORD
	v_mov_b32_e32 v90, 0x8000
	s_and_saveexec_b32 s19, s4
	s_cbranch_execz .LBB285_2931
; %bb.2926:                             ;   in Loop: Header=BB285_1571 Depth=1
	v_and_b32_e32 v92, 0x7f, v11
	v_mov_b32_e32 v90, 0x7c01
	s_mov_b32 s20, exec_lo
	v_cmpx_ne_u32_e32 0x7f, v92
	s_cbranch_execz .LBB285_2930
; %bb.2927:                             ;   in Loop: Header=BB285_1571 Depth=1
	v_and_b32_e32 v90, 7, v11
	v_lshrrev_b32_e32 v91, 3, v92
	s_mov_b32 s21, exec_lo
	v_cmpx_gt_u32_e32 8, v92
; %bb.2928:                             ;   in Loop: Header=BB285_1571 Depth=1
	v_ffbh_u32_e32 v22, v90
	v_min_u32_e32 v90, 32, v22
	v_subrev_nc_u32_e32 v22, 28, v90
	v_sub_nc_u32_e32 v91, 29, v90
	v_lshlrev_b64 v[22:23], v22, v[3:4]
	v_and_b32_e32 v90, 7, v22
; %bb.2929:                             ;   in Loop: Header=BB285_1571 Depth=1
	s_or_b32 exec_lo, exec_lo, s21
	v_lshlrev_b32_e32 v22, 8, v11
	v_lshl_add_u32 v23, v91, 10, 0x2000
	v_lshlrev_b32_e32 v90, 7, v90
	v_and_b32_e32 v22, 0x8000, v22
	v_and_b32_e32 v23, 0xfc00, v23
	v_or3_b32 v90, v22, v23, v90
.LBB285_2930:                           ;   in Loop: Header=BB285_1571 Depth=1
	s_or_b32 exec_lo, exec_lo, s20
.LBB285_2931:                           ;   in Loop: Header=BB285_1571 Depth=1
	s_or_b32 exec_lo, exec_lo, s19
.LBB285_2932:                           ;   in Loop: Header=BB285_1571 Depth=1
	s_or_b32 exec_lo, exec_lo, s18
	v_lshrrev_b16 v3, 8, v3
	v_mov_b32_e32 v91, 0
	s_mov_b32 s18, exec_lo
	v_cmpx_ne_u16_e32 0, v3
	s_cbranch_execz .LBB285_2940
; %bb.2933:                             ;   in Loop: Header=BB285_1571 Depth=1
	v_bfrev_b32_e32 v91, 1
	s_mov_b32 s19, exec_lo
	v_cmpx_ne_u16_e32 0x80, v3
	s_cbranch_execz .LBB285_2939
; %bb.2934:                             ;   in Loop: Header=BB285_1571 Depth=1
	v_and_b32_sdwa v93, v3, v81 dst_sel:DWORD dst_unused:UNUSED_PAD src0_sel:WORD_0 src1_sel:DWORD
	v_mov_b32_e32 v91, 0x7c010000
	s_mov_b32 s20, exec_lo
	v_cmpx_ne_u32_e32 0x7f, v93
	s_cbranch_execz .LBB285_2938
; %bb.2935:                             ;   in Loop: Header=BB285_1571 Depth=1
	v_and_b32_sdwa v91, v3, v82 dst_sel:DWORD dst_unused:UNUSED_PAD src0_sel:WORD_0 src1_sel:DWORD
	v_lshrrev_b32_e32 v92, 3, v93
	s_mov_b32 s21, exec_lo
	v_cmpx_gt_u32_e32 8, v93
; %bb.2936:                             ;   in Loop: Header=BB285_1571 Depth=1
	v_ffbh_u32_e32 v22, v91
	v_min_u32_e32 v91, 32, v22
	v_subrev_nc_u32_e32 v22, 28, v91
	v_sub_nc_u32_e32 v92, 29, v91
	v_lshlrev_b64 v[22:23], v22, v[3:4]
	v_and_b32_e32 v91, 7, v22
; %bb.2937:                             ;   in Loop: Header=BB285_1571 Depth=1
	s_or_b32 exec_lo, exec_lo, s21
	v_lshlrev_b32_sdwa v3, v83, v3 dst_sel:DWORD dst_unused:UNUSED_PAD src0_sel:DWORD src1_sel:WORD_0
	v_lshl_add_u32 v22, v92, 10, 0x2000
	v_and_or_b32 v3, 0x8000, v3, v22
	v_lshlrev_b32_e32 v22, 23, v91
	v_lshl_or_b32 v91, v3, 16, v22
.LBB285_2938:                           ;   in Loop: Header=BB285_1571 Depth=1
	s_or_b32 exec_lo, exec_lo, s20
.LBB285_2939:                           ;   in Loop: Header=BB285_1571 Depth=1
	s_or_b32 exec_lo, exec_lo, s19
.LBB285_2940:                           ;   in Loop: Header=BB285_1571 Depth=1
	s_or_b32 exec_lo, exec_lo, s18
	v_lshrrev_b32_e32 v3, 16, v11
	v_cmp_ne_u16_sdwa s4, v3, v4 src0_sel:BYTE_0 src1_sel:DWORD
	s_and_saveexec_b32 s18, s4
	s_cbranch_execz .LBB285_2948
; %bb.2941:                             ;   in Loop: Header=BB285_1571 Depth=1
	v_cmp_ne_u16_sdwa s4, v3, v80 src0_sel:BYTE_0 src1_sel:DWORD
	v_mov_b32_e32 v89, 0x8000
	s_and_saveexec_b32 s19, s4
	s_cbranch_execz .LBB285_2947
; %bb.2942:                             ;   in Loop: Header=BB285_1571 Depth=1
	v_bfe_u32 v93, v11, 16, 7
	v_mov_b32_e32 v89, 0x7c01
	s_mov_b32 s20, exec_lo
	v_cmpx_ne_u32_e32 0x7f, v93
	s_cbranch_execz .LBB285_2946
; %bb.2943:                             ;   in Loop: Header=BB285_1571 Depth=1
	v_and_b32_e32 v89, 7, v3
	v_lshrrev_b32_e32 v92, 3, v93
	s_mov_b32 s21, exec_lo
	v_cmpx_gt_u32_e32 8, v93
; %bb.2944:                             ;   in Loop: Header=BB285_1571 Depth=1
	v_ffbh_u32_e32 v22, v89
	v_min_u32_e32 v89, 32, v22
	v_subrev_nc_u32_e32 v22, 28, v89
	v_sub_nc_u32_e32 v92, 29, v89
	v_lshlrev_b64 v[22:23], v22, v[3:4]
	v_and_b32_e32 v89, 7, v22
; %bb.2945:                             ;   in Loop: Header=BB285_1571 Depth=1
	s_or_b32 exec_lo, exec_lo, s21
	v_lshlrev_b32_e32 v3, 8, v3
	v_lshl_add_u32 v22, v92, 10, 0x2000
	v_lshlrev_b32_e32 v23, 7, v89
	v_and_b32_e32 v3, 0x8000, v3
	v_and_b32_e32 v22, 0xfc00, v22
	v_or3_b32 v89, v3, v22, v23
.LBB285_2946:                           ;   in Loop: Header=BB285_1571 Depth=1
	s_or_b32 exec_lo, exec_lo, s20
.LBB285_2947:                           ;   in Loop: Header=BB285_1571 Depth=1
	s_or_b32 exec_lo, exec_lo, s19
.LBB285_2948:                           ;   in Loop: Header=BB285_1571 Depth=1
	s_or_b32 exec_lo, exec_lo, s18
	v_cmp_lt_u64_e64 s4, s[6:7], v[10:11]
	v_mov_b32_e32 v10, 0
	s_and_saveexec_b32 s18, s4
	s_cbranch_execz .LBB285_2956
; %bb.2949:                             ;   in Loop: Header=BB285_1571 Depth=1
	v_lshrrev_b32_e32 v3, 24, v11
	v_bfrev_b32_e32 v10, 1
	s_mov_b32 s19, exec_lo
	v_cmpx_ne_u32_e32 0x80, v3
	s_cbranch_execz .LBB285_2955
; %bb.2950:                             ;   in Loop: Header=BB285_1571 Depth=1
	v_and_b32_e32 v92, 0x7f, v3
	v_mov_b32_e32 v10, 0x7c010000
	s_mov_b32 s20, exec_lo
	v_cmpx_ne_u32_e32 0x7f, v92
	s_cbranch_execz .LBB285_2954
; %bb.2951:                             ;   in Loop: Header=BB285_1571 Depth=1
	v_and_b32_e32 v10, 7, v3
	v_lshrrev_b32_e32 v11, 3, v92
	s_mov_b32 s21, exec_lo
	v_cmpx_gt_u32_e32 8, v92
; %bb.2952:                             ;   in Loop: Header=BB285_1571 Depth=1
	v_ffbh_u32_e32 v10, v10
	v_min_u32_e32 v22, 32, v10
	v_subrev_nc_u32_e32 v10, 28, v22
	v_lshlrev_b64 v[10:11], v10, v[3:4]
	v_sub_nc_u32_e32 v11, 29, v22
	v_and_b32_e32 v10, 7, v10
; %bb.2953:                             ;   in Loop: Header=BB285_1571 Depth=1
	s_or_b32 exec_lo, exec_lo, s21
	v_lshlrev_b32_e32 v3, 8, v3
	v_lshl_add_u32 v11, v11, 10, 0x2000
	v_lshlrev_b32_e32 v10, 23, v10
	v_and_or_b32 v3, 0x8000, v3, v11
	v_lshl_or_b32 v10, v3, 16, v10
.LBB285_2954:                           ;   in Loop: Header=BB285_1571 Depth=1
	s_or_b32 exec_lo, exec_lo, s20
.LBB285_2955:                           ;   in Loop: Header=BB285_1571 Depth=1
	s_or_b32 exec_lo, exec_lo, s19
.LBB285_2956:                           ;   in Loop: Header=BB285_1571 Depth=1
	s_or_b32 exec_lo, exec_lo, s18
	v_or_b32_e32 v3, v79, v88
	s_waitcnt vmcnt(0) lgkmcnt(0)
	v_fma_mixlo_f16 v11, v39, v79, 0 op_sel:[0,1,0] op_sel_hi:[0,1,0]
	v_or_b32_e32 v22, v77, v78
	v_fma_mixlo_f16 v23, v39, v77, 0 op_sel:[0,1,0] op_sel_hi:[0,1,0]
	v_or_b32_e32 v77, v91, v90
	v_fma_mixlo_f16 v79, v39, v3, 0 op_sel_hi:[0,1,0]
	v_or_b32_e32 v88, v10, v89
	v_lshlrev_b32_e32 v3, 16, v11
	v_lshlrev_b32_e32 v78, 16, v23
	v_fma_mixlo_f16 v22, v39, v22, 0 op_sel_hi:[0,1,0]
	v_and_b32_e32 v11, 0xffff, v79
	v_fma_mixlo_f16 v23, v39, v91, 0 op_sel:[0,1,0] op_sel_hi:[0,1,0]
	v_fma_mixlo_f16 v77, v39, v77, 0 op_sel_hi:[0,1,0]
	v_fma_mixlo_f16 v10, v39, v10, 0 op_sel:[0,1,0] op_sel_hi:[0,1,0]
	v_fma_mixlo_f16 v79, v39, v88, 0 op_sel_hi:[0,1,0]
	v_and_b32_e32 v92, 0xffff, v22
	v_lshlrev_b32_e32 v39, 16, v23
	v_and_b32_e32 v88, 0xffff, v77
	v_lshlrev_b32_e32 v10, 16, v10
	v_and_b32_e32 v77, 0xffff, v79
	v_or_b32_e32 v79, v3, v11
	v_or_b32_e32 v91, v78, v92
	;; [unrolled: 1-line block ×4, first 2 shown]
	s_and_saveexec_b32 s18, vcc_lo
	s_cbranch_execz .LBB285_2958
; %bb.2957:                             ;   in Loop: Header=BB285_1571 Depth=1
	v_cmp_lt_i32_e64 s4, v86, v32
	v_cndmask_b32_e64 v22, 0, v92, s4
	v_cmp_lt_i32_e64 s4, v115, v32
	v_cndmask_b32_e64 v23, 0, v78, s4
	v_cmp_lt_i32_e64 s4, v114, v32
	v_or_b32_e32 v91, v22, v23
	v_cndmask_b32_e64 v11, 0, v11, s4
	v_cmp_lt_i32_e64 s4, v113, v32
	v_cndmask_b32_e64 v3, 0, v3, s4
	v_cmp_lt_i32_e64 s4, v112, v32
	v_or_b32_e32 v79, v11, v3
	;; [unrolled: 5-line block ×3, first 2 shown]
	v_cndmask_b32_e64 v77, 0, v77, s4
	v_cmp_lt_i32_e64 s4, v101, v32
	v_cndmask_b32_e64 v10, 0, v10, s4
	v_or_b32_e32 v89, v77, v10
.LBB285_2958:                           ;   in Loop: Header=BB285_1571 Depth=1
	s_or_b32 exec_lo, exec_lo, s18
	;;#ASMSTART
	v_pk_mul_f16 v3, v100, v91;

	;;#ASMEND
	;;#ASMSTART
	v_pk_mul_f16 v10, v99, v79;

	;;#ASMEND
	;; [unrolled: 4-line block ×4, first 2 shown]
	;;#ASMSTART
	v_pk_add_f16 v3, v3, v10;

	;;#ASMEND
	;;#ASMSTART
	v_pk_add_f16 v3, v3, v11;

	;;#ASMEND
	;; [unrolled: 4-line block ×3, first 2 shown]
	v_and_b32_e32 v10, 0xffff, v3
	v_lshrrev_b32_e32 v3, 16, v3
	;;#ASMSTART
	v_cvt_f32_f16 v39, v10;
	;;#ASMEND
	;;#ASMSTART
	v_cvt_f32_f16 v77, v3;
	;;#ASMEND
	flat_load_dwordx2 v[10:11], v[8:9] offset:1280
	flat_load_dword v78, v[109:110]
	v_mov_b32_e32 v79, 0
	v_mov_b32_e32 v88, 0
	s_waitcnt vmcnt(1) lgkmcnt(1)
	v_cmp_ne_u16_sdwa s4, v10, v4 src0_sel:BYTE_0 src1_sel:DWORD
	s_and_saveexec_b32 s18, s4
	s_cbranch_execz .LBB285_2966
; %bb.2959:                             ;   in Loop: Header=BB285_1571 Depth=1
	v_cmp_ne_u16_sdwa s4, v10, v80 src0_sel:BYTE_0 src1_sel:DWORD
	v_mov_b32_e32 v88, 0x8000
	s_and_saveexec_b32 s19, s4
	s_cbranch_execz .LBB285_2965
; %bb.2960:                             ;   in Loop: Header=BB285_1571 Depth=1
	v_and_b32_e32 v89, 0x7f, v10
	v_mov_b32_e32 v88, 0x7c01
	s_mov_b32 s20, exec_lo
	v_cmpx_ne_u32_e32 0x7f, v89
	s_cbranch_execz .LBB285_2964
; %bb.2961:                             ;   in Loop: Header=BB285_1571 Depth=1
	v_and_b32_e32 v3, 7, v10
	v_lshrrev_b32_e32 v88, 3, v89
	s_mov_b32 s21, exec_lo
	v_cmpx_gt_u32_e32 8, v89
; %bb.2962:                             ;   in Loop: Header=BB285_1571 Depth=1
	v_ffbh_u32_e32 v3, v3
	v_min_u32_e32 v3, 32, v3
	v_subrev_nc_u32_e32 v22, 28, v3
	v_sub_nc_u32_e32 v88, 29, v3
	v_lshlrev_b64 v[22:23], v22, v[10:11]
	v_and_b32_e32 v3, 7, v22
; %bb.2963:                             ;   in Loop: Header=BB285_1571 Depth=1
	s_or_b32 exec_lo, exec_lo, s21
	v_lshlrev_b32_e32 v22, 8, v10
	v_lshl_add_u32 v23, v88, 10, 0x2000
	v_lshlrev_b32_e32 v3, 7, v3
	v_and_b32_e32 v22, 0x8000, v22
	v_and_b32_e32 v23, 0xfc00, v23
	v_or3_b32 v88, v22, v23, v3
.LBB285_2964:                           ;   in Loop: Header=BB285_1571 Depth=1
	s_or_b32 exec_lo, exec_lo, s20
.LBB285_2965:                           ;   in Loop: Header=BB285_1571 Depth=1
	s_or_b32 exec_lo, exec_lo, s19
.LBB285_2966:                           ;   in Loop: Header=BB285_1571 Depth=1
	s_or_b32 exec_lo, exec_lo, s18
	v_lshrrev_b16 v3, 8, v10
	s_mov_b32 s18, exec_lo
	v_cmpx_ne_u16_e32 0, v3
	s_cbranch_execz .LBB285_2974
; %bb.2967:                             ;   in Loop: Header=BB285_1571 Depth=1
	v_bfrev_b32_e32 v79, 1
	s_mov_b32 s19, exec_lo
	v_cmpx_ne_u16_e32 0x80, v3
	s_cbranch_execz .LBB285_2973
; %bb.2968:                             ;   in Loop: Header=BB285_1571 Depth=1
	v_and_b32_sdwa v90, v3, v81 dst_sel:DWORD dst_unused:UNUSED_PAD src0_sel:WORD_0 src1_sel:DWORD
	v_mov_b32_e32 v79, 0x7c010000
	s_mov_b32 s20, exec_lo
	v_cmpx_ne_u32_e32 0x7f, v90
	s_cbranch_execz .LBB285_2972
; %bb.2969:                             ;   in Loop: Header=BB285_1571 Depth=1
	v_and_b32_sdwa v79, v3, v82 dst_sel:DWORD dst_unused:UNUSED_PAD src0_sel:WORD_0 src1_sel:DWORD
	v_lshrrev_b32_e32 v89, 3, v90
	s_mov_b32 s21, exec_lo
	v_cmpx_gt_u32_e32 8, v90
; %bb.2970:                             ;   in Loop: Header=BB285_1571 Depth=1
	v_ffbh_u32_e32 v22, v79
	v_min_u32_e32 v79, 32, v22
	v_subrev_nc_u32_e32 v22, 28, v79
	v_sub_nc_u32_e32 v89, 29, v79
	v_lshlrev_b64 v[22:23], v22, v[3:4]
	v_and_b32_e32 v79, 7, v22
; %bb.2971:                             ;   in Loop: Header=BB285_1571 Depth=1
	s_or_b32 exec_lo, exec_lo, s21
	v_lshlrev_b32_sdwa v3, v83, v3 dst_sel:DWORD dst_unused:UNUSED_PAD src0_sel:DWORD src1_sel:WORD_0
	v_lshl_add_u32 v22, v89, 10, 0x2000
	v_and_or_b32 v3, 0x8000, v3, v22
	v_lshlrev_b32_e32 v22, 23, v79
	v_lshl_or_b32 v79, v3, 16, v22
.LBB285_2972:                           ;   in Loop: Header=BB285_1571 Depth=1
	s_or_b32 exec_lo, exec_lo, s20
.LBB285_2973:                           ;   in Loop: Header=BB285_1571 Depth=1
	s_or_b32 exec_lo, exec_lo, s19
.LBB285_2974:                           ;   in Loop: Header=BB285_1571 Depth=1
	s_or_b32 exec_lo, exec_lo, s18
	v_lshrrev_b32_e32 v3, 16, v10
	v_mov_b32_e32 v89, 0
	v_mov_b32_e32 v90, 0
	v_cmp_ne_u16_sdwa s4, v3, v4 src0_sel:BYTE_0 src1_sel:DWORD
	s_and_saveexec_b32 s18, s4
	s_cbranch_execz .LBB285_2982
; %bb.2975:                             ;   in Loop: Header=BB285_1571 Depth=1
	v_cmp_ne_u16_sdwa s4, v3, v80 src0_sel:BYTE_0 src1_sel:DWORD
	v_mov_b32_e32 v90, 0x8000
	s_and_saveexec_b32 s19, s4
	s_cbranch_execz .LBB285_2981
; %bb.2976:                             ;   in Loop: Header=BB285_1571 Depth=1
	v_bfe_u32 v92, v10, 16, 7
	v_mov_b32_e32 v90, 0x7c01
	s_mov_b32 s20, exec_lo
	v_cmpx_ne_u32_e32 0x7f, v92
	s_cbranch_execz .LBB285_2980
; %bb.2977:                             ;   in Loop: Header=BB285_1571 Depth=1
	v_and_b32_e32 v90, 7, v3
	v_lshrrev_b32_e32 v91, 3, v92
	s_mov_b32 s21, exec_lo
	v_cmpx_gt_u32_e32 8, v92
; %bb.2978:                             ;   in Loop: Header=BB285_1571 Depth=1
	v_ffbh_u32_e32 v22, v90
	v_min_u32_e32 v90, 32, v22
	v_subrev_nc_u32_e32 v22, 28, v90
	v_sub_nc_u32_e32 v91, 29, v90
	v_lshlrev_b64 v[22:23], v22, v[3:4]
	v_and_b32_e32 v90, 7, v22
; %bb.2979:                             ;   in Loop: Header=BB285_1571 Depth=1
	s_or_b32 exec_lo, exec_lo, s21
	v_lshlrev_b32_e32 v3, 8, v3
	v_lshl_add_u32 v22, v91, 10, 0x2000
	v_lshlrev_b32_e32 v23, 7, v90
	v_and_b32_e32 v3, 0x8000, v3
	v_and_b32_e32 v22, 0xfc00, v22
	v_or3_b32 v90, v3, v22, v23
.LBB285_2980:                           ;   in Loop: Header=BB285_1571 Depth=1
	s_or_b32 exec_lo, exec_lo, s20
.LBB285_2981:                           ;   in Loop: Header=BB285_1571 Depth=1
	s_or_b32 exec_lo, exec_lo, s19
.LBB285_2982:                           ;   in Loop: Header=BB285_1571 Depth=1
	s_or_b32 exec_lo, exec_lo, s18
	s_mov_b32 s18, exec_lo
	v_cmpx_lt_u32_e32 0xffffff, v10
	s_cbranch_execz .LBB285_2990
; %bb.2983:                             ;   in Loop: Header=BB285_1571 Depth=1
	v_lshrrev_b32_e32 v3, 24, v10
	v_bfrev_b32_e32 v89, 1
	s_mov_b32 s19, exec_lo
	v_cmpx_ne_u32_e32 0x80, v3
	s_cbranch_execz .LBB285_2989
; %bb.2984:                             ;   in Loop: Header=BB285_1571 Depth=1
	v_and_b32_e32 v92, 0x7f, v3
	v_mov_b32_e32 v89, 0x7c010000
	s_mov_b32 s20, exec_lo
	v_cmpx_ne_u32_e32 0x7f, v92
	s_cbranch_execz .LBB285_2988
; %bb.2985:                             ;   in Loop: Header=BB285_1571 Depth=1
	v_and_b32_e32 v89, 7, v3
	v_lshrrev_b32_e32 v91, 3, v92
	s_mov_b32 s21, exec_lo
	v_cmpx_gt_u32_e32 8, v92
; %bb.2986:                             ;   in Loop: Header=BB285_1571 Depth=1
	v_ffbh_u32_e32 v22, v89
	v_min_u32_e32 v89, 32, v22
	v_subrev_nc_u32_e32 v22, 28, v89
	v_sub_nc_u32_e32 v91, 29, v89
	v_lshlrev_b64 v[22:23], v22, v[3:4]
	v_and_b32_e32 v89, 7, v22
; %bb.2987:                             ;   in Loop: Header=BB285_1571 Depth=1
	s_or_b32 exec_lo, exec_lo, s21
	v_lshlrev_b32_e32 v3, 8, v3
	v_lshl_add_u32 v22, v91, 10, 0x2000
	v_and_or_b32 v3, 0x8000, v3, v22
	v_lshlrev_b32_e32 v22, 23, v89
	v_lshl_or_b32 v89, v3, 16, v22
.LBB285_2988:                           ;   in Loop: Header=BB285_1571 Depth=1
	s_or_b32 exec_lo, exec_lo, s20
.LBB285_2989:                           ;   in Loop: Header=BB285_1571 Depth=1
	s_or_b32 exec_lo, exec_lo, s19
.LBB285_2990:                           ;   in Loop: Header=BB285_1571 Depth=1
	s_or_b32 exec_lo, exec_lo, s18
	v_mov_b32_e32 v3, v11
	v_cmp_ne_u16_sdwa s4, v11, v4 src0_sel:BYTE_0 src1_sel:DWORD
	v_mov_b32_e32 v91, 0
	v_mov_b32_e32 v92, 0
	s_and_saveexec_b32 s18, s4
	s_cbranch_execz .LBB285_2998
; %bb.2991:                             ;   in Loop: Header=BB285_1571 Depth=1
	v_cmp_ne_u16_sdwa s4, v11, v80 src0_sel:BYTE_0 src1_sel:DWORD
	v_mov_b32_e32 v92, 0x8000
	s_and_saveexec_b32 s19, s4
	s_cbranch_execz .LBB285_2997
; %bb.2992:                             ;   in Loop: Header=BB285_1571 Depth=1
	v_and_b32_e32 v94, 0x7f, v11
	v_mov_b32_e32 v92, 0x7c01
	s_mov_b32 s20, exec_lo
	v_cmpx_ne_u32_e32 0x7f, v94
	s_cbranch_execz .LBB285_2996
; %bb.2993:                             ;   in Loop: Header=BB285_1571 Depth=1
	v_and_b32_e32 v92, 7, v11
	v_lshrrev_b32_e32 v93, 3, v94
	s_mov_b32 s21, exec_lo
	v_cmpx_gt_u32_e32 8, v94
; %bb.2994:                             ;   in Loop: Header=BB285_1571 Depth=1
	v_ffbh_u32_e32 v22, v92
	v_min_u32_e32 v92, 32, v22
	v_subrev_nc_u32_e32 v22, 28, v92
	v_sub_nc_u32_e32 v93, 29, v92
	v_lshlrev_b64 v[22:23], v22, v[3:4]
	v_and_b32_e32 v92, 7, v22
; %bb.2995:                             ;   in Loop: Header=BB285_1571 Depth=1
	s_or_b32 exec_lo, exec_lo, s21
	v_lshlrev_b32_e32 v22, 8, v11
	v_lshl_add_u32 v23, v93, 10, 0x2000
	v_lshlrev_b32_e32 v92, 7, v92
	v_and_b32_e32 v22, 0x8000, v22
	v_and_b32_e32 v23, 0xfc00, v23
	v_or3_b32 v92, v22, v23, v92
.LBB285_2996:                           ;   in Loop: Header=BB285_1571 Depth=1
	s_or_b32 exec_lo, exec_lo, s20
.LBB285_2997:                           ;   in Loop: Header=BB285_1571 Depth=1
	s_or_b32 exec_lo, exec_lo, s19
.LBB285_2998:                           ;   in Loop: Header=BB285_1571 Depth=1
	s_or_b32 exec_lo, exec_lo, s18
	v_lshrrev_b16 v3, 8, v3
	v_mov_b32_e32 v93, 0
	s_mov_b32 s18, exec_lo
	v_cmpx_ne_u16_e32 0, v3
	s_cbranch_execz .LBB285_3006
; %bb.2999:                             ;   in Loop: Header=BB285_1571 Depth=1
	v_bfrev_b32_e32 v93, 1
	s_mov_b32 s19, exec_lo
	v_cmpx_ne_u16_e32 0x80, v3
	s_cbranch_execz .LBB285_3005
; %bb.3000:                             ;   in Loop: Header=BB285_1571 Depth=1
	v_and_b32_sdwa v95, v3, v81 dst_sel:DWORD dst_unused:UNUSED_PAD src0_sel:WORD_0 src1_sel:DWORD
	v_mov_b32_e32 v93, 0x7c010000
	s_mov_b32 s20, exec_lo
	v_cmpx_ne_u32_e32 0x7f, v95
	s_cbranch_execz .LBB285_3004
; %bb.3001:                             ;   in Loop: Header=BB285_1571 Depth=1
	v_and_b32_sdwa v93, v3, v82 dst_sel:DWORD dst_unused:UNUSED_PAD src0_sel:WORD_0 src1_sel:DWORD
	v_lshrrev_b32_e32 v94, 3, v95
	s_mov_b32 s21, exec_lo
	v_cmpx_gt_u32_e32 8, v95
; %bb.3002:                             ;   in Loop: Header=BB285_1571 Depth=1
	v_ffbh_u32_e32 v22, v93
	v_min_u32_e32 v93, 32, v22
	v_subrev_nc_u32_e32 v22, 28, v93
	v_sub_nc_u32_e32 v94, 29, v93
	v_lshlrev_b64 v[22:23], v22, v[3:4]
	v_and_b32_e32 v93, 7, v22
; %bb.3003:                             ;   in Loop: Header=BB285_1571 Depth=1
	s_or_b32 exec_lo, exec_lo, s21
	v_lshlrev_b32_sdwa v3, v83, v3 dst_sel:DWORD dst_unused:UNUSED_PAD src0_sel:DWORD src1_sel:WORD_0
	v_lshl_add_u32 v22, v94, 10, 0x2000
	v_and_or_b32 v3, 0x8000, v3, v22
	v_lshlrev_b32_e32 v22, 23, v93
	v_lshl_or_b32 v93, v3, 16, v22
.LBB285_3004:                           ;   in Loop: Header=BB285_1571 Depth=1
	s_or_b32 exec_lo, exec_lo, s20
.LBB285_3005:                           ;   in Loop: Header=BB285_1571 Depth=1
	s_or_b32 exec_lo, exec_lo, s19
.LBB285_3006:                           ;   in Loop: Header=BB285_1571 Depth=1
	s_or_b32 exec_lo, exec_lo, s18
	v_lshrrev_b32_e32 v3, 16, v11
	v_cmp_ne_u16_sdwa s4, v3, v4 src0_sel:BYTE_0 src1_sel:DWORD
	s_and_saveexec_b32 s18, s4
	s_cbranch_execz .LBB285_3014
; %bb.3007:                             ;   in Loop: Header=BB285_1571 Depth=1
	v_cmp_ne_u16_sdwa s4, v3, v80 src0_sel:BYTE_0 src1_sel:DWORD
	v_mov_b32_e32 v91, 0x8000
	s_and_saveexec_b32 s19, s4
	s_cbranch_execz .LBB285_3013
; %bb.3008:                             ;   in Loop: Header=BB285_1571 Depth=1
	v_bfe_u32 v95, v11, 16, 7
	v_mov_b32_e32 v91, 0x7c01
	s_mov_b32 s20, exec_lo
	v_cmpx_ne_u32_e32 0x7f, v95
	s_cbranch_execz .LBB285_3012
; %bb.3009:                             ;   in Loop: Header=BB285_1571 Depth=1
	v_and_b32_e32 v91, 7, v3
	v_lshrrev_b32_e32 v94, 3, v95
	s_mov_b32 s21, exec_lo
	v_cmpx_gt_u32_e32 8, v95
; %bb.3010:                             ;   in Loop: Header=BB285_1571 Depth=1
	v_ffbh_u32_e32 v22, v91
	v_min_u32_e32 v91, 32, v22
	v_subrev_nc_u32_e32 v22, 28, v91
	v_sub_nc_u32_e32 v94, 29, v91
	v_lshlrev_b64 v[22:23], v22, v[3:4]
	v_and_b32_e32 v91, 7, v22
; %bb.3011:                             ;   in Loop: Header=BB285_1571 Depth=1
	s_or_b32 exec_lo, exec_lo, s21
	v_lshlrev_b32_e32 v3, 8, v3
	v_lshl_add_u32 v22, v94, 10, 0x2000
	v_lshlrev_b32_e32 v23, 7, v91
	v_and_b32_e32 v3, 0x8000, v3
	v_and_b32_e32 v22, 0xfc00, v22
	v_or3_b32 v91, v3, v22, v23
.LBB285_3012:                           ;   in Loop: Header=BB285_1571 Depth=1
	s_or_b32 exec_lo, exec_lo, s20
.LBB285_3013:                           ;   in Loop: Header=BB285_1571 Depth=1
	s_or_b32 exec_lo, exec_lo, s19
.LBB285_3014:                           ;   in Loop: Header=BB285_1571 Depth=1
	s_or_b32 exec_lo, exec_lo, s18
	v_cmp_lt_u64_e64 s4, s[6:7], v[10:11]
	v_mov_b32_e32 v10, 0
	s_and_saveexec_b32 s18, s4
	s_cbranch_execz .LBB285_3022
; %bb.3015:                             ;   in Loop: Header=BB285_1571 Depth=1
	v_lshrrev_b32_e32 v3, 24, v11
	v_bfrev_b32_e32 v10, 1
	s_mov_b32 s19, exec_lo
	v_cmpx_ne_u32_e32 0x80, v3
	s_cbranch_execz .LBB285_3021
; %bb.3016:                             ;   in Loop: Header=BB285_1571 Depth=1
	v_and_b32_e32 v94, 0x7f, v3
	v_mov_b32_e32 v10, 0x7c010000
	s_mov_b32 s20, exec_lo
	v_cmpx_ne_u32_e32 0x7f, v94
	s_cbranch_execz .LBB285_3020
; %bb.3017:                             ;   in Loop: Header=BB285_1571 Depth=1
	v_and_b32_e32 v10, 7, v3
	v_lshrrev_b32_e32 v11, 3, v94
	s_mov_b32 s21, exec_lo
	v_cmpx_gt_u32_e32 8, v94
; %bb.3018:                             ;   in Loop: Header=BB285_1571 Depth=1
	v_ffbh_u32_e32 v10, v10
	v_min_u32_e32 v22, 32, v10
	v_subrev_nc_u32_e32 v10, 28, v22
	v_lshlrev_b64 v[10:11], v10, v[3:4]
	v_sub_nc_u32_e32 v11, 29, v22
	v_and_b32_e32 v10, 7, v10
; %bb.3019:                             ;   in Loop: Header=BB285_1571 Depth=1
	s_or_b32 exec_lo, exec_lo, s21
	v_lshlrev_b32_e32 v3, 8, v3
	v_lshl_add_u32 v11, v11, 10, 0x2000
	v_lshlrev_b32_e32 v10, 23, v10
	v_and_or_b32 v3, 0x8000, v3, v11
	v_lshl_or_b32 v10, v3, 16, v10
.LBB285_3020:                           ;   in Loop: Header=BB285_1571 Depth=1
	s_or_b32 exec_lo, exec_lo, s20
.LBB285_3021:                           ;   in Loop: Header=BB285_1571 Depth=1
	s_or_b32 exec_lo, exec_lo, s19
.LBB285_3022:                           ;   in Loop: Header=BB285_1571 Depth=1
	s_or_b32 exec_lo, exec_lo, s18
	v_or_b32_e32 v3, v89, v90
	s_waitcnt vmcnt(0) lgkmcnt(0)
	v_fma_mixlo_f16 v11, v78, v89, 0 op_sel:[0,1,0] op_sel_hi:[0,1,0]
	v_or_b32_e32 v22, v79, v88
	v_fma_mixlo_f16 v23, v78, v79, 0 op_sel:[0,1,0] op_sel_hi:[0,1,0]
	v_or_b32_e32 v79, v93, v92
	v_fma_mixlo_f16 v89, v78, v3, 0 op_sel_hi:[0,1,0]
	v_or_b32_e32 v90, v10, v91
	v_lshlrev_b32_e32 v3, 16, v11
	v_lshlrev_b32_e32 v88, 16, v23
	v_fma_mixlo_f16 v22, v78, v22, 0 op_sel_hi:[0,1,0]
	v_and_b32_e32 v11, 0xffff, v89
	v_fma_mixlo_f16 v23, v78, v93, 0 op_sel:[0,1,0] op_sel_hi:[0,1,0]
	v_fma_mixlo_f16 v79, v78, v79, 0 op_sel_hi:[0,1,0]
	v_fma_mixlo_f16 v10, v78, v10, 0 op_sel:[0,1,0] op_sel_hi:[0,1,0]
	v_fma_mixlo_f16 v89, v78, v90, 0 op_sel_hi:[0,1,0]
	v_and_b32_e32 v94, 0xffff, v22
	v_lshlrev_b32_e32 v78, 16, v23
	v_and_b32_e32 v90, 0xffff, v79
	v_lshlrev_b32_e32 v10, 16, v10
	v_and_b32_e32 v79, 0xffff, v89
	v_or_b32_e32 v89, v3, v11
	v_or_b32_e32 v93, v88, v94
	;; [unrolled: 1-line block ×4, first 2 shown]
	s_and_saveexec_b32 s18, vcc_lo
	s_cbranch_execz .LBB285_3024
; %bb.3023:                             ;   in Loop: Header=BB285_1571 Depth=1
	v_cmp_lt_i32_e64 s4, v86, v32
	v_cndmask_b32_e64 v22, 0, v94, s4
	v_cmp_lt_i32_e64 s4, v115, v32
	v_cndmask_b32_e64 v23, 0, v88, s4
	v_cmp_lt_i32_e64 s4, v114, v32
	v_or_b32_e32 v93, v22, v23
	v_cndmask_b32_e64 v11, 0, v11, s4
	v_cmp_lt_i32_e64 s4, v113, v32
	v_cndmask_b32_e64 v3, 0, v3, s4
	v_cmp_lt_i32_e64 s4, v112, v32
	v_or_b32_e32 v89, v11, v3
	;; [unrolled: 5-line block ×3, first 2 shown]
	v_cndmask_b32_e64 v79, 0, v79, s4
	v_cmp_lt_i32_e64 s4, v101, v32
	v_cndmask_b32_e64 v10, 0, v10, s4
	v_or_b32_e32 v91, v79, v10
.LBB285_3024:                           ;   in Loop: Header=BB285_1571 Depth=1
	s_or_b32 exec_lo, exec_lo, s18
	;;#ASMSTART
	v_pk_mul_f16 v3, v100, v93;

	;;#ASMEND
	;;#ASMSTART
	v_pk_mul_f16 v10, v99, v89;

	;;#ASMEND
	;;#ASMSTART
	v_pk_mul_f16 v11, v98, v92;

	;;#ASMEND
	;;#ASMSTART
	v_pk_mul_f16 v22, v97, v91;

	;;#ASMEND
	;;#ASMSTART
	v_pk_add_f16 v3, v3, v10;

	;;#ASMEND
	;;#ASMSTART
	v_pk_add_f16 v3, v3, v11;

	;;#ASMEND
	;; [unrolled: 4-line block ×3, first 2 shown]
	v_and_b32_e32 v10, 0xffff, v3
	v_lshrrev_b32_e32 v3, 16, v3
	;;#ASMSTART
	v_cvt_f32_f16 v78, v10;
	;;#ASMEND
	;;#ASMSTART
	v_cvt_f32_f16 v79, v3;
	;;#ASMEND
	flat_load_dwordx2 v[10:11], v[8:9] offset:1536
	flat_load_dword v88, v[109:110]
	v_mov_b32_e32 v89, 0
	v_mov_b32_e32 v90, 0
	s_waitcnt vmcnt(1) lgkmcnt(1)
	v_cmp_ne_u16_sdwa s4, v10, v4 src0_sel:BYTE_0 src1_sel:DWORD
	s_and_saveexec_b32 s18, s4
	s_cbranch_execz .LBB285_3032
; %bb.3025:                             ;   in Loop: Header=BB285_1571 Depth=1
	v_cmp_ne_u16_sdwa s4, v10, v80 src0_sel:BYTE_0 src1_sel:DWORD
	v_mov_b32_e32 v90, 0x8000
	s_and_saveexec_b32 s19, s4
	s_cbranch_execz .LBB285_3031
; %bb.3026:                             ;   in Loop: Header=BB285_1571 Depth=1
	v_and_b32_e32 v91, 0x7f, v10
	v_mov_b32_e32 v90, 0x7c01
	s_mov_b32 s20, exec_lo
	v_cmpx_ne_u32_e32 0x7f, v91
	s_cbranch_execz .LBB285_3030
; %bb.3027:                             ;   in Loop: Header=BB285_1571 Depth=1
	v_and_b32_e32 v3, 7, v10
	v_lshrrev_b32_e32 v90, 3, v91
	s_mov_b32 s21, exec_lo
	v_cmpx_gt_u32_e32 8, v91
; %bb.3028:                             ;   in Loop: Header=BB285_1571 Depth=1
	v_ffbh_u32_e32 v3, v3
	v_min_u32_e32 v3, 32, v3
	v_subrev_nc_u32_e32 v22, 28, v3
	v_sub_nc_u32_e32 v90, 29, v3
	v_lshlrev_b64 v[22:23], v22, v[10:11]
	v_and_b32_e32 v3, 7, v22
; %bb.3029:                             ;   in Loop: Header=BB285_1571 Depth=1
	s_or_b32 exec_lo, exec_lo, s21
	v_lshlrev_b32_e32 v22, 8, v10
	v_lshl_add_u32 v23, v90, 10, 0x2000
	v_lshlrev_b32_e32 v3, 7, v3
	v_and_b32_e32 v22, 0x8000, v22
	v_and_b32_e32 v23, 0xfc00, v23
	v_or3_b32 v90, v22, v23, v3
.LBB285_3030:                           ;   in Loop: Header=BB285_1571 Depth=1
	s_or_b32 exec_lo, exec_lo, s20
.LBB285_3031:                           ;   in Loop: Header=BB285_1571 Depth=1
	s_or_b32 exec_lo, exec_lo, s19
.LBB285_3032:                           ;   in Loop: Header=BB285_1571 Depth=1
	s_or_b32 exec_lo, exec_lo, s18
	v_lshrrev_b16 v3, 8, v10
	s_mov_b32 s18, exec_lo
	v_cmpx_ne_u16_e32 0, v3
	s_cbranch_execz .LBB285_3040
; %bb.3033:                             ;   in Loop: Header=BB285_1571 Depth=1
	v_bfrev_b32_e32 v89, 1
	s_mov_b32 s19, exec_lo
	v_cmpx_ne_u16_e32 0x80, v3
	s_cbranch_execz .LBB285_3039
; %bb.3034:                             ;   in Loop: Header=BB285_1571 Depth=1
	v_and_b32_sdwa v92, v3, v81 dst_sel:DWORD dst_unused:UNUSED_PAD src0_sel:WORD_0 src1_sel:DWORD
	v_mov_b32_e32 v89, 0x7c010000
	s_mov_b32 s20, exec_lo
	v_cmpx_ne_u32_e32 0x7f, v92
	s_cbranch_execz .LBB285_3038
; %bb.3035:                             ;   in Loop: Header=BB285_1571 Depth=1
	v_and_b32_sdwa v89, v3, v82 dst_sel:DWORD dst_unused:UNUSED_PAD src0_sel:WORD_0 src1_sel:DWORD
	v_lshrrev_b32_e32 v91, 3, v92
	s_mov_b32 s21, exec_lo
	v_cmpx_gt_u32_e32 8, v92
; %bb.3036:                             ;   in Loop: Header=BB285_1571 Depth=1
	v_ffbh_u32_e32 v22, v89
	v_min_u32_e32 v89, 32, v22
	v_subrev_nc_u32_e32 v22, 28, v89
	v_sub_nc_u32_e32 v91, 29, v89
	v_lshlrev_b64 v[22:23], v22, v[3:4]
	v_and_b32_e32 v89, 7, v22
; %bb.3037:                             ;   in Loop: Header=BB285_1571 Depth=1
	s_or_b32 exec_lo, exec_lo, s21
	v_lshlrev_b32_sdwa v3, v83, v3 dst_sel:DWORD dst_unused:UNUSED_PAD src0_sel:DWORD src1_sel:WORD_0
	v_lshl_add_u32 v22, v91, 10, 0x2000
	v_and_or_b32 v3, 0x8000, v3, v22
	v_lshlrev_b32_e32 v22, 23, v89
	v_lshl_or_b32 v89, v3, 16, v22
.LBB285_3038:                           ;   in Loop: Header=BB285_1571 Depth=1
	s_or_b32 exec_lo, exec_lo, s20
.LBB285_3039:                           ;   in Loop: Header=BB285_1571 Depth=1
	s_or_b32 exec_lo, exec_lo, s19
.LBB285_3040:                           ;   in Loop: Header=BB285_1571 Depth=1
	s_or_b32 exec_lo, exec_lo, s18
	v_lshrrev_b32_e32 v3, 16, v10
	v_mov_b32_e32 v91, 0
	v_mov_b32_e32 v92, 0
	v_cmp_ne_u16_sdwa s4, v3, v4 src0_sel:BYTE_0 src1_sel:DWORD
	s_and_saveexec_b32 s18, s4
	s_cbranch_execz .LBB285_3048
; %bb.3041:                             ;   in Loop: Header=BB285_1571 Depth=1
	v_cmp_ne_u16_sdwa s4, v3, v80 src0_sel:BYTE_0 src1_sel:DWORD
	v_mov_b32_e32 v92, 0x8000
	s_and_saveexec_b32 s19, s4
	s_cbranch_execz .LBB285_3047
; %bb.3042:                             ;   in Loop: Header=BB285_1571 Depth=1
	v_bfe_u32 v94, v10, 16, 7
	v_mov_b32_e32 v92, 0x7c01
	s_mov_b32 s20, exec_lo
	v_cmpx_ne_u32_e32 0x7f, v94
	s_cbranch_execz .LBB285_3046
; %bb.3043:                             ;   in Loop: Header=BB285_1571 Depth=1
	v_and_b32_e32 v92, 7, v3
	v_lshrrev_b32_e32 v93, 3, v94
	s_mov_b32 s21, exec_lo
	v_cmpx_gt_u32_e32 8, v94
; %bb.3044:                             ;   in Loop: Header=BB285_1571 Depth=1
	v_ffbh_u32_e32 v22, v92
	v_min_u32_e32 v92, 32, v22
	v_subrev_nc_u32_e32 v22, 28, v92
	v_sub_nc_u32_e32 v93, 29, v92
	v_lshlrev_b64 v[22:23], v22, v[3:4]
	v_and_b32_e32 v92, 7, v22
; %bb.3045:                             ;   in Loop: Header=BB285_1571 Depth=1
	s_or_b32 exec_lo, exec_lo, s21
	v_lshlrev_b32_e32 v3, 8, v3
	v_lshl_add_u32 v22, v93, 10, 0x2000
	v_lshlrev_b32_e32 v23, 7, v92
	v_and_b32_e32 v3, 0x8000, v3
	v_and_b32_e32 v22, 0xfc00, v22
	v_or3_b32 v92, v3, v22, v23
.LBB285_3046:                           ;   in Loop: Header=BB285_1571 Depth=1
	s_or_b32 exec_lo, exec_lo, s20
.LBB285_3047:                           ;   in Loop: Header=BB285_1571 Depth=1
	s_or_b32 exec_lo, exec_lo, s19
.LBB285_3048:                           ;   in Loop: Header=BB285_1571 Depth=1
	s_or_b32 exec_lo, exec_lo, s18
	s_mov_b32 s18, exec_lo
	v_cmpx_lt_u32_e32 0xffffff, v10
	s_cbranch_execz .LBB285_3056
; %bb.3049:                             ;   in Loop: Header=BB285_1571 Depth=1
	v_lshrrev_b32_e32 v3, 24, v10
	v_bfrev_b32_e32 v91, 1
	s_mov_b32 s19, exec_lo
	v_cmpx_ne_u32_e32 0x80, v3
	s_cbranch_execz .LBB285_3055
; %bb.3050:                             ;   in Loop: Header=BB285_1571 Depth=1
	v_and_b32_e32 v94, 0x7f, v3
	v_mov_b32_e32 v91, 0x7c010000
	s_mov_b32 s20, exec_lo
	v_cmpx_ne_u32_e32 0x7f, v94
	s_cbranch_execz .LBB285_3054
; %bb.3051:                             ;   in Loop: Header=BB285_1571 Depth=1
	v_and_b32_e32 v91, 7, v3
	v_lshrrev_b32_e32 v93, 3, v94
	s_mov_b32 s21, exec_lo
	v_cmpx_gt_u32_e32 8, v94
; %bb.3052:                             ;   in Loop: Header=BB285_1571 Depth=1
	v_ffbh_u32_e32 v22, v91
	v_min_u32_e32 v91, 32, v22
	v_subrev_nc_u32_e32 v22, 28, v91
	v_sub_nc_u32_e32 v93, 29, v91
	v_lshlrev_b64 v[22:23], v22, v[3:4]
	v_and_b32_e32 v91, 7, v22
; %bb.3053:                             ;   in Loop: Header=BB285_1571 Depth=1
	s_or_b32 exec_lo, exec_lo, s21
	v_lshlrev_b32_e32 v3, 8, v3
	v_lshl_add_u32 v22, v93, 10, 0x2000
	v_and_or_b32 v3, 0x8000, v3, v22
	v_lshlrev_b32_e32 v22, 23, v91
	v_lshl_or_b32 v91, v3, 16, v22
.LBB285_3054:                           ;   in Loop: Header=BB285_1571 Depth=1
	s_or_b32 exec_lo, exec_lo, s20
.LBB285_3055:                           ;   in Loop: Header=BB285_1571 Depth=1
	s_or_b32 exec_lo, exec_lo, s19
.LBB285_3056:                           ;   in Loop: Header=BB285_1571 Depth=1
	s_or_b32 exec_lo, exec_lo, s18
	v_mov_b32_e32 v3, v11
	v_cmp_ne_u16_sdwa s4, v11, v4 src0_sel:BYTE_0 src1_sel:DWORD
	v_mov_b32_e32 v93, 0
	v_mov_b32_e32 v94, 0
	s_and_saveexec_b32 s18, s4
	s_cbranch_execz .LBB285_3064
; %bb.3057:                             ;   in Loop: Header=BB285_1571 Depth=1
	v_cmp_ne_u16_sdwa s4, v11, v80 src0_sel:BYTE_0 src1_sel:DWORD
	v_mov_b32_e32 v94, 0x8000
	s_and_saveexec_b32 s19, s4
	s_cbranch_execz .LBB285_3063
; %bb.3058:                             ;   in Loop: Header=BB285_1571 Depth=1
	v_and_b32_e32 v104, 0x7f, v11
	v_mov_b32_e32 v94, 0x7c01
	s_mov_b32 s20, exec_lo
	v_cmpx_ne_u32_e32 0x7f, v104
	s_cbranch_execz .LBB285_3062
; %bb.3059:                             ;   in Loop: Header=BB285_1571 Depth=1
	v_and_b32_e32 v94, 7, v11
	v_lshrrev_b32_e32 v95, 3, v104
	s_mov_b32 s21, exec_lo
	v_cmpx_gt_u32_e32 8, v104
; %bb.3060:                             ;   in Loop: Header=BB285_1571 Depth=1
	v_ffbh_u32_e32 v22, v94
	v_min_u32_e32 v94, 32, v22
	v_subrev_nc_u32_e32 v22, 28, v94
	v_sub_nc_u32_e32 v95, 29, v94
	v_lshlrev_b64 v[22:23], v22, v[3:4]
	v_and_b32_e32 v94, 7, v22
; %bb.3061:                             ;   in Loop: Header=BB285_1571 Depth=1
	s_or_b32 exec_lo, exec_lo, s21
	v_lshlrev_b32_e32 v22, 8, v11
	v_lshl_add_u32 v23, v95, 10, 0x2000
	v_lshlrev_b32_e32 v94, 7, v94
	v_and_b32_e32 v22, 0x8000, v22
	v_and_b32_e32 v23, 0xfc00, v23
	v_or3_b32 v94, v22, v23, v94
.LBB285_3062:                           ;   in Loop: Header=BB285_1571 Depth=1
	s_or_b32 exec_lo, exec_lo, s20
.LBB285_3063:                           ;   in Loop: Header=BB285_1571 Depth=1
	s_or_b32 exec_lo, exec_lo, s19
.LBB285_3064:                           ;   in Loop: Header=BB285_1571 Depth=1
	s_or_b32 exec_lo, exec_lo, s18
	v_lshrrev_b16 v3, 8, v3
	v_mov_b32_e32 v95, 0
	s_mov_b32 s18, exec_lo
	v_cmpx_ne_u16_e32 0, v3
	s_cbranch_execz .LBB285_3072
; %bb.3065:                             ;   in Loop: Header=BB285_1571 Depth=1
	v_bfrev_b32_e32 v95, 1
	s_mov_b32 s19, exec_lo
	v_cmpx_ne_u16_e32 0x80, v3
	s_cbranch_execz .LBB285_3071
; %bb.3066:                             ;   in Loop: Header=BB285_1571 Depth=1
	v_and_b32_sdwa v105, v3, v81 dst_sel:DWORD dst_unused:UNUSED_PAD src0_sel:WORD_0 src1_sel:DWORD
	v_mov_b32_e32 v95, 0x7c010000
	s_mov_b32 s20, exec_lo
	v_cmpx_ne_u32_e32 0x7f, v105
	s_cbranch_execz .LBB285_3070
; %bb.3067:                             ;   in Loop: Header=BB285_1571 Depth=1
	v_and_b32_sdwa v95, v3, v82 dst_sel:DWORD dst_unused:UNUSED_PAD src0_sel:WORD_0 src1_sel:DWORD
	v_lshrrev_b32_e32 v104, 3, v105
	s_mov_b32 s21, exec_lo
	v_cmpx_gt_u32_e32 8, v105
; %bb.3068:                             ;   in Loop: Header=BB285_1571 Depth=1
	v_ffbh_u32_e32 v22, v95
	v_min_u32_e32 v95, 32, v22
	v_subrev_nc_u32_e32 v22, 28, v95
	v_sub_nc_u32_e32 v104, 29, v95
	v_lshlrev_b64 v[22:23], v22, v[3:4]
	v_and_b32_e32 v95, 7, v22
; %bb.3069:                             ;   in Loop: Header=BB285_1571 Depth=1
	s_or_b32 exec_lo, exec_lo, s21
	v_lshlrev_b32_sdwa v3, v83, v3 dst_sel:DWORD dst_unused:UNUSED_PAD src0_sel:DWORD src1_sel:WORD_0
	v_lshl_add_u32 v22, v104, 10, 0x2000
	v_and_or_b32 v3, 0x8000, v3, v22
	v_lshlrev_b32_e32 v22, 23, v95
	v_lshl_or_b32 v95, v3, 16, v22
.LBB285_3070:                           ;   in Loop: Header=BB285_1571 Depth=1
	s_or_b32 exec_lo, exec_lo, s20
.LBB285_3071:                           ;   in Loop: Header=BB285_1571 Depth=1
	s_or_b32 exec_lo, exec_lo, s19
.LBB285_3072:                           ;   in Loop: Header=BB285_1571 Depth=1
	s_or_b32 exec_lo, exec_lo, s18
	v_lshrrev_b32_e32 v3, 16, v11
	v_cmp_ne_u16_sdwa s4, v3, v4 src0_sel:BYTE_0 src1_sel:DWORD
	s_and_saveexec_b32 s18, s4
	s_cbranch_execz .LBB285_3080
; %bb.3073:                             ;   in Loop: Header=BB285_1571 Depth=1
	v_cmp_ne_u16_sdwa s4, v3, v80 src0_sel:BYTE_0 src1_sel:DWORD
	v_mov_b32_e32 v93, 0x8000
	s_and_saveexec_b32 s19, s4
	s_cbranch_execz .LBB285_3079
; %bb.3074:                             ;   in Loop: Header=BB285_1571 Depth=1
	v_bfe_u32 v105, v11, 16, 7
	v_mov_b32_e32 v93, 0x7c01
	s_mov_b32 s20, exec_lo
	v_cmpx_ne_u32_e32 0x7f, v105
	s_cbranch_execz .LBB285_3078
; %bb.3075:                             ;   in Loop: Header=BB285_1571 Depth=1
	v_and_b32_e32 v93, 7, v3
	v_lshrrev_b32_e32 v104, 3, v105
	s_mov_b32 s21, exec_lo
	v_cmpx_gt_u32_e32 8, v105
; %bb.3076:                             ;   in Loop: Header=BB285_1571 Depth=1
	v_ffbh_u32_e32 v22, v93
	v_min_u32_e32 v93, 32, v22
	v_subrev_nc_u32_e32 v22, 28, v93
	v_sub_nc_u32_e32 v104, 29, v93
	v_lshlrev_b64 v[22:23], v22, v[3:4]
	v_and_b32_e32 v93, 7, v22
; %bb.3077:                             ;   in Loop: Header=BB285_1571 Depth=1
	s_or_b32 exec_lo, exec_lo, s21
	v_lshlrev_b32_e32 v3, 8, v3
	v_lshl_add_u32 v22, v104, 10, 0x2000
	v_lshlrev_b32_e32 v23, 7, v93
	v_and_b32_e32 v3, 0x8000, v3
	v_and_b32_e32 v22, 0xfc00, v22
	v_or3_b32 v93, v3, v22, v23
.LBB285_3078:                           ;   in Loop: Header=BB285_1571 Depth=1
	s_or_b32 exec_lo, exec_lo, s20
.LBB285_3079:                           ;   in Loop: Header=BB285_1571 Depth=1
	s_or_b32 exec_lo, exec_lo, s19
.LBB285_3080:                           ;   in Loop: Header=BB285_1571 Depth=1
	s_or_b32 exec_lo, exec_lo, s18
	v_cmp_lt_u64_e64 s4, s[6:7], v[10:11]
	v_mov_b32_e32 v10, 0
	s_and_saveexec_b32 s18, s4
	s_cbranch_execz .LBB285_3088
; %bb.3081:                             ;   in Loop: Header=BB285_1571 Depth=1
	v_lshrrev_b32_e32 v3, 24, v11
	v_bfrev_b32_e32 v10, 1
	s_mov_b32 s19, exec_lo
	v_cmpx_ne_u32_e32 0x80, v3
	s_cbranch_execz .LBB285_3087
; %bb.3082:                             ;   in Loop: Header=BB285_1571 Depth=1
	v_and_b32_e32 v104, 0x7f, v3
	v_mov_b32_e32 v10, 0x7c010000
	s_mov_b32 s20, exec_lo
	v_cmpx_ne_u32_e32 0x7f, v104
	s_cbranch_execz .LBB285_3086
; %bb.3083:                             ;   in Loop: Header=BB285_1571 Depth=1
	v_and_b32_e32 v10, 7, v3
	v_lshrrev_b32_e32 v11, 3, v104
	s_mov_b32 s21, exec_lo
	v_cmpx_gt_u32_e32 8, v104
; %bb.3084:                             ;   in Loop: Header=BB285_1571 Depth=1
	v_ffbh_u32_e32 v10, v10
	v_min_u32_e32 v22, 32, v10
	v_subrev_nc_u32_e32 v10, 28, v22
	v_lshlrev_b64 v[10:11], v10, v[3:4]
	v_sub_nc_u32_e32 v11, 29, v22
	v_and_b32_e32 v10, 7, v10
; %bb.3085:                             ;   in Loop: Header=BB285_1571 Depth=1
	s_or_b32 exec_lo, exec_lo, s21
	v_lshlrev_b32_e32 v3, 8, v3
	v_lshl_add_u32 v11, v11, 10, 0x2000
	v_lshlrev_b32_e32 v10, 23, v10
	v_and_or_b32 v3, 0x8000, v3, v11
	v_lshl_or_b32 v10, v3, 16, v10
.LBB285_3086:                           ;   in Loop: Header=BB285_1571 Depth=1
	s_or_b32 exec_lo, exec_lo, s20
.LBB285_3087:                           ;   in Loop: Header=BB285_1571 Depth=1
	s_or_b32 exec_lo, exec_lo, s19
.LBB285_3088:                           ;   in Loop: Header=BB285_1571 Depth=1
	s_or_b32 exec_lo, exec_lo, s18
	v_or_b32_e32 v3, v91, v92
	s_waitcnt vmcnt(0) lgkmcnt(0)
	v_fma_mixlo_f16 v11, v88, v91, 0 op_sel:[0,1,0] op_sel_hi:[0,1,0]
	v_or_b32_e32 v22, v89, v90
	v_fma_mixlo_f16 v23, v88, v89, 0 op_sel:[0,1,0] op_sel_hi:[0,1,0]
	v_or_b32_e32 v89, v95, v94
	v_fma_mixlo_f16 v91, v88, v3, 0 op_sel_hi:[0,1,0]
	v_or_b32_e32 v92, v10, v93
	v_lshlrev_b32_e32 v3, 16, v11
	v_lshlrev_b32_e32 v90, 16, v23
	v_fma_mixlo_f16 v22, v88, v22, 0 op_sel_hi:[0,1,0]
	v_and_b32_e32 v11, 0xffff, v91
	v_fma_mixlo_f16 v23, v88, v95, 0 op_sel:[0,1,0] op_sel_hi:[0,1,0]
	v_fma_mixlo_f16 v89, v88, v89, 0 op_sel_hi:[0,1,0]
	v_fma_mixlo_f16 v10, v88, v10, 0 op_sel:[0,1,0] op_sel_hi:[0,1,0]
	v_fma_mixlo_f16 v91, v88, v92, 0 op_sel_hi:[0,1,0]
	v_and_b32_e32 v104, 0xffff, v22
	v_lshlrev_b32_e32 v88, 16, v23
	v_and_b32_e32 v92, 0xffff, v89
	v_lshlrev_b32_e32 v10, 16, v10
	v_and_b32_e32 v89, 0xffff, v91
	v_or_b32_e32 v91, v3, v11
	v_or_b32_e32 v95, v90, v104
	;; [unrolled: 1-line block ×4, first 2 shown]
	s_and_saveexec_b32 s18, vcc_lo
	s_cbranch_execz .LBB285_3090
; %bb.3089:                             ;   in Loop: Header=BB285_1571 Depth=1
	v_cmp_lt_i32_e64 s4, v86, v32
	v_cndmask_b32_e64 v22, 0, v104, s4
	v_cmp_lt_i32_e64 s4, v115, v32
	v_cndmask_b32_e64 v23, 0, v90, s4
	v_cmp_lt_i32_e64 s4, v114, v32
	v_or_b32_e32 v95, v22, v23
	v_cndmask_b32_e64 v11, 0, v11, s4
	v_cmp_lt_i32_e64 s4, v113, v32
	v_cndmask_b32_e64 v3, 0, v3, s4
	v_cmp_lt_i32_e64 s4, v112, v32
	v_or_b32_e32 v91, v11, v3
	;; [unrolled: 5-line block ×3, first 2 shown]
	v_cndmask_b32_e64 v89, 0, v89, s4
	v_cmp_lt_i32_e64 s4, v101, v32
	v_cndmask_b32_e64 v10, 0, v10, s4
	v_or_b32_e32 v93, v89, v10
.LBB285_3090:                           ;   in Loop: Header=BB285_1571 Depth=1
	s_or_b32 exec_lo, exec_lo, s18
	;;#ASMSTART
	v_pk_mul_f16 v3, v100, v95;

	;;#ASMEND
	;;#ASMSTART
	v_pk_mul_f16 v10, v99, v91;

	;;#ASMEND
	;; [unrolled: 4-line block ×4, first 2 shown]
	;;#ASMSTART
	v_pk_add_f16 v3, v3, v10;

	;;#ASMEND
	;;#ASMSTART
	v_pk_add_f16 v3, v3, v11;

	;;#ASMEND
	;; [unrolled: 4-line block ×3, first 2 shown]
	v_and_b32_e32 v10, 0xffff, v3
	v_lshrrev_b32_e32 v3, 16, v3
	;;#ASMSTART
	v_cvt_f32_f16 v10, v10;
	;;#ASMEND
	;;#ASMSTART
	v_cvt_f32_f16 v11, v3;
	;;#ASMEND
	flat_load_dwordx2 v[8:9], v[8:9] offset:1792
	flat_load_dword v88, v[109:110]
	v_mov_b32_e32 v89, 0
	v_mov_b32_e32 v90, 0
	s_waitcnt vmcnt(1) lgkmcnt(1)
	v_cmp_ne_u16_sdwa s4, v8, v4 src0_sel:BYTE_0 src1_sel:DWORD
	s_and_saveexec_b32 s18, s4
	s_cbranch_execz .LBB285_3098
; %bb.3091:                             ;   in Loop: Header=BB285_1571 Depth=1
	v_cmp_ne_u16_sdwa s4, v8, v80 src0_sel:BYTE_0 src1_sel:DWORD
	v_mov_b32_e32 v90, 0x8000
	s_and_saveexec_b32 s19, s4
	s_cbranch_execz .LBB285_3097
; %bb.3092:                             ;   in Loop: Header=BB285_1571 Depth=1
	v_and_b32_e32 v91, 0x7f, v8
	v_mov_b32_e32 v90, 0x7c01
	s_mov_b32 s20, exec_lo
	v_cmpx_ne_u32_e32 0x7f, v91
	s_cbranch_execz .LBB285_3096
; %bb.3093:                             ;   in Loop: Header=BB285_1571 Depth=1
	v_and_b32_e32 v3, 7, v8
	v_lshrrev_b32_e32 v90, 3, v91
	s_mov_b32 s21, exec_lo
	v_cmpx_gt_u32_e32 8, v91
; %bb.3094:                             ;   in Loop: Header=BB285_1571 Depth=1
	v_ffbh_u32_e32 v3, v3
	v_min_u32_e32 v3, 32, v3
	v_subrev_nc_u32_e32 v22, 28, v3
	v_sub_nc_u32_e32 v90, 29, v3
	v_lshlrev_b64 v[22:23], v22, v[8:9]
	v_and_b32_e32 v3, 7, v22
; %bb.3095:                             ;   in Loop: Header=BB285_1571 Depth=1
	s_or_b32 exec_lo, exec_lo, s21
	v_lshlrev_b32_e32 v22, 8, v8
	v_lshl_add_u32 v23, v90, 10, 0x2000
	v_lshlrev_b32_e32 v3, 7, v3
	v_and_b32_e32 v22, 0x8000, v22
	v_and_b32_e32 v23, 0xfc00, v23
	v_or3_b32 v90, v22, v23, v3
.LBB285_3096:                           ;   in Loop: Header=BB285_1571 Depth=1
	s_or_b32 exec_lo, exec_lo, s20
.LBB285_3097:                           ;   in Loop: Header=BB285_1571 Depth=1
	s_or_b32 exec_lo, exec_lo, s19
.LBB285_3098:                           ;   in Loop: Header=BB285_1571 Depth=1
	s_or_b32 exec_lo, exec_lo, s18
	v_lshrrev_b16 v3, 8, v8
	s_mov_b32 s18, exec_lo
	v_cmpx_ne_u16_e32 0, v3
	s_cbranch_execz .LBB285_3106
; %bb.3099:                             ;   in Loop: Header=BB285_1571 Depth=1
	v_bfrev_b32_e32 v89, 1
	s_mov_b32 s19, exec_lo
	v_cmpx_ne_u16_e32 0x80, v3
	s_cbranch_execz .LBB285_3105
; %bb.3100:                             ;   in Loop: Header=BB285_1571 Depth=1
	v_and_b32_sdwa v92, v3, v81 dst_sel:DWORD dst_unused:UNUSED_PAD src0_sel:WORD_0 src1_sel:DWORD
	v_mov_b32_e32 v89, 0x7c010000
	s_mov_b32 s20, exec_lo
	v_cmpx_ne_u32_e32 0x7f, v92
	s_cbranch_execz .LBB285_3104
; %bb.3101:                             ;   in Loop: Header=BB285_1571 Depth=1
	v_and_b32_sdwa v89, v3, v82 dst_sel:DWORD dst_unused:UNUSED_PAD src0_sel:WORD_0 src1_sel:DWORD
	v_lshrrev_b32_e32 v91, 3, v92
	s_mov_b32 s21, exec_lo
	v_cmpx_gt_u32_e32 8, v92
; %bb.3102:                             ;   in Loop: Header=BB285_1571 Depth=1
	v_ffbh_u32_e32 v22, v89
	v_min_u32_e32 v89, 32, v22
	v_subrev_nc_u32_e32 v22, 28, v89
	v_sub_nc_u32_e32 v91, 29, v89
	v_lshlrev_b64 v[22:23], v22, v[3:4]
	v_and_b32_e32 v89, 7, v22
; %bb.3103:                             ;   in Loop: Header=BB285_1571 Depth=1
	s_or_b32 exec_lo, exec_lo, s21
	v_lshlrev_b32_sdwa v3, v83, v3 dst_sel:DWORD dst_unused:UNUSED_PAD src0_sel:DWORD src1_sel:WORD_0
	v_lshl_add_u32 v22, v91, 10, 0x2000
	v_and_or_b32 v3, 0x8000, v3, v22
	v_lshlrev_b32_e32 v22, 23, v89
	v_lshl_or_b32 v89, v3, 16, v22
.LBB285_3104:                           ;   in Loop: Header=BB285_1571 Depth=1
	s_or_b32 exec_lo, exec_lo, s20
.LBB285_3105:                           ;   in Loop: Header=BB285_1571 Depth=1
	s_or_b32 exec_lo, exec_lo, s19
.LBB285_3106:                           ;   in Loop: Header=BB285_1571 Depth=1
	s_or_b32 exec_lo, exec_lo, s18
	v_lshrrev_b32_e32 v3, 16, v8
	v_mov_b32_e32 v91, 0
	v_mov_b32_e32 v92, 0
	v_cmp_ne_u16_sdwa s4, v3, v4 src0_sel:BYTE_0 src1_sel:DWORD
	s_and_saveexec_b32 s18, s4
	s_cbranch_execz .LBB285_3114
; %bb.3107:                             ;   in Loop: Header=BB285_1571 Depth=1
	v_cmp_ne_u16_sdwa s4, v3, v80 src0_sel:BYTE_0 src1_sel:DWORD
	v_mov_b32_e32 v92, 0x8000
	s_and_saveexec_b32 s19, s4
	s_cbranch_execz .LBB285_3113
; %bb.3108:                             ;   in Loop: Header=BB285_1571 Depth=1
	v_bfe_u32 v94, v8, 16, 7
	v_mov_b32_e32 v92, 0x7c01
	s_mov_b32 s20, exec_lo
	v_cmpx_ne_u32_e32 0x7f, v94
	s_cbranch_execz .LBB285_3112
; %bb.3109:                             ;   in Loop: Header=BB285_1571 Depth=1
	v_and_b32_e32 v92, 7, v3
	v_lshrrev_b32_e32 v93, 3, v94
	s_mov_b32 s21, exec_lo
	v_cmpx_gt_u32_e32 8, v94
; %bb.3110:                             ;   in Loop: Header=BB285_1571 Depth=1
	v_ffbh_u32_e32 v22, v92
	v_min_u32_e32 v92, 32, v22
	v_subrev_nc_u32_e32 v22, 28, v92
	v_sub_nc_u32_e32 v93, 29, v92
	v_lshlrev_b64 v[22:23], v22, v[3:4]
	v_and_b32_e32 v92, 7, v22
; %bb.3111:                             ;   in Loop: Header=BB285_1571 Depth=1
	s_or_b32 exec_lo, exec_lo, s21
	v_lshlrev_b32_e32 v3, 8, v3
	v_lshl_add_u32 v22, v93, 10, 0x2000
	v_lshlrev_b32_e32 v23, 7, v92
	v_and_b32_e32 v3, 0x8000, v3
	v_and_b32_e32 v22, 0xfc00, v22
	v_or3_b32 v92, v3, v22, v23
.LBB285_3112:                           ;   in Loop: Header=BB285_1571 Depth=1
	s_or_b32 exec_lo, exec_lo, s20
.LBB285_3113:                           ;   in Loop: Header=BB285_1571 Depth=1
	s_or_b32 exec_lo, exec_lo, s19
.LBB285_3114:                           ;   in Loop: Header=BB285_1571 Depth=1
	s_or_b32 exec_lo, exec_lo, s18
	s_mov_b32 s18, exec_lo
	v_cmpx_lt_u32_e32 0xffffff, v8
	s_cbranch_execz .LBB285_3122
; %bb.3115:                             ;   in Loop: Header=BB285_1571 Depth=1
	v_lshrrev_b32_e32 v3, 24, v8
	v_bfrev_b32_e32 v91, 1
	s_mov_b32 s19, exec_lo
	v_cmpx_ne_u32_e32 0x80, v3
	s_cbranch_execz .LBB285_3121
; %bb.3116:                             ;   in Loop: Header=BB285_1571 Depth=1
	v_and_b32_e32 v94, 0x7f, v3
	v_mov_b32_e32 v91, 0x7c010000
	s_mov_b32 s20, exec_lo
	v_cmpx_ne_u32_e32 0x7f, v94
	s_cbranch_execz .LBB285_3120
; %bb.3117:                             ;   in Loop: Header=BB285_1571 Depth=1
	v_and_b32_e32 v91, 7, v3
	v_lshrrev_b32_e32 v93, 3, v94
	s_mov_b32 s21, exec_lo
	v_cmpx_gt_u32_e32 8, v94
; %bb.3118:                             ;   in Loop: Header=BB285_1571 Depth=1
	v_ffbh_u32_e32 v22, v91
	v_min_u32_e32 v91, 32, v22
	v_subrev_nc_u32_e32 v22, 28, v91
	v_sub_nc_u32_e32 v93, 29, v91
	v_lshlrev_b64 v[22:23], v22, v[3:4]
	v_and_b32_e32 v91, 7, v22
; %bb.3119:                             ;   in Loop: Header=BB285_1571 Depth=1
	s_or_b32 exec_lo, exec_lo, s21
	v_lshlrev_b32_e32 v3, 8, v3
	v_lshl_add_u32 v22, v93, 10, 0x2000
	v_and_or_b32 v3, 0x8000, v3, v22
	v_lshlrev_b32_e32 v22, 23, v91
	v_lshl_or_b32 v91, v3, 16, v22
.LBB285_3120:                           ;   in Loop: Header=BB285_1571 Depth=1
	s_or_b32 exec_lo, exec_lo, s20
.LBB285_3121:                           ;   in Loop: Header=BB285_1571 Depth=1
	s_or_b32 exec_lo, exec_lo, s19
.LBB285_3122:                           ;   in Loop: Header=BB285_1571 Depth=1
	s_or_b32 exec_lo, exec_lo, s18
	v_mov_b32_e32 v3, v9
	v_cmp_ne_u16_sdwa s4, v9, v4 src0_sel:BYTE_0 src1_sel:DWORD
	v_mov_b32_e32 v93, 0
	v_mov_b32_e32 v94, 0
	s_and_saveexec_b32 s18, s4
	s_cbranch_execz .LBB285_3130
; %bb.3123:                             ;   in Loop: Header=BB285_1571 Depth=1
	v_cmp_ne_u16_sdwa s4, v9, v80 src0_sel:BYTE_0 src1_sel:DWORD
	v_mov_b32_e32 v94, 0x8000
	s_and_saveexec_b32 s19, s4
	s_cbranch_execz .LBB285_3129
; %bb.3124:                             ;   in Loop: Header=BB285_1571 Depth=1
	v_and_b32_e32 v104, 0x7f, v9
	v_mov_b32_e32 v94, 0x7c01
	s_mov_b32 s20, exec_lo
	v_cmpx_ne_u32_e32 0x7f, v104
	s_cbranch_execz .LBB285_3128
; %bb.3125:                             ;   in Loop: Header=BB285_1571 Depth=1
	v_and_b32_e32 v94, 7, v9
	v_lshrrev_b32_e32 v95, 3, v104
	s_mov_b32 s21, exec_lo
	v_cmpx_gt_u32_e32 8, v104
; %bb.3126:                             ;   in Loop: Header=BB285_1571 Depth=1
	v_ffbh_u32_e32 v22, v94
	v_min_u32_e32 v94, 32, v22
	v_subrev_nc_u32_e32 v22, 28, v94
	v_sub_nc_u32_e32 v95, 29, v94
	v_lshlrev_b64 v[22:23], v22, v[3:4]
	v_and_b32_e32 v94, 7, v22
; %bb.3127:                             ;   in Loop: Header=BB285_1571 Depth=1
	s_or_b32 exec_lo, exec_lo, s21
	v_lshlrev_b32_e32 v22, 8, v9
	v_lshl_add_u32 v23, v95, 10, 0x2000
	v_lshlrev_b32_e32 v94, 7, v94
	v_and_b32_e32 v22, 0x8000, v22
	v_and_b32_e32 v23, 0xfc00, v23
	v_or3_b32 v94, v22, v23, v94
.LBB285_3128:                           ;   in Loop: Header=BB285_1571 Depth=1
	s_or_b32 exec_lo, exec_lo, s20
.LBB285_3129:                           ;   in Loop: Header=BB285_1571 Depth=1
	s_or_b32 exec_lo, exec_lo, s19
.LBB285_3130:                           ;   in Loop: Header=BB285_1571 Depth=1
	s_or_b32 exec_lo, exec_lo, s18
	v_lshrrev_b16 v3, 8, v3
	v_mov_b32_e32 v95, 0
	s_mov_b32 s18, exec_lo
	v_cmpx_ne_u16_e32 0, v3
	s_cbranch_execz .LBB285_3138
; %bb.3131:                             ;   in Loop: Header=BB285_1571 Depth=1
	v_bfrev_b32_e32 v95, 1
	s_mov_b32 s19, exec_lo
	v_cmpx_ne_u16_e32 0x80, v3
	s_cbranch_execz .LBB285_3137
; %bb.3132:                             ;   in Loop: Header=BB285_1571 Depth=1
	v_and_b32_sdwa v105, v3, v81 dst_sel:DWORD dst_unused:UNUSED_PAD src0_sel:WORD_0 src1_sel:DWORD
	v_mov_b32_e32 v95, 0x7c010000
	s_mov_b32 s20, exec_lo
	v_cmpx_ne_u32_e32 0x7f, v105
	s_cbranch_execz .LBB285_3136
; %bb.3133:                             ;   in Loop: Header=BB285_1571 Depth=1
	v_and_b32_sdwa v95, v3, v82 dst_sel:DWORD dst_unused:UNUSED_PAD src0_sel:WORD_0 src1_sel:DWORD
	v_lshrrev_b32_e32 v104, 3, v105
	s_mov_b32 s21, exec_lo
	v_cmpx_gt_u32_e32 8, v105
; %bb.3134:                             ;   in Loop: Header=BB285_1571 Depth=1
	v_ffbh_u32_e32 v22, v95
	v_min_u32_e32 v95, 32, v22
	v_subrev_nc_u32_e32 v22, 28, v95
	v_sub_nc_u32_e32 v104, 29, v95
	v_lshlrev_b64 v[22:23], v22, v[3:4]
	v_and_b32_e32 v95, 7, v22
; %bb.3135:                             ;   in Loop: Header=BB285_1571 Depth=1
	s_or_b32 exec_lo, exec_lo, s21
	v_lshlrev_b32_sdwa v3, v83, v3 dst_sel:DWORD dst_unused:UNUSED_PAD src0_sel:DWORD src1_sel:WORD_0
	v_lshl_add_u32 v22, v104, 10, 0x2000
	v_and_or_b32 v3, 0x8000, v3, v22
	v_lshlrev_b32_e32 v22, 23, v95
	v_lshl_or_b32 v95, v3, 16, v22
.LBB285_3136:                           ;   in Loop: Header=BB285_1571 Depth=1
	s_or_b32 exec_lo, exec_lo, s20
.LBB285_3137:                           ;   in Loop: Header=BB285_1571 Depth=1
	s_or_b32 exec_lo, exec_lo, s19
.LBB285_3138:                           ;   in Loop: Header=BB285_1571 Depth=1
	s_or_b32 exec_lo, exec_lo, s18
	v_lshrrev_b32_e32 v3, 16, v9
	v_cmp_ne_u16_sdwa s4, v3, v4 src0_sel:BYTE_0 src1_sel:DWORD
	s_and_saveexec_b32 s18, s4
	s_cbranch_execz .LBB285_3146
; %bb.3139:                             ;   in Loop: Header=BB285_1571 Depth=1
	v_cmp_ne_u16_sdwa s4, v3, v80 src0_sel:BYTE_0 src1_sel:DWORD
	v_mov_b32_e32 v93, 0x8000
	s_and_saveexec_b32 s19, s4
	s_cbranch_execz .LBB285_3145
; %bb.3140:                             ;   in Loop: Header=BB285_1571 Depth=1
	v_bfe_u32 v105, v9, 16, 7
	v_mov_b32_e32 v93, 0x7c01
	s_mov_b32 s20, exec_lo
	v_cmpx_ne_u32_e32 0x7f, v105
	s_cbranch_execz .LBB285_3144
; %bb.3141:                             ;   in Loop: Header=BB285_1571 Depth=1
	v_and_b32_e32 v93, 7, v3
	v_lshrrev_b32_e32 v104, 3, v105
	s_mov_b32 s21, exec_lo
	v_cmpx_gt_u32_e32 8, v105
; %bb.3142:                             ;   in Loop: Header=BB285_1571 Depth=1
	v_ffbh_u32_e32 v22, v93
	v_min_u32_e32 v93, 32, v22
	v_subrev_nc_u32_e32 v22, 28, v93
	v_sub_nc_u32_e32 v104, 29, v93
	v_lshlrev_b64 v[22:23], v22, v[3:4]
	v_and_b32_e32 v93, 7, v22
; %bb.3143:                             ;   in Loop: Header=BB285_1571 Depth=1
	s_or_b32 exec_lo, exec_lo, s21
	v_lshlrev_b32_e32 v3, 8, v3
	v_lshl_add_u32 v22, v104, 10, 0x2000
	v_lshlrev_b32_e32 v23, 7, v93
	v_and_b32_e32 v3, 0x8000, v3
	v_and_b32_e32 v22, 0xfc00, v22
	v_or3_b32 v93, v3, v22, v23
.LBB285_3144:                           ;   in Loop: Header=BB285_1571 Depth=1
	s_or_b32 exec_lo, exec_lo, s20
.LBB285_3145:                           ;   in Loop: Header=BB285_1571 Depth=1
	s_or_b32 exec_lo, exec_lo, s19
.LBB285_3146:                           ;   in Loop: Header=BB285_1571 Depth=1
	s_or_b32 exec_lo, exec_lo, s18
	v_cmp_lt_u64_e64 s4, s[6:7], v[8:9]
	v_mov_b32_e32 v8, 0
	s_and_saveexec_b32 s18, s4
	s_cbranch_execz .LBB285_3154
; %bb.3147:                             ;   in Loop: Header=BB285_1571 Depth=1
	v_lshrrev_b32_e32 v3, 24, v9
	v_bfrev_b32_e32 v8, 1
	s_mov_b32 s19, exec_lo
	v_cmpx_ne_u32_e32 0x80, v3
	s_cbranch_execz .LBB285_3153
; %bb.3148:                             ;   in Loop: Header=BB285_1571 Depth=1
	v_and_b32_e32 v104, 0x7f, v3
	v_mov_b32_e32 v8, 0x7c010000
	s_mov_b32 s20, exec_lo
	v_cmpx_ne_u32_e32 0x7f, v104
	s_cbranch_execz .LBB285_3152
; %bb.3149:                             ;   in Loop: Header=BB285_1571 Depth=1
	v_and_b32_e32 v8, 7, v3
	v_lshrrev_b32_e32 v9, 3, v104
	s_mov_b32 s21, exec_lo
	v_cmpx_gt_u32_e32 8, v104
; %bb.3150:                             ;   in Loop: Header=BB285_1571 Depth=1
	v_ffbh_u32_e32 v8, v8
	v_min_u32_e32 v22, 32, v8
	v_subrev_nc_u32_e32 v8, 28, v22
	v_lshlrev_b64 v[8:9], v8, v[3:4]
	v_sub_nc_u32_e32 v9, 29, v22
	v_and_b32_e32 v8, 7, v8
; %bb.3151:                             ;   in Loop: Header=BB285_1571 Depth=1
	s_or_b32 exec_lo, exec_lo, s21
	v_lshlrev_b32_e32 v3, 8, v3
	v_lshl_add_u32 v9, v9, 10, 0x2000
	v_lshlrev_b32_e32 v8, 23, v8
	v_and_or_b32 v3, 0x8000, v3, v9
	v_lshl_or_b32 v8, v3, 16, v8
.LBB285_3152:                           ;   in Loop: Header=BB285_1571 Depth=1
	s_or_b32 exec_lo, exec_lo, s20
.LBB285_3153:                           ;   in Loop: Header=BB285_1571 Depth=1
	s_or_b32 exec_lo, exec_lo, s19
.LBB285_3154:                           ;   in Loop: Header=BB285_1571 Depth=1
	s_or_b32 exec_lo, exec_lo, s18
	v_or_b32_e32 v3, v91, v92
	s_waitcnt vmcnt(0) lgkmcnt(0)
	v_fma_mixlo_f16 v9, v88, v91, 0 op_sel:[0,1,0] op_sel_hi:[0,1,0]
	v_or_b32_e32 v22, v89, v90
	v_fma_mixlo_f16 v23, v88, v89, 0 op_sel:[0,1,0] op_sel_hi:[0,1,0]
	v_or_b32_e32 v90, v95, v94
	v_fma_mixlo_f16 v3, v88, v3, 0 op_sel_hi:[0,1,0]
	v_or_b32_e32 v92, v8, v93
	v_lshlrev_b32_e32 v89, 16, v9
	v_lshlrev_b32_e32 v94, 16, v23
	v_fma_mixlo_f16 v9, v88, v22, 0 op_sel_hi:[0,1,0]
	v_and_b32_e32 v91, 0xffff, v3
	v_fma_mixlo_f16 v3, v88, v95, 0 op_sel:[0,1,0] op_sel_hi:[0,1,0]
	v_fma_mixlo_f16 v22, v88, v90, 0 op_sel_hi:[0,1,0]
	v_fma_mixlo_f16 v8, v88, v8, 0 op_sel:[0,1,0] op_sel_hi:[0,1,0]
	v_fma_mixlo_f16 v23, v88, v92, 0 op_sel_hi:[0,1,0]
	v_and_b32_e32 v104, 0xffff, v9
	v_lshlrev_b32_e32 v92, 16, v3
	v_and_b32_e32 v95, 0xffff, v22
	v_lshlrev_b32_e32 v90, 16, v8
	v_and_b32_e32 v93, 0xffff, v23
	v_or_b32_e32 v9, v89, v91
	v_or_b32_e32 v88, v94, v104
	;; [unrolled: 1-line block ×4, first 2 shown]
	s_and_saveexec_b32 s4, vcc_lo
	s_cbranch_execz .LBB285_1569
; %bb.3155:                             ;   in Loop: Header=BB285_1571 Depth=1
	v_cmp_lt_i32_e32 vcc_lo, v86, v32
	v_cndmask_b32_e32 v3, 0, v104, vcc_lo
	v_cmp_lt_i32_e32 vcc_lo, v115, v32
	v_cndmask_b32_e32 v8, 0, v94, vcc_lo
	v_cmp_lt_i32_e32 vcc_lo, v114, v32
	v_or_b32_e32 v88, v3, v8
	v_cndmask_b32_e32 v9, 0, v91, vcc_lo
	v_cmp_lt_i32_e32 vcc_lo, v113, v32
	v_cndmask_b32_e32 v22, 0, v89, vcc_lo
	v_cmp_lt_i32_e32 vcc_lo, v112, v32
	v_or_b32_e32 v9, v9, v22
	;; [unrolled: 5-line block ×3, first 2 shown]
	v_cndmask_b32_e32 v102, 0, v93, vcc_lo
	v_cmp_lt_i32_e32 vcc_lo, v101, v32
	v_cndmask_b32_e32 v101, 0, v90, vcc_lo
	v_or_b32_e32 v3, v102, v101
	s_branch .LBB285_1569
.LBB285_3156:
	s_or_b32 exec_lo, exec_lo, s13
.LBB285_3157:
	s_or_b32 exec_lo, exec_lo, s5
	ds_bpermute_b32 v1, v15, v69
	ds_bpermute_b32 v2, v15, v68
	;; [unrolled: 1-line block ×12, first 2 shown]
	s_waitcnt lgkmcnt(0)
	s_barrier
	buffer_gl0_inv
	ds_bpermute_b32 v35, v15, v49
	ds_bpermute_b32 v8, v15, v54
	;; [unrolled: 1-line block ×5, first 2 shown]
	v_add_f32_e32 v1, v69, v1
	v_add_f32_e32 v2, v68, v2
	;; [unrolled: 1-line block ×5, first 2 shown]
	ds_bpermute_b32 v5, v14, v1
	ds_bpermute_b32 v18, v14, v2
	v_add_f32_e32 v3, v67, v3
	v_add_f32_e32 v10, v66, v4
	ds_bpermute_b32 v26, v14, v12
	ds_bpermute_b32 v4, v14, v0
	;; [unrolled: 1-line block ×5, first 2 shown]
	v_add_f32_e32 v13, v55, v7
	v_add_f32_e32 v25, v25, v48
	ds_bpermute_b32 v38, v15, v28
	ds_bpermute_b32 v39, v15, v27
	s_waitcnt lgkmcnt(12)
	v_add_f32_e32 v8, v54, v8
	ds_bpermute_b32 v31, v14, v13
	s_waitcnt lgkmcnt(12)
	v_add_f32_e32 v9, v53, v9
	s_waitcnt lgkmcnt(11)
	v_add_f32_e32 v30, v30, v36
	;; [unrolled: 2-line block ×3, first 2 shown]
	ds_bpermute_b32 v53, v14, v8
	s_load_dword s4, s[8:9], 0x0
	s_waitcnt lgkmcnt(0)
	v_add_f32_e32 v6, v1, v5
	v_add_f32_e32 v5, v2, v18
	ds_bpermute_b32 v18, v15, v24
	ds_bpermute_b32 v36, v14, v29
	v_add_f32_e32 v1, v12, v26
	v_add_f32_e32 v12, v50, v34
	;; [unrolled: 1-line block ×8, first 2 shown]
	ds_bpermute_b32 v19, v15, v21
	ds_bpermute_b32 v33, v14, v12
	;; [unrolled: 1-line block ×5, first 2 shown]
	v_add_f32_e32 v0, v13, v31
	v_add_f32_e32 v13, v49, v35
	v_add_f32_e32 v28, v28, v38
	v_add_f32_e32 v27, v27, v39
	ds_bpermute_b32 v39, v14, v25
	s_waitcnt lgkmcnt(7)
	v_add_f32_e32 v24, v24, v18
	ds_bpermute_b32 v34, v14, v13
	ds_bpermute_b32 v26, v14, v9
	;; [unrolled: 1-line block ×8, first 2 shown]
	s_mov_b32 s5, exec_lo
	s_waitcnt lgkmcnt(13)
	v_add_f32_e32 v48, v21, v19
	s_waitcnt lgkmcnt(12)
	v_add_f32_e32 v19, v12, v33
	;; [unrolled: 2-line block ×5, first 2 shown]
	ds_bpermute_b32 v54, v14, v48
	v_add_f32_e32 v23, v8, v53
	ds_bpermute_b32 v55, v14, v49
	ds_bpermute_b32 v64, v14, v50
	;; [unrolled: 1-line block ×3, first 2 shown]
	v_add_f32_e32 v16, v29, v36
	s_waitcnt lgkmcnt(11)
	v_add_f32_e32 v18, v13, v34
	v_add_f32_e32 v13, v25, v39
	s_waitcnt lgkmcnt(10)
	v_add_f32_e32 v22, v9, v26
	s_waitcnt lgkmcnt(9)
	;; [unrolled: 2-line block ×3, first 2 shown]
	v_add_f32_e32 v12, v24, v52
	buffer_load_dword v24, off, s[0:3], s32 offset:876 ; 4-byte Folded Reload
	v_add_f32_e32 v20, v11, v32
	s_waitcnt lgkmcnt(6)
	v_add_f32_e32 v17, v30, v35
	s_waitcnt lgkmcnt(5)
	;; [unrolled: 2-line block ×3, first 2 shown]
	v_add_f32_e32 v14, v27, v38
	v_and_b32_e32 v27, 0x3c3, v108
	v_mul_u32_u24_e32 v26, 0x300, v125
	s_waitcnt lgkmcnt(3)
	v_add_f32_e32 v11, v48, v54
	s_waitcnt lgkmcnt(2)
	v_add_f32_e32 v9, v49, v55
	;; [unrolled: 2-line block ×4, first 2 shown]
	s_waitcnt vmcnt(0)
	v_and_b32_e32 v25, 28, v24
	v_lshrrev_b32_e32 v24, 2, v24
	v_add_nc_u32_e32 v25, s4, v25
	v_cmpx_eq_u32_e32 64, v27
	s_cbranch_execz .LBB285_3159
; %bb.3158:
	v_add_nc_u32_e32 v27, v25, v26
	v_add_nc_u32_e32 v28, 0xfffffa00, v27
	;; [unrolled: 1-line block ×7, first 2 shown]
	ds_write_b32 v28, v7
	ds_write_b32 v29, v6
	;; [unrolled: 1-line block ×4, first 2 shown]
	v_add_nc_u32_e32 v28, 0xfffffac0, v27
	v_add_nc_u32_e32 v29, 0xfffffae0, v27
	v_add_nc_u32_e32 v30, 0xfffffb00, v27
	ds_write_b32 v32, v3
	ds_write_b32 v33, v2
	ds_write_b32 v28, v1
	ds_write_b32 v29, v0
	ds_write_b32 v30, v23
	v_add_nc_u32_e32 v28, 0xfffffb20, v27
	v_add_nc_u32_e32 v29, 0xfffffb40, v27
	v_add_nc_u32_e32 v30, 0xfffffb60, v27
	v_add_nc_u32_e32 v31, 0xfffffb80, v27
	v_add_nc_u32_e32 v32, 0xfffffba0, v27
	ds_write_b32 v28, v22
	ds_write_b32 v29, v21
	ds_write_b32 v30, v20
	ds_write_b32 v31, v19
	ds_write_b32 v32, v18
	v_add_nc_u32_e32 v28, 0xfffffbc0, v27
	v_add_nc_u32_e32 v29, 0xfffffbe0, v27
	;; [unrolled: 10-line block ×3, first 2 shown]
	v_add_nc_u32_e32 v30, 0xfffffca0, v27
	v_add_nc_u32_e32 v31, 0xfffffcc0, v27
	;; [unrolled: 1-line block ×3, first 2 shown]
	ds_write_b32 v28, v12
	ds_write_b32 v29, v11
	;; [unrolled: 1-line block ×5, first 2 shown]
.LBB285_3159:
	s_or_b32 exec_lo, exec_lo, s5
	v_lshlrev_b32_e32 v24, 2, v24
	v_and_b32_e32 v27, 3, v108
	s_mov_b32 s5, exec_lo
	s_waitcnt lgkmcnt(0)
	s_barrier
	v_add3_u32 v24, s4, v26, v24
	v_cmp_eq_u32_e32 vcc_lo, 0, v27
	buffer_gl0_inv
	v_cmpx_gt_u32_e32 64, v108
	s_cbranch_execz .LBB285_3186
; %bb.3160:
	s_and_saveexec_b32 s4, vcc_lo
	s_cbranch_execnz .LBB285_3218
; %bb.3161:
	s_or_b32 exec_lo, exec_lo, s4
	s_and_saveexec_b32 s4, vcc_lo
	s_cbranch_execnz .LBB285_3219
.LBB285_3162:
	s_or_b32 exec_lo, exec_lo, s4
	s_and_saveexec_b32 s4, vcc_lo
	s_cbranch_execnz .LBB285_3220
.LBB285_3163:
	s_or_b32 exec_lo, exec_lo, s4
	s_and_saveexec_b32 s4, vcc_lo
	s_cbranch_execnz .LBB285_3221
.LBB285_3164:
	s_or_b32 exec_lo, exec_lo, s4
	s_and_saveexec_b32 s4, vcc_lo
	s_cbranch_execnz .LBB285_3222
.LBB285_3165:
	s_or_b32 exec_lo, exec_lo, s4
	s_and_saveexec_b32 s4, vcc_lo
	s_cbranch_execnz .LBB285_3223
.LBB285_3166:
	s_or_b32 exec_lo, exec_lo, s4
	s_and_saveexec_b32 s4, vcc_lo
	s_cbranch_execnz .LBB285_3224
.LBB285_3167:
	s_or_b32 exec_lo, exec_lo, s4
	s_and_saveexec_b32 s4, vcc_lo
	s_cbranch_execnz .LBB285_3225
.LBB285_3168:
	s_or_b32 exec_lo, exec_lo, s4
	s_and_saveexec_b32 s4, vcc_lo
	s_cbranch_execnz .LBB285_3226
.LBB285_3169:
	s_or_b32 exec_lo, exec_lo, s4
	s_and_saveexec_b32 s4, vcc_lo
	s_cbranch_execnz .LBB285_3227
.LBB285_3170:
	s_or_b32 exec_lo, exec_lo, s4
	s_and_saveexec_b32 s4, vcc_lo
	s_cbranch_execnz .LBB285_3228
.LBB285_3171:
	s_or_b32 exec_lo, exec_lo, s4
	s_and_saveexec_b32 s4, vcc_lo
	s_cbranch_execnz .LBB285_3229
.LBB285_3172:
	s_or_b32 exec_lo, exec_lo, s4
	s_and_saveexec_b32 s4, vcc_lo
	s_cbranch_execnz .LBB285_3230
.LBB285_3173:
	s_or_b32 exec_lo, exec_lo, s4
	s_and_saveexec_b32 s4, vcc_lo
	s_cbranch_execnz .LBB285_3231
.LBB285_3174:
	s_or_b32 exec_lo, exec_lo, s4
	s_and_saveexec_b32 s4, vcc_lo
	s_cbranch_execnz .LBB285_3232
.LBB285_3175:
	s_or_b32 exec_lo, exec_lo, s4
	s_and_saveexec_b32 s4, vcc_lo
	s_cbranch_execnz .LBB285_3233
.LBB285_3176:
	s_or_b32 exec_lo, exec_lo, s4
	s_and_saveexec_b32 s4, vcc_lo
	s_cbranch_execnz .LBB285_3234
.LBB285_3177:
	s_or_b32 exec_lo, exec_lo, s4
	s_and_saveexec_b32 s4, vcc_lo
	s_cbranch_execnz .LBB285_3235
.LBB285_3178:
	s_or_b32 exec_lo, exec_lo, s4
	s_and_saveexec_b32 s4, vcc_lo
	s_cbranch_execnz .LBB285_3236
.LBB285_3179:
	s_or_b32 exec_lo, exec_lo, s4
	s_and_saveexec_b32 s4, vcc_lo
	s_cbranch_execnz .LBB285_3237
.LBB285_3180:
	s_or_b32 exec_lo, exec_lo, s4
	s_and_saveexec_b32 s4, vcc_lo
	s_cbranch_execnz .LBB285_3238
.LBB285_3181:
	s_or_b32 exec_lo, exec_lo, s4
	s_and_saveexec_b32 s4, vcc_lo
	s_cbranch_execnz .LBB285_3239
.LBB285_3182:
	s_or_b32 exec_lo, exec_lo, s4
	s_and_saveexec_b32 s4, vcc_lo
	s_cbranch_execnz .LBB285_3240
.LBB285_3183:
	s_or_b32 exec_lo, exec_lo, s4
	s_and_saveexec_b32 s4, vcc_lo
	s_cbranch_execz .LBB285_3185
.LBB285_3184:
	ds_read_b32 v26, v24 offset:736
	s_waitcnt lgkmcnt(0)
	v_add_f32_e32 v10, v26, v10
.LBB285_3185:
	s_or_b32 exec_lo, exec_lo, s4
.LBB285_3186:
	s_or_b32 exec_lo, exec_lo, s5
	v_and_b32_e32 v26, 0x3e3, v108
	s_mov_b32 s5, exec_lo
	s_barrier
	buffer_gl0_inv
	v_cmpx_eq_u32_e32 32, v26
	s_cbranch_execz .LBB285_3188
; %bb.3187:
	ds_write2_b32 v25, v7, v6 offset1:8
	ds_write2_b32 v25, v5, v4 offset0:16 offset1:24
	ds_write2_b32 v25, v3, v2 offset0:32 offset1:40
	;; [unrolled: 1-line block ×11, first 2 shown]
.LBB285_3188:
	s_or_b32 exec_lo, exec_lo, s5
	s_mov_b32 s5, exec_lo
	s_waitcnt lgkmcnt(0)
	s_barrier
	buffer_gl0_inv
	v_cmpx_gt_u32_e32 32, v108
	s_cbranch_execz .LBB285_3215
; %bb.3189:
	s_and_saveexec_b32 s4, vcc_lo
	s_cbranch_execnz .LBB285_3241
; %bb.3190:
	s_or_b32 exec_lo, exec_lo, s4
	s_and_saveexec_b32 s4, vcc_lo
	s_cbranch_execnz .LBB285_3242
.LBB285_3191:
	s_or_b32 exec_lo, exec_lo, s4
	s_and_saveexec_b32 s4, vcc_lo
	s_cbranch_execnz .LBB285_3243
.LBB285_3192:
	s_or_b32 exec_lo, exec_lo, s4
	s_and_saveexec_b32 s4, vcc_lo
	s_cbranch_execnz .LBB285_3244
.LBB285_3193:
	s_or_b32 exec_lo, exec_lo, s4
	s_and_saveexec_b32 s4, vcc_lo
	s_cbranch_execnz .LBB285_3245
.LBB285_3194:
	s_or_b32 exec_lo, exec_lo, s4
	s_and_saveexec_b32 s4, vcc_lo
	s_cbranch_execnz .LBB285_3246
.LBB285_3195:
	s_or_b32 exec_lo, exec_lo, s4
	s_and_saveexec_b32 s4, vcc_lo
	s_cbranch_execnz .LBB285_3247
.LBB285_3196:
	s_or_b32 exec_lo, exec_lo, s4
	s_and_saveexec_b32 s4, vcc_lo
	s_cbranch_execnz .LBB285_3248
.LBB285_3197:
	s_or_b32 exec_lo, exec_lo, s4
	s_and_saveexec_b32 s4, vcc_lo
	s_cbranch_execnz .LBB285_3249
.LBB285_3198:
	s_or_b32 exec_lo, exec_lo, s4
	s_and_saveexec_b32 s4, vcc_lo
	s_cbranch_execnz .LBB285_3250
.LBB285_3199:
	s_or_b32 exec_lo, exec_lo, s4
	s_and_saveexec_b32 s4, vcc_lo
	s_cbranch_execnz .LBB285_3251
.LBB285_3200:
	s_or_b32 exec_lo, exec_lo, s4
	s_and_saveexec_b32 s4, vcc_lo
	s_cbranch_execnz .LBB285_3252
.LBB285_3201:
	s_or_b32 exec_lo, exec_lo, s4
	s_and_saveexec_b32 s4, vcc_lo
	s_cbranch_execnz .LBB285_3253
.LBB285_3202:
	s_or_b32 exec_lo, exec_lo, s4
	s_and_saveexec_b32 s4, vcc_lo
	s_cbranch_execnz .LBB285_3254
.LBB285_3203:
	s_or_b32 exec_lo, exec_lo, s4
	s_and_saveexec_b32 s4, vcc_lo
	s_cbranch_execnz .LBB285_3255
.LBB285_3204:
	s_or_b32 exec_lo, exec_lo, s4
	s_and_saveexec_b32 s4, vcc_lo
	s_cbranch_execnz .LBB285_3256
.LBB285_3205:
	s_or_b32 exec_lo, exec_lo, s4
	s_and_saveexec_b32 s4, vcc_lo
	s_cbranch_execnz .LBB285_3257
.LBB285_3206:
	s_or_b32 exec_lo, exec_lo, s4
	s_and_saveexec_b32 s4, vcc_lo
	s_cbranch_execnz .LBB285_3258
.LBB285_3207:
	s_or_b32 exec_lo, exec_lo, s4
	s_and_saveexec_b32 s4, vcc_lo
	s_cbranch_execnz .LBB285_3259
.LBB285_3208:
	s_or_b32 exec_lo, exec_lo, s4
	s_and_saveexec_b32 s4, vcc_lo
	s_cbranch_execnz .LBB285_3260
.LBB285_3209:
	s_or_b32 exec_lo, exec_lo, s4
	s_and_saveexec_b32 s4, vcc_lo
	s_cbranch_execnz .LBB285_3261
.LBB285_3210:
	s_or_b32 exec_lo, exec_lo, s4
	s_and_saveexec_b32 s4, vcc_lo
	s_cbranch_execnz .LBB285_3262
.LBB285_3211:
	s_or_b32 exec_lo, exec_lo, s4
	s_and_saveexec_b32 s4, vcc_lo
	s_cbranch_execnz .LBB285_3263
.LBB285_3212:
	s_or_b32 exec_lo, exec_lo, s4
	s_and_saveexec_b32 s4, vcc_lo
	s_cbranch_execz .LBB285_3214
.LBB285_3213:
	ds_read_b32 v24, v24 offset:736
	s_waitcnt lgkmcnt(0)
	v_add_f32_e32 v10, v24, v10
.LBB285_3214:
	s_or_b32 exec_lo, exec_lo, s4
.LBB285_3215:
	s_or_b32 exec_lo, exec_lo, s5
	s_mov_b32 s4, exec_lo
	s_barrier
	buffer_gl0_inv
	v_cmpx_eq_u32_e32 0, v26
	s_cbranch_execz .LBB285_3217
; %bb.3216:
	s_and_b32 s5, 0xffff, s12
	s_mul_i32 s6, s14, 0xc0
	s_cmp_lg_u32 s5, 0
	v_lshrrev_b32_e32 v24, 1, v108
	s_cselect_b32 s5, -1, 0
	;;#ASMSTART
	v_cvt_f16_f32 v7, v7;

	;;#ASMEND
	s_cmp_lg_u32 s5, 0
	s_addc_u32 s5, s15, 0
	s_mul_i32 s7, s5, s10
	s_mul_i32 s10, s16, s5
	;; [unrolled: 1-line block ×3, first 2 shown]
	s_ashr_i32 s11, s10, 31
	s_mulk_i32 s8, 0xc0
	s_ashr_i32 s7, s6, 31
	s_ashr_i32 s9, s8, 31
	s_lshl_b64 s[6:7], s[6:7], 1
	s_lshl_b64 s[8:9], s[8:9], 1
	v_add_co_u32 v25, vcc_lo, v107, s8
	v_add_co_ci_u32_e64 v26, null, s9, v106, vcc_lo
	s_lshl_b64 s[8:9], s[10:11], 1
	v_add_co_u32 v25, vcc_lo, v25, s8
	v_add_co_ci_u32_e64 v26, null, s9, v26, vcc_lo
	v_add_co_u32 v25, vcc_lo, v25, s6
	v_add_co_ci_u32_e64 v26, null, s7, v26, vcc_lo
	;; [unrolled: 2-line block ×3, first 2 shown]
	flat_store_short v[24:25], v7
	;;#ASMSTART
	v_cvt_f16_f32 v6, v6;

	;;#ASMEND
	flat_store_short v[24:25], v6 offset:16
	;;#ASMSTART
	v_cvt_f16_f32 v5, v5;

	;;#ASMEND
	flat_store_short v[24:25], v5 offset:32
	;; [unrolled: 5-line block ×23, first 2 shown]
.LBB285_3217:
	s_or_b32 exec_lo, exec_lo, s4
	s_clause 0x2f
	buffer_load_dword v127, off, s[0:3], s32
	buffer_load_dword v126, off, s[0:3], s32 offset:4
	buffer_load_dword v125, off, s[0:3], s32 offset:8
	;; [unrolled: 1-line block ×47, first 2 shown]
	s_waitcnt vmcnt(0) lgkmcnt(0)
	s_setpc_b64 s[30:31]
.LBB285_3218:
	ds_read_b32 v26, v24
	s_waitcnt lgkmcnt(0)
	v_add_f32_e32 v7, v26, v7
	s_or_b32 exec_lo, exec_lo, s4
	s_and_saveexec_b32 s4, vcc_lo
	s_cbranch_execz .LBB285_3162
.LBB285_3219:
	ds_read_b32 v26, v24 offset:32
	s_waitcnt lgkmcnt(0)
	v_add_f32_e32 v6, v26, v6
	s_or_b32 exec_lo, exec_lo, s4
	s_and_saveexec_b32 s4, vcc_lo
	s_cbranch_execz .LBB285_3163
.LBB285_3220:
	ds_read_b32 v26, v24 offset:64
	s_waitcnt lgkmcnt(0)
	v_add_f32_e32 v5, v26, v5
	s_or_b32 exec_lo, exec_lo, s4
	s_and_saveexec_b32 s4, vcc_lo
	s_cbranch_execz .LBB285_3164
.LBB285_3221:
	ds_read_b32 v26, v24 offset:96
	s_waitcnt lgkmcnt(0)
	v_add_f32_e32 v4, v26, v4
	s_or_b32 exec_lo, exec_lo, s4
	s_and_saveexec_b32 s4, vcc_lo
	s_cbranch_execz .LBB285_3165
.LBB285_3222:
	ds_read_b32 v26, v24 offset:128
	s_waitcnt lgkmcnt(0)
	v_add_f32_e32 v3, v26, v3
	s_or_b32 exec_lo, exec_lo, s4
	s_and_saveexec_b32 s4, vcc_lo
	s_cbranch_execz .LBB285_3166
.LBB285_3223:
	ds_read_b32 v26, v24 offset:160
	s_waitcnt lgkmcnt(0)
	v_add_f32_e32 v2, v26, v2
	s_or_b32 exec_lo, exec_lo, s4
	s_and_saveexec_b32 s4, vcc_lo
	s_cbranch_execz .LBB285_3167
.LBB285_3224:
	ds_read_b32 v26, v24 offset:192
	s_waitcnt lgkmcnt(0)
	v_add_f32_e32 v1, v26, v1
	s_or_b32 exec_lo, exec_lo, s4
	s_and_saveexec_b32 s4, vcc_lo
	s_cbranch_execz .LBB285_3168
.LBB285_3225:
	ds_read_b32 v26, v24 offset:224
	s_waitcnt lgkmcnt(0)
	v_add_f32_e32 v0, v26, v0
	s_or_b32 exec_lo, exec_lo, s4
	s_and_saveexec_b32 s4, vcc_lo
	s_cbranch_execz .LBB285_3169
.LBB285_3226:
	ds_read_b32 v26, v24 offset:256
	s_waitcnt lgkmcnt(0)
	v_add_f32_e32 v23, v26, v23
	s_or_b32 exec_lo, exec_lo, s4
	s_and_saveexec_b32 s4, vcc_lo
	s_cbranch_execz .LBB285_3170
.LBB285_3227:
	ds_read_b32 v26, v24 offset:288
	s_waitcnt lgkmcnt(0)
	v_add_f32_e32 v22, v26, v22
	s_or_b32 exec_lo, exec_lo, s4
	s_and_saveexec_b32 s4, vcc_lo
	s_cbranch_execz .LBB285_3171
.LBB285_3228:
	ds_read_b32 v26, v24 offset:320
	s_waitcnt lgkmcnt(0)
	v_add_f32_e32 v21, v26, v21
	s_or_b32 exec_lo, exec_lo, s4
	s_and_saveexec_b32 s4, vcc_lo
	s_cbranch_execz .LBB285_3172
.LBB285_3229:
	ds_read_b32 v26, v24 offset:352
	s_waitcnt lgkmcnt(0)
	v_add_f32_e32 v20, v26, v20
	s_or_b32 exec_lo, exec_lo, s4
	s_and_saveexec_b32 s4, vcc_lo
	s_cbranch_execz .LBB285_3173
.LBB285_3230:
	ds_read_b32 v26, v24 offset:384
	s_waitcnt lgkmcnt(0)
	v_add_f32_e32 v19, v26, v19
	s_or_b32 exec_lo, exec_lo, s4
	s_and_saveexec_b32 s4, vcc_lo
	s_cbranch_execz .LBB285_3174
.LBB285_3231:
	ds_read_b32 v26, v24 offset:416
	s_waitcnt lgkmcnt(0)
	v_add_f32_e32 v18, v26, v18
	s_or_b32 exec_lo, exec_lo, s4
	s_and_saveexec_b32 s4, vcc_lo
	s_cbranch_execz .LBB285_3175
.LBB285_3232:
	ds_read_b32 v26, v24 offset:448
	s_waitcnt lgkmcnt(0)
	v_add_f32_e32 v17, v26, v17
	s_or_b32 exec_lo, exec_lo, s4
	s_and_saveexec_b32 s4, vcc_lo
	s_cbranch_execz .LBB285_3176
.LBB285_3233:
	ds_read_b32 v26, v24 offset:480
	s_waitcnt lgkmcnt(0)
	v_add_f32_e32 v16, v26, v16
	s_or_b32 exec_lo, exec_lo, s4
	s_and_saveexec_b32 s4, vcc_lo
	s_cbranch_execz .LBB285_3177
.LBB285_3234:
	ds_read_b32 v26, v24 offset:512
	s_waitcnt lgkmcnt(0)
	v_add_f32_e32 v15, v26, v15
	s_or_b32 exec_lo, exec_lo, s4
	s_and_saveexec_b32 s4, vcc_lo
	s_cbranch_execz .LBB285_3178
.LBB285_3235:
	ds_read_b32 v26, v24 offset:544
	s_waitcnt lgkmcnt(0)
	v_add_f32_e32 v14, v26, v14
	s_or_b32 exec_lo, exec_lo, s4
	s_and_saveexec_b32 s4, vcc_lo
	s_cbranch_execz .LBB285_3179
.LBB285_3236:
	ds_read_b32 v26, v24 offset:576
	s_waitcnt lgkmcnt(0)
	v_add_f32_e32 v13, v26, v13
	s_or_b32 exec_lo, exec_lo, s4
	s_and_saveexec_b32 s4, vcc_lo
	s_cbranch_execz .LBB285_3180
.LBB285_3237:
	ds_read_b32 v26, v24 offset:608
	s_waitcnt lgkmcnt(0)
	v_add_f32_e32 v12, v26, v12
	s_or_b32 exec_lo, exec_lo, s4
	s_and_saveexec_b32 s4, vcc_lo
	s_cbranch_execz .LBB285_3181
.LBB285_3238:
	ds_read_b32 v26, v24 offset:640
	s_waitcnt lgkmcnt(0)
	v_add_f32_e32 v11, v26, v11
	s_or_b32 exec_lo, exec_lo, s4
	s_and_saveexec_b32 s4, vcc_lo
	s_cbranch_execz .LBB285_3182
.LBB285_3239:
	ds_read_b32 v26, v24 offset:672
	s_waitcnt lgkmcnt(0)
	v_add_f32_e32 v9, v26, v9
	s_or_b32 exec_lo, exec_lo, s4
	s_and_saveexec_b32 s4, vcc_lo
	s_cbranch_execz .LBB285_3183
.LBB285_3240:
	ds_read_b32 v26, v24 offset:704
	s_waitcnt lgkmcnt(0)
	v_add_f32_e32 v8, v26, v8
	s_or_b32 exec_lo, exec_lo, s4
	s_and_saveexec_b32 s4, vcc_lo
	s_cbranch_execnz .LBB285_3184
	s_branch .LBB285_3185
.LBB285_3241:
	ds_read_b32 v25, v24
	s_waitcnt lgkmcnt(0)
	v_add_f32_e32 v7, v25, v7
	s_or_b32 exec_lo, exec_lo, s4
	s_and_saveexec_b32 s4, vcc_lo
	s_cbranch_execz .LBB285_3191
.LBB285_3242:
	ds_read_b32 v25, v24 offset:32
	s_waitcnt lgkmcnt(0)
	v_add_f32_e32 v6, v25, v6
	s_or_b32 exec_lo, exec_lo, s4
	s_and_saveexec_b32 s4, vcc_lo
	s_cbranch_execz .LBB285_3192
.LBB285_3243:
	ds_read_b32 v25, v24 offset:64
	s_waitcnt lgkmcnt(0)
	v_add_f32_e32 v5, v25, v5
	s_or_b32 exec_lo, exec_lo, s4
	s_and_saveexec_b32 s4, vcc_lo
	s_cbranch_execz .LBB285_3193
.LBB285_3244:
	ds_read_b32 v25, v24 offset:96
	s_waitcnt lgkmcnt(0)
	v_add_f32_e32 v4, v25, v4
	s_or_b32 exec_lo, exec_lo, s4
	s_and_saveexec_b32 s4, vcc_lo
	s_cbranch_execz .LBB285_3194
.LBB285_3245:
	ds_read_b32 v25, v24 offset:128
	s_waitcnt lgkmcnt(0)
	v_add_f32_e32 v3, v25, v3
	s_or_b32 exec_lo, exec_lo, s4
	s_and_saveexec_b32 s4, vcc_lo
	s_cbranch_execz .LBB285_3195
.LBB285_3246:
	ds_read_b32 v25, v24 offset:160
	s_waitcnt lgkmcnt(0)
	v_add_f32_e32 v2, v25, v2
	s_or_b32 exec_lo, exec_lo, s4
	s_and_saveexec_b32 s4, vcc_lo
	s_cbranch_execz .LBB285_3196
.LBB285_3247:
	ds_read_b32 v25, v24 offset:192
	s_waitcnt lgkmcnt(0)
	v_add_f32_e32 v1, v25, v1
	s_or_b32 exec_lo, exec_lo, s4
	s_and_saveexec_b32 s4, vcc_lo
	s_cbranch_execz .LBB285_3197
.LBB285_3248:
	ds_read_b32 v25, v24 offset:224
	s_waitcnt lgkmcnt(0)
	v_add_f32_e32 v0, v25, v0
	s_or_b32 exec_lo, exec_lo, s4
	s_and_saveexec_b32 s4, vcc_lo
	s_cbranch_execz .LBB285_3198
.LBB285_3249:
	ds_read_b32 v25, v24 offset:256
	s_waitcnt lgkmcnt(0)
	v_add_f32_e32 v23, v25, v23
	s_or_b32 exec_lo, exec_lo, s4
	s_and_saveexec_b32 s4, vcc_lo
	s_cbranch_execz .LBB285_3199
.LBB285_3250:
	ds_read_b32 v25, v24 offset:288
	s_waitcnt lgkmcnt(0)
	v_add_f32_e32 v22, v25, v22
	s_or_b32 exec_lo, exec_lo, s4
	s_and_saveexec_b32 s4, vcc_lo
	s_cbranch_execz .LBB285_3200
.LBB285_3251:
	ds_read_b32 v25, v24 offset:320
	s_waitcnt lgkmcnt(0)
	v_add_f32_e32 v21, v25, v21
	s_or_b32 exec_lo, exec_lo, s4
	s_and_saveexec_b32 s4, vcc_lo
	s_cbranch_execz .LBB285_3201
.LBB285_3252:
	ds_read_b32 v25, v24 offset:352
	s_waitcnt lgkmcnt(0)
	v_add_f32_e32 v20, v25, v20
	s_or_b32 exec_lo, exec_lo, s4
	s_and_saveexec_b32 s4, vcc_lo
	s_cbranch_execz .LBB285_3202
.LBB285_3253:
	ds_read_b32 v25, v24 offset:384
	s_waitcnt lgkmcnt(0)
	v_add_f32_e32 v19, v25, v19
	s_or_b32 exec_lo, exec_lo, s4
	s_and_saveexec_b32 s4, vcc_lo
	s_cbranch_execz .LBB285_3203
.LBB285_3254:
	ds_read_b32 v25, v24 offset:416
	s_waitcnt lgkmcnt(0)
	v_add_f32_e32 v18, v25, v18
	s_or_b32 exec_lo, exec_lo, s4
	s_and_saveexec_b32 s4, vcc_lo
	s_cbranch_execz .LBB285_3204
.LBB285_3255:
	ds_read_b32 v25, v24 offset:448
	s_waitcnt lgkmcnt(0)
	v_add_f32_e32 v17, v25, v17
	s_or_b32 exec_lo, exec_lo, s4
	s_and_saveexec_b32 s4, vcc_lo
	s_cbranch_execz .LBB285_3205
.LBB285_3256:
	ds_read_b32 v25, v24 offset:480
	s_waitcnt lgkmcnt(0)
	v_add_f32_e32 v16, v25, v16
	s_or_b32 exec_lo, exec_lo, s4
	s_and_saveexec_b32 s4, vcc_lo
	s_cbranch_execz .LBB285_3206
.LBB285_3257:
	ds_read_b32 v25, v24 offset:512
	s_waitcnt lgkmcnt(0)
	v_add_f32_e32 v15, v25, v15
	s_or_b32 exec_lo, exec_lo, s4
	s_and_saveexec_b32 s4, vcc_lo
	s_cbranch_execz .LBB285_3207
.LBB285_3258:
	ds_read_b32 v25, v24 offset:544
	s_waitcnt lgkmcnt(0)
	v_add_f32_e32 v14, v25, v14
	s_or_b32 exec_lo, exec_lo, s4
	s_and_saveexec_b32 s4, vcc_lo
	s_cbranch_execz .LBB285_3208
.LBB285_3259:
	ds_read_b32 v25, v24 offset:576
	s_waitcnt lgkmcnt(0)
	v_add_f32_e32 v13, v25, v13
	s_or_b32 exec_lo, exec_lo, s4
	s_and_saveexec_b32 s4, vcc_lo
	s_cbranch_execz .LBB285_3209
.LBB285_3260:
	ds_read_b32 v25, v24 offset:608
	s_waitcnt lgkmcnt(0)
	v_add_f32_e32 v12, v25, v12
	s_or_b32 exec_lo, exec_lo, s4
	s_and_saveexec_b32 s4, vcc_lo
	s_cbranch_execz .LBB285_3210
.LBB285_3261:
	ds_read_b32 v25, v24 offset:640
	s_waitcnt lgkmcnt(0)
	v_add_f32_e32 v11, v25, v11
	s_or_b32 exec_lo, exec_lo, s4
	s_and_saveexec_b32 s4, vcc_lo
	s_cbranch_execz .LBB285_3211
.LBB285_3262:
	ds_read_b32 v25, v24 offset:672
	s_waitcnt lgkmcnt(0)
	v_add_f32_e32 v9, v25, v9
	s_or_b32 exec_lo, exec_lo, s4
	s_and_saveexec_b32 s4, vcc_lo
	s_cbranch_execz .LBB285_3212
.LBB285_3263:
	ds_read_b32 v25, v24 offset:704
	s_waitcnt lgkmcnt(0)
	v_add_f32_e32 v8, v25, v8
	s_or_b32 exec_lo, exec_lo, s4
	s_and_saveexec_b32 s4, vcc_lo
	s_cbranch_execnz .LBB285_3213
	s_branch .LBB285_3214
.Lfunc_end285:
	.size	_ZN4vllm22paged_attention_kernelIthLi192ELi32ELi128ELNS_18Fp8KVCacheDataTypeE1ELb1ELi0EEEvPfS2_PT_PKS3_PKT0_S9_ifPKiSB_iPKfiiiSD_SD_iiiii, .Lfunc_end285-_ZN4vllm22paged_attention_kernelIthLi192ELi32ELi128ELNS_18Fp8KVCacheDataTypeE1ELb1ELi0EEEvPfS2_PT_PKS3_PKT0_S9_ifPKiSB_iPKfiiiSD_SD_iiiii
                                        ; -- End function
	.set .L_ZN4vllm22paged_attention_kernelIthLi192ELi32ELi128ELNS_18Fp8KVCacheDataTypeE1ELb1ELi0EEEvPfS2_PT_PKS3_PKT0_S9_ifPKiSB_iPKfiiiSD_SD_iiiii.num_vgpr, 128
	.set .L_ZN4vllm22paged_attention_kernelIthLi192ELi32ELi128ELNS_18Fp8KVCacheDataTypeE1ELb1ELi0EEEvPfS2_PT_PKS3_PKT0_S9_ifPKiSB_iPKfiiiSD_SD_iiiii.num_agpr, 0
	.set .L_ZN4vllm22paged_attention_kernelIthLi192ELi32ELi128ELNS_18Fp8KVCacheDataTypeE1ELb1ELi0EEEvPfS2_PT_PKS3_PKT0_S9_ifPKiSB_iPKfiiiSD_SD_iiiii.numbered_sgpr, 33
	.set .L_ZN4vllm22paged_attention_kernelIthLi192ELi32ELi128ELNS_18Fp8KVCacheDataTypeE1ELb1ELi0EEEvPfS2_PT_PKS3_PKT0_S9_ifPKiSB_iPKfiiiSD_SD_iiiii.num_named_barrier, 0
	.set .L_ZN4vllm22paged_attention_kernelIthLi192ELi32ELi128ELNS_18Fp8KVCacheDataTypeE1ELb1ELi0EEEvPfS2_PT_PKS3_PKT0_S9_ifPKiSB_iPKfiiiSD_SD_iiiii.private_seg_size, 980
	.set .L_ZN4vllm22paged_attention_kernelIthLi192ELi32ELi128ELNS_18Fp8KVCacheDataTypeE1ELb1ELi0EEEvPfS2_PT_PKS3_PKT0_S9_ifPKiSB_iPKfiiiSD_SD_iiiii.uses_vcc, 1
	.set .L_ZN4vllm22paged_attention_kernelIthLi192ELi32ELi128ELNS_18Fp8KVCacheDataTypeE1ELb1ELi0EEEvPfS2_PT_PKS3_PKT0_S9_ifPKiSB_iPKfiiiSD_SD_iiiii.uses_flat_scratch, 0
	.set .L_ZN4vllm22paged_attention_kernelIthLi192ELi32ELi128ELNS_18Fp8KVCacheDataTypeE1ELb1ELi0EEEvPfS2_PT_PKS3_PKT0_S9_ifPKiSB_iPKfiiiSD_SD_iiiii.has_dyn_sized_stack, 0
	.set .L_ZN4vllm22paged_attention_kernelIthLi192ELi32ELi128ELNS_18Fp8KVCacheDataTypeE1ELb1ELi0EEEvPfS2_PT_PKS3_PKT0_S9_ifPKiSB_iPKfiiiSD_SD_iiiii.has_recursion, 0
	.set .L_ZN4vllm22paged_attention_kernelIthLi192ELi32ELi128ELNS_18Fp8KVCacheDataTypeE1ELb1ELi0EEEvPfS2_PT_PKS3_PKT0_S9_ifPKiSB_iPKfiiiSD_SD_iiiii.has_indirect_call, 0
	.section	.AMDGPU.csdata,"",@progbits
; Function info:
; codeLenInByte = 111020
; TotalNumSgprs: 35
; NumVgprs: 128
; ScratchSize: 980
; MemoryBound: 0
	.section	.text._ZN4vllm25paged_attention_v1_kernelIthLi192ELi32ELi128ELNS_18Fp8KVCacheDataTypeE1ELb1EEEvPT_PKS2_PKT0_S8_ifPKiSA_iPKfiiiSC_SC_iiiii,"axG",@progbits,_ZN4vllm25paged_attention_v1_kernelIthLi192ELi32ELi128ELNS_18Fp8KVCacheDataTypeE1ELb1EEEvPT_PKS2_PKT0_S8_ifPKiSA_iPKfiiiSC_SC_iiiii,comdat
	.protected	_ZN4vllm25paged_attention_v1_kernelIthLi192ELi32ELi128ELNS_18Fp8KVCacheDataTypeE1ELb1EEEvPT_PKS2_PKT0_S8_ifPKiSA_iPKfiiiSC_SC_iiiii ; -- Begin function _ZN4vllm25paged_attention_v1_kernelIthLi192ELi32ELi128ELNS_18Fp8KVCacheDataTypeE1ELb1EEEvPT_PKS2_PKT0_S8_ifPKiSA_iPKfiiiSC_SC_iiiii
	.globl	_ZN4vllm25paged_attention_v1_kernelIthLi192ELi32ELi128ELNS_18Fp8KVCacheDataTypeE1ELb1EEEvPT_PKS2_PKT0_S8_ifPKiSA_iPKfiiiSC_SC_iiiii
	.p2align	8
	.type	_ZN4vllm25paged_attention_v1_kernelIthLi192ELi32ELi128ELNS_18Fp8KVCacheDataTypeE1ELb1EEEvPT_PKS2_PKT0_S8_ifPKiSA_iPKfiiiSC_SC_iiiii,@function
_ZN4vllm25paged_attention_v1_kernelIthLi192ELi32ELi128ELNS_18Fp8KVCacheDataTypeE1ELb1EEEvPT_PKS2_PKT0_S8_ifPKiSA_iPKfiiiSC_SC_iiiii: ; @_ZN4vllm25paged_attention_v1_kernelIthLi192ELi32ELi128ELNS_18Fp8KVCacheDataTypeE1ELb1EEEvPT_PKS2_PKT0_S8_ifPKiSA_iPKfiiiSC_SC_iiiii
; %bb.0:
	s_clause 0x7
	s_load_dwordx8 s[16:23], s[4:5], 0x0
	s_load_dwordx4 s[36:39], s[4:5], 0x20
	s_load_dwordx2 s[10:11], s[4:5], 0x30
	s_load_dword s13, s[4:5], 0x38
	s_load_dwordx2 s[34:35], s[4:5], 0x40
	s_load_dwordx8 s[24:31], s[4:5], 0x48
	s_load_dword s15, s[4:5], 0x78
	s_load_dwordx4 s[40:43], s[4:5], 0x68
	s_add_u32 s0, s0, s9
	s_addc_u32 s1, s1, 0
	v_mov_b32_e32 v31, v0
	s_mov_b32 s14, s8
	s_add_u32 s8, s4, 0x80
	s_addc_u32 s9, s5, 0
	s_getpc_b64 s[4:5]
	s_add_u32 s4, s4, _ZN4vllm22paged_attention_kernelIthLi192ELi32ELi128ELNS_18Fp8KVCacheDataTypeE1ELb1ELi0EEEvPfS2_PT_PKS3_PKT0_S9_ifPKiSB_iPKfiiiSD_SD_iiiii@rel32@lo+4
	s_addc_u32 s5, s5, _ZN4vllm22paged_attention_kernelIthLi192ELi32ELi128ELNS_18Fp8KVCacheDataTypeE1ELb1ELi0EEEvPfS2_PT_PKS3_PKT0_S9_ifPKiSB_iPKfiiiSD_SD_iiiii@rel32@hi+12
	s_mov_b32 s12, s6
	s_mov_b32 s32, 0
	s_waitcnt lgkmcnt(0)
	v_mov_b32_e32 v0, s16
	v_mov_b32_e32 v1, s17
	;; [unrolled: 1-line block ×29, first 2 shown]
	s_mov_b32 s13, s7
	s_mov_b32 s15, 43
	s_swappc_b64 s[30:31], s[4:5]
	s_endpgm
	.section	.rodata,"a",@progbits
	.p2align	6, 0x0
	.amdhsa_kernel _ZN4vllm25paged_attention_v1_kernelIthLi192ELi32ELi128ELNS_18Fp8KVCacheDataTypeE1ELb1EEEvPT_PKS2_PKT0_S8_ifPKiSA_iPKfiiiSC_SC_iiiii
		.amdhsa_group_segment_fixed_size 416
		.amdhsa_private_segment_fixed_size 980
		.amdhsa_kernarg_size 384
		.amdhsa_user_sgpr_count 6
		.amdhsa_user_sgpr_private_segment_buffer 1
		.amdhsa_user_sgpr_dispatch_ptr 0
		.amdhsa_user_sgpr_queue_ptr 0
		.amdhsa_user_sgpr_kernarg_segment_ptr 1
		.amdhsa_user_sgpr_dispatch_id 0
		.amdhsa_user_sgpr_flat_scratch_init 0
		.amdhsa_user_sgpr_private_segment_size 0
		.amdhsa_wavefront_size32 1
		.amdhsa_uses_dynamic_stack 0
		.amdhsa_system_sgpr_private_segment_wavefront_offset 1
		.amdhsa_system_sgpr_workgroup_id_x 1
		.amdhsa_system_sgpr_workgroup_id_y 1
		.amdhsa_system_sgpr_workgroup_id_z 1
		.amdhsa_system_sgpr_workgroup_info 0
		.amdhsa_system_vgpr_workitem_id 0
		.amdhsa_next_free_vgpr 128
		.amdhsa_next_free_sgpr 44
		.amdhsa_reserve_vcc 1
		.amdhsa_reserve_flat_scratch 0
		.amdhsa_float_round_mode_32 0
		.amdhsa_float_round_mode_16_64 0
		.amdhsa_float_denorm_mode_32 3
		.amdhsa_float_denorm_mode_16_64 3
		.amdhsa_dx10_clamp 1
		.amdhsa_ieee_mode 1
		.amdhsa_fp16_overflow 0
		.amdhsa_workgroup_processor_mode 1
		.amdhsa_memory_ordered 1
		.amdhsa_forward_progress 1
		.amdhsa_shared_vgpr_count 0
		.amdhsa_exception_fp_ieee_invalid_op 0
		.amdhsa_exception_fp_denorm_src 0
		.amdhsa_exception_fp_ieee_div_zero 0
		.amdhsa_exception_fp_ieee_overflow 0
		.amdhsa_exception_fp_ieee_underflow 0
		.amdhsa_exception_fp_ieee_inexact 0
		.amdhsa_exception_int_div_zero 0
	.end_amdhsa_kernel
	.section	.text._ZN4vllm25paged_attention_v1_kernelIthLi192ELi32ELi128ELNS_18Fp8KVCacheDataTypeE1ELb1EEEvPT_PKS2_PKT0_S8_ifPKiSA_iPKfiiiSC_SC_iiiii,"axG",@progbits,_ZN4vllm25paged_attention_v1_kernelIthLi192ELi32ELi128ELNS_18Fp8KVCacheDataTypeE1ELb1EEEvPT_PKS2_PKT0_S8_ifPKiSA_iPKfiiiSC_SC_iiiii,comdat
.Lfunc_end286:
	.size	_ZN4vllm25paged_attention_v1_kernelIthLi192ELi32ELi128ELNS_18Fp8KVCacheDataTypeE1ELb1EEEvPT_PKS2_PKT0_S8_ifPKiSA_iPKfiiiSC_SC_iiiii, .Lfunc_end286-_ZN4vllm25paged_attention_v1_kernelIthLi192ELi32ELi128ELNS_18Fp8KVCacheDataTypeE1ELb1EEEvPT_PKS2_PKT0_S8_ifPKiSA_iPKfiiiSC_SC_iiiii
                                        ; -- End function
	.set _ZN4vllm25paged_attention_v1_kernelIthLi192ELi32ELi128ELNS_18Fp8KVCacheDataTypeE1ELb1EEEvPT_PKS2_PKT0_S8_ifPKiSA_iPKfiiiSC_SC_iiiii.num_vgpr, max(32, .L_ZN4vllm22paged_attention_kernelIthLi192ELi32ELi128ELNS_18Fp8KVCacheDataTypeE1ELb1ELi0EEEvPfS2_PT_PKS3_PKT0_S9_ifPKiSB_iPKfiiiSD_SD_iiiii.num_vgpr)
	.set _ZN4vllm25paged_attention_v1_kernelIthLi192ELi32ELi128ELNS_18Fp8KVCacheDataTypeE1ELb1EEEvPT_PKS2_PKT0_S8_ifPKiSA_iPKfiiiSC_SC_iiiii.num_agpr, max(0, .L_ZN4vllm22paged_attention_kernelIthLi192ELi32ELi128ELNS_18Fp8KVCacheDataTypeE1ELb1ELi0EEEvPfS2_PT_PKS3_PKT0_S9_ifPKiSB_iPKfiiiSD_SD_iiiii.num_agpr)
	.set _ZN4vllm25paged_attention_v1_kernelIthLi192ELi32ELi128ELNS_18Fp8KVCacheDataTypeE1ELb1EEEvPT_PKS2_PKT0_S8_ifPKiSA_iPKfiiiSC_SC_iiiii.numbered_sgpr, max(44, .L_ZN4vllm22paged_attention_kernelIthLi192ELi32ELi128ELNS_18Fp8KVCacheDataTypeE1ELb1ELi0EEEvPfS2_PT_PKS3_PKT0_S9_ifPKiSB_iPKfiiiSD_SD_iiiii.numbered_sgpr)
	.set _ZN4vllm25paged_attention_v1_kernelIthLi192ELi32ELi128ELNS_18Fp8KVCacheDataTypeE1ELb1EEEvPT_PKS2_PKT0_S8_ifPKiSA_iPKfiiiSC_SC_iiiii.num_named_barrier, max(0, .L_ZN4vllm22paged_attention_kernelIthLi192ELi32ELi128ELNS_18Fp8KVCacheDataTypeE1ELb1ELi0EEEvPfS2_PT_PKS3_PKT0_S9_ifPKiSB_iPKfiiiSD_SD_iiiii.num_named_barrier)
	.set _ZN4vllm25paged_attention_v1_kernelIthLi192ELi32ELi128ELNS_18Fp8KVCacheDataTypeE1ELb1EEEvPT_PKS2_PKT0_S8_ifPKiSA_iPKfiiiSC_SC_iiiii.private_seg_size, 0+max(.L_ZN4vllm22paged_attention_kernelIthLi192ELi32ELi128ELNS_18Fp8KVCacheDataTypeE1ELb1ELi0EEEvPfS2_PT_PKS3_PKT0_S9_ifPKiSB_iPKfiiiSD_SD_iiiii.private_seg_size)
	.set _ZN4vllm25paged_attention_v1_kernelIthLi192ELi32ELi128ELNS_18Fp8KVCacheDataTypeE1ELb1EEEvPT_PKS2_PKT0_S8_ifPKiSA_iPKfiiiSC_SC_iiiii.uses_vcc, or(1, .L_ZN4vllm22paged_attention_kernelIthLi192ELi32ELi128ELNS_18Fp8KVCacheDataTypeE1ELb1ELi0EEEvPfS2_PT_PKS3_PKT0_S9_ifPKiSB_iPKfiiiSD_SD_iiiii.uses_vcc)
	.set _ZN4vllm25paged_attention_v1_kernelIthLi192ELi32ELi128ELNS_18Fp8KVCacheDataTypeE1ELb1EEEvPT_PKS2_PKT0_S8_ifPKiSA_iPKfiiiSC_SC_iiiii.uses_flat_scratch, or(0, .L_ZN4vllm22paged_attention_kernelIthLi192ELi32ELi128ELNS_18Fp8KVCacheDataTypeE1ELb1ELi0EEEvPfS2_PT_PKS3_PKT0_S9_ifPKiSB_iPKfiiiSD_SD_iiiii.uses_flat_scratch)
	.set _ZN4vllm25paged_attention_v1_kernelIthLi192ELi32ELi128ELNS_18Fp8KVCacheDataTypeE1ELb1EEEvPT_PKS2_PKT0_S8_ifPKiSA_iPKfiiiSC_SC_iiiii.has_dyn_sized_stack, or(0, .L_ZN4vllm22paged_attention_kernelIthLi192ELi32ELi128ELNS_18Fp8KVCacheDataTypeE1ELb1ELi0EEEvPfS2_PT_PKS3_PKT0_S9_ifPKiSB_iPKfiiiSD_SD_iiiii.has_dyn_sized_stack)
	.set _ZN4vllm25paged_attention_v1_kernelIthLi192ELi32ELi128ELNS_18Fp8KVCacheDataTypeE1ELb1EEEvPT_PKS2_PKT0_S8_ifPKiSA_iPKfiiiSC_SC_iiiii.has_recursion, or(0, .L_ZN4vllm22paged_attention_kernelIthLi192ELi32ELi128ELNS_18Fp8KVCacheDataTypeE1ELb1ELi0EEEvPfS2_PT_PKS3_PKT0_S9_ifPKiSB_iPKfiiiSD_SD_iiiii.has_recursion)
	.set _ZN4vllm25paged_attention_v1_kernelIthLi192ELi32ELi128ELNS_18Fp8KVCacheDataTypeE1ELb1EEEvPT_PKS2_PKT0_S8_ifPKiSA_iPKfiiiSC_SC_iiiii.has_indirect_call, or(0, .L_ZN4vllm22paged_attention_kernelIthLi192ELi32ELi128ELNS_18Fp8KVCacheDataTypeE1ELb1ELi0EEEvPfS2_PT_PKS3_PKT0_S9_ifPKiSB_iPKfiiiSD_SD_iiiii.has_indirect_call)
	.section	.AMDGPU.csdata,"",@progbits
; Kernel info:
; codeLenInByte = 260
; TotalNumSgprs: 46
; NumVgprs: 128
; ScratchSize: 980
; MemoryBound: 0
; FloatMode: 240
; IeeeMode: 1
; LDSByteSize: 416 bytes/workgroup (compile time only)
; SGPRBlocks: 0
; VGPRBlocks: 15
; NumSGPRsForWavesPerEU: 46
; NumVGPRsForWavesPerEU: 128
; Occupancy: 8
; WaveLimiterHint : 1
; COMPUTE_PGM_RSRC2:SCRATCH_EN: 1
; COMPUTE_PGM_RSRC2:USER_SGPR: 6
; COMPUTE_PGM_RSRC2:TRAP_HANDLER: 0
; COMPUTE_PGM_RSRC2:TGID_X_EN: 1
; COMPUTE_PGM_RSRC2:TGID_Y_EN: 1
; COMPUTE_PGM_RSRC2:TGID_Z_EN: 1
; COMPUTE_PGM_RSRC2:TIDIG_COMP_CNT: 0
	.text
	.p2align	2                               ; -- Begin function _ZN4vllm22paged_attention_kernelIthLi256ELi32ELi128ELNS_18Fp8KVCacheDataTypeE1ELb1ELi0EEEvPfS2_PT_PKS3_PKT0_S9_ifPKiSB_iPKfiiiSD_SD_iiiii
	.type	_ZN4vllm22paged_attention_kernelIthLi256ELi32ELi128ELNS_18Fp8KVCacheDataTypeE1ELb1ELi0EEEvPfS2_PT_PKS3_PKT0_S9_ifPKiSB_iPKfiiiSD_SD_iiiii,@function
_ZN4vllm22paged_attention_kernelIthLi256ELi32ELi128ELNS_18Fp8KVCacheDataTypeE1ELb1ELi0EEEvPfS2_PT_PKS3_PKT0_S9_ifPKiSB_iPKfiiiSD_SD_iiiii: ; @_ZN4vllm22paged_attention_kernelIthLi256ELi32ELi128ELNS_18Fp8KVCacheDataTypeE1ELb1ELi0EEEvPfS2_PT_PKS3_PKT0_S9_ifPKiSB_iPKfiiiSD_SD_iiiii
; %bb.0:
	s_waitcnt vmcnt(0) expcnt(0) lgkmcnt(0)
	buffer_store_dword v40, off, s[0:3], s32 offset:188 ; 4-byte Folded Spill
	buffer_store_dword v41, off, s[0:3], s32 offset:184 ; 4-byte Folded Spill
	;; [unrolled: 1-line block ×47, first 2 shown]
	buffer_store_dword v127, off, s[0:3], s32 ; 4-byte Folded Spill
	s_mov_b32 s16, s13
	s_ashr_i32 s17, s13, 31
	buffer_store_dword v20, off, s[0:3], s32 offset:1232 ; 4-byte Folded Spill
	buffer_store_dword v21, off, s[0:3], s32 offset:1236 ; 4-byte Folded Spill
	;; [unrolled: 1-line block ×6, first 2 shown]
	s_lshl_b64 s[6:7], s[16:17], 2
	buffer_store_dword v1, off, s[0:3], s32 offset:1272 ; 4-byte Folded Spill
	buffer_store_dword v0, off, s[0:3], s32 offset:1276 ; 4-byte Folded Spill
	v_add_co_u32 v0, vcc_lo, v12, s6
	v_add_co_ci_u32_e64 v1, null, s7, v13, vcc_lo
	s_clause 0x1
	s_load_dword s5, s[8:9], 0x10
	s_load_dword s6, s[8:9], 0x0
	v_mov_b32_e32 v32, v6
	flat_load_dword v0, v[0:1]
	s_mov_b32 s4, s15
	v_mov_b32_e32 v18, v7
	s_waitcnt lgkmcnt(0)
	s_lshr_b32 s5, s5, 16
	s_cmp_lg_u32 s5, 0
	s_cselect_b32 s5, -1, 0
	s_cmp_lg_u32 s5, 0
	s_addc_u32 s15, s6, 0
	s_mov_b32 s6, exec_lo
	s_abs_i32 s5, s15
	s_waitcnt vmcnt(0)
	buffer_store_dword v0, off, s[0:3], s32 offset:740 ; 4-byte Folded Spill
	v_sub_nc_u32_e32 v0, 0, v8
	v_max_i32_e32 v0, v8, v0
	v_cvt_f32_u32_e32 v1, v0
	v_sub_nc_u32_e32 v6, 0, v0
	v_rcp_iflag_f32_e32 v1, v1
	v_mul_f32_e32 v1, 0x4f7ffffe, v1
	v_cvt_u32_f32_e32 v1, v1
	v_mul_lo_u32 v6, v6, v1
	v_mul_hi_u32 v6, v1, v6
	v_add_nc_u32_e32 v1, v1, v6
	v_mul_hi_u32 v1, s5, v1
	v_mul_lo_u32 v6, v1, v0
	v_add_nc_u32_e32 v7, 1, v1
	v_sub_nc_u32_e32 v6, s5, v6
	s_abs_i32 s5, s12
	v_sub_nc_u32_e32 v9, v6, v0
	v_cmp_ge_u32_e32 vcc_lo, v6, v0
	v_cndmask_b32_e32 v1, v1, v7, vcc_lo
	v_cndmask_b32_e32 v6, v6, v9, vcc_lo
	v_xor_b32_e32 v7, s15, v8
	v_add_nc_u32_e32 v9, 1, v1
	v_cmp_ge_u32_e32 vcc_lo, v6, v0
	v_ashrrev_i32_e32 v7, 31, v7
	v_cndmask_b32_e32 v0, v1, v9, vcc_lo
	v_xor_b32_e32 v0, v0, v7
	v_sub_nc_u32_e32 v1, v0, v7
	v_sub_nc_u32_e32 v0, 0, v1
	v_max_i32_e32 v0, v1, v0
	v_cvt_f32_u32_e32 v6, v0
	v_sub_nc_u32_e32 v7, 0, v0
	v_rcp_iflag_f32_e32 v6, v6
	v_mul_f32_e32 v6, 0x4f7ffffe, v6
	v_cvt_u32_f32_e32 v6, v6
	v_mul_lo_u32 v7, v7, v6
	v_mul_hi_u32 v7, v6, v7
	v_add_nc_u32_e32 v6, v6, v7
	v_mad_u64_u32 v[12:13], null, s5, v6, 0
	v_mov_b32_e32 v6, 0
	buffer_store_dword v6, off, s[0:3], s32 offset:1228 ; 4-byte Folded Spill
	v_cmpx_ne_u64_e32 0, v[15:16]
	s_cbranch_execz .LBB287_2
; %bb.1:
	s_ashr_i32 s13, s12, 31
	s_lshl_b64 s[10:11], s[12:13], 2
	v_add_co_u32 v6, vcc_lo, v15, s10
	v_add_co_ci_u32_e64 v7, null, s11, v16, vcc_lo
	flat_load_dword v6, v[6:7]
	s_waitcnt vmcnt(0) lgkmcnt(0)
	buffer_store_dword v6, off, s[0:3], s32 offset:1228 ; 4-byte Folded Spill
.LBB287_2:
	s_or_b32 exec_lo, exec_lo, s6
	v_and_b32_e32 v6, 0x3ff, v31
	v_ashrrev_i32_e32 v1, 31, v1
	s_ashr_i32 s6, s12, 31
	s_lshl_b32 s18, s12, 8
	s_mov_b32 s7, exec_lo
	buffer_store_dword v6, off, s[0:3], s32 offset:1256 ; 4-byte Folded Spill
	v_cmpx_gt_u32_e32 32, v6
	s_cbranch_execz .LBB287_4
; %bb.3:
	buffer_load_dword v9, off, s[0:3], s32 offset:1256 ; 4-byte Folded Reload
	v_mul_lo_u32 v6, v17, s16
	s_ashr_i32 s19, s18, 31
	s_lshl_b64 s[10:11], s[18:19], 1
	v_ashrrev_i32_e32 v7, 31, v6
	v_lshlrev_b64 v[6:7], 1, v[6:7]
	v_add_co_u32 v2, vcc_lo, v2, v6
	v_add_co_ci_u32_e64 v3, null, v3, v7, vcc_lo
	v_add_co_u32 v2, vcc_lo, v2, s10
	v_add_co_ci_u32_e64 v3, null, s11, v3, vcc_lo
	s_waitcnt vmcnt(0)
	v_lshlrev_b32_e32 v15, 4, v9
	v_add_co_u32 v2, vcc_lo, v2, v15
	v_add_co_ci_u32_e64 v3, null, 0, v3, vcc_lo
	flat_load_dwordx4 v[9:12], v[2:3]
	s_waitcnt vmcnt(0) lgkmcnt(0)
	ds_write_b128 v15, v[9:12]
.LBB287_4:
	s_or_b32 exec_lo, exec_lo, s7
	v_sub_nc_u32_e32 v2, 0, v27
	v_mul_lo_u32 v3, v13, v0
	v_xor_b32_e32 v1, s6, v1
	v_max_i32_e32 v7, v27, v2
	v_sub_nc_u32_e32 v3, s5, v3
	v_cvt_f32_u32_e32 v2, v7
	buffer_store_dword v7, off, s[0:3], s32 offset:196 ; 4-byte Folded Spill
	s_mov_b32 s5, exec_lo
	v_sub_nc_u32_e32 v9, v3, v0
	v_rcp_iflag_f32_e32 v2, v2
	v_cmp_ge_u32_e32 vcc_lo, v3, v0
	v_cndmask_b32_e32 v3, v3, v9, vcc_lo
	v_mul_f32_e32 v2, 0x4f7ffffe, v2
	v_cvt_u32_f32_e32 v6, v2
	v_sub_nc_u32_e32 v2, 0, v7
	v_add_nc_u32_e32 v7, 1, v13
	v_mul_lo_u32 v10, v2, v6
	buffer_load_dword v2, off, s[0:3], s32 offset:740 ; 4-byte Folded Reload
	v_cndmask_b32_e32 v7, v13, v7, vcc_lo
	v_cmp_ge_u32_e32 vcc_lo, v3, v0
	v_add_nc_u32_e32 v9, 1, v7
	v_mul_hi_u32 v10, v6, v10
	v_cndmask_b32_e32 v3, v7, v9, vcc_lo
	v_add_nc_u32_e32 v6, v6, v10
	v_xor_b32_e32 v3, v3, v1
	buffer_store_dword v6, off, s[0:3], s32 offset:212 ; 4-byte Folded Spill
	s_waitcnt vmcnt(0) lgkmcnt(0)
	s_waitcnt_vscnt null, 0x0
	s_barrier
	buffer_gl0_inv
	v_add_nc_u32_e32 v2, -1, v2
	v_sub_nc_u32_e32 v11, 0, v2
	v_max_i32_e32 v0, v2, v11
	v_mad_u64_u32 v[12:13], null, v0, v6, 0
	v_sub_nc_u32_e32 v12, v3, v1
                                        ; implicit-def: $vgpr1
	buffer_store_dword v1, off, s[0:3], s32 offset:200 ; 4-byte Folded Spill
	buffer_store_dword v2, off, s[0:3], s32 offset:204 ; 4-byte Folded Spill
	v_cmpx_gt_i32_e32 0, v28
	s_xor_b32 s5, exec_lo, s5
	s_cbranch_execz .LBB287_6
; %bb.5:
	v_mad_u64_u32 v[6:7], null, v24, v8, v[12:13]
                                        ; implicit-def: $vgpr24
	v_mul_lo_u32 v1, v6, v28
                                        ; implicit-def: $vgpr28
	v_sub_nc_u32_e32 v1, 1, v1
	buffer_store_dword v1, off, s[0:3], s32 offset:200 ; 4-byte Folded Spill
	buffer_store_dword v2, off, s[0:3], s32 offset:204 ; 4-byte Folded Spill
.LBB287_6:
	s_or_saveexec_b32 s5, s5
	v_ashrrev_i32_e32 v1, 31, v2
	v_ashrrev_i32_e32 v2, 31, v27
	buffer_store_dword v2, off, s[0:3], s32 offset:208 ; 4-byte Folded Spill
	s_xor_b32 exec_lo, exec_lo, s5
	s_cbranch_execz .LBB287_8
; %bb.7:
	v_mad_u64_u32 v[2:3], null, s15, v24, s[12:13]
	v_mad_u64_u32 v[2:3], null, v2, v28, 1
	buffer_store_dword v2, off, s[0:3], s32 offset:200 ; 4-byte Folded Spill
	buffer_store_dword v3, off, s[0:3], s32 offset:204 ; 4-byte Folded Spill
.LBB287_8:
	s_or_b32 exec_lo, exec_lo, s5
	buffer_load_dword v15, off, s[0:3], s32 offset:196 ; 4-byte Folded Reload
	s_clause 0x1
	s_load_dword s7, s[8:9], 0x14
	s_load_dword s13, s[8:9], 0x8
	s_clause 0x1
	buffer_load_dword v6, off, s[0:3], s32 offset:208
	buffer_load_dword v9, off, s[0:3], s32 offset:1256
	v_add_nc_u32_e32 v3, 1, v13
	s_ashr_i32 s5, s4, 31
	s_getpc_b64 s[8:9]
	s_add_u32 s8, s8, llvm.amdgcn.dynlds.offset.table@rel32@lo+4
	s_addc_u32 s9, s9, llvm.amdgcn.dynlds.offset.table@rel32@hi+12
	v_mov_b32_e32 v20, 0xff7fffff
	s_lshl_b64 s[10:11], s[4:5], 2
	s_add_u32 s20, s8, s10
	s_addc_u32 s21, s9, s11
	s_waitcnt vmcnt(2)
	v_mul_lo_u32 v2, v13, v15
	s_waitcnt vmcnt(1)
	v_xor_b32_e32 v6, v1, v6
	buffer_load_dword v1, off, s[0:3], s32 offset:740 ; 4-byte Folded Reload
	s_waitcnt vmcnt(1)
	v_lshrrev_b32_e32 v10, 5, v9
	v_and_b32_e32 v11, 31, v9
	v_sub_nc_u32_e32 v2, v0, v2
	v_mul_lo_u32 v0, v14, s16
	buffer_store_dword v11, off, s[0:3], s32 offset:1224 ; 4-byte Folded Spill
	v_lshlrev_b32_e32 v16, 2, v11
	v_sub_nc_u32_e32 v14, 0, v26
	v_sub_nc_u32_e32 v7, v2, v15
	v_cmp_ge_u32_e32 vcc_lo, v2, v15
	v_cndmask_b32_e32 v3, v13, v3, vcc_lo
	v_cndmask_b32_e32 v2, v2, v7, vcc_lo
	v_mul_lo_u32 v13, v12, v19
	v_add_nc_u32_e32 v7, 1, v3
	v_cmp_ge_u32_e32 vcc_lo, v2, v15
	v_ashrrev_i32_e32 v15, 31, v13
	v_cndmask_b32_e32 v2, v3, v7, vcc_lo
	v_xor_b32_e32 v2, v2, v6
	v_sub_nc_u32_e32 v2, v2, v6
	s_waitcnt vmcnt(0)
	v_add_nc_u32_e32 v1, 31, v1
	v_ashrrev_i32_e32 v8, 31, v1
	v_lshrrev_b32_e32 v8, 27, v8
	v_add_nc_u32_e32 v3, v1, v8
	v_lshlrev_b32_e32 v1, 5, v10
	v_ashrrev_i32_e32 v3, 5, v3
	buffer_store_dword v1, off, s[0:3], s32 offset:1280 ; 4-byte Folded Spill
	v_ashrrev_i32_e32 v1, 31, v0
	buffer_store_dword v10, off, s[0:3], s32 offset:1260 ; 4-byte Folded Spill
	buffer_store_dword v3, off, s[0:3], s32 offset:192 ; 4-byte Folded Spill
	v_cmp_lt_i32_e64 s4, v10, v3
	v_lshrrev_b32_e32 v10, 3, v9
	v_lshlrev_b64 v[11:12], 2, v[0:1]
	v_sub_nc_u32_e32 v0, v2, v25
	buffer_store_dword v0, off, s[0:3], s32 offset:216 ; 4-byte Folded Spill
	s_and_saveexec_b32 s10, s4
	s_cbranch_execz .LBB287_2064
; %bb.9:
	v_add_co_u32 v1, vcc_lo, v4, v13
	buffer_store_dword v32, off, s[0:3], s32 offset:1292 ; 4-byte Folded Spill
	buffer_store_dword v18, off, s[0:3], s32 offset:1288 ; 4-byte Folded Spill
	;; [unrolled: 1-line block ×4, first 2 shown]
	v_add_co_ci_u32_e64 v2, null, v5, v15, vcc_lo
	s_clause 0x2
	buffer_load_dword v6, off, s[0:3], s32 offset:1224
	buffer_load_dword v5, off, s[0:3], s32 offset:1228
	;; [unrolled: 1-line block ×3, first 2 shown]
	v_max_i32_e32 v7, v26, v14
	s_load_dword s11, s[20:21], 0x0
	buffer_store_dword v13, off, s[0:3], s32 offset:1304 ; 4-byte Folded Spill
	buffer_store_dword v15, off, s[0:3], s32 offset:1316 ; 4-byte Folded Spill
	;; [unrolled: 1-line block ×3, first 2 shown]
	v_cvt_f32_u32_e32 v0, v7
	buffer_store_dword v7, off, s[0:3], s32 offset:812 ; 4-byte Folded Spill
	buffer_store_dword v10, off, s[0:3], s32 offset:1308 ; 4-byte Folded Spill
	v_mov_b32_e32 v4, 0
	v_mov_b32_e32 v64, 0x80
	v_rcp_iflag_f32_e32 v0, v0
	v_mov_b32_e32 v20, 0xff7fffff
	s_mov_b32 s8, -1
	s_mov_b32 s12, 0
	s_mov_b32 s9, 0xffffff
	v_mul_f32_e32 v0, 0x4f7ffffe, v0
	v_cvt_u32_f32_e32 v0, v0
	s_waitcnt vmcnt(1)
	v_cmp_neq_f32_e32 vcc_lo, 0, v5
	v_sub_nc_u32_e32 v5, 0, v7
	buffer_load_dword v7, off, s[0:3], s32 offset:740 ; 4-byte Folded Reload
	v_lshlrev_b32_e32 v3, 4, v6
	s_waitcnt vmcnt(1)
	v_lshl_or_b32 v24, v8, 7, v16
	v_lshlrev_b32_e32 v122, 5, v8
	v_mul_lo_u32 v5, v5, v0
	v_add_co_u32 v1, s5, v1, v3
	v_add_co_ci_u32_e64 v2, null, 0, v2, s5
	buffer_store_dword v1, off, s[0:3], s32 offset:1244 ; 4-byte Folded Spill
	buffer_store_dword v2, off, s[0:3], s32 offset:1248 ; 4-byte Folded Spill
	v_mul_hi_u32 v1, v0, v5
	v_add_nc_u32_e32 v0, v0, v1
	s_waitcnt vmcnt(0)
	v_sub_nc_u32_e32 v6, v6, v7
	v_and_b32_e32 v7, 0x7c, v10
	v_add_nc_u32_e32 v5, 1, v6
	v_add_co_u32 v2, s5, v7, v11
	buffer_store_dword v11, off, s[0:3], s32 offset:1296 ; 4-byte Folded Spill
	buffer_store_dword v12, off, s[0:3], s32 offset:1300 ; 4-byte Folded Spill
	buffer_store_dword v0, off, s[0:3], s32 offset:816 ; 4-byte Folded Spill
	buffer_store_dword v5, off, s[0:3], s32 offset:1252 ; 4-byte Folded Spill
	buffer_load_dword v5, off, s[0:3], s32 offset:1268 ; 4-byte Folded Reload
	v_add_co_ci_u32_e64 v3, null, 0, v12, s5
	s_waitcnt vmcnt(0)
	v_add_co_u32 v16, s5, v5, v2
	buffer_load_dword v2, off, s[0:3], s32 offset:1264 ; 4-byte Folded Reload
	s_waitcnt vmcnt(0)
	v_add_co_ci_u32_e64 v17, null, v2, v3, s5
	s_branch .LBB287_15
.LBB287_10:                             ;   in Loop: Header=BB287_15 Depth=1
	s_or_b32 exec_lo, exec_lo, s23
	v_lshlrev_b32_e32 v3, 8, v3
	v_lshl_add_u32 v12, v25, 10, 0x2000
	v_and_or_b32 v3, 0x8000, v3, v12
	v_lshlrev_b32_e32 v12, 23, v24
	v_lshl_or_b32 v24, v3, 16, v12
.LBB287_11:                             ;   in Loop: Header=BB287_15 Depth=1
	s_or_b32 exec_lo, exec_lo, s22
.LBB287_12:                             ;   in Loop: Header=BB287_15 Depth=1
	s_or_b32 exec_lo, exec_lo, s19
.LBB287_13:                             ;   in Loop: Header=BB287_15 Depth=1
	s_or_b32 exec_lo, exec_lo, s17
	v_or_b32_e32 v1, v52, v1
	v_or_b32_e32 v3, v102, v112
	v_fma_mixlo_f16 v12, v71, v102, 0 op_sel:[0,1,0] op_sel_hi:[0,1,0]
	v_or_b32_e32 v0, v28, v0
	v_fma_mixlo_f16 v1, v71, v1, 0 op_sel_hi:[0,1,0]
	v_fma_mixlo_f16 v3, v71, v3, 0 op_sel_hi:[0,1,0]
	buffer_store_dword v12, off, s[0:3], s32 offset:844 ; 4-byte Folded Spill
	v_fma_mixlo_f16 v12, v71, v107, 0 op_sel:[0,1,0] op_sel_hi:[0,1,0]
	v_fma_mixlo_f16 v0, v71, v0, 0 op_sel_hi:[0,1,0]
	buffer_store_dword v1, off, s[0:3], s32 offset:976 ; 4-byte Folded Spill
	v_or_b32_e32 v1, v80, v126
	buffer_store_dword v3, off, s[0:3], s32 offset:848 ; 4-byte Folded Spill
	v_or_b32_e32 v3, v107, v67
	buffer_store_dword v12, off, s[0:3], s32 offset:852 ; 4-byte Folded Spill
	v_fma_mixlo_f16 v12, v71, v58, 0 op_sel:[0,1,0] op_sel_hi:[0,1,0]
	v_fma_mixlo_f16 v1, v71, v1, 0 op_sel_hi:[0,1,0]
	v_fma_mixlo_f16 v3, v71, v3, 0 op_sel_hi:[0,1,0]
	buffer_store_dword v12, off, s[0:3], s32 offset:836 ; 4-byte Folded Spill
	buffer_store_dword v1, off, s[0:3], s32 offset:984 ; 4-byte Folded Spill
	v_or_b32_e32 v1, v7, v86
	buffer_store_dword v3, off, s[0:3], s32 offset:856 ; 4-byte Folded Spill
	v_or_b32_e32 v3, v58, v115
	v_fma_mixlo_f16 v12, v71, v123, 0 op_sel:[0,1,0] op_sel_hi:[0,1,0]
	v_fma_mixlo_f16 v1, v71, v1, 0 op_sel_hi:[0,1,0]
	v_fma_mixlo_f16 v3, v71, v3, 0 op_sel_hi:[0,1,0]
	buffer_store_dword v12, off, s[0:3], s32 offset:876 ; 4-byte Folded Spill
	v_fma_mixlo_f16 v12, v71, v91, 0 op_sel:[0,1,0] op_sel_hi:[0,1,0]
	buffer_store_dword v1, off, s[0:3], s32 offset:968 ; 4-byte Folded Spill
	v_or_b32_e32 v1, v127, v50
	buffer_store_dword v3, off, s[0:3], s32 offset:840 ; 4-byte Folded Spill
	v_or_b32_e32 v3, v103, v69
	buffer_store_dword v12, off, s[0:3], s32 offset:884 ; 4-byte Folded Spill
	v_fma_mixlo_f16 v12, v71, v53, 0 op_sel:[0,1,0] op_sel_hi:[0,1,0]
	v_fma_mixlo_f16 v1, v71, v1, 0 op_sel_hi:[0,1,0]
	v_fma_mixlo_f16 v3, v71, v3, 0 op_sel_hi:[0,1,0]
	buffer_store_dword v12, off, s[0:3], s32 offset:868 ; 4-byte Folded Spill
	buffer_store_dword v1, off, s[0:3], s32 offset:960 ; 4-byte Folded Spill
	v_fma_mixlo_f16 v1, v71, v127, 0 op_sel:[0,1,0] op_sel_hi:[0,1,0]
	buffer_store_dword v3, off, s[0:3], s32 offset:832 ; 4-byte Folded Spill
	v_fma_mixlo_f16 v3, v71, v103, 0 op_sel:[0,1,0] op_sel_hi:[0,1,0]
	v_fma_mixlo_f16 v12, v71, v99, 0 op_sel:[0,1,0] op_sel_hi:[0,1,0]
	buffer_store_dword v1, off, s[0:3], s32 offset:956 ; 4-byte Folded Spill
	v_or_b32_e32 v1, v59, v84
	buffer_store_dword v3, off, s[0:3], s32 offset:828 ; 4-byte Folded Spill
	v_or_b32_e32 v3, v123, v113
	buffer_store_dword v12, off, s[0:3], s32 offset:908 ; 4-byte Folded Spill
	v_fma_mixlo_f16 v12, v71, v51, 0 op_sel:[0,1,0] op_sel_hi:[0,1,0]
	v_fma_mixlo_f16 v1, v71, v1, 0 op_sel_hi:[0,1,0]
	v_fma_mixlo_f16 v3, v71, v3, 0 op_sel_hi:[0,1,0]
	buffer_store_dword v12, off, s[0:3], s32 offset:916 ; 4-byte Folded Spill
	buffer_store_dword v1, off, s[0:3], s32 offset:1008 ; 4-byte Folded Spill
	v_or_b32_e32 v1, v61, v6
	buffer_store_dword v3, off, s[0:3], s32 offset:880 ; 4-byte Folded Spill
	v_or_b32_e32 v3, v91, v72
	v_fma_mixlo_f16 v12, v71, v119, 0 op_sel:[0,1,0] op_sel_hi:[0,1,0]
	v_fma_mixlo_f16 v1, v71, v1, 0 op_sel_hi:[0,1,0]
	v_fma_mixlo_f16 v3, v71, v3, 0 op_sel_hi:[0,1,0]
	buffer_store_dword v12, off, s[0:3], s32 offset:900 ; 4-byte Folded Spill
	v_fma_mixlo_f16 v12, v71, v81, 0 op_sel:[0,1,0] op_sel_hi:[0,1,0]
	buffer_store_dword v1, off, s[0:3], s32 offset:1016 ; 4-byte Folded Spill
	v_or_b32_e32 v1, v117, v114
	buffer_store_dword v3, off, s[0:3], s32 offset:888 ; 4-byte Folded Spill
	v_or_b32_e32 v3, v53, v88
	buffer_store_dword v12, off, s[0:3], s32 offset:940 ; 4-byte Folded Spill
	v_fma_mixlo_f16 v1, v71, v1, 0 op_sel_hi:[0,1,0]
	v_fma_mixlo_f16 v3, v71, v3, 0 op_sel_hi:[0,1,0]
	buffer_store_dword v1, off, s[0:3], s32 offset:1000 ; 4-byte Folded Spill
	v_or_b32_e32 v1, v54, v43
	buffer_store_dword v3, off, s[0:3], s32 offset:872 ; 4-byte Folded Spill
	v_or_b32_e32 v3, v96, v74
	v_fma_mixlo_f16 v1, v71, v1, 0 op_sel_hi:[0,1,0]
	v_fma_mixlo_f16 v3, v71, v3, 0 op_sel_hi:[0,1,0]
	buffer_store_dword v1, off, s[0:3], s32 offset:992 ; 4-byte Folded Spill
	v_fma_mixlo_f16 v1, v71, v54, 0 op_sel:[0,1,0] op_sel_hi:[0,1,0]
	buffer_store_dword v3, off, s[0:3], s32 offset:864 ; 4-byte Folded Spill
	v_fma_mixlo_f16 v3, v71, v96, 0 op_sel:[0,1,0] op_sel_hi:[0,1,0]
	buffer_store_dword v1, off, s[0:3], s32 offset:988 ; 4-byte Folded Spill
	v_or_b32_e32 v1, v45, v108
	buffer_store_dword v3, off, s[0:3], s32 offset:860 ; 4-byte Folded Spill
	v_or_b32_e32 v3, v99, v40
	v_fma_mixlo_f16 v1, v71, v1, 0 op_sel_hi:[0,1,0]
	v_fma_mixlo_f16 v3, v71, v3, 0 op_sel_hi:[0,1,0]
	buffer_store_dword v1, off, s[0:3], s32 offset:1040 ; 4-byte Folded Spill
	v_or_b32_e32 v1, v105, v95
	buffer_store_dword v3, off, s[0:3], s32 offset:912 ; 4-byte Folded Spill
	v_or_b32_e32 v3, v51, v19
	v_fma_mixlo_f16 v1, v71, v1, 0 op_sel_hi:[0,1,0]
	v_fma_mixlo_f16 v3, v71, v3, 0 op_sel_hi:[0,1,0]
	;; [unrolled: 6-line block ×4, first 2 shown]
	buffer_store_dword v1, off, s[0:3], s32 offset:1024 ; 4-byte Folded Spill
	v_fma_mixlo_f16 v1, v71, v124, 0 op_sel:[0,1,0] op_sel_hi:[0,1,0]
	buffer_store_dword v3, off, s[0:3], s32 offset:896 ; 4-byte Folded Spill
	v_fma_mixlo_f16 v3, v71, v56, 0 op_sel:[0,1,0] op_sel_hi:[0,1,0]
	buffer_store_dword v1, off, s[0:3], s32 offset:1020 ; 4-byte Folded Spill
	v_or_b32_e32 v1, v92, v120
	buffer_store_dword v3, off, s[0:3], s32 offset:892 ; 4-byte Folded Spill
	v_or_b32_e32 v3, v81, v110
	v_fma_mixlo_f16 v1, v71, v1, 0 op_sel_hi:[0,1,0]
	v_fma_mixlo_f16 v3, v71, v3, 0 op_sel_hi:[0,1,0]
	buffer_store_dword v1, off, s[0:3], s32 offset:1072 ; 4-byte Folded Spill
	v_or_b32_e32 v1, v30, v89
	buffer_store_dword v3, off, s[0:3], s32 offset:944 ; 4-byte Folded Spill
	v_or_b32_e32 v3, v10, v66
	v_fma_mixlo_f16 v10, v71, v10, 0 op_sel:[0,1,0] op_sel_hi:[0,1,0]
	v_fma_mixlo_f16 v1, v71, v1, 0 op_sel_hi:[0,1,0]
	v_fma_mixlo_f16 v3, v71, v3, 0 op_sel_hi:[0,1,0]
	buffer_store_dword v10, off, s[0:3], s32 offset:948 ; 4-byte Folded Spill
	v_fma_mixlo_f16 v10, v71, v31, 0 op_sel:[0,1,0] op_sel_hi:[0,1,0]
	buffer_store_dword v1, off, s[0:3], s32 offset:1080 ; 4-byte Folded Spill
	v_or_b32_e32 v1, v94, v101
	buffer_store_dword v3, off, s[0:3], s32 offset:952 ; 4-byte Folded Spill
	v_or_b32_e32 v3, v31, v13
	buffer_store_dword v10, off, s[0:3], s32 offset:932 ; 4-byte Folded Spill
	v_fma_mixlo_f16 v1, v71, v1, 0 op_sel_hi:[0,1,0]
	v_fma_mixlo_f16 v3, v71, v3, 0 op_sel_hi:[0,1,0]
	buffer_store_dword v1, off, s[0:3], s32 offset:1064 ; 4-byte Folded Spill
	v_or_b32_e32 v1, v65, v42
	buffer_store_dword v3, off, s[0:3], s32 offset:936 ; 4-byte Folded Spill
	v_or_b32_e32 v3, v87, v33
	v_fma_mixlo_f16 v1, v71, v1, 0 op_sel_hi:[0,1,0]
	v_fma_mixlo_f16 v3, v71, v3, 0 op_sel_hi:[0,1,0]
	buffer_store_dword v1, off, s[0:3], s32 offset:1056 ; 4-byte Folded Spill
	v_fma_mixlo_f16 v1, v71, v65, 0 op_sel:[0,1,0] op_sel_hi:[0,1,0]
	buffer_store_dword v3, off, s[0:3], s32 offset:928 ; 4-byte Folded Spill
	v_fma_mixlo_f16 v3, v71, v87, 0 op_sel:[0,1,0] op_sel_hi:[0,1,0]
	buffer_store_dword v1, off, s[0:3], s32 offset:1052 ; 4-byte Folded Spill
	v_or_b32_e32 v1, v36, v32
	buffer_store_dword v3, off, s[0:3], s32 offset:924 ; 4-byte Folded Spill
	v_fma_mixlo_f16 v3, v71, v52, 0 op_sel:[0,1,0] op_sel_hi:[0,1,0]
	v_fma_mixlo_f16 v1, v71, v1, 0 op_sel_hi:[0,1,0]
	buffer_store_dword v3, off, s[0:3], s32 offset:972 ; 4-byte Folded Spill
	v_fma_mixlo_f16 v3, v71, v80, 0 op_sel:[0,1,0] op_sel_hi:[0,1,0]
	buffer_store_dword v1, off, s[0:3], s32 offset:1104 ; 4-byte Folded Spill
	v_or_b32_e32 v1, v73, v20
	buffer_store_dword v3, off, s[0:3], s32 offset:980 ; 4-byte Folded Spill
	v_fma_mixlo_f16 v3, v71, v7, 0 op_sel:[0,1,0] op_sel_hi:[0,1,0]
	v_fma_mixlo_f16 v1, v71, v1, 0 op_sel_hi:[0,1,0]
	;; [unrolled: 7-line block ×3, first 2 shown]
	buffer_store_dword v3, off, s[0:3], s32 offset:1012 ; 4-byte Folded Spill
	buffer_store_dword v1, off, s[0:3], s32 offset:1096 ; 4-byte Folded Spill
	v_or_b32_e32 v1, v29, v34
	v_fma_mixlo_f16 v3, v71, v117, 0 op_sel:[0,1,0] op_sel_hi:[0,1,0]
	v_fma_mixlo_f16 v1, v71, v1, 0 op_sel_hi:[0,1,0]
	buffer_store_dword v3, off, s[0:3], s32 offset:996 ; 4-byte Folded Spill
	v_fma_mixlo_f16 v3, v71, v45, 0 op_sel:[0,1,0] op_sel_hi:[0,1,0]
	buffer_store_dword v1, off, s[0:3], s32 offset:1088 ; 4-byte Folded Spill
	v_fma_mixlo_f16 v1, v71, v29, 0 op_sel:[0,1,0] op_sel_hi:[0,1,0]
	;; [unrolled: 2-line block ×3, first 2 shown]
	buffer_store_dword v1, off, s[0:3], s32 offset:1084 ; 4-byte Folded Spill
	v_or_b32_e32 v1, v63, v106
	buffer_store_dword v3, off, s[0:3], s32 offset:1044 ; 4-byte Folded Spill
	v_fma_mixlo_f16 v3, v71, v121, 0 op_sel:[0,1,0] op_sel_hi:[0,1,0]
	v_fma_mixlo_f16 v1, v71, v1, 0 op_sel_hi:[0,1,0]
	buffer_store_dword v3, off, s[0:3], s32 offset:1028 ; 4-byte Folded Spill
	v_fma_mixlo_f16 v3, v71, v92, 0 op_sel:[0,1,0] op_sel_hi:[0,1,0]
	buffer_store_dword v1, off, s[0:3], s32 offset:1136 ; 4-byte Folded Spill
	v_or_b32_e32 v1, v41, v48
	buffer_store_dword v3, off, s[0:3], s32 offset:1068 ; 4-byte Folded Spill
	v_fma_mixlo_f16 v3, v71, v30, 0 op_sel:[0,1,0] op_sel_hi:[0,1,0]
	v_fma_mixlo_f16 v1, v71, v1, 0 op_sel_hi:[0,1,0]
	buffer_store_dword v3, off, s[0:3], s32 offset:1076 ; 4-byte Folded Spill
	v_fma_mixlo_f16 v3, v71, v94, 0 op_sel:[0,1,0] op_sel_hi:[0,1,0]
	buffer_store_dword v1, off, s[0:3], s32 offset:1144 ; 4-byte Folded Spill
	v_or_b32_e32 v1, v93, v5
	buffer_store_dword v3, off, s[0:3], s32 offset:1060 ; 4-byte Folded Spill
	v_fma_mixlo_f16 v3, v71, v36, 0 op_sel:[0,1,0] op_sel_hi:[0,1,0]
	v_fma_mixlo_f16 v1, v71, v1, 0 op_sel_hi:[0,1,0]
	buffer_store_dword v3, off, s[0:3], s32 offset:1100 ; 4-byte Folded Spill
	buffer_store_dword v1, off, s[0:3], s32 offset:1128 ; 4-byte Folded Spill
	v_or_b32_e32 v1, v15, v8
	v_fma_mixlo_f16 v3, v71, v73, 0 op_sel:[0,1,0] op_sel_hi:[0,1,0]
	v_fma_mixlo_f16 v1, v71, v1, 0 op_sel_hi:[0,1,0]
	buffer_store_dword v3, off, s[0:3], s32 offset:1108 ; 4-byte Folded Spill
	v_fma_mixlo_f16 v3, v71, v79, 0 op_sel:[0,1,0] op_sel_hi:[0,1,0]
	buffer_store_dword v1, off, s[0:3], s32 offset:1120 ; 4-byte Folded Spill
	v_fma_mixlo_f16 v1, v71, v15, 0 op_sel:[0,1,0] op_sel_hi:[0,1,0]
	;; [unrolled: 2-line block ×3, first 2 shown]
	buffer_store_dword v1, off, s[0:3], s32 offset:1116 ; 4-byte Folded Spill
	buffer_load_dword v1, off, s[0:3], s32 offset:728 ; 4-byte Folded Reload
	buffer_store_dword v3, off, s[0:3], s32 offset:1132 ; 4-byte Folded Spill
	v_fma_mixlo_f16 v3, v71, v41, 0 op_sel:[0,1,0] op_sel_hi:[0,1,0]
	buffer_store_dword v3, off, s[0:3], s32 offset:1140 ; 4-byte Folded Spill
	v_fma_mixlo_f16 v3, v71, v93, 0 op_sel:[0,1,0] op_sel_hi:[0,1,0]
	;; [unrolled: 2-line block ×5, first 2 shown]
	s_waitcnt vmcnt(0)
	v_or_b32_e32 v1, v68, v1
	v_fma_mixlo_f16 v1, v71, v1, 0 op_sel_hi:[0,1,0]
	buffer_store_dword v1, off, s[0:3], s32 offset:1156 ; 4-byte Folded Spill
	buffer_load_dword v1, off, s[0:3], s32 offset:724 ; 4-byte Folded Reload
	s_waitcnt vmcnt(0)
	v_or_b32_e32 v1, v49, v1
	v_fma_mixlo_f16 v1, v71, v1, 0 op_sel_hi:[0,1,0]
	buffer_store_dword v1, off, s[0:3], s32 offset:1164 ; 4-byte Folded Spill
	buffer_load_dword v1, off, s[0:3], s32 offset:732 ; 4-byte Folded Reload
	buffer_store_dword v3, off, s[0:3], s32 offset:732 ; 4-byte Folded Spill
	v_fma_mixlo_f16 v3, v71, v57, 0 op_sel:[0,1,0] op_sel_hi:[0,1,0]
	buffer_store_dword v3, off, s[0:3], s32 offset:1168 ; 4-byte Folded Spill
	v_fma_mixlo_f16 v3, v71, v76, 0 op_sel:[0,1,0] op_sel_hi:[0,1,0]
	;; [unrolled: 2-line block ×3, first 2 shown]
	s_waitcnt vmcnt(0)
	v_or_b32_e32 v1, v100, v1
	v_fma_mixlo_f16 v1, v71, v1, 0 op_sel_hi:[0,1,0]
	buffer_store_dword v1, off, s[0:3], s32 offset:1148 ; 4-byte Folded Spill
	buffer_load_dword v1, off, s[0:3], s32 offset:736 ; 4-byte Folded Reload
	s_waitcnt vmcnt(0)
	v_or_b32_e32 v1, v60, v1
	v_fma_mixlo_f16 v1, v71, v1, 0 op_sel_hi:[0,1,0]
	buffer_store_dword v1, off, s[0:3], s32 offset:728 ; 4-byte Folded Spill
	v_fma_mixlo_f16 v1, v71, v60, 0 op_sel:[0,1,0] op_sel_hi:[0,1,0]
	buffer_store_dword v1, off, s[0:3], s32 offset:724 ; 4-byte Folded Spill
	buffer_load_dword v1, off, s[0:3], s32 offset:712 ; 4-byte Folded Reload
	s_waitcnt vmcnt(0)
	v_or_b32_e32 v1, v57, v1
	v_fma_mixlo_f16 v1, v71, v1, 0 op_sel_hi:[0,1,0]
	buffer_store_dword v1, off, s[0:3], s32 offset:1172 ; 4-byte Folded Spill
	buffer_load_dword v1, off, s[0:3], s32 offset:708 ; 4-byte Folded Reload
	s_waitcnt vmcnt(0)
	v_or_b32_e32 v1, v76, v1
	v_fma_mixlo_f16 v76, v71, v82, 0 op_sel:[0,1,0] op_sel_hi:[0,1,0]
	v_fma_mixlo_f16 v1, v71, v1, 0 op_sel_hi:[0,1,0]
	buffer_store_dword v1, off, s[0:3], s32 offset:1180 ; 4-byte Folded Spill
	buffer_load_dword v1, off, s[0:3], s32 offset:716 ; 4-byte Folded Reload
	buffer_store_dword v3, off, s[0:3], s32 offset:716 ; 4-byte Folded Spill
	v_fma_mixlo_f16 v3, v71, v98, 0 op_sel:[0,1,0] op_sel_hi:[0,1,0]
	buffer_store_dword v3, off, s[0:3], s32 offset:1184 ; 4-byte Folded Spill
	v_fma_mixlo_f16 v3, v71, v75, 0 op_sel:[0,1,0] op_sel_hi:[0,1,0]
	buffer_store_dword v3, off, s[0:3], s32 offset:1192 ; 4-byte Folded Spill
	v_fma_mixlo_f16 v3, v71, v77, 0 op_sel:[0,1,0] op_sel_hi:[0,1,0]
	s_waitcnt vmcnt(0)
	v_or_b32_e32 v1, v47, v1
	v_fma_mixlo_f16 v47, v71, v38, 0 op_sel:[0,1,0] op_sel_hi:[0,1,0]
	v_fma_mixlo_f16 v1, v71, v1, 0 op_sel_hi:[0,1,0]
	buffer_store_dword v1, off, s[0:3], s32 offset:736 ; 4-byte Folded Spill
	buffer_load_dword v1, off, s[0:3], s32 offset:720 ; 4-byte Folded Reload
	s_waitcnt vmcnt(0)
	v_or_b32_e32 v1, v85, v1
	v_fma_mixlo_f16 v1, v71, v1, 0 op_sel_hi:[0,1,0]
	buffer_store_dword v1, off, s[0:3], s32 offset:712 ; 4-byte Folded Spill
	v_fma_mixlo_f16 v1, v71, v85, 0 op_sel:[0,1,0] op_sel_hi:[0,1,0]
	v_fma_mixlo_f16 v85, v71, v9, 0 op_sel:[0,1,0] op_sel_hi:[0,1,0]
	buffer_store_dword v1, off, s[0:3], s32 offset:708 ; 4-byte Folded Spill
	buffer_load_dword v1, off, s[0:3], s32 offset:696 ; 4-byte Folded Reload
	s_waitcnt vmcnt(0)
	v_or_b32_e32 v1, v98, v1
	v_fma_mixlo_f16 v1, v71, v1, 0 op_sel_hi:[0,1,0]
	buffer_store_dword v1, off, s[0:3], s32 offset:1188 ; 4-byte Folded Spill
	buffer_load_dword v1, off, s[0:3], s32 offset:692 ; 4-byte Folded Reload
	s_waitcnt vmcnt(0)
	v_or_b32_e32 v1, v75, v1
	v_fma_mixlo_f16 v1, v71, v1, 0 op_sel_hi:[0,1,0]
	buffer_store_dword v1, off, s[0:3], s32 offset:1196 ; 4-byte Folded Spill
	buffer_load_dword v1, off, s[0:3], s32 offset:700 ; 4-byte Folded Reload
	buffer_store_dword v3, off, s[0:3], s32 offset:700 ; 4-byte Folded Spill
	v_fma_mixlo_f16 v3, v71, v44, 0 op_sel:[0,1,0] op_sel_hi:[0,1,0]
	buffer_store_dword v3, off, s[0:3], s32 offset:1200 ; 4-byte Folded Spill
	v_fma_mixlo_f16 v3, v71, v118, 0 op_sel:[0,1,0] op_sel_hi:[0,1,0]
	;; [unrolled: 2-line block ×3, first 2 shown]
	s_waitcnt vmcnt(0)
	v_or_b32_e32 v1, v77, v1
	v_fma_mixlo_f16 v1, v71, v1, 0 op_sel_hi:[0,1,0]
	buffer_store_dword v1, off, s[0:3], s32 offset:720 ; 4-byte Folded Spill
	buffer_load_dword v1, off, s[0:3], s32 offset:704 ; 4-byte Folded Reload
	s_waitcnt vmcnt(0)
	v_or_b32_e32 v1, v14, v1
	v_fma_mixlo_f16 v1, v71, v1, 0 op_sel_hi:[0,1,0]
	buffer_store_dword v1, off, s[0:3], s32 offset:696 ; 4-byte Folded Spill
	v_fma_mixlo_f16 v1, v71, v14, 0 op_sel:[0,1,0] op_sel_hi:[0,1,0]
	buffer_store_dword v1, off, s[0:3], s32 offset:692 ; 4-byte Folded Spill
	buffer_load_dword v1, off, s[0:3], s32 offset:680 ; 4-byte Folded Reload
	s_waitcnt vmcnt(0)
	v_or_b32_e32 v1, v44, v1
	v_fma_mixlo_f16 v1, v71, v1, 0 op_sel_hi:[0,1,0]
	buffer_store_dword v1, off, s[0:3], s32 offset:1204 ; 4-byte Folded Spill
	buffer_load_dword v1, off, s[0:3], s32 offset:676 ; 4-byte Folded Reload
	s_waitcnt vmcnt(0)
	v_or_b32_e32 v1, v118, v1
	v_fma_mixlo_f16 v1, v71, v1, 0 op_sel_hi:[0,1,0]
	buffer_store_dword v1, off, s[0:3], s32 offset:1212 ; 4-byte Folded Spill
	buffer_load_dword v1, off, s[0:3], s32 offset:684 ; 4-byte Folded Reload
	buffer_store_dword v3, off, s[0:3], s32 offset:684 ; 4-byte Folded Spill
	s_waitcnt vmcnt(0)
	v_or_b32_e32 v1, v70, v1
	v_fma_mixlo_f16 v1, v71, v1, 0 op_sel_hi:[0,1,0]
	buffer_store_dword v1, off, s[0:3], s32 offset:704 ; 4-byte Folded Spill
	buffer_load_dword v1, off, s[0:3], s32 offset:688 ; 4-byte Folded Reload
	s_waitcnt vmcnt(0)
	v_or_b32_e32 v1, v62, v1
	v_fma_mixlo_f16 v1, v71, v1, 0 op_sel_hi:[0,1,0]
	buffer_store_dword v1, off, s[0:3], s32 offset:680 ; 4-byte Folded Spill
	v_fma_mixlo_f16 v1, v71, v62, 0 op_sel:[0,1,0] op_sel_hi:[0,1,0]
	buffer_store_dword v1, off, s[0:3], s32 offset:676 ; 4-byte Folded Spill
	s_clause 0x1
	buffer_load_dword v1, off, s[0:3], s32 offset:656
	buffer_load_dword v3, off, s[0:3], s32 offset:664
	s_waitcnt vmcnt(0)
	v_or_b32_e32 v1, v3, v1
	v_fma_mixlo_f16 v3, v71, v3, 0 op_sel:[0,1,0] op_sel_hi:[0,1,0]
	v_fma_mixlo_f16 v1, v71, v1, 0 op_sel_hi:[0,1,0]
	buffer_store_dword v3, off, s[0:3], s32 offset:664 ; 4-byte Folded Spill
	buffer_store_dword v1, off, s[0:3], s32 offset:688 ; 4-byte Folded Spill
	s_clause 0x1
	buffer_load_dword v1, off, s[0:3], s32 offset:648
	buffer_load_dword v3, off, s[0:3], s32 offset:652
	s_waitcnt vmcnt(0)
	v_or_b32_e32 v1, v3, v1
	v_fma_mixlo_f16 v3, v71, v3, 0 op_sel:[0,1,0] op_sel_hi:[0,1,0]
	v_fma_mixlo_f16 v1, v71, v1, 0 op_sel_hi:[0,1,0]
	buffer_store_dword v3, off, s[0:3], s32 offset:1216 ; 4-byte Folded Spill
	buffer_store_dword v1, off, s[0:3], s32 offset:1220 ; 4-byte Folded Spill
	s_clause 0x1
	buffer_load_dword v1, off, s[0:3], s32 offset:660
	buffer_load_dword v3, off, s[0:3], s32 offset:672
	s_waitcnt vmcnt(0)
	v_or_b32_e32 v1, v3, v1
	v_fma_mixlo_f16 v3, v71, v3, 0 op_sel:[0,1,0] op_sel_hi:[0,1,0]
	v_fma_mixlo_f16 v1, v71, v1, 0 op_sel_hi:[0,1,0]
	buffer_store_dword v3, off, s[0:3], s32 offset:656 ; 4-byte Folded Spill
	buffer_store_dword v1, off, s[0:3], s32 offset:660 ; 4-byte Folded Spill
	s_clause 0x1
	buffer_load_dword v1, off, s[0:3], s32 offset:668
	buffer_load_dword v3, off, s[0:3], s32 offset:804
	s_waitcnt vmcnt(0)
	v_or_b32_e32 v1, v3, v1
	v_fma_mixlo_f16 v1, v71, v1, 0 op_sel_hi:[0,1,0]
	buffer_store_dword v1, off, s[0:3], s32 offset:652 ; 4-byte Folded Spill
	v_fma_mixlo_f16 v1, v71, v3, 0 op_sel:[0,1,0] op_sel_hi:[0,1,0]
	buffer_store_dword v1, off, s[0:3], s32 offset:648 ; 4-byte Folded Spill
	s_clause 0x1
	buffer_load_dword v1, off, s[0:3], s32 offset:628
	buffer_load_dword v3, off, s[0:3], s32 offset:636
	s_waitcnt vmcnt(0)
	v_or_b32_e32 v1, v3, v1
	v_fma_mixlo_f16 v3, v71, v3, 0 op_sel:[0,1,0] op_sel_hi:[0,1,0]
	v_fma_mixlo_f16 v1, v71, v1, 0 op_sel_hi:[0,1,0]
	buffer_store_dword v3, off, s[0:3], s32 offset:636 ; 4-byte Folded Spill
	buffer_store_dword v1, off, s[0:3], s32 offset:668 ; 4-byte Folded Spill
	s_clause 0x1
	buffer_load_dword v1, off, s[0:3], s32 offset:620
	buffer_load_dword v3, off, s[0:3], s32 offset:624
	s_waitcnt vmcnt(0)
	v_or_b32_e32 v1, v3, v1
	v_fma_mixlo_f16 v3, v71, v3, 0 op_sel:[0,1,0] op_sel_hi:[0,1,0]
	v_fma_mixlo_f16 v1, v71, v1, 0 op_sel_hi:[0,1,0]
	buffer_store_dword v3, off, s[0:3], s32 offset:672 ; 4-byte Folded Spill
	buffer_store_dword v1, off, s[0:3], s32 offset:804 ; 4-byte Folded Spill
	s_clause 0x1
	buffer_load_dword v1, off, s[0:3], s32 offset:632
	buffer_load_dword v3, off, s[0:3], s32 offset:644
	s_waitcnt vmcnt(0)
	v_or_b32_e32 v1, v3, v1
	v_fma_mixlo_f16 v3, v71, v3, 0 op_sel:[0,1,0] op_sel_hi:[0,1,0]
	v_fma_mixlo_f16 v1, v71, v1, 0 op_sel_hi:[0,1,0]
	buffer_store_dword v3, off, s[0:3], s32 offset:628 ; 4-byte Folded Spill
	buffer_store_dword v1, off, s[0:3], s32 offset:632 ; 4-byte Folded Spill
	s_clause 0x1
	buffer_load_dword v1, off, s[0:3], s32 offset:640
	buffer_load_dword v3, off, s[0:3], s32 offset:800
	;; [unrolled: 36-line block ×3, first 2 shown]
	s_waitcnt vmcnt(0)
	v_or_b32_e32 v1, v3, v1
	v_fma_mixlo_f16 v1, v71, v1, 0 op_sel_hi:[0,1,0]
	buffer_store_dword v1, off, s[0:3], s32 offset:596 ; 4-byte Folded Spill
	v_fma_mixlo_f16 v1, v71, v3, 0 op_sel:[0,1,0] op_sel_hi:[0,1,0]
	buffer_store_dword v1, off, s[0:3], s32 offset:592 ; 4-byte Folded Spill
	s_clause 0x1
	buffer_load_dword v1, off, s[0:3], s32 offset:572
	buffer_load_dword v3, off, s[0:3], s32 offset:580
	s_waitcnt vmcnt(0)
	v_or_b32_e32 v1, v3, v1
	v_fma_mixlo_f16 v3, v71, v3, 0 op_sel:[0,1,0] op_sel_hi:[0,1,0]
	v_fma_mixlo_f16 v1, v71, v1, 0 op_sel_hi:[0,1,0]
	buffer_store_dword v3, off, s[0:3], s32 offset:580 ; 4-byte Folded Spill
	buffer_store_dword v1, off, s[0:3], s32 offset:612 ; 4-byte Folded Spill
	s_clause 0x1
	buffer_load_dword v1, off, s[0:3], s32 offset:564
	buffer_load_dword v3, off, s[0:3], s32 offset:568
	s_waitcnt vmcnt(0)
	v_or_b32_e32 v1, v3, v1
	v_fma_mixlo_f16 v3, v71, v3, 0 op_sel:[0,1,0] op_sel_hi:[0,1,0]
	v_fma_mixlo_f16 v93, v71, v1, 0 op_sel_hi:[0,1,0]
	buffer_store_dword v3, off, s[0:3], s32 offset:616 ; 4-byte Folded Spill
	s_clause 0x1
	buffer_load_dword v1, off, s[0:3], s32 offset:576
	buffer_load_dword v3, off, s[0:3], s32 offset:588
	s_waitcnt vmcnt(0)
	v_or_b32_e32 v1, v3, v1
	v_fma_mixlo_f16 v3, v71, v3, 0 op_sel:[0,1,0] op_sel_hi:[0,1,0]
	v_fma_mixlo_f16 v1, v71, v1, 0 op_sel_hi:[0,1,0]
	buffer_store_dword v3, off, s[0:3], s32 offset:572 ; 4-byte Folded Spill
	buffer_store_dword v1, off, s[0:3], s32 offset:576 ; 4-byte Folded Spill
	s_clause 0x1
	buffer_load_dword v1, off, s[0:3], s32 offset:584
	buffer_load_dword v3, off, s[0:3], s32 offset:792
	s_waitcnt vmcnt(0)
	v_or_b32_e32 v1, v3, v1
	v_fma_mixlo_f16 v1, v71, v1, 0 op_sel_hi:[0,1,0]
	buffer_store_dword v1, off, s[0:3], s32 offset:568 ; 4-byte Folded Spill
	v_fma_mixlo_f16 v1, v71, v3, 0 op_sel:[0,1,0] op_sel_hi:[0,1,0]
	buffer_store_dword v1, off, s[0:3], s32 offset:564 ; 4-byte Folded Spill
	s_clause 0x1
	buffer_load_dword v1, off, s[0:3], s32 offset:544
	buffer_load_dword v3, off, s[0:3], s32 offset:552
	s_waitcnt vmcnt(0)
	v_or_b32_e32 v1, v3, v1
	v_fma_mixlo_f16 v3, v71, v3, 0 op_sel:[0,1,0] op_sel_hi:[0,1,0]
	v_fma_mixlo_f16 v41, v71, v1, 0 op_sel_hi:[0,1,0]
	buffer_store_dword v3, off, s[0:3], s32 offset:544 ; 4-byte Folded Spill
	s_clause 0x1
	buffer_load_dword v1, off, s[0:3], s32 offset:536
	buffer_load_dword v3, off, s[0:3], s32 offset:540
	s_waitcnt vmcnt(0)
	v_or_b32_e32 v1, v3, v1
	v_fma_mixlo_f16 v117, v71, v3, 0 op_sel:[0,1,0] op_sel_hi:[0,1,0]
	v_fma_mixlo_f16 v79, v71, v1, 0 op_sel_hi:[0,1,0]
	s_clause 0x1
	buffer_load_dword v1, off, s[0:3], s32 offset:548
	buffer_load_dword v3, off, s[0:3], s32 offset:560
	s_waitcnt vmcnt(0)
	v_or_b32_e32 v1, v3, v1
	v_fma_mixlo_f16 v42, v71, v3, 0 op_sel:[0,1,0] op_sel_hi:[0,1,0]
	v_fma_mixlo_f16 v1, v71, v1, 0 op_sel_hi:[0,1,0]
	buffer_store_dword v1, off, s[0:3], s32 offset:536 ; 4-byte Folded Spill
	s_clause 0x1
	buffer_load_dword v1, off, s[0:3], s32 offset:556
	buffer_load_dword v3, off, s[0:3], s32 offset:788
	s_waitcnt vmcnt(0)
	v_or_b32_e32 v1, v3, v1
	v_fma_mixlo_f16 v63, v71, v3, 0 op_sel:[0,1,0] op_sel_hi:[0,1,0]
	v_fma_mixlo_f16 v60, v71, v1, 0 op_sel_hi:[0,1,0]
	s_clause 0x1
	buffer_load_dword v1, off, s[0:3], s32 offset:516
	buffer_load_dword v3, off, s[0:3], s32 offset:524
	s_waitcnt vmcnt(0)
	v_or_b32_e32 v1, v3, v1
	v_fma_mixlo_f16 v84, v71, v3, 0 op_sel:[0,1,0] op_sel_hi:[0,1,0]
	v_fma_mixlo_f16 v68, v71, v1, 0 op_sel_hi:[0,1,0]
	;; [unrolled: 7-line block ×30, first 2 shown]
	s_clause 0x1
	buffer_load_dword v1, off, s[0:3], s32 offset:312
	buffer_load_dword v3, off, s[0:3], s32 offset:316
	v_and_b32_e32 v7, 0xffff, v7
	s_waitcnt vmcnt(0)
	v_or_b32_e32 v1, v3, v1
	v_fma_mixlo_f16 v74, v71, v3, 0 op_sel:[0,1,0] op_sel_hi:[0,1,0]
	v_fma_mixlo_f16 v10, v71, v1, 0 op_sel_hi:[0,1,0]
	s_clause 0x1
	buffer_load_dword v1, off, s[0:3], s32 offset:324
	buffer_load_dword v3, off, s[0:3], s32 offset:336
	s_waitcnt vmcnt(0)
	v_or_b32_e32 v1, v3, v1
	v_fma_mixlo_f16 v91, v71, v3, 0 op_sel:[0,1,0] op_sel_hi:[0,1,0]
	v_fma_mixlo_f16 v99, v71, v1, 0 op_sel_hi:[0,1,0]
	s_clause 0x1
	buffer_load_dword v1, off, s[0:3], s32 offset:332
	buffer_load_dword v3, off, s[0:3], s32 offset:756
	;; [unrolled: 7-line block ×12, first 2 shown]
	v_and_b32_e32 v15, 0xffff, v15
	s_waitcnt vmcnt(0)
	v_or_b32_e32 v1, v3, v1
	v_fma_mixlo_f16 v13, v71, v3, 0 op_sel:[0,1,0] op_sel_hi:[0,1,0]
	v_fma_mixlo_f16 v14, v71, v1, 0 op_sel_hi:[0,1,0]
	s_clause 0x1
	buffer_load_dword v1, off, s[0:3], s32 offset:240
	buffer_load_dword v3, off, s[0:3], s32 offset:252
	v_and_b32_e32 v13, 0xffff, v13
	v_and_b32_e32 v14, 0xffff, v14
	s_waitcnt vmcnt(0)
	v_or_b32_e32 v1, v3, v1
	v_fma_mixlo_f16 v20, v71, v3, 0 op_sel:[0,1,0] op_sel_hi:[0,1,0]
	v_fma_mixlo_f16 v5, v71, v1, 0 op_sel_hi:[0,1,0]
	s_clause 0x1
	buffer_load_dword v1, off, s[0:3], s32 offset:248
	buffer_load_dword v3, off, s[0:3], s32 offset:744
	buffer_store_dword v0, off, s[0:3], s32 offset:248 ; 4-byte Folded Spill
	v_or_b32_e32 v0, v18, v26
	s_load_dword s17, s[20:21], 0x0
	v_fma_mixlo_f16 v0, v71, v0, 0 op_sel_hi:[0,1,0]
	buffer_store_dword v0, off, s[0:3], s32 offset:256 ; 4-byte Folded Spill
	v_or_b32_e32 v0, v11, v21
	v_fma_mixlo_f16 v0, v71, v0, 0 op_sel_hi:[0,1,0]
	buffer_store_dword v0, off, s[0:3], s32 offset:240 ; 4-byte Folded Spill
	v_or_b32_e32 v0, v24, v27
	v_fma_mixlo_f16 v0, v71, v0, 0 op_sel_hi:[0,1,0]
	buffer_store_dword v0, off, s[0:3], s32 offset:232 ; 4-byte Folded Spill
	s_waitcnt vmcnt(0)
	v_or_b32_e32 v1, v3, v1
	v_fma_mixlo_f16 v31, v71, v3, 0 op_sel:[0,1,0] op_sel_hi:[0,1,0]
	buffer_load_dword v3, off, s[0:3], s32 offset:1228 ; 4-byte Folded Reload
	v_fma_mixlo_f16 v70, v71, v1, 0 op_sel_hi:[0,1,0]
	v_or_b32_e32 v1, v82, v90
	v_fma_mixlo_f16 v82, v71, v78, 0 op_sel:[0,1,0] op_sel_hi:[0,1,0]
	v_fma_mixlo_f16 v39, v71, v1, 0 op_sel_hi:[0,1,0]
	v_or_b32_e32 v1, v38, v2
	buffer_load_dword v2, off, s[0:3], s32 offset:1252 ; 4-byte Folded Reload
	v_fma_mixlo_f16 v77, v71, v1, 0 op_sel_hi:[0,1,0]
	v_or_b32_e32 v1, v9, v125
	v_fma_mixlo_f16 v125, v71, v1, 0 op_sel_hi:[0,1,0]
	v_or_b32_e32 v1, v78, v109
	v_fma_mixlo_f16 v90, v71, v1, 0 op_sel_hi:[0,1,0]
	buffer_load_dword v1, off, s[0:3], s32 offset:1224 ; 4-byte Folded Reload
	s_waitcnt vmcnt(1)
	v_add_nc_u32_e32 v2, v2, v122
	v_cvt_f32_i32_e32 v2, v2
	v_mul_f32_e32 v2, v3, v2
	buffer_load_dword v3, off, s[0:3], s32 offset:740 ; 4-byte Folded Reload
	v_cndmask_b32_e32 v38, 0, v2, vcc_lo
	s_waitcnt vmcnt(1)
	v_add_nc_u32_e32 v1, v1, v122
	s_waitcnt vmcnt(0)
	v_cmp_lt_i32_e64 s5, v1, v3
	v_fma_mixlo_f16 v1, v71, v28, 0 op_sel:[0,1,0] op_sel_hi:[0,1,0]
	buffer_store_dword v1, off, s[0:3], s32 offset:244 ; 4-byte Folded Spill
	v_fma_mixlo_f16 v1, v71, v18, 0 op_sel:[0,1,0] op_sel_hi:[0,1,0]
	buffer_store_dword v1, off, s[0:3], s32 offset:252 ; 4-byte Folded Spill
	v_fma_mixlo_f16 v1, v71, v11, 0 op_sel:[0,1,0] op_sel_hi:[0,1,0]
	v_fma_mixlo_f16 v71, v71, v24, 0 op_sel:[0,1,0] op_sel_hi:[0,1,0]
	buffer_load_dword v24, off, s[0:3], s32 offset:824 ; 4-byte Folded Reload
	buffer_store_dword v1, off, s[0:3], s32 offset:236 ; 4-byte Folded Spill
	s_waitcnt vmcnt(0) lgkmcnt(0)
	v_add_nc_u32_e32 v0, s17, v24
	buffer_store_dword v0, off, s[0:3], s32 offset:224 ; 4-byte Folded Spill
	ds_read_b128 v[0:3], v4
	s_waitcnt lgkmcnt(0)
	v_lshrrev_b32_e32 v11, 16, v0
	v_and_b32_e32 v0, 0xffff, v0
	;;#ASMSTART
	v_cvt_f32_f16 v9, v0;
	;;#ASMEND
	v_and_b32_e32 v0, 0xffff, v77
	;;#ASMSTART
	v_cvt_f32_f16 v18, v11;
	;;#ASMEND
	;;#ASMSTART
	v_cvt_f32_f16 v78, v0;
	;;#ASMEND
	v_and_b32_e32 v0, 0xffff, v47
	;;#ASMSTART
	v_cvt_f32_f16 v47, v0;
	;;#ASMEND
	v_lshrrev_b32_e32 v0, 16, v1
	v_and_b32_e32 v1, 0xffff, v1
	;;#ASMSTART
	v_cvt_f32_f16 v109, v1;
	;;#ASMEND
	;;#ASMSTART
	v_cvt_f32_f16 v21, v0;
	;;#ASMEND
	v_and_b32_e32 v0, 0xffff, v39
	;;#ASMSTART
	v_cvt_f32_f16 v39, v0;
	;;#ASMEND
	v_and_b32_e32 v0, 0xffff, v76
	;;#ASMSTART
	v_cvt_f32_f16 v76, v0;
	;;#ASMEND
	v_lshrrev_b32_e32 v0, 16, v2
	v_and_b32_e32 v1, 0xffff, v2
	;;#ASMSTART
	v_cvt_f32_f16 v89, v1;
	;;#ASMEND
	;;#ASMSTART
	v_cvt_f32_f16 v28, v0;
	;;#ASMEND
	v_and_b32_e32 v0, 0xffff, v125
	;; [unrolled: 16-line block ×3, first 2 shown]
	;;#ASMSTART
	v_cvt_f32_f16 v26, v0;
	;;#ASMEND
	v_and_b32_e32 v0, 0xffff, v82
	;;#ASMSTART
	v_cvt_f32_f16 v27, v0;
	;;#ASMEND
	ds_read_b128 v[0:3], v4 offset:16
	s_waitcnt lgkmcnt(0)
	v_lshrrev_b32_e32 v82, 16, v0
	v_and_b32_e32 v0, 0xffff, v0
	;;#ASMSTART
	v_cvt_f32_f16 v0, v0;
	;;#ASMEND
	;;#ASMSTART
	v_cvt_f32_f16 v82, v82;
	;;#ASMEND
	;; [unrolled: 3-line block ×4, first 2 shown]
	v_mul_f32_e32 v13, v0, v14
	v_and_b32_e32 v0, 0xffff, v1
	v_mul_f32_e32 v14, v82, v85
	;;#ASMSTART
	v_cvt_f32_f16 v0, v0;
	;;#ASMEND
	v_fmac_f32_e32 v13, v9, v78
	v_lshrrev_b32_e32 v9, 16, v1
	;;#ASMSTART
	v_cvt_f32_f16 v1, v9;
	;;#ASMEND
	v_and_b32_e32 v9, 0xffff, v62
	;;#ASMSTART
	v_cvt_f32_f16 v9, v9;
	;;#ASMEND
	;;#ASMSTART
	v_cvt_f32_f16 v15, v15;
	;;#ASMEND
	v_mul_f32_e32 v15, v1, v15
	v_fmac_f32_e32 v14, v18, v47
	v_mul_f32_e32 v18, v0, v9
	v_lshrrev_b32_e32 v1, 16, v2
	v_and_b32_e32 v0, 0xffff, v2
	v_and_b32_e32 v2, 0xffff, v5
	;;#ASMSTART
	v_cvt_f32_f16 v0, v0;
	;;#ASMEND
	;;#ASMSTART
	v_cvt_f32_f16 v1, v1;
	;;#ASMEND
	;; [unrolled: 3-line block ×3, first 2 shown]
	v_and_b32_e32 v5, 0xffff, v20
	v_fmac_f32_e32 v15, v21, v76
	;;#ASMSTART
	v_cvt_f32_f16 v5, v5;
	;;#ASMEND
	v_mul_f32_e32 v21, v0, v2
	v_mul_f32_e32 v20, v1, v5
	v_lshrrev_b32_e32 v1, 16, v3
	v_and_b32_e32 v0, 0xffff, v3
	v_and_b32_e32 v2, 0xffff, v70
	;;#ASMSTART
	v_cvt_f32_f16 v0, v0;
	;;#ASMEND
	;;#ASMSTART
	v_cvt_f32_f16 v1, v1;
	;;#ASMEND
	;; [unrolled: 3-line block ×3, first 2 shown]
	v_and_b32_e32 v3, 0xffff, v31
	v_mul_f32_e32 v31, v0, v2
	;;#ASMSTART
	v_cvt_f32_f16 v3, v3;
	;;#ASMEND
	v_fmac_f32_e32 v18, v109, v39
	v_fmac_f32_e32 v21, v89, v125
	;; [unrolled: 1-line block ×4, first 2 shown]
	v_mul_f32_e32 v26, v1, v3
	ds_read_b128 v[0:3], v4 offset:32
	v_and_b32_e32 v9, 0xffff, v88
	v_fmac_f32_e32 v26, v11, v27
	v_and_b32_e32 v11, 0xffff, v44
	s_waitcnt lgkmcnt(0)
	v_lshrrev_b32_e32 v5, 16, v0
	v_and_b32_e32 v0, 0xffff, v0
	;;#ASMSTART
	v_cvt_f32_f16 v0, v0;
	;;#ASMEND
	;;#ASMSTART
	v_cvt_f32_f16 v5, v5;
	;;#ASMEND
	;; [unrolled: 3-line block ×4, first 2 shown]
	v_fmac_f32_e32 v13, v0, v9
	v_fmac_f32_e32 v14, v5, v11
	v_lshrrev_b32_e32 v5, 16, v1
	v_and_b32_e32 v0, 0xffff, v1
	;;#ASMSTART
	v_cvt_f32_f16 v0, v0;
	;;#ASMEND
	;;#ASMSTART
	v_cvt_f32_f16 v1, v5;
	;;#ASMEND
	v_and_b32_e32 v5, 0xffff, v106
	v_and_b32_e32 v9, 0xffff, v120
	;;#ASMSTART
	v_cvt_f32_f16 v5, v5;
	;;#ASMEND
	;;#ASMSTART
	v_cvt_f32_f16 v9, v9;
	;;#ASMEND
	v_fmac_f32_e32 v18, v0, v5
	v_fmac_f32_e32 v15, v1, v9
	v_lshrrev_b32_e32 v1, 16, v2
	v_and_b32_e32 v0, 0xffff, v2
	v_and_b32_e32 v2, 0xffff, v118
	;;#ASMSTART
	v_cvt_f32_f16 v0, v0;
	;;#ASMEND
	;;#ASMSTART
	v_cvt_f32_f16 v1, v1;
	;;#ASMEND
	;; [unrolled: 3-line block ×3, first 2 shown]
	v_and_b32_e32 v5, 0xffff, v48
	;;#ASMSTART
	v_cvt_f32_f16 v5, v5;
	;;#ASMEND
	v_fmac_f32_e32 v21, v0, v2
	v_fmac_f32_e32 v20, v1, v5
	v_lshrrev_b32_e32 v1, 16, v3
	v_and_b32_e32 v0, 0xffff, v3
	v_and_b32_e32 v2, 0xffff, v57
	;; [unrolled: 1-line block ×3, first 2 shown]
	;;#ASMSTART
	v_cvt_f32_f16 v0, v0;
	;;#ASMEND
	;;#ASMSTART
	v_cvt_f32_f16 v1, v1;
	;;#ASMEND
	;; [unrolled: 3-line block ×4, first 2 shown]
	v_fmac_f32_e32 v31, v0, v2
	v_fmac_f32_e32 v26, v1, v3
	ds_read_b128 v[0:3], v4 offset:48
	v_and_b32_e32 v9, 0xffff, v98
	v_and_b32_e32 v11, 0xffff, v32
	s_waitcnt lgkmcnt(0)
	v_lshrrev_b32_e32 v5, 16, v0
	v_and_b32_e32 v0, 0xffff, v0
	;;#ASMSTART
	v_cvt_f32_f16 v0, v0;
	;;#ASMEND
	;;#ASMSTART
	v_cvt_f32_f16 v5, v5;
	;;#ASMEND
	;; [unrolled: 3-line block ×4, first 2 shown]
	v_fmac_f32_e32 v13, v0, v9
	v_fmac_f32_e32 v14, v5, v11
	v_lshrrev_b32_e32 v5, 16, v1
	v_and_b32_e32 v0, 0xffff, v1
	;;#ASMSTART
	v_cvt_f32_f16 v0, v0;
	;;#ASMEND
	;;#ASMSTART
	v_cvt_f32_f16 v1, v5;
	;;#ASMEND
	v_and_b32_e32 v5, 0xffff, v37
	v_and_b32_e32 v9, 0xffff, v56
	;;#ASMSTART
	v_cvt_f32_f16 v5, v5;
	;;#ASMEND
	;;#ASMSTART
	v_cvt_f32_f16 v9, v9;
	;;#ASMEND
	v_fmac_f32_e32 v18, v0, v5
	v_fmac_f32_e32 v15, v1, v9
	v_lshrrev_b32_e32 v1, 16, v2
	v_and_b32_e32 v0, 0xffff, v2
	v_and_b32_e32 v2, 0xffff, v8
	;;#ASMSTART
	v_cvt_f32_f16 v0, v0;
	;;#ASMEND
	;;#ASMSTART
	v_cvt_f32_f16 v1, v1;
	;;#ASMEND
	;; [unrolled: 3-line block ×3, first 2 shown]
	v_and_b32_e32 v5, 0xffff, v75
	;;#ASMSTART
	v_cvt_f32_f16 v5, v5;
	;;#ASMEND
	v_fmac_f32_e32 v21, v0, v2
	v_fmac_f32_e32 v20, v1, v5
	v_lshrrev_b32_e32 v1, 16, v3
	v_and_b32_e32 v0, 0xffff, v3
	v_and_b32_e32 v2, 0xffff, v12
	;; [unrolled: 1-line block ×3, first 2 shown]
	;;#ASMSTART
	v_cvt_f32_f16 v0, v0;
	;;#ASMEND
	;;#ASMSTART
	v_cvt_f32_f16 v1, v1;
	;;#ASMEND
	;; [unrolled: 3-line block ×4, first 2 shown]
	v_fmac_f32_e32 v31, v0, v2
	v_fmac_f32_e32 v26, v1, v3
	ds_read_b128 v[0:3], v4 offset:64
	v_and_b32_e32 v8, 0xffff, v10
	v_and_b32_e32 v9, 0xffff, v74
	s_waitcnt lgkmcnt(0)
	v_lshrrev_b32_e32 v5, 16, v0
	v_and_b32_e32 v0, 0xffff, v0
	;;#ASMSTART
	v_cvt_f32_f16 v0, v0;
	;;#ASMEND
	;;#ASMSTART
	v_cvt_f32_f16 v5, v5;
	;;#ASMEND
	;; [unrolled: 3-line block ×4, first 2 shown]
	v_fmac_f32_e32 v13, v0, v8
	v_fmac_f32_e32 v14, v5, v9
	v_lshrrev_b32_e32 v5, 16, v1
	v_and_b32_e32 v0, 0xffff, v1
	;;#ASMSTART
	v_cvt_f32_f16 v0, v0;
	;;#ASMEND
	;;#ASMSTART
	v_cvt_f32_f16 v1, v5;
	;;#ASMEND
	v_and_b32_e32 v5, 0xffff, v116
	;;#ASMSTART
	v_cvt_f32_f16 v5, v5;
	;;#ASMEND
	;;#ASMSTART
	v_cvt_f32_f16 v7, v7;
	;;#ASMEND
	v_fmac_f32_e32 v18, v0, v5
	v_fmac_f32_e32 v15, v1, v7
	v_lshrrev_b32_e32 v1, 16, v2
	v_and_b32_e32 v0, 0xffff, v2
	v_and_b32_e32 v2, 0xffff, v99
	;;#ASMSTART
	v_cvt_f32_f16 v0, v0;
	;;#ASMEND
	;;#ASMSTART
	v_cvt_f32_f16 v1, v1;
	;;#ASMEND
	;; [unrolled: 3-line block ×3, first 2 shown]
	v_and_b32_e32 v5, 0xffff, v91
	;;#ASMSTART
	v_cvt_f32_f16 v5, v5;
	;;#ASMEND
	v_fmac_f32_e32 v21, v0, v2
	v_fmac_f32_e32 v20, v1, v5
	v_lshrrev_b32_e32 v1, 16, v3
	v_and_b32_e32 v0, 0xffff, v3
	v_and_b32_e32 v2, 0xffff, v46
	;; [unrolled: 1-line block ×3, first 2 shown]
	;;#ASMSTART
	v_cvt_f32_f16 v0, v0;
	;;#ASMEND
	;;#ASMSTART
	v_cvt_f32_f16 v1, v1;
	;;#ASMEND
	;; [unrolled: 3-line block ×4, first 2 shown]
	v_fmac_f32_e32 v31, v0, v2
	v_fmac_f32_e32 v26, v1, v3
	ds_read_b128 v[0:3], v4 offset:80
	v_and_b32_e32 v7, 0xffff, v103
	v_and_b32_e32 v8, 0xffff, v58
	s_waitcnt lgkmcnt(0)
	v_lshrrev_b32_e32 v5, 16, v0
	v_and_b32_e32 v0, 0xffff, v0
	;;#ASMSTART
	v_cvt_f32_f16 v0, v0;
	;;#ASMEND
	;;#ASMSTART
	v_cvt_f32_f16 v5, v5;
	;;#ASMEND
	;; [unrolled: 3-line block ×4, first 2 shown]
	v_fmac_f32_e32 v13, v0, v7
	v_fmac_f32_e32 v14, v5, v8
	v_lshrrev_b32_e32 v5, 16, v1
	v_and_b32_e32 v0, 0xffff, v1
	;;#ASMSTART
	v_cvt_f32_f16 v0, v0;
	;;#ASMEND
	;;#ASMSTART
	v_cvt_f32_f16 v1, v5;
	;;#ASMEND
	v_and_b32_e32 v5, 0xffff, v69
	v_and_b32_e32 v7, 0xffff, v51
	;;#ASMSTART
	v_cvt_f32_f16 v5, v5;
	;;#ASMEND
	;;#ASMSTART
	v_cvt_f32_f16 v7, v7;
	;;#ASMEND
	v_fmac_f32_e32 v18, v0, v5
	v_fmac_f32_e32 v15, v1, v7
	v_lshrrev_b32_e32 v1, 16, v2
	v_and_b32_e32 v0, 0xffff, v2
	v_and_b32_e32 v2, 0xffff, v40
	;;#ASMSTART
	v_cvt_f32_f16 v0, v0;
	;;#ASMEND
	;;#ASMSTART
	v_cvt_f32_f16 v1, v1;
	;;#ASMEND
	;; [unrolled: 3-line block ×3, first 2 shown]
	v_and_b32_e32 v5, 0xffff, v102
	;;#ASMSTART
	v_cvt_f32_f16 v5, v5;
	;;#ASMEND
	v_fmac_f32_e32 v21, v0, v2
	v_fmac_f32_e32 v20, v1, v5
	v_lshrrev_b32_e32 v1, 16, v3
	v_and_b32_e32 v0, 0xffff, v3
	v_and_b32_e32 v2, 0xffff, v115
	;; [unrolled: 1-line block ×3, first 2 shown]
	;;#ASMSTART
	v_cvt_f32_f16 v0, v0;
	;;#ASMEND
	;;#ASMSTART
	v_cvt_f32_f16 v1, v1;
	;;#ASMEND
	;; [unrolled: 3-line block ×4, first 2 shown]
	v_fmac_f32_e32 v31, v0, v2
	v_fmac_f32_e32 v26, v1, v3
	ds_read_b128 v[0:3], v4 offset:96
	v_and_b32_e32 v7, 0xffff, v67
	v_and_b32_e32 v8, 0xffff, v107
	s_waitcnt lgkmcnt(0)
	v_lshrrev_b32_e32 v5, 16, v0
	v_and_b32_e32 v0, 0xffff, v0
	;;#ASMSTART
	v_cvt_f32_f16 v0, v0;
	;;#ASMEND
	;;#ASMSTART
	v_cvt_f32_f16 v5, v5;
	;;#ASMEND
	;; [unrolled: 3-line block ×4, first 2 shown]
	v_fmac_f32_e32 v13, v0, v7
	v_fmac_f32_e32 v14, v5, v8
	v_lshrrev_b32_e32 v5, 16, v1
	v_and_b32_e32 v0, 0xffff, v1
	;;#ASMSTART
	v_cvt_f32_f16 v0, v0;
	;;#ASMEND
	;;#ASMSTART
	v_cvt_f32_f16 v1, v5;
	;;#ASMEND
	v_and_b32_e32 v5, 0xffff, v96
	v_and_b32_e32 v7, 0xffff, v53
	;;#ASMSTART
	v_cvt_f32_f16 v5, v5;
	;;#ASMEND
	;;#ASMSTART
	v_cvt_f32_f16 v7, v7;
	;;#ASMEND
	v_fmac_f32_e32 v18, v0, v5
	v_fmac_f32_e32 v15, v1, v7
	v_lshrrev_b32_e32 v1, 16, v2
	v_and_b32_e32 v0, 0xffff, v2
	v_and_b32_e32 v2, 0xffff, v119
	;;#ASMSTART
	v_cvt_f32_f16 v0, v0;
	;;#ASMEND
	;;#ASMSTART
	v_cvt_f32_f16 v1, v1;
	;;#ASMEND
	;; [unrolled: 3-line block ×3, first 2 shown]
	v_and_b32_e32 v5, 0xffff, v123
	;;#ASMSTART
	v_cvt_f32_f16 v5, v5;
	;;#ASMEND
	v_fmac_f32_e32 v21, v0, v2
	v_fmac_f32_e32 v20, v1, v5
	v_lshrrev_b32_e32 v1, 16, v3
	v_and_b32_e32 v0, 0xffff, v3
	v_and_b32_e32 v2, 0xffff, v113
	;; [unrolled: 1-line block ×3, first 2 shown]
	;;#ASMSTART
	v_cvt_f32_f16 v0, v0;
	;;#ASMEND
	;;#ASMSTART
	v_cvt_f32_f16 v1, v1;
	;;#ASMEND
	;; [unrolled: 3-line block ×4, first 2 shown]
	v_fmac_f32_e32 v31, v0, v2
	v_fmac_f32_e32 v26, v1, v3
	ds_read_b128 v[0:3], v4 offset:112
	v_and_b32_e32 v7, 0xffff, v50
	v_and_b32_e32 v8, 0xffff, v43
	s_waitcnt lgkmcnt(0)
	v_lshrrev_b32_e32 v5, 16, v0
	v_and_b32_e32 v0, 0xffff, v0
	;;#ASMSTART
	v_cvt_f32_f16 v0, v0;
	;;#ASMEND
	;;#ASMSTART
	v_cvt_f32_f16 v5, v5;
	;;#ASMEND
	;; [unrolled: 3-line block ×4, first 2 shown]
	v_fmac_f32_e32 v13, v0, v7
	v_fmac_f32_e32 v14, v5, v8
	v_lshrrev_b32_e32 v5, 16, v1
	v_and_b32_e32 v0, 0xffff, v1
	;;#ASMSTART
	v_cvt_f32_f16 v0, v0;
	;;#ASMEND
	;;#ASMSTART
	v_cvt_f32_f16 v1, v5;
	;;#ASMEND
	v_and_b32_e32 v5, 0xffff, v97
	v_and_b32_e32 v7, 0xffff, v55
	;;#ASMSTART
	v_cvt_f32_f16 v5, v5;
	;;#ASMEND
	;;#ASMSTART
	v_cvt_f32_f16 v7, v7;
	;;#ASMEND
	v_fmac_f32_e32 v18, v0, v5
	v_fmac_f32_e32 v15, v1, v7
	v_lshrrev_b32_e32 v1, 16, v2
	v_and_b32_e32 v0, 0xffff, v2
	v_and_b32_e32 v2, 0xffff, v66
	;;#ASMSTART
	v_cvt_f32_f16 v0, v0;
	;;#ASMEND
	;;#ASMSTART
	v_cvt_f32_f16 v1, v1;
	;;#ASMEND
	;; [unrolled: 3-line block ×3, first 2 shown]
	v_and_b32_e32 v5, 0xffff, v54
	;;#ASMSTART
	v_cvt_f32_f16 v5, v5;
	;;#ASMEND
	v_fmac_f32_e32 v21, v0, v2
	v_fmac_f32_e32 v20, v1, v5
	v_lshrrev_b32_e32 v1, 16, v3
	v_and_b32_e32 v0, 0xffff, v3
	v_and_b32_e32 v2, 0xffff, v61
	;; [unrolled: 1-line block ×3, first 2 shown]
	;;#ASMSTART
	v_cvt_f32_f16 v0, v0;
	;;#ASMEND
	;;#ASMSTART
	v_cvt_f32_f16 v1, v1;
	;;#ASMEND
	;; [unrolled: 3-line block ×4, first 2 shown]
	v_fmac_f32_e32 v31, v0, v2
	v_fmac_f32_e32 v26, v1, v3
	ds_read_b128 v[0:3], v4 offset:128
	v_and_b32_e32 v7, 0xffff, v59
	v_and_b32_e32 v8, 0xffff, v87
	s_waitcnt lgkmcnt(0)
	v_lshrrev_b32_e32 v5, 16, v0
	v_and_b32_e32 v0, 0xffff, v0
	;;#ASMSTART
	v_cvt_f32_f16 v0, v0;
	;;#ASMEND
	;;#ASMSTART
	v_cvt_f32_f16 v5, v5;
	;;#ASMEND
	;; [unrolled: 3-line block ×4, first 2 shown]
	v_fmac_f32_e32 v13, v0, v7
	v_fmac_f32_e32 v14, v5, v8
	v_lshrrev_b32_e32 v5, 16, v1
	v_and_b32_e32 v0, 0xffff, v1
	;;#ASMSTART
	v_cvt_f32_f16 v0, v0;
	;;#ASMEND
	;;#ASMSTART
	v_cvt_f32_f16 v1, v5;
	;;#ASMEND
	v_and_b32_e32 v5, 0xffff, v33
	v_and_b32_e32 v7, 0xffff, v81
	;;#ASMSTART
	v_cvt_f32_f16 v5, v5;
	;;#ASMEND
	;;#ASMSTART
	v_cvt_f32_f16 v7, v7;
	;;#ASMEND
	v_fmac_f32_e32 v18, v0, v5
	v_fmac_f32_e32 v15, v1, v7
	v_lshrrev_b32_e32 v1, 16, v2
	v_and_b32_e32 v0, 0xffff, v2
	v_and_b32_e32 v2, 0xffff, v80
	;;#ASMSTART
	v_cvt_f32_f16 v0, v0;
	;;#ASMEND
	;;#ASMSTART
	v_cvt_f32_f16 v1, v1;
	;;#ASMEND
	;; [unrolled: 3-line block ×3, first 2 shown]
	v_and_b32_e32 v5, 0xffff, v86
	;;#ASMSTART
	v_cvt_f32_f16 v5, v5;
	;;#ASMEND
	v_fmac_f32_e32 v21, v0, v2
	v_fmac_f32_e32 v20, v1, v5
	v_lshrrev_b32_e32 v1, 16, v3
	v_and_b32_e32 v0, 0xffff, v3
	v_and_b32_e32 v2, 0xffff, v127
	;; [unrolled: 1-line block ×3, first 2 shown]
	;;#ASMSTART
	v_cvt_f32_f16 v0, v0;
	;;#ASMEND
	;;#ASMSTART
	v_cvt_f32_f16 v1, v1;
	;;#ASMEND
	;; [unrolled: 3-line block ×4, first 2 shown]
	v_fmac_f32_e32 v31, v0, v2
	v_fmac_f32_e32 v26, v1, v3
	ds_read_b128 v[0:3], v4 offset:144
	v_and_b32_e32 v7, 0xffff, v124
	v_and_b32_e32 v8, 0xffff, v121
	s_waitcnt lgkmcnt(0)
	v_lshrrev_b32_e32 v5, 16, v0
	v_and_b32_e32 v0, 0xffff, v0
	;;#ASMSTART
	v_cvt_f32_f16 v0, v0;
	;;#ASMEND
	;;#ASMSTART
	v_cvt_f32_f16 v5, v5;
	;;#ASMEND
	;; [unrolled: 3-line block ×4, first 2 shown]
	v_fmac_f32_e32 v13, v0, v7
	v_fmac_f32_e32 v14, v5, v8
	v_lshrrev_b32_e32 v5, 16, v1
	v_and_b32_e32 v0, 0xffff, v1
	;;#ASMSTART
	v_cvt_f32_f16 v0, v0;
	;;#ASMEND
	;;#ASMSTART
	v_cvt_f32_f16 v1, v5;
	;;#ASMEND
	v_and_b32_e32 v5, 0xffff, v111
	v_and_b32_e32 v7, 0xffff, v110
	;;#ASMSTART
	v_cvt_f32_f16 v5, v5;
	;;#ASMEND
	;;#ASMSTART
	v_cvt_f32_f16 v7, v7;
	;;#ASMEND
	v_fmac_f32_e32 v18, v0, v5
	v_fmac_f32_e32 v15, v1, v7
	v_lshrrev_b32_e32 v1, 16, v2
	v_and_b32_e32 v0, 0xffff, v2
	v_and_b32_e32 v2, 0xffff, v35
	;;#ASMSTART
	v_cvt_f32_f16 v0, v0;
	;;#ASMEND
	;;#ASMSTART
	v_cvt_f32_f16 v1, v1;
	;;#ASMEND
	;; [unrolled: 3-line block ×3, first 2 shown]
	v_and_b32_e32 v5, 0xffff, v36
	;;#ASMSTART
	v_cvt_f32_f16 v5, v5;
	;;#ASMEND
	v_fmac_f32_e32 v21, v0, v2
	v_fmac_f32_e32 v20, v1, v5
	v_lshrrev_b32_e32 v1, 16, v3
	v_and_b32_e32 v0, 0xffff, v3
	v_and_b32_e32 v2, 0xffff, v52
	;; [unrolled: 1-line block ×3, first 2 shown]
	;;#ASMSTART
	v_cvt_f32_f16 v0, v0;
	;;#ASMEND
	;;#ASMSTART
	v_cvt_f32_f16 v1, v1;
	;;#ASMEND
	;; [unrolled: 3-line block ×4, first 2 shown]
	v_fmac_f32_e32 v31, v0, v2
	v_fmac_f32_e32 v26, v1, v3
	ds_read_b128 v[0:3], v4 offset:160
	v_and_b32_e32 v7, 0xffff, v108
	v_and_b32_e32 v8, 0xffff, v105
	s_waitcnt lgkmcnt(0)
	v_lshrrev_b32_e32 v5, 16, v0
	v_and_b32_e32 v0, 0xffff, v0
	;;#ASMSTART
	v_cvt_f32_f16 v0, v0;
	;;#ASMEND
	;;#ASMSTART
	v_cvt_f32_f16 v5, v5;
	;;#ASMEND
	;; [unrolled: 3-line block ×4, first 2 shown]
	v_fmac_f32_e32 v13, v0, v7
	v_fmac_f32_e32 v14, v5, v8
	v_lshrrev_b32_e32 v5, 16, v1
	v_and_b32_e32 v0, 0xffff, v1
	;;#ASMSTART
	v_cvt_f32_f16 v0, v0;
	;;#ASMEND
	;;#ASMSTART
	v_cvt_f32_f16 v1, v5;
	;;#ASMEND
	v_and_b32_e32 v5, 0xffff, v95
	v_and_b32_e32 v7, 0xffff, v65
	;;#ASMSTART
	v_cvt_f32_f16 v5, v5;
	;;#ASMEND
	;;#ASMSTART
	v_cvt_f32_f16 v7, v7;
	;;#ASMEND
	v_fmac_f32_e32 v18, v0, v5
	v_fmac_f32_e32 v15, v1, v7
	v_lshrrev_b32_e32 v1, 16, v2
	v_and_b32_e32 v0, 0xffff, v2
	v_and_b32_e32 v2, 0xffff, v29
	;;#ASMSTART
	v_cvt_f32_f16 v0, v0;
	;;#ASMEND
	;;#ASMSTART
	v_cvt_f32_f16 v1, v1;
	;;#ASMEND
	;;#ASMSTART
	v_cvt_f32_f16 v2, v2;
	;;#ASMEND
	v_and_b32_e32 v5, 0xffff, v94
	;;#ASMSTART
	v_cvt_f32_f16 v5, v5;
	;;#ASMEND
	v_fmac_f32_e32 v21, v0, v2
	v_fmac_f32_e32 v20, v1, v5
	v_lshrrev_b32_e32 v1, 16, v3
	v_and_b32_e32 v0, 0xffff, v3
	v_and_b32_e32 v2, 0xffff, v30
	;; [unrolled: 1-line block ×3, first 2 shown]
	;;#ASMSTART
	v_cvt_f32_f16 v0, v0;
	;;#ASMEND
	;;#ASMSTART
	v_cvt_f32_f16 v1, v1;
	;;#ASMEND
	;; [unrolled: 3-line block ×4, first 2 shown]
	v_fmac_f32_e32 v31, v0, v2
	v_fmac_f32_e32 v26, v1, v3
	ds_read_b128 v[0:3], v4 offset:176
	v_and_b32_e32 v7, 0xffff, v49
	v_and_b32_e32 v8, 0xffff, v92
	s_waitcnt lgkmcnt(0)
	v_lshrrev_b32_e32 v5, 16, v0
	v_and_b32_e32 v0, 0xffff, v0
	;;#ASMSTART
	v_cvt_f32_f16 v0, v0;
	;;#ASMEND
	;;#ASMSTART
	v_cvt_f32_f16 v5, v5;
	;;#ASMEND
	;;#ASMSTART
	v_cvt_f32_f16 v7, v7;
	;;#ASMEND
	;;#ASMSTART
	v_cvt_f32_f16 v8, v8;
	;;#ASMEND
	v_fmac_f32_e32 v13, v0, v7
	v_fmac_f32_e32 v14, v5, v8
	v_lshrrev_b32_e32 v5, 16, v1
	v_and_b32_e32 v0, 0xffff, v1
	;;#ASMSTART
	v_cvt_f32_f16 v0, v0;
	;;#ASMEND
	;;#ASMSTART
	v_cvt_f32_f16 v1, v5;
	;;#ASMEND
	v_and_b32_e32 v5, 0xffff, v68
	v_and_b32_e32 v7, 0xffff, v84
	;;#ASMSTART
	v_cvt_f32_f16 v5, v5;
	;;#ASMEND
	;;#ASMSTART
	v_cvt_f32_f16 v7, v7;
	;;#ASMEND
	v_fmac_f32_e32 v18, v0, v5
	v_fmac_f32_e32 v15, v1, v7
	v_lshrrev_b32_e32 v1, 16, v2
	v_and_b32_e32 v0, 0xffff, v2
	v_and_b32_e32 v2, 0xffff, v73
	;;#ASMSTART
	v_cvt_f32_f16 v0, v0;
	;;#ASMEND
	;;#ASMSTART
	v_cvt_f32_f16 v1, v1;
	;;#ASMEND
	;; [unrolled: 3-line block ×3, first 2 shown]
	v_and_b32_e32 v5, 0xffff, v100
	;;#ASMSTART
	v_cvt_f32_f16 v5, v5;
	;;#ASMEND
	v_fmac_f32_e32 v21, v0, v2
	v_fmac_f32_e32 v20, v1, v5
	v_lshrrev_b32_e32 v1, 16, v3
	v_and_b32_e32 v0, 0xffff, v3
	v_and_b32_e32 v2, 0xffff, v101
	;; [unrolled: 1-line block ×3, first 2 shown]
	;;#ASMSTART
	v_cvt_f32_f16 v0, v0;
	;;#ASMEND
	;;#ASMSTART
	v_cvt_f32_f16 v1, v1;
	;;#ASMEND
	;;#ASMSTART
	v_cvt_f32_f16 v2, v2;
	;;#ASMEND
	;;#ASMSTART
	v_cvt_f32_f16 v3, v3;
	;;#ASMEND
	v_fmac_f32_e32 v31, v0, v2
	v_fmac_f32_e32 v26, v1, v3
	ds_read_b128 v[0:3], v4 offset:192
	v_and_b32_e32 v7, 0xffff, v79
	v_and_b32_e32 v8, 0xffff, v117
	s_waitcnt lgkmcnt(0)
	v_lshrrev_b32_e32 v5, 16, v0
	v_and_b32_e32 v0, 0xffff, v0
	;;#ASMSTART
	v_cvt_f32_f16 v0, v0;
	;;#ASMEND
	;;#ASMSTART
	v_cvt_f32_f16 v5, v5;
	;;#ASMEND
	;; [unrolled: 3-line block ×4, first 2 shown]
	v_fmac_f32_e32 v13, v0, v7
	v_fmac_f32_e32 v14, v5, v8
	v_lshrrev_b32_e32 v5, 16, v1
	v_and_b32_e32 v0, 0xffff, v1
	;;#ASMSTART
	v_cvt_f32_f16 v0, v0;
	;;#ASMEND
	;;#ASMSTART
	v_cvt_f32_f16 v1, v5;
	;;#ASMEND
	v_and_b32_e32 v5, 0xffff, v41
	;;#ASMSTART
	v_cvt_f32_f16 v5, v5;
	;;#ASMEND
	buffer_load_dword v6, off, s[0:3], s32 offset:544 ; 4-byte Folded Reload
	v_fmac_f32_e32 v18, v0, v5
	v_and_b32_e32 v0, 0xffff, v2
	v_and_b32_e32 v5, 0xffff, v42
	s_waitcnt vmcnt(0)
	v_and_b32_e32 v7, 0xffff, v6
	;;#ASMSTART
	v_cvt_f32_f16 v7, v7;
	;;#ASMEND
	v_fmac_f32_e32 v15, v1, v7
	v_lshrrev_b32_e32 v1, 16, v2
	;;#ASMSTART
	v_cvt_f32_f16 v0, v0;
	;;#ASMEND
	;;#ASMSTART
	v_cvt_f32_f16 v1, v1;
	;;#ASMEND
	buffer_load_dword v2, off, s[0:3], s32 offset:536 ; 4-byte Folded Reload
	v_and_b32_e32 v7, 0xffff, v93
	s_waitcnt vmcnt(0)
	v_and_b32_e32 v2, 0xffff, v2
	;;#ASMSTART
	v_cvt_f32_f16 v2, v2;
	;;#ASMEND
	;;#ASMSTART
	v_cvt_f32_f16 v5, v5;
	;;#ASMEND
	v_fmac_f32_e32 v21, v0, v2
	v_fmac_f32_e32 v20, v1, v5
	v_lshrrev_b32_e32 v1, 16, v3
	v_and_b32_e32 v0, 0xffff, v3
	v_and_b32_e32 v2, 0xffff, v60
	;; [unrolled: 1-line block ×3, first 2 shown]
	;;#ASMSTART
	v_cvt_f32_f16 v0, v0;
	;;#ASMEND
	;;#ASMSTART
	v_cvt_f32_f16 v1, v1;
	;;#ASMEND
	;; [unrolled: 3-line block ×4, first 2 shown]
	v_fmac_f32_e32 v31, v0, v2
	v_fmac_f32_e32 v26, v1, v3
	ds_read_b128 v[0:3], v4 offset:208
	s_waitcnt lgkmcnt(0)
	v_lshrrev_b32_e32 v5, 16, v0
	v_and_b32_e32 v0, 0xffff, v0
	;;#ASMSTART
	v_cvt_f32_f16 v0, v0;
	;;#ASMEND
	;;#ASMSTART
	v_cvt_f32_f16 v5, v5;
	;;#ASMEND
	;; [unrolled: 3-line block ×3, first 2 shown]
	buffer_load_dword v6, off, s[0:3], s32 offset:616 ; 4-byte Folded Reload
	v_fmac_f32_e32 v13, v0, v7
	v_and_b32_e32 v0, 0xffff, v1
	s_waitcnt vmcnt(0)
	v_and_b32_e32 v8, 0xffff, v6
	;;#ASMSTART
	v_cvt_f32_f16 v8, v8;
	;;#ASMEND
	v_fmac_f32_e32 v14, v5, v8
	v_lshrrev_b32_e32 v5, 16, v1
	;;#ASMSTART
	v_cvt_f32_f16 v0, v0;
	;;#ASMEND
	;;#ASMSTART
	v_cvt_f32_f16 v1, v5;
	;;#ASMEND
	buffer_load_dword v5, off, s[0:3], s32 offset:612 ; 4-byte Folded Reload
	s_waitcnt vmcnt(0)
	v_and_b32_e32 v5, 0xffff, v5
	;;#ASMSTART
	v_cvt_f32_f16 v5, v5;
	;;#ASMEND
	buffer_load_dword v6, off, s[0:3], s32 offset:580 ; 4-byte Folded Reload
	v_fmac_f32_e32 v18, v0, v5
	v_and_b32_e32 v0, 0xffff, v2
	s_waitcnt vmcnt(0)
	v_and_b32_e32 v7, 0xffff, v6
	;;#ASMSTART
	v_cvt_f32_f16 v7, v7;
	;;#ASMEND
	v_fmac_f32_e32 v15, v1, v7
	v_lshrrev_b32_e32 v1, 16, v2
	;;#ASMSTART
	v_cvt_f32_f16 v0, v0;
	;;#ASMEND
	;;#ASMSTART
	v_cvt_f32_f16 v1, v1;
	;;#ASMEND
	buffer_load_dword v2, off, s[0:3], s32 offset:576 ; 4-byte Folded Reload
	s_waitcnt vmcnt(0)
	v_and_b32_e32 v2, 0xffff, v2
	;;#ASMSTART
	v_cvt_f32_f16 v2, v2;
	;;#ASMEND
	buffer_load_dword v5, off, s[0:3], s32 offset:572 ; 4-byte Folded Reload
	v_fmac_f32_e32 v21, v0, v2
	v_and_b32_e32 v0, 0xffff, v3
	s_waitcnt vmcnt(0)
	v_and_b32_e32 v5, 0xffff, v5
	;;#ASMSTART
	v_cvt_f32_f16 v5, v5;
	;;#ASMEND
	v_fmac_f32_e32 v20, v1, v5
	v_lshrrev_b32_e32 v1, 16, v3
	;;#ASMSTART
	v_cvt_f32_f16 v0, v0;
	;;#ASMEND
	;;#ASMSTART
	v_cvt_f32_f16 v1, v1;
	;;#ASMEND
	buffer_load_dword v2, off, s[0:3], s32 offset:568 ; 4-byte Folded Reload
	s_waitcnt vmcnt(0)
	v_and_b32_e32 v2, 0xffff, v2
	;;#ASMSTART
	v_cvt_f32_f16 v2, v2;
	;;#ASMEND
	buffer_load_dword v3, off, s[0:3], s32 offset:564 ; 4-byte Folded Reload
	v_fmac_f32_e32 v31, v0, v2
	s_waitcnt vmcnt(0)
	v_and_b32_e32 v3, 0xffff, v3
	;;#ASMSTART
	v_cvt_f32_f16 v3, v3;
	;;#ASMEND
	v_fmac_f32_e32 v26, v1, v3
	ds_read_b128 v[0:3], v4 offset:224
	s_waitcnt lgkmcnt(0)
	v_lshrrev_b32_e32 v5, 16, v0
	v_and_b32_e32 v0, 0xffff, v0
	;;#ASMSTART
	v_cvt_f32_f16 v0, v0;
	;;#ASMEND
	;;#ASMSTART
	v_cvt_f32_f16 v5, v5;
	;;#ASMEND
	buffer_load_dword v6, off, s[0:3], s32 offset:800 ; 4-byte Folded Reload
	s_waitcnt vmcnt(0)
	v_and_b32_e32 v7, 0xffff, v6
	;;#ASMSTART
	v_cvt_f32_f16 v7, v7;
	;;#ASMEND
	buffer_load_dword v6, off, s[0:3], s32 offset:644 ; 4-byte Folded Reload
	v_fmac_f32_e32 v13, v0, v7
	v_and_b32_e32 v0, 0xffff, v1
	s_waitcnt vmcnt(0)
	v_and_b32_e32 v8, 0xffff, v6
	;;#ASMSTART
	v_cvt_f32_f16 v8, v8;
	;;#ASMEND
	v_fmac_f32_e32 v14, v5, v8
	v_lshrrev_b32_e32 v5, 16, v1
	;;#ASMSTART
	v_cvt_f32_f16 v0, v0;
	;;#ASMEND
	;;#ASMSTART
	v_cvt_f32_f16 v1, v5;
	;;#ASMEND
	buffer_load_dword v5, off, s[0:3], s32 offset:640 ; 4-byte Folded Reload
	s_waitcnt vmcnt(0)
	v_and_b32_e32 v5, 0xffff, v5
	;;#ASMSTART
	v_cvt_f32_f16 v5, v5;
	;;#ASMEND
	buffer_load_dword v6, off, s[0:3], s32 offset:608 ; 4-byte Folded Reload
	v_fmac_f32_e32 v18, v0, v5
	v_and_b32_e32 v0, 0xffff, v2
	s_waitcnt vmcnt(0)
	v_and_b32_e32 v7, 0xffff, v6
	;;#ASMSTART
	v_cvt_f32_f16 v7, v7;
	;;#ASMEND
	v_fmac_f32_e32 v15, v1, v7
	v_lshrrev_b32_e32 v1, 16, v2
	;; [unrolled: 22-line block ×3, first 2 shown]
	;;#ASMSTART
	v_cvt_f32_f16 v0, v0;
	;;#ASMEND
	;;#ASMSTART
	v_cvt_f32_f16 v1, v1;
	;;#ASMEND
	buffer_load_dword v2, off, s[0:3], s32 offset:596 ; 4-byte Folded Reload
	s_waitcnt vmcnt(0)
	v_and_b32_e32 v2, 0xffff, v2
	;;#ASMSTART
	v_cvt_f32_f16 v2, v2;
	;;#ASMEND
	buffer_load_dword v3, off, s[0:3], s32 offset:592 ; 4-byte Folded Reload
	v_fmac_f32_e32 v31, v0, v2
	s_waitcnt vmcnt(0)
	v_and_b32_e32 v3, 0xffff, v3
	;;#ASMSTART
	v_cvt_f32_f16 v3, v3;
	;;#ASMEND
	v_fmac_f32_e32 v26, v1, v3
	ds_read_b128 v[0:3], v4 offset:240
	s_waitcnt lgkmcnt(0)
	v_lshrrev_b32_e32 v5, 16, v0
	v_and_b32_e32 v0, 0xffff, v0
	;;#ASMSTART
	v_cvt_f32_f16 v0, v0;
	;;#ASMEND
	;;#ASMSTART
	v_cvt_f32_f16 v5, v5;
	;;#ASMEND
	buffer_load_dword v6, off, s[0:3], s32 offset:804 ; 4-byte Folded Reload
	s_waitcnt vmcnt(0)
	v_and_b32_e32 v7, 0xffff, v6
	;;#ASMSTART
	v_cvt_f32_f16 v7, v7;
	;;#ASMEND
	buffer_load_dword v6, off, s[0:3], s32 offset:672 ; 4-byte Folded Reload
	v_fmac_f32_e32 v13, v0, v7
	v_and_b32_e32 v0, 0xffff, v1
	s_waitcnt vmcnt(0)
	v_and_b32_e32 v8, 0xffff, v6
	;;#ASMSTART
	v_cvt_f32_f16 v8, v8;
	;;#ASMEND
	v_fmac_f32_e32 v14, v5, v8
	v_lshrrev_b32_e32 v5, 16, v1
	;;#ASMSTART
	v_cvt_f32_f16 v0, v0;
	;;#ASMEND
	;;#ASMSTART
	v_cvt_f32_f16 v1, v5;
	;;#ASMEND
	buffer_load_dword v5, off, s[0:3], s32 offset:668 ; 4-byte Folded Reload
	s_waitcnt vmcnt(0)
	v_and_b32_e32 v5, 0xffff, v5
	;;#ASMSTART
	v_cvt_f32_f16 v5, v5;
	;;#ASMEND
	buffer_load_dword v6, off, s[0:3], s32 offset:636 ; 4-byte Folded Reload
	v_fmac_f32_e32 v18, v0, v5
	v_and_b32_e32 v0, 0xffff, v2
	s_waitcnt vmcnt(0)
	v_and_b32_e32 v7, 0xffff, v6
	;;#ASMSTART
	v_cvt_f32_f16 v7, v7;
	;;#ASMEND
	v_fmac_f32_e32 v15, v1, v7
	v_lshrrev_b32_e32 v1, 16, v2
	;; [unrolled: 22-line block ×3, first 2 shown]
	;;#ASMSTART
	v_cvt_f32_f16 v0, v0;
	;;#ASMEND
	;;#ASMSTART
	v_cvt_f32_f16 v1, v1;
	;;#ASMEND
	buffer_load_dword v2, off, s[0:3], s32 offset:624 ; 4-byte Folded Reload
	s_waitcnt vmcnt(0)
	v_and_b32_e32 v2, 0xffff, v2
	;;#ASMSTART
	v_cvt_f32_f16 v2, v2;
	;;#ASMEND
	buffer_load_dword v3, off, s[0:3], s32 offset:620 ; 4-byte Folded Reload
	v_fmac_f32_e32 v31, v0, v2
	s_waitcnt vmcnt(0)
	v_and_b32_e32 v3, 0xffff, v3
	;;#ASMSTART
	v_cvt_f32_f16 v3, v3;
	;;#ASMEND
	v_fmac_f32_e32 v26, v1, v3
	ds_read_b128 v[0:3], v4 offset:256
	s_waitcnt lgkmcnt(0)
	v_lshrrev_b32_e32 v5, 16, v0
	v_and_b32_e32 v0, 0xffff, v0
	;;#ASMSTART
	v_cvt_f32_f16 v0, v0;
	;;#ASMEND
	;;#ASMSTART
	v_cvt_f32_f16 v5, v5;
	;;#ASMEND
	buffer_load_dword v6, off, s[0:3], s32 offset:1220 ; 4-byte Folded Reload
	s_waitcnt vmcnt(0)
	v_and_b32_e32 v7, 0xffff, v6
	;;#ASMSTART
	v_cvt_f32_f16 v7, v7;
	;;#ASMEND
	buffer_load_dword v6, off, s[0:3], s32 offset:1216 ; 4-byte Folded Reload
	v_fmac_f32_e32 v13, v0, v7
	v_and_b32_e32 v0, 0xffff, v1
	s_waitcnt vmcnt(0)
	v_and_b32_e32 v8, 0xffff, v6
	;;#ASMSTART
	v_cvt_f32_f16 v8, v8;
	;;#ASMEND
	v_fmac_f32_e32 v14, v5, v8
	v_lshrrev_b32_e32 v5, 16, v1
	;;#ASMSTART
	v_cvt_f32_f16 v0, v0;
	;;#ASMEND
	;;#ASMSTART
	v_cvt_f32_f16 v1, v5;
	;;#ASMEND
	buffer_load_dword v5, off, s[0:3], s32 offset:688 ; 4-byte Folded Reload
	s_waitcnt vmcnt(0)
	v_and_b32_e32 v5, 0xffff, v5
	;;#ASMSTART
	v_cvt_f32_f16 v5, v5;
	;;#ASMEND
	buffer_load_dword v6, off, s[0:3], s32 offset:664 ; 4-byte Folded Reload
	v_fmac_f32_e32 v18, v0, v5
	v_and_b32_e32 v0, 0xffff, v2
	s_waitcnt vmcnt(0)
	v_and_b32_e32 v7, 0xffff, v6
	;;#ASMSTART
	v_cvt_f32_f16 v7, v7;
	;;#ASMEND
	v_fmac_f32_e32 v15, v1, v7
	v_lshrrev_b32_e32 v1, 16, v2
	;; [unrolled: 22-line block ×3, first 2 shown]
	;;#ASMSTART
	v_cvt_f32_f16 v0, v0;
	;;#ASMEND
	;;#ASMSTART
	v_cvt_f32_f16 v1, v1;
	;;#ASMEND
	buffer_load_dword v2, off, s[0:3], s32 offset:652 ; 4-byte Folded Reload
	s_waitcnt vmcnt(0)
	v_and_b32_e32 v2, 0xffff, v2
	;;#ASMSTART
	v_cvt_f32_f16 v2, v2;
	;;#ASMEND
	buffer_load_dword v3, off, s[0:3], s32 offset:648 ; 4-byte Folded Reload
	v_fmac_f32_e32 v31, v0, v2
	s_waitcnt vmcnt(0)
	v_and_b32_e32 v3, 0xffff, v3
	;;#ASMSTART
	v_cvt_f32_f16 v3, v3;
	;;#ASMEND
	v_fmac_f32_e32 v26, v1, v3
	ds_read_b128 v[0:3], v4 offset:272
	s_waitcnt lgkmcnt(0)
	v_lshrrev_b32_e32 v5, 16, v0
	v_and_b32_e32 v0, 0xffff, v0
	;;#ASMSTART
	v_cvt_f32_f16 v0, v0;
	;;#ASMEND
	;;#ASMSTART
	v_cvt_f32_f16 v5, v5;
	;;#ASMEND
	buffer_load_dword v6, off, s[0:3], s32 offset:1212 ; 4-byte Folded Reload
	s_waitcnt vmcnt(0)
	v_and_b32_e32 v7, 0xffff, v6
	;;#ASMSTART
	v_cvt_f32_f16 v7, v7;
	;;#ASMEND
	buffer_load_dword v6, off, s[0:3], s32 offset:1208 ; 4-byte Folded Reload
	v_fmac_f32_e32 v13, v0, v7
	v_and_b32_e32 v0, 0xffff, v1
	s_waitcnt vmcnt(0)
	v_and_b32_e32 v8, 0xffff, v6
	;;#ASMSTART
	v_cvt_f32_f16 v8, v8;
	;;#ASMEND
	v_fmac_f32_e32 v14, v5, v8
	v_lshrrev_b32_e32 v5, 16, v1
	;;#ASMSTART
	v_cvt_f32_f16 v0, v0;
	;;#ASMEND
	;;#ASMSTART
	v_cvt_f32_f16 v1, v5;
	;;#ASMEND
	buffer_load_dword v5, off, s[0:3], s32 offset:1204 ; 4-byte Folded Reload
	s_waitcnt vmcnt(0)
	v_and_b32_e32 v5, 0xffff, v5
	;;#ASMSTART
	v_cvt_f32_f16 v5, v5;
	;;#ASMEND
	buffer_load_dword v6, off, s[0:3], s32 offset:1200 ; 4-byte Folded Reload
	v_fmac_f32_e32 v18, v0, v5
	v_and_b32_e32 v0, 0xffff, v2
	s_waitcnt vmcnt(0)
	v_and_b32_e32 v7, 0xffff, v6
	;;#ASMSTART
	v_cvt_f32_f16 v7, v7;
	;;#ASMEND
	v_fmac_f32_e32 v15, v1, v7
	v_lshrrev_b32_e32 v1, 16, v2
	;;#ASMSTART
	v_cvt_f32_f16 v0, v0;
	;;#ASMEND
	;;#ASMSTART
	v_cvt_f32_f16 v1, v1;
	;;#ASMEND
	buffer_load_dword v2, off, s[0:3], s32 offset:704 ; 4-byte Folded Reload
	s_waitcnt vmcnt(0)
	v_and_b32_e32 v2, 0xffff, v2
	;;#ASMSTART
	v_cvt_f32_f16 v2, v2;
	;;#ASMEND
	buffer_load_dword v5, off, s[0:3], s32 offset:684 ; 4-byte Folded Reload
	v_fmac_f32_e32 v21, v0, v2
	v_and_b32_e32 v0, 0xffff, v3
	s_waitcnt vmcnt(0)
	v_and_b32_e32 v5, 0xffff, v5
	;;#ASMSTART
	v_cvt_f32_f16 v5, v5;
	;;#ASMEND
	v_fmac_f32_e32 v20, v1, v5
	v_lshrrev_b32_e32 v1, 16, v3
	;;#ASMSTART
	v_cvt_f32_f16 v0, v0;
	;;#ASMEND
	;;#ASMSTART
	v_cvt_f32_f16 v1, v1;
	;;#ASMEND
	buffer_load_dword v2, off, s[0:3], s32 offset:680 ; 4-byte Folded Reload
	s_waitcnt vmcnt(0)
	v_and_b32_e32 v2, 0xffff, v2
	;;#ASMSTART
	v_cvt_f32_f16 v2, v2;
	;;#ASMEND
	buffer_load_dword v3, off, s[0:3], s32 offset:676 ; 4-byte Folded Reload
	v_fmac_f32_e32 v31, v0, v2
	s_waitcnt vmcnt(0)
	v_and_b32_e32 v3, 0xffff, v3
	;;#ASMSTART
	v_cvt_f32_f16 v3, v3;
	;;#ASMEND
	v_fmac_f32_e32 v26, v1, v3
	ds_read_b128 v[0:3], v4 offset:288
	s_waitcnt lgkmcnt(0)
	v_lshrrev_b32_e32 v5, 16, v0
	v_and_b32_e32 v0, 0xffff, v0
	;;#ASMSTART
	v_cvt_f32_f16 v0, v0;
	;;#ASMEND
	;;#ASMSTART
	v_cvt_f32_f16 v5, v5;
	;;#ASMEND
	buffer_load_dword v6, off, s[0:3], s32 offset:1196 ; 4-byte Folded Reload
	s_waitcnt vmcnt(0)
	v_and_b32_e32 v7, 0xffff, v6
	;;#ASMSTART
	v_cvt_f32_f16 v7, v7;
	;;#ASMEND
	buffer_load_dword v6, off, s[0:3], s32 offset:1192 ; 4-byte Folded Reload
	v_fmac_f32_e32 v13, v0, v7
	v_and_b32_e32 v0, 0xffff, v1
	s_waitcnt vmcnt(0)
	v_and_b32_e32 v8, 0xffff, v6
	;;#ASMSTART
	v_cvt_f32_f16 v8, v8;
	;;#ASMEND
	v_fmac_f32_e32 v14, v5, v8
	v_lshrrev_b32_e32 v5, 16, v1
	;;#ASMSTART
	v_cvt_f32_f16 v0, v0;
	;;#ASMEND
	;;#ASMSTART
	v_cvt_f32_f16 v1, v5;
	;;#ASMEND
	buffer_load_dword v5, off, s[0:3], s32 offset:1188 ; 4-byte Folded Reload
	s_waitcnt vmcnt(0)
	v_and_b32_e32 v5, 0xffff, v5
	;;#ASMSTART
	v_cvt_f32_f16 v5, v5;
	;;#ASMEND
	buffer_load_dword v6, off, s[0:3], s32 offset:1184 ; 4-byte Folded Reload
	v_fmac_f32_e32 v18, v0, v5
	v_and_b32_e32 v0, 0xffff, v2
	s_waitcnt vmcnt(0)
	v_and_b32_e32 v7, 0xffff, v6
	;;#ASMSTART
	v_cvt_f32_f16 v7, v7;
	;;#ASMEND
	v_fmac_f32_e32 v15, v1, v7
	v_lshrrev_b32_e32 v1, 16, v2
	;; [unrolled: 22-line block ×3, first 2 shown]
	;;#ASMSTART
	v_cvt_f32_f16 v0, v0;
	;;#ASMEND
	;;#ASMSTART
	v_cvt_f32_f16 v1, v1;
	;;#ASMEND
	buffer_load_dword v2, off, s[0:3], s32 offset:696 ; 4-byte Folded Reload
	s_waitcnt vmcnt(0)
	v_and_b32_e32 v2, 0xffff, v2
	;;#ASMSTART
	v_cvt_f32_f16 v2, v2;
	;;#ASMEND
	buffer_load_dword v3, off, s[0:3], s32 offset:692 ; 4-byte Folded Reload
	v_fmac_f32_e32 v31, v0, v2
	s_waitcnt vmcnt(0)
	v_and_b32_e32 v3, 0xffff, v3
	;;#ASMSTART
	v_cvt_f32_f16 v3, v3;
	;;#ASMEND
	v_fmac_f32_e32 v26, v1, v3
	ds_read_b128 v[0:3], v4 offset:304
	s_waitcnt lgkmcnt(0)
	v_lshrrev_b32_e32 v5, 16, v0
	v_and_b32_e32 v0, 0xffff, v0
	;;#ASMSTART
	v_cvt_f32_f16 v0, v0;
	;;#ASMEND
	;;#ASMSTART
	v_cvt_f32_f16 v5, v5;
	;;#ASMEND
	buffer_load_dword v6, off, s[0:3], s32 offset:1180 ; 4-byte Folded Reload
	s_waitcnt vmcnt(0)
	v_and_b32_e32 v7, 0xffff, v6
	;;#ASMSTART
	v_cvt_f32_f16 v7, v7;
	;;#ASMEND
	buffer_load_dword v6, off, s[0:3], s32 offset:1176 ; 4-byte Folded Reload
	v_fmac_f32_e32 v13, v0, v7
	v_and_b32_e32 v0, 0xffff, v1
	s_waitcnt vmcnt(0)
	v_and_b32_e32 v8, 0xffff, v6
	;;#ASMSTART
	v_cvt_f32_f16 v8, v8;
	;;#ASMEND
	v_fmac_f32_e32 v14, v5, v8
	v_lshrrev_b32_e32 v5, 16, v1
	;;#ASMSTART
	v_cvt_f32_f16 v0, v0;
	;;#ASMEND
	;;#ASMSTART
	v_cvt_f32_f16 v1, v5;
	;;#ASMEND
	buffer_load_dword v5, off, s[0:3], s32 offset:1172 ; 4-byte Folded Reload
	s_waitcnt vmcnt(0)
	v_and_b32_e32 v5, 0xffff, v5
	;;#ASMSTART
	v_cvt_f32_f16 v5, v5;
	;;#ASMEND
	buffer_load_dword v6, off, s[0:3], s32 offset:1168 ; 4-byte Folded Reload
	v_fmac_f32_e32 v18, v0, v5
	v_and_b32_e32 v0, 0xffff, v2
	s_waitcnt vmcnt(0)
	v_and_b32_e32 v7, 0xffff, v6
	;;#ASMSTART
	v_cvt_f32_f16 v7, v7;
	;;#ASMEND
	v_fmac_f32_e32 v15, v1, v7
	v_lshrrev_b32_e32 v1, 16, v2
	;; [unrolled: 22-line block ×3, first 2 shown]
	;;#ASMSTART
	v_cvt_f32_f16 v0, v0;
	;;#ASMEND
	;;#ASMSTART
	v_cvt_f32_f16 v1, v1;
	;;#ASMEND
	buffer_load_dword v2, off, s[0:3], s32 offset:712 ; 4-byte Folded Reload
	s_waitcnt vmcnt(0)
	v_and_b32_e32 v2, 0xffff, v2
	;;#ASMSTART
	v_cvt_f32_f16 v2, v2;
	;;#ASMEND
	buffer_load_dword v3, off, s[0:3], s32 offset:708 ; 4-byte Folded Reload
	v_fmac_f32_e32 v31, v0, v2
	s_waitcnt vmcnt(0)
	v_and_b32_e32 v3, 0xffff, v3
	;;#ASMSTART
	v_cvt_f32_f16 v3, v3;
	;;#ASMEND
	v_fmac_f32_e32 v26, v1, v3
	ds_read_b128 v[0:3], v4 offset:320
	s_waitcnt lgkmcnt(0)
	v_lshrrev_b32_e32 v5, 16, v0
	v_and_b32_e32 v0, 0xffff, v0
	;;#ASMSTART
	v_cvt_f32_f16 v0, v0;
	;;#ASMEND
	;;#ASMSTART
	v_cvt_f32_f16 v5, v5;
	;;#ASMEND
	buffer_load_dword v6, off, s[0:3], s32 offset:1164 ; 4-byte Folded Reload
	s_waitcnt vmcnt(0)
	v_and_b32_e32 v7, 0xffff, v6
	;;#ASMSTART
	v_cvt_f32_f16 v7, v7;
	;;#ASMEND
	buffer_load_dword v6, off, s[0:3], s32 offset:1160 ; 4-byte Folded Reload
	v_fmac_f32_e32 v13, v0, v7
	v_and_b32_e32 v0, 0xffff, v1
	s_waitcnt vmcnt(0)
	v_and_b32_e32 v8, 0xffff, v6
	;;#ASMSTART
	v_cvt_f32_f16 v8, v8;
	;;#ASMEND
	v_fmac_f32_e32 v14, v5, v8
	v_lshrrev_b32_e32 v5, 16, v1
	;;#ASMSTART
	v_cvt_f32_f16 v0, v0;
	;;#ASMEND
	;;#ASMSTART
	v_cvt_f32_f16 v1, v5;
	;;#ASMEND
	buffer_load_dword v5, off, s[0:3], s32 offset:1156 ; 4-byte Folded Reload
	s_waitcnt vmcnt(0)
	v_and_b32_e32 v5, 0xffff, v5
	;;#ASMSTART
	v_cvt_f32_f16 v5, v5;
	;;#ASMEND
	buffer_load_dword v6, off, s[0:3], s32 offset:1152 ; 4-byte Folded Reload
	v_fmac_f32_e32 v18, v0, v5
	v_and_b32_e32 v0, 0xffff, v2
	s_waitcnt vmcnt(0)
	v_and_b32_e32 v7, 0xffff, v6
	;;#ASMSTART
	v_cvt_f32_f16 v7, v7;
	;;#ASMEND
	v_fmac_f32_e32 v15, v1, v7
	v_lshrrev_b32_e32 v1, 16, v2
	;; [unrolled: 22-line block ×3, first 2 shown]
	;;#ASMSTART
	v_cvt_f32_f16 v0, v0;
	;;#ASMEND
	;;#ASMSTART
	v_cvt_f32_f16 v1, v1;
	;;#ASMEND
	buffer_load_dword v2, off, s[0:3], s32 offset:728 ; 4-byte Folded Reload
	s_waitcnt vmcnt(0)
	v_and_b32_e32 v2, 0xffff, v2
	;;#ASMSTART
	v_cvt_f32_f16 v2, v2;
	;;#ASMEND
	buffer_load_dword v3, off, s[0:3], s32 offset:724 ; 4-byte Folded Reload
	v_fmac_f32_e32 v31, v0, v2
	s_waitcnt vmcnt(0)
	v_and_b32_e32 v3, 0xffff, v3
	;;#ASMSTART
	v_cvt_f32_f16 v3, v3;
	;;#ASMEND
	v_fmac_f32_e32 v26, v1, v3
	ds_read_b128 v[0:3], v4 offset:336
	s_waitcnt lgkmcnt(0)
	v_lshrrev_b32_e32 v5, 16, v0
	v_and_b32_e32 v0, 0xffff, v0
	;;#ASMSTART
	v_cvt_f32_f16 v0, v0;
	;;#ASMEND
	;;#ASMSTART
	v_cvt_f32_f16 v5, v5;
	;;#ASMEND
	buffer_load_dword v6, off, s[0:3], s32 offset:1144 ; 4-byte Folded Reload
	s_waitcnt vmcnt(0)
	v_and_b32_e32 v7, 0xffff, v6
	;;#ASMSTART
	v_cvt_f32_f16 v7, v7;
	;;#ASMEND
	buffer_load_dword v6, off, s[0:3], s32 offset:1140 ; 4-byte Folded Reload
	v_fmac_f32_e32 v13, v0, v7
	v_and_b32_e32 v0, 0xffff, v1
	s_waitcnt vmcnt(0)
	v_and_b32_e32 v8, 0xffff, v6
	;;#ASMSTART
	v_cvt_f32_f16 v8, v8;
	;;#ASMEND
	v_fmac_f32_e32 v14, v5, v8
	v_lshrrev_b32_e32 v5, 16, v1
	;;#ASMSTART
	v_cvt_f32_f16 v0, v0;
	;;#ASMEND
	;;#ASMSTART
	v_cvt_f32_f16 v1, v5;
	;;#ASMEND
	buffer_load_dword v5, off, s[0:3], s32 offset:1136 ; 4-byte Folded Reload
	s_waitcnt vmcnt(0)
	v_and_b32_e32 v5, 0xffff, v5
	;;#ASMSTART
	v_cvt_f32_f16 v5, v5;
	;;#ASMEND
	buffer_load_dword v6, off, s[0:3], s32 offset:1132 ; 4-byte Folded Reload
	v_fmac_f32_e32 v18, v0, v5
	v_and_b32_e32 v0, 0xffff, v2
	s_waitcnt vmcnt(0)
	v_and_b32_e32 v7, 0xffff, v6
	;;#ASMSTART
	v_cvt_f32_f16 v7, v7;
	;;#ASMEND
	v_fmac_f32_e32 v15, v1, v7
	v_lshrrev_b32_e32 v1, 16, v2
	;;#ASMSTART
	v_cvt_f32_f16 v0, v0;
	;;#ASMEND
	;;#ASMSTART
	v_cvt_f32_f16 v1, v1;
	;;#ASMEND
	buffer_load_dword v2, off, s[0:3], s32 offset:1128 ; 4-byte Folded Reload
	s_waitcnt vmcnt(0)
	v_and_b32_e32 v2, 0xffff, v2
	;;#ASMSTART
	v_cvt_f32_f16 v2, v2;
	;;#ASMEND
	buffer_load_dword v5, off, s[0:3], s32 offset:1124 ; 4-byte Folded Reload
	v_fmac_f32_e32 v21, v0, v2
	v_and_b32_e32 v0, 0xffff, v3
	s_waitcnt vmcnt(0)
	v_and_b32_e32 v5, 0xffff, v5
	;;#ASMSTART
	v_cvt_f32_f16 v5, v5;
	;;#ASMEND
	v_fmac_f32_e32 v20, v1, v5
	v_lshrrev_b32_e32 v1, 16, v3
	;;#ASMSTART
	v_cvt_f32_f16 v0, v0;
	;;#ASMEND
	;;#ASMSTART
	v_cvt_f32_f16 v1, v1;
	;;#ASMEND
	buffer_load_dword v2, off, s[0:3], s32 offset:1120 ; 4-byte Folded Reload
	s_waitcnt vmcnt(0)
	v_and_b32_e32 v2, 0xffff, v2
	;;#ASMSTART
	v_cvt_f32_f16 v2, v2;
	;;#ASMEND
	buffer_load_dword v3, off, s[0:3], s32 offset:1116 ; 4-byte Folded Reload
	v_fmac_f32_e32 v31, v0, v2
	s_waitcnt vmcnt(0)
	v_and_b32_e32 v3, 0xffff, v3
	;;#ASMSTART
	v_cvt_f32_f16 v3, v3;
	;;#ASMEND
	v_fmac_f32_e32 v26, v1, v3
	ds_read_b128 v[0:3], v4 offset:352
	s_waitcnt lgkmcnt(0)
	v_lshrrev_b32_e32 v5, 16, v0
	v_and_b32_e32 v0, 0xffff, v0
	;;#ASMSTART
	v_cvt_f32_f16 v0, v0;
	;;#ASMEND
	;;#ASMSTART
	v_cvt_f32_f16 v5, v5;
	;;#ASMEND
	buffer_load_dword v6, off, s[0:3], s32 offset:1112 ; 4-byte Folded Reload
	s_waitcnt vmcnt(0)
	v_and_b32_e32 v7, 0xffff, v6
	;;#ASMSTART
	v_cvt_f32_f16 v7, v7;
	;;#ASMEND
	buffer_load_dword v6, off, s[0:3], s32 offset:1108 ; 4-byte Folded Reload
	v_fmac_f32_e32 v13, v0, v7
	v_and_b32_e32 v0, 0xffff, v1
	s_waitcnt vmcnt(0)
	v_and_b32_e32 v8, 0xffff, v6
	;;#ASMSTART
	v_cvt_f32_f16 v8, v8;
	;;#ASMEND
	v_fmac_f32_e32 v14, v5, v8
	v_lshrrev_b32_e32 v5, 16, v1
	;;#ASMSTART
	v_cvt_f32_f16 v0, v0;
	;;#ASMEND
	;;#ASMSTART
	v_cvt_f32_f16 v1, v5;
	;;#ASMEND
	buffer_load_dword v5, off, s[0:3], s32 offset:1104 ; 4-byte Folded Reload
	s_waitcnt vmcnt(0)
	v_and_b32_e32 v5, 0xffff, v5
	;;#ASMSTART
	v_cvt_f32_f16 v5, v5;
	;;#ASMEND
	buffer_load_dword v6, off, s[0:3], s32 offset:1100 ; 4-byte Folded Reload
	v_fmac_f32_e32 v18, v0, v5
	v_and_b32_e32 v0, 0xffff, v2
	s_waitcnt vmcnt(0)
	v_and_b32_e32 v7, 0xffff, v6
	;;#ASMSTART
	v_cvt_f32_f16 v7, v7;
	;;#ASMEND
	v_fmac_f32_e32 v15, v1, v7
	v_lshrrev_b32_e32 v1, 16, v2
	;; [unrolled: 22-line block ×3, first 2 shown]
	;;#ASMSTART
	v_cvt_f32_f16 v0, v0;
	;;#ASMEND
	;;#ASMSTART
	v_cvt_f32_f16 v1, v1;
	;;#ASMEND
	buffer_load_dword v2, off, s[0:3], s32 offset:1088 ; 4-byte Folded Reload
	s_waitcnt vmcnt(0)
	v_and_b32_e32 v2, 0xffff, v2
	;;#ASMSTART
	v_cvt_f32_f16 v2, v2;
	;;#ASMEND
	buffer_load_dword v3, off, s[0:3], s32 offset:1084 ; 4-byte Folded Reload
	v_fmac_f32_e32 v31, v0, v2
	s_waitcnt vmcnt(0)
	v_and_b32_e32 v3, 0xffff, v3
	;;#ASMSTART
	v_cvt_f32_f16 v3, v3;
	;;#ASMEND
	v_fmac_f32_e32 v26, v1, v3
	ds_read_b128 v[0:3], v4 offset:368
	s_waitcnt lgkmcnt(0)
	v_lshrrev_b32_e32 v5, 16, v0
	v_and_b32_e32 v0, 0xffff, v0
	;;#ASMSTART
	v_cvt_f32_f16 v0, v0;
	;;#ASMEND
	;;#ASMSTART
	v_cvt_f32_f16 v5, v5;
	;;#ASMEND
	buffer_load_dword v6, off, s[0:3], s32 offset:1080 ; 4-byte Folded Reload
	s_waitcnt vmcnt(0)
	v_and_b32_e32 v7, 0xffff, v6
	;;#ASMSTART
	v_cvt_f32_f16 v7, v7;
	;;#ASMEND
	buffer_load_dword v6, off, s[0:3], s32 offset:1076 ; 4-byte Folded Reload
	v_fmac_f32_e32 v13, v0, v7
	v_and_b32_e32 v0, 0xffff, v1
	s_waitcnt vmcnt(0)
	v_and_b32_e32 v8, 0xffff, v6
	;;#ASMSTART
	v_cvt_f32_f16 v8, v8;
	;;#ASMEND
	v_fmac_f32_e32 v14, v5, v8
	v_lshrrev_b32_e32 v5, 16, v1
	;;#ASMSTART
	v_cvt_f32_f16 v0, v0;
	;;#ASMEND
	;;#ASMSTART
	v_cvt_f32_f16 v1, v5;
	;;#ASMEND
	buffer_load_dword v5, off, s[0:3], s32 offset:1072 ; 4-byte Folded Reload
	s_waitcnt vmcnt(0)
	v_and_b32_e32 v5, 0xffff, v5
	;;#ASMSTART
	v_cvt_f32_f16 v5, v5;
	;;#ASMEND
	buffer_load_dword v6, off, s[0:3], s32 offset:1068 ; 4-byte Folded Reload
	v_fmac_f32_e32 v18, v0, v5
	v_and_b32_e32 v0, 0xffff, v2
	s_waitcnt vmcnt(0)
	v_and_b32_e32 v7, 0xffff, v6
	;;#ASMSTART
	v_cvt_f32_f16 v7, v7;
	;;#ASMEND
	v_fmac_f32_e32 v15, v1, v7
	v_lshrrev_b32_e32 v1, 16, v2
	;; [unrolled: 22-line block ×3, first 2 shown]
	;;#ASMSTART
	v_cvt_f32_f16 v0, v0;
	;;#ASMEND
	;;#ASMSTART
	v_cvt_f32_f16 v1, v1;
	;;#ASMEND
	buffer_load_dword v2, off, s[0:3], s32 offset:1056 ; 4-byte Folded Reload
	s_waitcnt vmcnt(0)
	v_and_b32_e32 v2, 0xffff, v2
	;;#ASMSTART
	v_cvt_f32_f16 v2, v2;
	;;#ASMEND
	buffer_load_dword v3, off, s[0:3], s32 offset:1052 ; 4-byte Folded Reload
	v_fmac_f32_e32 v31, v0, v2
	s_waitcnt vmcnt(0)
	v_and_b32_e32 v3, 0xffff, v3
	;;#ASMSTART
	v_cvt_f32_f16 v3, v3;
	;;#ASMEND
	v_fmac_f32_e32 v26, v1, v3
	ds_read_b128 v[0:3], v4 offset:384
	s_waitcnt lgkmcnt(0)
	v_lshrrev_b32_e32 v5, 16, v0
	v_and_b32_e32 v0, 0xffff, v0
	;;#ASMSTART
	v_cvt_f32_f16 v0, v0;
	;;#ASMEND
	;;#ASMSTART
	v_cvt_f32_f16 v5, v5;
	;;#ASMEND
	buffer_load_dword v6, off, s[0:3], s32 offset:1048 ; 4-byte Folded Reload
	s_waitcnt vmcnt(0)
	v_and_b32_e32 v7, 0xffff, v6
	;;#ASMSTART
	v_cvt_f32_f16 v7, v7;
	;;#ASMEND
	buffer_load_dword v6, off, s[0:3], s32 offset:1044 ; 4-byte Folded Reload
	v_fmac_f32_e32 v13, v0, v7
	v_and_b32_e32 v0, 0xffff, v1
	s_waitcnt vmcnt(0)
	v_and_b32_e32 v8, 0xffff, v6
	;;#ASMSTART
	v_cvt_f32_f16 v8, v8;
	;;#ASMEND
	v_fmac_f32_e32 v14, v5, v8
	v_lshrrev_b32_e32 v5, 16, v1
	;;#ASMSTART
	v_cvt_f32_f16 v0, v0;
	;;#ASMEND
	;;#ASMSTART
	v_cvt_f32_f16 v1, v5;
	;;#ASMEND
	buffer_load_dword v5, off, s[0:3], s32 offset:1040 ; 4-byte Folded Reload
	s_waitcnt vmcnt(0)
	v_and_b32_e32 v5, 0xffff, v5
	;;#ASMSTART
	v_cvt_f32_f16 v5, v5;
	;;#ASMEND
	buffer_load_dword v6, off, s[0:3], s32 offset:1036 ; 4-byte Folded Reload
	v_fmac_f32_e32 v18, v0, v5
	v_and_b32_e32 v0, 0xffff, v2
	s_waitcnt vmcnt(0)
	v_and_b32_e32 v7, 0xffff, v6
	;;#ASMSTART
	v_cvt_f32_f16 v7, v7;
	;;#ASMEND
	v_fmac_f32_e32 v15, v1, v7
	v_lshrrev_b32_e32 v1, 16, v2
	;;#ASMSTART
	v_cvt_f32_f16 v0, v0;
	;;#ASMEND
	;;#ASMSTART
	v_cvt_f32_f16 v1, v1;
	;;#ASMEND
	buffer_load_dword v2, off, s[0:3], s32 offset:1032 ; 4-byte Folded Reload
	s_waitcnt vmcnt(0)
	v_and_b32_e32 v2, 0xffff, v2
	;;#ASMSTART
	v_cvt_f32_f16 v2, v2;
	;;#ASMEND
	buffer_load_dword v5, off, s[0:3], s32 offset:1028 ; 4-byte Folded Reload
	v_fmac_f32_e32 v21, v0, v2
	v_lshrrev_b32_e32 v0, 16, v3
	s_waitcnt vmcnt(0)
	v_and_b32_e32 v5, 0xffff, v5
	;;#ASMSTART
	v_cvt_f32_f16 v5, v5;
	;;#ASMEND
	v_fmac_f32_e32 v20, v1, v5
	v_and_b32_e32 v1, 0xffff, v3
	;;#ASMSTART
	v_cvt_f32_f16 v2, v1;
	;;#ASMEND
	;;#ASMSTART
	v_cvt_f32_f16 v1, v0;
	;;#ASMEND
	buffer_load_dword v0, off, s[0:3], s32 offset:1024 ; 4-byte Folded Reload
	s_waitcnt vmcnt(0)
	v_and_b32_e32 v0, 0xffff, v0
	;;#ASMSTART
	v_cvt_f32_f16 v0, v0;
	;;#ASMEND
	buffer_load_dword v3, off, s[0:3], s32 offset:1020 ; 4-byte Folded Reload
	v_fmac_f32_e32 v31, v2, v0
	s_waitcnt vmcnt(0)
	v_and_b32_e32 v3, 0xffff, v3
	;;#ASMSTART
	v_cvt_f32_f16 v3, v3;
	;;#ASMEND
	v_fmac_f32_e32 v26, v1, v3
	ds_read_b128 v[0:3], v4 offset:400
	s_waitcnt lgkmcnt(0)
	v_lshrrev_b32_e32 v5, 16, v0
	v_and_b32_e32 v0, 0xffff, v0
	;;#ASMSTART
	v_cvt_f32_f16 v0, v0;
	;;#ASMEND
	;;#ASMSTART
	v_cvt_f32_f16 v5, v5;
	;;#ASMEND
	buffer_load_dword v6, off, s[0:3], s32 offset:1016 ; 4-byte Folded Reload
	s_waitcnt vmcnt(0)
	v_and_b32_e32 v7, 0xffff, v6
	;;#ASMSTART
	v_cvt_f32_f16 v7, v7;
	;;#ASMEND
	buffer_load_dword v6, off, s[0:3], s32 offset:1012 ; 4-byte Folded Reload
	v_fmac_f32_e32 v13, v0, v7
	v_and_b32_e32 v0, 0xffff, v1
	s_waitcnt vmcnt(0)
	v_and_b32_e32 v8, 0xffff, v6
	;;#ASMSTART
	v_cvt_f32_f16 v8, v8;
	;;#ASMEND
	v_fmac_f32_e32 v14, v5, v8
	v_lshrrev_b32_e32 v5, 16, v1
	;;#ASMSTART
	v_cvt_f32_f16 v0, v0;
	;;#ASMEND
	;;#ASMSTART
	v_cvt_f32_f16 v1, v5;
	;;#ASMEND
	buffer_load_dword v5, off, s[0:3], s32 offset:1008 ; 4-byte Folded Reload
	s_waitcnt vmcnt(0)
	v_and_b32_e32 v5, 0xffff, v5
	;;#ASMSTART
	v_cvt_f32_f16 v5, v5;
	;;#ASMEND
	buffer_load_dword v6, off, s[0:3], s32 offset:1004 ; 4-byte Folded Reload
	v_fmac_f32_e32 v18, v0, v5
	v_and_b32_e32 v0, 0xffff, v2
	s_waitcnt vmcnt(0)
	v_and_b32_e32 v7, 0xffff, v6
	;;#ASMSTART
	v_cvt_f32_f16 v7, v7;
	;;#ASMEND
	v_fmac_f32_e32 v15, v1, v7
	v_lshrrev_b32_e32 v1, 16, v2
	;; [unrolled: 22-line block ×3, first 2 shown]
	;;#ASMSTART
	v_cvt_f32_f16 v0, v0;
	;;#ASMEND
	;;#ASMSTART
	v_cvt_f32_f16 v1, v1;
	;;#ASMEND
	buffer_load_dword v2, off, s[0:3], s32 offset:992 ; 4-byte Folded Reload
	s_waitcnt vmcnt(0)
	v_and_b32_e32 v2, 0xffff, v2
	;;#ASMSTART
	v_cvt_f32_f16 v2, v2;
	;;#ASMEND
	buffer_load_dword v3, off, s[0:3], s32 offset:988 ; 4-byte Folded Reload
	v_fmac_f32_e32 v31, v0, v2
	s_waitcnt vmcnt(0)
	v_and_b32_e32 v3, 0xffff, v3
	;;#ASMSTART
	v_cvt_f32_f16 v3, v3;
	;;#ASMEND
	v_fmac_f32_e32 v26, v1, v3
	ds_read_b128 v[0:3], v4 offset:416
	s_waitcnt lgkmcnt(0)
	v_lshrrev_b32_e32 v5, 16, v0
	v_and_b32_e32 v0, 0xffff, v0
	;;#ASMSTART
	v_cvt_f32_f16 v0, v0;
	;;#ASMEND
	;;#ASMSTART
	v_cvt_f32_f16 v5, v5;
	;;#ASMEND
	buffer_load_dword v6, off, s[0:3], s32 offset:984 ; 4-byte Folded Reload
	s_waitcnt vmcnt(0)
	v_and_b32_e32 v7, 0xffff, v6
	;;#ASMSTART
	v_cvt_f32_f16 v7, v7;
	;;#ASMEND
	buffer_load_dword v6, off, s[0:3], s32 offset:980 ; 4-byte Folded Reload
	v_fmac_f32_e32 v13, v0, v7
	v_and_b32_e32 v0, 0xffff, v1
	s_waitcnt vmcnt(0)
	v_and_b32_e32 v8, 0xffff, v6
	;;#ASMSTART
	v_cvt_f32_f16 v8, v8;
	;;#ASMEND
	v_fmac_f32_e32 v14, v5, v8
	v_lshrrev_b32_e32 v5, 16, v1
	;;#ASMSTART
	v_cvt_f32_f16 v0, v0;
	;;#ASMEND
	;;#ASMSTART
	v_cvt_f32_f16 v1, v5;
	;;#ASMEND
	buffer_load_dword v5, off, s[0:3], s32 offset:976 ; 4-byte Folded Reload
	s_waitcnt vmcnt(0)
	v_and_b32_e32 v5, 0xffff, v5
	;;#ASMSTART
	v_cvt_f32_f16 v5, v5;
	;;#ASMEND
	buffer_load_dword v6, off, s[0:3], s32 offset:972 ; 4-byte Folded Reload
	v_fmac_f32_e32 v18, v0, v5
	v_and_b32_e32 v0, 0xffff, v2
	s_waitcnt vmcnt(0)
	v_and_b32_e32 v7, 0xffff, v6
	;;#ASMSTART
	v_cvt_f32_f16 v7, v7;
	;;#ASMEND
	v_fmac_f32_e32 v15, v1, v7
	v_lshrrev_b32_e32 v1, 16, v2
	;; [unrolled: 22-line block ×3, first 2 shown]
	;;#ASMSTART
	v_cvt_f32_f16 v0, v0;
	;;#ASMEND
	;;#ASMSTART
	v_cvt_f32_f16 v1, v1;
	;;#ASMEND
	buffer_load_dword v2, off, s[0:3], s32 offset:960 ; 4-byte Folded Reload
	s_waitcnt vmcnt(0)
	v_and_b32_e32 v2, 0xffff, v2
	;;#ASMSTART
	v_cvt_f32_f16 v2, v2;
	;;#ASMEND
	buffer_load_dword v3, off, s[0:3], s32 offset:956 ; 4-byte Folded Reload
	v_fmac_f32_e32 v31, v0, v2
	s_waitcnt vmcnt(0)
	v_and_b32_e32 v3, 0xffff, v3
	;;#ASMSTART
	v_cvt_f32_f16 v3, v3;
	;;#ASMEND
	v_fmac_f32_e32 v26, v1, v3
	ds_read_b128 v[0:3], v4 offset:432
	s_waitcnt lgkmcnt(0)
	v_lshrrev_b32_e32 v5, 16, v0
	v_and_b32_e32 v0, 0xffff, v0
	;;#ASMSTART
	v_cvt_f32_f16 v0, v0;
	;;#ASMEND
	;;#ASMSTART
	v_cvt_f32_f16 v5, v5;
	;;#ASMEND
	buffer_load_dword v6, off, s[0:3], s32 offset:952 ; 4-byte Folded Reload
	s_waitcnt vmcnt(0)
	v_and_b32_e32 v7, 0xffff, v6
	;;#ASMSTART
	v_cvt_f32_f16 v7, v7;
	;;#ASMEND
	buffer_load_dword v6, off, s[0:3], s32 offset:948 ; 4-byte Folded Reload
	v_fmac_f32_e32 v13, v0, v7
	v_and_b32_e32 v0, 0xffff, v1
	s_waitcnt vmcnt(0)
	v_and_b32_e32 v8, 0xffff, v6
	;;#ASMSTART
	v_cvt_f32_f16 v8, v8;
	;;#ASMEND
	v_fmac_f32_e32 v14, v5, v8
	v_lshrrev_b32_e32 v5, 16, v1
	;;#ASMSTART
	v_cvt_f32_f16 v0, v0;
	;;#ASMEND
	;;#ASMSTART
	v_cvt_f32_f16 v1, v5;
	;;#ASMEND
	buffer_load_dword v5, off, s[0:3], s32 offset:944 ; 4-byte Folded Reload
	s_waitcnt vmcnt(0)
	v_and_b32_e32 v5, 0xffff, v5
	;;#ASMSTART
	v_cvt_f32_f16 v5, v5;
	;;#ASMEND
	buffer_load_dword v6, off, s[0:3], s32 offset:940 ; 4-byte Folded Reload
	v_fmac_f32_e32 v18, v0, v5
	v_and_b32_e32 v0, 0xffff, v2
	s_waitcnt vmcnt(0)
	v_and_b32_e32 v7, 0xffff, v6
	;;#ASMSTART
	v_cvt_f32_f16 v7, v7;
	;;#ASMEND
	v_fmac_f32_e32 v15, v1, v7
	v_lshrrev_b32_e32 v1, 16, v2
	;; [unrolled: 22-line block ×3, first 2 shown]
	;;#ASMSTART
	v_cvt_f32_f16 v0, v0;
	;;#ASMEND
	;;#ASMSTART
	v_cvt_f32_f16 v1, v1;
	;;#ASMEND
	buffer_load_dword v2, off, s[0:3], s32 offset:928 ; 4-byte Folded Reload
	s_waitcnt vmcnt(0)
	v_and_b32_e32 v2, 0xffff, v2
	;;#ASMSTART
	v_cvt_f32_f16 v2, v2;
	;;#ASMEND
	buffer_load_dword v3, off, s[0:3], s32 offset:924 ; 4-byte Folded Reload
	v_fmac_f32_e32 v31, v0, v2
	s_waitcnt vmcnt(0)
	v_and_b32_e32 v3, 0xffff, v3
	;;#ASMSTART
	v_cvt_f32_f16 v3, v3;
	;;#ASMEND
	v_fmac_f32_e32 v26, v1, v3
	ds_read_b128 v[0:3], v4 offset:448
	s_waitcnt lgkmcnt(0)
	v_lshrrev_b32_e32 v5, 16, v0
	v_and_b32_e32 v0, 0xffff, v0
	;;#ASMSTART
	v_cvt_f32_f16 v0, v0;
	;;#ASMEND
	;;#ASMSTART
	v_cvt_f32_f16 v5, v5;
	;;#ASMEND
	buffer_load_dword v6, off, s[0:3], s32 offset:920 ; 4-byte Folded Reload
	s_waitcnt vmcnt(0)
	v_and_b32_e32 v7, 0xffff, v6
	;;#ASMSTART
	v_cvt_f32_f16 v7, v7;
	;;#ASMEND
	buffer_load_dword v6, off, s[0:3], s32 offset:916 ; 4-byte Folded Reload
	v_fmac_f32_e32 v13, v0, v7
	v_and_b32_e32 v0, 0xffff, v1
	s_waitcnt vmcnt(0)
	v_and_b32_e32 v8, 0xffff, v6
	;;#ASMSTART
	v_cvt_f32_f16 v8, v8;
	;;#ASMEND
	v_fmac_f32_e32 v14, v5, v8
	v_lshrrev_b32_e32 v5, 16, v1
	;;#ASMSTART
	v_cvt_f32_f16 v0, v0;
	;;#ASMEND
	;;#ASMSTART
	v_cvt_f32_f16 v1, v5;
	;;#ASMEND
	buffer_load_dword v5, off, s[0:3], s32 offset:912 ; 4-byte Folded Reload
	s_waitcnt vmcnt(0)
	v_and_b32_e32 v5, 0xffff, v5
	;;#ASMSTART
	v_cvt_f32_f16 v5, v5;
	;;#ASMEND
	buffer_load_dword v6, off, s[0:3], s32 offset:908 ; 4-byte Folded Reload
	v_fmac_f32_e32 v18, v0, v5
	v_and_b32_e32 v0, 0xffff, v2
	s_waitcnt vmcnt(0)
	v_and_b32_e32 v7, 0xffff, v6
	;;#ASMSTART
	v_cvt_f32_f16 v7, v7;
	;;#ASMEND
	v_fmac_f32_e32 v15, v1, v7
	v_lshrrev_b32_e32 v1, 16, v2
	;;#ASMSTART
	v_cvt_f32_f16 v0, v0;
	;;#ASMEND
	;;#ASMSTART
	v_cvt_f32_f16 v1, v1;
	;;#ASMEND
	buffer_load_dword v2, off, s[0:3], s32 offset:904 ; 4-byte Folded Reload
	s_waitcnt vmcnt(0)
	v_and_b32_e32 v2, 0xffff, v2
	;;#ASMSTART
	v_cvt_f32_f16 v2, v2;
	;;#ASMEND
	buffer_load_dword v5, off, s[0:3], s32 offset:900 ; 4-byte Folded Reload
	v_fmac_f32_e32 v21, v0, v2
	v_and_b32_e32 v0, 0xffff, v3
	s_waitcnt vmcnt(0)
	v_and_b32_e32 v5, 0xffff, v5
	;;#ASMSTART
	v_cvt_f32_f16 v5, v5;
	;;#ASMEND
	v_fmac_f32_e32 v20, v1, v5
	v_lshrrev_b32_e32 v1, 16, v3
	;;#ASMSTART
	v_cvt_f32_f16 v0, v0;
	;;#ASMEND
	;;#ASMSTART
	v_cvt_f32_f16 v1, v1;
	;;#ASMEND
	buffer_load_dword v2, off, s[0:3], s32 offset:896 ; 4-byte Folded Reload
	s_waitcnt vmcnt(0)
	v_and_b32_e32 v2, 0xffff, v2
	;;#ASMSTART
	v_cvt_f32_f16 v2, v2;
	;;#ASMEND
	buffer_load_dword v3, off, s[0:3], s32 offset:892 ; 4-byte Folded Reload
	v_fmac_f32_e32 v31, v0, v2
	s_waitcnt vmcnt(0)
	v_and_b32_e32 v3, 0xffff, v3
	;;#ASMSTART
	v_cvt_f32_f16 v3, v3;
	;;#ASMEND
	v_fmac_f32_e32 v26, v1, v3
	ds_read_b128 v[0:3], v4 offset:464
	s_waitcnt lgkmcnt(0)
	v_lshrrev_b32_e32 v5, 16, v0
	v_and_b32_e32 v0, 0xffff, v0
	;;#ASMSTART
	v_cvt_f32_f16 v0, v0;
	;;#ASMEND
	;;#ASMSTART
	v_cvt_f32_f16 v5, v5;
	;;#ASMEND
	buffer_load_dword v6, off, s[0:3], s32 offset:888 ; 4-byte Folded Reload
	s_waitcnt vmcnt(0)
	v_and_b32_e32 v7, 0xffff, v6
	;;#ASMSTART
	v_cvt_f32_f16 v7, v7;
	;;#ASMEND
	buffer_load_dword v6, off, s[0:3], s32 offset:884 ; 4-byte Folded Reload
	v_fmac_f32_e32 v13, v0, v7
	v_and_b32_e32 v0, 0xffff, v1
	s_waitcnt vmcnt(0)
	v_and_b32_e32 v8, 0xffff, v6
	;;#ASMSTART
	v_cvt_f32_f16 v8, v8;
	;;#ASMEND
	v_fmac_f32_e32 v14, v5, v8
	v_lshrrev_b32_e32 v5, 16, v1
	;;#ASMSTART
	v_cvt_f32_f16 v0, v0;
	;;#ASMEND
	;;#ASMSTART
	v_cvt_f32_f16 v1, v5;
	;;#ASMEND
	buffer_load_dword v5, off, s[0:3], s32 offset:880 ; 4-byte Folded Reload
	s_waitcnt vmcnt(0)
	v_and_b32_e32 v5, 0xffff, v5
	;;#ASMSTART
	v_cvt_f32_f16 v5, v5;
	;;#ASMEND
	buffer_load_dword v6, off, s[0:3], s32 offset:876 ; 4-byte Folded Reload
	v_fmac_f32_e32 v18, v0, v5
	v_and_b32_e32 v0, 0xffff, v2
	s_waitcnt vmcnt(0)
	v_and_b32_e32 v7, 0xffff, v6
	;;#ASMSTART
	v_cvt_f32_f16 v7, v7;
	;;#ASMEND
	v_fmac_f32_e32 v15, v1, v7
	v_lshrrev_b32_e32 v1, 16, v2
	;; [unrolled: 22-line block ×3, first 2 shown]
	;;#ASMSTART
	v_cvt_f32_f16 v0, v0;
	;;#ASMEND
	;;#ASMSTART
	v_cvt_f32_f16 v1, v1;
	;;#ASMEND
	buffer_load_dword v2, off, s[0:3], s32 offset:864 ; 4-byte Folded Reload
	s_waitcnt vmcnt(0)
	v_and_b32_e32 v2, 0xffff, v2
	;;#ASMSTART
	v_cvt_f32_f16 v2, v2;
	;;#ASMEND
	buffer_load_dword v3, off, s[0:3], s32 offset:860 ; 4-byte Folded Reload
	v_fmac_f32_e32 v31, v0, v2
	s_waitcnt vmcnt(0)
	v_and_b32_e32 v3, 0xffff, v3
	;;#ASMSTART
	v_cvt_f32_f16 v3, v3;
	;;#ASMEND
	v_fmac_f32_e32 v26, v1, v3
	ds_read_b128 v[0:3], v4 offset:480
	s_waitcnt lgkmcnt(0)
	v_lshrrev_b32_e32 v5, 16, v0
	v_and_b32_e32 v0, 0xffff, v0
	;;#ASMSTART
	v_cvt_f32_f16 v0, v0;
	;;#ASMEND
	;;#ASMSTART
	v_cvt_f32_f16 v5, v5;
	;;#ASMEND
	buffer_load_dword v6, off, s[0:3], s32 offset:856 ; 4-byte Folded Reload
	s_waitcnt vmcnt(0)
	v_and_b32_e32 v7, 0xffff, v6
	;;#ASMSTART
	v_cvt_f32_f16 v7, v7;
	;;#ASMEND
	buffer_load_dword v6, off, s[0:3], s32 offset:852 ; 4-byte Folded Reload
	v_fmac_f32_e32 v13, v0, v7
	v_and_b32_e32 v0, 0xffff, v1
	s_waitcnt vmcnt(0)
	v_and_b32_e32 v8, 0xffff, v6
	;;#ASMSTART
	v_cvt_f32_f16 v8, v8;
	;;#ASMEND
	v_fmac_f32_e32 v14, v5, v8
	v_lshrrev_b32_e32 v5, 16, v1
	;;#ASMSTART
	v_cvt_f32_f16 v0, v0;
	;;#ASMEND
	;;#ASMSTART
	v_cvt_f32_f16 v1, v5;
	;;#ASMEND
	buffer_load_dword v5, off, s[0:3], s32 offset:848 ; 4-byte Folded Reload
	s_waitcnt vmcnt(0)
	v_and_b32_e32 v5, 0xffff, v5
	;;#ASMSTART
	v_cvt_f32_f16 v5, v5;
	;;#ASMEND
	buffer_load_dword v6, off, s[0:3], s32 offset:844 ; 4-byte Folded Reload
	v_fmac_f32_e32 v18, v0, v5
	v_and_b32_e32 v0, 0xffff, v2
	s_waitcnt vmcnt(0)
	v_and_b32_e32 v7, 0xffff, v6
	;;#ASMSTART
	v_cvt_f32_f16 v7, v7;
	;;#ASMEND
	v_fmac_f32_e32 v15, v1, v7
	v_lshrrev_b32_e32 v1, 16, v2
	;; [unrolled: 22-line block ×3, first 2 shown]
	;;#ASMSTART
	v_cvt_f32_f16 v0, v0;
	;;#ASMEND
	;;#ASMSTART
	v_cvt_f32_f16 v1, v1;
	;;#ASMEND
	buffer_load_dword v2, off, s[0:3], s32 offset:832 ; 4-byte Folded Reload
	s_waitcnt vmcnt(0)
	v_and_b32_e32 v2, 0xffff, v2
	;;#ASMSTART
	v_cvt_f32_f16 v2, v2;
	;;#ASMEND
	buffer_load_dword v3, off, s[0:3], s32 offset:828 ; 4-byte Folded Reload
	v_fmac_f32_e32 v31, v0, v2
	s_waitcnt vmcnt(0)
	v_and_b32_e32 v3, 0xffff, v3
	;;#ASMSTART
	v_cvt_f32_f16 v3, v3;
	;;#ASMEND
	v_fmac_f32_e32 v26, v1, v3
	ds_read_b128 v[0:3], v4 offset:496
	s_waitcnt lgkmcnt(0)
	v_lshrrev_b32_e32 v5, 16, v0
	v_and_b32_e32 v0, 0xffff, v0
	;;#ASMSTART
	v_cvt_f32_f16 v0, v0;
	;;#ASMEND
	;;#ASMSTART
	v_cvt_f32_f16 v5, v5;
	;;#ASMEND
	buffer_load_dword v6, off, s[0:3], s32 offset:256 ; 4-byte Folded Reload
	s_waitcnt vmcnt(0)
	v_and_b32_e32 v7, 0xffff, v6
	;;#ASMSTART
	v_cvt_f32_f16 v7, v7;
	;;#ASMEND
	buffer_load_dword v6, off, s[0:3], s32 offset:252 ; 4-byte Folded Reload
	v_fmac_f32_e32 v13, v0, v7
	v_and_b32_e32 v0, 0xffff, v1
	s_waitcnt vmcnt(0)
	v_and_b32_e32 v8, 0xffff, v6
	;;#ASMSTART
	v_cvt_f32_f16 v8, v8;
	;;#ASMEND
	v_fmac_f32_e32 v14, v5, v8
	v_lshrrev_b32_e32 v5, 16, v1
	;;#ASMSTART
	v_cvt_f32_f16 v0, v0;
	;;#ASMEND
	;;#ASMSTART
	v_cvt_f32_f16 v1, v5;
	;;#ASMEND
	buffer_load_dword v5, off, s[0:3], s32 offset:248 ; 4-byte Folded Reload
	s_waitcnt vmcnt(0)
	v_and_b32_e32 v5, 0xffff, v5
	;;#ASMSTART
	v_cvt_f32_f16 v5, v5;
	;;#ASMEND
	buffer_load_dword v6, off, s[0:3], s32 offset:244 ; 4-byte Folded Reload
	v_fmac_f32_e32 v18, v0, v5
	v_and_b32_e32 v0, 0xffff, v2
	s_waitcnt vmcnt(0)
	v_and_b32_e32 v7, 0xffff, v6
	;;#ASMSTART
	v_cvt_f32_f16 v7, v7;
	;;#ASMEND
	v_fmac_f32_e32 v15, v1, v7
	v_lshrrev_b32_e32 v1, 16, v2
	;; [unrolled: 22-line block ×3, first 2 shown]
	;;#ASMSTART
	v_cvt_f32_f16 v0, v0;
	;;#ASMEND
	;;#ASMSTART
	v_cvt_f32_f16 v1, v1;
	;;#ASMEND
	buffer_load_dword v2, off, s[0:3], s32 offset:232 ; 4-byte Folded Reload
	v_and_b32_e32 v3, 0xffff, v71
	s_waitcnt vmcnt(0)
	v_and_b32_e32 v2, 0xffff, v2
	;;#ASMSTART
	v_cvt_f32_f16 v2, v2;
	;;#ASMEND
	;;#ASMSTART
	v_cvt_f32_f16 v3, v3;
	;;#ASMEND
	v_fmac_f32_e32 v26, v1, v3
	buffer_load_dword v1, off, s[0:3], s32 offset:1240 ; 4-byte Folded Reload
	v_fmac_f32_e32 v31, v0, v2
	v_add_f32_e32 v0, v13, v14
	v_add_f32_e32 v0, v0, v18
	;; [unrolled: 1-line block ×5, first 2 shown]
	buffer_load_dword v20, off, s[0:3], s32 offset:820 ; 4-byte Folded Reload
	v_add_f32_e32 v0, v0, v31
	v_add_f32_e32 v0, v26, v0
	s_waitcnt vmcnt(1)
	v_fmac_f32_e32 v38, v1, v0
	buffer_load_dword v1, off, s[0:3], s32 offset:224 ; 4-byte Folded Reload
	v_cndmask_b32_e64 v0, 0, v38, s5
	s_waitcnt vmcnt(0)
	ds_write_b32 v1, v0
	v_max_f32_e32 v0, v20, v20
	v_max_f32_e32 v0, v0, v38
	v_cndmask_b32_e64 v20, v20, v0, s5
.LBB287_14:                             ;   in Loop: Header=BB287_15 Depth=1
	s_or_b32 exec_lo, exec_lo, s6
	s_clause 0x1
	buffer_load_dword v8, off, s[0:3], s32 offset:220
	buffer_load_dword v0, off, s[0:3], s32 offset:192
	v_add_co_u32 v16, s6, v16, 16
	v_add_nc_u32_e32 v122, 0x80, v122
	v_add_nc_u32_e32 v24, 0x200, v24
	v_add_co_ci_u32_e64 v17, null, 0, v17, s6
	s_waitcnt vmcnt(1)
	v_add_nc_u32_e32 v8, 4, v8
	s_waitcnt vmcnt(0)
	v_cmp_ge_i32_e64 s5, v8, v0
	s_or_b32 s12, s5, s12
	s_andn2_b32 exec_lo, exec_lo, s12
	s_cbranch_execz .LBB287_2063
.LBB287_15:                             ; =>This Inner Loop Header: Depth=1
	s_clause 0x1
	buffer_load_dword v0, off, s[0:3], s32 offset:212
	buffer_load_dword v5, off, s[0:3], s32 offset:196
	buffer_store_dword v8, off, s[0:3], s32 offset:220 ; 4-byte Folded Spill
	s_waitcnt vmcnt(1)
	v_mul_hi_u32 v0, v122, v0
	s_waitcnt vmcnt(0)
	v_mul_lo_u32 v1, v0, v5
	v_add_nc_u32_e32 v2, 1, v0
	v_sub_nc_u32_e32 v1, v122, v1
	v_sub_nc_u32_e32 v3, v1, v5
	v_cmp_ge_u32_e64 s5, v1, v5
	v_cndmask_b32_e64 v1, v1, v3, s5
	v_cndmask_b32_e64 v0, v0, v2, s5
	v_cmp_ge_u32_e64 s5, v1, v5
	buffer_load_dword v1, off, s[0:3], s32 offset:208 ; 4-byte Folded Reload
	v_add_nc_u32_e32 v2, 1, v0
	v_cndmask_b32_e64 v0, v0, v2, s5
	s_waitcnt vmcnt(0)
	v_xor_b32_e32 v0, v0, v1
	v_sub_nc_u32_e32 v0, v0, v1
	s_clause 0x3
	buffer_load_dword v1, off, s[0:3], s32 offset:200
	buffer_load_dword v2, off, s[0:3], s32 offset:204
	;; [unrolled: 1-line block ×4, first 2 shown]
	s_waitcnt vmcnt(3)
	v_add_nc_u32_e32 v1, v0, v1
	s_waitcnt vmcnt(2)
	v_sub_nc_u32_e32 v2, 0, v1
	v_max_i32_e32 v2, v1, v2
	v_ashrrev_i32_e32 v1, 31, v1
	s_waitcnt vmcnt(1)
	v_mul_hi_u32 v3, v2, v3
	s_waitcnt vmcnt(0)
	v_mul_lo_u32 v3, v3, v5
	v_sub_nc_u32_e32 v2, v2, v3
	v_sub_nc_u32_e32 v3, v2, v5
	v_cmp_ge_u32_e64 s5, v2, v5
	v_cndmask_b32_e64 v2, v2, v3, s5
	v_sub_nc_u32_e32 v3, v2, v5
	v_cmp_ge_u32_e64 s5, v2, v5
	v_cndmask_b32_e64 v2, v2, v3, s5
	v_xor_b32_e32 v2, v2, v1
	v_sub_nc_u32_e32 v1, v2, v1
	v_cmp_ne_u32_e64 s5, 0, v1
	buffer_load_dword v1, off, s[0:3], s32 offset:216 ; 4-byte Folded Reload
	s_waitcnt vmcnt(0)
	v_cmp_le_i32_e64 s6, v0, v1
	s_and_b32 s5, s5, s6
	s_and_saveexec_b32 s6, s5
	s_xor_b32 s5, exec_lo, s6
	s_cbranch_execz .LBB287_17
; %bb.16:                               ;   in Loop: Header=BB287_15 Depth=1
	s_waitcnt lgkmcnt(0)
	v_add_nc_u32_e32 v0, s11, v24
	v_mov_b32_e32 v1, 0xff7fffff
	ds_write_b32 v0, v1
.LBB287_17:                             ;   in Loop: Header=BB287_15 Depth=1
	s_andn2_saveexec_b32 s6, s5
	s_cbranch_execz .LBB287_14
; %bb.18:                               ;   in Loop: Header=BB287_15 Depth=1
	buffer_store_dword v24, off, s[0:3], s32 offset:824 ; 4-byte Folded Spill
	buffer_store_dword v20, off, s[0:3], s32 offset:820 ; 4-byte Folded Spill
	flat_load_dword v0, v[16:17]
	s_clause 0x2
	buffer_load_dword v1, off, s[0:3], s32 offset:808
	buffer_load_dword v2, off, s[0:3], s32 offset:1244
	;; [unrolled: 1-line block ×3, first 2 shown]
	v_mov_b32_e32 v38, 0
	v_mov_b32_e32 v21, 0
	s_waitcnt vmcnt(0) lgkmcnt(0)
	v_mad_i64_i32 v[24:25], null, v0, v1, v[2:3]
	flat_load_dwordx2 v[27:28], v[24:25]
	s_clause 0x1
	buffer_load_dword v0, off, s[0:3], s32 offset:1232
	buffer_load_dword v1, off, s[0:3], s32 offset:1236
	s_waitcnt vmcnt(2) lgkmcnt(0)
	v_cmp_ne_u16_sdwa s5, v27, v4 src0_sel:BYTE_0 src1_sel:DWORD
	s_waitcnt vmcnt(0)
	flat_load_dword v71, v[0:1]
	s_and_saveexec_b32 s17, s5
	s_cbranch_execz .LBB287_26
; %bb.19:                               ;   in Loop: Header=BB287_15 Depth=1
	v_cmp_ne_u16_sdwa s5, v27, v64 src0_sel:BYTE_0 src1_sel:DWORD
	v_mov_b32_e32 v21, 0x8000
	s_and_saveexec_b32 s19, s5
	s_cbranch_execz .LBB287_25
; %bb.20:                               ;   in Loop: Header=BB287_15 Depth=1
	v_and_b32_e32 v2, 0x7f, v27
	v_mov_b32_e32 v21, 0x7c01
	s_mov_b32 s22, exec_lo
	v_cmpx_ne_u32_e32 0x7f, v2
	s_cbranch_execz .LBB287_24
; %bb.21:                               ;   in Loop: Header=BB287_15 Depth=1
	v_and_b32_e32 v0, 7, v27
	v_lshrrev_b32_e32 v1, 3, v2
	s_mov_b32 s23, exec_lo
	v_cmpx_gt_u32_e32 8, v2
; %bb.22:                               ;   in Loop: Header=BB287_15 Depth=1
	v_ffbh_u32_e32 v0, v0
	v_min_u32_e32 v2, 32, v0
	v_subrev_nc_u32_e32 v0, 28, v2
	v_lshlrev_b64 v[0:1], v0, v[27:28]
	v_sub_nc_u32_e32 v1, 29, v2
	v_and_b32_e32 v0, 7, v0
; %bb.23:                               ;   in Loop: Header=BB287_15 Depth=1
	s_or_b32 exec_lo, exec_lo, s23
	v_lshlrev_b32_e32 v2, 8, v27
	v_lshl_add_u32 v1, v1, 10, 0x2000
	v_lshlrev_b32_e32 v0, 7, v0
	v_and_b32_e32 v2, 0x8000, v2
	v_and_b32_e32 v1, 0xfc00, v1
	v_or3_b32 v21, v2, v1, v0
.LBB287_24:                             ;   in Loop: Header=BB287_15 Depth=1
	s_or_b32 exec_lo, exec_lo, s22
.LBB287_25:                             ;   in Loop: Header=BB287_15 Depth=1
	s_or_b32 exec_lo, exec_lo, s19
.LBB287_26:                             ;   in Loop: Header=BB287_15 Depth=1
	s_or_b32 exec_lo, exec_lo, s17
	v_lshrrev_b16 v3, 8, v27
	s_mov_b32 s17, exec_lo
	v_cmpx_ne_u16_e32 0, v3
	s_cbranch_execz .LBB287_34
; %bb.27:                               ;   in Loop: Header=BB287_15 Depth=1
	v_bfrev_b32_e32 v38, 1
	s_mov_b32 s19, exec_lo
	v_cmpx_ne_u16_e32 0x80, v3
	s_cbranch_execz .LBB287_33
; %bb.28:                               ;   in Loop: Header=BB287_15 Depth=1
	v_mov_b32_e32 v0, 0x7f
	v_mov_b32_e32 v38, 0x7c010000
	s_mov_b32 s22, exec_lo
	v_and_b32_sdwa v2, v3, v0 dst_sel:DWORD dst_unused:UNUSED_PAD src0_sel:WORD_0 src1_sel:DWORD
	v_cmpx_ne_u32_e32 0x7f, v2
	s_cbranch_execz .LBB287_32
; %bb.29:                               ;   in Loop: Header=BB287_15 Depth=1
	v_mov_b32_e32 v0, 7
	v_lshrrev_b32_e32 v1, 3, v2
	s_mov_b32 s23, exec_lo
	v_and_b32_sdwa v0, v3, v0 dst_sel:DWORD dst_unused:UNUSED_PAD src0_sel:WORD_0 src1_sel:DWORD
	v_cmpx_gt_u32_e32 8, v2
; %bb.30:                               ;   in Loop: Header=BB287_15 Depth=1
	v_ffbh_u32_e32 v0, v0
	v_min_u32_e32 v2, 32, v0
	v_subrev_nc_u32_e32 v0, 28, v2
	v_lshlrev_b64 v[0:1], v0, v[3:4]
	v_sub_nc_u32_e32 v1, 29, v2
	v_and_b32_e32 v0, 7, v0
; %bb.31:                               ;   in Loop: Header=BB287_15 Depth=1
	s_or_b32 exec_lo, exec_lo, s23
	v_mov_b32_e32 v2, 8
	v_lshl_add_u32 v1, v1, 10, 0x2000
	v_lshlrev_b32_e32 v0, 23, v0
	v_lshlrev_b32_sdwa v2, v2, v3 dst_sel:DWORD dst_unused:UNUSED_PAD src0_sel:DWORD src1_sel:WORD_0
	v_and_or_b32 v1, 0x8000, v2, v1
	v_lshl_or_b32 v38, v1, 16, v0
.LBB287_32:                             ;   in Loop: Header=BB287_15 Depth=1
	s_or_b32 exec_lo, exec_lo, s22
.LBB287_33:                             ;   in Loop: Header=BB287_15 Depth=1
	s_or_b32 exec_lo, exec_lo, s19
.LBB287_34:                             ;   in Loop: Header=BB287_15 Depth=1
	s_or_b32 exec_lo, exec_lo, s17
	v_lshrrev_b32_e32 v3, 16, v27
	v_mov_b32_e32 v82, 0
	v_mov_b32_e32 v90, 0
	v_cmp_ne_u16_sdwa s5, v3, v4 src0_sel:BYTE_0 src1_sel:DWORD
	s_and_saveexec_b32 s17, s5
	s_cbranch_execz .LBB287_42
; %bb.35:                               ;   in Loop: Header=BB287_15 Depth=1
	v_cmp_ne_u16_sdwa s5, v3, v64 src0_sel:BYTE_0 src1_sel:DWORD
	v_mov_b32_e32 v90, 0x8000
	s_and_saveexec_b32 s19, s5
	s_cbranch_execz .LBB287_41
; %bb.36:                               ;   in Loop: Header=BB287_15 Depth=1
	v_bfe_u32 v2, v27, 16, 7
	v_mov_b32_e32 v90, 0x7c01
	s_mov_b32 s22, exec_lo
	v_cmpx_ne_u32_e32 0x7f, v2
	s_cbranch_execz .LBB287_40
; %bb.37:                               ;   in Loop: Header=BB287_15 Depth=1
	v_and_b32_e32 v0, 7, v3
	v_lshrrev_b32_e32 v1, 3, v2
	s_mov_b32 s23, exec_lo
	v_cmpx_gt_u32_e32 8, v2
; %bb.38:                               ;   in Loop: Header=BB287_15 Depth=1
	v_ffbh_u32_e32 v0, v0
	v_min_u32_e32 v2, 32, v0
	v_subrev_nc_u32_e32 v0, 28, v2
	v_lshlrev_b64 v[0:1], v0, v[3:4]
	v_sub_nc_u32_e32 v1, 29, v2
	v_and_b32_e32 v0, 7, v0
; %bb.39:                               ;   in Loop: Header=BB287_15 Depth=1
	s_or_b32 exec_lo, exec_lo, s23
	v_lshlrev_b32_e32 v2, 8, v3
	v_lshl_add_u32 v1, v1, 10, 0x2000
	v_lshlrev_b32_e32 v0, 7, v0
	v_and_b32_e32 v2, 0x8000, v2
	v_and_b32_e32 v1, 0xfc00, v1
	v_or3_b32 v90, v2, v1, v0
.LBB287_40:                             ;   in Loop: Header=BB287_15 Depth=1
	s_or_b32 exec_lo, exec_lo, s22
.LBB287_41:                             ;   in Loop: Header=BB287_15 Depth=1
	s_or_b32 exec_lo, exec_lo, s19
.LBB287_42:                             ;   in Loop: Header=BB287_15 Depth=1
	s_or_b32 exec_lo, exec_lo, s17
	s_mov_b32 s17, exec_lo
	v_cmpx_lt_u32_e32 0xffffff, v27
	s_cbranch_execz .LBB287_50
; %bb.43:                               ;   in Loop: Header=BB287_15 Depth=1
	v_lshrrev_b32_e32 v3, 24, v27
	v_bfrev_b32_e32 v82, 1
	s_mov_b32 s19, exec_lo
	v_cmpx_ne_u32_e32 0x80, v3
	s_cbranch_execz .LBB287_49
; %bb.44:                               ;   in Loop: Header=BB287_15 Depth=1
	v_and_b32_e32 v2, 0x7f, v3
	v_mov_b32_e32 v82, 0x7c010000
	s_mov_b32 s22, exec_lo
	v_cmpx_ne_u32_e32 0x7f, v2
	s_cbranch_execz .LBB287_48
; %bb.45:                               ;   in Loop: Header=BB287_15 Depth=1
	v_and_b32_e32 v0, 7, v3
	v_lshrrev_b32_e32 v1, 3, v2
	s_mov_b32 s23, exec_lo
	v_cmpx_gt_u32_e32 8, v2
; %bb.46:                               ;   in Loop: Header=BB287_15 Depth=1
	v_ffbh_u32_e32 v0, v0
	v_min_u32_e32 v2, 32, v0
	v_subrev_nc_u32_e32 v0, 28, v2
	v_lshlrev_b64 v[0:1], v0, v[3:4]
	v_sub_nc_u32_e32 v1, 29, v2
	v_and_b32_e32 v0, 7, v0
; %bb.47:                               ;   in Loop: Header=BB287_15 Depth=1
	s_or_b32 exec_lo, exec_lo, s23
	v_lshlrev_b32_e32 v2, 8, v3
	v_lshl_add_u32 v1, v1, 10, 0x2000
	v_lshlrev_b32_e32 v0, 23, v0
	v_and_or_b32 v1, 0x8000, v2, v1
	v_lshl_or_b32 v82, v1, 16, v0
.LBB287_48:                             ;   in Loop: Header=BB287_15 Depth=1
	s_or_b32 exec_lo, exec_lo, s22
.LBB287_49:                             ;   in Loop: Header=BB287_15 Depth=1
	s_or_b32 exec_lo, exec_lo, s19
.LBB287_50:                             ;   in Loop: Header=BB287_15 Depth=1
	s_or_b32 exec_lo, exec_lo, s17
	v_mov_b32_e32 v3, v28
	v_cmp_ne_u16_sdwa s5, v28, v4 src0_sel:BYTE_0 src1_sel:DWORD
	v_mov_b32_e32 v109, 0
	v_mov_b32_e32 v125, 0
	s_and_saveexec_b32 s17, s5
	s_cbranch_execz .LBB287_58
; %bb.51:                               ;   in Loop: Header=BB287_15 Depth=1
	v_cmp_ne_u16_sdwa s5, v28, v64 src0_sel:BYTE_0 src1_sel:DWORD
	v_mov_b32_e32 v125, 0x8000
	s_and_saveexec_b32 s19, s5
	s_cbranch_execz .LBB287_57
; %bb.52:                               ;   in Loop: Header=BB287_15 Depth=1
	v_and_b32_e32 v2, 0x7f, v28
	v_mov_b32_e32 v125, 0x7c01
	s_mov_b32 s22, exec_lo
	v_cmpx_ne_u32_e32 0x7f, v2
	s_cbranch_execz .LBB287_56
; %bb.53:                               ;   in Loop: Header=BB287_15 Depth=1
	v_and_b32_e32 v0, 7, v28
	v_lshrrev_b32_e32 v1, 3, v2
	s_mov_b32 s23, exec_lo
	v_cmpx_gt_u32_e32 8, v2
; %bb.54:                               ;   in Loop: Header=BB287_15 Depth=1
	v_ffbh_u32_e32 v0, v0
	v_min_u32_e32 v2, 32, v0
	v_subrev_nc_u32_e32 v0, 28, v2
	v_lshlrev_b64 v[0:1], v0, v[3:4]
	v_sub_nc_u32_e32 v1, 29, v2
	v_and_b32_e32 v0, 7, v0
; %bb.55:                               ;   in Loop: Header=BB287_15 Depth=1
	s_or_b32 exec_lo, exec_lo, s23
	v_lshlrev_b32_e32 v2, 8, v28
	v_lshl_add_u32 v1, v1, 10, 0x2000
	v_lshlrev_b32_e32 v0, 7, v0
	v_and_b32_e32 v2, 0x8000, v2
	v_and_b32_e32 v1, 0xfc00, v1
	v_or3_b32 v125, v2, v1, v0
.LBB287_56:                             ;   in Loop: Header=BB287_15 Depth=1
	s_or_b32 exec_lo, exec_lo, s22
.LBB287_57:                             ;   in Loop: Header=BB287_15 Depth=1
	s_or_b32 exec_lo, exec_lo, s19
.LBB287_58:                             ;   in Loop: Header=BB287_15 Depth=1
	s_or_b32 exec_lo, exec_lo, s17
	v_lshrrev_b16 v3, 8, v3
	v_mov_b32_e32 v9, 0
	s_mov_b32 s17, exec_lo
	v_cmpx_ne_u16_e32 0, v3
	s_cbranch_execz .LBB287_66
; %bb.59:                               ;   in Loop: Header=BB287_15 Depth=1
	v_bfrev_b32_e32 v9, 1
	s_mov_b32 s19, exec_lo
	v_cmpx_ne_u16_e32 0x80, v3
	s_cbranch_execz .LBB287_65
; %bb.60:                               ;   in Loop: Header=BB287_15 Depth=1
	v_mov_b32_e32 v0, 0x7f
	v_mov_b32_e32 v9, 0x7c010000
	s_mov_b32 s22, exec_lo
	v_and_b32_sdwa v2, v3, v0 dst_sel:DWORD dst_unused:UNUSED_PAD src0_sel:WORD_0 src1_sel:DWORD
	v_cmpx_ne_u32_e32 0x7f, v2
	s_cbranch_execz .LBB287_64
; %bb.61:                               ;   in Loop: Header=BB287_15 Depth=1
	v_mov_b32_e32 v0, 7
	v_lshrrev_b32_e32 v1, 3, v2
	s_mov_b32 s23, exec_lo
	v_and_b32_sdwa v0, v3, v0 dst_sel:DWORD dst_unused:UNUSED_PAD src0_sel:WORD_0 src1_sel:DWORD
	v_cmpx_gt_u32_e32 8, v2
; %bb.62:                               ;   in Loop: Header=BB287_15 Depth=1
	v_ffbh_u32_e32 v0, v0
	v_min_u32_e32 v2, 32, v0
	v_subrev_nc_u32_e32 v0, 28, v2
	v_lshlrev_b64 v[0:1], v0, v[3:4]
	v_sub_nc_u32_e32 v1, 29, v2
	v_and_b32_e32 v0, 7, v0
; %bb.63:                               ;   in Loop: Header=BB287_15 Depth=1
	s_or_b32 exec_lo, exec_lo, s23
	v_mov_b32_e32 v2, 8
	v_lshl_add_u32 v1, v1, 10, 0x2000
	v_lshlrev_b32_e32 v0, 23, v0
	v_lshlrev_b32_sdwa v2, v2, v3 dst_sel:DWORD dst_unused:UNUSED_PAD src0_sel:DWORD src1_sel:WORD_0
	v_and_or_b32 v1, 0x8000, v2, v1
	v_lshl_or_b32 v9, v1, 16, v0
.LBB287_64:                             ;   in Loop: Header=BB287_15 Depth=1
	s_or_b32 exec_lo, exec_lo, s22
.LBB287_65:                             ;   in Loop: Header=BB287_15 Depth=1
	s_or_b32 exec_lo, exec_lo, s19
.LBB287_66:                             ;   in Loop: Header=BB287_15 Depth=1
	s_or_b32 exec_lo, exec_lo, s17
	v_lshrrev_b32_e32 v3, 16, v28
	v_cmp_ne_u16_sdwa s5, v3, v4 src0_sel:BYTE_0 src1_sel:DWORD
	s_and_saveexec_b32 s17, s5
	s_cbranch_execz .LBB287_74
; %bb.67:                               ;   in Loop: Header=BB287_15 Depth=1
	v_cmp_ne_u16_sdwa s5, v3, v64 src0_sel:BYTE_0 src1_sel:DWORD
	v_mov_b32_e32 v109, 0x8000
	s_and_saveexec_b32 s19, s5
	s_cbranch_execz .LBB287_73
; %bb.68:                               ;   in Loop: Header=BB287_15 Depth=1
	v_bfe_u32 v2, v28, 16, 7
	v_mov_b32_e32 v109, 0x7c01
	s_mov_b32 s22, exec_lo
	v_cmpx_ne_u32_e32 0x7f, v2
	s_cbranch_execz .LBB287_72
; %bb.69:                               ;   in Loop: Header=BB287_15 Depth=1
	v_and_b32_e32 v0, 7, v3
	v_lshrrev_b32_e32 v1, 3, v2
	s_mov_b32 s23, exec_lo
	v_cmpx_gt_u32_e32 8, v2
; %bb.70:                               ;   in Loop: Header=BB287_15 Depth=1
	v_ffbh_u32_e32 v0, v0
	v_min_u32_e32 v2, 32, v0
	v_subrev_nc_u32_e32 v0, 28, v2
	v_lshlrev_b64 v[0:1], v0, v[3:4]
	v_sub_nc_u32_e32 v1, 29, v2
	v_and_b32_e32 v0, 7, v0
; %bb.71:                               ;   in Loop: Header=BB287_15 Depth=1
	s_or_b32 exec_lo, exec_lo, s23
	v_lshlrev_b32_e32 v2, 8, v3
	v_lshl_add_u32 v1, v1, 10, 0x2000
	v_lshlrev_b32_e32 v0, 7, v0
	v_and_b32_e32 v2, 0x8000, v2
	v_and_b32_e32 v1, 0xfc00, v1
	v_or3_b32 v109, v2, v1, v0
.LBB287_72:                             ;   in Loop: Header=BB287_15 Depth=1
	s_or_b32 exec_lo, exec_lo, s22
.LBB287_73:                             ;   in Loop: Header=BB287_15 Depth=1
	s_or_b32 exec_lo, exec_lo, s19
.LBB287_74:                             ;   in Loop: Header=BB287_15 Depth=1
	s_or_b32 exec_lo, exec_lo, s17
	v_mov_b32_e32 v0, 0
	v_mov_b32_e32 v78, 0
	s_mov_b32 s17, exec_lo
	buffer_store_dword v0, off, s[0:3], s32 offset:224 ; 4-byte Folded Spill
	v_cmpx_lt_u64_e64 s[8:9], v[27:28]
	s_cbranch_execz .LBB287_82
; %bb.75:                               ;   in Loop: Header=BB287_15 Depth=1
	v_lshrrev_b32_e32 v3, 24, v28
	v_bfrev_b32_e32 v78, 1
	s_mov_b32 s19, exec_lo
	v_cmpx_ne_u32_e32 0x80, v3
	s_cbranch_execz .LBB287_81
; %bb.76:                               ;   in Loop: Header=BB287_15 Depth=1
	v_and_b32_e32 v2, 0x7f, v3
	v_mov_b32_e32 v78, 0x7c010000
	s_mov_b32 s22, exec_lo
	v_cmpx_ne_u32_e32 0x7f, v2
	s_cbranch_execz .LBB287_80
; %bb.77:                               ;   in Loop: Header=BB287_15 Depth=1
	v_and_b32_e32 v0, 7, v3
	v_lshrrev_b32_e32 v1, 3, v2
	s_mov_b32 s23, exec_lo
	v_cmpx_gt_u32_e32 8, v2
; %bb.78:                               ;   in Loop: Header=BB287_15 Depth=1
	v_ffbh_u32_e32 v0, v0
	v_min_u32_e32 v2, 32, v0
	v_subrev_nc_u32_e32 v0, 28, v2
	v_lshlrev_b64 v[0:1], v0, v[3:4]
	v_sub_nc_u32_e32 v1, 29, v2
	v_and_b32_e32 v0, 7, v0
; %bb.79:                               ;   in Loop: Header=BB287_15 Depth=1
	s_or_b32 exec_lo, exec_lo, s23
	v_lshlrev_b32_e32 v2, 8, v3
	v_lshl_add_u32 v1, v1, 10, 0x2000
	v_lshlrev_b32_e32 v0, 23, v0
	v_and_or_b32 v1, 0x8000, v2, v1
	v_lshl_or_b32 v78, v1, 16, v0
.LBB287_80:                             ;   in Loop: Header=BB287_15 Depth=1
	s_or_b32 exec_lo, exec_lo, s22
.LBB287_81:                             ;   in Loop: Header=BB287_15 Depth=1
	s_or_b32 exec_lo, exec_lo, s19
.LBB287_82:                             ;   in Loop: Header=BB287_15 Depth=1
	s_or_b32 exec_lo, exec_lo, s17
	flat_load_dwordx2 v[27:28], v[24:25] offset:8
	s_waitcnt vmcnt(0) lgkmcnt(0)
	v_cmp_ne_u16_sdwa s5, v27, v4 src0_sel:BYTE_0 src1_sel:DWORD
	s_and_saveexec_b32 s17, s5
	s_cbranch_execz .LBB287_90
; %bb.83:                               ;   in Loop: Header=BB287_15 Depth=1
	v_cmp_ne_u16_sdwa s5, v27, v64 src0_sel:BYTE_0 src1_sel:DWORD
	v_mov_b32_e32 v0, 0x8000
	buffer_store_dword v0, off, s[0:3], s32 offset:224 ; 4-byte Folded Spill
	s_and_saveexec_b32 s19, s5
	s_cbranch_execz .LBB287_89
; %bb.84:                               ;   in Loop: Header=BB287_15 Depth=1
	v_and_b32_e32 v2, 0x7f, v27
	v_mov_b32_e32 v0, 0x7c01
	s_mov_b32 s22, exec_lo
	buffer_store_dword v0, off, s[0:3], s32 offset:224 ; 4-byte Folded Spill
	v_cmpx_ne_u32_e32 0x7f, v2
	s_cbranch_execz .LBB287_88
; %bb.85:                               ;   in Loop: Header=BB287_15 Depth=1
	v_and_b32_e32 v0, 7, v27
	v_lshrrev_b32_e32 v1, 3, v2
	s_mov_b32 s23, exec_lo
	v_cmpx_gt_u32_e32 8, v2
; %bb.86:                               ;   in Loop: Header=BB287_15 Depth=1
	v_ffbh_u32_e32 v0, v0
	v_min_u32_e32 v2, 32, v0
	v_subrev_nc_u32_e32 v0, 28, v2
	v_lshlrev_b64 v[0:1], v0, v[27:28]
	v_sub_nc_u32_e32 v1, 29, v2
	v_and_b32_e32 v0, 7, v0
; %bb.87:                               ;   in Loop: Header=BB287_15 Depth=1
	s_or_b32 exec_lo, exec_lo, s23
	v_lshlrev_b32_e32 v2, 8, v27
	v_lshl_add_u32 v1, v1, 10, 0x2000
	v_lshlrev_b32_e32 v0, 7, v0
	v_and_b32_e32 v2, 0x8000, v2
	v_and_b32_e32 v1, 0xfc00, v1
	v_or3_b32 v0, v2, v1, v0
	buffer_store_dword v0, off, s[0:3], s32 offset:224 ; 4-byte Folded Spill
.LBB287_88:                             ;   in Loop: Header=BB287_15 Depth=1
	s_or_b32 exec_lo, exec_lo, s22
.LBB287_89:                             ;   in Loop: Header=BB287_15 Depth=1
	s_or_b32 exec_lo, exec_lo, s19
.LBB287_90:                             ;   in Loop: Header=BB287_15 Depth=1
	s_or_b32 exec_lo, exec_lo, s17
	v_mov_b32_e32 v0, 0
	v_lshrrev_b16 v3, 8, v27
	s_mov_b32 s17, exec_lo
	buffer_store_dword v0, off, s[0:3], s32 offset:236 ; 4-byte Folded Spill
	v_mov_b32_e32 v0, 0
	buffer_store_dword v0, off, s[0:3], s32 offset:232 ; 4-byte Folded Spill
	v_cmpx_ne_u16_e32 0, v3
	s_cbranch_execz .LBB287_98
; %bb.91:                               ;   in Loop: Header=BB287_15 Depth=1
	v_bfrev_b32_e32 v0, 1
	s_mov_b32 s19, exec_lo
	buffer_store_dword v0, off, s[0:3], s32 offset:232 ; 4-byte Folded Spill
	v_cmpx_ne_u16_e32 0x80, v3
	s_cbranch_execz .LBB287_97
; %bb.92:                               ;   in Loop: Header=BB287_15 Depth=1
	v_mov_b32_e32 v0, 0x7f
	s_mov_b32 s22, exec_lo
	v_and_b32_sdwa v2, v3, v0 dst_sel:DWORD dst_unused:UNUSED_PAD src0_sel:WORD_0 src1_sel:DWORD
	v_mov_b32_e32 v0, 0x7c010000
	buffer_store_dword v0, off, s[0:3], s32 offset:232 ; 4-byte Folded Spill
	v_cmpx_ne_u32_e32 0x7f, v2
	s_cbranch_execz .LBB287_96
; %bb.93:                               ;   in Loop: Header=BB287_15 Depth=1
	v_mov_b32_e32 v0, 7
	v_lshrrev_b32_e32 v1, 3, v2
	s_mov_b32 s23, exec_lo
	v_and_b32_sdwa v0, v3, v0 dst_sel:DWORD dst_unused:UNUSED_PAD src0_sel:WORD_0 src1_sel:DWORD
	v_cmpx_gt_u32_e32 8, v2
; %bb.94:                               ;   in Loop: Header=BB287_15 Depth=1
	v_ffbh_u32_e32 v0, v0
	v_min_u32_e32 v2, 32, v0
	v_subrev_nc_u32_e32 v0, 28, v2
	v_lshlrev_b64 v[0:1], v0, v[3:4]
	v_sub_nc_u32_e32 v1, 29, v2
	v_and_b32_e32 v0, 7, v0
; %bb.95:                               ;   in Loop: Header=BB287_15 Depth=1
	s_or_b32 exec_lo, exec_lo, s23
	v_mov_b32_e32 v2, 8
	v_lshl_add_u32 v1, v1, 10, 0x2000
	v_lshlrev_b32_e32 v0, 23, v0
	v_lshlrev_b32_sdwa v2, v2, v3 dst_sel:DWORD dst_unused:UNUSED_PAD src0_sel:DWORD src1_sel:WORD_0
	v_and_or_b32 v1, 0x8000, v2, v1
	v_lshl_or_b32 v0, v1, 16, v0
	buffer_store_dword v0, off, s[0:3], s32 offset:232 ; 4-byte Folded Spill
.LBB287_96:                             ;   in Loop: Header=BB287_15 Depth=1
	s_or_b32 exec_lo, exec_lo, s22
.LBB287_97:                             ;   in Loop: Header=BB287_15 Depth=1
	s_or_b32 exec_lo, exec_lo, s19
.LBB287_98:                             ;   in Loop: Header=BB287_15 Depth=1
	s_or_b32 exec_lo, exec_lo, s17
	v_lshrrev_b32_e32 v3, 16, v27
	v_cmp_ne_u16_sdwa s5, v3, v4 src0_sel:BYTE_0 src1_sel:DWORD
	s_and_saveexec_b32 s17, s5
	s_cbranch_execz .LBB287_106
; %bb.99:                               ;   in Loop: Header=BB287_15 Depth=1
	v_cmp_ne_u16_sdwa s5, v3, v64 src0_sel:BYTE_0 src1_sel:DWORD
	v_mov_b32_e32 v0, 0x8000
	buffer_store_dword v0, off, s[0:3], s32 offset:236 ; 4-byte Folded Spill
	s_and_saveexec_b32 s19, s5
	s_cbranch_execz .LBB287_105
; %bb.100:                              ;   in Loop: Header=BB287_15 Depth=1
	v_bfe_u32 v2, v27, 16, 7
	v_mov_b32_e32 v0, 0x7c01
	s_mov_b32 s22, exec_lo
	buffer_store_dword v0, off, s[0:3], s32 offset:236 ; 4-byte Folded Spill
	v_cmpx_ne_u32_e32 0x7f, v2
	s_cbranch_execz .LBB287_104
; %bb.101:                              ;   in Loop: Header=BB287_15 Depth=1
	v_and_b32_e32 v0, 7, v3
	v_lshrrev_b32_e32 v1, 3, v2
	s_mov_b32 s23, exec_lo
	v_cmpx_gt_u32_e32 8, v2
; %bb.102:                              ;   in Loop: Header=BB287_15 Depth=1
	v_ffbh_u32_e32 v0, v0
	v_min_u32_e32 v2, 32, v0
	v_subrev_nc_u32_e32 v0, 28, v2
	v_lshlrev_b64 v[0:1], v0, v[3:4]
	v_sub_nc_u32_e32 v1, 29, v2
	v_and_b32_e32 v0, 7, v0
; %bb.103:                              ;   in Loop: Header=BB287_15 Depth=1
	s_or_b32 exec_lo, exec_lo, s23
	v_lshlrev_b32_e32 v2, 8, v3
	v_lshl_add_u32 v1, v1, 10, 0x2000
	v_lshlrev_b32_e32 v0, 7, v0
	v_and_b32_e32 v2, 0x8000, v2
	v_and_b32_e32 v1, 0xfc00, v1
	v_or3_b32 v0, v2, v1, v0
	buffer_store_dword v0, off, s[0:3], s32 offset:236 ; 4-byte Folded Spill
.LBB287_104:                            ;   in Loop: Header=BB287_15 Depth=1
	s_or_b32 exec_lo, exec_lo, s22
.LBB287_105:                            ;   in Loop: Header=BB287_15 Depth=1
	s_or_b32 exec_lo, exec_lo, s19
.LBB287_106:                            ;   in Loop: Header=BB287_15 Depth=1
	s_or_b32 exec_lo, exec_lo, s17
	v_mov_b32_e32 v0, 0
	s_mov_b32 s17, exec_lo
	buffer_store_dword v0, off, s[0:3], s32 offset:240 ; 4-byte Folded Spill
	v_mov_b32_e32 v0, 0
	buffer_store_dword v0, off, s[0:3], s32 offset:244 ; 4-byte Folded Spill
	v_cmpx_lt_u32_e32 0xffffff, v27
	s_cbranch_execz .LBB287_114
; %bb.107:                              ;   in Loop: Header=BB287_15 Depth=1
	v_lshrrev_b32_e32 v3, 24, v27
	v_bfrev_b32_e32 v0, 1
	s_mov_b32 s19, exec_lo
	buffer_store_dword v0, off, s[0:3], s32 offset:244 ; 4-byte Folded Spill
	v_cmpx_ne_u32_e32 0x80, v3
	s_cbranch_execz .LBB287_113
; %bb.108:                              ;   in Loop: Header=BB287_15 Depth=1
	v_and_b32_e32 v2, 0x7f, v3
	v_mov_b32_e32 v0, 0x7c010000
	s_mov_b32 s22, exec_lo
	buffer_store_dword v0, off, s[0:3], s32 offset:244 ; 4-byte Folded Spill
	v_cmpx_ne_u32_e32 0x7f, v2
	s_cbranch_execz .LBB287_112
; %bb.109:                              ;   in Loop: Header=BB287_15 Depth=1
	v_and_b32_e32 v0, 7, v3
	v_lshrrev_b32_e32 v1, 3, v2
	s_mov_b32 s23, exec_lo
	v_cmpx_gt_u32_e32 8, v2
; %bb.110:                              ;   in Loop: Header=BB287_15 Depth=1
	v_ffbh_u32_e32 v0, v0
	v_min_u32_e32 v2, 32, v0
	v_subrev_nc_u32_e32 v0, 28, v2
	v_lshlrev_b64 v[0:1], v0, v[3:4]
	v_sub_nc_u32_e32 v1, 29, v2
	v_and_b32_e32 v0, 7, v0
; %bb.111:                              ;   in Loop: Header=BB287_15 Depth=1
	s_or_b32 exec_lo, exec_lo, s23
	v_lshlrev_b32_e32 v2, 8, v3
	v_lshl_add_u32 v1, v1, 10, 0x2000
	v_lshlrev_b32_e32 v0, 23, v0
	v_and_or_b32 v1, 0x8000, v2, v1
	v_lshl_or_b32 v0, v1, 16, v0
	buffer_store_dword v0, off, s[0:3], s32 offset:244 ; 4-byte Folded Spill
.LBB287_112:                            ;   in Loop: Header=BB287_15 Depth=1
	s_or_b32 exec_lo, exec_lo, s22
.LBB287_113:                            ;   in Loop: Header=BB287_15 Depth=1
	s_or_b32 exec_lo, exec_lo, s19
.LBB287_114:                            ;   in Loop: Header=BB287_15 Depth=1
	s_or_b32 exec_lo, exec_lo, s17
	v_mov_b32_e32 v3, v28
	v_cmp_ne_u16_sdwa s5, v28, v4 src0_sel:BYTE_0 src1_sel:DWORD
	s_and_saveexec_b32 s17, s5
	s_cbranch_execz .LBB287_122
; %bb.115:                              ;   in Loop: Header=BB287_15 Depth=1
	v_cmp_ne_u16_sdwa s5, v28, v64 src0_sel:BYTE_0 src1_sel:DWORD
	v_mov_b32_e32 v0, 0x8000
	buffer_store_dword v0, off, s[0:3], s32 offset:240 ; 4-byte Folded Spill
	s_and_saveexec_b32 s19, s5
	s_cbranch_execz .LBB287_121
; %bb.116:                              ;   in Loop: Header=BB287_15 Depth=1
	v_and_b32_e32 v2, 0x7f, v28
	v_mov_b32_e32 v0, 0x7c01
	s_mov_b32 s22, exec_lo
	buffer_store_dword v0, off, s[0:3], s32 offset:240 ; 4-byte Folded Spill
	v_cmpx_ne_u32_e32 0x7f, v2
	s_cbranch_execz .LBB287_120
; %bb.117:                              ;   in Loop: Header=BB287_15 Depth=1
	v_and_b32_e32 v0, 7, v28
	v_lshrrev_b32_e32 v1, 3, v2
	s_mov_b32 s23, exec_lo
	v_cmpx_gt_u32_e32 8, v2
; %bb.118:                              ;   in Loop: Header=BB287_15 Depth=1
	v_ffbh_u32_e32 v0, v0
	v_min_u32_e32 v2, 32, v0
	v_subrev_nc_u32_e32 v0, 28, v2
	v_lshlrev_b64 v[0:1], v0, v[3:4]
	v_sub_nc_u32_e32 v1, 29, v2
	v_and_b32_e32 v0, 7, v0
; %bb.119:                              ;   in Loop: Header=BB287_15 Depth=1
	s_or_b32 exec_lo, exec_lo, s23
	v_lshlrev_b32_e32 v2, 8, v28
	v_lshl_add_u32 v1, v1, 10, 0x2000
	v_lshlrev_b32_e32 v0, 7, v0
	v_and_b32_e32 v2, 0x8000, v2
	v_and_b32_e32 v1, 0xfc00, v1
	v_or3_b32 v0, v2, v1, v0
	buffer_store_dword v0, off, s[0:3], s32 offset:240 ; 4-byte Folded Spill
.LBB287_120:                            ;   in Loop: Header=BB287_15 Depth=1
	s_or_b32 exec_lo, exec_lo, s22
.LBB287_121:                            ;   in Loop: Header=BB287_15 Depth=1
	s_or_b32 exec_lo, exec_lo, s19
.LBB287_122:                            ;   in Loop: Header=BB287_15 Depth=1
	s_or_b32 exec_lo, exec_lo, s17
	v_mov_b32_e32 v0, 0
	v_lshrrev_b16 v3, 8, v3
	s_mov_b32 s17, exec_lo
	buffer_store_dword v0, off, s[0:3], s32 offset:248 ; 4-byte Folded Spill
	v_mov_b32_e32 v0, 0
	buffer_store_dword v0, off, s[0:3], s32 offset:252 ; 4-byte Folded Spill
	v_cmpx_ne_u16_e32 0, v3
	s_cbranch_execz .LBB287_130
; %bb.123:                              ;   in Loop: Header=BB287_15 Depth=1
	v_bfrev_b32_e32 v0, 1
	s_mov_b32 s19, exec_lo
	buffer_store_dword v0, off, s[0:3], s32 offset:252 ; 4-byte Folded Spill
	v_cmpx_ne_u16_e32 0x80, v3
	s_cbranch_execz .LBB287_129
; %bb.124:                              ;   in Loop: Header=BB287_15 Depth=1
	v_mov_b32_e32 v0, 0x7f
	s_mov_b32 s22, exec_lo
	v_and_b32_sdwa v2, v3, v0 dst_sel:DWORD dst_unused:UNUSED_PAD src0_sel:WORD_0 src1_sel:DWORD
	v_mov_b32_e32 v0, 0x7c010000
	buffer_store_dword v0, off, s[0:3], s32 offset:252 ; 4-byte Folded Spill
	v_cmpx_ne_u32_e32 0x7f, v2
	s_cbranch_execz .LBB287_128
; %bb.125:                              ;   in Loop: Header=BB287_15 Depth=1
	v_mov_b32_e32 v0, 7
	v_lshrrev_b32_e32 v1, 3, v2
	s_mov_b32 s23, exec_lo
	v_and_b32_sdwa v0, v3, v0 dst_sel:DWORD dst_unused:UNUSED_PAD src0_sel:WORD_0 src1_sel:DWORD
	v_cmpx_gt_u32_e32 8, v2
; %bb.126:                              ;   in Loop: Header=BB287_15 Depth=1
	v_ffbh_u32_e32 v0, v0
	v_min_u32_e32 v2, 32, v0
	v_subrev_nc_u32_e32 v0, 28, v2
	v_lshlrev_b64 v[0:1], v0, v[3:4]
	v_sub_nc_u32_e32 v1, 29, v2
	v_and_b32_e32 v0, 7, v0
; %bb.127:                              ;   in Loop: Header=BB287_15 Depth=1
	s_or_b32 exec_lo, exec_lo, s23
	v_mov_b32_e32 v2, 8
	v_lshl_add_u32 v1, v1, 10, 0x2000
	v_lshlrev_b32_e32 v0, 23, v0
	v_lshlrev_b32_sdwa v2, v2, v3 dst_sel:DWORD dst_unused:UNUSED_PAD src0_sel:DWORD src1_sel:WORD_0
	v_and_or_b32 v1, 0x8000, v2, v1
	v_lshl_or_b32 v0, v1, 16, v0
	buffer_store_dword v0, off, s[0:3], s32 offset:252 ; 4-byte Folded Spill
.LBB287_128:                            ;   in Loop: Header=BB287_15 Depth=1
	s_or_b32 exec_lo, exec_lo, s22
.LBB287_129:                            ;   in Loop: Header=BB287_15 Depth=1
	s_or_b32 exec_lo, exec_lo, s19
.LBB287_130:                            ;   in Loop: Header=BB287_15 Depth=1
	s_or_b32 exec_lo, exec_lo, s17
	v_lshrrev_b32_e32 v3, 16, v28
	v_cmp_ne_u16_sdwa s5, v3, v4 src0_sel:BYTE_0 src1_sel:DWORD
	s_and_saveexec_b32 s17, s5
	s_cbranch_execz .LBB287_138
; %bb.131:                              ;   in Loop: Header=BB287_15 Depth=1
	v_cmp_ne_u16_sdwa s5, v3, v64 src0_sel:BYTE_0 src1_sel:DWORD
	v_mov_b32_e32 v0, 0x8000
	buffer_store_dword v0, off, s[0:3], s32 offset:248 ; 4-byte Folded Spill
	s_and_saveexec_b32 s19, s5
	s_cbranch_execz .LBB287_137
; %bb.132:                              ;   in Loop: Header=BB287_15 Depth=1
	v_bfe_u32 v2, v28, 16, 7
	v_mov_b32_e32 v0, 0x7c01
	s_mov_b32 s22, exec_lo
	buffer_store_dword v0, off, s[0:3], s32 offset:248 ; 4-byte Folded Spill
	v_cmpx_ne_u32_e32 0x7f, v2
	s_cbranch_execz .LBB287_136
; %bb.133:                              ;   in Loop: Header=BB287_15 Depth=1
	v_and_b32_e32 v0, 7, v3
	v_lshrrev_b32_e32 v1, 3, v2
	s_mov_b32 s23, exec_lo
	v_cmpx_gt_u32_e32 8, v2
; %bb.134:                              ;   in Loop: Header=BB287_15 Depth=1
	v_ffbh_u32_e32 v0, v0
	v_min_u32_e32 v2, 32, v0
	v_subrev_nc_u32_e32 v0, 28, v2
	v_lshlrev_b64 v[0:1], v0, v[3:4]
	v_sub_nc_u32_e32 v1, 29, v2
	v_and_b32_e32 v0, 7, v0
; %bb.135:                              ;   in Loop: Header=BB287_15 Depth=1
	s_or_b32 exec_lo, exec_lo, s23
	v_lshlrev_b32_e32 v2, 8, v3
	v_lshl_add_u32 v1, v1, 10, 0x2000
	v_lshlrev_b32_e32 v0, 7, v0
	v_and_b32_e32 v2, 0x8000, v2
	v_and_b32_e32 v1, 0xfc00, v1
	v_or3_b32 v0, v2, v1, v0
	buffer_store_dword v0, off, s[0:3], s32 offset:248 ; 4-byte Folded Spill
.LBB287_136:                            ;   in Loop: Header=BB287_15 Depth=1
	s_or_b32 exec_lo, exec_lo, s22
.LBB287_137:                            ;   in Loop: Header=BB287_15 Depth=1
	s_or_b32 exec_lo, exec_lo, s19
.LBB287_138:                            ;   in Loop: Header=BB287_15 Depth=1
	s_or_b32 exec_lo, exec_lo, s17
	v_mov_b32_e32 v0, 0
	s_mov_b32 s17, exec_lo
	buffer_store_dword v0, off, s[0:3], s32 offset:256 ; 4-byte Folded Spill
	v_mov_b32_e32 v0, 0
	buffer_store_dword v0, off, s[0:3], s32 offset:744 ; 4-byte Folded Spill
	v_cmpx_lt_u64_e64 s[8:9], v[27:28]
	s_cbranch_execz .LBB287_146
; %bb.139:                              ;   in Loop: Header=BB287_15 Depth=1
	v_lshrrev_b32_e32 v3, 24, v28
	v_bfrev_b32_e32 v0, 1
	s_mov_b32 s19, exec_lo
	v_cmpx_ne_u32_e32 0x80, v3
	s_cbranch_execz .LBB287_145
; %bb.140:                              ;   in Loop: Header=BB287_15 Depth=1
	v_and_b32_e32 v2, 0x7f, v3
	v_mov_b32_e32 v0, 0x7c010000
	s_mov_b32 s22, exec_lo
	v_cmpx_ne_u32_e32 0x7f, v2
	s_cbranch_execz .LBB287_144
; %bb.141:                              ;   in Loop: Header=BB287_15 Depth=1
	v_and_b32_e32 v0, 7, v3
	v_lshrrev_b32_e32 v1, 3, v2
	s_mov_b32 s23, exec_lo
	v_cmpx_gt_u32_e32 8, v2
; %bb.142:                              ;   in Loop: Header=BB287_15 Depth=1
	v_ffbh_u32_e32 v0, v0
	v_min_u32_e32 v2, 32, v0
	v_subrev_nc_u32_e32 v0, 28, v2
	v_lshlrev_b64 v[0:1], v0, v[3:4]
	v_sub_nc_u32_e32 v1, 29, v2
	v_and_b32_e32 v0, 7, v0
; %bb.143:                              ;   in Loop: Header=BB287_15 Depth=1
	s_or_b32 exec_lo, exec_lo, s23
	v_lshlrev_b32_e32 v2, 8, v3
	v_lshl_add_u32 v1, v1, 10, 0x2000
	v_lshlrev_b32_e32 v0, 23, v0
	v_and_or_b32 v1, 0x8000, v2, v1
	v_lshl_or_b32 v0, v1, 16, v0
.LBB287_144:                            ;   in Loop: Header=BB287_15 Depth=1
	s_or_b32 exec_lo, exec_lo, s22
.LBB287_145:                            ;   in Loop: Header=BB287_15 Depth=1
	s_or_b32 exec_lo, exec_lo, s19
	buffer_store_dword v0, off, s[0:3], s32 offset:744 ; 4-byte Folded Spill
.LBB287_146:                            ;   in Loop: Header=BB287_15 Depth=1
	s_or_b32 exec_lo, exec_lo, s17
	flat_load_dwordx2 v[27:28], v[24:25] offset:512
	s_waitcnt vmcnt(0) lgkmcnt(0)
	v_cmp_ne_u16_sdwa s5, v27, v4 src0_sel:BYTE_0 src1_sel:DWORD
	s_and_saveexec_b32 s17, s5
	s_cbranch_execz .LBB287_154
; %bb.147:                              ;   in Loop: Header=BB287_15 Depth=1
	v_cmp_ne_u16_sdwa s5, v27, v64 src0_sel:BYTE_0 src1_sel:DWORD
	v_mov_b32_e32 v0, 0x8000
	buffer_store_dword v0, off, s[0:3], s32 offset:256 ; 4-byte Folded Spill
	s_and_saveexec_b32 s19, s5
	s_cbranch_execz .LBB287_153
; %bb.148:                              ;   in Loop: Header=BB287_15 Depth=1
	v_and_b32_e32 v2, 0x7f, v27
	v_mov_b32_e32 v0, 0x7c01
	s_mov_b32 s22, exec_lo
	buffer_store_dword v0, off, s[0:3], s32 offset:256 ; 4-byte Folded Spill
	v_cmpx_ne_u32_e32 0x7f, v2
	s_cbranch_execz .LBB287_152
; %bb.149:                              ;   in Loop: Header=BB287_15 Depth=1
	v_and_b32_e32 v0, 7, v27
	v_lshrrev_b32_e32 v1, 3, v2
	s_mov_b32 s23, exec_lo
	v_cmpx_gt_u32_e32 8, v2
; %bb.150:                              ;   in Loop: Header=BB287_15 Depth=1
	v_ffbh_u32_e32 v0, v0
	v_min_u32_e32 v2, 32, v0
	v_subrev_nc_u32_e32 v0, 28, v2
	v_lshlrev_b64 v[0:1], v0, v[27:28]
	v_sub_nc_u32_e32 v1, 29, v2
	v_and_b32_e32 v0, 7, v0
; %bb.151:                              ;   in Loop: Header=BB287_15 Depth=1
	s_or_b32 exec_lo, exec_lo, s23
	v_lshlrev_b32_e32 v2, 8, v27
	v_lshl_add_u32 v1, v1, 10, 0x2000
	v_lshlrev_b32_e32 v0, 7, v0
	v_and_b32_e32 v2, 0x8000, v2
	v_and_b32_e32 v1, 0xfc00, v1
	v_or3_b32 v0, v2, v1, v0
	buffer_store_dword v0, off, s[0:3], s32 offset:256 ; 4-byte Folded Spill
.LBB287_152:                            ;   in Loop: Header=BB287_15 Depth=1
	s_or_b32 exec_lo, exec_lo, s22
.LBB287_153:                            ;   in Loop: Header=BB287_15 Depth=1
	s_or_b32 exec_lo, exec_lo, s19
.LBB287_154:                            ;   in Loop: Header=BB287_15 Depth=1
	s_or_b32 exec_lo, exec_lo, s17
	v_mov_b32_e32 v0, 0
	v_lshrrev_b16 v3, 8, v27
	s_mov_b32 s17, exec_lo
	buffer_store_dword v0, off, s[0:3], s32 offset:264 ; 4-byte Folded Spill
	v_mov_b32_e32 v0, 0
	buffer_store_dword v0, off, s[0:3], s32 offset:260 ; 4-byte Folded Spill
	v_cmpx_ne_u16_e32 0, v3
	s_cbranch_execz .LBB287_162
; %bb.155:                              ;   in Loop: Header=BB287_15 Depth=1
	v_bfrev_b32_e32 v0, 1
	s_mov_b32 s19, exec_lo
	buffer_store_dword v0, off, s[0:3], s32 offset:260 ; 4-byte Folded Spill
	v_cmpx_ne_u16_e32 0x80, v3
	s_cbranch_execz .LBB287_161
; %bb.156:                              ;   in Loop: Header=BB287_15 Depth=1
	v_mov_b32_e32 v0, 0x7f
	s_mov_b32 s22, exec_lo
	v_and_b32_sdwa v2, v3, v0 dst_sel:DWORD dst_unused:UNUSED_PAD src0_sel:WORD_0 src1_sel:DWORD
	v_mov_b32_e32 v0, 0x7c010000
	buffer_store_dword v0, off, s[0:3], s32 offset:260 ; 4-byte Folded Spill
	v_cmpx_ne_u32_e32 0x7f, v2
	s_cbranch_execz .LBB287_160
; %bb.157:                              ;   in Loop: Header=BB287_15 Depth=1
	v_mov_b32_e32 v0, 7
	v_lshrrev_b32_e32 v1, 3, v2
	s_mov_b32 s23, exec_lo
	v_and_b32_sdwa v0, v3, v0 dst_sel:DWORD dst_unused:UNUSED_PAD src0_sel:WORD_0 src1_sel:DWORD
	v_cmpx_gt_u32_e32 8, v2
; %bb.158:                              ;   in Loop: Header=BB287_15 Depth=1
	v_ffbh_u32_e32 v0, v0
	v_min_u32_e32 v2, 32, v0
	v_subrev_nc_u32_e32 v0, 28, v2
	v_lshlrev_b64 v[0:1], v0, v[3:4]
	v_sub_nc_u32_e32 v1, 29, v2
	v_and_b32_e32 v0, 7, v0
; %bb.159:                              ;   in Loop: Header=BB287_15 Depth=1
	s_or_b32 exec_lo, exec_lo, s23
	v_mov_b32_e32 v2, 8
	v_lshl_add_u32 v1, v1, 10, 0x2000
	v_lshlrev_b32_e32 v0, 23, v0
	v_lshlrev_b32_sdwa v2, v2, v3 dst_sel:DWORD dst_unused:UNUSED_PAD src0_sel:DWORD src1_sel:WORD_0
	v_and_or_b32 v1, 0x8000, v2, v1
	v_lshl_or_b32 v0, v1, 16, v0
	buffer_store_dword v0, off, s[0:3], s32 offset:260 ; 4-byte Folded Spill
.LBB287_160:                            ;   in Loop: Header=BB287_15 Depth=1
	s_or_b32 exec_lo, exec_lo, s22
.LBB287_161:                            ;   in Loop: Header=BB287_15 Depth=1
	s_or_b32 exec_lo, exec_lo, s19
.LBB287_162:                            ;   in Loop: Header=BB287_15 Depth=1
	s_or_b32 exec_lo, exec_lo, s17
	v_lshrrev_b32_e32 v3, 16, v27
	v_cmp_ne_u16_sdwa s5, v3, v4 src0_sel:BYTE_0 src1_sel:DWORD
	s_and_saveexec_b32 s17, s5
	s_cbranch_execz .LBB287_170
; %bb.163:                              ;   in Loop: Header=BB287_15 Depth=1
	v_cmp_ne_u16_sdwa s5, v3, v64 src0_sel:BYTE_0 src1_sel:DWORD
	v_mov_b32_e32 v0, 0x8000
	buffer_store_dword v0, off, s[0:3], s32 offset:264 ; 4-byte Folded Spill
	s_and_saveexec_b32 s19, s5
	s_cbranch_execz .LBB287_169
; %bb.164:                              ;   in Loop: Header=BB287_15 Depth=1
	v_bfe_u32 v2, v27, 16, 7
	v_mov_b32_e32 v0, 0x7c01
	s_mov_b32 s22, exec_lo
	buffer_store_dword v0, off, s[0:3], s32 offset:264 ; 4-byte Folded Spill
	v_cmpx_ne_u32_e32 0x7f, v2
	s_cbranch_execz .LBB287_168
; %bb.165:                              ;   in Loop: Header=BB287_15 Depth=1
	v_and_b32_e32 v0, 7, v3
	v_lshrrev_b32_e32 v1, 3, v2
	s_mov_b32 s23, exec_lo
	v_cmpx_gt_u32_e32 8, v2
; %bb.166:                              ;   in Loop: Header=BB287_15 Depth=1
	v_ffbh_u32_e32 v0, v0
	v_min_u32_e32 v2, 32, v0
	v_subrev_nc_u32_e32 v0, 28, v2
	v_lshlrev_b64 v[0:1], v0, v[3:4]
	v_sub_nc_u32_e32 v1, 29, v2
	v_and_b32_e32 v0, 7, v0
; %bb.167:                              ;   in Loop: Header=BB287_15 Depth=1
	s_or_b32 exec_lo, exec_lo, s23
	v_lshlrev_b32_e32 v2, 8, v3
	v_lshl_add_u32 v1, v1, 10, 0x2000
	v_lshlrev_b32_e32 v0, 7, v0
	v_and_b32_e32 v2, 0x8000, v2
	v_and_b32_e32 v1, 0xfc00, v1
	v_or3_b32 v0, v2, v1, v0
	buffer_store_dword v0, off, s[0:3], s32 offset:264 ; 4-byte Folded Spill
.LBB287_168:                            ;   in Loop: Header=BB287_15 Depth=1
	s_or_b32 exec_lo, exec_lo, s22
.LBB287_169:                            ;   in Loop: Header=BB287_15 Depth=1
	s_or_b32 exec_lo, exec_lo, s19
.LBB287_170:                            ;   in Loop: Header=BB287_15 Depth=1
	s_or_b32 exec_lo, exec_lo, s17
	v_mov_b32_e32 v0, 0
	s_mov_b32 s17, exec_lo
	buffer_store_dword v0, off, s[0:3], s32 offset:268 ; 4-byte Folded Spill
	v_mov_b32_e32 v0, 0
	buffer_store_dword v0, off, s[0:3], s32 offset:272 ; 4-byte Folded Spill
	v_cmpx_lt_u32_e32 0xffffff, v27
	s_cbranch_execz .LBB287_178
; %bb.171:                              ;   in Loop: Header=BB287_15 Depth=1
	v_lshrrev_b32_e32 v3, 24, v27
	v_bfrev_b32_e32 v0, 1
	s_mov_b32 s19, exec_lo
	buffer_store_dword v0, off, s[0:3], s32 offset:272 ; 4-byte Folded Spill
	v_cmpx_ne_u32_e32 0x80, v3
	s_cbranch_execz .LBB287_177
; %bb.172:                              ;   in Loop: Header=BB287_15 Depth=1
	v_and_b32_e32 v2, 0x7f, v3
	v_mov_b32_e32 v0, 0x7c010000
	s_mov_b32 s22, exec_lo
	buffer_store_dword v0, off, s[0:3], s32 offset:272 ; 4-byte Folded Spill
	v_cmpx_ne_u32_e32 0x7f, v2
	s_cbranch_execz .LBB287_176
; %bb.173:                              ;   in Loop: Header=BB287_15 Depth=1
	v_and_b32_e32 v0, 7, v3
	v_lshrrev_b32_e32 v1, 3, v2
	s_mov_b32 s23, exec_lo
	v_cmpx_gt_u32_e32 8, v2
; %bb.174:                              ;   in Loop: Header=BB287_15 Depth=1
	v_ffbh_u32_e32 v0, v0
	v_min_u32_e32 v2, 32, v0
	v_subrev_nc_u32_e32 v0, 28, v2
	v_lshlrev_b64 v[0:1], v0, v[3:4]
	v_sub_nc_u32_e32 v1, 29, v2
	v_and_b32_e32 v0, 7, v0
; %bb.175:                              ;   in Loop: Header=BB287_15 Depth=1
	s_or_b32 exec_lo, exec_lo, s23
	v_lshlrev_b32_e32 v2, 8, v3
	v_lshl_add_u32 v1, v1, 10, 0x2000
	v_lshlrev_b32_e32 v0, 23, v0
	v_and_or_b32 v1, 0x8000, v2, v1
	v_lshl_or_b32 v0, v1, 16, v0
	buffer_store_dword v0, off, s[0:3], s32 offset:272 ; 4-byte Folded Spill
.LBB287_176:                            ;   in Loop: Header=BB287_15 Depth=1
	s_or_b32 exec_lo, exec_lo, s22
.LBB287_177:                            ;   in Loop: Header=BB287_15 Depth=1
	s_or_b32 exec_lo, exec_lo, s19
.LBB287_178:                            ;   in Loop: Header=BB287_15 Depth=1
	s_or_b32 exec_lo, exec_lo, s17
	v_mov_b32_e32 v3, v28
	v_cmp_ne_u16_sdwa s5, v28, v4 src0_sel:BYTE_0 src1_sel:DWORD
	s_and_saveexec_b32 s17, s5
	s_cbranch_execz .LBB287_186
; %bb.179:                              ;   in Loop: Header=BB287_15 Depth=1
	v_cmp_ne_u16_sdwa s5, v28, v64 src0_sel:BYTE_0 src1_sel:DWORD
	v_mov_b32_e32 v0, 0x8000
	buffer_store_dword v0, off, s[0:3], s32 offset:268 ; 4-byte Folded Spill
	s_and_saveexec_b32 s19, s5
	s_cbranch_execz .LBB287_185
; %bb.180:                              ;   in Loop: Header=BB287_15 Depth=1
	v_and_b32_e32 v2, 0x7f, v28
	v_mov_b32_e32 v0, 0x7c01
	s_mov_b32 s22, exec_lo
	buffer_store_dword v0, off, s[0:3], s32 offset:268 ; 4-byte Folded Spill
	v_cmpx_ne_u32_e32 0x7f, v2
	s_cbranch_execz .LBB287_184
; %bb.181:                              ;   in Loop: Header=BB287_15 Depth=1
	v_and_b32_e32 v0, 7, v28
	v_lshrrev_b32_e32 v1, 3, v2
	s_mov_b32 s23, exec_lo
	v_cmpx_gt_u32_e32 8, v2
; %bb.182:                              ;   in Loop: Header=BB287_15 Depth=1
	v_ffbh_u32_e32 v0, v0
	v_min_u32_e32 v2, 32, v0
	v_subrev_nc_u32_e32 v0, 28, v2
	v_lshlrev_b64 v[0:1], v0, v[3:4]
	v_sub_nc_u32_e32 v1, 29, v2
	v_and_b32_e32 v0, 7, v0
; %bb.183:                              ;   in Loop: Header=BB287_15 Depth=1
	s_or_b32 exec_lo, exec_lo, s23
	v_lshlrev_b32_e32 v2, 8, v28
	v_lshl_add_u32 v1, v1, 10, 0x2000
	v_lshlrev_b32_e32 v0, 7, v0
	v_and_b32_e32 v2, 0x8000, v2
	v_and_b32_e32 v1, 0xfc00, v1
	v_or3_b32 v0, v2, v1, v0
	buffer_store_dword v0, off, s[0:3], s32 offset:268 ; 4-byte Folded Spill
.LBB287_184:                            ;   in Loop: Header=BB287_15 Depth=1
	s_or_b32 exec_lo, exec_lo, s22
.LBB287_185:                            ;   in Loop: Header=BB287_15 Depth=1
	s_or_b32 exec_lo, exec_lo, s19
.LBB287_186:                            ;   in Loop: Header=BB287_15 Depth=1
	s_or_b32 exec_lo, exec_lo, s17
	v_mov_b32_e32 v0, 0
	v_lshrrev_b16 v3, 8, v3
	s_mov_b32 s17, exec_lo
	buffer_store_dword v0, off, s[0:3], s32 offset:276 ; 4-byte Folded Spill
	v_mov_b32_e32 v0, 0
	buffer_store_dword v0, off, s[0:3], s32 offset:280 ; 4-byte Folded Spill
	v_cmpx_ne_u16_e32 0, v3
	s_cbranch_execz .LBB287_194
; %bb.187:                              ;   in Loop: Header=BB287_15 Depth=1
	v_bfrev_b32_e32 v0, 1
	s_mov_b32 s19, exec_lo
	buffer_store_dword v0, off, s[0:3], s32 offset:280 ; 4-byte Folded Spill
	v_cmpx_ne_u16_e32 0x80, v3
	s_cbranch_execz .LBB287_193
; %bb.188:                              ;   in Loop: Header=BB287_15 Depth=1
	v_mov_b32_e32 v0, 0x7f
	s_mov_b32 s22, exec_lo
	v_and_b32_sdwa v2, v3, v0 dst_sel:DWORD dst_unused:UNUSED_PAD src0_sel:WORD_0 src1_sel:DWORD
	v_mov_b32_e32 v0, 0x7c010000
	buffer_store_dword v0, off, s[0:3], s32 offset:280 ; 4-byte Folded Spill
	v_cmpx_ne_u32_e32 0x7f, v2
	s_cbranch_execz .LBB287_192
; %bb.189:                              ;   in Loop: Header=BB287_15 Depth=1
	v_mov_b32_e32 v0, 7
	v_lshrrev_b32_e32 v1, 3, v2
	s_mov_b32 s23, exec_lo
	v_and_b32_sdwa v0, v3, v0 dst_sel:DWORD dst_unused:UNUSED_PAD src0_sel:WORD_0 src1_sel:DWORD
	v_cmpx_gt_u32_e32 8, v2
; %bb.190:                              ;   in Loop: Header=BB287_15 Depth=1
	v_ffbh_u32_e32 v0, v0
	v_min_u32_e32 v2, 32, v0
	v_subrev_nc_u32_e32 v0, 28, v2
	v_lshlrev_b64 v[0:1], v0, v[3:4]
	v_sub_nc_u32_e32 v1, 29, v2
	v_and_b32_e32 v0, 7, v0
; %bb.191:                              ;   in Loop: Header=BB287_15 Depth=1
	s_or_b32 exec_lo, exec_lo, s23
	v_mov_b32_e32 v2, 8
	v_lshl_add_u32 v1, v1, 10, 0x2000
	v_lshlrev_b32_e32 v0, 23, v0
	v_lshlrev_b32_sdwa v2, v2, v3 dst_sel:DWORD dst_unused:UNUSED_PAD src0_sel:DWORD src1_sel:WORD_0
	v_and_or_b32 v1, 0x8000, v2, v1
	v_lshl_or_b32 v0, v1, 16, v0
	buffer_store_dword v0, off, s[0:3], s32 offset:280 ; 4-byte Folded Spill
.LBB287_192:                            ;   in Loop: Header=BB287_15 Depth=1
	s_or_b32 exec_lo, exec_lo, s22
.LBB287_193:                            ;   in Loop: Header=BB287_15 Depth=1
	s_or_b32 exec_lo, exec_lo, s19
.LBB287_194:                            ;   in Loop: Header=BB287_15 Depth=1
	s_or_b32 exec_lo, exec_lo, s17
	v_lshrrev_b32_e32 v3, 16, v28
	v_cmp_ne_u16_sdwa s5, v3, v4 src0_sel:BYTE_0 src1_sel:DWORD
	s_and_saveexec_b32 s17, s5
	s_cbranch_execz .LBB287_202
; %bb.195:                              ;   in Loop: Header=BB287_15 Depth=1
	v_cmp_ne_u16_sdwa s5, v3, v64 src0_sel:BYTE_0 src1_sel:DWORD
	v_mov_b32_e32 v0, 0x8000
	buffer_store_dword v0, off, s[0:3], s32 offset:276 ; 4-byte Folded Spill
	s_and_saveexec_b32 s19, s5
	s_cbranch_execz .LBB287_201
; %bb.196:                              ;   in Loop: Header=BB287_15 Depth=1
	v_bfe_u32 v2, v28, 16, 7
	v_mov_b32_e32 v0, 0x7c01
	s_mov_b32 s22, exec_lo
	buffer_store_dword v0, off, s[0:3], s32 offset:276 ; 4-byte Folded Spill
	v_cmpx_ne_u32_e32 0x7f, v2
	s_cbranch_execz .LBB287_200
; %bb.197:                              ;   in Loop: Header=BB287_15 Depth=1
	v_and_b32_e32 v0, 7, v3
	v_lshrrev_b32_e32 v1, 3, v2
	s_mov_b32 s23, exec_lo
	v_cmpx_gt_u32_e32 8, v2
; %bb.198:                              ;   in Loop: Header=BB287_15 Depth=1
	v_ffbh_u32_e32 v0, v0
	v_min_u32_e32 v2, 32, v0
	v_subrev_nc_u32_e32 v0, 28, v2
	v_lshlrev_b64 v[0:1], v0, v[3:4]
	v_sub_nc_u32_e32 v1, 29, v2
	v_and_b32_e32 v0, 7, v0
; %bb.199:                              ;   in Loop: Header=BB287_15 Depth=1
	s_or_b32 exec_lo, exec_lo, s23
	v_lshlrev_b32_e32 v2, 8, v3
	v_lshl_add_u32 v1, v1, 10, 0x2000
	v_lshlrev_b32_e32 v0, 7, v0
	v_and_b32_e32 v2, 0x8000, v2
	v_and_b32_e32 v1, 0xfc00, v1
	v_or3_b32 v0, v2, v1, v0
	buffer_store_dword v0, off, s[0:3], s32 offset:276 ; 4-byte Folded Spill
.LBB287_200:                            ;   in Loop: Header=BB287_15 Depth=1
	s_or_b32 exec_lo, exec_lo, s22
.LBB287_201:                            ;   in Loop: Header=BB287_15 Depth=1
	s_or_b32 exec_lo, exec_lo, s19
.LBB287_202:                            ;   in Loop: Header=BB287_15 Depth=1
	s_or_b32 exec_lo, exec_lo, s17
	v_mov_b32_e32 v0, 0
	s_mov_b32 s17, exec_lo
	buffer_store_dword v0, off, s[0:3], s32 offset:284 ; 4-byte Folded Spill
	v_mov_b32_e32 v0, 0
	buffer_store_dword v0, off, s[0:3], s32 offset:748 ; 4-byte Folded Spill
	v_cmpx_lt_u64_e64 s[8:9], v[27:28]
	s_cbranch_execz .LBB287_210
; %bb.203:                              ;   in Loop: Header=BB287_15 Depth=1
	v_lshrrev_b32_e32 v3, 24, v28
	v_bfrev_b32_e32 v0, 1
	s_mov_b32 s19, exec_lo
	v_cmpx_ne_u32_e32 0x80, v3
	s_cbranch_execz .LBB287_209
; %bb.204:                              ;   in Loop: Header=BB287_15 Depth=1
	v_and_b32_e32 v2, 0x7f, v3
	v_mov_b32_e32 v0, 0x7c010000
	s_mov_b32 s22, exec_lo
	v_cmpx_ne_u32_e32 0x7f, v2
	s_cbranch_execz .LBB287_208
; %bb.205:                              ;   in Loop: Header=BB287_15 Depth=1
	v_and_b32_e32 v0, 7, v3
	v_lshrrev_b32_e32 v1, 3, v2
	s_mov_b32 s23, exec_lo
	v_cmpx_gt_u32_e32 8, v2
; %bb.206:                              ;   in Loop: Header=BB287_15 Depth=1
	v_ffbh_u32_e32 v0, v0
	v_min_u32_e32 v2, 32, v0
	v_subrev_nc_u32_e32 v0, 28, v2
	v_lshlrev_b64 v[0:1], v0, v[3:4]
	v_sub_nc_u32_e32 v1, 29, v2
	v_and_b32_e32 v0, 7, v0
; %bb.207:                              ;   in Loop: Header=BB287_15 Depth=1
	s_or_b32 exec_lo, exec_lo, s23
	v_lshlrev_b32_e32 v2, 8, v3
	v_lshl_add_u32 v1, v1, 10, 0x2000
	v_lshlrev_b32_e32 v0, 23, v0
	v_and_or_b32 v1, 0x8000, v2, v1
	v_lshl_or_b32 v0, v1, 16, v0
.LBB287_208:                            ;   in Loop: Header=BB287_15 Depth=1
	s_or_b32 exec_lo, exec_lo, s22
.LBB287_209:                            ;   in Loop: Header=BB287_15 Depth=1
	s_or_b32 exec_lo, exec_lo, s19
	buffer_store_dword v0, off, s[0:3], s32 offset:748 ; 4-byte Folded Spill
.LBB287_210:                            ;   in Loop: Header=BB287_15 Depth=1
	s_or_b32 exec_lo, exec_lo, s17
	flat_load_dwordx2 v[27:28], v[24:25] offset:520
	s_waitcnt vmcnt(0) lgkmcnt(0)
	v_cmp_ne_u16_sdwa s5, v27, v4 src0_sel:BYTE_0 src1_sel:DWORD
	s_and_saveexec_b32 s17, s5
	s_cbranch_execz .LBB287_218
; %bb.211:                              ;   in Loop: Header=BB287_15 Depth=1
	v_cmp_ne_u16_sdwa s5, v27, v64 src0_sel:BYTE_0 src1_sel:DWORD
	v_mov_b32_e32 v0, 0x8000
	buffer_store_dword v0, off, s[0:3], s32 offset:284 ; 4-byte Folded Spill
	s_and_saveexec_b32 s19, s5
	s_cbranch_execz .LBB287_217
; %bb.212:                              ;   in Loop: Header=BB287_15 Depth=1
	v_and_b32_e32 v2, 0x7f, v27
	v_mov_b32_e32 v0, 0x7c01
	s_mov_b32 s22, exec_lo
	buffer_store_dword v0, off, s[0:3], s32 offset:284 ; 4-byte Folded Spill
	v_cmpx_ne_u32_e32 0x7f, v2
	s_cbranch_execz .LBB287_216
; %bb.213:                              ;   in Loop: Header=BB287_15 Depth=1
	v_and_b32_e32 v0, 7, v27
	v_lshrrev_b32_e32 v1, 3, v2
	s_mov_b32 s23, exec_lo
	v_cmpx_gt_u32_e32 8, v2
; %bb.214:                              ;   in Loop: Header=BB287_15 Depth=1
	v_ffbh_u32_e32 v0, v0
	v_min_u32_e32 v2, 32, v0
	v_subrev_nc_u32_e32 v0, 28, v2
	v_lshlrev_b64 v[0:1], v0, v[27:28]
	v_sub_nc_u32_e32 v1, 29, v2
	v_and_b32_e32 v0, 7, v0
; %bb.215:                              ;   in Loop: Header=BB287_15 Depth=1
	s_or_b32 exec_lo, exec_lo, s23
	v_lshlrev_b32_e32 v2, 8, v27
	v_lshl_add_u32 v1, v1, 10, 0x2000
	v_lshlrev_b32_e32 v0, 7, v0
	v_and_b32_e32 v2, 0x8000, v2
	v_and_b32_e32 v1, 0xfc00, v1
	v_or3_b32 v0, v2, v1, v0
	buffer_store_dword v0, off, s[0:3], s32 offset:284 ; 4-byte Folded Spill
.LBB287_216:                            ;   in Loop: Header=BB287_15 Depth=1
	s_or_b32 exec_lo, exec_lo, s22
.LBB287_217:                            ;   in Loop: Header=BB287_15 Depth=1
	s_or_b32 exec_lo, exec_lo, s19
.LBB287_218:                            ;   in Loop: Header=BB287_15 Depth=1
	s_or_b32 exec_lo, exec_lo, s17
	v_mov_b32_e32 v0, 0
	v_lshrrev_b16 v3, 8, v27
	s_mov_b32 s17, exec_lo
	buffer_store_dword v0, off, s[0:3], s32 offset:292 ; 4-byte Folded Spill
	v_mov_b32_e32 v0, 0
	buffer_store_dword v0, off, s[0:3], s32 offset:288 ; 4-byte Folded Spill
	v_cmpx_ne_u16_e32 0, v3
	s_cbranch_execz .LBB287_226
; %bb.219:                              ;   in Loop: Header=BB287_15 Depth=1
	v_bfrev_b32_e32 v0, 1
	s_mov_b32 s19, exec_lo
	buffer_store_dword v0, off, s[0:3], s32 offset:288 ; 4-byte Folded Spill
	v_cmpx_ne_u16_e32 0x80, v3
	s_cbranch_execz .LBB287_225
; %bb.220:                              ;   in Loop: Header=BB287_15 Depth=1
	v_mov_b32_e32 v0, 0x7f
	s_mov_b32 s22, exec_lo
	v_and_b32_sdwa v2, v3, v0 dst_sel:DWORD dst_unused:UNUSED_PAD src0_sel:WORD_0 src1_sel:DWORD
	v_mov_b32_e32 v0, 0x7c010000
	buffer_store_dword v0, off, s[0:3], s32 offset:288 ; 4-byte Folded Spill
	v_cmpx_ne_u32_e32 0x7f, v2
	s_cbranch_execz .LBB287_224
; %bb.221:                              ;   in Loop: Header=BB287_15 Depth=1
	v_mov_b32_e32 v0, 7
	v_lshrrev_b32_e32 v1, 3, v2
	s_mov_b32 s23, exec_lo
	v_and_b32_sdwa v0, v3, v0 dst_sel:DWORD dst_unused:UNUSED_PAD src0_sel:WORD_0 src1_sel:DWORD
	v_cmpx_gt_u32_e32 8, v2
; %bb.222:                              ;   in Loop: Header=BB287_15 Depth=1
	v_ffbh_u32_e32 v0, v0
	v_min_u32_e32 v2, 32, v0
	v_subrev_nc_u32_e32 v0, 28, v2
	v_lshlrev_b64 v[0:1], v0, v[3:4]
	v_sub_nc_u32_e32 v1, 29, v2
	v_and_b32_e32 v0, 7, v0
; %bb.223:                              ;   in Loop: Header=BB287_15 Depth=1
	s_or_b32 exec_lo, exec_lo, s23
	v_mov_b32_e32 v2, 8
	v_lshl_add_u32 v1, v1, 10, 0x2000
	v_lshlrev_b32_e32 v0, 23, v0
	v_lshlrev_b32_sdwa v2, v2, v3 dst_sel:DWORD dst_unused:UNUSED_PAD src0_sel:DWORD src1_sel:WORD_0
	v_and_or_b32 v1, 0x8000, v2, v1
	v_lshl_or_b32 v0, v1, 16, v0
	buffer_store_dword v0, off, s[0:3], s32 offset:288 ; 4-byte Folded Spill
.LBB287_224:                            ;   in Loop: Header=BB287_15 Depth=1
	s_or_b32 exec_lo, exec_lo, s22
.LBB287_225:                            ;   in Loop: Header=BB287_15 Depth=1
	s_or_b32 exec_lo, exec_lo, s19
.LBB287_226:                            ;   in Loop: Header=BB287_15 Depth=1
	s_or_b32 exec_lo, exec_lo, s17
	v_lshrrev_b32_e32 v3, 16, v27
	v_cmp_ne_u16_sdwa s5, v3, v4 src0_sel:BYTE_0 src1_sel:DWORD
	s_and_saveexec_b32 s17, s5
	s_cbranch_execz .LBB287_234
; %bb.227:                              ;   in Loop: Header=BB287_15 Depth=1
	v_cmp_ne_u16_sdwa s5, v3, v64 src0_sel:BYTE_0 src1_sel:DWORD
	v_mov_b32_e32 v0, 0x8000
	buffer_store_dword v0, off, s[0:3], s32 offset:292 ; 4-byte Folded Spill
	s_and_saveexec_b32 s19, s5
	s_cbranch_execz .LBB287_233
; %bb.228:                              ;   in Loop: Header=BB287_15 Depth=1
	v_bfe_u32 v2, v27, 16, 7
	v_mov_b32_e32 v0, 0x7c01
	s_mov_b32 s22, exec_lo
	buffer_store_dword v0, off, s[0:3], s32 offset:292 ; 4-byte Folded Spill
	v_cmpx_ne_u32_e32 0x7f, v2
	s_cbranch_execz .LBB287_232
; %bb.229:                              ;   in Loop: Header=BB287_15 Depth=1
	v_and_b32_e32 v0, 7, v3
	v_lshrrev_b32_e32 v1, 3, v2
	s_mov_b32 s23, exec_lo
	v_cmpx_gt_u32_e32 8, v2
; %bb.230:                              ;   in Loop: Header=BB287_15 Depth=1
	v_ffbh_u32_e32 v0, v0
	v_min_u32_e32 v2, 32, v0
	v_subrev_nc_u32_e32 v0, 28, v2
	v_lshlrev_b64 v[0:1], v0, v[3:4]
	v_sub_nc_u32_e32 v1, 29, v2
	v_and_b32_e32 v0, 7, v0
; %bb.231:                              ;   in Loop: Header=BB287_15 Depth=1
	s_or_b32 exec_lo, exec_lo, s23
	v_lshlrev_b32_e32 v2, 8, v3
	v_lshl_add_u32 v1, v1, 10, 0x2000
	v_lshlrev_b32_e32 v0, 7, v0
	v_and_b32_e32 v2, 0x8000, v2
	v_and_b32_e32 v1, 0xfc00, v1
	v_or3_b32 v0, v2, v1, v0
	buffer_store_dword v0, off, s[0:3], s32 offset:292 ; 4-byte Folded Spill
.LBB287_232:                            ;   in Loop: Header=BB287_15 Depth=1
	s_or_b32 exec_lo, exec_lo, s22
.LBB287_233:                            ;   in Loop: Header=BB287_15 Depth=1
	s_or_b32 exec_lo, exec_lo, s19
.LBB287_234:                            ;   in Loop: Header=BB287_15 Depth=1
	s_or_b32 exec_lo, exec_lo, s17
	v_mov_b32_e32 v0, 0
	s_mov_b32 s17, exec_lo
	buffer_store_dword v0, off, s[0:3], s32 offset:296 ; 4-byte Folded Spill
	v_mov_b32_e32 v0, 0
	buffer_store_dword v0, off, s[0:3], s32 offset:300 ; 4-byte Folded Spill
	v_cmpx_lt_u32_e32 0xffffff, v27
	s_cbranch_execz .LBB287_242
; %bb.235:                              ;   in Loop: Header=BB287_15 Depth=1
	v_lshrrev_b32_e32 v3, 24, v27
	v_bfrev_b32_e32 v0, 1
	s_mov_b32 s19, exec_lo
	buffer_store_dword v0, off, s[0:3], s32 offset:300 ; 4-byte Folded Spill
	v_cmpx_ne_u32_e32 0x80, v3
	s_cbranch_execz .LBB287_241
; %bb.236:                              ;   in Loop: Header=BB287_15 Depth=1
	v_and_b32_e32 v2, 0x7f, v3
	v_mov_b32_e32 v0, 0x7c010000
	s_mov_b32 s22, exec_lo
	buffer_store_dword v0, off, s[0:3], s32 offset:300 ; 4-byte Folded Spill
	v_cmpx_ne_u32_e32 0x7f, v2
	s_cbranch_execz .LBB287_240
; %bb.237:                              ;   in Loop: Header=BB287_15 Depth=1
	v_and_b32_e32 v0, 7, v3
	v_lshrrev_b32_e32 v1, 3, v2
	s_mov_b32 s23, exec_lo
	v_cmpx_gt_u32_e32 8, v2
; %bb.238:                              ;   in Loop: Header=BB287_15 Depth=1
	v_ffbh_u32_e32 v0, v0
	v_min_u32_e32 v2, 32, v0
	v_subrev_nc_u32_e32 v0, 28, v2
	v_lshlrev_b64 v[0:1], v0, v[3:4]
	v_sub_nc_u32_e32 v1, 29, v2
	v_and_b32_e32 v0, 7, v0
; %bb.239:                              ;   in Loop: Header=BB287_15 Depth=1
	s_or_b32 exec_lo, exec_lo, s23
	v_lshlrev_b32_e32 v2, 8, v3
	v_lshl_add_u32 v1, v1, 10, 0x2000
	v_lshlrev_b32_e32 v0, 23, v0
	v_and_or_b32 v1, 0x8000, v2, v1
	v_lshl_or_b32 v0, v1, 16, v0
	buffer_store_dword v0, off, s[0:3], s32 offset:300 ; 4-byte Folded Spill
.LBB287_240:                            ;   in Loop: Header=BB287_15 Depth=1
	s_or_b32 exec_lo, exec_lo, s22
.LBB287_241:                            ;   in Loop: Header=BB287_15 Depth=1
	s_or_b32 exec_lo, exec_lo, s19
.LBB287_242:                            ;   in Loop: Header=BB287_15 Depth=1
	s_or_b32 exec_lo, exec_lo, s17
	v_mov_b32_e32 v3, v28
	v_cmp_ne_u16_sdwa s5, v28, v4 src0_sel:BYTE_0 src1_sel:DWORD
	s_and_saveexec_b32 s17, s5
	s_cbranch_execz .LBB287_250
; %bb.243:                              ;   in Loop: Header=BB287_15 Depth=1
	v_cmp_ne_u16_sdwa s5, v28, v64 src0_sel:BYTE_0 src1_sel:DWORD
	v_mov_b32_e32 v0, 0x8000
	buffer_store_dword v0, off, s[0:3], s32 offset:296 ; 4-byte Folded Spill
	s_and_saveexec_b32 s19, s5
	s_cbranch_execz .LBB287_249
; %bb.244:                              ;   in Loop: Header=BB287_15 Depth=1
	v_and_b32_e32 v2, 0x7f, v28
	v_mov_b32_e32 v0, 0x7c01
	s_mov_b32 s22, exec_lo
	buffer_store_dword v0, off, s[0:3], s32 offset:296 ; 4-byte Folded Spill
	v_cmpx_ne_u32_e32 0x7f, v2
	s_cbranch_execz .LBB287_248
; %bb.245:                              ;   in Loop: Header=BB287_15 Depth=1
	v_and_b32_e32 v0, 7, v28
	v_lshrrev_b32_e32 v1, 3, v2
	s_mov_b32 s23, exec_lo
	v_cmpx_gt_u32_e32 8, v2
; %bb.246:                              ;   in Loop: Header=BB287_15 Depth=1
	v_ffbh_u32_e32 v0, v0
	v_min_u32_e32 v2, 32, v0
	v_subrev_nc_u32_e32 v0, 28, v2
	v_lshlrev_b64 v[0:1], v0, v[3:4]
	v_sub_nc_u32_e32 v1, 29, v2
	v_and_b32_e32 v0, 7, v0
; %bb.247:                              ;   in Loop: Header=BB287_15 Depth=1
	s_or_b32 exec_lo, exec_lo, s23
	v_lshlrev_b32_e32 v2, 8, v28
	v_lshl_add_u32 v1, v1, 10, 0x2000
	v_lshlrev_b32_e32 v0, 7, v0
	v_and_b32_e32 v2, 0x8000, v2
	v_and_b32_e32 v1, 0xfc00, v1
	v_or3_b32 v0, v2, v1, v0
	buffer_store_dword v0, off, s[0:3], s32 offset:296 ; 4-byte Folded Spill
.LBB287_248:                            ;   in Loop: Header=BB287_15 Depth=1
	s_or_b32 exec_lo, exec_lo, s22
.LBB287_249:                            ;   in Loop: Header=BB287_15 Depth=1
	s_or_b32 exec_lo, exec_lo, s19
.LBB287_250:                            ;   in Loop: Header=BB287_15 Depth=1
	s_or_b32 exec_lo, exec_lo, s17
	v_mov_b32_e32 v0, 0
	v_lshrrev_b16 v3, 8, v3
	s_mov_b32 s17, exec_lo
	buffer_store_dword v0, off, s[0:3], s32 offset:304 ; 4-byte Folded Spill
	v_mov_b32_e32 v0, 0
	buffer_store_dword v0, off, s[0:3], s32 offset:308 ; 4-byte Folded Spill
	v_cmpx_ne_u16_e32 0, v3
	s_cbranch_execz .LBB287_258
; %bb.251:                              ;   in Loop: Header=BB287_15 Depth=1
	v_bfrev_b32_e32 v0, 1
	s_mov_b32 s19, exec_lo
	buffer_store_dword v0, off, s[0:3], s32 offset:308 ; 4-byte Folded Spill
	v_cmpx_ne_u16_e32 0x80, v3
	s_cbranch_execz .LBB287_257
; %bb.252:                              ;   in Loop: Header=BB287_15 Depth=1
	v_mov_b32_e32 v0, 0x7f
	s_mov_b32 s22, exec_lo
	v_and_b32_sdwa v2, v3, v0 dst_sel:DWORD dst_unused:UNUSED_PAD src0_sel:WORD_0 src1_sel:DWORD
	v_mov_b32_e32 v0, 0x7c010000
	buffer_store_dword v0, off, s[0:3], s32 offset:308 ; 4-byte Folded Spill
	v_cmpx_ne_u32_e32 0x7f, v2
	s_cbranch_execz .LBB287_256
; %bb.253:                              ;   in Loop: Header=BB287_15 Depth=1
	v_mov_b32_e32 v0, 7
	v_lshrrev_b32_e32 v1, 3, v2
	s_mov_b32 s23, exec_lo
	v_and_b32_sdwa v0, v3, v0 dst_sel:DWORD dst_unused:UNUSED_PAD src0_sel:WORD_0 src1_sel:DWORD
	v_cmpx_gt_u32_e32 8, v2
; %bb.254:                              ;   in Loop: Header=BB287_15 Depth=1
	v_ffbh_u32_e32 v0, v0
	v_min_u32_e32 v2, 32, v0
	v_subrev_nc_u32_e32 v0, 28, v2
	v_lshlrev_b64 v[0:1], v0, v[3:4]
	v_sub_nc_u32_e32 v1, 29, v2
	v_and_b32_e32 v0, 7, v0
; %bb.255:                              ;   in Loop: Header=BB287_15 Depth=1
	s_or_b32 exec_lo, exec_lo, s23
	v_mov_b32_e32 v2, 8
	v_lshl_add_u32 v1, v1, 10, 0x2000
	v_lshlrev_b32_e32 v0, 23, v0
	v_lshlrev_b32_sdwa v2, v2, v3 dst_sel:DWORD dst_unused:UNUSED_PAD src0_sel:DWORD src1_sel:WORD_0
	v_and_or_b32 v1, 0x8000, v2, v1
	v_lshl_or_b32 v0, v1, 16, v0
	buffer_store_dword v0, off, s[0:3], s32 offset:308 ; 4-byte Folded Spill
.LBB287_256:                            ;   in Loop: Header=BB287_15 Depth=1
	s_or_b32 exec_lo, exec_lo, s22
.LBB287_257:                            ;   in Loop: Header=BB287_15 Depth=1
	s_or_b32 exec_lo, exec_lo, s19
.LBB287_258:                            ;   in Loop: Header=BB287_15 Depth=1
	s_or_b32 exec_lo, exec_lo, s17
	v_lshrrev_b32_e32 v3, 16, v28
	v_cmp_ne_u16_sdwa s5, v3, v4 src0_sel:BYTE_0 src1_sel:DWORD
	s_and_saveexec_b32 s17, s5
	s_cbranch_execz .LBB287_266
; %bb.259:                              ;   in Loop: Header=BB287_15 Depth=1
	v_cmp_ne_u16_sdwa s5, v3, v64 src0_sel:BYTE_0 src1_sel:DWORD
	v_mov_b32_e32 v0, 0x8000
	buffer_store_dword v0, off, s[0:3], s32 offset:304 ; 4-byte Folded Spill
	s_and_saveexec_b32 s19, s5
	s_cbranch_execz .LBB287_265
; %bb.260:                              ;   in Loop: Header=BB287_15 Depth=1
	v_bfe_u32 v2, v28, 16, 7
	v_mov_b32_e32 v0, 0x7c01
	s_mov_b32 s22, exec_lo
	buffer_store_dword v0, off, s[0:3], s32 offset:304 ; 4-byte Folded Spill
	v_cmpx_ne_u32_e32 0x7f, v2
	s_cbranch_execz .LBB287_264
; %bb.261:                              ;   in Loop: Header=BB287_15 Depth=1
	v_and_b32_e32 v0, 7, v3
	v_lshrrev_b32_e32 v1, 3, v2
	s_mov_b32 s23, exec_lo
	v_cmpx_gt_u32_e32 8, v2
; %bb.262:                              ;   in Loop: Header=BB287_15 Depth=1
	v_ffbh_u32_e32 v0, v0
	v_min_u32_e32 v2, 32, v0
	v_subrev_nc_u32_e32 v0, 28, v2
	v_lshlrev_b64 v[0:1], v0, v[3:4]
	v_sub_nc_u32_e32 v1, 29, v2
	v_and_b32_e32 v0, 7, v0
; %bb.263:                              ;   in Loop: Header=BB287_15 Depth=1
	s_or_b32 exec_lo, exec_lo, s23
	v_lshlrev_b32_e32 v2, 8, v3
	v_lshl_add_u32 v1, v1, 10, 0x2000
	v_lshlrev_b32_e32 v0, 7, v0
	v_and_b32_e32 v2, 0x8000, v2
	v_and_b32_e32 v1, 0xfc00, v1
	v_or3_b32 v0, v2, v1, v0
	buffer_store_dword v0, off, s[0:3], s32 offset:304 ; 4-byte Folded Spill
.LBB287_264:                            ;   in Loop: Header=BB287_15 Depth=1
	s_or_b32 exec_lo, exec_lo, s22
.LBB287_265:                            ;   in Loop: Header=BB287_15 Depth=1
	s_or_b32 exec_lo, exec_lo, s19
.LBB287_266:                            ;   in Loop: Header=BB287_15 Depth=1
	s_or_b32 exec_lo, exec_lo, s17
	v_mov_b32_e32 v0, 0
	s_mov_b32 s17, exec_lo
	buffer_store_dword v0, off, s[0:3], s32 offset:312 ; 4-byte Folded Spill
	v_mov_b32_e32 v0, 0
	buffer_store_dword v0, off, s[0:3], s32 offset:752 ; 4-byte Folded Spill
	v_cmpx_lt_u64_e64 s[8:9], v[27:28]
	s_cbranch_execz .LBB287_274
; %bb.267:                              ;   in Loop: Header=BB287_15 Depth=1
	v_lshrrev_b32_e32 v3, 24, v28
	v_bfrev_b32_e32 v0, 1
	s_mov_b32 s19, exec_lo
	v_cmpx_ne_u32_e32 0x80, v3
	s_cbranch_execz .LBB287_273
; %bb.268:                              ;   in Loop: Header=BB287_15 Depth=1
	v_and_b32_e32 v2, 0x7f, v3
	v_mov_b32_e32 v0, 0x7c010000
	s_mov_b32 s22, exec_lo
	v_cmpx_ne_u32_e32 0x7f, v2
	s_cbranch_execz .LBB287_272
; %bb.269:                              ;   in Loop: Header=BB287_15 Depth=1
	v_and_b32_e32 v0, 7, v3
	v_lshrrev_b32_e32 v1, 3, v2
	s_mov_b32 s23, exec_lo
	v_cmpx_gt_u32_e32 8, v2
; %bb.270:                              ;   in Loop: Header=BB287_15 Depth=1
	v_ffbh_u32_e32 v0, v0
	v_min_u32_e32 v2, 32, v0
	v_subrev_nc_u32_e32 v0, 28, v2
	v_lshlrev_b64 v[0:1], v0, v[3:4]
	v_sub_nc_u32_e32 v1, 29, v2
	v_and_b32_e32 v0, 7, v0
; %bb.271:                              ;   in Loop: Header=BB287_15 Depth=1
	s_or_b32 exec_lo, exec_lo, s23
	v_lshlrev_b32_e32 v2, 8, v3
	v_lshl_add_u32 v1, v1, 10, 0x2000
	v_lshlrev_b32_e32 v0, 23, v0
	v_and_or_b32 v1, 0x8000, v2, v1
	v_lshl_or_b32 v0, v1, 16, v0
.LBB287_272:                            ;   in Loop: Header=BB287_15 Depth=1
	s_or_b32 exec_lo, exec_lo, s22
.LBB287_273:                            ;   in Loop: Header=BB287_15 Depth=1
	s_or_b32 exec_lo, exec_lo, s19
	buffer_store_dword v0, off, s[0:3], s32 offset:752 ; 4-byte Folded Spill
.LBB287_274:                            ;   in Loop: Header=BB287_15 Depth=1
	s_or_b32 exec_lo, exec_lo, s17
	flat_load_dwordx2 v[27:28], v[24:25] offset:1024
	s_waitcnt vmcnt(0) lgkmcnt(0)
	v_cmp_ne_u16_sdwa s5, v27, v4 src0_sel:BYTE_0 src1_sel:DWORD
	s_and_saveexec_b32 s17, s5
	s_cbranch_execz .LBB287_282
; %bb.275:                              ;   in Loop: Header=BB287_15 Depth=1
	v_cmp_ne_u16_sdwa s5, v27, v64 src0_sel:BYTE_0 src1_sel:DWORD
	v_mov_b32_e32 v0, 0x8000
	buffer_store_dword v0, off, s[0:3], s32 offset:312 ; 4-byte Folded Spill
	s_and_saveexec_b32 s19, s5
	s_cbranch_execz .LBB287_281
; %bb.276:                              ;   in Loop: Header=BB287_15 Depth=1
	v_and_b32_e32 v2, 0x7f, v27
	v_mov_b32_e32 v0, 0x7c01
	s_mov_b32 s22, exec_lo
	buffer_store_dword v0, off, s[0:3], s32 offset:312 ; 4-byte Folded Spill
	v_cmpx_ne_u32_e32 0x7f, v2
	s_cbranch_execz .LBB287_280
; %bb.277:                              ;   in Loop: Header=BB287_15 Depth=1
	v_and_b32_e32 v0, 7, v27
	v_lshrrev_b32_e32 v1, 3, v2
	s_mov_b32 s23, exec_lo
	v_cmpx_gt_u32_e32 8, v2
; %bb.278:                              ;   in Loop: Header=BB287_15 Depth=1
	v_ffbh_u32_e32 v0, v0
	v_min_u32_e32 v2, 32, v0
	v_subrev_nc_u32_e32 v0, 28, v2
	v_lshlrev_b64 v[0:1], v0, v[27:28]
	v_sub_nc_u32_e32 v1, 29, v2
	v_and_b32_e32 v0, 7, v0
; %bb.279:                              ;   in Loop: Header=BB287_15 Depth=1
	s_or_b32 exec_lo, exec_lo, s23
	v_lshlrev_b32_e32 v2, 8, v27
	v_lshl_add_u32 v1, v1, 10, 0x2000
	v_lshlrev_b32_e32 v0, 7, v0
	v_and_b32_e32 v2, 0x8000, v2
	v_and_b32_e32 v1, 0xfc00, v1
	v_or3_b32 v0, v2, v1, v0
	buffer_store_dword v0, off, s[0:3], s32 offset:312 ; 4-byte Folded Spill
.LBB287_280:                            ;   in Loop: Header=BB287_15 Depth=1
	s_or_b32 exec_lo, exec_lo, s22
.LBB287_281:                            ;   in Loop: Header=BB287_15 Depth=1
	s_or_b32 exec_lo, exec_lo, s19
.LBB287_282:                            ;   in Loop: Header=BB287_15 Depth=1
	s_or_b32 exec_lo, exec_lo, s17
	v_mov_b32_e32 v0, 0
	v_lshrrev_b16 v3, 8, v27
	s_mov_b32 s17, exec_lo
	buffer_store_dword v0, off, s[0:3], s32 offset:320 ; 4-byte Folded Spill
	v_mov_b32_e32 v0, 0
	buffer_store_dword v0, off, s[0:3], s32 offset:316 ; 4-byte Folded Spill
	v_cmpx_ne_u16_e32 0, v3
	s_cbranch_execz .LBB287_290
; %bb.283:                              ;   in Loop: Header=BB287_15 Depth=1
	v_bfrev_b32_e32 v0, 1
	s_mov_b32 s19, exec_lo
	buffer_store_dword v0, off, s[0:3], s32 offset:316 ; 4-byte Folded Spill
	v_cmpx_ne_u16_e32 0x80, v3
	s_cbranch_execz .LBB287_289
; %bb.284:                              ;   in Loop: Header=BB287_15 Depth=1
	v_mov_b32_e32 v0, 0x7f
	s_mov_b32 s22, exec_lo
	v_and_b32_sdwa v2, v3, v0 dst_sel:DWORD dst_unused:UNUSED_PAD src0_sel:WORD_0 src1_sel:DWORD
	v_mov_b32_e32 v0, 0x7c010000
	buffer_store_dword v0, off, s[0:3], s32 offset:316 ; 4-byte Folded Spill
	v_cmpx_ne_u32_e32 0x7f, v2
	s_cbranch_execz .LBB287_288
; %bb.285:                              ;   in Loop: Header=BB287_15 Depth=1
	v_mov_b32_e32 v0, 7
	v_lshrrev_b32_e32 v1, 3, v2
	s_mov_b32 s23, exec_lo
	v_and_b32_sdwa v0, v3, v0 dst_sel:DWORD dst_unused:UNUSED_PAD src0_sel:WORD_0 src1_sel:DWORD
	v_cmpx_gt_u32_e32 8, v2
; %bb.286:                              ;   in Loop: Header=BB287_15 Depth=1
	v_ffbh_u32_e32 v0, v0
	v_min_u32_e32 v2, 32, v0
	v_subrev_nc_u32_e32 v0, 28, v2
	v_lshlrev_b64 v[0:1], v0, v[3:4]
	v_sub_nc_u32_e32 v1, 29, v2
	v_and_b32_e32 v0, 7, v0
; %bb.287:                              ;   in Loop: Header=BB287_15 Depth=1
	s_or_b32 exec_lo, exec_lo, s23
	v_mov_b32_e32 v2, 8
	v_lshl_add_u32 v1, v1, 10, 0x2000
	v_lshlrev_b32_e32 v0, 23, v0
	v_lshlrev_b32_sdwa v2, v2, v3 dst_sel:DWORD dst_unused:UNUSED_PAD src0_sel:DWORD src1_sel:WORD_0
	v_and_or_b32 v1, 0x8000, v2, v1
	v_lshl_or_b32 v0, v1, 16, v0
	buffer_store_dword v0, off, s[0:3], s32 offset:316 ; 4-byte Folded Spill
.LBB287_288:                            ;   in Loop: Header=BB287_15 Depth=1
	s_or_b32 exec_lo, exec_lo, s22
.LBB287_289:                            ;   in Loop: Header=BB287_15 Depth=1
	s_or_b32 exec_lo, exec_lo, s19
.LBB287_290:                            ;   in Loop: Header=BB287_15 Depth=1
	s_or_b32 exec_lo, exec_lo, s17
	v_lshrrev_b32_e32 v3, 16, v27
	v_cmp_ne_u16_sdwa s5, v3, v4 src0_sel:BYTE_0 src1_sel:DWORD
	s_and_saveexec_b32 s17, s5
	s_cbranch_execz .LBB287_298
; %bb.291:                              ;   in Loop: Header=BB287_15 Depth=1
	v_cmp_ne_u16_sdwa s5, v3, v64 src0_sel:BYTE_0 src1_sel:DWORD
	v_mov_b32_e32 v0, 0x8000
	buffer_store_dword v0, off, s[0:3], s32 offset:320 ; 4-byte Folded Spill
	s_and_saveexec_b32 s19, s5
	s_cbranch_execz .LBB287_297
; %bb.292:                              ;   in Loop: Header=BB287_15 Depth=1
	v_bfe_u32 v2, v27, 16, 7
	v_mov_b32_e32 v0, 0x7c01
	s_mov_b32 s22, exec_lo
	buffer_store_dword v0, off, s[0:3], s32 offset:320 ; 4-byte Folded Spill
	v_cmpx_ne_u32_e32 0x7f, v2
	s_cbranch_execz .LBB287_296
; %bb.293:                              ;   in Loop: Header=BB287_15 Depth=1
	v_and_b32_e32 v0, 7, v3
	v_lshrrev_b32_e32 v1, 3, v2
	s_mov_b32 s23, exec_lo
	v_cmpx_gt_u32_e32 8, v2
; %bb.294:                              ;   in Loop: Header=BB287_15 Depth=1
	v_ffbh_u32_e32 v0, v0
	v_min_u32_e32 v2, 32, v0
	v_subrev_nc_u32_e32 v0, 28, v2
	v_lshlrev_b64 v[0:1], v0, v[3:4]
	v_sub_nc_u32_e32 v1, 29, v2
	v_and_b32_e32 v0, 7, v0
; %bb.295:                              ;   in Loop: Header=BB287_15 Depth=1
	s_or_b32 exec_lo, exec_lo, s23
	v_lshlrev_b32_e32 v2, 8, v3
	v_lshl_add_u32 v1, v1, 10, 0x2000
	v_lshlrev_b32_e32 v0, 7, v0
	v_and_b32_e32 v2, 0x8000, v2
	v_and_b32_e32 v1, 0xfc00, v1
	v_or3_b32 v0, v2, v1, v0
	buffer_store_dword v0, off, s[0:3], s32 offset:320 ; 4-byte Folded Spill
.LBB287_296:                            ;   in Loop: Header=BB287_15 Depth=1
	s_or_b32 exec_lo, exec_lo, s22
.LBB287_297:                            ;   in Loop: Header=BB287_15 Depth=1
	s_or_b32 exec_lo, exec_lo, s19
.LBB287_298:                            ;   in Loop: Header=BB287_15 Depth=1
	s_or_b32 exec_lo, exec_lo, s17
	v_mov_b32_e32 v0, 0
	s_mov_b32 s17, exec_lo
	buffer_store_dword v0, off, s[0:3], s32 offset:324 ; 4-byte Folded Spill
	v_mov_b32_e32 v0, 0
	buffer_store_dword v0, off, s[0:3], s32 offset:328 ; 4-byte Folded Spill
	v_cmpx_lt_u32_e32 0xffffff, v27
	s_cbranch_execz .LBB287_306
; %bb.299:                              ;   in Loop: Header=BB287_15 Depth=1
	v_lshrrev_b32_e32 v3, 24, v27
	v_bfrev_b32_e32 v0, 1
	s_mov_b32 s19, exec_lo
	buffer_store_dword v0, off, s[0:3], s32 offset:328 ; 4-byte Folded Spill
	v_cmpx_ne_u32_e32 0x80, v3
	s_cbranch_execz .LBB287_305
; %bb.300:                              ;   in Loop: Header=BB287_15 Depth=1
	v_and_b32_e32 v2, 0x7f, v3
	v_mov_b32_e32 v0, 0x7c010000
	s_mov_b32 s22, exec_lo
	buffer_store_dword v0, off, s[0:3], s32 offset:328 ; 4-byte Folded Spill
	v_cmpx_ne_u32_e32 0x7f, v2
	s_cbranch_execz .LBB287_304
; %bb.301:                              ;   in Loop: Header=BB287_15 Depth=1
	v_and_b32_e32 v0, 7, v3
	v_lshrrev_b32_e32 v1, 3, v2
	s_mov_b32 s23, exec_lo
	v_cmpx_gt_u32_e32 8, v2
; %bb.302:                              ;   in Loop: Header=BB287_15 Depth=1
	v_ffbh_u32_e32 v0, v0
	v_min_u32_e32 v2, 32, v0
	v_subrev_nc_u32_e32 v0, 28, v2
	v_lshlrev_b64 v[0:1], v0, v[3:4]
	v_sub_nc_u32_e32 v1, 29, v2
	v_and_b32_e32 v0, 7, v0
; %bb.303:                              ;   in Loop: Header=BB287_15 Depth=1
	s_or_b32 exec_lo, exec_lo, s23
	v_lshlrev_b32_e32 v2, 8, v3
	v_lshl_add_u32 v1, v1, 10, 0x2000
	v_lshlrev_b32_e32 v0, 23, v0
	v_and_or_b32 v1, 0x8000, v2, v1
	v_lshl_or_b32 v0, v1, 16, v0
	buffer_store_dword v0, off, s[0:3], s32 offset:328 ; 4-byte Folded Spill
.LBB287_304:                            ;   in Loop: Header=BB287_15 Depth=1
	s_or_b32 exec_lo, exec_lo, s22
.LBB287_305:                            ;   in Loop: Header=BB287_15 Depth=1
	s_or_b32 exec_lo, exec_lo, s19
.LBB287_306:                            ;   in Loop: Header=BB287_15 Depth=1
	s_or_b32 exec_lo, exec_lo, s17
	v_mov_b32_e32 v3, v28
	v_cmp_ne_u16_sdwa s5, v28, v4 src0_sel:BYTE_0 src1_sel:DWORD
	s_and_saveexec_b32 s17, s5
	s_cbranch_execz .LBB287_314
; %bb.307:                              ;   in Loop: Header=BB287_15 Depth=1
	v_cmp_ne_u16_sdwa s5, v28, v64 src0_sel:BYTE_0 src1_sel:DWORD
	v_mov_b32_e32 v0, 0x8000
	buffer_store_dword v0, off, s[0:3], s32 offset:324 ; 4-byte Folded Spill
	s_and_saveexec_b32 s19, s5
	s_cbranch_execz .LBB287_313
; %bb.308:                              ;   in Loop: Header=BB287_15 Depth=1
	v_and_b32_e32 v2, 0x7f, v28
	v_mov_b32_e32 v0, 0x7c01
	s_mov_b32 s22, exec_lo
	buffer_store_dword v0, off, s[0:3], s32 offset:324 ; 4-byte Folded Spill
	v_cmpx_ne_u32_e32 0x7f, v2
	s_cbranch_execz .LBB287_312
; %bb.309:                              ;   in Loop: Header=BB287_15 Depth=1
	v_and_b32_e32 v0, 7, v28
	v_lshrrev_b32_e32 v1, 3, v2
	s_mov_b32 s23, exec_lo
	v_cmpx_gt_u32_e32 8, v2
; %bb.310:                              ;   in Loop: Header=BB287_15 Depth=1
	v_ffbh_u32_e32 v0, v0
	v_min_u32_e32 v2, 32, v0
	v_subrev_nc_u32_e32 v0, 28, v2
	v_lshlrev_b64 v[0:1], v0, v[3:4]
	v_sub_nc_u32_e32 v1, 29, v2
	v_and_b32_e32 v0, 7, v0
; %bb.311:                              ;   in Loop: Header=BB287_15 Depth=1
	s_or_b32 exec_lo, exec_lo, s23
	v_lshlrev_b32_e32 v2, 8, v28
	v_lshl_add_u32 v1, v1, 10, 0x2000
	v_lshlrev_b32_e32 v0, 7, v0
	v_and_b32_e32 v2, 0x8000, v2
	v_and_b32_e32 v1, 0xfc00, v1
	v_or3_b32 v0, v2, v1, v0
	buffer_store_dword v0, off, s[0:3], s32 offset:324 ; 4-byte Folded Spill
.LBB287_312:                            ;   in Loop: Header=BB287_15 Depth=1
	s_or_b32 exec_lo, exec_lo, s22
.LBB287_313:                            ;   in Loop: Header=BB287_15 Depth=1
	s_or_b32 exec_lo, exec_lo, s19
.LBB287_314:                            ;   in Loop: Header=BB287_15 Depth=1
	s_or_b32 exec_lo, exec_lo, s17
	v_mov_b32_e32 v0, 0
	v_lshrrev_b16 v3, 8, v3
	s_mov_b32 s17, exec_lo
	buffer_store_dword v0, off, s[0:3], s32 offset:332 ; 4-byte Folded Spill
	v_mov_b32_e32 v0, 0
	buffer_store_dword v0, off, s[0:3], s32 offset:336 ; 4-byte Folded Spill
	v_cmpx_ne_u16_e32 0, v3
	s_cbranch_execz .LBB287_322
; %bb.315:                              ;   in Loop: Header=BB287_15 Depth=1
	v_bfrev_b32_e32 v0, 1
	s_mov_b32 s19, exec_lo
	buffer_store_dword v0, off, s[0:3], s32 offset:336 ; 4-byte Folded Spill
	v_cmpx_ne_u16_e32 0x80, v3
	s_cbranch_execz .LBB287_321
; %bb.316:                              ;   in Loop: Header=BB287_15 Depth=1
	v_mov_b32_e32 v0, 0x7f
	s_mov_b32 s22, exec_lo
	v_and_b32_sdwa v2, v3, v0 dst_sel:DWORD dst_unused:UNUSED_PAD src0_sel:WORD_0 src1_sel:DWORD
	v_mov_b32_e32 v0, 0x7c010000
	buffer_store_dword v0, off, s[0:3], s32 offset:336 ; 4-byte Folded Spill
	v_cmpx_ne_u32_e32 0x7f, v2
	s_cbranch_execz .LBB287_320
; %bb.317:                              ;   in Loop: Header=BB287_15 Depth=1
	v_mov_b32_e32 v0, 7
	v_lshrrev_b32_e32 v1, 3, v2
	s_mov_b32 s23, exec_lo
	v_and_b32_sdwa v0, v3, v0 dst_sel:DWORD dst_unused:UNUSED_PAD src0_sel:WORD_0 src1_sel:DWORD
	v_cmpx_gt_u32_e32 8, v2
; %bb.318:                              ;   in Loop: Header=BB287_15 Depth=1
	v_ffbh_u32_e32 v0, v0
	v_min_u32_e32 v2, 32, v0
	v_subrev_nc_u32_e32 v0, 28, v2
	v_lshlrev_b64 v[0:1], v0, v[3:4]
	v_sub_nc_u32_e32 v1, 29, v2
	v_and_b32_e32 v0, 7, v0
; %bb.319:                              ;   in Loop: Header=BB287_15 Depth=1
	s_or_b32 exec_lo, exec_lo, s23
	v_mov_b32_e32 v2, 8
	v_lshl_add_u32 v1, v1, 10, 0x2000
	v_lshlrev_b32_e32 v0, 23, v0
	v_lshlrev_b32_sdwa v2, v2, v3 dst_sel:DWORD dst_unused:UNUSED_PAD src0_sel:DWORD src1_sel:WORD_0
	v_and_or_b32 v1, 0x8000, v2, v1
	v_lshl_or_b32 v0, v1, 16, v0
	buffer_store_dword v0, off, s[0:3], s32 offset:336 ; 4-byte Folded Spill
.LBB287_320:                            ;   in Loop: Header=BB287_15 Depth=1
	s_or_b32 exec_lo, exec_lo, s22
.LBB287_321:                            ;   in Loop: Header=BB287_15 Depth=1
	s_or_b32 exec_lo, exec_lo, s19
.LBB287_322:                            ;   in Loop: Header=BB287_15 Depth=1
	s_or_b32 exec_lo, exec_lo, s17
	v_lshrrev_b32_e32 v3, 16, v28
	v_cmp_ne_u16_sdwa s5, v3, v4 src0_sel:BYTE_0 src1_sel:DWORD
	s_and_saveexec_b32 s17, s5
	s_cbranch_execz .LBB287_330
; %bb.323:                              ;   in Loop: Header=BB287_15 Depth=1
	v_cmp_ne_u16_sdwa s5, v3, v64 src0_sel:BYTE_0 src1_sel:DWORD
	v_mov_b32_e32 v0, 0x8000
	buffer_store_dword v0, off, s[0:3], s32 offset:332 ; 4-byte Folded Spill
	s_and_saveexec_b32 s19, s5
	s_cbranch_execz .LBB287_329
; %bb.324:                              ;   in Loop: Header=BB287_15 Depth=1
	v_bfe_u32 v2, v28, 16, 7
	v_mov_b32_e32 v0, 0x7c01
	s_mov_b32 s22, exec_lo
	buffer_store_dword v0, off, s[0:3], s32 offset:332 ; 4-byte Folded Spill
	v_cmpx_ne_u32_e32 0x7f, v2
	s_cbranch_execz .LBB287_328
; %bb.325:                              ;   in Loop: Header=BB287_15 Depth=1
	v_and_b32_e32 v0, 7, v3
	v_lshrrev_b32_e32 v1, 3, v2
	s_mov_b32 s23, exec_lo
	v_cmpx_gt_u32_e32 8, v2
; %bb.326:                              ;   in Loop: Header=BB287_15 Depth=1
	v_ffbh_u32_e32 v0, v0
	v_min_u32_e32 v2, 32, v0
	v_subrev_nc_u32_e32 v0, 28, v2
	v_lshlrev_b64 v[0:1], v0, v[3:4]
	v_sub_nc_u32_e32 v1, 29, v2
	v_and_b32_e32 v0, 7, v0
; %bb.327:                              ;   in Loop: Header=BB287_15 Depth=1
	s_or_b32 exec_lo, exec_lo, s23
	v_lshlrev_b32_e32 v2, 8, v3
	v_lshl_add_u32 v1, v1, 10, 0x2000
	v_lshlrev_b32_e32 v0, 7, v0
	v_and_b32_e32 v2, 0x8000, v2
	v_and_b32_e32 v1, 0xfc00, v1
	v_or3_b32 v0, v2, v1, v0
	buffer_store_dword v0, off, s[0:3], s32 offset:332 ; 4-byte Folded Spill
.LBB287_328:                            ;   in Loop: Header=BB287_15 Depth=1
	s_or_b32 exec_lo, exec_lo, s22
.LBB287_329:                            ;   in Loop: Header=BB287_15 Depth=1
	s_or_b32 exec_lo, exec_lo, s19
.LBB287_330:                            ;   in Loop: Header=BB287_15 Depth=1
	s_or_b32 exec_lo, exec_lo, s17
	v_mov_b32_e32 v0, 0
	s_mov_b32 s17, exec_lo
	buffer_store_dword v0, off, s[0:3], s32 offset:340 ; 4-byte Folded Spill
	v_mov_b32_e32 v0, 0
	buffer_store_dword v0, off, s[0:3], s32 offset:756 ; 4-byte Folded Spill
	v_cmpx_lt_u64_e64 s[8:9], v[27:28]
	s_cbranch_execz .LBB287_338
; %bb.331:                              ;   in Loop: Header=BB287_15 Depth=1
	v_lshrrev_b32_e32 v3, 24, v28
	v_bfrev_b32_e32 v0, 1
	s_mov_b32 s19, exec_lo
	v_cmpx_ne_u32_e32 0x80, v3
	s_cbranch_execz .LBB287_337
; %bb.332:                              ;   in Loop: Header=BB287_15 Depth=1
	v_and_b32_e32 v2, 0x7f, v3
	v_mov_b32_e32 v0, 0x7c010000
	s_mov_b32 s22, exec_lo
	v_cmpx_ne_u32_e32 0x7f, v2
	s_cbranch_execz .LBB287_336
; %bb.333:                              ;   in Loop: Header=BB287_15 Depth=1
	v_and_b32_e32 v0, 7, v3
	v_lshrrev_b32_e32 v1, 3, v2
	s_mov_b32 s23, exec_lo
	v_cmpx_gt_u32_e32 8, v2
; %bb.334:                              ;   in Loop: Header=BB287_15 Depth=1
	v_ffbh_u32_e32 v0, v0
	v_min_u32_e32 v2, 32, v0
	v_subrev_nc_u32_e32 v0, 28, v2
	v_lshlrev_b64 v[0:1], v0, v[3:4]
	v_sub_nc_u32_e32 v1, 29, v2
	v_and_b32_e32 v0, 7, v0
; %bb.335:                              ;   in Loop: Header=BB287_15 Depth=1
	s_or_b32 exec_lo, exec_lo, s23
	v_lshlrev_b32_e32 v2, 8, v3
	v_lshl_add_u32 v1, v1, 10, 0x2000
	v_lshlrev_b32_e32 v0, 23, v0
	v_and_or_b32 v1, 0x8000, v2, v1
	v_lshl_or_b32 v0, v1, 16, v0
.LBB287_336:                            ;   in Loop: Header=BB287_15 Depth=1
	s_or_b32 exec_lo, exec_lo, s22
.LBB287_337:                            ;   in Loop: Header=BB287_15 Depth=1
	s_or_b32 exec_lo, exec_lo, s19
	buffer_store_dword v0, off, s[0:3], s32 offset:756 ; 4-byte Folded Spill
.LBB287_338:                            ;   in Loop: Header=BB287_15 Depth=1
	s_or_b32 exec_lo, exec_lo, s17
	flat_load_dwordx2 v[27:28], v[24:25] offset:1032
	s_waitcnt vmcnt(0) lgkmcnt(0)
	v_cmp_ne_u16_sdwa s5, v27, v4 src0_sel:BYTE_0 src1_sel:DWORD
	s_and_saveexec_b32 s17, s5
	s_cbranch_execz .LBB287_346
; %bb.339:                              ;   in Loop: Header=BB287_15 Depth=1
	v_cmp_ne_u16_sdwa s5, v27, v64 src0_sel:BYTE_0 src1_sel:DWORD
	v_mov_b32_e32 v0, 0x8000
	buffer_store_dword v0, off, s[0:3], s32 offset:340 ; 4-byte Folded Spill
	s_and_saveexec_b32 s19, s5
	s_cbranch_execz .LBB287_345
; %bb.340:                              ;   in Loop: Header=BB287_15 Depth=1
	v_and_b32_e32 v2, 0x7f, v27
	v_mov_b32_e32 v0, 0x7c01
	s_mov_b32 s22, exec_lo
	buffer_store_dword v0, off, s[0:3], s32 offset:340 ; 4-byte Folded Spill
	v_cmpx_ne_u32_e32 0x7f, v2
	s_cbranch_execz .LBB287_344
; %bb.341:                              ;   in Loop: Header=BB287_15 Depth=1
	v_and_b32_e32 v0, 7, v27
	v_lshrrev_b32_e32 v1, 3, v2
	s_mov_b32 s23, exec_lo
	v_cmpx_gt_u32_e32 8, v2
; %bb.342:                              ;   in Loop: Header=BB287_15 Depth=1
	v_ffbh_u32_e32 v0, v0
	v_min_u32_e32 v2, 32, v0
	v_subrev_nc_u32_e32 v0, 28, v2
	v_lshlrev_b64 v[0:1], v0, v[27:28]
	v_sub_nc_u32_e32 v1, 29, v2
	v_and_b32_e32 v0, 7, v0
; %bb.343:                              ;   in Loop: Header=BB287_15 Depth=1
	s_or_b32 exec_lo, exec_lo, s23
	v_lshlrev_b32_e32 v2, 8, v27
	v_lshl_add_u32 v1, v1, 10, 0x2000
	v_lshlrev_b32_e32 v0, 7, v0
	v_and_b32_e32 v2, 0x8000, v2
	v_and_b32_e32 v1, 0xfc00, v1
	v_or3_b32 v0, v2, v1, v0
	buffer_store_dword v0, off, s[0:3], s32 offset:340 ; 4-byte Folded Spill
.LBB287_344:                            ;   in Loop: Header=BB287_15 Depth=1
	s_or_b32 exec_lo, exec_lo, s22
.LBB287_345:                            ;   in Loop: Header=BB287_15 Depth=1
	s_or_b32 exec_lo, exec_lo, s19
.LBB287_346:                            ;   in Loop: Header=BB287_15 Depth=1
	s_or_b32 exec_lo, exec_lo, s17
	v_mov_b32_e32 v0, 0
	v_lshrrev_b16 v3, 8, v27
	s_mov_b32 s17, exec_lo
	buffer_store_dword v0, off, s[0:3], s32 offset:348 ; 4-byte Folded Spill
	v_mov_b32_e32 v0, 0
	buffer_store_dword v0, off, s[0:3], s32 offset:344 ; 4-byte Folded Spill
	v_cmpx_ne_u16_e32 0, v3
	s_cbranch_execz .LBB287_354
; %bb.347:                              ;   in Loop: Header=BB287_15 Depth=1
	v_bfrev_b32_e32 v0, 1
	s_mov_b32 s19, exec_lo
	buffer_store_dword v0, off, s[0:3], s32 offset:344 ; 4-byte Folded Spill
	v_cmpx_ne_u16_e32 0x80, v3
	s_cbranch_execz .LBB287_353
; %bb.348:                              ;   in Loop: Header=BB287_15 Depth=1
	v_mov_b32_e32 v0, 0x7f
	s_mov_b32 s22, exec_lo
	v_and_b32_sdwa v2, v3, v0 dst_sel:DWORD dst_unused:UNUSED_PAD src0_sel:WORD_0 src1_sel:DWORD
	v_mov_b32_e32 v0, 0x7c010000
	buffer_store_dword v0, off, s[0:3], s32 offset:344 ; 4-byte Folded Spill
	v_cmpx_ne_u32_e32 0x7f, v2
	s_cbranch_execz .LBB287_352
; %bb.349:                              ;   in Loop: Header=BB287_15 Depth=1
	v_mov_b32_e32 v0, 7
	v_lshrrev_b32_e32 v1, 3, v2
	s_mov_b32 s23, exec_lo
	v_and_b32_sdwa v0, v3, v0 dst_sel:DWORD dst_unused:UNUSED_PAD src0_sel:WORD_0 src1_sel:DWORD
	v_cmpx_gt_u32_e32 8, v2
; %bb.350:                              ;   in Loop: Header=BB287_15 Depth=1
	v_ffbh_u32_e32 v0, v0
	v_min_u32_e32 v2, 32, v0
	v_subrev_nc_u32_e32 v0, 28, v2
	v_lshlrev_b64 v[0:1], v0, v[3:4]
	v_sub_nc_u32_e32 v1, 29, v2
	v_and_b32_e32 v0, 7, v0
; %bb.351:                              ;   in Loop: Header=BB287_15 Depth=1
	s_or_b32 exec_lo, exec_lo, s23
	v_mov_b32_e32 v2, 8
	v_lshl_add_u32 v1, v1, 10, 0x2000
	v_lshlrev_b32_e32 v0, 23, v0
	v_lshlrev_b32_sdwa v2, v2, v3 dst_sel:DWORD dst_unused:UNUSED_PAD src0_sel:DWORD src1_sel:WORD_0
	v_and_or_b32 v1, 0x8000, v2, v1
	v_lshl_or_b32 v0, v1, 16, v0
	buffer_store_dword v0, off, s[0:3], s32 offset:344 ; 4-byte Folded Spill
.LBB287_352:                            ;   in Loop: Header=BB287_15 Depth=1
	s_or_b32 exec_lo, exec_lo, s22
.LBB287_353:                            ;   in Loop: Header=BB287_15 Depth=1
	s_or_b32 exec_lo, exec_lo, s19
.LBB287_354:                            ;   in Loop: Header=BB287_15 Depth=1
	s_or_b32 exec_lo, exec_lo, s17
	v_lshrrev_b32_e32 v3, 16, v27
	v_cmp_ne_u16_sdwa s5, v3, v4 src0_sel:BYTE_0 src1_sel:DWORD
	s_and_saveexec_b32 s17, s5
	s_cbranch_execz .LBB287_362
; %bb.355:                              ;   in Loop: Header=BB287_15 Depth=1
	v_cmp_ne_u16_sdwa s5, v3, v64 src0_sel:BYTE_0 src1_sel:DWORD
	v_mov_b32_e32 v0, 0x8000
	buffer_store_dword v0, off, s[0:3], s32 offset:348 ; 4-byte Folded Spill
	s_and_saveexec_b32 s19, s5
	s_cbranch_execz .LBB287_361
; %bb.356:                              ;   in Loop: Header=BB287_15 Depth=1
	v_bfe_u32 v2, v27, 16, 7
	v_mov_b32_e32 v0, 0x7c01
	s_mov_b32 s22, exec_lo
	buffer_store_dword v0, off, s[0:3], s32 offset:348 ; 4-byte Folded Spill
	v_cmpx_ne_u32_e32 0x7f, v2
	s_cbranch_execz .LBB287_360
; %bb.357:                              ;   in Loop: Header=BB287_15 Depth=1
	v_and_b32_e32 v0, 7, v3
	v_lshrrev_b32_e32 v1, 3, v2
	s_mov_b32 s23, exec_lo
	v_cmpx_gt_u32_e32 8, v2
; %bb.358:                              ;   in Loop: Header=BB287_15 Depth=1
	v_ffbh_u32_e32 v0, v0
	v_min_u32_e32 v2, 32, v0
	v_subrev_nc_u32_e32 v0, 28, v2
	v_lshlrev_b64 v[0:1], v0, v[3:4]
	v_sub_nc_u32_e32 v1, 29, v2
	v_and_b32_e32 v0, 7, v0
; %bb.359:                              ;   in Loop: Header=BB287_15 Depth=1
	s_or_b32 exec_lo, exec_lo, s23
	v_lshlrev_b32_e32 v2, 8, v3
	v_lshl_add_u32 v1, v1, 10, 0x2000
	v_lshlrev_b32_e32 v0, 7, v0
	v_and_b32_e32 v2, 0x8000, v2
	v_and_b32_e32 v1, 0xfc00, v1
	v_or3_b32 v0, v2, v1, v0
	buffer_store_dword v0, off, s[0:3], s32 offset:348 ; 4-byte Folded Spill
.LBB287_360:                            ;   in Loop: Header=BB287_15 Depth=1
	s_or_b32 exec_lo, exec_lo, s22
.LBB287_361:                            ;   in Loop: Header=BB287_15 Depth=1
	s_or_b32 exec_lo, exec_lo, s19
.LBB287_362:                            ;   in Loop: Header=BB287_15 Depth=1
	s_or_b32 exec_lo, exec_lo, s17
	v_mov_b32_e32 v0, 0
	s_mov_b32 s17, exec_lo
	buffer_store_dword v0, off, s[0:3], s32 offset:352 ; 4-byte Folded Spill
	v_mov_b32_e32 v0, 0
	buffer_store_dword v0, off, s[0:3], s32 offset:356 ; 4-byte Folded Spill
	v_cmpx_lt_u32_e32 0xffffff, v27
	s_cbranch_execz .LBB287_370
; %bb.363:                              ;   in Loop: Header=BB287_15 Depth=1
	v_lshrrev_b32_e32 v3, 24, v27
	v_bfrev_b32_e32 v0, 1
	s_mov_b32 s19, exec_lo
	buffer_store_dword v0, off, s[0:3], s32 offset:356 ; 4-byte Folded Spill
	v_cmpx_ne_u32_e32 0x80, v3
	s_cbranch_execz .LBB287_369
; %bb.364:                              ;   in Loop: Header=BB287_15 Depth=1
	v_and_b32_e32 v2, 0x7f, v3
	v_mov_b32_e32 v0, 0x7c010000
	s_mov_b32 s22, exec_lo
	buffer_store_dword v0, off, s[0:3], s32 offset:356 ; 4-byte Folded Spill
	v_cmpx_ne_u32_e32 0x7f, v2
	s_cbranch_execz .LBB287_368
; %bb.365:                              ;   in Loop: Header=BB287_15 Depth=1
	v_and_b32_e32 v0, 7, v3
	v_lshrrev_b32_e32 v1, 3, v2
	s_mov_b32 s23, exec_lo
	v_cmpx_gt_u32_e32 8, v2
; %bb.366:                              ;   in Loop: Header=BB287_15 Depth=1
	v_ffbh_u32_e32 v0, v0
	v_min_u32_e32 v2, 32, v0
	v_subrev_nc_u32_e32 v0, 28, v2
	v_lshlrev_b64 v[0:1], v0, v[3:4]
	v_sub_nc_u32_e32 v1, 29, v2
	v_and_b32_e32 v0, 7, v0
; %bb.367:                              ;   in Loop: Header=BB287_15 Depth=1
	s_or_b32 exec_lo, exec_lo, s23
	v_lshlrev_b32_e32 v2, 8, v3
	v_lshl_add_u32 v1, v1, 10, 0x2000
	v_lshlrev_b32_e32 v0, 23, v0
	v_and_or_b32 v1, 0x8000, v2, v1
	v_lshl_or_b32 v0, v1, 16, v0
	buffer_store_dword v0, off, s[0:3], s32 offset:356 ; 4-byte Folded Spill
.LBB287_368:                            ;   in Loop: Header=BB287_15 Depth=1
	s_or_b32 exec_lo, exec_lo, s22
.LBB287_369:                            ;   in Loop: Header=BB287_15 Depth=1
	s_or_b32 exec_lo, exec_lo, s19
.LBB287_370:                            ;   in Loop: Header=BB287_15 Depth=1
	s_or_b32 exec_lo, exec_lo, s17
	v_mov_b32_e32 v3, v28
	v_cmp_ne_u16_sdwa s5, v28, v4 src0_sel:BYTE_0 src1_sel:DWORD
	s_and_saveexec_b32 s17, s5
	s_cbranch_execz .LBB287_378
; %bb.371:                              ;   in Loop: Header=BB287_15 Depth=1
	v_cmp_ne_u16_sdwa s5, v28, v64 src0_sel:BYTE_0 src1_sel:DWORD
	v_mov_b32_e32 v0, 0x8000
	buffer_store_dword v0, off, s[0:3], s32 offset:352 ; 4-byte Folded Spill
	s_and_saveexec_b32 s19, s5
	s_cbranch_execz .LBB287_377
; %bb.372:                              ;   in Loop: Header=BB287_15 Depth=1
	v_and_b32_e32 v2, 0x7f, v28
	v_mov_b32_e32 v0, 0x7c01
	s_mov_b32 s22, exec_lo
	buffer_store_dword v0, off, s[0:3], s32 offset:352 ; 4-byte Folded Spill
	v_cmpx_ne_u32_e32 0x7f, v2
	s_cbranch_execz .LBB287_376
; %bb.373:                              ;   in Loop: Header=BB287_15 Depth=1
	v_and_b32_e32 v0, 7, v28
	v_lshrrev_b32_e32 v1, 3, v2
	s_mov_b32 s23, exec_lo
	v_cmpx_gt_u32_e32 8, v2
; %bb.374:                              ;   in Loop: Header=BB287_15 Depth=1
	v_ffbh_u32_e32 v0, v0
	v_min_u32_e32 v2, 32, v0
	v_subrev_nc_u32_e32 v0, 28, v2
	v_lshlrev_b64 v[0:1], v0, v[3:4]
	v_sub_nc_u32_e32 v1, 29, v2
	v_and_b32_e32 v0, 7, v0
; %bb.375:                              ;   in Loop: Header=BB287_15 Depth=1
	s_or_b32 exec_lo, exec_lo, s23
	v_lshlrev_b32_e32 v2, 8, v28
	v_lshl_add_u32 v1, v1, 10, 0x2000
	v_lshlrev_b32_e32 v0, 7, v0
	v_and_b32_e32 v2, 0x8000, v2
	v_and_b32_e32 v1, 0xfc00, v1
	v_or3_b32 v0, v2, v1, v0
	buffer_store_dword v0, off, s[0:3], s32 offset:352 ; 4-byte Folded Spill
.LBB287_376:                            ;   in Loop: Header=BB287_15 Depth=1
	s_or_b32 exec_lo, exec_lo, s22
.LBB287_377:                            ;   in Loop: Header=BB287_15 Depth=1
	s_or_b32 exec_lo, exec_lo, s19
.LBB287_378:                            ;   in Loop: Header=BB287_15 Depth=1
	s_or_b32 exec_lo, exec_lo, s17
	v_mov_b32_e32 v0, 0
	v_lshrrev_b16 v3, 8, v3
	s_mov_b32 s17, exec_lo
	buffer_store_dword v0, off, s[0:3], s32 offset:360 ; 4-byte Folded Spill
	v_mov_b32_e32 v0, 0
	buffer_store_dword v0, off, s[0:3], s32 offset:364 ; 4-byte Folded Spill
	v_cmpx_ne_u16_e32 0, v3
	s_cbranch_execz .LBB287_386
; %bb.379:                              ;   in Loop: Header=BB287_15 Depth=1
	v_bfrev_b32_e32 v0, 1
	s_mov_b32 s19, exec_lo
	buffer_store_dword v0, off, s[0:3], s32 offset:364 ; 4-byte Folded Spill
	v_cmpx_ne_u16_e32 0x80, v3
	s_cbranch_execz .LBB287_385
; %bb.380:                              ;   in Loop: Header=BB287_15 Depth=1
	v_mov_b32_e32 v0, 0x7f
	s_mov_b32 s22, exec_lo
	v_and_b32_sdwa v2, v3, v0 dst_sel:DWORD dst_unused:UNUSED_PAD src0_sel:WORD_0 src1_sel:DWORD
	v_mov_b32_e32 v0, 0x7c010000
	buffer_store_dword v0, off, s[0:3], s32 offset:364 ; 4-byte Folded Spill
	v_cmpx_ne_u32_e32 0x7f, v2
	s_cbranch_execz .LBB287_384
; %bb.381:                              ;   in Loop: Header=BB287_15 Depth=1
	v_mov_b32_e32 v0, 7
	v_lshrrev_b32_e32 v1, 3, v2
	s_mov_b32 s23, exec_lo
	v_and_b32_sdwa v0, v3, v0 dst_sel:DWORD dst_unused:UNUSED_PAD src0_sel:WORD_0 src1_sel:DWORD
	v_cmpx_gt_u32_e32 8, v2
; %bb.382:                              ;   in Loop: Header=BB287_15 Depth=1
	v_ffbh_u32_e32 v0, v0
	v_min_u32_e32 v2, 32, v0
	v_subrev_nc_u32_e32 v0, 28, v2
	v_lshlrev_b64 v[0:1], v0, v[3:4]
	v_sub_nc_u32_e32 v1, 29, v2
	v_and_b32_e32 v0, 7, v0
; %bb.383:                              ;   in Loop: Header=BB287_15 Depth=1
	s_or_b32 exec_lo, exec_lo, s23
	v_mov_b32_e32 v2, 8
	v_lshl_add_u32 v1, v1, 10, 0x2000
	v_lshlrev_b32_e32 v0, 23, v0
	v_lshlrev_b32_sdwa v2, v2, v3 dst_sel:DWORD dst_unused:UNUSED_PAD src0_sel:DWORD src1_sel:WORD_0
	v_and_or_b32 v1, 0x8000, v2, v1
	v_lshl_or_b32 v0, v1, 16, v0
	buffer_store_dword v0, off, s[0:3], s32 offset:364 ; 4-byte Folded Spill
.LBB287_384:                            ;   in Loop: Header=BB287_15 Depth=1
	s_or_b32 exec_lo, exec_lo, s22
.LBB287_385:                            ;   in Loop: Header=BB287_15 Depth=1
	s_or_b32 exec_lo, exec_lo, s19
.LBB287_386:                            ;   in Loop: Header=BB287_15 Depth=1
	s_or_b32 exec_lo, exec_lo, s17
	v_lshrrev_b32_e32 v3, 16, v28
	v_cmp_ne_u16_sdwa s5, v3, v4 src0_sel:BYTE_0 src1_sel:DWORD
	s_and_saveexec_b32 s17, s5
	s_cbranch_execz .LBB287_394
; %bb.387:                              ;   in Loop: Header=BB287_15 Depth=1
	v_cmp_ne_u16_sdwa s5, v3, v64 src0_sel:BYTE_0 src1_sel:DWORD
	v_mov_b32_e32 v0, 0x8000
	buffer_store_dword v0, off, s[0:3], s32 offset:360 ; 4-byte Folded Spill
	s_and_saveexec_b32 s19, s5
	s_cbranch_execz .LBB287_393
; %bb.388:                              ;   in Loop: Header=BB287_15 Depth=1
	v_bfe_u32 v2, v28, 16, 7
	v_mov_b32_e32 v0, 0x7c01
	s_mov_b32 s22, exec_lo
	buffer_store_dword v0, off, s[0:3], s32 offset:360 ; 4-byte Folded Spill
	v_cmpx_ne_u32_e32 0x7f, v2
	s_cbranch_execz .LBB287_392
; %bb.389:                              ;   in Loop: Header=BB287_15 Depth=1
	v_and_b32_e32 v0, 7, v3
	v_lshrrev_b32_e32 v1, 3, v2
	s_mov_b32 s23, exec_lo
	v_cmpx_gt_u32_e32 8, v2
; %bb.390:                              ;   in Loop: Header=BB287_15 Depth=1
	v_ffbh_u32_e32 v0, v0
	v_min_u32_e32 v2, 32, v0
	v_subrev_nc_u32_e32 v0, 28, v2
	v_lshlrev_b64 v[0:1], v0, v[3:4]
	v_sub_nc_u32_e32 v1, 29, v2
	v_and_b32_e32 v0, 7, v0
; %bb.391:                              ;   in Loop: Header=BB287_15 Depth=1
	s_or_b32 exec_lo, exec_lo, s23
	v_lshlrev_b32_e32 v2, 8, v3
	v_lshl_add_u32 v1, v1, 10, 0x2000
	v_lshlrev_b32_e32 v0, 7, v0
	v_and_b32_e32 v2, 0x8000, v2
	v_and_b32_e32 v1, 0xfc00, v1
	v_or3_b32 v0, v2, v1, v0
	buffer_store_dword v0, off, s[0:3], s32 offset:360 ; 4-byte Folded Spill
.LBB287_392:                            ;   in Loop: Header=BB287_15 Depth=1
	s_or_b32 exec_lo, exec_lo, s22
.LBB287_393:                            ;   in Loop: Header=BB287_15 Depth=1
	s_or_b32 exec_lo, exec_lo, s19
.LBB287_394:                            ;   in Loop: Header=BB287_15 Depth=1
	s_or_b32 exec_lo, exec_lo, s17
	v_mov_b32_e32 v0, 0
	s_mov_b32 s17, exec_lo
	buffer_store_dword v0, off, s[0:3], s32 offset:368 ; 4-byte Folded Spill
	v_mov_b32_e32 v0, 0
	buffer_store_dword v0, off, s[0:3], s32 offset:760 ; 4-byte Folded Spill
	v_cmpx_lt_u64_e64 s[8:9], v[27:28]
	s_cbranch_execz .LBB287_402
; %bb.395:                              ;   in Loop: Header=BB287_15 Depth=1
	v_lshrrev_b32_e32 v3, 24, v28
	v_bfrev_b32_e32 v0, 1
	s_mov_b32 s19, exec_lo
	v_cmpx_ne_u32_e32 0x80, v3
	s_cbranch_execz .LBB287_401
; %bb.396:                              ;   in Loop: Header=BB287_15 Depth=1
	v_and_b32_e32 v2, 0x7f, v3
	v_mov_b32_e32 v0, 0x7c010000
	s_mov_b32 s22, exec_lo
	v_cmpx_ne_u32_e32 0x7f, v2
	s_cbranch_execz .LBB287_400
; %bb.397:                              ;   in Loop: Header=BB287_15 Depth=1
	v_and_b32_e32 v0, 7, v3
	v_lshrrev_b32_e32 v1, 3, v2
	s_mov_b32 s23, exec_lo
	v_cmpx_gt_u32_e32 8, v2
; %bb.398:                              ;   in Loop: Header=BB287_15 Depth=1
	v_ffbh_u32_e32 v0, v0
	v_min_u32_e32 v2, 32, v0
	v_subrev_nc_u32_e32 v0, 28, v2
	v_lshlrev_b64 v[0:1], v0, v[3:4]
	v_sub_nc_u32_e32 v1, 29, v2
	v_and_b32_e32 v0, 7, v0
; %bb.399:                              ;   in Loop: Header=BB287_15 Depth=1
	s_or_b32 exec_lo, exec_lo, s23
	v_lshlrev_b32_e32 v2, 8, v3
	v_lshl_add_u32 v1, v1, 10, 0x2000
	v_lshlrev_b32_e32 v0, 23, v0
	v_and_or_b32 v1, 0x8000, v2, v1
	v_lshl_or_b32 v0, v1, 16, v0
.LBB287_400:                            ;   in Loop: Header=BB287_15 Depth=1
	s_or_b32 exec_lo, exec_lo, s22
.LBB287_401:                            ;   in Loop: Header=BB287_15 Depth=1
	s_or_b32 exec_lo, exec_lo, s19
	buffer_store_dword v0, off, s[0:3], s32 offset:760 ; 4-byte Folded Spill
.LBB287_402:                            ;   in Loop: Header=BB287_15 Depth=1
	s_or_b32 exec_lo, exec_lo, s17
	flat_load_dwordx2 v[27:28], v[24:25] offset:1536
	s_waitcnt vmcnt(0) lgkmcnt(0)
	v_cmp_ne_u16_sdwa s5, v27, v4 src0_sel:BYTE_0 src1_sel:DWORD
	s_and_saveexec_b32 s17, s5
	s_cbranch_execz .LBB287_410
; %bb.403:                              ;   in Loop: Header=BB287_15 Depth=1
	v_cmp_ne_u16_sdwa s5, v27, v64 src0_sel:BYTE_0 src1_sel:DWORD
	v_mov_b32_e32 v0, 0x8000
	buffer_store_dword v0, off, s[0:3], s32 offset:368 ; 4-byte Folded Spill
	s_and_saveexec_b32 s19, s5
	s_cbranch_execz .LBB287_409
; %bb.404:                              ;   in Loop: Header=BB287_15 Depth=1
	v_and_b32_e32 v2, 0x7f, v27
	v_mov_b32_e32 v0, 0x7c01
	s_mov_b32 s22, exec_lo
	buffer_store_dword v0, off, s[0:3], s32 offset:368 ; 4-byte Folded Spill
	v_cmpx_ne_u32_e32 0x7f, v2
	s_cbranch_execz .LBB287_408
; %bb.405:                              ;   in Loop: Header=BB287_15 Depth=1
	v_and_b32_e32 v0, 7, v27
	v_lshrrev_b32_e32 v1, 3, v2
	s_mov_b32 s23, exec_lo
	v_cmpx_gt_u32_e32 8, v2
; %bb.406:                              ;   in Loop: Header=BB287_15 Depth=1
	v_ffbh_u32_e32 v0, v0
	v_min_u32_e32 v2, 32, v0
	v_subrev_nc_u32_e32 v0, 28, v2
	v_lshlrev_b64 v[0:1], v0, v[27:28]
	v_sub_nc_u32_e32 v1, 29, v2
	v_and_b32_e32 v0, 7, v0
; %bb.407:                              ;   in Loop: Header=BB287_15 Depth=1
	s_or_b32 exec_lo, exec_lo, s23
	v_lshlrev_b32_e32 v2, 8, v27
	v_lshl_add_u32 v1, v1, 10, 0x2000
	v_lshlrev_b32_e32 v0, 7, v0
	v_and_b32_e32 v2, 0x8000, v2
	v_and_b32_e32 v1, 0xfc00, v1
	v_or3_b32 v0, v2, v1, v0
	buffer_store_dword v0, off, s[0:3], s32 offset:368 ; 4-byte Folded Spill
.LBB287_408:                            ;   in Loop: Header=BB287_15 Depth=1
	s_or_b32 exec_lo, exec_lo, s22
.LBB287_409:                            ;   in Loop: Header=BB287_15 Depth=1
	s_or_b32 exec_lo, exec_lo, s19
.LBB287_410:                            ;   in Loop: Header=BB287_15 Depth=1
	s_or_b32 exec_lo, exec_lo, s17
	v_mov_b32_e32 v0, 0
	v_lshrrev_b16 v3, 8, v27
	s_mov_b32 s17, exec_lo
	buffer_store_dword v0, off, s[0:3], s32 offset:376 ; 4-byte Folded Spill
	v_mov_b32_e32 v0, 0
	buffer_store_dword v0, off, s[0:3], s32 offset:372 ; 4-byte Folded Spill
	v_cmpx_ne_u16_e32 0, v3
	s_cbranch_execz .LBB287_418
; %bb.411:                              ;   in Loop: Header=BB287_15 Depth=1
	v_bfrev_b32_e32 v0, 1
	s_mov_b32 s19, exec_lo
	buffer_store_dword v0, off, s[0:3], s32 offset:372 ; 4-byte Folded Spill
	v_cmpx_ne_u16_e32 0x80, v3
	s_cbranch_execz .LBB287_417
; %bb.412:                              ;   in Loop: Header=BB287_15 Depth=1
	v_mov_b32_e32 v0, 0x7f
	s_mov_b32 s22, exec_lo
	v_and_b32_sdwa v2, v3, v0 dst_sel:DWORD dst_unused:UNUSED_PAD src0_sel:WORD_0 src1_sel:DWORD
	v_mov_b32_e32 v0, 0x7c010000
	buffer_store_dword v0, off, s[0:3], s32 offset:372 ; 4-byte Folded Spill
	v_cmpx_ne_u32_e32 0x7f, v2
	s_cbranch_execz .LBB287_416
; %bb.413:                              ;   in Loop: Header=BB287_15 Depth=1
	v_mov_b32_e32 v0, 7
	v_lshrrev_b32_e32 v1, 3, v2
	s_mov_b32 s23, exec_lo
	v_and_b32_sdwa v0, v3, v0 dst_sel:DWORD dst_unused:UNUSED_PAD src0_sel:WORD_0 src1_sel:DWORD
	v_cmpx_gt_u32_e32 8, v2
; %bb.414:                              ;   in Loop: Header=BB287_15 Depth=1
	v_ffbh_u32_e32 v0, v0
	v_min_u32_e32 v2, 32, v0
	v_subrev_nc_u32_e32 v0, 28, v2
	v_lshlrev_b64 v[0:1], v0, v[3:4]
	v_sub_nc_u32_e32 v1, 29, v2
	v_and_b32_e32 v0, 7, v0
; %bb.415:                              ;   in Loop: Header=BB287_15 Depth=1
	s_or_b32 exec_lo, exec_lo, s23
	v_mov_b32_e32 v2, 8
	v_lshl_add_u32 v1, v1, 10, 0x2000
	v_lshlrev_b32_e32 v0, 23, v0
	v_lshlrev_b32_sdwa v2, v2, v3 dst_sel:DWORD dst_unused:UNUSED_PAD src0_sel:DWORD src1_sel:WORD_0
	v_and_or_b32 v1, 0x8000, v2, v1
	v_lshl_or_b32 v0, v1, 16, v0
	buffer_store_dword v0, off, s[0:3], s32 offset:372 ; 4-byte Folded Spill
.LBB287_416:                            ;   in Loop: Header=BB287_15 Depth=1
	s_or_b32 exec_lo, exec_lo, s22
.LBB287_417:                            ;   in Loop: Header=BB287_15 Depth=1
	s_or_b32 exec_lo, exec_lo, s19
.LBB287_418:                            ;   in Loop: Header=BB287_15 Depth=1
	s_or_b32 exec_lo, exec_lo, s17
	v_lshrrev_b32_e32 v3, 16, v27
	v_cmp_ne_u16_sdwa s5, v3, v4 src0_sel:BYTE_0 src1_sel:DWORD
	s_and_saveexec_b32 s17, s5
	s_cbranch_execz .LBB287_426
; %bb.419:                              ;   in Loop: Header=BB287_15 Depth=1
	v_cmp_ne_u16_sdwa s5, v3, v64 src0_sel:BYTE_0 src1_sel:DWORD
	v_mov_b32_e32 v0, 0x8000
	buffer_store_dword v0, off, s[0:3], s32 offset:376 ; 4-byte Folded Spill
	s_and_saveexec_b32 s19, s5
	s_cbranch_execz .LBB287_425
; %bb.420:                              ;   in Loop: Header=BB287_15 Depth=1
	v_bfe_u32 v2, v27, 16, 7
	v_mov_b32_e32 v0, 0x7c01
	s_mov_b32 s22, exec_lo
	buffer_store_dword v0, off, s[0:3], s32 offset:376 ; 4-byte Folded Spill
	v_cmpx_ne_u32_e32 0x7f, v2
	s_cbranch_execz .LBB287_424
; %bb.421:                              ;   in Loop: Header=BB287_15 Depth=1
	v_and_b32_e32 v0, 7, v3
	v_lshrrev_b32_e32 v1, 3, v2
	s_mov_b32 s23, exec_lo
	v_cmpx_gt_u32_e32 8, v2
; %bb.422:                              ;   in Loop: Header=BB287_15 Depth=1
	v_ffbh_u32_e32 v0, v0
	v_min_u32_e32 v2, 32, v0
	v_subrev_nc_u32_e32 v0, 28, v2
	v_lshlrev_b64 v[0:1], v0, v[3:4]
	v_sub_nc_u32_e32 v1, 29, v2
	v_and_b32_e32 v0, 7, v0
; %bb.423:                              ;   in Loop: Header=BB287_15 Depth=1
	s_or_b32 exec_lo, exec_lo, s23
	v_lshlrev_b32_e32 v2, 8, v3
	v_lshl_add_u32 v1, v1, 10, 0x2000
	v_lshlrev_b32_e32 v0, 7, v0
	v_and_b32_e32 v2, 0x8000, v2
	v_and_b32_e32 v1, 0xfc00, v1
	v_or3_b32 v0, v2, v1, v0
	buffer_store_dword v0, off, s[0:3], s32 offset:376 ; 4-byte Folded Spill
.LBB287_424:                            ;   in Loop: Header=BB287_15 Depth=1
	s_or_b32 exec_lo, exec_lo, s22
.LBB287_425:                            ;   in Loop: Header=BB287_15 Depth=1
	s_or_b32 exec_lo, exec_lo, s19
.LBB287_426:                            ;   in Loop: Header=BB287_15 Depth=1
	s_or_b32 exec_lo, exec_lo, s17
	v_mov_b32_e32 v0, 0
	s_mov_b32 s17, exec_lo
	buffer_store_dword v0, off, s[0:3], s32 offset:380 ; 4-byte Folded Spill
	v_mov_b32_e32 v0, 0
	buffer_store_dword v0, off, s[0:3], s32 offset:384 ; 4-byte Folded Spill
	v_cmpx_lt_u32_e32 0xffffff, v27
	s_cbranch_execz .LBB287_434
; %bb.427:                              ;   in Loop: Header=BB287_15 Depth=1
	v_lshrrev_b32_e32 v3, 24, v27
	v_bfrev_b32_e32 v0, 1
	s_mov_b32 s19, exec_lo
	buffer_store_dword v0, off, s[0:3], s32 offset:384 ; 4-byte Folded Spill
	v_cmpx_ne_u32_e32 0x80, v3
	s_cbranch_execz .LBB287_433
; %bb.428:                              ;   in Loop: Header=BB287_15 Depth=1
	v_and_b32_e32 v2, 0x7f, v3
	v_mov_b32_e32 v0, 0x7c010000
	s_mov_b32 s22, exec_lo
	buffer_store_dword v0, off, s[0:3], s32 offset:384 ; 4-byte Folded Spill
	v_cmpx_ne_u32_e32 0x7f, v2
	s_cbranch_execz .LBB287_432
; %bb.429:                              ;   in Loop: Header=BB287_15 Depth=1
	v_and_b32_e32 v0, 7, v3
	v_lshrrev_b32_e32 v1, 3, v2
	s_mov_b32 s23, exec_lo
	v_cmpx_gt_u32_e32 8, v2
; %bb.430:                              ;   in Loop: Header=BB287_15 Depth=1
	v_ffbh_u32_e32 v0, v0
	v_min_u32_e32 v2, 32, v0
	v_subrev_nc_u32_e32 v0, 28, v2
	v_lshlrev_b64 v[0:1], v0, v[3:4]
	v_sub_nc_u32_e32 v1, 29, v2
	v_and_b32_e32 v0, 7, v0
; %bb.431:                              ;   in Loop: Header=BB287_15 Depth=1
	s_or_b32 exec_lo, exec_lo, s23
	v_lshlrev_b32_e32 v2, 8, v3
	v_lshl_add_u32 v1, v1, 10, 0x2000
	v_lshlrev_b32_e32 v0, 23, v0
	v_and_or_b32 v1, 0x8000, v2, v1
	v_lshl_or_b32 v0, v1, 16, v0
	buffer_store_dword v0, off, s[0:3], s32 offset:384 ; 4-byte Folded Spill
.LBB287_432:                            ;   in Loop: Header=BB287_15 Depth=1
	s_or_b32 exec_lo, exec_lo, s22
.LBB287_433:                            ;   in Loop: Header=BB287_15 Depth=1
	s_or_b32 exec_lo, exec_lo, s19
.LBB287_434:                            ;   in Loop: Header=BB287_15 Depth=1
	s_or_b32 exec_lo, exec_lo, s17
	v_mov_b32_e32 v3, v28
	v_cmp_ne_u16_sdwa s5, v28, v4 src0_sel:BYTE_0 src1_sel:DWORD
	s_and_saveexec_b32 s17, s5
	s_cbranch_execz .LBB287_442
; %bb.435:                              ;   in Loop: Header=BB287_15 Depth=1
	v_cmp_ne_u16_sdwa s5, v28, v64 src0_sel:BYTE_0 src1_sel:DWORD
	v_mov_b32_e32 v0, 0x8000
	buffer_store_dword v0, off, s[0:3], s32 offset:380 ; 4-byte Folded Spill
	s_and_saveexec_b32 s19, s5
	s_cbranch_execz .LBB287_441
; %bb.436:                              ;   in Loop: Header=BB287_15 Depth=1
	v_and_b32_e32 v2, 0x7f, v28
	v_mov_b32_e32 v0, 0x7c01
	s_mov_b32 s22, exec_lo
	buffer_store_dword v0, off, s[0:3], s32 offset:380 ; 4-byte Folded Spill
	v_cmpx_ne_u32_e32 0x7f, v2
	s_cbranch_execz .LBB287_440
; %bb.437:                              ;   in Loop: Header=BB287_15 Depth=1
	v_and_b32_e32 v0, 7, v28
	v_lshrrev_b32_e32 v1, 3, v2
	s_mov_b32 s23, exec_lo
	v_cmpx_gt_u32_e32 8, v2
; %bb.438:                              ;   in Loop: Header=BB287_15 Depth=1
	v_ffbh_u32_e32 v0, v0
	v_min_u32_e32 v2, 32, v0
	v_subrev_nc_u32_e32 v0, 28, v2
	v_lshlrev_b64 v[0:1], v0, v[3:4]
	v_sub_nc_u32_e32 v1, 29, v2
	v_and_b32_e32 v0, 7, v0
; %bb.439:                              ;   in Loop: Header=BB287_15 Depth=1
	s_or_b32 exec_lo, exec_lo, s23
	v_lshlrev_b32_e32 v2, 8, v28
	v_lshl_add_u32 v1, v1, 10, 0x2000
	v_lshlrev_b32_e32 v0, 7, v0
	v_and_b32_e32 v2, 0x8000, v2
	v_and_b32_e32 v1, 0xfc00, v1
	v_or3_b32 v0, v2, v1, v0
	buffer_store_dword v0, off, s[0:3], s32 offset:380 ; 4-byte Folded Spill
.LBB287_440:                            ;   in Loop: Header=BB287_15 Depth=1
	s_or_b32 exec_lo, exec_lo, s22
.LBB287_441:                            ;   in Loop: Header=BB287_15 Depth=1
	s_or_b32 exec_lo, exec_lo, s19
.LBB287_442:                            ;   in Loop: Header=BB287_15 Depth=1
	s_or_b32 exec_lo, exec_lo, s17
	v_mov_b32_e32 v0, 0
	v_lshrrev_b16 v3, 8, v3
	s_mov_b32 s17, exec_lo
	buffer_store_dword v0, off, s[0:3], s32 offset:388 ; 4-byte Folded Spill
	v_mov_b32_e32 v0, 0
	buffer_store_dword v0, off, s[0:3], s32 offset:392 ; 4-byte Folded Spill
	v_cmpx_ne_u16_e32 0, v3
	s_cbranch_execz .LBB287_450
; %bb.443:                              ;   in Loop: Header=BB287_15 Depth=1
	v_bfrev_b32_e32 v0, 1
	s_mov_b32 s19, exec_lo
	buffer_store_dword v0, off, s[0:3], s32 offset:392 ; 4-byte Folded Spill
	v_cmpx_ne_u16_e32 0x80, v3
	s_cbranch_execz .LBB287_449
; %bb.444:                              ;   in Loop: Header=BB287_15 Depth=1
	v_mov_b32_e32 v0, 0x7f
	s_mov_b32 s22, exec_lo
	v_and_b32_sdwa v2, v3, v0 dst_sel:DWORD dst_unused:UNUSED_PAD src0_sel:WORD_0 src1_sel:DWORD
	v_mov_b32_e32 v0, 0x7c010000
	buffer_store_dword v0, off, s[0:3], s32 offset:392 ; 4-byte Folded Spill
	v_cmpx_ne_u32_e32 0x7f, v2
	s_cbranch_execz .LBB287_448
; %bb.445:                              ;   in Loop: Header=BB287_15 Depth=1
	v_mov_b32_e32 v0, 7
	v_lshrrev_b32_e32 v1, 3, v2
	s_mov_b32 s23, exec_lo
	v_and_b32_sdwa v0, v3, v0 dst_sel:DWORD dst_unused:UNUSED_PAD src0_sel:WORD_0 src1_sel:DWORD
	v_cmpx_gt_u32_e32 8, v2
; %bb.446:                              ;   in Loop: Header=BB287_15 Depth=1
	v_ffbh_u32_e32 v0, v0
	v_min_u32_e32 v2, 32, v0
	v_subrev_nc_u32_e32 v0, 28, v2
	v_lshlrev_b64 v[0:1], v0, v[3:4]
	v_sub_nc_u32_e32 v1, 29, v2
	v_and_b32_e32 v0, 7, v0
; %bb.447:                              ;   in Loop: Header=BB287_15 Depth=1
	s_or_b32 exec_lo, exec_lo, s23
	v_mov_b32_e32 v2, 8
	v_lshl_add_u32 v1, v1, 10, 0x2000
	v_lshlrev_b32_e32 v0, 23, v0
	v_lshlrev_b32_sdwa v2, v2, v3 dst_sel:DWORD dst_unused:UNUSED_PAD src0_sel:DWORD src1_sel:WORD_0
	v_and_or_b32 v1, 0x8000, v2, v1
	v_lshl_or_b32 v0, v1, 16, v0
	buffer_store_dword v0, off, s[0:3], s32 offset:392 ; 4-byte Folded Spill
.LBB287_448:                            ;   in Loop: Header=BB287_15 Depth=1
	s_or_b32 exec_lo, exec_lo, s22
.LBB287_449:                            ;   in Loop: Header=BB287_15 Depth=1
	s_or_b32 exec_lo, exec_lo, s19
.LBB287_450:                            ;   in Loop: Header=BB287_15 Depth=1
	s_or_b32 exec_lo, exec_lo, s17
	v_lshrrev_b32_e32 v3, 16, v28
	v_cmp_ne_u16_sdwa s5, v3, v4 src0_sel:BYTE_0 src1_sel:DWORD
	s_and_saveexec_b32 s17, s5
	s_cbranch_execz .LBB287_458
; %bb.451:                              ;   in Loop: Header=BB287_15 Depth=1
	v_cmp_ne_u16_sdwa s5, v3, v64 src0_sel:BYTE_0 src1_sel:DWORD
	v_mov_b32_e32 v0, 0x8000
	buffer_store_dword v0, off, s[0:3], s32 offset:388 ; 4-byte Folded Spill
	s_and_saveexec_b32 s19, s5
	s_cbranch_execz .LBB287_457
; %bb.452:                              ;   in Loop: Header=BB287_15 Depth=1
	v_bfe_u32 v2, v28, 16, 7
	v_mov_b32_e32 v0, 0x7c01
	s_mov_b32 s22, exec_lo
	buffer_store_dword v0, off, s[0:3], s32 offset:388 ; 4-byte Folded Spill
	v_cmpx_ne_u32_e32 0x7f, v2
	s_cbranch_execz .LBB287_456
; %bb.453:                              ;   in Loop: Header=BB287_15 Depth=1
	v_and_b32_e32 v0, 7, v3
	v_lshrrev_b32_e32 v1, 3, v2
	s_mov_b32 s23, exec_lo
	v_cmpx_gt_u32_e32 8, v2
; %bb.454:                              ;   in Loop: Header=BB287_15 Depth=1
	v_ffbh_u32_e32 v0, v0
	v_min_u32_e32 v2, 32, v0
	v_subrev_nc_u32_e32 v0, 28, v2
	v_lshlrev_b64 v[0:1], v0, v[3:4]
	v_sub_nc_u32_e32 v1, 29, v2
	v_and_b32_e32 v0, 7, v0
; %bb.455:                              ;   in Loop: Header=BB287_15 Depth=1
	s_or_b32 exec_lo, exec_lo, s23
	v_lshlrev_b32_e32 v2, 8, v3
	v_lshl_add_u32 v1, v1, 10, 0x2000
	v_lshlrev_b32_e32 v0, 7, v0
	v_and_b32_e32 v2, 0x8000, v2
	v_and_b32_e32 v1, 0xfc00, v1
	v_or3_b32 v0, v2, v1, v0
	buffer_store_dword v0, off, s[0:3], s32 offset:388 ; 4-byte Folded Spill
.LBB287_456:                            ;   in Loop: Header=BB287_15 Depth=1
	s_or_b32 exec_lo, exec_lo, s22
.LBB287_457:                            ;   in Loop: Header=BB287_15 Depth=1
	s_or_b32 exec_lo, exec_lo, s19
.LBB287_458:                            ;   in Loop: Header=BB287_15 Depth=1
	s_or_b32 exec_lo, exec_lo, s17
	v_mov_b32_e32 v0, 0
	s_mov_b32 s17, exec_lo
	buffer_store_dword v0, off, s[0:3], s32 offset:396 ; 4-byte Folded Spill
	v_mov_b32_e32 v0, 0
	buffer_store_dword v0, off, s[0:3], s32 offset:764 ; 4-byte Folded Spill
	v_cmpx_lt_u64_e64 s[8:9], v[27:28]
	s_cbranch_execz .LBB287_466
; %bb.459:                              ;   in Loop: Header=BB287_15 Depth=1
	v_lshrrev_b32_e32 v3, 24, v28
	v_bfrev_b32_e32 v0, 1
	s_mov_b32 s19, exec_lo
	v_cmpx_ne_u32_e32 0x80, v3
	s_cbranch_execz .LBB287_465
; %bb.460:                              ;   in Loop: Header=BB287_15 Depth=1
	v_and_b32_e32 v2, 0x7f, v3
	v_mov_b32_e32 v0, 0x7c010000
	s_mov_b32 s22, exec_lo
	v_cmpx_ne_u32_e32 0x7f, v2
	s_cbranch_execz .LBB287_464
; %bb.461:                              ;   in Loop: Header=BB287_15 Depth=1
	v_and_b32_e32 v0, 7, v3
	v_lshrrev_b32_e32 v1, 3, v2
	s_mov_b32 s23, exec_lo
	v_cmpx_gt_u32_e32 8, v2
; %bb.462:                              ;   in Loop: Header=BB287_15 Depth=1
	v_ffbh_u32_e32 v0, v0
	v_min_u32_e32 v2, 32, v0
	v_subrev_nc_u32_e32 v0, 28, v2
	v_lshlrev_b64 v[0:1], v0, v[3:4]
	v_sub_nc_u32_e32 v1, 29, v2
	v_and_b32_e32 v0, 7, v0
; %bb.463:                              ;   in Loop: Header=BB287_15 Depth=1
	s_or_b32 exec_lo, exec_lo, s23
	v_lshlrev_b32_e32 v2, 8, v3
	v_lshl_add_u32 v1, v1, 10, 0x2000
	v_lshlrev_b32_e32 v0, 23, v0
	v_and_or_b32 v1, 0x8000, v2, v1
	v_lshl_or_b32 v0, v1, 16, v0
.LBB287_464:                            ;   in Loop: Header=BB287_15 Depth=1
	s_or_b32 exec_lo, exec_lo, s22
.LBB287_465:                            ;   in Loop: Header=BB287_15 Depth=1
	s_or_b32 exec_lo, exec_lo, s19
	buffer_store_dword v0, off, s[0:3], s32 offset:764 ; 4-byte Folded Spill
.LBB287_466:                            ;   in Loop: Header=BB287_15 Depth=1
	s_or_b32 exec_lo, exec_lo, s17
	flat_load_dwordx2 v[27:28], v[24:25] offset:1544
	s_waitcnt vmcnt(0) lgkmcnt(0)
	v_cmp_ne_u16_sdwa s5, v27, v4 src0_sel:BYTE_0 src1_sel:DWORD
	s_and_saveexec_b32 s17, s5
	s_cbranch_execz .LBB287_474
; %bb.467:                              ;   in Loop: Header=BB287_15 Depth=1
	v_cmp_ne_u16_sdwa s5, v27, v64 src0_sel:BYTE_0 src1_sel:DWORD
	v_mov_b32_e32 v0, 0x8000
	buffer_store_dword v0, off, s[0:3], s32 offset:396 ; 4-byte Folded Spill
	s_and_saveexec_b32 s19, s5
	s_cbranch_execz .LBB287_473
; %bb.468:                              ;   in Loop: Header=BB287_15 Depth=1
	v_and_b32_e32 v2, 0x7f, v27
	v_mov_b32_e32 v0, 0x7c01
	s_mov_b32 s22, exec_lo
	buffer_store_dword v0, off, s[0:3], s32 offset:396 ; 4-byte Folded Spill
	v_cmpx_ne_u32_e32 0x7f, v2
	s_cbranch_execz .LBB287_472
; %bb.469:                              ;   in Loop: Header=BB287_15 Depth=1
	v_and_b32_e32 v0, 7, v27
	v_lshrrev_b32_e32 v1, 3, v2
	s_mov_b32 s23, exec_lo
	v_cmpx_gt_u32_e32 8, v2
; %bb.470:                              ;   in Loop: Header=BB287_15 Depth=1
	v_ffbh_u32_e32 v0, v0
	v_min_u32_e32 v2, 32, v0
	v_subrev_nc_u32_e32 v0, 28, v2
	v_lshlrev_b64 v[0:1], v0, v[27:28]
	v_sub_nc_u32_e32 v1, 29, v2
	v_and_b32_e32 v0, 7, v0
; %bb.471:                              ;   in Loop: Header=BB287_15 Depth=1
	s_or_b32 exec_lo, exec_lo, s23
	v_lshlrev_b32_e32 v2, 8, v27
	v_lshl_add_u32 v1, v1, 10, 0x2000
	v_lshlrev_b32_e32 v0, 7, v0
	v_and_b32_e32 v2, 0x8000, v2
	v_and_b32_e32 v1, 0xfc00, v1
	v_or3_b32 v0, v2, v1, v0
	buffer_store_dword v0, off, s[0:3], s32 offset:396 ; 4-byte Folded Spill
.LBB287_472:                            ;   in Loop: Header=BB287_15 Depth=1
	s_or_b32 exec_lo, exec_lo, s22
.LBB287_473:                            ;   in Loop: Header=BB287_15 Depth=1
	s_or_b32 exec_lo, exec_lo, s19
.LBB287_474:                            ;   in Loop: Header=BB287_15 Depth=1
	s_or_b32 exec_lo, exec_lo, s17
	v_mov_b32_e32 v0, 0
	v_lshrrev_b16 v3, 8, v27
	s_mov_b32 s17, exec_lo
	buffer_store_dword v0, off, s[0:3], s32 offset:404 ; 4-byte Folded Spill
	v_mov_b32_e32 v0, 0
	buffer_store_dword v0, off, s[0:3], s32 offset:400 ; 4-byte Folded Spill
	v_cmpx_ne_u16_e32 0, v3
	s_cbranch_execz .LBB287_482
; %bb.475:                              ;   in Loop: Header=BB287_15 Depth=1
	v_bfrev_b32_e32 v0, 1
	s_mov_b32 s19, exec_lo
	buffer_store_dword v0, off, s[0:3], s32 offset:400 ; 4-byte Folded Spill
	v_cmpx_ne_u16_e32 0x80, v3
	s_cbranch_execz .LBB287_481
; %bb.476:                              ;   in Loop: Header=BB287_15 Depth=1
	v_mov_b32_e32 v0, 0x7f
	s_mov_b32 s22, exec_lo
	v_and_b32_sdwa v2, v3, v0 dst_sel:DWORD dst_unused:UNUSED_PAD src0_sel:WORD_0 src1_sel:DWORD
	v_mov_b32_e32 v0, 0x7c010000
	buffer_store_dword v0, off, s[0:3], s32 offset:400 ; 4-byte Folded Spill
	v_cmpx_ne_u32_e32 0x7f, v2
	s_cbranch_execz .LBB287_480
; %bb.477:                              ;   in Loop: Header=BB287_15 Depth=1
	v_mov_b32_e32 v0, 7
	v_lshrrev_b32_e32 v1, 3, v2
	s_mov_b32 s23, exec_lo
	v_and_b32_sdwa v0, v3, v0 dst_sel:DWORD dst_unused:UNUSED_PAD src0_sel:WORD_0 src1_sel:DWORD
	v_cmpx_gt_u32_e32 8, v2
; %bb.478:                              ;   in Loop: Header=BB287_15 Depth=1
	v_ffbh_u32_e32 v0, v0
	v_min_u32_e32 v2, 32, v0
	v_subrev_nc_u32_e32 v0, 28, v2
	v_lshlrev_b64 v[0:1], v0, v[3:4]
	v_sub_nc_u32_e32 v1, 29, v2
	v_and_b32_e32 v0, 7, v0
; %bb.479:                              ;   in Loop: Header=BB287_15 Depth=1
	s_or_b32 exec_lo, exec_lo, s23
	v_mov_b32_e32 v2, 8
	v_lshl_add_u32 v1, v1, 10, 0x2000
	v_lshlrev_b32_e32 v0, 23, v0
	v_lshlrev_b32_sdwa v2, v2, v3 dst_sel:DWORD dst_unused:UNUSED_PAD src0_sel:DWORD src1_sel:WORD_0
	v_and_or_b32 v1, 0x8000, v2, v1
	v_lshl_or_b32 v0, v1, 16, v0
	buffer_store_dword v0, off, s[0:3], s32 offset:400 ; 4-byte Folded Spill
.LBB287_480:                            ;   in Loop: Header=BB287_15 Depth=1
	s_or_b32 exec_lo, exec_lo, s22
.LBB287_481:                            ;   in Loop: Header=BB287_15 Depth=1
	s_or_b32 exec_lo, exec_lo, s19
.LBB287_482:                            ;   in Loop: Header=BB287_15 Depth=1
	s_or_b32 exec_lo, exec_lo, s17
	v_lshrrev_b32_e32 v3, 16, v27
	v_cmp_ne_u16_sdwa s5, v3, v4 src0_sel:BYTE_0 src1_sel:DWORD
	s_and_saveexec_b32 s17, s5
	s_cbranch_execz .LBB287_490
; %bb.483:                              ;   in Loop: Header=BB287_15 Depth=1
	v_cmp_ne_u16_sdwa s5, v3, v64 src0_sel:BYTE_0 src1_sel:DWORD
	v_mov_b32_e32 v0, 0x8000
	buffer_store_dword v0, off, s[0:3], s32 offset:404 ; 4-byte Folded Spill
	s_and_saveexec_b32 s19, s5
	s_cbranch_execz .LBB287_489
; %bb.484:                              ;   in Loop: Header=BB287_15 Depth=1
	v_bfe_u32 v2, v27, 16, 7
	v_mov_b32_e32 v0, 0x7c01
	s_mov_b32 s22, exec_lo
	buffer_store_dword v0, off, s[0:3], s32 offset:404 ; 4-byte Folded Spill
	v_cmpx_ne_u32_e32 0x7f, v2
	s_cbranch_execz .LBB287_488
; %bb.485:                              ;   in Loop: Header=BB287_15 Depth=1
	v_and_b32_e32 v0, 7, v3
	v_lshrrev_b32_e32 v1, 3, v2
	s_mov_b32 s23, exec_lo
	v_cmpx_gt_u32_e32 8, v2
; %bb.486:                              ;   in Loop: Header=BB287_15 Depth=1
	v_ffbh_u32_e32 v0, v0
	v_min_u32_e32 v2, 32, v0
	v_subrev_nc_u32_e32 v0, 28, v2
	v_lshlrev_b64 v[0:1], v0, v[3:4]
	v_sub_nc_u32_e32 v1, 29, v2
	v_and_b32_e32 v0, 7, v0
; %bb.487:                              ;   in Loop: Header=BB287_15 Depth=1
	s_or_b32 exec_lo, exec_lo, s23
	v_lshlrev_b32_e32 v2, 8, v3
	v_lshl_add_u32 v1, v1, 10, 0x2000
	v_lshlrev_b32_e32 v0, 7, v0
	v_and_b32_e32 v2, 0x8000, v2
	v_and_b32_e32 v1, 0xfc00, v1
	v_or3_b32 v0, v2, v1, v0
	buffer_store_dword v0, off, s[0:3], s32 offset:404 ; 4-byte Folded Spill
.LBB287_488:                            ;   in Loop: Header=BB287_15 Depth=1
	s_or_b32 exec_lo, exec_lo, s22
.LBB287_489:                            ;   in Loop: Header=BB287_15 Depth=1
	s_or_b32 exec_lo, exec_lo, s19
.LBB287_490:                            ;   in Loop: Header=BB287_15 Depth=1
	s_or_b32 exec_lo, exec_lo, s17
	v_mov_b32_e32 v0, 0
	s_mov_b32 s17, exec_lo
	buffer_store_dword v0, off, s[0:3], s32 offset:408 ; 4-byte Folded Spill
	v_mov_b32_e32 v0, 0
	buffer_store_dword v0, off, s[0:3], s32 offset:412 ; 4-byte Folded Spill
	v_cmpx_lt_u32_e32 0xffffff, v27
	s_cbranch_execz .LBB287_498
; %bb.491:                              ;   in Loop: Header=BB287_15 Depth=1
	v_lshrrev_b32_e32 v3, 24, v27
	v_bfrev_b32_e32 v0, 1
	s_mov_b32 s19, exec_lo
	buffer_store_dword v0, off, s[0:3], s32 offset:412 ; 4-byte Folded Spill
	v_cmpx_ne_u32_e32 0x80, v3
	s_cbranch_execz .LBB287_497
; %bb.492:                              ;   in Loop: Header=BB287_15 Depth=1
	v_and_b32_e32 v2, 0x7f, v3
	v_mov_b32_e32 v0, 0x7c010000
	s_mov_b32 s22, exec_lo
	buffer_store_dword v0, off, s[0:3], s32 offset:412 ; 4-byte Folded Spill
	v_cmpx_ne_u32_e32 0x7f, v2
	s_cbranch_execz .LBB287_496
; %bb.493:                              ;   in Loop: Header=BB287_15 Depth=1
	v_and_b32_e32 v0, 7, v3
	v_lshrrev_b32_e32 v1, 3, v2
	s_mov_b32 s23, exec_lo
	v_cmpx_gt_u32_e32 8, v2
; %bb.494:                              ;   in Loop: Header=BB287_15 Depth=1
	v_ffbh_u32_e32 v0, v0
	v_min_u32_e32 v2, 32, v0
	v_subrev_nc_u32_e32 v0, 28, v2
	v_lshlrev_b64 v[0:1], v0, v[3:4]
	v_sub_nc_u32_e32 v1, 29, v2
	v_and_b32_e32 v0, 7, v0
; %bb.495:                              ;   in Loop: Header=BB287_15 Depth=1
	s_or_b32 exec_lo, exec_lo, s23
	v_lshlrev_b32_e32 v2, 8, v3
	v_lshl_add_u32 v1, v1, 10, 0x2000
	v_lshlrev_b32_e32 v0, 23, v0
	v_and_or_b32 v1, 0x8000, v2, v1
	v_lshl_or_b32 v0, v1, 16, v0
	buffer_store_dword v0, off, s[0:3], s32 offset:412 ; 4-byte Folded Spill
.LBB287_496:                            ;   in Loop: Header=BB287_15 Depth=1
	s_or_b32 exec_lo, exec_lo, s22
.LBB287_497:                            ;   in Loop: Header=BB287_15 Depth=1
	s_or_b32 exec_lo, exec_lo, s19
.LBB287_498:                            ;   in Loop: Header=BB287_15 Depth=1
	s_or_b32 exec_lo, exec_lo, s17
	v_mov_b32_e32 v3, v28
	v_cmp_ne_u16_sdwa s5, v28, v4 src0_sel:BYTE_0 src1_sel:DWORD
	s_and_saveexec_b32 s17, s5
	s_cbranch_execz .LBB287_506
; %bb.499:                              ;   in Loop: Header=BB287_15 Depth=1
	v_cmp_ne_u16_sdwa s5, v28, v64 src0_sel:BYTE_0 src1_sel:DWORD
	v_mov_b32_e32 v0, 0x8000
	buffer_store_dword v0, off, s[0:3], s32 offset:408 ; 4-byte Folded Spill
	s_and_saveexec_b32 s19, s5
	s_cbranch_execz .LBB287_505
; %bb.500:                              ;   in Loop: Header=BB287_15 Depth=1
	v_and_b32_e32 v2, 0x7f, v28
	v_mov_b32_e32 v0, 0x7c01
	s_mov_b32 s22, exec_lo
	buffer_store_dword v0, off, s[0:3], s32 offset:408 ; 4-byte Folded Spill
	v_cmpx_ne_u32_e32 0x7f, v2
	s_cbranch_execz .LBB287_504
; %bb.501:                              ;   in Loop: Header=BB287_15 Depth=1
	v_and_b32_e32 v0, 7, v28
	v_lshrrev_b32_e32 v1, 3, v2
	s_mov_b32 s23, exec_lo
	v_cmpx_gt_u32_e32 8, v2
; %bb.502:                              ;   in Loop: Header=BB287_15 Depth=1
	v_ffbh_u32_e32 v0, v0
	v_min_u32_e32 v2, 32, v0
	v_subrev_nc_u32_e32 v0, 28, v2
	v_lshlrev_b64 v[0:1], v0, v[3:4]
	v_sub_nc_u32_e32 v1, 29, v2
	v_and_b32_e32 v0, 7, v0
; %bb.503:                              ;   in Loop: Header=BB287_15 Depth=1
	s_or_b32 exec_lo, exec_lo, s23
	v_lshlrev_b32_e32 v2, 8, v28
	v_lshl_add_u32 v1, v1, 10, 0x2000
	v_lshlrev_b32_e32 v0, 7, v0
	v_and_b32_e32 v2, 0x8000, v2
	v_and_b32_e32 v1, 0xfc00, v1
	v_or3_b32 v0, v2, v1, v0
	buffer_store_dword v0, off, s[0:3], s32 offset:408 ; 4-byte Folded Spill
.LBB287_504:                            ;   in Loop: Header=BB287_15 Depth=1
	s_or_b32 exec_lo, exec_lo, s22
.LBB287_505:                            ;   in Loop: Header=BB287_15 Depth=1
	s_or_b32 exec_lo, exec_lo, s19
.LBB287_506:                            ;   in Loop: Header=BB287_15 Depth=1
	s_or_b32 exec_lo, exec_lo, s17
	v_mov_b32_e32 v0, 0
	v_lshrrev_b16 v3, 8, v3
	s_mov_b32 s17, exec_lo
	buffer_store_dword v0, off, s[0:3], s32 offset:416 ; 4-byte Folded Spill
	v_mov_b32_e32 v0, 0
	buffer_store_dword v0, off, s[0:3], s32 offset:420 ; 4-byte Folded Spill
	v_cmpx_ne_u16_e32 0, v3
	s_cbranch_execz .LBB287_514
; %bb.507:                              ;   in Loop: Header=BB287_15 Depth=1
	v_bfrev_b32_e32 v0, 1
	s_mov_b32 s19, exec_lo
	buffer_store_dword v0, off, s[0:3], s32 offset:420 ; 4-byte Folded Spill
	v_cmpx_ne_u16_e32 0x80, v3
	s_cbranch_execz .LBB287_513
; %bb.508:                              ;   in Loop: Header=BB287_15 Depth=1
	v_mov_b32_e32 v0, 0x7f
	s_mov_b32 s22, exec_lo
	v_and_b32_sdwa v2, v3, v0 dst_sel:DWORD dst_unused:UNUSED_PAD src0_sel:WORD_0 src1_sel:DWORD
	v_mov_b32_e32 v0, 0x7c010000
	buffer_store_dword v0, off, s[0:3], s32 offset:420 ; 4-byte Folded Spill
	v_cmpx_ne_u32_e32 0x7f, v2
	s_cbranch_execz .LBB287_512
; %bb.509:                              ;   in Loop: Header=BB287_15 Depth=1
	v_mov_b32_e32 v0, 7
	v_lshrrev_b32_e32 v1, 3, v2
	s_mov_b32 s23, exec_lo
	v_and_b32_sdwa v0, v3, v0 dst_sel:DWORD dst_unused:UNUSED_PAD src0_sel:WORD_0 src1_sel:DWORD
	v_cmpx_gt_u32_e32 8, v2
; %bb.510:                              ;   in Loop: Header=BB287_15 Depth=1
	v_ffbh_u32_e32 v0, v0
	v_min_u32_e32 v2, 32, v0
	v_subrev_nc_u32_e32 v0, 28, v2
	v_lshlrev_b64 v[0:1], v0, v[3:4]
	v_sub_nc_u32_e32 v1, 29, v2
	v_and_b32_e32 v0, 7, v0
; %bb.511:                              ;   in Loop: Header=BB287_15 Depth=1
	s_or_b32 exec_lo, exec_lo, s23
	v_mov_b32_e32 v2, 8
	v_lshl_add_u32 v1, v1, 10, 0x2000
	v_lshlrev_b32_e32 v0, 23, v0
	v_lshlrev_b32_sdwa v2, v2, v3 dst_sel:DWORD dst_unused:UNUSED_PAD src0_sel:DWORD src1_sel:WORD_0
	v_and_or_b32 v1, 0x8000, v2, v1
	v_lshl_or_b32 v0, v1, 16, v0
	buffer_store_dword v0, off, s[0:3], s32 offset:420 ; 4-byte Folded Spill
.LBB287_512:                            ;   in Loop: Header=BB287_15 Depth=1
	s_or_b32 exec_lo, exec_lo, s22
.LBB287_513:                            ;   in Loop: Header=BB287_15 Depth=1
	s_or_b32 exec_lo, exec_lo, s19
.LBB287_514:                            ;   in Loop: Header=BB287_15 Depth=1
	s_or_b32 exec_lo, exec_lo, s17
	v_lshrrev_b32_e32 v3, 16, v28
	v_cmp_ne_u16_sdwa s5, v3, v4 src0_sel:BYTE_0 src1_sel:DWORD
	s_and_saveexec_b32 s17, s5
	s_cbranch_execz .LBB287_522
; %bb.515:                              ;   in Loop: Header=BB287_15 Depth=1
	v_cmp_ne_u16_sdwa s5, v3, v64 src0_sel:BYTE_0 src1_sel:DWORD
	v_mov_b32_e32 v0, 0x8000
	buffer_store_dword v0, off, s[0:3], s32 offset:416 ; 4-byte Folded Spill
	s_and_saveexec_b32 s19, s5
	s_cbranch_execz .LBB287_521
; %bb.516:                              ;   in Loop: Header=BB287_15 Depth=1
	v_bfe_u32 v2, v28, 16, 7
	v_mov_b32_e32 v0, 0x7c01
	s_mov_b32 s22, exec_lo
	buffer_store_dword v0, off, s[0:3], s32 offset:416 ; 4-byte Folded Spill
	v_cmpx_ne_u32_e32 0x7f, v2
	s_cbranch_execz .LBB287_520
; %bb.517:                              ;   in Loop: Header=BB287_15 Depth=1
	v_and_b32_e32 v0, 7, v3
	v_lshrrev_b32_e32 v1, 3, v2
	s_mov_b32 s23, exec_lo
	v_cmpx_gt_u32_e32 8, v2
; %bb.518:                              ;   in Loop: Header=BB287_15 Depth=1
	v_ffbh_u32_e32 v0, v0
	v_min_u32_e32 v2, 32, v0
	v_subrev_nc_u32_e32 v0, 28, v2
	v_lshlrev_b64 v[0:1], v0, v[3:4]
	v_sub_nc_u32_e32 v1, 29, v2
	v_and_b32_e32 v0, 7, v0
; %bb.519:                              ;   in Loop: Header=BB287_15 Depth=1
	s_or_b32 exec_lo, exec_lo, s23
	v_lshlrev_b32_e32 v2, 8, v3
	v_lshl_add_u32 v1, v1, 10, 0x2000
	v_lshlrev_b32_e32 v0, 7, v0
	v_and_b32_e32 v2, 0x8000, v2
	v_and_b32_e32 v1, 0xfc00, v1
	v_or3_b32 v0, v2, v1, v0
	buffer_store_dword v0, off, s[0:3], s32 offset:416 ; 4-byte Folded Spill
.LBB287_520:                            ;   in Loop: Header=BB287_15 Depth=1
	s_or_b32 exec_lo, exec_lo, s22
.LBB287_521:                            ;   in Loop: Header=BB287_15 Depth=1
	s_or_b32 exec_lo, exec_lo, s19
.LBB287_522:                            ;   in Loop: Header=BB287_15 Depth=1
	s_or_b32 exec_lo, exec_lo, s17
	v_mov_b32_e32 v0, 0
	s_mov_b32 s17, exec_lo
	buffer_store_dword v0, off, s[0:3], s32 offset:424 ; 4-byte Folded Spill
	v_mov_b32_e32 v0, 0
	buffer_store_dword v0, off, s[0:3], s32 offset:768 ; 4-byte Folded Spill
	v_cmpx_lt_u64_e64 s[8:9], v[27:28]
	s_cbranch_execz .LBB287_530
; %bb.523:                              ;   in Loop: Header=BB287_15 Depth=1
	v_lshrrev_b32_e32 v3, 24, v28
	v_bfrev_b32_e32 v0, 1
	s_mov_b32 s19, exec_lo
	v_cmpx_ne_u32_e32 0x80, v3
	s_cbranch_execz .LBB287_529
; %bb.524:                              ;   in Loop: Header=BB287_15 Depth=1
	v_and_b32_e32 v2, 0x7f, v3
	v_mov_b32_e32 v0, 0x7c010000
	s_mov_b32 s22, exec_lo
	v_cmpx_ne_u32_e32 0x7f, v2
	s_cbranch_execz .LBB287_528
; %bb.525:                              ;   in Loop: Header=BB287_15 Depth=1
	v_and_b32_e32 v0, 7, v3
	v_lshrrev_b32_e32 v1, 3, v2
	s_mov_b32 s23, exec_lo
	v_cmpx_gt_u32_e32 8, v2
; %bb.526:                              ;   in Loop: Header=BB287_15 Depth=1
	v_ffbh_u32_e32 v0, v0
	v_min_u32_e32 v2, 32, v0
	v_subrev_nc_u32_e32 v0, 28, v2
	v_lshlrev_b64 v[0:1], v0, v[3:4]
	v_sub_nc_u32_e32 v1, 29, v2
	v_and_b32_e32 v0, 7, v0
; %bb.527:                              ;   in Loop: Header=BB287_15 Depth=1
	s_or_b32 exec_lo, exec_lo, s23
	v_lshlrev_b32_e32 v2, 8, v3
	v_lshl_add_u32 v1, v1, 10, 0x2000
	v_lshlrev_b32_e32 v0, 23, v0
	v_and_or_b32 v1, 0x8000, v2, v1
	v_lshl_or_b32 v0, v1, 16, v0
.LBB287_528:                            ;   in Loop: Header=BB287_15 Depth=1
	s_or_b32 exec_lo, exec_lo, s22
.LBB287_529:                            ;   in Loop: Header=BB287_15 Depth=1
	s_or_b32 exec_lo, exec_lo, s19
	buffer_store_dword v0, off, s[0:3], s32 offset:768 ; 4-byte Folded Spill
.LBB287_530:                            ;   in Loop: Header=BB287_15 Depth=1
	s_or_b32 exec_lo, exec_lo, s17
	v_add_co_u32 v27, s5, 0x800, v24
	v_add_co_ci_u32_e64 v28, null, 0, v25, s5
	flat_load_dwordx2 v[29:30], v[27:28]
	s_waitcnt vmcnt(0) lgkmcnt(0)
	v_cmp_ne_u16_sdwa s5, v29, v4 src0_sel:BYTE_0 src1_sel:DWORD
	s_and_saveexec_b32 s17, s5
	s_cbranch_execz .LBB287_538
; %bb.531:                              ;   in Loop: Header=BB287_15 Depth=1
	v_cmp_ne_u16_sdwa s5, v29, v64 src0_sel:BYTE_0 src1_sel:DWORD
	v_mov_b32_e32 v0, 0x8000
	buffer_store_dword v0, off, s[0:3], s32 offset:424 ; 4-byte Folded Spill
	s_and_saveexec_b32 s19, s5
	s_cbranch_execz .LBB287_537
; %bb.532:                              ;   in Loop: Header=BB287_15 Depth=1
	v_and_b32_e32 v2, 0x7f, v29
	v_mov_b32_e32 v0, 0x7c01
	s_mov_b32 s22, exec_lo
	buffer_store_dword v0, off, s[0:3], s32 offset:424 ; 4-byte Folded Spill
	v_cmpx_ne_u32_e32 0x7f, v2
	s_cbranch_execz .LBB287_536
; %bb.533:                              ;   in Loop: Header=BB287_15 Depth=1
	v_and_b32_e32 v0, 7, v29
	v_lshrrev_b32_e32 v1, 3, v2
	s_mov_b32 s23, exec_lo
	v_cmpx_gt_u32_e32 8, v2
; %bb.534:                              ;   in Loop: Header=BB287_15 Depth=1
	v_ffbh_u32_e32 v0, v0
	v_min_u32_e32 v2, 32, v0
	v_subrev_nc_u32_e32 v0, 28, v2
	v_lshlrev_b64 v[0:1], v0, v[29:30]
	v_sub_nc_u32_e32 v1, 29, v2
	v_and_b32_e32 v0, 7, v0
; %bb.535:                              ;   in Loop: Header=BB287_15 Depth=1
	s_or_b32 exec_lo, exec_lo, s23
	v_lshlrev_b32_e32 v2, 8, v29
	v_lshl_add_u32 v1, v1, 10, 0x2000
	v_lshlrev_b32_e32 v0, 7, v0
	v_and_b32_e32 v2, 0x8000, v2
	v_and_b32_e32 v1, 0xfc00, v1
	v_or3_b32 v0, v2, v1, v0
	buffer_store_dword v0, off, s[0:3], s32 offset:424 ; 4-byte Folded Spill
.LBB287_536:                            ;   in Loop: Header=BB287_15 Depth=1
	s_or_b32 exec_lo, exec_lo, s22
.LBB287_537:                            ;   in Loop: Header=BB287_15 Depth=1
	s_or_b32 exec_lo, exec_lo, s19
.LBB287_538:                            ;   in Loop: Header=BB287_15 Depth=1
	s_or_b32 exec_lo, exec_lo, s17
	v_mov_b32_e32 v0, 0
	v_lshrrev_b16 v3, 8, v29
	s_mov_b32 s17, exec_lo
	buffer_store_dword v0, off, s[0:3], s32 offset:432 ; 4-byte Folded Spill
	v_mov_b32_e32 v0, 0
	buffer_store_dword v0, off, s[0:3], s32 offset:428 ; 4-byte Folded Spill
	v_cmpx_ne_u16_e32 0, v3
	s_cbranch_execz .LBB287_546
; %bb.539:                              ;   in Loop: Header=BB287_15 Depth=1
	v_bfrev_b32_e32 v0, 1
	s_mov_b32 s19, exec_lo
	buffer_store_dword v0, off, s[0:3], s32 offset:428 ; 4-byte Folded Spill
	v_cmpx_ne_u16_e32 0x80, v3
	s_cbranch_execz .LBB287_545
; %bb.540:                              ;   in Loop: Header=BB287_15 Depth=1
	v_mov_b32_e32 v0, 0x7f
	s_mov_b32 s22, exec_lo
	v_and_b32_sdwa v2, v3, v0 dst_sel:DWORD dst_unused:UNUSED_PAD src0_sel:WORD_0 src1_sel:DWORD
	v_mov_b32_e32 v0, 0x7c010000
	buffer_store_dword v0, off, s[0:3], s32 offset:428 ; 4-byte Folded Spill
	v_cmpx_ne_u32_e32 0x7f, v2
	s_cbranch_execz .LBB287_544
; %bb.541:                              ;   in Loop: Header=BB287_15 Depth=1
	v_mov_b32_e32 v0, 7
	v_lshrrev_b32_e32 v1, 3, v2
	s_mov_b32 s23, exec_lo
	v_and_b32_sdwa v0, v3, v0 dst_sel:DWORD dst_unused:UNUSED_PAD src0_sel:WORD_0 src1_sel:DWORD
	v_cmpx_gt_u32_e32 8, v2
; %bb.542:                              ;   in Loop: Header=BB287_15 Depth=1
	v_ffbh_u32_e32 v0, v0
	v_min_u32_e32 v2, 32, v0
	v_subrev_nc_u32_e32 v0, 28, v2
	v_lshlrev_b64 v[0:1], v0, v[3:4]
	v_sub_nc_u32_e32 v1, 29, v2
	v_and_b32_e32 v0, 7, v0
; %bb.543:                              ;   in Loop: Header=BB287_15 Depth=1
	s_or_b32 exec_lo, exec_lo, s23
	v_mov_b32_e32 v2, 8
	v_lshl_add_u32 v1, v1, 10, 0x2000
	v_lshlrev_b32_e32 v0, 23, v0
	v_lshlrev_b32_sdwa v2, v2, v3 dst_sel:DWORD dst_unused:UNUSED_PAD src0_sel:DWORD src1_sel:WORD_0
	v_and_or_b32 v1, 0x8000, v2, v1
	v_lshl_or_b32 v0, v1, 16, v0
	buffer_store_dword v0, off, s[0:3], s32 offset:428 ; 4-byte Folded Spill
.LBB287_544:                            ;   in Loop: Header=BB287_15 Depth=1
	s_or_b32 exec_lo, exec_lo, s22
.LBB287_545:                            ;   in Loop: Header=BB287_15 Depth=1
	s_or_b32 exec_lo, exec_lo, s19
.LBB287_546:                            ;   in Loop: Header=BB287_15 Depth=1
	s_or_b32 exec_lo, exec_lo, s17
	v_lshrrev_b32_e32 v3, 16, v29
	v_cmp_ne_u16_sdwa s5, v3, v4 src0_sel:BYTE_0 src1_sel:DWORD
	s_and_saveexec_b32 s17, s5
	s_cbranch_execz .LBB287_554
; %bb.547:                              ;   in Loop: Header=BB287_15 Depth=1
	v_cmp_ne_u16_sdwa s5, v3, v64 src0_sel:BYTE_0 src1_sel:DWORD
	v_mov_b32_e32 v0, 0x8000
	buffer_store_dword v0, off, s[0:3], s32 offset:432 ; 4-byte Folded Spill
	s_and_saveexec_b32 s19, s5
	s_cbranch_execz .LBB287_553
; %bb.548:                              ;   in Loop: Header=BB287_15 Depth=1
	v_bfe_u32 v2, v29, 16, 7
	v_mov_b32_e32 v0, 0x7c01
	s_mov_b32 s22, exec_lo
	buffer_store_dword v0, off, s[0:3], s32 offset:432 ; 4-byte Folded Spill
	v_cmpx_ne_u32_e32 0x7f, v2
	s_cbranch_execz .LBB287_552
; %bb.549:                              ;   in Loop: Header=BB287_15 Depth=1
	v_and_b32_e32 v0, 7, v3
	v_lshrrev_b32_e32 v1, 3, v2
	s_mov_b32 s23, exec_lo
	v_cmpx_gt_u32_e32 8, v2
; %bb.550:                              ;   in Loop: Header=BB287_15 Depth=1
	v_ffbh_u32_e32 v0, v0
	v_min_u32_e32 v2, 32, v0
	v_subrev_nc_u32_e32 v0, 28, v2
	v_lshlrev_b64 v[0:1], v0, v[3:4]
	v_sub_nc_u32_e32 v1, 29, v2
	v_and_b32_e32 v0, 7, v0
; %bb.551:                              ;   in Loop: Header=BB287_15 Depth=1
	s_or_b32 exec_lo, exec_lo, s23
	v_lshlrev_b32_e32 v2, 8, v3
	v_lshl_add_u32 v1, v1, 10, 0x2000
	v_lshlrev_b32_e32 v0, 7, v0
	v_and_b32_e32 v2, 0x8000, v2
	v_and_b32_e32 v1, 0xfc00, v1
	v_or3_b32 v0, v2, v1, v0
	buffer_store_dword v0, off, s[0:3], s32 offset:432 ; 4-byte Folded Spill
.LBB287_552:                            ;   in Loop: Header=BB287_15 Depth=1
	s_or_b32 exec_lo, exec_lo, s22
.LBB287_553:                            ;   in Loop: Header=BB287_15 Depth=1
	s_or_b32 exec_lo, exec_lo, s19
.LBB287_554:                            ;   in Loop: Header=BB287_15 Depth=1
	s_or_b32 exec_lo, exec_lo, s17
	v_mov_b32_e32 v0, 0
	s_mov_b32 s17, exec_lo
	buffer_store_dword v0, off, s[0:3], s32 offset:436 ; 4-byte Folded Spill
	v_mov_b32_e32 v0, 0
	buffer_store_dword v0, off, s[0:3], s32 offset:440 ; 4-byte Folded Spill
	v_cmpx_lt_u32_e32 0xffffff, v29
	s_cbranch_execz .LBB287_562
; %bb.555:                              ;   in Loop: Header=BB287_15 Depth=1
	v_lshrrev_b32_e32 v3, 24, v29
	v_bfrev_b32_e32 v0, 1
	s_mov_b32 s19, exec_lo
	buffer_store_dword v0, off, s[0:3], s32 offset:440 ; 4-byte Folded Spill
	v_cmpx_ne_u32_e32 0x80, v3
	s_cbranch_execz .LBB287_561
; %bb.556:                              ;   in Loop: Header=BB287_15 Depth=1
	v_and_b32_e32 v2, 0x7f, v3
	v_mov_b32_e32 v0, 0x7c010000
	s_mov_b32 s22, exec_lo
	buffer_store_dword v0, off, s[0:3], s32 offset:440 ; 4-byte Folded Spill
	v_cmpx_ne_u32_e32 0x7f, v2
	s_cbranch_execz .LBB287_560
; %bb.557:                              ;   in Loop: Header=BB287_15 Depth=1
	v_and_b32_e32 v0, 7, v3
	v_lshrrev_b32_e32 v1, 3, v2
	s_mov_b32 s23, exec_lo
	v_cmpx_gt_u32_e32 8, v2
; %bb.558:                              ;   in Loop: Header=BB287_15 Depth=1
	v_ffbh_u32_e32 v0, v0
	v_min_u32_e32 v2, 32, v0
	v_subrev_nc_u32_e32 v0, 28, v2
	v_lshlrev_b64 v[0:1], v0, v[3:4]
	v_sub_nc_u32_e32 v1, 29, v2
	v_and_b32_e32 v0, 7, v0
; %bb.559:                              ;   in Loop: Header=BB287_15 Depth=1
	s_or_b32 exec_lo, exec_lo, s23
	v_lshlrev_b32_e32 v2, 8, v3
	v_lshl_add_u32 v1, v1, 10, 0x2000
	v_lshlrev_b32_e32 v0, 23, v0
	v_and_or_b32 v1, 0x8000, v2, v1
	v_lshl_or_b32 v0, v1, 16, v0
	buffer_store_dword v0, off, s[0:3], s32 offset:440 ; 4-byte Folded Spill
.LBB287_560:                            ;   in Loop: Header=BB287_15 Depth=1
	s_or_b32 exec_lo, exec_lo, s22
.LBB287_561:                            ;   in Loop: Header=BB287_15 Depth=1
	s_or_b32 exec_lo, exec_lo, s19
.LBB287_562:                            ;   in Loop: Header=BB287_15 Depth=1
	s_or_b32 exec_lo, exec_lo, s17
	v_mov_b32_e32 v3, v30
	v_cmp_ne_u16_sdwa s5, v30, v4 src0_sel:BYTE_0 src1_sel:DWORD
	s_and_saveexec_b32 s17, s5
	s_cbranch_execz .LBB287_570
; %bb.563:                              ;   in Loop: Header=BB287_15 Depth=1
	v_cmp_ne_u16_sdwa s5, v30, v64 src0_sel:BYTE_0 src1_sel:DWORD
	v_mov_b32_e32 v0, 0x8000
	buffer_store_dword v0, off, s[0:3], s32 offset:436 ; 4-byte Folded Spill
	s_and_saveexec_b32 s19, s5
	s_cbranch_execz .LBB287_569
; %bb.564:                              ;   in Loop: Header=BB287_15 Depth=1
	v_and_b32_e32 v2, 0x7f, v30
	v_mov_b32_e32 v0, 0x7c01
	s_mov_b32 s22, exec_lo
	buffer_store_dword v0, off, s[0:3], s32 offset:436 ; 4-byte Folded Spill
	v_cmpx_ne_u32_e32 0x7f, v2
	s_cbranch_execz .LBB287_568
; %bb.565:                              ;   in Loop: Header=BB287_15 Depth=1
	v_and_b32_e32 v0, 7, v30
	v_lshrrev_b32_e32 v1, 3, v2
	s_mov_b32 s23, exec_lo
	v_cmpx_gt_u32_e32 8, v2
; %bb.566:                              ;   in Loop: Header=BB287_15 Depth=1
	v_ffbh_u32_e32 v0, v0
	v_min_u32_e32 v2, 32, v0
	v_subrev_nc_u32_e32 v0, 28, v2
	v_lshlrev_b64 v[0:1], v0, v[3:4]
	v_sub_nc_u32_e32 v1, 29, v2
	v_and_b32_e32 v0, 7, v0
; %bb.567:                              ;   in Loop: Header=BB287_15 Depth=1
	s_or_b32 exec_lo, exec_lo, s23
	v_lshlrev_b32_e32 v2, 8, v30
	v_lshl_add_u32 v1, v1, 10, 0x2000
	v_lshlrev_b32_e32 v0, 7, v0
	v_and_b32_e32 v2, 0x8000, v2
	v_and_b32_e32 v1, 0xfc00, v1
	v_or3_b32 v0, v2, v1, v0
	buffer_store_dword v0, off, s[0:3], s32 offset:436 ; 4-byte Folded Spill
.LBB287_568:                            ;   in Loop: Header=BB287_15 Depth=1
	s_or_b32 exec_lo, exec_lo, s22
.LBB287_569:                            ;   in Loop: Header=BB287_15 Depth=1
	s_or_b32 exec_lo, exec_lo, s19
.LBB287_570:                            ;   in Loop: Header=BB287_15 Depth=1
	s_or_b32 exec_lo, exec_lo, s17
	v_mov_b32_e32 v0, 0
	v_lshrrev_b16 v3, 8, v3
	s_mov_b32 s17, exec_lo
	buffer_store_dword v0, off, s[0:3], s32 offset:444 ; 4-byte Folded Spill
	v_mov_b32_e32 v0, 0
	buffer_store_dword v0, off, s[0:3], s32 offset:448 ; 4-byte Folded Spill
	v_cmpx_ne_u16_e32 0, v3
	s_cbranch_execz .LBB287_578
; %bb.571:                              ;   in Loop: Header=BB287_15 Depth=1
	v_bfrev_b32_e32 v0, 1
	s_mov_b32 s19, exec_lo
	buffer_store_dword v0, off, s[0:3], s32 offset:448 ; 4-byte Folded Spill
	v_cmpx_ne_u16_e32 0x80, v3
	s_cbranch_execz .LBB287_577
; %bb.572:                              ;   in Loop: Header=BB287_15 Depth=1
	v_mov_b32_e32 v0, 0x7f
	s_mov_b32 s22, exec_lo
	v_and_b32_sdwa v2, v3, v0 dst_sel:DWORD dst_unused:UNUSED_PAD src0_sel:WORD_0 src1_sel:DWORD
	v_mov_b32_e32 v0, 0x7c010000
	buffer_store_dword v0, off, s[0:3], s32 offset:448 ; 4-byte Folded Spill
	v_cmpx_ne_u32_e32 0x7f, v2
	s_cbranch_execz .LBB287_576
; %bb.573:                              ;   in Loop: Header=BB287_15 Depth=1
	v_mov_b32_e32 v0, 7
	v_lshrrev_b32_e32 v1, 3, v2
	s_mov_b32 s23, exec_lo
	v_and_b32_sdwa v0, v3, v0 dst_sel:DWORD dst_unused:UNUSED_PAD src0_sel:WORD_0 src1_sel:DWORD
	v_cmpx_gt_u32_e32 8, v2
; %bb.574:                              ;   in Loop: Header=BB287_15 Depth=1
	v_ffbh_u32_e32 v0, v0
	v_min_u32_e32 v2, 32, v0
	v_subrev_nc_u32_e32 v0, 28, v2
	v_lshlrev_b64 v[0:1], v0, v[3:4]
	v_sub_nc_u32_e32 v1, 29, v2
	v_and_b32_e32 v0, 7, v0
; %bb.575:                              ;   in Loop: Header=BB287_15 Depth=1
	s_or_b32 exec_lo, exec_lo, s23
	v_mov_b32_e32 v2, 8
	v_lshl_add_u32 v1, v1, 10, 0x2000
	v_lshlrev_b32_e32 v0, 23, v0
	v_lshlrev_b32_sdwa v2, v2, v3 dst_sel:DWORD dst_unused:UNUSED_PAD src0_sel:DWORD src1_sel:WORD_0
	v_and_or_b32 v1, 0x8000, v2, v1
	v_lshl_or_b32 v0, v1, 16, v0
	buffer_store_dword v0, off, s[0:3], s32 offset:448 ; 4-byte Folded Spill
.LBB287_576:                            ;   in Loop: Header=BB287_15 Depth=1
	s_or_b32 exec_lo, exec_lo, s22
.LBB287_577:                            ;   in Loop: Header=BB287_15 Depth=1
	s_or_b32 exec_lo, exec_lo, s19
.LBB287_578:                            ;   in Loop: Header=BB287_15 Depth=1
	s_or_b32 exec_lo, exec_lo, s17
	v_lshrrev_b32_e32 v3, 16, v30
	v_cmp_ne_u16_sdwa s5, v3, v4 src0_sel:BYTE_0 src1_sel:DWORD
	s_and_saveexec_b32 s17, s5
	s_cbranch_execz .LBB287_586
; %bb.579:                              ;   in Loop: Header=BB287_15 Depth=1
	v_cmp_ne_u16_sdwa s5, v3, v64 src0_sel:BYTE_0 src1_sel:DWORD
	v_mov_b32_e32 v0, 0x8000
	buffer_store_dword v0, off, s[0:3], s32 offset:444 ; 4-byte Folded Spill
	s_and_saveexec_b32 s19, s5
	s_cbranch_execz .LBB287_585
; %bb.580:                              ;   in Loop: Header=BB287_15 Depth=1
	v_bfe_u32 v2, v30, 16, 7
	v_mov_b32_e32 v0, 0x7c01
	s_mov_b32 s22, exec_lo
	buffer_store_dword v0, off, s[0:3], s32 offset:444 ; 4-byte Folded Spill
	v_cmpx_ne_u32_e32 0x7f, v2
	s_cbranch_execz .LBB287_584
; %bb.581:                              ;   in Loop: Header=BB287_15 Depth=1
	v_and_b32_e32 v0, 7, v3
	v_lshrrev_b32_e32 v1, 3, v2
	s_mov_b32 s23, exec_lo
	v_cmpx_gt_u32_e32 8, v2
; %bb.582:                              ;   in Loop: Header=BB287_15 Depth=1
	v_ffbh_u32_e32 v0, v0
	v_min_u32_e32 v2, 32, v0
	v_subrev_nc_u32_e32 v0, 28, v2
	v_lshlrev_b64 v[0:1], v0, v[3:4]
	v_sub_nc_u32_e32 v1, 29, v2
	v_and_b32_e32 v0, 7, v0
; %bb.583:                              ;   in Loop: Header=BB287_15 Depth=1
	s_or_b32 exec_lo, exec_lo, s23
	v_lshlrev_b32_e32 v2, 8, v3
	v_lshl_add_u32 v1, v1, 10, 0x2000
	v_lshlrev_b32_e32 v0, 7, v0
	v_and_b32_e32 v2, 0x8000, v2
	v_and_b32_e32 v1, 0xfc00, v1
	v_or3_b32 v0, v2, v1, v0
	buffer_store_dword v0, off, s[0:3], s32 offset:444 ; 4-byte Folded Spill
.LBB287_584:                            ;   in Loop: Header=BB287_15 Depth=1
	s_or_b32 exec_lo, exec_lo, s22
.LBB287_585:                            ;   in Loop: Header=BB287_15 Depth=1
	s_or_b32 exec_lo, exec_lo, s19
.LBB287_586:                            ;   in Loop: Header=BB287_15 Depth=1
	s_or_b32 exec_lo, exec_lo, s17
	v_mov_b32_e32 v0, 0
	s_mov_b32 s17, exec_lo
	buffer_store_dword v0, off, s[0:3], s32 offset:452 ; 4-byte Folded Spill
	v_mov_b32_e32 v0, 0
	buffer_store_dword v0, off, s[0:3], s32 offset:772 ; 4-byte Folded Spill
	v_cmpx_lt_u64_e64 s[8:9], v[29:30]
	s_cbranch_execz .LBB287_594
; %bb.587:                              ;   in Loop: Header=BB287_15 Depth=1
	v_lshrrev_b32_e32 v3, 24, v30
	v_bfrev_b32_e32 v0, 1
	s_mov_b32 s19, exec_lo
	v_cmpx_ne_u32_e32 0x80, v3
	s_cbranch_execz .LBB287_593
; %bb.588:                              ;   in Loop: Header=BB287_15 Depth=1
	v_and_b32_e32 v2, 0x7f, v3
	v_mov_b32_e32 v0, 0x7c010000
	s_mov_b32 s22, exec_lo
	v_cmpx_ne_u32_e32 0x7f, v2
	s_cbranch_execz .LBB287_592
; %bb.589:                              ;   in Loop: Header=BB287_15 Depth=1
	v_and_b32_e32 v0, 7, v3
	v_lshrrev_b32_e32 v1, 3, v2
	s_mov_b32 s23, exec_lo
	v_cmpx_gt_u32_e32 8, v2
; %bb.590:                              ;   in Loop: Header=BB287_15 Depth=1
	v_ffbh_u32_e32 v0, v0
	v_min_u32_e32 v2, 32, v0
	v_subrev_nc_u32_e32 v0, 28, v2
	v_lshlrev_b64 v[0:1], v0, v[3:4]
	v_sub_nc_u32_e32 v1, 29, v2
	v_and_b32_e32 v0, 7, v0
; %bb.591:                              ;   in Loop: Header=BB287_15 Depth=1
	s_or_b32 exec_lo, exec_lo, s23
	v_lshlrev_b32_e32 v2, 8, v3
	v_lshl_add_u32 v1, v1, 10, 0x2000
	v_lshlrev_b32_e32 v0, 23, v0
	v_and_or_b32 v1, 0x8000, v2, v1
	v_lshl_or_b32 v0, v1, 16, v0
.LBB287_592:                            ;   in Loop: Header=BB287_15 Depth=1
	s_or_b32 exec_lo, exec_lo, s22
.LBB287_593:                            ;   in Loop: Header=BB287_15 Depth=1
	s_or_b32 exec_lo, exec_lo, s19
	buffer_store_dword v0, off, s[0:3], s32 offset:772 ; 4-byte Folded Spill
.LBB287_594:                            ;   in Loop: Header=BB287_15 Depth=1
	s_or_b32 exec_lo, exec_lo, s17
	flat_load_dwordx2 v[29:30], v[27:28] offset:8
	s_waitcnt vmcnt(0) lgkmcnt(0)
	v_cmp_ne_u16_sdwa s5, v29, v4 src0_sel:BYTE_0 src1_sel:DWORD
	s_and_saveexec_b32 s17, s5
	s_cbranch_execz .LBB287_602
; %bb.595:                              ;   in Loop: Header=BB287_15 Depth=1
	v_cmp_ne_u16_sdwa s5, v29, v64 src0_sel:BYTE_0 src1_sel:DWORD
	v_mov_b32_e32 v0, 0x8000
	buffer_store_dword v0, off, s[0:3], s32 offset:452 ; 4-byte Folded Spill
	s_and_saveexec_b32 s19, s5
	s_cbranch_execz .LBB287_601
; %bb.596:                              ;   in Loop: Header=BB287_15 Depth=1
	v_and_b32_e32 v2, 0x7f, v29
	v_mov_b32_e32 v0, 0x7c01
	s_mov_b32 s22, exec_lo
	buffer_store_dword v0, off, s[0:3], s32 offset:452 ; 4-byte Folded Spill
	v_cmpx_ne_u32_e32 0x7f, v2
	s_cbranch_execz .LBB287_600
; %bb.597:                              ;   in Loop: Header=BB287_15 Depth=1
	v_and_b32_e32 v0, 7, v29
	v_lshrrev_b32_e32 v1, 3, v2
	s_mov_b32 s23, exec_lo
	v_cmpx_gt_u32_e32 8, v2
; %bb.598:                              ;   in Loop: Header=BB287_15 Depth=1
	v_ffbh_u32_e32 v0, v0
	v_min_u32_e32 v2, 32, v0
	v_subrev_nc_u32_e32 v0, 28, v2
	v_lshlrev_b64 v[0:1], v0, v[29:30]
	v_sub_nc_u32_e32 v1, 29, v2
	v_and_b32_e32 v0, 7, v0
; %bb.599:                              ;   in Loop: Header=BB287_15 Depth=1
	s_or_b32 exec_lo, exec_lo, s23
	v_lshlrev_b32_e32 v2, 8, v29
	v_lshl_add_u32 v1, v1, 10, 0x2000
	v_lshlrev_b32_e32 v0, 7, v0
	v_and_b32_e32 v2, 0x8000, v2
	v_and_b32_e32 v1, 0xfc00, v1
	v_or3_b32 v0, v2, v1, v0
	buffer_store_dword v0, off, s[0:3], s32 offset:452 ; 4-byte Folded Spill
.LBB287_600:                            ;   in Loop: Header=BB287_15 Depth=1
	s_or_b32 exec_lo, exec_lo, s22
.LBB287_601:                            ;   in Loop: Header=BB287_15 Depth=1
	s_or_b32 exec_lo, exec_lo, s19
.LBB287_602:                            ;   in Loop: Header=BB287_15 Depth=1
	s_or_b32 exec_lo, exec_lo, s17
	v_mov_b32_e32 v0, 0
	v_lshrrev_b16 v3, 8, v29
	s_mov_b32 s17, exec_lo
	buffer_store_dword v0, off, s[0:3], s32 offset:460 ; 4-byte Folded Spill
	v_mov_b32_e32 v0, 0
	buffer_store_dword v0, off, s[0:3], s32 offset:456 ; 4-byte Folded Spill
	v_cmpx_ne_u16_e32 0, v3
	s_cbranch_execz .LBB287_610
; %bb.603:                              ;   in Loop: Header=BB287_15 Depth=1
	v_bfrev_b32_e32 v0, 1
	s_mov_b32 s19, exec_lo
	buffer_store_dword v0, off, s[0:3], s32 offset:456 ; 4-byte Folded Spill
	v_cmpx_ne_u16_e32 0x80, v3
	s_cbranch_execz .LBB287_609
; %bb.604:                              ;   in Loop: Header=BB287_15 Depth=1
	v_mov_b32_e32 v0, 0x7f
	s_mov_b32 s22, exec_lo
	v_and_b32_sdwa v2, v3, v0 dst_sel:DWORD dst_unused:UNUSED_PAD src0_sel:WORD_0 src1_sel:DWORD
	v_mov_b32_e32 v0, 0x7c010000
	buffer_store_dword v0, off, s[0:3], s32 offset:456 ; 4-byte Folded Spill
	v_cmpx_ne_u32_e32 0x7f, v2
	s_cbranch_execz .LBB287_608
; %bb.605:                              ;   in Loop: Header=BB287_15 Depth=1
	v_mov_b32_e32 v0, 7
	v_lshrrev_b32_e32 v1, 3, v2
	s_mov_b32 s23, exec_lo
	v_and_b32_sdwa v0, v3, v0 dst_sel:DWORD dst_unused:UNUSED_PAD src0_sel:WORD_0 src1_sel:DWORD
	v_cmpx_gt_u32_e32 8, v2
; %bb.606:                              ;   in Loop: Header=BB287_15 Depth=1
	v_ffbh_u32_e32 v0, v0
	v_min_u32_e32 v2, 32, v0
	v_subrev_nc_u32_e32 v0, 28, v2
	v_lshlrev_b64 v[0:1], v0, v[3:4]
	v_sub_nc_u32_e32 v1, 29, v2
	v_and_b32_e32 v0, 7, v0
; %bb.607:                              ;   in Loop: Header=BB287_15 Depth=1
	s_or_b32 exec_lo, exec_lo, s23
	v_mov_b32_e32 v2, 8
	v_lshl_add_u32 v1, v1, 10, 0x2000
	v_lshlrev_b32_e32 v0, 23, v0
	v_lshlrev_b32_sdwa v2, v2, v3 dst_sel:DWORD dst_unused:UNUSED_PAD src0_sel:DWORD src1_sel:WORD_0
	v_and_or_b32 v1, 0x8000, v2, v1
	v_lshl_or_b32 v0, v1, 16, v0
	buffer_store_dword v0, off, s[0:3], s32 offset:456 ; 4-byte Folded Spill
.LBB287_608:                            ;   in Loop: Header=BB287_15 Depth=1
	s_or_b32 exec_lo, exec_lo, s22
.LBB287_609:                            ;   in Loop: Header=BB287_15 Depth=1
	s_or_b32 exec_lo, exec_lo, s19
.LBB287_610:                            ;   in Loop: Header=BB287_15 Depth=1
	s_or_b32 exec_lo, exec_lo, s17
	v_lshrrev_b32_e32 v3, 16, v29
	v_cmp_ne_u16_sdwa s5, v3, v4 src0_sel:BYTE_0 src1_sel:DWORD
	s_and_saveexec_b32 s17, s5
	s_cbranch_execz .LBB287_618
; %bb.611:                              ;   in Loop: Header=BB287_15 Depth=1
	v_cmp_ne_u16_sdwa s5, v3, v64 src0_sel:BYTE_0 src1_sel:DWORD
	v_mov_b32_e32 v0, 0x8000
	buffer_store_dword v0, off, s[0:3], s32 offset:460 ; 4-byte Folded Spill
	s_and_saveexec_b32 s19, s5
	s_cbranch_execz .LBB287_617
; %bb.612:                              ;   in Loop: Header=BB287_15 Depth=1
	v_bfe_u32 v2, v29, 16, 7
	v_mov_b32_e32 v0, 0x7c01
	s_mov_b32 s22, exec_lo
	buffer_store_dword v0, off, s[0:3], s32 offset:460 ; 4-byte Folded Spill
	v_cmpx_ne_u32_e32 0x7f, v2
	s_cbranch_execz .LBB287_616
; %bb.613:                              ;   in Loop: Header=BB287_15 Depth=1
	v_and_b32_e32 v0, 7, v3
	v_lshrrev_b32_e32 v1, 3, v2
	s_mov_b32 s23, exec_lo
	v_cmpx_gt_u32_e32 8, v2
; %bb.614:                              ;   in Loop: Header=BB287_15 Depth=1
	v_ffbh_u32_e32 v0, v0
	v_min_u32_e32 v2, 32, v0
	v_subrev_nc_u32_e32 v0, 28, v2
	v_lshlrev_b64 v[0:1], v0, v[3:4]
	v_sub_nc_u32_e32 v1, 29, v2
	v_and_b32_e32 v0, 7, v0
; %bb.615:                              ;   in Loop: Header=BB287_15 Depth=1
	s_or_b32 exec_lo, exec_lo, s23
	v_lshlrev_b32_e32 v2, 8, v3
	v_lshl_add_u32 v1, v1, 10, 0x2000
	v_lshlrev_b32_e32 v0, 7, v0
	v_and_b32_e32 v2, 0x8000, v2
	v_and_b32_e32 v1, 0xfc00, v1
	v_or3_b32 v0, v2, v1, v0
	buffer_store_dword v0, off, s[0:3], s32 offset:460 ; 4-byte Folded Spill
.LBB287_616:                            ;   in Loop: Header=BB287_15 Depth=1
	s_or_b32 exec_lo, exec_lo, s22
.LBB287_617:                            ;   in Loop: Header=BB287_15 Depth=1
	s_or_b32 exec_lo, exec_lo, s19
.LBB287_618:                            ;   in Loop: Header=BB287_15 Depth=1
	s_or_b32 exec_lo, exec_lo, s17
	v_mov_b32_e32 v0, 0
	s_mov_b32 s17, exec_lo
	buffer_store_dword v0, off, s[0:3], s32 offset:464 ; 4-byte Folded Spill
	v_mov_b32_e32 v0, 0
	buffer_store_dword v0, off, s[0:3], s32 offset:468 ; 4-byte Folded Spill
	v_cmpx_lt_u32_e32 0xffffff, v29
	s_cbranch_execz .LBB287_626
; %bb.619:                              ;   in Loop: Header=BB287_15 Depth=1
	v_lshrrev_b32_e32 v3, 24, v29
	v_bfrev_b32_e32 v0, 1
	s_mov_b32 s19, exec_lo
	buffer_store_dword v0, off, s[0:3], s32 offset:468 ; 4-byte Folded Spill
	v_cmpx_ne_u32_e32 0x80, v3
	s_cbranch_execz .LBB287_625
; %bb.620:                              ;   in Loop: Header=BB287_15 Depth=1
	v_and_b32_e32 v2, 0x7f, v3
	v_mov_b32_e32 v0, 0x7c010000
	s_mov_b32 s22, exec_lo
	buffer_store_dword v0, off, s[0:3], s32 offset:468 ; 4-byte Folded Spill
	v_cmpx_ne_u32_e32 0x7f, v2
	s_cbranch_execz .LBB287_624
; %bb.621:                              ;   in Loop: Header=BB287_15 Depth=1
	v_and_b32_e32 v0, 7, v3
	v_lshrrev_b32_e32 v1, 3, v2
	s_mov_b32 s23, exec_lo
	v_cmpx_gt_u32_e32 8, v2
; %bb.622:                              ;   in Loop: Header=BB287_15 Depth=1
	v_ffbh_u32_e32 v0, v0
	v_min_u32_e32 v2, 32, v0
	v_subrev_nc_u32_e32 v0, 28, v2
	v_lshlrev_b64 v[0:1], v0, v[3:4]
	v_sub_nc_u32_e32 v1, 29, v2
	v_and_b32_e32 v0, 7, v0
; %bb.623:                              ;   in Loop: Header=BB287_15 Depth=1
	s_or_b32 exec_lo, exec_lo, s23
	v_lshlrev_b32_e32 v2, 8, v3
	v_lshl_add_u32 v1, v1, 10, 0x2000
	v_lshlrev_b32_e32 v0, 23, v0
	v_and_or_b32 v1, 0x8000, v2, v1
	v_lshl_or_b32 v0, v1, 16, v0
	buffer_store_dword v0, off, s[0:3], s32 offset:468 ; 4-byte Folded Spill
.LBB287_624:                            ;   in Loop: Header=BB287_15 Depth=1
	s_or_b32 exec_lo, exec_lo, s22
.LBB287_625:                            ;   in Loop: Header=BB287_15 Depth=1
	s_or_b32 exec_lo, exec_lo, s19
.LBB287_626:                            ;   in Loop: Header=BB287_15 Depth=1
	s_or_b32 exec_lo, exec_lo, s17
	v_mov_b32_e32 v3, v30
	v_cmp_ne_u16_sdwa s5, v30, v4 src0_sel:BYTE_0 src1_sel:DWORD
	s_and_saveexec_b32 s17, s5
	s_cbranch_execz .LBB287_634
; %bb.627:                              ;   in Loop: Header=BB287_15 Depth=1
	v_cmp_ne_u16_sdwa s5, v30, v64 src0_sel:BYTE_0 src1_sel:DWORD
	v_mov_b32_e32 v0, 0x8000
	buffer_store_dword v0, off, s[0:3], s32 offset:464 ; 4-byte Folded Spill
	s_and_saveexec_b32 s19, s5
	s_cbranch_execz .LBB287_633
; %bb.628:                              ;   in Loop: Header=BB287_15 Depth=1
	v_and_b32_e32 v2, 0x7f, v30
	v_mov_b32_e32 v0, 0x7c01
	s_mov_b32 s22, exec_lo
	buffer_store_dword v0, off, s[0:3], s32 offset:464 ; 4-byte Folded Spill
	v_cmpx_ne_u32_e32 0x7f, v2
	s_cbranch_execz .LBB287_632
; %bb.629:                              ;   in Loop: Header=BB287_15 Depth=1
	v_and_b32_e32 v0, 7, v30
	v_lshrrev_b32_e32 v1, 3, v2
	s_mov_b32 s23, exec_lo
	v_cmpx_gt_u32_e32 8, v2
; %bb.630:                              ;   in Loop: Header=BB287_15 Depth=1
	v_ffbh_u32_e32 v0, v0
	v_min_u32_e32 v2, 32, v0
	v_subrev_nc_u32_e32 v0, 28, v2
	v_lshlrev_b64 v[0:1], v0, v[3:4]
	v_sub_nc_u32_e32 v1, 29, v2
	v_and_b32_e32 v0, 7, v0
; %bb.631:                              ;   in Loop: Header=BB287_15 Depth=1
	s_or_b32 exec_lo, exec_lo, s23
	v_lshlrev_b32_e32 v2, 8, v30
	v_lshl_add_u32 v1, v1, 10, 0x2000
	v_lshlrev_b32_e32 v0, 7, v0
	v_and_b32_e32 v2, 0x8000, v2
	v_and_b32_e32 v1, 0xfc00, v1
	v_or3_b32 v0, v2, v1, v0
	buffer_store_dword v0, off, s[0:3], s32 offset:464 ; 4-byte Folded Spill
.LBB287_632:                            ;   in Loop: Header=BB287_15 Depth=1
	s_or_b32 exec_lo, exec_lo, s22
.LBB287_633:                            ;   in Loop: Header=BB287_15 Depth=1
	s_or_b32 exec_lo, exec_lo, s19
.LBB287_634:                            ;   in Loop: Header=BB287_15 Depth=1
	s_or_b32 exec_lo, exec_lo, s17
	v_mov_b32_e32 v0, 0
	v_lshrrev_b16 v3, 8, v3
	s_mov_b32 s17, exec_lo
	buffer_store_dword v0, off, s[0:3], s32 offset:472 ; 4-byte Folded Spill
	v_mov_b32_e32 v0, 0
	buffer_store_dword v0, off, s[0:3], s32 offset:476 ; 4-byte Folded Spill
	v_cmpx_ne_u16_e32 0, v3
	s_cbranch_execz .LBB287_642
; %bb.635:                              ;   in Loop: Header=BB287_15 Depth=1
	v_bfrev_b32_e32 v0, 1
	s_mov_b32 s19, exec_lo
	buffer_store_dword v0, off, s[0:3], s32 offset:476 ; 4-byte Folded Spill
	v_cmpx_ne_u16_e32 0x80, v3
	s_cbranch_execz .LBB287_641
; %bb.636:                              ;   in Loop: Header=BB287_15 Depth=1
	v_mov_b32_e32 v0, 0x7f
	s_mov_b32 s22, exec_lo
	v_and_b32_sdwa v2, v3, v0 dst_sel:DWORD dst_unused:UNUSED_PAD src0_sel:WORD_0 src1_sel:DWORD
	v_mov_b32_e32 v0, 0x7c010000
	buffer_store_dword v0, off, s[0:3], s32 offset:476 ; 4-byte Folded Spill
	v_cmpx_ne_u32_e32 0x7f, v2
	s_cbranch_execz .LBB287_640
; %bb.637:                              ;   in Loop: Header=BB287_15 Depth=1
	v_mov_b32_e32 v0, 7
	v_lshrrev_b32_e32 v1, 3, v2
	s_mov_b32 s23, exec_lo
	v_and_b32_sdwa v0, v3, v0 dst_sel:DWORD dst_unused:UNUSED_PAD src0_sel:WORD_0 src1_sel:DWORD
	v_cmpx_gt_u32_e32 8, v2
; %bb.638:                              ;   in Loop: Header=BB287_15 Depth=1
	v_ffbh_u32_e32 v0, v0
	v_min_u32_e32 v2, 32, v0
	v_subrev_nc_u32_e32 v0, 28, v2
	v_lshlrev_b64 v[0:1], v0, v[3:4]
	v_sub_nc_u32_e32 v1, 29, v2
	v_and_b32_e32 v0, 7, v0
; %bb.639:                              ;   in Loop: Header=BB287_15 Depth=1
	s_or_b32 exec_lo, exec_lo, s23
	v_mov_b32_e32 v2, 8
	v_lshl_add_u32 v1, v1, 10, 0x2000
	v_lshlrev_b32_e32 v0, 23, v0
	v_lshlrev_b32_sdwa v2, v2, v3 dst_sel:DWORD dst_unused:UNUSED_PAD src0_sel:DWORD src1_sel:WORD_0
	v_and_or_b32 v1, 0x8000, v2, v1
	v_lshl_or_b32 v0, v1, 16, v0
	buffer_store_dword v0, off, s[0:3], s32 offset:476 ; 4-byte Folded Spill
.LBB287_640:                            ;   in Loop: Header=BB287_15 Depth=1
	s_or_b32 exec_lo, exec_lo, s22
.LBB287_641:                            ;   in Loop: Header=BB287_15 Depth=1
	s_or_b32 exec_lo, exec_lo, s19
.LBB287_642:                            ;   in Loop: Header=BB287_15 Depth=1
	s_or_b32 exec_lo, exec_lo, s17
	v_lshrrev_b32_e32 v3, 16, v30
	v_cmp_ne_u16_sdwa s5, v3, v4 src0_sel:BYTE_0 src1_sel:DWORD
	s_and_saveexec_b32 s17, s5
	s_cbranch_execz .LBB287_650
; %bb.643:                              ;   in Loop: Header=BB287_15 Depth=1
	v_cmp_ne_u16_sdwa s5, v3, v64 src0_sel:BYTE_0 src1_sel:DWORD
	v_mov_b32_e32 v0, 0x8000
	buffer_store_dword v0, off, s[0:3], s32 offset:472 ; 4-byte Folded Spill
	s_and_saveexec_b32 s19, s5
	s_cbranch_execz .LBB287_649
; %bb.644:                              ;   in Loop: Header=BB287_15 Depth=1
	v_bfe_u32 v2, v30, 16, 7
	v_mov_b32_e32 v0, 0x7c01
	s_mov_b32 s22, exec_lo
	buffer_store_dword v0, off, s[0:3], s32 offset:472 ; 4-byte Folded Spill
	v_cmpx_ne_u32_e32 0x7f, v2
	s_cbranch_execz .LBB287_648
; %bb.645:                              ;   in Loop: Header=BB287_15 Depth=1
	v_and_b32_e32 v0, 7, v3
	v_lshrrev_b32_e32 v1, 3, v2
	s_mov_b32 s23, exec_lo
	v_cmpx_gt_u32_e32 8, v2
; %bb.646:                              ;   in Loop: Header=BB287_15 Depth=1
	v_ffbh_u32_e32 v0, v0
	v_min_u32_e32 v2, 32, v0
	v_subrev_nc_u32_e32 v0, 28, v2
	v_lshlrev_b64 v[0:1], v0, v[3:4]
	v_sub_nc_u32_e32 v1, 29, v2
	v_and_b32_e32 v0, 7, v0
; %bb.647:                              ;   in Loop: Header=BB287_15 Depth=1
	s_or_b32 exec_lo, exec_lo, s23
	v_lshlrev_b32_e32 v2, 8, v3
	v_lshl_add_u32 v1, v1, 10, 0x2000
	v_lshlrev_b32_e32 v0, 7, v0
	v_and_b32_e32 v2, 0x8000, v2
	v_and_b32_e32 v1, 0xfc00, v1
	v_or3_b32 v0, v2, v1, v0
	buffer_store_dword v0, off, s[0:3], s32 offset:472 ; 4-byte Folded Spill
.LBB287_648:                            ;   in Loop: Header=BB287_15 Depth=1
	s_or_b32 exec_lo, exec_lo, s22
.LBB287_649:                            ;   in Loop: Header=BB287_15 Depth=1
	s_or_b32 exec_lo, exec_lo, s19
.LBB287_650:                            ;   in Loop: Header=BB287_15 Depth=1
	s_or_b32 exec_lo, exec_lo, s17
	v_mov_b32_e32 v0, 0
	s_mov_b32 s17, exec_lo
	buffer_store_dword v0, off, s[0:3], s32 offset:480 ; 4-byte Folded Spill
	v_mov_b32_e32 v0, 0
	buffer_store_dword v0, off, s[0:3], s32 offset:776 ; 4-byte Folded Spill
	v_cmpx_lt_u64_e64 s[8:9], v[29:30]
	s_cbranch_execz .LBB287_658
; %bb.651:                              ;   in Loop: Header=BB287_15 Depth=1
	v_lshrrev_b32_e32 v3, 24, v30
	v_bfrev_b32_e32 v0, 1
	s_mov_b32 s19, exec_lo
	v_cmpx_ne_u32_e32 0x80, v3
	s_cbranch_execz .LBB287_657
; %bb.652:                              ;   in Loop: Header=BB287_15 Depth=1
	v_and_b32_e32 v2, 0x7f, v3
	v_mov_b32_e32 v0, 0x7c010000
	s_mov_b32 s22, exec_lo
	v_cmpx_ne_u32_e32 0x7f, v2
	s_cbranch_execz .LBB287_656
; %bb.653:                              ;   in Loop: Header=BB287_15 Depth=1
	v_and_b32_e32 v0, 7, v3
	v_lshrrev_b32_e32 v1, 3, v2
	s_mov_b32 s23, exec_lo
	v_cmpx_gt_u32_e32 8, v2
; %bb.654:                              ;   in Loop: Header=BB287_15 Depth=1
	v_ffbh_u32_e32 v0, v0
	v_min_u32_e32 v2, 32, v0
	v_subrev_nc_u32_e32 v0, 28, v2
	v_lshlrev_b64 v[0:1], v0, v[3:4]
	v_sub_nc_u32_e32 v1, 29, v2
	v_and_b32_e32 v0, 7, v0
; %bb.655:                              ;   in Loop: Header=BB287_15 Depth=1
	s_or_b32 exec_lo, exec_lo, s23
	v_lshlrev_b32_e32 v2, 8, v3
	v_lshl_add_u32 v1, v1, 10, 0x2000
	v_lshlrev_b32_e32 v0, 23, v0
	v_and_or_b32 v1, 0x8000, v2, v1
	v_lshl_or_b32 v0, v1, 16, v0
.LBB287_656:                            ;   in Loop: Header=BB287_15 Depth=1
	s_or_b32 exec_lo, exec_lo, s22
.LBB287_657:                            ;   in Loop: Header=BB287_15 Depth=1
	s_or_b32 exec_lo, exec_lo, s19
	buffer_store_dword v0, off, s[0:3], s32 offset:776 ; 4-byte Folded Spill
.LBB287_658:                            ;   in Loop: Header=BB287_15 Depth=1
	s_or_b32 exec_lo, exec_lo, s17
	flat_load_dwordx2 v[29:30], v[27:28] offset:512
	s_waitcnt vmcnt(0) lgkmcnt(0)
	v_cmp_ne_u16_sdwa s5, v29, v4 src0_sel:BYTE_0 src1_sel:DWORD
	s_and_saveexec_b32 s17, s5
	s_cbranch_execz .LBB287_666
; %bb.659:                              ;   in Loop: Header=BB287_15 Depth=1
	v_cmp_ne_u16_sdwa s5, v29, v64 src0_sel:BYTE_0 src1_sel:DWORD
	v_mov_b32_e32 v0, 0x8000
	buffer_store_dword v0, off, s[0:3], s32 offset:480 ; 4-byte Folded Spill
	s_and_saveexec_b32 s19, s5
	s_cbranch_execz .LBB287_665
; %bb.660:                              ;   in Loop: Header=BB287_15 Depth=1
	v_and_b32_e32 v2, 0x7f, v29
	v_mov_b32_e32 v0, 0x7c01
	s_mov_b32 s22, exec_lo
	buffer_store_dword v0, off, s[0:3], s32 offset:480 ; 4-byte Folded Spill
	v_cmpx_ne_u32_e32 0x7f, v2
	s_cbranch_execz .LBB287_664
; %bb.661:                              ;   in Loop: Header=BB287_15 Depth=1
	v_and_b32_e32 v0, 7, v29
	v_lshrrev_b32_e32 v1, 3, v2
	s_mov_b32 s23, exec_lo
	v_cmpx_gt_u32_e32 8, v2
; %bb.662:                              ;   in Loop: Header=BB287_15 Depth=1
	v_ffbh_u32_e32 v0, v0
	v_min_u32_e32 v2, 32, v0
	v_subrev_nc_u32_e32 v0, 28, v2
	v_lshlrev_b64 v[0:1], v0, v[29:30]
	v_sub_nc_u32_e32 v1, 29, v2
	v_and_b32_e32 v0, 7, v0
; %bb.663:                              ;   in Loop: Header=BB287_15 Depth=1
	s_or_b32 exec_lo, exec_lo, s23
	v_lshlrev_b32_e32 v2, 8, v29
	v_lshl_add_u32 v1, v1, 10, 0x2000
	v_lshlrev_b32_e32 v0, 7, v0
	v_and_b32_e32 v2, 0x8000, v2
	v_and_b32_e32 v1, 0xfc00, v1
	v_or3_b32 v0, v2, v1, v0
	buffer_store_dword v0, off, s[0:3], s32 offset:480 ; 4-byte Folded Spill
.LBB287_664:                            ;   in Loop: Header=BB287_15 Depth=1
	s_or_b32 exec_lo, exec_lo, s22
.LBB287_665:                            ;   in Loop: Header=BB287_15 Depth=1
	s_or_b32 exec_lo, exec_lo, s19
.LBB287_666:                            ;   in Loop: Header=BB287_15 Depth=1
	s_or_b32 exec_lo, exec_lo, s17
	v_mov_b32_e32 v0, 0
	v_lshrrev_b16 v3, 8, v29
	s_mov_b32 s17, exec_lo
	buffer_store_dword v0, off, s[0:3], s32 offset:488 ; 4-byte Folded Spill
	v_mov_b32_e32 v0, 0
	buffer_store_dword v0, off, s[0:3], s32 offset:484 ; 4-byte Folded Spill
	v_cmpx_ne_u16_e32 0, v3
	s_cbranch_execz .LBB287_674
; %bb.667:                              ;   in Loop: Header=BB287_15 Depth=1
	v_bfrev_b32_e32 v0, 1
	s_mov_b32 s19, exec_lo
	buffer_store_dword v0, off, s[0:3], s32 offset:484 ; 4-byte Folded Spill
	v_cmpx_ne_u16_e32 0x80, v3
	s_cbranch_execz .LBB287_673
; %bb.668:                              ;   in Loop: Header=BB287_15 Depth=1
	v_mov_b32_e32 v0, 0x7f
	s_mov_b32 s22, exec_lo
	v_and_b32_sdwa v2, v3, v0 dst_sel:DWORD dst_unused:UNUSED_PAD src0_sel:WORD_0 src1_sel:DWORD
	v_mov_b32_e32 v0, 0x7c010000
	buffer_store_dword v0, off, s[0:3], s32 offset:484 ; 4-byte Folded Spill
	v_cmpx_ne_u32_e32 0x7f, v2
	s_cbranch_execz .LBB287_672
; %bb.669:                              ;   in Loop: Header=BB287_15 Depth=1
	v_mov_b32_e32 v0, 7
	v_lshrrev_b32_e32 v1, 3, v2
	s_mov_b32 s23, exec_lo
	v_and_b32_sdwa v0, v3, v0 dst_sel:DWORD dst_unused:UNUSED_PAD src0_sel:WORD_0 src1_sel:DWORD
	v_cmpx_gt_u32_e32 8, v2
; %bb.670:                              ;   in Loop: Header=BB287_15 Depth=1
	v_ffbh_u32_e32 v0, v0
	v_min_u32_e32 v2, 32, v0
	v_subrev_nc_u32_e32 v0, 28, v2
	v_lshlrev_b64 v[0:1], v0, v[3:4]
	v_sub_nc_u32_e32 v1, 29, v2
	v_and_b32_e32 v0, 7, v0
; %bb.671:                              ;   in Loop: Header=BB287_15 Depth=1
	s_or_b32 exec_lo, exec_lo, s23
	v_mov_b32_e32 v2, 8
	v_lshl_add_u32 v1, v1, 10, 0x2000
	v_lshlrev_b32_e32 v0, 23, v0
	v_lshlrev_b32_sdwa v2, v2, v3 dst_sel:DWORD dst_unused:UNUSED_PAD src0_sel:DWORD src1_sel:WORD_0
	v_and_or_b32 v1, 0x8000, v2, v1
	v_lshl_or_b32 v0, v1, 16, v0
	buffer_store_dword v0, off, s[0:3], s32 offset:484 ; 4-byte Folded Spill
.LBB287_672:                            ;   in Loop: Header=BB287_15 Depth=1
	s_or_b32 exec_lo, exec_lo, s22
.LBB287_673:                            ;   in Loop: Header=BB287_15 Depth=1
	s_or_b32 exec_lo, exec_lo, s19
.LBB287_674:                            ;   in Loop: Header=BB287_15 Depth=1
	s_or_b32 exec_lo, exec_lo, s17
	v_lshrrev_b32_e32 v3, 16, v29
	v_cmp_ne_u16_sdwa s5, v3, v4 src0_sel:BYTE_0 src1_sel:DWORD
	s_and_saveexec_b32 s17, s5
	s_cbranch_execz .LBB287_682
; %bb.675:                              ;   in Loop: Header=BB287_15 Depth=1
	v_cmp_ne_u16_sdwa s5, v3, v64 src0_sel:BYTE_0 src1_sel:DWORD
	v_mov_b32_e32 v0, 0x8000
	buffer_store_dword v0, off, s[0:3], s32 offset:488 ; 4-byte Folded Spill
	s_and_saveexec_b32 s19, s5
	s_cbranch_execz .LBB287_681
; %bb.676:                              ;   in Loop: Header=BB287_15 Depth=1
	v_bfe_u32 v2, v29, 16, 7
	v_mov_b32_e32 v0, 0x7c01
	s_mov_b32 s22, exec_lo
	buffer_store_dword v0, off, s[0:3], s32 offset:488 ; 4-byte Folded Spill
	v_cmpx_ne_u32_e32 0x7f, v2
	s_cbranch_execz .LBB287_680
; %bb.677:                              ;   in Loop: Header=BB287_15 Depth=1
	v_and_b32_e32 v0, 7, v3
	v_lshrrev_b32_e32 v1, 3, v2
	s_mov_b32 s23, exec_lo
	v_cmpx_gt_u32_e32 8, v2
; %bb.678:                              ;   in Loop: Header=BB287_15 Depth=1
	v_ffbh_u32_e32 v0, v0
	v_min_u32_e32 v2, 32, v0
	v_subrev_nc_u32_e32 v0, 28, v2
	v_lshlrev_b64 v[0:1], v0, v[3:4]
	v_sub_nc_u32_e32 v1, 29, v2
	v_and_b32_e32 v0, 7, v0
; %bb.679:                              ;   in Loop: Header=BB287_15 Depth=1
	s_or_b32 exec_lo, exec_lo, s23
	v_lshlrev_b32_e32 v2, 8, v3
	v_lshl_add_u32 v1, v1, 10, 0x2000
	v_lshlrev_b32_e32 v0, 7, v0
	v_and_b32_e32 v2, 0x8000, v2
	v_and_b32_e32 v1, 0xfc00, v1
	v_or3_b32 v0, v2, v1, v0
	buffer_store_dword v0, off, s[0:3], s32 offset:488 ; 4-byte Folded Spill
.LBB287_680:                            ;   in Loop: Header=BB287_15 Depth=1
	s_or_b32 exec_lo, exec_lo, s22
.LBB287_681:                            ;   in Loop: Header=BB287_15 Depth=1
	s_or_b32 exec_lo, exec_lo, s19
.LBB287_682:                            ;   in Loop: Header=BB287_15 Depth=1
	s_or_b32 exec_lo, exec_lo, s17
	v_mov_b32_e32 v0, 0
	s_mov_b32 s17, exec_lo
	buffer_store_dword v0, off, s[0:3], s32 offset:492 ; 4-byte Folded Spill
	v_mov_b32_e32 v0, 0
	buffer_store_dword v0, off, s[0:3], s32 offset:496 ; 4-byte Folded Spill
	v_cmpx_lt_u32_e32 0xffffff, v29
	s_cbranch_execz .LBB287_690
; %bb.683:                              ;   in Loop: Header=BB287_15 Depth=1
	v_lshrrev_b32_e32 v3, 24, v29
	v_bfrev_b32_e32 v0, 1
	s_mov_b32 s19, exec_lo
	buffer_store_dword v0, off, s[0:3], s32 offset:496 ; 4-byte Folded Spill
	v_cmpx_ne_u32_e32 0x80, v3
	s_cbranch_execz .LBB287_689
; %bb.684:                              ;   in Loop: Header=BB287_15 Depth=1
	v_and_b32_e32 v2, 0x7f, v3
	v_mov_b32_e32 v0, 0x7c010000
	s_mov_b32 s22, exec_lo
	buffer_store_dword v0, off, s[0:3], s32 offset:496 ; 4-byte Folded Spill
	v_cmpx_ne_u32_e32 0x7f, v2
	s_cbranch_execz .LBB287_688
; %bb.685:                              ;   in Loop: Header=BB287_15 Depth=1
	v_and_b32_e32 v0, 7, v3
	v_lshrrev_b32_e32 v1, 3, v2
	s_mov_b32 s23, exec_lo
	v_cmpx_gt_u32_e32 8, v2
; %bb.686:                              ;   in Loop: Header=BB287_15 Depth=1
	v_ffbh_u32_e32 v0, v0
	v_min_u32_e32 v2, 32, v0
	v_subrev_nc_u32_e32 v0, 28, v2
	v_lshlrev_b64 v[0:1], v0, v[3:4]
	v_sub_nc_u32_e32 v1, 29, v2
	v_and_b32_e32 v0, 7, v0
; %bb.687:                              ;   in Loop: Header=BB287_15 Depth=1
	s_or_b32 exec_lo, exec_lo, s23
	v_lshlrev_b32_e32 v2, 8, v3
	v_lshl_add_u32 v1, v1, 10, 0x2000
	v_lshlrev_b32_e32 v0, 23, v0
	v_and_or_b32 v1, 0x8000, v2, v1
	v_lshl_or_b32 v0, v1, 16, v0
	buffer_store_dword v0, off, s[0:3], s32 offset:496 ; 4-byte Folded Spill
.LBB287_688:                            ;   in Loop: Header=BB287_15 Depth=1
	s_or_b32 exec_lo, exec_lo, s22
.LBB287_689:                            ;   in Loop: Header=BB287_15 Depth=1
	s_or_b32 exec_lo, exec_lo, s19
.LBB287_690:                            ;   in Loop: Header=BB287_15 Depth=1
	s_or_b32 exec_lo, exec_lo, s17
	v_mov_b32_e32 v3, v30
	v_cmp_ne_u16_sdwa s5, v30, v4 src0_sel:BYTE_0 src1_sel:DWORD
	s_and_saveexec_b32 s17, s5
	s_cbranch_execz .LBB287_698
; %bb.691:                              ;   in Loop: Header=BB287_15 Depth=1
	v_cmp_ne_u16_sdwa s5, v30, v64 src0_sel:BYTE_0 src1_sel:DWORD
	v_mov_b32_e32 v0, 0x8000
	buffer_store_dword v0, off, s[0:3], s32 offset:492 ; 4-byte Folded Spill
	s_and_saveexec_b32 s19, s5
	s_cbranch_execz .LBB287_697
; %bb.692:                              ;   in Loop: Header=BB287_15 Depth=1
	v_and_b32_e32 v2, 0x7f, v30
	v_mov_b32_e32 v0, 0x7c01
	s_mov_b32 s22, exec_lo
	buffer_store_dword v0, off, s[0:3], s32 offset:492 ; 4-byte Folded Spill
	v_cmpx_ne_u32_e32 0x7f, v2
	s_cbranch_execz .LBB287_696
; %bb.693:                              ;   in Loop: Header=BB287_15 Depth=1
	v_and_b32_e32 v0, 7, v30
	v_lshrrev_b32_e32 v1, 3, v2
	s_mov_b32 s23, exec_lo
	v_cmpx_gt_u32_e32 8, v2
; %bb.694:                              ;   in Loop: Header=BB287_15 Depth=1
	v_ffbh_u32_e32 v0, v0
	v_min_u32_e32 v2, 32, v0
	v_subrev_nc_u32_e32 v0, 28, v2
	v_lshlrev_b64 v[0:1], v0, v[3:4]
	v_sub_nc_u32_e32 v1, 29, v2
	v_and_b32_e32 v0, 7, v0
; %bb.695:                              ;   in Loop: Header=BB287_15 Depth=1
	s_or_b32 exec_lo, exec_lo, s23
	v_lshlrev_b32_e32 v2, 8, v30
	v_lshl_add_u32 v1, v1, 10, 0x2000
	v_lshlrev_b32_e32 v0, 7, v0
	v_and_b32_e32 v2, 0x8000, v2
	v_and_b32_e32 v1, 0xfc00, v1
	v_or3_b32 v0, v2, v1, v0
	buffer_store_dword v0, off, s[0:3], s32 offset:492 ; 4-byte Folded Spill
.LBB287_696:                            ;   in Loop: Header=BB287_15 Depth=1
	s_or_b32 exec_lo, exec_lo, s22
.LBB287_697:                            ;   in Loop: Header=BB287_15 Depth=1
	s_or_b32 exec_lo, exec_lo, s19
.LBB287_698:                            ;   in Loop: Header=BB287_15 Depth=1
	s_or_b32 exec_lo, exec_lo, s17
	v_mov_b32_e32 v0, 0
	v_lshrrev_b16 v3, 8, v3
	s_mov_b32 s17, exec_lo
	buffer_store_dword v0, off, s[0:3], s32 offset:500 ; 4-byte Folded Spill
	v_mov_b32_e32 v0, 0
	buffer_store_dword v0, off, s[0:3], s32 offset:504 ; 4-byte Folded Spill
	v_cmpx_ne_u16_e32 0, v3
	s_cbranch_execz .LBB287_706
; %bb.699:                              ;   in Loop: Header=BB287_15 Depth=1
	v_bfrev_b32_e32 v0, 1
	s_mov_b32 s19, exec_lo
	buffer_store_dword v0, off, s[0:3], s32 offset:504 ; 4-byte Folded Spill
	v_cmpx_ne_u16_e32 0x80, v3
	s_cbranch_execz .LBB287_705
; %bb.700:                              ;   in Loop: Header=BB287_15 Depth=1
	v_mov_b32_e32 v0, 0x7f
	s_mov_b32 s22, exec_lo
	v_and_b32_sdwa v2, v3, v0 dst_sel:DWORD dst_unused:UNUSED_PAD src0_sel:WORD_0 src1_sel:DWORD
	v_mov_b32_e32 v0, 0x7c010000
	buffer_store_dword v0, off, s[0:3], s32 offset:504 ; 4-byte Folded Spill
	v_cmpx_ne_u32_e32 0x7f, v2
	s_cbranch_execz .LBB287_704
; %bb.701:                              ;   in Loop: Header=BB287_15 Depth=1
	v_mov_b32_e32 v0, 7
	v_lshrrev_b32_e32 v1, 3, v2
	s_mov_b32 s23, exec_lo
	v_and_b32_sdwa v0, v3, v0 dst_sel:DWORD dst_unused:UNUSED_PAD src0_sel:WORD_0 src1_sel:DWORD
	v_cmpx_gt_u32_e32 8, v2
; %bb.702:                              ;   in Loop: Header=BB287_15 Depth=1
	v_ffbh_u32_e32 v0, v0
	v_min_u32_e32 v2, 32, v0
	v_subrev_nc_u32_e32 v0, 28, v2
	v_lshlrev_b64 v[0:1], v0, v[3:4]
	v_sub_nc_u32_e32 v1, 29, v2
	v_and_b32_e32 v0, 7, v0
; %bb.703:                              ;   in Loop: Header=BB287_15 Depth=1
	s_or_b32 exec_lo, exec_lo, s23
	v_mov_b32_e32 v2, 8
	v_lshl_add_u32 v1, v1, 10, 0x2000
	v_lshlrev_b32_e32 v0, 23, v0
	v_lshlrev_b32_sdwa v2, v2, v3 dst_sel:DWORD dst_unused:UNUSED_PAD src0_sel:DWORD src1_sel:WORD_0
	v_and_or_b32 v1, 0x8000, v2, v1
	v_lshl_or_b32 v0, v1, 16, v0
	buffer_store_dword v0, off, s[0:3], s32 offset:504 ; 4-byte Folded Spill
.LBB287_704:                            ;   in Loop: Header=BB287_15 Depth=1
	s_or_b32 exec_lo, exec_lo, s22
.LBB287_705:                            ;   in Loop: Header=BB287_15 Depth=1
	s_or_b32 exec_lo, exec_lo, s19
.LBB287_706:                            ;   in Loop: Header=BB287_15 Depth=1
	s_or_b32 exec_lo, exec_lo, s17
	v_lshrrev_b32_e32 v3, 16, v30
	v_cmp_ne_u16_sdwa s5, v3, v4 src0_sel:BYTE_0 src1_sel:DWORD
	s_and_saveexec_b32 s17, s5
	s_cbranch_execz .LBB287_714
; %bb.707:                              ;   in Loop: Header=BB287_15 Depth=1
	v_cmp_ne_u16_sdwa s5, v3, v64 src0_sel:BYTE_0 src1_sel:DWORD
	v_mov_b32_e32 v0, 0x8000
	buffer_store_dword v0, off, s[0:3], s32 offset:500 ; 4-byte Folded Spill
	s_and_saveexec_b32 s19, s5
	s_cbranch_execz .LBB287_713
; %bb.708:                              ;   in Loop: Header=BB287_15 Depth=1
	v_bfe_u32 v2, v30, 16, 7
	v_mov_b32_e32 v0, 0x7c01
	s_mov_b32 s22, exec_lo
	buffer_store_dword v0, off, s[0:3], s32 offset:500 ; 4-byte Folded Spill
	v_cmpx_ne_u32_e32 0x7f, v2
	s_cbranch_execz .LBB287_712
; %bb.709:                              ;   in Loop: Header=BB287_15 Depth=1
	v_and_b32_e32 v0, 7, v3
	v_lshrrev_b32_e32 v1, 3, v2
	s_mov_b32 s23, exec_lo
	v_cmpx_gt_u32_e32 8, v2
; %bb.710:                              ;   in Loop: Header=BB287_15 Depth=1
	v_ffbh_u32_e32 v0, v0
	v_min_u32_e32 v2, 32, v0
	v_subrev_nc_u32_e32 v0, 28, v2
	v_lshlrev_b64 v[0:1], v0, v[3:4]
	v_sub_nc_u32_e32 v1, 29, v2
	v_and_b32_e32 v0, 7, v0
; %bb.711:                              ;   in Loop: Header=BB287_15 Depth=1
	s_or_b32 exec_lo, exec_lo, s23
	v_lshlrev_b32_e32 v2, 8, v3
	v_lshl_add_u32 v1, v1, 10, 0x2000
	v_lshlrev_b32_e32 v0, 7, v0
	v_and_b32_e32 v2, 0x8000, v2
	v_and_b32_e32 v1, 0xfc00, v1
	v_or3_b32 v0, v2, v1, v0
	buffer_store_dword v0, off, s[0:3], s32 offset:500 ; 4-byte Folded Spill
.LBB287_712:                            ;   in Loop: Header=BB287_15 Depth=1
	s_or_b32 exec_lo, exec_lo, s22
.LBB287_713:                            ;   in Loop: Header=BB287_15 Depth=1
	s_or_b32 exec_lo, exec_lo, s19
.LBB287_714:                            ;   in Loop: Header=BB287_15 Depth=1
	s_or_b32 exec_lo, exec_lo, s17
	v_mov_b32_e32 v0, 0
	s_mov_b32 s17, exec_lo
	buffer_store_dword v0, off, s[0:3], s32 offset:508 ; 4-byte Folded Spill
	v_mov_b32_e32 v0, 0
	buffer_store_dword v0, off, s[0:3], s32 offset:780 ; 4-byte Folded Spill
	v_cmpx_lt_u64_e64 s[8:9], v[29:30]
	s_cbranch_execz .LBB287_722
; %bb.715:                              ;   in Loop: Header=BB287_15 Depth=1
	v_lshrrev_b32_e32 v3, 24, v30
	v_bfrev_b32_e32 v0, 1
	s_mov_b32 s19, exec_lo
	v_cmpx_ne_u32_e32 0x80, v3
	s_cbranch_execz .LBB287_721
; %bb.716:                              ;   in Loop: Header=BB287_15 Depth=1
	v_and_b32_e32 v2, 0x7f, v3
	v_mov_b32_e32 v0, 0x7c010000
	s_mov_b32 s22, exec_lo
	v_cmpx_ne_u32_e32 0x7f, v2
	s_cbranch_execz .LBB287_720
; %bb.717:                              ;   in Loop: Header=BB287_15 Depth=1
	v_and_b32_e32 v0, 7, v3
	v_lshrrev_b32_e32 v1, 3, v2
	s_mov_b32 s23, exec_lo
	v_cmpx_gt_u32_e32 8, v2
; %bb.718:                              ;   in Loop: Header=BB287_15 Depth=1
	v_ffbh_u32_e32 v0, v0
	v_min_u32_e32 v2, 32, v0
	v_subrev_nc_u32_e32 v0, 28, v2
	v_lshlrev_b64 v[0:1], v0, v[3:4]
	v_sub_nc_u32_e32 v1, 29, v2
	v_and_b32_e32 v0, 7, v0
; %bb.719:                              ;   in Loop: Header=BB287_15 Depth=1
	s_or_b32 exec_lo, exec_lo, s23
	v_lshlrev_b32_e32 v2, 8, v3
	v_lshl_add_u32 v1, v1, 10, 0x2000
	v_lshlrev_b32_e32 v0, 23, v0
	v_and_or_b32 v1, 0x8000, v2, v1
	v_lshl_or_b32 v0, v1, 16, v0
.LBB287_720:                            ;   in Loop: Header=BB287_15 Depth=1
	s_or_b32 exec_lo, exec_lo, s22
.LBB287_721:                            ;   in Loop: Header=BB287_15 Depth=1
	s_or_b32 exec_lo, exec_lo, s19
	buffer_store_dword v0, off, s[0:3], s32 offset:780 ; 4-byte Folded Spill
.LBB287_722:                            ;   in Loop: Header=BB287_15 Depth=1
	s_or_b32 exec_lo, exec_lo, s17
	flat_load_dwordx2 v[29:30], v[27:28] offset:520
	s_waitcnt vmcnt(0) lgkmcnt(0)
	v_cmp_ne_u16_sdwa s5, v29, v4 src0_sel:BYTE_0 src1_sel:DWORD
	s_and_saveexec_b32 s17, s5
	s_cbranch_execz .LBB287_730
; %bb.723:                              ;   in Loop: Header=BB287_15 Depth=1
	v_cmp_ne_u16_sdwa s5, v29, v64 src0_sel:BYTE_0 src1_sel:DWORD
	v_mov_b32_e32 v0, 0x8000
	buffer_store_dword v0, off, s[0:3], s32 offset:508 ; 4-byte Folded Spill
	s_and_saveexec_b32 s19, s5
	s_cbranch_execz .LBB287_729
; %bb.724:                              ;   in Loop: Header=BB287_15 Depth=1
	v_and_b32_e32 v2, 0x7f, v29
	v_mov_b32_e32 v0, 0x7c01
	s_mov_b32 s22, exec_lo
	buffer_store_dword v0, off, s[0:3], s32 offset:508 ; 4-byte Folded Spill
	v_cmpx_ne_u32_e32 0x7f, v2
	s_cbranch_execz .LBB287_728
; %bb.725:                              ;   in Loop: Header=BB287_15 Depth=1
	v_and_b32_e32 v0, 7, v29
	v_lshrrev_b32_e32 v1, 3, v2
	s_mov_b32 s23, exec_lo
	v_cmpx_gt_u32_e32 8, v2
; %bb.726:                              ;   in Loop: Header=BB287_15 Depth=1
	v_ffbh_u32_e32 v0, v0
	v_min_u32_e32 v2, 32, v0
	v_subrev_nc_u32_e32 v0, 28, v2
	v_lshlrev_b64 v[0:1], v0, v[29:30]
	v_sub_nc_u32_e32 v1, 29, v2
	v_and_b32_e32 v0, 7, v0
; %bb.727:                              ;   in Loop: Header=BB287_15 Depth=1
	s_or_b32 exec_lo, exec_lo, s23
	v_lshlrev_b32_e32 v2, 8, v29
	v_lshl_add_u32 v1, v1, 10, 0x2000
	v_lshlrev_b32_e32 v0, 7, v0
	v_and_b32_e32 v2, 0x8000, v2
	v_and_b32_e32 v1, 0xfc00, v1
	v_or3_b32 v0, v2, v1, v0
	buffer_store_dword v0, off, s[0:3], s32 offset:508 ; 4-byte Folded Spill
.LBB287_728:                            ;   in Loop: Header=BB287_15 Depth=1
	s_or_b32 exec_lo, exec_lo, s22
.LBB287_729:                            ;   in Loop: Header=BB287_15 Depth=1
	s_or_b32 exec_lo, exec_lo, s19
.LBB287_730:                            ;   in Loop: Header=BB287_15 Depth=1
	s_or_b32 exec_lo, exec_lo, s17
	v_mov_b32_e32 v0, 0
	v_lshrrev_b16 v3, 8, v29
	s_mov_b32 s17, exec_lo
	buffer_store_dword v0, off, s[0:3], s32 offset:516 ; 4-byte Folded Spill
	v_mov_b32_e32 v0, 0
	buffer_store_dword v0, off, s[0:3], s32 offset:512 ; 4-byte Folded Spill
	v_cmpx_ne_u16_e32 0, v3
	s_cbranch_execz .LBB287_738
; %bb.731:                              ;   in Loop: Header=BB287_15 Depth=1
	v_bfrev_b32_e32 v0, 1
	s_mov_b32 s19, exec_lo
	buffer_store_dword v0, off, s[0:3], s32 offset:512 ; 4-byte Folded Spill
	v_cmpx_ne_u16_e32 0x80, v3
	s_cbranch_execz .LBB287_737
; %bb.732:                              ;   in Loop: Header=BB287_15 Depth=1
	v_mov_b32_e32 v0, 0x7f
	s_mov_b32 s22, exec_lo
	v_and_b32_sdwa v2, v3, v0 dst_sel:DWORD dst_unused:UNUSED_PAD src0_sel:WORD_0 src1_sel:DWORD
	v_mov_b32_e32 v0, 0x7c010000
	buffer_store_dword v0, off, s[0:3], s32 offset:512 ; 4-byte Folded Spill
	v_cmpx_ne_u32_e32 0x7f, v2
	s_cbranch_execz .LBB287_736
; %bb.733:                              ;   in Loop: Header=BB287_15 Depth=1
	v_mov_b32_e32 v0, 7
	v_lshrrev_b32_e32 v1, 3, v2
	s_mov_b32 s23, exec_lo
	v_and_b32_sdwa v0, v3, v0 dst_sel:DWORD dst_unused:UNUSED_PAD src0_sel:WORD_0 src1_sel:DWORD
	v_cmpx_gt_u32_e32 8, v2
; %bb.734:                              ;   in Loop: Header=BB287_15 Depth=1
	v_ffbh_u32_e32 v0, v0
	v_min_u32_e32 v2, 32, v0
	v_subrev_nc_u32_e32 v0, 28, v2
	v_lshlrev_b64 v[0:1], v0, v[3:4]
	v_sub_nc_u32_e32 v1, 29, v2
	v_and_b32_e32 v0, 7, v0
; %bb.735:                              ;   in Loop: Header=BB287_15 Depth=1
	s_or_b32 exec_lo, exec_lo, s23
	v_mov_b32_e32 v2, 8
	v_lshl_add_u32 v1, v1, 10, 0x2000
	v_lshlrev_b32_e32 v0, 23, v0
	v_lshlrev_b32_sdwa v2, v2, v3 dst_sel:DWORD dst_unused:UNUSED_PAD src0_sel:DWORD src1_sel:WORD_0
	v_and_or_b32 v1, 0x8000, v2, v1
	v_lshl_or_b32 v0, v1, 16, v0
	buffer_store_dword v0, off, s[0:3], s32 offset:512 ; 4-byte Folded Spill
.LBB287_736:                            ;   in Loop: Header=BB287_15 Depth=1
	s_or_b32 exec_lo, exec_lo, s22
.LBB287_737:                            ;   in Loop: Header=BB287_15 Depth=1
	s_or_b32 exec_lo, exec_lo, s19
.LBB287_738:                            ;   in Loop: Header=BB287_15 Depth=1
	s_or_b32 exec_lo, exec_lo, s17
	v_lshrrev_b32_e32 v3, 16, v29
	v_cmp_ne_u16_sdwa s5, v3, v4 src0_sel:BYTE_0 src1_sel:DWORD
	s_and_saveexec_b32 s17, s5
	s_cbranch_execz .LBB287_746
; %bb.739:                              ;   in Loop: Header=BB287_15 Depth=1
	v_cmp_ne_u16_sdwa s5, v3, v64 src0_sel:BYTE_0 src1_sel:DWORD
	v_mov_b32_e32 v0, 0x8000
	buffer_store_dword v0, off, s[0:3], s32 offset:516 ; 4-byte Folded Spill
	s_and_saveexec_b32 s19, s5
	s_cbranch_execz .LBB287_745
; %bb.740:                              ;   in Loop: Header=BB287_15 Depth=1
	v_bfe_u32 v2, v29, 16, 7
	v_mov_b32_e32 v0, 0x7c01
	s_mov_b32 s22, exec_lo
	buffer_store_dword v0, off, s[0:3], s32 offset:516 ; 4-byte Folded Spill
	v_cmpx_ne_u32_e32 0x7f, v2
	s_cbranch_execz .LBB287_744
; %bb.741:                              ;   in Loop: Header=BB287_15 Depth=1
	v_and_b32_e32 v0, 7, v3
	v_lshrrev_b32_e32 v1, 3, v2
	s_mov_b32 s23, exec_lo
	v_cmpx_gt_u32_e32 8, v2
; %bb.742:                              ;   in Loop: Header=BB287_15 Depth=1
	v_ffbh_u32_e32 v0, v0
	v_min_u32_e32 v2, 32, v0
	v_subrev_nc_u32_e32 v0, 28, v2
	v_lshlrev_b64 v[0:1], v0, v[3:4]
	v_sub_nc_u32_e32 v1, 29, v2
	v_and_b32_e32 v0, 7, v0
; %bb.743:                              ;   in Loop: Header=BB287_15 Depth=1
	s_or_b32 exec_lo, exec_lo, s23
	v_lshlrev_b32_e32 v2, 8, v3
	v_lshl_add_u32 v1, v1, 10, 0x2000
	v_lshlrev_b32_e32 v0, 7, v0
	v_and_b32_e32 v2, 0x8000, v2
	v_and_b32_e32 v1, 0xfc00, v1
	v_or3_b32 v0, v2, v1, v0
	buffer_store_dword v0, off, s[0:3], s32 offset:516 ; 4-byte Folded Spill
.LBB287_744:                            ;   in Loop: Header=BB287_15 Depth=1
	s_or_b32 exec_lo, exec_lo, s22
.LBB287_745:                            ;   in Loop: Header=BB287_15 Depth=1
	s_or_b32 exec_lo, exec_lo, s19
.LBB287_746:                            ;   in Loop: Header=BB287_15 Depth=1
	s_or_b32 exec_lo, exec_lo, s17
	v_mov_b32_e32 v0, 0
	s_mov_b32 s17, exec_lo
	buffer_store_dword v0, off, s[0:3], s32 offset:520 ; 4-byte Folded Spill
	v_mov_b32_e32 v0, 0
	buffer_store_dword v0, off, s[0:3], s32 offset:524 ; 4-byte Folded Spill
	v_cmpx_lt_u32_e32 0xffffff, v29
	s_cbranch_execz .LBB287_754
; %bb.747:                              ;   in Loop: Header=BB287_15 Depth=1
	v_lshrrev_b32_e32 v3, 24, v29
	v_bfrev_b32_e32 v0, 1
	s_mov_b32 s19, exec_lo
	buffer_store_dword v0, off, s[0:3], s32 offset:524 ; 4-byte Folded Spill
	v_cmpx_ne_u32_e32 0x80, v3
	s_cbranch_execz .LBB287_753
; %bb.748:                              ;   in Loop: Header=BB287_15 Depth=1
	v_and_b32_e32 v2, 0x7f, v3
	v_mov_b32_e32 v0, 0x7c010000
	s_mov_b32 s22, exec_lo
	buffer_store_dword v0, off, s[0:3], s32 offset:524 ; 4-byte Folded Spill
	v_cmpx_ne_u32_e32 0x7f, v2
	s_cbranch_execz .LBB287_752
; %bb.749:                              ;   in Loop: Header=BB287_15 Depth=1
	v_and_b32_e32 v0, 7, v3
	v_lshrrev_b32_e32 v1, 3, v2
	s_mov_b32 s23, exec_lo
	v_cmpx_gt_u32_e32 8, v2
; %bb.750:                              ;   in Loop: Header=BB287_15 Depth=1
	v_ffbh_u32_e32 v0, v0
	v_min_u32_e32 v2, 32, v0
	v_subrev_nc_u32_e32 v0, 28, v2
	v_lshlrev_b64 v[0:1], v0, v[3:4]
	v_sub_nc_u32_e32 v1, 29, v2
	v_and_b32_e32 v0, 7, v0
; %bb.751:                              ;   in Loop: Header=BB287_15 Depth=1
	s_or_b32 exec_lo, exec_lo, s23
	v_lshlrev_b32_e32 v2, 8, v3
	v_lshl_add_u32 v1, v1, 10, 0x2000
	v_lshlrev_b32_e32 v0, 23, v0
	v_and_or_b32 v1, 0x8000, v2, v1
	v_lshl_or_b32 v0, v1, 16, v0
	buffer_store_dword v0, off, s[0:3], s32 offset:524 ; 4-byte Folded Spill
.LBB287_752:                            ;   in Loop: Header=BB287_15 Depth=1
	s_or_b32 exec_lo, exec_lo, s22
.LBB287_753:                            ;   in Loop: Header=BB287_15 Depth=1
	s_or_b32 exec_lo, exec_lo, s19
.LBB287_754:                            ;   in Loop: Header=BB287_15 Depth=1
	s_or_b32 exec_lo, exec_lo, s17
	v_mov_b32_e32 v3, v30
	v_cmp_ne_u16_sdwa s5, v30, v4 src0_sel:BYTE_0 src1_sel:DWORD
	s_and_saveexec_b32 s17, s5
	s_cbranch_execz .LBB287_762
; %bb.755:                              ;   in Loop: Header=BB287_15 Depth=1
	v_cmp_ne_u16_sdwa s5, v30, v64 src0_sel:BYTE_0 src1_sel:DWORD
	v_mov_b32_e32 v0, 0x8000
	buffer_store_dword v0, off, s[0:3], s32 offset:520 ; 4-byte Folded Spill
	s_and_saveexec_b32 s19, s5
	s_cbranch_execz .LBB287_761
; %bb.756:                              ;   in Loop: Header=BB287_15 Depth=1
	v_and_b32_e32 v2, 0x7f, v30
	v_mov_b32_e32 v0, 0x7c01
	s_mov_b32 s22, exec_lo
	buffer_store_dword v0, off, s[0:3], s32 offset:520 ; 4-byte Folded Spill
	v_cmpx_ne_u32_e32 0x7f, v2
	s_cbranch_execz .LBB287_760
; %bb.757:                              ;   in Loop: Header=BB287_15 Depth=1
	v_and_b32_e32 v0, 7, v30
	v_lshrrev_b32_e32 v1, 3, v2
	s_mov_b32 s23, exec_lo
	v_cmpx_gt_u32_e32 8, v2
; %bb.758:                              ;   in Loop: Header=BB287_15 Depth=1
	v_ffbh_u32_e32 v0, v0
	v_min_u32_e32 v2, 32, v0
	v_subrev_nc_u32_e32 v0, 28, v2
	v_lshlrev_b64 v[0:1], v0, v[3:4]
	v_sub_nc_u32_e32 v1, 29, v2
	v_and_b32_e32 v0, 7, v0
; %bb.759:                              ;   in Loop: Header=BB287_15 Depth=1
	s_or_b32 exec_lo, exec_lo, s23
	v_lshlrev_b32_e32 v2, 8, v30
	v_lshl_add_u32 v1, v1, 10, 0x2000
	v_lshlrev_b32_e32 v0, 7, v0
	v_and_b32_e32 v2, 0x8000, v2
	v_and_b32_e32 v1, 0xfc00, v1
	v_or3_b32 v0, v2, v1, v0
	buffer_store_dword v0, off, s[0:3], s32 offset:520 ; 4-byte Folded Spill
.LBB287_760:                            ;   in Loop: Header=BB287_15 Depth=1
	s_or_b32 exec_lo, exec_lo, s22
.LBB287_761:                            ;   in Loop: Header=BB287_15 Depth=1
	s_or_b32 exec_lo, exec_lo, s19
.LBB287_762:                            ;   in Loop: Header=BB287_15 Depth=1
	s_or_b32 exec_lo, exec_lo, s17
	v_mov_b32_e32 v0, 0
	v_lshrrev_b16 v3, 8, v3
	s_mov_b32 s17, exec_lo
	buffer_store_dword v0, off, s[0:3], s32 offset:528 ; 4-byte Folded Spill
	v_mov_b32_e32 v0, 0
	buffer_store_dword v0, off, s[0:3], s32 offset:532 ; 4-byte Folded Spill
	v_cmpx_ne_u16_e32 0, v3
	s_cbranch_execz .LBB287_770
; %bb.763:                              ;   in Loop: Header=BB287_15 Depth=1
	v_bfrev_b32_e32 v0, 1
	s_mov_b32 s19, exec_lo
	buffer_store_dword v0, off, s[0:3], s32 offset:532 ; 4-byte Folded Spill
	v_cmpx_ne_u16_e32 0x80, v3
	s_cbranch_execz .LBB287_769
; %bb.764:                              ;   in Loop: Header=BB287_15 Depth=1
	v_mov_b32_e32 v0, 0x7f
	s_mov_b32 s22, exec_lo
	v_and_b32_sdwa v2, v3, v0 dst_sel:DWORD dst_unused:UNUSED_PAD src0_sel:WORD_0 src1_sel:DWORD
	v_mov_b32_e32 v0, 0x7c010000
	buffer_store_dword v0, off, s[0:3], s32 offset:532 ; 4-byte Folded Spill
	v_cmpx_ne_u32_e32 0x7f, v2
	s_cbranch_execz .LBB287_768
; %bb.765:                              ;   in Loop: Header=BB287_15 Depth=1
	v_mov_b32_e32 v0, 7
	v_lshrrev_b32_e32 v1, 3, v2
	s_mov_b32 s23, exec_lo
	v_and_b32_sdwa v0, v3, v0 dst_sel:DWORD dst_unused:UNUSED_PAD src0_sel:WORD_0 src1_sel:DWORD
	v_cmpx_gt_u32_e32 8, v2
; %bb.766:                              ;   in Loop: Header=BB287_15 Depth=1
	v_ffbh_u32_e32 v0, v0
	v_min_u32_e32 v2, 32, v0
	v_subrev_nc_u32_e32 v0, 28, v2
	v_lshlrev_b64 v[0:1], v0, v[3:4]
	v_sub_nc_u32_e32 v1, 29, v2
	v_and_b32_e32 v0, 7, v0
; %bb.767:                              ;   in Loop: Header=BB287_15 Depth=1
	s_or_b32 exec_lo, exec_lo, s23
	v_mov_b32_e32 v2, 8
	v_lshl_add_u32 v1, v1, 10, 0x2000
	v_lshlrev_b32_e32 v0, 23, v0
	v_lshlrev_b32_sdwa v2, v2, v3 dst_sel:DWORD dst_unused:UNUSED_PAD src0_sel:DWORD src1_sel:WORD_0
	v_and_or_b32 v1, 0x8000, v2, v1
	v_lshl_or_b32 v0, v1, 16, v0
	buffer_store_dword v0, off, s[0:3], s32 offset:532 ; 4-byte Folded Spill
.LBB287_768:                            ;   in Loop: Header=BB287_15 Depth=1
	s_or_b32 exec_lo, exec_lo, s22
.LBB287_769:                            ;   in Loop: Header=BB287_15 Depth=1
	s_or_b32 exec_lo, exec_lo, s19
.LBB287_770:                            ;   in Loop: Header=BB287_15 Depth=1
	s_or_b32 exec_lo, exec_lo, s17
	v_lshrrev_b32_e32 v3, 16, v30
	v_cmp_ne_u16_sdwa s5, v3, v4 src0_sel:BYTE_0 src1_sel:DWORD
	s_and_saveexec_b32 s17, s5
	s_cbranch_execz .LBB287_778
; %bb.771:                              ;   in Loop: Header=BB287_15 Depth=1
	v_cmp_ne_u16_sdwa s5, v3, v64 src0_sel:BYTE_0 src1_sel:DWORD
	v_mov_b32_e32 v0, 0x8000
	buffer_store_dword v0, off, s[0:3], s32 offset:528 ; 4-byte Folded Spill
	s_and_saveexec_b32 s19, s5
	s_cbranch_execz .LBB287_777
; %bb.772:                              ;   in Loop: Header=BB287_15 Depth=1
	v_bfe_u32 v2, v30, 16, 7
	v_mov_b32_e32 v0, 0x7c01
	s_mov_b32 s22, exec_lo
	buffer_store_dword v0, off, s[0:3], s32 offset:528 ; 4-byte Folded Spill
	v_cmpx_ne_u32_e32 0x7f, v2
	s_cbranch_execz .LBB287_776
; %bb.773:                              ;   in Loop: Header=BB287_15 Depth=1
	v_and_b32_e32 v0, 7, v3
	v_lshrrev_b32_e32 v1, 3, v2
	s_mov_b32 s23, exec_lo
	v_cmpx_gt_u32_e32 8, v2
; %bb.774:                              ;   in Loop: Header=BB287_15 Depth=1
	v_ffbh_u32_e32 v0, v0
	v_min_u32_e32 v2, 32, v0
	v_subrev_nc_u32_e32 v0, 28, v2
	v_lshlrev_b64 v[0:1], v0, v[3:4]
	v_sub_nc_u32_e32 v1, 29, v2
	v_and_b32_e32 v0, 7, v0
; %bb.775:                              ;   in Loop: Header=BB287_15 Depth=1
	s_or_b32 exec_lo, exec_lo, s23
	v_lshlrev_b32_e32 v2, 8, v3
	v_lshl_add_u32 v1, v1, 10, 0x2000
	v_lshlrev_b32_e32 v0, 7, v0
	v_and_b32_e32 v2, 0x8000, v2
	v_and_b32_e32 v1, 0xfc00, v1
	v_or3_b32 v0, v2, v1, v0
	buffer_store_dword v0, off, s[0:3], s32 offset:528 ; 4-byte Folded Spill
.LBB287_776:                            ;   in Loop: Header=BB287_15 Depth=1
	s_or_b32 exec_lo, exec_lo, s22
.LBB287_777:                            ;   in Loop: Header=BB287_15 Depth=1
	s_or_b32 exec_lo, exec_lo, s19
.LBB287_778:                            ;   in Loop: Header=BB287_15 Depth=1
	s_or_b32 exec_lo, exec_lo, s17
	v_mov_b32_e32 v0, 0
	s_mov_b32 s17, exec_lo
	buffer_store_dword v0, off, s[0:3], s32 offset:536 ; 4-byte Folded Spill
	v_mov_b32_e32 v0, 0
	buffer_store_dword v0, off, s[0:3], s32 offset:784 ; 4-byte Folded Spill
	v_cmpx_lt_u64_e64 s[8:9], v[29:30]
	s_cbranch_execz .LBB287_786
; %bb.779:                              ;   in Loop: Header=BB287_15 Depth=1
	v_lshrrev_b32_e32 v3, 24, v30
	v_bfrev_b32_e32 v0, 1
	s_mov_b32 s19, exec_lo
	v_cmpx_ne_u32_e32 0x80, v3
	s_cbranch_execz .LBB287_785
; %bb.780:                              ;   in Loop: Header=BB287_15 Depth=1
	v_and_b32_e32 v2, 0x7f, v3
	v_mov_b32_e32 v0, 0x7c010000
	s_mov_b32 s22, exec_lo
	v_cmpx_ne_u32_e32 0x7f, v2
	s_cbranch_execz .LBB287_784
; %bb.781:                              ;   in Loop: Header=BB287_15 Depth=1
	v_and_b32_e32 v0, 7, v3
	v_lshrrev_b32_e32 v1, 3, v2
	s_mov_b32 s23, exec_lo
	v_cmpx_gt_u32_e32 8, v2
; %bb.782:                              ;   in Loop: Header=BB287_15 Depth=1
	v_ffbh_u32_e32 v0, v0
	v_min_u32_e32 v2, 32, v0
	v_subrev_nc_u32_e32 v0, 28, v2
	v_lshlrev_b64 v[0:1], v0, v[3:4]
	v_sub_nc_u32_e32 v1, 29, v2
	v_and_b32_e32 v0, 7, v0
; %bb.783:                              ;   in Loop: Header=BB287_15 Depth=1
	s_or_b32 exec_lo, exec_lo, s23
	v_lshlrev_b32_e32 v2, 8, v3
	v_lshl_add_u32 v1, v1, 10, 0x2000
	v_lshlrev_b32_e32 v0, 23, v0
	v_and_or_b32 v1, 0x8000, v2, v1
	v_lshl_or_b32 v0, v1, 16, v0
.LBB287_784:                            ;   in Loop: Header=BB287_15 Depth=1
	s_or_b32 exec_lo, exec_lo, s22
.LBB287_785:                            ;   in Loop: Header=BB287_15 Depth=1
	s_or_b32 exec_lo, exec_lo, s19
	buffer_store_dword v0, off, s[0:3], s32 offset:784 ; 4-byte Folded Spill
.LBB287_786:                            ;   in Loop: Header=BB287_15 Depth=1
	s_or_b32 exec_lo, exec_lo, s17
	flat_load_dwordx2 v[29:30], v[27:28] offset:1024
	s_waitcnt vmcnt(0) lgkmcnt(0)
	v_cmp_ne_u16_sdwa s5, v29, v4 src0_sel:BYTE_0 src1_sel:DWORD
	s_and_saveexec_b32 s17, s5
	s_cbranch_execz .LBB287_794
; %bb.787:                              ;   in Loop: Header=BB287_15 Depth=1
	v_cmp_ne_u16_sdwa s5, v29, v64 src0_sel:BYTE_0 src1_sel:DWORD
	v_mov_b32_e32 v0, 0x8000
	buffer_store_dword v0, off, s[0:3], s32 offset:536 ; 4-byte Folded Spill
	s_and_saveexec_b32 s19, s5
	s_cbranch_execz .LBB287_793
; %bb.788:                              ;   in Loop: Header=BB287_15 Depth=1
	v_and_b32_e32 v2, 0x7f, v29
	v_mov_b32_e32 v0, 0x7c01
	s_mov_b32 s22, exec_lo
	buffer_store_dword v0, off, s[0:3], s32 offset:536 ; 4-byte Folded Spill
	v_cmpx_ne_u32_e32 0x7f, v2
	s_cbranch_execz .LBB287_792
; %bb.789:                              ;   in Loop: Header=BB287_15 Depth=1
	v_and_b32_e32 v0, 7, v29
	v_lshrrev_b32_e32 v1, 3, v2
	s_mov_b32 s23, exec_lo
	v_cmpx_gt_u32_e32 8, v2
; %bb.790:                              ;   in Loop: Header=BB287_15 Depth=1
	v_ffbh_u32_e32 v0, v0
	v_min_u32_e32 v2, 32, v0
	v_subrev_nc_u32_e32 v0, 28, v2
	v_lshlrev_b64 v[0:1], v0, v[29:30]
	v_sub_nc_u32_e32 v1, 29, v2
	v_and_b32_e32 v0, 7, v0
; %bb.791:                              ;   in Loop: Header=BB287_15 Depth=1
	s_or_b32 exec_lo, exec_lo, s23
	v_lshlrev_b32_e32 v2, 8, v29
	v_lshl_add_u32 v1, v1, 10, 0x2000
	v_lshlrev_b32_e32 v0, 7, v0
	v_and_b32_e32 v2, 0x8000, v2
	v_and_b32_e32 v1, 0xfc00, v1
	v_or3_b32 v0, v2, v1, v0
	buffer_store_dword v0, off, s[0:3], s32 offset:536 ; 4-byte Folded Spill
.LBB287_792:                            ;   in Loop: Header=BB287_15 Depth=1
	s_or_b32 exec_lo, exec_lo, s22
.LBB287_793:                            ;   in Loop: Header=BB287_15 Depth=1
	s_or_b32 exec_lo, exec_lo, s19
.LBB287_794:                            ;   in Loop: Header=BB287_15 Depth=1
	s_or_b32 exec_lo, exec_lo, s17
	v_mov_b32_e32 v0, 0
	v_lshrrev_b16 v3, 8, v29
	s_mov_b32 s17, exec_lo
	buffer_store_dword v0, off, s[0:3], s32 offset:544 ; 4-byte Folded Spill
	v_mov_b32_e32 v0, 0
	buffer_store_dword v0, off, s[0:3], s32 offset:540 ; 4-byte Folded Spill
	v_cmpx_ne_u16_e32 0, v3
	s_cbranch_execz .LBB287_802
; %bb.795:                              ;   in Loop: Header=BB287_15 Depth=1
	v_bfrev_b32_e32 v0, 1
	s_mov_b32 s19, exec_lo
	buffer_store_dword v0, off, s[0:3], s32 offset:540 ; 4-byte Folded Spill
	v_cmpx_ne_u16_e32 0x80, v3
	s_cbranch_execz .LBB287_801
; %bb.796:                              ;   in Loop: Header=BB287_15 Depth=1
	v_mov_b32_e32 v0, 0x7f
	s_mov_b32 s22, exec_lo
	v_and_b32_sdwa v2, v3, v0 dst_sel:DWORD dst_unused:UNUSED_PAD src0_sel:WORD_0 src1_sel:DWORD
	v_mov_b32_e32 v0, 0x7c010000
	buffer_store_dword v0, off, s[0:3], s32 offset:540 ; 4-byte Folded Spill
	v_cmpx_ne_u32_e32 0x7f, v2
	s_cbranch_execz .LBB287_800
; %bb.797:                              ;   in Loop: Header=BB287_15 Depth=1
	v_mov_b32_e32 v0, 7
	v_lshrrev_b32_e32 v1, 3, v2
	s_mov_b32 s23, exec_lo
	v_and_b32_sdwa v0, v3, v0 dst_sel:DWORD dst_unused:UNUSED_PAD src0_sel:WORD_0 src1_sel:DWORD
	v_cmpx_gt_u32_e32 8, v2
; %bb.798:                              ;   in Loop: Header=BB287_15 Depth=1
	v_ffbh_u32_e32 v0, v0
	v_min_u32_e32 v2, 32, v0
	v_subrev_nc_u32_e32 v0, 28, v2
	v_lshlrev_b64 v[0:1], v0, v[3:4]
	v_sub_nc_u32_e32 v1, 29, v2
	v_and_b32_e32 v0, 7, v0
; %bb.799:                              ;   in Loop: Header=BB287_15 Depth=1
	s_or_b32 exec_lo, exec_lo, s23
	v_mov_b32_e32 v2, 8
	v_lshl_add_u32 v1, v1, 10, 0x2000
	v_lshlrev_b32_e32 v0, 23, v0
	v_lshlrev_b32_sdwa v2, v2, v3 dst_sel:DWORD dst_unused:UNUSED_PAD src0_sel:DWORD src1_sel:WORD_0
	v_and_or_b32 v1, 0x8000, v2, v1
	v_lshl_or_b32 v0, v1, 16, v0
	buffer_store_dword v0, off, s[0:3], s32 offset:540 ; 4-byte Folded Spill
.LBB287_800:                            ;   in Loop: Header=BB287_15 Depth=1
	s_or_b32 exec_lo, exec_lo, s22
.LBB287_801:                            ;   in Loop: Header=BB287_15 Depth=1
	s_or_b32 exec_lo, exec_lo, s19
.LBB287_802:                            ;   in Loop: Header=BB287_15 Depth=1
	s_or_b32 exec_lo, exec_lo, s17
	v_lshrrev_b32_e32 v3, 16, v29
	v_cmp_ne_u16_sdwa s5, v3, v4 src0_sel:BYTE_0 src1_sel:DWORD
	s_and_saveexec_b32 s17, s5
	s_cbranch_execz .LBB287_810
; %bb.803:                              ;   in Loop: Header=BB287_15 Depth=1
	v_cmp_ne_u16_sdwa s5, v3, v64 src0_sel:BYTE_0 src1_sel:DWORD
	v_mov_b32_e32 v0, 0x8000
	buffer_store_dword v0, off, s[0:3], s32 offset:544 ; 4-byte Folded Spill
	s_and_saveexec_b32 s19, s5
	s_cbranch_execz .LBB287_809
; %bb.804:                              ;   in Loop: Header=BB287_15 Depth=1
	v_bfe_u32 v2, v29, 16, 7
	v_mov_b32_e32 v0, 0x7c01
	s_mov_b32 s22, exec_lo
	buffer_store_dword v0, off, s[0:3], s32 offset:544 ; 4-byte Folded Spill
	v_cmpx_ne_u32_e32 0x7f, v2
	s_cbranch_execz .LBB287_808
; %bb.805:                              ;   in Loop: Header=BB287_15 Depth=1
	v_and_b32_e32 v0, 7, v3
	v_lshrrev_b32_e32 v1, 3, v2
	s_mov_b32 s23, exec_lo
	v_cmpx_gt_u32_e32 8, v2
; %bb.806:                              ;   in Loop: Header=BB287_15 Depth=1
	v_ffbh_u32_e32 v0, v0
	v_min_u32_e32 v2, 32, v0
	v_subrev_nc_u32_e32 v0, 28, v2
	v_lshlrev_b64 v[0:1], v0, v[3:4]
	v_sub_nc_u32_e32 v1, 29, v2
	v_and_b32_e32 v0, 7, v0
; %bb.807:                              ;   in Loop: Header=BB287_15 Depth=1
	s_or_b32 exec_lo, exec_lo, s23
	v_lshlrev_b32_e32 v2, 8, v3
	v_lshl_add_u32 v1, v1, 10, 0x2000
	v_lshlrev_b32_e32 v0, 7, v0
	v_and_b32_e32 v2, 0x8000, v2
	v_and_b32_e32 v1, 0xfc00, v1
	v_or3_b32 v0, v2, v1, v0
	buffer_store_dword v0, off, s[0:3], s32 offset:544 ; 4-byte Folded Spill
.LBB287_808:                            ;   in Loop: Header=BB287_15 Depth=1
	s_or_b32 exec_lo, exec_lo, s22
.LBB287_809:                            ;   in Loop: Header=BB287_15 Depth=1
	s_or_b32 exec_lo, exec_lo, s19
.LBB287_810:                            ;   in Loop: Header=BB287_15 Depth=1
	s_or_b32 exec_lo, exec_lo, s17
	v_mov_b32_e32 v0, 0
	s_mov_b32 s17, exec_lo
	buffer_store_dword v0, off, s[0:3], s32 offset:548 ; 4-byte Folded Spill
	v_mov_b32_e32 v0, 0
	buffer_store_dword v0, off, s[0:3], s32 offset:552 ; 4-byte Folded Spill
	v_cmpx_lt_u32_e32 0xffffff, v29
	s_cbranch_execz .LBB287_818
; %bb.811:                              ;   in Loop: Header=BB287_15 Depth=1
	v_lshrrev_b32_e32 v3, 24, v29
	v_bfrev_b32_e32 v0, 1
	s_mov_b32 s19, exec_lo
	buffer_store_dword v0, off, s[0:3], s32 offset:552 ; 4-byte Folded Spill
	v_cmpx_ne_u32_e32 0x80, v3
	s_cbranch_execz .LBB287_817
; %bb.812:                              ;   in Loop: Header=BB287_15 Depth=1
	v_and_b32_e32 v2, 0x7f, v3
	v_mov_b32_e32 v0, 0x7c010000
	s_mov_b32 s22, exec_lo
	buffer_store_dword v0, off, s[0:3], s32 offset:552 ; 4-byte Folded Spill
	v_cmpx_ne_u32_e32 0x7f, v2
	s_cbranch_execz .LBB287_816
; %bb.813:                              ;   in Loop: Header=BB287_15 Depth=1
	v_and_b32_e32 v0, 7, v3
	v_lshrrev_b32_e32 v1, 3, v2
	s_mov_b32 s23, exec_lo
	v_cmpx_gt_u32_e32 8, v2
; %bb.814:                              ;   in Loop: Header=BB287_15 Depth=1
	v_ffbh_u32_e32 v0, v0
	v_min_u32_e32 v2, 32, v0
	v_subrev_nc_u32_e32 v0, 28, v2
	v_lshlrev_b64 v[0:1], v0, v[3:4]
	v_sub_nc_u32_e32 v1, 29, v2
	v_and_b32_e32 v0, 7, v0
; %bb.815:                              ;   in Loop: Header=BB287_15 Depth=1
	s_or_b32 exec_lo, exec_lo, s23
	v_lshlrev_b32_e32 v2, 8, v3
	v_lshl_add_u32 v1, v1, 10, 0x2000
	v_lshlrev_b32_e32 v0, 23, v0
	v_and_or_b32 v1, 0x8000, v2, v1
	v_lshl_or_b32 v0, v1, 16, v0
	buffer_store_dword v0, off, s[0:3], s32 offset:552 ; 4-byte Folded Spill
.LBB287_816:                            ;   in Loop: Header=BB287_15 Depth=1
	s_or_b32 exec_lo, exec_lo, s22
.LBB287_817:                            ;   in Loop: Header=BB287_15 Depth=1
	s_or_b32 exec_lo, exec_lo, s19
.LBB287_818:                            ;   in Loop: Header=BB287_15 Depth=1
	s_or_b32 exec_lo, exec_lo, s17
	v_mov_b32_e32 v3, v30
	v_cmp_ne_u16_sdwa s5, v30, v4 src0_sel:BYTE_0 src1_sel:DWORD
	s_and_saveexec_b32 s17, s5
	s_cbranch_execz .LBB287_826
; %bb.819:                              ;   in Loop: Header=BB287_15 Depth=1
	v_cmp_ne_u16_sdwa s5, v30, v64 src0_sel:BYTE_0 src1_sel:DWORD
	v_mov_b32_e32 v0, 0x8000
	buffer_store_dword v0, off, s[0:3], s32 offset:548 ; 4-byte Folded Spill
	s_and_saveexec_b32 s19, s5
	s_cbranch_execz .LBB287_825
; %bb.820:                              ;   in Loop: Header=BB287_15 Depth=1
	v_and_b32_e32 v2, 0x7f, v30
	v_mov_b32_e32 v0, 0x7c01
	s_mov_b32 s22, exec_lo
	buffer_store_dword v0, off, s[0:3], s32 offset:548 ; 4-byte Folded Spill
	v_cmpx_ne_u32_e32 0x7f, v2
	s_cbranch_execz .LBB287_824
; %bb.821:                              ;   in Loop: Header=BB287_15 Depth=1
	v_and_b32_e32 v0, 7, v30
	v_lshrrev_b32_e32 v1, 3, v2
	s_mov_b32 s23, exec_lo
	v_cmpx_gt_u32_e32 8, v2
; %bb.822:                              ;   in Loop: Header=BB287_15 Depth=1
	v_ffbh_u32_e32 v0, v0
	v_min_u32_e32 v2, 32, v0
	v_subrev_nc_u32_e32 v0, 28, v2
	v_lshlrev_b64 v[0:1], v0, v[3:4]
	v_sub_nc_u32_e32 v1, 29, v2
	v_and_b32_e32 v0, 7, v0
; %bb.823:                              ;   in Loop: Header=BB287_15 Depth=1
	s_or_b32 exec_lo, exec_lo, s23
	v_lshlrev_b32_e32 v2, 8, v30
	v_lshl_add_u32 v1, v1, 10, 0x2000
	v_lshlrev_b32_e32 v0, 7, v0
	v_and_b32_e32 v2, 0x8000, v2
	v_and_b32_e32 v1, 0xfc00, v1
	v_or3_b32 v0, v2, v1, v0
	buffer_store_dword v0, off, s[0:3], s32 offset:548 ; 4-byte Folded Spill
.LBB287_824:                            ;   in Loop: Header=BB287_15 Depth=1
	s_or_b32 exec_lo, exec_lo, s22
.LBB287_825:                            ;   in Loop: Header=BB287_15 Depth=1
	s_or_b32 exec_lo, exec_lo, s19
.LBB287_826:                            ;   in Loop: Header=BB287_15 Depth=1
	s_or_b32 exec_lo, exec_lo, s17
	v_mov_b32_e32 v0, 0
	v_lshrrev_b16 v3, 8, v3
	s_mov_b32 s17, exec_lo
	buffer_store_dword v0, off, s[0:3], s32 offset:556 ; 4-byte Folded Spill
	v_mov_b32_e32 v0, 0
	buffer_store_dword v0, off, s[0:3], s32 offset:560 ; 4-byte Folded Spill
	v_cmpx_ne_u16_e32 0, v3
	s_cbranch_execz .LBB287_834
; %bb.827:                              ;   in Loop: Header=BB287_15 Depth=1
	v_bfrev_b32_e32 v0, 1
	s_mov_b32 s19, exec_lo
	buffer_store_dword v0, off, s[0:3], s32 offset:560 ; 4-byte Folded Spill
	v_cmpx_ne_u16_e32 0x80, v3
	s_cbranch_execz .LBB287_833
; %bb.828:                              ;   in Loop: Header=BB287_15 Depth=1
	v_mov_b32_e32 v0, 0x7f
	s_mov_b32 s22, exec_lo
	v_and_b32_sdwa v2, v3, v0 dst_sel:DWORD dst_unused:UNUSED_PAD src0_sel:WORD_0 src1_sel:DWORD
	v_mov_b32_e32 v0, 0x7c010000
	buffer_store_dword v0, off, s[0:3], s32 offset:560 ; 4-byte Folded Spill
	v_cmpx_ne_u32_e32 0x7f, v2
	s_cbranch_execz .LBB287_832
; %bb.829:                              ;   in Loop: Header=BB287_15 Depth=1
	v_mov_b32_e32 v0, 7
	v_lshrrev_b32_e32 v1, 3, v2
	s_mov_b32 s23, exec_lo
	v_and_b32_sdwa v0, v3, v0 dst_sel:DWORD dst_unused:UNUSED_PAD src0_sel:WORD_0 src1_sel:DWORD
	v_cmpx_gt_u32_e32 8, v2
; %bb.830:                              ;   in Loop: Header=BB287_15 Depth=1
	v_ffbh_u32_e32 v0, v0
	v_min_u32_e32 v2, 32, v0
	v_subrev_nc_u32_e32 v0, 28, v2
	v_lshlrev_b64 v[0:1], v0, v[3:4]
	v_sub_nc_u32_e32 v1, 29, v2
	v_and_b32_e32 v0, 7, v0
; %bb.831:                              ;   in Loop: Header=BB287_15 Depth=1
	s_or_b32 exec_lo, exec_lo, s23
	v_mov_b32_e32 v2, 8
	v_lshl_add_u32 v1, v1, 10, 0x2000
	v_lshlrev_b32_e32 v0, 23, v0
	v_lshlrev_b32_sdwa v2, v2, v3 dst_sel:DWORD dst_unused:UNUSED_PAD src0_sel:DWORD src1_sel:WORD_0
	v_and_or_b32 v1, 0x8000, v2, v1
	v_lshl_or_b32 v0, v1, 16, v0
	buffer_store_dword v0, off, s[0:3], s32 offset:560 ; 4-byte Folded Spill
.LBB287_832:                            ;   in Loop: Header=BB287_15 Depth=1
	s_or_b32 exec_lo, exec_lo, s22
.LBB287_833:                            ;   in Loop: Header=BB287_15 Depth=1
	s_or_b32 exec_lo, exec_lo, s19
.LBB287_834:                            ;   in Loop: Header=BB287_15 Depth=1
	s_or_b32 exec_lo, exec_lo, s17
	v_lshrrev_b32_e32 v3, 16, v30
	v_cmp_ne_u16_sdwa s5, v3, v4 src0_sel:BYTE_0 src1_sel:DWORD
	s_and_saveexec_b32 s17, s5
	s_cbranch_execz .LBB287_842
; %bb.835:                              ;   in Loop: Header=BB287_15 Depth=1
	v_cmp_ne_u16_sdwa s5, v3, v64 src0_sel:BYTE_0 src1_sel:DWORD
	v_mov_b32_e32 v0, 0x8000
	buffer_store_dword v0, off, s[0:3], s32 offset:556 ; 4-byte Folded Spill
	s_and_saveexec_b32 s19, s5
	s_cbranch_execz .LBB287_841
; %bb.836:                              ;   in Loop: Header=BB287_15 Depth=1
	v_bfe_u32 v2, v30, 16, 7
	v_mov_b32_e32 v0, 0x7c01
	s_mov_b32 s22, exec_lo
	buffer_store_dword v0, off, s[0:3], s32 offset:556 ; 4-byte Folded Spill
	v_cmpx_ne_u32_e32 0x7f, v2
	s_cbranch_execz .LBB287_840
; %bb.837:                              ;   in Loop: Header=BB287_15 Depth=1
	v_and_b32_e32 v0, 7, v3
	v_lshrrev_b32_e32 v1, 3, v2
	s_mov_b32 s23, exec_lo
	v_cmpx_gt_u32_e32 8, v2
; %bb.838:                              ;   in Loop: Header=BB287_15 Depth=1
	v_ffbh_u32_e32 v0, v0
	v_min_u32_e32 v2, 32, v0
	v_subrev_nc_u32_e32 v0, 28, v2
	v_lshlrev_b64 v[0:1], v0, v[3:4]
	v_sub_nc_u32_e32 v1, 29, v2
	v_and_b32_e32 v0, 7, v0
; %bb.839:                              ;   in Loop: Header=BB287_15 Depth=1
	s_or_b32 exec_lo, exec_lo, s23
	v_lshlrev_b32_e32 v2, 8, v3
	v_lshl_add_u32 v1, v1, 10, 0x2000
	v_lshlrev_b32_e32 v0, 7, v0
	v_and_b32_e32 v2, 0x8000, v2
	v_and_b32_e32 v1, 0xfc00, v1
	v_or3_b32 v0, v2, v1, v0
	buffer_store_dword v0, off, s[0:3], s32 offset:556 ; 4-byte Folded Spill
.LBB287_840:                            ;   in Loop: Header=BB287_15 Depth=1
	s_or_b32 exec_lo, exec_lo, s22
.LBB287_841:                            ;   in Loop: Header=BB287_15 Depth=1
	s_or_b32 exec_lo, exec_lo, s19
.LBB287_842:                            ;   in Loop: Header=BB287_15 Depth=1
	s_or_b32 exec_lo, exec_lo, s17
	v_mov_b32_e32 v0, 0
	s_mov_b32 s17, exec_lo
	buffer_store_dword v0, off, s[0:3], s32 offset:564 ; 4-byte Folded Spill
	v_mov_b32_e32 v0, 0
	buffer_store_dword v0, off, s[0:3], s32 offset:788 ; 4-byte Folded Spill
	v_cmpx_lt_u64_e64 s[8:9], v[29:30]
	s_cbranch_execz .LBB287_850
; %bb.843:                              ;   in Loop: Header=BB287_15 Depth=1
	v_lshrrev_b32_e32 v3, 24, v30
	v_bfrev_b32_e32 v0, 1
	s_mov_b32 s19, exec_lo
	v_cmpx_ne_u32_e32 0x80, v3
	s_cbranch_execz .LBB287_849
; %bb.844:                              ;   in Loop: Header=BB287_15 Depth=1
	v_and_b32_e32 v2, 0x7f, v3
	v_mov_b32_e32 v0, 0x7c010000
	s_mov_b32 s22, exec_lo
	v_cmpx_ne_u32_e32 0x7f, v2
	s_cbranch_execz .LBB287_848
; %bb.845:                              ;   in Loop: Header=BB287_15 Depth=1
	v_and_b32_e32 v0, 7, v3
	v_lshrrev_b32_e32 v1, 3, v2
	s_mov_b32 s23, exec_lo
	v_cmpx_gt_u32_e32 8, v2
; %bb.846:                              ;   in Loop: Header=BB287_15 Depth=1
	v_ffbh_u32_e32 v0, v0
	v_min_u32_e32 v2, 32, v0
	v_subrev_nc_u32_e32 v0, 28, v2
	v_lshlrev_b64 v[0:1], v0, v[3:4]
	v_sub_nc_u32_e32 v1, 29, v2
	v_and_b32_e32 v0, 7, v0
; %bb.847:                              ;   in Loop: Header=BB287_15 Depth=1
	s_or_b32 exec_lo, exec_lo, s23
	v_lshlrev_b32_e32 v2, 8, v3
	v_lshl_add_u32 v1, v1, 10, 0x2000
	v_lshlrev_b32_e32 v0, 23, v0
	v_and_or_b32 v1, 0x8000, v2, v1
	v_lshl_or_b32 v0, v1, 16, v0
.LBB287_848:                            ;   in Loop: Header=BB287_15 Depth=1
	s_or_b32 exec_lo, exec_lo, s22
.LBB287_849:                            ;   in Loop: Header=BB287_15 Depth=1
	s_or_b32 exec_lo, exec_lo, s19
	buffer_store_dword v0, off, s[0:3], s32 offset:788 ; 4-byte Folded Spill
.LBB287_850:                            ;   in Loop: Header=BB287_15 Depth=1
	s_or_b32 exec_lo, exec_lo, s17
	flat_load_dwordx2 v[29:30], v[27:28] offset:1032
	s_waitcnt vmcnt(0) lgkmcnt(0)
	v_cmp_ne_u16_sdwa s5, v29, v4 src0_sel:BYTE_0 src1_sel:DWORD
	s_and_saveexec_b32 s17, s5
	s_cbranch_execz .LBB287_858
; %bb.851:                              ;   in Loop: Header=BB287_15 Depth=1
	v_cmp_ne_u16_sdwa s5, v29, v64 src0_sel:BYTE_0 src1_sel:DWORD
	v_mov_b32_e32 v0, 0x8000
	buffer_store_dword v0, off, s[0:3], s32 offset:564 ; 4-byte Folded Spill
	s_and_saveexec_b32 s19, s5
	s_cbranch_execz .LBB287_857
; %bb.852:                              ;   in Loop: Header=BB287_15 Depth=1
	v_and_b32_e32 v2, 0x7f, v29
	v_mov_b32_e32 v0, 0x7c01
	s_mov_b32 s22, exec_lo
	buffer_store_dword v0, off, s[0:3], s32 offset:564 ; 4-byte Folded Spill
	v_cmpx_ne_u32_e32 0x7f, v2
	s_cbranch_execz .LBB287_856
; %bb.853:                              ;   in Loop: Header=BB287_15 Depth=1
	v_and_b32_e32 v0, 7, v29
	v_lshrrev_b32_e32 v1, 3, v2
	s_mov_b32 s23, exec_lo
	v_cmpx_gt_u32_e32 8, v2
; %bb.854:                              ;   in Loop: Header=BB287_15 Depth=1
	v_ffbh_u32_e32 v0, v0
	v_min_u32_e32 v2, 32, v0
	v_subrev_nc_u32_e32 v0, 28, v2
	v_lshlrev_b64 v[0:1], v0, v[29:30]
	v_sub_nc_u32_e32 v1, 29, v2
	v_and_b32_e32 v0, 7, v0
; %bb.855:                              ;   in Loop: Header=BB287_15 Depth=1
	s_or_b32 exec_lo, exec_lo, s23
	v_lshlrev_b32_e32 v2, 8, v29
	v_lshl_add_u32 v1, v1, 10, 0x2000
	v_lshlrev_b32_e32 v0, 7, v0
	v_and_b32_e32 v2, 0x8000, v2
	v_and_b32_e32 v1, 0xfc00, v1
	v_or3_b32 v0, v2, v1, v0
	buffer_store_dword v0, off, s[0:3], s32 offset:564 ; 4-byte Folded Spill
.LBB287_856:                            ;   in Loop: Header=BB287_15 Depth=1
	s_or_b32 exec_lo, exec_lo, s22
.LBB287_857:                            ;   in Loop: Header=BB287_15 Depth=1
	s_or_b32 exec_lo, exec_lo, s19
.LBB287_858:                            ;   in Loop: Header=BB287_15 Depth=1
	s_or_b32 exec_lo, exec_lo, s17
	v_mov_b32_e32 v0, 0
	v_lshrrev_b16 v3, 8, v29
	s_mov_b32 s17, exec_lo
	buffer_store_dword v0, off, s[0:3], s32 offset:572 ; 4-byte Folded Spill
	v_mov_b32_e32 v0, 0
	buffer_store_dword v0, off, s[0:3], s32 offset:568 ; 4-byte Folded Spill
	v_cmpx_ne_u16_e32 0, v3
	s_cbranch_execz .LBB287_866
; %bb.859:                              ;   in Loop: Header=BB287_15 Depth=1
	v_bfrev_b32_e32 v0, 1
	s_mov_b32 s19, exec_lo
	buffer_store_dword v0, off, s[0:3], s32 offset:568 ; 4-byte Folded Spill
	v_cmpx_ne_u16_e32 0x80, v3
	s_cbranch_execz .LBB287_865
; %bb.860:                              ;   in Loop: Header=BB287_15 Depth=1
	v_mov_b32_e32 v0, 0x7f
	s_mov_b32 s22, exec_lo
	v_and_b32_sdwa v2, v3, v0 dst_sel:DWORD dst_unused:UNUSED_PAD src0_sel:WORD_0 src1_sel:DWORD
	v_mov_b32_e32 v0, 0x7c010000
	buffer_store_dword v0, off, s[0:3], s32 offset:568 ; 4-byte Folded Spill
	v_cmpx_ne_u32_e32 0x7f, v2
	s_cbranch_execz .LBB287_864
; %bb.861:                              ;   in Loop: Header=BB287_15 Depth=1
	v_mov_b32_e32 v0, 7
	v_lshrrev_b32_e32 v1, 3, v2
	s_mov_b32 s23, exec_lo
	v_and_b32_sdwa v0, v3, v0 dst_sel:DWORD dst_unused:UNUSED_PAD src0_sel:WORD_0 src1_sel:DWORD
	v_cmpx_gt_u32_e32 8, v2
; %bb.862:                              ;   in Loop: Header=BB287_15 Depth=1
	v_ffbh_u32_e32 v0, v0
	v_min_u32_e32 v2, 32, v0
	v_subrev_nc_u32_e32 v0, 28, v2
	v_lshlrev_b64 v[0:1], v0, v[3:4]
	v_sub_nc_u32_e32 v1, 29, v2
	v_and_b32_e32 v0, 7, v0
; %bb.863:                              ;   in Loop: Header=BB287_15 Depth=1
	s_or_b32 exec_lo, exec_lo, s23
	v_mov_b32_e32 v2, 8
	v_lshl_add_u32 v1, v1, 10, 0x2000
	v_lshlrev_b32_e32 v0, 23, v0
	v_lshlrev_b32_sdwa v2, v2, v3 dst_sel:DWORD dst_unused:UNUSED_PAD src0_sel:DWORD src1_sel:WORD_0
	v_and_or_b32 v1, 0x8000, v2, v1
	v_lshl_or_b32 v0, v1, 16, v0
	buffer_store_dword v0, off, s[0:3], s32 offset:568 ; 4-byte Folded Spill
.LBB287_864:                            ;   in Loop: Header=BB287_15 Depth=1
	s_or_b32 exec_lo, exec_lo, s22
.LBB287_865:                            ;   in Loop: Header=BB287_15 Depth=1
	s_or_b32 exec_lo, exec_lo, s19
.LBB287_866:                            ;   in Loop: Header=BB287_15 Depth=1
	s_or_b32 exec_lo, exec_lo, s17
	v_lshrrev_b32_e32 v3, 16, v29
	v_cmp_ne_u16_sdwa s5, v3, v4 src0_sel:BYTE_0 src1_sel:DWORD
	s_and_saveexec_b32 s17, s5
	s_cbranch_execz .LBB287_874
; %bb.867:                              ;   in Loop: Header=BB287_15 Depth=1
	v_cmp_ne_u16_sdwa s5, v3, v64 src0_sel:BYTE_0 src1_sel:DWORD
	v_mov_b32_e32 v0, 0x8000
	buffer_store_dword v0, off, s[0:3], s32 offset:572 ; 4-byte Folded Spill
	s_and_saveexec_b32 s19, s5
	s_cbranch_execz .LBB287_873
; %bb.868:                              ;   in Loop: Header=BB287_15 Depth=1
	v_bfe_u32 v2, v29, 16, 7
	v_mov_b32_e32 v0, 0x7c01
	s_mov_b32 s22, exec_lo
	buffer_store_dword v0, off, s[0:3], s32 offset:572 ; 4-byte Folded Spill
	v_cmpx_ne_u32_e32 0x7f, v2
	s_cbranch_execz .LBB287_872
; %bb.869:                              ;   in Loop: Header=BB287_15 Depth=1
	v_and_b32_e32 v0, 7, v3
	v_lshrrev_b32_e32 v1, 3, v2
	s_mov_b32 s23, exec_lo
	v_cmpx_gt_u32_e32 8, v2
; %bb.870:                              ;   in Loop: Header=BB287_15 Depth=1
	v_ffbh_u32_e32 v0, v0
	v_min_u32_e32 v2, 32, v0
	v_subrev_nc_u32_e32 v0, 28, v2
	v_lshlrev_b64 v[0:1], v0, v[3:4]
	v_sub_nc_u32_e32 v1, 29, v2
	v_and_b32_e32 v0, 7, v0
; %bb.871:                              ;   in Loop: Header=BB287_15 Depth=1
	s_or_b32 exec_lo, exec_lo, s23
	v_lshlrev_b32_e32 v2, 8, v3
	v_lshl_add_u32 v1, v1, 10, 0x2000
	v_lshlrev_b32_e32 v0, 7, v0
	v_and_b32_e32 v2, 0x8000, v2
	v_and_b32_e32 v1, 0xfc00, v1
	v_or3_b32 v0, v2, v1, v0
	buffer_store_dword v0, off, s[0:3], s32 offset:572 ; 4-byte Folded Spill
.LBB287_872:                            ;   in Loop: Header=BB287_15 Depth=1
	s_or_b32 exec_lo, exec_lo, s22
.LBB287_873:                            ;   in Loop: Header=BB287_15 Depth=1
	s_or_b32 exec_lo, exec_lo, s19
.LBB287_874:                            ;   in Loop: Header=BB287_15 Depth=1
	s_or_b32 exec_lo, exec_lo, s17
	v_mov_b32_e32 v0, 0
	s_mov_b32 s17, exec_lo
	buffer_store_dword v0, off, s[0:3], s32 offset:576 ; 4-byte Folded Spill
	v_mov_b32_e32 v0, 0
	buffer_store_dword v0, off, s[0:3], s32 offset:580 ; 4-byte Folded Spill
	v_cmpx_lt_u32_e32 0xffffff, v29
	s_cbranch_execz .LBB287_882
; %bb.875:                              ;   in Loop: Header=BB287_15 Depth=1
	v_lshrrev_b32_e32 v3, 24, v29
	v_bfrev_b32_e32 v0, 1
	s_mov_b32 s19, exec_lo
	buffer_store_dword v0, off, s[0:3], s32 offset:580 ; 4-byte Folded Spill
	v_cmpx_ne_u32_e32 0x80, v3
	s_cbranch_execz .LBB287_881
; %bb.876:                              ;   in Loop: Header=BB287_15 Depth=1
	v_and_b32_e32 v2, 0x7f, v3
	v_mov_b32_e32 v0, 0x7c010000
	s_mov_b32 s22, exec_lo
	buffer_store_dword v0, off, s[0:3], s32 offset:580 ; 4-byte Folded Spill
	v_cmpx_ne_u32_e32 0x7f, v2
	s_cbranch_execz .LBB287_880
; %bb.877:                              ;   in Loop: Header=BB287_15 Depth=1
	v_and_b32_e32 v0, 7, v3
	v_lshrrev_b32_e32 v1, 3, v2
	s_mov_b32 s23, exec_lo
	v_cmpx_gt_u32_e32 8, v2
; %bb.878:                              ;   in Loop: Header=BB287_15 Depth=1
	v_ffbh_u32_e32 v0, v0
	v_min_u32_e32 v2, 32, v0
	v_subrev_nc_u32_e32 v0, 28, v2
	v_lshlrev_b64 v[0:1], v0, v[3:4]
	v_sub_nc_u32_e32 v1, 29, v2
	v_and_b32_e32 v0, 7, v0
; %bb.879:                              ;   in Loop: Header=BB287_15 Depth=1
	s_or_b32 exec_lo, exec_lo, s23
	v_lshlrev_b32_e32 v2, 8, v3
	v_lshl_add_u32 v1, v1, 10, 0x2000
	v_lshlrev_b32_e32 v0, 23, v0
	v_and_or_b32 v1, 0x8000, v2, v1
	v_lshl_or_b32 v0, v1, 16, v0
	buffer_store_dword v0, off, s[0:3], s32 offset:580 ; 4-byte Folded Spill
.LBB287_880:                            ;   in Loop: Header=BB287_15 Depth=1
	s_or_b32 exec_lo, exec_lo, s22
.LBB287_881:                            ;   in Loop: Header=BB287_15 Depth=1
	s_or_b32 exec_lo, exec_lo, s19
.LBB287_882:                            ;   in Loop: Header=BB287_15 Depth=1
	s_or_b32 exec_lo, exec_lo, s17
	v_mov_b32_e32 v3, v30
	v_cmp_ne_u16_sdwa s5, v30, v4 src0_sel:BYTE_0 src1_sel:DWORD
	s_and_saveexec_b32 s17, s5
	s_cbranch_execz .LBB287_890
; %bb.883:                              ;   in Loop: Header=BB287_15 Depth=1
	v_cmp_ne_u16_sdwa s5, v30, v64 src0_sel:BYTE_0 src1_sel:DWORD
	v_mov_b32_e32 v0, 0x8000
	buffer_store_dword v0, off, s[0:3], s32 offset:576 ; 4-byte Folded Spill
	s_and_saveexec_b32 s19, s5
	s_cbranch_execz .LBB287_889
; %bb.884:                              ;   in Loop: Header=BB287_15 Depth=1
	v_and_b32_e32 v2, 0x7f, v30
	v_mov_b32_e32 v0, 0x7c01
	s_mov_b32 s22, exec_lo
	buffer_store_dword v0, off, s[0:3], s32 offset:576 ; 4-byte Folded Spill
	v_cmpx_ne_u32_e32 0x7f, v2
	s_cbranch_execz .LBB287_888
; %bb.885:                              ;   in Loop: Header=BB287_15 Depth=1
	v_and_b32_e32 v0, 7, v30
	v_lshrrev_b32_e32 v1, 3, v2
	s_mov_b32 s23, exec_lo
	v_cmpx_gt_u32_e32 8, v2
; %bb.886:                              ;   in Loop: Header=BB287_15 Depth=1
	v_ffbh_u32_e32 v0, v0
	v_min_u32_e32 v2, 32, v0
	v_subrev_nc_u32_e32 v0, 28, v2
	v_lshlrev_b64 v[0:1], v0, v[3:4]
	v_sub_nc_u32_e32 v1, 29, v2
	v_and_b32_e32 v0, 7, v0
; %bb.887:                              ;   in Loop: Header=BB287_15 Depth=1
	s_or_b32 exec_lo, exec_lo, s23
	v_lshlrev_b32_e32 v2, 8, v30
	v_lshl_add_u32 v1, v1, 10, 0x2000
	v_lshlrev_b32_e32 v0, 7, v0
	v_and_b32_e32 v2, 0x8000, v2
	v_and_b32_e32 v1, 0xfc00, v1
	v_or3_b32 v0, v2, v1, v0
	buffer_store_dword v0, off, s[0:3], s32 offset:576 ; 4-byte Folded Spill
.LBB287_888:                            ;   in Loop: Header=BB287_15 Depth=1
	s_or_b32 exec_lo, exec_lo, s22
.LBB287_889:                            ;   in Loop: Header=BB287_15 Depth=1
	s_or_b32 exec_lo, exec_lo, s19
.LBB287_890:                            ;   in Loop: Header=BB287_15 Depth=1
	s_or_b32 exec_lo, exec_lo, s17
	v_mov_b32_e32 v0, 0
	v_lshrrev_b16 v3, 8, v3
	s_mov_b32 s17, exec_lo
	buffer_store_dword v0, off, s[0:3], s32 offset:584 ; 4-byte Folded Spill
	v_mov_b32_e32 v0, 0
	buffer_store_dword v0, off, s[0:3], s32 offset:588 ; 4-byte Folded Spill
	v_cmpx_ne_u16_e32 0, v3
	s_cbranch_execz .LBB287_898
; %bb.891:                              ;   in Loop: Header=BB287_15 Depth=1
	v_bfrev_b32_e32 v0, 1
	s_mov_b32 s19, exec_lo
	buffer_store_dword v0, off, s[0:3], s32 offset:588 ; 4-byte Folded Spill
	v_cmpx_ne_u16_e32 0x80, v3
	s_cbranch_execz .LBB287_897
; %bb.892:                              ;   in Loop: Header=BB287_15 Depth=1
	v_mov_b32_e32 v0, 0x7f
	s_mov_b32 s22, exec_lo
	v_and_b32_sdwa v2, v3, v0 dst_sel:DWORD dst_unused:UNUSED_PAD src0_sel:WORD_0 src1_sel:DWORD
	v_mov_b32_e32 v0, 0x7c010000
	buffer_store_dword v0, off, s[0:3], s32 offset:588 ; 4-byte Folded Spill
	v_cmpx_ne_u32_e32 0x7f, v2
	s_cbranch_execz .LBB287_896
; %bb.893:                              ;   in Loop: Header=BB287_15 Depth=1
	v_mov_b32_e32 v0, 7
	v_lshrrev_b32_e32 v1, 3, v2
	s_mov_b32 s23, exec_lo
	v_and_b32_sdwa v0, v3, v0 dst_sel:DWORD dst_unused:UNUSED_PAD src0_sel:WORD_0 src1_sel:DWORD
	v_cmpx_gt_u32_e32 8, v2
; %bb.894:                              ;   in Loop: Header=BB287_15 Depth=1
	v_ffbh_u32_e32 v0, v0
	v_min_u32_e32 v2, 32, v0
	v_subrev_nc_u32_e32 v0, 28, v2
	v_lshlrev_b64 v[0:1], v0, v[3:4]
	v_sub_nc_u32_e32 v1, 29, v2
	v_and_b32_e32 v0, 7, v0
; %bb.895:                              ;   in Loop: Header=BB287_15 Depth=1
	s_or_b32 exec_lo, exec_lo, s23
	v_mov_b32_e32 v2, 8
	v_lshl_add_u32 v1, v1, 10, 0x2000
	v_lshlrev_b32_e32 v0, 23, v0
	v_lshlrev_b32_sdwa v2, v2, v3 dst_sel:DWORD dst_unused:UNUSED_PAD src0_sel:DWORD src1_sel:WORD_0
	v_and_or_b32 v1, 0x8000, v2, v1
	v_lshl_or_b32 v0, v1, 16, v0
	buffer_store_dword v0, off, s[0:3], s32 offset:588 ; 4-byte Folded Spill
.LBB287_896:                            ;   in Loop: Header=BB287_15 Depth=1
	s_or_b32 exec_lo, exec_lo, s22
.LBB287_897:                            ;   in Loop: Header=BB287_15 Depth=1
	s_or_b32 exec_lo, exec_lo, s19
.LBB287_898:                            ;   in Loop: Header=BB287_15 Depth=1
	s_or_b32 exec_lo, exec_lo, s17
	v_lshrrev_b32_e32 v3, 16, v30
	v_cmp_ne_u16_sdwa s5, v3, v4 src0_sel:BYTE_0 src1_sel:DWORD
	s_and_saveexec_b32 s17, s5
	s_cbranch_execz .LBB287_906
; %bb.899:                              ;   in Loop: Header=BB287_15 Depth=1
	v_cmp_ne_u16_sdwa s5, v3, v64 src0_sel:BYTE_0 src1_sel:DWORD
	v_mov_b32_e32 v0, 0x8000
	buffer_store_dword v0, off, s[0:3], s32 offset:584 ; 4-byte Folded Spill
	s_and_saveexec_b32 s19, s5
	s_cbranch_execz .LBB287_905
; %bb.900:                              ;   in Loop: Header=BB287_15 Depth=1
	v_bfe_u32 v2, v30, 16, 7
	v_mov_b32_e32 v0, 0x7c01
	s_mov_b32 s22, exec_lo
	buffer_store_dword v0, off, s[0:3], s32 offset:584 ; 4-byte Folded Spill
	v_cmpx_ne_u32_e32 0x7f, v2
	s_cbranch_execz .LBB287_904
; %bb.901:                              ;   in Loop: Header=BB287_15 Depth=1
	v_and_b32_e32 v0, 7, v3
	v_lshrrev_b32_e32 v1, 3, v2
	s_mov_b32 s23, exec_lo
	v_cmpx_gt_u32_e32 8, v2
; %bb.902:                              ;   in Loop: Header=BB287_15 Depth=1
	v_ffbh_u32_e32 v0, v0
	v_min_u32_e32 v2, 32, v0
	v_subrev_nc_u32_e32 v0, 28, v2
	v_lshlrev_b64 v[0:1], v0, v[3:4]
	v_sub_nc_u32_e32 v1, 29, v2
	v_and_b32_e32 v0, 7, v0
; %bb.903:                              ;   in Loop: Header=BB287_15 Depth=1
	s_or_b32 exec_lo, exec_lo, s23
	v_lshlrev_b32_e32 v2, 8, v3
	v_lshl_add_u32 v1, v1, 10, 0x2000
	v_lshlrev_b32_e32 v0, 7, v0
	v_and_b32_e32 v2, 0x8000, v2
	v_and_b32_e32 v1, 0xfc00, v1
	v_or3_b32 v0, v2, v1, v0
	buffer_store_dword v0, off, s[0:3], s32 offset:584 ; 4-byte Folded Spill
.LBB287_904:                            ;   in Loop: Header=BB287_15 Depth=1
	s_or_b32 exec_lo, exec_lo, s22
.LBB287_905:                            ;   in Loop: Header=BB287_15 Depth=1
	s_or_b32 exec_lo, exec_lo, s19
.LBB287_906:                            ;   in Loop: Header=BB287_15 Depth=1
	s_or_b32 exec_lo, exec_lo, s17
	v_mov_b32_e32 v0, 0
	s_mov_b32 s17, exec_lo
	buffer_store_dword v0, off, s[0:3], s32 offset:592 ; 4-byte Folded Spill
	v_mov_b32_e32 v0, 0
	buffer_store_dword v0, off, s[0:3], s32 offset:792 ; 4-byte Folded Spill
	v_cmpx_lt_u64_e64 s[8:9], v[29:30]
	s_cbranch_execz .LBB287_914
; %bb.907:                              ;   in Loop: Header=BB287_15 Depth=1
	v_lshrrev_b32_e32 v3, 24, v30
	v_bfrev_b32_e32 v0, 1
	s_mov_b32 s19, exec_lo
	v_cmpx_ne_u32_e32 0x80, v3
	s_cbranch_execz .LBB287_913
; %bb.908:                              ;   in Loop: Header=BB287_15 Depth=1
	v_and_b32_e32 v2, 0x7f, v3
	v_mov_b32_e32 v0, 0x7c010000
	s_mov_b32 s22, exec_lo
	v_cmpx_ne_u32_e32 0x7f, v2
	s_cbranch_execz .LBB287_912
; %bb.909:                              ;   in Loop: Header=BB287_15 Depth=1
	v_and_b32_e32 v0, 7, v3
	v_lshrrev_b32_e32 v1, 3, v2
	s_mov_b32 s23, exec_lo
	v_cmpx_gt_u32_e32 8, v2
; %bb.910:                              ;   in Loop: Header=BB287_15 Depth=1
	v_ffbh_u32_e32 v0, v0
	v_min_u32_e32 v2, 32, v0
	v_subrev_nc_u32_e32 v0, 28, v2
	v_lshlrev_b64 v[0:1], v0, v[3:4]
	v_sub_nc_u32_e32 v1, 29, v2
	v_and_b32_e32 v0, 7, v0
; %bb.911:                              ;   in Loop: Header=BB287_15 Depth=1
	s_or_b32 exec_lo, exec_lo, s23
	v_lshlrev_b32_e32 v2, 8, v3
	v_lshl_add_u32 v1, v1, 10, 0x2000
	v_lshlrev_b32_e32 v0, 23, v0
	v_and_or_b32 v1, 0x8000, v2, v1
	v_lshl_or_b32 v0, v1, 16, v0
.LBB287_912:                            ;   in Loop: Header=BB287_15 Depth=1
	s_or_b32 exec_lo, exec_lo, s22
.LBB287_913:                            ;   in Loop: Header=BB287_15 Depth=1
	s_or_b32 exec_lo, exec_lo, s19
	buffer_store_dword v0, off, s[0:3], s32 offset:792 ; 4-byte Folded Spill
.LBB287_914:                            ;   in Loop: Header=BB287_15 Depth=1
	s_or_b32 exec_lo, exec_lo, s17
	flat_load_dwordx2 v[29:30], v[27:28] offset:1536
	s_waitcnt vmcnt(0) lgkmcnt(0)
	v_cmp_ne_u16_sdwa s5, v29, v4 src0_sel:BYTE_0 src1_sel:DWORD
	s_and_saveexec_b32 s17, s5
	s_cbranch_execz .LBB287_922
; %bb.915:                              ;   in Loop: Header=BB287_15 Depth=1
	v_cmp_ne_u16_sdwa s5, v29, v64 src0_sel:BYTE_0 src1_sel:DWORD
	v_mov_b32_e32 v0, 0x8000
	buffer_store_dword v0, off, s[0:3], s32 offset:592 ; 4-byte Folded Spill
	s_and_saveexec_b32 s19, s5
	s_cbranch_execz .LBB287_921
; %bb.916:                              ;   in Loop: Header=BB287_15 Depth=1
	v_and_b32_e32 v2, 0x7f, v29
	v_mov_b32_e32 v0, 0x7c01
	s_mov_b32 s22, exec_lo
	buffer_store_dword v0, off, s[0:3], s32 offset:592 ; 4-byte Folded Spill
	v_cmpx_ne_u32_e32 0x7f, v2
	s_cbranch_execz .LBB287_920
; %bb.917:                              ;   in Loop: Header=BB287_15 Depth=1
	v_and_b32_e32 v0, 7, v29
	v_lshrrev_b32_e32 v1, 3, v2
	s_mov_b32 s23, exec_lo
	v_cmpx_gt_u32_e32 8, v2
; %bb.918:                              ;   in Loop: Header=BB287_15 Depth=1
	v_ffbh_u32_e32 v0, v0
	v_min_u32_e32 v2, 32, v0
	v_subrev_nc_u32_e32 v0, 28, v2
	v_lshlrev_b64 v[0:1], v0, v[29:30]
	v_sub_nc_u32_e32 v1, 29, v2
	v_and_b32_e32 v0, 7, v0
; %bb.919:                              ;   in Loop: Header=BB287_15 Depth=1
	s_or_b32 exec_lo, exec_lo, s23
	v_lshlrev_b32_e32 v2, 8, v29
	v_lshl_add_u32 v1, v1, 10, 0x2000
	v_lshlrev_b32_e32 v0, 7, v0
	v_and_b32_e32 v2, 0x8000, v2
	v_and_b32_e32 v1, 0xfc00, v1
	v_or3_b32 v0, v2, v1, v0
	buffer_store_dword v0, off, s[0:3], s32 offset:592 ; 4-byte Folded Spill
.LBB287_920:                            ;   in Loop: Header=BB287_15 Depth=1
	s_or_b32 exec_lo, exec_lo, s22
.LBB287_921:                            ;   in Loop: Header=BB287_15 Depth=1
	s_or_b32 exec_lo, exec_lo, s19
.LBB287_922:                            ;   in Loop: Header=BB287_15 Depth=1
	s_or_b32 exec_lo, exec_lo, s17
	v_mov_b32_e32 v0, 0
	v_lshrrev_b16 v3, 8, v29
	s_mov_b32 s17, exec_lo
	buffer_store_dword v0, off, s[0:3], s32 offset:600 ; 4-byte Folded Spill
	v_mov_b32_e32 v0, 0
	buffer_store_dword v0, off, s[0:3], s32 offset:596 ; 4-byte Folded Spill
	v_cmpx_ne_u16_e32 0, v3
	s_cbranch_execz .LBB287_930
; %bb.923:                              ;   in Loop: Header=BB287_15 Depth=1
	v_bfrev_b32_e32 v0, 1
	s_mov_b32 s19, exec_lo
	buffer_store_dword v0, off, s[0:3], s32 offset:596 ; 4-byte Folded Spill
	v_cmpx_ne_u16_e32 0x80, v3
	s_cbranch_execz .LBB287_929
; %bb.924:                              ;   in Loop: Header=BB287_15 Depth=1
	v_mov_b32_e32 v0, 0x7f
	s_mov_b32 s22, exec_lo
	v_and_b32_sdwa v2, v3, v0 dst_sel:DWORD dst_unused:UNUSED_PAD src0_sel:WORD_0 src1_sel:DWORD
	v_mov_b32_e32 v0, 0x7c010000
	buffer_store_dword v0, off, s[0:3], s32 offset:596 ; 4-byte Folded Spill
	v_cmpx_ne_u32_e32 0x7f, v2
	s_cbranch_execz .LBB287_928
; %bb.925:                              ;   in Loop: Header=BB287_15 Depth=1
	v_mov_b32_e32 v0, 7
	v_lshrrev_b32_e32 v1, 3, v2
	s_mov_b32 s23, exec_lo
	v_and_b32_sdwa v0, v3, v0 dst_sel:DWORD dst_unused:UNUSED_PAD src0_sel:WORD_0 src1_sel:DWORD
	v_cmpx_gt_u32_e32 8, v2
; %bb.926:                              ;   in Loop: Header=BB287_15 Depth=1
	v_ffbh_u32_e32 v0, v0
	v_min_u32_e32 v2, 32, v0
	v_subrev_nc_u32_e32 v0, 28, v2
	v_lshlrev_b64 v[0:1], v0, v[3:4]
	v_sub_nc_u32_e32 v1, 29, v2
	v_and_b32_e32 v0, 7, v0
; %bb.927:                              ;   in Loop: Header=BB287_15 Depth=1
	s_or_b32 exec_lo, exec_lo, s23
	v_mov_b32_e32 v2, 8
	v_lshl_add_u32 v1, v1, 10, 0x2000
	v_lshlrev_b32_e32 v0, 23, v0
	v_lshlrev_b32_sdwa v2, v2, v3 dst_sel:DWORD dst_unused:UNUSED_PAD src0_sel:DWORD src1_sel:WORD_0
	v_and_or_b32 v1, 0x8000, v2, v1
	v_lshl_or_b32 v0, v1, 16, v0
	buffer_store_dword v0, off, s[0:3], s32 offset:596 ; 4-byte Folded Spill
.LBB287_928:                            ;   in Loop: Header=BB287_15 Depth=1
	s_or_b32 exec_lo, exec_lo, s22
.LBB287_929:                            ;   in Loop: Header=BB287_15 Depth=1
	s_or_b32 exec_lo, exec_lo, s19
.LBB287_930:                            ;   in Loop: Header=BB287_15 Depth=1
	s_or_b32 exec_lo, exec_lo, s17
	v_lshrrev_b32_e32 v3, 16, v29
	v_cmp_ne_u16_sdwa s5, v3, v4 src0_sel:BYTE_0 src1_sel:DWORD
	s_and_saveexec_b32 s17, s5
	s_cbranch_execz .LBB287_938
; %bb.931:                              ;   in Loop: Header=BB287_15 Depth=1
	v_cmp_ne_u16_sdwa s5, v3, v64 src0_sel:BYTE_0 src1_sel:DWORD
	v_mov_b32_e32 v0, 0x8000
	buffer_store_dword v0, off, s[0:3], s32 offset:600 ; 4-byte Folded Spill
	s_and_saveexec_b32 s19, s5
	s_cbranch_execz .LBB287_937
; %bb.932:                              ;   in Loop: Header=BB287_15 Depth=1
	v_bfe_u32 v2, v29, 16, 7
	v_mov_b32_e32 v0, 0x7c01
	s_mov_b32 s22, exec_lo
	buffer_store_dword v0, off, s[0:3], s32 offset:600 ; 4-byte Folded Spill
	v_cmpx_ne_u32_e32 0x7f, v2
	s_cbranch_execz .LBB287_936
; %bb.933:                              ;   in Loop: Header=BB287_15 Depth=1
	v_and_b32_e32 v0, 7, v3
	v_lshrrev_b32_e32 v1, 3, v2
	s_mov_b32 s23, exec_lo
	v_cmpx_gt_u32_e32 8, v2
; %bb.934:                              ;   in Loop: Header=BB287_15 Depth=1
	v_ffbh_u32_e32 v0, v0
	v_min_u32_e32 v2, 32, v0
	v_subrev_nc_u32_e32 v0, 28, v2
	v_lshlrev_b64 v[0:1], v0, v[3:4]
	v_sub_nc_u32_e32 v1, 29, v2
	v_and_b32_e32 v0, 7, v0
; %bb.935:                              ;   in Loop: Header=BB287_15 Depth=1
	s_or_b32 exec_lo, exec_lo, s23
	v_lshlrev_b32_e32 v2, 8, v3
	v_lshl_add_u32 v1, v1, 10, 0x2000
	v_lshlrev_b32_e32 v0, 7, v0
	v_and_b32_e32 v2, 0x8000, v2
	v_and_b32_e32 v1, 0xfc00, v1
	v_or3_b32 v0, v2, v1, v0
	buffer_store_dword v0, off, s[0:3], s32 offset:600 ; 4-byte Folded Spill
.LBB287_936:                            ;   in Loop: Header=BB287_15 Depth=1
	s_or_b32 exec_lo, exec_lo, s22
.LBB287_937:                            ;   in Loop: Header=BB287_15 Depth=1
	s_or_b32 exec_lo, exec_lo, s19
.LBB287_938:                            ;   in Loop: Header=BB287_15 Depth=1
	s_or_b32 exec_lo, exec_lo, s17
	v_mov_b32_e32 v0, 0
	s_mov_b32 s17, exec_lo
	buffer_store_dword v0, off, s[0:3], s32 offset:604 ; 4-byte Folded Spill
	v_mov_b32_e32 v0, 0
	buffer_store_dword v0, off, s[0:3], s32 offset:608 ; 4-byte Folded Spill
	v_cmpx_lt_u32_e32 0xffffff, v29
	s_cbranch_execz .LBB287_946
; %bb.939:                              ;   in Loop: Header=BB287_15 Depth=1
	v_lshrrev_b32_e32 v3, 24, v29
	v_bfrev_b32_e32 v0, 1
	s_mov_b32 s19, exec_lo
	buffer_store_dword v0, off, s[0:3], s32 offset:608 ; 4-byte Folded Spill
	v_cmpx_ne_u32_e32 0x80, v3
	s_cbranch_execz .LBB287_945
; %bb.940:                              ;   in Loop: Header=BB287_15 Depth=1
	v_and_b32_e32 v2, 0x7f, v3
	v_mov_b32_e32 v0, 0x7c010000
	s_mov_b32 s22, exec_lo
	buffer_store_dword v0, off, s[0:3], s32 offset:608 ; 4-byte Folded Spill
	v_cmpx_ne_u32_e32 0x7f, v2
	s_cbranch_execz .LBB287_944
; %bb.941:                              ;   in Loop: Header=BB287_15 Depth=1
	v_and_b32_e32 v0, 7, v3
	v_lshrrev_b32_e32 v1, 3, v2
	s_mov_b32 s23, exec_lo
	v_cmpx_gt_u32_e32 8, v2
; %bb.942:                              ;   in Loop: Header=BB287_15 Depth=1
	v_ffbh_u32_e32 v0, v0
	v_min_u32_e32 v2, 32, v0
	v_subrev_nc_u32_e32 v0, 28, v2
	v_lshlrev_b64 v[0:1], v0, v[3:4]
	v_sub_nc_u32_e32 v1, 29, v2
	v_and_b32_e32 v0, 7, v0
; %bb.943:                              ;   in Loop: Header=BB287_15 Depth=1
	s_or_b32 exec_lo, exec_lo, s23
	v_lshlrev_b32_e32 v2, 8, v3
	v_lshl_add_u32 v1, v1, 10, 0x2000
	v_lshlrev_b32_e32 v0, 23, v0
	v_and_or_b32 v1, 0x8000, v2, v1
	v_lshl_or_b32 v0, v1, 16, v0
	buffer_store_dword v0, off, s[0:3], s32 offset:608 ; 4-byte Folded Spill
.LBB287_944:                            ;   in Loop: Header=BB287_15 Depth=1
	s_or_b32 exec_lo, exec_lo, s22
.LBB287_945:                            ;   in Loop: Header=BB287_15 Depth=1
	s_or_b32 exec_lo, exec_lo, s19
.LBB287_946:                            ;   in Loop: Header=BB287_15 Depth=1
	s_or_b32 exec_lo, exec_lo, s17
	v_mov_b32_e32 v3, v30
	v_cmp_ne_u16_sdwa s5, v30, v4 src0_sel:BYTE_0 src1_sel:DWORD
	s_and_saveexec_b32 s17, s5
	s_cbranch_execz .LBB287_954
; %bb.947:                              ;   in Loop: Header=BB287_15 Depth=1
	v_cmp_ne_u16_sdwa s5, v30, v64 src0_sel:BYTE_0 src1_sel:DWORD
	v_mov_b32_e32 v0, 0x8000
	buffer_store_dword v0, off, s[0:3], s32 offset:604 ; 4-byte Folded Spill
	s_and_saveexec_b32 s19, s5
	s_cbranch_execz .LBB287_953
; %bb.948:                              ;   in Loop: Header=BB287_15 Depth=1
	v_and_b32_e32 v2, 0x7f, v30
	v_mov_b32_e32 v0, 0x7c01
	s_mov_b32 s22, exec_lo
	buffer_store_dword v0, off, s[0:3], s32 offset:604 ; 4-byte Folded Spill
	v_cmpx_ne_u32_e32 0x7f, v2
	s_cbranch_execz .LBB287_952
; %bb.949:                              ;   in Loop: Header=BB287_15 Depth=1
	v_and_b32_e32 v0, 7, v30
	v_lshrrev_b32_e32 v1, 3, v2
	s_mov_b32 s23, exec_lo
	v_cmpx_gt_u32_e32 8, v2
; %bb.950:                              ;   in Loop: Header=BB287_15 Depth=1
	v_ffbh_u32_e32 v0, v0
	v_min_u32_e32 v2, 32, v0
	v_subrev_nc_u32_e32 v0, 28, v2
	v_lshlrev_b64 v[0:1], v0, v[3:4]
	v_sub_nc_u32_e32 v1, 29, v2
	v_and_b32_e32 v0, 7, v0
; %bb.951:                              ;   in Loop: Header=BB287_15 Depth=1
	s_or_b32 exec_lo, exec_lo, s23
	v_lshlrev_b32_e32 v2, 8, v30
	v_lshl_add_u32 v1, v1, 10, 0x2000
	v_lshlrev_b32_e32 v0, 7, v0
	v_and_b32_e32 v2, 0x8000, v2
	v_and_b32_e32 v1, 0xfc00, v1
	v_or3_b32 v0, v2, v1, v0
	buffer_store_dword v0, off, s[0:3], s32 offset:604 ; 4-byte Folded Spill
.LBB287_952:                            ;   in Loop: Header=BB287_15 Depth=1
	s_or_b32 exec_lo, exec_lo, s22
.LBB287_953:                            ;   in Loop: Header=BB287_15 Depth=1
	s_or_b32 exec_lo, exec_lo, s19
.LBB287_954:                            ;   in Loop: Header=BB287_15 Depth=1
	s_or_b32 exec_lo, exec_lo, s17
	v_mov_b32_e32 v0, 0
	v_lshrrev_b16 v3, 8, v3
	s_mov_b32 s17, exec_lo
	buffer_store_dword v0, off, s[0:3], s32 offset:612 ; 4-byte Folded Spill
	v_mov_b32_e32 v0, 0
	buffer_store_dword v0, off, s[0:3], s32 offset:616 ; 4-byte Folded Spill
	v_cmpx_ne_u16_e32 0, v3
	s_cbranch_execz .LBB287_962
; %bb.955:                              ;   in Loop: Header=BB287_15 Depth=1
	v_bfrev_b32_e32 v0, 1
	s_mov_b32 s19, exec_lo
	buffer_store_dword v0, off, s[0:3], s32 offset:616 ; 4-byte Folded Spill
	v_cmpx_ne_u16_e32 0x80, v3
	s_cbranch_execz .LBB287_961
; %bb.956:                              ;   in Loop: Header=BB287_15 Depth=1
	v_mov_b32_e32 v0, 0x7f
	s_mov_b32 s22, exec_lo
	v_and_b32_sdwa v2, v3, v0 dst_sel:DWORD dst_unused:UNUSED_PAD src0_sel:WORD_0 src1_sel:DWORD
	v_mov_b32_e32 v0, 0x7c010000
	buffer_store_dword v0, off, s[0:3], s32 offset:616 ; 4-byte Folded Spill
	v_cmpx_ne_u32_e32 0x7f, v2
	s_cbranch_execz .LBB287_960
; %bb.957:                              ;   in Loop: Header=BB287_15 Depth=1
	v_mov_b32_e32 v0, 7
	v_lshrrev_b32_e32 v1, 3, v2
	s_mov_b32 s23, exec_lo
	v_and_b32_sdwa v0, v3, v0 dst_sel:DWORD dst_unused:UNUSED_PAD src0_sel:WORD_0 src1_sel:DWORD
	v_cmpx_gt_u32_e32 8, v2
; %bb.958:                              ;   in Loop: Header=BB287_15 Depth=1
	v_ffbh_u32_e32 v0, v0
	v_min_u32_e32 v2, 32, v0
	v_subrev_nc_u32_e32 v0, 28, v2
	v_lshlrev_b64 v[0:1], v0, v[3:4]
	v_sub_nc_u32_e32 v1, 29, v2
	v_and_b32_e32 v0, 7, v0
; %bb.959:                              ;   in Loop: Header=BB287_15 Depth=1
	s_or_b32 exec_lo, exec_lo, s23
	v_mov_b32_e32 v2, 8
	v_lshl_add_u32 v1, v1, 10, 0x2000
	v_lshlrev_b32_e32 v0, 23, v0
	v_lshlrev_b32_sdwa v2, v2, v3 dst_sel:DWORD dst_unused:UNUSED_PAD src0_sel:DWORD src1_sel:WORD_0
	v_and_or_b32 v1, 0x8000, v2, v1
	v_lshl_or_b32 v0, v1, 16, v0
	buffer_store_dword v0, off, s[0:3], s32 offset:616 ; 4-byte Folded Spill
.LBB287_960:                            ;   in Loop: Header=BB287_15 Depth=1
	s_or_b32 exec_lo, exec_lo, s22
.LBB287_961:                            ;   in Loop: Header=BB287_15 Depth=1
	s_or_b32 exec_lo, exec_lo, s19
.LBB287_962:                            ;   in Loop: Header=BB287_15 Depth=1
	s_or_b32 exec_lo, exec_lo, s17
	v_lshrrev_b32_e32 v3, 16, v30
	v_cmp_ne_u16_sdwa s5, v3, v4 src0_sel:BYTE_0 src1_sel:DWORD
	s_and_saveexec_b32 s17, s5
	s_cbranch_execz .LBB287_970
; %bb.963:                              ;   in Loop: Header=BB287_15 Depth=1
	v_cmp_ne_u16_sdwa s5, v3, v64 src0_sel:BYTE_0 src1_sel:DWORD
	v_mov_b32_e32 v0, 0x8000
	buffer_store_dword v0, off, s[0:3], s32 offset:612 ; 4-byte Folded Spill
	s_and_saveexec_b32 s19, s5
	s_cbranch_execz .LBB287_969
; %bb.964:                              ;   in Loop: Header=BB287_15 Depth=1
	v_bfe_u32 v2, v30, 16, 7
	v_mov_b32_e32 v0, 0x7c01
	s_mov_b32 s22, exec_lo
	buffer_store_dword v0, off, s[0:3], s32 offset:612 ; 4-byte Folded Spill
	v_cmpx_ne_u32_e32 0x7f, v2
	s_cbranch_execz .LBB287_968
; %bb.965:                              ;   in Loop: Header=BB287_15 Depth=1
	v_and_b32_e32 v0, 7, v3
	v_lshrrev_b32_e32 v1, 3, v2
	s_mov_b32 s23, exec_lo
	v_cmpx_gt_u32_e32 8, v2
; %bb.966:                              ;   in Loop: Header=BB287_15 Depth=1
	v_ffbh_u32_e32 v0, v0
	v_min_u32_e32 v2, 32, v0
	v_subrev_nc_u32_e32 v0, 28, v2
	v_lshlrev_b64 v[0:1], v0, v[3:4]
	v_sub_nc_u32_e32 v1, 29, v2
	v_and_b32_e32 v0, 7, v0
; %bb.967:                              ;   in Loop: Header=BB287_15 Depth=1
	s_or_b32 exec_lo, exec_lo, s23
	v_lshlrev_b32_e32 v2, 8, v3
	v_lshl_add_u32 v1, v1, 10, 0x2000
	v_lshlrev_b32_e32 v0, 7, v0
	v_and_b32_e32 v2, 0x8000, v2
	v_and_b32_e32 v1, 0xfc00, v1
	v_or3_b32 v0, v2, v1, v0
	buffer_store_dword v0, off, s[0:3], s32 offset:612 ; 4-byte Folded Spill
.LBB287_968:                            ;   in Loop: Header=BB287_15 Depth=1
	s_or_b32 exec_lo, exec_lo, s22
.LBB287_969:                            ;   in Loop: Header=BB287_15 Depth=1
	s_or_b32 exec_lo, exec_lo, s19
.LBB287_970:                            ;   in Loop: Header=BB287_15 Depth=1
	s_or_b32 exec_lo, exec_lo, s17
	v_mov_b32_e32 v0, 0
	s_mov_b32 s17, exec_lo
	buffer_store_dword v0, off, s[0:3], s32 offset:620 ; 4-byte Folded Spill
	v_mov_b32_e32 v0, 0
	buffer_store_dword v0, off, s[0:3], s32 offset:796 ; 4-byte Folded Spill
	v_cmpx_lt_u64_e64 s[8:9], v[29:30]
	s_cbranch_execz .LBB287_978
; %bb.971:                              ;   in Loop: Header=BB287_15 Depth=1
	v_lshrrev_b32_e32 v3, 24, v30
	v_bfrev_b32_e32 v0, 1
	s_mov_b32 s19, exec_lo
	v_cmpx_ne_u32_e32 0x80, v3
	s_cbranch_execz .LBB287_977
; %bb.972:                              ;   in Loop: Header=BB287_15 Depth=1
	v_and_b32_e32 v2, 0x7f, v3
	v_mov_b32_e32 v0, 0x7c010000
	s_mov_b32 s22, exec_lo
	v_cmpx_ne_u32_e32 0x7f, v2
	s_cbranch_execz .LBB287_976
; %bb.973:                              ;   in Loop: Header=BB287_15 Depth=1
	v_and_b32_e32 v0, 7, v3
	v_lshrrev_b32_e32 v1, 3, v2
	s_mov_b32 s23, exec_lo
	v_cmpx_gt_u32_e32 8, v2
; %bb.974:                              ;   in Loop: Header=BB287_15 Depth=1
	v_ffbh_u32_e32 v0, v0
	v_min_u32_e32 v2, 32, v0
	v_subrev_nc_u32_e32 v0, 28, v2
	v_lshlrev_b64 v[0:1], v0, v[3:4]
	v_sub_nc_u32_e32 v1, 29, v2
	v_and_b32_e32 v0, 7, v0
; %bb.975:                              ;   in Loop: Header=BB287_15 Depth=1
	s_or_b32 exec_lo, exec_lo, s23
	v_lshlrev_b32_e32 v2, 8, v3
	v_lshl_add_u32 v1, v1, 10, 0x2000
	v_lshlrev_b32_e32 v0, 23, v0
	v_and_or_b32 v1, 0x8000, v2, v1
	v_lshl_or_b32 v0, v1, 16, v0
.LBB287_976:                            ;   in Loop: Header=BB287_15 Depth=1
	s_or_b32 exec_lo, exec_lo, s22
.LBB287_977:                            ;   in Loop: Header=BB287_15 Depth=1
	s_or_b32 exec_lo, exec_lo, s19
	buffer_store_dword v0, off, s[0:3], s32 offset:796 ; 4-byte Folded Spill
.LBB287_978:                            ;   in Loop: Header=BB287_15 Depth=1
	s_or_b32 exec_lo, exec_lo, s17
	flat_load_dwordx2 v[27:28], v[27:28] offset:1544
	s_waitcnt vmcnt(0) lgkmcnt(0)
	v_cmp_ne_u16_sdwa s5, v27, v4 src0_sel:BYTE_0 src1_sel:DWORD
	s_and_saveexec_b32 s17, s5
	s_cbranch_execz .LBB287_986
; %bb.979:                              ;   in Loop: Header=BB287_15 Depth=1
	v_cmp_ne_u16_sdwa s5, v27, v64 src0_sel:BYTE_0 src1_sel:DWORD
	v_mov_b32_e32 v0, 0x8000
	buffer_store_dword v0, off, s[0:3], s32 offset:620 ; 4-byte Folded Spill
	s_and_saveexec_b32 s19, s5
	s_cbranch_execz .LBB287_985
; %bb.980:                              ;   in Loop: Header=BB287_15 Depth=1
	v_and_b32_e32 v2, 0x7f, v27
	v_mov_b32_e32 v0, 0x7c01
	s_mov_b32 s22, exec_lo
	buffer_store_dword v0, off, s[0:3], s32 offset:620 ; 4-byte Folded Spill
	v_cmpx_ne_u32_e32 0x7f, v2
	s_cbranch_execz .LBB287_984
; %bb.981:                              ;   in Loop: Header=BB287_15 Depth=1
	v_and_b32_e32 v0, 7, v27
	v_lshrrev_b32_e32 v1, 3, v2
	s_mov_b32 s23, exec_lo
	v_cmpx_gt_u32_e32 8, v2
; %bb.982:                              ;   in Loop: Header=BB287_15 Depth=1
	v_ffbh_u32_e32 v0, v0
	v_min_u32_e32 v2, 32, v0
	v_subrev_nc_u32_e32 v0, 28, v2
	v_lshlrev_b64 v[0:1], v0, v[27:28]
	v_sub_nc_u32_e32 v1, 29, v2
	v_and_b32_e32 v0, 7, v0
; %bb.983:                              ;   in Loop: Header=BB287_15 Depth=1
	s_or_b32 exec_lo, exec_lo, s23
	v_lshlrev_b32_e32 v2, 8, v27
	v_lshl_add_u32 v1, v1, 10, 0x2000
	v_lshlrev_b32_e32 v0, 7, v0
	v_and_b32_e32 v2, 0x8000, v2
	v_and_b32_e32 v1, 0xfc00, v1
	v_or3_b32 v0, v2, v1, v0
	buffer_store_dword v0, off, s[0:3], s32 offset:620 ; 4-byte Folded Spill
.LBB287_984:                            ;   in Loop: Header=BB287_15 Depth=1
	s_or_b32 exec_lo, exec_lo, s22
.LBB287_985:                            ;   in Loop: Header=BB287_15 Depth=1
	s_or_b32 exec_lo, exec_lo, s19
.LBB287_986:                            ;   in Loop: Header=BB287_15 Depth=1
	s_or_b32 exec_lo, exec_lo, s17
	v_mov_b32_e32 v0, 0
	v_lshrrev_b16 v3, 8, v27
	s_mov_b32 s17, exec_lo
	buffer_store_dword v0, off, s[0:3], s32 offset:628 ; 4-byte Folded Spill
	v_mov_b32_e32 v0, 0
	buffer_store_dword v0, off, s[0:3], s32 offset:624 ; 4-byte Folded Spill
	v_cmpx_ne_u16_e32 0, v3
	s_cbranch_execz .LBB287_994
; %bb.987:                              ;   in Loop: Header=BB287_15 Depth=1
	v_bfrev_b32_e32 v0, 1
	s_mov_b32 s19, exec_lo
	buffer_store_dword v0, off, s[0:3], s32 offset:624 ; 4-byte Folded Spill
	v_cmpx_ne_u16_e32 0x80, v3
	s_cbranch_execz .LBB287_993
; %bb.988:                              ;   in Loop: Header=BB287_15 Depth=1
	v_mov_b32_e32 v0, 0x7f
	s_mov_b32 s22, exec_lo
	v_and_b32_sdwa v2, v3, v0 dst_sel:DWORD dst_unused:UNUSED_PAD src0_sel:WORD_0 src1_sel:DWORD
	v_mov_b32_e32 v0, 0x7c010000
	buffer_store_dword v0, off, s[0:3], s32 offset:624 ; 4-byte Folded Spill
	v_cmpx_ne_u32_e32 0x7f, v2
	s_cbranch_execz .LBB287_992
; %bb.989:                              ;   in Loop: Header=BB287_15 Depth=1
	v_mov_b32_e32 v0, 7
	v_lshrrev_b32_e32 v1, 3, v2
	s_mov_b32 s23, exec_lo
	v_and_b32_sdwa v0, v3, v0 dst_sel:DWORD dst_unused:UNUSED_PAD src0_sel:WORD_0 src1_sel:DWORD
	v_cmpx_gt_u32_e32 8, v2
; %bb.990:                              ;   in Loop: Header=BB287_15 Depth=1
	v_ffbh_u32_e32 v0, v0
	v_min_u32_e32 v2, 32, v0
	v_subrev_nc_u32_e32 v0, 28, v2
	v_lshlrev_b64 v[0:1], v0, v[3:4]
	v_sub_nc_u32_e32 v1, 29, v2
	v_and_b32_e32 v0, 7, v0
; %bb.991:                              ;   in Loop: Header=BB287_15 Depth=1
	s_or_b32 exec_lo, exec_lo, s23
	v_mov_b32_e32 v2, 8
	v_lshl_add_u32 v1, v1, 10, 0x2000
	v_lshlrev_b32_e32 v0, 23, v0
	v_lshlrev_b32_sdwa v2, v2, v3 dst_sel:DWORD dst_unused:UNUSED_PAD src0_sel:DWORD src1_sel:WORD_0
	v_and_or_b32 v1, 0x8000, v2, v1
	v_lshl_or_b32 v0, v1, 16, v0
	buffer_store_dword v0, off, s[0:3], s32 offset:624 ; 4-byte Folded Spill
.LBB287_992:                            ;   in Loop: Header=BB287_15 Depth=1
	s_or_b32 exec_lo, exec_lo, s22
.LBB287_993:                            ;   in Loop: Header=BB287_15 Depth=1
	s_or_b32 exec_lo, exec_lo, s19
.LBB287_994:                            ;   in Loop: Header=BB287_15 Depth=1
	s_or_b32 exec_lo, exec_lo, s17
	v_lshrrev_b32_e32 v3, 16, v27
	v_cmp_ne_u16_sdwa s5, v3, v4 src0_sel:BYTE_0 src1_sel:DWORD
	s_and_saveexec_b32 s17, s5
	s_cbranch_execz .LBB287_1002
; %bb.995:                              ;   in Loop: Header=BB287_15 Depth=1
	v_cmp_ne_u16_sdwa s5, v3, v64 src0_sel:BYTE_0 src1_sel:DWORD
	v_mov_b32_e32 v0, 0x8000
	buffer_store_dword v0, off, s[0:3], s32 offset:628 ; 4-byte Folded Spill
	s_and_saveexec_b32 s19, s5
	s_cbranch_execz .LBB287_1001
; %bb.996:                              ;   in Loop: Header=BB287_15 Depth=1
	v_bfe_u32 v2, v27, 16, 7
	v_mov_b32_e32 v0, 0x7c01
	s_mov_b32 s22, exec_lo
	buffer_store_dword v0, off, s[0:3], s32 offset:628 ; 4-byte Folded Spill
	v_cmpx_ne_u32_e32 0x7f, v2
	s_cbranch_execz .LBB287_1000
; %bb.997:                              ;   in Loop: Header=BB287_15 Depth=1
	v_and_b32_e32 v0, 7, v3
	v_lshrrev_b32_e32 v1, 3, v2
	s_mov_b32 s23, exec_lo
	v_cmpx_gt_u32_e32 8, v2
; %bb.998:                              ;   in Loop: Header=BB287_15 Depth=1
	v_ffbh_u32_e32 v0, v0
	v_min_u32_e32 v2, 32, v0
	v_subrev_nc_u32_e32 v0, 28, v2
	v_lshlrev_b64 v[0:1], v0, v[3:4]
	v_sub_nc_u32_e32 v1, 29, v2
	v_and_b32_e32 v0, 7, v0
; %bb.999:                              ;   in Loop: Header=BB287_15 Depth=1
	s_or_b32 exec_lo, exec_lo, s23
	v_lshlrev_b32_e32 v2, 8, v3
	v_lshl_add_u32 v1, v1, 10, 0x2000
	v_lshlrev_b32_e32 v0, 7, v0
	v_and_b32_e32 v2, 0x8000, v2
	v_and_b32_e32 v1, 0xfc00, v1
	v_or3_b32 v0, v2, v1, v0
	buffer_store_dword v0, off, s[0:3], s32 offset:628 ; 4-byte Folded Spill
.LBB287_1000:                           ;   in Loop: Header=BB287_15 Depth=1
	s_or_b32 exec_lo, exec_lo, s22
.LBB287_1001:                           ;   in Loop: Header=BB287_15 Depth=1
	s_or_b32 exec_lo, exec_lo, s19
.LBB287_1002:                           ;   in Loop: Header=BB287_15 Depth=1
	s_or_b32 exec_lo, exec_lo, s17
	v_mov_b32_e32 v0, 0
	s_mov_b32 s17, exec_lo
	buffer_store_dword v0, off, s[0:3], s32 offset:632 ; 4-byte Folded Spill
	v_mov_b32_e32 v0, 0
	buffer_store_dword v0, off, s[0:3], s32 offset:636 ; 4-byte Folded Spill
	v_cmpx_lt_u32_e32 0xffffff, v27
	s_cbranch_execz .LBB287_1010
; %bb.1003:                             ;   in Loop: Header=BB287_15 Depth=1
	v_lshrrev_b32_e32 v3, 24, v27
	v_bfrev_b32_e32 v0, 1
	s_mov_b32 s19, exec_lo
	buffer_store_dword v0, off, s[0:3], s32 offset:636 ; 4-byte Folded Spill
	v_cmpx_ne_u32_e32 0x80, v3
	s_cbranch_execz .LBB287_1009
; %bb.1004:                             ;   in Loop: Header=BB287_15 Depth=1
	v_and_b32_e32 v2, 0x7f, v3
	v_mov_b32_e32 v0, 0x7c010000
	s_mov_b32 s22, exec_lo
	buffer_store_dword v0, off, s[0:3], s32 offset:636 ; 4-byte Folded Spill
	v_cmpx_ne_u32_e32 0x7f, v2
	s_cbranch_execz .LBB287_1008
; %bb.1005:                             ;   in Loop: Header=BB287_15 Depth=1
	v_and_b32_e32 v0, 7, v3
	v_lshrrev_b32_e32 v1, 3, v2
	s_mov_b32 s23, exec_lo
	v_cmpx_gt_u32_e32 8, v2
; %bb.1006:                             ;   in Loop: Header=BB287_15 Depth=1
	v_ffbh_u32_e32 v0, v0
	v_min_u32_e32 v2, 32, v0
	v_subrev_nc_u32_e32 v0, 28, v2
	v_lshlrev_b64 v[0:1], v0, v[3:4]
	v_sub_nc_u32_e32 v1, 29, v2
	v_and_b32_e32 v0, 7, v0
; %bb.1007:                             ;   in Loop: Header=BB287_15 Depth=1
	s_or_b32 exec_lo, exec_lo, s23
	v_lshlrev_b32_e32 v2, 8, v3
	v_lshl_add_u32 v1, v1, 10, 0x2000
	v_lshlrev_b32_e32 v0, 23, v0
	v_and_or_b32 v1, 0x8000, v2, v1
	v_lshl_or_b32 v0, v1, 16, v0
	buffer_store_dword v0, off, s[0:3], s32 offset:636 ; 4-byte Folded Spill
.LBB287_1008:                           ;   in Loop: Header=BB287_15 Depth=1
	s_or_b32 exec_lo, exec_lo, s22
.LBB287_1009:                           ;   in Loop: Header=BB287_15 Depth=1
	s_or_b32 exec_lo, exec_lo, s19
.LBB287_1010:                           ;   in Loop: Header=BB287_15 Depth=1
	s_or_b32 exec_lo, exec_lo, s17
	v_mov_b32_e32 v3, v28
	v_cmp_ne_u16_sdwa s5, v28, v4 src0_sel:BYTE_0 src1_sel:DWORD
	s_and_saveexec_b32 s17, s5
	s_cbranch_execz .LBB287_1018
; %bb.1011:                             ;   in Loop: Header=BB287_15 Depth=1
	v_cmp_ne_u16_sdwa s5, v28, v64 src0_sel:BYTE_0 src1_sel:DWORD
	v_mov_b32_e32 v0, 0x8000
	buffer_store_dword v0, off, s[0:3], s32 offset:632 ; 4-byte Folded Spill
	s_and_saveexec_b32 s19, s5
	s_cbranch_execz .LBB287_1017
; %bb.1012:                             ;   in Loop: Header=BB287_15 Depth=1
	v_and_b32_e32 v2, 0x7f, v28
	v_mov_b32_e32 v0, 0x7c01
	s_mov_b32 s22, exec_lo
	buffer_store_dword v0, off, s[0:3], s32 offset:632 ; 4-byte Folded Spill
	v_cmpx_ne_u32_e32 0x7f, v2
	s_cbranch_execz .LBB287_1016
; %bb.1013:                             ;   in Loop: Header=BB287_15 Depth=1
	v_and_b32_e32 v0, 7, v28
	v_lshrrev_b32_e32 v1, 3, v2
	s_mov_b32 s23, exec_lo
	v_cmpx_gt_u32_e32 8, v2
; %bb.1014:                             ;   in Loop: Header=BB287_15 Depth=1
	v_ffbh_u32_e32 v0, v0
	v_min_u32_e32 v2, 32, v0
	v_subrev_nc_u32_e32 v0, 28, v2
	v_lshlrev_b64 v[0:1], v0, v[3:4]
	v_sub_nc_u32_e32 v1, 29, v2
	v_and_b32_e32 v0, 7, v0
; %bb.1015:                             ;   in Loop: Header=BB287_15 Depth=1
	s_or_b32 exec_lo, exec_lo, s23
	v_lshlrev_b32_e32 v2, 8, v28
	v_lshl_add_u32 v1, v1, 10, 0x2000
	v_lshlrev_b32_e32 v0, 7, v0
	v_and_b32_e32 v2, 0x8000, v2
	v_and_b32_e32 v1, 0xfc00, v1
	v_or3_b32 v0, v2, v1, v0
	buffer_store_dword v0, off, s[0:3], s32 offset:632 ; 4-byte Folded Spill
.LBB287_1016:                           ;   in Loop: Header=BB287_15 Depth=1
	s_or_b32 exec_lo, exec_lo, s22
.LBB287_1017:                           ;   in Loop: Header=BB287_15 Depth=1
	s_or_b32 exec_lo, exec_lo, s19
.LBB287_1018:                           ;   in Loop: Header=BB287_15 Depth=1
	s_or_b32 exec_lo, exec_lo, s17
	v_mov_b32_e32 v0, 0
	v_lshrrev_b16 v3, 8, v3
	s_mov_b32 s17, exec_lo
	buffer_store_dword v0, off, s[0:3], s32 offset:640 ; 4-byte Folded Spill
	v_mov_b32_e32 v0, 0
	buffer_store_dword v0, off, s[0:3], s32 offset:644 ; 4-byte Folded Spill
	v_cmpx_ne_u16_e32 0, v3
	s_cbranch_execz .LBB287_1026
; %bb.1019:                             ;   in Loop: Header=BB287_15 Depth=1
	v_bfrev_b32_e32 v0, 1
	s_mov_b32 s19, exec_lo
	buffer_store_dword v0, off, s[0:3], s32 offset:644 ; 4-byte Folded Spill
	v_cmpx_ne_u16_e32 0x80, v3
	s_cbranch_execz .LBB287_1025
; %bb.1020:                             ;   in Loop: Header=BB287_15 Depth=1
	v_mov_b32_e32 v0, 0x7f
	s_mov_b32 s22, exec_lo
	v_and_b32_sdwa v2, v3, v0 dst_sel:DWORD dst_unused:UNUSED_PAD src0_sel:WORD_0 src1_sel:DWORD
	v_mov_b32_e32 v0, 0x7c010000
	buffer_store_dword v0, off, s[0:3], s32 offset:644 ; 4-byte Folded Spill
	v_cmpx_ne_u32_e32 0x7f, v2
	s_cbranch_execz .LBB287_1024
; %bb.1021:                             ;   in Loop: Header=BB287_15 Depth=1
	v_mov_b32_e32 v0, 7
	v_lshrrev_b32_e32 v1, 3, v2
	s_mov_b32 s23, exec_lo
	v_and_b32_sdwa v0, v3, v0 dst_sel:DWORD dst_unused:UNUSED_PAD src0_sel:WORD_0 src1_sel:DWORD
	v_cmpx_gt_u32_e32 8, v2
; %bb.1022:                             ;   in Loop: Header=BB287_15 Depth=1
	v_ffbh_u32_e32 v0, v0
	v_min_u32_e32 v2, 32, v0
	v_subrev_nc_u32_e32 v0, 28, v2
	v_lshlrev_b64 v[0:1], v0, v[3:4]
	v_sub_nc_u32_e32 v1, 29, v2
	v_and_b32_e32 v0, 7, v0
; %bb.1023:                             ;   in Loop: Header=BB287_15 Depth=1
	s_or_b32 exec_lo, exec_lo, s23
	v_mov_b32_e32 v2, 8
	v_lshl_add_u32 v1, v1, 10, 0x2000
	v_lshlrev_b32_e32 v0, 23, v0
	v_lshlrev_b32_sdwa v2, v2, v3 dst_sel:DWORD dst_unused:UNUSED_PAD src0_sel:DWORD src1_sel:WORD_0
	v_and_or_b32 v1, 0x8000, v2, v1
	v_lshl_or_b32 v0, v1, 16, v0
	buffer_store_dword v0, off, s[0:3], s32 offset:644 ; 4-byte Folded Spill
.LBB287_1024:                           ;   in Loop: Header=BB287_15 Depth=1
	s_or_b32 exec_lo, exec_lo, s22
.LBB287_1025:                           ;   in Loop: Header=BB287_15 Depth=1
	s_or_b32 exec_lo, exec_lo, s19
.LBB287_1026:                           ;   in Loop: Header=BB287_15 Depth=1
	s_or_b32 exec_lo, exec_lo, s17
	v_lshrrev_b32_e32 v3, 16, v28
	v_cmp_ne_u16_sdwa s5, v3, v4 src0_sel:BYTE_0 src1_sel:DWORD
	s_and_saveexec_b32 s17, s5
	s_cbranch_execz .LBB287_1034
; %bb.1027:                             ;   in Loop: Header=BB287_15 Depth=1
	v_cmp_ne_u16_sdwa s5, v3, v64 src0_sel:BYTE_0 src1_sel:DWORD
	v_mov_b32_e32 v0, 0x8000
	buffer_store_dword v0, off, s[0:3], s32 offset:640 ; 4-byte Folded Spill
	s_and_saveexec_b32 s19, s5
	s_cbranch_execz .LBB287_1033
; %bb.1028:                             ;   in Loop: Header=BB287_15 Depth=1
	v_bfe_u32 v2, v28, 16, 7
	v_mov_b32_e32 v0, 0x7c01
	s_mov_b32 s22, exec_lo
	buffer_store_dword v0, off, s[0:3], s32 offset:640 ; 4-byte Folded Spill
	v_cmpx_ne_u32_e32 0x7f, v2
	s_cbranch_execz .LBB287_1032
; %bb.1029:                             ;   in Loop: Header=BB287_15 Depth=1
	v_and_b32_e32 v0, 7, v3
	v_lshrrev_b32_e32 v1, 3, v2
	s_mov_b32 s23, exec_lo
	v_cmpx_gt_u32_e32 8, v2
; %bb.1030:                             ;   in Loop: Header=BB287_15 Depth=1
	v_ffbh_u32_e32 v0, v0
	v_min_u32_e32 v2, 32, v0
	v_subrev_nc_u32_e32 v0, 28, v2
	v_lshlrev_b64 v[0:1], v0, v[3:4]
	v_sub_nc_u32_e32 v1, 29, v2
	v_and_b32_e32 v0, 7, v0
; %bb.1031:                             ;   in Loop: Header=BB287_15 Depth=1
	s_or_b32 exec_lo, exec_lo, s23
	v_lshlrev_b32_e32 v2, 8, v3
	v_lshl_add_u32 v1, v1, 10, 0x2000
	v_lshlrev_b32_e32 v0, 7, v0
	v_and_b32_e32 v2, 0x8000, v2
	v_and_b32_e32 v1, 0xfc00, v1
	v_or3_b32 v0, v2, v1, v0
	buffer_store_dword v0, off, s[0:3], s32 offset:640 ; 4-byte Folded Spill
.LBB287_1032:                           ;   in Loop: Header=BB287_15 Depth=1
	s_or_b32 exec_lo, exec_lo, s22
.LBB287_1033:                           ;   in Loop: Header=BB287_15 Depth=1
	s_or_b32 exec_lo, exec_lo, s19
.LBB287_1034:                           ;   in Loop: Header=BB287_15 Depth=1
	s_or_b32 exec_lo, exec_lo, s17
	v_mov_b32_e32 v0, 0
	s_mov_b32 s17, exec_lo
	buffer_store_dword v0, off, s[0:3], s32 offset:648 ; 4-byte Folded Spill
	v_mov_b32_e32 v0, 0
	buffer_store_dword v0, off, s[0:3], s32 offset:800 ; 4-byte Folded Spill
	v_cmpx_lt_u64_e64 s[8:9], v[27:28]
	s_cbranch_execz .LBB287_1042
; %bb.1035:                             ;   in Loop: Header=BB287_15 Depth=1
	v_lshrrev_b32_e32 v3, 24, v28
	v_bfrev_b32_e32 v0, 1
	s_mov_b32 s19, exec_lo
	v_cmpx_ne_u32_e32 0x80, v3
	s_cbranch_execz .LBB287_1041
; %bb.1036:                             ;   in Loop: Header=BB287_15 Depth=1
	v_and_b32_e32 v2, 0x7f, v3
	v_mov_b32_e32 v0, 0x7c010000
	s_mov_b32 s22, exec_lo
	v_cmpx_ne_u32_e32 0x7f, v2
	s_cbranch_execz .LBB287_1040
; %bb.1037:                             ;   in Loop: Header=BB287_15 Depth=1
	v_and_b32_e32 v0, 7, v3
	v_lshrrev_b32_e32 v1, 3, v2
	s_mov_b32 s23, exec_lo
	v_cmpx_gt_u32_e32 8, v2
; %bb.1038:                             ;   in Loop: Header=BB287_15 Depth=1
	v_ffbh_u32_e32 v0, v0
	v_min_u32_e32 v2, 32, v0
	v_subrev_nc_u32_e32 v0, 28, v2
	v_lshlrev_b64 v[0:1], v0, v[3:4]
	v_sub_nc_u32_e32 v1, 29, v2
	v_and_b32_e32 v0, 7, v0
; %bb.1039:                             ;   in Loop: Header=BB287_15 Depth=1
	s_or_b32 exec_lo, exec_lo, s23
	v_lshlrev_b32_e32 v2, 8, v3
	v_lshl_add_u32 v1, v1, 10, 0x2000
	v_lshlrev_b32_e32 v0, 23, v0
	v_and_or_b32 v1, 0x8000, v2, v1
	v_lshl_or_b32 v0, v1, 16, v0
.LBB287_1040:                           ;   in Loop: Header=BB287_15 Depth=1
	s_or_b32 exec_lo, exec_lo, s22
.LBB287_1041:                           ;   in Loop: Header=BB287_15 Depth=1
	s_or_b32 exec_lo, exec_lo, s19
	buffer_store_dword v0, off, s[0:3], s32 offset:800 ; 4-byte Folded Spill
.LBB287_1042:                           ;   in Loop: Header=BB287_15 Depth=1
	s_or_b32 exec_lo, exec_lo, s17
	v_add_co_u32 v27, s5, 0x1000, v24
	v_add_co_ci_u32_e64 v28, null, 0, v25, s5
	flat_load_dwordx2 v[29:30], v[27:28]
	s_waitcnt vmcnt(0) lgkmcnt(0)
	v_cmp_ne_u16_sdwa s5, v29, v4 src0_sel:BYTE_0 src1_sel:DWORD
	s_and_saveexec_b32 s17, s5
	s_cbranch_execz .LBB287_1050
; %bb.1043:                             ;   in Loop: Header=BB287_15 Depth=1
	v_cmp_ne_u16_sdwa s5, v29, v64 src0_sel:BYTE_0 src1_sel:DWORD
	v_mov_b32_e32 v0, 0x8000
	buffer_store_dword v0, off, s[0:3], s32 offset:648 ; 4-byte Folded Spill
	s_and_saveexec_b32 s19, s5
	s_cbranch_execz .LBB287_1049
; %bb.1044:                             ;   in Loop: Header=BB287_15 Depth=1
	v_and_b32_e32 v2, 0x7f, v29
	v_mov_b32_e32 v0, 0x7c01
	s_mov_b32 s22, exec_lo
	buffer_store_dword v0, off, s[0:3], s32 offset:648 ; 4-byte Folded Spill
	v_cmpx_ne_u32_e32 0x7f, v2
	s_cbranch_execz .LBB287_1048
; %bb.1045:                             ;   in Loop: Header=BB287_15 Depth=1
	v_and_b32_e32 v0, 7, v29
	v_lshrrev_b32_e32 v1, 3, v2
	s_mov_b32 s23, exec_lo
	v_cmpx_gt_u32_e32 8, v2
; %bb.1046:                             ;   in Loop: Header=BB287_15 Depth=1
	v_ffbh_u32_e32 v0, v0
	v_min_u32_e32 v2, 32, v0
	v_subrev_nc_u32_e32 v0, 28, v2
	v_lshlrev_b64 v[0:1], v0, v[29:30]
	v_sub_nc_u32_e32 v1, 29, v2
	v_and_b32_e32 v0, 7, v0
; %bb.1047:                             ;   in Loop: Header=BB287_15 Depth=1
	s_or_b32 exec_lo, exec_lo, s23
	v_lshlrev_b32_e32 v2, 8, v29
	v_lshl_add_u32 v1, v1, 10, 0x2000
	v_lshlrev_b32_e32 v0, 7, v0
	v_and_b32_e32 v2, 0x8000, v2
	v_and_b32_e32 v1, 0xfc00, v1
	v_or3_b32 v0, v2, v1, v0
	buffer_store_dword v0, off, s[0:3], s32 offset:648 ; 4-byte Folded Spill
.LBB287_1048:                           ;   in Loop: Header=BB287_15 Depth=1
	s_or_b32 exec_lo, exec_lo, s22
.LBB287_1049:                           ;   in Loop: Header=BB287_15 Depth=1
	s_or_b32 exec_lo, exec_lo, s19
.LBB287_1050:                           ;   in Loop: Header=BB287_15 Depth=1
	s_or_b32 exec_lo, exec_lo, s17
	v_mov_b32_e32 v0, 0
	v_lshrrev_b16 v3, 8, v29
	s_mov_b32 s17, exec_lo
	buffer_store_dword v0, off, s[0:3], s32 offset:656 ; 4-byte Folded Spill
	v_mov_b32_e32 v0, 0
	buffer_store_dword v0, off, s[0:3], s32 offset:652 ; 4-byte Folded Spill
	v_cmpx_ne_u16_e32 0, v3
	s_cbranch_execz .LBB287_1058
; %bb.1051:                             ;   in Loop: Header=BB287_15 Depth=1
	v_bfrev_b32_e32 v0, 1
	s_mov_b32 s19, exec_lo
	buffer_store_dword v0, off, s[0:3], s32 offset:652 ; 4-byte Folded Spill
	v_cmpx_ne_u16_e32 0x80, v3
	s_cbranch_execz .LBB287_1057
; %bb.1052:                             ;   in Loop: Header=BB287_15 Depth=1
	v_mov_b32_e32 v0, 0x7f
	s_mov_b32 s22, exec_lo
	v_and_b32_sdwa v2, v3, v0 dst_sel:DWORD dst_unused:UNUSED_PAD src0_sel:WORD_0 src1_sel:DWORD
	v_mov_b32_e32 v0, 0x7c010000
	buffer_store_dword v0, off, s[0:3], s32 offset:652 ; 4-byte Folded Spill
	v_cmpx_ne_u32_e32 0x7f, v2
	s_cbranch_execz .LBB287_1056
; %bb.1053:                             ;   in Loop: Header=BB287_15 Depth=1
	v_mov_b32_e32 v0, 7
	v_lshrrev_b32_e32 v1, 3, v2
	s_mov_b32 s23, exec_lo
	v_and_b32_sdwa v0, v3, v0 dst_sel:DWORD dst_unused:UNUSED_PAD src0_sel:WORD_0 src1_sel:DWORD
	v_cmpx_gt_u32_e32 8, v2
; %bb.1054:                             ;   in Loop: Header=BB287_15 Depth=1
	v_ffbh_u32_e32 v0, v0
	v_min_u32_e32 v2, 32, v0
	v_subrev_nc_u32_e32 v0, 28, v2
	v_lshlrev_b64 v[0:1], v0, v[3:4]
	v_sub_nc_u32_e32 v1, 29, v2
	v_and_b32_e32 v0, 7, v0
; %bb.1055:                             ;   in Loop: Header=BB287_15 Depth=1
	s_or_b32 exec_lo, exec_lo, s23
	v_mov_b32_e32 v2, 8
	v_lshl_add_u32 v1, v1, 10, 0x2000
	v_lshlrev_b32_e32 v0, 23, v0
	v_lshlrev_b32_sdwa v2, v2, v3 dst_sel:DWORD dst_unused:UNUSED_PAD src0_sel:DWORD src1_sel:WORD_0
	v_and_or_b32 v1, 0x8000, v2, v1
	v_lshl_or_b32 v0, v1, 16, v0
	buffer_store_dword v0, off, s[0:3], s32 offset:652 ; 4-byte Folded Spill
.LBB287_1056:                           ;   in Loop: Header=BB287_15 Depth=1
	s_or_b32 exec_lo, exec_lo, s22
.LBB287_1057:                           ;   in Loop: Header=BB287_15 Depth=1
	s_or_b32 exec_lo, exec_lo, s19
.LBB287_1058:                           ;   in Loop: Header=BB287_15 Depth=1
	s_or_b32 exec_lo, exec_lo, s17
	v_lshrrev_b32_e32 v3, 16, v29
	v_cmp_ne_u16_sdwa s5, v3, v4 src0_sel:BYTE_0 src1_sel:DWORD
	s_and_saveexec_b32 s17, s5
	s_cbranch_execz .LBB287_1066
; %bb.1059:                             ;   in Loop: Header=BB287_15 Depth=1
	v_cmp_ne_u16_sdwa s5, v3, v64 src0_sel:BYTE_0 src1_sel:DWORD
	v_mov_b32_e32 v0, 0x8000
	buffer_store_dword v0, off, s[0:3], s32 offset:656 ; 4-byte Folded Spill
	s_and_saveexec_b32 s19, s5
	s_cbranch_execz .LBB287_1065
; %bb.1060:                             ;   in Loop: Header=BB287_15 Depth=1
	v_bfe_u32 v2, v29, 16, 7
	v_mov_b32_e32 v0, 0x7c01
	s_mov_b32 s22, exec_lo
	buffer_store_dword v0, off, s[0:3], s32 offset:656 ; 4-byte Folded Spill
	v_cmpx_ne_u32_e32 0x7f, v2
	s_cbranch_execz .LBB287_1064
; %bb.1061:                             ;   in Loop: Header=BB287_15 Depth=1
	v_and_b32_e32 v0, 7, v3
	v_lshrrev_b32_e32 v1, 3, v2
	s_mov_b32 s23, exec_lo
	v_cmpx_gt_u32_e32 8, v2
; %bb.1062:                             ;   in Loop: Header=BB287_15 Depth=1
	v_ffbh_u32_e32 v0, v0
	v_min_u32_e32 v2, 32, v0
	v_subrev_nc_u32_e32 v0, 28, v2
	v_lshlrev_b64 v[0:1], v0, v[3:4]
	v_sub_nc_u32_e32 v1, 29, v2
	v_and_b32_e32 v0, 7, v0
; %bb.1063:                             ;   in Loop: Header=BB287_15 Depth=1
	s_or_b32 exec_lo, exec_lo, s23
	v_lshlrev_b32_e32 v2, 8, v3
	v_lshl_add_u32 v1, v1, 10, 0x2000
	v_lshlrev_b32_e32 v0, 7, v0
	v_and_b32_e32 v2, 0x8000, v2
	v_and_b32_e32 v1, 0xfc00, v1
	v_or3_b32 v0, v2, v1, v0
	buffer_store_dword v0, off, s[0:3], s32 offset:656 ; 4-byte Folded Spill
.LBB287_1064:                           ;   in Loop: Header=BB287_15 Depth=1
	s_or_b32 exec_lo, exec_lo, s22
.LBB287_1065:                           ;   in Loop: Header=BB287_15 Depth=1
	s_or_b32 exec_lo, exec_lo, s19
.LBB287_1066:                           ;   in Loop: Header=BB287_15 Depth=1
	s_or_b32 exec_lo, exec_lo, s17
	v_mov_b32_e32 v0, 0
	s_mov_b32 s17, exec_lo
	buffer_store_dword v0, off, s[0:3], s32 offset:660 ; 4-byte Folded Spill
	v_mov_b32_e32 v0, 0
	buffer_store_dword v0, off, s[0:3], s32 offset:664 ; 4-byte Folded Spill
	v_cmpx_lt_u32_e32 0xffffff, v29
	s_cbranch_execz .LBB287_1074
; %bb.1067:                             ;   in Loop: Header=BB287_15 Depth=1
	v_lshrrev_b32_e32 v3, 24, v29
	v_bfrev_b32_e32 v0, 1
	s_mov_b32 s19, exec_lo
	buffer_store_dword v0, off, s[0:3], s32 offset:664 ; 4-byte Folded Spill
	v_cmpx_ne_u32_e32 0x80, v3
	s_cbranch_execz .LBB287_1073
; %bb.1068:                             ;   in Loop: Header=BB287_15 Depth=1
	v_and_b32_e32 v2, 0x7f, v3
	v_mov_b32_e32 v0, 0x7c010000
	s_mov_b32 s22, exec_lo
	buffer_store_dword v0, off, s[0:3], s32 offset:664 ; 4-byte Folded Spill
	v_cmpx_ne_u32_e32 0x7f, v2
	s_cbranch_execz .LBB287_1072
; %bb.1069:                             ;   in Loop: Header=BB287_15 Depth=1
	v_and_b32_e32 v0, 7, v3
	v_lshrrev_b32_e32 v1, 3, v2
	s_mov_b32 s23, exec_lo
	v_cmpx_gt_u32_e32 8, v2
; %bb.1070:                             ;   in Loop: Header=BB287_15 Depth=1
	v_ffbh_u32_e32 v0, v0
	v_min_u32_e32 v2, 32, v0
	v_subrev_nc_u32_e32 v0, 28, v2
	v_lshlrev_b64 v[0:1], v0, v[3:4]
	v_sub_nc_u32_e32 v1, 29, v2
	v_and_b32_e32 v0, 7, v0
; %bb.1071:                             ;   in Loop: Header=BB287_15 Depth=1
	s_or_b32 exec_lo, exec_lo, s23
	v_lshlrev_b32_e32 v2, 8, v3
	v_lshl_add_u32 v1, v1, 10, 0x2000
	v_lshlrev_b32_e32 v0, 23, v0
	v_and_or_b32 v1, 0x8000, v2, v1
	v_lshl_or_b32 v0, v1, 16, v0
	buffer_store_dword v0, off, s[0:3], s32 offset:664 ; 4-byte Folded Spill
.LBB287_1072:                           ;   in Loop: Header=BB287_15 Depth=1
	s_or_b32 exec_lo, exec_lo, s22
.LBB287_1073:                           ;   in Loop: Header=BB287_15 Depth=1
	s_or_b32 exec_lo, exec_lo, s19
.LBB287_1074:                           ;   in Loop: Header=BB287_15 Depth=1
	s_or_b32 exec_lo, exec_lo, s17
	v_mov_b32_e32 v3, v30
	v_cmp_ne_u16_sdwa s5, v30, v4 src0_sel:BYTE_0 src1_sel:DWORD
	s_and_saveexec_b32 s17, s5
	s_cbranch_execz .LBB287_1082
; %bb.1075:                             ;   in Loop: Header=BB287_15 Depth=1
	v_cmp_ne_u16_sdwa s5, v30, v64 src0_sel:BYTE_0 src1_sel:DWORD
	v_mov_b32_e32 v0, 0x8000
	buffer_store_dword v0, off, s[0:3], s32 offset:660 ; 4-byte Folded Spill
	s_and_saveexec_b32 s19, s5
	s_cbranch_execz .LBB287_1081
; %bb.1076:                             ;   in Loop: Header=BB287_15 Depth=1
	v_and_b32_e32 v2, 0x7f, v30
	v_mov_b32_e32 v0, 0x7c01
	s_mov_b32 s22, exec_lo
	buffer_store_dword v0, off, s[0:3], s32 offset:660 ; 4-byte Folded Spill
	v_cmpx_ne_u32_e32 0x7f, v2
	s_cbranch_execz .LBB287_1080
; %bb.1077:                             ;   in Loop: Header=BB287_15 Depth=1
	v_and_b32_e32 v0, 7, v30
	v_lshrrev_b32_e32 v1, 3, v2
	s_mov_b32 s23, exec_lo
	v_cmpx_gt_u32_e32 8, v2
; %bb.1078:                             ;   in Loop: Header=BB287_15 Depth=1
	v_ffbh_u32_e32 v0, v0
	v_min_u32_e32 v2, 32, v0
	v_subrev_nc_u32_e32 v0, 28, v2
	v_lshlrev_b64 v[0:1], v0, v[3:4]
	v_sub_nc_u32_e32 v1, 29, v2
	v_and_b32_e32 v0, 7, v0
; %bb.1079:                             ;   in Loop: Header=BB287_15 Depth=1
	s_or_b32 exec_lo, exec_lo, s23
	v_lshlrev_b32_e32 v2, 8, v30
	v_lshl_add_u32 v1, v1, 10, 0x2000
	v_lshlrev_b32_e32 v0, 7, v0
	v_and_b32_e32 v2, 0x8000, v2
	v_and_b32_e32 v1, 0xfc00, v1
	v_or3_b32 v0, v2, v1, v0
	buffer_store_dword v0, off, s[0:3], s32 offset:660 ; 4-byte Folded Spill
.LBB287_1080:                           ;   in Loop: Header=BB287_15 Depth=1
	s_or_b32 exec_lo, exec_lo, s22
.LBB287_1081:                           ;   in Loop: Header=BB287_15 Depth=1
	s_or_b32 exec_lo, exec_lo, s19
.LBB287_1082:                           ;   in Loop: Header=BB287_15 Depth=1
	s_or_b32 exec_lo, exec_lo, s17
	v_mov_b32_e32 v0, 0
	v_lshrrev_b16 v3, 8, v3
	s_mov_b32 s17, exec_lo
	buffer_store_dword v0, off, s[0:3], s32 offset:668 ; 4-byte Folded Spill
	v_mov_b32_e32 v0, 0
	buffer_store_dword v0, off, s[0:3], s32 offset:672 ; 4-byte Folded Spill
	v_cmpx_ne_u16_e32 0, v3
	s_cbranch_execz .LBB287_1090
; %bb.1083:                             ;   in Loop: Header=BB287_15 Depth=1
	v_bfrev_b32_e32 v0, 1
	s_mov_b32 s19, exec_lo
	buffer_store_dword v0, off, s[0:3], s32 offset:672 ; 4-byte Folded Spill
	v_cmpx_ne_u16_e32 0x80, v3
	s_cbranch_execz .LBB287_1089
; %bb.1084:                             ;   in Loop: Header=BB287_15 Depth=1
	v_mov_b32_e32 v0, 0x7f
	s_mov_b32 s22, exec_lo
	v_and_b32_sdwa v2, v3, v0 dst_sel:DWORD dst_unused:UNUSED_PAD src0_sel:WORD_0 src1_sel:DWORD
	v_mov_b32_e32 v0, 0x7c010000
	buffer_store_dword v0, off, s[0:3], s32 offset:672 ; 4-byte Folded Spill
	v_cmpx_ne_u32_e32 0x7f, v2
	s_cbranch_execz .LBB287_1088
; %bb.1085:                             ;   in Loop: Header=BB287_15 Depth=1
	v_mov_b32_e32 v0, 7
	v_lshrrev_b32_e32 v1, 3, v2
	s_mov_b32 s23, exec_lo
	v_and_b32_sdwa v0, v3, v0 dst_sel:DWORD dst_unused:UNUSED_PAD src0_sel:WORD_0 src1_sel:DWORD
	v_cmpx_gt_u32_e32 8, v2
; %bb.1086:                             ;   in Loop: Header=BB287_15 Depth=1
	v_ffbh_u32_e32 v0, v0
	v_min_u32_e32 v2, 32, v0
	v_subrev_nc_u32_e32 v0, 28, v2
	v_lshlrev_b64 v[0:1], v0, v[3:4]
	v_sub_nc_u32_e32 v1, 29, v2
	v_and_b32_e32 v0, 7, v0
; %bb.1087:                             ;   in Loop: Header=BB287_15 Depth=1
	s_or_b32 exec_lo, exec_lo, s23
	v_mov_b32_e32 v2, 8
	v_lshl_add_u32 v1, v1, 10, 0x2000
	v_lshlrev_b32_e32 v0, 23, v0
	v_lshlrev_b32_sdwa v2, v2, v3 dst_sel:DWORD dst_unused:UNUSED_PAD src0_sel:DWORD src1_sel:WORD_0
	v_and_or_b32 v1, 0x8000, v2, v1
	v_lshl_or_b32 v0, v1, 16, v0
	buffer_store_dword v0, off, s[0:3], s32 offset:672 ; 4-byte Folded Spill
.LBB287_1088:                           ;   in Loop: Header=BB287_15 Depth=1
	s_or_b32 exec_lo, exec_lo, s22
.LBB287_1089:                           ;   in Loop: Header=BB287_15 Depth=1
	s_or_b32 exec_lo, exec_lo, s19
.LBB287_1090:                           ;   in Loop: Header=BB287_15 Depth=1
	s_or_b32 exec_lo, exec_lo, s17
	v_lshrrev_b32_e32 v3, 16, v30
	v_cmp_ne_u16_sdwa s5, v3, v4 src0_sel:BYTE_0 src1_sel:DWORD
	s_and_saveexec_b32 s17, s5
	s_cbranch_execz .LBB287_1098
; %bb.1091:                             ;   in Loop: Header=BB287_15 Depth=1
	v_cmp_ne_u16_sdwa s5, v3, v64 src0_sel:BYTE_0 src1_sel:DWORD
	v_mov_b32_e32 v0, 0x8000
	buffer_store_dword v0, off, s[0:3], s32 offset:668 ; 4-byte Folded Spill
	s_and_saveexec_b32 s19, s5
	s_cbranch_execz .LBB287_1097
; %bb.1092:                             ;   in Loop: Header=BB287_15 Depth=1
	v_bfe_u32 v2, v30, 16, 7
	v_mov_b32_e32 v0, 0x7c01
	s_mov_b32 s22, exec_lo
	buffer_store_dword v0, off, s[0:3], s32 offset:668 ; 4-byte Folded Spill
	v_cmpx_ne_u32_e32 0x7f, v2
	s_cbranch_execz .LBB287_1096
; %bb.1093:                             ;   in Loop: Header=BB287_15 Depth=1
	v_and_b32_e32 v0, 7, v3
	v_lshrrev_b32_e32 v1, 3, v2
	s_mov_b32 s23, exec_lo
	v_cmpx_gt_u32_e32 8, v2
; %bb.1094:                             ;   in Loop: Header=BB287_15 Depth=1
	v_ffbh_u32_e32 v0, v0
	v_min_u32_e32 v2, 32, v0
	v_subrev_nc_u32_e32 v0, 28, v2
	v_lshlrev_b64 v[0:1], v0, v[3:4]
	v_sub_nc_u32_e32 v1, 29, v2
	v_and_b32_e32 v0, 7, v0
; %bb.1095:                             ;   in Loop: Header=BB287_15 Depth=1
	s_or_b32 exec_lo, exec_lo, s23
	v_lshlrev_b32_e32 v2, 8, v3
	v_lshl_add_u32 v1, v1, 10, 0x2000
	v_lshlrev_b32_e32 v0, 7, v0
	v_and_b32_e32 v2, 0x8000, v2
	v_and_b32_e32 v1, 0xfc00, v1
	v_or3_b32 v0, v2, v1, v0
	buffer_store_dword v0, off, s[0:3], s32 offset:668 ; 4-byte Folded Spill
.LBB287_1096:                           ;   in Loop: Header=BB287_15 Depth=1
	s_or_b32 exec_lo, exec_lo, s22
.LBB287_1097:                           ;   in Loop: Header=BB287_15 Depth=1
	s_or_b32 exec_lo, exec_lo, s19
.LBB287_1098:                           ;   in Loop: Header=BB287_15 Depth=1
	s_or_b32 exec_lo, exec_lo, s17
	v_mov_b32_e32 v0, 0
	s_mov_b32 s17, exec_lo
	buffer_store_dword v0, off, s[0:3], s32 offset:676 ; 4-byte Folded Spill
	v_mov_b32_e32 v0, 0
	buffer_store_dword v0, off, s[0:3], s32 offset:804 ; 4-byte Folded Spill
	v_cmpx_lt_u64_e64 s[8:9], v[29:30]
	s_cbranch_execz .LBB287_1106
; %bb.1099:                             ;   in Loop: Header=BB287_15 Depth=1
	v_lshrrev_b32_e32 v3, 24, v30
	v_bfrev_b32_e32 v0, 1
	s_mov_b32 s19, exec_lo
	v_cmpx_ne_u32_e32 0x80, v3
	s_cbranch_execz .LBB287_1105
; %bb.1100:                             ;   in Loop: Header=BB287_15 Depth=1
	v_and_b32_e32 v2, 0x7f, v3
	v_mov_b32_e32 v0, 0x7c010000
	s_mov_b32 s22, exec_lo
	v_cmpx_ne_u32_e32 0x7f, v2
	s_cbranch_execz .LBB287_1104
; %bb.1101:                             ;   in Loop: Header=BB287_15 Depth=1
	v_and_b32_e32 v0, 7, v3
	v_lshrrev_b32_e32 v1, 3, v2
	s_mov_b32 s23, exec_lo
	v_cmpx_gt_u32_e32 8, v2
; %bb.1102:                             ;   in Loop: Header=BB287_15 Depth=1
	v_ffbh_u32_e32 v0, v0
	v_min_u32_e32 v2, 32, v0
	v_subrev_nc_u32_e32 v0, 28, v2
	v_lshlrev_b64 v[0:1], v0, v[3:4]
	v_sub_nc_u32_e32 v1, 29, v2
	v_and_b32_e32 v0, 7, v0
; %bb.1103:                             ;   in Loop: Header=BB287_15 Depth=1
	s_or_b32 exec_lo, exec_lo, s23
	v_lshlrev_b32_e32 v2, 8, v3
	v_lshl_add_u32 v1, v1, 10, 0x2000
	v_lshlrev_b32_e32 v0, 23, v0
	v_and_or_b32 v1, 0x8000, v2, v1
	v_lshl_or_b32 v0, v1, 16, v0
.LBB287_1104:                           ;   in Loop: Header=BB287_15 Depth=1
	s_or_b32 exec_lo, exec_lo, s22
.LBB287_1105:                           ;   in Loop: Header=BB287_15 Depth=1
	s_or_b32 exec_lo, exec_lo, s19
	buffer_store_dword v0, off, s[0:3], s32 offset:804 ; 4-byte Folded Spill
.LBB287_1106:                           ;   in Loop: Header=BB287_15 Depth=1
	s_or_b32 exec_lo, exec_lo, s17
	flat_load_dwordx2 v[29:30], v[27:28] offset:8
	s_waitcnt vmcnt(0) lgkmcnt(0)
	v_cmp_ne_u16_sdwa s5, v29, v4 src0_sel:BYTE_0 src1_sel:DWORD
	s_and_saveexec_b32 s17, s5
	s_cbranch_execz .LBB287_1114
; %bb.1107:                             ;   in Loop: Header=BB287_15 Depth=1
	v_cmp_ne_u16_sdwa s5, v29, v64 src0_sel:BYTE_0 src1_sel:DWORD
	v_mov_b32_e32 v0, 0x8000
	buffer_store_dword v0, off, s[0:3], s32 offset:676 ; 4-byte Folded Spill
	s_and_saveexec_b32 s19, s5
	s_cbranch_execz .LBB287_1113
; %bb.1108:                             ;   in Loop: Header=BB287_15 Depth=1
	v_and_b32_e32 v2, 0x7f, v29
	v_mov_b32_e32 v0, 0x7c01
	s_mov_b32 s22, exec_lo
	buffer_store_dword v0, off, s[0:3], s32 offset:676 ; 4-byte Folded Spill
	v_cmpx_ne_u32_e32 0x7f, v2
	s_cbranch_execz .LBB287_1112
; %bb.1109:                             ;   in Loop: Header=BB287_15 Depth=1
	v_and_b32_e32 v0, 7, v29
	v_lshrrev_b32_e32 v1, 3, v2
	s_mov_b32 s23, exec_lo
	v_cmpx_gt_u32_e32 8, v2
; %bb.1110:                             ;   in Loop: Header=BB287_15 Depth=1
	v_ffbh_u32_e32 v0, v0
	v_min_u32_e32 v2, 32, v0
	v_subrev_nc_u32_e32 v0, 28, v2
	v_lshlrev_b64 v[0:1], v0, v[29:30]
	v_sub_nc_u32_e32 v1, 29, v2
	v_and_b32_e32 v0, 7, v0
; %bb.1111:                             ;   in Loop: Header=BB287_15 Depth=1
	s_or_b32 exec_lo, exec_lo, s23
	v_lshlrev_b32_e32 v2, 8, v29
	v_lshl_add_u32 v1, v1, 10, 0x2000
	v_lshlrev_b32_e32 v0, 7, v0
	v_and_b32_e32 v2, 0x8000, v2
	v_and_b32_e32 v1, 0xfc00, v1
	v_or3_b32 v0, v2, v1, v0
	buffer_store_dword v0, off, s[0:3], s32 offset:676 ; 4-byte Folded Spill
.LBB287_1112:                           ;   in Loop: Header=BB287_15 Depth=1
	s_or_b32 exec_lo, exec_lo, s22
.LBB287_1113:                           ;   in Loop: Header=BB287_15 Depth=1
	s_or_b32 exec_lo, exec_lo, s19
.LBB287_1114:                           ;   in Loop: Header=BB287_15 Depth=1
	s_or_b32 exec_lo, exec_lo, s17
	v_lshrrev_b16 v3, 8, v29
	v_mov_b32_e32 v0, 0
	v_mov_b32_e32 v118, 0
	s_mov_b32 s17, exec_lo
	buffer_store_dword v0, off, s[0:3], s32 offset:680 ; 4-byte Folded Spill
	v_cmpx_ne_u16_e32 0, v3
	s_cbranch_execz .LBB287_1122
; %bb.1115:                             ;   in Loop: Header=BB287_15 Depth=1
	v_bfrev_b32_e32 v118, 1
	s_mov_b32 s19, exec_lo
	v_cmpx_ne_u16_e32 0x80, v3
	s_cbranch_execz .LBB287_1121
; %bb.1116:                             ;   in Loop: Header=BB287_15 Depth=1
	v_mov_b32_e32 v0, 0x7f
	v_mov_b32_e32 v118, 0x7c010000
	s_mov_b32 s22, exec_lo
	v_and_b32_sdwa v2, v3, v0 dst_sel:DWORD dst_unused:UNUSED_PAD src0_sel:WORD_0 src1_sel:DWORD
	v_cmpx_ne_u32_e32 0x7f, v2
	s_cbranch_execz .LBB287_1120
; %bb.1117:                             ;   in Loop: Header=BB287_15 Depth=1
	v_mov_b32_e32 v0, 7
	v_lshrrev_b32_e32 v1, 3, v2
	s_mov_b32 s23, exec_lo
	v_and_b32_sdwa v0, v3, v0 dst_sel:DWORD dst_unused:UNUSED_PAD src0_sel:WORD_0 src1_sel:DWORD
	v_cmpx_gt_u32_e32 8, v2
; %bb.1118:                             ;   in Loop: Header=BB287_15 Depth=1
	v_ffbh_u32_e32 v0, v0
	v_min_u32_e32 v2, 32, v0
	v_subrev_nc_u32_e32 v0, 28, v2
	v_lshlrev_b64 v[0:1], v0, v[3:4]
	v_sub_nc_u32_e32 v1, 29, v2
	v_and_b32_e32 v0, 7, v0
; %bb.1119:                             ;   in Loop: Header=BB287_15 Depth=1
	s_or_b32 exec_lo, exec_lo, s23
	v_mov_b32_e32 v2, 8
	v_lshl_add_u32 v1, v1, 10, 0x2000
	v_lshlrev_b32_e32 v0, 23, v0
	v_lshlrev_b32_sdwa v2, v2, v3 dst_sel:DWORD dst_unused:UNUSED_PAD src0_sel:DWORD src1_sel:WORD_0
	v_and_or_b32 v1, 0x8000, v2, v1
	v_lshl_or_b32 v118, v1, 16, v0
.LBB287_1120:                           ;   in Loop: Header=BB287_15 Depth=1
	s_or_b32 exec_lo, exec_lo, s22
.LBB287_1121:                           ;   in Loop: Header=BB287_15 Depth=1
	s_or_b32 exec_lo, exec_lo, s19
.LBB287_1122:                           ;   in Loop: Header=BB287_15 Depth=1
	s_or_b32 exec_lo, exec_lo, s17
	v_lshrrev_b32_e32 v3, 16, v29
	v_cmp_ne_u16_sdwa s5, v3, v4 src0_sel:BYTE_0 src1_sel:DWORD
	s_and_saveexec_b32 s17, s5
	s_cbranch_execz .LBB287_1130
; %bb.1123:                             ;   in Loop: Header=BB287_15 Depth=1
	v_cmp_ne_u16_sdwa s5, v3, v64 src0_sel:BYTE_0 src1_sel:DWORD
	v_mov_b32_e32 v0, 0x8000
	buffer_store_dword v0, off, s[0:3], s32 offset:680 ; 4-byte Folded Spill
	s_and_saveexec_b32 s19, s5
	s_cbranch_execz .LBB287_1129
; %bb.1124:                             ;   in Loop: Header=BB287_15 Depth=1
	v_bfe_u32 v2, v29, 16, 7
	v_mov_b32_e32 v0, 0x7c01
	s_mov_b32 s22, exec_lo
	buffer_store_dword v0, off, s[0:3], s32 offset:680 ; 4-byte Folded Spill
	v_cmpx_ne_u32_e32 0x7f, v2
	s_cbranch_execz .LBB287_1128
; %bb.1125:                             ;   in Loop: Header=BB287_15 Depth=1
	v_and_b32_e32 v0, 7, v3
	v_lshrrev_b32_e32 v1, 3, v2
	s_mov_b32 s23, exec_lo
	v_cmpx_gt_u32_e32 8, v2
; %bb.1126:                             ;   in Loop: Header=BB287_15 Depth=1
	v_ffbh_u32_e32 v0, v0
	v_min_u32_e32 v2, 32, v0
	v_subrev_nc_u32_e32 v0, 28, v2
	v_lshlrev_b64 v[0:1], v0, v[3:4]
	v_sub_nc_u32_e32 v1, 29, v2
	v_and_b32_e32 v0, 7, v0
; %bb.1127:                             ;   in Loop: Header=BB287_15 Depth=1
	s_or_b32 exec_lo, exec_lo, s23
	v_lshlrev_b32_e32 v2, 8, v3
	v_lshl_add_u32 v1, v1, 10, 0x2000
	v_lshlrev_b32_e32 v0, 7, v0
	v_and_b32_e32 v2, 0x8000, v2
	v_and_b32_e32 v1, 0xfc00, v1
	v_or3_b32 v0, v2, v1, v0
	buffer_store_dword v0, off, s[0:3], s32 offset:680 ; 4-byte Folded Spill
.LBB287_1128:                           ;   in Loop: Header=BB287_15 Depth=1
	s_or_b32 exec_lo, exec_lo, s22
.LBB287_1129:                           ;   in Loop: Header=BB287_15 Depth=1
	s_or_b32 exec_lo, exec_lo, s19
.LBB287_1130:                           ;   in Loop: Header=BB287_15 Depth=1
	s_or_b32 exec_lo, exec_lo, s17
	v_mov_b32_e32 v0, 0
	v_mov_b32_e32 v44, 0
	s_mov_b32 s17, exec_lo
	buffer_store_dword v0, off, s[0:3], s32 offset:684 ; 4-byte Folded Spill
	v_cmpx_lt_u32_e32 0xffffff, v29
	s_cbranch_execz .LBB287_1138
; %bb.1131:                             ;   in Loop: Header=BB287_15 Depth=1
	v_lshrrev_b32_e32 v3, 24, v29
	v_bfrev_b32_e32 v44, 1
	s_mov_b32 s19, exec_lo
	v_cmpx_ne_u32_e32 0x80, v3
	s_cbranch_execz .LBB287_1137
; %bb.1132:                             ;   in Loop: Header=BB287_15 Depth=1
	v_and_b32_e32 v2, 0x7f, v3
	v_mov_b32_e32 v44, 0x7c010000
	s_mov_b32 s22, exec_lo
	v_cmpx_ne_u32_e32 0x7f, v2
	s_cbranch_execz .LBB287_1136
; %bb.1133:                             ;   in Loop: Header=BB287_15 Depth=1
	v_and_b32_e32 v0, 7, v3
	v_lshrrev_b32_e32 v1, 3, v2
	s_mov_b32 s23, exec_lo
	v_cmpx_gt_u32_e32 8, v2
; %bb.1134:                             ;   in Loop: Header=BB287_15 Depth=1
	v_ffbh_u32_e32 v0, v0
	v_min_u32_e32 v2, 32, v0
	v_subrev_nc_u32_e32 v0, 28, v2
	v_lshlrev_b64 v[0:1], v0, v[3:4]
	v_sub_nc_u32_e32 v1, 29, v2
	v_and_b32_e32 v0, 7, v0
; %bb.1135:                             ;   in Loop: Header=BB287_15 Depth=1
	s_or_b32 exec_lo, exec_lo, s23
	v_lshlrev_b32_e32 v2, 8, v3
	v_lshl_add_u32 v1, v1, 10, 0x2000
	v_lshlrev_b32_e32 v0, 23, v0
	v_and_or_b32 v1, 0x8000, v2, v1
	v_lshl_or_b32 v44, v1, 16, v0
.LBB287_1136:                           ;   in Loop: Header=BB287_15 Depth=1
	s_or_b32 exec_lo, exec_lo, s22
.LBB287_1137:                           ;   in Loop: Header=BB287_15 Depth=1
	s_or_b32 exec_lo, exec_lo, s19
.LBB287_1138:                           ;   in Loop: Header=BB287_15 Depth=1
	s_or_b32 exec_lo, exec_lo, s17
	v_mov_b32_e32 v3, v30
	v_cmp_ne_u16_sdwa s5, v30, v4 src0_sel:BYTE_0 src1_sel:DWORD
	s_and_saveexec_b32 s17, s5
	s_cbranch_execz .LBB287_1146
; %bb.1139:                             ;   in Loop: Header=BB287_15 Depth=1
	v_cmp_ne_u16_sdwa s5, v30, v64 src0_sel:BYTE_0 src1_sel:DWORD
	v_mov_b32_e32 v0, 0x8000
	buffer_store_dword v0, off, s[0:3], s32 offset:684 ; 4-byte Folded Spill
	s_and_saveexec_b32 s19, s5
	s_cbranch_execz .LBB287_1145
; %bb.1140:                             ;   in Loop: Header=BB287_15 Depth=1
	v_and_b32_e32 v2, 0x7f, v30
	v_mov_b32_e32 v0, 0x7c01
	s_mov_b32 s22, exec_lo
	buffer_store_dword v0, off, s[0:3], s32 offset:684 ; 4-byte Folded Spill
	v_cmpx_ne_u32_e32 0x7f, v2
	s_cbranch_execz .LBB287_1144
; %bb.1141:                             ;   in Loop: Header=BB287_15 Depth=1
	v_and_b32_e32 v0, 7, v30
	v_lshrrev_b32_e32 v1, 3, v2
	s_mov_b32 s23, exec_lo
	v_cmpx_gt_u32_e32 8, v2
; %bb.1142:                             ;   in Loop: Header=BB287_15 Depth=1
	v_ffbh_u32_e32 v0, v0
	v_min_u32_e32 v2, 32, v0
	v_subrev_nc_u32_e32 v0, 28, v2
	v_lshlrev_b64 v[0:1], v0, v[3:4]
	v_sub_nc_u32_e32 v1, 29, v2
	v_and_b32_e32 v0, 7, v0
; %bb.1143:                             ;   in Loop: Header=BB287_15 Depth=1
	s_or_b32 exec_lo, exec_lo, s23
	v_lshlrev_b32_e32 v2, 8, v30
	v_lshl_add_u32 v1, v1, 10, 0x2000
	v_lshlrev_b32_e32 v0, 7, v0
	v_and_b32_e32 v2, 0x8000, v2
	v_and_b32_e32 v1, 0xfc00, v1
	v_or3_b32 v0, v2, v1, v0
	buffer_store_dword v0, off, s[0:3], s32 offset:684 ; 4-byte Folded Spill
.LBB287_1144:                           ;   in Loop: Header=BB287_15 Depth=1
	s_or_b32 exec_lo, exec_lo, s22
.LBB287_1145:                           ;   in Loop: Header=BB287_15 Depth=1
	s_or_b32 exec_lo, exec_lo, s19
.LBB287_1146:                           ;   in Loop: Header=BB287_15 Depth=1
	s_or_b32 exec_lo, exec_lo, s17
	v_lshrrev_b16 v3, 8, v3
	v_mov_b32_e32 v0, 0
	v_mov_b32_e32 v70, 0
	s_mov_b32 s17, exec_lo
	buffer_store_dword v0, off, s[0:3], s32 offset:688 ; 4-byte Folded Spill
	v_cmpx_ne_u16_e32 0, v3
	s_cbranch_execz .LBB287_1154
; %bb.1147:                             ;   in Loop: Header=BB287_15 Depth=1
	v_bfrev_b32_e32 v70, 1
	s_mov_b32 s19, exec_lo
	v_cmpx_ne_u16_e32 0x80, v3
	s_cbranch_execz .LBB287_1153
; %bb.1148:                             ;   in Loop: Header=BB287_15 Depth=1
	v_mov_b32_e32 v0, 0x7f
	v_mov_b32_e32 v70, 0x7c010000
	s_mov_b32 s22, exec_lo
	v_and_b32_sdwa v2, v3, v0 dst_sel:DWORD dst_unused:UNUSED_PAD src0_sel:WORD_0 src1_sel:DWORD
	v_cmpx_ne_u32_e32 0x7f, v2
	s_cbranch_execz .LBB287_1152
; %bb.1149:                             ;   in Loop: Header=BB287_15 Depth=1
	v_mov_b32_e32 v0, 7
	v_lshrrev_b32_e32 v1, 3, v2
	s_mov_b32 s23, exec_lo
	v_and_b32_sdwa v0, v3, v0 dst_sel:DWORD dst_unused:UNUSED_PAD src0_sel:WORD_0 src1_sel:DWORD
	v_cmpx_gt_u32_e32 8, v2
; %bb.1150:                             ;   in Loop: Header=BB287_15 Depth=1
	v_ffbh_u32_e32 v0, v0
	v_min_u32_e32 v2, 32, v0
	v_subrev_nc_u32_e32 v0, 28, v2
	v_lshlrev_b64 v[0:1], v0, v[3:4]
	v_sub_nc_u32_e32 v1, 29, v2
	v_and_b32_e32 v0, 7, v0
; %bb.1151:                             ;   in Loop: Header=BB287_15 Depth=1
	s_or_b32 exec_lo, exec_lo, s23
	v_mov_b32_e32 v2, 8
	v_lshl_add_u32 v1, v1, 10, 0x2000
	v_lshlrev_b32_e32 v0, 23, v0
	v_lshlrev_b32_sdwa v2, v2, v3 dst_sel:DWORD dst_unused:UNUSED_PAD src0_sel:DWORD src1_sel:WORD_0
	v_and_or_b32 v1, 0x8000, v2, v1
	v_lshl_or_b32 v70, v1, 16, v0
.LBB287_1152:                           ;   in Loop: Header=BB287_15 Depth=1
	s_or_b32 exec_lo, exec_lo, s22
.LBB287_1153:                           ;   in Loop: Header=BB287_15 Depth=1
	s_or_b32 exec_lo, exec_lo, s19
.LBB287_1154:                           ;   in Loop: Header=BB287_15 Depth=1
	s_or_b32 exec_lo, exec_lo, s17
	v_lshrrev_b32_e32 v3, 16, v30
	v_cmp_ne_u16_sdwa s5, v3, v4 src0_sel:BYTE_0 src1_sel:DWORD
	s_and_saveexec_b32 s17, s5
	s_cbranch_execz .LBB287_1162
; %bb.1155:                             ;   in Loop: Header=BB287_15 Depth=1
	v_cmp_ne_u16_sdwa s5, v3, v64 src0_sel:BYTE_0 src1_sel:DWORD
	v_mov_b32_e32 v0, 0x8000
	buffer_store_dword v0, off, s[0:3], s32 offset:688 ; 4-byte Folded Spill
	s_and_saveexec_b32 s19, s5
	s_cbranch_execz .LBB287_1161
; %bb.1156:                             ;   in Loop: Header=BB287_15 Depth=1
	v_bfe_u32 v2, v30, 16, 7
	v_mov_b32_e32 v0, 0x7c01
	s_mov_b32 s22, exec_lo
	buffer_store_dword v0, off, s[0:3], s32 offset:688 ; 4-byte Folded Spill
	v_cmpx_ne_u32_e32 0x7f, v2
	s_cbranch_execz .LBB287_1160
; %bb.1157:                             ;   in Loop: Header=BB287_15 Depth=1
	v_and_b32_e32 v0, 7, v3
	v_lshrrev_b32_e32 v1, 3, v2
	s_mov_b32 s23, exec_lo
	v_cmpx_gt_u32_e32 8, v2
; %bb.1158:                             ;   in Loop: Header=BB287_15 Depth=1
	v_ffbh_u32_e32 v0, v0
	v_min_u32_e32 v2, 32, v0
	v_subrev_nc_u32_e32 v0, 28, v2
	v_lshlrev_b64 v[0:1], v0, v[3:4]
	v_sub_nc_u32_e32 v1, 29, v2
	v_and_b32_e32 v0, 7, v0
; %bb.1159:                             ;   in Loop: Header=BB287_15 Depth=1
	s_or_b32 exec_lo, exec_lo, s23
	v_lshlrev_b32_e32 v2, 8, v3
	v_lshl_add_u32 v1, v1, 10, 0x2000
	v_lshlrev_b32_e32 v0, 7, v0
	v_and_b32_e32 v2, 0x8000, v2
	v_and_b32_e32 v1, 0xfc00, v1
	v_or3_b32 v0, v2, v1, v0
	buffer_store_dword v0, off, s[0:3], s32 offset:688 ; 4-byte Folded Spill
.LBB287_1160:                           ;   in Loop: Header=BB287_15 Depth=1
	s_or_b32 exec_lo, exec_lo, s22
.LBB287_1161:                           ;   in Loop: Header=BB287_15 Depth=1
	s_or_b32 exec_lo, exec_lo, s19
.LBB287_1162:                           ;   in Loop: Header=BB287_15 Depth=1
	s_or_b32 exec_lo, exec_lo, s17
	v_mov_b32_e32 v0, 0
	v_mov_b32_e32 v62, 0
	s_mov_b32 s17, exec_lo
	buffer_store_dword v0, off, s[0:3], s32 offset:692 ; 4-byte Folded Spill
	v_cmpx_lt_u64_e64 s[8:9], v[29:30]
	s_cbranch_execz .LBB287_1170
; %bb.1163:                             ;   in Loop: Header=BB287_15 Depth=1
	v_lshrrev_b32_e32 v3, 24, v30
	v_bfrev_b32_e32 v62, 1
	s_mov_b32 s19, exec_lo
	v_cmpx_ne_u32_e32 0x80, v3
	s_cbranch_execz .LBB287_1169
; %bb.1164:                             ;   in Loop: Header=BB287_15 Depth=1
	v_and_b32_e32 v2, 0x7f, v3
	v_mov_b32_e32 v62, 0x7c010000
	s_mov_b32 s22, exec_lo
	v_cmpx_ne_u32_e32 0x7f, v2
	s_cbranch_execz .LBB287_1168
; %bb.1165:                             ;   in Loop: Header=BB287_15 Depth=1
	v_and_b32_e32 v0, 7, v3
	v_lshrrev_b32_e32 v1, 3, v2
	s_mov_b32 s23, exec_lo
	v_cmpx_gt_u32_e32 8, v2
; %bb.1166:                             ;   in Loop: Header=BB287_15 Depth=1
	v_ffbh_u32_e32 v0, v0
	v_min_u32_e32 v2, 32, v0
	v_subrev_nc_u32_e32 v0, 28, v2
	v_lshlrev_b64 v[0:1], v0, v[3:4]
	v_sub_nc_u32_e32 v1, 29, v2
	v_and_b32_e32 v0, 7, v0
; %bb.1167:                             ;   in Loop: Header=BB287_15 Depth=1
	s_or_b32 exec_lo, exec_lo, s23
	v_lshlrev_b32_e32 v2, 8, v3
	v_lshl_add_u32 v1, v1, 10, 0x2000
	v_lshlrev_b32_e32 v0, 23, v0
	v_and_or_b32 v1, 0x8000, v2, v1
	v_lshl_or_b32 v62, v1, 16, v0
.LBB287_1168:                           ;   in Loop: Header=BB287_15 Depth=1
	s_or_b32 exec_lo, exec_lo, s22
.LBB287_1169:                           ;   in Loop: Header=BB287_15 Depth=1
	s_or_b32 exec_lo, exec_lo, s19
.LBB287_1170:                           ;   in Loop: Header=BB287_15 Depth=1
	s_or_b32 exec_lo, exec_lo, s17
	flat_load_dwordx2 v[29:30], v[27:28] offset:512
	s_waitcnt vmcnt(0) lgkmcnt(0)
	v_cmp_ne_u16_sdwa s5, v29, v4 src0_sel:BYTE_0 src1_sel:DWORD
	s_and_saveexec_b32 s17, s5
	s_cbranch_execz .LBB287_1178
; %bb.1171:                             ;   in Loop: Header=BB287_15 Depth=1
	v_cmp_ne_u16_sdwa s5, v29, v64 src0_sel:BYTE_0 src1_sel:DWORD
	v_mov_b32_e32 v0, 0x8000
	buffer_store_dword v0, off, s[0:3], s32 offset:692 ; 4-byte Folded Spill
	s_and_saveexec_b32 s19, s5
	s_cbranch_execz .LBB287_1177
; %bb.1172:                             ;   in Loop: Header=BB287_15 Depth=1
	v_and_b32_e32 v2, 0x7f, v29
	v_mov_b32_e32 v0, 0x7c01
	s_mov_b32 s22, exec_lo
	buffer_store_dword v0, off, s[0:3], s32 offset:692 ; 4-byte Folded Spill
	v_cmpx_ne_u32_e32 0x7f, v2
	s_cbranch_execz .LBB287_1176
; %bb.1173:                             ;   in Loop: Header=BB287_15 Depth=1
	v_and_b32_e32 v0, 7, v29
	v_lshrrev_b32_e32 v1, 3, v2
	s_mov_b32 s23, exec_lo
	v_cmpx_gt_u32_e32 8, v2
; %bb.1174:                             ;   in Loop: Header=BB287_15 Depth=1
	v_ffbh_u32_e32 v0, v0
	v_min_u32_e32 v2, 32, v0
	v_subrev_nc_u32_e32 v0, 28, v2
	v_lshlrev_b64 v[0:1], v0, v[29:30]
	v_sub_nc_u32_e32 v1, 29, v2
	v_and_b32_e32 v0, 7, v0
; %bb.1175:                             ;   in Loop: Header=BB287_15 Depth=1
	s_or_b32 exec_lo, exec_lo, s23
	v_lshlrev_b32_e32 v2, 8, v29
	v_lshl_add_u32 v1, v1, 10, 0x2000
	v_lshlrev_b32_e32 v0, 7, v0
	v_and_b32_e32 v2, 0x8000, v2
	v_and_b32_e32 v1, 0xfc00, v1
	v_or3_b32 v0, v2, v1, v0
	buffer_store_dword v0, off, s[0:3], s32 offset:692 ; 4-byte Folded Spill
.LBB287_1176:                           ;   in Loop: Header=BB287_15 Depth=1
	s_or_b32 exec_lo, exec_lo, s22
.LBB287_1177:                           ;   in Loop: Header=BB287_15 Depth=1
	s_or_b32 exec_lo, exec_lo, s19
.LBB287_1178:                           ;   in Loop: Header=BB287_15 Depth=1
	s_or_b32 exec_lo, exec_lo, s17
	v_lshrrev_b16 v3, 8, v29
	v_mov_b32_e32 v0, 0
	v_mov_b32_e32 v75, 0
	s_mov_b32 s17, exec_lo
	buffer_store_dword v0, off, s[0:3], s32 offset:696 ; 4-byte Folded Spill
	v_cmpx_ne_u16_e32 0, v3
	s_cbranch_execz .LBB287_1186
; %bb.1179:                             ;   in Loop: Header=BB287_15 Depth=1
	v_bfrev_b32_e32 v75, 1
	s_mov_b32 s19, exec_lo
	v_cmpx_ne_u16_e32 0x80, v3
	s_cbranch_execz .LBB287_1185
; %bb.1180:                             ;   in Loop: Header=BB287_15 Depth=1
	v_mov_b32_e32 v0, 0x7f
	v_mov_b32_e32 v75, 0x7c010000
	s_mov_b32 s22, exec_lo
	v_and_b32_sdwa v2, v3, v0 dst_sel:DWORD dst_unused:UNUSED_PAD src0_sel:WORD_0 src1_sel:DWORD
	v_cmpx_ne_u32_e32 0x7f, v2
	s_cbranch_execz .LBB287_1184
; %bb.1181:                             ;   in Loop: Header=BB287_15 Depth=1
	v_mov_b32_e32 v0, 7
	v_lshrrev_b32_e32 v1, 3, v2
	s_mov_b32 s23, exec_lo
	v_and_b32_sdwa v0, v3, v0 dst_sel:DWORD dst_unused:UNUSED_PAD src0_sel:WORD_0 src1_sel:DWORD
	v_cmpx_gt_u32_e32 8, v2
; %bb.1182:                             ;   in Loop: Header=BB287_15 Depth=1
	v_ffbh_u32_e32 v0, v0
	v_min_u32_e32 v2, 32, v0
	v_subrev_nc_u32_e32 v0, 28, v2
	v_lshlrev_b64 v[0:1], v0, v[3:4]
	v_sub_nc_u32_e32 v1, 29, v2
	v_and_b32_e32 v0, 7, v0
; %bb.1183:                             ;   in Loop: Header=BB287_15 Depth=1
	s_or_b32 exec_lo, exec_lo, s23
	v_mov_b32_e32 v2, 8
	v_lshl_add_u32 v1, v1, 10, 0x2000
	v_lshlrev_b32_e32 v0, 23, v0
	v_lshlrev_b32_sdwa v2, v2, v3 dst_sel:DWORD dst_unused:UNUSED_PAD src0_sel:DWORD src1_sel:WORD_0
	v_and_or_b32 v1, 0x8000, v2, v1
	v_lshl_or_b32 v75, v1, 16, v0
.LBB287_1184:                           ;   in Loop: Header=BB287_15 Depth=1
	s_or_b32 exec_lo, exec_lo, s22
.LBB287_1185:                           ;   in Loop: Header=BB287_15 Depth=1
	s_or_b32 exec_lo, exec_lo, s19
.LBB287_1186:                           ;   in Loop: Header=BB287_15 Depth=1
	s_or_b32 exec_lo, exec_lo, s17
	v_lshrrev_b32_e32 v3, 16, v29
	v_cmp_ne_u16_sdwa s5, v3, v4 src0_sel:BYTE_0 src1_sel:DWORD
	s_and_saveexec_b32 s17, s5
	s_cbranch_execz .LBB287_1194
; %bb.1187:                             ;   in Loop: Header=BB287_15 Depth=1
	v_cmp_ne_u16_sdwa s5, v3, v64 src0_sel:BYTE_0 src1_sel:DWORD
	v_mov_b32_e32 v0, 0x8000
	buffer_store_dword v0, off, s[0:3], s32 offset:696 ; 4-byte Folded Spill
	s_and_saveexec_b32 s19, s5
	s_cbranch_execz .LBB287_1193
; %bb.1188:                             ;   in Loop: Header=BB287_15 Depth=1
	v_bfe_u32 v2, v29, 16, 7
	v_mov_b32_e32 v0, 0x7c01
	s_mov_b32 s22, exec_lo
	buffer_store_dword v0, off, s[0:3], s32 offset:696 ; 4-byte Folded Spill
	v_cmpx_ne_u32_e32 0x7f, v2
	s_cbranch_execz .LBB287_1192
; %bb.1189:                             ;   in Loop: Header=BB287_15 Depth=1
	v_and_b32_e32 v0, 7, v3
	v_lshrrev_b32_e32 v1, 3, v2
	s_mov_b32 s23, exec_lo
	v_cmpx_gt_u32_e32 8, v2
; %bb.1190:                             ;   in Loop: Header=BB287_15 Depth=1
	v_ffbh_u32_e32 v0, v0
	v_min_u32_e32 v2, 32, v0
	v_subrev_nc_u32_e32 v0, 28, v2
	v_lshlrev_b64 v[0:1], v0, v[3:4]
	v_sub_nc_u32_e32 v1, 29, v2
	v_and_b32_e32 v0, 7, v0
; %bb.1191:                             ;   in Loop: Header=BB287_15 Depth=1
	s_or_b32 exec_lo, exec_lo, s23
	v_lshlrev_b32_e32 v2, 8, v3
	v_lshl_add_u32 v1, v1, 10, 0x2000
	v_lshlrev_b32_e32 v0, 7, v0
	v_and_b32_e32 v2, 0x8000, v2
	v_and_b32_e32 v1, 0xfc00, v1
	v_or3_b32 v0, v2, v1, v0
	buffer_store_dword v0, off, s[0:3], s32 offset:696 ; 4-byte Folded Spill
.LBB287_1192:                           ;   in Loop: Header=BB287_15 Depth=1
	s_or_b32 exec_lo, exec_lo, s22
.LBB287_1193:                           ;   in Loop: Header=BB287_15 Depth=1
	s_or_b32 exec_lo, exec_lo, s19
.LBB287_1194:                           ;   in Loop: Header=BB287_15 Depth=1
	s_or_b32 exec_lo, exec_lo, s17
	v_mov_b32_e32 v0, 0
	v_mov_b32_e32 v98, 0
	s_mov_b32 s17, exec_lo
	buffer_store_dword v0, off, s[0:3], s32 offset:700 ; 4-byte Folded Spill
	v_cmpx_lt_u32_e32 0xffffff, v29
	s_cbranch_execz .LBB287_1202
; %bb.1195:                             ;   in Loop: Header=BB287_15 Depth=1
	v_lshrrev_b32_e32 v3, 24, v29
	v_bfrev_b32_e32 v98, 1
	s_mov_b32 s19, exec_lo
	v_cmpx_ne_u32_e32 0x80, v3
	s_cbranch_execz .LBB287_1201
; %bb.1196:                             ;   in Loop: Header=BB287_15 Depth=1
	v_and_b32_e32 v2, 0x7f, v3
	v_mov_b32_e32 v98, 0x7c010000
	s_mov_b32 s22, exec_lo
	v_cmpx_ne_u32_e32 0x7f, v2
	s_cbranch_execz .LBB287_1200
; %bb.1197:                             ;   in Loop: Header=BB287_15 Depth=1
	v_and_b32_e32 v0, 7, v3
	v_lshrrev_b32_e32 v1, 3, v2
	s_mov_b32 s23, exec_lo
	v_cmpx_gt_u32_e32 8, v2
; %bb.1198:                             ;   in Loop: Header=BB287_15 Depth=1
	v_ffbh_u32_e32 v0, v0
	v_min_u32_e32 v2, 32, v0
	v_subrev_nc_u32_e32 v0, 28, v2
	v_lshlrev_b64 v[0:1], v0, v[3:4]
	v_sub_nc_u32_e32 v1, 29, v2
	v_and_b32_e32 v0, 7, v0
; %bb.1199:                             ;   in Loop: Header=BB287_15 Depth=1
	s_or_b32 exec_lo, exec_lo, s23
	v_lshlrev_b32_e32 v2, 8, v3
	v_lshl_add_u32 v1, v1, 10, 0x2000
	v_lshlrev_b32_e32 v0, 23, v0
	v_and_or_b32 v1, 0x8000, v2, v1
	v_lshl_or_b32 v98, v1, 16, v0
.LBB287_1200:                           ;   in Loop: Header=BB287_15 Depth=1
	s_or_b32 exec_lo, exec_lo, s22
.LBB287_1201:                           ;   in Loop: Header=BB287_15 Depth=1
	s_or_b32 exec_lo, exec_lo, s19
.LBB287_1202:                           ;   in Loop: Header=BB287_15 Depth=1
	s_or_b32 exec_lo, exec_lo, s17
	v_mov_b32_e32 v3, v30
	v_cmp_ne_u16_sdwa s5, v30, v4 src0_sel:BYTE_0 src1_sel:DWORD
	s_and_saveexec_b32 s17, s5
	s_cbranch_execz .LBB287_1210
; %bb.1203:                             ;   in Loop: Header=BB287_15 Depth=1
	v_cmp_ne_u16_sdwa s5, v30, v64 src0_sel:BYTE_0 src1_sel:DWORD
	v_mov_b32_e32 v0, 0x8000
	buffer_store_dword v0, off, s[0:3], s32 offset:700 ; 4-byte Folded Spill
	s_and_saveexec_b32 s19, s5
	s_cbranch_execz .LBB287_1209
; %bb.1204:                             ;   in Loop: Header=BB287_15 Depth=1
	v_and_b32_e32 v2, 0x7f, v30
	v_mov_b32_e32 v0, 0x7c01
	s_mov_b32 s22, exec_lo
	buffer_store_dword v0, off, s[0:3], s32 offset:700 ; 4-byte Folded Spill
	v_cmpx_ne_u32_e32 0x7f, v2
	s_cbranch_execz .LBB287_1208
; %bb.1205:                             ;   in Loop: Header=BB287_15 Depth=1
	v_and_b32_e32 v0, 7, v30
	v_lshrrev_b32_e32 v1, 3, v2
	s_mov_b32 s23, exec_lo
	v_cmpx_gt_u32_e32 8, v2
; %bb.1206:                             ;   in Loop: Header=BB287_15 Depth=1
	v_ffbh_u32_e32 v0, v0
	v_min_u32_e32 v2, 32, v0
	v_subrev_nc_u32_e32 v0, 28, v2
	v_lshlrev_b64 v[0:1], v0, v[3:4]
	v_sub_nc_u32_e32 v1, 29, v2
	v_and_b32_e32 v0, 7, v0
; %bb.1207:                             ;   in Loop: Header=BB287_15 Depth=1
	s_or_b32 exec_lo, exec_lo, s23
	v_lshlrev_b32_e32 v2, 8, v30
	v_lshl_add_u32 v1, v1, 10, 0x2000
	v_lshlrev_b32_e32 v0, 7, v0
	v_and_b32_e32 v2, 0x8000, v2
	v_and_b32_e32 v1, 0xfc00, v1
	v_or3_b32 v0, v2, v1, v0
	buffer_store_dword v0, off, s[0:3], s32 offset:700 ; 4-byte Folded Spill
.LBB287_1208:                           ;   in Loop: Header=BB287_15 Depth=1
	s_or_b32 exec_lo, exec_lo, s22
.LBB287_1209:                           ;   in Loop: Header=BB287_15 Depth=1
	s_or_b32 exec_lo, exec_lo, s19
.LBB287_1210:                           ;   in Loop: Header=BB287_15 Depth=1
	s_or_b32 exec_lo, exec_lo, s17
	v_lshrrev_b16 v3, 8, v3
	v_mov_b32_e32 v0, 0
	v_mov_b32_e32 v77, 0
	s_mov_b32 s17, exec_lo
	buffer_store_dword v0, off, s[0:3], s32 offset:704 ; 4-byte Folded Spill
	v_cmpx_ne_u16_e32 0, v3
	s_cbranch_execz .LBB287_1218
; %bb.1211:                             ;   in Loop: Header=BB287_15 Depth=1
	v_bfrev_b32_e32 v77, 1
	s_mov_b32 s19, exec_lo
	v_cmpx_ne_u16_e32 0x80, v3
	s_cbranch_execz .LBB287_1217
; %bb.1212:                             ;   in Loop: Header=BB287_15 Depth=1
	v_mov_b32_e32 v0, 0x7f
	v_mov_b32_e32 v77, 0x7c010000
	s_mov_b32 s22, exec_lo
	v_and_b32_sdwa v2, v3, v0 dst_sel:DWORD dst_unused:UNUSED_PAD src0_sel:WORD_0 src1_sel:DWORD
	v_cmpx_ne_u32_e32 0x7f, v2
	s_cbranch_execz .LBB287_1216
; %bb.1213:                             ;   in Loop: Header=BB287_15 Depth=1
	v_mov_b32_e32 v0, 7
	v_lshrrev_b32_e32 v1, 3, v2
	s_mov_b32 s23, exec_lo
	v_and_b32_sdwa v0, v3, v0 dst_sel:DWORD dst_unused:UNUSED_PAD src0_sel:WORD_0 src1_sel:DWORD
	v_cmpx_gt_u32_e32 8, v2
; %bb.1214:                             ;   in Loop: Header=BB287_15 Depth=1
	v_ffbh_u32_e32 v0, v0
	v_min_u32_e32 v2, 32, v0
	v_subrev_nc_u32_e32 v0, 28, v2
	v_lshlrev_b64 v[0:1], v0, v[3:4]
	v_sub_nc_u32_e32 v1, 29, v2
	v_and_b32_e32 v0, 7, v0
; %bb.1215:                             ;   in Loop: Header=BB287_15 Depth=1
	s_or_b32 exec_lo, exec_lo, s23
	v_mov_b32_e32 v2, 8
	v_lshl_add_u32 v1, v1, 10, 0x2000
	v_lshlrev_b32_e32 v0, 23, v0
	v_lshlrev_b32_sdwa v2, v2, v3 dst_sel:DWORD dst_unused:UNUSED_PAD src0_sel:DWORD src1_sel:WORD_0
	v_and_or_b32 v1, 0x8000, v2, v1
	v_lshl_or_b32 v77, v1, 16, v0
.LBB287_1216:                           ;   in Loop: Header=BB287_15 Depth=1
	s_or_b32 exec_lo, exec_lo, s22
.LBB287_1217:                           ;   in Loop: Header=BB287_15 Depth=1
	s_or_b32 exec_lo, exec_lo, s19
.LBB287_1218:                           ;   in Loop: Header=BB287_15 Depth=1
	s_or_b32 exec_lo, exec_lo, s17
	v_lshrrev_b32_e32 v3, 16, v30
	v_cmp_ne_u16_sdwa s5, v3, v4 src0_sel:BYTE_0 src1_sel:DWORD
	s_and_saveexec_b32 s17, s5
	s_cbranch_execz .LBB287_1226
; %bb.1219:                             ;   in Loop: Header=BB287_15 Depth=1
	v_cmp_ne_u16_sdwa s5, v3, v64 src0_sel:BYTE_0 src1_sel:DWORD
	v_mov_b32_e32 v0, 0x8000
	buffer_store_dword v0, off, s[0:3], s32 offset:704 ; 4-byte Folded Spill
	s_and_saveexec_b32 s19, s5
	s_cbranch_execz .LBB287_1225
; %bb.1220:                             ;   in Loop: Header=BB287_15 Depth=1
	v_bfe_u32 v2, v30, 16, 7
	v_mov_b32_e32 v0, 0x7c01
	s_mov_b32 s22, exec_lo
	buffer_store_dword v0, off, s[0:3], s32 offset:704 ; 4-byte Folded Spill
	v_cmpx_ne_u32_e32 0x7f, v2
	s_cbranch_execz .LBB287_1224
; %bb.1221:                             ;   in Loop: Header=BB287_15 Depth=1
	v_and_b32_e32 v0, 7, v3
	v_lshrrev_b32_e32 v1, 3, v2
	s_mov_b32 s23, exec_lo
	v_cmpx_gt_u32_e32 8, v2
; %bb.1222:                             ;   in Loop: Header=BB287_15 Depth=1
	v_ffbh_u32_e32 v0, v0
	v_min_u32_e32 v2, 32, v0
	v_subrev_nc_u32_e32 v0, 28, v2
	v_lshlrev_b64 v[0:1], v0, v[3:4]
	v_sub_nc_u32_e32 v1, 29, v2
	v_and_b32_e32 v0, 7, v0
; %bb.1223:                             ;   in Loop: Header=BB287_15 Depth=1
	s_or_b32 exec_lo, exec_lo, s23
	v_lshlrev_b32_e32 v2, 8, v3
	v_lshl_add_u32 v1, v1, 10, 0x2000
	v_lshlrev_b32_e32 v0, 7, v0
	v_and_b32_e32 v2, 0x8000, v2
	v_and_b32_e32 v1, 0xfc00, v1
	v_or3_b32 v0, v2, v1, v0
	buffer_store_dword v0, off, s[0:3], s32 offset:704 ; 4-byte Folded Spill
.LBB287_1224:                           ;   in Loop: Header=BB287_15 Depth=1
	s_or_b32 exec_lo, exec_lo, s22
.LBB287_1225:                           ;   in Loop: Header=BB287_15 Depth=1
	s_or_b32 exec_lo, exec_lo, s19
.LBB287_1226:                           ;   in Loop: Header=BB287_15 Depth=1
	s_or_b32 exec_lo, exec_lo, s17
	v_mov_b32_e32 v0, 0
	v_mov_b32_e32 v14, 0
	s_mov_b32 s17, exec_lo
	buffer_store_dword v0, off, s[0:3], s32 offset:708 ; 4-byte Folded Spill
	v_cmpx_lt_u64_e64 s[8:9], v[29:30]
	s_cbranch_execz .LBB287_1234
; %bb.1227:                             ;   in Loop: Header=BB287_15 Depth=1
	v_lshrrev_b32_e32 v3, 24, v30
	v_bfrev_b32_e32 v14, 1
	s_mov_b32 s19, exec_lo
	v_cmpx_ne_u32_e32 0x80, v3
	s_cbranch_execz .LBB287_1233
; %bb.1228:                             ;   in Loop: Header=BB287_15 Depth=1
	v_and_b32_e32 v2, 0x7f, v3
	v_mov_b32_e32 v14, 0x7c010000
	s_mov_b32 s22, exec_lo
	v_cmpx_ne_u32_e32 0x7f, v2
	s_cbranch_execz .LBB287_1232
; %bb.1229:                             ;   in Loop: Header=BB287_15 Depth=1
	v_and_b32_e32 v0, 7, v3
	v_lshrrev_b32_e32 v1, 3, v2
	s_mov_b32 s23, exec_lo
	v_cmpx_gt_u32_e32 8, v2
; %bb.1230:                             ;   in Loop: Header=BB287_15 Depth=1
	v_ffbh_u32_e32 v0, v0
	v_min_u32_e32 v2, 32, v0
	v_subrev_nc_u32_e32 v0, 28, v2
	v_lshlrev_b64 v[0:1], v0, v[3:4]
	v_sub_nc_u32_e32 v1, 29, v2
	v_and_b32_e32 v0, 7, v0
; %bb.1231:                             ;   in Loop: Header=BB287_15 Depth=1
	s_or_b32 exec_lo, exec_lo, s23
	v_lshlrev_b32_e32 v2, 8, v3
	v_lshl_add_u32 v1, v1, 10, 0x2000
	v_lshlrev_b32_e32 v0, 23, v0
	v_and_or_b32 v1, 0x8000, v2, v1
	v_lshl_or_b32 v14, v1, 16, v0
.LBB287_1232:                           ;   in Loop: Header=BB287_15 Depth=1
	s_or_b32 exec_lo, exec_lo, s22
.LBB287_1233:                           ;   in Loop: Header=BB287_15 Depth=1
	s_or_b32 exec_lo, exec_lo, s19
.LBB287_1234:                           ;   in Loop: Header=BB287_15 Depth=1
	s_or_b32 exec_lo, exec_lo, s17
	flat_load_dwordx2 v[29:30], v[27:28] offset:520
	s_waitcnt vmcnt(0) lgkmcnt(0)
	v_cmp_ne_u16_sdwa s5, v29, v4 src0_sel:BYTE_0 src1_sel:DWORD
	s_and_saveexec_b32 s17, s5
	s_cbranch_execz .LBB287_1242
; %bb.1235:                             ;   in Loop: Header=BB287_15 Depth=1
	v_cmp_ne_u16_sdwa s5, v29, v64 src0_sel:BYTE_0 src1_sel:DWORD
	v_mov_b32_e32 v0, 0x8000
	buffer_store_dword v0, off, s[0:3], s32 offset:708 ; 4-byte Folded Spill
	s_and_saveexec_b32 s19, s5
	s_cbranch_execz .LBB287_1241
; %bb.1236:                             ;   in Loop: Header=BB287_15 Depth=1
	v_and_b32_e32 v2, 0x7f, v29
	v_mov_b32_e32 v0, 0x7c01
	s_mov_b32 s22, exec_lo
	buffer_store_dword v0, off, s[0:3], s32 offset:708 ; 4-byte Folded Spill
	v_cmpx_ne_u32_e32 0x7f, v2
	s_cbranch_execz .LBB287_1240
; %bb.1237:                             ;   in Loop: Header=BB287_15 Depth=1
	v_and_b32_e32 v0, 7, v29
	v_lshrrev_b32_e32 v1, 3, v2
	s_mov_b32 s23, exec_lo
	v_cmpx_gt_u32_e32 8, v2
; %bb.1238:                             ;   in Loop: Header=BB287_15 Depth=1
	v_ffbh_u32_e32 v0, v0
	v_min_u32_e32 v2, 32, v0
	v_subrev_nc_u32_e32 v0, 28, v2
	v_lshlrev_b64 v[0:1], v0, v[29:30]
	v_sub_nc_u32_e32 v1, 29, v2
	v_and_b32_e32 v0, 7, v0
; %bb.1239:                             ;   in Loop: Header=BB287_15 Depth=1
	s_or_b32 exec_lo, exec_lo, s23
	v_lshlrev_b32_e32 v2, 8, v29
	v_lshl_add_u32 v1, v1, 10, 0x2000
	v_lshlrev_b32_e32 v0, 7, v0
	v_and_b32_e32 v2, 0x8000, v2
	v_and_b32_e32 v1, 0xfc00, v1
	v_or3_b32 v0, v2, v1, v0
	buffer_store_dword v0, off, s[0:3], s32 offset:708 ; 4-byte Folded Spill
.LBB287_1240:                           ;   in Loop: Header=BB287_15 Depth=1
	s_or_b32 exec_lo, exec_lo, s22
.LBB287_1241:                           ;   in Loop: Header=BB287_15 Depth=1
	s_or_b32 exec_lo, exec_lo, s19
.LBB287_1242:                           ;   in Loop: Header=BB287_15 Depth=1
	s_or_b32 exec_lo, exec_lo, s17
	v_lshrrev_b16 v3, 8, v29
	v_mov_b32_e32 v0, 0
	v_mov_b32_e32 v76, 0
	s_mov_b32 s17, exec_lo
	buffer_store_dword v0, off, s[0:3], s32 offset:712 ; 4-byte Folded Spill
	v_cmpx_ne_u16_e32 0, v3
	s_cbranch_execz .LBB287_1250
; %bb.1243:                             ;   in Loop: Header=BB287_15 Depth=1
	v_bfrev_b32_e32 v76, 1
	s_mov_b32 s19, exec_lo
	v_cmpx_ne_u16_e32 0x80, v3
	s_cbranch_execz .LBB287_1249
; %bb.1244:                             ;   in Loop: Header=BB287_15 Depth=1
	v_mov_b32_e32 v0, 0x7f
	v_mov_b32_e32 v76, 0x7c010000
	s_mov_b32 s22, exec_lo
	v_and_b32_sdwa v2, v3, v0 dst_sel:DWORD dst_unused:UNUSED_PAD src0_sel:WORD_0 src1_sel:DWORD
	v_cmpx_ne_u32_e32 0x7f, v2
	s_cbranch_execz .LBB287_1248
; %bb.1245:                             ;   in Loop: Header=BB287_15 Depth=1
	v_mov_b32_e32 v0, 7
	v_lshrrev_b32_e32 v1, 3, v2
	s_mov_b32 s23, exec_lo
	v_and_b32_sdwa v0, v3, v0 dst_sel:DWORD dst_unused:UNUSED_PAD src0_sel:WORD_0 src1_sel:DWORD
	v_cmpx_gt_u32_e32 8, v2
; %bb.1246:                             ;   in Loop: Header=BB287_15 Depth=1
	v_ffbh_u32_e32 v0, v0
	v_min_u32_e32 v2, 32, v0
	v_subrev_nc_u32_e32 v0, 28, v2
	v_lshlrev_b64 v[0:1], v0, v[3:4]
	v_sub_nc_u32_e32 v1, 29, v2
	v_and_b32_e32 v0, 7, v0
; %bb.1247:                             ;   in Loop: Header=BB287_15 Depth=1
	s_or_b32 exec_lo, exec_lo, s23
	v_mov_b32_e32 v2, 8
	v_lshl_add_u32 v1, v1, 10, 0x2000
	v_lshlrev_b32_e32 v0, 23, v0
	v_lshlrev_b32_sdwa v2, v2, v3 dst_sel:DWORD dst_unused:UNUSED_PAD src0_sel:DWORD src1_sel:WORD_0
	v_and_or_b32 v1, 0x8000, v2, v1
	v_lshl_or_b32 v76, v1, 16, v0
.LBB287_1248:                           ;   in Loop: Header=BB287_15 Depth=1
	s_or_b32 exec_lo, exec_lo, s22
.LBB287_1249:                           ;   in Loop: Header=BB287_15 Depth=1
	s_or_b32 exec_lo, exec_lo, s19
.LBB287_1250:                           ;   in Loop: Header=BB287_15 Depth=1
	s_or_b32 exec_lo, exec_lo, s17
	v_lshrrev_b32_e32 v3, 16, v29
	v_cmp_ne_u16_sdwa s5, v3, v4 src0_sel:BYTE_0 src1_sel:DWORD
	s_and_saveexec_b32 s17, s5
	s_cbranch_execz .LBB287_1258
; %bb.1251:                             ;   in Loop: Header=BB287_15 Depth=1
	v_cmp_ne_u16_sdwa s5, v3, v64 src0_sel:BYTE_0 src1_sel:DWORD
	v_mov_b32_e32 v0, 0x8000
	buffer_store_dword v0, off, s[0:3], s32 offset:712 ; 4-byte Folded Spill
	s_and_saveexec_b32 s19, s5
	s_cbranch_execz .LBB287_1257
; %bb.1252:                             ;   in Loop: Header=BB287_15 Depth=1
	v_bfe_u32 v2, v29, 16, 7
	v_mov_b32_e32 v0, 0x7c01
	s_mov_b32 s22, exec_lo
	buffer_store_dword v0, off, s[0:3], s32 offset:712 ; 4-byte Folded Spill
	v_cmpx_ne_u32_e32 0x7f, v2
	s_cbranch_execz .LBB287_1256
; %bb.1253:                             ;   in Loop: Header=BB287_15 Depth=1
	v_and_b32_e32 v0, 7, v3
	v_lshrrev_b32_e32 v1, 3, v2
	s_mov_b32 s23, exec_lo
	v_cmpx_gt_u32_e32 8, v2
; %bb.1254:                             ;   in Loop: Header=BB287_15 Depth=1
	v_ffbh_u32_e32 v0, v0
	v_min_u32_e32 v2, 32, v0
	v_subrev_nc_u32_e32 v0, 28, v2
	v_lshlrev_b64 v[0:1], v0, v[3:4]
	v_sub_nc_u32_e32 v1, 29, v2
	v_and_b32_e32 v0, 7, v0
; %bb.1255:                             ;   in Loop: Header=BB287_15 Depth=1
	s_or_b32 exec_lo, exec_lo, s23
	v_lshlrev_b32_e32 v2, 8, v3
	v_lshl_add_u32 v1, v1, 10, 0x2000
	v_lshlrev_b32_e32 v0, 7, v0
	v_and_b32_e32 v2, 0x8000, v2
	v_and_b32_e32 v1, 0xfc00, v1
	v_or3_b32 v0, v2, v1, v0
	buffer_store_dword v0, off, s[0:3], s32 offset:712 ; 4-byte Folded Spill
.LBB287_1256:                           ;   in Loop: Header=BB287_15 Depth=1
	s_or_b32 exec_lo, exec_lo, s22
.LBB287_1257:                           ;   in Loop: Header=BB287_15 Depth=1
	s_or_b32 exec_lo, exec_lo, s19
.LBB287_1258:                           ;   in Loop: Header=BB287_15 Depth=1
	s_or_b32 exec_lo, exec_lo, s17
	v_mov_b32_e32 v0, 0
	v_mov_b32_e32 v57, 0
	s_mov_b32 s17, exec_lo
	buffer_store_dword v0, off, s[0:3], s32 offset:716 ; 4-byte Folded Spill
	v_cmpx_lt_u32_e32 0xffffff, v29
	s_cbranch_execz .LBB287_1266
; %bb.1259:                             ;   in Loop: Header=BB287_15 Depth=1
	v_lshrrev_b32_e32 v3, 24, v29
	v_bfrev_b32_e32 v57, 1
	s_mov_b32 s19, exec_lo
	v_cmpx_ne_u32_e32 0x80, v3
	s_cbranch_execz .LBB287_1265
; %bb.1260:                             ;   in Loop: Header=BB287_15 Depth=1
	v_and_b32_e32 v2, 0x7f, v3
	v_mov_b32_e32 v57, 0x7c010000
	s_mov_b32 s22, exec_lo
	v_cmpx_ne_u32_e32 0x7f, v2
	s_cbranch_execz .LBB287_1264
; %bb.1261:                             ;   in Loop: Header=BB287_15 Depth=1
	v_and_b32_e32 v0, 7, v3
	v_lshrrev_b32_e32 v1, 3, v2
	s_mov_b32 s23, exec_lo
	v_cmpx_gt_u32_e32 8, v2
; %bb.1262:                             ;   in Loop: Header=BB287_15 Depth=1
	v_ffbh_u32_e32 v0, v0
	v_min_u32_e32 v2, 32, v0
	v_subrev_nc_u32_e32 v0, 28, v2
	v_lshlrev_b64 v[0:1], v0, v[3:4]
	v_sub_nc_u32_e32 v1, 29, v2
	v_and_b32_e32 v0, 7, v0
; %bb.1263:                             ;   in Loop: Header=BB287_15 Depth=1
	s_or_b32 exec_lo, exec_lo, s23
	v_lshlrev_b32_e32 v2, 8, v3
	v_lshl_add_u32 v1, v1, 10, 0x2000
	v_lshlrev_b32_e32 v0, 23, v0
	v_and_or_b32 v1, 0x8000, v2, v1
	v_lshl_or_b32 v57, v1, 16, v0
.LBB287_1264:                           ;   in Loop: Header=BB287_15 Depth=1
	s_or_b32 exec_lo, exec_lo, s22
.LBB287_1265:                           ;   in Loop: Header=BB287_15 Depth=1
	s_or_b32 exec_lo, exec_lo, s19
.LBB287_1266:                           ;   in Loop: Header=BB287_15 Depth=1
	s_or_b32 exec_lo, exec_lo, s17
	v_mov_b32_e32 v3, v30
	v_cmp_ne_u16_sdwa s5, v30, v4 src0_sel:BYTE_0 src1_sel:DWORD
	s_and_saveexec_b32 s17, s5
	s_cbranch_execz .LBB287_1274
; %bb.1267:                             ;   in Loop: Header=BB287_15 Depth=1
	v_cmp_ne_u16_sdwa s5, v30, v64 src0_sel:BYTE_0 src1_sel:DWORD
	v_mov_b32_e32 v0, 0x8000
	buffer_store_dword v0, off, s[0:3], s32 offset:716 ; 4-byte Folded Spill
	s_and_saveexec_b32 s19, s5
	s_cbranch_execz .LBB287_1273
; %bb.1268:                             ;   in Loop: Header=BB287_15 Depth=1
	v_and_b32_e32 v2, 0x7f, v30
	v_mov_b32_e32 v0, 0x7c01
	s_mov_b32 s22, exec_lo
	buffer_store_dword v0, off, s[0:3], s32 offset:716 ; 4-byte Folded Spill
	v_cmpx_ne_u32_e32 0x7f, v2
	s_cbranch_execz .LBB287_1272
; %bb.1269:                             ;   in Loop: Header=BB287_15 Depth=1
	v_and_b32_e32 v0, 7, v30
	v_lshrrev_b32_e32 v1, 3, v2
	s_mov_b32 s23, exec_lo
	v_cmpx_gt_u32_e32 8, v2
; %bb.1270:                             ;   in Loop: Header=BB287_15 Depth=1
	v_ffbh_u32_e32 v0, v0
	v_min_u32_e32 v2, 32, v0
	v_subrev_nc_u32_e32 v0, 28, v2
	v_lshlrev_b64 v[0:1], v0, v[3:4]
	v_sub_nc_u32_e32 v1, 29, v2
	v_and_b32_e32 v0, 7, v0
; %bb.1271:                             ;   in Loop: Header=BB287_15 Depth=1
	s_or_b32 exec_lo, exec_lo, s23
	v_lshlrev_b32_e32 v2, 8, v30
	v_lshl_add_u32 v1, v1, 10, 0x2000
	v_lshlrev_b32_e32 v0, 7, v0
	v_and_b32_e32 v2, 0x8000, v2
	v_and_b32_e32 v1, 0xfc00, v1
	v_or3_b32 v0, v2, v1, v0
	buffer_store_dword v0, off, s[0:3], s32 offset:716 ; 4-byte Folded Spill
.LBB287_1272:                           ;   in Loop: Header=BB287_15 Depth=1
	s_or_b32 exec_lo, exec_lo, s22
.LBB287_1273:                           ;   in Loop: Header=BB287_15 Depth=1
	s_or_b32 exec_lo, exec_lo, s19
.LBB287_1274:                           ;   in Loop: Header=BB287_15 Depth=1
	s_or_b32 exec_lo, exec_lo, s17
	v_lshrrev_b16 v3, 8, v3
	v_mov_b32_e32 v0, 0
	v_mov_b32_e32 v47, 0
	s_mov_b32 s17, exec_lo
	buffer_store_dword v0, off, s[0:3], s32 offset:720 ; 4-byte Folded Spill
	v_cmpx_ne_u16_e32 0, v3
	s_cbranch_execz .LBB287_1282
; %bb.1275:                             ;   in Loop: Header=BB287_15 Depth=1
	v_bfrev_b32_e32 v47, 1
	s_mov_b32 s19, exec_lo
	v_cmpx_ne_u16_e32 0x80, v3
	s_cbranch_execz .LBB287_1281
; %bb.1276:                             ;   in Loop: Header=BB287_15 Depth=1
	v_mov_b32_e32 v0, 0x7f
	v_mov_b32_e32 v47, 0x7c010000
	s_mov_b32 s22, exec_lo
	v_and_b32_sdwa v5, v3, v0 dst_sel:DWORD dst_unused:UNUSED_PAD src0_sel:WORD_0 src1_sel:DWORD
	v_cmpx_ne_u32_e32 0x7f, v5
	s_cbranch_execz .LBB287_1280
; %bb.1277:                             ;   in Loop: Header=BB287_15 Depth=1
	v_mov_b32_e32 v0, 7
	v_lshrrev_b32_e32 v1, 3, v5
	s_mov_b32 s23, exec_lo
	v_and_b32_sdwa v0, v3, v0 dst_sel:DWORD dst_unused:UNUSED_PAD src0_sel:WORD_0 src1_sel:DWORD
	v_cmpx_gt_u32_e32 8, v5
; %bb.1278:                             ;   in Loop: Header=BB287_15 Depth=1
	v_ffbh_u32_e32 v0, v0
	v_min_u32_e32 v2, 32, v0
	v_subrev_nc_u32_e32 v0, 28, v2
	v_lshlrev_b64 v[0:1], v0, v[3:4]
	v_sub_nc_u32_e32 v1, 29, v2
	v_and_b32_e32 v0, 7, v0
; %bb.1279:                             ;   in Loop: Header=BB287_15 Depth=1
	s_or_b32 exec_lo, exec_lo, s23
	v_mov_b32_e32 v2, 8
	v_lshl_add_u32 v1, v1, 10, 0x2000
	v_lshlrev_b32_e32 v0, 23, v0
	v_lshlrev_b32_sdwa v2, v2, v3 dst_sel:DWORD dst_unused:UNUSED_PAD src0_sel:DWORD src1_sel:WORD_0
	v_and_or_b32 v1, 0x8000, v2, v1
	v_lshl_or_b32 v47, v1, 16, v0
.LBB287_1280:                           ;   in Loop: Header=BB287_15 Depth=1
	s_or_b32 exec_lo, exec_lo, s22
.LBB287_1281:                           ;   in Loop: Header=BB287_15 Depth=1
	s_or_b32 exec_lo, exec_lo, s19
.LBB287_1282:                           ;   in Loop: Header=BB287_15 Depth=1
	s_or_b32 exec_lo, exec_lo, s17
	v_lshrrev_b32_e32 v3, 16, v30
	v_cmp_ne_u16_sdwa s5, v3, v4 src0_sel:BYTE_0 src1_sel:DWORD
	s_and_saveexec_b32 s17, s5
	s_cbranch_execz .LBB287_1290
; %bb.1283:                             ;   in Loop: Header=BB287_15 Depth=1
	v_cmp_ne_u16_sdwa s5, v3, v64 src0_sel:BYTE_0 src1_sel:DWORD
	v_mov_b32_e32 v0, 0x8000
	buffer_store_dword v0, off, s[0:3], s32 offset:720 ; 4-byte Folded Spill
	s_and_saveexec_b32 s19, s5
	s_cbranch_execz .LBB287_1289
; %bb.1284:                             ;   in Loop: Header=BB287_15 Depth=1
	v_bfe_u32 v5, v30, 16, 7
	v_mov_b32_e32 v0, 0x7c01
	s_mov_b32 s22, exec_lo
	buffer_store_dword v0, off, s[0:3], s32 offset:720 ; 4-byte Folded Spill
	v_cmpx_ne_u32_e32 0x7f, v5
	s_cbranch_execz .LBB287_1288
; %bb.1285:                             ;   in Loop: Header=BB287_15 Depth=1
	v_and_b32_e32 v0, 7, v3
	v_lshrrev_b32_e32 v1, 3, v5
	s_mov_b32 s23, exec_lo
	v_cmpx_gt_u32_e32 8, v5
; %bb.1286:                             ;   in Loop: Header=BB287_15 Depth=1
	v_ffbh_u32_e32 v0, v0
	v_min_u32_e32 v2, 32, v0
	v_subrev_nc_u32_e32 v0, 28, v2
	v_lshlrev_b64 v[0:1], v0, v[3:4]
	v_sub_nc_u32_e32 v1, 29, v2
	v_and_b32_e32 v0, 7, v0
; %bb.1287:                             ;   in Loop: Header=BB287_15 Depth=1
	s_or_b32 exec_lo, exec_lo, s23
	v_lshlrev_b32_e32 v2, 8, v3
	v_lshl_add_u32 v1, v1, 10, 0x2000
	v_lshlrev_b32_e32 v0, 7, v0
	v_and_b32_e32 v2, 0x8000, v2
	v_and_b32_e32 v1, 0xfc00, v1
	v_or3_b32 v0, v2, v1, v0
	buffer_store_dword v0, off, s[0:3], s32 offset:720 ; 4-byte Folded Spill
.LBB287_1288:                           ;   in Loop: Header=BB287_15 Depth=1
	s_or_b32 exec_lo, exec_lo, s22
.LBB287_1289:                           ;   in Loop: Header=BB287_15 Depth=1
	s_or_b32 exec_lo, exec_lo, s19
.LBB287_1290:                           ;   in Loop: Header=BB287_15 Depth=1
	s_or_b32 exec_lo, exec_lo, s17
	v_mov_b32_e32 v0, 0
	v_mov_b32_e32 v85, 0
	s_mov_b32 s17, exec_lo
	buffer_store_dword v0, off, s[0:3], s32 offset:724 ; 4-byte Folded Spill
	v_cmpx_lt_u64_e64 s[8:9], v[29:30]
	s_cbranch_execz .LBB287_1298
; %bb.1291:                             ;   in Loop: Header=BB287_15 Depth=1
	v_lshrrev_b32_e32 v3, 24, v30
	v_bfrev_b32_e32 v85, 1
	s_mov_b32 s19, exec_lo
	v_cmpx_ne_u32_e32 0x80, v3
	s_cbranch_execz .LBB287_1297
; %bb.1292:                             ;   in Loop: Header=BB287_15 Depth=1
	v_and_b32_e32 v5, 0x7f, v3
	v_mov_b32_e32 v85, 0x7c010000
	s_mov_b32 s22, exec_lo
	v_cmpx_ne_u32_e32 0x7f, v5
	s_cbranch_execz .LBB287_1296
; %bb.1293:                             ;   in Loop: Header=BB287_15 Depth=1
	v_and_b32_e32 v0, 7, v3
	v_lshrrev_b32_e32 v1, 3, v5
	s_mov_b32 s23, exec_lo
	v_cmpx_gt_u32_e32 8, v5
; %bb.1294:                             ;   in Loop: Header=BB287_15 Depth=1
	v_ffbh_u32_e32 v0, v0
	v_min_u32_e32 v2, 32, v0
	v_subrev_nc_u32_e32 v0, 28, v2
	v_lshlrev_b64 v[0:1], v0, v[3:4]
	v_sub_nc_u32_e32 v1, 29, v2
	v_and_b32_e32 v0, 7, v0
; %bb.1295:                             ;   in Loop: Header=BB287_15 Depth=1
	s_or_b32 exec_lo, exec_lo, s23
	v_lshlrev_b32_e32 v2, 8, v3
	v_lshl_add_u32 v1, v1, 10, 0x2000
	v_lshlrev_b32_e32 v0, 23, v0
	v_and_or_b32 v1, 0x8000, v2, v1
	v_lshl_or_b32 v85, v1, 16, v0
.LBB287_1296:                           ;   in Loop: Header=BB287_15 Depth=1
	s_or_b32 exec_lo, exec_lo, s22
.LBB287_1297:                           ;   in Loop: Header=BB287_15 Depth=1
	s_or_b32 exec_lo, exec_lo, s19
.LBB287_1298:                           ;   in Loop: Header=BB287_15 Depth=1
	s_or_b32 exec_lo, exec_lo, s17
	flat_load_dwordx2 v[29:30], v[27:28] offset:1024
	s_waitcnt vmcnt(0) lgkmcnt(0)
	v_cmp_ne_u16_sdwa s5, v29, v4 src0_sel:BYTE_0 src1_sel:DWORD
	s_and_saveexec_b32 s17, s5
	s_cbranch_execz .LBB287_1306
; %bb.1299:                             ;   in Loop: Header=BB287_15 Depth=1
	v_cmp_ne_u16_sdwa s5, v29, v64 src0_sel:BYTE_0 src1_sel:DWORD
	v_mov_b32_e32 v0, 0x8000
	buffer_store_dword v0, off, s[0:3], s32 offset:724 ; 4-byte Folded Spill
	s_and_saveexec_b32 s19, s5
	s_cbranch_execz .LBB287_1305
; %bb.1300:                             ;   in Loop: Header=BB287_15 Depth=1
	v_and_b32_e32 v3, 0x7f, v29
	v_mov_b32_e32 v0, 0x7c01
	s_mov_b32 s22, exec_lo
	buffer_store_dword v0, off, s[0:3], s32 offset:724 ; 4-byte Folded Spill
	v_cmpx_ne_u32_e32 0x7f, v3
	s_cbranch_execz .LBB287_1304
; %bb.1301:                             ;   in Loop: Header=BB287_15 Depth=1
	v_and_b32_e32 v0, 7, v29
	v_lshrrev_b32_e32 v1, 3, v3
	s_mov_b32 s23, exec_lo
	v_cmpx_gt_u32_e32 8, v3
; %bb.1302:                             ;   in Loop: Header=BB287_15 Depth=1
	v_ffbh_u32_e32 v0, v0
	v_min_u32_e32 v2, 32, v0
	v_subrev_nc_u32_e32 v0, 28, v2
	v_lshlrev_b64 v[0:1], v0, v[29:30]
	v_sub_nc_u32_e32 v1, 29, v2
	v_and_b32_e32 v0, 7, v0
; %bb.1303:                             ;   in Loop: Header=BB287_15 Depth=1
	s_or_b32 exec_lo, exec_lo, s23
	v_lshlrev_b32_e32 v2, 8, v29
	v_lshl_add_u32 v1, v1, 10, 0x2000
	v_lshlrev_b32_e32 v0, 7, v0
	v_and_b32_e32 v2, 0x8000, v2
	v_and_b32_e32 v1, 0xfc00, v1
	v_or3_b32 v0, v2, v1, v0
	buffer_store_dword v0, off, s[0:3], s32 offset:724 ; 4-byte Folded Spill
.LBB287_1304:                           ;   in Loop: Header=BB287_15 Depth=1
	s_or_b32 exec_lo, exec_lo, s22
.LBB287_1305:                           ;   in Loop: Header=BB287_15 Depth=1
	s_or_b32 exec_lo, exec_lo, s19
.LBB287_1306:                           ;   in Loop: Header=BB287_15 Depth=1
	s_or_b32 exec_lo, exec_lo, s17
	v_lshrrev_b16 v3, 8, v29
	v_mov_b32_e32 v0, 0
	v_mov_b32_e32 v49, 0
	s_mov_b32 s17, exec_lo
	buffer_store_dword v0, off, s[0:3], s32 offset:728 ; 4-byte Folded Spill
	v_cmpx_ne_u16_e32 0, v3
	s_cbranch_execz .LBB287_1314
; %bb.1307:                             ;   in Loop: Header=BB287_15 Depth=1
	v_bfrev_b32_e32 v49, 1
	s_mov_b32 s19, exec_lo
	v_cmpx_ne_u16_e32 0x80, v3
	s_cbranch_execz .LBB287_1313
; %bb.1308:                             ;   in Loop: Header=BB287_15 Depth=1
	v_mov_b32_e32 v0, 0x7f
	v_mov_b32_e32 v49, 0x7c010000
	s_mov_b32 s22, exec_lo
	v_and_b32_sdwa v5, v3, v0 dst_sel:DWORD dst_unused:UNUSED_PAD src0_sel:WORD_0 src1_sel:DWORD
	v_cmpx_ne_u32_e32 0x7f, v5
	s_cbranch_execz .LBB287_1312
; %bb.1309:                             ;   in Loop: Header=BB287_15 Depth=1
	v_mov_b32_e32 v0, 7
	v_lshrrev_b32_e32 v1, 3, v5
	s_mov_b32 s23, exec_lo
	v_and_b32_sdwa v0, v3, v0 dst_sel:DWORD dst_unused:UNUSED_PAD src0_sel:WORD_0 src1_sel:DWORD
	v_cmpx_gt_u32_e32 8, v5
; %bb.1310:                             ;   in Loop: Header=BB287_15 Depth=1
	v_ffbh_u32_e32 v0, v0
	v_min_u32_e32 v2, 32, v0
	v_subrev_nc_u32_e32 v0, 28, v2
	v_lshlrev_b64 v[0:1], v0, v[3:4]
	v_sub_nc_u32_e32 v1, 29, v2
	v_and_b32_e32 v0, 7, v0
; %bb.1311:                             ;   in Loop: Header=BB287_15 Depth=1
	s_or_b32 exec_lo, exec_lo, s23
	v_mov_b32_e32 v2, 8
	v_lshl_add_u32 v1, v1, 10, 0x2000
	v_lshlrev_b32_e32 v0, 23, v0
	v_lshlrev_b32_sdwa v2, v2, v3 dst_sel:DWORD dst_unused:UNUSED_PAD src0_sel:DWORD src1_sel:WORD_0
	v_and_or_b32 v1, 0x8000, v2, v1
	v_lshl_or_b32 v49, v1, 16, v0
.LBB287_1312:                           ;   in Loop: Header=BB287_15 Depth=1
	s_or_b32 exec_lo, exec_lo, s22
.LBB287_1313:                           ;   in Loop: Header=BB287_15 Depth=1
	s_or_b32 exec_lo, exec_lo, s19
.LBB287_1314:                           ;   in Loop: Header=BB287_15 Depth=1
	s_or_b32 exec_lo, exec_lo, s17
	v_lshrrev_b32_e32 v3, 16, v29
	v_cmp_ne_u16_sdwa s5, v3, v4 src0_sel:BYTE_0 src1_sel:DWORD
	s_and_saveexec_b32 s17, s5
	s_cbranch_execz .LBB287_1322
; %bb.1315:                             ;   in Loop: Header=BB287_15 Depth=1
	v_cmp_ne_u16_sdwa s5, v3, v64 src0_sel:BYTE_0 src1_sel:DWORD
	v_mov_b32_e32 v0, 0x8000
	buffer_store_dword v0, off, s[0:3], s32 offset:728 ; 4-byte Folded Spill
	s_and_saveexec_b32 s19, s5
	s_cbranch_execz .LBB287_1321
; %bb.1316:                             ;   in Loop: Header=BB287_15 Depth=1
	v_bfe_u32 v5, v29, 16, 7
	v_mov_b32_e32 v0, 0x7c01
	s_mov_b32 s22, exec_lo
	buffer_store_dword v0, off, s[0:3], s32 offset:728 ; 4-byte Folded Spill
	v_cmpx_ne_u32_e32 0x7f, v5
	s_cbranch_execz .LBB287_1320
; %bb.1317:                             ;   in Loop: Header=BB287_15 Depth=1
	v_and_b32_e32 v0, 7, v3
	v_lshrrev_b32_e32 v1, 3, v5
	s_mov_b32 s23, exec_lo
	v_cmpx_gt_u32_e32 8, v5
; %bb.1318:                             ;   in Loop: Header=BB287_15 Depth=1
	v_ffbh_u32_e32 v0, v0
	v_min_u32_e32 v2, 32, v0
	v_subrev_nc_u32_e32 v0, 28, v2
	v_lshlrev_b64 v[0:1], v0, v[3:4]
	v_sub_nc_u32_e32 v1, 29, v2
	v_and_b32_e32 v0, 7, v0
; %bb.1319:                             ;   in Loop: Header=BB287_15 Depth=1
	s_or_b32 exec_lo, exec_lo, s23
	v_lshlrev_b32_e32 v2, 8, v3
	v_lshl_add_u32 v1, v1, 10, 0x2000
	v_lshlrev_b32_e32 v0, 7, v0
	v_and_b32_e32 v2, 0x8000, v2
	v_and_b32_e32 v1, 0xfc00, v1
	v_or3_b32 v0, v2, v1, v0
	buffer_store_dword v0, off, s[0:3], s32 offset:728 ; 4-byte Folded Spill
.LBB287_1320:                           ;   in Loop: Header=BB287_15 Depth=1
	s_or_b32 exec_lo, exec_lo, s22
.LBB287_1321:                           ;   in Loop: Header=BB287_15 Depth=1
	s_or_b32 exec_lo, exec_lo, s19
.LBB287_1322:                           ;   in Loop: Header=BB287_15 Depth=1
	s_or_b32 exec_lo, exec_lo, s17
	v_mov_b32_e32 v0, 0
	v_mov_b32_e32 v68, 0
	s_mov_b32 s17, exec_lo
	buffer_store_dword v0, off, s[0:3], s32 offset:732 ; 4-byte Folded Spill
	v_cmpx_lt_u32_e32 0xffffff, v29
	s_cbranch_execz .LBB287_1330
; %bb.1323:                             ;   in Loop: Header=BB287_15 Depth=1
	v_lshrrev_b32_e32 v3, 24, v29
	v_bfrev_b32_e32 v68, 1
	s_mov_b32 s19, exec_lo
	v_cmpx_ne_u32_e32 0x80, v3
	s_cbranch_execz .LBB287_1329
; %bb.1324:                             ;   in Loop: Header=BB287_15 Depth=1
	v_and_b32_e32 v5, 0x7f, v3
	v_mov_b32_e32 v68, 0x7c010000
	s_mov_b32 s22, exec_lo
	v_cmpx_ne_u32_e32 0x7f, v5
	s_cbranch_execz .LBB287_1328
; %bb.1325:                             ;   in Loop: Header=BB287_15 Depth=1
	v_and_b32_e32 v0, 7, v3
	v_lshrrev_b32_e32 v1, 3, v5
	s_mov_b32 s23, exec_lo
	v_cmpx_gt_u32_e32 8, v5
; %bb.1326:                             ;   in Loop: Header=BB287_15 Depth=1
	v_ffbh_u32_e32 v0, v0
	v_min_u32_e32 v5, 32, v0
	v_subrev_nc_u32_e32 v0, 28, v5
	v_lshlrev_b64 v[0:1], v0, v[3:4]
	v_sub_nc_u32_e32 v1, 29, v5
	v_and_b32_e32 v0, 7, v0
; %bb.1327:                             ;   in Loop: Header=BB287_15 Depth=1
	s_or_b32 exec_lo, exec_lo, s23
	v_lshlrev_b32_e32 v3, 8, v3
	v_lshl_add_u32 v1, v1, 10, 0x2000
	v_lshlrev_b32_e32 v0, 23, v0
	v_and_or_b32 v1, 0x8000, v3, v1
	v_lshl_or_b32 v68, v1, 16, v0
.LBB287_1328:                           ;   in Loop: Header=BB287_15 Depth=1
	s_or_b32 exec_lo, exec_lo, s22
.LBB287_1329:                           ;   in Loop: Header=BB287_15 Depth=1
	s_or_b32 exec_lo, exec_lo, s19
.LBB287_1330:                           ;   in Loop: Header=BB287_15 Depth=1
	s_or_b32 exec_lo, exec_lo, s17
	v_mov_b32_e32 v3, v30
	v_cmp_ne_u16_sdwa s5, v30, v4 src0_sel:BYTE_0 src1_sel:DWORD
	s_and_saveexec_b32 s17, s5
	s_cbranch_execz .LBB287_1338
; %bb.1331:                             ;   in Loop: Header=BB287_15 Depth=1
	v_cmp_ne_u16_sdwa s5, v30, v64 src0_sel:BYTE_0 src1_sel:DWORD
	v_mov_b32_e32 v0, 0x8000
	buffer_store_dword v0, off, s[0:3], s32 offset:732 ; 4-byte Folded Spill
	s_and_saveexec_b32 s19, s5
	s_cbranch_execz .LBB287_1337
; %bb.1332:                             ;   in Loop: Header=BB287_15 Depth=1
	v_and_b32_e32 v5, 0x7f, v30
	v_mov_b32_e32 v0, 0x7c01
	s_mov_b32 s22, exec_lo
	buffer_store_dword v0, off, s[0:3], s32 offset:732 ; 4-byte Folded Spill
	v_cmpx_ne_u32_e32 0x7f, v5
	s_cbranch_execz .LBB287_1336
; %bb.1333:                             ;   in Loop: Header=BB287_15 Depth=1
	v_and_b32_e32 v0, 7, v30
	v_lshrrev_b32_e32 v1, 3, v5
	s_mov_b32 s23, exec_lo
	v_cmpx_gt_u32_e32 8, v5
; %bb.1334:                             ;   in Loop: Header=BB287_15 Depth=1
	v_ffbh_u32_e32 v0, v0
	v_min_u32_e32 v2, 32, v0
	v_subrev_nc_u32_e32 v0, 28, v2
	v_lshlrev_b64 v[0:1], v0, v[3:4]
	v_sub_nc_u32_e32 v1, 29, v2
	v_and_b32_e32 v0, 7, v0
; %bb.1335:                             ;   in Loop: Header=BB287_15 Depth=1
	s_or_b32 exec_lo, exec_lo, s23
	v_lshlrev_b32_e32 v2, 8, v30
	v_lshl_add_u32 v1, v1, 10, 0x2000
	v_lshlrev_b32_e32 v0, 7, v0
	v_and_b32_e32 v2, 0x8000, v2
	v_and_b32_e32 v1, 0xfc00, v1
	v_or3_b32 v0, v2, v1, v0
	buffer_store_dword v0, off, s[0:3], s32 offset:732 ; 4-byte Folded Spill
.LBB287_1336:                           ;   in Loop: Header=BB287_15 Depth=1
	s_or_b32 exec_lo, exec_lo, s22
.LBB287_1337:                           ;   in Loop: Header=BB287_15 Depth=1
	s_or_b32 exec_lo, exec_lo, s19
.LBB287_1338:                           ;   in Loop: Header=BB287_15 Depth=1
	s_or_b32 exec_lo, exec_lo, s17
	v_lshrrev_b16 v3, 8, v3
	v_mov_b32_e32 v0, 0
	v_mov_b32_e32 v100, 0
	s_mov_b32 s17, exec_lo
	buffer_store_dword v0, off, s[0:3], s32 offset:736 ; 4-byte Folded Spill
	v_cmpx_ne_u16_e32 0, v3
	s_cbranch_execz .LBB287_1346
; %bb.1339:                             ;   in Loop: Header=BB287_15 Depth=1
	v_bfrev_b32_e32 v100, 1
	s_mov_b32 s19, exec_lo
	v_cmpx_ne_u16_e32 0x80, v3
	s_cbranch_execz .LBB287_1345
; %bb.1340:                             ;   in Loop: Header=BB287_15 Depth=1
	v_mov_b32_e32 v0, 0x7f
	v_mov_b32_e32 v100, 0x7c010000
	s_mov_b32 s22, exec_lo
	v_and_b32_sdwa v5, v3, v0 dst_sel:DWORD dst_unused:UNUSED_PAD src0_sel:WORD_0 src1_sel:DWORD
	v_cmpx_ne_u32_e32 0x7f, v5
	s_cbranch_execz .LBB287_1344
; %bb.1341:                             ;   in Loop: Header=BB287_15 Depth=1
	v_mov_b32_e32 v0, 7
	v_lshrrev_b32_e32 v1, 3, v5
	s_mov_b32 s23, exec_lo
	v_and_b32_sdwa v0, v3, v0 dst_sel:DWORD dst_unused:UNUSED_PAD src0_sel:WORD_0 src1_sel:DWORD
	v_cmpx_gt_u32_e32 8, v5
; %bb.1342:                             ;   in Loop: Header=BB287_15 Depth=1
	v_ffbh_u32_e32 v0, v0
	v_min_u32_e32 v5, 32, v0
	v_subrev_nc_u32_e32 v0, 28, v5
	v_lshlrev_b64 v[0:1], v0, v[3:4]
	v_sub_nc_u32_e32 v1, 29, v5
	v_and_b32_e32 v0, 7, v0
; %bb.1343:                             ;   in Loop: Header=BB287_15 Depth=1
	s_or_b32 exec_lo, exec_lo, s23
	v_mov_b32_e32 v5, 8
	v_lshl_add_u32 v1, v1, 10, 0x2000
	v_lshlrev_b32_e32 v0, 23, v0
	v_lshlrev_b32_sdwa v3, v5, v3 dst_sel:DWORD dst_unused:UNUSED_PAD src0_sel:DWORD src1_sel:WORD_0
	v_and_or_b32 v1, 0x8000, v3, v1
	v_lshl_or_b32 v100, v1, 16, v0
.LBB287_1344:                           ;   in Loop: Header=BB287_15 Depth=1
	s_or_b32 exec_lo, exec_lo, s22
.LBB287_1345:                           ;   in Loop: Header=BB287_15 Depth=1
	s_or_b32 exec_lo, exec_lo, s19
.LBB287_1346:                           ;   in Loop: Header=BB287_15 Depth=1
	s_or_b32 exec_lo, exec_lo, s17
	v_lshrrev_b32_e32 v3, 16, v30
	v_cmp_ne_u16_sdwa s5, v3, v4 src0_sel:BYTE_0 src1_sel:DWORD
	s_and_saveexec_b32 s17, s5
	s_cbranch_execz .LBB287_1354
; %bb.1347:                             ;   in Loop: Header=BB287_15 Depth=1
	v_cmp_ne_u16_sdwa s5, v3, v64 src0_sel:BYTE_0 src1_sel:DWORD
	v_mov_b32_e32 v0, 0x8000
	buffer_store_dword v0, off, s[0:3], s32 offset:736 ; 4-byte Folded Spill
	s_and_saveexec_b32 s19, s5
	s_cbranch_execz .LBB287_1353
; %bb.1348:                             ;   in Loop: Header=BB287_15 Depth=1
	v_bfe_u32 v5, v30, 16, 7
	v_mov_b32_e32 v0, 0x7c01
	s_mov_b32 s22, exec_lo
	buffer_store_dword v0, off, s[0:3], s32 offset:736 ; 4-byte Folded Spill
	v_cmpx_ne_u32_e32 0x7f, v5
	s_cbranch_execz .LBB287_1352
; %bb.1349:                             ;   in Loop: Header=BB287_15 Depth=1
	v_and_b32_e32 v0, 7, v3
	v_lshrrev_b32_e32 v1, 3, v5
	s_mov_b32 s23, exec_lo
	v_cmpx_gt_u32_e32 8, v5
; %bb.1350:                             ;   in Loop: Header=BB287_15 Depth=1
	v_ffbh_u32_e32 v0, v0
	v_min_u32_e32 v5, 32, v0
	v_subrev_nc_u32_e32 v0, 28, v5
	v_lshlrev_b64 v[0:1], v0, v[3:4]
	v_sub_nc_u32_e32 v1, 29, v5
	v_and_b32_e32 v0, 7, v0
; %bb.1351:                             ;   in Loop: Header=BB287_15 Depth=1
	s_or_b32 exec_lo, exec_lo, s23
	v_lshlrev_b32_e32 v3, 8, v3
	v_lshl_add_u32 v1, v1, 10, 0x2000
	v_lshlrev_b32_e32 v0, 7, v0
	v_and_b32_e32 v3, 0x8000, v3
	v_and_b32_e32 v1, 0xfc00, v1
	v_or3_b32 v0, v3, v1, v0
	buffer_store_dword v0, off, s[0:3], s32 offset:736 ; 4-byte Folded Spill
.LBB287_1352:                           ;   in Loop: Header=BB287_15 Depth=1
	s_or_b32 exec_lo, exec_lo, s22
.LBB287_1353:                           ;   in Loop: Header=BB287_15 Depth=1
	s_or_b32 exec_lo, exec_lo, s19
.LBB287_1354:                           ;   in Loop: Header=BB287_15 Depth=1
	s_or_b32 exec_lo, exec_lo, s17
	v_mov_b32_e32 v48, 0
	v_mov_b32_e32 v60, 0
	s_mov_b32 s17, exec_lo
	v_cmpx_lt_u64_e64 s[8:9], v[29:30]
	s_cbranch_execz .LBB287_1362
; %bb.1355:                             ;   in Loop: Header=BB287_15 Depth=1
	v_lshrrev_b32_e32 v3, 24, v30
	v_bfrev_b32_e32 v60, 1
	s_mov_b32 s19, exec_lo
	v_cmpx_ne_u32_e32 0x80, v3
	s_cbranch_execz .LBB287_1361
; %bb.1356:                             ;   in Loop: Header=BB287_15 Depth=1
	v_and_b32_e32 v5, 0x7f, v3
	v_mov_b32_e32 v60, 0x7c010000
	s_mov_b32 s22, exec_lo
	v_cmpx_ne_u32_e32 0x7f, v5
	s_cbranch_execz .LBB287_1360
; %bb.1357:                             ;   in Loop: Header=BB287_15 Depth=1
	v_and_b32_e32 v0, 7, v3
	v_lshrrev_b32_e32 v1, 3, v5
	s_mov_b32 s23, exec_lo
	v_cmpx_gt_u32_e32 8, v5
; %bb.1358:                             ;   in Loop: Header=BB287_15 Depth=1
	v_ffbh_u32_e32 v0, v0
	v_min_u32_e32 v5, 32, v0
	v_subrev_nc_u32_e32 v0, 28, v5
	v_lshlrev_b64 v[0:1], v0, v[3:4]
	v_sub_nc_u32_e32 v1, 29, v5
	v_and_b32_e32 v0, 7, v0
; %bb.1359:                             ;   in Loop: Header=BB287_15 Depth=1
	s_or_b32 exec_lo, exec_lo, s23
	v_lshlrev_b32_e32 v3, 8, v3
	v_lshl_add_u32 v1, v1, 10, 0x2000
	v_lshlrev_b32_e32 v0, 23, v0
	v_and_or_b32 v1, 0x8000, v3, v1
	v_lshl_or_b32 v60, v1, 16, v0
.LBB287_1360:                           ;   in Loop: Header=BB287_15 Depth=1
	s_or_b32 exec_lo, exec_lo, s22
.LBB287_1361:                           ;   in Loop: Header=BB287_15 Depth=1
	s_or_b32 exec_lo, exec_lo, s19
.LBB287_1362:                           ;   in Loop: Header=BB287_15 Depth=1
	s_or_b32 exec_lo, exec_lo, s17
	flat_load_dwordx2 v[29:30], v[27:28] offset:1032
	s_waitcnt vmcnt(0) lgkmcnt(0)
	v_cmp_ne_u16_sdwa s5, v29, v4 src0_sel:BYTE_0 src1_sel:DWORD
	s_and_saveexec_b32 s17, s5
	s_cbranch_execz .LBB287_1370
; %bb.1363:                             ;   in Loop: Header=BB287_15 Depth=1
	v_cmp_ne_u16_sdwa s5, v29, v64 src0_sel:BYTE_0 src1_sel:DWORD
	v_mov_b32_e32 v48, 0x8000
	s_and_saveexec_b32 s19, s5
	s_cbranch_execz .LBB287_1369
; %bb.1364:                             ;   in Loop: Header=BB287_15 Depth=1
	v_and_b32_e32 v3, 0x7f, v29
	v_mov_b32_e32 v48, 0x7c01
	s_mov_b32 s22, exec_lo
	v_cmpx_ne_u32_e32 0x7f, v3
	s_cbranch_execz .LBB287_1368
; %bb.1365:                             ;   in Loop: Header=BB287_15 Depth=1
	v_and_b32_e32 v0, 7, v29
	v_lshrrev_b32_e32 v1, 3, v3
	s_mov_b32 s23, exec_lo
	v_cmpx_gt_u32_e32 8, v3
; %bb.1366:                             ;   in Loop: Header=BB287_15 Depth=1
	v_ffbh_u32_e32 v0, v0
	v_min_u32_e32 v3, 32, v0
	v_subrev_nc_u32_e32 v0, 28, v3
	v_lshlrev_b64 v[0:1], v0, v[29:30]
	v_sub_nc_u32_e32 v1, 29, v3
	v_and_b32_e32 v0, 7, v0
; %bb.1367:                             ;   in Loop: Header=BB287_15 Depth=1
	s_or_b32 exec_lo, exec_lo, s23
	v_lshlrev_b32_e32 v3, 8, v29
	v_lshl_add_u32 v1, v1, 10, 0x2000
	v_lshlrev_b32_e32 v0, 7, v0
	v_and_b32_e32 v3, 0x8000, v3
	v_and_b32_e32 v1, 0xfc00, v1
	v_or3_b32 v48, v3, v1, v0
.LBB287_1368:                           ;   in Loop: Header=BB287_15 Depth=1
	s_or_b32 exec_lo, exec_lo, s22
.LBB287_1369:                           ;   in Loop: Header=BB287_15 Depth=1
	s_or_b32 exec_lo, exec_lo, s19
.LBB287_1370:                           ;   in Loop: Header=BB287_15 Depth=1
	s_or_b32 exec_lo, exec_lo, s17
	v_lshrrev_b16 v3, 8, v29
	v_mov_b32_e32 v106, 0
	v_mov_b32_e32 v41, 0
	s_mov_b32 s17, exec_lo
	v_cmpx_ne_u16_e32 0, v3
	s_cbranch_execz .LBB287_1378
; %bb.1371:                             ;   in Loop: Header=BB287_15 Depth=1
	v_bfrev_b32_e32 v41, 1
	s_mov_b32 s19, exec_lo
	v_cmpx_ne_u16_e32 0x80, v3
	s_cbranch_execz .LBB287_1377
; %bb.1372:                             ;   in Loop: Header=BB287_15 Depth=1
	v_mov_b32_e32 v0, 0x7f
	v_mov_b32_e32 v41, 0x7c010000
	s_mov_b32 s22, exec_lo
	v_and_b32_sdwa v5, v3, v0 dst_sel:DWORD dst_unused:UNUSED_PAD src0_sel:WORD_0 src1_sel:DWORD
	v_cmpx_ne_u32_e32 0x7f, v5
	s_cbranch_execz .LBB287_1376
; %bb.1373:                             ;   in Loop: Header=BB287_15 Depth=1
	v_mov_b32_e32 v0, 7
	v_lshrrev_b32_e32 v1, 3, v5
	s_mov_b32 s23, exec_lo
	v_and_b32_sdwa v0, v3, v0 dst_sel:DWORD dst_unused:UNUSED_PAD src0_sel:WORD_0 src1_sel:DWORD
	v_cmpx_gt_u32_e32 8, v5
; %bb.1374:                             ;   in Loop: Header=BB287_15 Depth=1
	v_ffbh_u32_e32 v0, v0
	v_min_u32_e32 v5, 32, v0
	v_subrev_nc_u32_e32 v0, 28, v5
	v_lshlrev_b64 v[0:1], v0, v[3:4]
	v_sub_nc_u32_e32 v1, 29, v5
	v_and_b32_e32 v0, 7, v0
; %bb.1375:                             ;   in Loop: Header=BB287_15 Depth=1
	s_or_b32 exec_lo, exec_lo, s23
	v_mov_b32_e32 v5, 8
	v_lshl_add_u32 v1, v1, 10, 0x2000
	v_lshlrev_b32_e32 v0, 23, v0
	v_lshlrev_b32_sdwa v3, v5, v3 dst_sel:DWORD dst_unused:UNUSED_PAD src0_sel:DWORD src1_sel:WORD_0
	v_and_or_b32 v1, 0x8000, v3, v1
	v_lshl_or_b32 v41, v1, 16, v0
.LBB287_1376:                           ;   in Loop: Header=BB287_15 Depth=1
	s_or_b32 exec_lo, exec_lo, s22
.LBB287_1377:                           ;   in Loop: Header=BB287_15 Depth=1
	s_or_b32 exec_lo, exec_lo, s19
.LBB287_1378:                           ;   in Loop: Header=BB287_15 Depth=1
	s_or_b32 exec_lo, exec_lo, s17
	v_lshrrev_b32_e32 v3, 16, v29
	v_cmp_ne_u16_sdwa s5, v3, v4 src0_sel:BYTE_0 src1_sel:DWORD
	s_and_saveexec_b32 s17, s5
	s_cbranch_execz .LBB287_1386
; %bb.1379:                             ;   in Loop: Header=BB287_15 Depth=1
	v_cmp_ne_u16_sdwa s5, v3, v64 src0_sel:BYTE_0 src1_sel:DWORD
	v_mov_b32_e32 v106, 0x8000
	s_and_saveexec_b32 s19, s5
	s_cbranch_execz .LBB287_1385
; %bb.1380:                             ;   in Loop: Header=BB287_15 Depth=1
	v_bfe_u32 v5, v29, 16, 7
	v_mov_b32_e32 v106, 0x7c01
	s_mov_b32 s22, exec_lo
	v_cmpx_ne_u32_e32 0x7f, v5
	s_cbranch_execz .LBB287_1384
; %bb.1381:                             ;   in Loop: Header=BB287_15 Depth=1
	v_and_b32_e32 v0, 7, v3
	v_lshrrev_b32_e32 v1, 3, v5
	s_mov_b32 s23, exec_lo
	v_cmpx_gt_u32_e32 8, v5
; %bb.1382:                             ;   in Loop: Header=BB287_15 Depth=1
	v_ffbh_u32_e32 v0, v0
	v_min_u32_e32 v5, 32, v0
	v_subrev_nc_u32_e32 v0, 28, v5
	v_lshlrev_b64 v[0:1], v0, v[3:4]
	v_sub_nc_u32_e32 v1, 29, v5
	v_and_b32_e32 v0, 7, v0
; %bb.1383:                             ;   in Loop: Header=BB287_15 Depth=1
	s_or_b32 exec_lo, exec_lo, s23
	v_lshlrev_b32_e32 v3, 8, v3
	v_lshl_add_u32 v1, v1, 10, 0x2000
	v_lshlrev_b32_e32 v0, 7, v0
	v_and_b32_e32 v3, 0x8000, v3
	v_and_b32_e32 v1, 0xfc00, v1
	v_or3_b32 v106, v3, v1, v0
.LBB287_1384:                           ;   in Loop: Header=BB287_15 Depth=1
	s_or_b32 exec_lo, exec_lo, s22
.LBB287_1385:                           ;   in Loop: Header=BB287_15 Depth=1
	s_or_b32 exec_lo, exec_lo, s19
.LBB287_1386:                           ;   in Loop: Header=BB287_15 Depth=1
	s_or_b32 exec_lo, exec_lo, s17
	v_mov_b32_e32 v5, 0
	v_mov_b32_e32 v63, 0
	s_mov_b32 s17, exec_lo
	v_cmpx_lt_u32_e32 0xffffff, v29
	s_cbranch_execz .LBB287_1394
; %bb.1387:                             ;   in Loop: Header=BB287_15 Depth=1
	v_lshrrev_b32_e32 v3, 24, v29
	v_bfrev_b32_e32 v63, 1
	s_mov_b32 s19, exec_lo
	v_cmpx_ne_u32_e32 0x80, v3
	s_cbranch_execz .LBB287_1393
; %bb.1388:                             ;   in Loop: Header=BB287_15 Depth=1
	v_and_b32_e32 v6, 0x7f, v3
	v_mov_b32_e32 v63, 0x7c010000
	s_mov_b32 s22, exec_lo
	v_cmpx_ne_u32_e32 0x7f, v6
	s_cbranch_execz .LBB287_1392
; %bb.1389:                             ;   in Loop: Header=BB287_15 Depth=1
	v_and_b32_e32 v0, 7, v3
	v_lshrrev_b32_e32 v1, 3, v6
	s_mov_b32 s23, exec_lo
	v_cmpx_gt_u32_e32 8, v6
; %bb.1390:                             ;   in Loop: Header=BB287_15 Depth=1
	v_ffbh_u32_e32 v0, v0
	v_min_u32_e32 v6, 32, v0
	v_subrev_nc_u32_e32 v0, 28, v6
	v_lshlrev_b64 v[0:1], v0, v[3:4]
	v_sub_nc_u32_e32 v1, 29, v6
	v_and_b32_e32 v0, 7, v0
; %bb.1391:                             ;   in Loop: Header=BB287_15 Depth=1
	s_or_b32 exec_lo, exec_lo, s23
	v_lshlrev_b32_e32 v3, 8, v3
	v_lshl_add_u32 v1, v1, 10, 0x2000
	v_lshlrev_b32_e32 v0, 23, v0
	v_and_or_b32 v1, 0x8000, v3, v1
	v_lshl_or_b32 v63, v1, 16, v0
.LBB287_1392:                           ;   in Loop: Header=BB287_15 Depth=1
	s_or_b32 exec_lo, exec_lo, s22
.LBB287_1393:                           ;   in Loop: Header=BB287_15 Depth=1
	s_or_b32 exec_lo, exec_lo, s19
.LBB287_1394:                           ;   in Loop: Header=BB287_15 Depth=1
	s_or_b32 exec_lo, exec_lo, s17
	v_mov_b32_e32 v3, v30
	v_cmp_ne_u16_sdwa s5, v30, v4 src0_sel:BYTE_0 src1_sel:DWORD
	s_and_saveexec_b32 s17, s5
	s_cbranch_execz .LBB287_1402
; %bb.1395:                             ;   in Loop: Header=BB287_15 Depth=1
	v_cmp_ne_u16_sdwa s5, v30, v64 src0_sel:BYTE_0 src1_sel:DWORD
	v_mov_b32_e32 v5, 0x8000
	s_and_saveexec_b32 s19, s5
	s_cbranch_execz .LBB287_1401
; %bb.1396:                             ;   in Loop: Header=BB287_15 Depth=1
	v_and_b32_e32 v6, 0x7f, v30
	v_mov_b32_e32 v5, 0x7c01
	s_mov_b32 s22, exec_lo
	v_cmpx_ne_u32_e32 0x7f, v6
	s_cbranch_execz .LBB287_1400
; %bb.1397:                             ;   in Loop: Header=BB287_15 Depth=1
	v_and_b32_e32 v0, 7, v30
	v_lshrrev_b32_e32 v1, 3, v6
	s_mov_b32 s23, exec_lo
	v_cmpx_gt_u32_e32 8, v6
; %bb.1398:                             ;   in Loop: Header=BB287_15 Depth=1
	v_ffbh_u32_e32 v0, v0
	v_min_u32_e32 v5, 32, v0
	v_subrev_nc_u32_e32 v0, 28, v5
	v_lshlrev_b64 v[0:1], v0, v[3:4]
	v_sub_nc_u32_e32 v1, 29, v5
	v_and_b32_e32 v0, 7, v0
; %bb.1399:                             ;   in Loop: Header=BB287_15 Depth=1
	s_or_b32 exec_lo, exec_lo, s23
	v_lshlrev_b32_e32 v5, 8, v30
	v_lshl_add_u32 v1, v1, 10, 0x2000
	v_lshlrev_b32_e32 v0, 7, v0
	v_and_b32_e32 v5, 0x8000, v5
	v_and_b32_e32 v1, 0xfc00, v1
	v_or3_b32 v5, v5, v1, v0
.LBB287_1400:                           ;   in Loop: Header=BB287_15 Depth=1
	s_or_b32 exec_lo, exec_lo, s22
.LBB287_1401:                           ;   in Loop: Header=BB287_15 Depth=1
	s_or_b32 exec_lo, exec_lo, s19
.LBB287_1402:                           ;   in Loop: Header=BB287_15 Depth=1
	s_or_b32 exec_lo, exec_lo, s17
	v_lshrrev_b16 v3, 8, v3
	v_mov_b32_e32 v8, 0
	v_mov_b32_e32 v93, 0
	s_mov_b32 s17, exec_lo
	v_cmpx_ne_u16_e32 0, v3
	s_cbranch_execz .LBB287_1410
; %bb.1403:                             ;   in Loop: Header=BB287_15 Depth=1
	v_bfrev_b32_e32 v93, 1
	s_mov_b32 s19, exec_lo
	v_cmpx_ne_u16_e32 0x80, v3
	s_cbranch_execz .LBB287_1409
; %bb.1404:                             ;   in Loop: Header=BB287_15 Depth=1
	v_mov_b32_e32 v0, 0x7f
	v_mov_b32_e32 v93, 0x7c010000
	s_mov_b32 s22, exec_lo
	v_and_b32_sdwa v6, v3, v0 dst_sel:DWORD dst_unused:UNUSED_PAD src0_sel:WORD_0 src1_sel:DWORD
	v_cmpx_ne_u32_e32 0x7f, v6
	s_cbranch_execz .LBB287_1408
; %bb.1405:                             ;   in Loop: Header=BB287_15 Depth=1
	v_mov_b32_e32 v0, 7
	v_lshrrev_b32_e32 v1, 3, v6
	s_mov_b32 s23, exec_lo
	v_and_b32_sdwa v0, v3, v0 dst_sel:DWORD dst_unused:UNUSED_PAD src0_sel:WORD_0 src1_sel:DWORD
	v_cmpx_gt_u32_e32 8, v6
; %bb.1406:                             ;   in Loop: Header=BB287_15 Depth=1
	v_ffbh_u32_e32 v0, v0
	v_min_u32_e32 v6, 32, v0
	v_subrev_nc_u32_e32 v0, 28, v6
	v_lshlrev_b64 v[0:1], v0, v[3:4]
	v_sub_nc_u32_e32 v1, 29, v6
	v_and_b32_e32 v0, 7, v0
; %bb.1407:                             ;   in Loop: Header=BB287_15 Depth=1
	s_or_b32 exec_lo, exec_lo, s23
	v_mov_b32_e32 v6, 8
	v_lshl_add_u32 v1, v1, 10, 0x2000
	v_lshlrev_b32_e32 v0, 23, v0
	v_lshlrev_b32_sdwa v3, v6, v3 dst_sel:DWORD dst_unused:UNUSED_PAD src0_sel:DWORD src1_sel:WORD_0
	v_and_or_b32 v1, 0x8000, v3, v1
	v_lshl_or_b32 v93, v1, 16, v0
.LBB287_1408:                           ;   in Loop: Header=BB287_15 Depth=1
	s_or_b32 exec_lo, exec_lo, s22
.LBB287_1409:                           ;   in Loop: Header=BB287_15 Depth=1
	s_or_b32 exec_lo, exec_lo, s19
.LBB287_1410:                           ;   in Loop: Header=BB287_15 Depth=1
	s_or_b32 exec_lo, exec_lo, s17
	v_lshrrev_b32_e32 v3, 16, v30
	v_cmp_ne_u16_sdwa s5, v3, v4 src0_sel:BYTE_0 src1_sel:DWORD
	s_and_saveexec_b32 s17, s5
	s_cbranch_execz .LBB287_1418
; %bb.1411:                             ;   in Loop: Header=BB287_15 Depth=1
	v_cmp_ne_u16_sdwa s5, v3, v64 src0_sel:BYTE_0 src1_sel:DWORD
	v_mov_b32_e32 v8, 0x8000
	s_and_saveexec_b32 s19, s5
	s_cbranch_execz .LBB287_1417
; %bb.1412:                             ;   in Loop: Header=BB287_15 Depth=1
	v_bfe_u32 v6, v30, 16, 7
	v_mov_b32_e32 v8, 0x7c01
	s_mov_b32 s22, exec_lo
	v_cmpx_ne_u32_e32 0x7f, v6
	s_cbranch_execz .LBB287_1416
; %bb.1413:                             ;   in Loop: Header=BB287_15 Depth=1
	v_and_b32_e32 v0, 7, v3
	v_lshrrev_b32_e32 v1, 3, v6
	s_mov_b32 s23, exec_lo
	v_cmpx_gt_u32_e32 8, v6
; %bb.1414:                             ;   in Loop: Header=BB287_15 Depth=1
	v_ffbh_u32_e32 v0, v0
	v_min_u32_e32 v6, 32, v0
	v_subrev_nc_u32_e32 v0, 28, v6
	v_lshlrev_b64 v[0:1], v0, v[3:4]
	v_sub_nc_u32_e32 v1, 29, v6
	v_and_b32_e32 v0, 7, v0
; %bb.1415:                             ;   in Loop: Header=BB287_15 Depth=1
	s_or_b32 exec_lo, exec_lo, s23
	v_lshlrev_b32_e32 v3, 8, v3
	v_lshl_add_u32 v1, v1, 10, 0x2000
	v_lshlrev_b32_e32 v0, 7, v0
	v_and_b32_e32 v3, 0x8000, v3
	v_and_b32_e32 v1, 0xfc00, v1
	v_or3_b32 v8, v3, v1, v0
.LBB287_1416:                           ;   in Loop: Header=BB287_15 Depth=1
	s_or_b32 exec_lo, exec_lo, s22
.LBB287_1417:                           ;   in Loop: Header=BB287_15 Depth=1
	s_or_b32 exec_lo, exec_lo, s19
.LBB287_1418:                           ;   in Loop: Header=BB287_15 Depth=1
	s_or_b32 exec_lo, exec_lo, s17
	v_mov_b32_e32 v20, 0
	v_mov_b32_e32 v15, 0
	s_mov_b32 s17, exec_lo
	v_cmpx_lt_u64_e64 s[8:9], v[29:30]
	s_cbranch_execz .LBB287_1426
; %bb.1419:                             ;   in Loop: Header=BB287_15 Depth=1
	v_lshrrev_b32_e32 v3, 24, v30
	v_bfrev_b32_e32 v15, 1
	s_mov_b32 s19, exec_lo
	v_cmpx_ne_u32_e32 0x80, v3
	s_cbranch_execz .LBB287_1425
; %bb.1420:                             ;   in Loop: Header=BB287_15 Depth=1
	v_and_b32_e32 v6, 0x7f, v3
	v_mov_b32_e32 v15, 0x7c010000
	s_mov_b32 s22, exec_lo
	v_cmpx_ne_u32_e32 0x7f, v6
	s_cbranch_execz .LBB287_1424
; %bb.1421:                             ;   in Loop: Header=BB287_15 Depth=1
	v_and_b32_e32 v0, 7, v3
	v_lshrrev_b32_e32 v1, 3, v6
	s_mov_b32 s23, exec_lo
	v_cmpx_gt_u32_e32 8, v6
; %bb.1422:                             ;   in Loop: Header=BB287_15 Depth=1
	v_ffbh_u32_e32 v0, v0
	v_min_u32_e32 v6, 32, v0
	v_subrev_nc_u32_e32 v0, 28, v6
	v_lshlrev_b64 v[0:1], v0, v[3:4]
	v_sub_nc_u32_e32 v1, 29, v6
	v_and_b32_e32 v0, 7, v0
; %bb.1423:                             ;   in Loop: Header=BB287_15 Depth=1
	s_or_b32 exec_lo, exec_lo, s23
	v_lshlrev_b32_e32 v3, 8, v3
	v_lshl_add_u32 v1, v1, 10, 0x2000
	v_lshlrev_b32_e32 v0, 23, v0
	v_and_or_b32 v1, 0x8000, v3, v1
	v_lshl_or_b32 v15, v1, 16, v0
.LBB287_1424:                           ;   in Loop: Header=BB287_15 Depth=1
	s_or_b32 exec_lo, exec_lo, s22
.LBB287_1425:                           ;   in Loop: Header=BB287_15 Depth=1
	s_or_b32 exec_lo, exec_lo, s19
.LBB287_1426:                           ;   in Loop: Header=BB287_15 Depth=1
	s_or_b32 exec_lo, exec_lo, s17
	flat_load_dwordx2 v[29:30], v[27:28] offset:1536
	s_waitcnt vmcnt(0) lgkmcnt(0)
	v_cmp_ne_u16_sdwa s5, v29, v4 src0_sel:BYTE_0 src1_sel:DWORD
	s_and_saveexec_b32 s17, s5
	s_cbranch_execz .LBB287_1434
; %bb.1427:                             ;   in Loop: Header=BB287_15 Depth=1
	v_cmp_ne_u16_sdwa s5, v29, v64 src0_sel:BYTE_0 src1_sel:DWORD
	v_mov_b32_e32 v20, 0x8000
	s_and_saveexec_b32 s19, s5
	s_cbranch_execz .LBB287_1433
; %bb.1428:                             ;   in Loop: Header=BB287_15 Depth=1
	v_and_b32_e32 v3, 0x7f, v29
	v_mov_b32_e32 v20, 0x7c01
	s_mov_b32 s22, exec_lo
	v_cmpx_ne_u32_e32 0x7f, v3
	s_cbranch_execz .LBB287_1432
; %bb.1429:                             ;   in Loop: Header=BB287_15 Depth=1
	v_and_b32_e32 v0, 7, v29
	v_lshrrev_b32_e32 v1, 3, v3
	s_mov_b32 s23, exec_lo
	v_cmpx_gt_u32_e32 8, v3
; %bb.1430:                             ;   in Loop: Header=BB287_15 Depth=1
	v_ffbh_u32_e32 v0, v0
	v_min_u32_e32 v3, 32, v0
	v_subrev_nc_u32_e32 v0, 28, v3
	v_lshlrev_b64 v[0:1], v0, v[29:30]
	v_sub_nc_u32_e32 v1, 29, v3
	v_and_b32_e32 v0, 7, v0
; %bb.1431:                             ;   in Loop: Header=BB287_15 Depth=1
	s_or_b32 exec_lo, exec_lo, s23
	v_lshlrev_b32_e32 v3, 8, v29
	v_lshl_add_u32 v1, v1, 10, 0x2000
	v_lshlrev_b32_e32 v0, 7, v0
	v_and_b32_e32 v3, 0x8000, v3
	v_and_b32_e32 v1, 0xfc00, v1
	v_or3_b32 v20, v3, v1, v0
.LBB287_1432:                           ;   in Loop: Header=BB287_15 Depth=1
	s_or_b32 exec_lo, exec_lo, s22
.LBB287_1433:                           ;   in Loop: Header=BB287_15 Depth=1
	s_or_b32 exec_lo, exec_lo, s19
.LBB287_1434:                           ;   in Loop: Header=BB287_15 Depth=1
	s_or_b32 exec_lo, exec_lo, s17
	v_lshrrev_b16 v3, 8, v29
	v_mov_b32_e32 v32, 0
	v_mov_b32_e32 v73, 0
	s_mov_b32 s17, exec_lo
	v_cmpx_ne_u16_e32 0, v3
	s_cbranch_execz .LBB287_1442
; %bb.1435:                             ;   in Loop: Header=BB287_15 Depth=1
	v_bfrev_b32_e32 v73, 1
	s_mov_b32 s19, exec_lo
	v_cmpx_ne_u16_e32 0x80, v3
	s_cbranch_execz .LBB287_1441
; %bb.1436:                             ;   in Loop: Header=BB287_15 Depth=1
	v_mov_b32_e32 v0, 0x7f
	v_mov_b32_e32 v73, 0x7c010000
	s_mov_b32 s22, exec_lo
	v_and_b32_sdwa v6, v3, v0 dst_sel:DWORD dst_unused:UNUSED_PAD src0_sel:WORD_0 src1_sel:DWORD
	v_cmpx_ne_u32_e32 0x7f, v6
	s_cbranch_execz .LBB287_1440
; %bb.1437:                             ;   in Loop: Header=BB287_15 Depth=1
	v_mov_b32_e32 v0, 7
	v_lshrrev_b32_e32 v1, 3, v6
	s_mov_b32 s23, exec_lo
	v_and_b32_sdwa v0, v3, v0 dst_sel:DWORD dst_unused:UNUSED_PAD src0_sel:WORD_0 src1_sel:DWORD
	v_cmpx_gt_u32_e32 8, v6
; %bb.1438:                             ;   in Loop: Header=BB287_15 Depth=1
	v_ffbh_u32_e32 v0, v0
	v_min_u32_e32 v6, 32, v0
	v_subrev_nc_u32_e32 v0, 28, v6
	v_lshlrev_b64 v[0:1], v0, v[3:4]
	v_sub_nc_u32_e32 v1, 29, v6
	v_and_b32_e32 v0, 7, v0
; %bb.1439:                             ;   in Loop: Header=BB287_15 Depth=1
	s_or_b32 exec_lo, exec_lo, s23
	v_mov_b32_e32 v6, 8
	v_lshl_add_u32 v1, v1, 10, 0x2000
	v_lshlrev_b32_e32 v0, 23, v0
	v_lshlrev_b32_sdwa v3, v6, v3 dst_sel:DWORD dst_unused:UNUSED_PAD src0_sel:DWORD src1_sel:WORD_0
	v_and_or_b32 v1, 0x8000, v3, v1
	v_lshl_or_b32 v73, v1, 16, v0
.LBB287_1440:                           ;   in Loop: Header=BB287_15 Depth=1
	s_or_b32 exec_lo, exec_lo, s22
.LBB287_1441:                           ;   in Loop: Header=BB287_15 Depth=1
	s_or_b32 exec_lo, exec_lo, s19
.LBB287_1442:                           ;   in Loop: Header=BB287_15 Depth=1
	s_or_b32 exec_lo, exec_lo, s17
	v_lshrrev_b32_e32 v3, 16, v29
	v_cmp_ne_u16_sdwa s5, v3, v4 src0_sel:BYTE_0 src1_sel:DWORD
	s_and_saveexec_b32 s17, s5
	s_cbranch_execz .LBB287_1450
; %bb.1443:                             ;   in Loop: Header=BB287_15 Depth=1
	v_cmp_ne_u16_sdwa s5, v3, v64 src0_sel:BYTE_0 src1_sel:DWORD
	v_mov_b32_e32 v32, 0x8000
	s_and_saveexec_b32 s19, s5
	s_cbranch_execz .LBB287_1449
; %bb.1444:                             ;   in Loop: Header=BB287_15 Depth=1
	v_bfe_u32 v6, v29, 16, 7
	v_mov_b32_e32 v32, 0x7c01
	s_mov_b32 s22, exec_lo
	v_cmpx_ne_u32_e32 0x7f, v6
	s_cbranch_execz .LBB287_1448
; %bb.1445:                             ;   in Loop: Header=BB287_15 Depth=1
	v_and_b32_e32 v0, 7, v3
	v_lshrrev_b32_e32 v1, 3, v6
	s_mov_b32 s23, exec_lo
	v_cmpx_gt_u32_e32 8, v6
; %bb.1446:                             ;   in Loop: Header=BB287_15 Depth=1
	v_ffbh_u32_e32 v0, v0
	v_min_u32_e32 v6, 32, v0
	v_subrev_nc_u32_e32 v0, 28, v6
	v_lshlrev_b64 v[0:1], v0, v[3:4]
	v_sub_nc_u32_e32 v1, 29, v6
	v_and_b32_e32 v0, 7, v0
; %bb.1447:                             ;   in Loop: Header=BB287_15 Depth=1
	s_or_b32 exec_lo, exec_lo, s23
	v_lshlrev_b32_e32 v3, 8, v3
	v_lshl_add_u32 v1, v1, 10, 0x2000
	v_lshlrev_b32_e32 v0, 7, v0
	v_and_b32_e32 v3, 0x8000, v3
	v_and_b32_e32 v1, 0xfc00, v1
	v_or3_b32 v32, v3, v1, v0
.LBB287_1448:                           ;   in Loop: Header=BB287_15 Depth=1
	s_or_b32 exec_lo, exec_lo, s22
.LBB287_1449:                           ;   in Loop: Header=BB287_15 Depth=1
	s_or_b32 exec_lo, exec_lo, s19
.LBB287_1450:                           ;   in Loop: Header=BB287_15 Depth=1
	s_or_b32 exec_lo, exec_lo, s17
	v_mov_b32_e32 v39, 0
	v_mov_b32_e32 v36, 0
	s_mov_b32 s17, exec_lo
	v_cmpx_lt_u32_e32 0xffffff, v29
	s_cbranch_execz .LBB287_1458
; %bb.1451:                             ;   in Loop: Header=BB287_15 Depth=1
	v_lshrrev_b32_e32 v3, 24, v29
	v_bfrev_b32_e32 v36, 1
	s_mov_b32 s19, exec_lo
	v_cmpx_ne_u32_e32 0x80, v3
	s_cbranch_execz .LBB287_1457
; %bb.1452:                             ;   in Loop: Header=BB287_15 Depth=1
	v_and_b32_e32 v6, 0x7f, v3
	v_mov_b32_e32 v36, 0x7c010000
	s_mov_b32 s22, exec_lo
	v_cmpx_ne_u32_e32 0x7f, v6
	s_cbranch_execz .LBB287_1456
; %bb.1453:                             ;   in Loop: Header=BB287_15 Depth=1
	v_and_b32_e32 v0, 7, v3
	v_lshrrev_b32_e32 v1, 3, v6
	s_mov_b32 s23, exec_lo
	v_cmpx_gt_u32_e32 8, v6
; %bb.1454:                             ;   in Loop: Header=BB287_15 Depth=1
	v_ffbh_u32_e32 v0, v0
	v_min_u32_e32 v6, 32, v0
	v_subrev_nc_u32_e32 v0, 28, v6
	v_lshlrev_b64 v[0:1], v0, v[3:4]
	v_sub_nc_u32_e32 v1, 29, v6
	v_and_b32_e32 v0, 7, v0
; %bb.1455:                             ;   in Loop: Header=BB287_15 Depth=1
	s_or_b32 exec_lo, exec_lo, s23
	v_lshlrev_b32_e32 v3, 8, v3
	v_lshl_add_u32 v1, v1, 10, 0x2000
	v_lshlrev_b32_e32 v0, 23, v0
	v_and_or_b32 v1, 0x8000, v3, v1
	v_lshl_or_b32 v36, v1, 16, v0
.LBB287_1456:                           ;   in Loop: Header=BB287_15 Depth=1
	s_or_b32 exec_lo, exec_lo, s22
.LBB287_1457:                           ;   in Loop: Header=BB287_15 Depth=1
	s_or_b32 exec_lo, exec_lo, s19
.LBB287_1458:                           ;   in Loop: Header=BB287_15 Depth=1
	s_or_b32 exec_lo, exec_lo, s17
	v_mov_b32_e32 v3, v30
	v_cmp_ne_u16_sdwa s5, v30, v4 src0_sel:BYTE_0 src1_sel:DWORD
	s_and_saveexec_b32 s17, s5
	s_cbranch_execz .LBB287_1466
; %bb.1459:                             ;   in Loop: Header=BB287_15 Depth=1
	v_cmp_ne_u16_sdwa s5, v30, v64 src0_sel:BYTE_0 src1_sel:DWORD
	v_mov_b32_e32 v39, 0x8000
	s_and_saveexec_b32 s19, s5
	s_cbranch_execz .LBB287_1465
; %bb.1460:                             ;   in Loop: Header=BB287_15 Depth=1
	v_and_b32_e32 v6, 0x7f, v30
	v_mov_b32_e32 v39, 0x7c01
	s_mov_b32 s22, exec_lo
	v_cmpx_ne_u32_e32 0x7f, v6
	s_cbranch_execz .LBB287_1464
; %bb.1461:                             ;   in Loop: Header=BB287_15 Depth=1
	v_and_b32_e32 v0, 7, v30
	v_lshrrev_b32_e32 v1, 3, v6
	s_mov_b32 s23, exec_lo
	v_cmpx_gt_u32_e32 8, v6
; %bb.1462:                             ;   in Loop: Header=BB287_15 Depth=1
	v_ffbh_u32_e32 v0, v0
	v_min_u32_e32 v6, 32, v0
	v_subrev_nc_u32_e32 v0, 28, v6
	v_lshlrev_b64 v[0:1], v0, v[3:4]
	v_sub_nc_u32_e32 v1, 29, v6
	v_and_b32_e32 v0, 7, v0
; %bb.1463:                             ;   in Loop: Header=BB287_15 Depth=1
	s_or_b32 exec_lo, exec_lo, s23
	v_lshlrev_b32_e32 v6, 8, v30
	v_lshl_add_u32 v1, v1, 10, 0x2000
	v_lshlrev_b32_e32 v0, 7, v0
	v_and_b32_e32 v6, 0x8000, v6
	v_and_b32_e32 v1, 0xfc00, v1
	v_or3_b32 v39, v6, v1, v0
.LBB287_1464:                           ;   in Loop: Header=BB287_15 Depth=1
	s_or_b32 exec_lo, exec_lo, s22
.LBB287_1465:                           ;   in Loop: Header=BB287_15 Depth=1
	s_or_b32 exec_lo, exec_lo, s19
.LBB287_1466:                           ;   in Loop: Header=BB287_15 Depth=1
	s_or_b32 exec_lo, exec_lo, s17
	v_lshrrev_b16 v3, 8, v3
	v_mov_b32_e32 v34, 0
	v_mov_b32_e32 v79, 0
	s_mov_b32 s17, exec_lo
	v_cmpx_ne_u16_e32 0, v3
	s_cbranch_execz .LBB287_1474
; %bb.1467:                             ;   in Loop: Header=BB287_15 Depth=1
	v_bfrev_b32_e32 v79, 1
	s_mov_b32 s19, exec_lo
	v_cmpx_ne_u16_e32 0x80, v3
	s_cbranch_execz .LBB287_1473
; %bb.1468:                             ;   in Loop: Header=BB287_15 Depth=1
	v_mov_b32_e32 v0, 0x7f
	v_mov_b32_e32 v79, 0x7c010000
	s_mov_b32 s22, exec_lo
	v_and_b32_sdwa v6, v3, v0 dst_sel:DWORD dst_unused:UNUSED_PAD src0_sel:WORD_0 src1_sel:DWORD
	v_cmpx_ne_u32_e32 0x7f, v6
	s_cbranch_execz .LBB287_1472
; %bb.1469:                             ;   in Loop: Header=BB287_15 Depth=1
	v_mov_b32_e32 v0, 7
	v_lshrrev_b32_e32 v1, 3, v6
	s_mov_b32 s23, exec_lo
	v_and_b32_sdwa v0, v3, v0 dst_sel:DWORD dst_unused:UNUSED_PAD src0_sel:WORD_0 src1_sel:DWORD
	v_cmpx_gt_u32_e32 8, v6
; %bb.1470:                             ;   in Loop: Header=BB287_15 Depth=1
	v_ffbh_u32_e32 v0, v0
	v_min_u32_e32 v6, 32, v0
	v_subrev_nc_u32_e32 v0, 28, v6
	v_lshlrev_b64 v[0:1], v0, v[3:4]
	v_sub_nc_u32_e32 v1, 29, v6
	v_and_b32_e32 v0, 7, v0
; %bb.1471:                             ;   in Loop: Header=BB287_15 Depth=1
	s_or_b32 exec_lo, exec_lo, s23
	v_mov_b32_e32 v6, 8
	v_lshl_add_u32 v1, v1, 10, 0x2000
	v_lshlrev_b32_e32 v0, 23, v0
	v_lshlrev_b32_sdwa v3, v6, v3 dst_sel:DWORD dst_unused:UNUSED_PAD src0_sel:DWORD src1_sel:WORD_0
	v_and_or_b32 v1, 0x8000, v3, v1
	v_lshl_or_b32 v79, v1, 16, v0
.LBB287_1472:                           ;   in Loop: Header=BB287_15 Depth=1
	s_or_b32 exec_lo, exec_lo, s22
.LBB287_1473:                           ;   in Loop: Header=BB287_15 Depth=1
	s_or_b32 exec_lo, exec_lo, s19
.LBB287_1474:                           ;   in Loop: Header=BB287_15 Depth=1
	s_or_b32 exec_lo, exec_lo, s17
	v_lshrrev_b32_e32 v3, 16, v30
	v_cmp_ne_u16_sdwa s5, v3, v4 src0_sel:BYTE_0 src1_sel:DWORD
	s_and_saveexec_b32 s17, s5
	s_cbranch_execz .LBB287_1482
; %bb.1475:                             ;   in Loop: Header=BB287_15 Depth=1
	v_cmp_ne_u16_sdwa s5, v3, v64 src0_sel:BYTE_0 src1_sel:DWORD
	v_mov_b32_e32 v34, 0x8000
	s_and_saveexec_b32 s19, s5
	s_cbranch_execz .LBB287_1481
; %bb.1476:                             ;   in Loop: Header=BB287_15 Depth=1
	v_bfe_u32 v6, v30, 16, 7
	v_mov_b32_e32 v34, 0x7c01
	s_mov_b32 s22, exec_lo
	v_cmpx_ne_u32_e32 0x7f, v6
	s_cbranch_execz .LBB287_1480
; %bb.1477:                             ;   in Loop: Header=BB287_15 Depth=1
	v_and_b32_e32 v0, 7, v3
	v_lshrrev_b32_e32 v1, 3, v6
	s_mov_b32 s23, exec_lo
	v_cmpx_gt_u32_e32 8, v6
; %bb.1478:                             ;   in Loop: Header=BB287_15 Depth=1
	v_ffbh_u32_e32 v0, v0
	v_min_u32_e32 v6, 32, v0
	v_subrev_nc_u32_e32 v0, 28, v6
	v_lshlrev_b64 v[0:1], v0, v[3:4]
	v_sub_nc_u32_e32 v1, 29, v6
	v_and_b32_e32 v0, 7, v0
; %bb.1479:                             ;   in Loop: Header=BB287_15 Depth=1
	s_or_b32 exec_lo, exec_lo, s23
	v_lshlrev_b32_e32 v3, 8, v3
	v_lshl_add_u32 v1, v1, 10, 0x2000
	v_lshlrev_b32_e32 v0, 7, v0
	v_and_b32_e32 v3, 0x8000, v3
	v_and_b32_e32 v1, 0xfc00, v1
	v_or3_b32 v34, v3, v1, v0
.LBB287_1480:                           ;   in Loop: Header=BB287_15 Depth=1
	s_or_b32 exec_lo, exec_lo, s22
.LBB287_1481:                           ;   in Loop: Header=BB287_15 Depth=1
	s_or_b32 exec_lo, exec_lo, s19
.LBB287_1482:                           ;   in Loop: Header=BB287_15 Depth=1
	s_or_b32 exec_lo, exec_lo, s17
	v_cmp_lt_u64_e64 s5, s[8:9], v[29:30]
	v_mov_b32_e32 v89, 0
	v_mov_b32_e32 v29, 0
	s_and_saveexec_b32 s17, s5
	s_cbranch_execz .LBB287_1490
; %bb.1483:                             ;   in Loop: Header=BB287_15 Depth=1
	v_lshrrev_b32_e32 v3, 24, v30
	v_bfrev_b32_e32 v29, 1
	s_mov_b32 s19, exec_lo
	v_cmpx_ne_u32_e32 0x80, v3
	s_cbranch_execz .LBB287_1489
; %bb.1484:                             ;   in Loop: Header=BB287_15 Depth=1
	v_and_b32_e32 v6, 0x7f, v3
	v_mov_b32_e32 v29, 0x7c010000
	s_mov_b32 s22, exec_lo
	v_cmpx_ne_u32_e32 0x7f, v6
	s_cbranch_execz .LBB287_1488
; %bb.1485:                             ;   in Loop: Header=BB287_15 Depth=1
	v_and_b32_e32 v0, 7, v3
	v_lshrrev_b32_e32 v1, 3, v6
	s_mov_b32 s23, exec_lo
	v_cmpx_gt_u32_e32 8, v6
; %bb.1486:                             ;   in Loop: Header=BB287_15 Depth=1
	v_ffbh_u32_e32 v0, v0
	v_min_u32_e32 v6, 32, v0
	v_subrev_nc_u32_e32 v0, 28, v6
	v_lshlrev_b64 v[0:1], v0, v[3:4]
	v_sub_nc_u32_e32 v1, 29, v6
	v_and_b32_e32 v0, 7, v0
; %bb.1487:                             ;   in Loop: Header=BB287_15 Depth=1
	s_or_b32 exec_lo, exec_lo, s23
	v_lshlrev_b32_e32 v3, 8, v3
	v_lshl_add_u32 v1, v1, 10, 0x2000
	v_lshlrev_b32_e32 v0, 23, v0
	v_and_or_b32 v1, 0x8000, v3, v1
	v_lshl_or_b32 v29, v1, 16, v0
.LBB287_1488:                           ;   in Loop: Header=BB287_15 Depth=1
	s_or_b32 exec_lo, exec_lo, s22
.LBB287_1489:                           ;   in Loop: Header=BB287_15 Depth=1
	s_or_b32 exec_lo, exec_lo, s19
.LBB287_1490:                           ;   in Loop: Header=BB287_15 Depth=1
	s_or_b32 exec_lo, exec_lo, s17
	flat_load_dwordx2 v[27:28], v[27:28] offset:1544
	s_waitcnt vmcnt(0) lgkmcnt(0)
	v_cmp_ne_u16_sdwa s5, v27, v4 src0_sel:BYTE_0 src1_sel:DWORD
	s_and_saveexec_b32 s17, s5
	s_cbranch_execz .LBB287_1498
; %bb.1491:                             ;   in Loop: Header=BB287_15 Depth=1
	v_cmp_ne_u16_sdwa s5, v27, v64 src0_sel:BYTE_0 src1_sel:DWORD
	v_mov_b32_e32 v89, 0x8000
	s_and_saveexec_b32 s19, s5
	s_cbranch_execz .LBB287_1497
; %bb.1492:                             ;   in Loop: Header=BB287_15 Depth=1
	v_and_b32_e32 v3, 0x7f, v27
	v_mov_b32_e32 v89, 0x7c01
	s_mov_b32 s22, exec_lo
	v_cmpx_ne_u32_e32 0x7f, v3
	s_cbranch_execz .LBB287_1496
; %bb.1493:                             ;   in Loop: Header=BB287_15 Depth=1
	v_and_b32_e32 v0, 7, v27
	v_lshrrev_b32_e32 v1, 3, v3
	s_mov_b32 s23, exec_lo
	v_cmpx_gt_u32_e32 8, v3
; %bb.1494:                             ;   in Loop: Header=BB287_15 Depth=1
	v_ffbh_u32_e32 v0, v0
	v_min_u32_e32 v3, 32, v0
	v_subrev_nc_u32_e32 v0, 28, v3
	v_lshlrev_b64 v[0:1], v0, v[27:28]
	v_sub_nc_u32_e32 v1, 29, v3
	v_and_b32_e32 v0, 7, v0
; %bb.1495:                             ;   in Loop: Header=BB287_15 Depth=1
	s_or_b32 exec_lo, exec_lo, s23
	v_lshlrev_b32_e32 v3, 8, v27
	v_lshl_add_u32 v1, v1, 10, 0x2000
	v_lshlrev_b32_e32 v0, 7, v0
	v_and_b32_e32 v3, 0x8000, v3
	v_and_b32_e32 v1, 0xfc00, v1
	v_or3_b32 v89, v3, v1, v0
.LBB287_1496:                           ;   in Loop: Header=BB287_15 Depth=1
	s_or_b32 exec_lo, exec_lo, s22
.LBB287_1497:                           ;   in Loop: Header=BB287_15 Depth=1
	s_or_b32 exec_lo, exec_lo, s19
.LBB287_1498:                           ;   in Loop: Header=BB287_15 Depth=1
	s_or_b32 exec_lo, exec_lo, s17
	v_lshrrev_b16 v3, 8, v27
	v_mov_b32_e32 v120, 0
	v_mov_b32_e32 v30, 0
	s_mov_b32 s17, exec_lo
	v_cmpx_ne_u16_e32 0, v3
	s_cbranch_execz .LBB287_1506
; %bb.1499:                             ;   in Loop: Header=BB287_15 Depth=1
	v_bfrev_b32_e32 v30, 1
	s_mov_b32 s19, exec_lo
	v_cmpx_ne_u16_e32 0x80, v3
	s_cbranch_execz .LBB287_1505
; %bb.1500:                             ;   in Loop: Header=BB287_15 Depth=1
	v_mov_b32_e32 v0, 0x7f
	v_mov_b32_e32 v30, 0x7c010000
	s_mov_b32 s22, exec_lo
	v_and_b32_sdwa v6, v3, v0 dst_sel:DWORD dst_unused:UNUSED_PAD src0_sel:WORD_0 src1_sel:DWORD
	v_cmpx_ne_u32_e32 0x7f, v6
	s_cbranch_execz .LBB287_1504
; %bb.1501:                             ;   in Loop: Header=BB287_15 Depth=1
	v_mov_b32_e32 v0, 7
	v_lshrrev_b32_e32 v1, 3, v6
	s_mov_b32 s23, exec_lo
	v_and_b32_sdwa v0, v3, v0 dst_sel:DWORD dst_unused:UNUSED_PAD src0_sel:WORD_0 src1_sel:DWORD
	v_cmpx_gt_u32_e32 8, v6
; %bb.1502:                             ;   in Loop: Header=BB287_15 Depth=1
	v_ffbh_u32_e32 v0, v0
	v_min_u32_e32 v6, 32, v0
	v_subrev_nc_u32_e32 v0, 28, v6
	v_lshlrev_b64 v[0:1], v0, v[3:4]
	v_sub_nc_u32_e32 v1, 29, v6
	v_and_b32_e32 v0, 7, v0
; %bb.1503:                             ;   in Loop: Header=BB287_15 Depth=1
	s_or_b32 exec_lo, exec_lo, s23
	v_mov_b32_e32 v6, 8
	v_lshl_add_u32 v1, v1, 10, 0x2000
	v_lshlrev_b32_e32 v0, 23, v0
	v_lshlrev_b32_sdwa v3, v6, v3 dst_sel:DWORD dst_unused:UNUSED_PAD src0_sel:DWORD src1_sel:WORD_0
	v_and_or_b32 v1, 0x8000, v3, v1
	v_lshl_or_b32 v30, v1, 16, v0
.LBB287_1504:                           ;   in Loop: Header=BB287_15 Depth=1
	s_or_b32 exec_lo, exec_lo, s22
.LBB287_1505:                           ;   in Loop: Header=BB287_15 Depth=1
	s_or_b32 exec_lo, exec_lo, s19
.LBB287_1506:                           ;   in Loop: Header=BB287_15 Depth=1
	s_or_b32 exec_lo, exec_lo, s17
	v_lshrrev_b32_e32 v3, 16, v27
	v_cmp_ne_u16_sdwa s5, v3, v4 src0_sel:BYTE_0 src1_sel:DWORD
	s_and_saveexec_b32 s17, s5
	s_cbranch_execz .LBB287_1514
; %bb.1507:                             ;   in Loop: Header=BB287_15 Depth=1
	v_cmp_ne_u16_sdwa s5, v3, v64 src0_sel:BYTE_0 src1_sel:DWORD
	v_mov_b32_e32 v120, 0x8000
	s_and_saveexec_b32 s19, s5
	s_cbranch_execz .LBB287_1513
; %bb.1508:                             ;   in Loop: Header=BB287_15 Depth=1
	v_bfe_u32 v6, v27, 16, 7
	v_mov_b32_e32 v120, 0x7c01
	s_mov_b32 s22, exec_lo
	v_cmpx_ne_u32_e32 0x7f, v6
	s_cbranch_execz .LBB287_1512
; %bb.1509:                             ;   in Loop: Header=BB287_15 Depth=1
	v_and_b32_e32 v0, 7, v3
	v_lshrrev_b32_e32 v1, 3, v6
	s_mov_b32 s23, exec_lo
	v_cmpx_gt_u32_e32 8, v6
; %bb.1510:                             ;   in Loop: Header=BB287_15 Depth=1
	v_ffbh_u32_e32 v0, v0
	v_min_u32_e32 v6, 32, v0
	v_subrev_nc_u32_e32 v0, 28, v6
	v_lshlrev_b64 v[0:1], v0, v[3:4]
	v_sub_nc_u32_e32 v1, 29, v6
	v_and_b32_e32 v0, 7, v0
; %bb.1511:                             ;   in Loop: Header=BB287_15 Depth=1
	s_or_b32 exec_lo, exec_lo, s23
	v_lshlrev_b32_e32 v3, 8, v3
	v_lshl_add_u32 v1, v1, 10, 0x2000
	v_lshlrev_b32_e32 v0, 7, v0
	v_and_b32_e32 v3, 0x8000, v3
	v_and_b32_e32 v1, 0xfc00, v1
	v_or3_b32 v120, v3, v1, v0
.LBB287_1512:                           ;   in Loop: Header=BB287_15 Depth=1
	s_or_b32 exec_lo, exec_lo, s22
.LBB287_1513:                           ;   in Loop: Header=BB287_15 Depth=1
	s_or_b32 exec_lo, exec_lo, s19
.LBB287_1514:                           ;   in Loop: Header=BB287_15 Depth=1
	s_or_b32 exec_lo, exec_lo, s17
	v_mov_b32_e32 v101, 0
	v_mov_b32_e32 v92, 0
	s_mov_b32 s17, exec_lo
	v_cmpx_lt_u32_e32 0xffffff, v27
	s_cbranch_execz .LBB287_1522
; %bb.1515:                             ;   in Loop: Header=BB287_15 Depth=1
	v_lshrrev_b32_e32 v3, 24, v27
	v_bfrev_b32_e32 v92, 1
	s_mov_b32 s19, exec_lo
	v_cmpx_ne_u32_e32 0x80, v3
	s_cbranch_execz .LBB287_1521
; %bb.1516:                             ;   in Loop: Header=BB287_15 Depth=1
	v_and_b32_e32 v6, 0x7f, v3
	v_mov_b32_e32 v92, 0x7c010000
	s_mov_b32 s22, exec_lo
	v_cmpx_ne_u32_e32 0x7f, v6
	s_cbranch_execz .LBB287_1520
; %bb.1517:                             ;   in Loop: Header=BB287_15 Depth=1
	v_and_b32_e32 v0, 7, v3
	v_lshrrev_b32_e32 v1, 3, v6
	s_mov_b32 s23, exec_lo
	v_cmpx_gt_u32_e32 8, v6
; %bb.1518:                             ;   in Loop: Header=BB287_15 Depth=1
	v_ffbh_u32_e32 v0, v0
	v_min_u32_e32 v6, 32, v0
	v_subrev_nc_u32_e32 v0, 28, v6
	v_lshlrev_b64 v[0:1], v0, v[3:4]
	v_sub_nc_u32_e32 v1, 29, v6
	v_and_b32_e32 v0, 7, v0
; %bb.1519:                             ;   in Loop: Header=BB287_15 Depth=1
	s_or_b32 exec_lo, exec_lo, s23
	v_lshlrev_b32_e32 v3, 8, v3
	v_lshl_add_u32 v1, v1, 10, 0x2000
	v_lshlrev_b32_e32 v0, 23, v0
	v_and_or_b32 v1, 0x8000, v3, v1
	v_lshl_or_b32 v92, v1, 16, v0
.LBB287_1520:                           ;   in Loop: Header=BB287_15 Depth=1
	s_or_b32 exec_lo, exec_lo, s22
.LBB287_1521:                           ;   in Loop: Header=BB287_15 Depth=1
	s_or_b32 exec_lo, exec_lo, s19
.LBB287_1522:                           ;   in Loop: Header=BB287_15 Depth=1
	s_or_b32 exec_lo, exec_lo, s17
	v_mov_b32_e32 v3, v28
	v_cmp_ne_u16_sdwa s5, v28, v4 src0_sel:BYTE_0 src1_sel:DWORD
	s_and_saveexec_b32 s17, s5
	s_cbranch_execz .LBB287_1530
; %bb.1523:                             ;   in Loop: Header=BB287_15 Depth=1
	v_cmp_ne_u16_sdwa s5, v28, v64 src0_sel:BYTE_0 src1_sel:DWORD
	v_mov_b32_e32 v101, 0x8000
	s_and_saveexec_b32 s19, s5
	s_cbranch_execz .LBB287_1529
; %bb.1524:                             ;   in Loop: Header=BB287_15 Depth=1
	v_and_b32_e32 v6, 0x7f, v28
	v_mov_b32_e32 v101, 0x7c01
	s_mov_b32 s22, exec_lo
	v_cmpx_ne_u32_e32 0x7f, v6
	s_cbranch_execz .LBB287_1528
; %bb.1525:                             ;   in Loop: Header=BB287_15 Depth=1
	v_and_b32_e32 v0, 7, v28
	v_lshrrev_b32_e32 v1, 3, v6
	s_mov_b32 s23, exec_lo
	v_cmpx_gt_u32_e32 8, v6
; %bb.1526:                             ;   in Loop: Header=BB287_15 Depth=1
	v_ffbh_u32_e32 v0, v0
	v_min_u32_e32 v6, 32, v0
	v_subrev_nc_u32_e32 v0, 28, v6
	v_lshlrev_b64 v[0:1], v0, v[3:4]
	v_sub_nc_u32_e32 v1, 29, v6
	v_and_b32_e32 v0, 7, v0
; %bb.1527:                             ;   in Loop: Header=BB287_15 Depth=1
	s_or_b32 exec_lo, exec_lo, s23
	v_lshlrev_b32_e32 v6, 8, v28
	v_lshl_add_u32 v1, v1, 10, 0x2000
	v_lshlrev_b32_e32 v0, 7, v0
	v_and_b32_e32 v6, 0x8000, v6
	v_and_b32_e32 v1, 0xfc00, v1
	v_or3_b32 v101, v6, v1, v0
.LBB287_1528:                           ;   in Loop: Header=BB287_15 Depth=1
	s_or_b32 exec_lo, exec_lo, s22
.LBB287_1529:                           ;   in Loop: Header=BB287_15 Depth=1
	s_or_b32 exec_lo, exec_lo, s19
.LBB287_1530:                           ;   in Loop: Header=BB287_15 Depth=1
	s_or_b32 exec_lo, exec_lo, s17
	v_lshrrev_b16 v3, 8, v3
	v_mov_b32_e32 v42, 0
	v_mov_b32_e32 v94, 0
	s_mov_b32 s17, exec_lo
	v_cmpx_ne_u16_e32 0, v3
	s_cbranch_execz .LBB287_1538
; %bb.1531:                             ;   in Loop: Header=BB287_15 Depth=1
	v_bfrev_b32_e32 v94, 1
	s_mov_b32 s19, exec_lo
	v_cmpx_ne_u16_e32 0x80, v3
	s_cbranch_execz .LBB287_1537
; %bb.1532:                             ;   in Loop: Header=BB287_15 Depth=1
	v_mov_b32_e32 v0, 0x7f
	v_mov_b32_e32 v94, 0x7c010000
	s_mov_b32 s22, exec_lo
	v_and_b32_sdwa v6, v3, v0 dst_sel:DWORD dst_unused:UNUSED_PAD src0_sel:WORD_0 src1_sel:DWORD
	v_cmpx_ne_u32_e32 0x7f, v6
	s_cbranch_execz .LBB287_1536
; %bb.1533:                             ;   in Loop: Header=BB287_15 Depth=1
	v_mov_b32_e32 v0, 7
	v_lshrrev_b32_e32 v1, 3, v6
	s_mov_b32 s23, exec_lo
	v_and_b32_sdwa v0, v3, v0 dst_sel:DWORD dst_unused:UNUSED_PAD src0_sel:WORD_0 src1_sel:DWORD
	v_cmpx_gt_u32_e32 8, v6
; %bb.1534:                             ;   in Loop: Header=BB287_15 Depth=1
	v_ffbh_u32_e32 v0, v0
	v_min_u32_e32 v6, 32, v0
	v_subrev_nc_u32_e32 v0, 28, v6
	v_lshlrev_b64 v[0:1], v0, v[3:4]
	v_sub_nc_u32_e32 v1, 29, v6
	v_and_b32_e32 v0, 7, v0
; %bb.1535:                             ;   in Loop: Header=BB287_15 Depth=1
	s_or_b32 exec_lo, exec_lo, s23
	v_mov_b32_e32 v6, 8
	v_lshl_add_u32 v1, v1, 10, 0x2000
	v_lshlrev_b32_e32 v0, 23, v0
	v_lshlrev_b32_sdwa v3, v6, v3 dst_sel:DWORD dst_unused:UNUSED_PAD src0_sel:DWORD src1_sel:WORD_0
	v_and_or_b32 v1, 0x8000, v3, v1
	v_lshl_or_b32 v94, v1, 16, v0
.LBB287_1536:                           ;   in Loop: Header=BB287_15 Depth=1
	s_or_b32 exec_lo, exec_lo, s22
.LBB287_1537:                           ;   in Loop: Header=BB287_15 Depth=1
	s_or_b32 exec_lo, exec_lo, s19
.LBB287_1538:                           ;   in Loop: Header=BB287_15 Depth=1
	s_or_b32 exec_lo, exec_lo, s17
	v_lshrrev_b32_e32 v3, 16, v28
	v_cmp_ne_u16_sdwa s5, v3, v4 src0_sel:BYTE_0 src1_sel:DWORD
	s_and_saveexec_b32 s17, s5
	s_cbranch_execz .LBB287_1546
; %bb.1539:                             ;   in Loop: Header=BB287_15 Depth=1
	v_cmp_ne_u16_sdwa s5, v3, v64 src0_sel:BYTE_0 src1_sel:DWORD
	v_mov_b32_e32 v42, 0x8000
	s_and_saveexec_b32 s19, s5
	s_cbranch_execz .LBB287_1545
; %bb.1540:                             ;   in Loop: Header=BB287_15 Depth=1
	v_bfe_u32 v6, v28, 16, 7
	v_mov_b32_e32 v42, 0x7c01
	s_mov_b32 s22, exec_lo
	v_cmpx_ne_u32_e32 0x7f, v6
	s_cbranch_execz .LBB287_1544
; %bb.1541:                             ;   in Loop: Header=BB287_15 Depth=1
	v_and_b32_e32 v0, 7, v3
	v_lshrrev_b32_e32 v1, 3, v6
	s_mov_b32 s23, exec_lo
	v_cmpx_gt_u32_e32 8, v6
; %bb.1542:                             ;   in Loop: Header=BB287_15 Depth=1
	v_ffbh_u32_e32 v0, v0
	v_min_u32_e32 v6, 32, v0
	v_subrev_nc_u32_e32 v0, 28, v6
	v_lshlrev_b64 v[0:1], v0, v[3:4]
	v_sub_nc_u32_e32 v1, 29, v6
	v_and_b32_e32 v0, 7, v0
; %bb.1543:                             ;   in Loop: Header=BB287_15 Depth=1
	s_or_b32 exec_lo, exec_lo, s23
	v_lshlrev_b32_e32 v3, 8, v3
	v_lshl_add_u32 v1, v1, 10, 0x2000
	v_lshlrev_b32_e32 v0, 7, v0
	v_and_b32_e32 v3, 0x8000, v3
	v_and_b32_e32 v1, 0xfc00, v1
	v_or3_b32 v42, v3, v1, v0
.LBB287_1544:                           ;   in Loop: Header=BB287_15 Depth=1
	s_or_b32 exec_lo, exec_lo, s22
.LBB287_1545:                           ;   in Loop: Header=BB287_15 Depth=1
	s_or_b32 exec_lo, exec_lo, s19
.LBB287_1546:                           ;   in Loop: Header=BB287_15 Depth=1
	s_or_b32 exec_lo, exec_lo, s17
	v_mov_b32_e32 v95, 0
	v_mov_b32_e32 v65, 0
	s_mov_b32 s17, exec_lo
	v_cmpx_lt_u64_e64 s[8:9], v[27:28]
	s_cbranch_execz .LBB287_1554
; %bb.1547:                             ;   in Loop: Header=BB287_15 Depth=1
	v_lshrrev_b32_e32 v3, 24, v28
	v_bfrev_b32_e32 v65, 1
	s_mov_b32 s19, exec_lo
	v_cmpx_ne_u32_e32 0x80, v3
	s_cbranch_execz .LBB287_1553
; %bb.1548:                             ;   in Loop: Header=BB287_15 Depth=1
	v_and_b32_e32 v6, 0x7f, v3
	v_mov_b32_e32 v65, 0x7c010000
	s_mov_b32 s22, exec_lo
	v_cmpx_ne_u32_e32 0x7f, v6
	s_cbranch_execz .LBB287_1552
; %bb.1549:                             ;   in Loop: Header=BB287_15 Depth=1
	v_and_b32_e32 v0, 7, v3
	v_lshrrev_b32_e32 v1, 3, v6
	s_mov_b32 s23, exec_lo
	v_cmpx_gt_u32_e32 8, v6
; %bb.1550:                             ;   in Loop: Header=BB287_15 Depth=1
	v_ffbh_u32_e32 v0, v0
	v_min_u32_e32 v6, 32, v0
	v_subrev_nc_u32_e32 v0, 28, v6
	v_lshlrev_b64 v[0:1], v0, v[3:4]
	v_sub_nc_u32_e32 v1, 29, v6
	v_and_b32_e32 v0, 7, v0
; %bb.1551:                             ;   in Loop: Header=BB287_15 Depth=1
	s_or_b32 exec_lo, exec_lo, s23
	v_lshlrev_b32_e32 v3, 8, v3
	v_lshl_add_u32 v1, v1, 10, 0x2000
	v_lshlrev_b32_e32 v0, 23, v0
	v_and_or_b32 v1, 0x8000, v3, v1
	v_lshl_or_b32 v65, v1, 16, v0
.LBB287_1552:                           ;   in Loop: Header=BB287_15 Depth=1
	s_or_b32 exec_lo, exec_lo, s22
.LBB287_1553:                           ;   in Loop: Header=BB287_15 Depth=1
	s_or_b32 exec_lo, exec_lo, s19
.LBB287_1554:                           ;   in Loop: Header=BB287_15 Depth=1
	s_or_b32 exec_lo, exec_lo, s17
	v_add_co_u32 v24, s5, 0x1800, v24
	v_add_co_ci_u32_e64 v25, null, 0, v25, s5
	flat_load_dwordx2 v[27:28], v[24:25]
	s_waitcnt vmcnt(0) lgkmcnt(0)
	v_cmp_ne_u16_sdwa s5, v27, v4 src0_sel:BYTE_0 src1_sel:DWORD
	s_and_saveexec_b32 s17, s5
	s_cbranch_execz .LBB287_1562
; %bb.1555:                             ;   in Loop: Header=BB287_15 Depth=1
	v_cmp_ne_u16_sdwa s5, v27, v64 src0_sel:BYTE_0 src1_sel:DWORD
	v_mov_b32_e32 v95, 0x8000
	s_and_saveexec_b32 s19, s5
	s_cbranch_execz .LBB287_1561
; %bb.1556:                             ;   in Loop: Header=BB287_15 Depth=1
	v_and_b32_e32 v3, 0x7f, v27
	v_mov_b32_e32 v95, 0x7c01
	s_mov_b32 s22, exec_lo
	v_cmpx_ne_u32_e32 0x7f, v3
	s_cbranch_execz .LBB287_1560
; %bb.1557:                             ;   in Loop: Header=BB287_15 Depth=1
	v_and_b32_e32 v0, 7, v27
	v_lshrrev_b32_e32 v1, 3, v3
	s_mov_b32 s23, exec_lo
	v_cmpx_gt_u32_e32 8, v3
; %bb.1558:                             ;   in Loop: Header=BB287_15 Depth=1
	v_ffbh_u32_e32 v0, v0
	v_min_u32_e32 v3, 32, v0
	v_subrev_nc_u32_e32 v0, 28, v3
	v_lshlrev_b64 v[0:1], v0, v[27:28]
	v_sub_nc_u32_e32 v1, 29, v3
	v_and_b32_e32 v0, 7, v0
; %bb.1559:                             ;   in Loop: Header=BB287_15 Depth=1
	s_or_b32 exec_lo, exec_lo, s23
	v_lshlrev_b32_e32 v3, 8, v27
	v_lshl_add_u32 v1, v1, 10, 0x2000
	v_lshlrev_b32_e32 v0, 7, v0
	v_and_b32_e32 v3, 0x8000, v3
	v_and_b32_e32 v1, 0xfc00, v1
	v_or3_b32 v95, v3, v1, v0
.LBB287_1560:                           ;   in Loop: Header=BB287_15 Depth=1
	s_or_b32 exec_lo, exec_lo, s22
.LBB287_1561:                           ;   in Loop: Header=BB287_15 Depth=1
	s_or_b32 exec_lo, exec_lo, s19
.LBB287_1562:                           ;   in Loop: Header=BB287_15 Depth=1
	s_or_b32 exec_lo, exec_lo, s17
	v_lshrrev_b16 v3, 8, v27
	v_mov_b32_e32 v108, 0
	v_mov_b32_e32 v105, 0
	s_mov_b32 s17, exec_lo
	v_cmpx_ne_u16_e32 0, v3
	s_cbranch_execz .LBB287_1570
; %bb.1563:                             ;   in Loop: Header=BB287_15 Depth=1
	v_bfrev_b32_e32 v105, 1
	s_mov_b32 s19, exec_lo
	v_cmpx_ne_u16_e32 0x80, v3
	s_cbranch_execz .LBB287_1569
; %bb.1564:                             ;   in Loop: Header=BB287_15 Depth=1
	v_mov_b32_e32 v0, 0x7f
	v_mov_b32_e32 v105, 0x7c010000
	s_mov_b32 s22, exec_lo
	v_and_b32_sdwa v6, v3, v0 dst_sel:DWORD dst_unused:UNUSED_PAD src0_sel:WORD_0 src1_sel:DWORD
	v_cmpx_ne_u32_e32 0x7f, v6
	s_cbranch_execz .LBB287_1568
; %bb.1565:                             ;   in Loop: Header=BB287_15 Depth=1
	v_mov_b32_e32 v0, 7
	v_lshrrev_b32_e32 v1, 3, v6
	s_mov_b32 s23, exec_lo
	v_and_b32_sdwa v0, v3, v0 dst_sel:DWORD dst_unused:UNUSED_PAD src0_sel:WORD_0 src1_sel:DWORD
	v_cmpx_gt_u32_e32 8, v6
; %bb.1566:                             ;   in Loop: Header=BB287_15 Depth=1
	v_ffbh_u32_e32 v0, v0
	v_min_u32_e32 v6, 32, v0
	v_subrev_nc_u32_e32 v0, 28, v6
	v_lshlrev_b64 v[0:1], v0, v[3:4]
	v_sub_nc_u32_e32 v1, 29, v6
	v_and_b32_e32 v0, 7, v0
; %bb.1567:                             ;   in Loop: Header=BB287_15 Depth=1
	s_or_b32 exec_lo, exec_lo, s23
	v_mov_b32_e32 v6, 8
	v_lshl_add_u32 v1, v1, 10, 0x2000
	v_lshlrev_b32_e32 v0, 23, v0
	v_lshlrev_b32_sdwa v3, v6, v3 dst_sel:DWORD dst_unused:UNUSED_PAD src0_sel:DWORD src1_sel:WORD_0
	v_and_or_b32 v1, 0x8000, v3, v1
	v_lshl_or_b32 v105, v1, 16, v0
.LBB287_1568:                           ;   in Loop: Header=BB287_15 Depth=1
	s_or_b32 exec_lo, exec_lo, s22
.LBB287_1569:                           ;   in Loop: Header=BB287_15 Depth=1
	s_or_b32 exec_lo, exec_lo, s19
.LBB287_1570:                           ;   in Loop: Header=BB287_15 Depth=1
	s_or_b32 exec_lo, exec_lo, s17
	v_lshrrev_b32_e32 v3, 16, v27
	v_cmp_ne_u16_sdwa s5, v3, v4 src0_sel:BYTE_0 src1_sel:DWORD
	s_and_saveexec_b32 s17, s5
	s_cbranch_execz .LBB287_1578
; %bb.1571:                             ;   in Loop: Header=BB287_15 Depth=1
	v_cmp_ne_u16_sdwa s5, v3, v64 src0_sel:BYTE_0 src1_sel:DWORD
	v_mov_b32_e32 v108, 0x8000
	s_and_saveexec_b32 s19, s5
	s_cbranch_execz .LBB287_1577
; %bb.1572:                             ;   in Loop: Header=BB287_15 Depth=1
	v_bfe_u32 v6, v27, 16, 7
	v_mov_b32_e32 v108, 0x7c01
	s_mov_b32 s22, exec_lo
	v_cmpx_ne_u32_e32 0x7f, v6
	s_cbranch_execz .LBB287_1576
; %bb.1573:                             ;   in Loop: Header=BB287_15 Depth=1
	v_and_b32_e32 v0, 7, v3
	v_lshrrev_b32_e32 v1, 3, v6
	s_mov_b32 s23, exec_lo
	v_cmpx_gt_u32_e32 8, v6
; %bb.1574:                             ;   in Loop: Header=BB287_15 Depth=1
	v_ffbh_u32_e32 v0, v0
	v_min_u32_e32 v6, 32, v0
	v_subrev_nc_u32_e32 v0, 28, v6
	v_lshlrev_b64 v[0:1], v0, v[3:4]
	v_sub_nc_u32_e32 v1, 29, v6
	v_and_b32_e32 v0, 7, v0
; %bb.1575:                             ;   in Loop: Header=BB287_15 Depth=1
	s_or_b32 exec_lo, exec_lo, s23
	v_lshlrev_b32_e32 v3, 8, v3
	v_lshl_add_u32 v1, v1, 10, 0x2000
	v_lshlrev_b32_e32 v0, 7, v0
	v_and_b32_e32 v3, 0x8000, v3
	v_and_b32_e32 v1, 0xfc00, v1
	v_or3_b32 v108, v3, v1, v0
.LBB287_1576:                           ;   in Loop: Header=BB287_15 Depth=1
	s_or_b32 exec_lo, exec_lo, s22
.LBB287_1577:                           ;   in Loop: Header=BB287_15 Depth=1
	s_or_b32 exec_lo, exec_lo, s19
.LBB287_1578:                           ;   in Loop: Header=BB287_15 Depth=1
	s_or_b32 exec_lo, exec_lo, s17
	v_mov_b32_e32 v35, 0
	v_mov_b32_e32 v45, 0
	s_mov_b32 s17, exec_lo
	v_cmpx_lt_u32_e32 0xffffff, v27
	s_cbranch_execz .LBB287_1586
; %bb.1579:                             ;   in Loop: Header=BB287_15 Depth=1
	v_lshrrev_b32_e32 v3, 24, v27
	v_bfrev_b32_e32 v45, 1
	s_mov_b32 s19, exec_lo
	v_cmpx_ne_u32_e32 0x80, v3
	s_cbranch_execz .LBB287_1585
; %bb.1580:                             ;   in Loop: Header=BB287_15 Depth=1
	v_and_b32_e32 v6, 0x7f, v3
	v_mov_b32_e32 v45, 0x7c010000
	s_mov_b32 s22, exec_lo
	v_cmpx_ne_u32_e32 0x7f, v6
	s_cbranch_execz .LBB287_1584
; %bb.1581:                             ;   in Loop: Header=BB287_15 Depth=1
	v_and_b32_e32 v0, 7, v3
	v_lshrrev_b32_e32 v1, 3, v6
	s_mov_b32 s23, exec_lo
	v_cmpx_gt_u32_e32 8, v6
; %bb.1582:                             ;   in Loop: Header=BB287_15 Depth=1
	v_ffbh_u32_e32 v0, v0
	v_min_u32_e32 v6, 32, v0
	v_subrev_nc_u32_e32 v0, 28, v6
	v_lshlrev_b64 v[0:1], v0, v[3:4]
	v_sub_nc_u32_e32 v1, 29, v6
	v_and_b32_e32 v0, 7, v0
; %bb.1583:                             ;   in Loop: Header=BB287_15 Depth=1
	s_or_b32 exec_lo, exec_lo, s23
	v_lshlrev_b32_e32 v3, 8, v3
	v_lshl_add_u32 v1, v1, 10, 0x2000
	v_lshlrev_b32_e32 v0, 23, v0
	v_and_or_b32 v1, 0x8000, v3, v1
	v_lshl_or_b32 v45, v1, 16, v0
.LBB287_1584:                           ;   in Loop: Header=BB287_15 Depth=1
	s_or_b32 exec_lo, exec_lo, s22
.LBB287_1585:                           ;   in Loop: Header=BB287_15 Depth=1
	s_or_b32 exec_lo, exec_lo, s19
.LBB287_1586:                           ;   in Loop: Header=BB287_15 Depth=1
	s_or_b32 exec_lo, exec_lo, s17
	v_mov_b32_e32 v3, v28
	v_cmp_ne_u16_sdwa s5, v28, v4 src0_sel:BYTE_0 src1_sel:DWORD
	s_and_saveexec_b32 s17, s5
	s_cbranch_execz .LBB287_1594
; %bb.1587:                             ;   in Loop: Header=BB287_15 Depth=1
	v_cmp_ne_u16_sdwa s5, v28, v64 src0_sel:BYTE_0 src1_sel:DWORD
	v_mov_b32_e32 v35, 0x8000
	s_and_saveexec_b32 s19, s5
	s_cbranch_execz .LBB287_1593
; %bb.1588:                             ;   in Loop: Header=BB287_15 Depth=1
	v_and_b32_e32 v6, 0x7f, v28
	v_mov_b32_e32 v35, 0x7c01
	s_mov_b32 s22, exec_lo
	v_cmpx_ne_u32_e32 0x7f, v6
	s_cbranch_execz .LBB287_1592
; %bb.1589:                             ;   in Loop: Header=BB287_15 Depth=1
	v_and_b32_e32 v0, 7, v28
	v_lshrrev_b32_e32 v1, 3, v6
	s_mov_b32 s23, exec_lo
	v_cmpx_gt_u32_e32 8, v6
; %bb.1590:                             ;   in Loop: Header=BB287_15 Depth=1
	v_ffbh_u32_e32 v0, v0
	v_min_u32_e32 v6, 32, v0
	v_subrev_nc_u32_e32 v0, 28, v6
	v_lshlrev_b64 v[0:1], v0, v[3:4]
	v_sub_nc_u32_e32 v1, 29, v6
	v_and_b32_e32 v0, 7, v0
; %bb.1591:                             ;   in Loop: Header=BB287_15 Depth=1
	s_or_b32 exec_lo, exec_lo, s23
	v_lshlrev_b32_e32 v6, 8, v28
	v_lshl_add_u32 v1, v1, 10, 0x2000
	v_lshlrev_b32_e32 v0, 7, v0
	v_and_b32_e32 v6, 0x8000, v6
	v_and_b32_e32 v1, 0xfc00, v1
	v_or3_b32 v35, v6, v1, v0
.LBB287_1592:                           ;   in Loop: Header=BB287_15 Depth=1
	s_or_b32 exec_lo, exec_lo, s22
.LBB287_1593:                           ;   in Loop: Header=BB287_15 Depth=1
	s_or_b32 exec_lo, exec_lo, s19
.LBB287_1594:                           ;   in Loop: Header=BB287_15 Depth=1
	s_or_b32 exec_lo, exec_lo, s17
	v_lshrrev_b16 v3, 8, v3
	v_mov_b32_e32 v111, 0
	v_mov_b32_e32 v121, 0
	s_mov_b32 s17, exec_lo
	v_cmpx_ne_u16_e32 0, v3
	s_cbranch_execz .LBB287_1602
; %bb.1595:                             ;   in Loop: Header=BB287_15 Depth=1
	v_bfrev_b32_e32 v121, 1
	s_mov_b32 s19, exec_lo
	v_cmpx_ne_u16_e32 0x80, v3
	s_cbranch_execz .LBB287_1601
; %bb.1596:                             ;   in Loop: Header=BB287_15 Depth=1
	v_mov_b32_e32 v0, 0x7f
	v_mov_b32_e32 v121, 0x7c010000
	s_mov_b32 s22, exec_lo
	v_and_b32_sdwa v6, v3, v0 dst_sel:DWORD dst_unused:UNUSED_PAD src0_sel:WORD_0 src1_sel:DWORD
	v_cmpx_ne_u32_e32 0x7f, v6
	s_cbranch_execz .LBB287_1600
; %bb.1597:                             ;   in Loop: Header=BB287_15 Depth=1
	v_mov_b32_e32 v0, 7
	v_lshrrev_b32_e32 v1, 3, v6
	s_mov_b32 s23, exec_lo
	v_and_b32_sdwa v0, v3, v0 dst_sel:DWORD dst_unused:UNUSED_PAD src0_sel:WORD_0 src1_sel:DWORD
	v_cmpx_gt_u32_e32 8, v6
; %bb.1598:                             ;   in Loop: Header=BB287_15 Depth=1
	v_ffbh_u32_e32 v0, v0
	v_min_u32_e32 v6, 32, v0
	v_subrev_nc_u32_e32 v0, 28, v6
	v_lshlrev_b64 v[0:1], v0, v[3:4]
	v_sub_nc_u32_e32 v1, 29, v6
	v_and_b32_e32 v0, 7, v0
; %bb.1599:                             ;   in Loop: Header=BB287_15 Depth=1
	s_or_b32 exec_lo, exec_lo, s23
	v_mov_b32_e32 v6, 8
	v_lshl_add_u32 v1, v1, 10, 0x2000
	v_lshlrev_b32_e32 v0, 23, v0
	v_lshlrev_b32_sdwa v3, v6, v3 dst_sel:DWORD dst_unused:UNUSED_PAD src0_sel:DWORD src1_sel:WORD_0
	v_and_or_b32 v1, 0x8000, v3, v1
	v_lshl_or_b32 v121, v1, 16, v0
.LBB287_1600:                           ;   in Loop: Header=BB287_15 Depth=1
	s_or_b32 exec_lo, exec_lo, s22
.LBB287_1601:                           ;   in Loop: Header=BB287_15 Depth=1
	s_or_b32 exec_lo, exec_lo, s19
.LBB287_1602:                           ;   in Loop: Header=BB287_15 Depth=1
	s_or_b32 exec_lo, exec_lo, s17
	v_lshrrev_b32_e32 v3, 16, v28
	v_cmp_ne_u16_sdwa s5, v3, v4 src0_sel:BYTE_0 src1_sel:DWORD
	s_and_saveexec_b32 s17, s5
	s_cbranch_execz .LBB287_1610
; %bb.1603:                             ;   in Loop: Header=BB287_15 Depth=1
	v_cmp_ne_u16_sdwa s5, v3, v64 src0_sel:BYTE_0 src1_sel:DWORD
	v_mov_b32_e32 v111, 0x8000
	s_and_saveexec_b32 s19, s5
	s_cbranch_execz .LBB287_1609
; %bb.1604:                             ;   in Loop: Header=BB287_15 Depth=1
	v_bfe_u32 v6, v28, 16, 7
	v_mov_b32_e32 v111, 0x7c01
	s_mov_b32 s22, exec_lo
	v_cmpx_ne_u32_e32 0x7f, v6
	s_cbranch_execz .LBB287_1608
; %bb.1605:                             ;   in Loop: Header=BB287_15 Depth=1
	v_and_b32_e32 v0, 7, v3
	v_lshrrev_b32_e32 v1, 3, v6
	s_mov_b32 s23, exec_lo
	v_cmpx_gt_u32_e32 8, v6
; %bb.1606:                             ;   in Loop: Header=BB287_15 Depth=1
	v_ffbh_u32_e32 v0, v0
	v_min_u32_e32 v6, 32, v0
	v_subrev_nc_u32_e32 v0, 28, v6
	v_lshlrev_b64 v[0:1], v0, v[3:4]
	v_sub_nc_u32_e32 v1, 29, v6
	v_and_b32_e32 v0, 7, v0
; %bb.1607:                             ;   in Loop: Header=BB287_15 Depth=1
	s_or_b32 exec_lo, exec_lo, s23
	v_lshlrev_b32_e32 v3, 8, v3
	v_lshl_add_u32 v1, v1, 10, 0x2000
	v_lshlrev_b32_e32 v0, 7, v0
	v_and_b32_e32 v3, 0x8000, v3
	v_and_b32_e32 v1, 0xfc00, v1
	v_or3_b32 v111, v3, v1, v0
.LBB287_1608:                           ;   in Loop: Header=BB287_15 Depth=1
	s_or_b32 exec_lo, exec_lo, s22
.LBB287_1609:                           ;   in Loop: Header=BB287_15 Depth=1
	s_or_b32 exec_lo, exec_lo, s19
.LBB287_1610:                           ;   in Loop: Header=BB287_15 Depth=1
	s_or_b32 exec_lo, exec_lo, s17
	v_mov_b32_e32 v6, 0
	v_mov_b32_e32 v124, 0
	s_mov_b32 s17, exec_lo
	v_cmpx_lt_u64_e64 s[8:9], v[27:28]
	s_cbranch_execz .LBB287_1618
; %bb.1611:                             ;   in Loop: Header=BB287_15 Depth=1
	v_lshrrev_b32_e32 v3, 24, v28
	v_bfrev_b32_e32 v124, 1
	s_mov_b32 s19, exec_lo
	v_cmpx_ne_u32_e32 0x80, v3
	s_cbranch_execz .LBB287_1617
; %bb.1612:                             ;   in Loop: Header=BB287_15 Depth=1
	v_and_b32_e32 v7, 0x7f, v3
	v_mov_b32_e32 v124, 0x7c010000
	s_mov_b32 s22, exec_lo
	v_cmpx_ne_u32_e32 0x7f, v7
	s_cbranch_execz .LBB287_1616
; %bb.1613:                             ;   in Loop: Header=BB287_15 Depth=1
	v_and_b32_e32 v0, 7, v3
	v_lshrrev_b32_e32 v1, 3, v7
	s_mov_b32 s23, exec_lo
	v_cmpx_gt_u32_e32 8, v7
; %bb.1614:                             ;   in Loop: Header=BB287_15 Depth=1
	v_ffbh_u32_e32 v0, v0
	v_min_u32_e32 v7, 32, v0
	v_subrev_nc_u32_e32 v0, 28, v7
	v_lshlrev_b64 v[0:1], v0, v[3:4]
	v_sub_nc_u32_e32 v1, 29, v7
	v_and_b32_e32 v0, 7, v0
; %bb.1615:                             ;   in Loop: Header=BB287_15 Depth=1
	s_or_b32 exec_lo, exec_lo, s23
	v_lshlrev_b32_e32 v3, 8, v3
	v_lshl_add_u32 v1, v1, 10, 0x2000
	v_lshlrev_b32_e32 v0, 23, v0
	v_and_or_b32 v1, 0x8000, v3, v1
	v_lshl_or_b32 v124, v1, 16, v0
.LBB287_1616:                           ;   in Loop: Header=BB287_15 Depth=1
	s_or_b32 exec_lo, exec_lo, s22
.LBB287_1617:                           ;   in Loop: Header=BB287_15 Depth=1
	s_or_b32 exec_lo, exec_lo, s19
.LBB287_1618:                           ;   in Loop: Header=BB287_15 Depth=1
	s_or_b32 exec_lo, exec_lo, s17
	flat_load_dwordx2 v[27:28], v[24:25] offset:8
	s_waitcnt vmcnt(0) lgkmcnt(0)
	v_cmp_ne_u16_sdwa s5, v27, v4 src0_sel:BYTE_0 src1_sel:DWORD
	s_and_saveexec_b32 s17, s5
	s_cbranch_execz .LBB287_1626
; %bb.1619:                             ;   in Loop: Header=BB287_15 Depth=1
	v_cmp_ne_u16_sdwa s5, v27, v64 src0_sel:BYTE_0 src1_sel:DWORD
	v_mov_b32_e32 v6, 0x8000
	s_and_saveexec_b32 s19, s5
	s_cbranch_execz .LBB287_1625
; %bb.1620:                             ;   in Loop: Header=BB287_15 Depth=1
	v_and_b32_e32 v3, 0x7f, v27
	v_mov_b32_e32 v6, 0x7c01
	s_mov_b32 s22, exec_lo
	v_cmpx_ne_u32_e32 0x7f, v3
	s_cbranch_execz .LBB287_1624
; %bb.1621:                             ;   in Loop: Header=BB287_15 Depth=1
	v_and_b32_e32 v0, 7, v27
	v_lshrrev_b32_e32 v1, 3, v3
	s_mov_b32 s23, exec_lo
	v_cmpx_gt_u32_e32 8, v3
; %bb.1622:                             ;   in Loop: Header=BB287_15 Depth=1
	v_ffbh_u32_e32 v0, v0
	v_min_u32_e32 v3, 32, v0
	v_subrev_nc_u32_e32 v0, 28, v3
	v_lshlrev_b64 v[0:1], v0, v[27:28]
	v_sub_nc_u32_e32 v1, 29, v3
	v_and_b32_e32 v0, 7, v0
; %bb.1623:                             ;   in Loop: Header=BB287_15 Depth=1
	s_or_b32 exec_lo, exec_lo, s23
	v_lshlrev_b32_e32 v3, 8, v27
	v_lshl_add_u32 v1, v1, 10, 0x2000
	v_lshlrev_b32_e32 v0, 7, v0
	v_and_b32_e32 v3, 0x8000, v3
	v_and_b32_e32 v1, 0xfc00, v1
	v_or3_b32 v6, v3, v1, v0
.LBB287_1624:                           ;   in Loop: Header=BB287_15 Depth=1
	s_or_b32 exec_lo, exec_lo, s22
.LBB287_1625:                           ;   in Loop: Header=BB287_15 Depth=1
	s_or_b32 exec_lo, exec_lo, s19
.LBB287_1626:                           ;   in Loop: Header=BB287_15 Depth=1
	s_or_b32 exec_lo, exec_lo, s17
	v_lshrrev_b16 v3, 8, v27
	v_mov_b32_e32 v84, 0
	v_mov_b32_e32 v61, 0
	s_mov_b32 s17, exec_lo
	v_cmpx_ne_u16_e32 0, v3
	s_cbranch_execz .LBB287_1634
; %bb.1627:                             ;   in Loop: Header=BB287_15 Depth=1
	v_bfrev_b32_e32 v61, 1
	s_mov_b32 s19, exec_lo
	v_cmpx_ne_u16_e32 0x80, v3
	s_cbranch_execz .LBB287_1633
; %bb.1628:                             ;   in Loop: Header=BB287_15 Depth=1
	v_mov_b32_e32 v0, 0x7f
	v_mov_b32_e32 v61, 0x7c010000
	s_mov_b32 s22, exec_lo
	v_and_b32_sdwa v7, v3, v0 dst_sel:DWORD dst_unused:UNUSED_PAD src0_sel:WORD_0 src1_sel:DWORD
	v_cmpx_ne_u32_e32 0x7f, v7
	s_cbranch_execz .LBB287_1632
; %bb.1629:                             ;   in Loop: Header=BB287_15 Depth=1
	v_mov_b32_e32 v0, 7
	v_lshrrev_b32_e32 v1, 3, v7
	s_mov_b32 s23, exec_lo
	v_and_b32_sdwa v0, v3, v0 dst_sel:DWORD dst_unused:UNUSED_PAD src0_sel:WORD_0 src1_sel:DWORD
	v_cmpx_gt_u32_e32 8, v7
; %bb.1630:                             ;   in Loop: Header=BB287_15 Depth=1
	v_ffbh_u32_e32 v0, v0
	v_min_u32_e32 v7, 32, v0
	v_subrev_nc_u32_e32 v0, 28, v7
	v_lshlrev_b64 v[0:1], v0, v[3:4]
	v_sub_nc_u32_e32 v1, 29, v7
	v_and_b32_e32 v0, 7, v0
; %bb.1631:                             ;   in Loop: Header=BB287_15 Depth=1
	s_or_b32 exec_lo, exec_lo, s23
	v_mov_b32_e32 v7, 8
	v_lshl_add_u32 v1, v1, 10, 0x2000
	v_lshlrev_b32_e32 v0, 23, v0
	v_lshlrev_b32_sdwa v3, v7, v3 dst_sel:DWORD dst_unused:UNUSED_PAD src0_sel:DWORD src1_sel:WORD_0
	v_and_or_b32 v1, 0x8000, v3, v1
	v_lshl_or_b32 v61, v1, 16, v0
.LBB287_1632:                           ;   in Loop: Header=BB287_15 Depth=1
	s_or_b32 exec_lo, exec_lo, s22
.LBB287_1633:                           ;   in Loop: Header=BB287_15 Depth=1
	s_or_b32 exec_lo, exec_lo, s19
.LBB287_1634:                           ;   in Loop: Header=BB287_15 Depth=1
	s_or_b32 exec_lo, exec_lo, s17
	v_lshrrev_b32_e32 v3, 16, v27
	v_cmp_ne_u16_sdwa s5, v3, v4 src0_sel:BYTE_0 src1_sel:DWORD
	s_and_saveexec_b32 s17, s5
	s_cbranch_execz .LBB287_1642
; %bb.1635:                             ;   in Loop: Header=BB287_15 Depth=1
	v_cmp_ne_u16_sdwa s5, v3, v64 src0_sel:BYTE_0 src1_sel:DWORD
	v_mov_b32_e32 v84, 0x8000
	s_and_saveexec_b32 s19, s5
	s_cbranch_execz .LBB287_1641
; %bb.1636:                             ;   in Loop: Header=BB287_15 Depth=1
	v_bfe_u32 v7, v27, 16, 7
	v_mov_b32_e32 v84, 0x7c01
	s_mov_b32 s22, exec_lo
	v_cmpx_ne_u32_e32 0x7f, v7
	s_cbranch_execz .LBB287_1640
; %bb.1637:                             ;   in Loop: Header=BB287_15 Depth=1
	v_and_b32_e32 v0, 7, v3
	v_lshrrev_b32_e32 v1, 3, v7
	s_mov_b32 s23, exec_lo
	v_cmpx_gt_u32_e32 8, v7
; %bb.1638:                             ;   in Loop: Header=BB287_15 Depth=1
	v_ffbh_u32_e32 v0, v0
	v_min_u32_e32 v7, 32, v0
	v_subrev_nc_u32_e32 v0, 28, v7
	v_lshlrev_b64 v[0:1], v0, v[3:4]
	v_sub_nc_u32_e32 v1, 29, v7
	v_and_b32_e32 v0, 7, v0
; %bb.1639:                             ;   in Loop: Header=BB287_15 Depth=1
	s_or_b32 exec_lo, exec_lo, s23
	v_lshlrev_b32_e32 v3, 8, v3
	v_lshl_add_u32 v1, v1, 10, 0x2000
	v_lshlrev_b32_e32 v0, 7, v0
	v_and_b32_e32 v3, 0x8000, v3
	v_and_b32_e32 v1, 0xfc00, v1
	v_or3_b32 v84, v3, v1, v0
.LBB287_1640:                           ;   in Loop: Header=BB287_15 Depth=1
	s_or_b32 exec_lo, exec_lo, s22
.LBB287_1641:                           ;   in Loop: Header=BB287_15 Depth=1
	s_or_b32 exec_lo, exec_lo, s19
.LBB287_1642:                           ;   in Loop: Header=BB287_15 Depth=1
	s_or_b32 exec_lo, exec_lo, s17
	v_mov_b32_e32 v114, 0
	v_mov_b32_e32 v59, 0
	s_mov_b32 s17, exec_lo
	v_cmpx_lt_u32_e32 0xffffff, v27
	s_cbranch_execz .LBB287_1650
; %bb.1643:                             ;   in Loop: Header=BB287_15 Depth=1
	v_lshrrev_b32_e32 v3, 24, v27
	v_bfrev_b32_e32 v59, 1
	s_mov_b32 s19, exec_lo
	v_cmpx_ne_u32_e32 0x80, v3
	s_cbranch_execz .LBB287_1649
; %bb.1644:                             ;   in Loop: Header=BB287_15 Depth=1
	v_and_b32_e32 v7, 0x7f, v3
	v_mov_b32_e32 v59, 0x7c010000
	s_mov_b32 s22, exec_lo
	v_cmpx_ne_u32_e32 0x7f, v7
	s_cbranch_execz .LBB287_1648
; %bb.1645:                             ;   in Loop: Header=BB287_15 Depth=1
	v_and_b32_e32 v0, 7, v3
	v_lshrrev_b32_e32 v1, 3, v7
	s_mov_b32 s23, exec_lo
	v_cmpx_gt_u32_e32 8, v7
; %bb.1646:                             ;   in Loop: Header=BB287_15 Depth=1
	v_ffbh_u32_e32 v0, v0
	v_min_u32_e32 v7, 32, v0
	v_subrev_nc_u32_e32 v0, 28, v7
	v_lshlrev_b64 v[0:1], v0, v[3:4]
	v_sub_nc_u32_e32 v1, 29, v7
	v_and_b32_e32 v0, 7, v0
; %bb.1647:                             ;   in Loop: Header=BB287_15 Depth=1
	s_or_b32 exec_lo, exec_lo, s23
	v_lshlrev_b32_e32 v3, 8, v3
	v_lshl_add_u32 v1, v1, 10, 0x2000
	v_lshlrev_b32_e32 v0, 23, v0
	v_and_or_b32 v1, 0x8000, v3, v1
	v_lshl_or_b32 v59, v1, 16, v0
.LBB287_1648:                           ;   in Loop: Header=BB287_15 Depth=1
	s_or_b32 exec_lo, exec_lo, s22
.LBB287_1649:                           ;   in Loop: Header=BB287_15 Depth=1
	s_or_b32 exec_lo, exec_lo, s19
.LBB287_1650:                           ;   in Loop: Header=BB287_15 Depth=1
	s_or_b32 exec_lo, exec_lo, s17
	v_mov_b32_e32 v3, v28
	v_cmp_ne_u16_sdwa s5, v28, v4 src0_sel:BYTE_0 src1_sel:DWORD
	s_and_saveexec_b32 s17, s5
	s_cbranch_execz .LBB287_1658
; %bb.1651:                             ;   in Loop: Header=BB287_15 Depth=1
	v_cmp_ne_u16_sdwa s5, v28, v64 src0_sel:BYTE_0 src1_sel:DWORD
	v_mov_b32_e32 v114, 0x8000
	s_and_saveexec_b32 s19, s5
	s_cbranch_execz .LBB287_1657
; %bb.1652:                             ;   in Loop: Header=BB287_15 Depth=1
	v_and_b32_e32 v7, 0x7f, v28
	v_mov_b32_e32 v114, 0x7c01
	s_mov_b32 s22, exec_lo
	v_cmpx_ne_u32_e32 0x7f, v7
	s_cbranch_execz .LBB287_1656
; %bb.1653:                             ;   in Loop: Header=BB287_15 Depth=1
	v_and_b32_e32 v0, 7, v28
	v_lshrrev_b32_e32 v1, 3, v7
	s_mov_b32 s23, exec_lo
	v_cmpx_gt_u32_e32 8, v7
; %bb.1654:                             ;   in Loop: Header=BB287_15 Depth=1
	v_ffbh_u32_e32 v0, v0
	v_min_u32_e32 v7, 32, v0
	v_subrev_nc_u32_e32 v0, 28, v7
	v_lshlrev_b64 v[0:1], v0, v[3:4]
	v_sub_nc_u32_e32 v1, 29, v7
	v_and_b32_e32 v0, 7, v0
; %bb.1655:                             ;   in Loop: Header=BB287_15 Depth=1
	s_or_b32 exec_lo, exec_lo, s23
	v_lshlrev_b32_e32 v7, 8, v28
	v_lshl_add_u32 v1, v1, 10, 0x2000
	v_lshlrev_b32_e32 v0, 7, v0
	v_and_b32_e32 v7, 0x8000, v7
	v_and_b32_e32 v1, 0xfc00, v1
	v_or3_b32 v114, v7, v1, v0
.LBB287_1656:                           ;   in Loop: Header=BB287_15 Depth=1
	s_or_b32 exec_lo, exec_lo, s22
.LBB287_1657:                           ;   in Loop: Header=BB287_15 Depth=1
	s_or_b32 exec_lo, exec_lo, s19
.LBB287_1658:                           ;   in Loop: Header=BB287_15 Depth=1
	s_or_b32 exec_lo, exec_lo, s17
	v_lshrrev_b16 v3, 8, v3
	v_mov_b32_e32 v43, 0
	v_mov_b32_e32 v117, 0
	s_mov_b32 s17, exec_lo
	v_cmpx_ne_u16_e32 0, v3
	s_cbranch_execz .LBB287_1666
; %bb.1659:                             ;   in Loop: Header=BB287_15 Depth=1
	v_bfrev_b32_e32 v117, 1
	s_mov_b32 s19, exec_lo
	v_cmpx_ne_u16_e32 0x80, v3
	s_cbranch_execz .LBB287_1665
; %bb.1660:                             ;   in Loop: Header=BB287_15 Depth=1
	v_mov_b32_e32 v0, 0x7f
	v_mov_b32_e32 v117, 0x7c010000
	s_mov_b32 s22, exec_lo
	v_and_b32_sdwa v7, v3, v0 dst_sel:DWORD dst_unused:UNUSED_PAD src0_sel:WORD_0 src1_sel:DWORD
	v_cmpx_ne_u32_e32 0x7f, v7
	s_cbranch_execz .LBB287_1664
; %bb.1661:                             ;   in Loop: Header=BB287_15 Depth=1
	v_mov_b32_e32 v0, 7
	v_lshrrev_b32_e32 v1, 3, v7
	s_mov_b32 s23, exec_lo
	v_and_b32_sdwa v0, v3, v0 dst_sel:DWORD dst_unused:UNUSED_PAD src0_sel:WORD_0 src1_sel:DWORD
	v_cmpx_gt_u32_e32 8, v7
; %bb.1662:                             ;   in Loop: Header=BB287_15 Depth=1
	v_ffbh_u32_e32 v0, v0
	v_min_u32_e32 v7, 32, v0
	v_subrev_nc_u32_e32 v0, 28, v7
	v_lshlrev_b64 v[0:1], v0, v[3:4]
	v_sub_nc_u32_e32 v1, 29, v7
	v_and_b32_e32 v0, 7, v0
; %bb.1663:                             ;   in Loop: Header=BB287_15 Depth=1
	s_or_b32 exec_lo, exec_lo, s23
	v_mov_b32_e32 v7, 8
	v_lshl_add_u32 v1, v1, 10, 0x2000
	v_lshlrev_b32_e32 v0, 23, v0
	v_lshlrev_b32_sdwa v3, v7, v3 dst_sel:DWORD dst_unused:UNUSED_PAD src0_sel:DWORD src1_sel:WORD_0
	v_and_or_b32 v1, 0x8000, v3, v1
	v_lshl_or_b32 v117, v1, 16, v0
.LBB287_1664:                           ;   in Loop: Header=BB287_15 Depth=1
	s_or_b32 exec_lo, exec_lo, s22
.LBB287_1665:                           ;   in Loop: Header=BB287_15 Depth=1
	s_or_b32 exec_lo, exec_lo, s19
.LBB287_1666:                           ;   in Loop: Header=BB287_15 Depth=1
	s_or_b32 exec_lo, exec_lo, s17
	v_lshrrev_b32_e32 v3, 16, v28
	v_cmp_ne_u16_sdwa s5, v3, v4 src0_sel:BYTE_0 src1_sel:DWORD
	s_and_saveexec_b32 s17, s5
	s_cbranch_execz .LBB287_1674
; %bb.1667:                             ;   in Loop: Header=BB287_15 Depth=1
	v_cmp_ne_u16_sdwa s5, v3, v64 src0_sel:BYTE_0 src1_sel:DWORD
	v_mov_b32_e32 v43, 0x8000
	s_and_saveexec_b32 s19, s5
	s_cbranch_execz .LBB287_1673
; %bb.1668:                             ;   in Loop: Header=BB287_15 Depth=1
	v_bfe_u32 v7, v28, 16, 7
	v_mov_b32_e32 v43, 0x7c01
	s_mov_b32 s22, exec_lo
	v_cmpx_ne_u32_e32 0x7f, v7
	s_cbranch_execz .LBB287_1672
; %bb.1669:                             ;   in Loop: Header=BB287_15 Depth=1
	v_and_b32_e32 v0, 7, v3
	v_lshrrev_b32_e32 v1, 3, v7
	s_mov_b32 s23, exec_lo
	v_cmpx_gt_u32_e32 8, v7
; %bb.1670:                             ;   in Loop: Header=BB287_15 Depth=1
	v_ffbh_u32_e32 v0, v0
	v_min_u32_e32 v7, 32, v0
	v_subrev_nc_u32_e32 v0, 28, v7
	v_lshlrev_b64 v[0:1], v0, v[3:4]
	v_sub_nc_u32_e32 v1, 29, v7
	v_and_b32_e32 v0, 7, v0
; %bb.1671:                             ;   in Loop: Header=BB287_15 Depth=1
	s_or_b32 exec_lo, exec_lo, s23
	v_lshlrev_b32_e32 v3, 8, v3
	v_lshl_add_u32 v1, v1, 10, 0x2000
	v_lshlrev_b32_e32 v0, 7, v0
	v_and_b32_e32 v3, 0x8000, v3
	v_and_b32_e32 v1, 0xfc00, v1
	v_or3_b32 v43, v3, v1, v0
.LBB287_1672:                           ;   in Loop: Header=BB287_15 Depth=1
	s_or_b32 exec_lo, exec_lo, s22
.LBB287_1673:                           ;   in Loop: Header=BB287_15 Depth=1
	s_or_b32 exec_lo, exec_lo, s19
.LBB287_1674:                           ;   in Loop: Header=BB287_15 Depth=1
	s_or_b32 exec_lo, exec_lo, s17
	v_mov_b32_e32 v126, 0
	v_mov_b32_e32 v54, 0
	s_mov_b32 s17, exec_lo
	v_cmpx_lt_u64_e64 s[8:9], v[27:28]
	s_cbranch_execz .LBB287_1682
; %bb.1675:                             ;   in Loop: Header=BB287_15 Depth=1
	v_lshrrev_b32_e32 v3, 24, v28
	v_bfrev_b32_e32 v54, 1
	s_mov_b32 s19, exec_lo
	v_cmpx_ne_u32_e32 0x80, v3
	s_cbranch_execz .LBB287_1681
; %bb.1676:                             ;   in Loop: Header=BB287_15 Depth=1
	v_and_b32_e32 v7, 0x7f, v3
	v_mov_b32_e32 v54, 0x7c010000
	s_mov_b32 s22, exec_lo
	v_cmpx_ne_u32_e32 0x7f, v7
	s_cbranch_execz .LBB287_1680
; %bb.1677:                             ;   in Loop: Header=BB287_15 Depth=1
	v_and_b32_e32 v0, 7, v3
	v_lshrrev_b32_e32 v1, 3, v7
	s_mov_b32 s23, exec_lo
	v_cmpx_gt_u32_e32 8, v7
; %bb.1678:                             ;   in Loop: Header=BB287_15 Depth=1
	v_ffbh_u32_e32 v0, v0
	v_min_u32_e32 v7, 32, v0
	v_subrev_nc_u32_e32 v0, 28, v7
	v_lshlrev_b64 v[0:1], v0, v[3:4]
	v_sub_nc_u32_e32 v1, 29, v7
	v_and_b32_e32 v0, 7, v0
; %bb.1679:                             ;   in Loop: Header=BB287_15 Depth=1
	s_or_b32 exec_lo, exec_lo, s23
	v_lshlrev_b32_e32 v3, 8, v3
	v_lshl_add_u32 v1, v1, 10, 0x2000
	v_lshlrev_b32_e32 v0, 23, v0
	v_and_or_b32 v1, 0x8000, v3, v1
	v_lshl_or_b32 v54, v1, 16, v0
.LBB287_1680:                           ;   in Loop: Header=BB287_15 Depth=1
	s_or_b32 exec_lo, exec_lo, s22
.LBB287_1681:                           ;   in Loop: Header=BB287_15 Depth=1
	s_or_b32 exec_lo, exec_lo, s19
.LBB287_1682:                           ;   in Loop: Header=BB287_15 Depth=1
	s_or_b32 exec_lo, exec_lo, s17
	flat_load_dwordx2 v[27:28], v[24:25] offset:512
	s_waitcnt vmcnt(0) lgkmcnt(0)
	v_cmp_ne_u16_sdwa s5, v27, v4 src0_sel:BYTE_0 src1_sel:DWORD
	s_and_saveexec_b32 s17, s5
	s_cbranch_execz .LBB287_1690
; %bb.1683:                             ;   in Loop: Header=BB287_15 Depth=1
	v_cmp_ne_u16_sdwa s5, v27, v64 src0_sel:BYTE_0 src1_sel:DWORD
	v_mov_b32_e32 v126, 0x8000
	s_and_saveexec_b32 s19, s5
	s_cbranch_execz .LBB287_1689
; %bb.1684:                             ;   in Loop: Header=BB287_15 Depth=1
	v_and_b32_e32 v3, 0x7f, v27
	v_mov_b32_e32 v126, 0x7c01
	s_mov_b32 s22, exec_lo
	v_cmpx_ne_u32_e32 0x7f, v3
	s_cbranch_execz .LBB287_1688
; %bb.1685:                             ;   in Loop: Header=BB287_15 Depth=1
	v_and_b32_e32 v0, 7, v27
	v_lshrrev_b32_e32 v1, 3, v3
	s_mov_b32 s23, exec_lo
	v_cmpx_gt_u32_e32 8, v3
; %bb.1686:                             ;   in Loop: Header=BB287_15 Depth=1
	v_ffbh_u32_e32 v0, v0
	v_min_u32_e32 v3, 32, v0
	v_subrev_nc_u32_e32 v0, 28, v3
	v_lshlrev_b64 v[0:1], v0, v[27:28]
	v_sub_nc_u32_e32 v1, 29, v3
	v_and_b32_e32 v0, 7, v0
; %bb.1687:                             ;   in Loop: Header=BB287_15 Depth=1
	s_or_b32 exec_lo, exec_lo, s23
	v_lshlrev_b32_e32 v3, 8, v27
	v_lshl_add_u32 v1, v1, 10, 0x2000
	v_lshlrev_b32_e32 v0, 7, v0
	v_and_b32_e32 v3, 0x8000, v3
	v_and_b32_e32 v1, 0xfc00, v1
	v_or3_b32 v126, v3, v1, v0
.LBB287_1688:                           ;   in Loop: Header=BB287_15 Depth=1
	s_or_b32 exec_lo, exec_lo, s22
.LBB287_1689:                           ;   in Loop: Header=BB287_15 Depth=1
	s_or_b32 exec_lo, exec_lo, s19
.LBB287_1690:                           ;   in Loop: Header=BB287_15 Depth=1
	s_or_b32 exec_lo, exec_lo, s17
	v_lshrrev_b16 v3, 8, v27
	v_mov_b32_e32 v1, 0
	v_mov_b32_e32 v80, 0
	s_mov_b32 s17, exec_lo
	v_cmpx_ne_u16_e32 0, v3
	s_cbranch_execz .LBB287_1698
; %bb.1691:                             ;   in Loop: Header=BB287_15 Depth=1
	v_bfrev_b32_e32 v80, 1
	s_mov_b32 s19, exec_lo
	v_cmpx_ne_u16_e32 0x80, v3
	s_cbranch_execz .LBB287_1697
; %bb.1692:                             ;   in Loop: Header=BB287_15 Depth=1
	v_mov_b32_e32 v0, 0x7f
	v_mov_b32_e32 v80, 0x7c010000
	s_mov_b32 s22, exec_lo
	v_and_b32_sdwa v10, v3, v0 dst_sel:DWORD dst_unused:UNUSED_PAD src0_sel:WORD_0 src1_sel:DWORD
	v_cmpx_ne_u32_e32 0x7f, v10
	s_cbranch_execz .LBB287_1696
; %bb.1693:                             ;   in Loop: Header=BB287_15 Depth=1
	v_mov_b32_e32 v0, 7
	v_lshrrev_b32_e32 v7, 3, v10
	s_mov_b32 s23, exec_lo
	v_and_b32_sdwa v0, v3, v0 dst_sel:DWORD dst_unused:UNUSED_PAD src0_sel:WORD_0 src1_sel:DWORD
	v_cmpx_gt_u32_e32 8, v10
; %bb.1694:                             ;   in Loop: Header=BB287_15 Depth=1
	v_ffbh_u32_e32 v0, v0
	v_min_u32_e32 v0, 32, v0
	v_subrev_nc_u32_e32 v7, 28, v0
	v_lshlrev_b64 v[10:11], v7, v[3:4]
	v_sub_nc_u32_e32 v7, 29, v0
	v_and_b32_e32 v0, 7, v10
; %bb.1695:                             ;   in Loop: Header=BB287_15 Depth=1
	s_or_b32 exec_lo, exec_lo, s23
	v_mov_b32_e32 v10, 8
	v_lshl_add_u32 v7, v7, 10, 0x2000
	v_lshlrev_b32_e32 v0, 23, v0
	v_lshlrev_b32_sdwa v3, v10, v3 dst_sel:DWORD dst_unused:UNUSED_PAD src0_sel:DWORD src1_sel:WORD_0
	v_and_or_b32 v3, 0x8000, v3, v7
	v_lshl_or_b32 v80, v3, 16, v0
.LBB287_1696:                           ;   in Loop: Header=BB287_15 Depth=1
	s_or_b32 exec_lo, exec_lo, s22
.LBB287_1697:                           ;   in Loop: Header=BB287_15 Depth=1
	s_or_b32 exec_lo, exec_lo, s19
.LBB287_1698:                           ;   in Loop: Header=BB287_15 Depth=1
	s_or_b32 exec_lo, exec_lo, s17
	v_lshrrev_b32_e32 v3, 16, v27
	v_cmp_ne_u16_sdwa s5, v3, v4 src0_sel:BYTE_0 src1_sel:DWORD
	s_and_saveexec_b32 s17, s5
	s_cbranch_execz .LBB287_1706
; %bb.1699:                             ;   in Loop: Header=BB287_15 Depth=1
	v_cmp_ne_u16_sdwa s5, v3, v64 src0_sel:BYTE_0 src1_sel:DWORD
	v_mov_b32_e32 v1, 0x8000
	s_and_saveexec_b32 s19, s5
	s_cbranch_execz .LBB287_1705
; %bb.1700:                             ;   in Loop: Header=BB287_15 Depth=1
	v_bfe_u32 v7, v27, 16, 7
	v_mov_b32_e32 v1, 0x7c01
	s_mov_b32 s22, exec_lo
	v_cmpx_ne_u32_e32 0x7f, v7
	s_cbranch_execz .LBB287_1704
; %bb.1701:                             ;   in Loop: Header=BB287_15 Depth=1
	v_and_b32_e32 v0, 7, v3
	v_lshrrev_b32_e32 v1, 3, v7
	s_mov_b32 s23, exec_lo
	v_cmpx_gt_u32_e32 8, v7
; %bb.1702:                             ;   in Loop: Header=BB287_15 Depth=1
	v_ffbh_u32_e32 v0, v0
	v_min_u32_e32 v7, 32, v0
	v_subrev_nc_u32_e32 v0, 28, v7
	v_lshlrev_b64 v[0:1], v0, v[3:4]
	v_sub_nc_u32_e32 v1, 29, v7
	v_and_b32_e32 v0, 7, v0
; %bb.1703:                             ;   in Loop: Header=BB287_15 Depth=1
	s_or_b32 exec_lo, exec_lo, s23
	v_lshlrev_b32_e32 v3, 8, v3
	v_lshl_add_u32 v1, v1, 10, 0x2000
	v_lshlrev_b32_e32 v0, 7, v0
	v_and_b32_e32 v3, 0x8000, v3
	v_and_b32_e32 v1, 0xfc00, v1
	v_or3_b32 v1, v3, v1, v0
.LBB287_1704:                           ;   in Loop: Header=BB287_15 Depth=1
	s_or_b32 exec_lo, exec_lo, s22
.LBB287_1705:                           ;   in Loop: Header=BB287_15 Depth=1
	s_or_b32 exec_lo, exec_lo, s19
.LBB287_1706:                           ;   in Loop: Header=BB287_15 Depth=1
	s_or_b32 exec_lo, exec_lo, s17
	v_mov_b32_e32 v86, 0
	v_mov_b32_e32 v52, 0
	s_mov_b32 s17, exec_lo
	v_cmpx_lt_u32_e32 0xffffff, v27
	s_cbranch_execz .LBB287_1714
; %bb.1707:                             ;   in Loop: Header=BB287_15 Depth=1
	v_lshrrev_b32_e32 v3, 24, v27
	v_bfrev_b32_e32 v52, 1
	s_mov_b32 s19, exec_lo
	v_cmpx_ne_u32_e32 0x80, v3
	s_cbranch_execz .LBB287_1713
; %bb.1708:                             ;   in Loop: Header=BB287_15 Depth=1
	v_and_b32_e32 v10, 0x7f, v3
	v_mov_b32_e32 v52, 0x7c010000
	s_mov_b32 s22, exec_lo
	v_cmpx_ne_u32_e32 0x7f, v10
	s_cbranch_execz .LBB287_1712
; %bb.1709:                             ;   in Loop: Header=BB287_15 Depth=1
	v_and_b32_e32 v0, 7, v3
	v_lshrrev_b32_e32 v7, 3, v10
	s_mov_b32 s23, exec_lo
	v_cmpx_gt_u32_e32 8, v10
; %bb.1710:                             ;   in Loop: Header=BB287_15 Depth=1
	v_ffbh_u32_e32 v0, v0
	v_min_u32_e32 v0, 32, v0
	v_subrev_nc_u32_e32 v7, 28, v0
	v_lshlrev_b64 v[10:11], v7, v[3:4]
	v_sub_nc_u32_e32 v7, 29, v0
	v_and_b32_e32 v0, 7, v10
; %bb.1711:                             ;   in Loop: Header=BB287_15 Depth=1
	s_or_b32 exec_lo, exec_lo, s23
	v_lshlrev_b32_e32 v3, 8, v3
	v_lshl_add_u32 v7, v7, 10, 0x2000
	v_lshlrev_b32_e32 v0, 23, v0
	v_and_or_b32 v3, 0x8000, v3, v7
	v_lshl_or_b32 v52, v3, 16, v0
.LBB287_1712:                           ;   in Loop: Header=BB287_15 Depth=1
	s_or_b32 exec_lo, exec_lo, s22
.LBB287_1713:                           ;   in Loop: Header=BB287_15 Depth=1
	s_or_b32 exec_lo, exec_lo, s19
.LBB287_1714:                           ;   in Loop: Header=BB287_15 Depth=1
	s_or_b32 exec_lo, exec_lo, s17
	v_mov_b32_e32 v3, v28
	v_cmp_ne_u16_sdwa s5, v28, v4 src0_sel:BYTE_0 src1_sel:DWORD
	s_and_saveexec_b32 s17, s5
	s_cbranch_execz .LBB287_1722
; %bb.1715:                             ;   in Loop: Header=BB287_15 Depth=1
	v_cmp_ne_u16_sdwa s5, v28, v64 src0_sel:BYTE_0 src1_sel:DWORD
	v_mov_b32_e32 v86, 0x8000
	s_and_saveexec_b32 s19, s5
	s_cbranch_execz .LBB287_1721
; %bb.1716:                             ;   in Loop: Header=BB287_15 Depth=1
	v_and_b32_e32 v10, 0x7f, v28
	v_mov_b32_e32 v86, 0x7c01
	s_mov_b32 s22, exec_lo
	v_cmpx_ne_u32_e32 0x7f, v10
	s_cbranch_execz .LBB287_1720
; %bb.1717:                             ;   in Loop: Header=BB287_15 Depth=1
	v_and_b32_e32 v0, 7, v28
	v_lshrrev_b32_e32 v7, 3, v10
	s_mov_b32 s23, exec_lo
	v_cmpx_gt_u32_e32 8, v10
; %bb.1718:                             ;   in Loop: Header=BB287_15 Depth=1
	v_ffbh_u32_e32 v0, v0
	v_min_u32_e32 v0, 32, v0
	v_subrev_nc_u32_e32 v7, 28, v0
	v_lshlrev_b64 v[10:11], v7, v[3:4]
	v_sub_nc_u32_e32 v7, 29, v0
	v_and_b32_e32 v0, 7, v10
; %bb.1719:                             ;   in Loop: Header=BB287_15 Depth=1
	s_or_b32 exec_lo, exec_lo, s23
	v_lshlrev_b32_e32 v10, 8, v28
	v_lshl_add_u32 v7, v7, 10, 0x2000
	v_lshlrev_b32_e32 v0, 7, v0
	v_and_b32_e32 v10, 0x8000, v10
	v_and_b32_e32 v7, 0xfc00, v7
	v_or3_b32 v86, v10, v7, v0
.LBB287_1720:                           ;   in Loop: Header=BB287_15 Depth=1
	s_or_b32 exec_lo, exec_lo, s22
.LBB287_1721:                           ;   in Loop: Header=BB287_15 Depth=1
	s_or_b32 exec_lo, exec_lo, s19
.LBB287_1722:                           ;   in Loop: Header=BB287_15 Depth=1
	s_or_b32 exec_lo, exec_lo, s17
	v_lshrrev_b16 v3, 8, v3
	v_mov_b32_e32 v50, 0
	v_mov_b32_e32 v7, 0
	s_mov_b32 s17, exec_lo
	v_cmpx_ne_u16_e32 0, v3
	s_cbranch_execz .LBB287_1730
; %bb.1723:                             ;   in Loop: Header=BB287_15 Depth=1
	v_bfrev_b32_e32 v7, 1
	s_mov_b32 s19, exec_lo
	v_cmpx_ne_u16_e32 0x80, v3
	s_cbranch_execz .LBB287_1729
; %bb.1724:                             ;   in Loop: Header=BB287_15 Depth=1
	v_mov_b32_e32 v0, 0x7f
	v_mov_b32_e32 v7, 0x7c010000
	s_mov_b32 s22, exec_lo
	v_and_b32_sdwa v10, v3, v0 dst_sel:DWORD dst_unused:UNUSED_PAD src0_sel:WORD_0 src1_sel:DWORD
	v_cmpx_ne_u32_e32 0x7f, v10
	s_cbranch_execz .LBB287_1728
; %bb.1725:                             ;   in Loop: Header=BB287_15 Depth=1
	v_mov_b32_e32 v0, 7
	v_lshrrev_b32_e32 v7, 3, v10
	s_mov_b32 s23, exec_lo
	v_and_b32_sdwa v0, v3, v0 dst_sel:DWORD dst_unused:UNUSED_PAD src0_sel:WORD_0 src1_sel:DWORD
	v_cmpx_gt_u32_e32 8, v10
; %bb.1726:                             ;   in Loop: Header=BB287_15 Depth=1
	v_ffbh_u32_e32 v0, v0
	v_min_u32_e32 v0, 32, v0
	v_subrev_nc_u32_e32 v7, 28, v0
	v_lshlrev_b64 v[10:11], v7, v[3:4]
	v_sub_nc_u32_e32 v7, 29, v0
	v_and_b32_e32 v0, 7, v10
; %bb.1727:                             ;   in Loop: Header=BB287_15 Depth=1
	s_or_b32 exec_lo, exec_lo, s23
	v_mov_b32_e32 v10, 8
	v_lshl_add_u32 v7, v7, 10, 0x2000
	v_lshlrev_b32_e32 v0, 23, v0
	v_lshlrev_b32_sdwa v3, v10, v3 dst_sel:DWORD dst_unused:UNUSED_PAD src0_sel:DWORD src1_sel:WORD_0
	v_and_or_b32 v3, 0x8000, v3, v7
	v_lshl_or_b32 v7, v3, 16, v0
.LBB287_1728:                           ;   in Loop: Header=BB287_15 Depth=1
	s_or_b32 exec_lo, exec_lo, s22
.LBB287_1729:                           ;   in Loop: Header=BB287_15 Depth=1
	s_or_b32 exec_lo, exec_lo, s19
.LBB287_1730:                           ;   in Loop: Header=BB287_15 Depth=1
	s_or_b32 exec_lo, exec_lo, s17
	v_lshrrev_b32_e32 v3, 16, v28
	v_cmp_ne_u16_sdwa s5, v3, v4 src0_sel:BYTE_0 src1_sel:DWORD
	s_and_saveexec_b32 s17, s5
	s_cbranch_execz .LBB287_1738
; %bb.1731:                             ;   in Loop: Header=BB287_15 Depth=1
	v_cmp_ne_u16_sdwa s5, v3, v64 src0_sel:BYTE_0 src1_sel:DWORD
	v_mov_b32_e32 v50, 0x8000
	s_and_saveexec_b32 s19, s5
	s_cbranch_execz .LBB287_1737
; %bb.1732:                             ;   in Loop: Header=BB287_15 Depth=1
	v_bfe_u32 v11, v28, 16, 7
	v_mov_b32_e32 v50, 0x7c01
	s_mov_b32 s22, exec_lo
	v_cmpx_ne_u32_e32 0x7f, v11
	s_cbranch_execz .LBB287_1736
; %bb.1733:                             ;   in Loop: Header=BB287_15 Depth=1
	v_and_b32_e32 v0, 7, v3
	v_lshrrev_b32_e32 v10, 3, v11
	s_mov_b32 s23, exec_lo
	v_cmpx_gt_u32_e32 8, v11
; %bb.1734:                             ;   in Loop: Header=BB287_15 Depth=1
	v_ffbh_u32_e32 v0, v0
	v_min_u32_e32 v0, 32, v0
	v_subrev_nc_u32_e32 v10, 28, v0
	v_lshlrev_b64 v[18:19], v10, v[3:4]
	v_sub_nc_u32_e32 v10, 29, v0
	v_and_b32_e32 v0, 7, v18
; %bb.1735:                             ;   in Loop: Header=BB287_15 Depth=1
	s_or_b32 exec_lo, exec_lo, s23
	v_lshlrev_b32_e32 v3, 8, v3
	v_lshl_add_u32 v10, v10, 10, 0x2000
	v_lshlrev_b32_e32 v0, 7, v0
	v_and_b32_e32 v3, 0x8000, v3
	v_and_b32_e32 v10, 0xfc00, v10
	v_or3_b32 v50, v3, v10, v0
.LBB287_1736:                           ;   in Loop: Header=BB287_15 Depth=1
	s_or_b32 exec_lo, exec_lo, s22
.LBB287_1737:                           ;   in Loop: Header=BB287_15 Depth=1
	s_or_b32 exec_lo, exec_lo, s19
.LBB287_1738:                           ;   in Loop: Header=BB287_15 Depth=1
	s_or_b32 exec_lo, exec_lo, s17
	v_mov_b32_e32 v66, 0
	v_mov_b32_e32 v127, 0
	s_mov_b32 s17, exec_lo
	v_cmpx_lt_u64_e64 s[8:9], v[27:28]
	s_cbranch_execz .LBB287_1746
; %bb.1739:                             ;   in Loop: Header=BB287_15 Depth=1
	v_lshrrev_b32_e32 v3, 24, v28
	v_bfrev_b32_e32 v127, 1
	s_mov_b32 s19, exec_lo
	v_cmpx_ne_u32_e32 0x80, v3
	s_cbranch_execz .LBB287_1745
; %bb.1740:                             ;   in Loop: Header=BB287_15 Depth=1
	v_and_b32_e32 v11, 0x7f, v3
	v_mov_b32_e32 v127, 0x7c010000
	s_mov_b32 s22, exec_lo
	v_cmpx_ne_u32_e32 0x7f, v11
	s_cbranch_execz .LBB287_1744
; %bb.1741:                             ;   in Loop: Header=BB287_15 Depth=1
	v_and_b32_e32 v0, 7, v3
	v_lshrrev_b32_e32 v10, 3, v11
	s_mov_b32 s23, exec_lo
	v_cmpx_gt_u32_e32 8, v11
; %bb.1742:                             ;   in Loop: Header=BB287_15 Depth=1
	v_ffbh_u32_e32 v0, v0
	v_min_u32_e32 v0, 32, v0
	v_subrev_nc_u32_e32 v10, 28, v0
	v_lshlrev_b64 v[18:19], v10, v[3:4]
	v_sub_nc_u32_e32 v10, 29, v0
	v_and_b32_e32 v0, 7, v18
; %bb.1743:                             ;   in Loop: Header=BB287_15 Depth=1
	s_or_b32 exec_lo, exec_lo, s23
	v_lshlrev_b32_e32 v3, 8, v3
	v_lshl_add_u32 v10, v10, 10, 0x2000
	v_lshlrev_b32_e32 v0, 23, v0
	v_and_or_b32 v3, 0x8000, v3, v10
	v_lshl_or_b32 v127, v3, 16, v0
.LBB287_1744:                           ;   in Loop: Header=BB287_15 Depth=1
	s_or_b32 exec_lo, exec_lo, s22
.LBB287_1745:                           ;   in Loop: Header=BB287_15 Depth=1
	s_or_b32 exec_lo, exec_lo, s19
.LBB287_1746:                           ;   in Loop: Header=BB287_15 Depth=1
	s_or_b32 exec_lo, exec_lo, s17
	flat_load_dwordx2 v[27:28], v[24:25] offset:520
	s_waitcnt vmcnt(0) lgkmcnt(0)
	v_cmp_ne_u16_sdwa s5, v27, v4 src0_sel:BYTE_0 src1_sel:DWORD
	s_and_saveexec_b32 s17, s5
	s_cbranch_execz .LBB287_1754
; %bb.1747:                             ;   in Loop: Header=BB287_15 Depth=1
	v_cmp_ne_u16_sdwa s5, v27, v64 src0_sel:BYTE_0 src1_sel:DWORD
	v_mov_b32_e32 v66, 0x8000
	s_and_saveexec_b32 s19, s5
	s_cbranch_execz .LBB287_1753
; %bb.1748:                             ;   in Loop: Header=BB287_15 Depth=1
	v_and_b32_e32 v10, 0x7f, v27
	v_mov_b32_e32 v66, 0x7c01
	s_mov_b32 s22, exec_lo
	v_cmpx_ne_u32_e32 0x7f, v10
	s_cbranch_execz .LBB287_1752
; %bb.1749:                             ;   in Loop: Header=BB287_15 Depth=1
	v_and_b32_e32 v0, 7, v27
	v_lshrrev_b32_e32 v3, 3, v10
	s_mov_b32 s23, exec_lo
	v_cmpx_gt_u32_e32 8, v10
; %bb.1750:                             ;   in Loop: Header=BB287_15 Depth=1
	v_ffbh_u32_e32 v0, v0
	v_min_u32_e32 v0, 32, v0
	v_subrev_nc_u32_e32 v3, 28, v0
	v_lshlrev_b64 v[10:11], v3, v[27:28]
	v_sub_nc_u32_e32 v3, 29, v0
	v_and_b32_e32 v0, 7, v10
; %bb.1751:                             ;   in Loop: Header=BB287_15 Depth=1
	s_or_b32 exec_lo, exec_lo, s23
	v_lshlrev_b32_e32 v10, 8, v27
	v_lshl_add_u32 v3, v3, 10, 0x2000
	v_lshlrev_b32_e32 v0, 7, v0
	v_and_b32_e32 v10, 0x8000, v10
	v_and_b32_e32 v3, 0xfc00, v3
	v_or3_b32 v66, v10, v3, v0
.LBB287_1752:                           ;   in Loop: Header=BB287_15 Depth=1
	s_or_b32 exec_lo, exec_lo, s22
.LBB287_1753:                           ;   in Loop: Header=BB287_15 Depth=1
	s_or_b32 exec_lo, exec_lo, s19
.LBB287_1754:                           ;   in Loop: Header=BB287_15 Depth=1
	s_or_b32 exec_lo, exec_lo, s17
	v_lshrrev_b16 v3, 8, v27
	v_mov_b32_e32 v110, 0
	v_mov_b32_e32 v10, 0
	s_mov_b32 s17, exec_lo
	v_cmpx_ne_u16_e32 0, v3
	s_cbranch_execz .LBB287_1762
; %bb.1755:                             ;   in Loop: Header=BB287_15 Depth=1
	v_bfrev_b32_e32 v10, 1
	s_mov_b32 s19, exec_lo
	v_cmpx_ne_u16_e32 0x80, v3
	s_cbranch_execz .LBB287_1761
; %bb.1756:                             ;   in Loop: Header=BB287_15 Depth=1
	v_mov_b32_e32 v0, 0x7f
	v_mov_b32_e32 v10, 0x7c010000
	s_mov_b32 s22, exec_lo
	v_and_b32_sdwa v11, v3, v0 dst_sel:DWORD dst_unused:UNUSED_PAD src0_sel:WORD_0 src1_sel:DWORD
	v_cmpx_ne_u32_e32 0x7f, v11
	s_cbranch_execz .LBB287_1760
; %bb.1757:                             ;   in Loop: Header=BB287_15 Depth=1
	v_mov_b32_e32 v0, 7
	v_lshrrev_b32_e32 v10, 3, v11
	s_mov_b32 s23, exec_lo
	v_and_b32_sdwa v0, v3, v0 dst_sel:DWORD dst_unused:UNUSED_PAD src0_sel:WORD_0 src1_sel:DWORD
	v_cmpx_gt_u32_e32 8, v11
; %bb.1758:                             ;   in Loop: Header=BB287_15 Depth=1
	v_ffbh_u32_e32 v0, v0
	v_min_u32_e32 v0, 32, v0
	v_subrev_nc_u32_e32 v10, 28, v0
	v_lshlrev_b64 v[18:19], v10, v[3:4]
	v_sub_nc_u32_e32 v10, 29, v0
	v_and_b32_e32 v0, 7, v18
; %bb.1759:                             ;   in Loop: Header=BB287_15 Depth=1
	s_or_b32 exec_lo, exec_lo, s23
	v_mov_b32_e32 v11, 8
	v_lshl_add_u32 v10, v10, 10, 0x2000
	v_lshlrev_b32_e32 v0, 23, v0
	v_lshlrev_b32_sdwa v3, v11, v3 dst_sel:DWORD dst_unused:UNUSED_PAD src0_sel:DWORD src1_sel:WORD_0
	v_and_or_b32 v3, 0x8000, v3, v10
	v_lshl_or_b32 v10, v3, 16, v0
.LBB287_1760:                           ;   in Loop: Header=BB287_15 Depth=1
	s_or_b32 exec_lo, exec_lo, s22
.LBB287_1761:                           ;   in Loop: Header=BB287_15 Depth=1
	s_or_b32 exec_lo, exec_lo, s19
.LBB287_1762:                           ;   in Loop: Header=BB287_15 Depth=1
	s_or_b32 exec_lo, exec_lo, s17
	v_lshrrev_b32_e32 v3, 16, v27
	v_cmp_ne_u16_sdwa s5, v3, v4 src0_sel:BYTE_0 src1_sel:DWORD
	s_and_saveexec_b32 s17, s5
	s_cbranch_execz .LBB287_1770
; %bb.1763:                             ;   in Loop: Header=BB287_15 Depth=1
	v_cmp_ne_u16_sdwa s5, v3, v64 src0_sel:BYTE_0 src1_sel:DWORD
	v_mov_b32_e32 v110, 0x8000
	s_and_saveexec_b32 s19, s5
	s_cbranch_execz .LBB287_1769
; %bb.1764:                             ;   in Loop: Header=BB287_15 Depth=1
	v_bfe_u32 v13, v27, 16, 7
	v_mov_b32_e32 v110, 0x7c01
	s_mov_b32 s22, exec_lo
	v_cmpx_ne_u32_e32 0x7f, v13
	s_cbranch_execz .LBB287_1768
; %bb.1765:                             ;   in Loop: Header=BB287_15 Depth=1
	v_and_b32_e32 v0, 7, v3
	v_lshrrev_b32_e32 v11, 3, v13
	s_mov_b32 s23, exec_lo
	v_cmpx_gt_u32_e32 8, v13
; %bb.1766:                             ;   in Loop: Header=BB287_15 Depth=1
	v_ffbh_u32_e32 v0, v0
	v_min_u32_e32 v0, 32, v0
	v_subrev_nc_u32_e32 v11, 28, v0
	v_lshlrev_b64 v[18:19], v11, v[3:4]
	v_sub_nc_u32_e32 v11, 29, v0
	v_and_b32_e32 v0, 7, v18
; %bb.1767:                             ;   in Loop: Header=BB287_15 Depth=1
	s_or_b32 exec_lo, exec_lo, s23
	v_lshlrev_b32_e32 v3, 8, v3
	v_lshl_add_u32 v11, v11, 10, 0x2000
	v_lshlrev_b32_e32 v0, 7, v0
	v_and_b32_e32 v3, 0x8000, v3
	v_and_b32_e32 v11, 0xfc00, v11
	v_or3_b32 v110, v3, v11, v0
.LBB287_1768:                           ;   in Loop: Header=BB287_15 Depth=1
	s_or_b32 exec_lo, exec_lo, s22
.LBB287_1769:                           ;   in Loop: Header=BB287_15 Depth=1
	s_or_b32 exec_lo, exec_lo, s19
.LBB287_1770:                           ;   in Loop: Header=BB287_15 Depth=1
	s_or_b32 exec_lo, exec_lo, s17
	v_mov_b32_e32 v13, 0
	v_mov_b32_e32 v81, 0
	s_mov_b32 s17, exec_lo
	v_cmpx_lt_u32_e32 0xffffff, v27
	s_cbranch_execz .LBB287_1778
; %bb.1771:                             ;   in Loop: Header=BB287_15 Depth=1
	v_lshrrev_b32_e32 v3, 24, v27
	v_bfrev_b32_e32 v81, 1
	s_mov_b32 s19, exec_lo
	v_cmpx_ne_u32_e32 0x80, v3
	s_cbranch_execz .LBB287_1777
; %bb.1772:                             ;   in Loop: Header=BB287_15 Depth=1
	v_and_b32_e32 v18, 0x7f, v3
	v_mov_b32_e32 v81, 0x7c010000
	s_mov_b32 s22, exec_lo
	v_cmpx_ne_u32_e32 0x7f, v18
	s_cbranch_execz .LBB287_1776
; %bb.1773:                             ;   in Loop: Header=BB287_15 Depth=1
	v_and_b32_e32 v0, 7, v3
	v_lshrrev_b32_e32 v11, 3, v18
	s_mov_b32 s23, exec_lo
	v_cmpx_gt_u32_e32 8, v18
; %bb.1774:                             ;   in Loop: Header=BB287_15 Depth=1
	v_ffbh_u32_e32 v0, v0
	v_min_u32_e32 v0, 32, v0
	v_subrev_nc_u32_e32 v11, 28, v0
	v_lshlrev_b64 v[18:19], v11, v[3:4]
	v_sub_nc_u32_e32 v11, 29, v0
	v_and_b32_e32 v0, 7, v18
; %bb.1775:                             ;   in Loop: Header=BB287_15 Depth=1
	s_or_b32 exec_lo, exec_lo, s23
	v_lshlrev_b32_e32 v3, 8, v3
	v_lshl_add_u32 v11, v11, 10, 0x2000
	v_lshlrev_b32_e32 v0, 23, v0
	v_and_or_b32 v3, 0x8000, v3, v11
	v_lshl_or_b32 v81, v3, 16, v0
.LBB287_1776:                           ;   in Loop: Header=BB287_15 Depth=1
	s_or_b32 exec_lo, exec_lo, s22
.LBB287_1777:                           ;   in Loop: Header=BB287_15 Depth=1
	s_or_b32 exec_lo, exec_lo, s19
.LBB287_1778:                           ;   in Loop: Header=BB287_15 Depth=1
	s_or_b32 exec_lo, exec_lo, s17
	v_mov_b32_e32 v3, v28
	v_cmp_ne_u16_sdwa s5, v28, v4 src0_sel:BYTE_0 src1_sel:DWORD
	s_and_saveexec_b32 s17, s5
	s_cbranch_execz .LBB287_1786
; %bb.1779:                             ;   in Loop: Header=BB287_15 Depth=1
	v_cmp_ne_u16_sdwa s5, v28, v64 src0_sel:BYTE_0 src1_sel:DWORD
	v_mov_b32_e32 v13, 0x8000
	s_and_saveexec_b32 s19, s5
	s_cbranch_execz .LBB287_1785
; %bb.1780:                             ;   in Loop: Header=BB287_15 Depth=1
	v_and_b32_e32 v18, 0x7f, v28
	v_mov_b32_e32 v13, 0x7c01
	s_mov_b32 s22, exec_lo
	v_cmpx_ne_u32_e32 0x7f, v18
	s_cbranch_execz .LBB287_1784
; %bb.1781:                             ;   in Loop: Header=BB287_15 Depth=1
	v_and_b32_e32 v0, 7, v28
	v_lshrrev_b32_e32 v11, 3, v18
	s_mov_b32 s23, exec_lo
	v_cmpx_gt_u32_e32 8, v18
; %bb.1782:                             ;   in Loop: Header=BB287_15 Depth=1
	v_ffbh_u32_e32 v0, v0
	v_min_u32_e32 v0, 32, v0
	v_subrev_nc_u32_e32 v11, 28, v0
	v_lshlrev_b64 v[18:19], v11, v[3:4]
	v_sub_nc_u32_e32 v11, 29, v0
	v_and_b32_e32 v0, 7, v18
; %bb.1783:                             ;   in Loop: Header=BB287_15 Depth=1
	s_or_b32 exec_lo, exec_lo, s23
	v_lshlrev_b32_e32 v12, 8, v28
	v_lshl_add_u32 v11, v11, 10, 0x2000
	v_lshlrev_b32_e32 v0, 7, v0
	v_and_b32_e32 v12, 0x8000, v12
	v_and_b32_e32 v11, 0xfc00, v11
	v_or3_b32 v13, v12, v11, v0
.LBB287_1784:                           ;   in Loop: Header=BB287_15 Depth=1
	s_or_b32 exec_lo, exec_lo, s22
.LBB287_1785:                           ;   in Loop: Header=BB287_15 Depth=1
	s_or_b32 exec_lo, exec_lo, s19
.LBB287_1786:                           ;   in Loop: Header=BB287_15 Depth=1
	s_or_b32 exec_lo, exec_lo, s17
	v_lshrrev_b16 v3, 8, v3
	v_mov_b32_e32 v33, 0
	v_mov_b32_e32 v31, 0
	s_mov_b32 s17, exec_lo
	v_cmpx_ne_u16_e32 0, v3
	s_cbranch_execz .LBB287_1794
; %bb.1787:                             ;   in Loop: Header=BB287_15 Depth=1
	v_bfrev_b32_e32 v31, 1
	s_mov_b32 s19, exec_lo
	v_cmpx_ne_u16_e32 0x80, v3
	s_cbranch_execz .LBB287_1793
; %bb.1788:                             ;   in Loop: Header=BB287_15 Depth=1
	v_mov_b32_e32 v0, 0x7f
	v_mov_b32_e32 v31, 0x7c010000
	s_mov_b32 s22, exec_lo
	v_and_b32_sdwa v18, v3, v0 dst_sel:DWORD dst_unused:UNUSED_PAD src0_sel:WORD_0 src1_sel:DWORD
	v_cmpx_ne_u32_e32 0x7f, v18
	s_cbranch_execz .LBB287_1792
; %bb.1789:                             ;   in Loop: Header=BB287_15 Depth=1
	v_mov_b32_e32 v0, 7
	v_lshrrev_b32_e32 v11, 3, v18
	s_mov_b32 s23, exec_lo
	v_and_b32_sdwa v0, v3, v0 dst_sel:DWORD dst_unused:UNUSED_PAD src0_sel:WORD_0 src1_sel:DWORD
	v_cmpx_gt_u32_e32 8, v18
; %bb.1790:                             ;   in Loop: Header=BB287_15 Depth=1
	v_ffbh_u32_e32 v0, v0
	v_min_u32_e32 v0, 32, v0
	v_subrev_nc_u32_e32 v11, 28, v0
	v_lshlrev_b64 v[18:19], v11, v[3:4]
	v_sub_nc_u32_e32 v11, 29, v0
	v_and_b32_e32 v0, 7, v18
; %bb.1791:                             ;   in Loop: Header=BB287_15 Depth=1
	s_or_b32 exec_lo, exec_lo, s23
	v_mov_b32_e32 v12, 8
	v_lshl_add_u32 v11, v11, 10, 0x2000
	v_lshlrev_b32_e32 v0, 23, v0
	v_lshlrev_b32_sdwa v3, v12, v3 dst_sel:DWORD dst_unused:UNUSED_PAD src0_sel:DWORD src1_sel:WORD_0
	v_and_or_b32 v3, 0x8000, v3, v11
	v_lshl_or_b32 v31, v3, 16, v0
.LBB287_1792:                           ;   in Loop: Header=BB287_15 Depth=1
	s_or_b32 exec_lo, exec_lo, s22
.LBB287_1793:                           ;   in Loop: Header=BB287_15 Depth=1
	s_or_b32 exec_lo, exec_lo, s19
.LBB287_1794:                           ;   in Loop: Header=BB287_15 Depth=1
	s_or_b32 exec_lo, exec_lo, s17
	v_lshrrev_b32_e32 v3, 16, v28
	v_cmp_ne_u16_sdwa s5, v3, v4 src0_sel:BYTE_0 src1_sel:DWORD
	s_and_saveexec_b32 s17, s5
	s_cbranch_execz .LBB287_1802
; %bb.1795:                             ;   in Loop: Header=BB287_15 Depth=1
	v_cmp_ne_u16_sdwa s5, v3, v64 src0_sel:BYTE_0 src1_sel:DWORD
	v_mov_b32_e32 v33, 0x8000
	s_and_saveexec_b32 s19, s5
	s_cbranch_execz .LBB287_1801
; %bb.1796:                             ;   in Loop: Header=BB287_15 Depth=1
	v_bfe_u32 v18, v28, 16, 7
	v_mov_b32_e32 v33, 0x7c01
	s_mov_b32 s22, exec_lo
	v_cmpx_ne_u32_e32 0x7f, v18
	s_cbranch_execz .LBB287_1800
; %bb.1797:                             ;   in Loop: Header=BB287_15 Depth=1
	v_and_b32_e32 v0, 7, v3
	v_lshrrev_b32_e32 v11, 3, v18
	s_mov_b32 s23, exec_lo
	v_cmpx_gt_u32_e32 8, v18
; %bb.1798:                             ;   in Loop: Header=BB287_15 Depth=1
	v_ffbh_u32_e32 v0, v0
	v_min_u32_e32 v0, 32, v0
	v_subrev_nc_u32_e32 v11, 28, v0
	v_lshlrev_b64 v[18:19], v11, v[3:4]
	v_sub_nc_u32_e32 v11, 29, v0
	v_and_b32_e32 v0, 7, v18
; %bb.1799:                             ;   in Loop: Header=BB287_15 Depth=1
	s_or_b32 exec_lo, exec_lo, s23
	v_lshlrev_b32_e32 v3, 8, v3
	v_lshl_add_u32 v11, v11, 10, 0x2000
	v_lshlrev_b32_e32 v0, 7, v0
	v_and_b32_e32 v3, 0x8000, v3
	v_and_b32_e32 v11, 0xfc00, v11
	v_or3_b32 v33, v3, v11, v0
.LBB287_1800:                           ;   in Loop: Header=BB287_15 Depth=1
	s_or_b32 exec_lo, exec_lo, s22
.LBB287_1801:                           ;   in Loop: Header=BB287_15 Depth=1
	s_or_b32 exec_lo, exec_lo, s19
.LBB287_1802:                           ;   in Loop: Header=BB287_15 Depth=1
	s_or_b32 exec_lo, exec_lo, s17
	v_mov_b32_e32 v19, 0
	v_mov_b32_e32 v87, 0
	s_mov_b32 s17, exec_lo
	v_cmpx_lt_u64_e64 s[8:9], v[27:28]
	s_cbranch_execz .LBB287_1810
; %bb.1803:                             ;   in Loop: Header=BB287_15 Depth=1
	v_lshrrev_b32_e32 v3, 24, v28
	v_bfrev_b32_e32 v87, 1
	s_mov_b32 s19, exec_lo
	v_cmpx_ne_u32_e32 0x80, v3
	s_cbranch_execz .LBB287_1809
; %bb.1804:                             ;   in Loop: Header=BB287_15 Depth=1
	v_and_b32_e32 v18, 0x7f, v3
	v_mov_b32_e32 v87, 0x7c010000
	s_mov_b32 s22, exec_lo
	v_cmpx_ne_u32_e32 0x7f, v18
	s_cbranch_execz .LBB287_1808
; %bb.1805:                             ;   in Loop: Header=BB287_15 Depth=1
	v_and_b32_e32 v0, 7, v3
	v_lshrrev_b32_e32 v11, 3, v18
	s_mov_b32 s23, exec_lo
	v_cmpx_gt_u32_e32 8, v18
; %bb.1806:                             ;   in Loop: Header=BB287_15 Depth=1
	v_ffbh_u32_e32 v0, v0
	v_min_u32_e32 v0, 32, v0
	v_subrev_nc_u32_e32 v11, 28, v0
	v_lshlrev_b64 v[26:27], v11, v[3:4]
	v_sub_nc_u32_e32 v11, 29, v0
	v_and_b32_e32 v0, 7, v26
; %bb.1807:                             ;   in Loop: Header=BB287_15 Depth=1
	s_or_b32 exec_lo, exec_lo, s23
	v_lshlrev_b32_e32 v3, 8, v3
	v_lshl_add_u32 v11, v11, 10, 0x2000
	v_lshlrev_b32_e32 v0, 23, v0
	v_and_or_b32 v3, 0x8000, v3, v11
	v_lshl_or_b32 v87, v3, 16, v0
.LBB287_1808:                           ;   in Loop: Header=BB287_15 Depth=1
	s_or_b32 exec_lo, exec_lo, s22
.LBB287_1809:                           ;   in Loop: Header=BB287_15 Depth=1
	s_or_b32 exec_lo, exec_lo, s19
.LBB287_1810:                           ;   in Loop: Header=BB287_15 Depth=1
	s_or_b32 exec_lo, exec_lo, s17
	flat_load_dwordx2 v[27:28], v[24:25] offset:1024
	s_waitcnt vmcnt(0) lgkmcnt(0)
	v_cmp_ne_u16_sdwa s5, v27, v4 src0_sel:BYTE_0 src1_sel:DWORD
	s_and_saveexec_b32 s17, s5
	s_cbranch_execz .LBB287_1818
; %bb.1811:                             ;   in Loop: Header=BB287_15 Depth=1
	v_cmp_ne_u16_sdwa s5, v27, v64 src0_sel:BYTE_0 src1_sel:DWORD
	v_mov_b32_e32 v19, 0x8000
	s_and_saveexec_b32 s19, s5
	s_cbranch_execz .LBB287_1817
; %bb.1812:                             ;   in Loop: Header=BB287_15 Depth=1
	v_and_b32_e32 v11, 0x7f, v27
	v_mov_b32_e32 v19, 0x7c01
	s_mov_b32 s22, exec_lo
	v_cmpx_ne_u32_e32 0x7f, v11
	s_cbranch_execz .LBB287_1816
; %bb.1813:                             ;   in Loop: Header=BB287_15 Depth=1
	v_and_b32_e32 v0, 7, v27
	v_lshrrev_b32_e32 v3, 3, v11
	s_mov_b32 s23, exec_lo
	v_cmpx_gt_u32_e32 8, v11
; %bb.1814:                             ;   in Loop: Header=BB287_15 Depth=1
	v_ffbh_u32_e32 v0, v0
	v_min_u32_e32 v0, 32, v0
	v_subrev_nc_u32_e32 v3, 28, v0
	v_lshlrev_b64 v[18:19], v3, v[27:28]
	v_sub_nc_u32_e32 v3, 29, v0
	v_and_b32_e32 v0, 7, v18
; %bb.1815:                             ;   in Loop: Header=BB287_15 Depth=1
	s_or_b32 exec_lo, exec_lo, s23
	v_lshlrev_b32_e32 v11, 8, v27
	v_lshl_add_u32 v3, v3, 10, 0x2000
	v_lshlrev_b32_e32 v0, 7, v0
	v_and_b32_e32 v11, 0x8000, v11
	v_and_b32_e32 v3, 0xfc00, v3
	v_or3_b32 v19, v11, v3, v0
.LBB287_1816:                           ;   in Loop: Header=BB287_15 Depth=1
	s_or_b32 exec_lo, exec_lo, s22
.LBB287_1817:                           ;   in Loop: Header=BB287_15 Depth=1
	s_or_b32 exec_lo, exec_lo, s19
.LBB287_1818:                           ;   in Loop: Header=BB287_15 Depth=1
	s_or_b32 exec_lo, exec_lo, s17
	v_lshrrev_b16 v3, 8, v27
	v_mov_b32_e32 v40, 0
	v_mov_b32_e32 v51, 0
	s_mov_b32 s17, exec_lo
	v_cmpx_ne_u16_e32 0, v3
	s_cbranch_execz .LBB287_1826
; %bb.1819:                             ;   in Loop: Header=BB287_15 Depth=1
	v_bfrev_b32_e32 v51, 1
	s_mov_b32 s19, exec_lo
	v_cmpx_ne_u16_e32 0x80, v3
	s_cbranch_execz .LBB287_1825
; %bb.1820:                             ;   in Loop: Header=BB287_15 Depth=1
	v_mov_b32_e32 v0, 0x7f
	v_mov_b32_e32 v51, 0x7c010000
	s_mov_b32 s22, exec_lo
	v_and_b32_sdwa v18, v3, v0 dst_sel:DWORD dst_unused:UNUSED_PAD src0_sel:WORD_0 src1_sel:DWORD
	v_cmpx_ne_u32_e32 0x7f, v18
	s_cbranch_execz .LBB287_1824
; %bb.1821:                             ;   in Loop: Header=BB287_15 Depth=1
	v_mov_b32_e32 v0, 7
	v_lshrrev_b32_e32 v11, 3, v18
	s_mov_b32 s23, exec_lo
	v_and_b32_sdwa v0, v3, v0 dst_sel:DWORD dst_unused:UNUSED_PAD src0_sel:WORD_0 src1_sel:DWORD
	v_cmpx_gt_u32_e32 8, v18
; %bb.1822:                             ;   in Loop: Header=BB287_15 Depth=1
	v_ffbh_u32_e32 v0, v0
	v_min_u32_e32 v0, 32, v0
	v_subrev_nc_u32_e32 v11, 28, v0
	v_lshlrev_b64 v[96:97], v11, v[3:4]
	v_sub_nc_u32_e32 v11, 29, v0
	v_and_b32_e32 v0, 7, v96
; %bb.1823:                             ;   in Loop: Header=BB287_15 Depth=1
	s_or_b32 exec_lo, exec_lo, s23
	v_mov_b32_e32 v12, 8
	v_lshl_add_u32 v11, v11, 10, 0x2000
	v_lshlrev_b32_e32 v0, 23, v0
	v_lshlrev_b32_sdwa v3, v12, v3 dst_sel:DWORD dst_unused:UNUSED_PAD src0_sel:DWORD src1_sel:WORD_0
	v_and_or_b32 v3, 0x8000, v3, v11
	v_lshl_or_b32 v51, v3, 16, v0
.LBB287_1824:                           ;   in Loop: Header=BB287_15 Depth=1
	s_or_b32 exec_lo, exec_lo, s22
.LBB287_1825:                           ;   in Loop: Header=BB287_15 Depth=1
	s_or_b32 exec_lo, exec_lo, s19
.LBB287_1826:                           ;   in Loop: Header=BB287_15 Depth=1
	s_or_b32 exec_lo, exec_lo, s17
	v_lshrrev_b32_e32 v3, 16, v27
	v_cmp_ne_u16_sdwa s5, v3, v4 src0_sel:BYTE_0 src1_sel:DWORD
	s_and_saveexec_b32 s17, s5
	s_cbranch_execz .LBB287_1834
; %bb.1827:                             ;   in Loop: Header=BB287_15 Depth=1
	v_cmp_ne_u16_sdwa s5, v3, v64 src0_sel:BYTE_0 src1_sel:DWORD
	v_mov_b32_e32 v40, 0x8000
	s_and_saveexec_b32 s19, s5
	s_cbranch_execz .LBB287_1833
; %bb.1828:                             ;   in Loop: Header=BB287_15 Depth=1
	v_bfe_u32 v18, v27, 16, 7
	v_mov_b32_e32 v40, 0x7c01
	s_mov_b32 s22, exec_lo
	v_cmpx_ne_u32_e32 0x7f, v18
	s_cbranch_execz .LBB287_1832
; %bb.1829:                             ;   in Loop: Header=BB287_15 Depth=1
	v_and_b32_e32 v0, 7, v3
	v_lshrrev_b32_e32 v11, 3, v18
	s_mov_b32 s23, exec_lo
	v_cmpx_gt_u32_e32 8, v18
; %bb.1830:                             ;   in Loop: Header=BB287_15 Depth=1
	v_ffbh_u32_e32 v0, v0
	v_min_u32_e32 v0, 32, v0
	v_subrev_nc_u32_e32 v11, 28, v0
	v_lshlrev_b64 v[96:97], v11, v[3:4]
	v_sub_nc_u32_e32 v11, 29, v0
	v_and_b32_e32 v0, 7, v96
; %bb.1831:                             ;   in Loop: Header=BB287_15 Depth=1
	s_or_b32 exec_lo, exec_lo, s23
	v_lshlrev_b32_e32 v3, 8, v3
	v_lshl_add_u32 v11, v11, 10, 0x2000
	v_lshlrev_b32_e32 v0, 7, v0
	v_and_b32_e32 v3, 0x8000, v3
	v_and_b32_e32 v11, 0xfc00, v11
	v_or3_b32 v40, v3, v11, v0
.LBB287_1832:                           ;   in Loop: Header=BB287_15 Depth=1
	s_or_b32 exec_lo, exec_lo, s22
.LBB287_1833:                           ;   in Loop: Header=BB287_15 Depth=1
	s_or_b32 exec_lo, exec_lo, s19
.LBB287_1834:                           ;   in Loop: Header=BB287_15 Depth=1
	s_or_b32 exec_lo, exec_lo, s17
	v_mov_b32_e32 v55, 0
	v_mov_b32_e32 v99, 0
	s_mov_b32 s17, exec_lo
	v_cmpx_lt_u32_e32 0xffffff, v27
	s_cbranch_execz .LBB287_1842
; %bb.1835:                             ;   in Loop: Header=BB287_15 Depth=1
	v_lshrrev_b32_e32 v3, 24, v27
	v_bfrev_b32_e32 v99, 1
	s_mov_b32 s19, exec_lo
	v_cmpx_ne_u32_e32 0x80, v3
	s_cbranch_execz .LBB287_1841
; %bb.1836:                             ;   in Loop: Header=BB287_15 Depth=1
	v_and_b32_e32 v18, 0x7f, v3
	v_mov_b32_e32 v99, 0x7c010000
	s_mov_b32 s22, exec_lo
	v_cmpx_ne_u32_e32 0x7f, v18
	s_cbranch_execz .LBB287_1840
; %bb.1837:                             ;   in Loop: Header=BB287_15 Depth=1
	v_and_b32_e32 v0, 7, v3
	v_lshrrev_b32_e32 v11, 3, v18
	s_mov_b32 s23, exec_lo
	v_cmpx_gt_u32_e32 8, v18
; %bb.1838:                             ;   in Loop: Header=BB287_15 Depth=1
	v_ffbh_u32_e32 v0, v0
	v_min_u32_e32 v0, 32, v0
	v_subrev_nc_u32_e32 v11, 28, v0
	v_lshlrev_b64 v[96:97], v11, v[3:4]
	v_sub_nc_u32_e32 v11, 29, v0
	v_and_b32_e32 v0, 7, v96
; %bb.1839:                             ;   in Loop: Header=BB287_15 Depth=1
	s_or_b32 exec_lo, exec_lo, s23
	v_lshlrev_b32_e32 v3, 8, v3
	v_lshl_add_u32 v11, v11, 10, 0x2000
	v_lshlrev_b32_e32 v0, 23, v0
	v_and_or_b32 v3, 0x8000, v3, v11
	v_lshl_or_b32 v99, v3, 16, v0
.LBB287_1840:                           ;   in Loop: Header=BB287_15 Depth=1
	s_or_b32 exec_lo, exec_lo, s22
.LBB287_1841:                           ;   in Loop: Header=BB287_15 Depth=1
	s_or_b32 exec_lo, exec_lo, s19
.LBB287_1842:                           ;   in Loop: Header=BB287_15 Depth=1
	s_or_b32 exec_lo, exec_lo, s17
	v_mov_b32_e32 v3, v28
	v_cmp_ne_u16_sdwa s5, v28, v4 src0_sel:BYTE_0 src1_sel:DWORD
	s_and_saveexec_b32 s17, s5
	s_cbranch_execz .LBB287_1850
; %bb.1843:                             ;   in Loop: Header=BB287_15 Depth=1
	v_cmp_ne_u16_sdwa s5, v28, v64 src0_sel:BYTE_0 src1_sel:DWORD
	v_mov_b32_e32 v55, 0x8000
	s_and_saveexec_b32 s19, s5
	s_cbranch_execz .LBB287_1849
; %bb.1844:                             ;   in Loop: Header=BB287_15 Depth=1
	v_and_b32_e32 v18, 0x7f, v28
	v_mov_b32_e32 v55, 0x7c01
	s_mov_b32 s22, exec_lo
	v_cmpx_ne_u32_e32 0x7f, v18
	s_cbranch_execz .LBB287_1848
; %bb.1845:                             ;   in Loop: Header=BB287_15 Depth=1
	v_and_b32_e32 v0, 7, v28
	v_lshrrev_b32_e32 v11, 3, v18
	s_mov_b32 s23, exec_lo
	v_cmpx_gt_u32_e32 8, v18
; %bb.1846:                             ;   in Loop: Header=BB287_15 Depth=1
	v_ffbh_u32_e32 v0, v0
	v_min_u32_e32 v0, 32, v0
	v_subrev_nc_u32_e32 v11, 28, v0
	v_lshlrev_b64 v[96:97], v11, v[3:4]
	v_sub_nc_u32_e32 v11, 29, v0
	v_and_b32_e32 v0, 7, v96
; %bb.1847:                             ;   in Loop: Header=BB287_15 Depth=1
	s_or_b32 exec_lo, exec_lo, s23
	v_lshlrev_b32_e32 v12, 8, v28
	v_lshl_add_u32 v11, v11, 10, 0x2000
	v_lshlrev_b32_e32 v0, 7, v0
	v_and_b32_e32 v12, 0x8000, v12
	v_and_b32_e32 v11, 0xfc00, v11
	v_or3_b32 v55, v12, v11, v0
.LBB287_1848:                           ;   in Loop: Header=BB287_15 Depth=1
	s_or_b32 exec_lo, exec_lo, s22
.LBB287_1849:                           ;   in Loop: Header=BB287_15 Depth=1
	s_or_b32 exec_lo, exec_lo, s19
.LBB287_1850:                           ;   in Loop: Header=BB287_15 Depth=1
	s_or_b32 exec_lo, exec_lo, s17
	v_lshrrev_b16 v3, 8, v3
	v_mov_b32_e32 v97, 0
	v_mov_b32_e32 v119, 0
	s_mov_b32 s17, exec_lo
	v_cmpx_ne_u16_e32 0, v3
	s_cbranch_execz .LBB287_1858
; %bb.1851:                             ;   in Loop: Header=BB287_15 Depth=1
	v_bfrev_b32_e32 v119, 1
	s_mov_b32 s19, exec_lo
	v_cmpx_ne_u16_e32 0x80, v3
	s_cbranch_execz .LBB287_1857
; %bb.1852:                             ;   in Loop: Header=BB287_15 Depth=1
	v_mov_b32_e32 v0, 0x7f
	v_mov_b32_e32 v119, 0x7c010000
	s_mov_b32 s22, exec_lo
	v_and_b32_sdwa v18, v3, v0 dst_sel:DWORD dst_unused:UNUSED_PAD src0_sel:WORD_0 src1_sel:DWORD
	v_cmpx_ne_u32_e32 0x7f, v18
	s_cbranch_execz .LBB287_1856
; %bb.1853:                             ;   in Loop: Header=BB287_15 Depth=1
	v_mov_b32_e32 v0, 7
	v_lshrrev_b32_e32 v11, 3, v18
	s_mov_b32 s23, exec_lo
	v_and_b32_sdwa v0, v3, v0 dst_sel:DWORD dst_unused:UNUSED_PAD src0_sel:WORD_0 src1_sel:DWORD
	v_cmpx_gt_u32_e32 8, v18
; %bb.1854:                             ;   in Loop: Header=BB287_15 Depth=1
	v_ffbh_u32_e32 v0, v0
	v_min_u32_e32 v0, 32, v0
	v_subrev_nc_u32_e32 v11, 28, v0
	v_lshlrev_b64 v[102:103], v11, v[3:4]
	v_sub_nc_u32_e32 v11, 29, v0
	v_and_b32_e32 v0, 7, v102
; %bb.1855:                             ;   in Loop: Header=BB287_15 Depth=1
	s_or_b32 exec_lo, exec_lo, s23
	v_mov_b32_e32 v12, 8
	v_lshl_add_u32 v11, v11, 10, 0x2000
	v_lshlrev_b32_e32 v0, 23, v0
	v_lshlrev_b32_sdwa v3, v12, v3 dst_sel:DWORD dst_unused:UNUSED_PAD src0_sel:DWORD src1_sel:WORD_0
	v_and_or_b32 v3, 0x8000, v3, v11
	v_lshl_or_b32 v119, v3, 16, v0
.LBB287_1856:                           ;   in Loop: Header=BB287_15 Depth=1
	s_or_b32 exec_lo, exec_lo, s22
.LBB287_1857:                           ;   in Loop: Header=BB287_15 Depth=1
	s_or_b32 exec_lo, exec_lo, s19
.LBB287_1858:                           ;   in Loop: Header=BB287_15 Depth=1
	s_or_b32 exec_lo, exec_lo, s17
	v_lshrrev_b32_e32 v3, 16, v28
	v_cmp_ne_u16_sdwa s5, v3, v4 src0_sel:BYTE_0 src1_sel:DWORD
	s_and_saveexec_b32 s17, s5
	s_cbranch_execz .LBB287_1866
; %bb.1859:                             ;   in Loop: Header=BB287_15 Depth=1
	v_cmp_ne_u16_sdwa s5, v3, v64 src0_sel:BYTE_0 src1_sel:DWORD
	v_mov_b32_e32 v97, 0x8000
	s_and_saveexec_b32 s19, s5
	s_cbranch_execz .LBB287_1865
; %bb.1860:                             ;   in Loop: Header=BB287_15 Depth=1
	v_bfe_u32 v18, v28, 16, 7
	v_mov_b32_e32 v97, 0x7c01
	s_mov_b32 s22, exec_lo
	v_cmpx_ne_u32_e32 0x7f, v18
	s_cbranch_execz .LBB287_1864
; %bb.1861:                             ;   in Loop: Header=BB287_15 Depth=1
	v_and_b32_e32 v0, 7, v3
	v_lshrrev_b32_e32 v11, 3, v18
	s_mov_b32 s23, exec_lo
	v_cmpx_gt_u32_e32 8, v18
; %bb.1862:                             ;   in Loop: Header=BB287_15 Depth=1
	v_ffbh_u32_e32 v0, v0
	v_min_u32_e32 v0, 32, v0
	v_subrev_nc_u32_e32 v11, 28, v0
	v_lshlrev_b64 v[96:97], v11, v[3:4]
	v_sub_nc_u32_e32 v11, 29, v0
	v_and_b32_e32 v0, 7, v96
; %bb.1863:                             ;   in Loop: Header=BB287_15 Depth=1
	s_or_b32 exec_lo, exec_lo, s23
	v_lshlrev_b32_e32 v3, 8, v3
	v_lshl_add_u32 v11, v11, 10, 0x2000
	v_lshlrev_b32_e32 v0, 7, v0
	v_and_b32_e32 v3, 0x8000, v3
	v_and_b32_e32 v11, 0xfc00, v11
	v_or3_b32 v97, v3, v11, v0
.LBB287_1864:                           ;   in Loop: Header=BB287_15 Depth=1
	s_or_b32 exec_lo, exec_lo, s22
.LBB287_1865:                           ;   in Loop: Header=BB287_15 Depth=1
	s_or_b32 exec_lo, exec_lo, s19
.LBB287_1866:                           ;   in Loop: Header=BB287_15 Depth=1
	s_or_b32 exec_lo, exec_lo, s17
	v_mov_b32_e32 v72, 0
	v_mov_b32_e32 v56, 0
	s_mov_b32 s17, exec_lo
	v_cmpx_lt_u64_e64 s[8:9], v[27:28]
	s_cbranch_execz .LBB287_1874
; %bb.1867:                             ;   in Loop: Header=BB287_15 Depth=1
	v_lshrrev_b32_e32 v3, 24, v28
	v_bfrev_b32_e32 v56, 1
	s_mov_b32 s19, exec_lo
	v_cmpx_ne_u32_e32 0x80, v3
	s_cbranch_execz .LBB287_1873
; %bb.1868:                             ;   in Loop: Header=BB287_15 Depth=1
	v_and_b32_e32 v18, 0x7f, v3
	v_mov_b32_e32 v56, 0x7c010000
	s_mov_b32 s22, exec_lo
	v_cmpx_ne_u32_e32 0x7f, v18
	s_cbranch_execz .LBB287_1872
; %bb.1869:                             ;   in Loop: Header=BB287_15 Depth=1
	v_and_b32_e32 v0, 7, v3
	v_lshrrev_b32_e32 v11, 3, v18
	s_mov_b32 s23, exec_lo
	v_cmpx_gt_u32_e32 8, v18
; %bb.1870:                             ;   in Loop: Header=BB287_15 Depth=1
	v_ffbh_u32_e32 v0, v0
	v_min_u32_e32 v0, 32, v0
	v_subrev_nc_u32_e32 v11, 28, v0
	v_lshlrev_b64 v[26:27], v11, v[3:4]
	v_sub_nc_u32_e32 v11, 29, v0
	v_and_b32_e32 v0, 7, v26
; %bb.1871:                             ;   in Loop: Header=BB287_15 Depth=1
	s_or_b32 exec_lo, exec_lo, s23
	v_lshlrev_b32_e32 v3, 8, v3
	v_lshl_add_u32 v11, v11, 10, 0x2000
	v_lshlrev_b32_e32 v0, 23, v0
	v_and_or_b32 v3, 0x8000, v3, v11
	v_lshl_or_b32 v56, v3, 16, v0
.LBB287_1872:                           ;   in Loop: Header=BB287_15 Depth=1
	s_or_b32 exec_lo, exec_lo, s22
.LBB287_1873:                           ;   in Loop: Header=BB287_15 Depth=1
	s_or_b32 exec_lo, exec_lo, s19
.LBB287_1874:                           ;   in Loop: Header=BB287_15 Depth=1
	s_or_b32 exec_lo, exec_lo, s17
	flat_load_dwordx2 v[27:28], v[24:25] offset:1032
	s_waitcnt vmcnt(0) lgkmcnt(0)
	v_cmp_ne_u16_sdwa s5, v27, v4 src0_sel:BYTE_0 src1_sel:DWORD
	s_and_saveexec_b32 s17, s5
	s_cbranch_execz .LBB287_1882
; %bb.1875:                             ;   in Loop: Header=BB287_15 Depth=1
	v_cmp_ne_u16_sdwa s5, v27, v64 src0_sel:BYTE_0 src1_sel:DWORD
	v_mov_b32_e32 v72, 0x8000
	s_and_saveexec_b32 s19, s5
	s_cbranch_execz .LBB287_1881
; %bb.1876:                             ;   in Loop: Header=BB287_15 Depth=1
	v_and_b32_e32 v11, 0x7f, v27
	v_mov_b32_e32 v72, 0x7c01
	s_mov_b32 s22, exec_lo
	v_cmpx_ne_u32_e32 0x7f, v11
	s_cbranch_execz .LBB287_1880
; %bb.1877:                             ;   in Loop: Header=BB287_15 Depth=1
	v_and_b32_e32 v0, 7, v27
	v_lshrrev_b32_e32 v3, 3, v11
	s_mov_b32 s23, exec_lo
	v_cmpx_gt_u32_e32 8, v11
; %bb.1878:                             ;   in Loop: Header=BB287_15 Depth=1
	v_ffbh_u32_e32 v0, v0
	v_min_u32_e32 v0, 32, v0
	v_subrev_nc_u32_e32 v3, 28, v0
	v_lshlrev_b64 v[102:103], v3, v[27:28]
	v_sub_nc_u32_e32 v3, 29, v0
	v_and_b32_e32 v0, 7, v102
; %bb.1879:                             ;   in Loop: Header=BB287_15 Depth=1
	s_or_b32 exec_lo, exec_lo, s23
	v_lshlrev_b32_e32 v11, 8, v27
	v_lshl_add_u32 v3, v3, 10, 0x2000
	v_lshlrev_b32_e32 v0, 7, v0
	v_and_b32_e32 v11, 0x8000, v11
	v_and_b32_e32 v3, 0xfc00, v3
	v_or3_b32 v72, v11, v3, v0
.LBB287_1880:                           ;   in Loop: Header=BB287_15 Depth=1
	s_or_b32 exec_lo, exec_lo, s22
.LBB287_1881:                           ;   in Loop: Header=BB287_15 Depth=1
	s_or_b32 exec_lo, exec_lo, s19
.LBB287_1882:                           ;   in Loop: Header=BB287_15 Depth=1
	s_or_b32 exec_lo, exec_lo, s17
	v_lshrrev_b16 v3, 8, v27
	v_mov_b32_e32 v113, 0
	v_mov_b32_e32 v91, 0
	s_mov_b32 s17, exec_lo
	v_cmpx_ne_u16_e32 0, v3
	s_cbranch_execz .LBB287_1890
; %bb.1883:                             ;   in Loop: Header=BB287_15 Depth=1
	v_bfrev_b32_e32 v91, 1
	s_mov_b32 s19, exec_lo
	v_cmpx_ne_u16_e32 0x80, v3
	s_cbranch_execz .LBB287_1889
; %bb.1884:                             ;   in Loop: Header=BB287_15 Depth=1
	v_mov_b32_e32 v0, 0x7f
	v_mov_b32_e32 v91, 0x7c010000
	s_mov_b32 s22, exec_lo
	v_and_b32_sdwa v18, v3, v0 dst_sel:DWORD dst_unused:UNUSED_PAD src0_sel:WORD_0 src1_sel:DWORD
	v_cmpx_ne_u32_e32 0x7f, v18
	s_cbranch_execz .LBB287_1888
; %bb.1885:                             ;   in Loop: Header=BB287_15 Depth=1
	v_mov_b32_e32 v0, 7
	v_lshrrev_b32_e32 v11, 3, v18
	s_mov_b32 s23, exec_lo
	v_and_b32_sdwa v0, v3, v0 dst_sel:DWORD dst_unused:UNUSED_PAD src0_sel:WORD_0 src1_sel:DWORD
	v_cmpx_gt_u32_e32 8, v18
; %bb.1886:                             ;   in Loop: Header=BB287_15 Depth=1
	v_ffbh_u32_e32 v0, v0
	v_min_u32_e32 v0, 32, v0
	v_subrev_nc_u32_e32 v11, 28, v0
	v_lshlrev_b64 v[102:103], v11, v[3:4]
	v_sub_nc_u32_e32 v11, 29, v0
	v_and_b32_e32 v0, 7, v102
; %bb.1887:                             ;   in Loop: Header=BB287_15 Depth=1
	s_or_b32 exec_lo, exec_lo, s23
	v_mov_b32_e32 v12, 8
	v_lshl_add_u32 v11, v11, 10, 0x2000
	v_lshlrev_b32_e32 v0, 23, v0
	v_lshlrev_b32_sdwa v3, v12, v3 dst_sel:DWORD dst_unused:UNUSED_PAD src0_sel:DWORD src1_sel:WORD_0
	v_and_or_b32 v3, 0x8000, v3, v11
	v_lshl_or_b32 v91, v3, 16, v0
.LBB287_1888:                           ;   in Loop: Header=BB287_15 Depth=1
	s_or_b32 exec_lo, exec_lo, s22
.LBB287_1889:                           ;   in Loop: Header=BB287_15 Depth=1
	s_or_b32 exec_lo, exec_lo, s19
.LBB287_1890:                           ;   in Loop: Header=BB287_15 Depth=1
	s_or_b32 exec_lo, exec_lo, s17
	v_lshrrev_b32_e32 v3, 16, v27
	v_cmp_ne_u16_sdwa s5, v3, v4 src0_sel:BYTE_0 src1_sel:DWORD
	s_and_saveexec_b32 s17, s5
	s_cbranch_execz .LBB287_1898
; %bb.1891:                             ;   in Loop: Header=BB287_15 Depth=1
	v_cmp_ne_u16_sdwa s5, v3, v64 src0_sel:BYTE_0 src1_sel:DWORD
	v_mov_b32_e32 v113, 0x8000
	s_and_saveexec_b32 s19, s5
	s_cbranch_execz .LBB287_1897
; %bb.1892:                             ;   in Loop: Header=BB287_15 Depth=1
	v_bfe_u32 v18, v27, 16, 7
	v_mov_b32_e32 v113, 0x7c01
	s_mov_b32 s22, exec_lo
	v_cmpx_ne_u32_e32 0x7f, v18
	s_cbranch_execz .LBB287_1896
; %bb.1893:                             ;   in Loop: Header=BB287_15 Depth=1
	v_and_b32_e32 v0, 7, v3
	v_lshrrev_b32_e32 v11, 3, v18
	s_mov_b32 s23, exec_lo
	v_cmpx_gt_u32_e32 8, v18
; %bb.1894:                             ;   in Loop: Header=BB287_15 Depth=1
	v_ffbh_u32_e32 v0, v0
	v_min_u32_e32 v0, 32, v0
	v_subrev_nc_u32_e32 v11, 28, v0
	v_lshlrev_b64 v[102:103], v11, v[3:4]
	v_sub_nc_u32_e32 v11, 29, v0
	v_and_b32_e32 v0, 7, v102
; %bb.1895:                             ;   in Loop: Header=BB287_15 Depth=1
	s_or_b32 exec_lo, exec_lo, s23
	v_lshlrev_b32_e32 v3, 8, v3
	v_lshl_add_u32 v11, v11, 10, 0x2000
	v_lshlrev_b32_e32 v0, 7, v0
	v_and_b32_e32 v3, 0x8000, v3
	v_and_b32_e32 v11, 0xfc00, v11
	v_or3_b32 v113, v3, v11, v0
.LBB287_1896:                           ;   in Loop: Header=BB287_15 Depth=1
	s_or_b32 exec_lo, exec_lo, s22
.LBB287_1897:                           ;   in Loop: Header=BB287_15 Depth=1
	s_or_b32 exec_lo, exec_lo, s19
.LBB287_1898:                           ;   in Loop: Header=BB287_15 Depth=1
	s_or_b32 exec_lo, exec_lo, s17
	v_mov_b32_e32 v88, 0
	v_mov_b32_e32 v123, 0
	s_mov_b32 s17, exec_lo
	v_cmpx_lt_u32_e32 0xffffff, v27
	s_cbranch_execz .LBB287_1906
; %bb.1899:                             ;   in Loop: Header=BB287_15 Depth=1
	v_lshrrev_b32_e32 v3, 24, v27
	v_bfrev_b32_e32 v123, 1
	s_mov_b32 s19, exec_lo
	v_cmpx_ne_u32_e32 0x80, v3
	s_cbranch_execz .LBB287_1905
; %bb.1900:                             ;   in Loop: Header=BB287_15 Depth=1
	v_and_b32_e32 v18, 0x7f, v3
	v_mov_b32_e32 v123, 0x7c010000
	s_mov_b32 s22, exec_lo
	v_cmpx_ne_u32_e32 0x7f, v18
	s_cbranch_execz .LBB287_1904
; %bb.1901:                             ;   in Loop: Header=BB287_15 Depth=1
	v_and_b32_e32 v0, 7, v3
	v_lshrrev_b32_e32 v11, 3, v18
	s_mov_b32 s23, exec_lo
	v_cmpx_gt_u32_e32 8, v18
; %bb.1902:                             ;   in Loop: Header=BB287_15 Depth=1
	v_ffbh_u32_e32 v0, v0
	v_min_u32_e32 v0, 32, v0
	v_subrev_nc_u32_e32 v11, 28, v0
	v_lshlrev_b64 v[102:103], v11, v[3:4]
	v_sub_nc_u32_e32 v11, 29, v0
	v_and_b32_e32 v0, 7, v102
; %bb.1903:                             ;   in Loop: Header=BB287_15 Depth=1
	s_or_b32 exec_lo, exec_lo, s23
	v_lshlrev_b32_e32 v3, 8, v3
	v_lshl_add_u32 v11, v11, 10, 0x2000
	v_lshlrev_b32_e32 v0, 23, v0
	v_and_or_b32 v3, 0x8000, v3, v11
	v_lshl_or_b32 v123, v3, 16, v0
.LBB287_1904:                           ;   in Loop: Header=BB287_15 Depth=1
	s_or_b32 exec_lo, exec_lo, s22
.LBB287_1905:                           ;   in Loop: Header=BB287_15 Depth=1
	s_or_b32 exec_lo, exec_lo, s19
.LBB287_1906:                           ;   in Loop: Header=BB287_15 Depth=1
	s_or_b32 exec_lo, exec_lo, s17
	v_mov_b32_e32 v3, v28
	v_cmp_ne_u16_sdwa s5, v28, v4 src0_sel:BYTE_0 src1_sel:DWORD
	s_and_saveexec_b32 s17, s5
	s_cbranch_execz .LBB287_1914
; %bb.1907:                             ;   in Loop: Header=BB287_15 Depth=1
	v_cmp_ne_u16_sdwa s5, v28, v64 src0_sel:BYTE_0 src1_sel:DWORD
	v_mov_b32_e32 v88, 0x8000
	s_and_saveexec_b32 s19, s5
	s_cbranch_execz .LBB287_1913
; %bb.1908:                             ;   in Loop: Header=BB287_15 Depth=1
	v_and_b32_e32 v18, 0x7f, v28
	v_mov_b32_e32 v88, 0x7c01
	s_mov_b32 s22, exec_lo
	v_cmpx_ne_u32_e32 0x7f, v18
	s_cbranch_execz .LBB287_1912
; %bb.1909:                             ;   in Loop: Header=BB287_15 Depth=1
	v_and_b32_e32 v0, 7, v28
	v_lshrrev_b32_e32 v11, 3, v18
	s_mov_b32 s23, exec_lo
	v_cmpx_gt_u32_e32 8, v18
; %bb.1910:                             ;   in Loop: Header=BB287_15 Depth=1
	v_ffbh_u32_e32 v0, v0
	v_min_u32_e32 v0, 32, v0
	v_subrev_nc_u32_e32 v11, 28, v0
	v_lshlrev_b64 v[102:103], v11, v[3:4]
	v_sub_nc_u32_e32 v11, 29, v0
	v_and_b32_e32 v0, 7, v102
; %bb.1911:                             ;   in Loop: Header=BB287_15 Depth=1
	s_or_b32 exec_lo, exec_lo, s23
	v_lshlrev_b32_e32 v12, 8, v28
	v_lshl_add_u32 v11, v11, 10, 0x2000
	v_lshlrev_b32_e32 v0, 7, v0
	v_and_b32_e32 v12, 0x8000, v12
	v_and_b32_e32 v11, 0xfc00, v11
	v_or3_b32 v88, v12, v11, v0
.LBB287_1912:                           ;   in Loop: Header=BB287_15 Depth=1
	s_or_b32 exec_lo, exec_lo, s22
.LBB287_1913:                           ;   in Loop: Header=BB287_15 Depth=1
	s_or_b32 exec_lo, exec_lo, s19
.LBB287_1914:                           ;   in Loop: Header=BB287_15 Depth=1
	s_or_b32 exec_lo, exec_lo, s17
	v_lshrrev_b16 v3, 8, v3
	v_mov_b32_e32 v74, 0
	v_mov_b32_e32 v53, 0
	s_mov_b32 s17, exec_lo
	v_cmpx_ne_u16_e32 0, v3
	s_cbranch_execz .LBB287_1922
; %bb.1915:                             ;   in Loop: Header=BB287_15 Depth=1
	v_bfrev_b32_e32 v53, 1
	s_mov_b32 s19, exec_lo
	v_cmpx_ne_u16_e32 0x80, v3
	s_cbranch_execz .LBB287_1921
; %bb.1916:                             ;   in Loop: Header=BB287_15 Depth=1
	v_mov_b32_e32 v0, 0x7f
	v_mov_b32_e32 v53, 0x7c010000
	s_mov_b32 s22, exec_lo
	v_and_b32_sdwa v18, v3, v0 dst_sel:DWORD dst_unused:UNUSED_PAD src0_sel:WORD_0 src1_sel:DWORD
	v_cmpx_ne_u32_e32 0x7f, v18
	s_cbranch_execz .LBB287_1920
; %bb.1917:                             ;   in Loop: Header=BB287_15 Depth=1
	v_mov_b32_e32 v0, 7
	v_lshrrev_b32_e32 v11, 3, v18
	s_mov_b32 s23, exec_lo
	v_and_b32_sdwa v0, v3, v0 dst_sel:DWORD dst_unused:UNUSED_PAD src0_sel:WORD_0 src1_sel:DWORD
	v_cmpx_gt_u32_e32 8, v18
; %bb.1918:                             ;   in Loop: Header=BB287_15 Depth=1
	v_ffbh_u32_e32 v0, v0
	v_min_u32_e32 v0, 32, v0
	v_subrev_nc_u32_e32 v11, 28, v0
	v_lshlrev_b64 v[102:103], v11, v[3:4]
	v_sub_nc_u32_e32 v11, 29, v0
	v_and_b32_e32 v0, 7, v102
; %bb.1919:                             ;   in Loop: Header=BB287_15 Depth=1
	s_or_b32 exec_lo, exec_lo, s23
	v_mov_b32_e32 v12, 8
	v_lshl_add_u32 v11, v11, 10, 0x2000
	v_lshlrev_b32_e32 v0, 23, v0
	v_lshlrev_b32_sdwa v3, v12, v3 dst_sel:DWORD dst_unused:UNUSED_PAD src0_sel:DWORD src1_sel:WORD_0
	v_and_or_b32 v3, 0x8000, v3, v11
	v_lshl_or_b32 v53, v3, 16, v0
.LBB287_1920:                           ;   in Loop: Header=BB287_15 Depth=1
	s_or_b32 exec_lo, exec_lo, s22
.LBB287_1921:                           ;   in Loop: Header=BB287_15 Depth=1
	s_or_b32 exec_lo, exec_lo, s19
.LBB287_1922:                           ;   in Loop: Header=BB287_15 Depth=1
	s_or_b32 exec_lo, exec_lo, s17
	v_lshrrev_b32_e32 v3, 16, v28
	v_cmp_ne_u16_sdwa s5, v3, v4 src0_sel:BYTE_0 src1_sel:DWORD
	s_and_saveexec_b32 s17, s5
	s_cbranch_execz .LBB287_1930
; %bb.1923:                             ;   in Loop: Header=BB287_15 Depth=1
	v_cmp_ne_u16_sdwa s5, v3, v64 src0_sel:BYTE_0 src1_sel:DWORD
	v_mov_b32_e32 v74, 0x8000
	s_and_saveexec_b32 s19, s5
	s_cbranch_execz .LBB287_1929
; %bb.1924:                             ;   in Loop: Header=BB287_15 Depth=1
	v_bfe_u32 v18, v28, 16, 7
	v_mov_b32_e32 v74, 0x7c01
	s_mov_b32 s22, exec_lo
	v_cmpx_ne_u32_e32 0x7f, v18
	s_cbranch_execz .LBB287_1928
; %bb.1925:                             ;   in Loop: Header=BB287_15 Depth=1
	v_and_b32_e32 v0, 7, v3
	v_lshrrev_b32_e32 v11, 3, v18
	s_mov_b32 s23, exec_lo
	v_cmpx_gt_u32_e32 8, v18
; %bb.1926:                             ;   in Loop: Header=BB287_15 Depth=1
	v_ffbh_u32_e32 v0, v0
	v_min_u32_e32 v0, 32, v0
	v_subrev_nc_u32_e32 v11, 28, v0
	v_lshlrev_b64 v[102:103], v11, v[3:4]
	v_sub_nc_u32_e32 v11, 29, v0
	v_and_b32_e32 v0, 7, v102
; %bb.1927:                             ;   in Loop: Header=BB287_15 Depth=1
	s_or_b32 exec_lo, exec_lo, s23
	v_lshlrev_b32_e32 v3, 8, v3
	v_lshl_add_u32 v11, v11, 10, 0x2000
	v_lshlrev_b32_e32 v0, 7, v0
	v_and_b32_e32 v3, 0x8000, v3
	v_and_b32_e32 v11, 0xfc00, v11
	v_or3_b32 v74, v3, v11, v0
.LBB287_1928:                           ;   in Loop: Header=BB287_15 Depth=1
	s_or_b32 exec_lo, exec_lo, s22
.LBB287_1929:                           ;   in Loop: Header=BB287_15 Depth=1
	s_or_b32 exec_lo, exec_lo, s19
.LBB287_1930:                           ;   in Loop: Header=BB287_15 Depth=1
	s_or_b32 exec_lo, exec_lo, s17
	v_mov_b32_e32 v67, 0
	v_mov_b32_e32 v96, 0
	s_mov_b32 s17, exec_lo
	v_cmpx_lt_u64_e64 s[8:9], v[27:28]
	s_cbranch_execz .LBB287_1938
; %bb.1931:                             ;   in Loop: Header=BB287_15 Depth=1
	v_lshrrev_b32_e32 v3, 24, v28
	v_bfrev_b32_e32 v96, 1
	s_mov_b32 s19, exec_lo
	v_cmpx_ne_u32_e32 0x80, v3
	s_cbranch_execz .LBB287_1937
; %bb.1932:                             ;   in Loop: Header=BB287_15 Depth=1
	v_and_b32_e32 v18, 0x7f, v3
	v_mov_b32_e32 v96, 0x7c010000
	s_mov_b32 s22, exec_lo
	v_cmpx_ne_u32_e32 0x7f, v18
	s_cbranch_execz .LBB287_1936
; %bb.1933:                             ;   in Loop: Header=BB287_15 Depth=1
	v_and_b32_e32 v0, 7, v3
	v_lshrrev_b32_e32 v11, 3, v18
	s_mov_b32 s23, exec_lo
	v_cmpx_gt_u32_e32 8, v18
; %bb.1934:                             ;   in Loop: Header=BB287_15 Depth=1
	v_ffbh_u32_e32 v0, v0
	v_min_u32_e32 v0, 32, v0
	v_subrev_nc_u32_e32 v11, 28, v0
	v_lshlrev_b64 v[26:27], v11, v[3:4]
	v_sub_nc_u32_e32 v11, 29, v0
	v_and_b32_e32 v0, 7, v26
; %bb.1935:                             ;   in Loop: Header=BB287_15 Depth=1
	s_or_b32 exec_lo, exec_lo, s23
	v_lshlrev_b32_e32 v3, 8, v3
	v_lshl_add_u32 v11, v11, 10, 0x2000
	v_lshlrev_b32_e32 v0, 23, v0
	v_and_or_b32 v3, 0x8000, v3, v11
	v_lshl_or_b32 v96, v3, 16, v0
.LBB287_1936:                           ;   in Loop: Header=BB287_15 Depth=1
	s_or_b32 exec_lo, exec_lo, s22
.LBB287_1937:                           ;   in Loop: Header=BB287_15 Depth=1
	s_or_b32 exec_lo, exec_lo, s19
.LBB287_1938:                           ;   in Loop: Header=BB287_15 Depth=1
	s_or_b32 exec_lo, exec_lo, s17
	flat_load_dwordx2 v[27:28], v[24:25] offset:1536
	s_waitcnt vmcnt(0) lgkmcnt(0)
	v_cmp_ne_u16_sdwa s5, v27, v4 src0_sel:BYTE_0 src1_sel:DWORD
	s_and_saveexec_b32 s17, s5
	s_cbranch_execz .LBB287_1946
; %bb.1939:                             ;   in Loop: Header=BB287_15 Depth=1
	v_cmp_ne_u16_sdwa s5, v27, v64 src0_sel:BYTE_0 src1_sel:DWORD
	v_mov_b32_e32 v67, 0x8000
	s_and_saveexec_b32 s19, s5
	s_cbranch_execz .LBB287_1945
; %bb.1940:                             ;   in Loop: Header=BB287_15 Depth=1
	v_and_b32_e32 v11, 0x7f, v27
	v_mov_b32_e32 v67, 0x7c01
	s_mov_b32 s22, exec_lo
	v_cmpx_ne_u32_e32 0x7f, v11
	s_cbranch_execz .LBB287_1944
; %bb.1941:                             ;   in Loop: Header=BB287_15 Depth=1
	v_and_b32_e32 v0, 7, v27
	v_lshrrev_b32_e32 v3, 3, v11
	s_mov_b32 s23, exec_lo
	v_cmpx_gt_u32_e32 8, v11
; %bb.1942:                             ;   in Loop: Header=BB287_15 Depth=1
	v_ffbh_u32_e32 v0, v0
	v_min_u32_e32 v0, 32, v0
	v_subrev_nc_u32_e32 v3, 28, v0
	v_lshlrev_b64 v[102:103], v3, v[27:28]
	v_sub_nc_u32_e32 v3, 29, v0
	v_and_b32_e32 v0, 7, v102
; %bb.1943:                             ;   in Loop: Header=BB287_15 Depth=1
	s_or_b32 exec_lo, exec_lo, s23
	v_lshlrev_b32_e32 v11, 8, v27
	v_lshl_add_u32 v3, v3, 10, 0x2000
	v_lshlrev_b32_e32 v0, 7, v0
	v_and_b32_e32 v11, 0x8000, v11
	v_and_b32_e32 v3, 0xfc00, v3
	v_or3_b32 v67, v11, v3, v0
.LBB287_1944:                           ;   in Loop: Header=BB287_15 Depth=1
	s_or_b32 exec_lo, exec_lo, s22
.LBB287_1945:                           ;   in Loop: Header=BB287_15 Depth=1
	s_or_b32 exec_lo, exec_lo, s19
.LBB287_1946:                           ;   in Loop: Header=BB287_15 Depth=1
	s_or_b32 exec_lo, exec_lo, s17
	v_lshrrev_b16 v3, 8, v27
	v_mov_b32_e32 v112, 0
	v_mov_b32_e32 v107, 0
	s_mov_b32 s17, exec_lo
	v_cmpx_ne_u16_e32 0, v3
	s_cbranch_execz .LBB287_1954
; %bb.1947:                             ;   in Loop: Header=BB287_15 Depth=1
	v_bfrev_b32_e32 v107, 1
	s_mov_b32 s19, exec_lo
	v_cmpx_ne_u16_e32 0x80, v3
	s_cbranch_execz .LBB287_1953
; %bb.1948:                             ;   in Loop: Header=BB287_15 Depth=1
	v_mov_b32_e32 v0, 0x7f
	v_mov_b32_e32 v107, 0x7c010000
	s_mov_b32 s22, exec_lo
	v_and_b32_sdwa v18, v3, v0 dst_sel:DWORD dst_unused:UNUSED_PAD src0_sel:WORD_0 src1_sel:DWORD
	v_cmpx_ne_u32_e32 0x7f, v18
	s_cbranch_execz .LBB287_1952
; %bb.1949:                             ;   in Loop: Header=BB287_15 Depth=1
	v_mov_b32_e32 v0, 7
	v_lshrrev_b32_e32 v11, 3, v18
	s_mov_b32 s23, exec_lo
	v_and_b32_sdwa v0, v3, v0 dst_sel:DWORD dst_unused:UNUSED_PAD src0_sel:WORD_0 src1_sel:DWORD
	v_cmpx_gt_u32_e32 8, v18
; %bb.1950:                             ;   in Loop: Header=BB287_15 Depth=1
	v_ffbh_u32_e32 v0, v0
	v_min_u32_e32 v0, 32, v0
	v_subrev_nc_u32_e32 v11, 28, v0
	v_lshlrev_b64 v[102:103], v11, v[3:4]
	v_sub_nc_u32_e32 v11, 29, v0
	v_and_b32_e32 v0, 7, v102
; %bb.1951:                             ;   in Loop: Header=BB287_15 Depth=1
	s_or_b32 exec_lo, exec_lo, s23
	v_mov_b32_e32 v12, 8
	v_lshl_add_u32 v11, v11, 10, 0x2000
	v_lshlrev_b32_e32 v0, 23, v0
	v_lshlrev_b32_sdwa v3, v12, v3 dst_sel:DWORD dst_unused:UNUSED_PAD src0_sel:DWORD src1_sel:WORD_0
	v_and_or_b32 v3, 0x8000, v3, v11
	v_lshl_or_b32 v107, v3, 16, v0
.LBB287_1952:                           ;   in Loop: Header=BB287_15 Depth=1
	s_or_b32 exec_lo, exec_lo, s22
.LBB287_1953:                           ;   in Loop: Header=BB287_15 Depth=1
	s_or_b32 exec_lo, exec_lo, s19
.LBB287_1954:                           ;   in Loop: Header=BB287_15 Depth=1
	s_or_b32 exec_lo, exec_lo, s17
	v_lshrrev_b32_e32 v3, 16, v27
	v_cmp_ne_u16_sdwa s5, v3, v4 src0_sel:BYTE_0 src1_sel:DWORD
	s_and_saveexec_b32 s17, s5
	s_cbranch_execz .LBB287_1962
; %bb.1955:                             ;   in Loop: Header=BB287_15 Depth=1
	v_cmp_ne_u16_sdwa s5, v3, v64 src0_sel:BYTE_0 src1_sel:DWORD
	v_mov_b32_e32 v112, 0x8000
	s_and_saveexec_b32 s19, s5
	s_cbranch_execz .LBB287_1961
; %bb.1956:                             ;   in Loop: Header=BB287_15 Depth=1
	v_bfe_u32 v18, v27, 16, 7
	v_mov_b32_e32 v112, 0x7c01
	s_mov_b32 s22, exec_lo
	v_cmpx_ne_u32_e32 0x7f, v18
	s_cbranch_execz .LBB287_1960
; %bb.1957:                             ;   in Loop: Header=BB287_15 Depth=1
	v_and_b32_e32 v0, 7, v3
	v_lshrrev_b32_e32 v11, 3, v18
	s_mov_b32 s23, exec_lo
	v_cmpx_gt_u32_e32 8, v18
; %bb.1958:                             ;   in Loop: Header=BB287_15 Depth=1
	v_ffbh_u32_e32 v0, v0
	v_min_u32_e32 v0, 32, v0
	v_subrev_nc_u32_e32 v11, 28, v0
	v_lshlrev_b64 v[102:103], v11, v[3:4]
	v_sub_nc_u32_e32 v11, 29, v0
	v_and_b32_e32 v0, 7, v102
; %bb.1959:                             ;   in Loop: Header=BB287_15 Depth=1
	s_or_b32 exec_lo, exec_lo, s23
	v_lshlrev_b32_e32 v3, 8, v3
	v_lshl_add_u32 v11, v11, 10, 0x2000
	v_lshlrev_b32_e32 v0, 7, v0
	v_and_b32_e32 v3, 0x8000, v3
	v_and_b32_e32 v11, 0xfc00, v11
	v_or3_b32 v112, v3, v11, v0
.LBB287_1960:                           ;   in Loop: Header=BB287_15 Depth=1
	s_or_b32 exec_lo, exec_lo, s22
.LBB287_1961:                           ;   in Loop: Header=BB287_15 Depth=1
	s_or_b32 exec_lo, exec_lo, s19
.LBB287_1962:                           ;   in Loop: Header=BB287_15 Depth=1
	s_or_b32 exec_lo, exec_lo, s17
	v_mov_b32_e32 v115, 0
	v_mov_b32_e32 v102, 0
	s_mov_b32 s17, exec_lo
	v_cmpx_lt_u32_e32 0xffffff, v27
	s_cbranch_execz .LBB287_1970
; %bb.1963:                             ;   in Loop: Header=BB287_15 Depth=1
	v_lshrrev_b32_e32 v3, 24, v27
	v_bfrev_b32_e32 v102, 1
	s_mov_b32 s19, exec_lo
	v_cmpx_ne_u32_e32 0x80, v3
	s_cbranch_execz .LBB287_1969
; %bb.1964:                             ;   in Loop: Header=BB287_15 Depth=1
	v_and_b32_e32 v18, 0x7f, v3
	v_mov_b32_e32 v102, 0x7c010000
	s_mov_b32 s22, exec_lo
	v_cmpx_ne_u32_e32 0x7f, v18
	s_cbranch_execz .LBB287_1968
; %bb.1965:                             ;   in Loop: Header=BB287_15 Depth=1
	v_and_b32_e32 v0, 7, v3
	v_lshrrev_b32_e32 v11, 3, v18
	s_mov_b32 s23, exec_lo
	v_cmpx_gt_u32_e32 8, v18
; %bb.1966:                             ;   in Loop: Header=BB287_15 Depth=1
	v_ffbh_u32_e32 v0, v0
	v_min_u32_e32 v0, 32, v0
	v_subrev_nc_u32_e32 v11, 28, v0
	v_lshlrev_b64 v[102:103], v11, v[3:4]
	v_sub_nc_u32_e32 v11, 29, v0
	v_and_b32_e32 v0, 7, v102
; %bb.1967:                             ;   in Loop: Header=BB287_15 Depth=1
	s_or_b32 exec_lo, exec_lo, s23
	v_lshlrev_b32_e32 v3, 8, v3
	v_lshl_add_u32 v11, v11, 10, 0x2000
	v_lshlrev_b32_e32 v0, 23, v0
	v_and_or_b32 v3, 0x8000, v3, v11
	v_lshl_or_b32 v102, v3, 16, v0
.LBB287_1968:                           ;   in Loop: Header=BB287_15 Depth=1
	s_or_b32 exec_lo, exec_lo, s22
.LBB287_1969:                           ;   in Loop: Header=BB287_15 Depth=1
	s_or_b32 exec_lo, exec_lo, s19
.LBB287_1970:                           ;   in Loop: Header=BB287_15 Depth=1
	s_or_b32 exec_lo, exec_lo, s17
	v_mov_b32_e32 v3, v28
	v_cmp_ne_u16_sdwa s5, v28, v4 src0_sel:BYTE_0 src1_sel:DWORD
	s_mov_b32 s17, exec_lo
	v_mov_b32_e32 v2, v21
	s_and_b32 s5, s17, s5
	s_mov_b32 exec_lo, s5
	s_cbranch_execz .LBB287_1978
; %bb.1971:                             ;   in Loop: Header=BB287_15 Depth=1
	v_cmp_ne_u16_sdwa s5, v28, v64 src0_sel:BYTE_0 src1_sel:DWORD
	v_mov_b32_e32 v115, 0x8000
	s_and_saveexec_b32 s19, s5
	s_cbranch_execz .LBB287_1977
; %bb.1972:                             ;   in Loop: Header=BB287_15 Depth=1
	v_and_b32_e32 v18, 0x7f, v28
	v_mov_b32_e32 v115, 0x7c01
	s_mov_b32 s22, exec_lo
	v_cmpx_ne_u32_e32 0x7f, v18
	s_cbranch_execz .LBB287_1976
; %bb.1973:                             ;   in Loop: Header=BB287_15 Depth=1
	v_and_b32_e32 v0, 7, v28
	v_lshrrev_b32_e32 v11, 3, v18
	s_mov_b32 s23, exec_lo
	v_cmpx_gt_u32_e32 8, v18
; %bb.1974:                             ;   in Loop: Header=BB287_15 Depth=1
	v_ffbh_u32_e32 v0, v0
	v_min_u32_e32 v0, 32, v0
	v_subrev_nc_u32_e32 v11, 28, v0
	v_lshlrev_b64 v[115:116], v11, v[3:4]
	v_sub_nc_u32_e32 v11, 29, v0
	v_and_b32_e32 v0, 7, v115
; %bb.1975:                             ;   in Loop: Header=BB287_15 Depth=1
	s_or_b32 exec_lo, exec_lo, s23
	v_lshlrev_b32_e32 v12, 8, v28
	v_lshl_add_u32 v11, v11, 10, 0x2000
	v_lshlrev_b32_e32 v0, 7, v0
	v_and_b32_e32 v12, 0x8000, v12
	v_and_b32_e32 v11, 0xfc00, v11
	v_or3_b32 v115, v12, v11, v0
.LBB287_1976:                           ;   in Loop: Header=BB287_15 Depth=1
	s_or_b32 exec_lo, exec_lo, s22
.LBB287_1977:                           ;   in Loop: Header=BB287_15 Depth=1
	s_or_b32 exec_lo, exec_lo, s19
.LBB287_1978:                           ;   in Loop: Header=BB287_15 Depth=1
	s_or_b32 exec_lo, exec_lo, s17
	v_lshrrev_b16 v3, 8, v3
	v_mov_b32_e32 v69, 0
	v_mov_b32_e32 v58, 0
	s_mov_b32 s17, exec_lo
	v_cmpx_ne_u16_e32 0, v3
	s_cbranch_execz .LBB287_1986
; %bb.1979:                             ;   in Loop: Header=BB287_15 Depth=1
	v_bfrev_b32_e32 v58, 1
	s_mov_b32 s19, exec_lo
	v_cmpx_ne_u16_e32 0x80, v3
	s_cbranch_execz .LBB287_1985
; %bb.1980:                             ;   in Loop: Header=BB287_15 Depth=1
	v_mov_b32_e32 v0, 0x7f
	v_mov_b32_e32 v58, 0x7c010000
	s_mov_b32 s22, exec_lo
	v_and_b32_sdwa v18, v3, v0 dst_sel:DWORD dst_unused:UNUSED_PAD src0_sel:WORD_0 src1_sel:DWORD
	v_cmpx_ne_u32_e32 0x7f, v18
	s_cbranch_execz .LBB287_1984
; %bb.1981:                             ;   in Loop: Header=BB287_15 Depth=1
	v_mov_b32_e32 v0, 7
	v_lshrrev_b32_e32 v11, 3, v18
	s_mov_b32 s23, exec_lo
	v_and_b32_sdwa v0, v3, v0 dst_sel:DWORD dst_unused:UNUSED_PAD src0_sel:WORD_0 src1_sel:DWORD
	v_cmpx_gt_u32_e32 8, v18
; %bb.1982:                             ;   in Loop: Header=BB287_15 Depth=1
	v_ffbh_u32_e32 v0, v0
	v_min_u32_e32 v0, 32, v0
	v_subrev_nc_u32_e32 v11, 28, v0
	v_lshlrev_b64 v[103:104], v11, v[3:4]
	v_sub_nc_u32_e32 v11, 29, v0
	v_and_b32_e32 v0, 7, v103
; %bb.1983:                             ;   in Loop: Header=BB287_15 Depth=1
	s_or_b32 exec_lo, exec_lo, s23
	v_mov_b32_e32 v12, 8
	v_lshl_add_u32 v11, v11, 10, 0x2000
	v_lshlrev_b32_e32 v0, 23, v0
	v_lshlrev_b32_sdwa v3, v12, v3 dst_sel:DWORD dst_unused:UNUSED_PAD src0_sel:DWORD src1_sel:WORD_0
	v_and_or_b32 v3, 0x8000, v3, v11
	v_lshl_or_b32 v58, v3, 16, v0
.LBB287_1984:                           ;   in Loop: Header=BB287_15 Depth=1
	s_or_b32 exec_lo, exec_lo, s22
.LBB287_1985:                           ;   in Loop: Header=BB287_15 Depth=1
	s_or_b32 exec_lo, exec_lo, s19
.LBB287_1986:                           ;   in Loop: Header=BB287_15 Depth=1
	s_or_b32 exec_lo, exec_lo, s17
	v_lshrrev_b32_e32 v3, 16, v28
	v_cmp_ne_u16_sdwa s5, v3, v4 src0_sel:BYTE_0 src1_sel:DWORD
	s_and_saveexec_b32 s17, s5
	s_cbranch_execz .LBB287_1994
; %bb.1987:                             ;   in Loop: Header=BB287_15 Depth=1
	v_cmp_ne_u16_sdwa s5, v3, v64 src0_sel:BYTE_0 src1_sel:DWORD
	v_mov_b32_e32 v69, 0x8000
	s_and_saveexec_b32 s19, s5
	s_cbranch_execz .LBB287_1993
; %bb.1988:                             ;   in Loop: Header=BB287_15 Depth=1
	v_bfe_u32 v18, v28, 16, 7
	v_mov_b32_e32 v69, 0x7c01
	s_mov_b32 s22, exec_lo
	v_cmpx_ne_u32_e32 0x7f, v18
	s_cbranch_execz .LBB287_1992
; %bb.1989:                             ;   in Loop: Header=BB287_15 Depth=1
	v_and_b32_e32 v0, 7, v3
	v_lshrrev_b32_e32 v11, 3, v18
	s_mov_b32 s23, exec_lo
	v_cmpx_gt_u32_e32 8, v18
; %bb.1990:                             ;   in Loop: Header=BB287_15 Depth=1
	v_ffbh_u32_e32 v0, v0
	v_min_u32_e32 v0, 32, v0
	v_subrev_nc_u32_e32 v11, 28, v0
	v_lshlrev_b64 v[103:104], v11, v[3:4]
	v_sub_nc_u32_e32 v11, 29, v0
	v_and_b32_e32 v0, 7, v103
; %bb.1991:                             ;   in Loop: Header=BB287_15 Depth=1
	s_or_b32 exec_lo, exec_lo, s23
	v_lshlrev_b32_e32 v3, 8, v3
	v_lshl_add_u32 v11, v11, 10, 0x2000
	v_lshlrev_b32_e32 v0, 7, v0
	v_and_b32_e32 v3, 0x8000, v3
	v_and_b32_e32 v11, 0xfc00, v11
	v_or3_b32 v69, v3, v11, v0
.LBB287_1992:                           ;   in Loop: Header=BB287_15 Depth=1
	s_or_b32 exec_lo, exec_lo, s22
.LBB287_1993:                           ;   in Loop: Header=BB287_15 Depth=1
	s_or_b32 exec_lo, exec_lo, s19
.LBB287_1994:                           ;   in Loop: Header=BB287_15 Depth=1
	s_or_b32 exec_lo, exec_lo, s17
	v_mov_b32_e32 v26, 0
	v_mov_b32_e32 v103, 0
	s_mov_b32 s17, exec_lo
	v_cmpx_lt_u64_e64 s[8:9], v[27:28]
	s_cbranch_execz .LBB287_2002
; %bb.1995:                             ;   in Loop: Header=BB287_15 Depth=1
	v_lshrrev_b32_e32 v3, 24, v28
	v_bfrev_b32_e32 v103, 1
	s_mov_b32 s19, exec_lo
	v_cmpx_ne_u32_e32 0x80, v3
	s_cbranch_execz .LBB287_2001
; %bb.1996:                             ;   in Loop: Header=BB287_15 Depth=1
	v_and_b32_e32 v18, 0x7f, v3
	v_mov_b32_e32 v103, 0x7c010000
	s_mov_b32 s22, exec_lo
	v_cmpx_ne_u32_e32 0x7f, v18
	s_cbranch_execz .LBB287_2000
; %bb.1997:                             ;   in Loop: Header=BB287_15 Depth=1
	v_and_b32_e32 v0, 7, v3
	v_lshrrev_b32_e32 v11, 3, v18
	s_mov_b32 s23, exec_lo
	v_cmpx_gt_u32_e32 8, v18
; %bb.1998:                             ;   in Loop: Header=BB287_15 Depth=1
	v_ffbh_u32_e32 v0, v0
	v_min_u32_e32 v0, 32, v0
	v_subrev_nc_u32_e32 v11, 28, v0
	v_lshlrev_b64 v[27:28], v11, v[3:4]
	v_sub_nc_u32_e32 v11, 29, v0
	v_and_b32_e32 v0, 7, v27
; %bb.1999:                             ;   in Loop: Header=BB287_15 Depth=1
	s_or_b32 exec_lo, exec_lo, s23
	v_lshlrev_b32_e32 v3, 8, v3
	v_lshl_add_u32 v11, v11, 10, 0x2000
	v_lshlrev_b32_e32 v0, 23, v0
	v_and_or_b32 v3, 0x8000, v3, v11
	v_lshl_or_b32 v103, v3, 16, v0
.LBB287_2000:                           ;   in Loop: Header=BB287_15 Depth=1
	s_or_b32 exec_lo, exec_lo, s22
.LBB287_2001:                           ;   in Loop: Header=BB287_15 Depth=1
	s_or_b32 exec_lo, exec_lo, s19
.LBB287_2002:                           ;   in Loop: Header=BB287_15 Depth=1
	s_or_b32 exec_lo, exec_lo, s17
	flat_load_dwordx2 v[24:25], v[24:25] offset:1544
	s_waitcnt vmcnt(0) lgkmcnt(0)
	v_cmp_ne_u16_sdwa s5, v24, v4 src0_sel:BYTE_0 src1_sel:DWORD
	s_and_saveexec_b32 s17, s5
	s_cbranch_execz .LBB287_2010
; %bb.2003:                             ;   in Loop: Header=BB287_15 Depth=1
	v_cmp_ne_u16_sdwa s5, v24, v64 src0_sel:BYTE_0 src1_sel:DWORD
	v_mov_b32_e32 v26, 0x8000
	s_and_saveexec_b32 s19, s5
	s_cbranch_execz .LBB287_2009
; %bb.2004:                             ;   in Loop: Header=BB287_15 Depth=1
	v_and_b32_e32 v11, 0x7f, v24
	v_mov_b32_e32 v26, 0x7c01
	s_mov_b32 s22, exec_lo
	v_cmpx_ne_u32_e32 0x7f, v11
	s_cbranch_execz .LBB287_2008
; %bb.2005:                             ;   in Loop: Header=BB287_15 Depth=1
	v_and_b32_e32 v0, 7, v24
	v_lshrrev_b32_e32 v3, 3, v11
	s_mov_b32 s23, exec_lo
	v_cmpx_gt_u32_e32 8, v11
; %bb.2006:                             ;   in Loop: Header=BB287_15 Depth=1
	v_ffbh_u32_e32 v0, v0
	v_min_u32_e32 v0, 32, v0
	v_subrev_nc_u32_e32 v3, 28, v0
	v_lshlrev_b64 v[26:27], v3, v[24:25]
	v_sub_nc_u32_e32 v3, 29, v0
	v_and_b32_e32 v0, 7, v26
; %bb.2007:                             ;   in Loop: Header=BB287_15 Depth=1
	s_or_b32 exec_lo, exec_lo, s23
	v_lshlrev_b32_e32 v11, 8, v24
	v_lshl_add_u32 v3, v3, 10, 0x2000
	v_lshlrev_b32_e32 v0, 7, v0
	v_and_b32_e32 v11, 0x8000, v11
	v_and_b32_e32 v3, 0xfc00, v3
	v_or3_b32 v26, v11, v3, v0
.LBB287_2008:                           ;   in Loop: Header=BB287_15 Depth=1
	s_or_b32 exec_lo, exec_lo, s22
.LBB287_2009:                           ;   in Loop: Header=BB287_15 Depth=1
	s_or_b32 exec_lo, exec_lo, s19
.LBB287_2010:                           ;   in Loop: Header=BB287_15 Depth=1
	s_or_b32 exec_lo, exec_lo, s17
	v_lshrrev_b16 v3, 8, v24
	v_mov_b32_e32 v0, 0
	v_mov_b32_e32 v18, 0
	s_mov_b32 s17, exec_lo
	v_cmpx_ne_u16_e32 0, v3
	s_cbranch_execz .LBB287_2018
; %bb.2011:                             ;   in Loop: Header=BB287_15 Depth=1
	v_bfrev_b32_e32 v18, 1
	s_mov_b32 s19, exec_lo
	v_cmpx_ne_u16_e32 0x80, v3
	s_cbranch_execz .LBB287_2017
; %bb.2012:                             ;   in Loop: Header=BB287_15 Depth=1
	v_mov_b32_e32 v11, 0x7f
	v_mov_b32_e32 v18, 0x7c010000
	s_mov_b32 s22, exec_lo
	v_and_b32_sdwa v21, v3, v11 dst_sel:DWORD dst_unused:UNUSED_PAD src0_sel:WORD_0 src1_sel:DWORD
	v_cmpx_ne_u32_e32 0x7f, v21
	s_cbranch_execz .LBB287_2016
; %bb.2013:                             ;   in Loop: Header=BB287_15 Depth=1
	v_mov_b32_e32 v11, 7
	v_lshrrev_b32_e32 v18, 3, v21
	s_mov_b32 s23, exec_lo
	v_and_b32_sdwa v11, v3, v11 dst_sel:DWORD dst_unused:UNUSED_PAD src0_sel:WORD_0 src1_sel:DWORD
	v_cmpx_gt_u32_e32 8, v21
; %bb.2014:                             ;   in Loop: Header=BB287_15 Depth=1
	v_ffbh_u32_e32 v11, v11
	v_min_u32_e32 v11, 32, v11
	v_subrev_nc_u32_e32 v12, 28, v11
	v_sub_nc_u32_e32 v18, 29, v11
	v_lshlrev_b64 v[27:28], v12, v[3:4]
	v_and_b32_e32 v11, 7, v27
; %bb.2015:                             ;   in Loop: Header=BB287_15 Depth=1
	s_or_b32 exec_lo, exec_lo, s23
	v_mov_b32_e32 v12, 8
	v_lshlrev_b32_e32 v11, 23, v11
	v_lshlrev_b32_sdwa v3, v12, v3 dst_sel:DWORD dst_unused:UNUSED_PAD src0_sel:DWORD src1_sel:WORD_0
	v_lshl_add_u32 v12, v18, 10, 0x2000
	v_and_or_b32 v3, 0x8000, v3, v12
	v_lshl_or_b32 v18, v3, 16, v11
.LBB287_2016:                           ;   in Loop: Header=BB287_15 Depth=1
	s_or_b32 exec_lo, exec_lo, s22
.LBB287_2017:                           ;   in Loop: Header=BB287_15 Depth=1
	s_or_b32 exec_lo, exec_lo, s19
.LBB287_2018:                           ;   in Loop: Header=BB287_15 Depth=1
	s_or_b32 exec_lo, exec_lo, s17
	v_lshrrev_b32_e32 v3, 16, v24
	v_cmp_ne_u16_sdwa s5, v3, v4 src0_sel:BYTE_0 src1_sel:DWORD
	s_and_saveexec_b32 s17, s5
	s_cbranch_execz .LBB287_2026
; %bb.2019:                             ;   in Loop: Header=BB287_15 Depth=1
	v_cmp_ne_u16_sdwa s5, v3, v64 src0_sel:BYTE_0 src1_sel:DWORD
	v_mov_b32_e32 v0, 0x8000
	s_and_saveexec_b32 s19, s5
	s_cbranch_execz .LBB287_2025
; %bb.2020:                             ;   in Loop: Header=BB287_15 Depth=1
	v_bfe_u32 v21, v24, 16, 7
	v_mov_b32_e32 v0, 0x7c01
	s_mov_b32 s22, exec_lo
	v_cmpx_ne_u32_e32 0x7f, v21
	s_cbranch_execz .LBB287_2024
; %bb.2021:                             ;   in Loop: Header=BB287_15 Depth=1
	v_and_b32_e32 v0, 7, v3
	v_lshrrev_b32_e32 v11, 3, v21
	s_mov_b32 s23, exec_lo
	v_cmpx_gt_u32_e32 8, v21
; %bb.2022:                             ;   in Loop: Header=BB287_15 Depth=1
	v_ffbh_u32_e32 v0, v0
	v_min_u32_e32 v0, 32, v0
	v_subrev_nc_u32_e32 v11, 28, v0
	v_lshlrev_b64 v[27:28], v11, v[3:4]
	v_sub_nc_u32_e32 v11, 29, v0
	v_and_b32_e32 v0, 7, v27
; %bb.2023:                             ;   in Loop: Header=BB287_15 Depth=1
	s_or_b32 exec_lo, exec_lo, s23
	v_lshlrev_b32_e32 v3, 8, v3
	v_lshl_add_u32 v11, v11, 10, 0x2000
	v_lshlrev_b32_e32 v0, 7, v0
	v_and_b32_e32 v3, 0x8000, v3
	v_and_b32_e32 v11, 0xfc00, v11
	v_or3_b32 v0, v3, v11, v0
.LBB287_2024:                           ;   in Loop: Header=BB287_15 Depth=1
	s_or_b32 exec_lo, exec_lo, s22
.LBB287_2025:                           ;   in Loop: Header=BB287_15 Depth=1
	s_or_b32 exec_lo, exec_lo, s19
.LBB287_2026:                           ;   in Loop: Header=BB287_15 Depth=1
	s_or_b32 exec_lo, exec_lo, s17
	v_mov_b32_e32 v21, 0
	v_mov_b32_e32 v28, 0
	s_mov_b32 s17, exec_lo
	v_cmpx_lt_u32_e32 0xffffff, v24
	s_cbranch_execz .LBB287_2034
; %bb.2027:                             ;   in Loop: Header=BB287_15 Depth=1
	v_lshrrev_b32_e32 v3, 24, v24
	v_bfrev_b32_e32 v28, 1
	s_mov_b32 s19, exec_lo
	v_cmpx_ne_u32_e32 0x80, v3
	s_cbranch_execz .LBB287_2033
; %bb.2028:                             ;   in Loop: Header=BB287_15 Depth=1
	v_and_b32_e32 v83, 0x7f, v3
	v_mov_b32_e32 v28, 0x7c010000
	s_mov_b32 s22, exec_lo
	v_cmpx_ne_u32_e32 0x7f, v83
	s_cbranch_execz .LBB287_2032
; %bb.2029:                             ;   in Loop: Header=BB287_15 Depth=1
	v_and_b32_e32 v11, 7, v3
	v_lshrrev_b32_e32 v27, 3, v83
	s_mov_b32 s23, exec_lo
	v_cmpx_gt_u32_e32 8, v83
; %bb.2030:                             ;   in Loop: Header=BB287_15 Depth=1
	v_ffbh_u32_e32 v11, v11
	v_min_u32_e32 v27, 32, v11
	v_subrev_nc_u32_e32 v11, 28, v27
	v_sub_nc_u32_e32 v27, 29, v27
	v_lshlrev_b64 v[11:12], v11, v[3:4]
	v_and_b32_e32 v11, 7, v11
; %bb.2031:                             ;   in Loop: Header=BB287_15 Depth=1
	s_or_b32 exec_lo, exec_lo, s23
	v_lshlrev_b32_e32 v3, 8, v3
	v_lshl_add_u32 v12, v27, 10, 0x2000
	v_lshlrev_b32_e32 v11, 23, v11
	v_and_or_b32 v3, 0x8000, v3, v12
	v_lshl_or_b32 v28, v3, 16, v11
.LBB287_2032:                           ;   in Loop: Header=BB287_15 Depth=1
	s_or_b32 exec_lo, exec_lo, s22
.LBB287_2033:                           ;   in Loop: Header=BB287_15 Depth=1
	s_or_b32 exec_lo, exec_lo, s19
.LBB287_2034:                           ;   in Loop: Header=BB287_15 Depth=1
	s_or_b32 exec_lo, exec_lo, s17
	v_mov_b32_e32 v3, v25
	v_cmp_ne_u16_sdwa s5, v25, v4 src0_sel:BYTE_0 src1_sel:DWORD
	s_and_saveexec_b32 s17, s5
	s_cbranch_execz .LBB287_2042
; %bb.2035:                             ;   in Loop: Header=BB287_15 Depth=1
	v_cmp_ne_u16_sdwa s5, v25, v64 src0_sel:BYTE_0 src1_sel:DWORD
	v_mov_b32_e32 v21, 0x8000
	s_and_saveexec_b32 s19, s5
	s_cbranch_execz .LBB287_2041
; %bb.2036:                             ;   in Loop: Header=BB287_15 Depth=1
	v_and_b32_e32 v27, 0x7f, v25
	v_mov_b32_e32 v21, 0x7c01
	s_mov_b32 s22, exec_lo
	v_cmpx_ne_u32_e32 0x7f, v27
	s_cbranch_execz .LBB287_2040
; %bb.2037:                             ;   in Loop: Header=BB287_15 Depth=1
	v_and_b32_e32 v11, 7, v25
	v_lshrrev_b32_e32 v21, 3, v27
	s_mov_b32 s23, exec_lo
	v_cmpx_gt_u32_e32 8, v27
; %bb.2038:                             ;   in Loop: Header=BB287_15 Depth=1
	v_ffbh_u32_e32 v11, v11
	v_min_u32_e32 v21, 32, v11
	v_subrev_nc_u32_e32 v11, 28, v21
	v_sub_nc_u32_e32 v21, 29, v21
	v_lshlrev_b64 v[11:12], v11, v[3:4]
	v_and_b32_e32 v11, 7, v11
; %bb.2039:                             ;   in Loop: Header=BB287_15 Depth=1
	s_or_b32 exec_lo, exec_lo, s23
	v_lshlrev_b32_e32 v12, 8, v25
	v_lshl_add_u32 v21, v21, 10, 0x2000
	v_lshlrev_b32_e32 v11, 7, v11
	v_and_b32_e32 v12, 0x8000, v12
	v_and_b32_e32 v21, 0xfc00, v21
	v_or3_b32 v21, v12, v21, v11
.LBB287_2040:                           ;   in Loop: Header=BB287_15 Depth=1
	s_or_b32 exec_lo, exec_lo, s22
.LBB287_2041:                           ;   in Loop: Header=BB287_15 Depth=1
	s_or_b32 exec_lo, exec_lo, s19
.LBB287_2042:                           ;   in Loop: Header=BB287_15 Depth=1
	s_or_b32 exec_lo, exec_lo, s17
	v_lshrrev_b16 v3, 8, v3
	v_mov_b32_e32 v27, 0
	v_mov_b32_e32 v11, 0
	s_mov_b32 s17, exec_lo
	v_cmpx_ne_u16_e32 0, v3
	s_cbranch_execz .LBB287_2050
; %bb.2043:                             ;   in Loop: Header=BB287_15 Depth=1
	v_bfrev_b32_e32 v11, 1
	s_mov_b32 s19, exec_lo
	v_cmpx_ne_u16_e32 0x80, v3
	s_cbranch_execz .LBB287_2049
; %bb.2044:                             ;   in Loop: Header=BB287_15 Depth=1
	v_mov_b32_e32 v11, 0x7f
	s_mov_b32 s22, exec_lo
	v_and_b32_sdwa v46, v3, v11 dst_sel:DWORD dst_unused:UNUSED_PAD src0_sel:WORD_0 src1_sel:DWORD
	v_mov_b32_e32 v11, 0x7c010000
	v_cmpx_ne_u32_e32 0x7f, v46
	s_cbranch_execz .LBB287_2048
; %bb.2045:                             ;   in Loop: Header=BB287_15 Depth=1
	v_mov_b32_e32 v11, 7
	v_lshrrev_b32_e32 v83, 3, v46
	s_mov_b32 s23, exec_lo
	v_and_b32_sdwa v11, v3, v11 dst_sel:DWORD dst_unused:UNUSED_PAD src0_sel:WORD_0 src1_sel:DWORD
	v_cmpx_gt_u32_e32 8, v46
; %bb.2046:                             ;   in Loop: Header=BB287_15 Depth=1
	v_ffbh_u32_e32 v11, v11
	v_min_u32_e32 v37, 32, v11
	v_subrev_nc_u32_e32 v11, 28, v37
	v_sub_nc_u32_e32 v83, 29, v37
	v_lshlrev_b64 v[11:12], v11, v[3:4]
	v_and_b32_e32 v11, 7, v11
; %bb.2047:                             ;   in Loop: Header=BB287_15 Depth=1
	s_or_b32 exec_lo, exec_lo, s23
	v_mov_b32_e32 v12, 8
	v_lshlrev_b32_e32 v11, 23, v11
	v_lshlrev_b32_sdwa v3, v12, v3 dst_sel:DWORD dst_unused:UNUSED_PAD src0_sel:DWORD src1_sel:WORD_0
	v_lshl_add_u32 v12, v83, 10, 0x2000
	v_and_or_b32 v3, 0x8000, v3, v12
	v_lshl_or_b32 v11, v3, 16, v11
.LBB287_2048:                           ;   in Loop: Header=BB287_15 Depth=1
	s_or_b32 exec_lo, exec_lo, s22
.LBB287_2049:                           ;   in Loop: Header=BB287_15 Depth=1
	s_or_b32 exec_lo, exec_lo, s19
.LBB287_2050:                           ;   in Loop: Header=BB287_15 Depth=1
	s_or_b32 exec_lo, exec_lo, s17
	v_lshrrev_b32_e32 v3, 16, v25
	v_cmp_ne_u16_sdwa s5, v3, v4 src0_sel:BYTE_0 src1_sel:DWORD
	s_and_saveexec_b32 s17, s5
	s_cbranch_execz .LBB287_2058
; %bb.2051:                             ;   in Loop: Header=BB287_15 Depth=1
	v_cmp_ne_u16_sdwa s5, v3, v64 src0_sel:BYTE_0 src1_sel:DWORD
	v_mov_b32_e32 v27, 0x8000
	s_and_saveexec_b32 s19, s5
	s_cbranch_execz .LBB287_2057
; %bb.2052:                             ;   in Loop: Header=BB287_15 Depth=1
	v_bfe_u32 v46, v25, 16, 7
	v_mov_b32_e32 v27, 0x7c01
	s_mov_b32 s22, exec_lo
	v_cmpx_ne_u32_e32 0x7f, v46
	s_cbranch_execz .LBB287_2056
; %bb.2053:                             ;   in Loop: Header=BB287_15 Depth=1
	v_and_b32_e32 v27, 7, v3
	v_lshrrev_b32_e32 v83, 3, v46
	s_mov_b32 s23, exec_lo
	v_cmpx_gt_u32_e32 8, v46
	s_cbranch_execz .LBB287_2055
; %bb.2054:                             ;   in Loop: Header=BB287_15 Depth=1
	v_ffbh_u32_e32 v12, v27
	v_mov_b32_e32 v83, v38
	v_min_u32_e32 v12, 32, v12
	v_subrev_nc_u32_e32 v27, 28, v12
	v_lshlrev_b64 v[37:38], v27, v[3:4]
	v_mov_b32_e32 v38, v83
	v_sub_nc_u32_e32 v83, 29, v12
	v_and_b32_e32 v27, 7, v37
.LBB287_2055:                           ;   in Loop: Header=BB287_15 Depth=1
	s_or_b32 exec_lo, exec_lo, s23
	v_lshlrev_b32_e32 v3, 8, v3
	v_lshl_add_u32 v12, v83, 10, 0x2000
	v_lshlrev_b32_e32 v27, 7, v27
	v_and_b32_e32 v3, 0x8000, v3
	v_and_b32_e32 v12, 0xfc00, v12
	v_or3_b32 v27, v3, v12, v27
.LBB287_2056:                           ;   in Loop: Header=BB287_15 Depth=1
	s_or_b32 exec_lo, exec_lo, s22
.LBB287_2057:                           ;   in Loop: Header=BB287_15 Depth=1
	s_or_b32 exec_lo, exec_lo, s19
.LBB287_2058:                           ;   in Loop: Header=BB287_15 Depth=1
	s_or_b32 exec_lo, exec_lo, s17
	v_cmp_lt_u64_e64 s5, s[8:9], v[24:25]
	v_mov_b32_e32 v24, 0
	s_and_saveexec_b32 s17, s5
	s_cbranch_execz .LBB287_13
; %bb.2059:                             ;   in Loop: Header=BB287_15 Depth=1
	v_lshrrev_b32_e32 v3, 24, v25
	v_bfrev_b32_e32 v24, 1
	s_mov_b32 s19, exec_lo
	v_cmpx_ne_u32_e32 0x80, v3
	s_cbranch_execz .LBB287_12
; %bb.2060:                             ;   in Loop: Header=BB287_15 Depth=1
	v_and_b32_e32 v83, 0x7f, v3
	v_mov_b32_e32 v24, 0x7c010000
	s_mov_b32 s22, exec_lo
	v_cmpx_ne_u32_e32 0x7f, v83
	s_cbranch_execz .LBB287_11
; %bb.2061:                             ;   in Loop: Header=BB287_15 Depth=1
	v_and_b32_e32 v24, 7, v3
	v_lshrrev_b32_e32 v25, 3, v83
	s_mov_b32 s23, exec_lo
	v_cmpx_gt_u32_e32 8, v83
	s_cbranch_execz .LBB287_10
; %bb.2062:                             ;   in Loop: Header=BB287_15 Depth=1
	v_ffbh_u32_e32 v12, v24
	v_min_u32_e32 v12, 32, v12
	v_subrev_nc_u32_e32 v24, 28, v12
	v_lshlrev_b64 v[24:25], v24, v[3:4]
	v_sub_nc_u32_e32 v25, 29, v12
	v_and_b32_e32 v24, 7, v24
	s_branch .LBB287_10
.LBB287_2063:
	s_or_b32 exec_lo, exec_lo, s12
	s_clause 0x9
	buffer_load_dword v26, off, s[0:3], s32 offset:1284
	buffer_load_dword v18, off, s[0:3], s32 offset:1288
	buffer_load_dword v32, off, s[0:3], s32 offset:1292
	buffer_load_dword v11, off, s[0:3], s32 offset:1296
	buffer_load_dword v12, off, s[0:3], s32 offset:1300
	buffer_load_dword v13, off, s[0:3], s32 offset:1304
	buffer_load_dword v10, off, s[0:3], s32 offset:1308
	buffer_load_dword v14, off, s[0:3], s32 offset:1312
	buffer_load_dword v15, off, s[0:3], s32 offset:1316
	buffer_load_dword v16, off, s[0:3], s32 offset:1320
.LBB287_2064:
	s_or_b32 exec_lo, exec_lo, s10
	v_mbcnt_lo_u32_b32 v0, -1, 0
	v_max_f32_e32 v4, v20, v20
	s_waitcnt lgkmcnt(0)
	s_lshr_b32 s17, s7, 16
	v_xor_b32_e32 v1, 16, v0
	v_xor_b32_e32 v3, 8, v0
	v_cmp_gt_i32_e32 vcc_lo, 32, v1
	v_cndmask_b32_e32 v1, v0, v1, vcc_lo
	v_cmp_gt_i32_e32 vcc_lo, 32, v3
	v_lshlrev_b32_e32 v1, 2, v1
	v_cndmask_b32_e32 v3, v0, v3, vcc_lo
	ds_bpermute_b32 v2, v1, v20
	s_waitcnt lgkmcnt(0)
	v_max_f32_e32 v5, v2, v2
	v_lshlrev_b32_e32 v2, 2, v3
	v_max_f32_e32 v4, v4, v5
	v_xor_b32_e32 v5, 4, v0
	ds_bpermute_b32 v3, v2, v4
	v_cmp_gt_i32_e32 vcc_lo, 32, v5
	v_cndmask_b32_e32 v5, v0, v5, vcc_lo
	s_waitcnt lgkmcnt(0)
	v_max_f32_e32 v6, v3, v3
	v_lshlrev_b32_e32 v3, 2, v5
	v_max_f32_e32 v4, v4, v6
	v_xor_b32_e32 v6, 2, v0
	ds_bpermute_b32 v5, v3, v4
	v_cmp_gt_i32_e32 vcc_lo, 32, v6
	v_cndmask_b32_e32 v6, v0, v6, vcc_lo
	v_lshlrev_b32_e32 v20, 2, v6
	v_xor_b32_e32 v6, 1, v0
	v_cmp_gt_i32_e32 vcc_lo, 32, v6
	s_waitcnt lgkmcnt(0)
	v_max_f32_e32 v5, v5, v5
	v_cndmask_b32_e32 v6, v0, v6, vcc_lo
	v_max_f32_e32 v4, v4, v5
	v_lshlrev_b32_e32 v17, 2, v6
	ds_bpermute_b32 v5, v20, v4
	s_waitcnt lgkmcnt(0)
	v_max_f32_e32 v5, v5, v5
	v_max_f32_e32 v0, v4, v5
	buffer_load_dword v4, off, s[0:3], s32 offset:1224 ; 4-byte Folded Reload
	ds_bpermute_b32 v5, v17, v0
	s_waitcnt vmcnt(0)
	v_cmp_eq_u32_e32 vcc_lo, 0, v4
	buffer_load_dword v4, off, s[0:3], s32 offset:1260 ; 4-byte Folded Reload
	s_waitcnt vmcnt(0)
	v_lshlrev_b32_e32 v4, 2, v4
	s_and_saveexec_b32 s5, vcc_lo
	s_cbranch_execz .LBB287_2066
; %bb.2065:
	s_waitcnt lgkmcnt(0)
	v_max_f32_e32 v5, v5, v5
	v_max_f32_e32 v0, v0, v0
	;; [unrolled: 1-line block ×3, first 2 shown]
	ds_write_b32 v4, v0 offset:512
.LBB287_2066:
	s_or_b32 exec_lo, exec_lo, s5
	buffer_load_dword v0, off, s[0:3], s32 offset:1224 ; 4-byte Folded Reload
	s_waitcnt vmcnt(0) lgkmcnt(0)
	s_waitcnt_vscnt null, 0x0
	s_barrier
	buffer_gl0_inv
	v_cmp_gt_u32_e64 s5, 4, v0
	v_mov_b32_e32 v0, 0xff7fffff
	s_and_saveexec_b32 s6, s5
; %bb.2067:
	ds_read_b32 v0, v16 offset:512
; %bb.2068:
	s_or_b32 exec_lo, exec_lo, s6
	s_waitcnt lgkmcnt(0)
	ds_bpermute_b32 v5, v20, v0
	v_max_f32_e32 v0, v0, v0
	buffer_load_dword v7, off, s[0:3], s32 offset:740 ; 4-byte Folded Reload
	s_waitcnt lgkmcnt(0)
	v_max_f32_e32 v5, v5, v5
	v_max_f32_e32 v0, v0, v5
	ds_bpermute_b32 v5, v17, v0
	s_waitcnt lgkmcnt(0)
	v_max_f32_e32 v5, v5, v5
	v_max_f32_e32 v0, v0, v5
	v_mov_b32_e32 v5, 0
	ds_bpermute_b32 v6, v5, v0
	buffer_load_dword v0, off, s[0:3], s32 offset:192 ; 4-byte Folded Reload
	s_waitcnt vmcnt(0)
	v_lshlrev_b32_e32 v0, 5, v0
	v_min_i32_e32 v0, v0, v7
	buffer_load_dword v7, off, s[0:3], s32 offset:1256 ; 4-byte Folded Reload
	s_waitcnt vmcnt(0)
	v_cmp_lt_i32_e64 s6, v7, v0
	s_and_saveexec_b32 s8, s6
	s_cbranch_execz .LBB287_2072
; %bb.2069:
	buffer_load_dword v8, off, s[0:3], s32 offset:1256 ; 4-byte Folded Reload
	s_load_dword s7, s[20:21], 0x0
	v_mov_b32_e32 v5, 0
	s_mov_b32 s9, 0
	s_waitcnt vmcnt(0) lgkmcnt(0)
	v_lshl_add_u32 v7, v8, 2, s7
	.p2align	6
.LBB287_2070:                           ; =>This Inner Loop Header: Depth=1
	ds_read_b32 v9, v7
	v_add_nc_u32_e32 v8, 0x80, v8
	v_cmp_ge_i32_e64 s7, v8, v0
	s_or_b32 s9, s7, s9
	s_waitcnt lgkmcnt(0)
	v_sub_f32_e32 v9, v9, v6
	v_mul_f32_e32 v9, 0x3fb8aa3b, v9
	v_exp_f32_e32 v9, v9
	ds_write_b32 v7, v9
	v_add_f32_e32 v5, v5, v9
	v_add_nc_u32_e32 v7, 0x200, v7
	s_andn2_b32 exec_lo, exec_lo, s9
	s_cbranch_execnz .LBB287_2070
; %bb.2071:
	s_or_b32 exec_lo, exec_lo, s9
.LBB287_2072:
	s_or_b32 exec_lo, exec_lo, s8
	ds_bpermute_b32 v1, v1, v5
	s_waitcnt lgkmcnt(0)
	v_add_f32_e32 v1, v5, v1
	ds_bpermute_b32 v2, v2, v1
	s_waitcnt lgkmcnt(0)
	v_add_f32_e32 v1, v1, v2
	;; [unrolled: 3-line block ×5, first 2 shown]
	s_and_saveexec_b32 s7, vcc_lo
; %bb.2073:
	ds_write_b32 v4, v1 offset:528
; %bb.2074:
	s_or_b32 exec_lo, exec_lo, s7
	s_waitcnt lgkmcnt(0)
	s_barrier
	buffer_gl0_inv
	s_and_saveexec_b32 s7, s5
; %bb.2075:
	ds_read_b32 v1, v16 offset:528
; %bb.2076:
	s_or_b32 exec_lo, exec_lo, s7
	s_waitcnt lgkmcnt(0)
	ds_bpermute_b32 v2, v20, v1
	s_waitcnt lgkmcnt(0)
	v_add_f32_e32 v1, v1, v2
	ds_bpermute_b32 v2, v17, v1
	s_waitcnt lgkmcnt(0)
	v_add_f32_e32 v1, v1, v2
	v_mov_b32_e32 v2, 0
	ds_bpermute_b32 v1, v2, v1
	s_and_saveexec_b32 s5, s6
	s_cbranch_execz .LBB287_2079
; %bb.2077:
	s_waitcnt lgkmcnt(0)
	v_add_f32_e32 v2, 0x358637bd, v1
	s_load_dword s6, s[20:21], 0x0
	v_div_scale_f32 v1, null, v2, v2, 1.0
	v_div_scale_f32 v5, vcc_lo, 1.0, v2, 1.0
	v_rcp_f32_e32 v3, v1
	v_fma_f32 v4, -v1, v3, 1.0
	v_fmac_f32_e32 v3, v4, v3
	v_mul_f32_e32 v4, v5, v3
	v_fma_f32 v6, -v1, v4, v5
	v_fmac_f32_e32 v4, v6, v3
	v_fma_f32 v1, -v1, v4, v5
	v_div_fmas_f32 v3, v1, v3, v4
	buffer_load_dword v4, off, s[0:3], s32 offset:1256 ; 4-byte Folded Reload
	v_div_fixup_f32 v2, v3, v2, 1.0
	s_waitcnt vmcnt(0) lgkmcnt(0)
	v_lshl_add_u32 v1, v4, 2, s6
	v_mov_b32_e32 v3, v4
	s_mov_b32 s6, 0
.LBB287_2078:                           ; =>This Inner Loop Header: Depth=1
	ds_read_b32 v4, v1
	v_add_nc_u32_e32 v3, 0x80, v3
	v_cmp_ge_i32_e32 vcc_lo, v3, v0
	s_or_b32 s6, vcc_lo, s6
	s_waitcnt lgkmcnt(0)
	v_mul_f32_e32 v4, v2, v4
	ds_write_b32 v1, v4
	v_add_nc_u32_e32 v1, 0x200, v1
	s_andn2_b32 exec_lo, exec_lo, s6
	s_cbranch_execnz .LBB287_2078
.LBB287_2079:
	s_or_b32 exec_lo, exec_lo, s5
	v_mov_b32_e32 v99, 0
	v_mov_b32_e32 v98, 0
	;; [unrolled: 1-line block ×32, first 2 shown]
	s_waitcnt lgkmcnt(0)
	s_barrier
	buffer_gl0_inv
	s_and_saveexec_b32 s19, s4
	s_cbranch_execz .LBB287_4197
; %bb.2080:
	buffer_load_dword v2, off, s[0:3], s32 offset:1256 ; 4-byte Folded Reload
	v_add_co_u32 v3, vcc_lo, v32, v13
	v_add_co_ci_u32_e64 v4, null, v18, v15, vcc_lo
	v_max_i32_e32 v26, v26, v14
	v_mov_b32_e32 v6, 0
	buffer_store_dword v3, off, s[0:3], s32 offset:224 ; 4-byte Folded Spill
	buffer_store_dword v4, off, s[0:3], s32 offset:228 ; 4-byte Folded Spill
	buffer_load_dword v114, off, s[0:3], s32 offset:1260 ; 4-byte Folded Reload
	v_cvt_f32_u32_e32 v1, v26
	v_sub_nc_u32_e32 v4, 0, v26
	v_and_b32_e32 v3, 0x7c, v10
	v_mov_b32_e32 v48, 0x80
	v_mov_b32_e32 v49, 0x7f
	v_rcp_iflag_f32_e32 v1, v1
	v_mov_b32_e32 v50, 7
	v_add_co_u32 v3, vcc_lo, v3, v11
	v_mov_b32_e32 v100, 8
	v_mov_b32_e32 v21, 0
	;; [unrolled: 1-line block ×6, first 2 shown]
	v_mul_f32_e32 v1, 0x4f7ffffe, v1
	v_mov_b32_e32 v29, 0
	v_mov_b32_e32 v30, 0
	;; [unrolled: 1-line block ×4, first 2 shown]
	v_cvt_u32_f32_e32 v1, v1
	v_mov_b32_e32 v53, 0
	v_mov_b32_e32 v34, 0
	;; [unrolled: 1-line block ×4, first 2 shown]
	v_mul_lo_u32 v4, v4, v1
	v_mov_b32_e32 v65, 0
	v_mov_b32_e32 v54, 0
	;; [unrolled: 1-line block ×19, first 2 shown]
	s_mov_b32 s22, -1
	s_mov_b32 s23, 0xffffff
	s_mov_b32 s24, 0
	s_waitcnt vmcnt(1)
	v_lshlrev_b32_e32 v0, 3, v2
	v_and_b32_e32 v2, 3, v2
	v_and_b32_e32 v5, 24, v0
	buffer_store_dword v5, off, s[0:3], s32 offset:232 ; 4-byte Folded Spill
	v_and_b32_e32 v5, 0xf8, v0
	v_or_b32_e32 v0, 0x1f00, v0
	buffer_store_dword v5, off, s[0:3], s32 offset:236 ; 4-byte Folded Spill
	buffer_store_dword v0, off, s[0:3], s32 offset:240 ; 4-byte Folded Spill
	v_lshlrev_b32_e32 v0, 5, v2
	v_mul_hi_u32 v2, v1, v4
	v_add_co_ci_u32_e64 v4, null, 0, v12, vcc_lo
	s_waitcnt vmcnt(0)
	v_lshl_or_b32 v112, v114, 7, v0
	buffer_load_dword v0, off, s[0:3], s32 offset:1268 ; 4-byte Folded Reload
	s_waitcnt vmcnt(0)
	v_add_co_u32 v7, vcc_lo, v0, v3
	buffer_load_dword v0, off, s[0:3], s32 offset:1264 ; 4-byte Folded Reload
	s_waitcnt vmcnt(0)
	v_add_co_ci_u32_e64 v8, null, v0, v4, vcc_lo
	v_add_nc_u32_e32 v0, v1, v2
	buffer_load_dword v2, off, s[0:3], s32 offset:1280 ; 4-byte Folded Reload
	buffer_store_dword v0, off, s[0:3], s32 offset:220 ; 4-byte Folded Spill
	s_branch .LBB287_2083
.LBB287_2081:                           ;   in Loop: Header=BB287_2083 Depth=1
	s_or_b32 exec_lo, exec_lo, s12
	v_add_f32_e32 v3, v11, v12
	v_add_f32_e32 v4, v13, v14
	;; [unrolled: 1-line block ×41, first 2 shown]
	;;#ASMSTART
	v_pk_mul_f16 v1, v40, v101;

	;;#ASMEND
	v_add_f32_e32 v85, v85, v2
	v_add_f32_e32 v35, v35, v3
	v_add_f32_e32 v33, v33, v4
	;;#ASMSTART
	v_pk_mul_f16 v2, v119, v10;

	;;#ASMEND
	;;#ASMSTART
	v_pk_mul_f16 v3, v118, v9;

	;;#ASMEND
	;; [unrolled: 4-line block ×3, first 2 shown]
	;;#ASMSTART
	v_pk_add_f16 v1, v1, v2;

	;;#ASMEND
	;;#ASMSTART
	v_pk_add_f16 v1, v1, v3;

	;;#ASMEND
	;; [unrolled: 4-line block ×3, first 2 shown]
	v_and_b32_e32 v4, 0xffff, v1
	v_lshrrev_b32_e32 v5, 16, v1
	;;#ASMSTART
	v_cvt_f32_f16 v4, v4;
	;;#ASMEND
	v_add_f32_e32 v51, v51, v13
	v_add_f32_e32 v13, v89, v90
	;; [unrolled: 1-line block ×11, first 2 shown]
	;;#ASMSTART
	v_cvt_f32_f16 v5, v5;
	;;#ASMEND
	v_add_f32_e32 v4, v4, v5
	v_add_f32_e32 v64, v64, v13
	;; [unrolled: 1-line block ×9, first 2 shown]
.LBB287_2082:                           ;   in Loop: Header=BB287_2083 Depth=1
	s_or_b32 exec_lo, exec_lo, s25
	buffer_load_dword v0, off, s[0:3], s32 offset:192 ; 4-byte Folded Reload
	v_add_nc_u32_e32 v114, 4, v114
	v_mov_b32_e32 v2, v113
	v_add_co_u32 v7, s4, v7, 16
	v_add_nc_u32_e32 v112, 0x200, v112
	v_add_co_ci_u32_e64 v8, null, 0, v8, s4
	v_add_nc_u32_e32 v2, 0x80, v2
	s_waitcnt vmcnt(0)
	v_cmp_ge_i32_e32 vcc_lo, v114, v0
	s_or_b32 s24, vcc_lo, s24
	s_andn2_b32 exec_lo, exec_lo, s24
	s_cbranch_execz .LBB287_4196
.LBB287_2083:                           ; =>This Inner Loop Header: Depth=1
	s_clause 0x1
	buffer_load_dword v0, off, s[0:3], s32 offset:212
	buffer_load_dword v4, off, s[0:3], s32 offset:196
	s_waitcnt vmcnt(2)
	v_mov_b32_e32 v113, v2
	s_waitcnt vmcnt(1)
	v_mul_hi_u32 v0, v2, v0
	s_waitcnt vmcnt(0)
	v_mul_lo_u32 v1, v0, v4
	v_sub_nc_u32_e32 v1, v2, v1
	v_add_nc_u32_e32 v2, 1, v0
	v_sub_nc_u32_e32 v3, v1, v4
	v_cmp_ge_u32_e32 vcc_lo, v1, v4
	v_cndmask_b32_e32 v1, v1, v3, vcc_lo
	v_cndmask_b32_e32 v0, v0, v2, vcc_lo
	v_cmp_ge_u32_e32 vcc_lo, v1, v4
	buffer_load_dword v1, off, s[0:3], s32 offset:208 ; 4-byte Folded Reload
	v_add_nc_u32_e32 v2, 1, v0
	v_cndmask_b32_e32 v0, v0, v2, vcc_lo
	s_waitcnt vmcnt(0)
	v_xor_b32_e32 v0, v0, v1
	v_sub_nc_u32_e32 v0, v0, v1
	s_clause 0x2
	buffer_load_dword v1, off, s[0:3], s32 offset:200
	buffer_load_dword v2, off, s[0:3], s32 offset:204
	buffer_load_dword v3, off, s[0:3], s32 offset:220
	s_waitcnt vmcnt(2)
	v_add_nc_u32_e32 v1, v0, v1
	s_waitcnt vmcnt(1)
	v_sub_nc_u32_e32 v2, 0, v1
	v_max_i32_e32 v2, v1, v2
	v_ashrrev_i32_e32 v1, 31, v1
	s_waitcnt vmcnt(0)
	v_mul_hi_u32 v3, v2, v3
	v_mul_lo_u32 v3, v3, v26
	v_sub_nc_u32_e32 v2, v2, v3
	v_sub_nc_u32_e32 v3, v2, v26
	v_cmp_ge_u32_e32 vcc_lo, v2, v26
	v_cndmask_b32_e32 v2, v2, v3, vcc_lo
	v_sub_nc_u32_e32 v3, v2, v26
	v_cmp_ge_u32_e32 vcc_lo, v2, v26
	v_cndmask_b32_e32 v2, v2, v3, vcc_lo
	v_xor_b32_e32 v2, v2, v1
	v_sub_nc_u32_e32 v1, v2, v1
	v_cmp_eq_u32_e32 vcc_lo, 0, v1
	buffer_load_dword v1, off, s[0:3], s32 offset:216 ; 4-byte Folded Reload
	s_waitcnt vmcnt(0)
	v_cmp_gt_i32_e64 s4, v0, v1
	s_or_b32 s4, vcc_lo, s4
	s_and_saveexec_b32 s25, s4
	s_cbranch_execz .LBB287_2082
; %bb.2084:                             ;   in Loop: Header=BB287_2083 Depth=1
	s_load_dword s4, s[20:21], 0x0
	flat_load_dword v0, v[7:8]
	s_waitcnt lgkmcnt(0)
	v_add_nc_u32_e32 v1, s4, v112
	ds_read2_b64 v[11:14], v1 offset1:1
	ds_read2_b64 v[36:39], v1 offset0:2 offset1:3
	s_clause 0x2
	buffer_load_dword v1, off, s[0:3], s32 offset:808
	buffer_load_dword v2, off, s[0:3], s32 offset:224
	;; [unrolled: 1-line block ×3, first 2 shown]
	s_waitcnt lgkmcnt(1)
	;;#ASMSTART
	v_cvt_f16_f32 v16, v11;

	;;#ASMEND
	s_waitcnt vmcnt(0)
	v_mad_i64_i32 v[9:10], null, v0, v1, v[2:3]
	;;#ASMSTART
	v_cvt_f16_f32 v0, v12;

	;;#ASMEND
	;;#ASMSTART
	v_cvt_f16_f32 v18, v13;

	;;#ASMEND
	;; [unrolled: 4-line block ×3, first 2 shown]
	buffer_load_dword v2, off, s[0:3], s32 offset:236 ; 4-byte Folded Reload
	s_waitcnt lgkmcnt(0)
	;;#ASMSTART
	v_cvt_f16_f32 v19, v36;

	;;#ASMEND
	v_mov_b32_e32 v36, 0
	s_waitcnt vmcnt(0)
	v_add_co_u32 v11, vcc_lo, v9, v2
	v_add_co_ci_u32_e64 v12, null, 0, v10, vcc_lo
	;;#ASMSTART
	v_cvt_f16_f32 v2, v37;

	;;#ASMEND
	;;#ASMSTART
	v_cvt_f16_f32 v31, v38;

	;;#ASMEND
	;; [unrolled: 4-line block ×3, first 2 shown]
	flat_load_dwordx2 v[13:14], v[11:12]
	flat_load_dword v32, v[22:23]
	v_mov_b32_e32 v37, 0
	s_waitcnt vmcnt(1) lgkmcnt(1)
	v_cmp_ne_u16_sdwa s5, v13, v6 src0_sel:BYTE_0 src1_sel:DWORD
	s_and_saveexec_b32 s4, s5
	s_cbranch_execz .LBB287_2092
; %bb.2085:                             ;   in Loop: Header=BB287_2083 Depth=1
	v_cmp_ne_u16_sdwa s6, v13, v48 src0_sel:BYTE_0 src1_sel:DWORD
	v_mov_b32_e32 v37, 0x8000
	s_and_saveexec_b32 s5, s6
	s_cbranch_execz .LBB287_2091
; %bb.2086:                             ;   in Loop: Header=BB287_2083 Depth=1
	v_and_b32_e32 v38, 0x7f, v13
	v_mov_b32_e32 v37, 0x7c01
	s_mov_b32 s6, exec_lo
	v_cmpx_ne_u32_e32 0x7f, v38
	s_cbranch_execz .LBB287_2090
; %bb.2087:                             ;   in Loop: Header=BB287_2083 Depth=1
	v_and_b32_e32 v5, 7, v13
	v_lshrrev_b32_e32 v37, 3, v38
	s_mov_b32 s7, exec_lo
	v_cmpx_gt_u32_e32 8, v38
; %bb.2088:                             ;   in Loop: Header=BB287_2083 Depth=1
	v_ffbh_u32_e32 v3, v5
	v_min_u32_e32 v3, 32, v3
	v_subrev_nc_u32_e32 v4, 28, v3
	v_sub_nc_u32_e32 v37, 29, v3
	v_lshlrev_b64 v[38:39], v4, v[13:14]
	v_and_b32_e32 v5, 7, v38
; %bb.2089:                             ;   in Loop: Header=BB287_2083 Depth=1
	s_or_b32 exec_lo, exec_lo, s7
	v_lshlrev_b32_e32 v3, 8, v13
	v_lshl_add_u32 v4, v37, 10, 0x2000
	v_lshlrev_b32_e32 v5, 7, v5
	v_and_b32_e32 v3, 0x8000, v3
	v_and_b32_e32 v4, 0xfc00, v4
	v_or3_b32 v37, v3, v4, v5
.LBB287_2090:                           ;   in Loop: Header=BB287_2083 Depth=1
	s_or_b32 exec_lo, exec_lo, s6
.LBB287_2091:                           ;   in Loop: Header=BB287_2083 Depth=1
	s_or_b32 exec_lo, exec_lo, s5
.LBB287_2092:                           ;   in Loop: Header=BB287_2083 Depth=1
	s_or_b32 exec_lo, exec_lo, s4
	v_lshrrev_b16 v5, 8, v13
	s_mov_b32 s4, exec_lo
	v_cmpx_ne_u16_e32 0, v5
	s_cbranch_execz .LBB287_2100
; %bb.2093:                             ;   in Loop: Header=BB287_2083 Depth=1
	v_bfrev_b32_e32 v36, 1
	s_mov_b32 s5, exec_lo
	v_cmpx_ne_u16_e32 0x80, v5
	s_cbranch_execz .LBB287_2099
; %bb.2094:                             ;   in Loop: Header=BB287_2083 Depth=1
	v_and_b32_sdwa v39, v5, v49 dst_sel:DWORD dst_unused:UNUSED_PAD src0_sel:WORD_0 src1_sel:DWORD
	v_mov_b32_e32 v36, 0x7c010000
	s_mov_b32 s6, exec_lo
	v_cmpx_ne_u32_e32 0x7f, v39
	s_cbranch_execz .LBB287_2098
; %bb.2095:                             ;   in Loop: Header=BB287_2083 Depth=1
	v_and_b32_sdwa v36, v5, v50 dst_sel:DWORD dst_unused:UNUSED_PAD src0_sel:WORD_0 src1_sel:DWORD
	v_lshrrev_b32_e32 v38, 3, v39
	s_mov_b32 s7, exec_lo
	v_cmpx_gt_u32_e32 8, v39
; %bb.2096:                             ;   in Loop: Header=BB287_2083 Depth=1
	v_ffbh_u32_e32 v3, v36
	v_min_u32_e32 v3, 32, v3
	v_subrev_nc_u32_e32 v4, 28, v3
	v_sub_nc_u32_e32 v38, 29, v3
	v_lshlrev_b64 v[101:102], v4, v[5:6]
	v_and_b32_e32 v36, 7, v101
; %bb.2097:                             ;   in Loop: Header=BB287_2083 Depth=1
	s_or_b32 exec_lo, exec_lo, s7
	v_lshlrev_b32_sdwa v3, v100, v5 dst_sel:DWORD dst_unused:UNUSED_PAD src0_sel:DWORD src1_sel:WORD_0
	v_lshl_add_u32 v4, v38, 10, 0x2000
	v_and_or_b32 v3, 0x8000, v3, v4
	v_lshlrev_b32_e32 v4, 23, v36
	v_lshl_or_b32 v36, v3, 16, v4
.LBB287_2098:                           ;   in Loop: Header=BB287_2083 Depth=1
	s_or_b32 exec_lo, exec_lo, s6
.LBB287_2099:                           ;   in Loop: Header=BB287_2083 Depth=1
	s_or_b32 exec_lo, exec_lo, s5
.LBB287_2100:                           ;   in Loop: Header=BB287_2083 Depth=1
	s_or_b32 exec_lo, exec_lo, s4
	v_lshrrev_b32_e32 v5, 16, v13
	v_mov_b32_e32 v38, 0
	v_mov_b32_e32 v39, 0
	v_cmp_ne_u16_sdwa s5, v5, v6 src0_sel:BYTE_0 src1_sel:DWORD
	s_and_saveexec_b32 s4, s5
	s_cbranch_execz .LBB287_2108
; %bb.2101:                             ;   in Loop: Header=BB287_2083 Depth=1
	v_cmp_ne_u16_sdwa s6, v5, v48 src0_sel:BYTE_0 src1_sel:DWORD
	v_mov_b32_e32 v39, 0x8000
	s_and_saveexec_b32 s5, s6
	s_cbranch_execz .LBB287_2107
; %bb.2102:                             ;   in Loop: Header=BB287_2083 Depth=1
	v_bfe_u32 v81, v13, 16, 7
	v_mov_b32_e32 v39, 0x7c01
	s_mov_b32 s6, exec_lo
	v_cmpx_ne_u32_e32 0x7f, v81
	s_cbranch_execz .LBB287_2106
; %bb.2103:                             ;   in Loop: Header=BB287_2083 Depth=1
	v_and_b32_e32 v39, 7, v5
	v_lshrrev_b32_e32 v66, 3, v81
	s_mov_b32 s7, exec_lo
	v_cmpx_gt_u32_e32 8, v81
; %bb.2104:                             ;   in Loop: Header=BB287_2083 Depth=1
	v_ffbh_u32_e32 v3, v39
	v_min_u32_e32 v3, 32, v3
	v_subrev_nc_u32_e32 v4, 28, v3
	v_sub_nc_u32_e32 v66, 29, v3
	v_lshlrev_b64 v[101:102], v4, v[5:6]
	v_and_b32_e32 v39, 7, v101
; %bb.2105:                             ;   in Loop: Header=BB287_2083 Depth=1
	s_or_b32 exec_lo, exec_lo, s7
	v_lshlrev_b32_e32 v3, 8, v5
	v_lshl_add_u32 v4, v66, 10, 0x2000
	v_lshlrev_b32_e32 v5, 7, v39
	v_and_b32_e32 v3, 0x8000, v3
	v_and_b32_e32 v4, 0xfc00, v4
	v_or3_b32 v39, v3, v4, v5
.LBB287_2106:                           ;   in Loop: Header=BB287_2083 Depth=1
	s_or_b32 exec_lo, exec_lo, s6
.LBB287_2107:                           ;   in Loop: Header=BB287_2083 Depth=1
	s_or_b32 exec_lo, exec_lo, s5
.LBB287_2108:                           ;   in Loop: Header=BB287_2083 Depth=1
	s_or_b32 exec_lo, exec_lo, s4
	s_mov_b32 s4, exec_lo
	v_cmpx_lt_u32_e32 0xffffff, v13
	s_cbranch_execz .LBB287_2116
; %bb.2109:                             ;   in Loop: Header=BB287_2083 Depth=1
	v_lshrrev_b32_e32 v5, 24, v13
	v_bfrev_b32_e32 v38, 1
	s_mov_b32 s5, exec_lo
	v_cmpx_ne_u32_e32 0x80, v5
	s_cbranch_execz .LBB287_2115
; %bb.2110:                             ;   in Loop: Header=BB287_2083 Depth=1
	v_and_b32_e32 v81, 0x7f, v5
	v_mov_b32_e32 v38, 0x7c010000
	s_mov_b32 s6, exec_lo
	v_cmpx_ne_u32_e32 0x7f, v81
	s_cbranch_execz .LBB287_2114
; %bb.2111:                             ;   in Loop: Header=BB287_2083 Depth=1
	v_and_b32_e32 v38, 7, v5
	v_lshrrev_b32_e32 v66, 3, v81
	s_mov_b32 s7, exec_lo
	v_cmpx_gt_u32_e32 8, v81
; %bb.2112:                             ;   in Loop: Header=BB287_2083 Depth=1
	v_ffbh_u32_e32 v3, v38
	v_min_u32_e32 v3, 32, v3
	v_subrev_nc_u32_e32 v4, 28, v3
	v_sub_nc_u32_e32 v66, 29, v3
	v_lshlrev_b64 v[101:102], v4, v[5:6]
	v_and_b32_e32 v38, 7, v101
; %bb.2113:                             ;   in Loop: Header=BB287_2083 Depth=1
	s_or_b32 exec_lo, exec_lo, s7
	v_lshlrev_b32_e32 v3, 8, v5
	v_lshl_add_u32 v4, v66, 10, 0x2000
	v_and_or_b32 v3, 0x8000, v3, v4
	v_lshlrev_b32_e32 v4, 23, v38
	v_lshl_or_b32 v38, v3, 16, v4
.LBB287_2114:                           ;   in Loop: Header=BB287_2083 Depth=1
	s_or_b32 exec_lo, exec_lo, s6
.LBB287_2115:                           ;   in Loop: Header=BB287_2083 Depth=1
	s_or_b32 exec_lo, exec_lo, s5
.LBB287_2116:                           ;   in Loop: Header=BB287_2083 Depth=1
	s_or_b32 exec_lo, exec_lo, s4
	v_mov_b32_e32 v5, v14
	v_cmp_ne_u16_sdwa s5, v14, v6 src0_sel:BYTE_0 src1_sel:DWORD
	v_mov_b32_e32 v66, 0
	v_mov_b32_e32 v81, 0
	s_and_saveexec_b32 s4, s5
	s_cbranch_execz .LBB287_2124
; %bb.2117:                             ;   in Loop: Header=BB287_2083 Depth=1
	v_cmp_ne_u16_sdwa s6, v14, v48 src0_sel:BYTE_0 src1_sel:DWORD
	v_mov_b32_e32 v81, 0x8000
	s_and_saveexec_b32 s5, s6
	s_cbranch_execz .LBB287_2123
; %bb.2118:                             ;   in Loop: Header=BB287_2083 Depth=1
	v_and_b32_e32 v101, 0x7f, v14
	v_mov_b32_e32 v81, 0x7c01
	s_mov_b32 s6, exec_lo
	v_cmpx_ne_u32_e32 0x7f, v101
	s_cbranch_execz .LBB287_2122
; %bb.2119:                             ;   in Loop: Header=BB287_2083 Depth=1
	v_and_b32_e32 v81, 7, v14
	v_lshrrev_b32_e32 v87, 3, v101
	s_mov_b32 s7, exec_lo
	v_cmpx_gt_u32_e32 8, v101
; %bb.2120:                             ;   in Loop: Header=BB287_2083 Depth=1
	v_ffbh_u32_e32 v3, v81
	v_min_u32_e32 v3, 32, v3
	v_subrev_nc_u32_e32 v4, 28, v3
	v_sub_nc_u32_e32 v87, 29, v3
	v_lshlrev_b64 v[101:102], v4, v[5:6]
	v_and_b32_e32 v81, 7, v101
; %bb.2121:                             ;   in Loop: Header=BB287_2083 Depth=1
	s_or_b32 exec_lo, exec_lo, s7
	v_lshlrev_b32_e32 v3, 8, v14
	v_lshl_add_u32 v4, v87, 10, 0x2000
	v_lshlrev_b32_e32 v81, 7, v81
	v_and_b32_e32 v3, 0x8000, v3
	v_and_b32_e32 v4, 0xfc00, v4
	v_or3_b32 v81, v3, v4, v81
.LBB287_2122:                           ;   in Loop: Header=BB287_2083 Depth=1
	s_or_b32 exec_lo, exec_lo, s6
.LBB287_2123:                           ;   in Loop: Header=BB287_2083 Depth=1
	s_or_b32 exec_lo, exec_lo, s5
.LBB287_2124:                           ;   in Loop: Header=BB287_2083 Depth=1
	s_or_b32 exec_lo, exec_lo, s4
	v_lshrrev_b16 v5, 8, v5
	v_mov_b32_e32 v87, 0
	s_mov_b32 s4, exec_lo
	v_cmpx_ne_u16_e32 0, v5
	s_cbranch_execz .LBB287_2132
; %bb.2125:                             ;   in Loop: Header=BB287_2083 Depth=1
	v_bfrev_b32_e32 v87, 1
	s_mov_b32 s5, exec_lo
	v_cmpx_ne_u16_e32 0x80, v5
	s_cbranch_execz .LBB287_2131
; %bb.2126:                             ;   in Loop: Header=BB287_2083 Depth=1
	v_and_b32_sdwa v102, v5, v49 dst_sel:DWORD dst_unused:UNUSED_PAD src0_sel:WORD_0 src1_sel:DWORD
	v_mov_b32_e32 v87, 0x7c010000
	s_mov_b32 s6, exec_lo
	v_cmpx_ne_u32_e32 0x7f, v102
	s_cbranch_execz .LBB287_2130
; %bb.2127:                             ;   in Loop: Header=BB287_2083 Depth=1
	v_and_b32_sdwa v87, v5, v50 dst_sel:DWORD dst_unused:UNUSED_PAD src0_sel:WORD_0 src1_sel:DWORD
	v_lshrrev_b32_e32 v101, 3, v102
	s_mov_b32 s7, exec_lo
	v_cmpx_gt_u32_e32 8, v102
; %bb.2128:                             ;   in Loop: Header=BB287_2083 Depth=1
	v_ffbh_u32_e32 v3, v87
	v_min_u32_e32 v3, 32, v3
	v_subrev_nc_u32_e32 v4, 28, v3
	v_sub_nc_u32_e32 v101, 29, v3
	v_lshlrev_b64 v[102:103], v4, v[5:6]
	v_and_b32_e32 v87, 7, v102
; %bb.2129:                             ;   in Loop: Header=BB287_2083 Depth=1
	s_or_b32 exec_lo, exec_lo, s7
	v_lshlrev_b32_sdwa v3, v100, v5 dst_sel:DWORD dst_unused:UNUSED_PAD src0_sel:DWORD src1_sel:WORD_0
	v_lshl_add_u32 v4, v101, 10, 0x2000
	v_and_or_b32 v3, 0x8000, v3, v4
	v_lshlrev_b32_e32 v4, 23, v87
	v_lshl_or_b32 v87, v3, 16, v4
.LBB287_2130:                           ;   in Loop: Header=BB287_2083 Depth=1
	s_or_b32 exec_lo, exec_lo, s6
.LBB287_2131:                           ;   in Loop: Header=BB287_2083 Depth=1
	s_or_b32 exec_lo, exec_lo, s5
.LBB287_2132:                           ;   in Loop: Header=BB287_2083 Depth=1
	s_or_b32 exec_lo, exec_lo, s4
	v_lshrrev_b32_e32 v5, 16, v14
	v_cmp_ne_u16_sdwa s5, v5, v6 src0_sel:BYTE_0 src1_sel:DWORD
	s_and_saveexec_b32 s4, s5
	s_cbranch_execz .LBB287_2140
; %bb.2133:                             ;   in Loop: Header=BB287_2083 Depth=1
	v_cmp_ne_u16_sdwa s6, v5, v48 src0_sel:BYTE_0 src1_sel:DWORD
	v_mov_b32_e32 v66, 0x8000
	s_and_saveexec_b32 s5, s6
	s_cbranch_execz .LBB287_2139
; %bb.2134:                             ;   in Loop: Header=BB287_2083 Depth=1
	v_bfe_u32 v102, v14, 16, 7
	v_mov_b32_e32 v66, 0x7c01
	s_mov_b32 s6, exec_lo
	v_cmpx_ne_u32_e32 0x7f, v102
	s_cbranch_execz .LBB287_2138
; %bb.2135:                             ;   in Loop: Header=BB287_2083 Depth=1
	v_and_b32_e32 v66, 7, v5
	v_lshrrev_b32_e32 v101, 3, v102
	s_mov_b32 s7, exec_lo
	v_cmpx_gt_u32_e32 8, v102
; %bb.2136:                             ;   in Loop: Header=BB287_2083 Depth=1
	v_ffbh_u32_e32 v3, v66
	v_min_u32_e32 v3, 32, v3
	v_subrev_nc_u32_e32 v4, 28, v3
	v_sub_nc_u32_e32 v101, 29, v3
	v_lshlrev_b64 v[102:103], v4, v[5:6]
	v_and_b32_e32 v66, 7, v102
; %bb.2137:                             ;   in Loop: Header=BB287_2083 Depth=1
	s_or_b32 exec_lo, exec_lo, s7
	v_lshlrev_b32_e32 v3, 8, v5
	v_lshl_add_u32 v4, v101, 10, 0x2000
	v_lshlrev_b32_e32 v5, 7, v66
	v_and_b32_e32 v3, 0x8000, v3
	v_and_b32_e32 v4, 0xfc00, v4
	v_or3_b32 v66, v3, v4, v5
.LBB287_2138:                           ;   in Loop: Header=BB287_2083 Depth=1
	s_or_b32 exec_lo, exec_lo, s6
.LBB287_2139:                           ;   in Loop: Header=BB287_2083 Depth=1
	s_or_b32 exec_lo, exec_lo, s5
.LBB287_2140:                           ;   in Loop: Header=BB287_2083 Depth=1
	s_or_b32 exec_lo, exec_lo, s4
	v_cmp_lt_u64_e32 vcc_lo, s[22:23], v[13:14]
	v_mov_b32_e32 v13, 0
	s_and_saveexec_b32 s4, vcc_lo
	s_cbranch_execz .LBB287_2148
; %bb.2141:                             ;   in Loop: Header=BB287_2083 Depth=1
	v_lshrrev_b32_e32 v5, 24, v14
	v_bfrev_b32_e32 v13, 1
	s_mov_b32 s5, exec_lo
	v_cmpx_ne_u32_e32 0x80, v5
	s_cbranch_execz .LBB287_2147
; %bb.2142:                             ;   in Loop: Header=BB287_2083 Depth=1
	v_and_b32_e32 v101, 0x7f, v5
	v_mov_b32_e32 v13, 0x7c010000
	s_mov_b32 s6, exec_lo
	v_cmpx_ne_u32_e32 0x7f, v101
	s_cbranch_execz .LBB287_2146
; %bb.2143:                             ;   in Loop: Header=BB287_2083 Depth=1
	v_and_b32_e32 v13, 7, v5
	v_lshrrev_b32_e32 v14, 3, v101
	s_mov_b32 s7, exec_lo
	v_cmpx_gt_u32_e32 8, v101
; %bb.2144:                             ;   in Loop: Header=BB287_2083 Depth=1
	v_ffbh_u32_e32 v3, v13
	v_min_u32_e32 v3, 32, v3
	v_subrev_nc_u32_e32 v4, 28, v3
	v_lshlrev_b64 v[13:14], v4, v[5:6]
	v_sub_nc_u32_e32 v14, 29, v3
	v_and_b32_e32 v13, 7, v13
; %bb.2145:                             ;   in Loop: Header=BB287_2083 Depth=1
	s_or_b32 exec_lo, exec_lo, s7
	v_lshlrev_b32_e32 v3, 8, v5
	v_lshl_add_u32 v4, v14, 10, 0x2000
	v_and_or_b32 v3, 0x8000, v3, v4
	v_lshlrev_b32_e32 v4, 23, v13
	v_lshl_or_b32 v13, v3, 16, v4
.LBB287_2146:                           ;   in Loop: Header=BB287_2083 Depth=1
	s_or_b32 exec_lo, exec_lo, s6
.LBB287_2147:                           ;   in Loop: Header=BB287_2083 Depth=1
	s_or_b32 exec_lo, exec_lo, s5
.LBB287_2148:                           ;   in Loop: Header=BB287_2083 Depth=1
	s_or_b32 exec_lo, exec_lo, s4
	s_clause 0x2
	buffer_load_dword v3, off, s[0:3], s32 offset:192
	buffer_load_dword v4, off, s[0:3], s32 offset:232
	;; [unrolled: 1-line block ×3, first 2 shown]
	s_waitcnt vmcnt(2)
	v_add_nc_u32_e32 v3, -1, v3
	s_waitcnt vmcnt(1)
	v_add_nc_u32_e32 v4, v4, v113
	v_cmp_eq_u32_e64 s4, v3, v114
	v_add_nc_u32_e32 v3, 1, v4
	v_add_nc_u32_e32 v5, 2, v4
	;; [unrolled: 1-line block ×4, first 2 shown]
	s_waitcnt vmcnt(0)
	v_cmp_lt_i32_e32 vcc_lo, v4, v103
	v_cmp_lt_i32_e64 s7, v3, v103
	v_cmp_lt_i32_e64 s5, v5, v103
	v_add_nc_u32_e32 v3, 6, v4
	v_or_b32_e32 v5, v38, v39
	v_cmp_lt_i32_e64 s6, v14, v103
	s_waitcnt lgkmcnt(0)
	v_fma_mixlo_f16 v14, v32, v38, 0 op_sel:[0,1,0] op_sel_hi:[0,1,0]
	v_fma_mixlo_f16 v38, v32, v36, 0 op_sel:[0,1,0] op_sel_hi:[0,1,0]
	v_cmp_lt_i32_e64 s10, v3, v103
	v_fma_mixlo_f16 v3, v32, v5, 0 op_sel_hi:[0,1,0]
	v_or_b32_e32 v36, v36, v37
	v_lshlrev_b32_e32 v5, 16, v14
	v_or_b32_e32 v37, v13, v66
	v_fma_mixlo_f16 v39, v32, v87, 0 op_sel:[0,1,0] op_sel_hi:[0,1,0]
	v_and_b32_e32 v14, 0xffff, v3
	v_or_b32_e32 v3, v87, v81
	v_fma_mixlo_f16 v36, v32, v36, 0 op_sel_hi:[0,1,0]
	v_fma_mixlo_f16 v13, v32, v13, 0 op_sel:[0,1,0] op_sel_hi:[0,1,0]
	v_add_nc_u32_e32 v102, 5, v4
	v_cmp_lt_i32_e64 s8, v101, v103
	v_fma_mixlo_f16 v3, v32, v3, 0 op_sel_hi:[0,1,0]
	v_fma_mixlo_f16 v32, v32, v37, 0 op_sel_hi:[0,1,0]
	v_add_nc_u32_e32 v4, 7, v4
	v_lshlrev_b32_e32 v38, 16, v38
	v_and_b32_e32 v101, 0xffff, v36
	v_lshlrev_b32_e32 v66, 16, v39
	v_and_b32_e32 v87, 0xffff, v3
	;; [unrolled: 2-line block ×3, first 2 shown]
	v_cmp_lt_i32_e64 s9, v102, v103
	v_cmp_lt_i32_e64 s11, v4, v103
	v_or_b32_e32 v13, v5, v14
	v_or_b32_e32 v32, v38, v101
	;; [unrolled: 1-line block ×4, first 2 shown]
	s_and_saveexec_b32 s12, s4
	s_cbranch_execz .LBB287_2150
; %bb.2149:                             ;   in Loop: Header=BB287_2083 Depth=1
	v_cndmask_b32_e32 v3, 0, v101, vcc_lo
	v_cndmask_b32_e64 v4, 0, v38, s7
	v_cndmask_b32_e64 v13, 0, v14, s5
	;; [unrolled: 1-line block ×7, first 2 shown]
	v_or_b32_e32 v32, v3, v4
	v_or_b32_e32 v13, v13, v5
	;; [unrolled: 1-line block ×4, first 2 shown]
.LBB287_2150:                           ;   in Loop: Header=BB287_2083 Depth=1
	s_or_b32 exec_lo, exec_lo, s12
	v_and_b32_e32 v3, 0xffff, v16
	v_and_b32_e32 v4, 0xffff, v18
	;; [unrolled: 1-line block ×4, first 2 shown]
	v_lshl_or_b32 v40, v0, 16, v3
	;;#ASMSTART
	v_pk_mul_f16 v0, v40, v32;

	;;#ASMEND
	v_lshl_or_b32 v119, v1, 16, v4
	v_lshl_or_b32 v118, v2, 16, v5
	;; [unrolled: 1-line block ×3, first 2 shown]
	;;#ASMSTART
	v_pk_mul_f16 v1, v119, v13;

	;;#ASMEND
	;;#ASMSTART
	v_pk_mul_f16 v2, v118, v36;

	;;#ASMEND
	;; [unrolled: 4-line block ×3, first 2 shown]
	;;#ASMSTART
	v_pk_add_f16 v0, v0, v1;

	;;#ASMEND
	;;#ASMSTART
	v_pk_add_f16 v0, v0, v2;

	;;#ASMEND
	;;#ASMSTART
	v_pk_add_f16 v0, v0, v3;

	;;#ASMEND
	v_and_b32_e32 v1, 0xffff, v0
	v_lshrrev_b32_e32 v0, 16, v0
	;;#ASMSTART
	v_cvt_f32_f16 v115, v1;
	;;#ASMEND
	;;#ASMSTART
	v_cvt_f32_f16 v116, v0;
	;;#ASMEND
	flat_load_dwordx2 v[13:14], v[11:12] offset:256
	flat_load_dword v0, v[22:23]
	v_mov_b32_e32 v1, 0
	v_mov_b32_e32 v2, 0
	s_waitcnt vmcnt(1) lgkmcnt(1)
	v_cmp_ne_u16_sdwa s12, v13, v6 src0_sel:BYTE_0 src1_sel:DWORD
	s_and_saveexec_b32 s26, s12
	s_cbranch_execz .LBB287_2158
; %bb.2151:                             ;   in Loop: Header=BB287_2083 Depth=1
	v_cmp_ne_u16_sdwa s12, v13, v48 src0_sel:BYTE_0 src1_sel:DWORD
	v_mov_b32_e32 v2, 0x8000
	s_and_saveexec_b32 s27, s12
	s_cbranch_execz .LBB287_2157
; %bb.2152:                             ;   in Loop: Header=BB287_2083 Depth=1
	v_and_b32_e32 v15, 0x7f, v13
	v_mov_b32_e32 v2, 0x7c01
	s_mov_b32 s28, exec_lo
	v_cmpx_ne_u32_e32 0x7f, v15
	s_cbranch_execz .LBB287_2156
; %bb.2153:                             ;   in Loop: Header=BB287_2083 Depth=1
	v_and_b32_e32 v2, 7, v13
	v_lshrrev_b32_e32 v5, 3, v15
	s_mov_b32 s29, exec_lo
	v_cmpx_gt_u32_e32 8, v15
; %bb.2154:                             ;   in Loop: Header=BB287_2083 Depth=1
	v_ffbh_u32_e32 v2, v2
	v_min_u32_e32 v2, 32, v2
	v_subrev_nc_u32_e32 v3, 28, v2
	v_sub_nc_u32_e32 v5, 29, v2
	v_lshlrev_b64 v[15:16], v3, v[13:14]
	v_and_b32_e32 v2, 7, v15
; %bb.2155:                             ;   in Loop: Header=BB287_2083 Depth=1
	s_or_b32 exec_lo, exec_lo, s29
	v_lshlrev_b32_e32 v3, 8, v13
	v_lshl_add_u32 v4, v5, 10, 0x2000
	v_lshlrev_b32_e32 v2, 7, v2
	v_and_b32_e32 v3, 0x8000, v3
	v_and_b32_e32 v4, 0xfc00, v4
	v_or3_b32 v2, v3, v4, v2
.LBB287_2156:                           ;   in Loop: Header=BB287_2083 Depth=1
	s_or_b32 exec_lo, exec_lo, s28
.LBB287_2157:                           ;   in Loop: Header=BB287_2083 Depth=1
	s_or_b32 exec_lo, exec_lo, s27
.LBB287_2158:                           ;   in Loop: Header=BB287_2083 Depth=1
	s_or_b32 exec_lo, exec_lo, s26
	v_lshrrev_b16 v5, 8, v13
	s_mov_b32 s26, exec_lo
	v_cmpx_ne_u16_e32 0, v5
	s_cbranch_execz .LBB287_2166
; %bb.2159:                             ;   in Loop: Header=BB287_2083 Depth=1
	v_bfrev_b32_e32 v1, 1
	s_mov_b32 s27, exec_lo
	v_cmpx_ne_u16_e32 0x80, v5
	s_cbranch_execz .LBB287_2165
; %bb.2160:                             ;   in Loop: Header=BB287_2083 Depth=1
	v_and_b32_sdwa v16, v5, v49 dst_sel:DWORD dst_unused:UNUSED_PAD src0_sel:WORD_0 src1_sel:DWORD
	v_mov_b32_e32 v1, 0x7c010000
	s_mov_b32 s28, exec_lo
	v_cmpx_ne_u32_e32 0x7f, v16
	s_cbranch_execz .LBB287_2164
; %bb.2161:                             ;   in Loop: Header=BB287_2083 Depth=1
	v_and_b32_sdwa v1, v5, v50 dst_sel:DWORD dst_unused:UNUSED_PAD src0_sel:WORD_0 src1_sel:DWORD
	v_lshrrev_b32_e32 v15, 3, v16
	s_mov_b32 s29, exec_lo
	v_cmpx_gt_u32_e32 8, v16
; %bb.2162:                             ;   in Loop: Header=BB287_2083 Depth=1
	v_ffbh_u32_e32 v1, v1
	v_min_u32_e32 v1, 32, v1
	v_subrev_nc_u32_e32 v3, 28, v1
	v_sub_nc_u32_e32 v15, 29, v1
	v_lshlrev_b64 v[18:19], v3, v[5:6]
	v_and_b32_e32 v1, 7, v18
; %bb.2163:                             ;   in Loop: Header=BB287_2083 Depth=1
	s_or_b32 exec_lo, exec_lo, s29
	v_lshlrev_b32_sdwa v3, v100, v5 dst_sel:DWORD dst_unused:UNUSED_PAD src0_sel:DWORD src1_sel:WORD_0
	v_lshl_add_u32 v4, v15, 10, 0x2000
	v_lshlrev_b32_e32 v1, 23, v1
	v_and_or_b32 v3, 0x8000, v3, v4
	v_lshl_or_b32 v1, v3, 16, v1
.LBB287_2164:                           ;   in Loop: Header=BB287_2083 Depth=1
	s_or_b32 exec_lo, exec_lo, s28
.LBB287_2165:                           ;   in Loop: Header=BB287_2083 Depth=1
	s_or_b32 exec_lo, exec_lo, s27
.LBB287_2166:                           ;   in Loop: Header=BB287_2083 Depth=1
	s_or_b32 exec_lo, exec_lo, s26
	v_lshrrev_b32_e32 v5, 16, v13
	v_mov_b32_e32 v15, 0
	v_mov_b32_e32 v16, 0
	v_cmp_ne_u16_sdwa s12, v5, v6 src0_sel:BYTE_0 src1_sel:DWORD
	s_and_saveexec_b32 s26, s12
	s_cbranch_execz .LBB287_2174
; %bb.2167:                             ;   in Loop: Header=BB287_2083 Depth=1
	v_cmp_ne_u16_sdwa s12, v5, v48 src0_sel:BYTE_0 src1_sel:DWORD
	v_mov_b32_e32 v16, 0x8000
	s_and_saveexec_b32 s27, s12
	s_cbranch_execz .LBB287_2173
; %bb.2168:                             ;   in Loop: Header=BB287_2083 Depth=1
	v_bfe_u32 v19, v13, 16, 7
	v_mov_b32_e32 v16, 0x7c01
	s_mov_b32 s28, exec_lo
	v_cmpx_ne_u32_e32 0x7f, v19
	s_cbranch_execz .LBB287_2172
; %bb.2169:                             ;   in Loop: Header=BB287_2083 Depth=1
	v_and_b32_e32 v16, 7, v5
	v_lshrrev_b32_e32 v18, 3, v19
	s_mov_b32 s29, exec_lo
	v_cmpx_gt_u32_e32 8, v19
; %bb.2170:                             ;   in Loop: Header=BB287_2083 Depth=1
	v_ffbh_u32_e32 v3, v16
	v_min_u32_e32 v3, 32, v3
	v_subrev_nc_u32_e32 v4, 28, v3
	v_sub_nc_u32_e32 v18, 29, v3
	v_lshlrev_b64 v[31:32], v4, v[5:6]
	v_and_b32_e32 v16, 7, v31
; %bb.2171:                             ;   in Loop: Header=BB287_2083 Depth=1
	s_or_b32 exec_lo, exec_lo, s29
	v_lshlrev_b32_e32 v3, 8, v5
	v_lshl_add_u32 v4, v18, 10, 0x2000
	v_lshlrev_b32_e32 v5, 7, v16
	v_and_b32_e32 v3, 0x8000, v3
	v_and_b32_e32 v4, 0xfc00, v4
	v_or3_b32 v16, v3, v4, v5
.LBB287_2172:                           ;   in Loop: Header=BB287_2083 Depth=1
	s_or_b32 exec_lo, exec_lo, s28
.LBB287_2173:                           ;   in Loop: Header=BB287_2083 Depth=1
	s_or_b32 exec_lo, exec_lo, s27
.LBB287_2174:                           ;   in Loop: Header=BB287_2083 Depth=1
	s_or_b32 exec_lo, exec_lo, s26
	s_mov_b32 s26, exec_lo
	v_cmpx_lt_u32_e32 0xffffff, v13
	s_cbranch_execz .LBB287_2182
; %bb.2175:                             ;   in Loop: Header=BB287_2083 Depth=1
	v_lshrrev_b32_e32 v5, 24, v13
	v_bfrev_b32_e32 v15, 1
	s_mov_b32 s27, exec_lo
	v_cmpx_ne_u32_e32 0x80, v5
	s_cbranch_execz .LBB287_2181
; %bb.2176:                             ;   in Loop: Header=BB287_2083 Depth=1
	v_and_b32_e32 v19, 0x7f, v5
	v_mov_b32_e32 v15, 0x7c010000
	s_mov_b32 s28, exec_lo
	v_cmpx_ne_u32_e32 0x7f, v19
	s_cbranch_execz .LBB287_2180
; %bb.2177:                             ;   in Loop: Header=BB287_2083 Depth=1
	v_and_b32_e32 v15, 7, v5
	v_lshrrev_b32_e32 v18, 3, v19
	s_mov_b32 s29, exec_lo
	v_cmpx_gt_u32_e32 8, v19
; %bb.2178:                             ;   in Loop: Header=BB287_2083 Depth=1
	v_ffbh_u32_e32 v3, v15
	v_min_u32_e32 v3, 32, v3
	v_subrev_nc_u32_e32 v4, 28, v3
	v_sub_nc_u32_e32 v18, 29, v3
	v_lshlrev_b64 v[31:32], v4, v[5:6]
	v_and_b32_e32 v15, 7, v31
; %bb.2179:                             ;   in Loop: Header=BB287_2083 Depth=1
	s_or_b32 exec_lo, exec_lo, s29
	v_lshlrev_b32_e32 v3, 8, v5
	v_lshl_add_u32 v4, v18, 10, 0x2000
	v_and_or_b32 v3, 0x8000, v3, v4
	v_lshlrev_b32_e32 v4, 23, v15
	v_lshl_or_b32 v15, v3, 16, v4
.LBB287_2180:                           ;   in Loop: Header=BB287_2083 Depth=1
	s_or_b32 exec_lo, exec_lo, s28
.LBB287_2181:                           ;   in Loop: Header=BB287_2083 Depth=1
	s_or_b32 exec_lo, exec_lo, s27
.LBB287_2182:                           ;   in Loop: Header=BB287_2083 Depth=1
	s_or_b32 exec_lo, exec_lo, s26
	v_mov_b32_e32 v5, v14
	v_cmp_ne_u16_sdwa s12, v14, v6 src0_sel:BYTE_0 src1_sel:DWORD
	v_mov_b32_e32 v18, 0
	v_mov_b32_e32 v19, 0
	s_and_saveexec_b32 s26, s12
	s_cbranch_execz .LBB287_2190
; %bb.2183:                             ;   in Loop: Header=BB287_2083 Depth=1
	v_cmp_ne_u16_sdwa s12, v14, v48 src0_sel:BYTE_0 src1_sel:DWORD
	v_mov_b32_e32 v19, 0x8000
	s_and_saveexec_b32 s27, s12
	s_cbranch_execz .LBB287_2189
; %bb.2184:                             ;   in Loop: Header=BB287_2083 Depth=1
	v_and_b32_e32 v32, 0x7f, v14
	v_mov_b32_e32 v19, 0x7c01
	s_mov_b32 s28, exec_lo
	v_cmpx_ne_u32_e32 0x7f, v32
	s_cbranch_execz .LBB287_2188
; %bb.2185:                             ;   in Loop: Header=BB287_2083 Depth=1
	v_and_b32_e32 v19, 7, v14
	v_lshrrev_b32_e32 v31, 3, v32
	s_mov_b32 s29, exec_lo
	v_cmpx_gt_u32_e32 8, v32
; %bb.2186:                             ;   in Loop: Header=BB287_2083 Depth=1
	v_ffbh_u32_e32 v3, v19
	v_min_u32_e32 v3, 32, v3
	v_subrev_nc_u32_e32 v4, 28, v3
	v_sub_nc_u32_e32 v31, 29, v3
	v_lshlrev_b64 v[36:37], v4, v[5:6]
	v_and_b32_e32 v19, 7, v36
; %bb.2187:                             ;   in Loop: Header=BB287_2083 Depth=1
	s_or_b32 exec_lo, exec_lo, s29
	v_lshlrev_b32_e32 v3, 8, v14
	v_lshl_add_u32 v4, v31, 10, 0x2000
	v_lshlrev_b32_e32 v19, 7, v19
	v_and_b32_e32 v3, 0x8000, v3
	v_and_b32_e32 v4, 0xfc00, v4
	v_or3_b32 v19, v3, v4, v19
.LBB287_2188:                           ;   in Loop: Header=BB287_2083 Depth=1
	s_or_b32 exec_lo, exec_lo, s28
.LBB287_2189:                           ;   in Loop: Header=BB287_2083 Depth=1
	s_or_b32 exec_lo, exec_lo, s27
.LBB287_2190:                           ;   in Loop: Header=BB287_2083 Depth=1
	s_or_b32 exec_lo, exec_lo, s26
	v_lshrrev_b16 v5, 8, v5
	v_mov_b32_e32 v31, 0
	s_mov_b32 s26, exec_lo
	v_cmpx_ne_u16_e32 0, v5
	s_cbranch_execz .LBB287_2198
; %bb.2191:                             ;   in Loop: Header=BB287_2083 Depth=1
	v_bfrev_b32_e32 v31, 1
	s_mov_b32 s27, exec_lo
	v_cmpx_ne_u16_e32 0x80, v5
	s_cbranch_execz .LBB287_2197
; %bb.2192:                             ;   in Loop: Header=BB287_2083 Depth=1
	v_and_b32_sdwa v36, v5, v49 dst_sel:DWORD dst_unused:UNUSED_PAD src0_sel:WORD_0 src1_sel:DWORD
	v_mov_b32_e32 v31, 0x7c010000
	s_mov_b32 s28, exec_lo
	v_cmpx_ne_u32_e32 0x7f, v36
	s_cbranch_execz .LBB287_2196
; %bb.2193:                             ;   in Loop: Header=BB287_2083 Depth=1
	v_and_b32_sdwa v31, v5, v50 dst_sel:DWORD dst_unused:UNUSED_PAD src0_sel:WORD_0 src1_sel:DWORD
	v_lshrrev_b32_e32 v32, 3, v36
	s_mov_b32 s29, exec_lo
	v_cmpx_gt_u32_e32 8, v36
; %bb.2194:                             ;   in Loop: Header=BB287_2083 Depth=1
	v_ffbh_u32_e32 v3, v31
	v_min_u32_e32 v3, 32, v3
	v_subrev_nc_u32_e32 v4, 28, v3
	v_lshlrev_b64 v[31:32], v4, v[5:6]
	v_sub_nc_u32_e32 v32, 29, v3
	v_and_b32_e32 v31, 7, v31
; %bb.2195:                             ;   in Loop: Header=BB287_2083 Depth=1
	s_or_b32 exec_lo, exec_lo, s29
	v_lshlrev_b32_sdwa v3, v100, v5 dst_sel:DWORD dst_unused:UNUSED_PAD src0_sel:DWORD src1_sel:WORD_0
	v_lshl_add_u32 v4, v32, 10, 0x2000
	v_and_or_b32 v3, 0x8000, v3, v4
	v_lshlrev_b32_e32 v4, 23, v31
	v_lshl_or_b32 v31, v3, 16, v4
.LBB287_2196:                           ;   in Loop: Header=BB287_2083 Depth=1
	s_or_b32 exec_lo, exec_lo, s28
.LBB287_2197:                           ;   in Loop: Header=BB287_2083 Depth=1
	s_or_b32 exec_lo, exec_lo, s27
.LBB287_2198:                           ;   in Loop: Header=BB287_2083 Depth=1
	s_or_b32 exec_lo, exec_lo, s26
	v_lshrrev_b32_e32 v5, 16, v14
	v_cmp_ne_u16_sdwa s12, v5, v6 src0_sel:BYTE_0 src1_sel:DWORD
	s_and_saveexec_b32 s26, s12
	s_cbranch_execz .LBB287_2206
; %bb.2199:                             ;   in Loop: Header=BB287_2083 Depth=1
	v_cmp_ne_u16_sdwa s12, v5, v48 src0_sel:BYTE_0 src1_sel:DWORD
	v_mov_b32_e32 v18, 0x8000
	s_and_saveexec_b32 s27, s12
	s_cbranch_execz .LBB287_2205
; %bb.2200:                             ;   in Loop: Header=BB287_2083 Depth=1
	v_bfe_u32 v36, v14, 16, 7
	v_mov_b32_e32 v18, 0x7c01
	s_mov_b32 s28, exec_lo
	v_cmpx_ne_u32_e32 0x7f, v36
	s_cbranch_execz .LBB287_2204
; %bb.2201:                             ;   in Loop: Header=BB287_2083 Depth=1
	v_and_b32_e32 v18, 7, v5
	v_lshrrev_b32_e32 v32, 3, v36
	s_mov_b32 s29, exec_lo
	v_cmpx_gt_u32_e32 8, v36
; %bb.2202:                             ;   in Loop: Header=BB287_2083 Depth=1
	v_ffbh_u32_e32 v3, v18
	v_min_u32_e32 v3, 32, v3
	v_subrev_nc_u32_e32 v4, 28, v3
	v_sub_nc_u32_e32 v32, 29, v3
	v_lshlrev_b64 v[36:37], v4, v[5:6]
	v_and_b32_e32 v18, 7, v36
; %bb.2203:                             ;   in Loop: Header=BB287_2083 Depth=1
	s_or_b32 exec_lo, exec_lo, s29
	v_lshlrev_b32_e32 v3, 8, v5
	v_lshl_add_u32 v4, v32, 10, 0x2000
	v_lshlrev_b32_e32 v5, 7, v18
	v_and_b32_e32 v3, 0x8000, v3
	v_and_b32_e32 v4, 0xfc00, v4
	v_or3_b32 v18, v3, v4, v5
.LBB287_2204:                           ;   in Loop: Header=BB287_2083 Depth=1
	s_or_b32 exec_lo, exec_lo, s28
.LBB287_2205:                           ;   in Loop: Header=BB287_2083 Depth=1
	s_or_b32 exec_lo, exec_lo, s27
.LBB287_2206:                           ;   in Loop: Header=BB287_2083 Depth=1
	s_or_b32 exec_lo, exec_lo, s26
	v_cmp_lt_u64_e64 s12, s[22:23], v[13:14]
	v_mov_b32_e32 v13, 0
	s_and_saveexec_b32 s26, s12
	s_cbranch_execz .LBB287_2214
; %bb.2207:                             ;   in Loop: Header=BB287_2083 Depth=1
	v_lshrrev_b32_e32 v5, 24, v14
	v_bfrev_b32_e32 v13, 1
	s_mov_b32 s27, exec_lo
	v_cmpx_ne_u32_e32 0x80, v5
	s_cbranch_execz .LBB287_2213
; %bb.2208:                             ;   in Loop: Header=BB287_2083 Depth=1
	v_and_b32_e32 v32, 0x7f, v5
	v_mov_b32_e32 v13, 0x7c010000
	s_mov_b32 s28, exec_lo
	v_cmpx_ne_u32_e32 0x7f, v32
	s_cbranch_execz .LBB287_2212
; %bb.2209:                             ;   in Loop: Header=BB287_2083 Depth=1
	v_and_b32_e32 v13, 7, v5
	v_lshrrev_b32_e32 v14, 3, v32
	s_mov_b32 s29, exec_lo
	v_cmpx_gt_u32_e32 8, v32
; %bb.2210:                             ;   in Loop: Header=BB287_2083 Depth=1
	v_ffbh_u32_e32 v3, v13
	v_min_u32_e32 v3, 32, v3
	v_subrev_nc_u32_e32 v4, 28, v3
	v_lshlrev_b64 v[13:14], v4, v[5:6]
	v_sub_nc_u32_e32 v14, 29, v3
	v_and_b32_e32 v13, 7, v13
; %bb.2211:                             ;   in Loop: Header=BB287_2083 Depth=1
	s_or_b32 exec_lo, exec_lo, s29
	v_lshlrev_b32_e32 v3, 8, v5
	v_lshl_add_u32 v4, v14, 10, 0x2000
	v_and_or_b32 v3, 0x8000, v3, v4
	v_lshlrev_b32_e32 v4, 23, v13
	v_lshl_or_b32 v13, v3, 16, v4
.LBB287_2212:                           ;   in Loop: Header=BB287_2083 Depth=1
	s_or_b32 exec_lo, exec_lo, s28
.LBB287_2213:                           ;   in Loop: Header=BB287_2083 Depth=1
	s_or_b32 exec_lo, exec_lo, s27
.LBB287_2214:                           ;   in Loop: Header=BB287_2083 Depth=1
	s_or_b32 exec_lo, exec_lo, s26
	v_or_b32_e32 v3, v15, v16
	s_waitcnt vmcnt(0) lgkmcnt(0)
	v_fma_mixlo_f16 v4, v0, v15, 0 op_sel:[0,1,0] op_sel_hi:[0,1,0]
	v_or_b32_e32 v2, v1, v2
	v_or_b32_e32 v14, v31, v19
	;; [unrolled: 1-line block ×3, first 2 shown]
	v_fma_mixlo_f16 v3, v0, v3, 0 op_sel_hi:[0,1,0]
	v_fma_mixlo_f16 v5, v0, v1, 0 op_sel:[0,1,0] op_sel_hi:[0,1,0]
	v_lshlrev_b32_e32 v1, 16, v4
	v_fma_mixlo_f16 v4, v0, v2, 0 op_sel_hi:[0,1,0]
	v_fma_mixlo_f16 v14, v0, v14, 0 op_sel_hi:[0,1,0]
	v_and_b32_e32 v2, 0xffff, v3
	v_fma_mixlo_f16 v3, v0, v31, 0 op_sel:[0,1,0] op_sel_hi:[0,1,0]
	v_fma_mixlo_f16 v13, v0, v13, 0 op_sel:[0,1,0] op_sel_hi:[0,1,0]
	v_fma_mixlo_f16 v0, v0, v15, 0 op_sel_hi:[0,1,0]
	v_lshlrev_b32_e32 v5, 16, v5
	v_and_b32_e32 v32, 0xffff, v4
	v_lshlrev_b32_e32 v18, 16, v3
	v_and_b32_e32 v31, 0xffff, v14
	;; [unrolled: 2-line block ×3, first 2 shown]
	v_or_b32_e32 v0, v1, v2
	v_or_b32_e32 v15, v5, v32
	;; [unrolled: 1-line block ×4, first 2 shown]
	s_and_saveexec_b32 s12, s4
	s_cbranch_execz .LBB287_2216
; %bb.2215:                             ;   in Loop: Header=BB287_2083 Depth=1
	v_cndmask_b32_e32 v0, 0, v32, vcc_lo
	v_cndmask_b32_e64 v3, 0, v5, s7
	v_cndmask_b32_e64 v2, 0, v2, s5
	v_cndmask_b32_e64 v1, 0, v1, s6
	v_cndmask_b32_e64 v4, 0, v31, s8
	v_cndmask_b32_e64 v5, 0, v18, s9
	v_cndmask_b32_e64 v13, 0, v19, s10
	v_cndmask_b32_e64 v16, 0, v16, s11
	v_or_b32_e32 v15, v0, v3
	v_or_b32_e32 v0, v2, v1
	;; [unrolled: 1-line block ×4, first 2 shown]
.LBB287_2216:                           ;   in Loop: Header=BB287_2083 Depth=1
	s_or_b32 exec_lo, exec_lo, s12
	;;#ASMSTART
	v_pk_mul_f16 v1, v40, v15;

	;;#ASMEND
	;;#ASMSTART
	v_pk_mul_f16 v0, v119, v0;

	;;#ASMEND
	;; [unrolled: 4-line block ×4, first 2 shown]
	;;#ASMSTART
	v_pk_add_f16 v0, v1, v0;

	;;#ASMEND
	;;#ASMSTART
	v_pk_add_f16 v0, v0, v2;

	;;#ASMEND
	;; [unrolled: 4-line block ×3, first 2 shown]
	v_and_b32_e32 v1, 0xffff, v0
	v_lshrrev_b32_e32 v0, 16, v0
	;;#ASMSTART
	v_cvt_f32_f16 v41, v1;
	;;#ASMEND
	;;#ASMSTART
	v_cvt_f32_f16 v42, v0;
	;;#ASMEND
	flat_load_dwordx2 v[13:14], v[11:12] offset:512
	flat_load_dword v0, v[22:23]
	v_mov_b32_e32 v1, 0
	v_mov_b32_e32 v2, 0
	s_waitcnt vmcnt(1) lgkmcnt(1)
	v_cmp_ne_u16_sdwa s12, v13, v6 src0_sel:BYTE_0 src1_sel:DWORD
	s_and_saveexec_b32 s26, s12
	s_cbranch_execz .LBB287_2224
; %bb.2217:                             ;   in Loop: Header=BB287_2083 Depth=1
	v_cmp_ne_u16_sdwa s12, v13, v48 src0_sel:BYTE_0 src1_sel:DWORD
	v_mov_b32_e32 v2, 0x8000
	s_and_saveexec_b32 s27, s12
	s_cbranch_execz .LBB287_2223
; %bb.2218:                             ;   in Loop: Header=BB287_2083 Depth=1
	v_and_b32_e32 v15, 0x7f, v13
	v_mov_b32_e32 v2, 0x7c01
	s_mov_b32 s28, exec_lo
	v_cmpx_ne_u32_e32 0x7f, v15
	s_cbranch_execz .LBB287_2222
; %bb.2219:                             ;   in Loop: Header=BB287_2083 Depth=1
	v_and_b32_e32 v2, 7, v13
	v_lshrrev_b32_e32 v5, 3, v15
	s_mov_b32 s29, exec_lo
	v_cmpx_gt_u32_e32 8, v15
; %bb.2220:                             ;   in Loop: Header=BB287_2083 Depth=1
	v_ffbh_u32_e32 v2, v2
	v_min_u32_e32 v2, 32, v2
	v_subrev_nc_u32_e32 v3, 28, v2
	v_sub_nc_u32_e32 v5, 29, v2
	v_lshlrev_b64 v[15:16], v3, v[13:14]
	v_and_b32_e32 v2, 7, v15
; %bb.2221:                             ;   in Loop: Header=BB287_2083 Depth=1
	s_or_b32 exec_lo, exec_lo, s29
	v_lshlrev_b32_e32 v3, 8, v13
	v_lshl_add_u32 v4, v5, 10, 0x2000
	v_lshlrev_b32_e32 v2, 7, v2
	v_and_b32_e32 v3, 0x8000, v3
	v_and_b32_e32 v4, 0xfc00, v4
	v_or3_b32 v2, v3, v4, v2
.LBB287_2222:                           ;   in Loop: Header=BB287_2083 Depth=1
	s_or_b32 exec_lo, exec_lo, s28
.LBB287_2223:                           ;   in Loop: Header=BB287_2083 Depth=1
	s_or_b32 exec_lo, exec_lo, s27
.LBB287_2224:                           ;   in Loop: Header=BB287_2083 Depth=1
	s_or_b32 exec_lo, exec_lo, s26
	v_lshrrev_b16 v5, 8, v13
	s_mov_b32 s26, exec_lo
	v_cmpx_ne_u16_e32 0, v5
	s_cbranch_execz .LBB287_2232
; %bb.2225:                             ;   in Loop: Header=BB287_2083 Depth=1
	v_bfrev_b32_e32 v1, 1
	s_mov_b32 s27, exec_lo
	v_cmpx_ne_u16_e32 0x80, v5
	s_cbranch_execz .LBB287_2231
; %bb.2226:                             ;   in Loop: Header=BB287_2083 Depth=1
	v_and_b32_sdwa v16, v5, v49 dst_sel:DWORD dst_unused:UNUSED_PAD src0_sel:WORD_0 src1_sel:DWORD
	v_mov_b32_e32 v1, 0x7c010000
	s_mov_b32 s28, exec_lo
	v_cmpx_ne_u32_e32 0x7f, v16
	s_cbranch_execz .LBB287_2230
; %bb.2227:                             ;   in Loop: Header=BB287_2083 Depth=1
	v_and_b32_sdwa v1, v5, v50 dst_sel:DWORD dst_unused:UNUSED_PAD src0_sel:WORD_0 src1_sel:DWORD
	v_lshrrev_b32_e32 v15, 3, v16
	s_mov_b32 s29, exec_lo
	v_cmpx_gt_u32_e32 8, v16
; %bb.2228:                             ;   in Loop: Header=BB287_2083 Depth=1
	v_ffbh_u32_e32 v1, v1
	v_min_u32_e32 v1, 32, v1
	v_subrev_nc_u32_e32 v3, 28, v1
	v_sub_nc_u32_e32 v15, 29, v1
	v_lshlrev_b64 v[18:19], v3, v[5:6]
	v_and_b32_e32 v1, 7, v18
; %bb.2229:                             ;   in Loop: Header=BB287_2083 Depth=1
	s_or_b32 exec_lo, exec_lo, s29
	v_lshlrev_b32_sdwa v3, v100, v5 dst_sel:DWORD dst_unused:UNUSED_PAD src0_sel:DWORD src1_sel:WORD_0
	v_lshl_add_u32 v4, v15, 10, 0x2000
	v_lshlrev_b32_e32 v1, 23, v1
	v_and_or_b32 v3, 0x8000, v3, v4
	v_lshl_or_b32 v1, v3, 16, v1
.LBB287_2230:                           ;   in Loop: Header=BB287_2083 Depth=1
	s_or_b32 exec_lo, exec_lo, s28
.LBB287_2231:                           ;   in Loop: Header=BB287_2083 Depth=1
	s_or_b32 exec_lo, exec_lo, s27
.LBB287_2232:                           ;   in Loop: Header=BB287_2083 Depth=1
	s_or_b32 exec_lo, exec_lo, s26
	v_lshrrev_b32_e32 v5, 16, v13
	v_mov_b32_e32 v15, 0
	v_mov_b32_e32 v16, 0
	v_cmp_ne_u16_sdwa s12, v5, v6 src0_sel:BYTE_0 src1_sel:DWORD
	s_and_saveexec_b32 s26, s12
	s_cbranch_execz .LBB287_2240
; %bb.2233:                             ;   in Loop: Header=BB287_2083 Depth=1
	v_cmp_ne_u16_sdwa s12, v5, v48 src0_sel:BYTE_0 src1_sel:DWORD
	v_mov_b32_e32 v16, 0x8000
	s_and_saveexec_b32 s27, s12
	s_cbranch_execz .LBB287_2239
; %bb.2234:                             ;   in Loop: Header=BB287_2083 Depth=1
	v_bfe_u32 v19, v13, 16, 7
	v_mov_b32_e32 v16, 0x7c01
	s_mov_b32 s28, exec_lo
	v_cmpx_ne_u32_e32 0x7f, v19
	s_cbranch_execz .LBB287_2238
; %bb.2235:                             ;   in Loop: Header=BB287_2083 Depth=1
	v_and_b32_e32 v16, 7, v5
	v_lshrrev_b32_e32 v18, 3, v19
	s_mov_b32 s29, exec_lo
	v_cmpx_gt_u32_e32 8, v19
; %bb.2236:                             ;   in Loop: Header=BB287_2083 Depth=1
	v_ffbh_u32_e32 v3, v16
	v_min_u32_e32 v3, 32, v3
	v_subrev_nc_u32_e32 v4, 28, v3
	v_sub_nc_u32_e32 v18, 29, v3
	v_lshlrev_b64 v[31:32], v4, v[5:6]
	v_and_b32_e32 v16, 7, v31
; %bb.2237:                             ;   in Loop: Header=BB287_2083 Depth=1
	s_or_b32 exec_lo, exec_lo, s29
	v_lshlrev_b32_e32 v3, 8, v5
	v_lshl_add_u32 v4, v18, 10, 0x2000
	v_lshlrev_b32_e32 v5, 7, v16
	v_and_b32_e32 v3, 0x8000, v3
	v_and_b32_e32 v4, 0xfc00, v4
	v_or3_b32 v16, v3, v4, v5
.LBB287_2238:                           ;   in Loop: Header=BB287_2083 Depth=1
	s_or_b32 exec_lo, exec_lo, s28
.LBB287_2239:                           ;   in Loop: Header=BB287_2083 Depth=1
	s_or_b32 exec_lo, exec_lo, s27
.LBB287_2240:                           ;   in Loop: Header=BB287_2083 Depth=1
	s_or_b32 exec_lo, exec_lo, s26
	s_mov_b32 s26, exec_lo
	v_cmpx_lt_u32_e32 0xffffff, v13
	s_cbranch_execz .LBB287_2248
; %bb.2241:                             ;   in Loop: Header=BB287_2083 Depth=1
	v_lshrrev_b32_e32 v5, 24, v13
	v_bfrev_b32_e32 v15, 1
	s_mov_b32 s27, exec_lo
	v_cmpx_ne_u32_e32 0x80, v5
	s_cbranch_execz .LBB287_2247
; %bb.2242:                             ;   in Loop: Header=BB287_2083 Depth=1
	v_and_b32_e32 v19, 0x7f, v5
	v_mov_b32_e32 v15, 0x7c010000
	s_mov_b32 s28, exec_lo
	v_cmpx_ne_u32_e32 0x7f, v19
	s_cbranch_execz .LBB287_2246
; %bb.2243:                             ;   in Loop: Header=BB287_2083 Depth=1
	v_and_b32_e32 v15, 7, v5
	v_lshrrev_b32_e32 v18, 3, v19
	s_mov_b32 s29, exec_lo
	v_cmpx_gt_u32_e32 8, v19
; %bb.2244:                             ;   in Loop: Header=BB287_2083 Depth=1
	v_ffbh_u32_e32 v3, v15
	v_min_u32_e32 v3, 32, v3
	v_subrev_nc_u32_e32 v4, 28, v3
	v_sub_nc_u32_e32 v18, 29, v3
	v_lshlrev_b64 v[31:32], v4, v[5:6]
	v_and_b32_e32 v15, 7, v31
; %bb.2245:                             ;   in Loop: Header=BB287_2083 Depth=1
	s_or_b32 exec_lo, exec_lo, s29
	v_lshlrev_b32_e32 v3, 8, v5
	v_lshl_add_u32 v4, v18, 10, 0x2000
	v_and_or_b32 v3, 0x8000, v3, v4
	v_lshlrev_b32_e32 v4, 23, v15
	v_lshl_or_b32 v15, v3, 16, v4
.LBB287_2246:                           ;   in Loop: Header=BB287_2083 Depth=1
	s_or_b32 exec_lo, exec_lo, s28
.LBB287_2247:                           ;   in Loop: Header=BB287_2083 Depth=1
	s_or_b32 exec_lo, exec_lo, s27
.LBB287_2248:                           ;   in Loop: Header=BB287_2083 Depth=1
	s_or_b32 exec_lo, exec_lo, s26
	v_mov_b32_e32 v5, v14
	v_cmp_ne_u16_sdwa s12, v14, v6 src0_sel:BYTE_0 src1_sel:DWORD
	v_mov_b32_e32 v18, 0
	v_mov_b32_e32 v19, 0
	s_and_saveexec_b32 s26, s12
	s_cbranch_execz .LBB287_2256
; %bb.2249:                             ;   in Loop: Header=BB287_2083 Depth=1
	v_cmp_ne_u16_sdwa s12, v14, v48 src0_sel:BYTE_0 src1_sel:DWORD
	v_mov_b32_e32 v19, 0x8000
	s_and_saveexec_b32 s27, s12
	s_cbranch_execz .LBB287_2255
; %bb.2250:                             ;   in Loop: Header=BB287_2083 Depth=1
	v_and_b32_e32 v32, 0x7f, v14
	v_mov_b32_e32 v19, 0x7c01
	s_mov_b32 s28, exec_lo
	v_cmpx_ne_u32_e32 0x7f, v32
	s_cbranch_execz .LBB287_2254
; %bb.2251:                             ;   in Loop: Header=BB287_2083 Depth=1
	v_and_b32_e32 v19, 7, v14
	v_lshrrev_b32_e32 v31, 3, v32
	s_mov_b32 s29, exec_lo
	v_cmpx_gt_u32_e32 8, v32
; %bb.2252:                             ;   in Loop: Header=BB287_2083 Depth=1
	v_ffbh_u32_e32 v3, v19
	v_min_u32_e32 v3, 32, v3
	v_subrev_nc_u32_e32 v4, 28, v3
	v_sub_nc_u32_e32 v31, 29, v3
	v_lshlrev_b64 v[36:37], v4, v[5:6]
	v_and_b32_e32 v19, 7, v36
; %bb.2253:                             ;   in Loop: Header=BB287_2083 Depth=1
	s_or_b32 exec_lo, exec_lo, s29
	v_lshlrev_b32_e32 v3, 8, v14
	v_lshl_add_u32 v4, v31, 10, 0x2000
	v_lshlrev_b32_e32 v19, 7, v19
	v_and_b32_e32 v3, 0x8000, v3
	v_and_b32_e32 v4, 0xfc00, v4
	v_or3_b32 v19, v3, v4, v19
.LBB287_2254:                           ;   in Loop: Header=BB287_2083 Depth=1
	s_or_b32 exec_lo, exec_lo, s28
.LBB287_2255:                           ;   in Loop: Header=BB287_2083 Depth=1
	s_or_b32 exec_lo, exec_lo, s27
.LBB287_2256:                           ;   in Loop: Header=BB287_2083 Depth=1
	s_or_b32 exec_lo, exec_lo, s26
	v_lshrrev_b16 v5, 8, v5
	v_mov_b32_e32 v31, 0
	s_mov_b32 s26, exec_lo
	v_cmpx_ne_u16_e32 0, v5
	s_cbranch_execz .LBB287_2264
; %bb.2257:                             ;   in Loop: Header=BB287_2083 Depth=1
	v_bfrev_b32_e32 v31, 1
	s_mov_b32 s27, exec_lo
	v_cmpx_ne_u16_e32 0x80, v5
	s_cbranch_execz .LBB287_2263
; %bb.2258:                             ;   in Loop: Header=BB287_2083 Depth=1
	v_and_b32_sdwa v36, v5, v49 dst_sel:DWORD dst_unused:UNUSED_PAD src0_sel:WORD_0 src1_sel:DWORD
	v_mov_b32_e32 v31, 0x7c010000
	s_mov_b32 s28, exec_lo
	v_cmpx_ne_u32_e32 0x7f, v36
	s_cbranch_execz .LBB287_2262
; %bb.2259:                             ;   in Loop: Header=BB287_2083 Depth=1
	v_and_b32_sdwa v31, v5, v50 dst_sel:DWORD dst_unused:UNUSED_PAD src0_sel:WORD_0 src1_sel:DWORD
	v_lshrrev_b32_e32 v32, 3, v36
	s_mov_b32 s29, exec_lo
	v_cmpx_gt_u32_e32 8, v36
; %bb.2260:                             ;   in Loop: Header=BB287_2083 Depth=1
	v_ffbh_u32_e32 v3, v31
	v_min_u32_e32 v3, 32, v3
	v_subrev_nc_u32_e32 v4, 28, v3
	v_lshlrev_b64 v[31:32], v4, v[5:6]
	v_sub_nc_u32_e32 v32, 29, v3
	v_and_b32_e32 v31, 7, v31
; %bb.2261:                             ;   in Loop: Header=BB287_2083 Depth=1
	s_or_b32 exec_lo, exec_lo, s29
	v_lshlrev_b32_sdwa v3, v100, v5 dst_sel:DWORD dst_unused:UNUSED_PAD src0_sel:DWORD src1_sel:WORD_0
	v_lshl_add_u32 v4, v32, 10, 0x2000
	v_and_or_b32 v3, 0x8000, v3, v4
	v_lshlrev_b32_e32 v4, 23, v31
	v_lshl_or_b32 v31, v3, 16, v4
.LBB287_2262:                           ;   in Loop: Header=BB287_2083 Depth=1
	s_or_b32 exec_lo, exec_lo, s28
.LBB287_2263:                           ;   in Loop: Header=BB287_2083 Depth=1
	s_or_b32 exec_lo, exec_lo, s27
.LBB287_2264:                           ;   in Loop: Header=BB287_2083 Depth=1
	s_or_b32 exec_lo, exec_lo, s26
	v_lshrrev_b32_e32 v5, 16, v14
	v_cmp_ne_u16_sdwa s12, v5, v6 src0_sel:BYTE_0 src1_sel:DWORD
	s_and_saveexec_b32 s26, s12
	s_cbranch_execz .LBB287_2272
; %bb.2265:                             ;   in Loop: Header=BB287_2083 Depth=1
	v_cmp_ne_u16_sdwa s12, v5, v48 src0_sel:BYTE_0 src1_sel:DWORD
	v_mov_b32_e32 v18, 0x8000
	s_and_saveexec_b32 s27, s12
	s_cbranch_execz .LBB287_2271
; %bb.2266:                             ;   in Loop: Header=BB287_2083 Depth=1
	v_bfe_u32 v36, v14, 16, 7
	v_mov_b32_e32 v18, 0x7c01
	s_mov_b32 s28, exec_lo
	v_cmpx_ne_u32_e32 0x7f, v36
	s_cbranch_execz .LBB287_2270
; %bb.2267:                             ;   in Loop: Header=BB287_2083 Depth=1
	v_and_b32_e32 v18, 7, v5
	v_lshrrev_b32_e32 v32, 3, v36
	s_mov_b32 s29, exec_lo
	v_cmpx_gt_u32_e32 8, v36
; %bb.2268:                             ;   in Loop: Header=BB287_2083 Depth=1
	v_ffbh_u32_e32 v3, v18
	v_min_u32_e32 v3, 32, v3
	v_subrev_nc_u32_e32 v4, 28, v3
	v_sub_nc_u32_e32 v32, 29, v3
	v_lshlrev_b64 v[36:37], v4, v[5:6]
	v_and_b32_e32 v18, 7, v36
; %bb.2269:                             ;   in Loop: Header=BB287_2083 Depth=1
	s_or_b32 exec_lo, exec_lo, s29
	v_lshlrev_b32_e32 v3, 8, v5
	v_lshl_add_u32 v4, v32, 10, 0x2000
	v_lshlrev_b32_e32 v5, 7, v18
	v_and_b32_e32 v3, 0x8000, v3
	v_and_b32_e32 v4, 0xfc00, v4
	v_or3_b32 v18, v3, v4, v5
.LBB287_2270:                           ;   in Loop: Header=BB287_2083 Depth=1
	s_or_b32 exec_lo, exec_lo, s28
.LBB287_2271:                           ;   in Loop: Header=BB287_2083 Depth=1
	s_or_b32 exec_lo, exec_lo, s27
.LBB287_2272:                           ;   in Loop: Header=BB287_2083 Depth=1
	s_or_b32 exec_lo, exec_lo, s26
	v_cmp_lt_u64_e64 s12, s[22:23], v[13:14]
	v_mov_b32_e32 v13, 0
	s_and_saveexec_b32 s26, s12
	s_cbranch_execz .LBB287_2280
; %bb.2273:                             ;   in Loop: Header=BB287_2083 Depth=1
	v_lshrrev_b32_e32 v5, 24, v14
	v_bfrev_b32_e32 v13, 1
	s_mov_b32 s27, exec_lo
	v_cmpx_ne_u32_e32 0x80, v5
	s_cbranch_execz .LBB287_2279
; %bb.2274:                             ;   in Loop: Header=BB287_2083 Depth=1
	v_and_b32_e32 v32, 0x7f, v5
	v_mov_b32_e32 v13, 0x7c010000
	s_mov_b32 s28, exec_lo
	v_cmpx_ne_u32_e32 0x7f, v32
	s_cbranch_execz .LBB287_2278
; %bb.2275:                             ;   in Loop: Header=BB287_2083 Depth=1
	v_and_b32_e32 v13, 7, v5
	v_lshrrev_b32_e32 v14, 3, v32
	s_mov_b32 s29, exec_lo
	v_cmpx_gt_u32_e32 8, v32
; %bb.2276:                             ;   in Loop: Header=BB287_2083 Depth=1
	v_ffbh_u32_e32 v3, v13
	v_min_u32_e32 v3, 32, v3
	v_subrev_nc_u32_e32 v4, 28, v3
	v_lshlrev_b64 v[13:14], v4, v[5:6]
	v_sub_nc_u32_e32 v14, 29, v3
	v_and_b32_e32 v13, 7, v13
; %bb.2277:                             ;   in Loop: Header=BB287_2083 Depth=1
	s_or_b32 exec_lo, exec_lo, s29
	v_lshlrev_b32_e32 v3, 8, v5
	v_lshl_add_u32 v4, v14, 10, 0x2000
	v_and_or_b32 v3, 0x8000, v3, v4
	v_lshlrev_b32_e32 v4, 23, v13
	v_lshl_or_b32 v13, v3, 16, v4
.LBB287_2278:                           ;   in Loop: Header=BB287_2083 Depth=1
	s_or_b32 exec_lo, exec_lo, s28
.LBB287_2279:                           ;   in Loop: Header=BB287_2083 Depth=1
	s_or_b32 exec_lo, exec_lo, s27
.LBB287_2280:                           ;   in Loop: Header=BB287_2083 Depth=1
	s_or_b32 exec_lo, exec_lo, s26
	v_or_b32_e32 v3, v15, v16
	s_waitcnt vmcnt(0) lgkmcnt(0)
	v_fma_mixlo_f16 v4, v0, v15, 0 op_sel:[0,1,0] op_sel_hi:[0,1,0]
	v_or_b32_e32 v2, v1, v2
	v_or_b32_e32 v14, v31, v19
	;; [unrolled: 1-line block ×3, first 2 shown]
	v_fma_mixlo_f16 v3, v0, v3, 0 op_sel_hi:[0,1,0]
	v_fma_mixlo_f16 v5, v0, v1, 0 op_sel:[0,1,0] op_sel_hi:[0,1,0]
	v_lshlrev_b32_e32 v1, 16, v4
	v_fma_mixlo_f16 v4, v0, v2, 0 op_sel_hi:[0,1,0]
	v_fma_mixlo_f16 v14, v0, v14, 0 op_sel_hi:[0,1,0]
	v_and_b32_e32 v2, 0xffff, v3
	v_fma_mixlo_f16 v3, v0, v31, 0 op_sel:[0,1,0] op_sel_hi:[0,1,0]
	v_fma_mixlo_f16 v13, v0, v13, 0 op_sel:[0,1,0] op_sel_hi:[0,1,0]
	v_fma_mixlo_f16 v0, v0, v15, 0 op_sel_hi:[0,1,0]
	v_lshlrev_b32_e32 v5, 16, v5
	v_and_b32_e32 v32, 0xffff, v4
	v_lshlrev_b32_e32 v18, 16, v3
	v_and_b32_e32 v31, 0xffff, v14
	;; [unrolled: 2-line block ×3, first 2 shown]
	v_or_b32_e32 v0, v1, v2
	v_or_b32_e32 v15, v5, v32
	;; [unrolled: 1-line block ×4, first 2 shown]
	s_and_saveexec_b32 s12, s4
	s_cbranch_execz .LBB287_2282
; %bb.2281:                             ;   in Loop: Header=BB287_2083 Depth=1
	v_cndmask_b32_e32 v0, 0, v32, vcc_lo
	v_cndmask_b32_e64 v3, 0, v5, s7
	v_cndmask_b32_e64 v2, 0, v2, s5
	;; [unrolled: 1-line block ×7, first 2 shown]
	v_or_b32_e32 v15, v0, v3
	v_or_b32_e32 v0, v2, v1
	;; [unrolled: 1-line block ×4, first 2 shown]
.LBB287_2282:                           ;   in Loop: Header=BB287_2083 Depth=1
	s_or_b32 exec_lo, exec_lo, s12
	;;#ASMSTART
	v_pk_mul_f16 v1, v40, v15;

	;;#ASMEND
	;;#ASMSTART
	v_pk_mul_f16 v0, v119, v0;

	;;#ASMEND
	;; [unrolled: 4-line block ×4, first 2 shown]
	;;#ASMSTART
	v_pk_add_f16 v0, v1, v0;

	;;#ASMEND
	;;#ASMSTART
	v_pk_add_f16 v0, v0, v2;

	;;#ASMEND
	;; [unrolled: 4-line block ×3, first 2 shown]
	v_and_b32_e32 v1, 0xffff, v0
	v_lshrrev_b32_e32 v0, 16, v0
	;;#ASMSTART
	v_cvt_f32_f16 v43, v1;
	;;#ASMEND
	;;#ASMSTART
	v_cvt_f32_f16 v44, v0;
	;;#ASMEND
	flat_load_dwordx2 v[13:14], v[11:12] offset:768
	flat_load_dword v0, v[22:23]
	v_mov_b32_e32 v1, 0
	v_mov_b32_e32 v2, 0
	s_waitcnt vmcnt(1) lgkmcnt(1)
	v_cmp_ne_u16_sdwa s12, v13, v6 src0_sel:BYTE_0 src1_sel:DWORD
	s_and_saveexec_b32 s26, s12
	s_cbranch_execz .LBB287_2290
; %bb.2283:                             ;   in Loop: Header=BB287_2083 Depth=1
	v_cmp_ne_u16_sdwa s12, v13, v48 src0_sel:BYTE_0 src1_sel:DWORD
	v_mov_b32_e32 v2, 0x8000
	s_and_saveexec_b32 s27, s12
	s_cbranch_execz .LBB287_2289
; %bb.2284:                             ;   in Loop: Header=BB287_2083 Depth=1
	v_and_b32_e32 v15, 0x7f, v13
	v_mov_b32_e32 v2, 0x7c01
	s_mov_b32 s28, exec_lo
	v_cmpx_ne_u32_e32 0x7f, v15
	s_cbranch_execz .LBB287_2288
; %bb.2285:                             ;   in Loop: Header=BB287_2083 Depth=1
	v_and_b32_e32 v2, 7, v13
	v_lshrrev_b32_e32 v5, 3, v15
	s_mov_b32 s29, exec_lo
	v_cmpx_gt_u32_e32 8, v15
; %bb.2286:                             ;   in Loop: Header=BB287_2083 Depth=1
	v_ffbh_u32_e32 v2, v2
	v_min_u32_e32 v2, 32, v2
	v_subrev_nc_u32_e32 v3, 28, v2
	v_sub_nc_u32_e32 v5, 29, v2
	v_lshlrev_b64 v[15:16], v3, v[13:14]
	v_and_b32_e32 v2, 7, v15
; %bb.2287:                             ;   in Loop: Header=BB287_2083 Depth=1
	s_or_b32 exec_lo, exec_lo, s29
	v_lshlrev_b32_e32 v3, 8, v13
	v_lshl_add_u32 v4, v5, 10, 0x2000
	v_lshlrev_b32_e32 v2, 7, v2
	v_and_b32_e32 v3, 0x8000, v3
	v_and_b32_e32 v4, 0xfc00, v4
	v_or3_b32 v2, v3, v4, v2
.LBB287_2288:                           ;   in Loop: Header=BB287_2083 Depth=1
	s_or_b32 exec_lo, exec_lo, s28
.LBB287_2289:                           ;   in Loop: Header=BB287_2083 Depth=1
	s_or_b32 exec_lo, exec_lo, s27
.LBB287_2290:                           ;   in Loop: Header=BB287_2083 Depth=1
	s_or_b32 exec_lo, exec_lo, s26
	v_lshrrev_b16 v5, 8, v13
	s_mov_b32 s26, exec_lo
	v_cmpx_ne_u16_e32 0, v5
	s_cbranch_execz .LBB287_2298
; %bb.2291:                             ;   in Loop: Header=BB287_2083 Depth=1
	v_bfrev_b32_e32 v1, 1
	s_mov_b32 s27, exec_lo
	v_cmpx_ne_u16_e32 0x80, v5
	s_cbranch_execz .LBB287_2297
; %bb.2292:                             ;   in Loop: Header=BB287_2083 Depth=1
	v_and_b32_sdwa v16, v5, v49 dst_sel:DWORD dst_unused:UNUSED_PAD src0_sel:WORD_0 src1_sel:DWORD
	v_mov_b32_e32 v1, 0x7c010000
	s_mov_b32 s28, exec_lo
	v_cmpx_ne_u32_e32 0x7f, v16
	s_cbranch_execz .LBB287_2296
; %bb.2293:                             ;   in Loop: Header=BB287_2083 Depth=1
	v_and_b32_sdwa v1, v5, v50 dst_sel:DWORD dst_unused:UNUSED_PAD src0_sel:WORD_0 src1_sel:DWORD
	v_lshrrev_b32_e32 v15, 3, v16
	s_mov_b32 s29, exec_lo
	v_cmpx_gt_u32_e32 8, v16
; %bb.2294:                             ;   in Loop: Header=BB287_2083 Depth=1
	v_ffbh_u32_e32 v1, v1
	v_min_u32_e32 v1, 32, v1
	v_subrev_nc_u32_e32 v3, 28, v1
	v_sub_nc_u32_e32 v15, 29, v1
	v_lshlrev_b64 v[18:19], v3, v[5:6]
	v_and_b32_e32 v1, 7, v18
; %bb.2295:                             ;   in Loop: Header=BB287_2083 Depth=1
	s_or_b32 exec_lo, exec_lo, s29
	v_lshlrev_b32_sdwa v3, v100, v5 dst_sel:DWORD dst_unused:UNUSED_PAD src0_sel:DWORD src1_sel:WORD_0
	v_lshl_add_u32 v4, v15, 10, 0x2000
	v_lshlrev_b32_e32 v1, 23, v1
	v_and_or_b32 v3, 0x8000, v3, v4
	v_lshl_or_b32 v1, v3, 16, v1
.LBB287_2296:                           ;   in Loop: Header=BB287_2083 Depth=1
	s_or_b32 exec_lo, exec_lo, s28
.LBB287_2297:                           ;   in Loop: Header=BB287_2083 Depth=1
	s_or_b32 exec_lo, exec_lo, s27
.LBB287_2298:                           ;   in Loop: Header=BB287_2083 Depth=1
	s_or_b32 exec_lo, exec_lo, s26
	v_lshrrev_b32_e32 v5, 16, v13
	v_mov_b32_e32 v15, 0
	v_mov_b32_e32 v16, 0
	v_cmp_ne_u16_sdwa s12, v5, v6 src0_sel:BYTE_0 src1_sel:DWORD
	s_and_saveexec_b32 s26, s12
	s_cbranch_execz .LBB287_2306
; %bb.2299:                             ;   in Loop: Header=BB287_2083 Depth=1
	v_cmp_ne_u16_sdwa s12, v5, v48 src0_sel:BYTE_0 src1_sel:DWORD
	v_mov_b32_e32 v16, 0x8000
	s_and_saveexec_b32 s27, s12
	s_cbranch_execz .LBB287_2305
; %bb.2300:                             ;   in Loop: Header=BB287_2083 Depth=1
	v_bfe_u32 v19, v13, 16, 7
	v_mov_b32_e32 v16, 0x7c01
	s_mov_b32 s28, exec_lo
	v_cmpx_ne_u32_e32 0x7f, v19
	s_cbranch_execz .LBB287_2304
; %bb.2301:                             ;   in Loop: Header=BB287_2083 Depth=1
	v_and_b32_e32 v16, 7, v5
	v_lshrrev_b32_e32 v18, 3, v19
	s_mov_b32 s29, exec_lo
	v_cmpx_gt_u32_e32 8, v19
; %bb.2302:                             ;   in Loop: Header=BB287_2083 Depth=1
	v_ffbh_u32_e32 v3, v16
	v_min_u32_e32 v3, 32, v3
	v_subrev_nc_u32_e32 v4, 28, v3
	v_sub_nc_u32_e32 v18, 29, v3
	v_lshlrev_b64 v[31:32], v4, v[5:6]
	v_and_b32_e32 v16, 7, v31
; %bb.2303:                             ;   in Loop: Header=BB287_2083 Depth=1
	s_or_b32 exec_lo, exec_lo, s29
	v_lshlrev_b32_e32 v3, 8, v5
	v_lshl_add_u32 v4, v18, 10, 0x2000
	v_lshlrev_b32_e32 v5, 7, v16
	v_and_b32_e32 v3, 0x8000, v3
	v_and_b32_e32 v4, 0xfc00, v4
	v_or3_b32 v16, v3, v4, v5
.LBB287_2304:                           ;   in Loop: Header=BB287_2083 Depth=1
	s_or_b32 exec_lo, exec_lo, s28
.LBB287_2305:                           ;   in Loop: Header=BB287_2083 Depth=1
	s_or_b32 exec_lo, exec_lo, s27
.LBB287_2306:                           ;   in Loop: Header=BB287_2083 Depth=1
	s_or_b32 exec_lo, exec_lo, s26
	s_mov_b32 s26, exec_lo
	v_cmpx_lt_u32_e32 0xffffff, v13
	s_cbranch_execz .LBB287_2314
; %bb.2307:                             ;   in Loop: Header=BB287_2083 Depth=1
	v_lshrrev_b32_e32 v5, 24, v13
	v_bfrev_b32_e32 v15, 1
	s_mov_b32 s27, exec_lo
	v_cmpx_ne_u32_e32 0x80, v5
	s_cbranch_execz .LBB287_2313
; %bb.2308:                             ;   in Loop: Header=BB287_2083 Depth=1
	v_and_b32_e32 v19, 0x7f, v5
	v_mov_b32_e32 v15, 0x7c010000
	s_mov_b32 s28, exec_lo
	v_cmpx_ne_u32_e32 0x7f, v19
	s_cbranch_execz .LBB287_2312
; %bb.2309:                             ;   in Loop: Header=BB287_2083 Depth=1
	v_and_b32_e32 v15, 7, v5
	v_lshrrev_b32_e32 v18, 3, v19
	s_mov_b32 s29, exec_lo
	v_cmpx_gt_u32_e32 8, v19
; %bb.2310:                             ;   in Loop: Header=BB287_2083 Depth=1
	v_ffbh_u32_e32 v3, v15
	v_min_u32_e32 v3, 32, v3
	v_subrev_nc_u32_e32 v4, 28, v3
	v_sub_nc_u32_e32 v18, 29, v3
	v_lshlrev_b64 v[31:32], v4, v[5:6]
	v_and_b32_e32 v15, 7, v31
; %bb.2311:                             ;   in Loop: Header=BB287_2083 Depth=1
	s_or_b32 exec_lo, exec_lo, s29
	v_lshlrev_b32_e32 v3, 8, v5
	v_lshl_add_u32 v4, v18, 10, 0x2000
	v_and_or_b32 v3, 0x8000, v3, v4
	v_lshlrev_b32_e32 v4, 23, v15
	v_lshl_or_b32 v15, v3, 16, v4
.LBB287_2312:                           ;   in Loop: Header=BB287_2083 Depth=1
	s_or_b32 exec_lo, exec_lo, s28
.LBB287_2313:                           ;   in Loop: Header=BB287_2083 Depth=1
	s_or_b32 exec_lo, exec_lo, s27
.LBB287_2314:                           ;   in Loop: Header=BB287_2083 Depth=1
	s_or_b32 exec_lo, exec_lo, s26
	v_mov_b32_e32 v5, v14
	v_cmp_ne_u16_sdwa s12, v14, v6 src0_sel:BYTE_0 src1_sel:DWORD
	v_mov_b32_e32 v18, 0
	v_mov_b32_e32 v19, 0
	s_and_saveexec_b32 s26, s12
	s_cbranch_execz .LBB287_2322
; %bb.2315:                             ;   in Loop: Header=BB287_2083 Depth=1
	v_cmp_ne_u16_sdwa s12, v14, v48 src0_sel:BYTE_0 src1_sel:DWORD
	v_mov_b32_e32 v19, 0x8000
	s_and_saveexec_b32 s27, s12
	s_cbranch_execz .LBB287_2321
; %bb.2316:                             ;   in Loop: Header=BB287_2083 Depth=1
	v_and_b32_e32 v32, 0x7f, v14
	v_mov_b32_e32 v19, 0x7c01
	s_mov_b32 s28, exec_lo
	v_cmpx_ne_u32_e32 0x7f, v32
	s_cbranch_execz .LBB287_2320
; %bb.2317:                             ;   in Loop: Header=BB287_2083 Depth=1
	v_and_b32_e32 v19, 7, v14
	v_lshrrev_b32_e32 v31, 3, v32
	s_mov_b32 s29, exec_lo
	v_cmpx_gt_u32_e32 8, v32
; %bb.2318:                             ;   in Loop: Header=BB287_2083 Depth=1
	v_ffbh_u32_e32 v3, v19
	v_min_u32_e32 v3, 32, v3
	v_subrev_nc_u32_e32 v4, 28, v3
	v_sub_nc_u32_e32 v31, 29, v3
	v_lshlrev_b64 v[36:37], v4, v[5:6]
	v_and_b32_e32 v19, 7, v36
; %bb.2319:                             ;   in Loop: Header=BB287_2083 Depth=1
	s_or_b32 exec_lo, exec_lo, s29
	v_lshlrev_b32_e32 v3, 8, v14
	v_lshl_add_u32 v4, v31, 10, 0x2000
	v_lshlrev_b32_e32 v19, 7, v19
	v_and_b32_e32 v3, 0x8000, v3
	v_and_b32_e32 v4, 0xfc00, v4
	v_or3_b32 v19, v3, v4, v19
.LBB287_2320:                           ;   in Loop: Header=BB287_2083 Depth=1
	s_or_b32 exec_lo, exec_lo, s28
.LBB287_2321:                           ;   in Loop: Header=BB287_2083 Depth=1
	s_or_b32 exec_lo, exec_lo, s27
.LBB287_2322:                           ;   in Loop: Header=BB287_2083 Depth=1
	s_or_b32 exec_lo, exec_lo, s26
	v_lshrrev_b16 v5, 8, v5
	v_mov_b32_e32 v31, 0
	s_mov_b32 s26, exec_lo
	v_cmpx_ne_u16_e32 0, v5
	s_cbranch_execz .LBB287_2330
; %bb.2323:                             ;   in Loop: Header=BB287_2083 Depth=1
	v_bfrev_b32_e32 v31, 1
	s_mov_b32 s27, exec_lo
	v_cmpx_ne_u16_e32 0x80, v5
	s_cbranch_execz .LBB287_2329
; %bb.2324:                             ;   in Loop: Header=BB287_2083 Depth=1
	v_and_b32_sdwa v36, v5, v49 dst_sel:DWORD dst_unused:UNUSED_PAD src0_sel:WORD_0 src1_sel:DWORD
	v_mov_b32_e32 v31, 0x7c010000
	s_mov_b32 s28, exec_lo
	v_cmpx_ne_u32_e32 0x7f, v36
	s_cbranch_execz .LBB287_2328
; %bb.2325:                             ;   in Loop: Header=BB287_2083 Depth=1
	v_and_b32_sdwa v31, v5, v50 dst_sel:DWORD dst_unused:UNUSED_PAD src0_sel:WORD_0 src1_sel:DWORD
	v_lshrrev_b32_e32 v32, 3, v36
	s_mov_b32 s29, exec_lo
	v_cmpx_gt_u32_e32 8, v36
; %bb.2326:                             ;   in Loop: Header=BB287_2083 Depth=1
	v_ffbh_u32_e32 v3, v31
	v_min_u32_e32 v3, 32, v3
	v_subrev_nc_u32_e32 v4, 28, v3
	v_lshlrev_b64 v[31:32], v4, v[5:6]
	v_sub_nc_u32_e32 v32, 29, v3
	v_and_b32_e32 v31, 7, v31
; %bb.2327:                             ;   in Loop: Header=BB287_2083 Depth=1
	s_or_b32 exec_lo, exec_lo, s29
	v_lshlrev_b32_sdwa v3, v100, v5 dst_sel:DWORD dst_unused:UNUSED_PAD src0_sel:DWORD src1_sel:WORD_0
	v_lshl_add_u32 v4, v32, 10, 0x2000
	v_and_or_b32 v3, 0x8000, v3, v4
	v_lshlrev_b32_e32 v4, 23, v31
	v_lshl_or_b32 v31, v3, 16, v4
.LBB287_2328:                           ;   in Loop: Header=BB287_2083 Depth=1
	s_or_b32 exec_lo, exec_lo, s28
.LBB287_2329:                           ;   in Loop: Header=BB287_2083 Depth=1
	s_or_b32 exec_lo, exec_lo, s27
.LBB287_2330:                           ;   in Loop: Header=BB287_2083 Depth=1
	s_or_b32 exec_lo, exec_lo, s26
	v_lshrrev_b32_e32 v5, 16, v14
	v_cmp_ne_u16_sdwa s12, v5, v6 src0_sel:BYTE_0 src1_sel:DWORD
	s_and_saveexec_b32 s26, s12
	s_cbranch_execz .LBB287_2338
; %bb.2331:                             ;   in Loop: Header=BB287_2083 Depth=1
	v_cmp_ne_u16_sdwa s12, v5, v48 src0_sel:BYTE_0 src1_sel:DWORD
	v_mov_b32_e32 v18, 0x8000
	s_and_saveexec_b32 s27, s12
	s_cbranch_execz .LBB287_2337
; %bb.2332:                             ;   in Loop: Header=BB287_2083 Depth=1
	v_bfe_u32 v36, v14, 16, 7
	v_mov_b32_e32 v18, 0x7c01
	s_mov_b32 s28, exec_lo
	v_cmpx_ne_u32_e32 0x7f, v36
	s_cbranch_execz .LBB287_2336
; %bb.2333:                             ;   in Loop: Header=BB287_2083 Depth=1
	v_and_b32_e32 v18, 7, v5
	v_lshrrev_b32_e32 v32, 3, v36
	s_mov_b32 s29, exec_lo
	v_cmpx_gt_u32_e32 8, v36
; %bb.2334:                             ;   in Loop: Header=BB287_2083 Depth=1
	v_ffbh_u32_e32 v3, v18
	v_min_u32_e32 v3, 32, v3
	v_subrev_nc_u32_e32 v4, 28, v3
	v_sub_nc_u32_e32 v32, 29, v3
	v_lshlrev_b64 v[36:37], v4, v[5:6]
	v_and_b32_e32 v18, 7, v36
; %bb.2335:                             ;   in Loop: Header=BB287_2083 Depth=1
	s_or_b32 exec_lo, exec_lo, s29
	v_lshlrev_b32_e32 v3, 8, v5
	v_lshl_add_u32 v4, v32, 10, 0x2000
	v_lshlrev_b32_e32 v5, 7, v18
	v_and_b32_e32 v3, 0x8000, v3
	v_and_b32_e32 v4, 0xfc00, v4
	v_or3_b32 v18, v3, v4, v5
.LBB287_2336:                           ;   in Loop: Header=BB287_2083 Depth=1
	s_or_b32 exec_lo, exec_lo, s28
.LBB287_2337:                           ;   in Loop: Header=BB287_2083 Depth=1
	s_or_b32 exec_lo, exec_lo, s27
.LBB287_2338:                           ;   in Loop: Header=BB287_2083 Depth=1
	s_or_b32 exec_lo, exec_lo, s26
	v_cmp_lt_u64_e64 s12, s[22:23], v[13:14]
	v_mov_b32_e32 v13, 0
	s_and_saveexec_b32 s26, s12
	s_cbranch_execz .LBB287_2346
; %bb.2339:                             ;   in Loop: Header=BB287_2083 Depth=1
	v_lshrrev_b32_e32 v5, 24, v14
	v_bfrev_b32_e32 v13, 1
	s_mov_b32 s27, exec_lo
	v_cmpx_ne_u32_e32 0x80, v5
	s_cbranch_execz .LBB287_2345
; %bb.2340:                             ;   in Loop: Header=BB287_2083 Depth=1
	v_and_b32_e32 v32, 0x7f, v5
	v_mov_b32_e32 v13, 0x7c010000
	s_mov_b32 s28, exec_lo
	v_cmpx_ne_u32_e32 0x7f, v32
	s_cbranch_execz .LBB287_2344
; %bb.2341:                             ;   in Loop: Header=BB287_2083 Depth=1
	v_and_b32_e32 v13, 7, v5
	v_lshrrev_b32_e32 v14, 3, v32
	s_mov_b32 s29, exec_lo
	v_cmpx_gt_u32_e32 8, v32
; %bb.2342:                             ;   in Loop: Header=BB287_2083 Depth=1
	v_ffbh_u32_e32 v3, v13
	v_min_u32_e32 v3, 32, v3
	v_subrev_nc_u32_e32 v4, 28, v3
	v_lshlrev_b64 v[13:14], v4, v[5:6]
	v_sub_nc_u32_e32 v14, 29, v3
	v_and_b32_e32 v13, 7, v13
; %bb.2343:                             ;   in Loop: Header=BB287_2083 Depth=1
	s_or_b32 exec_lo, exec_lo, s29
	v_lshlrev_b32_e32 v3, 8, v5
	v_lshl_add_u32 v4, v14, 10, 0x2000
	v_and_or_b32 v3, 0x8000, v3, v4
	v_lshlrev_b32_e32 v4, 23, v13
	v_lshl_or_b32 v13, v3, 16, v4
.LBB287_2344:                           ;   in Loop: Header=BB287_2083 Depth=1
	s_or_b32 exec_lo, exec_lo, s28
.LBB287_2345:                           ;   in Loop: Header=BB287_2083 Depth=1
	s_or_b32 exec_lo, exec_lo, s27
.LBB287_2346:                           ;   in Loop: Header=BB287_2083 Depth=1
	s_or_b32 exec_lo, exec_lo, s26
	v_or_b32_e32 v3, v15, v16
	s_waitcnt vmcnt(0) lgkmcnt(0)
	v_fma_mixlo_f16 v4, v0, v15, 0 op_sel:[0,1,0] op_sel_hi:[0,1,0]
	v_or_b32_e32 v2, v1, v2
	v_or_b32_e32 v14, v31, v19
	;; [unrolled: 1-line block ×3, first 2 shown]
	v_fma_mixlo_f16 v3, v0, v3, 0 op_sel_hi:[0,1,0]
	v_fma_mixlo_f16 v5, v0, v1, 0 op_sel:[0,1,0] op_sel_hi:[0,1,0]
	v_lshlrev_b32_e32 v1, 16, v4
	v_fma_mixlo_f16 v4, v0, v2, 0 op_sel_hi:[0,1,0]
	v_fma_mixlo_f16 v14, v0, v14, 0 op_sel_hi:[0,1,0]
	v_and_b32_e32 v2, 0xffff, v3
	v_fma_mixlo_f16 v3, v0, v31, 0 op_sel:[0,1,0] op_sel_hi:[0,1,0]
	v_fma_mixlo_f16 v13, v0, v13, 0 op_sel:[0,1,0] op_sel_hi:[0,1,0]
	v_fma_mixlo_f16 v0, v0, v15, 0 op_sel_hi:[0,1,0]
	v_lshlrev_b32_e32 v5, 16, v5
	v_and_b32_e32 v32, 0xffff, v4
	v_lshlrev_b32_e32 v18, 16, v3
	v_and_b32_e32 v31, 0xffff, v14
	;; [unrolled: 2-line block ×3, first 2 shown]
	v_or_b32_e32 v0, v1, v2
	v_or_b32_e32 v15, v5, v32
	;; [unrolled: 1-line block ×4, first 2 shown]
	s_and_saveexec_b32 s12, s4
	s_cbranch_execz .LBB287_2348
; %bb.2347:                             ;   in Loop: Header=BB287_2083 Depth=1
	v_cndmask_b32_e32 v0, 0, v32, vcc_lo
	v_cndmask_b32_e64 v3, 0, v5, s7
	v_cndmask_b32_e64 v2, 0, v2, s5
	;; [unrolled: 1-line block ×7, first 2 shown]
	v_or_b32_e32 v15, v0, v3
	v_or_b32_e32 v0, v2, v1
	;; [unrolled: 1-line block ×4, first 2 shown]
.LBB287_2348:                           ;   in Loop: Header=BB287_2083 Depth=1
	s_or_b32 exec_lo, exec_lo, s12
	;;#ASMSTART
	v_pk_mul_f16 v1, v40, v15;

	;;#ASMEND
	;;#ASMSTART
	v_pk_mul_f16 v0, v119, v0;

	;;#ASMEND
	;; [unrolled: 4-line block ×4, first 2 shown]
	;;#ASMSTART
	v_pk_add_f16 v0, v1, v0;

	;;#ASMEND
	;;#ASMSTART
	v_pk_add_f16 v0, v0, v2;

	;;#ASMEND
	;; [unrolled: 4-line block ×3, first 2 shown]
	v_and_b32_e32 v1, 0xffff, v0
	v_lshrrev_b32_e32 v0, 16, v0
	;;#ASMSTART
	v_cvt_f32_f16 v45, v1;
	;;#ASMEND
	;;#ASMSTART
	v_cvt_f32_f16 v46, v0;
	;;#ASMEND
	flat_load_dwordx2 v[13:14], v[11:12] offset:1024
	flat_load_dword v0, v[22:23]
	v_mov_b32_e32 v1, 0
	v_mov_b32_e32 v2, 0
	s_waitcnt vmcnt(1) lgkmcnt(1)
	v_cmp_ne_u16_sdwa s12, v13, v6 src0_sel:BYTE_0 src1_sel:DWORD
	s_and_saveexec_b32 s26, s12
	s_cbranch_execz .LBB287_2356
; %bb.2349:                             ;   in Loop: Header=BB287_2083 Depth=1
	v_cmp_ne_u16_sdwa s12, v13, v48 src0_sel:BYTE_0 src1_sel:DWORD
	v_mov_b32_e32 v2, 0x8000
	s_and_saveexec_b32 s27, s12
	s_cbranch_execz .LBB287_2355
; %bb.2350:                             ;   in Loop: Header=BB287_2083 Depth=1
	v_and_b32_e32 v15, 0x7f, v13
	v_mov_b32_e32 v2, 0x7c01
	s_mov_b32 s28, exec_lo
	v_cmpx_ne_u32_e32 0x7f, v15
	s_cbranch_execz .LBB287_2354
; %bb.2351:                             ;   in Loop: Header=BB287_2083 Depth=1
	v_and_b32_e32 v2, 7, v13
	v_lshrrev_b32_e32 v5, 3, v15
	s_mov_b32 s29, exec_lo
	v_cmpx_gt_u32_e32 8, v15
; %bb.2352:                             ;   in Loop: Header=BB287_2083 Depth=1
	v_ffbh_u32_e32 v2, v2
	v_min_u32_e32 v2, 32, v2
	v_subrev_nc_u32_e32 v3, 28, v2
	v_sub_nc_u32_e32 v5, 29, v2
	v_lshlrev_b64 v[15:16], v3, v[13:14]
	v_and_b32_e32 v2, 7, v15
; %bb.2353:                             ;   in Loop: Header=BB287_2083 Depth=1
	s_or_b32 exec_lo, exec_lo, s29
	v_lshlrev_b32_e32 v3, 8, v13
	v_lshl_add_u32 v4, v5, 10, 0x2000
	v_lshlrev_b32_e32 v2, 7, v2
	v_and_b32_e32 v3, 0x8000, v3
	v_and_b32_e32 v4, 0xfc00, v4
	v_or3_b32 v2, v3, v4, v2
.LBB287_2354:                           ;   in Loop: Header=BB287_2083 Depth=1
	s_or_b32 exec_lo, exec_lo, s28
.LBB287_2355:                           ;   in Loop: Header=BB287_2083 Depth=1
	s_or_b32 exec_lo, exec_lo, s27
.LBB287_2356:                           ;   in Loop: Header=BB287_2083 Depth=1
	s_or_b32 exec_lo, exec_lo, s26
	v_lshrrev_b16 v5, 8, v13
	s_mov_b32 s26, exec_lo
	v_cmpx_ne_u16_e32 0, v5
	s_cbranch_execz .LBB287_2364
; %bb.2357:                             ;   in Loop: Header=BB287_2083 Depth=1
	v_bfrev_b32_e32 v1, 1
	s_mov_b32 s27, exec_lo
	v_cmpx_ne_u16_e32 0x80, v5
	s_cbranch_execz .LBB287_2363
; %bb.2358:                             ;   in Loop: Header=BB287_2083 Depth=1
	v_and_b32_sdwa v16, v5, v49 dst_sel:DWORD dst_unused:UNUSED_PAD src0_sel:WORD_0 src1_sel:DWORD
	v_mov_b32_e32 v1, 0x7c010000
	s_mov_b32 s28, exec_lo
	v_cmpx_ne_u32_e32 0x7f, v16
	s_cbranch_execz .LBB287_2362
; %bb.2359:                             ;   in Loop: Header=BB287_2083 Depth=1
	v_and_b32_sdwa v1, v5, v50 dst_sel:DWORD dst_unused:UNUSED_PAD src0_sel:WORD_0 src1_sel:DWORD
	v_lshrrev_b32_e32 v15, 3, v16
	s_mov_b32 s29, exec_lo
	v_cmpx_gt_u32_e32 8, v16
; %bb.2360:                             ;   in Loop: Header=BB287_2083 Depth=1
	v_ffbh_u32_e32 v1, v1
	v_min_u32_e32 v1, 32, v1
	v_subrev_nc_u32_e32 v3, 28, v1
	v_sub_nc_u32_e32 v15, 29, v1
	v_lshlrev_b64 v[18:19], v3, v[5:6]
	v_and_b32_e32 v1, 7, v18
; %bb.2361:                             ;   in Loop: Header=BB287_2083 Depth=1
	s_or_b32 exec_lo, exec_lo, s29
	v_lshlrev_b32_sdwa v3, v100, v5 dst_sel:DWORD dst_unused:UNUSED_PAD src0_sel:DWORD src1_sel:WORD_0
	v_lshl_add_u32 v4, v15, 10, 0x2000
	v_lshlrev_b32_e32 v1, 23, v1
	v_and_or_b32 v3, 0x8000, v3, v4
	v_lshl_or_b32 v1, v3, 16, v1
.LBB287_2362:                           ;   in Loop: Header=BB287_2083 Depth=1
	s_or_b32 exec_lo, exec_lo, s28
.LBB287_2363:                           ;   in Loop: Header=BB287_2083 Depth=1
	s_or_b32 exec_lo, exec_lo, s27
.LBB287_2364:                           ;   in Loop: Header=BB287_2083 Depth=1
	s_or_b32 exec_lo, exec_lo, s26
	v_lshrrev_b32_e32 v5, 16, v13
	v_mov_b32_e32 v15, 0
	v_mov_b32_e32 v16, 0
	v_cmp_ne_u16_sdwa s12, v5, v6 src0_sel:BYTE_0 src1_sel:DWORD
	s_and_saveexec_b32 s26, s12
	s_cbranch_execz .LBB287_2372
; %bb.2365:                             ;   in Loop: Header=BB287_2083 Depth=1
	v_cmp_ne_u16_sdwa s12, v5, v48 src0_sel:BYTE_0 src1_sel:DWORD
	v_mov_b32_e32 v16, 0x8000
	s_and_saveexec_b32 s27, s12
	s_cbranch_execz .LBB287_2371
; %bb.2366:                             ;   in Loop: Header=BB287_2083 Depth=1
	v_bfe_u32 v19, v13, 16, 7
	v_mov_b32_e32 v16, 0x7c01
	s_mov_b32 s28, exec_lo
	v_cmpx_ne_u32_e32 0x7f, v19
	s_cbranch_execz .LBB287_2370
; %bb.2367:                             ;   in Loop: Header=BB287_2083 Depth=1
	v_and_b32_e32 v16, 7, v5
	v_lshrrev_b32_e32 v18, 3, v19
	s_mov_b32 s29, exec_lo
	v_cmpx_gt_u32_e32 8, v19
; %bb.2368:                             ;   in Loop: Header=BB287_2083 Depth=1
	v_ffbh_u32_e32 v3, v16
	v_min_u32_e32 v3, 32, v3
	v_subrev_nc_u32_e32 v4, 28, v3
	v_sub_nc_u32_e32 v18, 29, v3
	v_lshlrev_b64 v[31:32], v4, v[5:6]
	v_and_b32_e32 v16, 7, v31
; %bb.2369:                             ;   in Loop: Header=BB287_2083 Depth=1
	s_or_b32 exec_lo, exec_lo, s29
	v_lshlrev_b32_e32 v3, 8, v5
	v_lshl_add_u32 v4, v18, 10, 0x2000
	v_lshlrev_b32_e32 v5, 7, v16
	v_and_b32_e32 v3, 0x8000, v3
	v_and_b32_e32 v4, 0xfc00, v4
	v_or3_b32 v16, v3, v4, v5
.LBB287_2370:                           ;   in Loop: Header=BB287_2083 Depth=1
	s_or_b32 exec_lo, exec_lo, s28
.LBB287_2371:                           ;   in Loop: Header=BB287_2083 Depth=1
	s_or_b32 exec_lo, exec_lo, s27
.LBB287_2372:                           ;   in Loop: Header=BB287_2083 Depth=1
	s_or_b32 exec_lo, exec_lo, s26
	s_mov_b32 s26, exec_lo
	v_cmpx_lt_u32_e32 0xffffff, v13
	s_cbranch_execz .LBB287_2380
; %bb.2373:                             ;   in Loop: Header=BB287_2083 Depth=1
	v_lshrrev_b32_e32 v5, 24, v13
	v_bfrev_b32_e32 v15, 1
	s_mov_b32 s27, exec_lo
	v_cmpx_ne_u32_e32 0x80, v5
	s_cbranch_execz .LBB287_2379
; %bb.2374:                             ;   in Loop: Header=BB287_2083 Depth=1
	v_and_b32_e32 v19, 0x7f, v5
	v_mov_b32_e32 v15, 0x7c010000
	s_mov_b32 s28, exec_lo
	v_cmpx_ne_u32_e32 0x7f, v19
	s_cbranch_execz .LBB287_2378
; %bb.2375:                             ;   in Loop: Header=BB287_2083 Depth=1
	v_and_b32_e32 v15, 7, v5
	v_lshrrev_b32_e32 v18, 3, v19
	s_mov_b32 s29, exec_lo
	v_cmpx_gt_u32_e32 8, v19
; %bb.2376:                             ;   in Loop: Header=BB287_2083 Depth=1
	v_ffbh_u32_e32 v3, v15
	v_min_u32_e32 v3, 32, v3
	v_subrev_nc_u32_e32 v4, 28, v3
	v_sub_nc_u32_e32 v18, 29, v3
	v_lshlrev_b64 v[31:32], v4, v[5:6]
	v_and_b32_e32 v15, 7, v31
; %bb.2377:                             ;   in Loop: Header=BB287_2083 Depth=1
	s_or_b32 exec_lo, exec_lo, s29
	v_lshlrev_b32_e32 v3, 8, v5
	v_lshl_add_u32 v4, v18, 10, 0x2000
	v_and_or_b32 v3, 0x8000, v3, v4
	v_lshlrev_b32_e32 v4, 23, v15
	v_lshl_or_b32 v15, v3, 16, v4
.LBB287_2378:                           ;   in Loop: Header=BB287_2083 Depth=1
	s_or_b32 exec_lo, exec_lo, s28
.LBB287_2379:                           ;   in Loop: Header=BB287_2083 Depth=1
	s_or_b32 exec_lo, exec_lo, s27
.LBB287_2380:                           ;   in Loop: Header=BB287_2083 Depth=1
	s_or_b32 exec_lo, exec_lo, s26
	v_mov_b32_e32 v5, v14
	v_cmp_ne_u16_sdwa s12, v14, v6 src0_sel:BYTE_0 src1_sel:DWORD
	v_mov_b32_e32 v18, 0
	v_mov_b32_e32 v19, 0
	s_and_saveexec_b32 s26, s12
	s_cbranch_execz .LBB287_2388
; %bb.2381:                             ;   in Loop: Header=BB287_2083 Depth=1
	v_cmp_ne_u16_sdwa s12, v14, v48 src0_sel:BYTE_0 src1_sel:DWORD
	v_mov_b32_e32 v19, 0x8000
	s_and_saveexec_b32 s27, s12
	s_cbranch_execz .LBB287_2387
; %bb.2382:                             ;   in Loop: Header=BB287_2083 Depth=1
	v_and_b32_e32 v32, 0x7f, v14
	v_mov_b32_e32 v19, 0x7c01
	s_mov_b32 s28, exec_lo
	v_cmpx_ne_u32_e32 0x7f, v32
	s_cbranch_execz .LBB287_2386
; %bb.2383:                             ;   in Loop: Header=BB287_2083 Depth=1
	v_and_b32_e32 v19, 7, v14
	v_lshrrev_b32_e32 v31, 3, v32
	s_mov_b32 s29, exec_lo
	v_cmpx_gt_u32_e32 8, v32
; %bb.2384:                             ;   in Loop: Header=BB287_2083 Depth=1
	v_ffbh_u32_e32 v3, v19
	v_min_u32_e32 v3, 32, v3
	v_subrev_nc_u32_e32 v4, 28, v3
	v_sub_nc_u32_e32 v31, 29, v3
	v_lshlrev_b64 v[36:37], v4, v[5:6]
	v_and_b32_e32 v19, 7, v36
; %bb.2385:                             ;   in Loop: Header=BB287_2083 Depth=1
	s_or_b32 exec_lo, exec_lo, s29
	v_lshlrev_b32_e32 v3, 8, v14
	v_lshl_add_u32 v4, v31, 10, 0x2000
	v_lshlrev_b32_e32 v19, 7, v19
	v_and_b32_e32 v3, 0x8000, v3
	v_and_b32_e32 v4, 0xfc00, v4
	v_or3_b32 v19, v3, v4, v19
.LBB287_2386:                           ;   in Loop: Header=BB287_2083 Depth=1
	s_or_b32 exec_lo, exec_lo, s28
.LBB287_2387:                           ;   in Loop: Header=BB287_2083 Depth=1
	s_or_b32 exec_lo, exec_lo, s27
.LBB287_2388:                           ;   in Loop: Header=BB287_2083 Depth=1
	s_or_b32 exec_lo, exec_lo, s26
	v_lshrrev_b16 v5, 8, v5
	v_mov_b32_e32 v31, 0
	s_mov_b32 s26, exec_lo
	v_cmpx_ne_u16_e32 0, v5
	s_cbranch_execz .LBB287_2396
; %bb.2389:                             ;   in Loop: Header=BB287_2083 Depth=1
	v_bfrev_b32_e32 v31, 1
	s_mov_b32 s27, exec_lo
	v_cmpx_ne_u16_e32 0x80, v5
	s_cbranch_execz .LBB287_2395
; %bb.2390:                             ;   in Loop: Header=BB287_2083 Depth=1
	v_and_b32_sdwa v36, v5, v49 dst_sel:DWORD dst_unused:UNUSED_PAD src0_sel:WORD_0 src1_sel:DWORD
	v_mov_b32_e32 v31, 0x7c010000
	s_mov_b32 s28, exec_lo
	v_cmpx_ne_u32_e32 0x7f, v36
	s_cbranch_execz .LBB287_2394
; %bb.2391:                             ;   in Loop: Header=BB287_2083 Depth=1
	v_and_b32_sdwa v31, v5, v50 dst_sel:DWORD dst_unused:UNUSED_PAD src0_sel:WORD_0 src1_sel:DWORD
	v_lshrrev_b32_e32 v32, 3, v36
	s_mov_b32 s29, exec_lo
	v_cmpx_gt_u32_e32 8, v36
; %bb.2392:                             ;   in Loop: Header=BB287_2083 Depth=1
	v_ffbh_u32_e32 v3, v31
	v_min_u32_e32 v3, 32, v3
	v_subrev_nc_u32_e32 v4, 28, v3
	v_lshlrev_b64 v[31:32], v4, v[5:6]
	v_sub_nc_u32_e32 v32, 29, v3
	v_and_b32_e32 v31, 7, v31
; %bb.2393:                             ;   in Loop: Header=BB287_2083 Depth=1
	s_or_b32 exec_lo, exec_lo, s29
	v_lshlrev_b32_sdwa v3, v100, v5 dst_sel:DWORD dst_unused:UNUSED_PAD src0_sel:DWORD src1_sel:WORD_0
	v_lshl_add_u32 v4, v32, 10, 0x2000
	v_and_or_b32 v3, 0x8000, v3, v4
	v_lshlrev_b32_e32 v4, 23, v31
	v_lshl_or_b32 v31, v3, 16, v4
.LBB287_2394:                           ;   in Loop: Header=BB287_2083 Depth=1
	s_or_b32 exec_lo, exec_lo, s28
.LBB287_2395:                           ;   in Loop: Header=BB287_2083 Depth=1
	s_or_b32 exec_lo, exec_lo, s27
.LBB287_2396:                           ;   in Loop: Header=BB287_2083 Depth=1
	s_or_b32 exec_lo, exec_lo, s26
	v_lshrrev_b32_e32 v5, 16, v14
	v_cmp_ne_u16_sdwa s12, v5, v6 src0_sel:BYTE_0 src1_sel:DWORD
	s_and_saveexec_b32 s26, s12
	s_cbranch_execz .LBB287_2404
; %bb.2397:                             ;   in Loop: Header=BB287_2083 Depth=1
	v_cmp_ne_u16_sdwa s12, v5, v48 src0_sel:BYTE_0 src1_sel:DWORD
	v_mov_b32_e32 v18, 0x8000
	s_and_saveexec_b32 s27, s12
	s_cbranch_execz .LBB287_2403
; %bb.2398:                             ;   in Loop: Header=BB287_2083 Depth=1
	v_bfe_u32 v36, v14, 16, 7
	v_mov_b32_e32 v18, 0x7c01
	s_mov_b32 s28, exec_lo
	v_cmpx_ne_u32_e32 0x7f, v36
	s_cbranch_execz .LBB287_2402
; %bb.2399:                             ;   in Loop: Header=BB287_2083 Depth=1
	v_and_b32_e32 v18, 7, v5
	v_lshrrev_b32_e32 v32, 3, v36
	s_mov_b32 s29, exec_lo
	v_cmpx_gt_u32_e32 8, v36
; %bb.2400:                             ;   in Loop: Header=BB287_2083 Depth=1
	v_ffbh_u32_e32 v3, v18
	v_min_u32_e32 v3, 32, v3
	v_subrev_nc_u32_e32 v4, 28, v3
	v_sub_nc_u32_e32 v32, 29, v3
	v_lshlrev_b64 v[36:37], v4, v[5:6]
	v_and_b32_e32 v18, 7, v36
; %bb.2401:                             ;   in Loop: Header=BB287_2083 Depth=1
	s_or_b32 exec_lo, exec_lo, s29
	v_lshlrev_b32_e32 v3, 8, v5
	v_lshl_add_u32 v4, v32, 10, 0x2000
	v_lshlrev_b32_e32 v5, 7, v18
	v_and_b32_e32 v3, 0x8000, v3
	v_and_b32_e32 v4, 0xfc00, v4
	v_or3_b32 v18, v3, v4, v5
.LBB287_2402:                           ;   in Loop: Header=BB287_2083 Depth=1
	s_or_b32 exec_lo, exec_lo, s28
.LBB287_2403:                           ;   in Loop: Header=BB287_2083 Depth=1
	s_or_b32 exec_lo, exec_lo, s27
.LBB287_2404:                           ;   in Loop: Header=BB287_2083 Depth=1
	s_or_b32 exec_lo, exec_lo, s26
	v_cmp_lt_u64_e64 s12, s[22:23], v[13:14]
	v_mov_b32_e32 v13, 0
	s_and_saveexec_b32 s26, s12
	s_cbranch_execz .LBB287_2412
; %bb.2405:                             ;   in Loop: Header=BB287_2083 Depth=1
	v_lshrrev_b32_e32 v5, 24, v14
	v_bfrev_b32_e32 v13, 1
	s_mov_b32 s27, exec_lo
	v_cmpx_ne_u32_e32 0x80, v5
	s_cbranch_execz .LBB287_2411
; %bb.2406:                             ;   in Loop: Header=BB287_2083 Depth=1
	v_and_b32_e32 v32, 0x7f, v5
	v_mov_b32_e32 v13, 0x7c010000
	s_mov_b32 s28, exec_lo
	v_cmpx_ne_u32_e32 0x7f, v32
	s_cbranch_execz .LBB287_2410
; %bb.2407:                             ;   in Loop: Header=BB287_2083 Depth=1
	v_and_b32_e32 v13, 7, v5
	v_lshrrev_b32_e32 v14, 3, v32
	s_mov_b32 s29, exec_lo
	v_cmpx_gt_u32_e32 8, v32
; %bb.2408:                             ;   in Loop: Header=BB287_2083 Depth=1
	v_ffbh_u32_e32 v3, v13
	v_min_u32_e32 v3, 32, v3
	v_subrev_nc_u32_e32 v4, 28, v3
	v_lshlrev_b64 v[13:14], v4, v[5:6]
	v_sub_nc_u32_e32 v14, 29, v3
	v_and_b32_e32 v13, 7, v13
; %bb.2409:                             ;   in Loop: Header=BB287_2083 Depth=1
	s_or_b32 exec_lo, exec_lo, s29
	v_lshlrev_b32_e32 v3, 8, v5
	v_lshl_add_u32 v4, v14, 10, 0x2000
	v_and_or_b32 v3, 0x8000, v3, v4
	v_lshlrev_b32_e32 v4, 23, v13
	v_lshl_or_b32 v13, v3, 16, v4
.LBB287_2410:                           ;   in Loop: Header=BB287_2083 Depth=1
	s_or_b32 exec_lo, exec_lo, s28
.LBB287_2411:                           ;   in Loop: Header=BB287_2083 Depth=1
	s_or_b32 exec_lo, exec_lo, s27
.LBB287_2412:                           ;   in Loop: Header=BB287_2083 Depth=1
	s_or_b32 exec_lo, exec_lo, s26
	v_or_b32_e32 v3, v15, v16
	s_waitcnt vmcnt(0) lgkmcnt(0)
	v_fma_mixlo_f16 v4, v0, v15, 0 op_sel:[0,1,0] op_sel_hi:[0,1,0]
	v_or_b32_e32 v2, v1, v2
	v_or_b32_e32 v14, v31, v19
	v_or_b32_e32 v15, v13, v18
	v_fma_mixlo_f16 v3, v0, v3, 0 op_sel_hi:[0,1,0]
	v_fma_mixlo_f16 v5, v0, v1, 0 op_sel:[0,1,0] op_sel_hi:[0,1,0]
	v_lshlrev_b32_e32 v1, 16, v4
	v_fma_mixlo_f16 v4, v0, v2, 0 op_sel_hi:[0,1,0]
	v_fma_mixlo_f16 v14, v0, v14, 0 op_sel_hi:[0,1,0]
	v_and_b32_e32 v2, 0xffff, v3
	v_fma_mixlo_f16 v3, v0, v31, 0 op_sel:[0,1,0] op_sel_hi:[0,1,0]
	v_fma_mixlo_f16 v13, v0, v13, 0 op_sel:[0,1,0] op_sel_hi:[0,1,0]
	v_fma_mixlo_f16 v0, v0, v15, 0 op_sel_hi:[0,1,0]
	v_lshlrev_b32_e32 v5, 16, v5
	v_and_b32_e32 v32, 0xffff, v4
	v_lshlrev_b32_e32 v18, 16, v3
	v_and_b32_e32 v31, 0xffff, v14
	v_lshlrev_b32_e32 v16, 16, v13
	v_and_b32_e32 v19, 0xffff, v0
	v_or_b32_e32 v0, v1, v2
	v_or_b32_e32 v15, v5, v32
	;; [unrolled: 1-line block ×4, first 2 shown]
	s_and_saveexec_b32 s12, s4
	s_cbranch_execz .LBB287_2414
; %bb.2413:                             ;   in Loop: Header=BB287_2083 Depth=1
	v_cndmask_b32_e32 v0, 0, v32, vcc_lo
	v_cndmask_b32_e64 v3, 0, v5, s7
	v_cndmask_b32_e64 v2, 0, v2, s5
	;; [unrolled: 1-line block ×7, first 2 shown]
	v_or_b32_e32 v15, v0, v3
	v_or_b32_e32 v0, v2, v1
	;; [unrolled: 1-line block ×4, first 2 shown]
.LBB287_2414:                           ;   in Loop: Header=BB287_2083 Depth=1
	s_or_b32 exec_lo, exec_lo, s12
	;;#ASMSTART
	v_pk_mul_f16 v1, v40, v15;

	;;#ASMEND
	;;#ASMSTART
	v_pk_mul_f16 v0, v119, v0;

	;;#ASMEND
	;;#ASMSTART
	v_pk_mul_f16 v2, v118, v14;

	;;#ASMEND
	;;#ASMSTART
	v_pk_mul_f16 v3, v117, v13;

	;;#ASMEND
	;;#ASMSTART
	v_pk_add_f16 v0, v1, v0;

	;;#ASMEND
	;;#ASMSTART
	v_pk_add_f16 v0, v0, v2;

	;;#ASMEND
	;; [unrolled: 4-line block ×3, first 2 shown]
	v_and_b32_e32 v1, 0xffff, v0
	v_lshrrev_b32_e32 v0, 16, v0
	;;#ASMSTART
	v_cvt_f32_f16 v47, v1;
	;;#ASMEND
	;;#ASMSTART
	v_cvt_f32_f16 v56, v0;
	;;#ASMEND
	flat_load_dwordx2 v[13:14], v[11:12] offset:1280
	flat_load_dword v0, v[22:23]
	v_mov_b32_e32 v1, 0
	v_mov_b32_e32 v2, 0
	s_waitcnt vmcnt(1) lgkmcnt(1)
	v_cmp_ne_u16_sdwa s12, v13, v6 src0_sel:BYTE_0 src1_sel:DWORD
	s_and_saveexec_b32 s26, s12
	s_cbranch_execz .LBB287_2422
; %bb.2415:                             ;   in Loop: Header=BB287_2083 Depth=1
	v_cmp_ne_u16_sdwa s12, v13, v48 src0_sel:BYTE_0 src1_sel:DWORD
	v_mov_b32_e32 v2, 0x8000
	s_and_saveexec_b32 s27, s12
	s_cbranch_execz .LBB287_2421
; %bb.2416:                             ;   in Loop: Header=BB287_2083 Depth=1
	v_and_b32_e32 v15, 0x7f, v13
	v_mov_b32_e32 v2, 0x7c01
	s_mov_b32 s28, exec_lo
	v_cmpx_ne_u32_e32 0x7f, v15
	s_cbranch_execz .LBB287_2420
; %bb.2417:                             ;   in Loop: Header=BB287_2083 Depth=1
	v_and_b32_e32 v2, 7, v13
	v_lshrrev_b32_e32 v5, 3, v15
	s_mov_b32 s29, exec_lo
	v_cmpx_gt_u32_e32 8, v15
; %bb.2418:                             ;   in Loop: Header=BB287_2083 Depth=1
	v_ffbh_u32_e32 v2, v2
	v_min_u32_e32 v2, 32, v2
	v_subrev_nc_u32_e32 v3, 28, v2
	v_sub_nc_u32_e32 v5, 29, v2
	v_lshlrev_b64 v[15:16], v3, v[13:14]
	v_and_b32_e32 v2, 7, v15
; %bb.2419:                             ;   in Loop: Header=BB287_2083 Depth=1
	s_or_b32 exec_lo, exec_lo, s29
	v_lshlrev_b32_e32 v3, 8, v13
	v_lshl_add_u32 v4, v5, 10, 0x2000
	v_lshlrev_b32_e32 v2, 7, v2
	v_and_b32_e32 v3, 0x8000, v3
	v_and_b32_e32 v4, 0xfc00, v4
	v_or3_b32 v2, v3, v4, v2
.LBB287_2420:                           ;   in Loop: Header=BB287_2083 Depth=1
	s_or_b32 exec_lo, exec_lo, s28
.LBB287_2421:                           ;   in Loop: Header=BB287_2083 Depth=1
	s_or_b32 exec_lo, exec_lo, s27
.LBB287_2422:                           ;   in Loop: Header=BB287_2083 Depth=1
	s_or_b32 exec_lo, exec_lo, s26
	v_lshrrev_b16 v5, 8, v13
	s_mov_b32 s26, exec_lo
	v_cmpx_ne_u16_e32 0, v5
	s_cbranch_execz .LBB287_2430
; %bb.2423:                             ;   in Loop: Header=BB287_2083 Depth=1
	v_bfrev_b32_e32 v1, 1
	s_mov_b32 s27, exec_lo
	v_cmpx_ne_u16_e32 0x80, v5
	s_cbranch_execz .LBB287_2429
; %bb.2424:                             ;   in Loop: Header=BB287_2083 Depth=1
	v_and_b32_sdwa v16, v5, v49 dst_sel:DWORD dst_unused:UNUSED_PAD src0_sel:WORD_0 src1_sel:DWORD
	v_mov_b32_e32 v1, 0x7c010000
	s_mov_b32 s28, exec_lo
	v_cmpx_ne_u32_e32 0x7f, v16
	s_cbranch_execz .LBB287_2428
; %bb.2425:                             ;   in Loop: Header=BB287_2083 Depth=1
	v_and_b32_sdwa v1, v5, v50 dst_sel:DWORD dst_unused:UNUSED_PAD src0_sel:WORD_0 src1_sel:DWORD
	v_lshrrev_b32_e32 v15, 3, v16
	s_mov_b32 s29, exec_lo
	v_cmpx_gt_u32_e32 8, v16
; %bb.2426:                             ;   in Loop: Header=BB287_2083 Depth=1
	v_ffbh_u32_e32 v1, v1
	v_min_u32_e32 v1, 32, v1
	v_subrev_nc_u32_e32 v3, 28, v1
	v_sub_nc_u32_e32 v15, 29, v1
	v_lshlrev_b64 v[18:19], v3, v[5:6]
	v_and_b32_e32 v1, 7, v18
; %bb.2427:                             ;   in Loop: Header=BB287_2083 Depth=1
	s_or_b32 exec_lo, exec_lo, s29
	v_lshlrev_b32_sdwa v3, v100, v5 dst_sel:DWORD dst_unused:UNUSED_PAD src0_sel:DWORD src1_sel:WORD_0
	v_lshl_add_u32 v4, v15, 10, 0x2000
	v_lshlrev_b32_e32 v1, 23, v1
	v_and_or_b32 v3, 0x8000, v3, v4
	v_lshl_or_b32 v1, v3, 16, v1
.LBB287_2428:                           ;   in Loop: Header=BB287_2083 Depth=1
	s_or_b32 exec_lo, exec_lo, s28
.LBB287_2429:                           ;   in Loop: Header=BB287_2083 Depth=1
	s_or_b32 exec_lo, exec_lo, s27
.LBB287_2430:                           ;   in Loop: Header=BB287_2083 Depth=1
	s_or_b32 exec_lo, exec_lo, s26
	v_lshrrev_b32_e32 v5, 16, v13
	v_mov_b32_e32 v15, 0
	v_mov_b32_e32 v16, 0
	v_cmp_ne_u16_sdwa s12, v5, v6 src0_sel:BYTE_0 src1_sel:DWORD
	s_and_saveexec_b32 s26, s12
	s_cbranch_execz .LBB287_2438
; %bb.2431:                             ;   in Loop: Header=BB287_2083 Depth=1
	v_cmp_ne_u16_sdwa s12, v5, v48 src0_sel:BYTE_0 src1_sel:DWORD
	v_mov_b32_e32 v16, 0x8000
	s_and_saveexec_b32 s27, s12
	s_cbranch_execz .LBB287_2437
; %bb.2432:                             ;   in Loop: Header=BB287_2083 Depth=1
	v_bfe_u32 v19, v13, 16, 7
	v_mov_b32_e32 v16, 0x7c01
	s_mov_b32 s28, exec_lo
	v_cmpx_ne_u32_e32 0x7f, v19
	s_cbranch_execz .LBB287_2436
; %bb.2433:                             ;   in Loop: Header=BB287_2083 Depth=1
	v_and_b32_e32 v16, 7, v5
	v_lshrrev_b32_e32 v18, 3, v19
	s_mov_b32 s29, exec_lo
	v_cmpx_gt_u32_e32 8, v19
; %bb.2434:                             ;   in Loop: Header=BB287_2083 Depth=1
	v_ffbh_u32_e32 v3, v16
	v_min_u32_e32 v3, 32, v3
	v_subrev_nc_u32_e32 v4, 28, v3
	v_sub_nc_u32_e32 v18, 29, v3
	v_lshlrev_b64 v[31:32], v4, v[5:6]
	v_and_b32_e32 v16, 7, v31
; %bb.2435:                             ;   in Loop: Header=BB287_2083 Depth=1
	s_or_b32 exec_lo, exec_lo, s29
	v_lshlrev_b32_e32 v3, 8, v5
	v_lshl_add_u32 v4, v18, 10, 0x2000
	v_lshlrev_b32_e32 v5, 7, v16
	v_and_b32_e32 v3, 0x8000, v3
	v_and_b32_e32 v4, 0xfc00, v4
	v_or3_b32 v16, v3, v4, v5
.LBB287_2436:                           ;   in Loop: Header=BB287_2083 Depth=1
	s_or_b32 exec_lo, exec_lo, s28
.LBB287_2437:                           ;   in Loop: Header=BB287_2083 Depth=1
	s_or_b32 exec_lo, exec_lo, s27
.LBB287_2438:                           ;   in Loop: Header=BB287_2083 Depth=1
	s_or_b32 exec_lo, exec_lo, s26
	s_mov_b32 s26, exec_lo
	v_cmpx_lt_u32_e32 0xffffff, v13
	s_cbranch_execz .LBB287_2446
; %bb.2439:                             ;   in Loop: Header=BB287_2083 Depth=1
	v_lshrrev_b32_e32 v5, 24, v13
	v_bfrev_b32_e32 v15, 1
	s_mov_b32 s27, exec_lo
	v_cmpx_ne_u32_e32 0x80, v5
	s_cbranch_execz .LBB287_2445
; %bb.2440:                             ;   in Loop: Header=BB287_2083 Depth=1
	v_and_b32_e32 v19, 0x7f, v5
	v_mov_b32_e32 v15, 0x7c010000
	s_mov_b32 s28, exec_lo
	v_cmpx_ne_u32_e32 0x7f, v19
	s_cbranch_execz .LBB287_2444
; %bb.2441:                             ;   in Loop: Header=BB287_2083 Depth=1
	v_and_b32_e32 v15, 7, v5
	v_lshrrev_b32_e32 v18, 3, v19
	s_mov_b32 s29, exec_lo
	v_cmpx_gt_u32_e32 8, v19
; %bb.2442:                             ;   in Loop: Header=BB287_2083 Depth=1
	v_ffbh_u32_e32 v3, v15
	v_min_u32_e32 v3, 32, v3
	v_subrev_nc_u32_e32 v4, 28, v3
	v_sub_nc_u32_e32 v18, 29, v3
	v_lshlrev_b64 v[31:32], v4, v[5:6]
	v_and_b32_e32 v15, 7, v31
; %bb.2443:                             ;   in Loop: Header=BB287_2083 Depth=1
	s_or_b32 exec_lo, exec_lo, s29
	v_lshlrev_b32_e32 v3, 8, v5
	v_lshl_add_u32 v4, v18, 10, 0x2000
	v_and_or_b32 v3, 0x8000, v3, v4
	v_lshlrev_b32_e32 v4, 23, v15
	v_lshl_or_b32 v15, v3, 16, v4
.LBB287_2444:                           ;   in Loop: Header=BB287_2083 Depth=1
	s_or_b32 exec_lo, exec_lo, s28
.LBB287_2445:                           ;   in Loop: Header=BB287_2083 Depth=1
	s_or_b32 exec_lo, exec_lo, s27
.LBB287_2446:                           ;   in Loop: Header=BB287_2083 Depth=1
	s_or_b32 exec_lo, exec_lo, s26
	v_mov_b32_e32 v5, v14
	v_cmp_ne_u16_sdwa s12, v14, v6 src0_sel:BYTE_0 src1_sel:DWORD
	v_mov_b32_e32 v18, 0
	v_mov_b32_e32 v19, 0
	s_and_saveexec_b32 s26, s12
	s_cbranch_execz .LBB287_2454
; %bb.2447:                             ;   in Loop: Header=BB287_2083 Depth=1
	v_cmp_ne_u16_sdwa s12, v14, v48 src0_sel:BYTE_0 src1_sel:DWORD
	v_mov_b32_e32 v19, 0x8000
	s_and_saveexec_b32 s27, s12
	s_cbranch_execz .LBB287_2453
; %bb.2448:                             ;   in Loop: Header=BB287_2083 Depth=1
	v_and_b32_e32 v32, 0x7f, v14
	v_mov_b32_e32 v19, 0x7c01
	s_mov_b32 s28, exec_lo
	v_cmpx_ne_u32_e32 0x7f, v32
	s_cbranch_execz .LBB287_2452
; %bb.2449:                             ;   in Loop: Header=BB287_2083 Depth=1
	v_and_b32_e32 v19, 7, v14
	v_lshrrev_b32_e32 v31, 3, v32
	s_mov_b32 s29, exec_lo
	v_cmpx_gt_u32_e32 8, v32
; %bb.2450:                             ;   in Loop: Header=BB287_2083 Depth=1
	v_ffbh_u32_e32 v3, v19
	v_min_u32_e32 v3, 32, v3
	v_subrev_nc_u32_e32 v4, 28, v3
	v_sub_nc_u32_e32 v31, 29, v3
	v_lshlrev_b64 v[36:37], v4, v[5:6]
	v_and_b32_e32 v19, 7, v36
; %bb.2451:                             ;   in Loop: Header=BB287_2083 Depth=1
	s_or_b32 exec_lo, exec_lo, s29
	v_lshlrev_b32_e32 v3, 8, v14
	v_lshl_add_u32 v4, v31, 10, 0x2000
	v_lshlrev_b32_e32 v19, 7, v19
	v_and_b32_e32 v3, 0x8000, v3
	v_and_b32_e32 v4, 0xfc00, v4
	v_or3_b32 v19, v3, v4, v19
.LBB287_2452:                           ;   in Loop: Header=BB287_2083 Depth=1
	s_or_b32 exec_lo, exec_lo, s28
.LBB287_2453:                           ;   in Loop: Header=BB287_2083 Depth=1
	s_or_b32 exec_lo, exec_lo, s27
.LBB287_2454:                           ;   in Loop: Header=BB287_2083 Depth=1
	s_or_b32 exec_lo, exec_lo, s26
	v_lshrrev_b16 v5, 8, v5
	v_mov_b32_e32 v31, 0
	s_mov_b32 s26, exec_lo
	v_cmpx_ne_u16_e32 0, v5
	s_cbranch_execz .LBB287_2462
; %bb.2455:                             ;   in Loop: Header=BB287_2083 Depth=1
	v_bfrev_b32_e32 v31, 1
	s_mov_b32 s27, exec_lo
	v_cmpx_ne_u16_e32 0x80, v5
	s_cbranch_execz .LBB287_2461
; %bb.2456:                             ;   in Loop: Header=BB287_2083 Depth=1
	v_and_b32_sdwa v36, v5, v49 dst_sel:DWORD dst_unused:UNUSED_PAD src0_sel:WORD_0 src1_sel:DWORD
	v_mov_b32_e32 v31, 0x7c010000
	s_mov_b32 s28, exec_lo
	v_cmpx_ne_u32_e32 0x7f, v36
	s_cbranch_execz .LBB287_2460
; %bb.2457:                             ;   in Loop: Header=BB287_2083 Depth=1
	v_and_b32_sdwa v31, v5, v50 dst_sel:DWORD dst_unused:UNUSED_PAD src0_sel:WORD_0 src1_sel:DWORD
	v_lshrrev_b32_e32 v32, 3, v36
	s_mov_b32 s29, exec_lo
	v_cmpx_gt_u32_e32 8, v36
; %bb.2458:                             ;   in Loop: Header=BB287_2083 Depth=1
	v_ffbh_u32_e32 v3, v31
	v_min_u32_e32 v3, 32, v3
	v_subrev_nc_u32_e32 v4, 28, v3
	v_lshlrev_b64 v[31:32], v4, v[5:6]
	v_sub_nc_u32_e32 v32, 29, v3
	v_and_b32_e32 v31, 7, v31
; %bb.2459:                             ;   in Loop: Header=BB287_2083 Depth=1
	s_or_b32 exec_lo, exec_lo, s29
	v_lshlrev_b32_sdwa v3, v100, v5 dst_sel:DWORD dst_unused:UNUSED_PAD src0_sel:DWORD src1_sel:WORD_0
	v_lshl_add_u32 v4, v32, 10, 0x2000
	v_and_or_b32 v3, 0x8000, v3, v4
	v_lshlrev_b32_e32 v4, 23, v31
	v_lshl_or_b32 v31, v3, 16, v4
.LBB287_2460:                           ;   in Loop: Header=BB287_2083 Depth=1
	s_or_b32 exec_lo, exec_lo, s28
.LBB287_2461:                           ;   in Loop: Header=BB287_2083 Depth=1
	s_or_b32 exec_lo, exec_lo, s27
.LBB287_2462:                           ;   in Loop: Header=BB287_2083 Depth=1
	s_or_b32 exec_lo, exec_lo, s26
	v_lshrrev_b32_e32 v5, 16, v14
	v_cmp_ne_u16_sdwa s12, v5, v6 src0_sel:BYTE_0 src1_sel:DWORD
	s_and_saveexec_b32 s26, s12
	s_cbranch_execz .LBB287_2470
; %bb.2463:                             ;   in Loop: Header=BB287_2083 Depth=1
	v_cmp_ne_u16_sdwa s12, v5, v48 src0_sel:BYTE_0 src1_sel:DWORD
	v_mov_b32_e32 v18, 0x8000
	s_and_saveexec_b32 s27, s12
	s_cbranch_execz .LBB287_2469
; %bb.2464:                             ;   in Loop: Header=BB287_2083 Depth=1
	v_bfe_u32 v36, v14, 16, 7
	v_mov_b32_e32 v18, 0x7c01
	s_mov_b32 s28, exec_lo
	v_cmpx_ne_u32_e32 0x7f, v36
	s_cbranch_execz .LBB287_2468
; %bb.2465:                             ;   in Loop: Header=BB287_2083 Depth=1
	v_and_b32_e32 v18, 7, v5
	v_lshrrev_b32_e32 v32, 3, v36
	s_mov_b32 s29, exec_lo
	v_cmpx_gt_u32_e32 8, v36
; %bb.2466:                             ;   in Loop: Header=BB287_2083 Depth=1
	v_ffbh_u32_e32 v3, v18
	v_min_u32_e32 v3, 32, v3
	v_subrev_nc_u32_e32 v4, 28, v3
	v_sub_nc_u32_e32 v32, 29, v3
	v_lshlrev_b64 v[36:37], v4, v[5:6]
	v_and_b32_e32 v18, 7, v36
; %bb.2467:                             ;   in Loop: Header=BB287_2083 Depth=1
	s_or_b32 exec_lo, exec_lo, s29
	v_lshlrev_b32_e32 v3, 8, v5
	v_lshl_add_u32 v4, v32, 10, 0x2000
	v_lshlrev_b32_e32 v5, 7, v18
	v_and_b32_e32 v3, 0x8000, v3
	v_and_b32_e32 v4, 0xfc00, v4
	v_or3_b32 v18, v3, v4, v5
.LBB287_2468:                           ;   in Loop: Header=BB287_2083 Depth=1
	s_or_b32 exec_lo, exec_lo, s28
.LBB287_2469:                           ;   in Loop: Header=BB287_2083 Depth=1
	s_or_b32 exec_lo, exec_lo, s27
.LBB287_2470:                           ;   in Loop: Header=BB287_2083 Depth=1
	s_or_b32 exec_lo, exec_lo, s26
	v_cmp_lt_u64_e64 s12, s[22:23], v[13:14]
	v_mov_b32_e32 v13, 0
	s_and_saveexec_b32 s26, s12
	s_cbranch_execz .LBB287_2478
; %bb.2471:                             ;   in Loop: Header=BB287_2083 Depth=1
	v_lshrrev_b32_e32 v5, 24, v14
	v_bfrev_b32_e32 v13, 1
	s_mov_b32 s27, exec_lo
	v_cmpx_ne_u32_e32 0x80, v5
	s_cbranch_execz .LBB287_2477
; %bb.2472:                             ;   in Loop: Header=BB287_2083 Depth=1
	v_and_b32_e32 v32, 0x7f, v5
	v_mov_b32_e32 v13, 0x7c010000
	s_mov_b32 s28, exec_lo
	v_cmpx_ne_u32_e32 0x7f, v32
	s_cbranch_execz .LBB287_2476
; %bb.2473:                             ;   in Loop: Header=BB287_2083 Depth=1
	v_and_b32_e32 v13, 7, v5
	v_lshrrev_b32_e32 v14, 3, v32
	s_mov_b32 s29, exec_lo
	v_cmpx_gt_u32_e32 8, v32
; %bb.2474:                             ;   in Loop: Header=BB287_2083 Depth=1
	v_ffbh_u32_e32 v3, v13
	v_min_u32_e32 v3, 32, v3
	v_subrev_nc_u32_e32 v4, 28, v3
	v_lshlrev_b64 v[13:14], v4, v[5:6]
	v_sub_nc_u32_e32 v14, 29, v3
	v_and_b32_e32 v13, 7, v13
; %bb.2475:                             ;   in Loop: Header=BB287_2083 Depth=1
	s_or_b32 exec_lo, exec_lo, s29
	v_lshlrev_b32_e32 v3, 8, v5
	v_lshl_add_u32 v4, v14, 10, 0x2000
	v_and_or_b32 v3, 0x8000, v3, v4
	v_lshlrev_b32_e32 v4, 23, v13
	v_lshl_or_b32 v13, v3, 16, v4
.LBB287_2476:                           ;   in Loop: Header=BB287_2083 Depth=1
	s_or_b32 exec_lo, exec_lo, s28
.LBB287_2477:                           ;   in Loop: Header=BB287_2083 Depth=1
	s_or_b32 exec_lo, exec_lo, s27
.LBB287_2478:                           ;   in Loop: Header=BB287_2083 Depth=1
	s_or_b32 exec_lo, exec_lo, s26
	v_or_b32_e32 v3, v15, v16
	s_waitcnt vmcnt(0) lgkmcnt(0)
	v_fma_mixlo_f16 v4, v0, v15, 0 op_sel:[0,1,0] op_sel_hi:[0,1,0]
	v_or_b32_e32 v2, v1, v2
	v_or_b32_e32 v14, v31, v19
	;; [unrolled: 1-line block ×3, first 2 shown]
	v_fma_mixlo_f16 v3, v0, v3, 0 op_sel_hi:[0,1,0]
	v_fma_mixlo_f16 v5, v0, v1, 0 op_sel:[0,1,0] op_sel_hi:[0,1,0]
	v_lshlrev_b32_e32 v1, 16, v4
	v_fma_mixlo_f16 v4, v0, v2, 0 op_sel_hi:[0,1,0]
	v_fma_mixlo_f16 v14, v0, v14, 0 op_sel_hi:[0,1,0]
	v_and_b32_e32 v2, 0xffff, v3
	v_fma_mixlo_f16 v3, v0, v31, 0 op_sel:[0,1,0] op_sel_hi:[0,1,0]
	v_fma_mixlo_f16 v13, v0, v13, 0 op_sel:[0,1,0] op_sel_hi:[0,1,0]
	v_fma_mixlo_f16 v0, v0, v15, 0 op_sel_hi:[0,1,0]
	v_lshlrev_b32_e32 v5, 16, v5
	v_and_b32_e32 v32, 0xffff, v4
	v_lshlrev_b32_e32 v18, 16, v3
	v_and_b32_e32 v31, 0xffff, v14
	;; [unrolled: 2-line block ×3, first 2 shown]
	v_or_b32_e32 v0, v1, v2
	v_or_b32_e32 v15, v5, v32
	;; [unrolled: 1-line block ×4, first 2 shown]
	s_and_saveexec_b32 s12, s4
	s_cbranch_execz .LBB287_2480
; %bb.2479:                             ;   in Loop: Header=BB287_2083 Depth=1
	v_cndmask_b32_e32 v0, 0, v32, vcc_lo
	v_cndmask_b32_e64 v3, 0, v5, s7
	v_cndmask_b32_e64 v2, 0, v2, s5
	;; [unrolled: 1-line block ×7, first 2 shown]
	v_or_b32_e32 v15, v0, v3
	v_or_b32_e32 v0, v2, v1
	;; [unrolled: 1-line block ×4, first 2 shown]
.LBB287_2480:                           ;   in Loop: Header=BB287_2083 Depth=1
	s_or_b32 exec_lo, exec_lo, s12
	;;#ASMSTART
	v_pk_mul_f16 v1, v40, v15;

	;;#ASMEND
	;;#ASMSTART
	v_pk_mul_f16 v0, v119, v0;

	;;#ASMEND
	;; [unrolled: 4-line block ×4, first 2 shown]
	;;#ASMSTART
	v_pk_add_f16 v0, v1, v0;

	;;#ASMEND
	;;#ASMSTART
	v_pk_add_f16 v0, v0, v2;

	;;#ASMEND
	;; [unrolled: 4-line block ×3, first 2 shown]
	v_and_b32_e32 v1, 0xffff, v0
	v_lshrrev_b32_e32 v0, 16, v0
	;;#ASMSTART
	v_cvt_f32_f16 v57, v1;
	;;#ASMEND
	;;#ASMSTART
	v_cvt_f32_f16 v58, v0;
	;;#ASMEND
	flat_load_dwordx2 v[13:14], v[11:12] offset:1536
	flat_load_dword v0, v[22:23]
	v_mov_b32_e32 v1, 0
	v_mov_b32_e32 v2, 0
	s_waitcnt vmcnt(1) lgkmcnt(1)
	v_cmp_ne_u16_sdwa s12, v13, v6 src0_sel:BYTE_0 src1_sel:DWORD
	s_and_saveexec_b32 s26, s12
	s_cbranch_execz .LBB287_2488
; %bb.2481:                             ;   in Loop: Header=BB287_2083 Depth=1
	v_cmp_ne_u16_sdwa s12, v13, v48 src0_sel:BYTE_0 src1_sel:DWORD
	v_mov_b32_e32 v2, 0x8000
	s_and_saveexec_b32 s27, s12
	s_cbranch_execz .LBB287_2487
; %bb.2482:                             ;   in Loop: Header=BB287_2083 Depth=1
	v_and_b32_e32 v15, 0x7f, v13
	v_mov_b32_e32 v2, 0x7c01
	s_mov_b32 s28, exec_lo
	v_cmpx_ne_u32_e32 0x7f, v15
	s_cbranch_execz .LBB287_2486
; %bb.2483:                             ;   in Loop: Header=BB287_2083 Depth=1
	v_and_b32_e32 v2, 7, v13
	v_lshrrev_b32_e32 v5, 3, v15
	s_mov_b32 s29, exec_lo
	v_cmpx_gt_u32_e32 8, v15
; %bb.2484:                             ;   in Loop: Header=BB287_2083 Depth=1
	v_ffbh_u32_e32 v2, v2
	v_min_u32_e32 v2, 32, v2
	v_subrev_nc_u32_e32 v3, 28, v2
	v_sub_nc_u32_e32 v5, 29, v2
	v_lshlrev_b64 v[15:16], v3, v[13:14]
	v_and_b32_e32 v2, 7, v15
; %bb.2485:                             ;   in Loop: Header=BB287_2083 Depth=1
	s_or_b32 exec_lo, exec_lo, s29
	v_lshlrev_b32_e32 v3, 8, v13
	v_lshl_add_u32 v4, v5, 10, 0x2000
	v_lshlrev_b32_e32 v2, 7, v2
	v_and_b32_e32 v3, 0x8000, v3
	v_and_b32_e32 v4, 0xfc00, v4
	v_or3_b32 v2, v3, v4, v2
.LBB287_2486:                           ;   in Loop: Header=BB287_2083 Depth=1
	s_or_b32 exec_lo, exec_lo, s28
.LBB287_2487:                           ;   in Loop: Header=BB287_2083 Depth=1
	s_or_b32 exec_lo, exec_lo, s27
.LBB287_2488:                           ;   in Loop: Header=BB287_2083 Depth=1
	s_or_b32 exec_lo, exec_lo, s26
	v_lshrrev_b16 v5, 8, v13
	s_mov_b32 s26, exec_lo
	v_cmpx_ne_u16_e32 0, v5
	s_cbranch_execz .LBB287_2496
; %bb.2489:                             ;   in Loop: Header=BB287_2083 Depth=1
	v_bfrev_b32_e32 v1, 1
	s_mov_b32 s27, exec_lo
	v_cmpx_ne_u16_e32 0x80, v5
	s_cbranch_execz .LBB287_2495
; %bb.2490:                             ;   in Loop: Header=BB287_2083 Depth=1
	v_and_b32_sdwa v16, v5, v49 dst_sel:DWORD dst_unused:UNUSED_PAD src0_sel:WORD_0 src1_sel:DWORD
	v_mov_b32_e32 v1, 0x7c010000
	s_mov_b32 s28, exec_lo
	v_cmpx_ne_u32_e32 0x7f, v16
	s_cbranch_execz .LBB287_2494
; %bb.2491:                             ;   in Loop: Header=BB287_2083 Depth=1
	v_and_b32_sdwa v1, v5, v50 dst_sel:DWORD dst_unused:UNUSED_PAD src0_sel:WORD_0 src1_sel:DWORD
	v_lshrrev_b32_e32 v15, 3, v16
	s_mov_b32 s29, exec_lo
	v_cmpx_gt_u32_e32 8, v16
; %bb.2492:                             ;   in Loop: Header=BB287_2083 Depth=1
	v_ffbh_u32_e32 v1, v1
	v_min_u32_e32 v1, 32, v1
	v_subrev_nc_u32_e32 v3, 28, v1
	v_sub_nc_u32_e32 v15, 29, v1
	v_lshlrev_b64 v[18:19], v3, v[5:6]
	v_and_b32_e32 v1, 7, v18
; %bb.2493:                             ;   in Loop: Header=BB287_2083 Depth=1
	s_or_b32 exec_lo, exec_lo, s29
	v_lshlrev_b32_sdwa v3, v100, v5 dst_sel:DWORD dst_unused:UNUSED_PAD src0_sel:DWORD src1_sel:WORD_0
	v_lshl_add_u32 v4, v15, 10, 0x2000
	v_lshlrev_b32_e32 v1, 23, v1
	v_and_or_b32 v3, 0x8000, v3, v4
	v_lshl_or_b32 v1, v3, 16, v1
.LBB287_2494:                           ;   in Loop: Header=BB287_2083 Depth=1
	s_or_b32 exec_lo, exec_lo, s28
.LBB287_2495:                           ;   in Loop: Header=BB287_2083 Depth=1
	s_or_b32 exec_lo, exec_lo, s27
.LBB287_2496:                           ;   in Loop: Header=BB287_2083 Depth=1
	s_or_b32 exec_lo, exec_lo, s26
	v_lshrrev_b32_e32 v5, 16, v13
	v_mov_b32_e32 v15, 0
	v_mov_b32_e32 v16, 0
	v_cmp_ne_u16_sdwa s12, v5, v6 src0_sel:BYTE_0 src1_sel:DWORD
	s_and_saveexec_b32 s26, s12
	s_cbranch_execz .LBB287_2504
; %bb.2497:                             ;   in Loop: Header=BB287_2083 Depth=1
	v_cmp_ne_u16_sdwa s12, v5, v48 src0_sel:BYTE_0 src1_sel:DWORD
	v_mov_b32_e32 v16, 0x8000
	s_and_saveexec_b32 s27, s12
	s_cbranch_execz .LBB287_2503
; %bb.2498:                             ;   in Loop: Header=BB287_2083 Depth=1
	v_bfe_u32 v19, v13, 16, 7
	v_mov_b32_e32 v16, 0x7c01
	s_mov_b32 s28, exec_lo
	v_cmpx_ne_u32_e32 0x7f, v19
	s_cbranch_execz .LBB287_2502
; %bb.2499:                             ;   in Loop: Header=BB287_2083 Depth=1
	v_and_b32_e32 v16, 7, v5
	v_lshrrev_b32_e32 v18, 3, v19
	s_mov_b32 s29, exec_lo
	v_cmpx_gt_u32_e32 8, v19
; %bb.2500:                             ;   in Loop: Header=BB287_2083 Depth=1
	v_ffbh_u32_e32 v3, v16
	v_min_u32_e32 v3, 32, v3
	v_subrev_nc_u32_e32 v4, 28, v3
	v_sub_nc_u32_e32 v18, 29, v3
	v_lshlrev_b64 v[31:32], v4, v[5:6]
	v_and_b32_e32 v16, 7, v31
; %bb.2501:                             ;   in Loop: Header=BB287_2083 Depth=1
	s_or_b32 exec_lo, exec_lo, s29
	v_lshlrev_b32_e32 v3, 8, v5
	v_lshl_add_u32 v4, v18, 10, 0x2000
	v_lshlrev_b32_e32 v5, 7, v16
	v_and_b32_e32 v3, 0x8000, v3
	v_and_b32_e32 v4, 0xfc00, v4
	v_or3_b32 v16, v3, v4, v5
.LBB287_2502:                           ;   in Loop: Header=BB287_2083 Depth=1
	s_or_b32 exec_lo, exec_lo, s28
.LBB287_2503:                           ;   in Loop: Header=BB287_2083 Depth=1
	s_or_b32 exec_lo, exec_lo, s27
.LBB287_2504:                           ;   in Loop: Header=BB287_2083 Depth=1
	s_or_b32 exec_lo, exec_lo, s26
	s_mov_b32 s26, exec_lo
	v_cmpx_lt_u32_e32 0xffffff, v13
	s_cbranch_execz .LBB287_2512
; %bb.2505:                             ;   in Loop: Header=BB287_2083 Depth=1
	v_lshrrev_b32_e32 v5, 24, v13
	v_bfrev_b32_e32 v15, 1
	s_mov_b32 s27, exec_lo
	v_cmpx_ne_u32_e32 0x80, v5
	s_cbranch_execz .LBB287_2511
; %bb.2506:                             ;   in Loop: Header=BB287_2083 Depth=1
	v_and_b32_e32 v19, 0x7f, v5
	v_mov_b32_e32 v15, 0x7c010000
	s_mov_b32 s28, exec_lo
	v_cmpx_ne_u32_e32 0x7f, v19
	s_cbranch_execz .LBB287_2510
; %bb.2507:                             ;   in Loop: Header=BB287_2083 Depth=1
	v_and_b32_e32 v15, 7, v5
	v_lshrrev_b32_e32 v18, 3, v19
	s_mov_b32 s29, exec_lo
	v_cmpx_gt_u32_e32 8, v19
; %bb.2508:                             ;   in Loop: Header=BB287_2083 Depth=1
	v_ffbh_u32_e32 v3, v15
	v_min_u32_e32 v3, 32, v3
	v_subrev_nc_u32_e32 v4, 28, v3
	v_sub_nc_u32_e32 v18, 29, v3
	v_lshlrev_b64 v[31:32], v4, v[5:6]
	v_and_b32_e32 v15, 7, v31
; %bb.2509:                             ;   in Loop: Header=BB287_2083 Depth=1
	s_or_b32 exec_lo, exec_lo, s29
	v_lshlrev_b32_e32 v3, 8, v5
	v_lshl_add_u32 v4, v18, 10, 0x2000
	v_and_or_b32 v3, 0x8000, v3, v4
	v_lshlrev_b32_e32 v4, 23, v15
	v_lshl_or_b32 v15, v3, 16, v4
.LBB287_2510:                           ;   in Loop: Header=BB287_2083 Depth=1
	s_or_b32 exec_lo, exec_lo, s28
.LBB287_2511:                           ;   in Loop: Header=BB287_2083 Depth=1
	s_or_b32 exec_lo, exec_lo, s27
.LBB287_2512:                           ;   in Loop: Header=BB287_2083 Depth=1
	s_or_b32 exec_lo, exec_lo, s26
	v_mov_b32_e32 v5, v14
	v_cmp_ne_u16_sdwa s12, v14, v6 src0_sel:BYTE_0 src1_sel:DWORD
	v_mov_b32_e32 v18, 0
	v_mov_b32_e32 v19, 0
	s_and_saveexec_b32 s26, s12
	s_cbranch_execz .LBB287_2520
; %bb.2513:                             ;   in Loop: Header=BB287_2083 Depth=1
	v_cmp_ne_u16_sdwa s12, v14, v48 src0_sel:BYTE_0 src1_sel:DWORD
	v_mov_b32_e32 v19, 0x8000
	s_and_saveexec_b32 s27, s12
	s_cbranch_execz .LBB287_2519
; %bb.2514:                             ;   in Loop: Header=BB287_2083 Depth=1
	v_and_b32_e32 v32, 0x7f, v14
	v_mov_b32_e32 v19, 0x7c01
	s_mov_b32 s28, exec_lo
	v_cmpx_ne_u32_e32 0x7f, v32
	s_cbranch_execz .LBB287_2518
; %bb.2515:                             ;   in Loop: Header=BB287_2083 Depth=1
	v_and_b32_e32 v19, 7, v14
	v_lshrrev_b32_e32 v31, 3, v32
	s_mov_b32 s29, exec_lo
	v_cmpx_gt_u32_e32 8, v32
; %bb.2516:                             ;   in Loop: Header=BB287_2083 Depth=1
	v_ffbh_u32_e32 v3, v19
	v_min_u32_e32 v3, 32, v3
	v_subrev_nc_u32_e32 v4, 28, v3
	v_sub_nc_u32_e32 v31, 29, v3
	v_lshlrev_b64 v[36:37], v4, v[5:6]
	v_and_b32_e32 v19, 7, v36
; %bb.2517:                             ;   in Loop: Header=BB287_2083 Depth=1
	s_or_b32 exec_lo, exec_lo, s29
	v_lshlrev_b32_e32 v3, 8, v14
	v_lshl_add_u32 v4, v31, 10, 0x2000
	v_lshlrev_b32_e32 v19, 7, v19
	v_and_b32_e32 v3, 0x8000, v3
	v_and_b32_e32 v4, 0xfc00, v4
	v_or3_b32 v19, v3, v4, v19
.LBB287_2518:                           ;   in Loop: Header=BB287_2083 Depth=1
	s_or_b32 exec_lo, exec_lo, s28
.LBB287_2519:                           ;   in Loop: Header=BB287_2083 Depth=1
	s_or_b32 exec_lo, exec_lo, s27
.LBB287_2520:                           ;   in Loop: Header=BB287_2083 Depth=1
	s_or_b32 exec_lo, exec_lo, s26
	v_lshrrev_b16 v5, 8, v5
	v_mov_b32_e32 v31, 0
	s_mov_b32 s26, exec_lo
	v_cmpx_ne_u16_e32 0, v5
	s_cbranch_execz .LBB287_2528
; %bb.2521:                             ;   in Loop: Header=BB287_2083 Depth=1
	v_bfrev_b32_e32 v31, 1
	s_mov_b32 s27, exec_lo
	v_cmpx_ne_u16_e32 0x80, v5
	s_cbranch_execz .LBB287_2527
; %bb.2522:                             ;   in Loop: Header=BB287_2083 Depth=1
	v_and_b32_sdwa v36, v5, v49 dst_sel:DWORD dst_unused:UNUSED_PAD src0_sel:WORD_0 src1_sel:DWORD
	v_mov_b32_e32 v31, 0x7c010000
	s_mov_b32 s28, exec_lo
	v_cmpx_ne_u32_e32 0x7f, v36
	s_cbranch_execz .LBB287_2526
; %bb.2523:                             ;   in Loop: Header=BB287_2083 Depth=1
	v_and_b32_sdwa v31, v5, v50 dst_sel:DWORD dst_unused:UNUSED_PAD src0_sel:WORD_0 src1_sel:DWORD
	v_lshrrev_b32_e32 v32, 3, v36
	s_mov_b32 s29, exec_lo
	v_cmpx_gt_u32_e32 8, v36
; %bb.2524:                             ;   in Loop: Header=BB287_2083 Depth=1
	v_ffbh_u32_e32 v3, v31
	v_min_u32_e32 v3, 32, v3
	v_subrev_nc_u32_e32 v4, 28, v3
	v_lshlrev_b64 v[31:32], v4, v[5:6]
	v_sub_nc_u32_e32 v32, 29, v3
	v_and_b32_e32 v31, 7, v31
; %bb.2525:                             ;   in Loop: Header=BB287_2083 Depth=1
	s_or_b32 exec_lo, exec_lo, s29
	v_lshlrev_b32_sdwa v3, v100, v5 dst_sel:DWORD dst_unused:UNUSED_PAD src0_sel:DWORD src1_sel:WORD_0
	v_lshl_add_u32 v4, v32, 10, 0x2000
	v_and_or_b32 v3, 0x8000, v3, v4
	v_lshlrev_b32_e32 v4, 23, v31
	v_lshl_or_b32 v31, v3, 16, v4
.LBB287_2526:                           ;   in Loop: Header=BB287_2083 Depth=1
	s_or_b32 exec_lo, exec_lo, s28
.LBB287_2527:                           ;   in Loop: Header=BB287_2083 Depth=1
	s_or_b32 exec_lo, exec_lo, s27
.LBB287_2528:                           ;   in Loop: Header=BB287_2083 Depth=1
	s_or_b32 exec_lo, exec_lo, s26
	v_lshrrev_b32_e32 v5, 16, v14
	v_cmp_ne_u16_sdwa s12, v5, v6 src0_sel:BYTE_0 src1_sel:DWORD
	s_and_saveexec_b32 s26, s12
	s_cbranch_execz .LBB287_2536
; %bb.2529:                             ;   in Loop: Header=BB287_2083 Depth=1
	v_cmp_ne_u16_sdwa s12, v5, v48 src0_sel:BYTE_0 src1_sel:DWORD
	v_mov_b32_e32 v18, 0x8000
	s_and_saveexec_b32 s27, s12
	s_cbranch_execz .LBB287_2535
; %bb.2530:                             ;   in Loop: Header=BB287_2083 Depth=1
	v_bfe_u32 v36, v14, 16, 7
	v_mov_b32_e32 v18, 0x7c01
	s_mov_b32 s28, exec_lo
	v_cmpx_ne_u32_e32 0x7f, v36
	s_cbranch_execz .LBB287_2534
; %bb.2531:                             ;   in Loop: Header=BB287_2083 Depth=1
	v_and_b32_e32 v18, 7, v5
	v_lshrrev_b32_e32 v32, 3, v36
	s_mov_b32 s29, exec_lo
	v_cmpx_gt_u32_e32 8, v36
; %bb.2532:                             ;   in Loop: Header=BB287_2083 Depth=1
	v_ffbh_u32_e32 v3, v18
	v_min_u32_e32 v3, 32, v3
	v_subrev_nc_u32_e32 v4, 28, v3
	v_sub_nc_u32_e32 v32, 29, v3
	v_lshlrev_b64 v[36:37], v4, v[5:6]
	v_and_b32_e32 v18, 7, v36
; %bb.2533:                             ;   in Loop: Header=BB287_2083 Depth=1
	s_or_b32 exec_lo, exec_lo, s29
	v_lshlrev_b32_e32 v3, 8, v5
	v_lshl_add_u32 v4, v32, 10, 0x2000
	v_lshlrev_b32_e32 v5, 7, v18
	v_and_b32_e32 v3, 0x8000, v3
	v_and_b32_e32 v4, 0xfc00, v4
	v_or3_b32 v18, v3, v4, v5
.LBB287_2534:                           ;   in Loop: Header=BB287_2083 Depth=1
	s_or_b32 exec_lo, exec_lo, s28
.LBB287_2535:                           ;   in Loop: Header=BB287_2083 Depth=1
	s_or_b32 exec_lo, exec_lo, s27
.LBB287_2536:                           ;   in Loop: Header=BB287_2083 Depth=1
	s_or_b32 exec_lo, exec_lo, s26
	v_cmp_lt_u64_e64 s12, s[22:23], v[13:14]
	v_mov_b32_e32 v13, 0
	s_and_saveexec_b32 s26, s12
	s_cbranch_execz .LBB287_2544
; %bb.2537:                             ;   in Loop: Header=BB287_2083 Depth=1
	v_lshrrev_b32_e32 v5, 24, v14
	v_bfrev_b32_e32 v13, 1
	s_mov_b32 s27, exec_lo
	v_cmpx_ne_u32_e32 0x80, v5
	s_cbranch_execz .LBB287_2543
; %bb.2538:                             ;   in Loop: Header=BB287_2083 Depth=1
	v_and_b32_e32 v32, 0x7f, v5
	v_mov_b32_e32 v13, 0x7c010000
	s_mov_b32 s28, exec_lo
	v_cmpx_ne_u32_e32 0x7f, v32
	s_cbranch_execz .LBB287_2542
; %bb.2539:                             ;   in Loop: Header=BB287_2083 Depth=1
	v_and_b32_e32 v13, 7, v5
	v_lshrrev_b32_e32 v14, 3, v32
	s_mov_b32 s29, exec_lo
	v_cmpx_gt_u32_e32 8, v32
; %bb.2540:                             ;   in Loop: Header=BB287_2083 Depth=1
	v_ffbh_u32_e32 v3, v13
	v_min_u32_e32 v3, 32, v3
	v_subrev_nc_u32_e32 v4, 28, v3
	v_lshlrev_b64 v[13:14], v4, v[5:6]
	v_sub_nc_u32_e32 v14, 29, v3
	v_and_b32_e32 v13, 7, v13
; %bb.2541:                             ;   in Loop: Header=BB287_2083 Depth=1
	s_or_b32 exec_lo, exec_lo, s29
	v_lshlrev_b32_e32 v3, 8, v5
	v_lshl_add_u32 v4, v14, 10, 0x2000
	v_and_or_b32 v3, 0x8000, v3, v4
	v_lshlrev_b32_e32 v4, 23, v13
	v_lshl_or_b32 v13, v3, 16, v4
.LBB287_2542:                           ;   in Loop: Header=BB287_2083 Depth=1
	s_or_b32 exec_lo, exec_lo, s28
.LBB287_2543:                           ;   in Loop: Header=BB287_2083 Depth=1
	s_or_b32 exec_lo, exec_lo, s27
.LBB287_2544:                           ;   in Loop: Header=BB287_2083 Depth=1
	s_or_b32 exec_lo, exec_lo, s26
	v_or_b32_e32 v3, v15, v16
	s_waitcnt vmcnt(0) lgkmcnt(0)
	v_fma_mixlo_f16 v4, v0, v15, 0 op_sel:[0,1,0] op_sel_hi:[0,1,0]
	v_or_b32_e32 v2, v1, v2
	v_or_b32_e32 v14, v31, v19
	;; [unrolled: 1-line block ×3, first 2 shown]
	v_fma_mixlo_f16 v3, v0, v3, 0 op_sel_hi:[0,1,0]
	v_fma_mixlo_f16 v5, v0, v1, 0 op_sel:[0,1,0] op_sel_hi:[0,1,0]
	v_lshlrev_b32_e32 v1, 16, v4
	v_fma_mixlo_f16 v4, v0, v2, 0 op_sel_hi:[0,1,0]
	v_fma_mixlo_f16 v14, v0, v14, 0 op_sel_hi:[0,1,0]
	v_and_b32_e32 v2, 0xffff, v3
	v_fma_mixlo_f16 v3, v0, v31, 0 op_sel:[0,1,0] op_sel_hi:[0,1,0]
	v_fma_mixlo_f16 v13, v0, v13, 0 op_sel:[0,1,0] op_sel_hi:[0,1,0]
	v_fma_mixlo_f16 v0, v0, v15, 0 op_sel_hi:[0,1,0]
	v_lshlrev_b32_e32 v5, 16, v5
	v_and_b32_e32 v32, 0xffff, v4
	v_lshlrev_b32_e32 v18, 16, v3
	v_and_b32_e32 v31, 0xffff, v14
	;; [unrolled: 2-line block ×3, first 2 shown]
	v_or_b32_e32 v0, v1, v2
	v_or_b32_e32 v15, v5, v32
	;; [unrolled: 1-line block ×4, first 2 shown]
	s_and_saveexec_b32 s12, s4
	s_cbranch_execz .LBB287_2546
; %bb.2545:                             ;   in Loop: Header=BB287_2083 Depth=1
	v_cndmask_b32_e32 v0, 0, v32, vcc_lo
	v_cndmask_b32_e64 v3, 0, v5, s7
	v_cndmask_b32_e64 v2, 0, v2, s5
	;; [unrolled: 1-line block ×7, first 2 shown]
	v_or_b32_e32 v15, v0, v3
	v_or_b32_e32 v0, v2, v1
	;; [unrolled: 1-line block ×4, first 2 shown]
.LBB287_2546:                           ;   in Loop: Header=BB287_2083 Depth=1
	s_or_b32 exec_lo, exec_lo, s12
	;;#ASMSTART
	v_pk_mul_f16 v1, v40, v15;

	;;#ASMEND
	;;#ASMSTART
	v_pk_mul_f16 v0, v119, v0;

	;;#ASMEND
	;; [unrolled: 4-line block ×4, first 2 shown]
	;;#ASMSTART
	v_pk_add_f16 v0, v1, v0;

	;;#ASMEND
	;;#ASMSTART
	v_pk_add_f16 v0, v0, v2;

	;;#ASMEND
	;; [unrolled: 4-line block ×3, first 2 shown]
	v_and_b32_e32 v1, 0xffff, v0
	v_lshrrev_b32_e32 v0, 16, v0
	;;#ASMSTART
	v_cvt_f32_f16 v87, v1;
	;;#ASMEND
	;;#ASMSTART
	v_cvt_f32_f16 v60, v0;
	;;#ASMEND
	flat_load_dwordx2 v[13:14], v[11:12] offset:1792
	flat_load_dword v0, v[22:23]
	v_mov_b32_e32 v1, 0
	v_mov_b32_e32 v2, 0
	s_waitcnt vmcnt(1) lgkmcnt(1)
	v_cmp_ne_u16_sdwa s12, v13, v6 src0_sel:BYTE_0 src1_sel:DWORD
	s_and_saveexec_b32 s26, s12
	s_cbranch_execz .LBB287_2554
; %bb.2547:                             ;   in Loop: Header=BB287_2083 Depth=1
	v_cmp_ne_u16_sdwa s12, v13, v48 src0_sel:BYTE_0 src1_sel:DWORD
	v_mov_b32_e32 v2, 0x8000
	s_and_saveexec_b32 s27, s12
	s_cbranch_execz .LBB287_2553
; %bb.2548:                             ;   in Loop: Header=BB287_2083 Depth=1
	v_and_b32_e32 v15, 0x7f, v13
	v_mov_b32_e32 v2, 0x7c01
	s_mov_b32 s28, exec_lo
	v_cmpx_ne_u32_e32 0x7f, v15
	s_cbranch_execz .LBB287_2552
; %bb.2549:                             ;   in Loop: Header=BB287_2083 Depth=1
	v_and_b32_e32 v2, 7, v13
	v_lshrrev_b32_e32 v5, 3, v15
	s_mov_b32 s29, exec_lo
	v_cmpx_gt_u32_e32 8, v15
; %bb.2550:                             ;   in Loop: Header=BB287_2083 Depth=1
	v_ffbh_u32_e32 v2, v2
	v_min_u32_e32 v2, 32, v2
	v_subrev_nc_u32_e32 v3, 28, v2
	v_sub_nc_u32_e32 v5, 29, v2
	v_lshlrev_b64 v[15:16], v3, v[13:14]
	v_and_b32_e32 v2, 7, v15
; %bb.2551:                             ;   in Loop: Header=BB287_2083 Depth=1
	s_or_b32 exec_lo, exec_lo, s29
	v_lshlrev_b32_e32 v3, 8, v13
	v_lshl_add_u32 v4, v5, 10, 0x2000
	v_lshlrev_b32_e32 v2, 7, v2
	v_and_b32_e32 v3, 0x8000, v3
	v_and_b32_e32 v4, 0xfc00, v4
	v_or3_b32 v2, v3, v4, v2
.LBB287_2552:                           ;   in Loop: Header=BB287_2083 Depth=1
	s_or_b32 exec_lo, exec_lo, s28
.LBB287_2553:                           ;   in Loop: Header=BB287_2083 Depth=1
	s_or_b32 exec_lo, exec_lo, s27
.LBB287_2554:                           ;   in Loop: Header=BB287_2083 Depth=1
	s_or_b32 exec_lo, exec_lo, s26
	v_lshrrev_b16 v5, 8, v13
	s_mov_b32 s26, exec_lo
	v_cmpx_ne_u16_e32 0, v5
	s_cbranch_execz .LBB287_2562
; %bb.2555:                             ;   in Loop: Header=BB287_2083 Depth=1
	v_bfrev_b32_e32 v1, 1
	s_mov_b32 s27, exec_lo
	v_cmpx_ne_u16_e32 0x80, v5
	s_cbranch_execz .LBB287_2561
; %bb.2556:                             ;   in Loop: Header=BB287_2083 Depth=1
	v_and_b32_sdwa v16, v5, v49 dst_sel:DWORD dst_unused:UNUSED_PAD src0_sel:WORD_0 src1_sel:DWORD
	v_mov_b32_e32 v1, 0x7c010000
	s_mov_b32 s28, exec_lo
	v_cmpx_ne_u32_e32 0x7f, v16
	s_cbranch_execz .LBB287_2560
; %bb.2557:                             ;   in Loop: Header=BB287_2083 Depth=1
	v_and_b32_sdwa v1, v5, v50 dst_sel:DWORD dst_unused:UNUSED_PAD src0_sel:WORD_0 src1_sel:DWORD
	v_lshrrev_b32_e32 v15, 3, v16
	s_mov_b32 s29, exec_lo
	v_cmpx_gt_u32_e32 8, v16
; %bb.2558:                             ;   in Loop: Header=BB287_2083 Depth=1
	v_ffbh_u32_e32 v1, v1
	v_min_u32_e32 v1, 32, v1
	v_subrev_nc_u32_e32 v3, 28, v1
	v_sub_nc_u32_e32 v15, 29, v1
	v_lshlrev_b64 v[18:19], v3, v[5:6]
	v_and_b32_e32 v1, 7, v18
; %bb.2559:                             ;   in Loop: Header=BB287_2083 Depth=1
	s_or_b32 exec_lo, exec_lo, s29
	v_lshlrev_b32_sdwa v3, v100, v5 dst_sel:DWORD dst_unused:UNUSED_PAD src0_sel:DWORD src1_sel:WORD_0
	v_lshl_add_u32 v4, v15, 10, 0x2000
	v_lshlrev_b32_e32 v1, 23, v1
	v_and_or_b32 v3, 0x8000, v3, v4
	v_lshl_or_b32 v1, v3, 16, v1
.LBB287_2560:                           ;   in Loop: Header=BB287_2083 Depth=1
	s_or_b32 exec_lo, exec_lo, s28
.LBB287_2561:                           ;   in Loop: Header=BB287_2083 Depth=1
	s_or_b32 exec_lo, exec_lo, s27
.LBB287_2562:                           ;   in Loop: Header=BB287_2083 Depth=1
	s_or_b32 exec_lo, exec_lo, s26
	v_lshrrev_b32_e32 v5, 16, v13
	v_mov_b32_e32 v15, 0
	v_mov_b32_e32 v16, 0
	v_cmp_ne_u16_sdwa s12, v5, v6 src0_sel:BYTE_0 src1_sel:DWORD
	s_and_saveexec_b32 s26, s12
	s_cbranch_execz .LBB287_2570
; %bb.2563:                             ;   in Loop: Header=BB287_2083 Depth=1
	v_cmp_ne_u16_sdwa s12, v5, v48 src0_sel:BYTE_0 src1_sel:DWORD
	v_mov_b32_e32 v16, 0x8000
	s_and_saveexec_b32 s27, s12
	s_cbranch_execz .LBB287_2569
; %bb.2564:                             ;   in Loop: Header=BB287_2083 Depth=1
	v_bfe_u32 v19, v13, 16, 7
	v_mov_b32_e32 v16, 0x7c01
	s_mov_b32 s28, exec_lo
	v_cmpx_ne_u32_e32 0x7f, v19
	s_cbranch_execz .LBB287_2568
; %bb.2565:                             ;   in Loop: Header=BB287_2083 Depth=1
	v_and_b32_e32 v16, 7, v5
	v_lshrrev_b32_e32 v18, 3, v19
	s_mov_b32 s29, exec_lo
	v_cmpx_gt_u32_e32 8, v19
; %bb.2566:                             ;   in Loop: Header=BB287_2083 Depth=1
	v_ffbh_u32_e32 v3, v16
	v_min_u32_e32 v3, 32, v3
	v_subrev_nc_u32_e32 v4, 28, v3
	v_sub_nc_u32_e32 v18, 29, v3
	v_lshlrev_b64 v[31:32], v4, v[5:6]
	v_and_b32_e32 v16, 7, v31
; %bb.2567:                             ;   in Loop: Header=BB287_2083 Depth=1
	s_or_b32 exec_lo, exec_lo, s29
	v_lshlrev_b32_e32 v3, 8, v5
	v_lshl_add_u32 v4, v18, 10, 0x2000
	v_lshlrev_b32_e32 v5, 7, v16
	v_and_b32_e32 v3, 0x8000, v3
	v_and_b32_e32 v4, 0xfc00, v4
	v_or3_b32 v16, v3, v4, v5
.LBB287_2568:                           ;   in Loop: Header=BB287_2083 Depth=1
	s_or_b32 exec_lo, exec_lo, s28
.LBB287_2569:                           ;   in Loop: Header=BB287_2083 Depth=1
	s_or_b32 exec_lo, exec_lo, s27
.LBB287_2570:                           ;   in Loop: Header=BB287_2083 Depth=1
	s_or_b32 exec_lo, exec_lo, s26
	s_mov_b32 s26, exec_lo
	v_cmpx_lt_u32_e32 0xffffff, v13
	s_cbranch_execz .LBB287_2578
; %bb.2571:                             ;   in Loop: Header=BB287_2083 Depth=1
	v_lshrrev_b32_e32 v5, 24, v13
	v_bfrev_b32_e32 v15, 1
	s_mov_b32 s27, exec_lo
	v_cmpx_ne_u32_e32 0x80, v5
	s_cbranch_execz .LBB287_2577
; %bb.2572:                             ;   in Loop: Header=BB287_2083 Depth=1
	v_and_b32_e32 v19, 0x7f, v5
	v_mov_b32_e32 v15, 0x7c010000
	s_mov_b32 s28, exec_lo
	v_cmpx_ne_u32_e32 0x7f, v19
	s_cbranch_execz .LBB287_2576
; %bb.2573:                             ;   in Loop: Header=BB287_2083 Depth=1
	v_and_b32_e32 v15, 7, v5
	v_lshrrev_b32_e32 v18, 3, v19
	s_mov_b32 s29, exec_lo
	v_cmpx_gt_u32_e32 8, v19
; %bb.2574:                             ;   in Loop: Header=BB287_2083 Depth=1
	v_ffbh_u32_e32 v3, v15
	v_min_u32_e32 v3, 32, v3
	v_subrev_nc_u32_e32 v4, 28, v3
	v_sub_nc_u32_e32 v18, 29, v3
	v_lshlrev_b64 v[31:32], v4, v[5:6]
	v_and_b32_e32 v15, 7, v31
; %bb.2575:                             ;   in Loop: Header=BB287_2083 Depth=1
	s_or_b32 exec_lo, exec_lo, s29
	v_lshlrev_b32_e32 v3, 8, v5
	v_lshl_add_u32 v4, v18, 10, 0x2000
	v_and_or_b32 v3, 0x8000, v3, v4
	v_lshlrev_b32_e32 v4, 23, v15
	v_lshl_or_b32 v15, v3, 16, v4
.LBB287_2576:                           ;   in Loop: Header=BB287_2083 Depth=1
	s_or_b32 exec_lo, exec_lo, s28
.LBB287_2577:                           ;   in Loop: Header=BB287_2083 Depth=1
	s_or_b32 exec_lo, exec_lo, s27
.LBB287_2578:                           ;   in Loop: Header=BB287_2083 Depth=1
	s_or_b32 exec_lo, exec_lo, s26
	v_mov_b32_e32 v5, v14
	v_cmp_ne_u16_sdwa s12, v14, v6 src0_sel:BYTE_0 src1_sel:DWORD
	v_mov_b32_e32 v18, 0
	v_mov_b32_e32 v19, 0
	s_and_saveexec_b32 s26, s12
	s_cbranch_execz .LBB287_2586
; %bb.2579:                             ;   in Loop: Header=BB287_2083 Depth=1
	v_cmp_ne_u16_sdwa s12, v14, v48 src0_sel:BYTE_0 src1_sel:DWORD
	v_mov_b32_e32 v19, 0x8000
	s_and_saveexec_b32 s27, s12
	s_cbranch_execz .LBB287_2585
; %bb.2580:                             ;   in Loop: Header=BB287_2083 Depth=1
	v_and_b32_e32 v32, 0x7f, v14
	v_mov_b32_e32 v19, 0x7c01
	s_mov_b32 s28, exec_lo
	v_cmpx_ne_u32_e32 0x7f, v32
	s_cbranch_execz .LBB287_2584
; %bb.2581:                             ;   in Loop: Header=BB287_2083 Depth=1
	v_and_b32_e32 v19, 7, v14
	v_lshrrev_b32_e32 v31, 3, v32
	s_mov_b32 s29, exec_lo
	v_cmpx_gt_u32_e32 8, v32
; %bb.2582:                             ;   in Loop: Header=BB287_2083 Depth=1
	v_ffbh_u32_e32 v3, v19
	v_min_u32_e32 v3, 32, v3
	v_subrev_nc_u32_e32 v4, 28, v3
	v_sub_nc_u32_e32 v31, 29, v3
	v_lshlrev_b64 v[36:37], v4, v[5:6]
	v_and_b32_e32 v19, 7, v36
; %bb.2583:                             ;   in Loop: Header=BB287_2083 Depth=1
	s_or_b32 exec_lo, exec_lo, s29
	v_lshlrev_b32_e32 v3, 8, v14
	v_lshl_add_u32 v4, v31, 10, 0x2000
	v_lshlrev_b32_e32 v19, 7, v19
	v_and_b32_e32 v3, 0x8000, v3
	v_and_b32_e32 v4, 0xfc00, v4
	v_or3_b32 v19, v3, v4, v19
.LBB287_2584:                           ;   in Loop: Header=BB287_2083 Depth=1
	s_or_b32 exec_lo, exec_lo, s28
.LBB287_2585:                           ;   in Loop: Header=BB287_2083 Depth=1
	s_or_b32 exec_lo, exec_lo, s27
.LBB287_2586:                           ;   in Loop: Header=BB287_2083 Depth=1
	s_or_b32 exec_lo, exec_lo, s26
	v_lshrrev_b16 v5, 8, v5
	v_mov_b32_e32 v31, 0
	s_mov_b32 s26, exec_lo
	v_cmpx_ne_u16_e32 0, v5
	s_cbranch_execz .LBB287_2594
; %bb.2587:                             ;   in Loop: Header=BB287_2083 Depth=1
	v_bfrev_b32_e32 v31, 1
	s_mov_b32 s27, exec_lo
	v_cmpx_ne_u16_e32 0x80, v5
	s_cbranch_execz .LBB287_2593
; %bb.2588:                             ;   in Loop: Header=BB287_2083 Depth=1
	v_and_b32_sdwa v36, v5, v49 dst_sel:DWORD dst_unused:UNUSED_PAD src0_sel:WORD_0 src1_sel:DWORD
	v_mov_b32_e32 v31, 0x7c010000
	s_mov_b32 s28, exec_lo
	v_cmpx_ne_u32_e32 0x7f, v36
	s_cbranch_execz .LBB287_2592
; %bb.2589:                             ;   in Loop: Header=BB287_2083 Depth=1
	v_and_b32_sdwa v31, v5, v50 dst_sel:DWORD dst_unused:UNUSED_PAD src0_sel:WORD_0 src1_sel:DWORD
	v_lshrrev_b32_e32 v32, 3, v36
	s_mov_b32 s29, exec_lo
	v_cmpx_gt_u32_e32 8, v36
; %bb.2590:                             ;   in Loop: Header=BB287_2083 Depth=1
	v_ffbh_u32_e32 v3, v31
	v_min_u32_e32 v3, 32, v3
	v_subrev_nc_u32_e32 v4, 28, v3
	v_lshlrev_b64 v[31:32], v4, v[5:6]
	v_sub_nc_u32_e32 v32, 29, v3
	v_and_b32_e32 v31, 7, v31
; %bb.2591:                             ;   in Loop: Header=BB287_2083 Depth=1
	s_or_b32 exec_lo, exec_lo, s29
	v_lshlrev_b32_sdwa v3, v100, v5 dst_sel:DWORD dst_unused:UNUSED_PAD src0_sel:DWORD src1_sel:WORD_0
	v_lshl_add_u32 v4, v32, 10, 0x2000
	v_and_or_b32 v3, 0x8000, v3, v4
	v_lshlrev_b32_e32 v4, 23, v31
	v_lshl_or_b32 v31, v3, 16, v4
.LBB287_2592:                           ;   in Loop: Header=BB287_2083 Depth=1
	s_or_b32 exec_lo, exec_lo, s28
.LBB287_2593:                           ;   in Loop: Header=BB287_2083 Depth=1
	s_or_b32 exec_lo, exec_lo, s27
.LBB287_2594:                           ;   in Loop: Header=BB287_2083 Depth=1
	s_or_b32 exec_lo, exec_lo, s26
	v_lshrrev_b32_e32 v5, 16, v14
	v_cmp_ne_u16_sdwa s12, v5, v6 src0_sel:BYTE_0 src1_sel:DWORD
	s_and_saveexec_b32 s26, s12
	s_cbranch_execz .LBB287_2602
; %bb.2595:                             ;   in Loop: Header=BB287_2083 Depth=1
	v_cmp_ne_u16_sdwa s12, v5, v48 src0_sel:BYTE_0 src1_sel:DWORD
	v_mov_b32_e32 v18, 0x8000
	s_and_saveexec_b32 s27, s12
	s_cbranch_execz .LBB287_2601
; %bb.2596:                             ;   in Loop: Header=BB287_2083 Depth=1
	v_bfe_u32 v36, v14, 16, 7
	v_mov_b32_e32 v18, 0x7c01
	s_mov_b32 s28, exec_lo
	v_cmpx_ne_u32_e32 0x7f, v36
	s_cbranch_execz .LBB287_2600
; %bb.2597:                             ;   in Loop: Header=BB287_2083 Depth=1
	v_and_b32_e32 v18, 7, v5
	v_lshrrev_b32_e32 v32, 3, v36
	s_mov_b32 s29, exec_lo
	v_cmpx_gt_u32_e32 8, v36
; %bb.2598:                             ;   in Loop: Header=BB287_2083 Depth=1
	v_ffbh_u32_e32 v3, v18
	v_min_u32_e32 v3, 32, v3
	v_subrev_nc_u32_e32 v4, 28, v3
	v_sub_nc_u32_e32 v32, 29, v3
	v_lshlrev_b64 v[36:37], v4, v[5:6]
	v_and_b32_e32 v18, 7, v36
; %bb.2599:                             ;   in Loop: Header=BB287_2083 Depth=1
	s_or_b32 exec_lo, exec_lo, s29
	v_lshlrev_b32_e32 v3, 8, v5
	v_lshl_add_u32 v4, v32, 10, 0x2000
	v_lshlrev_b32_e32 v5, 7, v18
	v_and_b32_e32 v3, 0x8000, v3
	v_and_b32_e32 v4, 0xfc00, v4
	v_or3_b32 v18, v3, v4, v5
.LBB287_2600:                           ;   in Loop: Header=BB287_2083 Depth=1
	s_or_b32 exec_lo, exec_lo, s28
.LBB287_2601:                           ;   in Loop: Header=BB287_2083 Depth=1
	s_or_b32 exec_lo, exec_lo, s27
.LBB287_2602:                           ;   in Loop: Header=BB287_2083 Depth=1
	s_or_b32 exec_lo, exec_lo, s26
	v_cmp_lt_u64_e64 s12, s[22:23], v[13:14]
	v_mov_b32_e32 v13, 0
	s_and_saveexec_b32 s26, s12
	s_cbranch_execz .LBB287_2610
; %bb.2603:                             ;   in Loop: Header=BB287_2083 Depth=1
	v_lshrrev_b32_e32 v5, 24, v14
	v_bfrev_b32_e32 v13, 1
	s_mov_b32 s27, exec_lo
	v_cmpx_ne_u32_e32 0x80, v5
	s_cbranch_execz .LBB287_2609
; %bb.2604:                             ;   in Loop: Header=BB287_2083 Depth=1
	v_and_b32_e32 v32, 0x7f, v5
	v_mov_b32_e32 v13, 0x7c010000
	s_mov_b32 s28, exec_lo
	v_cmpx_ne_u32_e32 0x7f, v32
	s_cbranch_execz .LBB287_2608
; %bb.2605:                             ;   in Loop: Header=BB287_2083 Depth=1
	v_and_b32_e32 v13, 7, v5
	v_lshrrev_b32_e32 v14, 3, v32
	s_mov_b32 s29, exec_lo
	v_cmpx_gt_u32_e32 8, v32
; %bb.2606:                             ;   in Loop: Header=BB287_2083 Depth=1
	v_ffbh_u32_e32 v3, v13
	v_min_u32_e32 v3, 32, v3
	v_subrev_nc_u32_e32 v4, 28, v3
	v_lshlrev_b64 v[13:14], v4, v[5:6]
	v_sub_nc_u32_e32 v14, 29, v3
	v_and_b32_e32 v13, 7, v13
; %bb.2607:                             ;   in Loop: Header=BB287_2083 Depth=1
	s_or_b32 exec_lo, exec_lo, s29
	v_lshlrev_b32_e32 v3, 8, v5
	v_lshl_add_u32 v4, v14, 10, 0x2000
	v_and_or_b32 v3, 0x8000, v3, v4
	v_lshlrev_b32_e32 v4, 23, v13
	v_lshl_or_b32 v13, v3, 16, v4
.LBB287_2608:                           ;   in Loop: Header=BB287_2083 Depth=1
	s_or_b32 exec_lo, exec_lo, s28
.LBB287_2609:                           ;   in Loop: Header=BB287_2083 Depth=1
	s_or_b32 exec_lo, exec_lo, s27
.LBB287_2610:                           ;   in Loop: Header=BB287_2083 Depth=1
	s_or_b32 exec_lo, exec_lo, s26
	v_or_b32_e32 v3, v15, v16
	s_waitcnt vmcnt(0) lgkmcnt(0)
	v_fma_mixlo_f16 v4, v0, v15, 0 op_sel:[0,1,0] op_sel_hi:[0,1,0]
	v_or_b32_e32 v2, v1, v2
	v_or_b32_e32 v14, v31, v19
	;; [unrolled: 1-line block ×3, first 2 shown]
	v_fma_mixlo_f16 v3, v0, v3, 0 op_sel_hi:[0,1,0]
	v_fma_mixlo_f16 v5, v0, v1, 0 op_sel:[0,1,0] op_sel_hi:[0,1,0]
	v_lshlrev_b32_e32 v1, 16, v4
	v_fma_mixlo_f16 v4, v0, v2, 0 op_sel_hi:[0,1,0]
	v_fma_mixlo_f16 v14, v0, v14, 0 op_sel_hi:[0,1,0]
	v_and_b32_e32 v2, 0xffff, v3
	v_fma_mixlo_f16 v3, v0, v31, 0 op_sel:[0,1,0] op_sel_hi:[0,1,0]
	v_fma_mixlo_f16 v13, v0, v13, 0 op_sel:[0,1,0] op_sel_hi:[0,1,0]
	v_fma_mixlo_f16 v0, v0, v15, 0 op_sel_hi:[0,1,0]
	v_lshlrev_b32_e32 v5, 16, v5
	v_and_b32_e32 v32, 0xffff, v4
	v_lshlrev_b32_e32 v18, 16, v3
	v_and_b32_e32 v31, 0xffff, v14
	;; [unrolled: 2-line block ×3, first 2 shown]
	v_or_b32_e32 v0, v1, v2
	v_or_b32_e32 v15, v5, v32
	v_or_b32_e32 v14, v18, v31
	v_or_b32_e32 v13, v16, v19
	s_and_saveexec_b32 s12, s4
	s_cbranch_execz .LBB287_2612
; %bb.2611:                             ;   in Loop: Header=BB287_2083 Depth=1
	v_cndmask_b32_e32 v0, 0, v32, vcc_lo
	v_cndmask_b32_e64 v3, 0, v5, s7
	v_cndmask_b32_e64 v2, 0, v2, s5
	;; [unrolled: 1-line block ×7, first 2 shown]
	v_or_b32_e32 v15, v0, v3
	v_or_b32_e32 v0, v2, v1
	;; [unrolled: 1-line block ×4, first 2 shown]
.LBB287_2612:                           ;   in Loop: Header=BB287_2083 Depth=1
	s_or_b32 exec_lo, exec_lo, s12
	;;#ASMSTART
	v_pk_mul_f16 v1, v40, v15;

	;;#ASMEND
	;;#ASMSTART
	v_pk_mul_f16 v0, v119, v0;

	;;#ASMEND
	;; [unrolled: 4-line block ×4, first 2 shown]
	v_add_co_u32 v13, s12, 0x800, v11
	v_add_co_ci_u32_e64 v14, null, 0, v12, s12
	;;#ASMSTART
	v_pk_add_f16 v0, v1, v0;

	;;#ASMEND
	;;#ASMSTART
	v_pk_add_f16 v0, v0, v2;

	;;#ASMEND
	;; [unrolled: 4-line block ×3, first 2 shown]
	v_lshrrev_b32_e32 v1, 16, v0
	v_and_b32_e32 v0, 0xffff, v0
	;;#ASMSTART
	v_cvt_f32_f16 v19, v0;
	;;#ASMEND
	;;#ASMSTART
	v_cvt_f32_f16 v62, v1;
	;;#ASMEND
	flat_load_dwordx2 v[15:16], v[13:14]
	flat_load_dword v0, v[22:23]
	v_mov_b32_e32 v1, 0
	v_mov_b32_e32 v2, 0
	s_waitcnt vmcnt(1) lgkmcnt(1)
	v_cmp_ne_u16_sdwa s12, v15, v6 src0_sel:BYTE_0 src1_sel:DWORD
	s_and_saveexec_b32 s26, s12
	s_cbranch_execz .LBB287_2620
; %bb.2613:                             ;   in Loop: Header=BB287_2083 Depth=1
	v_cmp_ne_u16_sdwa s12, v15, v48 src0_sel:BYTE_0 src1_sel:DWORD
	v_mov_b32_e32 v2, 0x8000
	s_and_saveexec_b32 s27, s12
	s_cbranch_execz .LBB287_2619
; %bb.2614:                             ;   in Loop: Header=BB287_2083 Depth=1
	v_and_b32_e32 v18, 0x7f, v15
	v_mov_b32_e32 v2, 0x7c01
	s_mov_b32 s28, exec_lo
	v_cmpx_ne_u32_e32 0x7f, v18
	s_cbranch_execz .LBB287_2618
; %bb.2615:                             ;   in Loop: Header=BB287_2083 Depth=1
	v_and_b32_e32 v2, 7, v15
	v_lshrrev_b32_e32 v5, 3, v18
	s_mov_b32 s29, exec_lo
	v_cmpx_gt_u32_e32 8, v18
; %bb.2616:                             ;   in Loop: Header=BB287_2083 Depth=1
	v_ffbh_u32_e32 v2, v2
	v_min_u32_e32 v2, 32, v2
	v_subrev_nc_u32_e32 v3, 28, v2
	v_sub_nc_u32_e32 v5, 29, v2
	v_lshlrev_b64 v[31:32], v3, v[15:16]
	v_and_b32_e32 v2, 7, v31
; %bb.2617:                             ;   in Loop: Header=BB287_2083 Depth=1
	s_or_b32 exec_lo, exec_lo, s29
	v_lshlrev_b32_e32 v3, 8, v15
	v_lshl_add_u32 v4, v5, 10, 0x2000
	v_lshlrev_b32_e32 v2, 7, v2
	v_and_b32_e32 v3, 0x8000, v3
	v_and_b32_e32 v4, 0xfc00, v4
	v_or3_b32 v2, v3, v4, v2
.LBB287_2618:                           ;   in Loop: Header=BB287_2083 Depth=1
	s_or_b32 exec_lo, exec_lo, s28
.LBB287_2619:                           ;   in Loop: Header=BB287_2083 Depth=1
	s_or_b32 exec_lo, exec_lo, s27
.LBB287_2620:                           ;   in Loop: Header=BB287_2083 Depth=1
	s_or_b32 exec_lo, exec_lo, s26
	v_lshrrev_b16 v5, 8, v15
	s_mov_b32 s26, exec_lo
	v_cmpx_ne_u16_e32 0, v5
	s_cbranch_execz .LBB287_2628
; %bb.2621:                             ;   in Loop: Header=BB287_2083 Depth=1
	v_bfrev_b32_e32 v1, 1
	s_mov_b32 s27, exec_lo
	v_cmpx_ne_u16_e32 0x80, v5
	s_cbranch_execz .LBB287_2627
; %bb.2622:                             ;   in Loop: Header=BB287_2083 Depth=1
	v_and_b32_sdwa v31, v5, v49 dst_sel:DWORD dst_unused:UNUSED_PAD src0_sel:WORD_0 src1_sel:DWORD
	v_mov_b32_e32 v1, 0x7c010000
	s_mov_b32 s28, exec_lo
	v_cmpx_ne_u32_e32 0x7f, v31
	s_cbranch_execz .LBB287_2626
; %bb.2623:                             ;   in Loop: Header=BB287_2083 Depth=1
	v_and_b32_sdwa v1, v5, v50 dst_sel:DWORD dst_unused:UNUSED_PAD src0_sel:WORD_0 src1_sel:DWORD
	v_lshrrev_b32_e32 v18, 3, v31
	s_mov_b32 s29, exec_lo
	v_cmpx_gt_u32_e32 8, v31
; %bb.2624:                             ;   in Loop: Header=BB287_2083 Depth=1
	v_ffbh_u32_e32 v1, v1
	v_min_u32_e32 v1, 32, v1
	v_subrev_nc_u32_e32 v3, 28, v1
	v_sub_nc_u32_e32 v18, 29, v1
	v_lshlrev_b64 v[31:32], v3, v[5:6]
	v_and_b32_e32 v1, 7, v31
; %bb.2625:                             ;   in Loop: Header=BB287_2083 Depth=1
	s_or_b32 exec_lo, exec_lo, s29
	v_lshlrev_b32_sdwa v3, v100, v5 dst_sel:DWORD dst_unused:UNUSED_PAD src0_sel:DWORD src1_sel:WORD_0
	v_lshl_add_u32 v4, v18, 10, 0x2000
	v_lshlrev_b32_e32 v1, 23, v1
	v_and_or_b32 v3, 0x8000, v3, v4
	v_lshl_or_b32 v1, v3, 16, v1
.LBB287_2626:                           ;   in Loop: Header=BB287_2083 Depth=1
	s_or_b32 exec_lo, exec_lo, s28
.LBB287_2627:                           ;   in Loop: Header=BB287_2083 Depth=1
	s_or_b32 exec_lo, exec_lo, s27
.LBB287_2628:                           ;   in Loop: Header=BB287_2083 Depth=1
	s_or_b32 exec_lo, exec_lo, s26
	v_lshrrev_b32_e32 v5, 16, v15
	v_mov_b32_e32 v18, 0
	v_mov_b32_e32 v31, 0
	v_cmp_ne_u16_sdwa s12, v5, v6 src0_sel:BYTE_0 src1_sel:DWORD
	s_and_saveexec_b32 s26, s12
	s_cbranch_execz .LBB287_2636
; %bb.2629:                             ;   in Loop: Header=BB287_2083 Depth=1
	v_cmp_ne_u16_sdwa s12, v5, v48 src0_sel:BYTE_0 src1_sel:DWORD
	v_mov_b32_e32 v31, 0x8000
	s_and_saveexec_b32 s27, s12
	s_cbranch_execz .LBB287_2635
; %bb.2630:                             ;   in Loop: Header=BB287_2083 Depth=1
	v_bfe_u32 v36, v15, 16, 7
	v_mov_b32_e32 v31, 0x7c01
	s_mov_b32 s28, exec_lo
	v_cmpx_ne_u32_e32 0x7f, v36
	s_cbranch_execz .LBB287_2634
; %bb.2631:                             ;   in Loop: Header=BB287_2083 Depth=1
	v_and_b32_e32 v31, 7, v5
	v_lshrrev_b32_e32 v32, 3, v36
	s_mov_b32 s29, exec_lo
	v_cmpx_gt_u32_e32 8, v36
; %bb.2632:                             ;   in Loop: Header=BB287_2083 Depth=1
	v_ffbh_u32_e32 v3, v31
	v_min_u32_e32 v3, 32, v3
	v_subrev_nc_u32_e32 v4, 28, v3
	v_lshlrev_b64 v[31:32], v4, v[5:6]
	v_sub_nc_u32_e32 v32, 29, v3
	v_and_b32_e32 v31, 7, v31
; %bb.2633:                             ;   in Loop: Header=BB287_2083 Depth=1
	s_or_b32 exec_lo, exec_lo, s29
	v_lshlrev_b32_e32 v3, 8, v5
	v_lshl_add_u32 v4, v32, 10, 0x2000
	v_lshlrev_b32_e32 v5, 7, v31
	v_and_b32_e32 v3, 0x8000, v3
	v_and_b32_e32 v4, 0xfc00, v4
	v_or3_b32 v31, v3, v4, v5
.LBB287_2634:                           ;   in Loop: Header=BB287_2083 Depth=1
	s_or_b32 exec_lo, exec_lo, s28
.LBB287_2635:                           ;   in Loop: Header=BB287_2083 Depth=1
	s_or_b32 exec_lo, exec_lo, s27
.LBB287_2636:                           ;   in Loop: Header=BB287_2083 Depth=1
	s_or_b32 exec_lo, exec_lo, s26
	s_mov_b32 s26, exec_lo
	v_cmpx_lt_u32_e32 0xffffff, v15
	s_cbranch_execz .LBB287_2644
; %bb.2637:                             ;   in Loop: Header=BB287_2083 Depth=1
	v_lshrrev_b32_e32 v5, 24, v15
	v_bfrev_b32_e32 v18, 1
	s_mov_b32 s27, exec_lo
	v_cmpx_ne_u32_e32 0x80, v5
	s_cbranch_execz .LBB287_2643
; %bb.2638:                             ;   in Loop: Header=BB287_2083 Depth=1
	v_and_b32_e32 v36, 0x7f, v5
	v_mov_b32_e32 v18, 0x7c010000
	s_mov_b32 s28, exec_lo
	v_cmpx_ne_u32_e32 0x7f, v36
	s_cbranch_execz .LBB287_2642
; %bb.2639:                             ;   in Loop: Header=BB287_2083 Depth=1
	v_and_b32_e32 v18, 7, v5
	v_lshrrev_b32_e32 v32, 3, v36
	s_mov_b32 s29, exec_lo
	v_cmpx_gt_u32_e32 8, v36
; %bb.2640:                             ;   in Loop: Header=BB287_2083 Depth=1
	v_ffbh_u32_e32 v3, v18
	v_min_u32_e32 v3, 32, v3
	v_subrev_nc_u32_e32 v4, 28, v3
	v_sub_nc_u32_e32 v32, 29, v3
	v_lshlrev_b64 v[36:37], v4, v[5:6]
	v_and_b32_e32 v18, 7, v36
; %bb.2641:                             ;   in Loop: Header=BB287_2083 Depth=1
	s_or_b32 exec_lo, exec_lo, s29
	v_lshlrev_b32_e32 v3, 8, v5
	v_lshl_add_u32 v4, v32, 10, 0x2000
	v_and_or_b32 v3, 0x8000, v3, v4
	v_lshlrev_b32_e32 v4, 23, v18
	v_lshl_or_b32 v18, v3, 16, v4
.LBB287_2642:                           ;   in Loop: Header=BB287_2083 Depth=1
	s_or_b32 exec_lo, exec_lo, s28
.LBB287_2643:                           ;   in Loop: Header=BB287_2083 Depth=1
	s_or_b32 exec_lo, exec_lo, s27
.LBB287_2644:                           ;   in Loop: Header=BB287_2083 Depth=1
	s_or_b32 exec_lo, exec_lo, s26
	v_mov_b32_e32 v5, v16
	v_cmp_ne_u16_sdwa s12, v16, v6 src0_sel:BYTE_0 src1_sel:DWORD
	v_mov_b32_e32 v32, 0
	v_mov_b32_e32 v36, 0
	s_and_saveexec_b32 s26, s12
	s_cbranch_execz .LBB287_2652
; %bb.2645:                             ;   in Loop: Header=BB287_2083 Depth=1
	v_cmp_ne_u16_sdwa s12, v16, v48 src0_sel:BYTE_0 src1_sel:DWORD
	v_mov_b32_e32 v36, 0x8000
	s_and_saveexec_b32 s27, s12
	s_cbranch_execz .LBB287_2651
; %bb.2646:                             ;   in Loop: Header=BB287_2083 Depth=1
	v_and_b32_e32 v38, 0x7f, v16
	v_mov_b32_e32 v36, 0x7c01
	s_mov_b32 s28, exec_lo
	v_cmpx_ne_u32_e32 0x7f, v38
	s_cbranch_execz .LBB287_2650
; %bb.2647:                             ;   in Loop: Header=BB287_2083 Depth=1
	v_and_b32_e32 v36, 7, v16
	v_lshrrev_b32_e32 v37, 3, v38
	s_mov_b32 s29, exec_lo
	v_cmpx_gt_u32_e32 8, v38
; %bb.2648:                             ;   in Loop: Header=BB287_2083 Depth=1
	v_ffbh_u32_e32 v3, v36
	v_min_u32_e32 v3, 32, v3
	v_subrev_nc_u32_e32 v4, 28, v3
	v_lshlrev_b64 v[36:37], v4, v[5:6]
	v_sub_nc_u32_e32 v37, 29, v3
	v_and_b32_e32 v36, 7, v36
; %bb.2649:                             ;   in Loop: Header=BB287_2083 Depth=1
	s_or_b32 exec_lo, exec_lo, s29
	v_lshlrev_b32_e32 v3, 8, v16
	v_lshl_add_u32 v4, v37, 10, 0x2000
	v_lshlrev_b32_e32 v36, 7, v36
	v_and_b32_e32 v3, 0x8000, v3
	v_and_b32_e32 v4, 0xfc00, v4
	v_or3_b32 v36, v3, v4, v36
.LBB287_2650:                           ;   in Loop: Header=BB287_2083 Depth=1
	s_or_b32 exec_lo, exec_lo, s28
.LBB287_2651:                           ;   in Loop: Header=BB287_2083 Depth=1
	s_or_b32 exec_lo, exec_lo, s27
.LBB287_2652:                           ;   in Loop: Header=BB287_2083 Depth=1
	s_or_b32 exec_lo, exec_lo, s26
	v_lshrrev_b16 v5, 8, v5
	v_mov_b32_e32 v37, 0
	s_mov_b32 s26, exec_lo
	v_cmpx_ne_u16_e32 0, v5
	s_cbranch_execz .LBB287_2660
; %bb.2653:                             ;   in Loop: Header=BB287_2083 Depth=1
	v_bfrev_b32_e32 v37, 1
	s_mov_b32 s27, exec_lo
	v_cmpx_ne_u16_e32 0x80, v5
	s_cbranch_execz .LBB287_2659
; %bb.2654:                             ;   in Loop: Header=BB287_2083 Depth=1
	v_and_b32_sdwa v39, v5, v49 dst_sel:DWORD dst_unused:UNUSED_PAD src0_sel:WORD_0 src1_sel:DWORD
	v_mov_b32_e32 v37, 0x7c010000
	s_mov_b32 s28, exec_lo
	v_cmpx_ne_u32_e32 0x7f, v39
	s_cbranch_execz .LBB287_2658
; %bb.2655:                             ;   in Loop: Header=BB287_2083 Depth=1
	v_and_b32_sdwa v37, v5, v50 dst_sel:DWORD dst_unused:UNUSED_PAD src0_sel:WORD_0 src1_sel:DWORD
	v_lshrrev_b32_e32 v38, 3, v39
	s_mov_b32 s29, exec_lo
	v_cmpx_gt_u32_e32 8, v39
; %bb.2656:                             ;   in Loop: Header=BB287_2083 Depth=1
	v_ffbh_u32_e32 v3, v37
	v_min_u32_e32 v3, 32, v3
	v_subrev_nc_u32_e32 v4, 28, v3
	v_lshlrev_b64 v[37:38], v4, v[5:6]
	v_sub_nc_u32_e32 v38, 29, v3
	v_and_b32_e32 v37, 7, v37
; %bb.2657:                             ;   in Loop: Header=BB287_2083 Depth=1
	s_or_b32 exec_lo, exec_lo, s29
	v_lshlrev_b32_sdwa v3, v100, v5 dst_sel:DWORD dst_unused:UNUSED_PAD src0_sel:DWORD src1_sel:WORD_0
	v_lshl_add_u32 v4, v38, 10, 0x2000
	v_and_or_b32 v3, 0x8000, v3, v4
	v_lshlrev_b32_e32 v4, 23, v37
	v_lshl_or_b32 v37, v3, 16, v4
.LBB287_2658:                           ;   in Loop: Header=BB287_2083 Depth=1
	s_or_b32 exec_lo, exec_lo, s28
.LBB287_2659:                           ;   in Loop: Header=BB287_2083 Depth=1
	s_or_b32 exec_lo, exec_lo, s27
.LBB287_2660:                           ;   in Loop: Header=BB287_2083 Depth=1
	s_or_b32 exec_lo, exec_lo, s26
	v_lshrrev_b32_e32 v5, 16, v16
	v_cmp_ne_u16_sdwa s12, v5, v6 src0_sel:BYTE_0 src1_sel:DWORD
	s_and_saveexec_b32 s26, s12
	s_cbranch_execz .LBB287_2668
; %bb.2661:                             ;   in Loop: Header=BB287_2083 Depth=1
	v_cmp_ne_u16_sdwa s12, v5, v48 src0_sel:BYTE_0 src1_sel:DWORD
	v_mov_b32_e32 v32, 0x8000
	s_and_saveexec_b32 s27, s12
	s_cbranch_execz .LBB287_2667
; %bb.2662:                             ;   in Loop: Header=BB287_2083 Depth=1
	v_bfe_u32 v39, v16, 16, 7
	v_mov_b32_e32 v32, 0x7c01
	s_mov_b32 s28, exec_lo
	v_cmpx_ne_u32_e32 0x7f, v39
	s_cbranch_execz .LBB287_2666
; %bb.2663:                             ;   in Loop: Header=BB287_2083 Depth=1
	v_and_b32_e32 v32, 7, v5
	v_lshrrev_b32_e32 v38, 3, v39
	s_mov_b32 s29, exec_lo
	v_cmpx_gt_u32_e32 8, v39
; %bb.2664:                             ;   in Loop: Header=BB287_2083 Depth=1
	v_ffbh_u32_e32 v3, v32
	v_min_u32_e32 v3, 32, v3
	v_subrev_nc_u32_e32 v4, 28, v3
	v_sub_nc_u32_e32 v38, 29, v3
	v_lshlrev_b64 v[101:102], v4, v[5:6]
	v_and_b32_e32 v32, 7, v101
; %bb.2665:                             ;   in Loop: Header=BB287_2083 Depth=1
	s_or_b32 exec_lo, exec_lo, s29
	v_lshlrev_b32_e32 v3, 8, v5
	v_lshl_add_u32 v4, v38, 10, 0x2000
	v_lshlrev_b32_e32 v5, 7, v32
	v_and_b32_e32 v3, 0x8000, v3
	v_and_b32_e32 v4, 0xfc00, v4
	v_or3_b32 v32, v3, v4, v5
.LBB287_2666:                           ;   in Loop: Header=BB287_2083 Depth=1
	s_or_b32 exec_lo, exec_lo, s28
.LBB287_2667:                           ;   in Loop: Header=BB287_2083 Depth=1
	s_or_b32 exec_lo, exec_lo, s27
.LBB287_2668:                           ;   in Loop: Header=BB287_2083 Depth=1
	s_or_b32 exec_lo, exec_lo, s26
	v_cmp_lt_u64_e64 s12, s[22:23], v[15:16]
	v_mov_b32_e32 v15, 0
	s_and_saveexec_b32 s26, s12
	s_cbranch_execz .LBB287_2676
; %bb.2669:                             ;   in Loop: Header=BB287_2083 Depth=1
	v_lshrrev_b32_e32 v5, 24, v16
	v_bfrev_b32_e32 v15, 1
	s_mov_b32 s27, exec_lo
	v_cmpx_ne_u32_e32 0x80, v5
	s_cbranch_execz .LBB287_2675
; %bb.2670:                             ;   in Loop: Header=BB287_2083 Depth=1
	v_and_b32_e32 v38, 0x7f, v5
	v_mov_b32_e32 v15, 0x7c010000
	s_mov_b32 s28, exec_lo
	v_cmpx_ne_u32_e32 0x7f, v38
	s_cbranch_execz .LBB287_2674
; %bb.2671:                             ;   in Loop: Header=BB287_2083 Depth=1
	v_and_b32_e32 v15, 7, v5
	v_lshrrev_b32_e32 v16, 3, v38
	s_mov_b32 s29, exec_lo
	v_cmpx_gt_u32_e32 8, v38
; %bb.2672:                             ;   in Loop: Header=BB287_2083 Depth=1
	v_ffbh_u32_e32 v3, v15
	v_min_u32_e32 v3, 32, v3
	v_subrev_nc_u32_e32 v4, 28, v3
	v_lshlrev_b64 v[15:16], v4, v[5:6]
	v_sub_nc_u32_e32 v16, 29, v3
	v_and_b32_e32 v15, 7, v15
; %bb.2673:                             ;   in Loop: Header=BB287_2083 Depth=1
	s_or_b32 exec_lo, exec_lo, s29
	v_lshlrev_b32_e32 v3, 8, v5
	v_lshl_add_u32 v4, v16, 10, 0x2000
	v_and_or_b32 v3, 0x8000, v3, v4
	v_lshlrev_b32_e32 v4, 23, v15
	v_lshl_or_b32 v15, v3, 16, v4
.LBB287_2674:                           ;   in Loop: Header=BB287_2083 Depth=1
	s_or_b32 exec_lo, exec_lo, s28
.LBB287_2675:                           ;   in Loop: Header=BB287_2083 Depth=1
	s_or_b32 exec_lo, exec_lo, s27
.LBB287_2676:                           ;   in Loop: Header=BB287_2083 Depth=1
	s_or_b32 exec_lo, exec_lo, s26
	v_or_b32_e32 v3, v18, v31
	s_waitcnt vmcnt(0) lgkmcnt(0)
	v_fma_mixlo_f16 v4, v0, v18, 0 op_sel:[0,1,0] op_sel_hi:[0,1,0]
	v_or_b32_e32 v2, v1, v2
	v_or_b32_e32 v16, v37, v36
	;; [unrolled: 1-line block ×3, first 2 shown]
	v_fma_mixlo_f16 v3, v0, v3, 0 op_sel_hi:[0,1,0]
	v_fma_mixlo_f16 v5, v0, v1, 0 op_sel:[0,1,0] op_sel_hi:[0,1,0]
	v_lshlrev_b32_e32 v1, 16, v4
	v_fma_mixlo_f16 v4, v0, v2, 0 op_sel_hi:[0,1,0]
	v_fma_mixlo_f16 v16, v0, v16, 0 op_sel_hi:[0,1,0]
	v_and_b32_e32 v2, 0xffff, v3
	v_fma_mixlo_f16 v3, v0, v37, 0 op_sel:[0,1,0] op_sel_hi:[0,1,0]
	v_fma_mixlo_f16 v15, v0, v15, 0 op_sel:[0,1,0] op_sel_hi:[0,1,0]
	v_fma_mixlo_f16 v0, v0, v18, 0 op_sel_hi:[0,1,0]
	v_lshlrev_b32_e32 v5, 16, v5
	v_and_b32_e32 v38, 0xffff, v4
	v_lshlrev_b32_e32 v32, 16, v3
	v_and_b32_e32 v37, 0xffff, v16
	;; [unrolled: 2-line block ×3, first 2 shown]
	v_or_b32_e32 v0, v1, v2
	v_or_b32_e32 v18, v5, v38
	;; [unrolled: 1-line block ×4, first 2 shown]
	s_and_saveexec_b32 s12, s4
	s_cbranch_execz .LBB287_2678
; %bb.2677:                             ;   in Loop: Header=BB287_2083 Depth=1
	v_cndmask_b32_e32 v0, 0, v38, vcc_lo
	v_cndmask_b32_e64 v3, 0, v5, s7
	v_cndmask_b32_e64 v2, 0, v2, s5
	;; [unrolled: 1-line block ×7, first 2 shown]
	v_or_b32_e32 v18, v0, v3
	v_or_b32_e32 v0, v2, v1
	;; [unrolled: 1-line block ×4, first 2 shown]
.LBB287_2678:                           ;   in Loop: Header=BB287_2083 Depth=1
	s_or_b32 exec_lo, exec_lo, s12
	;;#ASMSTART
	v_pk_mul_f16 v1, v40, v18;

	;;#ASMEND
	;;#ASMSTART
	v_pk_mul_f16 v0, v119, v0;

	;;#ASMEND
	;; [unrolled: 4-line block ×4, first 2 shown]
	;;#ASMSTART
	v_pk_add_f16 v0, v1, v0;

	;;#ASMEND
	;;#ASMSTART
	v_pk_add_f16 v0, v0, v2;

	;;#ASMEND
	;; [unrolled: 4-line block ×3, first 2 shown]
	v_and_b32_e32 v1, 0xffff, v0
	v_lshrrev_b32_e32 v0, 16, v0
	;;#ASMSTART
	v_cvt_f32_f16 v63, v1;
	;;#ASMEND
	;;#ASMSTART
	v_cvt_f32_f16 v72, v0;
	;;#ASMEND
	flat_load_dwordx2 v[15:16], v[13:14] offset:256
	flat_load_dword v0, v[22:23]
	v_mov_b32_e32 v1, 0
	v_mov_b32_e32 v2, 0
	s_waitcnt vmcnt(1) lgkmcnt(1)
	v_cmp_ne_u16_sdwa s12, v15, v6 src0_sel:BYTE_0 src1_sel:DWORD
	s_and_saveexec_b32 s26, s12
	s_cbranch_execz .LBB287_2686
; %bb.2679:                             ;   in Loop: Header=BB287_2083 Depth=1
	v_cmp_ne_u16_sdwa s12, v15, v48 src0_sel:BYTE_0 src1_sel:DWORD
	v_mov_b32_e32 v2, 0x8000
	s_and_saveexec_b32 s27, s12
	s_cbranch_execz .LBB287_2685
; %bb.2680:                             ;   in Loop: Header=BB287_2083 Depth=1
	v_and_b32_e32 v18, 0x7f, v15
	v_mov_b32_e32 v2, 0x7c01
	s_mov_b32 s28, exec_lo
	v_cmpx_ne_u32_e32 0x7f, v18
	s_cbranch_execz .LBB287_2684
; %bb.2681:                             ;   in Loop: Header=BB287_2083 Depth=1
	v_and_b32_e32 v2, 7, v15
	v_lshrrev_b32_e32 v5, 3, v18
	s_mov_b32 s29, exec_lo
	v_cmpx_gt_u32_e32 8, v18
; %bb.2682:                             ;   in Loop: Header=BB287_2083 Depth=1
	v_ffbh_u32_e32 v2, v2
	v_min_u32_e32 v2, 32, v2
	v_subrev_nc_u32_e32 v3, 28, v2
	v_sub_nc_u32_e32 v5, 29, v2
	v_lshlrev_b64 v[31:32], v3, v[15:16]
	v_and_b32_e32 v2, 7, v31
; %bb.2683:                             ;   in Loop: Header=BB287_2083 Depth=1
	s_or_b32 exec_lo, exec_lo, s29
	v_lshlrev_b32_e32 v3, 8, v15
	v_lshl_add_u32 v4, v5, 10, 0x2000
	v_lshlrev_b32_e32 v2, 7, v2
	v_and_b32_e32 v3, 0x8000, v3
	v_and_b32_e32 v4, 0xfc00, v4
	v_or3_b32 v2, v3, v4, v2
.LBB287_2684:                           ;   in Loop: Header=BB287_2083 Depth=1
	s_or_b32 exec_lo, exec_lo, s28
.LBB287_2685:                           ;   in Loop: Header=BB287_2083 Depth=1
	s_or_b32 exec_lo, exec_lo, s27
.LBB287_2686:                           ;   in Loop: Header=BB287_2083 Depth=1
	s_or_b32 exec_lo, exec_lo, s26
	v_lshrrev_b16 v5, 8, v15
	s_mov_b32 s26, exec_lo
	v_cmpx_ne_u16_e32 0, v5
	s_cbranch_execz .LBB287_2694
; %bb.2687:                             ;   in Loop: Header=BB287_2083 Depth=1
	v_bfrev_b32_e32 v1, 1
	s_mov_b32 s27, exec_lo
	v_cmpx_ne_u16_e32 0x80, v5
	s_cbranch_execz .LBB287_2693
; %bb.2688:                             ;   in Loop: Header=BB287_2083 Depth=1
	v_and_b32_sdwa v31, v5, v49 dst_sel:DWORD dst_unused:UNUSED_PAD src0_sel:WORD_0 src1_sel:DWORD
	v_mov_b32_e32 v1, 0x7c010000
	s_mov_b32 s28, exec_lo
	v_cmpx_ne_u32_e32 0x7f, v31
	s_cbranch_execz .LBB287_2692
; %bb.2689:                             ;   in Loop: Header=BB287_2083 Depth=1
	v_and_b32_sdwa v1, v5, v50 dst_sel:DWORD dst_unused:UNUSED_PAD src0_sel:WORD_0 src1_sel:DWORD
	v_lshrrev_b32_e32 v18, 3, v31
	s_mov_b32 s29, exec_lo
	v_cmpx_gt_u32_e32 8, v31
; %bb.2690:                             ;   in Loop: Header=BB287_2083 Depth=1
	v_ffbh_u32_e32 v1, v1
	v_min_u32_e32 v1, 32, v1
	v_subrev_nc_u32_e32 v3, 28, v1
	v_sub_nc_u32_e32 v18, 29, v1
	v_lshlrev_b64 v[31:32], v3, v[5:6]
	v_and_b32_e32 v1, 7, v31
; %bb.2691:                             ;   in Loop: Header=BB287_2083 Depth=1
	s_or_b32 exec_lo, exec_lo, s29
	v_lshlrev_b32_sdwa v3, v100, v5 dst_sel:DWORD dst_unused:UNUSED_PAD src0_sel:DWORD src1_sel:WORD_0
	v_lshl_add_u32 v4, v18, 10, 0x2000
	v_lshlrev_b32_e32 v1, 23, v1
	v_and_or_b32 v3, 0x8000, v3, v4
	v_lshl_or_b32 v1, v3, 16, v1
.LBB287_2692:                           ;   in Loop: Header=BB287_2083 Depth=1
	s_or_b32 exec_lo, exec_lo, s28
.LBB287_2693:                           ;   in Loop: Header=BB287_2083 Depth=1
	s_or_b32 exec_lo, exec_lo, s27
.LBB287_2694:                           ;   in Loop: Header=BB287_2083 Depth=1
	s_or_b32 exec_lo, exec_lo, s26
	v_lshrrev_b32_e32 v5, 16, v15
	v_mov_b32_e32 v18, 0
	v_mov_b32_e32 v31, 0
	v_cmp_ne_u16_sdwa s12, v5, v6 src0_sel:BYTE_0 src1_sel:DWORD
	s_and_saveexec_b32 s26, s12
	s_cbranch_execz .LBB287_2702
; %bb.2695:                             ;   in Loop: Header=BB287_2083 Depth=1
	v_cmp_ne_u16_sdwa s12, v5, v48 src0_sel:BYTE_0 src1_sel:DWORD
	v_mov_b32_e32 v31, 0x8000
	s_and_saveexec_b32 s27, s12
	s_cbranch_execz .LBB287_2701
; %bb.2696:                             ;   in Loop: Header=BB287_2083 Depth=1
	v_bfe_u32 v36, v15, 16, 7
	v_mov_b32_e32 v31, 0x7c01
	s_mov_b32 s28, exec_lo
	v_cmpx_ne_u32_e32 0x7f, v36
	s_cbranch_execz .LBB287_2700
; %bb.2697:                             ;   in Loop: Header=BB287_2083 Depth=1
	v_and_b32_e32 v31, 7, v5
	v_lshrrev_b32_e32 v32, 3, v36
	s_mov_b32 s29, exec_lo
	v_cmpx_gt_u32_e32 8, v36
; %bb.2698:                             ;   in Loop: Header=BB287_2083 Depth=1
	v_ffbh_u32_e32 v3, v31
	v_min_u32_e32 v3, 32, v3
	v_subrev_nc_u32_e32 v4, 28, v3
	v_lshlrev_b64 v[31:32], v4, v[5:6]
	v_sub_nc_u32_e32 v32, 29, v3
	v_and_b32_e32 v31, 7, v31
; %bb.2699:                             ;   in Loop: Header=BB287_2083 Depth=1
	s_or_b32 exec_lo, exec_lo, s29
	v_lshlrev_b32_e32 v3, 8, v5
	v_lshl_add_u32 v4, v32, 10, 0x2000
	v_lshlrev_b32_e32 v5, 7, v31
	v_and_b32_e32 v3, 0x8000, v3
	v_and_b32_e32 v4, 0xfc00, v4
	v_or3_b32 v31, v3, v4, v5
.LBB287_2700:                           ;   in Loop: Header=BB287_2083 Depth=1
	s_or_b32 exec_lo, exec_lo, s28
.LBB287_2701:                           ;   in Loop: Header=BB287_2083 Depth=1
	s_or_b32 exec_lo, exec_lo, s27
.LBB287_2702:                           ;   in Loop: Header=BB287_2083 Depth=1
	s_or_b32 exec_lo, exec_lo, s26
	s_mov_b32 s26, exec_lo
	v_cmpx_lt_u32_e32 0xffffff, v15
	s_cbranch_execz .LBB287_2710
; %bb.2703:                             ;   in Loop: Header=BB287_2083 Depth=1
	v_lshrrev_b32_e32 v5, 24, v15
	v_bfrev_b32_e32 v18, 1
	s_mov_b32 s27, exec_lo
	v_cmpx_ne_u32_e32 0x80, v5
	s_cbranch_execz .LBB287_2709
; %bb.2704:                             ;   in Loop: Header=BB287_2083 Depth=1
	v_and_b32_e32 v36, 0x7f, v5
	v_mov_b32_e32 v18, 0x7c010000
	s_mov_b32 s28, exec_lo
	v_cmpx_ne_u32_e32 0x7f, v36
	s_cbranch_execz .LBB287_2708
; %bb.2705:                             ;   in Loop: Header=BB287_2083 Depth=1
	v_and_b32_e32 v18, 7, v5
	v_lshrrev_b32_e32 v32, 3, v36
	s_mov_b32 s29, exec_lo
	v_cmpx_gt_u32_e32 8, v36
; %bb.2706:                             ;   in Loop: Header=BB287_2083 Depth=1
	v_ffbh_u32_e32 v3, v18
	v_min_u32_e32 v3, 32, v3
	v_subrev_nc_u32_e32 v4, 28, v3
	v_sub_nc_u32_e32 v32, 29, v3
	v_lshlrev_b64 v[36:37], v4, v[5:6]
	v_and_b32_e32 v18, 7, v36
; %bb.2707:                             ;   in Loop: Header=BB287_2083 Depth=1
	s_or_b32 exec_lo, exec_lo, s29
	v_lshlrev_b32_e32 v3, 8, v5
	v_lshl_add_u32 v4, v32, 10, 0x2000
	v_and_or_b32 v3, 0x8000, v3, v4
	v_lshlrev_b32_e32 v4, 23, v18
	v_lshl_or_b32 v18, v3, 16, v4
.LBB287_2708:                           ;   in Loop: Header=BB287_2083 Depth=1
	s_or_b32 exec_lo, exec_lo, s28
.LBB287_2709:                           ;   in Loop: Header=BB287_2083 Depth=1
	s_or_b32 exec_lo, exec_lo, s27
.LBB287_2710:                           ;   in Loop: Header=BB287_2083 Depth=1
	s_or_b32 exec_lo, exec_lo, s26
	v_mov_b32_e32 v5, v16
	v_cmp_ne_u16_sdwa s12, v16, v6 src0_sel:BYTE_0 src1_sel:DWORD
	v_mov_b32_e32 v32, 0
	v_mov_b32_e32 v36, 0
	s_and_saveexec_b32 s26, s12
	s_cbranch_execz .LBB287_2718
; %bb.2711:                             ;   in Loop: Header=BB287_2083 Depth=1
	v_cmp_ne_u16_sdwa s12, v16, v48 src0_sel:BYTE_0 src1_sel:DWORD
	v_mov_b32_e32 v36, 0x8000
	s_and_saveexec_b32 s27, s12
	s_cbranch_execz .LBB287_2717
; %bb.2712:                             ;   in Loop: Header=BB287_2083 Depth=1
	v_and_b32_e32 v38, 0x7f, v16
	v_mov_b32_e32 v36, 0x7c01
	s_mov_b32 s28, exec_lo
	v_cmpx_ne_u32_e32 0x7f, v38
	s_cbranch_execz .LBB287_2716
; %bb.2713:                             ;   in Loop: Header=BB287_2083 Depth=1
	v_and_b32_e32 v36, 7, v16
	v_lshrrev_b32_e32 v37, 3, v38
	s_mov_b32 s29, exec_lo
	v_cmpx_gt_u32_e32 8, v38
; %bb.2714:                             ;   in Loop: Header=BB287_2083 Depth=1
	v_ffbh_u32_e32 v3, v36
	v_min_u32_e32 v3, 32, v3
	v_subrev_nc_u32_e32 v4, 28, v3
	v_lshlrev_b64 v[36:37], v4, v[5:6]
	v_sub_nc_u32_e32 v37, 29, v3
	v_and_b32_e32 v36, 7, v36
; %bb.2715:                             ;   in Loop: Header=BB287_2083 Depth=1
	s_or_b32 exec_lo, exec_lo, s29
	v_lshlrev_b32_e32 v3, 8, v16
	v_lshl_add_u32 v4, v37, 10, 0x2000
	v_lshlrev_b32_e32 v36, 7, v36
	v_and_b32_e32 v3, 0x8000, v3
	v_and_b32_e32 v4, 0xfc00, v4
	v_or3_b32 v36, v3, v4, v36
.LBB287_2716:                           ;   in Loop: Header=BB287_2083 Depth=1
	s_or_b32 exec_lo, exec_lo, s28
.LBB287_2717:                           ;   in Loop: Header=BB287_2083 Depth=1
	s_or_b32 exec_lo, exec_lo, s27
.LBB287_2718:                           ;   in Loop: Header=BB287_2083 Depth=1
	s_or_b32 exec_lo, exec_lo, s26
	v_lshrrev_b16 v5, 8, v5
	v_mov_b32_e32 v37, 0
	s_mov_b32 s26, exec_lo
	v_cmpx_ne_u16_e32 0, v5
	s_cbranch_execz .LBB287_2726
; %bb.2719:                             ;   in Loop: Header=BB287_2083 Depth=1
	v_bfrev_b32_e32 v37, 1
	s_mov_b32 s27, exec_lo
	v_cmpx_ne_u16_e32 0x80, v5
	s_cbranch_execz .LBB287_2725
; %bb.2720:                             ;   in Loop: Header=BB287_2083 Depth=1
	v_and_b32_sdwa v39, v5, v49 dst_sel:DWORD dst_unused:UNUSED_PAD src0_sel:WORD_0 src1_sel:DWORD
	v_mov_b32_e32 v37, 0x7c010000
	s_mov_b32 s28, exec_lo
	v_cmpx_ne_u32_e32 0x7f, v39
	s_cbranch_execz .LBB287_2724
; %bb.2721:                             ;   in Loop: Header=BB287_2083 Depth=1
	v_and_b32_sdwa v37, v5, v50 dst_sel:DWORD dst_unused:UNUSED_PAD src0_sel:WORD_0 src1_sel:DWORD
	v_lshrrev_b32_e32 v38, 3, v39
	s_mov_b32 s29, exec_lo
	v_cmpx_gt_u32_e32 8, v39
; %bb.2722:                             ;   in Loop: Header=BB287_2083 Depth=1
	v_ffbh_u32_e32 v3, v37
	v_min_u32_e32 v3, 32, v3
	v_subrev_nc_u32_e32 v4, 28, v3
	v_lshlrev_b64 v[37:38], v4, v[5:6]
	v_sub_nc_u32_e32 v38, 29, v3
	v_and_b32_e32 v37, 7, v37
; %bb.2723:                             ;   in Loop: Header=BB287_2083 Depth=1
	s_or_b32 exec_lo, exec_lo, s29
	v_lshlrev_b32_sdwa v3, v100, v5 dst_sel:DWORD dst_unused:UNUSED_PAD src0_sel:DWORD src1_sel:WORD_0
	v_lshl_add_u32 v4, v38, 10, 0x2000
	v_and_or_b32 v3, 0x8000, v3, v4
	v_lshlrev_b32_e32 v4, 23, v37
	v_lshl_or_b32 v37, v3, 16, v4
.LBB287_2724:                           ;   in Loop: Header=BB287_2083 Depth=1
	s_or_b32 exec_lo, exec_lo, s28
.LBB287_2725:                           ;   in Loop: Header=BB287_2083 Depth=1
	s_or_b32 exec_lo, exec_lo, s27
.LBB287_2726:                           ;   in Loop: Header=BB287_2083 Depth=1
	s_or_b32 exec_lo, exec_lo, s26
	v_lshrrev_b32_e32 v5, 16, v16
	v_cmp_ne_u16_sdwa s12, v5, v6 src0_sel:BYTE_0 src1_sel:DWORD
	s_and_saveexec_b32 s26, s12
	s_cbranch_execz .LBB287_2734
; %bb.2727:                             ;   in Loop: Header=BB287_2083 Depth=1
	v_cmp_ne_u16_sdwa s12, v5, v48 src0_sel:BYTE_0 src1_sel:DWORD
	v_mov_b32_e32 v32, 0x8000
	s_and_saveexec_b32 s27, s12
	s_cbranch_execz .LBB287_2733
; %bb.2728:                             ;   in Loop: Header=BB287_2083 Depth=1
	v_bfe_u32 v39, v16, 16, 7
	v_mov_b32_e32 v32, 0x7c01
	s_mov_b32 s28, exec_lo
	v_cmpx_ne_u32_e32 0x7f, v39
	s_cbranch_execz .LBB287_2732
; %bb.2729:                             ;   in Loop: Header=BB287_2083 Depth=1
	v_and_b32_e32 v32, 7, v5
	v_lshrrev_b32_e32 v38, 3, v39
	s_mov_b32 s29, exec_lo
	v_cmpx_gt_u32_e32 8, v39
; %bb.2730:                             ;   in Loop: Header=BB287_2083 Depth=1
	v_ffbh_u32_e32 v3, v32
	v_min_u32_e32 v3, 32, v3
	v_subrev_nc_u32_e32 v4, 28, v3
	v_sub_nc_u32_e32 v38, 29, v3
	v_lshlrev_b64 v[101:102], v4, v[5:6]
	v_and_b32_e32 v32, 7, v101
; %bb.2731:                             ;   in Loop: Header=BB287_2083 Depth=1
	s_or_b32 exec_lo, exec_lo, s29
	v_lshlrev_b32_e32 v3, 8, v5
	v_lshl_add_u32 v4, v38, 10, 0x2000
	v_lshlrev_b32_e32 v5, 7, v32
	v_and_b32_e32 v3, 0x8000, v3
	v_and_b32_e32 v4, 0xfc00, v4
	v_or3_b32 v32, v3, v4, v5
.LBB287_2732:                           ;   in Loop: Header=BB287_2083 Depth=1
	s_or_b32 exec_lo, exec_lo, s28
.LBB287_2733:                           ;   in Loop: Header=BB287_2083 Depth=1
	s_or_b32 exec_lo, exec_lo, s27
.LBB287_2734:                           ;   in Loop: Header=BB287_2083 Depth=1
	s_or_b32 exec_lo, exec_lo, s26
	v_cmp_lt_u64_e64 s12, s[22:23], v[15:16]
	v_mov_b32_e32 v15, 0
	s_and_saveexec_b32 s26, s12
	s_cbranch_execz .LBB287_2742
; %bb.2735:                             ;   in Loop: Header=BB287_2083 Depth=1
	v_lshrrev_b32_e32 v5, 24, v16
	v_bfrev_b32_e32 v15, 1
	s_mov_b32 s27, exec_lo
	v_cmpx_ne_u32_e32 0x80, v5
	s_cbranch_execz .LBB287_2741
; %bb.2736:                             ;   in Loop: Header=BB287_2083 Depth=1
	v_and_b32_e32 v38, 0x7f, v5
	v_mov_b32_e32 v15, 0x7c010000
	s_mov_b32 s28, exec_lo
	v_cmpx_ne_u32_e32 0x7f, v38
	s_cbranch_execz .LBB287_2740
; %bb.2737:                             ;   in Loop: Header=BB287_2083 Depth=1
	v_and_b32_e32 v15, 7, v5
	v_lshrrev_b32_e32 v16, 3, v38
	s_mov_b32 s29, exec_lo
	v_cmpx_gt_u32_e32 8, v38
; %bb.2738:                             ;   in Loop: Header=BB287_2083 Depth=1
	v_ffbh_u32_e32 v3, v15
	v_min_u32_e32 v3, 32, v3
	v_subrev_nc_u32_e32 v4, 28, v3
	v_lshlrev_b64 v[15:16], v4, v[5:6]
	v_sub_nc_u32_e32 v16, 29, v3
	v_and_b32_e32 v15, 7, v15
; %bb.2739:                             ;   in Loop: Header=BB287_2083 Depth=1
	s_or_b32 exec_lo, exec_lo, s29
	v_lshlrev_b32_e32 v3, 8, v5
	v_lshl_add_u32 v4, v16, 10, 0x2000
	v_and_or_b32 v3, 0x8000, v3, v4
	v_lshlrev_b32_e32 v4, 23, v15
	v_lshl_or_b32 v15, v3, 16, v4
.LBB287_2740:                           ;   in Loop: Header=BB287_2083 Depth=1
	s_or_b32 exec_lo, exec_lo, s28
.LBB287_2741:                           ;   in Loop: Header=BB287_2083 Depth=1
	s_or_b32 exec_lo, exec_lo, s27
.LBB287_2742:                           ;   in Loop: Header=BB287_2083 Depth=1
	s_or_b32 exec_lo, exec_lo, s26
	v_or_b32_e32 v3, v18, v31
	s_waitcnt vmcnt(0) lgkmcnt(0)
	v_fma_mixlo_f16 v4, v0, v18, 0 op_sel:[0,1,0] op_sel_hi:[0,1,0]
	v_or_b32_e32 v2, v1, v2
	v_or_b32_e32 v16, v37, v36
	;; [unrolled: 1-line block ×3, first 2 shown]
	v_fma_mixlo_f16 v3, v0, v3, 0 op_sel_hi:[0,1,0]
	v_fma_mixlo_f16 v5, v0, v1, 0 op_sel:[0,1,0] op_sel_hi:[0,1,0]
	v_lshlrev_b32_e32 v1, 16, v4
	v_fma_mixlo_f16 v4, v0, v2, 0 op_sel_hi:[0,1,0]
	v_fma_mixlo_f16 v16, v0, v16, 0 op_sel_hi:[0,1,0]
	v_and_b32_e32 v2, 0xffff, v3
	v_fma_mixlo_f16 v3, v0, v37, 0 op_sel:[0,1,0] op_sel_hi:[0,1,0]
	v_fma_mixlo_f16 v15, v0, v15, 0 op_sel:[0,1,0] op_sel_hi:[0,1,0]
	v_fma_mixlo_f16 v0, v0, v18, 0 op_sel_hi:[0,1,0]
	v_lshlrev_b32_e32 v5, 16, v5
	v_and_b32_e32 v38, 0xffff, v4
	v_lshlrev_b32_e32 v32, 16, v3
	v_and_b32_e32 v37, 0xffff, v16
	;; [unrolled: 2-line block ×3, first 2 shown]
	v_or_b32_e32 v0, v1, v2
	v_or_b32_e32 v18, v5, v38
	;; [unrolled: 1-line block ×4, first 2 shown]
	s_and_saveexec_b32 s12, s4
	s_cbranch_execz .LBB287_2744
; %bb.2743:                             ;   in Loop: Header=BB287_2083 Depth=1
	v_cndmask_b32_e32 v0, 0, v38, vcc_lo
	v_cndmask_b32_e64 v3, 0, v5, s7
	v_cndmask_b32_e64 v2, 0, v2, s5
	;; [unrolled: 1-line block ×7, first 2 shown]
	v_or_b32_e32 v18, v0, v3
	v_or_b32_e32 v0, v2, v1
	;; [unrolled: 1-line block ×4, first 2 shown]
.LBB287_2744:                           ;   in Loop: Header=BB287_2083 Depth=1
	s_or_b32 exec_lo, exec_lo, s12
	;;#ASMSTART
	v_pk_mul_f16 v1, v40, v18;

	;;#ASMEND
	;;#ASMSTART
	v_pk_mul_f16 v0, v119, v0;

	;;#ASMEND
	;; [unrolled: 4-line block ×4, first 2 shown]
	;;#ASMSTART
	v_pk_add_f16 v0, v1, v0;

	;;#ASMEND
	;;#ASMSTART
	v_pk_add_f16 v0, v0, v2;

	;;#ASMEND
	;; [unrolled: 4-line block ×3, first 2 shown]
	v_and_b32_e32 v1, 0xffff, v0
	v_lshrrev_b32_e32 v0, 16, v0
	;;#ASMSTART
	v_cvt_f32_f16 v73, v1;
	;;#ASMEND
	;;#ASMSTART
	v_cvt_f32_f16 v74, v0;
	;;#ASMEND
	flat_load_dwordx2 v[15:16], v[13:14] offset:512
	flat_load_dword v0, v[22:23]
	v_mov_b32_e32 v1, 0
	v_mov_b32_e32 v2, 0
	s_waitcnt vmcnt(1) lgkmcnt(1)
	v_cmp_ne_u16_sdwa s12, v15, v6 src0_sel:BYTE_0 src1_sel:DWORD
	s_and_saveexec_b32 s26, s12
	s_cbranch_execz .LBB287_2752
; %bb.2745:                             ;   in Loop: Header=BB287_2083 Depth=1
	v_cmp_ne_u16_sdwa s12, v15, v48 src0_sel:BYTE_0 src1_sel:DWORD
	v_mov_b32_e32 v2, 0x8000
	s_and_saveexec_b32 s27, s12
	s_cbranch_execz .LBB287_2751
; %bb.2746:                             ;   in Loop: Header=BB287_2083 Depth=1
	v_and_b32_e32 v18, 0x7f, v15
	v_mov_b32_e32 v2, 0x7c01
	s_mov_b32 s28, exec_lo
	v_cmpx_ne_u32_e32 0x7f, v18
	s_cbranch_execz .LBB287_2750
; %bb.2747:                             ;   in Loop: Header=BB287_2083 Depth=1
	v_and_b32_e32 v2, 7, v15
	v_lshrrev_b32_e32 v5, 3, v18
	s_mov_b32 s29, exec_lo
	v_cmpx_gt_u32_e32 8, v18
; %bb.2748:                             ;   in Loop: Header=BB287_2083 Depth=1
	v_ffbh_u32_e32 v2, v2
	v_min_u32_e32 v2, 32, v2
	v_subrev_nc_u32_e32 v3, 28, v2
	v_sub_nc_u32_e32 v5, 29, v2
	v_lshlrev_b64 v[31:32], v3, v[15:16]
	v_and_b32_e32 v2, 7, v31
; %bb.2749:                             ;   in Loop: Header=BB287_2083 Depth=1
	s_or_b32 exec_lo, exec_lo, s29
	v_lshlrev_b32_e32 v3, 8, v15
	v_lshl_add_u32 v4, v5, 10, 0x2000
	v_lshlrev_b32_e32 v2, 7, v2
	v_and_b32_e32 v3, 0x8000, v3
	v_and_b32_e32 v4, 0xfc00, v4
	v_or3_b32 v2, v3, v4, v2
.LBB287_2750:                           ;   in Loop: Header=BB287_2083 Depth=1
	s_or_b32 exec_lo, exec_lo, s28
.LBB287_2751:                           ;   in Loop: Header=BB287_2083 Depth=1
	s_or_b32 exec_lo, exec_lo, s27
.LBB287_2752:                           ;   in Loop: Header=BB287_2083 Depth=1
	s_or_b32 exec_lo, exec_lo, s26
	v_lshrrev_b16 v5, 8, v15
	s_mov_b32 s26, exec_lo
	v_cmpx_ne_u16_e32 0, v5
	s_cbranch_execz .LBB287_2760
; %bb.2753:                             ;   in Loop: Header=BB287_2083 Depth=1
	v_bfrev_b32_e32 v1, 1
	s_mov_b32 s27, exec_lo
	v_cmpx_ne_u16_e32 0x80, v5
	s_cbranch_execz .LBB287_2759
; %bb.2754:                             ;   in Loop: Header=BB287_2083 Depth=1
	v_and_b32_sdwa v31, v5, v49 dst_sel:DWORD dst_unused:UNUSED_PAD src0_sel:WORD_0 src1_sel:DWORD
	v_mov_b32_e32 v1, 0x7c010000
	s_mov_b32 s28, exec_lo
	v_cmpx_ne_u32_e32 0x7f, v31
	s_cbranch_execz .LBB287_2758
; %bb.2755:                             ;   in Loop: Header=BB287_2083 Depth=1
	v_and_b32_sdwa v1, v5, v50 dst_sel:DWORD dst_unused:UNUSED_PAD src0_sel:WORD_0 src1_sel:DWORD
	v_lshrrev_b32_e32 v18, 3, v31
	s_mov_b32 s29, exec_lo
	v_cmpx_gt_u32_e32 8, v31
; %bb.2756:                             ;   in Loop: Header=BB287_2083 Depth=1
	v_ffbh_u32_e32 v1, v1
	v_min_u32_e32 v1, 32, v1
	v_subrev_nc_u32_e32 v3, 28, v1
	v_sub_nc_u32_e32 v18, 29, v1
	v_lshlrev_b64 v[31:32], v3, v[5:6]
	v_and_b32_e32 v1, 7, v31
; %bb.2757:                             ;   in Loop: Header=BB287_2083 Depth=1
	s_or_b32 exec_lo, exec_lo, s29
	v_lshlrev_b32_sdwa v3, v100, v5 dst_sel:DWORD dst_unused:UNUSED_PAD src0_sel:DWORD src1_sel:WORD_0
	v_lshl_add_u32 v4, v18, 10, 0x2000
	v_lshlrev_b32_e32 v1, 23, v1
	v_and_or_b32 v3, 0x8000, v3, v4
	v_lshl_or_b32 v1, v3, 16, v1
.LBB287_2758:                           ;   in Loop: Header=BB287_2083 Depth=1
	s_or_b32 exec_lo, exec_lo, s28
.LBB287_2759:                           ;   in Loop: Header=BB287_2083 Depth=1
	s_or_b32 exec_lo, exec_lo, s27
.LBB287_2760:                           ;   in Loop: Header=BB287_2083 Depth=1
	s_or_b32 exec_lo, exec_lo, s26
	v_lshrrev_b32_e32 v5, 16, v15
	v_mov_b32_e32 v18, 0
	v_mov_b32_e32 v31, 0
	v_cmp_ne_u16_sdwa s12, v5, v6 src0_sel:BYTE_0 src1_sel:DWORD
	s_and_saveexec_b32 s26, s12
	s_cbranch_execz .LBB287_2768
; %bb.2761:                             ;   in Loop: Header=BB287_2083 Depth=1
	v_cmp_ne_u16_sdwa s12, v5, v48 src0_sel:BYTE_0 src1_sel:DWORD
	v_mov_b32_e32 v31, 0x8000
	s_and_saveexec_b32 s27, s12
	s_cbranch_execz .LBB287_2767
; %bb.2762:                             ;   in Loop: Header=BB287_2083 Depth=1
	v_bfe_u32 v36, v15, 16, 7
	v_mov_b32_e32 v31, 0x7c01
	s_mov_b32 s28, exec_lo
	v_cmpx_ne_u32_e32 0x7f, v36
	s_cbranch_execz .LBB287_2766
; %bb.2763:                             ;   in Loop: Header=BB287_2083 Depth=1
	v_and_b32_e32 v31, 7, v5
	v_lshrrev_b32_e32 v32, 3, v36
	s_mov_b32 s29, exec_lo
	v_cmpx_gt_u32_e32 8, v36
; %bb.2764:                             ;   in Loop: Header=BB287_2083 Depth=1
	v_ffbh_u32_e32 v3, v31
	v_min_u32_e32 v3, 32, v3
	v_subrev_nc_u32_e32 v4, 28, v3
	v_lshlrev_b64 v[31:32], v4, v[5:6]
	v_sub_nc_u32_e32 v32, 29, v3
	v_and_b32_e32 v31, 7, v31
; %bb.2765:                             ;   in Loop: Header=BB287_2083 Depth=1
	s_or_b32 exec_lo, exec_lo, s29
	v_lshlrev_b32_e32 v3, 8, v5
	v_lshl_add_u32 v4, v32, 10, 0x2000
	v_lshlrev_b32_e32 v5, 7, v31
	v_and_b32_e32 v3, 0x8000, v3
	v_and_b32_e32 v4, 0xfc00, v4
	v_or3_b32 v31, v3, v4, v5
.LBB287_2766:                           ;   in Loop: Header=BB287_2083 Depth=1
	s_or_b32 exec_lo, exec_lo, s28
.LBB287_2767:                           ;   in Loop: Header=BB287_2083 Depth=1
	s_or_b32 exec_lo, exec_lo, s27
.LBB287_2768:                           ;   in Loop: Header=BB287_2083 Depth=1
	s_or_b32 exec_lo, exec_lo, s26
	s_mov_b32 s26, exec_lo
	v_cmpx_lt_u32_e32 0xffffff, v15
	s_cbranch_execz .LBB287_2776
; %bb.2769:                             ;   in Loop: Header=BB287_2083 Depth=1
	v_lshrrev_b32_e32 v5, 24, v15
	v_bfrev_b32_e32 v18, 1
	s_mov_b32 s27, exec_lo
	v_cmpx_ne_u32_e32 0x80, v5
	s_cbranch_execz .LBB287_2775
; %bb.2770:                             ;   in Loop: Header=BB287_2083 Depth=1
	v_and_b32_e32 v36, 0x7f, v5
	v_mov_b32_e32 v18, 0x7c010000
	s_mov_b32 s28, exec_lo
	v_cmpx_ne_u32_e32 0x7f, v36
	s_cbranch_execz .LBB287_2774
; %bb.2771:                             ;   in Loop: Header=BB287_2083 Depth=1
	v_and_b32_e32 v18, 7, v5
	v_lshrrev_b32_e32 v32, 3, v36
	s_mov_b32 s29, exec_lo
	v_cmpx_gt_u32_e32 8, v36
; %bb.2772:                             ;   in Loop: Header=BB287_2083 Depth=1
	v_ffbh_u32_e32 v3, v18
	v_min_u32_e32 v3, 32, v3
	v_subrev_nc_u32_e32 v4, 28, v3
	v_sub_nc_u32_e32 v32, 29, v3
	v_lshlrev_b64 v[36:37], v4, v[5:6]
	v_and_b32_e32 v18, 7, v36
; %bb.2773:                             ;   in Loop: Header=BB287_2083 Depth=1
	s_or_b32 exec_lo, exec_lo, s29
	v_lshlrev_b32_e32 v3, 8, v5
	v_lshl_add_u32 v4, v32, 10, 0x2000
	v_and_or_b32 v3, 0x8000, v3, v4
	v_lshlrev_b32_e32 v4, 23, v18
	v_lshl_or_b32 v18, v3, 16, v4
.LBB287_2774:                           ;   in Loop: Header=BB287_2083 Depth=1
	s_or_b32 exec_lo, exec_lo, s28
.LBB287_2775:                           ;   in Loop: Header=BB287_2083 Depth=1
	s_or_b32 exec_lo, exec_lo, s27
.LBB287_2776:                           ;   in Loop: Header=BB287_2083 Depth=1
	s_or_b32 exec_lo, exec_lo, s26
	v_mov_b32_e32 v5, v16
	v_cmp_ne_u16_sdwa s12, v16, v6 src0_sel:BYTE_0 src1_sel:DWORD
	v_mov_b32_e32 v32, 0
	v_mov_b32_e32 v36, 0
	s_and_saveexec_b32 s26, s12
	s_cbranch_execz .LBB287_2784
; %bb.2777:                             ;   in Loop: Header=BB287_2083 Depth=1
	v_cmp_ne_u16_sdwa s12, v16, v48 src0_sel:BYTE_0 src1_sel:DWORD
	v_mov_b32_e32 v36, 0x8000
	s_and_saveexec_b32 s27, s12
	s_cbranch_execz .LBB287_2783
; %bb.2778:                             ;   in Loop: Header=BB287_2083 Depth=1
	v_and_b32_e32 v38, 0x7f, v16
	v_mov_b32_e32 v36, 0x7c01
	s_mov_b32 s28, exec_lo
	v_cmpx_ne_u32_e32 0x7f, v38
	s_cbranch_execz .LBB287_2782
; %bb.2779:                             ;   in Loop: Header=BB287_2083 Depth=1
	v_and_b32_e32 v36, 7, v16
	v_lshrrev_b32_e32 v37, 3, v38
	s_mov_b32 s29, exec_lo
	v_cmpx_gt_u32_e32 8, v38
; %bb.2780:                             ;   in Loop: Header=BB287_2083 Depth=1
	v_ffbh_u32_e32 v3, v36
	v_min_u32_e32 v3, 32, v3
	v_subrev_nc_u32_e32 v4, 28, v3
	v_lshlrev_b64 v[36:37], v4, v[5:6]
	v_sub_nc_u32_e32 v37, 29, v3
	v_and_b32_e32 v36, 7, v36
; %bb.2781:                             ;   in Loop: Header=BB287_2083 Depth=1
	s_or_b32 exec_lo, exec_lo, s29
	v_lshlrev_b32_e32 v3, 8, v16
	v_lshl_add_u32 v4, v37, 10, 0x2000
	v_lshlrev_b32_e32 v36, 7, v36
	v_and_b32_e32 v3, 0x8000, v3
	v_and_b32_e32 v4, 0xfc00, v4
	v_or3_b32 v36, v3, v4, v36
.LBB287_2782:                           ;   in Loop: Header=BB287_2083 Depth=1
	s_or_b32 exec_lo, exec_lo, s28
.LBB287_2783:                           ;   in Loop: Header=BB287_2083 Depth=1
	s_or_b32 exec_lo, exec_lo, s27
.LBB287_2784:                           ;   in Loop: Header=BB287_2083 Depth=1
	s_or_b32 exec_lo, exec_lo, s26
	v_lshrrev_b16 v5, 8, v5
	v_mov_b32_e32 v37, 0
	s_mov_b32 s26, exec_lo
	v_cmpx_ne_u16_e32 0, v5
	s_cbranch_execz .LBB287_2792
; %bb.2785:                             ;   in Loop: Header=BB287_2083 Depth=1
	v_bfrev_b32_e32 v37, 1
	s_mov_b32 s27, exec_lo
	v_cmpx_ne_u16_e32 0x80, v5
	s_cbranch_execz .LBB287_2791
; %bb.2786:                             ;   in Loop: Header=BB287_2083 Depth=1
	v_and_b32_sdwa v39, v5, v49 dst_sel:DWORD dst_unused:UNUSED_PAD src0_sel:WORD_0 src1_sel:DWORD
	v_mov_b32_e32 v37, 0x7c010000
	s_mov_b32 s28, exec_lo
	v_cmpx_ne_u32_e32 0x7f, v39
	s_cbranch_execz .LBB287_2790
; %bb.2787:                             ;   in Loop: Header=BB287_2083 Depth=1
	v_and_b32_sdwa v37, v5, v50 dst_sel:DWORD dst_unused:UNUSED_PAD src0_sel:WORD_0 src1_sel:DWORD
	v_lshrrev_b32_e32 v38, 3, v39
	s_mov_b32 s29, exec_lo
	v_cmpx_gt_u32_e32 8, v39
; %bb.2788:                             ;   in Loop: Header=BB287_2083 Depth=1
	v_ffbh_u32_e32 v3, v37
	v_min_u32_e32 v3, 32, v3
	v_subrev_nc_u32_e32 v4, 28, v3
	v_lshlrev_b64 v[37:38], v4, v[5:6]
	v_sub_nc_u32_e32 v38, 29, v3
	v_and_b32_e32 v37, 7, v37
; %bb.2789:                             ;   in Loop: Header=BB287_2083 Depth=1
	s_or_b32 exec_lo, exec_lo, s29
	v_lshlrev_b32_sdwa v3, v100, v5 dst_sel:DWORD dst_unused:UNUSED_PAD src0_sel:DWORD src1_sel:WORD_0
	v_lshl_add_u32 v4, v38, 10, 0x2000
	v_and_or_b32 v3, 0x8000, v3, v4
	v_lshlrev_b32_e32 v4, 23, v37
	v_lshl_or_b32 v37, v3, 16, v4
.LBB287_2790:                           ;   in Loop: Header=BB287_2083 Depth=1
	s_or_b32 exec_lo, exec_lo, s28
.LBB287_2791:                           ;   in Loop: Header=BB287_2083 Depth=1
	s_or_b32 exec_lo, exec_lo, s27
.LBB287_2792:                           ;   in Loop: Header=BB287_2083 Depth=1
	s_or_b32 exec_lo, exec_lo, s26
	v_lshrrev_b32_e32 v5, 16, v16
	v_cmp_ne_u16_sdwa s12, v5, v6 src0_sel:BYTE_0 src1_sel:DWORD
	s_and_saveexec_b32 s26, s12
	s_cbranch_execz .LBB287_2800
; %bb.2793:                             ;   in Loop: Header=BB287_2083 Depth=1
	v_cmp_ne_u16_sdwa s12, v5, v48 src0_sel:BYTE_0 src1_sel:DWORD
	v_mov_b32_e32 v32, 0x8000
	s_and_saveexec_b32 s27, s12
	s_cbranch_execz .LBB287_2799
; %bb.2794:                             ;   in Loop: Header=BB287_2083 Depth=1
	v_bfe_u32 v39, v16, 16, 7
	v_mov_b32_e32 v32, 0x7c01
	s_mov_b32 s28, exec_lo
	v_cmpx_ne_u32_e32 0x7f, v39
	s_cbranch_execz .LBB287_2798
; %bb.2795:                             ;   in Loop: Header=BB287_2083 Depth=1
	v_and_b32_e32 v32, 7, v5
	v_lshrrev_b32_e32 v38, 3, v39
	s_mov_b32 s29, exec_lo
	v_cmpx_gt_u32_e32 8, v39
; %bb.2796:                             ;   in Loop: Header=BB287_2083 Depth=1
	v_ffbh_u32_e32 v3, v32
	v_min_u32_e32 v3, 32, v3
	v_subrev_nc_u32_e32 v4, 28, v3
	v_sub_nc_u32_e32 v38, 29, v3
	v_lshlrev_b64 v[101:102], v4, v[5:6]
	v_and_b32_e32 v32, 7, v101
; %bb.2797:                             ;   in Loop: Header=BB287_2083 Depth=1
	s_or_b32 exec_lo, exec_lo, s29
	v_lshlrev_b32_e32 v3, 8, v5
	v_lshl_add_u32 v4, v38, 10, 0x2000
	v_lshlrev_b32_e32 v5, 7, v32
	v_and_b32_e32 v3, 0x8000, v3
	v_and_b32_e32 v4, 0xfc00, v4
	v_or3_b32 v32, v3, v4, v5
.LBB287_2798:                           ;   in Loop: Header=BB287_2083 Depth=1
	s_or_b32 exec_lo, exec_lo, s28
.LBB287_2799:                           ;   in Loop: Header=BB287_2083 Depth=1
	s_or_b32 exec_lo, exec_lo, s27
.LBB287_2800:                           ;   in Loop: Header=BB287_2083 Depth=1
	s_or_b32 exec_lo, exec_lo, s26
	v_cmp_lt_u64_e64 s12, s[22:23], v[15:16]
	v_mov_b32_e32 v15, 0
	s_and_saveexec_b32 s26, s12
	s_cbranch_execz .LBB287_2808
; %bb.2801:                             ;   in Loop: Header=BB287_2083 Depth=1
	v_lshrrev_b32_e32 v5, 24, v16
	v_bfrev_b32_e32 v15, 1
	s_mov_b32 s27, exec_lo
	v_cmpx_ne_u32_e32 0x80, v5
	s_cbranch_execz .LBB287_2807
; %bb.2802:                             ;   in Loop: Header=BB287_2083 Depth=1
	v_and_b32_e32 v38, 0x7f, v5
	v_mov_b32_e32 v15, 0x7c010000
	s_mov_b32 s28, exec_lo
	v_cmpx_ne_u32_e32 0x7f, v38
	s_cbranch_execz .LBB287_2806
; %bb.2803:                             ;   in Loop: Header=BB287_2083 Depth=1
	v_and_b32_e32 v15, 7, v5
	v_lshrrev_b32_e32 v16, 3, v38
	s_mov_b32 s29, exec_lo
	v_cmpx_gt_u32_e32 8, v38
; %bb.2804:                             ;   in Loop: Header=BB287_2083 Depth=1
	v_ffbh_u32_e32 v3, v15
	v_min_u32_e32 v3, 32, v3
	v_subrev_nc_u32_e32 v4, 28, v3
	v_lshlrev_b64 v[15:16], v4, v[5:6]
	v_sub_nc_u32_e32 v16, 29, v3
	v_and_b32_e32 v15, 7, v15
; %bb.2805:                             ;   in Loop: Header=BB287_2083 Depth=1
	s_or_b32 exec_lo, exec_lo, s29
	v_lshlrev_b32_e32 v3, 8, v5
	v_lshl_add_u32 v4, v16, 10, 0x2000
	v_and_or_b32 v3, 0x8000, v3, v4
	v_lshlrev_b32_e32 v4, 23, v15
	v_lshl_or_b32 v15, v3, 16, v4
.LBB287_2806:                           ;   in Loop: Header=BB287_2083 Depth=1
	s_or_b32 exec_lo, exec_lo, s28
.LBB287_2807:                           ;   in Loop: Header=BB287_2083 Depth=1
	s_or_b32 exec_lo, exec_lo, s27
.LBB287_2808:                           ;   in Loop: Header=BB287_2083 Depth=1
	s_or_b32 exec_lo, exec_lo, s26
	v_or_b32_e32 v3, v18, v31
	s_waitcnt vmcnt(0) lgkmcnt(0)
	v_fma_mixlo_f16 v4, v0, v18, 0 op_sel:[0,1,0] op_sel_hi:[0,1,0]
	v_or_b32_e32 v2, v1, v2
	v_or_b32_e32 v16, v37, v36
	;; [unrolled: 1-line block ×3, first 2 shown]
	v_fma_mixlo_f16 v3, v0, v3, 0 op_sel_hi:[0,1,0]
	v_fma_mixlo_f16 v5, v0, v1, 0 op_sel:[0,1,0] op_sel_hi:[0,1,0]
	v_lshlrev_b32_e32 v1, 16, v4
	v_fma_mixlo_f16 v4, v0, v2, 0 op_sel_hi:[0,1,0]
	v_fma_mixlo_f16 v16, v0, v16, 0 op_sel_hi:[0,1,0]
	v_and_b32_e32 v2, 0xffff, v3
	v_fma_mixlo_f16 v3, v0, v37, 0 op_sel:[0,1,0] op_sel_hi:[0,1,0]
	v_fma_mixlo_f16 v15, v0, v15, 0 op_sel:[0,1,0] op_sel_hi:[0,1,0]
	v_fma_mixlo_f16 v0, v0, v18, 0 op_sel_hi:[0,1,0]
	v_lshlrev_b32_e32 v5, 16, v5
	v_and_b32_e32 v38, 0xffff, v4
	v_lshlrev_b32_e32 v32, 16, v3
	v_and_b32_e32 v37, 0xffff, v16
	;; [unrolled: 2-line block ×3, first 2 shown]
	v_or_b32_e32 v0, v1, v2
	v_or_b32_e32 v18, v5, v38
	;; [unrolled: 1-line block ×4, first 2 shown]
	s_and_saveexec_b32 s12, s4
	s_cbranch_execz .LBB287_2810
; %bb.2809:                             ;   in Loop: Header=BB287_2083 Depth=1
	v_cndmask_b32_e32 v0, 0, v38, vcc_lo
	v_cndmask_b32_e64 v3, 0, v5, s7
	v_cndmask_b32_e64 v2, 0, v2, s5
	;; [unrolled: 1-line block ×7, first 2 shown]
	v_or_b32_e32 v18, v0, v3
	v_or_b32_e32 v0, v2, v1
	;; [unrolled: 1-line block ×4, first 2 shown]
.LBB287_2810:                           ;   in Loop: Header=BB287_2083 Depth=1
	s_or_b32 exec_lo, exec_lo, s12
	;;#ASMSTART
	v_pk_mul_f16 v1, v40, v18;

	;;#ASMEND
	;;#ASMSTART
	v_pk_mul_f16 v0, v119, v0;

	;;#ASMEND
	;; [unrolled: 4-line block ×4, first 2 shown]
	;;#ASMSTART
	v_pk_add_f16 v0, v1, v0;

	;;#ASMEND
	;;#ASMSTART
	v_pk_add_f16 v0, v0, v2;

	;;#ASMEND
	;; [unrolled: 4-line block ×3, first 2 shown]
	v_and_b32_e32 v1, 0xffff, v0
	v_lshrrev_b32_e32 v0, 16, v0
	;;#ASMSTART
	v_cvt_f32_f16 v75, v1;
	;;#ASMEND
	;;#ASMSTART
	v_cvt_f32_f16 v76, v0;
	;;#ASMEND
	flat_load_dwordx2 v[15:16], v[13:14] offset:768
	flat_load_dword v0, v[22:23]
	v_mov_b32_e32 v1, 0
	v_mov_b32_e32 v2, 0
	s_waitcnt vmcnt(1) lgkmcnt(1)
	v_cmp_ne_u16_sdwa s12, v15, v6 src0_sel:BYTE_0 src1_sel:DWORD
	s_and_saveexec_b32 s26, s12
	s_cbranch_execz .LBB287_2818
; %bb.2811:                             ;   in Loop: Header=BB287_2083 Depth=1
	v_cmp_ne_u16_sdwa s12, v15, v48 src0_sel:BYTE_0 src1_sel:DWORD
	v_mov_b32_e32 v2, 0x8000
	s_and_saveexec_b32 s27, s12
	s_cbranch_execz .LBB287_2817
; %bb.2812:                             ;   in Loop: Header=BB287_2083 Depth=1
	v_and_b32_e32 v18, 0x7f, v15
	v_mov_b32_e32 v2, 0x7c01
	s_mov_b32 s28, exec_lo
	v_cmpx_ne_u32_e32 0x7f, v18
	s_cbranch_execz .LBB287_2816
; %bb.2813:                             ;   in Loop: Header=BB287_2083 Depth=1
	v_and_b32_e32 v2, 7, v15
	v_lshrrev_b32_e32 v5, 3, v18
	s_mov_b32 s29, exec_lo
	v_cmpx_gt_u32_e32 8, v18
; %bb.2814:                             ;   in Loop: Header=BB287_2083 Depth=1
	v_ffbh_u32_e32 v2, v2
	v_min_u32_e32 v2, 32, v2
	v_subrev_nc_u32_e32 v3, 28, v2
	v_sub_nc_u32_e32 v5, 29, v2
	v_lshlrev_b64 v[31:32], v3, v[15:16]
	v_and_b32_e32 v2, 7, v31
; %bb.2815:                             ;   in Loop: Header=BB287_2083 Depth=1
	s_or_b32 exec_lo, exec_lo, s29
	v_lshlrev_b32_e32 v3, 8, v15
	v_lshl_add_u32 v4, v5, 10, 0x2000
	v_lshlrev_b32_e32 v2, 7, v2
	v_and_b32_e32 v3, 0x8000, v3
	v_and_b32_e32 v4, 0xfc00, v4
	v_or3_b32 v2, v3, v4, v2
.LBB287_2816:                           ;   in Loop: Header=BB287_2083 Depth=1
	s_or_b32 exec_lo, exec_lo, s28
.LBB287_2817:                           ;   in Loop: Header=BB287_2083 Depth=1
	s_or_b32 exec_lo, exec_lo, s27
.LBB287_2818:                           ;   in Loop: Header=BB287_2083 Depth=1
	s_or_b32 exec_lo, exec_lo, s26
	v_lshrrev_b16 v5, 8, v15
	s_mov_b32 s26, exec_lo
	v_cmpx_ne_u16_e32 0, v5
	s_cbranch_execz .LBB287_2826
; %bb.2819:                             ;   in Loop: Header=BB287_2083 Depth=1
	v_bfrev_b32_e32 v1, 1
	s_mov_b32 s27, exec_lo
	v_cmpx_ne_u16_e32 0x80, v5
	s_cbranch_execz .LBB287_2825
; %bb.2820:                             ;   in Loop: Header=BB287_2083 Depth=1
	v_and_b32_sdwa v31, v5, v49 dst_sel:DWORD dst_unused:UNUSED_PAD src0_sel:WORD_0 src1_sel:DWORD
	v_mov_b32_e32 v1, 0x7c010000
	s_mov_b32 s28, exec_lo
	v_cmpx_ne_u32_e32 0x7f, v31
	s_cbranch_execz .LBB287_2824
; %bb.2821:                             ;   in Loop: Header=BB287_2083 Depth=1
	v_and_b32_sdwa v1, v5, v50 dst_sel:DWORD dst_unused:UNUSED_PAD src0_sel:WORD_0 src1_sel:DWORD
	v_lshrrev_b32_e32 v18, 3, v31
	s_mov_b32 s29, exec_lo
	v_cmpx_gt_u32_e32 8, v31
; %bb.2822:                             ;   in Loop: Header=BB287_2083 Depth=1
	v_ffbh_u32_e32 v1, v1
	v_min_u32_e32 v1, 32, v1
	v_subrev_nc_u32_e32 v3, 28, v1
	v_sub_nc_u32_e32 v18, 29, v1
	v_lshlrev_b64 v[31:32], v3, v[5:6]
	v_and_b32_e32 v1, 7, v31
; %bb.2823:                             ;   in Loop: Header=BB287_2083 Depth=1
	s_or_b32 exec_lo, exec_lo, s29
	v_lshlrev_b32_sdwa v3, v100, v5 dst_sel:DWORD dst_unused:UNUSED_PAD src0_sel:DWORD src1_sel:WORD_0
	v_lshl_add_u32 v4, v18, 10, 0x2000
	v_lshlrev_b32_e32 v1, 23, v1
	v_and_or_b32 v3, 0x8000, v3, v4
	v_lshl_or_b32 v1, v3, 16, v1
.LBB287_2824:                           ;   in Loop: Header=BB287_2083 Depth=1
	s_or_b32 exec_lo, exec_lo, s28
.LBB287_2825:                           ;   in Loop: Header=BB287_2083 Depth=1
	s_or_b32 exec_lo, exec_lo, s27
.LBB287_2826:                           ;   in Loop: Header=BB287_2083 Depth=1
	s_or_b32 exec_lo, exec_lo, s26
	v_lshrrev_b32_e32 v5, 16, v15
	v_mov_b32_e32 v18, 0
	v_mov_b32_e32 v31, 0
	v_cmp_ne_u16_sdwa s12, v5, v6 src0_sel:BYTE_0 src1_sel:DWORD
	s_and_saveexec_b32 s26, s12
	s_cbranch_execz .LBB287_2834
; %bb.2827:                             ;   in Loop: Header=BB287_2083 Depth=1
	v_cmp_ne_u16_sdwa s12, v5, v48 src0_sel:BYTE_0 src1_sel:DWORD
	v_mov_b32_e32 v31, 0x8000
	s_and_saveexec_b32 s27, s12
	s_cbranch_execz .LBB287_2833
; %bb.2828:                             ;   in Loop: Header=BB287_2083 Depth=1
	v_bfe_u32 v36, v15, 16, 7
	v_mov_b32_e32 v31, 0x7c01
	s_mov_b32 s28, exec_lo
	v_cmpx_ne_u32_e32 0x7f, v36
	s_cbranch_execz .LBB287_2832
; %bb.2829:                             ;   in Loop: Header=BB287_2083 Depth=1
	v_and_b32_e32 v31, 7, v5
	v_lshrrev_b32_e32 v32, 3, v36
	s_mov_b32 s29, exec_lo
	v_cmpx_gt_u32_e32 8, v36
; %bb.2830:                             ;   in Loop: Header=BB287_2083 Depth=1
	v_ffbh_u32_e32 v3, v31
	v_min_u32_e32 v3, 32, v3
	v_subrev_nc_u32_e32 v4, 28, v3
	v_lshlrev_b64 v[31:32], v4, v[5:6]
	v_sub_nc_u32_e32 v32, 29, v3
	v_and_b32_e32 v31, 7, v31
; %bb.2831:                             ;   in Loop: Header=BB287_2083 Depth=1
	s_or_b32 exec_lo, exec_lo, s29
	v_lshlrev_b32_e32 v3, 8, v5
	v_lshl_add_u32 v4, v32, 10, 0x2000
	v_lshlrev_b32_e32 v5, 7, v31
	v_and_b32_e32 v3, 0x8000, v3
	v_and_b32_e32 v4, 0xfc00, v4
	v_or3_b32 v31, v3, v4, v5
.LBB287_2832:                           ;   in Loop: Header=BB287_2083 Depth=1
	s_or_b32 exec_lo, exec_lo, s28
.LBB287_2833:                           ;   in Loop: Header=BB287_2083 Depth=1
	s_or_b32 exec_lo, exec_lo, s27
.LBB287_2834:                           ;   in Loop: Header=BB287_2083 Depth=1
	s_or_b32 exec_lo, exec_lo, s26
	s_mov_b32 s26, exec_lo
	v_cmpx_lt_u32_e32 0xffffff, v15
	s_cbranch_execz .LBB287_2842
; %bb.2835:                             ;   in Loop: Header=BB287_2083 Depth=1
	v_lshrrev_b32_e32 v5, 24, v15
	v_bfrev_b32_e32 v18, 1
	s_mov_b32 s27, exec_lo
	v_cmpx_ne_u32_e32 0x80, v5
	s_cbranch_execz .LBB287_2841
; %bb.2836:                             ;   in Loop: Header=BB287_2083 Depth=1
	v_and_b32_e32 v36, 0x7f, v5
	v_mov_b32_e32 v18, 0x7c010000
	s_mov_b32 s28, exec_lo
	v_cmpx_ne_u32_e32 0x7f, v36
	s_cbranch_execz .LBB287_2840
; %bb.2837:                             ;   in Loop: Header=BB287_2083 Depth=1
	v_and_b32_e32 v18, 7, v5
	v_lshrrev_b32_e32 v32, 3, v36
	s_mov_b32 s29, exec_lo
	v_cmpx_gt_u32_e32 8, v36
; %bb.2838:                             ;   in Loop: Header=BB287_2083 Depth=1
	v_ffbh_u32_e32 v3, v18
	v_min_u32_e32 v3, 32, v3
	v_subrev_nc_u32_e32 v4, 28, v3
	v_sub_nc_u32_e32 v32, 29, v3
	v_lshlrev_b64 v[36:37], v4, v[5:6]
	v_and_b32_e32 v18, 7, v36
; %bb.2839:                             ;   in Loop: Header=BB287_2083 Depth=1
	s_or_b32 exec_lo, exec_lo, s29
	v_lshlrev_b32_e32 v3, 8, v5
	v_lshl_add_u32 v4, v32, 10, 0x2000
	v_and_or_b32 v3, 0x8000, v3, v4
	v_lshlrev_b32_e32 v4, 23, v18
	v_lshl_or_b32 v18, v3, 16, v4
.LBB287_2840:                           ;   in Loop: Header=BB287_2083 Depth=1
	s_or_b32 exec_lo, exec_lo, s28
.LBB287_2841:                           ;   in Loop: Header=BB287_2083 Depth=1
	s_or_b32 exec_lo, exec_lo, s27
.LBB287_2842:                           ;   in Loop: Header=BB287_2083 Depth=1
	s_or_b32 exec_lo, exec_lo, s26
	v_mov_b32_e32 v5, v16
	v_cmp_ne_u16_sdwa s12, v16, v6 src0_sel:BYTE_0 src1_sel:DWORD
	v_mov_b32_e32 v32, 0
	v_mov_b32_e32 v36, 0
	s_and_saveexec_b32 s26, s12
	s_cbranch_execz .LBB287_2850
; %bb.2843:                             ;   in Loop: Header=BB287_2083 Depth=1
	v_cmp_ne_u16_sdwa s12, v16, v48 src0_sel:BYTE_0 src1_sel:DWORD
	v_mov_b32_e32 v36, 0x8000
	s_and_saveexec_b32 s27, s12
	s_cbranch_execz .LBB287_2849
; %bb.2844:                             ;   in Loop: Header=BB287_2083 Depth=1
	v_and_b32_e32 v38, 0x7f, v16
	v_mov_b32_e32 v36, 0x7c01
	s_mov_b32 s28, exec_lo
	v_cmpx_ne_u32_e32 0x7f, v38
	s_cbranch_execz .LBB287_2848
; %bb.2845:                             ;   in Loop: Header=BB287_2083 Depth=1
	v_and_b32_e32 v36, 7, v16
	v_lshrrev_b32_e32 v37, 3, v38
	s_mov_b32 s29, exec_lo
	v_cmpx_gt_u32_e32 8, v38
; %bb.2846:                             ;   in Loop: Header=BB287_2083 Depth=1
	v_ffbh_u32_e32 v3, v36
	v_min_u32_e32 v3, 32, v3
	v_subrev_nc_u32_e32 v4, 28, v3
	v_lshlrev_b64 v[36:37], v4, v[5:6]
	v_sub_nc_u32_e32 v37, 29, v3
	v_and_b32_e32 v36, 7, v36
; %bb.2847:                             ;   in Loop: Header=BB287_2083 Depth=1
	s_or_b32 exec_lo, exec_lo, s29
	v_lshlrev_b32_e32 v3, 8, v16
	v_lshl_add_u32 v4, v37, 10, 0x2000
	v_lshlrev_b32_e32 v36, 7, v36
	v_and_b32_e32 v3, 0x8000, v3
	v_and_b32_e32 v4, 0xfc00, v4
	v_or3_b32 v36, v3, v4, v36
.LBB287_2848:                           ;   in Loop: Header=BB287_2083 Depth=1
	s_or_b32 exec_lo, exec_lo, s28
.LBB287_2849:                           ;   in Loop: Header=BB287_2083 Depth=1
	s_or_b32 exec_lo, exec_lo, s27
.LBB287_2850:                           ;   in Loop: Header=BB287_2083 Depth=1
	s_or_b32 exec_lo, exec_lo, s26
	v_lshrrev_b16 v5, 8, v5
	v_mov_b32_e32 v37, 0
	s_mov_b32 s26, exec_lo
	v_cmpx_ne_u16_e32 0, v5
	s_cbranch_execz .LBB287_2858
; %bb.2851:                             ;   in Loop: Header=BB287_2083 Depth=1
	v_bfrev_b32_e32 v37, 1
	s_mov_b32 s27, exec_lo
	v_cmpx_ne_u16_e32 0x80, v5
	s_cbranch_execz .LBB287_2857
; %bb.2852:                             ;   in Loop: Header=BB287_2083 Depth=1
	v_and_b32_sdwa v39, v5, v49 dst_sel:DWORD dst_unused:UNUSED_PAD src0_sel:WORD_0 src1_sel:DWORD
	v_mov_b32_e32 v37, 0x7c010000
	s_mov_b32 s28, exec_lo
	v_cmpx_ne_u32_e32 0x7f, v39
	s_cbranch_execz .LBB287_2856
; %bb.2853:                             ;   in Loop: Header=BB287_2083 Depth=1
	v_and_b32_sdwa v37, v5, v50 dst_sel:DWORD dst_unused:UNUSED_PAD src0_sel:WORD_0 src1_sel:DWORD
	v_lshrrev_b32_e32 v38, 3, v39
	s_mov_b32 s29, exec_lo
	v_cmpx_gt_u32_e32 8, v39
; %bb.2854:                             ;   in Loop: Header=BB287_2083 Depth=1
	v_ffbh_u32_e32 v3, v37
	v_min_u32_e32 v3, 32, v3
	v_subrev_nc_u32_e32 v4, 28, v3
	v_lshlrev_b64 v[37:38], v4, v[5:6]
	v_sub_nc_u32_e32 v38, 29, v3
	v_and_b32_e32 v37, 7, v37
; %bb.2855:                             ;   in Loop: Header=BB287_2083 Depth=1
	s_or_b32 exec_lo, exec_lo, s29
	v_lshlrev_b32_sdwa v3, v100, v5 dst_sel:DWORD dst_unused:UNUSED_PAD src0_sel:DWORD src1_sel:WORD_0
	v_lshl_add_u32 v4, v38, 10, 0x2000
	v_and_or_b32 v3, 0x8000, v3, v4
	v_lshlrev_b32_e32 v4, 23, v37
	v_lshl_or_b32 v37, v3, 16, v4
.LBB287_2856:                           ;   in Loop: Header=BB287_2083 Depth=1
	s_or_b32 exec_lo, exec_lo, s28
.LBB287_2857:                           ;   in Loop: Header=BB287_2083 Depth=1
	s_or_b32 exec_lo, exec_lo, s27
.LBB287_2858:                           ;   in Loop: Header=BB287_2083 Depth=1
	s_or_b32 exec_lo, exec_lo, s26
	v_lshrrev_b32_e32 v5, 16, v16
	v_cmp_ne_u16_sdwa s12, v5, v6 src0_sel:BYTE_0 src1_sel:DWORD
	s_and_saveexec_b32 s26, s12
	s_cbranch_execz .LBB287_2866
; %bb.2859:                             ;   in Loop: Header=BB287_2083 Depth=1
	v_cmp_ne_u16_sdwa s12, v5, v48 src0_sel:BYTE_0 src1_sel:DWORD
	v_mov_b32_e32 v32, 0x8000
	s_and_saveexec_b32 s27, s12
	s_cbranch_execz .LBB287_2865
; %bb.2860:                             ;   in Loop: Header=BB287_2083 Depth=1
	v_bfe_u32 v39, v16, 16, 7
	v_mov_b32_e32 v32, 0x7c01
	s_mov_b32 s28, exec_lo
	v_cmpx_ne_u32_e32 0x7f, v39
	s_cbranch_execz .LBB287_2864
; %bb.2861:                             ;   in Loop: Header=BB287_2083 Depth=1
	v_and_b32_e32 v32, 7, v5
	v_lshrrev_b32_e32 v38, 3, v39
	s_mov_b32 s29, exec_lo
	v_cmpx_gt_u32_e32 8, v39
; %bb.2862:                             ;   in Loop: Header=BB287_2083 Depth=1
	v_ffbh_u32_e32 v3, v32
	v_min_u32_e32 v3, 32, v3
	v_subrev_nc_u32_e32 v4, 28, v3
	v_sub_nc_u32_e32 v38, 29, v3
	v_lshlrev_b64 v[101:102], v4, v[5:6]
	v_and_b32_e32 v32, 7, v101
; %bb.2863:                             ;   in Loop: Header=BB287_2083 Depth=1
	s_or_b32 exec_lo, exec_lo, s29
	v_lshlrev_b32_e32 v3, 8, v5
	v_lshl_add_u32 v4, v38, 10, 0x2000
	v_lshlrev_b32_e32 v5, 7, v32
	v_and_b32_e32 v3, 0x8000, v3
	v_and_b32_e32 v4, 0xfc00, v4
	v_or3_b32 v32, v3, v4, v5
.LBB287_2864:                           ;   in Loop: Header=BB287_2083 Depth=1
	s_or_b32 exec_lo, exec_lo, s28
.LBB287_2865:                           ;   in Loop: Header=BB287_2083 Depth=1
	s_or_b32 exec_lo, exec_lo, s27
.LBB287_2866:                           ;   in Loop: Header=BB287_2083 Depth=1
	s_or_b32 exec_lo, exec_lo, s26
	v_cmp_lt_u64_e64 s12, s[22:23], v[15:16]
	v_mov_b32_e32 v15, 0
	s_and_saveexec_b32 s26, s12
	s_cbranch_execz .LBB287_2874
; %bb.2867:                             ;   in Loop: Header=BB287_2083 Depth=1
	v_lshrrev_b32_e32 v5, 24, v16
	v_bfrev_b32_e32 v15, 1
	s_mov_b32 s27, exec_lo
	v_cmpx_ne_u32_e32 0x80, v5
	s_cbranch_execz .LBB287_2873
; %bb.2868:                             ;   in Loop: Header=BB287_2083 Depth=1
	v_and_b32_e32 v38, 0x7f, v5
	v_mov_b32_e32 v15, 0x7c010000
	s_mov_b32 s28, exec_lo
	v_cmpx_ne_u32_e32 0x7f, v38
	s_cbranch_execz .LBB287_2872
; %bb.2869:                             ;   in Loop: Header=BB287_2083 Depth=1
	v_and_b32_e32 v15, 7, v5
	v_lshrrev_b32_e32 v16, 3, v38
	s_mov_b32 s29, exec_lo
	v_cmpx_gt_u32_e32 8, v38
; %bb.2870:                             ;   in Loop: Header=BB287_2083 Depth=1
	v_ffbh_u32_e32 v3, v15
	v_min_u32_e32 v3, 32, v3
	v_subrev_nc_u32_e32 v4, 28, v3
	v_lshlrev_b64 v[15:16], v4, v[5:6]
	v_sub_nc_u32_e32 v16, 29, v3
	v_and_b32_e32 v15, 7, v15
; %bb.2871:                             ;   in Loop: Header=BB287_2083 Depth=1
	s_or_b32 exec_lo, exec_lo, s29
	v_lshlrev_b32_e32 v3, 8, v5
	v_lshl_add_u32 v4, v16, 10, 0x2000
	v_and_or_b32 v3, 0x8000, v3, v4
	v_lshlrev_b32_e32 v4, 23, v15
	v_lshl_or_b32 v15, v3, 16, v4
.LBB287_2872:                           ;   in Loop: Header=BB287_2083 Depth=1
	s_or_b32 exec_lo, exec_lo, s28
.LBB287_2873:                           ;   in Loop: Header=BB287_2083 Depth=1
	s_or_b32 exec_lo, exec_lo, s27
.LBB287_2874:                           ;   in Loop: Header=BB287_2083 Depth=1
	s_or_b32 exec_lo, exec_lo, s26
	v_or_b32_e32 v3, v18, v31
	s_waitcnt vmcnt(0) lgkmcnt(0)
	v_fma_mixlo_f16 v4, v0, v18, 0 op_sel:[0,1,0] op_sel_hi:[0,1,0]
	v_or_b32_e32 v2, v1, v2
	v_or_b32_e32 v16, v37, v36
	;; [unrolled: 1-line block ×3, first 2 shown]
	v_fma_mixlo_f16 v3, v0, v3, 0 op_sel_hi:[0,1,0]
	v_fma_mixlo_f16 v5, v0, v1, 0 op_sel:[0,1,0] op_sel_hi:[0,1,0]
	v_lshlrev_b32_e32 v1, 16, v4
	v_fma_mixlo_f16 v4, v0, v2, 0 op_sel_hi:[0,1,0]
	v_fma_mixlo_f16 v16, v0, v16, 0 op_sel_hi:[0,1,0]
	v_and_b32_e32 v2, 0xffff, v3
	v_fma_mixlo_f16 v3, v0, v37, 0 op_sel:[0,1,0] op_sel_hi:[0,1,0]
	v_fma_mixlo_f16 v15, v0, v15, 0 op_sel:[0,1,0] op_sel_hi:[0,1,0]
	v_fma_mixlo_f16 v0, v0, v18, 0 op_sel_hi:[0,1,0]
	v_lshlrev_b32_e32 v5, 16, v5
	v_and_b32_e32 v38, 0xffff, v4
	v_lshlrev_b32_e32 v32, 16, v3
	v_and_b32_e32 v37, 0xffff, v16
	;; [unrolled: 2-line block ×3, first 2 shown]
	v_or_b32_e32 v0, v1, v2
	v_or_b32_e32 v18, v5, v38
	;; [unrolled: 1-line block ×4, first 2 shown]
	s_and_saveexec_b32 s12, s4
	s_cbranch_execz .LBB287_2876
; %bb.2875:                             ;   in Loop: Header=BB287_2083 Depth=1
	v_cndmask_b32_e32 v0, 0, v38, vcc_lo
	v_cndmask_b32_e64 v3, 0, v5, s7
	v_cndmask_b32_e64 v2, 0, v2, s5
	;; [unrolled: 1-line block ×7, first 2 shown]
	v_or_b32_e32 v18, v0, v3
	v_or_b32_e32 v0, v2, v1
	;; [unrolled: 1-line block ×4, first 2 shown]
.LBB287_2876:                           ;   in Loop: Header=BB287_2083 Depth=1
	s_or_b32 exec_lo, exec_lo, s12
	;;#ASMSTART
	v_pk_mul_f16 v1, v40, v18;

	;;#ASMEND
	;;#ASMSTART
	v_pk_mul_f16 v0, v119, v0;

	;;#ASMEND
	;; [unrolled: 4-line block ×4, first 2 shown]
	;;#ASMSTART
	v_pk_add_f16 v0, v1, v0;

	;;#ASMEND
	;;#ASMSTART
	v_pk_add_f16 v0, v0, v2;

	;;#ASMEND
	;;#ASMSTART
	v_pk_add_f16 v0, v0, v3;

	;;#ASMEND
	v_and_b32_e32 v1, 0xffff, v0
	v_lshrrev_b32_e32 v2, 16, v0
	;;#ASMSTART
	v_cvt_f32_f16 v0, v1;
	;;#ASMEND
	;;#ASMSTART
	v_cvt_f32_f16 v1, v2;
	;;#ASMEND
	flat_load_dwordx2 v[15:16], v[13:14] offset:1024
	flat_load_dword v2, v[22:23]
	v_mov_b32_e32 v18, 0
	v_mov_b32_e32 v31, 0
	s_waitcnt vmcnt(1) lgkmcnt(1)
	v_cmp_ne_u16_sdwa s12, v15, v6 src0_sel:BYTE_0 src1_sel:DWORD
	s_and_saveexec_b32 s26, s12
	s_cbranch_execz .LBB287_2884
; %bb.2877:                             ;   in Loop: Header=BB287_2083 Depth=1
	v_cmp_ne_u16_sdwa s12, v15, v48 src0_sel:BYTE_0 src1_sel:DWORD
	v_mov_b32_e32 v31, 0x8000
	s_and_saveexec_b32 s27, s12
	s_cbranch_execz .LBB287_2883
; %bb.2878:                             ;   in Loop: Header=BB287_2083 Depth=1
	v_and_b32_e32 v32, 0x7f, v15
	v_mov_b32_e32 v31, 0x7c01
	s_mov_b32 s28, exec_lo
	v_cmpx_ne_u32_e32 0x7f, v32
	s_cbranch_execz .LBB287_2882
; %bb.2879:                             ;   in Loop: Header=BB287_2083 Depth=1
	v_and_b32_e32 v5, 7, v15
	v_lshrrev_b32_e32 v31, 3, v32
	s_mov_b32 s29, exec_lo
	v_cmpx_gt_u32_e32 8, v32
; %bb.2880:                             ;   in Loop: Header=BB287_2083 Depth=1
	v_ffbh_u32_e32 v3, v5
	v_min_u32_e32 v3, 32, v3
	v_subrev_nc_u32_e32 v4, 28, v3
	v_sub_nc_u32_e32 v31, 29, v3
	v_lshlrev_b64 v[36:37], v4, v[15:16]
	v_and_b32_e32 v5, 7, v36
; %bb.2881:                             ;   in Loop: Header=BB287_2083 Depth=1
	s_or_b32 exec_lo, exec_lo, s29
	v_lshlrev_b32_e32 v3, 8, v15
	v_lshl_add_u32 v4, v31, 10, 0x2000
	v_lshlrev_b32_e32 v5, 7, v5
	v_and_b32_e32 v3, 0x8000, v3
	v_and_b32_e32 v4, 0xfc00, v4
	v_or3_b32 v31, v3, v4, v5
.LBB287_2882:                           ;   in Loop: Header=BB287_2083 Depth=1
	s_or_b32 exec_lo, exec_lo, s28
.LBB287_2883:                           ;   in Loop: Header=BB287_2083 Depth=1
	s_or_b32 exec_lo, exec_lo, s27
.LBB287_2884:                           ;   in Loop: Header=BB287_2083 Depth=1
	s_or_b32 exec_lo, exec_lo, s26
	v_lshrrev_b16 v5, 8, v15
	s_mov_b32 s26, exec_lo
	v_cmpx_ne_u16_e32 0, v5
	s_cbranch_execz .LBB287_2892
; %bb.2885:                             ;   in Loop: Header=BB287_2083 Depth=1
	v_bfrev_b32_e32 v18, 1
	s_mov_b32 s27, exec_lo
	v_cmpx_ne_u16_e32 0x80, v5
	s_cbranch_execz .LBB287_2891
; %bb.2886:                             ;   in Loop: Header=BB287_2083 Depth=1
	v_and_b32_sdwa v36, v5, v49 dst_sel:DWORD dst_unused:UNUSED_PAD src0_sel:WORD_0 src1_sel:DWORD
	v_mov_b32_e32 v18, 0x7c010000
	s_mov_b32 s28, exec_lo
	v_cmpx_ne_u32_e32 0x7f, v36
	s_cbranch_execz .LBB287_2890
; %bb.2887:                             ;   in Loop: Header=BB287_2083 Depth=1
	v_and_b32_sdwa v18, v5, v50 dst_sel:DWORD dst_unused:UNUSED_PAD src0_sel:WORD_0 src1_sel:DWORD
	v_lshrrev_b32_e32 v32, 3, v36
	s_mov_b32 s29, exec_lo
	v_cmpx_gt_u32_e32 8, v36
; %bb.2888:                             ;   in Loop: Header=BB287_2083 Depth=1
	v_ffbh_u32_e32 v3, v18
	v_min_u32_e32 v3, 32, v3
	v_subrev_nc_u32_e32 v4, 28, v3
	v_sub_nc_u32_e32 v32, 29, v3
	v_lshlrev_b64 v[36:37], v4, v[5:6]
	v_and_b32_e32 v18, 7, v36
; %bb.2889:                             ;   in Loop: Header=BB287_2083 Depth=1
	s_or_b32 exec_lo, exec_lo, s29
	v_lshlrev_b32_sdwa v3, v100, v5 dst_sel:DWORD dst_unused:UNUSED_PAD src0_sel:DWORD src1_sel:WORD_0
	v_lshl_add_u32 v4, v32, 10, 0x2000
	v_and_or_b32 v3, 0x8000, v3, v4
	v_lshlrev_b32_e32 v4, 23, v18
	v_lshl_or_b32 v18, v3, 16, v4
.LBB287_2890:                           ;   in Loop: Header=BB287_2083 Depth=1
	s_or_b32 exec_lo, exec_lo, s28
.LBB287_2891:                           ;   in Loop: Header=BB287_2083 Depth=1
	s_or_b32 exec_lo, exec_lo, s27
.LBB287_2892:                           ;   in Loop: Header=BB287_2083 Depth=1
	s_or_b32 exec_lo, exec_lo, s26
	v_lshrrev_b32_e32 v5, 16, v15
	v_mov_b32_e32 v32, 0
	v_mov_b32_e32 v36, 0
	v_cmp_ne_u16_sdwa s12, v5, v6 src0_sel:BYTE_0 src1_sel:DWORD
	s_and_saveexec_b32 s26, s12
	s_cbranch_execz .LBB287_2900
; %bb.2893:                             ;   in Loop: Header=BB287_2083 Depth=1
	v_cmp_ne_u16_sdwa s12, v5, v48 src0_sel:BYTE_0 src1_sel:DWORD
	v_mov_b32_e32 v36, 0x8000
	s_and_saveexec_b32 s27, s12
	s_cbranch_execz .LBB287_2899
; %bb.2894:                             ;   in Loop: Header=BB287_2083 Depth=1
	v_bfe_u32 v38, v15, 16, 7
	v_mov_b32_e32 v36, 0x7c01
	s_mov_b32 s28, exec_lo
	v_cmpx_ne_u32_e32 0x7f, v38
	s_cbranch_execz .LBB287_2898
; %bb.2895:                             ;   in Loop: Header=BB287_2083 Depth=1
	v_and_b32_e32 v36, 7, v5
	v_lshrrev_b32_e32 v37, 3, v38
	s_mov_b32 s29, exec_lo
	v_cmpx_gt_u32_e32 8, v38
; %bb.2896:                             ;   in Loop: Header=BB287_2083 Depth=1
	v_ffbh_u32_e32 v3, v36
	v_min_u32_e32 v3, 32, v3
	v_subrev_nc_u32_e32 v4, 28, v3
	v_lshlrev_b64 v[36:37], v4, v[5:6]
	v_sub_nc_u32_e32 v37, 29, v3
	v_and_b32_e32 v36, 7, v36
; %bb.2897:                             ;   in Loop: Header=BB287_2083 Depth=1
	s_or_b32 exec_lo, exec_lo, s29
	v_lshlrev_b32_e32 v3, 8, v5
	v_lshl_add_u32 v4, v37, 10, 0x2000
	v_lshlrev_b32_e32 v5, 7, v36
	v_and_b32_e32 v3, 0x8000, v3
	v_and_b32_e32 v4, 0xfc00, v4
	v_or3_b32 v36, v3, v4, v5
.LBB287_2898:                           ;   in Loop: Header=BB287_2083 Depth=1
	s_or_b32 exec_lo, exec_lo, s28
.LBB287_2899:                           ;   in Loop: Header=BB287_2083 Depth=1
	s_or_b32 exec_lo, exec_lo, s27
.LBB287_2900:                           ;   in Loop: Header=BB287_2083 Depth=1
	s_or_b32 exec_lo, exec_lo, s26
	s_mov_b32 s26, exec_lo
	v_cmpx_lt_u32_e32 0xffffff, v15
	s_cbranch_execz .LBB287_2908
; %bb.2901:                             ;   in Loop: Header=BB287_2083 Depth=1
	v_lshrrev_b32_e32 v5, 24, v15
	v_bfrev_b32_e32 v32, 1
	s_mov_b32 s27, exec_lo
	v_cmpx_ne_u32_e32 0x80, v5
	s_cbranch_execz .LBB287_2907
; %bb.2902:                             ;   in Loop: Header=BB287_2083 Depth=1
	v_and_b32_e32 v38, 0x7f, v5
	v_mov_b32_e32 v32, 0x7c010000
	s_mov_b32 s28, exec_lo
	v_cmpx_ne_u32_e32 0x7f, v38
	s_cbranch_execz .LBB287_2906
; %bb.2903:                             ;   in Loop: Header=BB287_2083 Depth=1
	v_and_b32_e32 v32, 7, v5
	v_lshrrev_b32_e32 v37, 3, v38
	s_mov_b32 s29, exec_lo
	v_cmpx_gt_u32_e32 8, v38
; %bb.2904:                             ;   in Loop: Header=BB287_2083 Depth=1
	v_ffbh_u32_e32 v3, v32
	v_min_u32_e32 v3, 32, v3
	v_subrev_nc_u32_e32 v4, 28, v3
	v_sub_nc_u32_e32 v37, 29, v3
	v_lshlrev_b64 v[38:39], v4, v[5:6]
	v_and_b32_e32 v32, 7, v38
; %bb.2905:                             ;   in Loop: Header=BB287_2083 Depth=1
	s_or_b32 exec_lo, exec_lo, s29
	v_lshlrev_b32_e32 v3, 8, v5
	v_lshl_add_u32 v4, v37, 10, 0x2000
	v_and_or_b32 v3, 0x8000, v3, v4
	v_lshlrev_b32_e32 v4, 23, v32
	v_lshl_or_b32 v32, v3, 16, v4
.LBB287_2906:                           ;   in Loop: Header=BB287_2083 Depth=1
	s_or_b32 exec_lo, exec_lo, s28
.LBB287_2907:                           ;   in Loop: Header=BB287_2083 Depth=1
	s_or_b32 exec_lo, exec_lo, s27
.LBB287_2908:                           ;   in Loop: Header=BB287_2083 Depth=1
	s_or_b32 exec_lo, exec_lo, s26
	v_mov_b32_e32 v5, v16
	v_cmp_ne_u16_sdwa s12, v16, v6 src0_sel:BYTE_0 src1_sel:DWORD
	v_mov_b32_e32 v37, 0
	v_mov_b32_e32 v38, 0
	s_and_saveexec_b32 s26, s12
	s_cbranch_execz .LBB287_2916
; %bb.2909:                             ;   in Loop: Header=BB287_2083 Depth=1
	v_cmp_ne_u16_sdwa s12, v16, v48 src0_sel:BYTE_0 src1_sel:DWORD
	v_mov_b32_e32 v38, 0x8000
	s_and_saveexec_b32 s27, s12
	s_cbranch_execz .LBB287_2915
; %bb.2910:                             ;   in Loop: Header=BB287_2083 Depth=1
	v_and_b32_e32 v66, 0x7f, v16
	v_mov_b32_e32 v38, 0x7c01
	s_mov_b32 s28, exec_lo
	v_cmpx_ne_u32_e32 0x7f, v66
	s_cbranch_execz .LBB287_2914
; %bb.2911:                             ;   in Loop: Header=BB287_2083 Depth=1
	v_and_b32_e32 v38, 7, v16
	v_lshrrev_b32_e32 v39, 3, v66
	s_mov_b32 s29, exec_lo
	v_cmpx_gt_u32_e32 8, v66
; %bb.2912:                             ;   in Loop: Header=BB287_2083 Depth=1
	v_ffbh_u32_e32 v3, v38
	v_min_u32_e32 v3, 32, v3
	v_subrev_nc_u32_e32 v4, 28, v3
	v_lshlrev_b64 v[38:39], v4, v[5:6]
	v_sub_nc_u32_e32 v39, 29, v3
	v_and_b32_e32 v38, 7, v38
; %bb.2913:                             ;   in Loop: Header=BB287_2083 Depth=1
	s_or_b32 exec_lo, exec_lo, s29
	v_lshlrev_b32_e32 v3, 8, v16
	v_lshl_add_u32 v4, v39, 10, 0x2000
	v_lshlrev_b32_e32 v38, 7, v38
	v_and_b32_e32 v3, 0x8000, v3
	v_and_b32_e32 v4, 0xfc00, v4
	v_or3_b32 v38, v3, v4, v38
.LBB287_2914:                           ;   in Loop: Header=BB287_2083 Depth=1
	s_or_b32 exec_lo, exec_lo, s28
.LBB287_2915:                           ;   in Loop: Header=BB287_2083 Depth=1
	s_or_b32 exec_lo, exec_lo, s27
.LBB287_2916:                           ;   in Loop: Header=BB287_2083 Depth=1
	s_or_b32 exec_lo, exec_lo, s26
	v_lshrrev_b16 v5, 8, v5
	v_mov_b32_e32 v39, 0
	s_mov_b32 s26, exec_lo
	v_cmpx_ne_u16_e32 0, v5
	s_cbranch_execz .LBB287_2924
; %bb.2917:                             ;   in Loop: Header=BB287_2083 Depth=1
	v_bfrev_b32_e32 v39, 1
	s_mov_b32 s27, exec_lo
	v_cmpx_ne_u16_e32 0x80, v5
	s_cbranch_execz .LBB287_2923
; %bb.2918:                             ;   in Loop: Header=BB287_2083 Depth=1
	v_and_b32_sdwa v81, v5, v49 dst_sel:DWORD dst_unused:UNUSED_PAD src0_sel:WORD_0 src1_sel:DWORD
	v_mov_b32_e32 v39, 0x7c010000
	s_mov_b32 s28, exec_lo
	v_cmpx_ne_u32_e32 0x7f, v81
	s_cbranch_execz .LBB287_2922
; %bb.2919:                             ;   in Loop: Header=BB287_2083 Depth=1
	v_and_b32_sdwa v39, v5, v50 dst_sel:DWORD dst_unused:UNUSED_PAD src0_sel:WORD_0 src1_sel:DWORD
	v_lshrrev_b32_e32 v66, 3, v81
	s_mov_b32 s29, exec_lo
	v_cmpx_gt_u32_e32 8, v81
; %bb.2920:                             ;   in Loop: Header=BB287_2083 Depth=1
	v_ffbh_u32_e32 v3, v39
	v_min_u32_e32 v3, 32, v3
	v_subrev_nc_u32_e32 v4, 28, v3
	v_sub_nc_u32_e32 v66, 29, v3
	v_lshlrev_b64 v[101:102], v4, v[5:6]
	v_and_b32_e32 v39, 7, v101
; %bb.2921:                             ;   in Loop: Header=BB287_2083 Depth=1
	s_or_b32 exec_lo, exec_lo, s29
	v_lshlrev_b32_sdwa v3, v100, v5 dst_sel:DWORD dst_unused:UNUSED_PAD src0_sel:DWORD src1_sel:WORD_0
	v_lshl_add_u32 v4, v66, 10, 0x2000
	v_and_or_b32 v3, 0x8000, v3, v4
	v_lshlrev_b32_e32 v4, 23, v39
	v_lshl_or_b32 v39, v3, 16, v4
.LBB287_2922:                           ;   in Loop: Header=BB287_2083 Depth=1
	s_or_b32 exec_lo, exec_lo, s28
.LBB287_2923:                           ;   in Loop: Header=BB287_2083 Depth=1
	s_or_b32 exec_lo, exec_lo, s27
.LBB287_2924:                           ;   in Loop: Header=BB287_2083 Depth=1
	s_or_b32 exec_lo, exec_lo, s26
	v_lshrrev_b32_e32 v5, 16, v16
	v_cmp_ne_u16_sdwa s12, v5, v6 src0_sel:BYTE_0 src1_sel:DWORD
	s_and_saveexec_b32 s26, s12
	s_cbranch_execz .LBB287_2932
; %bb.2925:                             ;   in Loop: Header=BB287_2083 Depth=1
	v_cmp_ne_u16_sdwa s12, v5, v48 src0_sel:BYTE_0 src1_sel:DWORD
	v_mov_b32_e32 v37, 0x8000
	s_and_saveexec_b32 s27, s12
	s_cbranch_execz .LBB287_2931
; %bb.2926:                             ;   in Loop: Header=BB287_2083 Depth=1
	v_bfe_u32 v81, v16, 16, 7
	v_mov_b32_e32 v37, 0x7c01
	s_mov_b32 s28, exec_lo
	v_cmpx_ne_u32_e32 0x7f, v81
	s_cbranch_execz .LBB287_2930
; %bb.2927:                             ;   in Loop: Header=BB287_2083 Depth=1
	v_and_b32_e32 v37, 7, v5
	v_lshrrev_b32_e32 v66, 3, v81
	s_mov_b32 s29, exec_lo
	v_cmpx_gt_u32_e32 8, v81
; %bb.2928:                             ;   in Loop: Header=BB287_2083 Depth=1
	v_ffbh_u32_e32 v3, v37
	v_min_u32_e32 v3, 32, v3
	v_subrev_nc_u32_e32 v4, 28, v3
	v_sub_nc_u32_e32 v66, 29, v3
	v_lshlrev_b64 v[101:102], v4, v[5:6]
	v_and_b32_e32 v37, 7, v101
; %bb.2929:                             ;   in Loop: Header=BB287_2083 Depth=1
	s_or_b32 exec_lo, exec_lo, s29
	v_lshlrev_b32_e32 v3, 8, v5
	v_lshl_add_u32 v4, v66, 10, 0x2000
	v_lshlrev_b32_e32 v5, 7, v37
	v_and_b32_e32 v3, 0x8000, v3
	v_and_b32_e32 v4, 0xfc00, v4
	v_or3_b32 v37, v3, v4, v5
.LBB287_2930:                           ;   in Loop: Header=BB287_2083 Depth=1
	s_or_b32 exec_lo, exec_lo, s28
.LBB287_2931:                           ;   in Loop: Header=BB287_2083 Depth=1
	s_or_b32 exec_lo, exec_lo, s27
.LBB287_2932:                           ;   in Loop: Header=BB287_2083 Depth=1
	s_or_b32 exec_lo, exec_lo, s26
	v_cmp_lt_u64_e64 s12, s[22:23], v[15:16]
	v_mov_b32_e32 v15, 0
	s_and_saveexec_b32 s26, s12
	s_cbranch_execz .LBB287_2940
; %bb.2933:                             ;   in Loop: Header=BB287_2083 Depth=1
	v_lshrrev_b32_e32 v5, 24, v16
	v_bfrev_b32_e32 v15, 1
	s_mov_b32 s27, exec_lo
	v_cmpx_ne_u32_e32 0x80, v5
	s_cbranch_execz .LBB287_2939
; %bb.2934:                             ;   in Loop: Header=BB287_2083 Depth=1
	v_and_b32_e32 v66, 0x7f, v5
	v_mov_b32_e32 v15, 0x7c010000
	s_mov_b32 s28, exec_lo
	v_cmpx_ne_u32_e32 0x7f, v66
	s_cbranch_execz .LBB287_2938
; %bb.2935:                             ;   in Loop: Header=BB287_2083 Depth=1
	v_and_b32_e32 v15, 7, v5
	v_lshrrev_b32_e32 v16, 3, v66
	s_mov_b32 s29, exec_lo
	v_cmpx_gt_u32_e32 8, v66
; %bb.2936:                             ;   in Loop: Header=BB287_2083 Depth=1
	v_ffbh_u32_e32 v3, v15
	v_min_u32_e32 v3, 32, v3
	v_subrev_nc_u32_e32 v4, 28, v3
	v_lshlrev_b64 v[15:16], v4, v[5:6]
	v_sub_nc_u32_e32 v16, 29, v3
	v_and_b32_e32 v15, 7, v15
; %bb.2937:                             ;   in Loop: Header=BB287_2083 Depth=1
	s_or_b32 exec_lo, exec_lo, s29
	v_lshlrev_b32_e32 v3, 8, v5
	v_lshl_add_u32 v4, v16, 10, 0x2000
	v_and_or_b32 v3, 0x8000, v3, v4
	v_lshlrev_b32_e32 v4, 23, v15
	v_lshl_or_b32 v15, v3, 16, v4
.LBB287_2938:                           ;   in Loop: Header=BB287_2083 Depth=1
	s_or_b32 exec_lo, exec_lo, s28
.LBB287_2939:                           ;   in Loop: Header=BB287_2083 Depth=1
	s_or_b32 exec_lo, exec_lo, s27
.LBB287_2940:                           ;   in Loop: Header=BB287_2083 Depth=1
	s_or_b32 exec_lo, exec_lo, s26
	v_or_b32_e32 v3, v32, v36
	s_waitcnt vmcnt(0) lgkmcnt(0)
	v_fma_mixlo_f16 v4, v2, v32, 0 op_sel:[0,1,0] op_sel_hi:[0,1,0]
	v_or_b32_e32 v16, v18, v31
	v_or_b32_e32 v31, v39, v38
	;; [unrolled: 1-line block ×3, first 2 shown]
	v_fma_mixlo_f16 v3, v2, v3, 0 op_sel_hi:[0,1,0]
	v_fma_mixlo_f16 v18, v2, v18, 0 op_sel:[0,1,0] op_sel_hi:[0,1,0]
	v_lshlrev_b32_e32 v5, 16, v4
	v_fma_mixlo_f16 v4, v2, v16, 0 op_sel_hi:[0,1,0]
	v_fma_mixlo_f16 v31, v2, v31, 0 op_sel_hi:[0,1,0]
	v_and_b32_e32 v16, 0xffff, v3
	v_fma_mixlo_f16 v3, v2, v39, 0 op_sel:[0,1,0] op_sel_hi:[0,1,0]
	v_fma_mixlo_f16 v15, v2, v15, 0 op_sel:[0,1,0] op_sel_hi:[0,1,0]
	v_fma_mixlo_f16 v2, v2, v32, 0 op_sel_hi:[0,1,0]
	v_lshlrev_b32_e32 v18, 16, v18
	v_and_b32_e32 v66, 0xffff, v4
	v_lshlrev_b32_e32 v37, 16, v3
	v_and_b32_e32 v39, 0xffff, v31
	;; [unrolled: 2-line block ×3, first 2 shown]
	v_or_b32_e32 v2, v5, v16
	v_or_b32_e32 v32, v18, v66
	v_or_b32_e32 v31, v37, v39
	v_or_b32_e32 v15, v36, v38
	s_and_saveexec_b32 s12, s4
	s_cbranch_execz .LBB287_2942
; %bb.2941:                             ;   in Loop: Header=BB287_2083 Depth=1
	v_cndmask_b32_e32 v2, 0, v66, vcc_lo
	v_cndmask_b32_e64 v3, 0, v18, s7
	v_cndmask_b32_e64 v4, 0, v16, s5
	;; [unrolled: 1-line block ×7, first 2 shown]
	v_or_b32_e32 v32, v2, v3
	v_or_b32_e32 v2, v4, v5
	;; [unrolled: 1-line block ×4, first 2 shown]
.LBB287_2942:                           ;   in Loop: Header=BB287_2083 Depth=1
	s_or_b32 exec_lo, exec_lo, s12
	;;#ASMSTART
	v_pk_mul_f16 v3, v40, v32;

	;;#ASMEND
	;;#ASMSTART
	v_pk_mul_f16 v2, v119, v2;

	;;#ASMEND
	;; [unrolled: 4-line block ×4, first 2 shown]
	;;#ASMSTART
	v_pk_add_f16 v2, v3, v2;

	;;#ASMEND
	;;#ASMSTART
	v_pk_add_f16 v2, v2, v4;

	;;#ASMEND
	;; [unrolled: 4-line block ×3, first 2 shown]
	v_and_b32_e32 v3, 0xffff, v2
	v_lshrrev_b32_e32 v2, 16, v2
	;;#ASMSTART
	v_cvt_f32_f16 v32, v3;
	;;#ASMEND
	;;#ASMSTART
	v_cvt_f32_f16 v77, v2;
	;;#ASMEND
	flat_load_dwordx2 v[15:16], v[13:14] offset:1280
	flat_load_dword v2, v[22:23]
	v_mov_b32_e32 v18, 0
	v_mov_b32_e32 v31, 0
	s_waitcnt vmcnt(1) lgkmcnt(1)
	v_cmp_ne_u16_sdwa s12, v15, v6 src0_sel:BYTE_0 src1_sel:DWORD
	s_and_saveexec_b32 s26, s12
	s_cbranch_execz .LBB287_2950
; %bb.2943:                             ;   in Loop: Header=BB287_2083 Depth=1
	v_cmp_ne_u16_sdwa s12, v15, v48 src0_sel:BYTE_0 src1_sel:DWORD
	v_mov_b32_e32 v31, 0x8000
	s_and_saveexec_b32 s27, s12
	s_cbranch_execz .LBB287_2949
; %bb.2944:                             ;   in Loop: Header=BB287_2083 Depth=1
	v_and_b32_e32 v36, 0x7f, v15
	v_mov_b32_e32 v31, 0x7c01
	s_mov_b32 s28, exec_lo
	v_cmpx_ne_u32_e32 0x7f, v36
	s_cbranch_execz .LBB287_2948
; %bb.2945:                             ;   in Loop: Header=BB287_2083 Depth=1
	v_and_b32_e32 v5, 7, v15
	v_lshrrev_b32_e32 v31, 3, v36
	s_mov_b32 s29, exec_lo
	v_cmpx_gt_u32_e32 8, v36
; %bb.2946:                             ;   in Loop: Header=BB287_2083 Depth=1
	v_ffbh_u32_e32 v3, v5
	v_min_u32_e32 v3, 32, v3
	v_subrev_nc_u32_e32 v4, 28, v3
	v_sub_nc_u32_e32 v31, 29, v3
	v_lshlrev_b64 v[36:37], v4, v[15:16]
	v_and_b32_e32 v5, 7, v36
; %bb.2947:                             ;   in Loop: Header=BB287_2083 Depth=1
	s_or_b32 exec_lo, exec_lo, s29
	v_lshlrev_b32_e32 v3, 8, v15
	v_lshl_add_u32 v4, v31, 10, 0x2000
	v_lshlrev_b32_e32 v5, 7, v5
	v_and_b32_e32 v3, 0x8000, v3
	v_and_b32_e32 v4, 0xfc00, v4
	v_or3_b32 v31, v3, v4, v5
.LBB287_2948:                           ;   in Loop: Header=BB287_2083 Depth=1
	s_or_b32 exec_lo, exec_lo, s28
.LBB287_2949:                           ;   in Loop: Header=BB287_2083 Depth=1
	s_or_b32 exec_lo, exec_lo, s27
.LBB287_2950:                           ;   in Loop: Header=BB287_2083 Depth=1
	s_or_b32 exec_lo, exec_lo, s26
	v_lshrrev_b16 v5, 8, v15
	s_mov_b32 s26, exec_lo
	v_cmpx_ne_u16_e32 0, v5
	s_cbranch_execz .LBB287_2958
; %bb.2951:                             ;   in Loop: Header=BB287_2083 Depth=1
	v_bfrev_b32_e32 v18, 1
	s_mov_b32 s27, exec_lo
	v_cmpx_ne_u16_e32 0x80, v5
	s_cbranch_execz .LBB287_2957
; %bb.2952:                             ;   in Loop: Header=BB287_2083 Depth=1
	v_and_b32_sdwa v37, v5, v49 dst_sel:DWORD dst_unused:UNUSED_PAD src0_sel:WORD_0 src1_sel:DWORD
	v_mov_b32_e32 v18, 0x7c010000
	s_mov_b32 s28, exec_lo
	v_cmpx_ne_u32_e32 0x7f, v37
	s_cbranch_execz .LBB287_2956
; %bb.2953:                             ;   in Loop: Header=BB287_2083 Depth=1
	v_and_b32_sdwa v18, v5, v50 dst_sel:DWORD dst_unused:UNUSED_PAD src0_sel:WORD_0 src1_sel:DWORD
	v_lshrrev_b32_e32 v36, 3, v37
	s_mov_b32 s29, exec_lo
	v_cmpx_gt_u32_e32 8, v37
; %bb.2954:                             ;   in Loop: Header=BB287_2083 Depth=1
	v_ffbh_u32_e32 v3, v18
	v_min_u32_e32 v3, 32, v3
	v_subrev_nc_u32_e32 v4, 28, v3
	v_sub_nc_u32_e32 v36, 29, v3
	v_lshlrev_b64 v[37:38], v4, v[5:6]
	v_and_b32_e32 v18, 7, v37
; %bb.2955:                             ;   in Loop: Header=BB287_2083 Depth=1
	s_or_b32 exec_lo, exec_lo, s29
	v_lshlrev_b32_sdwa v3, v100, v5 dst_sel:DWORD dst_unused:UNUSED_PAD src0_sel:DWORD src1_sel:WORD_0
	v_lshl_add_u32 v4, v36, 10, 0x2000
	v_and_or_b32 v3, 0x8000, v3, v4
	v_lshlrev_b32_e32 v4, 23, v18
	v_lshl_or_b32 v18, v3, 16, v4
.LBB287_2956:                           ;   in Loop: Header=BB287_2083 Depth=1
	s_or_b32 exec_lo, exec_lo, s28
.LBB287_2957:                           ;   in Loop: Header=BB287_2083 Depth=1
	s_or_b32 exec_lo, exec_lo, s27
.LBB287_2958:                           ;   in Loop: Header=BB287_2083 Depth=1
	s_or_b32 exec_lo, exec_lo, s26
	v_lshrrev_b32_e32 v5, 16, v15
	v_mov_b32_e32 v36, 0
	v_mov_b32_e32 v37, 0
	v_cmp_ne_u16_sdwa s12, v5, v6 src0_sel:BYTE_0 src1_sel:DWORD
	s_and_saveexec_b32 s26, s12
	s_cbranch_execz .LBB287_2966
; %bb.2959:                             ;   in Loop: Header=BB287_2083 Depth=1
	v_cmp_ne_u16_sdwa s12, v5, v48 src0_sel:BYTE_0 src1_sel:DWORD
	v_mov_b32_e32 v37, 0x8000
	s_and_saveexec_b32 s27, s12
	s_cbranch_execz .LBB287_2965
; %bb.2960:                             ;   in Loop: Header=BB287_2083 Depth=1
	v_bfe_u32 v39, v15, 16, 7
	v_mov_b32_e32 v37, 0x7c01
	s_mov_b32 s28, exec_lo
	v_cmpx_ne_u32_e32 0x7f, v39
	s_cbranch_execz .LBB287_2964
; %bb.2961:                             ;   in Loop: Header=BB287_2083 Depth=1
	v_and_b32_e32 v37, 7, v5
	v_lshrrev_b32_e32 v38, 3, v39
	s_mov_b32 s29, exec_lo
	v_cmpx_gt_u32_e32 8, v39
; %bb.2962:                             ;   in Loop: Header=BB287_2083 Depth=1
	v_ffbh_u32_e32 v3, v37
	v_min_u32_e32 v3, 32, v3
	v_subrev_nc_u32_e32 v4, 28, v3
	v_lshlrev_b64 v[37:38], v4, v[5:6]
	v_sub_nc_u32_e32 v38, 29, v3
	v_and_b32_e32 v37, 7, v37
; %bb.2963:                             ;   in Loop: Header=BB287_2083 Depth=1
	s_or_b32 exec_lo, exec_lo, s29
	v_lshlrev_b32_e32 v3, 8, v5
	v_lshl_add_u32 v4, v38, 10, 0x2000
	v_lshlrev_b32_e32 v5, 7, v37
	v_and_b32_e32 v3, 0x8000, v3
	v_and_b32_e32 v4, 0xfc00, v4
	v_or3_b32 v37, v3, v4, v5
.LBB287_2964:                           ;   in Loop: Header=BB287_2083 Depth=1
	s_or_b32 exec_lo, exec_lo, s28
.LBB287_2965:                           ;   in Loop: Header=BB287_2083 Depth=1
	s_or_b32 exec_lo, exec_lo, s27
.LBB287_2966:                           ;   in Loop: Header=BB287_2083 Depth=1
	s_or_b32 exec_lo, exec_lo, s26
	s_mov_b32 s26, exec_lo
	v_cmpx_lt_u32_e32 0xffffff, v15
	s_cbranch_execz .LBB287_2974
; %bb.2967:                             ;   in Loop: Header=BB287_2083 Depth=1
	v_lshrrev_b32_e32 v5, 24, v15
	v_bfrev_b32_e32 v36, 1
	s_mov_b32 s27, exec_lo
	v_cmpx_ne_u32_e32 0x80, v5
	s_cbranch_execz .LBB287_2973
; %bb.2968:                             ;   in Loop: Header=BB287_2083 Depth=1
	v_and_b32_e32 v39, 0x7f, v5
	v_mov_b32_e32 v36, 0x7c010000
	s_mov_b32 s28, exec_lo
	v_cmpx_ne_u32_e32 0x7f, v39
	s_cbranch_execz .LBB287_2972
; %bb.2969:                             ;   in Loop: Header=BB287_2083 Depth=1
	v_and_b32_e32 v36, 7, v5
	v_lshrrev_b32_e32 v38, 3, v39
	s_mov_b32 s29, exec_lo
	v_cmpx_gt_u32_e32 8, v39
; %bb.2970:                             ;   in Loop: Header=BB287_2083 Depth=1
	v_ffbh_u32_e32 v3, v36
	v_min_u32_e32 v3, 32, v3
	v_subrev_nc_u32_e32 v4, 28, v3
	v_sub_nc_u32_e32 v38, 29, v3
	v_lshlrev_b64 v[101:102], v4, v[5:6]
	v_and_b32_e32 v36, 7, v101
; %bb.2971:                             ;   in Loop: Header=BB287_2083 Depth=1
	s_or_b32 exec_lo, exec_lo, s29
	v_lshlrev_b32_e32 v3, 8, v5
	v_lshl_add_u32 v4, v38, 10, 0x2000
	v_and_or_b32 v3, 0x8000, v3, v4
	v_lshlrev_b32_e32 v4, 23, v36
	v_lshl_or_b32 v36, v3, 16, v4
.LBB287_2972:                           ;   in Loop: Header=BB287_2083 Depth=1
	s_or_b32 exec_lo, exec_lo, s28
.LBB287_2973:                           ;   in Loop: Header=BB287_2083 Depth=1
	s_or_b32 exec_lo, exec_lo, s27
.LBB287_2974:                           ;   in Loop: Header=BB287_2083 Depth=1
	s_or_b32 exec_lo, exec_lo, s26
	v_mov_b32_e32 v5, v16
	v_cmp_ne_u16_sdwa s12, v16, v6 src0_sel:BYTE_0 src1_sel:DWORD
	v_mov_b32_e32 v38, 0
	v_mov_b32_e32 v39, 0
	s_and_saveexec_b32 s26, s12
	s_cbranch_execz .LBB287_2982
; %bb.2975:                             ;   in Loop: Header=BB287_2083 Depth=1
	v_cmp_ne_u16_sdwa s12, v16, v48 src0_sel:BYTE_0 src1_sel:DWORD
	v_mov_b32_e32 v39, 0x8000
	s_and_saveexec_b32 s27, s12
	s_cbranch_execz .LBB287_2981
; %bb.2976:                             ;   in Loop: Header=BB287_2083 Depth=1
	v_and_b32_e32 v81, 0x7f, v16
	v_mov_b32_e32 v39, 0x7c01
	s_mov_b32 s28, exec_lo
	v_cmpx_ne_u32_e32 0x7f, v81
	s_cbranch_execz .LBB287_2980
; %bb.2977:                             ;   in Loop: Header=BB287_2083 Depth=1
	v_and_b32_e32 v39, 7, v16
	v_lshrrev_b32_e32 v66, 3, v81
	s_mov_b32 s29, exec_lo
	v_cmpx_gt_u32_e32 8, v81
; %bb.2978:                             ;   in Loop: Header=BB287_2083 Depth=1
	v_ffbh_u32_e32 v3, v39
	v_min_u32_e32 v3, 32, v3
	v_subrev_nc_u32_e32 v4, 28, v3
	v_sub_nc_u32_e32 v66, 29, v3
	v_lshlrev_b64 v[101:102], v4, v[5:6]
	v_and_b32_e32 v39, 7, v101
; %bb.2979:                             ;   in Loop: Header=BB287_2083 Depth=1
	s_or_b32 exec_lo, exec_lo, s29
	v_lshlrev_b32_e32 v3, 8, v16
	v_lshl_add_u32 v4, v66, 10, 0x2000
	v_lshlrev_b32_e32 v39, 7, v39
	v_and_b32_e32 v3, 0x8000, v3
	v_and_b32_e32 v4, 0xfc00, v4
	v_or3_b32 v39, v3, v4, v39
.LBB287_2980:                           ;   in Loop: Header=BB287_2083 Depth=1
	s_or_b32 exec_lo, exec_lo, s28
.LBB287_2981:                           ;   in Loop: Header=BB287_2083 Depth=1
	s_or_b32 exec_lo, exec_lo, s27
.LBB287_2982:                           ;   in Loop: Header=BB287_2083 Depth=1
	s_or_b32 exec_lo, exec_lo, s26
	v_lshrrev_b16 v5, 8, v5
	v_mov_b32_e32 v66, 0
	s_mov_b32 s26, exec_lo
	v_cmpx_ne_u16_e32 0, v5
	s_cbranch_execz .LBB287_2990
; %bb.2983:                             ;   in Loop: Header=BB287_2083 Depth=1
	v_bfrev_b32_e32 v66, 1
	s_mov_b32 s27, exec_lo
	v_cmpx_ne_u16_e32 0x80, v5
	s_cbranch_execz .LBB287_2989
; %bb.2984:                             ;   in Loop: Header=BB287_2083 Depth=1
	v_and_b32_sdwa v101, v5, v49 dst_sel:DWORD dst_unused:UNUSED_PAD src0_sel:WORD_0 src1_sel:DWORD
	v_mov_b32_e32 v66, 0x7c010000
	s_mov_b32 s28, exec_lo
	v_cmpx_ne_u32_e32 0x7f, v101
	s_cbranch_execz .LBB287_2988
; %bb.2985:                             ;   in Loop: Header=BB287_2083 Depth=1
	v_and_b32_sdwa v66, v5, v50 dst_sel:DWORD dst_unused:UNUSED_PAD src0_sel:WORD_0 src1_sel:DWORD
	v_lshrrev_b32_e32 v81, 3, v101
	s_mov_b32 s29, exec_lo
	v_cmpx_gt_u32_e32 8, v101
; %bb.2986:                             ;   in Loop: Header=BB287_2083 Depth=1
	v_ffbh_u32_e32 v3, v66
	v_min_u32_e32 v3, 32, v3
	v_subrev_nc_u32_e32 v4, 28, v3
	v_sub_nc_u32_e32 v81, 29, v3
	v_lshlrev_b64 v[101:102], v4, v[5:6]
	v_and_b32_e32 v66, 7, v101
; %bb.2987:                             ;   in Loop: Header=BB287_2083 Depth=1
	s_or_b32 exec_lo, exec_lo, s29
	v_lshlrev_b32_sdwa v3, v100, v5 dst_sel:DWORD dst_unused:UNUSED_PAD src0_sel:DWORD src1_sel:WORD_0
	v_lshl_add_u32 v4, v81, 10, 0x2000
	v_and_or_b32 v3, 0x8000, v3, v4
	v_lshlrev_b32_e32 v4, 23, v66
	v_lshl_or_b32 v66, v3, 16, v4
.LBB287_2988:                           ;   in Loop: Header=BB287_2083 Depth=1
	s_or_b32 exec_lo, exec_lo, s28
.LBB287_2989:                           ;   in Loop: Header=BB287_2083 Depth=1
	s_or_b32 exec_lo, exec_lo, s27
.LBB287_2990:                           ;   in Loop: Header=BB287_2083 Depth=1
	s_or_b32 exec_lo, exec_lo, s26
	v_lshrrev_b32_e32 v5, 16, v16
	v_cmp_ne_u16_sdwa s12, v5, v6 src0_sel:BYTE_0 src1_sel:DWORD
	s_and_saveexec_b32 s26, s12
	s_cbranch_execz .LBB287_2998
; %bb.2991:                             ;   in Loop: Header=BB287_2083 Depth=1
	v_cmp_ne_u16_sdwa s12, v5, v48 src0_sel:BYTE_0 src1_sel:DWORD
	v_mov_b32_e32 v38, 0x8000
	s_and_saveexec_b32 s27, s12
	s_cbranch_execz .LBB287_2997
; %bb.2992:                             ;   in Loop: Header=BB287_2083 Depth=1
	v_bfe_u32 v101, v16, 16, 7
	v_mov_b32_e32 v38, 0x7c01
	s_mov_b32 s28, exec_lo
	v_cmpx_ne_u32_e32 0x7f, v101
	s_cbranch_execz .LBB287_2996
; %bb.2993:                             ;   in Loop: Header=BB287_2083 Depth=1
	v_and_b32_e32 v38, 7, v5
	v_lshrrev_b32_e32 v81, 3, v101
	s_mov_b32 s29, exec_lo
	v_cmpx_gt_u32_e32 8, v101
; %bb.2994:                             ;   in Loop: Header=BB287_2083 Depth=1
	v_ffbh_u32_e32 v3, v38
	v_min_u32_e32 v3, 32, v3
	v_subrev_nc_u32_e32 v4, 28, v3
	v_sub_nc_u32_e32 v81, 29, v3
	v_lshlrev_b64 v[101:102], v4, v[5:6]
	v_and_b32_e32 v38, 7, v101
; %bb.2995:                             ;   in Loop: Header=BB287_2083 Depth=1
	s_or_b32 exec_lo, exec_lo, s29
	v_lshlrev_b32_e32 v3, 8, v5
	v_lshl_add_u32 v4, v81, 10, 0x2000
	v_lshlrev_b32_e32 v5, 7, v38
	v_and_b32_e32 v3, 0x8000, v3
	v_and_b32_e32 v4, 0xfc00, v4
	v_or3_b32 v38, v3, v4, v5
.LBB287_2996:                           ;   in Loop: Header=BB287_2083 Depth=1
	s_or_b32 exec_lo, exec_lo, s28
.LBB287_2997:                           ;   in Loop: Header=BB287_2083 Depth=1
	s_or_b32 exec_lo, exec_lo, s27
.LBB287_2998:                           ;   in Loop: Header=BB287_2083 Depth=1
	s_or_b32 exec_lo, exec_lo, s26
	v_cmp_lt_u64_e64 s12, s[22:23], v[15:16]
	v_mov_b32_e32 v15, 0
	s_and_saveexec_b32 s26, s12
	s_cbranch_execz .LBB287_3006
; %bb.2999:                             ;   in Loop: Header=BB287_2083 Depth=1
	v_lshrrev_b32_e32 v5, 24, v16
	v_bfrev_b32_e32 v15, 1
	s_mov_b32 s27, exec_lo
	v_cmpx_ne_u32_e32 0x80, v5
	s_cbranch_execz .LBB287_3005
; %bb.3000:                             ;   in Loop: Header=BB287_2083 Depth=1
	v_and_b32_e32 v81, 0x7f, v5
	v_mov_b32_e32 v15, 0x7c010000
	s_mov_b32 s28, exec_lo
	v_cmpx_ne_u32_e32 0x7f, v81
	s_cbranch_execz .LBB287_3004
; %bb.3001:                             ;   in Loop: Header=BB287_2083 Depth=1
	v_and_b32_e32 v15, 7, v5
	v_lshrrev_b32_e32 v16, 3, v81
	s_mov_b32 s29, exec_lo
	v_cmpx_gt_u32_e32 8, v81
; %bb.3002:                             ;   in Loop: Header=BB287_2083 Depth=1
	v_ffbh_u32_e32 v3, v15
	v_min_u32_e32 v3, 32, v3
	v_subrev_nc_u32_e32 v4, 28, v3
	v_lshlrev_b64 v[15:16], v4, v[5:6]
	v_sub_nc_u32_e32 v16, 29, v3
	v_and_b32_e32 v15, 7, v15
; %bb.3003:                             ;   in Loop: Header=BB287_2083 Depth=1
	s_or_b32 exec_lo, exec_lo, s29
	v_lshlrev_b32_e32 v3, 8, v5
	v_lshl_add_u32 v4, v16, 10, 0x2000
	v_and_or_b32 v3, 0x8000, v3, v4
	v_lshlrev_b32_e32 v4, 23, v15
	v_lshl_or_b32 v15, v3, 16, v4
.LBB287_3004:                           ;   in Loop: Header=BB287_2083 Depth=1
	s_or_b32 exec_lo, exec_lo, s28
.LBB287_3005:                           ;   in Loop: Header=BB287_2083 Depth=1
	s_or_b32 exec_lo, exec_lo, s27
.LBB287_3006:                           ;   in Loop: Header=BB287_2083 Depth=1
	s_or_b32 exec_lo, exec_lo, s26
	v_or_b32_e32 v3, v36, v37
	s_waitcnt vmcnt(0) lgkmcnt(0)
	v_fma_mixlo_f16 v4, v2, v36, 0 op_sel:[0,1,0] op_sel_hi:[0,1,0]
	v_or_b32_e32 v16, v18, v31
	v_or_b32_e32 v31, v66, v39
	;; [unrolled: 1-line block ×3, first 2 shown]
	v_fma_mixlo_f16 v3, v2, v3, 0 op_sel_hi:[0,1,0]
	v_fma_mixlo_f16 v18, v2, v18, 0 op_sel:[0,1,0] op_sel_hi:[0,1,0]
	v_lshlrev_b32_e32 v5, 16, v4
	v_fma_mixlo_f16 v4, v2, v16, 0 op_sel_hi:[0,1,0]
	v_fma_mixlo_f16 v31, v2, v31, 0 op_sel_hi:[0,1,0]
	v_and_b32_e32 v16, 0xffff, v3
	v_fma_mixlo_f16 v3, v2, v66, 0 op_sel:[0,1,0] op_sel_hi:[0,1,0]
	v_fma_mixlo_f16 v15, v2, v15, 0 op_sel:[0,1,0] op_sel_hi:[0,1,0]
	v_fma_mixlo_f16 v2, v2, v36, 0 op_sel_hi:[0,1,0]
	v_lshlrev_b32_e32 v18, 16, v18
	v_and_b32_e32 v81, 0xffff, v4
	v_lshlrev_b32_e32 v38, 16, v3
	v_and_b32_e32 v66, 0xffff, v31
	;; [unrolled: 2-line block ×3, first 2 shown]
	v_or_b32_e32 v2, v5, v16
	v_or_b32_e32 v36, v18, v81
	;; [unrolled: 1-line block ×4, first 2 shown]
	s_and_saveexec_b32 s12, s4
	s_cbranch_execz .LBB287_3008
; %bb.3007:                             ;   in Loop: Header=BB287_2083 Depth=1
	v_cndmask_b32_e32 v2, 0, v81, vcc_lo
	v_cndmask_b32_e64 v3, 0, v18, s7
	v_cndmask_b32_e64 v4, 0, v16, s5
	;; [unrolled: 1-line block ×7, first 2 shown]
	v_or_b32_e32 v36, v2, v3
	v_or_b32_e32 v2, v4, v5
	;; [unrolled: 1-line block ×4, first 2 shown]
.LBB287_3008:                           ;   in Loop: Header=BB287_2083 Depth=1
	s_or_b32 exec_lo, exec_lo, s12
	;;#ASMSTART
	v_pk_mul_f16 v3, v40, v36;

	;;#ASMEND
	;;#ASMSTART
	v_pk_mul_f16 v2, v119, v2;

	;;#ASMEND
	;; [unrolled: 4-line block ×4, first 2 shown]
	;;#ASMSTART
	v_pk_add_f16 v2, v3, v2;

	;;#ASMEND
	;;#ASMSTART
	v_pk_add_f16 v2, v2, v4;

	;;#ASMEND
	;; [unrolled: 4-line block ×3, first 2 shown]
	v_and_b32_e32 v3, 0xffff, v2
	v_lshrrev_b32_e32 v2, 16, v2
	;;#ASMSTART
	v_cvt_f32_f16 v31, v3;
	;;#ASMEND
	;;#ASMSTART
	v_cvt_f32_f16 v81, v2;
	;;#ASMEND
	flat_load_dwordx2 v[15:16], v[13:14] offset:1536
	flat_load_dword v2, v[22:23]
	v_mov_b32_e32 v18, 0
	v_mov_b32_e32 v36, 0
	s_waitcnt vmcnt(1) lgkmcnt(1)
	v_cmp_ne_u16_sdwa s12, v15, v6 src0_sel:BYTE_0 src1_sel:DWORD
	s_and_saveexec_b32 s26, s12
	s_cbranch_execz .LBB287_3016
; %bb.3009:                             ;   in Loop: Header=BB287_2083 Depth=1
	v_cmp_ne_u16_sdwa s12, v15, v48 src0_sel:BYTE_0 src1_sel:DWORD
	v_mov_b32_e32 v36, 0x8000
	s_and_saveexec_b32 s27, s12
	s_cbranch_execz .LBB287_3015
; %bb.3010:                             ;   in Loop: Header=BB287_2083 Depth=1
	v_and_b32_e32 v37, 0x7f, v15
	v_mov_b32_e32 v36, 0x7c01
	s_mov_b32 s28, exec_lo
	v_cmpx_ne_u32_e32 0x7f, v37
	s_cbranch_execz .LBB287_3014
; %bb.3011:                             ;   in Loop: Header=BB287_2083 Depth=1
	v_and_b32_e32 v5, 7, v15
	v_lshrrev_b32_e32 v36, 3, v37
	s_mov_b32 s29, exec_lo
	v_cmpx_gt_u32_e32 8, v37
; %bb.3012:                             ;   in Loop: Header=BB287_2083 Depth=1
	v_ffbh_u32_e32 v3, v5
	v_min_u32_e32 v3, 32, v3
	v_subrev_nc_u32_e32 v4, 28, v3
	v_sub_nc_u32_e32 v36, 29, v3
	v_lshlrev_b64 v[37:38], v4, v[15:16]
	v_and_b32_e32 v5, 7, v37
; %bb.3013:                             ;   in Loop: Header=BB287_2083 Depth=1
	s_or_b32 exec_lo, exec_lo, s29
	v_lshlrev_b32_e32 v3, 8, v15
	v_lshl_add_u32 v4, v36, 10, 0x2000
	v_lshlrev_b32_e32 v5, 7, v5
	v_and_b32_e32 v3, 0x8000, v3
	v_and_b32_e32 v4, 0xfc00, v4
	v_or3_b32 v36, v3, v4, v5
.LBB287_3014:                           ;   in Loop: Header=BB287_2083 Depth=1
	s_or_b32 exec_lo, exec_lo, s28
.LBB287_3015:                           ;   in Loop: Header=BB287_2083 Depth=1
	s_or_b32 exec_lo, exec_lo, s27
.LBB287_3016:                           ;   in Loop: Header=BB287_2083 Depth=1
	s_or_b32 exec_lo, exec_lo, s26
	v_lshrrev_b16 v5, 8, v15
	s_mov_b32 s26, exec_lo
	v_cmpx_ne_u16_e32 0, v5
	s_cbranch_execz .LBB287_3024
; %bb.3017:                             ;   in Loop: Header=BB287_2083 Depth=1
	v_bfrev_b32_e32 v18, 1
	s_mov_b32 s27, exec_lo
	v_cmpx_ne_u16_e32 0x80, v5
	s_cbranch_execz .LBB287_3023
; %bb.3018:                             ;   in Loop: Header=BB287_2083 Depth=1
	v_and_b32_sdwa v38, v5, v49 dst_sel:DWORD dst_unused:UNUSED_PAD src0_sel:WORD_0 src1_sel:DWORD
	v_mov_b32_e32 v18, 0x7c010000
	s_mov_b32 s28, exec_lo
	v_cmpx_ne_u32_e32 0x7f, v38
	s_cbranch_execz .LBB287_3022
; %bb.3019:                             ;   in Loop: Header=BB287_2083 Depth=1
	v_and_b32_sdwa v18, v5, v50 dst_sel:DWORD dst_unused:UNUSED_PAD src0_sel:WORD_0 src1_sel:DWORD
	v_lshrrev_b32_e32 v37, 3, v38
	s_mov_b32 s29, exec_lo
	v_cmpx_gt_u32_e32 8, v38
; %bb.3020:                             ;   in Loop: Header=BB287_2083 Depth=1
	v_ffbh_u32_e32 v3, v18
	v_min_u32_e32 v3, 32, v3
	v_subrev_nc_u32_e32 v4, 28, v3
	v_sub_nc_u32_e32 v37, 29, v3
	v_lshlrev_b64 v[38:39], v4, v[5:6]
	v_and_b32_e32 v18, 7, v38
; %bb.3021:                             ;   in Loop: Header=BB287_2083 Depth=1
	s_or_b32 exec_lo, exec_lo, s29
	v_lshlrev_b32_sdwa v3, v100, v5 dst_sel:DWORD dst_unused:UNUSED_PAD src0_sel:DWORD src1_sel:WORD_0
	v_lshl_add_u32 v4, v37, 10, 0x2000
	v_and_or_b32 v3, 0x8000, v3, v4
	v_lshlrev_b32_e32 v4, 23, v18
	v_lshl_or_b32 v18, v3, 16, v4
.LBB287_3022:                           ;   in Loop: Header=BB287_2083 Depth=1
	s_or_b32 exec_lo, exec_lo, s28
.LBB287_3023:                           ;   in Loop: Header=BB287_2083 Depth=1
	s_or_b32 exec_lo, exec_lo, s27
.LBB287_3024:                           ;   in Loop: Header=BB287_2083 Depth=1
	s_or_b32 exec_lo, exec_lo, s26
	v_lshrrev_b32_e32 v5, 16, v15
	v_mov_b32_e32 v37, 0
	v_mov_b32_e32 v38, 0
	v_cmp_ne_u16_sdwa s12, v5, v6 src0_sel:BYTE_0 src1_sel:DWORD
	s_and_saveexec_b32 s26, s12
	s_cbranch_execz .LBB287_3032
; %bb.3025:                             ;   in Loop: Header=BB287_2083 Depth=1
	v_cmp_ne_u16_sdwa s12, v5, v48 src0_sel:BYTE_0 src1_sel:DWORD
	v_mov_b32_e32 v38, 0x8000
	s_and_saveexec_b32 s27, s12
	s_cbranch_execz .LBB287_3031
; %bb.3026:                             ;   in Loop: Header=BB287_2083 Depth=1
	v_bfe_u32 v66, v15, 16, 7
	v_mov_b32_e32 v38, 0x7c01
	s_mov_b32 s28, exec_lo
	v_cmpx_ne_u32_e32 0x7f, v66
	s_cbranch_execz .LBB287_3030
; %bb.3027:                             ;   in Loop: Header=BB287_2083 Depth=1
	v_and_b32_e32 v38, 7, v5
	v_lshrrev_b32_e32 v39, 3, v66
	s_mov_b32 s29, exec_lo
	v_cmpx_gt_u32_e32 8, v66
; %bb.3028:                             ;   in Loop: Header=BB287_2083 Depth=1
	v_ffbh_u32_e32 v3, v38
	v_min_u32_e32 v3, 32, v3
	v_subrev_nc_u32_e32 v4, 28, v3
	v_lshlrev_b64 v[38:39], v4, v[5:6]
	v_sub_nc_u32_e32 v39, 29, v3
	v_and_b32_e32 v38, 7, v38
; %bb.3029:                             ;   in Loop: Header=BB287_2083 Depth=1
	s_or_b32 exec_lo, exec_lo, s29
	v_lshlrev_b32_e32 v3, 8, v5
	v_lshl_add_u32 v4, v39, 10, 0x2000
	v_lshlrev_b32_e32 v5, 7, v38
	v_and_b32_e32 v3, 0x8000, v3
	v_and_b32_e32 v4, 0xfc00, v4
	v_or3_b32 v38, v3, v4, v5
.LBB287_3030:                           ;   in Loop: Header=BB287_2083 Depth=1
	s_or_b32 exec_lo, exec_lo, s28
.LBB287_3031:                           ;   in Loop: Header=BB287_2083 Depth=1
	s_or_b32 exec_lo, exec_lo, s27
.LBB287_3032:                           ;   in Loop: Header=BB287_2083 Depth=1
	s_or_b32 exec_lo, exec_lo, s26
	s_mov_b32 s26, exec_lo
	v_cmpx_lt_u32_e32 0xffffff, v15
	s_cbranch_execz .LBB287_3040
; %bb.3033:                             ;   in Loop: Header=BB287_2083 Depth=1
	v_lshrrev_b32_e32 v5, 24, v15
	v_bfrev_b32_e32 v37, 1
	s_mov_b32 s27, exec_lo
	v_cmpx_ne_u32_e32 0x80, v5
	s_cbranch_execz .LBB287_3039
; %bb.3034:                             ;   in Loop: Header=BB287_2083 Depth=1
	v_and_b32_e32 v66, 0x7f, v5
	v_mov_b32_e32 v37, 0x7c010000
	s_mov_b32 s28, exec_lo
	v_cmpx_ne_u32_e32 0x7f, v66
	s_cbranch_execz .LBB287_3038
; %bb.3035:                             ;   in Loop: Header=BB287_2083 Depth=1
	v_and_b32_e32 v37, 7, v5
	v_lshrrev_b32_e32 v39, 3, v66
	s_mov_b32 s29, exec_lo
	v_cmpx_gt_u32_e32 8, v66
; %bb.3036:                             ;   in Loop: Header=BB287_2083 Depth=1
	v_ffbh_u32_e32 v3, v37
	v_min_u32_e32 v3, 32, v3
	v_subrev_nc_u32_e32 v4, 28, v3
	v_sub_nc_u32_e32 v39, 29, v3
	v_lshlrev_b64 v[101:102], v4, v[5:6]
	v_and_b32_e32 v37, 7, v101
; %bb.3037:                             ;   in Loop: Header=BB287_2083 Depth=1
	s_or_b32 exec_lo, exec_lo, s29
	v_lshlrev_b32_e32 v3, 8, v5
	v_lshl_add_u32 v4, v39, 10, 0x2000
	v_and_or_b32 v3, 0x8000, v3, v4
	v_lshlrev_b32_e32 v4, 23, v37
	v_lshl_or_b32 v37, v3, 16, v4
.LBB287_3038:                           ;   in Loop: Header=BB287_2083 Depth=1
	s_or_b32 exec_lo, exec_lo, s28
.LBB287_3039:                           ;   in Loop: Header=BB287_2083 Depth=1
	s_or_b32 exec_lo, exec_lo, s27
.LBB287_3040:                           ;   in Loop: Header=BB287_2083 Depth=1
	s_or_b32 exec_lo, exec_lo, s26
	v_mov_b32_e32 v5, v16
	v_cmp_ne_u16_sdwa s12, v16, v6 src0_sel:BYTE_0 src1_sel:DWORD
	v_mov_b32_e32 v39, 0
	v_mov_b32_e32 v66, 0
	s_and_saveexec_b32 s26, s12
	s_cbranch_execz .LBB287_3048
; %bb.3041:                             ;   in Loop: Header=BB287_2083 Depth=1
	v_cmp_ne_u16_sdwa s12, v16, v48 src0_sel:BYTE_0 src1_sel:DWORD
	v_mov_b32_e32 v66, 0x8000
	s_and_saveexec_b32 s27, s12
	s_cbranch_execz .LBB287_3047
; %bb.3042:                             ;   in Loop: Header=BB287_2083 Depth=1
	v_and_b32_e32 v102, 0x7f, v16
	v_mov_b32_e32 v66, 0x7c01
	s_mov_b32 s28, exec_lo
	v_cmpx_ne_u32_e32 0x7f, v102
	s_cbranch_execz .LBB287_3046
; %bb.3043:                             ;   in Loop: Header=BB287_2083 Depth=1
	v_and_b32_e32 v66, 7, v16
	v_lshrrev_b32_e32 v101, 3, v102
	s_mov_b32 s29, exec_lo
	v_cmpx_gt_u32_e32 8, v102
; %bb.3044:                             ;   in Loop: Header=BB287_2083 Depth=1
	v_ffbh_u32_e32 v3, v66
	v_min_u32_e32 v3, 32, v3
	v_subrev_nc_u32_e32 v4, 28, v3
	v_sub_nc_u32_e32 v101, 29, v3
	v_lshlrev_b64 v[102:103], v4, v[5:6]
	v_and_b32_e32 v66, 7, v102
; %bb.3045:                             ;   in Loop: Header=BB287_2083 Depth=1
	s_or_b32 exec_lo, exec_lo, s29
	v_lshlrev_b32_e32 v3, 8, v16
	v_lshl_add_u32 v4, v101, 10, 0x2000
	v_lshlrev_b32_e32 v66, 7, v66
	v_and_b32_e32 v3, 0x8000, v3
	v_and_b32_e32 v4, 0xfc00, v4
	v_or3_b32 v66, v3, v4, v66
.LBB287_3046:                           ;   in Loop: Header=BB287_2083 Depth=1
	s_or_b32 exec_lo, exec_lo, s28
.LBB287_3047:                           ;   in Loop: Header=BB287_2083 Depth=1
	s_or_b32 exec_lo, exec_lo, s27
.LBB287_3048:                           ;   in Loop: Header=BB287_2083 Depth=1
	s_or_b32 exec_lo, exec_lo, s26
	v_lshrrev_b16 v5, 8, v5
	v_mov_b32_e32 v59, 0
	s_mov_b32 s26, exec_lo
	v_cmpx_ne_u16_e32 0, v5
	s_cbranch_execz .LBB287_3056
; %bb.3049:                             ;   in Loop: Header=BB287_2083 Depth=1
	v_bfrev_b32_e32 v59, 1
	s_mov_b32 s27, exec_lo
	v_cmpx_ne_u16_e32 0x80, v5
	s_cbranch_execz .LBB287_3055
; %bb.3050:                             ;   in Loop: Header=BB287_2083 Depth=1
	v_and_b32_sdwa v61, v5, v49 dst_sel:DWORD dst_unused:UNUSED_PAD src0_sel:WORD_0 src1_sel:DWORD
	v_mov_b32_e32 v59, 0x7c010000
	s_mov_b32 s28, exec_lo
	v_cmpx_ne_u32_e32 0x7f, v61
	s_cbranch_execz .LBB287_3054
; %bb.3051:                             ;   in Loop: Header=BB287_2083 Depth=1
	v_and_b32_sdwa v101, v5, v50 dst_sel:DWORD dst_unused:UNUSED_PAD src0_sel:WORD_0 src1_sel:DWORD
	v_lshrrev_b32_e32 v102, 3, v61
	s_mov_b32 s29, exec_lo
	v_cmpx_gt_u32_e32 8, v61
; %bb.3052:                             ;   in Loop: Header=BB287_2083 Depth=1
	v_ffbh_u32_e32 v3, v101
	v_min_u32_e32 v3, 32, v3
	v_subrev_nc_u32_e32 v4, 28, v3
	v_lshlrev_b64 v[101:102], v4, v[5:6]
	v_sub_nc_u32_e32 v102, 29, v3
	v_and_b32_e32 v101, 7, v101
; %bb.3053:                             ;   in Loop: Header=BB287_2083 Depth=1
	s_or_b32 exec_lo, exec_lo, s29
	v_lshlrev_b32_sdwa v3, v100, v5 dst_sel:DWORD dst_unused:UNUSED_PAD src0_sel:DWORD src1_sel:WORD_0
	v_lshl_add_u32 v4, v102, 10, 0x2000
	v_and_or_b32 v3, 0x8000, v3, v4
	v_lshlrev_b32_e32 v4, 23, v101
	v_lshl_or_b32 v59, v3, 16, v4
.LBB287_3054:                           ;   in Loop: Header=BB287_2083 Depth=1
	s_or_b32 exec_lo, exec_lo, s28
.LBB287_3055:                           ;   in Loop: Header=BB287_2083 Depth=1
	s_or_b32 exec_lo, exec_lo, s27
.LBB287_3056:                           ;   in Loop: Header=BB287_2083 Depth=1
	s_or_b32 exec_lo, exec_lo, s26
	v_lshrrev_b32_e32 v5, 16, v16
	v_cmp_ne_u16_sdwa s12, v5, v6 src0_sel:BYTE_0 src1_sel:DWORD
	s_and_saveexec_b32 s26, s12
	s_cbranch_execz .LBB287_3064
; %bb.3057:                             ;   in Loop: Header=BB287_2083 Depth=1
	v_cmp_ne_u16_sdwa s12, v5, v48 src0_sel:BYTE_0 src1_sel:DWORD
	v_mov_b32_e32 v39, 0x8000
	s_and_saveexec_b32 s27, s12
	s_cbranch_execz .LBB287_3063
; %bb.3058:                             ;   in Loop: Header=BB287_2083 Depth=1
	v_bfe_u32 v102, v16, 16, 7
	v_mov_b32_e32 v39, 0x7c01
	s_mov_b32 s28, exec_lo
	v_cmpx_ne_u32_e32 0x7f, v102
	s_cbranch_execz .LBB287_3062
; %bb.3059:                             ;   in Loop: Header=BB287_2083 Depth=1
	v_and_b32_e32 v39, 7, v5
	v_lshrrev_b32_e32 v101, 3, v102
	s_mov_b32 s29, exec_lo
	v_cmpx_gt_u32_e32 8, v102
; %bb.3060:                             ;   in Loop: Header=BB287_2083 Depth=1
	v_ffbh_u32_e32 v3, v39
	v_min_u32_e32 v3, 32, v3
	v_subrev_nc_u32_e32 v4, 28, v3
	v_sub_nc_u32_e32 v101, 29, v3
	v_lshlrev_b64 v[102:103], v4, v[5:6]
	v_and_b32_e32 v39, 7, v102
; %bb.3061:                             ;   in Loop: Header=BB287_2083 Depth=1
	s_or_b32 exec_lo, exec_lo, s29
	v_lshlrev_b32_e32 v3, 8, v5
	v_lshl_add_u32 v4, v101, 10, 0x2000
	v_lshlrev_b32_e32 v5, 7, v39
	v_and_b32_e32 v3, 0x8000, v3
	v_and_b32_e32 v4, 0xfc00, v4
	v_or3_b32 v39, v3, v4, v5
.LBB287_3062:                           ;   in Loop: Header=BB287_2083 Depth=1
	s_or_b32 exec_lo, exec_lo, s28
.LBB287_3063:                           ;   in Loop: Header=BB287_2083 Depth=1
	s_or_b32 exec_lo, exec_lo, s27
.LBB287_3064:                           ;   in Loop: Header=BB287_2083 Depth=1
	s_or_b32 exec_lo, exec_lo, s26
	v_cmp_lt_u64_e64 s12, s[22:23], v[15:16]
	v_mov_b32_e32 v15, 0
	s_and_saveexec_b32 s26, s12
	s_cbranch_execz .LBB287_3072
; %bb.3065:                             ;   in Loop: Header=BB287_2083 Depth=1
	v_lshrrev_b32_e32 v5, 24, v16
	v_bfrev_b32_e32 v15, 1
	s_mov_b32 s27, exec_lo
	v_cmpx_ne_u32_e32 0x80, v5
	s_cbranch_execz .LBB287_3071
; %bb.3066:                             ;   in Loop: Header=BB287_2083 Depth=1
	v_and_b32_e32 v101, 0x7f, v5
	v_mov_b32_e32 v15, 0x7c010000
	s_mov_b32 s28, exec_lo
	v_cmpx_ne_u32_e32 0x7f, v101
	s_cbranch_execz .LBB287_3070
; %bb.3067:                             ;   in Loop: Header=BB287_2083 Depth=1
	v_and_b32_e32 v15, 7, v5
	v_lshrrev_b32_e32 v16, 3, v101
	s_mov_b32 s29, exec_lo
	v_cmpx_gt_u32_e32 8, v101
; %bb.3068:                             ;   in Loop: Header=BB287_2083 Depth=1
	v_ffbh_u32_e32 v3, v15
	v_min_u32_e32 v3, 32, v3
	v_subrev_nc_u32_e32 v4, 28, v3
	v_lshlrev_b64 v[15:16], v4, v[5:6]
	v_sub_nc_u32_e32 v16, 29, v3
	v_and_b32_e32 v15, 7, v15
; %bb.3069:                             ;   in Loop: Header=BB287_2083 Depth=1
	s_or_b32 exec_lo, exec_lo, s29
	v_lshlrev_b32_e32 v3, 8, v5
	v_lshl_add_u32 v4, v16, 10, 0x2000
	v_and_or_b32 v3, 0x8000, v3, v4
	v_lshlrev_b32_e32 v4, 23, v15
	v_lshl_or_b32 v15, v3, 16, v4
.LBB287_3070:                           ;   in Loop: Header=BB287_2083 Depth=1
	s_or_b32 exec_lo, exec_lo, s28
.LBB287_3071:                           ;   in Loop: Header=BB287_2083 Depth=1
	s_or_b32 exec_lo, exec_lo, s27
.LBB287_3072:                           ;   in Loop: Header=BB287_2083 Depth=1
	s_or_b32 exec_lo, exec_lo, s26
	v_or_b32_e32 v3, v37, v38
	s_waitcnt vmcnt(0) lgkmcnt(0)
	v_fma_mixlo_f16 v4, v2, v37, 0 op_sel:[0,1,0] op_sel_hi:[0,1,0]
	v_or_b32_e32 v16, v18, v36
	v_or_b32_e32 v36, v59, v66
	;; [unrolled: 1-line block ×3, first 2 shown]
	v_fma_mixlo_f16 v3, v2, v3, 0 op_sel_hi:[0,1,0]
	v_fma_mixlo_f16 v18, v2, v18, 0 op_sel:[0,1,0] op_sel_hi:[0,1,0]
	v_lshlrev_b32_e32 v5, 16, v4
	v_fma_mixlo_f16 v4, v2, v16, 0 op_sel_hi:[0,1,0]
	v_fma_mixlo_f16 v36, v2, v36, 0 op_sel_hi:[0,1,0]
	v_and_b32_e32 v16, 0xffff, v3
	v_fma_mixlo_f16 v3, v2, v59, 0 op_sel:[0,1,0] op_sel_hi:[0,1,0]
	v_fma_mixlo_f16 v15, v2, v15, 0 op_sel:[0,1,0] op_sel_hi:[0,1,0]
	v_fma_mixlo_f16 v2, v2, v37, 0 op_sel_hi:[0,1,0]
	v_lshlrev_b32_e32 v18, 16, v18
	v_and_b32_e32 v102, 0xffff, v4
	v_lshlrev_b32_e32 v39, 16, v3
	v_and_b32_e32 v101, 0xffff, v36
	;; [unrolled: 2-line block ×3, first 2 shown]
	v_or_b32_e32 v2, v5, v16
	v_or_b32_e32 v37, v18, v102
	;; [unrolled: 1-line block ×4, first 2 shown]
	s_and_saveexec_b32 s12, s4
	s_cbranch_execz .LBB287_3074
; %bb.3073:                             ;   in Loop: Header=BB287_2083 Depth=1
	v_cndmask_b32_e32 v2, 0, v102, vcc_lo
	v_cndmask_b32_e64 v3, 0, v18, s7
	v_cndmask_b32_e64 v4, 0, v16, s5
	;; [unrolled: 1-line block ×7, first 2 shown]
	v_or_b32_e32 v37, v2, v3
	v_or_b32_e32 v2, v4, v5
	;; [unrolled: 1-line block ×4, first 2 shown]
.LBB287_3074:                           ;   in Loop: Header=BB287_2083 Depth=1
	s_or_b32 exec_lo, exec_lo, s12
	;;#ASMSTART
	v_pk_mul_f16 v3, v40, v37;

	;;#ASMEND
	;;#ASMSTART
	v_pk_mul_f16 v2, v119, v2;

	;;#ASMEND
	;; [unrolled: 4-line block ×4, first 2 shown]
	;;#ASMSTART
	v_pk_add_f16 v2, v3, v2;

	;;#ASMEND
	;;#ASMSTART
	v_pk_add_f16 v2, v2, v4;

	;;#ASMEND
	;;#ASMSTART
	v_pk_add_f16 v2, v2, v5;

	;;#ASMEND
	v_and_b32_e32 v3, 0xffff, v2
	v_lshrrev_b32_e32 v4, 16, v2
	;;#ASMSTART
	v_cvt_f32_f16 v2, v3;
	;;#ASMEND
	;;#ASMSTART
	v_cvt_f32_f16 v18, v4;
	;;#ASMEND
	flat_load_dwordx2 v[13:14], v[13:14] offset:1792
	flat_load_dword v15, v[22:23]
	v_mov_b32_e32 v16, 0
	v_mov_b32_e32 v36, 0
	s_waitcnt vmcnt(1) lgkmcnt(1)
	v_cmp_ne_u16_sdwa s12, v13, v6 src0_sel:BYTE_0 src1_sel:DWORD
	s_and_saveexec_b32 s26, s12
	s_cbranch_execz .LBB287_3082
; %bb.3075:                             ;   in Loop: Header=BB287_2083 Depth=1
	v_cmp_ne_u16_sdwa s12, v13, v48 src0_sel:BYTE_0 src1_sel:DWORD
	v_mov_b32_e32 v36, 0x8000
	s_and_saveexec_b32 s27, s12
	s_cbranch_execz .LBB287_3081
; %bb.3076:                             ;   in Loop: Header=BB287_2083 Depth=1
	v_and_b32_e32 v37, 0x7f, v13
	v_mov_b32_e32 v36, 0x7c01
	s_mov_b32 s28, exec_lo
	v_cmpx_ne_u32_e32 0x7f, v37
	s_cbranch_execz .LBB287_3080
; %bb.3077:                             ;   in Loop: Header=BB287_2083 Depth=1
	v_and_b32_e32 v5, 7, v13
	v_lshrrev_b32_e32 v36, 3, v37
	s_mov_b32 s29, exec_lo
	v_cmpx_gt_u32_e32 8, v37
; %bb.3078:                             ;   in Loop: Header=BB287_2083 Depth=1
	v_ffbh_u32_e32 v3, v5
	v_min_u32_e32 v3, 32, v3
	v_subrev_nc_u32_e32 v4, 28, v3
	v_sub_nc_u32_e32 v36, 29, v3
	v_lshlrev_b64 v[37:38], v4, v[13:14]
	v_and_b32_e32 v5, 7, v37
; %bb.3079:                             ;   in Loop: Header=BB287_2083 Depth=1
	s_or_b32 exec_lo, exec_lo, s29
	v_lshlrev_b32_e32 v3, 8, v13
	v_lshl_add_u32 v4, v36, 10, 0x2000
	v_lshlrev_b32_e32 v5, 7, v5
	v_and_b32_e32 v3, 0x8000, v3
	v_and_b32_e32 v4, 0xfc00, v4
	v_or3_b32 v36, v3, v4, v5
.LBB287_3080:                           ;   in Loop: Header=BB287_2083 Depth=1
	s_or_b32 exec_lo, exec_lo, s28
.LBB287_3081:                           ;   in Loop: Header=BB287_2083 Depth=1
	s_or_b32 exec_lo, exec_lo, s27
.LBB287_3082:                           ;   in Loop: Header=BB287_2083 Depth=1
	s_or_b32 exec_lo, exec_lo, s26
	v_lshrrev_b16 v5, 8, v13
	s_mov_b32 s26, exec_lo
	v_cmpx_ne_u16_e32 0, v5
	s_cbranch_execz .LBB287_3090
; %bb.3083:                             ;   in Loop: Header=BB287_2083 Depth=1
	v_bfrev_b32_e32 v16, 1
	s_mov_b32 s27, exec_lo
	v_cmpx_ne_u16_e32 0x80, v5
	s_cbranch_execz .LBB287_3089
; %bb.3084:                             ;   in Loop: Header=BB287_2083 Depth=1
	v_and_b32_sdwa v38, v5, v49 dst_sel:DWORD dst_unused:UNUSED_PAD src0_sel:WORD_0 src1_sel:DWORD
	v_mov_b32_e32 v16, 0x7c010000
	s_mov_b32 s28, exec_lo
	v_cmpx_ne_u32_e32 0x7f, v38
	s_cbranch_execz .LBB287_3088
; %bb.3085:                             ;   in Loop: Header=BB287_2083 Depth=1
	v_and_b32_sdwa v16, v5, v50 dst_sel:DWORD dst_unused:UNUSED_PAD src0_sel:WORD_0 src1_sel:DWORD
	v_lshrrev_b32_e32 v37, 3, v38
	s_mov_b32 s29, exec_lo
	v_cmpx_gt_u32_e32 8, v38
; %bb.3086:                             ;   in Loop: Header=BB287_2083 Depth=1
	v_ffbh_u32_e32 v3, v16
	v_min_u32_e32 v3, 32, v3
	v_subrev_nc_u32_e32 v4, 28, v3
	v_sub_nc_u32_e32 v37, 29, v3
	v_lshlrev_b64 v[38:39], v4, v[5:6]
	v_and_b32_e32 v16, 7, v38
; %bb.3087:                             ;   in Loop: Header=BB287_2083 Depth=1
	s_or_b32 exec_lo, exec_lo, s29
	v_lshlrev_b32_sdwa v3, v100, v5 dst_sel:DWORD dst_unused:UNUSED_PAD src0_sel:DWORD src1_sel:WORD_0
	v_lshl_add_u32 v4, v37, 10, 0x2000
	v_and_or_b32 v3, 0x8000, v3, v4
	v_lshlrev_b32_e32 v4, 23, v16
	v_lshl_or_b32 v16, v3, 16, v4
.LBB287_3088:                           ;   in Loop: Header=BB287_2083 Depth=1
	s_or_b32 exec_lo, exec_lo, s28
.LBB287_3089:                           ;   in Loop: Header=BB287_2083 Depth=1
	s_or_b32 exec_lo, exec_lo, s27
.LBB287_3090:                           ;   in Loop: Header=BB287_2083 Depth=1
	s_or_b32 exec_lo, exec_lo, s26
	v_lshrrev_b32_e32 v5, 16, v13
	v_mov_b32_e32 v37, 0
	v_mov_b32_e32 v38, 0
	v_cmp_ne_u16_sdwa s12, v5, v6 src0_sel:BYTE_0 src1_sel:DWORD
	s_and_saveexec_b32 s26, s12
	s_cbranch_execz .LBB287_3098
; %bb.3091:                             ;   in Loop: Header=BB287_2083 Depth=1
	v_cmp_ne_u16_sdwa s12, v5, v48 src0_sel:BYTE_0 src1_sel:DWORD
	v_mov_b32_e32 v38, 0x8000
	s_and_saveexec_b32 s27, s12
	s_cbranch_execz .LBB287_3097
; %bb.3092:                             ;   in Loop: Header=BB287_2083 Depth=1
	v_bfe_u32 v66, v13, 16, 7
	v_mov_b32_e32 v38, 0x7c01
	s_mov_b32 s28, exec_lo
	v_cmpx_ne_u32_e32 0x7f, v66
	s_cbranch_execz .LBB287_3096
; %bb.3093:                             ;   in Loop: Header=BB287_2083 Depth=1
	v_and_b32_e32 v38, 7, v5
	v_lshrrev_b32_e32 v39, 3, v66
	s_mov_b32 s29, exec_lo
	v_cmpx_gt_u32_e32 8, v66
; %bb.3094:                             ;   in Loop: Header=BB287_2083 Depth=1
	v_ffbh_u32_e32 v3, v38
	v_min_u32_e32 v3, 32, v3
	v_subrev_nc_u32_e32 v4, 28, v3
	v_lshlrev_b64 v[38:39], v4, v[5:6]
	v_sub_nc_u32_e32 v39, 29, v3
	v_and_b32_e32 v38, 7, v38
; %bb.3095:                             ;   in Loop: Header=BB287_2083 Depth=1
	s_or_b32 exec_lo, exec_lo, s29
	v_lshlrev_b32_e32 v3, 8, v5
	v_lshl_add_u32 v4, v39, 10, 0x2000
	v_lshlrev_b32_e32 v5, 7, v38
	v_and_b32_e32 v3, 0x8000, v3
	v_and_b32_e32 v4, 0xfc00, v4
	v_or3_b32 v38, v3, v4, v5
.LBB287_3096:                           ;   in Loop: Header=BB287_2083 Depth=1
	s_or_b32 exec_lo, exec_lo, s28
.LBB287_3097:                           ;   in Loop: Header=BB287_2083 Depth=1
	s_or_b32 exec_lo, exec_lo, s27
.LBB287_3098:                           ;   in Loop: Header=BB287_2083 Depth=1
	s_or_b32 exec_lo, exec_lo, s26
	s_mov_b32 s26, exec_lo
	v_cmpx_lt_u32_e32 0xffffff, v13
	s_cbranch_execz .LBB287_3106
; %bb.3099:                             ;   in Loop: Header=BB287_2083 Depth=1
	v_lshrrev_b32_e32 v5, 24, v13
	v_bfrev_b32_e32 v37, 1
	s_mov_b32 s27, exec_lo
	v_cmpx_ne_u32_e32 0x80, v5
	s_cbranch_execz .LBB287_3105
; %bb.3100:                             ;   in Loop: Header=BB287_2083 Depth=1
	v_and_b32_e32 v66, 0x7f, v5
	v_mov_b32_e32 v37, 0x7c010000
	s_mov_b32 s28, exec_lo
	v_cmpx_ne_u32_e32 0x7f, v66
	s_cbranch_execz .LBB287_3104
; %bb.3101:                             ;   in Loop: Header=BB287_2083 Depth=1
	v_and_b32_e32 v37, 7, v5
	v_lshrrev_b32_e32 v39, 3, v66
	s_mov_b32 s29, exec_lo
	v_cmpx_gt_u32_e32 8, v66
; %bb.3102:                             ;   in Loop: Header=BB287_2083 Depth=1
	v_ffbh_u32_e32 v3, v37
	v_min_u32_e32 v3, 32, v3
	v_subrev_nc_u32_e32 v4, 28, v3
	v_sub_nc_u32_e32 v39, 29, v3
	v_lshlrev_b64 v[101:102], v4, v[5:6]
	v_and_b32_e32 v37, 7, v101
; %bb.3103:                             ;   in Loop: Header=BB287_2083 Depth=1
	s_or_b32 exec_lo, exec_lo, s29
	v_lshlrev_b32_e32 v3, 8, v5
	v_lshl_add_u32 v4, v39, 10, 0x2000
	v_and_or_b32 v3, 0x8000, v3, v4
	v_lshlrev_b32_e32 v4, 23, v37
	v_lshl_or_b32 v37, v3, 16, v4
.LBB287_3104:                           ;   in Loop: Header=BB287_2083 Depth=1
	s_or_b32 exec_lo, exec_lo, s28
.LBB287_3105:                           ;   in Loop: Header=BB287_2083 Depth=1
	s_or_b32 exec_lo, exec_lo, s27
.LBB287_3106:                           ;   in Loop: Header=BB287_2083 Depth=1
	s_or_b32 exec_lo, exec_lo, s26
	v_mov_b32_e32 v5, v14
	v_cmp_ne_u16_sdwa s12, v14, v6 src0_sel:BYTE_0 src1_sel:DWORD
	v_mov_b32_e32 v39, 0
	v_mov_b32_e32 v66, 0
	s_and_saveexec_b32 s26, s12
	s_cbranch_execz .LBB287_3114
; %bb.3107:                             ;   in Loop: Header=BB287_2083 Depth=1
	v_cmp_ne_u16_sdwa s12, v14, v48 src0_sel:BYTE_0 src1_sel:DWORD
	v_mov_b32_e32 v66, 0x8000
	s_and_saveexec_b32 s27, s12
	s_cbranch_execz .LBB287_3113
; %bb.3108:                             ;   in Loop: Header=BB287_2083 Depth=1
	v_and_b32_e32 v102, 0x7f, v14
	v_mov_b32_e32 v66, 0x7c01
	s_mov_b32 s28, exec_lo
	v_cmpx_ne_u32_e32 0x7f, v102
	s_cbranch_execz .LBB287_3112
; %bb.3109:                             ;   in Loop: Header=BB287_2083 Depth=1
	v_and_b32_e32 v66, 7, v14
	v_lshrrev_b32_e32 v101, 3, v102
	s_mov_b32 s29, exec_lo
	v_cmpx_gt_u32_e32 8, v102
; %bb.3110:                             ;   in Loop: Header=BB287_2083 Depth=1
	v_ffbh_u32_e32 v3, v66
	v_min_u32_e32 v3, 32, v3
	v_subrev_nc_u32_e32 v4, 28, v3
	v_sub_nc_u32_e32 v101, 29, v3
	v_lshlrev_b64 v[102:103], v4, v[5:6]
	v_and_b32_e32 v66, 7, v102
; %bb.3111:                             ;   in Loop: Header=BB287_2083 Depth=1
	s_or_b32 exec_lo, exec_lo, s29
	v_lshlrev_b32_e32 v3, 8, v14
	v_lshl_add_u32 v4, v101, 10, 0x2000
	v_lshlrev_b32_e32 v66, 7, v66
	v_and_b32_e32 v3, 0x8000, v3
	v_and_b32_e32 v4, 0xfc00, v4
	v_or3_b32 v66, v3, v4, v66
.LBB287_3112:                           ;   in Loop: Header=BB287_2083 Depth=1
	s_or_b32 exec_lo, exec_lo, s28
.LBB287_3113:                           ;   in Loop: Header=BB287_2083 Depth=1
	s_or_b32 exec_lo, exec_lo, s27
.LBB287_3114:                           ;   in Loop: Header=BB287_2083 Depth=1
	s_or_b32 exec_lo, exec_lo, s26
	v_lshrrev_b16 v5, 8, v5
	v_mov_b32_e32 v59, 0
	s_mov_b32 s26, exec_lo
	v_cmpx_ne_u16_e32 0, v5
	s_cbranch_execz .LBB287_3122
; %bb.3115:                             ;   in Loop: Header=BB287_2083 Depth=1
	v_bfrev_b32_e32 v59, 1
	s_mov_b32 s27, exec_lo
	v_cmpx_ne_u16_e32 0x80, v5
	s_cbranch_execz .LBB287_3121
; %bb.3116:                             ;   in Loop: Header=BB287_2083 Depth=1
	v_and_b32_sdwa v61, v5, v49 dst_sel:DWORD dst_unused:UNUSED_PAD src0_sel:WORD_0 src1_sel:DWORD
	v_mov_b32_e32 v59, 0x7c010000
	s_mov_b32 s28, exec_lo
	v_cmpx_ne_u32_e32 0x7f, v61
	s_cbranch_execz .LBB287_3120
; %bb.3117:                             ;   in Loop: Header=BB287_2083 Depth=1
	v_and_b32_sdwa v101, v5, v50 dst_sel:DWORD dst_unused:UNUSED_PAD src0_sel:WORD_0 src1_sel:DWORD
	v_lshrrev_b32_e32 v102, 3, v61
	s_mov_b32 s29, exec_lo
	v_cmpx_gt_u32_e32 8, v61
; %bb.3118:                             ;   in Loop: Header=BB287_2083 Depth=1
	v_ffbh_u32_e32 v3, v101
	v_min_u32_e32 v3, 32, v3
	v_subrev_nc_u32_e32 v4, 28, v3
	v_lshlrev_b64 v[101:102], v4, v[5:6]
	v_sub_nc_u32_e32 v102, 29, v3
	v_and_b32_e32 v101, 7, v101
; %bb.3119:                             ;   in Loop: Header=BB287_2083 Depth=1
	s_or_b32 exec_lo, exec_lo, s29
	v_lshlrev_b32_sdwa v3, v100, v5 dst_sel:DWORD dst_unused:UNUSED_PAD src0_sel:DWORD src1_sel:WORD_0
	v_lshl_add_u32 v4, v102, 10, 0x2000
	v_and_or_b32 v3, 0x8000, v3, v4
	v_lshlrev_b32_e32 v4, 23, v101
	v_lshl_or_b32 v59, v3, 16, v4
.LBB287_3120:                           ;   in Loop: Header=BB287_2083 Depth=1
	s_or_b32 exec_lo, exec_lo, s28
.LBB287_3121:                           ;   in Loop: Header=BB287_2083 Depth=1
	s_or_b32 exec_lo, exec_lo, s27
.LBB287_3122:                           ;   in Loop: Header=BB287_2083 Depth=1
	s_or_b32 exec_lo, exec_lo, s26
	v_lshrrev_b32_e32 v5, 16, v14
	v_cmp_ne_u16_sdwa s12, v5, v6 src0_sel:BYTE_0 src1_sel:DWORD
	s_and_saveexec_b32 s26, s12
	s_cbranch_execz .LBB287_3130
; %bb.3123:                             ;   in Loop: Header=BB287_2083 Depth=1
	v_cmp_ne_u16_sdwa s12, v5, v48 src0_sel:BYTE_0 src1_sel:DWORD
	v_mov_b32_e32 v39, 0x8000
	s_and_saveexec_b32 s27, s12
	s_cbranch_execz .LBB287_3129
; %bb.3124:                             ;   in Loop: Header=BB287_2083 Depth=1
	v_bfe_u32 v102, v14, 16, 7
	v_mov_b32_e32 v39, 0x7c01
	s_mov_b32 s28, exec_lo
	v_cmpx_ne_u32_e32 0x7f, v102
	s_cbranch_execz .LBB287_3128
; %bb.3125:                             ;   in Loop: Header=BB287_2083 Depth=1
	v_and_b32_e32 v39, 7, v5
	v_lshrrev_b32_e32 v101, 3, v102
	s_mov_b32 s29, exec_lo
	v_cmpx_gt_u32_e32 8, v102
; %bb.3126:                             ;   in Loop: Header=BB287_2083 Depth=1
	v_ffbh_u32_e32 v3, v39
	v_min_u32_e32 v3, 32, v3
	v_subrev_nc_u32_e32 v4, 28, v3
	v_sub_nc_u32_e32 v101, 29, v3
	v_lshlrev_b64 v[102:103], v4, v[5:6]
	v_and_b32_e32 v39, 7, v102
; %bb.3127:                             ;   in Loop: Header=BB287_2083 Depth=1
	s_or_b32 exec_lo, exec_lo, s29
	v_lshlrev_b32_e32 v3, 8, v5
	v_lshl_add_u32 v4, v101, 10, 0x2000
	v_lshlrev_b32_e32 v5, 7, v39
	v_and_b32_e32 v3, 0x8000, v3
	v_and_b32_e32 v4, 0xfc00, v4
	v_or3_b32 v39, v3, v4, v5
.LBB287_3128:                           ;   in Loop: Header=BB287_2083 Depth=1
	s_or_b32 exec_lo, exec_lo, s28
.LBB287_3129:                           ;   in Loop: Header=BB287_2083 Depth=1
	s_or_b32 exec_lo, exec_lo, s27
.LBB287_3130:                           ;   in Loop: Header=BB287_2083 Depth=1
	s_or_b32 exec_lo, exec_lo, s26
	v_cmp_lt_u64_e64 s12, s[22:23], v[13:14]
	v_mov_b32_e32 v13, 0
	s_and_saveexec_b32 s26, s12
	s_cbranch_execz .LBB287_3138
; %bb.3131:                             ;   in Loop: Header=BB287_2083 Depth=1
	v_lshrrev_b32_e32 v5, 24, v14
	v_bfrev_b32_e32 v13, 1
	s_mov_b32 s27, exec_lo
	v_cmpx_ne_u32_e32 0x80, v5
	s_cbranch_execz .LBB287_3137
; %bb.3132:                             ;   in Loop: Header=BB287_2083 Depth=1
	v_and_b32_e32 v101, 0x7f, v5
	v_mov_b32_e32 v13, 0x7c010000
	s_mov_b32 s28, exec_lo
	v_cmpx_ne_u32_e32 0x7f, v101
	s_cbranch_execz .LBB287_3136
; %bb.3133:                             ;   in Loop: Header=BB287_2083 Depth=1
	v_and_b32_e32 v13, 7, v5
	v_lshrrev_b32_e32 v14, 3, v101
	s_mov_b32 s29, exec_lo
	v_cmpx_gt_u32_e32 8, v101
; %bb.3134:                             ;   in Loop: Header=BB287_2083 Depth=1
	v_ffbh_u32_e32 v3, v13
	v_min_u32_e32 v3, 32, v3
	v_subrev_nc_u32_e32 v4, 28, v3
	v_lshlrev_b64 v[13:14], v4, v[5:6]
	v_sub_nc_u32_e32 v14, 29, v3
	v_and_b32_e32 v13, 7, v13
; %bb.3135:                             ;   in Loop: Header=BB287_2083 Depth=1
	s_or_b32 exec_lo, exec_lo, s29
	v_lshlrev_b32_e32 v3, 8, v5
	v_lshl_add_u32 v4, v14, 10, 0x2000
	v_and_or_b32 v3, 0x8000, v3, v4
	v_lshlrev_b32_e32 v4, 23, v13
	v_lshl_or_b32 v13, v3, 16, v4
.LBB287_3136:                           ;   in Loop: Header=BB287_2083 Depth=1
	s_or_b32 exec_lo, exec_lo, s28
.LBB287_3137:                           ;   in Loop: Header=BB287_2083 Depth=1
	s_or_b32 exec_lo, exec_lo, s27
.LBB287_3138:                           ;   in Loop: Header=BB287_2083 Depth=1
	s_or_b32 exec_lo, exec_lo, s26
	v_or_b32_e32 v3, v37, v38
	s_waitcnt vmcnt(0) lgkmcnt(0)
	v_fma_mixlo_f16 v4, v15, v37, 0 op_sel:[0,1,0] op_sel_hi:[0,1,0]
	v_or_b32_e32 v14, v16, v36
	v_or_b32_e32 v36, v59, v66
	v_or_b32_e32 v37, v13, v39
	v_fma_mixlo_f16 v3, v15, v3, 0 op_sel_hi:[0,1,0]
	v_fma_mixlo_f16 v16, v15, v16, 0 op_sel:[0,1,0] op_sel_hi:[0,1,0]
	v_lshlrev_b32_e32 v5, 16, v4
	v_fma_mixlo_f16 v4, v15, v14, 0 op_sel_hi:[0,1,0]
	v_fma_mixlo_f16 v36, v15, v36, 0 op_sel_hi:[0,1,0]
	v_and_b32_e32 v14, 0xffff, v3
	v_fma_mixlo_f16 v3, v15, v59, 0 op_sel:[0,1,0] op_sel_hi:[0,1,0]
	v_fma_mixlo_f16 v13, v15, v13, 0 op_sel:[0,1,0] op_sel_hi:[0,1,0]
	v_fma_mixlo_f16 v15, v15, v37, 0 op_sel_hi:[0,1,0]
	v_lshlrev_b32_e32 v16, 16, v16
	v_and_b32_e32 v102, 0xffff, v4
	v_lshlrev_b32_e32 v39, 16, v3
	v_and_b32_e32 v101, 0xffff, v36
	;; [unrolled: 2-line block ×3, first 2 shown]
	v_or_b32_e32 v13, v5, v14
	v_or_b32_e32 v37, v16, v102
	;; [unrolled: 1-line block ×4, first 2 shown]
	s_and_saveexec_b32 s12, s4
	s_cbranch_execz .LBB287_3140
; %bb.3139:                             ;   in Loop: Header=BB287_2083 Depth=1
	v_cndmask_b32_e32 v3, 0, v102, vcc_lo
	v_cndmask_b32_e64 v4, 0, v16, s7
	v_cndmask_b32_e64 v13, 0, v14, s5
	;; [unrolled: 1-line block ×7, first 2 shown]
	v_or_b32_e32 v37, v3, v4
	v_or_b32_e32 v13, v13, v5
	;; [unrolled: 1-line block ×4, first 2 shown]
.LBB287_3140:                           ;   in Loop: Header=BB287_2083 Depth=1
	s_or_b32 exec_lo, exec_lo, s12
	;;#ASMSTART
	v_pk_mul_f16 v3, v40, v37;

	;;#ASMEND
	;;#ASMSTART
	v_pk_mul_f16 v4, v119, v13;

	;;#ASMEND
	;; [unrolled: 4-line block ×4, first 2 shown]
	;;#ASMSTART
	v_pk_add_f16 v3, v3, v4;

	;;#ASMEND
	;;#ASMSTART
	v_pk_add_f16 v3, v3, v5;

	;;#ASMEND
	;; [unrolled: 4-line block ×3, first 2 shown]
	v_add_co_u32 v13, s12, 0x1000, v11
	v_add_co_ci_u32_e64 v14, null, 0, v12, s12
	v_lshrrev_b32_e32 v4, 16, v3
	v_and_b32_e32 v3, 0xffff, v3
	;;#ASMSTART
	v_cvt_f32_f16 v36, v3;
	;;#ASMEND
	;;#ASMSTART
	v_cvt_f32_f16 v37, v4;
	;;#ASMEND
	flat_load_dwordx2 v[15:16], v[13:14]
	flat_load_dword v38, v[22:23]
	v_mov_b32_e32 v39, 0
	v_mov_b32_e32 v66, 0
	s_waitcnt vmcnt(1) lgkmcnt(1)
	v_cmp_ne_u16_sdwa s12, v15, v6 src0_sel:BYTE_0 src1_sel:DWORD
	s_and_saveexec_b32 s26, s12
	s_cbranch_execz .LBB287_3148
; %bb.3141:                             ;   in Loop: Header=BB287_2083 Depth=1
	v_cmp_ne_u16_sdwa s12, v15, v48 src0_sel:BYTE_0 src1_sel:DWORD
	v_mov_b32_e32 v66, 0x8000
	s_and_saveexec_b32 s27, s12
	s_cbranch_execz .LBB287_3147
; %bb.3142:                             ;   in Loop: Header=BB287_2083 Depth=1
	v_and_b32_e32 v101, 0x7f, v15
	v_mov_b32_e32 v66, 0x7c01
	s_mov_b32 s28, exec_lo
	v_cmpx_ne_u32_e32 0x7f, v101
	s_cbranch_execz .LBB287_3146
; %bb.3143:                             ;   in Loop: Header=BB287_2083 Depth=1
	v_and_b32_e32 v5, 7, v15
	v_lshrrev_b32_e32 v66, 3, v101
	s_mov_b32 s29, exec_lo
	v_cmpx_gt_u32_e32 8, v101
; %bb.3144:                             ;   in Loop: Header=BB287_2083 Depth=1
	v_ffbh_u32_e32 v3, v5
	v_min_u32_e32 v3, 32, v3
	v_subrev_nc_u32_e32 v4, 28, v3
	v_sub_nc_u32_e32 v66, 29, v3
	v_lshlrev_b64 v[101:102], v4, v[15:16]
	v_and_b32_e32 v5, 7, v101
; %bb.3145:                             ;   in Loop: Header=BB287_2083 Depth=1
	s_or_b32 exec_lo, exec_lo, s29
	v_lshlrev_b32_e32 v3, 8, v15
	v_lshl_add_u32 v4, v66, 10, 0x2000
	v_lshlrev_b32_e32 v5, 7, v5
	v_and_b32_e32 v3, 0x8000, v3
	v_and_b32_e32 v4, 0xfc00, v4
	v_or3_b32 v66, v3, v4, v5
.LBB287_3146:                           ;   in Loop: Header=BB287_2083 Depth=1
	s_or_b32 exec_lo, exec_lo, s28
.LBB287_3147:                           ;   in Loop: Header=BB287_2083 Depth=1
	s_or_b32 exec_lo, exec_lo, s27
.LBB287_3148:                           ;   in Loop: Header=BB287_2083 Depth=1
	s_or_b32 exec_lo, exec_lo, s26
	v_lshrrev_b16 v5, 8, v15
	s_mov_b32 s26, exec_lo
	v_cmpx_ne_u16_e32 0, v5
	s_cbranch_execz .LBB287_3156
; %bb.3149:                             ;   in Loop: Header=BB287_2083 Depth=1
	v_bfrev_b32_e32 v39, 1
	s_mov_b32 s27, exec_lo
	v_cmpx_ne_u16_e32 0x80, v5
	s_cbranch_execz .LBB287_3155
; %bb.3150:                             ;   in Loop: Header=BB287_2083 Depth=1
	v_and_b32_sdwa v102, v5, v49 dst_sel:DWORD dst_unused:UNUSED_PAD src0_sel:WORD_0 src1_sel:DWORD
	v_mov_b32_e32 v39, 0x7c010000
	s_mov_b32 s28, exec_lo
	v_cmpx_ne_u32_e32 0x7f, v102
	s_cbranch_execz .LBB287_3154
; %bb.3151:                             ;   in Loop: Header=BB287_2083 Depth=1
	v_and_b32_sdwa v39, v5, v50 dst_sel:DWORD dst_unused:UNUSED_PAD src0_sel:WORD_0 src1_sel:DWORD
	v_lshrrev_b32_e32 v101, 3, v102
	s_mov_b32 s29, exec_lo
	v_cmpx_gt_u32_e32 8, v102
; %bb.3152:                             ;   in Loop: Header=BB287_2083 Depth=1
	v_ffbh_u32_e32 v3, v39
	v_min_u32_e32 v3, 32, v3
	v_subrev_nc_u32_e32 v4, 28, v3
	v_sub_nc_u32_e32 v101, 29, v3
	v_lshlrev_b64 v[102:103], v4, v[5:6]
	v_and_b32_e32 v39, 7, v102
; %bb.3153:                             ;   in Loop: Header=BB287_2083 Depth=1
	s_or_b32 exec_lo, exec_lo, s29
	v_lshlrev_b32_sdwa v3, v100, v5 dst_sel:DWORD dst_unused:UNUSED_PAD src0_sel:DWORD src1_sel:WORD_0
	v_lshl_add_u32 v4, v101, 10, 0x2000
	v_and_or_b32 v3, 0x8000, v3, v4
	v_lshlrev_b32_e32 v4, 23, v39
	v_lshl_or_b32 v39, v3, 16, v4
.LBB287_3154:                           ;   in Loop: Header=BB287_2083 Depth=1
	s_or_b32 exec_lo, exec_lo, s28
.LBB287_3155:                           ;   in Loop: Header=BB287_2083 Depth=1
	s_or_b32 exec_lo, exec_lo, s27
.LBB287_3156:                           ;   in Loop: Header=BB287_2083 Depth=1
	s_or_b32 exec_lo, exec_lo, s26
	v_lshrrev_b32_e32 v5, 16, v15
	v_mov_b32_e32 v59, 0
	v_mov_b32_e32 v61, 0
	v_cmp_ne_u16_sdwa s12, v5, v6 src0_sel:BYTE_0 src1_sel:DWORD
	s_and_saveexec_b32 s26, s12
	s_cbranch_execz .LBB287_3164
; %bb.3157:                             ;   in Loop: Header=BB287_2083 Depth=1
	v_cmp_ne_u16_sdwa s12, v5, v48 src0_sel:BYTE_0 src1_sel:DWORD
	v_mov_b32_e32 v61, 0x8000
	s_and_saveexec_b32 s27, s12
	s_cbranch_execz .LBB287_3163
; %bb.3158:                             ;   in Loop: Header=BB287_2083 Depth=1
	v_bfe_u32 v102, v15, 16, 7
	v_mov_b32_e32 v61, 0x7c01
	s_mov_b32 s28, exec_lo
	v_cmpx_ne_u32_e32 0x7f, v102
	s_cbranch_execz .LBB287_3162
; %bb.3159:                             ;   in Loop: Header=BB287_2083 Depth=1
	v_and_b32_e32 v101, 7, v5
	v_lshrrev_b32_e32 v61, 3, v102
	s_mov_b32 s29, exec_lo
	v_cmpx_gt_u32_e32 8, v102
; %bb.3160:                             ;   in Loop: Header=BB287_2083 Depth=1
	v_ffbh_u32_e32 v3, v101
	v_min_u32_e32 v3, 32, v3
	v_subrev_nc_u32_e32 v4, 28, v3
	v_sub_nc_u32_e32 v61, 29, v3
	v_lshlrev_b64 v[101:102], v4, v[5:6]
	v_and_b32_e32 v101, 7, v101
; %bb.3161:                             ;   in Loop: Header=BB287_2083 Depth=1
	s_or_b32 exec_lo, exec_lo, s29
	v_lshlrev_b32_e32 v3, 8, v5
	v_lshl_add_u32 v4, v61, 10, 0x2000
	v_lshlrev_b32_e32 v5, 7, v101
	v_and_b32_e32 v3, 0x8000, v3
	v_and_b32_e32 v4, 0xfc00, v4
	v_or3_b32 v61, v3, v4, v5
.LBB287_3162:                           ;   in Loop: Header=BB287_2083 Depth=1
	s_or_b32 exec_lo, exec_lo, s28
.LBB287_3163:                           ;   in Loop: Header=BB287_2083 Depth=1
	s_or_b32 exec_lo, exec_lo, s27
.LBB287_3164:                           ;   in Loop: Header=BB287_2083 Depth=1
	s_or_b32 exec_lo, exec_lo, s26
	s_mov_b32 s26, exec_lo
	v_cmpx_lt_u32_e32 0xffffff, v15
	s_cbranch_execz .LBB287_3172
; %bb.3165:                             ;   in Loop: Header=BB287_2083 Depth=1
	v_lshrrev_b32_e32 v5, 24, v15
	v_bfrev_b32_e32 v59, 1
	s_mov_b32 s27, exec_lo
	v_cmpx_ne_u32_e32 0x80, v5
	s_cbranch_execz .LBB287_3171
; %bb.3166:                             ;   in Loop: Header=BB287_2083 Depth=1
	v_and_b32_e32 v78, 0x7f, v5
	v_mov_b32_e32 v59, 0x7c010000
	s_mov_b32 s28, exec_lo
	v_cmpx_ne_u32_e32 0x7f, v78
	s_cbranch_execz .LBB287_3170
; %bb.3167:                             ;   in Loop: Header=BB287_2083 Depth=1
	v_and_b32_e32 v101, 7, v5
	v_lshrrev_b32_e32 v102, 3, v78
	s_mov_b32 s29, exec_lo
	v_cmpx_gt_u32_e32 8, v78
; %bb.3168:                             ;   in Loop: Header=BB287_2083 Depth=1
	v_ffbh_u32_e32 v3, v101
	v_min_u32_e32 v3, 32, v3
	v_subrev_nc_u32_e32 v4, 28, v3
	v_lshlrev_b64 v[101:102], v4, v[5:6]
	v_sub_nc_u32_e32 v102, 29, v3
	v_and_b32_e32 v101, 7, v101
; %bb.3169:                             ;   in Loop: Header=BB287_2083 Depth=1
	s_or_b32 exec_lo, exec_lo, s29
	v_lshlrev_b32_e32 v3, 8, v5
	v_lshl_add_u32 v4, v102, 10, 0x2000
	v_and_or_b32 v3, 0x8000, v3, v4
	v_lshlrev_b32_e32 v4, 23, v101
	v_lshl_or_b32 v59, v3, 16, v4
.LBB287_3170:                           ;   in Loop: Header=BB287_2083 Depth=1
	s_or_b32 exec_lo, exec_lo, s28
.LBB287_3171:                           ;   in Loop: Header=BB287_2083 Depth=1
	s_or_b32 exec_lo, exec_lo, s27
.LBB287_3172:                           ;   in Loop: Header=BB287_2083 Depth=1
	s_or_b32 exec_lo, exec_lo, s26
	v_mov_b32_e32 v5, v16
	v_cmp_ne_u16_sdwa s12, v16, v6 src0_sel:BYTE_0 src1_sel:DWORD
	v_mov_b32_e32 v78, 0
	v_mov_b32_e32 v79, 0
	s_and_saveexec_b32 s26, s12
	s_cbranch_execz .LBB287_3180
; %bb.3173:                             ;   in Loop: Header=BB287_2083 Depth=1
	v_cmp_ne_u16_sdwa s12, v16, v48 src0_sel:BYTE_0 src1_sel:DWORD
	v_mov_b32_e32 v79, 0x8000
	s_and_saveexec_b32 s27, s12
	s_cbranch_execz .LBB287_3179
; %bb.3174:                             ;   in Loop: Header=BB287_2083 Depth=1
	v_and_b32_e32 v102, 0x7f, v16
	v_mov_b32_e32 v79, 0x7c01
	s_mov_b32 s28, exec_lo
	v_cmpx_ne_u32_e32 0x7f, v102
	s_cbranch_execz .LBB287_3178
; %bb.3175:                             ;   in Loop: Header=BB287_2083 Depth=1
	v_and_b32_e32 v101, 7, v16
	v_lshrrev_b32_e32 v79, 3, v102
	s_mov_b32 s29, exec_lo
	v_cmpx_gt_u32_e32 8, v102
; %bb.3176:                             ;   in Loop: Header=BB287_2083 Depth=1
	v_ffbh_u32_e32 v3, v101
	v_min_u32_e32 v3, 32, v3
	v_subrev_nc_u32_e32 v4, 28, v3
	v_sub_nc_u32_e32 v79, 29, v3
	v_lshlrev_b64 v[101:102], v4, v[5:6]
	v_and_b32_e32 v101, 7, v101
; %bb.3177:                             ;   in Loop: Header=BB287_2083 Depth=1
	s_or_b32 exec_lo, exec_lo, s29
	v_lshlrev_b32_e32 v3, 8, v16
	v_lshl_add_u32 v4, v79, 10, 0x2000
	v_lshlrev_b32_e32 v101, 7, v101
	v_and_b32_e32 v3, 0x8000, v3
	v_and_b32_e32 v4, 0xfc00, v4
	v_or3_b32 v79, v3, v4, v101
.LBB287_3178:                           ;   in Loop: Header=BB287_2083 Depth=1
	s_or_b32 exec_lo, exec_lo, s28
.LBB287_3179:                           ;   in Loop: Header=BB287_2083 Depth=1
	s_or_b32 exec_lo, exec_lo, s27
.LBB287_3180:                           ;   in Loop: Header=BB287_2083 Depth=1
	s_or_b32 exec_lo, exec_lo, s26
	v_lshrrev_b16 v5, 8, v5
	v_mov_b32_e32 v88, 0
	s_mov_b32 s26, exec_lo
	v_cmpx_ne_u16_e32 0, v5
	s_cbranch_execz .LBB287_3188
; %bb.3181:                             ;   in Loop: Header=BB287_2083 Depth=1
	v_bfrev_b32_e32 v88, 1
	s_mov_b32 s27, exec_lo
	v_cmpx_ne_u16_e32 0x80, v5
	s_cbranch_execz .LBB287_3187
; %bb.3182:                             ;   in Loop: Header=BB287_2083 Depth=1
	v_and_b32_sdwa v89, v5, v49 dst_sel:DWORD dst_unused:UNUSED_PAD src0_sel:WORD_0 src1_sel:DWORD
	v_mov_b32_e32 v88, 0x7c010000
	s_mov_b32 s28, exec_lo
	v_cmpx_ne_u32_e32 0x7f, v89
	s_cbranch_execz .LBB287_3186
; %bb.3183:                             ;   in Loop: Header=BB287_2083 Depth=1
	v_and_b32_sdwa v101, v5, v50 dst_sel:DWORD dst_unused:UNUSED_PAD src0_sel:WORD_0 src1_sel:DWORD
	v_lshrrev_b32_e32 v102, 3, v89
	s_mov_b32 s29, exec_lo
	v_cmpx_gt_u32_e32 8, v89
; %bb.3184:                             ;   in Loop: Header=BB287_2083 Depth=1
	v_ffbh_u32_e32 v3, v101
	v_min_u32_e32 v3, 32, v3
	v_subrev_nc_u32_e32 v4, 28, v3
	v_lshlrev_b64 v[101:102], v4, v[5:6]
	v_sub_nc_u32_e32 v102, 29, v3
	v_and_b32_e32 v101, 7, v101
; %bb.3185:                             ;   in Loop: Header=BB287_2083 Depth=1
	s_or_b32 exec_lo, exec_lo, s29
	v_lshlrev_b32_sdwa v3, v100, v5 dst_sel:DWORD dst_unused:UNUSED_PAD src0_sel:DWORD src1_sel:WORD_0
	v_lshl_add_u32 v4, v102, 10, 0x2000
	v_and_or_b32 v3, 0x8000, v3, v4
	v_lshlrev_b32_e32 v4, 23, v101
	v_lshl_or_b32 v88, v3, 16, v4
.LBB287_3186:                           ;   in Loop: Header=BB287_2083 Depth=1
	s_or_b32 exec_lo, exec_lo, s28
.LBB287_3187:                           ;   in Loop: Header=BB287_2083 Depth=1
	s_or_b32 exec_lo, exec_lo, s27
.LBB287_3188:                           ;   in Loop: Header=BB287_2083 Depth=1
	s_or_b32 exec_lo, exec_lo, s26
	v_lshrrev_b32_e32 v5, 16, v16
	v_cmp_ne_u16_sdwa s12, v5, v6 src0_sel:BYTE_0 src1_sel:DWORD
	s_and_saveexec_b32 s26, s12
	s_cbranch_execz .LBB287_3196
; %bb.3189:                             ;   in Loop: Header=BB287_2083 Depth=1
	v_cmp_ne_u16_sdwa s12, v5, v48 src0_sel:BYTE_0 src1_sel:DWORD
	v_mov_b32_e32 v78, 0x8000
	s_and_saveexec_b32 s27, s12
	s_cbranch_execz .LBB287_3195
; %bb.3190:                             ;   in Loop: Header=BB287_2083 Depth=1
	v_bfe_u32 v102, v16, 16, 7
	v_mov_b32_e32 v78, 0x7c01
	s_mov_b32 s28, exec_lo
	v_cmpx_ne_u32_e32 0x7f, v102
	s_cbranch_execz .LBB287_3194
; %bb.3191:                             ;   in Loop: Header=BB287_2083 Depth=1
	v_and_b32_e32 v101, 7, v5
	v_lshrrev_b32_e32 v78, 3, v102
	s_mov_b32 s29, exec_lo
	v_cmpx_gt_u32_e32 8, v102
; %bb.3192:                             ;   in Loop: Header=BB287_2083 Depth=1
	v_ffbh_u32_e32 v3, v101
	v_min_u32_e32 v3, 32, v3
	v_subrev_nc_u32_e32 v4, 28, v3
	v_sub_nc_u32_e32 v78, 29, v3
	v_lshlrev_b64 v[101:102], v4, v[5:6]
	v_and_b32_e32 v101, 7, v101
; %bb.3193:                             ;   in Loop: Header=BB287_2083 Depth=1
	s_or_b32 exec_lo, exec_lo, s29
	v_lshlrev_b32_e32 v3, 8, v5
	v_lshl_add_u32 v4, v78, 10, 0x2000
	v_lshlrev_b32_e32 v5, 7, v101
	v_and_b32_e32 v3, 0x8000, v3
	v_and_b32_e32 v4, 0xfc00, v4
	v_or3_b32 v78, v3, v4, v5
.LBB287_3194:                           ;   in Loop: Header=BB287_2083 Depth=1
	s_or_b32 exec_lo, exec_lo, s28
.LBB287_3195:                           ;   in Loop: Header=BB287_2083 Depth=1
	s_or_b32 exec_lo, exec_lo, s27
.LBB287_3196:                           ;   in Loop: Header=BB287_2083 Depth=1
	s_or_b32 exec_lo, exec_lo, s26
	v_cmp_lt_u64_e64 s12, s[22:23], v[15:16]
	v_mov_b32_e32 v15, 0
	s_and_saveexec_b32 s26, s12
	s_cbranch_execz .LBB287_3204
; %bb.3197:                             ;   in Loop: Header=BB287_2083 Depth=1
	v_lshrrev_b32_e32 v5, 24, v16
	v_bfrev_b32_e32 v15, 1
	s_mov_b32 s27, exec_lo
	v_cmpx_ne_u32_e32 0x80, v5
	s_cbranch_execz .LBB287_3203
; %bb.3198:                             ;   in Loop: Header=BB287_2083 Depth=1
	v_and_b32_e32 v101, 0x7f, v5
	v_mov_b32_e32 v15, 0x7c010000
	s_mov_b32 s28, exec_lo
	v_cmpx_ne_u32_e32 0x7f, v101
	s_cbranch_execz .LBB287_3202
; %bb.3199:                             ;   in Loop: Header=BB287_2083 Depth=1
	v_and_b32_e32 v15, 7, v5
	v_lshrrev_b32_e32 v16, 3, v101
	s_mov_b32 s29, exec_lo
	v_cmpx_gt_u32_e32 8, v101
; %bb.3200:                             ;   in Loop: Header=BB287_2083 Depth=1
	v_ffbh_u32_e32 v3, v15
	v_min_u32_e32 v3, 32, v3
	v_subrev_nc_u32_e32 v4, 28, v3
	v_lshlrev_b64 v[15:16], v4, v[5:6]
	v_sub_nc_u32_e32 v16, 29, v3
	v_and_b32_e32 v15, 7, v15
; %bb.3201:                             ;   in Loop: Header=BB287_2083 Depth=1
	s_or_b32 exec_lo, exec_lo, s29
	v_lshlrev_b32_e32 v3, 8, v5
	v_lshl_add_u32 v4, v16, 10, 0x2000
	v_and_or_b32 v3, 0x8000, v3, v4
	v_lshlrev_b32_e32 v4, 23, v15
	v_lshl_or_b32 v15, v3, 16, v4
.LBB287_3202:                           ;   in Loop: Header=BB287_2083 Depth=1
	s_or_b32 exec_lo, exec_lo, s28
.LBB287_3203:                           ;   in Loop: Header=BB287_2083 Depth=1
	s_or_b32 exec_lo, exec_lo, s27
.LBB287_3204:                           ;   in Loop: Header=BB287_2083 Depth=1
	s_or_b32 exec_lo, exec_lo, s26
	v_or_b32_e32 v3, v59, v61
	s_waitcnt vmcnt(0) lgkmcnt(0)
	v_fma_mixlo_f16 v4, v38, v59, 0 op_sel:[0,1,0] op_sel_hi:[0,1,0]
	v_or_b32_e32 v16, v39, v66
	v_or_b32_e32 v66, v88, v79
	;; [unrolled: 1-line block ×3, first 2 shown]
	v_fma_mixlo_f16 v3, v38, v3, 0 op_sel_hi:[0,1,0]
	v_fma_mixlo_f16 v39, v38, v39, 0 op_sel:[0,1,0] op_sel_hi:[0,1,0]
	v_lshlrev_b32_e32 v5, 16, v4
	v_fma_mixlo_f16 v4, v38, v16, 0 op_sel_hi:[0,1,0]
	v_fma_mixlo_f16 v66, v38, v66, 0 op_sel_hi:[0,1,0]
	v_and_b32_e32 v16, 0xffff, v3
	v_fma_mixlo_f16 v3, v38, v88, 0 op_sel:[0,1,0] op_sel_hi:[0,1,0]
	v_fma_mixlo_f16 v15, v38, v15, 0 op_sel:[0,1,0] op_sel_hi:[0,1,0]
	v_fma_mixlo_f16 v38, v38, v101, 0 op_sel_hi:[0,1,0]
	v_lshlrev_b32_e32 v39, 16, v39
	v_and_b32_e32 v102, 0xffff, v4
	v_lshlrev_b32_e32 v61, 16, v3
	v_and_b32_e32 v79, 0xffff, v66
	;; [unrolled: 2-line block ×3, first 2 shown]
	v_or_b32_e32 v15, v5, v16
	v_or_b32_e32 v101, v39, v102
	;; [unrolled: 1-line block ×4, first 2 shown]
	s_and_saveexec_b32 s12, s4
	s_cbranch_execz .LBB287_3206
; %bb.3205:                             ;   in Loop: Header=BB287_2083 Depth=1
	v_cndmask_b32_e32 v3, 0, v102, vcc_lo
	v_cndmask_b32_e64 v4, 0, v39, s7
	v_cndmask_b32_e64 v15, 0, v16, s5
	;; [unrolled: 1-line block ×7, first 2 shown]
	v_or_b32_e32 v101, v3, v4
	v_or_b32_e32 v15, v15, v5
	;; [unrolled: 1-line block ×4, first 2 shown]
.LBB287_3206:                           ;   in Loop: Header=BB287_2083 Depth=1
	s_or_b32 exec_lo, exec_lo, s12
	;;#ASMSTART
	v_pk_mul_f16 v3, v40, v101;

	;;#ASMEND
	;;#ASMSTART
	v_pk_mul_f16 v4, v119, v15;

	;;#ASMEND
	;; [unrolled: 4-line block ×4, first 2 shown]
	;;#ASMSTART
	v_pk_add_f16 v3, v3, v4;

	;;#ASMEND
	;;#ASMSTART
	v_pk_add_f16 v3, v3, v5;

	;;#ASMEND
	;; [unrolled: 4-line block ×3, first 2 shown]
	v_and_b32_e32 v4, 0xffff, v3
	v_lshrrev_b32_e32 v3, 16, v3
	;;#ASMSTART
	v_cvt_f32_f16 v38, v4;
	;;#ASMEND
	;;#ASMSTART
	v_cvt_f32_f16 v39, v3;
	;;#ASMEND
	flat_load_dwordx2 v[15:16], v[13:14] offset:256
	flat_load_dword v66, v[22:23]
	v_mov_b32_e32 v59, 0
	v_mov_b32_e32 v61, 0
	s_waitcnt vmcnt(1) lgkmcnt(1)
	v_cmp_ne_u16_sdwa s12, v15, v6 src0_sel:BYTE_0 src1_sel:DWORD
	s_and_saveexec_b32 s26, s12
	s_cbranch_execz .LBB287_3214
; %bb.3207:                             ;   in Loop: Header=BB287_2083 Depth=1
	v_cmp_ne_u16_sdwa s12, v15, v48 src0_sel:BYTE_0 src1_sel:DWORD
	v_mov_b32_e32 v61, 0x8000
	s_and_saveexec_b32 s27, s12
	s_cbranch_execz .LBB287_3213
; %bb.3208:                             ;   in Loop: Header=BB287_2083 Depth=1
	v_and_b32_e32 v102, 0x7f, v15
	v_mov_b32_e32 v61, 0x7c01
	s_mov_b32 s28, exec_lo
	v_cmpx_ne_u32_e32 0x7f, v102
	s_cbranch_execz .LBB287_3212
; %bb.3209:                             ;   in Loop: Header=BB287_2083 Depth=1
	v_and_b32_e32 v5, 7, v15
	v_lshrrev_b32_e32 v101, 3, v102
	s_mov_b32 s29, exec_lo
	v_cmpx_gt_u32_e32 8, v102
; %bb.3210:                             ;   in Loop: Header=BB287_2083 Depth=1
	v_ffbh_u32_e32 v3, v5
	v_min_u32_e32 v3, 32, v3
	v_subrev_nc_u32_e32 v4, 28, v3
	v_sub_nc_u32_e32 v101, 29, v3
	v_lshlrev_b64 v[102:103], v4, v[15:16]
	v_and_b32_e32 v5, 7, v102
; %bb.3211:                             ;   in Loop: Header=BB287_2083 Depth=1
	s_or_b32 exec_lo, exec_lo, s29
	v_lshlrev_b32_e32 v3, 8, v15
	v_lshl_add_u32 v4, v101, 10, 0x2000
	v_lshlrev_b32_e32 v5, 7, v5
	v_and_b32_e32 v3, 0x8000, v3
	v_and_b32_e32 v4, 0xfc00, v4
	v_or3_b32 v61, v3, v4, v5
.LBB287_3212:                           ;   in Loop: Header=BB287_2083 Depth=1
	s_or_b32 exec_lo, exec_lo, s28
.LBB287_3213:                           ;   in Loop: Header=BB287_2083 Depth=1
	s_or_b32 exec_lo, exec_lo, s27
.LBB287_3214:                           ;   in Loop: Header=BB287_2083 Depth=1
	s_or_b32 exec_lo, exec_lo, s26
	v_lshrrev_b16 v5, 8, v15
	s_mov_b32 s26, exec_lo
	v_cmpx_ne_u16_e32 0, v5
	s_cbranch_execz .LBB287_3222
; %bb.3215:                             ;   in Loop: Header=BB287_2083 Depth=1
	v_bfrev_b32_e32 v59, 1
	s_mov_b32 s27, exec_lo
	v_cmpx_ne_u16_e32 0x80, v5
	s_cbranch_execz .LBB287_3221
; %bb.3216:                             ;   in Loop: Header=BB287_2083 Depth=1
	v_and_b32_sdwa v78, v5, v49 dst_sel:DWORD dst_unused:UNUSED_PAD src0_sel:WORD_0 src1_sel:DWORD
	v_mov_b32_e32 v59, 0x7c010000
	s_mov_b32 s28, exec_lo
	v_cmpx_ne_u32_e32 0x7f, v78
	s_cbranch_execz .LBB287_3220
; %bb.3217:                             ;   in Loop: Header=BB287_2083 Depth=1
	v_and_b32_sdwa v101, v5, v50 dst_sel:DWORD dst_unused:UNUSED_PAD src0_sel:WORD_0 src1_sel:DWORD
	v_lshrrev_b32_e32 v102, 3, v78
	s_mov_b32 s29, exec_lo
	v_cmpx_gt_u32_e32 8, v78
; %bb.3218:                             ;   in Loop: Header=BB287_2083 Depth=1
	v_ffbh_u32_e32 v3, v101
	v_min_u32_e32 v3, 32, v3
	v_subrev_nc_u32_e32 v4, 28, v3
	v_lshlrev_b64 v[101:102], v4, v[5:6]
	v_sub_nc_u32_e32 v102, 29, v3
	v_and_b32_e32 v101, 7, v101
; %bb.3219:                             ;   in Loop: Header=BB287_2083 Depth=1
	s_or_b32 exec_lo, exec_lo, s29
	v_lshlrev_b32_sdwa v3, v100, v5 dst_sel:DWORD dst_unused:UNUSED_PAD src0_sel:DWORD src1_sel:WORD_0
	v_lshl_add_u32 v4, v102, 10, 0x2000
	v_and_or_b32 v3, 0x8000, v3, v4
	v_lshlrev_b32_e32 v4, 23, v101
	v_lshl_or_b32 v59, v3, 16, v4
.LBB287_3220:                           ;   in Loop: Header=BB287_2083 Depth=1
	s_or_b32 exec_lo, exec_lo, s28
.LBB287_3221:                           ;   in Loop: Header=BB287_2083 Depth=1
	s_or_b32 exec_lo, exec_lo, s27
.LBB287_3222:                           ;   in Loop: Header=BB287_2083 Depth=1
	s_or_b32 exec_lo, exec_lo, s26
	v_lshrrev_b32_e32 v5, 16, v15
	v_mov_b32_e32 v78, 0
	v_mov_b32_e32 v79, 0
	v_cmp_ne_u16_sdwa s12, v5, v6 src0_sel:BYTE_0 src1_sel:DWORD
	s_and_saveexec_b32 s26, s12
	s_cbranch_execz .LBB287_3230
; %bb.3223:                             ;   in Loop: Header=BB287_2083 Depth=1
	v_cmp_ne_u16_sdwa s12, v5, v48 src0_sel:BYTE_0 src1_sel:DWORD
	v_mov_b32_e32 v79, 0x8000
	s_and_saveexec_b32 s27, s12
	s_cbranch_execz .LBB287_3229
; %bb.3224:                             ;   in Loop: Header=BB287_2083 Depth=1
	v_bfe_u32 v102, v15, 16, 7
	v_mov_b32_e32 v79, 0x7c01
	s_mov_b32 s28, exec_lo
	v_cmpx_ne_u32_e32 0x7f, v102
	s_cbranch_execz .LBB287_3228
; %bb.3225:                             ;   in Loop: Header=BB287_2083 Depth=1
	v_and_b32_e32 v101, 7, v5
	v_lshrrev_b32_e32 v79, 3, v102
	s_mov_b32 s29, exec_lo
	v_cmpx_gt_u32_e32 8, v102
; %bb.3226:                             ;   in Loop: Header=BB287_2083 Depth=1
	v_ffbh_u32_e32 v3, v101
	v_min_u32_e32 v3, 32, v3
	v_subrev_nc_u32_e32 v4, 28, v3
	v_sub_nc_u32_e32 v79, 29, v3
	v_lshlrev_b64 v[101:102], v4, v[5:6]
	v_and_b32_e32 v101, 7, v101
; %bb.3227:                             ;   in Loop: Header=BB287_2083 Depth=1
	s_or_b32 exec_lo, exec_lo, s29
	v_lshlrev_b32_e32 v3, 8, v5
	v_lshl_add_u32 v4, v79, 10, 0x2000
	v_lshlrev_b32_e32 v5, 7, v101
	v_and_b32_e32 v3, 0x8000, v3
	v_and_b32_e32 v4, 0xfc00, v4
	v_or3_b32 v79, v3, v4, v5
.LBB287_3228:                           ;   in Loop: Header=BB287_2083 Depth=1
	s_or_b32 exec_lo, exec_lo, s28
.LBB287_3229:                           ;   in Loop: Header=BB287_2083 Depth=1
	s_or_b32 exec_lo, exec_lo, s27
.LBB287_3230:                           ;   in Loop: Header=BB287_2083 Depth=1
	s_or_b32 exec_lo, exec_lo, s26
	s_mov_b32 s26, exec_lo
	v_cmpx_lt_u32_e32 0xffffff, v15
	s_cbranch_execz .LBB287_3238
; %bb.3231:                             ;   in Loop: Header=BB287_2083 Depth=1
	v_lshrrev_b32_e32 v5, 24, v15
	v_bfrev_b32_e32 v78, 1
	s_mov_b32 s27, exec_lo
	v_cmpx_ne_u32_e32 0x80, v5
	s_cbranch_execz .LBB287_3237
; %bb.3232:                             ;   in Loop: Header=BB287_2083 Depth=1
	v_and_b32_e32 v88, 0x7f, v5
	v_mov_b32_e32 v78, 0x7c010000
	s_mov_b32 s28, exec_lo
	v_cmpx_ne_u32_e32 0x7f, v88
	s_cbranch_execz .LBB287_3236
; %bb.3233:                             ;   in Loop: Header=BB287_2083 Depth=1
	v_and_b32_e32 v101, 7, v5
	v_lshrrev_b32_e32 v102, 3, v88
	s_mov_b32 s29, exec_lo
	v_cmpx_gt_u32_e32 8, v88
; %bb.3234:                             ;   in Loop: Header=BB287_2083 Depth=1
	v_ffbh_u32_e32 v3, v101
	v_min_u32_e32 v3, 32, v3
	v_subrev_nc_u32_e32 v4, 28, v3
	v_lshlrev_b64 v[101:102], v4, v[5:6]
	v_sub_nc_u32_e32 v102, 29, v3
	v_and_b32_e32 v101, 7, v101
; %bb.3235:                             ;   in Loop: Header=BB287_2083 Depth=1
	s_or_b32 exec_lo, exec_lo, s29
	v_lshlrev_b32_e32 v3, 8, v5
	v_lshl_add_u32 v4, v102, 10, 0x2000
	v_and_or_b32 v3, 0x8000, v3, v4
	v_lshlrev_b32_e32 v4, 23, v101
	v_lshl_or_b32 v78, v3, 16, v4
.LBB287_3236:                           ;   in Loop: Header=BB287_2083 Depth=1
	s_or_b32 exec_lo, exec_lo, s28
.LBB287_3237:                           ;   in Loop: Header=BB287_2083 Depth=1
	s_or_b32 exec_lo, exec_lo, s27
.LBB287_3238:                           ;   in Loop: Header=BB287_2083 Depth=1
	s_or_b32 exec_lo, exec_lo, s26
	v_mov_b32_e32 v5, v16
	v_cmp_ne_u16_sdwa s12, v16, v6 src0_sel:BYTE_0 src1_sel:DWORD
	v_mov_b32_e32 v88, 0
	v_mov_b32_e32 v89, 0
	s_and_saveexec_b32 s26, s12
	s_cbranch_execz .LBB287_3246
; %bb.3239:                             ;   in Loop: Header=BB287_2083 Depth=1
	v_cmp_ne_u16_sdwa s12, v16, v48 src0_sel:BYTE_0 src1_sel:DWORD
	v_mov_b32_e32 v89, 0x8000
	s_and_saveexec_b32 s27, s12
	s_cbranch_execz .LBB287_3245
; %bb.3240:                             ;   in Loop: Header=BB287_2083 Depth=1
	v_and_b32_e32 v102, 0x7f, v16
	v_mov_b32_e32 v89, 0x7c01
	s_mov_b32 s28, exec_lo
	v_cmpx_ne_u32_e32 0x7f, v102
	s_cbranch_execz .LBB287_3244
; %bb.3241:                             ;   in Loop: Header=BB287_2083 Depth=1
	v_and_b32_e32 v101, 7, v16
	v_lshrrev_b32_e32 v89, 3, v102
	s_mov_b32 s29, exec_lo
	v_cmpx_gt_u32_e32 8, v102
; %bb.3242:                             ;   in Loop: Header=BB287_2083 Depth=1
	v_ffbh_u32_e32 v3, v101
	v_min_u32_e32 v3, 32, v3
	v_subrev_nc_u32_e32 v4, 28, v3
	v_sub_nc_u32_e32 v89, 29, v3
	v_lshlrev_b64 v[101:102], v4, v[5:6]
	v_and_b32_e32 v101, 7, v101
; %bb.3243:                             ;   in Loop: Header=BB287_2083 Depth=1
	s_or_b32 exec_lo, exec_lo, s29
	v_lshlrev_b32_e32 v3, 8, v16
	v_lshl_add_u32 v4, v89, 10, 0x2000
	v_lshlrev_b32_e32 v101, 7, v101
	v_and_b32_e32 v3, 0x8000, v3
	v_and_b32_e32 v4, 0xfc00, v4
	v_or3_b32 v89, v3, v4, v101
.LBB287_3244:                           ;   in Loop: Header=BB287_2083 Depth=1
	s_or_b32 exec_lo, exec_lo, s28
.LBB287_3245:                           ;   in Loop: Header=BB287_2083 Depth=1
	s_or_b32 exec_lo, exec_lo, s27
.LBB287_3246:                           ;   in Loop: Header=BB287_2083 Depth=1
	s_or_b32 exec_lo, exec_lo, s26
	v_lshrrev_b16 v5, 8, v5
	v_mov_b32_e32 v90, 0
	s_mov_b32 s26, exec_lo
	v_cmpx_ne_u16_e32 0, v5
	s_cbranch_execz .LBB287_3254
; %bb.3247:                             ;   in Loop: Header=BB287_2083 Depth=1
	v_bfrev_b32_e32 v90, 1
	s_mov_b32 s27, exec_lo
	v_cmpx_ne_u16_e32 0x80, v5
	s_cbranch_execz .LBB287_3253
; %bb.3248:                             ;   in Loop: Header=BB287_2083 Depth=1
	v_and_b32_sdwa v91, v5, v49 dst_sel:DWORD dst_unused:UNUSED_PAD src0_sel:WORD_0 src1_sel:DWORD
	v_mov_b32_e32 v90, 0x7c010000
	s_mov_b32 s28, exec_lo
	v_cmpx_ne_u32_e32 0x7f, v91
	s_cbranch_execz .LBB287_3252
; %bb.3249:                             ;   in Loop: Header=BB287_2083 Depth=1
	v_and_b32_sdwa v101, v5, v50 dst_sel:DWORD dst_unused:UNUSED_PAD src0_sel:WORD_0 src1_sel:DWORD
	v_lshrrev_b32_e32 v102, 3, v91
	s_mov_b32 s29, exec_lo
	v_cmpx_gt_u32_e32 8, v91
; %bb.3250:                             ;   in Loop: Header=BB287_2083 Depth=1
	v_ffbh_u32_e32 v3, v101
	v_min_u32_e32 v3, 32, v3
	v_subrev_nc_u32_e32 v4, 28, v3
	v_lshlrev_b64 v[101:102], v4, v[5:6]
	v_sub_nc_u32_e32 v102, 29, v3
	v_and_b32_e32 v101, 7, v101
; %bb.3251:                             ;   in Loop: Header=BB287_2083 Depth=1
	s_or_b32 exec_lo, exec_lo, s29
	v_lshlrev_b32_sdwa v3, v100, v5 dst_sel:DWORD dst_unused:UNUSED_PAD src0_sel:DWORD src1_sel:WORD_0
	v_lshl_add_u32 v4, v102, 10, 0x2000
	v_and_or_b32 v3, 0x8000, v3, v4
	v_lshlrev_b32_e32 v4, 23, v101
	v_lshl_or_b32 v90, v3, 16, v4
.LBB287_3252:                           ;   in Loop: Header=BB287_2083 Depth=1
	s_or_b32 exec_lo, exec_lo, s28
.LBB287_3253:                           ;   in Loop: Header=BB287_2083 Depth=1
	s_or_b32 exec_lo, exec_lo, s27
.LBB287_3254:                           ;   in Loop: Header=BB287_2083 Depth=1
	s_or_b32 exec_lo, exec_lo, s26
	v_lshrrev_b32_e32 v5, 16, v16
	v_cmp_ne_u16_sdwa s12, v5, v6 src0_sel:BYTE_0 src1_sel:DWORD
	s_and_saveexec_b32 s26, s12
	s_cbranch_execz .LBB287_3262
; %bb.3255:                             ;   in Loop: Header=BB287_2083 Depth=1
	v_cmp_ne_u16_sdwa s12, v5, v48 src0_sel:BYTE_0 src1_sel:DWORD
	v_mov_b32_e32 v88, 0x8000
	s_and_saveexec_b32 s27, s12
	s_cbranch_execz .LBB287_3261
; %bb.3256:                             ;   in Loop: Header=BB287_2083 Depth=1
	v_bfe_u32 v102, v16, 16, 7
	v_mov_b32_e32 v88, 0x7c01
	s_mov_b32 s28, exec_lo
	v_cmpx_ne_u32_e32 0x7f, v102
	s_cbranch_execz .LBB287_3260
; %bb.3257:                             ;   in Loop: Header=BB287_2083 Depth=1
	v_and_b32_e32 v101, 7, v5
	v_lshrrev_b32_e32 v88, 3, v102
	s_mov_b32 s29, exec_lo
	v_cmpx_gt_u32_e32 8, v102
; %bb.3258:                             ;   in Loop: Header=BB287_2083 Depth=1
	v_ffbh_u32_e32 v3, v101
	v_min_u32_e32 v3, 32, v3
	v_subrev_nc_u32_e32 v4, 28, v3
	v_sub_nc_u32_e32 v88, 29, v3
	v_lshlrev_b64 v[101:102], v4, v[5:6]
	v_and_b32_e32 v101, 7, v101
; %bb.3259:                             ;   in Loop: Header=BB287_2083 Depth=1
	s_or_b32 exec_lo, exec_lo, s29
	v_lshlrev_b32_e32 v3, 8, v5
	v_lshl_add_u32 v4, v88, 10, 0x2000
	v_lshlrev_b32_e32 v5, 7, v101
	v_and_b32_e32 v3, 0x8000, v3
	v_and_b32_e32 v4, 0xfc00, v4
	v_or3_b32 v88, v3, v4, v5
.LBB287_3260:                           ;   in Loop: Header=BB287_2083 Depth=1
	s_or_b32 exec_lo, exec_lo, s28
.LBB287_3261:                           ;   in Loop: Header=BB287_2083 Depth=1
	s_or_b32 exec_lo, exec_lo, s27
.LBB287_3262:                           ;   in Loop: Header=BB287_2083 Depth=1
	s_or_b32 exec_lo, exec_lo, s26
	v_cmp_lt_u64_e64 s12, s[22:23], v[15:16]
	v_mov_b32_e32 v15, 0
	s_and_saveexec_b32 s26, s12
	s_cbranch_execz .LBB287_3270
; %bb.3263:                             ;   in Loop: Header=BB287_2083 Depth=1
	v_lshrrev_b32_e32 v5, 24, v16
	v_bfrev_b32_e32 v15, 1
	s_mov_b32 s27, exec_lo
	v_cmpx_ne_u32_e32 0x80, v5
	s_cbranch_execz .LBB287_3269
; %bb.3264:                             ;   in Loop: Header=BB287_2083 Depth=1
	v_and_b32_e32 v101, 0x7f, v5
	v_mov_b32_e32 v15, 0x7c010000
	s_mov_b32 s28, exec_lo
	v_cmpx_ne_u32_e32 0x7f, v101
	s_cbranch_execz .LBB287_3268
; %bb.3265:                             ;   in Loop: Header=BB287_2083 Depth=1
	v_and_b32_e32 v15, 7, v5
	v_lshrrev_b32_e32 v16, 3, v101
	s_mov_b32 s29, exec_lo
	v_cmpx_gt_u32_e32 8, v101
; %bb.3266:                             ;   in Loop: Header=BB287_2083 Depth=1
	v_ffbh_u32_e32 v3, v15
	v_min_u32_e32 v3, 32, v3
	v_subrev_nc_u32_e32 v4, 28, v3
	v_lshlrev_b64 v[15:16], v4, v[5:6]
	v_sub_nc_u32_e32 v16, 29, v3
	v_and_b32_e32 v15, 7, v15
; %bb.3267:                             ;   in Loop: Header=BB287_2083 Depth=1
	s_or_b32 exec_lo, exec_lo, s29
	v_lshlrev_b32_e32 v3, 8, v5
	v_lshl_add_u32 v4, v16, 10, 0x2000
	v_and_or_b32 v3, 0x8000, v3, v4
	v_lshlrev_b32_e32 v4, 23, v15
	v_lshl_or_b32 v15, v3, 16, v4
.LBB287_3268:                           ;   in Loop: Header=BB287_2083 Depth=1
	s_or_b32 exec_lo, exec_lo, s28
.LBB287_3269:                           ;   in Loop: Header=BB287_2083 Depth=1
	s_or_b32 exec_lo, exec_lo, s27
.LBB287_3270:                           ;   in Loop: Header=BB287_2083 Depth=1
	s_or_b32 exec_lo, exec_lo, s26
	v_or_b32_e32 v3, v78, v79
	s_waitcnt vmcnt(0) lgkmcnt(0)
	v_fma_mixlo_f16 v4, v66, v78, 0 op_sel:[0,1,0] op_sel_hi:[0,1,0]
	v_or_b32_e32 v16, v59, v61
	v_or_b32_e32 v102, v90, v89
	;; [unrolled: 1-line block ×3, first 2 shown]
	v_fma_mixlo_f16 v3, v66, v3, 0 op_sel_hi:[0,1,0]
	v_fma_mixlo_f16 v101, v66, v59, 0 op_sel:[0,1,0] op_sel_hi:[0,1,0]
	v_lshlrev_b32_e32 v5, 16, v4
	v_fma_mixlo_f16 v4, v66, v16, 0 op_sel_hi:[0,1,0]
	v_fma_mixlo_f16 v59, v66, v102, 0 op_sel_hi:[0,1,0]
	v_and_b32_e32 v16, 0xffff, v3
	v_fma_mixlo_f16 v3, v66, v90, 0 op_sel:[0,1,0] op_sel_hi:[0,1,0]
	v_fma_mixlo_f16 v15, v66, v15, 0 op_sel:[0,1,0] op_sel_hi:[0,1,0]
	v_fma_mixlo_f16 v66, v66, v103, 0 op_sel_hi:[0,1,0]
	v_lshlrev_b32_e32 v101, 16, v101
	v_and_b32_e32 v102, 0xffff, v4
	v_lshlrev_b32_e32 v79, 16, v3
	v_and_b32_e32 v89, 0xffff, v59
	;; [unrolled: 2-line block ×3, first 2 shown]
	v_or_b32_e32 v15, v5, v16
	v_or_b32_e32 v61, v101, v102
	;; [unrolled: 1-line block ×4, first 2 shown]
	s_and_saveexec_b32 s12, s4
	s_cbranch_execz .LBB287_3272
; %bb.3271:                             ;   in Loop: Header=BB287_2083 Depth=1
	v_cndmask_b32_e32 v3, 0, v102, vcc_lo
	v_cndmask_b32_e64 v4, 0, v101, s7
	v_cndmask_b32_e64 v15, 0, v16, s5
	;; [unrolled: 1-line block ×7, first 2 shown]
	v_or_b32_e32 v61, v3, v4
	v_or_b32_e32 v15, v15, v5
	;; [unrolled: 1-line block ×4, first 2 shown]
.LBB287_3272:                           ;   in Loop: Header=BB287_2083 Depth=1
	s_or_b32 exec_lo, exec_lo, s12
	;;#ASMSTART
	v_pk_mul_f16 v3, v40, v61;

	;;#ASMEND
	;;#ASMSTART
	v_pk_mul_f16 v4, v119, v15;

	;;#ASMEND
	;; [unrolled: 4-line block ×4, first 2 shown]
	;;#ASMSTART
	v_pk_add_f16 v3, v3, v4;

	;;#ASMEND
	;;#ASMSTART
	v_pk_add_f16 v3, v3, v5;

	;;#ASMEND
	;; [unrolled: 4-line block ×3, first 2 shown]
	v_and_b32_e32 v4, 0xffff, v3
	v_lshrrev_b32_e32 v3, 16, v3
	;;#ASMSTART
	v_cvt_f32_f16 v61, v4;
	;;#ASMEND
	;;#ASMSTART
	v_cvt_f32_f16 v78, v3;
	;;#ASMEND
	flat_load_dwordx2 v[15:16], v[13:14] offset:512
	flat_load_dword v66, v[22:23]
	v_mov_b32_e32 v59, 0
	v_mov_b32_e32 v79, 0
	s_waitcnt vmcnt(1) lgkmcnt(1)
	v_cmp_ne_u16_sdwa s12, v15, v6 src0_sel:BYTE_0 src1_sel:DWORD
	s_and_saveexec_b32 s26, s12
	s_cbranch_execz .LBB287_3280
; %bb.3273:                             ;   in Loop: Header=BB287_2083 Depth=1
	v_cmp_ne_u16_sdwa s12, v15, v48 src0_sel:BYTE_0 src1_sel:DWORD
	v_mov_b32_e32 v79, 0x8000
	s_and_saveexec_b32 s27, s12
	s_cbranch_execz .LBB287_3279
; %bb.3274:                             ;   in Loop: Header=BB287_2083 Depth=1
	v_and_b32_e32 v102, 0x7f, v15
	v_mov_b32_e32 v79, 0x7c01
	s_mov_b32 s28, exec_lo
	v_cmpx_ne_u32_e32 0x7f, v102
	s_cbranch_execz .LBB287_3278
; %bb.3275:                             ;   in Loop: Header=BB287_2083 Depth=1
	v_and_b32_e32 v5, 7, v15
	v_lshrrev_b32_e32 v101, 3, v102
	s_mov_b32 s29, exec_lo
	v_cmpx_gt_u32_e32 8, v102
; %bb.3276:                             ;   in Loop: Header=BB287_2083 Depth=1
	v_ffbh_u32_e32 v3, v5
	v_min_u32_e32 v3, 32, v3
	v_subrev_nc_u32_e32 v4, 28, v3
	v_sub_nc_u32_e32 v101, 29, v3
	v_lshlrev_b64 v[102:103], v4, v[15:16]
	v_and_b32_e32 v5, 7, v102
; %bb.3277:                             ;   in Loop: Header=BB287_2083 Depth=1
	s_or_b32 exec_lo, exec_lo, s29
	v_lshlrev_b32_e32 v3, 8, v15
	v_lshl_add_u32 v4, v101, 10, 0x2000
	v_lshlrev_b32_e32 v5, 7, v5
	v_and_b32_e32 v3, 0x8000, v3
	v_and_b32_e32 v4, 0xfc00, v4
	v_or3_b32 v79, v3, v4, v5
.LBB287_3278:                           ;   in Loop: Header=BB287_2083 Depth=1
	s_or_b32 exec_lo, exec_lo, s28
.LBB287_3279:                           ;   in Loop: Header=BB287_2083 Depth=1
	s_or_b32 exec_lo, exec_lo, s27
.LBB287_3280:                           ;   in Loop: Header=BB287_2083 Depth=1
	s_or_b32 exec_lo, exec_lo, s26
	v_lshrrev_b16 v5, 8, v15
	s_mov_b32 s26, exec_lo
	v_cmpx_ne_u16_e32 0, v5
	s_cbranch_execz .LBB287_3288
; %bb.3281:                             ;   in Loop: Header=BB287_2083 Depth=1
	v_bfrev_b32_e32 v59, 1
	s_mov_b32 s27, exec_lo
	v_cmpx_ne_u16_e32 0x80, v5
	s_cbranch_execz .LBB287_3287
; %bb.3282:                             ;   in Loop: Header=BB287_2083 Depth=1
	v_and_b32_sdwa v88, v5, v49 dst_sel:DWORD dst_unused:UNUSED_PAD src0_sel:WORD_0 src1_sel:DWORD
	v_mov_b32_e32 v59, 0x7c010000
	s_mov_b32 s28, exec_lo
	v_cmpx_ne_u32_e32 0x7f, v88
	s_cbranch_execz .LBB287_3286
; %bb.3283:                             ;   in Loop: Header=BB287_2083 Depth=1
	v_and_b32_sdwa v101, v5, v50 dst_sel:DWORD dst_unused:UNUSED_PAD src0_sel:WORD_0 src1_sel:DWORD
	v_lshrrev_b32_e32 v102, 3, v88
	s_mov_b32 s29, exec_lo
	v_cmpx_gt_u32_e32 8, v88
; %bb.3284:                             ;   in Loop: Header=BB287_2083 Depth=1
	v_ffbh_u32_e32 v3, v101
	v_min_u32_e32 v3, 32, v3
	v_subrev_nc_u32_e32 v4, 28, v3
	v_lshlrev_b64 v[101:102], v4, v[5:6]
	v_sub_nc_u32_e32 v102, 29, v3
	v_and_b32_e32 v101, 7, v101
; %bb.3285:                             ;   in Loop: Header=BB287_2083 Depth=1
	s_or_b32 exec_lo, exec_lo, s29
	v_lshlrev_b32_sdwa v3, v100, v5 dst_sel:DWORD dst_unused:UNUSED_PAD src0_sel:DWORD src1_sel:WORD_0
	v_lshl_add_u32 v4, v102, 10, 0x2000
	v_and_or_b32 v3, 0x8000, v3, v4
	v_lshlrev_b32_e32 v4, 23, v101
	v_lshl_or_b32 v59, v3, 16, v4
.LBB287_3286:                           ;   in Loop: Header=BB287_2083 Depth=1
	s_or_b32 exec_lo, exec_lo, s28
.LBB287_3287:                           ;   in Loop: Header=BB287_2083 Depth=1
	s_or_b32 exec_lo, exec_lo, s27
.LBB287_3288:                           ;   in Loop: Header=BB287_2083 Depth=1
	s_or_b32 exec_lo, exec_lo, s26
	v_lshrrev_b32_e32 v5, 16, v15
	v_mov_b32_e32 v88, 0
	v_mov_b32_e32 v89, 0
	v_cmp_ne_u16_sdwa s12, v5, v6 src0_sel:BYTE_0 src1_sel:DWORD
	s_and_saveexec_b32 s26, s12
	s_cbranch_execz .LBB287_3296
; %bb.3289:                             ;   in Loop: Header=BB287_2083 Depth=1
	v_cmp_ne_u16_sdwa s12, v5, v48 src0_sel:BYTE_0 src1_sel:DWORD
	v_mov_b32_e32 v89, 0x8000
	s_and_saveexec_b32 s27, s12
	s_cbranch_execz .LBB287_3295
; %bb.3290:                             ;   in Loop: Header=BB287_2083 Depth=1
	v_bfe_u32 v102, v15, 16, 7
	v_mov_b32_e32 v89, 0x7c01
	s_mov_b32 s28, exec_lo
	v_cmpx_ne_u32_e32 0x7f, v102
	s_cbranch_execz .LBB287_3294
; %bb.3291:                             ;   in Loop: Header=BB287_2083 Depth=1
	v_and_b32_e32 v101, 7, v5
	v_lshrrev_b32_e32 v89, 3, v102
	s_mov_b32 s29, exec_lo
	v_cmpx_gt_u32_e32 8, v102
; %bb.3292:                             ;   in Loop: Header=BB287_2083 Depth=1
	v_ffbh_u32_e32 v3, v101
	v_min_u32_e32 v3, 32, v3
	v_subrev_nc_u32_e32 v4, 28, v3
	v_sub_nc_u32_e32 v89, 29, v3
	v_lshlrev_b64 v[101:102], v4, v[5:6]
	v_and_b32_e32 v101, 7, v101
; %bb.3293:                             ;   in Loop: Header=BB287_2083 Depth=1
	s_or_b32 exec_lo, exec_lo, s29
	v_lshlrev_b32_e32 v3, 8, v5
	v_lshl_add_u32 v4, v89, 10, 0x2000
	v_lshlrev_b32_e32 v5, 7, v101
	v_and_b32_e32 v3, 0x8000, v3
	v_and_b32_e32 v4, 0xfc00, v4
	v_or3_b32 v89, v3, v4, v5
.LBB287_3294:                           ;   in Loop: Header=BB287_2083 Depth=1
	s_or_b32 exec_lo, exec_lo, s28
.LBB287_3295:                           ;   in Loop: Header=BB287_2083 Depth=1
	s_or_b32 exec_lo, exec_lo, s27
.LBB287_3296:                           ;   in Loop: Header=BB287_2083 Depth=1
	s_or_b32 exec_lo, exec_lo, s26
	s_mov_b32 s26, exec_lo
	v_cmpx_lt_u32_e32 0xffffff, v15
	s_cbranch_execz .LBB287_3304
; %bb.3297:                             ;   in Loop: Header=BB287_2083 Depth=1
	v_lshrrev_b32_e32 v5, 24, v15
	v_bfrev_b32_e32 v88, 1
	s_mov_b32 s27, exec_lo
	v_cmpx_ne_u32_e32 0x80, v5
	s_cbranch_execz .LBB287_3303
; %bb.3298:                             ;   in Loop: Header=BB287_2083 Depth=1
	v_and_b32_e32 v90, 0x7f, v5
	v_mov_b32_e32 v88, 0x7c010000
	s_mov_b32 s28, exec_lo
	v_cmpx_ne_u32_e32 0x7f, v90
	s_cbranch_execz .LBB287_3302
; %bb.3299:                             ;   in Loop: Header=BB287_2083 Depth=1
	v_and_b32_e32 v101, 7, v5
	v_lshrrev_b32_e32 v102, 3, v90
	s_mov_b32 s29, exec_lo
	v_cmpx_gt_u32_e32 8, v90
; %bb.3300:                             ;   in Loop: Header=BB287_2083 Depth=1
	v_ffbh_u32_e32 v3, v101
	v_min_u32_e32 v3, 32, v3
	v_subrev_nc_u32_e32 v4, 28, v3
	v_lshlrev_b64 v[101:102], v4, v[5:6]
	v_sub_nc_u32_e32 v102, 29, v3
	v_and_b32_e32 v101, 7, v101
; %bb.3301:                             ;   in Loop: Header=BB287_2083 Depth=1
	s_or_b32 exec_lo, exec_lo, s29
	v_lshlrev_b32_e32 v3, 8, v5
	v_lshl_add_u32 v4, v102, 10, 0x2000
	v_and_or_b32 v3, 0x8000, v3, v4
	v_lshlrev_b32_e32 v4, 23, v101
	v_lshl_or_b32 v88, v3, 16, v4
.LBB287_3302:                           ;   in Loop: Header=BB287_2083 Depth=1
	s_or_b32 exec_lo, exec_lo, s28
.LBB287_3303:                           ;   in Loop: Header=BB287_2083 Depth=1
	s_or_b32 exec_lo, exec_lo, s27
.LBB287_3304:                           ;   in Loop: Header=BB287_2083 Depth=1
	s_or_b32 exec_lo, exec_lo, s26
	v_mov_b32_e32 v5, v16
	v_cmp_ne_u16_sdwa s12, v16, v6 src0_sel:BYTE_0 src1_sel:DWORD
	v_mov_b32_e32 v90, 0
	v_mov_b32_e32 v91, 0
	s_and_saveexec_b32 s26, s12
	s_cbranch_execz .LBB287_3312
; %bb.3305:                             ;   in Loop: Header=BB287_2083 Depth=1
	v_cmp_ne_u16_sdwa s12, v16, v48 src0_sel:BYTE_0 src1_sel:DWORD
	v_mov_b32_e32 v91, 0x8000
	s_and_saveexec_b32 s27, s12
	s_cbranch_execz .LBB287_3311
; %bb.3306:                             ;   in Loop: Header=BB287_2083 Depth=1
	v_and_b32_e32 v102, 0x7f, v16
	v_mov_b32_e32 v91, 0x7c01
	s_mov_b32 s28, exec_lo
	v_cmpx_ne_u32_e32 0x7f, v102
	s_cbranch_execz .LBB287_3310
; %bb.3307:                             ;   in Loop: Header=BB287_2083 Depth=1
	v_and_b32_e32 v101, 7, v16
	v_lshrrev_b32_e32 v91, 3, v102
	s_mov_b32 s29, exec_lo
	v_cmpx_gt_u32_e32 8, v102
; %bb.3308:                             ;   in Loop: Header=BB287_2083 Depth=1
	v_ffbh_u32_e32 v3, v101
	v_min_u32_e32 v3, 32, v3
	v_subrev_nc_u32_e32 v4, 28, v3
	v_sub_nc_u32_e32 v91, 29, v3
	v_lshlrev_b64 v[101:102], v4, v[5:6]
	v_and_b32_e32 v101, 7, v101
; %bb.3309:                             ;   in Loop: Header=BB287_2083 Depth=1
	s_or_b32 exec_lo, exec_lo, s29
	v_lshlrev_b32_e32 v3, 8, v16
	v_lshl_add_u32 v4, v91, 10, 0x2000
	v_lshlrev_b32_e32 v101, 7, v101
	v_and_b32_e32 v3, 0x8000, v3
	v_and_b32_e32 v4, 0xfc00, v4
	v_or3_b32 v91, v3, v4, v101
.LBB287_3310:                           ;   in Loop: Header=BB287_2083 Depth=1
	s_or_b32 exec_lo, exec_lo, s28
.LBB287_3311:                           ;   in Loop: Header=BB287_2083 Depth=1
	s_or_b32 exec_lo, exec_lo, s27
.LBB287_3312:                           ;   in Loop: Header=BB287_2083 Depth=1
	s_or_b32 exec_lo, exec_lo, s26
	v_lshrrev_b16 v5, 8, v5
	v_mov_b32_e32 v92, 0
	s_mov_b32 s26, exec_lo
	v_cmpx_ne_u16_e32 0, v5
	s_cbranch_execz .LBB287_3320
; %bb.3313:                             ;   in Loop: Header=BB287_2083 Depth=1
	v_bfrev_b32_e32 v92, 1
	s_mov_b32 s27, exec_lo
	v_cmpx_ne_u16_e32 0x80, v5
	s_cbranch_execz .LBB287_3319
; %bb.3314:                             ;   in Loop: Header=BB287_2083 Depth=1
	v_and_b32_sdwa v93, v5, v49 dst_sel:DWORD dst_unused:UNUSED_PAD src0_sel:WORD_0 src1_sel:DWORD
	v_mov_b32_e32 v92, 0x7c010000
	s_mov_b32 s28, exec_lo
	v_cmpx_ne_u32_e32 0x7f, v93
	s_cbranch_execz .LBB287_3318
; %bb.3315:                             ;   in Loop: Header=BB287_2083 Depth=1
	v_and_b32_sdwa v101, v5, v50 dst_sel:DWORD dst_unused:UNUSED_PAD src0_sel:WORD_0 src1_sel:DWORD
	v_lshrrev_b32_e32 v102, 3, v93
	s_mov_b32 s29, exec_lo
	v_cmpx_gt_u32_e32 8, v93
; %bb.3316:                             ;   in Loop: Header=BB287_2083 Depth=1
	v_ffbh_u32_e32 v3, v101
	v_min_u32_e32 v3, 32, v3
	v_subrev_nc_u32_e32 v4, 28, v3
	v_lshlrev_b64 v[101:102], v4, v[5:6]
	v_sub_nc_u32_e32 v102, 29, v3
	v_and_b32_e32 v101, 7, v101
; %bb.3317:                             ;   in Loop: Header=BB287_2083 Depth=1
	s_or_b32 exec_lo, exec_lo, s29
	v_lshlrev_b32_sdwa v3, v100, v5 dst_sel:DWORD dst_unused:UNUSED_PAD src0_sel:DWORD src1_sel:WORD_0
	v_lshl_add_u32 v4, v102, 10, 0x2000
	v_and_or_b32 v3, 0x8000, v3, v4
	v_lshlrev_b32_e32 v4, 23, v101
	v_lshl_or_b32 v92, v3, 16, v4
.LBB287_3318:                           ;   in Loop: Header=BB287_2083 Depth=1
	s_or_b32 exec_lo, exec_lo, s28
.LBB287_3319:                           ;   in Loop: Header=BB287_2083 Depth=1
	s_or_b32 exec_lo, exec_lo, s27
.LBB287_3320:                           ;   in Loop: Header=BB287_2083 Depth=1
	s_or_b32 exec_lo, exec_lo, s26
	v_lshrrev_b32_e32 v5, 16, v16
	v_cmp_ne_u16_sdwa s12, v5, v6 src0_sel:BYTE_0 src1_sel:DWORD
	s_and_saveexec_b32 s26, s12
	s_cbranch_execz .LBB287_3328
; %bb.3321:                             ;   in Loop: Header=BB287_2083 Depth=1
	v_cmp_ne_u16_sdwa s12, v5, v48 src0_sel:BYTE_0 src1_sel:DWORD
	v_mov_b32_e32 v90, 0x8000
	s_and_saveexec_b32 s27, s12
	s_cbranch_execz .LBB287_3327
; %bb.3322:                             ;   in Loop: Header=BB287_2083 Depth=1
	v_bfe_u32 v102, v16, 16, 7
	v_mov_b32_e32 v90, 0x7c01
	s_mov_b32 s28, exec_lo
	v_cmpx_ne_u32_e32 0x7f, v102
	s_cbranch_execz .LBB287_3326
; %bb.3323:                             ;   in Loop: Header=BB287_2083 Depth=1
	v_and_b32_e32 v101, 7, v5
	v_lshrrev_b32_e32 v90, 3, v102
	s_mov_b32 s29, exec_lo
	v_cmpx_gt_u32_e32 8, v102
; %bb.3324:                             ;   in Loop: Header=BB287_2083 Depth=1
	v_ffbh_u32_e32 v3, v101
	v_min_u32_e32 v3, 32, v3
	v_subrev_nc_u32_e32 v4, 28, v3
	v_sub_nc_u32_e32 v90, 29, v3
	v_lshlrev_b64 v[101:102], v4, v[5:6]
	v_and_b32_e32 v101, 7, v101
; %bb.3325:                             ;   in Loop: Header=BB287_2083 Depth=1
	s_or_b32 exec_lo, exec_lo, s29
	v_lshlrev_b32_e32 v3, 8, v5
	v_lshl_add_u32 v4, v90, 10, 0x2000
	v_lshlrev_b32_e32 v5, 7, v101
	v_and_b32_e32 v3, 0x8000, v3
	v_and_b32_e32 v4, 0xfc00, v4
	v_or3_b32 v90, v3, v4, v5
.LBB287_3326:                           ;   in Loop: Header=BB287_2083 Depth=1
	s_or_b32 exec_lo, exec_lo, s28
.LBB287_3327:                           ;   in Loop: Header=BB287_2083 Depth=1
	s_or_b32 exec_lo, exec_lo, s27
.LBB287_3328:                           ;   in Loop: Header=BB287_2083 Depth=1
	s_or_b32 exec_lo, exec_lo, s26
	v_cmp_lt_u64_e64 s12, s[22:23], v[15:16]
	v_mov_b32_e32 v15, 0
	s_and_saveexec_b32 s26, s12
	s_cbranch_execz .LBB287_3336
; %bb.3329:                             ;   in Loop: Header=BB287_2083 Depth=1
	v_lshrrev_b32_e32 v5, 24, v16
	v_bfrev_b32_e32 v15, 1
	s_mov_b32 s27, exec_lo
	v_cmpx_ne_u32_e32 0x80, v5
	s_cbranch_execz .LBB287_3335
; %bb.3330:                             ;   in Loop: Header=BB287_2083 Depth=1
	v_and_b32_e32 v101, 0x7f, v5
	v_mov_b32_e32 v15, 0x7c010000
	s_mov_b32 s28, exec_lo
	v_cmpx_ne_u32_e32 0x7f, v101
	s_cbranch_execz .LBB287_3334
; %bb.3331:                             ;   in Loop: Header=BB287_2083 Depth=1
	v_and_b32_e32 v15, 7, v5
	v_lshrrev_b32_e32 v16, 3, v101
	s_mov_b32 s29, exec_lo
	v_cmpx_gt_u32_e32 8, v101
; %bb.3332:                             ;   in Loop: Header=BB287_2083 Depth=1
	v_ffbh_u32_e32 v3, v15
	v_min_u32_e32 v3, 32, v3
	v_subrev_nc_u32_e32 v4, 28, v3
	v_lshlrev_b64 v[15:16], v4, v[5:6]
	v_sub_nc_u32_e32 v16, 29, v3
	v_and_b32_e32 v15, 7, v15
; %bb.3333:                             ;   in Loop: Header=BB287_2083 Depth=1
	s_or_b32 exec_lo, exec_lo, s29
	v_lshlrev_b32_e32 v3, 8, v5
	v_lshl_add_u32 v4, v16, 10, 0x2000
	v_and_or_b32 v3, 0x8000, v3, v4
	v_lshlrev_b32_e32 v4, 23, v15
	v_lshl_or_b32 v15, v3, 16, v4
.LBB287_3334:                           ;   in Loop: Header=BB287_2083 Depth=1
	s_or_b32 exec_lo, exec_lo, s28
.LBB287_3335:                           ;   in Loop: Header=BB287_2083 Depth=1
	s_or_b32 exec_lo, exec_lo, s27
.LBB287_3336:                           ;   in Loop: Header=BB287_2083 Depth=1
	s_or_b32 exec_lo, exec_lo, s26
	v_or_b32_e32 v3, v88, v89
	s_waitcnt vmcnt(0) lgkmcnt(0)
	v_fma_mixlo_f16 v4, v66, v88, 0 op_sel:[0,1,0] op_sel_hi:[0,1,0]
	v_or_b32_e32 v16, v59, v79
	v_or_b32_e32 v102, v92, v91
	;; [unrolled: 1-line block ×3, first 2 shown]
	v_fma_mixlo_f16 v3, v66, v3, 0 op_sel_hi:[0,1,0]
	v_fma_mixlo_f16 v101, v66, v59, 0 op_sel:[0,1,0] op_sel_hi:[0,1,0]
	v_lshlrev_b32_e32 v5, 16, v4
	v_fma_mixlo_f16 v4, v66, v16, 0 op_sel_hi:[0,1,0]
	v_fma_mixlo_f16 v59, v66, v102, 0 op_sel_hi:[0,1,0]
	v_and_b32_e32 v16, 0xffff, v3
	v_fma_mixlo_f16 v3, v66, v92, 0 op_sel:[0,1,0] op_sel_hi:[0,1,0]
	v_fma_mixlo_f16 v15, v66, v15, 0 op_sel:[0,1,0] op_sel_hi:[0,1,0]
	v_fma_mixlo_f16 v66, v66, v103, 0 op_sel_hi:[0,1,0]
	v_lshlrev_b32_e32 v101, 16, v101
	v_and_b32_e32 v102, 0xffff, v4
	v_lshlrev_b32_e32 v89, 16, v3
	v_and_b32_e32 v91, 0xffff, v59
	;; [unrolled: 2-line block ×3, first 2 shown]
	v_or_b32_e32 v15, v5, v16
	v_or_b32_e32 v79, v101, v102
	;; [unrolled: 1-line block ×4, first 2 shown]
	s_and_saveexec_b32 s12, s4
	s_cbranch_execz .LBB287_3338
; %bb.3337:                             ;   in Loop: Header=BB287_2083 Depth=1
	v_cndmask_b32_e32 v3, 0, v102, vcc_lo
	v_cndmask_b32_e64 v4, 0, v101, s7
	v_cndmask_b32_e64 v15, 0, v16, s5
	;; [unrolled: 1-line block ×7, first 2 shown]
	v_or_b32_e32 v79, v3, v4
	v_or_b32_e32 v15, v15, v5
	;; [unrolled: 1-line block ×4, first 2 shown]
.LBB287_3338:                           ;   in Loop: Header=BB287_2083 Depth=1
	s_or_b32 exec_lo, exec_lo, s12
	;;#ASMSTART
	v_pk_mul_f16 v3, v40, v79;

	;;#ASMEND
	;;#ASMSTART
	v_pk_mul_f16 v4, v119, v15;

	;;#ASMEND
	;;#ASMSTART
	v_pk_mul_f16 v5, v118, v59;

	;;#ASMEND
	;;#ASMSTART
	v_pk_mul_f16 v15, v117, v66;

	;;#ASMEND
	;;#ASMSTART
	v_pk_add_f16 v3, v3, v4;

	;;#ASMEND
	;;#ASMSTART
	v_pk_add_f16 v3, v3, v5;

	;;#ASMEND
	;; [unrolled: 4-line block ×3, first 2 shown]
	v_and_b32_e32 v4, 0xffff, v3
	v_lshrrev_b32_e32 v3, 16, v3
	;;#ASMSTART
	v_cvt_f32_f16 v79, v4;
	;;#ASMEND
	;;#ASMSTART
	v_cvt_f32_f16 v88, v3;
	;;#ASMEND
	flat_load_dwordx2 v[15:16], v[13:14] offset:768
	flat_load_dword v66, v[22:23]
	v_mov_b32_e32 v59, 0
	v_mov_b32_e32 v89, 0
	s_waitcnt vmcnt(1) lgkmcnt(1)
	v_cmp_ne_u16_sdwa s12, v15, v6 src0_sel:BYTE_0 src1_sel:DWORD
	s_and_saveexec_b32 s26, s12
	s_cbranch_execz .LBB287_3346
; %bb.3339:                             ;   in Loop: Header=BB287_2083 Depth=1
	v_cmp_ne_u16_sdwa s12, v15, v48 src0_sel:BYTE_0 src1_sel:DWORD
	v_mov_b32_e32 v89, 0x8000
	s_and_saveexec_b32 s27, s12
	s_cbranch_execz .LBB287_3345
; %bb.3340:                             ;   in Loop: Header=BB287_2083 Depth=1
	v_and_b32_e32 v102, 0x7f, v15
	v_mov_b32_e32 v89, 0x7c01
	s_mov_b32 s28, exec_lo
	v_cmpx_ne_u32_e32 0x7f, v102
	s_cbranch_execz .LBB287_3344
; %bb.3341:                             ;   in Loop: Header=BB287_2083 Depth=1
	v_and_b32_e32 v5, 7, v15
	v_lshrrev_b32_e32 v101, 3, v102
	s_mov_b32 s29, exec_lo
	v_cmpx_gt_u32_e32 8, v102
; %bb.3342:                             ;   in Loop: Header=BB287_2083 Depth=1
	v_ffbh_u32_e32 v3, v5
	v_min_u32_e32 v3, 32, v3
	v_subrev_nc_u32_e32 v4, 28, v3
	v_sub_nc_u32_e32 v101, 29, v3
	v_lshlrev_b64 v[102:103], v4, v[15:16]
	v_and_b32_e32 v5, 7, v102
; %bb.3343:                             ;   in Loop: Header=BB287_2083 Depth=1
	s_or_b32 exec_lo, exec_lo, s29
	v_lshlrev_b32_e32 v3, 8, v15
	v_lshl_add_u32 v4, v101, 10, 0x2000
	v_lshlrev_b32_e32 v5, 7, v5
	v_and_b32_e32 v3, 0x8000, v3
	v_and_b32_e32 v4, 0xfc00, v4
	v_or3_b32 v89, v3, v4, v5
.LBB287_3344:                           ;   in Loop: Header=BB287_2083 Depth=1
	s_or_b32 exec_lo, exec_lo, s28
.LBB287_3345:                           ;   in Loop: Header=BB287_2083 Depth=1
	s_or_b32 exec_lo, exec_lo, s27
.LBB287_3346:                           ;   in Loop: Header=BB287_2083 Depth=1
	s_or_b32 exec_lo, exec_lo, s26
	v_lshrrev_b16 v5, 8, v15
	s_mov_b32 s26, exec_lo
	v_cmpx_ne_u16_e32 0, v5
	s_cbranch_execz .LBB287_3354
; %bb.3347:                             ;   in Loop: Header=BB287_2083 Depth=1
	v_bfrev_b32_e32 v59, 1
	s_mov_b32 s27, exec_lo
	v_cmpx_ne_u16_e32 0x80, v5
	s_cbranch_execz .LBB287_3353
; %bb.3348:                             ;   in Loop: Header=BB287_2083 Depth=1
	v_and_b32_sdwa v90, v5, v49 dst_sel:DWORD dst_unused:UNUSED_PAD src0_sel:WORD_0 src1_sel:DWORD
	v_mov_b32_e32 v59, 0x7c010000
	s_mov_b32 s28, exec_lo
	v_cmpx_ne_u32_e32 0x7f, v90
	s_cbranch_execz .LBB287_3352
; %bb.3349:                             ;   in Loop: Header=BB287_2083 Depth=1
	v_and_b32_sdwa v101, v5, v50 dst_sel:DWORD dst_unused:UNUSED_PAD src0_sel:WORD_0 src1_sel:DWORD
	v_lshrrev_b32_e32 v102, 3, v90
	s_mov_b32 s29, exec_lo
	v_cmpx_gt_u32_e32 8, v90
; %bb.3350:                             ;   in Loop: Header=BB287_2083 Depth=1
	v_ffbh_u32_e32 v3, v101
	v_min_u32_e32 v3, 32, v3
	v_subrev_nc_u32_e32 v4, 28, v3
	v_lshlrev_b64 v[101:102], v4, v[5:6]
	v_sub_nc_u32_e32 v102, 29, v3
	v_and_b32_e32 v101, 7, v101
; %bb.3351:                             ;   in Loop: Header=BB287_2083 Depth=1
	s_or_b32 exec_lo, exec_lo, s29
	v_lshlrev_b32_sdwa v3, v100, v5 dst_sel:DWORD dst_unused:UNUSED_PAD src0_sel:DWORD src1_sel:WORD_0
	v_lshl_add_u32 v4, v102, 10, 0x2000
	v_and_or_b32 v3, 0x8000, v3, v4
	v_lshlrev_b32_e32 v4, 23, v101
	v_lshl_or_b32 v59, v3, 16, v4
.LBB287_3352:                           ;   in Loop: Header=BB287_2083 Depth=1
	s_or_b32 exec_lo, exec_lo, s28
.LBB287_3353:                           ;   in Loop: Header=BB287_2083 Depth=1
	s_or_b32 exec_lo, exec_lo, s27
.LBB287_3354:                           ;   in Loop: Header=BB287_2083 Depth=1
	s_or_b32 exec_lo, exec_lo, s26
	v_lshrrev_b32_e32 v5, 16, v15
	v_mov_b32_e32 v90, 0
	v_mov_b32_e32 v91, 0
	v_cmp_ne_u16_sdwa s12, v5, v6 src0_sel:BYTE_0 src1_sel:DWORD
	s_and_saveexec_b32 s26, s12
	s_cbranch_execz .LBB287_3362
; %bb.3355:                             ;   in Loop: Header=BB287_2083 Depth=1
	v_cmp_ne_u16_sdwa s12, v5, v48 src0_sel:BYTE_0 src1_sel:DWORD
	v_mov_b32_e32 v91, 0x8000
	s_and_saveexec_b32 s27, s12
	s_cbranch_execz .LBB287_3361
; %bb.3356:                             ;   in Loop: Header=BB287_2083 Depth=1
	v_bfe_u32 v102, v15, 16, 7
	v_mov_b32_e32 v91, 0x7c01
	s_mov_b32 s28, exec_lo
	v_cmpx_ne_u32_e32 0x7f, v102
	s_cbranch_execz .LBB287_3360
; %bb.3357:                             ;   in Loop: Header=BB287_2083 Depth=1
	v_and_b32_e32 v101, 7, v5
	v_lshrrev_b32_e32 v91, 3, v102
	s_mov_b32 s29, exec_lo
	v_cmpx_gt_u32_e32 8, v102
; %bb.3358:                             ;   in Loop: Header=BB287_2083 Depth=1
	v_ffbh_u32_e32 v3, v101
	v_min_u32_e32 v3, 32, v3
	v_subrev_nc_u32_e32 v4, 28, v3
	v_sub_nc_u32_e32 v91, 29, v3
	v_lshlrev_b64 v[101:102], v4, v[5:6]
	v_and_b32_e32 v101, 7, v101
; %bb.3359:                             ;   in Loop: Header=BB287_2083 Depth=1
	s_or_b32 exec_lo, exec_lo, s29
	v_lshlrev_b32_e32 v3, 8, v5
	v_lshl_add_u32 v4, v91, 10, 0x2000
	v_lshlrev_b32_e32 v5, 7, v101
	v_and_b32_e32 v3, 0x8000, v3
	v_and_b32_e32 v4, 0xfc00, v4
	v_or3_b32 v91, v3, v4, v5
.LBB287_3360:                           ;   in Loop: Header=BB287_2083 Depth=1
	s_or_b32 exec_lo, exec_lo, s28
.LBB287_3361:                           ;   in Loop: Header=BB287_2083 Depth=1
	s_or_b32 exec_lo, exec_lo, s27
.LBB287_3362:                           ;   in Loop: Header=BB287_2083 Depth=1
	s_or_b32 exec_lo, exec_lo, s26
	s_mov_b32 s26, exec_lo
	v_cmpx_lt_u32_e32 0xffffff, v15
	s_cbranch_execz .LBB287_3370
; %bb.3363:                             ;   in Loop: Header=BB287_2083 Depth=1
	v_lshrrev_b32_e32 v5, 24, v15
	v_bfrev_b32_e32 v90, 1
	s_mov_b32 s27, exec_lo
	v_cmpx_ne_u32_e32 0x80, v5
	s_cbranch_execz .LBB287_3369
; %bb.3364:                             ;   in Loop: Header=BB287_2083 Depth=1
	v_and_b32_e32 v92, 0x7f, v5
	v_mov_b32_e32 v90, 0x7c010000
	s_mov_b32 s28, exec_lo
	v_cmpx_ne_u32_e32 0x7f, v92
	s_cbranch_execz .LBB287_3368
; %bb.3365:                             ;   in Loop: Header=BB287_2083 Depth=1
	v_and_b32_e32 v101, 7, v5
	v_lshrrev_b32_e32 v102, 3, v92
	s_mov_b32 s29, exec_lo
	v_cmpx_gt_u32_e32 8, v92
; %bb.3366:                             ;   in Loop: Header=BB287_2083 Depth=1
	v_ffbh_u32_e32 v3, v101
	v_min_u32_e32 v3, 32, v3
	v_subrev_nc_u32_e32 v4, 28, v3
	v_lshlrev_b64 v[101:102], v4, v[5:6]
	v_sub_nc_u32_e32 v102, 29, v3
	v_and_b32_e32 v101, 7, v101
; %bb.3367:                             ;   in Loop: Header=BB287_2083 Depth=1
	s_or_b32 exec_lo, exec_lo, s29
	v_lshlrev_b32_e32 v3, 8, v5
	v_lshl_add_u32 v4, v102, 10, 0x2000
	v_and_or_b32 v3, 0x8000, v3, v4
	v_lshlrev_b32_e32 v4, 23, v101
	v_lshl_or_b32 v90, v3, 16, v4
.LBB287_3368:                           ;   in Loop: Header=BB287_2083 Depth=1
	s_or_b32 exec_lo, exec_lo, s28
.LBB287_3369:                           ;   in Loop: Header=BB287_2083 Depth=1
	s_or_b32 exec_lo, exec_lo, s27
.LBB287_3370:                           ;   in Loop: Header=BB287_2083 Depth=1
	s_or_b32 exec_lo, exec_lo, s26
	v_mov_b32_e32 v5, v16
	v_cmp_ne_u16_sdwa s12, v16, v6 src0_sel:BYTE_0 src1_sel:DWORD
	v_mov_b32_e32 v92, 0
	v_mov_b32_e32 v93, 0
	s_and_saveexec_b32 s26, s12
	s_cbranch_execz .LBB287_3378
; %bb.3371:                             ;   in Loop: Header=BB287_2083 Depth=1
	v_cmp_ne_u16_sdwa s12, v16, v48 src0_sel:BYTE_0 src1_sel:DWORD
	v_mov_b32_e32 v93, 0x8000
	s_and_saveexec_b32 s27, s12
	s_cbranch_execz .LBB287_3377
; %bb.3372:                             ;   in Loop: Header=BB287_2083 Depth=1
	v_and_b32_e32 v102, 0x7f, v16
	v_mov_b32_e32 v93, 0x7c01
	s_mov_b32 s28, exec_lo
	v_cmpx_ne_u32_e32 0x7f, v102
	s_cbranch_execz .LBB287_3376
; %bb.3373:                             ;   in Loop: Header=BB287_2083 Depth=1
	v_and_b32_e32 v101, 7, v16
	v_lshrrev_b32_e32 v93, 3, v102
	s_mov_b32 s29, exec_lo
	v_cmpx_gt_u32_e32 8, v102
; %bb.3374:                             ;   in Loop: Header=BB287_2083 Depth=1
	v_ffbh_u32_e32 v3, v101
	v_min_u32_e32 v3, 32, v3
	v_subrev_nc_u32_e32 v4, 28, v3
	v_sub_nc_u32_e32 v93, 29, v3
	v_lshlrev_b64 v[101:102], v4, v[5:6]
	v_and_b32_e32 v101, 7, v101
; %bb.3375:                             ;   in Loop: Header=BB287_2083 Depth=1
	s_or_b32 exec_lo, exec_lo, s29
	v_lshlrev_b32_e32 v3, 8, v16
	v_lshl_add_u32 v4, v93, 10, 0x2000
	v_lshlrev_b32_e32 v101, 7, v101
	v_and_b32_e32 v3, 0x8000, v3
	v_and_b32_e32 v4, 0xfc00, v4
	v_or3_b32 v93, v3, v4, v101
.LBB287_3376:                           ;   in Loop: Header=BB287_2083 Depth=1
	s_or_b32 exec_lo, exec_lo, s28
.LBB287_3377:                           ;   in Loop: Header=BB287_2083 Depth=1
	s_or_b32 exec_lo, exec_lo, s27
.LBB287_3378:                           ;   in Loop: Header=BB287_2083 Depth=1
	s_or_b32 exec_lo, exec_lo, s26
	v_lshrrev_b16 v5, 8, v5
	v_mov_b32_e32 v94, 0
	s_mov_b32 s26, exec_lo
	v_cmpx_ne_u16_e32 0, v5
	s_cbranch_execz .LBB287_3386
; %bb.3379:                             ;   in Loop: Header=BB287_2083 Depth=1
	v_bfrev_b32_e32 v94, 1
	s_mov_b32 s27, exec_lo
	v_cmpx_ne_u16_e32 0x80, v5
	s_cbranch_execz .LBB287_3385
; %bb.3380:                             ;   in Loop: Header=BB287_2083 Depth=1
	v_and_b32_sdwa v95, v5, v49 dst_sel:DWORD dst_unused:UNUSED_PAD src0_sel:WORD_0 src1_sel:DWORD
	v_mov_b32_e32 v94, 0x7c010000
	s_mov_b32 s28, exec_lo
	v_cmpx_ne_u32_e32 0x7f, v95
	s_cbranch_execz .LBB287_3384
; %bb.3381:                             ;   in Loop: Header=BB287_2083 Depth=1
	v_and_b32_sdwa v101, v5, v50 dst_sel:DWORD dst_unused:UNUSED_PAD src0_sel:WORD_0 src1_sel:DWORD
	v_lshrrev_b32_e32 v102, 3, v95
	s_mov_b32 s29, exec_lo
	v_cmpx_gt_u32_e32 8, v95
; %bb.3382:                             ;   in Loop: Header=BB287_2083 Depth=1
	v_ffbh_u32_e32 v3, v101
	v_min_u32_e32 v3, 32, v3
	v_subrev_nc_u32_e32 v4, 28, v3
	v_lshlrev_b64 v[101:102], v4, v[5:6]
	v_sub_nc_u32_e32 v102, 29, v3
	v_and_b32_e32 v101, 7, v101
; %bb.3383:                             ;   in Loop: Header=BB287_2083 Depth=1
	s_or_b32 exec_lo, exec_lo, s29
	v_lshlrev_b32_sdwa v3, v100, v5 dst_sel:DWORD dst_unused:UNUSED_PAD src0_sel:DWORD src1_sel:WORD_0
	v_lshl_add_u32 v4, v102, 10, 0x2000
	v_and_or_b32 v3, 0x8000, v3, v4
	v_lshlrev_b32_e32 v4, 23, v101
	v_lshl_or_b32 v94, v3, 16, v4
.LBB287_3384:                           ;   in Loop: Header=BB287_2083 Depth=1
	s_or_b32 exec_lo, exec_lo, s28
.LBB287_3385:                           ;   in Loop: Header=BB287_2083 Depth=1
	s_or_b32 exec_lo, exec_lo, s27
.LBB287_3386:                           ;   in Loop: Header=BB287_2083 Depth=1
	s_or_b32 exec_lo, exec_lo, s26
	v_lshrrev_b32_e32 v5, 16, v16
	v_cmp_ne_u16_sdwa s12, v5, v6 src0_sel:BYTE_0 src1_sel:DWORD
	s_and_saveexec_b32 s26, s12
	s_cbranch_execz .LBB287_3394
; %bb.3387:                             ;   in Loop: Header=BB287_2083 Depth=1
	v_cmp_ne_u16_sdwa s12, v5, v48 src0_sel:BYTE_0 src1_sel:DWORD
	v_mov_b32_e32 v92, 0x8000
	s_and_saveexec_b32 s27, s12
	s_cbranch_execz .LBB287_3393
; %bb.3388:                             ;   in Loop: Header=BB287_2083 Depth=1
	v_bfe_u32 v102, v16, 16, 7
	v_mov_b32_e32 v92, 0x7c01
	s_mov_b32 s28, exec_lo
	v_cmpx_ne_u32_e32 0x7f, v102
	s_cbranch_execz .LBB287_3392
; %bb.3389:                             ;   in Loop: Header=BB287_2083 Depth=1
	v_and_b32_e32 v101, 7, v5
	v_lshrrev_b32_e32 v92, 3, v102
	s_mov_b32 s29, exec_lo
	v_cmpx_gt_u32_e32 8, v102
; %bb.3390:                             ;   in Loop: Header=BB287_2083 Depth=1
	v_ffbh_u32_e32 v3, v101
	v_min_u32_e32 v3, 32, v3
	v_subrev_nc_u32_e32 v4, 28, v3
	v_sub_nc_u32_e32 v92, 29, v3
	v_lshlrev_b64 v[101:102], v4, v[5:6]
	v_and_b32_e32 v101, 7, v101
; %bb.3391:                             ;   in Loop: Header=BB287_2083 Depth=1
	s_or_b32 exec_lo, exec_lo, s29
	v_lshlrev_b32_e32 v3, 8, v5
	v_lshl_add_u32 v4, v92, 10, 0x2000
	v_lshlrev_b32_e32 v5, 7, v101
	v_and_b32_e32 v3, 0x8000, v3
	v_and_b32_e32 v4, 0xfc00, v4
	v_or3_b32 v92, v3, v4, v5
.LBB287_3392:                           ;   in Loop: Header=BB287_2083 Depth=1
	s_or_b32 exec_lo, exec_lo, s28
.LBB287_3393:                           ;   in Loop: Header=BB287_2083 Depth=1
	s_or_b32 exec_lo, exec_lo, s27
.LBB287_3394:                           ;   in Loop: Header=BB287_2083 Depth=1
	s_or_b32 exec_lo, exec_lo, s26
	v_cmp_lt_u64_e64 s12, s[22:23], v[15:16]
	v_mov_b32_e32 v15, 0
	s_and_saveexec_b32 s26, s12
	s_cbranch_execz .LBB287_3402
; %bb.3395:                             ;   in Loop: Header=BB287_2083 Depth=1
	v_lshrrev_b32_e32 v5, 24, v16
	v_bfrev_b32_e32 v15, 1
	s_mov_b32 s27, exec_lo
	v_cmpx_ne_u32_e32 0x80, v5
	s_cbranch_execz .LBB287_3401
; %bb.3396:                             ;   in Loop: Header=BB287_2083 Depth=1
	v_and_b32_e32 v101, 0x7f, v5
	v_mov_b32_e32 v15, 0x7c010000
	s_mov_b32 s28, exec_lo
	v_cmpx_ne_u32_e32 0x7f, v101
	s_cbranch_execz .LBB287_3400
; %bb.3397:                             ;   in Loop: Header=BB287_2083 Depth=1
	v_and_b32_e32 v15, 7, v5
	v_lshrrev_b32_e32 v16, 3, v101
	s_mov_b32 s29, exec_lo
	v_cmpx_gt_u32_e32 8, v101
; %bb.3398:                             ;   in Loop: Header=BB287_2083 Depth=1
	v_ffbh_u32_e32 v3, v15
	v_min_u32_e32 v3, 32, v3
	v_subrev_nc_u32_e32 v4, 28, v3
	v_lshlrev_b64 v[15:16], v4, v[5:6]
	v_sub_nc_u32_e32 v16, 29, v3
	v_and_b32_e32 v15, 7, v15
; %bb.3399:                             ;   in Loop: Header=BB287_2083 Depth=1
	s_or_b32 exec_lo, exec_lo, s29
	v_lshlrev_b32_e32 v3, 8, v5
	v_lshl_add_u32 v4, v16, 10, 0x2000
	v_and_or_b32 v3, 0x8000, v3, v4
	v_lshlrev_b32_e32 v4, 23, v15
	v_lshl_or_b32 v15, v3, 16, v4
.LBB287_3400:                           ;   in Loop: Header=BB287_2083 Depth=1
	s_or_b32 exec_lo, exec_lo, s28
.LBB287_3401:                           ;   in Loop: Header=BB287_2083 Depth=1
	s_or_b32 exec_lo, exec_lo, s27
.LBB287_3402:                           ;   in Loop: Header=BB287_2083 Depth=1
	s_or_b32 exec_lo, exec_lo, s26
	v_or_b32_e32 v3, v90, v91
	s_waitcnt vmcnt(0) lgkmcnt(0)
	v_fma_mixlo_f16 v4, v66, v90, 0 op_sel:[0,1,0] op_sel_hi:[0,1,0]
	v_or_b32_e32 v16, v59, v89
	v_or_b32_e32 v102, v94, v93
	;; [unrolled: 1-line block ×3, first 2 shown]
	v_fma_mixlo_f16 v3, v66, v3, 0 op_sel_hi:[0,1,0]
	v_fma_mixlo_f16 v101, v66, v59, 0 op_sel:[0,1,0] op_sel_hi:[0,1,0]
	v_lshlrev_b32_e32 v5, 16, v4
	v_fma_mixlo_f16 v4, v66, v16, 0 op_sel_hi:[0,1,0]
	v_fma_mixlo_f16 v59, v66, v102, 0 op_sel_hi:[0,1,0]
	v_and_b32_e32 v16, 0xffff, v3
	v_fma_mixlo_f16 v3, v66, v94, 0 op_sel:[0,1,0] op_sel_hi:[0,1,0]
	v_fma_mixlo_f16 v15, v66, v15, 0 op_sel:[0,1,0] op_sel_hi:[0,1,0]
	v_fma_mixlo_f16 v66, v66, v103, 0 op_sel_hi:[0,1,0]
	v_lshlrev_b32_e32 v101, 16, v101
	v_and_b32_e32 v102, 0xffff, v4
	v_lshlrev_b32_e32 v91, 16, v3
	v_and_b32_e32 v93, 0xffff, v59
	;; [unrolled: 2-line block ×3, first 2 shown]
	v_or_b32_e32 v15, v5, v16
	v_or_b32_e32 v89, v101, v102
	;; [unrolled: 1-line block ×4, first 2 shown]
	s_and_saveexec_b32 s12, s4
	s_cbranch_execz .LBB287_3404
; %bb.3403:                             ;   in Loop: Header=BB287_2083 Depth=1
	v_cndmask_b32_e32 v3, 0, v102, vcc_lo
	v_cndmask_b32_e64 v4, 0, v101, s7
	v_cndmask_b32_e64 v15, 0, v16, s5
	;; [unrolled: 1-line block ×7, first 2 shown]
	v_or_b32_e32 v89, v3, v4
	v_or_b32_e32 v15, v15, v5
	;; [unrolled: 1-line block ×4, first 2 shown]
.LBB287_3404:                           ;   in Loop: Header=BB287_2083 Depth=1
	s_or_b32 exec_lo, exec_lo, s12
	;;#ASMSTART
	v_pk_mul_f16 v3, v40, v89;

	;;#ASMEND
	;;#ASMSTART
	v_pk_mul_f16 v4, v119, v15;

	;;#ASMEND
	;; [unrolled: 4-line block ×4, first 2 shown]
	;;#ASMSTART
	v_pk_add_f16 v3, v3, v4;

	;;#ASMEND
	;;#ASMSTART
	v_pk_add_f16 v3, v3, v5;

	;;#ASMEND
	;; [unrolled: 4-line block ×3, first 2 shown]
	v_and_b32_e32 v4, 0xffff, v3
	v_lshrrev_b32_e32 v3, 16, v3
	;;#ASMSTART
	v_cvt_f32_f16 v89, v4;
	;;#ASMEND
	;;#ASMSTART
	v_cvt_f32_f16 v90, v3;
	;;#ASMEND
	flat_load_dwordx2 v[15:16], v[13:14] offset:1024
	flat_load_dword v66, v[22:23]
	v_mov_b32_e32 v59, 0
	v_mov_b32_e32 v91, 0
	s_waitcnt vmcnt(1) lgkmcnt(1)
	v_cmp_ne_u16_sdwa s12, v15, v6 src0_sel:BYTE_0 src1_sel:DWORD
	s_and_saveexec_b32 s26, s12
	s_cbranch_execz .LBB287_3412
; %bb.3405:                             ;   in Loop: Header=BB287_2083 Depth=1
	v_cmp_ne_u16_sdwa s12, v15, v48 src0_sel:BYTE_0 src1_sel:DWORD
	v_mov_b32_e32 v91, 0x8000
	s_and_saveexec_b32 s27, s12
	s_cbranch_execz .LBB287_3411
; %bb.3406:                             ;   in Loop: Header=BB287_2083 Depth=1
	v_and_b32_e32 v102, 0x7f, v15
	v_mov_b32_e32 v91, 0x7c01
	s_mov_b32 s28, exec_lo
	v_cmpx_ne_u32_e32 0x7f, v102
	s_cbranch_execz .LBB287_3410
; %bb.3407:                             ;   in Loop: Header=BB287_2083 Depth=1
	v_and_b32_e32 v5, 7, v15
	v_lshrrev_b32_e32 v101, 3, v102
	s_mov_b32 s29, exec_lo
	v_cmpx_gt_u32_e32 8, v102
; %bb.3408:                             ;   in Loop: Header=BB287_2083 Depth=1
	v_ffbh_u32_e32 v3, v5
	v_min_u32_e32 v3, 32, v3
	v_subrev_nc_u32_e32 v4, 28, v3
	v_sub_nc_u32_e32 v101, 29, v3
	v_lshlrev_b64 v[102:103], v4, v[15:16]
	v_and_b32_e32 v5, 7, v102
; %bb.3409:                             ;   in Loop: Header=BB287_2083 Depth=1
	s_or_b32 exec_lo, exec_lo, s29
	v_lshlrev_b32_e32 v3, 8, v15
	v_lshl_add_u32 v4, v101, 10, 0x2000
	v_lshlrev_b32_e32 v5, 7, v5
	v_and_b32_e32 v3, 0x8000, v3
	v_and_b32_e32 v4, 0xfc00, v4
	v_or3_b32 v91, v3, v4, v5
.LBB287_3410:                           ;   in Loop: Header=BB287_2083 Depth=1
	s_or_b32 exec_lo, exec_lo, s28
.LBB287_3411:                           ;   in Loop: Header=BB287_2083 Depth=1
	s_or_b32 exec_lo, exec_lo, s27
.LBB287_3412:                           ;   in Loop: Header=BB287_2083 Depth=1
	s_or_b32 exec_lo, exec_lo, s26
	v_lshrrev_b16 v5, 8, v15
	s_mov_b32 s26, exec_lo
	v_cmpx_ne_u16_e32 0, v5
	s_cbranch_execz .LBB287_3420
; %bb.3413:                             ;   in Loop: Header=BB287_2083 Depth=1
	v_bfrev_b32_e32 v59, 1
	s_mov_b32 s27, exec_lo
	v_cmpx_ne_u16_e32 0x80, v5
	s_cbranch_execz .LBB287_3419
; %bb.3414:                             ;   in Loop: Header=BB287_2083 Depth=1
	v_and_b32_sdwa v92, v5, v49 dst_sel:DWORD dst_unused:UNUSED_PAD src0_sel:WORD_0 src1_sel:DWORD
	v_mov_b32_e32 v59, 0x7c010000
	s_mov_b32 s28, exec_lo
	v_cmpx_ne_u32_e32 0x7f, v92
	s_cbranch_execz .LBB287_3418
; %bb.3415:                             ;   in Loop: Header=BB287_2083 Depth=1
	v_and_b32_sdwa v101, v5, v50 dst_sel:DWORD dst_unused:UNUSED_PAD src0_sel:WORD_0 src1_sel:DWORD
	v_lshrrev_b32_e32 v102, 3, v92
	s_mov_b32 s29, exec_lo
	v_cmpx_gt_u32_e32 8, v92
; %bb.3416:                             ;   in Loop: Header=BB287_2083 Depth=1
	v_ffbh_u32_e32 v3, v101
	v_min_u32_e32 v3, 32, v3
	v_subrev_nc_u32_e32 v4, 28, v3
	v_lshlrev_b64 v[101:102], v4, v[5:6]
	v_sub_nc_u32_e32 v102, 29, v3
	v_and_b32_e32 v101, 7, v101
; %bb.3417:                             ;   in Loop: Header=BB287_2083 Depth=1
	s_or_b32 exec_lo, exec_lo, s29
	v_lshlrev_b32_sdwa v3, v100, v5 dst_sel:DWORD dst_unused:UNUSED_PAD src0_sel:DWORD src1_sel:WORD_0
	v_lshl_add_u32 v4, v102, 10, 0x2000
	v_and_or_b32 v3, 0x8000, v3, v4
	v_lshlrev_b32_e32 v4, 23, v101
	v_lshl_or_b32 v59, v3, 16, v4
.LBB287_3418:                           ;   in Loop: Header=BB287_2083 Depth=1
	s_or_b32 exec_lo, exec_lo, s28
.LBB287_3419:                           ;   in Loop: Header=BB287_2083 Depth=1
	s_or_b32 exec_lo, exec_lo, s27
.LBB287_3420:                           ;   in Loop: Header=BB287_2083 Depth=1
	s_or_b32 exec_lo, exec_lo, s26
	v_lshrrev_b32_e32 v5, 16, v15
	v_mov_b32_e32 v92, 0
	v_mov_b32_e32 v93, 0
	v_cmp_ne_u16_sdwa s12, v5, v6 src0_sel:BYTE_0 src1_sel:DWORD
	s_and_saveexec_b32 s26, s12
	s_cbranch_execz .LBB287_3428
; %bb.3421:                             ;   in Loop: Header=BB287_2083 Depth=1
	v_cmp_ne_u16_sdwa s12, v5, v48 src0_sel:BYTE_0 src1_sel:DWORD
	v_mov_b32_e32 v93, 0x8000
	s_and_saveexec_b32 s27, s12
	s_cbranch_execz .LBB287_3427
; %bb.3422:                             ;   in Loop: Header=BB287_2083 Depth=1
	v_bfe_u32 v102, v15, 16, 7
	v_mov_b32_e32 v93, 0x7c01
	s_mov_b32 s28, exec_lo
	v_cmpx_ne_u32_e32 0x7f, v102
	s_cbranch_execz .LBB287_3426
; %bb.3423:                             ;   in Loop: Header=BB287_2083 Depth=1
	v_and_b32_e32 v101, 7, v5
	v_lshrrev_b32_e32 v93, 3, v102
	s_mov_b32 s29, exec_lo
	v_cmpx_gt_u32_e32 8, v102
; %bb.3424:                             ;   in Loop: Header=BB287_2083 Depth=1
	v_ffbh_u32_e32 v3, v101
	v_min_u32_e32 v3, 32, v3
	v_subrev_nc_u32_e32 v4, 28, v3
	v_sub_nc_u32_e32 v93, 29, v3
	v_lshlrev_b64 v[101:102], v4, v[5:6]
	v_and_b32_e32 v101, 7, v101
; %bb.3425:                             ;   in Loop: Header=BB287_2083 Depth=1
	s_or_b32 exec_lo, exec_lo, s29
	v_lshlrev_b32_e32 v3, 8, v5
	v_lshl_add_u32 v4, v93, 10, 0x2000
	v_lshlrev_b32_e32 v5, 7, v101
	v_and_b32_e32 v3, 0x8000, v3
	v_and_b32_e32 v4, 0xfc00, v4
	v_or3_b32 v93, v3, v4, v5
.LBB287_3426:                           ;   in Loop: Header=BB287_2083 Depth=1
	s_or_b32 exec_lo, exec_lo, s28
.LBB287_3427:                           ;   in Loop: Header=BB287_2083 Depth=1
	s_or_b32 exec_lo, exec_lo, s27
.LBB287_3428:                           ;   in Loop: Header=BB287_2083 Depth=1
	s_or_b32 exec_lo, exec_lo, s26
	s_mov_b32 s26, exec_lo
	v_cmpx_lt_u32_e32 0xffffff, v15
	s_cbranch_execz .LBB287_3436
; %bb.3429:                             ;   in Loop: Header=BB287_2083 Depth=1
	v_lshrrev_b32_e32 v5, 24, v15
	v_bfrev_b32_e32 v92, 1
	s_mov_b32 s27, exec_lo
	v_cmpx_ne_u32_e32 0x80, v5
	s_cbranch_execz .LBB287_3435
; %bb.3430:                             ;   in Loop: Header=BB287_2083 Depth=1
	v_and_b32_e32 v94, 0x7f, v5
	v_mov_b32_e32 v92, 0x7c010000
	s_mov_b32 s28, exec_lo
	v_cmpx_ne_u32_e32 0x7f, v94
	s_cbranch_execz .LBB287_3434
; %bb.3431:                             ;   in Loop: Header=BB287_2083 Depth=1
	v_and_b32_e32 v101, 7, v5
	v_lshrrev_b32_e32 v102, 3, v94
	s_mov_b32 s29, exec_lo
	v_cmpx_gt_u32_e32 8, v94
; %bb.3432:                             ;   in Loop: Header=BB287_2083 Depth=1
	v_ffbh_u32_e32 v3, v101
	v_min_u32_e32 v3, 32, v3
	v_subrev_nc_u32_e32 v4, 28, v3
	v_lshlrev_b64 v[101:102], v4, v[5:6]
	v_sub_nc_u32_e32 v102, 29, v3
	v_and_b32_e32 v101, 7, v101
; %bb.3433:                             ;   in Loop: Header=BB287_2083 Depth=1
	s_or_b32 exec_lo, exec_lo, s29
	v_lshlrev_b32_e32 v3, 8, v5
	v_lshl_add_u32 v4, v102, 10, 0x2000
	v_and_or_b32 v3, 0x8000, v3, v4
	v_lshlrev_b32_e32 v4, 23, v101
	v_lshl_or_b32 v92, v3, 16, v4
.LBB287_3434:                           ;   in Loop: Header=BB287_2083 Depth=1
	s_or_b32 exec_lo, exec_lo, s28
.LBB287_3435:                           ;   in Loop: Header=BB287_2083 Depth=1
	s_or_b32 exec_lo, exec_lo, s27
.LBB287_3436:                           ;   in Loop: Header=BB287_2083 Depth=1
	s_or_b32 exec_lo, exec_lo, s26
	v_mov_b32_e32 v5, v16
	v_cmp_ne_u16_sdwa s12, v16, v6 src0_sel:BYTE_0 src1_sel:DWORD
	v_mov_b32_e32 v94, 0
	v_mov_b32_e32 v95, 0
	s_and_saveexec_b32 s26, s12
	s_cbranch_execz .LBB287_3444
; %bb.3437:                             ;   in Loop: Header=BB287_2083 Depth=1
	v_cmp_ne_u16_sdwa s12, v16, v48 src0_sel:BYTE_0 src1_sel:DWORD
	v_mov_b32_e32 v95, 0x8000
	s_and_saveexec_b32 s27, s12
	s_cbranch_execz .LBB287_3443
; %bb.3438:                             ;   in Loop: Header=BB287_2083 Depth=1
	v_and_b32_e32 v102, 0x7f, v16
	v_mov_b32_e32 v95, 0x7c01
	s_mov_b32 s28, exec_lo
	v_cmpx_ne_u32_e32 0x7f, v102
	s_cbranch_execz .LBB287_3442
; %bb.3439:                             ;   in Loop: Header=BB287_2083 Depth=1
	v_and_b32_e32 v101, 7, v16
	v_lshrrev_b32_e32 v95, 3, v102
	s_mov_b32 s29, exec_lo
	v_cmpx_gt_u32_e32 8, v102
; %bb.3440:                             ;   in Loop: Header=BB287_2083 Depth=1
	v_ffbh_u32_e32 v3, v101
	v_min_u32_e32 v3, 32, v3
	v_subrev_nc_u32_e32 v4, 28, v3
	v_sub_nc_u32_e32 v95, 29, v3
	v_lshlrev_b64 v[101:102], v4, v[5:6]
	v_and_b32_e32 v101, 7, v101
; %bb.3441:                             ;   in Loop: Header=BB287_2083 Depth=1
	s_or_b32 exec_lo, exec_lo, s29
	v_lshlrev_b32_e32 v3, 8, v16
	v_lshl_add_u32 v4, v95, 10, 0x2000
	v_lshlrev_b32_e32 v101, 7, v101
	v_and_b32_e32 v3, 0x8000, v3
	v_and_b32_e32 v4, 0xfc00, v4
	v_or3_b32 v95, v3, v4, v101
.LBB287_3442:                           ;   in Loop: Header=BB287_2083 Depth=1
	s_or_b32 exec_lo, exec_lo, s28
.LBB287_3443:                           ;   in Loop: Header=BB287_2083 Depth=1
	s_or_b32 exec_lo, exec_lo, s27
.LBB287_3444:                           ;   in Loop: Header=BB287_2083 Depth=1
	s_or_b32 exec_lo, exec_lo, s26
	v_lshrrev_b16 v5, 8, v5
	v_mov_b32_e32 v104, 0
	s_mov_b32 s26, exec_lo
	v_cmpx_ne_u16_e32 0, v5
	s_cbranch_execz .LBB287_3452
; %bb.3445:                             ;   in Loop: Header=BB287_2083 Depth=1
	v_bfrev_b32_e32 v104, 1
	s_mov_b32 s27, exec_lo
	v_cmpx_ne_u16_e32 0x80, v5
	s_cbranch_execz .LBB287_3451
; %bb.3446:                             ;   in Loop: Header=BB287_2083 Depth=1
	v_and_b32_sdwa v105, v5, v49 dst_sel:DWORD dst_unused:UNUSED_PAD src0_sel:WORD_0 src1_sel:DWORD
	v_mov_b32_e32 v104, 0x7c010000
	s_mov_b32 s28, exec_lo
	v_cmpx_ne_u32_e32 0x7f, v105
	s_cbranch_execz .LBB287_3450
; %bb.3447:                             ;   in Loop: Header=BB287_2083 Depth=1
	v_and_b32_sdwa v101, v5, v50 dst_sel:DWORD dst_unused:UNUSED_PAD src0_sel:WORD_0 src1_sel:DWORD
	v_lshrrev_b32_e32 v102, 3, v105
	s_mov_b32 s29, exec_lo
	v_cmpx_gt_u32_e32 8, v105
; %bb.3448:                             ;   in Loop: Header=BB287_2083 Depth=1
	v_ffbh_u32_e32 v3, v101
	v_min_u32_e32 v3, 32, v3
	v_subrev_nc_u32_e32 v4, 28, v3
	v_lshlrev_b64 v[101:102], v4, v[5:6]
	v_sub_nc_u32_e32 v102, 29, v3
	v_and_b32_e32 v101, 7, v101
; %bb.3449:                             ;   in Loop: Header=BB287_2083 Depth=1
	s_or_b32 exec_lo, exec_lo, s29
	v_lshlrev_b32_sdwa v3, v100, v5 dst_sel:DWORD dst_unused:UNUSED_PAD src0_sel:DWORD src1_sel:WORD_0
	v_lshl_add_u32 v4, v102, 10, 0x2000
	v_and_or_b32 v3, 0x8000, v3, v4
	v_lshlrev_b32_e32 v4, 23, v101
	v_lshl_or_b32 v104, v3, 16, v4
.LBB287_3450:                           ;   in Loop: Header=BB287_2083 Depth=1
	s_or_b32 exec_lo, exec_lo, s28
.LBB287_3451:                           ;   in Loop: Header=BB287_2083 Depth=1
	s_or_b32 exec_lo, exec_lo, s27
.LBB287_3452:                           ;   in Loop: Header=BB287_2083 Depth=1
	s_or_b32 exec_lo, exec_lo, s26
	v_lshrrev_b32_e32 v5, 16, v16
	v_cmp_ne_u16_sdwa s12, v5, v6 src0_sel:BYTE_0 src1_sel:DWORD
	s_and_saveexec_b32 s26, s12
	s_cbranch_execz .LBB287_3460
; %bb.3453:                             ;   in Loop: Header=BB287_2083 Depth=1
	v_cmp_ne_u16_sdwa s12, v5, v48 src0_sel:BYTE_0 src1_sel:DWORD
	v_mov_b32_e32 v94, 0x8000
	s_and_saveexec_b32 s27, s12
	s_cbranch_execz .LBB287_3459
; %bb.3454:                             ;   in Loop: Header=BB287_2083 Depth=1
	v_bfe_u32 v102, v16, 16, 7
	v_mov_b32_e32 v94, 0x7c01
	s_mov_b32 s28, exec_lo
	v_cmpx_ne_u32_e32 0x7f, v102
	s_cbranch_execz .LBB287_3458
; %bb.3455:                             ;   in Loop: Header=BB287_2083 Depth=1
	v_and_b32_e32 v101, 7, v5
	v_lshrrev_b32_e32 v94, 3, v102
	s_mov_b32 s29, exec_lo
	v_cmpx_gt_u32_e32 8, v102
; %bb.3456:                             ;   in Loop: Header=BB287_2083 Depth=1
	v_ffbh_u32_e32 v3, v101
	v_min_u32_e32 v3, 32, v3
	v_subrev_nc_u32_e32 v4, 28, v3
	v_sub_nc_u32_e32 v94, 29, v3
	v_lshlrev_b64 v[101:102], v4, v[5:6]
	v_and_b32_e32 v101, 7, v101
; %bb.3457:                             ;   in Loop: Header=BB287_2083 Depth=1
	s_or_b32 exec_lo, exec_lo, s29
	v_lshlrev_b32_e32 v3, 8, v5
	v_lshl_add_u32 v4, v94, 10, 0x2000
	v_lshlrev_b32_e32 v5, 7, v101
	v_and_b32_e32 v3, 0x8000, v3
	v_and_b32_e32 v4, 0xfc00, v4
	v_or3_b32 v94, v3, v4, v5
.LBB287_3458:                           ;   in Loop: Header=BB287_2083 Depth=1
	s_or_b32 exec_lo, exec_lo, s28
.LBB287_3459:                           ;   in Loop: Header=BB287_2083 Depth=1
	s_or_b32 exec_lo, exec_lo, s27
.LBB287_3460:                           ;   in Loop: Header=BB287_2083 Depth=1
	s_or_b32 exec_lo, exec_lo, s26
	v_cmp_lt_u64_e64 s12, s[22:23], v[15:16]
	v_mov_b32_e32 v15, 0
	s_and_saveexec_b32 s26, s12
	s_cbranch_execz .LBB287_3468
; %bb.3461:                             ;   in Loop: Header=BB287_2083 Depth=1
	v_lshrrev_b32_e32 v5, 24, v16
	v_bfrev_b32_e32 v15, 1
	s_mov_b32 s27, exec_lo
	v_cmpx_ne_u32_e32 0x80, v5
	s_cbranch_execz .LBB287_3467
; %bb.3462:                             ;   in Loop: Header=BB287_2083 Depth=1
	v_and_b32_e32 v101, 0x7f, v5
	v_mov_b32_e32 v15, 0x7c010000
	s_mov_b32 s28, exec_lo
	v_cmpx_ne_u32_e32 0x7f, v101
	s_cbranch_execz .LBB287_3466
; %bb.3463:                             ;   in Loop: Header=BB287_2083 Depth=1
	v_and_b32_e32 v15, 7, v5
	v_lshrrev_b32_e32 v16, 3, v101
	s_mov_b32 s29, exec_lo
	v_cmpx_gt_u32_e32 8, v101
; %bb.3464:                             ;   in Loop: Header=BB287_2083 Depth=1
	v_ffbh_u32_e32 v3, v15
	v_min_u32_e32 v3, 32, v3
	v_subrev_nc_u32_e32 v4, 28, v3
	v_lshlrev_b64 v[15:16], v4, v[5:6]
	v_sub_nc_u32_e32 v16, 29, v3
	v_and_b32_e32 v15, 7, v15
; %bb.3465:                             ;   in Loop: Header=BB287_2083 Depth=1
	s_or_b32 exec_lo, exec_lo, s29
	v_lshlrev_b32_e32 v3, 8, v5
	v_lshl_add_u32 v4, v16, 10, 0x2000
	v_and_or_b32 v3, 0x8000, v3, v4
	v_lshlrev_b32_e32 v4, 23, v15
	v_lshl_or_b32 v15, v3, 16, v4
.LBB287_3466:                           ;   in Loop: Header=BB287_2083 Depth=1
	s_or_b32 exec_lo, exec_lo, s28
.LBB287_3467:                           ;   in Loop: Header=BB287_2083 Depth=1
	s_or_b32 exec_lo, exec_lo, s27
.LBB287_3468:                           ;   in Loop: Header=BB287_2083 Depth=1
	s_or_b32 exec_lo, exec_lo, s26
	v_or_b32_e32 v3, v92, v93
	s_waitcnt vmcnt(0) lgkmcnt(0)
	v_fma_mixlo_f16 v4, v66, v92, 0 op_sel:[0,1,0] op_sel_hi:[0,1,0]
	v_or_b32_e32 v16, v59, v91
	v_or_b32_e32 v102, v104, v95
	;; [unrolled: 1-line block ×3, first 2 shown]
	v_fma_mixlo_f16 v3, v66, v3, 0 op_sel_hi:[0,1,0]
	v_fma_mixlo_f16 v101, v66, v59, 0 op_sel:[0,1,0] op_sel_hi:[0,1,0]
	v_lshlrev_b32_e32 v5, 16, v4
	v_fma_mixlo_f16 v4, v66, v16, 0 op_sel_hi:[0,1,0]
	v_fma_mixlo_f16 v59, v66, v102, 0 op_sel_hi:[0,1,0]
	v_and_b32_e32 v16, 0xffff, v3
	v_fma_mixlo_f16 v3, v66, v104, 0 op_sel:[0,1,0] op_sel_hi:[0,1,0]
	v_fma_mixlo_f16 v15, v66, v15, 0 op_sel:[0,1,0] op_sel_hi:[0,1,0]
	v_fma_mixlo_f16 v66, v66, v103, 0 op_sel_hi:[0,1,0]
	v_lshlrev_b32_e32 v101, 16, v101
	v_and_b32_e32 v102, 0xffff, v4
	v_lshlrev_b32_e32 v93, 16, v3
	v_and_b32_e32 v95, 0xffff, v59
	;; [unrolled: 2-line block ×3, first 2 shown]
	v_or_b32_e32 v15, v5, v16
	v_or_b32_e32 v91, v101, v102
	;; [unrolled: 1-line block ×4, first 2 shown]
	s_and_saveexec_b32 s12, s4
	s_cbranch_execz .LBB287_3470
; %bb.3469:                             ;   in Loop: Header=BB287_2083 Depth=1
	v_cndmask_b32_e32 v3, 0, v102, vcc_lo
	v_cndmask_b32_e64 v4, 0, v101, s7
	v_cndmask_b32_e64 v15, 0, v16, s5
	;; [unrolled: 1-line block ×7, first 2 shown]
	v_or_b32_e32 v91, v3, v4
	v_or_b32_e32 v15, v15, v5
	;; [unrolled: 1-line block ×4, first 2 shown]
.LBB287_3470:                           ;   in Loop: Header=BB287_2083 Depth=1
	s_or_b32 exec_lo, exec_lo, s12
	;;#ASMSTART
	v_pk_mul_f16 v3, v40, v91;

	;;#ASMEND
	;;#ASMSTART
	v_pk_mul_f16 v4, v119, v15;

	;;#ASMEND
	;; [unrolled: 4-line block ×4, first 2 shown]
	;;#ASMSTART
	v_pk_add_f16 v3, v3, v4;

	;;#ASMEND
	;;#ASMSTART
	v_pk_add_f16 v3, v3, v5;

	;;#ASMEND
	;;#ASMSTART
	v_pk_add_f16 v3, v3, v15;

	;;#ASMEND
	v_and_b32_e32 v4, 0xffff, v3
	v_lshrrev_b32_e32 v3, 16, v3
	;;#ASMSTART
	v_cvt_f32_f16 v91, v4;
	;;#ASMEND
	;;#ASMSTART
	v_cvt_f32_f16 v92, v3;
	;;#ASMEND
	flat_load_dwordx2 v[15:16], v[13:14] offset:1280
	flat_load_dword v66, v[22:23]
	v_mov_b32_e32 v59, 0
	v_mov_b32_e32 v93, 0
	s_waitcnt vmcnt(1) lgkmcnt(1)
	v_cmp_ne_u16_sdwa s12, v15, v6 src0_sel:BYTE_0 src1_sel:DWORD
	s_and_saveexec_b32 s26, s12
	s_cbranch_execz .LBB287_3478
; %bb.3471:                             ;   in Loop: Header=BB287_2083 Depth=1
	v_cmp_ne_u16_sdwa s12, v15, v48 src0_sel:BYTE_0 src1_sel:DWORD
	v_mov_b32_e32 v93, 0x8000
	s_and_saveexec_b32 s27, s12
	s_cbranch_execz .LBB287_3477
; %bb.3472:                             ;   in Loop: Header=BB287_2083 Depth=1
	v_and_b32_e32 v102, 0x7f, v15
	v_mov_b32_e32 v93, 0x7c01
	s_mov_b32 s28, exec_lo
	v_cmpx_ne_u32_e32 0x7f, v102
	s_cbranch_execz .LBB287_3476
; %bb.3473:                             ;   in Loop: Header=BB287_2083 Depth=1
	v_and_b32_e32 v5, 7, v15
	v_lshrrev_b32_e32 v101, 3, v102
	s_mov_b32 s29, exec_lo
	v_cmpx_gt_u32_e32 8, v102
; %bb.3474:                             ;   in Loop: Header=BB287_2083 Depth=1
	v_ffbh_u32_e32 v3, v5
	v_min_u32_e32 v3, 32, v3
	v_subrev_nc_u32_e32 v4, 28, v3
	v_sub_nc_u32_e32 v101, 29, v3
	v_lshlrev_b64 v[102:103], v4, v[15:16]
	v_and_b32_e32 v5, 7, v102
; %bb.3475:                             ;   in Loop: Header=BB287_2083 Depth=1
	s_or_b32 exec_lo, exec_lo, s29
	v_lshlrev_b32_e32 v3, 8, v15
	v_lshl_add_u32 v4, v101, 10, 0x2000
	v_lshlrev_b32_e32 v5, 7, v5
	v_and_b32_e32 v3, 0x8000, v3
	v_and_b32_e32 v4, 0xfc00, v4
	v_or3_b32 v93, v3, v4, v5
.LBB287_3476:                           ;   in Loop: Header=BB287_2083 Depth=1
	s_or_b32 exec_lo, exec_lo, s28
.LBB287_3477:                           ;   in Loop: Header=BB287_2083 Depth=1
	s_or_b32 exec_lo, exec_lo, s27
.LBB287_3478:                           ;   in Loop: Header=BB287_2083 Depth=1
	s_or_b32 exec_lo, exec_lo, s26
	v_lshrrev_b16 v5, 8, v15
	s_mov_b32 s26, exec_lo
	v_cmpx_ne_u16_e32 0, v5
	s_cbranch_execz .LBB287_3486
; %bb.3479:                             ;   in Loop: Header=BB287_2083 Depth=1
	v_bfrev_b32_e32 v59, 1
	s_mov_b32 s27, exec_lo
	v_cmpx_ne_u16_e32 0x80, v5
	s_cbranch_execz .LBB287_3485
; %bb.3480:                             ;   in Loop: Header=BB287_2083 Depth=1
	v_and_b32_sdwa v94, v5, v49 dst_sel:DWORD dst_unused:UNUSED_PAD src0_sel:WORD_0 src1_sel:DWORD
	v_mov_b32_e32 v59, 0x7c010000
	s_mov_b32 s28, exec_lo
	v_cmpx_ne_u32_e32 0x7f, v94
	s_cbranch_execz .LBB287_3484
; %bb.3481:                             ;   in Loop: Header=BB287_2083 Depth=1
	v_and_b32_sdwa v101, v5, v50 dst_sel:DWORD dst_unused:UNUSED_PAD src0_sel:WORD_0 src1_sel:DWORD
	v_lshrrev_b32_e32 v102, 3, v94
	s_mov_b32 s29, exec_lo
	v_cmpx_gt_u32_e32 8, v94
; %bb.3482:                             ;   in Loop: Header=BB287_2083 Depth=1
	v_ffbh_u32_e32 v3, v101
	v_min_u32_e32 v3, 32, v3
	v_subrev_nc_u32_e32 v4, 28, v3
	v_lshlrev_b64 v[101:102], v4, v[5:6]
	v_sub_nc_u32_e32 v102, 29, v3
	v_and_b32_e32 v101, 7, v101
; %bb.3483:                             ;   in Loop: Header=BB287_2083 Depth=1
	s_or_b32 exec_lo, exec_lo, s29
	v_lshlrev_b32_sdwa v3, v100, v5 dst_sel:DWORD dst_unused:UNUSED_PAD src0_sel:DWORD src1_sel:WORD_0
	v_lshl_add_u32 v4, v102, 10, 0x2000
	v_and_or_b32 v3, 0x8000, v3, v4
	v_lshlrev_b32_e32 v4, 23, v101
	v_lshl_or_b32 v59, v3, 16, v4
.LBB287_3484:                           ;   in Loop: Header=BB287_2083 Depth=1
	s_or_b32 exec_lo, exec_lo, s28
.LBB287_3485:                           ;   in Loop: Header=BB287_2083 Depth=1
	s_or_b32 exec_lo, exec_lo, s27
.LBB287_3486:                           ;   in Loop: Header=BB287_2083 Depth=1
	s_or_b32 exec_lo, exec_lo, s26
	v_lshrrev_b32_e32 v5, 16, v15
	v_mov_b32_e32 v94, 0
	v_mov_b32_e32 v95, 0
	v_cmp_ne_u16_sdwa s12, v5, v6 src0_sel:BYTE_0 src1_sel:DWORD
	s_and_saveexec_b32 s26, s12
	s_cbranch_execz .LBB287_3494
; %bb.3487:                             ;   in Loop: Header=BB287_2083 Depth=1
	v_cmp_ne_u16_sdwa s12, v5, v48 src0_sel:BYTE_0 src1_sel:DWORD
	v_mov_b32_e32 v95, 0x8000
	s_and_saveexec_b32 s27, s12
	s_cbranch_execz .LBB287_3493
; %bb.3488:                             ;   in Loop: Header=BB287_2083 Depth=1
	v_bfe_u32 v102, v15, 16, 7
	v_mov_b32_e32 v95, 0x7c01
	s_mov_b32 s28, exec_lo
	v_cmpx_ne_u32_e32 0x7f, v102
	s_cbranch_execz .LBB287_3492
; %bb.3489:                             ;   in Loop: Header=BB287_2083 Depth=1
	v_and_b32_e32 v101, 7, v5
	v_lshrrev_b32_e32 v95, 3, v102
	s_mov_b32 s29, exec_lo
	v_cmpx_gt_u32_e32 8, v102
; %bb.3490:                             ;   in Loop: Header=BB287_2083 Depth=1
	v_ffbh_u32_e32 v3, v101
	v_min_u32_e32 v3, 32, v3
	v_subrev_nc_u32_e32 v4, 28, v3
	v_sub_nc_u32_e32 v95, 29, v3
	v_lshlrev_b64 v[101:102], v4, v[5:6]
	v_and_b32_e32 v101, 7, v101
; %bb.3491:                             ;   in Loop: Header=BB287_2083 Depth=1
	s_or_b32 exec_lo, exec_lo, s29
	v_lshlrev_b32_e32 v3, 8, v5
	v_lshl_add_u32 v4, v95, 10, 0x2000
	v_lshlrev_b32_e32 v5, 7, v101
	v_and_b32_e32 v3, 0x8000, v3
	v_and_b32_e32 v4, 0xfc00, v4
	v_or3_b32 v95, v3, v4, v5
.LBB287_3492:                           ;   in Loop: Header=BB287_2083 Depth=1
	s_or_b32 exec_lo, exec_lo, s28
.LBB287_3493:                           ;   in Loop: Header=BB287_2083 Depth=1
	s_or_b32 exec_lo, exec_lo, s27
.LBB287_3494:                           ;   in Loop: Header=BB287_2083 Depth=1
	s_or_b32 exec_lo, exec_lo, s26
	s_mov_b32 s26, exec_lo
	v_cmpx_lt_u32_e32 0xffffff, v15
	s_cbranch_execz .LBB287_3502
; %bb.3495:                             ;   in Loop: Header=BB287_2083 Depth=1
	v_lshrrev_b32_e32 v5, 24, v15
	v_bfrev_b32_e32 v94, 1
	s_mov_b32 s27, exec_lo
	v_cmpx_ne_u32_e32 0x80, v5
	s_cbranch_execz .LBB287_3501
; %bb.3496:                             ;   in Loop: Header=BB287_2083 Depth=1
	v_and_b32_e32 v104, 0x7f, v5
	v_mov_b32_e32 v94, 0x7c010000
	s_mov_b32 s28, exec_lo
	v_cmpx_ne_u32_e32 0x7f, v104
	s_cbranch_execz .LBB287_3500
; %bb.3497:                             ;   in Loop: Header=BB287_2083 Depth=1
	v_and_b32_e32 v101, 7, v5
	v_lshrrev_b32_e32 v102, 3, v104
	s_mov_b32 s29, exec_lo
	v_cmpx_gt_u32_e32 8, v104
; %bb.3498:                             ;   in Loop: Header=BB287_2083 Depth=1
	v_ffbh_u32_e32 v3, v101
	v_min_u32_e32 v3, 32, v3
	v_subrev_nc_u32_e32 v4, 28, v3
	v_lshlrev_b64 v[101:102], v4, v[5:6]
	v_sub_nc_u32_e32 v102, 29, v3
	v_and_b32_e32 v101, 7, v101
; %bb.3499:                             ;   in Loop: Header=BB287_2083 Depth=1
	s_or_b32 exec_lo, exec_lo, s29
	v_lshlrev_b32_e32 v3, 8, v5
	v_lshl_add_u32 v4, v102, 10, 0x2000
	v_and_or_b32 v3, 0x8000, v3, v4
	v_lshlrev_b32_e32 v4, 23, v101
	v_lshl_or_b32 v94, v3, 16, v4
.LBB287_3500:                           ;   in Loop: Header=BB287_2083 Depth=1
	s_or_b32 exec_lo, exec_lo, s28
.LBB287_3501:                           ;   in Loop: Header=BB287_2083 Depth=1
	s_or_b32 exec_lo, exec_lo, s27
.LBB287_3502:                           ;   in Loop: Header=BB287_2083 Depth=1
	s_or_b32 exec_lo, exec_lo, s26
	v_mov_b32_e32 v5, v16
	v_cmp_ne_u16_sdwa s12, v16, v6 src0_sel:BYTE_0 src1_sel:DWORD
	v_mov_b32_e32 v104, 0
	v_mov_b32_e32 v105, 0
	s_and_saveexec_b32 s26, s12
	s_cbranch_execz .LBB287_3510
; %bb.3503:                             ;   in Loop: Header=BB287_2083 Depth=1
	v_cmp_ne_u16_sdwa s12, v16, v48 src0_sel:BYTE_0 src1_sel:DWORD
	v_mov_b32_e32 v105, 0x8000
	s_and_saveexec_b32 s27, s12
	s_cbranch_execz .LBB287_3509
; %bb.3504:                             ;   in Loop: Header=BB287_2083 Depth=1
	v_and_b32_e32 v102, 0x7f, v16
	v_mov_b32_e32 v105, 0x7c01
	s_mov_b32 s28, exec_lo
	v_cmpx_ne_u32_e32 0x7f, v102
	s_cbranch_execz .LBB287_3508
; %bb.3505:                             ;   in Loop: Header=BB287_2083 Depth=1
	v_and_b32_e32 v101, 7, v16
	v_lshrrev_b32_e32 v105, 3, v102
	s_mov_b32 s29, exec_lo
	v_cmpx_gt_u32_e32 8, v102
; %bb.3506:                             ;   in Loop: Header=BB287_2083 Depth=1
	v_ffbh_u32_e32 v3, v101
	v_min_u32_e32 v3, 32, v3
	v_subrev_nc_u32_e32 v4, 28, v3
	v_sub_nc_u32_e32 v105, 29, v3
	v_lshlrev_b64 v[101:102], v4, v[5:6]
	v_and_b32_e32 v101, 7, v101
; %bb.3507:                             ;   in Loop: Header=BB287_2083 Depth=1
	s_or_b32 exec_lo, exec_lo, s29
	v_lshlrev_b32_e32 v3, 8, v16
	v_lshl_add_u32 v4, v105, 10, 0x2000
	v_lshlrev_b32_e32 v101, 7, v101
	v_and_b32_e32 v3, 0x8000, v3
	v_and_b32_e32 v4, 0xfc00, v4
	v_or3_b32 v105, v3, v4, v101
.LBB287_3508:                           ;   in Loop: Header=BB287_2083 Depth=1
	s_or_b32 exec_lo, exec_lo, s28
.LBB287_3509:                           ;   in Loop: Header=BB287_2083 Depth=1
	s_or_b32 exec_lo, exec_lo, s27
.LBB287_3510:                           ;   in Loop: Header=BB287_2083 Depth=1
	s_or_b32 exec_lo, exec_lo, s26
	v_lshrrev_b16 v5, 8, v5
	v_mov_b32_e32 v106, 0
	s_mov_b32 s26, exec_lo
	v_cmpx_ne_u16_e32 0, v5
	s_cbranch_execz .LBB287_3518
; %bb.3511:                             ;   in Loop: Header=BB287_2083 Depth=1
	v_bfrev_b32_e32 v106, 1
	s_mov_b32 s27, exec_lo
	v_cmpx_ne_u16_e32 0x80, v5
	s_cbranch_execz .LBB287_3517
; %bb.3512:                             ;   in Loop: Header=BB287_2083 Depth=1
	v_and_b32_sdwa v107, v5, v49 dst_sel:DWORD dst_unused:UNUSED_PAD src0_sel:WORD_0 src1_sel:DWORD
	v_mov_b32_e32 v106, 0x7c010000
	s_mov_b32 s28, exec_lo
	v_cmpx_ne_u32_e32 0x7f, v107
	s_cbranch_execz .LBB287_3516
; %bb.3513:                             ;   in Loop: Header=BB287_2083 Depth=1
	v_and_b32_sdwa v101, v5, v50 dst_sel:DWORD dst_unused:UNUSED_PAD src0_sel:WORD_0 src1_sel:DWORD
	v_lshrrev_b32_e32 v102, 3, v107
	s_mov_b32 s29, exec_lo
	v_cmpx_gt_u32_e32 8, v107
; %bb.3514:                             ;   in Loop: Header=BB287_2083 Depth=1
	v_ffbh_u32_e32 v3, v101
	v_min_u32_e32 v3, 32, v3
	v_subrev_nc_u32_e32 v4, 28, v3
	v_lshlrev_b64 v[101:102], v4, v[5:6]
	v_sub_nc_u32_e32 v102, 29, v3
	v_and_b32_e32 v101, 7, v101
; %bb.3515:                             ;   in Loop: Header=BB287_2083 Depth=1
	s_or_b32 exec_lo, exec_lo, s29
	v_lshlrev_b32_sdwa v3, v100, v5 dst_sel:DWORD dst_unused:UNUSED_PAD src0_sel:DWORD src1_sel:WORD_0
	v_lshl_add_u32 v4, v102, 10, 0x2000
	v_and_or_b32 v3, 0x8000, v3, v4
	v_lshlrev_b32_e32 v4, 23, v101
	v_lshl_or_b32 v106, v3, 16, v4
.LBB287_3516:                           ;   in Loop: Header=BB287_2083 Depth=1
	s_or_b32 exec_lo, exec_lo, s28
.LBB287_3517:                           ;   in Loop: Header=BB287_2083 Depth=1
	s_or_b32 exec_lo, exec_lo, s27
.LBB287_3518:                           ;   in Loop: Header=BB287_2083 Depth=1
	s_or_b32 exec_lo, exec_lo, s26
	v_lshrrev_b32_e32 v5, 16, v16
	v_cmp_ne_u16_sdwa s12, v5, v6 src0_sel:BYTE_0 src1_sel:DWORD
	s_and_saveexec_b32 s26, s12
	s_cbranch_execz .LBB287_3526
; %bb.3519:                             ;   in Loop: Header=BB287_2083 Depth=1
	v_cmp_ne_u16_sdwa s12, v5, v48 src0_sel:BYTE_0 src1_sel:DWORD
	v_mov_b32_e32 v104, 0x8000
	s_and_saveexec_b32 s27, s12
	s_cbranch_execz .LBB287_3525
; %bb.3520:                             ;   in Loop: Header=BB287_2083 Depth=1
	v_bfe_u32 v102, v16, 16, 7
	v_mov_b32_e32 v104, 0x7c01
	s_mov_b32 s28, exec_lo
	v_cmpx_ne_u32_e32 0x7f, v102
	s_cbranch_execz .LBB287_3524
; %bb.3521:                             ;   in Loop: Header=BB287_2083 Depth=1
	v_and_b32_e32 v101, 7, v5
	v_lshrrev_b32_e32 v104, 3, v102
	s_mov_b32 s29, exec_lo
	v_cmpx_gt_u32_e32 8, v102
; %bb.3522:                             ;   in Loop: Header=BB287_2083 Depth=1
	v_ffbh_u32_e32 v3, v101
	v_min_u32_e32 v3, 32, v3
	v_subrev_nc_u32_e32 v4, 28, v3
	v_sub_nc_u32_e32 v104, 29, v3
	v_lshlrev_b64 v[101:102], v4, v[5:6]
	v_and_b32_e32 v101, 7, v101
; %bb.3523:                             ;   in Loop: Header=BB287_2083 Depth=1
	s_or_b32 exec_lo, exec_lo, s29
	v_lshlrev_b32_e32 v3, 8, v5
	v_lshl_add_u32 v4, v104, 10, 0x2000
	v_lshlrev_b32_e32 v5, 7, v101
	v_and_b32_e32 v3, 0x8000, v3
	v_and_b32_e32 v4, 0xfc00, v4
	v_or3_b32 v104, v3, v4, v5
.LBB287_3524:                           ;   in Loop: Header=BB287_2083 Depth=1
	s_or_b32 exec_lo, exec_lo, s28
.LBB287_3525:                           ;   in Loop: Header=BB287_2083 Depth=1
	s_or_b32 exec_lo, exec_lo, s27
.LBB287_3526:                           ;   in Loop: Header=BB287_2083 Depth=1
	s_or_b32 exec_lo, exec_lo, s26
	v_cmp_lt_u64_e64 s12, s[22:23], v[15:16]
	v_mov_b32_e32 v15, 0
	s_and_saveexec_b32 s26, s12
	s_cbranch_execz .LBB287_3534
; %bb.3527:                             ;   in Loop: Header=BB287_2083 Depth=1
	v_lshrrev_b32_e32 v5, 24, v16
	v_bfrev_b32_e32 v15, 1
	s_mov_b32 s27, exec_lo
	v_cmpx_ne_u32_e32 0x80, v5
	s_cbranch_execz .LBB287_3533
; %bb.3528:                             ;   in Loop: Header=BB287_2083 Depth=1
	v_and_b32_e32 v101, 0x7f, v5
	v_mov_b32_e32 v15, 0x7c010000
	s_mov_b32 s28, exec_lo
	v_cmpx_ne_u32_e32 0x7f, v101
	s_cbranch_execz .LBB287_3532
; %bb.3529:                             ;   in Loop: Header=BB287_2083 Depth=1
	v_and_b32_e32 v15, 7, v5
	v_lshrrev_b32_e32 v16, 3, v101
	s_mov_b32 s29, exec_lo
	v_cmpx_gt_u32_e32 8, v101
; %bb.3530:                             ;   in Loop: Header=BB287_2083 Depth=1
	v_ffbh_u32_e32 v3, v15
	v_min_u32_e32 v3, 32, v3
	v_subrev_nc_u32_e32 v4, 28, v3
	v_lshlrev_b64 v[15:16], v4, v[5:6]
	v_sub_nc_u32_e32 v16, 29, v3
	v_and_b32_e32 v15, 7, v15
; %bb.3531:                             ;   in Loop: Header=BB287_2083 Depth=1
	s_or_b32 exec_lo, exec_lo, s29
	v_lshlrev_b32_e32 v3, 8, v5
	v_lshl_add_u32 v4, v16, 10, 0x2000
	v_and_or_b32 v3, 0x8000, v3, v4
	v_lshlrev_b32_e32 v4, 23, v15
	v_lshl_or_b32 v15, v3, 16, v4
.LBB287_3532:                           ;   in Loop: Header=BB287_2083 Depth=1
	s_or_b32 exec_lo, exec_lo, s28
.LBB287_3533:                           ;   in Loop: Header=BB287_2083 Depth=1
	s_or_b32 exec_lo, exec_lo, s27
.LBB287_3534:                           ;   in Loop: Header=BB287_2083 Depth=1
	s_or_b32 exec_lo, exec_lo, s26
	v_or_b32_e32 v3, v94, v95
	s_waitcnt vmcnt(0) lgkmcnt(0)
	v_fma_mixlo_f16 v4, v66, v94, 0 op_sel:[0,1,0] op_sel_hi:[0,1,0]
	v_or_b32_e32 v16, v59, v93
	v_or_b32_e32 v102, v106, v105
	;; [unrolled: 1-line block ×3, first 2 shown]
	v_fma_mixlo_f16 v3, v66, v3, 0 op_sel_hi:[0,1,0]
	v_fma_mixlo_f16 v101, v66, v59, 0 op_sel:[0,1,0] op_sel_hi:[0,1,0]
	v_lshlrev_b32_e32 v5, 16, v4
	v_fma_mixlo_f16 v4, v66, v16, 0 op_sel_hi:[0,1,0]
	v_fma_mixlo_f16 v59, v66, v102, 0 op_sel_hi:[0,1,0]
	v_and_b32_e32 v16, 0xffff, v3
	v_fma_mixlo_f16 v3, v66, v106, 0 op_sel:[0,1,0] op_sel_hi:[0,1,0]
	v_fma_mixlo_f16 v15, v66, v15, 0 op_sel:[0,1,0] op_sel_hi:[0,1,0]
	v_fma_mixlo_f16 v66, v66, v103, 0 op_sel_hi:[0,1,0]
	v_lshlrev_b32_e32 v101, 16, v101
	v_and_b32_e32 v102, 0xffff, v4
	v_lshlrev_b32_e32 v95, 16, v3
	v_and_b32_e32 v105, 0xffff, v59
	;; [unrolled: 2-line block ×3, first 2 shown]
	v_or_b32_e32 v15, v5, v16
	v_or_b32_e32 v93, v101, v102
	v_or_b32_e32 v59, v95, v105
	v_or_b32_e32 v66, v94, v104
	s_and_saveexec_b32 s12, s4
	s_cbranch_execz .LBB287_3536
; %bb.3535:                             ;   in Loop: Header=BB287_2083 Depth=1
	v_cndmask_b32_e32 v3, 0, v102, vcc_lo
	v_cndmask_b32_e64 v4, 0, v101, s7
	v_cndmask_b32_e64 v15, 0, v16, s5
	;; [unrolled: 1-line block ×7, first 2 shown]
	v_or_b32_e32 v93, v3, v4
	v_or_b32_e32 v15, v15, v5
	;; [unrolled: 1-line block ×4, first 2 shown]
.LBB287_3536:                           ;   in Loop: Header=BB287_2083 Depth=1
	s_or_b32 exec_lo, exec_lo, s12
	;;#ASMSTART
	v_pk_mul_f16 v3, v40, v93;

	;;#ASMEND
	;;#ASMSTART
	v_pk_mul_f16 v4, v119, v15;

	;;#ASMEND
	;; [unrolled: 4-line block ×4, first 2 shown]
	;;#ASMSTART
	v_pk_add_f16 v3, v3, v4;

	;;#ASMEND
	;;#ASMSTART
	v_pk_add_f16 v3, v3, v5;

	;;#ASMEND
	;; [unrolled: 4-line block ×3, first 2 shown]
	v_and_b32_e32 v4, 0xffff, v3
	v_lshrrev_b32_e32 v3, 16, v3
	;;#ASMSTART
	v_cvt_f32_f16 v93, v4;
	;;#ASMEND
	;;#ASMSTART
	v_cvt_f32_f16 v94, v3;
	;;#ASMEND
	flat_load_dwordx2 v[15:16], v[13:14] offset:1536
	flat_load_dword v66, v[22:23]
	v_mov_b32_e32 v59, 0
	v_mov_b32_e32 v95, 0
	s_waitcnt vmcnt(1) lgkmcnt(1)
	v_cmp_ne_u16_sdwa s12, v15, v6 src0_sel:BYTE_0 src1_sel:DWORD
	s_and_saveexec_b32 s26, s12
	s_cbranch_execz .LBB287_3544
; %bb.3537:                             ;   in Loop: Header=BB287_2083 Depth=1
	v_cmp_ne_u16_sdwa s12, v15, v48 src0_sel:BYTE_0 src1_sel:DWORD
	v_mov_b32_e32 v95, 0x8000
	s_and_saveexec_b32 s27, s12
	s_cbranch_execz .LBB287_3543
; %bb.3538:                             ;   in Loop: Header=BB287_2083 Depth=1
	v_and_b32_e32 v102, 0x7f, v15
	v_mov_b32_e32 v95, 0x7c01
	s_mov_b32 s28, exec_lo
	v_cmpx_ne_u32_e32 0x7f, v102
	s_cbranch_execz .LBB287_3542
; %bb.3539:                             ;   in Loop: Header=BB287_2083 Depth=1
	v_and_b32_e32 v5, 7, v15
	v_lshrrev_b32_e32 v101, 3, v102
	s_mov_b32 s29, exec_lo
	v_cmpx_gt_u32_e32 8, v102
; %bb.3540:                             ;   in Loop: Header=BB287_2083 Depth=1
	v_ffbh_u32_e32 v3, v5
	v_min_u32_e32 v3, 32, v3
	v_subrev_nc_u32_e32 v4, 28, v3
	v_sub_nc_u32_e32 v101, 29, v3
	v_lshlrev_b64 v[102:103], v4, v[15:16]
	v_and_b32_e32 v5, 7, v102
; %bb.3541:                             ;   in Loop: Header=BB287_2083 Depth=1
	s_or_b32 exec_lo, exec_lo, s29
	v_lshlrev_b32_e32 v3, 8, v15
	v_lshl_add_u32 v4, v101, 10, 0x2000
	v_lshlrev_b32_e32 v5, 7, v5
	v_and_b32_e32 v3, 0x8000, v3
	v_and_b32_e32 v4, 0xfc00, v4
	v_or3_b32 v95, v3, v4, v5
.LBB287_3542:                           ;   in Loop: Header=BB287_2083 Depth=1
	s_or_b32 exec_lo, exec_lo, s28
.LBB287_3543:                           ;   in Loop: Header=BB287_2083 Depth=1
	s_or_b32 exec_lo, exec_lo, s27
.LBB287_3544:                           ;   in Loop: Header=BB287_2083 Depth=1
	s_or_b32 exec_lo, exec_lo, s26
	v_lshrrev_b16 v5, 8, v15
	s_mov_b32 s26, exec_lo
	v_cmpx_ne_u16_e32 0, v5
	s_cbranch_execz .LBB287_3552
; %bb.3545:                             ;   in Loop: Header=BB287_2083 Depth=1
	v_bfrev_b32_e32 v59, 1
	s_mov_b32 s27, exec_lo
	v_cmpx_ne_u16_e32 0x80, v5
	s_cbranch_execz .LBB287_3551
; %bb.3546:                             ;   in Loop: Header=BB287_2083 Depth=1
	v_and_b32_sdwa v104, v5, v49 dst_sel:DWORD dst_unused:UNUSED_PAD src0_sel:WORD_0 src1_sel:DWORD
	v_mov_b32_e32 v59, 0x7c010000
	s_mov_b32 s28, exec_lo
	v_cmpx_ne_u32_e32 0x7f, v104
	s_cbranch_execz .LBB287_3550
; %bb.3547:                             ;   in Loop: Header=BB287_2083 Depth=1
	v_and_b32_sdwa v101, v5, v50 dst_sel:DWORD dst_unused:UNUSED_PAD src0_sel:WORD_0 src1_sel:DWORD
	v_lshrrev_b32_e32 v102, 3, v104
	s_mov_b32 s29, exec_lo
	v_cmpx_gt_u32_e32 8, v104
; %bb.3548:                             ;   in Loop: Header=BB287_2083 Depth=1
	v_ffbh_u32_e32 v3, v101
	v_min_u32_e32 v3, 32, v3
	v_subrev_nc_u32_e32 v4, 28, v3
	v_lshlrev_b64 v[101:102], v4, v[5:6]
	v_sub_nc_u32_e32 v102, 29, v3
	v_and_b32_e32 v101, 7, v101
; %bb.3549:                             ;   in Loop: Header=BB287_2083 Depth=1
	s_or_b32 exec_lo, exec_lo, s29
	v_lshlrev_b32_sdwa v3, v100, v5 dst_sel:DWORD dst_unused:UNUSED_PAD src0_sel:DWORD src1_sel:WORD_0
	v_lshl_add_u32 v4, v102, 10, 0x2000
	v_and_or_b32 v3, 0x8000, v3, v4
	v_lshlrev_b32_e32 v4, 23, v101
	v_lshl_or_b32 v59, v3, 16, v4
.LBB287_3550:                           ;   in Loop: Header=BB287_2083 Depth=1
	s_or_b32 exec_lo, exec_lo, s28
.LBB287_3551:                           ;   in Loop: Header=BB287_2083 Depth=1
	s_or_b32 exec_lo, exec_lo, s27
.LBB287_3552:                           ;   in Loop: Header=BB287_2083 Depth=1
	s_or_b32 exec_lo, exec_lo, s26
	v_lshrrev_b32_e32 v5, 16, v15
	v_mov_b32_e32 v104, 0
	v_mov_b32_e32 v105, 0
	v_cmp_ne_u16_sdwa s12, v5, v6 src0_sel:BYTE_0 src1_sel:DWORD
	s_and_saveexec_b32 s26, s12
	s_cbranch_execz .LBB287_3560
; %bb.3553:                             ;   in Loop: Header=BB287_2083 Depth=1
	v_cmp_ne_u16_sdwa s12, v5, v48 src0_sel:BYTE_0 src1_sel:DWORD
	v_mov_b32_e32 v105, 0x8000
	s_and_saveexec_b32 s27, s12
	s_cbranch_execz .LBB287_3559
; %bb.3554:                             ;   in Loop: Header=BB287_2083 Depth=1
	v_bfe_u32 v102, v15, 16, 7
	v_mov_b32_e32 v105, 0x7c01
	s_mov_b32 s28, exec_lo
	v_cmpx_ne_u32_e32 0x7f, v102
	s_cbranch_execz .LBB287_3558
; %bb.3555:                             ;   in Loop: Header=BB287_2083 Depth=1
	v_and_b32_e32 v101, 7, v5
	v_lshrrev_b32_e32 v105, 3, v102
	s_mov_b32 s29, exec_lo
	v_cmpx_gt_u32_e32 8, v102
; %bb.3556:                             ;   in Loop: Header=BB287_2083 Depth=1
	v_ffbh_u32_e32 v3, v101
	v_min_u32_e32 v3, 32, v3
	v_subrev_nc_u32_e32 v4, 28, v3
	v_sub_nc_u32_e32 v105, 29, v3
	v_lshlrev_b64 v[101:102], v4, v[5:6]
	v_and_b32_e32 v101, 7, v101
; %bb.3557:                             ;   in Loop: Header=BB287_2083 Depth=1
	s_or_b32 exec_lo, exec_lo, s29
	v_lshlrev_b32_e32 v3, 8, v5
	v_lshl_add_u32 v4, v105, 10, 0x2000
	v_lshlrev_b32_e32 v5, 7, v101
	v_and_b32_e32 v3, 0x8000, v3
	v_and_b32_e32 v4, 0xfc00, v4
	v_or3_b32 v105, v3, v4, v5
.LBB287_3558:                           ;   in Loop: Header=BB287_2083 Depth=1
	s_or_b32 exec_lo, exec_lo, s28
.LBB287_3559:                           ;   in Loop: Header=BB287_2083 Depth=1
	s_or_b32 exec_lo, exec_lo, s27
.LBB287_3560:                           ;   in Loop: Header=BB287_2083 Depth=1
	s_or_b32 exec_lo, exec_lo, s26
	s_mov_b32 s26, exec_lo
	v_cmpx_lt_u32_e32 0xffffff, v15
	s_cbranch_execz .LBB287_3568
; %bb.3561:                             ;   in Loop: Header=BB287_2083 Depth=1
	v_lshrrev_b32_e32 v5, 24, v15
	v_bfrev_b32_e32 v104, 1
	s_mov_b32 s27, exec_lo
	v_cmpx_ne_u32_e32 0x80, v5
	s_cbranch_execz .LBB287_3567
; %bb.3562:                             ;   in Loop: Header=BB287_2083 Depth=1
	v_and_b32_e32 v106, 0x7f, v5
	v_mov_b32_e32 v104, 0x7c010000
	s_mov_b32 s28, exec_lo
	v_cmpx_ne_u32_e32 0x7f, v106
	s_cbranch_execz .LBB287_3566
; %bb.3563:                             ;   in Loop: Header=BB287_2083 Depth=1
	v_and_b32_e32 v101, 7, v5
	v_lshrrev_b32_e32 v102, 3, v106
	s_mov_b32 s29, exec_lo
	v_cmpx_gt_u32_e32 8, v106
; %bb.3564:                             ;   in Loop: Header=BB287_2083 Depth=1
	v_ffbh_u32_e32 v3, v101
	v_min_u32_e32 v3, 32, v3
	v_subrev_nc_u32_e32 v4, 28, v3
	v_lshlrev_b64 v[101:102], v4, v[5:6]
	v_sub_nc_u32_e32 v102, 29, v3
	v_and_b32_e32 v101, 7, v101
; %bb.3565:                             ;   in Loop: Header=BB287_2083 Depth=1
	s_or_b32 exec_lo, exec_lo, s29
	v_lshlrev_b32_e32 v3, 8, v5
	v_lshl_add_u32 v4, v102, 10, 0x2000
	v_and_or_b32 v3, 0x8000, v3, v4
	v_lshlrev_b32_e32 v4, 23, v101
	v_lshl_or_b32 v104, v3, 16, v4
.LBB287_3566:                           ;   in Loop: Header=BB287_2083 Depth=1
	s_or_b32 exec_lo, exec_lo, s28
.LBB287_3567:                           ;   in Loop: Header=BB287_2083 Depth=1
	s_or_b32 exec_lo, exec_lo, s27
.LBB287_3568:                           ;   in Loop: Header=BB287_2083 Depth=1
	s_or_b32 exec_lo, exec_lo, s26
	v_mov_b32_e32 v5, v16
	v_cmp_ne_u16_sdwa s12, v16, v6 src0_sel:BYTE_0 src1_sel:DWORD
	v_mov_b32_e32 v106, 0
	v_mov_b32_e32 v107, 0
	s_and_saveexec_b32 s26, s12
	s_cbranch_execz .LBB287_3576
; %bb.3569:                             ;   in Loop: Header=BB287_2083 Depth=1
	v_cmp_ne_u16_sdwa s12, v16, v48 src0_sel:BYTE_0 src1_sel:DWORD
	v_mov_b32_e32 v107, 0x8000
	s_and_saveexec_b32 s27, s12
	s_cbranch_execz .LBB287_3575
; %bb.3570:                             ;   in Loop: Header=BB287_2083 Depth=1
	v_and_b32_e32 v102, 0x7f, v16
	v_mov_b32_e32 v107, 0x7c01
	s_mov_b32 s28, exec_lo
	v_cmpx_ne_u32_e32 0x7f, v102
	s_cbranch_execz .LBB287_3574
; %bb.3571:                             ;   in Loop: Header=BB287_2083 Depth=1
	v_and_b32_e32 v101, 7, v16
	v_lshrrev_b32_e32 v107, 3, v102
	s_mov_b32 s29, exec_lo
	v_cmpx_gt_u32_e32 8, v102
; %bb.3572:                             ;   in Loop: Header=BB287_2083 Depth=1
	v_ffbh_u32_e32 v3, v101
	v_min_u32_e32 v3, 32, v3
	v_subrev_nc_u32_e32 v4, 28, v3
	v_sub_nc_u32_e32 v107, 29, v3
	v_lshlrev_b64 v[101:102], v4, v[5:6]
	v_and_b32_e32 v101, 7, v101
; %bb.3573:                             ;   in Loop: Header=BB287_2083 Depth=1
	s_or_b32 exec_lo, exec_lo, s29
	v_lshlrev_b32_e32 v3, 8, v16
	v_lshl_add_u32 v4, v107, 10, 0x2000
	v_lshlrev_b32_e32 v101, 7, v101
	v_and_b32_e32 v3, 0x8000, v3
	v_and_b32_e32 v4, 0xfc00, v4
	v_or3_b32 v107, v3, v4, v101
.LBB287_3574:                           ;   in Loop: Header=BB287_2083 Depth=1
	s_or_b32 exec_lo, exec_lo, s28
.LBB287_3575:                           ;   in Loop: Header=BB287_2083 Depth=1
	s_or_b32 exec_lo, exec_lo, s27
.LBB287_3576:                           ;   in Loop: Header=BB287_2083 Depth=1
	s_or_b32 exec_lo, exec_lo, s26
	v_lshrrev_b16 v5, 8, v5
	v_mov_b32_e32 v108, 0
	s_mov_b32 s26, exec_lo
	v_cmpx_ne_u16_e32 0, v5
	s_cbranch_execz .LBB287_3584
; %bb.3577:                             ;   in Loop: Header=BB287_2083 Depth=1
	v_bfrev_b32_e32 v108, 1
	s_mov_b32 s27, exec_lo
	v_cmpx_ne_u16_e32 0x80, v5
	s_cbranch_execz .LBB287_3583
; %bb.3578:                             ;   in Loop: Header=BB287_2083 Depth=1
	v_and_b32_sdwa v109, v5, v49 dst_sel:DWORD dst_unused:UNUSED_PAD src0_sel:WORD_0 src1_sel:DWORD
	v_mov_b32_e32 v108, 0x7c010000
	s_mov_b32 s28, exec_lo
	v_cmpx_ne_u32_e32 0x7f, v109
	s_cbranch_execz .LBB287_3582
; %bb.3579:                             ;   in Loop: Header=BB287_2083 Depth=1
	v_and_b32_sdwa v101, v5, v50 dst_sel:DWORD dst_unused:UNUSED_PAD src0_sel:WORD_0 src1_sel:DWORD
	v_lshrrev_b32_e32 v102, 3, v109
	s_mov_b32 s29, exec_lo
	v_cmpx_gt_u32_e32 8, v109
; %bb.3580:                             ;   in Loop: Header=BB287_2083 Depth=1
	v_ffbh_u32_e32 v3, v101
	v_min_u32_e32 v3, 32, v3
	v_subrev_nc_u32_e32 v4, 28, v3
	v_lshlrev_b64 v[101:102], v4, v[5:6]
	v_sub_nc_u32_e32 v102, 29, v3
	v_and_b32_e32 v101, 7, v101
; %bb.3581:                             ;   in Loop: Header=BB287_2083 Depth=1
	s_or_b32 exec_lo, exec_lo, s29
	v_lshlrev_b32_sdwa v3, v100, v5 dst_sel:DWORD dst_unused:UNUSED_PAD src0_sel:DWORD src1_sel:WORD_0
	v_lshl_add_u32 v4, v102, 10, 0x2000
	v_and_or_b32 v3, 0x8000, v3, v4
	v_lshlrev_b32_e32 v4, 23, v101
	v_lshl_or_b32 v108, v3, 16, v4
.LBB287_3582:                           ;   in Loop: Header=BB287_2083 Depth=1
	s_or_b32 exec_lo, exec_lo, s28
.LBB287_3583:                           ;   in Loop: Header=BB287_2083 Depth=1
	s_or_b32 exec_lo, exec_lo, s27
.LBB287_3584:                           ;   in Loop: Header=BB287_2083 Depth=1
	s_or_b32 exec_lo, exec_lo, s26
	v_lshrrev_b32_e32 v5, 16, v16
	v_cmp_ne_u16_sdwa s12, v5, v6 src0_sel:BYTE_0 src1_sel:DWORD
	s_and_saveexec_b32 s26, s12
	s_cbranch_execz .LBB287_3592
; %bb.3585:                             ;   in Loop: Header=BB287_2083 Depth=1
	v_cmp_ne_u16_sdwa s12, v5, v48 src0_sel:BYTE_0 src1_sel:DWORD
	v_mov_b32_e32 v106, 0x8000
	s_and_saveexec_b32 s27, s12
	s_cbranch_execz .LBB287_3591
; %bb.3586:                             ;   in Loop: Header=BB287_2083 Depth=1
	v_bfe_u32 v102, v16, 16, 7
	v_mov_b32_e32 v106, 0x7c01
	s_mov_b32 s28, exec_lo
	v_cmpx_ne_u32_e32 0x7f, v102
	s_cbranch_execz .LBB287_3590
; %bb.3587:                             ;   in Loop: Header=BB287_2083 Depth=1
	v_and_b32_e32 v101, 7, v5
	v_lshrrev_b32_e32 v106, 3, v102
	s_mov_b32 s29, exec_lo
	v_cmpx_gt_u32_e32 8, v102
; %bb.3588:                             ;   in Loop: Header=BB287_2083 Depth=1
	v_ffbh_u32_e32 v3, v101
	v_min_u32_e32 v3, 32, v3
	v_subrev_nc_u32_e32 v4, 28, v3
	v_sub_nc_u32_e32 v106, 29, v3
	v_lshlrev_b64 v[101:102], v4, v[5:6]
	v_and_b32_e32 v101, 7, v101
; %bb.3589:                             ;   in Loop: Header=BB287_2083 Depth=1
	s_or_b32 exec_lo, exec_lo, s29
	v_lshlrev_b32_e32 v3, 8, v5
	v_lshl_add_u32 v4, v106, 10, 0x2000
	v_lshlrev_b32_e32 v5, 7, v101
	v_and_b32_e32 v3, 0x8000, v3
	v_and_b32_e32 v4, 0xfc00, v4
	v_or3_b32 v106, v3, v4, v5
.LBB287_3590:                           ;   in Loop: Header=BB287_2083 Depth=1
	s_or_b32 exec_lo, exec_lo, s28
.LBB287_3591:                           ;   in Loop: Header=BB287_2083 Depth=1
	s_or_b32 exec_lo, exec_lo, s27
.LBB287_3592:                           ;   in Loop: Header=BB287_2083 Depth=1
	s_or_b32 exec_lo, exec_lo, s26
	v_cmp_lt_u64_e64 s12, s[22:23], v[15:16]
	v_mov_b32_e32 v15, 0
	s_and_saveexec_b32 s26, s12
	s_cbranch_execz .LBB287_3600
; %bb.3593:                             ;   in Loop: Header=BB287_2083 Depth=1
	v_lshrrev_b32_e32 v5, 24, v16
	v_bfrev_b32_e32 v15, 1
	s_mov_b32 s27, exec_lo
	v_cmpx_ne_u32_e32 0x80, v5
	s_cbranch_execz .LBB287_3599
; %bb.3594:                             ;   in Loop: Header=BB287_2083 Depth=1
	v_and_b32_e32 v101, 0x7f, v5
	v_mov_b32_e32 v15, 0x7c010000
	s_mov_b32 s28, exec_lo
	v_cmpx_ne_u32_e32 0x7f, v101
	s_cbranch_execz .LBB287_3598
; %bb.3595:                             ;   in Loop: Header=BB287_2083 Depth=1
	v_and_b32_e32 v15, 7, v5
	v_lshrrev_b32_e32 v16, 3, v101
	s_mov_b32 s29, exec_lo
	v_cmpx_gt_u32_e32 8, v101
; %bb.3596:                             ;   in Loop: Header=BB287_2083 Depth=1
	v_ffbh_u32_e32 v3, v15
	v_min_u32_e32 v3, 32, v3
	v_subrev_nc_u32_e32 v4, 28, v3
	v_lshlrev_b64 v[15:16], v4, v[5:6]
	v_sub_nc_u32_e32 v16, 29, v3
	v_and_b32_e32 v15, 7, v15
; %bb.3597:                             ;   in Loop: Header=BB287_2083 Depth=1
	s_or_b32 exec_lo, exec_lo, s29
	v_lshlrev_b32_e32 v3, 8, v5
	v_lshl_add_u32 v4, v16, 10, 0x2000
	v_and_or_b32 v3, 0x8000, v3, v4
	v_lshlrev_b32_e32 v4, 23, v15
	v_lshl_or_b32 v15, v3, 16, v4
.LBB287_3598:                           ;   in Loop: Header=BB287_2083 Depth=1
	s_or_b32 exec_lo, exec_lo, s28
.LBB287_3599:                           ;   in Loop: Header=BB287_2083 Depth=1
	s_or_b32 exec_lo, exec_lo, s27
.LBB287_3600:                           ;   in Loop: Header=BB287_2083 Depth=1
	s_or_b32 exec_lo, exec_lo, s26
	v_or_b32_e32 v3, v104, v105
	s_waitcnt vmcnt(0) lgkmcnt(0)
	v_fma_mixlo_f16 v4, v66, v104, 0 op_sel:[0,1,0] op_sel_hi:[0,1,0]
	v_or_b32_e32 v16, v59, v95
	v_or_b32_e32 v102, v108, v107
	;; [unrolled: 1-line block ×3, first 2 shown]
	v_fma_mixlo_f16 v3, v66, v3, 0 op_sel_hi:[0,1,0]
	v_fma_mixlo_f16 v101, v66, v59, 0 op_sel:[0,1,0] op_sel_hi:[0,1,0]
	v_lshlrev_b32_e32 v5, 16, v4
	v_fma_mixlo_f16 v4, v66, v16, 0 op_sel_hi:[0,1,0]
	v_fma_mixlo_f16 v59, v66, v102, 0 op_sel_hi:[0,1,0]
	v_and_b32_e32 v16, 0xffff, v3
	v_fma_mixlo_f16 v3, v66, v108, 0 op_sel:[0,1,0] op_sel_hi:[0,1,0]
	v_fma_mixlo_f16 v15, v66, v15, 0 op_sel:[0,1,0] op_sel_hi:[0,1,0]
	v_fma_mixlo_f16 v66, v66, v103, 0 op_sel_hi:[0,1,0]
	v_lshlrev_b32_e32 v101, 16, v101
	v_and_b32_e32 v102, 0xffff, v4
	v_lshlrev_b32_e32 v105, 16, v3
	v_and_b32_e32 v107, 0xffff, v59
	;; [unrolled: 2-line block ×3, first 2 shown]
	v_or_b32_e32 v15, v5, v16
	v_or_b32_e32 v95, v101, v102
	v_or_b32_e32 v59, v105, v107
	v_or_b32_e32 v66, v104, v106
	s_and_saveexec_b32 s12, s4
	s_cbranch_execz .LBB287_3602
; %bb.3601:                             ;   in Loop: Header=BB287_2083 Depth=1
	v_cndmask_b32_e32 v3, 0, v102, vcc_lo
	v_cndmask_b32_e64 v4, 0, v101, s7
	v_cndmask_b32_e64 v15, 0, v16, s5
	;; [unrolled: 1-line block ×7, first 2 shown]
	v_or_b32_e32 v95, v3, v4
	v_or_b32_e32 v15, v15, v5
	;; [unrolled: 1-line block ×4, first 2 shown]
.LBB287_3602:                           ;   in Loop: Header=BB287_2083 Depth=1
	s_or_b32 exec_lo, exec_lo, s12
	;;#ASMSTART
	v_pk_mul_f16 v3, v40, v95;

	;;#ASMEND
	;;#ASMSTART
	v_pk_mul_f16 v4, v119, v15;

	;;#ASMEND
	;; [unrolled: 4-line block ×4, first 2 shown]
	;;#ASMSTART
	v_pk_add_f16 v3, v3, v4;

	;;#ASMEND
	;;#ASMSTART
	v_pk_add_f16 v3, v3, v5;

	;;#ASMEND
	;;#ASMSTART
	v_pk_add_f16 v3, v3, v15;

	;;#ASMEND
	v_and_b32_e32 v4, 0xffff, v3
	v_lshrrev_b32_e32 v3, 16, v3
	;;#ASMSTART
	v_cvt_f32_f16 v15, v4;
	;;#ASMEND
	;;#ASMSTART
	v_cvt_f32_f16 v16, v3;
	;;#ASMEND
	flat_load_dwordx2 v[13:14], v[13:14] offset:1792
	flat_load_dword v66, v[22:23]
	v_mov_b32_e32 v59, 0
	v_mov_b32_e32 v95, 0
	s_waitcnt vmcnt(1) lgkmcnt(1)
	v_cmp_ne_u16_sdwa s12, v13, v6 src0_sel:BYTE_0 src1_sel:DWORD
	s_and_saveexec_b32 s26, s12
	s_cbranch_execz .LBB287_3610
; %bb.3603:                             ;   in Loop: Header=BB287_2083 Depth=1
	v_cmp_ne_u16_sdwa s12, v13, v48 src0_sel:BYTE_0 src1_sel:DWORD
	v_mov_b32_e32 v95, 0x8000
	s_and_saveexec_b32 s27, s12
	s_cbranch_execz .LBB287_3609
; %bb.3604:                             ;   in Loop: Header=BB287_2083 Depth=1
	v_and_b32_e32 v102, 0x7f, v13
	v_mov_b32_e32 v95, 0x7c01
	s_mov_b32 s28, exec_lo
	v_cmpx_ne_u32_e32 0x7f, v102
	s_cbranch_execz .LBB287_3608
; %bb.3605:                             ;   in Loop: Header=BB287_2083 Depth=1
	v_and_b32_e32 v5, 7, v13
	v_lshrrev_b32_e32 v101, 3, v102
	s_mov_b32 s29, exec_lo
	v_cmpx_gt_u32_e32 8, v102
; %bb.3606:                             ;   in Loop: Header=BB287_2083 Depth=1
	v_ffbh_u32_e32 v3, v5
	v_min_u32_e32 v3, 32, v3
	v_subrev_nc_u32_e32 v4, 28, v3
	v_sub_nc_u32_e32 v101, 29, v3
	v_lshlrev_b64 v[102:103], v4, v[13:14]
	v_and_b32_e32 v5, 7, v102
; %bb.3607:                             ;   in Loop: Header=BB287_2083 Depth=1
	s_or_b32 exec_lo, exec_lo, s29
	v_lshlrev_b32_e32 v3, 8, v13
	v_lshl_add_u32 v4, v101, 10, 0x2000
	v_lshlrev_b32_e32 v5, 7, v5
	v_and_b32_e32 v3, 0x8000, v3
	v_and_b32_e32 v4, 0xfc00, v4
	v_or3_b32 v95, v3, v4, v5
.LBB287_3608:                           ;   in Loop: Header=BB287_2083 Depth=1
	s_or_b32 exec_lo, exec_lo, s28
.LBB287_3609:                           ;   in Loop: Header=BB287_2083 Depth=1
	s_or_b32 exec_lo, exec_lo, s27
.LBB287_3610:                           ;   in Loop: Header=BB287_2083 Depth=1
	s_or_b32 exec_lo, exec_lo, s26
	v_lshrrev_b16 v5, 8, v13
	s_mov_b32 s26, exec_lo
	v_cmpx_ne_u16_e32 0, v5
	s_cbranch_execz .LBB287_3618
; %bb.3611:                             ;   in Loop: Header=BB287_2083 Depth=1
	v_bfrev_b32_e32 v59, 1
	s_mov_b32 s27, exec_lo
	v_cmpx_ne_u16_e32 0x80, v5
	s_cbranch_execz .LBB287_3617
; %bb.3612:                             ;   in Loop: Header=BB287_2083 Depth=1
	v_and_b32_sdwa v104, v5, v49 dst_sel:DWORD dst_unused:UNUSED_PAD src0_sel:WORD_0 src1_sel:DWORD
	v_mov_b32_e32 v59, 0x7c010000
	s_mov_b32 s28, exec_lo
	v_cmpx_ne_u32_e32 0x7f, v104
	s_cbranch_execz .LBB287_3616
; %bb.3613:                             ;   in Loop: Header=BB287_2083 Depth=1
	v_and_b32_sdwa v101, v5, v50 dst_sel:DWORD dst_unused:UNUSED_PAD src0_sel:WORD_0 src1_sel:DWORD
	v_lshrrev_b32_e32 v102, 3, v104
	s_mov_b32 s29, exec_lo
	v_cmpx_gt_u32_e32 8, v104
; %bb.3614:                             ;   in Loop: Header=BB287_2083 Depth=1
	v_ffbh_u32_e32 v3, v101
	v_min_u32_e32 v3, 32, v3
	v_subrev_nc_u32_e32 v4, 28, v3
	v_lshlrev_b64 v[101:102], v4, v[5:6]
	v_sub_nc_u32_e32 v102, 29, v3
	v_and_b32_e32 v101, 7, v101
; %bb.3615:                             ;   in Loop: Header=BB287_2083 Depth=1
	s_or_b32 exec_lo, exec_lo, s29
	v_lshlrev_b32_sdwa v3, v100, v5 dst_sel:DWORD dst_unused:UNUSED_PAD src0_sel:DWORD src1_sel:WORD_0
	v_lshl_add_u32 v4, v102, 10, 0x2000
	v_and_or_b32 v3, 0x8000, v3, v4
	v_lshlrev_b32_e32 v4, 23, v101
	v_lshl_or_b32 v59, v3, 16, v4
.LBB287_3616:                           ;   in Loop: Header=BB287_2083 Depth=1
	s_or_b32 exec_lo, exec_lo, s28
.LBB287_3617:                           ;   in Loop: Header=BB287_2083 Depth=1
	s_or_b32 exec_lo, exec_lo, s27
.LBB287_3618:                           ;   in Loop: Header=BB287_2083 Depth=1
	s_or_b32 exec_lo, exec_lo, s26
	v_lshrrev_b32_e32 v5, 16, v13
	v_mov_b32_e32 v104, 0
	v_mov_b32_e32 v105, 0
	v_cmp_ne_u16_sdwa s12, v5, v6 src0_sel:BYTE_0 src1_sel:DWORD
	s_and_saveexec_b32 s26, s12
	s_cbranch_execz .LBB287_3626
; %bb.3619:                             ;   in Loop: Header=BB287_2083 Depth=1
	v_cmp_ne_u16_sdwa s12, v5, v48 src0_sel:BYTE_0 src1_sel:DWORD
	v_mov_b32_e32 v105, 0x8000
	s_and_saveexec_b32 s27, s12
	s_cbranch_execz .LBB287_3625
; %bb.3620:                             ;   in Loop: Header=BB287_2083 Depth=1
	v_bfe_u32 v102, v13, 16, 7
	v_mov_b32_e32 v105, 0x7c01
	s_mov_b32 s28, exec_lo
	v_cmpx_ne_u32_e32 0x7f, v102
	s_cbranch_execz .LBB287_3624
; %bb.3621:                             ;   in Loop: Header=BB287_2083 Depth=1
	v_and_b32_e32 v101, 7, v5
	v_lshrrev_b32_e32 v105, 3, v102
	s_mov_b32 s29, exec_lo
	v_cmpx_gt_u32_e32 8, v102
; %bb.3622:                             ;   in Loop: Header=BB287_2083 Depth=1
	v_ffbh_u32_e32 v3, v101
	v_min_u32_e32 v3, 32, v3
	v_subrev_nc_u32_e32 v4, 28, v3
	v_sub_nc_u32_e32 v105, 29, v3
	v_lshlrev_b64 v[101:102], v4, v[5:6]
	v_and_b32_e32 v101, 7, v101
; %bb.3623:                             ;   in Loop: Header=BB287_2083 Depth=1
	s_or_b32 exec_lo, exec_lo, s29
	v_lshlrev_b32_e32 v3, 8, v5
	v_lshl_add_u32 v4, v105, 10, 0x2000
	v_lshlrev_b32_e32 v5, 7, v101
	v_and_b32_e32 v3, 0x8000, v3
	v_and_b32_e32 v4, 0xfc00, v4
	v_or3_b32 v105, v3, v4, v5
.LBB287_3624:                           ;   in Loop: Header=BB287_2083 Depth=1
	s_or_b32 exec_lo, exec_lo, s28
.LBB287_3625:                           ;   in Loop: Header=BB287_2083 Depth=1
	s_or_b32 exec_lo, exec_lo, s27
.LBB287_3626:                           ;   in Loop: Header=BB287_2083 Depth=1
	s_or_b32 exec_lo, exec_lo, s26
	s_mov_b32 s26, exec_lo
	v_cmpx_lt_u32_e32 0xffffff, v13
	s_cbranch_execz .LBB287_3634
; %bb.3627:                             ;   in Loop: Header=BB287_2083 Depth=1
	v_lshrrev_b32_e32 v5, 24, v13
	v_bfrev_b32_e32 v104, 1
	s_mov_b32 s27, exec_lo
	v_cmpx_ne_u32_e32 0x80, v5
	s_cbranch_execz .LBB287_3633
; %bb.3628:                             ;   in Loop: Header=BB287_2083 Depth=1
	v_and_b32_e32 v106, 0x7f, v5
	v_mov_b32_e32 v104, 0x7c010000
	s_mov_b32 s28, exec_lo
	v_cmpx_ne_u32_e32 0x7f, v106
	s_cbranch_execz .LBB287_3632
; %bb.3629:                             ;   in Loop: Header=BB287_2083 Depth=1
	v_and_b32_e32 v101, 7, v5
	v_lshrrev_b32_e32 v102, 3, v106
	s_mov_b32 s29, exec_lo
	v_cmpx_gt_u32_e32 8, v106
; %bb.3630:                             ;   in Loop: Header=BB287_2083 Depth=1
	v_ffbh_u32_e32 v3, v101
	v_min_u32_e32 v3, 32, v3
	v_subrev_nc_u32_e32 v4, 28, v3
	v_lshlrev_b64 v[101:102], v4, v[5:6]
	v_sub_nc_u32_e32 v102, 29, v3
	v_and_b32_e32 v101, 7, v101
; %bb.3631:                             ;   in Loop: Header=BB287_2083 Depth=1
	s_or_b32 exec_lo, exec_lo, s29
	v_lshlrev_b32_e32 v3, 8, v5
	v_lshl_add_u32 v4, v102, 10, 0x2000
	v_and_or_b32 v3, 0x8000, v3, v4
	v_lshlrev_b32_e32 v4, 23, v101
	v_lshl_or_b32 v104, v3, 16, v4
.LBB287_3632:                           ;   in Loop: Header=BB287_2083 Depth=1
	s_or_b32 exec_lo, exec_lo, s28
.LBB287_3633:                           ;   in Loop: Header=BB287_2083 Depth=1
	s_or_b32 exec_lo, exec_lo, s27
.LBB287_3634:                           ;   in Loop: Header=BB287_2083 Depth=1
	s_or_b32 exec_lo, exec_lo, s26
	v_mov_b32_e32 v5, v14
	v_cmp_ne_u16_sdwa s12, v14, v6 src0_sel:BYTE_0 src1_sel:DWORD
	v_mov_b32_e32 v106, 0
	v_mov_b32_e32 v107, 0
	s_and_saveexec_b32 s26, s12
	s_cbranch_execz .LBB287_3642
; %bb.3635:                             ;   in Loop: Header=BB287_2083 Depth=1
	v_cmp_ne_u16_sdwa s12, v14, v48 src0_sel:BYTE_0 src1_sel:DWORD
	v_mov_b32_e32 v107, 0x8000
	s_and_saveexec_b32 s27, s12
	s_cbranch_execz .LBB287_3641
; %bb.3636:                             ;   in Loop: Header=BB287_2083 Depth=1
	v_and_b32_e32 v102, 0x7f, v14
	v_mov_b32_e32 v107, 0x7c01
	s_mov_b32 s28, exec_lo
	v_cmpx_ne_u32_e32 0x7f, v102
	s_cbranch_execz .LBB287_3640
; %bb.3637:                             ;   in Loop: Header=BB287_2083 Depth=1
	v_and_b32_e32 v101, 7, v14
	v_lshrrev_b32_e32 v107, 3, v102
	s_mov_b32 s29, exec_lo
	v_cmpx_gt_u32_e32 8, v102
; %bb.3638:                             ;   in Loop: Header=BB287_2083 Depth=1
	v_ffbh_u32_e32 v3, v101
	v_min_u32_e32 v3, 32, v3
	v_subrev_nc_u32_e32 v4, 28, v3
	v_sub_nc_u32_e32 v107, 29, v3
	v_lshlrev_b64 v[101:102], v4, v[5:6]
	v_and_b32_e32 v101, 7, v101
; %bb.3639:                             ;   in Loop: Header=BB287_2083 Depth=1
	s_or_b32 exec_lo, exec_lo, s29
	v_lshlrev_b32_e32 v3, 8, v14
	v_lshl_add_u32 v4, v107, 10, 0x2000
	v_lshlrev_b32_e32 v101, 7, v101
	v_and_b32_e32 v3, 0x8000, v3
	v_and_b32_e32 v4, 0xfc00, v4
	v_or3_b32 v107, v3, v4, v101
.LBB287_3640:                           ;   in Loop: Header=BB287_2083 Depth=1
	s_or_b32 exec_lo, exec_lo, s28
.LBB287_3641:                           ;   in Loop: Header=BB287_2083 Depth=1
	s_or_b32 exec_lo, exec_lo, s27
.LBB287_3642:                           ;   in Loop: Header=BB287_2083 Depth=1
	s_or_b32 exec_lo, exec_lo, s26
	v_lshrrev_b16 v5, 8, v5
	v_mov_b32_e32 v108, 0
	s_mov_b32 s26, exec_lo
	v_cmpx_ne_u16_e32 0, v5
	s_cbranch_execz .LBB287_3650
; %bb.3643:                             ;   in Loop: Header=BB287_2083 Depth=1
	v_bfrev_b32_e32 v108, 1
	s_mov_b32 s27, exec_lo
	v_cmpx_ne_u16_e32 0x80, v5
	s_cbranch_execz .LBB287_3649
; %bb.3644:                             ;   in Loop: Header=BB287_2083 Depth=1
	v_and_b32_sdwa v109, v5, v49 dst_sel:DWORD dst_unused:UNUSED_PAD src0_sel:WORD_0 src1_sel:DWORD
	v_mov_b32_e32 v108, 0x7c010000
	s_mov_b32 s28, exec_lo
	v_cmpx_ne_u32_e32 0x7f, v109
	s_cbranch_execz .LBB287_3648
; %bb.3645:                             ;   in Loop: Header=BB287_2083 Depth=1
	v_and_b32_sdwa v101, v5, v50 dst_sel:DWORD dst_unused:UNUSED_PAD src0_sel:WORD_0 src1_sel:DWORD
	v_lshrrev_b32_e32 v102, 3, v109
	s_mov_b32 s29, exec_lo
	v_cmpx_gt_u32_e32 8, v109
; %bb.3646:                             ;   in Loop: Header=BB287_2083 Depth=1
	v_ffbh_u32_e32 v3, v101
	v_min_u32_e32 v3, 32, v3
	v_subrev_nc_u32_e32 v4, 28, v3
	v_lshlrev_b64 v[101:102], v4, v[5:6]
	v_sub_nc_u32_e32 v102, 29, v3
	v_and_b32_e32 v101, 7, v101
; %bb.3647:                             ;   in Loop: Header=BB287_2083 Depth=1
	s_or_b32 exec_lo, exec_lo, s29
	v_lshlrev_b32_sdwa v3, v100, v5 dst_sel:DWORD dst_unused:UNUSED_PAD src0_sel:DWORD src1_sel:WORD_0
	v_lshl_add_u32 v4, v102, 10, 0x2000
	v_and_or_b32 v3, 0x8000, v3, v4
	v_lshlrev_b32_e32 v4, 23, v101
	v_lshl_or_b32 v108, v3, 16, v4
.LBB287_3648:                           ;   in Loop: Header=BB287_2083 Depth=1
	s_or_b32 exec_lo, exec_lo, s28
.LBB287_3649:                           ;   in Loop: Header=BB287_2083 Depth=1
	s_or_b32 exec_lo, exec_lo, s27
.LBB287_3650:                           ;   in Loop: Header=BB287_2083 Depth=1
	s_or_b32 exec_lo, exec_lo, s26
	v_lshrrev_b32_e32 v5, 16, v14
	v_cmp_ne_u16_sdwa s12, v5, v6 src0_sel:BYTE_0 src1_sel:DWORD
	s_and_saveexec_b32 s26, s12
	s_cbranch_execz .LBB287_3658
; %bb.3651:                             ;   in Loop: Header=BB287_2083 Depth=1
	v_cmp_ne_u16_sdwa s12, v5, v48 src0_sel:BYTE_0 src1_sel:DWORD
	v_mov_b32_e32 v106, 0x8000
	s_and_saveexec_b32 s27, s12
	s_cbranch_execz .LBB287_3657
; %bb.3652:                             ;   in Loop: Header=BB287_2083 Depth=1
	v_bfe_u32 v102, v14, 16, 7
	v_mov_b32_e32 v106, 0x7c01
	s_mov_b32 s28, exec_lo
	v_cmpx_ne_u32_e32 0x7f, v102
	s_cbranch_execz .LBB287_3656
; %bb.3653:                             ;   in Loop: Header=BB287_2083 Depth=1
	v_and_b32_e32 v101, 7, v5
	v_lshrrev_b32_e32 v106, 3, v102
	s_mov_b32 s29, exec_lo
	v_cmpx_gt_u32_e32 8, v102
; %bb.3654:                             ;   in Loop: Header=BB287_2083 Depth=1
	v_ffbh_u32_e32 v3, v101
	v_min_u32_e32 v3, 32, v3
	v_subrev_nc_u32_e32 v4, 28, v3
	v_sub_nc_u32_e32 v106, 29, v3
	v_lshlrev_b64 v[101:102], v4, v[5:6]
	v_and_b32_e32 v101, 7, v101
; %bb.3655:                             ;   in Loop: Header=BB287_2083 Depth=1
	s_or_b32 exec_lo, exec_lo, s29
	v_lshlrev_b32_e32 v3, 8, v5
	v_lshl_add_u32 v4, v106, 10, 0x2000
	v_lshlrev_b32_e32 v5, 7, v101
	v_and_b32_e32 v3, 0x8000, v3
	v_and_b32_e32 v4, 0xfc00, v4
	v_or3_b32 v106, v3, v4, v5
.LBB287_3656:                           ;   in Loop: Header=BB287_2083 Depth=1
	s_or_b32 exec_lo, exec_lo, s28
.LBB287_3657:                           ;   in Loop: Header=BB287_2083 Depth=1
	s_or_b32 exec_lo, exec_lo, s27
.LBB287_3658:                           ;   in Loop: Header=BB287_2083 Depth=1
	s_or_b32 exec_lo, exec_lo, s26
	v_cmp_lt_u64_e64 s12, s[22:23], v[13:14]
	v_mov_b32_e32 v13, 0
	s_and_saveexec_b32 s26, s12
	s_cbranch_execz .LBB287_3666
; %bb.3659:                             ;   in Loop: Header=BB287_2083 Depth=1
	v_lshrrev_b32_e32 v5, 24, v14
	v_bfrev_b32_e32 v13, 1
	s_mov_b32 s27, exec_lo
	v_cmpx_ne_u32_e32 0x80, v5
	s_cbranch_execz .LBB287_3665
; %bb.3660:                             ;   in Loop: Header=BB287_2083 Depth=1
	v_and_b32_e32 v101, 0x7f, v5
	v_mov_b32_e32 v13, 0x7c010000
	s_mov_b32 s28, exec_lo
	v_cmpx_ne_u32_e32 0x7f, v101
	s_cbranch_execz .LBB287_3664
; %bb.3661:                             ;   in Loop: Header=BB287_2083 Depth=1
	v_and_b32_e32 v13, 7, v5
	v_lshrrev_b32_e32 v14, 3, v101
	s_mov_b32 s29, exec_lo
	v_cmpx_gt_u32_e32 8, v101
; %bb.3662:                             ;   in Loop: Header=BB287_2083 Depth=1
	v_ffbh_u32_e32 v3, v13
	v_min_u32_e32 v3, 32, v3
	v_subrev_nc_u32_e32 v4, 28, v3
	v_lshlrev_b64 v[13:14], v4, v[5:6]
	v_sub_nc_u32_e32 v14, 29, v3
	v_and_b32_e32 v13, 7, v13
; %bb.3663:                             ;   in Loop: Header=BB287_2083 Depth=1
	s_or_b32 exec_lo, exec_lo, s29
	v_lshlrev_b32_e32 v3, 8, v5
	v_lshl_add_u32 v4, v14, 10, 0x2000
	v_and_or_b32 v3, 0x8000, v3, v4
	v_lshlrev_b32_e32 v4, 23, v13
	v_lshl_or_b32 v13, v3, 16, v4
.LBB287_3664:                           ;   in Loop: Header=BB287_2083 Depth=1
	s_or_b32 exec_lo, exec_lo, s28
.LBB287_3665:                           ;   in Loop: Header=BB287_2083 Depth=1
	s_or_b32 exec_lo, exec_lo, s27
.LBB287_3666:                           ;   in Loop: Header=BB287_2083 Depth=1
	s_or_b32 exec_lo, exec_lo, s26
	v_or_b32_e32 v3, v104, v105
	s_waitcnt vmcnt(0) lgkmcnt(0)
	v_fma_mixlo_f16 v4, v66, v104, 0 op_sel:[0,1,0] op_sel_hi:[0,1,0]
	v_or_b32_e32 v14, v59, v95
	v_or_b32_e32 v102, v108, v107
	;; [unrolled: 1-line block ×3, first 2 shown]
	v_fma_mixlo_f16 v3, v66, v3, 0 op_sel_hi:[0,1,0]
	v_fma_mixlo_f16 v101, v66, v59, 0 op_sel:[0,1,0] op_sel_hi:[0,1,0]
	v_lshlrev_b32_e32 v5, 16, v4
	v_fma_mixlo_f16 v4, v66, v14, 0 op_sel_hi:[0,1,0]
	v_fma_mixlo_f16 v59, v66, v102, 0 op_sel_hi:[0,1,0]
	v_and_b32_e32 v14, 0xffff, v3
	v_fma_mixlo_f16 v3, v66, v108, 0 op_sel:[0,1,0] op_sel_hi:[0,1,0]
	v_fma_mixlo_f16 v13, v66, v13, 0 op_sel:[0,1,0] op_sel_hi:[0,1,0]
	v_fma_mixlo_f16 v66, v66, v103, 0 op_sel_hi:[0,1,0]
	v_lshlrev_b32_e32 v101, 16, v101
	v_and_b32_e32 v102, 0xffff, v4
	v_lshlrev_b32_e32 v105, 16, v3
	v_and_b32_e32 v107, 0xffff, v59
	;; [unrolled: 2-line block ×3, first 2 shown]
	v_or_b32_e32 v13, v5, v14
	v_or_b32_e32 v95, v101, v102
	;; [unrolled: 1-line block ×4, first 2 shown]
	s_and_saveexec_b32 s12, s4
	s_cbranch_execz .LBB287_3668
; %bb.3667:                             ;   in Loop: Header=BB287_2083 Depth=1
	v_cndmask_b32_e32 v3, 0, v102, vcc_lo
	v_cndmask_b32_e64 v4, 0, v101, s7
	v_cndmask_b32_e64 v13, 0, v14, s5
	;; [unrolled: 1-line block ×7, first 2 shown]
	v_or_b32_e32 v95, v3, v4
	v_or_b32_e32 v13, v13, v5
	;; [unrolled: 1-line block ×4, first 2 shown]
.LBB287_3668:                           ;   in Loop: Header=BB287_2083 Depth=1
	s_or_b32 exec_lo, exec_lo, s12
	v_add_co_u32 v11, s12, 0x1800, v11
	v_add_co_ci_u32_e64 v12, null, 0, v12, s12
	;;#ASMSTART
	v_pk_mul_f16 v3, v40, v95;

	;;#ASMEND
	;;#ASMSTART
	v_pk_mul_f16 v4, v119, v13;

	;;#ASMEND
	;; [unrolled: 4-line block ×4, first 2 shown]
	;;#ASMSTART
	v_pk_add_f16 v3, v3, v4;

	;;#ASMEND
	;;#ASMSTART
	v_pk_add_f16 v3, v3, v5;

	;;#ASMEND
	;; [unrolled: 4-line block ×3, first 2 shown]
	v_lshrrev_b32_e32 v4, 16, v3
	v_and_b32_e32 v3, 0xffff, v3
	;;#ASMSTART
	v_cvt_f32_f16 v95, v3;
	;;#ASMEND
	;;#ASMSTART
	v_cvt_f32_f16 v104, v4;
	;;#ASMEND
	flat_load_dwordx2 v[13:14], v[11:12]
	flat_load_dword v66, v[22:23]
	v_mov_b32_e32 v59, 0
	v_mov_b32_e32 v105, 0
	s_waitcnt vmcnt(1) lgkmcnt(1)
	v_cmp_ne_u16_sdwa s12, v13, v6 src0_sel:BYTE_0 src1_sel:DWORD
	s_and_saveexec_b32 s26, s12
	s_cbranch_execz .LBB287_3676
; %bb.3669:                             ;   in Loop: Header=BB287_2083 Depth=1
	v_cmp_ne_u16_sdwa s12, v13, v48 src0_sel:BYTE_0 src1_sel:DWORD
	v_mov_b32_e32 v105, 0x8000
	s_and_saveexec_b32 s27, s12
	s_cbranch_execz .LBB287_3675
; %bb.3670:                             ;   in Loop: Header=BB287_2083 Depth=1
	v_and_b32_e32 v102, 0x7f, v13
	v_mov_b32_e32 v105, 0x7c01
	s_mov_b32 s28, exec_lo
	v_cmpx_ne_u32_e32 0x7f, v102
	s_cbranch_execz .LBB287_3674
; %bb.3671:                             ;   in Loop: Header=BB287_2083 Depth=1
	v_and_b32_e32 v5, 7, v13
	v_lshrrev_b32_e32 v101, 3, v102
	s_mov_b32 s29, exec_lo
	v_cmpx_gt_u32_e32 8, v102
; %bb.3672:                             ;   in Loop: Header=BB287_2083 Depth=1
	v_ffbh_u32_e32 v3, v5
	v_min_u32_e32 v3, 32, v3
	v_subrev_nc_u32_e32 v4, 28, v3
	v_sub_nc_u32_e32 v101, 29, v3
	v_lshlrev_b64 v[102:103], v4, v[13:14]
	v_and_b32_e32 v5, 7, v102
; %bb.3673:                             ;   in Loop: Header=BB287_2083 Depth=1
	s_or_b32 exec_lo, exec_lo, s29
	v_lshlrev_b32_e32 v3, 8, v13
	v_lshl_add_u32 v4, v101, 10, 0x2000
	v_lshlrev_b32_e32 v5, 7, v5
	v_and_b32_e32 v3, 0x8000, v3
	v_and_b32_e32 v4, 0xfc00, v4
	v_or3_b32 v105, v3, v4, v5
.LBB287_3674:                           ;   in Loop: Header=BB287_2083 Depth=1
	s_or_b32 exec_lo, exec_lo, s28
.LBB287_3675:                           ;   in Loop: Header=BB287_2083 Depth=1
	s_or_b32 exec_lo, exec_lo, s27
.LBB287_3676:                           ;   in Loop: Header=BB287_2083 Depth=1
	s_or_b32 exec_lo, exec_lo, s26
	v_lshrrev_b16 v5, 8, v13
	s_mov_b32 s26, exec_lo
	v_cmpx_ne_u16_e32 0, v5
	s_cbranch_execz .LBB287_3684
; %bb.3677:                             ;   in Loop: Header=BB287_2083 Depth=1
	v_bfrev_b32_e32 v59, 1
	s_mov_b32 s27, exec_lo
	v_cmpx_ne_u16_e32 0x80, v5
	s_cbranch_execz .LBB287_3683
; %bb.3678:                             ;   in Loop: Header=BB287_2083 Depth=1
	v_and_b32_sdwa v106, v5, v49 dst_sel:DWORD dst_unused:UNUSED_PAD src0_sel:WORD_0 src1_sel:DWORD
	v_mov_b32_e32 v59, 0x7c010000
	s_mov_b32 s28, exec_lo
	v_cmpx_ne_u32_e32 0x7f, v106
	s_cbranch_execz .LBB287_3682
; %bb.3679:                             ;   in Loop: Header=BB287_2083 Depth=1
	v_and_b32_sdwa v101, v5, v50 dst_sel:DWORD dst_unused:UNUSED_PAD src0_sel:WORD_0 src1_sel:DWORD
	v_lshrrev_b32_e32 v102, 3, v106
	s_mov_b32 s29, exec_lo
	v_cmpx_gt_u32_e32 8, v106
; %bb.3680:                             ;   in Loop: Header=BB287_2083 Depth=1
	v_ffbh_u32_e32 v3, v101
	v_min_u32_e32 v3, 32, v3
	v_subrev_nc_u32_e32 v4, 28, v3
	v_lshlrev_b64 v[101:102], v4, v[5:6]
	v_sub_nc_u32_e32 v102, 29, v3
	v_and_b32_e32 v101, 7, v101
; %bb.3681:                             ;   in Loop: Header=BB287_2083 Depth=1
	s_or_b32 exec_lo, exec_lo, s29
	v_lshlrev_b32_sdwa v3, v100, v5 dst_sel:DWORD dst_unused:UNUSED_PAD src0_sel:DWORD src1_sel:WORD_0
	v_lshl_add_u32 v4, v102, 10, 0x2000
	v_and_or_b32 v3, 0x8000, v3, v4
	v_lshlrev_b32_e32 v4, 23, v101
	v_lshl_or_b32 v59, v3, 16, v4
.LBB287_3682:                           ;   in Loop: Header=BB287_2083 Depth=1
	s_or_b32 exec_lo, exec_lo, s28
.LBB287_3683:                           ;   in Loop: Header=BB287_2083 Depth=1
	s_or_b32 exec_lo, exec_lo, s27
.LBB287_3684:                           ;   in Loop: Header=BB287_2083 Depth=1
	s_or_b32 exec_lo, exec_lo, s26
	v_lshrrev_b32_e32 v5, 16, v13
	v_mov_b32_e32 v106, 0
	v_mov_b32_e32 v107, 0
	v_cmp_ne_u16_sdwa s12, v5, v6 src0_sel:BYTE_0 src1_sel:DWORD
	s_and_saveexec_b32 s26, s12
	s_cbranch_execz .LBB287_3692
; %bb.3685:                             ;   in Loop: Header=BB287_2083 Depth=1
	v_cmp_ne_u16_sdwa s12, v5, v48 src0_sel:BYTE_0 src1_sel:DWORD
	v_mov_b32_e32 v107, 0x8000
	s_and_saveexec_b32 s27, s12
	s_cbranch_execz .LBB287_3691
; %bb.3686:                             ;   in Loop: Header=BB287_2083 Depth=1
	v_bfe_u32 v102, v13, 16, 7
	v_mov_b32_e32 v107, 0x7c01
	s_mov_b32 s28, exec_lo
	v_cmpx_ne_u32_e32 0x7f, v102
	s_cbranch_execz .LBB287_3690
; %bb.3687:                             ;   in Loop: Header=BB287_2083 Depth=1
	v_and_b32_e32 v101, 7, v5
	v_lshrrev_b32_e32 v107, 3, v102
	s_mov_b32 s29, exec_lo
	v_cmpx_gt_u32_e32 8, v102
; %bb.3688:                             ;   in Loop: Header=BB287_2083 Depth=1
	v_ffbh_u32_e32 v3, v101
	v_min_u32_e32 v3, 32, v3
	v_subrev_nc_u32_e32 v4, 28, v3
	v_sub_nc_u32_e32 v107, 29, v3
	v_lshlrev_b64 v[101:102], v4, v[5:6]
	v_and_b32_e32 v101, 7, v101
; %bb.3689:                             ;   in Loop: Header=BB287_2083 Depth=1
	s_or_b32 exec_lo, exec_lo, s29
	v_lshlrev_b32_e32 v3, 8, v5
	v_lshl_add_u32 v4, v107, 10, 0x2000
	v_lshlrev_b32_e32 v5, 7, v101
	v_and_b32_e32 v3, 0x8000, v3
	v_and_b32_e32 v4, 0xfc00, v4
	v_or3_b32 v107, v3, v4, v5
.LBB287_3690:                           ;   in Loop: Header=BB287_2083 Depth=1
	s_or_b32 exec_lo, exec_lo, s28
.LBB287_3691:                           ;   in Loop: Header=BB287_2083 Depth=1
	s_or_b32 exec_lo, exec_lo, s27
.LBB287_3692:                           ;   in Loop: Header=BB287_2083 Depth=1
	s_or_b32 exec_lo, exec_lo, s26
	s_mov_b32 s26, exec_lo
	v_cmpx_lt_u32_e32 0xffffff, v13
	s_cbranch_execz .LBB287_3700
; %bb.3693:                             ;   in Loop: Header=BB287_2083 Depth=1
	v_lshrrev_b32_e32 v5, 24, v13
	v_bfrev_b32_e32 v106, 1
	s_mov_b32 s27, exec_lo
	v_cmpx_ne_u32_e32 0x80, v5
	s_cbranch_execz .LBB287_3699
; %bb.3694:                             ;   in Loop: Header=BB287_2083 Depth=1
	v_and_b32_e32 v108, 0x7f, v5
	v_mov_b32_e32 v106, 0x7c010000
	s_mov_b32 s28, exec_lo
	v_cmpx_ne_u32_e32 0x7f, v108
	s_cbranch_execz .LBB287_3698
; %bb.3695:                             ;   in Loop: Header=BB287_2083 Depth=1
	v_and_b32_e32 v101, 7, v5
	v_lshrrev_b32_e32 v102, 3, v108
	s_mov_b32 s29, exec_lo
	v_cmpx_gt_u32_e32 8, v108
; %bb.3696:                             ;   in Loop: Header=BB287_2083 Depth=1
	v_ffbh_u32_e32 v3, v101
	v_min_u32_e32 v3, 32, v3
	v_subrev_nc_u32_e32 v4, 28, v3
	v_lshlrev_b64 v[101:102], v4, v[5:6]
	v_sub_nc_u32_e32 v102, 29, v3
	v_and_b32_e32 v101, 7, v101
; %bb.3697:                             ;   in Loop: Header=BB287_2083 Depth=1
	s_or_b32 exec_lo, exec_lo, s29
	v_lshlrev_b32_e32 v3, 8, v5
	v_lshl_add_u32 v4, v102, 10, 0x2000
	v_and_or_b32 v3, 0x8000, v3, v4
	v_lshlrev_b32_e32 v4, 23, v101
	v_lshl_or_b32 v106, v3, 16, v4
.LBB287_3698:                           ;   in Loop: Header=BB287_2083 Depth=1
	s_or_b32 exec_lo, exec_lo, s28
.LBB287_3699:                           ;   in Loop: Header=BB287_2083 Depth=1
	s_or_b32 exec_lo, exec_lo, s27
.LBB287_3700:                           ;   in Loop: Header=BB287_2083 Depth=1
	s_or_b32 exec_lo, exec_lo, s26
	v_mov_b32_e32 v5, v14
	v_cmp_ne_u16_sdwa s12, v14, v6 src0_sel:BYTE_0 src1_sel:DWORD
	v_mov_b32_e32 v108, 0
	v_mov_b32_e32 v109, 0
	s_and_saveexec_b32 s26, s12
	s_cbranch_execz .LBB287_3708
; %bb.3701:                             ;   in Loop: Header=BB287_2083 Depth=1
	v_cmp_ne_u16_sdwa s12, v14, v48 src0_sel:BYTE_0 src1_sel:DWORD
	v_mov_b32_e32 v109, 0x8000
	s_and_saveexec_b32 s27, s12
	s_cbranch_execz .LBB287_3707
; %bb.3702:                             ;   in Loop: Header=BB287_2083 Depth=1
	v_and_b32_e32 v102, 0x7f, v14
	v_mov_b32_e32 v109, 0x7c01
	s_mov_b32 s28, exec_lo
	v_cmpx_ne_u32_e32 0x7f, v102
	s_cbranch_execz .LBB287_3706
; %bb.3703:                             ;   in Loop: Header=BB287_2083 Depth=1
	v_and_b32_e32 v101, 7, v14
	v_lshrrev_b32_e32 v109, 3, v102
	s_mov_b32 s29, exec_lo
	v_cmpx_gt_u32_e32 8, v102
; %bb.3704:                             ;   in Loop: Header=BB287_2083 Depth=1
	v_ffbh_u32_e32 v3, v101
	v_min_u32_e32 v3, 32, v3
	v_subrev_nc_u32_e32 v4, 28, v3
	v_sub_nc_u32_e32 v109, 29, v3
	v_lshlrev_b64 v[101:102], v4, v[5:6]
	v_and_b32_e32 v101, 7, v101
; %bb.3705:                             ;   in Loop: Header=BB287_2083 Depth=1
	s_or_b32 exec_lo, exec_lo, s29
	v_lshlrev_b32_e32 v3, 8, v14
	v_lshl_add_u32 v4, v109, 10, 0x2000
	v_lshlrev_b32_e32 v101, 7, v101
	v_and_b32_e32 v3, 0x8000, v3
	v_and_b32_e32 v4, 0xfc00, v4
	v_or3_b32 v109, v3, v4, v101
.LBB287_3706:                           ;   in Loop: Header=BB287_2083 Depth=1
	s_or_b32 exec_lo, exec_lo, s28
.LBB287_3707:                           ;   in Loop: Header=BB287_2083 Depth=1
	s_or_b32 exec_lo, exec_lo, s27
.LBB287_3708:                           ;   in Loop: Header=BB287_2083 Depth=1
	s_or_b32 exec_lo, exec_lo, s26
	v_lshrrev_b16 v5, 8, v5
	v_mov_b32_e32 v110, 0
	s_mov_b32 s26, exec_lo
	v_cmpx_ne_u16_e32 0, v5
	s_cbranch_execz .LBB287_3716
; %bb.3709:                             ;   in Loop: Header=BB287_2083 Depth=1
	v_bfrev_b32_e32 v110, 1
	s_mov_b32 s27, exec_lo
	v_cmpx_ne_u16_e32 0x80, v5
	s_cbranch_execz .LBB287_3715
; %bb.3710:                             ;   in Loop: Header=BB287_2083 Depth=1
	v_and_b32_sdwa v111, v5, v49 dst_sel:DWORD dst_unused:UNUSED_PAD src0_sel:WORD_0 src1_sel:DWORD
	v_mov_b32_e32 v110, 0x7c010000
	s_mov_b32 s28, exec_lo
	v_cmpx_ne_u32_e32 0x7f, v111
	s_cbranch_execz .LBB287_3714
; %bb.3711:                             ;   in Loop: Header=BB287_2083 Depth=1
	v_and_b32_sdwa v101, v5, v50 dst_sel:DWORD dst_unused:UNUSED_PAD src0_sel:WORD_0 src1_sel:DWORD
	v_lshrrev_b32_e32 v102, 3, v111
	s_mov_b32 s29, exec_lo
	v_cmpx_gt_u32_e32 8, v111
; %bb.3712:                             ;   in Loop: Header=BB287_2083 Depth=1
	v_ffbh_u32_e32 v3, v101
	v_min_u32_e32 v3, 32, v3
	v_subrev_nc_u32_e32 v4, 28, v3
	v_lshlrev_b64 v[101:102], v4, v[5:6]
	v_sub_nc_u32_e32 v102, 29, v3
	v_and_b32_e32 v101, 7, v101
; %bb.3713:                             ;   in Loop: Header=BB287_2083 Depth=1
	s_or_b32 exec_lo, exec_lo, s29
	v_lshlrev_b32_sdwa v3, v100, v5 dst_sel:DWORD dst_unused:UNUSED_PAD src0_sel:DWORD src1_sel:WORD_0
	v_lshl_add_u32 v4, v102, 10, 0x2000
	v_and_or_b32 v3, 0x8000, v3, v4
	v_lshlrev_b32_e32 v4, 23, v101
	v_lshl_or_b32 v110, v3, 16, v4
.LBB287_3714:                           ;   in Loop: Header=BB287_2083 Depth=1
	s_or_b32 exec_lo, exec_lo, s28
.LBB287_3715:                           ;   in Loop: Header=BB287_2083 Depth=1
	s_or_b32 exec_lo, exec_lo, s27
.LBB287_3716:                           ;   in Loop: Header=BB287_2083 Depth=1
	s_or_b32 exec_lo, exec_lo, s26
	v_lshrrev_b32_e32 v5, 16, v14
	v_cmp_ne_u16_sdwa s12, v5, v6 src0_sel:BYTE_0 src1_sel:DWORD
	s_and_saveexec_b32 s26, s12
	s_cbranch_execz .LBB287_3724
; %bb.3717:                             ;   in Loop: Header=BB287_2083 Depth=1
	v_cmp_ne_u16_sdwa s12, v5, v48 src0_sel:BYTE_0 src1_sel:DWORD
	v_mov_b32_e32 v108, 0x8000
	s_and_saveexec_b32 s27, s12
	s_cbranch_execz .LBB287_3723
; %bb.3718:                             ;   in Loop: Header=BB287_2083 Depth=1
	v_bfe_u32 v102, v14, 16, 7
	v_mov_b32_e32 v108, 0x7c01
	s_mov_b32 s28, exec_lo
	v_cmpx_ne_u32_e32 0x7f, v102
	s_cbranch_execz .LBB287_3722
; %bb.3719:                             ;   in Loop: Header=BB287_2083 Depth=1
	v_and_b32_e32 v101, 7, v5
	v_lshrrev_b32_e32 v108, 3, v102
	s_mov_b32 s29, exec_lo
	v_cmpx_gt_u32_e32 8, v102
; %bb.3720:                             ;   in Loop: Header=BB287_2083 Depth=1
	v_ffbh_u32_e32 v3, v101
	v_min_u32_e32 v3, 32, v3
	v_subrev_nc_u32_e32 v4, 28, v3
	v_sub_nc_u32_e32 v108, 29, v3
	v_lshlrev_b64 v[101:102], v4, v[5:6]
	v_and_b32_e32 v101, 7, v101
; %bb.3721:                             ;   in Loop: Header=BB287_2083 Depth=1
	s_or_b32 exec_lo, exec_lo, s29
	v_lshlrev_b32_e32 v3, 8, v5
	v_lshl_add_u32 v4, v108, 10, 0x2000
	v_lshlrev_b32_e32 v5, 7, v101
	v_and_b32_e32 v3, 0x8000, v3
	v_and_b32_e32 v4, 0xfc00, v4
	v_or3_b32 v108, v3, v4, v5
.LBB287_3722:                           ;   in Loop: Header=BB287_2083 Depth=1
	s_or_b32 exec_lo, exec_lo, s28
.LBB287_3723:                           ;   in Loop: Header=BB287_2083 Depth=1
	s_or_b32 exec_lo, exec_lo, s27
.LBB287_3724:                           ;   in Loop: Header=BB287_2083 Depth=1
	s_or_b32 exec_lo, exec_lo, s26
	v_cmp_lt_u64_e64 s12, s[22:23], v[13:14]
	v_mov_b32_e32 v13, 0
	s_and_saveexec_b32 s26, s12
	s_cbranch_execz .LBB287_3732
; %bb.3725:                             ;   in Loop: Header=BB287_2083 Depth=1
	v_lshrrev_b32_e32 v5, 24, v14
	v_bfrev_b32_e32 v13, 1
	s_mov_b32 s27, exec_lo
	v_cmpx_ne_u32_e32 0x80, v5
	s_cbranch_execz .LBB287_3731
; %bb.3726:                             ;   in Loop: Header=BB287_2083 Depth=1
	v_and_b32_e32 v101, 0x7f, v5
	v_mov_b32_e32 v13, 0x7c010000
	s_mov_b32 s28, exec_lo
	v_cmpx_ne_u32_e32 0x7f, v101
	s_cbranch_execz .LBB287_3730
; %bb.3727:                             ;   in Loop: Header=BB287_2083 Depth=1
	v_and_b32_e32 v13, 7, v5
	v_lshrrev_b32_e32 v14, 3, v101
	s_mov_b32 s29, exec_lo
	v_cmpx_gt_u32_e32 8, v101
; %bb.3728:                             ;   in Loop: Header=BB287_2083 Depth=1
	v_ffbh_u32_e32 v3, v13
	v_min_u32_e32 v3, 32, v3
	v_subrev_nc_u32_e32 v4, 28, v3
	v_lshlrev_b64 v[13:14], v4, v[5:6]
	v_sub_nc_u32_e32 v14, 29, v3
	v_and_b32_e32 v13, 7, v13
; %bb.3729:                             ;   in Loop: Header=BB287_2083 Depth=1
	s_or_b32 exec_lo, exec_lo, s29
	v_lshlrev_b32_e32 v3, 8, v5
	v_lshl_add_u32 v4, v14, 10, 0x2000
	v_and_or_b32 v3, 0x8000, v3, v4
	v_lshlrev_b32_e32 v4, 23, v13
	v_lshl_or_b32 v13, v3, 16, v4
.LBB287_3730:                           ;   in Loop: Header=BB287_2083 Depth=1
	s_or_b32 exec_lo, exec_lo, s28
.LBB287_3731:                           ;   in Loop: Header=BB287_2083 Depth=1
	s_or_b32 exec_lo, exec_lo, s27
.LBB287_3732:                           ;   in Loop: Header=BB287_2083 Depth=1
	s_or_b32 exec_lo, exec_lo, s26
	v_or_b32_e32 v3, v106, v107
	s_waitcnt vmcnt(0) lgkmcnt(0)
	v_fma_mixlo_f16 v4, v66, v106, 0 op_sel:[0,1,0] op_sel_hi:[0,1,0]
	v_or_b32_e32 v14, v59, v105
	v_or_b32_e32 v102, v110, v109
	;; [unrolled: 1-line block ×3, first 2 shown]
	v_fma_mixlo_f16 v3, v66, v3, 0 op_sel_hi:[0,1,0]
	v_fma_mixlo_f16 v101, v66, v59, 0 op_sel:[0,1,0] op_sel_hi:[0,1,0]
	v_lshlrev_b32_e32 v5, 16, v4
	v_fma_mixlo_f16 v4, v66, v14, 0 op_sel_hi:[0,1,0]
	v_fma_mixlo_f16 v59, v66, v102, 0 op_sel_hi:[0,1,0]
	v_and_b32_e32 v14, 0xffff, v3
	v_fma_mixlo_f16 v3, v66, v110, 0 op_sel:[0,1,0] op_sel_hi:[0,1,0]
	v_fma_mixlo_f16 v13, v66, v13, 0 op_sel:[0,1,0] op_sel_hi:[0,1,0]
	v_fma_mixlo_f16 v66, v66, v103, 0 op_sel_hi:[0,1,0]
	v_lshlrev_b32_e32 v101, 16, v101
	v_and_b32_e32 v102, 0xffff, v4
	v_lshlrev_b32_e32 v107, 16, v3
	v_and_b32_e32 v109, 0xffff, v59
	;; [unrolled: 2-line block ×3, first 2 shown]
	v_or_b32_e32 v13, v5, v14
	v_or_b32_e32 v105, v101, v102
	;; [unrolled: 1-line block ×4, first 2 shown]
	s_and_saveexec_b32 s12, s4
	s_cbranch_execz .LBB287_3734
; %bb.3733:                             ;   in Loop: Header=BB287_2083 Depth=1
	v_cndmask_b32_e32 v3, 0, v102, vcc_lo
	v_cndmask_b32_e64 v4, 0, v101, s7
	v_cndmask_b32_e64 v13, 0, v14, s5
	;; [unrolled: 1-line block ×7, first 2 shown]
	v_or_b32_e32 v105, v3, v4
	v_or_b32_e32 v13, v13, v5
	;; [unrolled: 1-line block ×4, first 2 shown]
.LBB287_3734:                           ;   in Loop: Header=BB287_2083 Depth=1
	s_or_b32 exec_lo, exec_lo, s12
	;;#ASMSTART
	v_pk_mul_f16 v3, v40, v105;

	;;#ASMEND
	;;#ASMSTART
	v_pk_mul_f16 v4, v119, v13;

	;;#ASMEND
	;; [unrolled: 4-line block ×4, first 2 shown]
	;;#ASMSTART
	v_pk_add_f16 v3, v3, v4;

	;;#ASMEND
	;;#ASMSTART
	v_pk_add_f16 v3, v3, v5;

	;;#ASMEND
	;; [unrolled: 4-line block ×3, first 2 shown]
	v_and_b32_e32 v4, 0xffff, v3
	v_lshrrev_b32_e32 v3, 16, v3
	;;#ASMSTART
	v_cvt_f32_f16 v105, v4;
	;;#ASMEND
	;;#ASMSTART
	v_cvt_f32_f16 v106, v3;
	;;#ASMEND
	flat_load_dwordx2 v[13:14], v[11:12] offset:256
	flat_load_dword v66, v[22:23]
	v_mov_b32_e32 v59, 0
	v_mov_b32_e32 v107, 0
	s_waitcnt vmcnt(1) lgkmcnt(1)
	v_cmp_ne_u16_sdwa s12, v13, v6 src0_sel:BYTE_0 src1_sel:DWORD
	s_and_saveexec_b32 s26, s12
	s_cbranch_execz .LBB287_3742
; %bb.3735:                             ;   in Loop: Header=BB287_2083 Depth=1
	v_cmp_ne_u16_sdwa s12, v13, v48 src0_sel:BYTE_0 src1_sel:DWORD
	v_mov_b32_e32 v107, 0x8000
	s_and_saveexec_b32 s27, s12
	s_cbranch_execz .LBB287_3741
; %bb.3736:                             ;   in Loop: Header=BB287_2083 Depth=1
	v_and_b32_e32 v102, 0x7f, v13
	v_mov_b32_e32 v107, 0x7c01
	s_mov_b32 s28, exec_lo
	v_cmpx_ne_u32_e32 0x7f, v102
	s_cbranch_execz .LBB287_3740
; %bb.3737:                             ;   in Loop: Header=BB287_2083 Depth=1
	v_and_b32_e32 v5, 7, v13
	v_lshrrev_b32_e32 v101, 3, v102
	s_mov_b32 s29, exec_lo
	v_cmpx_gt_u32_e32 8, v102
; %bb.3738:                             ;   in Loop: Header=BB287_2083 Depth=1
	v_ffbh_u32_e32 v3, v5
	v_min_u32_e32 v3, 32, v3
	v_subrev_nc_u32_e32 v4, 28, v3
	v_sub_nc_u32_e32 v101, 29, v3
	v_lshlrev_b64 v[102:103], v4, v[13:14]
	v_and_b32_e32 v5, 7, v102
; %bb.3739:                             ;   in Loop: Header=BB287_2083 Depth=1
	s_or_b32 exec_lo, exec_lo, s29
	v_lshlrev_b32_e32 v3, 8, v13
	v_lshl_add_u32 v4, v101, 10, 0x2000
	v_lshlrev_b32_e32 v5, 7, v5
	v_and_b32_e32 v3, 0x8000, v3
	v_and_b32_e32 v4, 0xfc00, v4
	v_or3_b32 v107, v3, v4, v5
.LBB287_3740:                           ;   in Loop: Header=BB287_2083 Depth=1
	s_or_b32 exec_lo, exec_lo, s28
.LBB287_3741:                           ;   in Loop: Header=BB287_2083 Depth=1
	s_or_b32 exec_lo, exec_lo, s27
.LBB287_3742:                           ;   in Loop: Header=BB287_2083 Depth=1
	s_or_b32 exec_lo, exec_lo, s26
	v_lshrrev_b16 v5, 8, v13
	s_mov_b32 s26, exec_lo
	v_cmpx_ne_u16_e32 0, v5
	s_cbranch_execz .LBB287_3750
; %bb.3743:                             ;   in Loop: Header=BB287_2083 Depth=1
	v_bfrev_b32_e32 v59, 1
	s_mov_b32 s27, exec_lo
	v_cmpx_ne_u16_e32 0x80, v5
	s_cbranch_execz .LBB287_3749
; %bb.3744:                             ;   in Loop: Header=BB287_2083 Depth=1
	v_and_b32_sdwa v108, v5, v49 dst_sel:DWORD dst_unused:UNUSED_PAD src0_sel:WORD_0 src1_sel:DWORD
	v_mov_b32_e32 v59, 0x7c010000
	s_mov_b32 s28, exec_lo
	v_cmpx_ne_u32_e32 0x7f, v108
	s_cbranch_execz .LBB287_3748
; %bb.3745:                             ;   in Loop: Header=BB287_2083 Depth=1
	v_and_b32_sdwa v101, v5, v50 dst_sel:DWORD dst_unused:UNUSED_PAD src0_sel:WORD_0 src1_sel:DWORD
	v_lshrrev_b32_e32 v102, 3, v108
	s_mov_b32 s29, exec_lo
	v_cmpx_gt_u32_e32 8, v108
; %bb.3746:                             ;   in Loop: Header=BB287_2083 Depth=1
	v_ffbh_u32_e32 v3, v101
	v_min_u32_e32 v3, 32, v3
	v_subrev_nc_u32_e32 v4, 28, v3
	v_lshlrev_b64 v[101:102], v4, v[5:6]
	v_sub_nc_u32_e32 v102, 29, v3
	v_and_b32_e32 v101, 7, v101
; %bb.3747:                             ;   in Loop: Header=BB287_2083 Depth=1
	s_or_b32 exec_lo, exec_lo, s29
	v_lshlrev_b32_sdwa v3, v100, v5 dst_sel:DWORD dst_unused:UNUSED_PAD src0_sel:DWORD src1_sel:WORD_0
	v_lshl_add_u32 v4, v102, 10, 0x2000
	v_and_or_b32 v3, 0x8000, v3, v4
	v_lshlrev_b32_e32 v4, 23, v101
	v_lshl_or_b32 v59, v3, 16, v4
.LBB287_3748:                           ;   in Loop: Header=BB287_2083 Depth=1
	s_or_b32 exec_lo, exec_lo, s28
.LBB287_3749:                           ;   in Loop: Header=BB287_2083 Depth=1
	s_or_b32 exec_lo, exec_lo, s27
.LBB287_3750:                           ;   in Loop: Header=BB287_2083 Depth=1
	s_or_b32 exec_lo, exec_lo, s26
	v_lshrrev_b32_e32 v5, 16, v13
	v_mov_b32_e32 v108, 0
	v_mov_b32_e32 v109, 0
	v_cmp_ne_u16_sdwa s12, v5, v6 src0_sel:BYTE_0 src1_sel:DWORD
	s_and_saveexec_b32 s26, s12
	s_cbranch_execz .LBB287_3758
; %bb.3751:                             ;   in Loop: Header=BB287_2083 Depth=1
	v_cmp_ne_u16_sdwa s12, v5, v48 src0_sel:BYTE_0 src1_sel:DWORD
	v_mov_b32_e32 v109, 0x8000
	s_and_saveexec_b32 s27, s12
	s_cbranch_execz .LBB287_3757
; %bb.3752:                             ;   in Loop: Header=BB287_2083 Depth=1
	v_bfe_u32 v102, v13, 16, 7
	v_mov_b32_e32 v109, 0x7c01
	s_mov_b32 s28, exec_lo
	v_cmpx_ne_u32_e32 0x7f, v102
	s_cbranch_execz .LBB287_3756
; %bb.3753:                             ;   in Loop: Header=BB287_2083 Depth=1
	v_and_b32_e32 v101, 7, v5
	v_lshrrev_b32_e32 v109, 3, v102
	s_mov_b32 s29, exec_lo
	v_cmpx_gt_u32_e32 8, v102
; %bb.3754:                             ;   in Loop: Header=BB287_2083 Depth=1
	v_ffbh_u32_e32 v3, v101
	v_min_u32_e32 v3, 32, v3
	v_subrev_nc_u32_e32 v4, 28, v3
	v_sub_nc_u32_e32 v109, 29, v3
	v_lshlrev_b64 v[101:102], v4, v[5:6]
	v_and_b32_e32 v101, 7, v101
; %bb.3755:                             ;   in Loop: Header=BB287_2083 Depth=1
	s_or_b32 exec_lo, exec_lo, s29
	v_lshlrev_b32_e32 v3, 8, v5
	v_lshl_add_u32 v4, v109, 10, 0x2000
	v_lshlrev_b32_e32 v5, 7, v101
	v_and_b32_e32 v3, 0x8000, v3
	v_and_b32_e32 v4, 0xfc00, v4
	v_or3_b32 v109, v3, v4, v5
.LBB287_3756:                           ;   in Loop: Header=BB287_2083 Depth=1
	s_or_b32 exec_lo, exec_lo, s28
.LBB287_3757:                           ;   in Loop: Header=BB287_2083 Depth=1
	s_or_b32 exec_lo, exec_lo, s27
.LBB287_3758:                           ;   in Loop: Header=BB287_2083 Depth=1
	s_or_b32 exec_lo, exec_lo, s26
	s_mov_b32 s26, exec_lo
	v_cmpx_lt_u32_e32 0xffffff, v13
	s_cbranch_execz .LBB287_3766
; %bb.3759:                             ;   in Loop: Header=BB287_2083 Depth=1
	v_lshrrev_b32_e32 v5, 24, v13
	v_bfrev_b32_e32 v108, 1
	s_mov_b32 s27, exec_lo
	v_cmpx_ne_u32_e32 0x80, v5
	s_cbranch_execz .LBB287_3765
; %bb.3760:                             ;   in Loop: Header=BB287_2083 Depth=1
	v_and_b32_e32 v110, 0x7f, v5
	v_mov_b32_e32 v108, 0x7c010000
	s_mov_b32 s28, exec_lo
	v_cmpx_ne_u32_e32 0x7f, v110
	s_cbranch_execz .LBB287_3764
; %bb.3761:                             ;   in Loop: Header=BB287_2083 Depth=1
	v_and_b32_e32 v101, 7, v5
	v_lshrrev_b32_e32 v102, 3, v110
	s_mov_b32 s29, exec_lo
	v_cmpx_gt_u32_e32 8, v110
; %bb.3762:                             ;   in Loop: Header=BB287_2083 Depth=1
	v_ffbh_u32_e32 v3, v101
	v_min_u32_e32 v3, 32, v3
	v_subrev_nc_u32_e32 v4, 28, v3
	v_lshlrev_b64 v[101:102], v4, v[5:6]
	v_sub_nc_u32_e32 v102, 29, v3
	v_and_b32_e32 v101, 7, v101
; %bb.3763:                             ;   in Loop: Header=BB287_2083 Depth=1
	s_or_b32 exec_lo, exec_lo, s29
	v_lshlrev_b32_e32 v3, 8, v5
	v_lshl_add_u32 v4, v102, 10, 0x2000
	v_and_or_b32 v3, 0x8000, v3, v4
	v_lshlrev_b32_e32 v4, 23, v101
	v_lshl_or_b32 v108, v3, 16, v4
.LBB287_3764:                           ;   in Loop: Header=BB287_2083 Depth=1
	s_or_b32 exec_lo, exec_lo, s28
.LBB287_3765:                           ;   in Loop: Header=BB287_2083 Depth=1
	s_or_b32 exec_lo, exec_lo, s27
.LBB287_3766:                           ;   in Loop: Header=BB287_2083 Depth=1
	s_or_b32 exec_lo, exec_lo, s26
	v_mov_b32_e32 v5, v14
	v_cmp_ne_u16_sdwa s12, v14, v6 src0_sel:BYTE_0 src1_sel:DWORD
	v_mov_b32_e32 v110, 0
	v_mov_b32_e32 v111, 0
	s_and_saveexec_b32 s26, s12
	s_cbranch_execz .LBB287_3774
; %bb.3767:                             ;   in Loop: Header=BB287_2083 Depth=1
	v_cmp_ne_u16_sdwa s12, v14, v48 src0_sel:BYTE_0 src1_sel:DWORD
	v_mov_b32_e32 v111, 0x8000
	s_and_saveexec_b32 s27, s12
	s_cbranch_execz .LBB287_3773
; %bb.3768:                             ;   in Loop: Header=BB287_2083 Depth=1
	v_and_b32_e32 v102, 0x7f, v14
	v_mov_b32_e32 v111, 0x7c01
	s_mov_b32 s28, exec_lo
	v_cmpx_ne_u32_e32 0x7f, v102
	s_cbranch_execz .LBB287_3772
; %bb.3769:                             ;   in Loop: Header=BB287_2083 Depth=1
	v_and_b32_e32 v101, 7, v14
	v_lshrrev_b32_e32 v111, 3, v102
	s_mov_b32 s29, exec_lo
	v_cmpx_gt_u32_e32 8, v102
; %bb.3770:                             ;   in Loop: Header=BB287_2083 Depth=1
	v_ffbh_u32_e32 v3, v101
	v_min_u32_e32 v3, 32, v3
	v_subrev_nc_u32_e32 v4, 28, v3
	v_sub_nc_u32_e32 v111, 29, v3
	v_lshlrev_b64 v[101:102], v4, v[5:6]
	v_and_b32_e32 v101, 7, v101
; %bb.3771:                             ;   in Loop: Header=BB287_2083 Depth=1
	s_or_b32 exec_lo, exec_lo, s29
	v_lshlrev_b32_e32 v3, 8, v14
	v_lshl_add_u32 v4, v111, 10, 0x2000
	v_lshlrev_b32_e32 v101, 7, v101
	v_and_b32_e32 v3, 0x8000, v3
	v_and_b32_e32 v4, 0xfc00, v4
	v_or3_b32 v111, v3, v4, v101
.LBB287_3772:                           ;   in Loop: Header=BB287_2083 Depth=1
	s_or_b32 exec_lo, exec_lo, s28
.LBB287_3773:                           ;   in Loop: Header=BB287_2083 Depth=1
	s_or_b32 exec_lo, exec_lo, s27
.LBB287_3774:                           ;   in Loop: Header=BB287_2083 Depth=1
	s_or_b32 exec_lo, exec_lo, s26
	v_lshrrev_b16 v5, 8, v5
	v_mov_b32_e32 v120, 0
	s_mov_b32 s26, exec_lo
	v_cmpx_ne_u16_e32 0, v5
	s_cbranch_execz .LBB287_3782
; %bb.3775:                             ;   in Loop: Header=BB287_2083 Depth=1
	v_bfrev_b32_e32 v120, 1
	s_mov_b32 s27, exec_lo
	v_cmpx_ne_u16_e32 0x80, v5
	s_cbranch_execz .LBB287_3781
; %bb.3776:                             ;   in Loop: Header=BB287_2083 Depth=1
	v_and_b32_sdwa v121, v5, v49 dst_sel:DWORD dst_unused:UNUSED_PAD src0_sel:WORD_0 src1_sel:DWORD
	v_mov_b32_e32 v120, 0x7c010000
	s_mov_b32 s28, exec_lo
	v_cmpx_ne_u32_e32 0x7f, v121
	s_cbranch_execz .LBB287_3780
; %bb.3777:                             ;   in Loop: Header=BB287_2083 Depth=1
	v_and_b32_sdwa v101, v5, v50 dst_sel:DWORD dst_unused:UNUSED_PAD src0_sel:WORD_0 src1_sel:DWORD
	v_lshrrev_b32_e32 v102, 3, v121
	s_mov_b32 s29, exec_lo
	v_cmpx_gt_u32_e32 8, v121
; %bb.3778:                             ;   in Loop: Header=BB287_2083 Depth=1
	v_ffbh_u32_e32 v3, v101
	v_min_u32_e32 v3, 32, v3
	v_subrev_nc_u32_e32 v4, 28, v3
	v_lshlrev_b64 v[101:102], v4, v[5:6]
	v_sub_nc_u32_e32 v102, 29, v3
	v_and_b32_e32 v101, 7, v101
; %bb.3779:                             ;   in Loop: Header=BB287_2083 Depth=1
	s_or_b32 exec_lo, exec_lo, s29
	v_lshlrev_b32_sdwa v3, v100, v5 dst_sel:DWORD dst_unused:UNUSED_PAD src0_sel:DWORD src1_sel:WORD_0
	v_lshl_add_u32 v4, v102, 10, 0x2000
	v_and_or_b32 v3, 0x8000, v3, v4
	v_lshlrev_b32_e32 v4, 23, v101
	v_lshl_or_b32 v120, v3, 16, v4
.LBB287_3780:                           ;   in Loop: Header=BB287_2083 Depth=1
	s_or_b32 exec_lo, exec_lo, s28
.LBB287_3781:                           ;   in Loop: Header=BB287_2083 Depth=1
	s_or_b32 exec_lo, exec_lo, s27
.LBB287_3782:                           ;   in Loop: Header=BB287_2083 Depth=1
	s_or_b32 exec_lo, exec_lo, s26
	v_lshrrev_b32_e32 v5, 16, v14
	v_cmp_ne_u16_sdwa s12, v5, v6 src0_sel:BYTE_0 src1_sel:DWORD
	s_and_saveexec_b32 s26, s12
	s_cbranch_execz .LBB287_3790
; %bb.3783:                             ;   in Loop: Header=BB287_2083 Depth=1
	v_cmp_ne_u16_sdwa s12, v5, v48 src0_sel:BYTE_0 src1_sel:DWORD
	v_mov_b32_e32 v110, 0x8000
	s_and_saveexec_b32 s27, s12
	s_cbranch_execz .LBB287_3789
; %bb.3784:                             ;   in Loop: Header=BB287_2083 Depth=1
	v_bfe_u32 v102, v14, 16, 7
	v_mov_b32_e32 v110, 0x7c01
	s_mov_b32 s28, exec_lo
	v_cmpx_ne_u32_e32 0x7f, v102
	s_cbranch_execz .LBB287_3788
; %bb.3785:                             ;   in Loop: Header=BB287_2083 Depth=1
	v_and_b32_e32 v101, 7, v5
	v_lshrrev_b32_e32 v110, 3, v102
	s_mov_b32 s29, exec_lo
	v_cmpx_gt_u32_e32 8, v102
; %bb.3786:                             ;   in Loop: Header=BB287_2083 Depth=1
	v_ffbh_u32_e32 v3, v101
	v_min_u32_e32 v3, 32, v3
	v_subrev_nc_u32_e32 v4, 28, v3
	v_sub_nc_u32_e32 v110, 29, v3
	v_lshlrev_b64 v[101:102], v4, v[5:6]
	v_and_b32_e32 v101, 7, v101
; %bb.3787:                             ;   in Loop: Header=BB287_2083 Depth=1
	s_or_b32 exec_lo, exec_lo, s29
	v_lshlrev_b32_e32 v3, 8, v5
	v_lshl_add_u32 v4, v110, 10, 0x2000
	v_lshlrev_b32_e32 v5, 7, v101
	v_and_b32_e32 v3, 0x8000, v3
	v_and_b32_e32 v4, 0xfc00, v4
	v_or3_b32 v110, v3, v4, v5
.LBB287_3788:                           ;   in Loop: Header=BB287_2083 Depth=1
	s_or_b32 exec_lo, exec_lo, s28
.LBB287_3789:                           ;   in Loop: Header=BB287_2083 Depth=1
	s_or_b32 exec_lo, exec_lo, s27
.LBB287_3790:                           ;   in Loop: Header=BB287_2083 Depth=1
	s_or_b32 exec_lo, exec_lo, s26
	v_cmp_lt_u64_e64 s12, s[22:23], v[13:14]
	v_mov_b32_e32 v13, 0
	s_and_saveexec_b32 s26, s12
	s_cbranch_execz .LBB287_3798
; %bb.3791:                             ;   in Loop: Header=BB287_2083 Depth=1
	v_lshrrev_b32_e32 v5, 24, v14
	v_bfrev_b32_e32 v13, 1
	s_mov_b32 s27, exec_lo
	v_cmpx_ne_u32_e32 0x80, v5
	s_cbranch_execz .LBB287_3797
; %bb.3792:                             ;   in Loop: Header=BB287_2083 Depth=1
	v_and_b32_e32 v101, 0x7f, v5
	v_mov_b32_e32 v13, 0x7c010000
	s_mov_b32 s28, exec_lo
	v_cmpx_ne_u32_e32 0x7f, v101
	s_cbranch_execz .LBB287_3796
; %bb.3793:                             ;   in Loop: Header=BB287_2083 Depth=1
	v_and_b32_e32 v13, 7, v5
	v_lshrrev_b32_e32 v14, 3, v101
	s_mov_b32 s29, exec_lo
	v_cmpx_gt_u32_e32 8, v101
; %bb.3794:                             ;   in Loop: Header=BB287_2083 Depth=1
	v_ffbh_u32_e32 v3, v13
	v_min_u32_e32 v3, 32, v3
	v_subrev_nc_u32_e32 v4, 28, v3
	v_lshlrev_b64 v[13:14], v4, v[5:6]
	v_sub_nc_u32_e32 v14, 29, v3
	v_and_b32_e32 v13, 7, v13
; %bb.3795:                             ;   in Loop: Header=BB287_2083 Depth=1
	s_or_b32 exec_lo, exec_lo, s29
	v_lshlrev_b32_e32 v3, 8, v5
	v_lshl_add_u32 v4, v14, 10, 0x2000
	v_and_or_b32 v3, 0x8000, v3, v4
	v_lshlrev_b32_e32 v4, 23, v13
	v_lshl_or_b32 v13, v3, 16, v4
.LBB287_3796:                           ;   in Loop: Header=BB287_2083 Depth=1
	s_or_b32 exec_lo, exec_lo, s28
.LBB287_3797:                           ;   in Loop: Header=BB287_2083 Depth=1
	s_or_b32 exec_lo, exec_lo, s27
.LBB287_3798:                           ;   in Loop: Header=BB287_2083 Depth=1
	s_or_b32 exec_lo, exec_lo, s26
	v_or_b32_e32 v3, v108, v109
	s_waitcnt vmcnt(0) lgkmcnt(0)
	v_fma_mixlo_f16 v4, v66, v108, 0 op_sel:[0,1,0] op_sel_hi:[0,1,0]
	v_or_b32_e32 v14, v59, v107
	v_or_b32_e32 v102, v120, v111
	;; [unrolled: 1-line block ×3, first 2 shown]
	v_fma_mixlo_f16 v3, v66, v3, 0 op_sel_hi:[0,1,0]
	v_fma_mixlo_f16 v101, v66, v59, 0 op_sel:[0,1,0] op_sel_hi:[0,1,0]
	v_lshlrev_b32_e32 v5, 16, v4
	v_fma_mixlo_f16 v4, v66, v14, 0 op_sel_hi:[0,1,0]
	v_fma_mixlo_f16 v59, v66, v102, 0 op_sel_hi:[0,1,0]
	v_and_b32_e32 v14, 0xffff, v3
	v_fma_mixlo_f16 v3, v66, v120, 0 op_sel:[0,1,0] op_sel_hi:[0,1,0]
	v_fma_mixlo_f16 v13, v66, v13, 0 op_sel:[0,1,0] op_sel_hi:[0,1,0]
	v_fma_mixlo_f16 v66, v66, v103, 0 op_sel_hi:[0,1,0]
	v_lshlrev_b32_e32 v101, 16, v101
	v_and_b32_e32 v102, 0xffff, v4
	v_lshlrev_b32_e32 v109, 16, v3
	v_and_b32_e32 v111, 0xffff, v59
	v_lshlrev_b32_e32 v108, 16, v13
	v_and_b32_e32 v110, 0xffff, v66
	v_or_b32_e32 v13, v5, v14
	v_or_b32_e32 v107, v101, v102
	;; [unrolled: 1-line block ×4, first 2 shown]
	s_and_saveexec_b32 s12, s4
	s_cbranch_execz .LBB287_3800
; %bb.3799:                             ;   in Loop: Header=BB287_2083 Depth=1
	v_cndmask_b32_e32 v3, 0, v102, vcc_lo
	v_cndmask_b32_e64 v4, 0, v101, s7
	v_cndmask_b32_e64 v13, 0, v14, s5
	v_cndmask_b32_e64 v5, 0, v5, s6
	v_cndmask_b32_e64 v14, 0, v111, s8
	v_cndmask_b32_e64 v66, 0, v109, s9
	v_cndmask_b32_e64 v101, 0, v110, s10
	v_cndmask_b32_e64 v102, 0, v108, s11
	v_or_b32_e32 v107, v3, v4
	v_or_b32_e32 v13, v13, v5
	;; [unrolled: 1-line block ×4, first 2 shown]
.LBB287_3800:                           ;   in Loop: Header=BB287_2083 Depth=1
	s_or_b32 exec_lo, exec_lo, s12
	;;#ASMSTART
	v_pk_mul_f16 v3, v40, v107;

	;;#ASMEND
	;;#ASMSTART
	v_pk_mul_f16 v4, v119, v13;

	;;#ASMEND
	;; [unrolled: 4-line block ×4, first 2 shown]
	;;#ASMSTART
	v_pk_add_f16 v3, v3, v4;

	;;#ASMEND
	;;#ASMSTART
	v_pk_add_f16 v3, v3, v5;

	;;#ASMEND
	;; [unrolled: 4-line block ×3, first 2 shown]
	v_and_b32_e32 v4, 0xffff, v3
	v_lshrrev_b32_e32 v3, 16, v3
	;;#ASMSTART
	v_cvt_f32_f16 v59, v4;
	;;#ASMEND
	;;#ASMSTART
	v_cvt_f32_f16 v107, v3;
	;;#ASMEND
	flat_load_dwordx2 v[13:14], v[11:12] offset:512
	flat_load_dword v66, v[22:23]
	v_mov_b32_e32 v108, 0
	v_mov_b32_e32 v109, 0
	s_waitcnt vmcnt(1) lgkmcnt(1)
	v_cmp_ne_u16_sdwa s12, v13, v6 src0_sel:BYTE_0 src1_sel:DWORD
	s_and_saveexec_b32 s26, s12
	s_cbranch_execz .LBB287_3808
; %bb.3801:                             ;   in Loop: Header=BB287_2083 Depth=1
	v_cmp_ne_u16_sdwa s12, v13, v48 src0_sel:BYTE_0 src1_sel:DWORD
	v_mov_b32_e32 v109, 0x8000
	s_and_saveexec_b32 s27, s12
	s_cbranch_execz .LBB287_3807
; %bb.3802:                             ;   in Loop: Header=BB287_2083 Depth=1
	v_and_b32_e32 v102, 0x7f, v13
	v_mov_b32_e32 v109, 0x7c01
	s_mov_b32 s28, exec_lo
	v_cmpx_ne_u32_e32 0x7f, v102
	s_cbranch_execz .LBB287_3806
; %bb.3803:                             ;   in Loop: Header=BB287_2083 Depth=1
	v_and_b32_e32 v5, 7, v13
	v_lshrrev_b32_e32 v101, 3, v102
	s_mov_b32 s29, exec_lo
	v_cmpx_gt_u32_e32 8, v102
; %bb.3804:                             ;   in Loop: Header=BB287_2083 Depth=1
	v_ffbh_u32_e32 v3, v5
	v_min_u32_e32 v3, 32, v3
	v_subrev_nc_u32_e32 v4, 28, v3
	v_sub_nc_u32_e32 v101, 29, v3
	v_lshlrev_b64 v[102:103], v4, v[13:14]
	v_and_b32_e32 v5, 7, v102
; %bb.3805:                             ;   in Loop: Header=BB287_2083 Depth=1
	s_or_b32 exec_lo, exec_lo, s29
	v_lshlrev_b32_e32 v3, 8, v13
	v_lshl_add_u32 v4, v101, 10, 0x2000
	v_lshlrev_b32_e32 v5, 7, v5
	v_and_b32_e32 v3, 0x8000, v3
	v_and_b32_e32 v4, 0xfc00, v4
	v_or3_b32 v109, v3, v4, v5
.LBB287_3806:                           ;   in Loop: Header=BB287_2083 Depth=1
	s_or_b32 exec_lo, exec_lo, s28
.LBB287_3807:                           ;   in Loop: Header=BB287_2083 Depth=1
	s_or_b32 exec_lo, exec_lo, s27
.LBB287_3808:                           ;   in Loop: Header=BB287_2083 Depth=1
	s_or_b32 exec_lo, exec_lo, s26
	v_lshrrev_b16 v5, 8, v13
	s_mov_b32 s26, exec_lo
	v_cmpx_ne_u16_e32 0, v5
	s_cbranch_execz .LBB287_3816
; %bb.3809:                             ;   in Loop: Header=BB287_2083 Depth=1
	v_bfrev_b32_e32 v108, 1
	s_mov_b32 s27, exec_lo
	v_cmpx_ne_u16_e32 0x80, v5
	s_cbranch_execz .LBB287_3815
; %bb.3810:                             ;   in Loop: Header=BB287_2083 Depth=1
	v_and_b32_sdwa v110, v5, v49 dst_sel:DWORD dst_unused:UNUSED_PAD src0_sel:WORD_0 src1_sel:DWORD
	v_mov_b32_e32 v108, 0x7c010000
	s_mov_b32 s28, exec_lo
	v_cmpx_ne_u32_e32 0x7f, v110
	s_cbranch_execz .LBB287_3814
; %bb.3811:                             ;   in Loop: Header=BB287_2083 Depth=1
	v_and_b32_sdwa v101, v5, v50 dst_sel:DWORD dst_unused:UNUSED_PAD src0_sel:WORD_0 src1_sel:DWORD
	v_lshrrev_b32_e32 v102, 3, v110
	s_mov_b32 s29, exec_lo
	v_cmpx_gt_u32_e32 8, v110
; %bb.3812:                             ;   in Loop: Header=BB287_2083 Depth=1
	v_ffbh_u32_e32 v3, v101
	v_min_u32_e32 v3, 32, v3
	v_subrev_nc_u32_e32 v4, 28, v3
	v_lshlrev_b64 v[101:102], v4, v[5:6]
	v_sub_nc_u32_e32 v102, 29, v3
	v_and_b32_e32 v101, 7, v101
; %bb.3813:                             ;   in Loop: Header=BB287_2083 Depth=1
	s_or_b32 exec_lo, exec_lo, s29
	v_lshlrev_b32_sdwa v3, v100, v5 dst_sel:DWORD dst_unused:UNUSED_PAD src0_sel:DWORD src1_sel:WORD_0
	v_lshl_add_u32 v4, v102, 10, 0x2000
	v_and_or_b32 v3, 0x8000, v3, v4
	v_lshlrev_b32_e32 v4, 23, v101
	v_lshl_or_b32 v108, v3, 16, v4
.LBB287_3814:                           ;   in Loop: Header=BB287_2083 Depth=1
	s_or_b32 exec_lo, exec_lo, s28
.LBB287_3815:                           ;   in Loop: Header=BB287_2083 Depth=1
	s_or_b32 exec_lo, exec_lo, s27
.LBB287_3816:                           ;   in Loop: Header=BB287_2083 Depth=1
	s_or_b32 exec_lo, exec_lo, s26
	v_lshrrev_b32_e32 v5, 16, v13
	v_mov_b32_e32 v110, 0
	v_mov_b32_e32 v111, 0
	v_cmp_ne_u16_sdwa s12, v5, v6 src0_sel:BYTE_0 src1_sel:DWORD
	s_and_saveexec_b32 s26, s12
	s_cbranch_execz .LBB287_3824
; %bb.3817:                             ;   in Loop: Header=BB287_2083 Depth=1
	v_cmp_ne_u16_sdwa s12, v5, v48 src0_sel:BYTE_0 src1_sel:DWORD
	v_mov_b32_e32 v111, 0x8000
	s_and_saveexec_b32 s27, s12
	s_cbranch_execz .LBB287_3823
; %bb.3818:                             ;   in Loop: Header=BB287_2083 Depth=1
	v_bfe_u32 v102, v13, 16, 7
	v_mov_b32_e32 v111, 0x7c01
	s_mov_b32 s28, exec_lo
	v_cmpx_ne_u32_e32 0x7f, v102
	s_cbranch_execz .LBB287_3822
; %bb.3819:                             ;   in Loop: Header=BB287_2083 Depth=1
	v_and_b32_e32 v101, 7, v5
	v_lshrrev_b32_e32 v111, 3, v102
	s_mov_b32 s29, exec_lo
	v_cmpx_gt_u32_e32 8, v102
; %bb.3820:                             ;   in Loop: Header=BB287_2083 Depth=1
	v_ffbh_u32_e32 v3, v101
	v_min_u32_e32 v3, 32, v3
	v_subrev_nc_u32_e32 v4, 28, v3
	v_sub_nc_u32_e32 v111, 29, v3
	v_lshlrev_b64 v[101:102], v4, v[5:6]
	v_and_b32_e32 v101, 7, v101
; %bb.3821:                             ;   in Loop: Header=BB287_2083 Depth=1
	s_or_b32 exec_lo, exec_lo, s29
	v_lshlrev_b32_e32 v3, 8, v5
	v_lshl_add_u32 v4, v111, 10, 0x2000
	v_lshlrev_b32_e32 v5, 7, v101
	v_and_b32_e32 v3, 0x8000, v3
	v_and_b32_e32 v4, 0xfc00, v4
	v_or3_b32 v111, v3, v4, v5
.LBB287_3822:                           ;   in Loop: Header=BB287_2083 Depth=1
	s_or_b32 exec_lo, exec_lo, s28
.LBB287_3823:                           ;   in Loop: Header=BB287_2083 Depth=1
	s_or_b32 exec_lo, exec_lo, s27
.LBB287_3824:                           ;   in Loop: Header=BB287_2083 Depth=1
	s_or_b32 exec_lo, exec_lo, s26
	s_mov_b32 s26, exec_lo
	v_cmpx_lt_u32_e32 0xffffff, v13
	s_cbranch_execz .LBB287_3832
; %bb.3825:                             ;   in Loop: Header=BB287_2083 Depth=1
	v_lshrrev_b32_e32 v5, 24, v13
	v_bfrev_b32_e32 v110, 1
	s_mov_b32 s27, exec_lo
	v_cmpx_ne_u32_e32 0x80, v5
	s_cbranch_execz .LBB287_3831
; %bb.3826:                             ;   in Loop: Header=BB287_2083 Depth=1
	v_and_b32_e32 v120, 0x7f, v5
	v_mov_b32_e32 v110, 0x7c010000
	s_mov_b32 s28, exec_lo
	v_cmpx_ne_u32_e32 0x7f, v120
	s_cbranch_execz .LBB287_3830
; %bb.3827:                             ;   in Loop: Header=BB287_2083 Depth=1
	v_and_b32_e32 v101, 7, v5
	v_lshrrev_b32_e32 v102, 3, v120
	s_mov_b32 s29, exec_lo
	v_cmpx_gt_u32_e32 8, v120
; %bb.3828:                             ;   in Loop: Header=BB287_2083 Depth=1
	v_ffbh_u32_e32 v3, v101
	v_min_u32_e32 v3, 32, v3
	v_subrev_nc_u32_e32 v4, 28, v3
	v_lshlrev_b64 v[101:102], v4, v[5:6]
	v_sub_nc_u32_e32 v102, 29, v3
	v_and_b32_e32 v101, 7, v101
; %bb.3829:                             ;   in Loop: Header=BB287_2083 Depth=1
	s_or_b32 exec_lo, exec_lo, s29
	v_lshlrev_b32_e32 v3, 8, v5
	v_lshl_add_u32 v4, v102, 10, 0x2000
	v_and_or_b32 v3, 0x8000, v3, v4
	v_lshlrev_b32_e32 v4, 23, v101
	v_lshl_or_b32 v110, v3, 16, v4
.LBB287_3830:                           ;   in Loop: Header=BB287_2083 Depth=1
	s_or_b32 exec_lo, exec_lo, s28
.LBB287_3831:                           ;   in Loop: Header=BB287_2083 Depth=1
	s_or_b32 exec_lo, exec_lo, s27
.LBB287_3832:                           ;   in Loop: Header=BB287_2083 Depth=1
	s_or_b32 exec_lo, exec_lo, s26
	v_mov_b32_e32 v5, v14
	v_cmp_ne_u16_sdwa s12, v14, v6 src0_sel:BYTE_0 src1_sel:DWORD
	v_mov_b32_e32 v120, 0
	v_mov_b32_e32 v121, 0
	s_and_saveexec_b32 s26, s12
	s_cbranch_execz .LBB287_3840
; %bb.3833:                             ;   in Loop: Header=BB287_2083 Depth=1
	v_cmp_ne_u16_sdwa s12, v14, v48 src0_sel:BYTE_0 src1_sel:DWORD
	v_mov_b32_e32 v121, 0x8000
	s_and_saveexec_b32 s27, s12
	s_cbranch_execz .LBB287_3839
; %bb.3834:                             ;   in Loop: Header=BB287_2083 Depth=1
	v_and_b32_e32 v102, 0x7f, v14
	v_mov_b32_e32 v121, 0x7c01
	s_mov_b32 s28, exec_lo
	v_cmpx_ne_u32_e32 0x7f, v102
	s_cbranch_execz .LBB287_3838
; %bb.3835:                             ;   in Loop: Header=BB287_2083 Depth=1
	v_and_b32_e32 v101, 7, v14
	v_lshrrev_b32_e32 v121, 3, v102
	s_mov_b32 s29, exec_lo
	v_cmpx_gt_u32_e32 8, v102
; %bb.3836:                             ;   in Loop: Header=BB287_2083 Depth=1
	v_ffbh_u32_e32 v3, v101
	v_min_u32_e32 v3, 32, v3
	v_subrev_nc_u32_e32 v4, 28, v3
	v_sub_nc_u32_e32 v121, 29, v3
	v_lshlrev_b64 v[101:102], v4, v[5:6]
	v_and_b32_e32 v101, 7, v101
; %bb.3837:                             ;   in Loop: Header=BB287_2083 Depth=1
	s_or_b32 exec_lo, exec_lo, s29
	v_lshlrev_b32_e32 v3, 8, v14
	v_lshl_add_u32 v4, v121, 10, 0x2000
	v_lshlrev_b32_e32 v101, 7, v101
	v_and_b32_e32 v3, 0x8000, v3
	v_and_b32_e32 v4, 0xfc00, v4
	v_or3_b32 v121, v3, v4, v101
.LBB287_3838:                           ;   in Loop: Header=BB287_2083 Depth=1
	s_or_b32 exec_lo, exec_lo, s28
.LBB287_3839:                           ;   in Loop: Header=BB287_2083 Depth=1
	s_or_b32 exec_lo, exec_lo, s27
.LBB287_3840:                           ;   in Loop: Header=BB287_2083 Depth=1
	s_or_b32 exec_lo, exec_lo, s26
	v_lshrrev_b16 v5, 8, v5
	v_mov_b32_e32 v122, 0
	s_mov_b32 s26, exec_lo
	v_cmpx_ne_u16_e32 0, v5
	s_cbranch_execz .LBB287_3848
; %bb.3841:                             ;   in Loop: Header=BB287_2083 Depth=1
	v_bfrev_b32_e32 v122, 1
	s_mov_b32 s27, exec_lo
	v_cmpx_ne_u16_e32 0x80, v5
	s_cbranch_execz .LBB287_3847
; %bb.3842:                             ;   in Loop: Header=BB287_2083 Depth=1
	v_and_b32_sdwa v123, v5, v49 dst_sel:DWORD dst_unused:UNUSED_PAD src0_sel:WORD_0 src1_sel:DWORD
	v_mov_b32_e32 v122, 0x7c010000
	s_mov_b32 s28, exec_lo
	v_cmpx_ne_u32_e32 0x7f, v123
	s_cbranch_execz .LBB287_3846
; %bb.3843:                             ;   in Loop: Header=BB287_2083 Depth=1
	v_and_b32_sdwa v101, v5, v50 dst_sel:DWORD dst_unused:UNUSED_PAD src0_sel:WORD_0 src1_sel:DWORD
	v_lshrrev_b32_e32 v102, 3, v123
	s_mov_b32 s29, exec_lo
	v_cmpx_gt_u32_e32 8, v123
; %bb.3844:                             ;   in Loop: Header=BB287_2083 Depth=1
	v_ffbh_u32_e32 v3, v101
	v_min_u32_e32 v3, 32, v3
	v_subrev_nc_u32_e32 v4, 28, v3
	v_lshlrev_b64 v[101:102], v4, v[5:6]
	v_sub_nc_u32_e32 v102, 29, v3
	v_and_b32_e32 v101, 7, v101
; %bb.3845:                             ;   in Loop: Header=BB287_2083 Depth=1
	s_or_b32 exec_lo, exec_lo, s29
	v_lshlrev_b32_sdwa v3, v100, v5 dst_sel:DWORD dst_unused:UNUSED_PAD src0_sel:DWORD src1_sel:WORD_0
	v_lshl_add_u32 v4, v102, 10, 0x2000
	v_and_or_b32 v3, 0x8000, v3, v4
	v_lshlrev_b32_e32 v4, 23, v101
	v_lshl_or_b32 v122, v3, 16, v4
.LBB287_3846:                           ;   in Loop: Header=BB287_2083 Depth=1
	s_or_b32 exec_lo, exec_lo, s28
.LBB287_3847:                           ;   in Loop: Header=BB287_2083 Depth=1
	s_or_b32 exec_lo, exec_lo, s27
.LBB287_3848:                           ;   in Loop: Header=BB287_2083 Depth=1
	s_or_b32 exec_lo, exec_lo, s26
	v_lshrrev_b32_e32 v5, 16, v14
	v_cmp_ne_u16_sdwa s12, v5, v6 src0_sel:BYTE_0 src1_sel:DWORD
	s_and_saveexec_b32 s26, s12
	s_cbranch_execz .LBB287_3856
; %bb.3849:                             ;   in Loop: Header=BB287_2083 Depth=1
	v_cmp_ne_u16_sdwa s12, v5, v48 src0_sel:BYTE_0 src1_sel:DWORD
	v_mov_b32_e32 v120, 0x8000
	s_and_saveexec_b32 s27, s12
	s_cbranch_execz .LBB287_3855
; %bb.3850:                             ;   in Loop: Header=BB287_2083 Depth=1
	v_bfe_u32 v102, v14, 16, 7
	v_mov_b32_e32 v120, 0x7c01
	s_mov_b32 s28, exec_lo
	v_cmpx_ne_u32_e32 0x7f, v102
	s_cbranch_execz .LBB287_3854
; %bb.3851:                             ;   in Loop: Header=BB287_2083 Depth=1
	v_and_b32_e32 v101, 7, v5
	v_lshrrev_b32_e32 v120, 3, v102
	s_mov_b32 s29, exec_lo
	v_cmpx_gt_u32_e32 8, v102
; %bb.3852:                             ;   in Loop: Header=BB287_2083 Depth=1
	v_ffbh_u32_e32 v3, v101
	v_min_u32_e32 v3, 32, v3
	v_subrev_nc_u32_e32 v4, 28, v3
	v_sub_nc_u32_e32 v120, 29, v3
	v_lshlrev_b64 v[101:102], v4, v[5:6]
	v_and_b32_e32 v101, 7, v101
; %bb.3853:                             ;   in Loop: Header=BB287_2083 Depth=1
	s_or_b32 exec_lo, exec_lo, s29
	v_lshlrev_b32_e32 v3, 8, v5
	v_lshl_add_u32 v4, v120, 10, 0x2000
	v_lshlrev_b32_e32 v5, 7, v101
	v_and_b32_e32 v3, 0x8000, v3
	v_and_b32_e32 v4, 0xfc00, v4
	v_or3_b32 v120, v3, v4, v5
.LBB287_3854:                           ;   in Loop: Header=BB287_2083 Depth=1
	s_or_b32 exec_lo, exec_lo, s28
.LBB287_3855:                           ;   in Loop: Header=BB287_2083 Depth=1
	s_or_b32 exec_lo, exec_lo, s27
.LBB287_3856:                           ;   in Loop: Header=BB287_2083 Depth=1
	s_or_b32 exec_lo, exec_lo, s26
	v_cmp_lt_u64_e64 s12, s[22:23], v[13:14]
	v_mov_b32_e32 v13, 0
	s_and_saveexec_b32 s26, s12
	s_cbranch_execz .LBB287_3864
; %bb.3857:                             ;   in Loop: Header=BB287_2083 Depth=1
	v_lshrrev_b32_e32 v5, 24, v14
	v_bfrev_b32_e32 v13, 1
	s_mov_b32 s27, exec_lo
	v_cmpx_ne_u32_e32 0x80, v5
	s_cbranch_execz .LBB287_3863
; %bb.3858:                             ;   in Loop: Header=BB287_2083 Depth=1
	v_and_b32_e32 v101, 0x7f, v5
	v_mov_b32_e32 v13, 0x7c010000
	s_mov_b32 s28, exec_lo
	v_cmpx_ne_u32_e32 0x7f, v101
	s_cbranch_execz .LBB287_3862
; %bb.3859:                             ;   in Loop: Header=BB287_2083 Depth=1
	v_and_b32_e32 v13, 7, v5
	v_lshrrev_b32_e32 v14, 3, v101
	s_mov_b32 s29, exec_lo
	v_cmpx_gt_u32_e32 8, v101
; %bb.3860:                             ;   in Loop: Header=BB287_2083 Depth=1
	v_ffbh_u32_e32 v3, v13
	v_min_u32_e32 v3, 32, v3
	v_subrev_nc_u32_e32 v4, 28, v3
	v_lshlrev_b64 v[13:14], v4, v[5:6]
	v_sub_nc_u32_e32 v14, 29, v3
	v_and_b32_e32 v13, 7, v13
; %bb.3861:                             ;   in Loop: Header=BB287_2083 Depth=1
	s_or_b32 exec_lo, exec_lo, s29
	v_lshlrev_b32_e32 v3, 8, v5
	v_lshl_add_u32 v4, v14, 10, 0x2000
	v_and_or_b32 v3, 0x8000, v3, v4
	v_lshlrev_b32_e32 v4, 23, v13
	v_lshl_or_b32 v13, v3, 16, v4
.LBB287_3862:                           ;   in Loop: Header=BB287_2083 Depth=1
	s_or_b32 exec_lo, exec_lo, s28
.LBB287_3863:                           ;   in Loop: Header=BB287_2083 Depth=1
	s_or_b32 exec_lo, exec_lo, s27
.LBB287_3864:                           ;   in Loop: Header=BB287_2083 Depth=1
	s_or_b32 exec_lo, exec_lo, s26
	v_or_b32_e32 v3, v110, v111
	s_waitcnt vmcnt(0) lgkmcnt(0)
	v_fma_mixlo_f16 v4, v66, v110, 0 op_sel:[0,1,0] op_sel_hi:[0,1,0]
	v_or_b32_e32 v14, v108, v109
	v_or_b32_e32 v102, v122, v121
	v_or_b32_e32 v103, v13, v120
	v_fma_mixlo_f16 v3, v66, v3, 0 op_sel_hi:[0,1,0]
	v_fma_mixlo_f16 v101, v66, v108, 0 op_sel:[0,1,0] op_sel_hi:[0,1,0]
	v_lshlrev_b32_e32 v5, 16, v4
	v_fma_mixlo_f16 v4, v66, v14, 0 op_sel_hi:[0,1,0]
	v_fma_mixlo_f16 v108, v66, v102, 0 op_sel_hi:[0,1,0]
	v_and_b32_e32 v14, 0xffff, v3
	v_fma_mixlo_f16 v3, v66, v122, 0 op_sel:[0,1,0] op_sel_hi:[0,1,0]
	v_fma_mixlo_f16 v13, v66, v13, 0 op_sel:[0,1,0] op_sel_hi:[0,1,0]
	v_fma_mixlo_f16 v66, v66, v103, 0 op_sel_hi:[0,1,0]
	v_lshlrev_b32_e32 v101, 16, v101
	v_and_b32_e32 v102, 0xffff, v4
	v_lshlrev_b32_e32 v111, 16, v3
	v_and_b32_e32 v121, 0xffff, v108
	;; [unrolled: 2-line block ×3, first 2 shown]
	v_or_b32_e32 v13, v5, v14
	v_or_b32_e32 v109, v101, v102
	;; [unrolled: 1-line block ×4, first 2 shown]
	s_and_saveexec_b32 s12, s4
	s_cbranch_execz .LBB287_3866
; %bb.3865:                             ;   in Loop: Header=BB287_2083 Depth=1
	v_cndmask_b32_e32 v3, 0, v102, vcc_lo
	v_cndmask_b32_e64 v4, 0, v101, s7
	v_cndmask_b32_e64 v13, 0, v14, s5
	;; [unrolled: 1-line block ×7, first 2 shown]
	v_or_b32_e32 v109, v3, v4
	v_or_b32_e32 v13, v13, v5
	;; [unrolled: 1-line block ×4, first 2 shown]
.LBB287_3866:                           ;   in Loop: Header=BB287_2083 Depth=1
	s_or_b32 exec_lo, exec_lo, s12
	;;#ASMSTART
	v_pk_mul_f16 v3, v40, v109;

	;;#ASMEND
	;;#ASMSTART
	v_pk_mul_f16 v4, v119, v13;

	;;#ASMEND
	;; [unrolled: 4-line block ×4, first 2 shown]
	;;#ASMSTART
	v_pk_add_f16 v3, v3, v4;

	;;#ASMEND
	;;#ASMSTART
	v_pk_add_f16 v3, v3, v5;

	;;#ASMEND
	;; [unrolled: 4-line block ×3, first 2 shown]
	v_and_b32_e32 v4, 0xffff, v3
	v_lshrrev_b32_e32 v3, 16, v3
	;;#ASMSTART
	v_cvt_f32_f16 v66, v4;
	;;#ASMEND
	;;#ASMSTART
	v_cvt_f32_f16 v108, v3;
	;;#ASMEND
	flat_load_dwordx2 v[13:14], v[11:12] offset:768
	flat_load_dword v109, v[22:23]
	v_mov_b32_e32 v110, 0
	v_mov_b32_e32 v111, 0
	s_waitcnt vmcnt(1) lgkmcnt(1)
	v_cmp_ne_u16_sdwa s12, v13, v6 src0_sel:BYTE_0 src1_sel:DWORD
	s_and_saveexec_b32 s26, s12
	s_cbranch_execz .LBB287_3874
; %bb.3867:                             ;   in Loop: Header=BB287_2083 Depth=1
	v_cmp_ne_u16_sdwa s12, v13, v48 src0_sel:BYTE_0 src1_sel:DWORD
	v_mov_b32_e32 v111, 0x8000
	s_and_saveexec_b32 s27, s12
	s_cbranch_execz .LBB287_3873
; %bb.3868:                             ;   in Loop: Header=BB287_2083 Depth=1
	v_and_b32_e32 v102, 0x7f, v13
	v_mov_b32_e32 v111, 0x7c01
	s_mov_b32 s28, exec_lo
	v_cmpx_ne_u32_e32 0x7f, v102
	s_cbranch_execz .LBB287_3872
; %bb.3869:                             ;   in Loop: Header=BB287_2083 Depth=1
	v_and_b32_e32 v5, 7, v13
	v_lshrrev_b32_e32 v101, 3, v102
	s_mov_b32 s29, exec_lo
	v_cmpx_gt_u32_e32 8, v102
; %bb.3870:                             ;   in Loop: Header=BB287_2083 Depth=1
	v_ffbh_u32_e32 v3, v5
	v_min_u32_e32 v3, 32, v3
	v_subrev_nc_u32_e32 v4, 28, v3
	v_sub_nc_u32_e32 v101, 29, v3
	v_lshlrev_b64 v[102:103], v4, v[13:14]
	v_and_b32_e32 v5, 7, v102
; %bb.3871:                             ;   in Loop: Header=BB287_2083 Depth=1
	s_or_b32 exec_lo, exec_lo, s29
	v_lshlrev_b32_e32 v3, 8, v13
	v_lshl_add_u32 v4, v101, 10, 0x2000
	v_lshlrev_b32_e32 v5, 7, v5
	v_and_b32_e32 v3, 0x8000, v3
	v_and_b32_e32 v4, 0xfc00, v4
	v_or3_b32 v111, v3, v4, v5
.LBB287_3872:                           ;   in Loop: Header=BB287_2083 Depth=1
	s_or_b32 exec_lo, exec_lo, s28
.LBB287_3873:                           ;   in Loop: Header=BB287_2083 Depth=1
	s_or_b32 exec_lo, exec_lo, s27
.LBB287_3874:                           ;   in Loop: Header=BB287_2083 Depth=1
	s_or_b32 exec_lo, exec_lo, s26
	v_lshrrev_b16 v5, 8, v13
	s_mov_b32 s26, exec_lo
	v_cmpx_ne_u16_e32 0, v5
	s_cbranch_execz .LBB287_3882
; %bb.3875:                             ;   in Loop: Header=BB287_2083 Depth=1
	v_bfrev_b32_e32 v110, 1
	s_mov_b32 s27, exec_lo
	v_cmpx_ne_u16_e32 0x80, v5
	s_cbranch_execz .LBB287_3881
; %bb.3876:                             ;   in Loop: Header=BB287_2083 Depth=1
	v_and_b32_sdwa v120, v5, v49 dst_sel:DWORD dst_unused:UNUSED_PAD src0_sel:WORD_0 src1_sel:DWORD
	v_mov_b32_e32 v110, 0x7c010000
	s_mov_b32 s28, exec_lo
	v_cmpx_ne_u32_e32 0x7f, v120
	s_cbranch_execz .LBB287_3880
; %bb.3877:                             ;   in Loop: Header=BB287_2083 Depth=1
	v_and_b32_sdwa v101, v5, v50 dst_sel:DWORD dst_unused:UNUSED_PAD src0_sel:WORD_0 src1_sel:DWORD
	v_lshrrev_b32_e32 v102, 3, v120
	s_mov_b32 s29, exec_lo
	v_cmpx_gt_u32_e32 8, v120
; %bb.3878:                             ;   in Loop: Header=BB287_2083 Depth=1
	v_ffbh_u32_e32 v3, v101
	v_min_u32_e32 v3, 32, v3
	v_subrev_nc_u32_e32 v4, 28, v3
	v_lshlrev_b64 v[101:102], v4, v[5:6]
	v_sub_nc_u32_e32 v102, 29, v3
	v_and_b32_e32 v101, 7, v101
; %bb.3879:                             ;   in Loop: Header=BB287_2083 Depth=1
	s_or_b32 exec_lo, exec_lo, s29
	v_lshlrev_b32_sdwa v3, v100, v5 dst_sel:DWORD dst_unused:UNUSED_PAD src0_sel:DWORD src1_sel:WORD_0
	v_lshl_add_u32 v4, v102, 10, 0x2000
	v_and_or_b32 v3, 0x8000, v3, v4
	v_lshlrev_b32_e32 v4, 23, v101
	v_lshl_or_b32 v110, v3, 16, v4
.LBB287_3880:                           ;   in Loop: Header=BB287_2083 Depth=1
	s_or_b32 exec_lo, exec_lo, s28
.LBB287_3881:                           ;   in Loop: Header=BB287_2083 Depth=1
	s_or_b32 exec_lo, exec_lo, s27
.LBB287_3882:                           ;   in Loop: Header=BB287_2083 Depth=1
	s_or_b32 exec_lo, exec_lo, s26
	v_lshrrev_b32_e32 v5, 16, v13
	v_mov_b32_e32 v120, 0
	v_mov_b32_e32 v121, 0
	v_cmp_ne_u16_sdwa s12, v5, v6 src0_sel:BYTE_0 src1_sel:DWORD
	s_and_saveexec_b32 s26, s12
	s_cbranch_execz .LBB287_3890
; %bb.3883:                             ;   in Loop: Header=BB287_2083 Depth=1
	v_cmp_ne_u16_sdwa s12, v5, v48 src0_sel:BYTE_0 src1_sel:DWORD
	v_mov_b32_e32 v121, 0x8000
	s_and_saveexec_b32 s27, s12
	s_cbranch_execz .LBB287_3889
; %bb.3884:                             ;   in Loop: Header=BB287_2083 Depth=1
	v_bfe_u32 v102, v13, 16, 7
	v_mov_b32_e32 v121, 0x7c01
	s_mov_b32 s28, exec_lo
	v_cmpx_ne_u32_e32 0x7f, v102
	s_cbranch_execz .LBB287_3888
; %bb.3885:                             ;   in Loop: Header=BB287_2083 Depth=1
	v_and_b32_e32 v101, 7, v5
	v_lshrrev_b32_e32 v121, 3, v102
	s_mov_b32 s29, exec_lo
	v_cmpx_gt_u32_e32 8, v102
; %bb.3886:                             ;   in Loop: Header=BB287_2083 Depth=1
	v_ffbh_u32_e32 v3, v101
	v_min_u32_e32 v3, 32, v3
	v_subrev_nc_u32_e32 v4, 28, v3
	v_sub_nc_u32_e32 v121, 29, v3
	v_lshlrev_b64 v[101:102], v4, v[5:6]
	v_and_b32_e32 v101, 7, v101
; %bb.3887:                             ;   in Loop: Header=BB287_2083 Depth=1
	s_or_b32 exec_lo, exec_lo, s29
	v_lshlrev_b32_e32 v3, 8, v5
	v_lshl_add_u32 v4, v121, 10, 0x2000
	v_lshlrev_b32_e32 v5, 7, v101
	v_and_b32_e32 v3, 0x8000, v3
	v_and_b32_e32 v4, 0xfc00, v4
	v_or3_b32 v121, v3, v4, v5
.LBB287_3888:                           ;   in Loop: Header=BB287_2083 Depth=1
	s_or_b32 exec_lo, exec_lo, s28
.LBB287_3889:                           ;   in Loop: Header=BB287_2083 Depth=1
	s_or_b32 exec_lo, exec_lo, s27
.LBB287_3890:                           ;   in Loop: Header=BB287_2083 Depth=1
	s_or_b32 exec_lo, exec_lo, s26
	s_mov_b32 s26, exec_lo
	v_cmpx_lt_u32_e32 0xffffff, v13
	s_cbranch_execz .LBB287_3898
; %bb.3891:                             ;   in Loop: Header=BB287_2083 Depth=1
	v_lshrrev_b32_e32 v5, 24, v13
	v_bfrev_b32_e32 v120, 1
	s_mov_b32 s27, exec_lo
	v_cmpx_ne_u32_e32 0x80, v5
	s_cbranch_execz .LBB287_3897
; %bb.3892:                             ;   in Loop: Header=BB287_2083 Depth=1
	v_and_b32_e32 v122, 0x7f, v5
	v_mov_b32_e32 v120, 0x7c010000
	s_mov_b32 s28, exec_lo
	v_cmpx_ne_u32_e32 0x7f, v122
	s_cbranch_execz .LBB287_3896
; %bb.3893:                             ;   in Loop: Header=BB287_2083 Depth=1
	v_and_b32_e32 v101, 7, v5
	v_lshrrev_b32_e32 v102, 3, v122
	s_mov_b32 s29, exec_lo
	v_cmpx_gt_u32_e32 8, v122
; %bb.3894:                             ;   in Loop: Header=BB287_2083 Depth=1
	v_ffbh_u32_e32 v3, v101
	v_min_u32_e32 v3, 32, v3
	v_subrev_nc_u32_e32 v4, 28, v3
	v_lshlrev_b64 v[101:102], v4, v[5:6]
	v_sub_nc_u32_e32 v102, 29, v3
	v_and_b32_e32 v101, 7, v101
; %bb.3895:                             ;   in Loop: Header=BB287_2083 Depth=1
	s_or_b32 exec_lo, exec_lo, s29
	v_lshlrev_b32_e32 v3, 8, v5
	v_lshl_add_u32 v4, v102, 10, 0x2000
	v_and_or_b32 v3, 0x8000, v3, v4
	v_lshlrev_b32_e32 v4, 23, v101
	v_lshl_or_b32 v120, v3, 16, v4
.LBB287_3896:                           ;   in Loop: Header=BB287_2083 Depth=1
	s_or_b32 exec_lo, exec_lo, s28
.LBB287_3897:                           ;   in Loop: Header=BB287_2083 Depth=1
	s_or_b32 exec_lo, exec_lo, s27
.LBB287_3898:                           ;   in Loop: Header=BB287_2083 Depth=1
	s_or_b32 exec_lo, exec_lo, s26
	v_mov_b32_e32 v5, v14
	v_cmp_ne_u16_sdwa s12, v14, v6 src0_sel:BYTE_0 src1_sel:DWORD
	v_mov_b32_e32 v122, 0
	v_mov_b32_e32 v123, 0
	s_and_saveexec_b32 s26, s12
	s_cbranch_execz .LBB287_3906
; %bb.3899:                             ;   in Loop: Header=BB287_2083 Depth=1
	v_cmp_ne_u16_sdwa s12, v14, v48 src0_sel:BYTE_0 src1_sel:DWORD
	v_mov_b32_e32 v123, 0x8000
	s_and_saveexec_b32 s27, s12
	s_cbranch_execz .LBB287_3905
; %bb.3900:                             ;   in Loop: Header=BB287_2083 Depth=1
	v_and_b32_e32 v102, 0x7f, v14
	v_mov_b32_e32 v123, 0x7c01
	s_mov_b32 s28, exec_lo
	v_cmpx_ne_u32_e32 0x7f, v102
	s_cbranch_execz .LBB287_3904
; %bb.3901:                             ;   in Loop: Header=BB287_2083 Depth=1
	v_and_b32_e32 v101, 7, v14
	v_lshrrev_b32_e32 v123, 3, v102
	s_mov_b32 s29, exec_lo
	v_cmpx_gt_u32_e32 8, v102
; %bb.3902:                             ;   in Loop: Header=BB287_2083 Depth=1
	v_ffbh_u32_e32 v3, v101
	v_min_u32_e32 v3, 32, v3
	v_subrev_nc_u32_e32 v4, 28, v3
	v_sub_nc_u32_e32 v123, 29, v3
	v_lshlrev_b64 v[101:102], v4, v[5:6]
	v_and_b32_e32 v101, 7, v101
; %bb.3903:                             ;   in Loop: Header=BB287_2083 Depth=1
	s_or_b32 exec_lo, exec_lo, s29
	v_lshlrev_b32_e32 v3, 8, v14
	v_lshl_add_u32 v4, v123, 10, 0x2000
	v_lshlrev_b32_e32 v101, 7, v101
	v_and_b32_e32 v3, 0x8000, v3
	v_and_b32_e32 v4, 0xfc00, v4
	v_or3_b32 v123, v3, v4, v101
.LBB287_3904:                           ;   in Loop: Header=BB287_2083 Depth=1
	s_or_b32 exec_lo, exec_lo, s28
.LBB287_3905:                           ;   in Loop: Header=BB287_2083 Depth=1
	s_or_b32 exec_lo, exec_lo, s27
.LBB287_3906:                           ;   in Loop: Header=BB287_2083 Depth=1
	s_or_b32 exec_lo, exec_lo, s26
	v_lshrrev_b16 v5, 8, v5
	v_mov_b32_e32 v124, 0
	s_mov_b32 s26, exec_lo
	v_cmpx_ne_u16_e32 0, v5
	s_cbranch_execz .LBB287_3914
; %bb.3907:                             ;   in Loop: Header=BB287_2083 Depth=1
	v_bfrev_b32_e32 v124, 1
	s_mov_b32 s27, exec_lo
	v_cmpx_ne_u16_e32 0x80, v5
	s_cbranch_execz .LBB287_3913
; %bb.3908:                             ;   in Loop: Header=BB287_2083 Depth=1
	v_and_b32_sdwa v125, v5, v49 dst_sel:DWORD dst_unused:UNUSED_PAD src0_sel:WORD_0 src1_sel:DWORD
	v_mov_b32_e32 v124, 0x7c010000
	s_mov_b32 s28, exec_lo
	v_cmpx_ne_u32_e32 0x7f, v125
	s_cbranch_execz .LBB287_3912
; %bb.3909:                             ;   in Loop: Header=BB287_2083 Depth=1
	v_and_b32_sdwa v101, v5, v50 dst_sel:DWORD dst_unused:UNUSED_PAD src0_sel:WORD_0 src1_sel:DWORD
	v_lshrrev_b32_e32 v102, 3, v125
	s_mov_b32 s29, exec_lo
	v_cmpx_gt_u32_e32 8, v125
; %bb.3910:                             ;   in Loop: Header=BB287_2083 Depth=1
	v_ffbh_u32_e32 v3, v101
	v_min_u32_e32 v3, 32, v3
	v_subrev_nc_u32_e32 v4, 28, v3
	v_lshlrev_b64 v[101:102], v4, v[5:6]
	v_sub_nc_u32_e32 v102, 29, v3
	v_and_b32_e32 v101, 7, v101
; %bb.3911:                             ;   in Loop: Header=BB287_2083 Depth=1
	s_or_b32 exec_lo, exec_lo, s29
	v_lshlrev_b32_sdwa v3, v100, v5 dst_sel:DWORD dst_unused:UNUSED_PAD src0_sel:DWORD src1_sel:WORD_0
	v_lshl_add_u32 v4, v102, 10, 0x2000
	v_and_or_b32 v3, 0x8000, v3, v4
	v_lshlrev_b32_e32 v4, 23, v101
	v_lshl_or_b32 v124, v3, 16, v4
.LBB287_3912:                           ;   in Loop: Header=BB287_2083 Depth=1
	s_or_b32 exec_lo, exec_lo, s28
.LBB287_3913:                           ;   in Loop: Header=BB287_2083 Depth=1
	s_or_b32 exec_lo, exec_lo, s27
.LBB287_3914:                           ;   in Loop: Header=BB287_2083 Depth=1
	s_or_b32 exec_lo, exec_lo, s26
	v_lshrrev_b32_e32 v5, 16, v14
	v_cmp_ne_u16_sdwa s12, v5, v6 src0_sel:BYTE_0 src1_sel:DWORD
	s_and_saveexec_b32 s26, s12
	s_cbranch_execz .LBB287_3922
; %bb.3915:                             ;   in Loop: Header=BB287_2083 Depth=1
	v_cmp_ne_u16_sdwa s12, v5, v48 src0_sel:BYTE_0 src1_sel:DWORD
	v_mov_b32_e32 v122, 0x8000
	s_and_saveexec_b32 s27, s12
	s_cbranch_execz .LBB287_3921
; %bb.3916:                             ;   in Loop: Header=BB287_2083 Depth=1
	v_bfe_u32 v102, v14, 16, 7
	v_mov_b32_e32 v122, 0x7c01
	s_mov_b32 s28, exec_lo
	v_cmpx_ne_u32_e32 0x7f, v102
	s_cbranch_execz .LBB287_3920
; %bb.3917:                             ;   in Loop: Header=BB287_2083 Depth=1
	v_and_b32_e32 v101, 7, v5
	v_lshrrev_b32_e32 v122, 3, v102
	s_mov_b32 s29, exec_lo
	v_cmpx_gt_u32_e32 8, v102
; %bb.3918:                             ;   in Loop: Header=BB287_2083 Depth=1
	v_ffbh_u32_e32 v3, v101
	v_min_u32_e32 v3, 32, v3
	v_subrev_nc_u32_e32 v4, 28, v3
	v_sub_nc_u32_e32 v122, 29, v3
	v_lshlrev_b64 v[101:102], v4, v[5:6]
	v_and_b32_e32 v101, 7, v101
; %bb.3919:                             ;   in Loop: Header=BB287_2083 Depth=1
	s_or_b32 exec_lo, exec_lo, s29
	v_lshlrev_b32_e32 v3, 8, v5
	v_lshl_add_u32 v4, v122, 10, 0x2000
	v_lshlrev_b32_e32 v5, 7, v101
	v_and_b32_e32 v3, 0x8000, v3
	v_and_b32_e32 v4, 0xfc00, v4
	v_or3_b32 v122, v3, v4, v5
.LBB287_3920:                           ;   in Loop: Header=BB287_2083 Depth=1
	s_or_b32 exec_lo, exec_lo, s28
.LBB287_3921:                           ;   in Loop: Header=BB287_2083 Depth=1
	s_or_b32 exec_lo, exec_lo, s27
.LBB287_3922:                           ;   in Loop: Header=BB287_2083 Depth=1
	s_or_b32 exec_lo, exec_lo, s26
	v_cmp_lt_u64_e64 s12, s[22:23], v[13:14]
	v_mov_b32_e32 v13, 0
	s_and_saveexec_b32 s26, s12
	s_cbranch_execz .LBB287_3930
; %bb.3923:                             ;   in Loop: Header=BB287_2083 Depth=1
	v_lshrrev_b32_e32 v5, 24, v14
	v_bfrev_b32_e32 v13, 1
	s_mov_b32 s27, exec_lo
	v_cmpx_ne_u32_e32 0x80, v5
	s_cbranch_execz .LBB287_3929
; %bb.3924:                             ;   in Loop: Header=BB287_2083 Depth=1
	v_and_b32_e32 v101, 0x7f, v5
	v_mov_b32_e32 v13, 0x7c010000
	s_mov_b32 s28, exec_lo
	v_cmpx_ne_u32_e32 0x7f, v101
	s_cbranch_execz .LBB287_3928
; %bb.3925:                             ;   in Loop: Header=BB287_2083 Depth=1
	v_and_b32_e32 v13, 7, v5
	v_lshrrev_b32_e32 v14, 3, v101
	s_mov_b32 s29, exec_lo
	v_cmpx_gt_u32_e32 8, v101
; %bb.3926:                             ;   in Loop: Header=BB287_2083 Depth=1
	v_ffbh_u32_e32 v3, v13
	v_min_u32_e32 v3, 32, v3
	v_subrev_nc_u32_e32 v4, 28, v3
	v_lshlrev_b64 v[13:14], v4, v[5:6]
	v_sub_nc_u32_e32 v14, 29, v3
	v_and_b32_e32 v13, 7, v13
; %bb.3927:                             ;   in Loop: Header=BB287_2083 Depth=1
	s_or_b32 exec_lo, exec_lo, s29
	v_lshlrev_b32_e32 v3, 8, v5
	v_lshl_add_u32 v4, v14, 10, 0x2000
	v_and_or_b32 v3, 0x8000, v3, v4
	v_lshlrev_b32_e32 v4, 23, v13
	v_lshl_or_b32 v13, v3, 16, v4
.LBB287_3928:                           ;   in Loop: Header=BB287_2083 Depth=1
	s_or_b32 exec_lo, exec_lo, s28
.LBB287_3929:                           ;   in Loop: Header=BB287_2083 Depth=1
	s_or_b32 exec_lo, exec_lo, s27
.LBB287_3930:                           ;   in Loop: Header=BB287_2083 Depth=1
	s_or_b32 exec_lo, exec_lo, s26
	v_or_b32_e32 v3, v120, v121
	s_waitcnt vmcnt(0) lgkmcnt(0)
	v_fma_mixlo_f16 v4, v109, v120, 0 op_sel:[0,1,0] op_sel_hi:[0,1,0]
	v_or_b32_e32 v14, v110, v111
	v_or_b32_e32 v102, v124, v123
	;; [unrolled: 1-line block ×3, first 2 shown]
	v_fma_mixlo_f16 v3, v109, v3, 0 op_sel_hi:[0,1,0]
	v_fma_mixlo_f16 v101, v109, v110, 0 op_sel:[0,1,0] op_sel_hi:[0,1,0]
	v_lshlrev_b32_e32 v5, 16, v4
	v_fma_mixlo_f16 v4, v109, v14, 0 op_sel_hi:[0,1,0]
	v_fma_mixlo_f16 v110, v109, v102, 0 op_sel_hi:[0,1,0]
	v_and_b32_e32 v14, 0xffff, v3
	v_fma_mixlo_f16 v3, v109, v124, 0 op_sel:[0,1,0] op_sel_hi:[0,1,0]
	v_fma_mixlo_f16 v13, v109, v13, 0 op_sel:[0,1,0] op_sel_hi:[0,1,0]
	v_fma_mixlo_f16 v103, v109, v103, 0 op_sel_hi:[0,1,0]
	v_lshlrev_b32_e32 v101, 16, v101
	v_and_b32_e32 v102, 0xffff, v4
	v_lshlrev_b32_e32 v121, 16, v3
	v_and_b32_e32 v123, 0xffff, v110
	;; [unrolled: 2-line block ×3, first 2 shown]
	v_or_b32_e32 v13, v5, v14
	v_or_b32_e32 v111, v101, v102
	;; [unrolled: 1-line block ×4, first 2 shown]
	s_and_saveexec_b32 s12, s4
	s_cbranch_execz .LBB287_3932
; %bb.3931:                             ;   in Loop: Header=BB287_2083 Depth=1
	v_cndmask_b32_e32 v3, 0, v102, vcc_lo
	v_cndmask_b32_e64 v4, 0, v101, s7
	v_cndmask_b32_e64 v13, 0, v14, s5
	;; [unrolled: 1-line block ×7, first 2 shown]
	v_or_b32_e32 v111, v3, v4
	v_or_b32_e32 v13, v13, v5
	;; [unrolled: 1-line block ×4, first 2 shown]
.LBB287_3932:                           ;   in Loop: Header=BB287_2083 Depth=1
	s_or_b32 exec_lo, exec_lo, s12
	;;#ASMSTART
	v_pk_mul_f16 v3, v40, v111;

	;;#ASMEND
	;;#ASMSTART
	v_pk_mul_f16 v4, v119, v13;

	;;#ASMEND
	;; [unrolled: 4-line block ×4, first 2 shown]
	;;#ASMSTART
	v_pk_add_f16 v3, v3, v4;

	;;#ASMEND
	;;#ASMSTART
	v_pk_add_f16 v3, v3, v5;

	;;#ASMEND
	;;#ASMSTART
	v_pk_add_f16 v3, v3, v13;

	;;#ASMEND
	v_and_b32_e32 v4, 0xffff, v3
	v_lshrrev_b32_e32 v3, 16, v3
	;;#ASMSTART
	v_cvt_f32_f16 v109, v4;
	;;#ASMEND
	;;#ASMSTART
	v_cvt_f32_f16 v110, v3;
	;;#ASMEND
	flat_load_dwordx2 v[13:14], v[11:12] offset:1024
	flat_load_dword v111, v[22:23]
	v_mov_b32_e32 v120, 0
	v_mov_b32_e32 v121, 0
	s_waitcnt vmcnt(1) lgkmcnt(1)
	v_cmp_ne_u16_sdwa s12, v13, v6 src0_sel:BYTE_0 src1_sel:DWORD
	s_and_saveexec_b32 s26, s12
	s_cbranch_execz .LBB287_3940
; %bb.3933:                             ;   in Loop: Header=BB287_2083 Depth=1
	v_cmp_ne_u16_sdwa s12, v13, v48 src0_sel:BYTE_0 src1_sel:DWORD
	v_mov_b32_e32 v121, 0x8000
	s_and_saveexec_b32 s27, s12
	s_cbranch_execz .LBB287_3939
; %bb.3934:                             ;   in Loop: Header=BB287_2083 Depth=1
	v_and_b32_e32 v102, 0x7f, v13
	v_mov_b32_e32 v121, 0x7c01
	s_mov_b32 s28, exec_lo
	v_cmpx_ne_u32_e32 0x7f, v102
	s_cbranch_execz .LBB287_3938
; %bb.3935:                             ;   in Loop: Header=BB287_2083 Depth=1
	v_and_b32_e32 v5, 7, v13
	v_lshrrev_b32_e32 v101, 3, v102
	s_mov_b32 s29, exec_lo
	v_cmpx_gt_u32_e32 8, v102
; %bb.3936:                             ;   in Loop: Header=BB287_2083 Depth=1
	v_ffbh_u32_e32 v3, v5
	v_min_u32_e32 v3, 32, v3
	v_subrev_nc_u32_e32 v4, 28, v3
	v_sub_nc_u32_e32 v101, 29, v3
	v_lshlrev_b64 v[102:103], v4, v[13:14]
	v_and_b32_e32 v5, 7, v102
; %bb.3937:                             ;   in Loop: Header=BB287_2083 Depth=1
	s_or_b32 exec_lo, exec_lo, s29
	v_lshlrev_b32_e32 v3, 8, v13
	v_lshl_add_u32 v4, v101, 10, 0x2000
	v_lshlrev_b32_e32 v5, 7, v5
	v_and_b32_e32 v3, 0x8000, v3
	v_and_b32_e32 v4, 0xfc00, v4
	v_or3_b32 v121, v3, v4, v5
.LBB287_3938:                           ;   in Loop: Header=BB287_2083 Depth=1
	s_or_b32 exec_lo, exec_lo, s28
.LBB287_3939:                           ;   in Loop: Header=BB287_2083 Depth=1
	s_or_b32 exec_lo, exec_lo, s27
.LBB287_3940:                           ;   in Loop: Header=BB287_2083 Depth=1
	s_or_b32 exec_lo, exec_lo, s26
	v_lshrrev_b16 v5, 8, v13
	s_mov_b32 s26, exec_lo
	v_cmpx_ne_u16_e32 0, v5
	s_cbranch_execz .LBB287_3948
; %bb.3941:                             ;   in Loop: Header=BB287_2083 Depth=1
	v_bfrev_b32_e32 v120, 1
	s_mov_b32 s27, exec_lo
	v_cmpx_ne_u16_e32 0x80, v5
	s_cbranch_execz .LBB287_3947
; %bb.3942:                             ;   in Loop: Header=BB287_2083 Depth=1
	v_and_b32_sdwa v122, v5, v49 dst_sel:DWORD dst_unused:UNUSED_PAD src0_sel:WORD_0 src1_sel:DWORD
	v_mov_b32_e32 v120, 0x7c010000
	s_mov_b32 s28, exec_lo
	v_cmpx_ne_u32_e32 0x7f, v122
	s_cbranch_execz .LBB287_3946
; %bb.3943:                             ;   in Loop: Header=BB287_2083 Depth=1
	v_and_b32_sdwa v101, v5, v50 dst_sel:DWORD dst_unused:UNUSED_PAD src0_sel:WORD_0 src1_sel:DWORD
	v_lshrrev_b32_e32 v102, 3, v122
	s_mov_b32 s29, exec_lo
	v_cmpx_gt_u32_e32 8, v122
; %bb.3944:                             ;   in Loop: Header=BB287_2083 Depth=1
	v_ffbh_u32_e32 v3, v101
	v_min_u32_e32 v3, 32, v3
	v_subrev_nc_u32_e32 v4, 28, v3
	v_lshlrev_b64 v[101:102], v4, v[5:6]
	v_sub_nc_u32_e32 v102, 29, v3
	v_and_b32_e32 v101, 7, v101
; %bb.3945:                             ;   in Loop: Header=BB287_2083 Depth=1
	s_or_b32 exec_lo, exec_lo, s29
	v_lshlrev_b32_sdwa v3, v100, v5 dst_sel:DWORD dst_unused:UNUSED_PAD src0_sel:DWORD src1_sel:WORD_0
	v_lshl_add_u32 v4, v102, 10, 0x2000
	v_and_or_b32 v3, 0x8000, v3, v4
	v_lshlrev_b32_e32 v4, 23, v101
	v_lshl_or_b32 v120, v3, 16, v4
.LBB287_3946:                           ;   in Loop: Header=BB287_2083 Depth=1
	s_or_b32 exec_lo, exec_lo, s28
.LBB287_3947:                           ;   in Loop: Header=BB287_2083 Depth=1
	s_or_b32 exec_lo, exec_lo, s27
.LBB287_3948:                           ;   in Loop: Header=BB287_2083 Depth=1
	s_or_b32 exec_lo, exec_lo, s26
	v_lshrrev_b32_e32 v5, 16, v13
	v_mov_b32_e32 v122, 0
	v_mov_b32_e32 v123, 0
	v_cmp_ne_u16_sdwa s12, v5, v6 src0_sel:BYTE_0 src1_sel:DWORD
	s_and_saveexec_b32 s26, s12
	s_cbranch_execz .LBB287_3956
; %bb.3949:                             ;   in Loop: Header=BB287_2083 Depth=1
	v_cmp_ne_u16_sdwa s12, v5, v48 src0_sel:BYTE_0 src1_sel:DWORD
	v_mov_b32_e32 v123, 0x8000
	s_and_saveexec_b32 s27, s12
	s_cbranch_execz .LBB287_3955
; %bb.3950:                             ;   in Loop: Header=BB287_2083 Depth=1
	v_bfe_u32 v102, v13, 16, 7
	v_mov_b32_e32 v123, 0x7c01
	s_mov_b32 s28, exec_lo
	v_cmpx_ne_u32_e32 0x7f, v102
	s_cbranch_execz .LBB287_3954
; %bb.3951:                             ;   in Loop: Header=BB287_2083 Depth=1
	v_and_b32_e32 v101, 7, v5
	v_lshrrev_b32_e32 v123, 3, v102
	s_mov_b32 s29, exec_lo
	v_cmpx_gt_u32_e32 8, v102
; %bb.3952:                             ;   in Loop: Header=BB287_2083 Depth=1
	v_ffbh_u32_e32 v3, v101
	v_min_u32_e32 v3, 32, v3
	v_subrev_nc_u32_e32 v4, 28, v3
	v_sub_nc_u32_e32 v123, 29, v3
	v_lshlrev_b64 v[101:102], v4, v[5:6]
	v_and_b32_e32 v101, 7, v101
; %bb.3953:                             ;   in Loop: Header=BB287_2083 Depth=1
	s_or_b32 exec_lo, exec_lo, s29
	v_lshlrev_b32_e32 v3, 8, v5
	v_lshl_add_u32 v4, v123, 10, 0x2000
	v_lshlrev_b32_e32 v5, 7, v101
	v_and_b32_e32 v3, 0x8000, v3
	v_and_b32_e32 v4, 0xfc00, v4
	v_or3_b32 v123, v3, v4, v5
.LBB287_3954:                           ;   in Loop: Header=BB287_2083 Depth=1
	s_or_b32 exec_lo, exec_lo, s28
.LBB287_3955:                           ;   in Loop: Header=BB287_2083 Depth=1
	s_or_b32 exec_lo, exec_lo, s27
.LBB287_3956:                           ;   in Loop: Header=BB287_2083 Depth=1
	s_or_b32 exec_lo, exec_lo, s26
	s_mov_b32 s26, exec_lo
	v_cmpx_lt_u32_e32 0xffffff, v13
	s_cbranch_execz .LBB287_3964
; %bb.3957:                             ;   in Loop: Header=BB287_2083 Depth=1
	v_lshrrev_b32_e32 v5, 24, v13
	v_bfrev_b32_e32 v122, 1
	s_mov_b32 s27, exec_lo
	v_cmpx_ne_u32_e32 0x80, v5
	s_cbranch_execz .LBB287_3963
; %bb.3958:                             ;   in Loop: Header=BB287_2083 Depth=1
	v_and_b32_e32 v124, 0x7f, v5
	v_mov_b32_e32 v122, 0x7c010000
	s_mov_b32 s28, exec_lo
	v_cmpx_ne_u32_e32 0x7f, v124
	s_cbranch_execz .LBB287_3962
; %bb.3959:                             ;   in Loop: Header=BB287_2083 Depth=1
	v_and_b32_e32 v101, 7, v5
	v_lshrrev_b32_e32 v102, 3, v124
	s_mov_b32 s29, exec_lo
	v_cmpx_gt_u32_e32 8, v124
; %bb.3960:                             ;   in Loop: Header=BB287_2083 Depth=1
	v_ffbh_u32_e32 v3, v101
	v_min_u32_e32 v3, 32, v3
	v_subrev_nc_u32_e32 v4, 28, v3
	v_lshlrev_b64 v[101:102], v4, v[5:6]
	v_sub_nc_u32_e32 v102, 29, v3
	v_and_b32_e32 v101, 7, v101
; %bb.3961:                             ;   in Loop: Header=BB287_2083 Depth=1
	s_or_b32 exec_lo, exec_lo, s29
	v_lshlrev_b32_e32 v3, 8, v5
	v_lshl_add_u32 v4, v102, 10, 0x2000
	v_and_or_b32 v3, 0x8000, v3, v4
	v_lshlrev_b32_e32 v4, 23, v101
	v_lshl_or_b32 v122, v3, 16, v4
.LBB287_3962:                           ;   in Loop: Header=BB287_2083 Depth=1
	s_or_b32 exec_lo, exec_lo, s28
.LBB287_3963:                           ;   in Loop: Header=BB287_2083 Depth=1
	s_or_b32 exec_lo, exec_lo, s27
.LBB287_3964:                           ;   in Loop: Header=BB287_2083 Depth=1
	s_or_b32 exec_lo, exec_lo, s26
	v_mov_b32_e32 v5, v14
	v_cmp_ne_u16_sdwa s12, v14, v6 src0_sel:BYTE_0 src1_sel:DWORD
	v_mov_b32_e32 v124, 0
	v_mov_b32_e32 v125, 0
	s_and_saveexec_b32 s26, s12
	s_cbranch_execz .LBB287_3972
; %bb.3965:                             ;   in Loop: Header=BB287_2083 Depth=1
	v_cmp_ne_u16_sdwa s12, v14, v48 src0_sel:BYTE_0 src1_sel:DWORD
	v_mov_b32_e32 v125, 0x8000
	s_and_saveexec_b32 s27, s12
	s_cbranch_execz .LBB287_3971
; %bb.3966:                             ;   in Loop: Header=BB287_2083 Depth=1
	v_and_b32_e32 v102, 0x7f, v14
	v_mov_b32_e32 v125, 0x7c01
	s_mov_b32 s28, exec_lo
	v_cmpx_ne_u32_e32 0x7f, v102
	s_cbranch_execz .LBB287_3970
; %bb.3967:                             ;   in Loop: Header=BB287_2083 Depth=1
	v_and_b32_e32 v101, 7, v14
	v_lshrrev_b32_e32 v125, 3, v102
	s_mov_b32 s29, exec_lo
	v_cmpx_gt_u32_e32 8, v102
; %bb.3968:                             ;   in Loop: Header=BB287_2083 Depth=1
	v_ffbh_u32_e32 v3, v101
	v_min_u32_e32 v3, 32, v3
	v_subrev_nc_u32_e32 v4, 28, v3
	v_sub_nc_u32_e32 v125, 29, v3
	v_lshlrev_b64 v[101:102], v4, v[5:6]
	v_and_b32_e32 v101, 7, v101
; %bb.3969:                             ;   in Loop: Header=BB287_2083 Depth=1
	s_or_b32 exec_lo, exec_lo, s29
	v_lshlrev_b32_e32 v3, 8, v14
	v_lshl_add_u32 v4, v125, 10, 0x2000
	v_lshlrev_b32_e32 v101, 7, v101
	v_and_b32_e32 v3, 0x8000, v3
	v_and_b32_e32 v4, 0xfc00, v4
	v_or3_b32 v125, v3, v4, v101
.LBB287_3970:                           ;   in Loop: Header=BB287_2083 Depth=1
	s_or_b32 exec_lo, exec_lo, s28
.LBB287_3971:                           ;   in Loop: Header=BB287_2083 Depth=1
	s_or_b32 exec_lo, exec_lo, s27
.LBB287_3972:                           ;   in Loop: Header=BB287_2083 Depth=1
	s_or_b32 exec_lo, exec_lo, s26
	v_lshrrev_b16 v5, 8, v5
	v_mov_b32_e32 v126, 0
	s_mov_b32 s26, exec_lo
	v_cmpx_ne_u16_e32 0, v5
	s_cbranch_execz .LBB287_3980
; %bb.3973:                             ;   in Loop: Header=BB287_2083 Depth=1
	v_bfrev_b32_e32 v126, 1
	s_mov_b32 s27, exec_lo
	v_cmpx_ne_u16_e32 0x80, v5
	s_cbranch_execz .LBB287_3979
; %bb.3974:                             ;   in Loop: Header=BB287_2083 Depth=1
	v_and_b32_sdwa v127, v5, v49 dst_sel:DWORD dst_unused:UNUSED_PAD src0_sel:WORD_0 src1_sel:DWORD
	v_mov_b32_e32 v126, 0x7c010000
	s_mov_b32 s28, exec_lo
	v_cmpx_ne_u32_e32 0x7f, v127
	s_cbranch_execz .LBB287_3978
; %bb.3975:                             ;   in Loop: Header=BB287_2083 Depth=1
	v_and_b32_sdwa v101, v5, v50 dst_sel:DWORD dst_unused:UNUSED_PAD src0_sel:WORD_0 src1_sel:DWORD
	v_lshrrev_b32_e32 v102, 3, v127
	s_mov_b32 s29, exec_lo
	v_cmpx_gt_u32_e32 8, v127
; %bb.3976:                             ;   in Loop: Header=BB287_2083 Depth=1
	v_ffbh_u32_e32 v3, v101
	v_min_u32_e32 v3, 32, v3
	v_subrev_nc_u32_e32 v4, 28, v3
	v_lshlrev_b64 v[101:102], v4, v[5:6]
	v_sub_nc_u32_e32 v102, 29, v3
	v_and_b32_e32 v101, 7, v101
; %bb.3977:                             ;   in Loop: Header=BB287_2083 Depth=1
	s_or_b32 exec_lo, exec_lo, s29
	v_lshlrev_b32_sdwa v3, v100, v5 dst_sel:DWORD dst_unused:UNUSED_PAD src0_sel:DWORD src1_sel:WORD_0
	v_lshl_add_u32 v4, v102, 10, 0x2000
	v_and_or_b32 v3, 0x8000, v3, v4
	v_lshlrev_b32_e32 v4, 23, v101
	v_lshl_or_b32 v126, v3, 16, v4
.LBB287_3978:                           ;   in Loop: Header=BB287_2083 Depth=1
	s_or_b32 exec_lo, exec_lo, s28
.LBB287_3979:                           ;   in Loop: Header=BB287_2083 Depth=1
	s_or_b32 exec_lo, exec_lo, s27
.LBB287_3980:                           ;   in Loop: Header=BB287_2083 Depth=1
	s_or_b32 exec_lo, exec_lo, s26
	v_lshrrev_b32_e32 v5, 16, v14
	v_cmp_ne_u16_sdwa s12, v5, v6 src0_sel:BYTE_0 src1_sel:DWORD
	s_and_saveexec_b32 s26, s12
	s_cbranch_execz .LBB287_3988
; %bb.3981:                             ;   in Loop: Header=BB287_2083 Depth=1
	v_cmp_ne_u16_sdwa s12, v5, v48 src0_sel:BYTE_0 src1_sel:DWORD
	v_mov_b32_e32 v124, 0x8000
	s_and_saveexec_b32 s27, s12
	s_cbranch_execz .LBB287_3987
; %bb.3982:                             ;   in Loop: Header=BB287_2083 Depth=1
	v_bfe_u32 v102, v14, 16, 7
	v_mov_b32_e32 v124, 0x7c01
	s_mov_b32 s28, exec_lo
	v_cmpx_ne_u32_e32 0x7f, v102
	s_cbranch_execz .LBB287_3986
; %bb.3983:                             ;   in Loop: Header=BB287_2083 Depth=1
	v_and_b32_e32 v101, 7, v5
	v_lshrrev_b32_e32 v124, 3, v102
	s_mov_b32 s29, exec_lo
	v_cmpx_gt_u32_e32 8, v102
; %bb.3984:                             ;   in Loop: Header=BB287_2083 Depth=1
	v_ffbh_u32_e32 v3, v101
	v_min_u32_e32 v3, 32, v3
	v_subrev_nc_u32_e32 v4, 28, v3
	v_sub_nc_u32_e32 v124, 29, v3
	v_lshlrev_b64 v[101:102], v4, v[5:6]
	v_and_b32_e32 v101, 7, v101
; %bb.3985:                             ;   in Loop: Header=BB287_2083 Depth=1
	s_or_b32 exec_lo, exec_lo, s29
	v_lshlrev_b32_e32 v3, 8, v5
	v_lshl_add_u32 v4, v124, 10, 0x2000
	v_lshlrev_b32_e32 v5, 7, v101
	v_and_b32_e32 v3, 0x8000, v3
	v_and_b32_e32 v4, 0xfc00, v4
	v_or3_b32 v124, v3, v4, v5
.LBB287_3986:                           ;   in Loop: Header=BB287_2083 Depth=1
	s_or_b32 exec_lo, exec_lo, s28
.LBB287_3987:                           ;   in Loop: Header=BB287_2083 Depth=1
	s_or_b32 exec_lo, exec_lo, s27
.LBB287_3988:                           ;   in Loop: Header=BB287_2083 Depth=1
	s_or_b32 exec_lo, exec_lo, s26
	v_cmp_lt_u64_e64 s12, s[22:23], v[13:14]
	v_mov_b32_e32 v13, 0
	s_and_saveexec_b32 s26, s12
	s_cbranch_execz .LBB287_3996
; %bb.3989:                             ;   in Loop: Header=BB287_2083 Depth=1
	v_lshrrev_b32_e32 v5, 24, v14
	v_bfrev_b32_e32 v13, 1
	s_mov_b32 s27, exec_lo
	v_cmpx_ne_u32_e32 0x80, v5
	s_cbranch_execz .LBB287_3995
; %bb.3990:                             ;   in Loop: Header=BB287_2083 Depth=1
	v_and_b32_e32 v101, 0x7f, v5
	v_mov_b32_e32 v13, 0x7c010000
	s_mov_b32 s28, exec_lo
	v_cmpx_ne_u32_e32 0x7f, v101
	s_cbranch_execz .LBB287_3994
; %bb.3991:                             ;   in Loop: Header=BB287_2083 Depth=1
	v_and_b32_e32 v13, 7, v5
	v_lshrrev_b32_e32 v14, 3, v101
	s_mov_b32 s29, exec_lo
	v_cmpx_gt_u32_e32 8, v101
; %bb.3992:                             ;   in Loop: Header=BB287_2083 Depth=1
	v_ffbh_u32_e32 v3, v13
	v_min_u32_e32 v3, 32, v3
	v_subrev_nc_u32_e32 v4, 28, v3
	v_lshlrev_b64 v[13:14], v4, v[5:6]
	v_sub_nc_u32_e32 v14, 29, v3
	v_and_b32_e32 v13, 7, v13
; %bb.3993:                             ;   in Loop: Header=BB287_2083 Depth=1
	s_or_b32 exec_lo, exec_lo, s29
	v_lshlrev_b32_e32 v3, 8, v5
	v_lshl_add_u32 v4, v14, 10, 0x2000
	v_and_or_b32 v3, 0x8000, v3, v4
	v_lshlrev_b32_e32 v4, 23, v13
	v_lshl_or_b32 v13, v3, 16, v4
.LBB287_3994:                           ;   in Loop: Header=BB287_2083 Depth=1
	s_or_b32 exec_lo, exec_lo, s28
.LBB287_3995:                           ;   in Loop: Header=BB287_2083 Depth=1
	s_or_b32 exec_lo, exec_lo, s27
.LBB287_3996:                           ;   in Loop: Header=BB287_2083 Depth=1
	s_or_b32 exec_lo, exec_lo, s26
	v_or_b32_e32 v3, v122, v123
	s_waitcnt vmcnt(0) lgkmcnt(0)
	v_fma_mixlo_f16 v4, v111, v122, 0 op_sel:[0,1,0] op_sel_hi:[0,1,0]
	v_or_b32_e32 v14, v120, v121
	v_or_b32_e32 v102, v126, v125
	;; [unrolled: 1-line block ×3, first 2 shown]
	v_fma_mixlo_f16 v3, v111, v3, 0 op_sel_hi:[0,1,0]
	v_fma_mixlo_f16 v101, v111, v120, 0 op_sel:[0,1,0] op_sel_hi:[0,1,0]
	v_lshlrev_b32_e32 v5, 16, v4
	v_fma_mixlo_f16 v4, v111, v14, 0 op_sel_hi:[0,1,0]
	v_fma_mixlo_f16 v120, v111, v102, 0 op_sel_hi:[0,1,0]
	v_and_b32_e32 v14, 0xffff, v3
	v_fma_mixlo_f16 v3, v111, v126, 0 op_sel:[0,1,0] op_sel_hi:[0,1,0]
	v_fma_mixlo_f16 v13, v111, v13, 0 op_sel:[0,1,0] op_sel_hi:[0,1,0]
	v_fma_mixlo_f16 v103, v111, v103, 0 op_sel_hi:[0,1,0]
	v_lshlrev_b32_e32 v101, 16, v101
	v_and_b32_e32 v102, 0xffff, v4
	v_lshlrev_b32_e32 v123, 16, v3
	v_and_b32_e32 v125, 0xffff, v120
	;; [unrolled: 2-line block ×3, first 2 shown]
	v_or_b32_e32 v13, v5, v14
	v_or_b32_e32 v121, v101, v102
	;; [unrolled: 1-line block ×4, first 2 shown]
	s_and_saveexec_b32 s12, s4
	s_cbranch_execz .LBB287_3998
; %bb.3997:                             ;   in Loop: Header=BB287_2083 Depth=1
	v_cndmask_b32_e32 v3, 0, v102, vcc_lo
	v_cndmask_b32_e64 v4, 0, v101, s7
	v_cndmask_b32_e64 v13, 0, v14, s5
	;; [unrolled: 1-line block ×7, first 2 shown]
	v_or_b32_e32 v121, v3, v4
	v_or_b32_e32 v13, v13, v5
	;; [unrolled: 1-line block ×4, first 2 shown]
.LBB287_3998:                           ;   in Loop: Header=BB287_2083 Depth=1
	s_or_b32 exec_lo, exec_lo, s12
	;;#ASMSTART
	v_pk_mul_f16 v3, v40, v121;

	;;#ASMEND
	;;#ASMSTART
	v_pk_mul_f16 v4, v119, v13;

	;;#ASMEND
	;; [unrolled: 4-line block ×4, first 2 shown]
	;;#ASMSTART
	v_pk_add_f16 v3, v3, v4;

	;;#ASMEND
	;;#ASMSTART
	v_pk_add_f16 v3, v3, v5;

	;;#ASMEND
	;; [unrolled: 4-line block ×3, first 2 shown]
	v_and_b32_e32 v4, 0xffff, v3
	v_lshrrev_b32_e32 v3, 16, v3
	;;#ASMSTART
	v_cvt_f32_f16 v111, v4;
	;;#ASMEND
	;;#ASMSTART
	v_cvt_f32_f16 v120, v3;
	;;#ASMEND
	flat_load_dwordx2 v[13:14], v[11:12] offset:1280
	flat_load_dword v121, v[22:23]
	v_mov_b32_e32 v122, 0
	v_mov_b32_e32 v123, 0
	s_waitcnt vmcnt(1) lgkmcnt(1)
	v_cmp_ne_u16_sdwa s12, v13, v6 src0_sel:BYTE_0 src1_sel:DWORD
	s_and_saveexec_b32 s26, s12
	s_cbranch_execz .LBB287_4006
; %bb.3999:                             ;   in Loop: Header=BB287_2083 Depth=1
	v_cmp_ne_u16_sdwa s12, v13, v48 src0_sel:BYTE_0 src1_sel:DWORD
	v_mov_b32_e32 v123, 0x8000
	s_and_saveexec_b32 s27, s12
	s_cbranch_execz .LBB287_4005
; %bb.4000:                             ;   in Loop: Header=BB287_2083 Depth=1
	v_and_b32_e32 v102, 0x7f, v13
	v_mov_b32_e32 v123, 0x7c01
	s_mov_b32 s28, exec_lo
	v_cmpx_ne_u32_e32 0x7f, v102
	s_cbranch_execz .LBB287_4004
; %bb.4001:                             ;   in Loop: Header=BB287_2083 Depth=1
	v_and_b32_e32 v5, 7, v13
	v_lshrrev_b32_e32 v101, 3, v102
	s_mov_b32 s29, exec_lo
	v_cmpx_gt_u32_e32 8, v102
; %bb.4002:                             ;   in Loop: Header=BB287_2083 Depth=1
	v_ffbh_u32_e32 v3, v5
	v_min_u32_e32 v3, 32, v3
	v_subrev_nc_u32_e32 v4, 28, v3
	v_sub_nc_u32_e32 v101, 29, v3
	v_lshlrev_b64 v[102:103], v4, v[13:14]
	v_and_b32_e32 v5, 7, v102
; %bb.4003:                             ;   in Loop: Header=BB287_2083 Depth=1
	s_or_b32 exec_lo, exec_lo, s29
	v_lshlrev_b32_e32 v3, 8, v13
	v_lshl_add_u32 v4, v101, 10, 0x2000
	v_lshlrev_b32_e32 v5, 7, v5
	v_and_b32_e32 v3, 0x8000, v3
	v_and_b32_e32 v4, 0xfc00, v4
	v_or3_b32 v123, v3, v4, v5
.LBB287_4004:                           ;   in Loop: Header=BB287_2083 Depth=1
	s_or_b32 exec_lo, exec_lo, s28
.LBB287_4005:                           ;   in Loop: Header=BB287_2083 Depth=1
	s_or_b32 exec_lo, exec_lo, s27
.LBB287_4006:                           ;   in Loop: Header=BB287_2083 Depth=1
	s_or_b32 exec_lo, exec_lo, s26
	v_lshrrev_b16 v5, 8, v13
	s_mov_b32 s26, exec_lo
	v_cmpx_ne_u16_e32 0, v5
	s_cbranch_execz .LBB287_4014
; %bb.4007:                             ;   in Loop: Header=BB287_2083 Depth=1
	v_bfrev_b32_e32 v122, 1
	s_mov_b32 s27, exec_lo
	v_cmpx_ne_u16_e32 0x80, v5
	s_cbranch_execz .LBB287_4013
; %bb.4008:                             ;   in Loop: Header=BB287_2083 Depth=1
	v_and_b32_sdwa v124, v5, v49 dst_sel:DWORD dst_unused:UNUSED_PAD src0_sel:WORD_0 src1_sel:DWORD
	v_mov_b32_e32 v122, 0x7c010000
	s_mov_b32 s28, exec_lo
	v_cmpx_ne_u32_e32 0x7f, v124
	s_cbranch_execz .LBB287_4012
; %bb.4009:                             ;   in Loop: Header=BB287_2083 Depth=1
	v_and_b32_sdwa v101, v5, v50 dst_sel:DWORD dst_unused:UNUSED_PAD src0_sel:WORD_0 src1_sel:DWORD
	v_lshrrev_b32_e32 v102, 3, v124
	s_mov_b32 s29, exec_lo
	v_cmpx_gt_u32_e32 8, v124
; %bb.4010:                             ;   in Loop: Header=BB287_2083 Depth=1
	v_ffbh_u32_e32 v3, v101
	v_min_u32_e32 v3, 32, v3
	v_subrev_nc_u32_e32 v4, 28, v3
	v_lshlrev_b64 v[101:102], v4, v[5:6]
	v_sub_nc_u32_e32 v102, 29, v3
	v_and_b32_e32 v101, 7, v101
; %bb.4011:                             ;   in Loop: Header=BB287_2083 Depth=1
	s_or_b32 exec_lo, exec_lo, s29
	v_lshlrev_b32_sdwa v3, v100, v5 dst_sel:DWORD dst_unused:UNUSED_PAD src0_sel:DWORD src1_sel:WORD_0
	v_lshl_add_u32 v4, v102, 10, 0x2000
	v_and_or_b32 v3, 0x8000, v3, v4
	v_lshlrev_b32_e32 v4, 23, v101
	v_lshl_or_b32 v122, v3, 16, v4
.LBB287_4012:                           ;   in Loop: Header=BB287_2083 Depth=1
	s_or_b32 exec_lo, exec_lo, s28
.LBB287_4013:                           ;   in Loop: Header=BB287_2083 Depth=1
	s_or_b32 exec_lo, exec_lo, s27
.LBB287_4014:                           ;   in Loop: Header=BB287_2083 Depth=1
	s_or_b32 exec_lo, exec_lo, s26
	v_lshrrev_b32_e32 v5, 16, v13
	v_mov_b32_e32 v124, 0
	v_mov_b32_e32 v125, 0
	v_cmp_ne_u16_sdwa s12, v5, v6 src0_sel:BYTE_0 src1_sel:DWORD
	s_and_saveexec_b32 s26, s12
	s_cbranch_execz .LBB287_4022
; %bb.4015:                             ;   in Loop: Header=BB287_2083 Depth=1
	v_cmp_ne_u16_sdwa s12, v5, v48 src0_sel:BYTE_0 src1_sel:DWORD
	v_mov_b32_e32 v125, 0x8000
	s_and_saveexec_b32 s27, s12
	s_cbranch_execz .LBB287_4021
; %bb.4016:                             ;   in Loop: Header=BB287_2083 Depth=1
	v_bfe_u32 v102, v13, 16, 7
	v_mov_b32_e32 v125, 0x7c01
	s_mov_b32 s28, exec_lo
	v_cmpx_ne_u32_e32 0x7f, v102
	s_cbranch_execz .LBB287_4020
; %bb.4017:                             ;   in Loop: Header=BB287_2083 Depth=1
	v_and_b32_e32 v101, 7, v5
	v_lshrrev_b32_e32 v125, 3, v102
	s_mov_b32 s29, exec_lo
	v_cmpx_gt_u32_e32 8, v102
; %bb.4018:                             ;   in Loop: Header=BB287_2083 Depth=1
	v_ffbh_u32_e32 v3, v101
	v_min_u32_e32 v3, 32, v3
	v_subrev_nc_u32_e32 v4, 28, v3
	v_sub_nc_u32_e32 v125, 29, v3
	v_lshlrev_b64 v[101:102], v4, v[5:6]
	v_and_b32_e32 v101, 7, v101
; %bb.4019:                             ;   in Loop: Header=BB287_2083 Depth=1
	s_or_b32 exec_lo, exec_lo, s29
	v_lshlrev_b32_e32 v3, 8, v5
	v_lshl_add_u32 v4, v125, 10, 0x2000
	v_lshlrev_b32_e32 v5, 7, v101
	v_and_b32_e32 v3, 0x8000, v3
	v_and_b32_e32 v4, 0xfc00, v4
	v_or3_b32 v125, v3, v4, v5
.LBB287_4020:                           ;   in Loop: Header=BB287_2083 Depth=1
	s_or_b32 exec_lo, exec_lo, s28
.LBB287_4021:                           ;   in Loop: Header=BB287_2083 Depth=1
	s_or_b32 exec_lo, exec_lo, s27
.LBB287_4022:                           ;   in Loop: Header=BB287_2083 Depth=1
	s_or_b32 exec_lo, exec_lo, s26
	s_mov_b32 s26, exec_lo
	v_cmpx_lt_u32_e32 0xffffff, v13
	s_cbranch_execz .LBB287_4030
; %bb.4023:                             ;   in Loop: Header=BB287_2083 Depth=1
	v_lshrrev_b32_e32 v5, 24, v13
	v_bfrev_b32_e32 v124, 1
	s_mov_b32 s27, exec_lo
	v_cmpx_ne_u32_e32 0x80, v5
	s_cbranch_execz .LBB287_4029
; %bb.4024:                             ;   in Loop: Header=BB287_2083 Depth=1
	v_and_b32_e32 v126, 0x7f, v5
	v_mov_b32_e32 v124, 0x7c010000
	s_mov_b32 s28, exec_lo
	v_cmpx_ne_u32_e32 0x7f, v126
	s_cbranch_execz .LBB287_4028
; %bb.4025:                             ;   in Loop: Header=BB287_2083 Depth=1
	v_and_b32_e32 v101, 7, v5
	v_lshrrev_b32_e32 v102, 3, v126
	s_mov_b32 s29, exec_lo
	v_cmpx_gt_u32_e32 8, v126
; %bb.4026:                             ;   in Loop: Header=BB287_2083 Depth=1
	v_ffbh_u32_e32 v3, v101
	v_min_u32_e32 v3, 32, v3
	v_subrev_nc_u32_e32 v4, 28, v3
	v_lshlrev_b64 v[101:102], v4, v[5:6]
	v_sub_nc_u32_e32 v102, 29, v3
	v_and_b32_e32 v101, 7, v101
; %bb.4027:                             ;   in Loop: Header=BB287_2083 Depth=1
	s_or_b32 exec_lo, exec_lo, s29
	v_lshlrev_b32_e32 v3, 8, v5
	v_lshl_add_u32 v4, v102, 10, 0x2000
	v_and_or_b32 v3, 0x8000, v3, v4
	v_lshlrev_b32_e32 v4, 23, v101
	v_lshl_or_b32 v124, v3, 16, v4
.LBB287_4028:                           ;   in Loop: Header=BB287_2083 Depth=1
	s_or_b32 exec_lo, exec_lo, s28
.LBB287_4029:                           ;   in Loop: Header=BB287_2083 Depth=1
	s_or_b32 exec_lo, exec_lo, s27
.LBB287_4030:                           ;   in Loop: Header=BB287_2083 Depth=1
	s_or_b32 exec_lo, exec_lo, s26
	v_mov_b32_e32 v5, v14
	v_cmp_ne_u16_sdwa s12, v14, v6 src0_sel:BYTE_0 src1_sel:DWORD
	v_mov_b32_e32 v126, 0
	v_mov_b32_e32 v127, 0
	s_and_saveexec_b32 s26, s12
	s_cbranch_execz .LBB287_4038
; %bb.4031:                             ;   in Loop: Header=BB287_2083 Depth=1
	v_cmp_ne_u16_sdwa s12, v14, v48 src0_sel:BYTE_0 src1_sel:DWORD
	v_mov_b32_e32 v127, 0x8000
	s_and_saveexec_b32 s27, s12
	s_cbranch_execz .LBB287_4037
; %bb.4032:                             ;   in Loop: Header=BB287_2083 Depth=1
	v_and_b32_e32 v102, 0x7f, v14
	v_mov_b32_e32 v127, 0x7c01
	s_mov_b32 s28, exec_lo
	v_cmpx_ne_u32_e32 0x7f, v102
	s_cbranch_execz .LBB287_4036
; %bb.4033:                             ;   in Loop: Header=BB287_2083 Depth=1
	v_and_b32_e32 v101, 7, v14
	v_lshrrev_b32_e32 v127, 3, v102
	s_mov_b32 s29, exec_lo
	v_cmpx_gt_u32_e32 8, v102
; %bb.4034:                             ;   in Loop: Header=BB287_2083 Depth=1
	v_ffbh_u32_e32 v3, v101
	v_min_u32_e32 v3, 32, v3
	v_subrev_nc_u32_e32 v4, 28, v3
	v_sub_nc_u32_e32 v127, 29, v3
	v_lshlrev_b64 v[101:102], v4, v[5:6]
	v_and_b32_e32 v101, 7, v101
; %bb.4035:                             ;   in Loop: Header=BB287_2083 Depth=1
	s_or_b32 exec_lo, exec_lo, s29
	v_lshlrev_b32_e32 v3, 8, v14
	v_lshl_add_u32 v4, v127, 10, 0x2000
	v_lshlrev_b32_e32 v101, 7, v101
	v_and_b32_e32 v3, 0x8000, v3
	v_and_b32_e32 v4, 0xfc00, v4
	v_or3_b32 v127, v3, v4, v101
.LBB287_4036:                           ;   in Loop: Header=BB287_2083 Depth=1
	s_or_b32 exec_lo, exec_lo, s28
.LBB287_4037:                           ;   in Loop: Header=BB287_2083 Depth=1
	s_or_b32 exec_lo, exec_lo, s27
.LBB287_4038:                           ;   in Loop: Header=BB287_2083 Depth=1
	s_or_b32 exec_lo, exec_lo, s26
	v_lshrrev_b16 v5, 8, v5
	v_mov_b32_e32 v101, 0
	s_mov_b32 s26, exec_lo
	v_cmpx_ne_u16_e32 0, v5
	s_cbranch_execz .LBB287_4046
; %bb.4039:                             ;   in Loop: Header=BB287_2083 Depth=1
	v_bfrev_b32_e32 v101, 1
	s_mov_b32 s27, exec_lo
	v_cmpx_ne_u16_e32 0x80, v5
	s_cbranch_execz .LBB287_4045
; %bb.4040:                             ;   in Loop: Header=BB287_2083 Depth=1
	v_and_b32_sdwa v103, v5, v49 dst_sel:DWORD dst_unused:UNUSED_PAD src0_sel:WORD_0 src1_sel:DWORD
	v_mov_b32_e32 v101, 0x7c010000
	s_mov_b32 s28, exec_lo
	v_cmpx_ne_u32_e32 0x7f, v103
	s_cbranch_execz .LBB287_4044
; %bb.4041:                             ;   in Loop: Header=BB287_2083 Depth=1
	v_and_b32_sdwa v101, v5, v50 dst_sel:DWORD dst_unused:UNUSED_PAD src0_sel:WORD_0 src1_sel:DWORD
	v_lshrrev_b32_e32 v102, 3, v103
	s_mov_b32 s29, exec_lo
	v_cmpx_gt_u32_e32 8, v103
; %bb.4042:                             ;   in Loop: Header=BB287_2083 Depth=1
	v_ffbh_u32_e32 v3, v101
	v_min_u32_e32 v3, 32, v3
	v_subrev_nc_u32_e32 v4, 28, v3
	v_lshlrev_b64 v[101:102], v4, v[5:6]
	v_sub_nc_u32_e32 v102, 29, v3
	v_and_b32_e32 v101, 7, v101
; %bb.4043:                             ;   in Loop: Header=BB287_2083 Depth=1
	s_or_b32 exec_lo, exec_lo, s29
	v_lshlrev_b32_sdwa v3, v100, v5 dst_sel:DWORD dst_unused:UNUSED_PAD src0_sel:DWORD src1_sel:WORD_0
	v_lshl_add_u32 v4, v102, 10, 0x2000
	v_and_or_b32 v3, 0x8000, v3, v4
	v_lshlrev_b32_e32 v4, 23, v101
	v_lshl_or_b32 v101, v3, 16, v4
.LBB287_4044:                           ;   in Loop: Header=BB287_2083 Depth=1
	s_or_b32 exec_lo, exec_lo, s28
.LBB287_4045:                           ;   in Loop: Header=BB287_2083 Depth=1
	s_or_b32 exec_lo, exec_lo, s27
.LBB287_4046:                           ;   in Loop: Header=BB287_2083 Depth=1
	s_or_b32 exec_lo, exec_lo, s26
	v_lshrrev_b32_e32 v5, 16, v14
	v_cmp_ne_u16_sdwa s12, v5, v6 src0_sel:BYTE_0 src1_sel:DWORD
	s_and_saveexec_b32 s26, s12
	s_cbranch_execz .LBB287_4054
; %bb.4047:                             ;   in Loop: Header=BB287_2083 Depth=1
	v_cmp_ne_u16_sdwa s12, v5, v48 src0_sel:BYTE_0 src1_sel:DWORD
	v_mov_b32_e32 v126, 0x8000
	s_and_saveexec_b32 s27, s12
	s_cbranch_execz .LBB287_4053
; %bb.4048:                             ;   in Loop: Header=BB287_2083 Depth=1
	v_bfe_u32 v103, v14, 16, 7
	v_mov_b32_e32 v126, 0x7c01
	s_mov_b32 s28, exec_lo
	v_cmpx_ne_u32_e32 0x7f, v103
	s_cbranch_execz .LBB287_4052
; %bb.4049:                             ;   in Loop: Header=BB287_2083 Depth=1
	v_and_b32_e32 v126, 7, v5
	v_lshrrev_b32_e32 v102, 3, v103
	s_mov_b32 s29, exec_lo
	v_cmpx_gt_u32_e32 8, v103
; %bb.4050:                             ;   in Loop: Header=BB287_2083 Depth=1
	v_ffbh_u32_e32 v3, v126
	v_min_u32_e32 v102, 32, v3
	v_subrev_nc_u32_e32 v3, 28, v102
	v_sub_nc_u32_e32 v102, 29, v102
	v_lshlrev_b64 v[3:4], v3, v[5:6]
	v_and_b32_e32 v126, 7, v3
; %bb.4051:                             ;   in Loop: Header=BB287_2083 Depth=1
	s_or_b32 exec_lo, exec_lo, s29
	v_lshlrev_b32_e32 v3, 8, v5
	v_lshl_add_u32 v4, v102, 10, 0x2000
	v_lshlrev_b32_e32 v5, 7, v126
	v_and_b32_e32 v3, 0x8000, v3
	v_and_b32_e32 v4, 0xfc00, v4
	v_or3_b32 v126, v3, v4, v5
.LBB287_4052:                           ;   in Loop: Header=BB287_2083 Depth=1
	s_or_b32 exec_lo, exec_lo, s28
.LBB287_4053:                           ;   in Loop: Header=BB287_2083 Depth=1
	s_or_b32 exec_lo, exec_lo, s27
.LBB287_4054:                           ;   in Loop: Header=BB287_2083 Depth=1
	s_or_b32 exec_lo, exec_lo, s26
	v_cmp_lt_u64_e64 s12, s[22:23], v[13:14]
	v_mov_b32_e32 v13, 0
	s_and_saveexec_b32 s26, s12
	s_cbranch_execz .LBB287_4062
; %bb.4055:                             ;   in Loop: Header=BB287_2083 Depth=1
	v_lshrrev_b32_e32 v5, 24, v14
	v_bfrev_b32_e32 v13, 1
	s_mov_b32 s27, exec_lo
	v_cmpx_ne_u32_e32 0x80, v5
	s_cbranch_execz .LBB287_4061
; %bb.4056:                             ;   in Loop: Header=BB287_2083 Depth=1
	v_and_b32_e32 v102, 0x7f, v5
	v_mov_b32_e32 v13, 0x7c010000
	s_mov_b32 s28, exec_lo
	v_cmpx_ne_u32_e32 0x7f, v102
	s_cbranch_execz .LBB287_4060
; %bb.4057:                             ;   in Loop: Header=BB287_2083 Depth=1
	v_and_b32_e32 v13, 7, v5
	v_lshrrev_b32_e32 v14, 3, v102
	s_mov_b32 s29, exec_lo
	v_cmpx_gt_u32_e32 8, v102
; %bb.4058:                             ;   in Loop: Header=BB287_2083 Depth=1
	v_ffbh_u32_e32 v3, v13
	v_min_u32_e32 v13, 32, v3
	v_subrev_nc_u32_e32 v3, 28, v13
	v_sub_nc_u32_e32 v14, 29, v13
	v_lshlrev_b64 v[3:4], v3, v[5:6]
	v_and_b32_e32 v13, 7, v3
; %bb.4059:                             ;   in Loop: Header=BB287_2083 Depth=1
	s_or_b32 exec_lo, exec_lo, s29
	v_lshlrev_b32_e32 v3, 8, v5
	v_lshl_add_u32 v4, v14, 10, 0x2000
	v_and_or_b32 v3, 0x8000, v3, v4
	v_lshlrev_b32_e32 v4, 23, v13
	v_lshl_or_b32 v13, v3, 16, v4
.LBB287_4060:                           ;   in Loop: Header=BB287_2083 Depth=1
	s_or_b32 exec_lo, exec_lo, s28
.LBB287_4061:                           ;   in Loop: Header=BB287_2083 Depth=1
	s_or_b32 exec_lo, exec_lo, s27
.LBB287_4062:                           ;   in Loop: Header=BB287_2083 Depth=1
	s_or_b32 exec_lo, exec_lo, s26
	v_or_b32_e32 v3, v124, v125
	s_waitcnt vmcnt(0) lgkmcnt(0)
	v_fma_mixlo_f16 v4, v121, v124, 0 op_sel:[0,1,0] op_sel_hi:[0,1,0]
	v_or_b32_e32 v14, v122, v123
	v_or_b32_e32 v103, v101, v127
	;; [unrolled: 1-line block ×3, first 2 shown]
	v_fma_mixlo_f16 v3, v121, v3, 0 op_sel_hi:[0,1,0]
	v_fma_mixlo_f16 v102, v121, v122, 0 op_sel:[0,1,0] op_sel_hi:[0,1,0]
	v_lshlrev_b32_e32 v5, 16, v4
	v_fma_mixlo_f16 v4, v121, v14, 0 op_sel_hi:[0,1,0]
	v_fma_mixlo_f16 v13, v121, v13, 0 op_sel:[0,1,0] op_sel_hi:[0,1,0]
	v_and_b32_e32 v14, 0xffff, v3
	v_fma_mixlo_f16 v3, v121, v101, 0 op_sel:[0,1,0] op_sel_hi:[0,1,0]
	v_fma_mixlo_f16 v101, v121, v103, 0 op_sel_hi:[0,1,0]
	v_fma_mixlo_f16 v103, v121, v123, 0 op_sel_hi:[0,1,0]
	v_lshlrev_b32_e32 v122, 16, v102
	v_and_b32_e32 v102, 0xffff, v4
	v_lshlrev_b32_e32 v125, 16, v3
	v_and_b32_e32 v127, 0xffff, v101
	;; [unrolled: 2-line block ×3, first 2 shown]
	v_or_b32_e32 v13, v5, v14
	v_or_b32_e32 v123, v122, v102
	;; [unrolled: 1-line block ×4, first 2 shown]
	s_and_saveexec_b32 s12, s4
	s_cbranch_execz .LBB287_4064
; %bb.4063:                             ;   in Loop: Header=BB287_2083 Depth=1
	v_cndmask_b32_e32 v3, 0, v102, vcc_lo
	v_cndmask_b32_e64 v4, 0, v122, s7
	v_cndmask_b32_e64 v13, 0, v14, s5
	;; [unrolled: 1-line block ×7, first 2 shown]
	v_or_b32_e32 v123, v3, v4
	v_or_b32_e32 v13, v13, v5
	;; [unrolled: 1-line block ×4, first 2 shown]
.LBB287_4064:                           ;   in Loop: Header=BB287_2083 Depth=1
	s_or_b32 exec_lo, exec_lo, s12
	;;#ASMSTART
	v_pk_mul_f16 v3, v40, v123;

	;;#ASMEND
	;;#ASMSTART
	v_pk_mul_f16 v4, v119, v13;

	;;#ASMEND
	;; [unrolled: 4-line block ×4, first 2 shown]
	;;#ASMSTART
	v_pk_add_f16 v3, v3, v4;

	;;#ASMEND
	;;#ASMSTART
	v_pk_add_f16 v3, v3, v5;

	;;#ASMEND
	;; [unrolled: 4-line block ×3, first 2 shown]
	v_and_b32_e32 v4, 0xffff, v3
	v_lshrrev_b32_e32 v3, 16, v3
	;;#ASMSTART
	v_cvt_f32_f16 v13, v4;
	;;#ASMEND
	;;#ASMSTART
	v_cvt_f32_f16 v14, v3;
	;;#ASMEND
	flat_load_dwordx2 v[11:12], v[11:12] offset:1536
	flat_load_dword v121, v[22:23]
	v_mov_b32_e32 v122, 0
	v_mov_b32_e32 v123, 0
	s_waitcnt vmcnt(1) lgkmcnt(1)
	v_cmp_ne_u16_sdwa s12, v11, v6 src0_sel:BYTE_0 src1_sel:DWORD
	s_and_saveexec_b32 s26, s12
	s_cbranch_execz .LBB287_4072
; %bb.4065:                             ;   in Loop: Header=BB287_2083 Depth=1
	v_cmp_ne_u16_sdwa s12, v11, v48 src0_sel:BYTE_0 src1_sel:DWORD
	v_mov_b32_e32 v123, 0x8000
	s_and_saveexec_b32 s27, s12
	s_cbranch_execz .LBB287_4071
; %bb.4066:                             ;   in Loop: Header=BB287_2083 Depth=1
	v_and_b32_e32 v102, 0x7f, v11
	v_mov_b32_e32 v123, 0x7c01
	s_mov_b32 s28, exec_lo
	v_cmpx_ne_u32_e32 0x7f, v102
	s_cbranch_execz .LBB287_4070
; %bb.4067:                             ;   in Loop: Header=BB287_2083 Depth=1
	v_and_b32_e32 v5, 7, v11
	v_lshrrev_b32_e32 v101, 3, v102
	s_mov_b32 s29, exec_lo
	v_cmpx_gt_u32_e32 8, v102
; %bb.4068:                             ;   in Loop: Header=BB287_2083 Depth=1
	v_ffbh_u32_e32 v3, v5
	v_min_u32_e32 v5, 32, v3
	v_subrev_nc_u32_e32 v3, 28, v5
	v_sub_nc_u32_e32 v101, 29, v5
	v_lshlrev_b64 v[3:4], v3, v[11:12]
	v_and_b32_e32 v5, 7, v3
; %bb.4069:                             ;   in Loop: Header=BB287_2083 Depth=1
	s_or_b32 exec_lo, exec_lo, s29
	v_lshlrev_b32_e32 v3, 8, v11
	v_lshl_add_u32 v4, v101, 10, 0x2000
	v_lshlrev_b32_e32 v5, 7, v5
	v_and_b32_e32 v3, 0x8000, v3
	v_and_b32_e32 v4, 0xfc00, v4
	v_or3_b32 v123, v3, v4, v5
.LBB287_4070:                           ;   in Loop: Header=BB287_2083 Depth=1
	s_or_b32 exec_lo, exec_lo, s28
.LBB287_4071:                           ;   in Loop: Header=BB287_2083 Depth=1
	s_or_b32 exec_lo, exec_lo, s27
.LBB287_4072:                           ;   in Loop: Header=BB287_2083 Depth=1
	s_or_b32 exec_lo, exec_lo, s26
	v_lshrrev_b16 v5, 8, v11
	s_mov_b32 s26, exec_lo
	v_cmpx_ne_u16_e32 0, v5
	s_cbranch_execz .LBB287_4080
; %bb.4073:                             ;   in Loop: Header=BB287_2083 Depth=1
	v_bfrev_b32_e32 v122, 1
	s_mov_b32 s27, exec_lo
	v_cmpx_ne_u16_e32 0x80, v5
	s_cbranch_execz .LBB287_4079
; %bb.4074:                             ;   in Loop: Header=BB287_2083 Depth=1
	v_and_b32_sdwa v103, v5, v49 dst_sel:DWORD dst_unused:UNUSED_PAD src0_sel:WORD_0 src1_sel:DWORD
	v_mov_b32_e32 v122, 0x7c010000
	s_mov_b32 s28, exec_lo
	v_cmpx_ne_u32_e32 0x7f, v103
	s_cbranch_execz .LBB287_4078
; %bb.4075:                             ;   in Loop: Header=BB287_2083 Depth=1
	v_and_b32_sdwa v101, v5, v50 dst_sel:DWORD dst_unused:UNUSED_PAD src0_sel:WORD_0 src1_sel:DWORD
	v_lshrrev_b32_e32 v102, 3, v103
	s_mov_b32 s29, exec_lo
	v_cmpx_gt_u32_e32 8, v103
; %bb.4076:                             ;   in Loop: Header=BB287_2083 Depth=1
	v_ffbh_u32_e32 v3, v101
	v_min_u32_e32 v101, 32, v3
	v_subrev_nc_u32_e32 v3, 28, v101
	v_sub_nc_u32_e32 v102, 29, v101
	v_lshlrev_b64 v[3:4], v3, v[5:6]
	v_and_b32_e32 v101, 7, v3
; %bb.4077:                             ;   in Loop: Header=BB287_2083 Depth=1
	s_or_b32 exec_lo, exec_lo, s29
	v_lshlrev_b32_sdwa v3, v100, v5 dst_sel:DWORD dst_unused:UNUSED_PAD src0_sel:DWORD src1_sel:WORD_0
	v_lshl_add_u32 v4, v102, 10, 0x2000
	v_and_or_b32 v3, 0x8000, v3, v4
	v_lshlrev_b32_e32 v4, 23, v101
	v_lshl_or_b32 v122, v3, 16, v4
.LBB287_4078:                           ;   in Loop: Header=BB287_2083 Depth=1
	s_or_b32 exec_lo, exec_lo, s28
.LBB287_4079:                           ;   in Loop: Header=BB287_2083 Depth=1
	s_or_b32 exec_lo, exec_lo, s27
.LBB287_4080:                           ;   in Loop: Header=BB287_2083 Depth=1
	s_or_b32 exec_lo, exec_lo, s26
	v_lshrrev_b32_e32 v5, 16, v11
	v_mov_b32_e32 v124, 0
	v_mov_b32_e32 v125, 0
	v_cmp_ne_u16_sdwa s12, v5, v6 src0_sel:BYTE_0 src1_sel:DWORD
	s_and_saveexec_b32 s26, s12
	s_cbranch_execz .LBB287_4088
; %bb.4081:                             ;   in Loop: Header=BB287_2083 Depth=1
	v_cmp_ne_u16_sdwa s12, v5, v48 src0_sel:BYTE_0 src1_sel:DWORD
	v_mov_b32_e32 v125, 0x8000
	s_and_saveexec_b32 s27, s12
	s_cbranch_execz .LBB287_4087
; %bb.4082:                             ;   in Loop: Header=BB287_2083 Depth=1
	v_bfe_u32 v103, v11, 16, 7
	v_mov_b32_e32 v125, 0x7c01
	s_mov_b32 s28, exec_lo
	v_cmpx_ne_u32_e32 0x7f, v103
	s_cbranch_execz .LBB287_4086
; %bb.4083:                             ;   in Loop: Header=BB287_2083 Depth=1
	v_and_b32_e32 v101, 7, v5
	v_lshrrev_b32_e32 v102, 3, v103
	s_mov_b32 s29, exec_lo
	v_cmpx_gt_u32_e32 8, v103
; %bb.4084:                             ;   in Loop: Header=BB287_2083 Depth=1
	v_ffbh_u32_e32 v3, v101
	v_min_u32_e32 v101, 32, v3
	v_subrev_nc_u32_e32 v3, 28, v101
	v_sub_nc_u32_e32 v102, 29, v101
	v_lshlrev_b64 v[3:4], v3, v[5:6]
	v_and_b32_e32 v101, 7, v3
; %bb.4085:                             ;   in Loop: Header=BB287_2083 Depth=1
	s_or_b32 exec_lo, exec_lo, s29
	v_lshlrev_b32_e32 v3, 8, v5
	v_lshl_add_u32 v4, v102, 10, 0x2000
	v_lshlrev_b32_e32 v5, 7, v101
	v_and_b32_e32 v3, 0x8000, v3
	v_and_b32_e32 v4, 0xfc00, v4
	v_or3_b32 v125, v3, v4, v5
.LBB287_4086:                           ;   in Loop: Header=BB287_2083 Depth=1
	s_or_b32 exec_lo, exec_lo, s28
.LBB287_4087:                           ;   in Loop: Header=BB287_2083 Depth=1
	s_or_b32 exec_lo, exec_lo, s27
.LBB287_4088:                           ;   in Loop: Header=BB287_2083 Depth=1
	s_or_b32 exec_lo, exec_lo, s26
	s_mov_b32 s26, exec_lo
	v_cmpx_lt_u32_e32 0xffffff, v11
	s_cbranch_execz .LBB287_4096
; %bb.4089:                             ;   in Loop: Header=BB287_2083 Depth=1
	v_lshrrev_b32_e32 v5, 24, v11
	v_bfrev_b32_e32 v124, 1
	s_mov_b32 s27, exec_lo
	v_cmpx_ne_u32_e32 0x80, v5
	s_cbranch_execz .LBB287_4095
; %bb.4090:                             ;   in Loop: Header=BB287_2083 Depth=1
	v_and_b32_e32 v126, 0x7f, v5
	v_mov_b32_e32 v124, 0x7c010000
	s_mov_b32 s28, exec_lo
	v_cmpx_ne_u32_e32 0x7f, v126
	s_cbranch_execz .LBB287_4094
; %bb.4091:                             ;   in Loop: Header=BB287_2083 Depth=1
	v_and_b32_e32 v101, 7, v5
	v_lshrrev_b32_e32 v102, 3, v126
	s_mov_b32 s29, exec_lo
	v_cmpx_gt_u32_e32 8, v126
; %bb.4092:                             ;   in Loop: Header=BB287_2083 Depth=1
	v_ffbh_u32_e32 v3, v101
	v_min_u32_e32 v101, 32, v3
	v_subrev_nc_u32_e32 v3, 28, v101
	v_sub_nc_u32_e32 v102, 29, v101
	v_lshlrev_b64 v[3:4], v3, v[5:6]
	v_and_b32_e32 v101, 7, v3
; %bb.4093:                             ;   in Loop: Header=BB287_2083 Depth=1
	s_or_b32 exec_lo, exec_lo, s29
	v_lshlrev_b32_e32 v3, 8, v5
	v_lshl_add_u32 v4, v102, 10, 0x2000
	v_and_or_b32 v3, 0x8000, v3, v4
	v_lshlrev_b32_e32 v4, 23, v101
	v_lshl_or_b32 v124, v3, 16, v4
.LBB287_4094:                           ;   in Loop: Header=BB287_2083 Depth=1
	s_or_b32 exec_lo, exec_lo, s28
.LBB287_4095:                           ;   in Loop: Header=BB287_2083 Depth=1
	s_or_b32 exec_lo, exec_lo, s27
.LBB287_4096:                           ;   in Loop: Header=BB287_2083 Depth=1
	s_or_b32 exec_lo, exec_lo, s26
	v_mov_b32_e32 v5, v12
	v_cmp_ne_u16_sdwa s12, v12, v6 src0_sel:BYTE_0 src1_sel:DWORD
	v_mov_b32_e32 v126, 0
	v_mov_b32_e32 v127, 0
	s_and_saveexec_b32 s26, s12
	s_cbranch_execz .LBB287_4104
; %bb.4097:                             ;   in Loop: Header=BB287_2083 Depth=1
	v_cmp_ne_u16_sdwa s12, v12, v48 src0_sel:BYTE_0 src1_sel:DWORD
	v_mov_b32_e32 v127, 0x8000
	s_and_saveexec_b32 s27, s12
	s_cbranch_execz .LBB287_4103
; %bb.4098:                             ;   in Loop: Header=BB287_2083 Depth=1
	v_and_b32_e32 v103, 0x7f, v12
	v_mov_b32_e32 v127, 0x7c01
	s_mov_b32 s28, exec_lo
	v_cmpx_ne_u32_e32 0x7f, v103
	s_cbranch_execz .LBB287_4102
; %bb.4099:                             ;   in Loop: Header=BB287_2083 Depth=1
	v_and_b32_e32 v101, 7, v12
	v_lshrrev_b32_e32 v102, 3, v103
	s_mov_b32 s29, exec_lo
	v_cmpx_gt_u32_e32 8, v103
; %bb.4100:                             ;   in Loop: Header=BB287_2083 Depth=1
	v_ffbh_u32_e32 v3, v101
	v_min_u32_e32 v101, 32, v3
	v_subrev_nc_u32_e32 v3, 28, v101
	v_sub_nc_u32_e32 v102, 29, v101
	v_lshlrev_b64 v[3:4], v3, v[5:6]
	v_and_b32_e32 v101, 7, v3
; %bb.4101:                             ;   in Loop: Header=BB287_2083 Depth=1
	s_or_b32 exec_lo, exec_lo, s29
	v_lshlrev_b32_e32 v3, 8, v12
	v_lshl_add_u32 v4, v102, 10, 0x2000
	v_lshlrev_b32_e32 v101, 7, v101
	v_and_b32_e32 v3, 0x8000, v3
	v_and_b32_e32 v4, 0xfc00, v4
	v_or3_b32 v127, v3, v4, v101
.LBB287_4102:                           ;   in Loop: Header=BB287_2083 Depth=1
	s_or_b32 exec_lo, exec_lo, s28
.LBB287_4103:                           ;   in Loop: Header=BB287_2083 Depth=1
	s_or_b32 exec_lo, exec_lo, s27
.LBB287_4104:                           ;   in Loop: Header=BB287_2083 Depth=1
	s_or_b32 exec_lo, exec_lo, s26
	v_lshrrev_b16 v5, 8, v5
	v_mov_b32_e32 v101, 0
	s_mov_b32 s26, exec_lo
	v_cmpx_ne_u16_e32 0, v5
	s_cbranch_execz .LBB287_4112
; %bb.4105:                             ;   in Loop: Header=BB287_2083 Depth=1
	v_bfrev_b32_e32 v101, 1
	s_mov_b32 s27, exec_lo
	v_cmpx_ne_u16_e32 0x80, v5
	s_cbranch_execz .LBB287_4111
; %bb.4106:                             ;   in Loop: Header=BB287_2083 Depth=1
	v_and_b32_sdwa v103, v5, v49 dst_sel:DWORD dst_unused:UNUSED_PAD src0_sel:WORD_0 src1_sel:DWORD
	v_mov_b32_e32 v101, 0x7c010000
	s_mov_b32 s28, exec_lo
	v_cmpx_ne_u32_e32 0x7f, v103
	s_cbranch_execz .LBB287_4110
; %bb.4107:                             ;   in Loop: Header=BB287_2083 Depth=1
	v_and_b32_sdwa v101, v5, v50 dst_sel:DWORD dst_unused:UNUSED_PAD src0_sel:WORD_0 src1_sel:DWORD
	v_lshrrev_b32_e32 v102, 3, v103
	s_mov_b32 s29, exec_lo
	v_cmpx_gt_u32_e32 8, v103
; %bb.4108:                             ;   in Loop: Header=BB287_2083 Depth=1
	v_ffbh_u32_e32 v3, v101
	v_min_u32_e32 v101, 32, v3
	v_subrev_nc_u32_e32 v3, 28, v101
	v_sub_nc_u32_e32 v102, 29, v101
	v_lshlrev_b64 v[3:4], v3, v[5:6]
	v_and_b32_e32 v101, 7, v3
; %bb.4109:                             ;   in Loop: Header=BB287_2083 Depth=1
	s_or_b32 exec_lo, exec_lo, s29
	v_lshlrev_b32_sdwa v3, v100, v5 dst_sel:DWORD dst_unused:UNUSED_PAD src0_sel:DWORD src1_sel:WORD_0
	v_lshl_add_u32 v4, v102, 10, 0x2000
	v_and_or_b32 v3, 0x8000, v3, v4
	v_lshlrev_b32_e32 v4, 23, v101
	v_lshl_or_b32 v101, v3, 16, v4
.LBB287_4110:                           ;   in Loop: Header=BB287_2083 Depth=1
	s_or_b32 exec_lo, exec_lo, s28
.LBB287_4111:                           ;   in Loop: Header=BB287_2083 Depth=1
	s_or_b32 exec_lo, exec_lo, s27
.LBB287_4112:                           ;   in Loop: Header=BB287_2083 Depth=1
	s_or_b32 exec_lo, exec_lo, s26
	v_lshrrev_b32_e32 v5, 16, v12
	v_cmp_ne_u16_sdwa s12, v5, v6 src0_sel:BYTE_0 src1_sel:DWORD
	s_and_saveexec_b32 s26, s12
	s_cbranch_execz .LBB287_4120
; %bb.4113:                             ;   in Loop: Header=BB287_2083 Depth=1
	v_cmp_ne_u16_sdwa s12, v5, v48 src0_sel:BYTE_0 src1_sel:DWORD
	v_mov_b32_e32 v126, 0x8000
	s_and_saveexec_b32 s27, s12
	s_cbranch_execz .LBB287_4119
; %bb.4114:                             ;   in Loop: Header=BB287_2083 Depth=1
	v_bfe_u32 v103, v12, 16, 7
	v_mov_b32_e32 v126, 0x7c01
	s_mov_b32 s28, exec_lo
	v_cmpx_ne_u32_e32 0x7f, v103
	s_cbranch_execz .LBB287_4118
; %bb.4115:                             ;   in Loop: Header=BB287_2083 Depth=1
	v_and_b32_e32 v126, 7, v5
	v_lshrrev_b32_e32 v102, 3, v103
	s_mov_b32 s29, exec_lo
	v_cmpx_gt_u32_e32 8, v103
; %bb.4116:                             ;   in Loop: Header=BB287_2083 Depth=1
	v_ffbh_u32_e32 v3, v126
	v_min_u32_e32 v102, 32, v3
	v_subrev_nc_u32_e32 v3, 28, v102
	v_sub_nc_u32_e32 v102, 29, v102
	v_lshlrev_b64 v[3:4], v3, v[5:6]
	v_and_b32_e32 v126, 7, v3
; %bb.4117:                             ;   in Loop: Header=BB287_2083 Depth=1
	s_or_b32 exec_lo, exec_lo, s29
	v_lshlrev_b32_e32 v3, 8, v5
	v_lshl_add_u32 v4, v102, 10, 0x2000
	v_lshlrev_b32_e32 v5, 7, v126
	v_and_b32_e32 v3, 0x8000, v3
	v_and_b32_e32 v4, 0xfc00, v4
	v_or3_b32 v126, v3, v4, v5
.LBB287_4118:                           ;   in Loop: Header=BB287_2083 Depth=1
	s_or_b32 exec_lo, exec_lo, s28
.LBB287_4119:                           ;   in Loop: Header=BB287_2083 Depth=1
	s_or_b32 exec_lo, exec_lo, s27
.LBB287_4120:                           ;   in Loop: Header=BB287_2083 Depth=1
	s_or_b32 exec_lo, exec_lo, s26
	v_cmp_lt_u64_e64 s12, s[22:23], v[11:12]
	v_mov_b32_e32 v11, 0
	s_and_saveexec_b32 s26, s12
	s_cbranch_execz .LBB287_4128
; %bb.4121:                             ;   in Loop: Header=BB287_2083 Depth=1
	v_lshrrev_b32_e32 v5, 24, v12
	v_bfrev_b32_e32 v11, 1
	s_mov_b32 s27, exec_lo
	v_cmpx_ne_u32_e32 0x80, v5
	s_cbranch_execz .LBB287_4127
; %bb.4122:                             ;   in Loop: Header=BB287_2083 Depth=1
	v_and_b32_e32 v102, 0x7f, v5
	v_mov_b32_e32 v11, 0x7c010000
	s_mov_b32 s28, exec_lo
	v_cmpx_ne_u32_e32 0x7f, v102
	s_cbranch_execz .LBB287_4126
; %bb.4123:                             ;   in Loop: Header=BB287_2083 Depth=1
	v_and_b32_e32 v11, 7, v5
	v_lshrrev_b32_e32 v12, 3, v102
	s_mov_b32 s29, exec_lo
	v_cmpx_gt_u32_e32 8, v102
; %bb.4124:                             ;   in Loop: Header=BB287_2083 Depth=1
	v_ffbh_u32_e32 v3, v11
	v_min_u32_e32 v11, 32, v3
	v_subrev_nc_u32_e32 v3, 28, v11
	v_sub_nc_u32_e32 v12, 29, v11
	v_lshlrev_b64 v[3:4], v3, v[5:6]
	v_and_b32_e32 v11, 7, v3
; %bb.4125:                             ;   in Loop: Header=BB287_2083 Depth=1
	s_or_b32 exec_lo, exec_lo, s29
	v_lshlrev_b32_e32 v3, 8, v5
	v_lshl_add_u32 v4, v12, 10, 0x2000
	v_and_or_b32 v3, 0x8000, v3, v4
	v_lshlrev_b32_e32 v4, 23, v11
	v_lshl_or_b32 v11, v3, 16, v4
.LBB287_4126:                           ;   in Loop: Header=BB287_2083 Depth=1
	s_or_b32 exec_lo, exec_lo, s28
.LBB287_4127:                           ;   in Loop: Header=BB287_2083 Depth=1
	s_or_b32 exec_lo, exec_lo, s27
.LBB287_4128:                           ;   in Loop: Header=BB287_2083 Depth=1
	s_or_b32 exec_lo, exec_lo, s26
	v_or_b32_e32 v3, v124, v125
	s_waitcnt vmcnt(0) lgkmcnt(0)
	v_fma_mixlo_f16 v4, v121, v124, 0 op_sel:[0,1,0] op_sel_hi:[0,1,0]
	v_or_b32_e32 v12, v122, v123
	v_or_b32_e32 v103, v101, v127
	;; [unrolled: 1-line block ×3, first 2 shown]
	v_fma_mixlo_f16 v3, v121, v3, 0 op_sel_hi:[0,1,0]
	v_fma_mixlo_f16 v102, v121, v122, 0 op_sel:[0,1,0] op_sel_hi:[0,1,0]
	v_lshlrev_b32_e32 v5, 16, v4
	v_fma_mixlo_f16 v4, v121, v12, 0 op_sel_hi:[0,1,0]
	v_fma_mixlo_f16 v11, v121, v11, 0 op_sel:[0,1,0] op_sel_hi:[0,1,0]
	v_and_b32_e32 v12, 0xffff, v3
	v_fma_mixlo_f16 v3, v121, v101, 0 op_sel:[0,1,0] op_sel_hi:[0,1,0]
	v_fma_mixlo_f16 v101, v121, v103, 0 op_sel_hi:[0,1,0]
	v_fma_mixlo_f16 v103, v121, v123, 0 op_sel_hi:[0,1,0]
	v_lshlrev_b32_e32 v122, 16, v102
	v_and_b32_e32 v102, 0xffff, v4
	v_lshlrev_b32_e32 v125, 16, v3
	v_and_b32_e32 v127, 0xffff, v101
	;; [unrolled: 2-line block ×3, first 2 shown]
	v_or_b32_e32 v11, v5, v12
	v_or_b32_e32 v123, v122, v102
	;; [unrolled: 1-line block ×4, first 2 shown]
	s_and_saveexec_b32 s12, s4
	s_cbranch_execz .LBB287_4130
; %bb.4129:                             ;   in Loop: Header=BB287_2083 Depth=1
	v_cndmask_b32_e32 v3, 0, v102, vcc_lo
	v_cndmask_b32_e64 v4, 0, v122, s7
	v_cndmask_b32_e64 v11, 0, v12, s5
	;; [unrolled: 1-line block ×7, first 2 shown]
	v_or_b32_e32 v123, v3, v4
	v_or_b32_e32 v11, v11, v5
	;; [unrolled: 1-line block ×4, first 2 shown]
.LBB287_4130:                           ;   in Loop: Header=BB287_2083 Depth=1
	s_or_b32 exec_lo, exec_lo, s12
	;;#ASMSTART
	v_pk_mul_f16 v3, v40, v123;

	;;#ASMEND
	;;#ASMSTART
	v_pk_mul_f16 v4, v119, v11;

	;;#ASMEND
	;; [unrolled: 4-line block ×4, first 2 shown]
	;;#ASMSTART
	v_pk_add_f16 v3, v3, v4;

	;;#ASMEND
	;;#ASMSTART
	v_pk_add_f16 v3, v3, v5;

	;;#ASMEND
	;; [unrolled: 4-line block ×3, first 2 shown]
	v_lshrrev_b32_e32 v5, 16, v3
	v_and_b32_e32 v11, 0xffff, v3
	buffer_load_dword v3, off, s[0:3], s32 offset:240 ; 4-byte Folded Reload
	;;#ASMSTART
	v_cvt_f32_f16 v11, v11;
	;;#ASMEND
	;;#ASMSTART
	v_cvt_f32_f16 v12, v5;
	;;#ASMEND
	v_mov_b32_e32 v122, 0
	v_mov_b32_e32 v123, 0
	s_waitcnt vmcnt(0)
	v_add_co_u32 v3, s12, v9, v3
	v_add_co_ci_u32_e64 v4, null, 0, v10, s12
	flat_load_dwordx2 v[9:10], v[3:4]
	flat_load_dword v121, v[22:23]
	s_waitcnt vmcnt(1) lgkmcnt(1)
	v_cmp_ne_u16_sdwa s12, v9, v6 src0_sel:BYTE_0 src1_sel:DWORD
	s_and_saveexec_b32 s26, s12
	s_cbranch_execz .LBB287_4138
; %bb.4131:                             ;   in Loop: Header=BB287_2083 Depth=1
	v_cmp_ne_u16_sdwa s12, v9, v48 src0_sel:BYTE_0 src1_sel:DWORD
	v_mov_b32_e32 v123, 0x8000
	s_and_saveexec_b32 s27, s12
	s_cbranch_execz .LBB287_4137
; %bb.4132:                             ;   in Loop: Header=BB287_2083 Depth=1
	v_and_b32_e32 v102, 0x7f, v9
	v_mov_b32_e32 v123, 0x7c01
	s_mov_b32 s28, exec_lo
	v_cmpx_ne_u32_e32 0x7f, v102
	s_cbranch_execz .LBB287_4136
; %bb.4133:                             ;   in Loop: Header=BB287_2083 Depth=1
	v_and_b32_e32 v5, 7, v9
	v_lshrrev_b32_e32 v101, 3, v102
	s_mov_b32 s29, exec_lo
	v_cmpx_gt_u32_e32 8, v102
; %bb.4134:                             ;   in Loop: Header=BB287_2083 Depth=1
	v_ffbh_u32_e32 v3, v5
	v_min_u32_e32 v5, 32, v3
	v_subrev_nc_u32_e32 v3, 28, v5
	v_sub_nc_u32_e32 v101, 29, v5
	v_lshlrev_b64 v[3:4], v3, v[9:10]
	v_and_b32_e32 v5, 7, v3
; %bb.4135:                             ;   in Loop: Header=BB287_2083 Depth=1
	s_or_b32 exec_lo, exec_lo, s29
	v_lshlrev_b32_e32 v3, 8, v9
	v_lshl_add_u32 v4, v101, 10, 0x2000
	v_lshlrev_b32_e32 v5, 7, v5
	v_and_b32_e32 v3, 0x8000, v3
	v_and_b32_e32 v4, 0xfc00, v4
	v_or3_b32 v123, v3, v4, v5
.LBB287_4136:                           ;   in Loop: Header=BB287_2083 Depth=1
	s_or_b32 exec_lo, exec_lo, s28
.LBB287_4137:                           ;   in Loop: Header=BB287_2083 Depth=1
	s_or_b32 exec_lo, exec_lo, s27
.LBB287_4138:                           ;   in Loop: Header=BB287_2083 Depth=1
	s_or_b32 exec_lo, exec_lo, s26
	v_lshrrev_b16 v5, 8, v9
	s_mov_b32 s26, exec_lo
	v_cmpx_ne_u16_e32 0, v5
	s_cbranch_execz .LBB287_4146
; %bb.4139:                             ;   in Loop: Header=BB287_2083 Depth=1
	v_bfrev_b32_e32 v122, 1
	s_mov_b32 s27, exec_lo
	v_cmpx_ne_u16_e32 0x80, v5
	s_cbranch_execz .LBB287_4145
; %bb.4140:                             ;   in Loop: Header=BB287_2083 Depth=1
	v_and_b32_sdwa v103, v5, v49 dst_sel:DWORD dst_unused:UNUSED_PAD src0_sel:WORD_0 src1_sel:DWORD
	v_mov_b32_e32 v122, 0x7c010000
	s_mov_b32 s28, exec_lo
	v_cmpx_ne_u32_e32 0x7f, v103
	s_cbranch_execz .LBB287_4144
; %bb.4141:                             ;   in Loop: Header=BB287_2083 Depth=1
	v_and_b32_sdwa v101, v5, v50 dst_sel:DWORD dst_unused:UNUSED_PAD src0_sel:WORD_0 src1_sel:DWORD
	v_lshrrev_b32_e32 v102, 3, v103
	s_mov_b32 s29, exec_lo
	v_cmpx_gt_u32_e32 8, v103
; %bb.4142:                             ;   in Loop: Header=BB287_2083 Depth=1
	v_ffbh_u32_e32 v3, v101
	v_min_u32_e32 v101, 32, v3
	v_subrev_nc_u32_e32 v3, 28, v101
	v_sub_nc_u32_e32 v102, 29, v101
	v_lshlrev_b64 v[3:4], v3, v[5:6]
	v_and_b32_e32 v101, 7, v3
; %bb.4143:                             ;   in Loop: Header=BB287_2083 Depth=1
	s_or_b32 exec_lo, exec_lo, s29
	v_lshlrev_b32_sdwa v3, v100, v5 dst_sel:DWORD dst_unused:UNUSED_PAD src0_sel:DWORD src1_sel:WORD_0
	v_lshl_add_u32 v4, v102, 10, 0x2000
	v_and_or_b32 v3, 0x8000, v3, v4
	v_lshlrev_b32_e32 v4, 23, v101
	v_lshl_or_b32 v122, v3, 16, v4
.LBB287_4144:                           ;   in Loop: Header=BB287_2083 Depth=1
	s_or_b32 exec_lo, exec_lo, s28
.LBB287_4145:                           ;   in Loop: Header=BB287_2083 Depth=1
	s_or_b32 exec_lo, exec_lo, s27
.LBB287_4146:                           ;   in Loop: Header=BB287_2083 Depth=1
	s_or_b32 exec_lo, exec_lo, s26
	v_lshrrev_b32_e32 v5, 16, v9
	v_mov_b32_e32 v124, 0
	v_mov_b32_e32 v125, 0
	v_cmp_ne_u16_sdwa s12, v5, v6 src0_sel:BYTE_0 src1_sel:DWORD
	s_and_saveexec_b32 s26, s12
	s_cbranch_execz .LBB287_4154
; %bb.4147:                             ;   in Loop: Header=BB287_2083 Depth=1
	v_cmp_ne_u16_sdwa s12, v5, v48 src0_sel:BYTE_0 src1_sel:DWORD
	v_mov_b32_e32 v125, 0x8000
	s_and_saveexec_b32 s27, s12
	s_cbranch_execz .LBB287_4153
; %bb.4148:                             ;   in Loop: Header=BB287_2083 Depth=1
	v_bfe_u32 v103, v9, 16, 7
	v_mov_b32_e32 v125, 0x7c01
	s_mov_b32 s28, exec_lo
	v_cmpx_ne_u32_e32 0x7f, v103
	s_cbranch_execz .LBB287_4152
; %bb.4149:                             ;   in Loop: Header=BB287_2083 Depth=1
	v_and_b32_e32 v101, 7, v5
	v_lshrrev_b32_e32 v102, 3, v103
	s_mov_b32 s29, exec_lo
	v_cmpx_gt_u32_e32 8, v103
; %bb.4150:                             ;   in Loop: Header=BB287_2083 Depth=1
	v_ffbh_u32_e32 v3, v101
	v_min_u32_e32 v101, 32, v3
	v_subrev_nc_u32_e32 v3, 28, v101
	v_sub_nc_u32_e32 v102, 29, v101
	v_lshlrev_b64 v[3:4], v3, v[5:6]
	v_and_b32_e32 v101, 7, v3
; %bb.4151:                             ;   in Loop: Header=BB287_2083 Depth=1
	s_or_b32 exec_lo, exec_lo, s29
	v_lshlrev_b32_e32 v3, 8, v5
	v_lshl_add_u32 v4, v102, 10, 0x2000
	v_lshlrev_b32_e32 v5, 7, v101
	v_and_b32_e32 v3, 0x8000, v3
	v_and_b32_e32 v4, 0xfc00, v4
	v_or3_b32 v125, v3, v4, v5
.LBB287_4152:                           ;   in Loop: Header=BB287_2083 Depth=1
	s_or_b32 exec_lo, exec_lo, s28
.LBB287_4153:                           ;   in Loop: Header=BB287_2083 Depth=1
	s_or_b32 exec_lo, exec_lo, s27
.LBB287_4154:                           ;   in Loop: Header=BB287_2083 Depth=1
	s_or_b32 exec_lo, exec_lo, s26
	s_mov_b32 s26, exec_lo
	v_cmpx_lt_u32_e32 0xffffff, v9
	s_cbranch_execz .LBB287_4162
; %bb.4155:                             ;   in Loop: Header=BB287_2083 Depth=1
	v_lshrrev_b32_e32 v5, 24, v9
	v_bfrev_b32_e32 v124, 1
	s_mov_b32 s27, exec_lo
	v_cmpx_ne_u32_e32 0x80, v5
	s_cbranch_execz .LBB287_4161
; %bb.4156:                             ;   in Loop: Header=BB287_2083 Depth=1
	v_and_b32_e32 v126, 0x7f, v5
	v_mov_b32_e32 v124, 0x7c010000
	s_mov_b32 s28, exec_lo
	v_cmpx_ne_u32_e32 0x7f, v126
	s_cbranch_execz .LBB287_4160
; %bb.4157:                             ;   in Loop: Header=BB287_2083 Depth=1
	v_and_b32_e32 v101, 7, v5
	v_lshrrev_b32_e32 v102, 3, v126
	s_mov_b32 s29, exec_lo
	v_cmpx_gt_u32_e32 8, v126
; %bb.4158:                             ;   in Loop: Header=BB287_2083 Depth=1
	v_ffbh_u32_e32 v3, v101
	v_min_u32_e32 v101, 32, v3
	v_subrev_nc_u32_e32 v3, 28, v101
	v_sub_nc_u32_e32 v102, 29, v101
	v_lshlrev_b64 v[3:4], v3, v[5:6]
	v_and_b32_e32 v101, 7, v3
; %bb.4159:                             ;   in Loop: Header=BB287_2083 Depth=1
	s_or_b32 exec_lo, exec_lo, s29
	v_lshlrev_b32_e32 v3, 8, v5
	v_lshl_add_u32 v4, v102, 10, 0x2000
	v_and_or_b32 v3, 0x8000, v3, v4
	v_lshlrev_b32_e32 v4, 23, v101
	v_lshl_or_b32 v124, v3, 16, v4
.LBB287_4160:                           ;   in Loop: Header=BB287_2083 Depth=1
	s_or_b32 exec_lo, exec_lo, s28
.LBB287_4161:                           ;   in Loop: Header=BB287_2083 Depth=1
	s_or_b32 exec_lo, exec_lo, s27
.LBB287_4162:                           ;   in Loop: Header=BB287_2083 Depth=1
	s_or_b32 exec_lo, exec_lo, s26
	v_mov_b32_e32 v5, v10
	v_cmp_ne_u16_sdwa s12, v10, v6 src0_sel:BYTE_0 src1_sel:DWORD
	v_mov_b32_e32 v126, 0
	v_mov_b32_e32 v127, 0
	s_and_saveexec_b32 s26, s12
	s_cbranch_execz .LBB287_4170
; %bb.4163:                             ;   in Loop: Header=BB287_2083 Depth=1
	v_cmp_ne_u16_sdwa s12, v10, v48 src0_sel:BYTE_0 src1_sel:DWORD
	v_mov_b32_e32 v127, 0x8000
	s_and_saveexec_b32 s27, s12
	s_cbranch_execz .LBB287_4169
; %bb.4164:                             ;   in Loop: Header=BB287_2083 Depth=1
	v_and_b32_e32 v103, 0x7f, v10
	v_mov_b32_e32 v127, 0x7c01
	s_mov_b32 s28, exec_lo
	v_cmpx_ne_u32_e32 0x7f, v103
	s_cbranch_execz .LBB287_4168
; %bb.4165:                             ;   in Loop: Header=BB287_2083 Depth=1
	v_and_b32_e32 v101, 7, v10
	v_lshrrev_b32_e32 v102, 3, v103
	s_mov_b32 s29, exec_lo
	v_cmpx_gt_u32_e32 8, v103
; %bb.4166:                             ;   in Loop: Header=BB287_2083 Depth=1
	v_ffbh_u32_e32 v3, v101
	v_min_u32_e32 v101, 32, v3
	v_subrev_nc_u32_e32 v3, 28, v101
	v_sub_nc_u32_e32 v102, 29, v101
	v_lshlrev_b64 v[3:4], v3, v[5:6]
	v_and_b32_e32 v101, 7, v3
; %bb.4167:                             ;   in Loop: Header=BB287_2083 Depth=1
	s_or_b32 exec_lo, exec_lo, s29
	v_lshlrev_b32_e32 v3, 8, v10
	v_lshl_add_u32 v4, v102, 10, 0x2000
	v_lshlrev_b32_e32 v101, 7, v101
	v_and_b32_e32 v3, 0x8000, v3
	v_and_b32_e32 v4, 0xfc00, v4
	v_or3_b32 v127, v3, v4, v101
.LBB287_4168:                           ;   in Loop: Header=BB287_2083 Depth=1
	s_or_b32 exec_lo, exec_lo, s28
.LBB287_4169:                           ;   in Loop: Header=BB287_2083 Depth=1
	s_or_b32 exec_lo, exec_lo, s27
.LBB287_4170:                           ;   in Loop: Header=BB287_2083 Depth=1
	s_or_b32 exec_lo, exec_lo, s26
	v_lshrrev_b16 v5, 8, v5
	v_mov_b32_e32 v101, 0
	s_mov_b32 s26, exec_lo
	v_cmpx_ne_u16_e32 0, v5
	s_cbranch_execz .LBB287_4178
; %bb.4171:                             ;   in Loop: Header=BB287_2083 Depth=1
	v_bfrev_b32_e32 v101, 1
	s_mov_b32 s27, exec_lo
	v_cmpx_ne_u16_e32 0x80, v5
	s_cbranch_execz .LBB287_4177
; %bb.4172:                             ;   in Loop: Header=BB287_2083 Depth=1
	v_and_b32_sdwa v103, v5, v49 dst_sel:DWORD dst_unused:UNUSED_PAD src0_sel:WORD_0 src1_sel:DWORD
	v_mov_b32_e32 v101, 0x7c010000
	s_mov_b32 s28, exec_lo
	v_cmpx_ne_u32_e32 0x7f, v103
	s_cbranch_execz .LBB287_4176
; %bb.4173:                             ;   in Loop: Header=BB287_2083 Depth=1
	v_and_b32_sdwa v101, v5, v50 dst_sel:DWORD dst_unused:UNUSED_PAD src0_sel:WORD_0 src1_sel:DWORD
	v_lshrrev_b32_e32 v102, 3, v103
	s_mov_b32 s29, exec_lo
	v_cmpx_gt_u32_e32 8, v103
; %bb.4174:                             ;   in Loop: Header=BB287_2083 Depth=1
	v_ffbh_u32_e32 v3, v101
	v_min_u32_e32 v101, 32, v3
	v_subrev_nc_u32_e32 v3, 28, v101
	v_sub_nc_u32_e32 v102, 29, v101
	v_lshlrev_b64 v[3:4], v3, v[5:6]
	v_and_b32_e32 v101, 7, v3
; %bb.4175:                             ;   in Loop: Header=BB287_2083 Depth=1
	s_or_b32 exec_lo, exec_lo, s29
	v_lshlrev_b32_sdwa v3, v100, v5 dst_sel:DWORD dst_unused:UNUSED_PAD src0_sel:DWORD src1_sel:WORD_0
	v_lshl_add_u32 v4, v102, 10, 0x2000
	v_and_or_b32 v3, 0x8000, v3, v4
	v_lshlrev_b32_e32 v4, 23, v101
	v_lshl_or_b32 v101, v3, 16, v4
.LBB287_4176:                           ;   in Loop: Header=BB287_2083 Depth=1
	s_or_b32 exec_lo, exec_lo, s28
.LBB287_4177:                           ;   in Loop: Header=BB287_2083 Depth=1
	s_or_b32 exec_lo, exec_lo, s27
.LBB287_4178:                           ;   in Loop: Header=BB287_2083 Depth=1
	s_or_b32 exec_lo, exec_lo, s26
	v_lshrrev_b32_e32 v5, 16, v10
	v_cmp_ne_u16_sdwa s12, v5, v6 src0_sel:BYTE_0 src1_sel:DWORD
	s_and_saveexec_b32 s26, s12
	s_cbranch_execz .LBB287_4186
; %bb.4179:                             ;   in Loop: Header=BB287_2083 Depth=1
	v_cmp_ne_u16_sdwa s12, v5, v48 src0_sel:BYTE_0 src1_sel:DWORD
	v_mov_b32_e32 v126, 0x8000
	s_and_saveexec_b32 s27, s12
	s_cbranch_execz .LBB287_4185
; %bb.4180:                             ;   in Loop: Header=BB287_2083 Depth=1
	v_bfe_u32 v103, v10, 16, 7
	v_mov_b32_e32 v126, 0x7c01
	s_mov_b32 s28, exec_lo
	v_cmpx_ne_u32_e32 0x7f, v103
	s_cbranch_execz .LBB287_4184
; %bb.4181:                             ;   in Loop: Header=BB287_2083 Depth=1
	v_and_b32_e32 v126, 7, v5
	v_lshrrev_b32_e32 v102, 3, v103
	s_mov_b32 s29, exec_lo
	v_cmpx_gt_u32_e32 8, v103
; %bb.4182:                             ;   in Loop: Header=BB287_2083 Depth=1
	v_ffbh_u32_e32 v3, v126
	v_min_u32_e32 v102, 32, v3
	v_subrev_nc_u32_e32 v3, 28, v102
	v_sub_nc_u32_e32 v102, 29, v102
	v_lshlrev_b64 v[3:4], v3, v[5:6]
	v_and_b32_e32 v126, 7, v3
; %bb.4183:                             ;   in Loop: Header=BB287_2083 Depth=1
	s_or_b32 exec_lo, exec_lo, s29
	v_lshlrev_b32_e32 v3, 8, v5
	v_lshl_add_u32 v4, v102, 10, 0x2000
	v_lshlrev_b32_e32 v5, 7, v126
	v_and_b32_e32 v3, 0x8000, v3
	v_and_b32_e32 v4, 0xfc00, v4
	v_or3_b32 v126, v3, v4, v5
.LBB287_4184:                           ;   in Loop: Header=BB287_2083 Depth=1
	s_or_b32 exec_lo, exec_lo, s28
.LBB287_4185:                           ;   in Loop: Header=BB287_2083 Depth=1
	s_or_b32 exec_lo, exec_lo, s27
.LBB287_4186:                           ;   in Loop: Header=BB287_2083 Depth=1
	s_or_b32 exec_lo, exec_lo, s26
	v_cmp_lt_u64_e64 s12, s[22:23], v[9:10]
	v_mov_b32_e32 v9, 0
	s_and_saveexec_b32 s26, s12
	s_cbranch_execz .LBB287_4194
; %bb.4187:                             ;   in Loop: Header=BB287_2083 Depth=1
	v_lshrrev_b32_e32 v5, 24, v10
	v_bfrev_b32_e32 v9, 1
	s_mov_b32 s27, exec_lo
	v_cmpx_ne_u32_e32 0x80, v5
	s_cbranch_execz .LBB287_4193
; %bb.4188:                             ;   in Loop: Header=BB287_2083 Depth=1
	v_and_b32_e32 v102, 0x7f, v5
	v_mov_b32_e32 v9, 0x7c010000
	s_mov_b32 s28, exec_lo
	v_cmpx_ne_u32_e32 0x7f, v102
	s_cbranch_execz .LBB287_4192
; %bb.4189:                             ;   in Loop: Header=BB287_2083 Depth=1
	v_and_b32_e32 v9, 7, v5
	v_lshrrev_b32_e32 v10, 3, v102
	s_mov_b32 s29, exec_lo
	v_cmpx_gt_u32_e32 8, v102
; %bb.4190:                             ;   in Loop: Header=BB287_2083 Depth=1
	v_ffbh_u32_e32 v3, v9
	v_min_u32_e32 v9, 32, v3
	v_subrev_nc_u32_e32 v3, 28, v9
	v_sub_nc_u32_e32 v10, 29, v9
	v_lshlrev_b64 v[3:4], v3, v[5:6]
	v_and_b32_e32 v9, 7, v3
; %bb.4191:                             ;   in Loop: Header=BB287_2083 Depth=1
	s_or_b32 exec_lo, exec_lo, s29
	v_lshlrev_b32_e32 v3, 8, v5
	v_lshl_add_u32 v4, v10, 10, 0x2000
	v_and_or_b32 v3, 0x8000, v3, v4
	v_lshlrev_b32_e32 v4, 23, v9
	v_lshl_or_b32 v9, v3, 16, v4
.LBB287_4192:                           ;   in Loop: Header=BB287_2083 Depth=1
	s_or_b32 exec_lo, exec_lo, s28
.LBB287_4193:                           ;   in Loop: Header=BB287_2083 Depth=1
	s_or_b32 exec_lo, exec_lo, s27
.LBB287_4194:                           ;   in Loop: Header=BB287_2083 Depth=1
	s_or_b32 exec_lo, exec_lo, s26
	v_or_b32_e32 v3, v124, v125
	s_waitcnt vmcnt(0) lgkmcnt(0)
	v_fma_mixlo_f16 v4, v121, v124, 0 op_sel:[0,1,0] op_sel_hi:[0,1,0]
	v_or_b32_e32 v5, v122, v123
	v_fma_mixlo_f16 v10, v121, v122, 0 op_sel:[0,1,0] op_sel_hi:[0,1,0]
	v_or_b32_e32 v102, v101, v127
	v_fma_mixlo_f16 v3, v121, v3, 0 op_sel_hi:[0,1,0]
	v_or_b32_e32 v103, v9, v126
	v_lshlrev_b32_e32 v122, 16, v4
	v_lshlrev_b32_e32 v124, 16, v10
	v_fma_mixlo_f16 v4, v121, v5, 0 op_sel_hi:[0,1,0]
	v_and_b32_e32 v123, 0xffff, v3
	v_fma_mixlo_f16 v3, v121, v101, 0 op_sel:[0,1,0] op_sel_hi:[0,1,0]
	v_fma_mixlo_f16 v5, v121, v102, 0 op_sel_hi:[0,1,0]
	v_fma_mixlo_f16 v9, v121, v9, 0 op_sel:[0,1,0] op_sel_hi:[0,1,0]
	v_fma_mixlo_f16 v10, v121, v103, 0 op_sel_hi:[0,1,0]
	v_and_b32_e32 v102, 0xffff, v4
	v_lshlrev_b32_e32 v125, 16, v3
	v_and_b32_e32 v127, 0xffff, v5
	v_lshlrev_b32_e32 v121, 16, v9
	v_and_b32_e32 v126, 0xffff, v10
	v_or_b32_e32 v10, v122, v123
	v_or_b32_e32 v101, v124, v102
	;; [unrolled: 1-line block ×4, first 2 shown]
	s_and_saveexec_b32 s12, s4
	s_cbranch_execz .LBB287_2081
; %bb.4195:                             ;   in Loop: Header=BB287_2083 Depth=1
	v_cndmask_b32_e32 v3, 0, v102, vcc_lo
	v_cndmask_b32_e64 v4, 0, v124, s7
	v_cndmask_b32_e64 v5, 0, v123, s5
	v_cndmask_b32_e64 v9, 0, v122, s6
	v_cndmask_b32_e64 v102, 0, v127, s8
	v_cndmask_b32_e64 v103, 0, v125, s9
	v_cndmask_b32_e64 v122, 0, v126, s10
	v_cndmask_b32_e64 v121, 0, v121, s11
	v_or_b32_e32 v101, v3, v4
	v_or_b32_e32 v10, v5, v9
	;; [unrolled: 1-line block ×4, first 2 shown]
	s_branch .LBB287_2081
.LBB287_4196:
	s_or_b32 exec_lo, exec_lo, s24
.LBB287_4197:
	s_or_b32 exec_lo, exec_lo, s19
	ds_bpermute_b32 v0, v20, v99
	ds_bpermute_b32 v2, v20, v97
	;; [unrolled: 1-line block ×16, first 2 shown]
	s_waitcnt lgkmcnt(0)
	s_waitcnt_vscnt null, 0x0
	s_barrier
	buffer_gl0_inv
	ds_bpermute_b32 v9, v20, v82
	v_add_f32_e32 v0, v99, v0
	v_add_f32_e32 v2, v97, v2
	;; [unrolled: 1-line block ×6, first 2 shown]
	ds_bpermute_b32 v4, v17, v0
	v_add_f32_e32 v22, v83, v8
	ds_bpermute_b32 v8, v17, v2
	ds_bpermute_b32 v32, v17, v18
	;; [unrolled: 1-line block ×5, first 2 shown]
	v_add_f32_e32 v3, v96, v3
	v_add_f32_e32 v23, v80, v10
	;; [unrolled: 1-line block ×6, first 2 shown]
	ds_bpermute_b32 v13, v17, v22
	ds_bpermute_b32 v12, v17, v3
	v_add_f32_e32 v37, v69, v14
	ds_bpermute_b32 v39, v17, v23
	ds_bpermute_b32 v48, v17, v11
	ds_bpermute_b32 v50, v17, v26
	ds_bpermute_b32 v69, v17, v38
	s_waitcnt lgkmcnt(11)
	v_add_f32_e32 v7, v0, v4
	v_add_f32_e32 v6, v85, v6
	s_waitcnt lgkmcnt(10)
	v_add_f32_e32 v10, v2, v8
	s_waitcnt lgkmcnt(9)
	;; [unrolled: 2-line block ×3, first 2 shown]
	v_add_f32_e32 v0, v19, v35
	ds_bpermute_b32 v32, v20, v34
	ds_bpermute_b32 v35, v20, v51
	s_waitcnt lgkmcnt(9)
	v_add_f32_e32 v4, v1, v5
	s_waitcnt lgkmcnt(8)
	v_add_f32_e32 v5, v16, v31
	ds_bpermute_b32 v18, v20, v65
	ds_bpermute_b32 v19, v20, v64
	;; [unrolled: 1-line block ×4, first 2 shown]
	s_waitcnt lgkmcnt(11)
	v_add_f32_e32 v15, v22, v13
	v_add_f32_e32 v22, v67, v49
	ds_bpermute_b32 v68, v17, v37
	s_waitcnt lgkmcnt(11)
	v_add_f32_e32 v8, v3, v12
	s_waitcnt lgkmcnt(10)
	v_add_f32_e32 v13, v23, v39
	;; [unrolled: 2-line block ×5, first 2 shown]
	ds_bpermute_b32 v23, v17, v22
	ds_bpermute_b32 v26, v20, v53
	;; [unrolled: 1-line block ×4, first 2 shown]
	s_waitcnt lgkmcnt(10)
	v_add_f32_e32 v32, v34, v32
	s_waitcnt lgkmcnt(9)
	v_add_f32_e32 v35, v51, v35
	ds_bpermute_b32 v34, v20, v27
	v_add_f32_e32 v9, v82, v9
	s_waitcnt lgkmcnt(9)
	v_add_f32_e32 v18, v65, v18
	s_waitcnt lgkmcnt(8)
	;; [unrolled: 2-line block ×3, first 2 shown]
	v_add_f32_e32 v38, v55, v31
	ds_bpermute_b32 v31, v20, v28
	ds_bpermute_b32 v64, v17, v32
	;; [unrolled: 1-line block ×3, first 2 shown]
	s_waitcnt lgkmcnt(9)
	v_add_f32_e32 v1, v6, v33
	s_waitcnt lgkmcnt(8)
	v_add_f32_e32 v6, v37, v68
	ds_bpermute_b32 v33, v20, v52
	ds_bpermute_b32 v14, v17, v9
	;; [unrolled: 1-line block ×5, first 2 shown]
	s_waitcnt lgkmcnt(11)
	v_add_f32_e32 v53, v53, v26
	s_waitcnt lgkmcnt(10)
	v_add_f32_e32 v16, v54, v16
	ds_bpermute_b32 v54, v17, v19
	s_waitcnt lgkmcnt(10)
	v_add_f32_e32 v48, v24, v48
	ds_bpermute_b32 v50, v17, v18
	;; [unrolled: 3-line block ×3, first 2 shown]
	ds_bpermute_b32 v55, v17, v38
	ds_bpermute_b32 v51, v17, v53
	;; [unrolled: 1-line block ×3, first 2 shown]
	s_waitcnt lgkmcnt(13)
	v_add_f32_e32 v68, v28, v31
	v_add_f32_e32 v31, v22, v23
	s_waitcnt lgkmcnt(12)
	v_add_f32_e32 v26, v32, v64
	s_waitcnt lgkmcnt(11)
	v_add_f32_e32 v23, v35, v65
	s_clause 0x1
	buffer_load_dword v35, off, s[0:3], s32 offset:1224
	buffer_load_dword v32, off, s[0:3], s32 offset:1256
	s_waitcnt lgkmcnt(10)
	v_add_f32_e32 v33, v52, v33
	ds_bpermute_b32 v70, v17, v34
	s_waitcnt lgkmcnt(10)
	v_add_f32_e32 v14, v9, v14
	s_waitcnt lgkmcnt(9)
	v_add_f32_e32 v9, v36, v66
	ds_bpermute_b32 v36, v20, v30
	ds_bpermute_b32 v52, v17, v33
	s_waitcnt lgkmcnt(8)
	v_add_f32_e32 v28, v19, v54
	ds_bpermute_b32 v20, v20, v21
	v_add_f32_e32 v37, v29, v37
	v_add_f32_e32 v39, v25, v39
	s_load_dword s4, s[20:21], 0x0
	s_waitcnt lgkmcnt(0)
	v_add_f32_e32 v29, v18, v50
	v_add_f32_e32 v27, v38, v55
	ds_bpermute_b32 v67, v17, v37
	ds_bpermute_b32 v71, v17, v39
	v_add_f32_e32 v25, v53, v51
	s_mov_b32 s5, exec_lo
	v_add_f32_e32 v19, v34, v70
	v_add_f32_e32 v36, v30, v36
	;; [unrolled: 1-line block ×5, first 2 shown]
	ds_bpermute_b32 v20, v17, v68
	ds_bpermute_b32 v66, v17, v36
	v_add_f32_e32 v16, v48, v80
	ds_bpermute_b32 v17, v17, v69
	s_waitcnt lgkmcnt(4)
	v_add_f32_e32 v21, v37, v67
	s_waitcnt lgkmcnt(3)
	v_add_f32_e32 v18, v39, v71
	;; [unrolled: 2-line block ×5, first 2 shown]
	s_waitcnt vmcnt(1)
	v_and_b32_e32 v33, 28, v35
	s_waitcnt vmcnt(0)
	v_and_b32_e32 v34, 0x3c3, v32
	v_lshrrev_b32_e32 v32, 2, v35
	buffer_load_dword v35, off, s[0:3], s32 offset:1260 ; 4-byte Folded Reload
	v_add_nc_u32_e32 v33, s4, v33
	s_waitcnt vmcnt(0)
	v_lshlrev_b32_e32 v35, 10, v35
	v_cmpx_eq_u32_e32 64, v34
	s_cbranch_execz .LBB287_4199
; %bb.4198:
	v_add_nc_u32_e32 v36, v33, v35
	v_add_nc_u32_e32 v37, 0xfffff800, v36
	;; [unrolled: 1-line block ×8, first 2 shown]
	ds_write_b32 v37, v7
	ds_write_b32 v38, v4
	;; [unrolled: 1-line block ×7, first 2 shown]
	v_add_nc_u32_e32 v37, 0xfffff8e0, v36
	v_add_nc_u32_e32 v38, 0xfffff900, v36
	v_add_nc_u32_e32 v39, 0xfffff920, v36
	v_add_nc_u32_e32 v48, 0xfffff940, v36
	v_add_nc_u32_e32 v49, 0xfffff960, v36
	ds_write_b32 v37, v0
	ds_write_b32 v38, v15
	ds_write_b32 v39, v14
	ds_write_b32 v48, v13
	ds_write_b32 v49, v12
	v_add_nc_u32_e32 v37, 0xfffff980, v36
	v_add_nc_u32_e32 v38, 0xfffff9a0, v36
	v_add_nc_u32_e32 v39, 0xfffff9c0, v36
	v_add_nc_u32_e32 v48, 0xfffff9e0, v36
	v_add_nc_u32_e32 v49, 0xfffffa00, v36
	ds_write_b32 v37, v11
	ds_write_b32 v38, v9
	ds_write_b32 v39, v6
	ds_write_b32 v48, v3
	ds_write_b32 v49, v31
	;; [unrolled: 10-line block ×5, first 2 shown]
.LBB287_4199:
	s_or_b32 exec_lo, exec_lo, s5
	v_lshlrev_b32_e32 v32, 2, v32
	s_waitcnt lgkmcnt(0)
	s_barrier
	buffer_gl0_inv
	v_add3_u32 v32, s4, v35, v32
	s_mov_b32 s4, exec_lo
	v_cmpx_eq_u32_e32 0, v34
	s_cbranch_execz .LBB287_4201
; %bb.4200:
	ds_read2_b32 v[34:35], v32 offset1:8
	ds_read2_b32 v[36:37], v32 offset0:16 offset1:24
	ds_read2_b32 v[38:39], v32 offset0:32 offset1:40
	;; [unrolled: 1-line block ×12, first 2 shown]
	s_waitcnt lgkmcnt(12)
	v_add_f32_e32 v7, v34, v7
	v_add_f32_e32 v4, v35, v4
	s_waitcnt lgkmcnt(11)
	v_add_f32_e32 v10, v36, v10
	v_add_f32_e32 v8, v37, v8
	;; [unrolled: 3-line block ×3, first 2 shown]
	ds_read2_b32 v[34:35], v32 offset0:208 offset1:216
	ds_read2_b32 v[36:37], v32 offset0:224 offset1:232
	;; [unrolled: 1-line block ×3, first 2 shown]
	s_waitcnt lgkmcnt(12)
	v_add_f32_e32 v1, v48, v1
	v_add_f32_e32 v0, v49, v0
	s_waitcnt lgkmcnt(11)
	v_add_f32_e32 v15, v50, v15
	v_add_f32_e32 v14, v51, v14
	;; [unrolled: 3-line block ×13, first 2 shown]
.LBB287_4201:
	s_or_b32 exec_lo, exec_lo, s4
	buffer_load_dword v34, off, s[0:3], s32 offset:1256 ; 4-byte Folded Reload
	s_mov_b32 s4, exec_lo
	s_waitcnt vmcnt(0)
	s_barrier
	buffer_gl0_inv
	v_and_b32_e32 v34, 0x3e3, v34
	v_cmpx_eq_u32_e32 32, v34
	s_cbranch_execz .LBB287_4203
; %bb.4202:
	ds_write2_b32 v33, v7, v4 offset1:8
	ds_write2_b32 v33, v10, v8 offset0:16 offset1:24
	ds_write2_b32 v33, v5, v2 offset0:32 offset1:40
	;; [unrolled: 1-line block ×15, first 2 shown]
.LBB287_4203:
	s_or_b32 exec_lo, exec_lo, s4
	v_cmp_eq_u32_e32 vcc_lo, 0, v34
	s_waitcnt lgkmcnt(0)
	s_barrier
	buffer_gl0_inv
	s_and_saveexec_b32 s4, vcc_lo
	s_cbranch_execz .LBB287_4205
; %bb.4204:
	ds_read2_b32 v[33:34], v32 offset1:8
	ds_read2_b32 v[35:36], v32 offset0:16 offset1:24
	ds_read2_b32 v[37:38], v32 offset0:32 offset1:40
	;; [unrolled: 1-line block ×12, first 2 shown]
	s_waitcnt lgkmcnt(12)
	v_add_f32_e32 v7, v33, v7
	v_add_f32_e32 v4, v34, v4
	s_waitcnt lgkmcnt(11)
	v_add_f32_e32 v10, v35, v10
	v_add_f32_e32 v8, v36, v8
	s_waitcnt lgkmcnt(10)
	v_add_f32_e32 v5, v37, v5
	v_add_f32_e32 v2, v38, v2
	ds_read2_b32 v[33:34], v32 offset0:208 offset1:216
	ds_read2_b32 v[35:36], v32 offset0:224 offset1:232
	;; [unrolled: 1-line block ×3, first 2 shown]
	s_waitcnt lgkmcnt(12)
	v_add_f32_e32 v1, v48, v1
	v_add_f32_e32 v0, v49, v0
	s_waitcnt lgkmcnt(11)
	v_add_f32_e32 v15, v50, v15
	v_add_f32_e32 v14, v51, v14
	;; [unrolled: 3-line block ×13, first 2 shown]
.LBB287_4205:
	s_or_b32 exec_lo, exec_lo, s4
	s_barrier
	buffer_gl0_inv
	s_and_saveexec_b32 s4, vcc_lo
	s_cbranch_execz .LBB287_4207
; %bb.4206:
	s_clause 0x2
	buffer_load_dword v33, off, s[0:3], s32 offset:1276
	buffer_load_dword v32, off, s[0:3], s32 offset:1256
	;; [unrolled: 1-line block ×3, first 2 shown]
	s_and_b32 s5, 0xffff, s17
	;;#ASMSTART
	v_cvt_f16_f32 v7, v7;

	;;#ASMEND
	s_cmp_lg_u32 s5, 0
	s_cselect_b32 s5, -1, 0
	s_cmp_lg_u32 s5, 0
	s_addc_u32 s5, s13, 0
	s_lshl_b32 s6, s14, 8
	s_mul_i32 s7, s16, s5
	s_mul_i32 s8, s18, s5
	s_mul_i32 s7, s7, s15
	s_ashr_i32 s9, s8, 31
	s_lshl_b32 s10, s7, 8
	s_lshl_b64 s[8:9], s[8:9], 1
	s_ashr_i32 s11, s10, 31
	s_ashr_i32 s7, s6, 31
	s_lshl_b64 s[10:11], s[10:11], 1
	s_lshl_b64 s[6:7], s[6:7], 1
	s_waitcnt vmcnt(2)
	v_add_co_u32 v33, vcc_lo, v33, s10
	s_waitcnt vmcnt(0)
	v_add_co_ci_u32_e64 v34, null, s11, v34, vcc_lo
	v_lshrrev_b32_e32 v32, 1, v32
	v_add_co_u32 v33, vcc_lo, v33, s8
	v_add_co_ci_u32_e64 v34, null, s9, v34, vcc_lo
	v_add_co_u32 v33, vcc_lo, v33, s6
	v_add_co_ci_u32_e64 v34, null, s7, v34, vcc_lo
	;; [unrolled: 2-line block ×3, first 2 shown]
	flat_store_short v[32:33], v7
	;;#ASMSTART
	v_cvt_f16_f32 v4, v4;

	;;#ASMEND
	flat_store_short v[32:33], v4 offset:16
	;;#ASMSTART
	v_cvt_f16_f32 v4, v10;

	;;#ASMEND
	flat_store_short v[32:33], v4 offset:32
	;; [unrolled: 5-line block ×31, first 2 shown]
.LBB287_4207:
	s_or_b32 exec_lo, exec_lo, s4
	s_clause 0x2f
	buffer_load_dword v127, off, s[0:3], s32
	buffer_load_dword v126, off, s[0:3], s32 offset:4
	buffer_load_dword v125, off, s[0:3], s32 offset:8
	;; [unrolled: 1-line block ×47, first 2 shown]
	s_waitcnt vmcnt(0) lgkmcnt(0)
	s_setpc_b64 s[30:31]
.Lfunc_end287:
	.size	_ZN4vllm22paged_attention_kernelIthLi256ELi32ELi128ELNS_18Fp8KVCacheDataTypeE1ELb1ELi0EEEvPfS2_PT_PKS3_PKT0_S9_ifPKiSB_iPKfiiiSD_SD_iiiii, .Lfunc_end287-_ZN4vllm22paged_attention_kernelIthLi256ELi32ELi128ELNS_18Fp8KVCacheDataTypeE1ELb1ELi0EEEvPfS2_PT_PKS3_PKT0_S9_ifPKiSB_iPKfiiiSD_SD_iiiii
                                        ; -- End function
	.set .L_ZN4vllm22paged_attention_kernelIthLi256ELi32ELi128ELNS_18Fp8KVCacheDataTypeE1ELb1ELi0EEEvPfS2_PT_PKS3_PKT0_S9_ifPKiSB_iPKfiiiSD_SD_iiiii.num_vgpr, 128
	.set .L_ZN4vllm22paged_attention_kernelIthLi256ELi32ELi128ELNS_18Fp8KVCacheDataTypeE1ELb1ELi0EEEvPfS2_PT_PKS3_PKT0_S9_ifPKiSB_iPKfiiiSD_SD_iiiii.num_agpr, 0
	.set .L_ZN4vllm22paged_attention_kernelIthLi256ELi32ELi128ELNS_18Fp8KVCacheDataTypeE1ELb1ELi0EEEvPfS2_PT_PKS3_PKT0_S9_ifPKiSB_iPKfiiiSD_SD_iiiii.numbered_sgpr, 33
	.set .L_ZN4vllm22paged_attention_kernelIthLi256ELi32ELi128ELNS_18Fp8KVCacheDataTypeE1ELb1ELi0EEEvPfS2_PT_PKS3_PKT0_S9_ifPKiSB_iPKfiiiSD_SD_iiiii.num_named_barrier, 0
	.set .L_ZN4vllm22paged_attention_kernelIthLi256ELi32ELi128ELNS_18Fp8KVCacheDataTypeE1ELb1ELi0EEEvPfS2_PT_PKS3_PKT0_S9_ifPKiSB_iPKfiiiSD_SD_iiiii.private_seg_size, 1328
	.set .L_ZN4vllm22paged_attention_kernelIthLi256ELi32ELi128ELNS_18Fp8KVCacheDataTypeE1ELb1ELi0EEEvPfS2_PT_PKS3_PKT0_S9_ifPKiSB_iPKfiiiSD_SD_iiiii.uses_vcc, 1
	.set .L_ZN4vllm22paged_attention_kernelIthLi256ELi32ELi128ELNS_18Fp8KVCacheDataTypeE1ELb1ELi0EEEvPfS2_PT_PKS3_PKT0_S9_ifPKiSB_iPKfiiiSD_SD_iiiii.uses_flat_scratch, 0
	.set .L_ZN4vllm22paged_attention_kernelIthLi256ELi32ELi128ELNS_18Fp8KVCacheDataTypeE1ELb1ELi0EEEvPfS2_PT_PKS3_PKT0_S9_ifPKiSB_iPKfiiiSD_SD_iiiii.has_dyn_sized_stack, 0
	.set .L_ZN4vllm22paged_attention_kernelIthLi256ELi32ELi128ELNS_18Fp8KVCacheDataTypeE1ELb1ELi0EEEvPfS2_PT_PKS3_PKT0_S9_ifPKiSB_iPKfiiiSD_SD_iiiii.has_recursion, 0
	.set .L_ZN4vllm22paged_attention_kernelIthLi256ELi32ELi128ELNS_18Fp8KVCacheDataTypeE1ELb1ELi0EEEvPfS2_PT_PKS3_PKT0_S9_ifPKiSB_iPKfiiiSD_SD_iiiii.has_indirect_call, 0
	.section	.AMDGPU.csdata,"",@progbits
; Function info:
; codeLenInByte = 145044
; TotalNumSgprs: 35
; NumVgprs: 128
; ScratchSize: 1328
; MemoryBound: 0
	.section	.text._ZN4vllm25paged_attention_v1_kernelIthLi256ELi32ELi128ELNS_18Fp8KVCacheDataTypeE1ELb1EEEvPT_PKS2_PKT0_S8_ifPKiSA_iPKfiiiSC_SC_iiiii,"axG",@progbits,_ZN4vllm25paged_attention_v1_kernelIthLi256ELi32ELi128ELNS_18Fp8KVCacheDataTypeE1ELb1EEEvPT_PKS2_PKT0_S8_ifPKiSA_iPKfiiiSC_SC_iiiii,comdat
	.protected	_ZN4vllm25paged_attention_v1_kernelIthLi256ELi32ELi128ELNS_18Fp8KVCacheDataTypeE1ELb1EEEvPT_PKS2_PKT0_S8_ifPKiSA_iPKfiiiSC_SC_iiiii ; -- Begin function _ZN4vllm25paged_attention_v1_kernelIthLi256ELi32ELi128ELNS_18Fp8KVCacheDataTypeE1ELb1EEEvPT_PKS2_PKT0_S8_ifPKiSA_iPKfiiiSC_SC_iiiii
	.globl	_ZN4vllm25paged_attention_v1_kernelIthLi256ELi32ELi128ELNS_18Fp8KVCacheDataTypeE1ELb1EEEvPT_PKS2_PKT0_S8_ifPKiSA_iPKfiiiSC_SC_iiiii
	.p2align	8
	.type	_ZN4vllm25paged_attention_v1_kernelIthLi256ELi32ELi128ELNS_18Fp8KVCacheDataTypeE1ELb1EEEvPT_PKS2_PKT0_S8_ifPKiSA_iPKfiiiSC_SC_iiiii,@function
_ZN4vllm25paged_attention_v1_kernelIthLi256ELi32ELi128ELNS_18Fp8KVCacheDataTypeE1ELb1EEEvPT_PKS2_PKT0_S8_ifPKiSA_iPKfiiiSC_SC_iiiii: ; @_ZN4vllm25paged_attention_v1_kernelIthLi256ELi32ELi128ELNS_18Fp8KVCacheDataTypeE1ELb1EEEvPT_PKS2_PKT0_S8_ifPKiSA_iPKfiiiSC_SC_iiiii
; %bb.0:
	s_clause 0x7
	s_load_dwordx8 s[16:23], s[4:5], 0x0
	s_load_dwordx4 s[36:39], s[4:5], 0x20
	s_load_dwordx2 s[10:11], s[4:5], 0x30
	s_load_dword s13, s[4:5], 0x38
	s_load_dwordx2 s[34:35], s[4:5], 0x40
	s_load_dwordx8 s[24:31], s[4:5], 0x48
	s_load_dword s15, s[4:5], 0x78
	s_load_dwordx4 s[40:43], s[4:5], 0x68
	s_add_u32 s0, s0, s9
	s_addc_u32 s1, s1, 0
	v_mov_b32_e32 v31, v0
	s_mov_b32 s14, s8
	s_add_u32 s8, s4, 0x80
	s_addc_u32 s9, s5, 0
	s_getpc_b64 s[4:5]
	s_add_u32 s4, s4, _ZN4vllm22paged_attention_kernelIthLi256ELi32ELi128ELNS_18Fp8KVCacheDataTypeE1ELb1ELi0EEEvPfS2_PT_PKS3_PKT0_S9_ifPKiSB_iPKfiiiSD_SD_iiiii@rel32@lo+4
	s_addc_u32 s5, s5, _ZN4vllm22paged_attention_kernelIthLi256ELi32ELi128ELNS_18Fp8KVCacheDataTypeE1ELb1ELi0EEEvPfS2_PT_PKS3_PKT0_S9_ifPKiSB_iPKfiiiSD_SD_iiiii@rel32@hi+12
	s_mov_b32 s12, s6
	s_mov_b32 s32, 0
	s_waitcnt lgkmcnt(0)
	v_mov_b32_e32 v0, s16
	v_mov_b32_e32 v1, s17
	;; [unrolled: 1-line block ×29, first 2 shown]
	s_mov_b32 s13, s7
	s_mov_b32 s15, 47
	s_swappc_b64 s[30:31], s[4:5]
	s_endpgm
	.section	.rodata,"a",@progbits
	.p2align	6, 0x0
	.amdhsa_kernel _ZN4vllm25paged_attention_v1_kernelIthLi256ELi32ELi128ELNS_18Fp8KVCacheDataTypeE1ELb1EEEvPT_PKS2_PKT0_S8_ifPKiSA_iPKfiiiSC_SC_iiiii
		.amdhsa_group_segment_fixed_size 544
		.amdhsa_private_segment_fixed_size 1328
		.amdhsa_kernarg_size 384
		.amdhsa_user_sgpr_count 6
		.amdhsa_user_sgpr_private_segment_buffer 1
		.amdhsa_user_sgpr_dispatch_ptr 0
		.amdhsa_user_sgpr_queue_ptr 0
		.amdhsa_user_sgpr_kernarg_segment_ptr 1
		.amdhsa_user_sgpr_dispatch_id 0
		.amdhsa_user_sgpr_flat_scratch_init 0
		.amdhsa_user_sgpr_private_segment_size 0
		.amdhsa_wavefront_size32 1
		.amdhsa_uses_dynamic_stack 0
		.amdhsa_system_sgpr_private_segment_wavefront_offset 1
		.amdhsa_system_sgpr_workgroup_id_x 1
		.amdhsa_system_sgpr_workgroup_id_y 1
		.amdhsa_system_sgpr_workgroup_id_z 1
		.amdhsa_system_sgpr_workgroup_info 0
		.amdhsa_system_vgpr_workitem_id 0
		.amdhsa_next_free_vgpr 128
		.amdhsa_next_free_sgpr 44
		.amdhsa_reserve_vcc 1
		.amdhsa_reserve_flat_scratch 0
		.amdhsa_float_round_mode_32 0
		.amdhsa_float_round_mode_16_64 0
		.amdhsa_float_denorm_mode_32 3
		.amdhsa_float_denorm_mode_16_64 3
		.amdhsa_dx10_clamp 1
		.amdhsa_ieee_mode 1
		.amdhsa_fp16_overflow 0
		.amdhsa_workgroup_processor_mode 1
		.amdhsa_memory_ordered 1
		.amdhsa_forward_progress 1
		.amdhsa_shared_vgpr_count 0
		.amdhsa_exception_fp_ieee_invalid_op 0
		.amdhsa_exception_fp_denorm_src 0
		.amdhsa_exception_fp_ieee_div_zero 0
		.amdhsa_exception_fp_ieee_overflow 0
		.amdhsa_exception_fp_ieee_underflow 0
		.amdhsa_exception_fp_ieee_inexact 0
		.amdhsa_exception_int_div_zero 0
	.end_amdhsa_kernel
	.section	.text._ZN4vllm25paged_attention_v1_kernelIthLi256ELi32ELi128ELNS_18Fp8KVCacheDataTypeE1ELb1EEEvPT_PKS2_PKT0_S8_ifPKiSA_iPKfiiiSC_SC_iiiii,"axG",@progbits,_ZN4vllm25paged_attention_v1_kernelIthLi256ELi32ELi128ELNS_18Fp8KVCacheDataTypeE1ELb1EEEvPT_PKS2_PKT0_S8_ifPKiSA_iPKfiiiSC_SC_iiiii,comdat
.Lfunc_end288:
	.size	_ZN4vllm25paged_attention_v1_kernelIthLi256ELi32ELi128ELNS_18Fp8KVCacheDataTypeE1ELb1EEEvPT_PKS2_PKT0_S8_ifPKiSA_iPKfiiiSC_SC_iiiii, .Lfunc_end288-_ZN4vllm25paged_attention_v1_kernelIthLi256ELi32ELi128ELNS_18Fp8KVCacheDataTypeE1ELb1EEEvPT_PKS2_PKT0_S8_ifPKiSA_iPKfiiiSC_SC_iiiii
                                        ; -- End function
	.set _ZN4vllm25paged_attention_v1_kernelIthLi256ELi32ELi128ELNS_18Fp8KVCacheDataTypeE1ELb1EEEvPT_PKS2_PKT0_S8_ifPKiSA_iPKfiiiSC_SC_iiiii.num_vgpr, max(32, .L_ZN4vllm22paged_attention_kernelIthLi256ELi32ELi128ELNS_18Fp8KVCacheDataTypeE1ELb1ELi0EEEvPfS2_PT_PKS3_PKT0_S9_ifPKiSB_iPKfiiiSD_SD_iiiii.num_vgpr)
	.set _ZN4vllm25paged_attention_v1_kernelIthLi256ELi32ELi128ELNS_18Fp8KVCacheDataTypeE1ELb1EEEvPT_PKS2_PKT0_S8_ifPKiSA_iPKfiiiSC_SC_iiiii.num_agpr, max(0, .L_ZN4vllm22paged_attention_kernelIthLi256ELi32ELi128ELNS_18Fp8KVCacheDataTypeE1ELb1ELi0EEEvPfS2_PT_PKS3_PKT0_S9_ifPKiSB_iPKfiiiSD_SD_iiiii.num_agpr)
	.set _ZN4vllm25paged_attention_v1_kernelIthLi256ELi32ELi128ELNS_18Fp8KVCacheDataTypeE1ELb1EEEvPT_PKS2_PKT0_S8_ifPKiSA_iPKfiiiSC_SC_iiiii.numbered_sgpr, max(44, .L_ZN4vllm22paged_attention_kernelIthLi256ELi32ELi128ELNS_18Fp8KVCacheDataTypeE1ELb1ELi0EEEvPfS2_PT_PKS3_PKT0_S9_ifPKiSB_iPKfiiiSD_SD_iiiii.numbered_sgpr)
	.set _ZN4vllm25paged_attention_v1_kernelIthLi256ELi32ELi128ELNS_18Fp8KVCacheDataTypeE1ELb1EEEvPT_PKS2_PKT0_S8_ifPKiSA_iPKfiiiSC_SC_iiiii.num_named_barrier, max(0, .L_ZN4vllm22paged_attention_kernelIthLi256ELi32ELi128ELNS_18Fp8KVCacheDataTypeE1ELb1ELi0EEEvPfS2_PT_PKS3_PKT0_S9_ifPKiSB_iPKfiiiSD_SD_iiiii.num_named_barrier)
	.set _ZN4vllm25paged_attention_v1_kernelIthLi256ELi32ELi128ELNS_18Fp8KVCacheDataTypeE1ELb1EEEvPT_PKS2_PKT0_S8_ifPKiSA_iPKfiiiSC_SC_iiiii.private_seg_size, 0+max(.L_ZN4vllm22paged_attention_kernelIthLi256ELi32ELi128ELNS_18Fp8KVCacheDataTypeE1ELb1ELi0EEEvPfS2_PT_PKS3_PKT0_S9_ifPKiSB_iPKfiiiSD_SD_iiiii.private_seg_size)
	.set _ZN4vllm25paged_attention_v1_kernelIthLi256ELi32ELi128ELNS_18Fp8KVCacheDataTypeE1ELb1EEEvPT_PKS2_PKT0_S8_ifPKiSA_iPKfiiiSC_SC_iiiii.uses_vcc, or(1, .L_ZN4vllm22paged_attention_kernelIthLi256ELi32ELi128ELNS_18Fp8KVCacheDataTypeE1ELb1ELi0EEEvPfS2_PT_PKS3_PKT0_S9_ifPKiSB_iPKfiiiSD_SD_iiiii.uses_vcc)
	.set _ZN4vllm25paged_attention_v1_kernelIthLi256ELi32ELi128ELNS_18Fp8KVCacheDataTypeE1ELb1EEEvPT_PKS2_PKT0_S8_ifPKiSA_iPKfiiiSC_SC_iiiii.uses_flat_scratch, or(0, .L_ZN4vllm22paged_attention_kernelIthLi256ELi32ELi128ELNS_18Fp8KVCacheDataTypeE1ELb1ELi0EEEvPfS2_PT_PKS3_PKT0_S9_ifPKiSB_iPKfiiiSD_SD_iiiii.uses_flat_scratch)
	.set _ZN4vllm25paged_attention_v1_kernelIthLi256ELi32ELi128ELNS_18Fp8KVCacheDataTypeE1ELb1EEEvPT_PKS2_PKT0_S8_ifPKiSA_iPKfiiiSC_SC_iiiii.has_dyn_sized_stack, or(0, .L_ZN4vllm22paged_attention_kernelIthLi256ELi32ELi128ELNS_18Fp8KVCacheDataTypeE1ELb1ELi0EEEvPfS2_PT_PKS3_PKT0_S9_ifPKiSB_iPKfiiiSD_SD_iiiii.has_dyn_sized_stack)
	.set _ZN4vllm25paged_attention_v1_kernelIthLi256ELi32ELi128ELNS_18Fp8KVCacheDataTypeE1ELb1EEEvPT_PKS2_PKT0_S8_ifPKiSA_iPKfiiiSC_SC_iiiii.has_recursion, or(0, .L_ZN4vllm22paged_attention_kernelIthLi256ELi32ELi128ELNS_18Fp8KVCacheDataTypeE1ELb1ELi0EEEvPfS2_PT_PKS3_PKT0_S9_ifPKiSB_iPKfiiiSD_SD_iiiii.has_recursion)
	.set _ZN4vllm25paged_attention_v1_kernelIthLi256ELi32ELi128ELNS_18Fp8KVCacheDataTypeE1ELb1EEEvPT_PKS2_PKT0_S8_ifPKiSA_iPKfiiiSC_SC_iiiii.has_indirect_call, or(0, .L_ZN4vllm22paged_attention_kernelIthLi256ELi32ELi128ELNS_18Fp8KVCacheDataTypeE1ELb1ELi0EEEvPfS2_PT_PKS3_PKT0_S9_ifPKiSB_iPKfiiiSD_SD_iiiii.has_indirect_call)
	.section	.AMDGPU.csdata,"",@progbits
; Kernel info:
; codeLenInByte = 260
; TotalNumSgprs: 46
; NumVgprs: 128
; ScratchSize: 1328
; MemoryBound: 0
; FloatMode: 240
; IeeeMode: 1
; LDSByteSize: 544 bytes/workgroup (compile time only)
; SGPRBlocks: 0
; VGPRBlocks: 15
; NumSGPRsForWavesPerEU: 46
; NumVGPRsForWavesPerEU: 128
; Occupancy: 8
; WaveLimiterHint : 1
; COMPUTE_PGM_RSRC2:SCRATCH_EN: 1
; COMPUTE_PGM_RSRC2:USER_SGPR: 6
; COMPUTE_PGM_RSRC2:TRAP_HANDLER: 0
; COMPUTE_PGM_RSRC2:TGID_X_EN: 1
; COMPUTE_PGM_RSRC2:TGID_Y_EN: 1
; COMPUTE_PGM_RSRC2:TGID_Z_EN: 1
; COMPUTE_PGM_RSRC2:TIDIG_COMP_CNT: 0
	.section	.text._ZN4vllm25paged_attention_v1_kernelIthLi32ELi32ELi128ELNS_18Fp8KVCacheDataTypeE1ELb0EEEvPT_PKS2_PKT0_S8_ifPKiSA_iPKfiiiSC_SC_iiiii,"axG",@progbits,_ZN4vllm25paged_attention_v1_kernelIthLi32ELi32ELi128ELNS_18Fp8KVCacheDataTypeE1ELb0EEEvPT_PKS2_PKT0_S8_ifPKiSA_iPKfiiiSC_SC_iiiii,comdat
	.protected	_ZN4vllm25paged_attention_v1_kernelIthLi32ELi32ELi128ELNS_18Fp8KVCacheDataTypeE1ELb0EEEvPT_PKS2_PKT0_S8_ifPKiSA_iPKfiiiSC_SC_iiiii ; -- Begin function _ZN4vllm25paged_attention_v1_kernelIthLi32ELi32ELi128ELNS_18Fp8KVCacheDataTypeE1ELb0EEEvPT_PKS2_PKT0_S8_ifPKiSA_iPKfiiiSC_SC_iiiii
	.globl	_ZN4vllm25paged_attention_v1_kernelIthLi32ELi32ELi128ELNS_18Fp8KVCacheDataTypeE1ELb0EEEvPT_PKS2_PKT0_S8_ifPKiSA_iPKfiiiSC_SC_iiiii
	.p2align	8
	.type	_ZN4vllm25paged_attention_v1_kernelIthLi32ELi32ELi128ELNS_18Fp8KVCacheDataTypeE1ELb0EEEvPT_PKS2_PKT0_S8_ifPKiSA_iPKfiiiSC_SC_iiiii,@function
_ZN4vllm25paged_attention_v1_kernelIthLi32ELi32ELi128ELNS_18Fp8KVCacheDataTypeE1ELb0EEEvPT_PKS2_PKT0_S8_ifPKiSA_iPKfiiiSC_SC_iiiii: ; @_ZN4vllm25paged_attention_v1_kernelIthLi32ELi32ELi128ELNS_18Fp8KVCacheDataTypeE1ELb0EEEvPT_PKS2_PKT0_S8_ifPKiSA_iPKfiiiSC_SC_iiiii
; %bb.0:
	s_clause 0x2
	s_load_dword s9, s[4:5], 0x80
	s_load_dwordx2 s[0:1], s[4:5], 0x30
	s_load_dwordx2 s[2:3], s[4:5], 0x20
	s_mov_b32 s10, s7
	s_ashr_i32 s11, s7, 31
	s_mov_b32 s28, 0
	s_lshl_b64 s[12:13], s[10:11], 2
	s_waitcnt lgkmcnt(0)
	s_add_u32 s0, s0, s12
	s_addc_u32 s1, s1, s13
	s_abs_i32 s7, s2
	s_abs_i32 s13, s9
	v_cvt_f32_u32_e32 v1, s7
	s_sub_i32 s12, 0, s7
	s_xor_b32 s2, s9, s2
	s_ashr_i32 s2, s2, 31
	v_rcp_iflag_f32_e32 v1, v1
	v_mul_f32_e32 v1, 0x4f7ffffe, v1
	v_cvt_u32_f32_e32 v1, v1
	v_readfirstlane_b32 s11, v1
	s_mul_i32 s12, s12, s11
	s_mul_hi_u32 s12, s11, s12
	s_add_i32 s11, s11, s12
	s_mul_hi_u32 s11, s13, s11
	s_mul_i32 s12, s11, s7
	s_sub_i32 s12, s13, s12
	s_add_i32 s13, s11, 1
	s_sub_i32 s14, s12, s7
	s_cmp_ge_u32 s12, s7
	s_cselect_b32 s11, s13, s11
	s_cselect_b32 s12, s14, s12
	s_add_i32 s13, s11, 1
	s_cmp_ge_u32 s12, s7
	s_cselect_b32 s7, s13, s11
	s_load_dwordx2 s[12:13], s[4:5], 0x40
	s_xor_b32 s7, s7, s2
	s_abs_i32 s14, s6
	s_sub_i32 s15, s7, s2
	s_abs_i32 s2, s15
	v_cvt_f32_u32_e32 v1, s2
	s_sub_i32 s11, 0, s2
	v_rcp_iflag_f32_e32 v1, v1
	v_mul_f32_e32 v1, 0x4f7ffffe, v1
	v_cvt_u32_f32_e32 v1, v1
	v_readfirstlane_b32 s7, v1
	s_mul_i32 s11, s11, s7
	s_mul_hi_u32 s11, s7, s11
	s_add_i32 s7, s7, s11
	s_waitcnt lgkmcnt(0)
	s_cmp_eq_u64 s[12:13], 0
	s_mul_hi_u32 s26, s14, s7
	s_cbranch_scc1 .LBB289_2
; %bb.1:
	s_ashr_i32 s7, s6, 31
	s_lshl_b64 s[16:17], s[6:7], 2
	s_add_u32 s12, s12, s16
	s_addc_u32 s13, s13, s17
	s_load_dword s28, s[12:13], 0x0
.LBB289_2:
	s_load_dword s11, s[0:1], 0x0
	s_clause 0x1
	s_load_dwordx2 s[22:23], s[4:5], 0x28
	s_load_dwordx4 s[16:19], s[4:5], 0x48
	s_ashr_i32 s0, s6, 31
	s_ashr_i32 s1, s15, 31
	s_lshl_b32 s6, s6, 5
	s_mov_b32 s12, exec_lo
	v_cmpx_gt_u32_e32 4, v0
	s_cbranch_execz .LBB289_4
; %bb.3:
	s_load_dwordx2 s[20:21], s[4:5], 0x8
	s_waitcnt lgkmcnt(0)
	s_mul_i32 s24, s16, s10
	v_lshlrev_b32_e32 v5, 4, v0
	s_ashr_i32 s25, s24, 31
	s_lshl_b64 s[24:25], s[24:25], 1
	s_add_u32 s13, s20, s24
	s_addc_u32 s15, s21, s25
	s_ashr_i32 s7, s6, 31
	s_lshl_b64 s[20:21], s[6:7], 1
	s_add_u32 s20, s13, s20
	s_addc_u32 s21, s15, s21
	global_load_dwordx4 v[1:4], v5, s[20:21]
	s_waitcnt vmcnt(0)
	ds_write_b128 v5, v[1:4]
.LBB289_4:
	s_or_b32 exec_lo, exec_lo, s12
	s_waitcnt lgkmcnt(0)
	s_add_i32 s7, s11, 31
	s_clause 0x2
	s_load_dwordx2 s[20:21], s[4:5], 0x0
	s_load_dwordx2 s[24:25], s[4:5], 0x18
	s_load_dword s19, s[4:5], 0x38
	s_ashr_i32 s12, s7, 31
	s_xor_b32 s0, s0, s1
	s_lshr_b32 s12, s12, 27
	s_add_i32 s27, s26, 1
	s_add_i32 s7, s7, s12
	s_mul_i32 s12, s26, s2
	s_ashr_i32 s16, s7, 5
	s_sub_i32 s1, s14, s12
	s_clause 0x1
	s_load_dword s7, s[4:5], 0x88
	s_load_dwordx4 s[12:15], s[4:5], 0x58
	s_sub_i32 s29, s1, s2
	s_cmp_ge_u32 s1, s2
	v_lshrrev_b32_e32 v11, 5, v0
	s_cselect_b32 s26, s27, s26
	s_cselect_b32 s1, s29, s1
	s_add_i32 s27, s26, 1
	s_cmp_ge_u32 s1, s2
	v_and_b32_e32 v12, 31, v0
	s_cselect_b32 s1, s27, s26
	v_mov_b32_e32 v15, 0xff7fffff
	s_xor_b32 s1, s1, s0
	v_lshrrev_b32_e32 v13, 3, v0
	s_sub_i32 s1, s1, s0
	v_cmp_gt_i32_e64 s0, s16, v11
	v_lshlrev_b32_e32 v14, 2, v12
	s_waitcnt lgkmcnt(0)
	s_mul_i32 s26, s19, s10
	s_mul_i32 s18, s1, s18
	s_ashr_i32 s27, s26, 31
	s_barrier
	buffer_gl0_inv
	s_and_saveexec_b32 s19, s0
	s_cbranch_execz .LBB289_264
; %bb.5:
	s_load_dwordx2 s[4:5], s[4:5], 0x10
	v_lshlrev_b32_e32 v1, 4, v12
	v_lshl_or_b32 v3, v11, 7, v14
	s_ashr_i32 s1, s18, 31
	v_and_b32_e32 v5, 0x7c, v13
	v_mov_b32_e32 v2, 0
	v_cmp_neq_f32_e64 vcc_lo, s28, 0
	v_add_nc_u32_e32 v19, 0x60, v3
	v_lshl_or_b32 v16, v11, 5, v12
	v_mov_b32_e32 v15, 0xff7fffff
	v_mov_b32_e32 v17, 0x80
	;; [unrolled: 1-line block ×6, first 2 shown]
	s_mov_b32 s29, s17
	s_mov_b32 s31, 0
	s_waitcnt lgkmcnt(0)
	s_add_u32 s2, s4, s18
	s_addc_u32 s1, s5, s1
	s_lshl_b64 s[4:5], s[26:27], 2
	v_add_co_u32 v3, s2, s2, v1
	s_sub_i32 s30, 1, s11
	v_add_co_ci_u32_e64 v4, null, s1, 0, s2
	s_add_u32 s1, s22, s4
	s_addc_u32 s2, s23, s5
	v_add_co_u32 v5, s1, s1, v5
	v_add_co_ci_u32_e64 v6, null, s2, 0, s1
	s_mov_b32 s4, -1
	s_mov_b32 s5, 0xffffff
	s_branch .LBB289_10
.LBB289_6:                              ;   in Loop: Header=BB289_10 Depth=1
	s_or_b32 exec_lo, exec_lo, s35
	v_lshlrev_b32_e32 v1, 8, v1
	v_lshl_add_u32 v8, v8, 10, 0x2000
	v_lshlrev_b32_e32 v7, 23, v7
	v_and_or_b32 v1, 0x8000, v1, v8
	v_lshl_or_b32 v53, v1, 16, v7
.LBB289_7:                              ;   in Loop: Header=BB289_10 Depth=1
	s_or_b32 exec_lo, exec_lo, s34
.LBB289_8:                              ;   in Loop: Header=BB289_10 Depth=1
	s_or_b32 exec_lo, exec_lo, s33
.LBB289_9:                              ;   in Loop: Header=BB289_10 Depth=1
	s_or_b32 exec_lo, exec_lo, s2
	ds_read_b128 v[54:57], v2
	v_or_b32_e32 v8, v25, v24
	v_or_b32_e32 v1, v28, v26
	v_fma_mixlo_f16 v24, v23, v25, 0 op_sel:[0,1,0] op_sel_hi:[0,1,0]
	v_or_b32_e32 v25, v30, v27
	v_or_b32_e32 v27, v32, v29
	v_fma_mixlo_f16 v8, v23, v8, 0 op_sel_hi:[0,1,0]
	v_fma_mixlo_f16 v7, v23, v28, 0 op_sel:[0,1,0] op_sel_hi:[0,1,0]
	v_fma_mixlo_f16 v1, v23, v1, 0 op_sel_hi:[0,1,0]
	v_fma_mixlo_f16 v25, v23, v25, 0 op_sel_hi:[0,1,0]
	v_fma_mixlo_f16 v26, v23, v30, 0 op_sel:[0,1,0] op_sel_hi:[0,1,0]
	v_fma_mixlo_f16 v28, v23, v32, 0 op_sel:[0,1,0] op_sel_hi:[0,1,0]
	v_fma_mixlo_f16 v27, v23, v27, 0 op_sel_hi:[0,1,0]
	v_and_b32_e32 v24, 0xffff, v24
	v_and_b32_e32 v8, 0xffff, v8
	;; [unrolled: 1-line block ×4, first 2 shown]
	v_or_b32_e32 v31, v33, v31
	v_or_b32_e32 v40, v41, v40
	v_or_b32_e32 v34, v36, v34
	s_waitcnt lgkmcnt(0)
	v_and_b32_e32 v29, 0xffff, v54
	v_lshrrev_b32_e32 v30, 16, v54
	v_and_b32_e32 v54, 0xffff, v1
	v_lshrrev_b32_e32 v1, 16, v55
	v_and_b32_e32 v32, 0xffff, v55
	;;#ASMSTART
	v_cvt_f32_f16 v59, v29;
	;;#ASMEND
	;;#ASMSTART
	v_cvt_f32_f16 v60, v30;
	;;#ASMEND
	;; [unrolled: 3-line block ×4, first 2 shown]
	v_and_b32_e32 v8, 0xffff, v56
	v_lshrrev_b32_e32 v24, 16, v56
	v_and_b32_e32 v29, 0xffff, v25
	;;#ASMSTART
	v_cvt_f32_f16 v32, v32;
	;;#ASMEND
	;;#ASMSTART
	v_cvt_f32_f16 v1, v1;
	;;#ASMEND
	;; [unrolled: 3-line block ×7, first 2 shown]
	v_and_b32_e32 v29, 0xffff, v57
	v_lshrrev_b32_e32 v30, 16, v57
	v_and_b32_e32 v55, 0xffff, v27
	v_and_b32_e32 v56, 0xffff, v28
	;;#ASMSTART
	v_cvt_f32_f16 v26, v26;
	;;#ASMEND
	;;#ASMSTART
	v_cvt_f32_f16 v27, v29;
	;;#ASMEND
	;; [unrolled: 3-line block ×5, first 2 shown]
	ds_read_b128 v[55:58], v2 offset:16
	v_or_b32_e32 v35, v37, v35
	v_or_b32_e32 v38, v39, v38
	v_fma_mixlo_f16 v33, v23, v33, 0 op_sel:[0,1,0] op_sel_hi:[0,1,0]
	v_fma_mixlo_f16 v31, v23, v31, 0 op_sel_hi:[0,1,0]
	v_fma_mixlo_f16 v64, v23, v40, 0 op_sel_hi:[0,1,0]
	v_fma_mixlo_f16 v36, v23, v36, 0 op_sel:[0,1,0] op_sel_hi:[0,1,0]
	v_fma_mixlo_f16 v34, v23, v34, 0 op_sel_hi:[0,1,0]
	v_fma_mixlo_f16 v40, v23, v35, 0 op_sel_hi:[0,1,0]
	;; [unrolled: 1-line block ×3, first 2 shown]
	v_fma_mixlo_f16 v39, v23, v39, 0 op_sel:[0,1,0] op_sel_hi:[0,1,0]
	v_fma_mixlo_f16 v37, v23, v37, 0 op_sel:[0,1,0] op_sel_hi:[0,1,0]
	;; [unrolled: 1-line block ×3, first 2 shown]
	v_and_b32_e32 v31, 0xffff, v31
	v_and_b32_e32 v34, 0xffff, v34
	;; [unrolled: 1-line block ×7, first 2 shown]
	s_waitcnt lgkmcnt(0)
	v_and_b32_e32 v41, 0xffff, v55
	v_lshrrev_b32_e32 v35, 16, v55
	;;#ASMSTART
	v_cvt_f32_f16 v55, v41;
	;;#ASMEND
	v_and_b32_e32 v41, 0xffff, v33
	v_and_b32_e32 v65, 0xffff, v56
	v_lshrrev_b32_e32 v66, 16, v56
	;;#ASMSTART
	v_cvt_f32_f16 v33, v35;
	;;#ASMEND
	;;#ASMSTART
	v_cvt_f32_f16 v31, v31;
	;;#ASMEND
	;; [unrolled: 3-line block ×3, first 2 shown]
	v_and_b32_e32 v41, 0xffff, v57
	v_lshrrev_b32_e32 v67, 16, v57
	;;#ASMSTART
	v_cvt_f32_f16 v65, v65;
	;;#ASMEND
	;;#ASMSTART
	v_cvt_f32_f16 v35, v66;
	;;#ASMEND
	;; [unrolled: 3-line block ×7, first 2 shown]
	v_and_b32_e32 v40, 0xffff, v58
	v_lshrrev_b32_e32 v41, 16, v58
	;;#ASMSTART
	v_cvt_f32_f16 v58, v37;
	;;#ASMEND
	;;#ASMSTART
	v_cvt_f32_f16 v68, v40;
	;;#ASMEND
	;; [unrolled: 3-line block ×5, first 2 shown]
	ds_read_b128 v[38:41], v2 offset:32
	v_or_b32_e32 v37, v50, v48
	v_or_b32_e32 v42, v45, v42
	;; [unrolled: 1-line block ×4, first 2 shown]
	v_mul_f32_e32 v31, v55, v31
	v_mul_f32_e32 v33, v33, v56
	v_or_b32_e32 v9, v10, v9
	v_fma_mixlo_f16 v55, v23, v37, 0 op_sel_hi:[0,1,0]
	v_or_b32_e32 v37, v51, v49
	v_or_b32_e32 v49, v53, v52
	v_fma_mixlo_f16 v45, v23, v45, 0 op_sel:[0,1,0] op_sel_hi:[0,1,0]
	v_fma_mixlo_f16 v42, v23, v42, 0 op_sel_hi:[0,1,0]
	v_fma_mixlo_f16 v43, v23, v43, 0 op_sel:[0,1,0] op_sel_hi:[0,1,0]
	v_fma_mixlo_f16 v44, v23, v44, 0 op_sel_hi:[0,1,0]
	v_fma_mixlo_f16 v47, v23, v47, 0 op_sel_hi:[0,1,0]
	v_fma_mixlo_f16 v46, v23, v46, 0 op_sel:[0,1,0] op_sel_hi:[0,1,0]
	v_fma_mixlo_f16 v50, v23, v50, 0 op_sel:[0,1,0] op_sel_hi:[0,1,0]
	;; [unrolled: 1-line block ×3, first 2 shown]
	v_fma_mixlo_f16 v56, v23, v9, 0 op_sel_hi:[0,1,0]
	v_fma_mixlo_f16 v10, v23, v51, 0 op_sel:[0,1,0] op_sel_hi:[0,1,0]
	v_fma_mixlo_f16 v37, v23, v37, 0 op_sel_hi:[0,1,0]
	v_fma_mixlo_f16 v9, v23, v49, 0 op_sel_hi:[0,1,0]
	s_waitcnt lgkmcnt(0)
	v_and_b32_e32 v49, 0xffff, v38
	v_fma_mixlo_f16 v23, v23, v53, 0 op_sel:[0,1,0] op_sel_hi:[0,1,0]
	v_fmac_f32_e32 v31, v59, v61
	v_fmac_f32_e32 v33, v60, v62
	v_lshrrev_b32_e32 v38, 16, v38
	v_and_b32_e32 v53, 0xffff, v64
	v_and_b32_e32 v59, 0xffff, v63
	;; [unrolled: 1-line block ×3, first 2 shown]
	v_lshrrev_b32_e32 v39, 16, v39
	;;#ASMSTART
	v_cvt_f32_f16 v49, v49;
	;;#ASMEND
	;;#ASMSTART
	v_cvt_f32_f16 v51, v38;
	;;#ASMEND
	;; [unrolled: 3-line block ×6, first 2 shown]
	v_and_b32_e32 v38, 0xffff, v42
	v_and_b32_e32 v39, 0xffff, v45
	;; [unrolled: 1-line block ×3, first 2 shown]
	v_lshrrev_b32_e32 v40, 16, v40
	v_mul_f32_e32 v34, v65, v34
	v_and_b32_e32 v63, 0xffff, v44
	;;#ASMSTART
	v_cvt_f32_f16 v42, v38;
	;;#ASMEND
	;;#ASMSTART
	v_cvt_f32_f16 v44, v39;
	;;#ASMEND
	;; [unrolled: 3-line block ×4, first 2 shown]
	v_and_b32_e32 v38, 0xffff, v43
	v_and_b32_e32 v39, 0xffff, v41
	v_lshrrev_b32_e32 v40, 16, v41
	v_and_b32_e32 v41, 0xffff, v47
	v_and_b32_e32 v65, 0xffff, v46
	;;#ASMSTART
	v_cvt_f32_f16 v63, v63;
	;;#ASMEND
	;;#ASMSTART
	v_cvt_f32_f16 v43, v38;
	;;#ASMEND
	;; [unrolled: 3-line block ×6, first 2 shown]
	ds_read_b128 v[38:41], v2 offset:48
	v_add_nc_u32_e32 v48, s30, v16
	v_fmac_f32_e32 v34, v32, v54
	v_mul_f32_e32 v35, v35, v57
	v_mul_f32_e32 v36, v36, v58
	v_fmac_f32_e32 v31, v49, v53
	v_cvt_f32_i32_e32 v32, v48
	v_mul_f32_e32 v48, v66, v67
	v_fmac_f32_e32 v33, v51, v59
	v_fmac_f32_e32 v35, v1, v25
	;; [unrolled: 1-line block ×3, first 2 shown]
	v_and_b32_e32 v8, 0xffff, v56
	v_fmac_f32_e32 v48, v7, v24
	v_and_b32_e32 v24, 0xffff, v52
	v_fmac_f32_e32 v34, v60, v42
	v_fmac_f32_e32 v35, v61, v44
	v_and_b32_e32 v25, 0xffff, v55
	v_mul_f32_e32 v54, v68, v70
	v_fmac_f32_e32 v48, v45, v63
	v_and_b32_e32 v26, 0xffff, v50
	s_waitcnt lgkmcnt(0)
	v_and_b32_e32 v1, 0xffff, v38
	v_lshrrev_b32_e32 v7, 16, v38
	;;#ASMSTART
	v_cvt_f32_f16 v1, v1;
	;;#ASMEND
	;;#ASMSTART
	v_cvt_f32_f16 v7, v7;
	;;#ASMEND
	;; [unrolled: 3-line block ×4, first 2 shown]
	v_fmac_f32_e32 v31, v1, v8
	v_fmac_f32_e32 v33, v7, v24
	v_and_b32_e32 v1, 0xffff, v39
	v_lshrrev_b32_e32 v8, 16, v39
	;;#ASMSTART
	v_cvt_f32_f16 v1, v1;
	;;#ASMEND
	;;#ASMSTART
	v_cvt_f32_f16 v7, v8;
	;;#ASMEND
	;;#ASMSTART
	v_cvt_f32_f16 v8, v25;
	;;#ASMEND
	v_fmac_f32_e32 v34, v1, v8
	v_add_f32_e32 v1, v31, v33
	;;#ASMSTART
	v_cvt_f32_f16 v24, v26;
	;;#ASMEND
	v_fmac_f32_e32 v35, v7, v24
	v_and_b32_e32 v7, 0xffff, v40
	v_lshrrev_b32_e32 v8, 16, v40
	v_add_f32_e32 v1, v1, v34
	v_mul_f32_e32 v57, v69, v71
	v_fmac_f32_e32 v54, v27, v29
	v_fmac_f32_e32 v36, v62, v43
	v_and_b32_e32 v24, 0xffff, v37
	v_and_b32_e32 v25, 0xffff, v10
	;;#ASMSTART
	v_cvt_f32_f16 v7, v7;
	;;#ASMEND
	;;#ASMSTART
	v_cvt_f32_f16 v8, v8;
	;;#ASMEND
	;; [unrolled: 3-line block ×3, first 2 shown]
	v_fmac_f32_e32 v48, v7, v10
	v_add_f32_e32 v1, v35, v1
	v_fmac_f32_e32 v57, v28, v30
	v_fmac_f32_e32 v54, v46, v64
	;;#ASMSTART
	v_cvt_f32_f16 v24, v25;
	;;#ASMEND
	v_fmac_f32_e32 v36, v8, v24
	v_add_f32_e32 v1, v1, v48
	v_and_b32_e32 v7, 0xffff, v41
	v_and_b32_e32 v9, 0xffff, v9
	v_fmac_f32_e32 v57, v47, v65
	v_lshrrev_b32_e32 v10, 16, v41
	;;#ASMSTART
	v_cvt_f32_f16 v7, v7;
	;;#ASMEND
	;;#ASMSTART
	v_cvt_f32_f16 v8, v10;
	;;#ASMEND
	;;#ASMSTART
	v_cvt_f32_f16 v9, v9;
	;;#ASMEND
	v_fmac_f32_e32 v54, v7, v9
	v_add_f32_e32 v1, v36, v1
	v_and_b32_e32 v10, 0xffff, v23
	v_mul_f32_e32 v7, s28, v32
	;;#ASMSTART
	v_cvt_f32_f16 v9, v10;
	;;#ASMEND
	v_fmac_f32_e32 v57, v8, v9
	v_add_f32_e32 v1, v1, v54
	v_cmp_gt_i32_e64 s1, s11, v16
	v_cndmask_b32_e32 v7, 0, v7, vcc_lo
	v_add_nc_u32_e32 v22, 4, v22
	v_add_co_u32 v5, s2, v5, 16
	v_add_f32_e32 v1, v57, v1
	v_add_nc_u32_e32 v16, 0x80, v16
	v_add_co_ci_u32_e64 v6, null, 0, v6, s2
	v_fmac_f32_e32 v7, s3, v1
	v_max_f32_e32 v1, v15, v15
	v_cndmask_b32_e64 v8, 0, v7, s1
	v_max_f32_e32 v1, v1, v7
	ds_write_b32 v19, v8
	v_cndmask_b32_e64 v15, v15, v1, s1
	v_cmp_le_i32_e64 s1, s16, v22
	v_add_nc_u32_e32 v19, 0x200, v19
	s_or_b32 s31, s1, s31
	s_andn2_b32 exec_lo, exec_lo, s31
	s_cbranch_execz .LBB289_263
.LBB289_10:                             ; =>This Inner Loop Header: Depth=1
	global_load_dword v1, v[5:6], off
	v_mov_b32_e32 v24, 0
	s_waitcnt vmcnt(0)
	v_mad_i64_i32 v[7:8], null, v1, s29, v[3:4]
	global_load_dwordx2 v[9:10], v[7:8], off
	global_load_dword v23, v2, s[12:13]
	s_waitcnt vmcnt(1)
	v_cmp_ne_u16_sdwa s1, v9, v2 src0_sel:BYTE_0 src1_sel:DWORD
	s_and_saveexec_b32 s2, s1
	s_cbranch_execz .LBB289_18
; %bb.11:                               ;   in Loop: Header=BB289_10 Depth=1
	v_cmp_ne_u16_sdwa s1, v9, v17 src0_sel:BYTE_0 src1_sel:DWORD
	v_mov_b32_e32 v24, 0x8000
	s_and_saveexec_b32 s33, s1
	s_cbranch_execz .LBB289_17
; %bb.12:                               ;   in Loop: Header=BB289_10 Depth=1
	v_and_b32_e32 v25, 0x7f, v9
	v_mov_b32_e32 v24, 0x7c01
	s_mov_b32 s34, exec_lo
	v_cmpx_ne_u32_e32 0x7f, v25
	s_cbranch_execz .LBB289_16
; %bb.13:                               ;   in Loop: Header=BB289_10 Depth=1
	v_and_b32_e32 v1, 7, v9
	v_lshrrev_b32_e32 v24, 3, v25
	s_mov_b32 s35, exec_lo
	v_cmpx_gt_u32_e32 8, v25
; %bb.14:                               ;   in Loop: Header=BB289_10 Depth=1
	v_ffbh_u32_e32 v1, v1
	v_min_u32_e32 v1, 32, v1
	v_subrev_nc_u32_e32 v24, 28, v1
	v_lshlrev_b64 v[25:26], v24, v[9:10]
	v_sub_nc_u32_e32 v24, 29, v1
	v_and_b32_e32 v1, 7, v25
; %bb.15:                               ;   in Loop: Header=BB289_10 Depth=1
	s_or_b32 exec_lo, exec_lo, s35
	v_lshlrev_b32_e32 v25, 8, v9
	v_lshl_add_u32 v24, v24, 10, 0x2000
	v_lshlrev_b32_e32 v1, 7, v1
	v_and_b32_e32 v25, 0x8000, v25
	v_and_b32_e32 v24, 0xfc00, v24
	v_or3_b32 v24, v25, v24, v1
.LBB289_16:                             ;   in Loop: Header=BB289_10 Depth=1
	s_or_b32 exec_lo, exec_lo, s34
.LBB289_17:                             ;   in Loop: Header=BB289_10 Depth=1
	s_or_b32 exec_lo, exec_lo, s33
.LBB289_18:                             ;   in Loop: Header=BB289_10 Depth=1
	s_or_b32 exec_lo, exec_lo, s2
	v_lshrrev_b16 v1, 8, v9
	v_mov_b32_e32 v26, 0
	v_mov_b32_e32 v25, 0
	s_mov_b32 s2, exec_lo
	v_cmpx_ne_u16_e32 0, v1
	s_cbranch_execz .LBB289_26
; %bb.19:                               ;   in Loop: Header=BB289_10 Depth=1
	v_bfrev_b32_e32 v25, 1
	s_mov_b32 s33, exec_lo
	v_cmpx_ne_u16_e32 0x80, v1
	s_cbranch_execz .LBB289_25
; %bb.20:                               ;   in Loop: Header=BB289_10 Depth=1
	v_and_b32_sdwa v28, v1, v18 dst_sel:DWORD dst_unused:UNUSED_PAD src0_sel:WORD_0 src1_sel:DWORD
	v_mov_b32_e32 v25, 0x7c010000
	s_mov_b32 s34, exec_lo
	v_cmpx_ne_u32_e32 0x7f, v28
	s_cbranch_execz .LBB289_24
; %bb.21:                               ;   in Loop: Header=BB289_10 Depth=1
	v_and_b32_sdwa v25, v1, v20 dst_sel:DWORD dst_unused:UNUSED_PAD src0_sel:WORD_0 src1_sel:DWORD
	v_lshrrev_b32_e32 v27, 3, v28
	s_mov_b32 s35, exec_lo
	v_cmpx_gt_u32_e32 8, v28
; %bb.22:                               ;   in Loop: Header=BB289_10 Depth=1
	v_ffbh_u32_e32 v25, v25
	v_min_u32_e32 v25, 32, v25
	v_subrev_nc_u32_e32 v27, 28, v25
	v_lshlrev_b64 v[28:29], v27, v[1:2]
	v_sub_nc_u32_e32 v27, 29, v25
	v_and_b32_e32 v25, 7, v28
; %bb.23:                               ;   in Loop: Header=BB289_10 Depth=1
	s_or_b32 exec_lo, exec_lo, s35
	v_lshlrev_b32_sdwa v1, v21, v1 dst_sel:DWORD dst_unused:UNUSED_PAD src0_sel:DWORD src1_sel:WORD_0
	v_lshl_add_u32 v27, v27, 10, 0x2000
	v_lshlrev_b32_e32 v25, 23, v25
	v_and_or_b32 v1, 0x8000, v1, v27
	v_lshl_or_b32 v25, v1, 16, v25
.LBB289_24:                             ;   in Loop: Header=BB289_10 Depth=1
	s_or_b32 exec_lo, exec_lo, s34
.LBB289_25:                             ;   in Loop: Header=BB289_10 Depth=1
	s_or_b32 exec_lo, exec_lo, s33
.LBB289_26:                             ;   in Loop: Header=BB289_10 Depth=1
	s_or_b32 exec_lo, exec_lo, s2
	v_lshrrev_b32_e32 v1, 16, v9
	v_cmp_ne_u16_sdwa s1, v1, v2 src0_sel:BYTE_0 src1_sel:DWORD
	s_and_saveexec_b32 s2, s1
	s_cbranch_execz .LBB289_34
; %bb.27:                               ;   in Loop: Header=BB289_10 Depth=1
	v_cmp_ne_u16_sdwa s1, v1, v17 src0_sel:BYTE_0 src1_sel:DWORD
	v_mov_b32_e32 v26, 0x8000
	s_and_saveexec_b32 s33, s1
	s_cbranch_execz .LBB289_33
; %bb.28:                               ;   in Loop: Header=BB289_10 Depth=1
	v_bfe_u32 v28, v9, 16, 7
	v_mov_b32_e32 v26, 0x7c01
	s_mov_b32 s34, exec_lo
	v_cmpx_ne_u32_e32 0x7f, v28
	s_cbranch_execz .LBB289_32
; %bb.29:                               ;   in Loop: Header=BB289_10 Depth=1
	v_and_b32_e32 v26, 7, v1
	v_lshrrev_b32_e32 v27, 3, v28
	s_mov_b32 s35, exec_lo
	v_cmpx_gt_u32_e32 8, v28
; %bb.30:                               ;   in Loop: Header=BB289_10 Depth=1
	v_ffbh_u32_e32 v26, v26
	v_min_u32_e32 v28, 32, v26
	v_subrev_nc_u32_e32 v26, 28, v28
	v_lshlrev_b64 v[26:27], v26, v[1:2]
	v_sub_nc_u32_e32 v27, 29, v28
	v_and_b32_e32 v26, 7, v26
; %bb.31:                               ;   in Loop: Header=BB289_10 Depth=1
	s_or_b32 exec_lo, exec_lo, s35
	v_lshlrev_b32_e32 v1, 8, v1
	v_lshl_add_u32 v27, v27, 10, 0x2000
	v_lshlrev_b32_e32 v26, 7, v26
	v_and_b32_e32 v1, 0x8000, v1
	v_and_b32_e32 v27, 0xfc00, v27
	v_or3_b32 v26, v1, v27, v26
.LBB289_32:                             ;   in Loop: Header=BB289_10 Depth=1
	s_or_b32 exec_lo, exec_lo, s34
.LBB289_33:                             ;   in Loop: Header=BB289_10 Depth=1
	s_or_b32 exec_lo, exec_lo, s33
.LBB289_34:                             ;   in Loop: Header=BB289_10 Depth=1
	s_or_b32 exec_lo, exec_lo, s2
	v_mov_b32_e32 v27, 0
	v_mov_b32_e32 v28, 0
	s_mov_b32 s2, exec_lo
	v_cmpx_lt_u32_e32 0xffffff, v9
	s_cbranch_execz .LBB289_42
; %bb.35:                               ;   in Loop: Header=BB289_10 Depth=1
	v_lshrrev_b32_e32 v1, 24, v9
	v_bfrev_b32_e32 v28, 1
	s_mov_b32 s33, exec_lo
	v_cmpx_ne_u32_e32 0x80, v1
	s_cbranch_execz .LBB289_41
; %bb.36:                               ;   in Loop: Header=BB289_10 Depth=1
	v_and_b32_e32 v30, 0x7f, v1
	v_mov_b32_e32 v28, 0x7c010000
	s_mov_b32 s34, exec_lo
	v_cmpx_ne_u32_e32 0x7f, v30
	s_cbranch_execz .LBB289_40
; %bb.37:                               ;   in Loop: Header=BB289_10 Depth=1
	v_and_b32_e32 v28, 7, v1
	v_lshrrev_b32_e32 v29, 3, v30
	s_mov_b32 s35, exec_lo
	v_cmpx_gt_u32_e32 8, v30
; %bb.38:                               ;   in Loop: Header=BB289_10 Depth=1
	v_ffbh_u32_e32 v28, v28
	v_min_u32_e32 v30, 32, v28
	v_subrev_nc_u32_e32 v28, 28, v30
	v_lshlrev_b64 v[28:29], v28, v[1:2]
	v_sub_nc_u32_e32 v29, 29, v30
	v_and_b32_e32 v28, 7, v28
; %bb.39:                               ;   in Loop: Header=BB289_10 Depth=1
	s_or_b32 exec_lo, exec_lo, s35
	v_lshlrev_b32_e32 v1, 8, v1
	v_lshl_add_u32 v29, v29, 10, 0x2000
	v_lshlrev_b32_e32 v28, 23, v28
	v_and_or_b32 v1, 0x8000, v1, v29
	v_lshl_or_b32 v28, v1, 16, v28
.LBB289_40:                             ;   in Loop: Header=BB289_10 Depth=1
	s_or_b32 exec_lo, exec_lo, s34
.LBB289_41:                             ;   in Loop: Header=BB289_10 Depth=1
	s_or_b32 exec_lo, exec_lo, s33
.LBB289_42:                             ;   in Loop: Header=BB289_10 Depth=1
	s_or_b32 exec_lo, exec_lo, s2
	v_mov_b32_e32 v1, v10
	v_cmp_ne_u16_sdwa s1, v10, v2 src0_sel:BYTE_0 src1_sel:DWORD
	s_and_saveexec_b32 s2, s1
	s_cbranch_execz .LBB289_50
; %bb.43:                               ;   in Loop: Header=BB289_10 Depth=1
	v_cmp_ne_u16_sdwa s1, v10, v17 src0_sel:BYTE_0 src1_sel:DWORD
	v_mov_b32_e32 v27, 0x8000
	s_and_saveexec_b32 s33, s1
	s_cbranch_execz .LBB289_49
; %bb.44:                               ;   in Loop: Header=BB289_10 Depth=1
	v_and_b32_e32 v30, 0x7f, v10
	v_mov_b32_e32 v27, 0x7c01
	s_mov_b32 s34, exec_lo
	v_cmpx_ne_u32_e32 0x7f, v30
	s_cbranch_execz .LBB289_48
; %bb.45:                               ;   in Loop: Header=BB289_10 Depth=1
	v_and_b32_e32 v27, 7, v10
	v_lshrrev_b32_e32 v29, 3, v30
	s_mov_b32 s35, exec_lo
	v_cmpx_gt_u32_e32 8, v30
; %bb.46:                               ;   in Loop: Header=BB289_10 Depth=1
	v_ffbh_u32_e32 v27, v27
	v_min_u32_e32 v27, 32, v27
	v_subrev_nc_u32_e32 v29, 28, v27
	v_lshlrev_b64 v[30:31], v29, v[1:2]
	v_sub_nc_u32_e32 v29, 29, v27
	v_and_b32_e32 v27, 7, v30
; %bb.47:                               ;   in Loop: Header=BB289_10 Depth=1
	s_or_b32 exec_lo, exec_lo, s35
	v_lshlrev_b32_e32 v30, 8, v10
	v_lshl_add_u32 v29, v29, 10, 0x2000
	v_lshlrev_b32_e32 v27, 7, v27
	v_and_b32_e32 v30, 0x8000, v30
	v_and_b32_e32 v29, 0xfc00, v29
	v_or3_b32 v27, v30, v29, v27
.LBB289_48:                             ;   in Loop: Header=BB289_10 Depth=1
	s_or_b32 exec_lo, exec_lo, s34
.LBB289_49:                             ;   in Loop: Header=BB289_10 Depth=1
	s_or_b32 exec_lo, exec_lo, s33
.LBB289_50:                             ;   in Loop: Header=BB289_10 Depth=1
	s_or_b32 exec_lo, exec_lo, s2
	v_lshrrev_b16 v1, 8, v1
	v_mov_b32_e32 v29, 0
	v_mov_b32_e32 v30, 0
	s_mov_b32 s2, exec_lo
	v_cmpx_ne_u16_e32 0, v1
	s_cbranch_execz .LBB289_58
; %bb.51:                               ;   in Loop: Header=BB289_10 Depth=1
	v_bfrev_b32_e32 v30, 1
	s_mov_b32 s33, exec_lo
	v_cmpx_ne_u16_e32 0x80, v1
	s_cbranch_execz .LBB289_57
; %bb.52:                               ;   in Loop: Header=BB289_10 Depth=1
	v_and_b32_sdwa v32, v1, v18 dst_sel:DWORD dst_unused:UNUSED_PAD src0_sel:WORD_0 src1_sel:DWORD
	v_mov_b32_e32 v30, 0x7c010000
	s_mov_b32 s34, exec_lo
	v_cmpx_ne_u32_e32 0x7f, v32
	s_cbranch_execz .LBB289_56
; %bb.53:                               ;   in Loop: Header=BB289_10 Depth=1
	v_and_b32_sdwa v30, v1, v20 dst_sel:DWORD dst_unused:UNUSED_PAD src0_sel:WORD_0 src1_sel:DWORD
	v_lshrrev_b32_e32 v31, 3, v32
	s_mov_b32 s35, exec_lo
	v_cmpx_gt_u32_e32 8, v32
; %bb.54:                               ;   in Loop: Header=BB289_10 Depth=1
	v_ffbh_u32_e32 v30, v30
	v_min_u32_e32 v32, 32, v30
	v_subrev_nc_u32_e32 v30, 28, v32
	v_lshlrev_b64 v[30:31], v30, v[1:2]
	v_sub_nc_u32_e32 v31, 29, v32
	v_and_b32_e32 v30, 7, v30
; %bb.55:                               ;   in Loop: Header=BB289_10 Depth=1
	s_or_b32 exec_lo, exec_lo, s35
	v_lshlrev_b32_sdwa v1, v21, v1 dst_sel:DWORD dst_unused:UNUSED_PAD src0_sel:DWORD src1_sel:WORD_0
	v_lshl_add_u32 v31, v31, 10, 0x2000
	v_lshlrev_b32_e32 v30, 23, v30
	v_and_or_b32 v1, 0x8000, v1, v31
	v_lshl_or_b32 v30, v1, 16, v30
.LBB289_56:                             ;   in Loop: Header=BB289_10 Depth=1
	s_or_b32 exec_lo, exec_lo, s34
.LBB289_57:                             ;   in Loop: Header=BB289_10 Depth=1
	s_or_b32 exec_lo, exec_lo, s33
.LBB289_58:                             ;   in Loop: Header=BB289_10 Depth=1
	s_or_b32 exec_lo, exec_lo, s2
	v_lshrrev_b32_e32 v1, 16, v10
	v_cmp_ne_u16_sdwa s1, v1, v2 src0_sel:BYTE_0 src1_sel:DWORD
	s_and_saveexec_b32 s2, s1
	s_cbranch_execz .LBB289_66
; %bb.59:                               ;   in Loop: Header=BB289_10 Depth=1
	v_cmp_ne_u16_sdwa s1, v1, v17 src0_sel:BYTE_0 src1_sel:DWORD
	v_mov_b32_e32 v29, 0x8000
	s_and_saveexec_b32 s33, s1
	s_cbranch_execz .LBB289_65
; %bb.60:                               ;   in Loop: Header=BB289_10 Depth=1
	v_bfe_u32 v32, v10, 16, 7
	v_mov_b32_e32 v29, 0x7c01
	s_mov_b32 s34, exec_lo
	v_cmpx_ne_u32_e32 0x7f, v32
	s_cbranch_execz .LBB289_64
; %bb.61:                               ;   in Loop: Header=BB289_10 Depth=1
	v_and_b32_e32 v29, 7, v1
	v_lshrrev_b32_e32 v31, 3, v32
	s_mov_b32 s35, exec_lo
	v_cmpx_gt_u32_e32 8, v32
; %bb.62:                               ;   in Loop: Header=BB289_10 Depth=1
	v_ffbh_u32_e32 v29, v29
	v_min_u32_e32 v29, 32, v29
	v_subrev_nc_u32_e32 v31, 28, v29
	v_lshlrev_b64 v[32:33], v31, v[1:2]
	v_sub_nc_u32_e32 v31, 29, v29
	v_and_b32_e32 v29, 7, v32
; %bb.63:                               ;   in Loop: Header=BB289_10 Depth=1
	s_or_b32 exec_lo, exec_lo, s35
	v_lshlrev_b32_e32 v1, 8, v1
	v_lshl_add_u32 v31, v31, 10, 0x2000
	v_lshlrev_b32_e32 v29, 7, v29
	v_and_b32_e32 v1, 0x8000, v1
	v_and_b32_e32 v31, 0xfc00, v31
	v_or3_b32 v29, v1, v31, v29
.LBB289_64:                             ;   in Loop: Header=BB289_10 Depth=1
	s_or_b32 exec_lo, exec_lo, s34
.LBB289_65:                             ;   in Loop: Header=BB289_10 Depth=1
	s_or_b32 exec_lo, exec_lo, s33
.LBB289_66:                             ;   in Loop: Header=BB289_10 Depth=1
	s_or_b32 exec_lo, exec_lo, s2
	v_mov_b32_e32 v31, 0
	v_mov_b32_e32 v32, 0
	s_mov_b32 s2, exec_lo
	v_cmpx_lt_u64_e64 s[4:5], v[9:10]
	s_cbranch_execz .LBB289_74
; %bb.67:                               ;   in Loop: Header=BB289_10 Depth=1
	v_lshrrev_b32_e32 v1, 24, v10
	v_bfrev_b32_e32 v32, 1
	s_mov_b32 s33, exec_lo
	v_cmpx_ne_u32_e32 0x80, v1
	s_cbranch_execz .LBB289_73
; %bb.68:                               ;   in Loop: Header=BB289_10 Depth=1
	v_and_b32_e32 v33, 0x7f, v1
	v_mov_b32_e32 v32, 0x7c010000
	s_mov_b32 s34, exec_lo
	v_cmpx_ne_u32_e32 0x7f, v33
	s_cbranch_execz .LBB289_72
; %bb.69:                               ;   in Loop: Header=BB289_10 Depth=1
	v_and_b32_e32 v9, 7, v1
	v_lshrrev_b32_e32 v10, 3, v33
	s_mov_b32 s35, exec_lo
	v_cmpx_gt_u32_e32 8, v33
; %bb.70:                               ;   in Loop: Header=BB289_10 Depth=1
	v_ffbh_u32_e32 v9, v9
	v_min_u32_e32 v32, 32, v9
	v_subrev_nc_u32_e32 v9, 28, v32
	v_lshlrev_b64 v[9:10], v9, v[1:2]
	v_sub_nc_u32_e32 v10, 29, v32
	v_and_b32_e32 v9, 7, v9
; %bb.71:                               ;   in Loop: Header=BB289_10 Depth=1
	s_or_b32 exec_lo, exec_lo, s35
	v_lshlrev_b32_e32 v1, 8, v1
	v_lshl_add_u32 v10, v10, 10, 0x2000
	v_lshlrev_b32_e32 v9, 23, v9
	v_and_or_b32 v1, 0x8000, v1, v10
	v_lshl_or_b32 v32, v1, 16, v9
.LBB289_72:                             ;   in Loop: Header=BB289_10 Depth=1
	s_or_b32 exec_lo, exec_lo, s34
.LBB289_73:                             ;   in Loop: Header=BB289_10 Depth=1
	s_or_b32 exec_lo, exec_lo, s33
.LBB289_74:                             ;   in Loop: Header=BB289_10 Depth=1
	s_or_b32 exec_lo, exec_lo, s2
	global_load_dwordx2 v[9:10], v[7:8], off offset:8
	s_waitcnt vmcnt(0)
	v_cmp_ne_u16_sdwa s1, v9, v2 src0_sel:BYTE_0 src1_sel:DWORD
	s_and_saveexec_b32 s2, s1
	s_cbranch_execz .LBB289_82
; %bb.75:                               ;   in Loop: Header=BB289_10 Depth=1
	v_cmp_ne_u16_sdwa s1, v9, v17 src0_sel:BYTE_0 src1_sel:DWORD
	v_mov_b32_e32 v31, 0x8000
	s_and_saveexec_b32 s33, s1
	s_cbranch_execz .LBB289_81
; %bb.76:                               ;   in Loop: Header=BB289_10 Depth=1
	v_and_b32_e32 v33, 0x7f, v9
	v_mov_b32_e32 v31, 0x7c01
	s_mov_b32 s34, exec_lo
	v_cmpx_ne_u32_e32 0x7f, v33
	s_cbranch_execz .LBB289_80
; %bb.77:                               ;   in Loop: Header=BB289_10 Depth=1
	v_and_b32_e32 v1, 7, v9
	v_lshrrev_b32_e32 v31, 3, v33
	s_mov_b32 s35, exec_lo
	v_cmpx_gt_u32_e32 8, v33
; %bb.78:                               ;   in Loop: Header=BB289_10 Depth=1
	v_ffbh_u32_e32 v1, v1
	v_min_u32_e32 v1, 32, v1
	v_subrev_nc_u32_e32 v31, 28, v1
	v_lshlrev_b64 v[33:34], v31, v[9:10]
	v_sub_nc_u32_e32 v31, 29, v1
	v_and_b32_e32 v1, 7, v33
; %bb.79:                               ;   in Loop: Header=BB289_10 Depth=1
	s_or_b32 exec_lo, exec_lo, s35
	v_lshlrev_b32_e32 v33, 8, v9
	v_lshl_add_u32 v31, v31, 10, 0x2000
	v_lshlrev_b32_e32 v1, 7, v1
	v_and_b32_e32 v33, 0x8000, v33
	v_and_b32_e32 v31, 0xfc00, v31
	v_or3_b32 v31, v33, v31, v1
.LBB289_80:                             ;   in Loop: Header=BB289_10 Depth=1
	s_or_b32 exec_lo, exec_lo, s34
.LBB289_81:                             ;   in Loop: Header=BB289_10 Depth=1
	s_or_b32 exec_lo, exec_lo, s33
.LBB289_82:                             ;   in Loop: Header=BB289_10 Depth=1
	s_or_b32 exec_lo, exec_lo, s2
	v_lshrrev_b16 v1, 8, v9
	v_mov_b32_e32 v34, 0
	v_mov_b32_e32 v33, 0
	s_mov_b32 s2, exec_lo
	v_cmpx_ne_u16_e32 0, v1
	s_cbranch_execz .LBB289_90
; %bb.83:                               ;   in Loop: Header=BB289_10 Depth=1
	v_bfrev_b32_e32 v33, 1
	s_mov_b32 s33, exec_lo
	v_cmpx_ne_u16_e32 0x80, v1
	s_cbranch_execz .LBB289_89
; %bb.84:                               ;   in Loop: Header=BB289_10 Depth=1
	v_and_b32_sdwa v36, v1, v18 dst_sel:DWORD dst_unused:UNUSED_PAD src0_sel:WORD_0 src1_sel:DWORD
	v_mov_b32_e32 v33, 0x7c010000
	s_mov_b32 s34, exec_lo
	v_cmpx_ne_u32_e32 0x7f, v36
	s_cbranch_execz .LBB289_88
; %bb.85:                               ;   in Loop: Header=BB289_10 Depth=1
	v_and_b32_sdwa v33, v1, v20 dst_sel:DWORD dst_unused:UNUSED_PAD src0_sel:WORD_0 src1_sel:DWORD
	v_lshrrev_b32_e32 v35, 3, v36
	s_mov_b32 s35, exec_lo
	v_cmpx_gt_u32_e32 8, v36
; %bb.86:                               ;   in Loop: Header=BB289_10 Depth=1
	v_ffbh_u32_e32 v33, v33
	v_min_u32_e32 v33, 32, v33
	v_subrev_nc_u32_e32 v35, 28, v33
	v_lshlrev_b64 v[36:37], v35, v[1:2]
	v_sub_nc_u32_e32 v35, 29, v33
	v_and_b32_e32 v33, 7, v36
; %bb.87:                               ;   in Loop: Header=BB289_10 Depth=1
	s_or_b32 exec_lo, exec_lo, s35
	v_lshlrev_b32_sdwa v1, v21, v1 dst_sel:DWORD dst_unused:UNUSED_PAD src0_sel:DWORD src1_sel:WORD_0
	v_lshl_add_u32 v35, v35, 10, 0x2000
	v_lshlrev_b32_e32 v33, 23, v33
	v_and_or_b32 v1, 0x8000, v1, v35
	v_lshl_or_b32 v33, v1, 16, v33
.LBB289_88:                             ;   in Loop: Header=BB289_10 Depth=1
	s_or_b32 exec_lo, exec_lo, s34
.LBB289_89:                             ;   in Loop: Header=BB289_10 Depth=1
	s_or_b32 exec_lo, exec_lo, s33
.LBB289_90:                             ;   in Loop: Header=BB289_10 Depth=1
	s_or_b32 exec_lo, exec_lo, s2
	v_lshrrev_b32_e32 v1, 16, v9
	v_cmp_ne_u16_sdwa s1, v1, v2 src0_sel:BYTE_0 src1_sel:DWORD
	s_and_saveexec_b32 s2, s1
	s_cbranch_execz .LBB289_98
; %bb.91:                               ;   in Loop: Header=BB289_10 Depth=1
	v_cmp_ne_u16_sdwa s1, v1, v17 src0_sel:BYTE_0 src1_sel:DWORD
	v_mov_b32_e32 v34, 0x8000
	s_and_saveexec_b32 s33, s1
	s_cbranch_execz .LBB289_97
; %bb.92:                               ;   in Loop: Header=BB289_10 Depth=1
	v_bfe_u32 v36, v9, 16, 7
	v_mov_b32_e32 v34, 0x7c01
	s_mov_b32 s34, exec_lo
	v_cmpx_ne_u32_e32 0x7f, v36
	s_cbranch_execz .LBB289_96
; %bb.93:                               ;   in Loop: Header=BB289_10 Depth=1
	v_and_b32_e32 v34, 7, v1
	v_lshrrev_b32_e32 v35, 3, v36
	s_mov_b32 s35, exec_lo
	v_cmpx_gt_u32_e32 8, v36
; %bb.94:                               ;   in Loop: Header=BB289_10 Depth=1
	v_ffbh_u32_e32 v34, v34
	v_min_u32_e32 v36, 32, v34
	v_subrev_nc_u32_e32 v34, 28, v36
	v_lshlrev_b64 v[34:35], v34, v[1:2]
	v_sub_nc_u32_e32 v35, 29, v36
	v_and_b32_e32 v34, 7, v34
; %bb.95:                               ;   in Loop: Header=BB289_10 Depth=1
	s_or_b32 exec_lo, exec_lo, s35
	v_lshlrev_b32_e32 v1, 8, v1
	v_lshl_add_u32 v35, v35, 10, 0x2000
	v_lshlrev_b32_e32 v34, 7, v34
	v_and_b32_e32 v1, 0x8000, v1
	v_and_b32_e32 v35, 0xfc00, v35
	v_or3_b32 v34, v1, v35, v34
.LBB289_96:                             ;   in Loop: Header=BB289_10 Depth=1
	s_or_b32 exec_lo, exec_lo, s34
.LBB289_97:                             ;   in Loop: Header=BB289_10 Depth=1
	s_or_b32 exec_lo, exec_lo, s33
.LBB289_98:                             ;   in Loop: Header=BB289_10 Depth=1
	s_or_b32 exec_lo, exec_lo, s2
	v_mov_b32_e32 v35, 0
	v_mov_b32_e32 v36, 0
	s_mov_b32 s2, exec_lo
	v_cmpx_lt_u32_e32 0xffffff, v9
	s_cbranch_execz .LBB289_106
; %bb.99:                               ;   in Loop: Header=BB289_10 Depth=1
	v_lshrrev_b32_e32 v1, 24, v9
	v_bfrev_b32_e32 v36, 1
	s_mov_b32 s33, exec_lo
	v_cmpx_ne_u32_e32 0x80, v1
	s_cbranch_execz .LBB289_105
; %bb.100:                              ;   in Loop: Header=BB289_10 Depth=1
	v_and_b32_e32 v38, 0x7f, v1
	v_mov_b32_e32 v36, 0x7c010000
	s_mov_b32 s34, exec_lo
	v_cmpx_ne_u32_e32 0x7f, v38
	s_cbranch_execz .LBB289_104
; %bb.101:                              ;   in Loop: Header=BB289_10 Depth=1
	v_and_b32_e32 v36, 7, v1
	v_lshrrev_b32_e32 v37, 3, v38
	s_mov_b32 s35, exec_lo
	v_cmpx_gt_u32_e32 8, v38
; %bb.102:                              ;   in Loop: Header=BB289_10 Depth=1
	v_ffbh_u32_e32 v36, v36
	v_min_u32_e32 v38, 32, v36
	v_subrev_nc_u32_e32 v36, 28, v38
	v_lshlrev_b64 v[36:37], v36, v[1:2]
	v_sub_nc_u32_e32 v37, 29, v38
	v_and_b32_e32 v36, 7, v36
; %bb.103:                              ;   in Loop: Header=BB289_10 Depth=1
	s_or_b32 exec_lo, exec_lo, s35
	v_lshlrev_b32_e32 v1, 8, v1
	v_lshl_add_u32 v37, v37, 10, 0x2000
	v_lshlrev_b32_e32 v36, 23, v36
	v_and_or_b32 v1, 0x8000, v1, v37
	v_lshl_or_b32 v36, v1, 16, v36
.LBB289_104:                            ;   in Loop: Header=BB289_10 Depth=1
	s_or_b32 exec_lo, exec_lo, s34
.LBB289_105:                            ;   in Loop: Header=BB289_10 Depth=1
	s_or_b32 exec_lo, exec_lo, s33
.LBB289_106:                            ;   in Loop: Header=BB289_10 Depth=1
	s_or_b32 exec_lo, exec_lo, s2
	v_mov_b32_e32 v1, v10
	v_cmp_ne_u16_sdwa s1, v10, v2 src0_sel:BYTE_0 src1_sel:DWORD
	s_and_saveexec_b32 s2, s1
	s_cbranch_execz .LBB289_114
; %bb.107:                              ;   in Loop: Header=BB289_10 Depth=1
	v_cmp_ne_u16_sdwa s1, v10, v17 src0_sel:BYTE_0 src1_sel:DWORD
	v_mov_b32_e32 v35, 0x8000
	s_and_saveexec_b32 s33, s1
	s_cbranch_execz .LBB289_113
; %bb.108:                              ;   in Loop: Header=BB289_10 Depth=1
	v_and_b32_e32 v38, 0x7f, v10
	v_mov_b32_e32 v35, 0x7c01
	s_mov_b32 s34, exec_lo
	v_cmpx_ne_u32_e32 0x7f, v38
	s_cbranch_execz .LBB289_112
; %bb.109:                              ;   in Loop: Header=BB289_10 Depth=1
	v_and_b32_e32 v35, 7, v10
	v_lshrrev_b32_e32 v37, 3, v38
	s_mov_b32 s35, exec_lo
	v_cmpx_gt_u32_e32 8, v38
; %bb.110:                              ;   in Loop: Header=BB289_10 Depth=1
	v_ffbh_u32_e32 v35, v35
	v_min_u32_e32 v35, 32, v35
	v_subrev_nc_u32_e32 v37, 28, v35
	v_lshlrev_b64 v[38:39], v37, v[1:2]
	v_sub_nc_u32_e32 v37, 29, v35
	v_and_b32_e32 v35, 7, v38
; %bb.111:                              ;   in Loop: Header=BB289_10 Depth=1
	s_or_b32 exec_lo, exec_lo, s35
	v_lshlrev_b32_e32 v38, 8, v10
	v_lshl_add_u32 v37, v37, 10, 0x2000
	v_lshlrev_b32_e32 v35, 7, v35
	v_and_b32_e32 v38, 0x8000, v38
	v_and_b32_e32 v37, 0xfc00, v37
	v_or3_b32 v35, v38, v37, v35
.LBB289_112:                            ;   in Loop: Header=BB289_10 Depth=1
	s_or_b32 exec_lo, exec_lo, s34
.LBB289_113:                            ;   in Loop: Header=BB289_10 Depth=1
	s_or_b32 exec_lo, exec_lo, s33
.LBB289_114:                            ;   in Loop: Header=BB289_10 Depth=1
	s_or_b32 exec_lo, exec_lo, s2
	v_lshrrev_b16 v1, 8, v1
	v_mov_b32_e32 v38, 0
	v_mov_b32_e32 v37, 0
	s_mov_b32 s2, exec_lo
	v_cmpx_ne_u16_e32 0, v1
	s_cbranch_execz .LBB289_122
; %bb.115:                              ;   in Loop: Header=BB289_10 Depth=1
	v_bfrev_b32_e32 v37, 1
	s_mov_b32 s33, exec_lo
	v_cmpx_ne_u16_e32 0x80, v1
	s_cbranch_execz .LBB289_121
; %bb.116:                              ;   in Loop: Header=BB289_10 Depth=1
	v_and_b32_sdwa v40, v1, v18 dst_sel:DWORD dst_unused:UNUSED_PAD src0_sel:WORD_0 src1_sel:DWORD
	v_mov_b32_e32 v37, 0x7c010000
	s_mov_b32 s34, exec_lo
	v_cmpx_ne_u32_e32 0x7f, v40
	s_cbranch_execz .LBB289_120
; %bb.117:                              ;   in Loop: Header=BB289_10 Depth=1
	v_and_b32_sdwa v37, v1, v20 dst_sel:DWORD dst_unused:UNUSED_PAD src0_sel:WORD_0 src1_sel:DWORD
	v_lshrrev_b32_e32 v39, 3, v40
	s_mov_b32 s35, exec_lo
	v_cmpx_gt_u32_e32 8, v40
; %bb.118:                              ;   in Loop: Header=BB289_10 Depth=1
	v_ffbh_u32_e32 v37, v37
	v_min_u32_e32 v37, 32, v37
	v_subrev_nc_u32_e32 v39, 28, v37
	v_lshlrev_b64 v[40:41], v39, v[1:2]
	v_sub_nc_u32_e32 v39, 29, v37
	v_and_b32_e32 v37, 7, v40
; %bb.119:                              ;   in Loop: Header=BB289_10 Depth=1
	s_or_b32 exec_lo, exec_lo, s35
	v_lshlrev_b32_sdwa v1, v21, v1 dst_sel:DWORD dst_unused:UNUSED_PAD src0_sel:DWORD src1_sel:WORD_0
	v_lshl_add_u32 v39, v39, 10, 0x2000
	v_lshlrev_b32_e32 v37, 23, v37
	v_and_or_b32 v1, 0x8000, v1, v39
	v_lshl_or_b32 v37, v1, 16, v37
.LBB289_120:                            ;   in Loop: Header=BB289_10 Depth=1
	s_or_b32 exec_lo, exec_lo, s34
.LBB289_121:                            ;   in Loop: Header=BB289_10 Depth=1
	s_or_b32 exec_lo, exec_lo, s33
.LBB289_122:                            ;   in Loop: Header=BB289_10 Depth=1
	s_or_b32 exec_lo, exec_lo, s2
	v_lshrrev_b32_e32 v1, 16, v10
	v_cmp_ne_u16_sdwa s1, v1, v2 src0_sel:BYTE_0 src1_sel:DWORD
	s_and_saveexec_b32 s2, s1
	s_cbranch_execz .LBB289_130
; %bb.123:                              ;   in Loop: Header=BB289_10 Depth=1
	v_cmp_ne_u16_sdwa s1, v1, v17 src0_sel:BYTE_0 src1_sel:DWORD
	v_mov_b32_e32 v38, 0x8000
	s_and_saveexec_b32 s33, s1
	s_cbranch_execz .LBB289_129
; %bb.124:                              ;   in Loop: Header=BB289_10 Depth=1
	v_bfe_u32 v40, v10, 16, 7
	v_mov_b32_e32 v38, 0x7c01
	s_mov_b32 s34, exec_lo
	v_cmpx_ne_u32_e32 0x7f, v40
	s_cbranch_execz .LBB289_128
; %bb.125:                              ;   in Loop: Header=BB289_10 Depth=1
	v_and_b32_e32 v38, 7, v1
	v_lshrrev_b32_e32 v39, 3, v40
	s_mov_b32 s35, exec_lo
	v_cmpx_gt_u32_e32 8, v40
; %bb.126:                              ;   in Loop: Header=BB289_10 Depth=1
	v_ffbh_u32_e32 v38, v38
	v_min_u32_e32 v40, 32, v38
	v_subrev_nc_u32_e32 v38, 28, v40
	v_lshlrev_b64 v[38:39], v38, v[1:2]
	v_sub_nc_u32_e32 v39, 29, v40
	v_and_b32_e32 v38, 7, v38
; %bb.127:                              ;   in Loop: Header=BB289_10 Depth=1
	s_or_b32 exec_lo, exec_lo, s35
	v_lshlrev_b32_e32 v1, 8, v1
	v_lshl_add_u32 v39, v39, 10, 0x2000
	v_lshlrev_b32_e32 v38, 7, v38
	v_and_b32_e32 v1, 0x8000, v1
	v_and_b32_e32 v39, 0xfc00, v39
	v_or3_b32 v38, v1, v39, v38
.LBB289_128:                            ;   in Loop: Header=BB289_10 Depth=1
	s_or_b32 exec_lo, exec_lo, s34
.LBB289_129:                            ;   in Loop: Header=BB289_10 Depth=1
	s_or_b32 exec_lo, exec_lo, s33
.LBB289_130:                            ;   in Loop: Header=BB289_10 Depth=1
	s_or_b32 exec_lo, exec_lo, s2
	v_mov_b32_e32 v40, 0
	v_mov_b32_e32 v39, 0
	s_mov_b32 s2, exec_lo
	v_cmpx_lt_u64_e64 s[4:5], v[9:10]
	s_cbranch_execz .LBB289_138
; %bb.131:                              ;   in Loop: Header=BB289_10 Depth=1
	v_lshrrev_b32_e32 v1, 24, v10
	v_bfrev_b32_e32 v39, 1
	s_mov_b32 s33, exec_lo
	v_cmpx_ne_u32_e32 0x80, v1
	s_cbranch_execz .LBB289_137
; %bb.132:                              ;   in Loop: Header=BB289_10 Depth=1
	v_and_b32_e32 v41, 0x7f, v1
	v_mov_b32_e32 v39, 0x7c010000
	s_mov_b32 s34, exec_lo
	v_cmpx_ne_u32_e32 0x7f, v41
	s_cbranch_execz .LBB289_136
; %bb.133:                              ;   in Loop: Header=BB289_10 Depth=1
	v_and_b32_e32 v9, 7, v1
	v_lshrrev_b32_e32 v10, 3, v41
	s_mov_b32 s35, exec_lo
	v_cmpx_gt_u32_e32 8, v41
; %bb.134:                              ;   in Loop: Header=BB289_10 Depth=1
	v_ffbh_u32_e32 v9, v9
	v_min_u32_e32 v39, 32, v9
	v_subrev_nc_u32_e32 v9, 28, v39
	v_lshlrev_b64 v[9:10], v9, v[1:2]
	v_sub_nc_u32_e32 v10, 29, v39
	v_and_b32_e32 v9, 7, v9
; %bb.135:                              ;   in Loop: Header=BB289_10 Depth=1
	s_or_b32 exec_lo, exec_lo, s35
	v_lshlrev_b32_e32 v1, 8, v1
	v_lshl_add_u32 v10, v10, 10, 0x2000
	v_lshlrev_b32_e32 v9, 23, v9
	v_and_or_b32 v1, 0x8000, v1, v10
	v_lshl_or_b32 v39, v1, 16, v9
.LBB289_136:                            ;   in Loop: Header=BB289_10 Depth=1
	s_or_b32 exec_lo, exec_lo, s34
.LBB289_137:                            ;   in Loop: Header=BB289_10 Depth=1
	s_or_b32 exec_lo, exec_lo, s33
.LBB289_138:                            ;   in Loop: Header=BB289_10 Depth=1
	s_or_b32 exec_lo, exec_lo, s2
	global_load_dwordx2 v[9:10], v[7:8], off offset:512
	s_waitcnt vmcnt(0)
	v_cmp_ne_u16_sdwa s1, v9, v2 src0_sel:BYTE_0 src1_sel:DWORD
	s_and_saveexec_b32 s2, s1
	s_cbranch_execz .LBB289_146
; %bb.139:                              ;   in Loop: Header=BB289_10 Depth=1
	v_cmp_ne_u16_sdwa s1, v9, v17 src0_sel:BYTE_0 src1_sel:DWORD
	v_mov_b32_e32 v40, 0x8000
	s_and_saveexec_b32 s33, s1
	s_cbranch_execz .LBB289_145
; %bb.140:                              ;   in Loop: Header=BB289_10 Depth=1
	v_and_b32_e32 v41, 0x7f, v9
	v_mov_b32_e32 v40, 0x7c01
	s_mov_b32 s34, exec_lo
	v_cmpx_ne_u32_e32 0x7f, v41
	s_cbranch_execz .LBB289_144
; %bb.141:                              ;   in Loop: Header=BB289_10 Depth=1
	v_and_b32_e32 v1, 7, v9
	v_lshrrev_b32_e32 v40, 3, v41
	s_mov_b32 s35, exec_lo
	v_cmpx_gt_u32_e32 8, v41
; %bb.142:                              ;   in Loop: Header=BB289_10 Depth=1
	v_ffbh_u32_e32 v1, v1
	v_min_u32_e32 v1, 32, v1
	v_subrev_nc_u32_e32 v40, 28, v1
	v_lshlrev_b64 v[41:42], v40, v[9:10]
	v_sub_nc_u32_e32 v40, 29, v1
	v_and_b32_e32 v1, 7, v41
; %bb.143:                              ;   in Loop: Header=BB289_10 Depth=1
	s_or_b32 exec_lo, exec_lo, s35
	v_lshlrev_b32_e32 v41, 8, v9
	v_lshl_add_u32 v40, v40, 10, 0x2000
	v_lshlrev_b32_e32 v1, 7, v1
	v_and_b32_e32 v41, 0x8000, v41
	v_and_b32_e32 v40, 0xfc00, v40
	v_or3_b32 v40, v41, v40, v1
.LBB289_144:                            ;   in Loop: Header=BB289_10 Depth=1
	s_or_b32 exec_lo, exec_lo, s34
.LBB289_145:                            ;   in Loop: Header=BB289_10 Depth=1
	s_or_b32 exec_lo, exec_lo, s33
.LBB289_146:                            ;   in Loop: Header=BB289_10 Depth=1
	s_or_b32 exec_lo, exec_lo, s2
	v_lshrrev_b16 v1, 8, v9
	v_mov_b32_e32 v42, 0
	v_mov_b32_e32 v41, 0
	s_mov_b32 s2, exec_lo
	v_cmpx_ne_u16_e32 0, v1
	s_cbranch_execz .LBB289_154
; %bb.147:                              ;   in Loop: Header=BB289_10 Depth=1
	v_bfrev_b32_e32 v41, 1
	s_mov_b32 s33, exec_lo
	v_cmpx_ne_u16_e32 0x80, v1
	s_cbranch_execz .LBB289_153
; %bb.148:                              ;   in Loop: Header=BB289_10 Depth=1
	v_and_b32_sdwa v44, v1, v18 dst_sel:DWORD dst_unused:UNUSED_PAD src0_sel:WORD_0 src1_sel:DWORD
	v_mov_b32_e32 v41, 0x7c010000
	s_mov_b32 s34, exec_lo
	v_cmpx_ne_u32_e32 0x7f, v44
	s_cbranch_execz .LBB289_152
; %bb.149:                              ;   in Loop: Header=BB289_10 Depth=1
	v_and_b32_sdwa v41, v1, v20 dst_sel:DWORD dst_unused:UNUSED_PAD src0_sel:WORD_0 src1_sel:DWORD
	v_lshrrev_b32_e32 v43, 3, v44
	s_mov_b32 s35, exec_lo
	v_cmpx_gt_u32_e32 8, v44
; %bb.150:                              ;   in Loop: Header=BB289_10 Depth=1
	v_ffbh_u32_e32 v41, v41
	v_min_u32_e32 v41, 32, v41
	v_subrev_nc_u32_e32 v43, 28, v41
	v_lshlrev_b64 v[44:45], v43, v[1:2]
	v_sub_nc_u32_e32 v43, 29, v41
	v_and_b32_e32 v41, 7, v44
; %bb.151:                              ;   in Loop: Header=BB289_10 Depth=1
	s_or_b32 exec_lo, exec_lo, s35
	v_lshlrev_b32_sdwa v1, v21, v1 dst_sel:DWORD dst_unused:UNUSED_PAD src0_sel:DWORD src1_sel:WORD_0
	v_lshl_add_u32 v43, v43, 10, 0x2000
	v_lshlrev_b32_e32 v41, 23, v41
	v_and_or_b32 v1, 0x8000, v1, v43
	v_lshl_or_b32 v41, v1, 16, v41
.LBB289_152:                            ;   in Loop: Header=BB289_10 Depth=1
	s_or_b32 exec_lo, exec_lo, s34
.LBB289_153:                            ;   in Loop: Header=BB289_10 Depth=1
	s_or_b32 exec_lo, exec_lo, s33
.LBB289_154:                            ;   in Loop: Header=BB289_10 Depth=1
	s_or_b32 exec_lo, exec_lo, s2
	v_lshrrev_b32_e32 v1, 16, v9
	v_cmp_ne_u16_sdwa s1, v1, v2 src0_sel:BYTE_0 src1_sel:DWORD
	s_and_saveexec_b32 s2, s1
	s_cbranch_execz .LBB289_162
; %bb.155:                              ;   in Loop: Header=BB289_10 Depth=1
	v_cmp_ne_u16_sdwa s1, v1, v17 src0_sel:BYTE_0 src1_sel:DWORD
	v_mov_b32_e32 v42, 0x8000
	s_and_saveexec_b32 s33, s1
	s_cbranch_execz .LBB289_161
; %bb.156:                              ;   in Loop: Header=BB289_10 Depth=1
	v_bfe_u32 v44, v9, 16, 7
	v_mov_b32_e32 v42, 0x7c01
	s_mov_b32 s34, exec_lo
	v_cmpx_ne_u32_e32 0x7f, v44
	s_cbranch_execz .LBB289_160
; %bb.157:                              ;   in Loop: Header=BB289_10 Depth=1
	v_and_b32_e32 v42, 7, v1
	v_lshrrev_b32_e32 v43, 3, v44
	s_mov_b32 s35, exec_lo
	v_cmpx_gt_u32_e32 8, v44
; %bb.158:                              ;   in Loop: Header=BB289_10 Depth=1
	v_ffbh_u32_e32 v42, v42
	v_min_u32_e32 v44, 32, v42
	v_subrev_nc_u32_e32 v42, 28, v44
	v_lshlrev_b64 v[42:43], v42, v[1:2]
	v_sub_nc_u32_e32 v43, 29, v44
	v_and_b32_e32 v42, 7, v42
; %bb.159:                              ;   in Loop: Header=BB289_10 Depth=1
	s_or_b32 exec_lo, exec_lo, s35
	v_lshlrev_b32_e32 v1, 8, v1
	v_lshl_add_u32 v43, v43, 10, 0x2000
	v_lshlrev_b32_e32 v42, 7, v42
	v_and_b32_e32 v1, 0x8000, v1
	v_and_b32_e32 v43, 0xfc00, v43
	v_or3_b32 v42, v1, v43, v42
.LBB289_160:                            ;   in Loop: Header=BB289_10 Depth=1
	s_or_b32 exec_lo, exec_lo, s34
.LBB289_161:                            ;   in Loop: Header=BB289_10 Depth=1
	s_or_b32 exec_lo, exec_lo, s33
.LBB289_162:                            ;   in Loop: Header=BB289_10 Depth=1
	s_or_b32 exec_lo, exec_lo, s2
	v_mov_b32_e32 v44, 0
	v_mov_b32_e32 v45, 0
	s_mov_b32 s2, exec_lo
	v_cmpx_lt_u32_e32 0xffffff, v9
	s_cbranch_execz .LBB289_170
; %bb.163:                              ;   in Loop: Header=BB289_10 Depth=1
	v_lshrrev_b32_e32 v1, 24, v9
	v_bfrev_b32_e32 v45, 1
	s_mov_b32 s33, exec_lo
	v_cmpx_ne_u32_e32 0x80, v1
	s_cbranch_execz .LBB289_169
; %bb.164:                              ;   in Loop: Header=BB289_10 Depth=1
	v_and_b32_e32 v46, 0x7f, v1
	v_mov_b32_e32 v45, 0x7c010000
	s_mov_b32 s34, exec_lo
	v_cmpx_ne_u32_e32 0x7f, v46
	s_cbranch_execz .LBB289_168
; %bb.165:                              ;   in Loop: Header=BB289_10 Depth=1
	v_and_b32_e32 v43, 7, v1
	v_lshrrev_b32_e32 v45, 3, v46
	s_mov_b32 s35, exec_lo
	v_cmpx_gt_u32_e32 8, v46
; %bb.166:                              ;   in Loop: Header=BB289_10 Depth=1
	v_ffbh_u32_e32 v43, v43
	v_min_u32_e32 v43, 32, v43
	v_subrev_nc_u32_e32 v45, 28, v43
	v_lshlrev_b64 v[46:47], v45, v[1:2]
	v_sub_nc_u32_e32 v45, 29, v43
	v_and_b32_e32 v43, 7, v46
; %bb.167:                              ;   in Loop: Header=BB289_10 Depth=1
	s_or_b32 exec_lo, exec_lo, s35
	v_lshlrev_b32_e32 v1, 8, v1
	v_lshl_add_u32 v45, v45, 10, 0x2000
	v_lshlrev_b32_e32 v43, 23, v43
	v_and_or_b32 v1, 0x8000, v1, v45
	v_lshl_or_b32 v45, v1, 16, v43
.LBB289_168:                            ;   in Loop: Header=BB289_10 Depth=1
	s_or_b32 exec_lo, exec_lo, s34
.LBB289_169:                            ;   in Loop: Header=BB289_10 Depth=1
	s_or_b32 exec_lo, exec_lo, s33
.LBB289_170:                            ;   in Loop: Header=BB289_10 Depth=1
	s_or_b32 exec_lo, exec_lo, s2
	v_mov_b32_e32 v1, v10
	v_cmp_ne_u16_sdwa s1, v10, v2 src0_sel:BYTE_0 src1_sel:DWORD
	s_and_saveexec_b32 s2, s1
	s_cbranch_execz .LBB289_178
; %bb.171:                              ;   in Loop: Header=BB289_10 Depth=1
	v_cmp_ne_u16_sdwa s1, v10, v17 src0_sel:BYTE_0 src1_sel:DWORD
	v_mov_b32_e32 v44, 0x8000
	s_and_saveexec_b32 s33, s1
	s_cbranch_execz .LBB289_177
; %bb.172:                              ;   in Loop: Header=BB289_10 Depth=1
	v_and_b32_e32 v46, 0x7f, v10
	v_mov_b32_e32 v44, 0x7c01
	s_mov_b32 s34, exec_lo
	v_cmpx_ne_u32_e32 0x7f, v46
	s_cbranch_execz .LBB289_176
; %bb.173:                              ;   in Loop: Header=BB289_10 Depth=1
	v_and_b32_e32 v43, 7, v10
	v_lshrrev_b32_e32 v44, 3, v46
	s_mov_b32 s35, exec_lo
	v_cmpx_gt_u32_e32 8, v46
; %bb.174:                              ;   in Loop: Header=BB289_10 Depth=1
	v_ffbh_u32_e32 v43, v43
	v_min_u32_e32 v46, 32, v43
	v_subrev_nc_u32_e32 v43, 28, v46
	v_lshlrev_b64 v[43:44], v43, v[1:2]
	v_sub_nc_u32_e32 v44, 29, v46
	v_and_b32_e32 v43, 7, v43
; %bb.175:                              ;   in Loop: Header=BB289_10 Depth=1
	s_or_b32 exec_lo, exec_lo, s35
	v_lshlrev_b32_e32 v46, 8, v10
	v_lshl_add_u32 v44, v44, 10, 0x2000
	v_lshlrev_b32_e32 v43, 7, v43
	v_and_b32_e32 v46, 0x8000, v46
	v_and_b32_e32 v44, 0xfc00, v44
	v_or3_b32 v44, v46, v44, v43
.LBB289_176:                            ;   in Loop: Header=BB289_10 Depth=1
	s_or_b32 exec_lo, exec_lo, s34
.LBB289_177:                            ;   in Loop: Header=BB289_10 Depth=1
	s_or_b32 exec_lo, exec_lo, s33
.LBB289_178:                            ;   in Loop: Header=BB289_10 Depth=1
	s_or_b32 exec_lo, exec_lo, s2
	v_lshrrev_b16 v1, 8, v1
	v_mov_b32_e32 v47, 0
	v_mov_b32_e32 v43, 0
	s_mov_b32 s2, exec_lo
	v_cmpx_ne_u16_e32 0, v1
	s_cbranch_execz .LBB289_186
; %bb.179:                              ;   in Loop: Header=BB289_10 Depth=1
	v_bfrev_b32_e32 v43, 1
	s_mov_b32 s33, exec_lo
	v_cmpx_ne_u16_e32 0x80, v1
	s_cbranch_execz .LBB289_185
; %bb.180:                              ;   in Loop: Header=BB289_10 Depth=1
	v_and_b32_sdwa v48, v1, v18 dst_sel:DWORD dst_unused:UNUSED_PAD src0_sel:WORD_0 src1_sel:DWORD
	v_mov_b32_e32 v43, 0x7c010000
	s_mov_b32 s34, exec_lo
	v_cmpx_ne_u32_e32 0x7f, v48
	s_cbranch_execz .LBB289_184
; %bb.181:                              ;   in Loop: Header=BB289_10 Depth=1
	v_and_b32_sdwa v43, v1, v20 dst_sel:DWORD dst_unused:UNUSED_PAD src0_sel:WORD_0 src1_sel:DWORD
	v_lshrrev_b32_e32 v46, 3, v48
	s_mov_b32 s35, exec_lo
	v_cmpx_gt_u32_e32 8, v48
; %bb.182:                              ;   in Loop: Header=BB289_10 Depth=1
	v_ffbh_u32_e32 v43, v43
	v_min_u32_e32 v43, 32, v43
	v_subrev_nc_u32_e32 v46, 28, v43
	v_lshlrev_b64 v[48:49], v46, v[1:2]
	v_sub_nc_u32_e32 v46, 29, v43
	v_and_b32_e32 v43, 7, v48
; %bb.183:                              ;   in Loop: Header=BB289_10 Depth=1
	s_or_b32 exec_lo, exec_lo, s35
	v_lshlrev_b32_sdwa v1, v21, v1 dst_sel:DWORD dst_unused:UNUSED_PAD src0_sel:DWORD src1_sel:WORD_0
	v_lshl_add_u32 v46, v46, 10, 0x2000
	v_lshlrev_b32_e32 v43, 23, v43
	v_and_or_b32 v1, 0x8000, v1, v46
	v_lshl_or_b32 v43, v1, 16, v43
.LBB289_184:                            ;   in Loop: Header=BB289_10 Depth=1
	s_or_b32 exec_lo, exec_lo, s34
.LBB289_185:                            ;   in Loop: Header=BB289_10 Depth=1
	s_or_b32 exec_lo, exec_lo, s33
.LBB289_186:                            ;   in Loop: Header=BB289_10 Depth=1
	s_or_b32 exec_lo, exec_lo, s2
	v_lshrrev_b32_e32 v1, 16, v10
	v_cmp_ne_u16_sdwa s1, v1, v2 src0_sel:BYTE_0 src1_sel:DWORD
	s_and_saveexec_b32 s2, s1
	s_cbranch_execz .LBB289_194
; %bb.187:                              ;   in Loop: Header=BB289_10 Depth=1
	v_cmp_ne_u16_sdwa s1, v1, v17 src0_sel:BYTE_0 src1_sel:DWORD
	v_mov_b32_e32 v47, 0x8000
	s_and_saveexec_b32 s33, s1
	s_cbranch_execz .LBB289_193
; %bb.188:                              ;   in Loop: Header=BB289_10 Depth=1
	v_bfe_u32 v48, v10, 16, 7
	v_mov_b32_e32 v47, 0x7c01
	s_mov_b32 s34, exec_lo
	v_cmpx_ne_u32_e32 0x7f, v48
	s_cbranch_execz .LBB289_192
; %bb.189:                              ;   in Loop: Header=BB289_10 Depth=1
	v_and_b32_e32 v46, 7, v1
	v_lshrrev_b32_e32 v47, 3, v48
	s_mov_b32 s35, exec_lo
	v_cmpx_gt_u32_e32 8, v48
; %bb.190:                              ;   in Loop: Header=BB289_10 Depth=1
	v_ffbh_u32_e32 v46, v46
	v_min_u32_e32 v48, 32, v46
	v_subrev_nc_u32_e32 v46, 28, v48
	v_lshlrev_b64 v[46:47], v46, v[1:2]
	v_sub_nc_u32_e32 v47, 29, v48
	v_and_b32_e32 v46, 7, v46
; %bb.191:                              ;   in Loop: Header=BB289_10 Depth=1
	s_or_b32 exec_lo, exec_lo, s35
	v_lshlrev_b32_e32 v1, 8, v1
	v_lshl_add_u32 v47, v47, 10, 0x2000
	v_lshlrev_b32_e32 v46, 7, v46
	v_and_b32_e32 v1, 0x8000, v1
	v_and_b32_e32 v47, 0xfc00, v47
	v_or3_b32 v47, v1, v47, v46
.LBB289_192:                            ;   in Loop: Header=BB289_10 Depth=1
	s_or_b32 exec_lo, exec_lo, s34
.LBB289_193:                            ;   in Loop: Header=BB289_10 Depth=1
	s_or_b32 exec_lo, exec_lo, s33
.LBB289_194:                            ;   in Loop: Header=BB289_10 Depth=1
	s_or_b32 exec_lo, exec_lo, s2
	v_cmp_lt_u64_e64 s1, s[4:5], v[9:10]
	v_mov_b32_e32 v9, 0
	v_mov_b32_e32 v46, 0
	s_and_saveexec_b32 s2, s1
	s_cbranch_execz .LBB289_202
; %bb.195:                              ;   in Loop: Header=BB289_10 Depth=1
	v_lshrrev_b32_e32 v1, 24, v10
	v_bfrev_b32_e32 v46, 1
	s_mov_b32 s33, exec_lo
	v_cmpx_ne_u32_e32 0x80, v1
	s_cbranch_execz .LBB289_201
; %bb.196:                              ;   in Loop: Header=BB289_10 Depth=1
	v_and_b32_e32 v48, 0x7f, v1
	v_mov_b32_e32 v46, 0x7c010000
	s_mov_b32 s34, exec_lo
	v_cmpx_ne_u32_e32 0x7f, v48
	s_cbranch_execz .LBB289_200
; %bb.197:                              ;   in Loop: Header=BB289_10 Depth=1
	v_and_b32_e32 v10, 7, v1
	v_lshrrev_b32_e32 v46, 3, v48
	s_mov_b32 s35, exec_lo
	v_cmpx_gt_u32_e32 8, v48
; %bb.198:                              ;   in Loop: Header=BB289_10 Depth=1
	v_ffbh_u32_e32 v10, v10
	v_min_u32_e32 v10, 32, v10
	v_subrev_nc_u32_e32 v46, 28, v10
	v_lshlrev_b64 v[48:49], v46, v[1:2]
	v_sub_nc_u32_e32 v46, 29, v10
	v_and_b32_e32 v10, 7, v48
; %bb.199:                              ;   in Loop: Header=BB289_10 Depth=1
	s_or_b32 exec_lo, exec_lo, s35
	v_lshlrev_b32_e32 v1, 8, v1
	v_lshl_add_u32 v46, v46, 10, 0x2000
	v_lshlrev_b32_e32 v10, 23, v10
	v_and_or_b32 v1, 0x8000, v1, v46
	v_lshl_or_b32 v46, v1, 16, v10
.LBB289_200:                            ;   in Loop: Header=BB289_10 Depth=1
	s_or_b32 exec_lo, exec_lo, s34
.LBB289_201:                            ;   in Loop: Header=BB289_10 Depth=1
	s_or_b32 exec_lo, exec_lo, s33
.LBB289_202:                            ;   in Loop: Header=BB289_10 Depth=1
	s_or_b32 exec_lo, exec_lo, s2
	global_load_dwordx2 v[7:8], v[7:8], off offset:520
	s_waitcnt vmcnt(0)
	v_cmp_ne_u16_sdwa s1, v7, v2 src0_sel:BYTE_0 src1_sel:DWORD
	s_and_saveexec_b32 s2, s1
	s_cbranch_execz .LBB289_210
; %bb.203:                              ;   in Loop: Header=BB289_10 Depth=1
	v_cmp_ne_u16_sdwa s1, v7, v17 src0_sel:BYTE_0 src1_sel:DWORD
	v_mov_b32_e32 v9, 0x8000
	s_and_saveexec_b32 s33, s1
	s_cbranch_execz .LBB289_209
; %bb.204:                              ;   in Loop: Header=BB289_10 Depth=1
	v_and_b32_e32 v10, 0x7f, v7
	v_mov_b32_e32 v9, 0x7c01
	s_mov_b32 s34, exec_lo
	v_cmpx_ne_u32_e32 0x7f, v10
	s_cbranch_execz .LBB289_208
; %bb.205:                              ;   in Loop: Header=BB289_10 Depth=1
	v_and_b32_e32 v1, 7, v7
	v_lshrrev_b32_e32 v9, 3, v10
	s_mov_b32 s35, exec_lo
	v_cmpx_gt_u32_e32 8, v10
; %bb.206:                              ;   in Loop: Header=BB289_10 Depth=1
	v_ffbh_u32_e32 v1, v1
	v_min_u32_e32 v1, 32, v1
	v_subrev_nc_u32_e32 v9, 28, v1
	v_lshlrev_b64 v[48:49], v9, v[7:8]
	v_sub_nc_u32_e32 v9, 29, v1
	v_and_b32_e32 v1, 7, v48
; %bb.207:                              ;   in Loop: Header=BB289_10 Depth=1
	s_or_b32 exec_lo, exec_lo, s35
	v_lshlrev_b32_e32 v10, 8, v7
	v_lshl_add_u32 v9, v9, 10, 0x2000
	v_lshlrev_b32_e32 v1, 7, v1
	v_and_b32_e32 v10, 0x8000, v10
	v_and_b32_e32 v9, 0xfc00, v9
	v_or3_b32 v9, v10, v9, v1
.LBB289_208:                            ;   in Loop: Header=BB289_10 Depth=1
	s_or_b32 exec_lo, exec_lo, s34
.LBB289_209:                            ;   in Loop: Header=BB289_10 Depth=1
	s_or_b32 exec_lo, exec_lo, s33
.LBB289_210:                            ;   in Loop: Header=BB289_10 Depth=1
	s_or_b32 exec_lo, exec_lo, s2
	v_lshrrev_b16 v1, 8, v7
	v_mov_b32_e32 v48, 0
	v_mov_b32_e32 v10, 0
	s_mov_b32 s2, exec_lo
	v_cmpx_ne_u16_e32 0, v1
	s_cbranch_execz .LBB289_218
; %bb.211:                              ;   in Loop: Header=BB289_10 Depth=1
	v_bfrev_b32_e32 v10, 1
	s_mov_b32 s33, exec_lo
	v_cmpx_ne_u16_e32 0x80, v1
	s_cbranch_execz .LBB289_217
; %bb.212:                              ;   in Loop: Header=BB289_10 Depth=1
	v_and_b32_sdwa v50, v1, v18 dst_sel:DWORD dst_unused:UNUSED_PAD src0_sel:WORD_0 src1_sel:DWORD
	v_mov_b32_e32 v10, 0x7c010000
	s_mov_b32 s34, exec_lo
	v_cmpx_ne_u32_e32 0x7f, v50
	s_cbranch_execz .LBB289_216
; %bb.213:                              ;   in Loop: Header=BB289_10 Depth=1
	v_and_b32_sdwa v10, v1, v20 dst_sel:DWORD dst_unused:UNUSED_PAD src0_sel:WORD_0 src1_sel:DWORD
	v_lshrrev_b32_e32 v49, 3, v50
	s_mov_b32 s35, exec_lo
	v_cmpx_gt_u32_e32 8, v50
; %bb.214:                              ;   in Loop: Header=BB289_10 Depth=1
	v_ffbh_u32_e32 v10, v10
	v_min_u32_e32 v10, 32, v10
	v_subrev_nc_u32_e32 v49, 28, v10
	v_lshlrev_b64 v[50:51], v49, v[1:2]
	v_sub_nc_u32_e32 v49, 29, v10
	v_and_b32_e32 v10, 7, v50
; %bb.215:                              ;   in Loop: Header=BB289_10 Depth=1
	s_or_b32 exec_lo, exec_lo, s35
	v_lshlrev_b32_sdwa v1, v21, v1 dst_sel:DWORD dst_unused:UNUSED_PAD src0_sel:DWORD src1_sel:WORD_0
	v_lshl_add_u32 v49, v49, 10, 0x2000
	v_lshlrev_b32_e32 v10, 23, v10
	v_and_or_b32 v1, 0x8000, v1, v49
	v_lshl_or_b32 v10, v1, 16, v10
.LBB289_216:                            ;   in Loop: Header=BB289_10 Depth=1
	s_or_b32 exec_lo, exec_lo, s34
.LBB289_217:                            ;   in Loop: Header=BB289_10 Depth=1
	s_or_b32 exec_lo, exec_lo, s33
.LBB289_218:                            ;   in Loop: Header=BB289_10 Depth=1
	s_or_b32 exec_lo, exec_lo, s2
	v_lshrrev_b32_e32 v1, 16, v7
	v_cmp_ne_u16_sdwa s1, v1, v2 src0_sel:BYTE_0 src1_sel:DWORD
	s_and_saveexec_b32 s2, s1
	s_cbranch_execz .LBB289_226
; %bb.219:                              ;   in Loop: Header=BB289_10 Depth=1
	v_cmp_ne_u16_sdwa s1, v1, v17 src0_sel:BYTE_0 src1_sel:DWORD
	v_mov_b32_e32 v48, 0x8000
	s_and_saveexec_b32 s33, s1
	s_cbranch_execz .LBB289_225
; %bb.220:                              ;   in Loop: Header=BB289_10 Depth=1
	v_bfe_u32 v50, v7, 16, 7
	v_mov_b32_e32 v48, 0x7c01
	s_mov_b32 s34, exec_lo
	v_cmpx_ne_u32_e32 0x7f, v50
	s_cbranch_execz .LBB289_224
; %bb.221:                              ;   in Loop: Header=BB289_10 Depth=1
	v_and_b32_e32 v48, 7, v1
	v_lshrrev_b32_e32 v49, 3, v50
	s_mov_b32 s35, exec_lo
	v_cmpx_gt_u32_e32 8, v50
; %bb.222:                              ;   in Loop: Header=BB289_10 Depth=1
	v_ffbh_u32_e32 v48, v48
	v_min_u32_e32 v50, 32, v48
	v_subrev_nc_u32_e32 v48, 28, v50
	v_lshlrev_b64 v[48:49], v48, v[1:2]
	v_sub_nc_u32_e32 v49, 29, v50
	v_and_b32_e32 v48, 7, v48
; %bb.223:                              ;   in Loop: Header=BB289_10 Depth=1
	s_or_b32 exec_lo, exec_lo, s35
	v_lshlrev_b32_e32 v1, 8, v1
	v_lshl_add_u32 v49, v49, 10, 0x2000
	v_lshlrev_b32_e32 v48, 7, v48
	v_and_b32_e32 v1, 0x8000, v1
	v_and_b32_e32 v49, 0xfc00, v49
	v_or3_b32 v48, v1, v49, v48
.LBB289_224:                            ;   in Loop: Header=BB289_10 Depth=1
	s_or_b32 exec_lo, exec_lo, s34
.LBB289_225:                            ;   in Loop: Header=BB289_10 Depth=1
	s_or_b32 exec_lo, exec_lo, s33
.LBB289_226:                            ;   in Loop: Header=BB289_10 Depth=1
	s_or_b32 exec_lo, exec_lo, s2
	v_mov_b32_e32 v49, 0
	v_mov_b32_e32 v50, 0
	s_mov_b32 s2, exec_lo
	v_cmpx_lt_u32_e32 0xffffff, v7
	s_cbranch_execz .LBB289_234
; %bb.227:                              ;   in Loop: Header=BB289_10 Depth=1
	v_lshrrev_b32_e32 v1, 24, v7
	v_bfrev_b32_e32 v50, 1
	s_mov_b32 s33, exec_lo
	v_cmpx_ne_u32_e32 0x80, v1
	s_cbranch_execz .LBB289_233
; %bb.228:                              ;   in Loop: Header=BB289_10 Depth=1
	v_and_b32_e32 v52, 0x7f, v1
	v_mov_b32_e32 v50, 0x7c010000
	s_mov_b32 s34, exec_lo
	v_cmpx_ne_u32_e32 0x7f, v52
	s_cbranch_execz .LBB289_232
; %bb.229:                              ;   in Loop: Header=BB289_10 Depth=1
	v_and_b32_e32 v50, 7, v1
	v_lshrrev_b32_e32 v51, 3, v52
	s_mov_b32 s35, exec_lo
	v_cmpx_gt_u32_e32 8, v52
; %bb.230:                              ;   in Loop: Header=BB289_10 Depth=1
	v_ffbh_u32_e32 v50, v50
	v_min_u32_e32 v52, 32, v50
	v_subrev_nc_u32_e32 v50, 28, v52
	v_lshlrev_b64 v[50:51], v50, v[1:2]
	v_sub_nc_u32_e32 v51, 29, v52
	v_and_b32_e32 v50, 7, v50
; %bb.231:                              ;   in Loop: Header=BB289_10 Depth=1
	s_or_b32 exec_lo, exec_lo, s35
	v_lshlrev_b32_e32 v1, 8, v1
	v_lshl_add_u32 v51, v51, 10, 0x2000
	v_lshlrev_b32_e32 v50, 23, v50
	v_and_or_b32 v1, 0x8000, v1, v51
	v_lshl_or_b32 v50, v1, 16, v50
.LBB289_232:                            ;   in Loop: Header=BB289_10 Depth=1
	s_or_b32 exec_lo, exec_lo, s34
.LBB289_233:                            ;   in Loop: Header=BB289_10 Depth=1
	s_or_b32 exec_lo, exec_lo, s33
.LBB289_234:                            ;   in Loop: Header=BB289_10 Depth=1
	s_or_b32 exec_lo, exec_lo, s2
	v_mov_b32_e32 v1, v8
	v_cmp_ne_u16_sdwa s1, v8, v2 src0_sel:BYTE_0 src1_sel:DWORD
	s_and_saveexec_b32 s2, s1
	s_cbranch_execz .LBB289_242
; %bb.235:                              ;   in Loop: Header=BB289_10 Depth=1
	v_cmp_ne_u16_sdwa s1, v8, v17 src0_sel:BYTE_0 src1_sel:DWORD
	v_mov_b32_e32 v49, 0x8000
	s_and_saveexec_b32 s33, s1
	s_cbranch_execz .LBB289_241
; %bb.236:                              ;   in Loop: Header=BB289_10 Depth=1
	v_and_b32_e32 v52, 0x7f, v8
	v_mov_b32_e32 v49, 0x7c01
	s_mov_b32 s34, exec_lo
	v_cmpx_ne_u32_e32 0x7f, v52
	s_cbranch_execz .LBB289_240
; %bb.237:                              ;   in Loop: Header=BB289_10 Depth=1
	v_and_b32_e32 v49, 7, v8
	v_lshrrev_b32_e32 v51, 3, v52
	s_mov_b32 s35, exec_lo
	v_cmpx_gt_u32_e32 8, v52
; %bb.238:                              ;   in Loop: Header=BB289_10 Depth=1
	v_ffbh_u32_e32 v49, v49
	v_min_u32_e32 v49, 32, v49
	v_subrev_nc_u32_e32 v51, 28, v49
	v_lshlrev_b64 v[52:53], v51, v[1:2]
	v_sub_nc_u32_e32 v51, 29, v49
	v_and_b32_e32 v49, 7, v52
; %bb.239:                              ;   in Loop: Header=BB289_10 Depth=1
	s_or_b32 exec_lo, exec_lo, s35
	v_lshlrev_b32_e32 v52, 8, v8
	v_lshl_add_u32 v51, v51, 10, 0x2000
	v_lshlrev_b32_e32 v49, 7, v49
	v_and_b32_e32 v52, 0x8000, v52
	v_and_b32_e32 v51, 0xfc00, v51
	v_or3_b32 v49, v52, v51, v49
.LBB289_240:                            ;   in Loop: Header=BB289_10 Depth=1
	s_or_b32 exec_lo, exec_lo, s34
.LBB289_241:                            ;   in Loop: Header=BB289_10 Depth=1
	s_or_b32 exec_lo, exec_lo, s33
.LBB289_242:                            ;   in Loop: Header=BB289_10 Depth=1
	s_or_b32 exec_lo, exec_lo, s2
	v_lshrrev_b16 v1, 8, v1
	v_mov_b32_e32 v52, 0
	v_mov_b32_e32 v51, 0
	s_mov_b32 s2, exec_lo
	v_cmpx_ne_u16_e32 0, v1
	s_cbranch_execz .LBB289_250
; %bb.243:                              ;   in Loop: Header=BB289_10 Depth=1
	v_bfrev_b32_e32 v51, 1
	s_mov_b32 s33, exec_lo
	v_cmpx_ne_u16_e32 0x80, v1
	s_cbranch_execz .LBB289_249
; %bb.244:                              ;   in Loop: Header=BB289_10 Depth=1
	v_and_b32_sdwa v54, v1, v18 dst_sel:DWORD dst_unused:UNUSED_PAD src0_sel:WORD_0 src1_sel:DWORD
	v_mov_b32_e32 v51, 0x7c010000
	s_mov_b32 s34, exec_lo
	v_cmpx_ne_u32_e32 0x7f, v54
	s_cbranch_execz .LBB289_248
; %bb.245:                              ;   in Loop: Header=BB289_10 Depth=1
	v_and_b32_sdwa v51, v1, v20 dst_sel:DWORD dst_unused:UNUSED_PAD src0_sel:WORD_0 src1_sel:DWORD
	v_lshrrev_b32_e32 v53, 3, v54
	s_mov_b32 s35, exec_lo
	v_cmpx_gt_u32_e32 8, v54
; %bb.246:                              ;   in Loop: Header=BB289_10 Depth=1
	v_ffbh_u32_e32 v51, v51
	v_min_u32_e32 v51, 32, v51
	v_subrev_nc_u32_e32 v53, 28, v51
	v_lshlrev_b64 v[54:55], v53, v[1:2]
	v_sub_nc_u32_e32 v53, 29, v51
	v_and_b32_e32 v51, 7, v54
; %bb.247:                              ;   in Loop: Header=BB289_10 Depth=1
	s_or_b32 exec_lo, exec_lo, s35
	v_lshlrev_b32_sdwa v1, v21, v1 dst_sel:DWORD dst_unused:UNUSED_PAD src0_sel:DWORD src1_sel:WORD_0
	v_lshl_add_u32 v53, v53, 10, 0x2000
	v_lshlrev_b32_e32 v51, 23, v51
	v_and_or_b32 v1, 0x8000, v1, v53
	v_lshl_or_b32 v51, v1, 16, v51
.LBB289_248:                            ;   in Loop: Header=BB289_10 Depth=1
	s_or_b32 exec_lo, exec_lo, s34
.LBB289_249:                            ;   in Loop: Header=BB289_10 Depth=1
	s_or_b32 exec_lo, exec_lo, s33
.LBB289_250:                            ;   in Loop: Header=BB289_10 Depth=1
	s_or_b32 exec_lo, exec_lo, s2
	v_lshrrev_b32_e32 v1, 16, v8
	v_cmp_ne_u16_sdwa s1, v1, v2 src0_sel:BYTE_0 src1_sel:DWORD
	s_and_saveexec_b32 s2, s1
	s_cbranch_execz .LBB289_258
; %bb.251:                              ;   in Loop: Header=BB289_10 Depth=1
	v_cmp_ne_u16_sdwa s1, v1, v17 src0_sel:BYTE_0 src1_sel:DWORD
	v_mov_b32_e32 v52, 0x8000
	s_and_saveexec_b32 s33, s1
	s_cbranch_execz .LBB289_257
; %bb.252:                              ;   in Loop: Header=BB289_10 Depth=1
	v_bfe_u32 v54, v8, 16, 7
	v_mov_b32_e32 v52, 0x7c01
	s_mov_b32 s34, exec_lo
	v_cmpx_ne_u32_e32 0x7f, v54
	s_cbranch_execz .LBB289_256
; %bb.253:                              ;   in Loop: Header=BB289_10 Depth=1
	v_and_b32_e32 v52, 7, v1
	v_lshrrev_b32_e32 v53, 3, v54
	s_mov_b32 s35, exec_lo
	v_cmpx_gt_u32_e32 8, v54
; %bb.254:                              ;   in Loop: Header=BB289_10 Depth=1
	v_ffbh_u32_e32 v52, v52
	v_min_u32_e32 v54, 32, v52
	v_subrev_nc_u32_e32 v52, 28, v54
	v_lshlrev_b64 v[52:53], v52, v[1:2]
	v_sub_nc_u32_e32 v53, 29, v54
	v_and_b32_e32 v52, 7, v52
; %bb.255:                              ;   in Loop: Header=BB289_10 Depth=1
	s_or_b32 exec_lo, exec_lo, s35
	v_lshlrev_b32_e32 v1, 8, v1
	v_lshl_add_u32 v53, v53, 10, 0x2000
	v_lshlrev_b32_e32 v52, 7, v52
	v_and_b32_e32 v1, 0x8000, v1
	v_and_b32_e32 v53, 0xfc00, v53
	v_or3_b32 v52, v1, v53, v52
.LBB289_256:                            ;   in Loop: Header=BB289_10 Depth=1
	s_or_b32 exec_lo, exec_lo, s34
.LBB289_257:                            ;   in Loop: Header=BB289_10 Depth=1
	s_or_b32 exec_lo, exec_lo, s33
.LBB289_258:                            ;   in Loop: Header=BB289_10 Depth=1
	s_or_b32 exec_lo, exec_lo, s2
	v_mov_b32_e32 v53, 0
	s_mov_b32 s2, exec_lo
	v_cmpx_lt_u64_e64 s[4:5], v[7:8]
	s_cbranch_execz .LBB289_9
; %bb.259:                              ;   in Loop: Header=BB289_10 Depth=1
	v_lshrrev_b32_e32 v1, 24, v8
	v_bfrev_b32_e32 v53, 1
	s_mov_b32 s33, exec_lo
	v_cmpx_ne_u32_e32 0x80, v1
	s_cbranch_execz .LBB289_8
; %bb.260:                              ;   in Loop: Header=BB289_10 Depth=1
	v_and_b32_e32 v54, 0x7f, v1
	v_mov_b32_e32 v53, 0x7c010000
	s_mov_b32 s34, exec_lo
	v_cmpx_ne_u32_e32 0x7f, v54
	s_cbranch_execz .LBB289_7
; %bb.261:                              ;   in Loop: Header=BB289_10 Depth=1
	v_and_b32_e32 v7, 7, v1
	v_lshrrev_b32_e32 v8, 3, v54
	s_mov_b32 s35, exec_lo
	v_cmpx_gt_u32_e32 8, v54
	s_cbranch_execz .LBB289_6
; %bb.262:                              ;   in Loop: Header=BB289_10 Depth=1
	v_ffbh_u32_e32 v7, v7
	v_min_u32_e32 v53, 32, v7
	v_subrev_nc_u32_e32 v7, 28, v53
	v_lshlrev_b64 v[7:8], v7, v[1:2]
	v_sub_nc_u32_e32 v8, 29, v53
	v_and_b32_e32 v7, 7, v7
	s_branch .LBB289_6
.LBB289_263:
	s_or_b32 exec_lo, exec_lo, s31
.LBB289_264:
	s_or_b32 exec_lo, exec_lo, s19
	v_mbcnt_lo_u32_b32 v2, -1, 0
	v_max_f32_e32 v5, v15, v15
	v_xor_b32_e32 v1, 16, v2
	v_xor_b32_e32 v4, 8, v2
	v_cmp_gt_i32_e32 vcc_lo, 32, v1
	v_cndmask_b32_e32 v1, v2, v1, vcc_lo
	v_cmp_gt_i32_e32 vcc_lo, 32, v4
	v_lshlrev_b32_e32 v1, 2, v1
	v_cndmask_b32_e32 v4, v2, v4, vcc_lo
	ds_bpermute_b32 v3, v1, v15
	s_waitcnt lgkmcnt(0)
	v_max_f32_e32 v6, v3, v3
	v_lshlrev_b32_e32 v3, 2, v4
	v_max_f32_e32 v5, v5, v6
	v_xor_b32_e32 v6, 4, v2
	ds_bpermute_b32 v4, v3, v5
	v_cmp_gt_i32_e32 vcc_lo, 32, v6
	v_cndmask_b32_e32 v6, v2, v6, vcc_lo
	s_waitcnt lgkmcnt(0)
	v_max_f32_e32 v7, v4, v4
	v_lshlrev_b32_e32 v4, 2, v6
	v_max_f32_e32 v5, v5, v7
	v_xor_b32_e32 v7, 2, v2
	ds_bpermute_b32 v6, v4, v5
	v_cmp_gt_i32_e32 vcc_lo, 32, v7
	v_cndmask_b32_e32 v7, v2, v7, vcc_lo
	v_lshlrev_b32_e32 v15, 2, v7
	v_xor_b32_e32 v7, 1, v2
	v_cmp_gt_i32_e32 vcc_lo, 32, v7
	s_waitcnt lgkmcnt(0)
	v_max_f32_e32 v6, v6, v6
	v_cndmask_b32_e32 v7, v2, v7, vcc_lo
	v_cmp_eq_u32_e32 vcc_lo, 0, v12
	v_max_f32_e32 v5, v5, v6
	v_lshlrev_b32_e32 v16, 2, v7
	ds_bpermute_b32 v6, v15, v5
	s_waitcnt lgkmcnt(0)
	v_max_f32_e32 v6, v6, v6
	v_max_f32_e32 v2, v5, v6
	v_lshlrev_b32_e32 v5, 2, v11
	ds_bpermute_b32 v6, v16, v2
	s_and_saveexec_b32 s1, vcc_lo
	s_cbranch_execz .LBB289_266
; %bb.265:
	s_waitcnt lgkmcnt(0)
	v_max_f32_e32 v6, v6, v6
	v_max_f32_e32 v2, v2, v2
	;; [unrolled: 1-line block ×3, first 2 shown]
	ds_write_b32 v5, v2 offset:64
.LBB289_266:
	s_or_b32 exec_lo, exec_lo, s1
	v_cmp_gt_u32_e64 s1, 4, v12
	v_mov_b32_e32 v2, 0xff7fffff
	s_waitcnt lgkmcnt(0)
	s_barrier
	buffer_gl0_inv
	s_and_saveexec_b32 s2, s1
; %bb.267:
	ds_read_b32 v2, v14 offset:64
; %bb.268:
	s_or_b32 exec_lo, exec_lo, s2
	s_waitcnt lgkmcnt(0)
	ds_bpermute_b32 v6, v15, v2
	v_max_f32_e32 v2, v2, v2
	s_lshl_b32 s2, s16, 5
	s_min_i32 s4, s2, s11
	v_cmp_gt_i32_e64 s2, s4, v0
	s_waitcnt lgkmcnt(0)
	v_max_f32_e32 v6, v6, v6
	v_max_f32_e32 v2, v2, v6
	ds_bpermute_b32 v6, v16, v2
	s_waitcnt lgkmcnt(0)
	v_max_f32_e32 v6, v6, v6
	v_max_f32_e32 v2, v2, v6
	v_mov_b32_e32 v6, 0
	ds_bpermute_b32 v7, v6, v2
	v_lshl_add_u32 v2, v0, 2, 0x60
	s_and_saveexec_b32 s5, s2
	s_cbranch_execz .LBB289_272
; %bb.269:
	v_lshl_add_u32 v8, v0, 2, 0x60
	v_mov_b32_e32 v6, 0
	v_mov_b32_e32 v9, v0
	s_mov_b32 s12, 0
	.p2align	6
.LBB289_270:                            ; =>This Inner Loop Header: Depth=1
	ds_read_b32 v10, v8
	v_add_nc_u32_e32 v9, 0x80, v9
	v_cmp_le_i32_e64 s3, s4, v9
	s_or_b32 s12, s3, s12
	s_waitcnt lgkmcnt(0)
	v_sub_f32_e32 v10, v10, v7
	v_mul_f32_e32 v10, 0x3fb8aa3b, v10
	v_exp_f32_e32 v10, v10
	ds_write_b32 v8, v10
	v_add_f32_e32 v6, v6, v10
	v_add_nc_u32_e32 v8, 0x200, v8
	s_andn2_b32 exec_lo, exec_lo, s12
	s_cbranch_execnz .LBB289_270
; %bb.271:
	s_or_b32 exec_lo, exec_lo, s12
.LBB289_272:
	s_or_b32 exec_lo, exec_lo, s5
	ds_bpermute_b32 v1, v1, v6
	s_waitcnt lgkmcnt(0)
	v_add_f32_e32 v1, v6, v1
	ds_bpermute_b32 v3, v3, v1
	s_waitcnt lgkmcnt(0)
	v_add_f32_e32 v1, v1, v3
	;; [unrolled: 3-line block ×5, first 2 shown]
	s_and_saveexec_b32 s3, vcc_lo
; %bb.273:
	ds_write_b32 v5, v1 offset:80
; %bb.274:
	s_or_b32 exec_lo, exec_lo, s3
	s_waitcnt lgkmcnt(0)
	s_barrier
	buffer_gl0_inv
	s_and_saveexec_b32 s3, s1
; %bb.275:
	ds_read_b32 v1, v14 offset:80
; %bb.276:
	s_or_b32 exec_lo, exec_lo, s3
	s_waitcnt lgkmcnt(0)
	ds_bpermute_b32 v3, v15, v1
	s_waitcnt lgkmcnt(0)
	v_add_f32_e32 v1, v1, v3
	ds_bpermute_b32 v3, v16, v1
	s_waitcnt lgkmcnt(0)
	v_add_f32_e32 v1, v1, v3
	v_mov_b32_e32 v3, 0
	ds_bpermute_b32 v1, v3, v1
	s_and_saveexec_b32 s1, s2
	s_cbranch_execz .LBB289_279
; %bb.277:
	s_waitcnt lgkmcnt(0)
	v_add_f32_e32 v1, 0x358637bd, v1
	s_mov_b32 s2, 0
	v_div_scale_f32 v3, null, v1, v1, 1.0
	v_div_scale_f32 v6, vcc_lo, 1.0, v1, 1.0
	v_rcp_f32_e32 v4, v3
	v_fma_f32 v5, -v3, v4, 1.0
	v_fmac_f32_e32 v4, v5, v4
	v_mul_f32_e32 v5, v6, v4
	v_fma_f32 v7, -v3, v5, v6
	v_fmac_f32_e32 v5, v7, v4
	v_fma_f32 v3, -v3, v5, v6
	v_div_fmas_f32 v3, v3, v4, v5
	v_div_fixup_f32 v1, v3, v1, 1.0
	v_mov_b32_e32 v3, v0
.LBB289_278:                            ; =>This Inner Loop Header: Depth=1
	ds_read_b32 v4, v2
	v_add_nc_u32_e32 v3, 0x80, v3
	v_cmp_le_i32_e32 vcc_lo, s4, v3
	s_or_b32 s2, vcc_lo, s2
	s_waitcnt lgkmcnt(0)
	v_mul_f32_e32 v4, v1, v4
	ds_write_b32 v2, v4
	v_add_nc_u32_e32 v2, 0x200, v2
	s_andn2_b32 exec_lo, exec_lo, s2
	s_cbranch_execnz .LBB289_278
.LBB289_279:
	s_or_b32 exec_lo, exec_lo, s1
	v_mov_b32_e32 v18, 0
	v_and_b32_e32 v14, 3, v0
	v_mov_b32_e32 v20, 0
	v_mov_b32_e32 v19, 0
	;; [unrolled: 1-line block ×3, first 2 shown]
	s_waitcnt lgkmcnt(0)
	s_barrier
	buffer_gl0_inv
	s_and_saveexec_b32 s1, s0
	s_cbranch_execz .LBB289_547
; %bb.280:
	v_lshlrev_b32_e32 v1, 3, v0
	v_lshlrev_b32_e32 v3, 5, v14
	s_ashr_i32 s0, s18, 31
	s_add_u32 s2, s24, s18
	s_addc_u32 s0, s25, s0
	v_and_b32_e32 v5, 24, v1
	v_and_b32_e32 v1, 0xf8, v1
	v_lshl_or_b32 v7, v11, 7, v3
	v_lshlrev_b32_e32 v6, 5, v11
	s_add_i32 s5, s16, -1
	v_mov_b32_e32 v2, 0
	v_add_co_u32 v3, s2, s2, v1
	v_and_b32_e32 v1, 0x7c, v13
	v_add_co_ci_u32_e64 v4, null, s0, 0, s2
	s_lshl_b64 s[2:3], s[26:27], 2
	v_or3_b32 v21, v6, v5, 7
	s_add_u32 s0, s22, s2
	s_addc_u32 s2, s23, s3
	v_add_co_u32 v5, s0, s0, v1
	v_add_nc_u32_e32 v13, 0x60, v7
	v_add_co_ci_u32_e64 v6, null, s2, 0, s0
	v_mov_b32_e32 v22, 0x80
	v_mov_b32_e32 v23, 0x7f
	;; [unrolled: 1-line block ×9, first 2 shown]
	s_mov_b32 s2, -1
	s_mov_b32 s4, s17
	s_mov_b32 s3, 0xffffff
	;; [unrolled: 1-line block ×3, first 2 shown]
	s_branch .LBB289_282
.LBB289_281:                            ;   in Loop: Header=BB289_282 Depth=1
	s_or_b32 exec_lo, exec_lo, s0
	;;#ASMSTART
	v_pk_mul_f16 v1, v38, v44;

	;;#ASMEND
	;;#ASMSTART
	v_pk_mul_f16 v7, v36, v7;

	;;#ASMEND
	;; [unrolled: 4-line block ×4, first 2 shown]
	;;#ASMSTART
	v_pk_add_f16 v1, v1, v7;

	;;#ASMEND
	;;#ASMSTART
	v_pk_add_f16 v1, v1, v8;

	;;#ASMEND
	;;#ASMSTART
	v_pk_add_f16 v1, v1, v27;

	;;#ASMEND
	v_add_nc_u32_e32 v26, 4, v26
	v_and_b32_e32 v27, 0xffff, v1
	v_lshrrev_b32_e32 v28, 16, v1
	v_add_f32_e32 v1, v9, v10
	;;#ASMSTART
	v_cvt_f32_f16 v9, v27;
	;;#ASMEND
	v_add_f32_e32 v7, v40, v41
	v_add_f32_e32 v8, v37, v39
	;;#ASMSTART
	v_cvt_f32_f16 v10, v28;
	;;#ASMEND
	v_add_f32_e32 v9, v9, v10
	v_cmp_le_i32_e32 vcc_lo, s16, v26
	v_add_co_u32 v5, s0, v5, 16
	v_add_f32_e32 v19, v19, v1
	v_add_f32_e32 v20, v20, v7
	;; [unrolled: 1-line block ×4, first 2 shown]
	v_add_nc_u32_e32 v21, 0x80, v21
	v_add_nc_u32_e32 v13, 0x200, v13
	v_add_co_ci_u32_e64 v6, null, 0, v6, s0
	s_or_b32 s12, vcc_lo, s12
	s_andn2_b32 exec_lo, exec_lo, s12
	s_cbranch_execz .LBB289_546
.LBB289_282:                            ; =>This Inner Loop Header: Depth=1
	global_load_dword v1, v[5:6], off
	ds_read2_b64 v[27:30], v13 offset1:1
	ds_read2_b64 v[40:43], v13 offset0:2 offset1:3
	s_waitcnt lgkmcnt(1)
	;;#ASMSTART
	v_cvt_f16_f32 v34, v27;

	;;#ASMEND
	;;#ASMSTART
	v_cvt_f16_f32 v35, v28;

	;;#ASMEND
	;; [unrolled: 4-line block ×4, first 2 shown]
	s_waitcnt lgkmcnt(0)
	;;#ASMSTART
	v_cvt_f16_f32 v40, v40;

	;;#ASMEND
	;;#ASMSTART
	v_cvt_f16_f32 v37, v41;

	;;#ASMEND
	;;#ASMSTART
	v_cvt_f16_f32 v41, v42;

	;;#ASMEND
	;;#ASMSTART
	v_cvt_f16_f32 v39, v43;

	;;#ASMEND
	v_mov_b32_e32 v29, 0
	s_waitcnt vmcnt(0)
	v_mad_i64_i32 v[7:8], null, v1, s4, v[3:4]
	global_load_dwordx2 v[9:10], v[7:8], off
	global_load_dword v28, v2, s[14:15]
	s_waitcnt vmcnt(1)
	v_cmp_ne_u16_sdwa s13, v9, v2 src0_sel:BYTE_0 src1_sel:DWORD
	s_and_saveexec_b32 s0, s13
	s_cbranch_execz .LBB289_290
; %bb.283:                              ;   in Loop: Header=BB289_282 Depth=1
	v_cmp_ne_u16_sdwa s17, v9, v22 src0_sel:BYTE_0 src1_sel:DWORD
	v_mov_b32_e32 v29, 0x8000
	s_and_saveexec_b32 s13, s17
	s_cbranch_execz .LBB289_289
; %bb.284:                              ;   in Loop: Header=BB289_282 Depth=1
	v_and_b32_e32 v30, 0x7f, v9
	v_mov_b32_e32 v29, 0x7c01
	s_mov_b32 s17, exec_lo
	v_cmpx_ne_u32_e32 0x7f, v30
	s_cbranch_execz .LBB289_288
; %bb.285:                              ;   in Loop: Header=BB289_282 Depth=1
	v_and_b32_e32 v1, 7, v9
	v_lshrrev_b32_e32 v27, 3, v30
	s_mov_b32 s18, exec_lo
	v_cmpx_gt_u32_e32 8, v30
; %bb.286:                              ;   in Loop: Header=BB289_282 Depth=1
	v_ffbh_u32_e32 v1, v1
	v_min_u32_e32 v1, 32, v1
	v_subrev_nc_u32_e32 v27, 28, v1
	v_lshlrev_b64 v[29:30], v27, v[9:10]
	v_sub_nc_u32_e32 v27, 29, v1
	v_and_b32_e32 v1, 7, v29
; %bb.287:                              ;   in Loop: Header=BB289_282 Depth=1
	s_or_b32 exec_lo, exec_lo, s18
	v_lshlrev_b32_e32 v29, 8, v9
	v_lshl_add_u32 v27, v27, 10, 0x2000
	v_lshlrev_b32_e32 v1, 7, v1
	v_and_b32_e32 v29, 0x8000, v29
	v_and_b32_e32 v27, 0xfc00, v27
	v_or3_b32 v29, v29, v27, v1
.LBB289_288:                            ;   in Loop: Header=BB289_282 Depth=1
	s_or_b32 exec_lo, exec_lo, s17
.LBB289_289:                            ;   in Loop: Header=BB289_282 Depth=1
	s_or_b32 exec_lo, exec_lo, s13
.LBB289_290:                            ;   in Loop: Header=BB289_282 Depth=1
	s_or_b32 exec_lo, exec_lo, s0
	v_lshrrev_b16 v1, 8, v9
	v_mov_b32_e32 v27, 0
	v_mov_b32_e32 v30, 0
	s_mov_b32 s0, exec_lo
	v_cmpx_ne_u16_e32 0, v1
	s_cbranch_execz .LBB289_298
; %bb.291:                              ;   in Loop: Header=BB289_282 Depth=1
	v_bfrev_b32_e32 v30, 1
	s_mov_b32 s13, exec_lo
	v_cmpx_ne_u16_e32 0x80, v1
	s_cbranch_execz .LBB289_297
; %bb.292:                              ;   in Loop: Header=BB289_282 Depth=1
	v_and_b32_sdwa v32, v1, v23 dst_sel:DWORD dst_unused:UNUSED_PAD src0_sel:WORD_0 src1_sel:DWORD
	v_mov_b32_e32 v30, 0x7c010000
	s_mov_b32 s17, exec_lo
	v_cmpx_ne_u32_e32 0x7f, v32
	s_cbranch_execz .LBB289_296
; %bb.293:                              ;   in Loop: Header=BB289_282 Depth=1
	v_and_b32_sdwa v30, v1, v24 dst_sel:DWORD dst_unused:UNUSED_PAD src0_sel:WORD_0 src1_sel:DWORD
	v_lshrrev_b32_e32 v31, 3, v32
	s_mov_b32 s18, exec_lo
	v_cmpx_gt_u32_e32 8, v32
; %bb.294:                              ;   in Loop: Header=BB289_282 Depth=1
	v_ffbh_u32_e32 v30, v30
	v_min_u32_e32 v32, 32, v30
	v_subrev_nc_u32_e32 v30, 28, v32
	v_lshlrev_b64 v[30:31], v30, v[1:2]
	v_sub_nc_u32_e32 v31, 29, v32
	v_and_b32_e32 v30, 7, v30
; %bb.295:                              ;   in Loop: Header=BB289_282 Depth=1
	s_or_b32 exec_lo, exec_lo, s18
	v_lshlrev_b32_sdwa v1, v25, v1 dst_sel:DWORD dst_unused:UNUSED_PAD src0_sel:DWORD src1_sel:WORD_0
	v_lshl_add_u32 v31, v31, 10, 0x2000
	v_lshlrev_b32_e32 v30, 23, v30
	v_and_or_b32 v1, 0x8000, v1, v31
	v_lshl_or_b32 v30, v1, 16, v30
.LBB289_296:                            ;   in Loop: Header=BB289_282 Depth=1
	s_or_b32 exec_lo, exec_lo, s17
.LBB289_297:                            ;   in Loop: Header=BB289_282 Depth=1
	s_or_b32 exec_lo, exec_lo, s13
.LBB289_298:                            ;   in Loop: Header=BB289_282 Depth=1
	s_or_b32 exec_lo, exec_lo, s0
	v_lshrrev_b32_e32 v1, 16, v9
	v_cmp_ne_u16_sdwa s13, v1, v2 src0_sel:BYTE_0 src1_sel:DWORD
	s_and_saveexec_b32 s0, s13
	s_cbranch_execz .LBB289_306
; %bb.299:                              ;   in Loop: Header=BB289_282 Depth=1
	v_cmp_ne_u16_sdwa s17, v1, v22 src0_sel:BYTE_0 src1_sel:DWORD
	v_mov_b32_e32 v27, 0x8000
	s_and_saveexec_b32 s13, s17
	s_cbranch_execz .LBB289_305
; %bb.300:                              ;   in Loop: Header=BB289_282 Depth=1
	v_bfe_u32 v32, v9, 16, 7
	v_mov_b32_e32 v27, 0x7c01
	s_mov_b32 s17, exec_lo
	v_cmpx_ne_u32_e32 0x7f, v32
	s_cbranch_execz .LBB289_304
; %bb.301:                              ;   in Loop: Header=BB289_282 Depth=1
	v_and_b32_e32 v27, 7, v1
	v_lshrrev_b32_e32 v31, 3, v32
	s_mov_b32 s18, exec_lo
	v_cmpx_gt_u32_e32 8, v32
; %bb.302:                              ;   in Loop: Header=BB289_282 Depth=1
	v_ffbh_u32_e32 v27, v27
	v_min_u32_e32 v27, 32, v27
	v_subrev_nc_u32_e32 v31, 28, v27
	v_lshlrev_b64 v[32:33], v31, v[1:2]
	v_sub_nc_u32_e32 v31, 29, v27
	v_and_b32_e32 v27, 7, v32
; %bb.303:                              ;   in Loop: Header=BB289_282 Depth=1
	s_or_b32 exec_lo, exec_lo, s18
	v_lshlrev_b32_e32 v1, 8, v1
	v_lshl_add_u32 v31, v31, 10, 0x2000
	v_lshlrev_b32_e32 v27, 7, v27
	v_and_b32_e32 v1, 0x8000, v1
	v_and_b32_e32 v31, 0xfc00, v31
	v_or3_b32 v27, v1, v31, v27
.LBB289_304:                            ;   in Loop: Header=BB289_282 Depth=1
	s_or_b32 exec_lo, exec_lo, s17
.LBB289_305:                            ;   in Loop: Header=BB289_282 Depth=1
	s_or_b32 exec_lo, exec_lo, s13
.LBB289_306:                            ;   in Loop: Header=BB289_282 Depth=1
	s_or_b32 exec_lo, exec_lo, s0
	v_mov_b32_e32 v31, 0
	v_mov_b32_e32 v32, 0
	s_mov_b32 s0, exec_lo
	v_cmpx_lt_u32_e32 0xffffff, v9
	s_cbranch_execz .LBB289_314
; %bb.307:                              ;   in Loop: Header=BB289_282 Depth=1
	v_lshrrev_b32_e32 v1, 24, v9
	v_bfrev_b32_e32 v32, 1
	s_mov_b32 s13, exec_lo
	v_cmpx_ne_u32_e32 0x80, v1
	s_cbranch_execz .LBB289_313
; %bb.308:                              ;   in Loop: Header=BB289_282 Depth=1
	v_and_b32_e32 v42, 0x7f, v1
	v_mov_b32_e32 v32, 0x7c010000
	s_mov_b32 s17, exec_lo
	v_cmpx_ne_u32_e32 0x7f, v42
	s_cbranch_execz .LBB289_312
; %bb.309:                              ;   in Loop: Header=BB289_282 Depth=1
	v_and_b32_e32 v32, 7, v1
	v_lshrrev_b32_e32 v33, 3, v42
	s_mov_b32 s18, exec_lo
	v_cmpx_gt_u32_e32 8, v42
; %bb.310:                              ;   in Loop: Header=BB289_282 Depth=1
	v_ffbh_u32_e32 v32, v32
	v_min_u32_e32 v42, 32, v32
	v_subrev_nc_u32_e32 v32, 28, v42
	v_lshlrev_b64 v[32:33], v32, v[1:2]
	v_sub_nc_u32_e32 v33, 29, v42
	v_and_b32_e32 v32, 7, v32
; %bb.311:                              ;   in Loop: Header=BB289_282 Depth=1
	s_or_b32 exec_lo, exec_lo, s18
	v_lshlrev_b32_e32 v1, 8, v1
	v_lshl_add_u32 v33, v33, 10, 0x2000
	v_lshlrev_b32_e32 v32, 23, v32
	v_and_or_b32 v1, 0x8000, v1, v33
	v_lshl_or_b32 v32, v1, 16, v32
.LBB289_312:                            ;   in Loop: Header=BB289_282 Depth=1
	s_or_b32 exec_lo, exec_lo, s17
.LBB289_313:                            ;   in Loop: Header=BB289_282 Depth=1
	s_or_b32 exec_lo, exec_lo, s13
.LBB289_314:                            ;   in Loop: Header=BB289_282 Depth=1
	s_or_b32 exec_lo, exec_lo, s0
	v_mov_b32_e32 v1, v10
	v_cmp_ne_u16_sdwa s13, v10, v2 src0_sel:BYTE_0 src1_sel:DWORD
	s_and_saveexec_b32 s0, s13
	s_cbranch_execz .LBB289_322
; %bb.315:                              ;   in Loop: Header=BB289_282 Depth=1
	v_cmp_ne_u16_sdwa s17, v10, v22 src0_sel:BYTE_0 src1_sel:DWORD
	v_mov_b32_e32 v31, 0x8000
	s_and_saveexec_b32 s13, s17
	s_cbranch_execz .LBB289_321
; %bb.316:                              ;   in Loop: Header=BB289_282 Depth=1
	v_and_b32_e32 v42, 0x7f, v10
	v_mov_b32_e32 v31, 0x7c01
	s_mov_b32 s17, exec_lo
	v_cmpx_ne_u32_e32 0x7f, v42
	s_cbranch_execz .LBB289_320
; %bb.317:                              ;   in Loop: Header=BB289_282 Depth=1
	v_and_b32_e32 v31, 7, v10
	v_lshrrev_b32_e32 v33, 3, v42
	s_mov_b32 s18, exec_lo
	v_cmpx_gt_u32_e32 8, v42
; %bb.318:                              ;   in Loop: Header=BB289_282 Depth=1
	v_ffbh_u32_e32 v31, v31
	v_min_u32_e32 v31, 32, v31
	v_subrev_nc_u32_e32 v33, 28, v31
	v_lshlrev_b64 v[42:43], v33, v[1:2]
	v_sub_nc_u32_e32 v33, 29, v31
	v_and_b32_e32 v31, 7, v42
; %bb.319:                              ;   in Loop: Header=BB289_282 Depth=1
	s_or_b32 exec_lo, exec_lo, s18
	v_lshlrev_b32_e32 v42, 8, v10
	v_lshl_add_u32 v33, v33, 10, 0x2000
	v_lshlrev_b32_e32 v31, 7, v31
	v_and_b32_e32 v42, 0x8000, v42
	v_and_b32_e32 v33, 0xfc00, v33
	v_or3_b32 v31, v42, v33, v31
.LBB289_320:                            ;   in Loop: Header=BB289_282 Depth=1
	s_or_b32 exec_lo, exec_lo, s17
.LBB289_321:                            ;   in Loop: Header=BB289_282 Depth=1
	s_or_b32 exec_lo, exec_lo, s13
.LBB289_322:                            ;   in Loop: Header=BB289_282 Depth=1
	s_or_b32 exec_lo, exec_lo, s0
	v_lshrrev_b16 v1, 8, v1
	v_mov_b32_e32 v42, 0
	v_mov_b32_e32 v33, 0
	s_mov_b32 s0, exec_lo
	v_cmpx_ne_u16_e32 0, v1
	s_cbranch_execz .LBB289_330
; %bb.323:                              ;   in Loop: Header=BB289_282 Depth=1
	v_bfrev_b32_e32 v33, 1
	s_mov_b32 s13, exec_lo
	v_cmpx_ne_u16_e32 0x80, v1
	s_cbranch_execz .LBB289_329
; %bb.324:                              ;   in Loop: Header=BB289_282 Depth=1
	v_and_b32_sdwa v44, v1, v23 dst_sel:DWORD dst_unused:UNUSED_PAD src0_sel:WORD_0 src1_sel:DWORD
	v_mov_b32_e32 v33, 0x7c010000
	s_mov_b32 s17, exec_lo
	v_cmpx_ne_u32_e32 0x7f, v44
	s_cbranch_execz .LBB289_328
; %bb.325:                              ;   in Loop: Header=BB289_282 Depth=1
	v_and_b32_sdwa v33, v1, v24 dst_sel:DWORD dst_unused:UNUSED_PAD src0_sel:WORD_0 src1_sel:DWORD
	v_lshrrev_b32_e32 v43, 3, v44
	s_mov_b32 s18, exec_lo
	v_cmpx_gt_u32_e32 8, v44
; %bb.326:                              ;   in Loop: Header=BB289_282 Depth=1
	v_ffbh_u32_e32 v33, v33
	v_min_u32_e32 v33, 32, v33
	v_subrev_nc_u32_e32 v43, 28, v33
	v_lshlrev_b64 v[44:45], v43, v[1:2]
	v_sub_nc_u32_e32 v43, 29, v33
	v_and_b32_e32 v33, 7, v44
; %bb.327:                              ;   in Loop: Header=BB289_282 Depth=1
	s_or_b32 exec_lo, exec_lo, s18
	v_lshlrev_b32_sdwa v1, v25, v1 dst_sel:DWORD dst_unused:UNUSED_PAD src0_sel:DWORD src1_sel:WORD_0
	v_lshl_add_u32 v43, v43, 10, 0x2000
	v_lshlrev_b32_e32 v33, 23, v33
	v_and_or_b32 v1, 0x8000, v1, v43
	v_lshl_or_b32 v33, v1, 16, v33
.LBB289_328:                            ;   in Loop: Header=BB289_282 Depth=1
	s_or_b32 exec_lo, exec_lo, s17
.LBB289_329:                            ;   in Loop: Header=BB289_282 Depth=1
	s_or_b32 exec_lo, exec_lo, s13
.LBB289_330:                            ;   in Loop: Header=BB289_282 Depth=1
	s_or_b32 exec_lo, exec_lo, s0
	v_lshrrev_b32_e32 v1, 16, v10
	v_cmp_ne_u16_sdwa s13, v1, v2 src0_sel:BYTE_0 src1_sel:DWORD
	s_and_saveexec_b32 s0, s13
	s_cbranch_execz .LBB289_338
; %bb.331:                              ;   in Loop: Header=BB289_282 Depth=1
	v_cmp_ne_u16_sdwa s17, v1, v22 src0_sel:BYTE_0 src1_sel:DWORD
	v_mov_b32_e32 v42, 0x8000
	s_and_saveexec_b32 s13, s17
	s_cbranch_execz .LBB289_337
; %bb.332:                              ;   in Loop: Header=BB289_282 Depth=1
	v_bfe_u32 v44, v10, 16, 7
	v_mov_b32_e32 v42, 0x7c01
	s_mov_b32 s17, exec_lo
	v_cmpx_ne_u32_e32 0x7f, v44
	s_cbranch_execz .LBB289_336
; %bb.333:                              ;   in Loop: Header=BB289_282 Depth=1
	v_and_b32_e32 v42, 7, v1
	v_lshrrev_b32_e32 v43, 3, v44
	s_mov_b32 s18, exec_lo
	v_cmpx_gt_u32_e32 8, v44
; %bb.334:                              ;   in Loop: Header=BB289_282 Depth=1
	v_ffbh_u32_e32 v42, v42
	v_min_u32_e32 v44, 32, v42
	v_subrev_nc_u32_e32 v42, 28, v44
	v_lshlrev_b64 v[42:43], v42, v[1:2]
	v_sub_nc_u32_e32 v43, 29, v44
	v_and_b32_e32 v42, 7, v42
; %bb.335:                              ;   in Loop: Header=BB289_282 Depth=1
	s_or_b32 exec_lo, exec_lo, s18
	v_lshlrev_b32_e32 v1, 8, v1
	v_lshl_add_u32 v43, v43, 10, 0x2000
	v_lshlrev_b32_e32 v42, 7, v42
	v_and_b32_e32 v1, 0x8000, v1
	v_and_b32_e32 v43, 0xfc00, v43
	v_or3_b32 v42, v1, v43, v42
.LBB289_336:                            ;   in Loop: Header=BB289_282 Depth=1
	s_or_b32 exec_lo, exec_lo, s17
.LBB289_337:                            ;   in Loop: Header=BB289_282 Depth=1
	s_or_b32 exec_lo, exec_lo, s13
.LBB289_338:                            ;   in Loop: Header=BB289_282 Depth=1
	s_or_b32 exec_lo, exec_lo, s0
	v_cmp_lt_u64_e32 vcc_lo, s[2:3], v[9:10]
	v_mov_b32_e32 v9, 0
	s_and_saveexec_b32 s0, vcc_lo
	s_cbranch_execz .LBB289_346
; %bb.339:                              ;   in Loop: Header=BB289_282 Depth=1
	v_lshrrev_b32_e32 v1, 24, v10
	v_bfrev_b32_e32 v9, 1
	s_mov_b32 s13, exec_lo
	v_cmpx_ne_u32_e32 0x80, v1
	s_cbranch_execz .LBB289_345
; %bb.340:                              ;   in Loop: Header=BB289_282 Depth=1
	v_and_b32_e32 v43, 0x7f, v1
	v_mov_b32_e32 v9, 0x7c010000
	s_mov_b32 s17, exec_lo
	v_cmpx_ne_u32_e32 0x7f, v43
	s_cbranch_execz .LBB289_344
; %bb.341:                              ;   in Loop: Header=BB289_282 Depth=1
	v_and_b32_e32 v9, 7, v1
	v_lshrrev_b32_e32 v10, 3, v43
	s_mov_b32 s18, exec_lo
	v_cmpx_gt_u32_e32 8, v43
; %bb.342:                              ;   in Loop: Header=BB289_282 Depth=1
	v_ffbh_u32_e32 v9, v9
	v_min_u32_e32 v43, 32, v9
	v_subrev_nc_u32_e32 v9, 28, v43
	v_lshlrev_b64 v[9:10], v9, v[1:2]
	v_sub_nc_u32_e32 v10, 29, v43
	v_and_b32_e32 v9, 7, v9
; %bb.343:                              ;   in Loop: Header=BB289_282 Depth=1
	s_or_b32 exec_lo, exec_lo, s18
	v_lshlrev_b32_e32 v1, 8, v1
	v_lshl_add_u32 v10, v10, 10, 0x2000
	v_lshlrev_b32_e32 v9, 23, v9
	v_and_or_b32 v1, 0x8000, v1, v10
	v_lshl_or_b32 v9, v1, 16, v9
.LBB289_344:                            ;   in Loop: Header=BB289_282 Depth=1
	s_or_b32 exec_lo, exec_lo, s17
.LBB289_345:                            ;   in Loop: Header=BB289_282 Depth=1
	s_or_b32 exec_lo, exec_lo, s13
.LBB289_346:                            ;   in Loop: Header=BB289_282 Depth=1
	s_or_b32 exec_lo, exec_lo, s0
	v_or_b32_e32 v1, v32, v27
	s_waitcnt vmcnt(0)
	v_fma_mixlo_f16 v10, v28, v32, 0 op_sel:[0,1,0] op_sel_hi:[0,1,0]
	v_or_b32_e32 v29, v30, v29
	v_fma_mixlo_f16 v30, v28, v30, 0 op_sel:[0,1,0] op_sel_hi:[0,1,0]
	v_or_b32_e32 v31, v33, v31
	v_fma_mixlo_f16 v1, v28, v1, 0 op_sel_hi:[0,1,0]
	v_or_b32_e32 v32, v9, v42
	v_fma_mixlo_f16 v9, v28, v9, 0 op_sel:[0,1,0] op_sel_hi:[0,1,0]
	v_lshlrev_b32_e32 v48, 16, v30
	v_fma_mixlo_f16 v30, v28, v31, 0 op_sel_hi:[0,1,0]
	v_and_b32_e32 v45, 0xffff, v1
	v_fma_mixlo_f16 v1, v28, v29, 0 op_sel_hi:[0,1,0]
	v_fma_mixlo_f16 v29, v28, v33, 0 op_sel:[0,1,0] op_sel_hi:[0,1,0]
	v_fma_mixlo_f16 v28, v28, v32, 0 op_sel_hi:[0,1,0]
	v_lshlrev_b32_e32 v10, 16, v10
	v_and_b32_e32 v49, 0xffff, v30
	v_and_b32_e32 v50, 0xffff, v1
	v_lshlrev_b32_e32 v46, 16, v29
	v_lshlrev_b32_e32 v43, 16, v9
	v_and_b32_e32 v47, 0xffff, v28
	v_add_nc_u32_e32 v27, -7, v21
	v_cmp_eq_u32_e32 vcc_lo, s5, v26
	v_or_b32_e32 v1, v10, v45
	v_or_b32_e32 v9, v48, v50
	v_or_b32_e32 v42, v46, v49
	v_or_b32_e32 v44, v43, v47
	v_add_nc_u32_e32 v33, -6, v21
	v_add_nc_u32_e32 v32, -5, v21
	;; [unrolled: 1-line block ×6, first 2 shown]
	s_and_saveexec_b32 s13, vcc_lo
	s_cbranch_execz .LBB289_348
; %bb.347:                              ;   in Loop: Header=BB289_282 Depth=1
	v_cmp_gt_i32_e64 s0, s11, v27
	v_cndmask_b32_e64 v1, 0, v50, s0
	v_cmp_gt_i32_e64 s0, s11, v33
	v_cndmask_b32_e64 v9, 0, v48, s0
	v_cmp_gt_i32_e64 s0, s11, v32
	v_or_b32_e32 v9, v9, v1
	v_cndmask_b32_e64 v42, 0, v45, s0
	v_cmp_gt_i32_e64 s0, s11, v31
	v_cndmask_b32_e64 v10, 0, v10, s0
	v_cmp_gt_i32_e64 s0, s11, v30
	v_or_b32_e32 v1, v10, v42
	;; [unrolled: 5-line block ×3, first 2 shown]
	v_cndmask_b32_e64 v46, 0, v47, s0
	v_cmp_gt_i32_e64 s0, s11, v21
	v_cndmask_b32_e64 v43, 0, v43, s0
	v_or_b32_e32 v44, v43, v46
.LBB289_348:                            ;   in Loop: Header=BB289_282 Depth=1
	s_or_b32 exec_lo, exec_lo, s13
	v_and_b32_e32 v10, 0xffff, v34
	v_and_b32_e32 v34, 0xffff, v38
	;; [unrolled: 1-line block ×4, first 2 shown]
	v_lshl_or_b32 v38, v35, 16, v10
	v_lshl_or_b32 v36, v36, 16, v34
	;;#ASMSTART
	v_pk_mul_f16 v9, v38, v9;

	;;#ASMEND
	;;#ASMSTART
	v_pk_mul_f16 v1, v36, v1;

	;;#ASMEND
	v_lshl_or_b32 v35, v37, 16, v40
	v_lshl_or_b32 v34, v39, 16, v41
	;;#ASMSTART
	v_pk_mul_f16 v10, v35, v42;

	;;#ASMEND
	;;#ASMSTART
	v_pk_mul_f16 v37, v34, v44;

	;;#ASMEND
	;;#ASMSTART
	v_pk_add_f16 v1, v9, v1;

	;;#ASMEND
	;;#ASMSTART
	v_pk_add_f16 v1, v1, v10;
	;; [unrolled: 4-line block ×3, first 2 shown]

	;;#ASMEND
	v_and_b32_e32 v9, 0xffff, v1
	v_lshrrev_b32_e32 v1, 16, v1
	;;#ASMSTART
	v_cvt_f32_f16 v37, v9;
	;;#ASMEND
	;;#ASMSTART
	v_cvt_f32_f16 v39, v1;
	;;#ASMEND
	global_load_dwordx2 v[9:10], v[7:8], off offset:256
	v_mov_b32_e32 v41, 0
	v_mov_b32_e32 v42, 0
	global_load_dword v40, v41, s[14:15]
	s_waitcnt vmcnt(1)
	v_cmp_ne_u16_sdwa s0, v9, v2 src0_sel:BYTE_0 src1_sel:DWORD
	s_and_saveexec_b32 s13, s0
	s_cbranch_execz .LBB289_356
; %bb.349:                              ;   in Loop: Header=BB289_282 Depth=1
	v_cmp_ne_u16_sdwa s0, v9, v22 src0_sel:BYTE_0 src1_sel:DWORD
	v_mov_b32_e32 v42, 0x8000
	s_and_saveexec_b32 s17, s0
	s_cbranch_execz .LBB289_355
; %bb.350:                              ;   in Loop: Header=BB289_282 Depth=1
	v_and_b32_e32 v43, 0x7f, v9
	v_mov_b32_e32 v42, 0x7c01
	s_mov_b32 s18, exec_lo
	v_cmpx_ne_u32_e32 0x7f, v43
	s_cbranch_execz .LBB289_354
; %bb.351:                              ;   in Loop: Header=BB289_282 Depth=1
	v_and_b32_e32 v1, 7, v9
	v_lshrrev_b32_e32 v42, 3, v43
	s_mov_b32 s19, exec_lo
	v_cmpx_gt_u32_e32 8, v43
; %bb.352:                              ;   in Loop: Header=BB289_282 Depth=1
	v_ffbh_u32_e32 v1, v1
	v_min_u32_e32 v1, 32, v1
	v_subrev_nc_u32_e32 v42, 28, v1
	v_lshlrev_b64 v[43:44], v42, v[9:10]
	v_sub_nc_u32_e32 v42, 29, v1
	v_and_b32_e32 v1, 7, v43
; %bb.353:                              ;   in Loop: Header=BB289_282 Depth=1
	s_or_b32 exec_lo, exec_lo, s19
	v_lshlrev_b32_e32 v43, 8, v9
	v_lshl_add_u32 v42, v42, 10, 0x2000
	v_lshlrev_b32_e32 v1, 7, v1
	v_and_b32_e32 v43, 0x8000, v43
	v_and_b32_e32 v42, 0xfc00, v42
	v_or3_b32 v42, v43, v42, v1
.LBB289_354:                            ;   in Loop: Header=BB289_282 Depth=1
	s_or_b32 exec_lo, exec_lo, s18
.LBB289_355:                            ;   in Loop: Header=BB289_282 Depth=1
	s_or_b32 exec_lo, exec_lo, s17
.LBB289_356:                            ;   in Loop: Header=BB289_282 Depth=1
	s_or_b32 exec_lo, exec_lo, s13
	v_lshrrev_b16 v1, 8, v9
	s_mov_b32 s13, exec_lo
	v_cmpx_ne_u16_e32 0, v1
	s_cbranch_execz .LBB289_364
; %bb.357:                              ;   in Loop: Header=BB289_282 Depth=1
	v_bfrev_b32_e32 v41, 1
	s_mov_b32 s17, exec_lo
	v_cmpx_ne_u16_e32 0x80, v1
	s_cbranch_execz .LBB289_363
; %bb.358:                              ;   in Loop: Header=BB289_282 Depth=1
	v_and_b32_sdwa v44, v1, v23 dst_sel:DWORD dst_unused:UNUSED_PAD src0_sel:WORD_0 src1_sel:DWORD
	v_mov_b32_e32 v41, 0x7c010000
	s_mov_b32 s18, exec_lo
	v_cmpx_ne_u32_e32 0x7f, v44
	s_cbranch_execz .LBB289_362
; %bb.359:                              ;   in Loop: Header=BB289_282 Depth=1
	v_and_b32_sdwa v41, v1, v24 dst_sel:DWORD dst_unused:UNUSED_PAD src0_sel:WORD_0 src1_sel:DWORD
	v_lshrrev_b32_e32 v43, 3, v44
	s_mov_b32 s19, exec_lo
	v_cmpx_gt_u32_e32 8, v44
; %bb.360:                              ;   in Loop: Header=BB289_282 Depth=1
	v_ffbh_u32_e32 v41, v41
	v_min_u32_e32 v41, 32, v41
	v_subrev_nc_u32_e32 v43, 28, v41
	v_lshlrev_b64 v[44:45], v43, v[1:2]
	v_sub_nc_u32_e32 v43, 29, v41
	v_and_b32_e32 v41, 7, v44
; %bb.361:                              ;   in Loop: Header=BB289_282 Depth=1
	s_or_b32 exec_lo, exec_lo, s19
	v_lshlrev_b32_sdwa v1, v25, v1 dst_sel:DWORD dst_unused:UNUSED_PAD src0_sel:DWORD src1_sel:WORD_0
	v_lshl_add_u32 v43, v43, 10, 0x2000
	v_lshlrev_b32_e32 v41, 23, v41
	v_and_or_b32 v1, 0x8000, v1, v43
	v_lshl_or_b32 v41, v1, 16, v41
.LBB289_362:                            ;   in Loop: Header=BB289_282 Depth=1
	s_or_b32 exec_lo, exec_lo, s18
.LBB289_363:                            ;   in Loop: Header=BB289_282 Depth=1
	s_or_b32 exec_lo, exec_lo, s17
.LBB289_364:                            ;   in Loop: Header=BB289_282 Depth=1
	s_or_b32 exec_lo, exec_lo, s13
	v_lshrrev_b32_e32 v1, 16, v9
	v_mov_b32_e32 v43, 0
	v_mov_b32_e32 v44, 0
	v_cmp_ne_u16_sdwa s0, v1, v2 src0_sel:BYTE_0 src1_sel:DWORD
	s_and_saveexec_b32 s13, s0
	s_cbranch_execz .LBB289_372
; %bb.365:                              ;   in Loop: Header=BB289_282 Depth=1
	v_cmp_ne_u16_sdwa s0, v1, v22 src0_sel:BYTE_0 src1_sel:DWORD
	v_mov_b32_e32 v44, 0x8000
	s_and_saveexec_b32 s17, s0
	s_cbranch_execz .LBB289_371
; %bb.366:                              ;   in Loop: Header=BB289_282 Depth=1
	v_bfe_u32 v46, v9, 16, 7
	v_mov_b32_e32 v44, 0x7c01
	s_mov_b32 s18, exec_lo
	v_cmpx_ne_u32_e32 0x7f, v46
	s_cbranch_execz .LBB289_370
; %bb.367:                              ;   in Loop: Header=BB289_282 Depth=1
	v_and_b32_e32 v44, 7, v1
	v_lshrrev_b32_e32 v45, 3, v46
	s_mov_b32 s19, exec_lo
	v_cmpx_gt_u32_e32 8, v46
; %bb.368:                              ;   in Loop: Header=BB289_282 Depth=1
	v_ffbh_u32_e32 v44, v44
	v_min_u32_e32 v46, 32, v44
	v_subrev_nc_u32_e32 v44, 28, v46
	v_lshlrev_b64 v[44:45], v44, v[1:2]
	v_sub_nc_u32_e32 v45, 29, v46
	v_and_b32_e32 v44, 7, v44
; %bb.369:                              ;   in Loop: Header=BB289_282 Depth=1
	s_or_b32 exec_lo, exec_lo, s19
	v_lshlrev_b32_e32 v1, 8, v1
	v_lshl_add_u32 v45, v45, 10, 0x2000
	v_lshlrev_b32_e32 v44, 7, v44
	v_and_b32_e32 v1, 0x8000, v1
	v_and_b32_e32 v45, 0xfc00, v45
	v_or3_b32 v44, v1, v45, v44
.LBB289_370:                            ;   in Loop: Header=BB289_282 Depth=1
	s_or_b32 exec_lo, exec_lo, s18
.LBB289_371:                            ;   in Loop: Header=BB289_282 Depth=1
	s_or_b32 exec_lo, exec_lo, s17
.LBB289_372:                            ;   in Loop: Header=BB289_282 Depth=1
	s_or_b32 exec_lo, exec_lo, s13
	s_mov_b32 s13, exec_lo
	v_cmpx_lt_u32_e32 0xffffff, v9
	s_cbranch_execz .LBB289_380
; %bb.373:                              ;   in Loop: Header=BB289_282 Depth=1
	v_lshrrev_b32_e32 v1, 24, v9
	v_bfrev_b32_e32 v43, 1
	s_mov_b32 s17, exec_lo
	v_cmpx_ne_u32_e32 0x80, v1
	s_cbranch_execz .LBB289_379
; %bb.374:                              ;   in Loop: Header=BB289_282 Depth=1
	v_and_b32_e32 v46, 0x7f, v1
	v_mov_b32_e32 v43, 0x7c010000
	s_mov_b32 s18, exec_lo
	v_cmpx_ne_u32_e32 0x7f, v46
	s_cbranch_execz .LBB289_378
; %bb.375:                              ;   in Loop: Header=BB289_282 Depth=1
	v_and_b32_e32 v43, 7, v1
	v_lshrrev_b32_e32 v45, 3, v46
	s_mov_b32 s19, exec_lo
	v_cmpx_gt_u32_e32 8, v46
; %bb.376:                              ;   in Loop: Header=BB289_282 Depth=1
	v_ffbh_u32_e32 v43, v43
	v_min_u32_e32 v43, 32, v43
	v_subrev_nc_u32_e32 v45, 28, v43
	v_lshlrev_b64 v[46:47], v45, v[1:2]
	v_sub_nc_u32_e32 v45, 29, v43
	v_and_b32_e32 v43, 7, v46
; %bb.377:                              ;   in Loop: Header=BB289_282 Depth=1
	s_or_b32 exec_lo, exec_lo, s19
	v_lshlrev_b32_e32 v1, 8, v1
	v_lshl_add_u32 v45, v45, 10, 0x2000
	v_lshlrev_b32_e32 v43, 23, v43
	v_and_or_b32 v1, 0x8000, v1, v45
	v_lshl_or_b32 v43, v1, 16, v43
.LBB289_378:                            ;   in Loop: Header=BB289_282 Depth=1
	s_or_b32 exec_lo, exec_lo, s18
.LBB289_379:                            ;   in Loop: Header=BB289_282 Depth=1
	s_or_b32 exec_lo, exec_lo, s17
.LBB289_380:                            ;   in Loop: Header=BB289_282 Depth=1
	s_or_b32 exec_lo, exec_lo, s13
	v_mov_b32_e32 v1, v10
	v_cmp_ne_u16_sdwa s0, v10, v2 src0_sel:BYTE_0 src1_sel:DWORD
	v_mov_b32_e32 v45, 0
	v_mov_b32_e32 v46, 0
	s_and_saveexec_b32 s13, s0
	s_cbranch_execz .LBB289_388
; %bb.381:                              ;   in Loop: Header=BB289_282 Depth=1
	v_cmp_ne_u16_sdwa s0, v10, v22 src0_sel:BYTE_0 src1_sel:DWORD
	v_mov_b32_e32 v46, 0x8000
	s_and_saveexec_b32 s17, s0
	s_cbranch_execz .LBB289_387
; %bb.382:                              ;   in Loop: Header=BB289_282 Depth=1
	v_and_b32_e32 v48, 0x7f, v10
	v_mov_b32_e32 v46, 0x7c01
	s_mov_b32 s18, exec_lo
	v_cmpx_ne_u32_e32 0x7f, v48
	s_cbranch_execz .LBB289_386
; %bb.383:                              ;   in Loop: Header=BB289_282 Depth=1
	v_and_b32_e32 v46, 7, v10
	v_lshrrev_b32_e32 v47, 3, v48
	s_mov_b32 s19, exec_lo
	v_cmpx_gt_u32_e32 8, v48
; %bb.384:                              ;   in Loop: Header=BB289_282 Depth=1
	v_ffbh_u32_e32 v46, v46
	v_min_u32_e32 v48, 32, v46
	v_subrev_nc_u32_e32 v46, 28, v48
	v_lshlrev_b64 v[46:47], v46, v[1:2]
	v_sub_nc_u32_e32 v47, 29, v48
	v_and_b32_e32 v46, 7, v46
; %bb.385:                              ;   in Loop: Header=BB289_282 Depth=1
	s_or_b32 exec_lo, exec_lo, s19
	v_lshlrev_b32_e32 v48, 8, v10
	v_lshl_add_u32 v47, v47, 10, 0x2000
	v_lshlrev_b32_e32 v46, 7, v46
	v_and_b32_e32 v48, 0x8000, v48
	v_and_b32_e32 v47, 0xfc00, v47
	v_or3_b32 v46, v48, v47, v46
.LBB289_386:                            ;   in Loop: Header=BB289_282 Depth=1
	s_or_b32 exec_lo, exec_lo, s18
.LBB289_387:                            ;   in Loop: Header=BB289_282 Depth=1
	s_or_b32 exec_lo, exec_lo, s17
.LBB289_388:                            ;   in Loop: Header=BB289_282 Depth=1
	s_or_b32 exec_lo, exec_lo, s13
	v_lshrrev_b16 v1, 8, v1
	v_mov_b32_e32 v47, 0
	s_mov_b32 s13, exec_lo
	v_cmpx_ne_u16_e32 0, v1
	s_cbranch_execz .LBB289_396
; %bb.389:                              ;   in Loop: Header=BB289_282 Depth=1
	v_bfrev_b32_e32 v47, 1
	s_mov_b32 s17, exec_lo
	v_cmpx_ne_u16_e32 0x80, v1
	s_cbranch_execz .LBB289_395
; %bb.390:                              ;   in Loop: Header=BB289_282 Depth=1
	v_and_b32_sdwa v49, v1, v23 dst_sel:DWORD dst_unused:UNUSED_PAD src0_sel:WORD_0 src1_sel:DWORD
	v_mov_b32_e32 v47, 0x7c010000
	s_mov_b32 s18, exec_lo
	v_cmpx_ne_u32_e32 0x7f, v49
	s_cbranch_execz .LBB289_394
; %bb.391:                              ;   in Loop: Header=BB289_282 Depth=1
	v_and_b32_sdwa v47, v1, v24 dst_sel:DWORD dst_unused:UNUSED_PAD src0_sel:WORD_0 src1_sel:DWORD
	v_lshrrev_b32_e32 v48, 3, v49
	s_mov_b32 s19, exec_lo
	v_cmpx_gt_u32_e32 8, v49
; %bb.392:                              ;   in Loop: Header=BB289_282 Depth=1
	v_ffbh_u32_e32 v47, v47
	v_min_u32_e32 v49, 32, v47
	v_subrev_nc_u32_e32 v47, 28, v49
	v_lshlrev_b64 v[47:48], v47, v[1:2]
	v_sub_nc_u32_e32 v48, 29, v49
	v_and_b32_e32 v47, 7, v47
; %bb.393:                              ;   in Loop: Header=BB289_282 Depth=1
	s_or_b32 exec_lo, exec_lo, s19
	v_lshlrev_b32_sdwa v1, v25, v1 dst_sel:DWORD dst_unused:UNUSED_PAD src0_sel:DWORD src1_sel:WORD_0
	v_lshl_add_u32 v48, v48, 10, 0x2000
	v_lshlrev_b32_e32 v47, 23, v47
	v_and_or_b32 v1, 0x8000, v1, v48
	v_lshl_or_b32 v47, v1, 16, v47
.LBB289_394:                            ;   in Loop: Header=BB289_282 Depth=1
	s_or_b32 exec_lo, exec_lo, s18
.LBB289_395:                            ;   in Loop: Header=BB289_282 Depth=1
	s_or_b32 exec_lo, exec_lo, s17
.LBB289_396:                            ;   in Loop: Header=BB289_282 Depth=1
	s_or_b32 exec_lo, exec_lo, s13
	v_lshrrev_b32_e32 v1, 16, v10
	v_cmp_ne_u16_sdwa s0, v1, v2 src0_sel:BYTE_0 src1_sel:DWORD
	s_and_saveexec_b32 s13, s0
	s_cbranch_execz .LBB289_404
; %bb.397:                              ;   in Loop: Header=BB289_282 Depth=1
	v_cmp_ne_u16_sdwa s0, v1, v22 src0_sel:BYTE_0 src1_sel:DWORD
	v_mov_b32_e32 v45, 0x8000
	s_and_saveexec_b32 s17, s0
	s_cbranch_execz .LBB289_403
; %bb.398:                              ;   in Loop: Header=BB289_282 Depth=1
	v_bfe_u32 v49, v10, 16, 7
	v_mov_b32_e32 v45, 0x7c01
	s_mov_b32 s18, exec_lo
	v_cmpx_ne_u32_e32 0x7f, v49
	s_cbranch_execz .LBB289_402
; %bb.399:                              ;   in Loop: Header=BB289_282 Depth=1
	v_and_b32_e32 v45, 7, v1
	v_lshrrev_b32_e32 v48, 3, v49
	s_mov_b32 s19, exec_lo
	v_cmpx_gt_u32_e32 8, v49
; %bb.400:                              ;   in Loop: Header=BB289_282 Depth=1
	v_ffbh_u32_e32 v45, v45
	v_min_u32_e32 v45, 32, v45
	v_subrev_nc_u32_e32 v48, 28, v45
	v_lshlrev_b64 v[49:50], v48, v[1:2]
	v_sub_nc_u32_e32 v48, 29, v45
	v_and_b32_e32 v45, 7, v49
; %bb.401:                              ;   in Loop: Header=BB289_282 Depth=1
	s_or_b32 exec_lo, exec_lo, s19
	v_lshlrev_b32_e32 v1, 8, v1
	v_lshl_add_u32 v48, v48, 10, 0x2000
	v_lshlrev_b32_e32 v45, 7, v45
	v_and_b32_e32 v1, 0x8000, v1
	v_and_b32_e32 v48, 0xfc00, v48
	v_or3_b32 v45, v1, v48, v45
.LBB289_402:                            ;   in Loop: Header=BB289_282 Depth=1
	s_or_b32 exec_lo, exec_lo, s18
.LBB289_403:                            ;   in Loop: Header=BB289_282 Depth=1
	s_or_b32 exec_lo, exec_lo, s17
.LBB289_404:                            ;   in Loop: Header=BB289_282 Depth=1
	s_or_b32 exec_lo, exec_lo, s13
	v_cmp_lt_u64_e64 s0, s[2:3], v[9:10]
	v_mov_b32_e32 v9, 0
	s_and_saveexec_b32 s13, s0
	s_cbranch_execz .LBB289_412
; %bb.405:                              ;   in Loop: Header=BB289_282 Depth=1
	v_lshrrev_b32_e32 v1, 24, v10
	v_bfrev_b32_e32 v9, 1
	s_mov_b32 s17, exec_lo
	v_cmpx_ne_u32_e32 0x80, v1
	s_cbranch_execz .LBB289_411
; %bb.406:                              ;   in Loop: Header=BB289_282 Depth=1
	v_and_b32_e32 v48, 0x7f, v1
	v_mov_b32_e32 v9, 0x7c010000
	s_mov_b32 s18, exec_lo
	v_cmpx_ne_u32_e32 0x7f, v48
	s_cbranch_execz .LBB289_410
; %bb.407:                              ;   in Loop: Header=BB289_282 Depth=1
	v_and_b32_e32 v9, 7, v1
	v_lshrrev_b32_e32 v10, 3, v48
	s_mov_b32 s19, exec_lo
	v_cmpx_gt_u32_e32 8, v48
; %bb.408:                              ;   in Loop: Header=BB289_282 Depth=1
	v_ffbh_u32_e32 v9, v9
	v_min_u32_e32 v48, 32, v9
	v_subrev_nc_u32_e32 v9, 28, v48
	v_lshlrev_b64 v[9:10], v9, v[1:2]
	v_sub_nc_u32_e32 v10, 29, v48
	v_and_b32_e32 v9, 7, v9
; %bb.409:                              ;   in Loop: Header=BB289_282 Depth=1
	s_or_b32 exec_lo, exec_lo, s19
	v_lshlrev_b32_e32 v1, 8, v1
	v_lshl_add_u32 v10, v10, 10, 0x2000
	v_lshlrev_b32_e32 v9, 23, v9
	v_and_or_b32 v1, 0x8000, v1, v10
	v_lshl_or_b32 v9, v1, 16, v9
.LBB289_410:                            ;   in Loop: Header=BB289_282 Depth=1
	s_or_b32 exec_lo, exec_lo, s18
.LBB289_411:                            ;   in Loop: Header=BB289_282 Depth=1
	s_or_b32 exec_lo, exec_lo, s17
.LBB289_412:                            ;   in Loop: Header=BB289_282 Depth=1
	s_or_b32 exec_lo, exec_lo, s13
	v_or_b32_e32 v1, v43, v44
	s_waitcnt vmcnt(0)
	v_fma_mixlo_f16 v10, v40, v43, 0 op_sel:[0,1,0] op_sel_hi:[0,1,0]
	v_or_b32_e32 v43, v41, v42
	v_fma_mixlo_f16 v41, v40, v41, 0 op_sel:[0,1,0] op_sel_hi:[0,1,0]
	v_or_b32_e32 v44, v47, v46
	v_or_b32_e32 v45, v9, v45
	v_fma_mixlo_f16 v46, v40, v1, 0 op_sel_hi:[0,1,0]
	v_fma_mixlo_f16 v9, v40, v9, 0 op_sel:[0,1,0] op_sel_hi:[0,1,0]
	v_lshlrev_b32_e32 v42, 16, v41
	v_fma_mixlo_f16 v41, v40, v43, 0 op_sel_hi:[0,1,0]
	v_fma_mixlo_f16 v43, v40, v47, 0 op_sel:[0,1,0] op_sel_hi:[0,1,0]
	v_fma_mixlo_f16 v44, v40, v44, 0 op_sel_hi:[0,1,0]
	v_fma_mixlo_f16 v45, v40, v45, 0 op_sel_hi:[0,1,0]
	v_lshlrev_b32_e32 v1, 16, v10
	v_and_b32_e32 v10, 0xffff, v46
	v_and_b32_e32 v48, 0xffff, v41
	v_lshlrev_b32_e32 v40, 16, v43
	v_and_b32_e32 v44, 0xffff, v44
	v_lshlrev_b32_e32 v9, 16, v9
	v_and_b32_e32 v41, 0xffff, v45
	v_or_b32_e32 v43, v1, v10
	v_or_b32_e32 v47, v42, v48
	;; [unrolled: 1-line block ×4, first 2 shown]
	s_and_saveexec_b32 s13, vcc_lo
	s_cbranch_execz .LBB289_414
; %bb.413:                              ;   in Loop: Header=BB289_282 Depth=1
	v_cmp_gt_i32_e64 s0, s11, v27
	v_cndmask_b32_e64 v43, 0, v48, s0
	v_cmp_gt_i32_e64 s0, s11, v33
	v_cndmask_b32_e64 v42, 0, v42, s0
	v_cmp_gt_i32_e64 s0, s11, v32
	v_or_b32_e32 v47, v42, v43
	v_cndmask_b32_e64 v10, 0, v10, s0
	v_cmp_gt_i32_e64 s0, s11, v31
	v_cndmask_b32_e64 v1, 0, v1, s0
	v_cmp_gt_i32_e64 s0, s11, v30
	v_or_b32_e32 v43, v1, v10
	;; [unrolled: 5-line block ×3, first 2 shown]
	v_cndmask_b32_e64 v41, 0, v41, s0
	v_cmp_gt_i32_e64 s0, s11, v21
	v_cndmask_b32_e64 v9, 0, v9, s0
	v_or_b32_e32 v45, v9, v41
.LBB289_414:                            ;   in Loop: Header=BB289_282 Depth=1
	s_or_b32 exec_lo, exec_lo, s13
	;;#ASMSTART
	v_pk_mul_f16 v1, v38, v47;

	;;#ASMEND
	;;#ASMSTART
	v_pk_mul_f16 v9, v36, v43;

	;;#ASMEND
	;; [unrolled: 4-line block ×4, first 2 shown]
	;;#ASMSTART
	v_pk_add_f16 v1, v1, v9;

	;;#ASMEND
	;;#ASMSTART
	v_pk_add_f16 v1, v1, v10;

	;;#ASMEND
	;; [unrolled: 4-line block ×3, first 2 shown]
	v_and_b32_e32 v9, 0xffff, v1
	v_lshrrev_b32_e32 v1, 16, v1
	;;#ASMSTART
	v_cvt_f32_f16 v40, v9;
	;;#ASMEND
	;;#ASMSTART
	v_cvt_f32_f16 v41, v1;
	;;#ASMEND
	global_load_dwordx2 v[9:10], v[7:8], off offset:512
	v_mov_b32_e32 v43, 0
	v_mov_b32_e32 v44, 0
	global_load_dword v42, v43, s[14:15]
	s_waitcnt vmcnt(1)
	v_cmp_ne_u16_sdwa s0, v9, v2 src0_sel:BYTE_0 src1_sel:DWORD
	s_and_saveexec_b32 s13, s0
	s_cbranch_execz .LBB289_422
; %bb.415:                              ;   in Loop: Header=BB289_282 Depth=1
	v_cmp_ne_u16_sdwa s0, v9, v22 src0_sel:BYTE_0 src1_sel:DWORD
	v_mov_b32_e32 v44, 0x8000
	s_and_saveexec_b32 s17, s0
	s_cbranch_execz .LBB289_421
; %bb.416:                              ;   in Loop: Header=BB289_282 Depth=1
	v_and_b32_e32 v45, 0x7f, v9
	v_mov_b32_e32 v44, 0x7c01
	s_mov_b32 s18, exec_lo
	v_cmpx_ne_u32_e32 0x7f, v45
	s_cbranch_execz .LBB289_420
; %bb.417:                              ;   in Loop: Header=BB289_282 Depth=1
	v_and_b32_e32 v1, 7, v9
	v_lshrrev_b32_e32 v44, 3, v45
	s_mov_b32 s19, exec_lo
	v_cmpx_gt_u32_e32 8, v45
; %bb.418:                              ;   in Loop: Header=BB289_282 Depth=1
	v_ffbh_u32_e32 v1, v1
	v_min_u32_e32 v1, 32, v1
	v_subrev_nc_u32_e32 v44, 28, v1
	v_lshlrev_b64 v[45:46], v44, v[9:10]
	v_sub_nc_u32_e32 v44, 29, v1
	v_and_b32_e32 v1, 7, v45
; %bb.419:                              ;   in Loop: Header=BB289_282 Depth=1
	s_or_b32 exec_lo, exec_lo, s19
	v_lshlrev_b32_e32 v45, 8, v9
	v_lshl_add_u32 v44, v44, 10, 0x2000
	v_lshlrev_b32_e32 v1, 7, v1
	v_and_b32_e32 v45, 0x8000, v45
	v_and_b32_e32 v44, 0xfc00, v44
	v_or3_b32 v44, v45, v44, v1
.LBB289_420:                            ;   in Loop: Header=BB289_282 Depth=1
	s_or_b32 exec_lo, exec_lo, s18
.LBB289_421:                            ;   in Loop: Header=BB289_282 Depth=1
	s_or_b32 exec_lo, exec_lo, s17
.LBB289_422:                            ;   in Loop: Header=BB289_282 Depth=1
	s_or_b32 exec_lo, exec_lo, s13
	v_lshrrev_b16 v1, 8, v9
	s_mov_b32 s13, exec_lo
	v_cmpx_ne_u16_e32 0, v1
	s_cbranch_execz .LBB289_430
; %bb.423:                              ;   in Loop: Header=BB289_282 Depth=1
	v_bfrev_b32_e32 v43, 1
	s_mov_b32 s17, exec_lo
	v_cmpx_ne_u16_e32 0x80, v1
	s_cbranch_execz .LBB289_429
; %bb.424:                              ;   in Loop: Header=BB289_282 Depth=1
	v_and_b32_sdwa v46, v1, v23 dst_sel:DWORD dst_unused:UNUSED_PAD src0_sel:WORD_0 src1_sel:DWORD
	v_mov_b32_e32 v43, 0x7c010000
	s_mov_b32 s18, exec_lo
	v_cmpx_ne_u32_e32 0x7f, v46
	s_cbranch_execz .LBB289_428
; %bb.425:                              ;   in Loop: Header=BB289_282 Depth=1
	v_and_b32_sdwa v43, v1, v24 dst_sel:DWORD dst_unused:UNUSED_PAD src0_sel:WORD_0 src1_sel:DWORD
	v_lshrrev_b32_e32 v45, 3, v46
	s_mov_b32 s19, exec_lo
	v_cmpx_gt_u32_e32 8, v46
; %bb.426:                              ;   in Loop: Header=BB289_282 Depth=1
	v_ffbh_u32_e32 v43, v43
	v_min_u32_e32 v43, 32, v43
	v_subrev_nc_u32_e32 v45, 28, v43
	v_lshlrev_b64 v[46:47], v45, v[1:2]
	v_sub_nc_u32_e32 v45, 29, v43
	v_and_b32_e32 v43, 7, v46
; %bb.427:                              ;   in Loop: Header=BB289_282 Depth=1
	s_or_b32 exec_lo, exec_lo, s19
	v_lshlrev_b32_sdwa v1, v25, v1 dst_sel:DWORD dst_unused:UNUSED_PAD src0_sel:DWORD src1_sel:WORD_0
	v_lshl_add_u32 v45, v45, 10, 0x2000
	v_lshlrev_b32_e32 v43, 23, v43
	v_and_or_b32 v1, 0x8000, v1, v45
	v_lshl_or_b32 v43, v1, 16, v43
.LBB289_428:                            ;   in Loop: Header=BB289_282 Depth=1
	s_or_b32 exec_lo, exec_lo, s18
.LBB289_429:                            ;   in Loop: Header=BB289_282 Depth=1
	s_or_b32 exec_lo, exec_lo, s17
.LBB289_430:                            ;   in Loop: Header=BB289_282 Depth=1
	s_or_b32 exec_lo, exec_lo, s13
	v_lshrrev_b32_e32 v1, 16, v9
	v_mov_b32_e32 v45, 0
	v_mov_b32_e32 v46, 0
	v_cmp_ne_u16_sdwa s0, v1, v2 src0_sel:BYTE_0 src1_sel:DWORD
	s_and_saveexec_b32 s13, s0
	s_cbranch_execz .LBB289_438
; %bb.431:                              ;   in Loop: Header=BB289_282 Depth=1
	v_cmp_ne_u16_sdwa s0, v1, v22 src0_sel:BYTE_0 src1_sel:DWORD
	v_mov_b32_e32 v46, 0x8000
	s_and_saveexec_b32 s17, s0
	s_cbranch_execz .LBB289_437
; %bb.432:                              ;   in Loop: Header=BB289_282 Depth=1
	v_bfe_u32 v48, v9, 16, 7
	v_mov_b32_e32 v46, 0x7c01
	s_mov_b32 s18, exec_lo
	v_cmpx_ne_u32_e32 0x7f, v48
	s_cbranch_execz .LBB289_436
; %bb.433:                              ;   in Loop: Header=BB289_282 Depth=1
	v_and_b32_e32 v46, 7, v1
	v_lshrrev_b32_e32 v47, 3, v48
	s_mov_b32 s19, exec_lo
	v_cmpx_gt_u32_e32 8, v48
; %bb.434:                              ;   in Loop: Header=BB289_282 Depth=1
	v_ffbh_u32_e32 v46, v46
	v_min_u32_e32 v48, 32, v46
	v_subrev_nc_u32_e32 v46, 28, v48
	v_lshlrev_b64 v[46:47], v46, v[1:2]
	v_sub_nc_u32_e32 v47, 29, v48
	v_and_b32_e32 v46, 7, v46
; %bb.435:                              ;   in Loop: Header=BB289_282 Depth=1
	s_or_b32 exec_lo, exec_lo, s19
	v_lshlrev_b32_e32 v1, 8, v1
	v_lshl_add_u32 v47, v47, 10, 0x2000
	v_lshlrev_b32_e32 v46, 7, v46
	v_and_b32_e32 v1, 0x8000, v1
	v_and_b32_e32 v47, 0xfc00, v47
	v_or3_b32 v46, v1, v47, v46
.LBB289_436:                            ;   in Loop: Header=BB289_282 Depth=1
	s_or_b32 exec_lo, exec_lo, s18
.LBB289_437:                            ;   in Loop: Header=BB289_282 Depth=1
	s_or_b32 exec_lo, exec_lo, s17
.LBB289_438:                            ;   in Loop: Header=BB289_282 Depth=1
	s_or_b32 exec_lo, exec_lo, s13
	s_mov_b32 s13, exec_lo
	v_cmpx_lt_u32_e32 0xffffff, v9
	s_cbranch_execz .LBB289_446
; %bb.439:                              ;   in Loop: Header=BB289_282 Depth=1
	v_lshrrev_b32_e32 v1, 24, v9
	v_bfrev_b32_e32 v45, 1
	s_mov_b32 s17, exec_lo
	v_cmpx_ne_u32_e32 0x80, v1
	s_cbranch_execz .LBB289_445
; %bb.440:                              ;   in Loop: Header=BB289_282 Depth=1
	v_and_b32_e32 v48, 0x7f, v1
	v_mov_b32_e32 v45, 0x7c010000
	s_mov_b32 s18, exec_lo
	v_cmpx_ne_u32_e32 0x7f, v48
	s_cbranch_execz .LBB289_444
; %bb.441:                              ;   in Loop: Header=BB289_282 Depth=1
	v_and_b32_e32 v45, 7, v1
	v_lshrrev_b32_e32 v47, 3, v48
	s_mov_b32 s19, exec_lo
	v_cmpx_gt_u32_e32 8, v48
; %bb.442:                              ;   in Loop: Header=BB289_282 Depth=1
	v_ffbh_u32_e32 v45, v45
	v_min_u32_e32 v45, 32, v45
	v_subrev_nc_u32_e32 v47, 28, v45
	v_lshlrev_b64 v[48:49], v47, v[1:2]
	v_sub_nc_u32_e32 v47, 29, v45
	v_and_b32_e32 v45, 7, v48
; %bb.443:                              ;   in Loop: Header=BB289_282 Depth=1
	s_or_b32 exec_lo, exec_lo, s19
	v_lshlrev_b32_e32 v1, 8, v1
	v_lshl_add_u32 v47, v47, 10, 0x2000
	v_lshlrev_b32_e32 v45, 23, v45
	v_and_or_b32 v1, 0x8000, v1, v47
	v_lshl_or_b32 v45, v1, 16, v45
.LBB289_444:                            ;   in Loop: Header=BB289_282 Depth=1
	s_or_b32 exec_lo, exec_lo, s18
.LBB289_445:                            ;   in Loop: Header=BB289_282 Depth=1
	s_or_b32 exec_lo, exec_lo, s17
.LBB289_446:                            ;   in Loop: Header=BB289_282 Depth=1
	s_or_b32 exec_lo, exec_lo, s13
	v_mov_b32_e32 v1, v10
	v_cmp_ne_u16_sdwa s0, v10, v2 src0_sel:BYTE_0 src1_sel:DWORD
	v_mov_b32_e32 v47, 0
	v_mov_b32_e32 v48, 0
	s_and_saveexec_b32 s13, s0
	s_cbranch_execz .LBB289_454
; %bb.447:                              ;   in Loop: Header=BB289_282 Depth=1
	v_cmp_ne_u16_sdwa s0, v10, v22 src0_sel:BYTE_0 src1_sel:DWORD
	v_mov_b32_e32 v48, 0x8000
	s_and_saveexec_b32 s17, s0
	s_cbranch_execz .LBB289_453
; %bb.448:                              ;   in Loop: Header=BB289_282 Depth=1
	v_and_b32_e32 v50, 0x7f, v10
	v_mov_b32_e32 v48, 0x7c01
	s_mov_b32 s18, exec_lo
	v_cmpx_ne_u32_e32 0x7f, v50
	s_cbranch_execz .LBB289_452
; %bb.449:                              ;   in Loop: Header=BB289_282 Depth=1
	v_and_b32_e32 v48, 7, v10
	v_lshrrev_b32_e32 v49, 3, v50
	s_mov_b32 s19, exec_lo
	v_cmpx_gt_u32_e32 8, v50
; %bb.450:                              ;   in Loop: Header=BB289_282 Depth=1
	v_ffbh_u32_e32 v48, v48
	v_min_u32_e32 v50, 32, v48
	v_subrev_nc_u32_e32 v48, 28, v50
	v_lshlrev_b64 v[48:49], v48, v[1:2]
	v_sub_nc_u32_e32 v49, 29, v50
	v_and_b32_e32 v48, 7, v48
; %bb.451:                              ;   in Loop: Header=BB289_282 Depth=1
	s_or_b32 exec_lo, exec_lo, s19
	v_lshlrev_b32_e32 v50, 8, v10
	v_lshl_add_u32 v49, v49, 10, 0x2000
	v_lshlrev_b32_e32 v48, 7, v48
	v_and_b32_e32 v50, 0x8000, v50
	v_and_b32_e32 v49, 0xfc00, v49
	v_or3_b32 v48, v50, v49, v48
.LBB289_452:                            ;   in Loop: Header=BB289_282 Depth=1
	s_or_b32 exec_lo, exec_lo, s18
.LBB289_453:                            ;   in Loop: Header=BB289_282 Depth=1
	s_or_b32 exec_lo, exec_lo, s17
.LBB289_454:                            ;   in Loop: Header=BB289_282 Depth=1
	s_or_b32 exec_lo, exec_lo, s13
	v_lshrrev_b16 v1, 8, v1
	v_mov_b32_e32 v49, 0
	s_mov_b32 s13, exec_lo
	v_cmpx_ne_u16_e32 0, v1
	s_cbranch_execz .LBB289_462
; %bb.455:                              ;   in Loop: Header=BB289_282 Depth=1
	v_bfrev_b32_e32 v49, 1
	s_mov_b32 s17, exec_lo
	v_cmpx_ne_u16_e32 0x80, v1
	s_cbranch_execz .LBB289_461
; %bb.456:                              ;   in Loop: Header=BB289_282 Depth=1
	v_and_b32_sdwa v51, v1, v23 dst_sel:DWORD dst_unused:UNUSED_PAD src0_sel:WORD_0 src1_sel:DWORD
	v_mov_b32_e32 v49, 0x7c010000
	s_mov_b32 s18, exec_lo
	v_cmpx_ne_u32_e32 0x7f, v51
	s_cbranch_execz .LBB289_460
; %bb.457:                              ;   in Loop: Header=BB289_282 Depth=1
	v_and_b32_sdwa v49, v1, v24 dst_sel:DWORD dst_unused:UNUSED_PAD src0_sel:WORD_0 src1_sel:DWORD
	v_lshrrev_b32_e32 v50, 3, v51
	s_mov_b32 s19, exec_lo
	v_cmpx_gt_u32_e32 8, v51
; %bb.458:                              ;   in Loop: Header=BB289_282 Depth=1
	v_ffbh_u32_e32 v49, v49
	v_min_u32_e32 v51, 32, v49
	v_subrev_nc_u32_e32 v49, 28, v51
	v_lshlrev_b64 v[49:50], v49, v[1:2]
	v_sub_nc_u32_e32 v50, 29, v51
	v_and_b32_e32 v49, 7, v49
; %bb.459:                              ;   in Loop: Header=BB289_282 Depth=1
	s_or_b32 exec_lo, exec_lo, s19
	v_lshlrev_b32_sdwa v1, v25, v1 dst_sel:DWORD dst_unused:UNUSED_PAD src0_sel:DWORD src1_sel:WORD_0
	v_lshl_add_u32 v50, v50, 10, 0x2000
	v_lshlrev_b32_e32 v49, 23, v49
	v_and_or_b32 v1, 0x8000, v1, v50
	v_lshl_or_b32 v49, v1, 16, v49
.LBB289_460:                            ;   in Loop: Header=BB289_282 Depth=1
	s_or_b32 exec_lo, exec_lo, s18
.LBB289_461:                            ;   in Loop: Header=BB289_282 Depth=1
	s_or_b32 exec_lo, exec_lo, s17
.LBB289_462:                            ;   in Loop: Header=BB289_282 Depth=1
	s_or_b32 exec_lo, exec_lo, s13
	v_lshrrev_b32_e32 v1, 16, v10
	v_cmp_ne_u16_sdwa s0, v1, v2 src0_sel:BYTE_0 src1_sel:DWORD
	s_and_saveexec_b32 s13, s0
	s_cbranch_execz .LBB289_470
; %bb.463:                              ;   in Loop: Header=BB289_282 Depth=1
	v_cmp_ne_u16_sdwa s0, v1, v22 src0_sel:BYTE_0 src1_sel:DWORD
	v_mov_b32_e32 v47, 0x8000
	s_and_saveexec_b32 s17, s0
	s_cbranch_execz .LBB289_469
; %bb.464:                              ;   in Loop: Header=BB289_282 Depth=1
	v_bfe_u32 v51, v10, 16, 7
	v_mov_b32_e32 v47, 0x7c01
	s_mov_b32 s18, exec_lo
	v_cmpx_ne_u32_e32 0x7f, v51
	s_cbranch_execz .LBB289_468
; %bb.465:                              ;   in Loop: Header=BB289_282 Depth=1
	v_and_b32_e32 v47, 7, v1
	v_lshrrev_b32_e32 v50, 3, v51
	s_mov_b32 s19, exec_lo
	v_cmpx_gt_u32_e32 8, v51
; %bb.466:                              ;   in Loop: Header=BB289_282 Depth=1
	v_ffbh_u32_e32 v47, v47
	v_min_u32_e32 v47, 32, v47
	v_subrev_nc_u32_e32 v50, 28, v47
	v_lshlrev_b64 v[51:52], v50, v[1:2]
	v_sub_nc_u32_e32 v50, 29, v47
	v_and_b32_e32 v47, 7, v51
; %bb.467:                              ;   in Loop: Header=BB289_282 Depth=1
	s_or_b32 exec_lo, exec_lo, s19
	v_lshlrev_b32_e32 v1, 8, v1
	v_lshl_add_u32 v50, v50, 10, 0x2000
	v_lshlrev_b32_e32 v47, 7, v47
	v_and_b32_e32 v1, 0x8000, v1
	v_and_b32_e32 v50, 0xfc00, v50
	v_or3_b32 v47, v1, v50, v47
.LBB289_468:                            ;   in Loop: Header=BB289_282 Depth=1
	s_or_b32 exec_lo, exec_lo, s18
.LBB289_469:                            ;   in Loop: Header=BB289_282 Depth=1
	s_or_b32 exec_lo, exec_lo, s17
.LBB289_470:                            ;   in Loop: Header=BB289_282 Depth=1
	s_or_b32 exec_lo, exec_lo, s13
	v_cmp_lt_u64_e64 s0, s[2:3], v[9:10]
	v_mov_b32_e32 v9, 0
	s_and_saveexec_b32 s13, s0
	s_cbranch_execz .LBB289_478
; %bb.471:                              ;   in Loop: Header=BB289_282 Depth=1
	v_lshrrev_b32_e32 v1, 24, v10
	v_bfrev_b32_e32 v9, 1
	s_mov_b32 s17, exec_lo
	v_cmpx_ne_u32_e32 0x80, v1
	s_cbranch_execz .LBB289_477
; %bb.472:                              ;   in Loop: Header=BB289_282 Depth=1
	v_and_b32_e32 v50, 0x7f, v1
	v_mov_b32_e32 v9, 0x7c010000
	s_mov_b32 s18, exec_lo
	v_cmpx_ne_u32_e32 0x7f, v50
	s_cbranch_execz .LBB289_476
; %bb.473:                              ;   in Loop: Header=BB289_282 Depth=1
	v_and_b32_e32 v9, 7, v1
	v_lshrrev_b32_e32 v10, 3, v50
	s_mov_b32 s19, exec_lo
	v_cmpx_gt_u32_e32 8, v50
; %bb.474:                              ;   in Loop: Header=BB289_282 Depth=1
	v_ffbh_u32_e32 v9, v9
	v_min_u32_e32 v50, 32, v9
	v_subrev_nc_u32_e32 v9, 28, v50
	v_lshlrev_b64 v[9:10], v9, v[1:2]
	v_sub_nc_u32_e32 v10, 29, v50
	v_and_b32_e32 v9, 7, v9
; %bb.475:                              ;   in Loop: Header=BB289_282 Depth=1
	s_or_b32 exec_lo, exec_lo, s19
	v_lshlrev_b32_e32 v1, 8, v1
	v_lshl_add_u32 v10, v10, 10, 0x2000
	v_lshlrev_b32_e32 v9, 23, v9
	v_and_or_b32 v1, 0x8000, v1, v10
	v_lshl_or_b32 v9, v1, 16, v9
.LBB289_476:                            ;   in Loop: Header=BB289_282 Depth=1
	s_or_b32 exec_lo, exec_lo, s18
.LBB289_477:                            ;   in Loop: Header=BB289_282 Depth=1
	s_or_b32 exec_lo, exec_lo, s17
.LBB289_478:                            ;   in Loop: Header=BB289_282 Depth=1
	s_or_b32 exec_lo, exec_lo, s13
	v_or_b32_e32 v1, v45, v46
	s_waitcnt vmcnt(0)
	v_fma_mixlo_f16 v10, v42, v45, 0 op_sel:[0,1,0] op_sel_hi:[0,1,0]
	v_or_b32_e32 v45, v43, v44
	v_fma_mixlo_f16 v43, v42, v43, 0 op_sel:[0,1,0] op_sel_hi:[0,1,0]
	v_or_b32_e32 v46, v49, v48
	v_or_b32_e32 v47, v9, v47
	v_fma_mixlo_f16 v48, v42, v1, 0 op_sel_hi:[0,1,0]
	v_fma_mixlo_f16 v9, v42, v9, 0 op_sel:[0,1,0] op_sel_hi:[0,1,0]
	v_lshlrev_b32_e32 v44, 16, v43
	v_fma_mixlo_f16 v43, v42, v45, 0 op_sel_hi:[0,1,0]
	v_fma_mixlo_f16 v45, v42, v49, 0 op_sel:[0,1,0] op_sel_hi:[0,1,0]
	v_fma_mixlo_f16 v46, v42, v46, 0 op_sel_hi:[0,1,0]
	v_fma_mixlo_f16 v47, v42, v47, 0 op_sel_hi:[0,1,0]
	v_lshlrev_b32_e32 v1, 16, v10
	v_and_b32_e32 v10, 0xffff, v48
	v_and_b32_e32 v50, 0xffff, v43
	v_lshlrev_b32_e32 v42, 16, v45
	v_and_b32_e32 v46, 0xffff, v46
	v_lshlrev_b32_e32 v9, 16, v9
	v_and_b32_e32 v43, 0xffff, v47
	v_or_b32_e32 v45, v1, v10
	v_or_b32_e32 v49, v44, v50
	;; [unrolled: 1-line block ×4, first 2 shown]
	s_and_saveexec_b32 s13, vcc_lo
	s_cbranch_execz .LBB289_480
; %bb.479:                              ;   in Loop: Header=BB289_282 Depth=1
	v_cmp_gt_i32_e64 s0, s11, v27
	v_cndmask_b32_e64 v45, 0, v50, s0
	v_cmp_gt_i32_e64 s0, s11, v33
	v_cndmask_b32_e64 v44, 0, v44, s0
	v_cmp_gt_i32_e64 s0, s11, v32
	v_or_b32_e32 v49, v44, v45
	v_cndmask_b32_e64 v10, 0, v10, s0
	v_cmp_gt_i32_e64 s0, s11, v31
	v_cndmask_b32_e64 v1, 0, v1, s0
	v_cmp_gt_i32_e64 s0, s11, v30
	v_or_b32_e32 v45, v1, v10
	;; [unrolled: 5-line block ×3, first 2 shown]
	v_cndmask_b32_e64 v43, 0, v43, s0
	v_cmp_gt_i32_e64 s0, s11, v21
	v_cndmask_b32_e64 v9, 0, v9, s0
	v_or_b32_e32 v47, v9, v43
.LBB289_480:                            ;   in Loop: Header=BB289_282 Depth=1
	s_or_b32 exec_lo, exec_lo, s13
	;;#ASMSTART
	v_pk_mul_f16 v1, v38, v49;

	;;#ASMEND
	;;#ASMSTART
	v_pk_mul_f16 v9, v36, v45;

	;;#ASMEND
	;; [unrolled: 4-line block ×4, first 2 shown]
	;;#ASMSTART
	v_pk_add_f16 v1, v1, v9;

	;;#ASMEND
	;;#ASMSTART
	v_pk_add_f16 v1, v1, v10;

	;;#ASMEND
	;; [unrolled: 4-line block ×3, first 2 shown]
	v_and_b32_e32 v9, 0xffff, v1
	v_lshrrev_b32_e32 v1, 16, v1
	;;#ASMSTART
	v_cvt_f32_f16 v9, v9;
	;;#ASMEND
	;;#ASMSTART
	v_cvt_f32_f16 v10, v1;
	;;#ASMEND
	global_load_dwordx2 v[7:8], v[7:8], off offset:768
	v_mov_b32_e32 v43, 0
	v_mov_b32_e32 v44, 0
	global_load_dword v42, v43, s[14:15]
	s_waitcnt vmcnt(1)
	v_cmp_ne_u16_sdwa s0, v7, v2 src0_sel:BYTE_0 src1_sel:DWORD
	s_and_saveexec_b32 s13, s0
	s_cbranch_execz .LBB289_488
; %bb.481:                              ;   in Loop: Header=BB289_282 Depth=1
	v_cmp_ne_u16_sdwa s0, v7, v22 src0_sel:BYTE_0 src1_sel:DWORD
	v_mov_b32_e32 v44, 0x8000
	s_and_saveexec_b32 s17, s0
	s_cbranch_execz .LBB289_487
; %bb.482:                              ;   in Loop: Header=BB289_282 Depth=1
	v_and_b32_e32 v45, 0x7f, v7
	v_mov_b32_e32 v44, 0x7c01
	s_mov_b32 s18, exec_lo
	v_cmpx_ne_u32_e32 0x7f, v45
	s_cbranch_execz .LBB289_486
; %bb.483:                              ;   in Loop: Header=BB289_282 Depth=1
	v_and_b32_e32 v1, 7, v7
	v_lshrrev_b32_e32 v44, 3, v45
	s_mov_b32 s19, exec_lo
	v_cmpx_gt_u32_e32 8, v45
; %bb.484:                              ;   in Loop: Header=BB289_282 Depth=1
	v_ffbh_u32_e32 v1, v1
	v_min_u32_e32 v1, 32, v1
	v_subrev_nc_u32_e32 v44, 28, v1
	v_lshlrev_b64 v[45:46], v44, v[7:8]
	v_sub_nc_u32_e32 v44, 29, v1
	v_and_b32_e32 v1, 7, v45
; %bb.485:                              ;   in Loop: Header=BB289_282 Depth=1
	s_or_b32 exec_lo, exec_lo, s19
	v_lshlrev_b32_e32 v45, 8, v7
	v_lshl_add_u32 v44, v44, 10, 0x2000
	v_lshlrev_b32_e32 v1, 7, v1
	v_and_b32_e32 v45, 0x8000, v45
	v_and_b32_e32 v44, 0xfc00, v44
	v_or3_b32 v44, v45, v44, v1
.LBB289_486:                            ;   in Loop: Header=BB289_282 Depth=1
	s_or_b32 exec_lo, exec_lo, s18
.LBB289_487:                            ;   in Loop: Header=BB289_282 Depth=1
	s_or_b32 exec_lo, exec_lo, s17
.LBB289_488:                            ;   in Loop: Header=BB289_282 Depth=1
	s_or_b32 exec_lo, exec_lo, s13
	v_lshrrev_b16 v1, 8, v7
	s_mov_b32 s13, exec_lo
	v_cmpx_ne_u16_e32 0, v1
	s_cbranch_execz .LBB289_496
; %bb.489:                              ;   in Loop: Header=BB289_282 Depth=1
	v_bfrev_b32_e32 v43, 1
	s_mov_b32 s17, exec_lo
	v_cmpx_ne_u16_e32 0x80, v1
	s_cbranch_execz .LBB289_495
; %bb.490:                              ;   in Loop: Header=BB289_282 Depth=1
	v_and_b32_sdwa v46, v1, v23 dst_sel:DWORD dst_unused:UNUSED_PAD src0_sel:WORD_0 src1_sel:DWORD
	v_mov_b32_e32 v43, 0x7c010000
	s_mov_b32 s18, exec_lo
	v_cmpx_ne_u32_e32 0x7f, v46
	s_cbranch_execz .LBB289_494
; %bb.491:                              ;   in Loop: Header=BB289_282 Depth=1
	v_and_b32_sdwa v43, v1, v24 dst_sel:DWORD dst_unused:UNUSED_PAD src0_sel:WORD_0 src1_sel:DWORD
	v_lshrrev_b32_e32 v45, 3, v46
	s_mov_b32 s19, exec_lo
	v_cmpx_gt_u32_e32 8, v46
; %bb.492:                              ;   in Loop: Header=BB289_282 Depth=1
	v_ffbh_u32_e32 v43, v43
	v_min_u32_e32 v43, 32, v43
	v_subrev_nc_u32_e32 v45, 28, v43
	v_lshlrev_b64 v[46:47], v45, v[1:2]
	v_sub_nc_u32_e32 v45, 29, v43
	v_and_b32_e32 v43, 7, v46
; %bb.493:                              ;   in Loop: Header=BB289_282 Depth=1
	s_or_b32 exec_lo, exec_lo, s19
	v_lshlrev_b32_sdwa v1, v25, v1 dst_sel:DWORD dst_unused:UNUSED_PAD src0_sel:DWORD src1_sel:WORD_0
	v_lshl_add_u32 v45, v45, 10, 0x2000
	v_lshlrev_b32_e32 v43, 23, v43
	v_and_or_b32 v1, 0x8000, v1, v45
	v_lshl_or_b32 v43, v1, 16, v43
.LBB289_494:                            ;   in Loop: Header=BB289_282 Depth=1
	s_or_b32 exec_lo, exec_lo, s18
.LBB289_495:                            ;   in Loop: Header=BB289_282 Depth=1
	s_or_b32 exec_lo, exec_lo, s17
.LBB289_496:                            ;   in Loop: Header=BB289_282 Depth=1
	s_or_b32 exec_lo, exec_lo, s13
	v_lshrrev_b32_e32 v1, 16, v7
	v_mov_b32_e32 v45, 0
	v_mov_b32_e32 v46, 0
	v_cmp_ne_u16_sdwa s0, v1, v2 src0_sel:BYTE_0 src1_sel:DWORD
	s_and_saveexec_b32 s13, s0
	s_cbranch_execz .LBB289_504
; %bb.497:                              ;   in Loop: Header=BB289_282 Depth=1
	v_cmp_ne_u16_sdwa s0, v1, v22 src0_sel:BYTE_0 src1_sel:DWORD
	v_mov_b32_e32 v46, 0x8000
	s_and_saveexec_b32 s17, s0
	s_cbranch_execz .LBB289_503
; %bb.498:                              ;   in Loop: Header=BB289_282 Depth=1
	v_bfe_u32 v48, v7, 16, 7
	v_mov_b32_e32 v46, 0x7c01
	s_mov_b32 s18, exec_lo
	v_cmpx_ne_u32_e32 0x7f, v48
	s_cbranch_execz .LBB289_502
; %bb.499:                              ;   in Loop: Header=BB289_282 Depth=1
	v_and_b32_e32 v46, 7, v1
	v_lshrrev_b32_e32 v47, 3, v48
	s_mov_b32 s19, exec_lo
	v_cmpx_gt_u32_e32 8, v48
; %bb.500:                              ;   in Loop: Header=BB289_282 Depth=1
	v_ffbh_u32_e32 v46, v46
	v_min_u32_e32 v48, 32, v46
	v_subrev_nc_u32_e32 v46, 28, v48
	v_lshlrev_b64 v[46:47], v46, v[1:2]
	v_sub_nc_u32_e32 v47, 29, v48
	v_and_b32_e32 v46, 7, v46
; %bb.501:                              ;   in Loop: Header=BB289_282 Depth=1
	s_or_b32 exec_lo, exec_lo, s19
	v_lshlrev_b32_e32 v1, 8, v1
	v_lshl_add_u32 v47, v47, 10, 0x2000
	v_lshlrev_b32_e32 v46, 7, v46
	v_and_b32_e32 v1, 0x8000, v1
	v_and_b32_e32 v47, 0xfc00, v47
	v_or3_b32 v46, v1, v47, v46
.LBB289_502:                            ;   in Loop: Header=BB289_282 Depth=1
	s_or_b32 exec_lo, exec_lo, s18
.LBB289_503:                            ;   in Loop: Header=BB289_282 Depth=1
	s_or_b32 exec_lo, exec_lo, s17
.LBB289_504:                            ;   in Loop: Header=BB289_282 Depth=1
	s_or_b32 exec_lo, exec_lo, s13
	s_mov_b32 s13, exec_lo
	v_cmpx_lt_u32_e32 0xffffff, v7
	s_cbranch_execz .LBB289_512
; %bb.505:                              ;   in Loop: Header=BB289_282 Depth=1
	v_lshrrev_b32_e32 v1, 24, v7
	v_bfrev_b32_e32 v45, 1
	s_mov_b32 s17, exec_lo
	v_cmpx_ne_u32_e32 0x80, v1
	s_cbranch_execz .LBB289_511
; %bb.506:                              ;   in Loop: Header=BB289_282 Depth=1
	v_and_b32_e32 v48, 0x7f, v1
	v_mov_b32_e32 v45, 0x7c010000
	s_mov_b32 s18, exec_lo
	v_cmpx_ne_u32_e32 0x7f, v48
	s_cbranch_execz .LBB289_510
; %bb.507:                              ;   in Loop: Header=BB289_282 Depth=1
	v_and_b32_e32 v45, 7, v1
	v_lshrrev_b32_e32 v47, 3, v48
	s_mov_b32 s19, exec_lo
	v_cmpx_gt_u32_e32 8, v48
; %bb.508:                              ;   in Loop: Header=BB289_282 Depth=1
	v_ffbh_u32_e32 v45, v45
	v_min_u32_e32 v45, 32, v45
	v_subrev_nc_u32_e32 v47, 28, v45
	v_lshlrev_b64 v[48:49], v47, v[1:2]
	v_sub_nc_u32_e32 v47, 29, v45
	v_and_b32_e32 v45, 7, v48
; %bb.509:                              ;   in Loop: Header=BB289_282 Depth=1
	s_or_b32 exec_lo, exec_lo, s19
	v_lshlrev_b32_e32 v1, 8, v1
	v_lshl_add_u32 v47, v47, 10, 0x2000
	v_lshlrev_b32_e32 v45, 23, v45
	v_and_or_b32 v1, 0x8000, v1, v47
	v_lshl_or_b32 v45, v1, 16, v45
.LBB289_510:                            ;   in Loop: Header=BB289_282 Depth=1
	s_or_b32 exec_lo, exec_lo, s18
.LBB289_511:                            ;   in Loop: Header=BB289_282 Depth=1
	s_or_b32 exec_lo, exec_lo, s17
.LBB289_512:                            ;   in Loop: Header=BB289_282 Depth=1
	s_or_b32 exec_lo, exec_lo, s13
	v_mov_b32_e32 v1, v8
	v_cmp_ne_u16_sdwa s0, v8, v2 src0_sel:BYTE_0 src1_sel:DWORD
	v_mov_b32_e32 v47, 0
	v_mov_b32_e32 v48, 0
	s_and_saveexec_b32 s13, s0
	s_cbranch_execz .LBB289_520
; %bb.513:                              ;   in Loop: Header=BB289_282 Depth=1
	v_cmp_ne_u16_sdwa s0, v8, v22 src0_sel:BYTE_0 src1_sel:DWORD
	v_mov_b32_e32 v48, 0x8000
	s_and_saveexec_b32 s17, s0
	s_cbranch_execz .LBB289_519
; %bb.514:                              ;   in Loop: Header=BB289_282 Depth=1
	v_and_b32_e32 v50, 0x7f, v8
	v_mov_b32_e32 v48, 0x7c01
	s_mov_b32 s18, exec_lo
	v_cmpx_ne_u32_e32 0x7f, v50
	s_cbranch_execz .LBB289_518
; %bb.515:                              ;   in Loop: Header=BB289_282 Depth=1
	v_and_b32_e32 v48, 7, v8
	v_lshrrev_b32_e32 v49, 3, v50
	s_mov_b32 s19, exec_lo
	v_cmpx_gt_u32_e32 8, v50
; %bb.516:                              ;   in Loop: Header=BB289_282 Depth=1
	v_ffbh_u32_e32 v48, v48
	v_min_u32_e32 v50, 32, v48
	v_subrev_nc_u32_e32 v48, 28, v50
	v_lshlrev_b64 v[48:49], v48, v[1:2]
	v_sub_nc_u32_e32 v49, 29, v50
	v_and_b32_e32 v48, 7, v48
; %bb.517:                              ;   in Loop: Header=BB289_282 Depth=1
	s_or_b32 exec_lo, exec_lo, s19
	v_lshlrev_b32_e32 v50, 8, v8
	v_lshl_add_u32 v49, v49, 10, 0x2000
	v_lshlrev_b32_e32 v48, 7, v48
	v_and_b32_e32 v50, 0x8000, v50
	v_and_b32_e32 v49, 0xfc00, v49
	v_or3_b32 v48, v50, v49, v48
.LBB289_518:                            ;   in Loop: Header=BB289_282 Depth=1
	s_or_b32 exec_lo, exec_lo, s18
.LBB289_519:                            ;   in Loop: Header=BB289_282 Depth=1
	s_or_b32 exec_lo, exec_lo, s17
.LBB289_520:                            ;   in Loop: Header=BB289_282 Depth=1
	s_or_b32 exec_lo, exec_lo, s13
	v_lshrrev_b16 v1, 8, v1
	v_mov_b32_e32 v49, 0
	s_mov_b32 s13, exec_lo
	v_cmpx_ne_u16_e32 0, v1
	s_cbranch_execz .LBB289_528
; %bb.521:                              ;   in Loop: Header=BB289_282 Depth=1
	v_bfrev_b32_e32 v49, 1
	s_mov_b32 s17, exec_lo
	v_cmpx_ne_u16_e32 0x80, v1
	s_cbranch_execz .LBB289_527
; %bb.522:                              ;   in Loop: Header=BB289_282 Depth=1
	v_and_b32_sdwa v51, v1, v23 dst_sel:DWORD dst_unused:UNUSED_PAD src0_sel:WORD_0 src1_sel:DWORD
	v_mov_b32_e32 v49, 0x7c010000
	s_mov_b32 s18, exec_lo
	v_cmpx_ne_u32_e32 0x7f, v51
	s_cbranch_execz .LBB289_526
; %bb.523:                              ;   in Loop: Header=BB289_282 Depth=1
	v_and_b32_sdwa v49, v1, v24 dst_sel:DWORD dst_unused:UNUSED_PAD src0_sel:WORD_0 src1_sel:DWORD
	v_lshrrev_b32_e32 v50, 3, v51
	s_mov_b32 s19, exec_lo
	v_cmpx_gt_u32_e32 8, v51
; %bb.524:                              ;   in Loop: Header=BB289_282 Depth=1
	v_ffbh_u32_e32 v49, v49
	v_min_u32_e32 v51, 32, v49
	v_subrev_nc_u32_e32 v49, 28, v51
	v_lshlrev_b64 v[49:50], v49, v[1:2]
	v_sub_nc_u32_e32 v50, 29, v51
	v_and_b32_e32 v49, 7, v49
; %bb.525:                              ;   in Loop: Header=BB289_282 Depth=1
	s_or_b32 exec_lo, exec_lo, s19
	v_lshlrev_b32_sdwa v1, v25, v1 dst_sel:DWORD dst_unused:UNUSED_PAD src0_sel:DWORD src1_sel:WORD_0
	v_lshl_add_u32 v50, v50, 10, 0x2000
	v_lshlrev_b32_e32 v49, 23, v49
	v_and_or_b32 v1, 0x8000, v1, v50
	v_lshl_or_b32 v49, v1, 16, v49
.LBB289_526:                            ;   in Loop: Header=BB289_282 Depth=1
	s_or_b32 exec_lo, exec_lo, s18
.LBB289_527:                            ;   in Loop: Header=BB289_282 Depth=1
	s_or_b32 exec_lo, exec_lo, s17
.LBB289_528:                            ;   in Loop: Header=BB289_282 Depth=1
	s_or_b32 exec_lo, exec_lo, s13
	v_lshrrev_b32_e32 v1, 16, v8
	v_cmp_ne_u16_sdwa s0, v1, v2 src0_sel:BYTE_0 src1_sel:DWORD
	s_and_saveexec_b32 s13, s0
	s_cbranch_execz .LBB289_536
; %bb.529:                              ;   in Loop: Header=BB289_282 Depth=1
	v_cmp_ne_u16_sdwa s0, v1, v22 src0_sel:BYTE_0 src1_sel:DWORD
	v_mov_b32_e32 v47, 0x8000
	s_and_saveexec_b32 s17, s0
	s_cbranch_execz .LBB289_535
; %bb.530:                              ;   in Loop: Header=BB289_282 Depth=1
	v_bfe_u32 v51, v8, 16, 7
	v_mov_b32_e32 v47, 0x7c01
	s_mov_b32 s18, exec_lo
	v_cmpx_ne_u32_e32 0x7f, v51
	s_cbranch_execz .LBB289_534
; %bb.531:                              ;   in Loop: Header=BB289_282 Depth=1
	v_and_b32_e32 v47, 7, v1
	v_lshrrev_b32_e32 v50, 3, v51
	s_mov_b32 s19, exec_lo
	v_cmpx_gt_u32_e32 8, v51
; %bb.532:                              ;   in Loop: Header=BB289_282 Depth=1
	v_ffbh_u32_e32 v47, v47
	v_min_u32_e32 v47, 32, v47
	v_subrev_nc_u32_e32 v50, 28, v47
	v_lshlrev_b64 v[51:52], v50, v[1:2]
	v_sub_nc_u32_e32 v50, 29, v47
	v_and_b32_e32 v47, 7, v51
; %bb.533:                              ;   in Loop: Header=BB289_282 Depth=1
	s_or_b32 exec_lo, exec_lo, s19
	v_lshlrev_b32_e32 v1, 8, v1
	v_lshl_add_u32 v50, v50, 10, 0x2000
	v_lshlrev_b32_e32 v47, 7, v47
	v_and_b32_e32 v1, 0x8000, v1
	v_and_b32_e32 v50, 0xfc00, v50
	v_or3_b32 v47, v1, v50, v47
.LBB289_534:                            ;   in Loop: Header=BB289_282 Depth=1
	s_or_b32 exec_lo, exec_lo, s18
.LBB289_535:                            ;   in Loop: Header=BB289_282 Depth=1
	s_or_b32 exec_lo, exec_lo, s17
.LBB289_536:                            ;   in Loop: Header=BB289_282 Depth=1
	s_or_b32 exec_lo, exec_lo, s13
	v_cmp_lt_u64_e64 s0, s[2:3], v[7:8]
	v_mov_b32_e32 v7, 0
	s_and_saveexec_b32 s13, s0
	s_cbranch_execz .LBB289_544
; %bb.537:                              ;   in Loop: Header=BB289_282 Depth=1
	v_lshrrev_b32_e32 v1, 24, v8
	v_bfrev_b32_e32 v7, 1
	s_mov_b32 s17, exec_lo
	v_cmpx_ne_u32_e32 0x80, v1
	s_cbranch_execz .LBB289_543
; %bb.538:                              ;   in Loop: Header=BB289_282 Depth=1
	v_and_b32_e32 v50, 0x7f, v1
	v_mov_b32_e32 v7, 0x7c010000
	s_mov_b32 s18, exec_lo
	v_cmpx_ne_u32_e32 0x7f, v50
	s_cbranch_execz .LBB289_542
; %bb.539:                              ;   in Loop: Header=BB289_282 Depth=1
	v_and_b32_e32 v7, 7, v1
	v_lshrrev_b32_e32 v8, 3, v50
	s_mov_b32 s19, exec_lo
	v_cmpx_gt_u32_e32 8, v50
; %bb.540:                              ;   in Loop: Header=BB289_282 Depth=1
	v_ffbh_u32_e32 v7, v7
	v_min_u32_e32 v50, 32, v7
	v_subrev_nc_u32_e32 v7, 28, v50
	v_lshlrev_b64 v[7:8], v7, v[1:2]
	v_sub_nc_u32_e32 v8, 29, v50
	v_and_b32_e32 v7, 7, v7
; %bb.541:                              ;   in Loop: Header=BB289_282 Depth=1
	s_or_b32 exec_lo, exec_lo, s19
	v_lshlrev_b32_e32 v1, 8, v1
	v_lshl_add_u32 v8, v8, 10, 0x2000
	v_lshlrev_b32_e32 v7, 23, v7
	v_and_or_b32 v1, 0x8000, v1, v8
	v_lshl_or_b32 v7, v1, 16, v7
.LBB289_542:                            ;   in Loop: Header=BB289_282 Depth=1
	s_or_b32 exec_lo, exec_lo, s18
.LBB289_543:                            ;   in Loop: Header=BB289_282 Depth=1
	s_or_b32 exec_lo, exec_lo, s17
.LBB289_544:                            ;   in Loop: Header=BB289_282 Depth=1
	s_or_b32 exec_lo, exec_lo, s13
	v_or_b32_e32 v1, v45, v46
	s_waitcnt vmcnt(0)
	v_fma_mixlo_f16 v8, v42, v45, 0 op_sel:[0,1,0] op_sel_hi:[0,1,0]
	v_or_b32_e32 v44, v43, v44
	v_fma_mixlo_f16 v43, v42, v43, 0 op_sel:[0,1,0] op_sel_hi:[0,1,0]
	v_or_b32_e32 v46, v49, v48
	v_or_b32_e32 v47, v7, v47
	v_fma_mixlo_f16 v45, v42, v1, 0 op_sel_hi:[0,1,0]
	v_lshlrev_b32_e32 v1, 16, v8
	v_lshlrev_b32_e32 v48, 16, v43
	v_fma_mixlo_f16 v8, v42, v44, 0 op_sel_hi:[0,1,0]
	v_fma_mixlo_f16 v43, v42, v49, 0 op_sel:[0,1,0] op_sel_hi:[0,1,0]
	v_fma_mixlo_f16 v44, v42, v46, 0 op_sel_hi:[0,1,0]
	v_fma_mixlo_f16 v7, v42, v7, 0 op_sel:[0,1,0] op_sel_hi:[0,1,0]
	v_fma_mixlo_f16 v42, v42, v47, 0 op_sel_hi:[0,1,0]
	v_and_b32_e32 v45, 0xffff, v45
	v_and_b32_e32 v50, 0xffff, v8
	v_lshlrev_b32_e32 v46, 16, v43
	v_and_b32_e32 v49, 0xffff, v44
	v_lshlrev_b32_e32 v8, 16, v7
	v_and_b32_e32 v47, 0xffff, v42
	v_or_b32_e32 v7, v1, v45
	v_or_b32_e32 v44, v48, v50
	;; [unrolled: 1-line block ×4, first 2 shown]
	s_and_saveexec_b32 s0, vcc_lo
	s_cbranch_execz .LBB289_281
; %bb.545:                              ;   in Loop: Header=BB289_282 Depth=1
	v_cmp_gt_i32_e32 vcc_lo, s11, v27
	v_cndmask_b32_e32 v7, 0, v50, vcc_lo
	v_cmp_gt_i32_e32 vcc_lo, s11, v33
	v_cndmask_b32_e32 v27, 0, v48, vcc_lo
	v_cmp_gt_i32_e32 vcc_lo, s11, v32
	v_or_b32_e32 v44, v27, v7
	v_cndmask_b32_e32 v32, 0, v45, vcc_lo
	v_cmp_gt_i32_e32 vcc_lo, s11, v31
	v_cndmask_b32_e32 v1, 0, v1, vcc_lo
	v_cmp_gt_i32_e32 vcc_lo, s11, v30
	v_or_b32_e32 v7, v1, v32
	;; [unrolled: 5-line block ×3, first 2 shown]
	v_cndmask_b32_e32 v28, 0, v47, vcc_lo
	v_cmp_gt_i32_e32 vcc_lo, s11, v21
	v_cndmask_b32_e32 v8, 0, v8, vcc_lo
	v_or_b32_e32 v42, v8, v28
	s_branch .LBB289_281
.LBB289_546:
	s_or_b32 exec_lo, exec_lo, s12
.LBB289_547:
	s_or_b32 exec_lo, exec_lo, s1
	ds_bpermute_b32 v1, v15, v18
	ds_bpermute_b32 v2, v15, v20
	;; [unrolled: 1-line block ×4, first 2 shown]
	v_lshrrev_b32_e32 v5, 2, v12
	s_mov_b32 s0, exec_lo
	s_waitcnt lgkmcnt(0)
	s_barrier
	buffer_gl0_inv
	v_add_f32_e32 v1, v18, v1
	v_add_f32_e32 v2, v20, v2
	v_add_f32_e32 v7, v19, v3
	v_add_f32_e32 v8, v17, v4
	v_and_b32_e32 v4, 28, v12
	ds_bpermute_b32 v3, v16, v1
	ds_bpermute_b32 v9, v16, v2
	ds_bpermute_b32 v10, v16, v7
	ds_bpermute_b32 v13, v16, v8
	v_and_b32_e32 v12, 0x3c3, v0
	v_add_nc_u32_e32 v6, 0x60, v4
	s_waitcnt lgkmcnt(3)
	v_add_f32_e32 v4, v1, v3
	s_waitcnt lgkmcnt(2)
	v_add_f32_e32 v3, v2, v9
	;; [unrolled: 2-line block ×4, first 2 shown]
	v_cmpx_eq_u32_e32 64, v12
	s_cbranch_execz .LBB289_549
; %bb.548:
	v_lshl_add_u32 v7, v11, 7, v6
	v_add_nc_u32_e32 v8, 0xffffff00, v7
	v_add_nc_u32_e32 v9, 0xffffff20, v7
	;; [unrolled: 1-line block ×4, first 2 shown]
	ds_write_b32 v8, v4
	ds_write_b32 v9, v3
	;; [unrolled: 1-line block ×4, first 2 shown]
.LBB289_549:
	s_or_b32 exec_lo, exec_lo, s0
	v_and_b32_e32 v7, 0x3e0, v0
	v_lshlrev_b32_e32 v5, 2, v5
	s_mov_b32 s1, exec_lo
	v_cmp_eq_u32_e32 vcc_lo, 0, v14
	s_waitcnt lgkmcnt(0)
	v_lshlrev_b32_e32 v7, 2, v7
	s_barrier
	buffer_gl0_inv
	v_add3_u32 v5, 0x60, v7, v5
	v_cmpx_gt_u32_e32 64, v0
	s_cbranch_execz .LBB289_556
; %bb.550:
	s_and_saveexec_b32 s0, vcc_lo
	s_cbranch_execnz .LBB289_568
; %bb.551:
	s_or_b32 exec_lo, exec_lo, s0
	s_and_saveexec_b32 s0, vcc_lo
	s_cbranch_execnz .LBB289_569
.LBB289_552:
	s_or_b32 exec_lo, exec_lo, s0
	s_and_saveexec_b32 s0, vcc_lo
	s_cbranch_execnz .LBB289_570
.LBB289_553:
	s_or_b32 exec_lo, exec_lo, s0
	s_and_saveexec_b32 s0, vcc_lo
	s_cbranch_execz .LBB289_555
.LBB289_554:
	ds_read_b32 v7, v5 offset:96
	s_waitcnt lgkmcnt(0)
	v_add_f32_e32 v1, v1, v7
.LBB289_555:
	s_or_b32 exec_lo, exec_lo, s0
.LBB289_556:
	s_or_b32 exec_lo, exec_lo, s1
	v_and_b32_e32 v7, 0x3e3, v0
	s_mov_b32 s1, exec_lo
	s_barrier
	buffer_gl0_inv
	v_cmpx_eq_u32_e32 32, v7
	s_cbranch_execz .LBB289_558
; %bb.557:
	ds_write2_b32 v6, v4, v3 offset1:8
	ds_write2_b32 v6, v2, v1 offset0:16 offset1:24
.LBB289_558:
	s_or_b32 exec_lo, exec_lo, s1
	s_mov_b32 s1, exec_lo
	s_waitcnt lgkmcnt(0)
	s_barrier
	buffer_gl0_inv
	v_cmpx_gt_u32_e32 32, v0
	s_cbranch_execz .LBB289_565
; %bb.559:
	s_and_saveexec_b32 s0, vcc_lo
	s_cbranch_execnz .LBB289_571
; %bb.560:
	s_or_b32 exec_lo, exec_lo, s0
	s_and_saveexec_b32 s0, vcc_lo
	s_cbranch_execnz .LBB289_572
.LBB289_561:
	s_or_b32 exec_lo, exec_lo, s0
	s_and_saveexec_b32 s0, vcc_lo
	s_cbranch_execnz .LBB289_573
.LBB289_562:
	s_or_b32 exec_lo, exec_lo, s0
	s_and_saveexec_b32 s0, vcc_lo
	s_cbranch_execz .LBB289_564
.LBB289_563:
	ds_read_b32 v5, v5 offset:96
	s_waitcnt lgkmcnt(0)
	v_add_f32_e32 v1, v1, v5
.LBB289_564:
	s_or_b32 exec_lo, exec_lo, s0
.LBB289_565:
	s_or_b32 exec_lo, exec_lo, s1
	s_barrier
	buffer_gl0_inv
	s_mov_b32 s0, exec_lo
	v_cmpx_eq_u32_e32 0, v7
	s_cbranch_execz .LBB289_567
; %bb.566:
	s_mul_i32 s0, s10, s7
	s_mul_i32 s2, s7, s6
	;; [unrolled: 1-line block ×3, first 2 shown]
	v_lshrrev_b32_e32 v0, 1, v0
	s_lshl_b32 s0, s0, 5
	;;#ASMSTART
	v_cvt_f16_f32 v4, v4;

	;;#ASMEND
	s_ashr_i32 s1, s0, 31
	s_lshl_b64 s[0:1], s[0:1], 1
	s_add_u32 s4, s20, s0
	s_addc_u32 s5, s21, s1
	s_ashr_i32 s3, s2, 31
	s_lshl_b64 s[0:1], s[2:3], 1
	s_add_u32 s2, s4, s0
	s_addc_u32 s3, s5, s1
	s_lshl_b32 s0, s8, 5
	s_ashr_i32 s1, s0, 31
	s_lshl_b64 s[0:1], s[0:1], 1
	s_add_u32 s0, s2, s0
	s_addc_u32 s1, s3, s1
	global_store_short v0, v4, s[0:1]
	;;#ASMSTART
	v_cvt_f16_f32 v3, v3;

	;;#ASMEND
	global_store_short v0, v3, s[0:1] offset:16
	;;#ASMSTART
	v_cvt_f16_f32 v2, v2;

	;;#ASMEND
	global_store_short v0, v2, s[0:1] offset:32
	;; [unrolled: 5-line block ×3, first 2 shown]
.LBB289_567:
	s_endpgm
.LBB289_568:
	ds_read_b32 v7, v5
	s_waitcnt lgkmcnt(0)
	v_add_f32_e32 v4, v4, v7
	s_or_b32 exec_lo, exec_lo, s0
	s_and_saveexec_b32 s0, vcc_lo
	s_cbranch_execz .LBB289_552
.LBB289_569:
	ds_read_b32 v7, v5 offset:32
	s_waitcnt lgkmcnt(0)
	v_add_f32_e32 v3, v3, v7
	s_or_b32 exec_lo, exec_lo, s0
	s_and_saveexec_b32 s0, vcc_lo
	s_cbranch_execz .LBB289_553
.LBB289_570:
	ds_read_b32 v7, v5 offset:64
	s_waitcnt lgkmcnt(0)
	v_add_f32_e32 v2, v2, v7
	s_or_b32 exec_lo, exec_lo, s0
	s_and_saveexec_b32 s0, vcc_lo
	s_cbranch_execnz .LBB289_554
	s_branch .LBB289_555
.LBB289_571:
	ds_read_b32 v6, v5
	s_waitcnt lgkmcnt(0)
	v_add_f32_e32 v4, v4, v6
	s_or_b32 exec_lo, exec_lo, s0
	s_and_saveexec_b32 s0, vcc_lo
	s_cbranch_execz .LBB289_561
.LBB289_572:
	ds_read_b32 v6, v5 offset:32
	s_waitcnt lgkmcnt(0)
	v_add_f32_e32 v3, v3, v6
	s_or_b32 exec_lo, exec_lo, s0
	s_and_saveexec_b32 s0, vcc_lo
	s_cbranch_execz .LBB289_562
.LBB289_573:
	ds_read_b32 v6, v5 offset:64
	s_waitcnt lgkmcnt(0)
	v_add_f32_e32 v2, v2, v6
	s_or_b32 exec_lo, exec_lo, s0
	s_and_saveexec_b32 s0, vcc_lo
	s_cbranch_execnz .LBB289_563
	s_branch .LBB289_564
	.section	.rodata,"a",@progbits
	.p2align	6, 0x0
	.amdhsa_kernel _ZN4vllm25paged_attention_v1_kernelIthLi32ELi32ELi128ELNS_18Fp8KVCacheDataTypeE1ELb0EEEvPT_PKS2_PKT0_S8_ifPKiSA_iPKfiiiSC_SC_iiiii
		.amdhsa_group_segment_fixed_size 96
		.amdhsa_private_segment_fixed_size 0
		.amdhsa_kernarg_size 384
		.amdhsa_user_sgpr_count 6
		.amdhsa_user_sgpr_private_segment_buffer 1
		.amdhsa_user_sgpr_dispatch_ptr 0
		.amdhsa_user_sgpr_queue_ptr 0
		.amdhsa_user_sgpr_kernarg_segment_ptr 1
		.amdhsa_user_sgpr_dispatch_id 0
		.amdhsa_user_sgpr_flat_scratch_init 0
		.amdhsa_user_sgpr_private_segment_size 0
		.amdhsa_wavefront_size32 1
		.amdhsa_uses_dynamic_stack 0
		.amdhsa_system_sgpr_private_segment_wavefront_offset 0
		.amdhsa_system_sgpr_workgroup_id_x 1
		.amdhsa_system_sgpr_workgroup_id_y 1
		.amdhsa_system_sgpr_workgroup_id_z 1
		.amdhsa_system_sgpr_workgroup_info 0
		.amdhsa_system_vgpr_workitem_id 0
		.amdhsa_next_free_vgpr 72
		.amdhsa_next_free_sgpr 36
		.amdhsa_reserve_vcc 1
		.amdhsa_reserve_flat_scratch 0
		.amdhsa_float_round_mode_32 0
		.amdhsa_float_round_mode_16_64 0
		.amdhsa_float_denorm_mode_32 3
		.amdhsa_float_denorm_mode_16_64 3
		.amdhsa_dx10_clamp 1
		.amdhsa_ieee_mode 1
		.amdhsa_fp16_overflow 0
		.amdhsa_workgroup_processor_mode 1
		.amdhsa_memory_ordered 1
		.amdhsa_forward_progress 1
		.amdhsa_shared_vgpr_count 0
		.amdhsa_exception_fp_ieee_invalid_op 0
		.amdhsa_exception_fp_denorm_src 0
		.amdhsa_exception_fp_ieee_div_zero 0
		.amdhsa_exception_fp_ieee_overflow 0
		.amdhsa_exception_fp_ieee_underflow 0
		.amdhsa_exception_fp_ieee_inexact 0
		.amdhsa_exception_int_div_zero 0
	.end_amdhsa_kernel
	.section	.text._ZN4vllm25paged_attention_v1_kernelIthLi32ELi32ELi128ELNS_18Fp8KVCacheDataTypeE1ELb0EEEvPT_PKS2_PKT0_S8_ifPKiSA_iPKfiiiSC_SC_iiiii,"axG",@progbits,_ZN4vllm25paged_attention_v1_kernelIthLi32ELi32ELi128ELNS_18Fp8KVCacheDataTypeE1ELb0EEEvPT_PKS2_PKT0_S8_ifPKiSA_iPKfiiiSC_SC_iiiii,comdat
.Lfunc_end289:
	.size	_ZN4vllm25paged_attention_v1_kernelIthLi32ELi32ELi128ELNS_18Fp8KVCacheDataTypeE1ELb0EEEvPT_PKS2_PKT0_S8_ifPKiSA_iPKfiiiSC_SC_iiiii, .Lfunc_end289-_ZN4vllm25paged_attention_v1_kernelIthLi32ELi32ELi128ELNS_18Fp8KVCacheDataTypeE1ELb0EEEvPT_PKS2_PKT0_S8_ifPKiSA_iPKfiiiSC_SC_iiiii
                                        ; -- End function
	.set _ZN4vllm25paged_attention_v1_kernelIthLi32ELi32ELi128ELNS_18Fp8KVCacheDataTypeE1ELb0EEEvPT_PKS2_PKT0_S8_ifPKiSA_iPKfiiiSC_SC_iiiii.num_vgpr, 72
	.set _ZN4vllm25paged_attention_v1_kernelIthLi32ELi32ELi128ELNS_18Fp8KVCacheDataTypeE1ELb0EEEvPT_PKS2_PKT0_S8_ifPKiSA_iPKfiiiSC_SC_iiiii.num_agpr, 0
	.set _ZN4vllm25paged_attention_v1_kernelIthLi32ELi32ELi128ELNS_18Fp8KVCacheDataTypeE1ELb0EEEvPT_PKS2_PKT0_S8_ifPKiSA_iPKfiiiSC_SC_iiiii.numbered_sgpr, 36
	.set _ZN4vllm25paged_attention_v1_kernelIthLi32ELi32ELi128ELNS_18Fp8KVCacheDataTypeE1ELb0EEEvPT_PKS2_PKT0_S8_ifPKiSA_iPKfiiiSC_SC_iiiii.num_named_barrier, 0
	.set _ZN4vllm25paged_attention_v1_kernelIthLi32ELi32ELi128ELNS_18Fp8KVCacheDataTypeE1ELb0EEEvPT_PKS2_PKT0_S8_ifPKiSA_iPKfiiiSC_SC_iiiii.private_seg_size, 0
	.set _ZN4vllm25paged_attention_v1_kernelIthLi32ELi32ELi128ELNS_18Fp8KVCacheDataTypeE1ELb0EEEvPT_PKS2_PKT0_S8_ifPKiSA_iPKfiiiSC_SC_iiiii.uses_vcc, 1
	.set _ZN4vllm25paged_attention_v1_kernelIthLi32ELi32ELi128ELNS_18Fp8KVCacheDataTypeE1ELb0EEEvPT_PKS2_PKT0_S8_ifPKiSA_iPKfiiiSC_SC_iiiii.uses_flat_scratch, 0
	.set _ZN4vllm25paged_attention_v1_kernelIthLi32ELi32ELi128ELNS_18Fp8KVCacheDataTypeE1ELb0EEEvPT_PKS2_PKT0_S8_ifPKiSA_iPKfiiiSC_SC_iiiii.has_dyn_sized_stack, 0
	.set _ZN4vllm25paged_attention_v1_kernelIthLi32ELi32ELi128ELNS_18Fp8KVCacheDataTypeE1ELb0EEEvPT_PKS2_PKT0_S8_ifPKiSA_iPKfiiiSC_SC_iiiii.has_recursion, 0
	.set _ZN4vllm25paged_attention_v1_kernelIthLi32ELi32ELi128ELNS_18Fp8KVCacheDataTypeE1ELb0EEEvPT_PKS2_PKT0_S8_ifPKiSA_iPKfiiiSC_SC_iiiii.has_indirect_call, 0
	.section	.AMDGPU.csdata,"",@progbits
; Kernel info:
; codeLenInByte = 19228
; TotalNumSgprs: 38
; NumVgprs: 72
; ScratchSize: 0
; MemoryBound: 0
; FloatMode: 240
; IeeeMode: 1
; LDSByteSize: 96 bytes/workgroup (compile time only)
; SGPRBlocks: 0
; VGPRBlocks: 8
; NumSGPRsForWavesPerEU: 38
; NumVGPRsForWavesPerEU: 72
; Occupancy: 12
; WaveLimiterHint : 1
; COMPUTE_PGM_RSRC2:SCRATCH_EN: 0
; COMPUTE_PGM_RSRC2:USER_SGPR: 6
; COMPUTE_PGM_RSRC2:TRAP_HANDLER: 0
; COMPUTE_PGM_RSRC2:TGID_X_EN: 1
; COMPUTE_PGM_RSRC2:TGID_Y_EN: 1
; COMPUTE_PGM_RSRC2:TGID_Z_EN: 1
; COMPUTE_PGM_RSRC2:TIDIG_COMP_CNT: 0
	.section	.text._ZN4vllm25paged_attention_v1_kernelIthLi64ELi32ELi128ELNS_18Fp8KVCacheDataTypeE1ELb0EEEvPT_PKS2_PKT0_S8_ifPKiSA_iPKfiiiSC_SC_iiiii,"axG",@progbits,_ZN4vllm25paged_attention_v1_kernelIthLi64ELi32ELi128ELNS_18Fp8KVCacheDataTypeE1ELb0EEEvPT_PKS2_PKT0_S8_ifPKiSA_iPKfiiiSC_SC_iiiii,comdat
	.protected	_ZN4vllm25paged_attention_v1_kernelIthLi64ELi32ELi128ELNS_18Fp8KVCacheDataTypeE1ELb0EEEvPT_PKS2_PKT0_S8_ifPKiSA_iPKfiiiSC_SC_iiiii ; -- Begin function _ZN4vllm25paged_attention_v1_kernelIthLi64ELi32ELi128ELNS_18Fp8KVCacheDataTypeE1ELb0EEEvPT_PKS2_PKT0_S8_ifPKiSA_iPKfiiiSC_SC_iiiii
	.globl	_ZN4vllm25paged_attention_v1_kernelIthLi64ELi32ELi128ELNS_18Fp8KVCacheDataTypeE1ELb0EEEvPT_PKS2_PKT0_S8_ifPKiSA_iPKfiiiSC_SC_iiiii
	.p2align	8
	.type	_ZN4vllm25paged_attention_v1_kernelIthLi64ELi32ELi128ELNS_18Fp8KVCacheDataTypeE1ELb0EEEvPT_PKS2_PKT0_S8_ifPKiSA_iPKfiiiSC_SC_iiiii,@function
_ZN4vllm25paged_attention_v1_kernelIthLi64ELi32ELi128ELNS_18Fp8KVCacheDataTypeE1ELb0EEEvPT_PKS2_PKT0_S8_ifPKiSA_iPKfiiiSC_SC_iiiii: ; @_ZN4vllm25paged_attention_v1_kernelIthLi64ELi32ELi128ELNS_18Fp8KVCacheDataTypeE1ELb0EEEvPT_PKS2_PKT0_S8_ifPKiSA_iPKfiiiSC_SC_iiiii
; %bb.0:
	s_clause 0x2
	s_load_dword s9, s[4:5], 0x80
	s_load_dwordx2 s[0:1], s[4:5], 0x30
	s_load_dwordx2 s[2:3], s[4:5], 0x20
	s_mov_b32 s10, s7
	s_ashr_i32 s11, s7, 31
	s_mov_b32 s28, 0
	s_lshl_b64 s[12:13], s[10:11], 2
	s_waitcnt lgkmcnt(0)
	s_add_u32 s0, s0, s12
	s_addc_u32 s1, s1, s13
	s_abs_i32 s7, s2
	s_abs_i32 s13, s9
	v_cvt_f32_u32_e32 v1, s7
	s_sub_i32 s12, 0, s7
	s_xor_b32 s2, s9, s2
	s_ashr_i32 s2, s2, 31
	v_rcp_iflag_f32_e32 v1, v1
	v_mul_f32_e32 v1, 0x4f7ffffe, v1
	v_cvt_u32_f32_e32 v1, v1
	v_readfirstlane_b32 s11, v1
	s_mul_i32 s12, s12, s11
	s_mul_hi_u32 s12, s11, s12
	s_add_i32 s11, s11, s12
	s_mul_hi_u32 s11, s13, s11
	s_mul_i32 s12, s11, s7
	s_sub_i32 s12, s13, s12
	s_add_i32 s13, s11, 1
	s_sub_i32 s14, s12, s7
	s_cmp_ge_u32 s12, s7
	s_cselect_b32 s11, s13, s11
	s_cselect_b32 s12, s14, s12
	s_add_i32 s13, s11, 1
	s_cmp_ge_u32 s12, s7
	s_cselect_b32 s7, s13, s11
	s_load_dwordx2 s[12:13], s[4:5], 0x40
	s_xor_b32 s7, s7, s2
	s_abs_i32 s14, s6
	s_sub_i32 s15, s7, s2
	s_abs_i32 s2, s15
	v_cvt_f32_u32_e32 v1, s2
	s_sub_i32 s11, 0, s2
	v_rcp_iflag_f32_e32 v1, v1
	v_mul_f32_e32 v1, 0x4f7ffffe, v1
	v_cvt_u32_f32_e32 v1, v1
	v_readfirstlane_b32 s7, v1
	s_mul_i32 s11, s11, s7
	s_mul_hi_u32 s11, s7, s11
	s_add_i32 s7, s7, s11
	s_waitcnt lgkmcnt(0)
	s_cmp_eq_u64 s[12:13], 0
	s_mul_hi_u32 s26, s14, s7
	s_cbranch_scc1 .LBB290_2
; %bb.1:
	s_ashr_i32 s7, s6, 31
	s_lshl_b64 s[16:17], s[6:7], 2
	s_add_u32 s12, s12, s16
	s_addc_u32 s13, s13, s17
	s_load_dword s28, s[12:13], 0x0
.LBB290_2:
	s_load_dword s11, s[0:1], 0x0
	s_clause 0x1
	s_load_dwordx2 s[22:23], s[4:5], 0x28
	s_load_dwordx4 s[16:19], s[4:5], 0x48
	s_ashr_i32 s0, s6, 31
	s_ashr_i32 s1, s15, 31
	s_lshl_b32 s6, s6, 6
	s_mov_b32 s12, exec_lo
	v_cmpx_gt_u32_e32 8, v0
	s_cbranch_execz .LBB290_4
; %bb.3:
	s_load_dwordx2 s[20:21], s[4:5], 0x8
	s_waitcnt lgkmcnt(0)
	s_mul_i32 s24, s16, s10
	v_lshlrev_b32_e32 v5, 4, v0
	s_ashr_i32 s25, s24, 31
	s_lshl_b64 s[24:25], s[24:25], 1
	s_add_u32 s13, s20, s24
	s_addc_u32 s15, s21, s25
	s_ashr_i32 s7, s6, 31
	s_lshl_b64 s[20:21], s[6:7], 1
	s_add_u32 s20, s13, s20
	s_addc_u32 s21, s15, s21
	global_load_dwordx4 v[1:4], v5, s[20:21]
	s_waitcnt vmcnt(0)
	ds_write_b128 v5, v[1:4]
.LBB290_4:
	s_or_b32 exec_lo, exec_lo, s12
	s_waitcnt lgkmcnt(0)
	s_add_i32 s7, s11, 31
	s_clause 0x2
	s_load_dwordx2 s[20:21], s[4:5], 0x0
	s_load_dwordx2 s[24:25], s[4:5], 0x18
	s_load_dword s19, s[4:5], 0x38
	s_ashr_i32 s12, s7, 31
	s_xor_b32 s0, s0, s1
	s_lshr_b32 s12, s12, 27
	s_add_i32 s27, s26, 1
	s_add_i32 s7, s7, s12
	s_mul_i32 s12, s26, s2
	s_ashr_i32 s16, s7, 5
	s_sub_i32 s1, s14, s12
	s_clause 0x1
	s_load_dword s7, s[4:5], 0x88
	s_load_dwordx4 s[12:15], s[4:5], 0x58
	s_sub_i32 s29, s1, s2
	s_cmp_ge_u32 s1, s2
	v_lshrrev_b32_e32 v11, 5, v0
	s_cselect_b32 s26, s27, s26
	s_cselect_b32 s1, s29, s1
	s_add_i32 s27, s26, 1
	s_cmp_ge_u32 s1, s2
	v_and_b32_e32 v12, 31, v0
	s_cselect_b32 s1, s27, s26
	v_mov_b32_e32 v15, 0xff7fffff
	s_xor_b32 s1, s1, s0
	v_lshrrev_b32_e32 v13, 3, v0
	s_sub_i32 s1, s1, s0
	v_cmp_gt_i32_e64 s0, s16, v11
	v_lshlrev_b32_e32 v14, 2, v12
	s_waitcnt lgkmcnt(0)
	s_mul_i32 s26, s19, s10
	s_mul_i32 s18, s1, s18
	s_ashr_i32 s27, s26, 31
	s_barrier
	buffer_gl0_inv
	s_and_saveexec_b32 s19, s0
	s_cbranch_execz .LBB290_520
; %bb.5:
	s_load_dwordx2 s[4:5], s[4:5], 0x10
	v_lshlrev_b32_e32 v1, 4, v12
	v_lshl_or_b32 v3, v11, 7, v14
	s_ashr_i32 s1, s18, 31
	v_and_b32_e32 v5, 0x7c, v13
	v_mov_b32_e32 v2, 0
	v_cmp_neq_f32_e64 vcc_lo, s28, 0
	v_add_nc_u32_e32 v19, 0xa0, v3
	v_lshl_or_b32 v16, v11, 5, v12
	v_mov_b32_e32 v15, 0xff7fffff
	v_mov_b32_e32 v17, 0x80
	;; [unrolled: 1-line block ×6, first 2 shown]
	s_mov_b32 s29, s17
	s_mov_b32 s31, 0
	s_waitcnt lgkmcnt(0)
	s_add_u32 s2, s4, s18
	s_addc_u32 s1, s5, s1
	s_lshl_b64 s[4:5], s[26:27], 2
	v_add_co_u32 v3, s2, s2, v1
	s_sub_i32 s30, 1, s11
	v_add_co_ci_u32_e64 v4, null, s1, 0, s2
	s_add_u32 s1, s22, s4
	s_addc_u32 s2, s23, s5
	v_add_co_u32 v5, s1, s1, v5
	v_add_co_ci_u32_e64 v6, null, s2, 0, s1
	s_mov_b32 s4, -1
	s_mov_b32 s5, 0xffffff
	s_branch .LBB290_10
.LBB290_6:                              ;   in Loop: Header=BB290_10 Depth=1
	s_or_b32 exec_lo, exec_lo, s35
	v_lshlrev_b32_e32 v1, 8, v1
	v_lshl_add_u32 v8, v8, 10, 0x2000
	v_lshlrev_b32_e32 v7, 23, v7
	v_and_or_b32 v1, 0x8000, v1, v8
	v_lshl_or_b32 v7, v1, 16, v7
.LBB290_7:                              ;   in Loop: Header=BB290_10 Depth=1
	s_or_b32 exec_lo, exec_lo, s34
.LBB290_8:                              ;   in Loop: Header=BB290_10 Depth=1
	s_or_b32 exec_lo, exec_lo, s33
.LBB290_9:                              ;   in Loop: Header=BB290_10 Depth=1
	s_or_b32 exec_lo, exec_lo, s2
	ds_read_b128 v[85:88], v2
	v_or_b32_e32 v1, v28, v26
	v_or_b32_e32 v24, v25, v24
	v_fma_mixlo_f16 v8, v23, v28, 0 op_sel:[0,1,0] op_sel_hi:[0,1,0]
	v_or_b32_e32 v26, v30, v27
	v_or_b32_e32 v28, v32, v29
	v_fma_mixlo_f16 v25, v23, v25, 0 op_sel:[0,1,0] op_sel_hi:[0,1,0]
	v_fma_mixlo_f16 v24, v23, v24, 0 op_sel_hi:[0,1,0]
	v_fma_mixlo_f16 v1, v23, v1, 0 op_sel_hi:[0,1,0]
	v_fma_mixlo_f16 v27, v23, v30, 0 op_sel:[0,1,0] op_sel_hi:[0,1,0]
	v_fma_mixlo_f16 v89, v23, v32, 0 op_sel:[0,1,0] op_sel_hi:[0,1,0]
	v_fma_mixlo_f16 v29, v23, v26, 0 op_sel_hi:[0,1,0]
	v_fma_mixlo_f16 v90, v23, v28, 0 op_sel_hi:[0,1,0]
	v_and_b32_e32 v28, 0xffff, v25
	v_and_b32_e32 v26, 0xffff, v24
	;; [unrolled: 1-line block ×6, first 2 shown]
	v_or_b32_e32 v37, v40, v37
	s_waitcnt lgkmcnt(0)
	v_and_b32_e32 v24, 0xffff, v85
	v_lshrrev_b32_e32 v25, 16, v85
	v_lshrrev_b32_e32 v85, 16, v86
	v_and_b32_e32 v30, 0xffff, v86
	;;#ASMSTART
	v_cvt_f32_f16 v24, v24;
	;;#ASMEND
	;;#ASMSTART
	v_cvt_f32_f16 v25, v25;
	;;#ASMEND
	;; [unrolled: 3-line block ×6, first 2 shown]
	v_and_b32_e32 v28, 0xffff, v87
	v_lshrrev_b32_e32 v85, 16, v87
	;;#ASMSTART
	v_cvt_f32_f16 v92, v1;
	;;#ASMEND
	;;#ASMSTART
	v_cvt_f32_f16 v93, v8;
	;;#ASMEND
	v_and_b32_e32 v1, 0xffff, v27
	v_and_b32_e32 v8, 0xffff, v88
	v_lshrrev_b32_e32 v27, 16, v88
	v_and_b32_e32 v88, 0xffff, v90
	;;#ASMSTART
	v_cvt_f32_f16 v28, v28;
	;;#ASMEND
	;;#ASMSTART
	v_cvt_f32_f16 v85, v85;
	;;#ASMEND
	;; [unrolled: 3-line block ×8, first 2 shown]
	ds_read_b128 v[94:97], v2 offset:16
	v_or_b32_e32 v1, v36, v34
	v_or_b32_e32 v27, v33, v31
	;; [unrolled: 1-line block ×3, first 2 shown]
	v_fma_mixlo_f16 v8, v23, v36, 0 op_sel:[0,1,0] op_sel_hi:[0,1,0]
	v_fma_mixlo_f16 v36, v23, v42, 0 op_sel:[0,1,0] op_sel_hi:[0,1,0]
	v_fma_mixlo_f16 v31, v23, v1, 0 op_sel_hi:[0,1,0]
	v_fma_mixlo_f16 v1, v23, v33, 0 op_sel:[0,1,0] op_sel_hi:[0,1,0]
	v_or_b32_e32 v33, v38, v35
	v_fma_mixlo_f16 v27, v23, v27, 0 op_sel_hi:[0,1,0]
	v_fma_mixlo_f16 v35, v23, v38, 0 op_sel:[0,1,0] op_sel_hi:[0,1,0]
	v_fma_mixlo_f16 v34, v23, v34, 0 op_sel_hi:[0,1,0]
	v_and_b32_e32 v42, 0xffff, v1
	v_fma_mixlo_f16 v33, v23, v33, 0 op_sel_hi:[0,1,0]
	v_and_b32_e32 v27, 0xffff, v27
	v_and_b32_e32 v8, 0xffff, v8
	;; [unrolled: 1-line block ×3, first 2 shown]
	v_fma_mixlo_f16 v40, v23, v40, 0 op_sel:[0,1,0] op_sel_hi:[0,1,0]
	v_and_b32_e32 v33, 0xffff, v33
	v_fma_mixlo_f16 v37, v23, v37, 0 op_sel_hi:[0,1,0]
	s_waitcnt lgkmcnt(0)
	v_and_b32_e32 v38, 0xffff, v94
	v_lshrrev_b32_e32 v39, 16, v94
	;;#ASMSTART
	v_cvt_f32_f16 v38, v38;
	;;#ASMEND
	;;#ASMSTART
	v_cvt_f32_f16 v39, v39;
	;;#ASMEND
	v_and_b32_e32 v94, 0xffff, v95
	;;#ASMSTART
	v_cvt_f32_f16 v1, v27;
	;;#ASMEND
	;;#ASMSTART
	v_cvt_f32_f16 v100, v42;
	;;#ASMEND
	v_and_b32_e32 v42, 0xffff, v96
	v_lshrrev_b32_e32 v95, 16, v95
	v_mul_f32_e32 v1, v38, v1
	;;#ASMSTART
	v_cvt_f32_f16 v38, v94;
	;;#ASMEND
	;;#ASMSTART
	v_cvt_f32_f16 v101, v95;
	;;#ASMEND
	v_and_b32_e32 v27, 0xffff, v31
	v_lshrrev_b32_e32 v94, 16, v96
	;;#ASMSTART
	v_cvt_f32_f16 v31, v27;
	;;#ASMEND
	;;#ASMSTART
	v_cvt_f32_f16 v96, v8;
	;;#ASMEND
	;; [unrolled: 3-line block ×5, first 2 shown]
	v_and_b32_e32 v8, 0xffff, v35
	v_lshrrev_b32_e32 v33, 16, v97
	v_and_b32_e32 v35, 0xffff, v36
	v_and_b32_e32 v27, 0xffff, v97
	;;#ASMSTART
	v_cvt_f32_f16 v97, v8;
	;;#ASMEND
	;;#ASMSTART
	v_cvt_f32_f16 v98, v27;
	;;#ASMEND
	;; [unrolled: 3-line block ×5, first 2 shown]
	ds_read_b128 v[33:36], v2 offset:32
	v_or_b32_e32 v8, v44, v41
	v_or_b32_e32 v41, v46, v43
	;; [unrolled: 1-line block ×3, first 2 shown]
	v_fma_mixlo_f16 v44, v23, v44, 0 op_sel:[0,1,0] op_sel_hi:[0,1,0]
	v_fma_mixlo_f16 v105, v23, v46, 0 op_sel:[0,1,0] op_sel_hi:[0,1,0]
	v_fma_mixlo_f16 v104, v23, v8, 0 op_sel_hi:[0,1,0]
	v_mul_f32_e32 v8, v39, v100
	v_fma_mixlo_f16 v39, v23, v41, 0 op_sel_hi:[0,1,0]
	v_fma_mixlo_f16 v43, v23, v43, 0 op_sel_hi:[0,1,0]
	v_fma_mixlo_f16 v100, v23, v50, 0 op_sel:[0,1,0] op_sel_hi:[0,1,0]
	v_fmac_f32_e32 v1, v24, v26
	v_fmac_f32_e32 v8, v25, v32
	v_mul_f32_e32 v26, v38, v31
	v_mul_f32_e32 v25, v101, v96
	v_or_b32_e32 v107, v84, v78
	v_fma_mixlo_f16 v27, v23, v84, 0 op_sel:[0,1,0] op_sel_hi:[0,1,0]
	v_or_b32_e32 v84, v73, v75
	v_mul_f32_e32 v24, v102, v103
	v_and_b32_e32 v38, 0xffff, v43
	s_waitcnt lgkmcnt(0)
	v_and_b32_e32 v32, 0xffff, v33
	v_lshrrev_b32_e32 v31, 16, v33
	;;#ASMSTART
	v_cvt_f32_f16 v96, v32;
	;;#ASMEND
	v_and_b32_e32 v32, 0xffff, v37
	v_and_b32_e32 v33, 0xffff, v40
	;; [unrolled: 1-line block ×3, first 2 shown]
	v_lshrrev_b32_e32 v34, 16, v34
	;;#ASMSTART
	v_cvt_f32_f16 v75, v31;
	;;#ASMEND
	;;#ASMSTART
	v_cvt_f32_f16 v102, v32;
	;;#ASMEND
	;; [unrolled: 3-line block ×5, first 2 shown]
	v_and_b32_e32 v31, 0xffff, v104
	v_and_b32_e32 v32, 0xffff, v44
	;; [unrolled: 1-line block ×3, first 2 shown]
	v_lshrrev_b32_e32 v34, 16, v35
	v_and_b32_e32 v35, 0xffff, v39
	v_and_b32_e32 v39, 0xffff, v100
	;;#ASMSTART
	v_cvt_f32_f16 v44, v31;
	;;#ASMEND
	;;#ASMSTART
	v_cvt_f32_f16 v46, v32;
	;;#ASMEND
	;;#ASMSTART
	v_cvt_f32_f16 v47, v33;
	;;#ASMEND
	;;#ASMSTART
	v_cvt_f32_f16 v34, v34;
	;;#ASMEND
	;;#ASMSTART
	v_cvt_f32_f16 v50, v35;
	;;#ASMEND
	v_and_b32_e32 v31, 0xffff, v105
	v_and_b32_e32 v32, 0xffff, v36
	v_lshrrev_b32_e32 v33, 16, v36
	;;#ASMSTART
	v_cvt_f32_f16 v35, v31;
	;;#ASMEND
	;;#ASMSTART
	v_cvt_f32_f16 v36, v32;
	;;#ASMEND
	;; [unrolled: 3-line block ×5, first 2 shown]
	ds_read_b128 v[103:106], v2 offset:48
	v_or_b32_e32 v45, v48, v45
	v_or_b32_e32 v43, v52, v49
	;; [unrolled: 1-line block ×4, first 2 shown]
	v_fma_mixlo_f16 v48, v23, v48, 0 op_sel:[0,1,0] op_sel_hi:[0,1,0]
	v_fma_mixlo_f16 v45, v23, v45, 0 op_sel_hi:[0,1,0]
	v_or_b32_e32 v108, v77, v83
	v_fma_mixlo_f16 v52, v23, v52, 0 op_sel:[0,1,0] op_sel_hi:[0,1,0]
	v_fma_mixlo_f16 v43, v23, v43, 0 op_sel_hi:[0,1,0]
	v_fma_mixlo_f16 v83, v23, v49, 0 op_sel_hi:[0,1,0]
	v_fma_mixlo_f16 v100, v23, v54, 0 op_sel:[0,1,0] op_sel_hi:[0,1,0]
	v_fma_mixlo_f16 v51, v23, v51, 0 op_sel_hi:[0,1,0]
	v_fma_mixlo_f16 v101, v23, v58, 0 op_sel:[0,1,0] op_sel_hi:[0,1,0]
	v_fmac_f32_e32 v26, v30, v92
	v_fmac_f32_e32 v24, v28, v29
	v_mul_f32_e32 v29, v42, v97
	v_fma_mixlo_f16 v31, v23, v107, 0 op_sel_hi:[0,1,0]
	v_fma_mixlo_f16 v32, v23, v73, 0 op_sel:[0,1,0] op_sel_hi:[0,1,0]
	v_or_b32_e32 v107, v74, v76
	s_waitcnt lgkmcnt(0)
	v_and_b32_e32 v30, 0xffff, v103
	v_lshrrev_b32_e32 v42, 16, v103
	;;#ASMSTART
	v_cvt_f32_f16 v49, v30;
	;;#ASMEND
	v_and_b32_e32 v30, 0xffff, v45
	v_and_b32_e32 v45, 0xffff, v48
	;; [unrolled: 1-line block ×3, first 2 shown]
	v_lshrrev_b32_e32 v76, 16, v104
	;;#ASMSTART
	v_cvt_f32_f16 v54, v42;
	;;#ASMEND
	;;#ASMSTART
	v_cvt_f32_f16 v55, v30;
	;;#ASMEND
	;; [unrolled: 3-line block ×4, first 2 shown]
	v_and_b32_e32 v30, 0xffff, v43
	v_and_b32_e32 v42, 0xffff, v52
	;; [unrolled: 1-line block ×3, first 2 shown]
	v_lshrrev_b32_e32 v45, 16, v105
	v_and_b32_e32 v48, 0xffff, v83
	v_fma_mixlo_f16 v33, v23, v84, 0 op_sel_hi:[0,1,0]
	v_fmac_f32_e32 v25, v91, v93
	v_mul_f32_e32 v28, v98, v99
	;;#ASMSTART
	v_cvt_f32_f16 v76, v76;
	;;#ASMEND
	;;#ASMSTART
	v_cvt_f32_f16 v83, v30;
	;;#ASMEND
	;; [unrolled: 3-line block ×6, first 2 shown]
	v_and_b32_e32 v30, 0xffff, v100
	v_and_b32_e32 v42, 0xffff, v106
	v_lshrrev_b32_e32 v43, 16, v106
	v_and_b32_e32 v45, 0xffff, v51
	v_and_b32_e32 v48, 0xffff, v101
	;;#ASMSTART
	v_cvt_f32_f16 v97, v30;
	;;#ASMEND
	;;#ASMSTART
	v_cvt_f32_f16 v98, v42;
	;;#ASMEND
	;; [unrolled: 3-line block ×5, first 2 shown]
	ds_read_b128 v[103:106], v2 offset:64
	v_or_b32_e32 v30, v60, v57
	v_or_b32_e32 v52, v56, v53
	v_fma_mixlo_f16 v56, v23, v56, 0 op_sel:[0,1,0] op_sel_hi:[0,1,0]
	v_fma_mixlo_f16 v51, v23, v60, 0 op_sel:[0,1,0] op_sel_hi:[0,1,0]
	;; [unrolled: 1-line block ×3, first 2 shown]
	v_fma_mixlo_f16 v53, v23, v30, 0 op_sel_hi:[0,1,0]
	v_or_b32_e32 v30, v62, v59
	v_or_b32_e32 v59, v65, v63
	v_fma_mixlo_f16 v52, v23, v52, 0 op_sel_hi:[0,1,0]
	v_fma_mixlo_f16 v63, v23, v65, 0 op_sel:[0,1,0] op_sel_hi:[0,1,0]
	v_or_b32_e32 v57, v67, v68
	v_fma_mixlo_f16 v62, v23, v30, 0 op_sel_hi:[0,1,0]
	v_mul_f32_e32 v30, v94, v95
	v_fma_mixlo_f16 v59, v23, v59, 0 op_sel_hi:[0,1,0]
	v_and_b32_e32 v52, 0xffff, v52
	v_and_b32_e32 v56, 0xffff, v56
	v_fma_mixlo_f16 v45, v23, v74, 0 op_sel:[0,1,0] op_sel_hi:[0,1,0]
	v_fmac_f32_e32 v29, v85, v90
	v_fmac_f32_e32 v28, v86, v88
	s_waitcnt lgkmcnt(0)
	v_and_b32_e32 v65, 0xffff, v103
	v_lshrrev_b32_e32 v68, 16, v103
	v_fmac_f32_e32 v30, v87, v89
	;;#ASMSTART
	v_cvt_f32_f16 v88, v65;
	;;#ASMEND
	v_and_b32_e32 v65, 0xffff, v104
	v_lshrrev_b32_e32 v85, 16, v104
	;;#ASMSTART
	v_cvt_f32_f16 v68, v68;
	;;#ASMEND
	;;#ASMSTART
	v_cvt_f32_f16 v89, v52;
	;;#ASMEND
	;; [unrolled: 3-line block ×3, first 2 shown]
	v_and_b32_e32 v52, 0xffff, v53
	v_and_b32_e32 v51, 0xffff, v51
	;; [unrolled: 1-line block ×3, first 2 shown]
	v_lshrrev_b32_e32 v56, 16, v105
	v_and_b32_e32 v62, 0xffff, v62
	v_fma_mixlo_f16 v43, v23, v77, 0 op_sel:[0,1,0] op_sel_hi:[0,1,0]
	;;#ASMSTART
	v_cvt_f32_f16 v77, v65;
	;;#ASMEND
	;;#ASMSTART
	v_cvt_f32_f16 v85, v85;
	;;#ASMEND
	;; [unrolled: 3-line block ×7, first 2 shown]
	v_and_b32_e32 v56, 0xffff, v60
	v_and_b32_e32 v60, 0xffff, v106
	v_lshrrev_b32_e32 v62, 16, v106
	v_and_b32_e32 v65, 0xffff, v59
	v_fmac_f32_e32 v1, v96, v102
	v_and_b32_e32 v90, 0xffff, v63
	;;#ASMSTART
	v_cvt_f32_f16 v59, v56;
	;;#ASMEND
	;;#ASMSTART
	v_cvt_f32_f16 v60, v60;
	;;#ASMEND
	;; [unrolled: 3-line block ×5, first 2 shown]
	ds_read_b128 v[102:105], v2 offset:80
	v_or_b32_e32 v56, v64, v61
	v_fma_mixlo_f16 v90, v23, v57, 0 op_sel_hi:[0,1,0]
	v_or_b32_e32 v57, v69, v66
	v_fma_mixlo_f16 v61, v23, v64, 0 op_sel:[0,1,0] op_sel_hi:[0,1,0]
	v_add_nc_u32_e32 v66, s30, v16
	v_fma_mixlo_f16 v64, v23, v56, 0 op_sel_hi:[0,1,0]
	v_or_b32_e32 v56, v71, v70
	v_fma_mixlo_f16 v67, v23, v67, 0 op_sel:[0,1,0] op_sel_hi:[0,1,0]
	v_fma_mixlo_f16 v94, v23, v69, 0 op_sel:[0,1,0] op_sel_hi:[0,1,0]
	v_fma_mixlo_f16 v69, v23, v57, 0 op_sel_hi:[0,1,0]
	v_fma_mixlo_f16 v96, v23, v71, 0 op_sel:[0,1,0] op_sel_hi:[0,1,0]
	v_fma_mixlo_f16 v95, v23, v56, 0 op_sel_hi:[0,1,0]
	v_fmac_f32_e32 v26, v40, v44
	v_or_b32_e32 v57, v82, v10
	v_cvt_f32_i32_e32 v10, v66
	v_fmac_f32_e32 v25, v41, v46
	v_fmac_f32_e32 v24, v47, v50
	v_and_b32_e32 v41, 0xffff, v64
	v_and_b32_e32 v50, 0xffff, v61
	s_waitcnt lgkmcnt(0)
	v_lshrrev_b32_e32 v40, 16, v102
	v_and_b32_e32 v66, 0xffff, v102
	;;#ASMSTART
	v_cvt_f32_f16 v44, v66;
	;;#ASMEND
	v_and_b32_e32 v61, 0xffff, v103
	v_lshrrev_b32_e32 v64, 16, v103
	;;#ASMSTART
	v_cvt_f32_f16 v46, v40;
	;;#ASMEND
	v_and_b32_e32 v40, 0xffff, v90
	v_or_b32_e32 v106, v9, v72
	;;#ASMSTART
	v_cvt_f32_f16 v47, v41;
	;;#ASMEND
	;;#ASMSTART
	v_cvt_f32_f16 v50, v50;
	;;#ASMEND
	;; [unrolled: 3-line block ×4, first 2 shown]
	v_and_b32_e32 v41, 0xffff, v67
	v_and_b32_e32 v70, 0xffff, v104
	v_lshrrev_b32_e32 v71, 16, v104
	v_and_b32_e32 v72, 0xffff, v69
	;;#ASMSTART
	v_cvt_f32_f16 v66, v40;
	;;#ASMEND
	v_and_b32_e32 v40, 0xffff, v94
	v_and_b32_e32 v94, 0xffff, v96
	v_fma_mixlo_f16 v48, v23, v107, 0 op_sel_hi:[0,1,0]
	v_fma_mixlo_f16 v56, v23, v82, 0 op_sel:[0,1,0] op_sel_hi:[0,1,0]
	v_or_b32_e32 v107, v79, v81
	v_fmac_f32_e32 v8, v75, v78
	;;#ASMSTART
	v_cvt_f32_f16 v67, v41;
	;;#ASMEND
	;;#ASMSTART
	v_cvt_f32_f16 v69, v70;
	;;#ASMEND
	;; [unrolled: 3-line block ×4, first 2 shown]
	v_and_b32_e32 v41, 0xffff, v105
	v_lshrrev_b32_e32 v72, 16, v105
	v_and_b32_e32 v75, 0xffff, v95
	;;#ASMSTART
	v_cvt_f32_f16 v78, v40;
	;;#ASMEND
	;;#ASMSTART
	v_cvt_f32_f16 v81, v41;
	;;#ASMEND
	;; [unrolled: 3-line block ×5, first 2 shown]
	ds_read_b128 v[102:105], v2 offset:96
	v_or_b32_e32 v80, v7, v80
	v_fma_mixlo_f16 v42, v23, v108, 0 op_sel_hi:[0,1,0]
	v_fmac_f32_e32 v8, v54, v58
	v_fma_mixlo_f16 v57, v23, v57, 0 op_sel_hi:[0,1,0]
	v_fma_mixlo_f16 v72, v23, v9, 0 op_sel:[0,1,0] op_sel_hi:[0,1,0]
	v_fma_mixlo_f16 v75, v23, v106, 0 op_sel_hi:[0,1,0]
	v_fma_mixlo_f16 v40, v23, v79, 0 op_sel:[0,1,0] op_sel_hi:[0,1,0]
	v_fma_mixlo_f16 v41, v23, v107, 0 op_sel_hi:[0,1,0]
	v_fma_mixlo_f16 v9, v23, v80, 0 op_sel_hi:[0,1,0]
	v_fma_mixlo_f16 v7, v23, v7, 0 op_sel:[0,1,0] op_sel_hi:[0,1,0]
	v_fmac_f32_e32 v29, v34, v35
	v_and_b32_e32 v33, 0xffff, v33
	v_and_b32_e32 v32, 0xffff, v32
	v_fmac_f32_e32 v28, v36, v38
	v_fmac_f32_e32 v30, v37, v39
	v_and_b32_e32 v31, 0xffff, v31
	v_fmac_f32_e32 v1, v49, v55
	v_fmac_f32_e32 v8, v68, v74
	v_and_b32_e32 v55, 0xffff, v48
	s_waitcnt lgkmcnt(0)
	v_and_b32_e32 v23, 0xffff, v102
	v_lshrrev_b32_e32 v34, 16, v102
	;;#ASMSTART
	v_cvt_f32_f16 v23, v23;
	;;#ASMEND
	v_and_b32_e32 v38, 0xffff, v103
	v_lshrrev_b32_e32 v39, 16, v103
	;;#ASMSTART
	v_cvt_f32_f16 v35, v34;
	;;#ASMEND
	;;#ASMSTART
	v_cvt_f32_f16 v36, v33;
	;;#ASMEND
	;; [unrolled: 3-line block ×3, first 2 shown]
	v_and_b32_e32 v32, 0xffff, v27
	v_and_b32_e32 v33, 0xffff, v104
	v_lshrrev_b32_e32 v34, 16, v104
	;;#ASMSTART
	v_cvt_f32_f16 v38, v38;
	;;#ASMEND
	;;#ASMSTART
	v_cvt_f32_f16 v39, v39;
	;;#ASMEND
	;; [unrolled: 3-line block ×6, first 2 shown]
	v_and_b32_e32 v31, 0xffff, v45
	v_and_b32_e32 v32, 0xffff, v105
	v_lshrrev_b32_e32 v33, 16, v105
	v_and_b32_e32 v34, 0xffff, v42
	v_and_b32_e32 v68, 0xffff, v43
	;;#ASMSTART
	v_cvt_f32_f16 v55, v55;
	;;#ASMEND
	;;#ASMSTART
	v_cvt_f32_f16 v42, v31;
	;;#ASMEND
	;; [unrolled: 3-line block ×6, first 2 shown]
	ds_read_b128 v[31:34], v2 offset:112
	v_fmac_f32_e32 v26, v73, v83
	v_fmac_f32_e32 v1, v88, v89
	v_fmac_f32_e32 v25, v76, v84
	v_fmac_f32_e32 v8, v46, v50
	v_fmac_f32_e32 v24, v91, v93
	v_fmac_f32_e32 v26, v77, v86
	v_fmac_f32_e32 v1, v44, v47
	v_fmac_f32_e32 v25, v85, v87
	v_fmac_f32_e32 v8, v35, v37
	v_and_b32_e32 v35, 0xffff, v72
	v_fmac_f32_e32 v26, v61, v66
	v_fmac_f32_e32 v1, v23, v36
	;; [unrolled: 1-line block ×9, first 2 shown]
	s_waitcnt lgkmcnt(0)
	v_and_b32_e32 v23, 0xffff, v31
	v_lshrrev_b32_e32 v27, 16, v31
	v_and_b32_e32 v31, 0xffff, v75
	;;#ASMSTART
	v_cvt_f32_f16 v23, v23;
	;;#ASMEND
	;;#ASMSTART
	v_cvt_f32_f16 v27, v27;
	;;#ASMEND
	;; [unrolled: 3-line block ×4, first 2 shown]
	v_fmac_f32_e32 v1, v23, v31
	v_fmac_f32_e32 v8, v27, v35
	v_and_b32_e32 v23, 0xffff, v32
	v_lshrrev_b32_e32 v31, 16, v32
	v_fmac_f32_e32 v25, v39, v48
	v_and_b32_e32 v32, 0xffff, v57
	;;#ASMSTART
	v_cvt_f32_f16 v23, v23;
	;;#ASMEND
	;;#ASMSTART
	v_cvt_f32_f16 v27, v31;
	;;#ASMEND
	;; [unrolled: 3-line block ×3, first 2 shown]
	v_fmac_f32_e32 v26, v23, v31
	v_add_f32_e32 v1, v1, v8
	v_fmac_f32_e32 v30, v99, v101
	v_fmac_f32_e32 v28, v60, v63
	;; [unrolled: 1-line block ×4, first 2 shown]
	v_and_b32_e32 v36, 0xffff, v56
	;;#ASMSTART
	v_cvt_f32_f16 v32, v36;
	;;#ASMEND
	v_fmac_f32_e32 v25, v27, v32
	v_add_f32_e32 v1, v1, v26
	v_and_b32_e32 v23, 0xffff, v33
	v_fmac_f32_e32 v30, v62, v65
	v_fmac_f32_e32 v28, v81, v90
	;; [unrolled: 1-line block ×3, first 2 shown]
	v_lshrrev_b32_e32 v27, 16, v33
	v_and_b32_e32 v31, 0xffff, v41
	;;#ASMSTART
	v_cvt_f32_f16 v8, v23;
	;;#ASMEND
	;;#ASMSTART
	v_cvt_f32_f16 v23, v27;
	;;#ASMEND
	;; [unrolled: 3-line block ×3, first 2 shown]
	v_fmac_f32_e32 v24, v8, v26
	v_add_f32_e32 v1, v25, v1
	v_fmac_f32_e32 v30, v82, v94
	v_fmac_f32_e32 v28, v43, v58
	v_and_b32_e32 v32, 0xffff, v40
	;;#ASMSTART
	v_cvt_f32_f16 v27, v32;
	;;#ASMEND
	v_fmac_f32_e32 v29, v23, v27
	v_add_f32_e32 v1, v1, v24
	v_and_b32_e32 v8, 0xffff, v34
	v_fmac_f32_e32 v30, v45, v68
	v_lshrrev_b32_e32 v25, 16, v34
	v_and_b32_e32 v26, 0xffff, v9
	;;#ASMSTART
	v_cvt_f32_f16 v8, v8;
	;;#ASMEND
	;;#ASMSTART
	v_cvt_f32_f16 v9, v25;
	;;#ASMEND
	;; [unrolled: 3-line block ×3, first 2 shown]
	v_fmac_f32_e32 v28, v8, v23
	v_add_f32_e32 v1, v29, v1
	v_and_b32_e32 v24, 0xffff, v7
	v_mul_f32_e32 v7, s28, v10
	;;#ASMSTART
	v_cvt_f32_f16 v8, v24;
	;;#ASMEND
	v_fmac_f32_e32 v30, v9, v8
	v_add_f32_e32 v1, v1, v28
	v_cmp_gt_i32_e64 s1, s11, v16
	v_cndmask_b32_e32 v7, 0, v7, vcc_lo
	v_add_nc_u32_e32 v22, 4, v22
	v_add_co_u32 v5, s2, v5, 16
	v_add_f32_e32 v1, v30, v1
	v_add_nc_u32_e32 v16, 0x80, v16
	v_add_co_ci_u32_e64 v6, null, 0, v6, s2
	v_fmac_f32_e32 v7, s3, v1
	v_max_f32_e32 v1, v15, v15
	v_cndmask_b32_e64 v8, 0, v7, s1
	v_max_f32_e32 v1, v1, v7
	ds_write_b32 v19, v8
	v_cndmask_b32_e64 v15, v15, v1, s1
	v_cmp_le_i32_e64 s1, s16, v22
	v_add_nc_u32_e32 v19, 0x200, v19
	s_or_b32 s31, s1, s31
	s_andn2_b32 exec_lo, exec_lo, s31
	s_cbranch_execz .LBB290_519
.LBB290_10:                             ; =>This Inner Loop Header: Depth=1
	global_load_dword v1, v[5:6], off
	v_mov_b32_e32 v24, 0
	s_waitcnt vmcnt(0)
	v_mad_i64_i32 v[7:8], null, v1, s29, v[3:4]
	global_load_dwordx2 v[9:10], v[7:8], off
	global_load_dword v23, v2, s[12:13]
	s_waitcnt vmcnt(1)
	v_cmp_ne_u16_sdwa s1, v9, v2 src0_sel:BYTE_0 src1_sel:DWORD
	s_and_saveexec_b32 s2, s1
	s_cbranch_execz .LBB290_18
; %bb.11:                               ;   in Loop: Header=BB290_10 Depth=1
	v_cmp_ne_u16_sdwa s1, v9, v17 src0_sel:BYTE_0 src1_sel:DWORD
	v_mov_b32_e32 v24, 0x8000
	s_and_saveexec_b32 s33, s1
	s_cbranch_execz .LBB290_17
; %bb.12:                               ;   in Loop: Header=BB290_10 Depth=1
	v_and_b32_e32 v25, 0x7f, v9
	v_mov_b32_e32 v24, 0x7c01
	s_mov_b32 s34, exec_lo
	v_cmpx_ne_u32_e32 0x7f, v25
	s_cbranch_execz .LBB290_16
; %bb.13:                               ;   in Loop: Header=BB290_10 Depth=1
	v_and_b32_e32 v1, 7, v9
	v_lshrrev_b32_e32 v24, 3, v25
	s_mov_b32 s35, exec_lo
	v_cmpx_gt_u32_e32 8, v25
; %bb.14:                               ;   in Loop: Header=BB290_10 Depth=1
	v_ffbh_u32_e32 v1, v1
	v_min_u32_e32 v1, 32, v1
	v_subrev_nc_u32_e32 v24, 28, v1
	v_lshlrev_b64 v[25:26], v24, v[9:10]
	v_sub_nc_u32_e32 v24, 29, v1
	v_and_b32_e32 v1, 7, v25
; %bb.15:                               ;   in Loop: Header=BB290_10 Depth=1
	s_or_b32 exec_lo, exec_lo, s35
	v_lshlrev_b32_e32 v25, 8, v9
	v_lshl_add_u32 v24, v24, 10, 0x2000
	v_lshlrev_b32_e32 v1, 7, v1
	v_and_b32_e32 v25, 0x8000, v25
	v_and_b32_e32 v24, 0xfc00, v24
	v_or3_b32 v24, v25, v24, v1
.LBB290_16:                             ;   in Loop: Header=BB290_10 Depth=1
	s_or_b32 exec_lo, exec_lo, s34
.LBB290_17:                             ;   in Loop: Header=BB290_10 Depth=1
	s_or_b32 exec_lo, exec_lo, s33
.LBB290_18:                             ;   in Loop: Header=BB290_10 Depth=1
	s_or_b32 exec_lo, exec_lo, s2
	v_lshrrev_b16 v1, 8, v9
	v_mov_b32_e32 v26, 0
	v_mov_b32_e32 v25, 0
	s_mov_b32 s2, exec_lo
	v_cmpx_ne_u16_e32 0, v1
	s_cbranch_execz .LBB290_26
; %bb.19:                               ;   in Loop: Header=BB290_10 Depth=1
	v_bfrev_b32_e32 v25, 1
	s_mov_b32 s33, exec_lo
	v_cmpx_ne_u16_e32 0x80, v1
	s_cbranch_execz .LBB290_25
; %bb.20:                               ;   in Loop: Header=BB290_10 Depth=1
	v_and_b32_sdwa v28, v1, v18 dst_sel:DWORD dst_unused:UNUSED_PAD src0_sel:WORD_0 src1_sel:DWORD
	v_mov_b32_e32 v25, 0x7c010000
	s_mov_b32 s34, exec_lo
	v_cmpx_ne_u32_e32 0x7f, v28
	s_cbranch_execz .LBB290_24
; %bb.21:                               ;   in Loop: Header=BB290_10 Depth=1
	v_and_b32_sdwa v25, v1, v20 dst_sel:DWORD dst_unused:UNUSED_PAD src0_sel:WORD_0 src1_sel:DWORD
	v_lshrrev_b32_e32 v27, 3, v28
	s_mov_b32 s35, exec_lo
	v_cmpx_gt_u32_e32 8, v28
; %bb.22:                               ;   in Loop: Header=BB290_10 Depth=1
	v_ffbh_u32_e32 v25, v25
	v_min_u32_e32 v25, 32, v25
	v_subrev_nc_u32_e32 v27, 28, v25
	v_lshlrev_b64 v[28:29], v27, v[1:2]
	v_sub_nc_u32_e32 v27, 29, v25
	v_and_b32_e32 v25, 7, v28
; %bb.23:                               ;   in Loop: Header=BB290_10 Depth=1
	s_or_b32 exec_lo, exec_lo, s35
	v_lshlrev_b32_sdwa v1, v21, v1 dst_sel:DWORD dst_unused:UNUSED_PAD src0_sel:DWORD src1_sel:WORD_0
	v_lshl_add_u32 v27, v27, 10, 0x2000
	v_lshlrev_b32_e32 v25, 23, v25
	v_and_or_b32 v1, 0x8000, v1, v27
	v_lshl_or_b32 v25, v1, 16, v25
.LBB290_24:                             ;   in Loop: Header=BB290_10 Depth=1
	s_or_b32 exec_lo, exec_lo, s34
.LBB290_25:                             ;   in Loop: Header=BB290_10 Depth=1
	s_or_b32 exec_lo, exec_lo, s33
.LBB290_26:                             ;   in Loop: Header=BB290_10 Depth=1
	s_or_b32 exec_lo, exec_lo, s2
	v_lshrrev_b32_e32 v1, 16, v9
	v_cmp_ne_u16_sdwa s1, v1, v2 src0_sel:BYTE_0 src1_sel:DWORD
	s_and_saveexec_b32 s2, s1
	s_cbranch_execz .LBB290_34
; %bb.27:                               ;   in Loop: Header=BB290_10 Depth=1
	v_cmp_ne_u16_sdwa s1, v1, v17 src0_sel:BYTE_0 src1_sel:DWORD
	v_mov_b32_e32 v26, 0x8000
	s_and_saveexec_b32 s33, s1
	s_cbranch_execz .LBB290_33
; %bb.28:                               ;   in Loop: Header=BB290_10 Depth=1
	v_bfe_u32 v28, v9, 16, 7
	v_mov_b32_e32 v26, 0x7c01
	s_mov_b32 s34, exec_lo
	v_cmpx_ne_u32_e32 0x7f, v28
	s_cbranch_execz .LBB290_32
; %bb.29:                               ;   in Loop: Header=BB290_10 Depth=1
	v_and_b32_e32 v26, 7, v1
	v_lshrrev_b32_e32 v27, 3, v28
	s_mov_b32 s35, exec_lo
	v_cmpx_gt_u32_e32 8, v28
; %bb.30:                               ;   in Loop: Header=BB290_10 Depth=1
	v_ffbh_u32_e32 v26, v26
	v_min_u32_e32 v28, 32, v26
	v_subrev_nc_u32_e32 v26, 28, v28
	v_lshlrev_b64 v[26:27], v26, v[1:2]
	v_sub_nc_u32_e32 v27, 29, v28
	v_and_b32_e32 v26, 7, v26
; %bb.31:                               ;   in Loop: Header=BB290_10 Depth=1
	s_or_b32 exec_lo, exec_lo, s35
	v_lshlrev_b32_e32 v1, 8, v1
	v_lshl_add_u32 v27, v27, 10, 0x2000
	v_lshlrev_b32_e32 v26, 7, v26
	v_and_b32_e32 v1, 0x8000, v1
	v_and_b32_e32 v27, 0xfc00, v27
	v_or3_b32 v26, v1, v27, v26
.LBB290_32:                             ;   in Loop: Header=BB290_10 Depth=1
	s_or_b32 exec_lo, exec_lo, s34
.LBB290_33:                             ;   in Loop: Header=BB290_10 Depth=1
	s_or_b32 exec_lo, exec_lo, s33
.LBB290_34:                             ;   in Loop: Header=BB290_10 Depth=1
	s_or_b32 exec_lo, exec_lo, s2
	v_mov_b32_e32 v27, 0
	v_mov_b32_e32 v28, 0
	s_mov_b32 s2, exec_lo
	v_cmpx_lt_u32_e32 0xffffff, v9
	s_cbranch_execz .LBB290_42
; %bb.35:                               ;   in Loop: Header=BB290_10 Depth=1
	v_lshrrev_b32_e32 v1, 24, v9
	v_bfrev_b32_e32 v28, 1
	s_mov_b32 s33, exec_lo
	v_cmpx_ne_u32_e32 0x80, v1
	s_cbranch_execz .LBB290_41
; %bb.36:                               ;   in Loop: Header=BB290_10 Depth=1
	v_and_b32_e32 v30, 0x7f, v1
	v_mov_b32_e32 v28, 0x7c010000
	s_mov_b32 s34, exec_lo
	v_cmpx_ne_u32_e32 0x7f, v30
	s_cbranch_execz .LBB290_40
; %bb.37:                               ;   in Loop: Header=BB290_10 Depth=1
	v_and_b32_e32 v28, 7, v1
	v_lshrrev_b32_e32 v29, 3, v30
	s_mov_b32 s35, exec_lo
	v_cmpx_gt_u32_e32 8, v30
; %bb.38:                               ;   in Loop: Header=BB290_10 Depth=1
	v_ffbh_u32_e32 v28, v28
	v_min_u32_e32 v30, 32, v28
	v_subrev_nc_u32_e32 v28, 28, v30
	v_lshlrev_b64 v[28:29], v28, v[1:2]
	v_sub_nc_u32_e32 v29, 29, v30
	v_and_b32_e32 v28, 7, v28
; %bb.39:                               ;   in Loop: Header=BB290_10 Depth=1
	s_or_b32 exec_lo, exec_lo, s35
	v_lshlrev_b32_e32 v1, 8, v1
	v_lshl_add_u32 v29, v29, 10, 0x2000
	v_lshlrev_b32_e32 v28, 23, v28
	v_and_or_b32 v1, 0x8000, v1, v29
	v_lshl_or_b32 v28, v1, 16, v28
.LBB290_40:                             ;   in Loop: Header=BB290_10 Depth=1
	s_or_b32 exec_lo, exec_lo, s34
.LBB290_41:                             ;   in Loop: Header=BB290_10 Depth=1
	s_or_b32 exec_lo, exec_lo, s33
.LBB290_42:                             ;   in Loop: Header=BB290_10 Depth=1
	s_or_b32 exec_lo, exec_lo, s2
	v_mov_b32_e32 v1, v10
	v_cmp_ne_u16_sdwa s1, v10, v2 src0_sel:BYTE_0 src1_sel:DWORD
	s_and_saveexec_b32 s2, s1
	s_cbranch_execz .LBB290_50
; %bb.43:                               ;   in Loop: Header=BB290_10 Depth=1
	v_cmp_ne_u16_sdwa s1, v10, v17 src0_sel:BYTE_0 src1_sel:DWORD
	v_mov_b32_e32 v27, 0x8000
	s_and_saveexec_b32 s33, s1
	s_cbranch_execz .LBB290_49
; %bb.44:                               ;   in Loop: Header=BB290_10 Depth=1
	v_and_b32_e32 v30, 0x7f, v10
	v_mov_b32_e32 v27, 0x7c01
	s_mov_b32 s34, exec_lo
	v_cmpx_ne_u32_e32 0x7f, v30
	s_cbranch_execz .LBB290_48
; %bb.45:                               ;   in Loop: Header=BB290_10 Depth=1
	v_and_b32_e32 v27, 7, v10
	v_lshrrev_b32_e32 v29, 3, v30
	s_mov_b32 s35, exec_lo
	v_cmpx_gt_u32_e32 8, v30
; %bb.46:                               ;   in Loop: Header=BB290_10 Depth=1
	v_ffbh_u32_e32 v27, v27
	v_min_u32_e32 v27, 32, v27
	v_subrev_nc_u32_e32 v29, 28, v27
	v_lshlrev_b64 v[30:31], v29, v[1:2]
	v_sub_nc_u32_e32 v29, 29, v27
	v_and_b32_e32 v27, 7, v30
; %bb.47:                               ;   in Loop: Header=BB290_10 Depth=1
	s_or_b32 exec_lo, exec_lo, s35
	v_lshlrev_b32_e32 v30, 8, v10
	v_lshl_add_u32 v29, v29, 10, 0x2000
	v_lshlrev_b32_e32 v27, 7, v27
	v_and_b32_e32 v30, 0x8000, v30
	v_and_b32_e32 v29, 0xfc00, v29
	v_or3_b32 v27, v30, v29, v27
.LBB290_48:                             ;   in Loop: Header=BB290_10 Depth=1
	s_or_b32 exec_lo, exec_lo, s34
.LBB290_49:                             ;   in Loop: Header=BB290_10 Depth=1
	s_or_b32 exec_lo, exec_lo, s33
.LBB290_50:                             ;   in Loop: Header=BB290_10 Depth=1
	s_or_b32 exec_lo, exec_lo, s2
	v_lshrrev_b16 v1, 8, v1
	v_mov_b32_e32 v29, 0
	v_mov_b32_e32 v30, 0
	s_mov_b32 s2, exec_lo
	v_cmpx_ne_u16_e32 0, v1
	s_cbranch_execz .LBB290_58
; %bb.51:                               ;   in Loop: Header=BB290_10 Depth=1
	v_bfrev_b32_e32 v30, 1
	s_mov_b32 s33, exec_lo
	v_cmpx_ne_u16_e32 0x80, v1
	s_cbranch_execz .LBB290_57
; %bb.52:                               ;   in Loop: Header=BB290_10 Depth=1
	v_and_b32_sdwa v32, v1, v18 dst_sel:DWORD dst_unused:UNUSED_PAD src0_sel:WORD_0 src1_sel:DWORD
	v_mov_b32_e32 v30, 0x7c010000
	s_mov_b32 s34, exec_lo
	v_cmpx_ne_u32_e32 0x7f, v32
	s_cbranch_execz .LBB290_56
; %bb.53:                               ;   in Loop: Header=BB290_10 Depth=1
	v_and_b32_sdwa v30, v1, v20 dst_sel:DWORD dst_unused:UNUSED_PAD src0_sel:WORD_0 src1_sel:DWORD
	v_lshrrev_b32_e32 v31, 3, v32
	s_mov_b32 s35, exec_lo
	v_cmpx_gt_u32_e32 8, v32
; %bb.54:                               ;   in Loop: Header=BB290_10 Depth=1
	v_ffbh_u32_e32 v30, v30
	v_min_u32_e32 v32, 32, v30
	v_subrev_nc_u32_e32 v30, 28, v32
	v_lshlrev_b64 v[30:31], v30, v[1:2]
	v_sub_nc_u32_e32 v31, 29, v32
	v_and_b32_e32 v30, 7, v30
; %bb.55:                               ;   in Loop: Header=BB290_10 Depth=1
	s_or_b32 exec_lo, exec_lo, s35
	v_lshlrev_b32_sdwa v1, v21, v1 dst_sel:DWORD dst_unused:UNUSED_PAD src0_sel:DWORD src1_sel:WORD_0
	v_lshl_add_u32 v31, v31, 10, 0x2000
	v_lshlrev_b32_e32 v30, 23, v30
	v_and_or_b32 v1, 0x8000, v1, v31
	v_lshl_or_b32 v30, v1, 16, v30
.LBB290_56:                             ;   in Loop: Header=BB290_10 Depth=1
	s_or_b32 exec_lo, exec_lo, s34
.LBB290_57:                             ;   in Loop: Header=BB290_10 Depth=1
	s_or_b32 exec_lo, exec_lo, s33
.LBB290_58:                             ;   in Loop: Header=BB290_10 Depth=1
	s_or_b32 exec_lo, exec_lo, s2
	v_lshrrev_b32_e32 v1, 16, v10
	v_cmp_ne_u16_sdwa s1, v1, v2 src0_sel:BYTE_0 src1_sel:DWORD
	s_and_saveexec_b32 s2, s1
	s_cbranch_execz .LBB290_66
; %bb.59:                               ;   in Loop: Header=BB290_10 Depth=1
	v_cmp_ne_u16_sdwa s1, v1, v17 src0_sel:BYTE_0 src1_sel:DWORD
	v_mov_b32_e32 v29, 0x8000
	s_and_saveexec_b32 s33, s1
	s_cbranch_execz .LBB290_65
; %bb.60:                               ;   in Loop: Header=BB290_10 Depth=1
	v_bfe_u32 v32, v10, 16, 7
	v_mov_b32_e32 v29, 0x7c01
	s_mov_b32 s34, exec_lo
	v_cmpx_ne_u32_e32 0x7f, v32
	s_cbranch_execz .LBB290_64
; %bb.61:                               ;   in Loop: Header=BB290_10 Depth=1
	v_and_b32_e32 v29, 7, v1
	v_lshrrev_b32_e32 v31, 3, v32
	s_mov_b32 s35, exec_lo
	v_cmpx_gt_u32_e32 8, v32
; %bb.62:                               ;   in Loop: Header=BB290_10 Depth=1
	v_ffbh_u32_e32 v29, v29
	v_min_u32_e32 v29, 32, v29
	v_subrev_nc_u32_e32 v31, 28, v29
	v_lshlrev_b64 v[32:33], v31, v[1:2]
	v_sub_nc_u32_e32 v31, 29, v29
	v_and_b32_e32 v29, 7, v32
; %bb.63:                               ;   in Loop: Header=BB290_10 Depth=1
	s_or_b32 exec_lo, exec_lo, s35
	v_lshlrev_b32_e32 v1, 8, v1
	v_lshl_add_u32 v31, v31, 10, 0x2000
	v_lshlrev_b32_e32 v29, 7, v29
	v_and_b32_e32 v1, 0x8000, v1
	v_and_b32_e32 v31, 0xfc00, v31
	v_or3_b32 v29, v1, v31, v29
.LBB290_64:                             ;   in Loop: Header=BB290_10 Depth=1
	s_or_b32 exec_lo, exec_lo, s34
.LBB290_65:                             ;   in Loop: Header=BB290_10 Depth=1
	s_or_b32 exec_lo, exec_lo, s33
.LBB290_66:                             ;   in Loop: Header=BB290_10 Depth=1
	s_or_b32 exec_lo, exec_lo, s2
	v_mov_b32_e32 v31, 0
	v_mov_b32_e32 v32, 0
	s_mov_b32 s2, exec_lo
	v_cmpx_lt_u64_e64 s[4:5], v[9:10]
	s_cbranch_execz .LBB290_74
; %bb.67:                               ;   in Loop: Header=BB290_10 Depth=1
	v_lshrrev_b32_e32 v1, 24, v10
	v_bfrev_b32_e32 v32, 1
	s_mov_b32 s33, exec_lo
	v_cmpx_ne_u32_e32 0x80, v1
	s_cbranch_execz .LBB290_73
; %bb.68:                               ;   in Loop: Header=BB290_10 Depth=1
	v_and_b32_e32 v33, 0x7f, v1
	v_mov_b32_e32 v32, 0x7c010000
	s_mov_b32 s34, exec_lo
	v_cmpx_ne_u32_e32 0x7f, v33
	s_cbranch_execz .LBB290_72
; %bb.69:                               ;   in Loop: Header=BB290_10 Depth=1
	v_and_b32_e32 v9, 7, v1
	v_lshrrev_b32_e32 v10, 3, v33
	s_mov_b32 s35, exec_lo
	v_cmpx_gt_u32_e32 8, v33
; %bb.70:                               ;   in Loop: Header=BB290_10 Depth=1
	v_ffbh_u32_e32 v9, v9
	v_min_u32_e32 v32, 32, v9
	v_subrev_nc_u32_e32 v9, 28, v32
	v_lshlrev_b64 v[9:10], v9, v[1:2]
	v_sub_nc_u32_e32 v10, 29, v32
	v_and_b32_e32 v9, 7, v9
; %bb.71:                               ;   in Loop: Header=BB290_10 Depth=1
	s_or_b32 exec_lo, exec_lo, s35
	v_lshlrev_b32_e32 v1, 8, v1
	v_lshl_add_u32 v10, v10, 10, 0x2000
	v_lshlrev_b32_e32 v9, 23, v9
	v_and_or_b32 v1, 0x8000, v1, v10
	v_lshl_or_b32 v32, v1, 16, v9
.LBB290_72:                             ;   in Loop: Header=BB290_10 Depth=1
	s_or_b32 exec_lo, exec_lo, s34
.LBB290_73:                             ;   in Loop: Header=BB290_10 Depth=1
	s_or_b32 exec_lo, exec_lo, s33
.LBB290_74:                             ;   in Loop: Header=BB290_10 Depth=1
	s_or_b32 exec_lo, exec_lo, s2
	global_load_dwordx2 v[9:10], v[7:8], off offset:8
	s_waitcnt vmcnt(0)
	v_cmp_ne_u16_sdwa s1, v9, v2 src0_sel:BYTE_0 src1_sel:DWORD
	s_and_saveexec_b32 s2, s1
	s_cbranch_execz .LBB290_82
; %bb.75:                               ;   in Loop: Header=BB290_10 Depth=1
	v_cmp_ne_u16_sdwa s1, v9, v17 src0_sel:BYTE_0 src1_sel:DWORD
	v_mov_b32_e32 v31, 0x8000
	s_and_saveexec_b32 s33, s1
	s_cbranch_execz .LBB290_81
; %bb.76:                               ;   in Loop: Header=BB290_10 Depth=1
	v_and_b32_e32 v33, 0x7f, v9
	v_mov_b32_e32 v31, 0x7c01
	s_mov_b32 s34, exec_lo
	v_cmpx_ne_u32_e32 0x7f, v33
	s_cbranch_execz .LBB290_80
; %bb.77:                               ;   in Loop: Header=BB290_10 Depth=1
	v_and_b32_e32 v1, 7, v9
	v_lshrrev_b32_e32 v31, 3, v33
	s_mov_b32 s35, exec_lo
	v_cmpx_gt_u32_e32 8, v33
; %bb.78:                               ;   in Loop: Header=BB290_10 Depth=1
	v_ffbh_u32_e32 v1, v1
	v_min_u32_e32 v1, 32, v1
	v_subrev_nc_u32_e32 v31, 28, v1
	v_lshlrev_b64 v[33:34], v31, v[9:10]
	v_sub_nc_u32_e32 v31, 29, v1
	v_and_b32_e32 v1, 7, v33
; %bb.79:                               ;   in Loop: Header=BB290_10 Depth=1
	s_or_b32 exec_lo, exec_lo, s35
	v_lshlrev_b32_e32 v33, 8, v9
	v_lshl_add_u32 v31, v31, 10, 0x2000
	v_lshlrev_b32_e32 v1, 7, v1
	v_and_b32_e32 v33, 0x8000, v33
	v_and_b32_e32 v31, 0xfc00, v31
	v_or3_b32 v31, v33, v31, v1
.LBB290_80:                             ;   in Loop: Header=BB290_10 Depth=1
	s_or_b32 exec_lo, exec_lo, s34
.LBB290_81:                             ;   in Loop: Header=BB290_10 Depth=1
	s_or_b32 exec_lo, exec_lo, s33
.LBB290_82:                             ;   in Loop: Header=BB290_10 Depth=1
	s_or_b32 exec_lo, exec_lo, s2
	v_lshrrev_b16 v1, 8, v9
	v_mov_b32_e32 v34, 0
	v_mov_b32_e32 v33, 0
	s_mov_b32 s2, exec_lo
	v_cmpx_ne_u16_e32 0, v1
	s_cbranch_execz .LBB290_90
; %bb.83:                               ;   in Loop: Header=BB290_10 Depth=1
	v_bfrev_b32_e32 v33, 1
	s_mov_b32 s33, exec_lo
	v_cmpx_ne_u16_e32 0x80, v1
	s_cbranch_execz .LBB290_89
; %bb.84:                               ;   in Loop: Header=BB290_10 Depth=1
	v_and_b32_sdwa v36, v1, v18 dst_sel:DWORD dst_unused:UNUSED_PAD src0_sel:WORD_0 src1_sel:DWORD
	v_mov_b32_e32 v33, 0x7c010000
	s_mov_b32 s34, exec_lo
	v_cmpx_ne_u32_e32 0x7f, v36
	s_cbranch_execz .LBB290_88
; %bb.85:                               ;   in Loop: Header=BB290_10 Depth=1
	v_and_b32_sdwa v33, v1, v20 dst_sel:DWORD dst_unused:UNUSED_PAD src0_sel:WORD_0 src1_sel:DWORD
	v_lshrrev_b32_e32 v35, 3, v36
	s_mov_b32 s35, exec_lo
	v_cmpx_gt_u32_e32 8, v36
; %bb.86:                               ;   in Loop: Header=BB290_10 Depth=1
	v_ffbh_u32_e32 v33, v33
	v_min_u32_e32 v33, 32, v33
	v_subrev_nc_u32_e32 v35, 28, v33
	v_lshlrev_b64 v[36:37], v35, v[1:2]
	v_sub_nc_u32_e32 v35, 29, v33
	v_and_b32_e32 v33, 7, v36
; %bb.87:                               ;   in Loop: Header=BB290_10 Depth=1
	s_or_b32 exec_lo, exec_lo, s35
	v_lshlrev_b32_sdwa v1, v21, v1 dst_sel:DWORD dst_unused:UNUSED_PAD src0_sel:DWORD src1_sel:WORD_0
	v_lshl_add_u32 v35, v35, 10, 0x2000
	v_lshlrev_b32_e32 v33, 23, v33
	v_and_or_b32 v1, 0x8000, v1, v35
	v_lshl_or_b32 v33, v1, 16, v33
.LBB290_88:                             ;   in Loop: Header=BB290_10 Depth=1
	s_or_b32 exec_lo, exec_lo, s34
.LBB290_89:                             ;   in Loop: Header=BB290_10 Depth=1
	s_or_b32 exec_lo, exec_lo, s33
.LBB290_90:                             ;   in Loop: Header=BB290_10 Depth=1
	s_or_b32 exec_lo, exec_lo, s2
	v_lshrrev_b32_e32 v1, 16, v9
	v_cmp_ne_u16_sdwa s1, v1, v2 src0_sel:BYTE_0 src1_sel:DWORD
	s_and_saveexec_b32 s2, s1
	s_cbranch_execz .LBB290_98
; %bb.91:                               ;   in Loop: Header=BB290_10 Depth=1
	v_cmp_ne_u16_sdwa s1, v1, v17 src0_sel:BYTE_0 src1_sel:DWORD
	v_mov_b32_e32 v34, 0x8000
	s_and_saveexec_b32 s33, s1
	s_cbranch_execz .LBB290_97
; %bb.92:                               ;   in Loop: Header=BB290_10 Depth=1
	v_bfe_u32 v36, v9, 16, 7
	v_mov_b32_e32 v34, 0x7c01
	s_mov_b32 s34, exec_lo
	v_cmpx_ne_u32_e32 0x7f, v36
	s_cbranch_execz .LBB290_96
; %bb.93:                               ;   in Loop: Header=BB290_10 Depth=1
	v_and_b32_e32 v34, 7, v1
	v_lshrrev_b32_e32 v35, 3, v36
	s_mov_b32 s35, exec_lo
	v_cmpx_gt_u32_e32 8, v36
; %bb.94:                               ;   in Loop: Header=BB290_10 Depth=1
	v_ffbh_u32_e32 v34, v34
	v_min_u32_e32 v36, 32, v34
	v_subrev_nc_u32_e32 v34, 28, v36
	v_lshlrev_b64 v[34:35], v34, v[1:2]
	v_sub_nc_u32_e32 v35, 29, v36
	v_and_b32_e32 v34, 7, v34
; %bb.95:                               ;   in Loop: Header=BB290_10 Depth=1
	s_or_b32 exec_lo, exec_lo, s35
	v_lshlrev_b32_e32 v1, 8, v1
	v_lshl_add_u32 v35, v35, 10, 0x2000
	v_lshlrev_b32_e32 v34, 7, v34
	v_and_b32_e32 v1, 0x8000, v1
	v_and_b32_e32 v35, 0xfc00, v35
	v_or3_b32 v34, v1, v35, v34
.LBB290_96:                             ;   in Loop: Header=BB290_10 Depth=1
	s_or_b32 exec_lo, exec_lo, s34
.LBB290_97:                             ;   in Loop: Header=BB290_10 Depth=1
	s_or_b32 exec_lo, exec_lo, s33
.LBB290_98:                             ;   in Loop: Header=BB290_10 Depth=1
	s_or_b32 exec_lo, exec_lo, s2
	v_mov_b32_e32 v35, 0
	v_mov_b32_e32 v36, 0
	s_mov_b32 s2, exec_lo
	v_cmpx_lt_u32_e32 0xffffff, v9
	s_cbranch_execz .LBB290_106
; %bb.99:                               ;   in Loop: Header=BB290_10 Depth=1
	v_lshrrev_b32_e32 v1, 24, v9
	v_bfrev_b32_e32 v36, 1
	s_mov_b32 s33, exec_lo
	v_cmpx_ne_u32_e32 0x80, v1
	s_cbranch_execz .LBB290_105
; %bb.100:                              ;   in Loop: Header=BB290_10 Depth=1
	v_and_b32_e32 v38, 0x7f, v1
	v_mov_b32_e32 v36, 0x7c010000
	s_mov_b32 s34, exec_lo
	v_cmpx_ne_u32_e32 0x7f, v38
	s_cbranch_execz .LBB290_104
; %bb.101:                              ;   in Loop: Header=BB290_10 Depth=1
	v_and_b32_e32 v36, 7, v1
	v_lshrrev_b32_e32 v37, 3, v38
	s_mov_b32 s35, exec_lo
	v_cmpx_gt_u32_e32 8, v38
; %bb.102:                              ;   in Loop: Header=BB290_10 Depth=1
	v_ffbh_u32_e32 v36, v36
	v_min_u32_e32 v38, 32, v36
	v_subrev_nc_u32_e32 v36, 28, v38
	v_lshlrev_b64 v[36:37], v36, v[1:2]
	v_sub_nc_u32_e32 v37, 29, v38
	v_and_b32_e32 v36, 7, v36
; %bb.103:                              ;   in Loop: Header=BB290_10 Depth=1
	s_or_b32 exec_lo, exec_lo, s35
	v_lshlrev_b32_e32 v1, 8, v1
	v_lshl_add_u32 v37, v37, 10, 0x2000
	v_lshlrev_b32_e32 v36, 23, v36
	v_and_or_b32 v1, 0x8000, v1, v37
	v_lshl_or_b32 v36, v1, 16, v36
.LBB290_104:                            ;   in Loop: Header=BB290_10 Depth=1
	s_or_b32 exec_lo, exec_lo, s34
.LBB290_105:                            ;   in Loop: Header=BB290_10 Depth=1
	s_or_b32 exec_lo, exec_lo, s33
.LBB290_106:                            ;   in Loop: Header=BB290_10 Depth=1
	s_or_b32 exec_lo, exec_lo, s2
	v_mov_b32_e32 v1, v10
	v_cmp_ne_u16_sdwa s1, v10, v2 src0_sel:BYTE_0 src1_sel:DWORD
	s_and_saveexec_b32 s2, s1
	s_cbranch_execz .LBB290_114
; %bb.107:                              ;   in Loop: Header=BB290_10 Depth=1
	v_cmp_ne_u16_sdwa s1, v10, v17 src0_sel:BYTE_0 src1_sel:DWORD
	v_mov_b32_e32 v35, 0x8000
	s_and_saveexec_b32 s33, s1
	s_cbranch_execz .LBB290_113
; %bb.108:                              ;   in Loop: Header=BB290_10 Depth=1
	v_and_b32_e32 v38, 0x7f, v10
	v_mov_b32_e32 v35, 0x7c01
	s_mov_b32 s34, exec_lo
	v_cmpx_ne_u32_e32 0x7f, v38
	s_cbranch_execz .LBB290_112
; %bb.109:                              ;   in Loop: Header=BB290_10 Depth=1
	v_and_b32_e32 v35, 7, v10
	v_lshrrev_b32_e32 v37, 3, v38
	s_mov_b32 s35, exec_lo
	v_cmpx_gt_u32_e32 8, v38
; %bb.110:                              ;   in Loop: Header=BB290_10 Depth=1
	v_ffbh_u32_e32 v35, v35
	v_min_u32_e32 v35, 32, v35
	v_subrev_nc_u32_e32 v37, 28, v35
	v_lshlrev_b64 v[38:39], v37, v[1:2]
	v_sub_nc_u32_e32 v37, 29, v35
	v_and_b32_e32 v35, 7, v38
; %bb.111:                              ;   in Loop: Header=BB290_10 Depth=1
	s_or_b32 exec_lo, exec_lo, s35
	v_lshlrev_b32_e32 v38, 8, v10
	v_lshl_add_u32 v37, v37, 10, 0x2000
	v_lshlrev_b32_e32 v35, 7, v35
	v_and_b32_e32 v38, 0x8000, v38
	v_and_b32_e32 v37, 0xfc00, v37
	v_or3_b32 v35, v38, v37, v35
.LBB290_112:                            ;   in Loop: Header=BB290_10 Depth=1
	s_or_b32 exec_lo, exec_lo, s34
.LBB290_113:                            ;   in Loop: Header=BB290_10 Depth=1
	s_or_b32 exec_lo, exec_lo, s33
.LBB290_114:                            ;   in Loop: Header=BB290_10 Depth=1
	s_or_b32 exec_lo, exec_lo, s2
	v_lshrrev_b16 v1, 8, v1
	v_mov_b32_e32 v39, 0
	v_mov_b32_e32 v38, 0
	s_mov_b32 s2, exec_lo
	v_cmpx_ne_u16_e32 0, v1
	s_cbranch_execz .LBB290_122
; %bb.115:                              ;   in Loop: Header=BB290_10 Depth=1
	v_bfrev_b32_e32 v38, 1
	s_mov_b32 s33, exec_lo
	v_cmpx_ne_u16_e32 0x80, v1
	s_cbranch_execz .LBB290_121
; %bb.116:                              ;   in Loop: Header=BB290_10 Depth=1
	v_and_b32_sdwa v40, v1, v18 dst_sel:DWORD dst_unused:UNUSED_PAD src0_sel:WORD_0 src1_sel:DWORD
	v_mov_b32_e32 v38, 0x7c010000
	s_mov_b32 s34, exec_lo
	v_cmpx_ne_u32_e32 0x7f, v40
	s_cbranch_execz .LBB290_120
; %bb.117:                              ;   in Loop: Header=BB290_10 Depth=1
	v_and_b32_sdwa v37, v1, v20 dst_sel:DWORD dst_unused:UNUSED_PAD src0_sel:WORD_0 src1_sel:DWORD
	v_lshrrev_b32_e32 v38, 3, v40
	s_mov_b32 s35, exec_lo
	v_cmpx_gt_u32_e32 8, v40
; %bb.118:                              ;   in Loop: Header=BB290_10 Depth=1
	v_ffbh_u32_e32 v37, v37
	v_min_u32_e32 v40, 32, v37
	v_subrev_nc_u32_e32 v37, 28, v40
	v_lshlrev_b64 v[37:38], v37, v[1:2]
	v_sub_nc_u32_e32 v38, 29, v40
	v_and_b32_e32 v37, 7, v37
; %bb.119:                              ;   in Loop: Header=BB290_10 Depth=1
	s_or_b32 exec_lo, exec_lo, s35
	v_lshlrev_b32_sdwa v1, v21, v1 dst_sel:DWORD dst_unused:UNUSED_PAD src0_sel:DWORD src1_sel:WORD_0
	v_lshl_add_u32 v38, v38, 10, 0x2000
	v_lshlrev_b32_e32 v37, 23, v37
	v_and_or_b32 v1, 0x8000, v1, v38
	v_lshl_or_b32 v38, v1, 16, v37
.LBB290_120:                            ;   in Loop: Header=BB290_10 Depth=1
	s_or_b32 exec_lo, exec_lo, s34
.LBB290_121:                            ;   in Loop: Header=BB290_10 Depth=1
	s_or_b32 exec_lo, exec_lo, s33
.LBB290_122:                            ;   in Loop: Header=BB290_10 Depth=1
	s_or_b32 exec_lo, exec_lo, s2
	v_lshrrev_b32_e32 v1, 16, v10
	v_cmp_ne_u16_sdwa s1, v1, v2 src0_sel:BYTE_0 src1_sel:DWORD
	s_and_saveexec_b32 s2, s1
	s_cbranch_execz .LBB290_130
; %bb.123:                              ;   in Loop: Header=BB290_10 Depth=1
	v_cmp_ne_u16_sdwa s1, v1, v17 src0_sel:BYTE_0 src1_sel:DWORD
	v_mov_b32_e32 v39, 0x8000
	s_and_saveexec_b32 s33, s1
	s_cbranch_execz .LBB290_129
; %bb.124:                              ;   in Loop: Header=BB290_10 Depth=1
	v_bfe_u32 v40, v10, 16, 7
	v_mov_b32_e32 v39, 0x7c01
	s_mov_b32 s34, exec_lo
	v_cmpx_ne_u32_e32 0x7f, v40
	s_cbranch_execz .LBB290_128
; %bb.125:                              ;   in Loop: Header=BB290_10 Depth=1
	v_and_b32_e32 v37, 7, v1
	v_lshrrev_b32_e32 v39, 3, v40
	s_mov_b32 s35, exec_lo
	v_cmpx_gt_u32_e32 8, v40
; %bb.126:                              ;   in Loop: Header=BB290_10 Depth=1
	v_ffbh_u32_e32 v37, v37
	v_min_u32_e32 v37, 32, v37
	v_subrev_nc_u32_e32 v39, 28, v37
	v_lshlrev_b64 v[40:41], v39, v[1:2]
	v_sub_nc_u32_e32 v39, 29, v37
	v_and_b32_e32 v37, 7, v40
; %bb.127:                              ;   in Loop: Header=BB290_10 Depth=1
	s_or_b32 exec_lo, exec_lo, s35
	v_lshlrev_b32_e32 v1, 8, v1
	v_lshl_add_u32 v39, v39, 10, 0x2000
	v_lshlrev_b32_e32 v37, 7, v37
	v_and_b32_e32 v1, 0x8000, v1
	v_and_b32_e32 v39, 0xfc00, v39
	v_or3_b32 v39, v1, v39, v37
.LBB290_128:                            ;   in Loop: Header=BB290_10 Depth=1
	s_or_b32 exec_lo, exec_lo, s34
.LBB290_129:                            ;   in Loop: Header=BB290_10 Depth=1
	s_or_b32 exec_lo, exec_lo, s33
.LBB290_130:                            ;   in Loop: Header=BB290_10 Depth=1
	s_or_b32 exec_lo, exec_lo, s2
	v_mov_b32_e32 v37, 0
	v_mov_b32_e32 v42, 0
	s_mov_b32 s2, exec_lo
	v_cmpx_lt_u64_e64 s[4:5], v[9:10]
	s_cbranch_execz .LBB290_138
; %bb.131:                              ;   in Loop: Header=BB290_10 Depth=1
	v_lshrrev_b32_e32 v1, 24, v10
	v_bfrev_b32_e32 v42, 1
	s_mov_b32 s33, exec_lo
	v_cmpx_ne_u32_e32 0x80, v1
	s_cbranch_execz .LBB290_137
; %bb.132:                              ;   in Loop: Header=BB290_10 Depth=1
	v_and_b32_e32 v40, 0x7f, v1
	v_mov_b32_e32 v42, 0x7c010000
	s_mov_b32 s34, exec_lo
	v_cmpx_ne_u32_e32 0x7f, v40
	s_cbranch_execz .LBB290_136
; %bb.133:                              ;   in Loop: Header=BB290_10 Depth=1
	v_and_b32_e32 v9, 7, v1
	v_lshrrev_b32_e32 v10, 3, v40
	s_mov_b32 s35, exec_lo
	v_cmpx_gt_u32_e32 8, v40
; %bb.134:                              ;   in Loop: Header=BB290_10 Depth=1
	v_ffbh_u32_e32 v9, v9
	v_min_u32_e32 v40, 32, v9
	v_subrev_nc_u32_e32 v9, 28, v40
	v_lshlrev_b64 v[9:10], v9, v[1:2]
	v_sub_nc_u32_e32 v10, 29, v40
	v_and_b32_e32 v9, 7, v9
; %bb.135:                              ;   in Loop: Header=BB290_10 Depth=1
	s_or_b32 exec_lo, exec_lo, s35
	v_lshlrev_b32_e32 v1, 8, v1
	v_lshl_add_u32 v10, v10, 10, 0x2000
	v_lshlrev_b32_e32 v9, 23, v9
	v_and_or_b32 v1, 0x8000, v1, v10
	v_lshl_or_b32 v42, v1, 16, v9
.LBB290_136:                            ;   in Loop: Header=BB290_10 Depth=1
	s_or_b32 exec_lo, exec_lo, s34
.LBB290_137:                            ;   in Loop: Header=BB290_10 Depth=1
	s_or_b32 exec_lo, exec_lo, s33
.LBB290_138:                            ;   in Loop: Header=BB290_10 Depth=1
	s_or_b32 exec_lo, exec_lo, s2
	global_load_dwordx2 v[9:10], v[7:8], off offset:512
	s_waitcnt vmcnt(0)
	v_cmp_ne_u16_sdwa s1, v9, v2 src0_sel:BYTE_0 src1_sel:DWORD
	s_and_saveexec_b32 s2, s1
	s_cbranch_execz .LBB290_146
; %bb.139:                              ;   in Loop: Header=BB290_10 Depth=1
	v_cmp_ne_u16_sdwa s1, v9, v17 src0_sel:BYTE_0 src1_sel:DWORD
	v_mov_b32_e32 v37, 0x8000
	s_and_saveexec_b32 s33, s1
	s_cbranch_execz .LBB290_145
; %bb.140:                              ;   in Loop: Header=BB290_10 Depth=1
	v_and_b32_e32 v40, 0x7f, v9
	v_mov_b32_e32 v37, 0x7c01
	s_mov_b32 s34, exec_lo
	v_cmpx_ne_u32_e32 0x7f, v40
	s_cbranch_execz .LBB290_144
; %bb.141:                              ;   in Loop: Header=BB290_10 Depth=1
	v_and_b32_e32 v1, 7, v9
	v_lshrrev_b32_e32 v37, 3, v40
	s_mov_b32 s35, exec_lo
	v_cmpx_gt_u32_e32 8, v40
; %bb.142:                              ;   in Loop: Header=BB290_10 Depth=1
	v_ffbh_u32_e32 v1, v1
	v_min_u32_e32 v1, 32, v1
	v_subrev_nc_u32_e32 v37, 28, v1
	v_lshlrev_b64 v[40:41], v37, v[9:10]
	v_sub_nc_u32_e32 v37, 29, v1
	v_and_b32_e32 v1, 7, v40
; %bb.143:                              ;   in Loop: Header=BB290_10 Depth=1
	s_or_b32 exec_lo, exec_lo, s35
	v_lshlrev_b32_e32 v40, 8, v9
	v_lshl_add_u32 v37, v37, 10, 0x2000
	v_lshlrev_b32_e32 v1, 7, v1
	v_and_b32_e32 v40, 0x8000, v40
	v_and_b32_e32 v37, 0xfc00, v37
	v_or3_b32 v37, v40, v37, v1
.LBB290_144:                            ;   in Loop: Header=BB290_10 Depth=1
	s_or_b32 exec_lo, exec_lo, s34
.LBB290_145:                            ;   in Loop: Header=BB290_10 Depth=1
	s_or_b32 exec_lo, exec_lo, s33
.LBB290_146:                            ;   in Loop: Header=BB290_10 Depth=1
	s_or_b32 exec_lo, exec_lo, s2
	v_lshrrev_b16 v1, 8, v9
	v_mov_b32_e32 v41, 0
	v_mov_b32_e32 v40, 0
	s_mov_b32 s2, exec_lo
	v_cmpx_ne_u16_e32 0, v1
	s_cbranch_execz .LBB290_154
; %bb.147:                              ;   in Loop: Header=BB290_10 Depth=1
	v_bfrev_b32_e32 v40, 1
	s_mov_b32 s33, exec_lo
	v_cmpx_ne_u16_e32 0x80, v1
	s_cbranch_execz .LBB290_153
; %bb.148:                              ;   in Loop: Header=BB290_10 Depth=1
	v_and_b32_sdwa v44, v1, v18 dst_sel:DWORD dst_unused:UNUSED_PAD src0_sel:WORD_0 src1_sel:DWORD
	v_mov_b32_e32 v40, 0x7c010000
	s_mov_b32 s34, exec_lo
	v_cmpx_ne_u32_e32 0x7f, v44
	s_cbranch_execz .LBB290_152
; %bb.149:                              ;   in Loop: Header=BB290_10 Depth=1
	v_and_b32_sdwa v40, v1, v20 dst_sel:DWORD dst_unused:UNUSED_PAD src0_sel:WORD_0 src1_sel:DWORD
	v_lshrrev_b32_e32 v43, 3, v44
	s_mov_b32 s35, exec_lo
	v_cmpx_gt_u32_e32 8, v44
; %bb.150:                              ;   in Loop: Header=BB290_10 Depth=1
	v_ffbh_u32_e32 v40, v40
	v_min_u32_e32 v40, 32, v40
	v_subrev_nc_u32_e32 v43, 28, v40
	v_lshlrev_b64 v[44:45], v43, v[1:2]
	v_sub_nc_u32_e32 v43, 29, v40
	v_and_b32_e32 v40, 7, v44
; %bb.151:                              ;   in Loop: Header=BB290_10 Depth=1
	s_or_b32 exec_lo, exec_lo, s35
	v_lshlrev_b32_sdwa v1, v21, v1 dst_sel:DWORD dst_unused:UNUSED_PAD src0_sel:DWORD src1_sel:WORD_0
	v_lshl_add_u32 v43, v43, 10, 0x2000
	v_lshlrev_b32_e32 v40, 23, v40
	v_and_or_b32 v1, 0x8000, v1, v43
	v_lshl_or_b32 v40, v1, 16, v40
.LBB290_152:                            ;   in Loop: Header=BB290_10 Depth=1
	s_or_b32 exec_lo, exec_lo, s34
.LBB290_153:                            ;   in Loop: Header=BB290_10 Depth=1
	s_or_b32 exec_lo, exec_lo, s33
.LBB290_154:                            ;   in Loop: Header=BB290_10 Depth=1
	s_or_b32 exec_lo, exec_lo, s2
	v_lshrrev_b32_e32 v1, 16, v9
	v_cmp_ne_u16_sdwa s1, v1, v2 src0_sel:BYTE_0 src1_sel:DWORD
	s_and_saveexec_b32 s2, s1
	s_cbranch_execz .LBB290_162
; %bb.155:                              ;   in Loop: Header=BB290_10 Depth=1
	v_cmp_ne_u16_sdwa s1, v1, v17 src0_sel:BYTE_0 src1_sel:DWORD
	v_mov_b32_e32 v41, 0x8000
	s_and_saveexec_b32 s33, s1
	s_cbranch_execz .LBB290_161
; %bb.156:                              ;   in Loop: Header=BB290_10 Depth=1
	v_bfe_u32 v44, v9, 16, 7
	v_mov_b32_e32 v41, 0x7c01
	s_mov_b32 s34, exec_lo
	v_cmpx_ne_u32_e32 0x7f, v44
	s_cbranch_execz .LBB290_160
; %bb.157:                              ;   in Loop: Header=BB290_10 Depth=1
	v_and_b32_e32 v41, 7, v1
	v_lshrrev_b32_e32 v43, 3, v44
	s_mov_b32 s35, exec_lo
	v_cmpx_gt_u32_e32 8, v44
; %bb.158:                              ;   in Loop: Header=BB290_10 Depth=1
	v_ffbh_u32_e32 v41, v41
	v_min_u32_e32 v41, 32, v41
	v_subrev_nc_u32_e32 v43, 28, v41
	v_lshlrev_b64 v[44:45], v43, v[1:2]
	v_sub_nc_u32_e32 v43, 29, v41
	v_and_b32_e32 v41, 7, v44
; %bb.159:                              ;   in Loop: Header=BB290_10 Depth=1
	s_or_b32 exec_lo, exec_lo, s35
	v_lshlrev_b32_e32 v1, 8, v1
	v_lshl_add_u32 v43, v43, 10, 0x2000
	v_lshlrev_b32_e32 v41, 7, v41
	v_and_b32_e32 v1, 0x8000, v1
	v_and_b32_e32 v43, 0xfc00, v43
	v_or3_b32 v41, v1, v43, v41
.LBB290_160:                            ;   in Loop: Header=BB290_10 Depth=1
	s_or_b32 exec_lo, exec_lo, s34
.LBB290_161:                            ;   in Loop: Header=BB290_10 Depth=1
	s_or_b32 exec_lo, exec_lo, s33
.LBB290_162:                            ;   in Loop: Header=BB290_10 Depth=1
	s_or_b32 exec_lo, exec_lo, s2
	v_mov_b32_e32 v43, 0
	v_mov_b32_e32 v44, 0
	s_mov_b32 s2, exec_lo
	v_cmpx_lt_u32_e32 0xffffff, v9
	s_cbranch_execz .LBB290_170
; %bb.163:                              ;   in Loop: Header=BB290_10 Depth=1
	v_lshrrev_b32_e32 v1, 24, v9
	v_bfrev_b32_e32 v44, 1
	s_mov_b32 s33, exec_lo
	v_cmpx_ne_u32_e32 0x80, v1
	s_cbranch_execz .LBB290_169
; %bb.164:                              ;   in Loop: Header=BB290_10 Depth=1
	v_and_b32_e32 v46, 0x7f, v1
	v_mov_b32_e32 v44, 0x7c010000
	s_mov_b32 s34, exec_lo
	v_cmpx_ne_u32_e32 0x7f, v46
	s_cbranch_execz .LBB290_168
; %bb.165:                              ;   in Loop: Header=BB290_10 Depth=1
	v_and_b32_e32 v44, 7, v1
	v_lshrrev_b32_e32 v45, 3, v46
	s_mov_b32 s35, exec_lo
	v_cmpx_gt_u32_e32 8, v46
; %bb.166:                              ;   in Loop: Header=BB290_10 Depth=1
	v_ffbh_u32_e32 v44, v44
	v_min_u32_e32 v46, 32, v44
	v_subrev_nc_u32_e32 v44, 28, v46
	v_lshlrev_b64 v[44:45], v44, v[1:2]
	v_sub_nc_u32_e32 v45, 29, v46
	v_and_b32_e32 v44, 7, v44
; %bb.167:                              ;   in Loop: Header=BB290_10 Depth=1
	s_or_b32 exec_lo, exec_lo, s35
	v_lshlrev_b32_e32 v1, 8, v1
	v_lshl_add_u32 v45, v45, 10, 0x2000
	v_lshlrev_b32_e32 v44, 23, v44
	v_and_or_b32 v1, 0x8000, v1, v45
	v_lshl_or_b32 v44, v1, 16, v44
.LBB290_168:                            ;   in Loop: Header=BB290_10 Depth=1
	s_or_b32 exec_lo, exec_lo, s34
.LBB290_169:                            ;   in Loop: Header=BB290_10 Depth=1
	s_or_b32 exec_lo, exec_lo, s33
.LBB290_170:                            ;   in Loop: Header=BB290_10 Depth=1
	s_or_b32 exec_lo, exec_lo, s2
	v_mov_b32_e32 v1, v10
	v_cmp_ne_u16_sdwa s1, v10, v2 src0_sel:BYTE_0 src1_sel:DWORD
	s_and_saveexec_b32 s2, s1
	s_cbranch_execz .LBB290_178
; %bb.171:                              ;   in Loop: Header=BB290_10 Depth=1
	v_cmp_ne_u16_sdwa s1, v10, v17 src0_sel:BYTE_0 src1_sel:DWORD
	v_mov_b32_e32 v43, 0x8000
	s_and_saveexec_b32 s33, s1
	s_cbranch_execz .LBB290_177
; %bb.172:                              ;   in Loop: Header=BB290_10 Depth=1
	v_and_b32_e32 v46, 0x7f, v10
	v_mov_b32_e32 v43, 0x7c01
	s_mov_b32 s34, exec_lo
	v_cmpx_ne_u32_e32 0x7f, v46
	s_cbranch_execz .LBB290_176
; %bb.173:                              ;   in Loop: Header=BB290_10 Depth=1
	v_and_b32_e32 v43, 7, v10
	v_lshrrev_b32_e32 v45, 3, v46
	s_mov_b32 s35, exec_lo
	v_cmpx_gt_u32_e32 8, v46
; %bb.174:                              ;   in Loop: Header=BB290_10 Depth=1
	v_ffbh_u32_e32 v43, v43
	v_min_u32_e32 v43, 32, v43
	v_subrev_nc_u32_e32 v45, 28, v43
	v_lshlrev_b64 v[46:47], v45, v[1:2]
	v_sub_nc_u32_e32 v45, 29, v43
	v_and_b32_e32 v43, 7, v46
; %bb.175:                              ;   in Loop: Header=BB290_10 Depth=1
	s_or_b32 exec_lo, exec_lo, s35
	v_lshlrev_b32_e32 v46, 8, v10
	v_lshl_add_u32 v45, v45, 10, 0x2000
	v_lshlrev_b32_e32 v43, 7, v43
	v_and_b32_e32 v46, 0x8000, v46
	v_and_b32_e32 v45, 0xfc00, v45
	v_or3_b32 v43, v46, v45, v43
.LBB290_176:                            ;   in Loop: Header=BB290_10 Depth=1
	s_or_b32 exec_lo, exec_lo, s34
.LBB290_177:                            ;   in Loop: Header=BB290_10 Depth=1
	s_or_b32 exec_lo, exec_lo, s33
.LBB290_178:                            ;   in Loop: Header=BB290_10 Depth=1
	s_or_b32 exec_lo, exec_lo, s2
	v_lshrrev_b16 v1, 8, v1
	v_mov_b32_e32 v47, 0
	v_mov_b32_e32 v46, 0
	s_mov_b32 s2, exec_lo
	v_cmpx_ne_u16_e32 0, v1
	s_cbranch_execz .LBB290_186
; %bb.179:                              ;   in Loop: Header=BB290_10 Depth=1
	v_bfrev_b32_e32 v46, 1
	s_mov_b32 s33, exec_lo
	v_cmpx_ne_u16_e32 0x80, v1
	s_cbranch_execz .LBB290_185
; %bb.180:                              ;   in Loop: Header=BB290_10 Depth=1
	v_and_b32_sdwa v48, v1, v18 dst_sel:DWORD dst_unused:UNUSED_PAD src0_sel:WORD_0 src1_sel:DWORD
	v_mov_b32_e32 v46, 0x7c010000
	s_mov_b32 s34, exec_lo
	v_cmpx_ne_u32_e32 0x7f, v48
	s_cbranch_execz .LBB290_184
; %bb.181:                              ;   in Loop: Header=BB290_10 Depth=1
	v_and_b32_sdwa v45, v1, v20 dst_sel:DWORD dst_unused:UNUSED_PAD src0_sel:WORD_0 src1_sel:DWORD
	v_lshrrev_b32_e32 v46, 3, v48
	s_mov_b32 s35, exec_lo
	v_cmpx_gt_u32_e32 8, v48
; %bb.182:                              ;   in Loop: Header=BB290_10 Depth=1
	v_ffbh_u32_e32 v45, v45
	v_min_u32_e32 v48, 32, v45
	v_subrev_nc_u32_e32 v45, 28, v48
	v_lshlrev_b64 v[45:46], v45, v[1:2]
	v_sub_nc_u32_e32 v46, 29, v48
	v_and_b32_e32 v45, 7, v45
; %bb.183:                              ;   in Loop: Header=BB290_10 Depth=1
	s_or_b32 exec_lo, exec_lo, s35
	v_lshlrev_b32_sdwa v1, v21, v1 dst_sel:DWORD dst_unused:UNUSED_PAD src0_sel:DWORD src1_sel:WORD_0
	v_lshl_add_u32 v46, v46, 10, 0x2000
	v_lshlrev_b32_e32 v45, 23, v45
	v_and_or_b32 v1, 0x8000, v1, v46
	v_lshl_or_b32 v46, v1, 16, v45
.LBB290_184:                            ;   in Loop: Header=BB290_10 Depth=1
	s_or_b32 exec_lo, exec_lo, s34
.LBB290_185:                            ;   in Loop: Header=BB290_10 Depth=1
	s_or_b32 exec_lo, exec_lo, s33
.LBB290_186:                            ;   in Loop: Header=BB290_10 Depth=1
	s_or_b32 exec_lo, exec_lo, s2
	v_lshrrev_b32_e32 v1, 16, v10
	v_cmp_ne_u16_sdwa s1, v1, v2 src0_sel:BYTE_0 src1_sel:DWORD
	s_and_saveexec_b32 s2, s1
	s_cbranch_execz .LBB290_194
; %bb.187:                              ;   in Loop: Header=BB290_10 Depth=1
	v_cmp_ne_u16_sdwa s1, v1, v17 src0_sel:BYTE_0 src1_sel:DWORD
	v_mov_b32_e32 v47, 0x8000
	s_and_saveexec_b32 s33, s1
	s_cbranch_execz .LBB290_193
; %bb.188:                              ;   in Loop: Header=BB290_10 Depth=1
	v_bfe_u32 v48, v10, 16, 7
	v_mov_b32_e32 v47, 0x7c01
	s_mov_b32 s34, exec_lo
	v_cmpx_ne_u32_e32 0x7f, v48
	s_cbranch_execz .LBB290_192
; %bb.189:                              ;   in Loop: Header=BB290_10 Depth=1
	v_and_b32_e32 v45, 7, v1
	v_lshrrev_b32_e32 v47, 3, v48
	s_mov_b32 s35, exec_lo
	v_cmpx_gt_u32_e32 8, v48
; %bb.190:                              ;   in Loop: Header=BB290_10 Depth=1
	v_ffbh_u32_e32 v45, v45
	v_min_u32_e32 v45, 32, v45
	v_subrev_nc_u32_e32 v47, 28, v45
	v_lshlrev_b64 v[48:49], v47, v[1:2]
	v_sub_nc_u32_e32 v47, 29, v45
	v_and_b32_e32 v45, 7, v48
; %bb.191:                              ;   in Loop: Header=BB290_10 Depth=1
	s_or_b32 exec_lo, exec_lo, s35
	v_lshlrev_b32_e32 v1, 8, v1
	v_lshl_add_u32 v47, v47, 10, 0x2000
	v_lshlrev_b32_e32 v45, 7, v45
	v_and_b32_e32 v1, 0x8000, v1
	v_and_b32_e32 v47, 0xfc00, v47
	v_or3_b32 v47, v1, v47, v45
.LBB290_192:                            ;   in Loop: Header=BB290_10 Depth=1
	s_or_b32 exec_lo, exec_lo, s34
.LBB290_193:                            ;   in Loop: Header=BB290_10 Depth=1
	s_or_b32 exec_lo, exec_lo, s33
.LBB290_194:                            ;   in Loop: Header=BB290_10 Depth=1
	s_or_b32 exec_lo, exec_lo, s2
	v_mov_b32_e32 v45, 0
	v_mov_b32_e32 v50, 0
	s_mov_b32 s2, exec_lo
	v_cmpx_lt_u64_e64 s[4:5], v[9:10]
	s_cbranch_execz .LBB290_202
; %bb.195:                              ;   in Loop: Header=BB290_10 Depth=1
	v_lshrrev_b32_e32 v1, 24, v10
	v_bfrev_b32_e32 v50, 1
	s_mov_b32 s33, exec_lo
	v_cmpx_ne_u32_e32 0x80, v1
	s_cbranch_execz .LBB290_201
; %bb.196:                              ;   in Loop: Header=BB290_10 Depth=1
	v_and_b32_e32 v48, 0x7f, v1
	v_mov_b32_e32 v50, 0x7c010000
	s_mov_b32 s34, exec_lo
	v_cmpx_ne_u32_e32 0x7f, v48
	s_cbranch_execz .LBB290_200
; %bb.197:                              ;   in Loop: Header=BB290_10 Depth=1
	v_and_b32_e32 v9, 7, v1
	v_lshrrev_b32_e32 v10, 3, v48
	s_mov_b32 s35, exec_lo
	v_cmpx_gt_u32_e32 8, v48
; %bb.198:                              ;   in Loop: Header=BB290_10 Depth=1
	v_ffbh_u32_e32 v9, v9
	v_min_u32_e32 v48, 32, v9
	v_subrev_nc_u32_e32 v9, 28, v48
	v_lshlrev_b64 v[9:10], v9, v[1:2]
	v_sub_nc_u32_e32 v10, 29, v48
	v_and_b32_e32 v9, 7, v9
; %bb.199:                              ;   in Loop: Header=BB290_10 Depth=1
	s_or_b32 exec_lo, exec_lo, s35
	v_lshlrev_b32_e32 v1, 8, v1
	v_lshl_add_u32 v10, v10, 10, 0x2000
	v_lshlrev_b32_e32 v9, 23, v9
	v_and_or_b32 v1, 0x8000, v1, v10
	v_lshl_or_b32 v50, v1, 16, v9
.LBB290_200:                            ;   in Loop: Header=BB290_10 Depth=1
	s_or_b32 exec_lo, exec_lo, s34
.LBB290_201:                            ;   in Loop: Header=BB290_10 Depth=1
	s_or_b32 exec_lo, exec_lo, s33
.LBB290_202:                            ;   in Loop: Header=BB290_10 Depth=1
	s_or_b32 exec_lo, exec_lo, s2
	global_load_dwordx2 v[9:10], v[7:8], off offset:520
	s_waitcnt vmcnt(0)
	v_cmp_ne_u16_sdwa s1, v9, v2 src0_sel:BYTE_0 src1_sel:DWORD
	s_and_saveexec_b32 s2, s1
	s_cbranch_execz .LBB290_210
; %bb.203:                              ;   in Loop: Header=BB290_10 Depth=1
	v_cmp_ne_u16_sdwa s1, v9, v17 src0_sel:BYTE_0 src1_sel:DWORD
	v_mov_b32_e32 v45, 0x8000
	s_and_saveexec_b32 s33, s1
	s_cbranch_execz .LBB290_209
; %bb.204:                              ;   in Loop: Header=BB290_10 Depth=1
	v_and_b32_e32 v48, 0x7f, v9
	v_mov_b32_e32 v45, 0x7c01
	s_mov_b32 s34, exec_lo
	v_cmpx_ne_u32_e32 0x7f, v48
	s_cbranch_execz .LBB290_208
; %bb.205:                              ;   in Loop: Header=BB290_10 Depth=1
	v_and_b32_e32 v1, 7, v9
	v_lshrrev_b32_e32 v45, 3, v48
	s_mov_b32 s35, exec_lo
	v_cmpx_gt_u32_e32 8, v48
; %bb.206:                              ;   in Loop: Header=BB290_10 Depth=1
	v_ffbh_u32_e32 v1, v1
	v_min_u32_e32 v1, 32, v1
	v_subrev_nc_u32_e32 v45, 28, v1
	v_lshlrev_b64 v[48:49], v45, v[9:10]
	v_sub_nc_u32_e32 v45, 29, v1
	v_and_b32_e32 v1, 7, v48
; %bb.207:                              ;   in Loop: Header=BB290_10 Depth=1
	s_or_b32 exec_lo, exec_lo, s35
	v_lshlrev_b32_e32 v48, 8, v9
	v_lshl_add_u32 v45, v45, 10, 0x2000
	v_lshlrev_b32_e32 v1, 7, v1
	v_and_b32_e32 v48, 0x8000, v48
	v_and_b32_e32 v45, 0xfc00, v45
	v_or3_b32 v45, v48, v45, v1
.LBB290_208:                            ;   in Loop: Header=BB290_10 Depth=1
	s_or_b32 exec_lo, exec_lo, s34
.LBB290_209:                            ;   in Loop: Header=BB290_10 Depth=1
	s_or_b32 exec_lo, exec_lo, s33
.LBB290_210:                            ;   in Loop: Header=BB290_10 Depth=1
	s_or_b32 exec_lo, exec_lo, s2
	v_lshrrev_b16 v1, 8, v9
	v_mov_b32_e32 v49, 0
	v_mov_b32_e32 v48, 0
	s_mov_b32 s2, exec_lo
	v_cmpx_ne_u16_e32 0, v1
	s_cbranch_execz .LBB290_218
; %bb.211:                              ;   in Loop: Header=BB290_10 Depth=1
	v_bfrev_b32_e32 v48, 1
	s_mov_b32 s33, exec_lo
	v_cmpx_ne_u16_e32 0x80, v1
	s_cbranch_execz .LBB290_217
; %bb.212:                              ;   in Loop: Header=BB290_10 Depth=1
	v_and_b32_sdwa v52, v1, v18 dst_sel:DWORD dst_unused:UNUSED_PAD src0_sel:WORD_0 src1_sel:DWORD
	v_mov_b32_e32 v48, 0x7c010000
	s_mov_b32 s34, exec_lo
	v_cmpx_ne_u32_e32 0x7f, v52
	s_cbranch_execz .LBB290_216
; %bb.213:                              ;   in Loop: Header=BB290_10 Depth=1
	v_and_b32_sdwa v48, v1, v20 dst_sel:DWORD dst_unused:UNUSED_PAD src0_sel:WORD_0 src1_sel:DWORD
	v_lshrrev_b32_e32 v51, 3, v52
	s_mov_b32 s35, exec_lo
	v_cmpx_gt_u32_e32 8, v52
; %bb.214:                              ;   in Loop: Header=BB290_10 Depth=1
	v_ffbh_u32_e32 v48, v48
	v_min_u32_e32 v48, 32, v48
	v_subrev_nc_u32_e32 v51, 28, v48
	v_lshlrev_b64 v[52:53], v51, v[1:2]
	v_sub_nc_u32_e32 v51, 29, v48
	v_and_b32_e32 v48, 7, v52
; %bb.215:                              ;   in Loop: Header=BB290_10 Depth=1
	s_or_b32 exec_lo, exec_lo, s35
	v_lshlrev_b32_sdwa v1, v21, v1 dst_sel:DWORD dst_unused:UNUSED_PAD src0_sel:DWORD src1_sel:WORD_0
	v_lshl_add_u32 v51, v51, 10, 0x2000
	v_lshlrev_b32_e32 v48, 23, v48
	v_and_or_b32 v1, 0x8000, v1, v51
	v_lshl_or_b32 v48, v1, 16, v48
.LBB290_216:                            ;   in Loop: Header=BB290_10 Depth=1
	s_or_b32 exec_lo, exec_lo, s34
.LBB290_217:                            ;   in Loop: Header=BB290_10 Depth=1
	s_or_b32 exec_lo, exec_lo, s33
.LBB290_218:                            ;   in Loop: Header=BB290_10 Depth=1
	s_or_b32 exec_lo, exec_lo, s2
	v_lshrrev_b32_e32 v1, 16, v9
	v_cmp_ne_u16_sdwa s1, v1, v2 src0_sel:BYTE_0 src1_sel:DWORD
	s_and_saveexec_b32 s2, s1
	s_cbranch_execz .LBB290_226
; %bb.219:                              ;   in Loop: Header=BB290_10 Depth=1
	v_cmp_ne_u16_sdwa s1, v1, v17 src0_sel:BYTE_0 src1_sel:DWORD
	v_mov_b32_e32 v49, 0x8000
	s_and_saveexec_b32 s33, s1
	s_cbranch_execz .LBB290_225
; %bb.220:                              ;   in Loop: Header=BB290_10 Depth=1
	v_bfe_u32 v52, v9, 16, 7
	v_mov_b32_e32 v49, 0x7c01
	s_mov_b32 s34, exec_lo
	v_cmpx_ne_u32_e32 0x7f, v52
	s_cbranch_execz .LBB290_224
; %bb.221:                              ;   in Loop: Header=BB290_10 Depth=1
	v_and_b32_e32 v49, 7, v1
	v_lshrrev_b32_e32 v51, 3, v52
	s_mov_b32 s35, exec_lo
	v_cmpx_gt_u32_e32 8, v52
; %bb.222:                              ;   in Loop: Header=BB290_10 Depth=1
	v_ffbh_u32_e32 v49, v49
	v_min_u32_e32 v49, 32, v49
	v_subrev_nc_u32_e32 v51, 28, v49
	v_lshlrev_b64 v[52:53], v51, v[1:2]
	v_sub_nc_u32_e32 v51, 29, v49
	v_and_b32_e32 v49, 7, v52
; %bb.223:                              ;   in Loop: Header=BB290_10 Depth=1
	s_or_b32 exec_lo, exec_lo, s35
	v_lshlrev_b32_e32 v1, 8, v1
	v_lshl_add_u32 v51, v51, 10, 0x2000
	v_lshlrev_b32_e32 v49, 7, v49
	v_and_b32_e32 v1, 0x8000, v1
	v_and_b32_e32 v51, 0xfc00, v51
	v_or3_b32 v49, v1, v51, v49
.LBB290_224:                            ;   in Loop: Header=BB290_10 Depth=1
	s_or_b32 exec_lo, exec_lo, s34
.LBB290_225:                            ;   in Loop: Header=BB290_10 Depth=1
	s_or_b32 exec_lo, exec_lo, s33
.LBB290_226:                            ;   in Loop: Header=BB290_10 Depth=1
	s_or_b32 exec_lo, exec_lo, s2
	v_mov_b32_e32 v51, 0
	v_mov_b32_e32 v52, 0
	s_mov_b32 s2, exec_lo
	v_cmpx_lt_u32_e32 0xffffff, v9
	s_cbranch_execz .LBB290_234
; %bb.227:                              ;   in Loop: Header=BB290_10 Depth=1
	v_lshrrev_b32_e32 v1, 24, v9
	v_bfrev_b32_e32 v52, 1
	s_mov_b32 s33, exec_lo
	v_cmpx_ne_u32_e32 0x80, v1
	s_cbranch_execz .LBB290_233
; %bb.228:                              ;   in Loop: Header=BB290_10 Depth=1
	v_and_b32_e32 v54, 0x7f, v1
	v_mov_b32_e32 v52, 0x7c010000
	s_mov_b32 s34, exec_lo
	v_cmpx_ne_u32_e32 0x7f, v54
	s_cbranch_execz .LBB290_232
; %bb.229:                              ;   in Loop: Header=BB290_10 Depth=1
	v_and_b32_e32 v52, 7, v1
	v_lshrrev_b32_e32 v53, 3, v54
	s_mov_b32 s35, exec_lo
	v_cmpx_gt_u32_e32 8, v54
; %bb.230:                              ;   in Loop: Header=BB290_10 Depth=1
	v_ffbh_u32_e32 v52, v52
	v_min_u32_e32 v54, 32, v52
	v_subrev_nc_u32_e32 v52, 28, v54
	v_lshlrev_b64 v[52:53], v52, v[1:2]
	v_sub_nc_u32_e32 v53, 29, v54
	v_and_b32_e32 v52, 7, v52
; %bb.231:                              ;   in Loop: Header=BB290_10 Depth=1
	s_or_b32 exec_lo, exec_lo, s35
	v_lshlrev_b32_e32 v1, 8, v1
	v_lshl_add_u32 v53, v53, 10, 0x2000
	v_lshlrev_b32_e32 v52, 23, v52
	v_and_or_b32 v1, 0x8000, v1, v53
	v_lshl_or_b32 v52, v1, 16, v52
.LBB290_232:                            ;   in Loop: Header=BB290_10 Depth=1
	s_or_b32 exec_lo, exec_lo, s34
.LBB290_233:                            ;   in Loop: Header=BB290_10 Depth=1
	s_or_b32 exec_lo, exec_lo, s33
.LBB290_234:                            ;   in Loop: Header=BB290_10 Depth=1
	s_or_b32 exec_lo, exec_lo, s2
	v_mov_b32_e32 v1, v10
	v_cmp_ne_u16_sdwa s1, v10, v2 src0_sel:BYTE_0 src1_sel:DWORD
	s_and_saveexec_b32 s2, s1
	s_cbranch_execz .LBB290_242
; %bb.235:                              ;   in Loop: Header=BB290_10 Depth=1
	v_cmp_ne_u16_sdwa s1, v10, v17 src0_sel:BYTE_0 src1_sel:DWORD
	v_mov_b32_e32 v51, 0x8000
	s_and_saveexec_b32 s33, s1
	s_cbranch_execz .LBB290_241
; %bb.236:                              ;   in Loop: Header=BB290_10 Depth=1
	v_and_b32_e32 v54, 0x7f, v10
	v_mov_b32_e32 v51, 0x7c01
	s_mov_b32 s34, exec_lo
	v_cmpx_ne_u32_e32 0x7f, v54
	s_cbranch_execz .LBB290_240
; %bb.237:                              ;   in Loop: Header=BB290_10 Depth=1
	v_and_b32_e32 v51, 7, v10
	v_lshrrev_b32_e32 v53, 3, v54
	s_mov_b32 s35, exec_lo
	v_cmpx_gt_u32_e32 8, v54
; %bb.238:                              ;   in Loop: Header=BB290_10 Depth=1
	v_ffbh_u32_e32 v51, v51
	v_min_u32_e32 v51, 32, v51
	v_subrev_nc_u32_e32 v53, 28, v51
	v_lshlrev_b64 v[54:55], v53, v[1:2]
	v_sub_nc_u32_e32 v53, 29, v51
	v_and_b32_e32 v51, 7, v54
; %bb.239:                              ;   in Loop: Header=BB290_10 Depth=1
	s_or_b32 exec_lo, exec_lo, s35
	v_lshlrev_b32_e32 v54, 8, v10
	v_lshl_add_u32 v53, v53, 10, 0x2000
	v_lshlrev_b32_e32 v51, 7, v51
	v_and_b32_e32 v54, 0x8000, v54
	v_and_b32_e32 v53, 0xfc00, v53
	v_or3_b32 v51, v54, v53, v51
.LBB290_240:                            ;   in Loop: Header=BB290_10 Depth=1
	s_or_b32 exec_lo, exec_lo, s34
.LBB290_241:                            ;   in Loop: Header=BB290_10 Depth=1
	s_or_b32 exec_lo, exec_lo, s33
.LBB290_242:                            ;   in Loop: Header=BB290_10 Depth=1
	s_or_b32 exec_lo, exec_lo, s2
	v_lshrrev_b16 v1, 8, v1
	v_mov_b32_e32 v55, 0
	v_mov_b32_e32 v54, 0
	s_mov_b32 s2, exec_lo
	v_cmpx_ne_u16_e32 0, v1
	s_cbranch_execz .LBB290_250
; %bb.243:                              ;   in Loop: Header=BB290_10 Depth=1
	v_bfrev_b32_e32 v54, 1
	s_mov_b32 s33, exec_lo
	v_cmpx_ne_u16_e32 0x80, v1
	s_cbranch_execz .LBB290_249
; %bb.244:                              ;   in Loop: Header=BB290_10 Depth=1
	v_and_b32_sdwa v56, v1, v18 dst_sel:DWORD dst_unused:UNUSED_PAD src0_sel:WORD_0 src1_sel:DWORD
	v_mov_b32_e32 v54, 0x7c010000
	s_mov_b32 s34, exec_lo
	v_cmpx_ne_u32_e32 0x7f, v56
	s_cbranch_execz .LBB290_248
; %bb.245:                              ;   in Loop: Header=BB290_10 Depth=1
	v_and_b32_sdwa v53, v1, v20 dst_sel:DWORD dst_unused:UNUSED_PAD src0_sel:WORD_0 src1_sel:DWORD
	v_lshrrev_b32_e32 v54, 3, v56
	s_mov_b32 s35, exec_lo
	v_cmpx_gt_u32_e32 8, v56
; %bb.246:                              ;   in Loop: Header=BB290_10 Depth=1
	v_ffbh_u32_e32 v53, v53
	v_min_u32_e32 v56, 32, v53
	v_subrev_nc_u32_e32 v53, 28, v56
	v_lshlrev_b64 v[53:54], v53, v[1:2]
	v_sub_nc_u32_e32 v54, 29, v56
	v_and_b32_e32 v53, 7, v53
; %bb.247:                              ;   in Loop: Header=BB290_10 Depth=1
	s_or_b32 exec_lo, exec_lo, s35
	v_lshlrev_b32_sdwa v1, v21, v1 dst_sel:DWORD dst_unused:UNUSED_PAD src0_sel:DWORD src1_sel:WORD_0
	v_lshl_add_u32 v54, v54, 10, 0x2000
	v_lshlrev_b32_e32 v53, 23, v53
	v_and_or_b32 v1, 0x8000, v1, v54
	v_lshl_or_b32 v54, v1, 16, v53
.LBB290_248:                            ;   in Loop: Header=BB290_10 Depth=1
	s_or_b32 exec_lo, exec_lo, s34
.LBB290_249:                            ;   in Loop: Header=BB290_10 Depth=1
	s_or_b32 exec_lo, exec_lo, s33
.LBB290_250:                            ;   in Loop: Header=BB290_10 Depth=1
	s_or_b32 exec_lo, exec_lo, s2
	v_lshrrev_b32_e32 v1, 16, v10
	v_cmp_ne_u16_sdwa s1, v1, v2 src0_sel:BYTE_0 src1_sel:DWORD
	s_and_saveexec_b32 s2, s1
	s_cbranch_execz .LBB290_258
; %bb.251:                              ;   in Loop: Header=BB290_10 Depth=1
	v_cmp_ne_u16_sdwa s1, v1, v17 src0_sel:BYTE_0 src1_sel:DWORD
	v_mov_b32_e32 v55, 0x8000
	s_and_saveexec_b32 s33, s1
	s_cbranch_execz .LBB290_257
; %bb.252:                              ;   in Loop: Header=BB290_10 Depth=1
	v_bfe_u32 v56, v10, 16, 7
	v_mov_b32_e32 v55, 0x7c01
	s_mov_b32 s34, exec_lo
	v_cmpx_ne_u32_e32 0x7f, v56
	s_cbranch_execz .LBB290_256
; %bb.253:                              ;   in Loop: Header=BB290_10 Depth=1
	v_and_b32_e32 v53, 7, v1
	v_lshrrev_b32_e32 v55, 3, v56
	s_mov_b32 s35, exec_lo
	v_cmpx_gt_u32_e32 8, v56
; %bb.254:                              ;   in Loop: Header=BB290_10 Depth=1
	v_ffbh_u32_e32 v53, v53
	v_min_u32_e32 v53, 32, v53
	v_subrev_nc_u32_e32 v55, 28, v53
	v_lshlrev_b64 v[56:57], v55, v[1:2]
	v_sub_nc_u32_e32 v55, 29, v53
	v_and_b32_e32 v53, 7, v56
; %bb.255:                              ;   in Loop: Header=BB290_10 Depth=1
	s_or_b32 exec_lo, exec_lo, s35
	v_lshlrev_b32_e32 v1, 8, v1
	v_lshl_add_u32 v55, v55, 10, 0x2000
	v_lshlrev_b32_e32 v53, 7, v53
	v_and_b32_e32 v1, 0x8000, v1
	v_and_b32_e32 v55, 0xfc00, v55
	v_or3_b32 v55, v1, v55, v53
.LBB290_256:                            ;   in Loop: Header=BB290_10 Depth=1
	s_or_b32 exec_lo, exec_lo, s34
.LBB290_257:                            ;   in Loop: Header=BB290_10 Depth=1
	s_or_b32 exec_lo, exec_lo, s33
.LBB290_258:                            ;   in Loop: Header=BB290_10 Depth=1
	s_or_b32 exec_lo, exec_lo, s2
	v_mov_b32_e32 v53, 0
	v_mov_b32_e32 v58, 0
	s_mov_b32 s2, exec_lo
	v_cmpx_lt_u64_e64 s[4:5], v[9:10]
	s_cbranch_execz .LBB290_266
; %bb.259:                              ;   in Loop: Header=BB290_10 Depth=1
	v_lshrrev_b32_e32 v1, 24, v10
	v_bfrev_b32_e32 v58, 1
	s_mov_b32 s33, exec_lo
	v_cmpx_ne_u32_e32 0x80, v1
	s_cbranch_execz .LBB290_265
; %bb.260:                              ;   in Loop: Header=BB290_10 Depth=1
	v_and_b32_e32 v56, 0x7f, v1
	v_mov_b32_e32 v58, 0x7c010000
	s_mov_b32 s34, exec_lo
	v_cmpx_ne_u32_e32 0x7f, v56
	s_cbranch_execz .LBB290_264
; %bb.261:                              ;   in Loop: Header=BB290_10 Depth=1
	v_and_b32_e32 v9, 7, v1
	v_lshrrev_b32_e32 v10, 3, v56
	s_mov_b32 s35, exec_lo
	v_cmpx_gt_u32_e32 8, v56
; %bb.262:                              ;   in Loop: Header=BB290_10 Depth=1
	v_ffbh_u32_e32 v9, v9
	v_min_u32_e32 v56, 32, v9
	v_subrev_nc_u32_e32 v9, 28, v56
	v_lshlrev_b64 v[9:10], v9, v[1:2]
	v_sub_nc_u32_e32 v10, 29, v56
	v_and_b32_e32 v9, 7, v9
; %bb.263:                              ;   in Loop: Header=BB290_10 Depth=1
	s_or_b32 exec_lo, exec_lo, s35
	v_lshlrev_b32_e32 v1, 8, v1
	v_lshl_add_u32 v10, v10, 10, 0x2000
	v_lshlrev_b32_e32 v9, 23, v9
	v_and_or_b32 v1, 0x8000, v1, v10
	v_lshl_or_b32 v58, v1, 16, v9
.LBB290_264:                            ;   in Loop: Header=BB290_10 Depth=1
	s_or_b32 exec_lo, exec_lo, s34
.LBB290_265:                            ;   in Loop: Header=BB290_10 Depth=1
	s_or_b32 exec_lo, exec_lo, s33
.LBB290_266:                            ;   in Loop: Header=BB290_10 Depth=1
	s_or_b32 exec_lo, exec_lo, s2
	global_load_dwordx2 v[9:10], v[7:8], off offset:1024
	s_waitcnt vmcnt(0)
	v_cmp_ne_u16_sdwa s1, v9, v2 src0_sel:BYTE_0 src1_sel:DWORD
	s_and_saveexec_b32 s2, s1
	s_cbranch_execz .LBB290_274
; %bb.267:                              ;   in Loop: Header=BB290_10 Depth=1
	v_cmp_ne_u16_sdwa s1, v9, v17 src0_sel:BYTE_0 src1_sel:DWORD
	v_mov_b32_e32 v53, 0x8000
	s_and_saveexec_b32 s33, s1
	s_cbranch_execz .LBB290_273
; %bb.268:                              ;   in Loop: Header=BB290_10 Depth=1
	v_and_b32_e32 v56, 0x7f, v9
	v_mov_b32_e32 v53, 0x7c01
	s_mov_b32 s34, exec_lo
	v_cmpx_ne_u32_e32 0x7f, v56
	s_cbranch_execz .LBB290_272
; %bb.269:                              ;   in Loop: Header=BB290_10 Depth=1
	v_and_b32_e32 v1, 7, v9
	v_lshrrev_b32_e32 v53, 3, v56
	s_mov_b32 s35, exec_lo
	v_cmpx_gt_u32_e32 8, v56
; %bb.270:                              ;   in Loop: Header=BB290_10 Depth=1
	v_ffbh_u32_e32 v1, v1
	v_min_u32_e32 v1, 32, v1
	v_subrev_nc_u32_e32 v53, 28, v1
	v_lshlrev_b64 v[56:57], v53, v[9:10]
	v_sub_nc_u32_e32 v53, 29, v1
	v_and_b32_e32 v1, 7, v56
; %bb.271:                              ;   in Loop: Header=BB290_10 Depth=1
	s_or_b32 exec_lo, exec_lo, s35
	v_lshlrev_b32_e32 v56, 8, v9
	v_lshl_add_u32 v53, v53, 10, 0x2000
	v_lshlrev_b32_e32 v1, 7, v1
	v_and_b32_e32 v56, 0x8000, v56
	v_and_b32_e32 v53, 0xfc00, v53
	v_or3_b32 v53, v56, v53, v1
.LBB290_272:                            ;   in Loop: Header=BB290_10 Depth=1
	s_or_b32 exec_lo, exec_lo, s34
.LBB290_273:                            ;   in Loop: Header=BB290_10 Depth=1
	s_or_b32 exec_lo, exec_lo, s33
.LBB290_274:                            ;   in Loop: Header=BB290_10 Depth=1
	s_or_b32 exec_lo, exec_lo, s2
	v_lshrrev_b16 v1, 8, v9
	v_mov_b32_e32 v57, 0
	v_mov_b32_e32 v56, 0
	s_mov_b32 s2, exec_lo
	v_cmpx_ne_u16_e32 0, v1
	s_cbranch_execz .LBB290_282
; %bb.275:                              ;   in Loop: Header=BB290_10 Depth=1
	v_bfrev_b32_e32 v56, 1
	s_mov_b32 s33, exec_lo
	v_cmpx_ne_u16_e32 0x80, v1
	s_cbranch_execz .LBB290_281
; %bb.276:                              ;   in Loop: Header=BB290_10 Depth=1
	v_and_b32_sdwa v60, v1, v18 dst_sel:DWORD dst_unused:UNUSED_PAD src0_sel:WORD_0 src1_sel:DWORD
	v_mov_b32_e32 v56, 0x7c010000
	s_mov_b32 s34, exec_lo
	v_cmpx_ne_u32_e32 0x7f, v60
	s_cbranch_execz .LBB290_280
; %bb.277:                              ;   in Loop: Header=BB290_10 Depth=1
	v_and_b32_sdwa v56, v1, v20 dst_sel:DWORD dst_unused:UNUSED_PAD src0_sel:WORD_0 src1_sel:DWORD
	v_lshrrev_b32_e32 v59, 3, v60
	s_mov_b32 s35, exec_lo
	v_cmpx_gt_u32_e32 8, v60
; %bb.278:                              ;   in Loop: Header=BB290_10 Depth=1
	v_ffbh_u32_e32 v56, v56
	v_min_u32_e32 v56, 32, v56
	v_subrev_nc_u32_e32 v59, 28, v56
	v_lshlrev_b64 v[60:61], v59, v[1:2]
	v_sub_nc_u32_e32 v59, 29, v56
	v_and_b32_e32 v56, 7, v60
; %bb.279:                              ;   in Loop: Header=BB290_10 Depth=1
	s_or_b32 exec_lo, exec_lo, s35
	v_lshlrev_b32_sdwa v1, v21, v1 dst_sel:DWORD dst_unused:UNUSED_PAD src0_sel:DWORD src1_sel:WORD_0
	v_lshl_add_u32 v59, v59, 10, 0x2000
	v_lshlrev_b32_e32 v56, 23, v56
	v_and_or_b32 v1, 0x8000, v1, v59
	v_lshl_or_b32 v56, v1, 16, v56
.LBB290_280:                            ;   in Loop: Header=BB290_10 Depth=1
	s_or_b32 exec_lo, exec_lo, s34
.LBB290_281:                            ;   in Loop: Header=BB290_10 Depth=1
	s_or_b32 exec_lo, exec_lo, s33
.LBB290_282:                            ;   in Loop: Header=BB290_10 Depth=1
	s_or_b32 exec_lo, exec_lo, s2
	v_lshrrev_b32_e32 v1, 16, v9
	v_cmp_ne_u16_sdwa s1, v1, v2 src0_sel:BYTE_0 src1_sel:DWORD
	s_and_saveexec_b32 s2, s1
	s_cbranch_execz .LBB290_290
; %bb.283:                              ;   in Loop: Header=BB290_10 Depth=1
	v_cmp_ne_u16_sdwa s1, v1, v17 src0_sel:BYTE_0 src1_sel:DWORD
	v_mov_b32_e32 v57, 0x8000
	s_and_saveexec_b32 s33, s1
	s_cbranch_execz .LBB290_289
; %bb.284:                              ;   in Loop: Header=BB290_10 Depth=1
	v_bfe_u32 v60, v9, 16, 7
	v_mov_b32_e32 v57, 0x7c01
	s_mov_b32 s34, exec_lo
	v_cmpx_ne_u32_e32 0x7f, v60
	s_cbranch_execz .LBB290_288
; %bb.285:                              ;   in Loop: Header=BB290_10 Depth=1
	v_and_b32_e32 v57, 7, v1
	v_lshrrev_b32_e32 v59, 3, v60
	s_mov_b32 s35, exec_lo
	v_cmpx_gt_u32_e32 8, v60
; %bb.286:                              ;   in Loop: Header=BB290_10 Depth=1
	v_ffbh_u32_e32 v57, v57
	v_min_u32_e32 v57, 32, v57
	v_subrev_nc_u32_e32 v59, 28, v57
	v_lshlrev_b64 v[60:61], v59, v[1:2]
	v_sub_nc_u32_e32 v59, 29, v57
	v_and_b32_e32 v57, 7, v60
; %bb.287:                              ;   in Loop: Header=BB290_10 Depth=1
	s_or_b32 exec_lo, exec_lo, s35
	v_lshlrev_b32_e32 v1, 8, v1
	v_lshl_add_u32 v59, v59, 10, 0x2000
	v_lshlrev_b32_e32 v57, 7, v57
	v_and_b32_e32 v1, 0x8000, v1
	v_and_b32_e32 v59, 0xfc00, v59
	v_or3_b32 v57, v1, v59, v57
.LBB290_288:                            ;   in Loop: Header=BB290_10 Depth=1
	s_or_b32 exec_lo, exec_lo, s34
.LBB290_289:                            ;   in Loop: Header=BB290_10 Depth=1
	s_or_b32 exec_lo, exec_lo, s33
.LBB290_290:                            ;   in Loop: Header=BB290_10 Depth=1
	s_or_b32 exec_lo, exec_lo, s2
	v_mov_b32_e32 v59, 0
	v_mov_b32_e32 v60, 0
	s_mov_b32 s2, exec_lo
	v_cmpx_lt_u32_e32 0xffffff, v9
	s_cbranch_execz .LBB290_298
; %bb.291:                              ;   in Loop: Header=BB290_10 Depth=1
	v_lshrrev_b32_e32 v1, 24, v9
	v_bfrev_b32_e32 v60, 1
	s_mov_b32 s33, exec_lo
	v_cmpx_ne_u32_e32 0x80, v1
	s_cbranch_execz .LBB290_297
; %bb.292:                              ;   in Loop: Header=BB290_10 Depth=1
	v_and_b32_e32 v62, 0x7f, v1
	v_mov_b32_e32 v60, 0x7c010000
	s_mov_b32 s34, exec_lo
	v_cmpx_ne_u32_e32 0x7f, v62
	s_cbranch_execz .LBB290_296
; %bb.293:                              ;   in Loop: Header=BB290_10 Depth=1
	v_and_b32_e32 v60, 7, v1
	v_lshrrev_b32_e32 v61, 3, v62
	s_mov_b32 s35, exec_lo
	v_cmpx_gt_u32_e32 8, v62
; %bb.294:                              ;   in Loop: Header=BB290_10 Depth=1
	v_ffbh_u32_e32 v60, v60
	v_min_u32_e32 v62, 32, v60
	v_subrev_nc_u32_e32 v60, 28, v62
	v_lshlrev_b64 v[60:61], v60, v[1:2]
	v_sub_nc_u32_e32 v61, 29, v62
	v_and_b32_e32 v60, 7, v60
; %bb.295:                              ;   in Loop: Header=BB290_10 Depth=1
	s_or_b32 exec_lo, exec_lo, s35
	v_lshlrev_b32_e32 v1, 8, v1
	v_lshl_add_u32 v61, v61, 10, 0x2000
	v_lshlrev_b32_e32 v60, 23, v60
	v_and_or_b32 v1, 0x8000, v1, v61
	v_lshl_or_b32 v60, v1, 16, v60
.LBB290_296:                            ;   in Loop: Header=BB290_10 Depth=1
	s_or_b32 exec_lo, exec_lo, s34
.LBB290_297:                            ;   in Loop: Header=BB290_10 Depth=1
	s_or_b32 exec_lo, exec_lo, s33
.LBB290_298:                            ;   in Loop: Header=BB290_10 Depth=1
	s_or_b32 exec_lo, exec_lo, s2
	v_mov_b32_e32 v1, v10
	v_cmp_ne_u16_sdwa s1, v10, v2 src0_sel:BYTE_0 src1_sel:DWORD
	s_and_saveexec_b32 s2, s1
	s_cbranch_execz .LBB290_306
; %bb.299:                              ;   in Loop: Header=BB290_10 Depth=1
	v_cmp_ne_u16_sdwa s1, v10, v17 src0_sel:BYTE_0 src1_sel:DWORD
	v_mov_b32_e32 v59, 0x8000
	s_and_saveexec_b32 s33, s1
	s_cbranch_execz .LBB290_305
; %bb.300:                              ;   in Loop: Header=BB290_10 Depth=1
	v_and_b32_e32 v62, 0x7f, v10
	v_mov_b32_e32 v59, 0x7c01
	s_mov_b32 s34, exec_lo
	v_cmpx_ne_u32_e32 0x7f, v62
	s_cbranch_execz .LBB290_304
; %bb.301:                              ;   in Loop: Header=BB290_10 Depth=1
	v_and_b32_e32 v59, 7, v10
	v_lshrrev_b32_e32 v61, 3, v62
	s_mov_b32 s35, exec_lo
	v_cmpx_gt_u32_e32 8, v62
; %bb.302:                              ;   in Loop: Header=BB290_10 Depth=1
	v_ffbh_u32_e32 v59, v59
	v_min_u32_e32 v59, 32, v59
	v_subrev_nc_u32_e32 v61, 28, v59
	v_lshlrev_b64 v[62:63], v61, v[1:2]
	v_sub_nc_u32_e32 v61, 29, v59
	v_and_b32_e32 v59, 7, v62
; %bb.303:                              ;   in Loop: Header=BB290_10 Depth=1
	s_or_b32 exec_lo, exec_lo, s35
	v_lshlrev_b32_e32 v62, 8, v10
	v_lshl_add_u32 v61, v61, 10, 0x2000
	v_lshlrev_b32_e32 v59, 7, v59
	v_and_b32_e32 v62, 0x8000, v62
	v_and_b32_e32 v61, 0xfc00, v61
	v_or3_b32 v59, v62, v61, v59
.LBB290_304:                            ;   in Loop: Header=BB290_10 Depth=1
	s_or_b32 exec_lo, exec_lo, s34
.LBB290_305:                            ;   in Loop: Header=BB290_10 Depth=1
	s_or_b32 exec_lo, exec_lo, s33
.LBB290_306:                            ;   in Loop: Header=BB290_10 Depth=1
	s_or_b32 exec_lo, exec_lo, s2
	v_lshrrev_b16 v1, 8, v1
	v_mov_b32_e32 v63, 0
	v_mov_b32_e32 v62, 0
	s_mov_b32 s2, exec_lo
	v_cmpx_ne_u16_e32 0, v1
	s_cbranch_execz .LBB290_314
; %bb.307:                              ;   in Loop: Header=BB290_10 Depth=1
	v_bfrev_b32_e32 v62, 1
	s_mov_b32 s33, exec_lo
	v_cmpx_ne_u16_e32 0x80, v1
	s_cbranch_execz .LBB290_313
; %bb.308:                              ;   in Loop: Header=BB290_10 Depth=1
	v_and_b32_sdwa v64, v1, v18 dst_sel:DWORD dst_unused:UNUSED_PAD src0_sel:WORD_0 src1_sel:DWORD
	v_mov_b32_e32 v62, 0x7c010000
	s_mov_b32 s34, exec_lo
	v_cmpx_ne_u32_e32 0x7f, v64
	s_cbranch_execz .LBB290_312
; %bb.309:                              ;   in Loop: Header=BB290_10 Depth=1
	v_and_b32_sdwa v61, v1, v20 dst_sel:DWORD dst_unused:UNUSED_PAD src0_sel:WORD_0 src1_sel:DWORD
	v_lshrrev_b32_e32 v62, 3, v64
	s_mov_b32 s35, exec_lo
	v_cmpx_gt_u32_e32 8, v64
; %bb.310:                              ;   in Loop: Header=BB290_10 Depth=1
	v_ffbh_u32_e32 v61, v61
	v_min_u32_e32 v64, 32, v61
	v_subrev_nc_u32_e32 v61, 28, v64
	v_lshlrev_b64 v[61:62], v61, v[1:2]
	v_sub_nc_u32_e32 v62, 29, v64
	v_and_b32_e32 v61, 7, v61
; %bb.311:                              ;   in Loop: Header=BB290_10 Depth=1
	s_or_b32 exec_lo, exec_lo, s35
	v_lshlrev_b32_sdwa v1, v21, v1 dst_sel:DWORD dst_unused:UNUSED_PAD src0_sel:DWORD src1_sel:WORD_0
	v_lshl_add_u32 v62, v62, 10, 0x2000
	v_lshlrev_b32_e32 v61, 23, v61
	v_and_or_b32 v1, 0x8000, v1, v62
	v_lshl_or_b32 v62, v1, 16, v61
.LBB290_312:                            ;   in Loop: Header=BB290_10 Depth=1
	s_or_b32 exec_lo, exec_lo, s34
.LBB290_313:                            ;   in Loop: Header=BB290_10 Depth=1
	s_or_b32 exec_lo, exec_lo, s33
.LBB290_314:                            ;   in Loop: Header=BB290_10 Depth=1
	s_or_b32 exec_lo, exec_lo, s2
	v_lshrrev_b32_e32 v1, 16, v10
	v_cmp_ne_u16_sdwa s1, v1, v2 src0_sel:BYTE_0 src1_sel:DWORD
	s_and_saveexec_b32 s2, s1
	s_cbranch_execz .LBB290_322
; %bb.315:                              ;   in Loop: Header=BB290_10 Depth=1
	v_cmp_ne_u16_sdwa s1, v1, v17 src0_sel:BYTE_0 src1_sel:DWORD
	v_mov_b32_e32 v63, 0x8000
	s_and_saveexec_b32 s33, s1
	s_cbranch_execz .LBB290_321
; %bb.316:                              ;   in Loop: Header=BB290_10 Depth=1
	v_bfe_u32 v64, v10, 16, 7
	v_mov_b32_e32 v63, 0x7c01
	s_mov_b32 s34, exec_lo
	v_cmpx_ne_u32_e32 0x7f, v64
	s_cbranch_execz .LBB290_320
; %bb.317:                              ;   in Loop: Header=BB290_10 Depth=1
	v_and_b32_e32 v61, 7, v1
	v_lshrrev_b32_e32 v63, 3, v64
	s_mov_b32 s35, exec_lo
	v_cmpx_gt_u32_e32 8, v64
; %bb.318:                              ;   in Loop: Header=BB290_10 Depth=1
	v_ffbh_u32_e32 v61, v61
	v_min_u32_e32 v61, 32, v61
	v_subrev_nc_u32_e32 v63, 28, v61
	v_lshlrev_b64 v[64:65], v63, v[1:2]
	v_sub_nc_u32_e32 v63, 29, v61
	v_and_b32_e32 v61, 7, v64
; %bb.319:                              ;   in Loop: Header=BB290_10 Depth=1
	s_or_b32 exec_lo, exec_lo, s35
	v_lshlrev_b32_e32 v1, 8, v1
	v_lshl_add_u32 v63, v63, 10, 0x2000
	v_lshlrev_b32_e32 v61, 7, v61
	v_and_b32_e32 v1, 0x8000, v1
	v_and_b32_e32 v63, 0xfc00, v63
	v_or3_b32 v63, v1, v63, v61
.LBB290_320:                            ;   in Loop: Header=BB290_10 Depth=1
	s_or_b32 exec_lo, exec_lo, s34
.LBB290_321:                            ;   in Loop: Header=BB290_10 Depth=1
	s_or_b32 exec_lo, exec_lo, s33
.LBB290_322:                            ;   in Loop: Header=BB290_10 Depth=1
	s_or_b32 exec_lo, exec_lo, s2
	v_mov_b32_e32 v61, 0
	v_mov_b32_e32 v65, 0
	s_mov_b32 s2, exec_lo
	v_cmpx_lt_u64_e64 s[4:5], v[9:10]
	s_cbranch_execz .LBB290_330
; %bb.323:                              ;   in Loop: Header=BB290_10 Depth=1
	v_lshrrev_b32_e32 v1, 24, v10
	v_bfrev_b32_e32 v65, 1
	s_mov_b32 s33, exec_lo
	v_cmpx_ne_u32_e32 0x80, v1
	s_cbranch_execz .LBB290_329
; %bb.324:                              ;   in Loop: Header=BB290_10 Depth=1
	v_and_b32_e32 v64, 0x7f, v1
	v_mov_b32_e32 v65, 0x7c010000
	s_mov_b32 s34, exec_lo
	v_cmpx_ne_u32_e32 0x7f, v64
	s_cbranch_execz .LBB290_328
; %bb.325:                              ;   in Loop: Header=BB290_10 Depth=1
	v_and_b32_e32 v9, 7, v1
	v_lshrrev_b32_e32 v10, 3, v64
	s_mov_b32 s35, exec_lo
	v_cmpx_gt_u32_e32 8, v64
; %bb.326:                              ;   in Loop: Header=BB290_10 Depth=1
	v_ffbh_u32_e32 v9, v9
	v_min_u32_e32 v64, 32, v9
	v_subrev_nc_u32_e32 v9, 28, v64
	v_lshlrev_b64 v[9:10], v9, v[1:2]
	v_sub_nc_u32_e32 v10, 29, v64
	v_and_b32_e32 v9, 7, v9
; %bb.327:                              ;   in Loop: Header=BB290_10 Depth=1
	s_or_b32 exec_lo, exec_lo, s35
	v_lshlrev_b32_e32 v1, 8, v1
	v_lshl_add_u32 v10, v10, 10, 0x2000
	v_lshlrev_b32_e32 v9, 23, v9
	v_and_or_b32 v1, 0x8000, v1, v10
	v_lshl_or_b32 v65, v1, 16, v9
.LBB290_328:                            ;   in Loop: Header=BB290_10 Depth=1
	s_or_b32 exec_lo, exec_lo, s34
.LBB290_329:                            ;   in Loop: Header=BB290_10 Depth=1
	s_or_b32 exec_lo, exec_lo, s33
.LBB290_330:                            ;   in Loop: Header=BB290_10 Depth=1
	s_or_b32 exec_lo, exec_lo, s2
	global_load_dwordx2 v[9:10], v[7:8], off offset:1032
	s_waitcnt vmcnt(0)
	v_cmp_ne_u16_sdwa s1, v9, v2 src0_sel:BYTE_0 src1_sel:DWORD
	s_and_saveexec_b32 s2, s1
	s_cbranch_execz .LBB290_338
; %bb.331:                              ;   in Loop: Header=BB290_10 Depth=1
	v_cmp_ne_u16_sdwa s1, v9, v17 src0_sel:BYTE_0 src1_sel:DWORD
	v_mov_b32_e32 v61, 0x8000
	s_and_saveexec_b32 s33, s1
	s_cbranch_execz .LBB290_337
; %bb.332:                              ;   in Loop: Header=BB290_10 Depth=1
	v_and_b32_e32 v64, 0x7f, v9
	v_mov_b32_e32 v61, 0x7c01
	s_mov_b32 s34, exec_lo
	v_cmpx_ne_u32_e32 0x7f, v64
	s_cbranch_execz .LBB290_336
; %bb.333:                              ;   in Loop: Header=BB290_10 Depth=1
	v_and_b32_e32 v1, 7, v9
	v_lshrrev_b32_e32 v61, 3, v64
	s_mov_b32 s35, exec_lo
	v_cmpx_gt_u32_e32 8, v64
; %bb.334:                              ;   in Loop: Header=BB290_10 Depth=1
	v_ffbh_u32_e32 v1, v1
	v_min_u32_e32 v1, 32, v1
	v_subrev_nc_u32_e32 v61, 28, v1
	v_lshlrev_b64 v[66:67], v61, v[9:10]
	v_sub_nc_u32_e32 v61, 29, v1
	v_and_b32_e32 v1, 7, v66
; %bb.335:                              ;   in Loop: Header=BB290_10 Depth=1
	s_or_b32 exec_lo, exec_lo, s35
	v_lshlrev_b32_e32 v64, 8, v9
	v_lshl_add_u32 v61, v61, 10, 0x2000
	v_lshlrev_b32_e32 v1, 7, v1
	v_and_b32_e32 v64, 0x8000, v64
	v_and_b32_e32 v61, 0xfc00, v61
	v_or3_b32 v61, v64, v61, v1
.LBB290_336:                            ;   in Loop: Header=BB290_10 Depth=1
	s_or_b32 exec_lo, exec_lo, s34
.LBB290_337:                            ;   in Loop: Header=BB290_10 Depth=1
	s_or_b32 exec_lo, exec_lo, s33
.LBB290_338:                            ;   in Loop: Header=BB290_10 Depth=1
	s_or_b32 exec_lo, exec_lo, s2
	v_lshrrev_b16 v1, 8, v9
	v_mov_b32_e32 v68, 0
	v_mov_b32_e32 v64, 0
	s_mov_b32 s2, exec_lo
	v_cmpx_ne_u16_e32 0, v1
	s_cbranch_execz .LBB290_346
; %bb.339:                              ;   in Loop: Header=BB290_10 Depth=1
	v_bfrev_b32_e32 v64, 1
	s_mov_b32 s33, exec_lo
	v_cmpx_ne_u16_e32 0x80, v1
	s_cbranch_execz .LBB290_345
; %bb.340:                              ;   in Loop: Header=BB290_10 Depth=1
	v_and_b32_sdwa v67, v1, v18 dst_sel:DWORD dst_unused:UNUSED_PAD src0_sel:WORD_0 src1_sel:DWORD
	v_mov_b32_e32 v64, 0x7c010000
	s_mov_b32 s34, exec_lo
	v_cmpx_ne_u32_e32 0x7f, v67
	s_cbranch_execz .LBB290_344
; %bb.341:                              ;   in Loop: Header=BB290_10 Depth=1
	v_and_b32_sdwa v64, v1, v20 dst_sel:DWORD dst_unused:UNUSED_PAD src0_sel:WORD_0 src1_sel:DWORD
	v_lshrrev_b32_e32 v66, 3, v67
	s_mov_b32 s35, exec_lo
	v_cmpx_gt_u32_e32 8, v67
; %bb.342:                              ;   in Loop: Header=BB290_10 Depth=1
	v_ffbh_u32_e32 v64, v64
	v_min_u32_e32 v64, 32, v64
	v_subrev_nc_u32_e32 v66, 28, v64
	v_lshlrev_b64 v[69:70], v66, v[1:2]
	v_sub_nc_u32_e32 v66, 29, v64
	v_and_b32_e32 v64, 7, v69
; %bb.343:                              ;   in Loop: Header=BB290_10 Depth=1
	s_or_b32 exec_lo, exec_lo, s35
	v_lshlrev_b32_sdwa v1, v21, v1 dst_sel:DWORD dst_unused:UNUSED_PAD src0_sel:DWORD src1_sel:WORD_0
	v_lshl_add_u32 v66, v66, 10, 0x2000
	v_lshlrev_b32_e32 v64, 23, v64
	v_and_or_b32 v1, 0x8000, v1, v66
	v_lshl_or_b32 v64, v1, 16, v64
.LBB290_344:                            ;   in Loop: Header=BB290_10 Depth=1
	s_or_b32 exec_lo, exec_lo, s34
.LBB290_345:                            ;   in Loop: Header=BB290_10 Depth=1
	s_or_b32 exec_lo, exec_lo, s33
.LBB290_346:                            ;   in Loop: Header=BB290_10 Depth=1
	s_or_b32 exec_lo, exec_lo, s2
	v_lshrrev_b32_e32 v1, 16, v9
	v_cmp_ne_u16_sdwa s1, v1, v2 src0_sel:BYTE_0 src1_sel:DWORD
	s_and_saveexec_b32 s2, s1
	s_cbranch_execz .LBB290_354
; %bb.347:                              ;   in Loop: Header=BB290_10 Depth=1
	v_cmp_ne_u16_sdwa s1, v1, v17 src0_sel:BYTE_0 src1_sel:DWORD
	v_mov_b32_e32 v68, 0x8000
	s_and_saveexec_b32 s33, s1
	s_cbranch_execz .LBB290_353
; %bb.348:                              ;   in Loop: Header=BB290_10 Depth=1
	v_bfe_u32 v69, v9, 16, 7
	v_mov_b32_e32 v68, 0x7c01
	s_mov_b32 s34, exec_lo
	v_cmpx_ne_u32_e32 0x7f, v69
	s_cbranch_execz .LBB290_352
; %bb.349:                              ;   in Loop: Header=BB290_10 Depth=1
	v_and_b32_e32 v66, 7, v1
	v_lshrrev_b32_e32 v67, 3, v69
	s_mov_b32 s35, exec_lo
	v_cmpx_gt_u32_e32 8, v69
; %bb.350:                              ;   in Loop: Header=BB290_10 Depth=1
	v_ffbh_u32_e32 v66, v66
	v_min_u32_e32 v68, 32, v66
	v_subrev_nc_u32_e32 v66, 28, v68
	v_lshlrev_b64 v[66:67], v66, v[1:2]
	v_sub_nc_u32_e32 v67, 29, v68
	v_and_b32_e32 v66, 7, v66
; %bb.351:                              ;   in Loop: Header=BB290_10 Depth=1
	s_or_b32 exec_lo, exec_lo, s35
	v_lshlrev_b32_e32 v1, 8, v1
	v_lshl_add_u32 v67, v67, 10, 0x2000
	v_lshlrev_b32_e32 v66, 7, v66
	v_and_b32_e32 v1, 0x8000, v1
	v_and_b32_e32 v67, 0xfc00, v67
	v_or3_b32 v68, v1, v67, v66
.LBB290_352:                            ;   in Loop: Header=BB290_10 Depth=1
	s_or_b32 exec_lo, exec_lo, s34
.LBB290_353:                            ;   in Loop: Header=BB290_10 Depth=1
	s_or_b32 exec_lo, exec_lo, s33
.LBB290_354:                            ;   in Loop: Header=BB290_10 Depth=1
	s_or_b32 exec_lo, exec_lo, s2
	v_mov_b32_e32 v66, 0
	v_mov_b32_e32 v67, 0
	s_mov_b32 s2, exec_lo
	v_cmpx_lt_u32_e32 0xffffff, v9
	s_cbranch_execz .LBB290_362
; %bb.355:                              ;   in Loop: Header=BB290_10 Depth=1
	v_lshrrev_b32_e32 v1, 24, v9
	v_bfrev_b32_e32 v67, 1
	s_mov_b32 s33, exec_lo
	v_cmpx_ne_u32_e32 0x80, v1
	s_cbranch_execz .LBB290_361
; %bb.356:                              ;   in Loop: Header=BB290_10 Depth=1
	v_and_b32_e32 v70, 0x7f, v1
	v_mov_b32_e32 v67, 0x7c010000
	s_mov_b32 s34, exec_lo
	v_cmpx_ne_u32_e32 0x7f, v70
	s_cbranch_execz .LBB290_360
; %bb.357:                              ;   in Loop: Header=BB290_10 Depth=1
	v_and_b32_e32 v67, 7, v1
	v_lshrrev_b32_e32 v69, 3, v70
	s_mov_b32 s35, exec_lo
	v_cmpx_gt_u32_e32 8, v70
; %bb.358:                              ;   in Loop: Header=BB290_10 Depth=1
	v_ffbh_u32_e32 v67, v67
	v_min_u32_e32 v67, 32, v67
	v_subrev_nc_u32_e32 v69, 28, v67
	v_lshlrev_b64 v[70:71], v69, v[1:2]
	v_sub_nc_u32_e32 v69, 29, v67
	v_and_b32_e32 v67, 7, v70
; %bb.359:                              ;   in Loop: Header=BB290_10 Depth=1
	s_or_b32 exec_lo, exec_lo, s35
	v_lshlrev_b32_e32 v1, 8, v1
	v_lshl_add_u32 v69, v69, 10, 0x2000
	v_lshlrev_b32_e32 v67, 23, v67
	v_and_or_b32 v1, 0x8000, v1, v69
	v_lshl_or_b32 v67, v1, 16, v67
.LBB290_360:                            ;   in Loop: Header=BB290_10 Depth=1
	s_or_b32 exec_lo, exec_lo, s34
.LBB290_361:                            ;   in Loop: Header=BB290_10 Depth=1
	s_or_b32 exec_lo, exec_lo, s33
.LBB290_362:                            ;   in Loop: Header=BB290_10 Depth=1
	s_or_b32 exec_lo, exec_lo, s2
	v_mov_b32_e32 v1, v10
	v_cmp_ne_u16_sdwa s1, v10, v2 src0_sel:BYTE_0 src1_sel:DWORD
	s_and_saveexec_b32 s2, s1
	s_cbranch_execz .LBB290_370
; %bb.363:                              ;   in Loop: Header=BB290_10 Depth=1
	v_cmp_ne_u16_sdwa s1, v10, v17 src0_sel:BYTE_0 src1_sel:DWORD
	v_mov_b32_e32 v66, 0x8000
	s_and_saveexec_b32 s33, s1
	s_cbranch_execz .LBB290_369
; %bb.364:                              ;   in Loop: Header=BB290_10 Depth=1
	v_and_b32_e32 v70, 0x7f, v10
	v_mov_b32_e32 v66, 0x7c01
	s_mov_b32 s34, exec_lo
	v_cmpx_ne_u32_e32 0x7f, v70
	s_cbranch_execz .LBB290_368
; %bb.365:                              ;   in Loop: Header=BB290_10 Depth=1
	v_and_b32_e32 v66, 7, v10
	v_lshrrev_b32_e32 v69, 3, v70
	s_mov_b32 s35, exec_lo
	v_cmpx_gt_u32_e32 8, v70
; %bb.366:                              ;   in Loop: Header=BB290_10 Depth=1
	v_ffbh_u32_e32 v66, v66
	v_min_u32_e32 v66, 32, v66
	v_subrev_nc_u32_e32 v69, 28, v66
	v_lshlrev_b64 v[70:71], v69, v[1:2]
	v_sub_nc_u32_e32 v69, 29, v66
	v_and_b32_e32 v66, 7, v70
; %bb.367:                              ;   in Loop: Header=BB290_10 Depth=1
	s_or_b32 exec_lo, exec_lo, s35
	v_lshlrev_b32_e32 v70, 8, v10
	v_lshl_add_u32 v69, v69, 10, 0x2000
	v_lshlrev_b32_e32 v66, 7, v66
	v_and_b32_e32 v70, 0x8000, v70
	v_and_b32_e32 v69, 0xfc00, v69
	v_or3_b32 v66, v70, v69, v66
.LBB290_368:                            ;   in Loop: Header=BB290_10 Depth=1
	s_or_b32 exec_lo, exec_lo, s34
.LBB290_369:                            ;   in Loop: Header=BB290_10 Depth=1
	s_or_b32 exec_lo, exec_lo, s33
.LBB290_370:                            ;   in Loop: Header=BB290_10 Depth=1
	s_or_b32 exec_lo, exec_lo, s2
	v_lshrrev_b16 v1, 8, v1
	v_mov_b32_e32 v70, 0
	v_mov_b32_e32 v69, 0
	s_mov_b32 s2, exec_lo
	v_cmpx_ne_u16_e32 0, v1
	s_cbranch_execz .LBB290_378
; %bb.371:                              ;   in Loop: Header=BB290_10 Depth=1
	v_bfrev_b32_e32 v69, 1
	s_mov_b32 s33, exec_lo
	v_cmpx_ne_u16_e32 0x80, v1
	s_cbranch_execz .LBB290_377
; %bb.372:                              ;   in Loop: Header=BB290_10 Depth=1
	v_and_b32_sdwa v72, v1, v18 dst_sel:DWORD dst_unused:UNUSED_PAD src0_sel:WORD_0 src1_sel:DWORD
	v_mov_b32_e32 v69, 0x7c010000
	s_mov_b32 s34, exec_lo
	v_cmpx_ne_u32_e32 0x7f, v72
	s_cbranch_execz .LBB290_376
; %bb.373:                              ;   in Loop: Header=BB290_10 Depth=1
	v_and_b32_sdwa v69, v1, v20 dst_sel:DWORD dst_unused:UNUSED_PAD src0_sel:WORD_0 src1_sel:DWORD
	v_lshrrev_b32_e32 v71, 3, v72
	s_mov_b32 s35, exec_lo
	v_cmpx_gt_u32_e32 8, v72
; %bb.374:                              ;   in Loop: Header=BB290_10 Depth=1
	v_ffbh_u32_e32 v69, v69
	v_min_u32_e32 v69, 32, v69
	v_subrev_nc_u32_e32 v71, 28, v69
	v_lshlrev_b64 v[72:73], v71, v[1:2]
	v_sub_nc_u32_e32 v71, 29, v69
	v_and_b32_e32 v69, 7, v72
; %bb.375:                              ;   in Loop: Header=BB290_10 Depth=1
	s_or_b32 exec_lo, exec_lo, s35
	v_lshlrev_b32_sdwa v1, v21, v1 dst_sel:DWORD dst_unused:UNUSED_PAD src0_sel:DWORD src1_sel:WORD_0
	v_lshl_add_u32 v71, v71, 10, 0x2000
	v_lshlrev_b32_e32 v69, 23, v69
	v_and_or_b32 v1, 0x8000, v1, v71
	v_lshl_or_b32 v69, v1, 16, v69
.LBB290_376:                            ;   in Loop: Header=BB290_10 Depth=1
	s_or_b32 exec_lo, exec_lo, s34
.LBB290_377:                            ;   in Loop: Header=BB290_10 Depth=1
	s_or_b32 exec_lo, exec_lo, s33
.LBB290_378:                            ;   in Loop: Header=BB290_10 Depth=1
	s_or_b32 exec_lo, exec_lo, s2
	v_lshrrev_b32_e32 v1, 16, v10
	v_cmp_ne_u16_sdwa s1, v1, v2 src0_sel:BYTE_0 src1_sel:DWORD
	s_and_saveexec_b32 s2, s1
	s_cbranch_execz .LBB290_386
; %bb.379:                              ;   in Loop: Header=BB290_10 Depth=1
	v_cmp_ne_u16_sdwa s1, v1, v17 src0_sel:BYTE_0 src1_sel:DWORD
	v_mov_b32_e32 v70, 0x8000
	s_and_saveexec_b32 s33, s1
	s_cbranch_execz .LBB290_385
; %bb.380:                              ;   in Loop: Header=BB290_10 Depth=1
	v_bfe_u32 v72, v10, 16, 7
	v_mov_b32_e32 v70, 0x7c01
	s_mov_b32 s34, exec_lo
	v_cmpx_ne_u32_e32 0x7f, v72
	s_cbranch_execz .LBB290_384
; %bb.381:                              ;   in Loop: Header=BB290_10 Depth=1
	v_and_b32_e32 v70, 7, v1
	v_lshrrev_b32_e32 v71, 3, v72
	s_mov_b32 s35, exec_lo
	v_cmpx_gt_u32_e32 8, v72
; %bb.382:                              ;   in Loop: Header=BB290_10 Depth=1
	v_ffbh_u32_e32 v70, v70
	v_min_u32_e32 v72, 32, v70
	v_subrev_nc_u32_e32 v70, 28, v72
	v_lshlrev_b64 v[70:71], v70, v[1:2]
	v_sub_nc_u32_e32 v71, 29, v72
	v_and_b32_e32 v70, 7, v70
; %bb.383:                              ;   in Loop: Header=BB290_10 Depth=1
	s_or_b32 exec_lo, exec_lo, s35
	v_lshlrev_b32_e32 v1, 8, v1
	v_lshl_add_u32 v71, v71, 10, 0x2000
	v_lshlrev_b32_e32 v70, 7, v70
	v_and_b32_e32 v1, 0x8000, v1
	v_and_b32_e32 v71, 0xfc00, v71
	v_or3_b32 v70, v1, v71, v70
.LBB290_384:                            ;   in Loop: Header=BB290_10 Depth=1
	s_or_b32 exec_lo, exec_lo, s34
.LBB290_385:                            ;   in Loop: Header=BB290_10 Depth=1
	s_or_b32 exec_lo, exec_lo, s33
.LBB290_386:                            ;   in Loop: Header=BB290_10 Depth=1
	s_or_b32 exec_lo, exec_lo, s2
	v_mov_b32_e32 v75, 0
	v_mov_b32_e32 v71, 0
	s_mov_b32 s2, exec_lo
	v_cmpx_lt_u64_e64 s[4:5], v[9:10]
	s_cbranch_execz .LBB290_394
; %bb.387:                              ;   in Loop: Header=BB290_10 Depth=1
	v_lshrrev_b32_e32 v1, 24, v10
	v_bfrev_b32_e32 v71, 1
	s_mov_b32 s33, exec_lo
	v_cmpx_ne_u32_e32 0x80, v1
	s_cbranch_execz .LBB290_393
; %bb.388:                              ;   in Loop: Header=BB290_10 Depth=1
	v_and_b32_e32 v72, 0x7f, v1
	v_mov_b32_e32 v71, 0x7c010000
	s_mov_b32 s34, exec_lo
	v_cmpx_ne_u32_e32 0x7f, v72
	s_cbranch_execz .LBB290_392
; %bb.389:                              ;   in Loop: Header=BB290_10 Depth=1
	v_and_b32_e32 v9, 7, v1
	v_lshrrev_b32_e32 v10, 3, v72
	s_mov_b32 s35, exec_lo
	v_cmpx_gt_u32_e32 8, v72
; %bb.390:                              ;   in Loop: Header=BB290_10 Depth=1
	v_ffbh_u32_e32 v9, v9
	v_min_u32_e32 v71, 32, v9
	v_subrev_nc_u32_e32 v9, 28, v71
	v_lshlrev_b64 v[9:10], v9, v[1:2]
	v_sub_nc_u32_e32 v10, 29, v71
	v_and_b32_e32 v9, 7, v9
; %bb.391:                              ;   in Loop: Header=BB290_10 Depth=1
	s_or_b32 exec_lo, exec_lo, s35
	v_lshlrev_b32_e32 v1, 8, v1
	v_lshl_add_u32 v10, v10, 10, 0x2000
	v_lshlrev_b32_e32 v9, 23, v9
	v_and_or_b32 v1, 0x8000, v1, v10
	v_lshl_or_b32 v71, v1, 16, v9
.LBB290_392:                            ;   in Loop: Header=BB290_10 Depth=1
	s_or_b32 exec_lo, exec_lo, s34
.LBB290_393:                            ;   in Loop: Header=BB290_10 Depth=1
	s_or_b32 exec_lo, exec_lo, s33
.LBB290_394:                            ;   in Loop: Header=BB290_10 Depth=1
	s_or_b32 exec_lo, exec_lo, s2
	global_load_dwordx2 v[9:10], v[7:8], off offset:1536
	s_waitcnt vmcnt(0)
	v_cmp_ne_u16_sdwa s1, v9, v2 src0_sel:BYTE_0 src1_sel:DWORD
	s_and_saveexec_b32 s2, s1
	s_cbranch_execz .LBB290_402
; %bb.395:                              ;   in Loop: Header=BB290_10 Depth=1
	v_cmp_ne_u16_sdwa s1, v9, v17 src0_sel:BYTE_0 src1_sel:DWORD
	v_mov_b32_e32 v75, 0x8000
	s_and_saveexec_b32 s33, s1
	s_cbranch_execz .LBB290_401
; %bb.396:                              ;   in Loop: Header=BB290_10 Depth=1
	v_and_b32_e32 v73, 0x7f, v9
	v_mov_b32_e32 v75, 0x7c01
	s_mov_b32 s34, exec_lo
	v_cmpx_ne_u32_e32 0x7f, v73
	s_cbranch_execz .LBB290_400
; %bb.397:                              ;   in Loop: Header=BB290_10 Depth=1
	v_and_b32_e32 v1, 7, v9
	v_lshrrev_b32_e32 v72, 3, v73
	s_mov_b32 s35, exec_lo
	v_cmpx_gt_u32_e32 8, v73
; %bb.398:                              ;   in Loop: Header=BB290_10 Depth=1
	v_ffbh_u32_e32 v1, v1
	v_min_u32_e32 v1, 32, v1
	v_subrev_nc_u32_e32 v72, 28, v1
	v_lshlrev_b64 v[73:74], v72, v[9:10]
	v_sub_nc_u32_e32 v72, 29, v1
	v_and_b32_e32 v1, 7, v73
; %bb.399:                              ;   in Loop: Header=BB290_10 Depth=1
	s_or_b32 exec_lo, exec_lo, s35
	v_lshlrev_b32_e32 v73, 8, v9
	v_lshl_add_u32 v72, v72, 10, 0x2000
	v_lshlrev_b32_e32 v1, 7, v1
	v_and_b32_e32 v73, 0x8000, v73
	v_and_b32_e32 v72, 0xfc00, v72
	v_or3_b32 v75, v73, v72, v1
.LBB290_400:                            ;   in Loop: Header=BB290_10 Depth=1
	s_or_b32 exec_lo, exec_lo, s34
.LBB290_401:                            ;   in Loop: Header=BB290_10 Depth=1
	s_or_b32 exec_lo, exec_lo, s33
.LBB290_402:                            ;   in Loop: Header=BB290_10 Depth=1
	s_or_b32 exec_lo, exec_lo, s2
	v_lshrrev_b16 v1, 8, v9
	v_mov_b32_e32 v78, 0
	v_mov_b32_e32 v73, 0
	s_mov_b32 s2, exec_lo
	v_cmpx_ne_u16_e32 0, v1
	s_cbranch_execz .LBB290_410
; %bb.403:                              ;   in Loop: Header=BB290_10 Depth=1
	v_bfrev_b32_e32 v73, 1
	s_mov_b32 s33, exec_lo
	v_cmpx_ne_u16_e32 0x80, v1
	s_cbranch_execz .LBB290_409
; %bb.404:                              ;   in Loop: Header=BB290_10 Depth=1
	v_and_b32_sdwa v74, v1, v18 dst_sel:DWORD dst_unused:UNUSED_PAD src0_sel:WORD_0 src1_sel:DWORD
	v_mov_b32_e32 v73, 0x7c010000
	s_mov_b32 s34, exec_lo
	v_cmpx_ne_u32_e32 0x7f, v74
	s_cbranch_execz .LBB290_408
; %bb.405:                              ;   in Loop: Header=BB290_10 Depth=1
	v_and_b32_sdwa v72, v1, v20 dst_sel:DWORD dst_unused:UNUSED_PAD src0_sel:WORD_0 src1_sel:DWORD
	v_lshrrev_b32_e32 v73, 3, v74
	s_mov_b32 s35, exec_lo
	v_cmpx_gt_u32_e32 8, v74
; %bb.406:                              ;   in Loop: Header=BB290_10 Depth=1
	v_ffbh_u32_e32 v72, v72
	v_min_u32_e32 v74, 32, v72
	v_subrev_nc_u32_e32 v72, 28, v74
	v_lshlrev_b64 v[72:73], v72, v[1:2]
	v_sub_nc_u32_e32 v73, 29, v74
	v_and_b32_e32 v72, 7, v72
; %bb.407:                              ;   in Loop: Header=BB290_10 Depth=1
	s_or_b32 exec_lo, exec_lo, s35
	v_lshlrev_b32_sdwa v1, v21, v1 dst_sel:DWORD dst_unused:UNUSED_PAD src0_sel:DWORD src1_sel:WORD_0
	v_lshl_add_u32 v73, v73, 10, 0x2000
	v_lshlrev_b32_e32 v72, 23, v72
	v_and_or_b32 v1, 0x8000, v1, v73
	v_lshl_or_b32 v73, v1, 16, v72
.LBB290_408:                            ;   in Loop: Header=BB290_10 Depth=1
	s_or_b32 exec_lo, exec_lo, s34
.LBB290_409:                            ;   in Loop: Header=BB290_10 Depth=1
	s_or_b32 exec_lo, exec_lo, s33
.LBB290_410:                            ;   in Loop: Header=BB290_10 Depth=1
	s_or_b32 exec_lo, exec_lo, s2
	v_lshrrev_b32_e32 v1, 16, v9
	v_cmp_ne_u16_sdwa s1, v1, v2 src0_sel:BYTE_0 src1_sel:DWORD
	s_and_saveexec_b32 s2, s1
	s_cbranch_execz .LBB290_418
; %bb.411:                              ;   in Loop: Header=BB290_10 Depth=1
	v_cmp_ne_u16_sdwa s1, v1, v17 src0_sel:BYTE_0 src1_sel:DWORD
	v_mov_b32_e32 v78, 0x8000
	s_and_saveexec_b32 s33, s1
	s_cbranch_execz .LBB290_417
; %bb.412:                              ;   in Loop: Header=BB290_10 Depth=1
	v_bfe_u32 v76, v9, 16, 7
	v_mov_b32_e32 v78, 0x7c01
	s_mov_b32 s34, exec_lo
	v_cmpx_ne_u32_e32 0x7f, v76
	s_cbranch_execz .LBB290_416
; %bb.413:                              ;   in Loop: Header=BB290_10 Depth=1
	v_and_b32_e32 v72, 7, v1
	v_lshrrev_b32_e32 v74, 3, v76
	s_mov_b32 s35, exec_lo
	v_cmpx_gt_u32_e32 8, v76
; %bb.414:                              ;   in Loop: Header=BB290_10 Depth=1
	v_ffbh_u32_e32 v72, v72
	v_min_u32_e32 v72, 32, v72
	v_subrev_nc_u32_e32 v74, 28, v72
	v_lshlrev_b64 v[76:77], v74, v[1:2]
	v_sub_nc_u32_e32 v74, 29, v72
	v_and_b32_e32 v72, 7, v76
; %bb.415:                              ;   in Loop: Header=BB290_10 Depth=1
	s_or_b32 exec_lo, exec_lo, s35
	v_lshlrev_b32_e32 v1, 8, v1
	v_lshl_add_u32 v74, v74, 10, 0x2000
	v_lshlrev_b32_e32 v72, 7, v72
	v_and_b32_e32 v1, 0x8000, v1
	v_and_b32_e32 v74, 0xfc00, v74
	v_or3_b32 v78, v1, v74, v72
.LBB290_416:                            ;   in Loop: Header=BB290_10 Depth=1
	s_or_b32 exec_lo, exec_lo, s34
.LBB290_417:                            ;   in Loop: Header=BB290_10 Depth=1
	s_or_b32 exec_lo, exec_lo, s33
.LBB290_418:                            ;   in Loop: Header=BB290_10 Depth=1
	s_or_b32 exec_lo, exec_lo, s2
	v_mov_b32_e32 v76, 0
	v_mov_b32_e32 v84, 0
	s_mov_b32 s2, exec_lo
	v_cmpx_lt_u32_e32 0xffffff, v9
	s_cbranch_execz .LBB290_426
; %bb.419:                              ;   in Loop: Header=BB290_10 Depth=1
	v_lshrrev_b32_e32 v1, 24, v9
	v_bfrev_b32_e32 v84, 1
	s_mov_b32 s33, exec_lo
	v_cmpx_ne_u32_e32 0x80, v1
	s_cbranch_execz .LBB290_425
; %bb.420:                              ;   in Loop: Header=BB290_10 Depth=1
	v_and_b32_e32 v77, 0x7f, v1
	v_mov_b32_e32 v84, 0x7c010000
	s_mov_b32 s34, exec_lo
	v_cmpx_ne_u32_e32 0x7f, v77
	s_cbranch_execz .LBB290_424
; %bb.421:                              ;   in Loop: Header=BB290_10 Depth=1
	v_and_b32_e32 v72, 7, v1
	v_lshrrev_b32_e32 v74, 3, v77
	s_mov_b32 s35, exec_lo
	v_cmpx_gt_u32_e32 8, v77
; %bb.422:                              ;   in Loop: Header=BB290_10 Depth=1
	v_ffbh_u32_e32 v72, v72
	v_min_u32_e32 v72, 32, v72
	v_subrev_nc_u32_e32 v74, 28, v72
	v_lshlrev_b64 v[79:80], v74, v[1:2]
	v_sub_nc_u32_e32 v74, 29, v72
	v_and_b32_e32 v72, 7, v79
; %bb.423:                              ;   in Loop: Header=BB290_10 Depth=1
	s_or_b32 exec_lo, exec_lo, s35
	v_lshlrev_b32_e32 v1, 8, v1
	v_lshl_add_u32 v74, v74, 10, 0x2000
	v_lshlrev_b32_e32 v72, 23, v72
	v_and_or_b32 v1, 0x8000, v1, v74
	v_lshl_or_b32 v84, v1, 16, v72
.LBB290_424:                            ;   in Loop: Header=BB290_10 Depth=1
	s_or_b32 exec_lo, exec_lo, s34
.LBB290_425:                            ;   in Loop: Header=BB290_10 Depth=1
	s_or_b32 exec_lo, exec_lo, s33
.LBB290_426:                            ;   in Loop: Header=BB290_10 Depth=1
	s_or_b32 exec_lo, exec_lo, s2
	v_mov_b32_e32 v1, v10
	v_cmp_ne_u16_sdwa s1, v10, v2 src0_sel:BYTE_0 src1_sel:DWORD
	s_and_saveexec_b32 s2, s1
	s_cbranch_execz .LBB290_434
; %bb.427:                              ;   in Loop: Header=BB290_10 Depth=1
	v_cmp_ne_u16_sdwa s1, v10, v17 src0_sel:BYTE_0 src1_sel:DWORD
	v_mov_b32_e32 v76, 0x8000
	s_and_saveexec_b32 s33, s1
	s_cbranch_execz .LBB290_433
; %bb.428:                              ;   in Loop: Header=BB290_10 Depth=1
	v_and_b32_e32 v77, 0x7f, v10
	v_mov_b32_e32 v76, 0x7c01
	s_mov_b32 s34, exec_lo
	v_cmpx_ne_u32_e32 0x7f, v77
	s_cbranch_execz .LBB290_432
; %bb.429:                              ;   in Loop: Header=BB290_10 Depth=1
	v_and_b32_e32 v72, 7, v10
	v_lshrrev_b32_e32 v74, 3, v77
	s_mov_b32 s35, exec_lo
	v_cmpx_gt_u32_e32 8, v77
; %bb.430:                              ;   in Loop: Header=BB290_10 Depth=1
	v_ffbh_u32_e32 v72, v72
	v_min_u32_e32 v72, 32, v72
	v_subrev_nc_u32_e32 v74, 28, v72
	v_lshlrev_b64 v[76:77], v74, v[1:2]
	v_sub_nc_u32_e32 v74, 29, v72
	v_and_b32_e32 v72, 7, v76
; %bb.431:                              ;   in Loop: Header=BB290_10 Depth=1
	s_or_b32 exec_lo, exec_lo, s35
	v_lshlrev_b32_e32 v76, 8, v10
	v_lshl_add_u32 v74, v74, 10, 0x2000
	v_lshlrev_b32_e32 v72, 7, v72
	v_and_b32_e32 v76, 0x8000, v76
	v_and_b32_e32 v74, 0xfc00, v74
	v_or3_b32 v76, v76, v74, v72
.LBB290_432:                            ;   in Loop: Header=BB290_10 Depth=1
	s_or_b32 exec_lo, exec_lo, s34
.LBB290_433:                            ;   in Loop: Header=BB290_10 Depth=1
	s_or_b32 exec_lo, exec_lo, s33
.LBB290_434:                            ;   in Loop: Header=BB290_10 Depth=1
	s_or_b32 exec_lo, exec_lo, s2
	v_lshrrev_b16 v1, 8, v1
	v_mov_b32_e32 v83, 0
	v_mov_b32_e32 v74, 0
	s_mov_b32 s2, exec_lo
	v_cmpx_ne_u16_e32 0, v1
	s_cbranch_execz .LBB290_442
; %bb.435:                              ;   in Loop: Header=BB290_10 Depth=1
	v_bfrev_b32_e32 v74, 1
	s_mov_b32 s33, exec_lo
	v_cmpx_ne_u16_e32 0x80, v1
	s_cbranch_execz .LBB290_441
; %bb.436:                              ;   in Loop: Header=BB290_10 Depth=1
	v_and_b32_sdwa v77, v1, v18 dst_sel:DWORD dst_unused:UNUSED_PAD src0_sel:WORD_0 src1_sel:DWORD
	v_mov_b32_e32 v74, 0x7c010000
	s_mov_b32 s34, exec_lo
	v_cmpx_ne_u32_e32 0x7f, v77
	s_cbranch_execz .LBB290_440
; %bb.437:                              ;   in Loop: Header=BB290_10 Depth=1
	v_and_b32_sdwa v72, v1, v20 dst_sel:DWORD dst_unused:UNUSED_PAD src0_sel:WORD_0 src1_sel:DWORD
	v_lshrrev_b32_e32 v74, 3, v77
	s_mov_b32 s35, exec_lo
	v_cmpx_gt_u32_e32 8, v77
; %bb.438:                              ;   in Loop: Header=BB290_10 Depth=1
	v_ffbh_u32_e32 v72, v72
	v_min_u32_e32 v72, 32, v72
	v_subrev_nc_u32_e32 v74, 28, v72
	v_lshlrev_b64 v[79:80], v74, v[1:2]
	v_sub_nc_u32_e32 v74, 29, v72
	v_and_b32_e32 v72, 7, v79
; %bb.439:                              ;   in Loop: Header=BB290_10 Depth=1
	s_or_b32 exec_lo, exec_lo, s35
	v_lshlrev_b32_sdwa v1, v21, v1 dst_sel:DWORD dst_unused:UNUSED_PAD src0_sel:DWORD src1_sel:WORD_0
	v_lshl_add_u32 v74, v74, 10, 0x2000
	v_lshlrev_b32_e32 v72, 23, v72
	v_and_or_b32 v1, 0x8000, v1, v74
	v_lshl_or_b32 v74, v1, 16, v72
.LBB290_440:                            ;   in Loop: Header=BB290_10 Depth=1
	s_or_b32 exec_lo, exec_lo, s34
.LBB290_441:                            ;   in Loop: Header=BB290_10 Depth=1
	s_or_b32 exec_lo, exec_lo, s33
.LBB290_442:                            ;   in Loop: Header=BB290_10 Depth=1
	s_or_b32 exec_lo, exec_lo, s2
	v_lshrrev_b32_e32 v1, 16, v10
	v_cmp_ne_u16_sdwa s1, v1, v2 src0_sel:BYTE_0 src1_sel:DWORD
	s_and_saveexec_b32 s2, s1
	s_cbranch_execz .LBB290_450
; %bb.443:                              ;   in Loop: Header=BB290_10 Depth=1
	v_cmp_ne_u16_sdwa s1, v1, v17 src0_sel:BYTE_0 src1_sel:DWORD
	v_mov_b32_e32 v83, 0x8000
	s_and_saveexec_b32 s33, s1
	s_cbranch_execz .LBB290_449
; %bb.444:                              ;   in Loop: Header=BB290_10 Depth=1
	v_bfe_u32 v79, v10, 16, 7
	v_mov_b32_e32 v83, 0x7c01
	s_mov_b32 s34, exec_lo
	v_cmpx_ne_u32_e32 0x7f, v79
	s_cbranch_execz .LBB290_448
; %bb.445:                              ;   in Loop: Header=BB290_10 Depth=1
	v_and_b32_e32 v72, 7, v1
	v_lshrrev_b32_e32 v77, 3, v79
	s_mov_b32 s35, exec_lo
	v_cmpx_gt_u32_e32 8, v79
; %bb.446:                              ;   in Loop: Header=BB290_10 Depth=1
	v_ffbh_u32_e32 v72, v72
	v_min_u32_e32 v72, 32, v72
	v_subrev_nc_u32_e32 v77, 28, v72
	v_lshlrev_b64 v[79:80], v77, v[1:2]
	v_sub_nc_u32_e32 v77, 29, v72
	v_and_b32_e32 v72, 7, v79
; %bb.447:                              ;   in Loop: Header=BB290_10 Depth=1
	s_or_b32 exec_lo, exec_lo, s35
	v_lshlrev_b32_e32 v1, 8, v1
	v_lshl_add_u32 v77, v77, 10, 0x2000
	v_lshlrev_b32_e32 v72, 7, v72
	v_and_b32_e32 v1, 0x8000, v1
	v_and_b32_e32 v77, 0xfc00, v77
	v_or3_b32 v83, v1, v77, v72
.LBB290_448:                            ;   in Loop: Header=BB290_10 Depth=1
	s_or_b32 exec_lo, exec_lo, s34
.LBB290_449:                            ;   in Loop: Header=BB290_10 Depth=1
	s_or_b32 exec_lo, exec_lo, s33
.LBB290_450:                            ;   in Loop: Header=BB290_10 Depth=1
	s_or_b32 exec_lo, exec_lo, s2
	v_mov_b32_e32 v72, 0
	v_mov_b32_e32 v77, 0
	s_mov_b32 s2, exec_lo
	v_cmpx_lt_u64_e64 s[4:5], v[9:10]
	s_cbranch_execz .LBB290_458
; %bb.451:                              ;   in Loop: Header=BB290_10 Depth=1
	v_lshrrev_b32_e32 v1, 24, v10
	v_bfrev_b32_e32 v77, 1
	s_mov_b32 s33, exec_lo
	v_cmpx_ne_u32_e32 0x80, v1
	s_cbranch_execz .LBB290_457
; %bb.452:                              ;   in Loop: Header=BB290_10 Depth=1
	v_and_b32_e32 v79, 0x7f, v1
	v_mov_b32_e32 v77, 0x7c010000
	s_mov_b32 s34, exec_lo
	v_cmpx_ne_u32_e32 0x7f, v79
	s_cbranch_execz .LBB290_456
; %bb.453:                              ;   in Loop: Header=BB290_10 Depth=1
	v_and_b32_e32 v9, 7, v1
	v_lshrrev_b32_e32 v10, 3, v79
	s_mov_b32 s35, exec_lo
	v_cmpx_gt_u32_e32 8, v79
; %bb.454:                              ;   in Loop: Header=BB290_10 Depth=1
	v_ffbh_u32_e32 v9, v9
	v_min_u32_e32 v77, 32, v9
	v_subrev_nc_u32_e32 v9, 28, v77
	v_lshlrev_b64 v[9:10], v9, v[1:2]
	v_sub_nc_u32_e32 v10, 29, v77
	v_and_b32_e32 v9, 7, v9
; %bb.455:                              ;   in Loop: Header=BB290_10 Depth=1
	s_or_b32 exec_lo, exec_lo, s35
	v_lshlrev_b32_e32 v1, 8, v1
	v_lshl_add_u32 v10, v10, 10, 0x2000
	v_lshlrev_b32_e32 v9, 23, v9
	v_and_or_b32 v1, 0x8000, v1, v10
	v_lshl_or_b32 v77, v1, 16, v9
.LBB290_456:                            ;   in Loop: Header=BB290_10 Depth=1
	s_or_b32 exec_lo, exec_lo, s34
.LBB290_457:                            ;   in Loop: Header=BB290_10 Depth=1
	s_or_b32 exec_lo, exec_lo, s33
.LBB290_458:                            ;   in Loop: Header=BB290_10 Depth=1
	s_or_b32 exec_lo, exec_lo, s2
	global_load_dwordx2 v[7:8], v[7:8], off offset:1544
	s_waitcnt vmcnt(0)
	v_cmp_ne_u16_sdwa s1, v7, v2 src0_sel:BYTE_0 src1_sel:DWORD
	s_and_saveexec_b32 s2, s1
	s_cbranch_execz .LBB290_466
; %bb.459:                              ;   in Loop: Header=BB290_10 Depth=1
	v_cmp_ne_u16_sdwa s1, v7, v17 src0_sel:BYTE_0 src1_sel:DWORD
	v_mov_b32_e32 v72, 0x8000
	s_and_saveexec_b32 s33, s1
	s_cbranch_execz .LBB290_465
; %bb.460:                              ;   in Loop: Header=BB290_10 Depth=1
	v_and_b32_e32 v10, 0x7f, v7
	v_mov_b32_e32 v72, 0x7c01
	s_mov_b32 s34, exec_lo
	v_cmpx_ne_u32_e32 0x7f, v10
	s_cbranch_execz .LBB290_464
; %bb.461:                              ;   in Loop: Header=BB290_10 Depth=1
	v_and_b32_e32 v1, 7, v7
	v_lshrrev_b32_e32 v9, 3, v10
	s_mov_b32 s35, exec_lo
	v_cmpx_gt_u32_e32 8, v10
; %bb.462:                              ;   in Loop: Header=BB290_10 Depth=1
	v_ffbh_u32_e32 v1, v1
	v_min_u32_e32 v1, 32, v1
	v_subrev_nc_u32_e32 v9, 28, v1
	v_lshlrev_b64 v[79:80], v9, v[7:8]
	v_sub_nc_u32_e32 v9, 29, v1
	v_and_b32_e32 v1, 7, v79
; %bb.463:                              ;   in Loop: Header=BB290_10 Depth=1
	s_or_b32 exec_lo, exec_lo, s35
	v_lshlrev_b32_e32 v10, 8, v7
	v_lshl_add_u32 v9, v9, 10, 0x2000
	v_lshlrev_b32_e32 v1, 7, v1
	v_and_b32_e32 v10, 0x8000, v10
	v_and_b32_e32 v9, 0xfc00, v9
	v_or3_b32 v72, v10, v9, v1
.LBB290_464:                            ;   in Loop: Header=BB290_10 Depth=1
	s_or_b32 exec_lo, exec_lo, s34
.LBB290_465:                            ;   in Loop: Header=BB290_10 Depth=1
	s_or_b32 exec_lo, exec_lo, s33
.LBB290_466:                            ;   in Loop: Header=BB290_10 Depth=1
	s_or_b32 exec_lo, exec_lo, s2
	v_lshrrev_b16 v1, 8, v7
	v_mov_b32_e32 v10, 0
	v_mov_b32_e32 v9, 0
	s_mov_b32 s2, exec_lo
	v_cmpx_ne_u16_e32 0, v1
	s_cbranch_execz .LBB290_474
; %bb.467:                              ;   in Loop: Header=BB290_10 Depth=1
	v_bfrev_b32_e32 v9, 1
	s_mov_b32 s33, exec_lo
	v_cmpx_ne_u16_e32 0x80, v1
	s_cbranch_execz .LBB290_473
; %bb.468:                              ;   in Loop: Header=BB290_10 Depth=1
	v_and_b32_sdwa v80, v1, v18 dst_sel:DWORD dst_unused:UNUSED_PAD src0_sel:WORD_0 src1_sel:DWORD
	v_mov_b32_e32 v9, 0x7c010000
	s_mov_b32 s34, exec_lo
	v_cmpx_ne_u32_e32 0x7f, v80
	s_cbranch_execz .LBB290_472
; %bb.469:                              ;   in Loop: Header=BB290_10 Depth=1
	v_and_b32_sdwa v9, v1, v20 dst_sel:DWORD dst_unused:UNUSED_PAD src0_sel:WORD_0 src1_sel:DWORD
	v_lshrrev_b32_e32 v79, 3, v80
	s_mov_b32 s35, exec_lo
	v_cmpx_gt_u32_e32 8, v80
; %bb.470:                              ;   in Loop: Header=BB290_10 Depth=1
	v_ffbh_u32_e32 v9, v9
	v_min_u32_e32 v9, 32, v9
	v_subrev_nc_u32_e32 v79, 28, v9
	v_lshlrev_b64 v[80:81], v79, v[1:2]
	v_sub_nc_u32_e32 v79, 29, v9
	v_and_b32_e32 v9, 7, v80
; %bb.471:                              ;   in Loop: Header=BB290_10 Depth=1
	s_or_b32 exec_lo, exec_lo, s35
	v_lshlrev_b32_sdwa v1, v21, v1 dst_sel:DWORD dst_unused:UNUSED_PAD src0_sel:DWORD src1_sel:WORD_0
	v_lshl_add_u32 v79, v79, 10, 0x2000
	v_lshlrev_b32_e32 v9, 23, v9
	v_and_or_b32 v1, 0x8000, v1, v79
	v_lshl_or_b32 v9, v1, 16, v9
.LBB290_472:                            ;   in Loop: Header=BB290_10 Depth=1
	s_or_b32 exec_lo, exec_lo, s34
.LBB290_473:                            ;   in Loop: Header=BB290_10 Depth=1
	s_or_b32 exec_lo, exec_lo, s33
.LBB290_474:                            ;   in Loop: Header=BB290_10 Depth=1
	s_or_b32 exec_lo, exec_lo, s2
	v_lshrrev_b32_e32 v1, 16, v7
	v_cmp_ne_u16_sdwa s1, v1, v2 src0_sel:BYTE_0 src1_sel:DWORD
	s_and_saveexec_b32 s2, s1
	s_cbranch_execz .LBB290_482
; %bb.475:                              ;   in Loop: Header=BB290_10 Depth=1
	v_cmp_ne_u16_sdwa s1, v1, v17 src0_sel:BYTE_0 src1_sel:DWORD
	v_mov_b32_e32 v10, 0x8000
	s_and_saveexec_b32 s33, s1
	s_cbranch_execz .LBB290_481
; %bb.476:                              ;   in Loop: Header=BB290_10 Depth=1
	v_bfe_u32 v80, v7, 16, 7
	v_mov_b32_e32 v10, 0x7c01
	s_mov_b32 s34, exec_lo
	v_cmpx_ne_u32_e32 0x7f, v80
	s_cbranch_execz .LBB290_480
; %bb.477:                              ;   in Loop: Header=BB290_10 Depth=1
	v_and_b32_e32 v10, 7, v1
	v_lshrrev_b32_e32 v79, 3, v80
	s_mov_b32 s35, exec_lo
	v_cmpx_gt_u32_e32 8, v80
; %bb.478:                              ;   in Loop: Header=BB290_10 Depth=1
	v_ffbh_u32_e32 v10, v10
	v_min_u32_e32 v10, 32, v10
	v_subrev_nc_u32_e32 v79, 28, v10
	v_lshlrev_b64 v[80:81], v79, v[1:2]
	v_sub_nc_u32_e32 v79, 29, v10
	v_and_b32_e32 v10, 7, v80
; %bb.479:                              ;   in Loop: Header=BB290_10 Depth=1
	s_or_b32 exec_lo, exec_lo, s35
	v_lshlrev_b32_e32 v1, 8, v1
	v_lshl_add_u32 v79, v79, 10, 0x2000
	v_lshlrev_b32_e32 v10, 7, v10
	v_and_b32_e32 v1, 0x8000, v1
	v_and_b32_e32 v79, 0xfc00, v79
	v_or3_b32 v10, v1, v79, v10
.LBB290_480:                            ;   in Loop: Header=BB290_10 Depth=1
	s_or_b32 exec_lo, exec_lo, s34
.LBB290_481:                            ;   in Loop: Header=BB290_10 Depth=1
	s_or_b32 exec_lo, exec_lo, s33
.LBB290_482:                            ;   in Loop: Header=BB290_10 Depth=1
	s_or_b32 exec_lo, exec_lo, s2
	v_mov_b32_e32 v81, 0
	v_mov_b32_e32 v82, 0
	s_mov_b32 s2, exec_lo
	v_cmpx_lt_u32_e32 0xffffff, v7
	s_cbranch_execz .LBB290_490
; %bb.483:                              ;   in Loop: Header=BB290_10 Depth=1
	v_lshrrev_b32_e32 v1, 24, v7
	v_bfrev_b32_e32 v82, 1
	s_mov_b32 s33, exec_lo
	v_cmpx_ne_u32_e32 0x80, v1
	s_cbranch_execz .LBB290_489
; %bb.484:                              ;   in Loop: Header=BB290_10 Depth=1
	v_and_b32_e32 v85, 0x7f, v1
	v_mov_b32_e32 v82, 0x7c010000
	s_mov_b32 s34, exec_lo
	v_cmpx_ne_u32_e32 0x7f, v85
	s_cbranch_execz .LBB290_488
; %bb.485:                              ;   in Loop: Header=BB290_10 Depth=1
	v_and_b32_e32 v79, 7, v1
	v_lshrrev_b32_e32 v80, 3, v85
	s_mov_b32 s35, exec_lo
	v_cmpx_gt_u32_e32 8, v85
; %bb.486:                              ;   in Loop: Header=BB290_10 Depth=1
	v_ffbh_u32_e32 v79, v79
	v_min_u32_e32 v82, 32, v79
	v_subrev_nc_u32_e32 v79, 28, v82
	v_lshlrev_b64 v[79:80], v79, v[1:2]
	v_sub_nc_u32_e32 v80, 29, v82
	v_and_b32_e32 v79, 7, v79
; %bb.487:                              ;   in Loop: Header=BB290_10 Depth=1
	s_or_b32 exec_lo, exec_lo, s35
	v_lshlrev_b32_e32 v1, 8, v1
	v_lshl_add_u32 v80, v80, 10, 0x2000
	v_lshlrev_b32_e32 v79, 23, v79
	v_and_or_b32 v1, 0x8000, v1, v80
	v_lshl_or_b32 v82, v1, 16, v79
.LBB290_488:                            ;   in Loop: Header=BB290_10 Depth=1
	s_or_b32 exec_lo, exec_lo, s34
.LBB290_489:                            ;   in Loop: Header=BB290_10 Depth=1
	s_or_b32 exec_lo, exec_lo, s33
.LBB290_490:                            ;   in Loop: Header=BB290_10 Depth=1
	s_or_b32 exec_lo, exec_lo, s2
	v_mov_b32_e32 v1, v8
	v_cmp_ne_u16_sdwa s1, v8, v2 src0_sel:BYTE_0 src1_sel:DWORD
	s_and_saveexec_b32 s2, s1
	s_cbranch_execz .LBB290_498
; %bb.491:                              ;   in Loop: Header=BB290_10 Depth=1
	v_cmp_ne_u16_sdwa s1, v8, v17 src0_sel:BYTE_0 src1_sel:DWORD
	v_mov_b32_e32 v81, 0x8000
	s_and_saveexec_b32 s33, s1
	s_cbranch_execz .LBB290_497
; %bb.492:                              ;   in Loop: Header=BB290_10 Depth=1
	v_and_b32_e32 v85, 0x7f, v8
	v_mov_b32_e32 v81, 0x7c01
	s_mov_b32 s34, exec_lo
	v_cmpx_ne_u32_e32 0x7f, v85
	s_cbranch_execz .LBB290_496
; %bb.493:                              ;   in Loop: Header=BB290_10 Depth=1
	v_and_b32_e32 v79, 7, v8
	v_lshrrev_b32_e32 v80, 3, v85
	s_mov_b32 s35, exec_lo
	v_cmpx_gt_u32_e32 8, v85
; %bb.494:                              ;   in Loop: Header=BB290_10 Depth=1
	v_ffbh_u32_e32 v79, v79
	v_min_u32_e32 v81, 32, v79
	v_subrev_nc_u32_e32 v79, 28, v81
	v_lshlrev_b64 v[79:80], v79, v[1:2]
	v_sub_nc_u32_e32 v80, 29, v81
	v_and_b32_e32 v79, 7, v79
; %bb.495:                              ;   in Loop: Header=BB290_10 Depth=1
	s_or_b32 exec_lo, exec_lo, s35
	v_lshlrev_b32_e32 v81, 8, v8
	v_lshl_add_u32 v80, v80, 10, 0x2000
	v_lshlrev_b32_e32 v79, 7, v79
	v_and_b32_e32 v81, 0x8000, v81
	v_and_b32_e32 v80, 0xfc00, v80
	v_or3_b32 v81, v81, v80, v79
.LBB290_496:                            ;   in Loop: Header=BB290_10 Depth=1
	s_or_b32 exec_lo, exec_lo, s34
.LBB290_497:                            ;   in Loop: Header=BB290_10 Depth=1
	s_or_b32 exec_lo, exec_lo, s33
.LBB290_498:                            ;   in Loop: Header=BB290_10 Depth=1
	s_or_b32 exec_lo, exec_lo, s2
	v_lshrrev_b16 v1, 8, v1
	v_mov_b32_e32 v80, 0
	v_mov_b32_e32 v79, 0
	s_mov_b32 s2, exec_lo
	v_cmpx_ne_u16_e32 0, v1
	s_cbranch_execz .LBB290_506
; %bb.499:                              ;   in Loop: Header=BB290_10 Depth=1
	v_bfrev_b32_e32 v79, 1
	s_mov_b32 s33, exec_lo
	v_cmpx_ne_u16_e32 0x80, v1
	s_cbranch_execz .LBB290_505
; %bb.500:                              ;   in Loop: Header=BB290_10 Depth=1
	v_and_b32_sdwa v86, v1, v18 dst_sel:DWORD dst_unused:UNUSED_PAD src0_sel:WORD_0 src1_sel:DWORD
	v_mov_b32_e32 v79, 0x7c010000
	s_mov_b32 s34, exec_lo
	v_cmpx_ne_u32_e32 0x7f, v86
	s_cbranch_execz .LBB290_504
; %bb.501:                              ;   in Loop: Header=BB290_10 Depth=1
	v_and_b32_sdwa v79, v1, v20 dst_sel:DWORD dst_unused:UNUSED_PAD src0_sel:WORD_0 src1_sel:DWORD
	v_lshrrev_b32_e32 v85, 3, v86
	s_mov_b32 s35, exec_lo
	v_cmpx_gt_u32_e32 8, v86
; %bb.502:                              ;   in Loop: Header=BB290_10 Depth=1
	v_ffbh_u32_e32 v79, v79
	v_min_u32_e32 v79, 32, v79
	v_subrev_nc_u32_e32 v85, 28, v79
	v_lshlrev_b64 v[86:87], v85, v[1:2]
	v_sub_nc_u32_e32 v85, 29, v79
	v_and_b32_e32 v79, 7, v86
; %bb.503:                              ;   in Loop: Header=BB290_10 Depth=1
	s_or_b32 exec_lo, exec_lo, s35
	v_lshlrev_b32_sdwa v1, v21, v1 dst_sel:DWORD dst_unused:UNUSED_PAD src0_sel:DWORD src1_sel:WORD_0
	v_lshl_add_u32 v85, v85, 10, 0x2000
	v_lshlrev_b32_e32 v79, 23, v79
	v_and_or_b32 v1, 0x8000, v1, v85
	v_lshl_or_b32 v79, v1, 16, v79
.LBB290_504:                            ;   in Loop: Header=BB290_10 Depth=1
	s_or_b32 exec_lo, exec_lo, s34
.LBB290_505:                            ;   in Loop: Header=BB290_10 Depth=1
	s_or_b32 exec_lo, exec_lo, s33
.LBB290_506:                            ;   in Loop: Header=BB290_10 Depth=1
	s_or_b32 exec_lo, exec_lo, s2
	v_lshrrev_b32_e32 v1, 16, v8
	v_cmp_ne_u16_sdwa s1, v1, v2 src0_sel:BYTE_0 src1_sel:DWORD
	s_and_saveexec_b32 s2, s1
	s_cbranch_execz .LBB290_514
; %bb.507:                              ;   in Loop: Header=BB290_10 Depth=1
	v_cmp_ne_u16_sdwa s1, v1, v17 src0_sel:BYTE_0 src1_sel:DWORD
	v_mov_b32_e32 v80, 0x8000
	s_and_saveexec_b32 s33, s1
	s_cbranch_execz .LBB290_513
; %bb.508:                              ;   in Loop: Header=BB290_10 Depth=1
	v_bfe_u32 v86, v8, 16, 7
	v_mov_b32_e32 v80, 0x7c01
	s_mov_b32 s34, exec_lo
	v_cmpx_ne_u32_e32 0x7f, v86
	s_cbranch_execz .LBB290_512
; %bb.509:                              ;   in Loop: Header=BB290_10 Depth=1
	v_and_b32_e32 v80, 7, v1
	v_lshrrev_b32_e32 v85, 3, v86
	s_mov_b32 s35, exec_lo
	v_cmpx_gt_u32_e32 8, v86
; %bb.510:                              ;   in Loop: Header=BB290_10 Depth=1
	v_ffbh_u32_e32 v80, v80
	v_min_u32_e32 v80, 32, v80
	v_subrev_nc_u32_e32 v85, 28, v80
	v_lshlrev_b64 v[86:87], v85, v[1:2]
	v_sub_nc_u32_e32 v85, 29, v80
	v_and_b32_e32 v80, 7, v86
; %bb.511:                              ;   in Loop: Header=BB290_10 Depth=1
	s_or_b32 exec_lo, exec_lo, s35
	v_lshlrev_b32_e32 v1, 8, v1
	v_lshl_add_u32 v85, v85, 10, 0x2000
	v_lshlrev_b32_e32 v80, 7, v80
	v_and_b32_e32 v1, 0x8000, v1
	v_and_b32_e32 v85, 0xfc00, v85
	v_or3_b32 v80, v1, v85, v80
.LBB290_512:                            ;   in Loop: Header=BB290_10 Depth=1
	s_or_b32 exec_lo, exec_lo, s34
.LBB290_513:                            ;   in Loop: Header=BB290_10 Depth=1
	s_or_b32 exec_lo, exec_lo, s33
.LBB290_514:                            ;   in Loop: Header=BB290_10 Depth=1
	s_or_b32 exec_lo, exec_lo, s2
	v_cmp_lt_u64_e64 s1, s[4:5], v[7:8]
	v_mov_b32_e32 v7, 0
	s_and_saveexec_b32 s2, s1
	s_cbranch_execz .LBB290_9
; %bb.515:                              ;   in Loop: Header=BB290_10 Depth=1
	v_lshrrev_b32_e32 v1, 24, v8
	v_bfrev_b32_e32 v7, 1
	s_mov_b32 s33, exec_lo
	v_cmpx_ne_u32_e32 0x80, v1
	s_cbranch_execz .LBB290_8
; %bb.516:                              ;   in Loop: Header=BB290_10 Depth=1
	v_and_b32_e32 v85, 0x7f, v1
	v_mov_b32_e32 v7, 0x7c010000
	s_mov_b32 s34, exec_lo
	v_cmpx_ne_u32_e32 0x7f, v85
	s_cbranch_execz .LBB290_7
; %bb.517:                              ;   in Loop: Header=BB290_10 Depth=1
	v_and_b32_e32 v7, 7, v1
	v_lshrrev_b32_e32 v8, 3, v85
	s_mov_b32 s35, exec_lo
	v_cmpx_gt_u32_e32 8, v85
	s_cbranch_execz .LBB290_6
; %bb.518:                              ;   in Loop: Header=BB290_10 Depth=1
	v_ffbh_u32_e32 v7, v7
	v_min_u32_e32 v85, 32, v7
	v_subrev_nc_u32_e32 v7, 28, v85
	v_lshlrev_b64 v[7:8], v7, v[1:2]
	v_sub_nc_u32_e32 v8, 29, v85
	v_and_b32_e32 v7, 7, v7
	s_branch .LBB290_6
.LBB290_519:
	s_or_b32 exec_lo, exec_lo, s31
.LBB290_520:
	s_or_b32 exec_lo, exec_lo, s19
	v_mbcnt_lo_u32_b32 v2, -1, 0
	v_max_f32_e32 v5, v15, v15
	v_xor_b32_e32 v1, 16, v2
	v_xor_b32_e32 v4, 8, v2
	v_cmp_gt_i32_e32 vcc_lo, 32, v1
	v_cndmask_b32_e32 v1, v2, v1, vcc_lo
	v_cmp_gt_i32_e32 vcc_lo, 32, v4
	v_lshlrev_b32_e32 v1, 2, v1
	v_cndmask_b32_e32 v4, v2, v4, vcc_lo
	ds_bpermute_b32 v3, v1, v15
	s_waitcnt lgkmcnt(0)
	v_max_f32_e32 v6, v3, v3
	v_lshlrev_b32_e32 v3, 2, v4
	v_max_f32_e32 v5, v5, v6
	v_xor_b32_e32 v6, 4, v2
	ds_bpermute_b32 v4, v3, v5
	v_cmp_gt_i32_e32 vcc_lo, 32, v6
	v_cndmask_b32_e32 v6, v2, v6, vcc_lo
	s_waitcnt lgkmcnt(0)
	v_max_f32_e32 v7, v4, v4
	v_lshlrev_b32_e32 v4, 2, v6
	v_max_f32_e32 v5, v5, v7
	v_xor_b32_e32 v7, 2, v2
	ds_bpermute_b32 v6, v4, v5
	v_cmp_gt_i32_e32 vcc_lo, 32, v7
	v_cndmask_b32_e32 v7, v2, v7, vcc_lo
	v_lshlrev_b32_e32 v16, 2, v7
	v_xor_b32_e32 v7, 1, v2
	v_cmp_gt_i32_e32 vcc_lo, 32, v7
	s_waitcnt lgkmcnt(0)
	v_max_f32_e32 v6, v6, v6
	v_cndmask_b32_e32 v7, v2, v7, vcc_lo
	v_cmp_eq_u32_e32 vcc_lo, 0, v12
	v_max_f32_e32 v5, v5, v6
	v_lshlrev_b32_e32 v15, 2, v7
	ds_bpermute_b32 v6, v16, v5
	s_waitcnt lgkmcnt(0)
	v_max_f32_e32 v6, v6, v6
	v_max_f32_e32 v2, v5, v6
	v_lshlrev_b32_e32 v5, 2, v11
	ds_bpermute_b32 v6, v15, v2
	s_and_saveexec_b32 s1, vcc_lo
	s_cbranch_execz .LBB290_522
; %bb.521:
	s_waitcnt lgkmcnt(0)
	v_max_f32_e32 v6, v6, v6
	v_max_f32_e32 v2, v2, v2
	;; [unrolled: 1-line block ×3, first 2 shown]
	ds_write_b32 v5, v2 offset:128
.LBB290_522:
	s_or_b32 exec_lo, exec_lo, s1
	v_cmp_gt_u32_e64 s1, 4, v12
	v_mov_b32_e32 v2, 0xff7fffff
	s_waitcnt lgkmcnt(0)
	s_barrier
	buffer_gl0_inv
	s_and_saveexec_b32 s2, s1
; %bb.523:
	ds_read_b32 v2, v14 offset:128
; %bb.524:
	s_or_b32 exec_lo, exec_lo, s2
	s_waitcnt lgkmcnt(0)
	ds_bpermute_b32 v6, v16, v2
	v_max_f32_e32 v2, v2, v2
	s_lshl_b32 s2, s16, 5
	s_min_i32 s4, s2, s11
	v_cmp_gt_i32_e64 s2, s4, v0
	s_waitcnt lgkmcnt(0)
	v_max_f32_e32 v6, v6, v6
	v_max_f32_e32 v2, v2, v6
	ds_bpermute_b32 v6, v15, v2
	s_waitcnt lgkmcnt(0)
	v_max_f32_e32 v6, v6, v6
	v_max_f32_e32 v2, v2, v6
	v_mov_b32_e32 v6, 0
	ds_bpermute_b32 v7, v6, v2
	v_lshl_add_u32 v2, v0, 2, 0xa0
	s_and_saveexec_b32 s5, s2
	s_cbranch_execz .LBB290_528
; %bb.525:
	v_lshl_add_u32 v8, v0, 2, 0xa0
	v_mov_b32_e32 v6, 0
	v_mov_b32_e32 v9, v0
	s_mov_b32 s12, 0
	.p2align	6
.LBB290_526:                            ; =>This Inner Loop Header: Depth=1
	ds_read_b32 v10, v8
	v_add_nc_u32_e32 v9, 0x80, v9
	v_cmp_le_i32_e64 s3, s4, v9
	s_or_b32 s12, s3, s12
	s_waitcnt lgkmcnt(0)
	v_sub_f32_e32 v10, v10, v7
	v_mul_f32_e32 v10, 0x3fb8aa3b, v10
	v_exp_f32_e32 v10, v10
	ds_write_b32 v8, v10
	v_add_f32_e32 v6, v6, v10
	v_add_nc_u32_e32 v8, 0x200, v8
	s_andn2_b32 exec_lo, exec_lo, s12
	s_cbranch_execnz .LBB290_526
; %bb.527:
	s_or_b32 exec_lo, exec_lo, s12
.LBB290_528:
	s_or_b32 exec_lo, exec_lo, s5
	ds_bpermute_b32 v1, v1, v6
	s_waitcnt lgkmcnt(0)
	v_add_f32_e32 v1, v6, v1
	ds_bpermute_b32 v3, v3, v1
	s_waitcnt lgkmcnt(0)
	v_add_f32_e32 v1, v1, v3
	ds_bpermute_b32 v3, v4, v1
	s_waitcnt lgkmcnt(0)
	v_add_f32_e32 v1, v1, v3
	ds_bpermute_b32 v3, v16, v1
	s_waitcnt lgkmcnt(0)
	v_add_f32_e32 v1, v1, v3
	ds_bpermute_b32 v3, v15, v1
	s_waitcnt lgkmcnt(0)
	v_add_f32_e32 v1, v1, v3
	s_and_saveexec_b32 s3, vcc_lo
; %bb.529:
	ds_write_b32 v5, v1 offset:144
; %bb.530:
	s_or_b32 exec_lo, exec_lo, s3
	s_waitcnt lgkmcnt(0)
	s_barrier
	buffer_gl0_inv
	s_and_saveexec_b32 s3, s1
; %bb.531:
	ds_read_b32 v1, v14 offset:144
; %bb.532:
	s_or_b32 exec_lo, exec_lo, s3
	s_waitcnt lgkmcnt(0)
	ds_bpermute_b32 v3, v16, v1
	s_waitcnt lgkmcnt(0)
	v_add_f32_e32 v1, v1, v3
	ds_bpermute_b32 v3, v15, v1
	s_waitcnt lgkmcnt(0)
	v_add_f32_e32 v1, v1, v3
	v_mov_b32_e32 v3, 0
	ds_bpermute_b32 v1, v3, v1
	s_and_saveexec_b32 s1, s2
	s_cbranch_execz .LBB290_535
; %bb.533:
	s_waitcnt lgkmcnt(0)
	v_add_f32_e32 v1, 0x358637bd, v1
	s_mov_b32 s2, 0
	v_div_scale_f32 v3, null, v1, v1, 1.0
	v_div_scale_f32 v6, vcc_lo, 1.0, v1, 1.0
	v_rcp_f32_e32 v4, v3
	v_fma_f32 v5, -v3, v4, 1.0
	v_fmac_f32_e32 v4, v5, v4
	v_mul_f32_e32 v5, v6, v4
	v_fma_f32 v7, -v3, v5, v6
	v_fmac_f32_e32 v5, v7, v4
	v_fma_f32 v3, -v3, v5, v6
	v_div_fmas_f32 v3, v3, v4, v5
	v_div_fixup_f32 v1, v3, v1, 1.0
	v_mov_b32_e32 v3, v0
.LBB290_534:                            ; =>This Inner Loop Header: Depth=1
	ds_read_b32 v4, v2
	v_add_nc_u32_e32 v3, 0x80, v3
	v_cmp_le_i32_e32 vcc_lo, s4, v3
	s_or_b32 s2, vcc_lo, s2
	s_waitcnt lgkmcnt(0)
	v_mul_f32_e32 v4, v1, v4
	ds_write_b32 v2, v4
	v_add_nc_u32_e32 v2, 0x200, v2
	s_andn2_b32 exec_lo, exec_lo, s2
	s_cbranch_execnz .LBB290_534
.LBB290_535:
	s_or_b32 exec_lo, exec_lo, s1
	v_mov_b32_e32 v22, 0
	v_and_b32_e32 v14, 3, v0
	v_mov_b32_e32 v24, 0
	v_mov_b32_e32 v23, 0
	;; [unrolled: 1-line block ×7, first 2 shown]
	s_waitcnt lgkmcnt(0)
	s_barrier
	buffer_gl0_inv
	s_and_saveexec_b32 s1, s0
	s_cbranch_execz .LBB290_1067
; %bb.536:
	v_lshlrev_b32_e32 v1, 3, v0
	v_lshlrev_b32_e32 v3, 5, v14
	s_ashr_i32 s0, s18, 31
	s_add_u32 s2, s24, s18
	s_addc_u32 s0, s25, s0
	v_and_b32_e32 v5, 24, v1
	v_and_b32_e32 v1, 0xf8, v1
	v_lshl_or_b32 v7, v11, 7, v3
	v_lshlrev_b32_e32 v6, 5, v11
	s_add_i32 s5, s16, -1
	v_mov_b32_e32 v2, 0
	v_add_co_u32 v3, s2, s2, v1
	v_and_b32_e32 v1, 0x7c, v13
	v_add_co_ci_u32_e64 v4, null, s0, 0, s2
	s_lshl_b64 s[2:3], s[26:27], 2
	v_or3_b32 v25, v6, v5, 7
	s_add_u32 s0, s22, s2
	s_addc_u32 s2, s23, s3
	v_add_co_u32 v5, s0, s0, v1
	v_add_nc_u32_e32 v13, 0xa0, v7
	v_add_co_ci_u32_e64 v6, null, s2, 0, s0
	v_mov_b32_e32 v26, 0x80
	v_mov_b32_e32 v27, 0x7f
	;; [unrolled: 1-line block ×13, first 2 shown]
	s_mov_b32 s2, -1
	s_mov_b32 s4, s17
	s_mov_b32 s3, 0xffffff
	;; [unrolled: 1-line block ×3, first 2 shown]
	s_branch .LBB290_538
.LBB290_537:                            ;   in Loop: Header=BB290_538 Depth=1
	s_or_b32 exec_lo, exec_lo, s0
	v_add_f32_e32 v9, v9, v10
	v_add_f32_e32 v10, v52, v53
	v_add_nc_u32_e32 v30, 4, v30
	v_add_f32_e32 v31, v50, v51
	v_add_f32_e32 v32, v48, v49
	;; [unrolled: 1-line block ×3, first 2 shown]
	;;#ASMSTART
	v_pk_mul_f16 v9, v42, v54;

	;;#ASMEND
	;;#ASMSTART
	v_pk_mul_f16 v1, v40, v1;

	;;#ASMEND
	;;#ASMSTART
	v_pk_mul_f16 v8, v39, v8;

	;;#ASMEND
	;;#ASMSTART
	v_pk_mul_f16 v7, v38, v7;

	;;#ASMEND
	;;#ASMSTART
	v_pk_add_f16 v1, v9, v1;

	;;#ASMEND
	;;#ASMSTART
	v_pk_add_f16 v1, v1, v8;

	;;#ASMEND
	;; [unrolled: 4-line block ×3, first 2 shown]
	v_and_b32_e32 v9, 0xffff, v1
	v_add_f32_e32 v19, v19, v10
	v_lshrrev_b32_e32 v10, 16, v1
	;;#ASMSTART
	v_cvt_f32_f16 v9, v9;
	;;#ASMEND
	v_add_f32_e32 v1, v46, v47
	v_add_f32_e32 v7, v44, v45
	;; [unrolled: 1-line block ×3, first 2 shown]
	;;#ASMSTART
	v_cvt_f32_f16 v10, v10;
	;;#ASMEND
	v_add_f32_e32 v9, v9, v10
	v_cmp_le_i32_e32 vcc_lo, s16, v30
	v_add_co_u32 v5, s0, v5, 16
	v_add_f32_e32 v20, v20, v31
	v_add_f32_e32 v21, v21, v32
	;; [unrolled: 1-line block ×6, first 2 shown]
	v_add_nc_u32_e32 v25, 0x80, v25
	v_add_nc_u32_e32 v13, 0x200, v13
	v_add_co_ci_u32_e64 v6, null, 0, v6, s0
	s_or_b32 s12, vcc_lo, s12
	s_andn2_b32 exec_lo, exec_lo, s12
	s_cbranch_execz .LBB290_1066
.LBB290_538:                            ; =>This Inner Loop Header: Depth=1
	global_load_dword v1, v[5:6], off
	ds_read2_b64 v[31:34], v13 offset1:1
	ds_read2_b64 v[44:47], v13 offset0:2 offset1:3
	s_waitcnt lgkmcnt(1)
	;;#ASMSTART
	v_cvt_f16_f32 v38, v31;

	;;#ASMEND
	;;#ASMSTART
	v_cvt_f16_f32 v39, v32;

	;;#ASMEND
	;;#ASMSTART
	v_cvt_f16_f32 v42, v33;

	;;#ASMEND
	;;#ASMSTART
	v_cvt_f16_f32 v40, v34;

	;;#ASMEND
	s_waitcnt lgkmcnt(0)
	;;#ASMSTART
	v_cvt_f16_f32 v44, v44;

	;;#ASMEND
	;;#ASMSTART
	v_cvt_f16_f32 v41, v45;

	;;#ASMEND
	;; [unrolled: 4-line block ×4, first 2 shown]
	v_mov_b32_e32 v33, 0
	s_waitcnt vmcnt(0)
	v_mad_i64_i32 v[7:8], null, v1, s4, v[3:4]
	global_load_dwordx2 v[9:10], v[7:8], off
	global_load_dword v32, v2, s[14:15]
	s_waitcnt vmcnt(1)
	v_cmp_ne_u16_sdwa s13, v9, v2 src0_sel:BYTE_0 src1_sel:DWORD
	s_and_saveexec_b32 s0, s13
	s_cbranch_execz .LBB290_546
; %bb.539:                              ;   in Loop: Header=BB290_538 Depth=1
	v_cmp_ne_u16_sdwa s17, v9, v26 src0_sel:BYTE_0 src1_sel:DWORD
	v_mov_b32_e32 v33, 0x8000
	s_and_saveexec_b32 s13, s17
	s_cbranch_execz .LBB290_545
; %bb.540:                              ;   in Loop: Header=BB290_538 Depth=1
	v_and_b32_e32 v34, 0x7f, v9
	v_mov_b32_e32 v33, 0x7c01
	s_mov_b32 s17, exec_lo
	v_cmpx_ne_u32_e32 0x7f, v34
	s_cbranch_execz .LBB290_544
; %bb.541:                              ;   in Loop: Header=BB290_538 Depth=1
	v_and_b32_e32 v1, 7, v9
	v_lshrrev_b32_e32 v31, 3, v34
	s_mov_b32 s18, exec_lo
	v_cmpx_gt_u32_e32 8, v34
; %bb.542:                              ;   in Loop: Header=BB290_538 Depth=1
	v_ffbh_u32_e32 v1, v1
	v_min_u32_e32 v1, 32, v1
	v_subrev_nc_u32_e32 v31, 28, v1
	v_lshlrev_b64 v[33:34], v31, v[9:10]
	v_sub_nc_u32_e32 v31, 29, v1
	v_and_b32_e32 v1, 7, v33
; %bb.543:                              ;   in Loop: Header=BB290_538 Depth=1
	s_or_b32 exec_lo, exec_lo, s18
	v_lshlrev_b32_e32 v33, 8, v9
	v_lshl_add_u32 v31, v31, 10, 0x2000
	v_lshlrev_b32_e32 v1, 7, v1
	v_and_b32_e32 v33, 0x8000, v33
	v_and_b32_e32 v31, 0xfc00, v31
	v_or3_b32 v33, v33, v31, v1
.LBB290_544:                            ;   in Loop: Header=BB290_538 Depth=1
	s_or_b32 exec_lo, exec_lo, s17
.LBB290_545:                            ;   in Loop: Header=BB290_538 Depth=1
	s_or_b32 exec_lo, exec_lo, s13
.LBB290_546:                            ;   in Loop: Header=BB290_538 Depth=1
	s_or_b32 exec_lo, exec_lo, s0
	v_lshrrev_b16 v1, 8, v9
	v_mov_b32_e32 v31, 0
	v_mov_b32_e32 v34, 0
	s_mov_b32 s0, exec_lo
	v_cmpx_ne_u16_e32 0, v1
	s_cbranch_execz .LBB290_554
; %bb.547:                              ;   in Loop: Header=BB290_538 Depth=1
	v_bfrev_b32_e32 v34, 1
	s_mov_b32 s13, exec_lo
	v_cmpx_ne_u16_e32 0x80, v1
	s_cbranch_execz .LBB290_553
; %bb.548:                              ;   in Loop: Header=BB290_538 Depth=1
	v_and_b32_sdwa v36, v1, v27 dst_sel:DWORD dst_unused:UNUSED_PAD src0_sel:WORD_0 src1_sel:DWORD
	v_mov_b32_e32 v34, 0x7c010000
	s_mov_b32 s17, exec_lo
	v_cmpx_ne_u32_e32 0x7f, v36
	s_cbranch_execz .LBB290_552
; %bb.549:                              ;   in Loop: Header=BB290_538 Depth=1
	v_and_b32_sdwa v34, v1, v28 dst_sel:DWORD dst_unused:UNUSED_PAD src0_sel:WORD_0 src1_sel:DWORD
	v_lshrrev_b32_e32 v35, 3, v36
	s_mov_b32 s18, exec_lo
	v_cmpx_gt_u32_e32 8, v36
; %bb.550:                              ;   in Loop: Header=BB290_538 Depth=1
	v_ffbh_u32_e32 v34, v34
	v_min_u32_e32 v36, 32, v34
	v_subrev_nc_u32_e32 v34, 28, v36
	v_lshlrev_b64 v[34:35], v34, v[1:2]
	v_sub_nc_u32_e32 v35, 29, v36
	v_and_b32_e32 v34, 7, v34
; %bb.551:                              ;   in Loop: Header=BB290_538 Depth=1
	s_or_b32 exec_lo, exec_lo, s18
	v_lshlrev_b32_sdwa v1, v29, v1 dst_sel:DWORD dst_unused:UNUSED_PAD src0_sel:DWORD src1_sel:WORD_0
	v_lshl_add_u32 v35, v35, 10, 0x2000
	v_lshlrev_b32_e32 v34, 23, v34
	v_and_or_b32 v1, 0x8000, v1, v35
	v_lshl_or_b32 v34, v1, 16, v34
.LBB290_552:                            ;   in Loop: Header=BB290_538 Depth=1
	s_or_b32 exec_lo, exec_lo, s17
.LBB290_553:                            ;   in Loop: Header=BB290_538 Depth=1
	s_or_b32 exec_lo, exec_lo, s13
.LBB290_554:                            ;   in Loop: Header=BB290_538 Depth=1
	s_or_b32 exec_lo, exec_lo, s0
	v_lshrrev_b32_e32 v1, 16, v9
	v_cmp_ne_u16_sdwa s13, v1, v2 src0_sel:BYTE_0 src1_sel:DWORD
	s_and_saveexec_b32 s0, s13
	s_cbranch_execz .LBB290_562
; %bb.555:                              ;   in Loop: Header=BB290_538 Depth=1
	v_cmp_ne_u16_sdwa s17, v1, v26 src0_sel:BYTE_0 src1_sel:DWORD
	v_mov_b32_e32 v31, 0x8000
	s_and_saveexec_b32 s13, s17
	s_cbranch_execz .LBB290_561
; %bb.556:                              ;   in Loop: Header=BB290_538 Depth=1
	v_bfe_u32 v36, v9, 16, 7
	v_mov_b32_e32 v31, 0x7c01
	s_mov_b32 s17, exec_lo
	v_cmpx_ne_u32_e32 0x7f, v36
	s_cbranch_execz .LBB290_560
; %bb.557:                              ;   in Loop: Header=BB290_538 Depth=1
	v_and_b32_e32 v31, 7, v1
	v_lshrrev_b32_e32 v35, 3, v36
	s_mov_b32 s18, exec_lo
	v_cmpx_gt_u32_e32 8, v36
; %bb.558:                              ;   in Loop: Header=BB290_538 Depth=1
	v_ffbh_u32_e32 v31, v31
	v_min_u32_e32 v31, 32, v31
	v_subrev_nc_u32_e32 v35, 28, v31
	v_lshlrev_b64 v[36:37], v35, v[1:2]
	v_sub_nc_u32_e32 v35, 29, v31
	v_and_b32_e32 v31, 7, v36
; %bb.559:                              ;   in Loop: Header=BB290_538 Depth=1
	s_or_b32 exec_lo, exec_lo, s18
	v_lshlrev_b32_e32 v1, 8, v1
	v_lshl_add_u32 v35, v35, 10, 0x2000
	v_lshlrev_b32_e32 v31, 7, v31
	v_and_b32_e32 v1, 0x8000, v1
	v_and_b32_e32 v35, 0xfc00, v35
	v_or3_b32 v31, v1, v35, v31
.LBB290_560:                            ;   in Loop: Header=BB290_538 Depth=1
	s_or_b32 exec_lo, exec_lo, s17
.LBB290_561:                            ;   in Loop: Header=BB290_538 Depth=1
	s_or_b32 exec_lo, exec_lo, s13
.LBB290_562:                            ;   in Loop: Header=BB290_538 Depth=1
	s_or_b32 exec_lo, exec_lo, s0
	v_mov_b32_e32 v35, 0
	v_mov_b32_e32 v36, 0
	s_mov_b32 s0, exec_lo
	v_cmpx_lt_u32_e32 0xffffff, v9
	s_cbranch_execz .LBB290_570
; %bb.563:                              ;   in Loop: Header=BB290_538 Depth=1
	v_lshrrev_b32_e32 v1, 24, v9
	v_bfrev_b32_e32 v36, 1
	s_mov_b32 s13, exec_lo
	v_cmpx_ne_u32_e32 0x80, v1
	s_cbranch_execz .LBB290_569
; %bb.564:                              ;   in Loop: Header=BB290_538 Depth=1
	v_and_b32_e32 v46, 0x7f, v1
	v_mov_b32_e32 v36, 0x7c010000
	s_mov_b32 s17, exec_lo
	v_cmpx_ne_u32_e32 0x7f, v46
	s_cbranch_execz .LBB290_568
; %bb.565:                              ;   in Loop: Header=BB290_538 Depth=1
	v_and_b32_e32 v36, 7, v1
	v_lshrrev_b32_e32 v37, 3, v46
	s_mov_b32 s18, exec_lo
	v_cmpx_gt_u32_e32 8, v46
; %bb.566:                              ;   in Loop: Header=BB290_538 Depth=1
	v_ffbh_u32_e32 v36, v36
	v_min_u32_e32 v46, 32, v36
	v_subrev_nc_u32_e32 v36, 28, v46
	v_lshlrev_b64 v[36:37], v36, v[1:2]
	v_sub_nc_u32_e32 v37, 29, v46
	v_and_b32_e32 v36, 7, v36
; %bb.567:                              ;   in Loop: Header=BB290_538 Depth=1
	s_or_b32 exec_lo, exec_lo, s18
	v_lshlrev_b32_e32 v1, 8, v1
	v_lshl_add_u32 v37, v37, 10, 0x2000
	v_lshlrev_b32_e32 v36, 23, v36
	v_and_or_b32 v1, 0x8000, v1, v37
	v_lshl_or_b32 v36, v1, 16, v36
.LBB290_568:                            ;   in Loop: Header=BB290_538 Depth=1
	s_or_b32 exec_lo, exec_lo, s17
.LBB290_569:                            ;   in Loop: Header=BB290_538 Depth=1
	s_or_b32 exec_lo, exec_lo, s13
.LBB290_570:                            ;   in Loop: Header=BB290_538 Depth=1
	s_or_b32 exec_lo, exec_lo, s0
	v_mov_b32_e32 v1, v10
	v_cmp_ne_u16_sdwa s13, v10, v2 src0_sel:BYTE_0 src1_sel:DWORD
	s_and_saveexec_b32 s0, s13
	s_cbranch_execz .LBB290_578
; %bb.571:                              ;   in Loop: Header=BB290_538 Depth=1
	v_cmp_ne_u16_sdwa s17, v10, v26 src0_sel:BYTE_0 src1_sel:DWORD
	v_mov_b32_e32 v35, 0x8000
	s_and_saveexec_b32 s13, s17
	s_cbranch_execz .LBB290_577
; %bb.572:                              ;   in Loop: Header=BB290_538 Depth=1
	v_and_b32_e32 v46, 0x7f, v10
	v_mov_b32_e32 v35, 0x7c01
	s_mov_b32 s17, exec_lo
	v_cmpx_ne_u32_e32 0x7f, v46
	s_cbranch_execz .LBB290_576
; %bb.573:                              ;   in Loop: Header=BB290_538 Depth=1
	v_and_b32_e32 v35, 7, v10
	v_lshrrev_b32_e32 v37, 3, v46
	s_mov_b32 s18, exec_lo
	v_cmpx_gt_u32_e32 8, v46
; %bb.574:                              ;   in Loop: Header=BB290_538 Depth=1
	v_ffbh_u32_e32 v35, v35
	v_min_u32_e32 v35, 32, v35
	v_subrev_nc_u32_e32 v37, 28, v35
	v_lshlrev_b64 v[46:47], v37, v[1:2]
	v_sub_nc_u32_e32 v37, 29, v35
	v_and_b32_e32 v35, 7, v46
; %bb.575:                              ;   in Loop: Header=BB290_538 Depth=1
	s_or_b32 exec_lo, exec_lo, s18
	v_lshlrev_b32_e32 v46, 8, v10
	v_lshl_add_u32 v37, v37, 10, 0x2000
	v_lshlrev_b32_e32 v35, 7, v35
	v_and_b32_e32 v46, 0x8000, v46
	v_and_b32_e32 v37, 0xfc00, v37
	v_or3_b32 v35, v46, v37, v35
.LBB290_576:                            ;   in Loop: Header=BB290_538 Depth=1
	s_or_b32 exec_lo, exec_lo, s17
.LBB290_577:                            ;   in Loop: Header=BB290_538 Depth=1
	s_or_b32 exec_lo, exec_lo, s13
.LBB290_578:                            ;   in Loop: Header=BB290_538 Depth=1
	s_or_b32 exec_lo, exec_lo, s0
	v_lshrrev_b16 v1, 8, v1
	v_mov_b32_e32 v46, 0
	v_mov_b32_e32 v37, 0
	s_mov_b32 s0, exec_lo
	v_cmpx_ne_u16_e32 0, v1
	s_cbranch_execz .LBB290_586
; %bb.579:                              ;   in Loop: Header=BB290_538 Depth=1
	v_bfrev_b32_e32 v37, 1
	s_mov_b32 s13, exec_lo
	v_cmpx_ne_u16_e32 0x80, v1
	s_cbranch_execz .LBB290_585
; %bb.580:                              ;   in Loop: Header=BB290_538 Depth=1
	v_and_b32_sdwa v48, v1, v27 dst_sel:DWORD dst_unused:UNUSED_PAD src0_sel:WORD_0 src1_sel:DWORD
	v_mov_b32_e32 v37, 0x7c010000
	s_mov_b32 s17, exec_lo
	v_cmpx_ne_u32_e32 0x7f, v48
	s_cbranch_execz .LBB290_584
; %bb.581:                              ;   in Loop: Header=BB290_538 Depth=1
	v_and_b32_sdwa v37, v1, v28 dst_sel:DWORD dst_unused:UNUSED_PAD src0_sel:WORD_0 src1_sel:DWORD
	v_lshrrev_b32_e32 v47, 3, v48
	s_mov_b32 s18, exec_lo
	v_cmpx_gt_u32_e32 8, v48
; %bb.582:                              ;   in Loop: Header=BB290_538 Depth=1
	v_ffbh_u32_e32 v37, v37
	v_min_u32_e32 v37, 32, v37
	v_subrev_nc_u32_e32 v47, 28, v37
	v_lshlrev_b64 v[48:49], v47, v[1:2]
	v_sub_nc_u32_e32 v47, 29, v37
	v_and_b32_e32 v37, 7, v48
; %bb.583:                              ;   in Loop: Header=BB290_538 Depth=1
	s_or_b32 exec_lo, exec_lo, s18
	v_lshlrev_b32_sdwa v1, v29, v1 dst_sel:DWORD dst_unused:UNUSED_PAD src0_sel:DWORD src1_sel:WORD_0
	v_lshl_add_u32 v47, v47, 10, 0x2000
	v_lshlrev_b32_e32 v37, 23, v37
	v_and_or_b32 v1, 0x8000, v1, v47
	v_lshl_or_b32 v37, v1, 16, v37
.LBB290_584:                            ;   in Loop: Header=BB290_538 Depth=1
	s_or_b32 exec_lo, exec_lo, s17
.LBB290_585:                            ;   in Loop: Header=BB290_538 Depth=1
	s_or_b32 exec_lo, exec_lo, s13
.LBB290_586:                            ;   in Loop: Header=BB290_538 Depth=1
	s_or_b32 exec_lo, exec_lo, s0
	v_lshrrev_b32_e32 v1, 16, v10
	v_cmp_ne_u16_sdwa s13, v1, v2 src0_sel:BYTE_0 src1_sel:DWORD
	s_and_saveexec_b32 s0, s13
	s_cbranch_execz .LBB290_594
; %bb.587:                              ;   in Loop: Header=BB290_538 Depth=1
	v_cmp_ne_u16_sdwa s17, v1, v26 src0_sel:BYTE_0 src1_sel:DWORD
	v_mov_b32_e32 v46, 0x8000
	s_and_saveexec_b32 s13, s17
	s_cbranch_execz .LBB290_593
; %bb.588:                              ;   in Loop: Header=BB290_538 Depth=1
	v_bfe_u32 v48, v10, 16, 7
	v_mov_b32_e32 v46, 0x7c01
	s_mov_b32 s17, exec_lo
	v_cmpx_ne_u32_e32 0x7f, v48
	s_cbranch_execz .LBB290_592
; %bb.589:                              ;   in Loop: Header=BB290_538 Depth=1
	v_and_b32_e32 v46, 7, v1
	v_lshrrev_b32_e32 v47, 3, v48
	s_mov_b32 s18, exec_lo
	v_cmpx_gt_u32_e32 8, v48
; %bb.590:                              ;   in Loop: Header=BB290_538 Depth=1
	v_ffbh_u32_e32 v46, v46
	v_min_u32_e32 v48, 32, v46
	v_subrev_nc_u32_e32 v46, 28, v48
	v_lshlrev_b64 v[46:47], v46, v[1:2]
	v_sub_nc_u32_e32 v47, 29, v48
	v_and_b32_e32 v46, 7, v46
; %bb.591:                              ;   in Loop: Header=BB290_538 Depth=1
	s_or_b32 exec_lo, exec_lo, s18
	v_lshlrev_b32_e32 v1, 8, v1
	v_lshl_add_u32 v47, v47, 10, 0x2000
	v_lshlrev_b32_e32 v46, 7, v46
	v_and_b32_e32 v1, 0x8000, v1
	v_and_b32_e32 v47, 0xfc00, v47
	v_or3_b32 v46, v1, v47, v46
.LBB290_592:                            ;   in Loop: Header=BB290_538 Depth=1
	s_or_b32 exec_lo, exec_lo, s17
.LBB290_593:                            ;   in Loop: Header=BB290_538 Depth=1
	s_or_b32 exec_lo, exec_lo, s13
.LBB290_594:                            ;   in Loop: Header=BB290_538 Depth=1
	s_or_b32 exec_lo, exec_lo, s0
	v_cmp_lt_u64_e32 vcc_lo, s[2:3], v[9:10]
	v_mov_b32_e32 v9, 0
	s_and_saveexec_b32 s0, vcc_lo
	s_cbranch_execz .LBB290_602
; %bb.595:                              ;   in Loop: Header=BB290_538 Depth=1
	v_lshrrev_b32_e32 v1, 24, v10
	v_bfrev_b32_e32 v9, 1
	s_mov_b32 s13, exec_lo
	v_cmpx_ne_u32_e32 0x80, v1
	s_cbranch_execz .LBB290_601
; %bb.596:                              ;   in Loop: Header=BB290_538 Depth=1
	v_and_b32_e32 v47, 0x7f, v1
	v_mov_b32_e32 v9, 0x7c010000
	s_mov_b32 s17, exec_lo
	v_cmpx_ne_u32_e32 0x7f, v47
	s_cbranch_execz .LBB290_600
; %bb.597:                              ;   in Loop: Header=BB290_538 Depth=1
	v_and_b32_e32 v9, 7, v1
	v_lshrrev_b32_e32 v10, 3, v47
	s_mov_b32 s18, exec_lo
	v_cmpx_gt_u32_e32 8, v47
; %bb.598:                              ;   in Loop: Header=BB290_538 Depth=1
	v_ffbh_u32_e32 v9, v9
	v_min_u32_e32 v47, 32, v9
	v_subrev_nc_u32_e32 v9, 28, v47
	v_lshlrev_b64 v[9:10], v9, v[1:2]
	v_sub_nc_u32_e32 v10, 29, v47
	v_and_b32_e32 v9, 7, v9
; %bb.599:                              ;   in Loop: Header=BB290_538 Depth=1
	s_or_b32 exec_lo, exec_lo, s18
	v_lshlrev_b32_e32 v1, 8, v1
	v_lshl_add_u32 v10, v10, 10, 0x2000
	v_lshlrev_b32_e32 v9, 23, v9
	v_and_or_b32 v1, 0x8000, v1, v10
	v_lshl_or_b32 v9, v1, 16, v9
.LBB290_600:                            ;   in Loop: Header=BB290_538 Depth=1
	s_or_b32 exec_lo, exec_lo, s17
.LBB290_601:                            ;   in Loop: Header=BB290_538 Depth=1
	s_or_b32 exec_lo, exec_lo, s13
.LBB290_602:                            ;   in Loop: Header=BB290_538 Depth=1
	s_or_b32 exec_lo, exec_lo, s0
	v_or_b32_e32 v1, v36, v31
	s_waitcnt vmcnt(0)
	v_fma_mixlo_f16 v10, v32, v36, 0 op_sel:[0,1,0] op_sel_hi:[0,1,0]
	v_or_b32_e32 v33, v34, v33
	v_fma_mixlo_f16 v34, v32, v34, 0 op_sel:[0,1,0] op_sel_hi:[0,1,0]
	v_or_b32_e32 v35, v37, v35
	v_fma_mixlo_f16 v1, v32, v1, 0 op_sel_hi:[0,1,0]
	v_or_b32_e32 v36, v9, v46
	v_fma_mixlo_f16 v9, v32, v9, 0 op_sel:[0,1,0] op_sel_hi:[0,1,0]
	v_lshlrev_b32_e32 v52, 16, v34
	v_fma_mixlo_f16 v34, v32, v35, 0 op_sel_hi:[0,1,0]
	v_and_b32_e32 v49, 0xffff, v1
	v_fma_mixlo_f16 v1, v32, v33, 0 op_sel_hi:[0,1,0]
	v_fma_mixlo_f16 v33, v32, v37, 0 op_sel:[0,1,0] op_sel_hi:[0,1,0]
	v_fma_mixlo_f16 v32, v32, v36, 0 op_sel_hi:[0,1,0]
	v_lshlrev_b32_e32 v10, 16, v10
	v_and_b32_e32 v53, 0xffff, v34
	v_and_b32_e32 v54, 0xffff, v1
	v_lshlrev_b32_e32 v50, 16, v33
	v_lshlrev_b32_e32 v47, 16, v9
	v_and_b32_e32 v51, 0xffff, v32
	v_add_nc_u32_e32 v31, -7, v25
	v_cmp_eq_u32_e32 vcc_lo, s5, v30
	v_or_b32_e32 v1, v10, v49
	v_or_b32_e32 v9, v52, v54
	;; [unrolled: 1-line block ×4, first 2 shown]
	v_add_nc_u32_e32 v37, -6, v25
	v_add_nc_u32_e32 v36, -5, v25
	;; [unrolled: 1-line block ×6, first 2 shown]
	s_and_saveexec_b32 s13, vcc_lo
	s_cbranch_execz .LBB290_604
; %bb.603:                              ;   in Loop: Header=BB290_538 Depth=1
	v_cmp_gt_i32_e64 s0, s11, v31
	v_cndmask_b32_e64 v1, 0, v54, s0
	v_cmp_gt_i32_e64 s0, s11, v37
	v_cndmask_b32_e64 v9, 0, v52, s0
	v_cmp_gt_i32_e64 s0, s11, v36
	v_or_b32_e32 v9, v9, v1
	v_cndmask_b32_e64 v46, 0, v49, s0
	v_cmp_gt_i32_e64 s0, s11, v35
	v_cndmask_b32_e64 v10, 0, v10, s0
	v_cmp_gt_i32_e64 s0, s11, v34
	v_or_b32_e32 v1, v10, v46
	;; [unrolled: 5-line block ×3, first 2 shown]
	v_cndmask_b32_e64 v50, 0, v51, s0
	v_cmp_gt_i32_e64 s0, s11, v25
	v_cndmask_b32_e64 v47, 0, v47, s0
	v_or_b32_e32 v48, v47, v50
.LBB290_604:                            ;   in Loop: Header=BB290_538 Depth=1
	s_or_b32 exec_lo, exec_lo, s13
	v_and_b32_e32 v10, 0xffff, v38
	v_and_b32_e32 v38, 0xffff, v42
	;; [unrolled: 1-line block ×4, first 2 shown]
	v_lshl_or_b32 v42, v39, 16, v10
	v_lshl_or_b32 v40, v40, 16, v38
	;;#ASMSTART
	v_pk_mul_f16 v9, v42, v9;

	;;#ASMEND
	;;#ASMSTART
	v_pk_mul_f16 v1, v40, v1;

	;;#ASMEND
	v_lshl_or_b32 v39, v41, 16, v44
	v_lshl_or_b32 v38, v43, 16, v45
	;;#ASMSTART
	v_pk_mul_f16 v10, v39, v46;

	;;#ASMEND
	;;#ASMSTART
	v_pk_mul_f16 v41, v38, v48;

	;;#ASMEND
	;;#ASMSTART
	v_pk_add_f16 v1, v9, v1;

	;;#ASMEND
	;;#ASMSTART
	v_pk_add_f16 v1, v1, v10;
	;; [unrolled: 4-line block ×3, first 2 shown]

	;;#ASMEND
	v_and_b32_e32 v9, 0xffff, v1
	v_lshrrev_b32_e32 v1, 16, v1
	;;#ASMSTART
	v_cvt_f32_f16 v41, v9;
	;;#ASMEND
	;;#ASMSTART
	v_cvt_f32_f16 v43, v1;
	;;#ASMEND
	global_load_dwordx2 v[9:10], v[7:8], off offset:256
	v_mov_b32_e32 v45, 0
	v_mov_b32_e32 v46, 0
	global_load_dword v44, v45, s[14:15]
	s_waitcnt vmcnt(1)
	v_cmp_ne_u16_sdwa s0, v9, v2 src0_sel:BYTE_0 src1_sel:DWORD
	s_and_saveexec_b32 s13, s0
	s_cbranch_execz .LBB290_612
; %bb.605:                              ;   in Loop: Header=BB290_538 Depth=1
	v_cmp_ne_u16_sdwa s0, v9, v26 src0_sel:BYTE_0 src1_sel:DWORD
	v_mov_b32_e32 v46, 0x8000
	s_and_saveexec_b32 s17, s0
	s_cbranch_execz .LBB290_611
; %bb.606:                              ;   in Loop: Header=BB290_538 Depth=1
	v_and_b32_e32 v47, 0x7f, v9
	v_mov_b32_e32 v46, 0x7c01
	s_mov_b32 s18, exec_lo
	v_cmpx_ne_u32_e32 0x7f, v47
	s_cbranch_execz .LBB290_610
; %bb.607:                              ;   in Loop: Header=BB290_538 Depth=1
	v_and_b32_e32 v1, 7, v9
	v_lshrrev_b32_e32 v46, 3, v47
	s_mov_b32 s19, exec_lo
	v_cmpx_gt_u32_e32 8, v47
; %bb.608:                              ;   in Loop: Header=BB290_538 Depth=1
	v_ffbh_u32_e32 v1, v1
	v_min_u32_e32 v1, 32, v1
	v_subrev_nc_u32_e32 v46, 28, v1
	v_lshlrev_b64 v[47:48], v46, v[9:10]
	v_sub_nc_u32_e32 v46, 29, v1
	v_and_b32_e32 v1, 7, v47
; %bb.609:                              ;   in Loop: Header=BB290_538 Depth=1
	s_or_b32 exec_lo, exec_lo, s19
	v_lshlrev_b32_e32 v47, 8, v9
	v_lshl_add_u32 v46, v46, 10, 0x2000
	v_lshlrev_b32_e32 v1, 7, v1
	v_and_b32_e32 v47, 0x8000, v47
	v_and_b32_e32 v46, 0xfc00, v46
	v_or3_b32 v46, v47, v46, v1
.LBB290_610:                            ;   in Loop: Header=BB290_538 Depth=1
	s_or_b32 exec_lo, exec_lo, s18
.LBB290_611:                            ;   in Loop: Header=BB290_538 Depth=1
	s_or_b32 exec_lo, exec_lo, s17
.LBB290_612:                            ;   in Loop: Header=BB290_538 Depth=1
	s_or_b32 exec_lo, exec_lo, s13
	v_lshrrev_b16 v1, 8, v9
	s_mov_b32 s13, exec_lo
	v_cmpx_ne_u16_e32 0, v1
	s_cbranch_execz .LBB290_620
; %bb.613:                              ;   in Loop: Header=BB290_538 Depth=1
	v_bfrev_b32_e32 v45, 1
	s_mov_b32 s17, exec_lo
	v_cmpx_ne_u16_e32 0x80, v1
	s_cbranch_execz .LBB290_619
; %bb.614:                              ;   in Loop: Header=BB290_538 Depth=1
	v_and_b32_sdwa v48, v1, v27 dst_sel:DWORD dst_unused:UNUSED_PAD src0_sel:WORD_0 src1_sel:DWORD
	v_mov_b32_e32 v45, 0x7c010000
	s_mov_b32 s18, exec_lo
	v_cmpx_ne_u32_e32 0x7f, v48
	s_cbranch_execz .LBB290_618
; %bb.615:                              ;   in Loop: Header=BB290_538 Depth=1
	v_and_b32_sdwa v45, v1, v28 dst_sel:DWORD dst_unused:UNUSED_PAD src0_sel:WORD_0 src1_sel:DWORD
	v_lshrrev_b32_e32 v47, 3, v48
	s_mov_b32 s19, exec_lo
	v_cmpx_gt_u32_e32 8, v48
; %bb.616:                              ;   in Loop: Header=BB290_538 Depth=1
	v_ffbh_u32_e32 v45, v45
	v_min_u32_e32 v45, 32, v45
	v_subrev_nc_u32_e32 v47, 28, v45
	v_lshlrev_b64 v[48:49], v47, v[1:2]
	v_sub_nc_u32_e32 v47, 29, v45
	v_and_b32_e32 v45, 7, v48
; %bb.617:                              ;   in Loop: Header=BB290_538 Depth=1
	s_or_b32 exec_lo, exec_lo, s19
	v_lshlrev_b32_sdwa v1, v29, v1 dst_sel:DWORD dst_unused:UNUSED_PAD src0_sel:DWORD src1_sel:WORD_0
	v_lshl_add_u32 v47, v47, 10, 0x2000
	v_lshlrev_b32_e32 v45, 23, v45
	v_and_or_b32 v1, 0x8000, v1, v47
	v_lshl_or_b32 v45, v1, 16, v45
.LBB290_618:                            ;   in Loop: Header=BB290_538 Depth=1
	s_or_b32 exec_lo, exec_lo, s18
.LBB290_619:                            ;   in Loop: Header=BB290_538 Depth=1
	s_or_b32 exec_lo, exec_lo, s17
.LBB290_620:                            ;   in Loop: Header=BB290_538 Depth=1
	s_or_b32 exec_lo, exec_lo, s13
	v_lshrrev_b32_e32 v1, 16, v9
	v_mov_b32_e32 v47, 0
	v_mov_b32_e32 v48, 0
	v_cmp_ne_u16_sdwa s0, v1, v2 src0_sel:BYTE_0 src1_sel:DWORD
	s_and_saveexec_b32 s13, s0
	s_cbranch_execz .LBB290_628
; %bb.621:                              ;   in Loop: Header=BB290_538 Depth=1
	v_cmp_ne_u16_sdwa s0, v1, v26 src0_sel:BYTE_0 src1_sel:DWORD
	v_mov_b32_e32 v48, 0x8000
	s_and_saveexec_b32 s17, s0
	s_cbranch_execz .LBB290_627
; %bb.622:                              ;   in Loop: Header=BB290_538 Depth=1
	v_bfe_u32 v50, v9, 16, 7
	v_mov_b32_e32 v48, 0x7c01
	s_mov_b32 s18, exec_lo
	v_cmpx_ne_u32_e32 0x7f, v50
	s_cbranch_execz .LBB290_626
; %bb.623:                              ;   in Loop: Header=BB290_538 Depth=1
	v_and_b32_e32 v48, 7, v1
	v_lshrrev_b32_e32 v49, 3, v50
	s_mov_b32 s19, exec_lo
	v_cmpx_gt_u32_e32 8, v50
; %bb.624:                              ;   in Loop: Header=BB290_538 Depth=1
	v_ffbh_u32_e32 v48, v48
	v_min_u32_e32 v50, 32, v48
	v_subrev_nc_u32_e32 v48, 28, v50
	v_lshlrev_b64 v[48:49], v48, v[1:2]
	v_sub_nc_u32_e32 v49, 29, v50
	v_and_b32_e32 v48, 7, v48
; %bb.625:                              ;   in Loop: Header=BB290_538 Depth=1
	s_or_b32 exec_lo, exec_lo, s19
	v_lshlrev_b32_e32 v1, 8, v1
	v_lshl_add_u32 v49, v49, 10, 0x2000
	v_lshlrev_b32_e32 v48, 7, v48
	v_and_b32_e32 v1, 0x8000, v1
	v_and_b32_e32 v49, 0xfc00, v49
	v_or3_b32 v48, v1, v49, v48
.LBB290_626:                            ;   in Loop: Header=BB290_538 Depth=1
	s_or_b32 exec_lo, exec_lo, s18
.LBB290_627:                            ;   in Loop: Header=BB290_538 Depth=1
	s_or_b32 exec_lo, exec_lo, s17
.LBB290_628:                            ;   in Loop: Header=BB290_538 Depth=1
	s_or_b32 exec_lo, exec_lo, s13
	s_mov_b32 s13, exec_lo
	v_cmpx_lt_u32_e32 0xffffff, v9
	s_cbranch_execz .LBB290_636
; %bb.629:                              ;   in Loop: Header=BB290_538 Depth=1
	v_lshrrev_b32_e32 v1, 24, v9
	v_bfrev_b32_e32 v47, 1
	s_mov_b32 s17, exec_lo
	v_cmpx_ne_u32_e32 0x80, v1
	s_cbranch_execz .LBB290_635
; %bb.630:                              ;   in Loop: Header=BB290_538 Depth=1
	v_and_b32_e32 v50, 0x7f, v1
	v_mov_b32_e32 v47, 0x7c010000
	s_mov_b32 s18, exec_lo
	v_cmpx_ne_u32_e32 0x7f, v50
	s_cbranch_execz .LBB290_634
; %bb.631:                              ;   in Loop: Header=BB290_538 Depth=1
	v_and_b32_e32 v47, 7, v1
	v_lshrrev_b32_e32 v49, 3, v50
	s_mov_b32 s19, exec_lo
	v_cmpx_gt_u32_e32 8, v50
; %bb.632:                              ;   in Loop: Header=BB290_538 Depth=1
	v_ffbh_u32_e32 v47, v47
	v_min_u32_e32 v47, 32, v47
	v_subrev_nc_u32_e32 v49, 28, v47
	v_lshlrev_b64 v[50:51], v49, v[1:2]
	v_sub_nc_u32_e32 v49, 29, v47
	v_and_b32_e32 v47, 7, v50
; %bb.633:                              ;   in Loop: Header=BB290_538 Depth=1
	s_or_b32 exec_lo, exec_lo, s19
	v_lshlrev_b32_e32 v1, 8, v1
	v_lshl_add_u32 v49, v49, 10, 0x2000
	v_lshlrev_b32_e32 v47, 23, v47
	v_and_or_b32 v1, 0x8000, v1, v49
	v_lshl_or_b32 v47, v1, 16, v47
.LBB290_634:                            ;   in Loop: Header=BB290_538 Depth=1
	s_or_b32 exec_lo, exec_lo, s18
.LBB290_635:                            ;   in Loop: Header=BB290_538 Depth=1
	s_or_b32 exec_lo, exec_lo, s17
.LBB290_636:                            ;   in Loop: Header=BB290_538 Depth=1
	s_or_b32 exec_lo, exec_lo, s13
	v_mov_b32_e32 v1, v10
	v_cmp_ne_u16_sdwa s0, v10, v2 src0_sel:BYTE_0 src1_sel:DWORD
	v_mov_b32_e32 v49, 0
	v_mov_b32_e32 v50, 0
	s_and_saveexec_b32 s13, s0
	s_cbranch_execz .LBB290_644
; %bb.637:                              ;   in Loop: Header=BB290_538 Depth=1
	v_cmp_ne_u16_sdwa s0, v10, v26 src0_sel:BYTE_0 src1_sel:DWORD
	v_mov_b32_e32 v50, 0x8000
	s_and_saveexec_b32 s17, s0
	s_cbranch_execz .LBB290_643
; %bb.638:                              ;   in Loop: Header=BB290_538 Depth=1
	v_and_b32_e32 v52, 0x7f, v10
	v_mov_b32_e32 v50, 0x7c01
	s_mov_b32 s18, exec_lo
	v_cmpx_ne_u32_e32 0x7f, v52
	s_cbranch_execz .LBB290_642
; %bb.639:                              ;   in Loop: Header=BB290_538 Depth=1
	v_and_b32_e32 v50, 7, v10
	v_lshrrev_b32_e32 v51, 3, v52
	s_mov_b32 s19, exec_lo
	v_cmpx_gt_u32_e32 8, v52
; %bb.640:                              ;   in Loop: Header=BB290_538 Depth=1
	v_ffbh_u32_e32 v50, v50
	v_min_u32_e32 v52, 32, v50
	v_subrev_nc_u32_e32 v50, 28, v52
	v_lshlrev_b64 v[50:51], v50, v[1:2]
	v_sub_nc_u32_e32 v51, 29, v52
	v_and_b32_e32 v50, 7, v50
; %bb.641:                              ;   in Loop: Header=BB290_538 Depth=1
	s_or_b32 exec_lo, exec_lo, s19
	v_lshlrev_b32_e32 v52, 8, v10
	v_lshl_add_u32 v51, v51, 10, 0x2000
	v_lshlrev_b32_e32 v50, 7, v50
	v_and_b32_e32 v52, 0x8000, v52
	v_and_b32_e32 v51, 0xfc00, v51
	v_or3_b32 v50, v52, v51, v50
.LBB290_642:                            ;   in Loop: Header=BB290_538 Depth=1
	s_or_b32 exec_lo, exec_lo, s18
.LBB290_643:                            ;   in Loop: Header=BB290_538 Depth=1
	s_or_b32 exec_lo, exec_lo, s17
.LBB290_644:                            ;   in Loop: Header=BB290_538 Depth=1
	s_or_b32 exec_lo, exec_lo, s13
	v_lshrrev_b16 v1, 8, v1
	v_mov_b32_e32 v51, 0
	s_mov_b32 s13, exec_lo
	v_cmpx_ne_u16_e32 0, v1
	s_cbranch_execz .LBB290_652
; %bb.645:                              ;   in Loop: Header=BB290_538 Depth=1
	v_bfrev_b32_e32 v51, 1
	s_mov_b32 s17, exec_lo
	v_cmpx_ne_u16_e32 0x80, v1
	s_cbranch_execz .LBB290_651
; %bb.646:                              ;   in Loop: Header=BB290_538 Depth=1
	v_and_b32_sdwa v53, v1, v27 dst_sel:DWORD dst_unused:UNUSED_PAD src0_sel:WORD_0 src1_sel:DWORD
	v_mov_b32_e32 v51, 0x7c010000
	s_mov_b32 s18, exec_lo
	v_cmpx_ne_u32_e32 0x7f, v53
	s_cbranch_execz .LBB290_650
; %bb.647:                              ;   in Loop: Header=BB290_538 Depth=1
	v_and_b32_sdwa v51, v1, v28 dst_sel:DWORD dst_unused:UNUSED_PAD src0_sel:WORD_0 src1_sel:DWORD
	v_lshrrev_b32_e32 v52, 3, v53
	s_mov_b32 s19, exec_lo
	v_cmpx_gt_u32_e32 8, v53
; %bb.648:                              ;   in Loop: Header=BB290_538 Depth=1
	v_ffbh_u32_e32 v51, v51
	v_min_u32_e32 v53, 32, v51
	v_subrev_nc_u32_e32 v51, 28, v53
	v_lshlrev_b64 v[51:52], v51, v[1:2]
	v_sub_nc_u32_e32 v52, 29, v53
	v_and_b32_e32 v51, 7, v51
; %bb.649:                              ;   in Loop: Header=BB290_538 Depth=1
	s_or_b32 exec_lo, exec_lo, s19
	v_lshlrev_b32_sdwa v1, v29, v1 dst_sel:DWORD dst_unused:UNUSED_PAD src0_sel:DWORD src1_sel:WORD_0
	v_lshl_add_u32 v52, v52, 10, 0x2000
	v_lshlrev_b32_e32 v51, 23, v51
	v_and_or_b32 v1, 0x8000, v1, v52
	v_lshl_or_b32 v51, v1, 16, v51
.LBB290_650:                            ;   in Loop: Header=BB290_538 Depth=1
	s_or_b32 exec_lo, exec_lo, s18
.LBB290_651:                            ;   in Loop: Header=BB290_538 Depth=1
	s_or_b32 exec_lo, exec_lo, s17
.LBB290_652:                            ;   in Loop: Header=BB290_538 Depth=1
	s_or_b32 exec_lo, exec_lo, s13
	v_lshrrev_b32_e32 v1, 16, v10
	v_cmp_ne_u16_sdwa s0, v1, v2 src0_sel:BYTE_0 src1_sel:DWORD
	s_and_saveexec_b32 s13, s0
	s_cbranch_execz .LBB290_660
; %bb.653:                              ;   in Loop: Header=BB290_538 Depth=1
	v_cmp_ne_u16_sdwa s0, v1, v26 src0_sel:BYTE_0 src1_sel:DWORD
	v_mov_b32_e32 v49, 0x8000
	s_and_saveexec_b32 s17, s0
	s_cbranch_execz .LBB290_659
; %bb.654:                              ;   in Loop: Header=BB290_538 Depth=1
	v_bfe_u32 v53, v10, 16, 7
	v_mov_b32_e32 v49, 0x7c01
	s_mov_b32 s18, exec_lo
	v_cmpx_ne_u32_e32 0x7f, v53
	s_cbranch_execz .LBB290_658
; %bb.655:                              ;   in Loop: Header=BB290_538 Depth=1
	v_and_b32_e32 v49, 7, v1
	v_lshrrev_b32_e32 v52, 3, v53
	s_mov_b32 s19, exec_lo
	v_cmpx_gt_u32_e32 8, v53
; %bb.656:                              ;   in Loop: Header=BB290_538 Depth=1
	v_ffbh_u32_e32 v49, v49
	v_min_u32_e32 v49, 32, v49
	v_subrev_nc_u32_e32 v52, 28, v49
	v_lshlrev_b64 v[53:54], v52, v[1:2]
	v_sub_nc_u32_e32 v52, 29, v49
	v_and_b32_e32 v49, 7, v53
; %bb.657:                              ;   in Loop: Header=BB290_538 Depth=1
	s_or_b32 exec_lo, exec_lo, s19
	v_lshlrev_b32_e32 v1, 8, v1
	v_lshl_add_u32 v52, v52, 10, 0x2000
	v_lshlrev_b32_e32 v49, 7, v49
	v_and_b32_e32 v1, 0x8000, v1
	v_and_b32_e32 v52, 0xfc00, v52
	v_or3_b32 v49, v1, v52, v49
.LBB290_658:                            ;   in Loop: Header=BB290_538 Depth=1
	s_or_b32 exec_lo, exec_lo, s18
.LBB290_659:                            ;   in Loop: Header=BB290_538 Depth=1
	s_or_b32 exec_lo, exec_lo, s17
.LBB290_660:                            ;   in Loop: Header=BB290_538 Depth=1
	s_or_b32 exec_lo, exec_lo, s13
	v_cmp_lt_u64_e64 s0, s[2:3], v[9:10]
	v_mov_b32_e32 v9, 0
	s_and_saveexec_b32 s13, s0
	s_cbranch_execz .LBB290_668
; %bb.661:                              ;   in Loop: Header=BB290_538 Depth=1
	v_lshrrev_b32_e32 v1, 24, v10
	v_bfrev_b32_e32 v9, 1
	s_mov_b32 s17, exec_lo
	v_cmpx_ne_u32_e32 0x80, v1
	s_cbranch_execz .LBB290_667
; %bb.662:                              ;   in Loop: Header=BB290_538 Depth=1
	v_and_b32_e32 v52, 0x7f, v1
	v_mov_b32_e32 v9, 0x7c010000
	s_mov_b32 s18, exec_lo
	v_cmpx_ne_u32_e32 0x7f, v52
	s_cbranch_execz .LBB290_666
; %bb.663:                              ;   in Loop: Header=BB290_538 Depth=1
	v_and_b32_e32 v9, 7, v1
	v_lshrrev_b32_e32 v10, 3, v52
	s_mov_b32 s19, exec_lo
	v_cmpx_gt_u32_e32 8, v52
; %bb.664:                              ;   in Loop: Header=BB290_538 Depth=1
	v_ffbh_u32_e32 v9, v9
	v_min_u32_e32 v52, 32, v9
	v_subrev_nc_u32_e32 v9, 28, v52
	v_lshlrev_b64 v[9:10], v9, v[1:2]
	v_sub_nc_u32_e32 v10, 29, v52
	v_and_b32_e32 v9, 7, v9
; %bb.665:                              ;   in Loop: Header=BB290_538 Depth=1
	s_or_b32 exec_lo, exec_lo, s19
	v_lshlrev_b32_e32 v1, 8, v1
	v_lshl_add_u32 v10, v10, 10, 0x2000
	v_lshlrev_b32_e32 v9, 23, v9
	v_and_or_b32 v1, 0x8000, v1, v10
	v_lshl_or_b32 v9, v1, 16, v9
.LBB290_666:                            ;   in Loop: Header=BB290_538 Depth=1
	s_or_b32 exec_lo, exec_lo, s18
.LBB290_667:                            ;   in Loop: Header=BB290_538 Depth=1
	s_or_b32 exec_lo, exec_lo, s17
.LBB290_668:                            ;   in Loop: Header=BB290_538 Depth=1
	s_or_b32 exec_lo, exec_lo, s13
	v_or_b32_e32 v1, v47, v48
	s_waitcnt vmcnt(0)
	v_fma_mixlo_f16 v10, v44, v47, 0 op_sel:[0,1,0] op_sel_hi:[0,1,0]
	v_or_b32_e32 v47, v45, v46
	v_fma_mixlo_f16 v45, v44, v45, 0 op_sel:[0,1,0] op_sel_hi:[0,1,0]
	v_or_b32_e32 v48, v51, v50
	v_or_b32_e32 v49, v9, v49
	v_fma_mixlo_f16 v50, v44, v1, 0 op_sel_hi:[0,1,0]
	v_fma_mixlo_f16 v9, v44, v9, 0 op_sel:[0,1,0] op_sel_hi:[0,1,0]
	v_lshlrev_b32_e32 v46, 16, v45
	v_fma_mixlo_f16 v45, v44, v47, 0 op_sel_hi:[0,1,0]
	v_fma_mixlo_f16 v47, v44, v51, 0 op_sel:[0,1,0] op_sel_hi:[0,1,0]
	v_fma_mixlo_f16 v48, v44, v48, 0 op_sel_hi:[0,1,0]
	v_fma_mixlo_f16 v49, v44, v49, 0 op_sel_hi:[0,1,0]
	v_lshlrev_b32_e32 v1, 16, v10
	v_and_b32_e32 v10, 0xffff, v50
	v_and_b32_e32 v52, 0xffff, v45
	v_lshlrev_b32_e32 v44, 16, v47
	v_and_b32_e32 v48, 0xffff, v48
	v_lshlrev_b32_e32 v9, 16, v9
	v_and_b32_e32 v45, 0xffff, v49
	v_or_b32_e32 v47, v1, v10
	v_or_b32_e32 v51, v46, v52
	;; [unrolled: 1-line block ×4, first 2 shown]
	s_and_saveexec_b32 s13, vcc_lo
	s_cbranch_execz .LBB290_670
; %bb.669:                              ;   in Loop: Header=BB290_538 Depth=1
	v_cmp_gt_i32_e64 s0, s11, v31
	v_cndmask_b32_e64 v47, 0, v52, s0
	v_cmp_gt_i32_e64 s0, s11, v37
	v_cndmask_b32_e64 v46, 0, v46, s0
	v_cmp_gt_i32_e64 s0, s11, v36
	v_or_b32_e32 v51, v46, v47
	v_cndmask_b32_e64 v10, 0, v10, s0
	v_cmp_gt_i32_e64 s0, s11, v35
	v_cndmask_b32_e64 v1, 0, v1, s0
	v_cmp_gt_i32_e64 s0, s11, v34
	v_or_b32_e32 v47, v1, v10
	;; [unrolled: 5-line block ×3, first 2 shown]
	v_cndmask_b32_e64 v45, 0, v45, s0
	v_cmp_gt_i32_e64 s0, s11, v25
	v_cndmask_b32_e64 v9, 0, v9, s0
	v_or_b32_e32 v49, v9, v45
.LBB290_670:                            ;   in Loop: Header=BB290_538 Depth=1
	s_or_b32 exec_lo, exec_lo, s13
	;;#ASMSTART
	v_pk_mul_f16 v1, v42, v51;

	;;#ASMEND
	;;#ASMSTART
	v_pk_mul_f16 v9, v40, v47;

	;;#ASMEND
	;; [unrolled: 4-line block ×4, first 2 shown]
	;;#ASMSTART
	v_pk_add_f16 v1, v1, v9;

	;;#ASMEND
	;;#ASMSTART
	v_pk_add_f16 v1, v1, v10;

	;;#ASMEND
	;; [unrolled: 4-line block ×3, first 2 shown]
	v_and_b32_e32 v9, 0xffff, v1
	v_lshrrev_b32_e32 v1, 16, v1
	;;#ASMSTART
	v_cvt_f32_f16 v44, v9;
	;;#ASMEND
	;;#ASMSTART
	v_cvt_f32_f16 v45, v1;
	;;#ASMEND
	global_load_dwordx2 v[9:10], v[7:8], off offset:512
	v_mov_b32_e32 v47, 0
	v_mov_b32_e32 v48, 0
	global_load_dword v46, v47, s[14:15]
	s_waitcnt vmcnt(1)
	v_cmp_ne_u16_sdwa s0, v9, v2 src0_sel:BYTE_0 src1_sel:DWORD
	s_and_saveexec_b32 s13, s0
	s_cbranch_execz .LBB290_678
; %bb.671:                              ;   in Loop: Header=BB290_538 Depth=1
	v_cmp_ne_u16_sdwa s0, v9, v26 src0_sel:BYTE_0 src1_sel:DWORD
	v_mov_b32_e32 v48, 0x8000
	s_and_saveexec_b32 s17, s0
	s_cbranch_execz .LBB290_677
; %bb.672:                              ;   in Loop: Header=BB290_538 Depth=1
	v_and_b32_e32 v49, 0x7f, v9
	v_mov_b32_e32 v48, 0x7c01
	s_mov_b32 s18, exec_lo
	v_cmpx_ne_u32_e32 0x7f, v49
	s_cbranch_execz .LBB290_676
; %bb.673:                              ;   in Loop: Header=BB290_538 Depth=1
	v_and_b32_e32 v1, 7, v9
	v_lshrrev_b32_e32 v48, 3, v49
	s_mov_b32 s19, exec_lo
	v_cmpx_gt_u32_e32 8, v49
; %bb.674:                              ;   in Loop: Header=BB290_538 Depth=1
	v_ffbh_u32_e32 v1, v1
	v_min_u32_e32 v1, 32, v1
	v_subrev_nc_u32_e32 v48, 28, v1
	v_lshlrev_b64 v[49:50], v48, v[9:10]
	v_sub_nc_u32_e32 v48, 29, v1
	v_and_b32_e32 v1, 7, v49
; %bb.675:                              ;   in Loop: Header=BB290_538 Depth=1
	s_or_b32 exec_lo, exec_lo, s19
	v_lshlrev_b32_e32 v49, 8, v9
	v_lshl_add_u32 v48, v48, 10, 0x2000
	v_lshlrev_b32_e32 v1, 7, v1
	v_and_b32_e32 v49, 0x8000, v49
	v_and_b32_e32 v48, 0xfc00, v48
	v_or3_b32 v48, v49, v48, v1
.LBB290_676:                            ;   in Loop: Header=BB290_538 Depth=1
	s_or_b32 exec_lo, exec_lo, s18
.LBB290_677:                            ;   in Loop: Header=BB290_538 Depth=1
	s_or_b32 exec_lo, exec_lo, s17
.LBB290_678:                            ;   in Loop: Header=BB290_538 Depth=1
	s_or_b32 exec_lo, exec_lo, s13
	v_lshrrev_b16 v1, 8, v9
	s_mov_b32 s13, exec_lo
	v_cmpx_ne_u16_e32 0, v1
	s_cbranch_execz .LBB290_686
; %bb.679:                              ;   in Loop: Header=BB290_538 Depth=1
	v_bfrev_b32_e32 v47, 1
	s_mov_b32 s17, exec_lo
	v_cmpx_ne_u16_e32 0x80, v1
	s_cbranch_execz .LBB290_685
; %bb.680:                              ;   in Loop: Header=BB290_538 Depth=1
	v_and_b32_sdwa v50, v1, v27 dst_sel:DWORD dst_unused:UNUSED_PAD src0_sel:WORD_0 src1_sel:DWORD
	v_mov_b32_e32 v47, 0x7c010000
	s_mov_b32 s18, exec_lo
	v_cmpx_ne_u32_e32 0x7f, v50
	s_cbranch_execz .LBB290_684
; %bb.681:                              ;   in Loop: Header=BB290_538 Depth=1
	v_and_b32_sdwa v47, v1, v28 dst_sel:DWORD dst_unused:UNUSED_PAD src0_sel:WORD_0 src1_sel:DWORD
	v_lshrrev_b32_e32 v49, 3, v50
	s_mov_b32 s19, exec_lo
	v_cmpx_gt_u32_e32 8, v50
; %bb.682:                              ;   in Loop: Header=BB290_538 Depth=1
	v_ffbh_u32_e32 v47, v47
	v_min_u32_e32 v47, 32, v47
	v_subrev_nc_u32_e32 v49, 28, v47
	v_lshlrev_b64 v[50:51], v49, v[1:2]
	v_sub_nc_u32_e32 v49, 29, v47
	v_and_b32_e32 v47, 7, v50
; %bb.683:                              ;   in Loop: Header=BB290_538 Depth=1
	s_or_b32 exec_lo, exec_lo, s19
	v_lshlrev_b32_sdwa v1, v29, v1 dst_sel:DWORD dst_unused:UNUSED_PAD src0_sel:DWORD src1_sel:WORD_0
	v_lshl_add_u32 v49, v49, 10, 0x2000
	v_lshlrev_b32_e32 v47, 23, v47
	v_and_or_b32 v1, 0x8000, v1, v49
	v_lshl_or_b32 v47, v1, 16, v47
.LBB290_684:                            ;   in Loop: Header=BB290_538 Depth=1
	s_or_b32 exec_lo, exec_lo, s18
.LBB290_685:                            ;   in Loop: Header=BB290_538 Depth=1
	s_or_b32 exec_lo, exec_lo, s17
.LBB290_686:                            ;   in Loop: Header=BB290_538 Depth=1
	s_or_b32 exec_lo, exec_lo, s13
	v_lshrrev_b32_e32 v1, 16, v9
	v_mov_b32_e32 v49, 0
	v_mov_b32_e32 v50, 0
	v_cmp_ne_u16_sdwa s0, v1, v2 src0_sel:BYTE_0 src1_sel:DWORD
	s_and_saveexec_b32 s13, s0
	s_cbranch_execz .LBB290_694
; %bb.687:                              ;   in Loop: Header=BB290_538 Depth=1
	v_cmp_ne_u16_sdwa s0, v1, v26 src0_sel:BYTE_0 src1_sel:DWORD
	v_mov_b32_e32 v50, 0x8000
	s_and_saveexec_b32 s17, s0
	s_cbranch_execz .LBB290_693
; %bb.688:                              ;   in Loop: Header=BB290_538 Depth=1
	v_bfe_u32 v52, v9, 16, 7
	v_mov_b32_e32 v50, 0x7c01
	s_mov_b32 s18, exec_lo
	v_cmpx_ne_u32_e32 0x7f, v52
	s_cbranch_execz .LBB290_692
; %bb.689:                              ;   in Loop: Header=BB290_538 Depth=1
	v_and_b32_e32 v50, 7, v1
	v_lshrrev_b32_e32 v51, 3, v52
	s_mov_b32 s19, exec_lo
	v_cmpx_gt_u32_e32 8, v52
; %bb.690:                              ;   in Loop: Header=BB290_538 Depth=1
	v_ffbh_u32_e32 v50, v50
	v_min_u32_e32 v52, 32, v50
	v_subrev_nc_u32_e32 v50, 28, v52
	v_lshlrev_b64 v[50:51], v50, v[1:2]
	v_sub_nc_u32_e32 v51, 29, v52
	v_and_b32_e32 v50, 7, v50
; %bb.691:                              ;   in Loop: Header=BB290_538 Depth=1
	s_or_b32 exec_lo, exec_lo, s19
	v_lshlrev_b32_e32 v1, 8, v1
	v_lshl_add_u32 v51, v51, 10, 0x2000
	v_lshlrev_b32_e32 v50, 7, v50
	v_and_b32_e32 v1, 0x8000, v1
	v_and_b32_e32 v51, 0xfc00, v51
	v_or3_b32 v50, v1, v51, v50
.LBB290_692:                            ;   in Loop: Header=BB290_538 Depth=1
	s_or_b32 exec_lo, exec_lo, s18
.LBB290_693:                            ;   in Loop: Header=BB290_538 Depth=1
	s_or_b32 exec_lo, exec_lo, s17
.LBB290_694:                            ;   in Loop: Header=BB290_538 Depth=1
	s_or_b32 exec_lo, exec_lo, s13
	s_mov_b32 s13, exec_lo
	v_cmpx_lt_u32_e32 0xffffff, v9
	s_cbranch_execz .LBB290_702
; %bb.695:                              ;   in Loop: Header=BB290_538 Depth=1
	v_lshrrev_b32_e32 v1, 24, v9
	v_bfrev_b32_e32 v49, 1
	s_mov_b32 s17, exec_lo
	v_cmpx_ne_u32_e32 0x80, v1
	s_cbranch_execz .LBB290_701
; %bb.696:                              ;   in Loop: Header=BB290_538 Depth=1
	v_and_b32_e32 v52, 0x7f, v1
	v_mov_b32_e32 v49, 0x7c010000
	s_mov_b32 s18, exec_lo
	v_cmpx_ne_u32_e32 0x7f, v52
	s_cbranch_execz .LBB290_700
; %bb.697:                              ;   in Loop: Header=BB290_538 Depth=1
	v_and_b32_e32 v49, 7, v1
	v_lshrrev_b32_e32 v51, 3, v52
	s_mov_b32 s19, exec_lo
	v_cmpx_gt_u32_e32 8, v52
; %bb.698:                              ;   in Loop: Header=BB290_538 Depth=1
	v_ffbh_u32_e32 v49, v49
	v_min_u32_e32 v49, 32, v49
	v_subrev_nc_u32_e32 v51, 28, v49
	v_lshlrev_b64 v[52:53], v51, v[1:2]
	v_sub_nc_u32_e32 v51, 29, v49
	v_and_b32_e32 v49, 7, v52
; %bb.699:                              ;   in Loop: Header=BB290_538 Depth=1
	s_or_b32 exec_lo, exec_lo, s19
	v_lshlrev_b32_e32 v1, 8, v1
	v_lshl_add_u32 v51, v51, 10, 0x2000
	v_lshlrev_b32_e32 v49, 23, v49
	v_and_or_b32 v1, 0x8000, v1, v51
	v_lshl_or_b32 v49, v1, 16, v49
.LBB290_700:                            ;   in Loop: Header=BB290_538 Depth=1
	s_or_b32 exec_lo, exec_lo, s18
.LBB290_701:                            ;   in Loop: Header=BB290_538 Depth=1
	s_or_b32 exec_lo, exec_lo, s17
.LBB290_702:                            ;   in Loop: Header=BB290_538 Depth=1
	s_or_b32 exec_lo, exec_lo, s13
	v_mov_b32_e32 v1, v10
	v_cmp_ne_u16_sdwa s0, v10, v2 src0_sel:BYTE_0 src1_sel:DWORD
	v_mov_b32_e32 v51, 0
	v_mov_b32_e32 v52, 0
	s_and_saveexec_b32 s13, s0
	s_cbranch_execz .LBB290_710
; %bb.703:                              ;   in Loop: Header=BB290_538 Depth=1
	v_cmp_ne_u16_sdwa s0, v10, v26 src0_sel:BYTE_0 src1_sel:DWORD
	v_mov_b32_e32 v52, 0x8000
	s_and_saveexec_b32 s17, s0
	s_cbranch_execz .LBB290_709
; %bb.704:                              ;   in Loop: Header=BB290_538 Depth=1
	v_and_b32_e32 v54, 0x7f, v10
	v_mov_b32_e32 v52, 0x7c01
	s_mov_b32 s18, exec_lo
	v_cmpx_ne_u32_e32 0x7f, v54
	s_cbranch_execz .LBB290_708
; %bb.705:                              ;   in Loop: Header=BB290_538 Depth=1
	v_and_b32_e32 v52, 7, v10
	v_lshrrev_b32_e32 v53, 3, v54
	s_mov_b32 s19, exec_lo
	v_cmpx_gt_u32_e32 8, v54
; %bb.706:                              ;   in Loop: Header=BB290_538 Depth=1
	v_ffbh_u32_e32 v52, v52
	v_min_u32_e32 v54, 32, v52
	v_subrev_nc_u32_e32 v52, 28, v54
	v_lshlrev_b64 v[52:53], v52, v[1:2]
	v_sub_nc_u32_e32 v53, 29, v54
	v_and_b32_e32 v52, 7, v52
; %bb.707:                              ;   in Loop: Header=BB290_538 Depth=1
	s_or_b32 exec_lo, exec_lo, s19
	v_lshlrev_b32_e32 v54, 8, v10
	v_lshl_add_u32 v53, v53, 10, 0x2000
	v_lshlrev_b32_e32 v52, 7, v52
	v_and_b32_e32 v54, 0x8000, v54
	v_and_b32_e32 v53, 0xfc00, v53
	v_or3_b32 v52, v54, v53, v52
.LBB290_708:                            ;   in Loop: Header=BB290_538 Depth=1
	s_or_b32 exec_lo, exec_lo, s18
.LBB290_709:                            ;   in Loop: Header=BB290_538 Depth=1
	s_or_b32 exec_lo, exec_lo, s17
.LBB290_710:                            ;   in Loop: Header=BB290_538 Depth=1
	s_or_b32 exec_lo, exec_lo, s13
	v_lshrrev_b16 v1, 8, v1
	v_mov_b32_e32 v53, 0
	s_mov_b32 s13, exec_lo
	v_cmpx_ne_u16_e32 0, v1
	s_cbranch_execz .LBB290_718
; %bb.711:                              ;   in Loop: Header=BB290_538 Depth=1
	v_bfrev_b32_e32 v53, 1
	s_mov_b32 s17, exec_lo
	v_cmpx_ne_u16_e32 0x80, v1
	s_cbranch_execz .LBB290_717
; %bb.712:                              ;   in Loop: Header=BB290_538 Depth=1
	v_and_b32_sdwa v55, v1, v27 dst_sel:DWORD dst_unused:UNUSED_PAD src0_sel:WORD_0 src1_sel:DWORD
	v_mov_b32_e32 v53, 0x7c010000
	s_mov_b32 s18, exec_lo
	v_cmpx_ne_u32_e32 0x7f, v55
	s_cbranch_execz .LBB290_716
; %bb.713:                              ;   in Loop: Header=BB290_538 Depth=1
	v_and_b32_sdwa v53, v1, v28 dst_sel:DWORD dst_unused:UNUSED_PAD src0_sel:WORD_0 src1_sel:DWORD
	v_lshrrev_b32_e32 v54, 3, v55
	s_mov_b32 s19, exec_lo
	v_cmpx_gt_u32_e32 8, v55
; %bb.714:                              ;   in Loop: Header=BB290_538 Depth=1
	v_ffbh_u32_e32 v53, v53
	v_min_u32_e32 v55, 32, v53
	v_subrev_nc_u32_e32 v53, 28, v55
	v_lshlrev_b64 v[53:54], v53, v[1:2]
	v_sub_nc_u32_e32 v54, 29, v55
	v_and_b32_e32 v53, 7, v53
; %bb.715:                              ;   in Loop: Header=BB290_538 Depth=1
	s_or_b32 exec_lo, exec_lo, s19
	v_lshlrev_b32_sdwa v1, v29, v1 dst_sel:DWORD dst_unused:UNUSED_PAD src0_sel:DWORD src1_sel:WORD_0
	v_lshl_add_u32 v54, v54, 10, 0x2000
	v_lshlrev_b32_e32 v53, 23, v53
	v_and_or_b32 v1, 0x8000, v1, v54
	v_lshl_or_b32 v53, v1, 16, v53
.LBB290_716:                            ;   in Loop: Header=BB290_538 Depth=1
	s_or_b32 exec_lo, exec_lo, s18
.LBB290_717:                            ;   in Loop: Header=BB290_538 Depth=1
	s_or_b32 exec_lo, exec_lo, s17
.LBB290_718:                            ;   in Loop: Header=BB290_538 Depth=1
	s_or_b32 exec_lo, exec_lo, s13
	v_lshrrev_b32_e32 v1, 16, v10
	v_cmp_ne_u16_sdwa s0, v1, v2 src0_sel:BYTE_0 src1_sel:DWORD
	s_and_saveexec_b32 s13, s0
	s_cbranch_execz .LBB290_726
; %bb.719:                              ;   in Loop: Header=BB290_538 Depth=1
	v_cmp_ne_u16_sdwa s0, v1, v26 src0_sel:BYTE_0 src1_sel:DWORD
	v_mov_b32_e32 v51, 0x8000
	s_and_saveexec_b32 s17, s0
	s_cbranch_execz .LBB290_725
; %bb.720:                              ;   in Loop: Header=BB290_538 Depth=1
	v_bfe_u32 v55, v10, 16, 7
	v_mov_b32_e32 v51, 0x7c01
	s_mov_b32 s18, exec_lo
	v_cmpx_ne_u32_e32 0x7f, v55
	s_cbranch_execz .LBB290_724
; %bb.721:                              ;   in Loop: Header=BB290_538 Depth=1
	v_and_b32_e32 v51, 7, v1
	v_lshrrev_b32_e32 v54, 3, v55
	s_mov_b32 s19, exec_lo
	v_cmpx_gt_u32_e32 8, v55
; %bb.722:                              ;   in Loop: Header=BB290_538 Depth=1
	v_ffbh_u32_e32 v51, v51
	v_min_u32_e32 v51, 32, v51
	v_subrev_nc_u32_e32 v54, 28, v51
	v_lshlrev_b64 v[55:56], v54, v[1:2]
	v_sub_nc_u32_e32 v54, 29, v51
	v_and_b32_e32 v51, 7, v55
; %bb.723:                              ;   in Loop: Header=BB290_538 Depth=1
	s_or_b32 exec_lo, exec_lo, s19
	v_lshlrev_b32_e32 v1, 8, v1
	v_lshl_add_u32 v54, v54, 10, 0x2000
	v_lshlrev_b32_e32 v51, 7, v51
	v_and_b32_e32 v1, 0x8000, v1
	v_and_b32_e32 v54, 0xfc00, v54
	v_or3_b32 v51, v1, v54, v51
.LBB290_724:                            ;   in Loop: Header=BB290_538 Depth=1
	s_or_b32 exec_lo, exec_lo, s18
.LBB290_725:                            ;   in Loop: Header=BB290_538 Depth=1
	s_or_b32 exec_lo, exec_lo, s17
.LBB290_726:                            ;   in Loop: Header=BB290_538 Depth=1
	s_or_b32 exec_lo, exec_lo, s13
	v_cmp_lt_u64_e64 s0, s[2:3], v[9:10]
	v_mov_b32_e32 v9, 0
	s_and_saveexec_b32 s13, s0
	s_cbranch_execz .LBB290_734
; %bb.727:                              ;   in Loop: Header=BB290_538 Depth=1
	v_lshrrev_b32_e32 v1, 24, v10
	v_bfrev_b32_e32 v9, 1
	s_mov_b32 s17, exec_lo
	v_cmpx_ne_u32_e32 0x80, v1
	s_cbranch_execz .LBB290_733
; %bb.728:                              ;   in Loop: Header=BB290_538 Depth=1
	v_and_b32_e32 v54, 0x7f, v1
	v_mov_b32_e32 v9, 0x7c010000
	s_mov_b32 s18, exec_lo
	v_cmpx_ne_u32_e32 0x7f, v54
	s_cbranch_execz .LBB290_732
; %bb.729:                              ;   in Loop: Header=BB290_538 Depth=1
	v_and_b32_e32 v9, 7, v1
	v_lshrrev_b32_e32 v10, 3, v54
	s_mov_b32 s19, exec_lo
	v_cmpx_gt_u32_e32 8, v54
; %bb.730:                              ;   in Loop: Header=BB290_538 Depth=1
	v_ffbh_u32_e32 v9, v9
	v_min_u32_e32 v54, 32, v9
	v_subrev_nc_u32_e32 v9, 28, v54
	v_lshlrev_b64 v[9:10], v9, v[1:2]
	v_sub_nc_u32_e32 v10, 29, v54
	v_and_b32_e32 v9, 7, v9
; %bb.731:                              ;   in Loop: Header=BB290_538 Depth=1
	s_or_b32 exec_lo, exec_lo, s19
	v_lshlrev_b32_e32 v1, 8, v1
	v_lshl_add_u32 v10, v10, 10, 0x2000
	v_lshlrev_b32_e32 v9, 23, v9
	v_and_or_b32 v1, 0x8000, v1, v10
	v_lshl_or_b32 v9, v1, 16, v9
.LBB290_732:                            ;   in Loop: Header=BB290_538 Depth=1
	s_or_b32 exec_lo, exec_lo, s18
.LBB290_733:                            ;   in Loop: Header=BB290_538 Depth=1
	s_or_b32 exec_lo, exec_lo, s17
.LBB290_734:                            ;   in Loop: Header=BB290_538 Depth=1
	s_or_b32 exec_lo, exec_lo, s13
	v_or_b32_e32 v1, v49, v50
	s_waitcnt vmcnt(0)
	v_fma_mixlo_f16 v10, v46, v49, 0 op_sel:[0,1,0] op_sel_hi:[0,1,0]
	v_or_b32_e32 v49, v47, v48
	v_fma_mixlo_f16 v47, v46, v47, 0 op_sel:[0,1,0] op_sel_hi:[0,1,0]
	v_or_b32_e32 v50, v53, v52
	v_or_b32_e32 v51, v9, v51
	v_fma_mixlo_f16 v52, v46, v1, 0 op_sel_hi:[0,1,0]
	v_fma_mixlo_f16 v9, v46, v9, 0 op_sel:[0,1,0] op_sel_hi:[0,1,0]
	v_lshlrev_b32_e32 v48, 16, v47
	v_fma_mixlo_f16 v47, v46, v49, 0 op_sel_hi:[0,1,0]
	v_fma_mixlo_f16 v49, v46, v53, 0 op_sel:[0,1,0] op_sel_hi:[0,1,0]
	v_fma_mixlo_f16 v50, v46, v50, 0 op_sel_hi:[0,1,0]
	v_fma_mixlo_f16 v51, v46, v51, 0 op_sel_hi:[0,1,0]
	v_lshlrev_b32_e32 v1, 16, v10
	v_and_b32_e32 v10, 0xffff, v52
	v_and_b32_e32 v54, 0xffff, v47
	v_lshlrev_b32_e32 v46, 16, v49
	v_and_b32_e32 v50, 0xffff, v50
	v_lshlrev_b32_e32 v9, 16, v9
	v_and_b32_e32 v47, 0xffff, v51
	v_or_b32_e32 v49, v1, v10
	v_or_b32_e32 v53, v48, v54
	;; [unrolled: 1-line block ×4, first 2 shown]
	s_and_saveexec_b32 s13, vcc_lo
	s_cbranch_execz .LBB290_736
; %bb.735:                              ;   in Loop: Header=BB290_538 Depth=1
	v_cmp_gt_i32_e64 s0, s11, v31
	v_cndmask_b32_e64 v49, 0, v54, s0
	v_cmp_gt_i32_e64 s0, s11, v37
	v_cndmask_b32_e64 v48, 0, v48, s0
	v_cmp_gt_i32_e64 s0, s11, v36
	v_or_b32_e32 v53, v48, v49
	v_cndmask_b32_e64 v10, 0, v10, s0
	v_cmp_gt_i32_e64 s0, s11, v35
	v_cndmask_b32_e64 v1, 0, v1, s0
	v_cmp_gt_i32_e64 s0, s11, v34
	v_or_b32_e32 v49, v1, v10
	;; [unrolled: 5-line block ×3, first 2 shown]
	v_cndmask_b32_e64 v47, 0, v47, s0
	v_cmp_gt_i32_e64 s0, s11, v25
	v_cndmask_b32_e64 v9, 0, v9, s0
	v_or_b32_e32 v51, v9, v47
.LBB290_736:                            ;   in Loop: Header=BB290_538 Depth=1
	s_or_b32 exec_lo, exec_lo, s13
	;;#ASMSTART
	v_pk_mul_f16 v1, v42, v53;

	;;#ASMEND
	;;#ASMSTART
	v_pk_mul_f16 v9, v40, v49;

	;;#ASMEND
	;; [unrolled: 4-line block ×4, first 2 shown]
	;;#ASMSTART
	v_pk_add_f16 v1, v1, v9;

	;;#ASMEND
	;;#ASMSTART
	v_pk_add_f16 v1, v1, v10;

	;;#ASMEND
	;; [unrolled: 4-line block ×3, first 2 shown]
	v_and_b32_e32 v9, 0xffff, v1
	v_lshrrev_b32_e32 v1, 16, v1
	;;#ASMSTART
	v_cvt_f32_f16 v46, v9;
	;;#ASMEND
	;;#ASMSTART
	v_cvt_f32_f16 v47, v1;
	;;#ASMEND
	global_load_dwordx2 v[9:10], v[7:8], off offset:768
	v_mov_b32_e32 v49, 0
	v_mov_b32_e32 v50, 0
	global_load_dword v48, v49, s[14:15]
	s_waitcnt vmcnt(1)
	v_cmp_ne_u16_sdwa s0, v9, v2 src0_sel:BYTE_0 src1_sel:DWORD
	s_and_saveexec_b32 s13, s0
	s_cbranch_execz .LBB290_744
; %bb.737:                              ;   in Loop: Header=BB290_538 Depth=1
	v_cmp_ne_u16_sdwa s0, v9, v26 src0_sel:BYTE_0 src1_sel:DWORD
	v_mov_b32_e32 v50, 0x8000
	s_and_saveexec_b32 s17, s0
	s_cbranch_execz .LBB290_743
; %bb.738:                              ;   in Loop: Header=BB290_538 Depth=1
	v_and_b32_e32 v51, 0x7f, v9
	v_mov_b32_e32 v50, 0x7c01
	s_mov_b32 s18, exec_lo
	v_cmpx_ne_u32_e32 0x7f, v51
	s_cbranch_execz .LBB290_742
; %bb.739:                              ;   in Loop: Header=BB290_538 Depth=1
	v_and_b32_e32 v1, 7, v9
	v_lshrrev_b32_e32 v50, 3, v51
	s_mov_b32 s19, exec_lo
	v_cmpx_gt_u32_e32 8, v51
; %bb.740:                              ;   in Loop: Header=BB290_538 Depth=1
	v_ffbh_u32_e32 v1, v1
	v_min_u32_e32 v1, 32, v1
	v_subrev_nc_u32_e32 v50, 28, v1
	v_lshlrev_b64 v[51:52], v50, v[9:10]
	v_sub_nc_u32_e32 v50, 29, v1
	v_and_b32_e32 v1, 7, v51
; %bb.741:                              ;   in Loop: Header=BB290_538 Depth=1
	s_or_b32 exec_lo, exec_lo, s19
	v_lshlrev_b32_e32 v51, 8, v9
	v_lshl_add_u32 v50, v50, 10, 0x2000
	v_lshlrev_b32_e32 v1, 7, v1
	v_and_b32_e32 v51, 0x8000, v51
	v_and_b32_e32 v50, 0xfc00, v50
	v_or3_b32 v50, v51, v50, v1
.LBB290_742:                            ;   in Loop: Header=BB290_538 Depth=1
	s_or_b32 exec_lo, exec_lo, s18
.LBB290_743:                            ;   in Loop: Header=BB290_538 Depth=1
	s_or_b32 exec_lo, exec_lo, s17
.LBB290_744:                            ;   in Loop: Header=BB290_538 Depth=1
	s_or_b32 exec_lo, exec_lo, s13
	v_lshrrev_b16 v1, 8, v9
	s_mov_b32 s13, exec_lo
	v_cmpx_ne_u16_e32 0, v1
	s_cbranch_execz .LBB290_752
; %bb.745:                              ;   in Loop: Header=BB290_538 Depth=1
	v_bfrev_b32_e32 v49, 1
	s_mov_b32 s17, exec_lo
	v_cmpx_ne_u16_e32 0x80, v1
	s_cbranch_execz .LBB290_751
; %bb.746:                              ;   in Loop: Header=BB290_538 Depth=1
	v_and_b32_sdwa v52, v1, v27 dst_sel:DWORD dst_unused:UNUSED_PAD src0_sel:WORD_0 src1_sel:DWORD
	v_mov_b32_e32 v49, 0x7c010000
	s_mov_b32 s18, exec_lo
	v_cmpx_ne_u32_e32 0x7f, v52
	s_cbranch_execz .LBB290_750
; %bb.747:                              ;   in Loop: Header=BB290_538 Depth=1
	v_and_b32_sdwa v49, v1, v28 dst_sel:DWORD dst_unused:UNUSED_PAD src0_sel:WORD_0 src1_sel:DWORD
	v_lshrrev_b32_e32 v51, 3, v52
	s_mov_b32 s19, exec_lo
	v_cmpx_gt_u32_e32 8, v52
; %bb.748:                              ;   in Loop: Header=BB290_538 Depth=1
	v_ffbh_u32_e32 v49, v49
	v_min_u32_e32 v49, 32, v49
	v_subrev_nc_u32_e32 v51, 28, v49
	v_lshlrev_b64 v[52:53], v51, v[1:2]
	v_sub_nc_u32_e32 v51, 29, v49
	v_and_b32_e32 v49, 7, v52
; %bb.749:                              ;   in Loop: Header=BB290_538 Depth=1
	s_or_b32 exec_lo, exec_lo, s19
	v_lshlrev_b32_sdwa v1, v29, v1 dst_sel:DWORD dst_unused:UNUSED_PAD src0_sel:DWORD src1_sel:WORD_0
	v_lshl_add_u32 v51, v51, 10, 0x2000
	v_lshlrev_b32_e32 v49, 23, v49
	v_and_or_b32 v1, 0x8000, v1, v51
	v_lshl_or_b32 v49, v1, 16, v49
.LBB290_750:                            ;   in Loop: Header=BB290_538 Depth=1
	s_or_b32 exec_lo, exec_lo, s18
.LBB290_751:                            ;   in Loop: Header=BB290_538 Depth=1
	s_or_b32 exec_lo, exec_lo, s17
.LBB290_752:                            ;   in Loop: Header=BB290_538 Depth=1
	s_or_b32 exec_lo, exec_lo, s13
	v_lshrrev_b32_e32 v1, 16, v9
	v_mov_b32_e32 v51, 0
	v_mov_b32_e32 v52, 0
	v_cmp_ne_u16_sdwa s0, v1, v2 src0_sel:BYTE_0 src1_sel:DWORD
	s_and_saveexec_b32 s13, s0
	s_cbranch_execz .LBB290_760
; %bb.753:                              ;   in Loop: Header=BB290_538 Depth=1
	v_cmp_ne_u16_sdwa s0, v1, v26 src0_sel:BYTE_0 src1_sel:DWORD
	v_mov_b32_e32 v52, 0x8000
	s_and_saveexec_b32 s17, s0
	s_cbranch_execz .LBB290_759
; %bb.754:                              ;   in Loop: Header=BB290_538 Depth=1
	v_bfe_u32 v54, v9, 16, 7
	v_mov_b32_e32 v52, 0x7c01
	s_mov_b32 s18, exec_lo
	v_cmpx_ne_u32_e32 0x7f, v54
	s_cbranch_execz .LBB290_758
; %bb.755:                              ;   in Loop: Header=BB290_538 Depth=1
	v_and_b32_e32 v52, 7, v1
	v_lshrrev_b32_e32 v53, 3, v54
	s_mov_b32 s19, exec_lo
	v_cmpx_gt_u32_e32 8, v54
; %bb.756:                              ;   in Loop: Header=BB290_538 Depth=1
	v_ffbh_u32_e32 v52, v52
	v_min_u32_e32 v54, 32, v52
	v_subrev_nc_u32_e32 v52, 28, v54
	v_lshlrev_b64 v[52:53], v52, v[1:2]
	v_sub_nc_u32_e32 v53, 29, v54
	v_and_b32_e32 v52, 7, v52
; %bb.757:                              ;   in Loop: Header=BB290_538 Depth=1
	s_or_b32 exec_lo, exec_lo, s19
	v_lshlrev_b32_e32 v1, 8, v1
	v_lshl_add_u32 v53, v53, 10, 0x2000
	v_lshlrev_b32_e32 v52, 7, v52
	v_and_b32_e32 v1, 0x8000, v1
	v_and_b32_e32 v53, 0xfc00, v53
	v_or3_b32 v52, v1, v53, v52
.LBB290_758:                            ;   in Loop: Header=BB290_538 Depth=1
	s_or_b32 exec_lo, exec_lo, s18
.LBB290_759:                            ;   in Loop: Header=BB290_538 Depth=1
	s_or_b32 exec_lo, exec_lo, s17
.LBB290_760:                            ;   in Loop: Header=BB290_538 Depth=1
	s_or_b32 exec_lo, exec_lo, s13
	s_mov_b32 s13, exec_lo
	v_cmpx_lt_u32_e32 0xffffff, v9
	s_cbranch_execz .LBB290_768
; %bb.761:                              ;   in Loop: Header=BB290_538 Depth=1
	v_lshrrev_b32_e32 v1, 24, v9
	v_bfrev_b32_e32 v51, 1
	s_mov_b32 s17, exec_lo
	v_cmpx_ne_u32_e32 0x80, v1
	s_cbranch_execz .LBB290_767
; %bb.762:                              ;   in Loop: Header=BB290_538 Depth=1
	v_and_b32_e32 v54, 0x7f, v1
	v_mov_b32_e32 v51, 0x7c010000
	s_mov_b32 s18, exec_lo
	v_cmpx_ne_u32_e32 0x7f, v54
	s_cbranch_execz .LBB290_766
; %bb.763:                              ;   in Loop: Header=BB290_538 Depth=1
	v_and_b32_e32 v51, 7, v1
	v_lshrrev_b32_e32 v53, 3, v54
	s_mov_b32 s19, exec_lo
	v_cmpx_gt_u32_e32 8, v54
; %bb.764:                              ;   in Loop: Header=BB290_538 Depth=1
	v_ffbh_u32_e32 v51, v51
	v_min_u32_e32 v51, 32, v51
	v_subrev_nc_u32_e32 v53, 28, v51
	v_lshlrev_b64 v[54:55], v53, v[1:2]
	v_sub_nc_u32_e32 v53, 29, v51
	v_and_b32_e32 v51, 7, v54
; %bb.765:                              ;   in Loop: Header=BB290_538 Depth=1
	s_or_b32 exec_lo, exec_lo, s19
	v_lshlrev_b32_e32 v1, 8, v1
	v_lshl_add_u32 v53, v53, 10, 0x2000
	v_lshlrev_b32_e32 v51, 23, v51
	v_and_or_b32 v1, 0x8000, v1, v53
	v_lshl_or_b32 v51, v1, 16, v51
.LBB290_766:                            ;   in Loop: Header=BB290_538 Depth=1
	s_or_b32 exec_lo, exec_lo, s18
.LBB290_767:                            ;   in Loop: Header=BB290_538 Depth=1
	s_or_b32 exec_lo, exec_lo, s17
.LBB290_768:                            ;   in Loop: Header=BB290_538 Depth=1
	s_or_b32 exec_lo, exec_lo, s13
	v_mov_b32_e32 v1, v10
	v_cmp_ne_u16_sdwa s0, v10, v2 src0_sel:BYTE_0 src1_sel:DWORD
	v_mov_b32_e32 v53, 0
	v_mov_b32_e32 v54, 0
	s_and_saveexec_b32 s13, s0
	s_cbranch_execz .LBB290_776
; %bb.769:                              ;   in Loop: Header=BB290_538 Depth=1
	v_cmp_ne_u16_sdwa s0, v10, v26 src0_sel:BYTE_0 src1_sel:DWORD
	v_mov_b32_e32 v54, 0x8000
	s_and_saveexec_b32 s17, s0
	s_cbranch_execz .LBB290_775
; %bb.770:                              ;   in Loop: Header=BB290_538 Depth=1
	v_and_b32_e32 v56, 0x7f, v10
	v_mov_b32_e32 v54, 0x7c01
	s_mov_b32 s18, exec_lo
	v_cmpx_ne_u32_e32 0x7f, v56
	s_cbranch_execz .LBB290_774
; %bb.771:                              ;   in Loop: Header=BB290_538 Depth=1
	v_and_b32_e32 v54, 7, v10
	v_lshrrev_b32_e32 v55, 3, v56
	s_mov_b32 s19, exec_lo
	v_cmpx_gt_u32_e32 8, v56
; %bb.772:                              ;   in Loop: Header=BB290_538 Depth=1
	v_ffbh_u32_e32 v54, v54
	v_min_u32_e32 v56, 32, v54
	v_subrev_nc_u32_e32 v54, 28, v56
	v_lshlrev_b64 v[54:55], v54, v[1:2]
	v_sub_nc_u32_e32 v55, 29, v56
	v_and_b32_e32 v54, 7, v54
; %bb.773:                              ;   in Loop: Header=BB290_538 Depth=1
	s_or_b32 exec_lo, exec_lo, s19
	v_lshlrev_b32_e32 v56, 8, v10
	v_lshl_add_u32 v55, v55, 10, 0x2000
	v_lshlrev_b32_e32 v54, 7, v54
	v_and_b32_e32 v56, 0x8000, v56
	v_and_b32_e32 v55, 0xfc00, v55
	v_or3_b32 v54, v56, v55, v54
.LBB290_774:                            ;   in Loop: Header=BB290_538 Depth=1
	s_or_b32 exec_lo, exec_lo, s18
.LBB290_775:                            ;   in Loop: Header=BB290_538 Depth=1
	s_or_b32 exec_lo, exec_lo, s17
.LBB290_776:                            ;   in Loop: Header=BB290_538 Depth=1
	s_or_b32 exec_lo, exec_lo, s13
	v_lshrrev_b16 v1, 8, v1
	v_mov_b32_e32 v55, 0
	s_mov_b32 s13, exec_lo
	v_cmpx_ne_u16_e32 0, v1
	s_cbranch_execz .LBB290_784
; %bb.777:                              ;   in Loop: Header=BB290_538 Depth=1
	v_bfrev_b32_e32 v55, 1
	s_mov_b32 s17, exec_lo
	v_cmpx_ne_u16_e32 0x80, v1
	s_cbranch_execz .LBB290_783
; %bb.778:                              ;   in Loop: Header=BB290_538 Depth=1
	v_and_b32_sdwa v57, v1, v27 dst_sel:DWORD dst_unused:UNUSED_PAD src0_sel:WORD_0 src1_sel:DWORD
	v_mov_b32_e32 v55, 0x7c010000
	s_mov_b32 s18, exec_lo
	v_cmpx_ne_u32_e32 0x7f, v57
	s_cbranch_execz .LBB290_782
; %bb.779:                              ;   in Loop: Header=BB290_538 Depth=1
	v_and_b32_sdwa v55, v1, v28 dst_sel:DWORD dst_unused:UNUSED_PAD src0_sel:WORD_0 src1_sel:DWORD
	v_lshrrev_b32_e32 v56, 3, v57
	s_mov_b32 s19, exec_lo
	v_cmpx_gt_u32_e32 8, v57
; %bb.780:                              ;   in Loop: Header=BB290_538 Depth=1
	v_ffbh_u32_e32 v55, v55
	v_min_u32_e32 v57, 32, v55
	v_subrev_nc_u32_e32 v55, 28, v57
	v_lshlrev_b64 v[55:56], v55, v[1:2]
	v_sub_nc_u32_e32 v56, 29, v57
	v_and_b32_e32 v55, 7, v55
; %bb.781:                              ;   in Loop: Header=BB290_538 Depth=1
	s_or_b32 exec_lo, exec_lo, s19
	v_lshlrev_b32_sdwa v1, v29, v1 dst_sel:DWORD dst_unused:UNUSED_PAD src0_sel:DWORD src1_sel:WORD_0
	v_lshl_add_u32 v56, v56, 10, 0x2000
	v_lshlrev_b32_e32 v55, 23, v55
	v_and_or_b32 v1, 0x8000, v1, v56
	v_lshl_or_b32 v55, v1, 16, v55
.LBB290_782:                            ;   in Loop: Header=BB290_538 Depth=1
	s_or_b32 exec_lo, exec_lo, s18
.LBB290_783:                            ;   in Loop: Header=BB290_538 Depth=1
	s_or_b32 exec_lo, exec_lo, s17
.LBB290_784:                            ;   in Loop: Header=BB290_538 Depth=1
	s_or_b32 exec_lo, exec_lo, s13
	v_lshrrev_b32_e32 v1, 16, v10
	v_cmp_ne_u16_sdwa s0, v1, v2 src0_sel:BYTE_0 src1_sel:DWORD
	s_and_saveexec_b32 s13, s0
	s_cbranch_execz .LBB290_792
; %bb.785:                              ;   in Loop: Header=BB290_538 Depth=1
	v_cmp_ne_u16_sdwa s0, v1, v26 src0_sel:BYTE_0 src1_sel:DWORD
	v_mov_b32_e32 v53, 0x8000
	s_and_saveexec_b32 s17, s0
	s_cbranch_execz .LBB290_791
; %bb.786:                              ;   in Loop: Header=BB290_538 Depth=1
	v_bfe_u32 v57, v10, 16, 7
	v_mov_b32_e32 v53, 0x7c01
	s_mov_b32 s18, exec_lo
	v_cmpx_ne_u32_e32 0x7f, v57
	s_cbranch_execz .LBB290_790
; %bb.787:                              ;   in Loop: Header=BB290_538 Depth=1
	v_and_b32_e32 v53, 7, v1
	v_lshrrev_b32_e32 v56, 3, v57
	s_mov_b32 s19, exec_lo
	v_cmpx_gt_u32_e32 8, v57
; %bb.788:                              ;   in Loop: Header=BB290_538 Depth=1
	v_ffbh_u32_e32 v53, v53
	v_min_u32_e32 v53, 32, v53
	v_subrev_nc_u32_e32 v56, 28, v53
	v_lshlrev_b64 v[57:58], v56, v[1:2]
	v_sub_nc_u32_e32 v56, 29, v53
	v_and_b32_e32 v53, 7, v57
; %bb.789:                              ;   in Loop: Header=BB290_538 Depth=1
	s_or_b32 exec_lo, exec_lo, s19
	v_lshlrev_b32_e32 v1, 8, v1
	v_lshl_add_u32 v56, v56, 10, 0x2000
	v_lshlrev_b32_e32 v53, 7, v53
	v_and_b32_e32 v1, 0x8000, v1
	v_and_b32_e32 v56, 0xfc00, v56
	v_or3_b32 v53, v1, v56, v53
.LBB290_790:                            ;   in Loop: Header=BB290_538 Depth=1
	s_or_b32 exec_lo, exec_lo, s18
.LBB290_791:                            ;   in Loop: Header=BB290_538 Depth=1
	s_or_b32 exec_lo, exec_lo, s17
.LBB290_792:                            ;   in Loop: Header=BB290_538 Depth=1
	s_or_b32 exec_lo, exec_lo, s13
	v_cmp_lt_u64_e64 s0, s[2:3], v[9:10]
	v_mov_b32_e32 v9, 0
	s_and_saveexec_b32 s13, s0
	s_cbranch_execz .LBB290_800
; %bb.793:                              ;   in Loop: Header=BB290_538 Depth=1
	v_lshrrev_b32_e32 v1, 24, v10
	v_bfrev_b32_e32 v9, 1
	s_mov_b32 s17, exec_lo
	v_cmpx_ne_u32_e32 0x80, v1
	s_cbranch_execz .LBB290_799
; %bb.794:                              ;   in Loop: Header=BB290_538 Depth=1
	v_and_b32_e32 v56, 0x7f, v1
	v_mov_b32_e32 v9, 0x7c010000
	s_mov_b32 s18, exec_lo
	v_cmpx_ne_u32_e32 0x7f, v56
	s_cbranch_execz .LBB290_798
; %bb.795:                              ;   in Loop: Header=BB290_538 Depth=1
	v_and_b32_e32 v9, 7, v1
	v_lshrrev_b32_e32 v10, 3, v56
	s_mov_b32 s19, exec_lo
	v_cmpx_gt_u32_e32 8, v56
; %bb.796:                              ;   in Loop: Header=BB290_538 Depth=1
	v_ffbh_u32_e32 v9, v9
	v_min_u32_e32 v56, 32, v9
	v_subrev_nc_u32_e32 v9, 28, v56
	v_lshlrev_b64 v[9:10], v9, v[1:2]
	v_sub_nc_u32_e32 v10, 29, v56
	v_and_b32_e32 v9, 7, v9
; %bb.797:                              ;   in Loop: Header=BB290_538 Depth=1
	s_or_b32 exec_lo, exec_lo, s19
	v_lshlrev_b32_e32 v1, 8, v1
	v_lshl_add_u32 v10, v10, 10, 0x2000
	v_lshlrev_b32_e32 v9, 23, v9
	v_and_or_b32 v1, 0x8000, v1, v10
	v_lshl_or_b32 v9, v1, 16, v9
.LBB290_798:                            ;   in Loop: Header=BB290_538 Depth=1
	s_or_b32 exec_lo, exec_lo, s18
.LBB290_799:                            ;   in Loop: Header=BB290_538 Depth=1
	s_or_b32 exec_lo, exec_lo, s17
.LBB290_800:                            ;   in Loop: Header=BB290_538 Depth=1
	s_or_b32 exec_lo, exec_lo, s13
	v_or_b32_e32 v1, v51, v52
	s_waitcnt vmcnt(0)
	v_fma_mixlo_f16 v10, v48, v51, 0 op_sel:[0,1,0] op_sel_hi:[0,1,0]
	v_or_b32_e32 v51, v49, v50
	v_fma_mixlo_f16 v49, v48, v49, 0 op_sel:[0,1,0] op_sel_hi:[0,1,0]
	v_or_b32_e32 v52, v55, v54
	v_or_b32_e32 v53, v9, v53
	v_fma_mixlo_f16 v54, v48, v1, 0 op_sel_hi:[0,1,0]
	v_fma_mixlo_f16 v9, v48, v9, 0 op_sel:[0,1,0] op_sel_hi:[0,1,0]
	v_lshlrev_b32_e32 v50, 16, v49
	v_fma_mixlo_f16 v49, v48, v51, 0 op_sel_hi:[0,1,0]
	v_fma_mixlo_f16 v51, v48, v55, 0 op_sel:[0,1,0] op_sel_hi:[0,1,0]
	v_fma_mixlo_f16 v52, v48, v52, 0 op_sel_hi:[0,1,0]
	v_fma_mixlo_f16 v53, v48, v53, 0 op_sel_hi:[0,1,0]
	v_lshlrev_b32_e32 v1, 16, v10
	v_and_b32_e32 v10, 0xffff, v54
	v_and_b32_e32 v56, 0xffff, v49
	v_lshlrev_b32_e32 v48, 16, v51
	v_and_b32_e32 v52, 0xffff, v52
	v_lshlrev_b32_e32 v9, 16, v9
	v_and_b32_e32 v49, 0xffff, v53
	v_or_b32_e32 v51, v1, v10
	v_or_b32_e32 v55, v50, v56
	;; [unrolled: 1-line block ×4, first 2 shown]
	s_and_saveexec_b32 s13, vcc_lo
	s_cbranch_execz .LBB290_802
; %bb.801:                              ;   in Loop: Header=BB290_538 Depth=1
	v_cmp_gt_i32_e64 s0, s11, v31
	v_cndmask_b32_e64 v51, 0, v56, s0
	v_cmp_gt_i32_e64 s0, s11, v37
	v_cndmask_b32_e64 v50, 0, v50, s0
	v_cmp_gt_i32_e64 s0, s11, v36
	v_or_b32_e32 v55, v50, v51
	v_cndmask_b32_e64 v10, 0, v10, s0
	v_cmp_gt_i32_e64 s0, s11, v35
	v_cndmask_b32_e64 v1, 0, v1, s0
	v_cmp_gt_i32_e64 s0, s11, v34
	v_or_b32_e32 v51, v1, v10
	;; [unrolled: 5-line block ×3, first 2 shown]
	v_cndmask_b32_e64 v49, 0, v49, s0
	v_cmp_gt_i32_e64 s0, s11, v25
	v_cndmask_b32_e64 v9, 0, v9, s0
	v_or_b32_e32 v53, v9, v49
.LBB290_802:                            ;   in Loop: Header=BB290_538 Depth=1
	s_or_b32 exec_lo, exec_lo, s13
	;;#ASMSTART
	v_pk_mul_f16 v1, v42, v55;

	;;#ASMEND
	;;#ASMSTART
	v_pk_mul_f16 v9, v40, v51;

	;;#ASMEND
	;; [unrolled: 4-line block ×4, first 2 shown]
	;;#ASMSTART
	v_pk_add_f16 v1, v1, v9;

	;;#ASMEND
	;;#ASMSTART
	v_pk_add_f16 v1, v1, v10;

	;;#ASMEND
	;; [unrolled: 4-line block ×3, first 2 shown]
	v_and_b32_e32 v9, 0xffff, v1
	v_lshrrev_b32_e32 v1, 16, v1
	;;#ASMSTART
	v_cvt_f32_f16 v48, v9;
	;;#ASMEND
	;;#ASMSTART
	v_cvt_f32_f16 v49, v1;
	;;#ASMEND
	global_load_dwordx2 v[9:10], v[7:8], off offset:1024
	v_mov_b32_e32 v51, 0
	v_mov_b32_e32 v52, 0
	global_load_dword v50, v51, s[14:15]
	s_waitcnt vmcnt(1)
	v_cmp_ne_u16_sdwa s0, v9, v2 src0_sel:BYTE_0 src1_sel:DWORD
	s_and_saveexec_b32 s13, s0
	s_cbranch_execz .LBB290_810
; %bb.803:                              ;   in Loop: Header=BB290_538 Depth=1
	v_cmp_ne_u16_sdwa s0, v9, v26 src0_sel:BYTE_0 src1_sel:DWORD
	v_mov_b32_e32 v52, 0x8000
	s_and_saveexec_b32 s17, s0
	s_cbranch_execz .LBB290_809
; %bb.804:                              ;   in Loop: Header=BB290_538 Depth=1
	v_and_b32_e32 v53, 0x7f, v9
	v_mov_b32_e32 v52, 0x7c01
	s_mov_b32 s18, exec_lo
	v_cmpx_ne_u32_e32 0x7f, v53
	s_cbranch_execz .LBB290_808
; %bb.805:                              ;   in Loop: Header=BB290_538 Depth=1
	v_and_b32_e32 v1, 7, v9
	v_lshrrev_b32_e32 v52, 3, v53
	s_mov_b32 s19, exec_lo
	v_cmpx_gt_u32_e32 8, v53
; %bb.806:                              ;   in Loop: Header=BB290_538 Depth=1
	v_ffbh_u32_e32 v1, v1
	v_min_u32_e32 v1, 32, v1
	v_subrev_nc_u32_e32 v52, 28, v1
	v_lshlrev_b64 v[53:54], v52, v[9:10]
	v_sub_nc_u32_e32 v52, 29, v1
	v_and_b32_e32 v1, 7, v53
; %bb.807:                              ;   in Loop: Header=BB290_538 Depth=1
	s_or_b32 exec_lo, exec_lo, s19
	v_lshlrev_b32_e32 v53, 8, v9
	v_lshl_add_u32 v52, v52, 10, 0x2000
	v_lshlrev_b32_e32 v1, 7, v1
	v_and_b32_e32 v53, 0x8000, v53
	v_and_b32_e32 v52, 0xfc00, v52
	v_or3_b32 v52, v53, v52, v1
.LBB290_808:                            ;   in Loop: Header=BB290_538 Depth=1
	s_or_b32 exec_lo, exec_lo, s18
.LBB290_809:                            ;   in Loop: Header=BB290_538 Depth=1
	s_or_b32 exec_lo, exec_lo, s17
.LBB290_810:                            ;   in Loop: Header=BB290_538 Depth=1
	s_or_b32 exec_lo, exec_lo, s13
	v_lshrrev_b16 v1, 8, v9
	s_mov_b32 s13, exec_lo
	v_cmpx_ne_u16_e32 0, v1
	s_cbranch_execz .LBB290_818
; %bb.811:                              ;   in Loop: Header=BB290_538 Depth=1
	v_bfrev_b32_e32 v51, 1
	s_mov_b32 s17, exec_lo
	v_cmpx_ne_u16_e32 0x80, v1
	s_cbranch_execz .LBB290_817
; %bb.812:                              ;   in Loop: Header=BB290_538 Depth=1
	v_and_b32_sdwa v54, v1, v27 dst_sel:DWORD dst_unused:UNUSED_PAD src0_sel:WORD_0 src1_sel:DWORD
	v_mov_b32_e32 v51, 0x7c010000
	s_mov_b32 s18, exec_lo
	v_cmpx_ne_u32_e32 0x7f, v54
	s_cbranch_execz .LBB290_816
; %bb.813:                              ;   in Loop: Header=BB290_538 Depth=1
	v_and_b32_sdwa v51, v1, v28 dst_sel:DWORD dst_unused:UNUSED_PAD src0_sel:WORD_0 src1_sel:DWORD
	v_lshrrev_b32_e32 v53, 3, v54
	s_mov_b32 s19, exec_lo
	v_cmpx_gt_u32_e32 8, v54
; %bb.814:                              ;   in Loop: Header=BB290_538 Depth=1
	v_ffbh_u32_e32 v51, v51
	v_min_u32_e32 v51, 32, v51
	v_subrev_nc_u32_e32 v53, 28, v51
	v_lshlrev_b64 v[54:55], v53, v[1:2]
	v_sub_nc_u32_e32 v53, 29, v51
	v_and_b32_e32 v51, 7, v54
; %bb.815:                              ;   in Loop: Header=BB290_538 Depth=1
	s_or_b32 exec_lo, exec_lo, s19
	v_lshlrev_b32_sdwa v1, v29, v1 dst_sel:DWORD dst_unused:UNUSED_PAD src0_sel:DWORD src1_sel:WORD_0
	v_lshl_add_u32 v53, v53, 10, 0x2000
	v_lshlrev_b32_e32 v51, 23, v51
	v_and_or_b32 v1, 0x8000, v1, v53
	v_lshl_or_b32 v51, v1, 16, v51
.LBB290_816:                            ;   in Loop: Header=BB290_538 Depth=1
	s_or_b32 exec_lo, exec_lo, s18
.LBB290_817:                            ;   in Loop: Header=BB290_538 Depth=1
	s_or_b32 exec_lo, exec_lo, s17
.LBB290_818:                            ;   in Loop: Header=BB290_538 Depth=1
	s_or_b32 exec_lo, exec_lo, s13
	v_lshrrev_b32_e32 v1, 16, v9
	v_mov_b32_e32 v53, 0
	v_mov_b32_e32 v54, 0
	v_cmp_ne_u16_sdwa s0, v1, v2 src0_sel:BYTE_0 src1_sel:DWORD
	s_and_saveexec_b32 s13, s0
	s_cbranch_execz .LBB290_826
; %bb.819:                              ;   in Loop: Header=BB290_538 Depth=1
	v_cmp_ne_u16_sdwa s0, v1, v26 src0_sel:BYTE_0 src1_sel:DWORD
	v_mov_b32_e32 v54, 0x8000
	s_and_saveexec_b32 s17, s0
	s_cbranch_execz .LBB290_825
; %bb.820:                              ;   in Loop: Header=BB290_538 Depth=1
	v_bfe_u32 v56, v9, 16, 7
	v_mov_b32_e32 v54, 0x7c01
	s_mov_b32 s18, exec_lo
	v_cmpx_ne_u32_e32 0x7f, v56
	s_cbranch_execz .LBB290_824
; %bb.821:                              ;   in Loop: Header=BB290_538 Depth=1
	v_and_b32_e32 v54, 7, v1
	v_lshrrev_b32_e32 v55, 3, v56
	s_mov_b32 s19, exec_lo
	v_cmpx_gt_u32_e32 8, v56
; %bb.822:                              ;   in Loop: Header=BB290_538 Depth=1
	v_ffbh_u32_e32 v54, v54
	v_min_u32_e32 v56, 32, v54
	v_subrev_nc_u32_e32 v54, 28, v56
	v_lshlrev_b64 v[54:55], v54, v[1:2]
	v_sub_nc_u32_e32 v55, 29, v56
	v_and_b32_e32 v54, 7, v54
; %bb.823:                              ;   in Loop: Header=BB290_538 Depth=1
	s_or_b32 exec_lo, exec_lo, s19
	v_lshlrev_b32_e32 v1, 8, v1
	v_lshl_add_u32 v55, v55, 10, 0x2000
	v_lshlrev_b32_e32 v54, 7, v54
	v_and_b32_e32 v1, 0x8000, v1
	v_and_b32_e32 v55, 0xfc00, v55
	v_or3_b32 v54, v1, v55, v54
.LBB290_824:                            ;   in Loop: Header=BB290_538 Depth=1
	s_or_b32 exec_lo, exec_lo, s18
.LBB290_825:                            ;   in Loop: Header=BB290_538 Depth=1
	s_or_b32 exec_lo, exec_lo, s17
.LBB290_826:                            ;   in Loop: Header=BB290_538 Depth=1
	s_or_b32 exec_lo, exec_lo, s13
	s_mov_b32 s13, exec_lo
	v_cmpx_lt_u32_e32 0xffffff, v9
	s_cbranch_execz .LBB290_834
; %bb.827:                              ;   in Loop: Header=BB290_538 Depth=1
	v_lshrrev_b32_e32 v1, 24, v9
	v_bfrev_b32_e32 v53, 1
	s_mov_b32 s17, exec_lo
	v_cmpx_ne_u32_e32 0x80, v1
	s_cbranch_execz .LBB290_833
; %bb.828:                              ;   in Loop: Header=BB290_538 Depth=1
	v_and_b32_e32 v56, 0x7f, v1
	v_mov_b32_e32 v53, 0x7c010000
	s_mov_b32 s18, exec_lo
	v_cmpx_ne_u32_e32 0x7f, v56
	s_cbranch_execz .LBB290_832
; %bb.829:                              ;   in Loop: Header=BB290_538 Depth=1
	v_and_b32_e32 v53, 7, v1
	v_lshrrev_b32_e32 v55, 3, v56
	s_mov_b32 s19, exec_lo
	v_cmpx_gt_u32_e32 8, v56
; %bb.830:                              ;   in Loop: Header=BB290_538 Depth=1
	v_ffbh_u32_e32 v53, v53
	v_min_u32_e32 v53, 32, v53
	v_subrev_nc_u32_e32 v55, 28, v53
	v_lshlrev_b64 v[56:57], v55, v[1:2]
	v_sub_nc_u32_e32 v55, 29, v53
	v_and_b32_e32 v53, 7, v56
; %bb.831:                              ;   in Loop: Header=BB290_538 Depth=1
	s_or_b32 exec_lo, exec_lo, s19
	v_lshlrev_b32_e32 v1, 8, v1
	v_lshl_add_u32 v55, v55, 10, 0x2000
	v_lshlrev_b32_e32 v53, 23, v53
	v_and_or_b32 v1, 0x8000, v1, v55
	v_lshl_or_b32 v53, v1, 16, v53
.LBB290_832:                            ;   in Loop: Header=BB290_538 Depth=1
	s_or_b32 exec_lo, exec_lo, s18
.LBB290_833:                            ;   in Loop: Header=BB290_538 Depth=1
	s_or_b32 exec_lo, exec_lo, s17
.LBB290_834:                            ;   in Loop: Header=BB290_538 Depth=1
	s_or_b32 exec_lo, exec_lo, s13
	v_mov_b32_e32 v1, v10
	v_cmp_ne_u16_sdwa s0, v10, v2 src0_sel:BYTE_0 src1_sel:DWORD
	v_mov_b32_e32 v55, 0
	v_mov_b32_e32 v56, 0
	s_and_saveexec_b32 s13, s0
	s_cbranch_execz .LBB290_842
; %bb.835:                              ;   in Loop: Header=BB290_538 Depth=1
	v_cmp_ne_u16_sdwa s0, v10, v26 src0_sel:BYTE_0 src1_sel:DWORD
	v_mov_b32_e32 v56, 0x8000
	s_and_saveexec_b32 s17, s0
	s_cbranch_execz .LBB290_841
; %bb.836:                              ;   in Loop: Header=BB290_538 Depth=1
	v_and_b32_e32 v58, 0x7f, v10
	v_mov_b32_e32 v56, 0x7c01
	s_mov_b32 s18, exec_lo
	v_cmpx_ne_u32_e32 0x7f, v58
	s_cbranch_execz .LBB290_840
; %bb.837:                              ;   in Loop: Header=BB290_538 Depth=1
	v_and_b32_e32 v56, 7, v10
	v_lshrrev_b32_e32 v57, 3, v58
	s_mov_b32 s19, exec_lo
	v_cmpx_gt_u32_e32 8, v58
; %bb.838:                              ;   in Loop: Header=BB290_538 Depth=1
	v_ffbh_u32_e32 v56, v56
	v_min_u32_e32 v58, 32, v56
	v_subrev_nc_u32_e32 v56, 28, v58
	v_lshlrev_b64 v[56:57], v56, v[1:2]
	v_sub_nc_u32_e32 v57, 29, v58
	v_and_b32_e32 v56, 7, v56
; %bb.839:                              ;   in Loop: Header=BB290_538 Depth=1
	s_or_b32 exec_lo, exec_lo, s19
	v_lshlrev_b32_e32 v58, 8, v10
	v_lshl_add_u32 v57, v57, 10, 0x2000
	v_lshlrev_b32_e32 v56, 7, v56
	v_and_b32_e32 v58, 0x8000, v58
	v_and_b32_e32 v57, 0xfc00, v57
	v_or3_b32 v56, v58, v57, v56
.LBB290_840:                            ;   in Loop: Header=BB290_538 Depth=1
	s_or_b32 exec_lo, exec_lo, s18
.LBB290_841:                            ;   in Loop: Header=BB290_538 Depth=1
	s_or_b32 exec_lo, exec_lo, s17
.LBB290_842:                            ;   in Loop: Header=BB290_538 Depth=1
	s_or_b32 exec_lo, exec_lo, s13
	v_lshrrev_b16 v1, 8, v1
	v_mov_b32_e32 v57, 0
	s_mov_b32 s13, exec_lo
	v_cmpx_ne_u16_e32 0, v1
	s_cbranch_execz .LBB290_850
; %bb.843:                              ;   in Loop: Header=BB290_538 Depth=1
	v_bfrev_b32_e32 v57, 1
	s_mov_b32 s17, exec_lo
	v_cmpx_ne_u16_e32 0x80, v1
	s_cbranch_execz .LBB290_849
; %bb.844:                              ;   in Loop: Header=BB290_538 Depth=1
	v_and_b32_sdwa v59, v1, v27 dst_sel:DWORD dst_unused:UNUSED_PAD src0_sel:WORD_0 src1_sel:DWORD
	v_mov_b32_e32 v57, 0x7c010000
	s_mov_b32 s18, exec_lo
	v_cmpx_ne_u32_e32 0x7f, v59
	s_cbranch_execz .LBB290_848
; %bb.845:                              ;   in Loop: Header=BB290_538 Depth=1
	v_and_b32_sdwa v57, v1, v28 dst_sel:DWORD dst_unused:UNUSED_PAD src0_sel:WORD_0 src1_sel:DWORD
	v_lshrrev_b32_e32 v58, 3, v59
	s_mov_b32 s19, exec_lo
	v_cmpx_gt_u32_e32 8, v59
; %bb.846:                              ;   in Loop: Header=BB290_538 Depth=1
	v_ffbh_u32_e32 v57, v57
	v_min_u32_e32 v59, 32, v57
	v_subrev_nc_u32_e32 v57, 28, v59
	v_lshlrev_b64 v[57:58], v57, v[1:2]
	v_sub_nc_u32_e32 v58, 29, v59
	v_and_b32_e32 v57, 7, v57
; %bb.847:                              ;   in Loop: Header=BB290_538 Depth=1
	s_or_b32 exec_lo, exec_lo, s19
	v_lshlrev_b32_sdwa v1, v29, v1 dst_sel:DWORD dst_unused:UNUSED_PAD src0_sel:DWORD src1_sel:WORD_0
	v_lshl_add_u32 v58, v58, 10, 0x2000
	v_lshlrev_b32_e32 v57, 23, v57
	v_and_or_b32 v1, 0x8000, v1, v58
	v_lshl_or_b32 v57, v1, 16, v57
.LBB290_848:                            ;   in Loop: Header=BB290_538 Depth=1
	s_or_b32 exec_lo, exec_lo, s18
.LBB290_849:                            ;   in Loop: Header=BB290_538 Depth=1
	s_or_b32 exec_lo, exec_lo, s17
.LBB290_850:                            ;   in Loop: Header=BB290_538 Depth=1
	s_or_b32 exec_lo, exec_lo, s13
	v_lshrrev_b32_e32 v1, 16, v10
	v_cmp_ne_u16_sdwa s0, v1, v2 src0_sel:BYTE_0 src1_sel:DWORD
	s_and_saveexec_b32 s13, s0
	s_cbranch_execz .LBB290_858
; %bb.851:                              ;   in Loop: Header=BB290_538 Depth=1
	v_cmp_ne_u16_sdwa s0, v1, v26 src0_sel:BYTE_0 src1_sel:DWORD
	v_mov_b32_e32 v55, 0x8000
	s_and_saveexec_b32 s17, s0
	s_cbranch_execz .LBB290_857
; %bb.852:                              ;   in Loop: Header=BB290_538 Depth=1
	v_bfe_u32 v59, v10, 16, 7
	v_mov_b32_e32 v55, 0x7c01
	s_mov_b32 s18, exec_lo
	v_cmpx_ne_u32_e32 0x7f, v59
	s_cbranch_execz .LBB290_856
; %bb.853:                              ;   in Loop: Header=BB290_538 Depth=1
	v_and_b32_e32 v55, 7, v1
	v_lshrrev_b32_e32 v58, 3, v59
	s_mov_b32 s19, exec_lo
	v_cmpx_gt_u32_e32 8, v59
; %bb.854:                              ;   in Loop: Header=BB290_538 Depth=1
	v_ffbh_u32_e32 v55, v55
	v_min_u32_e32 v55, 32, v55
	v_subrev_nc_u32_e32 v58, 28, v55
	v_lshlrev_b64 v[59:60], v58, v[1:2]
	v_sub_nc_u32_e32 v58, 29, v55
	v_and_b32_e32 v55, 7, v59
; %bb.855:                              ;   in Loop: Header=BB290_538 Depth=1
	s_or_b32 exec_lo, exec_lo, s19
	v_lshlrev_b32_e32 v1, 8, v1
	v_lshl_add_u32 v58, v58, 10, 0x2000
	v_lshlrev_b32_e32 v55, 7, v55
	v_and_b32_e32 v1, 0x8000, v1
	v_and_b32_e32 v58, 0xfc00, v58
	v_or3_b32 v55, v1, v58, v55
.LBB290_856:                            ;   in Loop: Header=BB290_538 Depth=1
	s_or_b32 exec_lo, exec_lo, s18
.LBB290_857:                            ;   in Loop: Header=BB290_538 Depth=1
	s_or_b32 exec_lo, exec_lo, s17
.LBB290_858:                            ;   in Loop: Header=BB290_538 Depth=1
	s_or_b32 exec_lo, exec_lo, s13
	v_cmp_lt_u64_e64 s0, s[2:3], v[9:10]
	v_mov_b32_e32 v9, 0
	s_and_saveexec_b32 s13, s0
	s_cbranch_execz .LBB290_866
; %bb.859:                              ;   in Loop: Header=BB290_538 Depth=1
	v_lshrrev_b32_e32 v1, 24, v10
	v_bfrev_b32_e32 v9, 1
	s_mov_b32 s17, exec_lo
	v_cmpx_ne_u32_e32 0x80, v1
	s_cbranch_execz .LBB290_865
; %bb.860:                              ;   in Loop: Header=BB290_538 Depth=1
	v_and_b32_e32 v58, 0x7f, v1
	v_mov_b32_e32 v9, 0x7c010000
	s_mov_b32 s18, exec_lo
	v_cmpx_ne_u32_e32 0x7f, v58
	s_cbranch_execz .LBB290_864
; %bb.861:                              ;   in Loop: Header=BB290_538 Depth=1
	v_and_b32_e32 v9, 7, v1
	v_lshrrev_b32_e32 v10, 3, v58
	s_mov_b32 s19, exec_lo
	v_cmpx_gt_u32_e32 8, v58
; %bb.862:                              ;   in Loop: Header=BB290_538 Depth=1
	v_ffbh_u32_e32 v9, v9
	v_min_u32_e32 v58, 32, v9
	v_subrev_nc_u32_e32 v9, 28, v58
	v_lshlrev_b64 v[9:10], v9, v[1:2]
	v_sub_nc_u32_e32 v10, 29, v58
	v_and_b32_e32 v9, 7, v9
; %bb.863:                              ;   in Loop: Header=BB290_538 Depth=1
	s_or_b32 exec_lo, exec_lo, s19
	v_lshlrev_b32_e32 v1, 8, v1
	v_lshl_add_u32 v10, v10, 10, 0x2000
	v_lshlrev_b32_e32 v9, 23, v9
	v_and_or_b32 v1, 0x8000, v1, v10
	v_lshl_or_b32 v9, v1, 16, v9
.LBB290_864:                            ;   in Loop: Header=BB290_538 Depth=1
	s_or_b32 exec_lo, exec_lo, s18
.LBB290_865:                            ;   in Loop: Header=BB290_538 Depth=1
	s_or_b32 exec_lo, exec_lo, s17
.LBB290_866:                            ;   in Loop: Header=BB290_538 Depth=1
	s_or_b32 exec_lo, exec_lo, s13
	v_or_b32_e32 v1, v53, v54
	s_waitcnt vmcnt(0)
	v_fma_mixlo_f16 v10, v50, v53, 0 op_sel:[0,1,0] op_sel_hi:[0,1,0]
	v_or_b32_e32 v53, v51, v52
	v_fma_mixlo_f16 v51, v50, v51, 0 op_sel:[0,1,0] op_sel_hi:[0,1,0]
	v_or_b32_e32 v54, v57, v56
	v_or_b32_e32 v55, v9, v55
	v_fma_mixlo_f16 v56, v50, v1, 0 op_sel_hi:[0,1,0]
	v_fma_mixlo_f16 v9, v50, v9, 0 op_sel:[0,1,0] op_sel_hi:[0,1,0]
	v_lshlrev_b32_e32 v52, 16, v51
	v_fma_mixlo_f16 v51, v50, v53, 0 op_sel_hi:[0,1,0]
	v_fma_mixlo_f16 v53, v50, v57, 0 op_sel:[0,1,0] op_sel_hi:[0,1,0]
	v_fma_mixlo_f16 v54, v50, v54, 0 op_sel_hi:[0,1,0]
	v_fma_mixlo_f16 v55, v50, v55, 0 op_sel_hi:[0,1,0]
	v_lshlrev_b32_e32 v1, 16, v10
	v_and_b32_e32 v10, 0xffff, v56
	v_and_b32_e32 v58, 0xffff, v51
	v_lshlrev_b32_e32 v50, 16, v53
	v_and_b32_e32 v54, 0xffff, v54
	v_lshlrev_b32_e32 v9, 16, v9
	v_and_b32_e32 v51, 0xffff, v55
	v_or_b32_e32 v53, v1, v10
	v_or_b32_e32 v57, v52, v58
	;; [unrolled: 1-line block ×4, first 2 shown]
	s_and_saveexec_b32 s13, vcc_lo
	s_cbranch_execz .LBB290_868
; %bb.867:                              ;   in Loop: Header=BB290_538 Depth=1
	v_cmp_gt_i32_e64 s0, s11, v31
	v_cndmask_b32_e64 v53, 0, v58, s0
	v_cmp_gt_i32_e64 s0, s11, v37
	v_cndmask_b32_e64 v52, 0, v52, s0
	v_cmp_gt_i32_e64 s0, s11, v36
	v_or_b32_e32 v57, v52, v53
	v_cndmask_b32_e64 v10, 0, v10, s0
	v_cmp_gt_i32_e64 s0, s11, v35
	v_cndmask_b32_e64 v1, 0, v1, s0
	v_cmp_gt_i32_e64 s0, s11, v34
	v_or_b32_e32 v53, v1, v10
	;; [unrolled: 5-line block ×3, first 2 shown]
	v_cndmask_b32_e64 v51, 0, v51, s0
	v_cmp_gt_i32_e64 s0, s11, v25
	v_cndmask_b32_e64 v9, 0, v9, s0
	v_or_b32_e32 v55, v9, v51
.LBB290_868:                            ;   in Loop: Header=BB290_538 Depth=1
	s_or_b32 exec_lo, exec_lo, s13
	;;#ASMSTART
	v_pk_mul_f16 v1, v42, v57;

	;;#ASMEND
	;;#ASMSTART
	v_pk_mul_f16 v9, v40, v53;

	;;#ASMEND
	;; [unrolled: 4-line block ×4, first 2 shown]
	;;#ASMSTART
	v_pk_add_f16 v1, v1, v9;

	;;#ASMEND
	;;#ASMSTART
	v_pk_add_f16 v1, v1, v10;

	;;#ASMEND
	;; [unrolled: 4-line block ×3, first 2 shown]
	v_and_b32_e32 v9, 0xffff, v1
	v_lshrrev_b32_e32 v1, 16, v1
	;;#ASMSTART
	v_cvt_f32_f16 v50, v9;
	;;#ASMEND
	;;#ASMSTART
	v_cvt_f32_f16 v51, v1;
	;;#ASMEND
	global_load_dwordx2 v[9:10], v[7:8], off offset:1280
	v_mov_b32_e32 v53, 0
	v_mov_b32_e32 v54, 0
	global_load_dword v52, v53, s[14:15]
	s_waitcnt vmcnt(1)
	v_cmp_ne_u16_sdwa s0, v9, v2 src0_sel:BYTE_0 src1_sel:DWORD
	s_and_saveexec_b32 s13, s0
	s_cbranch_execz .LBB290_876
; %bb.869:                              ;   in Loop: Header=BB290_538 Depth=1
	v_cmp_ne_u16_sdwa s0, v9, v26 src0_sel:BYTE_0 src1_sel:DWORD
	v_mov_b32_e32 v54, 0x8000
	s_and_saveexec_b32 s17, s0
	s_cbranch_execz .LBB290_875
; %bb.870:                              ;   in Loop: Header=BB290_538 Depth=1
	v_and_b32_e32 v55, 0x7f, v9
	v_mov_b32_e32 v54, 0x7c01
	s_mov_b32 s18, exec_lo
	v_cmpx_ne_u32_e32 0x7f, v55
	s_cbranch_execz .LBB290_874
; %bb.871:                              ;   in Loop: Header=BB290_538 Depth=1
	v_and_b32_e32 v1, 7, v9
	v_lshrrev_b32_e32 v54, 3, v55
	s_mov_b32 s19, exec_lo
	v_cmpx_gt_u32_e32 8, v55
; %bb.872:                              ;   in Loop: Header=BB290_538 Depth=1
	v_ffbh_u32_e32 v1, v1
	v_min_u32_e32 v1, 32, v1
	v_subrev_nc_u32_e32 v54, 28, v1
	v_lshlrev_b64 v[55:56], v54, v[9:10]
	v_sub_nc_u32_e32 v54, 29, v1
	v_and_b32_e32 v1, 7, v55
; %bb.873:                              ;   in Loop: Header=BB290_538 Depth=1
	s_or_b32 exec_lo, exec_lo, s19
	v_lshlrev_b32_e32 v55, 8, v9
	v_lshl_add_u32 v54, v54, 10, 0x2000
	v_lshlrev_b32_e32 v1, 7, v1
	v_and_b32_e32 v55, 0x8000, v55
	v_and_b32_e32 v54, 0xfc00, v54
	v_or3_b32 v54, v55, v54, v1
.LBB290_874:                            ;   in Loop: Header=BB290_538 Depth=1
	s_or_b32 exec_lo, exec_lo, s18
.LBB290_875:                            ;   in Loop: Header=BB290_538 Depth=1
	s_or_b32 exec_lo, exec_lo, s17
.LBB290_876:                            ;   in Loop: Header=BB290_538 Depth=1
	s_or_b32 exec_lo, exec_lo, s13
	v_lshrrev_b16 v1, 8, v9
	s_mov_b32 s13, exec_lo
	v_cmpx_ne_u16_e32 0, v1
	s_cbranch_execz .LBB290_884
; %bb.877:                              ;   in Loop: Header=BB290_538 Depth=1
	v_bfrev_b32_e32 v53, 1
	s_mov_b32 s17, exec_lo
	v_cmpx_ne_u16_e32 0x80, v1
	s_cbranch_execz .LBB290_883
; %bb.878:                              ;   in Loop: Header=BB290_538 Depth=1
	v_and_b32_sdwa v56, v1, v27 dst_sel:DWORD dst_unused:UNUSED_PAD src0_sel:WORD_0 src1_sel:DWORD
	v_mov_b32_e32 v53, 0x7c010000
	s_mov_b32 s18, exec_lo
	v_cmpx_ne_u32_e32 0x7f, v56
	s_cbranch_execz .LBB290_882
; %bb.879:                              ;   in Loop: Header=BB290_538 Depth=1
	v_and_b32_sdwa v53, v1, v28 dst_sel:DWORD dst_unused:UNUSED_PAD src0_sel:WORD_0 src1_sel:DWORD
	v_lshrrev_b32_e32 v55, 3, v56
	s_mov_b32 s19, exec_lo
	v_cmpx_gt_u32_e32 8, v56
; %bb.880:                              ;   in Loop: Header=BB290_538 Depth=1
	v_ffbh_u32_e32 v53, v53
	v_min_u32_e32 v53, 32, v53
	v_subrev_nc_u32_e32 v55, 28, v53
	v_lshlrev_b64 v[56:57], v55, v[1:2]
	v_sub_nc_u32_e32 v55, 29, v53
	v_and_b32_e32 v53, 7, v56
; %bb.881:                              ;   in Loop: Header=BB290_538 Depth=1
	s_or_b32 exec_lo, exec_lo, s19
	v_lshlrev_b32_sdwa v1, v29, v1 dst_sel:DWORD dst_unused:UNUSED_PAD src0_sel:DWORD src1_sel:WORD_0
	v_lshl_add_u32 v55, v55, 10, 0x2000
	v_lshlrev_b32_e32 v53, 23, v53
	v_and_or_b32 v1, 0x8000, v1, v55
	v_lshl_or_b32 v53, v1, 16, v53
.LBB290_882:                            ;   in Loop: Header=BB290_538 Depth=1
	s_or_b32 exec_lo, exec_lo, s18
.LBB290_883:                            ;   in Loop: Header=BB290_538 Depth=1
	s_or_b32 exec_lo, exec_lo, s17
.LBB290_884:                            ;   in Loop: Header=BB290_538 Depth=1
	s_or_b32 exec_lo, exec_lo, s13
	v_lshrrev_b32_e32 v1, 16, v9
	v_mov_b32_e32 v55, 0
	v_mov_b32_e32 v56, 0
	v_cmp_ne_u16_sdwa s0, v1, v2 src0_sel:BYTE_0 src1_sel:DWORD
	s_and_saveexec_b32 s13, s0
	s_cbranch_execz .LBB290_892
; %bb.885:                              ;   in Loop: Header=BB290_538 Depth=1
	v_cmp_ne_u16_sdwa s0, v1, v26 src0_sel:BYTE_0 src1_sel:DWORD
	v_mov_b32_e32 v56, 0x8000
	s_and_saveexec_b32 s17, s0
	s_cbranch_execz .LBB290_891
; %bb.886:                              ;   in Loop: Header=BB290_538 Depth=1
	v_bfe_u32 v58, v9, 16, 7
	v_mov_b32_e32 v56, 0x7c01
	s_mov_b32 s18, exec_lo
	v_cmpx_ne_u32_e32 0x7f, v58
	s_cbranch_execz .LBB290_890
; %bb.887:                              ;   in Loop: Header=BB290_538 Depth=1
	v_and_b32_e32 v56, 7, v1
	v_lshrrev_b32_e32 v57, 3, v58
	s_mov_b32 s19, exec_lo
	v_cmpx_gt_u32_e32 8, v58
; %bb.888:                              ;   in Loop: Header=BB290_538 Depth=1
	v_ffbh_u32_e32 v56, v56
	v_min_u32_e32 v58, 32, v56
	v_subrev_nc_u32_e32 v56, 28, v58
	v_lshlrev_b64 v[56:57], v56, v[1:2]
	v_sub_nc_u32_e32 v57, 29, v58
	v_and_b32_e32 v56, 7, v56
; %bb.889:                              ;   in Loop: Header=BB290_538 Depth=1
	s_or_b32 exec_lo, exec_lo, s19
	v_lshlrev_b32_e32 v1, 8, v1
	v_lshl_add_u32 v57, v57, 10, 0x2000
	v_lshlrev_b32_e32 v56, 7, v56
	v_and_b32_e32 v1, 0x8000, v1
	v_and_b32_e32 v57, 0xfc00, v57
	v_or3_b32 v56, v1, v57, v56
.LBB290_890:                            ;   in Loop: Header=BB290_538 Depth=1
	s_or_b32 exec_lo, exec_lo, s18
.LBB290_891:                            ;   in Loop: Header=BB290_538 Depth=1
	s_or_b32 exec_lo, exec_lo, s17
.LBB290_892:                            ;   in Loop: Header=BB290_538 Depth=1
	s_or_b32 exec_lo, exec_lo, s13
	s_mov_b32 s13, exec_lo
	v_cmpx_lt_u32_e32 0xffffff, v9
	s_cbranch_execz .LBB290_900
; %bb.893:                              ;   in Loop: Header=BB290_538 Depth=1
	v_lshrrev_b32_e32 v1, 24, v9
	v_bfrev_b32_e32 v55, 1
	s_mov_b32 s17, exec_lo
	v_cmpx_ne_u32_e32 0x80, v1
	s_cbranch_execz .LBB290_899
; %bb.894:                              ;   in Loop: Header=BB290_538 Depth=1
	v_and_b32_e32 v58, 0x7f, v1
	v_mov_b32_e32 v55, 0x7c010000
	s_mov_b32 s18, exec_lo
	v_cmpx_ne_u32_e32 0x7f, v58
	s_cbranch_execz .LBB290_898
; %bb.895:                              ;   in Loop: Header=BB290_538 Depth=1
	v_and_b32_e32 v55, 7, v1
	v_lshrrev_b32_e32 v57, 3, v58
	s_mov_b32 s19, exec_lo
	v_cmpx_gt_u32_e32 8, v58
; %bb.896:                              ;   in Loop: Header=BB290_538 Depth=1
	v_ffbh_u32_e32 v55, v55
	v_min_u32_e32 v55, 32, v55
	v_subrev_nc_u32_e32 v57, 28, v55
	v_lshlrev_b64 v[58:59], v57, v[1:2]
	v_sub_nc_u32_e32 v57, 29, v55
	v_and_b32_e32 v55, 7, v58
; %bb.897:                              ;   in Loop: Header=BB290_538 Depth=1
	s_or_b32 exec_lo, exec_lo, s19
	v_lshlrev_b32_e32 v1, 8, v1
	v_lshl_add_u32 v57, v57, 10, 0x2000
	v_lshlrev_b32_e32 v55, 23, v55
	v_and_or_b32 v1, 0x8000, v1, v57
	v_lshl_or_b32 v55, v1, 16, v55
.LBB290_898:                            ;   in Loop: Header=BB290_538 Depth=1
	s_or_b32 exec_lo, exec_lo, s18
.LBB290_899:                            ;   in Loop: Header=BB290_538 Depth=1
	s_or_b32 exec_lo, exec_lo, s17
.LBB290_900:                            ;   in Loop: Header=BB290_538 Depth=1
	s_or_b32 exec_lo, exec_lo, s13
	v_mov_b32_e32 v1, v10
	v_cmp_ne_u16_sdwa s0, v10, v2 src0_sel:BYTE_0 src1_sel:DWORD
	v_mov_b32_e32 v57, 0
	v_mov_b32_e32 v58, 0
	s_and_saveexec_b32 s13, s0
	s_cbranch_execz .LBB290_908
; %bb.901:                              ;   in Loop: Header=BB290_538 Depth=1
	v_cmp_ne_u16_sdwa s0, v10, v26 src0_sel:BYTE_0 src1_sel:DWORD
	v_mov_b32_e32 v58, 0x8000
	s_and_saveexec_b32 s17, s0
	s_cbranch_execz .LBB290_907
; %bb.902:                              ;   in Loop: Header=BB290_538 Depth=1
	v_and_b32_e32 v60, 0x7f, v10
	v_mov_b32_e32 v58, 0x7c01
	s_mov_b32 s18, exec_lo
	v_cmpx_ne_u32_e32 0x7f, v60
	s_cbranch_execz .LBB290_906
; %bb.903:                              ;   in Loop: Header=BB290_538 Depth=1
	v_and_b32_e32 v58, 7, v10
	v_lshrrev_b32_e32 v59, 3, v60
	s_mov_b32 s19, exec_lo
	v_cmpx_gt_u32_e32 8, v60
; %bb.904:                              ;   in Loop: Header=BB290_538 Depth=1
	v_ffbh_u32_e32 v58, v58
	v_min_u32_e32 v60, 32, v58
	v_subrev_nc_u32_e32 v58, 28, v60
	v_lshlrev_b64 v[58:59], v58, v[1:2]
	v_sub_nc_u32_e32 v59, 29, v60
	v_and_b32_e32 v58, 7, v58
; %bb.905:                              ;   in Loop: Header=BB290_538 Depth=1
	s_or_b32 exec_lo, exec_lo, s19
	v_lshlrev_b32_e32 v60, 8, v10
	v_lshl_add_u32 v59, v59, 10, 0x2000
	v_lshlrev_b32_e32 v58, 7, v58
	v_and_b32_e32 v60, 0x8000, v60
	v_and_b32_e32 v59, 0xfc00, v59
	v_or3_b32 v58, v60, v59, v58
.LBB290_906:                            ;   in Loop: Header=BB290_538 Depth=1
	s_or_b32 exec_lo, exec_lo, s18
.LBB290_907:                            ;   in Loop: Header=BB290_538 Depth=1
	s_or_b32 exec_lo, exec_lo, s17
.LBB290_908:                            ;   in Loop: Header=BB290_538 Depth=1
	s_or_b32 exec_lo, exec_lo, s13
	v_lshrrev_b16 v1, 8, v1
	v_mov_b32_e32 v59, 0
	s_mov_b32 s13, exec_lo
	v_cmpx_ne_u16_e32 0, v1
	s_cbranch_execz .LBB290_916
; %bb.909:                              ;   in Loop: Header=BB290_538 Depth=1
	v_bfrev_b32_e32 v59, 1
	s_mov_b32 s17, exec_lo
	v_cmpx_ne_u16_e32 0x80, v1
	s_cbranch_execz .LBB290_915
; %bb.910:                              ;   in Loop: Header=BB290_538 Depth=1
	v_and_b32_sdwa v61, v1, v27 dst_sel:DWORD dst_unused:UNUSED_PAD src0_sel:WORD_0 src1_sel:DWORD
	v_mov_b32_e32 v59, 0x7c010000
	s_mov_b32 s18, exec_lo
	v_cmpx_ne_u32_e32 0x7f, v61
	s_cbranch_execz .LBB290_914
; %bb.911:                              ;   in Loop: Header=BB290_538 Depth=1
	v_and_b32_sdwa v59, v1, v28 dst_sel:DWORD dst_unused:UNUSED_PAD src0_sel:WORD_0 src1_sel:DWORD
	v_lshrrev_b32_e32 v60, 3, v61
	s_mov_b32 s19, exec_lo
	v_cmpx_gt_u32_e32 8, v61
; %bb.912:                              ;   in Loop: Header=BB290_538 Depth=1
	v_ffbh_u32_e32 v59, v59
	v_min_u32_e32 v61, 32, v59
	v_subrev_nc_u32_e32 v59, 28, v61
	v_lshlrev_b64 v[59:60], v59, v[1:2]
	v_sub_nc_u32_e32 v60, 29, v61
	v_and_b32_e32 v59, 7, v59
; %bb.913:                              ;   in Loop: Header=BB290_538 Depth=1
	s_or_b32 exec_lo, exec_lo, s19
	v_lshlrev_b32_sdwa v1, v29, v1 dst_sel:DWORD dst_unused:UNUSED_PAD src0_sel:DWORD src1_sel:WORD_0
	v_lshl_add_u32 v60, v60, 10, 0x2000
	v_lshlrev_b32_e32 v59, 23, v59
	v_and_or_b32 v1, 0x8000, v1, v60
	v_lshl_or_b32 v59, v1, 16, v59
.LBB290_914:                            ;   in Loop: Header=BB290_538 Depth=1
	s_or_b32 exec_lo, exec_lo, s18
.LBB290_915:                            ;   in Loop: Header=BB290_538 Depth=1
	s_or_b32 exec_lo, exec_lo, s17
.LBB290_916:                            ;   in Loop: Header=BB290_538 Depth=1
	s_or_b32 exec_lo, exec_lo, s13
	v_lshrrev_b32_e32 v1, 16, v10
	v_cmp_ne_u16_sdwa s0, v1, v2 src0_sel:BYTE_0 src1_sel:DWORD
	s_and_saveexec_b32 s13, s0
	s_cbranch_execz .LBB290_924
; %bb.917:                              ;   in Loop: Header=BB290_538 Depth=1
	v_cmp_ne_u16_sdwa s0, v1, v26 src0_sel:BYTE_0 src1_sel:DWORD
	v_mov_b32_e32 v57, 0x8000
	s_and_saveexec_b32 s17, s0
	s_cbranch_execz .LBB290_923
; %bb.918:                              ;   in Loop: Header=BB290_538 Depth=1
	v_bfe_u32 v61, v10, 16, 7
	v_mov_b32_e32 v57, 0x7c01
	s_mov_b32 s18, exec_lo
	v_cmpx_ne_u32_e32 0x7f, v61
	s_cbranch_execz .LBB290_922
; %bb.919:                              ;   in Loop: Header=BB290_538 Depth=1
	v_and_b32_e32 v57, 7, v1
	v_lshrrev_b32_e32 v60, 3, v61
	s_mov_b32 s19, exec_lo
	v_cmpx_gt_u32_e32 8, v61
; %bb.920:                              ;   in Loop: Header=BB290_538 Depth=1
	v_ffbh_u32_e32 v57, v57
	v_min_u32_e32 v57, 32, v57
	v_subrev_nc_u32_e32 v60, 28, v57
	v_lshlrev_b64 v[61:62], v60, v[1:2]
	v_sub_nc_u32_e32 v60, 29, v57
	v_and_b32_e32 v57, 7, v61
; %bb.921:                              ;   in Loop: Header=BB290_538 Depth=1
	s_or_b32 exec_lo, exec_lo, s19
	v_lshlrev_b32_e32 v1, 8, v1
	v_lshl_add_u32 v60, v60, 10, 0x2000
	v_lshlrev_b32_e32 v57, 7, v57
	v_and_b32_e32 v1, 0x8000, v1
	v_and_b32_e32 v60, 0xfc00, v60
	v_or3_b32 v57, v1, v60, v57
.LBB290_922:                            ;   in Loop: Header=BB290_538 Depth=1
	s_or_b32 exec_lo, exec_lo, s18
.LBB290_923:                            ;   in Loop: Header=BB290_538 Depth=1
	s_or_b32 exec_lo, exec_lo, s17
.LBB290_924:                            ;   in Loop: Header=BB290_538 Depth=1
	s_or_b32 exec_lo, exec_lo, s13
	v_cmp_lt_u64_e64 s0, s[2:3], v[9:10]
	v_mov_b32_e32 v9, 0
	s_and_saveexec_b32 s13, s0
	s_cbranch_execz .LBB290_932
; %bb.925:                              ;   in Loop: Header=BB290_538 Depth=1
	v_lshrrev_b32_e32 v1, 24, v10
	v_bfrev_b32_e32 v9, 1
	s_mov_b32 s17, exec_lo
	v_cmpx_ne_u32_e32 0x80, v1
	s_cbranch_execz .LBB290_931
; %bb.926:                              ;   in Loop: Header=BB290_538 Depth=1
	v_and_b32_e32 v60, 0x7f, v1
	v_mov_b32_e32 v9, 0x7c010000
	s_mov_b32 s18, exec_lo
	v_cmpx_ne_u32_e32 0x7f, v60
	s_cbranch_execz .LBB290_930
; %bb.927:                              ;   in Loop: Header=BB290_538 Depth=1
	v_and_b32_e32 v9, 7, v1
	v_lshrrev_b32_e32 v10, 3, v60
	s_mov_b32 s19, exec_lo
	v_cmpx_gt_u32_e32 8, v60
; %bb.928:                              ;   in Loop: Header=BB290_538 Depth=1
	v_ffbh_u32_e32 v9, v9
	v_min_u32_e32 v60, 32, v9
	v_subrev_nc_u32_e32 v9, 28, v60
	v_lshlrev_b64 v[9:10], v9, v[1:2]
	v_sub_nc_u32_e32 v10, 29, v60
	v_and_b32_e32 v9, 7, v9
; %bb.929:                              ;   in Loop: Header=BB290_538 Depth=1
	s_or_b32 exec_lo, exec_lo, s19
	v_lshlrev_b32_e32 v1, 8, v1
	v_lshl_add_u32 v10, v10, 10, 0x2000
	v_lshlrev_b32_e32 v9, 23, v9
	v_and_or_b32 v1, 0x8000, v1, v10
	v_lshl_or_b32 v9, v1, 16, v9
.LBB290_930:                            ;   in Loop: Header=BB290_538 Depth=1
	s_or_b32 exec_lo, exec_lo, s18
.LBB290_931:                            ;   in Loop: Header=BB290_538 Depth=1
	s_or_b32 exec_lo, exec_lo, s17
.LBB290_932:                            ;   in Loop: Header=BB290_538 Depth=1
	s_or_b32 exec_lo, exec_lo, s13
	v_or_b32_e32 v1, v55, v56
	s_waitcnt vmcnt(0)
	v_fma_mixlo_f16 v10, v52, v55, 0 op_sel:[0,1,0] op_sel_hi:[0,1,0]
	v_or_b32_e32 v55, v53, v54
	v_fma_mixlo_f16 v53, v52, v53, 0 op_sel:[0,1,0] op_sel_hi:[0,1,0]
	v_or_b32_e32 v56, v59, v58
	v_or_b32_e32 v57, v9, v57
	v_fma_mixlo_f16 v58, v52, v1, 0 op_sel_hi:[0,1,0]
	v_fma_mixlo_f16 v9, v52, v9, 0 op_sel:[0,1,0] op_sel_hi:[0,1,0]
	v_lshlrev_b32_e32 v54, 16, v53
	v_fma_mixlo_f16 v53, v52, v55, 0 op_sel_hi:[0,1,0]
	v_fma_mixlo_f16 v55, v52, v59, 0 op_sel:[0,1,0] op_sel_hi:[0,1,0]
	v_fma_mixlo_f16 v56, v52, v56, 0 op_sel_hi:[0,1,0]
	v_fma_mixlo_f16 v57, v52, v57, 0 op_sel_hi:[0,1,0]
	v_lshlrev_b32_e32 v1, 16, v10
	v_and_b32_e32 v10, 0xffff, v58
	v_and_b32_e32 v60, 0xffff, v53
	v_lshlrev_b32_e32 v52, 16, v55
	v_and_b32_e32 v56, 0xffff, v56
	v_lshlrev_b32_e32 v9, 16, v9
	v_and_b32_e32 v53, 0xffff, v57
	v_or_b32_e32 v55, v1, v10
	v_or_b32_e32 v59, v54, v60
	;; [unrolled: 1-line block ×4, first 2 shown]
	s_and_saveexec_b32 s13, vcc_lo
	s_cbranch_execz .LBB290_934
; %bb.933:                              ;   in Loop: Header=BB290_538 Depth=1
	v_cmp_gt_i32_e64 s0, s11, v31
	v_cndmask_b32_e64 v55, 0, v60, s0
	v_cmp_gt_i32_e64 s0, s11, v37
	v_cndmask_b32_e64 v54, 0, v54, s0
	v_cmp_gt_i32_e64 s0, s11, v36
	v_or_b32_e32 v59, v54, v55
	v_cndmask_b32_e64 v10, 0, v10, s0
	v_cmp_gt_i32_e64 s0, s11, v35
	v_cndmask_b32_e64 v1, 0, v1, s0
	v_cmp_gt_i32_e64 s0, s11, v34
	v_or_b32_e32 v55, v1, v10
	;; [unrolled: 5-line block ×3, first 2 shown]
	v_cndmask_b32_e64 v53, 0, v53, s0
	v_cmp_gt_i32_e64 s0, s11, v25
	v_cndmask_b32_e64 v9, 0, v9, s0
	v_or_b32_e32 v57, v9, v53
.LBB290_934:                            ;   in Loop: Header=BB290_538 Depth=1
	s_or_b32 exec_lo, exec_lo, s13
	;;#ASMSTART
	v_pk_mul_f16 v1, v42, v59;

	;;#ASMEND
	;;#ASMSTART
	v_pk_mul_f16 v9, v40, v55;

	;;#ASMEND
	;; [unrolled: 4-line block ×4, first 2 shown]
	;;#ASMSTART
	v_pk_add_f16 v1, v1, v9;

	;;#ASMEND
	;;#ASMSTART
	v_pk_add_f16 v1, v1, v10;

	;;#ASMEND
	;; [unrolled: 4-line block ×3, first 2 shown]
	v_and_b32_e32 v9, 0xffff, v1
	v_lshrrev_b32_e32 v1, 16, v1
	;;#ASMSTART
	v_cvt_f32_f16 v52, v9;
	;;#ASMEND
	;;#ASMSTART
	v_cvt_f32_f16 v53, v1;
	;;#ASMEND
	global_load_dwordx2 v[9:10], v[7:8], off offset:1536
	v_mov_b32_e32 v55, 0
	v_mov_b32_e32 v56, 0
	global_load_dword v54, v55, s[14:15]
	s_waitcnt vmcnt(1)
	v_cmp_ne_u16_sdwa s0, v9, v2 src0_sel:BYTE_0 src1_sel:DWORD
	s_and_saveexec_b32 s13, s0
	s_cbranch_execz .LBB290_942
; %bb.935:                              ;   in Loop: Header=BB290_538 Depth=1
	v_cmp_ne_u16_sdwa s0, v9, v26 src0_sel:BYTE_0 src1_sel:DWORD
	v_mov_b32_e32 v56, 0x8000
	s_and_saveexec_b32 s17, s0
	s_cbranch_execz .LBB290_941
; %bb.936:                              ;   in Loop: Header=BB290_538 Depth=1
	v_and_b32_e32 v57, 0x7f, v9
	v_mov_b32_e32 v56, 0x7c01
	s_mov_b32 s18, exec_lo
	v_cmpx_ne_u32_e32 0x7f, v57
	s_cbranch_execz .LBB290_940
; %bb.937:                              ;   in Loop: Header=BB290_538 Depth=1
	v_and_b32_e32 v1, 7, v9
	v_lshrrev_b32_e32 v56, 3, v57
	s_mov_b32 s19, exec_lo
	v_cmpx_gt_u32_e32 8, v57
; %bb.938:                              ;   in Loop: Header=BB290_538 Depth=1
	v_ffbh_u32_e32 v1, v1
	v_min_u32_e32 v1, 32, v1
	v_subrev_nc_u32_e32 v56, 28, v1
	v_lshlrev_b64 v[57:58], v56, v[9:10]
	v_sub_nc_u32_e32 v56, 29, v1
	v_and_b32_e32 v1, 7, v57
; %bb.939:                              ;   in Loop: Header=BB290_538 Depth=1
	s_or_b32 exec_lo, exec_lo, s19
	v_lshlrev_b32_e32 v57, 8, v9
	v_lshl_add_u32 v56, v56, 10, 0x2000
	v_lshlrev_b32_e32 v1, 7, v1
	v_and_b32_e32 v57, 0x8000, v57
	v_and_b32_e32 v56, 0xfc00, v56
	v_or3_b32 v56, v57, v56, v1
.LBB290_940:                            ;   in Loop: Header=BB290_538 Depth=1
	s_or_b32 exec_lo, exec_lo, s18
.LBB290_941:                            ;   in Loop: Header=BB290_538 Depth=1
	s_or_b32 exec_lo, exec_lo, s17
.LBB290_942:                            ;   in Loop: Header=BB290_538 Depth=1
	s_or_b32 exec_lo, exec_lo, s13
	v_lshrrev_b16 v1, 8, v9
	s_mov_b32 s13, exec_lo
	v_cmpx_ne_u16_e32 0, v1
	s_cbranch_execz .LBB290_950
; %bb.943:                              ;   in Loop: Header=BB290_538 Depth=1
	v_bfrev_b32_e32 v55, 1
	s_mov_b32 s17, exec_lo
	v_cmpx_ne_u16_e32 0x80, v1
	s_cbranch_execz .LBB290_949
; %bb.944:                              ;   in Loop: Header=BB290_538 Depth=1
	v_and_b32_sdwa v58, v1, v27 dst_sel:DWORD dst_unused:UNUSED_PAD src0_sel:WORD_0 src1_sel:DWORD
	v_mov_b32_e32 v55, 0x7c010000
	s_mov_b32 s18, exec_lo
	v_cmpx_ne_u32_e32 0x7f, v58
	s_cbranch_execz .LBB290_948
; %bb.945:                              ;   in Loop: Header=BB290_538 Depth=1
	v_and_b32_sdwa v55, v1, v28 dst_sel:DWORD dst_unused:UNUSED_PAD src0_sel:WORD_0 src1_sel:DWORD
	v_lshrrev_b32_e32 v57, 3, v58
	s_mov_b32 s19, exec_lo
	v_cmpx_gt_u32_e32 8, v58
; %bb.946:                              ;   in Loop: Header=BB290_538 Depth=1
	v_ffbh_u32_e32 v55, v55
	v_min_u32_e32 v55, 32, v55
	v_subrev_nc_u32_e32 v57, 28, v55
	v_lshlrev_b64 v[58:59], v57, v[1:2]
	v_sub_nc_u32_e32 v57, 29, v55
	v_and_b32_e32 v55, 7, v58
; %bb.947:                              ;   in Loop: Header=BB290_538 Depth=1
	s_or_b32 exec_lo, exec_lo, s19
	v_lshlrev_b32_sdwa v1, v29, v1 dst_sel:DWORD dst_unused:UNUSED_PAD src0_sel:DWORD src1_sel:WORD_0
	v_lshl_add_u32 v57, v57, 10, 0x2000
	v_lshlrev_b32_e32 v55, 23, v55
	v_and_or_b32 v1, 0x8000, v1, v57
	v_lshl_or_b32 v55, v1, 16, v55
.LBB290_948:                            ;   in Loop: Header=BB290_538 Depth=1
	s_or_b32 exec_lo, exec_lo, s18
.LBB290_949:                            ;   in Loop: Header=BB290_538 Depth=1
	s_or_b32 exec_lo, exec_lo, s17
.LBB290_950:                            ;   in Loop: Header=BB290_538 Depth=1
	s_or_b32 exec_lo, exec_lo, s13
	v_lshrrev_b32_e32 v1, 16, v9
	v_mov_b32_e32 v57, 0
	v_mov_b32_e32 v58, 0
	v_cmp_ne_u16_sdwa s0, v1, v2 src0_sel:BYTE_0 src1_sel:DWORD
	s_and_saveexec_b32 s13, s0
	s_cbranch_execz .LBB290_958
; %bb.951:                              ;   in Loop: Header=BB290_538 Depth=1
	v_cmp_ne_u16_sdwa s0, v1, v26 src0_sel:BYTE_0 src1_sel:DWORD
	v_mov_b32_e32 v58, 0x8000
	s_and_saveexec_b32 s17, s0
	s_cbranch_execz .LBB290_957
; %bb.952:                              ;   in Loop: Header=BB290_538 Depth=1
	v_bfe_u32 v60, v9, 16, 7
	v_mov_b32_e32 v58, 0x7c01
	s_mov_b32 s18, exec_lo
	v_cmpx_ne_u32_e32 0x7f, v60
	s_cbranch_execz .LBB290_956
; %bb.953:                              ;   in Loop: Header=BB290_538 Depth=1
	v_and_b32_e32 v58, 7, v1
	v_lshrrev_b32_e32 v59, 3, v60
	s_mov_b32 s19, exec_lo
	v_cmpx_gt_u32_e32 8, v60
; %bb.954:                              ;   in Loop: Header=BB290_538 Depth=1
	v_ffbh_u32_e32 v58, v58
	v_min_u32_e32 v60, 32, v58
	v_subrev_nc_u32_e32 v58, 28, v60
	v_lshlrev_b64 v[58:59], v58, v[1:2]
	v_sub_nc_u32_e32 v59, 29, v60
	v_and_b32_e32 v58, 7, v58
; %bb.955:                              ;   in Loop: Header=BB290_538 Depth=1
	s_or_b32 exec_lo, exec_lo, s19
	v_lshlrev_b32_e32 v1, 8, v1
	v_lshl_add_u32 v59, v59, 10, 0x2000
	v_lshlrev_b32_e32 v58, 7, v58
	v_and_b32_e32 v1, 0x8000, v1
	v_and_b32_e32 v59, 0xfc00, v59
	v_or3_b32 v58, v1, v59, v58
.LBB290_956:                            ;   in Loop: Header=BB290_538 Depth=1
	s_or_b32 exec_lo, exec_lo, s18
.LBB290_957:                            ;   in Loop: Header=BB290_538 Depth=1
	s_or_b32 exec_lo, exec_lo, s17
.LBB290_958:                            ;   in Loop: Header=BB290_538 Depth=1
	s_or_b32 exec_lo, exec_lo, s13
	s_mov_b32 s13, exec_lo
	v_cmpx_lt_u32_e32 0xffffff, v9
	s_cbranch_execz .LBB290_966
; %bb.959:                              ;   in Loop: Header=BB290_538 Depth=1
	v_lshrrev_b32_e32 v1, 24, v9
	v_bfrev_b32_e32 v57, 1
	s_mov_b32 s17, exec_lo
	v_cmpx_ne_u32_e32 0x80, v1
	s_cbranch_execz .LBB290_965
; %bb.960:                              ;   in Loop: Header=BB290_538 Depth=1
	v_and_b32_e32 v60, 0x7f, v1
	v_mov_b32_e32 v57, 0x7c010000
	s_mov_b32 s18, exec_lo
	v_cmpx_ne_u32_e32 0x7f, v60
	s_cbranch_execz .LBB290_964
; %bb.961:                              ;   in Loop: Header=BB290_538 Depth=1
	v_and_b32_e32 v57, 7, v1
	v_lshrrev_b32_e32 v59, 3, v60
	s_mov_b32 s19, exec_lo
	v_cmpx_gt_u32_e32 8, v60
; %bb.962:                              ;   in Loop: Header=BB290_538 Depth=1
	v_ffbh_u32_e32 v57, v57
	v_min_u32_e32 v57, 32, v57
	v_subrev_nc_u32_e32 v59, 28, v57
	v_lshlrev_b64 v[60:61], v59, v[1:2]
	v_sub_nc_u32_e32 v59, 29, v57
	v_and_b32_e32 v57, 7, v60
; %bb.963:                              ;   in Loop: Header=BB290_538 Depth=1
	s_or_b32 exec_lo, exec_lo, s19
	v_lshlrev_b32_e32 v1, 8, v1
	v_lshl_add_u32 v59, v59, 10, 0x2000
	v_lshlrev_b32_e32 v57, 23, v57
	v_and_or_b32 v1, 0x8000, v1, v59
	v_lshl_or_b32 v57, v1, 16, v57
.LBB290_964:                            ;   in Loop: Header=BB290_538 Depth=1
	s_or_b32 exec_lo, exec_lo, s18
.LBB290_965:                            ;   in Loop: Header=BB290_538 Depth=1
	s_or_b32 exec_lo, exec_lo, s17
.LBB290_966:                            ;   in Loop: Header=BB290_538 Depth=1
	s_or_b32 exec_lo, exec_lo, s13
	v_mov_b32_e32 v1, v10
	v_cmp_ne_u16_sdwa s0, v10, v2 src0_sel:BYTE_0 src1_sel:DWORD
	v_mov_b32_e32 v59, 0
	v_mov_b32_e32 v60, 0
	s_and_saveexec_b32 s13, s0
	s_cbranch_execz .LBB290_974
; %bb.967:                              ;   in Loop: Header=BB290_538 Depth=1
	v_cmp_ne_u16_sdwa s0, v10, v26 src0_sel:BYTE_0 src1_sel:DWORD
	v_mov_b32_e32 v60, 0x8000
	s_and_saveexec_b32 s17, s0
	s_cbranch_execz .LBB290_973
; %bb.968:                              ;   in Loop: Header=BB290_538 Depth=1
	v_and_b32_e32 v62, 0x7f, v10
	v_mov_b32_e32 v60, 0x7c01
	s_mov_b32 s18, exec_lo
	v_cmpx_ne_u32_e32 0x7f, v62
	s_cbranch_execz .LBB290_972
; %bb.969:                              ;   in Loop: Header=BB290_538 Depth=1
	v_and_b32_e32 v60, 7, v10
	v_lshrrev_b32_e32 v61, 3, v62
	s_mov_b32 s19, exec_lo
	v_cmpx_gt_u32_e32 8, v62
; %bb.970:                              ;   in Loop: Header=BB290_538 Depth=1
	v_ffbh_u32_e32 v60, v60
	v_min_u32_e32 v62, 32, v60
	v_subrev_nc_u32_e32 v60, 28, v62
	v_lshlrev_b64 v[60:61], v60, v[1:2]
	v_sub_nc_u32_e32 v61, 29, v62
	v_and_b32_e32 v60, 7, v60
; %bb.971:                              ;   in Loop: Header=BB290_538 Depth=1
	s_or_b32 exec_lo, exec_lo, s19
	v_lshlrev_b32_e32 v62, 8, v10
	v_lshl_add_u32 v61, v61, 10, 0x2000
	v_lshlrev_b32_e32 v60, 7, v60
	v_and_b32_e32 v62, 0x8000, v62
	v_and_b32_e32 v61, 0xfc00, v61
	v_or3_b32 v60, v62, v61, v60
.LBB290_972:                            ;   in Loop: Header=BB290_538 Depth=1
	s_or_b32 exec_lo, exec_lo, s18
.LBB290_973:                            ;   in Loop: Header=BB290_538 Depth=1
	s_or_b32 exec_lo, exec_lo, s17
.LBB290_974:                            ;   in Loop: Header=BB290_538 Depth=1
	s_or_b32 exec_lo, exec_lo, s13
	v_lshrrev_b16 v1, 8, v1
	v_mov_b32_e32 v61, 0
	s_mov_b32 s13, exec_lo
	v_cmpx_ne_u16_e32 0, v1
	s_cbranch_execz .LBB290_982
; %bb.975:                              ;   in Loop: Header=BB290_538 Depth=1
	v_bfrev_b32_e32 v61, 1
	s_mov_b32 s17, exec_lo
	v_cmpx_ne_u16_e32 0x80, v1
	s_cbranch_execz .LBB290_981
; %bb.976:                              ;   in Loop: Header=BB290_538 Depth=1
	v_and_b32_sdwa v63, v1, v27 dst_sel:DWORD dst_unused:UNUSED_PAD src0_sel:WORD_0 src1_sel:DWORD
	v_mov_b32_e32 v61, 0x7c010000
	s_mov_b32 s18, exec_lo
	v_cmpx_ne_u32_e32 0x7f, v63
	s_cbranch_execz .LBB290_980
; %bb.977:                              ;   in Loop: Header=BB290_538 Depth=1
	v_and_b32_sdwa v61, v1, v28 dst_sel:DWORD dst_unused:UNUSED_PAD src0_sel:WORD_0 src1_sel:DWORD
	v_lshrrev_b32_e32 v62, 3, v63
	s_mov_b32 s19, exec_lo
	v_cmpx_gt_u32_e32 8, v63
; %bb.978:                              ;   in Loop: Header=BB290_538 Depth=1
	v_ffbh_u32_e32 v61, v61
	v_min_u32_e32 v63, 32, v61
	v_subrev_nc_u32_e32 v61, 28, v63
	v_lshlrev_b64 v[61:62], v61, v[1:2]
	v_sub_nc_u32_e32 v62, 29, v63
	v_and_b32_e32 v61, 7, v61
; %bb.979:                              ;   in Loop: Header=BB290_538 Depth=1
	s_or_b32 exec_lo, exec_lo, s19
	v_lshlrev_b32_sdwa v1, v29, v1 dst_sel:DWORD dst_unused:UNUSED_PAD src0_sel:DWORD src1_sel:WORD_0
	v_lshl_add_u32 v62, v62, 10, 0x2000
	v_lshlrev_b32_e32 v61, 23, v61
	v_and_or_b32 v1, 0x8000, v1, v62
	v_lshl_or_b32 v61, v1, 16, v61
.LBB290_980:                            ;   in Loop: Header=BB290_538 Depth=1
	s_or_b32 exec_lo, exec_lo, s18
.LBB290_981:                            ;   in Loop: Header=BB290_538 Depth=1
	s_or_b32 exec_lo, exec_lo, s17
.LBB290_982:                            ;   in Loop: Header=BB290_538 Depth=1
	s_or_b32 exec_lo, exec_lo, s13
	v_lshrrev_b32_e32 v1, 16, v10
	v_cmp_ne_u16_sdwa s0, v1, v2 src0_sel:BYTE_0 src1_sel:DWORD
	s_and_saveexec_b32 s13, s0
	s_cbranch_execz .LBB290_990
; %bb.983:                              ;   in Loop: Header=BB290_538 Depth=1
	v_cmp_ne_u16_sdwa s0, v1, v26 src0_sel:BYTE_0 src1_sel:DWORD
	v_mov_b32_e32 v59, 0x8000
	s_and_saveexec_b32 s17, s0
	s_cbranch_execz .LBB290_989
; %bb.984:                              ;   in Loop: Header=BB290_538 Depth=1
	v_bfe_u32 v63, v10, 16, 7
	v_mov_b32_e32 v59, 0x7c01
	s_mov_b32 s18, exec_lo
	v_cmpx_ne_u32_e32 0x7f, v63
	s_cbranch_execz .LBB290_988
; %bb.985:                              ;   in Loop: Header=BB290_538 Depth=1
	v_and_b32_e32 v59, 7, v1
	v_lshrrev_b32_e32 v62, 3, v63
	s_mov_b32 s19, exec_lo
	v_cmpx_gt_u32_e32 8, v63
; %bb.986:                              ;   in Loop: Header=BB290_538 Depth=1
	v_ffbh_u32_e32 v59, v59
	v_min_u32_e32 v59, 32, v59
	v_subrev_nc_u32_e32 v62, 28, v59
	v_lshlrev_b64 v[63:64], v62, v[1:2]
	v_sub_nc_u32_e32 v62, 29, v59
	v_and_b32_e32 v59, 7, v63
; %bb.987:                              ;   in Loop: Header=BB290_538 Depth=1
	s_or_b32 exec_lo, exec_lo, s19
	v_lshlrev_b32_e32 v1, 8, v1
	v_lshl_add_u32 v62, v62, 10, 0x2000
	v_lshlrev_b32_e32 v59, 7, v59
	v_and_b32_e32 v1, 0x8000, v1
	v_and_b32_e32 v62, 0xfc00, v62
	v_or3_b32 v59, v1, v62, v59
.LBB290_988:                            ;   in Loop: Header=BB290_538 Depth=1
	s_or_b32 exec_lo, exec_lo, s18
.LBB290_989:                            ;   in Loop: Header=BB290_538 Depth=1
	s_or_b32 exec_lo, exec_lo, s17
.LBB290_990:                            ;   in Loop: Header=BB290_538 Depth=1
	s_or_b32 exec_lo, exec_lo, s13
	v_cmp_lt_u64_e64 s0, s[2:3], v[9:10]
	v_mov_b32_e32 v9, 0
	s_and_saveexec_b32 s13, s0
	s_cbranch_execz .LBB290_998
; %bb.991:                              ;   in Loop: Header=BB290_538 Depth=1
	v_lshrrev_b32_e32 v1, 24, v10
	v_bfrev_b32_e32 v9, 1
	s_mov_b32 s17, exec_lo
	v_cmpx_ne_u32_e32 0x80, v1
	s_cbranch_execz .LBB290_997
; %bb.992:                              ;   in Loop: Header=BB290_538 Depth=1
	v_and_b32_e32 v62, 0x7f, v1
	v_mov_b32_e32 v9, 0x7c010000
	s_mov_b32 s18, exec_lo
	v_cmpx_ne_u32_e32 0x7f, v62
	s_cbranch_execz .LBB290_996
; %bb.993:                              ;   in Loop: Header=BB290_538 Depth=1
	v_and_b32_e32 v9, 7, v1
	v_lshrrev_b32_e32 v10, 3, v62
	s_mov_b32 s19, exec_lo
	v_cmpx_gt_u32_e32 8, v62
; %bb.994:                              ;   in Loop: Header=BB290_538 Depth=1
	v_ffbh_u32_e32 v9, v9
	v_min_u32_e32 v62, 32, v9
	v_subrev_nc_u32_e32 v9, 28, v62
	v_lshlrev_b64 v[9:10], v9, v[1:2]
	v_sub_nc_u32_e32 v10, 29, v62
	v_and_b32_e32 v9, 7, v9
; %bb.995:                              ;   in Loop: Header=BB290_538 Depth=1
	s_or_b32 exec_lo, exec_lo, s19
	v_lshlrev_b32_e32 v1, 8, v1
	v_lshl_add_u32 v10, v10, 10, 0x2000
	v_lshlrev_b32_e32 v9, 23, v9
	v_and_or_b32 v1, 0x8000, v1, v10
	v_lshl_or_b32 v9, v1, 16, v9
.LBB290_996:                            ;   in Loop: Header=BB290_538 Depth=1
	s_or_b32 exec_lo, exec_lo, s18
.LBB290_997:                            ;   in Loop: Header=BB290_538 Depth=1
	s_or_b32 exec_lo, exec_lo, s17
.LBB290_998:                            ;   in Loop: Header=BB290_538 Depth=1
	s_or_b32 exec_lo, exec_lo, s13
	v_or_b32_e32 v1, v57, v58
	s_waitcnt vmcnt(0)
	v_fma_mixlo_f16 v10, v54, v57, 0 op_sel:[0,1,0] op_sel_hi:[0,1,0]
	v_or_b32_e32 v57, v55, v56
	v_fma_mixlo_f16 v55, v54, v55, 0 op_sel:[0,1,0] op_sel_hi:[0,1,0]
	v_or_b32_e32 v58, v61, v60
	v_or_b32_e32 v59, v9, v59
	v_fma_mixlo_f16 v60, v54, v1, 0 op_sel_hi:[0,1,0]
	v_fma_mixlo_f16 v9, v54, v9, 0 op_sel:[0,1,0] op_sel_hi:[0,1,0]
	v_lshlrev_b32_e32 v56, 16, v55
	v_fma_mixlo_f16 v55, v54, v57, 0 op_sel_hi:[0,1,0]
	v_fma_mixlo_f16 v57, v54, v61, 0 op_sel:[0,1,0] op_sel_hi:[0,1,0]
	v_fma_mixlo_f16 v58, v54, v58, 0 op_sel_hi:[0,1,0]
	v_fma_mixlo_f16 v59, v54, v59, 0 op_sel_hi:[0,1,0]
	v_lshlrev_b32_e32 v1, 16, v10
	v_and_b32_e32 v10, 0xffff, v60
	v_and_b32_e32 v62, 0xffff, v55
	v_lshlrev_b32_e32 v54, 16, v57
	v_and_b32_e32 v58, 0xffff, v58
	v_lshlrev_b32_e32 v9, 16, v9
	v_and_b32_e32 v55, 0xffff, v59
	v_or_b32_e32 v57, v1, v10
	v_or_b32_e32 v61, v56, v62
	;; [unrolled: 1-line block ×4, first 2 shown]
	s_and_saveexec_b32 s13, vcc_lo
	s_cbranch_execz .LBB290_1000
; %bb.999:                              ;   in Loop: Header=BB290_538 Depth=1
	v_cmp_gt_i32_e64 s0, s11, v31
	v_cndmask_b32_e64 v57, 0, v62, s0
	v_cmp_gt_i32_e64 s0, s11, v37
	v_cndmask_b32_e64 v56, 0, v56, s0
	v_cmp_gt_i32_e64 s0, s11, v36
	v_or_b32_e32 v61, v56, v57
	v_cndmask_b32_e64 v10, 0, v10, s0
	v_cmp_gt_i32_e64 s0, s11, v35
	v_cndmask_b32_e64 v1, 0, v1, s0
	v_cmp_gt_i32_e64 s0, s11, v34
	v_or_b32_e32 v57, v1, v10
	;; [unrolled: 5-line block ×3, first 2 shown]
	v_cndmask_b32_e64 v55, 0, v55, s0
	v_cmp_gt_i32_e64 s0, s11, v25
	v_cndmask_b32_e64 v9, 0, v9, s0
	v_or_b32_e32 v59, v9, v55
.LBB290_1000:                           ;   in Loop: Header=BB290_538 Depth=1
	s_or_b32 exec_lo, exec_lo, s13
	;;#ASMSTART
	v_pk_mul_f16 v1, v42, v61;

	;;#ASMEND
	;;#ASMSTART
	v_pk_mul_f16 v9, v40, v57;

	;;#ASMEND
	;;#ASMSTART
	v_pk_mul_f16 v10, v39, v60;

	;;#ASMEND
	;;#ASMSTART
	v_pk_mul_f16 v54, v38, v59;

	;;#ASMEND
	;;#ASMSTART
	v_pk_add_f16 v1, v1, v9;

	;;#ASMEND
	;;#ASMSTART
	v_pk_add_f16 v1, v1, v10;

	;;#ASMEND
	;; [unrolled: 4-line block ×3, first 2 shown]
	v_and_b32_e32 v9, 0xffff, v1
	v_lshrrev_b32_e32 v1, 16, v1
	;;#ASMSTART
	v_cvt_f32_f16 v9, v9;
	;;#ASMEND
	;;#ASMSTART
	v_cvt_f32_f16 v10, v1;
	;;#ASMEND
	global_load_dwordx2 v[7:8], v[7:8], off offset:1792
	v_mov_b32_e32 v55, 0
	v_mov_b32_e32 v56, 0
	global_load_dword v54, v55, s[14:15]
	s_waitcnt vmcnt(1)
	v_cmp_ne_u16_sdwa s0, v7, v2 src0_sel:BYTE_0 src1_sel:DWORD
	s_and_saveexec_b32 s13, s0
	s_cbranch_execz .LBB290_1008
; %bb.1001:                             ;   in Loop: Header=BB290_538 Depth=1
	v_cmp_ne_u16_sdwa s0, v7, v26 src0_sel:BYTE_0 src1_sel:DWORD
	v_mov_b32_e32 v56, 0x8000
	s_and_saveexec_b32 s17, s0
	s_cbranch_execz .LBB290_1007
; %bb.1002:                             ;   in Loop: Header=BB290_538 Depth=1
	v_and_b32_e32 v57, 0x7f, v7
	v_mov_b32_e32 v56, 0x7c01
	s_mov_b32 s18, exec_lo
	v_cmpx_ne_u32_e32 0x7f, v57
	s_cbranch_execz .LBB290_1006
; %bb.1003:                             ;   in Loop: Header=BB290_538 Depth=1
	v_and_b32_e32 v1, 7, v7
	v_lshrrev_b32_e32 v56, 3, v57
	s_mov_b32 s19, exec_lo
	v_cmpx_gt_u32_e32 8, v57
; %bb.1004:                             ;   in Loop: Header=BB290_538 Depth=1
	v_ffbh_u32_e32 v1, v1
	v_min_u32_e32 v1, 32, v1
	v_subrev_nc_u32_e32 v56, 28, v1
	v_lshlrev_b64 v[57:58], v56, v[7:8]
	v_sub_nc_u32_e32 v56, 29, v1
	v_and_b32_e32 v1, 7, v57
; %bb.1005:                             ;   in Loop: Header=BB290_538 Depth=1
	s_or_b32 exec_lo, exec_lo, s19
	v_lshlrev_b32_e32 v57, 8, v7
	v_lshl_add_u32 v56, v56, 10, 0x2000
	v_lshlrev_b32_e32 v1, 7, v1
	v_and_b32_e32 v57, 0x8000, v57
	v_and_b32_e32 v56, 0xfc00, v56
	v_or3_b32 v56, v57, v56, v1
.LBB290_1006:                           ;   in Loop: Header=BB290_538 Depth=1
	s_or_b32 exec_lo, exec_lo, s18
.LBB290_1007:                           ;   in Loop: Header=BB290_538 Depth=1
	s_or_b32 exec_lo, exec_lo, s17
.LBB290_1008:                           ;   in Loop: Header=BB290_538 Depth=1
	s_or_b32 exec_lo, exec_lo, s13
	v_lshrrev_b16 v1, 8, v7
	s_mov_b32 s13, exec_lo
	v_cmpx_ne_u16_e32 0, v1
	s_cbranch_execz .LBB290_1016
; %bb.1009:                             ;   in Loop: Header=BB290_538 Depth=1
	v_bfrev_b32_e32 v55, 1
	s_mov_b32 s17, exec_lo
	v_cmpx_ne_u16_e32 0x80, v1
	s_cbranch_execz .LBB290_1015
; %bb.1010:                             ;   in Loop: Header=BB290_538 Depth=1
	v_and_b32_sdwa v58, v1, v27 dst_sel:DWORD dst_unused:UNUSED_PAD src0_sel:WORD_0 src1_sel:DWORD
	v_mov_b32_e32 v55, 0x7c010000
	s_mov_b32 s18, exec_lo
	v_cmpx_ne_u32_e32 0x7f, v58
	s_cbranch_execz .LBB290_1014
; %bb.1011:                             ;   in Loop: Header=BB290_538 Depth=1
	v_and_b32_sdwa v55, v1, v28 dst_sel:DWORD dst_unused:UNUSED_PAD src0_sel:WORD_0 src1_sel:DWORD
	v_lshrrev_b32_e32 v57, 3, v58
	s_mov_b32 s19, exec_lo
	v_cmpx_gt_u32_e32 8, v58
; %bb.1012:                             ;   in Loop: Header=BB290_538 Depth=1
	v_ffbh_u32_e32 v55, v55
	v_min_u32_e32 v55, 32, v55
	v_subrev_nc_u32_e32 v57, 28, v55
	v_lshlrev_b64 v[58:59], v57, v[1:2]
	v_sub_nc_u32_e32 v57, 29, v55
	v_and_b32_e32 v55, 7, v58
; %bb.1013:                             ;   in Loop: Header=BB290_538 Depth=1
	s_or_b32 exec_lo, exec_lo, s19
	v_lshlrev_b32_sdwa v1, v29, v1 dst_sel:DWORD dst_unused:UNUSED_PAD src0_sel:DWORD src1_sel:WORD_0
	v_lshl_add_u32 v57, v57, 10, 0x2000
	v_lshlrev_b32_e32 v55, 23, v55
	v_and_or_b32 v1, 0x8000, v1, v57
	v_lshl_or_b32 v55, v1, 16, v55
.LBB290_1014:                           ;   in Loop: Header=BB290_538 Depth=1
	s_or_b32 exec_lo, exec_lo, s18
.LBB290_1015:                           ;   in Loop: Header=BB290_538 Depth=1
	s_or_b32 exec_lo, exec_lo, s17
.LBB290_1016:                           ;   in Loop: Header=BB290_538 Depth=1
	s_or_b32 exec_lo, exec_lo, s13
	v_lshrrev_b32_e32 v1, 16, v7
	v_mov_b32_e32 v57, 0
	v_mov_b32_e32 v58, 0
	v_cmp_ne_u16_sdwa s0, v1, v2 src0_sel:BYTE_0 src1_sel:DWORD
	s_and_saveexec_b32 s13, s0
	s_cbranch_execz .LBB290_1024
; %bb.1017:                             ;   in Loop: Header=BB290_538 Depth=1
	v_cmp_ne_u16_sdwa s0, v1, v26 src0_sel:BYTE_0 src1_sel:DWORD
	v_mov_b32_e32 v58, 0x8000
	s_and_saveexec_b32 s17, s0
	s_cbranch_execz .LBB290_1023
; %bb.1018:                             ;   in Loop: Header=BB290_538 Depth=1
	v_bfe_u32 v60, v7, 16, 7
	v_mov_b32_e32 v58, 0x7c01
	s_mov_b32 s18, exec_lo
	v_cmpx_ne_u32_e32 0x7f, v60
	s_cbranch_execz .LBB290_1022
; %bb.1019:                             ;   in Loop: Header=BB290_538 Depth=1
	v_and_b32_e32 v58, 7, v1
	v_lshrrev_b32_e32 v59, 3, v60
	s_mov_b32 s19, exec_lo
	v_cmpx_gt_u32_e32 8, v60
; %bb.1020:                             ;   in Loop: Header=BB290_538 Depth=1
	v_ffbh_u32_e32 v58, v58
	v_min_u32_e32 v60, 32, v58
	v_subrev_nc_u32_e32 v58, 28, v60
	v_lshlrev_b64 v[58:59], v58, v[1:2]
	v_sub_nc_u32_e32 v59, 29, v60
	v_and_b32_e32 v58, 7, v58
; %bb.1021:                             ;   in Loop: Header=BB290_538 Depth=1
	s_or_b32 exec_lo, exec_lo, s19
	v_lshlrev_b32_e32 v1, 8, v1
	v_lshl_add_u32 v59, v59, 10, 0x2000
	v_lshlrev_b32_e32 v58, 7, v58
	v_and_b32_e32 v1, 0x8000, v1
	v_and_b32_e32 v59, 0xfc00, v59
	v_or3_b32 v58, v1, v59, v58
.LBB290_1022:                           ;   in Loop: Header=BB290_538 Depth=1
	s_or_b32 exec_lo, exec_lo, s18
.LBB290_1023:                           ;   in Loop: Header=BB290_538 Depth=1
	s_or_b32 exec_lo, exec_lo, s17
.LBB290_1024:                           ;   in Loop: Header=BB290_538 Depth=1
	s_or_b32 exec_lo, exec_lo, s13
	s_mov_b32 s13, exec_lo
	v_cmpx_lt_u32_e32 0xffffff, v7
	s_cbranch_execz .LBB290_1032
; %bb.1025:                             ;   in Loop: Header=BB290_538 Depth=1
	v_lshrrev_b32_e32 v1, 24, v7
	v_bfrev_b32_e32 v57, 1
	s_mov_b32 s17, exec_lo
	v_cmpx_ne_u32_e32 0x80, v1
	s_cbranch_execz .LBB290_1031
; %bb.1026:                             ;   in Loop: Header=BB290_538 Depth=1
	v_and_b32_e32 v60, 0x7f, v1
	v_mov_b32_e32 v57, 0x7c010000
	s_mov_b32 s18, exec_lo
	v_cmpx_ne_u32_e32 0x7f, v60
	s_cbranch_execz .LBB290_1030
; %bb.1027:                             ;   in Loop: Header=BB290_538 Depth=1
	v_and_b32_e32 v57, 7, v1
	v_lshrrev_b32_e32 v59, 3, v60
	s_mov_b32 s19, exec_lo
	v_cmpx_gt_u32_e32 8, v60
; %bb.1028:                             ;   in Loop: Header=BB290_538 Depth=1
	v_ffbh_u32_e32 v57, v57
	v_min_u32_e32 v57, 32, v57
	v_subrev_nc_u32_e32 v59, 28, v57
	v_lshlrev_b64 v[60:61], v59, v[1:2]
	v_sub_nc_u32_e32 v59, 29, v57
	v_and_b32_e32 v57, 7, v60
; %bb.1029:                             ;   in Loop: Header=BB290_538 Depth=1
	s_or_b32 exec_lo, exec_lo, s19
	v_lshlrev_b32_e32 v1, 8, v1
	v_lshl_add_u32 v59, v59, 10, 0x2000
	v_lshlrev_b32_e32 v57, 23, v57
	v_and_or_b32 v1, 0x8000, v1, v59
	v_lshl_or_b32 v57, v1, 16, v57
.LBB290_1030:                           ;   in Loop: Header=BB290_538 Depth=1
	s_or_b32 exec_lo, exec_lo, s18
.LBB290_1031:                           ;   in Loop: Header=BB290_538 Depth=1
	s_or_b32 exec_lo, exec_lo, s17
.LBB290_1032:                           ;   in Loop: Header=BB290_538 Depth=1
	s_or_b32 exec_lo, exec_lo, s13
	v_mov_b32_e32 v1, v8
	v_cmp_ne_u16_sdwa s0, v8, v2 src0_sel:BYTE_0 src1_sel:DWORD
	v_mov_b32_e32 v59, 0
	v_mov_b32_e32 v60, 0
	s_and_saveexec_b32 s13, s0
	s_cbranch_execz .LBB290_1040
; %bb.1033:                             ;   in Loop: Header=BB290_538 Depth=1
	v_cmp_ne_u16_sdwa s0, v8, v26 src0_sel:BYTE_0 src1_sel:DWORD
	v_mov_b32_e32 v60, 0x8000
	s_and_saveexec_b32 s17, s0
	s_cbranch_execz .LBB290_1039
; %bb.1034:                             ;   in Loop: Header=BB290_538 Depth=1
	v_and_b32_e32 v62, 0x7f, v8
	v_mov_b32_e32 v60, 0x7c01
	s_mov_b32 s18, exec_lo
	v_cmpx_ne_u32_e32 0x7f, v62
	s_cbranch_execz .LBB290_1038
; %bb.1035:                             ;   in Loop: Header=BB290_538 Depth=1
	v_and_b32_e32 v60, 7, v8
	v_lshrrev_b32_e32 v61, 3, v62
	s_mov_b32 s19, exec_lo
	v_cmpx_gt_u32_e32 8, v62
; %bb.1036:                             ;   in Loop: Header=BB290_538 Depth=1
	v_ffbh_u32_e32 v60, v60
	v_min_u32_e32 v62, 32, v60
	v_subrev_nc_u32_e32 v60, 28, v62
	v_lshlrev_b64 v[60:61], v60, v[1:2]
	v_sub_nc_u32_e32 v61, 29, v62
	v_and_b32_e32 v60, 7, v60
; %bb.1037:                             ;   in Loop: Header=BB290_538 Depth=1
	s_or_b32 exec_lo, exec_lo, s19
	v_lshlrev_b32_e32 v62, 8, v8
	v_lshl_add_u32 v61, v61, 10, 0x2000
	v_lshlrev_b32_e32 v60, 7, v60
	v_and_b32_e32 v62, 0x8000, v62
	v_and_b32_e32 v61, 0xfc00, v61
	v_or3_b32 v60, v62, v61, v60
.LBB290_1038:                           ;   in Loop: Header=BB290_538 Depth=1
	s_or_b32 exec_lo, exec_lo, s18
.LBB290_1039:                           ;   in Loop: Header=BB290_538 Depth=1
	s_or_b32 exec_lo, exec_lo, s17
.LBB290_1040:                           ;   in Loop: Header=BB290_538 Depth=1
	s_or_b32 exec_lo, exec_lo, s13
	v_lshrrev_b16 v1, 8, v1
	v_mov_b32_e32 v61, 0
	s_mov_b32 s13, exec_lo
	v_cmpx_ne_u16_e32 0, v1
	s_cbranch_execz .LBB290_1048
; %bb.1041:                             ;   in Loop: Header=BB290_538 Depth=1
	v_bfrev_b32_e32 v61, 1
	s_mov_b32 s17, exec_lo
	v_cmpx_ne_u16_e32 0x80, v1
	s_cbranch_execz .LBB290_1047
; %bb.1042:                             ;   in Loop: Header=BB290_538 Depth=1
	v_and_b32_sdwa v63, v1, v27 dst_sel:DWORD dst_unused:UNUSED_PAD src0_sel:WORD_0 src1_sel:DWORD
	v_mov_b32_e32 v61, 0x7c010000
	s_mov_b32 s18, exec_lo
	v_cmpx_ne_u32_e32 0x7f, v63
	s_cbranch_execz .LBB290_1046
; %bb.1043:                             ;   in Loop: Header=BB290_538 Depth=1
	v_and_b32_sdwa v61, v1, v28 dst_sel:DWORD dst_unused:UNUSED_PAD src0_sel:WORD_0 src1_sel:DWORD
	v_lshrrev_b32_e32 v62, 3, v63
	s_mov_b32 s19, exec_lo
	v_cmpx_gt_u32_e32 8, v63
; %bb.1044:                             ;   in Loop: Header=BB290_538 Depth=1
	v_ffbh_u32_e32 v61, v61
	v_min_u32_e32 v63, 32, v61
	v_subrev_nc_u32_e32 v61, 28, v63
	v_lshlrev_b64 v[61:62], v61, v[1:2]
	v_sub_nc_u32_e32 v62, 29, v63
	v_and_b32_e32 v61, 7, v61
; %bb.1045:                             ;   in Loop: Header=BB290_538 Depth=1
	s_or_b32 exec_lo, exec_lo, s19
	v_lshlrev_b32_sdwa v1, v29, v1 dst_sel:DWORD dst_unused:UNUSED_PAD src0_sel:DWORD src1_sel:WORD_0
	v_lshl_add_u32 v62, v62, 10, 0x2000
	v_lshlrev_b32_e32 v61, 23, v61
	v_and_or_b32 v1, 0x8000, v1, v62
	v_lshl_or_b32 v61, v1, 16, v61
.LBB290_1046:                           ;   in Loop: Header=BB290_538 Depth=1
	s_or_b32 exec_lo, exec_lo, s18
.LBB290_1047:                           ;   in Loop: Header=BB290_538 Depth=1
	s_or_b32 exec_lo, exec_lo, s17
.LBB290_1048:                           ;   in Loop: Header=BB290_538 Depth=1
	s_or_b32 exec_lo, exec_lo, s13
	v_lshrrev_b32_e32 v1, 16, v8
	v_cmp_ne_u16_sdwa s0, v1, v2 src0_sel:BYTE_0 src1_sel:DWORD
	s_and_saveexec_b32 s13, s0
	s_cbranch_execz .LBB290_1056
; %bb.1049:                             ;   in Loop: Header=BB290_538 Depth=1
	v_cmp_ne_u16_sdwa s0, v1, v26 src0_sel:BYTE_0 src1_sel:DWORD
	v_mov_b32_e32 v59, 0x8000
	s_and_saveexec_b32 s17, s0
	s_cbranch_execz .LBB290_1055
; %bb.1050:                             ;   in Loop: Header=BB290_538 Depth=1
	v_bfe_u32 v63, v8, 16, 7
	v_mov_b32_e32 v59, 0x7c01
	s_mov_b32 s18, exec_lo
	v_cmpx_ne_u32_e32 0x7f, v63
	s_cbranch_execz .LBB290_1054
; %bb.1051:                             ;   in Loop: Header=BB290_538 Depth=1
	v_and_b32_e32 v59, 7, v1
	v_lshrrev_b32_e32 v62, 3, v63
	s_mov_b32 s19, exec_lo
	v_cmpx_gt_u32_e32 8, v63
; %bb.1052:                             ;   in Loop: Header=BB290_538 Depth=1
	v_ffbh_u32_e32 v59, v59
	v_min_u32_e32 v59, 32, v59
	v_subrev_nc_u32_e32 v62, 28, v59
	v_lshlrev_b64 v[63:64], v62, v[1:2]
	v_sub_nc_u32_e32 v62, 29, v59
	v_and_b32_e32 v59, 7, v63
; %bb.1053:                             ;   in Loop: Header=BB290_538 Depth=1
	s_or_b32 exec_lo, exec_lo, s19
	v_lshlrev_b32_e32 v1, 8, v1
	v_lshl_add_u32 v62, v62, 10, 0x2000
	v_lshlrev_b32_e32 v59, 7, v59
	v_and_b32_e32 v1, 0x8000, v1
	v_and_b32_e32 v62, 0xfc00, v62
	v_or3_b32 v59, v1, v62, v59
.LBB290_1054:                           ;   in Loop: Header=BB290_538 Depth=1
	s_or_b32 exec_lo, exec_lo, s18
.LBB290_1055:                           ;   in Loop: Header=BB290_538 Depth=1
	s_or_b32 exec_lo, exec_lo, s17
.LBB290_1056:                           ;   in Loop: Header=BB290_538 Depth=1
	s_or_b32 exec_lo, exec_lo, s13
	v_cmp_lt_u64_e64 s0, s[2:3], v[7:8]
	v_mov_b32_e32 v7, 0
	s_and_saveexec_b32 s13, s0
	s_cbranch_execz .LBB290_1064
; %bb.1057:                             ;   in Loop: Header=BB290_538 Depth=1
	v_lshrrev_b32_e32 v1, 24, v8
	v_bfrev_b32_e32 v7, 1
	s_mov_b32 s17, exec_lo
	v_cmpx_ne_u32_e32 0x80, v1
	s_cbranch_execz .LBB290_1063
; %bb.1058:                             ;   in Loop: Header=BB290_538 Depth=1
	v_and_b32_e32 v62, 0x7f, v1
	v_mov_b32_e32 v7, 0x7c010000
	s_mov_b32 s18, exec_lo
	v_cmpx_ne_u32_e32 0x7f, v62
	s_cbranch_execz .LBB290_1062
; %bb.1059:                             ;   in Loop: Header=BB290_538 Depth=1
	v_and_b32_e32 v7, 7, v1
	v_lshrrev_b32_e32 v8, 3, v62
	s_mov_b32 s19, exec_lo
	v_cmpx_gt_u32_e32 8, v62
; %bb.1060:                             ;   in Loop: Header=BB290_538 Depth=1
	v_ffbh_u32_e32 v7, v7
	v_min_u32_e32 v62, 32, v7
	v_subrev_nc_u32_e32 v7, 28, v62
	v_lshlrev_b64 v[7:8], v7, v[1:2]
	v_sub_nc_u32_e32 v8, 29, v62
	v_and_b32_e32 v7, 7, v7
; %bb.1061:                             ;   in Loop: Header=BB290_538 Depth=1
	s_or_b32 exec_lo, exec_lo, s19
	v_lshlrev_b32_e32 v1, 8, v1
	v_lshl_add_u32 v8, v8, 10, 0x2000
	v_lshlrev_b32_e32 v7, 23, v7
	v_and_or_b32 v1, 0x8000, v1, v8
	v_lshl_or_b32 v7, v1, 16, v7
.LBB290_1062:                           ;   in Loop: Header=BB290_538 Depth=1
	s_or_b32 exec_lo, exec_lo, s18
.LBB290_1063:                           ;   in Loop: Header=BB290_538 Depth=1
	s_or_b32 exec_lo, exec_lo, s17
.LBB290_1064:                           ;   in Loop: Header=BB290_538 Depth=1
	s_or_b32 exec_lo, exec_lo, s13
	v_or_b32_e32 v1, v57, v58
	s_waitcnt vmcnt(0)
	v_fma_mixlo_f16 v8, v54, v57, 0 op_sel:[0,1,0] op_sel_hi:[0,1,0]
	v_or_b32_e32 v56, v55, v56
	v_fma_mixlo_f16 v57, v54, v55, 0 op_sel:[0,1,0] op_sel_hi:[0,1,0]
	v_or_b32_e32 v58, v61, v60
	v_fma_mixlo_f16 v1, v54, v1, 0 op_sel_hi:[0,1,0]
	v_or_b32_e32 v59, v7, v59
	v_lshlrev_b32_e32 v55, 16, v8
	v_lshlrev_b32_e32 v60, 16, v57
	v_fma_mixlo_f16 v8, v54, v56, 0 op_sel_hi:[0,1,0]
	v_and_b32_e32 v57, 0xffff, v1
	v_fma_mixlo_f16 v1, v54, v61, 0 op_sel:[0,1,0] op_sel_hi:[0,1,0]
	v_fma_mixlo_f16 v56, v54, v58, 0 op_sel_hi:[0,1,0]
	v_fma_mixlo_f16 v7, v54, v7, 0 op_sel:[0,1,0] op_sel_hi:[0,1,0]
	v_fma_mixlo_f16 v54, v54, v59, 0 op_sel_hi:[0,1,0]
	v_and_b32_e32 v62, 0xffff, v8
	v_lshlrev_b32_e32 v58, 16, v1
	v_and_b32_e32 v61, 0xffff, v56
	v_lshlrev_b32_e32 v56, 16, v7
	v_and_b32_e32 v59, 0xffff, v54
	v_or_b32_e32 v1, v55, v57
	v_or_b32_e32 v54, v60, v62
	;; [unrolled: 1-line block ×4, first 2 shown]
	s_and_saveexec_b32 s0, vcc_lo
	s_cbranch_execz .LBB290_537
; %bb.1065:                             ;   in Loop: Header=BB290_538 Depth=1
	v_cmp_gt_i32_e32 vcc_lo, s11, v31
	v_cndmask_b32_e32 v1, 0, v62, vcc_lo
	v_cmp_gt_i32_e32 vcc_lo, s11, v37
	v_cndmask_b32_e32 v7, 0, v60, vcc_lo
	v_cmp_gt_i32_e32 vcc_lo, s11, v36
	v_or_b32_e32 v54, v7, v1
	v_cndmask_b32_e32 v8, 0, v57, vcc_lo
	v_cmp_gt_i32_e32 vcc_lo, s11, v35
	v_cndmask_b32_e32 v31, 0, v55, vcc_lo
	v_cmp_gt_i32_e32 vcc_lo, s11, v34
	v_or_b32_e32 v1, v31, v8
	;; [unrolled: 5-line block ×3, first 2 shown]
	v_cndmask_b32_e32 v32, 0, v59, vcc_lo
	v_cmp_gt_i32_e32 vcc_lo, s11, v25
	v_cndmask_b32_e32 v35, 0, v56, vcc_lo
	v_or_b32_e32 v7, v35, v32
	s_branch .LBB290_537
.LBB290_1066:
	s_or_b32 exec_lo, exec_lo, s12
.LBB290_1067:
	s_or_b32 exec_lo, exec_lo, s1
	ds_bpermute_b32 v1, v16, v22
	ds_bpermute_b32 v2, v16, v24
	;; [unrolled: 1-line block ×8, first 2 shown]
	v_lshrrev_b32_e32 v9, 2, v12
	v_lshlrev_b32_e32 v11, 8, v11
	s_mov_b32 s0, exec_lo
	s_waitcnt lgkmcnt(0)
	s_barrier
	buffer_gl0_inv
	v_add_f32_e32 v1, v22, v1
	v_add_f32_e32 v2, v24, v2
	;; [unrolled: 1-line block ×8, first 2 shown]
	ds_bpermute_b32 v5, v15, v1
	ds_bpermute_b32 v6, v15, v2
	ds_bpermute_b32 v19, v15, v3
	ds_bpermute_b32 v20, v15, v4
	ds_bpermute_b32 v21, v15, v13
	ds_bpermute_b32 v22, v15, v16
	ds_bpermute_b32 v23, v15, v18
	ds_bpermute_b32 v15, v15, v17
	v_and_b32_e32 v7, 28, v12
	v_and_b32_e32 v12, 0x3c3, v0
	v_add_nc_u32_e32 v10, 0xa0, v7
	s_waitcnt lgkmcnt(7)
	v_add_f32_e32 v8, v1, v5
	s_waitcnt lgkmcnt(6)
	v_add_f32_e32 v7, v2, v6
	;; [unrolled: 2-line block ×8, first 2 shown]
	v_cmpx_eq_u32_e32 64, v12
	s_cbranch_execz .LBB290_1069
; %bb.1068:
	v_add_nc_u32_e32 v12, v10, v11
	v_add_nc_u32_e32 v13, 0xfffffe00, v12
	;; [unrolled: 1-line block ×9, first 2 shown]
	ds_write_b32 v13, v8
	ds_write_b32 v15, v7
	ds_write_b32 v16, v6
	ds_write_b32 v17, v5
	ds_write_b32 v18, v4
	ds_write_b32 v19, v3
	ds_write_b32 v20, v2
	ds_write_b32 v12, v1
.LBB290_1069:
	s_or_b32 exec_lo, exec_lo, s0
	v_lshlrev_b32_e32 v9, 2, v9
	s_mov_b32 s1, exec_lo
	v_cmp_eq_u32_e32 vcc_lo, 0, v14
	s_waitcnt lgkmcnt(0)
	s_barrier
	v_add3_u32 v9, 0xa0, v11, v9
	buffer_gl0_inv
	v_cmpx_gt_u32_e32 64, v0
	s_cbranch_execz .LBB290_1080
; %bb.1070:
	s_and_saveexec_b32 s0, vcc_lo
	s_cbranch_execnz .LBB290_1096
; %bb.1071:
	s_or_b32 exec_lo, exec_lo, s0
	s_and_saveexec_b32 s0, vcc_lo
	s_cbranch_execnz .LBB290_1097
.LBB290_1072:
	s_or_b32 exec_lo, exec_lo, s0
	s_and_saveexec_b32 s0, vcc_lo
	s_cbranch_execnz .LBB290_1098
.LBB290_1073:
	s_or_b32 exec_lo, exec_lo, s0
	s_and_saveexec_b32 s0, vcc_lo
	s_cbranch_execnz .LBB290_1099
.LBB290_1074:
	s_or_b32 exec_lo, exec_lo, s0
	s_and_saveexec_b32 s0, vcc_lo
	s_cbranch_execnz .LBB290_1100
.LBB290_1075:
	s_or_b32 exec_lo, exec_lo, s0
	s_and_saveexec_b32 s0, vcc_lo
	s_cbranch_execnz .LBB290_1101
.LBB290_1076:
	s_or_b32 exec_lo, exec_lo, s0
	s_and_saveexec_b32 s0, vcc_lo
	s_cbranch_execnz .LBB290_1102
.LBB290_1077:
	s_or_b32 exec_lo, exec_lo, s0
	s_and_saveexec_b32 s0, vcc_lo
	s_cbranch_execz .LBB290_1079
.LBB290_1078:
	ds_read_b32 v11, v9 offset:224
	s_waitcnt lgkmcnt(0)
	v_add_f32_e32 v1, v1, v11
.LBB290_1079:
	s_or_b32 exec_lo, exec_lo, s0
.LBB290_1080:
	s_or_b32 exec_lo, exec_lo, s1
	v_and_b32_e32 v11, 0x3e3, v0
	s_mov_b32 s1, exec_lo
	s_barrier
	buffer_gl0_inv
	v_cmpx_eq_u32_e32 32, v11
	s_cbranch_execz .LBB290_1082
; %bb.1081:
	ds_write2_b32 v10, v8, v7 offset1:8
	ds_write2_b32 v10, v6, v5 offset0:16 offset1:24
	ds_write2_b32 v10, v4, v3 offset0:32 offset1:40
	;; [unrolled: 1-line block ×3, first 2 shown]
.LBB290_1082:
	s_or_b32 exec_lo, exec_lo, s1
	s_mov_b32 s1, exec_lo
	s_waitcnt lgkmcnt(0)
	s_barrier
	buffer_gl0_inv
	v_cmpx_gt_u32_e32 32, v0
	s_cbranch_execz .LBB290_1093
; %bb.1083:
	s_and_saveexec_b32 s0, vcc_lo
	s_cbranch_execnz .LBB290_1103
; %bb.1084:
	s_or_b32 exec_lo, exec_lo, s0
	s_and_saveexec_b32 s0, vcc_lo
	s_cbranch_execnz .LBB290_1104
.LBB290_1085:
	s_or_b32 exec_lo, exec_lo, s0
	s_and_saveexec_b32 s0, vcc_lo
	s_cbranch_execnz .LBB290_1105
.LBB290_1086:
	s_or_b32 exec_lo, exec_lo, s0
	s_and_saveexec_b32 s0, vcc_lo
	s_cbranch_execnz .LBB290_1106
.LBB290_1087:
	s_or_b32 exec_lo, exec_lo, s0
	s_and_saveexec_b32 s0, vcc_lo
	s_cbranch_execnz .LBB290_1107
.LBB290_1088:
	s_or_b32 exec_lo, exec_lo, s0
	s_and_saveexec_b32 s0, vcc_lo
	s_cbranch_execnz .LBB290_1108
.LBB290_1089:
	s_or_b32 exec_lo, exec_lo, s0
	s_and_saveexec_b32 s0, vcc_lo
	s_cbranch_execnz .LBB290_1109
.LBB290_1090:
	s_or_b32 exec_lo, exec_lo, s0
	s_and_saveexec_b32 s0, vcc_lo
	s_cbranch_execz .LBB290_1092
.LBB290_1091:
	ds_read_b32 v9, v9 offset:224
	s_waitcnt lgkmcnt(0)
	v_add_f32_e32 v1, v1, v9
.LBB290_1092:
	s_or_b32 exec_lo, exec_lo, s0
.LBB290_1093:
	s_or_b32 exec_lo, exec_lo, s1
	s_barrier
	buffer_gl0_inv
	s_mov_b32 s0, exec_lo
	v_cmpx_eq_u32_e32 0, v11
	s_cbranch_execz .LBB290_1095
; %bb.1094:
	s_mul_i32 s0, s10, s7
	s_mul_i32 s2, s7, s6
	;; [unrolled: 1-line block ×3, first 2 shown]
	v_lshrrev_b32_e32 v0, 1, v0
	s_lshl_b32 s0, s0, 6
	;;#ASMSTART
	v_cvt_f16_f32 v8, v8;

	;;#ASMEND
	s_ashr_i32 s1, s0, 31
	s_lshl_b64 s[0:1], s[0:1], 1
	s_add_u32 s4, s20, s0
	s_addc_u32 s5, s21, s1
	s_ashr_i32 s3, s2, 31
	s_lshl_b64 s[0:1], s[2:3], 1
	s_add_u32 s2, s4, s0
	s_addc_u32 s3, s5, s1
	s_lshl_b32 s0, s8, 6
	s_ashr_i32 s1, s0, 31
	s_lshl_b64 s[0:1], s[0:1], 1
	s_add_u32 s0, s2, s0
	s_addc_u32 s1, s3, s1
	global_store_short v0, v8, s[0:1]
	;;#ASMSTART
	v_cvt_f16_f32 v7, v7;

	;;#ASMEND
	global_store_short v0, v7, s[0:1] offset:16
	;;#ASMSTART
	v_cvt_f16_f32 v6, v6;

	;;#ASMEND
	global_store_short v0, v6, s[0:1] offset:32
	;; [unrolled: 5-line block ×7, first 2 shown]
.LBB290_1095:
	s_endpgm
.LBB290_1096:
	ds_read_b32 v11, v9
	s_waitcnt lgkmcnt(0)
	v_add_f32_e32 v8, v8, v11
	s_or_b32 exec_lo, exec_lo, s0
	s_and_saveexec_b32 s0, vcc_lo
	s_cbranch_execz .LBB290_1072
.LBB290_1097:
	ds_read_b32 v11, v9 offset:32
	s_waitcnt lgkmcnt(0)
	v_add_f32_e32 v7, v7, v11
	s_or_b32 exec_lo, exec_lo, s0
	s_and_saveexec_b32 s0, vcc_lo
	s_cbranch_execz .LBB290_1073
.LBB290_1098:
	ds_read_b32 v11, v9 offset:64
	s_waitcnt lgkmcnt(0)
	v_add_f32_e32 v6, v6, v11
	s_or_b32 exec_lo, exec_lo, s0
	s_and_saveexec_b32 s0, vcc_lo
	s_cbranch_execz .LBB290_1074
.LBB290_1099:
	ds_read_b32 v11, v9 offset:96
	s_waitcnt lgkmcnt(0)
	v_add_f32_e32 v5, v5, v11
	s_or_b32 exec_lo, exec_lo, s0
	s_and_saveexec_b32 s0, vcc_lo
	s_cbranch_execz .LBB290_1075
.LBB290_1100:
	ds_read_b32 v11, v9 offset:128
	s_waitcnt lgkmcnt(0)
	v_add_f32_e32 v4, v4, v11
	s_or_b32 exec_lo, exec_lo, s0
	s_and_saveexec_b32 s0, vcc_lo
	s_cbranch_execz .LBB290_1076
.LBB290_1101:
	ds_read_b32 v11, v9 offset:160
	s_waitcnt lgkmcnt(0)
	v_add_f32_e32 v3, v3, v11
	s_or_b32 exec_lo, exec_lo, s0
	s_and_saveexec_b32 s0, vcc_lo
	s_cbranch_execz .LBB290_1077
.LBB290_1102:
	ds_read_b32 v11, v9 offset:192
	s_waitcnt lgkmcnt(0)
	v_add_f32_e32 v2, v2, v11
	s_or_b32 exec_lo, exec_lo, s0
	s_and_saveexec_b32 s0, vcc_lo
	s_cbranch_execnz .LBB290_1078
	s_branch .LBB290_1079
.LBB290_1103:
	ds_read_b32 v10, v9
	s_waitcnt lgkmcnt(0)
	v_add_f32_e32 v8, v8, v10
	s_or_b32 exec_lo, exec_lo, s0
	s_and_saveexec_b32 s0, vcc_lo
	s_cbranch_execz .LBB290_1085
.LBB290_1104:
	ds_read_b32 v10, v9 offset:32
	s_waitcnt lgkmcnt(0)
	v_add_f32_e32 v7, v7, v10
	s_or_b32 exec_lo, exec_lo, s0
	s_and_saveexec_b32 s0, vcc_lo
	s_cbranch_execz .LBB290_1086
.LBB290_1105:
	ds_read_b32 v10, v9 offset:64
	s_waitcnt lgkmcnt(0)
	v_add_f32_e32 v6, v6, v10
	s_or_b32 exec_lo, exec_lo, s0
	s_and_saveexec_b32 s0, vcc_lo
	s_cbranch_execz .LBB290_1087
.LBB290_1106:
	ds_read_b32 v10, v9 offset:96
	s_waitcnt lgkmcnt(0)
	v_add_f32_e32 v5, v5, v10
	s_or_b32 exec_lo, exec_lo, s0
	s_and_saveexec_b32 s0, vcc_lo
	s_cbranch_execz .LBB290_1088
.LBB290_1107:
	ds_read_b32 v10, v9 offset:128
	s_waitcnt lgkmcnt(0)
	v_add_f32_e32 v4, v4, v10
	s_or_b32 exec_lo, exec_lo, s0
	s_and_saveexec_b32 s0, vcc_lo
	s_cbranch_execz .LBB290_1089
.LBB290_1108:
	ds_read_b32 v10, v9 offset:160
	s_waitcnt lgkmcnt(0)
	v_add_f32_e32 v3, v3, v10
	s_or_b32 exec_lo, exec_lo, s0
	s_and_saveexec_b32 s0, vcc_lo
	s_cbranch_execz .LBB290_1090
.LBB290_1109:
	ds_read_b32 v10, v9 offset:192
	s_waitcnt lgkmcnt(0)
	v_add_f32_e32 v2, v2, v10
	s_or_b32 exec_lo, exec_lo, s0
	s_and_saveexec_b32 s0, vcc_lo
	s_cbranch_execnz .LBB290_1091
	s_branch .LBB290_1092
	.section	.rodata,"a",@progbits
	.p2align	6, 0x0
	.amdhsa_kernel _ZN4vllm25paged_attention_v1_kernelIthLi64ELi32ELi128ELNS_18Fp8KVCacheDataTypeE1ELb0EEEvPT_PKS2_PKT0_S8_ifPKiSA_iPKfiiiSC_SC_iiiii
		.amdhsa_group_segment_fixed_size 160
		.amdhsa_private_segment_fixed_size 0
		.amdhsa_kernarg_size 384
		.amdhsa_user_sgpr_count 6
		.amdhsa_user_sgpr_private_segment_buffer 1
		.amdhsa_user_sgpr_dispatch_ptr 0
		.amdhsa_user_sgpr_queue_ptr 0
		.amdhsa_user_sgpr_kernarg_segment_ptr 1
		.amdhsa_user_sgpr_dispatch_id 0
		.amdhsa_user_sgpr_flat_scratch_init 0
		.amdhsa_user_sgpr_private_segment_size 0
		.amdhsa_wavefront_size32 1
		.amdhsa_uses_dynamic_stack 0
		.amdhsa_system_sgpr_private_segment_wavefront_offset 0
		.amdhsa_system_sgpr_workgroup_id_x 1
		.amdhsa_system_sgpr_workgroup_id_y 1
		.amdhsa_system_sgpr_workgroup_id_z 1
		.amdhsa_system_sgpr_workgroup_info 0
		.amdhsa_system_vgpr_workitem_id 0
		.amdhsa_next_free_vgpr 109
		.amdhsa_next_free_sgpr 36
		.amdhsa_reserve_vcc 1
		.amdhsa_reserve_flat_scratch 0
		.amdhsa_float_round_mode_32 0
		.amdhsa_float_round_mode_16_64 0
		.amdhsa_float_denorm_mode_32 3
		.amdhsa_float_denorm_mode_16_64 3
		.amdhsa_dx10_clamp 1
		.amdhsa_ieee_mode 1
		.amdhsa_fp16_overflow 0
		.amdhsa_workgroup_processor_mode 1
		.amdhsa_memory_ordered 1
		.amdhsa_forward_progress 1
		.amdhsa_shared_vgpr_count 0
		.amdhsa_exception_fp_ieee_invalid_op 0
		.amdhsa_exception_fp_denorm_src 0
		.amdhsa_exception_fp_ieee_div_zero 0
		.amdhsa_exception_fp_ieee_overflow 0
		.amdhsa_exception_fp_ieee_underflow 0
		.amdhsa_exception_fp_ieee_inexact 0
		.amdhsa_exception_int_div_zero 0
	.end_amdhsa_kernel
	.section	.text._ZN4vllm25paged_attention_v1_kernelIthLi64ELi32ELi128ELNS_18Fp8KVCacheDataTypeE1ELb0EEEvPT_PKS2_PKT0_S8_ifPKiSA_iPKfiiiSC_SC_iiiii,"axG",@progbits,_ZN4vllm25paged_attention_v1_kernelIthLi64ELi32ELi128ELNS_18Fp8KVCacheDataTypeE1ELb0EEEvPT_PKS2_PKT0_S8_ifPKiSA_iPKfiiiSC_SC_iiiii,comdat
.Lfunc_end290:
	.size	_ZN4vllm25paged_attention_v1_kernelIthLi64ELi32ELi128ELNS_18Fp8KVCacheDataTypeE1ELb0EEEvPT_PKS2_PKT0_S8_ifPKiSA_iPKfiiiSC_SC_iiiii, .Lfunc_end290-_ZN4vllm25paged_attention_v1_kernelIthLi64ELi32ELi128ELNS_18Fp8KVCacheDataTypeE1ELb0EEEvPT_PKS2_PKT0_S8_ifPKiSA_iPKfiiiSC_SC_iiiii
                                        ; -- End function
	.set _ZN4vllm25paged_attention_v1_kernelIthLi64ELi32ELi128ELNS_18Fp8KVCacheDataTypeE1ELb0EEEvPT_PKS2_PKT0_S8_ifPKiSA_iPKfiiiSC_SC_iiiii.num_vgpr, 109
	.set _ZN4vllm25paged_attention_v1_kernelIthLi64ELi32ELi128ELNS_18Fp8KVCacheDataTypeE1ELb0EEEvPT_PKS2_PKT0_S8_ifPKiSA_iPKfiiiSC_SC_iiiii.num_agpr, 0
	.set _ZN4vllm25paged_attention_v1_kernelIthLi64ELi32ELi128ELNS_18Fp8KVCacheDataTypeE1ELb0EEEvPT_PKS2_PKT0_S8_ifPKiSA_iPKfiiiSC_SC_iiiii.numbered_sgpr, 36
	.set _ZN4vllm25paged_attention_v1_kernelIthLi64ELi32ELi128ELNS_18Fp8KVCacheDataTypeE1ELb0EEEvPT_PKS2_PKT0_S8_ifPKiSA_iPKfiiiSC_SC_iiiii.num_named_barrier, 0
	.set _ZN4vllm25paged_attention_v1_kernelIthLi64ELi32ELi128ELNS_18Fp8KVCacheDataTypeE1ELb0EEEvPT_PKS2_PKT0_S8_ifPKiSA_iPKfiiiSC_SC_iiiii.private_seg_size, 0
	.set _ZN4vllm25paged_attention_v1_kernelIthLi64ELi32ELi128ELNS_18Fp8KVCacheDataTypeE1ELb0EEEvPT_PKS2_PKT0_S8_ifPKiSA_iPKfiiiSC_SC_iiiii.uses_vcc, 1
	.set _ZN4vllm25paged_attention_v1_kernelIthLi64ELi32ELi128ELNS_18Fp8KVCacheDataTypeE1ELb0EEEvPT_PKS2_PKT0_S8_ifPKiSA_iPKfiiiSC_SC_iiiii.uses_flat_scratch, 0
	.set _ZN4vllm25paged_attention_v1_kernelIthLi64ELi32ELi128ELNS_18Fp8KVCacheDataTypeE1ELb0EEEvPT_PKS2_PKT0_S8_ifPKiSA_iPKfiiiSC_SC_iiiii.has_dyn_sized_stack, 0
	.set _ZN4vllm25paged_attention_v1_kernelIthLi64ELi32ELi128ELNS_18Fp8KVCacheDataTypeE1ELb0EEEvPT_PKS2_PKT0_S8_ifPKiSA_iPKfiiiSC_SC_iiiii.has_recursion, 0
	.set _ZN4vllm25paged_attention_v1_kernelIthLi64ELi32ELi128ELNS_18Fp8KVCacheDataTypeE1ELb0EEEvPT_PKS2_PKT0_S8_ifPKiSA_iPKfiiiSC_SC_iiiii.has_indirect_call, 0
	.section	.AMDGPU.csdata,"",@progbits
; Kernel info:
; codeLenInByte = 35840
; TotalNumSgprs: 38
; NumVgprs: 109
; ScratchSize: 0
; MemoryBound: 0
; FloatMode: 240
; IeeeMode: 1
; LDSByteSize: 160 bytes/workgroup (compile time only)
; SGPRBlocks: 0
; VGPRBlocks: 13
; NumSGPRsForWavesPerEU: 38
; NumVGPRsForWavesPerEU: 109
; Occupancy: 9
; WaveLimiterHint : 1
; COMPUTE_PGM_RSRC2:SCRATCH_EN: 0
; COMPUTE_PGM_RSRC2:USER_SGPR: 6
; COMPUTE_PGM_RSRC2:TRAP_HANDLER: 0
; COMPUTE_PGM_RSRC2:TGID_X_EN: 1
; COMPUTE_PGM_RSRC2:TGID_Y_EN: 1
; COMPUTE_PGM_RSRC2:TGID_Z_EN: 1
; COMPUTE_PGM_RSRC2:TIDIG_COMP_CNT: 0
	.section	.text._ZN4vllm25paged_attention_v1_kernelIthLi80ELi32ELi128ELNS_18Fp8KVCacheDataTypeE1ELb0EEEvPT_PKS2_PKT0_S8_ifPKiSA_iPKfiiiSC_SC_iiiii,"axG",@progbits,_ZN4vllm25paged_attention_v1_kernelIthLi80ELi32ELi128ELNS_18Fp8KVCacheDataTypeE1ELb0EEEvPT_PKS2_PKT0_S8_ifPKiSA_iPKfiiiSC_SC_iiiii,comdat
	.protected	_ZN4vllm25paged_attention_v1_kernelIthLi80ELi32ELi128ELNS_18Fp8KVCacheDataTypeE1ELb0EEEvPT_PKS2_PKT0_S8_ifPKiSA_iPKfiiiSC_SC_iiiii ; -- Begin function _ZN4vllm25paged_attention_v1_kernelIthLi80ELi32ELi128ELNS_18Fp8KVCacheDataTypeE1ELb0EEEvPT_PKS2_PKT0_S8_ifPKiSA_iPKfiiiSC_SC_iiiii
	.globl	_ZN4vllm25paged_attention_v1_kernelIthLi80ELi32ELi128ELNS_18Fp8KVCacheDataTypeE1ELb0EEEvPT_PKS2_PKT0_S8_ifPKiSA_iPKfiiiSC_SC_iiiii
	.p2align	8
	.type	_ZN4vllm25paged_attention_v1_kernelIthLi80ELi32ELi128ELNS_18Fp8KVCacheDataTypeE1ELb0EEEvPT_PKS2_PKT0_S8_ifPKiSA_iPKfiiiSC_SC_iiiii,@function
_ZN4vllm25paged_attention_v1_kernelIthLi80ELi32ELi128ELNS_18Fp8KVCacheDataTypeE1ELb0EEEvPT_PKS2_PKT0_S8_ifPKiSA_iPKfiiiSC_SC_iiiii: ; @_ZN4vllm25paged_attention_v1_kernelIthLi80ELi32ELi128ELNS_18Fp8KVCacheDataTypeE1ELb0EEEvPT_PKS2_PKT0_S8_ifPKiSA_iPKfiiiSC_SC_iiiii
; %bb.0:
	s_clause 0x2
	s_load_dword s9, s[4:5], 0x80
	s_load_dwordx2 s[0:1], s[4:5], 0x30
	s_load_dwordx2 s[2:3], s[4:5], 0x20
	s_mov_b32 s10, s7
	s_ashr_i32 s11, s7, 31
	s_mov_b32 s28, 0
	s_lshl_b64 s[12:13], s[10:11], 2
	s_waitcnt lgkmcnt(0)
	s_add_u32 s0, s0, s12
	s_addc_u32 s1, s1, s13
	s_abs_i32 s7, s2
	s_abs_i32 s13, s9
	v_cvt_f32_u32_e32 v1, s7
	s_sub_i32 s12, 0, s7
	s_xor_b32 s2, s9, s2
	s_ashr_i32 s2, s2, 31
	v_rcp_iflag_f32_e32 v1, v1
	v_mul_f32_e32 v1, 0x4f7ffffe, v1
	v_cvt_u32_f32_e32 v1, v1
	v_readfirstlane_b32 s11, v1
	s_mul_i32 s12, s12, s11
	s_mul_hi_u32 s12, s11, s12
	s_add_i32 s11, s11, s12
	s_mul_hi_u32 s11, s13, s11
	s_mul_i32 s12, s11, s7
	s_sub_i32 s12, s13, s12
	s_add_i32 s13, s11, 1
	s_sub_i32 s14, s12, s7
	s_cmp_ge_u32 s12, s7
	s_cselect_b32 s11, s13, s11
	s_cselect_b32 s12, s14, s12
	s_add_i32 s13, s11, 1
	s_cmp_ge_u32 s12, s7
	s_cselect_b32 s7, s13, s11
	s_load_dwordx2 s[12:13], s[4:5], 0x40
	s_xor_b32 s7, s7, s2
	s_abs_i32 s14, s6
	s_sub_i32 s15, s7, s2
	s_abs_i32 s2, s15
	v_cvt_f32_u32_e32 v1, s2
	s_sub_i32 s11, 0, s2
	v_rcp_iflag_f32_e32 v1, v1
	v_mul_f32_e32 v1, 0x4f7ffffe, v1
	v_cvt_u32_f32_e32 v1, v1
	v_readfirstlane_b32 s7, v1
	s_mul_i32 s11, s11, s7
	s_mul_hi_u32 s11, s7, s11
	s_add_i32 s7, s7, s11
	s_waitcnt lgkmcnt(0)
	s_cmp_eq_u64 s[12:13], 0
	s_mul_hi_u32 s26, s14, s7
	s_cbranch_scc1 .LBB291_2
; %bb.1:
	s_ashr_i32 s7, s6, 31
	s_lshl_b64 s[16:17], s[6:7], 2
	s_add_u32 s12, s12, s16
	s_addc_u32 s13, s13, s17
	s_load_dword s28, s[12:13], 0x0
.LBB291_2:
	s_load_dword s11, s[0:1], 0x0
	s_clause 0x1
	s_load_dwordx2 s[22:23], s[4:5], 0x28
	s_load_dwordx4 s[16:19], s[4:5], 0x48
	s_ashr_i32 s0, s6, 31
	s_ashr_i32 s1, s15, 31
	s_mulk_i32 s6, 0x50
	s_mov_b32 s12, exec_lo
	v_cmpx_gt_u32_e32 10, v0
	s_cbranch_execz .LBB291_4
; %bb.3:
	s_load_dwordx2 s[20:21], s[4:5], 0x8
	s_waitcnt lgkmcnt(0)
	s_mul_i32 s24, s16, s10
	v_lshlrev_b32_e32 v5, 4, v0
	s_ashr_i32 s25, s24, 31
	s_lshl_b64 s[24:25], s[24:25], 1
	s_add_u32 s13, s20, s24
	s_addc_u32 s15, s21, s25
	s_ashr_i32 s7, s6, 31
	s_lshl_b64 s[20:21], s[6:7], 1
	s_add_u32 s20, s13, s20
	s_addc_u32 s21, s15, s21
	global_load_dwordx4 v[1:4], v5, s[20:21]
	s_waitcnt vmcnt(0)
	ds_write_b128 v5, v[1:4]
.LBB291_4:
	s_or_b32 exec_lo, exec_lo, s12
	s_waitcnt lgkmcnt(0)
	s_add_i32 s7, s11, 31
	s_clause 0x2
	s_load_dwordx2 s[20:21], s[4:5], 0x0
	s_load_dwordx2 s[24:25], s[4:5], 0x18
	s_load_dword s19, s[4:5], 0x38
	s_ashr_i32 s12, s7, 31
	s_xor_b32 s0, s0, s1
	s_lshr_b32 s12, s12, 27
	s_add_i32 s27, s26, 1
	s_add_i32 s7, s7, s12
	s_mul_i32 s12, s26, s2
	s_ashr_i32 s16, s7, 5
	s_sub_i32 s1, s14, s12
	s_clause 0x1
	s_load_dword s7, s[4:5], 0x88
	s_load_dwordx4 s[12:15], s[4:5], 0x58
	s_sub_i32 s29, s1, s2
	s_cmp_ge_u32 s1, s2
	v_lshrrev_b32_e32 v125, 5, v0
	s_cselect_b32 s26, s27, s26
	s_cselect_b32 s1, s29, s1
	s_add_i32 s27, s26, 1
	s_cmp_ge_u32 s1, s2
	v_and_b32_e32 v126, 31, v0
	s_cselect_b32 s1, s27, s26
	v_mov_b32_e32 v15, 0xff7fffff
	s_xor_b32 s1, s1, s0
	v_lshrrev_b32_e32 v127, 3, v0
	s_sub_i32 s1, s1, s0
	v_cmp_gt_i32_e64 s0, s16, v125
	v_lshlrev_b32_e32 v11, 2, v126
	s_waitcnt lgkmcnt(0)
	s_mul_i32 s26, s19, s10
	s_mul_i32 s18, s1, s18
	s_ashr_i32 s27, s26, 31
	s_barrier
	buffer_gl0_inv
	s_and_saveexec_b32 s19, s0
	s_cbranch_execz .LBB291_648
; %bb.5:
	s_load_dwordx2 s[4:5], s[4:5], 0x10
	v_lshlrev_b32_e32 v1, 4, v126
	v_lshl_or_b32 v3, v125, 7, v11
	s_ashr_i32 s1, s18, 31
	v_and_b32_e32 v5, 0x7c, v127
	v_mov_b32_e32 v2, 0
	v_cmp_neq_f32_e64 vcc_lo, s28, 0
	v_add_nc_u32_e32 v19, 0xc0, v3
	v_lshl_or_b32 v16, v125, 5, v126
	v_mov_b32_e32 v15, 0xff7fffff
	v_mov_b32_e32 v17, 0x80
	;; [unrolled: 1-line block ×6, first 2 shown]
	s_mov_b32 s29, s17
	s_mov_b32 s31, 0
	s_waitcnt lgkmcnt(0)
	s_add_u32 s2, s4, s18
	s_addc_u32 s1, s5, s1
	s_lshl_b64 s[4:5], s[26:27], 2
	v_add_co_u32 v3, s2, s2, v1
	s_sub_i32 s30, 1, s11
	v_add_co_ci_u32_e64 v4, null, s1, 0, s2
	s_add_u32 s1, s22, s4
	s_addc_u32 s2, s23, s5
	v_add_co_u32 v5, s1, s1, v5
	v_add_co_ci_u32_e64 v6, null, s2, 0, s1
	s_mov_b32 s4, -1
	s_mov_b32 s5, 0xffffff
	s_branch .LBB291_10
.LBB291_6:                              ;   in Loop: Header=BB291_10 Depth=1
	s_or_b32 exec_lo, exec_lo, s35
	v_lshlrev_b32_e32 v1, 8, v1
	v_lshl_add_u32 v8, v8, 10, 0x2000
	v_lshlrev_b32_e32 v7, 23, v7
	v_and_or_b32 v1, 0x8000, v1, v8
	v_lshl_or_b32 v99, v1, 16, v7
.LBB291_7:                              ;   in Loop: Header=BB291_10 Depth=1
	s_or_b32 exec_lo, exec_lo, s34
.LBB291_8:                              ;   in Loop: Header=BB291_10 Depth=1
	s_or_b32 exec_lo, exec_lo, s33
.LBB291_9:                              ;   in Loop: Header=BB291_10 Depth=1
	s_or_b32 exec_lo, exec_lo, s2
	ds_read_b128 v[102:105], v2
	v_or_b32_e32 v8, v25, v24
	v_or_b32_e32 v1, v28, v26
	;; [unrolled: 1-line block ×4, first 2 shown]
	v_fma_mixlo_f16 v11, v23, v25, 0 op_sel:[0,1,0] op_sel_hi:[0,1,0]
	v_fma_mixlo_f16 v8, v23, v8, 0 op_sel_hi:[0,1,0]
	v_fma_mixlo_f16 v7, v23, v28, 0 op_sel:[0,1,0] op_sel_hi:[0,1,0]
	v_fma_mixlo_f16 v1, v23, v1, 0 op_sel_hi:[0,1,0]
	v_fma_mixlo_f16 v12, v23, v12, 0 op_sel_hi:[0,1,0]
	v_fma_mixlo_f16 v13, v23, v30, 0 op_sel:[0,1,0] op_sel_hi:[0,1,0]
	v_fma_mixlo_f16 v30, v23, v32, 0 op_sel:[0,1,0] op_sel_hi:[0,1,0]
	v_fma_mixlo_f16 v14, v23, v14, 0 op_sel_hi:[0,1,0]
	v_and_b32_e32 v11, 0xffff, v11
	v_and_b32_e32 v25, 0xffff, v8
	;; [unrolled: 1-line block ×5, first 2 shown]
	v_or_b32_e32 v37, v40, v37
	v_or_b32_e32 v65, v68, v65
	s_waitcnt lgkmcnt(0)
	v_and_b32_e32 v8, 0xffff, v102
	v_lshrrev_b32_e32 v24, 16, v102
	v_and_b32_e32 v27, 0xffff, v103
	v_lshrrev_b32_e32 v26, 16, v103
	;;#ASMSTART
	v_cvt_f32_f16 v8, v8;
	;;#ASMEND
	;;#ASMSTART
	v_cvt_f32_f16 v24, v24;
	;;#ASMEND
	;; [unrolled: 3-line block ×5, first 2 shown]
	v_and_b32_e32 v11, 0xffff, v104
	v_lshrrev_b32_e32 v27, 16, v104
	;;#ASMSTART
	v_cvt_f32_f16 v32, v26;
	;;#ASMEND
	;;#ASMSTART
	v_cvt_f32_f16 v103, v1;
	;;#ASMEND
	;; [unrolled: 3-line block ×6, first 2 shown]
	v_and_b32_e32 v1, 0xffff, v13
	v_and_b32_e32 v7, 0xffff, v105
	v_lshrrev_b32_e32 v11, 16, v105
	v_and_b32_e32 v12, 0xffff, v14
	v_and_b32_e32 v13, 0xffff, v30
	;;#ASMSTART
	v_cvt_f32_f16 v115, v1;
	;;#ASMEND
	;;#ASMSTART
	v_cvt_f32_f16 v109, v7;
	;;#ASMEND
	;;#ASMSTART
	v_cvt_f32_f16 v110, v11;
	;;#ASMEND
	;;#ASMSTART
	v_cvt_f32_f16 v111, v12;
	;;#ASMEND
	;;#ASMSTART
	v_cvt_f32_f16 v112, v13;
	;;#ASMEND
	ds_read_b128 v[104:107], v2 offset:16
	v_or_b32_e32 v1, v36, v34
	v_or_b32_e32 v11, v33, v31
	;; [unrolled: 1-line block ×4, first 2 shown]
	v_fma_mixlo_f16 v7, v23, v36, 0 op_sel:[0,1,0] op_sel_hi:[0,1,0]
	v_fma_mixlo_f16 v12, v23, v1, 0 op_sel_hi:[0,1,0]
	v_fma_mixlo_f16 v1, v23, v33, 0 op_sel:[0,1,0] op_sel_hi:[0,1,0]
	v_fma_mixlo_f16 v11, v23, v11, 0 op_sel_hi:[0,1,0]
	v_fma_mixlo_f16 v13, v23, v13, 0 op_sel_hi:[0,1,0]
	v_fma_mixlo_f16 v33, v23, v42, 0 op_sel:[0,1,0] op_sel_hi:[0,1,0]
	v_fma_mixlo_f16 v30, v23, v38, 0 op_sel:[0,1,0] op_sel_hi:[0,1,0]
	v_fma_mixlo_f16 v14, v23, v14, 0 op_sel_hi:[0,1,0]
	v_and_b32_e32 v35, 0xffff, v11
	v_and_b32_e32 v36, 0xffff, v1
	;; [unrolled: 1-line block ×6, first 2 shown]
	v_fma_mixlo_f16 v37, v23, v37, 0 op_sel_hi:[0,1,0]
	s_waitcnt lgkmcnt(0)
	v_and_b32_e32 v31, 0xffff, v104
	v_lshrrev_b32_e32 v34, 16, v104
	;;#ASMSTART
	v_cvt_f32_f16 v31, v31;
	;;#ASMEND
	;;#ASMSTART
	v_cvt_f32_f16 v11, v34;
	;;#ASMEND
	;; [unrolled: 3-line block ×3, first 2 shown]
	v_and_b32_e32 v34, 0xffff, v105
	v_mul_f32_e32 v1, v31, v1
	v_and_b32_e32 v31, 0xffff, v106
	v_and_b32_e32 v35, 0xffff, v13
	v_lshrrev_b32_e32 v38, 16, v105
	;;#ASMSTART
	v_cvt_f32_f16 v36, v36;
	;;#ASMEND
	;;#ASMSTART
	v_cvt_f32_f16 v39, v34;
	;;#ASMEND
	;; [unrolled: 3-line block ×3, first 2 shown]
	v_lshrrev_b32_e32 v34, 16, v106
	;;#ASMSTART
	v_cvt_f32_f16 v12, v12;
	;;#ASMEND
	;;#ASMSTART
	v_cvt_f32_f16 v13, v7;
	;;#ASMEND
	;; [unrolled: 3-line block ×5, first 2 shown]
	v_lshrrev_b32_e32 v35, 16, v107
	v_and_b32_e32 v7, 0xffff, v30
	v_and_b32_e32 v30, 0xffff, v107
	;;#ASMSTART
	v_cvt_f32_f16 v33, v7;
	;;#ASMEND
	;;#ASMSTART
	v_cvt_f32_f16 v34, v30;
	;;#ASMEND
	;; [unrolled: 3-line block ×5, first 2 shown]
	ds_read_b128 v[104:107], v2 offset:32
	v_or_b32_e32 v7, v44, v41
	v_fma_mixlo_f16 v41, v23, v40, 0 op_sel:[0,1,0] op_sel_hi:[0,1,0]
	v_or_b32_e32 v40, v46, v43
	v_or_b32_e32 v43, v50, v47
	v_fma_mixlo_f16 v14, v23, v44, 0 op_sel:[0,1,0] op_sel_hi:[0,1,0]
	v_fma_mixlo_f16 v44, v23, v7, 0 op_sel_hi:[0,1,0]
	v_mul_f32_e32 v7, v11, v36
	v_fma_mixlo_f16 v11, v23, v40, 0 op_sel_hi:[0,1,0]
	v_fma_mixlo_f16 v46, v23, v46, 0 op_sel:[0,1,0] op_sel_hi:[0,1,0]
	v_fma_mixlo_f16 v36, v23, v43, 0 op_sel_hi:[0,1,0]
	v_fma_mixlo_f16 v43, v23, v50, 0 op_sel:[0,1,0] op_sel_hi:[0,1,0]
	v_fmac_f32_e32 v1, v8, v25
	v_fmac_f32_e32 v7, v24, v29
	v_mul_f32_e32 v25, v39, v12
	v_mul_f32_e32 v24, v102, v13
	v_and_b32_e32 v13, 0xffff, v37
	v_and_b32_e32 v11, 0xffff, v11
	v_mul_f32_e32 v8, v113, v116
	v_fmac_f32_e32 v25, v28, v103
	s_waitcnt lgkmcnt(0)
	v_and_b32_e32 v29, 0xffff, v104
	v_lshrrev_b32_e32 v12, 16, v104
	;;#ASMSTART
	v_cvt_f32_f16 v40, v29;
	;;#ASMEND
	v_and_b32_e32 v29, 0xffff, v41
	;;#ASMSTART
	v_cvt_f32_f16 v123, v12;
	;;#ASMEND
	;;#ASMSTART
	v_cvt_f32_f16 v41, v13;
	;;#ASMEND
	v_and_b32_e32 v12, 0xffff, v44
	v_and_b32_e32 v13, 0xffff, v14
	;; [unrolled: 1-line block ×4, first 2 shown]
	v_lshrrev_b32_e32 v39, 16, v105
	;;#ASMSTART
	v_cvt_f32_f16 v124, v29;
	;;#ASMEND
	;;#ASMSTART
	v_cvt_f32_f16 v117, v37;
	;;#ASMEND
	;; [unrolled: 3-line block ×3, first 2 shown]
	v_lshrrev_b32_e32 v29, 16, v106
	;;#ASMSTART
	v_cvt_f32_f16 v119, v12;
	;;#ASMEND
	;;#ASMSTART
	v_cvt_f32_f16 v120, v13;
	;;#ASMEND
	;; [unrolled: 3-line block ×5, first 2 shown]
	v_and_b32_e32 v11, 0xffff, v46
	v_and_b32_e32 v12, 0xffff, v107
	v_lshrrev_b32_e32 v13, 16, v107
	v_and_b32_e32 v14, 0xffff, v36
	v_and_b32_e32 v29, 0xffff, v43
	;;#ASMSTART
	v_cvt_f32_f16 v113, v11;
	;;#ASMEND
	;;#ASMSTART
	v_cvt_f32_f16 v104, v12;
	;;#ASMEND
	;; [unrolled: 3-line block ×5, first 2 shown]
	ds_read_b128 v[11:14], v2 offset:48
	v_or_b32_e32 v39, v48, v45
	v_or_b32_e32 v36, v52, v49
	;; [unrolled: 1-line block ×4, first 2 shown]
	v_fma_mixlo_f16 v37, v23, v52, 0 op_sel:[0,1,0] op_sel_hi:[0,1,0]
	v_fma_mixlo_f16 v39, v23, v39, 0 op_sel_hi:[0,1,0]
	v_fma_mixlo_f16 v36, v23, v36, 0 op_sel_hi:[0,1,0]
	v_fma_mixlo_f16 v46, v23, v48, 0 op_sel:[0,1,0] op_sel_hi:[0,1,0]
	v_fma_mixlo_f16 v51, v23, v54, 0 op_sel:[0,1,0] op_sel_hi:[0,1,0]
	v_fma_mixlo_f16 v45, v23, v45, 0 op_sel_hi:[0,1,0]
	v_fma_mixlo_f16 v44, v23, v44, 0 op_sel_hi:[0,1,0]
	v_fma_mixlo_f16 v52, v23, v58, 0 op_sel:[0,1,0] op_sel_hi:[0,1,0]
	v_fmac_f32_e32 v24, v32, v114
	v_or_b32_e32 v30, v100, v101
	v_fma_mixlo_f16 v29, v23, v100, 0 op_sel:[0,1,0] op_sel_hi:[0,1,0]
	v_or_b32_e32 v43, v89, v92
	v_fmac_f32_e32 v8, v26, v27
	v_mul_f32_e32 v27, v31, v33
	v_and_b32_e32 v31, 0xffff, v46
	s_waitcnt lgkmcnt(0)
	v_and_b32_e32 v28, 0xffff, v11
	v_lshrrev_b32_e32 v11, 16, v11
	;;#ASMSTART
	v_cvt_f32_f16 v114, v28;
	;;#ASMEND
	v_and_b32_e32 v28, 0xffff, v39
	v_and_b32_e32 v32, 0xffff, v12
	v_lshrrev_b32_e32 v12, 16, v12
	;;#ASMSTART
	v_cvt_f32_f16 v58, v11;
	;;#ASMEND
	;;#ASMSTART
	v_cvt_f32_f16 v116, v28;
	;;#ASMEND
	;; [unrolled: 3-line block ×5, first 2 shown]
	v_and_b32_e32 v11, 0xffff, v36
	v_and_b32_e32 v12, 0xffff, v37
	;; [unrolled: 1-line block ×3, first 2 shown]
	v_lshrrev_b32_e32 v13, 16, v13
	;;#ASMSTART
	v_cvt_f32_f16 v101, v11;
	;;#ASMEND
	;;#ASMSTART
	v_cvt_f32_f16 v47, v12;
	;;#ASMEND
	;; [unrolled: 3-line block ×4, first 2 shown]
	v_and_b32_e32 v11, 0xffff, v51
	v_and_b32_e32 v12, 0xffff, v14
	v_lshrrev_b32_e32 v13, 16, v14
	v_and_b32_e32 v14, 0xffff, v45
	v_mul_f32_e32 v26, v34, v35
	v_and_b32_e32 v31, 0xffff, v44
	;;#ASMSTART
	v_cvt_f32_f16 v50, v31;
	;;#ASMEND
	v_and_b32_e32 v28, 0xffff, v52
	;;#ASMSTART
	v_cvt_f32_f16 v103, v11;
	;;#ASMEND
	;;#ASMSTART
	v_cvt_f32_f16 v34, v12;
	;;#ASMEND
	;; [unrolled: 3-line block ×5, first 2 shown]
	ds_read_b128 v[11:14], v2 offset:64
	v_or_b32_e32 v28, v60, v57
	v_fma_mixlo_f16 v33, v23, v43, 0 op_sel_hi:[0,1,0]
	v_or_b32_e32 v43, v56, v53
	v_or_b32_e32 v44, v66, v63
	v_fma_mixlo_f16 v53, v23, v56, 0 op_sel:[0,1,0] op_sel_hi:[0,1,0]
	v_fma_mixlo_f16 v52, v23, v28, 0 op_sel_hi:[0,1,0]
	v_or_b32_e32 v28, v62, v59
	v_fma_mixlo_f16 v43, v23, v43, 0 op_sel_hi:[0,1,0]
	v_fma_mixlo_f16 v51, v23, v60, 0 op_sel:[0,1,0] op_sel_hi:[0,1,0]
	v_fma_mixlo_f16 v56, v23, v62, 0 op_sel:[0,1,0] op_sel_hi:[0,1,0]
	v_fma_mixlo_f16 v57, v23, v44, 0 op_sel_hi:[0,1,0]
	v_fma_mixlo_f16 v54, v23, v28, 0 op_sel_hi:[0,1,0]
	v_fma_mixlo_f16 v59, v23, v66, 0 op_sel:[0,1,0] op_sel_hi:[0,1,0]
	v_mul_f32_e32 v28, v38, v42
	v_fmac_f32_e32 v1, v40, v41
	v_and_b32_e32 v41, 0xffff, v43
	v_and_b32_e32 v42, 0xffff, v53
	;; [unrolled: 1-line block ×3, first 2 shown]
	v_or_b32_e32 v61, v64, v61
	s_waitcnt lgkmcnt(0)
	v_and_b32_e32 v38, 0xffff, v11
	v_lshrrev_b32_e32 v11, 16, v11
	v_and_b32_e32 v43, 0xffff, v12
	v_lshrrev_b32_e32 v12, 16, v12
	;;#ASMSTART
	v_cvt_f32_f16 v38, v38;
	;;#ASMEND
	;;#ASMSTART
	v_cvt_f32_f16 v40, v11;
	;;#ASMEND
	;; [unrolled: 3-line block ×6, first 2 shown]
	v_and_b32_e32 v11, 0xffff, v52
	v_and_b32_e32 v12, 0xffff, v51
	;; [unrolled: 1-line block ×3, first 2 shown]
	v_lshrrev_b32_e32 v13, 16, v13
	;;#ASMSTART
	v_cvt_f32_f16 v51, v11;
	;;#ASMEND
	;;#ASMSTART
	v_cvt_f32_f16 v52, v12;
	;;#ASMEND
	;; [unrolled: 3-line block ×4, first 2 shown]
	v_and_b32_e32 v11, 0xffff, v56
	v_and_b32_e32 v12, 0xffff, v14
	v_lshrrev_b32_e32 v13, 16, v14
	v_and_b32_e32 v14, 0xffff, v57
	;;#ASMSTART
	v_cvt_f32_f16 v55, v55;
	;;#ASMEND
	v_and_b32_e32 v56, 0xffff, v59
	;;#ASMSTART
	v_cvt_f32_f16 v57, v11;
	;;#ASMEND
	;;#ASMSTART
	v_cvt_f32_f16 v59, v12;
	;;#ASMEND
	;; [unrolled: 3-line block ×5, first 2 shown]
	ds_read_b128 v[11:14], v2 offset:80
	v_or_b32_e32 v45, v98, v93
	v_or_b32_e32 v46, v96, v97
	v_fmac_f32_e32 v27, v108, v115
	v_or_b32_e32 v108, v87, v84
	v_fma_mixlo_f16 v84, v23, v65, 0 op_sel_hi:[0,1,0]
	v_or_b32_e32 v65, v70, v67
	v_or_b32_e32 v66, v74, v71
	v_fma_mixlo_f16 v64, v23, v64, 0 op_sel:[0,1,0] op_sel_hi:[0,1,0]
	v_fma_mixlo_f16 v67, v23, v61, 0 op_sel_hi:[0,1,0]
	v_fmac_f32_e32 v26, v109, v111
	v_or_b32_e32 v109, v80, v81
	v_fma_mixlo_f16 v81, v23, v68, 0 op_sel:[0,1,0] op_sel_hi:[0,1,0]
	v_fma_mixlo_f16 v32, v23, v89, 0 op_sel:[0,1,0] op_sel_hi:[0,1,0]
	v_fma_mixlo_f16 v56, v23, v45, 0 op_sel_hi:[0,1,0]
	v_fma_mixlo_f16 v45, v23, v46, 0 op_sel_hi:[0,1,0]
	v_fma_mixlo_f16 v46, v23, v96, 0 op_sel:[0,1,0] op_sel_hi:[0,1,0]
	v_fma_mixlo_f16 v89, v23, v70, 0 op_sel:[0,1,0] op_sel_hi:[0,1,0]
	v_fma_mixlo_f16 v70, v23, v65, 0 op_sel_hi:[0,1,0]
	v_fma_mixlo_f16 v93, v23, v66, 0 op_sel_hi:[0,1,0]
	v_fma_mixlo_f16 v96, v23, v74, 0 op_sel:[0,1,0] op_sel_hi:[0,1,0]
	s_waitcnt lgkmcnt(0)
	v_and_b32_e32 v61, 0xffff, v11
	v_lshrrev_b32_e32 v11, 16, v11
	v_and_b32_e32 v65, 0xffff, v67
	v_and_b32_e32 v66, 0xffff, v64
	;; [unrolled: 1-line block ×3, first 2 shown]
	v_lshrrev_b32_e32 v12, 16, v12
	;;#ASMSTART
	v_cvt_f32_f16 v61, v61;
	;;#ASMEND
	;;#ASMSTART
	v_cvt_f32_f16 v64, v11;
	;;#ASMEND
	;; [unrolled: 3-line block ×6, first 2 shown]
	v_and_b32_e32 v11, 0xffff, v84
	v_and_b32_e32 v12, 0xffff, v81
	;; [unrolled: 1-line block ×3, first 2 shown]
	v_lshrrev_b32_e32 v13, 16, v13
	v_fma_mixlo_f16 v31, v23, v98, 0 op_sel:[0,1,0] op_sel_hi:[0,1,0]
	v_and_b32_e32 v84, 0xffff, v70
	;;#ASMSTART
	v_cvt_f32_f16 v70, v11;
	;;#ASMEND
	;;#ASMSTART
	v_cvt_f32_f16 v71, v12;
	;;#ASMEND
	;; [unrolled: 3-line block ×4, first 2 shown]
	v_and_b32_e32 v11, 0xffff, v89
	v_and_b32_e32 v12, 0xffff, v14
	v_lshrrev_b32_e32 v13, 16, v14
	v_and_b32_e32 v14, 0xffff, v93
	v_and_b32_e32 v98, 0xffff, v96
	;;#ASMSTART
	v_cvt_f32_f16 v84, v84;
	;;#ASMEND
	;;#ASMSTART
	v_cvt_f32_f16 v89, v11;
	;;#ASMEND
	;; [unrolled: 3-line block ×6, first 2 shown]
	ds_read_b128 v[11:14], v2 offset:96
	v_or_b32_e32 v69, v72, v69
	v_or_b32_e32 v73, v76, v73
	;; [unrolled: 1-line block ×4, first 2 shown]
	v_fmac_f32_e32 v28, v110, v112
	v_fma_mixlo_f16 v69, v23, v69, 0 op_sel_hi:[0,1,0]
	v_fma_mixlo_f16 v76, v23, v76, 0 op_sel:[0,1,0] op_sel_hi:[0,1,0]
	v_fma_mixlo_f16 v73, v23, v73, 0 op_sel_hi:[0,1,0]
	v_fma_mixlo_f16 v72, v23, v72, 0 op_sel:[0,1,0] op_sel_hi:[0,1,0]
	v_fmac_f32_e32 v24, v118, v120
	v_fma_mixlo_f16 v118, v23, v80, 0 op_sel:[0,1,0] op_sel_hi:[0,1,0]
	v_or_b32_e32 v80, v86, v82
	v_or_b32_e32 v82, v83, v85
	v_fma_mixlo_f16 v85, v23, v77, 0 op_sel:[0,1,0] op_sel_hi:[0,1,0]
	v_fma_mixlo_f16 v75, v23, v75, 0 op_sel_hi:[0,1,0]
	v_fma_mixlo_f16 v78, v23, v78, 0 op_sel_hi:[0,1,0]
	v_fma_mixlo_f16 v79, v23, v79, 0 op_sel:[0,1,0] op_sel_hi:[0,1,0]
	v_and_b32_e32 v69, 0xffff, v69
	v_fmac_f32_e32 v25, v117, v119
	s_waitcnt lgkmcnt(0)
	v_and_b32_e32 v77, 0xffff, v11
	v_lshrrev_b32_e32 v11, 16, v11
	;;#ASMSTART
	v_cvt_f32_f16 v110, v77;
	;;#ASMEND
	v_and_b32_e32 v77, 0xffff, v12
	v_lshrrev_b32_e32 v12, 16, v12
	v_fma_mixlo_f16 v117, v23, v108, 0 op_sel_hi:[0,1,0]
	v_fma_mixlo_f16 v119, v23, v109, 0 op_sel_hi:[0,1,0]
	v_fmac_f32_e32 v26, v104, v106
	v_fmac_f32_e32 v28, v105, v107
	v_and_b32_e32 v72, 0xffff, v72
	;;#ASMSTART
	v_cvt_f32_f16 v106, v11;
	;;#ASMEND
	;;#ASMSTART
	v_cvt_f32_f16 v111, v69;
	;;#ASMEND
	;; [unrolled: 3-line block ×5, first 2 shown]
	v_and_b32_e32 v11, 0xffff, v73
	v_and_b32_e32 v12, 0xffff, v76
	;; [unrolled: 1-line block ×3, first 2 shown]
	v_lshrrev_b32_e32 v13, 16, v13
	v_fmac_f32_e32 v27, v102, v113
	v_and_b32_e32 v72, 0xffff, v75
	;;#ASMSTART
	v_cvt_f32_f16 v112, v11;
	;;#ASMEND
	;;#ASMSTART
	v_cvt_f32_f16 v113, v12;
	;;#ASMEND
	;;#ASMSTART
	v_cvt_f32_f16 v75, v69;
	;;#ASMEND
	;;#ASMSTART
	v_cvt_f32_f16 v76, v13;
	;;#ASMEND
	v_and_b32_e32 v11, 0xffff, v85
	v_and_b32_e32 v12, 0xffff, v14
	v_lshrrev_b32_e32 v13, 16, v14
	v_and_b32_e32 v14, 0xffff, v78
	v_fma_mixlo_f16 v115, v23, v86, 0 op_sel:[0,1,0] op_sel_hi:[0,1,0]
	;;#ASMSTART
	v_cvt_f32_f16 v77, v72;
	;;#ASMEND
	v_and_b32_e32 v69, 0xffff, v79
	;;#ASMSTART
	v_cvt_f32_f16 v85, v11;
	;;#ASMEND
	;;#ASMSTART
	v_cvt_f32_f16 v86, v12;
	;;#ASMEND
	;; [unrolled: 3-line block ×5, first 2 shown]
	ds_read_b128 v[11:14], v2 offset:112
	v_fmac_f32_e32 v8, v121, v122
	v_fmac_f32_e32 v1, v114, v116
	v_or_b32_e32 v72, v91, v88
	v_fma_mixlo_f16 v114, v23, v83, 0 op_sel:[0,1,0] op_sel_hi:[0,1,0]
	v_or_b32_e32 v9, v10, v9
	v_or_b32_e32 v73, v94, v90
	;; [unrolled: 1-line block ×3, first 2 shown]
	v_fma_mixlo_f16 v87, v23, v87, 0 op_sel:[0,1,0] op_sel_hi:[0,1,0]
	v_fmac_f32_e32 v7, v123, v124
	v_fma_mixlo_f16 v120, v23, v80, 0 op_sel_hi:[0,1,0]
	v_fma_mixlo_f16 v116, v23, v82, 0 op_sel_hi:[0,1,0]
	;; [unrolled: 1-line block ×3, first 2 shown]
	v_fma_mixlo_f16 v78, v23, v91, 0 op_sel:[0,1,0] op_sel_hi:[0,1,0]
	v_fma_mixlo_f16 v79, v23, v72, 0 op_sel_hi:[0,1,0]
	v_fma_mixlo_f16 v80, v23, v10, 0 op_sel:[0,1,0] op_sel_hi:[0,1,0]
	v_fma_mixlo_f16 v82, v23, v9, 0 op_sel_hi:[0,1,0]
	;; [unrolled: 2-line block ×3, first 2 shown]
	v_fma_mixlo_f16 v10, v23, v83, 0 op_sel_hi:[0,1,0]
	v_fma_mixlo_f16 v9, v23, v99, 0 op_sel:[0,1,0] op_sel_hi:[0,1,0]
	s_waitcnt lgkmcnt(0)
	v_and_b32_e32 v23, 0xffff, v11
	v_fmac_f32_e32 v24, v39, v47
	v_fmac_f32_e32 v8, v48, v50
	;; [unrolled: 1-line block ×3, first 2 shown]
	v_lshrrev_b32_e32 v11, 16, v11
	v_and_b32_e32 v47, 0xffff, v119
	v_and_b32_e32 v48, 0xffff, v118
	v_and_b32_e32 v49, 0xffff, v12
	v_lshrrev_b32_e32 v12, 16, v12
	;;#ASMSTART
	v_cvt_f32_f16 v23, v23;
	;;#ASMEND
	;;#ASMSTART
	v_cvt_f32_f16 v39, v11;
	;;#ASMEND
	;; [unrolled: 3-line block ×6, first 2 shown]
	v_and_b32_e32 v11, 0xffff, v117
	v_and_b32_e32 v12, 0xffff, v87
	;; [unrolled: 1-line block ×3, first 2 shown]
	v_lshrrev_b32_e32 v13, 16, v13
	v_fmac_f32_e32 v7, v58, v92
	v_and_b32_e32 v90, 0xffff, v120
	;;#ASMSTART
	v_cvt_f32_f16 v58, v11;
	;;#ASMEND
	;;#ASMSTART
	v_cvt_f32_f16 v83, v12;
	;;#ASMEND
	;; [unrolled: 3-line block ×4, first 2 shown]
	v_and_b32_e32 v11, 0xffff, v115
	v_and_b32_e32 v12, 0xffff, v14
	v_lshrrev_b32_e32 v13, 16, v14
	v_and_b32_e32 v14, 0xffff, v116
	v_and_b32_e32 v99, 0xffff, v114
	;;#ASMSTART
	v_cvt_f32_f16 v90, v90;
	;;#ASMEND
	;;#ASMSTART
	v_cvt_f32_f16 v91, v11;
	;;#ASMEND
	;; [unrolled: 3-line block ×6, first 2 shown]
	ds_read_b128 v[11:14], v2 offset:128
	v_fmac_f32_e32 v25, v100, v101
	v_fmac_f32_e32 v1, v38, v41
	;; [unrolled: 1-line block ×5, first 2 shown]
	v_and_b32_e32 v33, 0xffff, v33
	v_and_b32_e32 v35, 0xffff, v32
	;; [unrolled: 1-line block ×3, first 2 shown]
	v_fmac_f32_e32 v25, v43, v51
	v_fmac_f32_e32 v24, v44, v52
	;; [unrolled: 1-line block ×11, first 2 shown]
	s_waitcnt lgkmcnt(0)
	v_and_b32_e32 v34, 0xffff, v11
	v_lshrrev_b32_e32 v11, 16, v11
	v_and_b32_e32 v36, 0xffff, v12
	v_lshrrev_b32_e32 v12, 16, v12
	;;#ASMSTART
	v_cvt_f32_f16 v34, v34;
	;;#ASMEND
	;;#ASMSTART
	v_cvt_f32_f16 v32, v11;
	;;#ASMEND
	;; [unrolled: 3-line block ×6, first 2 shown]
	v_and_b32_e32 v11, 0xffff, v30
	v_and_b32_e32 v12, 0xffff, v29
	;; [unrolled: 1-line block ×3, first 2 shown]
	v_lshrrev_b32_e32 v13, 16, v13
	;;#ASMSTART
	v_cvt_f32_f16 v29, v11;
	;;#ASMEND
	;;#ASMSTART
	v_cvt_f32_f16 v30, v12;
	;;#ASMEND
	;; [unrolled: 3-line block ×4, first 2 shown]
	v_and_b32_e32 v11, 0xffff, v31
	v_and_b32_e32 v12, 0xffff, v14
	v_lshrrev_b32_e32 v13, 16, v14
	v_and_b32_e32 v14, 0xffff, v45
	v_and_b32_e32 v45, 0xffff, v46
	;;#ASMSTART
	v_cvt_f32_f16 v41, v41;
	;;#ASMEND
	;;#ASMSTART
	v_cvt_f32_f16 v31, v11;
	;;#ASMEND
	;; [unrolled: 3-line block ×6, first 2 shown]
	ds_read_b128 v[11:14], v2 offset:144
	v_fmac_f32_e32 v24, v109, v113
	v_fmac_f32_e32 v8, v53, v55
	;; [unrolled: 1-line block ×13, first 2 shown]
	v_and_b32_e32 v30, 0xffff, v82
	v_fmac_f32_e32 v26, v59, v62
	v_fmac_f32_e32 v8, v75, v77
	;; [unrolled: 1-line block ×3, first 2 shown]
	v_and_b32_e32 v31, 0xffff, v80
	v_fmac_f32_e32 v28, v60, v63
	s_waitcnt lgkmcnt(0)
	v_and_b32_e32 v23, 0xffff, v11
	v_lshrrev_b32_e32 v29, 16, v11
	;;#ASMSTART
	v_cvt_f32_f16 v11, v23;
	;;#ASMEND
	;;#ASMSTART
	v_cvt_f32_f16 v23, v29;
	;;#ASMEND
	;; [unrolled: 3-line block ×4, first 2 shown]
	v_fmac_f32_e32 v1, v11, v29
	v_fmac_f32_e32 v7, v23, v30
	v_and_b32_e32 v11, 0xffff, v12
	v_lshrrev_b32_e32 v12, 16, v12
	v_fmac_f32_e32 v26, v93, v97
	v_fmac_f32_e32 v8, v87, v90
	v_and_b32_e32 v29, 0xffff, v79
	;;#ASMSTART
	v_cvt_f32_f16 v11, v11;
	;;#ASMEND
	;;#ASMSTART
	v_cvt_f32_f16 v12, v12;
	;;#ASMEND
	;;#ASMSTART
	v_cvt_f32_f16 v23, v29;
	;;#ASMEND
	v_fmac_f32_e32 v25, v11, v23
	v_add_f32_e32 v1, v1, v7
	v_fmac_f32_e32 v28, v96, v98
	v_fmac_f32_e32 v26, v86, v104
	;; [unrolled: 1-line block ×3, first 2 shown]
	v_and_b32_e32 v31, 0xffff, v78
	;;#ASMSTART
	v_cvt_f32_f16 v29, v31;
	;;#ASMEND
	v_fmac_f32_e32 v24, v12, v29
	v_add_f32_e32 v1, v1, v25
	v_and_b32_e32 v11, 0xffff, v13
	v_lshrrev_b32_e32 v12, 16, v13
	v_fmac_f32_e32 v28, v102, v105
	v_fmac_f32_e32 v26, v92, v95
	v_and_b32_e32 v13, 0xffff, v73
	;;#ASMSTART
	v_cvt_f32_f16 v7, v11;
	;;#ASMEND
	;;#ASMSTART
	v_cvt_f32_f16 v11, v12;
	;;#ASMEND
	;;#ASMSTART
	v_cvt_f32_f16 v12, v13;
	;;#ASMEND
	v_fmac_f32_e32 v8, v7, v12
	v_add_f32_e32 v1, v24, v1
	v_add_nc_u32_e32 v69, s30, v16
	v_fmac_f32_e32 v28, v94, v99
	v_fmac_f32_e32 v26, v42, v44
	v_and_b32_e32 v23, 0xffff, v72
	;;#ASMSTART
	v_cvt_f32_f16 v13, v23;
	;;#ASMEND
	v_fmac_f32_e32 v27, v11, v13
	v_add_f32_e32 v1, v1, v8
	v_and_b32_e32 v7, 0xffff, v14
	v_and_b32_e32 v10, 0xffff, v10
	v_cvt_f32_i32_e32 v69, v69
	v_fmac_f32_e32 v28, v43, v45
	v_lshrrev_b32_e32 v12, 16, v14
	;;#ASMSTART
	v_cvt_f32_f16 v7, v7;
	;;#ASMEND
	;;#ASMSTART
	v_cvt_f32_f16 v8, v12;
	;;#ASMEND
	;; [unrolled: 3-line block ×3, first 2 shown]
	v_fmac_f32_e32 v26, v7, v10
	v_add_f32_e32 v1, v27, v1
	v_and_b32_e32 v9, 0xffff, v9
	v_mul_f32_e32 v7, s28, v69
	;;#ASMSTART
	v_cvt_f32_f16 v9, v9;
	;;#ASMEND
	v_fmac_f32_e32 v28, v8, v9
	v_add_f32_e32 v1, v1, v26
	v_cmp_gt_i32_e64 s1, s11, v16
	v_cndmask_b32_e32 v7, 0, v7, vcc_lo
	v_add_nc_u32_e32 v22, 4, v22
	v_add_co_u32 v5, s2, v5, 16
	v_add_f32_e32 v1, v28, v1
	v_add_nc_u32_e32 v16, 0x80, v16
	v_add_co_ci_u32_e64 v6, null, 0, v6, s2
	v_fmac_f32_e32 v7, s3, v1
	v_max_f32_e32 v1, v15, v15
	v_cndmask_b32_e64 v8, 0, v7, s1
	v_max_f32_e32 v1, v1, v7
	ds_write_b32 v19, v8
	v_cndmask_b32_e64 v15, v15, v1, s1
	v_cmp_le_i32_e64 s1, s16, v22
	v_add_nc_u32_e32 v19, 0x200, v19
	s_or_b32 s31, s1, s31
	s_andn2_b32 exec_lo, exec_lo, s31
	s_cbranch_execz .LBB291_647
.LBB291_10:                             ; =>This Inner Loop Header: Depth=1
	global_load_dword v1, v[5:6], off
	v_mov_b32_e32 v24, 0
	s_waitcnt vmcnt(0)
	v_mad_i64_i32 v[7:8], null, v1, s29, v[3:4]
	global_load_dwordx2 v[9:10], v[7:8], off
	global_load_dword v23, v2, s[12:13]
	s_waitcnt vmcnt(1)
	v_cmp_ne_u16_sdwa s1, v9, v2 src0_sel:BYTE_0 src1_sel:DWORD
	s_and_saveexec_b32 s2, s1
	s_cbranch_execz .LBB291_18
; %bb.11:                               ;   in Loop: Header=BB291_10 Depth=1
	v_cmp_ne_u16_sdwa s1, v9, v17 src0_sel:BYTE_0 src1_sel:DWORD
	v_mov_b32_e32 v24, 0x8000
	s_and_saveexec_b32 s33, s1
	s_cbranch_execz .LBB291_17
; %bb.12:                               ;   in Loop: Header=BB291_10 Depth=1
	v_and_b32_e32 v25, 0x7f, v9
	v_mov_b32_e32 v24, 0x7c01
	s_mov_b32 s34, exec_lo
	v_cmpx_ne_u32_e32 0x7f, v25
	s_cbranch_execz .LBB291_16
; %bb.13:                               ;   in Loop: Header=BB291_10 Depth=1
	v_and_b32_e32 v1, 7, v9
	v_lshrrev_b32_e32 v24, 3, v25
	s_mov_b32 s35, exec_lo
	v_cmpx_gt_u32_e32 8, v25
; %bb.14:                               ;   in Loop: Header=BB291_10 Depth=1
	v_ffbh_u32_e32 v1, v1
	v_min_u32_e32 v1, 32, v1
	v_subrev_nc_u32_e32 v11, 28, v1
	v_sub_nc_u32_e32 v24, 29, v1
	v_lshlrev_b64 v[11:12], v11, v[9:10]
	v_and_b32_e32 v1, 7, v11
; %bb.15:                               ;   in Loop: Header=BB291_10 Depth=1
	s_or_b32 exec_lo, exec_lo, s35
	v_lshlrev_b32_e32 v11, 8, v9
	v_lshl_add_u32 v12, v24, 10, 0x2000
	v_lshlrev_b32_e32 v1, 7, v1
	v_and_b32_e32 v11, 0x8000, v11
	v_and_b32_e32 v12, 0xfc00, v12
	v_or3_b32 v24, v11, v12, v1
.LBB291_16:                             ;   in Loop: Header=BB291_10 Depth=1
	s_or_b32 exec_lo, exec_lo, s34
.LBB291_17:                             ;   in Loop: Header=BB291_10 Depth=1
	s_or_b32 exec_lo, exec_lo, s33
.LBB291_18:                             ;   in Loop: Header=BB291_10 Depth=1
	s_or_b32 exec_lo, exec_lo, s2
	v_lshrrev_b16 v1, 8, v9
	v_mov_b32_e32 v26, 0
	v_mov_b32_e32 v25, 0
	s_mov_b32 s2, exec_lo
	v_cmpx_ne_u16_e32 0, v1
	s_cbranch_execz .LBB291_26
; %bb.19:                               ;   in Loop: Header=BB291_10 Depth=1
	v_bfrev_b32_e32 v25, 1
	s_mov_b32 s33, exec_lo
	v_cmpx_ne_u16_e32 0x80, v1
	s_cbranch_execz .LBB291_25
; %bb.20:                               ;   in Loop: Header=BB291_10 Depth=1
	v_and_b32_sdwa v28, v1, v18 dst_sel:DWORD dst_unused:UNUSED_PAD src0_sel:WORD_0 src1_sel:DWORD
	v_mov_b32_e32 v25, 0x7c010000
	s_mov_b32 s34, exec_lo
	v_cmpx_ne_u32_e32 0x7f, v28
	s_cbranch_execz .LBB291_24
; %bb.21:                               ;   in Loop: Header=BB291_10 Depth=1
	v_and_b32_sdwa v25, v1, v20 dst_sel:DWORD dst_unused:UNUSED_PAD src0_sel:WORD_0 src1_sel:DWORD
	v_lshrrev_b32_e32 v27, 3, v28
	s_mov_b32 s35, exec_lo
	v_cmpx_gt_u32_e32 8, v28
; %bb.22:                               ;   in Loop: Header=BB291_10 Depth=1
	v_ffbh_u32_e32 v11, v25
	v_min_u32_e32 v13, 32, v11
	v_subrev_nc_u32_e32 v11, 28, v13
	v_sub_nc_u32_e32 v27, 29, v13
	v_lshlrev_b64 v[11:12], v11, v[1:2]
	v_and_b32_e32 v25, 7, v11
; %bb.23:                               ;   in Loop: Header=BB291_10 Depth=1
	s_or_b32 exec_lo, exec_lo, s35
	v_lshlrev_b32_sdwa v1, v21, v1 dst_sel:DWORD dst_unused:UNUSED_PAD src0_sel:DWORD src1_sel:WORD_0
	v_lshl_add_u32 v11, v27, 10, 0x2000
	v_and_or_b32 v1, 0x8000, v1, v11
	v_lshlrev_b32_e32 v11, 23, v25
	v_lshl_or_b32 v25, v1, 16, v11
.LBB291_24:                             ;   in Loop: Header=BB291_10 Depth=1
	s_or_b32 exec_lo, exec_lo, s34
.LBB291_25:                             ;   in Loop: Header=BB291_10 Depth=1
	s_or_b32 exec_lo, exec_lo, s33
.LBB291_26:                             ;   in Loop: Header=BB291_10 Depth=1
	s_or_b32 exec_lo, exec_lo, s2
	v_lshrrev_b32_e32 v1, 16, v9
	v_cmp_ne_u16_sdwa s1, v1, v2 src0_sel:BYTE_0 src1_sel:DWORD
	s_and_saveexec_b32 s2, s1
	s_cbranch_execz .LBB291_34
; %bb.27:                               ;   in Loop: Header=BB291_10 Depth=1
	v_cmp_ne_u16_sdwa s1, v1, v17 src0_sel:BYTE_0 src1_sel:DWORD
	v_mov_b32_e32 v26, 0x8000
	s_and_saveexec_b32 s33, s1
	s_cbranch_execz .LBB291_33
; %bb.28:                               ;   in Loop: Header=BB291_10 Depth=1
	v_bfe_u32 v28, v9, 16, 7
	v_mov_b32_e32 v26, 0x7c01
	s_mov_b32 s34, exec_lo
	v_cmpx_ne_u32_e32 0x7f, v28
	s_cbranch_execz .LBB291_32
; %bb.29:                               ;   in Loop: Header=BB291_10 Depth=1
	v_and_b32_e32 v26, 7, v1
	v_lshrrev_b32_e32 v27, 3, v28
	s_mov_b32 s35, exec_lo
	v_cmpx_gt_u32_e32 8, v28
; %bb.30:                               ;   in Loop: Header=BB291_10 Depth=1
	v_ffbh_u32_e32 v11, v26
	v_min_u32_e32 v13, 32, v11
	v_subrev_nc_u32_e32 v11, 28, v13
	v_sub_nc_u32_e32 v27, 29, v13
	v_lshlrev_b64 v[11:12], v11, v[1:2]
	v_and_b32_e32 v26, 7, v11
; %bb.31:                               ;   in Loop: Header=BB291_10 Depth=1
	s_or_b32 exec_lo, exec_lo, s35
	v_lshlrev_b32_e32 v1, 8, v1
	v_lshl_add_u32 v11, v27, 10, 0x2000
	v_lshlrev_b32_e32 v12, 7, v26
	v_and_b32_e32 v1, 0x8000, v1
	v_and_b32_e32 v11, 0xfc00, v11
	v_or3_b32 v26, v1, v11, v12
.LBB291_32:                             ;   in Loop: Header=BB291_10 Depth=1
	s_or_b32 exec_lo, exec_lo, s34
.LBB291_33:                             ;   in Loop: Header=BB291_10 Depth=1
	s_or_b32 exec_lo, exec_lo, s33
.LBB291_34:                             ;   in Loop: Header=BB291_10 Depth=1
	s_or_b32 exec_lo, exec_lo, s2
	v_mov_b32_e32 v27, 0
	v_mov_b32_e32 v28, 0
	s_mov_b32 s2, exec_lo
	v_cmpx_lt_u32_e32 0xffffff, v9
	s_cbranch_execz .LBB291_42
; %bb.35:                               ;   in Loop: Header=BB291_10 Depth=1
	v_lshrrev_b32_e32 v1, 24, v9
	v_bfrev_b32_e32 v28, 1
	s_mov_b32 s33, exec_lo
	v_cmpx_ne_u32_e32 0x80, v1
	s_cbranch_execz .LBB291_41
; %bb.36:                               ;   in Loop: Header=BB291_10 Depth=1
	v_and_b32_e32 v30, 0x7f, v1
	v_mov_b32_e32 v28, 0x7c010000
	s_mov_b32 s34, exec_lo
	v_cmpx_ne_u32_e32 0x7f, v30
	s_cbranch_execz .LBB291_40
; %bb.37:                               ;   in Loop: Header=BB291_10 Depth=1
	v_and_b32_e32 v28, 7, v1
	v_lshrrev_b32_e32 v29, 3, v30
	s_mov_b32 s35, exec_lo
	v_cmpx_gt_u32_e32 8, v30
; %bb.38:                               ;   in Loop: Header=BB291_10 Depth=1
	v_ffbh_u32_e32 v11, v28
	v_min_u32_e32 v13, 32, v11
	v_subrev_nc_u32_e32 v11, 28, v13
	v_sub_nc_u32_e32 v29, 29, v13
	v_lshlrev_b64 v[11:12], v11, v[1:2]
	v_and_b32_e32 v28, 7, v11
; %bb.39:                               ;   in Loop: Header=BB291_10 Depth=1
	s_or_b32 exec_lo, exec_lo, s35
	v_lshlrev_b32_e32 v1, 8, v1
	v_lshl_add_u32 v11, v29, 10, 0x2000
	v_and_or_b32 v1, 0x8000, v1, v11
	v_lshlrev_b32_e32 v11, 23, v28
	v_lshl_or_b32 v28, v1, 16, v11
.LBB291_40:                             ;   in Loop: Header=BB291_10 Depth=1
	s_or_b32 exec_lo, exec_lo, s34
.LBB291_41:                             ;   in Loop: Header=BB291_10 Depth=1
	s_or_b32 exec_lo, exec_lo, s33
.LBB291_42:                             ;   in Loop: Header=BB291_10 Depth=1
	s_or_b32 exec_lo, exec_lo, s2
	v_mov_b32_e32 v1, v10
	v_cmp_ne_u16_sdwa s1, v10, v2 src0_sel:BYTE_0 src1_sel:DWORD
	s_and_saveexec_b32 s2, s1
	s_cbranch_execz .LBB291_50
; %bb.43:                               ;   in Loop: Header=BB291_10 Depth=1
	v_cmp_ne_u16_sdwa s1, v10, v17 src0_sel:BYTE_0 src1_sel:DWORD
	v_mov_b32_e32 v27, 0x8000
	s_and_saveexec_b32 s33, s1
	s_cbranch_execz .LBB291_49
; %bb.44:                               ;   in Loop: Header=BB291_10 Depth=1
	v_and_b32_e32 v30, 0x7f, v10
	v_mov_b32_e32 v27, 0x7c01
	s_mov_b32 s34, exec_lo
	v_cmpx_ne_u32_e32 0x7f, v30
	s_cbranch_execz .LBB291_48
; %bb.45:                               ;   in Loop: Header=BB291_10 Depth=1
	v_and_b32_e32 v27, 7, v10
	v_lshrrev_b32_e32 v29, 3, v30
	s_mov_b32 s35, exec_lo
	v_cmpx_gt_u32_e32 8, v30
; %bb.46:                               ;   in Loop: Header=BB291_10 Depth=1
	v_ffbh_u32_e32 v11, v27
	v_min_u32_e32 v13, 32, v11
	v_subrev_nc_u32_e32 v11, 28, v13
	v_sub_nc_u32_e32 v29, 29, v13
	v_lshlrev_b64 v[11:12], v11, v[1:2]
	v_and_b32_e32 v27, 7, v11
; %bb.47:                               ;   in Loop: Header=BB291_10 Depth=1
	s_or_b32 exec_lo, exec_lo, s35
	v_lshlrev_b32_e32 v11, 8, v10
	v_lshl_add_u32 v12, v29, 10, 0x2000
	v_lshlrev_b32_e32 v13, 7, v27
	v_and_b32_e32 v11, 0x8000, v11
	v_and_b32_e32 v12, 0xfc00, v12
	v_or3_b32 v27, v11, v12, v13
.LBB291_48:                             ;   in Loop: Header=BB291_10 Depth=1
	s_or_b32 exec_lo, exec_lo, s34
.LBB291_49:                             ;   in Loop: Header=BB291_10 Depth=1
	s_or_b32 exec_lo, exec_lo, s33
.LBB291_50:                             ;   in Loop: Header=BB291_10 Depth=1
	s_or_b32 exec_lo, exec_lo, s2
	v_lshrrev_b16 v1, 8, v1
	v_mov_b32_e32 v29, 0
	v_mov_b32_e32 v30, 0
	s_mov_b32 s2, exec_lo
	v_cmpx_ne_u16_e32 0, v1
	s_cbranch_execz .LBB291_58
; %bb.51:                               ;   in Loop: Header=BB291_10 Depth=1
	v_bfrev_b32_e32 v30, 1
	s_mov_b32 s33, exec_lo
	v_cmpx_ne_u16_e32 0x80, v1
	s_cbranch_execz .LBB291_57
; %bb.52:                               ;   in Loop: Header=BB291_10 Depth=1
	v_and_b32_sdwa v32, v1, v18 dst_sel:DWORD dst_unused:UNUSED_PAD src0_sel:WORD_0 src1_sel:DWORD
	v_mov_b32_e32 v30, 0x7c010000
	s_mov_b32 s34, exec_lo
	v_cmpx_ne_u32_e32 0x7f, v32
	s_cbranch_execz .LBB291_56
; %bb.53:                               ;   in Loop: Header=BB291_10 Depth=1
	v_and_b32_sdwa v30, v1, v20 dst_sel:DWORD dst_unused:UNUSED_PAD src0_sel:WORD_0 src1_sel:DWORD
	v_lshrrev_b32_e32 v31, 3, v32
	s_mov_b32 s35, exec_lo
	v_cmpx_gt_u32_e32 8, v32
; %bb.54:                               ;   in Loop: Header=BB291_10 Depth=1
	v_ffbh_u32_e32 v11, v30
	v_min_u32_e32 v13, 32, v11
	v_subrev_nc_u32_e32 v11, 28, v13
	v_sub_nc_u32_e32 v31, 29, v13
	v_lshlrev_b64 v[11:12], v11, v[1:2]
	v_and_b32_e32 v30, 7, v11
; %bb.55:                               ;   in Loop: Header=BB291_10 Depth=1
	s_or_b32 exec_lo, exec_lo, s35
	v_lshlrev_b32_sdwa v1, v21, v1 dst_sel:DWORD dst_unused:UNUSED_PAD src0_sel:DWORD src1_sel:WORD_0
	v_lshl_add_u32 v11, v31, 10, 0x2000
	v_and_or_b32 v1, 0x8000, v1, v11
	v_lshlrev_b32_e32 v11, 23, v30
	v_lshl_or_b32 v30, v1, 16, v11
.LBB291_56:                             ;   in Loop: Header=BB291_10 Depth=1
	s_or_b32 exec_lo, exec_lo, s34
.LBB291_57:                             ;   in Loop: Header=BB291_10 Depth=1
	s_or_b32 exec_lo, exec_lo, s33
.LBB291_58:                             ;   in Loop: Header=BB291_10 Depth=1
	s_or_b32 exec_lo, exec_lo, s2
	v_lshrrev_b32_e32 v1, 16, v10
	v_cmp_ne_u16_sdwa s1, v1, v2 src0_sel:BYTE_0 src1_sel:DWORD
	s_and_saveexec_b32 s2, s1
	s_cbranch_execz .LBB291_66
; %bb.59:                               ;   in Loop: Header=BB291_10 Depth=1
	v_cmp_ne_u16_sdwa s1, v1, v17 src0_sel:BYTE_0 src1_sel:DWORD
	v_mov_b32_e32 v29, 0x8000
	s_and_saveexec_b32 s33, s1
	s_cbranch_execz .LBB291_65
; %bb.60:                               ;   in Loop: Header=BB291_10 Depth=1
	v_bfe_u32 v32, v10, 16, 7
	v_mov_b32_e32 v29, 0x7c01
	s_mov_b32 s34, exec_lo
	v_cmpx_ne_u32_e32 0x7f, v32
	s_cbranch_execz .LBB291_64
; %bb.61:                               ;   in Loop: Header=BB291_10 Depth=1
	v_and_b32_e32 v29, 7, v1
	v_lshrrev_b32_e32 v31, 3, v32
	s_mov_b32 s35, exec_lo
	v_cmpx_gt_u32_e32 8, v32
; %bb.62:                               ;   in Loop: Header=BB291_10 Depth=1
	v_ffbh_u32_e32 v11, v29
	v_min_u32_e32 v13, 32, v11
	v_subrev_nc_u32_e32 v11, 28, v13
	v_sub_nc_u32_e32 v31, 29, v13
	v_lshlrev_b64 v[11:12], v11, v[1:2]
	v_and_b32_e32 v29, 7, v11
; %bb.63:                               ;   in Loop: Header=BB291_10 Depth=1
	s_or_b32 exec_lo, exec_lo, s35
	v_lshlrev_b32_e32 v1, 8, v1
	v_lshl_add_u32 v11, v31, 10, 0x2000
	v_lshlrev_b32_e32 v12, 7, v29
	v_and_b32_e32 v1, 0x8000, v1
	v_and_b32_e32 v11, 0xfc00, v11
	v_or3_b32 v29, v1, v11, v12
.LBB291_64:                             ;   in Loop: Header=BB291_10 Depth=1
	s_or_b32 exec_lo, exec_lo, s34
.LBB291_65:                             ;   in Loop: Header=BB291_10 Depth=1
	s_or_b32 exec_lo, exec_lo, s33
.LBB291_66:                             ;   in Loop: Header=BB291_10 Depth=1
	s_or_b32 exec_lo, exec_lo, s2
	v_mov_b32_e32 v31, 0
	v_mov_b32_e32 v32, 0
	s_mov_b32 s2, exec_lo
	v_cmpx_lt_u64_e64 s[4:5], v[9:10]
	s_cbranch_execz .LBB291_74
; %bb.67:                               ;   in Loop: Header=BB291_10 Depth=1
	v_lshrrev_b32_e32 v1, 24, v10
	v_bfrev_b32_e32 v32, 1
	s_mov_b32 s33, exec_lo
	v_cmpx_ne_u32_e32 0x80, v1
	s_cbranch_execz .LBB291_73
; %bb.68:                               ;   in Loop: Header=BB291_10 Depth=1
	v_and_b32_e32 v33, 0x7f, v1
	v_mov_b32_e32 v32, 0x7c010000
	s_mov_b32 s34, exec_lo
	v_cmpx_ne_u32_e32 0x7f, v33
	s_cbranch_execz .LBB291_72
; %bb.69:                               ;   in Loop: Header=BB291_10 Depth=1
	v_and_b32_e32 v9, 7, v1
	v_lshrrev_b32_e32 v10, 3, v33
	s_mov_b32 s35, exec_lo
	v_cmpx_gt_u32_e32 8, v33
; %bb.70:                               ;   in Loop: Header=BB291_10 Depth=1
	v_ffbh_u32_e32 v9, v9
	v_min_u32_e32 v11, 32, v9
	v_subrev_nc_u32_e32 v9, 28, v11
	v_lshlrev_b64 v[9:10], v9, v[1:2]
	v_sub_nc_u32_e32 v10, 29, v11
	v_and_b32_e32 v9, 7, v9
; %bb.71:                               ;   in Loop: Header=BB291_10 Depth=1
	s_or_b32 exec_lo, exec_lo, s35
	v_lshlrev_b32_e32 v1, 8, v1
	v_lshl_add_u32 v10, v10, 10, 0x2000
	v_lshlrev_b32_e32 v9, 23, v9
	v_and_or_b32 v1, 0x8000, v1, v10
	v_lshl_or_b32 v32, v1, 16, v9
.LBB291_72:                             ;   in Loop: Header=BB291_10 Depth=1
	s_or_b32 exec_lo, exec_lo, s34
.LBB291_73:                             ;   in Loop: Header=BB291_10 Depth=1
	s_or_b32 exec_lo, exec_lo, s33
.LBB291_74:                             ;   in Loop: Header=BB291_10 Depth=1
	s_or_b32 exec_lo, exec_lo, s2
	global_load_dwordx2 v[9:10], v[7:8], off offset:8
	s_waitcnt vmcnt(0)
	v_cmp_ne_u16_sdwa s1, v9, v2 src0_sel:BYTE_0 src1_sel:DWORD
	s_and_saveexec_b32 s2, s1
	s_cbranch_execz .LBB291_82
; %bb.75:                               ;   in Loop: Header=BB291_10 Depth=1
	v_cmp_ne_u16_sdwa s1, v9, v17 src0_sel:BYTE_0 src1_sel:DWORD
	v_mov_b32_e32 v31, 0x8000
	s_and_saveexec_b32 s33, s1
	s_cbranch_execz .LBB291_81
; %bb.76:                               ;   in Loop: Header=BB291_10 Depth=1
	v_and_b32_e32 v33, 0x7f, v9
	v_mov_b32_e32 v31, 0x7c01
	s_mov_b32 s34, exec_lo
	v_cmpx_ne_u32_e32 0x7f, v33
	s_cbranch_execz .LBB291_80
; %bb.77:                               ;   in Loop: Header=BB291_10 Depth=1
	v_and_b32_e32 v1, 7, v9
	v_lshrrev_b32_e32 v31, 3, v33
	s_mov_b32 s35, exec_lo
	v_cmpx_gt_u32_e32 8, v33
; %bb.78:                               ;   in Loop: Header=BB291_10 Depth=1
	v_ffbh_u32_e32 v1, v1
	v_min_u32_e32 v1, 32, v1
	v_subrev_nc_u32_e32 v11, 28, v1
	v_sub_nc_u32_e32 v31, 29, v1
	v_lshlrev_b64 v[11:12], v11, v[9:10]
	v_and_b32_e32 v1, 7, v11
; %bb.79:                               ;   in Loop: Header=BB291_10 Depth=1
	s_or_b32 exec_lo, exec_lo, s35
	v_lshlrev_b32_e32 v11, 8, v9
	v_lshl_add_u32 v12, v31, 10, 0x2000
	v_lshlrev_b32_e32 v1, 7, v1
	v_and_b32_e32 v11, 0x8000, v11
	v_and_b32_e32 v12, 0xfc00, v12
	v_or3_b32 v31, v11, v12, v1
.LBB291_80:                             ;   in Loop: Header=BB291_10 Depth=1
	s_or_b32 exec_lo, exec_lo, s34
.LBB291_81:                             ;   in Loop: Header=BB291_10 Depth=1
	s_or_b32 exec_lo, exec_lo, s33
.LBB291_82:                             ;   in Loop: Header=BB291_10 Depth=1
	s_or_b32 exec_lo, exec_lo, s2
	v_lshrrev_b16 v1, 8, v9
	v_mov_b32_e32 v34, 0
	v_mov_b32_e32 v33, 0
	s_mov_b32 s2, exec_lo
	v_cmpx_ne_u16_e32 0, v1
	s_cbranch_execz .LBB291_90
; %bb.83:                               ;   in Loop: Header=BB291_10 Depth=1
	v_bfrev_b32_e32 v33, 1
	s_mov_b32 s33, exec_lo
	v_cmpx_ne_u16_e32 0x80, v1
	s_cbranch_execz .LBB291_89
; %bb.84:                               ;   in Loop: Header=BB291_10 Depth=1
	v_and_b32_sdwa v36, v1, v18 dst_sel:DWORD dst_unused:UNUSED_PAD src0_sel:WORD_0 src1_sel:DWORD
	v_mov_b32_e32 v33, 0x7c010000
	s_mov_b32 s34, exec_lo
	v_cmpx_ne_u32_e32 0x7f, v36
	s_cbranch_execz .LBB291_88
; %bb.85:                               ;   in Loop: Header=BB291_10 Depth=1
	v_and_b32_sdwa v33, v1, v20 dst_sel:DWORD dst_unused:UNUSED_PAD src0_sel:WORD_0 src1_sel:DWORD
	v_lshrrev_b32_e32 v35, 3, v36
	s_mov_b32 s35, exec_lo
	v_cmpx_gt_u32_e32 8, v36
; %bb.86:                               ;   in Loop: Header=BB291_10 Depth=1
	v_ffbh_u32_e32 v11, v33
	v_min_u32_e32 v13, 32, v11
	v_subrev_nc_u32_e32 v11, 28, v13
	v_sub_nc_u32_e32 v35, 29, v13
	v_lshlrev_b64 v[11:12], v11, v[1:2]
	v_and_b32_e32 v33, 7, v11
; %bb.87:                               ;   in Loop: Header=BB291_10 Depth=1
	s_or_b32 exec_lo, exec_lo, s35
	v_lshlrev_b32_sdwa v1, v21, v1 dst_sel:DWORD dst_unused:UNUSED_PAD src0_sel:DWORD src1_sel:WORD_0
	v_lshl_add_u32 v11, v35, 10, 0x2000
	v_and_or_b32 v1, 0x8000, v1, v11
	v_lshlrev_b32_e32 v11, 23, v33
	v_lshl_or_b32 v33, v1, 16, v11
.LBB291_88:                             ;   in Loop: Header=BB291_10 Depth=1
	s_or_b32 exec_lo, exec_lo, s34
.LBB291_89:                             ;   in Loop: Header=BB291_10 Depth=1
	s_or_b32 exec_lo, exec_lo, s33
.LBB291_90:                             ;   in Loop: Header=BB291_10 Depth=1
	s_or_b32 exec_lo, exec_lo, s2
	v_lshrrev_b32_e32 v1, 16, v9
	v_cmp_ne_u16_sdwa s1, v1, v2 src0_sel:BYTE_0 src1_sel:DWORD
	s_and_saveexec_b32 s2, s1
	s_cbranch_execz .LBB291_98
; %bb.91:                               ;   in Loop: Header=BB291_10 Depth=1
	v_cmp_ne_u16_sdwa s1, v1, v17 src0_sel:BYTE_0 src1_sel:DWORD
	v_mov_b32_e32 v34, 0x8000
	s_and_saveexec_b32 s33, s1
	s_cbranch_execz .LBB291_97
; %bb.92:                               ;   in Loop: Header=BB291_10 Depth=1
	v_bfe_u32 v36, v9, 16, 7
	v_mov_b32_e32 v34, 0x7c01
	s_mov_b32 s34, exec_lo
	v_cmpx_ne_u32_e32 0x7f, v36
	s_cbranch_execz .LBB291_96
; %bb.93:                               ;   in Loop: Header=BB291_10 Depth=1
	v_and_b32_e32 v34, 7, v1
	v_lshrrev_b32_e32 v35, 3, v36
	s_mov_b32 s35, exec_lo
	v_cmpx_gt_u32_e32 8, v36
; %bb.94:                               ;   in Loop: Header=BB291_10 Depth=1
	v_ffbh_u32_e32 v11, v34
	v_min_u32_e32 v13, 32, v11
	v_subrev_nc_u32_e32 v11, 28, v13
	v_sub_nc_u32_e32 v35, 29, v13
	v_lshlrev_b64 v[11:12], v11, v[1:2]
	v_and_b32_e32 v34, 7, v11
; %bb.95:                               ;   in Loop: Header=BB291_10 Depth=1
	s_or_b32 exec_lo, exec_lo, s35
	v_lshlrev_b32_e32 v1, 8, v1
	v_lshl_add_u32 v11, v35, 10, 0x2000
	v_lshlrev_b32_e32 v12, 7, v34
	v_and_b32_e32 v1, 0x8000, v1
	v_and_b32_e32 v11, 0xfc00, v11
	v_or3_b32 v34, v1, v11, v12
.LBB291_96:                             ;   in Loop: Header=BB291_10 Depth=1
	s_or_b32 exec_lo, exec_lo, s34
.LBB291_97:                             ;   in Loop: Header=BB291_10 Depth=1
	s_or_b32 exec_lo, exec_lo, s33
.LBB291_98:                             ;   in Loop: Header=BB291_10 Depth=1
	s_or_b32 exec_lo, exec_lo, s2
	v_mov_b32_e32 v35, 0
	v_mov_b32_e32 v36, 0
	s_mov_b32 s2, exec_lo
	v_cmpx_lt_u32_e32 0xffffff, v9
	s_cbranch_execz .LBB291_106
; %bb.99:                               ;   in Loop: Header=BB291_10 Depth=1
	v_lshrrev_b32_e32 v1, 24, v9
	v_bfrev_b32_e32 v36, 1
	s_mov_b32 s33, exec_lo
	v_cmpx_ne_u32_e32 0x80, v1
	s_cbranch_execz .LBB291_105
; %bb.100:                              ;   in Loop: Header=BB291_10 Depth=1
	v_and_b32_e32 v38, 0x7f, v1
	v_mov_b32_e32 v36, 0x7c010000
	s_mov_b32 s34, exec_lo
	v_cmpx_ne_u32_e32 0x7f, v38
	s_cbranch_execz .LBB291_104
; %bb.101:                              ;   in Loop: Header=BB291_10 Depth=1
	v_and_b32_e32 v36, 7, v1
	v_lshrrev_b32_e32 v37, 3, v38
	s_mov_b32 s35, exec_lo
	v_cmpx_gt_u32_e32 8, v38
; %bb.102:                              ;   in Loop: Header=BB291_10 Depth=1
	v_ffbh_u32_e32 v11, v36
	v_min_u32_e32 v13, 32, v11
	v_subrev_nc_u32_e32 v11, 28, v13
	v_sub_nc_u32_e32 v37, 29, v13
	v_lshlrev_b64 v[11:12], v11, v[1:2]
	v_and_b32_e32 v36, 7, v11
; %bb.103:                              ;   in Loop: Header=BB291_10 Depth=1
	s_or_b32 exec_lo, exec_lo, s35
	v_lshlrev_b32_e32 v1, 8, v1
	v_lshl_add_u32 v11, v37, 10, 0x2000
	v_and_or_b32 v1, 0x8000, v1, v11
	v_lshlrev_b32_e32 v11, 23, v36
	v_lshl_or_b32 v36, v1, 16, v11
.LBB291_104:                            ;   in Loop: Header=BB291_10 Depth=1
	s_or_b32 exec_lo, exec_lo, s34
.LBB291_105:                            ;   in Loop: Header=BB291_10 Depth=1
	s_or_b32 exec_lo, exec_lo, s33
.LBB291_106:                            ;   in Loop: Header=BB291_10 Depth=1
	s_or_b32 exec_lo, exec_lo, s2
	v_mov_b32_e32 v1, v10
	v_cmp_ne_u16_sdwa s1, v10, v2 src0_sel:BYTE_0 src1_sel:DWORD
	s_and_saveexec_b32 s2, s1
	s_cbranch_execz .LBB291_114
; %bb.107:                              ;   in Loop: Header=BB291_10 Depth=1
	v_cmp_ne_u16_sdwa s1, v10, v17 src0_sel:BYTE_0 src1_sel:DWORD
	v_mov_b32_e32 v35, 0x8000
	s_and_saveexec_b32 s33, s1
	s_cbranch_execz .LBB291_113
; %bb.108:                              ;   in Loop: Header=BB291_10 Depth=1
	v_and_b32_e32 v38, 0x7f, v10
	v_mov_b32_e32 v35, 0x7c01
	s_mov_b32 s34, exec_lo
	v_cmpx_ne_u32_e32 0x7f, v38
	s_cbranch_execz .LBB291_112
; %bb.109:                              ;   in Loop: Header=BB291_10 Depth=1
	v_and_b32_e32 v35, 7, v10
	v_lshrrev_b32_e32 v37, 3, v38
	s_mov_b32 s35, exec_lo
	v_cmpx_gt_u32_e32 8, v38
; %bb.110:                              ;   in Loop: Header=BB291_10 Depth=1
	v_ffbh_u32_e32 v11, v35
	v_min_u32_e32 v13, 32, v11
	v_subrev_nc_u32_e32 v11, 28, v13
	v_sub_nc_u32_e32 v37, 29, v13
	v_lshlrev_b64 v[11:12], v11, v[1:2]
	v_and_b32_e32 v35, 7, v11
; %bb.111:                              ;   in Loop: Header=BB291_10 Depth=1
	s_or_b32 exec_lo, exec_lo, s35
	v_lshlrev_b32_e32 v11, 8, v10
	v_lshl_add_u32 v12, v37, 10, 0x2000
	v_lshlrev_b32_e32 v13, 7, v35
	v_and_b32_e32 v11, 0x8000, v11
	v_and_b32_e32 v12, 0xfc00, v12
	v_or3_b32 v35, v11, v12, v13
.LBB291_112:                            ;   in Loop: Header=BB291_10 Depth=1
	s_or_b32 exec_lo, exec_lo, s34
.LBB291_113:                            ;   in Loop: Header=BB291_10 Depth=1
	s_or_b32 exec_lo, exec_lo, s33
.LBB291_114:                            ;   in Loop: Header=BB291_10 Depth=1
	s_or_b32 exec_lo, exec_lo, s2
	v_lshrrev_b16 v1, 8, v1
	v_mov_b32_e32 v39, 0
	v_mov_b32_e32 v38, 0
	s_mov_b32 s2, exec_lo
	v_cmpx_ne_u16_e32 0, v1
	s_cbranch_execz .LBB291_122
; %bb.115:                              ;   in Loop: Header=BB291_10 Depth=1
	v_bfrev_b32_e32 v38, 1
	s_mov_b32 s33, exec_lo
	v_cmpx_ne_u16_e32 0x80, v1
	s_cbranch_execz .LBB291_121
; %bb.116:                              ;   in Loop: Header=BB291_10 Depth=1
	v_and_b32_sdwa v40, v1, v18 dst_sel:DWORD dst_unused:UNUSED_PAD src0_sel:WORD_0 src1_sel:DWORD
	v_mov_b32_e32 v38, 0x7c010000
	s_mov_b32 s34, exec_lo
	v_cmpx_ne_u32_e32 0x7f, v40
	s_cbranch_execz .LBB291_120
; %bb.117:                              ;   in Loop: Header=BB291_10 Depth=1
	v_and_b32_sdwa v37, v1, v20 dst_sel:DWORD dst_unused:UNUSED_PAD src0_sel:WORD_0 src1_sel:DWORD
	v_lshrrev_b32_e32 v38, 3, v40
	s_mov_b32 s35, exec_lo
	v_cmpx_gt_u32_e32 8, v40
; %bb.118:                              ;   in Loop: Header=BB291_10 Depth=1
	v_ffbh_u32_e32 v11, v37
	v_min_u32_e32 v13, 32, v11
	v_subrev_nc_u32_e32 v11, 28, v13
	v_sub_nc_u32_e32 v38, 29, v13
	v_lshlrev_b64 v[11:12], v11, v[1:2]
	v_and_b32_e32 v37, 7, v11
; %bb.119:                              ;   in Loop: Header=BB291_10 Depth=1
	s_or_b32 exec_lo, exec_lo, s35
	v_lshlrev_b32_sdwa v1, v21, v1 dst_sel:DWORD dst_unused:UNUSED_PAD src0_sel:DWORD src1_sel:WORD_0
	v_lshl_add_u32 v11, v38, 10, 0x2000
	v_and_or_b32 v1, 0x8000, v1, v11
	v_lshlrev_b32_e32 v11, 23, v37
	v_lshl_or_b32 v38, v1, 16, v11
.LBB291_120:                            ;   in Loop: Header=BB291_10 Depth=1
	s_or_b32 exec_lo, exec_lo, s34
.LBB291_121:                            ;   in Loop: Header=BB291_10 Depth=1
	s_or_b32 exec_lo, exec_lo, s33
.LBB291_122:                            ;   in Loop: Header=BB291_10 Depth=1
	s_or_b32 exec_lo, exec_lo, s2
	v_lshrrev_b32_e32 v1, 16, v10
	v_cmp_ne_u16_sdwa s1, v1, v2 src0_sel:BYTE_0 src1_sel:DWORD
	s_and_saveexec_b32 s2, s1
	s_cbranch_execz .LBB291_130
; %bb.123:                              ;   in Loop: Header=BB291_10 Depth=1
	v_cmp_ne_u16_sdwa s1, v1, v17 src0_sel:BYTE_0 src1_sel:DWORD
	v_mov_b32_e32 v39, 0x8000
	s_and_saveexec_b32 s33, s1
	s_cbranch_execz .LBB291_129
; %bb.124:                              ;   in Loop: Header=BB291_10 Depth=1
	v_bfe_u32 v40, v10, 16, 7
	v_mov_b32_e32 v39, 0x7c01
	s_mov_b32 s34, exec_lo
	v_cmpx_ne_u32_e32 0x7f, v40
	s_cbranch_execz .LBB291_128
; %bb.125:                              ;   in Loop: Header=BB291_10 Depth=1
	v_and_b32_e32 v37, 7, v1
	v_lshrrev_b32_e32 v39, 3, v40
	s_mov_b32 s35, exec_lo
	v_cmpx_gt_u32_e32 8, v40
; %bb.126:                              ;   in Loop: Header=BB291_10 Depth=1
	v_ffbh_u32_e32 v11, v37
	v_min_u32_e32 v13, 32, v11
	v_subrev_nc_u32_e32 v11, 28, v13
	v_sub_nc_u32_e32 v39, 29, v13
	v_lshlrev_b64 v[11:12], v11, v[1:2]
	v_and_b32_e32 v37, 7, v11
; %bb.127:                              ;   in Loop: Header=BB291_10 Depth=1
	s_or_b32 exec_lo, exec_lo, s35
	v_lshlrev_b32_e32 v1, 8, v1
	v_lshl_add_u32 v11, v39, 10, 0x2000
	v_lshlrev_b32_e32 v12, 7, v37
	v_and_b32_e32 v1, 0x8000, v1
	v_and_b32_e32 v11, 0xfc00, v11
	v_or3_b32 v39, v1, v11, v12
.LBB291_128:                            ;   in Loop: Header=BB291_10 Depth=1
	s_or_b32 exec_lo, exec_lo, s34
.LBB291_129:                            ;   in Loop: Header=BB291_10 Depth=1
	s_or_b32 exec_lo, exec_lo, s33
.LBB291_130:                            ;   in Loop: Header=BB291_10 Depth=1
	s_or_b32 exec_lo, exec_lo, s2
	v_mov_b32_e32 v37, 0
	v_mov_b32_e32 v42, 0
	s_mov_b32 s2, exec_lo
	v_cmpx_lt_u64_e64 s[4:5], v[9:10]
	s_cbranch_execz .LBB291_138
; %bb.131:                              ;   in Loop: Header=BB291_10 Depth=1
	v_lshrrev_b32_e32 v1, 24, v10
	v_bfrev_b32_e32 v42, 1
	s_mov_b32 s33, exec_lo
	v_cmpx_ne_u32_e32 0x80, v1
	s_cbranch_execz .LBB291_137
; %bb.132:                              ;   in Loop: Header=BB291_10 Depth=1
	v_and_b32_e32 v40, 0x7f, v1
	v_mov_b32_e32 v42, 0x7c010000
	s_mov_b32 s34, exec_lo
	v_cmpx_ne_u32_e32 0x7f, v40
	s_cbranch_execz .LBB291_136
; %bb.133:                              ;   in Loop: Header=BB291_10 Depth=1
	v_and_b32_e32 v9, 7, v1
	v_lshrrev_b32_e32 v10, 3, v40
	s_mov_b32 s35, exec_lo
	v_cmpx_gt_u32_e32 8, v40
; %bb.134:                              ;   in Loop: Header=BB291_10 Depth=1
	v_ffbh_u32_e32 v9, v9
	v_min_u32_e32 v11, 32, v9
	v_subrev_nc_u32_e32 v9, 28, v11
	v_lshlrev_b64 v[9:10], v9, v[1:2]
	v_sub_nc_u32_e32 v10, 29, v11
	v_and_b32_e32 v9, 7, v9
; %bb.135:                              ;   in Loop: Header=BB291_10 Depth=1
	s_or_b32 exec_lo, exec_lo, s35
	v_lshlrev_b32_e32 v1, 8, v1
	v_lshl_add_u32 v10, v10, 10, 0x2000
	v_lshlrev_b32_e32 v9, 23, v9
	v_and_or_b32 v1, 0x8000, v1, v10
	v_lshl_or_b32 v42, v1, 16, v9
.LBB291_136:                            ;   in Loop: Header=BB291_10 Depth=1
	s_or_b32 exec_lo, exec_lo, s34
.LBB291_137:                            ;   in Loop: Header=BB291_10 Depth=1
	s_or_b32 exec_lo, exec_lo, s33
.LBB291_138:                            ;   in Loop: Header=BB291_10 Depth=1
	s_or_b32 exec_lo, exec_lo, s2
	global_load_dwordx2 v[9:10], v[7:8], off offset:512
	s_waitcnt vmcnt(0)
	v_cmp_ne_u16_sdwa s1, v9, v2 src0_sel:BYTE_0 src1_sel:DWORD
	s_and_saveexec_b32 s2, s1
	s_cbranch_execz .LBB291_146
; %bb.139:                              ;   in Loop: Header=BB291_10 Depth=1
	v_cmp_ne_u16_sdwa s1, v9, v17 src0_sel:BYTE_0 src1_sel:DWORD
	v_mov_b32_e32 v37, 0x8000
	s_and_saveexec_b32 s33, s1
	s_cbranch_execz .LBB291_145
; %bb.140:                              ;   in Loop: Header=BB291_10 Depth=1
	v_and_b32_e32 v40, 0x7f, v9
	v_mov_b32_e32 v37, 0x7c01
	s_mov_b32 s34, exec_lo
	v_cmpx_ne_u32_e32 0x7f, v40
	s_cbranch_execz .LBB291_144
; %bb.141:                              ;   in Loop: Header=BB291_10 Depth=1
	v_and_b32_e32 v1, 7, v9
	v_lshrrev_b32_e32 v37, 3, v40
	s_mov_b32 s35, exec_lo
	v_cmpx_gt_u32_e32 8, v40
; %bb.142:                              ;   in Loop: Header=BB291_10 Depth=1
	v_ffbh_u32_e32 v1, v1
	v_min_u32_e32 v1, 32, v1
	v_subrev_nc_u32_e32 v11, 28, v1
	v_sub_nc_u32_e32 v37, 29, v1
	v_lshlrev_b64 v[11:12], v11, v[9:10]
	v_and_b32_e32 v1, 7, v11
; %bb.143:                              ;   in Loop: Header=BB291_10 Depth=1
	s_or_b32 exec_lo, exec_lo, s35
	v_lshlrev_b32_e32 v11, 8, v9
	v_lshl_add_u32 v12, v37, 10, 0x2000
	v_lshlrev_b32_e32 v1, 7, v1
	v_and_b32_e32 v11, 0x8000, v11
	v_and_b32_e32 v12, 0xfc00, v12
	v_or3_b32 v37, v11, v12, v1
.LBB291_144:                            ;   in Loop: Header=BB291_10 Depth=1
	s_or_b32 exec_lo, exec_lo, s34
.LBB291_145:                            ;   in Loop: Header=BB291_10 Depth=1
	s_or_b32 exec_lo, exec_lo, s33
.LBB291_146:                            ;   in Loop: Header=BB291_10 Depth=1
	s_or_b32 exec_lo, exec_lo, s2
	v_lshrrev_b16 v1, 8, v9
	v_mov_b32_e32 v41, 0
	v_mov_b32_e32 v40, 0
	s_mov_b32 s2, exec_lo
	v_cmpx_ne_u16_e32 0, v1
	s_cbranch_execz .LBB291_154
; %bb.147:                              ;   in Loop: Header=BB291_10 Depth=1
	v_bfrev_b32_e32 v40, 1
	s_mov_b32 s33, exec_lo
	v_cmpx_ne_u16_e32 0x80, v1
	s_cbranch_execz .LBB291_153
; %bb.148:                              ;   in Loop: Header=BB291_10 Depth=1
	v_and_b32_sdwa v44, v1, v18 dst_sel:DWORD dst_unused:UNUSED_PAD src0_sel:WORD_0 src1_sel:DWORD
	v_mov_b32_e32 v40, 0x7c010000
	s_mov_b32 s34, exec_lo
	v_cmpx_ne_u32_e32 0x7f, v44
	s_cbranch_execz .LBB291_152
; %bb.149:                              ;   in Loop: Header=BB291_10 Depth=1
	v_and_b32_sdwa v40, v1, v20 dst_sel:DWORD dst_unused:UNUSED_PAD src0_sel:WORD_0 src1_sel:DWORD
	v_lshrrev_b32_e32 v43, 3, v44
	s_mov_b32 s35, exec_lo
	v_cmpx_gt_u32_e32 8, v44
; %bb.150:                              ;   in Loop: Header=BB291_10 Depth=1
	v_ffbh_u32_e32 v11, v40
	v_min_u32_e32 v13, 32, v11
	v_subrev_nc_u32_e32 v11, 28, v13
	v_sub_nc_u32_e32 v43, 29, v13
	v_lshlrev_b64 v[11:12], v11, v[1:2]
	v_and_b32_e32 v40, 7, v11
; %bb.151:                              ;   in Loop: Header=BB291_10 Depth=1
	s_or_b32 exec_lo, exec_lo, s35
	v_lshlrev_b32_sdwa v1, v21, v1 dst_sel:DWORD dst_unused:UNUSED_PAD src0_sel:DWORD src1_sel:WORD_0
	v_lshl_add_u32 v11, v43, 10, 0x2000
	v_and_or_b32 v1, 0x8000, v1, v11
	v_lshlrev_b32_e32 v11, 23, v40
	v_lshl_or_b32 v40, v1, 16, v11
.LBB291_152:                            ;   in Loop: Header=BB291_10 Depth=1
	s_or_b32 exec_lo, exec_lo, s34
.LBB291_153:                            ;   in Loop: Header=BB291_10 Depth=1
	s_or_b32 exec_lo, exec_lo, s33
.LBB291_154:                            ;   in Loop: Header=BB291_10 Depth=1
	s_or_b32 exec_lo, exec_lo, s2
	v_lshrrev_b32_e32 v1, 16, v9
	v_cmp_ne_u16_sdwa s1, v1, v2 src0_sel:BYTE_0 src1_sel:DWORD
	s_and_saveexec_b32 s2, s1
	s_cbranch_execz .LBB291_162
; %bb.155:                              ;   in Loop: Header=BB291_10 Depth=1
	v_cmp_ne_u16_sdwa s1, v1, v17 src0_sel:BYTE_0 src1_sel:DWORD
	v_mov_b32_e32 v41, 0x8000
	s_and_saveexec_b32 s33, s1
	s_cbranch_execz .LBB291_161
; %bb.156:                              ;   in Loop: Header=BB291_10 Depth=1
	v_bfe_u32 v44, v9, 16, 7
	v_mov_b32_e32 v41, 0x7c01
	s_mov_b32 s34, exec_lo
	v_cmpx_ne_u32_e32 0x7f, v44
	s_cbranch_execz .LBB291_160
; %bb.157:                              ;   in Loop: Header=BB291_10 Depth=1
	v_and_b32_e32 v41, 7, v1
	v_lshrrev_b32_e32 v43, 3, v44
	s_mov_b32 s35, exec_lo
	v_cmpx_gt_u32_e32 8, v44
; %bb.158:                              ;   in Loop: Header=BB291_10 Depth=1
	v_ffbh_u32_e32 v11, v41
	v_min_u32_e32 v13, 32, v11
	v_subrev_nc_u32_e32 v11, 28, v13
	v_sub_nc_u32_e32 v43, 29, v13
	v_lshlrev_b64 v[11:12], v11, v[1:2]
	v_and_b32_e32 v41, 7, v11
; %bb.159:                              ;   in Loop: Header=BB291_10 Depth=1
	s_or_b32 exec_lo, exec_lo, s35
	v_lshlrev_b32_e32 v1, 8, v1
	v_lshl_add_u32 v11, v43, 10, 0x2000
	v_lshlrev_b32_e32 v12, 7, v41
	v_and_b32_e32 v1, 0x8000, v1
	v_and_b32_e32 v11, 0xfc00, v11
	v_or3_b32 v41, v1, v11, v12
.LBB291_160:                            ;   in Loop: Header=BB291_10 Depth=1
	s_or_b32 exec_lo, exec_lo, s34
.LBB291_161:                            ;   in Loop: Header=BB291_10 Depth=1
	s_or_b32 exec_lo, exec_lo, s33
.LBB291_162:                            ;   in Loop: Header=BB291_10 Depth=1
	s_or_b32 exec_lo, exec_lo, s2
	v_mov_b32_e32 v43, 0
	v_mov_b32_e32 v44, 0
	s_mov_b32 s2, exec_lo
	v_cmpx_lt_u32_e32 0xffffff, v9
	s_cbranch_execz .LBB291_170
; %bb.163:                              ;   in Loop: Header=BB291_10 Depth=1
	v_lshrrev_b32_e32 v1, 24, v9
	v_bfrev_b32_e32 v44, 1
	s_mov_b32 s33, exec_lo
	v_cmpx_ne_u32_e32 0x80, v1
	s_cbranch_execz .LBB291_169
; %bb.164:                              ;   in Loop: Header=BB291_10 Depth=1
	v_and_b32_e32 v46, 0x7f, v1
	v_mov_b32_e32 v44, 0x7c010000
	s_mov_b32 s34, exec_lo
	v_cmpx_ne_u32_e32 0x7f, v46
	s_cbranch_execz .LBB291_168
; %bb.165:                              ;   in Loop: Header=BB291_10 Depth=1
	v_and_b32_e32 v44, 7, v1
	v_lshrrev_b32_e32 v45, 3, v46
	s_mov_b32 s35, exec_lo
	v_cmpx_gt_u32_e32 8, v46
; %bb.166:                              ;   in Loop: Header=BB291_10 Depth=1
	v_ffbh_u32_e32 v11, v44
	v_min_u32_e32 v13, 32, v11
	v_subrev_nc_u32_e32 v11, 28, v13
	v_sub_nc_u32_e32 v45, 29, v13
	v_lshlrev_b64 v[11:12], v11, v[1:2]
	v_and_b32_e32 v44, 7, v11
; %bb.167:                              ;   in Loop: Header=BB291_10 Depth=1
	s_or_b32 exec_lo, exec_lo, s35
	v_lshlrev_b32_e32 v1, 8, v1
	v_lshl_add_u32 v11, v45, 10, 0x2000
	v_and_or_b32 v1, 0x8000, v1, v11
	v_lshlrev_b32_e32 v11, 23, v44
	v_lshl_or_b32 v44, v1, 16, v11
.LBB291_168:                            ;   in Loop: Header=BB291_10 Depth=1
	s_or_b32 exec_lo, exec_lo, s34
.LBB291_169:                            ;   in Loop: Header=BB291_10 Depth=1
	s_or_b32 exec_lo, exec_lo, s33
.LBB291_170:                            ;   in Loop: Header=BB291_10 Depth=1
	s_or_b32 exec_lo, exec_lo, s2
	v_mov_b32_e32 v1, v10
	v_cmp_ne_u16_sdwa s1, v10, v2 src0_sel:BYTE_0 src1_sel:DWORD
	s_and_saveexec_b32 s2, s1
	s_cbranch_execz .LBB291_178
; %bb.171:                              ;   in Loop: Header=BB291_10 Depth=1
	v_cmp_ne_u16_sdwa s1, v10, v17 src0_sel:BYTE_0 src1_sel:DWORD
	v_mov_b32_e32 v43, 0x8000
	s_and_saveexec_b32 s33, s1
	s_cbranch_execz .LBB291_177
; %bb.172:                              ;   in Loop: Header=BB291_10 Depth=1
	v_and_b32_e32 v46, 0x7f, v10
	v_mov_b32_e32 v43, 0x7c01
	s_mov_b32 s34, exec_lo
	v_cmpx_ne_u32_e32 0x7f, v46
	s_cbranch_execz .LBB291_176
; %bb.173:                              ;   in Loop: Header=BB291_10 Depth=1
	v_and_b32_e32 v43, 7, v10
	v_lshrrev_b32_e32 v45, 3, v46
	s_mov_b32 s35, exec_lo
	v_cmpx_gt_u32_e32 8, v46
; %bb.174:                              ;   in Loop: Header=BB291_10 Depth=1
	v_ffbh_u32_e32 v11, v43
	v_min_u32_e32 v13, 32, v11
	v_subrev_nc_u32_e32 v11, 28, v13
	v_sub_nc_u32_e32 v45, 29, v13
	v_lshlrev_b64 v[11:12], v11, v[1:2]
	v_and_b32_e32 v43, 7, v11
; %bb.175:                              ;   in Loop: Header=BB291_10 Depth=1
	s_or_b32 exec_lo, exec_lo, s35
	v_lshlrev_b32_e32 v11, 8, v10
	v_lshl_add_u32 v12, v45, 10, 0x2000
	v_lshlrev_b32_e32 v13, 7, v43
	v_and_b32_e32 v11, 0x8000, v11
	v_and_b32_e32 v12, 0xfc00, v12
	v_or3_b32 v43, v11, v12, v13
.LBB291_176:                            ;   in Loop: Header=BB291_10 Depth=1
	s_or_b32 exec_lo, exec_lo, s34
.LBB291_177:                            ;   in Loop: Header=BB291_10 Depth=1
	s_or_b32 exec_lo, exec_lo, s33
.LBB291_178:                            ;   in Loop: Header=BB291_10 Depth=1
	s_or_b32 exec_lo, exec_lo, s2
	v_lshrrev_b16 v1, 8, v1
	v_mov_b32_e32 v47, 0
	v_mov_b32_e32 v46, 0
	s_mov_b32 s2, exec_lo
	v_cmpx_ne_u16_e32 0, v1
	s_cbranch_execz .LBB291_186
; %bb.179:                              ;   in Loop: Header=BB291_10 Depth=1
	v_bfrev_b32_e32 v46, 1
	s_mov_b32 s33, exec_lo
	v_cmpx_ne_u16_e32 0x80, v1
	s_cbranch_execz .LBB291_185
; %bb.180:                              ;   in Loop: Header=BB291_10 Depth=1
	v_and_b32_sdwa v48, v1, v18 dst_sel:DWORD dst_unused:UNUSED_PAD src0_sel:WORD_0 src1_sel:DWORD
	v_mov_b32_e32 v46, 0x7c010000
	s_mov_b32 s34, exec_lo
	v_cmpx_ne_u32_e32 0x7f, v48
	s_cbranch_execz .LBB291_184
; %bb.181:                              ;   in Loop: Header=BB291_10 Depth=1
	v_and_b32_sdwa v45, v1, v20 dst_sel:DWORD dst_unused:UNUSED_PAD src0_sel:WORD_0 src1_sel:DWORD
	v_lshrrev_b32_e32 v46, 3, v48
	s_mov_b32 s35, exec_lo
	v_cmpx_gt_u32_e32 8, v48
; %bb.182:                              ;   in Loop: Header=BB291_10 Depth=1
	v_ffbh_u32_e32 v11, v45
	v_min_u32_e32 v13, 32, v11
	v_subrev_nc_u32_e32 v11, 28, v13
	v_sub_nc_u32_e32 v46, 29, v13
	v_lshlrev_b64 v[11:12], v11, v[1:2]
	v_and_b32_e32 v45, 7, v11
; %bb.183:                              ;   in Loop: Header=BB291_10 Depth=1
	s_or_b32 exec_lo, exec_lo, s35
	v_lshlrev_b32_sdwa v1, v21, v1 dst_sel:DWORD dst_unused:UNUSED_PAD src0_sel:DWORD src1_sel:WORD_0
	v_lshl_add_u32 v11, v46, 10, 0x2000
	v_and_or_b32 v1, 0x8000, v1, v11
	v_lshlrev_b32_e32 v11, 23, v45
	v_lshl_or_b32 v46, v1, 16, v11
.LBB291_184:                            ;   in Loop: Header=BB291_10 Depth=1
	s_or_b32 exec_lo, exec_lo, s34
.LBB291_185:                            ;   in Loop: Header=BB291_10 Depth=1
	s_or_b32 exec_lo, exec_lo, s33
.LBB291_186:                            ;   in Loop: Header=BB291_10 Depth=1
	s_or_b32 exec_lo, exec_lo, s2
	v_lshrrev_b32_e32 v1, 16, v10
	v_cmp_ne_u16_sdwa s1, v1, v2 src0_sel:BYTE_0 src1_sel:DWORD
	s_and_saveexec_b32 s2, s1
	s_cbranch_execz .LBB291_194
; %bb.187:                              ;   in Loop: Header=BB291_10 Depth=1
	v_cmp_ne_u16_sdwa s1, v1, v17 src0_sel:BYTE_0 src1_sel:DWORD
	v_mov_b32_e32 v47, 0x8000
	s_and_saveexec_b32 s33, s1
	s_cbranch_execz .LBB291_193
; %bb.188:                              ;   in Loop: Header=BB291_10 Depth=1
	v_bfe_u32 v48, v10, 16, 7
	v_mov_b32_e32 v47, 0x7c01
	s_mov_b32 s34, exec_lo
	v_cmpx_ne_u32_e32 0x7f, v48
	s_cbranch_execz .LBB291_192
; %bb.189:                              ;   in Loop: Header=BB291_10 Depth=1
	v_and_b32_e32 v45, 7, v1
	v_lshrrev_b32_e32 v47, 3, v48
	s_mov_b32 s35, exec_lo
	v_cmpx_gt_u32_e32 8, v48
; %bb.190:                              ;   in Loop: Header=BB291_10 Depth=1
	v_ffbh_u32_e32 v11, v45
	v_min_u32_e32 v13, 32, v11
	v_subrev_nc_u32_e32 v11, 28, v13
	v_sub_nc_u32_e32 v47, 29, v13
	v_lshlrev_b64 v[11:12], v11, v[1:2]
	v_and_b32_e32 v45, 7, v11
; %bb.191:                              ;   in Loop: Header=BB291_10 Depth=1
	s_or_b32 exec_lo, exec_lo, s35
	v_lshlrev_b32_e32 v1, 8, v1
	v_lshl_add_u32 v11, v47, 10, 0x2000
	v_lshlrev_b32_e32 v12, 7, v45
	v_and_b32_e32 v1, 0x8000, v1
	v_and_b32_e32 v11, 0xfc00, v11
	v_or3_b32 v47, v1, v11, v12
.LBB291_192:                            ;   in Loop: Header=BB291_10 Depth=1
	s_or_b32 exec_lo, exec_lo, s34
.LBB291_193:                            ;   in Loop: Header=BB291_10 Depth=1
	s_or_b32 exec_lo, exec_lo, s33
.LBB291_194:                            ;   in Loop: Header=BB291_10 Depth=1
	s_or_b32 exec_lo, exec_lo, s2
	v_mov_b32_e32 v45, 0
	v_mov_b32_e32 v50, 0
	s_mov_b32 s2, exec_lo
	v_cmpx_lt_u64_e64 s[4:5], v[9:10]
	s_cbranch_execz .LBB291_202
; %bb.195:                              ;   in Loop: Header=BB291_10 Depth=1
	v_lshrrev_b32_e32 v1, 24, v10
	v_bfrev_b32_e32 v50, 1
	s_mov_b32 s33, exec_lo
	v_cmpx_ne_u32_e32 0x80, v1
	s_cbranch_execz .LBB291_201
; %bb.196:                              ;   in Loop: Header=BB291_10 Depth=1
	v_and_b32_e32 v48, 0x7f, v1
	v_mov_b32_e32 v50, 0x7c010000
	s_mov_b32 s34, exec_lo
	v_cmpx_ne_u32_e32 0x7f, v48
	s_cbranch_execz .LBB291_200
; %bb.197:                              ;   in Loop: Header=BB291_10 Depth=1
	v_and_b32_e32 v9, 7, v1
	v_lshrrev_b32_e32 v10, 3, v48
	s_mov_b32 s35, exec_lo
	v_cmpx_gt_u32_e32 8, v48
; %bb.198:                              ;   in Loop: Header=BB291_10 Depth=1
	v_ffbh_u32_e32 v9, v9
	v_min_u32_e32 v11, 32, v9
	v_subrev_nc_u32_e32 v9, 28, v11
	v_lshlrev_b64 v[9:10], v9, v[1:2]
	v_sub_nc_u32_e32 v10, 29, v11
	v_and_b32_e32 v9, 7, v9
; %bb.199:                              ;   in Loop: Header=BB291_10 Depth=1
	s_or_b32 exec_lo, exec_lo, s35
	v_lshlrev_b32_e32 v1, 8, v1
	v_lshl_add_u32 v10, v10, 10, 0x2000
	v_lshlrev_b32_e32 v9, 23, v9
	v_and_or_b32 v1, 0x8000, v1, v10
	v_lshl_or_b32 v50, v1, 16, v9
.LBB291_200:                            ;   in Loop: Header=BB291_10 Depth=1
	s_or_b32 exec_lo, exec_lo, s34
.LBB291_201:                            ;   in Loop: Header=BB291_10 Depth=1
	s_or_b32 exec_lo, exec_lo, s33
.LBB291_202:                            ;   in Loop: Header=BB291_10 Depth=1
	s_or_b32 exec_lo, exec_lo, s2
	global_load_dwordx2 v[9:10], v[7:8], off offset:520
	s_waitcnt vmcnt(0)
	v_cmp_ne_u16_sdwa s1, v9, v2 src0_sel:BYTE_0 src1_sel:DWORD
	s_and_saveexec_b32 s2, s1
	s_cbranch_execz .LBB291_210
; %bb.203:                              ;   in Loop: Header=BB291_10 Depth=1
	v_cmp_ne_u16_sdwa s1, v9, v17 src0_sel:BYTE_0 src1_sel:DWORD
	v_mov_b32_e32 v45, 0x8000
	s_and_saveexec_b32 s33, s1
	s_cbranch_execz .LBB291_209
; %bb.204:                              ;   in Loop: Header=BB291_10 Depth=1
	v_and_b32_e32 v48, 0x7f, v9
	v_mov_b32_e32 v45, 0x7c01
	s_mov_b32 s34, exec_lo
	v_cmpx_ne_u32_e32 0x7f, v48
	s_cbranch_execz .LBB291_208
; %bb.205:                              ;   in Loop: Header=BB291_10 Depth=1
	v_and_b32_e32 v1, 7, v9
	v_lshrrev_b32_e32 v45, 3, v48
	s_mov_b32 s35, exec_lo
	v_cmpx_gt_u32_e32 8, v48
; %bb.206:                              ;   in Loop: Header=BB291_10 Depth=1
	v_ffbh_u32_e32 v1, v1
	v_min_u32_e32 v1, 32, v1
	v_subrev_nc_u32_e32 v11, 28, v1
	v_sub_nc_u32_e32 v45, 29, v1
	v_lshlrev_b64 v[11:12], v11, v[9:10]
	v_and_b32_e32 v1, 7, v11
; %bb.207:                              ;   in Loop: Header=BB291_10 Depth=1
	s_or_b32 exec_lo, exec_lo, s35
	v_lshlrev_b32_e32 v11, 8, v9
	v_lshl_add_u32 v12, v45, 10, 0x2000
	v_lshlrev_b32_e32 v1, 7, v1
	v_and_b32_e32 v11, 0x8000, v11
	v_and_b32_e32 v12, 0xfc00, v12
	v_or3_b32 v45, v11, v12, v1
.LBB291_208:                            ;   in Loop: Header=BB291_10 Depth=1
	s_or_b32 exec_lo, exec_lo, s34
.LBB291_209:                            ;   in Loop: Header=BB291_10 Depth=1
	s_or_b32 exec_lo, exec_lo, s33
.LBB291_210:                            ;   in Loop: Header=BB291_10 Depth=1
	s_or_b32 exec_lo, exec_lo, s2
	v_lshrrev_b16 v1, 8, v9
	v_mov_b32_e32 v49, 0
	v_mov_b32_e32 v48, 0
	s_mov_b32 s2, exec_lo
	v_cmpx_ne_u16_e32 0, v1
	s_cbranch_execz .LBB291_218
; %bb.211:                              ;   in Loop: Header=BB291_10 Depth=1
	v_bfrev_b32_e32 v48, 1
	s_mov_b32 s33, exec_lo
	v_cmpx_ne_u16_e32 0x80, v1
	s_cbranch_execz .LBB291_217
; %bb.212:                              ;   in Loop: Header=BB291_10 Depth=1
	v_and_b32_sdwa v52, v1, v18 dst_sel:DWORD dst_unused:UNUSED_PAD src0_sel:WORD_0 src1_sel:DWORD
	v_mov_b32_e32 v48, 0x7c010000
	s_mov_b32 s34, exec_lo
	v_cmpx_ne_u32_e32 0x7f, v52
	s_cbranch_execz .LBB291_216
; %bb.213:                              ;   in Loop: Header=BB291_10 Depth=1
	v_and_b32_sdwa v48, v1, v20 dst_sel:DWORD dst_unused:UNUSED_PAD src0_sel:WORD_0 src1_sel:DWORD
	v_lshrrev_b32_e32 v51, 3, v52
	s_mov_b32 s35, exec_lo
	v_cmpx_gt_u32_e32 8, v52
; %bb.214:                              ;   in Loop: Header=BB291_10 Depth=1
	v_ffbh_u32_e32 v11, v48
	v_min_u32_e32 v13, 32, v11
	v_subrev_nc_u32_e32 v11, 28, v13
	v_sub_nc_u32_e32 v51, 29, v13
	v_lshlrev_b64 v[11:12], v11, v[1:2]
	v_and_b32_e32 v48, 7, v11
; %bb.215:                              ;   in Loop: Header=BB291_10 Depth=1
	s_or_b32 exec_lo, exec_lo, s35
	v_lshlrev_b32_sdwa v1, v21, v1 dst_sel:DWORD dst_unused:UNUSED_PAD src0_sel:DWORD src1_sel:WORD_0
	v_lshl_add_u32 v11, v51, 10, 0x2000
	v_and_or_b32 v1, 0x8000, v1, v11
	v_lshlrev_b32_e32 v11, 23, v48
	v_lshl_or_b32 v48, v1, 16, v11
.LBB291_216:                            ;   in Loop: Header=BB291_10 Depth=1
	s_or_b32 exec_lo, exec_lo, s34
.LBB291_217:                            ;   in Loop: Header=BB291_10 Depth=1
	s_or_b32 exec_lo, exec_lo, s33
.LBB291_218:                            ;   in Loop: Header=BB291_10 Depth=1
	s_or_b32 exec_lo, exec_lo, s2
	v_lshrrev_b32_e32 v1, 16, v9
	v_cmp_ne_u16_sdwa s1, v1, v2 src0_sel:BYTE_0 src1_sel:DWORD
	s_and_saveexec_b32 s2, s1
	s_cbranch_execz .LBB291_226
; %bb.219:                              ;   in Loop: Header=BB291_10 Depth=1
	v_cmp_ne_u16_sdwa s1, v1, v17 src0_sel:BYTE_0 src1_sel:DWORD
	v_mov_b32_e32 v49, 0x8000
	s_and_saveexec_b32 s33, s1
	s_cbranch_execz .LBB291_225
; %bb.220:                              ;   in Loop: Header=BB291_10 Depth=1
	v_bfe_u32 v52, v9, 16, 7
	v_mov_b32_e32 v49, 0x7c01
	s_mov_b32 s34, exec_lo
	v_cmpx_ne_u32_e32 0x7f, v52
	s_cbranch_execz .LBB291_224
; %bb.221:                              ;   in Loop: Header=BB291_10 Depth=1
	v_and_b32_e32 v49, 7, v1
	v_lshrrev_b32_e32 v51, 3, v52
	s_mov_b32 s35, exec_lo
	v_cmpx_gt_u32_e32 8, v52
; %bb.222:                              ;   in Loop: Header=BB291_10 Depth=1
	v_ffbh_u32_e32 v11, v49
	v_min_u32_e32 v13, 32, v11
	v_subrev_nc_u32_e32 v11, 28, v13
	v_sub_nc_u32_e32 v51, 29, v13
	v_lshlrev_b64 v[11:12], v11, v[1:2]
	v_and_b32_e32 v49, 7, v11
; %bb.223:                              ;   in Loop: Header=BB291_10 Depth=1
	s_or_b32 exec_lo, exec_lo, s35
	v_lshlrev_b32_e32 v1, 8, v1
	v_lshl_add_u32 v11, v51, 10, 0x2000
	v_lshlrev_b32_e32 v12, 7, v49
	v_and_b32_e32 v1, 0x8000, v1
	v_and_b32_e32 v11, 0xfc00, v11
	v_or3_b32 v49, v1, v11, v12
.LBB291_224:                            ;   in Loop: Header=BB291_10 Depth=1
	s_or_b32 exec_lo, exec_lo, s34
.LBB291_225:                            ;   in Loop: Header=BB291_10 Depth=1
	s_or_b32 exec_lo, exec_lo, s33
.LBB291_226:                            ;   in Loop: Header=BB291_10 Depth=1
	s_or_b32 exec_lo, exec_lo, s2
	v_mov_b32_e32 v51, 0
	v_mov_b32_e32 v52, 0
	s_mov_b32 s2, exec_lo
	v_cmpx_lt_u32_e32 0xffffff, v9
	s_cbranch_execz .LBB291_234
; %bb.227:                              ;   in Loop: Header=BB291_10 Depth=1
	v_lshrrev_b32_e32 v1, 24, v9
	v_bfrev_b32_e32 v52, 1
	s_mov_b32 s33, exec_lo
	v_cmpx_ne_u32_e32 0x80, v1
	s_cbranch_execz .LBB291_233
; %bb.228:                              ;   in Loop: Header=BB291_10 Depth=1
	v_and_b32_e32 v54, 0x7f, v1
	v_mov_b32_e32 v52, 0x7c010000
	s_mov_b32 s34, exec_lo
	v_cmpx_ne_u32_e32 0x7f, v54
	s_cbranch_execz .LBB291_232
; %bb.229:                              ;   in Loop: Header=BB291_10 Depth=1
	v_and_b32_e32 v52, 7, v1
	v_lshrrev_b32_e32 v53, 3, v54
	s_mov_b32 s35, exec_lo
	v_cmpx_gt_u32_e32 8, v54
; %bb.230:                              ;   in Loop: Header=BB291_10 Depth=1
	v_ffbh_u32_e32 v11, v52
	v_min_u32_e32 v13, 32, v11
	v_subrev_nc_u32_e32 v11, 28, v13
	v_sub_nc_u32_e32 v53, 29, v13
	v_lshlrev_b64 v[11:12], v11, v[1:2]
	v_and_b32_e32 v52, 7, v11
; %bb.231:                              ;   in Loop: Header=BB291_10 Depth=1
	s_or_b32 exec_lo, exec_lo, s35
	v_lshlrev_b32_e32 v1, 8, v1
	v_lshl_add_u32 v11, v53, 10, 0x2000
	v_and_or_b32 v1, 0x8000, v1, v11
	v_lshlrev_b32_e32 v11, 23, v52
	v_lshl_or_b32 v52, v1, 16, v11
.LBB291_232:                            ;   in Loop: Header=BB291_10 Depth=1
	s_or_b32 exec_lo, exec_lo, s34
.LBB291_233:                            ;   in Loop: Header=BB291_10 Depth=1
	s_or_b32 exec_lo, exec_lo, s33
.LBB291_234:                            ;   in Loop: Header=BB291_10 Depth=1
	s_or_b32 exec_lo, exec_lo, s2
	v_mov_b32_e32 v1, v10
	v_cmp_ne_u16_sdwa s1, v10, v2 src0_sel:BYTE_0 src1_sel:DWORD
	s_and_saveexec_b32 s2, s1
	s_cbranch_execz .LBB291_242
; %bb.235:                              ;   in Loop: Header=BB291_10 Depth=1
	v_cmp_ne_u16_sdwa s1, v10, v17 src0_sel:BYTE_0 src1_sel:DWORD
	v_mov_b32_e32 v51, 0x8000
	s_and_saveexec_b32 s33, s1
	s_cbranch_execz .LBB291_241
; %bb.236:                              ;   in Loop: Header=BB291_10 Depth=1
	v_and_b32_e32 v54, 0x7f, v10
	v_mov_b32_e32 v51, 0x7c01
	s_mov_b32 s34, exec_lo
	v_cmpx_ne_u32_e32 0x7f, v54
	s_cbranch_execz .LBB291_240
; %bb.237:                              ;   in Loop: Header=BB291_10 Depth=1
	v_and_b32_e32 v51, 7, v10
	v_lshrrev_b32_e32 v53, 3, v54
	s_mov_b32 s35, exec_lo
	v_cmpx_gt_u32_e32 8, v54
; %bb.238:                              ;   in Loop: Header=BB291_10 Depth=1
	v_ffbh_u32_e32 v11, v51
	v_min_u32_e32 v13, 32, v11
	v_subrev_nc_u32_e32 v11, 28, v13
	v_sub_nc_u32_e32 v53, 29, v13
	v_lshlrev_b64 v[11:12], v11, v[1:2]
	v_and_b32_e32 v51, 7, v11
; %bb.239:                              ;   in Loop: Header=BB291_10 Depth=1
	s_or_b32 exec_lo, exec_lo, s35
	v_lshlrev_b32_e32 v11, 8, v10
	v_lshl_add_u32 v12, v53, 10, 0x2000
	v_lshlrev_b32_e32 v13, 7, v51
	v_and_b32_e32 v11, 0x8000, v11
	v_and_b32_e32 v12, 0xfc00, v12
	v_or3_b32 v51, v11, v12, v13
.LBB291_240:                            ;   in Loop: Header=BB291_10 Depth=1
	s_or_b32 exec_lo, exec_lo, s34
.LBB291_241:                            ;   in Loop: Header=BB291_10 Depth=1
	s_or_b32 exec_lo, exec_lo, s33
.LBB291_242:                            ;   in Loop: Header=BB291_10 Depth=1
	s_or_b32 exec_lo, exec_lo, s2
	v_lshrrev_b16 v1, 8, v1
	v_mov_b32_e32 v55, 0
	v_mov_b32_e32 v54, 0
	s_mov_b32 s2, exec_lo
	v_cmpx_ne_u16_e32 0, v1
	s_cbranch_execz .LBB291_250
; %bb.243:                              ;   in Loop: Header=BB291_10 Depth=1
	v_bfrev_b32_e32 v54, 1
	s_mov_b32 s33, exec_lo
	v_cmpx_ne_u16_e32 0x80, v1
	s_cbranch_execz .LBB291_249
; %bb.244:                              ;   in Loop: Header=BB291_10 Depth=1
	v_and_b32_sdwa v56, v1, v18 dst_sel:DWORD dst_unused:UNUSED_PAD src0_sel:WORD_0 src1_sel:DWORD
	v_mov_b32_e32 v54, 0x7c010000
	s_mov_b32 s34, exec_lo
	v_cmpx_ne_u32_e32 0x7f, v56
	s_cbranch_execz .LBB291_248
; %bb.245:                              ;   in Loop: Header=BB291_10 Depth=1
	v_and_b32_sdwa v53, v1, v20 dst_sel:DWORD dst_unused:UNUSED_PAD src0_sel:WORD_0 src1_sel:DWORD
	v_lshrrev_b32_e32 v54, 3, v56
	s_mov_b32 s35, exec_lo
	v_cmpx_gt_u32_e32 8, v56
; %bb.246:                              ;   in Loop: Header=BB291_10 Depth=1
	v_ffbh_u32_e32 v11, v53
	v_min_u32_e32 v13, 32, v11
	v_subrev_nc_u32_e32 v11, 28, v13
	v_sub_nc_u32_e32 v54, 29, v13
	v_lshlrev_b64 v[11:12], v11, v[1:2]
	v_and_b32_e32 v53, 7, v11
; %bb.247:                              ;   in Loop: Header=BB291_10 Depth=1
	s_or_b32 exec_lo, exec_lo, s35
	v_lshlrev_b32_sdwa v1, v21, v1 dst_sel:DWORD dst_unused:UNUSED_PAD src0_sel:DWORD src1_sel:WORD_0
	v_lshl_add_u32 v11, v54, 10, 0x2000
	v_and_or_b32 v1, 0x8000, v1, v11
	v_lshlrev_b32_e32 v11, 23, v53
	v_lshl_or_b32 v54, v1, 16, v11
.LBB291_248:                            ;   in Loop: Header=BB291_10 Depth=1
	s_or_b32 exec_lo, exec_lo, s34
.LBB291_249:                            ;   in Loop: Header=BB291_10 Depth=1
	s_or_b32 exec_lo, exec_lo, s33
.LBB291_250:                            ;   in Loop: Header=BB291_10 Depth=1
	s_or_b32 exec_lo, exec_lo, s2
	v_lshrrev_b32_e32 v1, 16, v10
	v_cmp_ne_u16_sdwa s1, v1, v2 src0_sel:BYTE_0 src1_sel:DWORD
	s_and_saveexec_b32 s2, s1
	s_cbranch_execz .LBB291_258
; %bb.251:                              ;   in Loop: Header=BB291_10 Depth=1
	v_cmp_ne_u16_sdwa s1, v1, v17 src0_sel:BYTE_0 src1_sel:DWORD
	v_mov_b32_e32 v55, 0x8000
	s_and_saveexec_b32 s33, s1
	s_cbranch_execz .LBB291_257
; %bb.252:                              ;   in Loop: Header=BB291_10 Depth=1
	v_bfe_u32 v56, v10, 16, 7
	v_mov_b32_e32 v55, 0x7c01
	s_mov_b32 s34, exec_lo
	v_cmpx_ne_u32_e32 0x7f, v56
	s_cbranch_execz .LBB291_256
; %bb.253:                              ;   in Loop: Header=BB291_10 Depth=1
	v_and_b32_e32 v53, 7, v1
	v_lshrrev_b32_e32 v55, 3, v56
	s_mov_b32 s35, exec_lo
	v_cmpx_gt_u32_e32 8, v56
; %bb.254:                              ;   in Loop: Header=BB291_10 Depth=1
	v_ffbh_u32_e32 v11, v53
	v_min_u32_e32 v13, 32, v11
	v_subrev_nc_u32_e32 v11, 28, v13
	v_sub_nc_u32_e32 v55, 29, v13
	v_lshlrev_b64 v[11:12], v11, v[1:2]
	v_and_b32_e32 v53, 7, v11
; %bb.255:                              ;   in Loop: Header=BB291_10 Depth=1
	s_or_b32 exec_lo, exec_lo, s35
	v_lshlrev_b32_e32 v1, 8, v1
	v_lshl_add_u32 v11, v55, 10, 0x2000
	v_lshlrev_b32_e32 v12, 7, v53
	v_and_b32_e32 v1, 0x8000, v1
	v_and_b32_e32 v11, 0xfc00, v11
	v_or3_b32 v55, v1, v11, v12
.LBB291_256:                            ;   in Loop: Header=BB291_10 Depth=1
	s_or_b32 exec_lo, exec_lo, s34
.LBB291_257:                            ;   in Loop: Header=BB291_10 Depth=1
	s_or_b32 exec_lo, exec_lo, s33
.LBB291_258:                            ;   in Loop: Header=BB291_10 Depth=1
	s_or_b32 exec_lo, exec_lo, s2
	v_mov_b32_e32 v53, 0
	v_mov_b32_e32 v58, 0
	s_mov_b32 s2, exec_lo
	v_cmpx_lt_u64_e64 s[4:5], v[9:10]
	s_cbranch_execz .LBB291_266
; %bb.259:                              ;   in Loop: Header=BB291_10 Depth=1
	v_lshrrev_b32_e32 v1, 24, v10
	v_bfrev_b32_e32 v58, 1
	s_mov_b32 s33, exec_lo
	v_cmpx_ne_u32_e32 0x80, v1
	s_cbranch_execz .LBB291_265
; %bb.260:                              ;   in Loop: Header=BB291_10 Depth=1
	v_and_b32_e32 v56, 0x7f, v1
	v_mov_b32_e32 v58, 0x7c010000
	s_mov_b32 s34, exec_lo
	v_cmpx_ne_u32_e32 0x7f, v56
	s_cbranch_execz .LBB291_264
; %bb.261:                              ;   in Loop: Header=BB291_10 Depth=1
	v_and_b32_e32 v9, 7, v1
	v_lshrrev_b32_e32 v10, 3, v56
	s_mov_b32 s35, exec_lo
	v_cmpx_gt_u32_e32 8, v56
; %bb.262:                              ;   in Loop: Header=BB291_10 Depth=1
	v_ffbh_u32_e32 v9, v9
	v_min_u32_e32 v11, 32, v9
	v_subrev_nc_u32_e32 v9, 28, v11
	v_lshlrev_b64 v[9:10], v9, v[1:2]
	v_sub_nc_u32_e32 v10, 29, v11
	v_and_b32_e32 v9, 7, v9
; %bb.263:                              ;   in Loop: Header=BB291_10 Depth=1
	s_or_b32 exec_lo, exec_lo, s35
	v_lshlrev_b32_e32 v1, 8, v1
	v_lshl_add_u32 v10, v10, 10, 0x2000
	v_lshlrev_b32_e32 v9, 23, v9
	v_and_or_b32 v1, 0x8000, v1, v10
	v_lshl_or_b32 v58, v1, 16, v9
.LBB291_264:                            ;   in Loop: Header=BB291_10 Depth=1
	s_or_b32 exec_lo, exec_lo, s34
.LBB291_265:                            ;   in Loop: Header=BB291_10 Depth=1
	s_or_b32 exec_lo, exec_lo, s33
.LBB291_266:                            ;   in Loop: Header=BB291_10 Depth=1
	s_or_b32 exec_lo, exec_lo, s2
	global_load_dwordx2 v[9:10], v[7:8], off offset:1024
	s_waitcnt vmcnt(0)
	v_cmp_ne_u16_sdwa s1, v9, v2 src0_sel:BYTE_0 src1_sel:DWORD
	s_and_saveexec_b32 s2, s1
	s_cbranch_execz .LBB291_274
; %bb.267:                              ;   in Loop: Header=BB291_10 Depth=1
	v_cmp_ne_u16_sdwa s1, v9, v17 src0_sel:BYTE_0 src1_sel:DWORD
	v_mov_b32_e32 v53, 0x8000
	s_and_saveexec_b32 s33, s1
	s_cbranch_execz .LBB291_273
; %bb.268:                              ;   in Loop: Header=BB291_10 Depth=1
	v_and_b32_e32 v56, 0x7f, v9
	v_mov_b32_e32 v53, 0x7c01
	s_mov_b32 s34, exec_lo
	v_cmpx_ne_u32_e32 0x7f, v56
	s_cbranch_execz .LBB291_272
; %bb.269:                              ;   in Loop: Header=BB291_10 Depth=1
	v_and_b32_e32 v1, 7, v9
	v_lshrrev_b32_e32 v53, 3, v56
	s_mov_b32 s35, exec_lo
	v_cmpx_gt_u32_e32 8, v56
; %bb.270:                              ;   in Loop: Header=BB291_10 Depth=1
	v_ffbh_u32_e32 v1, v1
	v_min_u32_e32 v1, 32, v1
	v_subrev_nc_u32_e32 v11, 28, v1
	v_sub_nc_u32_e32 v53, 29, v1
	v_lshlrev_b64 v[11:12], v11, v[9:10]
	v_and_b32_e32 v1, 7, v11
; %bb.271:                              ;   in Loop: Header=BB291_10 Depth=1
	s_or_b32 exec_lo, exec_lo, s35
	v_lshlrev_b32_e32 v11, 8, v9
	v_lshl_add_u32 v12, v53, 10, 0x2000
	v_lshlrev_b32_e32 v1, 7, v1
	v_and_b32_e32 v11, 0x8000, v11
	v_and_b32_e32 v12, 0xfc00, v12
	v_or3_b32 v53, v11, v12, v1
.LBB291_272:                            ;   in Loop: Header=BB291_10 Depth=1
	s_or_b32 exec_lo, exec_lo, s34
.LBB291_273:                            ;   in Loop: Header=BB291_10 Depth=1
	s_or_b32 exec_lo, exec_lo, s33
.LBB291_274:                            ;   in Loop: Header=BB291_10 Depth=1
	s_or_b32 exec_lo, exec_lo, s2
	v_lshrrev_b16 v1, 8, v9
	v_mov_b32_e32 v57, 0
	v_mov_b32_e32 v56, 0
	s_mov_b32 s2, exec_lo
	v_cmpx_ne_u16_e32 0, v1
	s_cbranch_execz .LBB291_282
; %bb.275:                              ;   in Loop: Header=BB291_10 Depth=1
	v_bfrev_b32_e32 v56, 1
	s_mov_b32 s33, exec_lo
	v_cmpx_ne_u16_e32 0x80, v1
	s_cbranch_execz .LBB291_281
; %bb.276:                              ;   in Loop: Header=BB291_10 Depth=1
	v_and_b32_sdwa v60, v1, v18 dst_sel:DWORD dst_unused:UNUSED_PAD src0_sel:WORD_0 src1_sel:DWORD
	v_mov_b32_e32 v56, 0x7c010000
	s_mov_b32 s34, exec_lo
	v_cmpx_ne_u32_e32 0x7f, v60
	s_cbranch_execz .LBB291_280
; %bb.277:                              ;   in Loop: Header=BB291_10 Depth=1
	v_and_b32_sdwa v56, v1, v20 dst_sel:DWORD dst_unused:UNUSED_PAD src0_sel:WORD_0 src1_sel:DWORD
	v_lshrrev_b32_e32 v59, 3, v60
	s_mov_b32 s35, exec_lo
	v_cmpx_gt_u32_e32 8, v60
; %bb.278:                              ;   in Loop: Header=BB291_10 Depth=1
	v_ffbh_u32_e32 v11, v56
	v_min_u32_e32 v13, 32, v11
	v_subrev_nc_u32_e32 v11, 28, v13
	v_sub_nc_u32_e32 v59, 29, v13
	v_lshlrev_b64 v[11:12], v11, v[1:2]
	v_and_b32_e32 v56, 7, v11
; %bb.279:                              ;   in Loop: Header=BB291_10 Depth=1
	s_or_b32 exec_lo, exec_lo, s35
	v_lshlrev_b32_sdwa v1, v21, v1 dst_sel:DWORD dst_unused:UNUSED_PAD src0_sel:DWORD src1_sel:WORD_0
	v_lshl_add_u32 v11, v59, 10, 0x2000
	v_and_or_b32 v1, 0x8000, v1, v11
	v_lshlrev_b32_e32 v11, 23, v56
	v_lshl_or_b32 v56, v1, 16, v11
.LBB291_280:                            ;   in Loop: Header=BB291_10 Depth=1
	s_or_b32 exec_lo, exec_lo, s34
.LBB291_281:                            ;   in Loop: Header=BB291_10 Depth=1
	s_or_b32 exec_lo, exec_lo, s33
.LBB291_282:                            ;   in Loop: Header=BB291_10 Depth=1
	s_or_b32 exec_lo, exec_lo, s2
	v_lshrrev_b32_e32 v1, 16, v9
	v_cmp_ne_u16_sdwa s1, v1, v2 src0_sel:BYTE_0 src1_sel:DWORD
	s_and_saveexec_b32 s2, s1
	s_cbranch_execz .LBB291_290
; %bb.283:                              ;   in Loop: Header=BB291_10 Depth=1
	v_cmp_ne_u16_sdwa s1, v1, v17 src0_sel:BYTE_0 src1_sel:DWORD
	v_mov_b32_e32 v57, 0x8000
	s_and_saveexec_b32 s33, s1
	s_cbranch_execz .LBB291_289
; %bb.284:                              ;   in Loop: Header=BB291_10 Depth=1
	v_bfe_u32 v60, v9, 16, 7
	v_mov_b32_e32 v57, 0x7c01
	s_mov_b32 s34, exec_lo
	v_cmpx_ne_u32_e32 0x7f, v60
	s_cbranch_execz .LBB291_288
; %bb.285:                              ;   in Loop: Header=BB291_10 Depth=1
	v_and_b32_e32 v57, 7, v1
	v_lshrrev_b32_e32 v59, 3, v60
	s_mov_b32 s35, exec_lo
	v_cmpx_gt_u32_e32 8, v60
; %bb.286:                              ;   in Loop: Header=BB291_10 Depth=1
	v_ffbh_u32_e32 v11, v57
	v_min_u32_e32 v13, 32, v11
	v_subrev_nc_u32_e32 v11, 28, v13
	v_sub_nc_u32_e32 v59, 29, v13
	v_lshlrev_b64 v[11:12], v11, v[1:2]
	v_and_b32_e32 v57, 7, v11
; %bb.287:                              ;   in Loop: Header=BB291_10 Depth=1
	s_or_b32 exec_lo, exec_lo, s35
	v_lshlrev_b32_e32 v1, 8, v1
	v_lshl_add_u32 v11, v59, 10, 0x2000
	v_lshlrev_b32_e32 v12, 7, v57
	v_and_b32_e32 v1, 0x8000, v1
	v_and_b32_e32 v11, 0xfc00, v11
	v_or3_b32 v57, v1, v11, v12
.LBB291_288:                            ;   in Loop: Header=BB291_10 Depth=1
	s_or_b32 exec_lo, exec_lo, s34
.LBB291_289:                            ;   in Loop: Header=BB291_10 Depth=1
	s_or_b32 exec_lo, exec_lo, s33
.LBB291_290:                            ;   in Loop: Header=BB291_10 Depth=1
	s_or_b32 exec_lo, exec_lo, s2
	v_mov_b32_e32 v59, 0
	v_mov_b32_e32 v60, 0
	s_mov_b32 s2, exec_lo
	v_cmpx_lt_u32_e32 0xffffff, v9
	s_cbranch_execz .LBB291_298
; %bb.291:                              ;   in Loop: Header=BB291_10 Depth=1
	v_lshrrev_b32_e32 v1, 24, v9
	v_bfrev_b32_e32 v60, 1
	s_mov_b32 s33, exec_lo
	v_cmpx_ne_u32_e32 0x80, v1
	s_cbranch_execz .LBB291_297
; %bb.292:                              ;   in Loop: Header=BB291_10 Depth=1
	v_and_b32_e32 v62, 0x7f, v1
	v_mov_b32_e32 v60, 0x7c010000
	s_mov_b32 s34, exec_lo
	v_cmpx_ne_u32_e32 0x7f, v62
	s_cbranch_execz .LBB291_296
; %bb.293:                              ;   in Loop: Header=BB291_10 Depth=1
	v_and_b32_e32 v60, 7, v1
	v_lshrrev_b32_e32 v61, 3, v62
	s_mov_b32 s35, exec_lo
	v_cmpx_gt_u32_e32 8, v62
; %bb.294:                              ;   in Loop: Header=BB291_10 Depth=1
	v_ffbh_u32_e32 v11, v60
	v_min_u32_e32 v13, 32, v11
	v_subrev_nc_u32_e32 v11, 28, v13
	v_sub_nc_u32_e32 v61, 29, v13
	v_lshlrev_b64 v[11:12], v11, v[1:2]
	v_and_b32_e32 v60, 7, v11
; %bb.295:                              ;   in Loop: Header=BB291_10 Depth=1
	s_or_b32 exec_lo, exec_lo, s35
	v_lshlrev_b32_e32 v1, 8, v1
	v_lshl_add_u32 v11, v61, 10, 0x2000
	v_and_or_b32 v1, 0x8000, v1, v11
	v_lshlrev_b32_e32 v11, 23, v60
	v_lshl_or_b32 v60, v1, 16, v11
.LBB291_296:                            ;   in Loop: Header=BB291_10 Depth=1
	s_or_b32 exec_lo, exec_lo, s34
.LBB291_297:                            ;   in Loop: Header=BB291_10 Depth=1
	s_or_b32 exec_lo, exec_lo, s33
.LBB291_298:                            ;   in Loop: Header=BB291_10 Depth=1
	s_or_b32 exec_lo, exec_lo, s2
	v_mov_b32_e32 v1, v10
	v_cmp_ne_u16_sdwa s1, v10, v2 src0_sel:BYTE_0 src1_sel:DWORD
	s_and_saveexec_b32 s2, s1
	s_cbranch_execz .LBB291_306
; %bb.299:                              ;   in Loop: Header=BB291_10 Depth=1
	v_cmp_ne_u16_sdwa s1, v10, v17 src0_sel:BYTE_0 src1_sel:DWORD
	v_mov_b32_e32 v59, 0x8000
	s_and_saveexec_b32 s33, s1
	s_cbranch_execz .LBB291_305
; %bb.300:                              ;   in Loop: Header=BB291_10 Depth=1
	v_and_b32_e32 v62, 0x7f, v10
	v_mov_b32_e32 v59, 0x7c01
	s_mov_b32 s34, exec_lo
	v_cmpx_ne_u32_e32 0x7f, v62
	s_cbranch_execz .LBB291_304
; %bb.301:                              ;   in Loop: Header=BB291_10 Depth=1
	v_and_b32_e32 v59, 7, v10
	v_lshrrev_b32_e32 v61, 3, v62
	s_mov_b32 s35, exec_lo
	v_cmpx_gt_u32_e32 8, v62
; %bb.302:                              ;   in Loop: Header=BB291_10 Depth=1
	v_ffbh_u32_e32 v11, v59
	v_min_u32_e32 v13, 32, v11
	v_subrev_nc_u32_e32 v11, 28, v13
	v_sub_nc_u32_e32 v61, 29, v13
	v_lshlrev_b64 v[11:12], v11, v[1:2]
	v_and_b32_e32 v59, 7, v11
; %bb.303:                              ;   in Loop: Header=BB291_10 Depth=1
	s_or_b32 exec_lo, exec_lo, s35
	v_lshlrev_b32_e32 v11, 8, v10
	v_lshl_add_u32 v12, v61, 10, 0x2000
	v_lshlrev_b32_e32 v13, 7, v59
	v_and_b32_e32 v11, 0x8000, v11
	v_and_b32_e32 v12, 0xfc00, v12
	v_or3_b32 v59, v11, v12, v13
.LBB291_304:                            ;   in Loop: Header=BB291_10 Depth=1
	s_or_b32 exec_lo, exec_lo, s34
.LBB291_305:                            ;   in Loop: Header=BB291_10 Depth=1
	s_or_b32 exec_lo, exec_lo, s33
.LBB291_306:                            ;   in Loop: Header=BB291_10 Depth=1
	s_or_b32 exec_lo, exec_lo, s2
	v_lshrrev_b16 v1, 8, v1
	v_mov_b32_e32 v63, 0
	v_mov_b32_e32 v62, 0
	s_mov_b32 s2, exec_lo
	v_cmpx_ne_u16_e32 0, v1
	s_cbranch_execz .LBB291_314
; %bb.307:                              ;   in Loop: Header=BB291_10 Depth=1
	v_bfrev_b32_e32 v62, 1
	s_mov_b32 s33, exec_lo
	v_cmpx_ne_u16_e32 0x80, v1
	s_cbranch_execz .LBB291_313
; %bb.308:                              ;   in Loop: Header=BB291_10 Depth=1
	v_and_b32_sdwa v64, v1, v18 dst_sel:DWORD dst_unused:UNUSED_PAD src0_sel:WORD_0 src1_sel:DWORD
	v_mov_b32_e32 v62, 0x7c010000
	s_mov_b32 s34, exec_lo
	v_cmpx_ne_u32_e32 0x7f, v64
	s_cbranch_execz .LBB291_312
; %bb.309:                              ;   in Loop: Header=BB291_10 Depth=1
	v_and_b32_sdwa v61, v1, v20 dst_sel:DWORD dst_unused:UNUSED_PAD src0_sel:WORD_0 src1_sel:DWORD
	v_lshrrev_b32_e32 v62, 3, v64
	s_mov_b32 s35, exec_lo
	v_cmpx_gt_u32_e32 8, v64
; %bb.310:                              ;   in Loop: Header=BB291_10 Depth=1
	v_ffbh_u32_e32 v11, v61
	v_min_u32_e32 v13, 32, v11
	v_subrev_nc_u32_e32 v11, 28, v13
	v_sub_nc_u32_e32 v62, 29, v13
	v_lshlrev_b64 v[11:12], v11, v[1:2]
	v_and_b32_e32 v61, 7, v11
; %bb.311:                              ;   in Loop: Header=BB291_10 Depth=1
	s_or_b32 exec_lo, exec_lo, s35
	v_lshlrev_b32_sdwa v1, v21, v1 dst_sel:DWORD dst_unused:UNUSED_PAD src0_sel:DWORD src1_sel:WORD_0
	v_lshl_add_u32 v11, v62, 10, 0x2000
	v_and_or_b32 v1, 0x8000, v1, v11
	v_lshlrev_b32_e32 v11, 23, v61
	v_lshl_or_b32 v62, v1, 16, v11
.LBB291_312:                            ;   in Loop: Header=BB291_10 Depth=1
	s_or_b32 exec_lo, exec_lo, s34
.LBB291_313:                            ;   in Loop: Header=BB291_10 Depth=1
	s_or_b32 exec_lo, exec_lo, s33
.LBB291_314:                            ;   in Loop: Header=BB291_10 Depth=1
	s_or_b32 exec_lo, exec_lo, s2
	v_lshrrev_b32_e32 v1, 16, v10
	v_cmp_ne_u16_sdwa s1, v1, v2 src0_sel:BYTE_0 src1_sel:DWORD
	s_and_saveexec_b32 s2, s1
	s_cbranch_execz .LBB291_322
; %bb.315:                              ;   in Loop: Header=BB291_10 Depth=1
	v_cmp_ne_u16_sdwa s1, v1, v17 src0_sel:BYTE_0 src1_sel:DWORD
	v_mov_b32_e32 v63, 0x8000
	s_and_saveexec_b32 s33, s1
	s_cbranch_execz .LBB291_321
; %bb.316:                              ;   in Loop: Header=BB291_10 Depth=1
	v_bfe_u32 v64, v10, 16, 7
	v_mov_b32_e32 v63, 0x7c01
	s_mov_b32 s34, exec_lo
	v_cmpx_ne_u32_e32 0x7f, v64
	s_cbranch_execz .LBB291_320
; %bb.317:                              ;   in Loop: Header=BB291_10 Depth=1
	v_and_b32_e32 v61, 7, v1
	v_lshrrev_b32_e32 v63, 3, v64
	s_mov_b32 s35, exec_lo
	v_cmpx_gt_u32_e32 8, v64
; %bb.318:                              ;   in Loop: Header=BB291_10 Depth=1
	v_ffbh_u32_e32 v11, v61
	v_min_u32_e32 v13, 32, v11
	v_subrev_nc_u32_e32 v11, 28, v13
	v_sub_nc_u32_e32 v63, 29, v13
	v_lshlrev_b64 v[11:12], v11, v[1:2]
	v_and_b32_e32 v61, 7, v11
; %bb.319:                              ;   in Loop: Header=BB291_10 Depth=1
	s_or_b32 exec_lo, exec_lo, s35
	v_lshlrev_b32_e32 v1, 8, v1
	v_lshl_add_u32 v11, v63, 10, 0x2000
	v_lshlrev_b32_e32 v12, 7, v61
	v_and_b32_e32 v1, 0x8000, v1
	v_and_b32_e32 v11, 0xfc00, v11
	v_or3_b32 v63, v1, v11, v12
.LBB291_320:                            ;   in Loop: Header=BB291_10 Depth=1
	s_or_b32 exec_lo, exec_lo, s34
.LBB291_321:                            ;   in Loop: Header=BB291_10 Depth=1
	s_or_b32 exec_lo, exec_lo, s33
.LBB291_322:                            ;   in Loop: Header=BB291_10 Depth=1
	s_or_b32 exec_lo, exec_lo, s2
	v_mov_b32_e32 v61, 0
	v_mov_b32_e32 v66, 0
	s_mov_b32 s2, exec_lo
	v_cmpx_lt_u64_e64 s[4:5], v[9:10]
	s_cbranch_execz .LBB291_330
; %bb.323:                              ;   in Loop: Header=BB291_10 Depth=1
	v_lshrrev_b32_e32 v1, 24, v10
	v_bfrev_b32_e32 v66, 1
	s_mov_b32 s33, exec_lo
	v_cmpx_ne_u32_e32 0x80, v1
	s_cbranch_execz .LBB291_329
; %bb.324:                              ;   in Loop: Header=BB291_10 Depth=1
	v_and_b32_e32 v64, 0x7f, v1
	v_mov_b32_e32 v66, 0x7c010000
	s_mov_b32 s34, exec_lo
	v_cmpx_ne_u32_e32 0x7f, v64
	s_cbranch_execz .LBB291_328
; %bb.325:                              ;   in Loop: Header=BB291_10 Depth=1
	v_and_b32_e32 v9, 7, v1
	v_lshrrev_b32_e32 v10, 3, v64
	s_mov_b32 s35, exec_lo
	v_cmpx_gt_u32_e32 8, v64
; %bb.326:                              ;   in Loop: Header=BB291_10 Depth=1
	v_ffbh_u32_e32 v9, v9
	v_min_u32_e32 v11, 32, v9
	v_subrev_nc_u32_e32 v9, 28, v11
	v_lshlrev_b64 v[9:10], v9, v[1:2]
	v_sub_nc_u32_e32 v10, 29, v11
	v_and_b32_e32 v9, 7, v9
; %bb.327:                              ;   in Loop: Header=BB291_10 Depth=1
	s_or_b32 exec_lo, exec_lo, s35
	v_lshlrev_b32_e32 v1, 8, v1
	v_lshl_add_u32 v10, v10, 10, 0x2000
	v_lshlrev_b32_e32 v9, 23, v9
	v_and_or_b32 v1, 0x8000, v1, v10
	v_lshl_or_b32 v66, v1, 16, v9
.LBB291_328:                            ;   in Loop: Header=BB291_10 Depth=1
	s_or_b32 exec_lo, exec_lo, s34
.LBB291_329:                            ;   in Loop: Header=BB291_10 Depth=1
	s_or_b32 exec_lo, exec_lo, s33
.LBB291_330:                            ;   in Loop: Header=BB291_10 Depth=1
	s_or_b32 exec_lo, exec_lo, s2
	global_load_dwordx2 v[9:10], v[7:8], off offset:1032
	s_waitcnt vmcnt(0)
	v_cmp_ne_u16_sdwa s1, v9, v2 src0_sel:BYTE_0 src1_sel:DWORD
	s_and_saveexec_b32 s2, s1
	s_cbranch_execz .LBB291_338
; %bb.331:                              ;   in Loop: Header=BB291_10 Depth=1
	v_cmp_ne_u16_sdwa s1, v9, v17 src0_sel:BYTE_0 src1_sel:DWORD
	v_mov_b32_e32 v61, 0x8000
	s_and_saveexec_b32 s33, s1
	s_cbranch_execz .LBB291_337
; %bb.332:                              ;   in Loop: Header=BB291_10 Depth=1
	v_and_b32_e32 v64, 0x7f, v9
	v_mov_b32_e32 v61, 0x7c01
	s_mov_b32 s34, exec_lo
	v_cmpx_ne_u32_e32 0x7f, v64
	s_cbranch_execz .LBB291_336
; %bb.333:                              ;   in Loop: Header=BB291_10 Depth=1
	v_and_b32_e32 v1, 7, v9
	v_lshrrev_b32_e32 v61, 3, v64
	s_mov_b32 s35, exec_lo
	v_cmpx_gt_u32_e32 8, v64
; %bb.334:                              ;   in Loop: Header=BB291_10 Depth=1
	v_ffbh_u32_e32 v1, v1
	v_min_u32_e32 v1, 32, v1
	v_subrev_nc_u32_e32 v11, 28, v1
	v_sub_nc_u32_e32 v61, 29, v1
	v_lshlrev_b64 v[11:12], v11, v[9:10]
	v_and_b32_e32 v1, 7, v11
; %bb.335:                              ;   in Loop: Header=BB291_10 Depth=1
	s_or_b32 exec_lo, exec_lo, s35
	v_lshlrev_b32_e32 v11, 8, v9
	v_lshl_add_u32 v12, v61, 10, 0x2000
	v_lshlrev_b32_e32 v1, 7, v1
	v_and_b32_e32 v11, 0x8000, v11
	v_and_b32_e32 v12, 0xfc00, v12
	v_or3_b32 v61, v11, v12, v1
.LBB291_336:                            ;   in Loop: Header=BB291_10 Depth=1
	s_or_b32 exec_lo, exec_lo, s34
.LBB291_337:                            ;   in Loop: Header=BB291_10 Depth=1
	s_or_b32 exec_lo, exec_lo, s33
.LBB291_338:                            ;   in Loop: Header=BB291_10 Depth=1
	s_or_b32 exec_lo, exec_lo, s2
	v_lshrrev_b16 v1, 8, v9
	v_mov_b32_e32 v65, 0
	v_mov_b32_e32 v64, 0
	s_mov_b32 s2, exec_lo
	v_cmpx_ne_u16_e32 0, v1
	s_cbranch_execz .LBB291_346
; %bb.339:                              ;   in Loop: Header=BB291_10 Depth=1
	v_bfrev_b32_e32 v64, 1
	s_mov_b32 s33, exec_lo
	v_cmpx_ne_u16_e32 0x80, v1
	s_cbranch_execz .LBB291_345
; %bb.340:                              ;   in Loop: Header=BB291_10 Depth=1
	v_and_b32_sdwa v68, v1, v18 dst_sel:DWORD dst_unused:UNUSED_PAD src0_sel:WORD_0 src1_sel:DWORD
	v_mov_b32_e32 v64, 0x7c010000
	s_mov_b32 s34, exec_lo
	v_cmpx_ne_u32_e32 0x7f, v68
	s_cbranch_execz .LBB291_344
; %bb.341:                              ;   in Loop: Header=BB291_10 Depth=1
	v_and_b32_sdwa v64, v1, v20 dst_sel:DWORD dst_unused:UNUSED_PAD src0_sel:WORD_0 src1_sel:DWORD
	v_lshrrev_b32_e32 v67, 3, v68
	s_mov_b32 s35, exec_lo
	v_cmpx_gt_u32_e32 8, v68
; %bb.342:                              ;   in Loop: Header=BB291_10 Depth=1
	v_ffbh_u32_e32 v11, v64
	v_min_u32_e32 v13, 32, v11
	v_subrev_nc_u32_e32 v11, 28, v13
	v_sub_nc_u32_e32 v67, 29, v13
	v_lshlrev_b64 v[11:12], v11, v[1:2]
	v_and_b32_e32 v64, 7, v11
; %bb.343:                              ;   in Loop: Header=BB291_10 Depth=1
	s_or_b32 exec_lo, exec_lo, s35
	v_lshlrev_b32_sdwa v1, v21, v1 dst_sel:DWORD dst_unused:UNUSED_PAD src0_sel:DWORD src1_sel:WORD_0
	v_lshl_add_u32 v11, v67, 10, 0x2000
	v_and_or_b32 v1, 0x8000, v1, v11
	v_lshlrev_b32_e32 v11, 23, v64
	v_lshl_or_b32 v64, v1, 16, v11
.LBB291_344:                            ;   in Loop: Header=BB291_10 Depth=1
	s_or_b32 exec_lo, exec_lo, s34
.LBB291_345:                            ;   in Loop: Header=BB291_10 Depth=1
	s_or_b32 exec_lo, exec_lo, s33
.LBB291_346:                            ;   in Loop: Header=BB291_10 Depth=1
	s_or_b32 exec_lo, exec_lo, s2
	v_lshrrev_b32_e32 v1, 16, v9
	v_cmp_ne_u16_sdwa s1, v1, v2 src0_sel:BYTE_0 src1_sel:DWORD
	s_and_saveexec_b32 s2, s1
	s_cbranch_execz .LBB291_354
; %bb.347:                              ;   in Loop: Header=BB291_10 Depth=1
	v_cmp_ne_u16_sdwa s1, v1, v17 src0_sel:BYTE_0 src1_sel:DWORD
	v_mov_b32_e32 v65, 0x8000
	s_and_saveexec_b32 s33, s1
	s_cbranch_execz .LBB291_353
; %bb.348:                              ;   in Loop: Header=BB291_10 Depth=1
	v_bfe_u32 v68, v9, 16, 7
	v_mov_b32_e32 v65, 0x7c01
	s_mov_b32 s34, exec_lo
	v_cmpx_ne_u32_e32 0x7f, v68
	s_cbranch_execz .LBB291_352
; %bb.349:                              ;   in Loop: Header=BB291_10 Depth=1
	v_and_b32_e32 v65, 7, v1
	v_lshrrev_b32_e32 v67, 3, v68
	s_mov_b32 s35, exec_lo
	v_cmpx_gt_u32_e32 8, v68
; %bb.350:                              ;   in Loop: Header=BB291_10 Depth=1
	v_ffbh_u32_e32 v11, v65
	v_min_u32_e32 v13, 32, v11
	v_subrev_nc_u32_e32 v11, 28, v13
	v_sub_nc_u32_e32 v67, 29, v13
	v_lshlrev_b64 v[11:12], v11, v[1:2]
	v_and_b32_e32 v65, 7, v11
; %bb.351:                              ;   in Loop: Header=BB291_10 Depth=1
	s_or_b32 exec_lo, exec_lo, s35
	v_lshlrev_b32_e32 v1, 8, v1
	v_lshl_add_u32 v11, v67, 10, 0x2000
	v_lshlrev_b32_e32 v12, 7, v65
	v_and_b32_e32 v1, 0x8000, v1
	v_and_b32_e32 v11, 0xfc00, v11
	v_or3_b32 v65, v1, v11, v12
.LBB291_352:                            ;   in Loop: Header=BB291_10 Depth=1
	s_or_b32 exec_lo, exec_lo, s34
.LBB291_353:                            ;   in Loop: Header=BB291_10 Depth=1
	s_or_b32 exec_lo, exec_lo, s33
.LBB291_354:                            ;   in Loop: Header=BB291_10 Depth=1
	s_or_b32 exec_lo, exec_lo, s2
	v_mov_b32_e32 v67, 0
	v_mov_b32_e32 v68, 0
	s_mov_b32 s2, exec_lo
	v_cmpx_lt_u32_e32 0xffffff, v9
	s_cbranch_execz .LBB291_362
; %bb.355:                              ;   in Loop: Header=BB291_10 Depth=1
	v_lshrrev_b32_e32 v1, 24, v9
	v_bfrev_b32_e32 v68, 1
	s_mov_b32 s33, exec_lo
	v_cmpx_ne_u32_e32 0x80, v1
	s_cbranch_execz .LBB291_361
; %bb.356:                              ;   in Loop: Header=BB291_10 Depth=1
	v_and_b32_e32 v70, 0x7f, v1
	v_mov_b32_e32 v68, 0x7c010000
	s_mov_b32 s34, exec_lo
	v_cmpx_ne_u32_e32 0x7f, v70
	s_cbranch_execz .LBB291_360
; %bb.357:                              ;   in Loop: Header=BB291_10 Depth=1
	v_and_b32_e32 v68, 7, v1
	v_lshrrev_b32_e32 v69, 3, v70
	s_mov_b32 s35, exec_lo
	v_cmpx_gt_u32_e32 8, v70
; %bb.358:                              ;   in Loop: Header=BB291_10 Depth=1
	v_ffbh_u32_e32 v11, v68
	v_min_u32_e32 v13, 32, v11
	v_subrev_nc_u32_e32 v11, 28, v13
	v_sub_nc_u32_e32 v69, 29, v13
	v_lshlrev_b64 v[11:12], v11, v[1:2]
	v_and_b32_e32 v68, 7, v11
; %bb.359:                              ;   in Loop: Header=BB291_10 Depth=1
	s_or_b32 exec_lo, exec_lo, s35
	v_lshlrev_b32_e32 v1, 8, v1
	v_lshl_add_u32 v11, v69, 10, 0x2000
	v_and_or_b32 v1, 0x8000, v1, v11
	v_lshlrev_b32_e32 v11, 23, v68
	v_lshl_or_b32 v68, v1, 16, v11
.LBB291_360:                            ;   in Loop: Header=BB291_10 Depth=1
	s_or_b32 exec_lo, exec_lo, s34
.LBB291_361:                            ;   in Loop: Header=BB291_10 Depth=1
	s_or_b32 exec_lo, exec_lo, s33
.LBB291_362:                            ;   in Loop: Header=BB291_10 Depth=1
	s_or_b32 exec_lo, exec_lo, s2
	v_mov_b32_e32 v1, v10
	v_cmp_ne_u16_sdwa s1, v10, v2 src0_sel:BYTE_0 src1_sel:DWORD
	s_and_saveexec_b32 s2, s1
	s_cbranch_execz .LBB291_370
; %bb.363:                              ;   in Loop: Header=BB291_10 Depth=1
	v_cmp_ne_u16_sdwa s1, v10, v17 src0_sel:BYTE_0 src1_sel:DWORD
	v_mov_b32_e32 v67, 0x8000
	s_and_saveexec_b32 s33, s1
	s_cbranch_execz .LBB291_369
; %bb.364:                              ;   in Loop: Header=BB291_10 Depth=1
	v_and_b32_e32 v70, 0x7f, v10
	v_mov_b32_e32 v67, 0x7c01
	s_mov_b32 s34, exec_lo
	v_cmpx_ne_u32_e32 0x7f, v70
	s_cbranch_execz .LBB291_368
; %bb.365:                              ;   in Loop: Header=BB291_10 Depth=1
	v_and_b32_e32 v67, 7, v10
	v_lshrrev_b32_e32 v69, 3, v70
	s_mov_b32 s35, exec_lo
	v_cmpx_gt_u32_e32 8, v70
; %bb.366:                              ;   in Loop: Header=BB291_10 Depth=1
	v_ffbh_u32_e32 v11, v67
	v_min_u32_e32 v13, 32, v11
	v_subrev_nc_u32_e32 v11, 28, v13
	v_sub_nc_u32_e32 v69, 29, v13
	v_lshlrev_b64 v[11:12], v11, v[1:2]
	v_and_b32_e32 v67, 7, v11
; %bb.367:                              ;   in Loop: Header=BB291_10 Depth=1
	s_or_b32 exec_lo, exec_lo, s35
	v_lshlrev_b32_e32 v11, 8, v10
	v_lshl_add_u32 v12, v69, 10, 0x2000
	v_lshlrev_b32_e32 v13, 7, v67
	v_and_b32_e32 v11, 0x8000, v11
	v_and_b32_e32 v12, 0xfc00, v12
	v_or3_b32 v67, v11, v12, v13
.LBB291_368:                            ;   in Loop: Header=BB291_10 Depth=1
	s_or_b32 exec_lo, exec_lo, s34
.LBB291_369:                            ;   in Loop: Header=BB291_10 Depth=1
	s_or_b32 exec_lo, exec_lo, s33
.LBB291_370:                            ;   in Loop: Header=BB291_10 Depth=1
	s_or_b32 exec_lo, exec_lo, s2
	v_lshrrev_b16 v1, 8, v1
	v_mov_b32_e32 v71, 0
	v_mov_b32_e32 v70, 0
	s_mov_b32 s2, exec_lo
	v_cmpx_ne_u16_e32 0, v1
	s_cbranch_execz .LBB291_378
; %bb.371:                              ;   in Loop: Header=BB291_10 Depth=1
	v_bfrev_b32_e32 v70, 1
	s_mov_b32 s33, exec_lo
	v_cmpx_ne_u16_e32 0x80, v1
	s_cbranch_execz .LBB291_377
; %bb.372:                              ;   in Loop: Header=BB291_10 Depth=1
	v_and_b32_sdwa v72, v1, v18 dst_sel:DWORD dst_unused:UNUSED_PAD src0_sel:WORD_0 src1_sel:DWORD
	v_mov_b32_e32 v70, 0x7c010000
	s_mov_b32 s34, exec_lo
	v_cmpx_ne_u32_e32 0x7f, v72
	s_cbranch_execz .LBB291_376
; %bb.373:                              ;   in Loop: Header=BB291_10 Depth=1
	v_and_b32_sdwa v69, v1, v20 dst_sel:DWORD dst_unused:UNUSED_PAD src0_sel:WORD_0 src1_sel:DWORD
	v_lshrrev_b32_e32 v70, 3, v72
	s_mov_b32 s35, exec_lo
	v_cmpx_gt_u32_e32 8, v72
; %bb.374:                              ;   in Loop: Header=BB291_10 Depth=1
	v_ffbh_u32_e32 v11, v69
	v_min_u32_e32 v13, 32, v11
	v_subrev_nc_u32_e32 v11, 28, v13
	v_sub_nc_u32_e32 v70, 29, v13
	v_lshlrev_b64 v[11:12], v11, v[1:2]
	v_and_b32_e32 v69, 7, v11
; %bb.375:                              ;   in Loop: Header=BB291_10 Depth=1
	s_or_b32 exec_lo, exec_lo, s35
	v_lshlrev_b32_sdwa v1, v21, v1 dst_sel:DWORD dst_unused:UNUSED_PAD src0_sel:DWORD src1_sel:WORD_0
	v_lshl_add_u32 v11, v70, 10, 0x2000
	v_and_or_b32 v1, 0x8000, v1, v11
	v_lshlrev_b32_e32 v11, 23, v69
	v_lshl_or_b32 v70, v1, 16, v11
.LBB291_376:                            ;   in Loop: Header=BB291_10 Depth=1
	s_or_b32 exec_lo, exec_lo, s34
.LBB291_377:                            ;   in Loop: Header=BB291_10 Depth=1
	s_or_b32 exec_lo, exec_lo, s33
.LBB291_378:                            ;   in Loop: Header=BB291_10 Depth=1
	s_or_b32 exec_lo, exec_lo, s2
	v_lshrrev_b32_e32 v1, 16, v10
	v_cmp_ne_u16_sdwa s1, v1, v2 src0_sel:BYTE_0 src1_sel:DWORD
	s_and_saveexec_b32 s2, s1
	s_cbranch_execz .LBB291_386
; %bb.379:                              ;   in Loop: Header=BB291_10 Depth=1
	v_cmp_ne_u16_sdwa s1, v1, v17 src0_sel:BYTE_0 src1_sel:DWORD
	v_mov_b32_e32 v71, 0x8000
	s_and_saveexec_b32 s33, s1
	s_cbranch_execz .LBB291_385
; %bb.380:                              ;   in Loop: Header=BB291_10 Depth=1
	v_bfe_u32 v72, v10, 16, 7
	v_mov_b32_e32 v71, 0x7c01
	s_mov_b32 s34, exec_lo
	v_cmpx_ne_u32_e32 0x7f, v72
	s_cbranch_execz .LBB291_384
; %bb.381:                              ;   in Loop: Header=BB291_10 Depth=1
	v_and_b32_e32 v69, 7, v1
	v_lshrrev_b32_e32 v71, 3, v72
	s_mov_b32 s35, exec_lo
	v_cmpx_gt_u32_e32 8, v72
; %bb.382:                              ;   in Loop: Header=BB291_10 Depth=1
	v_ffbh_u32_e32 v11, v69
	v_min_u32_e32 v13, 32, v11
	v_subrev_nc_u32_e32 v11, 28, v13
	v_sub_nc_u32_e32 v71, 29, v13
	v_lshlrev_b64 v[11:12], v11, v[1:2]
	v_and_b32_e32 v69, 7, v11
; %bb.383:                              ;   in Loop: Header=BB291_10 Depth=1
	s_or_b32 exec_lo, exec_lo, s35
	v_lshlrev_b32_e32 v1, 8, v1
	v_lshl_add_u32 v11, v71, 10, 0x2000
	v_lshlrev_b32_e32 v12, 7, v69
	v_and_b32_e32 v1, 0x8000, v1
	v_and_b32_e32 v11, 0xfc00, v11
	v_or3_b32 v71, v1, v11, v12
.LBB291_384:                            ;   in Loop: Header=BB291_10 Depth=1
	s_or_b32 exec_lo, exec_lo, s34
.LBB291_385:                            ;   in Loop: Header=BB291_10 Depth=1
	s_or_b32 exec_lo, exec_lo, s33
.LBB291_386:                            ;   in Loop: Header=BB291_10 Depth=1
	s_or_b32 exec_lo, exec_lo, s2
	v_mov_b32_e32 v69, 0
	v_mov_b32_e32 v74, 0
	s_mov_b32 s2, exec_lo
	v_cmpx_lt_u64_e64 s[4:5], v[9:10]
	s_cbranch_execz .LBB291_394
; %bb.387:                              ;   in Loop: Header=BB291_10 Depth=1
	v_lshrrev_b32_e32 v1, 24, v10
	v_bfrev_b32_e32 v74, 1
	s_mov_b32 s33, exec_lo
	v_cmpx_ne_u32_e32 0x80, v1
	s_cbranch_execz .LBB291_393
; %bb.388:                              ;   in Loop: Header=BB291_10 Depth=1
	v_and_b32_e32 v72, 0x7f, v1
	v_mov_b32_e32 v74, 0x7c010000
	s_mov_b32 s34, exec_lo
	v_cmpx_ne_u32_e32 0x7f, v72
	s_cbranch_execz .LBB291_392
; %bb.389:                              ;   in Loop: Header=BB291_10 Depth=1
	v_and_b32_e32 v9, 7, v1
	v_lshrrev_b32_e32 v10, 3, v72
	s_mov_b32 s35, exec_lo
	v_cmpx_gt_u32_e32 8, v72
; %bb.390:                              ;   in Loop: Header=BB291_10 Depth=1
	v_ffbh_u32_e32 v9, v9
	v_min_u32_e32 v11, 32, v9
	v_subrev_nc_u32_e32 v9, 28, v11
	v_lshlrev_b64 v[9:10], v9, v[1:2]
	v_sub_nc_u32_e32 v10, 29, v11
	v_and_b32_e32 v9, 7, v9
; %bb.391:                              ;   in Loop: Header=BB291_10 Depth=1
	s_or_b32 exec_lo, exec_lo, s35
	v_lshlrev_b32_e32 v1, 8, v1
	v_lshl_add_u32 v10, v10, 10, 0x2000
	v_lshlrev_b32_e32 v9, 23, v9
	v_and_or_b32 v1, 0x8000, v1, v10
	v_lshl_or_b32 v74, v1, 16, v9
.LBB291_392:                            ;   in Loop: Header=BB291_10 Depth=1
	s_or_b32 exec_lo, exec_lo, s34
.LBB291_393:                            ;   in Loop: Header=BB291_10 Depth=1
	s_or_b32 exec_lo, exec_lo, s33
.LBB291_394:                            ;   in Loop: Header=BB291_10 Depth=1
	s_or_b32 exec_lo, exec_lo, s2
	global_load_dwordx2 v[9:10], v[7:8], off offset:1536
	s_waitcnt vmcnt(0)
	v_cmp_ne_u16_sdwa s1, v9, v2 src0_sel:BYTE_0 src1_sel:DWORD
	s_and_saveexec_b32 s2, s1
	s_cbranch_execz .LBB291_402
; %bb.395:                              ;   in Loop: Header=BB291_10 Depth=1
	v_cmp_ne_u16_sdwa s1, v9, v17 src0_sel:BYTE_0 src1_sel:DWORD
	v_mov_b32_e32 v69, 0x8000
	s_and_saveexec_b32 s33, s1
	s_cbranch_execz .LBB291_401
; %bb.396:                              ;   in Loop: Header=BB291_10 Depth=1
	v_and_b32_e32 v72, 0x7f, v9
	v_mov_b32_e32 v69, 0x7c01
	s_mov_b32 s34, exec_lo
	v_cmpx_ne_u32_e32 0x7f, v72
	s_cbranch_execz .LBB291_400
; %bb.397:                              ;   in Loop: Header=BB291_10 Depth=1
	v_and_b32_e32 v1, 7, v9
	v_lshrrev_b32_e32 v69, 3, v72
	s_mov_b32 s35, exec_lo
	v_cmpx_gt_u32_e32 8, v72
; %bb.398:                              ;   in Loop: Header=BB291_10 Depth=1
	v_ffbh_u32_e32 v1, v1
	v_min_u32_e32 v1, 32, v1
	v_subrev_nc_u32_e32 v11, 28, v1
	v_sub_nc_u32_e32 v69, 29, v1
	v_lshlrev_b64 v[11:12], v11, v[9:10]
	v_and_b32_e32 v1, 7, v11
; %bb.399:                              ;   in Loop: Header=BB291_10 Depth=1
	s_or_b32 exec_lo, exec_lo, s35
	v_lshlrev_b32_e32 v11, 8, v9
	v_lshl_add_u32 v12, v69, 10, 0x2000
	v_lshlrev_b32_e32 v1, 7, v1
	v_and_b32_e32 v11, 0x8000, v11
	v_and_b32_e32 v12, 0xfc00, v12
	v_or3_b32 v69, v11, v12, v1
.LBB291_400:                            ;   in Loop: Header=BB291_10 Depth=1
	s_or_b32 exec_lo, exec_lo, s34
.LBB291_401:                            ;   in Loop: Header=BB291_10 Depth=1
	s_or_b32 exec_lo, exec_lo, s33
.LBB291_402:                            ;   in Loop: Header=BB291_10 Depth=1
	s_or_b32 exec_lo, exec_lo, s2
	v_lshrrev_b16 v1, 8, v9
	v_mov_b32_e32 v73, 0
	v_mov_b32_e32 v72, 0
	s_mov_b32 s2, exec_lo
	v_cmpx_ne_u16_e32 0, v1
	s_cbranch_execz .LBB291_410
; %bb.403:                              ;   in Loop: Header=BB291_10 Depth=1
	v_bfrev_b32_e32 v72, 1
	s_mov_b32 s33, exec_lo
	v_cmpx_ne_u16_e32 0x80, v1
	s_cbranch_execz .LBB291_409
; %bb.404:                              ;   in Loop: Header=BB291_10 Depth=1
	v_and_b32_sdwa v76, v1, v18 dst_sel:DWORD dst_unused:UNUSED_PAD src0_sel:WORD_0 src1_sel:DWORD
	v_mov_b32_e32 v72, 0x7c010000
	s_mov_b32 s34, exec_lo
	v_cmpx_ne_u32_e32 0x7f, v76
	s_cbranch_execz .LBB291_408
; %bb.405:                              ;   in Loop: Header=BB291_10 Depth=1
	v_and_b32_sdwa v72, v1, v20 dst_sel:DWORD dst_unused:UNUSED_PAD src0_sel:WORD_0 src1_sel:DWORD
	v_lshrrev_b32_e32 v75, 3, v76
	s_mov_b32 s35, exec_lo
	v_cmpx_gt_u32_e32 8, v76
; %bb.406:                              ;   in Loop: Header=BB291_10 Depth=1
	v_ffbh_u32_e32 v11, v72
	v_min_u32_e32 v13, 32, v11
	v_subrev_nc_u32_e32 v11, 28, v13
	v_sub_nc_u32_e32 v75, 29, v13
	v_lshlrev_b64 v[11:12], v11, v[1:2]
	v_and_b32_e32 v72, 7, v11
; %bb.407:                              ;   in Loop: Header=BB291_10 Depth=1
	s_or_b32 exec_lo, exec_lo, s35
	v_lshlrev_b32_sdwa v1, v21, v1 dst_sel:DWORD dst_unused:UNUSED_PAD src0_sel:DWORD src1_sel:WORD_0
	v_lshl_add_u32 v11, v75, 10, 0x2000
	v_and_or_b32 v1, 0x8000, v1, v11
	v_lshlrev_b32_e32 v11, 23, v72
	v_lshl_or_b32 v72, v1, 16, v11
.LBB291_408:                            ;   in Loop: Header=BB291_10 Depth=1
	s_or_b32 exec_lo, exec_lo, s34
.LBB291_409:                            ;   in Loop: Header=BB291_10 Depth=1
	s_or_b32 exec_lo, exec_lo, s33
.LBB291_410:                            ;   in Loop: Header=BB291_10 Depth=1
	s_or_b32 exec_lo, exec_lo, s2
	v_lshrrev_b32_e32 v1, 16, v9
	v_cmp_ne_u16_sdwa s1, v1, v2 src0_sel:BYTE_0 src1_sel:DWORD
	s_and_saveexec_b32 s2, s1
	s_cbranch_execz .LBB291_418
; %bb.411:                              ;   in Loop: Header=BB291_10 Depth=1
	v_cmp_ne_u16_sdwa s1, v1, v17 src0_sel:BYTE_0 src1_sel:DWORD
	v_mov_b32_e32 v73, 0x8000
	s_and_saveexec_b32 s33, s1
	s_cbranch_execz .LBB291_417
; %bb.412:                              ;   in Loop: Header=BB291_10 Depth=1
	v_bfe_u32 v76, v9, 16, 7
	v_mov_b32_e32 v73, 0x7c01
	s_mov_b32 s34, exec_lo
	v_cmpx_ne_u32_e32 0x7f, v76
	s_cbranch_execz .LBB291_416
; %bb.413:                              ;   in Loop: Header=BB291_10 Depth=1
	v_and_b32_e32 v73, 7, v1
	v_lshrrev_b32_e32 v75, 3, v76
	s_mov_b32 s35, exec_lo
	v_cmpx_gt_u32_e32 8, v76
; %bb.414:                              ;   in Loop: Header=BB291_10 Depth=1
	v_ffbh_u32_e32 v11, v73
	v_min_u32_e32 v13, 32, v11
	v_subrev_nc_u32_e32 v11, 28, v13
	v_sub_nc_u32_e32 v75, 29, v13
	v_lshlrev_b64 v[11:12], v11, v[1:2]
	v_and_b32_e32 v73, 7, v11
; %bb.415:                              ;   in Loop: Header=BB291_10 Depth=1
	s_or_b32 exec_lo, exec_lo, s35
	v_lshlrev_b32_e32 v1, 8, v1
	v_lshl_add_u32 v11, v75, 10, 0x2000
	v_lshlrev_b32_e32 v12, 7, v73
	v_and_b32_e32 v1, 0x8000, v1
	v_and_b32_e32 v11, 0xfc00, v11
	v_or3_b32 v73, v1, v11, v12
.LBB291_416:                            ;   in Loop: Header=BB291_10 Depth=1
	s_or_b32 exec_lo, exec_lo, s34
.LBB291_417:                            ;   in Loop: Header=BB291_10 Depth=1
	s_or_b32 exec_lo, exec_lo, s33
.LBB291_418:                            ;   in Loop: Header=BB291_10 Depth=1
	s_or_b32 exec_lo, exec_lo, s2
	v_mov_b32_e32 v75, 0
	v_mov_b32_e32 v76, 0
	s_mov_b32 s2, exec_lo
	v_cmpx_lt_u32_e32 0xffffff, v9
	s_cbranch_execz .LBB291_426
; %bb.419:                              ;   in Loop: Header=BB291_10 Depth=1
	v_lshrrev_b32_e32 v1, 24, v9
	v_bfrev_b32_e32 v76, 1
	s_mov_b32 s33, exec_lo
	v_cmpx_ne_u32_e32 0x80, v1
	s_cbranch_execz .LBB291_425
; %bb.420:                              ;   in Loop: Header=BB291_10 Depth=1
	v_and_b32_e32 v78, 0x7f, v1
	v_mov_b32_e32 v76, 0x7c010000
	s_mov_b32 s34, exec_lo
	v_cmpx_ne_u32_e32 0x7f, v78
	s_cbranch_execz .LBB291_424
; %bb.421:                              ;   in Loop: Header=BB291_10 Depth=1
	v_and_b32_e32 v76, 7, v1
	v_lshrrev_b32_e32 v77, 3, v78
	s_mov_b32 s35, exec_lo
	v_cmpx_gt_u32_e32 8, v78
; %bb.422:                              ;   in Loop: Header=BB291_10 Depth=1
	v_ffbh_u32_e32 v11, v76
	v_min_u32_e32 v13, 32, v11
	v_subrev_nc_u32_e32 v11, 28, v13
	v_sub_nc_u32_e32 v77, 29, v13
	v_lshlrev_b64 v[11:12], v11, v[1:2]
	v_and_b32_e32 v76, 7, v11
; %bb.423:                              ;   in Loop: Header=BB291_10 Depth=1
	s_or_b32 exec_lo, exec_lo, s35
	v_lshlrev_b32_e32 v1, 8, v1
	v_lshl_add_u32 v11, v77, 10, 0x2000
	v_and_or_b32 v1, 0x8000, v1, v11
	v_lshlrev_b32_e32 v11, 23, v76
	v_lshl_or_b32 v76, v1, 16, v11
.LBB291_424:                            ;   in Loop: Header=BB291_10 Depth=1
	s_or_b32 exec_lo, exec_lo, s34
.LBB291_425:                            ;   in Loop: Header=BB291_10 Depth=1
	s_or_b32 exec_lo, exec_lo, s33
.LBB291_426:                            ;   in Loop: Header=BB291_10 Depth=1
	s_or_b32 exec_lo, exec_lo, s2
	v_mov_b32_e32 v1, v10
	v_cmp_ne_u16_sdwa s1, v10, v2 src0_sel:BYTE_0 src1_sel:DWORD
	s_and_saveexec_b32 s2, s1
	s_cbranch_execz .LBB291_434
; %bb.427:                              ;   in Loop: Header=BB291_10 Depth=1
	v_cmp_ne_u16_sdwa s1, v10, v17 src0_sel:BYTE_0 src1_sel:DWORD
	v_mov_b32_e32 v75, 0x8000
	s_and_saveexec_b32 s33, s1
	s_cbranch_execz .LBB291_433
; %bb.428:                              ;   in Loop: Header=BB291_10 Depth=1
	v_and_b32_e32 v78, 0x7f, v10
	v_mov_b32_e32 v75, 0x7c01
	s_mov_b32 s34, exec_lo
	v_cmpx_ne_u32_e32 0x7f, v78
	s_cbranch_execz .LBB291_432
; %bb.429:                              ;   in Loop: Header=BB291_10 Depth=1
	v_and_b32_e32 v75, 7, v10
	v_lshrrev_b32_e32 v77, 3, v78
	s_mov_b32 s35, exec_lo
	v_cmpx_gt_u32_e32 8, v78
; %bb.430:                              ;   in Loop: Header=BB291_10 Depth=1
	v_ffbh_u32_e32 v11, v75
	v_min_u32_e32 v13, 32, v11
	v_subrev_nc_u32_e32 v11, 28, v13
	v_sub_nc_u32_e32 v77, 29, v13
	v_lshlrev_b64 v[11:12], v11, v[1:2]
	v_and_b32_e32 v75, 7, v11
; %bb.431:                              ;   in Loop: Header=BB291_10 Depth=1
	s_or_b32 exec_lo, exec_lo, s35
	v_lshlrev_b32_e32 v11, 8, v10
	v_lshl_add_u32 v12, v77, 10, 0x2000
	v_lshlrev_b32_e32 v13, 7, v75
	v_and_b32_e32 v11, 0x8000, v11
	v_and_b32_e32 v12, 0xfc00, v12
	v_or3_b32 v75, v11, v12, v13
.LBB291_432:                            ;   in Loop: Header=BB291_10 Depth=1
	s_or_b32 exec_lo, exec_lo, s34
.LBB291_433:                            ;   in Loop: Header=BB291_10 Depth=1
	s_or_b32 exec_lo, exec_lo, s33
.LBB291_434:                            ;   in Loop: Header=BB291_10 Depth=1
	s_or_b32 exec_lo, exec_lo, s2
	v_lshrrev_b16 v1, 8, v1
	v_mov_b32_e32 v78, 0
	v_mov_b32_e32 v77, 0
	s_mov_b32 s2, exec_lo
	v_cmpx_ne_u16_e32 0, v1
	s_cbranch_execz .LBB291_442
; %bb.435:                              ;   in Loop: Header=BB291_10 Depth=1
	v_bfrev_b32_e32 v77, 1
	s_mov_b32 s33, exec_lo
	v_cmpx_ne_u16_e32 0x80, v1
	s_cbranch_execz .LBB291_441
; %bb.436:                              ;   in Loop: Header=BB291_10 Depth=1
	v_and_b32_sdwa v80, v1, v18 dst_sel:DWORD dst_unused:UNUSED_PAD src0_sel:WORD_0 src1_sel:DWORD
	v_mov_b32_e32 v77, 0x7c010000
	s_mov_b32 s34, exec_lo
	v_cmpx_ne_u32_e32 0x7f, v80
	s_cbranch_execz .LBB291_440
; %bb.437:                              ;   in Loop: Header=BB291_10 Depth=1
	v_and_b32_sdwa v77, v1, v20 dst_sel:DWORD dst_unused:UNUSED_PAD src0_sel:WORD_0 src1_sel:DWORD
	v_lshrrev_b32_e32 v79, 3, v80
	s_mov_b32 s35, exec_lo
	v_cmpx_gt_u32_e32 8, v80
; %bb.438:                              ;   in Loop: Header=BB291_10 Depth=1
	v_ffbh_u32_e32 v11, v77
	v_min_u32_e32 v13, 32, v11
	v_subrev_nc_u32_e32 v11, 28, v13
	v_sub_nc_u32_e32 v79, 29, v13
	v_lshlrev_b64 v[11:12], v11, v[1:2]
	v_and_b32_e32 v77, 7, v11
; %bb.439:                              ;   in Loop: Header=BB291_10 Depth=1
	s_or_b32 exec_lo, exec_lo, s35
	v_lshlrev_b32_sdwa v1, v21, v1 dst_sel:DWORD dst_unused:UNUSED_PAD src0_sel:DWORD src1_sel:WORD_0
	v_lshl_add_u32 v11, v79, 10, 0x2000
	v_and_or_b32 v1, 0x8000, v1, v11
	v_lshlrev_b32_e32 v11, 23, v77
	v_lshl_or_b32 v77, v1, 16, v11
.LBB291_440:                            ;   in Loop: Header=BB291_10 Depth=1
	s_or_b32 exec_lo, exec_lo, s34
.LBB291_441:                            ;   in Loop: Header=BB291_10 Depth=1
	s_or_b32 exec_lo, exec_lo, s33
.LBB291_442:                            ;   in Loop: Header=BB291_10 Depth=1
	s_or_b32 exec_lo, exec_lo, s2
	v_lshrrev_b32_e32 v1, 16, v10
	v_cmp_ne_u16_sdwa s1, v1, v2 src0_sel:BYTE_0 src1_sel:DWORD
	s_and_saveexec_b32 s2, s1
	s_cbranch_execz .LBB291_450
; %bb.443:                              ;   in Loop: Header=BB291_10 Depth=1
	v_cmp_ne_u16_sdwa s1, v1, v17 src0_sel:BYTE_0 src1_sel:DWORD
	v_mov_b32_e32 v78, 0x8000
	s_and_saveexec_b32 s33, s1
	s_cbranch_execz .LBB291_449
; %bb.444:                              ;   in Loop: Header=BB291_10 Depth=1
	v_bfe_u32 v80, v10, 16, 7
	v_mov_b32_e32 v78, 0x7c01
	s_mov_b32 s34, exec_lo
	v_cmpx_ne_u32_e32 0x7f, v80
	s_cbranch_execz .LBB291_448
; %bb.445:                              ;   in Loop: Header=BB291_10 Depth=1
	v_and_b32_e32 v78, 7, v1
	v_lshrrev_b32_e32 v79, 3, v80
	s_mov_b32 s35, exec_lo
	v_cmpx_gt_u32_e32 8, v80
; %bb.446:                              ;   in Loop: Header=BB291_10 Depth=1
	v_ffbh_u32_e32 v11, v78
	v_min_u32_e32 v13, 32, v11
	v_subrev_nc_u32_e32 v11, 28, v13
	v_sub_nc_u32_e32 v79, 29, v13
	v_lshlrev_b64 v[11:12], v11, v[1:2]
	v_and_b32_e32 v78, 7, v11
; %bb.447:                              ;   in Loop: Header=BB291_10 Depth=1
	s_or_b32 exec_lo, exec_lo, s35
	v_lshlrev_b32_e32 v1, 8, v1
	v_lshl_add_u32 v11, v79, 10, 0x2000
	v_lshlrev_b32_e32 v12, 7, v78
	v_and_b32_e32 v1, 0x8000, v1
	v_and_b32_e32 v11, 0xfc00, v11
	v_or3_b32 v78, v1, v11, v12
.LBB291_448:                            ;   in Loop: Header=BB291_10 Depth=1
	s_or_b32 exec_lo, exec_lo, s34
.LBB291_449:                            ;   in Loop: Header=BB291_10 Depth=1
	s_or_b32 exec_lo, exec_lo, s33
.LBB291_450:                            ;   in Loop: Header=BB291_10 Depth=1
	s_or_b32 exec_lo, exec_lo, s2
	v_mov_b32_e32 v81, 0
	v_mov_b32_e32 v79, 0
	s_mov_b32 s2, exec_lo
	v_cmpx_lt_u64_e64 s[4:5], v[9:10]
	s_cbranch_execz .LBB291_458
; %bb.451:                              ;   in Loop: Header=BB291_10 Depth=1
	v_lshrrev_b32_e32 v1, 24, v10
	v_bfrev_b32_e32 v79, 1
	s_mov_b32 s33, exec_lo
	v_cmpx_ne_u32_e32 0x80, v1
	s_cbranch_execz .LBB291_457
; %bb.452:                              ;   in Loop: Header=BB291_10 Depth=1
	v_and_b32_e32 v80, 0x7f, v1
	v_mov_b32_e32 v79, 0x7c010000
	s_mov_b32 s34, exec_lo
	v_cmpx_ne_u32_e32 0x7f, v80
	s_cbranch_execz .LBB291_456
; %bb.453:                              ;   in Loop: Header=BB291_10 Depth=1
	v_and_b32_e32 v9, 7, v1
	v_lshrrev_b32_e32 v10, 3, v80
	s_mov_b32 s35, exec_lo
	v_cmpx_gt_u32_e32 8, v80
; %bb.454:                              ;   in Loop: Header=BB291_10 Depth=1
	v_ffbh_u32_e32 v9, v9
	v_min_u32_e32 v11, 32, v9
	v_subrev_nc_u32_e32 v9, 28, v11
	v_lshlrev_b64 v[9:10], v9, v[1:2]
	v_sub_nc_u32_e32 v10, 29, v11
	v_and_b32_e32 v9, 7, v9
; %bb.455:                              ;   in Loop: Header=BB291_10 Depth=1
	s_or_b32 exec_lo, exec_lo, s35
	v_lshlrev_b32_e32 v1, 8, v1
	v_lshl_add_u32 v10, v10, 10, 0x2000
	v_lshlrev_b32_e32 v9, 23, v9
	v_and_or_b32 v1, 0x8000, v1, v10
	v_lshl_or_b32 v79, v1, 16, v9
.LBB291_456:                            ;   in Loop: Header=BB291_10 Depth=1
	s_or_b32 exec_lo, exec_lo, s34
.LBB291_457:                            ;   in Loop: Header=BB291_10 Depth=1
	s_or_b32 exec_lo, exec_lo, s33
.LBB291_458:                            ;   in Loop: Header=BB291_10 Depth=1
	s_or_b32 exec_lo, exec_lo, s2
	global_load_dwordx2 v[9:10], v[7:8], off offset:1544
	s_waitcnt vmcnt(0)
	v_cmp_ne_u16_sdwa s1, v9, v2 src0_sel:BYTE_0 src1_sel:DWORD
	s_and_saveexec_b32 s2, s1
	s_cbranch_execz .LBB291_466
; %bb.459:                              ;   in Loop: Header=BB291_10 Depth=1
	v_cmp_ne_u16_sdwa s1, v9, v17 src0_sel:BYTE_0 src1_sel:DWORD
	v_mov_b32_e32 v81, 0x8000
	s_and_saveexec_b32 s33, s1
	s_cbranch_execz .LBB291_465
; %bb.460:                              ;   in Loop: Header=BB291_10 Depth=1
	v_and_b32_e32 v82, 0x7f, v9
	v_mov_b32_e32 v81, 0x7c01
	s_mov_b32 s34, exec_lo
	v_cmpx_ne_u32_e32 0x7f, v82
	s_cbranch_execz .LBB291_464
; %bb.461:                              ;   in Loop: Header=BB291_10 Depth=1
	v_and_b32_e32 v1, 7, v9
	v_lshrrev_b32_e32 v80, 3, v82
	s_mov_b32 s35, exec_lo
	v_cmpx_gt_u32_e32 8, v82
; %bb.462:                              ;   in Loop: Header=BB291_10 Depth=1
	v_ffbh_u32_e32 v1, v1
	v_min_u32_e32 v1, 32, v1
	v_subrev_nc_u32_e32 v11, 28, v1
	v_sub_nc_u32_e32 v80, 29, v1
	v_lshlrev_b64 v[11:12], v11, v[9:10]
	v_and_b32_e32 v1, 7, v11
; %bb.463:                              ;   in Loop: Header=BB291_10 Depth=1
	s_or_b32 exec_lo, exec_lo, s35
	v_lshlrev_b32_e32 v11, 8, v9
	v_lshl_add_u32 v12, v80, 10, 0x2000
	v_lshlrev_b32_e32 v1, 7, v1
	v_and_b32_e32 v11, 0x8000, v11
	v_and_b32_e32 v12, 0xfc00, v12
	v_or3_b32 v81, v11, v12, v1
.LBB291_464:                            ;   in Loop: Header=BB291_10 Depth=1
	s_or_b32 exec_lo, exec_lo, s34
.LBB291_465:                            ;   in Loop: Header=BB291_10 Depth=1
	s_or_b32 exec_lo, exec_lo, s33
.LBB291_466:                            ;   in Loop: Header=BB291_10 Depth=1
	s_or_b32 exec_lo, exec_lo, s2
	v_lshrrev_b16 v1, 8, v9
	v_mov_b32_e32 v84, 0
	v_mov_b32_e32 v80, 0
	s_mov_b32 s2, exec_lo
	v_cmpx_ne_u16_e32 0, v1
	s_cbranch_execz .LBB291_474
; %bb.467:                              ;   in Loop: Header=BB291_10 Depth=1
	v_bfrev_b32_e32 v80, 1
	s_mov_b32 s33, exec_lo
	v_cmpx_ne_u16_e32 0x80, v1
	s_cbranch_execz .LBB291_473
; %bb.468:                              ;   in Loop: Header=BB291_10 Depth=1
	v_and_b32_sdwa v83, v1, v18 dst_sel:DWORD dst_unused:UNUSED_PAD src0_sel:WORD_0 src1_sel:DWORD
	v_mov_b32_e32 v80, 0x7c010000
	s_mov_b32 s34, exec_lo
	v_cmpx_ne_u32_e32 0x7f, v83
	s_cbranch_execz .LBB291_472
; %bb.469:                              ;   in Loop: Header=BB291_10 Depth=1
	v_and_b32_sdwa v80, v1, v20 dst_sel:DWORD dst_unused:UNUSED_PAD src0_sel:WORD_0 src1_sel:DWORD
	v_lshrrev_b32_e32 v82, 3, v83
	s_mov_b32 s35, exec_lo
	v_cmpx_gt_u32_e32 8, v83
; %bb.470:                              ;   in Loop: Header=BB291_10 Depth=1
	v_ffbh_u32_e32 v11, v80
	v_min_u32_e32 v13, 32, v11
	v_subrev_nc_u32_e32 v11, 28, v13
	v_sub_nc_u32_e32 v82, 29, v13
	v_lshlrev_b64 v[11:12], v11, v[1:2]
	v_and_b32_e32 v80, 7, v11
; %bb.471:                              ;   in Loop: Header=BB291_10 Depth=1
	s_or_b32 exec_lo, exec_lo, s35
	v_lshlrev_b32_sdwa v1, v21, v1 dst_sel:DWORD dst_unused:UNUSED_PAD src0_sel:DWORD src1_sel:WORD_0
	v_lshl_add_u32 v11, v82, 10, 0x2000
	v_and_or_b32 v1, 0x8000, v1, v11
	v_lshlrev_b32_e32 v11, 23, v80
	v_lshl_or_b32 v80, v1, 16, v11
.LBB291_472:                            ;   in Loop: Header=BB291_10 Depth=1
	s_or_b32 exec_lo, exec_lo, s34
.LBB291_473:                            ;   in Loop: Header=BB291_10 Depth=1
	s_or_b32 exec_lo, exec_lo, s33
.LBB291_474:                            ;   in Loop: Header=BB291_10 Depth=1
	s_or_b32 exec_lo, exec_lo, s2
	v_lshrrev_b32_e32 v1, 16, v9
	v_cmp_ne_u16_sdwa s1, v1, v2 src0_sel:BYTE_0 src1_sel:DWORD
	s_and_saveexec_b32 s2, s1
	s_cbranch_execz .LBB291_482
; %bb.475:                              ;   in Loop: Header=BB291_10 Depth=1
	v_cmp_ne_u16_sdwa s1, v1, v17 src0_sel:BYTE_0 src1_sel:DWORD
	v_mov_b32_e32 v84, 0x8000
	s_and_saveexec_b32 s33, s1
	s_cbranch_execz .LBB291_481
; %bb.476:                              ;   in Loop: Header=BB291_10 Depth=1
	v_bfe_u32 v85, v9, 16, 7
	v_mov_b32_e32 v84, 0x7c01
	s_mov_b32 s34, exec_lo
	v_cmpx_ne_u32_e32 0x7f, v85
	s_cbranch_execz .LBB291_480
; %bb.477:                              ;   in Loop: Header=BB291_10 Depth=1
	v_and_b32_e32 v82, 7, v1
	v_lshrrev_b32_e32 v83, 3, v85
	s_mov_b32 s35, exec_lo
	v_cmpx_gt_u32_e32 8, v85
; %bb.478:                              ;   in Loop: Header=BB291_10 Depth=1
	v_ffbh_u32_e32 v11, v82
	v_min_u32_e32 v13, 32, v11
	v_subrev_nc_u32_e32 v11, 28, v13
	v_sub_nc_u32_e32 v83, 29, v13
	v_lshlrev_b64 v[11:12], v11, v[1:2]
	v_and_b32_e32 v82, 7, v11
; %bb.479:                              ;   in Loop: Header=BB291_10 Depth=1
	s_or_b32 exec_lo, exec_lo, s35
	v_lshlrev_b32_e32 v1, 8, v1
	v_lshl_add_u32 v11, v83, 10, 0x2000
	v_lshlrev_b32_e32 v12, 7, v82
	v_and_b32_e32 v1, 0x8000, v1
	v_and_b32_e32 v11, 0xfc00, v11
	v_or3_b32 v84, v1, v11, v12
.LBB291_480:                            ;   in Loop: Header=BB291_10 Depth=1
	s_or_b32 exec_lo, exec_lo, s34
.LBB291_481:                            ;   in Loop: Header=BB291_10 Depth=1
	s_or_b32 exec_lo, exec_lo, s33
.LBB291_482:                            ;   in Loop: Header=BB291_10 Depth=1
	s_or_b32 exec_lo, exec_lo, s2
	v_mov_b32_e32 v82, 0
	v_mov_b32_e32 v87, 0
	s_mov_b32 s2, exec_lo
	v_cmpx_lt_u32_e32 0xffffff, v9
	s_cbranch_execz .LBB291_490
; %bb.483:                              ;   in Loop: Header=BB291_10 Depth=1
	v_lshrrev_b32_e32 v1, 24, v9
	v_bfrev_b32_e32 v87, 1
	s_mov_b32 s33, exec_lo
	v_cmpx_ne_u32_e32 0x80, v1
	s_cbranch_execz .LBB291_489
; %bb.484:                              ;   in Loop: Header=BB291_10 Depth=1
	v_and_b32_e32 v86, 0x7f, v1
	v_mov_b32_e32 v87, 0x7c010000
	s_mov_b32 s34, exec_lo
	v_cmpx_ne_u32_e32 0x7f, v86
	s_cbranch_execz .LBB291_488
; %bb.485:                              ;   in Loop: Header=BB291_10 Depth=1
	v_and_b32_e32 v83, 7, v1
	v_lshrrev_b32_e32 v85, 3, v86
	s_mov_b32 s35, exec_lo
	v_cmpx_gt_u32_e32 8, v86
; %bb.486:                              ;   in Loop: Header=BB291_10 Depth=1
	v_ffbh_u32_e32 v11, v83
	v_min_u32_e32 v13, 32, v11
	v_subrev_nc_u32_e32 v11, 28, v13
	v_sub_nc_u32_e32 v85, 29, v13
	v_lshlrev_b64 v[11:12], v11, v[1:2]
	v_and_b32_e32 v83, 7, v11
; %bb.487:                              ;   in Loop: Header=BB291_10 Depth=1
	s_or_b32 exec_lo, exec_lo, s35
	v_lshlrev_b32_e32 v1, 8, v1
	v_lshl_add_u32 v11, v85, 10, 0x2000
	v_and_or_b32 v1, 0x8000, v1, v11
	v_lshlrev_b32_e32 v11, 23, v83
	v_lshl_or_b32 v87, v1, 16, v11
.LBB291_488:                            ;   in Loop: Header=BB291_10 Depth=1
	s_or_b32 exec_lo, exec_lo, s34
.LBB291_489:                            ;   in Loop: Header=BB291_10 Depth=1
	s_or_b32 exec_lo, exec_lo, s33
.LBB291_490:                            ;   in Loop: Header=BB291_10 Depth=1
	s_or_b32 exec_lo, exec_lo, s2
	v_mov_b32_e32 v1, v10
	v_cmp_ne_u16_sdwa s1, v10, v2 src0_sel:BYTE_0 src1_sel:DWORD
	s_and_saveexec_b32 s2, s1
	s_cbranch_execz .LBB291_498
; %bb.491:                              ;   in Loop: Header=BB291_10 Depth=1
	v_cmp_ne_u16_sdwa s1, v10, v17 src0_sel:BYTE_0 src1_sel:DWORD
	v_mov_b32_e32 v82, 0x8000
	s_and_saveexec_b32 s33, s1
	s_cbranch_execz .LBB291_497
; %bb.492:                              ;   in Loop: Header=BB291_10 Depth=1
	v_and_b32_e32 v85, 0x7f, v10
	v_mov_b32_e32 v82, 0x7c01
	s_mov_b32 s34, exec_lo
	v_cmpx_ne_u32_e32 0x7f, v85
	s_cbranch_execz .LBB291_496
; %bb.493:                              ;   in Loop: Header=BB291_10 Depth=1
	v_and_b32_e32 v82, 7, v10
	v_lshrrev_b32_e32 v83, 3, v85
	s_mov_b32 s35, exec_lo
	v_cmpx_gt_u32_e32 8, v85
; %bb.494:                              ;   in Loop: Header=BB291_10 Depth=1
	v_ffbh_u32_e32 v11, v82
	v_min_u32_e32 v13, 32, v11
	v_subrev_nc_u32_e32 v11, 28, v13
	v_sub_nc_u32_e32 v83, 29, v13
	v_lshlrev_b64 v[11:12], v11, v[1:2]
	v_and_b32_e32 v82, 7, v11
; %bb.495:                              ;   in Loop: Header=BB291_10 Depth=1
	s_or_b32 exec_lo, exec_lo, s35
	v_lshlrev_b32_e32 v11, 8, v10
	v_lshl_add_u32 v12, v83, 10, 0x2000
	v_lshlrev_b32_e32 v13, 7, v82
	v_and_b32_e32 v11, 0x8000, v11
	v_and_b32_e32 v12, 0xfc00, v12
	v_or3_b32 v82, v11, v12, v13
.LBB291_496:                            ;   in Loop: Header=BB291_10 Depth=1
	s_or_b32 exec_lo, exec_lo, s34
.LBB291_497:                            ;   in Loop: Header=BB291_10 Depth=1
	s_or_b32 exec_lo, exec_lo, s33
.LBB291_498:                            ;   in Loop: Header=BB291_10 Depth=1
	s_or_b32 exec_lo, exec_lo, s2
	v_lshrrev_b16 v1, 8, v1
	v_mov_b32_e32 v85, 0
	v_mov_b32_e32 v86, 0
	s_mov_b32 s2, exec_lo
	v_cmpx_ne_u16_e32 0, v1
	s_cbranch_execz .LBB291_506
; %bb.499:                              ;   in Loop: Header=BB291_10 Depth=1
	v_bfrev_b32_e32 v86, 1
	s_mov_b32 s33, exec_lo
	v_cmpx_ne_u16_e32 0x80, v1
	s_cbranch_execz .LBB291_505
; %bb.500:                              ;   in Loop: Header=BB291_10 Depth=1
	v_and_b32_sdwa v88, v1, v18 dst_sel:DWORD dst_unused:UNUSED_PAD src0_sel:WORD_0 src1_sel:DWORD
	v_mov_b32_e32 v86, 0x7c010000
	s_mov_b32 s34, exec_lo
	v_cmpx_ne_u32_e32 0x7f, v88
	s_cbranch_execz .LBB291_504
; %bb.501:                              ;   in Loop: Header=BB291_10 Depth=1
	v_and_b32_sdwa v83, v1, v20 dst_sel:DWORD dst_unused:UNUSED_PAD src0_sel:WORD_0 src1_sel:DWORD
	v_lshrrev_b32_e32 v86, 3, v88
	s_mov_b32 s35, exec_lo
	v_cmpx_gt_u32_e32 8, v88
; %bb.502:                              ;   in Loop: Header=BB291_10 Depth=1
	v_ffbh_u32_e32 v11, v83
	v_min_u32_e32 v13, 32, v11
	v_subrev_nc_u32_e32 v11, 28, v13
	v_sub_nc_u32_e32 v86, 29, v13
	v_lshlrev_b64 v[11:12], v11, v[1:2]
	v_and_b32_e32 v83, 7, v11
; %bb.503:                              ;   in Loop: Header=BB291_10 Depth=1
	s_or_b32 exec_lo, exec_lo, s35
	v_lshlrev_b32_sdwa v1, v21, v1 dst_sel:DWORD dst_unused:UNUSED_PAD src0_sel:DWORD src1_sel:WORD_0
	v_lshl_add_u32 v11, v86, 10, 0x2000
	v_and_or_b32 v1, 0x8000, v1, v11
	v_lshlrev_b32_e32 v11, 23, v83
	v_lshl_or_b32 v86, v1, 16, v11
.LBB291_504:                            ;   in Loop: Header=BB291_10 Depth=1
	s_or_b32 exec_lo, exec_lo, s34
.LBB291_505:                            ;   in Loop: Header=BB291_10 Depth=1
	s_or_b32 exec_lo, exec_lo, s33
.LBB291_506:                            ;   in Loop: Header=BB291_10 Depth=1
	s_or_b32 exec_lo, exec_lo, s2
	v_lshrrev_b32_e32 v1, 16, v10
	v_cmp_ne_u16_sdwa s1, v1, v2 src0_sel:BYTE_0 src1_sel:DWORD
	s_and_saveexec_b32 s2, s1
	s_cbranch_execz .LBB291_514
; %bb.507:                              ;   in Loop: Header=BB291_10 Depth=1
	v_cmp_ne_u16_sdwa s1, v1, v17 src0_sel:BYTE_0 src1_sel:DWORD
	v_mov_b32_e32 v85, 0x8000
	s_and_saveexec_b32 s33, s1
	s_cbranch_execz .LBB291_513
; %bb.508:                              ;   in Loop: Header=BB291_10 Depth=1
	v_bfe_u32 v88, v10, 16, 7
	v_mov_b32_e32 v85, 0x7c01
	s_mov_b32 s34, exec_lo
	v_cmpx_ne_u32_e32 0x7f, v88
	s_cbranch_execz .LBB291_512
; %bb.509:                              ;   in Loop: Header=BB291_10 Depth=1
	v_and_b32_e32 v83, 7, v1
	v_lshrrev_b32_e32 v85, 3, v88
	s_mov_b32 s35, exec_lo
	v_cmpx_gt_u32_e32 8, v88
; %bb.510:                              ;   in Loop: Header=BB291_10 Depth=1
	v_ffbh_u32_e32 v11, v83
	v_min_u32_e32 v13, 32, v11
	v_subrev_nc_u32_e32 v11, 28, v13
	v_sub_nc_u32_e32 v85, 29, v13
	v_lshlrev_b64 v[11:12], v11, v[1:2]
	v_and_b32_e32 v83, 7, v11
; %bb.511:                              ;   in Loop: Header=BB291_10 Depth=1
	s_or_b32 exec_lo, exec_lo, s35
	v_lshlrev_b32_e32 v1, 8, v1
	v_lshl_add_u32 v11, v85, 10, 0x2000
	v_lshlrev_b32_e32 v12, 7, v83
	v_and_b32_e32 v1, 0x8000, v1
	v_and_b32_e32 v11, 0xfc00, v11
	v_or3_b32 v85, v1, v11, v12
.LBB291_512:                            ;   in Loop: Header=BB291_10 Depth=1
	s_or_b32 exec_lo, exec_lo, s34
.LBB291_513:                            ;   in Loop: Header=BB291_10 Depth=1
	s_or_b32 exec_lo, exec_lo, s33
.LBB291_514:                            ;   in Loop: Header=BB291_10 Depth=1
	s_or_b32 exec_lo, exec_lo, s2
	v_mov_b32_e32 v92, 0
	v_mov_b32_e32 v83, 0
	s_mov_b32 s2, exec_lo
	v_cmpx_lt_u64_e64 s[4:5], v[9:10]
	s_cbranch_execz .LBB291_522
; %bb.515:                              ;   in Loop: Header=BB291_10 Depth=1
	v_lshrrev_b32_e32 v1, 24, v10
	v_bfrev_b32_e32 v83, 1
	s_mov_b32 s33, exec_lo
	v_cmpx_ne_u32_e32 0x80, v1
	s_cbranch_execz .LBB291_521
; %bb.516:                              ;   in Loop: Header=BB291_10 Depth=1
	v_and_b32_e32 v88, 0x7f, v1
	v_mov_b32_e32 v83, 0x7c010000
	s_mov_b32 s34, exec_lo
	v_cmpx_ne_u32_e32 0x7f, v88
	s_cbranch_execz .LBB291_520
; %bb.517:                              ;   in Loop: Header=BB291_10 Depth=1
	v_and_b32_e32 v9, 7, v1
	v_lshrrev_b32_e32 v10, 3, v88
	s_mov_b32 s35, exec_lo
	v_cmpx_gt_u32_e32 8, v88
; %bb.518:                              ;   in Loop: Header=BB291_10 Depth=1
	v_ffbh_u32_e32 v9, v9
	v_min_u32_e32 v11, 32, v9
	v_subrev_nc_u32_e32 v9, 28, v11
	v_lshlrev_b64 v[9:10], v9, v[1:2]
	v_sub_nc_u32_e32 v10, 29, v11
	v_and_b32_e32 v9, 7, v9
; %bb.519:                              ;   in Loop: Header=BB291_10 Depth=1
	s_or_b32 exec_lo, exec_lo, s35
	v_lshlrev_b32_e32 v1, 8, v1
	v_lshl_add_u32 v10, v10, 10, 0x2000
	v_lshlrev_b32_e32 v9, 23, v9
	v_and_or_b32 v1, 0x8000, v1, v10
	v_lshl_or_b32 v83, v1, 16, v9
.LBB291_520:                            ;   in Loop: Header=BB291_10 Depth=1
	s_or_b32 exec_lo, exec_lo, s34
.LBB291_521:                            ;   in Loop: Header=BB291_10 Depth=1
	s_or_b32 exec_lo, exec_lo, s33
.LBB291_522:                            ;   in Loop: Header=BB291_10 Depth=1
	s_or_b32 exec_lo, exec_lo, s2
	v_add_co_u32 v7, s1, 0x800, v7
	v_add_co_ci_u32_e64 v8, null, 0, v8, s1
	global_load_dwordx2 v[9:10], v[7:8], off
	s_waitcnt vmcnt(0)
	v_cmp_ne_u16_sdwa s1, v9, v2 src0_sel:BYTE_0 src1_sel:DWORD
	s_and_saveexec_b32 s2, s1
	s_cbranch_execz .LBB291_530
; %bb.523:                              ;   in Loop: Header=BB291_10 Depth=1
	v_cmp_ne_u16_sdwa s1, v9, v17 src0_sel:BYTE_0 src1_sel:DWORD
	v_mov_b32_e32 v92, 0x8000
	s_and_saveexec_b32 s33, s1
	s_cbranch_execz .LBB291_529
; %bb.524:                              ;   in Loop: Header=BB291_10 Depth=1
	v_and_b32_e32 v89, 0x7f, v9
	v_mov_b32_e32 v92, 0x7c01
	s_mov_b32 s34, exec_lo
	v_cmpx_ne_u32_e32 0x7f, v89
	s_cbranch_execz .LBB291_528
; %bb.525:                              ;   in Loop: Header=BB291_10 Depth=1
	v_and_b32_e32 v1, 7, v9
	v_lshrrev_b32_e32 v88, 3, v89
	s_mov_b32 s35, exec_lo
	v_cmpx_gt_u32_e32 8, v89
; %bb.526:                              ;   in Loop: Header=BB291_10 Depth=1
	v_ffbh_u32_e32 v1, v1
	v_min_u32_e32 v1, 32, v1
	v_subrev_nc_u32_e32 v11, 28, v1
	v_sub_nc_u32_e32 v88, 29, v1
	v_lshlrev_b64 v[11:12], v11, v[9:10]
	v_and_b32_e32 v1, 7, v11
; %bb.527:                              ;   in Loop: Header=BB291_10 Depth=1
	s_or_b32 exec_lo, exec_lo, s35
	v_lshlrev_b32_e32 v11, 8, v9
	v_lshl_add_u32 v12, v88, 10, 0x2000
	v_lshlrev_b32_e32 v1, 7, v1
	v_and_b32_e32 v11, 0x8000, v11
	v_and_b32_e32 v12, 0xfc00, v12
	v_or3_b32 v92, v11, v12, v1
.LBB291_528:                            ;   in Loop: Header=BB291_10 Depth=1
	s_or_b32 exec_lo, exec_lo, s34
.LBB291_529:                            ;   in Loop: Header=BB291_10 Depth=1
	s_or_b32 exec_lo, exec_lo, s33
.LBB291_530:                            ;   in Loop: Header=BB291_10 Depth=1
	s_or_b32 exec_lo, exec_lo, s2
	v_lshrrev_b16 v1, 8, v9
	v_mov_b32_e32 v101, 0
	v_mov_b32_e32 v89, 0
	s_mov_b32 s2, exec_lo
	v_cmpx_ne_u16_e32 0, v1
	s_cbranch_execz .LBB291_538
; %bb.531:                              ;   in Loop: Header=BB291_10 Depth=1
	v_bfrev_b32_e32 v89, 1
	s_mov_b32 s33, exec_lo
	v_cmpx_ne_u16_e32 0x80, v1
	s_cbranch_execz .LBB291_537
; %bb.532:                              ;   in Loop: Header=BB291_10 Depth=1
	v_and_b32_sdwa v90, v1, v18 dst_sel:DWORD dst_unused:UNUSED_PAD src0_sel:WORD_0 src1_sel:DWORD
	v_mov_b32_e32 v89, 0x7c010000
	s_mov_b32 s34, exec_lo
	v_cmpx_ne_u32_e32 0x7f, v90
	s_cbranch_execz .LBB291_536
; %bb.533:                              ;   in Loop: Header=BB291_10 Depth=1
	v_and_b32_sdwa v88, v1, v20 dst_sel:DWORD dst_unused:UNUSED_PAD src0_sel:WORD_0 src1_sel:DWORD
	v_lshrrev_b32_e32 v89, 3, v90
	s_mov_b32 s35, exec_lo
	v_cmpx_gt_u32_e32 8, v90
; %bb.534:                              ;   in Loop: Header=BB291_10 Depth=1
	v_ffbh_u32_e32 v11, v88
	v_min_u32_e32 v13, 32, v11
	v_subrev_nc_u32_e32 v11, 28, v13
	v_sub_nc_u32_e32 v89, 29, v13
	v_lshlrev_b64 v[11:12], v11, v[1:2]
	v_and_b32_e32 v88, 7, v11
; %bb.535:                              ;   in Loop: Header=BB291_10 Depth=1
	s_or_b32 exec_lo, exec_lo, s35
	v_lshlrev_b32_sdwa v1, v21, v1 dst_sel:DWORD dst_unused:UNUSED_PAD src0_sel:DWORD src1_sel:WORD_0
	v_lshl_add_u32 v11, v89, 10, 0x2000
	v_and_or_b32 v1, 0x8000, v1, v11
	v_lshlrev_b32_e32 v11, 23, v88
	v_lshl_or_b32 v89, v1, 16, v11
.LBB291_536:                            ;   in Loop: Header=BB291_10 Depth=1
	s_or_b32 exec_lo, exec_lo, s34
.LBB291_537:                            ;   in Loop: Header=BB291_10 Depth=1
	s_or_b32 exec_lo, exec_lo, s33
.LBB291_538:                            ;   in Loop: Header=BB291_10 Depth=1
	s_or_b32 exec_lo, exec_lo, s2
	v_lshrrev_b32_e32 v1, 16, v9
	v_cmp_ne_u16_sdwa s1, v1, v2 src0_sel:BYTE_0 src1_sel:DWORD
	s_and_saveexec_b32 s2, s1
	s_cbranch_execz .LBB291_546
; %bb.539:                              ;   in Loop: Header=BB291_10 Depth=1
	v_cmp_ne_u16_sdwa s1, v1, v17 src0_sel:BYTE_0 src1_sel:DWORD
	v_mov_b32_e32 v101, 0x8000
	s_and_saveexec_b32 s33, s1
	s_cbranch_execz .LBB291_545
; %bb.540:                              ;   in Loop: Header=BB291_10 Depth=1
	v_bfe_u32 v91, v9, 16, 7
	v_mov_b32_e32 v101, 0x7c01
	s_mov_b32 s34, exec_lo
	v_cmpx_ne_u32_e32 0x7f, v91
	s_cbranch_execz .LBB291_544
; %bb.541:                              ;   in Loop: Header=BB291_10 Depth=1
	v_and_b32_e32 v88, 7, v1
	v_lshrrev_b32_e32 v90, 3, v91
	s_mov_b32 s35, exec_lo
	v_cmpx_gt_u32_e32 8, v91
; %bb.542:                              ;   in Loop: Header=BB291_10 Depth=1
	v_ffbh_u32_e32 v11, v88
	v_min_u32_e32 v13, 32, v11
	v_subrev_nc_u32_e32 v11, 28, v13
	v_sub_nc_u32_e32 v90, 29, v13
	v_lshlrev_b64 v[11:12], v11, v[1:2]
	v_and_b32_e32 v88, 7, v11
; %bb.543:                              ;   in Loop: Header=BB291_10 Depth=1
	s_or_b32 exec_lo, exec_lo, s35
	v_lshlrev_b32_e32 v1, 8, v1
	v_lshl_add_u32 v11, v90, 10, 0x2000
	v_lshlrev_b32_e32 v12, 7, v88
	v_and_b32_e32 v1, 0x8000, v1
	v_and_b32_e32 v11, 0xfc00, v11
	v_or3_b32 v101, v1, v11, v12
.LBB291_544:                            ;   in Loop: Header=BB291_10 Depth=1
	s_or_b32 exec_lo, exec_lo, s34
.LBB291_545:                            ;   in Loop: Header=BB291_10 Depth=1
	s_or_b32 exec_lo, exec_lo, s33
.LBB291_546:                            ;   in Loop: Header=BB291_10 Depth=1
	s_or_b32 exec_lo, exec_lo, s2
	v_mov_b32_e32 v93, 0
	v_mov_b32_e32 v100, 0
	s_mov_b32 s2, exec_lo
	v_cmpx_lt_u32_e32 0xffffff, v9
	s_cbranch_execz .LBB291_554
; %bb.547:                              ;   in Loop: Header=BB291_10 Depth=1
	v_lshrrev_b32_e32 v1, 24, v9
	v_bfrev_b32_e32 v100, 1
	s_mov_b32 s33, exec_lo
	v_cmpx_ne_u32_e32 0x80, v1
	s_cbranch_execz .LBB291_553
; %bb.548:                              ;   in Loop: Header=BB291_10 Depth=1
	v_and_b32_e32 v91, 0x7f, v1
	v_mov_b32_e32 v100, 0x7c010000
	s_mov_b32 s34, exec_lo
	v_cmpx_ne_u32_e32 0x7f, v91
	s_cbranch_execz .LBB291_552
; %bb.549:                              ;   in Loop: Header=BB291_10 Depth=1
	v_and_b32_e32 v88, 7, v1
	v_lshrrev_b32_e32 v90, 3, v91
	s_mov_b32 s35, exec_lo
	v_cmpx_gt_u32_e32 8, v91
; %bb.550:                              ;   in Loop: Header=BB291_10 Depth=1
	v_ffbh_u32_e32 v11, v88
	v_min_u32_e32 v13, 32, v11
	v_subrev_nc_u32_e32 v11, 28, v13
	v_sub_nc_u32_e32 v90, 29, v13
	v_lshlrev_b64 v[11:12], v11, v[1:2]
	v_and_b32_e32 v88, 7, v11
; %bb.551:                              ;   in Loop: Header=BB291_10 Depth=1
	s_or_b32 exec_lo, exec_lo, s35
	v_lshlrev_b32_e32 v1, 8, v1
	v_lshl_add_u32 v11, v90, 10, 0x2000
	v_and_or_b32 v1, 0x8000, v1, v11
	v_lshlrev_b32_e32 v11, 23, v88
	v_lshl_or_b32 v100, v1, 16, v11
.LBB291_552:                            ;   in Loop: Header=BB291_10 Depth=1
	s_or_b32 exec_lo, exec_lo, s34
.LBB291_553:                            ;   in Loop: Header=BB291_10 Depth=1
	s_or_b32 exec_lo, exec_lo, s33
.LBB291_554:                            ;   in Loop: Header=BB291_10 Depth=1
	s_or_b32 exec_lo, exec_lo, s2
	v_mov_b32_e32 v1, v10
	v_cmp_ne_u16_sdwa s1, v10, v2 src0_sel:BYTE_0 src1_sel:DWORD
	s_and_saveexec_b32 s2, s1
	s_cbranch_execz .LBB291_562
; %bb.555:                              ;   in Loop: Header=BB291_10 Depth=1
	v_cmp_ne_u16_sdwa s1, v10, v17 src0_sel:BYTE_0 src1_sel:DWORD
	v_mov_b32_e32 v93, 0x8000
	s_and_saveexec_b32 s33, s1
	s_cbranch_execz .LBB291_561
; %bb.556:                              ;   in Loop: Header=BB291_10 Depth=1
	v_and_b32_e32 v91, 0x7f, v10
	v_mov_b32_e32 v93, 0x7c01
	s_mov_b32 s34, exec_lo
	v_cmpx_ne_u32_e32 0x7f, v91
	s_cbranch_execz .LBB291_560
; %bb.557:                              ;   in Loop: Header=BB291_10 Depth=1
	v_and_b32_e32 v88, 7, v10
	v_lshrrev_b32_e32 v90, 3, v91
	s_mov_b32 s35, exec_lo
	v_cmpx_gt_u32_e32 8, v91
; %bb.558:                              ;   in Loop: Header=BB291_10 Depth=1
	v_ffbh_u32_e32 v11, v88
	v_min_u32_e32 v13, 32, v11
	v_subrev_nc_u32_e32 v11, 28, v13
	v_sub_nc_u32_e32 v90, 29, v13
	v_lshlrev_b64 v[11:12], v11, v[1:2]
	v_and_b32_e32 v88, 7, v11
; %bb.559:                              ;   in Loop: Header=BB291_10 Depth=1
	s_or_b32 exec_lo, exec_lo, s35
	v_lshlrev_b32_e32 v11, 8, v10
	v_lshl_add_u32 v12, v90, 10, 0x2000
	v_lshlrev_b32_e32 v13, 7, v88
	v_and_b32_e32 v11, 0x8000, v11
	v_and_b32_e32 v12, 0xfc00, v12
	v_or3_b32 v93, v11, v12, v13
.LBB291_560:                            ;   in Loop: Header=BB291_10 Depth=1
	s_or_b32 exec_lo, exec_lo, s34
.LBB291_561:                            ;   in Loop: Header=BB291_10 Depth=1
	s_or_b32 exec_lo, exec_lo, s33
.LBB291_562:                            ;   in Loop: Header=BB291_10 Depth=1
	s_or_b32 exec_lo, exec_lo, s2
	v_lshrrev_b16 v1, 8, v1
	v_mov_b32_e32 v97, 0
	v_mov_b32_e32 v98, 0
	s_mov_b32 s2, exec_lo
	v_cmpx_ne_u16_e32 0, v1
	s_cbranch_execz .LBB291_570
; %bb.563:                              ;   in Loop: Header=BB291_10 Depth=1
	v_bfrev_b32_e32 v98, 1
	s_mov_b32 s33, exec_lo
	v_cmpx_ne_u16_e32 0x80, v1
	s_cbranch_execz .LBB291_569
; %bb.564:                              ;   in Loop: Header=BB291_10 Depth=1
	v_and_b32_sdwa v91, v1, v18 dst_sel:DWORD dst_unused:UNUSED_PAD src0_sel:WORD_0 src1_sel:DWORD
	v_mov_b32_e32 v98, 0x7c010000
	s_mov_b32 s34, exec_lo
	v_cmpx_ne_u32_e32 0x7f, v91
	s_cbranch_execz .LBB291_568
; %bb.565:                              ;   in Loop: Header=BB291_10 Depth=1
	v_and_b32_sdwa v88, v1, v20 dst_sel:DWORD dst_unused:UNUSED_PAD src0_sel:WORD_0 src1_sel:DWORD
	v_lshrrev_b32_e32 v90, 3, v91
	s_mov_b32 s35, exec_lo
	v_cmpx_gt_u32_e32 8, v91
; %bb.566:                              ;   in Loop: Header=BB291_10 Depth=1
	v_ffbh_u32_e32 v11, v88
	v_min_u32_e32 v13, 32, v11
	v_subrev_nc_u32_e32 v11, 28, v13
	v_sub_nc_u32_e32 v90, 29, v13
	v_lshlrev_b64 v[11:12], v11, v[1:2]
	v_and_b32_e32 v88, 7, v11
; %bb.567:                              ;   in Loop: Header=BB291_10 Depth=1
	s_or_b32 exec_lo, exec_lo, s35
	v_lshlrev_b32_sdwa v1, v21, v1 dst_sel:DWORD dst_unused:UNUSED_PAD src0_sel:DWORD src1_sel:WORD_0
	v_lshl_add_u32 v11, v90, 10, 0x2000
	v_and_or_b32 v1, 0x8000, v1, v11
	v_lshlrev_b32_e32 v11, 23, v88
	v_lshl_or_b32 v98, v1, 16, v11
.LBB291_568:                            ;   in Loop: Header=BB291_10 Depth=1
	s_or_b32 exec_lo, exec_lo, s34
.LBB291_569:                            ;   in Loop: Header=BB291_10 Depth=1
	s_or_b32 exec_lo, exec_lo, s33
.LBB291_570:                            ;   in Loop: Header=BB291_10 Depth=1
	s_or_b32 exec_lo, exec_lo, s2
	v_lshrrev_b32_e32 v1, 16, v10
	v_cmp_ne_u16_sdwa s1, v1, v2 src0_sel:BYTE_0 src1_sel:DWORD
	s_and_saveexec_b32 s2, s1
	s_cbranch_execz .LBB291_578
; %bb.571:                              ;   in Loop: Header=BB291_10 Depth=1
	v_cmp_ne_u16_sdwa s1, v1, v17 src0_sel:BYTE_0 src1_sel:DWORD
	v_mov_b32_e32 v97, 0x8000
	s_and_saveexec_b32 s33, s1
	s_cbranch_execz .LBB291_577
; %bb.572:                              ;   in Loop: Header=BB291_10 Depth=1
	v_bfe_u32 v91, v10, 16, 7
	v_mov_b32_e32 v97, 0x7c01
	s_mov_b32 s34, exec_lo
	v_cmpx_ne_u32_e32 0x7f, v91
	s_cbranch_execz .LBB291_576
; %bb.573:                              ;   in Loop: Header=BB291_10 Depth=1
	v_and_b32_e32 v88, 7, v1
	v_lshrrev_b32_e32 v90, 3, v91
	s_mov_b32 s35, exec_lo
	v_cmpx_gt_u32_e32 8, v91
; %bb.574:                              ;   in Loop: Header=BB291_10 Depth=1
	v_ffbh_u32_e32 v11, v88
	v_min_u32_e32 v13, 32, v11
	v_subrev_nc_u32_e32 v11, 28, v13
	v_sub_nc_u32_e32 v90, 29, v13
	v_lshlrev_b64 v[11:12], v11, v[1:2]
	v_and_b32_e32 v88, 7, v11
; %bb.575:                              ;   in Loop: Header=BB291_10 Depth=1
	s_or_b32 exec_lo, exec_lo, s35
	v_lshlrev_b32_e32 v1, 8, v1
	v_lshl_add_u32 v11, v90, 10, 0x2000
	v_lshlrev_b32_e32 v12, 7, v88
	v_and_b32_e32 v1, 0x8000, v1
	v_and_b32_e32 v11, 0xfc00, v11
	v_or3_b32 v97, v1, v11, v12
.LBB291_576:                            ;   in Loop: Header=BB291_10 Depth=1
	s_or_b32 exec_lo, exec_lo, s34
.LBB291_577:                            ;   in Loop: Header=BB291_10 Depth=1
	s_or_b32 exec_lo, exec_lo, s33
.LBB291_578:                            ;   in Loop: Header=BB291_10 Depth=1
	s_or_b32 exec_lo, exec_lo, s2
	v_cmp_lt_u64_e64 s1, s[4:5], v[9:10]
	v_mov_b32_e32 v9, 0
	v_mov_b32_e32 v96, 0
	s_and_saveexec_b32 s2, s1
	s_cbranch_execz .LBB291_586
; %bb.579:                              ;   in Loop: Header=BB291_10 Depth=1
	v_lshrrev_b32_e32 v1, 24, v10
	v_bfrev_b32_e32 v96, 1
	s_mov_b32 s33, exec_lo
	v_cmpx_ne_u32_e32 0x80, v1
	s_cbranch_execz .LBB291_585
; %bb.580:                              ;   in Loop: Header=BB291_10 Depth=1
	v_and_b32_e32 v90, 0x7f, v1
	v_mov_b32_e32 v96, 0x7c010000
	s_mov_b32 s34, exec_lo
	v_cmpx_ne_u32_e32 0x7f, v90
	s_cbranch_execz .LBB291_584
; %bb.581:                              ;   in Loop: Header=BB291_10 Depth=1
	v_and_b32_e32 v10, 7, v1
	v_lshrrev_b32_e32 v88, 3, v90
	s_mov_b32 s35, exec_lo
	v_cmpx_gt_u32_e32 8, v90
; %bb.582:                              ;   in Loop: Header=BB291_10 Depth=1
	v_ffbh_u32_e32 v10, v10
	v_min_u32_e32 v12, 32, v10
	v_subrev_nc_u32_e32 v10, 28, v12
	v_sub_nc_u32_e32 v88, 29, v12
	v_lshlrev_b64 v[10:11], v10, v[1:2]
	v_and_b32_e32 v10, 7, v10
; %bb.583:                              ;   in Loop: Header=BB291_10 Depth=1
	s_or_b32 exec_lo, exec_lo, s35
	v_lshlrev_b32_e32 v1, 8, v1
	v_lshl_add_u32 v11, v88, 10, 0x2000
	v_lshlrev_b32_e32 v10, 23, v10
	v_and_or_b32 v1, 0x8000, v1, v11
	v_lshl_or_b32 v96, v1, 16, v10
.LBB291_584:                            ;   in Loop: Header=BB291_10 Depth=1
	s_or_b32 exec_lo, exec_lo, s34
.LBB291_585:                            ;   in Loop: Header=BB291_10 Depth=1
	s_or_b32 exec_lo, exec_lo, s33
.LBB291_586:                            ;   in Loop: Header=BB291_10 Depth=1
	s_or_b32 exec_lo, exec_lo, s2
	global_load_dwordx2 v[7:8], v[7:8], off offset:8
	s_waitcnt vmcnt(0)
	v_cmp_ne_u16_sdwa s1, v7, v2 src0_sel:BYTE_0 src1_sel:DWORD
	s_and_saveexec_b32 s2, s1
	s_cbranch_execz .LBB291_594
; %bb.587:                              ;   in Loop: Header=BB291_10 Depth=1
	v_cmp_ne_u16_sdwa s1, v7, v17 src0_sel:BYTE_0 src1_sel:DWORD
	v_mov_b32_e32 v9, 0x8000
	s_and_saveexec_b32 s33, s1
	s_cbranch_execz .LBB291_593
; %bb.588:                              ;   in Loop: Header=BB291_10 Depth=1
	v_and_b32_e32 v10, 0x7f, v7
	v_mov_b32_e32 v9, 0x7c01
	s_mov_b32 s34, exec_lo
	v_cmpx_ne_u32_e32 0x7f, v10
	s_cbranch_execz .LBB291_592
; %bb.589:                              ;   in Loop: Header=BB291_10 Depth=1
	v_and_b32_e32 v1, 7, v7
	v_lshrrev_b32_e32 v9, 3, v10
	s_mov_b32 s35, exec_lo
	v_cmpx_gt_u32_e32 8, v10
; %bb.590:                              ;   in Loop: Header=BB291_10 Depth=1
	v_ffbh_u32_e32 v1, v1
	v_min_u32_e32 v1, 32, v1
	v_subrev_nc_u32_e32 v9, 28, v1
	v_lshlrev_b64 v[10:11], v9, v[7:8]
	v_sub_nc_u32_e32 v9, 29, v1
	v_and_b32_e32 v1, 7, v10
; %bb.591:                              ;   in Loop: Header=BB291_10 Depth=1
	s_or_b32 exec_lo, exec_lo, s35
	v_lshlrev_b32_e32 v10, 8, v7
	v_lshl_add_u32 v9, v9, 10, 0x2000
	v_lshlrev_b32_e32 v1, 7, v1
	v_and_b32_e32 v10, 0x8000, v10
	v_and_b32_e32 v9, 0xfc00, v9
	v_or3_b32 v9, v10, v9, v1
.LBB291_592:                            ;   in Loop: Header=BB291_10 Depth=1
	s_or_b32 exec_lo, exec_lo, s34
.LBB291_593:                            ;   in Loop: Header=BB291_10 Depth=1
	s_or_b32 exec_lo, exec_lo, s33
.LBB291_594:                            ;   in Loop: Header=BB291_10 Depth=1
	s_or_b32 exec_lo, exec_lo, s2
	v_lshrrev_b16 v1, 8, v7
	v_mov_b32_e32 v88, 0
	v_mov_b32_e32 v10, 0
	s_mov_b32 s2, exec_lo
	v_cmpx_ne_u16_e32 0, v1
	s_cbranch_execz .LBB291_602
; %bb.595:                              ;   in Loop: Header=BB291_10 Depth=1
	v_bfrev_b32_e32 v10, 1
	s_mov_b32 s33, exec_lo
	v_cmpx_ne_u16_e32 0x80, v1
	s_cbranch_execz .LBB291_601
; %bb.596:                              ;   in Loop: Header=BB291_10 Depth=1
	v_and_b32_sdwa v91, v1, v18 dst_sel:DWORD dst_unused:UNUSED_PAD src0_sel:WORD_0 src1_sel:DWORD
	v_mov_b32_e32 v10, 0x7c010000
	s_mov_b32 s34, exec_lo
	v_cmpx_ne_u32_e32 0x7f, v91
	s_cbranch_execz .LBB291_600
; %bb.597:                              ;   in Loop: Header=BB291_10 Depth=1
	v_and_b32_sdwa v10, v1, v20 dst_sel:DWORD dst_unused:UNUSED_PAD src0_sel:WORD_0 src1_sel:DWORD
	v_lshrrev_b32_e32 v90, 3, v91
	s_mov_b32 s35, exec_lo
	v_cmpx_gt_u32_e32 8, v91
; %bb.598:                              ;   in Loop: Header=BB291_10 Depth=1
	v_ffbh_u32_e32 v10, v10
	v_min_u32_e32 v12, 32, v10
	v_subrev_nc_u32_e32 v10, 28, v12
	v_sub_nc_u32_e32 v90, 29, v12
	v_lshlrev_b64 v[10:11], v10, v[1:2]
	v_and_b32_e32 v10, 7, v10
; %bb.599:                              ;   in Loop: Header=BB291_10 Depth=1
	s_or_b32 exec_lo, exec_lo, s35
	v_lshlrev_b32_sdwa v1, v21, v1 dst_sel:DWORD dst_unused:UNUSED_PAD src0_sel:DWORD src1_sel:WORD_0
	v_lshl_add_u32 v11, v90, 10, 0x2000
	v_lshlrev_b32_e32 v10, 23, v10
	v_and_or_b32 v1, 0x8000, v1, v11
	v_lshl_or_b32 v10, v1, 16, v10
.LBB291_600:                            ;   in Loop: Header=BB291_10 Depth=1
	s_or_b32 exec_lo, exec_lo, s34
.LBB291_601:                            ;   in Loop: Header=BB291_10 Depth=1
	s_or_b32 exec_lo, exec_lo, s33
.LBB291_602:                            ;   in Loop: Header=BB291_10 Depth=1
	s_or_b32 exec_lo, exec_lo, s2
	v_lshrrev_b32_e32 v1, 16, v7
	v_cmp_ne_u16_sdwa s1, v1, v2 src0_sel:BYTE_0 src1_sel:DWORD
	s_and_saveexec_b32 s2, s1
	s_cbranch_execz .LBB291_610
; %bb.603:                              ;   in Loop: Header=BB291_10 Depth=1
	v_cmp_ne_u16_sdwa s1, v1, v17 src0_sel:BYTE_0 src1_sel:DWORD
	v_mov_b32_e32 v88, 0x8000
	s_and_saveexec_b32 s33, s1
	s_cbranch_execz .LBB291_609
; %bb.604:                              ;   in Loop: Header=BB291_10 Depth=1
	v_bfe_u32 v91, v7, 16, 7
	v_mov_b32_e32 v88, 0x7c01
	s_mov_b32 s34, exec_lo
	v_cmpx_ne_u32_e32 0x7f, v91
	s_cbranch_execz .LBB291_608
; %bb.605:                              ;   in Loop: Header=BB291_10 Depth=1
	v_and_b32_e32 v88, 7, v1
	v_lshrrev_b32_e32 v90, 3, v91
	s_mov_b32 s35, exec_lo
	v_cmpx_gt_u32_e32 8, v91
; %bb.606:                              ;   in Loop: Header=BB291_10 Depth=1
	v_ffbh_u32_e32 v11, v88
	v_min_u32_e32 v13, 32, v11
	v_subrev_nc_u32_e32 v11, 28, v13
	v_sub_nc_u32_e32 v90, 29, v13
	v_lshlrev_b64 v[11:12], v11, v[1:2]
	v_and_b32_e32 v88, 7, v11
; %bb.607:                              ;   in Loop: Header=BB291_10 Depth=1
	s_or_b32 exec_lo, exec_lo, s35
	v_lshlrev_b32_e32 v1, 8, v1
	v_lshl_add_u32 v11, v90, 10, 0x2000
	v_lshlrev_b32_e32 v12, 7, v88
	v_and_b32_e32 v1, 0x8000, v1
	v_and_b32_e32 v11, 0xfc00, v11
	v_or3_b32 v88, v1, v11, v12
.LBB291_608:                            ;   in Loop: Header=BB291_10 Depth=1
	s_or_b32 exec_lo, exec_lo, s34
.LBB291_609:                            ;   in Loop: Header=BB291_10 Depth=1
	s_or_b32 exec_lo, exec_lo, s33
.LBB291_610:                            ;   in Loop: Header=BB291_10 Depth=1
	s_or_b32 exec_lo, exec_lo, s2
	v_mov_b32_e32 v90, 0
	v_mov_b32_e32 v91, 0
	s_mov_b32 s2, exec_lo
	v_cmpx_lt_u32_e32 0xffffff, v7
	s_cbranch_execz .LBB291_618
; %bb.611:                              ;   in Loop: Header=BB291_10 Depth=1
	v_lshrrev_b32_e32 v1, 24, v7
	v_bfrev_b32_e32 v91, 1
	s_mov_b32 s33, exec_lo
	v_cmpx_ne_u32_e32 0x80, v1
	s_cbranch_execz .LBB291_617
; %bb.612:                              ;   in Loop: Header=BB291_10 Depth=1
	v_and_b32_e32 v95, 0x7f, v1
	v_mov_b32_e32 v91, 0x7c010000
	s_mov_b32 s34, exec_lo
	v_cmpx_ne_u32_e32 0x7f, v95
	s_cbranch_execz .LBB291_616
; %bb.613:                              ;   in Loop: Header=BB291_10 Depth=1
	v_and_b32_e32 v91, 7, v1
	v_lshrrev_b32_e32 v94, 3, v95
	s_mov_b32 s35, exec_lo
	v_cmpx_gt_u32_e32 8, v95
; %bb.614:                              ;   in Loop: Header=BB291_10 Depth=1
	v_ffbh_u32_e32 v11, v91
	v_min_u32_e32 v13, 32, v11
	v_subrev_nc_u32_e32 v11, 28, v13
	v_sub_nc_u32_e32 v94, 29, v13
	v_lshlrev_b64 v[11:12], v11, v[1:2]
	v_and_b32_e32 v91, 7, v11
; %bb.615:                              ;   in Loop: Header=BB291_10 Depth=1
	s_or_b32 exec_lo, exec_lo, s35
	v_lshlrev_b32_e32 v1, 8, v1
	v_lshl_add_u32 v11, v94, 10, 0x2000
	v_and_or_b32 v1, 0x8000, v1, v11
	v_lshlrev_b32_e32 v11, 23, v91
	v_lshl_or_b32 v91, v1, 16, v11
.LBB291_616:                            ;   in Loop: Header=BB291_10 Depth=1
	s_or_b32 exec_lo, exec_lo, s34
.LBB291_617:                            ;   in Loop: Header=BB291_10 Depth=1
	s_or_b32 exec_lo, exec_lo, s33
.LBB291_618:                            ;   in Loop: Header=BB291_10 Depth=1
	s_or_b32 exec_lo, exec_lo, s2
	v_mov_b32_e32 v1, v8
	v_cmp_ne_u16_sdwa s1, v8, v2 src0_sel:BYTE_0 src1_sel:DWORD
	s_and_saveexec_b32 s2, s1
	s_cbranch_execz .LBB291_626
; %bb.619:                              ;   in Loop: Header=BB291_10 Depth=1
	v_cmp_ne_u16_sdwa s1, v8, v17 src0_sel:BYTE_0 src1_sel:DWORD
	v_mov_b32_e32 v90, 0x8000
	s_and_saveexec_b32 s33, s1
	s_cbranch_execz .LBB291_625
; %bb.620:                              ;   in Loop: Header=BB291_10 Depth=1
	v_and_b32_e32 v95, 0x7f, v8
	v_mov_b32_e32 v90, 0x7c01
	s_mov_b32 s34, exec_lo
	v_cmpx_ne_u32_e32 0x7f, v95
	s_cbranch_execz .LBB291_624
; %bb.621:                              ;   in Loop: Header=BB291_10 Depth=1
	v_and_b32_e32 v90, 7, v8
	v_lshrrev_b32_e32 v94, 3, v95
	s_mov_b32 s35, exec_lo
	v_cmpx_gt_u32_e32 8, v95
; %bb.622:                              ;   in Loop: Header=BB291_10 Depth=1
	v_ffbh_u32_e32 v11, v90
	v_min_u32_e32 v13, 32, v11
	v_subrev_nc_u32_e32 v11, 28, v13
	v_sub_nc_u32_e32 v94, 29, v13
	v_lshlrev_b64 v[11:12], v11, v[1:2]
	v_and_b32_e32 v90, 7, v11
; %bb.623:                              ;   in Loop: Header=BB291_10 Depth=1
	s_or_b32 exec_lo, exec_lo, s35
	v_lshlrev_b32_e32 v11, 8, v8
	v_lshl_add_u32 v12, v94, 10, 0x2000
	v_lshlrev_b32_e32 v13, 7, v90
	v_and_b32_e32 v11, 0x8000, v11
	v_and_b32_e32 v12, 0xfc00, v12
	v_or3_b32 v90, v11, v12, v13
.LBB291_624:                            ;   in Loop: Header=BB291_10 Depth=1
	s_or_b32 exec_lo, exec_lo, s34
.LBB291_625:                            ;   in Loop: Header=BB291_10 Depth=1
	s_or_b32 exec_lo, exec_lo, s33
.LBB291_626:                            ;   in Loop: Header=BB291_10 Depth=1
	s_or_b32 exec_lo, exec_lo, s2
	v_lshrrev_b16 v1, 8, v1
	v_mov_b32_e32 v95, 0
	v_mov_b32_e32 v94, 0
	s_mov_b32 s2, exec_lo
	v_cmpx_ne_u16_e32 0, v1
	s_cbranch_execz .LBB291_634
; %bb.627:                              ;   in Loop: Header=BB291_10 Depth=1
	v_bfrev_b32_e32 v94, 1
	s_mov_b32 s33, exec_lo
	v_cmpx_ne_u16_e32 0x80, v1
	s_cbranch_execz .LBB291_633
; %bb.628:                              ;   in Loop: Header=BB291_10 Depth=1
	v_and_b32_sdwa v102, v1, v18 dst_sel:DWORD dst_unused:UNUSED_PAD src0_sel:WORD_0 src1_sel:DWORD
	v_mov_b32_e32 v94, 0x7c010000
	s_mov_b32 s34, exec_lo
	v_cmpx_ne_u32_e32 0x7f, v102
	s_cbranch_execz .LBB291_632
; %bb.629:                              ;   in Loop: Header=BB291_10 Depth=1
	v_and_b32_sdwa v94, v1, v20 dst_sel:DWORD dst_unused:UNUSED_PAD src0_sel:WORD_0 src1_sel:DWORD
	v_lshrrev_b32_e32 v99, 3, v102
	s_mov_b32 s35, exec_lo
	v_cmpx_gt_u32_e32 8, v102
; %bb.630:                              ;   in Loop: Header=BB291_10 Depth=1
	v_ffbh_u32_e32 v11, v94
	v_min_u32_e32 v13, 32, v11
	v_subrev_nc_u32_e32 v11, 28, v13
	v_sub_nc_u32_e32 v99, 29, v13
	v_lshlrev_b64 v[11:12], v11, v[1:2]
	v_and_b32_e32 v94, 7, v11
; %bb.631:                              ;   in Loop: Header=BB291_10 Depth=1
	s_or_b32 exec_lo, exec_lo, s35
	v_lshlrev_b32_sdwa v1, v21, v1 dst_sel:DWORD dst_unused:UNUSED_PAD src0_sel:DWORD src1_sel:WORD_0
	v_lshl_add_u32 v11, v99, 10, 0x2000
	v_and_or_b32 v1, 0x8000, v1, v11
	v_lshlrev_b32_e32 v11, 23, v94
	v_lshl_or_b32 v94, v1, 16, v11
.LBB291_632:                            ;   in Loop: Header=BB291_10 Depth=1
	s_or_b32 exec_lo, exec_lo, s34
.LBB291_633:                            ;   in Loop: Header=BB291_10 Depth=1
	s_or_b32 exec_lo, exec_lo, s33
.LBB291_634:                            ;   in Loop: Header=BB291_10 Depth=1
	s_or_b32 exec_lo, exec_lo, s2
	v_lshrrev_b32_e32 v1, 16, v8
	v_cmp_ne_u16_sdwa s1, v1, v2 src0_sel:BYTE_0 src1_sel:DWORD
	s_and_saveexec_b32 s2, s1
	s_cbranch_execz .LBB291_642
; %bb.635:                              ;   in Loop: Header=BB291_10 Depth=1
	v_cmp_ne_u16_sdwa s1, v1, v17 src0_sel:BYTE_0 src1_sel:DWORD
	v_mov_b32_e32 v95, 0x8000
	s_and_saveexec_b32 s33, s1
	s_cbranch_execz .LBB291_641
; %bb.636:                              ;   in Loop: Header=BB291_10 Depth=1
	v_bfe_u32 v102, v8, 16, 7
	v_mov_b32_e32 v95, 0x7c01
	s_mov_b32 s34, exec_lo
	v_cmpx_ne_u32_e32 0x7f, v102
	s_cbranch_execz .LBB291_640
; %bb.637:                              ;   in Loop: Header=BB291_10 Depth=1
	v_and_b32_e32 v95, 7, v1
	v_lshrrev_b32_e32 v99, 3, v102
	s_mov_b32 s35, exec_lo
	v_cmpx_gt_u32_e32 8, v102
; %bb.638:                              ;   in Loop: Header=BB291_10 Depth=1
	v_ffbh_u32_e32 v11, v95
	v_min_u32_e32 v13, 32, v11
	v_subrev_nc_u32_e32 v11, 28, v13
	v_sub_nc_u32_e32 v99, 29, v13
	v_lshlrev_b64 v[11:12], v11, v[1:2]
	v_and_b32_e32 v95, 7, v11
; %bb.639:                              ;   in Loop: Header=BB291_10 Depth=1
	s_or_b32 exec_lo, exec_lo, s35
	v_lshlrev_b32_e32 v1, 8, v1
	v_lshl_add_u32 v11, v99, 10, 0x2000
	v_lshlrev_b32_e32 v12, 7, v95
	v_and_b32_e32 v1, 0x8000, v1
	v_and_b32_e32 v11, 0xfc00, v11
	v_or3_b32 v95, v1, v11, v12
.LBB291_640:                            ;   in Loop: Header=BB291_10 Depth=1
	s_or_b32 exec_lo, exec_lo, s34
.LBB291_641:                            ;   in Loop: Header=BB291_10 Depth=1
	s_or_b32 exec_lo, exec_lo, s33
.LBB291_642:                            ;   in Loop: Header=BB291_10 Depth=1
	s_or_b32 exec_lo, exec_lo, s2
	v_mov_b32_e32 v99, 0
	s_mov_b32 s2, exec_lo
	v_cmpx_lt_u64_e64 s[4:5], v[7:8]
	s_cbranch_execz .LBB291_9
; %bb.643:                              ;   in Loop: Header=BB291_10 Depth=1
	v_lshrrev_b32_e32 v1, 24, v8
	v_bfrev_b32_e32 v99, 1
	s_mov_b32 s33, exec_lo
	v_cmpx_ne_u32_e32 0x80, v1
	s_cbranch_execz .LBB291_8
; %bb.644:                              ;   in Loop: Header=BB291_10 Depth=1
	v_and_b32_e32 v102, 0x7f, v1
	v_mov_b32_e32 v99, 0x7c010000
	s_mov_b32 s34, exec_lo
	v_cmpx_ne_u32_e32 0x7f, v102
	s_cbranch_execz .LBB291_7
; %bb.645:                              ;   in Loop: Header=BB291_10 Depth=1
	v_and_b32_e32 v7, 7, v1
	v_lshrrev_b32_e32 v8, 3, v102
	s_mov_b32 s35, exec_lo
	v_cmpx_gt_u32_e32 8, v102
	s_cbranch_execz .LBB291_6
; %bb.646:                              ;   in Loop: Header=BB291_10 Depth=1
	v_ffbh_u32_e32 v7, v7
	v_min_u32_e32 v11, 32, v7
	v_subrev_nc_u32_e32 v7, 28, v11
	v_lshlrev_b64 v[7:8], v7, v[1:2]
	v_sub_nc_u32_e32 v8, 29, v11
	v_and_b32_e32 v7, 7, v7
	s_branch .LBB291_6
.LBB291_647:
	s_or_b32 exec_lo, exec_lo, s31
	v_lshlrev_b32_e32 v11, 2, v126
.LBB291_648:
	s_or_b32 exec_lo, exec_lo, s19
	v_mbcnt_lo_u32_b32 v2, -1, 0
	v_max_f32_e32 v5, v15, v15
	v_xor_b32_e32 v1, 16, v2
	v_xor_b32_e32 v4, 8, v2
	v_cmp_gt_i32_e32 vcc_lo, 32, v1
	v_cndmask_b32_e32 v1, v2, v1, vcc_lo
	v_cmp_gt_i32_e32 vcc_lo, 32, v4
	v_lshlrev_b32_e32 v1, 2, v1
	v_cndmask_b32_e32 v4, v2, v4, vcc_lo
	ds_bpermute_b32 v3, v1, v15
	s_waitcnt lgkmcnt(0)
	v_max_f32_e32 v6, v3, v3
	v_lshlrev_b32_e32 v3, 2, v4
	v_max_f32_e32 v5, v5, v6
	v_xor_b32_e32 v6, 4, v2
	ds_bpermute_b32 v4, v3, v5
	v_cmp_gt_i32_e32 vcc_lo, 32, v6
	v_cndmask_b32_e32 v6, v2, v6, vcc_lo
	s_waitcnt lgkmcnt(0)
	v_max_f32_e32 v7, v4, v4
	v_lshlrev_b32_e32 v4, 2, v6
	v_max_f32_e32 v5, v5, v7
	v_xor_b32_e32 v7, 2, v2
	ds_bpermute_b32 v6, v4, v5
	v_cmp_gt_i32_e32 vcc_lo, 32, v7
	v_cndmask_b32_e32 v7, v2, v7, vcc_lo
	v_lshlrev_b32_e32 v16, 2, v7
	v_xor_b32_e32 v7, 1, v2
	v_cmp_gt_i32_e32 vcc_lo, 32, v7
	s_waitcnt lgkmcnt(0)
	v_max_f32_e32 v6, v6, v6
	v_cndmask_b32_e32 v7, v2, v7, vcc_lo
	v_cmp_eq_u32_e32 vcc_lo, 0, v126
	v_max_f32_e32 v5, v5, v6
	v_lshlrev_b32_e32 v15, 2, v7
	ds_bpermute_b32 v6, v16, v5
	s_waitcnt lgkmcnt(0)
	v_max_f32_e32 v6, v6, v6
	v_max_f32_e32 v2, v5, v6
	v_lshlrev_b32_e32 v5, 2, v125
	ds_bpermute_b32 v6, v15, v2
	s_and_saveexec_b32 s1, vcc_lo
	s_cbranch_execz .LBB291_650
; %bb.649:
	s_waitcnt lgkmcnt(0)
	v_max_f32_e32 v6, v6, v6
	v_max_f32_e32 v2, v2, v2
	;; [unrolled: 1-line block ×3, first 2 shown]
	ds_write_b32 v5, v2 offset:160
.LBB291_650:
	s_or_b32 exec_lo, exec_lo, s1
	v_cmp_gt_u32_e64 s1, 4, v126
	v_mov_b32_e32 v2, 0xff7fffff
	s_waitcnt lgkmcnt(0)
	s_barrier
	buffer_gl0_inv
	s_and_saveexec_b32 s2, s1
; %bb.651:
	ds_read_b32 v2, v11 offset:160
; %bb.652:
	s_or_b32 exec_lo, exec_lo, s2
	s_waitcnt lgkmcnt(0)
	ds_bpermute_b32 v6, v16, v2
	v_max_f32_e32 v2, v2, v2
	s_lshl_b32 s2, s16, 5
	s_min_i32 s4, s2, s11
	v_cmp_gt_i32_e64 s2, s4, v0
	s_waitcnt lgkmcnt(0)
	v_max_f32_e32 v6, v6, v6
	v_max_f32_e32 v2, v2, v6
	ds_bpermute_b32 v6, v15, v2
	s_waitcnt lgkmcnt(0)
	v_max_f32_e32 v6, v6, v6
	v_max_f32_e32 v2, v2, v6
	v_mov_b32_e32 v6, 0
	ds_bpermute_b32 v7, v6, v2
	v_lshl_add_u32 v2, v0, 2, 0xc0
	s_and_saveexec_b32 s5, s2
	s_cbranch_execz .LBB291_656
; %bb.653:
	v_lshl_add_u32 v8, v0, 2, 0xc0
	v_mov_b32_e32 v6, 0
	v_mov_b32_e32 v9, v0
	s_mov_b32 s12, 0
	.p2align	6
.LBB291_654:                            ; =>This Inner Loop Header: Depth=1
	ds_read_b32 v10, v8
	v_add_nc_u32_e32 v9, 0x80, v9
	v_cmp_le_i32_e64 s3, s4, v9
	s_or_b32 s12, s3, s12
	s_waitcnt lgkmcnt(0)
	v_sub_f32_e32 v10, v10, v7
	v_mul_f32_e32 v10, 0x3fb8aa3b, v10
	v_exp_f32_e32 v10, v10
	ds_write_b32 v8, v10
	v_add_f32_e32 v6, v6, v10
	v_add_nc_u32_e32 v8, 0x200, v8
	s_andn2_b32 exec_lo, exec_lo, s12
	s_cbranch_execnz .LBB291_654
; %bb.655:
	s_or_b32 exec_lo, exec_lo, s12
.LBB291_656:
	s_or_b32 exec_lo, exec_lo, s5
	ds_bpermute_b32 v1, v1, v6
	s_waitcnt lgkmcnt(0)
	v_add_f32_e32 v1, v6, v1
	ds_bpermute_b32 v3, v3, v1
	s_waitcnt lgkmcnt(0)
	v_add_f32_e32 v1, v1, v3
	;; [unrolled: 3-line block ×5, first 2 shown]
	s_and_saveexec_b32 s3, vcc_lo
; %bb.657:
	ds_write_b32 v5, v1 offset:176
; %bb.658:
	s_or_b32 exec_lo, exec_lo, s3
	s_waitcnt lgkmcnt(0)
	s_barrier
	buffer_gl0_inv
	s_and_saveexec_b32 s3, s1
; %bb.659:
	ds_read_b32 v1, v11 offset:176
; %bb.660:
	s_or_b32 exec_lo, exec_lo, s3
	s_waitcnt lgkmcnt(0)
	ds_bpermute_b32 v3, v16, v1
	s_waitcnt lgkmcnt(0)
	v_add_f32_e32 v1, v1, v3
	ds_bpermute_b32 v3, v15, v1
	s_waitcnt lgkmcnt(0)
	v_add_f32_e32 v1, v1, v3
	v_mov_b32_e32 v3, 0
	ds_bpermute_b32 v1, v3, v1
	s_and_saveexec_b32 s1, s2
	s_cbranch_execz .LBB291_663
; %bb.661:
	s_waitcnt lgkmcnt(0)
	v_add_f32_e32 v1, 0x358637bd, v1
	s_mov_b32 s2, 0
	v_div_scale_f32 v3, null, v1, v1, 1.0
	v_div_scale_f32 v6, vcc_lo, 1.0, v1, 1.0
	v_rcp_f32_e32 v4, v3
	v_fma_f32 v5, -v3, v4, 1.0
	v_fmac_f32_e32 v4, v5, v4
	v_mul_f32_e32 v5, v6, v4
	v_fma_f32 v7, -v3, v5, v6
	v_fmac_f32_e32 v5, v7, v4
	v_fma_f32 v3, -v3, v5, v6
	v_div_fmas_f32 v3, v3, v4, v5
	v_div_fixup_f32 v1, v3, v1, 1.0
	v_mov_b32_e32 v3, v0
.LBB291_662:                            ; =>This Inner Loop Header: Depth=1
	ds_read_b32 v4, v2
	v_add_nc_u32_e32 v3, 0x80, v3
	v_cmp_le_i32_e32 vcc_lo, s4, v3
	s_or_b32 s2, vcc_lo, s2
	s_waitcnt lgkmcnt(0)
	v_mul_f32_e32 v4, v1, v4
	ds_write_b32 v2, v4
	v_add_nc_u32_e32 v2, 0x200, v2
	s_andn2_b32 exec_lo, exec_lo, s2
	s_cbranch_execnz .LBB291_662
.LBB291_663:
	s_or_b32 exec_lo, exec_lo, s1
	v_mov_b32_e32 v24, 0
	v_and_b32_e32 v14, 3, v0
	v_mov_b32_e32 v26, 0
	v_mov_b32_e32 v25, 0
	;; [unrolled: 1-line block ×9, first 2 shown]
	s_waitcnt lgkmcnt(0)
	s_barrier
	buffer_gl0_inv
	s_and_saveexec_b32 s1, s0
	s_cbranch_execz .LBB291_1327
; %bb.664:
	v_lshlrev_b32_e32 v1, 3, v0
	v_lshlrev_b32_e32 v3, 5, v14
	s_ashr_i32 s0, s18, 31
	s_add_u32 s2, s24, s18
	s_addc_u32 s0, s25, s0
	v_and_b32_e32 v5, 24, v1
	v_and_b32_e32 v1, 0xf8, v1
	v_lshl_or_b32 v7, v125, 7, v3
	v_lshlrev_b32_e32 v6, 5, v125
	s_add_i32 s5, s16, -1
	v_mov_b32_e32 v2, 0
	v_add_co_u32 v3, s2, s2, v1
	v_and_b32_e32 v1, 0x7c, v127
	v_add_co_ci_u32_e64 v4, null, s0, 0, s2
	s_lshl_b64 s[2:3], s[26:27], 2
	v_or3_b32 v27, v6, v5, 7
	s_add_u32 s0, s22, s2
	s_addc_u32 s2, s23, s3
	v_add_co_u32 v5, s0, s0, v1
	v_add_nc_u32_e32 v13, 0xc0, v7
	v_add_co_ci_u32_e64 v6, null, s2, 0, s0
	v_mov_b32_e32 v28, 0x80
	v_mov_b32_e32 v29, 0x7f
	;; [unrolled: 1-line block ×15, first 2 shown]
	s_mov_b32 s2, -1
	s_mov_b32 s4, s17
	s_mov_b32 s3, 0xffffff
	;; [unrolled: 1-line block ×3, first 2 shown]
	s_branch .LBB291_666
.LBB291_665:                            ;   in Loop: Header=BB291_666 Depth=1
	s_or_b32 exec_lo, exec_lo, s0
	v_add_f32_e32 v9, v9, v10
	v_add_f32_e32 v10, v58, v59
	v_add_nc_u32_e32 v32, 4, v32
	v_add_f32_e32 v11, v56, v57
	v_add_f32_e32 v12, v54, v55
	;; [unrolled: 1-line block ×6, first 2 shown]
	v_cmp_le_i32_e32 vcc_lo, s16, v32
	v_add_co_u32 v5, s0, v5, 16
	v_add_f32_e32 v23, v23, v9
	;;#ASMSTART
	v_pk_mul_f16 v9, v44, v60;

	;;#ASMEND
	;;#ASMSTART
	v_pk_mul_f16 v1, v41, v1;

	;;#ASMEND
	;; [unrolled: 4-line block ×4, first 2 shown]
	;;#ASMSTART
	v_pk_add_f16 v1, v9, v1;

	;;#ASMEND
	;;#ASMSTART
	v_pk_add_f16 v1, v1, v8;

	;;#ASMEND
	;; [unrolled: 4-line block ×3, first 2 shown]
	v_and_b32_e32 v9, 0xffff, v1
	v_lshrrev_b32_e32 v10, 16, v1
	;;#ASMSTART
	v_cvt_f32_f16 v9, v9;
	;;#ASMEND
	v_add_f32_e32 v1, v48, v49
	v_add_f32_e32 v7, v46, v47
	;; [unrolled: 1-line block ×3, first 2 shown]
	;;#ASMSTART
	v_cvt_f32_f16 v10, v10;
	;;#ASMEND
	v_add_f32_e32 v9, v9, v10
	v_add_f32_e32 v20, v20, v11
	;; [unrolled: 1-line block ×8, first 2 shown]
	v_add_nc_u32_e32 v27, 0x80, v27
	v_add_nc_u32_e32 v13, 0x200, v13
	v_add_co_ci_u32_e64 v6, null, 0, v6, s0
	s_or_b32 s12, vcc_lo, s12
	s_andn2_b32 exec_lo, exec_lo, s12
	s_cbranch_execz .LBB291_1326
.LBB291_666:                            ; =>This Inner Loop Header: Depth=1
	global_load_dword v1, v[5:6], off
	ds_read2_b64 v[8:11], v13 offset1:1
	ds_read2_b64 v[33:36], v13 offset0:2 offset1:3
	s_waitcnt lgkmcnt(1)
	;;#ASMSTART
	v_cvt_f16_f32 v38, v8;

	;;#ASMEND
	;;#ASMSTART
	v_cvt_f16_f32 v40, v9;

	;;#ASMEND
	;; [unrolled: 4-line block ×4, first 2 shown]
	s_waitcnt lgkmcnt(0)
	;;#ASMSTART
	v_cvt_f16_f32 v46, v33;

	;;#ASMEND
	;;#ASMSTART
	v_cvt_f16_f32 v43, v34;

	;;#ASMEND
	;; [unrolled: 4-line block ×4, first 2 shown]
	v_mov_b32_e32 v35, 0
	s_waitcnt vmcnt(0)
	v_mad_i64_i32 v[7:8], null, v1, s4, v[3:4]
	global_load_dwordx2 v[9:10], v[7:8], off
	global_load_dword v34, v2, s[14:15]
	s_waitcnt vmcnt(1)
	v_cmp_ne_u16_sdwa s13, v9, v2 src0_sel:BYTE_0 src1_sel:DWORD
	s_and_saveexec_b32 s0, s13
	s_cbranch_execz .LBB291_674
; %bb.667:                              ;   in Loop: Header=BB291_666 Depth=1
	v_cmp_ne_u16_sdwa s17, v9, v28 src0_sel:BYTE_0 src1_sel:DWORD
	v_mov_b32_e32 v35, 0x8000
	s_and_saveexec_b32 s13, s17
	s_cbranch_execz .LBB291_673
; %bb.668:                              ;   in Loop: Header=BB291_666 Depth=1
	v_and_b32_e32 v36, 0x7f, v9
	v_mov_b32_e32 v35, 0x7c01
	s_mov_b32 s17, exec_lo
	v_cmpx_ne_u32_e32 0x7f, v36
	s_cbranch_execz .LBB291_672
; %bb.669:                              ;   in Loop: Header=BB291_666 Depth=1
	v_and_b32_e32 v1, 7, v9
	v_lshrrev_b32_e32 v33, 3, v36
	s_mov_b32 s18, exec_lo
	v_cmpx_gt_u32_e32 8, v36
; %bb.670:                              ;   in Loop: Header=BB291_666 Depth=1
	v_ffbh_u32_e32 v1, v1
	v_min_u32_e32 v1, 32, v1
	v_subrev_nc_u32_e32 v11, 28, v1
	v_sub_nc_u32_e32 v33, 29, v1
	v_lshlrev_b64 v[11:12], v11, v[9:10]
	v_and_b32_e32 v1, 7, v11
; %bb.671:                              ;   in Loop: Header=BB291_666 Depth=1
	s_or_b32 exec_lo, exec_lo, s18
	v_lshlrev_b32_e32 v11, 8, v9
	v_lshl_add_u32 v12, v33, 10, 0x2000
	v_lshlrev_b32_e32 v1, 7, v1
	v_and_b32_e32 v11, 0x8000, v11
	v_and_b32_e32 v12, 0xfc00, v12
	v_or3_b32 v35, v11, v12, v1
.LBB291_672:                            ;   in Loop: Header=BB291_666 Depth=1
	s_or_b32 exec_lo, exec_lo, s17
.LBB291_673:                            ;   in Loop: Header=BB291_666 Depth=1
	s_or_b32 exec_lo, exec_lo, s13
.LBB291_674:                            ;   in Loop: Header=BB291_666 Depth=1
	s_or_b32 exec_lo, exec_lo, s0
	v_lshrrev_b16 v1, 8, v9
	v_mov_b32_e32 v33, 0
	v_mov_b32_e32 v36, 0
	s_mov_b32 s0, exec_lo
	v_cmpx_ne_u16_e32 0, v1
	s_cbranch_execz .LBB291_682
; %bb.675:                              ;   in Loop: Header=BB291_666 Depth=1
	v_bfrev_b32_e32 v36, 1
	s_mov_b32 s13, exec_lo
	v_cmpx_ne_u16_e32 0x80, v1
	s_cbranch_execz .LBB291_681
; %bb.676:                              ;   in Loop: Header=BB291_666 Depth=1
	v_and_b32_sdwa v39, v1, v29 dst_sel:DWORD dst_unused:UNUSED_PAD src0_sel:WORD_0 src1_sel:DWORD
	v_mov_b32_e32 v36, 0x7c010000
	s_mov_b32 s17, exec_lo
	v_cmpx_ne_u32_e32 0x7f, v39
	s_cbranch_execz .LBB291_680
; %bb.677:                              ;   in Loop: Header=BB291_666 Depth=1
	v_and_b32_sdwa v36, v1, v30 dst_sel:DWORD dst_unused:UNUSED_PAD src0_sel:WORD_0 src1_sel:DWORD
	v_lshrrev_b32_e32 v37, 3, v39
	s_mov_b32 s18, exec_lo
	v_cmpx_gt_u32_e32 8, v39
; %bb.678:                              ;   in Loop: Header=BB291_666 Depth=1
	v_ffbh_u32_e32 v11, v36
	v_min_u32_e32 v36, 32, v11
	v_subrev_nc_u32_e32 v11, 28, v36
	v_sub_nc_u32_e32 v37, 29, v36
	v_lshlrev_b64 v[11:12], v11, v[1:2]
	v_and_b32_e32 v36, 7, v11
; %bb.679:                              ;   in Loop: Header=BB291_666 Depth=1
	s_or_b32 exec_lo, exec_lo, s18
	v_lshlrev_b32_sdwa v1, v31, v1 dst_sel:DWORD dst_unused:UNUSED_PAD src0_sel:DWORD src1_sel:WORD_0
	v_lshl_add_u32 v11, v37, 10, 0x2000
	v_and_or_b32 v1, 0x8000, v1, v11
	v_lshlrev_b32_e32 v11, 23, v36
	v_lshl_or_b32 v36, v1, 16, v11
.LBB291_680:                            ;   in Loop: Header=BB291_666 Depth=1
	s_or_b32 exec_lo, exec_lo, s17
.LBB291_681:                            ;   in Loop: Header=BB291_666 Depth=1
	s_or_b32 exec_lo, exec_lo, s13
.LBB291_682:                            ;   in Loop: Header=BB291_666 Depth=1
	s_or_b32 exec_lo, exec_lo, s0
	v_lshrrev_b32_e32 v1, 16, v9
	v_cmp_ne_u16_sdwa s13, v1, v2 src0_sel:BYTE_0 src1_sel:DWORD
	s_and_saveexec_b32 s0, s13
	s_cbranch_execz .LBB291_690
; %bb.683:                              ;   in Loop: Header=BB291_666 Depth=1
	v_cmp_ne_u16_sdwa s17, v1, v28 src0_sel:BYTE_0 src1_sel:DWORD
	v_mov_b32_e32 v33, 0x8000
	s_and_saveexec_b32 s13, s17
	s_cbranch_execz .LBB291_689
; %bb.684:                              ;   in Loop: Header=BB291_666 Depth=1
	v_bfe_u32 v39, v9, 16, 7
	v_mov_b32_e32 v33, 0x7c01
	s_mov_b32 s17, exec_lo
	v_cmpx_ne_u32_e32 0x7f, v39
	s_cbranch_execz .LBB291_688
; %bb.685:                              ;   in Loop: Header=BB291_666 Depth=1
	v_and_b32_e32 v33, 7, v1
	v_lshrrev_b32_e32 v37, 3, v39
	s_mov_b32 s18, exec_lo
	v_cmpx_gt_u32_e32 8, v39
; %bb.686:                              ;   in Loop: Header=BB291_666 Depth=1
	v_ffbh_u32_e32 v11, v33
	v_min_u32_e32 v33, 32, v11
	v_subrev_nc_u32_e32 v11, 28, v33
	v_sub_nc_u32_e32 v37, 29, v33
	v_lshlrev_b64 v[11:12], v11, v[1:2]
	v_and_b32_e32 v33, 7, v11
; %bb.687:                              ;   in Loop: Header=BB291_666 Depth=1
	s_or_b32 exec_lo, exec_lo, s18
	v_lshlrev_b32_e32 v1, 8, v1
	v_lshl_add_u32 v11, v37, 10, 0x2000
	v_lshlrev_b32_e32 v12, 7, v33
	v_and_b32_e32 v1, 0x8000, v1
	v_and_b32_e32 v11, 0xfc00, v11
	v_or3_b32 v33, v1, v11, v12
.LBB291_688:                            ;   in Loop: Header=BB291_666 Depth=1
	s_or_b32 exec_lo, exec_lo, s17
.LBB291_689:                            ;   in Loop: Header=BB291_666 Depth=1
	s_or_b32 exec_lo, exec_lo, s13
.LBB291_690:                            ;   in Loop: Header=BB291_666 Depth=1
	s_or_b32 exec_lo, exec_lo, s0
	v_mov_b32_e32 v37, 0
	v_mov_b32_e32 v39, 0
	s_mov_b32 s0, exec_lo
	v_cmpx_lt_u32_e32 0xffffff, v9
	s_cbranch_execz .LBB291_698
; %bb.691:                              ;   in Loop: Header=BB291_666 Depth=1
	v_lshrrev_b32_e32 v1, 24, v9
	v_bfrev_b32_e32 v39, 1
	s_mov_b32 s13, exec_lo
	v_cmpx_ne_u32_e32 0x80, v1
	s_cbranch_execz .LBB291_697
; %bb.692:                              ;   in Loop: Header=BB291_666 Depth=1
	v_and_b32_e32 v48, 0x7f, v1
	v_mov_b32_e32 v39, 0x7c010000
	s_mov_b32 s17, exec_lo
	v_cmpx_ne_u32_e32 0x7f, v48
	s_cbranch_execz .LBB291_696
; %bb.693:                              ;   in Loop: Header=BB291_666 Depth=1
	v_and_b32_e32 v39, 7, v1
	v_lshrrev_b32_e32 v42, 3, v48
	s_mov_b32 s18, exec_lo
	v_cmpx_gt_u32_e32 8, v48
; %bb.694:                              ;   in Loop: Header=BB291_666 Depth=1
	v_ffbh_u32_e32 v11, v39
	v_min_u32_e32 v39, 32, v11
	v_subrev_nc_u32_e32 v11, 28, v39
	v_sub_nc_u32_e32 v42, 29, v39
	v_lshlrev_b64 v[11:12], v11, v[1:2]
	v_and_b32_e32 v39, 7, v11
; %bb.695:                              ;   in Loop: Header=BB291_666 Depth=1
	s_or_b32 exec_lo, exec_lo, s18
	v_lshlrev_b32_e32 v1, 8, v1
	v_lshl_add_u32 v11, v42, 10, 0x2000
	v_and_or_b32 v1, 0x8000, v1, v11
	v_lshlrev_b32_e32 v11, 23, v39
	v_lshl_or_b32 v39, v1, 16, v11
.LBB291_696:                            ;   in Loop: Header=BB291_666 Depth=1
	s_or_b32 exec_lo, exec_lo, s17
.LBB291_697:                            ;   in Loop: Header=BB291_666 Depth=1
	s_or_b32 exec_lo, exec_lo, s13
.LBB291_698:                            ;   in Loop: Header=BB291_666 Depth=1
	s_or_b32 exec_lo, exec_lo, s0
	v_mov_b32_e32 v1, v10
	v_cmp_ne_u16_sdwa s13, v10, v2 src0_sel:BYTE_0 src1_sel:DWORD
	s_and_saveexec_b32 s0, s13
	s_cbranch_execz .LBB291_706
; %bb.699:                              ;   in Loop: Header=BB291_666 Depth=1
	v_cmp_ne_u16_sdwa s17, v10, v28 src0_sel:BYTE_0 src1_sel:DWORD
	v_mov_b32_e32 v37, 0x8000
	s_and_saveexec_b32 s13, s17
	s_cbranch_execz .LBB291_705
; %bb.700:                              ;   in Loop: Header=BB291_666 Depth=1
	v_and_b32_e32 v48, 0x7f, v10
	v_mov_b32_e32 v37, 0x7c01
	s_mov_b32 s17, exec_lo
	v_cmpx_ne_u32_e32 0x7f, v48
	s_cbranch_execz .LBB291_704
; %bb.701:                              ;   in Loop: Header=BB291_666 Depth=1
	v_and_b32_e32 v37, 7, v10
	v_lshrrev_b32_e32 v42, 3, v48
	s_mov_b32 s18, exec_lo
	v_cmpx_gt_u32_e32 8, v48
; %bb.702:                              ;   in Loop: Header=BB291_666 Depth=1
	v_ffbh_u32_e32 v11, v37
	v_min_u32_e32 v37, 32, v11
	v_subrev_nc_u32_e32 v11, 28, v37
	v_sub_nc_u32_e32 v42, 29, v37
	v_lshlrev_b64 v[11:12], v11, v[1:2]
	v_and_b32_e32 v37, 7, v11
; %bb.703:                              ;   in Loop: Header=BB291_666 Depth=1
	s_or_b32 exec_lo, exec_lo, s18
	v_lshlrev_b32_e32 v11, 8, v10
	v_lshl_add_u32 v12, v42, 10, 0x2000
	v_lshlrev_b32_e32 v37, 7, v37
	v_and_b32_e32 v11, 0x8000, v11
	v_and_b32_e32 v12, 0xfc00, v12
	v_or3_b32 v37, v11, v12, v37
.LBB291_704:                            ;   in Loop: Header=BB291_666 Depth=1
	s_or_b32 exec_lo, exec_lo, s17
.LBB291_705:                            ;   in Loop: Header=BB291_666 Depth=1
	s_or_b32 exec_lo, exec_lo, s13
.LBB291_706:                            ;   in Loop: Header=BB291_666 Depth=1
	s_or_b32 exec_lo, exec_lo, s0
	v_lshrrev_b16 v1, 8, v1
	v_mov_b32_e32 v48, 0
	v_mov_b32_e32 v42, 0
	s_mov_b32 s0, exec_lo
	v_cmpx_ne_u16_e32 0, v1
	s_cbranch_execz .LBB291_714
; %bb.707:                              ;   in Loop: Header=BB291_666 Depth=1
	v_bfrev_b32_e32 v42, 1
	s_mov_b32 s13, exec_lo
	v_cmpx_ne_u16_e32 0x80, v1
	s_cbranch_execz .LBB291_713
; %bb.708:                              ;   in Loop: Header=BB291_666 Depth=1
	v_and_b32_sdwa v50, v1, v29 dst_sel:DWORD dst_unused:UNUSED_PAD src0_sel:WORD_0 src1_sel:DWORD
	v_mov_b32_e32 v42, 0x7c010000
	s_mov_b32 s17, exec_lo
	v_cmpx_ne_u32_e32 0x7f, v50
	s_cbranch_execz .LBB291_712
; %bb.709:                              ;   in Loop: Header=BB291_666 Depth=1
	v_and_b32_sdwa v42, v1, v30 dst_sel:DWORD dst_unused:UNUSED_PAD src0_sel:WORD_0 src1_sel:DWORD
	v_lshrrev_b32_e32 v49, 3, v50
	s_mov_b32 s18, exec_lo
	v_cmpx_gt_u32_e32 8, v50
; %bb.710:                              ;   in Loop: Header=BB291_666 Depth=1
	v_ffbh_u32_e32 v11, v42
	v_min_u32_e32 v42, 32, v11
	v_subrev_nc_u32_e32 v11, 28, v42
	v_sub_nc_u32_e32 v49, 29, v42
	v_lshlrev_b64 v[11:12], v11, v[1:2]
	v_and_b32_e32 v42, 7, v11
; %bb.711:                              ;   in Loop: Header=BB291_666 Depth=1
	s_or_b32 exec_lo, exec_lo, s18
	v_lshlrev_b32_sdwa v1, v31, v1 dst_sel:DWORD dst_unused:UNUSED_PAD src0_sel:DWORD src1_sel:WORD_0
	v_lshl_add_u32 v11, v49, 10, 0x2000
	v_and_or_b32 v1, 0x8000, v1, v11
	v_lshlrev_b32_e32 v11, 23, v42
	v_lshl_or_b32 v42, v1, 16, v11
.LBB291_712:                            ;   in Loop: Header=BB291_666 Depth=1
	s_or_b32 exec_lo, exec_lo, s17
.LBB291_713:                            ;   in Loop: Header=BB291_666 Depth=1
	s_or_b32 exec_lo, exec_lo, s13
.LBB291_714:                            ;   in Loop: Header=BB291_666 Depth=1
	s_or_b32 exec_lo, exec_lo, s0
	v_lshrrev_b32_e32 v1, 16, v10
	v_cmp_ne_u16_sdwa s13, v1, v2 src0_sel:BYTE_0 src1_sel:DWORD
	s_and_saveexec_b32 s0, s13
	s_cbranch_execz .LBB291_722
; %bb.715:                              ;   in Loop: Header=BB291_666 Depth=1
	v_cmp_ne_u16_sdwa s17, v1, v28 src0_sel:BYTE_0 src1_sel:DWORD
	v_mov_b32_e32 v48, 0x8000
	s_and_saveexec_b32 s13, s17
	s_cbranch_execz .LBB291_721
; %bb.716:                              ;   in Loop: Header=BB291_666 Depth=1
	v_bfe_u32 v50, v10, 16, 7
	v_mov_b32_e32 v48, 0x7c01
	s_mov_b32 s17, exec_lo
	v_cmpx_ne_u32_e32 0x7f, v50
	s_cbranch_execz .LBB291_720
; %bb.717:                              ;   in Loop: Header=BB291_666 Depth=1
	v_and_b32_e32 v48, 7, v1
	v_lshrrev_b32_e32 v49, 3, v50
	s_mov_b32 s18, exec_lo
	v_cmpx_gt_u32_e32 8, v50
; %bb.718:                              ;   in Loop: Header=BB291_666 Depth=1
	v_ffbh_u32_e32 v11, v48
	v_min_u32_e32 v48, 32, v11
	v_subrev_nc_u32_e32 v11, 28, v48
	v_sub_nc_u32_e32 v49, 29, v48
	v_lshlrev_b64 v[11:12], v11, v[1:2]
	v_and_b32_e32 v48, 7, v11
; %bb.719:                              ;   in Loop: Header=BB291_666 Depth=1
	s_or_b32 exec_lo, exec_lo, s18
	v_lshlrev_b32_e32 v1, 8, v1
	v_lshl_add_u32 v11, v49, 10, 0x2000
	v_lshlrev_b32_e32 v12, 7, v48
	v_and_b32_e32 v1, 0x8000, v1
	v_and_b32_e32 v11, 0xfc00, v11
	v_or3_b32 v48, v1, v11, v12
.LBB291_720:                            ;   in Loop: Header=BB291_666 Depth=1
	s_or_b32 exec_lo, exec_lo, s17
.LBB291_721:                            ;   in Loop: Header=BB291_666 Depth=1
	s_or_b32 exec_lo, exec_lo, s13
.LBB291_722:                            ;   in Loop: Header=BB291_666 Depth=1
	s_or_b32 exec_lo, exec_lo, s0
	v_cmp_lt_u64_e32 vcc_lo, s[2:3], v[9:10]
	v_mov_b32_e32 v9, 0
	s_and_saveexec_b32 s0, vcc_lo
	s_cbranch_execz .LBB291_730
; %bb.723:                              ;   in Loop: Header=BB291_666 Depth=1
	v_lshrrev_b32_e32 v1, 24, v10
	v_bfrev_b32_e32 v9, 1
	s_mov_b32 s13, exec_lo
	v_cmpx_ne_u32_e32 0x80, v1
	s_cbranch_execz .LBB291_729
; %bb.724:                              ;   in Loop: Header=BB291_666 Depth=1
	v_and_b32_e32 v49, 0x7f, v1
	v_mov_b32_e32 v9, 0x7c010000
	s_mov_b32 s17, exec_lo
	v_cmpx_ne_u32_e32 0x7f, v49
	s_cbranch_execz .LBB291_728
; %bb.725:                              ;   in Loop: Header=BB291_666 Depth=1
	v_and_b32_e32 v9, 7, v1
	v_lshrrev_b32_e32 v10, 3, v49
	s_mov_b32 s18, exec_lo
	v_cmpx_gt_u32_e32 8, v49
; %bb.726:                              ;   in Loop: Header=BB291_666 Depth=1
	v_ffbh_u32_e32 v9, v9
	v_min_u32_e32 v11, 32, v9
	v_subrev_nc_u32_e32 v9, 28, v11
	v_lshlrev_b64 v[9:10], v9, v[1:2]
	v_sub_nc_u32_e32 v10, 29, v11
	v_and_b32_e32 v9, 7, v9
; %bb.727:                              ;   in Loop: Header=BB291_666 Depth=1
	s_or_b32 exec_lo, exec_lo, s18
	v_lshlrev_b32_e32 v1, 8, v1
	v_lshl_add_u32 v10, v10, 10, 0x2000
	v_lshlrev_b32_e32 v9, 23, v9
	v_and_or_b32 v1, 0x8000, v1, v10
	v_lshl_or_b32 v9, v1, 16, v9
.LBB291_728:                            ;   in Loop: Header=BB291_666 Depth=1
	s_or_b32 exec_lo, exec_lo, s17
.LBB291_729:                            ;   in Loop: Header=BB291_666 Depth=1
	s_or_b32 exec_lo, exec_lo, s13
.LBB291_730:                            ;   in Loop: Header=BB291_666 Depth=1
	s_or_b32 exec_lo, exec_lo, s0
	v_or_b32_e32 v1, v39, v33
	v_or_b32_e32 v11, v36, v35
	s_waitcnt vmcnt(0)
	v_fma_mixlo_f16 v12, v34, v36, 0 op_sel:[0,1,0] op_sel_hi:[0,1,0]
	v_or_b32_e32 v35, v42, v37
	v_or_b32_e32 v36, v9, v48
	v_fma_mixlo_f16 v1, v34, v1, 0 op_sel_hi:[0,1,0]
	v_fma_mixlo_f16 v10, v34, v39, 0 op_sel:[0,1,0] op_sel_hi:[0,1,0]
	v_lshlrev_b32_e32 v54, 16, v12
	v_fma_mixlo_f16 v12, v34, v35, 0 op_sel_hi:[0,1,0]
	v_fma_mixlo_f16 v9, v34, v9, 0 op_sel:[0,1,0] op_sel_hi:[0,1,0]
	v_and_b32_e32 v51, 0xffff, v1
	v_fma_mixlo_f16 v1, v34, v11, 0 op_sel_hi:[0,1,0]
	v_fma_mixlo_f16 v11, v34, v42, 0 op_sel:[0,1,0] op_sel_hi:[0,1,0]
	v_fma_mixlo_f16 v34, v34, v36, 0 op_sel_hi:[0,1,0]
	v_lshlrev_b32_e32 v10, 16, v10
	v_and_b32_e32 v55, 0xffff, v12
	v_and_b32_e32 v56, 0xffff, v1
	v_lshlrev_b32_e32 v52, 16, v11
	v_lshlrev_b32_e32 v49, 16, v9
	v_and_b32_e32 v53, 0xffff, v34
	v_add_nc_u32_e32 v33, -7, v27
	v_cmp_eq_u32_e32 vcc_lo, s5, v32
	v_or_b32_e32 v1, v10, v51
	v_or_b32_e32 v9, v54, v56
	;; [unrolled: 1-line block ×4, first 2 shown]
	v_add_nc_u32_e32 v42, -6, v27
	v_add_nc_u32_e32 v39, -5, v27
	v_add_nc_u32_e32 v37, -4, v27
	v_add_nc_u32_e32 v36, -3, v27
	v_add_nc_u32_e32 v35, -2, v27
	v_add_nc_u32_e32 v34, -1, v27
	s_and_saveexec_b32 s13, vcc_lo
	s_cbranch_execz .LBB291_732
; %bb.731:                              ;   in Loop: Header=BB291_666 Depth=1
	v_cmp_gt_i32_e64 s0, s11, v33
	v_cndmask_b32_e64 v1, 0, v56, s0
	v_cmp_gt_i32_e64 s0, s11, v42
	v_cndmask_b32_e64 v9, 0, v54, s0
	v_cmp_gt_i32_e64 s0, s11, v39
	v_or_b32_e32 v9, v9, v1
	v_cndmask_b32_e64 v11, 0, v51, s0
	v_cmp_gt_i32_e64 s0, s11, v37
	v_cndmask_b32_e64 v10, 0, v10, s0
	v_cmp_gt_i32_e64 s0, s11, v36
	v_or_b32_e32 v1, v10, v11
	;; [unrolled: 5-line block ×3, first 2 shown]
	v_cndmask_b32_e64 v50, 0, v53, s0
	v_cmp_gt_i32_e64 s0, s11, v27
	v_cndmask_b32_e64 v49, 0, v49, s0
	v_or_b32_e32 v50, v49, v50
.LBB291_732:                            ;   in Loop: Header=BB291_666 Depth=1
	s_or_b32 exec_lo, exec_lo, s13
	v_and_b32_e32 v10, 0xffff, v38
	v_and_b32_e32 v11, 0xffff, v44
	;; [unrolled: 1-line block ×4, first 2 shown]
	v_mov_b32_e32 v47, 0
	v_lshl_or_b32 v44, v40, 16, v10
	v_lshl_or_b32 v41, v41, 16, v11
	;;#ASMSTART
	v_pk_mul_f16 v9, v44, v9;

	;;#ASMEND
	;;#ASMSTART
	v_pk_mul_f16 v1, v41, v1;

	;;#ASMEND
	v_lshl_or_b32 v40, v43, 16, v12
	v_lshl_or_b32 v38, v45, 16, v38
	;;#ASMSTART
	v_pk_mul_f16 v10, v40, v48;

	;;#ASMEND
	;;#ASMSTART
	v_pk_mul_f16 v11, v38, v50;

	;;#ASMEND
	;;#ASMSTART
	v_pk_add_f16 v1, v9, v1;

	;;#ASMEND
	;;#ASMSTART
	v_pk_add_f16 v1, v1, v10;
	;; [unrolled: 4-line block ×3, first 2 shown]

	;;#ASMEND
	v_and_b32_e32 v9, 0xffff, v1
	v_lshrrev_b32_e32 v1, 16, v1
	;;#ASMSTART
	v_cvt_f32_f16 v43, v9;
	;;#ASMEND
	;;#ASMSTART
	v_cvt_f32_f16 v45, v1;
	;;#ASMEND
	global_load_dwordx2 v[9:10], v[7:8], off offset:256
	global_load_dword v46, v47, s[14:15]
	v_mov_b32_e32 v48, 0
	s_waitcnt vmcnt(1)
	v_cmp_ne_u16_sdwa s0, v9, v2 src0_sel:BYTE_0 src1_sel:DWORD
	s_and_saveexec_b32 s13, s0
	s_cbranch_execz .LBB291_740
; %bb.733:                              ;   in Loop: Header=BB291_666 Depth=1
	v_cmp_ne_u16_sdwa s0, v9, v28 src0_sel:BYTE_0 src1_sel:DWORD
	v_mov_b32_e32 v48, 0x8000
	s_and_saveexec_b32 s17, s0
	s_cbranch_execz .LBB291_739
; %bb.734:                              ;   in Loop: Header=BB291_666 Depth=1
	v_and_b32_e32 v49, 0x7f, v9
	v_mov_b32_e32 v48, 0x7c01
	s_mov_b32 s18, exec_lo
	v_cmpx_ne_u32_e32 0x7f, v49
	s_cbranch_execz .LBB291_738
; %bb.735:                              ;   in Loop: Header=BB291_666 Depth=1
	v_and_b32_e32 v1, 7, v9
	v_lshrrev_b32_e32 v48, 3, v49
	s_mov_b32 s19, exec_lo
	v_cmpx_gt_u32_e32 8, v49
; %bb.736:                              ;   in Loop: Header=BB291_666 Depth=1
	v_ffbh_u32_e32 v1, v1
	v_min_u32_e32 v1, 32, v1
	v_subrev_nc_u32_e32 v11, 28, v1
	v_sub_nc_u32_e32 v48, 29, v1
	v_lshlrev_b64 v[11:12], v11, v[9:10]
	v_and_b32_e32 v1, 7, v11
; %bb.737:                              ;   in Loop: Header=BB291_666 Depth=1
	s_or_b32 exec_lo, exec_lo, s19
	v_lshlrev_b32_e32 v11, 8, v9
	v_lshl_add_u32 v12, v48, 10, 0x2000
	v_lshlrev_b32_e32 v1, 7, v1
	v_and_b32_e32 v11, 0x8000, v11
	v_and_b32_e32 v12, 0xfc00, v12
	v_or3_b32 v48, v11, v12, v1
.LBB291_738:                            ;   in Loop: Header=BB291_666 Depth=1
	s_or_b32 exec_lo, exec_lo, s18
.LBB291_739:                            ;   in Loop: Header=BB291_666 Depth=1
	s_or_b32 exec_lo, exec_lo, s17
.LBB291_740:                            ;   in Loop: Header=BB291_666 Depth=1
	s_or_b32 exec_lo, exec_lo, s13
	v_lshrrev_b16 v1, 8, v9
	s_mov_b32 s13, exec_lo
	v_cmpx_ne_u16_e32 0, v1
	s_cbranch_execz .LBB291_748
; %bb.741:                              ;   in Loop: Header=BB291_666 Depth=1
	v_bfrev_b32_e32 v47, 1
	s_mov_b32 s17, exec_lo
	v_cmpx_ne_u16_e32 0x80, v1
	s_cbranch_execz .LBB291_747
; %bb.742:                              ;   in Loop: Header=BB291_666 Depth=1
	v_and_b32_sdwa v50, v1, v29 dst_sel:DWORD dst_unused:UNUSED_PAD src0_sel:WORD_0 src1_sel:DWORD
	v_mov_b32_e32 v47, 0x7c010000
	s_mov_b32 s18, exec_lo
	v_cmpx_ne_u32_e32 0x7f, v50
	s_cbranch_execz .LBB291_746
; %bb.743:                              ;   in Loop: Header=BB291_666 Depth=1
	v_and_b32_sdwa v47, v1, v30 dst_sel:DWORD dst_unused:UNUSED_PAD src0_sel:WORD_0 src1_sel:DWORD
	v_lshrrev_b32_e32 v49, 3, v50
	s_mov_b32 s19, exec_lo
	v_cmpx_gt_u32_e32 8, v50
; %bb.744:                              ;   in Loop: Header=BB291_666 Depth=1
	v_ffbh_u32_e32 v11, v47
	v_min_u32_e32 v47, 32, v11
	v_subrev_nc_u32_e32 v11, 28, v47
	v_sub_nc_u32_e32 v49, 29, v47
	v_lshlrev_b64 v[11:12], v11, v[1:2]
	v_and_b32_e32 v47, 7, v11
; %bb.745:                              ;   in Loop: Header=BB291_666 Depth=1
	s_or_b32 exec_lo, exec_lo, s19
	v_lshlrev_b32_sdwa v1, v31, v1 dst_sel:DWORD dst_unused:UNUSED_PAD src0_sel:DWORD src1_sel:WORD_0
	v_lshl_add_u32 v11, v49, 10, 0x2000
	v_and_or_b32 v1, 0x8000, v1, v11
	v_lshlrev_b32_e32 v11, 23, v47
	v_lshl_or_b32 v47, v1, 16, v11
.LBB291_746:                            ;   in Loop: Header=BB291_666 Depth=1
	s_or_b32 exec_lo, exec_lo, s18
.LBB291_747:                            ;   in Loop: Header=BB291_666 Depth=1
	s_or_b32 exec_lo, exec_lo, s17
.LBB291_748:                            ;   in Loop: Header=BB291_666 Depth=1
	s_or_b32 exec_lo, exec_lo, s13
	v_lshrrev_b32_e32 v1, 16, v9
	v_mov_b32_e32 v49, 0
	v_mov_b32_e32 v50, 0
	v_cmp_ne_u16_sdwa s0, v1, v2 src0_sel:BYTE_0 src1_sel:DWORD
	s_and_saveexec_b32 s13, s0
	s_cbranch_execz .LBB291_756
; %bb.749:                              ;   in Loop: Header=BB291_666 Depth=1
	v_cmp_ne_u16_sdwa s0, v1, v28 src0_sel:BYTE_0 src1_sel:DWORD
	v_mov_b32_e32 v50, 0x8000
	s_and_saveexec_b32 s17, s0
	s_cbranch_execz .LBB291_755
; %bb.750:                              ;   in Loop: Header=BB291_666 Depth=1
	v_bfe_u32 v52, v9, 16, 7
	v_mov_b32_e32 v50, 0x7c01
	s_mov_b32 s18, exec_lo
	v_cmpx_ne_u32_e32 0x7f, v52
	s_cbranch_execz .LBB291_754
; %bb.751:                              ;   in Loop: Header=BB291_666 Depth=1
	v_and_b32_e32 v50, 7, v1
	v_lshrrev_b32_e32 v51, 3, v52
	s_mov_b32 s19, exec_lo
	v_cmpx_gt_u32_e32 8, v52
; %bb.752:                              ;   in Loop: Header=BB291_666 Depth=1
	v_ffbh_u32_e32 v11, v50
	v_min_u32_e32 v50, 32, v11
	v_subrev_nc_u32_e32 v11, 28, v50
	v_sub_nc_u32_e32 v51, 29, v50
	v_lshlrev_b64 v[11:12], v11, v[1:2]
	v_and_b32_e32 v50, 7, v11
; %bb.753:                              ;   in Loop: Header=BB291_666 Depth=1
	s_or_b32 exec_lo, exec_lo, s19
	v_lshlrev_b32_e32 v1, 8, v1
	v_lshl_add_u32 v11, v51, 10, 0x2000
	v_lshlrev_b32_e32 v12, 7, v50
	v_and_b32_e32 v1, 0x8000, v1
	v_and_b32_e32 v11, 0xfc00, v11
	v_or3_b32 v50, v1, v11, v12
.LBB291_754:                            ;   in Loop: Header=BB291_666 Depth=1
	s_or_b32 exec_lo, exec_lo, s18
.LBB291_755:                            ;   in Loop: Header=BB291_666 Depth=1
	s_or_b32 exec_lo, exec_lo, s17
.LBB291_756:                            ;   in Loop: Header=BB291_666 Depth=1
	s_or_b32 exec_lo, exec_lo, s13
	s_mov_b32 s13, exec_lo
	v_cmpx_lt_u32_e32 0xffffff, v9
	s_cbranch_execz .LBB291_764
; %bb.757:                              ;   in Loop: Header=BB291_666 Depth=1
	v_lshrrev_b32_e32 v1, 24, v9
	v_bfrev_b32_e32 v49, 1
	s_mov_b32 s17, exec_lo
	v_cmpx_ne_u32_e32 0x80, v1
	s_cbranch_execz .LBB291_763
; %bb.758:                              ;   in Loop: Header=BB291_666 Depth=1
	v_and_b32_e32 v52, 0x7f, v1
	v_mov_b32_e32 v49, 0x7c010000
	s_mov_b32 s18, exec_lo
	v_cmpx_ne_u32_e32 0x7f, v52
	s_cbranch_execz .LBB291_762
; %bb.759:                              ;   in Loop: Header=BB291_666 Depth=1
	v_and_b32_e32 v49, 7, v1
	v_lshrrev_b32_e32 v51, 3, v52
	s_mov_b32 s19, exec_lo
	v_cmpx_gt_u32_e32 8, v52
; %bb.760:                              ;   in Loop: Header=BB291_666 Depth=1
	v_ffbh_u32_e32 v11, v49
	v_min_u32_e32 v49, 32, v11
	v_subrev_nc_u32_e32 v11, 28, v49
	v_sub_nc_u32_e32 v51, 29, v49
	v_lshlrev_b64 v[11:12], v11, v[1:2]
	v_and_b32_e32 v49, 7, v11
; %bb.761:                              ;   in Loop: Header=BB291_666 Depth=1
	s_or_b32 exec_lo, exec_lo, s19
	v_lshlrev_b32_e32 v1, 8, v1
	v_lshl_add_u32 v11, v51, 10, 0x2000
	v_and_or_b32 v1, 0x8000, v1, v11
	v_lshlrev_b32_e32 v11, 23, v49
	v_lshl_or_b32 v49, v1, 16, v11
.LBB291_762:                            ;   in Loop: Header=BB291_666 Depth=1
	s_or_b32 exec_lo, exec_lo, s18
.LBB291_763:                            ;   in Loop: Header=BB291_666 Depth=1
	s_or_b32 exec_lo, exec_lo, s17
.LBB291_764:                            ;   in Loop: Header=BB291_666 Depth=1
	s_or_b32 exec_lo, exec_lo, s13
	v_mov_b32_e32 v1, v10
	v_cmp_ne_u16_sdwa s0, v10, v2 src0_sel:BYTE_0 src1_sel:DWORD
	v_mov_b32_e32 v51, 0
	v_mov_b32_e32 v52, 0
	s_and_saveexec_b32 s13, s0
	s_cbranch_execz .LBB291_772
; %bb.765:                              ;   in Loop: Header=BB291_666 Depth=1
	v_cmp_ne_u16_sdwa s0, v10, v28 src0_sel:BYTE_0 src1_sel:DWORD
	v_mov_b32_e32 v52, 0x8000
	s_and_saveexec_b32 s17, s0
	s_cbranch_execz .LBB291_771
; %bb.766:                              ;   in Loop: Header=BB291_666 Depth=1
	v_and_b32_e32 v54, 0x7f, v10
	v_mov_b32_e32 v52, 0x7c01
	s_mov_b32 s18, exec_lo
	v_cmpx_ne_u32_e32 0x7f, v54
	s_cbranch_execz .LBB291_770
; %bb.767:                              ;   in Loop: Header=BB291_666 Depth=1
	v_and_b32_e32 v52, 7, v10
	v_lshrrev_b32_e32 v53, 3, v54
	s_mov_b32 s19, exec_lo
	v_cmpx_gt_u32_e32 8, v54
; %bb.768:                              ;   in Loop: Header=BB291_666 Depth=1
	v_ffbh_u32_e32 v11, v52
	v_min_u32_e32 v52, 32, v11
	v_subrev_nc_u32_e32 v11, 28, v52
	v_sub_nc_u32_e32 v53, 29, v52
	v_lshlrev_b64 v[11:12], v11, v[1:2]
	v_and_b32_e32 v52, 7, v11
; %bb.769:                              ;   in Loop: Header=BB291_666 Depth=1
	s_or_b32 exec_lo, exec_lo, s19
	v_lshlrev_b32_e32 v11, 8, v10
	v_lshl_add_u32 v12, v53, 10, 0x2000
	v_lshlrev_b32_e32 v52, 7, v52
	v_and_b32_e32 v11, 0x8000, v11
	v_and_b32_e32 v12, 0xfc00, v12
	v_or3_b32 v52, v11, v12, v52
.LBB291_770:                            ;   in Loop: Header=BB291_666 Depth=1
	s_or_b32 exec_lo, exec_lo, s18
.LBB291_771:                            ;   in Loop: Header=BB291_666 Depth=1
	s_or_b32 exec_lo, exec_lo, s17
.LBB291_772:                            ;   in Loop: Header=BB291_666 Depth=1
	s_or_b32 exec_lo, exec_lo, s13
	v_lshrrev_b16 v1, 8, v1
	v_mov_b32_e32 v53, 0
	s_mov_b32 s13, exec_lo
	v_cmpx_ne_u16_e32 0, v1
	s_cbranch_execz .LBB291_780
; %bb.773:                              ;   in Loop: Header=BB291_666 Depth=1
	v_bfrev_b32_e32 v53, 1
	s_mov_b32 s17, exec_lo
	v_cmpx_ne_u16_e32 0x80, v1
	s_cbranch_execz .LBB291_779
; %bb.774:                              ;   in Loop: Header=BB291_666 Depth=1
	v_and_b32_sdwa v55, v1, v29 dst_sel:DWORD dst_unused:UNUSED_PAD src0_sel:WORD_0 src1_sel:DWORD
	v_mov_b32_e32 v53, 0x7c010000
	s_mov_b32 s18, exec_lo
	v_cmpx_ne_u32_e32 0x7f, v55
	s_cbranch_execz .LBB291_778
; %bb.775:                              ;   in Loop: Header=BB291_666 Depth=1
	v_and_b32_sdwa v53, v1, v30 dst_sel:DWORD dst_unused:UNUSED_PAD src0_sel:WORD_0 src1_sel:DWORD
	v_lshrrev_b32_e32 v54, 3, v55
	s_mov_b32 s19, exec_lo
	v_cmpx_gt_u32_e32 8, v55
; %bb.776:                              ;   in Loop: Header=BB291_666 Depth=1
	v_ffbh_u32_e32 v11, v53
	v_min_u32_e32 v53, 32, v11
	v_subrev_nc_u32_e32 v11, 28, v53
	v_sub_nc_u32_e32 v54, 29, v53
	v_lshlrev_b64 v[11:12], v11, v[1:2]
	v_and_b32_e32 v53, 7, v11
; %bb.777:                              ;   in Loop: Header=BB291_666 Depth=1
	s_or_b32 exec_lo, exec_lo, s19
	v_lshlrev_b32_sdwa v1, v31, v1 dst_sel:DWORD dst_unused:UNUSED_PAD src0_sel:DWORD src1_sel:WORD_0
	v_lshl_add_u32 v11, v54, 10, 0x2000
	v_and_or_b32 v1, 0x8000, v1, v11
	v_lshlrev_b32_e32 v11, 23, v53
	v_lshl_or_b32 v53, v1, 16, v11
.LBB291_778:                            ;   in Loop: Header=BB291_666 Depth=1
	s_or_b32 exec_lo, exec_lo, s18
.LBB291_779:                            ;   in Loop: Header=BB291_666 Depth=1
	s_or_b32 exec_lo, exec_lo, s17
.LBB291_780:                            ;   in Loop: Header=BB291_666 Depth=1
	s_or_b32 exec_lo, exec_lo, s13
	v_lshrrev_b32_e32 v1, 16, v10
	v_cmp_ne_u16_sdwa s0, v1, v2 src0_sel:BYTE_0 src1_sel:DWORD
	s_and_saveexec_b32 s13, s0
	s_cbranch_execz .LBB291_788
; %bb.781:                              ;   in Loop: Header=BB291_666 Depth=1
	v_cmp_ne_u16_sdwa s0, v1, v28 src0_sel:BYTE_0 src1_sel:DWORD
	v_mov_b32_e32 v51, 0x8000
	s_and_saveexec_b32 s17, s0
	s_cbranch_execz .LBB291_787
; %bb.782:                              ;   in Loop: Header=BB291_666 Depth=1
	v_bfe_u32 v55, v10, 16, 7
	v_mov_b32_e32 v51, 0x7c01
	s_mov_b32 s18, exec_lo
	v_cmpx_ne_u32_e32 0x7f, v55
	s_cbranch_execz .LBB291_786
; %bb.783:                              ;   in Loop: Header=BB291_666 Depth=1
	v_and_b32_e32 v51, 7, v1
	v_lshrrev_b32_e32 v54, 3, v55
	s_mov_b32 s19, exec_lo
	v_cmpx_gt_u32_e32 8, v55
; %bb.784:                              ;   in Loop: Header=BB291_666 Depth=1
	v_ffbh_u32_e32 v11, v51
	v_min_u32_e32 v51, 32, v11
	v_subrev_nc_u32_e32 v11, 28, v51
	v_sub_nc_u32_e32 v54, 29, v51
	v_lshlrev_b64 v[11:12], v11, v[1:2]
	v_and_b32_e32 v51, 7, v11
; %bb.785:                              ;   in Loop: Header=BB291_666 Depth=1
	s_or_b32 exec_lo, exec_lo, s19
	v_lshlrev_b32_e32 v1, 8, v1
	v_lshl_add_u32 v11, v54, 10, 0x2000
	v_lshlrev_b32_e32 v12, 7, v51
	v_and_b32_e32 v1, 0x8000, v1
	v_and_b32_e32 v11, 0xfc00, v11
	v_or3_b32 v51, v1, v11, v12
.LBB291_786:                            ;   in Loop: Header=BB291_666 Depth=1
	s_or_b32 exec_lo, exec_lo, s18
.LBB291_787:                            ;   in Loop: Header=BB291_666 Depth=1
	s_or_b32 exec_lo, exec_lo, s17
.LBB291_788:                            ;   in Loop: Header=BB291_666 Depth=1
	s_or_b32 exec_lo, exec_lo, s13
	v_cmp_lt_u64_e64 s0, s[2:3], v[9:10]
	v_mov_b32_e32 v9, 0
	s_and_saveexec_b32 s13, s0
	s_cbranch_execz .LBB291_796
; %bb.789:                              ;   in Loop: Header=BB291_666 Depth=1
	v_lshrrev_b32_e32 v1, 24, v10
	v_bfrev_b32_e32 v9, 1
	s_mov_b32 s17, exec_lo
	v_cmpx_ne_u32_e32 0x80, v1
	s_cbranch_execz .LBB291_795
; %bb.790:                              ;   in Loop: Header=BB291_666 Depth=1
	v_and_b32_e32 v54, 0x7f, v1
	v_mov_b32_e32 v9, 0x7c010000
	s_mov_b32 s18, exec_lo
	v_cmpx_ne_u32_e32 0x7f, v54
	s_cbranch_execz .LBB291_794
; %bb.791:                              ;   in Loop: Header=BB291_666 Depth=1
	v_and_b32_e32 v9, 7, v1
	v_lshrrev_b32_e32 v10, 3, v54
	s_mov_b32 s19, exec_lo
	v_cmpx_gt_u32_e32 8, v54
; %bb.792:                              ;   in Loop: Header=BB291_666 Depth=1
	v_ffbh_u32_e32 v9, v9
	v_min_u32_e32 v11, 32, v9
	v_subrev_nc_u32_e32 v9, 28, v11
	v_lshlrev_b64 v[9:10], v9, v[1:2]
	v_sub_nc_u32_e32 v10, 29, v11
	v_and_b32_e32 v9, 7, v9
; %bb.793:                              ;   in Loop: Header=BB291_666 Depth=1
	s_or_b32 exec_lo, exec_lo, s19
	v_lshlrev_b32_e32 v1, 8, v1
	v_lshl_add_u32 v10, v10, 10, 0x2000
	v_lshlrev_b32_e32 v9, 23, v9
	v_and_or_b32 v1, 0x8000, v1, v10
	v_lshl_or_b32 v9, v1, 16, v9
.LBB291_794:                            ;   in Loop: Header=BB291_666 Depth=1
	s_or_b32 exec_lo, exec_lo, s18
.LBB291_795:                            ;   in Loop: Header=BB291_666 Depth=1
	s_or_b32 exec_lo, exec_lo, s17
.LBB291_796:                            ;   in Loop: Header=BB291_666 Depth=1
	s_or_b32 exec_lo, exec_lo, s13
	v_or_b32_e32 v1, v49, v50
	s_waitcnt vmcnt(0)
	v_fma_mixlo_f16 v10, v46, v49, 0 op_sel:[0,1,0] op_sel_hi:[0,1,0]
	v_or_b32_e32 v11, v47, v48
	v_fma_mixlo_f16 v12, v46, v47, 0 op_sel:[0,1,0] op_sel_hi:[0,1,0]
	v_or_b32_e32 v47, v53, v52
	v_fma_mixlo_f16 v49, v46, v1, 0 op_sel_hi:[0,1,0]
	v_or_b32_e32 v50, v9, v51
	v_lshlrev_b32_e32 v1, 16, v10
	v_lshlrev_b32_e32 v48, 16, v12
	v_fma_mixlo_f16 v11, v46, v11, 0 op_sel_hi:[0,1,0]
	v_and_b32_e32 v10, 0xffff, v49
	v_fma_mixlo_f16 v12, v46, v53, 0 op_sel:[0,1,0] op_sel_hi:[0,1,0]
	v_fma_mixlo_f16 v47, v46, v47, 0 op_sel_hi:[0,1,0]
	v_fma_mixlo_f16 v9, v46, v9, 0 op_sel:[0,1,0] op_sel_hi:[0,1,0]
	v_fma_mixlo_f16 v49, v46, v50, 0 op_sel_hi:[0,1,0]
	v_and_b32_e32 v54, 0xffff, v11
	v_lshlrev_b32_e32 v46, 16, v12
	v_and_b32_e32 v50, 0xffff, v47
	v_lshlrev_b32_e32 v9, 16, v9
	v_and_b32_e32 v47, 0xffff, v49
	v_or_b32_e32 v49, v1, v10
	v_or_b32_e32 v53, v48, v54
	;; [unrolled: 1-line block ×4, first 2 shown]
	s_and_saveexec_b32 s13, vcc_lo
	s_cbranch_execz .LBB291_798
; %bb.797:                              ;   in Loop: Header=BB291_666 Depth=1
	v_cmp_gt_i32_e64 s0, s11, v33
	v_cndmask_b32_e64 v11, 0, v54, s0
	v_cmp_gt_i32_e64 s0, s11, v42
	v_cndmask_b32_e64 v12, 0, v48, s0
	v_cmp_gt_i32_e64 s0, s11, v39
	v_or_b32_e32 v53, v12, v11
	v_cndmask_b32_e64 v10, 0, v10, s0
	v_cmp_gt_i32_e64 s0, s11, v37
	v_cndmask_b32_e64 v1, 0, v1, s0
	v_cmp_gt_i32_e64 s0, s11, v36
	v_or_b32_e32 v49, v1, v10
	;; [unrolled: 5-line block ×3, first 2 shown]
	v_cndmask_b32_e64 v47, 0, v47, s0
	v_cmp_gt_i32_e64 s0, s11, v27
	v_cndmask_b32_e64 v9, 0, v9, s0
	v_or_b32_e32 v51, v9, v47
.LBB291_798:                            ;   in Loop: Header=BB291_666 Depth=1
	s_or_b32 exec_lo, exec_lo, s13
	;;#ASMSTART
	v_pk_mul_f16 v1, v44, v53;

	;;#ASMEND
	;;#ASMSTART
	v_pk_mul_f16 v9, v41, v49;

	;;#ASMEND
	;; [unrolled: 4-line block ×4, first 2 shown]
	;;#ASMSTART
	v_pk_add_f16 v1, v1, v9;

	;;#ASMEND
	;;#ASMSTART
	v_pk_add_f16 v1, v1, v10;

	;;#ASMEND
	;; [unrolled: 4-line block ×3, first 2 shown]
	v_and_b32_e32 v9, 0xffff, v1
	v_lshrrev_b32_e32 v1, 16, v1
	;;#ASMSTART
	v_cvt_f32_f16 v46, v9;
	;;#ASMEND
	;;#ASMSTART
	v_cvt_f32_f16 v47, v1;
	;;#ASMEND
	global_load_dwordx2 v[9:10], v[7:8], off offset:512
	v_mov_b32_e32 v49, 0
	v_mov_b32_e32 v50, 0
	global_load_dword v48, v49, s[14:15]
	s_waitcnt vmcnt(1)
	v_cmp_ne_u16_sdwa s0, v9, v2 src0_sel:BYTE_0 src1_sel:DWORD
	s_and_saveexec_b32 s13, s0
	s_cbranch_execz .LBB291_806
; %bb.799:                              ;   in Loop: Header=BB291_666 Depth=1
	v_cmp_ne_u16_sdwa s0, v9, v28 src0_sel:BYTE_0 src1_sel:DWORD
	v_mov_b32_e32 v50, 0x8000
	s_and_saveexec_b32 s17, s0
	s_cbranch_execz .LBB291_805
; %bb.800:                              ;   in Loop: Header=BB291_666 Depth=1
	v_and_b32_e32 v51, 0x7f, v9
	v_mov_b32_e32 v50, 0x7c01
	s_mov_b32 s18, exec_lo
	v_cmpx_ne_u32_e32 0x7f, v51
	s_cbranch_execz .LBB291_804
; %bb.801:                              ;   in Loop: Header=BB291_666 Depth=1
	v_and_b32_e32 v1, 7, v9
	v_lshrrev_b32_e32 v50, 3, v51
	s_mov_b32 s19, exec_lo
	v_cmpx_gt_u32_e32 8, v51
; %bb.802:                              ;   in Loop: Header=BB291_666 Depth=1
	v_ffbh_u32_e32 v1, v1
	v_min_u32_e32 v1, 32, v1
	v_subrev_nc_u32_e32 v11, 28, v1
	v_sub_nc_u32_e32 v50, 29, v1
	v_lshlrev_b64 v[11:12], v11, v[9:10]
	v_and_b32_e32 v1, 7, v11
; %bb.803:                              ;   in Loop: Header=BB291_666 Depth=1
	s_or_b32 exec_lo, exec_lo, s19
	v_lshlrev_b32_e32 v11, 8, v9
	v_lshl_add_u32 v12, v50, 10, 0x2000
	v_lshlrev_b32_e32 v1, 7, v1
	v_and_b32_e32 v11, 0x8000, v11
	v_and_b32_e32 v12, 0xfc00, v12
	v_or3_b32 v50, v11, v12, v1
.LBB291_804:                            ;   in Loop: Header=BB291_666 Depth=1
	s_or_b32 exec_lo, exec_lo, s18
.LBB291_805:                            ;   in Loop: Header=BB291_666 Depth=1
	s_or_b32 exec_lo, exec_lo, s17
.LBB291_806:                            ;   in Loop: Header=BB291_666 Depth=1
	s_or_b32 exec_lo, exec_lo, s13
	v_lshrrev_b16 v1, 8, v9
	s_mov_b32 s13, exec_lo
	v_cmpx_ne_u16_e32 0, v1
	s_cbranch_execz .LBB291_814
; %bb.807:                              ;   in Loop: Header=BB291_666 Depth=1
	v_bfrev_b32_e32 v49, 1
	s_mov_b32 s17, exec_lo
	v_cmpx_ne_u16_e32 0x80, v1
	s_cbranch_execz .LBB291_813
; %bb.808:                              ;   in Loop: Header=BB291_666 Depth=1
	v_and_b32_sdwa v52, v1, v29 dst_sel:DWORD dst_unused:UNUSED_PAD src0_sel:WORD_0 src1_sel:DWORD
	v_mov_b32_e32 v49, 0x7c010000
	s_mov_b32 s18, exec_lo
	v_cmpx_ne_u32_e32 0x7f, v52
	s_cbranch_execz .LBB291_812
; %bb.809:                              ;   in Loop: Header=BB291_666 Depth=1
	v_and_b32_sdwa v49, v1, v30 dst_sel:DWORD dst_unused:UNUSED_PAD src0_sel:WORD_0 src1_sel:DWORD
	v_lshrrev_b32_e32 v51, 3, v52
	s_mov_b32 s19, exec_lo
	v_cmpx_gt_u32_e32 8, v52
; %bb.810:                              ;   in Loop: Header=BB291_666 Depth=1
	v_ffbh_u32_e32 v11, v49
	v_min_u32_e32 v49, 32, v11
	v_subrev_nc_u32_e32 v11, 28, v49
	v_sub_nc_u32_e32 v51, 29, v49
	v_lshlrev_b64 v[11:12], v11, v[1:2]
	v_and_b32_e32 v49, 7, v11
; %bb.811:                              ;   in Loop: Header=BB291_666 Depth=1
	s_or_b32 exec_lo, exec_lo, s19
	v_lshlrev_b32_sdwa v1, v31, v1 dst_sel:DWORD dst_unused:UNUSED_PAD src0_sel:DWORD src1_sel:WORD_0
	v_lshl_add_u32 v11, v51, 10, 0x2000
	v_and_or_b32 v1, 0x8000, v1, v11
	v_lshlrev_b32_e32 v11, 23, v49
	v_lshl_or_b32 v49, v1, 16, v11
.LBB291_812:                            ;   in Loop: Header=BB291_666 Depth=1
	s_or_b32 exec_lo, exec_lo, s18
.LBB291_813:                            ;   in Loop: Header=BB291_666 Depth=1
	s_or_b32 exec_lo, exec_lo, s17
.LBB291_814:                            ;   in Loop: Header=BB291_666 Depth=1
	s_or_b32 exec_lo, exec_lo, s13
	v_lshrrev_b32_e32 v1, 16, v9
	v_mov_b32_e32 v51, 0
	v_mov_b32_e32 v52, 0
	v_cmp_ne_u16_sdwa s0, v1, v2 src0_sel:BYTE_0 src1_sel:DWORD
	s_and_saveexec_b32 s13, s0
	s_cbranch_execz .LBB291_822
; %bb.815:                              ;   in Loop: Header=BB291_666 Depth=1
	v_cmp_ne_u16_sdwa s0, v1, v28 src0_sel:BYTE_0 src1_sel:DWORD
	v_mov_b32_e32 v52, 0x8000
	s_and_saveexec_b32 s17, s0
	s_cbranch_execz .LBB291_821
; %bb.816:                              ;   in Loop: Header=BB291_666 Depth=1
	v_bfe_u32 v54, v9, 16, 7
	v_mov_b32_e32 v52, 0x7c01
	s_mov_b32 s18, exec_lo
	v_cmpx_ne_u32_e32 0x7f, v54
	s_cbranch_execz .LBB291_820
; %bb.817:                              ;   in Loop: Header=BB291_666 Depth=1
	v_and_b32_e32 v52, 7, v1
	v_lshrrev_b32_e32 v53, 3, v54
	s_mov_b32 s19, exec_lo
	v_cmpx_gt_u32_e32 8, v54
; %bb.818:                              ;   in Loop: Header=BB291_666 Depth=1
	v_ffbh_u32_e32 v11, v52
	v_min_u32_e32 v52, 32, v11
	v_subrev_nc_u32_e32 v11, 28, v52
	v_sub_nc_u32_e32 v53, 29, v52
	v_lshlrev_b64 v[11:12], v11, v[1:2]
	v_and_b32_e32 v52, 7, v11
; %bb.819:                              ;   in Loop: Header=BB291_666 Depth=1
	s_or_b32 exec_lo, exec_lo, s19
	v_lshlrev_b32_e32 v1, 8, v1
	v_lshl_add_u32 v11, v53, 10, 0x2000
	v_lshlrev_b32_e32 v12, 7, v52
	v_and_b32_e32 v1, 0x8000, v1
	v_and_b32_e32 v11, 0xfc00, v11
	v_or3_b32 v52, v1, v11, v12
.LBB291_820:                            ;   in Loop: Header=BB291_666 Depth=1
	s_or_b32 exec_lo, exec_lo, s18
.LBB291_821:                            ;   in Loop: Header=BB291_666 Depth=1
	s_or_b32 exec_lo, exec_lo, s17
.LBB291_822:                            ;   in Loop: Header=BB291_666 Depth=1
	s_or_b32 exec_lo, exec_lo, s13
	s_mov_b32 s13, exec_lo
	v_cmpx_lt_u32_e32 0xffffff, v9
	s_cbranch_execz .LBB291_830
; %bb.823:                              ;   in Loop: Header=BB291_666 Depth=1
	v_lshrrev_b32_e32 v1, 24, v9
	v_bfrev_b32_e32 v51, 1
	s_mov_b32 s17, exec_lo
	v_cmpx_ne_u32_e32 0x80, v1
	s_cbranch_execz .LBB291_829
; %bb.824:                              ;   in Loop: Header=BB291_666 Depth=1
	v_and_b32_e32 v54, 0x7f, v1
	v_mov_b32_e32 v51, 0x7c010000
	s_mov_b32 s18, exec_lo
	v_cmpx_ne_u32_e32 0x7f, v54
	s_cbranch_execz .LBB291_828
; %bb.825:                              ;   in Loop: Header=BB291_666 Depth=1
	v_and_b32_e32 v51, 7, v1
	v_lshrrev_b32_e32 v53, 3, v54
	s_mov_b32 s19, exec_lo
	v_cmpx_gt_u32_e32 8, v54
; %bb.826:                              ;   in Loop: Header=BB291_666 Depth=1
	v_ffbh_u32_e32 v11, v51
	v_min_u32_e32 v51, 32, v11
	v_subrev_nc_u32_e32 v11, 28, v51
	v_sub_nc_u32_e32 v53, 29, v51
	v_lshlrev_b64 v[11:12], v11, v[1:2]
	v_and_b32_e32 v51, 7, v11
; %bb.827:                              ;   in Loop: Header=BB291_666 Depth=1
	s_or_b32 exec_lo, exec_lo, s19
	v_lshlrev_b32_e32 v1, 8, v1
	v_lshl_add_u32 v11, v53, 10, 0x2000
	v_and_or_b32 v1, 0x8000, v1, v11
	v_lshlrev_b32_e32 v11, 23, v51
	v_lshl_or_b32 v51, v1, 16, v11
.LBB291_828:                            ;   in Loop: Header=BB291_666 Depth=1
	s_or_b32 exec_lo, exec_lo, s18
.LBB291_829:                            ;   in Loop: Header=BB291_666 Depth=1
	s_or_b32 exec_lo, exec_lo, s17
.LBB291_830:                            ;   in Loop: Header=BB291_666 Depth=1
	s_or_b32 exec_lo, exec_lo, s13
	v_mov_b32_e32 v1, v10
	v_cmp_ne_u16_sdwa s0, v10, v2 src0_sel:BYTE_0 src1_sel:DWORD
	v_mov_b32_e32 v53, 0
	v_mov_b32_e32 v54, 0
	s_and_saveexec_b32 s13, s0
	s_cbranch_execz .LBB291_838
; %bb.831:                              ;   in Loop: Header=BB291_666 Depth=1
	v_cmp_ne_u16_sdwa s0, v10, v28 src0_sel:BYTE_0 src1_sel:DWORD
	v_mov_b32_e32 v54, 0x8000
	s_and_saveexec_b32 s17, s0
	s_cbranch_execz .LBB291_837
; %bb.832:                              ;   in Loop: Header=BB291_666 Depth=1
	v_and_b32_e32 v56, 0x7f, v10
	v_mov_b32_e32 v54, 0x7c01
	s_mov_b32 s18, exec_lo
	v_cmpx_ne_u32_e32 0x7f, v56
	s_cbranch_execz .LBB291_836
; %bb.833:                              ;   in Loop: Header=BB291_666 Depth=1
	v_and_b32_e32 v54, 7, v10
	v_lshrrev_b32_e32 v55, 3, v56
	s_mov_b32 s19, exec_lo
	v_cmpx_gt_u32_e32 8, v56
; %bb.834:                              ;   in Loop: Header=BB291_666 Depth=1
	v_ffbh_u32_e32 v11, v54
	v_min_u32_e32 v54, 32, v11
	v_subrev_nc_u32_e32 v11, 28, v54
	v_sub_nc_u32_e32 v55, 29, v54
	v_lshlrev_b64 v[11:12], v11, v[1:2]
	v_and_b32_e32 v54, 7, v11
; %bb.835:                              ;   in Loop: Header=BB291_666 Depth=1
	s_or_b32 exec_lo, exec_lo, s19
	v_lshlrev_b32_e32 v11, 8, v10
	v_lshl_add_u32 v12, v55, 10, 0x2000
	v_lshlrev_b32_e32 v54, 7, v54
	v_and_b32_e32 v11, 0x8000, v11
	v_and_b32_e32 v12, 0xfc00, v12
	v_or3_b32 v54, v11, v12, v54
.LBB291_836:                            ;   in Loop: Header=BB291_666 Depth=1
	s_or_b32 exec_lo, exec_lo, s18
.LBB291_837:                            ;   in Loop: Header=BB291_666 Depth=1
	s_or_b32 exec_lo, exec_lo, s17
.LBB291_838:                            ;   in Loop: Header=BB291_666 Depth=1
	s_or_b32 exec_lo, exec_lo, s13
	v_lshrrev_b16 v1, 8, v1
	v_mov_b32_e32 v55, 0
	s_mov_b32 s13, exec_lo
	v_cmpx_ne_u16_e32 0, v1
	s_cbranch_execz .LBB291_846
; %bb.839:                              ;   in Loop: Header=BB291_666 Depth=1
	v_bfrev_b32_e32 v55, 1
	s_mov_b32 s17, exec_lo
	v_cmpx_ne_u16_e32 0x80, v1
	s_cbranch_execz .LBB291_845
; %bb.840:                              ;   in Loop: Header=BB291_666 Depth=1
	v_and_b32_sdwa v57, v1, v29 dst_sel:DWORD dst_unused:UNUSED_PAD src0_sel:WORD_0 src1_sel:DWORD
	v_mov_b32_e32 v55, 0x7c010000
	s_mov_b32 s18, exec_lo
	v_cmpx_ne_u32_e32 0x7f, v57
	s_cbranch_execz .LBB291_844
; %bb.841:                              ;   in Loop: Header=BB291_666 Depth=1
	v_and_b32_sdwa v55, v1, v30 dst_sel:DWORD dst_unused:UNUSED_PAD src0_sel:WORD_0 src1_sel:DWORD
	v_lshrrev_b32_e32 v56, 3, v57
	s_mov_b32 s19, exec_lo
	v_cmpx_gt_u32_e32 8, v57
; %bb.842:                              ;   in Loop: Header=BB291_666 Depth=1
	v_ffbh_u32_e32 v11, v55
	v_min_u32_e32 v55, 32, v11
	v_subrev_nc_u32_e32 v11, 28, v55
	v_sub_nc_u32_e32 v56, 29, v55
	v_lshlrev_b64 v[11:12], v11, v[1:2]
	v_and_b32_e32 v55, 7, v11
; %bb.843:                              ;   in Loop: Header=BB291_666 Depth=1
	s_or_b32 exec_lo, exec_lo, s19
	v_lshlrev_b32_sdwa v1, v31, v1 dst_sel:DWORD dst_unused:UNUSED_PAD src0_sel:DWORD src1_sel:WORD_0
	v_lshl_add_u32 v11, v56, 10, 0x2000
	v_and_or_b32 v1, 0x8000, v1, v11
	v_lshlrev_b32_e32 v11, 23, v55
	v_lshl_or_b32 v55, v1, 16, v11
.LBB291_844:                            ;   in Loop: Header=BB291_666 Depth=1
	s_or_b32 exec_lo, exec_lo, s18
.LBB291_845:                            ;   in Loop: Header=BB291_666 Depth=1
	s_or_b32 exec_lo, exec_lo, s17
.LBB291_846:                            ;   in Loop: Header=BB291_666 Depth=1
	s_or_b32 exec_lo, exec_lo, s13
	v_lshrrev_b32_e32 v1, 16, v10
	v_cmp_ne_u16_sdwa s0, v1, v2 src0_sel:BYTE_0 src1_sel:DWORD
	s_and_saveexec_b32 s13, s0
	s_cbranch_execz .LBB291_854
; %bb.847:                              ;   in Loop: Header=BB291_666 Depth=1
	v_cmp_ne_u16_sdwa s0, v1, v28 src0_sel:BYTE_0 src1_sel:DWORD
	v_mov_b32_e32 v53, 0x8000
	s_and_saveexec_b32 s17, s0
	s_cbranch_execz .LBB291_853
; %bb.848:                              ;   in Loop: Header=BB291_666 Depth=1
	v_bfe_u32 v57, v10, 16, 7
	v_mov_b32_e32 v53, 0x7c01
	s_mov_b32 s18, exec_lo
	v_cmpx_ne_u32_e32 0x7f, v57
	s_cbranch_execz .LBB291_852
; %bb.849:                              ;   in Loop: Header=BB291_666 Depth=1
	v_and_b32_e32 v53, 7, v1
	v_lshrrev_b32_e32 v56, 3, v57
	s_mov_b32 s19, exec_lo
	v_cmpx_gt_u32_e32 8, v57
; %bb.850:                              ;   in Loop: Header=BB291_666 Depth=1
	v_ffbh_u32_e32 v11, v53
	v_min_u32_e32 v53, 32, v11
	v_subrev_nc_u32_e32 v11, 28, v53
	v_sub_nc_u32_e32 v56, 29, v53
	v_lshlrev_b64 v[11:12], v11, v[1:2]
	v_and_b32_e32 v53, 7, v11
; %bb.851:                              ;   in Loop: Header=BB291_666 Depth=1
	s_or_b32 exec_lo, exec_lo, s19
	v_lshlrev_b32_e32 v1, 8, v1
	v_lshl_add_u32 v11, v56, 10, 0x2000
	v_lshlrev_b32_e32 v12, 7, v53
	v_and_b32_e32 v1, 0x8000, v1
	v_and_b32_e32 v11, 0xfc00, v11
	v_or3_b32 v53, v1, v11, v12
.LBB291_852:                            ;   in Loop: Header=BB291_666 Depth=1
	s_or_b32 exec_lo, exec_lo, s18
.LBB291_853:                            ;   in Loop: Header=BB291_666 Depth=1
	s_or_b32 exec_lo, exec_lo, s17
.LBB291_854:                            ;   in Loop: Header=BB291_666 Depth=1
	s_or_b32 exec_lo, exec_lo, s13
	v_cmp_lt_u64_e64 s0, s[2:3], v[9:10]
	v_mov_b32_e32 v9, 0
	s_and_saveexec_b32 s13, s0
	s_cbranch_execz .LBB291_862
; %bb.855:                              ;   in Loop: Header=BB291_666 Depth=1
	v_lshrrev_b32_e32 v1, 24, v10
	v_bfrev_b32_e32 v9, 1
	s_mov_b32 s17, exec_lo
	v_cmpx_ne_u32_e32 0x80, v1
	s_cbranch_execz .LBB291_861
; %bb.856:                              ;   in Loop: Header=BB291_666 Depth=1
	v_and_b32_e32 v56, 0x7f, v1
	v_mov_b32_e32 v9, 0x7c010000
	s_mov_b32 s18, exec_lo
	v_cmpx_ne_u32_e32 0x7f, v56
	s_cbranch_execz .LBB291_860
; %bb.857:                              ;   in Loop: Header=BB291_666 Depth=1
	v_and_b32_e32 v9, 7, v1
	v_lshrrev_b32_e32 v10, 3, v56
	s_mov_b32 s19, exec_lo
	v_cmpx_gt_u32_e32 8, v56
; %bb.858:                              ;   in Loop: Header=BB291_666 Depth=1
	v_ffbh_u32_e32 v9, v9
	v_min_u32_e32 v11, 32, v9
	v_subrev_nc_u32_e32 v9, 28, v11
	v_lshlrev_b64 v[9:10], v9, v[1:2]
	v_sub_nc_u32_e32 v10, 29, v11
	v_and_b32_e32 v9, 7, v9
; %bb.859:                              ;   in Loop: Header=BB291_666 Depth=1
	s_or_b32 exec_lo, exec_lo, s19
	v_lshlrev_b32_e32 v1, 8, v1
	v_lshl_add_u32 v10, v10, 10, 0x2000
	v_lshlrev_b32_e32 v9, 23, v9
	v_and_or_b32 v1, 0x8000, v1, v10
	v_lshl_or_b32 v9, v1, 16, v9
.LBB291_860:                            ;   in Loop: Header=BB291_666 Depth=1
	s_or_b32 exec_lo, exec_lo, s18
.LBB291_861:                            ;   in Loop: Header=BB291_666 Depth=1
	s_or_b32 exec_lo, exec_lo, s17
.LBB291_862:                            ;   in Loop: Header=BB291_666 Depth=1
	s_or_b32 exec_lo, exec_lo, s13
	v_or_b32_e32 v1, v51, v52
	s_waitcnt vmcnt(0)
	v_fma_mixlo_f16 v10, v48, v51, 0 op_sel:[0,1,0] op_sel_hi:[0,1,0]
	v_or_b32_e32 v11, v49, v50
	v_fma_mixlo_f16 v12, v48, v49, 0 op_sel:[0,1,0] op_sel_hi:[0,1,0]
	v_or_b32_e32 v49, v55, v54
	v_fma_mixlo_f16 v51, v48, v1, 0 op_sel_hi:[0,1,0]
	v_or_b32_e32 v52, v9, v53
	v_lshlrev_b32_e32 v1, 16, v10
	v_lshlrev_b32_e32 v50, 16, v12
	v_fma_mixlo_f16 v11, v48, v11, 0 op_sel_hi:[0,1,0]
	v_and_b32_e32 v10, 0xffff, v51
	v_fma_mixlo_f16 v12, v48, v55, 0 op_sel:[0,1,0] op_sel_hi:[0,1,0]
	v_fma_mixlo_f16 v49, v48, v49, 0 op_sel_hi:[0,1,0]
	v_fma_mixlo_f16 v9, v48, v9, 0 op_sel:[0,1,0] op_sel_hi:[0,1,0]
	v_fma_mixlo_f16 v51, v48, v52, 0 op_sel_hi:[0,1,0]
	v_and_b32_e32 v56, 0xffff, v11
	v_lshlrev_b32_e32 v48, 16, v12
	v_and_b32_e32 v52, 0xffff, v49
	v_lshlrev_b32_e32 v9, 16, v9
	v_and_b32_e32 v49, 0xffff, v51
	v_or_b32_e32 v51, v1, v10
	v_or_b32_e32 v55, v50, v56
	;; [unrolled: 1-line block ×4, first 2 shown]
	s_and_saveexec_b32 s13, vcc_lo
	s_cbranch_execz .LBB291_864
; %bb.863:                              ;   in Loop: Header=BB291_666 Depth=1
	v_cmp_gt_i32_e64 s0, s11, v33
	v_cndmask_b32_e64 v11, 0, v56, s0
	v_cmp_gt_i32_e64 s0, s11, v42
	v_cndmask_b32_e64 v12, 0, v50, s0
	v_cmp_gt_i32_e64 s0, s11, v39
	v_or_b32_e32 v55, v12, v11
	v_cndmask_b32_e64 v10, 0, v10, s0
	v_cmp_gt_i32_e64 s0, s11, v37
	v_cndmask_b32_e64 v1, 0, v1, s0
	v_cmp_gt_i32_e64 s0, s11, v36
	v_or_b32_e32 v51, v1, v10
	;; [unrolled: 5-line block ×3, first 2 shown]
	v_cndmask_b32_e64 v49, 0, v49, s0
	v_cmp_gt_i32_e64 s0, s11, v27
	v_cndmask_b32_e64 v9, 0, v9, s0
	v_or_b32_e32 v53, v9, v49
.LBB291_864:                            ;   in Loop: Header=BB291_666 Depth=1
	s_or_b32 exec_lo, exec_lo, s13
	;;#ASMSTART
	v_pk_mul_f16 v1, v44, v55;

	;;#ASMEND
	;;#ASMSTART
	v_pk_mul_f16 v9, v41, v51;

	;;#ASMEND
	;; [unrolled: 4-line block ×4, first 2 shown]
	;;#ASMSTART
	v_pk_add_f16 v1, v1, v9;

	;;#ASMEND
	;;#ASMSTART
	v_pk_add_f16 v1, v1, v10;

	;;#ASMEND
	;; [unrolled: 4-line block ×3, first 2 shown]
	v_and_b32_e32 v9, 0xffff, v1
	v_lshrrev_b32_e32 v1, 16, v1
	;;#ASMSTART
	v_cvt_f32_f16 v48, v9;
	;;#ASMEND
	;;#ASMSTART
	v_cvt_f32_f16 v49, v1;
	;;#ASMEND
	global_load_dwordx2 v[9:10], v[7:8], off offset:768
	v_mov_b32_e32 v51, 0
	v_mov_b32_e32 v52, 0
	global_load_dword v50, v51, s[14:15]
	s_waitcnt vmcnt(1)
	v_cmp_ne_u16_sdwa s0, v9, v2 src0_sel:BYTE_0 src1_sel:DWORD
	s_and_saveexec_b32 s13, s0
	s_cbranch_execz .LBB291_872
; %bb.865:                              ;   in Loop: Header=BB291_666 Depth=1
	v_cmp_ne_u16_sdwa s0, v9, v28 src0_sel:BYTE_0 src1_sel:DWORD
	v_mov_b32_e32 v52, 0x8000
	s_and_saveexec_b32 s17, s0
	s_cbranch_execz .LBB291_871
; %bb.866:                              ;   in Loop: Header=BB291_666 Depth=1
	v_and_b32_e32 v53, 0x7f, v9
	v_mov_b32_e32 v52, 0x7c01
	s_mov_b32 s18, exec_lo
	v_cmpx_ne_u32_e32 0x7f, v53
	s_cbranch_execz .LBB291_870
; %bb.867:                              ;   in Loop: Header=BB291_666 Depth=1
	v_and_b32_e32 v1, 7, v9
	v_lshrrev_b32_e32 v52, 3, v53
	s_mov_b32 s19, exec_lo
	v_cmpx_gt_u32_e32 8, v53
; %bb.868:                              ;   in Loop: Header=BB291_666 Depth=1
	v_ffbh_u32_e32 v1, v1
	v_min_u32_e32 v1, 32, v1
	v_subrev_nc_u32_e32 v11, 28, v1
	v_sub_nc_u32_e32 v52, 29, v1
	v_lshlrev_b64 v[11:12], v11, v[9:10]
	v_and_b32_e32 v1, 7, v11
; %bb.869:                              ;   in Loop: Header=BB291_666 Depth=1
	s_or_b32 exec_lo, exec_lo, s19
	v_lshlrev_b32_e32 v11, 8, v9
	v_lshl_add_u32 v12, v52, 10, 0x2000
	v_lshlrev_b32_e32 v1, 7, v1
	v_and_b32_e32 v11, 0x8000, v11
	v_and_b32_e32 v12, 0xfc00, v12
	v_or3_b32 v52, v11, v12, v1
.LBB291_870:                            ;   in Loop: Header=BB291_666 Depth=1
	s_or_b32 exec_lo, exec_lo, s18
.LBB291_871:                            ;   in Loop: Header=BB291_666 Depth=1
	s_or_b32 exec_lo, exec_lo, s17
.LBB291_872:                            ;   in Loop: Header=BB291_666 Depth=1
	s_or_b32 exec_lo, exec_lo, s13
	v_lshrrev_b16 v1, 8, v9
	s_mov_b32 s13, exec_lo
	v_cmpx_ne_u16_e32 0, v1
	s_cbranch_execz .LBB291_880
; %bb.873:                              ;   in Loop: Header=BB291_666 Depth=1
	v_bfrev_b32_e32 v51, 1
	s_mov_b32 s17, exec_lo
	v_cmpx_ne_u16_e32 0x80, v1
	s_cbranch_execz .LBB291_879
; %bb.874:                              ;   in Loop: Header=BB291_666 Depth=1
	v_and_b32_sdwa v54, v1, v29 dst_sel:DWORD dst_unused:UNUSED_PAD src0_sel:WORD_0 src1_sel:DWORD
	v_mov_b32_e32 v51, 0x7c010000
	s_mov_b32 s18, exec_lo
	v_cmpx_ne_u32_e32 0x7f, v54
	s_cbranch_execz .LBB291_878
; %bb.875:                              ;   in Loop: Header=BB291_666 Depth=1
	v_and_b32_sdwa v51, v1, v30 dst_sel:DWORD dst_unused:UNUSED_PAD src0_sel:WORD_0 src1_sel:DWORD
	v_lshrrev_b32_e32 v53, 3, v54
	s_mov_b32 s19, exec_lo
	v_cmpx_gt_u32_e32 8, v54
; %bb.876:                              ;   in Loop: Header=BB291_666 Depth=1
	v_ffbh_u32_e32 v11, v51
	v_min_u32_e32 v51, 32, v11
	v_subrev_nc_u32_e32 v11, 28, v51
	v_sub_nc_u32_e32 v53, 29, v51
	v_lshlrev_b64 v[11:12], v11, v[1:2]
	v_and_b32_e32 v51, 7, v11
; %bb.877:                              ;   in Loop: Header=BB291_666 Depth=1
	s_or_b32 exec_lo, exec_lo, s19
	v_lshlrev_b32_sdwa v1, v31, v1 dst_sel:DWORD dst_unused:UNUSED_PAD src0_sel:DWORD src1_sel:WORD_0
	v_lshl_add_u32 v11, v53, 10, 0x2000
	v_and_or_b32 v1, 0x8000, v1, v11
	v_lshlrev_b32_e32 v11, 23, v51
	v_lshl_or_b32 v51, v1, 16, v11
.LBB291_878:                            ;   in Loop: Header=BB291_666 Depth=1
	s_or_b32 exec_lo, exec_lo, s18
.LBB291_879:                            ;   in Loop: Header=BB291_666 Depth=1
	s_or_b32 exec_lo, exec_lo, s17
.LBB291_880:                            ;   in Loop: Header=BB291_666 Depth=1
	s_or_b32 exec_lo, exec_lo, s13
	v_lshrrev_b32_e32 v1, 16, v9
	v_mov_b32_e32 v53, 0
	v_mov_b32_e32 v54, 0
	v_cmp_ne_u16_sdwa s0, v1, v2 src0_sel:BYTE_0 src1_sel:DWORD
	s_and_saveexec_b32 s13, s0
	s_cbranch_execz .LBB291_888
; %bb.881:                              ;   in Loop: Header=BB291_666 Depth=1
	v_cmp_ne_u16_sdwa s0, v1, v28 src0_sel:BYTE_0 src1_sel:DWORD
	v_mov_b32_e32 v54, 0x8000
	s_and_saveexec_b32 s17, s0
	s_cbranch_execz .LBB291_887
; %bb.882:                              ;   in Loop: Header=BB291_666 Depth=1
	v_bfe_u32 v56, v9, 16, 7
	v_mov_b32_e32 v54, 0x7c01
	s_mov_b32 s18, exec_lo
	v_cmpx_ne_u32_e32 0x7f, v56
	s_cbranch_execz .LBB291_886
; %bb.883:                              ;   in Loop: Header=BB291_666 Depth=1
	v_and_b32_e32 v54, 7, v1
	v_lshrrev_b32_e32 v55, 3, v56
	s_mov_b32 s19, exec_lo
	v_cmpx_gt_u32_e32 8, v56
; %bb.884:                              ;   in Loop: Header=BB291_666 Depth=1
	v_ffbh_u32_e32 v11, v54
	v_min_u32_e32 v54, 32, v11
	v_subrev_nc_u32_e32 v11, 28, v54
	v_sub_nc_u32_e32 v55, 29, v54
	v_lshlrev_b64 v[11:12], v11, v[1:2]
	v_and_b32_e32 v54, 7, v11
; %bb.885:                              ;   in Loop: Header=BB291_666 Depth=1
	s_or_b32 exec_lo, exec_lo, s19
	v_lshlrev_b32_e32 v1, 8, v1
	v_lshl_add_u32 v11, v55, 10, 0x2000
	v_lshlrev_b32_e32 v12, 7, v54
	v_and_b32_e32 v1, 0x8000, v1
	v_and_b32_e32 v11, 0xfc00, v11
	v_or3_b32 v54, v1, v11, v12
.LBB291_886:                            ;   in Loop: Header=BB291_666 Depth=1
	s_or_b32 exec_lo, exec_lo, s18
.LBB291_887:                            ;   in Loop: Header=BB291_666 Depth=1
	s_or_b32 exec_lo, exec_lo, s17
.LBB291_888:                            ;   in Loop: Header=BB291_666 Depth=1
	s_or_b32 exec_lo, exec_lo, s13
	s_mov_b32 s13, exec_lo
	v_cmpx_lt_u32_e32 0xffffff, v9
	s_cbranch_execz .LBB291_896
; %bb.889:                              ;   in Loop: Header=BB291_666 Depth=1
	v_lshrrev_b32_e32 v1, 24, v9
	v_bfrev_b32_e32 v53, 1
	s_mov_b32 s17, exec_lo
	v_cmpx_ne_u32_e32 0x80, v1
	s_cbranch_execz .LBB291_895
; %bb.890:                              ;   in Loop: Header=BB291_666 Depth=1
	v_and_b32_e32 v56, 0x7f, v1
	v_mov_b32_e32 v53, 0x7c010000
	s_mov_b32 s18, exec_lo
	v_cmpx_ne_u32_e32 0x7f, v56
	s_cbranch_execz .LBB291_894
; %bb.891:                              ;   in Loop: Header=BB291_666 Depth=1
	v_and_b32_e32 v53, 7, v1
	v_lshrrev_b32_e32 v55, 3, v56
	s_mov_b32 s19, exec_lo
	v_cmpx_gt_u32_e32 8, v56
; %bb.892:                              ;   in Loop: Header=BB291_666 Depth=1
	v_ffbh_u32_e32 v11, v53
	v_min_u32_e32 v53, 32, v11
	v_subrev_nc_u32_e32 v11, 28, v53
	v_sub_nc_u32_e32 v55, 29, v53
	v_lshlrev_b64 v[11:12], v11, v[1:2]
	v_and_b32_e32 v53, 7, v11
; %bb.893:                              ;   in Loop: Header=BB291_666 Depth=1
	s_or_b32 exec_lo, exec_lo, s19
	v_lshlrev_b32_e32 v1, 8, v1
	v_lshl_add_u32 v11, v55, 10, 0x2000
	v_and_or_b32 v1, 0x8000, v1, v11
	v_lshlrev_b32_e32 v11, 23, v53
	v_lshl_or_b32 v53, v1, 16, v11
.LBB291_894:                            ;   in Loop: Header=BB291_666 Depth=1
	s_or_b32 exec_lo, exec_lo, s18
.LBB291_895:                            ;   in Loop: Header=BB291_666 Depth=1
	s_or_b32 exec_lo, exec_lo, s17
.LBB291_896:                            ;   in Loop: Header=BB291_666 Depth=1
	s_or_b32 exec_lo, exec_lo, s13
	v_mov_b32_e32 v1, v10
	v_cmp_ne_u16_sdwa s0, v10, v2 src0_sel:BYTE_0 src1_sel:DWORD
	v_mov_b32_e32 v55, 0
	v_mov_b32_e32 v56, 0
	s_and_saveexec_b32 s13, s0
	s_cbranch_execz .LBB291_904
; %bb.897:                              ;   in Loop: Header=BB291_666 Depth=1
	v_cmp_ne_u16_sdwa s0, v10, v28 src0_sel:BYTE_0 src1_sel:DWORD
	v_mov_b32_e32 v56, 0x8000
	s_and_saveexec_b32 s17, s0
	s_cbranch_execz .LBB291_903
; %bb.898:                              ;   in Loop: Header=BB291_666 Depth=1
	v_and_b32_e32 v58, 0x7f, v10
	v_mov_b32_e32 v56, 0x7c01
	s_mov_b32 s18, exec_lo
	v_cmpx_ne_u32_e32 0x7f, v58
	s_cbranch_execz .LBB291_902
; %bb.899:                              ;   in Loop: Header=BB291_666 Depth=1
	v_and_b32_e32 v56, 7, v10
	v_lshrrev_b32_e32 v57, 3, v58
	s_mov_b32 s19, exec_lo
	v_cmpx_gt_u32_e32 8, v58
; %bb.900:                              ;   in Loop: Header=BB291_666 Depth=1
	v_ffbh_u32_e32 v11, v56
	v_min_u32_e32 v56, 32, v11
	v_subrev_nc_u32_e32 v11, 28, v56
	v_sub_nc_u32_e32 v57, 29, v56
	v_lshlrev_b64 v[11:12], v11, v[1:2]
	v_and_b32_e32 v56, 7, v11
; %bb.901:                              ;   in Loop: Header=BB291_666 Depth=1
	s_or_b32 exec_lo, exec_lo, s19
	v_lshlrev_b32_e32 v11, 8, v10
	v_lshl_add_u32 v12, v57, 10, 0x2000
	v_lshlrev_b32_e32 v56, 7, v56
	v_and_b32_e32 v11, 0x8000, v11
	v_and_b32_e32 v12, 0xfc00, v12
	v_or3_b32 v56, v11, v12, v56
.LBB291_902:                            ;   in Loop: Header=BB291_666 Depth=1
	s_or_b32 exec_lo, exec_lo, s18
.LBB291_903:                            ;   in Loop: Header=BB291_666 Depth=1
	s_or_b32 exec_lo, exec_lo, s17
.LBB291_904:                            ;   in Loop: Header=BB291_666 Depth=1
	s_or_b32 exec_lo, exec_lo, s13
	v_lshrrev_b16 v1, 8, v1
	v_mov_b32_e32 v57, 0
	s_mov_b32 s13, exec_lo
	v_cmpx_ne_u16_e32 0, v1
	s_cbranch_execz .LBB291_912
; %bb.905:                              ;   in Loop: Header=BB291_666 Depth=1
	v_bfrev_b32_e32 v57, 1
	s_mov_b32 s17, exec_lo
	v_cmpx_ne_u16_e32 0x80, v1
	s_cbranch_execz .LBB291_911
; %bb.906:                              ;   in Loop: Header=BB291_666 Depth=1
	v_and_b32_sdwa v59, v1, v29 dst_sel:DWORD dst_unused:UNUSED_PAD src0_sel:WORD_0 src1_sel:DWORD
	v_mov_b32_e32 v57, 0x7c010000
	s_mov_b32 s18, exec_lo
	v_cmpx_ne_u32_e32 0x7f, v59
	s_cbranch_execz .LBB291_910
; %bb.907:                              ;   in Loop: Header=BB291_666 Depth=1
	v_and_b32_sdwa v57, v1, v30 dst_sel:DWORD dst_unused:UNUSED_PAD src0_sel:WORD_0 src1_sel:DWORD
	v_lshrrev_b32_e32 v58, 3, v59
	s_mov_b32 s19, exec_lo
	v_cmpx_gt_u32_e32 8, v59
; %bb.908:                              ;   in Loop: Header=BB291_666 Depth=1
	v_ffbh_u32_e32 v11, v57
	v_min_u32_e32 v57, 32, v11
	v_subrev_nc_u32_e32 v11, 28, v57
	v_sub_nc_u32_e32 v58, 29, v57
	v_lshlrev_b64 v[11:12], v11, v[1:2]
	v_and_b32_e32 v57, 7, v11
; %bb.909:                              ;   in Loop: Header=BB291_666 Depth=1
	s_or_b32 exec_lo, exec_lo, s19
	v_lshlrev_b32_sdwa v1, v31, v1 dst_sel:DWORD dst_unused:UNUSED_PAD src0_sel:DWORD src1_sel:WORD_0
	v_lshl_add_u32 v11, v58, 10, 0x2000
	v_and_or_b32 v1, 0x8000, v1, v11
	v_lshlrev_b32_e32 v11, 23, v57
	v_lshl_or_b32 v57, v1, 16, v11
.LBB291_910:                            ;   in Loop: Header=BB291_666 Depth=1
	s_or_b32 exec_lo, exec_lo, s18
.LBB291_911:                            ;   in Loop: Header=BB291_666 Depth=1
	s_or_b32 exec_lo, exec_lo, s17
.LBB291_912:                            ;   in Loop: Header=BB291_666 Depth=1
	s_or_b32 exec_lo, exec_lo, s13
	v_lshrrev_b32_e32 v1, 16, v10
	v_cmp_ne_u16_sdwa s0, v1, v2 src0_sel:BYTE_0 src1_sel:DWORD
	s_and_saveexec_b32 s13, s0
	s_cbranch_execz .LBB291_920
; %bb.913:                              ;   in Loop: Header=BB291_666 Depth=1
	v_cmp_ne_u16_sdwa s0, v1, v28 src0_sel:BYTE_0 src1_sel:DWORD
	v_mov_b32_e32 v55, 0x8000
	s_and_saveexec_b32 s17, s0
	s_cbranch_execz .LBB291_919
; %bb.914:                              ;   in Loop: Header=BB291_666 Depth=1
	v_bfe_u32 v59, v10, 16, 7
	v_mov_b32_e32 v55, 0x7c01
	s_mov_b32 s18, exec_lo
	v_cmpx_ne_u32_e32 0x7f, v59
	s_cbranch_execz .LBB291_918
; %bb.915:                              ;   in Loop: Header=BB291_666 Depth=1
	v_and_b32_e32 v55, 7, v1
	v_lshrrev_b32_e32 v58, 3, v59
	s_mov_b32 s19, exec_lo
	v_cmpx_gt_u32_e32 8, v59
; %bb.916:                              ;   in Loop: Header=BB291_666 Depth=1
	v_ffbh_u32_e32 v11, v55
	v_min_u32_e32 v55, 32, v11
	v_subrev_nc_u32_e32 v11, 28, v55
	v_sub_nc_u32_e32 v58, 29, v55
	v_lshlrev_b64 v[11:12], v11, v[1:2]
	v_and_b32_e32 v55, 7, v11
; %bb.917:                              ;   in Loop: Header=BB291_666 Depth=1
	s_or_b32 exec_lo, exec_lo, s19
	v_lshlrev_b32_e32 v1, 8, v1
	v_lshl_add_u32 v11, v58, 10, 0x2000
	v_lshlrev_b32_e32 v12, 7, v55
	v_and_b32_e32 v1, 0x8000, v1
	v_and_b32_e32 v11, 0xfc00, v11
	v_or3_b32 v55, v1, v11, v12
.LBB291_918:                            ;   in Loop: Header=BB291_666 Depth=1
	s_or_b32 exec_lo, exec_lo, s18
.LBB291_919:                            ;   in Loop: Header=BB291_666 Depth=1
	s_or_b32 exec_lo, exec_lo, s17
.LBB291_920:                            ;   in Loop: Header=BB291_666 Depth=1
	s_or_b32 exec_lo, exec_lo, s13
	v_cmp_lt_u64_e64 s0, s[2:3], v[9:10]
	v_mov_b32_e32 v9, 0
	s_and_saveexec_b32 s13, s0
	s_cbranch_execz .LBB291_928
; %bb.921:                              ;   in Loop: Header=BB291_666 Depth=1
	v_lshrrev_b32_e32 v1, 24, v10
	v_bfrev_b32_e32 v9, 1
	s_mov_b32 s17, exec_lo
	v_cmpx_ne_u32_e32 0x80, v1
	s_cbranch_execz .LBB291_927
; %bb.922:                              ;   in Loop: Header=BB291_666 Depth=1
	v_and_b32_e32 v58, 0x7f, v1
	v_mov_b32_e32 v9, 0x7c010000
	s_mov_b32 s18, exec_lo
	v_cmpx_ne_u32_e32 0x7f, v58
	s_cbranch_execz .LBB291_926
; %bb.923:                              ;   in Loop: Header=BB291_666 Depth=1
	v_and_b32_e32 v9, 7, v1
	v_lshrrev_b32_e32 v10, 3, v58
	s_mov_b32 s19, exec_lo
	v_cmpx_gt_u32_e32 8, v58
; %bb.924:                              ;   in Loop: Header=BB291_666 Depth=1
	v_ffbh_u32_e32 v9, v9
	v_min_u32_e32 v11, 32, v9
	v_subrev_nc_u32_e32 v9, 28, v11
	v_lshlrev_b64 v[9:10], v9, v[1:2]
	v_sub_nc_u32_e32 v10, 29, v11
	v_and_b32_e32 v9, 7, v9
; %bb.925:                              ;   in Loop: Header=BB291_666 Depth=1
	s_or_b32 exec_lo, exec_lo, s19
	v_lshlrev_b32_e32 v1, 8, v1
	v_lshl_add_u32 v10, v10, 10, 0x2000
	v_lshlrev_b32_e32 v9, 23, v9
	v_and_or_b32 v1, 0x8000, v1, v10
	v_lshl_or_b32 v9, v1, 16, v9
.LBB291_926:                            ;   in Loop: Header=BB291_666 Depth=1
	s_or_b32 exec_lo, exec_lo, s18
.LBB291_927:                            ;   in Loop: Header=BB291_666 Depth=1
	s_or_b32 exec_lo, exec_lo, s17
.LBB291_928:                            ;   in Loop: Header=BB291_666 Depth=1
	s_or_b32 exec_lo, exec_lo, s13
	v_or_b32_e32 v1, v53, v54
	s_waitcnt vmcnt(0)
	v_fma_mixlo_f16 v10, v50, v53, 0 op_sel:[0,1,0] op_sel_hi:[0,1,0]
	v_or_b32_e32 v11, v51, v52
	v_fma_mixlo_f16 v12, v50, v51, 0 op_sel:[0,1,0] op_sel_hi:[0,1,0]
	v_or_b32_e32 v51, v57, v56
	v_fma_mixlo_f16 v53, v50, v1, 0 op_sel_hi:[0,1,0]
	v_or_b32_e32 v54, v9, v55
	v_lshlrev_b32_e32 v1, 16, v10
	v_lshlrev_b32_e32 v52, 16, v12
	v_fma_mixlo_f16 v11, v50, v11, 0 op_sel_hi:[0,1,0]
	v_and_b32_e32 v10, 0xffff, v53
	v_fma_mixlo_f16 v12, v50, v57, 0 op_sel:[0,1,0] op_sel_hi:[0,1,0]
	v_fma_mixlo_f16 v51, v50, v51, 0 op_sel_hi:[0,1,0]
	v_fma_mixlo_f16 v9, v50, v9, 0 op_sel:[0,1,0] op_sel_hi:[0,1,0]
	v_fma_mixlo_f16 v53, v50, v54, 0 op_sel_hi:[0,1,0]
	v_and_b32_e32 v58, 0xffff, v11
	v_lshlrev_b32_e32 v50, 16, v12
	v_and_b32_e32 v54, 0xffff, v51
	v_lshlrev_b32_e32 v9, 16, v9
	v_and_b32_e32 v51, 0xffff, v53
	v_or_b32_e32 v53, v1, v10
	v_or_b32_e32 v57, v52, v58
	;; [unrolled: 1-line block ×4, first 2 shown]
	s_and_saveexec_b32 s13, vcc_lo
	s_cbranch_execz .LBB291_930
; %bb.929:                              ;   in Loop: Header=BB291_666 Depth=1
	v_cmp_gt_i32_e64 s0, s11, v33
	v_cndmask_b32_e64 v11, 0, v58, s0
	v_cmp_gt_i32_e64 s0, s11, v42
	v_cndmask_b32_e64 v12, 0, v52, s0
	v_cmp_gt_i32_e64 s0, s11, v39
	v_or_b32_e32 v57, v12, v11
	v_cndmask_b32_e64 v10, 0, v10, s0
	v_cmp_gt_i32_e64 s0, s11, v37
	v_cndmask_b32_e64 v1, 0, v1, s0
	v_cmp_gt_i32_e64 s0, s11, v36
	v_or_b32_e32 v53, v1, v10
	;; [unrolled: 5-line block ×3, first 2 shown]
	v_cndmask_b32_e64 v51, 0, v51, s0
	v_cmp_gt_i32_e64 s0, s11, v27
	v_cndmask_b32_e64 v9, 0, v9, s0
	v_or_b32_e32 v55, v9, v51
.LBB291_930:                            ;   in Loop: Header=BB291_666 Depth=1
	s_or_b32 exec_lo, exec_lo, s13
	;;#ASMSTART
	v_pk_mul_f16 v1, v44, v57;

	;;#ASMEND
	;;#ASMSTART
	v_pk_mul_f16 v9, v41, v53;

	;;#ASMEND
	;; [unrolled: 4-line block ×4, first 2 shown]
	;;#ASMSTART
	v_pk_add_f16 v1, v1, v9;

	;;#ASMEND
	;;#ASMSTART
	v_pk_add_f16 v1, v1, v10;

	;;#ASMEND
	;; [unrolled: 4-line block ×3, first 2 shown]
	v_and_b32_e32 v9, 0xffff, v1
	v_lshrrev_b32_e32 v1, 16, v1
	;;#ASMSTART
	v_cvt_f32_f16 v50, v9;
	;;#ASMEND
	;;#ASMSTART
	v_cvt_f32_f16 v51, v1;
	;;#ASMEND
	global_load_dwordx2 v[9:10], v[7:8], off offset:1024
	v_mov_b32_e32 v53, 0
	v_mov_b32_e32 v54, 0
	global_load_dword v52, v53, s[14:15]
	s_waitcnt vmcnt(1)
	v_cmp_ne_u16_sdwa s0, v9, v2 src0_sel:BYTE_0 src1_sel:DWORD
	s_and_saveexec_b32 s13, s0
	s_cbranch_execz .LBB291_938
; %bb.931:                              ;   in Loop: Header=BB291_666 Depth=1
	v_cmp_ne_u16_sdwa s0, v9, v28 src0_sel:BYTE_0 src1_sel:DWORD
	v_mov_b32_e32 v54, 0x8000
	s_and_saveexec_b32 s17, s0
	s_cbranch_execz .LBB291_937
; %bb.932:                              ;   in Loop: Header=BB291_666 Depth=1
	v_and_b32_e32 v55, 0x7f, v9
	v_mov_b32_e32 v54, 0x7c01
	s_mov_b32 s18, exec_lo
	v_cmpx_ne_u32_e32 0x7f, v55
	s_cbranch_execz .LBB291_936
; %bb.933:                              ;   in Loop: Header=BB291_666 Depth=1
	v_and_b32_e32 v1, 7, v9
	v_lshrrev_b32_e32 v54, 3, v55
	s_mov_b32 s19, exec_lo
	v_cmpx_gt_u32_e32 8, v55
; %bb.934:                              ;   in Loop: Header=BB291_666 Depth=1
	v_ffbh_u32_e32 v1, v1
	v_min_u32_e32 v1, 32, v1
	v_subrev_nc_u32_e32 v11, 28, v1
	v_sub_nc_u32_e32 v54, 29, v1
	v_lshlrev_b64 v[11:12], v11, v[9:10]
	v_and_b32_e32 v1, 7, v11
; %bb.935:                              ;   in Loop: Header=BB291_666 Depth=1
	s_or_b32 exec_lo, exec_lo, s19
	v_lshlrev_b32_e32 v11, 8, v9
	v_lshl_add_u32 v12, v54, 10, 0x2000
	v_lshlrev_b32_e32 v1, 7, v1
	v_and_b32_e32 v11, 0x8000, v11
	v_and_b32_e32 v12, 0xfc00, v12
	v_or3_b32 v54, v11, v12, v1
.LBB291_936:                            ;   in Loop: Header=BB291_666 Depth=1
	s_or_b32 exec_lo, exec_lo, s18
.LBB291_937:                            ;   in Loop: Header=BB291_666 Depth=1
	s_or_b32 exec_lo, exec_lo, s17
.LBB291_938:                            ;   in Loop: Header=BB291_666 Depth=1
	s_or_b32 exec_lo, exec_lo, s13
	v_lshrrev_b16 v1, 8, v9
	s_mov_b32 s13, exec_lo
	v_cmpx_ne_u16_e32 0, v1
	s_cbranch_execz .LBB291_946
; %bb.939:                              ;   in Loop: Header=BB291_666 Depth=1
	v_bfrev_b32_e32 v53, 1
	s_mov_b32 s17, exec_lo
	v_cmpx_ne_u16_e32 0x80, v1
	s_cbranch_execz .LBB291_945
; %bb.940:                              ;   in Loop: Header=BB291_666 Depth=1
	v_and_b32_sdwa v56, v1, v29 dst_sel:DWORD dst_unused:UNUSED_PAD src0_sel:WORD_0 src1_sel:DWORD
	v_mov_b32_e32 v53, 0x7c010000
	s_mov_b32 s18, exec_lo
	v_cmpx_ne_u32_e32 0x7f, v56
	s_cbranch_execz .LBB291_944
; %bb.941:                              ;   in Loop: Header=BB291_666 Depth=1
	v_and_b32_sdwa v53, v1, v30 dst_sel:DWORD dst_unused:UNUSED_PAD src0_sel:WORD_0 src1_sel:DWORD
	v_lshrrev_b32_e32 v55, 3, v56
	s_mov_b32 s19, exec_lo
	v_cmpx_gt_u32_e32 8, v56
; %bb.942:                              ;   in Loop: Header=BB291_666 Depth=1
	v_ffbh_u32_e32 v11, v53
	v_min_u32_e32 v53, 32, v11
	v_subrev_nc_u32_e32 v11, 28, v53
	v_sub_nc_u32_e32 v55, 29, v53
	v_lshlrev_b64 v[11:12], v11, v[1:2]
	v_and_b32_e32 v53, 7, v11
; %bb.943:                              ;   in Loop: Header=BB291_666 Depth=1
	s_or_b32 exec_lo, exec_lo, s19
	v_lshlrev_b32_sdwa v1, v31, v1 dst_sel:DWORD dst_unused:UNUSED_PAD src0_sel:DWORD src1_sel:WORD_0
	v_lshl_add_u32 v11, v55, 10, 0x2000
	v_and_or_b32 v1, 0x8000, v1, v11
	v_lshlrev_b32_e32 v11, 23, v53
	v_lshl_or_b32 v53, v1, 16, v11
.LBB291_944:                            ;   in Loop: Header=BB291_666 Depth=1
	s_or_b32 exec_lo, exec_lo, s18
.LBB291_945:                            ;   in Loop: Header=BB291_666 Depth=1
	s_or_b32 exec_lo, exec_lo, s17
.LBB291_946:                            ;   in Loop: Header=BB291_666 Depth=1
	s_or_b32 exec_lo, exec_lo, s13
	v_lshrrev_b32_e32 v1, 16, v9
	v_mov_b32_e32 v55, 0
	v_mov_b32_e32 v56, 0
	v_cmp_ne_u16_sdwa s0, v1, v2 src0_sel:BYTE_0 src1_sel:DWORD
	s_and_saveexec_b32 s13, s0
	s_cbranch_execz .LBB291_954
; %bb.947:                              ;   in Loop: Header=BB291_666 Depth=1
	v_cmp_ne_u16_sdwa s0, v1, v28 src0_sel:BYTE_0 src1_sel:DWORD
	v_mov_b32_e32 v56, 0x8000
	s_and_saveexec_b32 s17, s0
	s_cbranch_execz .LBB291_953
; %bb.948:                              ;   in Loop: Header=BB291_666 Depth=1
	v_bfe_u32 v58, v9, 16, 7
	v_mov_b32_e32 v56, 0x7c01
	s_mov_b32 s18, exec_lo
	v_cmpx_ne_u32_e32 0x7f, v58
	s_cbranch_execz .LBB291_952
; %bb.949:                              ;   in Loop: Header=BB291_666 Depth=1
	v_and_b32_e32 v56, 7, v1
	v_lshrrev_b32_e32 v57, 3, v58
	s_mov_b32 s19, exec_lo
	v_cmpx_gt_u32_e32 8, v58
; %bb.950:                              ;   in Loop: Header=BB291_666 Depth=1
	v_ffbh_u32_e32 v11, v56
	v_min_u32_e32 v56, 32, v11
	v_subrev_nc_u32_e32 v11, 28, v56
	v_sub_nc_u32_e32 v57, 29, v56
	v_lshlrev_b64 v[11:12], v11, v[1:2]
	v_and_b32_e32 v56, 7, v11
; %bb.951:                              ;   in Loop: Header=BB291_666 Depth=1
	s_or_b32 exec_lo, exec_lo, s19
	v_lshlrev_b32_e32 v1, 8, v1
	v_lshl_add_u32 v11, v57, 10, 0x2000
	v_lshlrev_b32_e32 v12, 7, v56
	v_and_b32_e32 v1, 0x8000, v1
	v_and_b32_e32 v11, 0xfc00, v11
	v_or3_b32 v56, v1, v11, v12
.LBB291_952:                            ;   in Loop: Header=BB291_666 Depth=1
	s_or_b32 exec_lo, exec_lo, s18
.LBB291_953:                            ;   in Loop: Header=BB291_666 Depth=1
	s_or_b32 exec_lo, exec_lo, s17
.LBB291_954:                            ;   in Loop: Header=BB291_666 Depth=1
	s_or_b32 exec_lo, exec_lo, s13
	s_mov_b32 s13, exec_lo
	v_cmpx_lt_u32_e32 0xffffff, v9
	s_cbranch_execz .LBB291_962
; %bb.955:                              ;   in Loop: Header=BB291_666 Depth=1
	v_lshrrev_b32_e32 v1, 24, v9
	v_bfrev_b32_e32 v55, 1
	s_mov_b32 s17, exec_lo
	v_cmpx_ne_u32_e32 0x80, v1
	s_cbranch_execz .LBB291_961
; %bb.956:                              ;   in Loop: Header=BB291_666 Depth=1
	v_and_b32_e32 v58, 0x7f, v1
	v_mov_b32_e32 v55, 0x7c010000
	s_mov_b32 s18, exec_lo
	v_cmpx_ne_u32_e32 0x7f, v58
	s_cbranch_execz .LBB291_960
; %bb.957:                              ;   in Loop: Header=BB291_666 Depth=1
	v_and_b32_e32 v55, 7, v1
	v_lshrrev_b32_e32 v57, 3, v58
	s_mov_b32 s19, exec_lo
	v_cmpx_gt_u32_e32 8, v58
; %bb.958:                              ;   in Loop: Header=BB291_666 Depth=1
	v_ffbh_u32_e32 v11, v55
	v_min_u32_e32 v55, 32, v11
	v_subrev_nc_u32_e32 v11, 28, v55
	v_sub_nc_u32_e32 v57, 29, v55
	v_lshlrev_b64 v[11:12], v11, v[1:2]
	v_and_b32_e32 v55, 7, v11
; %bb.959:                              ;   in Loop: Header=BB291_666 Depth=1
	s_or_b32 exec_lo, exec_lo, s19
	v_lshlrev_b32_e32 v1, 8, v1
	v_lshl_add_u32 v11, v57, 10, 0x2000
	v_and_or_b32 v1, 0x8000, v1, v11
	v_lshlrev_b32_e32 v11, 23, v55
	v_lshl_or_b32 v55, v1, 16, v11
.LBB291_960:                            ;   in Loop: Header=BB291_666 Depth=1
	s_or_b32 exec_lo, exec_lo, s18
.LBB291_961:                            ;   in Loop: Header=BB291_666 Depth=1
	s_or_b32 exec_lo, exec_lo, s17
.LBB291_962:                            ;   in Loop: Header=BB291_666 Depth=1
	s_or_b32 exec_lo, exec_lo, s13
	v_mov_b32_e32 v1, v10
	v_cmp_ne_u16_sdwa s0, v10, v2 src0_sel:BYTE_0 src1_sel:DWORD
	v_mov_b32_e32 v57, 0
	v_mov_b32_e32 v58, 0
	s_and_saveexec_b32 s13, s0
	s_cbranch_execz .LBB291_970
; %bb.963:                              ;   in Loop: Header=BB291_666 Depth=1
	v_cmp_ne_u16_sdwa s0, v10, v28 src0_sel:BYTE_0 src1_sel:DWORD
	v_mov_b32_e32 v58, 0x8000
	s_and_saveexec_b32 s17, s0
	s_cbranch_execz .LBB291_969
; %bb.964:                              ;   in Loop: Header=BB291_666 Depth=1
	v_and_b32_e32 v60, 0x7f, v10
	v_mov_b32_e32 v58, 0x7c01
	s_mov_b32 s18, exec_lo
	v_cmpx_ne_u32_e32 0x7f, v60
	s_cbranch_execz .LBB291_968
; %bb.965:                              ;   in Loop: Header=BB291_666 Depth=1
	v_and_b32_e32 v58, 7, v10
	v_lshrrev_b32_e32 v59, 3, v60
	s_mov_b32 s19, exec_lo
	v_cmpx_gt_u32_e32 8, v60
; %bb.966:                              ;   in Loop: Header=BB291_666 Depth=1
	v_ffbh_u32_e32 v11, v58
	v_min_u32_e32 v58, 32, v11
	v_subrev_nc_u32_e32 v11, 28, v58
	v_sub_nc_u32_e32 v59, 29, v58
	v_lshlrev_b64 v[11:12], v11, v[1:2]
	v_and_b32_e32 v58, 7, v11
; %bb.967:                              ;   in Loop: Header=BB291_666 Depth=1
	s_or_b32 exec_lo, exec_lo, s19
	v_lshlrev_b32_e32 v11, 8, v10
	v_lshl_add_u32 v12, v59, 10, 0x2000
	v_lshlrev_b32_e32 v58, 7, v58
	v_and_b32_e32 v11, 0x8000, v11
	v_and_b32_e32 v12, 0xfc00, v12
	v_or3_b32 v58, v11, v12, v58
.LBB291_968:                            ;   in Loop: Header=BB291_666 Depth=1
	s_or_b32 exec_lo, exec_lo, s18
.LBB291_969:                            ;   in Loop: Header=BB291_666 Depth=1
	s_or_b32 exec_lo, exec_lo, s17
.LBB291_970:                            ;   in Loop: Header=BB291_666 Depth=1
	s_or_b32 exec_lo, exec_lo, s13
	v_lshrrev_b16 v1, 8, v1
	v_mov_b32_e32 v59, 0
	s_mov_b32 s13, exec_lo
	v_cmpx_ne_u16_e32 0, v1
	s_cbranch_execz .LBB291_978
; %bb.971:                              ;   in Loop: Header=BB291_666 Depth=1
	v_bfrev_b32_e32 v59, 1
	s_mov_b32 s17, exec_lo
	v_cmpx_ne_u16_e32 0x80, v1
	s_cbranch_execz .LBB291_977
; %bb.972:                              ;   in Loop: Header=BB291_666 Depth=1
	v_and_b32_sdwa v61, v1, v29 dst_sel:DWORD dst_unused:UNUSED_PAD src0_sel:WORD_0 src1_sel:DWORD
	v_mov_b32_e32 v59, 0x7c010000
	s_mov_b32 s18, exec_lo
	v_cmpx_ne_u32_e32 0x7f, v61
	s_cbranch_execz .LBB291_976
; %bb.973:                              ;   in Loop: Header=BB291_666 Depth=1
	v_and_b32_sdwa v59, v1, v30 dst_sel:DWORD dst_unused:UNUSED_PAD src0_sel:WORD_0 src1_sel:DWORD
	v_lshrrev_b32_e32 v60, 3, v61
	s_mov_b32 s19, exec_lo
	v_cmpx_gt_u32_e32 8, v61
; %bb.974:                              ;   in Loop: Header=BB291_666 Depth=1
	v_ffbh_u32_e32 v11, v59
	v_min_u32_e32 v59, 32, v11
	v_subrev_nc_u32_e32 v11, 28, v59
	v_sub_nc_u32_e32 v60, 29, v59
	v_lshlrev_b64 v[11:12], v11, v[1:2]
	v_and_b32_e32 v59, 7, v11
; %bb.975:                              ;   in Loop: Header=BB291_666 Depth=1
	s_or_b32 exec_lo, exec_lo, s19
	v_lshlrev_b32_sdwa v1, v31, v1 dst_sel:DWORD dst_unused:UNUSED_PAD src0_sel:DWORD src1_sel:WORD_0
	v_lshl_add_u32 v11, v60, 10, 0x2000
	v_and_or_b32 v1, 0x8000, v1, v11
	v_lshlrev_b32_e32 v11, 23, v59
	v_lshl_or_b32 v59, v1, 16, v11
.LBB291_976:                            ;   in Loop: Header=BB291_666 Depth=1
	s_or_b32 exec_lo, exec_lo, s18
.LBB291_977:                            ;   in Loop: Header=BB291_666 Depth=1
	s_or_b32 exec_lo, exec_lo, s17
.LBB291_978:                            ;   in Loop: Header=BB291_666 Depth=1
	s_or_b32 exec_lo, exec_lo, s13
	v_lshrrev_b32_e32 v1, 16, v10
	v_cmp_ne_u16_sdwa s0, v1, v2 src0_sel:BYTE_0 src1_sel:DWORD
	s_and_saveexec_b32 s13, s0
	s_cbranch_execz .LBB291_986
; %bb.979:                              ;   in Loop: Header=BB291_666 Depth=1
	v_cmp_ne_u16_sdwa s0, v1, v28 src0_sel:BYTE_0 src1_sel:DWORD
	v_mov_b32_e32 v57, 0x8000
	s_and_saveexec_b32 s17, s0
	s_cbranch_execz .LBB291_985
; %bb.980:                              ;   in Loop: Header=BB291_666 Depth=1
	v_bfe_u32 v61, v10, 16, 7
	v_mov_b32_e32 v57, 0x7c01
	s_mov_b32 s18, exec_lo
	v_cmpx_ne_u32_e32 0x7f, v61
	s_cbranch_execz .LBB291_984
; %bb.981:                              ;   in Loop: Header=BB291_666 Depth=1
	v_and_b32_e32 v57, 7, v1
	v_lshrrev_b32_e32 v60, 3, v61
	s_mov_b32 s19, exec_lo
	v_cmpx_gt_u32_e32 8, v61
; %bb.982:                              ;   in Loop: Header=BB291_666 Depth=1
	v_ffbh_u32_e32 v11, v57
	v_min_u32_e32 v57, 32, v11
	v_subrev_nc_u32_e32 v11, 28, v57
	v_sub_nc_u32_e32 v60, 29, v57
	v_lshlrev_b64 v[11:12], v11, v[1:2]
	v_and_b32_e32 v57, 7, v11
; %bb.983:                              ;   in Loop: Header=BB291_666 Depth=1
	s_or_b32 exec_lo, exec_lo, s19
	v_lshlrev_b32_e32 v1, 8, v1
	v_lshl_add_u32 v11, v60, 10, 0x2000
	v_lshlrev_b32_e32 v12, 7, v57
	v_and_b32_e32 v1, 0x8000, v1
	v_and_b32_e32 v11, 0xfc00, v11
	v_or3_b32 v57, v1, v11, v12
.LBB291_984:                            ;   in Loop: Header=BB291_666 Depth=1
	s_or_b32 exec_lo, exec_lo, s18
.LBB291_985:                            ;   in Loop: Header=BB291_666 Depth=1
	s_or_b32 exec_lo, exec_lo, s17
.LBB291_986:                            ;   in Loop: Header=BB291_666 Depth=1
	s_or_b32 exec_lo, exec_lo, s13
	v_cmp_lt_u64_e64 s0, s[2:3], v[9:10]
	v_mov_b32_e32 v9, 0
	s_and_saveexec_b32 s13, s0
	s_cbranch_execz .LBB291_994
; %bb.987:                              ;   in Loop: Header=BB291_666 Depth=1
	v_lshrrev_b32_e32 v1, 24, v10
	v_bfrev_b32_e32 v9, 1
	s_mov_b32 s17, exec_lo
	v_cmpx_ne_u32_e32 0x80, v1
	s_cbranch_execz .LBB291_993
; %bb.988:                              ;   in Loop: Header=BB291_666 Depth=1
	v_and_b32_e32 v60, 0x7f, v1
	v_mov_b32_e32 v9, 0x7c010000
	s_mov_b32 s18, exec_lo
	v_cmpx_ne_u32_e32 0x7f, v60
	s_cbranch_execz .LBB291_992
; %bb.989:                              ;   in Loop: Header=BB291_666 Depth=1
	v_and_b32_e32 v9, 7, v1
	v_lshrrev_b32_e32 v10, 3, v60
	s_mov_b32 s19, exec_lo
	v_cmpx_gt_u32_e32 8, v60
; %bb.990:                              ;   in Loop: Header=BB291_666 Depth=1
	v_ffbh_u32_e32 v9, v9
	v_min_u32_e32 v11, 32, v9
	v_subrev_nc_u32_e32 v9, 28, v11
	v_lshlrev_b64 v[9:10], v9, v[1:2]
	v_sub_nc_u32_e32 v10, 29, v11
	v_and_b32_e32 v9, 7, v9
; %bb.991:                              ;   in Loop: Header=BB291_666 Depth=1
	s_or_b32 exec_lo, exec_lo, s19
	v_lshlrev_b32_e32 v1, 8, v1
	v_lshl_add_u32 v10, v10, 10, 0x2000
	v_lshlrev_b32_e32 v9, 23, v9
	v_and_or_b32 v1, 0x8000, v1, v10
	v_lshl_or_b32 v9, v1, 16, v9
.LBB291_992:                            ;   in Loop: Header=BB291_666 Depth=1
	s_or_b32 exec_lo, exec_lo, s18
.LBB291_993:                            ;   in Loop: Header=BB291_666 Depth=1
	s_or_b32 exec_lo, exec_lo, s17
.LBB291_994:                            ;   in Loop: Header=BB291_666 Depth=1
	s_or_b32 exec_lo, exec_lo, s13
	v_or_b32_e32 v1, v55, v56
	s_waitcnt vmcnt(0)
	v_fma_mixlo_f16 v10, v52, v55, 0 op_sel:[0,1,0] op_sel_hi:[0,1,0]
	v_or_b32_e32 v11, v53, v54
	v_fma_mixlo_f16 v12, v52, v53, 0 op_sel:[0,1,0] op_sel_hi:[0,1,0]
	v_or_b32_e32 v53, v59, v58
	v_fma_mixlo_f16 v55, v52, v1, 0 op_sel_hi:[0,1,0]
	v_or_b32_e32 v56, v9, v57
	v_lshlrev_b32_e32 v1, 16, v10
	v_lshlrev_b32_e32 v54, 16, v12
	v_fma_mixlo_f16 v11, v52, v11, 0 op_sel_hi:[0,1,0]
	v_and_b32_e32 v10, 0xffff, v55
	v_fma_mixlo_f16 v12, v52, v59, 0 op_sel:[0,1,0] op_sel_hi:[0,1,0]
	v_fma_mixlo_f16 v53, v52, v53, 0 op_sel_hi:[0,1,0]
	v_fma_mixlo_f16 v9, v52, v9, 0 op_sel:[0,1,0] op_sel_hi:[0,1,0]
	v_fma_mixlo_f16 v55, v52, v56, 0 op_sel_hi:[0,1,0]
	v_and_b32_e32 v60, 0xffff, v11
	v_lshlrev_b32_e32 v52, 16, v12
	v_and_b32_e32 v56, 0xffff, v53
	v_lshlrev_b32_e32 v9, 16, v9
	v_and_b32_e32 v53, 0xffff, v55
	v_or_b32_e32 v55, v1, v10
	v_or_b32_e32 v59, v54, v60
	;; [unrolled: 1-line block ×4, first 2 shown]
	s_and_saveexec_b32 s13, vcc_lo
	s_cbranch_execz .LBB291_996
; %bb.995:                              ;   in Loop: Header=BB291_666 Depth=1
	v_cmp_gt_i32_e64 s0, s11, v33
	v_cndmask_b32_e64 v11, 0, v60, s0
	v_cmp_gt_i32_e64 s0, s11, v42
	v_cndmask_b32_e64 v12, 0, v54, s0
	v_cmp_gt_i32_e64 s0, s11, v39
	v_or_b32_e32 v59, v12, v11
	v_cndmask_b32_e64 v10, 0, v10, s0
	v_cmp_gt_i32_e64 s0, s11, v37
	v_cndmask_b32_e64 v1, 0, v1, s0
	v_cmp_gt_i32_e64 s0, s11, v36
	v_or_b32_e32 v55, v1, v10
	;; [unrolled: 5-line block ×3, first 2 shown]
	v_cndmask_b32_e64 v53, 0, v53, s0
	v_cmp_gt_i32_e64 s0, s11, v27
	v_cndmask_b32_e64 v9, 0, v9, s0
	v_or_b32_e32 v57, v9, v53
.LBB291_996:                            ;   in Loop: Header=BB291_666 Depth=1
	s_or_b32 exec_lo, exec_lo, s13
	;;#ASMSTART
	v_pk_mul_f16 v1, v44, v59;

	;;#ASMEND
	;;#ASMSTART
	v_pk_mul_f16 v9, v41, v55;

	;;#ASMEND
	;; [unrolled: 4-line block ×4, first 2 shown]
	;;#ASMSTART
	v_pk_add_f16 v1, v1, v9;

	;;#ASMEND
	;;#ASMSTART
	v_pk_add_f16 v1, v1, v10;

	;;#ASMEND
	;; [unrolled: 4-line block ×3, first 2 shown]
	v_and_b32_e32 v9, 0xffff, v1
	v_lshrrev_b32_e32 v1, 16, v1
	;;#ASMSTART
	v_cvt_f32_f16 v52, v9;
	;;#ASMEND
	;;#ASMSTART
	v_cvt_f32_f16 v53, v1;
	;;#ASMEND
	global_load_dwordx2 v[9:10], v[7:8], off offset:1280
	v_mov_b32_e32 v55, 0
	v_mov_b32_e32 v56, 0
	global_load_dword v54, v55, s[14:15]
	s_waitcnt vmcnt(1)
	v_cmp_ne_u16_sdwa s0, v9, v2 src0_sel:BYTE_0 src1_sel:DWORD
	s_and_saveexec_b32 s13, s0
	s_cbranch_execz .LBB291_1004
; %bb.997:                              ;   in Loop: Header=BB291_666 Depth=1
	v_cmp_ne_u16_sdwa s0, v9, v28 src0_sel:BYTE_0 src1_sel:DWORD
	v_mov_b32_e32 v56, 0x8000
	s_and_saveexec_b32 s17, s0
	s_cbranch_execz .LBB291_1003
; %bb.998:                              ;   in Loop: Header=BB291_666 Depth=1
	v_and_b32_e32 v57, 0x7f, v9
	v_mov_b32_e32 v56, 0x7c01
	s_mov_b32 s18, exec_lo
	v_cmpx_ne_u32_e32 0x7f, v57
	s_cbranch_execz .LBB291_1002
; %bb.999:                              ;   in Loop: Header=BB291_666 Depth=1
	v_and_b32_e32 v1, 7, v9
	v_lshrrev_b32_e32 v56, 3, v57
	s_mov_b32 s19, exec_lo
	v_cmpx_gt_u32_e32 8, v57
; %bb.1000:                             ;   in Loop: Header=BB291_666 Depth=1
	v_ffbh_u32_e32 v1, v1
	v_min_u32_e32 v1, 32, v1
	v_subrev_nc_u32_e32 v11, 28, v1
	v_sub_nc_u32_e32 v56, 29, v1
	v_lshlrev_b64 v[11:12], v11, v[9:10]
	v_and_b32_e32 v1, 7, v11
; %bb.1001:                             ;   in Loop: Header=BB291_666 Depth=1
	s_or_b32 exec_lo, exec_lo, s19
	v_lshlrev_b32_e32 v11, 8, v9
	v_lshl_add_u32 v12, v56, 10, 0x2000
	v_lshlrev_b32_e32 v1, 7, v1
	v_and_b32_e32 v11, 0x8000, v11
	v_and_b32_e32 v12, 0xfc00, v12
	v_or3_b32 v56, v11, v12, v1
.LBB291_1002:                           ;   in Loop: Header=BB291_666 Depth=1
	s_or_b32 exec_lo, exec_lo, s18
.LBB291_1003:                           ;   in Loop: Header=BB291_666 Depth=1
	s_or_b32 exec_lo, exec_lo, s17
.LBB291_1004:                           ;   in Loop: Header=BB291_666 Depth=1
	s_or_b32 exec_lo, exec_lo, s13
	v_lshrrev_b16 v1, 8, v9
	s_mov_b32 s13, exec_lo
	v_cmpx_ne_u16_e32 0, v1
	s_cbranch_execz .LBB291_1012
; %bb.1005:                             ;   in Loop: Header=BB291_666 Depth=1
	v_bfrev_b32_e32 v55, 1
	s_mov_b32 s17, exec_lo
	v_cmpx_ne_u16_e32 0x80, v1
	s_cbranch_execz .LBB291_1011
; %bb.1006:                             ;   in Loop: Header=BB291_666 Depth=1
	v_and_b32_sdwa v58, v1, v29 dst_sel:DWORD dst_unused:UNUSED_PAD src0_sel:WORD_0 src1_sel:DWORD
	v_mov_b32_e32 v55, 0x7c010000
	s_mov_b32 s18, exec_lo
	v_cmpx_ne_u32_e32 0x7f, v58
	s_cbranch_execz .LBB291_1010
; %bb.1007:                             ;   in Loop: Header=BB291_666 Depth=1
	v_and_b32_sdwa v55, v1, v30 dst_sel:DWORD dst_unused:UNUSED_PAD src0_sel:WORD_0 src1_sel:DWORD
	v_lshrrev_b32_e32 v57, 3, v58
	s_mov_b32 s19, exec_lo
	v_cmpx_gt_u32_e32 8, v58
; %bb.1008:                             ;   in Loop: Header=BB291_666 Depth=1
	v_ffbh_u32_e32 v11, v55
	v_min_u32_e32 v55, 32, v11
	v_subrev_nc_u32_e32 v11, 28, v55
	v_sub_nc_u32_e32 v57, 29, v55
	v_lshlrev_b64 v[11:12], v11, v[1:2]
	v_and_b32_e32 v55, 7, v11
; %bb.1009:                             ;   in Loop: Header=BB291_666 Depth=1
	s_or_b32 exec_lo, exec_lo, s19
	v_lshlrev_b32_sdwa v1, v31, v1 dst_sel:DWORD dst_unused:UNUSED_PAD src0_sel:DWORD src1_sel:WORD_0
	v_lshl_add_u32 v11, v57, 10, 0x2000
	v_and_or_b32 v1, 0x8000, v1, v11
	v_lshlrev_b32_e32 v11, 23, v55
	v_lshl_or_b32 v55, v1, 16, v11
.LBB291_1010:                           ;   in Loop: Header=BB291_666 Depth=1
	s_or_b32 exec_lo, exec_lo, s18
.LBB291_1011:                           ;   in Loop: Header=BB291_666 Depth=1
	s_or_b32 exec_lo, exec_lo, s17
.LBB291_1012:                           ;   in Loop: Header=BB291_666 Depth=1
	s_or_b32 exec_lo, exec_lo, s13
	v_lshrrev_b32_e32 v1, 16, v9
	v_mov_b32_e32 v57, 0
	v_mov_b32_e32 v58, 0
	v_cmp_ne_u16_sdwa s0, v1, v2 src0_sel:BYTE_0 src1_sel:DWORD
	s_and_saveexec_b32 s13, s0
	s_cbranch_execz .LBB291_1020
; %bb.1013:                             ;   in Loop: Header=BB291_666 Depth=1
	v_cmp_ne_u16_sdwa s0, v1, v28 src0_sel:BYTE_0 src1_sel:DWORD
	v_mov_b32_e32 v58, 0x8000
	s_and_saveexec_b32 s17, s0
	s_cbranch_execz .LBB291_1019
; %bb.1014:                             ;   in Loop: Header=BB291_666 Depth=1
	v_bfe_u32 v60, v9, 16, 7
	v_mov_b32_e32 v58, 0x7c01
	s_mov_b32 s18, exec_lo
	v_cmpx_ne_u32_e32 0x7f, v60
	s_cbranch_execz .LBB291_1018
; %bb.1015:                             ;   in Loop: Header=BB291_666 Depth=1
	v_and_b32_e32 v58, 7, v1
	v_lshrrev_b32_e32 v59, 3, v60
	s_mov_b32 s19, exec_lo
	v_cmpx_gt_u32_e32 8, v60
; %bb.1016:                             ;   in Loop: Header=BB291_666 Depth=1
	v_ffbh_u32_e32 v11, v58
	v_min_u32_e32 v58, 32, v11
	v_subrev_nc_u32_e32 v11, 28, v58
	v_sub_nc_u32_e32 v59, 29, v58
	v_lshlrev_b64 v[11:12], v11, v[1:2]
	v_and_b32_e32 v58, 7, v11
; %bb.1017:                             ;   in Loop: Header=BB291_666 Depth=1
	s_or_b32 exec_lo, exec_lo, s19
	v_lshlrev_b32_e32 v1, 8, v1
	v_lshl_add_u32 v11, v59, 10, 0x2000
	v_lshlrev_b32_e32 v12, 7, v58
	v_and_b32_e32 v1, 0x8000, v1
	v_and_b32_e32 v11, 0xfc00, v11
	v_or3_b32 v58, v1, v11, v12
.LBB291_1018:                           ;   in Loop: Header=BB291_666 Depth=1
	s_or_b32 exec_lo, exec_lo, s18
.LBB291_1019:                           ;   in Loop: Header=BB291_666 Depth=1
	s_or_b32 exec_lo, exec_lo, s17
.LBB291_1020:                           ;   in Loop: Header=BB291_666 Depth=1
	s_or_b32 exec_lo, exec_lo, s13
	s_mov_b32 s13, exec_lo
	v_cmpx_lt_u32_e32 0xffffff, v9
	s_cbranch_execz .LBB291_1028
; %bb.1021:                             ;   in Loop: Header=BB291_666 Depth=1
	v_lshrrev_b32_e32 v1, 24, v9
	v_bfrev_b32_e32 v57, 1
	s_mov_b32 s17, exec_lo
	v_cmpx_ne_u32_e32 0x80, v1
	s_cbranch_execz .LBB291_1027
; %bb.1022:                             ;   in Loop: Header=BB291_666 Depth=1
	v_and_b32_e32 v60, 0x7f, v1
	v_mov_b32_e32 v57, 0x7c010000
	s_mov_b32 s18, exec_lo
	v_cmpx_ne_u32_e32 0x7f, v60
	s_cbranch_execz .LBB291_1026
; %bb.1023:                             ;   in Loop: Header=BB291_666 Depth=1
	v_and_b32_e32 v57, 7, v1
	v_lshrrev_b32_e32 v59, 3, v60
	s_mov_b32 s19, exec_lo
	v_cmpx_gt_u32_e32 8, v60
; %bb.1024:                             ;   in Loop: Header=BB291_666 Depth=1
	v_ffbh_u32_e32 v11, v57
	v_min_u32_e32 v57, 32, v11
	v_subrev_nc_u32_e32 v11, 28, v57
	v_sub_nc_u32_e32 v59, 29, v57
	v_lshlrev_b64 v[11:12], v11, v[1:2]
	v_and_b32_e32 v57, 7, v11
; %bb.1025:                             ;   in Loop: Header=BB291_666 Depth=1
	s_or_b32 exec_lo, exec_lo, s19
	v_lshlrev_b32_e32 v1, 8, v1
	v_lshl_add_u32 v11, v59, 10, 0x2000
	v_and_or_b32 v1, 0x8000, v1, v11
	v_lshlrev_b32_e32 v11, 23, v57
	v_lshl_or_b32 v57, v1, 16, v11
.LBB291_1026:                           ;   in Loop: Header=BB291_666 Depth=1
	s_or_b32 exec_lo, exec_lo, s18
.LBB291_1027:                           ;   in Loop: Header=BB291_666 Depth=1
	s_or_b32 exec_lo, exec_lo, s17
.LBB291_1028:                           ;   in Loop: Header=BB291_666 Depth=1
	s_or_b32 exec_lo, exec_lo, s13
	v_mov_b32_e32 v1, v10
	v_cmp_ne_u16_sdwa s0, v10, v2 src0_sel:BYTE_0 src1_sel:DWORD
	v_mov_b32_e32 v59, 0
	v_mov_b32_e32 v60, 0
	s_and_saveexec_b32 s13, s0
	s_cbranch_execz .LBB291_1036
; %bb.1029:                             ;   in Loop: Header=BB291_666 Depth=1
	v_cmp_ne_u16_sdwa s0, v10, v28 src0_sel:BYTE_0 src1_sel:DWORD
	v_mov_b32_e32 v60, 0x8000
	s_and_saveexec_b32 s17, s0
	s_cbranch_execz .LBB291_1035
; %bb.1030:                             ;   in Loop: Header=BB291_666 Depth=1
	v_and_b32_e32 v62, 0x7f, v10
	v_mov_b32_e32 v60, 0x7c01
	s_mov_b32 s18, exec_lo
	v_cmpx_ne_u32_e32 0x7f, v62
	s_cbranch_execz .LBB291_1034
; %bb.1031:                             ;   in Loop: Header=BB291_666 Depth=1
	v_and_b32_e32 v60, 7, v10
	v_lshrrev_b32_e32 v61, 3, v62
	s_mov_b32 s19, exec_lo
	v_cmpx_gt_u32_e32 8, v62
; %bb.1032:                             ;   in Loop: Header=BB291_666 Depth=1
	v_ffbh_u32_e32 v11, v60
	v_min_u32_e32 v60, 32, v11
	v_subrev_nc_u32_e32 v11, 28, v60
	v_sub_nc_u32_e32 v61, 29, v60
	v_lshlrev_b64 v[11:12], v11, v[1:2]
	v_and_b32_e32 v60, 7, v11
; %bb.1033:                             ;   in Loop: Header=BB291_666 Depth=1
	s_or_b32 exec_lo, exec_lo, s19
	v_lshlrev_b32_e32 v11, 8, v10
	v_lshl_add_u32 v12, v61, 10, 0x2000
	v_lshlrev_b32_e32 v60, 7, v60
	v_and_b32_e32 v11, 0x8000, v11
	v_and_b32_e32 v12, 0xfc00, v12
	v_or3_b32 v60, v11, v12, v60
.LBB291_1034:                           ;   in Loop: Header=BB291_666 Depth=1
	s_or_b32 exec_lo, exec_lo, s18
.LBB291_1035:                           ;   in Loop: Header=BB291_666 Depth=1
	s_or_b32 exec_lo, exec_lo, s17
.LBB291_1036:                           ;   in Loop: Header=BB291_666 Depth=1
	s_or_b32 exec_lo, exec_lo, s13
	v_lshrrev_b16 v1, 8, v1
	v_mov_b32_e32 v61, 0
	s_mov_b32 s13, exec_lo
	v_cmpx_ne_u16_e32 0, v1
	s_cbranch_execz .LBB291_1044
; %bb.1037:                             ;   in Loop: Header=BB291_666 Depth=1
	v_bfrev_b32_e32 v61, 1
	s_mov_b32 s17, exec_lo
	v_cmpx_ne_u16_e32 0x80, v1
	s_cbranch_execz .LBB291_1043
; %bb.1038:                             ;   in Loop: Header=BB291_666 Depth=1
	v_and_b32_sdwa v63, v1, v29 dst_sel:DWORD dst_unused:UNUSED_PAD src0_sel:WORD_0 src1_sel:DWORD
	v_mov_b32_e32 v61, 0x7c010000
	s_mov_b32 s18, exec_lo
	v_cmpx_ne_u32_e32 0x7f, v63
	s_cbranch_execz .LBB291_1042
; %bb.1039:                             ;   in Loop: Header=BB291_666 Depth=1
	v_and_b32_sdwa v61, v1, v30 dst_sel:DWORD dst_unused:UNUSED_PAD src0_sel:WORD_0 src1_sel:DWORD
	v_lshrrev_b32_e32 v62, 3, v63
	s_mov_b32 s19, exec_lo
	v_cmpx_gt_u32_e32 8, v63
; %bb.1040:                             ;   in Loop: Header=BB291_666 Depth=1
	v_ffbh_u32_e32 v11, v61
	v_min_u32_e32 v61, 32, v11
	v_subrev_nc_u32_e32 v11, 28, v61
	v_sub_nc_u32_e32 v62, 29, v61
	v_lshlrev_b64 v[11:12], v11, v[1:2]
	v_and_b32_e32 v61, 7, v11
; %bb.1041:                             ;   in Loop: Header=BB291_666 Depth=1
	s_or_b32 exec_lo, exec_lo, s19
	v_lshlrev_b32_sdwa v1, v31, v1 dst_sel:DWORD dst_unused:UNUSED_PAD src0_sel:DWORD src1_sel:WORD_0
	v_lshl_add_u32 v11, v62, 10, 0x2000
	v_and_or_b32 v1, 0x8000, v1, v11
	v_lshlrev_b32_e32 v11, 23, v61
	v_lshl_or_b32 v61, v1, 16, v11
.LBB291_1042:                           ;   in Loop: Header=BB291_666 Depth=1
	s_or_b32 exec_lo, exec_lo, s18
.LBB291_1043:                           ;   in Loop: Header=BB291_666 Depth=1
	s_or_b32 exec_lo, exec_lo, s17
.LBB291_1044:                           ;   in Loop: Header=BB291_666 Depth=1
	s_or_b32 exec_lo, exec_lo, s13
	v_lshrrev_b32_e32 v1, 16, v10
	v_cmp_ne_u16_sdwa s0, v1, v2 src0_sel:BYTE_0 src1_sel:DWORD
	s_and_saveexec_b32 s13, s0
	s_cbranch_execz .LBB291_1052
; %bb.1045:                             ;   in Loop: Header=BB291_666 Depth=1
	v_cmp_ne_u16_sdwa s0, v1, v28 src0_sel:BYTE_0 src1_sel:DWORD
	v_mov_b32_e32 v59, 0x8000
	s_and_saveexec_b32 s17, s0
	s_cbranch_execz .LBB291_1051
; %bb.1046:                             ;   in Loop: Header=BB291_666 Depth=1
	v_bfe_u32 v63, v10, 16, 7
	v_mov_b32_e32 v59, 0x7c01
	s_mov_b32 s18, exec_lo
	v_cmpx_ne_u32_e32 0x7f, v63
	s_cbranch_execz .LBB291_1050
; %bb.1047:                             ;   in Loop: Header=BB291_666 Depth=1
	v_and_b32_e32 v59, 7, v1
	v_lshrrev_b32_e32 v62, 3, v63
	s_mov_b32 s19, exec_lo
	v_cmpx_gt_u32_e32 8, v63
; %bb.1048:                             ;   in Loop: Header=BB291_666 Depth=1
	v_ffbh_u32_e32 v11, v59
	v_min_u32_e32 v59, 32, v11
	v_subrev_nc_u32_e32 v11, 28, v59
	v_sub_nc_u32_e32 v62, 29, v59
	v_lshlrev_b64 v[11:12], v11, v[1:2]
	v_and_b32_e32 v59, 7, v11
; %bb.1049:                             ;   in Loop: Header=BB291_666 Depth=1
	s_or_b32 exec_lo, exec_lo, s19
	v_lshlrev_b32_e32 v1, 8, v1
	v_lshl_add_u32 v11, v62, 10, 0x2000
	v_lshlrev_b32_e32 v12, 7, v59
	v_and_b32_e32 v1, 0x8000, v1
	v_and_b32_e32 v11, 0xfc00, v11
	v_or3_b32 v59, v1, v11, v12
.LBB291_1050:                           ;   in Loop: Header=BB291_666 Depth=1
	s_or_b32 exec_lo, exec_lo, s18
.LBB291_1051:                           ;   in Loop: Header=BB291_666 Depth=1
	s_or_b32 exec_lo, exec_lo, s17
.LBB291_1052:                           ;   in Loop: Header=BB291_666 Depth=1
	s_or_b32 exec_lo, exec_lo, s13
	v_cmp_lt_u64_e64 s0, s[2:3], v[9:10]
	v_mov_b32_e32 v9, 0
	s_and_saveexec_b32 s13, s0
	s_cbranch_execz .LBB291_1060
; %bb.1053:                             ;   in Loop: Header=BB291_666 Depth=1
	v_lshrrev_b32_e32 v1, 24, v10
	v_bfrev_b32_e32 v9, 1
	s_mov_b32 s17, exec_lo
	v_cmpx_ne_u32_e32 0x80, v1
	s_cbranch_execz .LBB291_1059
; %bb.1054:                             ;   in Loop: Header=BB291_666 Depth=1
	v_and_b32_e32 v62, 0x7f, v1
	v_mov_b32_e32 v9, 0x7c010000
	s_mov_b32 s18, exec_lo
	v_cmpx_ne_u32_e32 0x7f, v62
	s_cbranch_execz .LBB291_1058
; %bb.1055:                             ;   in Loop: Header=BB291_666 Depth=1
	v_and_b32_e32 v9, 7, v1
	v_lshrrev_b32_e32 v10, 3, v62
	s_mov_b32 s19, exec_lo
	v_cmpx_gt_u32_e32 8, v62
; %bb.1056:                             ;   in Loop: Header=BB291_666 Depth=1
	v_ffbh_u32_e32 v9, v9
	v_min_u32_e32 v11, 32, v9
	v_subrev_nc_u32_e32 v9, 28, v11
	v_lshlrev_b64 v[9:10], v9, v[1:2]
	v_sub_nc_u32_e32 v10, 29, v11
	v_and_b32_e32 v9, 7, v9
; %bb.1057:                             ;   in Loop: Header=BB291_666 Depth=1
	s_or_b32 exec_lo, exec_lo, s19
	v_lshlrev_b32_e32 v1, 8, v1
	v_lshl_add_u32 v10, v10, 10, 0x2000
	v_lshlrev_b32_e32 v9, 23, v9
	v_and_or_b32 v1, 0x8000, v1, v10
	v_lshl_or_b32 v9, v1, 16, v9
.LBB291_1058:                           ;   in Loop: Header=BB291_666 Depth=1
	s_or_b32 exec_lo, exec_lo, s18
.LBB291_1059:                           ;   in Loop: Header=BB291_666 Depth=1
	s_or_b32 exec_lo, exec_lo, s17
.LBB291_1060:                           ;   in Loop: Header=BB291_666 Depth=1
	s_or_b32 exec_lo, exec_lo, s13
	v_or_b32_e32 v1, v57, v58
	s_waitcnt vmcnt(0)
	v_fma_mixlo_f16 v10, v54, v57, 0 op_sel:[0,1,0] op_sel_hi:[0,1,0]
	v_or_b32_e32 v11, v55, v56
	v_fma_mixlo_f16 v12, v54, v55, 0 op_sel:[0,1,0] op_sel_hi:[0,1,0]
	v_or_b32_e32 v55, v61, v60
	v_fma_mixlo_f16 v57, v54, v1, 0 op_sel_hi:[0,1,0]
	v_or_b32_e32 v58, v9, v59
	v_lshlrev_b32_e32 v1, 16, v10
	v_lshlrev_b32_e32 v56, 16, v12
	v_fma_mixlo_f16 v11, v54, v11, 0 op_sel_hi:[0,1,0]
	v_and_b32_e32 v10, 0xffff, v57
	v_fma_mixlo_f16 v12, v54, v61, 0 op_sel:[0,1,0] op_sel_hi:[0,1,0]
	v_fma_mixlo_f16 v55, v54, v55, 0 op_sel_hi:[0,1,0]
	v_fma_mixlo_f16 v9, v54, v9, 0 op_sel:[0,1,0] op_sel_hi:[0,1,0]
	v_fma_mixlo_f16 v57, v54, v58, 0 op_sel_hi:[0,1,0]
	v_and_b32_e32 v62, 0xffff, v11
	v_lshlrev_b32_e32 v54, 16, v12
	v_and_b32_e32 v58, 0xffff, v55
	v_lshlrev_b32_e32 v9, 16, v9
	v_and_b32_e32 v55, 0xffff, v57
	v_or_b32_e32 v57, v1, v10
	v_or_b32_e32 v61, v56, v62
	;; [unrolled: 1-line block ×4, first 2 shown]
	s_and_saveexec_b32 s13, vcc_lo
	s_cbranch_execz .LBB291_1062
; %bb.1061:                             ;   in Loop: Header=BB291_666 Depth=1
	v_cmp_gt_i32_e64 s0, s11, v33
	v_cndmask_b32_e64 v11, 0, v62, s0
	v_cmp_gt_i32_e64 s0, s11, v42
	v_cndmask_b32_e64 v12, 0, v56, s0
	v_cmp_gt_i32_e64 s0, s11, v39
	v_or_b32_e32 v61, v12, v11
	v_cndmask_b32_e64 v10, 0, v10, s0
	v_cmp_gt_i32_e64 s0, s11, v37
	v_cndmask_b32_e64 v1, 0, v1, s0
	v_cmp_gt_i32_e64 s0, s11, v36
	v_or_b32_e32 v57, v1, v10
	;; [unrolled: 5-line block ×3, first 2 shown]
	v_cndmask_b32_e64 v55, 0, v55, s0
	v_cmp_gt_i32_e64 s0, s11, v27
	v_cndmask_b32_e64 v9, 0, v9, s0
	v_or_b32_e32 v59, v9, v55
.LBB291_1062:                           ;   in Loop: Header=BB291_666 Depth=1
	s_or_b32 exec_lo, exec_lo, s13
	;;#ASMSTART
	v_pk_mul_f16 v1, v44, v61;

	;;#ASMEND
	;;#ASMSTART
	v_pk_mul_f16 v9, v41, v57;

	;;#ASMEND
	;; [unrolled: 4-line block ×4, first 2 shown]
	;;#ASMSTART
	v_pk_add_f16 v1, v1, v9;

	;;#ASMEND
	;;#ASMSTART
	v_pk_add_f16 v1, v1, v10;

	;;#ASMEND
	;; [unrolled: 4-line block ×3, first 2 shown]
	v_and_b32_e32 v9, 0xffff, v1
	v_lshrrev_b32_e32 v1, 16, v1
	;;#ASMSTART
	v_cvt_f32_f16 v54, v9;
	;;#ASMEND
	;;#ASMSTART
	v_cvt_f32_f16 v55, v1;
	;;#ASMEND
	global_load_dwordx2 v[9:10], v[7:8], off offset:1536
	v_mov_b32_e32 v57, 0
	v_mov_b32_e32 v58, 0
	global_load_dword v56, v57, s[14:15]
	s_waitcnt vmcnt(1)
	v_cmp_ne_u16_sdwa s0, v9, v2 src0_sel:BYTE_0 src1_sel:DWORD
	s_and_saveexec_b32 s13, s0
	s_cbranch_execz .LBB291_1070
; %bb.1063:                             ;   in Loop: Header=BB291_666 Depth=1
	v_cmp_ne_u16_sdwa s0, v9, v28 src0_sel:BYTE_0 src1_sel:DWORD
	v_mov_b32_e32 v58, 0x8000
	s_and_saveexec_b32 s17, s0
	s_cbranch_execz .LBB291_1069
; %bb.1064:                             ;   in Loop: Header=BB291_666 Depth=1
	v_and_b32_e32 v59, 0x7f, v9
	v_mov_b32_e32 v58, 0x7c01
	s_mov_b32 s18, exec_lo
	v_cmpx_ne_u32_e32 0x7f, v59
	s_cbranch_execz .LBB291_1068
; %bb.1065:                             ;   in Loop: Header=BB291_666 Depth=1
	v_and_b32_e32 v1, 7, v9
	v_lshrrev_b32_e32 v58, 3, v59
	s_mov_b32 s19, exec_lo
	v_cmpx_gt_u32_e32 8, v59
; %bb.1066:                             ;   in Loop: Header=BB291_666 Depth=1
	v_ffbh_u32_e32 v1, v1
	v_min_u32_e32 v1, 32, v1
	v_subrev_nc_u32_e32 v11, 28, v1
	v_sub_nc_u32_e32 v58, 29, v1
	v_lshlrev_b64 v[11:12], v11, v[9:10]
	v_and_b32_e32 v1, 7, v11
; %bb.1067:                             ;   in Loop: Header=BB291_666 Depth=1
	s_or_b32 exec_lo, exec_lo, s19
	v_lshlrev_b32_e32 v11, 8, v9
	v_lshl_add_u32 v12, v58, 10, 0x2000
	v_lshlrev_b32_e32 v1, 7, v1
	v_and_b32_e32 v11, 0x8000, v11
	v_and_b32_e32 v12, 0xfc00, v12
	v_or3_b32 v58, v11, v12, v1
.LBB291_1068:                           ;   in Loop: Header=BB291_666 Depth=1
	s_or_b32 exec_lo, exec_lo, s18
.LBB291_1069:                           ;   in Loop: Header=BB291_666 Depth=1
	s_or_b32 exec_lo, exec_lo, s17
.LBB291_1070:                           ;   in Loop: Header=BB291_666 Depth=1
	s_or_b32 exec_lo, exec_lo, s13
	v_lshrrev_b16 v1, 8, v9
	s_mov_b32 s13, exec_lo
	v_cmpx_ne_u16_e32 0, v1
	s_cbranch_execz .LBB291_1078
; %bb.1071:                             ;   in Loop: Header=BB291_666 Depth=1
	v_bfrev_b32_e32 v57, 1
	s_mov_b32 s17, exec_lo
	v_cmpx_ne_u16_e32 0x80, v1
	s_cbranch_execz .LBB291_1077
; %bb.1072:                             ;   in Loop: Header=BB291_666 Depth=1
	v_and_b32_sdwa v60, v1, v29 dst_sel:DWORD dst_unused:UNUSED_PAD src0_sel:WORD_0 src1_sel:DWORD
	v_mov_b32_e32 v57, 0x7c010000
	s_mov_b32 s18, exec_lo
	v_cmpx_ne_u32_e32 0x7f, v60
	s_cbranch_execz .LBB291_1076
; %bb.1073:                             ;   in Loop: Header=BB291_666 Depth=1
	v_and_b32_sdwa v57, v1, v30 dst_sel:DWORD dst_unused:UNUSED_PAD src0_sel:WORD_0 src1_sel:DWORD
	v_lshrrev_b32_e32 v59, 3, v60
	s_mov_b32 s19, exec_lo
	v_cmpx_gt_u32_e32 8, v60
; %bb.1074:                             ;   in Loop: Header=BB291_666 Depth=1
	v_ffbh_u32_e32 v11, v57
	v_min_u32_e32 v57, 32, v11
	v_subrev_nc_u32_e32 v11, 28, v57
	v_sub_nc_u32_e32 v59, 29, v57
	v_lshlrev_b64 v[11:12], v11, v[1:2]
	v_and_b32_e32 v57, 7, v11
; %bb.1075:                             ;   in Loop: Header=BB291_666 Depth=1
	s_or_b32 exec_lo, exec_lo, s19
	v_lshlrev_b32_sdwa v1, v31, v1 dst_sel:DWORD dst_unused:UNUSED_PAD src0_sel:DWORD src1_sel:WORD_0
	v_lshl_add_u32 v11, v59, 10, 0x2000
	v_and_or_b32 v1, 0x8000, v1, v11
	v_lshlrev_b32_e32 v11, 23, v57
	v_lshl_or_b32 v57, v1, 16, v11
.LBB291_1076:                           ;   in Loop: Header=BB291_666 Depth=1
	s_or_b32 exec_lo, exec_lo, s18
.LBB291_1077:                           ;   in Loop: Header=BB291_666 Depth=1
	s_or_b32 exec_lo, exec_lo, s17
.LBB291_1078:                           ;   in Loop: Header=BB291_666 Depth=1
	s_or_b32 exec_lo, exec_lo, s13
	v_lshrrev_b32_e32 v1, 16, v9
	v_mov_b32_e32 v59, 0
	v_mov_b32_e32 v60, 0
	v_cmp_ne_u16_sdwa s0, v1, v2 src0_sel:BYTE_0 src1_sel:DWORD
	s_and_saveexec_b32 s13, s0
	s_cbranch_execz .LBB291_1086
; %bb.1079:                             ;   in Loop: Header=BB291_666 Depth=1
	v_cmp_ne_u16_sdwa s0, v1, v28 src0_sel:BYTE_0 src1_sel:DWORD
	v_mov_b32_e32 v60, 0x8000
	s_and_saveexec_b32 s17, s0
	s_cbranch_execz .LBB291_1085
; %bb.1080:                             ;   in Loop: Header=BB291_666 Depth=1
	v_bfe_u32 v62, v9, 16, 7
	v_mov_b32_e32 v60, 0x7c01
	s_mov_b32 s18, exec_lo
	v_cmpx_ne_u32_e32 0x7f, v62
	s_cbranch_execz .LBB291_1084
; %bb.1081:                             ;   in Loop: Header=BB291_666 Depth=1
	v_and_b32_e32 v60, 7, v1
	v_lshrrev_b32_e32 v61, 3, v62
	s_mov_b32 s19, exec_lo
	v_cmpx_gt_u32_e32 8, v62
; %bb.1082:                             ;   in Loop: Header=BB291_666 Depth=1
	v_ffbh_u32_e32 v11, v60
	v_min_u32_e32 v60, 32, v11
	v_subrev_nc_u32_e32 v11, 28, v60
	v_sub_nc_u32_e32 v61, 29, v60
	v_lshlrev_b64 v[11:12], v11, v[1:2]
	v_and_b32_e32 v60, 7, v11
; %bb.1083:                             ;   in Loop: Header=BB291_666 Depth=1
	s_or_b32 exec_lo, exec_lo, s19
	v_lshlrev_b32_e32 v1, 8, v1
	v_lshl_add_u32 v11, v61, 10, 0x2000
	v_lshlrev_b32_e32 v12, 7, v60
	v_and_b32_e32 v1, 0x8000, v1
	v_and_b32_e32 v11, 0xfc00, v11
	v_or3_b32 v60, v1, v11, v12
.LBB291_1084:                           ;   in Loop: Header=BB291_666 Depth=1
	s_or_b32 exec_lo, exec_lo, s18
.LBB291_1085:                           ;   in Loop: Header=BB291_666 Depth=1
	s_or_b32 exec_lo, exec_lo, s17
.LBB291_1086:                           ;   in Loop: Header=BB291_666 Depth=1
	s_or_b32 exec_lo, exec_lo, s13
	s_mov_b32 s13, exec_lo
	v_cmpx_lt_u32_e32 0xffffff, v9
	s_cbranch_execz .LBB291_1094
; %bb.1087:                             ;   in Loop: Header=BB291_666 Depth=1
	v_lshrrev_b32_e32 v1, 24, v9
	v_bfrev_b32_e32 v59, 1
	s_mov_b32 s17, exec_lo
	v_cmpx_ne_u32_e32 0x80, v1
	s_cbranch_execz .LBB291_1093
; %bb.1088:                             ;   in Loop: Header=BB291_666 Depth=1
	v_and_b32_e32 v62, 0x7f, v1
	v_mov_b32_e32 v59, 0x7c010000
	s_mov_b32 s18, exec_lo
	v_cmpx_ne_u32_e32 0x7f, v62
	s_cbranch_execz .LBB291_1092
; %bb.1089:                             ;   in Loop: Header=BB291_666 Depth=1
	v_and_b32_e32 v59, 7, v1
	v_lshrrev_b32_e32 v61, 3, v62
	s_mov_b32 s19, exec_lo
	v_cmpx_gt_u32_e32 8, v62
; %bb.1090:                             ;   in Loop: Header=BB291_666 Depth=1
	v_ffbh_u32_e32 v11, v59
	v_min_u32_e32 v59, 32, v11
	v_subrev_nc_u32_e32 v11, 28, v59
	v_sub_nc_u32_e32 v61, 29, v59
	v_lshlrev_b64 v[11:12], v11, v[1:2]
	v_and_b32_e32 v59, 7, v11
; %bb.1091:                             ;   in Loop: Header=BB291_666 Depth=1
	s_or_b32 exec_lo, exec_lo, s19
	v_lshlrev_b32_e32 v1, 8, v1
	v_lshl_add_u32 v11, v61, 10, 0x2000
	v_and_or_b32 v1, 0x8000, v1, v11
	v_lshlrev_b32_e32 v11, 23, v59
	v_lshl_or_b32 v59, v1, 16, v11
.LBB291_1092:                           ;   in Loop: Header=BB291_666 Depth=1
	s_or_b32 exec_lo, exec_lo, s18
.LBB291_1093:                           ;   in Loop: Header=BB291_666 Depth=1
	s_or_b32 exec_lo, exec_lo, s17
.LBB291_1094:                           ;   in Loop: Header=BB291_666 Depth=1
	s_or_b32 exec_lo, exec_lo, s13
	v_mov_b32_e32 v1, v10
	v_cmp_ne_u16_sdwa s0, v10, v2 src0_sel:BYTE_0 src1_sel:DWORD
	v_mov_b32_e32 v61, 0
	v_mov_b32_e32 v62, 0
	s_and_saveexec_b32 s13, s0
	s_cbranch_execz .LBB291_1102
; %bb.1095:                             ;   in Loop: Header=BB291_666 Depth=1
	v_cmp_ne_u16_sdwa s0, v10, v28 src0_sel:BYTE_0 src1_sel:DWORD
	v_mov_b32_e32 v62, 0x8000
	s_and_saveexec_b32 s17, s0
	s_cbranch_execz .LBB291_1101
; %bb.1096:                             ;   in Loop: Header=BB291_666 Depth=1
	v_and_b32_e32 v64, 0x7f, v10
	v_mov_b32_e32 v62, 0x7c01
	s_mov_b32 s18, exec_lo
	v_cmpx_ne_u32_e32 0x7f, v64
	s_cbranch_execz .LBB291_1100
; %bb.1097:                             ;   in Loop: Header=BB291_666 Depth=1
	v_and_b32_e32 v62, 7, v10
	v_lshrrev_b32_e32 v63, 3, v64
	s_mov_b32 s19, exec_lo
	v_cmpx_gt_u32_e32 8, v64
; %bb.1098:                             ;   in Loop: Header=BB291_666 Depth=1
	v_ffbh_u32_e32 v11, v62
	v_min_u32_e32 v62, 32, v11
	v_subrev_nc_u32_e32 v11, 28, v62
	v_sub_nc_u32_e32 v63, 29, v62
	v_lshlrev_b64 v[11:12], v11, v[1:2]
	v_and_b32_e32 v62, 7, v11
; %bb.1099:                             ;   in Loop: Header=BB291_666 Depth=1
	s_or_b32 exec_lo, exec_lo, s19
	v_lshlrev_b32_e32 v11, 8, v10
	v_lshl_add_u32 v12, v63, 10, 0x2000
	v_lshlrev_b32_e32 v62, 7, v62
	v_and_b32_e32 v11, 0x8000, v11
	v_and_b32_e32 v12, 0xfc00, v12
	v_or3_b32 v62, v11, v12, v62
.LBB291_1100:                           ;   in Loop: Header=BB291_666 Depth=1
	s_or_b32 exec_lo, exec_lo, s18
.LBB291_1101:                           ;   in Loop: Header=BB291_666 Depth=1
	s_or_b32 exec_lo, exec_lo, s17
.LBB291_1102:                           ;   in Loop: Header=BB291_666 Depth=1
	s_or_b32 exec_lo, exec_lo, s13
	v_lshrrev_b16 v1, 8, v1
	v_mov_b32_e32 v63, 0
	s_mov_b32 s13, exec_lo
	v_cmpx_ne_u16_e32 0, v1
	s_cbranch_execz .LBB291_1110
; %bb.1103:                             ;   in Loop: Header=BB291_666 Depth=1
	v_bfrev_b32_e32 v63, 1
	s_mov_b32 s17, exec_lo
	v_cmpx_ne_u16_e32 0x80, v1
	s_cbranch_execz .LBB291_1109
; %bb.1104:                             ;   in Loop: Header=BB291_666 Depth=1
	v_and_b32_sdwa v65, v1, v29 dst_sel:DWORD dst_unused:UNUSED_PAD src0_sel:WORD_0 src1_sel:DWORD
	v_mov_b32_e32 v63, 0x7c010000
	s_mov_b32 s18, exec_lo
	v_cmpx_ne_u32_e32 0x7f, v65
	s_cbranch_execz .LBB291_1108
; %bb.1105:                             ;   in Loop: Header=BB291_666 Depth=1
	v_and_b32_sdwa v63, v1, v30 dst_sel:DWORD dst_unused:UNUSED_PAD src0_sel:WORD_0 src1_sel:DWORD
	v_lshrrev_b32_e32 v64, 3, v65
	s_mov_b32 s19, exec_lo
	v_cmpx_gt_u32_e32 8, v65
; %bb.1106:                             ;   in Loop: Header=BB291_666 Depth=1
	v_ffbh_u32_e32 v11, v63
	v_min_u32_e32 v63, 32, v11
	v_subrev_nc_u32_e32 v11, 28, v63
	v_sub_nc_u32_e32 v64, 29, v63
	v_lshlrev_b64 v[11:12], v11, v[1:2]
	v_and_b32_e32 v63, 7, v11
; %bb.1107:                             ;   in Loop: Header=BB291_666 Depth=1
	s_or_b32 exec_lo, exec_lo, s19
	v_lshlrev_b32_sdwa v1, v31, v1 dst_sel:DWORD dst_unused:UNUSED_PAD src0_sel:DWORD src1_sel:WORD_0
	v_lshl_add_u32 v11, v64, 10, 0x2000
	v_and_or_b32 v1, 0x8000, v1, v11
	v_lshlrev_b32_e32 v11, 23, v63
	v_lshl_or_b32 v63, v1, 16, v11
.LBB291_1108:                           ;   in Loop: Header=BB291_666 Depth=1
	s_or_b32 exec_lo, exec_lo, s18
.LBB291_1109:                           ;   in Loop: Header=BB291_666 Depth=1
	s_or_b32 exec_lo, exec_lo, s17
.LBB291_1110:                           ;   in Loop: Header=BB291_666 Depth=1
	s_or_b32 exec_lo, exec_lo, s13
	v_lshrrev_b32_e32 v1, 16, v10
	v_cmp_ne_u16_sdwa s0, v1, v2 src0_sel:BYTE_0 src1_sel:DWORD
	s_and_saveexec_b32 s13, s0
	s_cbranch_execz .LBB291_1118
; %bb.1111:                             ;   in Loop: Header=BB291_666 Depth=1
	v_cmp_ne_u16_sdwa s0, v1, v28 src0_sel:BYTE_0 src1_sel:DWORD
	v_mov_b32_e32 v61, 0x8000
	s_and_saveexec_b32 s17, s0
	s_cbranch_execz .LBB291_1117
; %bb.1112:                             ;   in Loop: Header=BB291_666 Depth=1
	v_bfe_u32 v65, v10, 16, 7
	v_mov_b32_e32 v61, 0x7c01
	s_mov_b32 s18, exec_lo
	v_cmpx_ne_u32_e32 0x7f, v65
	s_cbranch_execz .LBB291_1116
; %bb.1113:                             ;   in Loop: Header=BB291_666 Depth=1
	v_and_b32_e32 v61, 7, v1
	v_lshrrev_b32_e32 v64, 3, v65
	s_mov_b32 s19, exec_lo
	v_cmpx_gt_u32_e32 8, v65
; %bb.1114:                             ;   in Loop: Header=BB291_666 Depth=1
	v_ffbh_u32_e32 v11, v61
	v_min_u32_e32 v61, 32, v11
	v_subrev_nc_u32_e32 v11, 28, v61
	v_sub_nc_u32_e32 v64, 29, v61
	v_lshlrev_b64 v[11:12], v11, v[1:2]
	v_and_b32_e32 v61, 7, v11
; %bb.1115:                             ;   in Loop: Header=BB291_666 Depth=1
	s_or_b32 exec_lo, exec_lo, s19
	v_lshlrev_b32_e32 v1, 8, v1
	v_lshl_add_u32 v11, v64, 10, 0x2000
	v_lshlrev_b32_e32 v12, 7, v61
	v_and_b32_e32 v1, 0x8000, v1
	v_and_b32_e32 v11, 0xfc00, v11
	v_or3_b32 v61, v1, v11, v12
.LBB291_1116:                           ;   in Loop: Header=BB291_666 Depth=1
	s_or_b32 exec_lo, exec_lo, s18
.LBB291_1117:                           ;   in Loop: Header=BB291_666 Depth=1
	s_or_b32 exec_lo, exec_lo, s17
.LBB291_1118:                           ;   in Loop: Header=BB291_666 Depth=1
	s_or_b32 exec_lo, exec_lo, s13
	v_cmp_lt_u64_e64 s0, s[2:3], v[9:10]
	v_mov_b32_e32 v9, 0
	s_and_saveexec_b32 s13, s0
	s_cbranch_execz .LBB291_1126
; %bb.1119:                             ;   in Loop: Header=BB291_666 Depth=1
	v_lshrrev_b32_e32 v1, 24, v10
	v_bfrev_b32_e32 v9, 1
	s_mov_b32 s17, exec_lo
	v_cmpx_ne_u32_e32 0x80, v1
	s_cbranch_execz .LBB291_1125
; %bb.1120:                             ;   in Loop: Header=BB291_666 Depth=1
	v_and_b32_e32 v64, 0x7f, v1
	v_mov_b32_e32 v9, 0x7c010000
	s_mov_b32 s18, exec_lo
	v_cmpx_ne_u32_e32 0x7f, v64
	s_cbranch_execz .LBB291_1124
; %bb.1121:                             ;   in Loop: Header=BB291_666 Depth=1
	v_and_b32_e32 v9, 7, v1
	v_lshrrev_b32_e32 v10, 3, v64
	s_mov_b32 s19, exec_lo
	v_cmpx_gt_u32_e32 8, v64
; %bb.1122:                             ;   in Loop: Header=BB291_666 Depth=1
	v_ffbh_u32_e32 v9, v9
	v_min_u32_e32 v11, 32, v9
	v_subrev_nc_u32_e32 v9, 28, v11
	v_lshlrev_b64 v[9:10], v9, v[1:2]
	v_sub_nc_u32_e32 v10, 29, v11
	v_and_b32_e32 v9, 7, v9
; %bb.1123:                             ;   in Loop: Header=BB291_666 Depth=1
	s_or_b32 exec_lo, exec_lo, s19
	v_lshlrev_b32_e32 v1, 8, v1
	v_lshl_add_u32 v10, v10, 10, 0x2000
	v_lshlrev_b32_e32 v9, 23, v9
	v_and_or_b32 v1, 0x8000, v1, v10
	v_lshl_or_b32 v9, v1, 16, v9
.LBB291_1124:                           ;   in Loop: Header=BB291_666 Depth=1
	s_or_b32 exec_lo, exec_lo, s18
.LBB291_1125:                           ;   in Loop: Header=BB291_666 Depth=1
	s_or_b32 exec_lo, exec_lo, s17
.LBB291_1126:                           ;   in Loop: Header=BB291_666 Depth=1
	s_or_b32 exec_lo, exec_lo, s13
	v_or_b32_e32 v1, v59, v60
	s_waitcnt vmcnt(0)
	v_fma_mixlo_f16 v10, v56, v59, 0 op_sel:[0,1,0] op_sel_hi:[0,1,0]
	v_or_b32_e32 v11, v57, v58
	v_fma_mixlo_f16 v12, v56, v57, 0 op_sel:[0,1,0] op_sel_hi:[0,1,0]
	v_or_b32_e32 v57, v63, v62
	v_fma_mixlo_f16 v59, v56, v1, 0 op_sel_hi:[0,1,0]
	v_or_b32_e32 v60, v9, v61
	v_lshlrev_b32_e32 v1, 16, v10
	v_lshlrev_b32_e32 v58, 16, v12
	v_fma_mixlo_f16 v11, v56, v11, 0 op_sel_hi:[0,1,0]
	v_and_b32_e32 v10, 0xffff, v59
	v_fma_mixlo_f16 v12, v56, v63, 0 op_sel:[0,1,0] op_sel_hi:[0,1,0]
	v_fma_mixlo_f16 v57, v56, v57, 0 op_sel_hi:[0,1,0]
	v_fma_mixlo_f16 v9, v56, v9, 0 op_sel:[0,1,0] op_sel_hi:[0,1,0]
	v_fma_mixlo_f16 v59, v56, v60, 0 op_sel_hi:[0,1,0]
	v_and_b32_e32 v64, 0xffff, v11
	v_lshlrev_b32_e32 v56, 16, v12
	v_and_b32_e32 v60, 0xffff, v57
	v_lshlrev_b32_e32 v9, 16, v9
	v_and_b32_e32 v57, 0xffff, v59
	v_or_b32_e32 v59, v1, v10
	v_or_b32_e32 v63, v58, v64
	;; [unrolled: 1-line block ×4, first 2 shown]
	s_and_saveexec_b32 s13, vcc_lo
	s_cbranch_execz .LBB291_1128
; %bb.1127:                             ;   in Loop: Header=BB291_666 Depth=1
	v_cmp_gt_i32_e64 s0, s11, v33
	v_cndmask_b32_e64 v11, 0, v64, s0
	v_cmp_gt_i32_e64 s0, s11, v42
	v_cndmask_b32_e64 v12, 0, v58, s0
	v_cmp_gt_i32_e64 s0, s11, v39
	v_or_b32_e32 v63, v12, v11
	v_cndmask_b32_e64 v10, 0, v10, s0
	v_cmp_gt_i32_e64 s0, s11, v37
	v_cndmask_b32_e64 v1, 0, v1, s0
	v_cmp_gt_i32_e64 s0, s11, v36
	v_or_b32_e32 v59, v1, v10
	;; [unrolled: 5-line block ×3, first 2 shown]
	v_cndmask_b32_e64 v57, 0, v57, s0
	v_cmp_gt_i32_e64 s0, s11, v27
	v_cndmask_b32_e64 v9, 0, v9, s0
	v_or_b32_e32 v61, v9, v57
.LBB291_1128:                           ;   in Loop: Header=BB291_666 Depth=1
	s_or_b32 exec_lo, exec_lo, s13
	;;#ASMSTART
	v_pk_mul_f16 v1, v44, v63;

	;;#ASMEND
	;;#ASMSTART
	v_pk_mul_f16 v9, v41, v59;

	;;#ASMEND
	;; [unrolled: 4-line block ×4, first 2 shown]
	;;#ASMSTART
	v_pk_add_f16 v1, v1, v9;

	;;#ASMEND
	;;#ASMSTART
	v_pk_add_f16 v1, v1, v10;

	;;#ASMEND
	;; [unrolled: 4-line block ×3, first 2 shown]
	v_and_b32_e32 v9, 0xffff, v1
	v_lshrrev_b32_e32 v1, 16, v1
	;;#ASMSTART
	v_cvt_f32_f16 v56, v9;
	;;#ASMEND
	;;#ASMSTART
	v_cvt_f32_f16 v57, v1;
	;;#ASMEND
	global_load_dwordx2 v[9:10], v[7:8], off offset:1792
	v_mov_b32_e32 v59, 0
	v_mov_b32_e32 v60, 0
	global_load_dword v58, v59, s[14:15]
	s_waitcnt vmcnt(1)
	v_cmp_ne_u16_sdwa s0, v9, v2 src0_sel:BYTE_0 src1_sel:DWORD
	s_and_saveexec_b32 s13, s0
	s_cbranch_execz .LBB291_1136
; %bb.1129:                             ;   in Loop: Header=BB291_666 Depth=1
	v_cmp_ne_u16_sdwa s0, v9, v28 src0_sel:BYTE_0 src1_sel:DWORD
	v_mov_b32_e32 v60, 0x8000
	s_and_saveexec_b32 s17, s0
	s_cbranch_execz .LBB291_1135
; %bb.1130:                             ;   in Loop: Header=BB291_666 Depth=1
	v_and_b32_e32 v61, 0x7f, v9
	v_mov_b32_e32 v60, 0x7c01
	s_mov_b32 s18, exec_lo
	v_cmpx_ne_u32_e32 0x7f, v61
	s_cbranch_execz .LBB291_1134
; %bb.1131:                             ;   in Loop: Header=BB291_666 Depth=1
	v_and_b32_e32 v1, 7, v9
	v_lshrrev_b32_e32 v60, 3, v61
	s_mov_b32 s19, exec_lo
	v_cmpx_gt_u32_e32 8, v61
; %bb.1132:                             ;   in Loop: Header=BB291_666 Depth=1
	v_ffbh_u32_e32 v1, v1
	v_min_u32_e32 v1, 32, v1
	v_subrev_nc_u32_e32 v11, 28, v1
	v_sub_nc_u32_e32 v60, 29, v1
	v_lshlrev_b64 v[11:12], v11, v[9:10]
	v_and_b32_e32 v1, 7, v11
; %bb.1133:                             ;   in Loop: Header=BB291_666 Depth=1
	s_or_b32 exec_lo, exec_lo, s19
	v_lshlrev_b32_e32 v11, 8, v9
	v_lshl_add_u32 v12, v60, 10, 0x2000
	v_lshlrev_b32_e32 v1, 7, v1
	v_and_b32_e32 v11, 0x8000, v11
	v_and_b32_e32 v12, 0xfc00, v12
	v_or3_b32 v60, v11, v12, v1
.LBB291_1134:                           ;   in Loop: Header=BB291_666 Depth=1
	s_or_b32 exec_lo, exec_lo, s18
.LBB291_1135:                           ;   in Loop: Header=BB291_666 Depth=1
	s_or_b32 exec_lo, exec_lo, s17
.LBB291_1136:                           ;   in Loop: Header=BB291_666 Depth=1
	s_or_b32 exec_lo, exec_lo, s13
	v_lshrrev_b16 v1, 8, v9
	s_mov_b32 s13, exec_lo
	v_cmpx_ne_u16_e32 0, v1
	s_cbranch_execz .LBB291_1144
; %bb.1137:                             ;   in Loop: Header=BB291_666 Depth=1
	v_bfrev_b32_e32 v59, 1
	s_mov_b32 s17, exec_lo
	v_cmpx_ne_u16_e32 0x80, v1
	s_cbranch_execz .LBB291_1143
; %bb.1138:                             ;   in Loop: Header=BB291_666 Depth=1
	v_and_b32_sdwa v62, v1, v29 dst_sel:DWORD dst_unused:UNUSED_PAD src0_sel:WORD_0 src1_sel:DWORD
	v_mov_b32_e32 v59, 0x7c010000
	s_mov_b32 s18, exec_lo
	v_cmpx_ne_u32_e32 0x7f, v62
	s_cbranch_execz .LBB291_1142
; %bb.1139:                             ;   in Loop: Header=BB291_666 Depth=1
	v_and_b32_sdwa v59, v1, v30 dst_sel:DWORD dst_unused:UNUSED_PAD src0_sel:WORD_0 src1_sel:DWORD
	v_lshrrev_b32_e32 v61, 3, v62
	s_mov_b32 s19, exec_lo
	v_cmpx_gt_u32_e32 8, v62
; %bb.1140:                             ;   in Loop: Header=BB291_666 Depth=1
	v_ffbh_u32_e32 v11, v59
	v_min_u32_e32 v59, 32, v11
	v_subrev_nc_u32_e32 v11, 28, v59
	v_sub_nc_u32_e32 v61, 29, v59
	v_lshlrev_b64 v[11:12], v11, v[1:2]
	v_and_b32_e32 v59, 7, v11
; %bb.1141:                             ;   in Loop: Header=BB291_666 Depth=1
	s_or_b32 exec_lo, exec_lo, s19
	v_lshlrev_b32_sdwa v1, v31, v1 dst_sel:DWORD dst_unused:UNUSED_PAD src0_sel:DWORD src1_sel:WORD_0
	v_lshl_add_u32 v11, v61, 10, 0x2000
	v_and_or_b32 v1, 0x8000, v1, v11
	v_lshlrev_b32_e32 v11, 23, v59
	v_lshl_or_b32 v59, v1, 16, v11
.LBB291_1142:                           ;   in Loop: Header=BB291_666 Depth=1
	s_or_b32 exec_lo, exec_lo, s18
.LBB291_1143:                           ;   in Loop: Header=BB291_666 Depth=1
	s_or_b32 exec_lo, exec_lo, s17
.LBB291_1144:                           ;   in Loop: Header=BB291_666 Depth=1
	s_or_b32 exec_lo, exec_lo, s13
	v_lshrrev_b32_e32 v1, 16, v9
	v_mov_b32_e32 v61, 0
	v_mov_b32_e32 v62, 0
	v_cmp_ne_u16_sdwa s0, v1, v2 src0_sel:BYTE_0 src1_sel:DWORD
	s_and_saveexec_b32 s13, s0
	s_cbranch_execz .LBB291_1152
; %bb.1145:                             ;   in Loop: Header=BB291_666 Depth=1
	v_cmp_ne_u16_sdwa s0, v1, v28 src0_sel:BYTE_0 src1_sel:DWORD
	v_mov_b32_e32 v62, 0x8000
	s_and_saveexec_b32 s17, s0
	s_cbranch_execz .LBB291_1151
; %bb.1146:                             ;   in Loop: Header=BB291_666 Depth=1
	v_bfe_u32 v64, v9, 16, 7
	v_mov_b32_e32 v62, 0x7c01
	s_mov_b32 s18, exec_lo
	v_cmpx_ne_u32_e32 0x7f, v64
	s_cbranch_execz .LBB291_1150
; %bb.1147:                             ;   in Loop: Header=BB291_666 Depth=1
	v_and_b32_e32 v62, 7, v1
	v_lshrrev_b32_e32 v63, 3, v64
	s_mov_b32 s19, exec_lo
	v_cmpx_gt_u32_e32 8, v64
; %bb.1148:                             ;   in Loop: Header=BB291_666 Depth=1
	v_ffbh_u32_e32 v11, v62
	v_min_u32_e32 v62, 32, v11
	v_subrev_nc_u32_e32 v11, 28, v62
	v_sub_nc_u32_e32 v63, 29, v62
	v_lshlrev_b64 v[11:12], v11, v[1:2]
	v_and_b32_e32 v62, 7, v11
; %bb.1149:                             ;   in Loop: Header=BB291_666 Depth=1
	s_or_b32 exec_lo, exec_lo, s19
	v_lshlrev_b32_e32 v1, 8, v1
	v_lshl_add_u32 v11, v63, 10, 0x2000
	v_lshlrev_b32_e32 v12, 7, v62
	v_and_b32_e32 v1, 0x8000, v1
	v_and_b32_e32 v11, 0xfc00, v11
	v_or3_b32 v62, v1, v11, v12
.LBB291_1150:                           ;   in Loop: Header=BB291_666 Depth=1
	s_or_b32 exec_lo, exec_lo, s18
.LBB291_1151:                           ;   in Loop: Header=BB291_666 Depth=1
	s_or_b32 exec_lo, exec_lo, s17
.LBB291_1152:                           ;   in Loop: Header=BB291_666 Depth=1
	s_or_b32 exec_lo, exec_lo, s13
	s_mov_b32 s13, exec_lo
	v_cmpx_lt_u32_e32 0xffffff, v9
	s_cbranch_execz .LBB291_1160
; %bb.1153:                             ;   in Loop: Header=BB291_666 Depth=1
	v_lshrrev_b32_e32 v1, 24, v9
	v_bfrev_b32_e32 v61, 1
	s_mov_b32 s17, exec_lo
	v_cmpx_ne_u32_e32 0x80, v1
	s_cbranch_execz .LBB291_1159
; %bb.1154:                             ;   in Loop: Header=BB291_666 Depth=1
	v_and_b32_e32 v64, 0x7f, v1
	v_mov_b32_e32 v61, 0x7c010000
	s_mov_b32 s18, exec_lo
	v_cmpx_ne_u32_e32 0x7f, v64
	s_cbranch_execz .LBB291_1158
; %bb.1155:                             ;   in Loop: Header=BB291_666 Depth=1
	v_and_b32_e32 v61, 7, v1
	v_lshrrev_b32_e32 v63, 3, v64
	s_mov_b32 s19, exec_lo
	v_cmpx_gt_u32_e32 8, v64
; %bb.1156:                             ;   in Loop: Header=BB291_666 Depth=1
	v_ffbh_u32_e32 v11, v61
	v_min_u32_e32 v61, 32, v11
	v_subrev_nc_u32_e32 v11, 28, v61
	v_sub_nc_u32_e32 v63, 29, v61
	v_lshlrev_b64 v[11:12], v11, v[1:2]
	v_and_b32_e32 v61, 7, v11
; %bb.1157:                             ;   in Loop: Header=BB291_666 Depth=1
	s_or_b32 exec_lo, exec_lo, s19
	v_lshlrev_b32_e32 v1, 8, v1
	v_lshl_add_u32 v11, v63, 10, 0x2000
	v_and_or_b32 v1, 0x8000, v1, v11
	v_lshlrev_b32_e32 v11, 23, v61
	v_lshl_or_b32 v61, v1, 16, v11
.LBB291_1158:                           ;   in Loop: Header=BB291_666 Depth=1
	s_or_b32 exec_lo, exec_lo, s18
.LBB291_1159:                           ;   in Loop: Header=BB291_666 Depth=1
	s_or_b32 exec_lo, exec_lo, s17
.LBB291_1160:                           ;   in Loop: Header=BB291_666 Depth=1
	s_or_b32 exec_lo, exec_lo, s13
	v_mov_b32_e32 v1, v10
	v_cmp_ne_u16_sdwa s0, v10, v2 src0_sel:BYTE_0 src1_sel:DWORD
	v_mov_b32_e32 v63, 0
	v_mov_b32_e32 v64, 0
	s_and_saveexec_b32 s13, s0
	s_cbranch_execz .LBB291_1168
; %bb.1161:                             ;   in Loop: Header=BB291_666 Depth=1
	v_cmp_ne_u16_sdwa s0, v10, v28 src0_sel:BYTE_0 src1_sel:DWORD
	v_mov_b32_e32 v64, 0x8000
	s_and_saveexec_b32 s17, s0
	s_cbranch_execz .LBB291_1167
; %bb.1162:                             ;   in Loop: Header=BB291_666 Depth=1
	v_and_b32_e32 v66, 0x7f, v10
	v_mov_b32_e32 v64, 0x7c01
	s_mov_b32 s18, exec_lo
	v_cmpx_ne_u32_e32 0x7f, v66
	s_cbranch_execz .LBB291_1166
; %bb.1163:                             ;   in Loop: Header=BB291_666 Depth=1
	v_and_b32_e32 v64, 7, v10
	v_lshrrev_b32_e32 v65, 3, v66
	s_mov_b32 s19, exec_lo
	v_cmpx_gt_u32_e32 8, v66
; %bb.1164:                             ;   in Loop: Header=BB291_666 Depth=1
	v_ffbh_u32_e32 v11, v64
	v_min_u32_e32 v64, 32, v11
	v_subrev_nc_u32_e32 v11, 28, v64
	v_sub_nc_u32_e32 v65, 29, v64
	v_lshlrev_b64 v[11:12], v11, v[1:2]
	v_and_b32_e32 v64, 7, v11
; %bb.1165:                             ;   in Loop: Header=BB291_666 Depth=1
	s_or_b32 exec_lo, exec_lo, s19
	v_lshlrev_b32_e32 v11, 8, v10
	v_lshl_add_u32 v12, v65, 10, 0x2000
	v_lshlrev_b32_e32 v64, 7, v64
	v_and_b32_e32 v11, 0x8000, v11
	v_and_b32_e32 v12, 0xfc00, v12
	v_or3_b32 v64, v11, v12, v64
.LBB291_1166:                           ;   in Loop: Header=BB291_666 Depth=1
	s_or_b32 exec_lo, exec_lo, s18
.LBB291_1167:                           ;   in Loop: Header=BB291_666 Depth=1
	s_or_b32 exec_lo, exec_lo, s17
.LBB291_1168:                           ;   in Loop: Header=BB291_666 Depth=1
	s_or_b32 exec_lo, exec_lo, s13
	v_lshrrev_b16 v1, 8, v1
	v_mov_b32_e32 v65, 0
	s_mov_b32 s13, exec_lo
	v_cmpx_ne_u16_e32 0, v1
	s_cbranch_execz .LBB291_1176
; %bb.1169:                             ;   in Loop: Header=BB291_666 Depth=1
	v_bfrev_b32_e32 v65, 1
	s_mov_b32 s17, exec_lo
	v_cmpx_ne_u16_e32 0x80, v1
	s_cbranch_execz .LBB291_1175
; %bb.1170:                             ;   in Loop: Header=BB291_666 Depth=1
	v_and_b32_sdwa v67, v1, v29 dst_sel:DWORD dst_unused:UNUSED_PAD src0_sel:WORD_0 src1_sel:DWORD
	v_mov_b32_e32 v65, 0x7c010000
	s_mov_b32 s18, exec_lo
	v_cmpx_ne_u32_e32 0x7f, v67
	s_cbranch_execz .LBB291_1174
; %bb.1171:                             ;   in Loop: Header=BB291_666 Depth=1
	v_and_b32_sdwa v65, v1, v30 dst_sel:DWORD dst_unused:UNUSED_PAD src0_sel:WORD_0 src1_sel:DWORD
	v_lshrrev_b32_e32 v66, 3, v67
	s_mov_b32 s19, exec_lo
	v_cmpx_gt_u32_e32 8, v67
; %bb.1172:                             ;   in Loop: Header=BB291_666 Depth=1
	v_ffbh_u32_e32 v11, v65
	v_min_u32_e32 v65, 32, v11
	v_subrev_nc_u32_e32 v11, 28, v65
	v_sub_nc_u32_e32 v66, 29, v65
	v_lshlrev_b64 v[11:12], v11, v[1:2]
	v_and_b32_e32 v65, 7, v11
; %bb.1173:                             ;   in Loop: Header=BB291_666 Depth=1
	s_or_b32 exec_lo, exec_lo, s19
	v_lshlrev_b32_sdwa v1, v31, v1 dst_sel:DWORD dst_unused:UNUSED_PAD src0_sel:DWORD src1_sel:WORD_0
	v_lshl_add_u32 v11, v66, 10, 0x2000
	v_and_or_b32 v1, 0x8000, v1, v11
	v_lshlrev_b32_e32 v11, 23, v65
	v_lshl_or_b32 v65, v1, 16, v11
.LBB291_1174:                           ;   in Loop: Header=BB291_666 Depth=1
	s_or_b32 exec_lo, exec_lo, s18
.LBB291_1175:                           ;   in Loop: Header=BB291_666 Depth=1
	s_or_b32 exec_lo, exec_lo, s17
.LBB291_1176:                           ;   in Loop: Header=BB291_666 Depth=1
	s_or_b32 exec_lo, exec_lo, s13
	v_lshrrev_b32_e32 v1, 16, v10
	v_cmp_ne_u16_sdwa s0, v1, v2 src0_sel:BYTE_0 src1_sel:DWORD
	s_and_saveexec_b32 s13, s0
	s_cbranch_execz .LBB291_1184
; %bb.1177:                             ;   in Loop: Header=BB291_666 Depth=1
	v_cmp_ne_u16_sdwa s0, v1, v28 src0_sel:BYTE_0 src1_sel:DWORD
	v_mov_b32_e32 v63, 0x8000
	s_and_saveexec_b32 s17, s0
	s_cbranch_execz .LBB291_1183
; %bb.1178:                             ;   in Loop: Header=BB291_666 Depth=1
	v_bfe_u32 v67, v10, 16, 7
	v_mov_b32_e32 v63, 0x7c01
	s_mov_b32 s18, exec_lo
	v_cmpx_ne_u32_e32 0x7f, v67
	s_cbranch_execz .LBB291_1182
; %bb.1179:                             ;   in Loop: Header=BB291_666 Depth=1
	v_and_b32_e32 v63, 7, v1
	v_lshrrev_b32_e32 v66, 3, v67
	s_mov_b32 s19, exec_lo
	v_cmpx_gt_u32_e32 8, v67
; %bb.1180:                             ;   in Loop: Header=BB291_666 Depth=1
	v_ffbh_u32_e32 v11, v63
	v_min_u32_e32 v63, 32, v11
	v_subrev_nc_u32_e32 v11, 28, v63
	v_sub_nc_u32_e32 v66, 29, v63
	v_lshlrev_b64 v[11:12], v11, v[1:2]
	v_and_b32_e32 v63, 7, v11
; %bb.1181:                             ;   in Loop: Header=BB291_666 Depth=1
	s_or_b32 exec_lo, exec_lo, s19
	v_lshlrev_b32_e32 v1, 8, v1
	v_lshl_add_u32 v11, v66, 10, 0x2000
	v_lshlrev_b32_e32 v12, 7, v63
	v_and_b32_e32 v1, 0x8000, v1
	v_and_b32_e32 v11, 0xfc00, v11
	v_or3_b32 v63, v1, v11, v12
.LBB291_1182:                           ;   in Loop: Header=BB291_666 Depth=1
	s_or_b32 exec_lo, exec_lo, s18
.LBB291_1183:                           ;   in Loop: Header=BB291_666 Depth=1
	s_or_b32 exec_lo, exec_lo, s17
.LBB291_1184:                           ;   in Loop: Header=BB291_666 Depth=1
	s_or_b32 exec_lo, exec_lo, s13
	v_cmp_lt_u64_e64 s0, s[2:3], v[9:10]
	v_mov_b32_e32 v9, 0
	s_and_saveexec_b32 s13, s0
	s_cbranch_execz .LBB291_1192
; %bb.1185:                             ;   in Loop: Header=BB291_666 Depth=1
	v_lshrrev_b32_e32 v1, 24, v10
	v_bfrev_b32_e32 v9, 1
	s_mov_b32 s17, exec_lo
	v_cmpx_ne_u32_e32 0x80, v1
	s_cbranch_execz .LBB291_1191
; %bb.1186:                             ;   in Loop: Header=BB291_666 Depth=1
	v_and_b32_e32 v66, 0x7f, v1
	v_mov_b32_e32 v9, 0x7c010000
	s_mov_b32 s18, exec_lo
	v_cmpx_ne_u32_e32 0x7f, v66
	s_cbranch_execz .LBB291_1190
; %bb.1187:                             ;   in Loop: Header=BB291_666 Depth=1
	v_and_b32_e32 v9, 7, v1
	v_lshrrev_b32_e32 v10, 3, v66
	s_mov_b32 s19, exec_lo
	v_cmpx_gt_u32_e32 8, v66
; %bb.1188:                             ;   in Loop: Header=BB291_666 Depth=1
	v_ffbh_u32_e32 v9, v9
	v_min_u32_e32 v11, 32, v9
	v_subrev_nc_u32_e32 v9, 28, v11
	v_lshlrev_b64 v[9:10], v9, v[1:2]
	v_sub_nc_u32_e32 v10, 29, v11
	v_and_b32_e32 v9, 7, v9
; %bb.1189:                             ;   in Loop: Header=BB291_666 Depth=1
	s_or_b32 exec_lo, exec_lo, s19
	v_lshlrev_b32_e32 v1, 8, v1
	v_lshl_add_u32 v10, v10, 10, 0x2000
	v_lshlrev_b32_e32 v9, 23, v9
	v_and_or_b32 v1, 0x8000, v1, v10
	v_lshl_or_b32 v9, v1, 16, v9
.LBB291_1190:                           ;   in Loop: Header=BB291_666 Depth=1
	s_or_b32 exec_lo, exec_lo, s18
.LBB291_1191:                           ;   in Loop: Header=BB291_666 Depth=1
	s_or_b32 exec_lo, exec_lo, s17
.LBB291_1192:                           ;   in Loop: Header=BB291_666 Depth=1
	s_or_b32 exec_lo, exec_lo, s13
	v_or_b32_e32 v1, v61, v62
	s_waitcnt vmcnt(0)
	v_fma_mixlo_f16 v10, v58, v61, 0 op_sel:[0,1,0] op_sel_hi:[0,1,0]
	v_or_b32_e32 v11, v59, v60
	v_fma_mixlo_f16 v12, v58, v59, 0 op_sel:[0,1,0] op_sel_hi:[0,1,0]
	v_or_b32_e32 v59, v65, v64
	v_fma_mixlo_f16 v61, v58, v1, 0 op_sel_hi:[0,1,0]
	v_or_b32_e32 v62, v9, v63
	v_lshlrev_b32_e32 v1, 16, v10
	v_lshlrev_b32_e32 v60, 16, v12
	v_fma_mixlo_f16 v11, v58, v11, 0 op_sel_hi:[0,1,0]
	v_and_b32_e32 v10, 0xffff, v61
	v_fma_mixlo_f16 v12, v58, v65, 0 op_sel:[0,1,0] op_sel_hi:[0,1,0]
	v_fma_mixlo_f16 v59, v58, v59, 0 op_sel_hi:[0,1,0]
	v_fma_mixlo_f16 v9, v58, v9, 0 op_sel:[0,1,0] op_sel_hi:[0,1,0]
	v_fma_mixlo_f16 v61, v58, v62, 0 op_sel_hi:[0,1,0]
	v_and_b32_e32 v66, 0xffff, v11
	v_lshlrev_b32_e32 v58, 16, v12
	v_and_b32_e32 v62, 0xffff, v59
	v_lshlrev_b32_e32 v9, 16, v9
	v_and_b32_e32 v59, 0xffff, v61
	v_or_b32_e32 v61, v1, v10
	v_or_b32_e32 v65, v60, v66
	;; [unrolled: 1-line block ×4, first 2 shown]
	s_and_saveexec_b32 s13, vcc_lo
	s_cbranch_execz .LBB291_1194
; %bb.1193:                             ;   in Loop: Header=BB291_666 Depth=1
	v_cmp_gt_i32_e64 s0, s11, v33
	v_cndmask_b32_e64 v11, 0, v66, s0
	v_cmp_gt_i32_e64 s0, s11, v42
	v_cndmask_b32_e64 v12, 0, v60, s0
	v_cmp_gt_i32_e64 s0, s11, v39
	v_or_b32_e32 v65, v12, v11
	v_cndmask_b32_e64 v10, 0, v10, s0
	v_cmp_gt_i32_e64 s0, s11, v37
	v_cndmask_b32_e64 v1, 0, v1, s0
	v_cmp_gt_i32_e64 s0, s11, v36
	v_or_b32_e32 v61, v1, v10
	;; [unrolled: 5-line block ×3, first 2 shown]
	v_cndmask_b32_e64 v59, 0, v59, s0
	v_cmp_gt_i32_e64 s0, s11, v27
	v_cndmask_b32_e64 v9, 0, v9, s0
	v_or_b32_e32 v63, v9, v59
.LBB291_1194:                           ;   in Loop: Header=BB291_666 Depth=1
	s_or_b32 exec_lo, exec_lo, s13
	v_add_co_u32 v7, s0, 0x800, v7
	v_add_co_ci_u32_e64 v8, null, 0, v8, s0
	;;#ASMSTART
	v_pk_mul_f16 v1, v44, v65;

	;;#ASMEND
	;;#ASMSTART
	v_pk_mul_f16 v9, v41, v61;

	;;#ASMEND
	;; [unrolled: 4-line block ×4, first 2 shown]
	;;#ASMSTART
	v_pk_add_f16 v1, v1, v9;

	;;#ASMEND
	;;#ASMSTART
	v_pk_add_f16 v1, v1, v10;

	;;#ASMEND
	;; [unrolled: 4-line block ×3, first 2 shown]
	v_lshrrev_b32_e32 v9, 16, v1
	v_and_b32_e32 v1, 0xffff, v1
	;;#ASMSTART
	v_cvt_f32_f16 v58, v1;
	;;#ASMEND
	;;#ASMSTART
	v_cvt_f32_f16 v59, v9;
	;;#ASMEND
	global_load_dwordx2 v[9:10], v[7:8], off
	v_mov_b32_e32 v61, 0
	v_mov_b32_e32 v62, 0
	global_load_dword v60, v61, s[14:15]
	s_waitcnt vmcnt(1)
	v_cmp_ne_u16_sdwa s0, v9, v2 src0_sel:BYTE_0 src1_sel:DWORD
	s_and_saveexec_b32 s13, s0
	s_cbranch_execz .LBB291_1202
; %bb.1195:                             ;   in Loop: Header=BB291_666 Depth=1
	v_cmp_ne_u16_sdwa s0, v9, v28 src0_sel:BYTE_0 src1_sel:DWORD
	v_mov_b32_e32 v62, 0x8000
	s_and_saveexec_b32 s17, s0
	s_cbranch_execz .LBB291_1201
; %bb.1196:                             ;   in Loop: Header=BB291_666 Depth=1
	v_and_b32_e32 v63, 0x7f, v9
	v_mov_b32_e32 v62, 0x7c01
	s_mov_b32 s18, exec_lo
	v_cmpx_ne_u32_e32 0x7f, v63
	s_cbranch_execz .LBB291_1200
; %bb.1197:                             ;   in Loop: Header=BB291_666 Depth=1
	v_and_b32_e32 v1, 7, v9
	v_lshrrev_b32_e32 v62, 3, v63
	s_mov_b32 s19, exec_lo
	v_cmpx_gt_u32_e32 8, v63
; %bb.1198:                             ;   in Loop: Header=BB291_666 Depth=1
	v_ffbh_u32_e32 v1, v1
	v_min_u32_e32 v1, 32, v1
	v_subrev_nc_u32_e32 v11, 28, v1
	v_sub_nc_u32_e32 v62, 29, v1
	v_lshlrev_b64 v[11:12], v11, v[9:10]
	v_and_b32_e32 v1, 7, v11
; %bb.1199:                             ;   in Loop: Header=BB291_666 Depth=1
	s_or_b32 exec_lo, exec_lo, s19
	v_lshlrev_b32_e32 v11, 8, v9
	v_lshl_add_u32 v12, v62, 10, 0x2000
	v_lshlrev_b32_e32 v1, 7, v1
	v_and_b32_e32 v11, 0x8000, v11
	v_and_b32_e32 v12, 0xfc00, v12
	v_or3_b32 v62, v11, v12, v1
.LBB291_1200:                           ;   in Loop: Header=BB291_666 Depth=1
	s_or_b32 exec_lo, exec_lo, s18
.LBB291_1201:                           ;   in Loop: Header=BB291_666 Depth=1
	s_or_b32 exec_lo, exec_lo, s17
.LBB291_1202:                           ;   in Loop: Header=BB291_666 Depth=1
	s_or_b32 exec_lo, exec_lo, s13
	v_lshrrev_b16 v1, 8, v9
	s_mov_b32 s13, exec_lo
	v_cmpx_ne_u16_e32 0, v1
	s_cbranch_execz .LBB291_1210
; %bb.1203:                             ;   in Loop: Header=BB291_666 Depth=1
	v_bfrev_b32_e32 v61, 1
	s_mov_b32 s17, exec_lo
	v_cmpx_ne_u16_e32 0x80, v1
	s_cbranch_execz .LBB291_1209
; %bb.1204:                             ;   in Loop: Header=BB291_666 Depth=1
	v_and_b32_sdwa v64, v1, v29 dst_sel:DWORD dst_unused:UNUSED_PAD src0_sel:WORD_0 src1_sel:DWORD
	v_mov_b32_e32 v61, 0x7c010000
	s_mov_b32 s18, exec_lo
	v_cmpx_ne_u32_e32 0x7f, v64
	s_cbranch_execz .LBB291_1208
; %bb.1205:                             ;   in Loop: Header=BB291_666 Depth=1
	v_and_b32_sdwa v61, v1, v30 dst_sel:DWORD dst_unused:UNUSED_PAD src0_sel:WORD_0 src1_sel:DWORD
	v_lshrrev_b32_e32 v63, 3, v64
	s_mov_b32 s19, exec_lo
	v_cmpx_gt_u32_e32 8, v64
; %bb.1206:                             ;   in Loop: Header=BB291_666 Depth=1
	v_ffbh_u32_e32 v11, v61
	v_min_u32_e32 v61, 32, v11
	v_subrev_nc_u32_e32 v11, 28, v61
	v_sub_nc_u32_e32 v63, 29, v61
	v_lshlrev_b64 v[11:12], v11, v[1:2]
	v_and_b32_e32 v61, 7, v11
; %bb.1207:                             ;   in Loop: Header=BB291_666 Depth=1
	s_or_b32 exec_lo, exec_lo, s19
	v_lshlrev_b32_sdwa v1, v31, v1 dst_sel:DWORD dst_unused:UNUSED_PAD src0_sel:DWORD src1_sel:WORD_0
	v_lshl_add_u32 v11, v63, 10, 0x2000
	v_and_or_b32 v1, 0x8000, v1, v11
	v_lshlrev_b32_e32 v11, 23, v61
	v_lshl_or_b32 v61, v1, 16, v11
.LBB291_1208:                           ;   in Loop: Header=BB291_666 Depth=1
	s_or_b32 exec_lo, exec_lo, s18
.LBB291_1209:                           ;   in Loop: Header=BB291_666 Depth=1
	s_or_b32 exec_lo, exec_lo, s17
.LBB291_1210:                           ;   in Loop: Header=BB291_666 Depth=1
	s_or_b32 exec_lo, exec_lo, s13
	v_lshrrev_b32_e32 v1, 16, v9
	v_mov_b32_e32 v63, 0
	v_mov_b32_e32 v64, 0
	v_cmp_ne_u16_sdwa s0, v1, v2 src0_sel:BYTE_0 src1_sel:DWORD
	s_and_saveexec_b32 s13, s0
	s_cbranch_execz .LBB291_1218
; %bb.1211:                             ;   in Loop: Header=BB291_666 Depth=1
	v_cmp_ne_u16_sdwa s0, v1, v28 src0_sel:BYTE_0 src1_sel:DWORD
	v_mov_b32_e32 v64, 0x8000
	s_and_saveexec_b32 s17, s0
	s_cbranch_execz .LBB291_1217
; %bb.1212:                             ;   in Loop: Header=BB291_666 Depth=1
	v_bfe_u32 v66, v9, 16, 7
	v_mov_b32_e32 v64, 0x7c01
	s_mov_b32 s18, exec_lo
	v_cmpx_ne_u32_e32 0x7f, v66
	s_cbranch_execz .LBB291_1216
; %bb.1213:                             ;   in Loop: Header=BB291_666 Depth=1
	v_and_b32_e32 v64, 7, v1
	v_lshrrev_b32_e32 v65, 3, v66
	s_mov_b32 s19, exec_lo
	v_cmpx_gt_u32_e32 8, v66
; %bb.1214:                             ;   in Loop: Header=BB291_666 Depth=1
	v_ffbh_u32_e32 v11, v64
	v_min_u32_e32 v64, 32, v11
	v_subrev_nc_u32_e32 v11, 28, v64
	v_sub_nc_u32_e32 v65, 29, v64
	v_lshlrev_b64 v[11:12], v11, v[1:2]
	v_and_b32_e32 v64, 7, v11
; %bb.1215:                             ;   in Loop: Header=BB291_666 Depth=1
	s_or_b32 exec_lo, exec_lo, s19
	v_lshlrev_b32_e32 v1, 8, v1
	v_lshl_add_u32 v11, v65, 10, 0x2000
	v_lshlrev_b32_e32 v12, 7, v64
	v_and_b32_e32 v1, 0x8000, v1
	v_and_b32_e32 v11, 0xfc00, v11
	v_or3_b32 v64, v1, v11, v12
.LBB291_1216:                           ;   in Loop: Header=BB291_666 Depth=1
	s_or_b32 exec_lo, exec_lo, s18
.LBB291_1217:                           ;   in Loop: Header=BB291_666 Depth=1
	s_or_b32 exec_lo, exec_lo, s17
.LBB291_1218:                           ;   in Loop: Header=BB291_666 Depth=1
	s_or_b32 exec_lo, exec_lo, s13
	s_mov_b32 s13, exec_lo
	v_cmpx_lt_u32_e32 0xffffff, v9
	s_cbranch_execz .LBB291_1226
; %bb.1219:                             ;   in Loop: Header=BB291_666 Depth=1
	v_lshrrev_b32_e32 v1, 24, v9
	v_bfrev_b32_e32 v63, 1
	s_mov_b32 s17, exec_lo
	v_cmpx_ne_u32_e32 0x80, v1
	s_cbranch_execz .LBB291_1225
; %bb.1220:                             ;   in Loop: Header=BB291_666 Depth=1
	v_and_b32_e32 v66, 0x7f, v1
	v_mov_b32_e32 v63, 0x7c010000
	s_mov_b32 s18, exec_lo
	v_cmpx_ne_u32_e32 0x7f, v66
	s_cbranch_execz .LBB291_1224
; %bb.1221:                             ;   in Loop: Header=BB291_666 Depth=1
	v_and_b32_e32 v63, 7, v1
	v_lshrrev_b32_e32 v65, 3, v66
	s_mov_b32 s19, exec_lo
	v_cmpx_gt_u32_e32 8, v66
; %bb.1222:                             ;   in Loop: Header=BB291_666 Depth=1
	v_ffbh_u32_e32 v11, v63
	v_min_u32_e32 v63, 32, v11
	v_subrev_nc_u32_e32 v11, 28, v63
	v_sub_nc_u32_e32 v65, 29, v63
	v_lshlrev_b64 v[11:12], v11, v[1:2]
	v_and_b32_e32 v63, 7, v11
; %bb.1223:                             ;   in Loop: Header=BB291_666 Depth=1
	s_or_b32 exec_lo, exec_lo, s19
	v_lshlrev_b32_e32 v1, 8, v1
	v_lshl_add_u32 v11, v65, 10, 0x2000
	v_and_or_b32 v1, 0x8000, v1, v11
	v_lshlrev_b32_e32 v11, 23, v63
	v_lshl_or_b32 v63, v1, 16, v11
.LBB291_1224:                           ;   in Loop: Header=BB291_666 Depth=1
	s_or_b32 exec_lo, exec_lo, s18
.LBB291_1225:                           ;   in Loop: Header=BB291_666 Depth=1
	s_or_b32 exec_lo, exec_lo, s17
.LBB291_1226:                           ;   in Loop: Header=BB291_666 Depth=1
	s_or_b32 exec_lo, exec_lo, s13
	v_mov_b32_e32 v1, v10
	v_cmp_ne_u16_sdwa s0, v10, v2 src0_sel:BYTE_0 src1_sel:DWORD
	v_mov_b32_e32 v65, 0
	v_mov_b32_e32 v66, 0
	s_and_saveexec_b32 s13, s0
	s_cbranch_execz .LBB291_1234
; %bb.1227:                             ;   in Loop: Header=BB291_666 Depth=1
	v_cmp_ne_u16_sdwa s0, v10, v28 src0_sel:BYTE_0 src1_sel:DWORD
	v_mov_b32_e32 v66, 0x8000
	s_and_saveexec_b32 s17, s0
	s_cbranch_execz .LBB291_1233
; %bb.1228:                             ;   in Loop: Header=BB291_666 Depth=1
	v_and_b32_e32 v68, 0x7f, v10
	v_mov_b32_e32 v66, 0x7c01
	s_mov_b32 s18, exec_lo
	v_cmpx_ne_u32_e32 0x7f, v68
	s_cbranch_execz .LBB291_1232
; %bb.1229:                             ;   in Loop: Header=BB291_666 Depth=1
	v_and_b32_e32 v66, 7, v10
	v_lshrrev_b32_e32 v67, 3, v68
	s_mov_b32 s19, exec_lo
	v_cmpx_gt_u32_e32 8, v68
; %bb.1230:                             ;   in Loop: Header=BB291_666 Depth=1
	v_ffbh_u32_e32 v11, v66
	v_min_u32_e32 v66, 32, v11
	v_subrev_nc_u32_e32 v11, 28, v66
	v_sub_nc_u32_e32 v67, 29, v66
	v_lshlrev_b64 v[11:12], v11, v[1:2]
	v_and_b32_e32 v66, 7, v11
; %bb.1231:                             ;   in Loop: Header=BB291_666 Depth=1
	s_or_b32 exec_lo, exec_lo, s19
	v_lshlrev_b32_e32 v11, 8, v10
	v_lshl_add_u32 v12, v67, 10, 0x2000
	v_lshlrev_b32_e32 v66, 7, v66
	v_and_b32_e32 v11, 0x8000, v11
	v_and_b32_e32 v12, 0xfc00, v12
	v_or3_b32 v66, v11, v12, v66
.LBB291_1232:                           ;   in Loop: Header=BB291_666 Depth=1
	s_or_b32 exec_lo, exec_lo, s18
.LBB291_1233:                           ;   in Loop: Header=BB291_666 Depth=1
	s_or_b32 exec_lo, exec_lo, s17
.LBB291_1234:                           ;   in Loop: Header=BB291_666 Depth=1
	s_or_b32 exec_lo, exec_lo, s13
	v_lshrrev_b16 v1, 8, v1
	v_mov_b32_e32 v67, 0
	s_mov_b32 s13, exec_lo
	v_cmpx_ne_u16_e32 0, v1
	s_cbranch_execz .LBB291_1242
; %bb.1235:                             ;   in Loop: Header=BB291_666 Depth=1
	v_bfrev_b32_e32 v67, 1
	s_mov_b32 s17, exec_lo
	v_cmpx_ne_u16_e32 0x80, v1
	s_cbranch_execz .LBB291_1241
; %bb.1236:                             ;   in Loop: Header=BB291_666 Depth=1
	v_and_b32_sdwa v69, v1, v29 dst_sel:DWORD dst_unused:UNUSED_PAD src0_sel:WORD_0 src1_sel:DWORD
	v_mov_b32_e32 v67, 0x7c010000
	s_mov_b32 s18, exec_lo
	v_cmpx_ne_u32_e32 0x7f, v69
	s_cbranch_execz .LBB291_1240
; %bb.1237:                             ;   in Loop: Header=BB291_666 Depth=1
	v_and_b32_sdwa v67, v1, v30 dst_sel:DWORD dst_unused:UNUSED_PAD src0_sel:WORD_0 src1_sel:DWORD
	v_lshrrev_b32_e32 v68, 3, v69
	s_mov_b32 s19, exec_lo
	v_cmpx_gt_u32_e32 8, v69
; %bb.1238:                             ;   in Loop: Header=BB291_666 Depth=1
	v_ffbh_u32_e32 v11, v67
	v_min_u32_e32 v67, 32, v11
	v_subrev_nc_u32_e32 v11, 28, v67
	v_sub_nc_u32_e32 v68, 29, v67
	v_lshlrev_b64 v[11:12], v11, v[1:2]
	v_and_b32_e32 v67, 7, v11
; %bb.1239:                             ;   in Loop: Header=BB291_666 Depth=1
	s_or_b32 exec_lo, exec_lo, s19
	v_lshlrev_b32_sdwa v1, v31, v1 dst_sel:DWORD dst_unused:UNUSED_PAD src0_sel:DWORD src1_sel:WORD_0
	v_lshl_add_u32 v11, v68, 10, 0x2000
	v_and_or_b32 v1, 0x8000, v1, v11
	v_lshlrev_b32_e32 v11, 23, v67
	v_lshl_or_b32 v67, v1, 16, v11
.LBB291_1240:                           ;   in Loop: Header=BB291_666 Depth=1
	s_or_b32 exec_lo, exec_lo, s18
.LBB291_1241:                           ;   in Loop: Header=BB291_666 Depth=1
	s_or_b32 exec_lo, exec_lo, s17
.LBB291_1242:                           ;   in Loop: Header=BB291_666 Depth=1
	s_or_b32 exec_lo, exec_lo, s13
	v_lshrrev_b32_e32 v1, 16, v10
	v_cmp_ne_u16_sdwa s0, v1, v2 src0_sel:BYTE_0 src1_sel:DWORD
	s_and_saveexec_b32 s13, s0
	s_cbranch_execz .LBB291_1250
; %bb.1243:                             ;   in Loop: Header=BB291_666 Depth=1
	v_cmp_ne_u16_sdwa s0, v1, v28 src0_sel:BYTE_0 src1_sel:DWORD
	v_mov_b32_e32 v65, 0x8000
	s_and_saveexec_b32 s17, s0
	s_cbranch_execz .LBB291_1249
; %bb.1244:                             ;   in Loop: Header=BB291_666 Depth=1
	v_bfe_u32 v69, v10, 16, 7
	v_mov_b32_e32 v65, 0x7c01
	s_mov_b32 s18, exec_lo
	v_cmpx_ne_u32_e32 0x7f, v69
	s_cbranch_execz .LBB291_1248
; %bb.1245:                             ;   in Loop: Header=BB291_666 Depth=1
	v_and_b32_e32 v65, 7, v1
	v_lshrrev_b32_e32 v68, 3, v69
	s_mov_b32 s19, exec_lo
	v_cmpx_gt_u32_e32 8, v69
; %bb.1246:                             ;   in Loop: Header=BB291_666 Depth=1
	v_ffbh_u32_e32 v11, v65
	v_min_u32_e32 v65, 32, v11
	v_subrev_nc_u32_e32 v11, 28, v65
	v_sub_nc_u32_e32 v68, 29, v65
	v_lshlrev_b64 v[11:12], v11, v[1:2]
	v_and_b32_e32 v65, 7, v11
; %bb.1247:                             ;   in Loop: Header=BB291_666 Depth=1
	s_or_b32 exec_lo, exec_lo, s19
	v_lshlrev_b32_e32 v1, 8, v1
	v_lshl_add_u32 v11, v68, 10, 0x2000
	v_lshlrev_b32_e32 v12, 7, v65
	v_and_b32_e32 v1, 0x8000, v1
	v_and_b32_e32 v11, 0xfc00, v11
	v_or3_b32 v65, v1, v11, v12
.LBB291_1248:                           ;   in Loop: Header=BB291_666 Depth=1
	s_or_b32 exec_lo, exec_lo, s18
.LBB291_1249:                           ;   in Loop: Header=BB291_666 Depth=1
	s_or_b32 exec_lo, exec_lo, s17
.LBB291_1250:                           ;   in Loop: Header=BB291_666 Depth=1
	s_or_b32 exec_lo, exec_lo, s13
	v_cmp_lt_u64_e64 s0, s[2:3], v[9:10]
	v_mov_b32_e32 v9, 0
	s_and_saveexec_b32 s13, s0
	s_cbranch_execz .LBB291_1258
; %bb.1251:                             ;   in Loop: Header=BB291_666 Depth=1
	v_lshrrev_b32_e32 v1, 24, v10
	v_bfrev_b32_e32 v9, 1
	s_mov_b32 s17, exec_lo
	v_cmpx_ne_u32_e32 0x80, v1
	s_cbranch_execz .LBB291_1257
; %bb.1252:                             ;   in Loop: Header=BB291_666 Depth=1
	v_and_b32_e32 v68, 0x7f, v1
	v_mov_b32_e32 v9, 0x7c010000
	s_mov_b32 s18, exec_lo
	v_cmpx_ne_u32_e32 0x7f, v68
	s_cbranch_execz .LBB291_1256
; %bb.1253:                             ;   in Loop: Header=BB291_666 Depth=1
	v_and_b32_e32 v9, 7, v1
	v_lshrrev_b32_e32 v10, 3, v68
	s_mov_b32 s19, exec_lo
	v_cmpx_gt_u32_e32 8, v68
; %bb.1254:                             ;   in Loop: Header=BB291_666 Depth=1
	v_ffbh_u32_e32 v9, v9
	v_min_u32_e32 v11, 32, v9
	v_subrev_nc_u32_e32 v9, 28, v11
	v_lshlrev_b64 v[9:10], v9, v[1:2]
	v_sub_nc_u32_e32 v10, 29, v11
	v_and_b32_e32 v9, 7, v9
; %bb.1255:                             ;   in Loop: Header=BB291_666 Depth=1
	s_or_b32 exec_lo, exec_lo, s19
	v_lshlrev_b32_e32 v1, 8, v1
	v_lshl_add_u32 v10, v10, 10, 0x2000
	v_lshlrev_b32_e32 v9, 23, v9
	v_and_or_b32 v1, 0x8000, v1, v10
	v_lshl_or_b32 v9, v1, 16, v9
.LBB291_1256:                           ;   in Loop: Header=BB291_666 Depth=1
	s_or_b32 exec_lo, exec_lo, s18
.LBB291_1257:                           ;   in Loop: Header=BB291_666 Depth=1
	s_or_b32 exec_lo, exec_lo, s17
.LBB291_1258:                           ;   in Loop: Header=BB291_666 Depth=1
	s_or_b32 exec_lo, exec_lo, s13
	v_or_b32_e32 v1, v63, v64
	s_waitcnt vmcnt(0)
	v_fma_mixlo_f16 v10, v60, v63, 0 op_sel:[0,1,0] op_sel_hi:[0,1,0]
	v_or_b32_e32 v11, v61, v62
	v_fma_mixlo_f16 v12, v60, v61, 0 op_sel:[0,1,0] op_sel_hi:[0,1,0]
	v_or_b32_e32 v61, v67, v66
	v_fma_mixlo_f16 v63, v60, v1, 0 op_sel_hi:[0,1,0]
	v_or_b32_e32 v64, v9, v65
	v_lshlrev_b32_e32 v1, 16, v10
	v_lshlrev_b32_e32 v62, 16, v12
	v_fma_mixlo_f16 v11, v60, v11, 0 op_sel_hi:[0,1,0]
	v_and_b32_e32 v10, 0xffff, v63
	v_fma_mixlo_f16 v12, v60, v67, 0 op_sel:[0,1,0] op_sel_hi:[0,1,0]
	v_fma_mixlo_f16 v61, v60, v61, 0 op_sel_hi:[0,1,0]
	v_fma_mixlo_f16 v9, v60, v9, 0 op_sel:[0,1,0] op_sel_hi:[0,1,0]
	v_fma_mixlo_f16 v63, v60, v64, 0 op_sel_hi:[0,1,0]
	v_and_b32_e32 v68, 0xffff, v11
	v_lshlrev_b32_e32 v60, 16, v12
	v_and_b32_e32 v64, 0xffff, v61
	v_lshlrev_b32_e32 v9, 16, v9
	v_and_b32_e32 v61, 0xffff, v63
	v_or_b32_e32 v63, v1, v10
	v_or_b32_e32 v67, v62, v68
	;; [unrolled: 1-line block ×4, first 2 shown]
	s_and_saveexec_b32 s13, vcc_lo
	s_cbranch_execz .LBB291_1260
; %bb.1259:                             ;   in Loop: Header=BB291_666 Depth=1
	v_cmp_gt_i32_e64 s0, s11, v33
	v_cndmask_b32_e64 v11, 0, v68, s0
	v_cmp_gt_i32_e64 s0, s11, v42
	v_cndmask_b32_e64 v12, 0, v62, s0
	v_cmp_gt_i32_e64 s0, s11, v39
	v_or_b32_e32 v67, v12, v11
	v_cndmask_b32_e64 v10, 0, v10, s0
	v_cmp_gt_i32_e64 s0, s11, v37
	v_cndmask_b32_e64 v1, 0, v1, s0
	v_cmp_gt_i32_e64 s0, s11, v36
	v_or_b32_e32 v63, v1, v10
	;; [unrolled: 5-line block ×3, first 2 shown]
	v_cndmask_b32_e64 v61, 0, v61, s0
	v_cmp_gt_i32_e64 s0, s11, v27
	v_cndmask_b32_e64 v9, 0, v9, s0
	v_or_b32_e32 v65, v9, v61
.LBB291_1260:                           ;   in Loop: Header=BB291_666 Depth=1
	s_or_b32 exec_lo, exec_lo, s13
	;;#ASMSTART
	v_pk_mul_f16 v1, v44, v67;

	;;#ASMEND
	;;#ASMSTART
	v_pk_mul_f16 v9, v41, v63;

	;;#ASMEND
	;; [unrolled: 4-line block ×4, first 2 shown]
	;;#ASMSTART
	v_pk_add_f16 v1, v1, v9;

	;;#ASMEND
	;;#ASMSTART
	v_pk_add_f16 v1, v1, v10;

	;;#ASMEND
	;; [unrolled: 4-line block ×3, first 2 shown]
	v_and_b32_e32 v9, 0xffff, v1
	v_lshrrev_b32_e32 v1, 16, v1
	;;#ASMSTART
	v_cvt_f32_f16 v9, v9;
	;;#ASMEND
	;;#ASMSTART
	v_cvt_f32_f16 v10, v1;
	;;#ASMEND
	global_load_dwordx2 v[7:8], v[7:8], off offset:256
	v_mov_b32_e32 v61, 0
	v_mov_b32_e32 v62, 0
	global_load_dword v60, v61, s[14:15]
	s_waitcnt vmcnt(1)
	v_cmp_ne_u16_sdwa s0, v7, v2 src0_sel:BYTE_0 src1_sel:DWORD
	s_and_saveexec_b32 s13, s0
	s_cbranch_execz .LBB291_1268
; %bb.1261:                             ;   in Loop: Header=BB291_666 Depth=1
	v_cmp_ne_u16_sdwa s0, v7, v28 src0_sel:BYTE_0 src1_sel:DWORD
	v_mov_b32_e32 v62, 0x8000
	s_and_saveexec_b32 s17, s0
	s_cbranch_execz .LBB291_1267
; %bb.1262:                             ;   in Loop: Header=BB291_666 Depth=1
	v_and_b32_e32 v63, 0x7f, v7
	v_mov_b32_e32 v62, 0x7c01
	s_mov_b32 s18, exec_lo
	v_cmpx_ne_u32_e32 0x7f, v63
	s_cbranch_execz .LBB291_1266
; %bb.1263:                             ;   in Loop: Header=BB291_666 Depth=1
	v_and_b32_e32 v1, 7, v7
	v_lshrrev_b32_e32 v62, 3, v63
	s_mov_b32 s19, exec_lo
	v_cmpx_gt_u32_e32 8, v63
; %bb.1264:                             ;   in Loop: Header=BB291_666 Depth=1
	v_ffbh_u32_e32 v1, v1
	v_min_u32_e32 v1, 32, v1
	v_subrev_nc_u32_e32 v11, 28, v1
	v_sub_nc_u32_e32 v62, 29, v1
	v_lshlrev_b64 v[11:12], v11, v[7:8]
	v_and_b32_e32 v1, 7, v11
; %bb.1265:                             ;   in Loop: Header=BB291_666 Depth=1
	s_or_b32 exec_lo, exec_lo, s19
	v_lshlrev_b32_e32 v11, 8, v7
	v_lshl_add_u32 v12, v62, 10, 0x2000
	v_lshlrev_b32_e32 v1, 7, v1
	v_and_b32_e32 v11, 0x8000, v11
	v_and_b32_e32 v12, 0xfc00, v12
	v_or3_b32 v62, v11, v12, v1
.LBB291_1266:                           ;   in Loop: Header=BB291_666 Depth=1
	s_or_b32 exec_lo, exec_lo, s18
.LBB291_1267:                           ;   in Loop: Header=BB291_666 Depth=1
	s_or_b32 exec_lo, exec_lo, s17
.LBB291_1268:                           ;   in Loop: Header=BB291_666 Depth=1
	s_or_b32 exec_lo, exec_lo, s13
	v_lshrrev_b16 v1, 8, v7
	s_mov_b32 s13, exec_lo
	v_cmpx_ne_u16_e32 0, v1
	s_cbranch_execz .LBB291_1276
; %bb.1269:                             ;   in Loop: Header=BB291_666 Depth=1
	v_bfrev_b32_e32 v61, 1
	s_mov_b32 s17, exec_lo
	v_cmpx_ne_u16_e32 0x80, v1
	s_cbranch_execz .LBB291_1275
; %bb.1270:                             ;   in Loop: Header=BB291_666 Depth=1
	v_and_b32_sdwa v64, v1, v29 dst_sel:DWORD dst_unused:UNUSED_PAD src0_sel:WORD_0 src1_sel:DWORD
	v_mov_b32_e32 v61, 0x7c010000
	s_mov_b32 s18, exec_lo
	v_cmpx_ne_u32_e32 0x7f, v64
	s_cbranch_execz .LBB291_1274
; %bb.1271:                             ;   in Loop: Header=BB291_666 Depth=1
	v_and_b32_sdwa v61, v1, v30 dst_sel:DWORD dst_unused:UNUSED_PAD src0_sel:WORD_0 src1_sel:DWORD
	v_lshrrev_b32_e32 v63, 3, v64
	s_mov_b32 s19, exec_lo
	v_cmpx_gt_u32_e32 8, v64
; %bb.1272:                             ;   in Loop: Header=BB291_666 Depth=1
	v_ffbh_u32_e32 v11, v61
	v_min_u32_e32 v61, 32, v11
	v_subrev_nc_u32_e32 v11, 28, v61
	v_sub_nc_u32_e32 v63, 29, v61
	v_lshlrev_b64 v[11:12], v11, v[1:2]
	v_and_b32_e32 v61, 7, v11
; %bb.1273:                             ;   in Loop: Header=BB291_666 Depth=1
	s_or_b32 exec_lo, exec_lo, s19
	v_lshlrev_b32_sdwa v1, v31, v1 dst_sel:DWORD dst_unused:UNUSED_PAD src0_sel:DWORD src1_sel:WORD_0
	v_lshl_add_u32 v11, v63, 10, 0x2000
	v_and_or_b32 v1, 0x8000, v1, v11
	v_lshlrev_b32_e32 v11, 23, v61
	v_lshl_or_b32 v61, v1, 16, v11
.LBB291_1274:                           ;   in Loop: Header=BB291_666 Depth=1
	s_or_b32 exec_lo, exec_lo, s18
.LBB291_1275:                           ;   in Loop: Header=BB291_666 Depth=1
	s_or_b32 exec_lo, exec_lo, s17
.LBB291_1276:                           ;   in Loop: Header=BB291_666 Depth=1
	s_or_b32 exec_lo, exec_lo, s13
	v_lshrrev_b32_e32 v1, 16, v7
	v_mov_b32_e32 v63, 0
	v_mov_b32_e32 v64, 0
	v_cmp_ne_u16_sdwa s0, v1, v2 src0_sel:BYTE_0 src1_sel:DWORD
	s_and_saveexec_b32 s13, s0
	s_cbranch_execz .LBB291_1284
; %bb.1277:                             ;   in Loop: Header=BB291_666 Depth=1
	v_cmp_ne_u16_sdwa s0, v1, v28 src0_sel:BYTE_0 src1_sel:DWORD
	v_mov_b32_e32 v64, 0x8000
	s_and_saveexec_b32 s17, s0
	s_cbranch_execz .LBB291_1283
; %bb.1278:                             ;   in Loop: Header=BB291_666 Depth=1
	v_bfe_u32 v66, v7, 16, 7
	v_mov_b32_e32 v64, 0x7c01
	s_mov_b32 s18, exec_lo
	v_cmpx_ne_u32_e32 0x7f, v66
	s_cbranch_execz .LBB291_1282
; %bb.1279:                             ;   in Loop: Header=BB291_666 Depth=1
	v_and_b32_e32 v64, 7, v1
	v_lshrrev_b32_e32 v65, 3, v66
	s_mov_b32 s19, exec_lo
	v_cmpx_gt_u32_e32 8, v66
; %bb.1280:                             ;   in Loop: Header=BB291_666 Depth=1
	v_ffbh_u32_e32 v11, v64
	v_min_u32_e32 v64, 32, v11
	v_subrev_nc_u32_e32 v11, 28, v64
	v_sub_nc_u32_e32 v65, 29, v64
	v_lshlrev_b64 v[11:12], v11, v[1:2]
	v_and_b32_e32 v64, 7, v11
; %bb.1281:                             ;   in Loop: Header=BB291_666 Depth=1
	s_or_b32 exec_lo, exec_lo, s19
	v_lshlrev_b32_e32 v1, 8, v1
	v_lshl_add_u32 v11, v65, 10, 0x2000
	v_lshlrev_b32_e32 v12, 7, v64
	v_and_b32_e32 v1, 0x8000, v1
	v_and_b32_e32 v11, 0xfc00, v11
	v_or3_b32 v64, v1, v11, v12
.LBB291_1282:                           ;   in Loop: Header=BB291_666 Depth=1
	s_or_b32 exec_lo, exec_lo, s18
.LBB291_1283:                           ;   in Loop: Header=BB291_666 Depth=1
	s_or_b32 exec_lo, exec_lo, s17
.LBB291_1284:                           ;   in Loop: Header=BB291_666 Depth=1
	s_or_b32 exec_lo, exec_lo, s13
	s_mov_b32 s13, exec_lo
	v_cmpx_lt_u32_e32 0xffffff, v7
	s_cbranch_execz .LBB291_1292
; %bb.1285:                             ;   in Loop: Header=BB291_666 Depth=1
	v_lshrrev_b32_e32 v1, 24, v7
	v_bfrev_b32_e32 v63, 1
	s_mov_b32 s17, exec_lo
	v_cmpx_ne_u32_e32 0x80, v1
	s_cbranch_execz .LBB291_1291
; %bb.1286:                             ;   in Loop: Header=BB291_666 Depth=1
	v_and_b32_e32 v66, 0x7f, v1
	v_mov_b32_e32 v63, 0x7c010000
	s_mov_b32 s18, exec_lo
	v_cmpx_ne_u32_e32 0x7f, v66
	s_cbranch_execz .LBB291_1290
; %bb.1287:                             ;   in Loop: Header=BB291_666 Depth=1
	v_and_b32_e32 v63, 7, v1
	v_lshrrev_b32_e32 v65, 3, v66
	s_mov_b32 s19, exec_lo
	v_cmpx_gt_u32_e32 8, v66
; %bb.1288:                             ;   in Loop: Header=BB291_666 Depth=1
	v_ffbh_u32_e32 v11, v63
	v_min_u32_e32 v63, 32, v11
	v_subrev_nc_u32_e32 v11, 28, v63
	v_sub_nc_u32_e32 v65, 29, v63
	v_lshlrev_b64 v[11:12], v11, v[1:2]
	v_and_b32_e32 v63, 7, v11
; %bb.1289:                             ;   in Loop: Header=BB291_666 Depth=1
	s_or_b32 exec_lo, exec_lo, s19
	v_lshlrev_b32_e32 v1, 8, v1
	v_lshl_add_u32 v11, v65, 10, 0x2000
	v_and_or_b32 v1, 0x8000, v1, v11
	v_lshlrev_b32_e32 v11, 23, v63
	v_lshl_or_b32 v63, v1, 16, v11
.LBB291_1290:                           ;   in Loop: Header=BB291_666 Depth=1
	s_or_b32 exec_lo, exec_lo, s18
.LBB291_1291:                           ;   in Loop: Header=BB291_666 Depth=1
	s_or_b32 exec_lo, exec_lo, s17
.LBB291_1292:                           ;   in Loop: Header=BB291_666 Depth=1
	s_or_b32 exec_lo, exec_lo, s13
	v_mov_b32_e32 v1, v8
	v_cmp_ne_u16_sdwa s0, v8, v2 src0_sel:BYTE_0 src1_sel:DWORD
	v_mov_b32_e32 v65, 0
	v_mov_b32_e32 v66, 0
	s_and_saveexec_b32 s13, s0
	s_cbranch_execz .LBB291_1300
; %bb.1293:                             ;   in Loop: Header=BB291_666 Depth=1
	v_cmp_ne_u16_sdwa s0, v8, v28 src0_sel:BYTE_0 src1_sel:DWORD
	v_mov_b32_e32 v66, 0x8000
	s_and_saveexec_b32 s17, s0
	s_cbranch_execz .LBB291_1299
; %bb.1294:                             ;   in Loop: Header=BB291_666 Depth=1
	v_and_b32_e32 v68, 0x7f, v8
	v_mov_b32_e32 v66, 0x7c01
	s_mov_b32 s18, exec_lo
	v_cmpx_ne_u32_e32 0x7f, v68
	s_cbranch_execz .LBB291_1298
; %bb.1295:                             ;   in Loop: Header=BB291_666 Depth=1
	v_and_b32_e32 v66, 7, v8
	v_lshrrev_b32_e32 v67, 3, v68
	s_mov_b32 s19, exec_lo
	v_cmpx_gt_u32_e32 8, v68
; %bb.1296:                             ;   in Loop: Header=BB291_666 Depth=1
	v_ffbh_u32_e32 v11, v66
	v_min_u32_e32 v66, 32, v11
	v_subrev_nc_u32_e32 v11, 28, v66
	v_sub_nc_u32_e32 v67, 29, v66
	v_lshlrev_b64 v[11:12], v11, v[1:2]
	v_and_b32_e32 v66, 7, v11
; %bb.1297:                             ;   in Loop: Header=BB291_666 Depth=1
	s_or_b32 exec_lo, exec_lo, s19
	v_lshlrev_b32_e32 v11, 8, v8
	v_lshl_add_u32 v12, v67, 10, 0x2000
	v_lshlrev_b32_e32 v66, 7, v66
	v_and_b32_e32 v11, 0x8000, v11
	v_and_b32_e32 v12, 0xfc00, v12
	v_or3_b32 v66, v11, v12, v66
.LBB291_1298:                           ;   in Loop: Header=BB291_666 Depth=1
	s_or_b32 exec_lo, exec_lo, s18
.LBB291_1299:                           ;   in Loop: Header=BB291_666 Depth=1
	s_or_b32 exec_lo, exec_lo, s17
.LBB291_1300:                           ;   in Loop: Header=BB291_666 Depth=1
	s_or_b32 exec_lo, exec_lo, s13
	v_lshrrev_b16 v1, 8, v1
	v_mov_b32_e32 v67, 0
	s_mov_b32 s13, exec_lo
	v_cmpx_ne_u16_e32 0, v1
	s_cbranch_execz .LBB291_1308
; %bb.1301:                             ;   in Loop: Header=BB291_666 Depth=1
	v_bfrev_b32_e32 v67, 1
	s_mov_b32 s17, exec_lo
	v_cmpx_ne_u16_e32 0x80, v1
	s_cbranch_execz .LBB291_1307
; %bb.1302:                             ;   in Loop: Header=BB291_666 Depth=1
	v_and_b32_sdwa v69, v1, v29 dst_sel:DWORD dst_unused:UNUSED_PAD src0_sel:WORD_0 src1_sel:DWORD
	v_mov_b32_e32 v67, 0x7c010000
	s_mov_b32 s18, exec_lo
	v_cmpx_ne_u32_e32 0x7f, v69
	s_cbranch_execz .LBB291_1306
; %bb.1303:                             ;   in Loop: Header=BB291_666 Depth=1
	v_and_b32_sdwa v67, v1, v30 dst_sel:DWORD dst_unused:UNUSED_PAD src0_sel:WORD_0 src1_sel:DWORD
	v_lshrrev_b32_e32 v68, 3, v69
	s_mov_b32 s19, exec_lo
	v_cmpx_gt_u32_e32 8, v69
; %bb.1304:                             ;   in Loop: Header=BB291_666 Depth=1
	v_ffbh_u32_e32 v11, v67
	v_min_u32_e32 v67, 32, v11
	v_subrev_nc_u32_e32 v11, 28, v67
	v_sub_nc_u32_e32 v68, 29, v67
	v_lshlrev_b64 v[11:12], v11, v[1:2]
	v_and_b32_e32 v67, 7, v11
; %bb.1305:                             ;   in Loop: Header=BB291_666 Depth=1
	s_or_b32 exec_lo, exec_lo, s19
	v_lshlrev_b32_sdwa v1, v31, v1 dst_sel:DWORD dst_unused:UNUSED_PAD src0_sel:DWORD src1_sel:WORD_0
	v_lshl_add_u32 v11, v68, 10, 0x2000
	v_and_or_b32 v1, 0x8000, v1, v11
	v_lshlrev_b32_e32 v11, 23, v67
	v_lshl_or_b32 v67, v1, 16, v11
.LBB291_1306:                           ;   in Loop: Header=BB291_666 Depth=1
	s_or_b32 exec_lo, exec_lo, s18
.LBB291_1307:                           ;   in Loop: Header=BB291_666 Depth=1
	s_or_b32 exec_lo, exec_lo, s17
.LBB291_1308:                           ;   in Loop: Header=BB291_666 Depth=1
	s_or_b32 exec_lo, exec_lo, s13
	v_lshrrev_b32_e32 v1, 16, v8
	v_cmp_ne_u16_sdwa s0, v1, v2 src0_sel:BYTE_0 src1_sel:DWORD
	s_and_saveexec_b32 s13, s0
	s_cbranch_execz .LBB291_1316
; %bb.1309:                             ;   in Loop: Header=BB291_666 Depth=1
	v_cmp_ne_u16_sdwa s0, v1, v28 src0_sel:BYTE_0 src1_sel:DWORD
	v_mov_b32_e32 v65, 0x8000
	s_and_saveexec_b32 s17, s0
	s_cbranch_execz .LBB291_1315
; %bb.1310:                             ;   in Loop: Header=BB291_666 Depth=1
	v_bfe_u32 v69, v8, 16, 7
	v_mov_b32_e32 v65, 0x7c01
	s_mov_b32 s18, exec_lo
	v_cmpx_ne_u32_e32 0x7f, v69
	s_cbranch_execz .LBB291_1314
; %bb.1311:                             ;   in Loop: Header=BB291_666 Depth=1
	v_and_b32_e32 v65, 7, v1
	v_lshrrev_b32_e32 v68, 3, v69
	s_mov_b32 s19, exec_lo
	v_cmpx_gt_u32_e32 8, v69
; %bb.1312:                             ;   in Loop: Header=BB291_666 Depth=1
	v_ffbh_u32_e32 v11, v65
	v_min_u32_e32 v65, 32, v11
	v_subrev_nc_u32_e32 v11, 28, v65
	v_sub_nc_u32_e32 v68, 29, v65
	v_lshlrev_b64 v[11:12], v11, v[1:2]
	v_and_b32_e32 v65, 7, v11
; %bb.1313:                             ;   in Loop: Header=BB291_666 Depth=1
	s_or_b32 exec_lo, exec_lo, s19
	v_lshlrev_b32_e32 v1, 8, v1
	v_lshl_add_u32 v11, v68, 10, 0x2000
	v_lshlrev_b32_e32 v12, 7, v65
	v_and_b32_e32 v1, 0x8000, v1
	v_and_b32_e32 v11, 0xfc00, v11
	v_or3_b32 v65, v1, v11, v12
.LBB291_1314:                           ;   in Loop: Header=BB291_666 Depth=1
	s_or_b32 exec_lo, exec_lo, s18
.LBB291_1315:                           ;   in Loop: Header=BB291_666 Depth=1
	s_or_b32 exec_lo, exec_lo, s17
.LBB291_1316:                           ;   in Loop: Header=BB291_666 Depth=1
	s_or_b32 exec_lo, exec_lo, s13
	v_cmp_lt_u64_e64 s0, s[2:3], v[7:8]
	v_mov_b32_e32 v7, 0
	s_and_saveexec_b32 s13, s0
	s_cbranch_execz .LBB291_1324
; %bb.1317:                             ;   in Loop: Header=BB291_666 Depth=1
	v_lshrrev_b32_e32 v1, 24, v8
	v_bfrev_b32_e32 v7, 1
	s_mov_b32 s17, exec_lo
	v_cmpx_ne_u32_e32 0x80, v1
	s_cbranch_execz .LBB291_1323
; %bb.1318:                             ;   in Loop: Header=BB291_666 Depth=1
	v_and_b32_e32 v68, 0x7f, v1
	v_mov_b32_e32 v7, 0x7c010000
	s_mov_b32 s18, exec_lo
	v_cmpx_ne_u32_e32 0x7f, v68
	s_cbranch_execz .LBB291_1322
; %bb.1319:                             ;   in Loop: Header=BB291_666 Depth=1
	v_and_b32_e32 v7, 7, v1
	v_lshrrev_b32_e32 v8, 3, v68
	s_mov_b32 s19, exec_lo
	v_cmpx_gt_u32_e32 8, v68
; %bb.1320:                             ;   in Loop: Header=BB291_666 Depth=1
	v_ffbh_u32_e32 v7, v7
	v_min_u32_e32 v11, 32, v7
	v_subrev_nc_u32_e32 v7, 28, v11
	v_lshlrev_b64 v[7:8], v7, v[1:2]
	v_sub_nc_u32_e32 v8, 29, v11
	v_and_b32_e32 v7, 7, v7
; %bb.1321:                             ;   in Loop: Header=BB291_666 Depth=1
	s_or_b32 exec_lo, exec_lo, s19
	v_lshlrev_b32_e32 v1, 8, v1
	v_lshl_add_u32 v8, v8, 10, 0x2000
	v_lshlrev_b32_e32 v7, 23, v7
	v_and_or_b32 v1, 0x8000, v1, v8
	v_lshl_or_b32 v7, v1, 16, v7
.LBB291_1322:                           ;   in Loop: Header=BB291_666 Depth=1
	s_or_b32 exec_lo, exec_lo, s18
.LBB291_1323:                           ;   in Loop: Header=BB291_666 Depth=1
	s_or_b32 exec_lo, exec_lo, s17
.LBB291_1324:                           ;   in Loop: Header=BB291_666 Depth=1
	s_or_b32 exec_lo, exec_lo, s13
	v_or_b32_e32 v1, v63, v64
	s_waitcnt vmcnt(0)
	v_fma_mixlo_f16 v8, v60, v63, 0 op_sel:[0,1,0] op_sel_hi:[0,1,0]
	v_or_b32_e32 v11, v61, v62
	v_fma_mixlo_f16 v12, v60, v61, 0 op_sel:[0,1,0] op_sel_hi:[0,1,0]
	v_or_b32_e32 v62, v67, v66
	v_fma_mixlo_f16 v1, v60, v1, 0 op_sel_hi:[0,1,0]
	v_or_b32_e32 v64, v7, v65
	v_lshlrev_b32_e32 v61, 16, v8
	v_lshlrev_b32_e32 v66, 16, v12
	v_fma_mixlo_f16 v8, v60, v11, 0 op_sel_hi:[0,1,0]
	v_and_b32_e32 v63, 0xffff, v1
	v_fma_mixlo_f16 v1, v60, v67, 0 op_sel:[0,1,0] op_sel_hi:[0,1,0]
	v_fma_mixlo_f16 v11, v60, v62, 0 op_sel_hi:[0,1,0]
	v_fma_mixlo_f16 v7, v60, v7, 0 op_sel:[0,1,0] op_sel_hi:[0,1,0]
	v_fma_mixlo_f16 v12, v60, v64, 0 op_sel_hi:[0,1,0]
	v_and_b32_e32 v68, 0xffff, v8
	v_lshlrev_b32_e32 v64, 16, v1
	v_and_b32_e32 v67, 0xffff, v11
	v_lshlrev_b32_e32 v62, 16, v7
	v_and_b32_e32 v65, 0xffff, v12
	v_or_b32_e32 v1, v61, v63
	v_or_b32_e32 v60, v66, v68
	;; [unrolled: 1-line block ×4, first 2 shown]
	s_and_saveexec_b32 s0, vcc_lo
	s_cbranch_execz .LBB291_665
; %bb.1325:                             ;   in Loop: Header=BB291_666 Depth=1
	v_cmp_gt_i32_e32 vcc_lo, s11, v33
	v_cndmask_b32_e32 v1, 0, v68, vcc_lo
	v_cmp_gt_i32_e32 vcc_lo, s11, v42
	v_cndmask_b32_e32 v7, 0, v66, vcc_lo
	v_cmp_gt_i32_e32 vcc_lo, s11, v39
	v_or_b32_e32 v60, v7, v1
	v_cndmask_b32_e32 v8, 0, v63, vcc_lo
	v_cmp_gt_i32_e32 vcc_lo, s11, v37
	v_cndmask_b32_e32 v11, 0, v61, vcc_lo
	v_cmp_gt_i32_e32 vcc_lo, s11, v36
	v_or_b32_e32 v1, v11, v8
	v_cndmask_b32_e32 v12, 0, v67, vcc_lo
	v_cmp_gt_i32_e32 vcc_lo, s11, v35
	v_cndmask_b32_e32 v33, 0, v64, vcc_lo
	v_cmp_gt_i32_e32 vcc_lo, s11, v34
	v_or_b32_e32 v8, v33, v12
	v_cndmask_b32_e32 v34, 0, v65, vcc_lo
	v_cmp_gt_i32_e32 vcc_lo, s11, v27
	v_cndmask_b32_e32 v35, 0, v62, vcc_lo
	v_or_b32_e32 v7, v35, v34
	s_branch .LBB291_665
.LBB291_1326:
	s_or_b32 exec_lo, exec_lo, s12
.LBB291_1327:
	s_or_b32 exec_lo, exec_lo, s1
	ds_bpermute_b32 v1, v16, v24
	ds_bpermute_b32 v2, v16, v26
	ds_bpermute_b32 v3, v16, v25
	ds_bpermute_b32 v4, v16, v23
	ds_bpermute_b32 v5, v16, v22
	ds_bpermute_b32 v6, v16, v21
	ds_bpermute_b32 v7, v16, v20
	ds_bpermute_b32 v8, v16, v19
	ds_bpermute_b32 v9, v16, v18
	ds_bpermute_b32 v10, v16, v17
	v_lshrrev_b32_e32 v13, 2, v126
	v_mul_u32_u24_e32 v11, 0x140, v125
	v_and_b32_e32 v27, 0x3c3, v0
	s_mov_b32 s0, exec_lo
	s_waitcnt lgkmcnt(0)
	s_barrier
	buffer_gl0_inv
	v_add_f32_e32 v1, v24, v1
	v_add_f32_e32 v2, v26, v2
	;; [unrolled: 1-line block ×10, first 2 shown]
	ds_bpermute_b32 v6, v15, v1
	ds_bpermute_b32 v7, v15, v2
	;; [unrolled: 1-line block ×10, first 2 shown]
	v_and_b32_e32 v9, 28, v126
	v_add_nc_u32_e32 v12, 0xc0, v9
	s_waitcnt lgkmcnt(9)
	v_add_f32_e32 v10, v1, v6
	s_waitcnt lgkmcnt(8)
	v_add_f32_e32 v9, v2, v7
	;; [unrolled: 2-line block ×10, first 2 shown]
	v_cmpx_eq_u32_e32 64, v27
	s_cbranch_execz .LBB291_1329
; %bb.1328:
	v_add_nc_u32_e32 v15, v12, v11
	v_add_nc_u32_e32 v16, 0xfffffd80, v15
	;; [unrolled: 1-line block ×6, first 2 shown]
	ds_write_b32 v16, v10
	ds_write_b32 v17, v9
	ds_write_b32 v18, v8
	ds_write_b32 v19, v7
	ds_write_b32 v20, v6
	v_add_nc_u32_e32 v16, 0xfffffe20, v15
	v_add_nc_u32_e32 v17, 0xfffffe40, v15
	v_add_nc_u32_e32 v18, 0xfffffe60, v15
	v_add_nc_u32_e32 v19, 0xfffffe80, v15
	v_add_nc_u32_e32 v15, 0xfffffea0, v15
	ds_write_b32 v16, v5
	ds_write_b32 v17, v4
	;; [unrolled: 1-line block ×5, first 2 shown]
.LBB291_1329:
	s_or_b32 exec_lo, exec_lo, s0
	v_lshlrev_b32_e32 v13, 2, v13
	s_mov_b32 s1, exec_lo
	v_cmp_eq_u32_e32 vcc_lo, 0, v14
	s_waitcnt lgkmcnt(0)
	s_barrier
	v_add3_u32 v11, 0xc0, v11, v13
	buffer_gl0_inv
	v_cmpx_gt_u32_e32 64, v0
	s_cbranch_execz .LBB291_1342
; %bb.1330:
	s_and_saveexec_b32 s0, vcc_lo
	s_cbranch_execnz .LBB291_1360
; %bb.1331:
	s_or_b32 exec_lo, exec_lo, s0
	s_and_saveexec_b32 s0, vcc_lo
	s_cbranch_execnz .LBB291_1361
.LBB291_1332:
	s_or_b32 exec_lo, exec_lo, s0
	s_and_saveexec_b32 s0, vcc_lo
	s_cbranch_execnz .LBB291_1362
.LBB291_1333:
	s_or_b32 exec_lo, exec_lo, s0
	s_and_saveexec_b32 s0, vcc_lo
	s_cbranch_execnz .LBB291_1363
.LBB291_1334:
	s_or_b32 exec_lo, exec_lo, s0
	s_and_saveexec_b32 s0, vcc_lo
	s_cbranch_execnz .LBB291_1364
.LBB291_1335:
	s_or_b32 exec_lo, exec_lo, s0
	s_and_saveexec_b32 s0, vcc_lo
	s_cbranch_execnz .LBB291_1365
.LBB291_1336:
	s_or_b32 exec_lo, exec_lo, s0
	s_and_saveexec_b32 s0, vcc_lo
	s_cbranch_execnz .LBB291_1366
.LBB291_1337:
	s_or_b32 exec_lo, exec_lo, s0
	s_and_saveexec_b32 s0, vcc_lo
	s_cbranch_execnz .LBB291_1367
.LBB291_1338:
	s_or_b32 exec_lo, exec_lo, s0
	s_and_saveexec_b32 s0, vcc_lo
	s_cbranch_execnz .LBB291_1368
.LBB291_1339:
	s_or_b32 exec_lo, exec_lo, s0
	s_and_saveexec_b32 s0, vcc_lo
	s_cbranch_execz .LBB291_1341
.LBB291_1340:
	ds_read_b32 v13, v11 offset:288
	s_waitcnt lgkmcnt(0)
	v_add_f32_e32 v1, v1, v13
.LBB291_1341:
	s_or_b32 exec_lo, exec_lo, s0
.LBB291_1342:
	s_or_b32 exec_lo, exec_lo, s1
	v_and_b32_e32 v13, 0x3e3, v0
	s_mov_b32 s1, exec_lo
	s_barrier
	buffer_gl0_inv
	v_cmpx_eq_u32_e32 32, v13
	s_cbranch_execz .LBB291_1344
; %bb.1343:
	ds_write2_b32 v12, v10, v9 offset1:8
	ds_write2_b32 v12, v8, v7 offset0:16 offset1:24
	ds_write2_b32 v12, v6, v5 offset0:32 offset1:40
	;; [unrolled: 1-line block ×4, first 2 shown]
.LBB291_1344:
	s_or_b32 exec_lo, exec_lo, s1
	s_mov_b32 s1, exec_lo
	s_waitcnt lgkmcnt(0)
	s_barrier
	buffer_gl0_inv
	v_cmpx_gt_u32_e32 32, v0
	s_cbranch_execz .LBB291_1357
; %bb.1345:
	s_and_saveexec_b32 s0, vcc_lo
	s_cbranch_execnz .LBB291_1369
; %bb.1346:
	s_or_b32 exec_lo, exec_lo, s0
	s_and_saveexec_b32 s0, vcc_lo
	s_cbranch_execnz .LBB291_1370
.LBB291_1347:
	s_or_b32 exec_lo, exec_lo, s0
	s_and_saveexec_b32 s0, vcc_lo
	s_cbranch_execnz .LBB291_1371
.LBB291_1348:
	s_or_b32 exec_lo, exec_lo, s0
	s_and_saveexec_b32 s0, vcc_lo
	s_cbranch_execnz .LBB291_1372
.LBB291_1349:
	s_or_b32 exec_lo, exec_lo, s0
	s_and_saveexec_b32 s0, vcc_lo
	s_cbranch_execnz .LBB291_1373
.LBB291_1350:
	s_or_b32 exec_lo, exec_lo, s0
	s_and_saveexec_b32 s0, vcc_lo
	s_cbranch_execnz .LBB291_1374
.LBB291_1351:
	s_or_b32 exec_lo, exec_lo, s0
	s_and_saveexec_b32 s0, vcc_lo
	s_cbranch_execnz .LBB291_1375
.LBB291_1352:
	s_or_b32 exec_lo, exec_lo, s0
	s_and_saveexec_b32 s0, vcc_lo
	s_cbranch_execnz .LBB291_1376
.LBB291_1353:
	s_or_b32 exec_lo, exec_lo, s0
	s_and_saveexec_b32 s0, vcc_lo
	s_cbranch_execnz .LBB291_1377
.LBB291_1354:
	s_or_b32 exec_lo, exec_lo, s0
	s_and_saveexec_b32 s0, vcc_lo
	s_cbranch_execz .LBB291_1356
.LBB291_1355:
	ds_read_b32 v11, v11 offset:288
	s_waitcnt lgkmcnt(0)
	v_add_f32_e32 v1, v1, v11
.LBB291_1356:
	s_or_b32 exec_lo, exec_lo, s0
.LBB291_1357:
	s_or_b32 exec_lo, exec_lo, s1
	s_barrier
	buffer_gl0_inv
	s_mov_b32 s0, exec_lo
	v_cmpx_eq_u32_e32 0, v13
	s_cbranch_execz .LBB291_1359
; %bb.1358:
	s_mul_i32 s0, s10, s7
	s_mul_i32 s2, s7, s6
	;; [unrolled: 1-line block ×3, first 2 shown]
	v_lshrrev_b32_e32 v0, 1, v0
	s_mulk_i32 s0, 0x50
	;;#ASMSTART
	v_cvt_f16_f32 v10, v10;

	;;#ASMEND
	s_ashr_i32 s1, s0, 31
	s_lshl_b64 s[0:1], s[0:1], 1
	s_add_u32 s4, s20, s0
	s_addc_u32 s5, s21, s1
	s_ashr_i32 s3, s2, 31
	s_lshl_b64 s[0:1], s[2:3], 1
	s_mul_i32 s2, s8, 0x50
	s_add_u32 s4, s4, s0
	s_addc_u32 s5, s5, s1
	s_ashr_i32 s3, s2, 31
	s_lshl_b64 s[0:1], s[2:3], 1
	s_add_u32 s0, s4, s0
	s_addc_u32 s1, s5, s1
	global_store_short v0, v10, s[0:1]
	;;#ASMSTART
	v_cvt_f16_f32 v9, v9;

	;;#ASMEND
	global_store_short v0, v9, s[0:1] offset:16
	;;#ASMSTART
	v_cvt_f16_f32 v8, v8;

	;;#ASMEND
	global_store_short v0, v8, s[0:1] offset:32
	;; [unrolled: 5-line block ×9, first 2 shown]
.LBB291_1359:
	s_endpgm
.LBB291_1360:
	ds_read_b32 v13, v11
	s_waitcnt lgkmcnt(0)
	v_add_f32_e32 v10, v10, v13
	s_or_b32 exec_lo, exec_lo, s0
	s_and_saveexec_b32 s0, vcc_lo
	s_cbranch_execz .LBB291_1332
.LBB291_1361:
	ds_read_b32 v13, v11 offset:32
	s_waitcnt lgkmcnt(0)
	v_add_f32_e32 v9, v9, v13
	s_or_b32 exec_lo, exec_lo, s0
	s_and_saveexec_b32 s0, vcc_lo
	s_cbranch_execz .LBB291_1333
.LBB291_1362:
	ds_read_b32 v13, v11 offset:64
	s_waitcnt lgkmcnt(0)
	v_add_f32_e32 v8, v8, v13
	s_or_b32 exec_lo, exec_lo, s0
	s_and_saveexec_b32 s0, vcc_lo
	s_cbranch_execz .LBB291_1334
.LBB291_1363:
	ds_read_b32 v13, v11 offset:96
	s_waitcnt lgkmcnt(0)
	v_add_f32_e32 v7, v7, v13
	s_or_b32 exec_lo, exec_lo, s0
	s_and_saveexec_b32 s0, vcc_lo
	s_cbranch_execz .LBB291_1335
.LBB291_1364:
	ds_read_b32 v13, v11 offset:128
	s_waitcnt lgkmcnt(0)
	v_add_f32_e32 v6, v6, v13
	s_or_b32 exec_lo, exec_lo, s0
	s_and_saveexec_b32 s0, vcc_lo
	s_cbranch_execz .LBB291_1336
.LBB291_1365:
	ds_read_b32 v13, v11 offset:160
	s_waitcnt lgkmcnt(0)
	v_add_f32_e32 v5, v5, v13
	s_or_b32 exec_lo, exec_lo, s0
	s_and_saveexec_b32 s0, vcc_lo
	s_cbranch_execz .LBB291_1337
.LBB291_1366:
	ds_read_b32 v13, v11 offset:192
	s_waitcnt lgkmcnt(0)
	v_add_f32_e32 v4, v4, v13
	s_or_b32 exec_lo, exec_lo, s0
	s_and_saveexec_b32 s0, vcc_lo
	s_cbranch_execz .LBB291_1338
.LBB291_1367:
	ds_read_b32 v13, v11 offset:224
	s_waitcnt lgkmcnt(0)
	v_add_f32_e32 v3, v3, v13
	s_or_b32 exec_lo, exec_lo, s0
	s_and_saveexec_b32 s0, vcc_lo
	s_cbranch_execz .LBB291_1339
.LBB291_1368:
	ds_read_b32 v13, v11 offset:256
	s_waitcnt lgkmcnt(0)
	v_add_f32_e32 v2, v2, v13
	s_or_b32 exec_lo, exec_lo, s0
	s_and_saveexec_b32 s0, vcc_lo
	s_cbranch_execnz .LBB291_1340
	s_branch .LBB291_1341
.LBB291_1369:
	ds_read_b32 v12, v11
	s_waitcnt lgkmcnt(0)
	v_add_f32_e32 v10, v10, v12
	s_or_b32 exec_lo, exec_lo, s0
	s_and_saveexec_b32 s0, vcc_lo
	s_cbranch_execz .LBB291_1347
.LBB291_1370:
	ds_read_b32 v12, v11 offset:32
	s_waitcnt lgkmcnt(0)
	v_add_f32_e32 v9, v9, v12
	s_or_b32 exec_lo, exec_lo, s0
	s_and_saveexec_b32 s0, vcc_lo
	s_cbranch_execz .LBB291_1348
.LBB291_1371:
	ds_read_b32 v12, v11 offset:64
	s_waitcnt lgkmcnt(0)
	v_add_f32_e32 v8, v8, v12
	s_or_b32 exec_lo, exec_lo, s0
	s_and_saveexec_b32 s0, vcc_lo
	s_cbranch_execz .LBB291_1349
.LBB291_1372:
	ds_read_b32 v12, v11 offset:96
	s_waitcnt lgkmcnt(0)
	v_add_f32_e32 v7, v7, v12
	s_or_b32 exec_lo, exec_lo, s0
	s_and_saveexec_b32 s0, vcc_lo
	s_cbranch_execz .LBB291_1350
.LBB291_1373:
	ds_read_b32 v12, v11 offset:128
	s_waitcnt lgkmcnt(0)
	v_add_f32_e32 v6, v6, v12
	s_or_b32 exec_lo, exec_lo, s0
	s_and_saveexec_b32 s0, vcc_lo
	s_cbranch_execz .LBB291_1351
.LBB291_1374:
	ds_read_b32 v12, v11 offset:160
	s_waitcnt lgkmcnt(0)
	v_add_f32_e32 v5, v5, v12
	s_or_b32 exec_lo, exec_lo, s0
	s_and_saveexec_b32 s0, vcc_lo
	s_cbranch_execz .LBB291_1352
.LBB291_1375:
	ds_read_b32 v12, v11 offset:192
	s_waitcnt lgkmcnt(0)
	v_add_f32_e32 v4, v4, v12
	s_or_b32 exec_lo, exec_lo, s0
	s_and_saveexec_b32 s0, vcc_lo
	s_cbranch_execz .LBB291_1353
.LBB291_1376:
	ds_read_b32 v12, v11 offset:224
	s_waitcnt lgkmcnt(0)
	v_add_f32_e32 v3, v3, v12
	s_or_b32 exec_lo, exec_lo, s0
	s_and_saveexec_b32 s0, vcc_lo
	s_cbranch_execz .LBB291_1354
.LBB291_1377:
	ds_read_b32 v12, v11 offset:256
	s_waitcnt lgkmcnt(0)
	v_add_f32_e32 v2, v2, v12
	s_or_b32 exec_lo, exec_lo, s0
	s_and_saveexec_b32 s0, vcc_lo
	s_cbranch_execnz .LBB291_1355
	s_branch .LBB291_1356
	.section	.rodata,"a",@progbits
	.p2align	6, 0x0
	.amdhsa_kernel _ZN4vllm25paged_attention_v1_kernelIthLi80ELi32ELi128ELNS_18Fp8KVCacheDataTypeE1ELb0EEEvPT_PKS2_PKT0_S8_ifPKiSA_iPKfiiiSC_SC_iiiii
		.amdhsa_group_segment_fixed_size 192
		.amdhsa_private_segment_fixed_size 0
		.amdhsa_kernarg_size 384
		.amdhsa_user_sgpr_count 6
		.amdhsa_user_sgpr_private_segment_buffer 1
		.amdhsa_user_sgpr_dispatch_ptr 0
		.amdhsa_user_sgpr_queue_ptr 0
		.amdhsa_user_sgpr_kernarg_segment_ptr 1
		.amdhsa_user_sgpr_dispatch_id 0
		.amdhsa_user_sgpr_flat_scratch_init 0
		.amdhsa_user_sgpr_private_segment_size 0
		.amdhsa_wavefront_size32 1
		.amdhsa_uses_dynamic_stack 0
		.amdhsa_system_sgpr_private_segment_wavefront_offset 0
		.amdhsa_system_sgpr_workgroup_id_x 1
		.amdhsa_system_sgpr_workgroup_id_y 1
		.amdhsa_system_sgpr_workgroup_id_z 1
		.amdhsa_system_sgpr_workgroup_info 0
		.amdhsa_system_vgpr_workitem_id 0
		.amdhsa_next_free_vgpr 128
		.amdhsa_next_free_sgpr 36
		.amdhsa_reserve_vcc 1
		.amdhsa_reserve_flat_scratch 0
		.amdhsa_float_round_mode_32 0
		.amdhsa_float_round_mode_16_64 0
		.amdhsa_float_denorm_mode_32 3
		.amdhsa_float_denorm_mode_16_64 3
		.amdhsa_dx10_clamp 1
		.amdhsa_ieee_mode 1
		.amdhsa_fp16_overflow 0
		.amdhsa_workgroup_processor_mode 1
		.amdhsa_memory_ordered 1
		.amdhsa_forward_progress 1
		.amdhsa_shared_vgpr_count 0
		.amdhsa_exception_fp_ieee_invalid_op 0
		.amdhsa_exception_fp_denorm_src 0
		.amdhsa_exception_fp_ieee_div_zero 0
		.amdhsa_exception_fp_ieee_overflow 0
		.amdhsa_exception_fp_ieee_underflow 0
		.amdhsa_exception_fp_ieee_inexact 0
		.amdhsa_exception_int_div_zero 0
	.end_amdhsa_kernel
	.section	.text._ZN4vllm25paged_attention_v1_kernelIthLi80ELi32ELi128ELNS_18Fp8KVCacheDataTypeE1ELb0EEEvPT_PKS2_PKT0_S8_ifPKiSA_iPKfiiiSC_SC_iiiii,"axG",@progbits,_ZN4vllm25paged_attention_v1_kernelIthLi80ELi32ELi128ELNS_18Fp8KVCacheDataTypeE1ELb0EEEvPT_PKS2_PKT0_S8_ifPKiSA_iPKfiiiSC_SC_iiiii,comdat
.Lfunc_end291:
	.size	_ZN4vllm25paged_attention_v1_kernelIthLi80ELi32ELi128ELNS_18Fp8KVCacheDataTypeE1ELb0EEEvPT_PKS2_PKT0_S8_ifPKiSA_iPKfiiiSC_SC_iiiii, .Lfunc_end291-_ZN4vllm25paged_attention_v1_kernelIthLi80ELi32ELi128ELNS_18Fp8KVCacheDataTypeE1ELb0EEEvPT_PKS2_PKT0_S8_ifPKiSA_iPKfiiiSC_SC_iiiii
                                        ; -- End function
	.set _ZN4vllm25paged_attention_v1_kernelIthLi80ELi32ELi128ELNS_18Fp8KVCacheDataTypeE1ELb0EEEvPT_PKS2_PKT0_S8_ifPKiSA_iPKfiiiSC_SC_iiiii.num_vgpr, 128
	.set _ZN4vllm25paged_attention_v1_kernelIthLi80ELi32ELi128ELNS_18Fp8KVCacheDataTypeE1ELb0EEEvPT_PKS2_PKT0_S8_ifPKiSA_iPKfiiiSC_SC_iiiii.num_agpr, 0
	.set _ZN4vllm25paged_attention_v1_kernelIthLi80ELi32ELi128ELNS_18Fp8KVCacheDataTypeE1ELb0EEEvPT_PKS2_PKT0_S8_ifPKiSA_iPKfiiiSC_SC_iiiii.numbered_sgpr, 36
	.set _ZN4vllm25paged_attention_v1_kernelIthLi80ELi32ELi128ELNS_18Fp8KVCacheDataTypeE1ELb0EEEvPT_PKS2_PKT0_S8_ifPKiSA_iPKfiiiSC_SC_iiiii.num_named_barrier, 0
	.set _ZN4vllm25paged_attention_v1_kernelIthLi80ELi32ELi128ELNS_18Fp8KVCacheDataTypeE1ELb0EEEvPT_PKS2_PKT0_S8_ifPKiSA_iPKfiiiSC_SC_iiiii.private_seg_size, 0
	.set _ZN4vllm25paged_attention_v1_kernelIthLi80ELi32ELi128ELNS_18Fp8KVCacheDataTypeE1ELb0EEEvPT_PKS2_PKT0_S8_ifPKiSA_iPKfiiiSC_SC_iiiii.uses_vcc, 1
	.set _ZN4vllm25paged_attention_v1_kernelIthLi80ELi32ELi128ELNS_18Fp8KVCacheDataTypeE1ELb0EEEvPT_PKS2_PKT0_S8_ifPKiSA_iPKfiiiSC_SC_iiiii.uses_flat_scratch, 0
	.set _ZN4vllm25paged_attention_v1_kernelIthLi80ELi32ELi128ELNS_18Fp8KVCacheDataTypeE1ELb0EEEvPT_PKS2_PKT0_S8_ifPKiSA_iPKfiiiSC_SC_iiiii.has_dyn_sized_stack, 0
	.set _ZN4vllm25paged_attention_v1_kernelIthLi80ELi32ELi128ELNS_18Fp8KVCacheDataTypeE1ELb0EEEvPT_PKS2_PKT0_S8_ifPKiSA_iPKfiiiSC_SC_iiiii.has_recursion, 0
	.set _ZN4vllm25paged_attention_v1_kernelIthLi80ELi32ELi128ELNS_18Fp8KVCacheDataTypeE1ELb0EEEvPT_PKS2_PKT0_S8_ifPKiSA_iPKfiiiSC_SC_iiiii.has_indirect_call, 0
	.section	.AMDGPU.csdata,"",@progbits
; Kernel info:
; codeLenInByte = 44180
; TotalNumSgprs: 38
; NumVgprs: 128
; ScratchSize: 0
; MemoryBound: 0
; FloatMode: 240
; IeeeMode: 1
; LDSByteSize: 192 bytes/workgroup (compile time only)
; SGPRBlocks: 0
; VGPRBlocks: 15
; NumSGPRsForWavesPerEU: 38
; NumVGPRsForWavesPerEU: 128
; Occupancy: 8
; WaveLimiterHint : 1
; COMPUTE_PGM_RSRC2:SCRATCH_EN: 0
; COMPUTE_PGM_RSRC2:USER_SGPR: 6
; COMPUTE_PGM_RSRC2:TRAP_HANDLER: 0
; COMPUTE_PGM_RSRC2:TGID_X_EN: 1
; COMPUTE_PGM_RSRC2:TGID_Y_EN: 1
; COMPUTE_PGM_RSRC2:TGID_Z_EN: 1
; COMPUTE_PGM_RSRC2:TIDIG_COMP_CNT: 0
	.text
	.p2align	2                               ; -- Begin function _ZN4vllm22paged_attention_kernelIthLi96ELi32ELi128ELNS_18Fp8KVCacheDataTypeE1ELb0ELi0EEEvPfS2_PT_PKS3_PKT0_S9_ifPKiSB_iPKfiiiSD_SD_iiiii
	.type	_ZN4vllm22paged_attention_kernelIthLi96ELi32ELi128ELNS_18Fp8KVCacheDataTypeE1ELb0ELi0EEEvPfS2_PT_PKS3_PKT0_S9_ifPKiSB_iPKfiiiSD_SD_iiiii,@function
_ZN4vllm22paged_attention_kernelIthLi96ELi32ELi128ELNS_18Fp8KVCacheDataTypeE1ELb0ELi0EEEvPfS2_PT_PKS3_PKT0_S9_ifPKiSB_iPKfiiiSD_SD_iiiii: ; @_ZN4vllm22paged_attention_kernelIthLi96ELi32ELi128ELNS_18Fp8KVCacheDataTypeE1ELb0ELi0EEEvPfS2_PT_PKS3_PKT0_S9_ifPKiSB_iPKfiiiSD_SD_iiiii
; %bb.0:
	s_waitcnt vmcnt(0) expcnt(0) lgkmcnt(0)
	buffer_store_dword v40, off, s[0:3], s32 offset:188 ; 4-byte Folded Spill
	buffer_store_dword v41, off, s[0:3], s32 offset:184 ; 4-byte Folded Spill
	;; [unrolled: 1-line block ×47, first 2 shown]
	buffer_store_dword v127, off, s[0:3], s32 ; 4-byte Folded Spill
	s_mov_b32 s10, s13
	s_ashr_i32 s11, s13, 31
	buffer_store_dword v20, off, s[0:3], s32 offset:200 ; 4-byte Folded Spill
	buffer_store_dword v21, off, s[0:3], s32 offset:204 ; 4-byte Folded Spill
	buffer_store_dword v18, off, s[0:3], s32 offset:192 ; 4-byte Folded Spill
	buffer_store_dword v9, off, s[0:3], s32 offset:208 ; 4-byte Folded Spill
	s_lshl_b64 s[4:5], s[10:11], 2
	buffer_store_dword v1, off, s[0:3], s32 offset:220 ; 4-byte Folded Spill
	buffer_store_dword v0, off, s[0:3], s32 offset:224 ; 4-byte Folded Spill
	v_add_co_u32 v0, vcc_lo, v12, s4
	v_add_co_ci_u32_e64 v1, null, s5, v13, vcc_lo
	s_clause 0x1
	s_load_dword s4, s[8:9], 0x10
	s_load_dword s5, s[8:9], 0x0
	v_mov_b32_e32 v39, v6
	flat_load_dword v27, v[0:1]
	v_sub_nc_u32_e32 v0, 0, v8
	v_mov_b32_e32 v26, v7
	s_mov_b32 s16, s15
	v_max_i32_e32 v0, v8, v0
	v_cvt_f32_u32_e32 v1, v0
	v_sub_nc_u32_e32 v6, 0, v0
	v_rcp_iflag_f32_e32 v1, v1
	s_waitcnt lgkmcnt(0)
	s_lshr_b32 s4, s4, 16
	s_cmp_lg_u32 s4, 0
	s_cselect_b32 s4, -1, 0
	s_cmp_lg_u32 s4, 0
	s_addc_u32 s11, s5, 0
	v_mul_f32_e32 v1, 0x4f7ffffe, v1
	s_abs_i32 s4, s11
	s_mov_b32 s5, exec_lo
	v_cvt_u32_f32_e32 v1, v1
	v_mul_lo_u32 v6, v6, v1
	v_mul_hi_u32 v6, v1, v6
	v_add_nc_u32_e32 v1, v1, v6
	v_mul_hi_u32 v1, s4, v1
	v_mul_lo_u32 v6, v1, v0
	v_add_nc_u32_e32 v7, 1, v1
	v_sub_nc_u32_e32 v6, s4, v6
	s_abs_i32 s4, s12
	v_sub_nc_u32_e32 v9, v6, v0
	v_cmp_ge_u32_e32 vcc_lo, v6, v0
	v_cndmask_b32_e32 v1, v1, v7, vcc_lo
	v_cndmask_b32_e32 v6, v6, v9, vcc_lo
	v_xor_b32_e32 v7, s11, v8
	v_add_nc_u32_e32 v8, 1, v1
	v_cmp_ge_u32_e32 vcc_lo, v6, v0
	v_ashrrev_i32_e32 v7, 31, v7
	v_cndmask_b32_e32 v0, v1, v8, vcc_lo
	v_xor_b32_e32 v0, v0, v7
	v_sub_nc_u32_e32 v1, v0, v7
	v_sub_nc_u32_e32 v0, 0, v1
	v_max_i32_e32 v0, v1, v0
	v_cvt_f32_u32_e32 v6, v0
	v_sub_nc_u32_e32 v7, 0, v0
	v_rcp_iflag_f32_e32 v6, v6
	v_mul_f32_e32 v6, 0x4f7ffffe, v6
	v_cvt_u32_f32_e32 v6, v6
	v_mul_lo_u32 v7, v7, v6
	v_mul_hi_u32 v7, v6, v7
	v_add_nc_u32_e32 v6, v6, v7
	v_mad_u64_u32 v[12:13], null, s4, v6, 0
	v_mov_b32_e32 v6, 0
	buffer_store_dword v6, off, s[0:3], s32 offset:196 ; 4-byte Folded Spill
	v_cmpx_ne_u64_e32 0, v[15:16]
	s_cbranch_execz .LBB292_2
; %bb.1:
	s_ashr_i32 s13, s12, 31
	s_lshl_b64 s[6:7], s[12:13], 2
	v_add_co_u32 v6, vcc_lo, v15, s6
	v_add_co_ci_u32_e64 v7, null, s7, v16, vcc_lo
	flat_load_dword v6, v[6:7]
	s_waitcnt vmcnt(0) lgkmcnt(0)
	buffer_store_dword v6, off, s[0:3], s32 offset:196 ; 4-byte Folded Spill
.LBB292_2:
	s_or_b32 exec_lo, exec_lo, s5
	v_and_b32_e32 v38, 0x3ff, v31
	v_ashrrev_i32_e32 v1, 31, v1
	s_ashr_i32 s5, s12, 31
	s_mulk_i32 s12, 0x60
	s_mov_b32 s6, exec_lo
	v_cmpx_gt_u32_e32 12, v38
	s_cbranch_execz .LBB292_4
; %bb.3:
	v_mul_lo_u32 v6, v17, s10
	s_ashr_i32 s13, s12, 31
	v_lshlrev_b32_e32 v8, 4, v38
	s_lshl_b64 s[18:19], s[12:13], 1
	v_ashrrev_i32_e32 v7, 31, v6
	v_lshlrev_b64 v[6:7], 1, v[6:7]
	v_add_co_u32 v2, vcc_lo, v2, v6
	v_add_co_ci_u32_e64 v3, null, v3, v7, vcc_lo
	v_add_co_u32 v2, vcc_lo, v2, s18
	v_add_co_ci_u32_e64 v3, null, s19, v3, vcc_lo
	;; [unrolled: 2-line block ×3, first 2 shown]
	flat_load_dwordx4 v[28:31], v[2:3]
	s_waitcnt vmcnt(0) lgkmcnt(0)
	ds_write_b128 v8, v[28:31]
.LBB292_4:
	s_or_b32 exec_lo, exec_lo, s6
	v_mul_lo_u32 v2, v13, v0
	v_add_nc_u32_e32 v3, 1, v13
	s_waitcnt vmcnt(0)
	v_add_nc_u32_e32 v7, 31, v27
	v_xor_b32_e32 v1, s5, v1
	s_clause 0x1
	s_load_dword s13, s[8:9], 0x14
	s_load_dword s8, s[8:9], 0x8
	v_lshrrev_b32_e32 v49, 5, v38
	v_and_b32_e32 v42, 31, v38
	v_mov_b32_e32 v9, 0xff7fffff
	v_sub_nc_u32_e32 v2, s4, v2
	v_lshrrev_b32_e32 v12, 3, v38
	s_mov_b32 s9, exec_lo
	v_lshlrev_b32_e32 v15, 2, v42
	s_waitcnt lgkmcnt(0)
	s_waitcnt_vscnt null, 0x0
	v_sub_nc_u32_e32 v6, v2, v0
	v_cmp_ge_u32_e32 vcc_lo, v2, v0
	s_barrier
	buffer_gl0_inv
	v_cndmask_b32_e32 v3, v13, v3, vcc_lo
	v_cndmask_b32_e32 v2, v2, v6, vcc_lo
	v_add_nc_u32_e32 v6, 1, v3
	v_cmp_ge_u32_e32 vcc_lo, v2, v0
	v_mul_lo_u32 v0, v14, s10
	v_cndmask_b32_e32 v2, v3, v6, vcc_lo
	v_ashrrev_i32_e32 v3, 31, v7
	v_xor_b32_e32 v2, v2, v1
	v_lshrrev_b32_e32 v3, 27, v3
	v_sub_nc_u32_e32 v2, v2, v1
	v_add_nc_u32_e32 v3, v7, v3
	v_ashrrev_i32_e32 v1, 31, v0
	v_mul_lo_u32 v19, v2, v19
	v_ashrrev_i32_e32 v18, 5, v3
	v_lshlrev_b64 v[50:51], 2, v[0:1]
	v_cmp_ge_i32_e64 s4, v49, v18
	v_ashrrev_i32_e32 v28, 31, v19
	v_cmpx_lt_i32_e64 v49, v18
	s_cbranch_execz .LBB292_776
; %bb.5:
	s_getpc_b64 s[6:7]
	s_add_u32 s6, s6, llvm.amdgcn.dynlds.offset.table@rel32@lo+4
	s_addc_u32 s7, s7, llvm.amdgcn.dynlds.offset.table@rel32@hi+12
	s_ashr_i32 s17, s16, 31
	v_and_b32_e32 v3, 0x7c, v12
	s_lshl_b64 s[18:19], s[16:17], 2
	buffer_store_dword v39, off, s[0:3], s32 offset:252 ; 4-byte Folded Spill
	buffer_store_dword v26, off, s[0:3], s32 offset:248 ; 4-byte Folded Spill
	;; [unrolled: 1-line block ×3, first 2 shown]
	s_add_u32 s6, s6, s18
	s_addc_u32 s7, s7, s19
	v_add_co_u32 v1, vcc_lo, v4, v19
	buffer_load_dword v4, off, s[0:3], s32 offset:196 ; 4-byte Folded Reload
	s_load_dword s6, s[6:7], 0x0
	buffer_store_dword v19, off, s[0:3], s32 offset:268 ; 4-byte Folded Spill
	buffer_store_dword v28, off, s[0:3], s32 offset:272 ; 4-byte Folded Spill
	;; [unrolled: 1-line block ×5, first 2 shown]
	v_add_co_u32 v3, s5, v3, v50
	buffer_store_dword v50, off, s[0:3], s32 offset:256 ; 4-byte Folded Spill
	buffer_store_dword v51, off, s[0:3], s32 offset:260 ; 4-byte Folded Spill
	v_lshlrev_b32_e32 v0, 4, v42
	v_add_co_ci_u32_e64 v2, null, v5, v28, vcc_lo
	v_mov_b32_e32 v5, 0
	v_lshl_or_b32 v29, v49, 5, v42
	v_mov_b32_e32 v9, 0xff7fffff
	v_mov_b32_e32 v48, 0x80
	;; [unrolled: 1-line block ×5, first 2 shown]
	s_mov_b32 s15, 0
	s_waitcnt vmcnt(0)
	v_cmp_neq_f32_e32 vcc_lo, 0, v4
	v_lshl_or_b32 v4, v49, 7, v15
	s_waitcnt lgkmcnt(0)
	v_add_nc_u32_e32 v39, s6, v4
	s_mov_b32 s6, -1
	v_add_co_ci_u32_e64 v6, null, 0, v51, s5
	v_add_co_u32 v0, s5, v1, v0
	v_add_co_ci_u32_e64 v1, null, 0, v2, s5
	v_add_co_u32 v14, s5, v10, v3
	v_add_co_ci_u32_e64 v15, null, v11, v6, s5
	s_mov_b32 s7, 0xffffff
	buffer_store_dword v0, off, s[0:3], s32 offset:212 ; 4-byte Folded Spill
	buffer_store_dword v1, off, s[0:3], s32 offset:216 ; 4-byte Folded Spill
	;; [unrolled: 1-line block ×5, first 2 shown]
	s_branch .LBB292_10
.LBB292_6:                              ;   in Loop: Header=BB292_10 Depth=1
	s_or_b32 exec_lo, exec_lo, s20
	v_lshlrev_b32_e32 v4, 8, v4
	v_lshl_add_u32 v13, v13, 10, 0x2000
	v_lshlrev_b32_e32 v12, 23, v12
	v_and_or_b32 v4, 0x8000, v4, v13
	v_lshl_or_b32 v12, v4, 16, v12
.LBB292_7:                              ;   in Loop: Header=BB292_10 Depth=1
	s_or_b32 exec_lo, exec_lo, s19
.LBB292_8:                              ;   in Loop: Header=BB292_10 Depth=1
	s_or_b32 exec_lo, exec_lo, s18
.LBB292_9:                              ;   in Loop: Header=BB292_10 Depth=1
	s_or_b32 exec_lo, exec_lo, s17
	buffer_load_dword v13, off, s[0:3], s32 offset:196 ; 4-byte Folded Reload
	v_or_b32_e32 v4, v60, v58
	v_fma_mixlo_f16 v72, v50, v45, 0 op_sel:[0,1,0] op_sel_hi:[0,1,0]
	v_or_b32_e32 v1, v11, v1
	v_fma_mixlo_f16 v58, v50, v92, 0 op_sel:[0,1,0] op_sel_hi:[0,1,0]
	v_fma_mixlo_f16 v120, v50, v11, 0 op_sel:[0,1,0] op_sel_hi:[0,1,0]
	v_fma_mixlo_f16 v61, v50, v4, 0 op_sel_hi:[0,1,0]
	v_or_b32_e32 v4, v45, v44
	v_fma_mixlo_f16 v44, v50, v93, 0 op_sel:[0,1,0] op_sel_hi:[0,1,0]
	v_fma_mixlo_f16 v121, v50, v1, 0 op_sel_hi:[0,1,0]
	v_or_b32_e32 v1, v106, v94
	ds_read_b128 v[34:37], v5
	v_fma_mixlo_f16 v73, v50, v4, 0 op_sel_hi:[0,1,0]
	v_or_b32_e32 v4, v92, v59
	v_fma_mixlo_f16 v92, v50, v75, 0 op_sel:[0,1,0] op_sel_hi:[0,1,0]
	v_fma_mixlo_f16 v94, v50, v10, 0 op_sel:[0,1,0] op_sel_hi:[0,1,0]
	v_or_b32_e32 v2, v12, v2
	v_fma_mixlo_f16 v16, v50, v12, 0 op_sel:[0,1,0] op_sel_hi:[0,1,0]
	v_fma_mixlo_f16 v59, v50, v4, 0 op_sel_hi:[0,1,0]
	v_or_b32_e32 v4, v93, v89
	v_fma_mixlo_f16 v60, v50, v60, 0 op_sel:[0,1,0] op_sel_hi:[0,1,0]
	v_fma_mixlo_f16 v17, v50, v2, 0 op_sel_hi:[0,1,0]
	v_fma_mixlo_f16 v106, v50, v106, 0 op_sel:[0,1,0] op_sel_hi:[0,1,0]
	v_cmp_lt_i32_e64 s5, v29, v27
	v_fma_mixlo_f16 v45, v50, v4, 0 op_sel_hi:[0,1,0]
	v_or_b32_e32 v4, v88, v78
	v_fma_mixlo_f16 v78, v50, v110, 0 op_sel:[0,1,0] op_sel_hi:[0,1,0]
	v_fma_mixlo_f16 v88, v50, v88, 0 op_sel:[0,1,0] op_sel_hi:[0,1,0]
	v_add_nc_u32_e32 v49, 4, v49
	v_fma_mixlo_f16 v89, v50, v4, 0 op_sel_hi:[0,1,0]
	v_or_b32_e32 v4, v75, v74
	v_fma_mixlo_f16 v74, v50, v111, 0 op_sel:[0,1,0] op_sel_hi:[0,1,0]
	s_waitcnt lgkmcnt(0)
	v_lshrrev_b32_e32 v2, 16, v34
	v_fma_mixlo_f16 v93, v50, v4, 0 op_sel_hi:[0,1,0]
	v_or_b32_e32 v4, v110, v79
	v_fma_mixlo_f16 v110, v50, v95, 0 op_sel:[0,1,0] op_sel_hi:[0,1,0]
	v_fma_mixlo_f16 v79, v50, v4, 0 op_sel_hi:[0,1,0]
	v_or_b32_e32 v4, v111, v107
	v_fma_mixlo_f16 v107, v50, v1, 0 op_sel_hi:[0,1,0]
	v_or_b32_e32 v1, v10, v127
	v_fma_mixlo_f16 v127, v50, v0, 0 op_sel:[0,1,0] op_sel_hi:[0,1,0]
	v_fma_mixlo_f16 v10, v50, v114, 0 op_sel:[0,1,0] op_sel_hi:[0,1,0]
	v_fma_mixlo_f16 v75, v50, v4, 0 op_sel_hi:[0,1,0]
	v_or_b32_e32 v4, v95, v32
	v_fma_mixlo_f16 v95, v50, v1, 0 op_sel_hi:[0,1,0]
	v_or_b32_e32 v1, v0, v125
	v_or_b32_e32 v0, v124, v122
	v_fma_mixlo_f16 v125, v50, v7, 0 op_sel:[0,1,0] op_sel_hi:[0,1,0]
	v_fma_mixlo_f16 v111, v50, v4, 0 op_sel_hi:[0,1,0]
	v_or_b32_e32 v4, v7, v126
	v_fma_mixlo_f16 v32, v50, v1, 0 op_sel_hi:[0,1,0]
	v_fma_mixlo_f16 v1, v50, v124, 0 op_sel:[0,1,0] op_sel_hi:[0,1,0]
	v_fma_mixlo_f16 v7, v50, v105, 0 op_sel:[0,1,0] op_sel_hi:[0,1,0]
	;; [unrolled: 1-line block ×3, first 2 shown]
	v_fma_mixlo_f16 v126, v50, v4, 0 op_sel_hi:[0,1,0]
	v_or_b32_e32 v4, v6, v8
	v_fma_mixlo_f16 v6, v50, v90, 0 op_sel:[0,1,0] op_sel_hi:[0,1,0]
	v_fma_mixlo_f16 v0, v50, v0, 0 op_sel_hi:[0,1,0]
	v_and_b32_e32 v10, 0xffff, v10
	v_and_b32_e32 v7, 0xffff, v7
	v_fma_mixlo_f16 v124, v50, v4, 0 op_sel_hi:[0,1,0]
	v_or_b32_e32 v4, v105, v91
	v_fma_mixlo_f16 v91, v50, v109, 0 op_sel:[0,1,0] op_sel_hi:[0,1,0]
	v_and_b32_e32 v6, 0xffff, v6
	v_and_b32_e32 v0, 0xffff, v0
	;; [unrolled: 1-line block ×3, first 2 shown]
	v_fma_mixlo_f16 v105, v50, v4, 0 op_sel_hi:[0,1,0]
	v_or_b32_e32 v4, v90, v77
	v_fma_mixlo_f16 v77, v50, v123, 0 op_sel:[0,1,0] op_sel_hi:[0,1,0]
	v_fma_mixlo_f16 v11, v50, v4, 0 op_sel_hi:[0,1,0]
	v_or_b32_e32 v4, v109, v104
	v_fma_mixlo_f16 v8, v50, v4, 0 op_sel_hi:[0,1,0]
	v_or_b32_e32 v4, v123, v108
	v_fma_mixlo_f16 v108, v50, v46, 0 op_sel:[0,1,0] op_sel_hi:[0,1,0]
	v_fma_mixlo_f16 v90, v50, v4, 0 op_sel_hi:[0,1,0]
	v_or_b32_e32 v4, v57, v47
	v_fma_mixlo_f16 v47, v50, v63, 0 op_sel:[0,1,0] op_sel_hi:[0,1,0]
	v_fma_mixlo_f16 v57, v50, v57, 0 op_sel:[0,1,0] op_sel_hi:[0,1,0]
	v_fma_mixlo_f16 v104, v50, v4, 0 op_sel_hi:[0,1,0]
	v_or_b32_e32 v4, v46, v43
	v_fma_mixlo_f16 v43, v50, v76, 0 op_sel:[0,1,0] op_sel_hi:[0,1,0]
	v_fma_mixlo_f16 v109, v50, v4, 0 op_sel_hi:[0,1,0]
	v_or_b32_e32 v4, v63, v56
	;; [unrolled: 3-line block ×3, first 2 shown]
	v_fma_mixlo_f16 v46, v50, v4, 0 op_sel_hi:[0,1,0]
	v_or_b32_e32 v4, v119, v117
	v_fma_mixlo_f16 v117, v50, v41, 0 op_sel:[0,1,0] op_sel_hi:[0,1,0]
	v_fma_mixlo_f16 v119, v50, v119, 0 op_sel:[0,1,0] op_sel_hi:[0,1,0]
	v_fma_mixlo_f16 v62, v50, v4, 0 op_sel_hi:[0,1,0]
	v_or_b32_e32 v4, v116, v115
	v_fma_mixlo_f16 v115, v50, v42, 0 op_sel:[0,1,0] op_sel_hi:[0,1,0]
	v_fma_mixlo_f16 v76, v50, v4, 0 op_sel_hi:[0,1,0]
	v_or_b32_e32 v4, v41, v118
	;; [unrolled: 3-line block ×3, first 2 shown]
	v_fma_mixlo_f16 v116, v50, v4, 0 op_sel_hi:[0,1,0]
	v_or_b32_e32 v4, v103, v101
	v_fma_mixlo_f16 v103, v50, v103, 0 op_sel:[0,1,0] op_sel_hi:[0,1,0]
	v_fma_mixlo_f16 v40, v50, v4, 0 op_sel_hi:[0,1,0]
	v_or_b32_e32 v4, v100, v99
	v_fma_mixlo_f16 v100, v50, v113, 0 op_sel:[0,1,0] op_sel_hi:[0,1,0]
	v_fma_mixlo_f16 v42, v50, v4, 0 op_sel_hi:[0,1,0]
	v_or_b32_e32 v4, v113, v102
	v_fma_mixlo_f16 v101, v50, v4, 0 op_sel_hi:[0,1,0]
	v_or_b32_e32 v4, v114, v112
	v_fma_mixlo_f16 v112, v50, v84, 0 op_sel:[0,1,0] op_sel_hi:[0,1,0]
	v_fma_mixlo_f16 v114, v50, v52, 0 op_sel:[0,1,0] op_sel_hi:[0,1,0]
	v_fma_mixlo_f16 v99, v50, v4, 0 op_sel_hi:[0,1,0]
	v_or_b32_e32 v4, v87, v85
	v_fma_mixlo_f16 v85, v50, v97, 0 op_sel:[0,1,0] op_sel_hi:[0,1,0]
	v_fma_mixlo_f16 v87, v50, v87, 0 op_sel:[0,1,0] op_sel_hi:[0,1,0]
	v_fma_mixlo_f16 v102, v50, v4, 0 op_sel_hi:[0,1,0]
	v_or_b32_e32 v4, v84, v83
	v_fma_mixlo_f16 v83, v50, v98, 0 op_sel:[0,1,0] op_sel_hi:[0,1,0]
	v_fma_mixlo_f16 v113, v50, v4, 0 op_sel_hi:[0,1,0]
	v_or_b32_e32 v4, v97, v86
	;; [unrolled: 3-line block ×3, first 2 shown]
	v_fma_mixlo_f16 v84, v50, v4, 0 op_sel_hi:[0,1,0]
	v_or_b32_e32 v4, v71, v69
	v_fma_mixlo_f16 v71, v50, v71, 0 op_sel:[0,1,0] op_sel_hi:[0,1,0]
	v_fma_mixlo_f16 v96, v50, v4, 0 op_sel_hi:[0,1,0]
	v_or_b32_e32 v4, v68, v67
	v_fma_mixlo_f16 v68, v50, v82, 0 op_sel:[0,1,0] op_sel_hi:[0,1,0]
	v_fma_mixlo_f16 v67, v50, v81, 0 op_sel:[0,1,0] op_sel_hi:[0,1,0]
	v_fma_mixlo_f16 v98, v50, v4, 0 op_sel_hi:[0,1,0]
	v_or_b32_e32 v4, v81, v70
	v_fma_mixlo_f16 v81, v50, v55, 0 op_sel:[0,1,0] op_sel_hi:[0,1,0]
	v_fma_mixlo_f16 v70, v50, v4, 0 op_sel_hi:[0,1,0]
	v_or_b32_e32 v4, v82, v80
	v_fma_mixlo_f16 v69, v50, v4, 0 op_sel_hi:[0,1,0]
	v_or_b32_e32 v4, v55, v53
	v_fma_mixlo_f16 v53, v50, v25, 0 op_sel:[0,1,0] op_sel_hi:[0,1,0]
	v_fma_mixlo_f16 v55, v50, v66, 0 op_sel:[0,1,0] op_sel_hi:[0,1,0]
	v_fma_mixlo_f16 v82, v50, v4, 0 op_sel_hi:[0,1,0]
	v_or_b32_e32 v4, v52, v51
	v_fma_mixlo_f16 v51, v50, v28, 0 op_sel:[0,1,0] op_sel_hi:[0,1,0]
	v_fma_mixlo_f16 v123, v50, v4, 0 op_sel_hi:[0,1,0]
	v_or_b32_e32 v4, v65, v54
	;; [unrolled: 3-line block ×3, first 2 shown]
	v_fma_mixlo_f16 v64, v50, v4, 0 op_sel_hi:[0,1,0]
	v_sub_nc_u32_e32 v4, 1, v27
	v_add_nc_u32_e32 v4, v4, v29
	v_add_nc_u32_e32 v29, 0x80, v29
	v_cvt_f32_i32_e32 v4, v4
	s_waitcnt vmcnt(0)
	v_mul_f32_e32 v4, v13, v4
	v_or_b32_e32 v13, v28, v31
	v_cndmask_b32_e32 v4, 0, v4, vcc_lo
	v_fma_mixlo_f16 v52, v50, v13, 0 op_sel_hi:[0,1,0]
	v_or_b32_e32 v13, v25, v24
	v_fma_mixlo_f16 v24, v50, v3, 0 op_sel:[0,1,0] op_sel_hi:[0,1,0]
	v_fma_mixlo_f16 v54, v50, v13, 0 op_sel_hi:[0,1,0]
	v_or_b32_e32 v13, v3, v19
	v_and_b32_e32 v3, 0xffff, v34
	;;#ASMSTART
	v_cvt_f32_f16 v12, v3;
	;;#ASMEND
	;;#ASMSTART
	v_cvt_f32_f16 v26, v2;
	;;#ASMEND
	v_and_b32_e32 v2, 0xffff, v123
	v_fma_mixlo_f16 v25, v50, v13, 0 op_sel_hi:[0,1,0]
	;;#ASMSTART
	v_cvt_f32_f16 v13, v2;
	;;#ASMEND
	v_and_b32_e32 v2, 0xffff, v114
	;;#ASMSTART
	v_cvt_f32_f16 v33, v2;
	;;#ASMEND
	v_lshrrev_b32_e32 v2, 16, v35
	v_and_b32_e32 v3, 0xffff, v35
	;;#ASMSTART
	v_cvt_f32_f16 v123, v3;
	;;#ASMEND
	;;#ASMSTART
	v_cvt_f32_f16 v114, v2;
	;;#ASMEND
	v_and_b32_e32 v2, 0xffff, v82
	;;#ASMSTART
	v_cvt_f32_f16 v82, v2;
	;;#ASMEND
	v_and_b32_e32 v2, 0xffff, v81
	;;#ASMSTART
	v_cvt_f32_f16 v30, v2;
	;;#ASMEND
	v_lshrrev_b32_e32 v2, 16, v36
	v_and_b32_e32 v3, 0xffff, v36
	;;#ASMSTART
	v_cvt_f32_f16 v66, v3;
	;;#ASMEND
	;;#ASMSTART
	v_cvt_f32_f16 v3, v2;
	;;#ASMEND
	v_and_b32_e32 v2, 0xffff, v80
	;; [unrolled: 16-line block ×3, first 2 shown]
	;;#ASMSTART
	v_cvt_f32_f16 v31, v2;
	;;#ASMEND
	v_and_b32_e32 v2, 0xffff, v55
	;;#ASMSTART
	v_cvt_f32_f16 v2, v2;
	;;#ASMEND
	ds_read_b128 v[34:37], v5 offset:16
	v_and_b32_e32 v64, 0xffff, v97
	s_waitcnt lgkmcnt(0)
	v_lshrrev_b32_e32 v50, 16, v34
	v_and_b32_e32 v34, 0xffff, v34
	;;#ASMSTART
	v_cvt_f32_f16 v34, v34;
	;;#ASMEND
	;;#ASMSTART
	v_cvt_f32_f16 v55, v50;
	;;#ASMEND
	v_and_b32_e32 v50, 0xffff, v98
	;;#ASMSTART
	v_cvt_f32_f16 v50, v50;
	;;#ASMEND
	;;#ASMSTART
	v_cvt_f32_f16 v64, v64;
	;;#ASMEND
	v_mul_f32_e32 v50, v34, v50
	v_mul_f32_e32 v55, v55, v64
	v_fmac_f32_e32 v50, v12, v13
	v_fmac_f32_e32 v55, v26, v33
	v_lshrrev_b32_e32 v13, 16, v35
	v_and_b32_e32 v12, 0xffff, v35
	v_and_b32_e32 v26, 0xffff, v96
	;; [unrolled: 1-line block ×3, first 2 shown]
	;;#ASMSTART
	v_cvt_f32_f16 v12, v12;
	;;#ASMEND
	;;#ASMSTART
	v_cvt_f32_f16 v13, v13;
	;;#ASMEND
	;; [unrolled: 3-line block ×4, first 2 shown]
	v_mul_f32_e32 v64, v13, v33
	v_mul_f32_e32 v65, v12, v26
	v_lshrrev_b32_e32 v13, 16, v36
	v_and_b32_e32 v12, 0xffff, v36
	v_and_b32_e32 v26, 0xffff, v70
	v_fmac_f32_e32 v64, v114, v30
	;;#ASMSTART
	v_cvt_f32_f16 v12, v12;
	;;#ASMEND
	;;#ASMSTART
	v_cvt_f32_f16 v13, v13;
	;;#ASMEND
	;; [unrolled: 3-line block ×3, first 2 shown]
	v_and_b32_e32 v30, 0xffff, v67
	v_mul_f32_e32 v67, v12, v26
	;;#ASMSTART
	v_cvt_f32_f16 v30, v30;
	;;#ASMEND
	v_lshrrev_b32_e32 v12, 16, v37
	v_and_b32_e32 v26, 0xffff, v68
	v_fmac_f32_e32 v65, v123, v82
	v_fmac_f32_e32 v67, v66, v80
	v_mul_f32_e32 v66, v13, v30
	v_and_b32_e32 v13, 0xffff, v69
	v_fmac_f32_e32 v66, v3, v81
	v_and_b32_e32 v3, 0xffff, v37
	;;#ASMSTART
	v_cvt_f32_f16 v3, v3;
	;;#ASMEND
	;;#ASMSTART
	v_cvt_f32_f16 v12, v12;
	;;#ASMEND
	;; [unrolled: 3-line block ×4, first 2 shown]
	ds_read_b128 v[33:36], v5 offset:32
	v_mul_f32_e32 v68, v12, v26
	v_mul_f32_e32 v69, v3, v13
	v_and_b32_e32 v12, 0xffff, v113
	v_and_b32_e32 v13, 0xffff, v112
	v_fmac_f32_e32 v68, v19, v2
	v_fmac_f32_e32 v69, v28, v31
	s_waitcnt lgkmcnt(0)
	v_lshrrev_b32_e32 v3, 16, v33
	v_and_b32_e32 v2, 0xffff, v33
	;;#ASMSTART
	v_cvt_f32_f16 v2, v2;
	;;#ASMEND
	;;#ASMSTART
	v_cvt_f32_f16 v3, v3;
	;;#ASMEND
	;;#ASMSTART
	v_cvt_f32_f16 v12, v12;
	;;#ASMEND
	;;#ASMSTART
	v_cvt_f32_f16 v13, v13;
	;;#ASMEND
	v_fmac_f32_e32 v50, v2, v12
	v_fmac_f32_e32 v55, v3, v13
	v_lshrrev_b32_e32 v3, 16, v34
	v_and_b32_e32 v2, 0xffff, v34
	v_and_b32_e32 v12, 0xffff, v102
	v_and_b32_e32 v13, 0xffff, v87
	;;#ASMSTART
	v_cvt_f32_f16 v2, v2;
	;;#ASMEND
	;;#ASMSTART
	v_cvt_f32_f16 v3, v3;
	;;#ASMEND
	;;#ASMSTART
	v_cvt_f32_f16 v12, v12;
	;;#ASMEND
	;;#ASMSTART
	v_cvt_f32_f16 v13, v13;
	;;#ASMEND
	v_fmac_f32_e32 v65, v2, v12
	v_fmac_f32_e32 v64, v3, v13
	v_lshrrev_b32_e32 v3, 16, v35
	v_and_b32_e32 v2, 0xffff, v35
	v_and_b32_e32 v12, 0xffff, v86
	;; [unrolled: 18-line block ×3, first 2 shown]
	v_and_b32_e32 v13, 0xffff, v83
	;;#ASMSTART
	v_cvt_f32_f16 v2, v2;
	;;#ASMEND
	;;#ASMSTART
	v_cvt_f32_f16 v3, v3;
	;;#ASMEND
	;; [unrolled: 3-line block ×4, first 2 shown]
	ds_read_b128 v[33:36], v5 offset:48
	v_fmac_f32_e32 v69, v2, v12
	v_fmac_f32_e32 v68, v3, v13
	v_and_b32_e32 v12, 0xffff, v42
	v_and_b32_e32 v13, 0xffff, v41
	s_waitcnt lgkmcnt(0)
	v_lshrrev_b32_e32 v3, 16, v33
	v_and_b32_e32 v2, 0xffff, v33
	;;#ASMSTART
	v_cvt_f32_f16 v2, v2;
	;;#ASMEND
	;;#ASMSTART
	v_cvt_f32_f16 v3, v3;
	;;#ASMEND
	;; [unrolled: 3-line block ×4, first 2 shown]
	v_fmac_f32_e32 v50, v2, v12
	v_fmac_f32_e32 v55, v3, v13
	v_lshrrev_b32_e32 v3, 16, v34
	v_and_b32_e32 v2, 0xffff, v34
	v_and_b32_e32 v12, 0xffff, v40
	;;#ASMSTART
	v_cvt_f32_f16 v2, v2;
	;;#ASMEND
	;;#ASMSTART
	v_cvt_f32_f16 v3, v3;
	;;#ASMEND
	;; [unrolled: 3-line block ×3, first 2 shown]
	v_and_b32_e32 v13, 0xffff, v103
	;;#ASMSTART
	v_cvt_f32_f16 v13, v13;
	;;#ASMEND
	v_fmac_f32_e32 v65, v2, v12
	v_fmac_f32_e32 v64, v3, v13
	v_lshrrev_b32_e32 v3, 16, v35
	v_and_b32_e32 v2, 0xffff, v35
	v_and_b32_e32 v12, 0xffff, v101
	;;#ASMSTART
	v_cvt_f32_f16 v2, v2;
	;;#ASMEND
	;;#ASMSTART
	v_cvt_f32_f16 v3, v3;
	;;#ASMEND
	;;#ASMSTART
	v_cvt_f32_f16 v12, v12;
	;;#ASMEND
	v_and_b32_e32 v13, 0xffff, v100
	;;#ASMSTART
	v_cvt_f32_f16 v13, v13;
	;;#ASMEND
	v_fmac_f32_e32 v67, v2, v12
	v_fmac_f32_e32 v66, v3, v13
	v_lshrrev_b32_e32 v3, 16, v36
	v_and_b32_e32 v2, 0xffff, v36
	v_and_b32_e32 v12, 0xffff, v99
	;;#ASMSTART
	v_cvt_f32_f16 v2, v2;
	;;#ASMEND
	;;#ASMSTART
	v_cvt_f32_f16 v3, v3;
	;;#ASMEND
	;; [unrolled: 3-line block ×4, first 2 shown]
	ds_read_b128 v[33:36], v5 offset:64
	v_fmac_f32_e32 v69, v2, v12
	v_fmac_f32_e32 v68, v3, v10
	v_and_b32_e32 v10, 0xffff, v76
	v_and_b32_e32 v12, 0xffff, v63
	s_waitcnt lgkmcnt(0)
	v_lshrrev_b32_e32 v3, 16, v33
	v_and_b32_e32 v2, 0xffff, v33
	;;#ASMSTART
	v_cvt_f32_f16 v2, v2;
	;;#ASMEND
	;;#ASMSTART
	v_cvt_f32_f16 v3, v3;
	;;#ASMEND
	;;#ASMSTART
	v_cvt_f32_f16 v10, v10;
	;;#ASMEND
	;;#ASMSTART
	v_cvt_f32_f16 v12, v12;
	;;#ASMEND
	v_fmac_f32_e32 v50, v2, v10
	v_fmac_f32_e32 v55, v3, v12
	v_lshrrev_b32_e32 v3, 16, v34
	v_and_b32_e32 v2, 0xffff, v34
	v_and_b32_e32 v10, 0xffff, v62
	v_and_b32_e32 v12, 0xffff, v119
	;;#ASMSTART
	v_cvt_f32_f16 v2, v2;
	;;#ASMEND
	;;#ASMSTART
	v_cvt_f32_f16 v3, v3;
	;;#ASMEND
	;;#ASMSTART
	v_cvt_f32_f16 v10, v10;
	;;#ASMEND
	;;#ASMSTART
	v_cvt_f32_f16 v12, v12;
	;;#ASMEND
	v_fmac_f32_e32 v65, v2, v10
	v_fmac_f32_e32 v64, v3, v12
	v_lshrrev_b32_e32 v3, 16, v35
	v_and_b32_e32 v2, 0xffff, v35
	v_and_b32_e32 v10, 0xffff, v118
	v_and_b32_e32 v12, 0xffff, v117
	;;#ASMSTART
	v_cvt_f32_f16 v2, v2;
	;;#ASMEND
	;;#ASMSTART
	v_cvt_f32_f16 v3, v3;
	;;#ASMEND
	;;#ASMSTART
	v_cvt_f32_f16 v10, v10;
	;;#ASMEND
	;;#ASMSTART
	v_cvt_f32_f16 v12, v12;
	;;#ASMEND
	v_fmac_f32_e32 v67, v2, v10
	v_fmac_f32_e32 v66, v3, v12
	v_lshrrev_b32_e32 v3, 16, v36
	v_and_b32_e32 v2, 0xffff, v36
	v_and_b32_e32 v10, 0xffff, v116
	v_and_b32_e32 v12, 0xffff, v115
	;;#ASMSTART
	v_cvt_f32_f16 v2, v2;
	;;#ASMEND
	;;#ASMSTART
	v_cvt_f32_f16 v3, v3;
	;;#ASMEND
	;; [unrolled: 3-line block ×4, first 2 shown]
	ds_read_b128 v[33:36], v5 offset:80
	v_fmac_f32_e32 v69, v2, v10
	v_fmac_f32_e32 v68, v3, v12
	v_and_b32_e32 v10, 0xffff, v109
	v_and_b32_e32 v12, 0xffff, v108
	s_waitcnt lgkmcnt(0)
	v_lshrrev_b32_e32 v3, 16, v33
	v_and_b32_e32 v2, 0xffff, v33
	;;#ASMSTART
	v_cvt_f32_f16 v2, v2;
	;;#ASMEND
	;;#ASMSTART
	v_cvt_f32_f16 v3, v3;
	;;#ASMEND
	;;#ASMSTART
	v_cvt_f32_f16 v10, v10;
	;;#ASMEND
	;;#ASMSTART
	v_cvt_f32_f16 v12, v12;
	;;#ASMEND
	v_fmac_f32_e32 v50, v2, v10
	v_fmac_f32_e32 v55, v3, v12
	v_lshrrev_b32_e32 v3, 16, v34
	v_and_b32_e32 v2, 0xffff, v34
	v_and_b32_e32 v10, 0xffff, v104
	v_and_b32_e32 v12, 0xffff, v57
	;;#ASMSTART
	v_cvt_f32_f16 v2, v2;
	;;#ASMEND
	;;#ASMSTART
	v_cvt_f32_f16 v3, v3;
	;;#ASMEND
	;;#ASMSTART
	v_cvt_f32_f16 v10, v10;
	;;#ASMEND
	;;#ASMSTART
	v_cvt_f32_f16 v12, v12;
	;;#ASMEND
	v_fmac_f32_e32 v65, v2, v10
	v_fmac_f32_e32 v64, v3, v12
	v_lshrrev_b32_e32 v3, 16, v35
	v_and_b32_e32 v2, 0xffff, v35
	v_and_b32_e32 v10, 0xffff, v56
	;; [unrolled: 18-line block ×3, first 2 shown]
	v_and_b32_e32 v12, 0xffff, v43
	;;#ASMSTART
	v_cvt_f32_f16 v2, v2;
	;;#ASMEND
	;;#ASMSTART
	v_cvt_f32_f16 v3, v3;
	;;#ASMEND
	;; [unrolled: 3-line block ×4, first 2 shown]
	ds_read_b128 v[33:36], v5 offset:96
	v_fmac_f32_e32 v69, v2, v10
	v_fmac_f32_e32 v68, v3, v12
	v_and_b32_e32 v10, 0xffff, v11
	s_waitcnt lgkmcnt(0)
	v_lshrrev_b32_e32 v3, 16, v33
	v_and_b32_e32 v2, 0xffff, v33
	;;#ASMSTART
	v_cvt_f32_f16 v2, v2;
	;;#ASMEND
	;;#ASMSTART
	v_cvt_f32_f16 v3, v3;
	;;#ASMEND
	;; [unrolled: 3-line block ×4, first 2 shown]
	v_fmac_f32_e32 v50, v2, v10
	v_fmac_f32_e32 v55, v3, v6
	v_lshrrev_b32_e32 v3, 16, v34
	v_and_b32_e32 v2, 0xffff, v34
	v_and_b32_e32 v6, 0xffff, v105
	;;#ASMSTART
	v_cvt_f32_f16 v2, v2;
	;;#ASMEND
	;;#ASMSTART
	v_cvt_f32_f16 v3, v3;
	;;#ASMEND
	;;#ASMSTART
	v_cvt_f32_f16 v6, v6;
	;;#ASMEND
	;;#ASMSTART
	v_cvt_f32_f16 v7, v7;
	;;#ASMEND
	v_fmac_f32_e32 v65, v2, v6
	v_fmac_f32_e32 v64, v3, v7
	v_lshrrev_b32_e32 v3, 16, v35
	v_and_b32_e32 v2, 0xffff, v35
	v_and_b32_e32 v6, 0xffff, v8
	;; [unrolled: 1-line block ×3, first 2 shown]
	;;#ASMSTART
	v_cvt_f32_f16 v2, v2;
	;;#ASMEND
	;;#ASMSTART
	v_cvt_f32_f16 v3, v3;
	;;#ASMEND
	;; [unrolled: 3-line block ×4, first 2 shown]
	v_fmac_f32_e32 v67, v2, v6
	v_fmac_f32_e32 v66, v3, v7
	v_lshrrev_b32_e32 v3, 16, v36
	v_and_b32_e32 v2, 0xffff, v36
	v_and_b32_e32 v6, 0xffff, v90
	;; [unrolled: 1-line block ×3, first 2 shown]
	;;#ASMSTART
	v_cvt_f32_f16 v2, v2;
	;;#ASMEND
	;;#ASMSTART
	v_cvt_f32_f16 v3, v3;
	;;#ASMEND
	;; [unrolled: 3-line block ×4, first 2 shown]
	ds_read_b128 v[10:13], v5 offset:112
	v_fmac_f32_e32 v69, v2, v6
	v_fmac_f32_e32 v68, v3, v7
	v_and_b32_e32 v7, 0xffff, v121
	v_and_b32_e32 v8, 0xffff, v120
	s_waitcnt lgkmcnt(0)
	v_lshrrev_b32_e32 v3, 16, v10
	v_and_b32_e32 v2, 0xffff, v10
	;;#ASMSTART
	v_cvt_f32_f16 v2, v2;
	;;#ASMEND
	;;#ASMSTART
	v_cvt_f32_f16 v3, v3;
	;;#ASMEND
	;;#ASMSTART
	v_cvt_f32_f16 v0, v0;
	;;#ASMEND
	;;#ASMSTART
	v_cvt_f32_f16 v1, v1;
	;;#ASMEND
	v_fmac_f32_e32 v50, v2, v0
	v_fmac_f32_e32 v55, v3, v1
	v_lshrrev_b32_e32 v1, 16, v11
	v_and_b32_e32 v0, 0xffff, v11
	v_and_b32_e32 v2, 0xffff, v32
	v_and_b32_e32 v3, 0xffff, v127
	;;#ASMSTART
	v_cvt_f32_f16 v0, v0;
	;;#ASMEND
	;;#ASMSTART
	v_cvt_f32_f16 v1, v1;
	;;#ASMEND
	;;#ASMSTART
	v_cvt_f32_f16 v2, v2;
	;;#ASMEND
	;;#ASMSTART
	v_cvt_f32_f16 v3, v3;
	;;#ASMEND
	v_fmac_f32_e32 v65, v0, v2
	v_fmac_f32_e32 v64, v1, v3
	v_lshrrev_b32_e32 v1, 16, v12
	v_and_b32_e32 v0, 0xffff, v12
	v_and_b32_e32 v2, 0xffff, v126
	;; [unrolled: 18-line block ×3, first 2 shown]
	v_and_b32_e32 v3, 0xffff, v122
	;;#ASMSTART
	v_cvt_f32_f16 v0, v0;
	;;#ASMEND
	;;#ASMSTART
	v_cvt_f32_f16 v1, v1;
	;;#ASMEND
	;; [unrolled: 3-line block ×4, first 2 shown]
	v_fmac_f32_e32 v69, v0, v2
	v_fmac_f32_e32 v68, v1, v3
	ds_read_b128 v[0:3], v5 offset:128
	s_waitcnt lgkmcnt(0)
	v_lshrrev_b32_e32 v6, 16, v0
	v_and_b32_e32 v0, 0xffff, v0
	;;#ASMSTART
	v_cvt_f32_f16 v0, v0;
	;;#ASMEND
	;;#ASMSTART
	v_cvt_f32_f16 v6, v6;
	;;#ASMEND
	;; [unrolled: 3-line block ×4, first 2 shown]
	v_fmac_f32_e32 v50, v0, v7
	v_fmac_f32_e32 v55, v6, v8
	v_lshrrev_b32_e32 v6, 16, v1
	v_and_b32_e32 v0, 0xffff, v1
	;;#ASMSTART
	v_cvt_f32_f16 v0, v0;
	;;#ASMEND
	;;#ASMSTART
	v_cvt_f32_f16 v1, v6;
	;;#ASMEND
	v_and_b32_e32 v6, 0xffff, v111
	v_and_b32_e32 v7, 0xffff, v110
	;;#ASMSTART
	v_cvt_f32_f16 v6, v6;
	;;#ASMEND
	;;#ASMSTART
	v_cvt_f32_f16 v7, v7;
	;;#ASMEND
	v_fmac_f32_e32 v65, v0, v6
	v_fmac_f32_e32 v64, v1, v7
	v_lshrrev_b32_e32 v1, 16, v2
	v_and_b32_e32 v0, 0xffff, v2
	v_and_b32_e32 v2, 0xffff, v107
	;;#ASMSTART
	v_cvt_f32_f16 v0, v0;
	;;#ASMEND
	;;#ASMSTART
	v_cvt_f32_f16 v1, v1;
	;;#ASMEND
	;; [unrolled: 3-line block ×3, first 2 shown]
	v_and_b32_e32 v6, 0xffff, v106
	;;#ASMSTART
	v_cvt_f32_f16 v6, v6;
	;;#ASMEND
	v_fmac_f32_e32 v67, v0, v2
	v_fmac_f32_e32 v66, v1, v6
	v_lshrrev_b32_e32 v1, 16, v3
	v_and_b32_e32 v0, 0xffff, v3
	v_and_b32_e32 v2, 0xffff, v95
	;; [unrolled: 1-line block ×3, first 2 shown]
	;;#ASMSTART
	v_cvt_f32_f16 v0, v0;
	;;#ASMEND
	;;#ASMSTART
	v_cvt_f32_f16 v1, v1;
	;;#ASMEND
	;; [unrolled: 3-line block ×4, first 2 shown]
	v_fmac_f32_e32 v69, v0, v2
	v_fmac_f32_e32 v68, v1, v3
	ds_read_b128 v[0:3], v5 offset:144
	v_and_b32_e32 v7, 0xffff, v93
	v_and_b32_e32 v8, 0xffff, v92
	s_waitcnt lgkmcnt(0)
	v_lshrrev_b32_e32 v6, 16, v0
	v_and_b32_e32 v0, 0xffff, v0
	;;#ASMSTART
	v_cvt_f32_f16 v0, v0;
	;;#ASMEND
	;;#ASMSTART
	v_cvt_f32_f16 v6, v6;
	;;#ASMEND
	;; [unrolled: 3-line block ×4, first 2 shown]
	v_fmac_f32_e32 v50, v0, v7
	v_fmac_f32_e32 v55, v6, v8
	v_lshrrev_b32_e32 v6, 16, v1
	v_and_b32_e32 v0, 0xffff, v1
	;;#ASMSTART
	v_cvt_f32_f16 v0, v0;
	;;#ASMEND
	;;#ASMSTART
	v_cvt_f32_f16 v1, v6;
	;;#ASMEND
	v_and_b32_e32 v6, 0xffff, v89
	v_and_b32_e32 v7, 0xffff, v88
	;;#ASMSTART
	v_cvt_f32_f16 v6, v6;
	;;#ASMEND
	;;#ASMSTART
	v_cvt_f32_f16 v7, v7;
	;;#ASMEND
	v_fmac_f32_e32 v65, v0, v6
	v_fmac_f32_e32 v64, v1, v7
	v_lshrrev_b32_e32 v1, 16, v2
	v_and_b32_e32 v0, 0xffff, v2
	v_and_b32_e32 v2, 0xffff, v79
	;;#ASMSTART
	v_cvt_f32_f16 v0, v0;
	;;#ASMEND
	;;#ASMSTART
	v_cvt_f32_f16 v1, v1;
	;;#ASMEND
	;; [unrolled: 3-line block ×3, first 2 shown]
	v_and_b32_e32 v6, 0xffff, v78
	;;#ASMSTART
	v_cvt_f32_f16 v6, v6;
	;;#ASMEND
	v_fmac_f32_e32 v67, v0, v2
	v_fmac_f32_e32 v66, v1, v6
	v_lshrrev_b32_e32 v1, 16, v3
	v_and_b32_e32 v0, 0xffff, v3
	v_and_b32_e32 v2, 0xffff, v75
	;; [unrolled: 1-line block ×3, first 2 shown]
	;;#ASMSTART
	v_cvt_f32_f16 v0, v0;
	;;#ASMEND
	;;#ASMSTART
	v_cvt_f32_f16 v1, v1;
	;;#ASMEND
	;; [unrolled: 3-line block ×4, first 2 shown]
	v_fmac_f32_e32 v69, v0, v2
	v_fmac_f32_e32 v68, v1, v3
	ds_read_b128 v[0:3], v5 offset:160
	v_and_b32_e32 v7, 0xffff, v73
	v_and_b32_e32 v8, 0xffff, v72
	s_waitcnt lgkmcnt(0)
	v_lshrrev_b32_e32 v6, 16, v0
	v_and_b32_e32 v0, 0xffff, v0
	;;#ASMSTART
	v_cvt_f32_f16 v0, v0;
	;;#ASMEND
	;;#ASMSTART
	v_cvt_f32_f16 v6, v6;
	;;#ASMEND
	;; [unrolled: 3-line block ×4, first 2 shown]
	v_fmac_f32_e32 v50, v0, v7
	v_fmac_f32_e32 v55, v6, v8
	v_lshrrev_b32_e32 v6, 16, v1
	v_and_b32_e32 v0, 0xffff, v1
	;;#ASMSTART
	v_cvt_f32_f16 v0, v0;
	;;#ASMEND
	;;#ASMSTART
	v_cvt_f32_f16 v1, v6;
	;;#ASMEND
	v_and_b32_e32 v6, 0xffff, v61
	v_and_b32_e32 v7, 0xffff, v60
	;;#ASMSTART
	v_cvt_f32_f16 v6, v6;
	;;#ASMEND
	;;#ASMSTART
	v_cvt_f32_f16 v7, v7;
	;;#ASMEND
	v_fmac_f32_e32 v65, v0, v6
	v_fmac_f32_e32 v64, v1, v7
	v_lshrrev_b32_e32 v1, 16, v2
	v_and_b32_e32 v0, 0xffff, v2
	v_and_b32_e32 v2, 0xffff, v59
	;;#ASMSTART
	v_cvt_f32_f16 v0, v0;
	;;#ASMEND
	;;#ASMSTART
	v_cvt_f32_f16 v1, v1;
	;;#ASMEND
	;; [unrolled: 3-line block ×3, first 2 shown]
	v_and_b32_e32 v6, 0xffff, v58
	;;#ASMSTART
	v_cvt_f32_f16 v6, v6;
	;;#ASMEND
	v_fmac_f32_e32 v67, v0, v2
	v_fmac_f32_e32 v66, v1, v6
	v_lshrrev_b32_e32 v0, 16, v3
	v_and_b32_e32 v1, 0xffff, v3
	v_and_b32_e32 v2, 0xffff, v45
	;; [unrolled: 1-line block ×3, first 2 shown]
	;;#ASMSTART
	v_cvt_f32_f16 v1, v1;
	;;#ASMEND
	;;#ASMSTART
	v_cvt_f32_f16 v0, v0;
	;;#ASMEND
	;;#ASMSTART
	v_cvt_f32_f16 v2, v2;
	;;#ASMEND
	;;#ASMSTART
	v_cvt_f32_f16 v3, v3;
	;;#ASMEND
	v_fmac_f32_e32 v69, v1, v2
	v_fmac_f32_e32 v68, v0, v3
	ds_read_b128 v[0:3], v5 offset:176
	v_and_b32_e32 v7, 0xffff, v54
	v_and_b32_e32 v8, 0xffff, v53
	s_waitcnt lgkmcnt(0)
	v_lshrrev_b32_e32 v6, 16, v0
	v_and_b32_e32 v0, 0xffff, v0
	;;#ASMSTART
	v_cvt_f32_f16 v0, v0;
	;;#ASMEND
	;;#ASMSTART
	v_cvt_f32_f16 v6, v6;
	;;#ASMEND
	;; [unrolled: 3-line block ×4, first 2 shown]
	v_fmac_f32_e32 v50, v0, v7
	v_fmac_f32_e32 v55, v6, v8
	v_lshrrev_b32_e32 v6, 16, v1
	v_and_b32_e32 v0, 0xffff, v1
	;;#ASMSTART
	v_cvt_f32_f16 v0, v0;
	;;#ASMEND
	;;#ASMSTART
	v_cvt_f32_f16 v1, v6;
	;;#ASMEND
	v_and_b32_e32 v6, 0xffff, v52
	v_and_b32_e32 v7, 0xffff, v51
	;;#ASMSTART
	v_cvt_f32_f16 v6, v6;
	;;#ASMEND
	;;#ASMSTART
	v_cvt_f32_f16 v7, v7;
	;;#ASMEND
	v_fmac_f32_e32 v65, v0, v6
	v_fmac_f32_e32 v64, v1, v7
	v_lshrrev_b32_e32 v1, 16, v2
	v_and_b32_e32 v0, 0xffff, v2
	;;#ASMSTART
	v_cvt_f32_f16 v0, v0;
	;;#ASMEND
	;;#ASMSTART
	v_cvt_f32_f16 v1, v1;
	;;#ASMEND
	v_and_b32_e32 v2, 0xffff, v25
	v_and_b32_e32 v6, 0xffff, v24
	;;#ASMSTART
	v_cvt_f32_f16 v2, v2;
	;;#ASMEND
	;;#ASMSTART
	v_cvt_f32_f16 v6, v6;
	;;#ASMEND
	;; [unrolled: 18-line block ×3, first 2 shown]
	v_fmac_f32_e32 v68, v1, v3
	buffer_load_dword v1, off, s[0:3], s32 offset:208 ; 4-byte Folded Reload
	v_fmac_f32_e32 v69, v0, v2
	v_add_f32_e32 v0, v50, v55
	v_add_f32_e32 v0, v0, v65
	v_add_f32_e32 v0, v64, v0
	v_add_f32_e32 v0, v0, v67
	v_add_f32_e32 v0, v66, v0
	v_add_f32_e32 v0, v0, v69
	v_add_f32_e32 v0, v68, v0
	s_waitcnt vmcnt(0)
	v_fmac_f32_e32 v4, v1, v0
	v_cndmask_b32_e64 v0, 0, v4, s5
	ds_write_b32 v39, v0
	v_max_f32_e32 v0, v9, v9
	v_add_nc_u32_e32 v39, 0x200, v39
	v_max_f32_e32 v0, v0, v4
	v_cndmask_b32_e64 v9, v9, v0, s5
	v_add_co_u32 v14, s5, v14, 16
	v_add_co_ci_u32_e64 v15, null, 0, v15, s5
	v_cmp_ge_i32_e64 s5, v49, v18
	s_or_b32 s15, s5, s15
	s_andn2_b32 exec_lo, exec_lo, s15
	s_cbranch_execz .LBB292_775
.LBB292_10:                             ; =>This Inner Loop Header: Depth=1
	flat_load_dword v0, v[14:15]
	s_clause 0x2
	buffer_load_dword v1, off, s[0:3], s32 offset:192
	buffer_load_dword v2, off, s[0:3], s32 offset:212
	;; [unrolled: 1-line block ×3, first 2 shown]
	v_mov_b32_e32 v51, 0
	s_waitcnt vmcnt(0) lgkmcnt(0)
	v_mad_i64_i32 v[16:17], null, v0, v1, v[2:3]
	flat_load_dwordx2 v[24:25], v[16:17]
	s_clause 0x1
	buffer_load_dword v0, off, s[0:3], s32 offset:200
	buffer_load_dword v1, off, s[0:3], s32 offset:204
	s_waitcnt vmcnt(2) lgkmcnt(0)
	v_cmp_ne_u16_sdwa s5, v24, v5 src0_sel:BYTE_0 src1_sel:DWORD
	s_waitcnt vmcnt(0)
	flat_load_dword v50, v[0:1]
	s_and_saveexec_b32 s17, s5
	s_cbranch_execz .LBB292_18
; %bb.11:                               ;   in Loop: Header=BB292_10 Depth=1
	v_cmp_ne_u16_sdwa s5, v24, v48 src0_sel:BYTE_0 src1_sel:DWORD
	v_mov_b32_e32 v51, 0x8000
	s_and_saveexec_b32 s18, s5
	s_cbranch_execz .LBB292_17
; %bb.12:                               ;   in Loop: Header=BB292_10 Depth=1
	v_and_b32_e32 v2, 0x7f, v24
	v_mov_b32_e32 v51, 0x7c01
	s_mov_b32 s19, exec_lo
	v_cmpx_ne_u32_e32 0x7f, v2
	s_cbranch_execz .LBB292_16
; %bb.13:                               ;   in Loop: Header=BB292_10 Depth=1
	v_and_b32_e32 v0, 7, v24
	v_lshrrev_b32_e32 v1, 3, v2
	s_mov_b32 s20, exec_lo
	v_cmpx_gt_u32_e32 8, v2
; %bb.14:                               ;   in Loop: Header=BB292_10 Depth=1
	v_ffbh_u32_e32 v0, v0
	v_min_u32_e32 v2, 32, v0
	v_subrev_nc_u32_e32 v0, 28, v2
	v_lshlrev_b64 v[0:1], v0, v[24:25]
	v_sub_nc_u32_e32 v1, 29, v2
	v_and_b32_e32 v0, 7, v0
; %bb.15:                               ;   in Loop: Header=BB292_10 Depth=1
	s_or_b32 exec_lo, exec_lo, s20
	v_lshlrev_b32_e32 v2, 8, v24
	v_lshl_add_u32 v1, v1, 10, 0x2000
	v_lshlrev_b32_e32 v0, 7, v0
	v_and_b32_e32 v2, 0x8000, v2
	v_and_b32_e32 v1, 0xfc00, v1
	v_or3_b32 v51, v2, v1, v0
.LBB292_16:                             ;   in Loop: Header=BB292_10 Depth=1
	s_or_b32 exec_lo, exec_lo, s19
.LBB292_17:                             ;   in Loop: Header=BB292_10 Depth=1
	s_or_b32 exec_lo, exec_lo, s18
.LBB292_18:                             ;   in Loop: Header=BB292_10 Depth=1
	s_or_b32 exec_lo, exec_lo, s17
	v_lshrrev_b16 v4, 8, v24
	v_mov_b32_e32 v53, 0
	v_mov_b32_e32 v52, 0
	s_mov_b32 s17, exec_lo
	v_cmpx_ne_u16_e32 0, v4
	s_cbranch_execz .LBB292_26
; %bb.19:                               ;   in Loop: Header=BB292_10 Depth=1
	v_bfrev_b32_e32 v52, 1
	s_mov_b32 s18, exec_lo
	v_cmpx_ne_u16_e32 0x80, v4
	s_cbranch_execz .LBB292_25
; %bb.20:                               ;   in Loop: Header=BB292_10 Depth=1
	v_and_b32_sdwa v2, v4, v38 dst_sel:DWORD dst_unused:UNUSED_PAD src0_sel:WORD_0 src1_sel:DWORD
	v_mov_b32_e32 v52, 0x7c010000
	s_mov_b32 s19, exec_lo
	v_cmpx_ne_u32_e32 0x7f, v2
	s_cbranch_execz .LBB292_24
; %bb.21:                               ;   in Loop: Header=BB292_10 Depth=1
	v_and_b32_sdwa v0, v4, v20 dst_sel:DWORD dst_unused:UNUSED_PAD src0_sel:WORD_0 src1_sel:DWORD
	v_lshrrev_b32_e32 v1, 3, v2
	s_mov_b32 s20, exec_lo
	v_cmpx_gt_u32_e32 8, v2
; %bb.22:                               ;   in Loop: Header=BB292_10 Depth=1
	v_ffbh_u32_e32 v0, v0
	v_min_u32_e32 v2, 32, v0
	v_subrev_nc_u32_e32 v0, 28, v2
	v_lshlrev_b64 v[0:1], v0, v[4:5]
	v_sub_nc_u32_e32 v1, 29, v2
	v_and_b32_e32 v0, 7, v0
; %bb.23:                               ;   in Loop: Header=BB292_10 Depth=1
	s_or_b32 exec_lo, exec_lo, s20
	v_lshlrev_b32_sdwa v2, v21, v4 dst_sel:DWORD dst_unused:UNUSED_PAD src0_sel:DWORD src1_sel:WORD_0
	v_lshl_add_u32 v1, v1, 10, 0x2000
	v_lshlrev_b32_e32 v0, 23, v0
	v_and_or_b32 v1, 0x8000, v2, v1
	v_lshl_or_b32 v52, v1, 16, v0
.LBB292_24:                             ;   in Loop: Header=BB292_10 Depth=1
	s_or_b32 exec_lo, exec_lo, s19
.LBB292_25:                             ;   in Loop: Header=BB292_10 Depth=1
	s_or_b32 exec_lo, exec_lo, s18
.LBB292_26:                             ;   in Loop: Header=BB292_10 Depth=1
	s_or_b32 exec_lo, exec_lo, s17
	v_lshrrev_b32_e32 v4, 16, v24
	v_cmp_ne_u16_sdwa s5, v4, v5 src0_sel:BYTE_0 src1_sel:DWORD
	s_and_saveexec_b32 s17, s5
	s_cbranch_execz .LBB292_34
; %bb.27:                               ;   in Loop: Header=BB292_10 Depth=1
	v_cmp_ne_u16_sdwa s5, v4, v48 src0_sel:BYTE_0 src1_sel:DWORD
	v_mov_b32_e32 v53, 0x8000
	s_and_saveexec_b32 s18, s5
	s_cbranch_execz .LBB292_33
; %bb.28:                               ;   in Loop: Header=BB292_10 Depth=1
	v_bfe_u32 v2, v24, 16, 7
	v_mov_b32_e32 v53, 0x7c01
	s_mov_b32 s19, exec_lo
	v_cmpx_ne_u32_e32 0x7f, v2
	s_cbranch_execz .LBB292_32
; %bb.29:                               ;   in Loop: Header=BB292_10 Depth=1
	v_and_b32_e32 v0, 7, v4
	v_lshrrev_b32_e32 v1, 3, v2
	s_mov_b32 s20, exec_lo
	v_cmpx_gt_u32_e32 8, v2
; %bb.30:                               ;   in Loop: Header=BB292_10 Depth=1
	v_ffbh_u32_e32 v0, v0
	v_min_u32_e32 v2, 32, v0
	v_subrev_nc_u32_e32 v0, 28, v2
	v_lshlrev_b64 v[0:1], v0, v[4:5]
	v_sub_nc_u32_e32 v1, 29, v2
	v_and_b32_e32 v0, 7, v0
; %bb.31:                               ;   in Loop: Header=BB292_10 Depth=1
	s_or_b32 exec_lo, exec_lo, s20
	v_lshlrev_b32_e32 v2, 8, v4
	v_lshl_add_u32 v1, v1, 10, 0x2000
	v_lshlrev_b32_e32 v0, 7, v0
	v_and_b32_e32 v2, 0x8000, v2
	v_and_b32_e32 v1, 0xfc00, v1
	v_or3_b32 v53, v2, v1, v0
.LBB292_32:                             ;   in Loop: Header=BB292_10 Depth=1
	s_or_b32 exec_lo, exec_lo, s19
.LBB292_33:                             ;   in Loop: Header=BB292_10 Depth=1
	s_or_b32 exec_lo, exec_lo, s18
.LBB292_34:                             ;   in Loop: Header=BB292_10 Depth=1
	s_or_b32 exec_lo, exec_lo, s17
	v_mov_b32_e32 v54, 0
	v_mov_b32_e32 v55, 0
	s_mov_b32 s17, exec_lo
	v_cmpx_lt_u32_e32 0xffffff, v24
	s_cbranch_execz .LBB292_42
; %bb.35:                               ;   in Loop: Header=BB292_10 Depth=1
	v_lshrrev_b32_e32 v4, 24, v24
	v_bfrev_b32_e32 v55, 1
	s_mov_b32 s18, exec_lo
	v_cmpx_ne_u32_e32 0x80, v4
	s_cbranch_execz .LBB292_41
; %bb.36:                               ;   in Loop: Header=BB292_10 Depth=1
	v_and_b32_e32 v2, 0x7f, v4
	v_mov_b32_e32 v55, 0x7c010000
	s_mov_b32 s19, exec_lo
	v_cmpx_ne_u32_e32 0x7f, v2
	s_cbranch_execz .LBB292_40
; %bb.37:                               ;   in Loop: Header=BB292_10 Depth=1
	v_and_b32_e32 v0, 7, v4
	v_lshrrev_b32_e32 v1, 3, v2
	s_mov_b32 s20, exec_lo
	v_cmpx_gt_u32_e32 8, v2
; %bb.38:                               ;   in Loop: Header=BB292_10 Depth=1
	v_ffbh_u32_e32 v0, v0
	v_min_u32_e32 v2, 32, v0
	v_subrev_nc_u32_e32 v0, 28, v2
	v_lshlrev_b64 v[0:1], v0, v[4:5]
	v_sub_nc_u32_e32 v1, 29, v2
	v_and_b32_e32 v0, 7, v0
; %bb.39:                               ;   in Loop: Header=BB292_10 Depth=1
	s_or_b32 exec_lo, exec_lo, s20
	v_lshlrev_b32_e32 v2, 8, v4
	v_lshl_add_u32 v1, v1, 10, 0x2000
	v_lshlrev_b32_e32 v0, 23, v0
	v_and_or_b32 v1, 0x8000, v2, v1
	v_lshl_or_b32 v55, v1, 16, v0
.LBB292_40:                             ;   in Loop: Header=BB292_10 Depth=1
	s_or_b32 exec_lo, exec_lo, s19
.LBB292_41:                             ;   in Loop: Header=BB292_10 Depth=1
	s_or_b32 exec_lo, exec_lo, s18
.LBB292_42:                             ;   in Loop: Header=BB292_10 Depth=1
	s_or_b32 exec_lo, exec_lo, s17
	v_mov_b32_e32 v4, v25
	v_cmp_ne_u16_sdwa s5, v25, v5 src0_sel:BYTE_0 src1_sel:DWORD
	s_and_saveexec_b32 s17, s5
	s_cbranch_execz .LBB292_50
; %bb.43:                               ;   in Loop: Header=BB292_10 Depth=1
	v_cmp_ne_u16_sdwa s5, v25, v48 src0_sel:BYTE_0 src1_sel:DWORD
	v_mov_b32_e32 v54, 0x8000
	s_and_saveexec_b32 s18, s5
	s_cbranch_execz .LBB292_49
; %bb.44:                               ;   in Loop: Header=BB292_10 Depth=1
	v_and_b32_e32 v2, 0x7f, v25
	v_mov_b32_e32 v54, 0x7c01
	s_mov_b32 s19, exec_lo
	v_cmpx_ne_u32_e32 0x7f, v2
	s_cbranch_execz .LBB292_48
; %bb.45:                               ;   in Loop: Header=BB292_10 Depth=1
	v_and_b32_e32 v0, 7, v25
	v_lshrrev_b32_e32 v1, 3, v2
	s_mov_b32 s20, exec_lo
	v_cmpx_gt_u32_e32 8, v2
; %bb.46:                               ;   in Loop: Header=BB292_10 Depth=1
	v_ffbh_u32_e32 v0, v0
	v_min_u32_e32 v2, 32, v0
	v_subrev_nc_u32_e32 v0, 28, v2
	v_lshlrev_b64 v[0:1], v0, v[4:5]
	v_sub_nc_u32_e32 v1, 29, v2
	v_and_b32_e32 v0, 7, v0
; %bb.47:                               ;   in Loop: Header=BB292_10 Depth=1
	s_or_b32 exec_lo, exec_lo, s20
	v_lshlrev_b32_e32 v2, 8, v25
	v_lshl_add_u32 v1, v1, 10, 0x2000
	v_lshlrev_b32_e32 v0, 7, v0
	v_and_b32_e32 v2, 0x8000, v2
	v_and_b32_e32 v1, 0xfc00, v1
	v_or3_b32 v54, v2, v1, v0
.LBB292_48:                             ;   in Loop: Header=BB292_10 Depth=1
	s_or_b32 exec_lo, exec_lo, s19
.LBB292_49:                             ;   in Loop: Header=BB292_10 Depth=1
	s_or_b32 exec_lo, exec_lo, s18
.LBB292_50:                             ;   in Loop: Header=BB292_10 Depth=1
	s_or_b32 exec_lo, exec_lo, s17
	v_lshrrev_b16 v4, 8, v4
	v_mov_b32_e32 v64, 0
	v_mov_b32_e32 v65, 0
	s_mov_b32 s17, exec_lo
	v_cmpx_ne_u16_e32 0, v4
	s_cbranch_execz .LBB292_58
; %bb.51:                               ;   in Loop: Header=BB292_10 Depth=1
	v_bfrev_b32_e32 v65, 1
	s_mov_b32 s18, exec_lo
	v_cmpx_ne_u16_e32 0x80, v4
	s_cbranch_execz .LBB292_57
; %bb.52:                               ;   in Loop: Header=BB292_10 Depth=1
	v_and_b32_sdwa v2, v4, v38 dst_sel:DWORD dst_unused:UNUSED_PAD src0_sel:WORD_0 src1_sel:DWORD
	v_mov_b32_e32 v65, 0x7c010000
	s_mov_b32 s19, exec_lo
	v_cmpx_ne_u32_e32 0x7f, v2
	s_cbranch_execz .LBB292_56
; %bb.53:                               ;   in Loop: Header=BB292_10 Depth=1
	v_and_b32_sdwa v0, v4, v20 dst_sel:DWORD dst_unused:UNUSED_PAD src0_sel:WORD_0 src1_sel:DWORD
	v_lshrrev_b32_e32 v1, 3, v2
	s_mov_b32 s20, exec_lo
	v_cmpx_gt_u32_e32 8, v2
; %bb.54:                               ;   in Loop: Header=BB292_10 Depth=1
	v_ffbh_u32_e32 v0, v0
	v_min_u32_e32 v2, 32, v0
	v_subrev_nc_u32_e32 v0, 28, v2
	v_lshlrev_b64 v[0:1], v0, v[4:5]
	v_sub_nc_u32_e32 v1, 29, v2
	v_and_b32_e32 v0, 7, v0
; %bb.55:                               ;   in Loop: Header=BB292_10 Depth=1
	s_or_b32 exec_lo, exec_lo, s20
	v_lshlrev_b32_sdwa v2, v21, v4 dst_sel:DWORD dst_unused:UNUSED_PAD src0_sel:DWORD src1_sel:WORD_0
	v_lshl_add_u32 v1, v1, 10, 0x2000
	v_lshlrev_b32_e32 v0, 23, v0
	v_and_or_b32 v1, 0x8000, v2, v1
	v_lshl_or_b32 v65, v1, 16, v0
.LBB292_56:                             ;   in Loop: Header=BB292_10 Depth=1
	s_or_b32 exec_lo, exec_lo, s19
.LBB292_57:                             ;   in Loop: Header=BB292_10 Depth=1
	s_or_b32 exec_lo, exec_lo, s18
.LBB292_58:                             ;   in Loop: Header=BB292_10 Depth=1
	s_or_b32 exec_lo, exec_lo, s17
	v_lshrrev_b32_e32 v4, 16, v25
	v_cmp_ne_u16_sdwa s5, v4, v5 src0_sel:BYTE_0 src1_sel:DWORD
	s_and_saveexec_b32 s17, s5
	s_cbranch_execz .LBB292_66
; %bb.59:                               ;   in Loop: Header=BB292_10 Depth=1
	v_cmp_ne_u16_sdwa s5, v4, v48 src0_sel:BYTE_0 src1_sel:DWORD
	v_mov_b32_e32 v64, 0x8000
	s_and_saveexec_b32 s18, s5
	s_cbranch_execz .LBB292_65
; %bb.60:                               ;   in Loop: Header=BB292_10 Depth=1
	v_bfe_u32 v2, v25, 16, 7
	v_mov_b32_e32 v64, 0x7c01
	s_mov_b32 s19, exec_lo
	v_cmpx_ne_u32_e32 0x7f, v2
	s_cbranch_execz .LBB292_64
; %bb.61:                               ;   in Loop: Header=BB292_10 Depth=1
	v_and_b32_e32 v0, 7, v4
	v_lshrrev_b32_e32 v1, 3, v2
	s_mov_b32 s20, exec_lo
	v_cmpx_gt_u32_e32 8, v2
; %bb.62:                               ;   in Loop: Header=BB292_10 Depth=1
	v_ffbh_u32_e32 v0, v0
	v_min_u32_e32 v2, 32, v0
	v_subrev_nc_u32_e32 v0, 28, v2
	v_lshlrev_b64 v[0:1], v0, v[4:5]
	v_sub_nc_u32_e32 v1, 29, v2
	v_and_b32_e32 v0, 7, v0
; %bb.63:                               ;   in Loop: Header=BB292_10 Depth=1
	s_or_b32 exec_lo, exec_lo, s20
	v_lshlrev_b32_e32 v2, 8, v4
	v_lshl_add_u32 v1, v1, 10, 0x2000
	v_lshlrev_b32_e32 v0, 7, v0
	v_and_b32_e32 v2, 0x8000, v2
	v_and_b32_e32 v1, 0xfc00, v1
	v_or3_b32 v64, v2, v1, v0
.LBB292_64:                             ;   in Loop: Header=BB292_10 Depth=1
	s_or_b32 exec_lo, exec_lo, s19
.LBB292_65:                             ;   in Loop: Header=BB292_10 Depth=1
	s_or_b32 exec_lo, exec_lo, s18
.LBB292_66:                             ;   in Loop: Header=BB292_10 Depth=1
	s_or_b32 exec_lo, exec_lo, s17
	v_mov_b32_e32 v67, 0
	v_mov_b32_e32 v66, 0
	s_mov_b32 s17, exec_lo
	v_cmpx_lt_u64_e64 s[6:7], v[24:25]
	s_cbranch_execz .LBB292_74
; %bb.67:                               ;   in Loop: Header=BB292_10 Depth=1
	v_lshrrev_b32_e32 v4, 24, v25
	v_bfrev_b32_e32 v66, 1
	s_mov_b32 s18, exec_lo
	v_cmpx_ne_u32_e32 0x80, v4
	s_cbranch_execz .LBB292_73
; %bb.68:                               ;   in Loop: Header=BB292_10 Depth=1
	v_and_b32_e32 v2, 0x7f, v4
	v_mov_b32_e32 v66, 0x7c010000
	s_mov_b32 s19, exec_lo
	v_cmpx_ne_u32_e32 0x7f, v2
	s_cbranch_execz .LBB292_72
; %bb.69:                               ;   in Loop: Header=BB292_10 Depth=1
	v_and_b32_e32 v0, 7, v4
	v_lshrrev_b32_e32 v1, 3, v2
	s_mov_b32 s20, exec_lo
	v_cmpx_gt_u32_e32 8, v2
; %bb.70:                               ;   in Loop: Header=BB292_10 Depth=1
	v_ffbh_u32_e32 v0, v0
	v_min_u32_e32 v2, 32, v0
	v_subrev_nc_u32_e32 v0, 28, v2
	v_lshlrev_b64 v[0:1], v0, v[4:5]
	v_sub_nc_u32_e32 v1, 29, v2
	v_and_b32_e32 v0, 7, v0
; %bb.71:                               ;   in Loop: Header=BB292_10 Depth=1
	s_or_b32 exec_lo, exec_lo, s20
	v_lshlrev_b32_e32 v2, 8, v4
	v_lshl_add_u32 v1, v1, 10, 0x2000
	v_lshlrev_b32_e32 v0, 23, v0
	v_and_or_b32 v1, 0x8000, v2, v1
	v_lshl_or_b32 v66, v1, 16, v0
.LBB292_72:                             ;   in Loop: Header=BB292_10 Depth=1
	s_or_b32 exec_lo, exec_lo, s19
.LBB292_73:                             ;   in Loop: Header=BB292_10 Depth=1
	s_or_b32 exec_lo, exec_lo, s18
.LBB292_74:                             ;   in Loop: Header=BB292_10 Depth=1
	s_or_b32 exec_lo, exec_lo, s17
	flat_load_dwordx2 v[24:25], v[16:17] offset:8
	s_waitcnt vmcnt(0) lgkmcnt(0)
	v_cmp_ne_u16_sdwa s5, v24, v5 src0_sel:BYTE_0 src1_sel:DWORD
	s_and_saveexec_b32 s17, s5
	s_cbranch_execz .LBB292_82
; %bb.75:                               ;   in Loop: Header=BB292_10 Depth=1
	v_cmp_ne_u16_sdwa s5, v24, v48 src0_sel:BYTE_0 src1_sel:DWORD
	v_mov_b32_e32 v67, 0x8000
	s_and_saveexec_b32 s18, s5
	s_cbranch_execz .LBB292_81
; %bb.76:                               ;   in Loop: Header=BB292_10 Depth=1
	v_and_b32_e32 v2, 0x7f, v24
	v_mov_b32_e32 v67, 0x7c01
	s_mov_b32 s19, exec_lo
	v_cmpx_ne_u32_e32 0x7f, v2
	s_cbranch_execz .LBB292_80
; %bb.77:                               ;   in Loop: Header=BB292_10 Depth=1
	v_and_b32_e32 v0, 7, v24
	v_lshrrev_b32_e32 v1, 3, v2
	s_mov_b32 s20, exec_lo
	v_cmpx_gt_u32_e32 8, v2
; %bb.78:                               ;   in Loop: Header=BB292_10 Depth=1
	v_ffbh_u32_e32 v0, v0
	v_min_u32_e32 v2, 32, v0
	v_subrev_nc_u32_e32 v0, 28, v2
	v_lshlrev_b64 v[0:1], v0, v[24:25]
	v_sub_nc_u32_e32 v1, 29, v2
	v_and_b32_e32 v0, 7, v0
; %bb.79:                               ;   in Loop: Header=BB292_10 Depth=1
	s_or_b32 exec_lo, exec_lo, s20
	v_lshlrev_b32_e32 v2, 8, v24
	v_lshl_add_u32 v1, v1, 10, 0x2000
	v_lshlrev_b32_e32 v0, 7, v0
	v_and_b32_e32 v2, 0x8000, v2
	v_and_b32_e32 v1, 0xfc00, v1
	v_or3_b32 v67, v2, v1, v0
.LBB292_80:                             ;   in Loop: Header=BB292_10 Depth=1
	s_or_b32 exec_lo, exec_lo, s19
.LBB292_81:                             ;   in Loop: Header=BB292_10 Depth=1
	s_or_b32 exec_lo, exec_lo, s18
.LBB292_82:                             ;   in Loop: Header=BB292_10 Depth=1
	s_or_b32 exec_lo, exec_lo, s17
	v_lshrrev_b16 v4, 8, v24
	v_mov_b32_e32 v69, 0
	v_mov_b32_e32 v68, 0
	s_mov_b32 s17, exec_lo
	v_cmpx_ne_u16_e32 0, v4
	s_cbranch_execz .LBB292_90
; %bb.83:                               ;   in Loop: Header=BB292_10 Depth=1
	v_bfrev_b32_e32 v68, 1
	s_mov_b32 s18, exec_lo
	v_cmpx_ne_u16_e32 0x80, v4
	s_cbranch_execz .LBB292_89
; %bb.84:                               ;   in Loop: Header=BB292_10 Depth=1
	v_and_b32_sdwa v2, v4, v38 dst_sel:DWORD dst_unused:UNUSED_PAD src0_sel:WORD_0 src1_sel:DWORD
	v_mov_b32_e32 v68, 0x7c010000
	s_mov_b32 s19, exec_lo
	v_cmpx_ne_u32_e32 0x7f, v2
	s_cbranch_execz .LBB292_88
; %bb.85:                               ;   in Loop: Header=BB292_10 Depth=1
	v_and_b32_sdwa v0, v4, v20 dst_sel:DWORD dst_unused:UNUSED_PAD src0_sel:WORD_0 src1_sel:DWORD
	v_lshrrev_b32_e32 v1, 3, v2
	s_mov_b32 s20, exec_lo
	v_cmpx_gt_u32_e32 8, v2
; %bb.86:                               ;   in Loop: Header=BB292_10 Depth=1
	v_ffbh_u32_e32 v0, v0
	v_min_u32_e32 v2, 32, v0
	v_subrev_nc_u32_e32 v0, 28, v2
	v_lshlrev_b64 v[0:1], v0, v[4:5]
	v_sub_nc_u32_e32 v1, 29, v2
	v_and_b32_e32 v0, 7, v0
; %bb.87:                               ;   in Loop: Header=BB292_10 Depth=1
	s_or_b32 exec_lo, exec_lo, s20
	v_lshlrev_b32_sdwa v2, v21, v4 dst_sel:DWORD dst_unused:UNUSED_PAD src0_sel:DWORD src1_sel:WORD_0
	v_lshl_add_u32 v1, v1, 10, 0x2000
	v_lshlrev_b32_e32 v0, 23, v0
	v_and_or_b32 v1, 0x8000, v2, v1
	v_lshl_or_b32 v68, v1, 16, v0
.LBB292_88:                             ;   in Loop: Header=BB292_10 Depth=1
	s_or_b32 exec_lo, exec_lo, s19
.LBB292_89:                             ;   in Loop: Header=BB292_10 Depth=1
	s_or_b32 exec_lo, exec_lo, s18
.LBB292_90:                             ;   in Loop: Header=BB292_10 Depth=1
	s_or_b32 exec_lo, exec_lo, s17
	v_lshrrev_b32_e32 v4, 16, v24
	v_cmp_ne_u16_sdwa s5, v4, v5 src0_sel:BYTE_0 src1_sel:DWORD
	s_and_saveexec_b32 s17, s5
	s_cbranch_execz .LBB292_98
; %bb.91:                               ;   in Loop: Header=BB292_10 Depth=1
	v_cmp_ne_u16_sdwa s5, v4, v48 src0_sel:BYTE_0 src1_sel:DWORD
	v_mov_b32_e32 v69, 0x8000
	s_and_saveexec_b32 s18, s5
	s_cbranch_execz .LBB292_97
; %bb.92:                               ;   in Loop: Header=BB292_10 Depth=1
	v_bfe_u32 v2, v24, 16, 7
	v_mov_b32_e32 v69, 0x7c01
	s_mov_b32 s19, exec_lo
	v_cmpx_ne_u32_e32 0x7f, v2
	s_cbranch_execz .LBB292_96
; %bb.93:                               ;   in Loop: Header=BB292_10 Depth=1
	v_and_b32_e32 v0, 7, v4
	v_lshrrev_b32_e32 v1, 3, v2
	s_mov_b32 s20, exec_lo
	v_cmpx_gt_u32_e32 8, v2
; %bb.94:                               ;   in Loop: Header=BB292_10 Depth=1
	v_ffbh_u32_e32 v0, v0
	v_min_u32_e32 v2, 32, v0
	v_subrev_nc_u32_e32 v0, 28, v2
	v_lshlrev_b64 v[0:1], v0, v[4:5]
	v_sub_nc_u32_e32 v1, 29, v2
	v_and_b32_e32 v0, 7, v0
; %bb.95:                               ;   in Loop: Header=BB292_10 Depth=1
	s_or_b32 exec_lo, exec_lo, s20
	v_lshlrev_b32_e32 v2, 8, v4
	v_lshl_add_u32 v1, v1, 10, 0x2000
	v_lshlrev_b32_e32 v0, 7, v0
	v_and_b32_e32 v2, 0x8000, v2
	v_and_b32_e32 v1, 0xfc00, v1
	v_or3_b32 v69, v2, v1, v0
.LBB292_96:                             ;   in Loop: Header=BB292_10 Depth=1
	s_or_b32 exec_lo, exec_lo, s19
.LBB292_97:                             ;   in Loop: Header=BB292_10 Depth=1
	s_or_b32 exec_lo, exec_lo, s18
.LBB292_98:                             ;   in Loop: Header=BB292_10 Depth=1
	s_or_b32 exec_lo, exec_lo, s17
	v_mov_b32_e32 v70, 0
	v_mov_b32_e32 v71, 0
	s_mov_b32 s17, exec_lo
	v_cmpx_lt_u32_e32 0xffffff, v24
	s_cbranch_execz .LBB292_106
; %bb.99:                               ;   in Loop: Header=BB292_10 Depth=1
	v_lshrrev_b32_e32 v4, 24, v24
	v_bfrev_b32_e32 v71, 1
	s_mov_b32 s18, exec_lo
	v_cmpx_ne_u32_e32 0x80, v4
	s_cbranch_execz .LBB292_105
; %bb.100:                              ;   in Loop: Header=BB292_10 Depth=1
	v_and_b32_e32 v2, 0x7f, v4
	v_mov_b32_e32 v71, 0x7c010000
	s_mov_b32 s19, exec_lo
	v_cmpx_ne_u32_e32 0x7f, v2
	s_cbranch_execz .LBB292_104
; %bb.101:                              ;   in Loop: Header=BB292_10 Depth=1
	v_and_b32_e32 v0, 7, v4
	v_lshrrev_b32_e32 v1, 3, v2
	s_mov_b32 s20, exec_lo
	v_cmpx_gt_u32_e32 8, v2
; %bb.102:                              ;   in Loop: Header=BB292_10 Depth=1
	v_ffbh_u32_e32 v0, v0
	v_min_u32_e32 v2, 32, v0
	v_subrev_nc_u32_e32 v0, 28, v2
	v_lshlrev_b64 v[0:1], v0, v[4:5]
	v_sub_nc_u32_e32 v1, 29, v2
	v_and_b32_e32 v0, 7, v0
; %bb.103:                              ;   in Loop: Header=BB292_10 Depth=1
	s_or_b32 exec_lo, exec_lo, s20
	v_lshlrev_b32_e32 v2, 8, v4
	v_lshl_add_u32 v1, v1, 10, 0x2000
	v_lshlrev_b32_e32 v0, 23, v0
	v_and_or_b32 v1, 0x8000, v2, v1
	v_lshl_or_b32 v71, v1, 16, v0
.LBB292_104:                            ;   in Loop: Header=BB292_10 Depth=1
	s_or_b32 exec_lo, exec_lo, s19
.LBB292_105:                            ;   in Loop: Header=BB292_10 Depth=1
	s_or_b32 exec_lo, exec_lo, s18
.LBB292_106:                            ;   in Loop: Header=BB292_10 Depth=1
	s_or_b32 exec_lo, exec_lo, s17
	v_mov_b32_e32 v4, v25
	v_cmp_ne_u16_sdwa s5, v25, v5 src0_sel:BYTE_0 src1_sel:DWORD
	s_and_saveexec_b32 s17, s5
	s_cbranch_execz .LBB292_114
; %bb.107:                              ;   in Loop: Header=BB292_10 Depth=1
	v_cmp_ne_u16_sdwa s5, v25, v48 src0_sel:BYTE_0 src1_sel:DWORD
	v_mov_b32_e32 v70, 0x8000
	s_and_saveexec_b32 s18, s5
	s_cbranch_execz .LBB292_113
; %bb.108:                              ;   in Loop: Header=BB292_10 Depth=1
	v_and_b32_e32 v2, 0x7f, v25
	v_mov_b32_e32 v70, 0x7c01
	s_mov_b32 s19, exec_lo
	v_cmpx_ne_u32_e32 0x7f, v2
	s_cbranch_execz .LBB292_112
; %bb.109:                              ;   in Loop: Header=BB292_10 Depth=1
	v_and_b32_e32 v0, 7, v25
	v_lshrrev_b32_e32 v1, 3, v2
	s_mov_b32 s20, exec_lo
	v_cmpx_gt_u32_e32 8, v2
; %bb.110:                              ;   in Loop: Header=BB292_10 Depth=1
	v_ffbh_u32_e32 v0, v0
	v_min_u32_e32 v2, 32, v0
	v_subrev_nc_u32_e32 v0, 28, v2
	v_lshlrev_b64 v[0:1], v0, v[4:5]
	v_sub_nc_u32_e32 v1, 29, v2
	v_and_b32_e32 v0, 7, v0
; %bb.111:                              ;   in Loop: Header=BB292_10 Depth=1
	s_or_b32 exec_lo, exec_lo, s20
	v_lshlrev_b32_e32 v2, 8, v25
	v_lshl_add_u32 v1, v1, 10, 0x2000
	v_lshlrev_b32_e32 v0, 7, v0
	v_and_b32_e32 v2, 0x8000, v2
	v_and_b32_e32 v1, 0xfc00, v1
	v_or3_b32 v70, v2, v1, v0
.LBB292_112:                            ;   in Loop: Header=BB292_10 Depth=1
	s_or_b32 exec_lo, exec_lo, s19
.LBB292_113:                            ;   in Loop: Header=BB292_10 Depth=1
	s_or_b32 exec_lo, exec_lo, s18
.LBB292_114:                            ;   in Loop: Header=BB292_10 Depth=1
	s_or_b32 exec_lo, exec_lo, s17
	v_lshrrev_b16 v4, 8, v4
	v_mov_b32_e32 v80, 0
	v_mov_b32_e32 v81, 0
	s_mov_b32 s17, exec_lo
	v_cmpx_ne_u16_e32 0, v4
	s_cbranch_execz .LBB292_122
; %bb.115:                              ;   in Loop: Header=BB292_10 Depth=1
	v_bfrev_b32_e32 v81, 1
	s_mov_b32 s18, exec_lo
	v_cmpx_ne_u16_e32 0x80, v4
	s_cbranch_execz .LBB292_121
; %bb.116:                              ;   in Loop: Header=BB292_10 Depth=1
	v_and_b32_sdwa v2, v4, v38 dst_sel:DWORD dst_unused:UNUSED_PAD src0_sel:WORD_0 src1_sel:DWORD
	v_mov_b32_e32 v81, 0x7c010000
	s_mov_b32 s19, exec_lo
	v_cmpx_ne_u32_e32 0x7f, v2
	s_cbranch_execz .LBB292_120
; %bb.117:                              ;   in Loop: Header=BB292_10 Depth=1
	v_and_b32_sdwa v0, v4, v20 dst_sel:DWORD dst_unused:UNUSED_PAD src0_sel:WORD_0 src1_sel:DWORD
	v_lshrrev_b32_e32 v1, 3, v2
	s_mov_b32 s20, exec_lo
	v_cmpx_gt_u32_e32 8, v2
; %bb.118:                              ;   in Loop: Header=BB292_10 Depth=1
	v_ffbh_u32_e32 v0, v0
	v_min_u32_e32 v2, 32, v0
	v_subrev_nc_u32_e32 v0, 28, v2
	v_lshlrev_b64 v[0:1], v0, v[4:5]
	v_sub_nc_u32_e32 v1, 29, v2
	v_and_b32_e32 v0, 7, v0
; %bb.119:                              ;   in Loop: Header=BB292_10 Depth=1
	s_or_b32 exec_lo, exec_lo, s20
	v_lshlrev_b32_sdwa v2, v21, v4 dst_sel:DWORD dst_unused:UNUSED_PAD src0_sel:DWORD src1_sel:WORD_0
	v_lshl_add_u32 v1, v1, 10, 0x2000
	v_lshlrev_b32_e32 v0, 23, v0
	v_and_or_b32 v1, 0x8000, v2, v1
	v_lshl_or_b32 v81, v1, 16, v0
.LBB292_120:                            ;   in Loop: Header=BB292_10 Depth=1
	s_or_b32 exec_lo, exec_lo, s19
.LBB292_121:                            ;   in Loop: Header=BB292_10 Depth=1
	s_or_b32 exec_lo, exec_lo, s18
.LBB292_122:                            ;   in Loop: Header=BB292_10 Depth=1
	s_or_b32 exec_lo, exec_lo, s17
	v_lshrrev_b32_e32 v4, 16, v25
	v_cmp_ne_u16_sdwa s5, v4, v5 src0_sel:BYTE_0 src1_sel:DWORD
	s_and_saveexec_b32 s17, s5
	s_cbranch_execz .LBB292_130
; %bb.123:                              ;   in Loop: Header=BB292_10 Depth=1
	v_cmp_ne_u16_sdwa s5, v4, v48 src0_sel:BYTE_0 src1_sel:DWORD
	v_mov_b32_e32 v80, 0x8000
	s_and_saveexec_b32 s18, s5
	s_cbranch_execz .LBB292_129
; %bb.124:                              ;   in Loop: Header=BB292_10 Depth=1
	v_bfe_u32 v2, v25, 16, 7
	v_mov_b32_e32 v80, 0x7c01
	s_mov_b32 s19, exec_lo
	v_cmpx_ne_u32_e32 0x7f, v2
	s_cbranch_execz .LBB292_128
; %bb.125:                              ;   in Loop: Header=BB292_10 Depth=1
	v_and_b32_e32 v0, 7, v4
	v_lshrrev_b32_e32 v1, 3, v2
	s_mov_b32 s20, exec_lo
	v_cmpx_gt_u32_e32 8, v2
; %bb.126:                              ;   in Loop: Header=BB292_10 Depth=1
	v_ffbh_u32_e32 v0, v0
	v_min_u32_e32 v2, 32, v0
	v_subrev_nc_u32_e32 v0, 28, v2
	v_lshlrev_b64 v[0:1], v0, v[4:5]
	v_sub_nc_u32_e32 v1, 29, v2
	v_and_b32_e32 v0, 7, v0
; %bb.127:                              ;   in Loop: Header=BB292_10 Depth=1
	s_or_b32 exec_lo, exec_lo, s20
	v_lshlrev_b32_e32 v2, 8, v4
	v_lshl_add_u32 v1, v1, 10, 0x2000
	v_lshlrev_b32_e32 v0, 7, v0
	v_and_b32_e32 v2, 0x8000, v2
	v_and_b32_e32 v1, 0xfc00, v1
	v_or3_b32 v80, v2, v1, v0
.LBB292_128:                            ;   in Loop: Header=BB292_10 Depth=1
	s_or_b32 exec_lo, exec_lo, s19
.LBB292_129:                            ;   in Loop: Header=BB292_10 Depth=1
	s_or_b32 exec_lo, exec_lo, s18
.LBB292_130:                            ;   in Loop: Header=BB292_10 Depth=1
	s_or_b32 exec_lo, exec_lo, s17
	v_mov_b32_e32 v83, 0
	v_mov_b32_e32 v82, 0
	s_mov_b32 s17, exec_lo
	v_cmpx_lt_u64_e64 s[6:7], v[24:25]
	s_cbranch_execz .LBB292_138
; %bb.131:                              ;   in Loop: Header=BB292_10 Depth=1
	v_lshrrev_b32_e32 v4, 24, v25
	v_bfrev_b32_e32 v82, 1
	s_mov_b32 s18, exec_lo
	v_cmpx_ne_u32_e32 0x80, v4
	s_cbranch_execz .LBB292_137
; %bb.132:                              ;   in Loop: Header=BB292_10 Depth=1
	v_and_b32_e32 v2, 0x7f, v4
	v_mov_b32_e32 v82, 0x7c010000
	s_mov_b32 s19, exec_lo
	v_cmpx_ne_u32_e32 0x7f, v2
	s_cbranch_execz .LBB292_136
; %bb.133:                              ;   in Loop: Header=BB292_10 Depth=1
	v_and_b32_e32 v0, 7, v4
	v_lshrrev_b32_e32 v1, 3, v2
	s_mov_b32 s20, exec_lo
	v_cmpx_gt_u32_e32 8, v2
; %bb.134:                              ;   in Loop: Header=BB292_10 Depth=1
	v_ffbh_u32_e32 v0, v0
	v_min_u32_e32 v2, 32, v0
	v_subrev_nc_u32_e32 v0, 28, v2
	v_lshlrev_b64 v[0:1], v0, v[4:5]
	v_sub_nc_u32_e32 v1, 29, v2
	v_and_b32_e32 v0, 7, v0
; %bb.135:                              ;   in Loop: Header=BB292_10 Depth=1
	s_or_b32 exec_lo, exec_lo, s20
	v_lshlrev_b32_e32 v2, 8, v4
	v_lshl_add_u32 v1, v1, 10, 0x2000
	v_lshlrev_b32_e32 v0, 23, v0
	v_and_or_b32 v1, 0x8000, v2, v1
	v_lshl_or_b32 v82, v1, 16, v0
.LBB292_136:                            ;   in Loop: Header=BB292_10 Depth=1
	s_or_b32 exec_lo, exec_lo, s19
.LBB292_137:                            ;   in Loop: Header=BB292_10 Depth=1
	s_or_b32 exec_lo, exec_lo, s18
.LBB292_138:                            ;   in Loop: Header=BB292_10 Depth=1
	s_or_b32 exec_lo, exec_lo, s17
	flat_load_dwordx2 v[24:25], v[16:17] offset:512
	s_waitcnt vmcnt(0) lgkmcnt(0)
	v_cmp_ne_u16_sdwa s5, v24, v5 src0_sel:BYTE_0 src1_sel:DWORD
	s_and_saveexec_b32 s17, s5
	s_cbranch_execz .LBB292_146
; %bb.139:                              ;   in Loop: Header=BB292_10 Depth=1
	v_cmp_ne_u16_sdwa s5, v24, v48 src0_sel:BYTE_0 src1_sel:DWORD
	v_mov_b32_e32 v83, 0x8000
	s_and_saveexec_b32 s18, s5
	s_cbranch_execz .LBB292_145
; %bb.140:                              ;   in Loop: Header=BB292_10 Depth=1
	v_and_b32_e32 v2, 0x7f, v24
	v_mov_b32_e32 v83, 0x7c01
	s_mov_b32 s19, exec_lo
	v_cmpx_ne_u32_e32 0x7f, v2
	s_cbranch_execz .LBB292_144
; %bb.141:                              ;   in Loop: Header=BB292_10 Depth=1
	v_and_b32_e32 v0, 7, v24
	v_lshrrev_b32_e32 v1, 3, v2
	s_mov_b32 s20, exec_lo
	v_cmpx_gt_u32_e32 8, v2
; %bb.142:                              ;   in Loop: Header=BB292_10 Depth=1
	v_ffbh_u32_e32 v0, v0
	v_min_u32_e32 v2, 32, v0
	v_subrev_nc_u32_e32 v0, 28, v2
	v_lshlrev_b64 v[0:1], v0, v[24:25]
	v_sub_nc_u32_e32 v1, 29, v2
	v_and_b32_e32 v0, 7, v0
; %bb.143:                              ;   in Loop: Header=BB292_10 Depth=1
	s_or_b32 exec_lo, exec_lo, s20
	v_lshlrev_b32_e32 v2, 8, v24
	v_lshl_add_u32 v1, v1, 10, 0x2000
	v_lshlrev_b32_e32 v0, 7, v0
	v_and_b32_e32 v2, 0x8000, v2
	v_and_b32_e32 v1, 0xfc00, v1
	v_or3_b32 v83, v2, v1, v0
.LBB292_144:                            ;   in Loop: Header=BB292_10 Depth=1
	s_or_b32 exec_lo, exec_lo, s19
.LBB292_145:                            ;   in Loop: Header=BB292_10 Depth=1
	s_or_b32 exec_lo, exec_lo, s18
.LBB292_146:                            ;   in Loop: Header=BB292_10 Depth=1
	s_or_b32 exec_lo, exec_lo, s17
	v_lshrrev_b16 v4, 8, v24
	v_mov_b32_e32 v85, 0
	v_mov_b32_e32 v84, 0
	s_mov_b32 s17, exec_lo
	v_cmpx_ne_u16_e32 0, v4
	s_cbranch_execz .LBB292_154
; %bb.147:                              ;   in Loop: Header=BB292_10 Depth=1
	v_bfrev_b32_e32 v84, 1
	s_mov_b32 s18, exec_lo
	v_cmpx_ne_u16_e32 0x80, v4
	s_cbranch_execz .LBB292_153
; %bb.148:                              ;   in Loop: Header=BB292_10 Depth=1
	v_and_b32_sdwa v2, v4, v38 dst_sel:DWORD dst_unused:UNUSED_PAD src0_sel:WORD_0 src1_sel:DWORD
	v_mov_b32_e32 v84, 0x7c010000
	s_mov_b32 s19, exec_lo
	v_cmpx_ne_u32_e32 0x7f, v2
	s_cbranch_execz .LBB292_152
; %bb.149:                              ;   in Loop: Header=BB292_10 Depth=1
	v_and_b32_sdwa v0, v4, v20 dst_sel:DWORD dst_unused:UNUSED_PAD src0_sel:WORD_0 src1_sel:DWORD
	v_lshrrev_b32_e32 v1, 3, v2
	s_mov_b32 s20, exec_lo
	v_cmpx_gt_u32_e32 8, v2
; %bb.150:                              ;   in Loop: Header=BB292_10 Depth=1
	v_ffbh_u32_e32 v0, v0
	v_min_u32_e32 v2, 32, v0
	v_subrev_nc_u32_e32 v0, 28, v2
	v_lshlrev_b64 v[0:1], v0, v[4:5]
	v_sub_nc_u32_e32 v1, 29, v2
	v_and_b32_e32 v0, 7, v0
; %bb.151:                              ;   in Loop: Header=BB292_10 Depth=1
	s_or_b32 exec_lo, exec_lo, s20
	v_lshlrev_b32_sdwa v2, v21, v4 dst_sel:DWORD dst_unused:UNUSED_PAD src0_sel:DWORD src1_sel:WORD_0
	v_lshl_add_u32 v1, v1, 10, 0x2000
	v_lshlrev_b32_e32 v0, 23, v0
	v_and_or_b32 v1, 0x8000, v2, v1
	v_lshl_or_b32 v84, v1, 16, v0
.LBB292_152:                            ;   in Loop: Header=BB292_10 Depth=1
	s_or_b32 exec_lo, exec_lo, s19
.LBB292_153:                            ;   in Loop: Header=BB292_10 Depth=1
	s_or_b32 exec_lo, exec_lo, s18
.LBB292_154:                            ;   in Loop: Header=BB292_10 Depth=1
	s_or_b32 exec_lo, exec_lo, s17
	v_lshrrev_b32_e32 v4, 16, v24
	v_cmp_ne_u16_sdwa s5, v4, v5 src0_sel:BYTE_0 src1_sel:DWORD
	s_and_saveexec_b32 s17, s5
	s_cbranch_execz .LBB292_162
; %bb.155:                              ;   in Loop: Header=BB292_10 Depth=1
	v_cmp_ne_u16_sdwa s5, v4, v48 src0_sel:BYTE_0 src1_sel:DWORD
	v_mov_b32_e32 v85, 0x8000
	s_and_saveexec_b32 s18, s5
	s_cbranch_execz .LBB292_161
; %bb.156:                              ;   in Loop: Header=BB292_10 Depth=1
	v_bfe_u32 v2, v24, 16, 7
	v_mov_b32_e32 v85, 0x7c01
	s_mov_b32 s19, exec_lo
	v_cmpx_ne_u32_e32 0x7f, v2
	s_cbranch_execz .LBB292_160
; %bb.157:                              ;   in Loop: Header=BB292_10 Depth=1
	v_and_b32_e32 v0, 7, v4
	v_lshrrev_b32_e32 v1, 3, v2
	s_mov_b32 s20, exec_lo
	v_cmpx_gt_u32_e32 8, v2
; %bb.158:                              ;   in Loop: Header=BB292_10 Depth=1
	v_ffbh_u32_e32 v0, v0
	v_min_u32_e32 v2, 32, v0
	v_subrev_nc_u32_e32 v0, 28, v2
	v_lshlrev_b64 v[0:1], v0, v[4:5]
	v_sub_nc_u32_e32 v1, 29, v2
	v_and_b32_e32 v0, 7, v0
; %bb.159:                              ;   in Loop: Header=BB292_10 Depth=1
	s_or_b32 exec_lo, exec_lo, s20
	v_lshlrev_b32_e32 v2, 8, v4
	v_lshl_add_u32 v1, v1, 10, 0x2000
	v_lshlrev_b32_e32 v0, 7, v0
	v_and_b32_e32 v2, 0x8000, v2
	v_and_b32_e32 v1, 0xfc00, v1
	v_or3_b32 v85, v2, v1, v0
.LBB292_160:                            ;   in Loop: Header=BB292_10 Depth=1
	s_or_b32 exec_lo, exec_lo, s19
.LBB292_161:                            ;   in Loop: Header=BB292_10 Depth=1
	s_or_b32 exec_lo, exec_lo, s18
.LBB292_162:                            ;   in Loop: Header=BB292_10 Depth=1
	s_or_b32 exec_lo, exec_lo, s17
	v_mov_b32_e32 v86, 0
	v_mov_b32_e32 v87, 0
	s_mov_b32 s17, exec_lo
	v_cmpx_lt_u32_e32 0xffffff, v24
	s_cbranch_execz .LBB292_170
; %bb.163:                              ;   in Loop: Header=BB292_10 Depth=1
	v_lshrrev_b32_e32 v4, 24, v24
	v_bfrev_b32_e32 v87, 1
	s_mov_b32 s18, exec_lo
	v_cmpx_ne_u32_e32 0x80, v4
	s_cbranch_execz .LBB292_169
; %bb.164:                              ;   in Loop: Header=BB292_10 Depth=1
	v_and_b32_e32 v2, 0x7f, v4
	v_mov_b32_e32 v87, 0x7c010000
	s_mov_b32 s19, exec_lo
	v_cmpx_ne_u32_e32 0x7f, v2
	s_cbranch_execz .LBB292_168
; %bb.165:                              ;   in Loop: Header=BB292_10 Depth=1
	v_and_b32_e32 v0, 7, v4
	v_lshrrev_b32_e32 v1, 3, v2
	s_mov_b32 s20, exec_lo
	v_cmpx_gt_u32_e32 8, v2
; %bb.166:                              ;   in Loop: Header=BB292_10 Depth=1
	v_ffbh_u32_e32 v0, v0
	v_min_u32_e32 v2, 32, v0
	v_subrev_nc_u32_e32 v0, 28, v2
	v_lshlrev_b64 v[0:1], v0, v[4:5]
	v_sub_nc_u32_e32 v1, 29, v2
	v_and_b32_e32 v0, 7, v0
; %bb.167:                              ;   in Loop: Header=BB292_10 Depth=1
	s_or_b32 exec_lo, exec_lo, s20
	v_lshlrev_b32_e32 v2, 8, v4
	v_lshl_add_u32 v1, v1, 10, 0x2000
	v_lshlrev_b32_e32 v0, 23, v0
	v_and_or_b32 v1, 0x8000, v2, v1
	v_lshl_or_b32 v87, v1, 16, v0
.LBB292_168:                            ;   in Loop: Header=BB292_10 Depth=1
	s_or_b32 exec_lo, exec_lo, s19
.LBB292_169:                            ;   in Loop: Header=BB292_10 Depth=1
	s_or_b32 exec_lo, exec_lo, s18
.LBB292_170:                            ;   in Loop: Header=BB292_10 Depth=1
	s_or_b32 exec_lo, exec_lo, s17
	v_mov_b32_e32 v4, v25
	v_cmp_ne_u16_sdwa s5, v25, v5 src0_sel:BYTE_0 src1_sel:DWORD
	s_and_saveexec_b32 s17, s5
	s_cbranch_execz .LBB292_178
; %bb.171:                              ;   in Loop: Header=BB292_10 Depth=1
	v_cmp_ne_u16_sdwa s5, v25, v48 src0_sel:BYTE_0 src1_sel:DWORD
	v_mov_b32_e32 v86, 0x8000
	s_and_saveexec_b32 s18, s5
	s_cbranch_execz .LBB292_177
; %bb.172:                              ;   in Loop: Header=BB292_10 Depth=1
	v_and_b32_e32 v2, 0x7f, v25
	v_mov_b32_e32 v86, 0x7c01
	s_mov_b32 s19, exec_lo
	v_cmpx_ne_u32_e32 0x7f, v2
	s_cbranch_execz .LBB292_176
; %bb.173:                              ;   in Loop: Header=BB292_10 Depth=1
	v_and_b32_e32 v0, 7, v25
	v_lshrrev_b32_e32 v1, 3, v2
	s_mov_b32 s20, exec_lo
	v_cmpx_gt_u32_e32 8, v2
; %bb.174:                              ;   in Loop: Header=BB292_10 Depth=1
	v_ffbh_u32_e32 v0, v0
	v_min_u32_e32 v2, 32, v0
	v_subrev_nc_u32_e32 v0, 28, v2
	v_lshlrev_b64 v[0:1], v0, v[4:5]
	v_sub_nc_u32_e32 v1, 29, v2
	v_and_b32_e32 v0, 7, v0
; %bb.175:                              ;   in Loop: Header=BB292_10 Depth=1
	s_or_b32 exec_lo, exec_lo, s20
	v_lshlrev_b32_e32 v2, 8, v25
	v_lshl_add_u32 v1, v1, 10, 0x2000
	v_lshlrev_b32_e32 v0, 7, v0
	v_and_b32_e32 v2, 0x8000, v2
	v_and_b32_e32 v1, 0xfc00, v1
	v_or3_b32 v86, v2, v1, v0
.LBB292_176:                            ;   in Loop: Header=BB292_10 Depth=1
	s_or_b32 exec_lo, exec_lo, s19
.LBB292_177:                            ;   in Loop: Header=BB292_10 Depth=1
	s_or_b32 exec_lo, exec_lo, s18
.LBB292_178:                            ;   in Loop: Header=BB292_10 Depth=1
	s_or_b32 exec_lo, exec_lo, s17
	v_lshrrev_b16 v4, 8, v4
	v_mov_b32_e32 v96, 0
	v_mov_b32_e32 v97, 0
	s_mov_b32 s17, exec_lo
	v_cmpx_ne_u16_e32 0, v4
	s_cbranch_execz .LBB292_186
; %bb.179:                              ;   in Loop: Header=BB292_10 Depth=1
	v_bfrev_b32_e32 v97, 1
	s_mov_b32 s18, exec_lo
	v_cmpx_ne_u16_e32 0x80, v4
	s_cbranch_execz .LBB292_185
; %bb.180:                              ;   in Loop: Header=BB292_10 Depth=1
	v_and_b32_sdwa v2, v4, v38 dst_sel:DWORD dst_unused:UNUSED_PAD src0_sel:WORD_0 src1_sel:DWORD
	v_mov_b32_e32 v97, 0x7c010000
	s_mov_b32 s19, exec_lo
	v_cmpx_ne_u32_e32 0x7f, v2
	s_cbranch_execz .LBB292_184
; %bb.181:                              ;   in Loop: Header=BB292_10 Depth=1
	v_and_b32_sdwa v0, v4, v20 dst_sel:DWORD dst_unused:UNUSED_PAD src0_sel:WORD_0 src1_sel:DWORD
	v_lshrrev_b32_e32 v1, 3, v2
	s_mov_b32 s20, exec_lo
	v_cmpx_gt_u32_e32 8, v2
; %bb.182:                              ;   in Loop: Header=BB292_10 Depth=1
	v_ffbh_u32_e32 v0, v0
	v_min_u32_e32 v2, 32, v0
	v_subrev_nc_u32_e32 v0, 28, v2
	v_lshlrev_b64 v[0:1], v0, v[4:5]
	v_sub_nc_u32_e32 v1, 29, v2
	v_and_b32_e32 v0, 7, v0
; %bb.183:                              ;   in Loop: Header=BB292_10 Depth=1
	s_or_b32 exec_lo, exec_lo, s20
	v_lshlrev_b32_sdwa v2, v21, v4 dst_sel:DWORD dst_unused:UNUSED_PAD src0_sel:DWORD src1_sel:WORD_0
	v_lshl_add_u32 v1, v1, 10, 0x2000
	v_lshlrev_b32_e32 v0, 23, v0
	v_and_or_b32 v1, 0x8000, v2, v1
	v_lshl_or_b32 v97, v1, 16, v0
.LBB292_184:                            ;   in Loop: Header=BB292_10 Depth=1
	s_or_b32 exec_lo, exec_lo, s19
.LBB292_185:                            ;   in Loop: Header=BB292_10 Depth=1
	s_or_b32 exec_lo, exec_lo, s18
.LBB292_186:                            ;   in Loop: Header=BB292_10 Depth=1
	s_or_b32 exec_lo, exec_lo, s17
	v_lshrrev_b32_e32 v4, 16, v25
	v_cmp_ne_u16_sdwa s5, v4, v5 src0_sel:BYTE_0 src1_sel:DWORD
	s_and_saveexec_b32 s17, s5
	s_cbranch_execz .LBB292_194
; %bb.187:                              ;   in Loop: Header=BB292_10 Depth=1
	v_cmp_ne_u16_sdwa s5, v4, v48 src0_sel:BYTE_0 src1_sel:DWORD
	v_mov_b32_e32 v96, 0x8000
	s_and_saveexec_b32 s18, s5
	s_cbranch_execz .LBB292_193
; %bb.188:                              ;   in Loop: Header=BB292_10 Depth=1
	v_bfe_u32 v2, v25, 16, 7
	v_mov_b32_e32 v96, 0x7c01
	s_mov_b32 s19, exec_lo
	v_cmpx_ne_u32_e32 0x7f, v2
	s_cbranch_execz .LBB292_192
; %bb.189:                              ;   in Loop: Header=BB292_10 Depth=1
	v_and_b32_e32 v0, 7, v4
	v_lshrrev_b32_e32 v1, 3, v2
	s_mov_b32 s20, exec_lo
	v_cmpx_gt_u32_e32 8, v2
; %bb.190:                              ;   in Loop: Header=BB292_10 Depth=1
	v_ffbh_u32_e32 v0, v0
	v_min_u32_e32 v2, 32, v0
	v_subrev_nc_u32_e32 v0, 28, v2
	v_lshlrev_b64 v[0:1], v0, v[4:5]
	v_sub_nc_u32_e32 v1, 29, v2
	v_and_b32_e32 v0, 7, v0
; %bb.191:                              ;   in Loop: Header=BB292_10 Depth=1
	s_or_b32 exec_lo, exec_lo, s20
	v_lshlrev_b32_e32 v2, 8, v4
	v_lshl_add_u32 v1, v1, 10, 0x2000
	v_lshlrev_b32_e32 v0, 7, v0
	v_and_b32_e32 v2, 0x8000, v2
	v_and_b32_e32 v1, 0xfc00, v1
	v_or3_b32 v96, v2, v1, v0
.LBB292_192:                            ;   in Loop: Header=BB292_10 Depth=1
	s_or_b32 exec_lo, exec_lo, s19
.LBB292_193:                            ;   in Loop: Header=BB292_10 Depth=1
	s_or_b32 exec_lo, exec_lo, s18
.LBB292_194:                            ;   in Loop: Header=BB292_10 Depth=1
	s_or_b32 exec_lo, exec_lo, s17
	v_mov_b32_e32 v99, 0
	v_mov_b32_e32 v98, 0
	s_mov_b32 s17, exec_lo
	v_cmpx_lt_u64_e64 s[6:7], v[24:25]
	s_cbranch_execz .LBB292_202
; %bb.195:                              ;   in Loop: Header=BB292_10 Depth=1
	v_lshrrev_b32_e32 v4, 24, v25
	v_bfrev_b32_e32 v98, 1
	s_mov_b32 s18, exec_lo
	v_cmpx_ne_u32_e32 0x80, v4
	s_cbranch_execz .LBB292_201
; %bb.196:                              ;   in Loop: Header=BB292_10 Depth=1
	v_and_b32_e32 v2, 0x7f, v4
	v_mov_b32_e32 v98, 0x7c010000
	s_mov_b32 s19, exec_lo
	v_cmpx_ne_u32_e32 0x7f, v2
	s_cbranch_execz .LBB292_200
; %bb.197:                              ;   in Loop: Header=BB292_10 Depth=1
	v_and_b32_e32 v0, 7, v4
	v_lshrrev_b32_e32 v1, 3, v2
	s_mov_b32 s20, exec_lo
	v_cmpx_gt_u32_e32 8, v2
; %bb.198:                              ;   in Loop: Header=BB292_10 Depth=1
	v_ffbh_u32_e32 v0, v0
	v_min_u32_e32 v2, 32, v0
	v_subrev_nc_u32_e32 v0, 28, v2
	v_lshlrev_b64 v[0:1], v0, v[4:5]
	v_sub_nc_u32_e32 v1, 29, v2
	v_and_b32_e32 v0, 7, v0
; %bb.199:                              ;   in Loop: Header=BB292_10 Depth=1
	s_or_b32 exec_lo, exec_lo, s20
	v_lshlrev_b32_e32 v2, 8, v4
	v_lshl_add_u32 v1, v1, 10, 0x2000
	v_lshlrev_b32_e32 v0, 23, v0
	v_and_or_b32 v1, 0x8000, v2, v1
	v_lshl_or_b32 v98, v1, 16, v0
.LBB292_200:                            ;   in Loop: Header=BB292_10 Depth=1
	s_or_b32 exec_lo, exec_lo, s19
.LBB292_201:                            ;   in Loop: Header=BB292_10 Depth=1
	s_or_b32 exec_lo, exec_lo, s18
.LBB292_202:                            ;   in Loop: Header=BB292_10 Depth=1
	s_or_b32 exec_lo, exec_lo, s17
	flat_load_dwordx2 v[24:25], v[16:17] offset:520
	s_waitcnt vmcnt(0) lgkmcnt(0)
	v_cmp_ne_u16_sdwa s5, v24, v5 src0_sel:BYTE_0 src1_sel:DWORD
	s_and_saveexec_b32 s17, s5
	s_cbranch_execz .LBB292_210
; %bb.203:                              ;   in Loop: Header=BB292_10 Depth=1
	v_cmp_ne_u16_sdwa s5, v24, v48 src0_sel:BYTE_0 src1_sel:DWORD
	v_mov_b32_e32 v99, 0x8000
	s_and_saveexec_b32 s18, s5
	s_cbranch_execz .LBB292_209
; %bb.204:                              ;   in Loop: Header=BB292_10 Depth=1
	v_and_b32_e32 v2, 0x7f, v24
	v_mov_b32_e32 v99, 0x7c01
	s_mov_b32 s19, exec_lo
	v_cmpx_ne_u32_e32 0x7f, v2
	s_cbranch_execz .LBB292_208
; %bb.205:                              ;   in Loop: Header=BB292_10 Depth=1
	v_and_b32_e32 v0, 7, v24
	v_lshrrev_b32_e32 v1, 3, v2
	s_mov_b32 s20, exec_lo
	v_cmpx_gt_u32_e32 8, v2
; %bb.206:                              ;   in Loop: Header=BB292_10 Depth=1
	v_ffbh_u32_e32 v0, v0
	v_min_u32_e32 v2, 32, v0
	v_subrev_nc_u32_e32 v0, 28, v2
	v_lshlrev_b64 v[0:1], v0, v[24:25]
	v_sub_nc_u32_e32 v1, 29, v2
	v_and_b32_e32 v0, 7, v0
; %bb.207:                              ;   in Loop: Header=BB292_10 Depth=1
	s_or_b32 exec_lo, exec_lo, s20
	v_lshlrev_b32_e32 v2, 8, v24
	v_lshl_add_u32 v1, v1, 10, 0x2000
	v_lshlrev_b32_e32 v0, 7, v0
	v_and_b32_e32 v2, 0x8000, v2
	v_and_b32_e32 v1, 0xfc00, v1
	v_or3_b32 v99, v2, v1, v0
.LBB292_208:                            ;   in Loop: Header=BB292_10 Depth=1
	s_or_b32 exec_lo, exec_lo, s19
.LBB292_209:                            ;   in Loop: Header=BB292_10 Depth=1
	s_or_b32 exec_lo, exec_lo, s18
.LBB292_210:                            ;   in Loop: Header=BB292_10 Depth=1
	s_or_b32 exec_lo, exec_lo, s17
	v_lshrrev_b16 v4, 8, v24
	v_mov_b32_e32 v101, 0
	v_mov_b32_e32 v100, 0
	s_mov_b32 s17, exec_lo
	v_cmpx_ne_u16_e32 0, v4
	s_cbranch_execz .LBB292_218
; %bb.211:                              ;   in Loop: Header=BB292_10 Depth=1
	v_bfrev_b32_e32 v100, 1
	s_mov_b32 s18, exec_lo
	v_cmpx_ne_u16_e32 0x80, v4
	s_cbranch_execz .LBB292_217
; %bb.212:                              ;   in Loop: Header=BB292_10 Depth=1
	v_and_b32_sdwa v2, v4, v38 dst_sel:DWORD dst_unused:UNUSED_PAD src0_sel:WORD_0 src1_sel:DWORD
	v_mov_b32_e32 v100, 0x7c010000
	s_mov_b32 s19, exec_lo
	v_cmpx_ne_u32_e32 0x7f, v2
	s_cbranch_execz .LBB292_216
; %bb.213:                              ;   in Loop: Header=BB292_10 Depth=1
	v_and_b32_sdwa v0, v4, v20 dst_sel:DWORD dst_unused:UNUSED_PAD src0_sel:WORD_0 src1_sel:DWORD
	v_lshrrev_b32_e32 v1, 3, v2
	s_mov_b32 s20, exec_lo
	v_cmpx_gt_u32_e32 8, v2
; %bb.214:                              ;   in Loop: Header=BB292_10 Depth=1
	v_ffbh_u32_e32 v0, v0
	v_min_u32_e32 v2, 32, v0
	v_subrev_nc_u32_e32 v0, 28, v2
	v_lshlrev_b64 v[0:1], v0, v[4:5]
	v_sub_nc_u32_e32 v1, 29, v2
	v_and_b32_e32 v0, 7, v0
; %bb.215:                              ;   in Loop: Header=BB292_10 Depth=1
	s_or_b32 exec_lo, exec_lo, s20
	v_lshlrev_b32_sdwa v2, v21, v4 dst_sel:DWORD dst_unused:UNUSED_PAD src0_sel:DWORD src1_sel:WORD_0
	v_lshl_add_u32 v1, v1, 10, 0x2000
	v_lshlrev_b32_e32 v0, 23, v0
	v_and_or_b32 v1, 0x8000, v2, v1
	v_lshl_or_b32 v100, v1, 16, v0
.LBB292_216:                            ;   in Loop: Header=BB292_10 Depth=1
	s_or_b32 exec_lo, exec_lo, s19
.LBB292_217:                            ;   in Loop: Header=BB292_10 Depth=1
	s_or_b32 exec_lo, exec_lo, s18
.LBB292_218:                            ;   in Loop: Header=BB292_10 Depth=1
	s_or_b32 exec_lo, exec_lo, s17
	v_lshrrev_b32_e32 v4, 16, v24
	v_cmp_ne_u16_sdwa s5, v4, v5 src0_sel:BYTE_0 src1_sel:DWORD
	s_and_saveexec_b32 s17, s5
	s_cbranch_execz .LBB292_226
; %bb.219:                              ;   in Loop: Header=BB292_10 Depth=1
	v_cmp_ne_u16_sdwa s5, v4, v48 src0_sel:BYTE_0 src1_sel:DWORD
	v_mov_b32_e32 v101, 0x8000
	s_and_saveexec_b32 s18, s5
	s_cbranch_execz .LBB292_225
; %bb.220:                              ;   in Loop: Header=BB292_10 Depth=1
	v_bfe_u32 v2, v24, 16, 7
	v_mov_b32_e32 v101, 0x7c01
	s_mov_b32 s19, exec_lo
	v_cmpx_ne_u32_e32 0x7f, v2
	s_cbranch_execz .LBB292_224
; %bb.221:                              ;   in Loop: Header=BB292_10 Depth=1
	v_and_b32_e32 v0, 7, v4
	v_lshrrev_b32_e32 v1, 3, v2
	s_mov_b32 s20, exec_lo
	v_cmpx_gt_u32_e32 8, v2
; %bb.222:                              ;   in Loop: Header=BB292_10 Depth=1
	v_ffbh_u32_e32 v0, v0
	v_min_u32_e32 v2, 32, v0
	v_subrev_nc_u32_e32 v0, 28, v2
	v_lshlrev_b64 v[0:1], v0, v[4:5]
	v_sub_nc_u32_e32 v1, 29, v2
	v_and_b32_e32 v0, 7, v0
; %bb.223:                              ;   in Loop: Header=BB292_10 Depth=1
	s_or_b32 exec_lo, exec_lo, s20
	v_lshlrev_b32_e32 v2, 8, v4
	v_lshl_add_u32 v1, v1, 10, 0x2000
	v_lshlrev_b32_e32 v0, 7, v0
	v_and_b32_e32 v2, 0x8000, v2
	v_and_b32_e32 v1, 0xfc00, v1
	v_or3_b32 v101, v2, v1, v0
.LBB292_224:                            ;   in Loop: Header=BB292_10 Depth=1
	s_or_b32 exec_lo, exec_lo, s19
.LBB292_225:                            ;   in Loop: Header=BB292_10 Depth=1
	s_or_b32 exec_lo, exec_lo, s18
.LBB292_226:                            ;   in Loop: Header=BB292_10 Depth=1
	s_or_b32 exec_lo, exec_lo, s17
	v_mov_b32_e32 v102, 0
	v_mov_b32_e32 v103, 0
	s_mov_b32 s17, exec_lo
	v_cmpx_lt_u32_e32 0xffffff, v24
	s_cbranch_execz .LBB292_234
; %bb.227:                              ;   in Loop: Header=BB292_10 Depth=1
	v_lshrrev_b32_e32 v4, 24, v24
	v_bfrev_b32_e32 v103, 1
	s_mov_b32 s18, exec_lo
	v_cmpx_ne_u32_e32 0x80, v4
	s_cbranch_execz .LBB292_233
; %bb.228:                              ;   in Loop: Header=BB292_10 Depth=1
	v_and_b32_e32 v2, 0x7f, v4
	v_mov_b32_e32 v103, 0x7c010000
	s_mov_b32 s19, exec_lo
	v_cmpx_ne_u32_e32 0x7f, v2
	s_cbranch_execz .LBB292_232
; %bb.229:                              ;   in Loop: Header=BB292_10 Depth=1
	v_and_b32_e32 v0, 7, v4
	v_lshrrev_b32_e32 v1, 3, v2
	s_mov_b32 s20, exec_lo
	v_cmpx_gt_u32_e32 8, v2
; %bb.230:                              ;   in Loop: Header=BB292_10 Depth=1
	v_ffbh_u32_e32 v0, v0
	v_min_u32_e32 v2, 32, v0
	v_subrev_nc_u32_e32 v0, 28, v2
	v_lshlrev_b64 v[0:1], v0, v[4:5]
	v_sub_nc_u32_e32 v1, 29, v2
	v_and_b32_e32 v0, 7, v0
; %bb.231:                              ;   in Loop: Header=BB292_10 Depth=1
	s_or_b32 exec_lo, exec_lo, s20
	v_lshlrev_b32_e32 v2, 8, v4
	v_lshl_add_u32 v1, v1, 10, 0x2000
	v_lshlrev_b32_e32 v0, 23, v0
	v_and_or_b32 v1, 0x8000, v2, v1
	v_lshl_or_b32 v103, v1, 16, v0
.LBB292_232:                            ;   in Loop: Header=BB292_10 Depth=1
	s_or_b32 exec_lo, exec_lo, s19
.LBB292_233:                            ;   in Loop: Header=BB292_10 Depth=1
	s_or_b32 exec_lo, exec_lo, s18
.LBB292_234:                            ;   in Loop: Header=BB292_10 Depth=1
	s_or_b32 exec_lo, exec_lo, s17
	v_mov_b32_e32 v4, v25
	v_cmp_ne_u16_sdwa s5, v25, v5 src0_sel:BYTE_0 src1_sel:DWORD
	s_and_saveexec_b32 s17, s5
	s_cbranch_execz .LBB292_242
; %bb.235:                              ;   in Loop: Header=BB292_10 Depth=1
	v_cmp_ne_u16_sdwa s5, v25, v48 src0_sel:BYTE_0 src1_sel:DWORD
	v_mov_b32_e32 v102, 0x8000
	s_and_saveexec_b32 s18, s5
	s_cbranch_execz .LBB292_241
; %bb.236:                              ;   in Loop: Header=BB292_10 Depth=1
	v_and_b32_e32 v2, 0x7f, v25
	v_mov_b32_e32 v102, 0x7c01
	s_mov_b32 s19, exec_lo
	v_cmpx_ne_u32_e32 0x7f, v2
	s_cbranch_execz .LBB292_240
; %bb.237:                              ;   in Loop: Header=BB292_10 Depth=1
	v_and_b32_e32 v0, 7, v25
	v_lshrrev_b32_e32 v1, 3, v2
	s_mov_b32 s20, exec_lo
	v_cmpx_gt_u32_e32 8, v2
; %bb.238:                              ;   in Loop: Header=BB292_10 Depth=1
	v_ffbh_u32_e32 v0, v0
	v_min_u32_e32 v2, 32, v0
	v_subrev_nc_u32_e32 v0, 28, v2
	v_lshlrev_b64 v[0:1], v0, v[4:5]
	v_sub_nc_u32_e32 v1, 29, v2
	v_and_b32_e32 v0, 7, v0
; %bb.239:                              ;   in Loop: Header=BB292_10 Depth=1
	s_or_b32 exec_lo, exec_lo, s20
	v_lshlrev_b32_e32 v2, 8, v25
	v_lshl_add_u32 v1, v1, 10, 0x2000
	v_lshlrev_b32_e32 v0, 7, v0
	v_and_b32_e32 v2, 0x8000, v2
	v_and_b32_e32 v1, 0xfc00, v1
	v_or3_b32 v102, v2, v1, v0
.LBB292_240:                            ;   in Loop: Header=BB292_10 Depth=1
	s_or_b32 exec_lo, exec_lo, s19
.LBB292_241:                            ;   in Loop: Header=BB292_10 Depth=1
	s_or_b32 exec_lo, exec_lo, s18
.LBB292_242:                            ;   in Loop: Header=BB292_10 Depth=1
	s_or_b32 exec_lo, exec_lo, s17
	v_lshrrev_b16 v4, 8, v4
	v_mov_b32_e32 v112, 0
	v_mov_b32_e32 v113, 0
	s_mov_b32 s17, exec_lo
	v_cmpx_ne_u16_e32 0, v4
	s_cbranch_execz .LBB292_250
; %bb.243:                              ;   in Loop: Header=BB292_10 Depth=1
	v_bfrev_b32_e32 v113, 1
	s_mov_b32 s18, exec_lo
	v_cmpx_ne_u16_e32 0x80, v4
	s_cbranch_execz .LBB292_249
; %bb.244:                              ;   in Loop: Header=BB292_10 Depth=1
	v_and_b32_sdwa v2, v4, v38 dst_sel:DWORD dst_unused:UNUSED_PAD src0_sel:WORD_0 src1_sel:DWORD
	v_mov_b32_e32 v113, 0x7c010000
	s_mov_b32 s19, exec_lo
	v_cmpx_ne_u32_e32 0x7f, v2
	s_cbranch_execz .LBB292_248
; %bb.245:                              ;   in Loop: Header=BB292_10 Depth=1
	v_and_b32_sdwa v0, v4, v20 dst_sel:DWORD dst_unused:UNUSED_PAD src0_sel:WORD_0 src1_sel:DWORD
	v_lshrrev_b32_e32 v1, 3, v2
	s_mov_b32 s20, exec_lo
	v_cmpx_gt_u32_e32 8, v2
; %bb.246:                              ;   in Loop: Header=BB292_10 Depth=1
	v_ffbh_u32_e32 v0, v0
	v_min_u32_e32 v2, 32, v0
	v_subrev_nc_u32_e32 v0, 28, v2
	v_lshlrev_b64 v[0:1], v0, v[4:5]
	v_sub_nc_u32_e32 v1, 29, v2
	v_and_b32_e32 v0, 7, v0
; %bb.247:                              ;   in Loop: Header=BB292_10 Depth=1
	s_or_b32 exec_lo, exec_lo, s20
	v_lshlrev_b32_sdwa v2, v21, v4 dst_sel:DWORD dst_unused:UNUSED_PAD src0_sel:DWORD src1_sel:WORD_0
	v_lshl_add_u32 v1, v1, 10, 0x2000
	v_lshlrev_b32_e32 v0, 23, v0
	v_and_or_b32 v1, 0x8000, v2, v1
	v_lshl_or_b32 v113, v1, 16, v0
.LBB292_248:                            ;   in Loop: Header=BB292_10 Depth=1
	s_or_b32 exec_lo, exec_lo, s19
.LBB292_249:                            ;   in Loop: Header=BB292_10 Depth=1
	s_or_b32 exec_lo, exec_lo, s18
.LBB292_250:                            ;   in Loop: Header=BB292_10 Depth=1
	s_or_b32 exec_lo, exec_lo, s17
	v_lshrrev_b32_e32 v4, 16, v25
	v_cmp_ne_u16_sdwa s5, v4, v5 src0_sel:BYTE_0 src1_sel:DWORD
	s_and_saveexec_b32 s17, s5
	s_cbranch_execz .LBB292_258
; %bb.251:                              ;   in Loop: Header=BB292_10 Depth=1
	v_cmp_ne_u16_sdwa s5, v4, v48 src0_sel:BYTE_0 src1_sel:DWORD
	v_mov_b32_e32 v112, 0x8000
	s_and_saveexec_b32 s18, s5
	s_cbranch_execz .LBB292_257
; %bb.252:                              ;   in Loop: Header=BB292_10 Depth=1
	v_bfe_u32 v2, v25, 16, 7
	v_mov_b32_e32 v112, 0x7c01
	s_mov_b32 s19, exec_lo
	v_cmpx_ne_u32_e32 0x7f, v2
	s_cbranch_execz .LBB292_256
; %bb.253:                              ;   in Loop: Header=BB292_10 Depth=1
	v_and_b32_e32 v0, 7, v4
	v_lshrrev_b32_e32 v1, 3, v2
	s_mov_b32 s20, exec_lo
	v_cmpx_gt_u32_e32 8, v2
; %bb.254:                              ;   in Loop: Header=BB292_10 Depth=1
	v_ffbh_u32_e32 v0, v0
	v_min_u32_e32 v2, 32, v0
	v_subrev_nc_u32_e32 v0, 28, v2
	v_lshlrev_b64 v[0:1], v0, v[4:5]
	v_sub_nc_u32_e32 v1, 29, v2
	v_and_b32_e32 v0, 7, v0
; %bb.255:                              ;   in Loop: Header=BB292_10 Depth=1
	s_or_b32 exec_lo, exec_lo, s20
	v_lshlrev_b32_e32 v2, 8, v4
	v_lshl_add_u32 v1, v1, 10, 0x2000
	v_lshlrev_b32_e32 v0, 7, v0
	v_and_b32_e32 v2, 0x8000, v2
	v_and_b32_e32 v1, 0xfc00, v1
	v_or3_b32 v112, v2, v1, v0
.LBB292_256:                            ;   in Loop: Header=BB292_10 Depth=1
	s_or_b32 exec_lo, exec_lo, s19
.LBB292_257:                            ;   in Loop: Header=BB292_10 Depth=1
	s_or_b32 exec_lo, exec_lo, s18
.LBB292_258:                            ;   in Loop: Header=BB292_10 Depth=1
	s_or_b32 exec_lo, exec_lo, s17
	v_mov_b32_e32 v115, 0
	v_mov_b32_e32 v114, 0
	s_mov_b32 s17, exec_lo
	v_cmpx_lt_u64_e64 s[6:7], v[24:25]
	s_cbranch_execz .LBB292_266
; %bb.259:                              ;   in Loop: Header=BB292_10 Depth=1
	v_lshrrev_b32_e32 v4, 24, v25
	v_bfrev_b32_e32 v114, 1
	s_mov_b32 s18, exec_lo
	v_cmpx_ne_u32_e32 0x80, v4
	s_cbranch_execz .LBB292_265
; %bb.260:                              ;   in Loop: Header=BB292_10 Depth=1
	v_and_b32_e32 v2, 0x7f, v4
	v_mov_b32_e32 v114, 0x7c010000
	s_mov_b32 s19, exec_lo
	v_cmpx_ne_u32_e32 0x7f, v2
	s_cbranch_execz .LBB292_264
; %bb.261:                              ;   in Loop: Header=BB292_10 Depth=1
	v_and_b32_e32 v0, 7, v4
	v_lshrrev_b32_e32 v1, 3, v2
	s_mov_b32 s20, exec_lo
	v_cmpx_gt_u32_e32 8, v2
; %bb.262:                              ;   in Loop: Header=BB292_10 Depth=1
	v_ffbh_u32_e32 v0, v0
	v_min_u32_e32 v2, 32, v0
	v_subrev_nc_u32_e32 v0, 28, v2
	v_lshlrev_b64 v[0:1], v0, v[4:5]
	v_sub_nc_u32_e32 v1, 29, v2
	v_and_b32_e32 v0, 7, v0
; %bb.263:                              ;   in Loop: Header=BB292_10 Depth=1
	s_or_b32 exec_lo, exec_lo, s20
	v_lshlrev_b32_e32 v2, 8, v4
	v_lshl_add_u32 v1, v1, 10, 0x2000
	v_lshlrev_b32_e32 v0, 23, v0
	v_and_or_b32 v1, 0x8000, v2, v1
	v_lshl_or_b32 v114, v1, 16, v0
.LBB292_264:                            ;   in Loop: Header=BB292_10 Depth=1
	s_or_b32 exec_lo, exec_lo, s19
.LBB292_265:                            ;   in Loop: Header=BB292_10 Depth=1
	s_or_b32 exec_lo, exec_lo, s18
.LBB292_266:                            ;   in Loop: Header=BB292_10 Depth=1
	s_or_b32 exec_lo, exec_lo, s17
	flat_load_dwordx2 v[24:25], v[16:17] offset:1024
	s_waitcnt vmcnt(0) lgkmcnt(0)
	v_cmp_ne_u16_sdwa s5, v24, v5 src0_sel:BYTE_0 src1_sel:DWORD
	s_and_saveexec_b32 s17, s5
	s_cbranch_execz .LBB292_274
; %bb.267:                              ;   in Loop: Header=BB292_10 Depth=1
	v_cmp_ne_u16_sdwa s5, v24, v48 src0_sel:BYTE_0 src1_sel:DWORD
	v_mov_b32_e32 v115, 0x8000
	s_and_saveexec_b32 s18, s5
	s_cbranch_execz .LBB292_273
; %bb.268:                              ;   in Loop: Header=BB292_10 Depth=1
	v_and_b32_e32 v2, 0x7f, v24
	v_mov_b32_e32 v115, 0x7c01
	s_mov_b32 s19, exec_lo
	v_cmpx_ne_u32_e32 0x7f, v2
	s_cbranch_execz .LBB292_272
; %bb.269:                              ;   in Loop: Header=BB292_10 Depth=1
	v_and_b32_e32 v0, 7, v24
	v_lshrrev_b32_e32 v1, 3, v2
	s_mov_b32 s20, exec_lo
	v_cmpx_gt_u32_e32 8, v2
; %bb.270:                              ;   in Loop: Header=BB292_10 Depth=1
	v_ffbh_u32_e32 v0, v0
	v_min_u32_e32 v2, 32, v0
	v_subrev_nc_u32_e32 v0, 28, v2
	v_lshlrev_b64 v[0:1], v0, v[24:25]
	v_sub_nc_u32_e32 v1, 29, v2
	v_and_b32_e32 v0, 7, v0
; %bb.271:                              ;   in Loop: Header=BB292_10 Depth=1
	s_or_b32 exec_lo, exec_lo, s20
	v_lshlrev_b32_e32 v2, 8, v24
	v_lshl_add_u32 v1, v1, 10, 0x2000
	v_lshlrev_b32_e32 v0, 7, v0
	v_and_b32_e32 v2, 0x8000, v2
	v_and_b32_e32 v1, 0xfc00, v1
	v_or3_b32 v115, v2, v1, v0
.LBB292_272:                            ;   in Loop: Header=BB292_10 Depth=1
	s_or_b32 exec_lo, exec_lo, s19
.LBB292_273:                            ;   in Loop: Header=BB292_10 Depth=1
	s_or_b32 exec_lo, exec_lo, s18
.LBB292_274:                            ;   in Loop: Header=BB292_10 Depth=1
	s_or_b32 exec_lo, exec_lo, s17
	v_lshrrev_b16 v4, 8, v24
	v_mov_b32_e32 v117, 0
	v_mov_b32_e32 v116, 0
	s_mov_b32 s17, exec_lo
	v_cmpx_ne_u16_e32 0, v4
	s_cbranch_execz .LBB292_282
; %bb.275:                              ;   in Loop: Header=BB292_10 Depth=1
	v_bfrev_b32_e32 v116, 1
	s_mov_b32 s18, exec_lo
	v_cmpx_ne_u16_e32 0x80, v4
	s_cbranch_execz .LBB292_281
; %bb.276:                              ;   in Loop: Header=BB292_10 Depth=1
	v_and_b32_sdwa v2, v4, v38 dst_sel:DWORD dst_unused:UNUSED_PAD src0_sel:WORD_0 src1_sel:DWORD
	v_mov_b32_e32 v116, 0x7c010000
	s_mov_b32 s19, exec_lo
	v_cmpx_ne_u32_e32 0x7f, v2
	s_cbranch_execz .LBB292_280
; %bb.277:                              ;   in Loop: Header=BB292_10 Depth=1
	v_and_b32_sdwa v0, v4, v20 dst_sel:DWORD dst_unused:UNUSED_PAD src0_sel:WORD_0 src1_sel:DWORD
	v_lshrrev_b32_e32 v1, 3, v2
	s_mov_b32 s20, exec_lo
	v_cmpx_gt_u32_e32 8, v2
; %bb.278:                              ;   in Loop: Header=BB292_10 Depth=1
	v_ffbh_u32_e32 v0, v0
	v_min_u32_e32 v2, 32, v0
	v_subrev_nc_u32_e32 v0, 28, v2
	v_lshlrev_b64 v[0:1], v0, v[4:5]
	v_sub_nc_u32_e32 v1, 29, v2
	v_and_b32_e32 v0, 7, v0
; %bb.279:                              ;   in Loop: Header=BB292_10 Depth=1
	s_or_b32 exec_lo, exec_lo, s20
	v_lshlrev_b32_sdwa v2, v21, v4 dst_sel:DWORD dst_unused:UNUSED_PAD src0_sel:DWORD src1_sel:WORD_0
	v_lshl_add_u32 v1, v1, 10, 0x2000
	v_lshlrev_b32_e32 v0, 23, v0
	v_and_or_b32 v1, 0x8000, v2, v1
	v_lshl_or_b32 v116, v1, 16, v0
.LBB292_280:                            ;   in Loop: Header=BB292_10 Depth=1
	s_or_b32 exec_lo, exec_lo, s19
.LBB292_281:                            ;   in Loop: Header=BB292_10 Depth=1
	s_or_b32 exec_lo, exec_lo, s18
.LBB292_282:                            ;   in Loop: Header=BB292_10 Depth=1
	s_or_b32 exec_lo, exec_lo, s17
	v_lshrrev_b32_e32 v4, 16, v24
	v_cmp_ne_u16_sdwa s5, v4, v5 src0_sel:BYTE_0 src1_sel:DWORD
	s_and_saveexec_b32 s17, s5
	s_cbranch_execz .LBB292_290
; %bb.283:                              ;   in Loop: Header=BB292_10 Depth=1
	v_cmp_ne_u16_sdwa s5, v4, v48 src0_sel:BYTE_0 src1_sel:DWORD
	v_mov_b32_e32 v117, 0x8000
	s_and_saveexec_b32 s18, s5
	s_cbranch_execz .LBB292_289
; %bb.284:                              ;   in Loop: Header=BB292_10 Depth=1
	v_bfe_u32 v2, v24, 16, 7
	v_mov_b32_e32 v117, 0x7c01
	s_mov_b32 s19, exec_lo
	v_cmpx_ne_u32_e32 0x7f, v2
	s_cbranch_execz .LBB292_288
; %bb.285:                              ;   in Loop: Header=BB292_10 Depth=1
	v_and_b32_e32 v0, 7, v4
	v_lshrrev_b32_e32 v1, 3, v2
	s_mov_b32 s20, exec_lo
	v_cmpx_gt_u32_e32 8, v2
; %bb.286:                              ;   in Loop: Header=BB292_10 Depth=1
	v_ffbh_u32_e32 v0, v0
	v_min_u32_e32 v2, 32, v0
	v_subrev_nc_u32_e32 v0, 28, v2
	v_lshlrev_b64 v[0:1], v0, v[4:5]
	v_sub_nc_u32_e32 v1, 29, v2
	v_and_b32_e32 v0, 7, v0
; %bb.287:                              ;   in Loop: Header=BB292_10 Depth=1
	s_or_b32 exec_lo, exec_lo, s20
	v_lshlrev_b32_e32 v2, 8, v4
	v_lshl_add_u32 v1, v1, 10, 0x2000
	v_lshlrev_b32_e32 v0, 7, v0
	v_and_b32_e32 v2, 0x8000, v2
	v_and_b32_e32 v1, 0xfc00, v1
	v_or3_b32 v117, v2, v1, v0
.LBB292_288:                            ;   in Loop: Header=BB292_10 Depth=1
	s_or_b32 exec_lo, exec_lo, s19
.LBB292_289:                            ;   in Loop: Header=BB292_10 Depth=1
	s_or_b32 exec_lo, exec_lo, s18
.LBB292_290:                            ;   in Loop: Header=BB292_10 Depth=1
	s_or_b32 exec_lo, exec_lo, s17
	v_mov_b32_e32 v118, 0
	v_mov_b32_e32 v119, 0
	s_mov_b32 s17, exec_lo
	v_cmpx_lt_u32_e32 0xffffff, v24
	s_cbranch_execz .LBB292_298
; %bb.291:                              ;   in Loop: Header=BB292_10 Depth=1
	v_lshrrev_b32_e32 v4, 24, v24
	v_bfrev_b32_e32 v119, 1
	s_mov_b32 s18, exec_lo
	v_cmpx_ne_u32_e32 0x80, v4
	s_cbranch_execz .LBB292_297
; %bb.292:                              ;   in Loop: Header=BB292_10 Depth=1
	v_and_b32_e32 v2, 0x7f, v4
	v_mov_b32_e32 v119, 0x7c010000
	s_mov_b32 s19, exec_lo
	v_cmpx_ne_u32_e32 0x7f, v2
	s_cbranch_execz .LBB292_296
; %bb.293:                              ;   in Loop: Header=BB292_10 Depth=1
	v_and_b32_e32 v0, 7, v4
	v_lshrrev_b32_e32 v1, 3, v2
	s_mov_b32 s20, exec_lo
	v_cmpx_gt_u32_e32 8, v2
; %bb.294:                              ;   in Loop: Header=BB292_10 Depth=1
	v_ffbh_u32_e32 v0, v0
	v_min_u32_e32 v2, 32, v0
	v_subrev_nc_u32_e32 v0, 28, v2
	v_lshlrev_b64 v[0:1], v0, v[4:5]
	v_sub_nc_u32_e32 v1, 29, v2
	v_and_b32_e32 v0, 7, v0
; %bb.295:                              ;   in Loop: Header=BB292_10 Depth=1
	s_or_b32 exec_lo, exec_lo, s20
	v_lshlrev_b32_e32 v2, 8, v4
	v_lshl_add_u32 v1, v1, 10, 0x2000
	v_lshlrev_b32_e32 v0, 23, v0
	v_and_or_b32 v1, 0x8000, v2, v1
	v_lshl_or_b32 v119, v1, 16, v0
.LBB292_296:                            ;   in Loop: Header=BB292_10 Depth=1
	s_or_b32 exec_lo, exec_lo, s19
.LBB292_297:                            ;   in Loop: Header=BB292_10 Depth=1
	s_or_b32 exec_lo, exec_lo, s18
.LBB292_298:                            ;   in Loop: Header=BB292_10 Depth=1
	s_or_b32 exec_lo, exec_lo, s17
	v_mov_b32_e32 v4, v25
	v_cmp_ne_u16_sdwa s5, v25, v5 src0_sel:BYTE_0 src1_sel:DWORD
	s_and_saveexec_b32 s17, s5
	s_cbranch_execz .LBB292_306
; %bb.299:                              ;   in Loop: Header=BB292_10 Depth=1
	v_cmp_ne_u16_sdwa s5, v25, v48 src0_sel:BYTE_0 src1_sel:DWORD
	v_mov_b32_e32 v118, 0x8000
	s_and_saveexec_b32 s18, s5
	s_cbranch_execz .LBB292_305
; %bb.300:                              ;   in Loop: Header=BB292_10 Depth=1
	v_and_b32_e32 v2, 0x7f, v25
	v_mov_b32_e32 v118, 0x7c01
	s_mov_b32 s19, exec_lo
	v_cmpx_ne_u32_e32 0x7f, v2
	s_cbranch_execz .LBB292_304
; %bb.301:                              ;   in Loop: Header=BB292_10 Depth=1
	v_and_b32_e32 v0, 7, v25
	v_lshrrev_b32_e32 v1, 3, v2
	s_mov_b32 s20, exec_lo
	v_cmpx_gt_u32_e32 8, v2
; %bb.302:                              ;   in Loop: Header=BB292_10 Depth=1
	v_ffbh_u32_e32 v0, v0
	v_min_u32_e32 v2, 32, v0
	v_subrev_nc_u32_e32 v0, 28, v2
	v_lshlrev_b64 v[0:1], v0, v[4:5]
	v_sub_nc_u32_e32 v1, 29, v2
	v_and_b32_e32 v0, 7, v0
; %bb.303:                              ;   in Loop: Header=BB292_10 Depth=1
	s_or_b32 exec_lo, exec_lo, s20
	v_lshlrev_b32_e32 v2, 8, v25
	v_lshl_add_u32 v1, v1, 10, 0x2000
	v_lshlrev_b32_e32 v0, 7, v0
	v_and_b32_e32 v2, 0x8000, v2
	v_and_b32_e32 v1, 0xfc00, v1
	v_or3_b32 v118, v2, v1, v0
.LBB292_304:                            ;   in Loop: Header=BB292_10 Depth=1
	s_or_b32 exec_lo, exec_lo, s19
.LBB292_305:                            ;   in Loop: Header=BB292_10 Depth=1
	s_or_b32 exec_lo, exec_lo, s18
.LBB292_306:                            ;   in Loop: Header=BB292_10 Depth=1
	s_or_b32 exec_lo, exec_lo, s17
	v_lshrrev_b16 v4, 8, v4
	v_mov_b32_e32 v40, 0
	v_mov_b32_e32 v41, 0
	s_mov_b32 s17, exec_lo
	v_cmpx_ne_u16_e32 0, v4
	s_cbranch_execz .LBB292_314
; %bb.307:                              ;   in Loop: Header=BB292_10 Depth=1
	v_bfrev_b32_e32 v41, 1
	s_mov_b32 s18, exec_lo
	v_cmpx_ne_u16_e32 0x80, v4
	s_cbranch_execz .LBB292_313
; %bb.308:                              ;   in Loop: Header=BB292_10 Depth=1
	v_and_b32_sdwa v2, v4, v38 dst_sel:DWORD dst_unused:UNUSED_PAD src0_sel:WORD_0 src1_sel:DWORD
	v_mov_b32_e32 v41, 0x7c010000
	s_mov_b32 s19, exec_lo
	v_cmpx_ne_u32_e32 0x7f, v2
	s_cbranch_execz .LBB292_312
; %bb.309:                              ;   in Loop: Header=BB292_10 Depth=1
	v_and_b32_sdwa v0, v4, v20 dst_sel:DWORD dst_unused:UNUSED_PAD src0_sel:WORD_0 src1_sel:DWORD
	v_lshrrev_b32_e32 v1, 3, v2
	s_mov_b32 s20, exec_lo
	v_cmpx_gt_u32_e32 8, v2
; %bb.310:                              ;   in Loop: Header=BB292_10 Depth=1
	v_ffbh_u32_e32 v0, v0
	v_min_u32_e32 v2, 32, v0
	v_subrev_nc_u32_e32 v0, 28, v2
	v_lshlrev_b64 v[0:1], v0, v[4:5]
	v_sub_nc_u32_e32 v1, 29, v2
	v_and_b32_e32 v0, 7, v0
; %bb.311:                              ;   in Loop: Header=BB292_10 Depth=1
	s_or_b32 exec_lo, exec_lo, s20
	v_lshlrev_b32_sdwa v2, v21, v4 dst_sel:DWORD dst_unused:UNUSED_PAD src0_sel:DWORD src1_sel:WORD_0
	v_lshl_add_u32 v1, v1, 10, 0x2000
	v_lshlrev_b32_e32 v0, 23, v0
	v_and_or_b32 v1, 0x8000, v2, v1
	v_lshl_or_b32 v41, v1, 16, v0
.LBB292_312:                            ;   in Loop: Header=BB292_10 Depth=1
	s_or_b32 exec_lo, exec_lo, s19
.LBB292_313:                            ;   in Loop: Header=BB292_10 Depth=1
	s_or_b32 exec_lo, exec_lo, s18
.LBB292_314:                            ;   in Loop: Header=BB292_10 Depth=1
	s_or_b32 exec_lo, exec_lo, s17
	v_lshrrev_b32_e32 v4, 16, v25
	v_cmp_ne_u16_sdwa s5, v4, v5 src0_sel:BYTE_0 src1_sel:DWORD
	s_and_saveexec_b32 s17, s5
	s_cbranch_execz .LBB292_322
; %bb.315:                              ;   in Loop: Header=BB292_10 Depth=1
	v_cmp_ne_u16_sdwa s5, v4, v48 src0_sel:BYTE_0 src1_sel:DWORD
	v_mov_b32_e32 v40, 0x8000
	s_and_saveexec_b32 s18, s5
	s_cbranch_execz .LBB292_321
; %bb.316:                              ;   in Loop: Header=BB292_10 Depth=1
	v_bfe_u32 v2, v25, 16, 7
	v_mov_b32_e32 v40, 0x7c01
	s_mov_b32 s19, exec_lo
	v_cmpx_ne_u32_e32 0x7f, v2
	s_cbranch_execz .LBB292_320
; %bb.317:                              ;   in Loop: Header=BB292_10 Depth=1
	v_and_b32_e32 v0, 7, v4
	v_lshrrev_b32_e32 v1, 3, v2
	s_mov_b32 s20, exec_lo
	v_cmpx_gt_u32_e32 8, v2
; %bb.318:                              ;   in Loop: Header=BB292_10 Depth=1
	v_ffbh_u32_e32 v0, v0
	v_min_u32_e32 v2, 32, v0
	v_subrev_nc_u32_e32 v0, 28, v2
	v_lshlrev_b64 v[0:1], v0, v[4:5]
	v_sub_nc_u32_e32 v1, 29, v2
	v_and_b32_e32 v0, 7, v0
; %bb.319:                              ;   in Loop: Header=BB292_10 Depth=1
	s_or_b32 exec_lo, exec_lo, s20
	v_lshlrev_b32_e32 v2, 8, v4
	v_lshl_add_u32 v1, v1, 10, 0x2000
	v_lshlrev_b32_e32 v0, 7, v0
	v_and_b32_e32 v2, 0x8000, v2
	v_and_b32_e32 v1, 0xfc00, v1
	v_or3_b32 v40, v2, v1, v0
.LBB292_320:                            ;   in Loop: Header=BB292_10 Depth=1
	s_or_b32 exec_lo, exec_lo, s19
.LBB292_321:                            ;   in Loop: Header=BB292_10 Depth=1
	s_or_b32 exec_lo, exec_lo, s18
.LBB292_322:                            ;   in Loop: Header=BB292_10 Depth=1
	s_or_b32 exec_lo, exec_lo, s17
	v_mov_b32_e32 v43, 0
	v_mov_b32_e32 v42, 0
	s_mov_b32 s17, exec_lo
	v_cmpx_lt_u64_e64 s[6:7], v[24:25]
	s_cbranch_execz .LBB292_330
; %bb.323:                              ;   in Loop: Header=BB292_10 Depth=1
	v_lshrrev_b32_e32 v4, 24, v25
	v_bfrev_b32_e32 v42, 1
	s_mov_b32 s18, exec_lo
	v_cmpx_ne_u32_e32 0x80, v4
	s_cbranch_execz .LBB292_329
; %bb.324:                              ;   in Loop: Header=BB292_10 Depth=1
	v_and_b32_e32 v2, 0x7f, v4
	v_mov_b32_e32 v42, 0x7c010000
	s_mov_b32 s19, exec_lo
	v_cmpx_ne_u32_e32 0x7f, v2
	s_cbranch_execz .LBB292_328
; %bb.325:                              ;   in Loop: Header=BB292_10 Depth=1
	v_and_b32_e32 v0, 7, v4
	v_lshrrev_b32_e32 v1, 3, v2
	s_mov_b32 s20, exec_lo
	v_cmpx_gt_u32_e32 8, v2
; %bb.326:                              ;   in Loop: Header=BB292_10 Depth=1
	v_ffbh_u32_e32 v0, v0
	v_min_u32_e32 v2, 32, v0
	v_subrev_nc_u32_e32 v0, 28, v2
	v_lshlrev_b64 v[0:1], v0, v[4:5]
	v_sub_nc_u32_e32 v1, 29, v2
	v_and_b32_e32 v0, 7, v0
; %bb.327:                              ;   in Loop: Header=BB292_10 Depth=1
	s_or_b32 exec_lo, exec_lo, s20
	v_lshlrev_b32_e32 v2, 8, v4
	v_lshl_add_u32 v1, v1, 10, 0x2000
	v_lshlrev_b32_e32 v0, 23, v0
	v_and_or_b32 v1, 0x8000, v2, v1
	v_lshl_or_b32 v42, v1, 16, v0
.LBB292_328:                            ;   in Loop: Header=BB292_10 Depth=1
	s_or_b32 exec_lo, exec_lo, s19
.LBB292_329:                            ;   in Loop: Header=BB292_10 Depth=1
	s_or_b32 exec_lo, exec_lo, s18
.LBB292_330:                            ;   in Loop: Header=BB292_10 Depth=1
	s_or_b32 exec_lo, exec_lo, s17
	flat_load_dwordx2 v[24:25], v[16:17] offset:1032
	s_waitcnt vmcnt(0) lgkmcnt(0)
	v_cmp_ne_u16_sdwa s5, v24, v5 src0_sel:BYTE_0 src1_sel:DWORD
	s_and_saveexec_b32 s17, s5
	s_cbranch_execz .LBB292_338
; %bb.331:                              ;   in Loop: Header=BB292_10 Depth=1
	v_cmp_ne_u16_sdwa s5, v24, v48 src0_sel:BYTE_0 src1_sel:DWORD
	v_mov_b32_e32 v43, 0x8000
	s_and_saveexec_b32 s18, s5
	s_cbranch_execz .LBB292_337
; %bb.332:                              ;   in Loop: Header=BB292_10 Depth=1
	v_and_b32_e32 v2, 0x7f, v24
	v_mov_b32_e32 v43, 0x7c01
	s_mov_b32 s19, exec_lo
	v_cmpx_ne_u32_e32 0x7f, v2
	s_cbranch_execz .LBB292_336
; %bb.333:                              ;   in Loop: Header=BB292_10 Depth=1
	v_and_b32_e32 v0, 7, v24
	v_lshrrev_b32_e32 v1, 3, v2
	s_mov_b32 s20, exec_lo
	v_cmpx_gt_u32_e32 8, v2
; %bb.334:                              ;   in Loop: Header=BB292_10 Depth=1
	v_ffbh_u32_e32 v0, v0
	v_min_u32_e32 v2, 32, v0
	v_subrev_nc_u32_e32 v0, 28, v2
	v_lshlrev_b64 v[0:1], v0, v[24:25]
	v_sub_nc_u32_e32 v1, 29, v2
	v_and_b32_e32 v0, 7, v0
; %bb.335:                              ;   in Loop: Header=BB292_10 Depth=1
	s_or_b32 exec_lo, exec_lo, s20
	v_lshlrev_b32_e32 v2, 8, v24
	v_lshl_add_u32 v1, v1, 10, 0x2000
	v_lshlrev_b32_e32 v0, 7, v0
	v_and_b32_e32 v2, 0x8000, v2
	v_and_b32_e32 v1, 0xfc00, v1
	v_or3_b32 v43, v2, v1, v0
.LBB292_336:                            ;   in Loop: Header=BB292_10 Depth=1
	s_or_b32 exec_lo, exec_lo, s19
.LBB292_337:                            ;   in Loop: Header=BB292_10 Depth=1
	s_or_b32 exec_lo, exec_lo, s18
.LBB292_338:                            ;   in Loop: Header=BB292_10 Depth=1
	s_or_b32 exec_lo, exec_lo, s17
	v_lshrrev_b16 v4, 8, v24
	v_mov_b32_e32 v47, 0
	v_mov_b32_e32 v46, 0
	s_mov_b32 s17, exec_lo
	v_cmpx_ne_u16_e32 0, v4
	s_cbranch_execz .LBB292_346
; %bb.339:                              ;   in Loop: Header=BB292_10 Depth=1
	v_bfrev_b32_e32 v46, 1
	s_mov_b32 s18, exec_lo
	v_cmpx_ne_u16_e32 0x80, v4
	s_cbranch_execz .LBB292_345
; %bb.340:                              ;   in Loop: Header=BB292_10 Depth=1
	v_and_b32_sdwa v2, v4, v38 dst_sel:DWORD dst_unused:UNUSED_PAD src0_sel:WORD_0 src1_sel:DWORD
	v_mov_b32_e32 v46, 0x7c010000
	s_mov_b32 s19, exec_lo
	v_cmpx_ne_u32_e32 0x7f, v2
	s_cbranch_execz .LBB292_344
; %bb.341:                              ;   in Loop: Header=BB292_10 Depth=1
	v_and_b32_sdwa v0, v4, v20 dst_sel:DWORD dst_unused:UNUSED_PAD src0_sel:WORD_0 src1_sel:DWORD
	v_lshrrev_b32_e32 v1, 3, v2
	s_mov_b32 s20, exec_lo
	v_cmpx_gt_u32_e32 8, v2
; %bb.342:                              ;   in Loop: Header=BB292_10 Depth=1
	v_ffbh_u32_e32 v0, v0
	v_min_u32_e32 v2, 32, v0
	v_subrev_nc_u32_e32 v0, 28, v2
	v_lshlrev_b64 v[0:1], v0, v[4:5]
	v_sub_nc_u32_e32 v1, 29, v2
	v_and_b32_e32 v0, 7, v0
; %bb.343:                              ;   in Loop: Header=BB292_10 Depth=1
	s_or_b32 exec_lo, exec_lo, s20
	v_lshlrev_b32_sdwa v2, v21, v4 dst_sel:DWORD dst_unused:UNUSED_PAD src0_sel:DWORD src1_sel:WORD_0
	v_lshl_add_u32 v1, v1, 10, 0x2000
	v_lshlrev_b32_e32 v0, 23, v0
	v_and_or_b32 v1, 0x8000, v2, v1
	v_lshl_or_b32 v46, v1, 16, v0
.LBB292_344:                            ;   in Loop: Header=BB292_10 Depth=1
	s_or_b32 exec_lo, exec_lo, s19
.LBB292_345:                            ;   in Loop: Header=BB292_10 Depth=1
	s_or_b32 exec_lo, exec_lo, s18
.LBB292_346:                            ;   in Loop: Header=BB292_10 Depth=1
	s_or_b32 exec_lo, exec_lo, s17
	v_lshrrev_b32_e32 v4, 16, v24
	v_cmp_ne_u16_sdwa s5, v4, v5 src0_sel:BYTE_0 src1_sel:DWORD
	s_and_saveexec_b32 s17, s5
	s_cbranch_execz .LBB292_354
; %bb.347:                              ;   in Loop: Header=BB292_10 Depth=1
	v_cmp_ne_u16_sdwa s5, v4, v48 src0_sel:BYTE_0 src1_sel:DWORD
	v_mov_b32_e32 v47, 0x8000
	s_and_saveexec_b32 s18, s5
	s_cbranch_execz .LBB292_353
; %bb.348:                              ;   in Loop: Header=BB292_10 Depth=1
	v_bfe_u32 v2, v24, 16, 7
	v_mov_b32_e32 v47, 0x7c01
	s_mov_b32 s19, exec_lo
	v_cmpx_ne_u32_e32 0x7f, v2
	s_cbranch_execz .LBB292_352
; %bb.349:                              ;   in Loop: Header=BB292_10 Depth=1
	v_and_b32_e32 v0, 7, v4
	v_lshrrev_b32_e32 v1, 3, v2
	s_mov_b32 s20, exec_lo
	v_cmpx_gt_u32_e32 8, v2
; %bb.350:                              ;   in Loop: Header=BB292_10 Depth=1
	v_ffbh_u32_e32 v0, v0
	v_min_u32_e32 v2, 32, v0
	v_subrev_nc_u32_e32 v0, 28, v2
	v_lshlrev_b64 v[0:1], v0, v[4:5]
	v_sub_nc_u32_e32 v1, 29, v2
	v_and_b32_e32 v0, 7, v0
; %bb.351:                              ;   in Loop: Header=BB292_10 Depth=1
	s_or_b32 exec_lo, exec_lo, s20
	v_lshlrev_b32_e32 v2, 8, v4
	v_lshl_add_u32 v1, v1, 10, 0x2000
	v_lshlrev_b32_e32 v0, 7, v0
	v_and_b32_e32 v2, 0x8000, v2
	v_and_b32_e32 v1, 0xfc00, v1
	v_or3_b32 v47, v2, v1, v0
.LBB292_352:                            ;   in Loop: Header=BB292_10 Depth=1
	s_or_b32 exec_lo, exec_lo, s19
.LBB292_353:                            ;   in Loop: Header=BB292_10 Depth=1
	s_or_b32 exec_lo, exec_lo, s18
.LBB292_354:                            ;   in Loop: Header=BB292_10 Depth=1
	s_or_b32 exec_lo, exec_lo, s17
	v_mov_b32_e32 v56, 0
	v_mov_b32_e32 v57, 0
	s_mov_b32 s17, exec_lo
	v_cmpx_lt_u32_e32 0xffffff, v24
	s_cbranch_execz .LBB292_362
; %bb.355:                              ;   in Loop: Header=BB292_10 Depth=1
	v_lshrrev_b32_e32 v4, 24, v24
	v_bfrev_b32_e32 v57, 1
	s_mov_b32 s18, exec_lo
	v_cmpx_ne_u32_e32 0x80, v4
	s_cbranch_execz .LBB292_361
; %bb.356:                              ;   in Loop: Header=BB292_10 Depth=1
	v_and_b32_e32 v2, 0x7f, v4
	v_mov_b32_e32 v57, 0x7c010000
	s_mov_b32 s19, exec_lo
	v_cmpx_ne_u32_e32 0x7f, v2
	s_cbranch_execz .LBB292_360
; %bb.357:                              ;   in Loop: Header=BB292_10 Depth=1
	v_and_b32_e32 v0, 7, v4
	v_lshrrev_b32_e32 v1, 3, v2
	s_mov_b32 s20, exec_lo
	v_cmpx_gt_u32_e32 8, v2
; %bb.358:                              ;   in Loop: Header=BB292_10 Depth=1
	v_ffbh_u32_e32 v0, v0
	v_min_u32_e32 v2, 32, v0
	v_subrev_nc_u32_e32 v0, 28, v2
	v_lshlrev_b64 v[0:1], v0, v[4:5]
	v_sub_nc_u32_e32 v1, 29, v2
	v_and_b32_e32 v0, 7, v0
; %bb.359:                              ;   in Loop: Header=BB292_10 Depth=1
	s_or_b32 exec_lo, exec_lo, s20
	v_lshlrev_b32_e32 v2, 8, v4
	v_lshl_add_u32 v1, v1, 10, 0x2000
	v_lshlrev_b32_e32 v0, 23, v0
	v_and_or_b32 v1, 0x8000, v2, v1
	v_lshl_or_b32 v57, v1, 16, v0
.LBB292_360:                            ;   in Loop: Header=BB292_10 Depth=1
	s_or_b32 exec_lo, exec_lo, s19
.LBB292_361:                            ;   in Loop: Header=BB292_10 Depth=1
	s_or_b32 exec_lo, exec_lo, s18
.LBB292_362:                            ;   in Loop: Header=BB292_10 Depth=1
	s_or_b32 exec_lo, exec_lo, s17
	v_mov_b32_e32 v4, v25
	v_cmp_ne_u16_sdwa s5, v25, v5 src0_sel:BYTE_0 src1_sel:DWORD
	s_and_saveexec_b32 s17, s5
	s_cbranch_execz .LBB292_370
; %bb.363:                              ;   in Loop: Header=BB292_10 Depth=1
	v_cmp_ne_u16_sdwa s5, v25, v48 src0_sel:BYTE_0 src1_sel:DWORD
	v_mov_b32_e32 v56, 0x8000
	s_and_saveexec_b32 s18, s5
	s_cbranch_execz .LBB292_369
; %bb.364:                              ;   in Loop: Header=BB292_10 Depth=1
	v_and_b32_e32 v2, 0x7f, v25
	v_mov_b32_e32 v56, 0x7c01
	s_mov_b32 s19, exec_lo
	v_cmpx_ne_u32_e32 0x7f, v2
	s_cbranch_execz .LBB292_368
; %bb.365:                              ;   in Loop: Header=BB292_10 Depth=1
	v_and_b32_e32 v0, 7, v25
	v_lshrrev_b32_e32 v1, 3, v2
	s_mov_b32 s20, exec_lo
	v_cmpx_gt_u32_e32 8, v2
; %bb.366:                              ;   in Loop: Header=BB292_10 Depth=1
	v_ffbh_u32_e32 v0, v0
	v_min_u32_e32 v2, 32, v0
	v_subrev_nc_u32_e32 v0, 28, v2
	v_lshlrev_b64 v[0:1], v0, v[4:5]
	v_sub_nc_u32_e32 v1, 29, v2
	v_and_b32_e32 v0, 7, v0
; %bb.367:                              ;   in Loop: Header=BB292_10 Depth=1
	s_or_b32 exec_lo, exec_lo, s20
	v_lshlrev_b32_e32 v2, 8, v25
	v_lshl_add_u32 v1, v1, 10, 0x2000
	v_lshlrev_b32_e32 v0, 7, v0
	v_and_b32_e32 v2, 0x8000, v2
	v_and_b32_e32 v1, 0xfc00, v1
	v_or3_b32 v56, v2, v1, v0
.LBB292_368:                            ;   in Loop: Header=BB292_10 Depth=1
	s_or_b32 exec_lo, exec_lo, s19
.LBB292_369:                            ;   in Loop: Header=BB292_10 Depth=1
	s_or_b32 exec_lo, exec_lo, s18
.LBB292_370:                            ;   in Loop: Header=BB292_10 Depth=1
	s_or_b32 exec_lo, exec_lo, s17
	v_lshrrev_b16 v4, 8, v4
	v_mov_b32_e32 v62, 0
	v_mov_b32_e32 v63, 0
	s_mov_b32 s17, exec_lo
	v_cmpx_ne_u16_e32 0, v4
	s_cbranch_execz .LBB292_378
; %bb.371:                              ;   in Loop: Header=BB292_10 Depth=1
	v_bfrev_b32_e32 v63, 1
	s_mov_b32 s18, exec_lo
	v_cmpx_ne_u16_e32 0x80, v4
	s_cbranch_execz .LBB292_377
; %bb.372:                              ;   in Loop: Header=BB292_10 Depth=1
	v_and_b32_sdwa v2, v4, v38 dst_sel:DWORD dst_unused:UNUSED_PAD src0_sel:WORD_0 src1_sel:DWORD
	v_mov_b32_e32 v63, 0x7c010000
	s_mov_b32 s19, exec_lo
	v_cmpx_ne_u32_e32 0x7f, v2
	s_cbranch_execz .LBB292_376
; %bb.373:                              ;   in Loop: Header=BB292_10 Depth=1
	v_and_b32_sdwa v0, v4, v20 dst_sel:DWORD dst_unused:UNUSED_PAD src0_sel:WORD_0 src1_sel:DWORD
	v_lshrrev_b32_e32 v1, 3, v2
	s_mov_b32 s20, exec_lo
	v_cmpx_gt_u32_e32 8, v2
; %bb.374:                              ;   in Loop: Header=BB292_10 Depth=1
	v_ffbh_u32_e32 v0, v0
	v_min_u32_e32 v2, 32, v0
	v_subrev_nc_u32_e32 v0, 28, v2
	v_lshlrev_b64 v[0:1], v0, v[4:5]
	v_sub_nc_u32_e32 v1, 29, v2
	v_and_b32_e32 v0, 7, v0
; %bb.375:                              ;   in Loop: Header=BB292_10 Depth=1
	s_or_b32 exec_lo, exec_lo, s20
	v_lshlrev_b32_sdwa v2, v21, v4 dst_sel:DWORD dst_unused:UNUSED_PAD src0_sel:DWORD src1_sel:WORD_0
	v_lshl_add_u32 v1, v1, 10, 0x2000
	v_lshlrev_b32_e32 v0, 23, v0
	v_and_or_b32 v1, 0x8000, v2, v1
	v_lshl_or_b32 v63, v1, 16, v0
.LBB292_376:                            ;   in Loop: Header=BB292_10 Depth=1
	s_or_b32 exec_lo, exec_lo, s19
.LBB292_377:                            ;   in Loop: Header=BB292_10 Depth=1
	s_or_b32 exec_lo, exec_lo, s18
.LBB292_378:                            ;   in Loop: Header=BB292_10 Depth=1
	s_or_b32 exec_lo, exec_lo, s17
	v_lshrrev_b32_e32 v4, 16, v25
	v_cmp_ne_u16_sdwa s5, v4, v5 src0_sel:BYTE_0 src1_sel:DWORD
	s_and_saveexec_b32 s17, s5
	s_cbranch_execz .LBB292_386
; %bb.379:                              ;   in Loop: Header=BB292_10 Depth=1
	v_cmp_ne_u16_sdwa s5, v4, v48 src0_sel:BYTE_0 src1_sel:DWORD
	v_mov_b32_e32 v62, 0x8000
	s_and_saveexec_b32 s18, s5
	s_cbranch_execz .LBB292_385
; %bb.380:                              ;   in Loop: Header=BB292_10 Depth=1
	v_bfe_u32 v2, v25, 16, 7
	v_mov_b32_e32 v62, 0x7c01
	s_mov_b32 s19, exec_lo
	v_cmpx_ne_u32_e32 0x7f, v2
	s_cbranch_execz .LBB292_384
; %bb.381:                              ;   in Loop: Header=BB292_10 Depth=1
	v_and_b32_e32 v0, 7, v4
	v_lshrrev_b32_e32 v1, 3, v2
	s_mov_b32 s20, exec_lo
	v_cmpx_gt_u32_e32 8, v2
; %bb.382:                              ;   in Loop: Header=BB292_10 Depth=1
	v_ffbh_u32_e32 v0, v0
	v_min_u32_e32 v2, 32, v0
	v_subrev_nc_u32_e32 v0, 28, v2
	v_lshlrev_b64 v[0:1], v0, v[4:5]
	v_sub_nc_u32_e32 v1, 29, v2
	v_and_b32_e32 v0, 7, v0
; %bb.383:                              ;   in Loop: Header=BB292_10 Depth=1
	s_or_b32 exec_lo, exec_lo, s20
	v_lshlrev_b32_e32 v2, 8, v4
	v_lshl_add_u32 v1, v1, 10, 0x2000
	v_lshlrev_b32_e32 v0, 7, v0
	v_and_b32_e32 v2, 0x8000, v2
	v_and_b32_e32 v1, 0xfc00, v1
	v_or3_b32 v62, v2, v1, v0
.LBB292_384:                            ;   in Loop: Header=BB292_10 Depth=1
	s_or_b32 exec_lo, exec_lo, s19
.LBB292_385:                            ;   in Loop: Header=BB292_10 Depth=1
	s_or_b32 exec_lo, exec_lo, s18
.LBB292_386:                            ;   in Loop: Header=BB292_10 Depth=1
	s_or_b32 exec_lo, exec_lo, s17
	v_mov_b32_e32 v77, 0
	v_mov_b32_e32 v76, 0
	s_mov_b32 s17, exec_lo
	v_cmpx_lt_u64_e64 s[6:7], v[24:25]
	s_cbranch_execz .LBB292_394
; %bb.387:                              ;   in Loop: Header=BB292_10 Depth=1
	v_lshrrev_b32_e32 v4, 24, v25
	v_bfrev_b32_e32 v76, 1
	s_mov_b32 s18, exec_lo
	v_cmpx_ne_u32_e32 0x80, v4
	s_cbranch_execz .LBB292_393
; %bb.388:                              ;   in Loop: Header=BB292_10 Depth=1
	v_and_b32_e32 v2, 0x7f, v4
	v_mov_b32_e32 v76, 0x7c010000
	s_mov_b32 s19, exec_lo
	v_cmpx_ne_u32_e32 0x7f, v2
	s_cbranch_execz .LBB292_392
; %bb.389:                              ;   in Loop: Header=BB292_10 Depth=1
	v_and_b32_e32 v0, 7, v4
	v_lshrrev_b32_e32 v1, 3, v2
	s_mov_b32 s20, exec_lo
	v_cmpx_gt_u32_e32 8, v2
; %bb.390:                              ;   in Loop: Header=BB292_10 Depth=1
	v_ffbh_u32_e32 v0, v0
	v_min_u32_e32 v2, 32, v0
	v_subrev_nc_u32_e32 v0, 28, v2
	v_lshlrev_b64 v[0:1], v0, v[4:5]
	v_sub_nc_u32_e32 v1, 29, v2
	v_and_b32_e32 v0, 7, v0
; %bb.391:                              ;   in Loop: Header=BB292_10 Depth=1
	s_or_b32 exec_lo, exec_lo, s20
	v_lshlrev_b32_e32 v2, 8, v4
	v_lshl_add_u32 v1, v1, 10, 0x2000
	v_lshlrev_b32_e32 v0, 23, v0
	v_and_or_b32 v1, 0x8000, v2, v1
	v_lshl_or_b32 v76, v1, 16, v0
.LBB292_392:                            ;   in Loop: Header=BB292_10 Depth=1
	s_or_b32 exec_lo, exec_lo, s19
.LBB292_393:                            ;   in Loop: Header=BB292_10 Depth=1
	s_or_b32 exec_lo, exec_lo, s18
.LBB292_394:                            ;   in Loop: Header=BB292_10 Depth=1
	s_or_b32 exec_lo, exec_lo, s17
	flat_load_dwordx2 v[24:25], v[16:17] offset:1536
	s_waitcnt vmcnt(0) lgkmcnt(0)
	v_cmp_ne_u16_sdwa s5, v24, v5 src0_sel:BYTE_0 src1_sel:DWORD
	s_and_saveexec_b32 s17, s5
	s_cbranch_execz .LBB292_402
; %bb.395:                              ;   in Loop: Header=BB292_10 Depth=1
	v_cmp_ne_u16_sdwa s5, v24, v48 src0_sel:BYTE_0 src1_sel:DWORD
	v_mov_b32_e32 v77, 0x8000
	s_and_saveexec_b32 s18, s5
	s_cbranch_execz .LBB292_401
; %bb.396:                              ;   in Loop: Header=BB292_10 Depth=1
	v_and_b32_e32 v2, 0x7f, v24
	v_mov_b32_e32 v77, 0x7c01
	s_mov_b32 s19, exec_lo
	v_cmpx_ne_u32_e32 0x7f, v2
	s_cbranch_execz .LBB292_400
; %bb.397:                              ;   in Loop: Header=BB292_10 Depth=1
	v_and_b32_e32 v0, 7, v24
	v_lshrrev_b32_e32 v1, 3, v2
	s_mov_b32 s20, exec_lo
	v_cmpx_gt_u32_e32 8, v2
; %bb.398:                              ;   in Loop: Header=BB292_10 Depth=1
	v_ffbh_u32_e32 v0, v0
	v_min_u32_e32 v2, 32, v0
	v_subrev_nc_u32_e32 v0, 28, v2
	v_lshlrev_b64 v[0:1], v0, v[24:25]
	v_sub_nc_u32_e32 v1, 29, v2
	v_and_b32_e32 v0, 7, v0
; %bb.399:                              ;   in Loop: Header=BB292_10 Depth=1
	s_or_b32 exec_lo, exec_lo, s20
	v_lshlrev_b32_e32 v2, 8, v24
	v_lshl_add_u32 v1, v1, 10, 0x2000
	v_lshlrev_b32_e32 v0, 7, v0
	v_and_b32_e32 v2, 0x8000, v2
	v_and_b32_e32 v1, 0xfc00, v1
	v_or3_b32 v77, v2, v1, v0
.LBB292_400:                            ;   in Loop: Header=BB292_10 Depth=1
	s_or_b32 exec_lo, exec_lo, s19
.LBB292_401:                            ;   in Loop: Header=BB292_10 Depth=1
	s_or_b32 exec_lo, exec_lo, s18
.LBB292_402:                            ;   in Loop: Header=BB292_10 Depth=1
	s_or_b32 exec_lo, exec_lo, s17
	v_lshrrev_b16 v4, 8, v24
	v_mov_b32_e32 v91, 0
	v_mov_b32_e32 v90, 0
	s_mov_b32 s17, exec_lo
	v_cmpx_ne_u16_e32 0, v4
	s_cbranch_execz .LBB292_410
; %bb.403:                              ;   in Loop: Header=BB292_10 Depth=1
	v_bfrev_b32_e32 v90, 1
	s_mov_b32 s18, exec_lo
	v_cmpx_ne_u16_e32 0x80, v4
	s_cbranch_execz .LBB292_409
; %bb.404:                              ;   in Loop: Header=BB292_10 Depth=1
	v_and_b32_sdwa v2, v4, v38 dst_sel:DWORD dst_unused:UNUSED_PAD src0_sel:WORD_0 src1_sel:DWORD
	v_mov_b32_e32 v90, 0x7c010000
	s_mov_b32 s19, exec_lo
	v_cmpx_ne_u32_e32 0x7f, v2
	s_cbranch_execz .LBB292_408
; %bb.405:                              ;   in Loop: Header=BB292_10 Depth=1
	v_and_b32_sdwa v0, v4, v20 dst_sel:DWORD dst_unused:UNUSED_PAD src0_sel:WORD_0 src1_sel:DWORD
	v_lshrrev_b32_e32 v1, 3, v2
	s_mov_b32 s20, exec_lo
	v_cmpx_gt_u32_e32 8, v2
; %bb.406:                              ;   in Loop: Header=BB292_10 Depth=1
	v_ffbh_u32_e32 v0, v0
	v_min_u32_e32 v2, 32, v0
	v_subrev_nc_u32_e32 v0, 28, v2
	v_lshlrev_b64 v[0:1], v0, v[4:5]
	v_sub_nc_u32_e32 v1, 29, v2
	v_and_b32_e32 v0, 7, v0
; %bb.407:                              ;   in Loop: Header=BB292_10 Depth=1
	s_or_b32 exec_lo, exec_lo, s20
	v_lshlrev_b32_sdwa v2, v21, v4 dst_sel:DWORD dst_unused:UNUSED_PAD src0_sel:DWORD src1_sel:WORD_0
	v_lshl_add_u32 v1, v1, 10, 0x2000
	v_lshlrev_b32_e32 v0, 23, v0
	v_and_or_b32 v1, 0x8000, v2, v1
	v_lshl_or_b32 v90, v1, 16, v0
.LBB292_408:                            ;   in Loop: Header=BB292_10 Depth=1
	s_or_b32 exec_lo, exec_lo, s19
.LBB292_409:                            ;   in Loop: Header=BB292_10 Depth=1
	s_or_b32 exec_lo, exec_lo, s18
.LBB292_410:                            ;   in Loop: Header=BB292_10 Depth=1
	s_or_b32 exec_lo, exec_lo, s17
	v_lshrrev_b32_e32 v4, 16, v24
	v_cmp_ne_u16_sdwa s5, v4, v5 src0_sel:BYTE_0 src1_sel:DWORD
	s_and_saveexec_b32 s17, s5
	s_cbranch_execz .LBB292_418
; %bb.411:                              ;   in Loop: Header=BB292_10 Depth=1
	v_cmp_ne_u16_sdwa s5, v4, v48 src0_sel:BYTE_0 src1_sel:DWORD
	v_mov_b32_e32 v91, 0x8000
	s_and_saveexec_b32 s18, s5
	s_cbranch_execz .LBB292_417
; %bb.412:                              ;   in Loop: Header=BB292_10 Depth=1
	v_bfe_u32 v2, v24, 16, 7
	v_mov_b32_e32 v91, 0x7c01
	s_mov_b32 s19, exec_lo
	v_cmpx_ne_u32_e32 0x7f, v2
	s_cbranch_execz .LBB292_416
; %bb.413:                              ;   in Loop: Header=BB292_10 Depth=1
	v_and_b32_e32 v0, 7, v4
	v_lshrrev_b32_e32 v1, 3, v2
	s_mov_b32 s20, exec_lo
	v_cmpx_gt_u32_e32 8, v2
; %bb.414:                              ;   in Loop: Header=BB292_10 Depth=1
	v_ffbh_u32_e32 v0, v0
	v_min_u32_e32 v2, 32, v0
	v_subrev_nc_u32_e32 v0, 28, v2
	v_lshlrev_b64 v[0:1], v0, v[4:5]
	v_sub_nc_u32_e32 v1, 29, v2
	v_and_b32_e32 v0, 7, v0
; %bb.415:                              ;   in Loop: Header=BB292_10 Depth=1
	s_or_b32 exec_lo, exec_lo, s20
	v_lshlrev_b32_e32 v2, 8, v4
	v_lshl_add_u32 v1, v1, 10, 0x2000
	v_lshlrev_b32_e32 v0, 7, v0
	v_and_b32_e32 v2, 0x8000, v2
	v_and_b32_e32 v1, 0xfc00, v1
	v_or3_b32 v91, v2, v1, v0
.LBB292_416:                            ;   in Loop: Header=BB292_10 Depth=1
	s_or_b32 exec_lo, exec_lo, s19
.LBB292_417:                            ;   in Loop: Header=BB292_10 Depth=1
	s_or_b32 exec_lo, exec_lo, s18
.LBB292_418:                            ;   in Loop: Header=BB292_10 Depth=1
	s_or_b32 exec_lo, exec_lo, s17
	v_mov_b32_e32 v104, 0
	v_mov_b32_e32 v105, 0
	s_mov_b32 s17, exec_lo
	v_cmpx_lt_u32_e32 0xffffff, v24
	s_cbranch_execz .LBB292_426
; %bb.419:                              ;   in Loop: Header=BB292_10 Depth=1
	v_lshrrev_b32_e32 v4, 24, v24
	v_bfrev_b32_e32 v105, 1
	s_mov_b32 s18, exec_lo
	v_cmpx_ne_u32_e32 0x80, v4
	s_cbranch_execz .LBB292_425
; %bb.420:                              ;   in Loop: Header=BB292_10 Depth=1
	v_and_b32_e32 v2, 0x7f, v4
	v_mov_b32_e32 v105, 0x7c010000
	s_mov_b32 s19, exec_lo
	v_cmpx_ne_u32_e32 0x7f, v2
	s_cbranch_execz .LBB292_424
; %bb.421:                              ;   in Loop: Header=BB292_10 Depth=1
	v_and_b32_e32 v0, 7, v4
	v_lshrrev_b32_e32 v1, 3, v2
	s_mov_b32 s20, exec_lo
	v_cmpx_gt_u32_e32 8, v2
; %bb.422:                              ;   in Loop: Header=BB292_10 Depth=1
	v_ffbh_u32_e32 v0, v0
	v_min_u32_e32 v2, 32, v0
	v_subrev_nc_u32_e32 v0, 28, v2
	v_lshlrev_b64 v[0:1], v0, v[4:5]
	v_sub_nc_u32_e32 v1, 29, v2
	v_and_b32_e32 v0, 7, v0
; %bb.423:                              ;   in Loop: Header=BB292_10 Depth=1
	s_or_b32 exec_lo, exec_lo, s20
	v_lshlrev_b32_e32 v2, 8, v4
	v_lshl_add_u32 v1, v1, 10, 0x2000
	v_lshlrev_b32_e32 v0, 23, v0
	v_and_or_b32 v1, 0x8000, v2, v1
	v_lshl_or_b32 v105, v1, 16, v0
.LBB292_424:                            ;   in Loop: Header=BB292_10 Depth=1
	s_or_b32 exec_lo, exec_lo, s19
.LBB292_425:                            ;   in Loop: Header=BB292_10 Depth=1
	s_or_b32 exec_lo, exec_lo, s18
.LBB292_426:                            ;   in Loop: Header=BB292_10 Depth=1
	s_or_b32 exec_lo, exec_lo, s17
	v_mov_b32_e32 v4, v25
	v_cmp_ne_u16_sdwa s5, v25, v5 src0_sel:BYTE_0 src1_sel:DWORD
	s_and_saveexec_b32 s17, s5
	s_cbranch_execz .LBB292_434
; %bb.427:                              ;   in Loop: Header=BB292_10 Depth=1
	v_cmp_ne_u16_sdwa s5, v25, v48 src0_sel:BYTE_0 src1_sel:DWORD
	v_mov_b32_e32 v104, 0x8000
	s_and_saveexec_b32 s18, s5
	s_cbranch_execz .LBB292_433
; %bb.428:                              ;   in Loop: Header=BB292_10 Depth=1
	v_and_b32_e32 v2, 0x7f, v25
	v_mov_b32_e32 v104, 0x7c01
	s_mov_b32 s19, exec_lo
	v_cmpx_ne_u32_e32 0x7f, v2
	s_cbranch_execz .LBB292_432
; %bb.429:                              ;   in Loop: Header=BB292_10 Depth=1
	v_and_b32_e32 v0, 7, v25
	v_lshrrev_b32_e32 v1, 3, v2
	s_mov_b32 s20, exec_lo
	v_cmpx_gt_u32_e32 8, v2
; %bb.430:                              ;   in Loop: Header=BB292_10 Depth=1
	v_ffbh_u32_e32 v0, v0
	v_min_u32_e32 v2, 32, v0
	v_subrev_nc_u32_e32 v0, 28, v2
	v_lshlrev_b64 v[0:1], v0, v[4:5]
	v_sub_nc_u32_e32 v1, 29, v2
	v_and_b32_e32 v0, 7, v0
; %bb.431:                              ;   in Loop: Header=BB292_10 Depth=1
	s_or_b32 exec_lo, exec_lo, s20
	v_lshlrev_b32_e32 v2, 8, v25
	v_lshl_add_u32 v1, v1, 10, 0x2000
	v_lshlrev_b32_e32 v0, 7, v0
	v_and_b32_e32 v2, 0x8000, v2
	v_and_b32_e32 v1, 0xfc00, v1
	v_or3_b32 v104, v2, v1, v0
.LBB292_432:                            ;   in Loop: Header=BB292_10 Depth=1
	s_or_b32 exec_lo, exec_lo, s19
.LBB292_433:                            ;   in Loop: Header=BB292_10 Depth=1
	s_or_b32 exec_lo, exec_lo, s18
.LBB292_434:                            ;   in Loop: Header=BB292_10 Depth=1
	s_or_b32 exec_lo, exec_lo, s17
	v_lshrrev_b16 v4, 8, v4
	v_mov_b32_e32 v108, 0
	v_mov_b32_e32 v109, 0
	s_mov_b32 s17, exec_lo
	v_cmpx_ne_u16_e32 0, v4
	s_cbranch_execz .LBB292_442
; %bb.435:                              ;   in Loop: Header=BB292_10 Depth=1
	v_bfrev_b32_e32 v109, 1
	s_mov_b32 s18, exec_lo
	v_cmpx_ne_u16_e32 0x80, v4
	s_cbranch_execz .LBB292_441
; %bb.436:                              ;   in Loop: Header=BB292_10 Depth=1
	v_and_b32_sdwa v2, v4, v38 dst_sel:DWORD dst_unused:UNUSED_PAD src0_sel:WORD_0 src1_sel:DWORD
	v_mov_b32_e32 v109, 0x7c010000
	s_mov_b32 s19, exec_lo
	v_cmpx_ne_u32_e32 0x7f, v2
	s_cbranch_execz .LBB292_440
; %bb.437:                              ;   in Loop: Header=BB292_10 Depth=1
	v_and_b32_sdwa v0, v4, v20 dst_sel:DWORD dst_unused:UNUSED_PAD src0_sel:WORD_0 src1_sel:DWORD
	v_lshrrev_b32_e32 v1, 3, v2
	s_mov_b32 s20, exec_lo
	v_cmpx_gt_u32_e32 8, v2
; %bb.438:                              ;   in Loop: Header=BB292_10 Depth=1
	v_ffbh_u32_e32 v0, v0
	v_min_u32_e32 v2, 32, v0
	v_subrev_nc_u32_e32 v0, 28, v2
	v_lshlrev_b64 v[0:1], v0, v[4:5]
	v_sub_nc_u32_e32 v1, 29, v2
	v_and_b32_e32 v0, 7, v0
; %bb.439:                              ;   in Loop: Header=BB292_10 Depth=1
	s_or_b32 exec_lo, exec_lo, s20
	v_lshlrev_b32_sdwa v2, v21, v4 dst_sel:DWORD dst_unused:UNUSED_PAD src0_sel:DWORD src1_sel:WORD_0
	v_lshl_add_u32 v1, v1, 10, 0x2000
	v_lshlrev_b32_e32 v0, 23, v0
	v_and_or_b32 v1, 0x8000, v2, v1
	v_lshl_or_b32 v109, v1, 16, v0
.LBB292_440:                            ;   in Loop: Header=BB292_10 Depth=1
	s_or_b32 exec_lo, exec_lo, s19
.LBB292_441:                            ;   in Loop: Header=BB292_10 Depth=1
	s_or_b32 exec_lo, exec_lo, s18
.LBB292_442:                            ;   in Loop: Header=BB292_10 Depth=1
	s_or_b32 exec_lo, exec_lo, s17
	v_lshrrev_b32_e32 v4, 16, v25
	v_cmp_ne_u16_sdwa s5, v4, v5 src0_sel:BYTE_0 src1_sel:DWORD
	s_and_saveexec_b32 s17, s5
	s_cbranch_execz .LBB292_450
; %bb.443:                              ;   in Loop: Header=BB292_10 Depth=1
	v_cmp_ne_u16_sdwa s5, v4, v48 src0_sel:BYTE_0 src1_sel:DWORD
	v_mov_b32_e32 v108, 0x8000
	s_and_saveexec_b32 s18, s5
	s_cbranch_execz .LBB292_449
; %bb.444:                              ;   in Loop: Header=BB292_10 Depth=1
	v_bfe_u32 v2, v25, 16, 7
	v_mov_b32_e32 v108, 0x7c01
	s_mov_b32 s19, exec_lo
	v_cmpx_ne_u32_e32 0x7f, v2
	s_cbranch_execz .LBB292_448
; %bb.445:                              ;   in Loop: Header=BB292_10 Depth=1
	v_and_b32_e32 v0, 7, v4
	v_lshrrev_b32_e32 v1, 3, v2
	s_mov_b32 s20, exec_lo
	v_cmpx_gt_u32_e32 8, v2
; %bb.446:                              ;   in Loop: Header=BB292_10 Depth=1
	v_ffbh_u32_e32 v0, v0
	v_min_u32_e32 v2, 32, v0
	v_subrev_nc_u32_e32 v0, 28, v2
	v_lshlrev_b64 v[0:1], v0, v[4:5]
	v_sub_nc_u32_e32 v1, 29, v2
	v_and_b32_e32 v0, 7, v0
; %bb.447:                              ;   in Loop: Header=BB292_10 Depth=1
	s_or_b32 exec_lo, exec_lo, s20
	v_lshlrev_b32_e32 v2, 8, v4
	v_lshl_add_u32 v1, v1, 10, 0x2000
	v_lshlrev_b32_e32 v0, 7, v0
	v_and_b32_e32 v2, 0x8000, v2
	v_and_b32_e32 v1, 0xfc00, v1
	v_or3_b32 v108, v2, v1, v0
.LBB292_448:                            ;   in Loop: Header=BB292_10 Depth=1
	s_or_b32 exec_lo, exec_lo, s19
.LBB292_449:                            ;   in Loop: Header=BB292_10 Depth=1
	s_or_b32 exec_lo, exec_lo, s18
.LBB292_450:                            ;   in Loop: Header=BB292_10 Depth=1
	s_or_b32 exec_lo, exec_lo, s17
	v_mov_b32_e32 v122, 0
	v_mov_b32_e32 v123, 0
	s_mov_b32 s17, exec_lo
	v_cmpx_lt_u64_e64 s[6:7], v[24:25]
	s_cbranch_execz .LBB292_458
; %bb.451:                              ;   in Loop: Header=BB292_10 Depth=1
	v_lshrrev_b32_e32 v4, 24, v25
	v_bfrev_b32_e32 v123, 1
	s_mov_b32 s18, exec_lo
	v_cmpx_ne_u32_e32 0x80, v4
	s_cbranch_execz .LBB292_457
; %bb.452:                              ;   in Loop: Header=BB292_10 Depth=1
	v_and_b32_e32 v2, 0x7f, v4
	v_mov_b32_e32 v123, 0x7c010000
	s_mov_b32 s19, exec_lo
	v_cmpx_ne_u32_e32 0x7f, v2
	s_cbranch_execz .LBB292_456
; %bb.453:                              ;   in Loop: Header=BB292_10 Depth=1
	v_and_b32_e32 v0, 7, v4
	v_lshrrev_b32_e32 v1, 3, v2
	s_mov_b32 s20, exec_lo
	v_cmpx_gt_u32_e32 8, v2
; %bb.454:                              ;   in Loop: Header=BB292_10 Depth=1
	v_ffbh_u32_e32 v0, v0
	v_min_u32_e32 v2, 32, v0
	v_subrev_nc_u32_e32 v0, 28, v2
	v_lshlrev_b64 v[0:1], v0, v[4:5]
	v_sub_nc_u32_e32 v1, 29, v2
	v_and_b32_e32 v0, 7, v0
; %bb.455:                              ;   in Loop: Header=BB292_10 Depth=1
	s_or_b32 exec_lo, exec_lo, s20
	v_lshlrev_b32_e32 v2, 8, v4
	v_lshl_add_u32 v1, v1, 10, 0x2000
	v_lshlrev_b32_e32 v0, 23, v0
	v_and_or_b32 v1, 0x8000, v2, v1
	v_lshl_or_b32 v123, v1, 16, v0
.LBB292_456:                            ;   in Loop: Header=BB292_10 Depth=1
	s_or_b32 exec_lo, exec_lo, s19
.LBB292_457:                            ;   in Loop: Header=BB292_10 Depth=1
	s_or_b32 exec_lo, exec_lo, s18
.LBB292_458:                            ;   in Loop: Header=BB292_10 Depth=1
	s_or_b32 exec_lo, exec_lo, s17
	flat_load_dwordx2 v[24:25], v[16:17] offset:1544
	s_waitcnt vmcnt(0) lgkmcnt(0)
	v_cmp_ne_u16_sdwa s5, v24, v5 src0_sel:BYTE_0 src1_sel:DWORD
	s_and_saveexec_b32 s17, s5
	s_cbranch_execz .LBB292_466
; %bb.459:                              ;   in Loop: Header=BB292_10 Depth=1
	v_cmp_ne_u16_sdwa s5, v24, v48 src0_sel:BYTE_0 src1_sel:DWORD
	v_mov_b32_e32 v122, 0x8000
	s_and_saveexec_b32 s18, s5
	s_cbranch_execz .LBB292_465
; %bb.460:                              ;   in Loop: Header=BB292_10 Depth=1
	v_and_b32_e32 v2, 0x7f, v24
	v_mov_b32_e32 v122, 0x7c01
	s_mov_b32 s19, exec_lo
	v_cmpx_ne_u32_e32 0x7f, v2
	s_cbranch_execz .LBB292_464
; %bb.461:                              ;   in Loop: Header=BB292_10 Depth=1
	v_and_b32_e32 v0, 7, v24
	v_lshrrev_b32_e32 v1, 3, v2
	s_mov_b32 s20, exec_lo
	v_cmpx_gt_u32_e32 8, v2
; %bb.462:                              ;   in Loop: Header=BB292_10 Depth=1
	v_ffbh_u32_e32 v0, v0
	v_min_u32_e32 v2, 32, v0
	v_subrev_nc_u32_e32 v0, 28, v2
	v_lshlrev_b64 v[0:1], v0, v[24:25]
	v_sub_nc_u32_e32 v1, 29, v2
	v_and_b32_e32 v0, 7, v0
; %bb.463:                              ;   in Loop: Header=BB292_10 Depth=1
	s_or_b32 exec_lo, exec_lo, s20
	v_lshlrev_b32_e32 v2, 8, v24
	v_lshl_add_u32 v1, v1, 10, 0x2000
	v_lshlrev_b32_e32 v0, 7, v0
	v_and_b32_e32 v2, 0x8000, v2
	v_and_b32_e32 v1, 0xfc00, v1
	v_or3_b32 v122, v2, v1, v0
.LBB292_464:                            ;   in Loop: Header=BB292_10 Depth=1
	s_or_b32 exec_lo, exec_lo, s19
.LBB292_465:                            ;   in Loop: Header=BB292_10 Depth=1
	s_or_b32 exec_lo, exec_lo, s18
.LBB292_466:                            ;   in Loop: Header=BB292_10 Depth=1
	s_or_b32 exec_lo, exec_lo, s17
	v_lshrrev_b16 v4, 8, v24
	v_mov_b32_e32 v125, 0
	v_mov_b32_e32 v124, 0
	s_mov_b32 s17, exec_lo
	v_cmpx_ne_u16_e32 0, v4
	s_cbranch_execz .LBB292_474
; %bb.467:                              ;   in Loop: Header=BB292_10 Depth=1
	v_bfrev_b32_e32 v124, 1
	s_mov_b32 s18, exec_lo
	v_cmpx_ne_u16_e32 0x80, v4
	s_cbranch_execz .LBB292_473
; %bb.468:                              ;   in Loop: Header=BB292_10 Depth=1
	v_and_b32_sdwa v2, v4, v38 dst_sel:DWORD dst_unused:UNUSED_PAD src0_sel:WORD_0 src1_sel:DWORD
	v_mov_b32_e32 v124, 0x7c010000
	s_mov_b32 s19, exec_lo
	v_cmpx_ne_u32_e32 0x7f, v2
	s_cbranch_execz .LBB292_472
; %bb.469:                              ;   in Loop: Header=BB292_10 Depth=1
	v_and_b32_sdwa v0, v4, v20 dst_sel:DWORD dst_unused:UNUSED_PAD src0_sel:WORD_0 src1_sel:DWORD
	v_lshrrev_b32_e32 v1, 3, v2
	s_mov_b32 s20, exec_lo
	v_cmpx_gt_u32_e32 8, v2
; %bb.470:                              ;   in Loop: Header=BB292_10 Depth=1
	v_ffbh_u32_e32 v0, v0
	v_min_u32_e32 v2, 32, v0
	v_subrev_nc_u32_e32 v0, 28, v2
	v_lshlrev_b64 v[0:1], v0, v[4:5]
	v_sub_nc_u32_e32 v1, 29, v2
	v_and_b32_e32 v0, 7, v0
; %bb.471:                              ;   in Loop: Header=BB292_10 Depth=1
	s_or_b32 exec_lo, exec_lo, s20
	v_lshlrev_b32_sdwa v2, v21, v4 dst_sel:DWORD dst_unused:UNUSED_PAD src0_sel:DWORD src1_sel:WORD_0
	v_lshl_add_u32 v1, v1, 10, 0x2000
	v_lshlrev_b32_e32 v0, 23, v0
	v_and_or_b32 v1, 0x8000, v2, v1
	v_lshl_or_b32 v124, v1, 16, v0
.LBB292_472:                            ;   in Loop: Header=BB292_10 Depth=1
	s_or_b32 exec_lo, exec_lo, s19
.LBB292_473:                            ;   in Loop: Header=BB292_10 Depth=1
	s_or_b32 exec_lo, exec_lo, s18
.LBB292_474:                            ;   in Loop: Header=BB292_10 Depth=1
	s_or_b32 exec_lo, exec_lo, s17
	v_lshrrev_b32_e32 v4, 16, v24
	v_cmp_ne_u16_sdwa s5, v4, v5 src0_sel:BYTE_0 src1_sel:DWORD
	s_and_saveexec_b32 s17, s5
	s_cbranch_execz .LBB292_482
; %bb.475:                              ;   in Loop: Header=BB292_10 Depth=1
	v_cmp_ne_u16_sdwa s5, v4, v48 src0_sel:BYTE_0 src1_sel:DWORD
	v_mov_b32_e32 v125, 0x8000
	s_and_saveexec_b32 s18, s5
	s_cbranch_execz .LBB292_481
; %bb.476:                              ;   in Loop: Header=BB292_10 Depth=1
	v_bfe_u32 v2, v24, 16, 7
	v_mov_b32_e32 v125, 0x7c01
	s_mov_b32 s19, exec_lo
	v_cmpx_ne_u32_e32 0x7f, v2
	s_cbranch_execz .LBB292_480
; %bb.477:                              ;   in Loop: Header=BB292_10 Depth=1
	v_and_b32_e32 v0, 7, v4
	v_lshrrev_b32_e32 v1, 3, v2
	s_mov_b32 s20, exec_lo
	v_cmpx_gt_u32_e32 8, v2
; %bb.478:                              ;   in Loop: Header=BB292_10 Depth=1
	v_ffbh_u32_e32 v0, v0
	v_min_u32_e32 v2, 32, v0
	v_subrev_nc_u32_e32 v0, 28, v2
	v_lshlrev_b64 v[0:1], v0, v[4:5]
	v_sub_nc_u32_e32 v1, 29, v2
	v_and_b32_e32 v0, 7, v0
; %bb.479:                              ;   in Loop: Header=BB292_10 Depth=1
	s_or_b32 exec_lo, exec_lo, s20
	v_lshlrev_b32_e32 v2, 8, v4
	v_lshl_add_u32 v1, v1, 10, 0x2000
	v_lshlrev_b32_e32 v0, 7, v0
	v_and_b32_e32 v2, 0x8000, v2
	v_and_b32_e32 v1, 0xfc00, v1
	v_or3_b32 v125, v2, v1, v0
.LBB292_480:                            ;   in Loop: Header=BB292_10 Depth=1
	s_or_b32 exec_lo, exec_lo, s19
.LBB292_481:                            ;   in Loop: Header=BB292_10 Depth=1
	s_or_b32 exec_lo, exec_lo, s18
.LBB292_482:                            ;   in Loop: Header=BB292_10 Depth=1
	s_or_b32 exec_lo, exec_lo, s17
	v_mov_b32_e32 v126, 0
	v_mov_b32_e32 v0, 0
	s_mov_b32 s17, exec_lo
	v_cmpx_lt_u32_e32 0xffffff, v24
	s_cbranch_execz .LBB292_490
; %bb.483:                              ;   in Loop: Header=BB292_10 Depth=1
	v_lshrrev_b32_e32 v4, 24, v24
	v_bfrev_b32_e32 v0, 1
	s_mov_b32 s18, exec_lo
	v_cmpx_ne_u32_e32 0x80, v4
	s_cbranch_execz .LBB292_489
; %bb.484:                              ;   in Loop: Header=BB292_10 Depth=1
	v_and_b32_e32 v2, 0x7f, v4
	v_mov_b32_e32 v0, 0x7c010000
	s_mov_b32 s19, exec_lo
	v_cmpx_ne_u32_e32 0x7f, v2
	s_cbranch_execz .LBB292_488
; %bb.485:                              ;   in Loop: Header=BB292_10 Depth=1
	v_and_b32_e32 v0, 7, v4
	v_lshrrev_b32_e32 v1, 3, v2
	s_mov_b32 s20, exec_lo
	v_cmpx_gt_u32_e32 8, v2
; %bb.486:                              ;   in Loop: Header=BB292_10 Depth=1
	v_ffbh_u32_e32 v0, v0
	v_min_u32_e32 v2, 32, v0
	v_subrev_nc_u32_e32 v0, 28, v2
	v_lshlrev_b64 v[0:1], v0, v[4:5]
	v_sub_nc_u32_e32 v1, 29, v2
	v_and_b32_e32 v0, 7, v0
; %bb.487:                              ;   in Loop: Header=BB292_10 Depth=1
	s_or_b32 exec_lo, exec_lo, s20
	v_lshlrev_b32_e32 v2, 8, v4
	v_lshl_add_u32 v1, v1, 10, 0x2000
	v_lshlrev_b32_e32 v0, 23, v0
	v_and_or_b32 v1, 0x8000, v2, v1
	v_lshl_or_b32 v0, v1, 16, v0
.LBB292_488:                            ;   in Loop: Header=BB292_10 Depth=1
	s_or_b32 exec_lo, exec_lo, s19
.LBB292_489:                            ;   in Loop: Header=BB292_10 Depth=1
	s_or_b32 exec_lo, exec_lo, s18
.LBB292_490:                            ;   in Loop: Header=BB292_10 Depth=1
	s_or_b32 exec_lo, exec_lo, s17
	v_mov_b32_e32 v4, v25
	v_cmp_ne_u16_sdwa s5, v25, v5 src0_sel:BYTE_0 src1_sel:DWORD
	s_and_saveexec_b32 s17, s5
	s_cbranch_execz .LBB292_498
; %bb.491:                              ;   in Loop: Header=BB292_10 Depth=1
	v_cmp_ne_u16_sdwa s5, v25, v48 src0_sel:BYTE_0 src1_sel:DWORD
	v_mov_b32_e32 v126, 0x8000
	s_and_saveexec_b32 s18, s5
	s_cbranch_execz .LBB292_497
; %bb.492:                              ;   in Loop: Header=BB292_10 Depth=1
	v_and_b32_e32 v3, 0x7f, v25
	v_mov_b32_e32 v126, 0x7c01
	s_mov_b32 s19, exec_lo
	v_cmpx_ne_u32_e32 0x7f, v3
	s_cbranch_execz .LBB292_496
; %bb.493:                              ;   in Loop: Header=BB292_10 Depth=1
	v_and_b32_e32 v1, 7, v25
	v_lshrrev_b32_e32 v2, 3, v3
	s_mov_b32 s20, exec_lo
	v_cmpx_gt_u32_e32 8, v3
; %bb.494:                              ;   in Loop: Header=BB292_10 Depth=1
	v_ffbh_u32_e32 v1, v1
	v_min_u32_e32 v3, 32, v1
	v_subrev_nc_u32_e32 v1, 28, v3
	v_lshlrev_b64 v[1:2], v1, v[4:5]
	v_sub_nc_u32_e32 v2, 29, v3
	v_and_b32_e32 v1, 7, v1
; %bb.495:                              ;   in Loop: Header=BB292_10 Depth=1
	s_or_b32 exec_lo, exec_lo, s20
	v_lshlrev_b32_e32 v3, 8, v25
	v_lshl_add_u32 v2, v2, 10, 0x2000
	v_lshlrev_b32_e32 v1, 7, v1
	v_and_b32_e32 v3, 0x8000, v3
	v_and_b32_e32 v2, 0xfc00, v2
	v_or3_b32 v126, v3, v2, v1
.LBB292_496:                            ;   in Loop: Header=BB292_10 Depth=1
	s_or_b32 exec_lo, exec_lo, s19
.LBB292_497:                            ;   in Loop: Header=BB292_10 Depth=1
	s_or_b32 exec_lo, exec_lo, s18
.LBB292_498:                            ;   in Loop: Header=BB292_10 Depth=1
	s_or_b32 exec_lo, exec_lo, s17
	v_lshrrev_b16 v4, 8, v4
	v_mov_b32_e32 v8, 0
	v_mov_b32_e32 v7, 0
	s_mov_b32 s17, exec_lo
	v_cmpx_ne_u16_e32 0, v4
	s_cbranch_execz .LBB292_506
; %bb.499:                              ;   in Loop: Header=BB292_10 Depth=1
	v_bfrev_b32_e32 v7, 1
	s_mov_b32 s18, exec_lo
	v_cmpx_ne_u16_e32 0x80, v4
	s_cbranch_execz .LBB292_505
; %bb.500:                              ;   in Loop: Header=BB292_10 Depth=1
	v_and_b32_sdwa v3, v4, v38 dst_sel:DWORD dst_unused:UNUSED_PAD src0_sel:WORD_0 src1_sel:DWORD
	v_mov_b32_e32 v7, 0x7c010000
	s_mov_b32 s19, exec_lo
	v_cmpx_ne_u32_e32 0x7f, v3
	s_cbranch_execz .LBB292_504
; %bb.501:                              ;   in Loop: Header=BB292_10 Depth=1
	v_and_b32_sdwa v1, v4, v20 dst_sel:DWORD dst_unused:UNUSED_PAD src0_sel:WORD_0 src1_sel:DWORD
	v_lshrrev_b32_e32 v2, 3, v3
	s_mov_b32 s20, exec_lo
	v_cmpx_gt_u32_e32 8, v3
; %bb.502:                              ;   in Loop: Header=BB292_10 Depth=1
	v_ffbh_u32_e32 v1, v1
	v_min_u32_e32 v3, 32, v1
	v_subrev_nc_u32_e32 v1, 28, v3
	v_lshlrev_b64 v[1:2], v1, v[4:5]
	v_sub_nc_u32_e32 v2, 29, v3
	v_and_b32_e32 v1, 7, v1
; %bb.503:                              ;   in Loop: Header=BB292_10 Depth=1
	s_or_b32 exec_lo, exec_lo, s20
	v_lshlrev_b32_sdwa v3, v21, v4 dst_sel:DWORD dst_unused:UNUSED_PAD src0_sel:DWORD src1_sel:WORD_0
	v_lshl_add_u32 v2, v2, 10, 0x2000
	v_lshlrev_b32_e32 v1, 23, v1
	v_and_or_b32 v2, 0x8000, v3, v2
	v_lshl_or_b32 v7, v2, 16, v1
.LBB292_504:                            ;   in Loop: Header=BB292_10 Depth=1
	s_or_b32 exec_lo, exec_lo, s19
.LBB292_505:                            ;   in Loop: Header=BB292_10 Depth=1
	s_or_b32 exec_lo, exec_lo, s18
.LBB292_506:                            ;   in Loop: Header=BB292_10 Depth=1
	s_or_b32 exec_lo, exec_lo, s17
	v_lshrrev_b32_e32 v4, 16, v25
	v_cmp_ne_u16_sdwa s5, v4, v5 src0_sel:BYTE_0 src1_sel:DWORD
	s_and_saveexec_b32 s17, s5
	s_cbranch_execz .LBB292_514
; %bb.507:                              ;   in Loop: Header=BB292_10 Depth=1
	v_cmp_ne_u16_sdwa s5, v4, v48 src0_sel:BYTE_0 src1_sel:DWORD
	v_mov_b32_e32 v8, 0x8000
	s_and_saveexec_b32 s18, s5
	s_cbranch_execz .LBB292_513
; %bb.508:                              ;   in Loop: Header=BB292_10 Depth=1
	v_bfe_u32 v3, v25, 16, 7
	v_mov_b32_e32 v8, 0x7c01
	s_mov_b32 s19, exec_lo
	v_cmpx_ne_u32_e32 0x7f, v3
	s_cbranch_execz .LBB292_512
; %bb.509:                              ;   in Loop: Header=BB292_10 Depth=1
	v_and_b32_e32 v1, 7, v4
	v_lshrrev_b32_e32 v2, 3, v3
	s_mov_b32 s20, exec_lo
	v_cmpx_gt_u32_e32 8, v3
; %bb.510:                              ;   in Loop: Header=BB292_10 Depth=1
	v_ffbh_u32_e32 v1, v1
	v_min_u32_e32 v3, 32, v1
	v_subrev_nc_u32_e32 v1, 28, v3
	v_lshlrev_b64 v[1:2], v1, v[4:5]
	v_sub_nc_u32_e32 v2, 29, v3
	v_and_b32_e32 v1, 7, v1
; %bb.511:                              ;   in Loop: Header=BB292_10 Depth=1
	s_or_b32 exec_lo, exec_lo, s20
	v_lshlrev_b32_e32 v3, 8, v4
	v_lshl_add_u32 v2, v2, 10, 0x2000
	v_lshlrev_b32_e32 v1, 7, v1
	v_and_b32_e32 v3, 0x8000, v3
	v_and_b32_e32 v2, 0xfc00, v2
	v_or3_b32 v8, v3, v2, v1
.LBB292_512:                            ;   in Loop: Header=BB292_10 Depth=1
	s_or_b32 exec_lo, exec_lo, s19
.LBB292_513:                            ;   in Loop: Header=BB292_10 Depth=1
	s_or_b32 exec_lo, exec_lo, s18
.LBB292_514:                            ;   in Loop: Header=BB292_10 Depth=1
	s_or_b32 exec_lo, exec_lo, s17
	v_mov_b32_e32 v1, 0
	v_mov_b32_e32 v6, 0
	s_mov_b32 s17, exec_lo
	v_cmpx_lt_u64_e64 s[6:7], v[24:25]
	s_cbranch_execz .LBB292_522
; %bb.515:                              ;   in Loop: Header=BB292_10 Depth=1
	v_lshrrev_b32_e32 v4, 24, v25
	v_bfrev_b32_e32 v6, 1
	s_mov_b32 s18, exec_lo
	v_cmpx_ne_u32_e32 0x80, v4
	s_cbranch_execz .LBB292_521
; %bb.516:                              ;   in Loop: Header=BB292_10 Depth=1
	v_and_b32_e32 v10, 0x7f, v4
	v_mov_b32_e32 v6, 0x7c010000
	s_mov_b32 s19, exec_lo
	v_cmpx_ne_u32_e32 0x7f, v10
	s_cbranch_execz .LBB292_520
; %bb.517:                              ;   in Loop: Header=BB292_10 Depth=1
	v_and_b32_e32 v2, 7, v4
	v_lshrrev_b32_e32 v3, 3, v10
	s_mov_b32 s20, exec_lo
	v_cmpx_gt_u32_e32 8, v10
; %bb.518:                              ;   in Loop: Header=BB292_10 Depth=1
	v_ffbh_u32_e32 v2, v2
	v_min_u32_e32 v6, 32, v2
	v_subrev_nc_u32_e32 v2, 28, v6
	v_lshlrev_b64 v[2:3], v2, v[4:5]
	v_sub_nc_u32_e32 v3, 29, v6
	v_and_b32_e32 v2, 7, v2
; %bb.519:                              ;   in Loop: Header=BB292_10 Depth=1
	s_or_b32 exec_lo, exec_lo, s20
	v_lshlrev_b32_e32 v4, 8, v4
	v_lshl_add_u32 v3, v3, 10, 0x2000
	v_lshlrev_b32_e32 v2, 23, v2
	v_and_or_b32 v3, 0x8000, v4, v3
	v_lshl_or_b32 v6, v3, 16, v2
.LBB292_520:                            ;   in Loop: Header=BB292_10 Depth=1
	s_or_b32 exec_lo, exec_lo, s19
.LBB292_521:                            ;   in Loop: Header=BB292_10 Depth=1
	s_or_b32 exec_lo, exec_lo, s18
.LBB292_522:                            ;   in Loop: Header=BB292_10 Depth=1
	s_or_b32 exec_lo, exec_lo, s17
	v_add_co_u32 v16, s5, 0x800, v16
	v_add_co_ci_u32_e64 v17, null, 0, v17, s5
	flat_load_dwordx2 v[24:25], v[16:17]
	s_waitcnt vmcnt(0) lgkmcnt(0)
	v_cmp_ne_u16_sdwa s5, v24, v5 src0_sel:BYTE_0 src1_sel:DWORD
	s_and_saveexec_b32 s17, s5
	s_cbranch_execz .LBB292_530
; %bb.523:                              ;   in Loop: Header=BB292_10 Depth=1
	v_cmp_ne_u16_sdwa s5, v24, v48 src0_sel:BYTE_0 src1_sel:DWORD
	v_mov_b32_e32 v1, 0x8000
	s_and_saveexec_b32 s18, s5
	s_cbranch_execz .LBB292_529
; %bb.524:                              ;   in Loop: Header=BB292_10 Depth=1
	v_and_b32_e32 v3, 0x7f, v24
	v_mov_b32_e32 v1, 0x7c01
	s_mov_b32 s19, exec_lo
	v_cmpx_ne_u32_e32 0x7f, v3
	s_cbranch_execz .LBB292_528
; %bb.525:                              ;   in Loop: Header=BB292_10 Depth=1
	v_and_b32_e32 v1, 7, v24
	v_lshrrev_b32_e32 v2, 3, v3
	s_mov_b32 s20, exec_lo
	v_cmpx_gt_u32_e32 8, v3
; %bb.526:                              ;   in Loop: Header=BB292_10 Depth=1
	v_ffbh_u32_e32 v1, v1
	v_min_u32_e32 v3, 32, v1
	v_subrev_nc_u32_e32 v1, 28, v3
	v_lshlrev_b64 v[1:2], v1, v[24:25]
	v_sub_nc_u32_e32 v2, 29, v3
	v_and_b32_e32 v1, 7, v1
; %bb.527:                              ;   in Loop: Header=BB292_10 Depth=1
	s_or_b32 exec_lo, exec_lo, s20
	v_lshlrev_b32_e32 v3, 8, v24
	v_lshl_add_u32 v2, v2, 10, 0x2000
	v_lshlrev_b32_e32 v1, 7, v1
	v_and_b32_e32 v3, 0x8000, v3
	v_and_b32_e32 v2, 0xfc00, v2
	v_or3_b32 v1, v3, v2, v1
.LBB292_528:                            ;   in Loop: Header=BB292_10 Depth=1
	s_or_b32 exec_lo, exec_lo, s19
.LBB292_529:                            ;   in Loop: Header=BB292_10 Depth=1
	s_or_b32 exec_lo, exec_lo, s18
.LBB292_530:                            ;   in Loop: Header=BB292_10 Depth=1
	s_or_b32 exec_lo, exec_lo, s17
	v_lshrrev_b16 v4, 8, v24
	v_mov_b32_e32 v32, 0
	v_mov_b32_e32 v11, 0
	s_mov_b32 s17, exec_lo
	v_cmpx_ne_u16_e32 0, v4
	s_cbranch_execz .LBB292_538
; %bb.531:                              ;   in Loop: Header=BB292_10 Depth=1
	v_bfrev_b32_e32 v11, 1
	s_mov_b32 s18, exec_lo
	v_cmpx_ne_u16_e32 0x80, v4
	s_cbranch_execz .LBB292_537
; %bb.532:                              ;   in Loop: Header=BB292_10 Depth=1
	v_and_b32_sdwa v10, v4, v38 dst_sel:DWORD dst_unused:UNUSED_PAD src0_sel:WORD_0 src1_sel:DWORD
	v_mov_b32_e32 v11, 0x7c010000
	s_mov_b32 s19, exec_lo
	v_cmpx_ne_u32_e32 0x7f, v10
	s_cbranch_execz .LBB292_536
; %bb.533:                              ;   in Loop: Header=BB292_10 Depth=1
	v_and_b32_sdwa v2, v4, v20 dst_sel:DWORD dst_unused:UNUSED_PAD src0_sel:WORD_0 src1_sel:DWORD
	v_lshrrev_b32_e32 v3, 3, v10
	s_mov_b32 s20, exec_lo
	v_cmpx_gt_u32_e32 8, v10
; %bb.534:                              ;   in Loop: Header=BB292_10 Depth=1
	v_ffbh_u32_e32 v2, v2
	v_min_u32_e32 v10, 32, v2
	v_subrev_nc_u32_e32 v2, 28, v10
	v_lshlrev_b64 v[2:3], v2, v[4:5]
	v_sub_nc_u32_e32 v3, 29, v10
	v_and_b32_e32 v2, 7, v2
; %bb.535:                              ;   in Loop: Header=BB292_10 Depth=1
	s_or_b32 exec_lo, exec_lo, s20
	v_lshlrev_b32_sdwa v4, v21, v4 dst_sel:DWORD dst_unused:UNUSED_PAD src0_sel:DWORD src1_sel:WORD_0
	v_lshl_add_u32 v3, v3, 10, 0x2000
	v_lshlrev_b32_e32 v2, 23, v2
	v_and_or_b32 v3, 0x8000, v4, v3
	v_lshl_or_b32 v11, v3, 16, v2
.LBB292_536:                            ;   in Loop: Header=BB292_10 Depth=1
	s_or_b32 exec_lo, exec_lo, s19
.LBB292_537:                            ;   in Loop: Header=BB292_10 Depth=1
	s_or_b32 exec_lo, exec_lo, s18
.LBB292_538:                            ;   in Loop: Header=BB292_10 Depth=1
	s_or_b32 exec_lo, exec_lo, s17
	v_lshrrev_b32_e32 v4, 16, v24
	v_cmp_ne_u16_sdwa s5, v4, v5 src0_sel:BYTE_0 src1_sel:DWORD
	s_and_saveexec_b32 s17, s5
	s_cbranch_execz .LBB292_546
; %bb.539:                              ;   in Loop: Header=BB292_10 Depth=1
	v_cmp_ne_u16_sdwa s5, v4, v48 src0_sel:BYTE_0 src1_sel:DWORD
	v_mov_b32_e32 v32, 0x8000
	s_and_saveexec_b32 s18, s5
	s_cbranch_execz .LBB292_545
; %bb.540:                              ;   in Loop: Header=BB292_10 Depth=1
	v_bfe_u32 v10, v24, 16, 7
	v_mov_b32_e32 v32, 0x7c01
	s_mov_b32 s19, exec_lo
	v_cmpx_ne_u32_e32 0x7f, v10
	s_cbranch_execz .LBB292_544
; %bb.541:                              ;   in Loop: Header=BB292_10 Depth=1
	v_and_b32_e32 v2, 7, v4
	v_lshrrev_b32_e32 v3, 3, v10
	s_mov_b32 s20, exec_lo
	v_cmpx_gt_u32_e32 8, v10
; %bb.542:                              ;   in Loop: Header=BB292_10 Depth=1
	v_ffbh_u32_e32 v2, v2
	v_min_u32_e32 v10, 32, v2
	v_subrev_nc_u32_e32 v2, 28, v10
	v_lshlrev_b64 v[2:3], v2, v[4:5]
	v_sub_nc_u32_e32 v3, 29, v10
	v_and_b32_e32 v2, 7, v2
; %bb.543:                              ;   in Loop: Header=BB292_10 Depth=1
	s_or_b32 exec_lo, exec_lo, s20
	v_lshlrev_b32_e32 v4, 8, v4
	v_lshl_add_u32 v3, v3, 10, 0x2000
	v_lshlrev_b32_e32 v2, 7, v2
	v_and_b32_e32 v4, 0x8000, v4
	v_and_b32_e32 v3, 0xfc00, v3
	v_or3_b32 v32, v4, v3, v2
.LBB292_544:                            ;   in Loop: Header=BB292_10 Depth=1
	s_or_b32 exec_lo, exec_lo, s19
.LBB292_545:                            ;   in Loop: Header=BB292_10 Depth=1
	s_or_b32 exec_lo, exec_lo, s18
.LBB292_546:                            ;   in Loop: Header=BB292_10 Depth=1
	s_or_b32 exec_lo, exec_lo, s17
	v_mov_b32_e32 v94, 0
	v_mov_b32_e32 v95, 0
	s_mov_b32 s17, exec_lo
	v_cmpx_lt_u32_e32 0xffffff, v24
	s_cbranch_execz .LBB292_554
; %bb.547:                              ;   in Loop: Header=BB292_10 Depth=1
	v_lshrrev_b32_e32 v4, 24, v24
	v_bfrev_b32_e32 v95, 1
	s_mov_b32 s18, exec_lo
	v_cmpx_ne_u32_e32 0x80, v4
	s_cbranch_execz .LBB292_553
; %bb.548:                              ;   in Loop: Header=BB292_10 Depth=1
	v_and_b32_e32 v10, 0x7f, v4
	v_mov_b32_e32 v95, 0x7c010000
	s_mov_b32 s19, exec_lo
	v_cmpx_ne_u32_e32 0x7f, v10
	s_cbranch_execz .LBB292_552
; %bb.549:                              ;   in Loop: Header=BB292_10 Depth=1
	v_and_b32_e32 v2, 7, v4
	v_lshrrev_b32_e32 v3, 3, v10
	s_mov_b32 s20, exec_lo
	v_cmpx_gt_u32_e32 8, v10
; %bb.550:                              ;   in Loop: Header=BB292_10 Depth=1
	v_ffbh_u32_e32 v2, v2
	v_min_u32_e32 v10, 32, v2
	v_subrev_nc_u32_e32 v2, 28, v10
	v_lshlrev_b64 v[2:3], v2, v[4:5]
	v_sub_nc_u32_e32 v3, 29, v10
	v_and_b32_e32 v2, 7, v2
; %bb.551:                              ;   in Loop: Header=BB292_10 Depth=1
	s_or_b32 exec_lo, exec_lo, s20
	v_lshlrev_b32_e32 v4, 8, v4
	v_lshl_add_u32 v3, v3, 10, 0x2000
	v_lshlrev_b32_e32 v2, 23, v2
	v_and_or_b32 v3, 0x8000, v4, v3
	v_lshl_or_b32 v95, v3, 16, v2
.LBB292_552:                            ;   in Loop: Header=BB292_10 Depth=1
	s_or_b32 exec_lo, exec_lo, s19
.LBB292_553:                            ;   in Loop: Header=BB292_10 Depth=1
	s_or_b32 exec_lo, exec_lo, s18
.LBB292_554:                            ;   in Loop: Header=BB292_10 Depth=1
	s_or_b32 exec_lo, exec_lo, s17
	v_mov_b32_e32 v4, v25
	v_cmp_ne_u16_sdwa s5, v25, v5 src0_sel:BYTE_0 src1_sel:DWORD
	s_and_saveexec_b32 s17, s5
	s_cbranch_execz .LBB292_562
; %bb.555:                              ;   in Loop: Header=BB292_10 Depth=1
	v_cmp_ne_u16_sdwa s5, v25, v48 src0_sel:BYTE_0 src1_sel:DWORD
	v_mov_b32_e32 v94, 0x8000
	s_and_saveexec_b32 s18, s5
	s_cbranch_execz .LBB292_561
; %bb.556:                              ;   in Loop: Header=BB292_10 Depth=1
	v_and_b32_e32 v10, 0x7f, v25
	v_mov_b32_e32 v94, 0x7c01
	s_mov_b32 s19, exec_lo
	v_cmpx_ne_u32_e32 0x7f, v10
	s_cbranch_execz .LBB292_560
; %bb.557:                              ;   in Loop: Header=BB292_10 Depth=1
	v_and_b32_e32 v2, 7, v25
	v_lshrrev_b32_e32 v3, 3, v10
	s_mov_b32 s20, exec_lo
	v_cmpx_gt_u32_e32 8, v10
; %bb.558:                              ;   in Loop: Header=BB292_10 Depth=1
	v_ffbh_u32_e32 v2, v2
	v_min_u32_e32 v10, 32, v2
	v_subrev_nc_u32_e32 v2, 28, v10
	v_lshlrev_b64 v[2:3], v2, v[4:5]
	v_sub_nc_u32_e32 v3, 29, v10
	v_and_b32_e32 v2, 7, v2
; %bb.559:                              ;   in Loop: Header=BB292_10 Depth=1
	s_or_b32 exec_lo, exec_lo, s20
	v_lshlrev_b32_e32 v10, 8, v25
	v_lshl_add_u32 v3, v3, 10, 0x2000
	v_lshlrev_b32_e32 v2, 7, v2
	v_and_b32_e32 v10, 0x8000, v10
	v_and_b32_e32 v3, 0xfc00, v3
	v_or3_b32 v94, v10, v3, v2
.LBB292_560:                            ;   in Loop: Header=BB292_10 Depth=1
	s_or_b32 exec_lo, exec_lo, s19
.LBB292_561:                            ;   in Loop: Header=BB292_10 Depth=1
	s_or_b32 exec_lo, exec_lo, s18
.LBB292_562:                            ;   in Loop: Header=BB292_10 Depth=1
	s_or_b32 exec_lo, exec_lo, s17
	v_lshrrev_b16 v4, 8, v4
	v_mov_b32_e32 v127, 0
	v_mov_b32_e32 v106, 0
	s_mov_b32 s17, exec_lo
	v_cmpx_ne_u16_e32 0, v4
	s_cbranch_execz .LBB292_570
; %bb.563:                              ;   in Loop: Header=BB292_10 Depth=1
	v_bfrev_b32_e32 v106, 1
	s_mov_b32 s18, exec_lo
	v_cmpx_ne_u16_e32 0x80, v4
	s_cbranch_execz .LBB292_569
; %bb.564:                              ;   in Loop: Header=BB292_10 Depth=1
	v_and_b32_sdwa v10, v4, v38 dst_sel:DWORD dst_unused:UNUSED_PAD src0_sel:WORD_0 src1_sel:DWORD
	v_mov_b32_e32 v106, 0x7c010000
	s_mov_b32 s19, exec_lo
	v_cmpx_ne_u32_e32 0x7f, v10
	s_cbranch_execz .LBB292_568
; %bb.565:                              ;   in Loop: Header=BB292_10 Depth=1
	v_and_b32_sdwa v2, v4, v20 dst_sel:DWORD dst_unused:UNUSED_PAD src0_sel:WORD_0 src1_sel:DWORD
	v_lshrrev_b32_e32 v3, 3, v10
	s_mov_b32 s20, exec_lo
	v_cmpx_gt_u32_e32 8, v10
; %bb.566:                              ;   in Loop: Header=BB292_10 Depth=1
	v_ffbh_u32_e32 v2, v2
	v_min_u32_e32 v10, 32, v2
	v_subrev_nc_u32_e32 v2, 28, v10
	v_lshlrev_b64 v[2:3], v2, v[4:5]
	v_sub_nc_u32_e32 v3, 29, v10
	v_and_b32_e32 v2, 7, v2
; %bb.567:                              ;   in Loop: Header=BB292_10 Depth=1
	s_or_b32 exec_lo, exec_lo, s20
	v_lshlrev_b32_sdwa v4, v21, v4 dst_sel:DWORD dst_unused:UNUSED_PAD src0_sel:DWORD src1_sel:WORD_0
	v_lshl_add_u32 v3, v3, 10, 0x2000
	v_lshlrev_b32_e32 v2, 23, v2
	v_and_or_b32 v3, 0x8000, v4, v3
	v_lshl_or_b32 v106, v3, 16, v2
.LBB292_568:                            ;   in Loop: Header=BB292_10 Depth=1
	s_or_b32 exec_lo, exec_lo, s19
.LBB292_569:                            ;   in Loop: Header=BB292_10 Depth=1
	s_or_b32 exec_lo, exec_lo, s18
.LBB292_570:                            ;   in Loop: Header=BB292_10 Depth=1
	s_or_b32 exec_lo, exec_lo, s17
	v_lshrrev_b32_e32 v4, 16, v25
	v_cmp_ne_u16_sdwa s5, v4, v5 src0_sel:BYTE_0 src1_sel:DWORD
	s_and_saveexec_b32 s17, s5
	s_cbranch_execz .LBB292_578
; %bb.571:                              ;   in Loop: Header=BB292_10 Depth=1
	v_cmp_ne_u16_sdwa s5, v4, v48 src0_sel:BYTE_0 src1_sel:DWORD
	v_mov_b32_e32 v127, 0x8000
	s_and_saveexec_b32 s18, s5
	s_cbranch_execz .LBB292_577
; %bb.572:                              ;   in Loop: Header=BB292_10 Depth=1
	v_bfe_u32 v10, v25, 16, 7
	v_mov_b32_e32 v127, 0x7c01
	s_mov_b32 s19, exec_lo
	v_cmpx_ne_u32_e32 0x7f, v10
	s_cbranch_execz .LBB292_576
; %bb.573:                              ;   in Loop: Header=BB292_10 Depth=1
	v_and_b32_e32 v2, 7, v4
	v_lshrrev_b32_e32 v3, 3, v10
	s_mov_b32 s20, exec_lo
	v_cmpx_gt_u32_e32 8, v10
; %bb.574:                              ;   in Loop: Header=BB292_10 Depth=1
	v_ffbh_u32_e32 v2, v2
	v_min_u32_e32 v10, 32, v2
	v_subrev_nc_u32_e32 v2, 28, v10
	v_lshlrev_b64 v[2:3], v2, v[4:5]
	v_sub_nc_u32_e32 v3, 29, v10
	v_and_b32_e32 v2, 7, v2
; %bb.575:                              ;   in Loop: Header=BB292_10 Depth=1
	s_or_b32 exec_lo, exec_lo, s20
	v_lshlrev_b32_e32 v4, 8, v4
	v_lshl_add_u32 v3, v3, 10, 0x2000
	v_lshlrev_b32_e32 v2, 7, v2
	v_and_b32_e32 v4, 0x8000, v4
	v_and_b32_e32 v3, 0xfc00, v3
	v_or3_b32 v127, v4, v3, v2
.LBB292_576:                            ;   in Loop: Header=BB292_10 Depth=1
	s_or_b32 exec_lo, exec_lo, s19
.LBB292_577:                            ;   in Loop: Header=BB292_10 Depth=1
	s_or_b32 exec_lo, exec_lo, s18
.LBB292_578:                            ;   in Loop: Header=BB292_10 Depth=1
	s_or_b32 exec_lo, exec_lo, s17
	v_mov_b32_e32 v74, 0
	v_mov_b32_e32 v10, 0
	s_mov_b32 s17, exec_lo
	v_cmpx_lt_u64_e64 s[6:7], v[24:25]
	s_cbranch_execz .LBB292_586
; %bb.579:                              ;   in Loop: Header=BB292_10 Depth=1
	v_lshrrev_b32_e32 v4, 24, v25
	v_bfrev_b32_e32 v10, 1
	s_mov_b32 s18, exec_lo
	v_cmpx_ne_u32_e32 0x80, v4
	s_cbranch_execz .LBB292_585
; %bb.580:                              ;   in Loop: Header=BB292_10 Depth=1
	v_and_b32_e32 v12, 0x7f, v4
	v_mov_b32_e32 v10, 0x7c010000
	s_mov_b32 s19, exec_lo
	v_cmpx_ne_u32_e32 0x7f, v12
	s_cbranch_execz .LBB292_584
; %bb.581:                              ;   in Loop: Header=BB292_10 Depth=1
	v_and_b32_e32 v2, 7, v4
	v_lshrrev_b32_e32 v3, 3, v12
	s_mov_b32 s20, exec_lo
	v_cmpx_gt_u32_e32 8, v12
; %bb.582:                              ;   in Loop: Header=BB292_10 Depth=1
	v_ffbh_u32_e32 v2, v2
	v_min_u32_e32 v10, 32, v2
	v_subrev_nc_u32_e32 v2, 28, v10
	v_lshlrev_b64 v[2:3], v2, v[4:5]
	v_sub_nc_u32_e32 v3, 29, v10
	v_and_b32_e32 v2, 7, v2
; %bb.583:                              ;   in Loop: Header=BB292_10 Depth=1
	s_or_b32 exec_lo, exec_lo, s20
	v_lshlrev_b32_e32 v4, 8, v4
	v_lshl_add_u32 v3, v3, 10, 0x2000
	v_lshlrev_b32_e32 v2, 23, v2
	v_and_or_b32 v3, 0x8000, v4, v3
	v_lshl_or_b32 v10, v3, 16, v2
.LBB292_584:                            ;   in Loop: Header=BB292_10 Depth=1
	s_or_b32 exec_lo, exec_lo, s19
.LBB292_585:                            ;   in Loop: Header=BB292_10 Depth=1
	s_or_b32 exec_lo, exec_lo, s18
.LBB292_586:                            ;   in Loop: Header=BB292_10 Depth=1
	s_or_b32 exec_lo, exec_lo, s17
	flat_load_dwordx2 v[24:25], v[16:17] offset:8
	s_waitcnt vmcnt(0) lgkmcnt(0)
	v_cmp_ne_u16_sdwa s5, v24, v5 src0_sel:BYTE_0 src1_sel:DWORD
	s_and_saveexec_b32 s17, s5
	s_cbranch_execz .LBB292_594
; %bb.587:                              ;   in Loop: Header=BB292_10 Depth=1
	v_cmp_ne_u16_sdwa s5, v24, v48 src0_sel:BYTE_0 src1_sel:DWORD
	v_mov_b32_e32 v74, 0x8000
	s_and_saveexec_b32 s18, s5
	s_cbranch_execz .LBB292_593
; %bb.588:                              ;   in Loop: Header=BB292_10 Depth=1
	v_and_b32_e32 v4, 0x7f, v24
	v_mov_b32_e32 v74, 0x7c01
	s_mov_b32 s19, exec_lo
	v_cmpx_ne_u32_e32 0x7f, v4
	s_cbranch_execz .LBB292_592
; %bb.589:                              ;   in Loop: Header=BB292_10 Depth=1
	v_and_b32_e32 v2, 7, v24
	v_lshrrev_b32_e32 v3, 3, v4
	s_mov_b32 s20, exec_lo
	v_cmpx_gt_u32_e32 8, v4
; %bb.590:                              ;   in Loop: Header=BB292_10 Depth=1
	v_ffbh_u32_e32 v2, v2
	v_min_u32_e32 v4, 32, v2
	v_subrev_nc_u32_e32 v2, 28, v4
	v_lshlrev_b64 v[2:3], v2, v[24:25]
	v_sub_nc_u32_e32 v3, 29, v4
	v_and_b32_e32 v2, 7, v2
; %bb.591:                              ;   in Loop: Header=BB292_10 Depth=1
	s_or_b32 exec_lo, exec_lo, s20
	v_lshlrev_b32_e32 v4, 8, v24
	v_lshl_add_u32 v3, v3, 10, 0x2000
	v_lshlrev_b32_e32 v2, 7, v2
	v_and_b32_e32 v4, 0x8000, v4
	v_and_b32_e32 v3, 0xfc00, v3
	v_or3_b32 v74, v4, v3, v2
.LBB292_592:                            ;   in Loop: Header=BB292_10 Depth=1
	s_or_b32 exec_lo, exec_lo, s19
.LBB292_593:                            ;   in Loop: Header=BB292_10 Depth=1
	s_or_b32 exec_lo, exec_lo, s18
.LBB292_594:                            ;   in Loop: Header=BB292_10 Depth=1
	s_or_b32 exec_lo, exec_lo, s17
	v_lshrrev_b16 v4, 8, v24
	v_mov_b32_e32 v78, 0
	v_mov_b32_e32 v75, 0
	s_mov_b32 s17, exec_lo
	v_cmpx_ne_u16_e32 0, v4
	s_cbranch_execz .LBB292_602
; %bb.595:                              ;   in Loop: Header=BB292_10 Depth=1
	v_bfrev_b32_e32 v75, 1
	s_mov_b32 s18, exec_lo
	v_cmpx_ne_u16_e32 0x80, v4
	s_cbranch_execz .LBB292_601
; %bb.596:                              ;   in Loop: Header=BB292_10 Depth=1
	v_and_b32_sdwa v12, v4, v38 dst_sel:DWORD dst_unused:UNUSED_PAD src0_sel:WORD_0 src1_sel:DWORD
	v_mov_b32_e32 v75, 0x7c010000
	s_mov_b32 s19, exec_lo
	v_cmpx_ne_u32_e32 0x7f, v12
	s_cbranch_execz .LBB292_600
; %bb.597:                              ;   in Loop: Header=BB292_10 Depth=1
	v_and_b32_sdwa v2, v4, v20 dst_sel:DWORD dst_unused:UNUSED_PAD src0_sel:WORD_0 src1_sel:DWORD
	v_lshrrev_b32_e32 v3, 3, v12
	s_mov_b32 s20, exec_lo
	v_cmpx_gt_u32_e32 8, v12
; %bb.598:                              ;   in Loop: Header=BB292_10 Depth=1
	v_ffbh_u32_e32 v2, v2
	v_min_u32_e32 v12, 32, v2
	v_subrev_nc_u32_e32 v2, 28, v12
	v_lshlrev_b64 v[2:3], v2, v[4:5]
	v_sub_nc_u32_e32 v3, 29, v12
	v_and_b32_e32 v2, 7, v2
; %bb.599:                              ;   in Loop: Header=BB292_10 Depth=1
	s_or_b32 exec_lo, exec_lo, s20
	v_lshlrev_b32_sdwa v4, v21, v4 dst_sel:DWORD dst_unused:UNUSED_PAD src0_sel:DWORD src1_sel:WORD_0
	v_lshl_add_u32 v3, v3, 10, 0x2000
	v_lshlrev_b32_e32 v2, 23, v2
	v_and_or_b32 v3, 0x8000, v4, v3
	v_lshl_or_b32 v75, v3, 16, v2
.LBB292_600:                            ;   in Loop: Header=BB292_10 Depth=1
	s_or_b32 exec_lo, exec_lo, s19
.LBB292_601:                            ;   in Loop: Header=BB292_10 Depth=1
	s_or_b32 exec_lo, exec_lo, s18
.LBB292_602:                            ;   in Loop: Header=BB292_10 Depth=1
	s_or_b32 exec_lo, exec_lo, s17
	v_lshrrev_b32_e32 v4, 16, v24
	v_cmp_ne_u16_sdwa s5, v4, v5 src0_sel:BYTE_0 src1_sel:DWORD
	s_and_saveexec_b32 s17, s5
	s_cbranch_execz .LBB292_610
; %bb.603:                              ;   in Loop: Header=BB292_10 Depth=1
	v_cmp_ne_u16_sdwa s5, v4, v48 src0_sel:BYTE_0 src1_sel:DWORD
	v_mov_b32_e32 v78, 0x8000
	s_and_saveexec_b32 s18, s5
	s_cbranch_execz .LBB292_609
; %bb.604:                              ;   in Loop: Header=BB292_10 Depth=1
	v_bfe_u32 v12, v24, 16, 7
	v_mov_b32_e32 v78, 0x7c01
	s_mov_b32 s19, exec_lo
	v_cmpx_ne_u32_e32 0x7f, v12
	s_cbranch_execz .LBB292_608
; %bb.605:                              ;   in Loop: Header=BB292_10 Depth=1
	v_and_b32_e32 v2, 7, v4
	v_lshrrev_b32_e32 v3, 3, v12
	s_mov_b32 s20, exec_lo
	v_cmpx_gt_u32_e32 8, v12
; %bb.606:                              ;   in Loop: Header=BB292_10 Depth=1
	v_ffbh_u32_e32 v2, v2
	v_min_u32_e32 v12, 32, v2
	v_subrev_nc_u32_e32 v2, 28, v12
	v_lshlrev_b64 v[2:3], v2, v[4:5]
	v_sub_nc_u32_e32 v3, 29, v12
	v_and_b32_e32 v2, 7, v2
; %bb.607:                              ;   in Loop: Header=BB292_10 Depth=1
	s_or_b32 exec_lo, exec_lo, s20
	v_lshlrev_b32_e32 v4, 8, v4
	v_lshl_add_u32 v3, v3, 10, 0x2000
	v_lshlrev_b32_e32 v2, 7, v2
	v_and_b32_e32 v4, 0x8000, v4
	v_and_b32_e32 v3, 0xfc00, v3
	v_or3_b32 v78, v4, v3, v2
.LBB292_608:                            ;   in Loop: Header=BB292_10 Depth=1
	s_or_b32 exec_lo, exec_lo, s19
.LBB292_609:                            ;   in Loop: Header=BB292_10 Depth=1
	s_or_b32 exec_lo, exec_lo, s18
.LBB292_610:                            ;   in Loop: Header=BB292_10 Depth=1
	s_or_b32 exec_lo, exec_lo, s17
	v_mov_b32_e32 v79, 0
	v_mov_b32_e32 v88, 0
	s_mov_b32 s17, exec_lo
	v_cmpx_lt_u32_e32 0xffffff, v24
	s_cbranch_execz .LBB292_618
; %bb.611:                              ;   in Loop: Header=BB292_10 Depth=1
	v_lshrrev_b32_e32 v4, 24, v24
	v_bfrev_b32_e32 v88, 1
	s_mov_b32 s18, exec_lo
	v_cmpx_ne_u32_e32 0x80, v4
	s_cbranch_execz .LBB292_617
; %bb.612:                              ;   in Loop: Header=BB292_10 Depth=1
	v_and_b32_e32 v12, 0x7f, v4
	v_mov_b32_e32 v88, 0x7c010000
	s_mov_b32 s19, exec_lo
	v_cmpx_ne_u32_e32 0x7f, v12
	s_cbranch_execz .LBB292_616
; %bb.613:                              ;   in Loop: Header=BB292_10 Depth=1
	v_and_b32_e32 v2, 7, v4
	v_lshrrev_b32_e32 v3, 3, v12
	s_mov_b32 s20, exec_lo
	v_cmpx_gt_u32_e32 8, v12
; %bb.614:                              ;   in Loop: Header=BB292_10 Depth=1
	v_ffbh_u32_e32 v2, v2
	v_min_u32_e32 v12, 32, v2
	v_subrev_nc_u32_e32 v2, 28, v12
	v_lshlrev_b64 v[2:3], v2, v[4:5]
	v_sub_nc_u32_e32 v3, 29, v12
	v_and_b32_e32 v2, 7, v2
; %bb.615:                              ;   in Loop: Header=BB292_10 Depth=1
	s_or_b32 exec_lo, exec_lo, s20
	v_lshlrev_b32_e32 v4, 8, v4
	v_lshl_add_u32 v3, v3, 10, 0x2000
	v_lshlrev_b32_e32 v2, 23, v2
	v_and_or_b32 v3, 0x8000, v4, v3
	v_lshl_or_b32 v88, v3, 16, v2
.LBB292_616:                            ;   in Loop: Header=BB292_10 Depth=1
	s_or_b32 exec_lo, exec_lo, s19
.LBB292_617:                            ;   in Loop: Header=BB292_10 Depth=1
	s_or_b32 exec_lo, exec_lo, s18
.LBB292_618:                            ;   in Loop: Header=BB292_10 Depth=1
	s_or_b32 exec_lo, exec_lo, s17
	v_mov_b32_e32 v4, v25
	v_cmp_ne_u16_sdwa s5, v25, v5 src0_sel:BYTE_0 src1_sel:DWORD
	s_and_saveexec_b32 s17, s5
	s_cbranch_execz .LBB292_626
; %bb.619:                              ;   in Loop: Header=BB292_10 Depth=1
	v_cmp_ne_u16_sdwa s5, v25, v48 src0_sel:BYTE_0 src1_sel:DWORD
	v_mov_b32_e32 v79, 0x8000
	s_and_saveexec_b32 s18, s5
	s_cbranch_execz .LBB292_625
; %bb.620:                              ;   in Loop: Header=BB292_10 Depth=1
	v_and_b32_e32 v12, 0x7f, v25
	v_mov_b32_e32 v79, 0x7c01
	s_mov_b32 s19, exec_lo
	v_cmpx_ne_u32_e32 0x7f, v12
	s_cbranch_execz .LBB292_624
; %bb.621:                              ;   in Loop: Header=BB292_10 Depth=1
	v_and_b32_e32 v2, 7, v25
	v_lshrrev_b32_e32 v3, 3, v12
	s_mov_b32 s20, exec_lo
	v_cmpx_gt_u32_e32 8, v12
; %bb.622:                              ;   in Loop: Header=BB292_10 Depth=1
	v_ffbh_u32_e32 v2, v2
	v_min_u32_e32 v12, 32, v2
	v_subrev_nc_u32_e32 v2, 28, v12
	v_lshlrev_b64 v[2:3], v2, v[4:5]
	v_sub_nc_u32_e32 v3, 29, v12
	v_and_b32_e32 v2, 7, v2
; %bb.623:                              ;   in Loop: Header=BB292_10 Depth=1
	s_or_b32 exec_lo, exec_lo, s20
	v_lshlrev_b32_e32 v12, 8, v25
	v_lshl_add_u32 v3, v3, 10, 0x2000
	v_lshlrev_b32_e32 v2, 7, v2
	v_and_b32_e32 v12, 0x8000, v12
	v_and_b32_e32 v3, 0xfc00, v3
	v_or3_b32 v79, v12, v3, v2
.LBB292_624:                            ;   in Loop: Header=BB292_10 Depth=1
	s_or_b32 exec_lo, exec_lo, s19
.LBB292_625:                            ;   in Loop: Header=BB292_10 Depth=1
	s_or_b32 exec_lo, exec_lo, s18
.LBB292_626:                            ;   in Loop: Header=BB292_10 Depth=1
	s_or_b32 exec_lo, exec_lo, s17
	v_lshrrev_b16 v4, 8, v4
	v_mov_b32_e32 v107, 0
	v_mov_b32_e32 v110, 0
	s_mov_b32 s17, exec_lo
	v_cmpx_ne_u16_e32 0, v4
	s_cbranch_execz .LBB292_634
; %bb.627:                              ;   in Loop: Header=BB292_10 Depth=1
	v_bfrev_b32_e32 v110, 1
	s_mov_b32 s18, exec_lo
	v_cmpx_ne_u16_e32 0x80, v4
	s_cbranch_execz .LBB292_633
; %bb.628:                              ;   in Loop: Header=BB292_10 Depth=1
	v_and_b32_sdwa v12, v4, v38 dst_sel:DWORD dst_unused:UNUSED_PAD src0_sel:WORD_0 src1_sel:DWORD
	v_mov_b32_e32 v110, 0x7c010000
	s_mov_b32 s19, exec_lo
	v_cmpx_ne_u32_e32 0x7f, v12
	s_cbranch_execz .LBB292_632
; %bb.629:                              ;   in Loop: Header=BB292_10 Depth=1
	v_and_b32_sdwa v2, v4, v20 dst_sel:DWORD dst_unused:UNUSED_PAD src0_sel:WORD_0 src1_sel:DWORD
	v_lshrrev_b32_e32 v3, 3, v12
	s_mov_b32 s20, exec_lo
	v_cmpx_gt_u32_e32 8, v12
; %bb.630:                              ;   in Loop: Header=BB292_10 Depth=1
	v_ffbh_u32_e32 v2, v2
	v_min_u32_e32 v12, 32, v2
	v_subrev_nc_u32_e32 v2, 28, v12
	v_lshlrev_b64 v[2:3], v2, v[4:5]
	v_sub_nc_u32_e32 v3, 29, v12
	v_and_b32_e32 v2, 7, v2
; %bb.631:                              ;   in Loop: Header=BB292_10 Depth=1
	s_or_b32 exec_lo, exec_lo, s20
	v_lshlrev_b32_sdwa v4, v21, v4 dst_sel:DWORD dst_unused:UNUSED_PAD src0_sel:DWORD src1_sel:WORD_0
	v_lshl_add_u32 v3, v3, 10, 0x2000
	v_lshlrev_b32_e32 v2, 23, v2
	v_and_or_b32 v3, 0x8000, v4, v3
	v_lshl_or_b32 v110, v3, 16, v2
.LBB292_632:                            ;   in Loop: Header=BB292_10 Depth=1
	s_or_b32 exec_lo, exec_lo, s19
.LBB292_633:                            ;   in Loop: Header=BB292_10 Depth=1
	s_or_b32 exec_lo, exec_lo, s18
.LBB292_634:                            ;   in Loop: Header=BB292_10 Depth=1
	s_or_b32 exec_lo, exec_lo, s17
	v_lshrrev_b32_e32 v4, 16, v25
	v_cmp_ne_u16_sdwa s5, v4, v5 src0_sel:BYTE_0 src1_sel:DWORD
	s_and_saveexec_b32 s17, s5
	s_cbranch_execz .LBB292_642
; %bb.635:                              ;   in Loop: Header=BB292_10 Depth=1
	v_cmp_ne_u16_sdwa s5, v4, v48 src0_sel:BYTE_0 src1_sel:DWORD
	v_mov_b32_e32 v107, 0x8000
	s_and_saveexec_b32 s18, s5
	s_cbranch_execz .LBB292_641
; %bb.636:                              ;   in Loop: Header=BB292_10 Depth=1
	v_bfe_u32 v12, v25, 16, 7
	v_mov_b32_e32 v107, 0x7c01
	s_mov_b32 s19, exec_lo
	v_cmpx_ne_u32_e32 0x7f, v12
	s_cbranch_execz .LBB292_640
; %bb.637:                              ;   in Loop: Header=BB292_10 Depth=1
	v_and_b32_e32 v2, 7, v4
	v_lshrrev_b32_e32 v3, 3, v12
	s_mov_b32 s20, exec_lo
	v_cmpx_gt_u32_e32 8, v12
; %bb.638:                              ;   in Loop: Header=BB292_10 Depth=1
	v_ffbh_u32_e32 v2, v2
	v_min_u32_e32 v12, 32, v2
	v_subrev_nc_u32_e32 v2, 28, v12
	v_lshlrev_b64 v[2:3], v2, v[4:5]
	v_sub_nc_u32_e32 v3, 29, v12
	v_and_b32_e32 v2, 7, v2
; %bb.639:                              ;   in Loop: Header=BB292_10 Depth=1
	s_or_b32 exec_lo, exec_lo, s20
	v_lshlrev_b32_e32 v4, 8, v4
	v_lshl_add_u32 v3, v3, 10, 0x2000
	v_lshlrev_b32_e32 v2, 7, v2
	v_and_b32_e32 v4, 0x8000, v4
	v_and_b32_e32 v3, 0xfc00, v3
	v_or3_b32 v107, v4, v3, v2
.LBB292_640:                            ;   in Loop: Header=BB292_10 Depth=1
	s_or_b32 exec_lo, exec_lo, s19
.LBB292_641:                            ;   in Loop: Header=BB292_10 Depth=1
	s_or_b32 exec_lo, exec_lo, s18
.LBB292_642:                            ;   in Loop: Header=BB292_10 Depth=1
	s_or_b32 exec_lo, exec_lo, s17
	v_mov_b32_e32 v44, 0
	v_mov_b32_e32 v111, 0
	s_mov_b32 s17, exec_lo
	v_cmpx_lt_u64_e64 s[6:7], v[24:25]
	s_cbranch_execz .LBB292_650
; %bb.643:                              ;   in Loop: Header=BB292_10 Depth=1
	v_lshrrev_b32_e32 v4, 24, v25
	v_bfrev_b32_e32 v111, 1
	s_mov_b32 s18, exec_lo
	v_cmpx_ne_u32_e32 0x80, v4
	s_cbranch_execz .LBB292_649
; %bb.644:                              ;   in Loop: Header=BB292_10 Depth=1
	v_and_b32_e32 v12, 0x7f, v4
	v_mov_b32_e32 v111, 0x7c010000
	s_mov_b32 s19, exec_lo
	v_cmpx_ne_u32_e32 0x7f, v12
	s_cbranch_execz .LBB292_648
; %bb.645:                              ;   in Loop: Header=BB292_10 Depth=1
	v_and_b32_e32 v2, 7, v4
	v_lshrrev_b32_e32 v3, 3, v12
	s_mov_b32 s20, exec_lo
	v_cmpx_gt_u32_e32 8, v12
; %bb.646:                              ;   in Loop: Header=BB292_10 Depth=1
	v_ffbh_u32_e32 v2, v2
	v_min_u32_e32 v12, 32, v2
	v_subrev_nc_u32_e32 v2, 28, v12
	v_lshlrev_b64 v[2:3], v2, v[4:5]
	v_sub_nc_u32_e32 v3, 29, v12
	v_and_b32_e32 v2, 7, v2
; %bb.647:                              ;   in Loop: Header=BB292_10 Depth=1
	s_or_b32 exec_lo, exec_lo, s20
	v_lshlrev_b32_e32 v4, 8, v4
	v_lshl_add_u32 v3, v3, 10, 0x2000
	v_lshlrev_b32_e32 v2, 23, v2
	v_and_or_b32 v3, 0x8000, v4, v3
	v_lshl_or_b32 v111, v3, 16, v2
.LBB292_648:                            ;   in Loop: Header=BB292_10 Depth=1
	s_or_b32 exec_lo, exec_lo, s19
.LBB292_649:                            ;   in Loop: Header=BB292_10 Depth=1
	s_or_b32 exec_lo, exec_lo, s18
.LBB292_650:                            ;   in Loop: Header=BB292_10 Depth=1
	s_or_b32 exec_lo, exec_lo, s17
	flat_load_dwordx2 v[24:25], v[16:17] offset:512
	s_waitcnt vmcnt(0) lgkmcnt(0)
	v_cmp_ne_u16_sdwa s5, v24, v5 src0_sel:BYTE_0 src1_sel:DWORD
	s_and_saveexec_b32 s17, s5
	s_cbranch_execz .LBB292_658
; %bb.651:                              ;   in Loop: Header=BB292_10 Depth=1
	v_cmp_ne_u16_sdwa s5, v24, v48 src0_sel:BYTE_0 src1_sel:DWORD
	v_mov_b32_e32 v44, 0x8000
	s_and_saveexec_b32 s18, s5
	s_cbranch_execz .LBB292_657
; %bb.652:                              ;   in Loop: Header=BB292_10 Depth=1
	v_and_b32_e32 v4, 0x7f, v24
	v_mov_b32_e32 v44, 0x7c01
	s_mov_b32 s19, exec_lo
	v_cmpx_ne_u32_e32 0x7f, v4
	s_cbranch_execz .LBB292_656
; %bb.653:                              ;   in Loop: Header=BB292_10 Depth=1
	v_and_b32_e32 v2, 7, v24
	v_lshrrev_b32_e32 v3, 3, v4
	s_mov_b32 s20, exec_lo
	v_cmpx_gt_u32_e32 8, v4
; %bb.654:                              ;   in Loop: Header=BB292_10 Depth=1
	v_ffbh_u32_e32 v2, v2
	v_min_u32_e32 v4, 32, v2
	v_subrev_nc_u32_e32 v2, 28, v4
	v_lshlrev_b64 v[2:3], v2, v[24:25]
	v_sub_nc_u32_e32 v3, 29, v4
	v_and_b32_e32 v2, 7, v2
; %bb.655:                              ;   in Loop: Header=BB292_10 Depth=1
	s_or_b32 exec_lo, exec_lo, s20
	v_lshlrev_b32_e32 v4, 8, v24
	v_lshl_add_u32 v3, v3, 10, 0x2000
	v_lshlrev_b32_e32 v2, 7, v2
	v_and_b32_e32 v4, 0x8000, v4
	v_and_b32_e32 v3, 0xfc00, v3
	v_or3_b32 v44, v4, v3, v2
.LBB292_656:                            ;   in Loop: Header=BB292_10 Depth=1
	s_or_b32 exec_lo, exec_lo, s19
.LBB292_657:                            ;   in Loop: Header=BB292_10 Depth=1
	s_or_b32 exec_lo, exec_lo, s18
.LBB292_658:                            ;   in Loop: Header=BB292_10 Depth=1
	s_or_b32 exec_lo, exec_lo, s17
	v_lshrrev_b16 v4, 8, v24
	v_mov_b32_e32 v58, 0
	v_mov_b32_e32 v45, 0
	s_mov_b32 s17, exec_lo
	v_cmpx_ne_u16_e32 0, v4
	s_cbranch_execz .LBB292_666
; %bb.659:                              ;   in Loop: Header=BB292_10 Depth=1
	v_bfrev_b32_e32 v45, 1
	s_mov_b32 s18, exec_lo
	v_cmpx_ne_u16_e32 0x80, v4
	s_cbranch_execz .LBB292_665
; %bb.660:                              ;   in Loop: Header=BB292_10 Depth=1
	v_and_b32_sdwa v12, v4, v38 dst_sel:DWORD dst_unused:UNUSED_PAD src0_sel:WORD_0 src1_sel:DWORD
	v_mov_b32_e32 v45, 0x7c010000
	s_mov_b32 s19, exec_lo
	v_cmpx_ne_u32_e32 0x7f, v12
	s_cbranch_execz .LBB292_664
; %bb.661:                              ;   in Loop: Header=BB292_10 Depth=1
	v_and_b32_sdwa v2, v4, v20 dst_sel:DWORD dst_unused:UNUSED_PAD src0_sel:WORD_0 src1_sel:DWORD
	v_lshrrev_b32_e32 v3, 3, v12
	s_mov_b32 s20, exec_lo
	v_cmpx_gt_u32_e32 8, v12
; %bb.662:                              ;   in Loop: Header=BB292_10 Depth=1
	v_ffbh_u32_e32 v2, v2
	v_min_u32_e32 v12, 32, v2
	v_subrev_nc_u32_e32 v2, 28, v12
	v_lshlrev_b64 v[2:3], v2, v[4:5]
	v_sub_nc_u32_e32 v3, 29, v12
	v_and_b32_e32 v2, 7, v2
; %bb.663:                              ;   in Loop: Header=BB292_10 Depth=1
	s_or_b32 exec_lo, exec_lo, s20
	v_lshlrev_b32_sdwa v4, v21, v4 dst_sel:DWORD dst_unused:UNUSED_PAD src0_sel:DWORD src1_sel:WORD_0
	v_lshl_add_u32 v3, v3, 10, 0x2000
	v_lshlrev_b32_e32 v2, 23, v2
	v_and_or_b32 v3, 0x8000, v4, v3
	v_lshl_or_b32 v45, v3, 16, v2
.LBB292_664:                            ;   in Loop: Header=BB292_10 Depth=1
	s_or_b32 exec_lo, exec_lo, s19
.LBB292_665:                            ;   in Loop: Header=BB292_10 Depth=1
	s_or_b32 exec_lo, exec_lo, s18
.LBB292_666:                            ;   in Loop: Header=BB292_10 Depth=1
	s_or_b32 exec_lo, exec_lo, s17
	v_lshrrev_b32_e32 v4, 16, v24
	v_cmp_ne_u16_sdwa s5, v4, v5 src0_sel:BYTE_0 src1_sel:DWORD
	s_and_saveexec_b32 s17, s5
	s_cbranch_execz .LBB292_674
; %bb.667:                              ;   in Loop: Header=BB292_10 Depth=1
	v_cmp_ne_u16_sdwa s5, v4, v48 src0_sel:BYTE_0 src1_sel:DWORD
	v_mov_b32_e32 v58, 0x8000
	s_and_saveexec_b32 s18, s5
	s_cbranch_execz .LBB292_673
; %bb.668:                              ;   in Loop: Header=BB292_10 Depth=1
	v_bfe_u32 v12, v24, 16, 7
	v_mov_b32_e32 v58, 0x7c01
	s_mov_b32 s19, exec_lo
	v_cmpx_ne_u32_e32 0x7f, v12
	s_cbranch_execz .LBB292_672
; %bb.669:                              ;   in Loop: Header=BB292_10 Depth=1
	v_and_b32_e32 v2, 7, v4
	v_lshrrev_b32_e32 v3, 3, v12
	s_mov_b32 s20, exec_lo
	v_cmpx_gt_u32_e32 8, v12
; %bb.670:                              ;   in Loop: Header=BB292_10 Depth=1
	v_ffbh_u32_e32 v2, v2
	v_min_u32_e32 v12, 32, v2
	v_subrev_nc_u32_e32 v2, 28, v12
	v_lshlrev_b64 v[2:3], v2, v[4:5]
	v_sub_nc_u32_e32 v3, 29, v12
	v_and_b32_e32 v2, 7, v2
; %bb.671:                              ;   in Loop: Header=BB292_10 Depth=1
	s_or_b32 exec_lo, exec_lo, s20
	v_lshlrev_b32_e32 v4, 8, v4
	v_lshl_add_u32 v3, v3, 10, 0x2000
	v_lshlrev_b32_e32 v2, 7, v2
	v_and_b32_e32 v4, 0x8000, v4
	v_and_b32_e32 v3, 0xfc00, v3
	v_or3_b32 v58, v4, v3, v2
.LBB292_672:                            ;   in Loop: Header=BB292_10 Depth=1
	s_or_b32 exec_lo, exec_lo, s19
.LBB292_673:                            ;   in Loop: Header=BB292_10 Depth=1
	s_or_b32 exec_lo, exec_lo, s18
.LBB292_674:                            ;   in Loop: Header=BB292_10 Depth=1
	s_or_b32 exec_lo, exec_lo, s17
	v_mov_b32_e32 v59, 0
	v_mov_b32_e32 v60, 0
	s_mov_b32 s17, exec_lo
	v_cmpx_lt_u32_e32 0xffffff, v24
	s_cbranch_execz .LBB292_682
; %bb.675:                              ;   in Loop: Header=BB292_10 Depth=1
	v_lshrrev_b32_e32 v4, 24, v24
	v_bfrev_b32_e32 v60, 1
	s_mov_b32 s18, exec_lo
	v_cmpx_ne_u32_e32 0x80, v4
	s_cbranch_execz .LBB292_681
; %bb.676:                              ;   in Loop: Header=BB292_10 Depth=1
	v_and_b32_e32 v12, 0x7f, v4
	v_mov_b32_e32 v60, 0x7c010000
	s_mov_b32 s19, exec_lo
	v_cmpx_ne_u32_e32 0x7f, v12
	s_cbranch_execz .LBB292_680
; %bb.677:                              ;   in Loop: Header=BB292_10 Depth=1
	v_and_b32_e32 v2, 7, v4
	v_lshrrev_b32_e32 v3, 3, v12
	s_mov_b32 s20, exec_lo
	v_cmpx_gt_u32_e32 8, v12
; %bb.678:                              ;   in Loop: Header=BB292_10 Depth=1
	v_ffbh_u32_e32 v2, v2
	v_min_u32_e32 v12, 32, v2
	v_subrev_nc_u32_e32 v2, 28, v12
	v_lshlrev_b64 v[2:3], v2, v[4:5]
	v_sub_nc_u32_e32 v3, 29, v12
	v_and_b32_e32 v2, 7, v2
; %bb.679:                              ;   in Loop: Header=BB292_10 Depth=1
	s_or_b32 exec_lo, exec_lo, s20
	v_lshlrev_b32_e32 v4, 8, v4
	v_lshl_add_u32 v3, v3, 10, 0x2000
	v_lshlrev_b32_e32 v2, 23, v2
	v_and_or_b32 v3, 0x8000, v4, v3
	v_lshl_or_b32 v60, v3, 16, v2
.LBB292_680:                            ;   in Loop: Header=BB292_10 Depth=1
	s_or_b32 exec_lo, exec_lo, s19
.LBB292_681:                            ;   in Loop: Header=BB292_10 Depth=1
	s_or_b32 exec_lo, exec_lo, s18
.LBB292_682:                            ;   in Loop: Header=BB292_10 Depth=1
	s_or_b32 exec_lo, exec_lo, s17
	v_mov_b32_e32 v4, v25
	v_cmp_ne_u16_sdwa s5, v25, v5 src0_sel:BYTE_0 src1_sel:DWORD
	s_and_saveexec_b32 s17, s5
	s_cbranch_execz .LBB292_690
; %bb.683:                              ;   in Loop: Header=BB292_10 Depth=1
	v_cmp_ne_u16_sdwa s5, v25, v48 src0_sel:BYTE_0 src1_sel:DWORD
	v_mov_b32_e32 v59, 0x8000
	s_and_saveexec_b32 s18, s5
	s_cbranch_execz .LBB292_689
; %bb.684:                              ;   in Loop: Header=BB292_10 Depth=1
	v_and_b32_e32 v12, 0x7f, v25
	v_mov_b32_e32 v59, 0x7c01
	s_mov_b32 s19, exec_lo
	v_cmpx_ne_u32_e32 0x7f, v12
	s_cbranch_execz .LBB292_688
; %bb.685:                              ;   in Loop: Header=BB292_10 Depth=1
	v_and_b32_e32 v2, 7, v25
	v_lshrrev_b32_e32 v3, 3, v12
	s_mov_b32 s20, exec_lo
	v_cmpx_gt_u32_e32 8, v12
; %bb.686:                              ;   in Loop: Header=BB292_10 Depth=1
	v_ffbh_u32_e32 v2, v2
	v_min_u32_e32 v12, 32, v2
	v_subrev_nc_u32_e32 v2, 28, v12
	v_lshlrev_b64 v[2:3], v2, v[4:5]
	v_sub_nc_u32_e32 v3, 29, v12
	v_and_b32_e32 v2, 7, v2
; %bb.687:                              ;   in Loop: Header=BB292_10 Depth=1
	s_or_b32 exec_lo, exec_lo, s20
	v_lshlrev_b32_e32 v12, 8, v25
	v_lshl_add_u32 v3, v3, 10, 0x2000
	v_lshlrev_b32_e32 v2, 7, v2
	v_and_b32_e32 v12, 0x8000, v12
	v_and_b32_e32 v3, 0xfc00, v3
	v_or3_b32 v59, v12, v3, v2
.LBB292_688:                            ;   in Loop: Header=BB292_10 Depth=1
	s_or_b32 exec_lo, exec_lo, s19
.LBB292_689:                            ;   in Loop: Header=BB292_10 Depth=1
	s_or_b32 exec_lo, exec_lo, s18
.LBB292_690:                            ;   in Loop: Header=BB292_10 Depth=1
	s_or_b32 exec_lo, exec_lo, s17
	v_lshrrev_b16 v4, 8, v4
	v_mov_b32_e32 v89, 0
	v_mov_b32_e32 v92, 0
	s_mov_b32 s17, exec_lo
	v_cmpx_ne_u16_e32 0, v4
	s_cbranch_execz .LBB292_698
; %bb.691:                              ;   in Loop: Header=BB292_10 Depth=1
	v_bfrev_b32_e32 v92, 1
	s_mov_b32 s18, exec_lo
	v_cmpx_ne_u16_e32 0x80, v4
	s_cbranch_execz .LBB292_697
; %bb.692:                              ;   in Loop: Header=BB292_10 Depth=1
	v_and_b32_sdwa v12, v4, v38 dst_sel:DWORD dst_unused:UNUSED_PAD src0_sel:WORD_0 src1_sel:DWORD
	v_mov_b32_e32 v92, 0x7c010000
	s_mov_b32 s19, exec_lo
	v_cmpx_ne_u32_e32 0x7f, v12
	s_cbranch_execz .LBB292_696
; %bb.693:                              ;   in Loop: Header=BB292_10 Depth=1
	v_and_b32_sdwa v2, v4, v20 dst_sel:DWORD dst_unused:UNUSED_PAD src0_sel:WORD_0 src1_sel:DWORD
	v_lshrrev_b32_e32 v3, 3, v12
	s_mov_b32 s20, exec_lo
	v_cmpx_gt_u32_e32 8, v12
; %bb.694:                              ;   in Loop: Header=BB292_10 Depth=1
	v_ffbh_u32_e32 v2, v2
	v_min_u32_e32 v12, 32, v2
	v_subrev_nc_u32_e32 v2, 28, v12
	v_lshlrev_b64 v[2:3], v2, v[4:5]
	v_sub_nc_u32_e32 v3, 29, v12
	v_and_b32_e32 v2, 7, v2
; %bb.695:                              ;   in Loop: Header=BB292_10 Depth=1
	s_or_b32 exec_lo, exec_lo, s20
	v_lshlrev_b32_sdwa v4, v21, v4 dst_sel:DWORD dst_unused:UNUSED_PAD src0_sel:DWORD src1_sel:WORD_0
	v_lshl_add_u32 v3, v3, 10, 0x2000
	v_lshlrev_b32_e32 v2, 23, v2
	v_and_or_b32 v3, 0x8000, v4, v3
	v_lshl_or_b32 v92, v3, 16, v2
.LBB292_696:                            ;   in Loop: Header=BB292_10 Depth=1
	s_or_b32 exec_lo, exec_lo, s19
.LBB292_697:                            ;   in Loop: Header=BB292_10 Depth=1
	s_or_b32 exec_lo, exec_lo, s18
.LBB292_698:                            ;   in Loop: Header=BB292_10 Depth=1
	s_or_b32 exec_lo, exec_lo, s17
	v_lshrrev_b32_e32 v4, 16, v25
	v_cmp_ne_u16_sdwa s5, v4, v5 src0_sel:BYTE_0 src1_sel:DWORD
	s_and_saveexec_b32 s17, s5
	s_cbranch_execz .LBB292_706
; %bb.699:                              ;   in Loop: Header=BB292_10 Depth=1
	v_cmp_ne_u16_sdwa s5, v4, v48 src0_sel:BYTE_0 src1_sel:DWORD
	v_mov_b32_e32 v89, 0x8000
	s_and_saveexec_b32 s18, s5
	s_cbranch_execz .LBB292_705
; %bb.700:                              ;   in Loop: Header=BB292_10 Depth=1
	v_bfe_u32 v12, v25, 16, 7
	v_mov_b32_e32 v89, 0x7c01
	s_mov_b32 s19, exec_lo
	v_cmpx_ne_u32_e32 0x7f, v12
	s_cbranch_execz .LBB292_704
; %bb.701:                              ;   in Loop: Header=BB292_10 Depth=1
	v_and_b32_e32 v2, 7, v4
	v_lshrrev_b32_e32 v3, 3, v12
	s_mov_b32 s20, exec_lo
	v_cmpx_gt_u32_e32 8, v12
; %bb.702:                              ;   in Loop: Header=BB292_10 Depth=1
	v_ffbh_u32_e32 v2, v2
	v_min_u32_e32 v12, 32, v2
	v_subrev_nc_u32_e32 v2, 28, v12
	v_lshlrev_b64 v[2:3], v2, v[4:5]
	v_sub_nc_u32_e32 v3, 29, v12
	v_and_b32_e32 v2, 7, v2
; %bb.703:                              ;   in Loop: Header=BB292_10 Depth=1
	s_or_b32 exec_lo, exec_lo, s20
	v_lshlrev_b32_e32 v4, 8, v4
	v_lshl_add_u32 v3, v3, 10, 0x2000
	v_lshlrev_b32_e32 v2, 7, v2
	v_and_b32_e32 v4, 0x8000, v4
	v_and_b32_e32 v3, 0xfc00, v3
	v_or3_b32 v89, v4, v3, v2
.LBB292_704:                            ;   in Loop: Header=BB292_10 Depth=1
	s_or_b32 exec_lo, exec_lo, s19
.LBB292_705:                            ;   in Loop: Header=BB292_10 Depth=1
	s_or_b32 exec_lo, exec_lo, s18
.LBB292_706:                            ;   in Loop: Header=BB292_10 Depth=1
	s_or_b32 exec_lo, exec_lo, s17
	v_cmp_lt_u64_e64 s5, s[6:7], v[24:25]
	v_mov_b32_e32 v24, 0
	v_mov_b32_e32 v93, 0
	s_and_saveexec_b32 s17, s5
	s_cbranch_execz .LBB292_714
; %bb.707:                              ;   in Loop: Header=BB292_10 Depth=1
	v_lshrrev_b32_e32 v4, 24, v25
	v_bfrev_b32_e32 v93, 1
	s_mov_b32 s18, exec_lo
	v_cmpx_ne_u32_e32 0x80, v4
	s_cbranch_execz .LBB292_713
; %bb.708:                              ;   in Loop: Header=BB292_10 Depth=1
	v_and_b32_e32 v12, 0x7f, v4
	v_mov_b32_e32 v93, 0x7c010000
	s_mov_b32 s19, exec_lo
	v_cmpx_ne_u32_e32 0x7f, v12
	s_cbranch_execz .LBB292_712
; %bb.709:                              ;   in Loop: Header=BB292_10 Depth=1
	v_and_b32_e32 v2, 7, v4
	v_lshrrev_b32_e32 v3, 3, v12
	s_mov_b32 s20, exec_lo
	v_cmpx_gt_u32_e32 8, v12
; %bb.710:                              ;   in Loop: Header=BB292_10 Depth=1
	v_ffbh_u32_e32 v2, v2
	v_min_u32_e32 v12, 32, v2
	v_subrev_nc_u32_e32 v2, 28, v12
	v_lshlrev_b64 v[2:3], v2, v[4:5]
	v_sub_nc_u32_e32 v3, 29, v12
	v_and_b32_e32 v2, 7, v2
; %bb.711:                              ;   in Loop: Header=BB292_10 Depth=1
	s_or_b32 exec_lo, exec_lo, s20
	v_lshlrev_b32_e32 v4, 8, v4
	v_lshl_add_u32 v3, v3, 10, 0x2000
	v_lshlrev_b32_e32 v2, 23, v2
	v_and_or_b32 v3, 0x8000, v4, v3
	v_lshl_or_b32 v93, v3, 16, v2
.LBB292_712:                            ;   in Loop: Header=BB292_10 Depth=1
	s_or_b32 exec_lo, exec_lo, s19
.LBB292_713:                            ;   in Loop: Header=BB292_10 Depth=1
	s_or_b32 exec_lo, exec_lo, s18
.LBB292_714:                            ;   in Loop: Header=BB292_10 Depth=1
	s_or_b32 exec_lo, exec_lo, s17
	flat_load_dwordx2 v[16:17], v[16:17] offset:520
	s_waitcnt vmcnt(0) lgkmcnt(0)
	v_cmp_ne_u16_sdwa s5, v16, v5 src0_sel:BYTE_0 src1_sel:DWORD
	s_and_saveexec_b32 s17, s5
	s_cbranch_execz .LBB292_722
; %bb.715:                              ;   in Loop: Header=BB292_10 Depth=1
	v_cmp_ne_u16_sdwa s5, v16, v48 src0_sel:BYTE_0 src1_sel:DWORD
	v_mov_b32_e32 v24, 0x8000
	s_and_saveexec_b32 s18, s5
	s_cbranch_execz .LBB292_721
; %bb.716:                              ;   in Loop: Header=BB292_10 Depth=1
	v_and_b32_e32 v4, 0x7f, v16
	v_mov_b32_e32 v24, 0x7c01
	s_mov_b32 s19, exec_lo
	v_cmpx_ne_u32_e32 0x7f, v4
	s_cbranch_execz .LBB292_720
; %bb.717:                              ;   in Loop: Header=BB292_10 Depth=1
	v_and_b32_e32 v2, 7, v16
	v_lshrrev_b32_e32 v3, 3, v4
	s_mov_b32 s20, exec_lo
	v_cmpx_gt_u32_e32 8, v4
; %bb.718:                              ;   in Loop: Header=BB292_10 Depth=1
	v_ffbh_u32_e32 v2, v2
	v_min_u32_e32 v4, 32, v2
	v_subrev_nc_u32_e32 v2, 28, v4
	v_lshlrev_b64 v[2:3], v2, v[16:17]
	v_sub_nc_u32_e32 v3, 29, v4
	v_and_b32_e32 v2, 7, v2
; %bb.719:                              ;   in Loop: Header=BB292_10 Depth=1
	s_or_b32 exec_lo, exec_lo, s20
	v_lshlrev_b32_e32 v4, 8, v16
	v_lshl_add_u32 v3, v3, 10, 0x2000
	v_lshlrev_b32_e32 v2, 7, v2
	v_and_b32_e32 v4, 0x8000, v4
	v_and_b32_e32 v3, 0xfc00, v3
	v_or3_b32 v24, v4, v3, v2
.LBB292_720:                            ;   in Loop: Header=BB292_10 Depth=1
	s_or_b32 exec_lo, exec_lo, s19
.LBB292_721:                            ;   in Loop: Header=BB292_10 Depth=1
	s_or_b32 exec_lo, exec_lo, s18
.LBB292_722:                            ;   in Loop: Header=BB292_10 Depth=1
	s_or_b32 exec_lo, exec_lo, s17
	v_lshrrev_b16 v4, 8, v16
	v_mov_b32_e32 v31, 0
	v_mov_b32_e32 v25, 0
	s_mov_b32 s17, exec_lo
	v_cmpx_ne_u16_e32 0, v4
	s_cbranch_execz .LBB292_730
; %bb.723:                              ;   in Loop: Header=BB292_10 Depth=1
	v_bfrev_b32_e32 v25, 1
	s_mov_b32 s18, exec_lo
	v_cmpx_ne_u16_e32 0x80, v4
	s_cbranch_execz .LBB292_729
; %bb.724:                              ;   in Loop: Header=BB292_10 Depth=1
	v_and_b32_sdwa v12, v4, v38 dst_sel:DWORD dst_unused:UNUSED_PAD src0_sel:WORD_0 src1_sel:DWORD
	v_mov_b32_e32 v25, 0x7c010000
	s_mov_b32 s19, exec_lo
	v_cmpx_ne_u32_e32 0x7f, v12
	s_cbranch_execz .LBB292_728
; %bb.725:                              ;   in Loop: Header=BB292_10 Depth=1
	v_and_b32_sdwa v2, v4, v20 dst_sel:DWORD dst_unused:UNUSED_PAD src0_sel:WORD_0 src1_sel:DWORD
	v_lshrrev_b32_e32 v3, 3, v12
	s_mov_b32 s20, exec_lo
	v_cmpx_gt_u32_e32 8, v12
; %bb.726:                              ;   in Loop: Header=BB292_10 Depth=1
	v_ffbh_u32_e32 v2, v2
	v_min_u32_e32 v12, 32, v2
	v_subrev_nc_u32_e32 v2, 28, v12
	v_lshlrev_b64 v[2:3], v2, v[4:5]
	v_sub_nc_u32_e32 v3, 29, v12
	v_and_b32_e32 v2, 7, v2
; %bb.727:                              ;   in Loop: Header=BB292_10 Depth=1
	s_or_b32 exec_lo, exec_lo, s20
	v_lshlrev_b32_sdwa v4, v21, v4 dst_sel:DWORD dst_unused:UNUSED_PAD src0_sel:DWORD src1_sel:WORD_0
	v_lshl_add_u32 v3, v3, 10, 0x2000
	v_lshlrev_b32_e32 v2, 23, v2
	v_and_or_b32 v3, 0x8000, v4, v3
	v_lshl_or_b32 v25, v3, 16, v2
.LBB292_728:                            ;   in Loop: Header=BB292_10 Depth=1
	s_or_b32 exec_lo, exec_lo, s19
.LBB292_729:                            ;   in Loop: Header=BB292_10 Depth=1
	s_or_b32 exec_lo, exec_lo, s18
.LBB292_730:                            ;   in Loop: Header=BB292_10 Depth=1
	s_or_b32 exec_lo, exec_lo, s17
	v_lshrrev_b32_e32 v4, 16, v16
	v_cmp_ne_u16_sdwa s5, v4, v5 src0_sel:BYTE_0 src1_sel:DWORD
	s_and_saveexec_b32 s17, s5
	s_cbranch_execz .LBB292_738
; %bb.731:                              ;   in Loop: Header=BB292_10 Depth=1
	v_cmp_ne_u16_sdwa s5, v4, v48 src0_sel:BYTE_0 src1_sel:DWORD
	v_mov_b32_e32 v31, 0x8000
	s_and_saveexec_b32 s18, s5
	s_cbranch_execz .LBB292_737
; %bb.732:                              ;   in Loop: Header=BB292_10 Depth=1
	v_bfe_u32 v12, v16, 16, 7
	v_mov_b32_e32 v31, 0x7c01
	s_mov_b32 s19, exec_lo
	v_cmpx_ne_u32_e32 0x7f, v12
	s_cbranch_execz .LBB292_736
; %bb.733:                              ;   in Loop: Header=BB292_10 Depth=1
	v_and_b32_e32 v2, 7, v4
	v_lshrrev_b32_e32 v3, 3, v12
	s_mov_b32 s20, exec_lo
	v_cmpx_gt_u32_e32 8, v12
; %bb.734:                              ;   in Loop: Header=BB292_10 Depth=1
	v_ffbh_u32_e32 v2, v2
	v_min_u32_e32 v12, 32, v2
	v_subrev_nc_u32_e32 v2, 28, v12
	v_lshlrev_b64 v[2:3], v2, v[4:5]
	v_sub_nc_u32_e32 v3, 29, v12
	v_and_b32_e32 v2, 7, v2
; %bb.735:                              ;   in Loop: Header=BB292_10 Depth=1
	s_or_b32 exec_lo, exec_lo, s20
	v_lshlrev_b32_e32 v4, 8, v4
	v_lshl_add_u32 v3, v3, 10, 0x2000
	v_lshlrev_b32_e32 v2, 7, v2
	v_and_b32_e32 v4, 0x8000, v4
	v_and_b32_e32 v3, 0xfc00, v3
	v_or3_b32 v31, v4, v3, v2
.LBB292_736:                            ;   in Loop: Header=BB292_10 Depth=1
	s_or_b32 exec_lo, exec_lo, s19
.LBB292_737:                            ;   in Loop: Header=BB292_10 Depth=1
	s_or_b32 exec_lo, exec_lo, s18
.LBB292_738:                            ;   in Loop: Header=BB292_10 Depth=1
	s_or_b32 exec_lo, exec_lo, s17
	v_mov_b32_e32 v19, 0
	v_mov_b32_e32 v28, 0
	s_mov_b32 s17, exec_lo
	v_cmpx_lt_u32_e32 0xffffff, v16
	s_cbranch_execz .LBB292_746
; %bb.739:                              ;   in Loop: Header=BB292_10 Depth=1
	v_lshrrev_b32_e32 v4, 24, v16
	v_bfrev_b32_e32 v28, 1
	s_mov_b32 s18, exec_lo
	v_cmpx_ne_u32_e32 0x80, v4
	s_cbranch_execz .LBB292_745
; %bb.740:                              ;   in Loop: Header=BB292_10 Depth=1
	v_and_b32_e32 v12, 0x7f, v4
	v_mov_b32_e32 v28, 0x7c010000
	s_mov_b32 s19, exec_lo
	v_cmpx_ne_u32_e32 0x7f, v12
	s_cbranch_execz .LBB292_744
; %bb.741:                              ;   in Loop: Header=BB292_10 Depth=1
	v_and_b32_e32 v2, 7, v4
	v_lshrrev_b32_e32 v3, 3, v12
	s_mov_b32 s20, exec_lo
	v_cmpx_gt_u32_e32 8, v12
; %bb.742:                              ;   in Loop: Header=BB292_10 Depth=1
	v_ffbh_u32_e32 v2, v2
	v_min_u32_e32 v12, 32, v2
	v_subrev_nc_u32_e32 v2, 28, v12
	v_lshlrev_b64 v[2:3], v2, v[4:5]
	v_sub_nc_u32_e32 v3, 29, v12
	v_and_b32_e32 v2, 7, v2
; %bb.743:                              ;   in Loop: Header=BB292_10 Depth=1
	s_or_b32 exec_lo, exec_lo, s20
	v_lshlrev_b32_e32 v4, 8, v4
	v_lshl_add_u32 v3, v3, 10, 0x2000
	v_lshlrev_b32_e32 v2, 23, v2
	v_and_or_b32 v3, 0x8000, v4, v3
	v_lshl_or_b32 v28, v3, 16, v2
.LBB292_744:                            ;   in Loop: Header=BB292_10 Depth=1
	s_or_b32 exec_lo, exec_lo, s19
.LBB292_745:                            ;   in Loop: Header=BB292_10 Depth=1
	s_or_b32 exec_lo, exec_lo, s18
.LBB292_746:                            ;   in Loop: Header=BB292_10 Depth=1
	s_or_b32 exec_lo, exec_lo, s17
	v_mov_b32_e32 v4, v17
	v_cmp_ne_u16_sdwa s5, v17, v5 src0_sel:BYTE_0 src1_sel:DWORD
	s_and_saveexec_b32 s17, s5
	s_cbranch_execz .LBB292_754
; %bb.747:                              ;   in Loop: Header=BB292_10 Depth=1
	v_cmp_ne_u16_sdwa s5, v17, v48 src0_sel:BYTE_0 src1_sel:DWORD
	v_mov_b32_e32 v19, 0x8000
	s_and_saveexec_b32 s18, s5
	s_cbranch_execz .LBB292_753
; %bb.748:                              ;   in Loop: Header=BB292_10 Depth=1
	v_and_b32_e32 v12, 0x7f, v17
	v_mov_b32_e32 v19, 0x7c01
	s_mov_b32 s19, exec_lo
	v_cmpx_ne_u32_e32 0x7f, v12
	s_cbranch_execz .LBB292_752
; %bb.749:                              ;   in Loop: Header=BB292_10 Depth=1
	v_and_b32_e32 v2, 7, v17
	v_lshrrev_b32_e32 v3, 3, v12
	s_mov_b32 s20, exec_lo
	v_cmpx_gt_u32_e32 8, v12
; %bb.750:                              ;   in Loop: Header=BB292_10 Depth=1
	v_ffbh_u32_e32 v2, v2
	v_min_u32_e32 v12, 32, v2
	v_subrev_nc_u32_e32 v2, 28, v12
	v_lshlrev_b64 v[2:3], v2, v[4:5]
	v_sub_nc_u32_e32 v3, 29, v12
	v_and_b32_e32 v2, 7, v2
; %bb.751:                              ;   in Loop: Header=BB292_10 Depth=1
	s_or_b32 exec_lo, exec_lo, s20
	v_lshlrev_b32_e32 v12, 8, v17
	v_lshl_add_u32 v3, v3, 10, 0x2000
	v_lshlrev_b32_e32 v2, 7, v2
	v_and_b32_e32 v12, 0x8000, v12
	v_and_b32_e32 v3, 0xfc00, v3
	v_or3_b32 v19, v12, v3, v2
.LBB292_752:                            ;   in Loop: Header=BB292_10 Depth=1
	s_or_b32 exec_lo, exec_lo, s19
.LBB292_753:                            ;   in Loop: Header=BB292_10 Depth=1
	s_or_b32 exec_lo, exec_lo, s18
.LBB292_754:                            ;   in Loop: Header=BB292_10 Depth=1
	s_or_b32 exec_lo, exec_lo, s17
	v_lshrrev_b16 v4, 8, v4
	v_mov_b32_e32 v2, 0
	v_mov_b32_e32 v3, 0
	s_mov_b32 s17, exec_lo
	v_cmpx_ne_u16_e32 0, v4
	s_cbranch_execz .LBB292_762
; %bb.755:                              ;   in Loop: Header=BB292_10 Depth=1
	v_bfrev_b32_e32 v3, 1
	s_mov_b32 s18, exec_lo
	v_cmpx_ne_u16_e32 0x80, v4
	s_cbranch_execz .LBB292_761
; %bb.756:                              ;   in Loop: Header=BB292_10 Depth=1
	v_and_b32_sdwa v13, v4, v38 dst_sel:DWORD dst_unused:UNUSED_PAD src0_sel:WORD_0 src1_sel:DWORD
	v_mov_b32_e32 v3, 0x7c010000
	s_mov_b32 s19, exec_lo
	v_cmpx_ne_u32_e32 0x7f, v13
	s_cbranch_execz .LBB292_760
; %bb.757:                              ;   in Loop: Header=BB292_10 Depth=1
	v_and_b32_sdwa v3, v4, v20 dst_sel:DWORD dst_unused:UNUSED_PAD src0_sel:WORD_0 src1_sel:DWORD
	v_lshrrev_b32_e32 v12, 3, v13
	s_mov_b32 s20, exec_lo
	v_cmpx_gt_u32_e32 8, v13
; %bb.758:                              ;   in Loop: Header=BB292_10 Depth=1
	v_ffbh_u32_e32 v3, v3
	v_min_u32_e32 v3, 32, v3
	v_subrev_nc_u32_e32 v12, 28, v3
	v_lshlrev_b64 v[33:34], v12, v[4:5]
	v_sub_nc_u32_e32 v12, 29, v3
	v_and_b32_e32 v3, 7, v33
; %bb.759:                              ;   in Loop: Header=BB292_10 Depth=1
	s_or_b32 exec_lo, exec_lo, s20
	v_lshlrev_b32_sdwa v4, v21, v4 dst_sel:DWORD dst_unused:UNUSED_PAD src0_sel:DWORD src1_sel:WORD_0
	v_lshl_add_u32 v12, v12, 10, 0x2000
	v_lshlrev_b32_e32 v3, 23, v3
	v_and_or_b32 v4, 0x8000, v4, v12
	v_lshl_or_b32 v3, v4, 16, v3
.LBB292_760:                            ;   in Loop: Header=BB292_10 Depth=1
	s_or_b32 exec_lo, exec_lo, s19
.LBB292_761:                            ;   in Loop: Header=BB292_10 Depth=1
	s_or_b32 exec_lo, exec_lo, s18
.LBB292_762:                            ;   in Loop: Header=BB292_10 Depth=1
	s_or_b32 exec_lo, exec_lo, s17
	v_lshrrev_b32_e32 v4, 16, v17
	v_cmp_ne_u16_sdwa s5, v4, v5 src0_sel:BYTE_0 src1_sel:DWORD
	s_and_saveexec_b32 s17, s5
	s_cbranch_execz .LBB292_770
; %bb.763:                              ;   in Loop: Header=BB292_10 Depth=1
	v_cmp_ne_u16_sdwa s5, v4, v48 src0_sel:BYTE_0 src1_sel:DWORD
	v_mov_b32_e32 v2, 0x8000
	s_and_saveexec_b32 s18, s5
	s_cbranch_execz .LBB292_769
; %bb.764:                              ;   in Loop: Header=BB292_10 Depth=1
	v_bfe_u32 v13, v17, 16, 7
	v_mov_b32_e32 v2, 0x7c01
	s_mov_b32 s19, exec_lo
	v_cmpx_ne_u32_e32 0x7f, v13
	s_cbranch_execz .LBB292_768
; %bb.765:                              ;   in Loop: Header=BB292_10 Depth=1
	v_and_b32_e32 v2, 7, v4
	v_lshrrev_b32_e32 v12, 3, v13
	s_mov_b32 s20, exec_lo
	v_cmpx_gt_u32_e32 8, v13
; %bb.766:                              ;   in Loop: Header=BB292_10 Depth=1
	v_ffbh_u32_e32 v2, v2
	v_min_u32_e32 v2, 32, v2
	v_subrev_nc_u32_e32 v12, 28, v2
	v_lshlrev_b64 v[33:34], v12, v[4:5]
	v_sub_nc_u32_e32 v12, 29, v2
	v_and_b32_e32 v2, 7, v33
; %bb.767:                              ;   in Loop: Header=BB292_10 Depth=1
	s_or_b32 exec_lo, exec_lo, s20
	v_lshlrev_b32_e32 v4, 8, v4
	v_lshl_add_u32 v12, v12, 10, 0x2000
	v_lshlrev_b32_e32 v2, 7, v2
	v_and_b32_e32 v4, 0x8000, v4
	v_and_b32_e32 v12, 0xfc00, v12
	v_or3_b32 v2, v4, v12, v2
.LBB292_768:                            ;   in Loop: Header=BB292_10 Depth=1
	s_or_b32 exec_lo, exec_lo, s19
.LBB292_769:                            ;   in Loop: Header=BB292_10 Depth=1
	s_or_b32 exec_lo, exec_lo, s18
.LBB292_770:                            ;   in Loop: Header=BB292_10 Depth=1
	s_or_b32 exec_lo, exec_lo, s17
	v_mov_b32_e32 v12, 0
	s_mov_b32 s17, exec_lo
	v_cmpx_lt_u64_e64 s[6:7], v[16:17]
	s_cbranch_execz .LBB292_9
; %bb.771:                              ;   in Loop: Header=BB292_10 Depth=1
	v_lshrrev_b32_e32 v4, 24, v17
	v_bfrev_b32_e32 v12, 1
	s_mov_b32 s18, exec_lo
	v_cmpx_ne_u32_e32 0x80, v4
	s_cbranch_execz .LBB292_8
; %bb.772:                              ;   in Loop: Header=BB292_10 Depth=1
	v_and_b32_e32 v16, 0x7f, v4
	v_mov_b32_e32 v12, 0x7c010000
	s_mov_b32 s19, exec_lo
	v_cmpx_ne_u32_e32 0x7f, v16
	s_cbranch_execz .LBB292_7
; %bb.773:                              ;   in Loop: Header=BB292_10 Depth=1
	v_and_b32_e32 v12, 7, v4
	v_lshrrev_b32_e32 v13, 3, v16
	s_mov_b32 s20, exec_lo
	v_cmpx_gt_u32_e32 8, v16
	s_cbranch_execz .LBB292_6
; %bb.774:                              ;   in Loop: Header=BB292_10 Depth=1
	v_ffbh_u32_e32 v12, v12
	v_min_u32_e32 v16, 32, v12
	v_subrev_nc_u32_e32 v12, 28, v16
	v_lshlrev_b64 v[12:13], v12, v[4:5]
	v_sub_nc_u32_e32 v13, 29, v16
	v_and_b32_e32 v12, 7, v12
	s_branch .LBB292_6
.LBB292_775:
	s_or_b32 exec_lo, exec_lo, s15
	s_clause 0xc
	buffer_load_dword v38, off, s[0:3], s32 offset:228
	buffer_load_dword v49, off, s[0:3], s32 offset:232
	;; [unrolled: 1-line block ×13, first 2 shown]
.LBB292_776:
	s_or_b32 exec_lo, exec_lo, s9
	v_mbcnt_lo_u32_b32 v0, -1, 0
	v_max_f32_e32 v4, v9, v9
	s_lshr_b32 s9, s13, 16
	v_xor_b32_e32 v1, 16, v0
	v_xor_b32_e32 v3, 8, v0
	v_cmp_gt_i32_e32 vcc_lo, 32, v1
	v_cndmask_b32_e32 v1, v0, v1, vcc_lo
	v_cmp_gt_i32_e32 vcc_lo, 32, v3
	v_lshlrev_b32_e32 v1, 2, v1
	v_cndmask_b32_e32 v3, v0, v3, vcc_lo
	ds_bpermute_b32 v2, v1, v9
	s_waitcnt lgkmcnt(0)
	v_max_f32_e32 v5, v2, v2
	v_lshlrev_b32_e32 v2, 2, v3
	v_max_f32_e32 v4, v4, v5
	v_xor_b32_e32 v5, 4, v0
	ds_bpermute_b32 v3, v2, v4
	v_cmp_gt_i32_e32 vcc_lo, 32, v5
	v_cndmask_b32_e32 v5, v0, v5, vcc_lo
	s_waitcnt lgkmcnt(0)
	v_max_f32_e32 v6, v3, v3
	v_lshlrev_b32_e32 v3, 2, v5
	v_max_f32_e32 v4, v4, v6
	v_xor_b32_e32 v6, 2, v0
	ds_bpermute_b32 v5, v3, v4
	v_cmp_gt_i32_e32 vcc_lo, 32, v6
	v_cndmask_b32_e32 v6, v0, v6, vcc_lo
	v_lshlrev_b32_e32 v14, 2, v6
	v_xor_b32_e32 v6, 1, v0
	v_cmp_gt_i32_e32 vcc_lo, 32, v6
	s_waitcnt lgkmcnt(0)
	v_max_f32_e32 v5, v5, v5
	v_cndmask_b32_e32 v6, v0, v6, vcc_lo
	s_waitcnt vmcnt(10)
	v_cmp_eq_u32_e32 vcc_lo, 0, v42
	v_max_f32_e32 v4, v4, v5
	v_lshlrev_b32_e32 v13, 2, v6
	ds_bpermute_b32 v5, v14, v4
	s_waitcnt lgkmcnt(0)
	v_max_f32_e32 v5, v5, v5
	v_max_f32_e32 v0, v4, v5
	v_lshlrev_b32_e32 v4, 2, v49
	ds_bpermute_b32 v5, v13, v0
	s_and_saveexec_b32 s5, vcc_lo
	s_cbranch_execz .LBB292_778
; %bb.777:
	s_waitcnt lgkmcnt(0)
	v_max_f32_e32 v5, v5, v5
	v_max_f32_e32 v0, v0, v0
	;; [unrolled: 1-line block ×3, first 2 shown]
	ds_write_b32 v4, v0 offset:192
.LBB292_778:
	s_or_b32 exec_lo, exec_lo, s5
	v_cmp_gt_u32_e64 s5, 4, v42
	v_mov_b32_e32 v0, 0xff7fffff
	s_waitcnt vmcnt(0) lgkmcnt(0)
	s_waitcnt_vscnt null, 0x0
	s_barrier
	buffer_gl0_inv
	s_and_saveexec_b32 s6, s5
; %bb.779:
	ds_read_b32 v0, v15 offset:192
; %bb.780:
	s_or_b32 exec_lo, exec_lo, s6
	s_waitcnt lgkmcnt(0)
	ds_bpermute_b32 v5, v14, v0
	v_max_f32_e32 v0, v0, v0
	v_mov_b32_e32 v6, 0
	s_waitcnt lgkmcnt(0)
	v_max_f32_e32 v5, v5, v5
	v_max_f32_e32 v0, v0, v5
	ds_bpermute_b32 v5, v13, v0
	s_waitcnt lgkmcnt(0)
	v_max_f32_e32 v5, v5, v5
	v_max_f32_e32 v0, v0, v5
	ds_bpermute_b32 v5, v6, v0
	v_lshlrev_b32_e32 v0, 5, v18
	v_min_i32_e32 v0, v0, v27
	v_cmp_lt_i32_e64 s6, v38, v0
	s_and_saveexec_b32 s13, s6
	s_cbranch_execz .LBB292_784
; %bb.781:
	s_getpc_b64 s[18:19]
	s_add_u32 s18, s18, llvm.amdgcn.dynlds.offset.table@rel32@lo+4
	s_addc_u32 s19, s19, llvm.amdgcn.dynlds.offset.table@rel32@hi+12
	s_ashr_i32 s17, s16, 31
	v_mov_b32_e32 v6, 0
	s_lshl_b64 s[20:21], s[16:17], 2
	v_mov_b32_e32 v8, v38
	s_add_u32 s18, s18, s20
	s_addc_u32 s19, s19, s21
	s_mov_b32 s15, 0
	s_load_dword s7, s[18:19], 0x0
	s_waitcnt lgkmcnt(0)
	v_lshl_add_u32 v7, v38, 2, s7
	.p2align	6
.LBB292_782:                            ; =>This Inner Loop Header: Depth=1
	ds_read_b32 v9, v7
	v_add_nc_u32_e32 v8, 0x80, v8
	v_cmp_ge_i32_e64 s7, v8, v0
	s_or_b32 s15, s7, s15
	s_waitcnt lgkmcnt(0)
	v_sub_f32_e32 v9, v9, v5
	v_mul_f32_e32 v9, 0x3fb8aa3b, v9
	v_exp_f32_e32 v9, v9
	ds_write_b32 v7, v9
	v_add_f32_e32 v6, v6, v9
	v_add_nc_u32_e32 v7, 0x200, v7
	s_andn2_b32 exec_lo, exec_lo, s15
	s_cbranch_execnz .LBB292_782
; %bb.783:
	s_or_b32 exec_lo, exec_lo, s15
.LBB292_784:
	s_or_b32 exec_lo, exec_lo, s13
	ds_bpermute_b32 v1, v1, v6
	s_waitcnt lgkmcnt(0)
	v_add_f32_e32 v1, v6, v1
	ds_bpermute_b32 v2, v2, v1
	s_waitcnt lgkmcnt(0)
	v_add_f32_e32 v1, v1, v2
	;; [unrolled: 3-line block ×5, first 2 shown]
	s_and_saveexec_b32 s7, vcc_lo
; %bb.785:
	ds_write_b32 v4, v1 offset:208
; %bb.786:
	s_or_b32 exec_lo, exec_lo, s7
	s_waitcnt lgkmcnt(0)
	s_barrier
	buffer_gl0_inv
	s_and_saveexec_b32 s7, s5
; %bb.787:
	ds_read_b32 v1, v15 offset:208
; %bb.788:
	s_or_b32 exec_lo, exec_lo, s7
	s_waitcnt lgkmcnt(0)
	ds_bpermute_b32 v2, v14, v1
	s_waitcnt lgkmcnt(0)
	v_add_f32_e32 v1, v1, v2
	ds_bpermute_b32 v2, v13, v1
	s_waitcnt lgkmcnt(0)
	v_add_f32_e32 v1, v1, v2
	v_mov_b32_e32 v2, 0
	ds_bpermute_b32 v1, v2, v1
	s_and_saveexec_b32 s5, s6
	s_cbranch_execz .LBB292_791
; %bb.789:
	s_waitcnt lgkmcnt(0)
	v_add_f32_e32 v2, 0x358637bd, v1
	s_getpc_b64 s[6:7]
	s_add_u32 s6, s6, llvm.amdgcn.dynlds.offset.table@rel32@lo+4
	s_addc_u32 s7, s7, llvm.amdgcn.dynlds.offset.table@rel32@hi+12
	s_ashr_i32 s17, s16, 31
	s_lshl_b64 s[18:19], s[16:17], 2
	v_div_scale_f32 v1, null, v2, v2, 1.0
	v_div_scale_f32 v5, vcc_lo, 1.0, v2, 1.0
	s_add_u32 s6, s6, s18
	v_rcp_f32_e32 v3, v1
	s_addc_u32 s7, s7, s19
	s_load_dword s6, s[6:7], 0x0
	v_fma_f32 v4, -v1, v3, 1.0
	v_fmac_f32_e32 v3, v4, v3
	v_mul_f32_e32 v4, v5, v3
	v_fma_f32 v6, -v1, v4, v5
	v_fmac_f32_e32 v4, v6, v3
	v_fma_f32 v1, -v1, v4, v5
	v_div_fmas_f32 v3, v1, v3, v4
	s_waitcnt lgkmcnt(0)
	v_lshl_add_u32 v1, v38, 2, s6
	s_mov_b32 s6, 0
	v_div_fixup_f32 v2, v3, v2, 1.0
	v_mov_b32_e32 v3, v38
.LBB292_790:                            ; =>This Inner Loop Header: Depth=1
	ds_read_b32 v4, v1
	v_add_nc_u32_e32 v3, 0x80, v3
	v_cmp_ge_i32_e32 vcc_lo, v3, v0
	s_or_b32 s6, vcc_lo, s6
	s_waitcnt lgkmcnt(0)
	v_mul_f32_e32 v4, v2, v4
	ds_write_b32 v1, v4
	v_add_nc_u32_e32 v1, 0x200, v1
	s_andn2_b32 exec_lo, exec_lo, s6
	s_cbranch_execnz .LBB292_790
.LBB292_791:
	s_or_b32 exec_lo, exec_lo, s5
	s_waitcnt lgkmcnt(0)
	s_barrier
	buffer_gl0_inv
	s_and_saveexec_b32 s5, s4
	s_xor_b32 s4, exec_lo, s5
; %bb.792:
	s_ashr_i32 s17, s16, 31
                                        ; implicit-def: $vgpr27
                                        ; implicit-def: $vgpr18
                                        ; implicit-def: $vgpr39
                                        ; implicit-def: $vgpr26
                                        ; implicit-def: $vgpr10
                                        ; implicit-def: $vgpr11
                                        ; implicit-def: $vgpr0
                                        ; kill: killed $vgpr0
                                        ; implicit-def: $vgpr22_vgpr23
                                        ; implicit-def: $vgpr19
                                        ; implicit-def: $vgpr28
                                        ; implicit-def: $vgpr12
                                        ; implicit-def: $vgpr50_vgpr51
; %bb.793:
	s_or_saveexec_b32 s5, s4
	v_mov_b32_e32 v4, s16
	v_mov_b32_e32 v34, 0
	;; [unrolled: 1-line block ×3, first 2 shown]
	v_and_b32_e32 v15, 3, v38
	v_mov_b32_e32 v37, 0
	v_mov_b32_e32 v36, 0
	;; [unrolled: 1-line block ×11, first 2 shown]
	s_xor_b32 exec_lo, exec_lo, s5
	s_cbranch_execz .LBB292_1589
; %bb.794:
	s_ashr_i32 s17, s16, 31
	s_getpc_b64 s[6:7]
	s_add_u32 s6, s6, llvm.amdgcn.dynlds.offset.table@rel32@lo+4
	s_addc_u32 s7, s7, llvm.amdgcn.dynlds.offset.table@rel32@hi+12
	s_lshl_b64 s[18:19], s[16:17], 2
	v_lshlrev_b32_e32 v0, 3, v38
	s_add_u32 s6, s6, s18
	s_addc_u32 s7, s7, s19
	v_add_co_u32 v2, vcc_lo, v39, v19
	s_load_dword s4, s[6:7], 0x0
	v_and_b32_e32 v1, 24, v0
	v_and_b32_e32 v0, 0xf8, v0
	v_add_co_ci_u32_e64 v3, null, v26, v28, vcc_lo
	v_and_b32_e32 v7, 0x7c, v12
	v_lshlrev_b32_e32 v9, 5, v49
	v_add_co_u32 v5, vcc_lo, v2, v0
	v_lshlrev_b32_e32 v0, 5, v15
	v_add_co_ci_u32_e64 v6, null, 0, v3, vcc_lo
	v_add_co_u32 v2, vcc_lo, v7, v50
	v_add_co_ci_u32_e64 v3, null, 0, v51, vcc_lo
	v_lshl_or_b32 v0, v49, 7, v0
	v_mov_b32_e32 v51, v49
	v_add_co_u32 v7, vcc_lo, v10, v2
	v_mov_b32_e32 v40, v38
	v_add_nc_u32_e32 v30, -1, v18
	v_mov_b32_e32 v4, 0
	v_add_co_ci_u32_e64 v8, null, v11, v3, vcc_lo
	v_or3_b32 v31, v9, v1, 7
	s_waitcnt lgkmcnt(0)
	v_add_nc_u32_e32 v38, s4, v0
	v_mov_b32_e32 v39, 0x80
	v_mov_b32_e32 v48, 0x7f
	;; [unrolled: 1-line block ×17, first 2 shown]
	s_mov_b32 s6, -1
	s_mov_b32 s7, 0xffffff
	s_mov_b32 s13, 0
	s_branch .LBB292_796
.LBB292_795:                            ;   in Loop: Header=BB292_796 Depth=1
	s_or_b32 exec_lo, exec_lo, s4
	v_add_f32_e32 v0, v0, v1
	v_add_f32_e32 v1, v99, v100
	;; [unrolled: 1-line block ×6, first 2 shown]
	;;#ASMSTART
	v_pk_mul_f16 v0, v68, v10;

	;;#ASMEND
	v_add_f32_e32 v25, v25, v1
	;;#ASMSTART
	v_pk_mul_f16 v1, v65, v2;

	;;#ASMEND
	;;#ASMSTART
	v_pk_mul_f16 v2, v55, v9;

	;;#ASMEND
	;; [unrolled: 4-line block ×3, first 2 shown]
	;;#ASMSTART
	v_pk_add_f16 v0, v0, v1;

	;;#ASMEND
	;;#ASMSTART
	v_pk_add_f16 v0, v0, v2;

	;;#ASMEND
	;; [unrolled: 4-line block ×3, first 2 shown]
	v_and_b32_e32 v3, 0xffff, v0
	v_add_nc_u32_e32 v51, 4, v51
	v_lshrrev_b32_e32 v9, 16, v0
	;;#ASMSTART
	v_cvt_f32_f16 v3, v3;
	;;#ASMEND
	v_add_f32_e32 v17, v17, v11
	v_add_f32_e32 v20, v20, v12
	;; [unrolled: 1-line block ×9, first 2 shown]
	;;#ASMSTART
	v_cvt_f32_f16 v9, v9;
	;;#ASMEND
	v_add_f32_e32 v3, v3, v9
	v_cmp_ge_i32_e32 vcc_lo, v51, v18
	v_add_co_u32 v7, s4, v7, 16
	v_add_f32_e32 v32, v32, v11
	v_add_f32_e32 v33, v33, v12
	;; [unrolled: 1-line block ×7, first 2 shown]
	v_add_co_ci_u32_e64 v8, null, 0, v8, s4
	v_add_nc_u32_e32 v31, 0x80, v31
	v_add_nc_u32_e32 v38, 0x200, v38
	s_or_b32 s13, vcc_lo, s13
	s_andn2_b32 exec_lo, exec_lo, s13
	s_cbranch_execz .LBB292_1588
.LBB292_796:                            ; =>This Inner Loop Header: Depth=1
	flat_load_dword v9, v[7:8]
	ds_read2_b64 v[0:3], v38 offset1:1
	ds_read2_b64 v[68:71], v38 offset0:2 offset1:3
	v_mov_b32_e32 v64, 0
	s_waitcnt lgkmcnt(1)
	;;#ASMSTART
	v_cvt_f16_f32 v0, v0;

	;;#ASMEND
	buffer_load_dword v10, off, s[0:3], s32 offset:192 ; 4-byte Folded Reload
	;;#ASMSTART
	v_cvt_f16_f32 v1, v1;

	;;#ASMEND
	;;#ASMSTART
	v_cvt_f16_f32 v65, v2;

	;;#ASMEND
	;; [unrolled: 4-line block ×3, first 2 shown]
	s_waitcnt lgkmcnt(0)
	;;#ASMSTART
	v_cvt_f16_f32 v68, v68;

	;;#ASMEND
	;;#ASMSTART
	v_cvt_f16_f32 v55, v69;

	;;#ASMEND
	;; [unrolled: 4-line block ×4, first 2 shown]
	s_waitcnt vmcnt(0)
	v_mad_i64_i32 v[9:10], null, v9, v10, v[5:6]
	flat_load_dwordx2 v[11:12], v[9:10]
	flat_load_dword v53, v[22:23]
	s_waitcnt vmcnt(1) lgkmcnt(1)
	v_cmp_ne_u16_sdwa s15, v11, v4 src0_sel:BYTE_0 src1_sel:DWORD
	s_and_saveexec_b32 s4, s15
	s_cbranch_execz .LBB292_804
; %bb.797:                              ;   in Loop: Header=BB292_796 Depth=1
	v_cmp_ne_u16_sdwa s18, v11, v39 src0_sel:BYTE_0 src1_sel:DWORD
	v_mov_b32_e32 v64, 0x8000
	s_and_saveexec_b32 s15, s18
	s_cbranch_execz .LBB292_803
; %bb.798:                              ;   in Loop: Header=BB292_796 Depth=1
	v_and_b32_e32 v19, 0x7f, v11
	v_mov_b32_e32 v64, 0x7c01
	s_mov_b32 s18, exec_lo
	v_cmpx_ne_u32_e32 0x7f, v19
	s_cbranch_execz .LBB292_802
; %bb.799:                              ;   in Loop: Header=BB292_796 Depth=1
	v_and_b32_e32 v2, 7, v11
	v_lshrrev_b32_e32 v3, 3, v19
	s_mov_b32 s19, exec_lo
	v_cmpx_gt_u32_e32 8, v19
; %bb.800:                              ;   in Loop: Header=BB292_796 Depth=1
	v_ffbh_u32_e32 v2, v2
	v_min_u32_e32 v19, 32, v2
	v_subrev_nc_u32_e32 v2, 28, v19
	v_lshlrev_b64 v[2:3], v2, v[11:12]
	v_sub_nc_u32_e32 v3, 29, v19
	v_and_b32_e32 v2, 7, v2
; %bb.801:                              ;   in Loop: Header=BB292_796 Depth=1
	s_or_b32 exec_lo, exec_lo, s19
	v_lshlrev_b32_e32 v19, 8, v11
	v_lshl_add_u32 v3, v3, 10, 0x2000
	v_lshlrev_b32_e32 v2, 7, v2
	v_and_b32_e32 v19, 0x8000, v19
	v_and_b32_e32 v3, 0xfc00, v3
	v_or3_b32 v64, v19, v3, v2
.LBB292_802:                            ;   in Loop: Header=BB292_796 Depth=1
	s_or_b32 exec_lo, exec_lo, s18
.LBB292_803:                            ;   in Loop: Header=BB292_796 Depth=1
	s_or_b32 exec_lo, exec_lo, s15
.LBB292_804:                            ;   in Loop: Header=BB292_796 Depth=1
	s_or_b32 exec_lo, exec_lo, s4
	v_lshrrev_b16 v3, 8, v11
	v_mov_b32_e32 v52, 0
	v_mov_b32_e32 v66, 0
	s_mov_b32 s4, exec_lo
	v_cmpx_ne_u16_e32 0, v3
	s_cbranch_execz .LBB292_812
; %bb.805:                              ;   in Loop: Header=BB292_796 Depth=1
	v_bfrev_b32_e32 v66, 1
	s_mov_b32 s15, exec_lo
	v_cmpx_ne_u16_e32 0x80, v3
	s_cbranch_execz .LBB292_811
; %bb.806:                              ;   in Loop: Header=BB292_796 Depth=1
	v_and_b32_sdwa v26, v3, v48 dst_sel:DWORD dst_unused:UNUSED_PAD src0_sel:WORD_0 src1_sel:DWORD
	v_mov_b32_e32 v66, 0x7c010000
	s_mov_b32 s18, exec_lo
	v_cmpx_ne_u32_e32 0x7f, v26
	s_cbranch_execz .LBB292_810
; %bb.807:                              ;   in Loop: Header=BB292_796 Depth=1
	v_and_b32_sdwa v2, v3, v49 dst_sel:DWORD dst_unused:UNUSED_PAD src0_sel:WORD_0 src1_sel:DWORD
	v_lshrrev_b32_e32 v19, 3, v26
	s_mov_b32 s19, exec_lo
	v_cmpx_gt_u32_e32 8, v26
; %bb.808:                              ;   in Loop: Header=BB292_796 Depth=1
	v_ffbh_u32_e32 v2, v2
	v_min_u32_e32 v2, 32, v2
	v_subrev_nc_u32_e32 v19, 28, v2
	v_lshlrev_b64 v[28:29], v19, v[3:4]
	v_sub_nc_u32_e32 v19, 29, v2
	v_and_b32_e32 v2, 7, v28
; %bb.809:                              ;   in Loop: Header=BB292_796 Depth=1
	s_or_b32 exec_lo, exec_lo, s19
	v_lshlrev_b32_sdwa v3, v50, v3 dst_sel:DWORD dst_unused:UNUSED_PAD src0_sel:DWORD src1_sel:WORD_0
	v_lshl_add_u32 v19, v19, 10, 0x2000
	v_lshlrev_b32_e32 v2, 23, v2
	v_and_or_b32 v3, 0x8000, v3, v19
	v_lshl_or_b32 v66, v3, 16, v2
.LBB292_810:                            ;   in Loop: Header=BB292_796 Depth=1
	s_or_b32 exec_lo, exec_lo, s18
.LBB292_811:                            ;   in Loop: Header=BB292_796 Depth=1
	s_or_b32 exec_lo, exec_lo, s15
.LBB292_812:                            ;   in Loop: Header=BB292_796 Depth=1
	s_or_b32 exec_lo, exec_lo, s4
	v_lshrrev_b32_e32 v2, 16, v11
	v_cmp_ne_u16_sdwa s15, v2, v4 src0_sel:BYTE_0 src1_sel:DWORD
	s_and_saveexec_b32 s4, s15
	s_cbranch_execz .LBB292_820
; %bb.813:                              ;   in Loop: Header=BB292_796 Depth=1
	v_cmp_ne_u16_sdwa s18, v2, v39 src0_sel:BYTE_0 src1_sel:DWORD
	v_mov_b32_e32 v52, 0x8000
	s_and_saveexec_b32 s15, s18
	s_cbranch_execz .LBB292_819
; %bb.814:                              ;   in Loop: Header=BB292_796 Depth=1
	v_bfe_u32 v26, v11, 16, 7
	v_mov_b32_e32 v52, 0x7c01
	s_mov_b32 s18, exec_lo
	v_cmpx_ne_u32_e32 0x7f, v26
	s_cbranch_execz .LBB292_818
; %bb.815:                              ;   in Loop: Header=BB292_796 Depth=1
	v_and_b32_e32 v3, 7, v2
	v_lshrrev_b32_e32 v19, 3, v26
	s_mov_b32 s19, exec_lo
	v_cmpx_gt_u32_e32 8, v26
; %bb.816:                              ;   in Loop: Header=BB292_796 Depth=1
	v_ffbh_u32_e32 v3, v3
	v_min_u32_e32 v3, 32, v3
	v_subrev_nc_u32_e32 v19, 28, v3
	v_lshlrev_b64 v[28:29], v19, v[2:3]
	v_sub_nc_u32_e32 v19, 29, v3
	v_and_b32_e32 v3, 7, v28
; %bb.817:                              ;   in Loop: Header=BB292_796 Depth=1
	s_or_b32 exec_lo, exec_lo, s19
	v_lshlrev_b32_e32 v2, 8, v2
	v_lshl_add_u32 v19, v19, 10, 0x2000
	v_lshlrev_b32_e32 v3, 7, v3
	v_and_b32_e32 v2, 0x8000, v2
	v_and_b32_e32 v19, 0xfc00, v19
	v_or3_b32 v52, v2, v19, v3
.LBB292_818:                            ;   in Loop: Header=BB292_796 Depth=1
	s_or_b32 exec_lo, exec_lo, s18
.LBB292_819:                            ;   in Loop: Header=BB292_796 Depth=1
	s_or_b32 exec_lo, exec_lo, s15
.LBB292_820:                            ;   in Loop: Header=BB292_796 Depth=1
	s_or_b32 exec_lo, exec_lo, s4
	v_mov_b32_e32 v19, 0
	v_mov_b32_e32 v28, 0
	s_mov_b32 s4, exec_lo
	v_cmpx_lt_u32_e32 0xffffff, v11
	s_cbranch_execz .LBB292_828
; %bb.821:                              ;   in Loop: Header=BB292_796 Depth=1
	v_lshrrev_b32_e32 v3, 24, v11
	v_bfrev_b32_e32 v28, 1
	s_mov_b32 s15, exec_lo
	v_cmpx_ne_u32_e32 0x80, v3
	s_cbranch_execz .LBB292_827
; %bb.822:                              ;   in Loop: Header=BB292_796 Depth=1
	v_and_b32_e32 v69, 0x7f, v3
	v_mov_b32_e32 v28, 0x7c010000
	s_mov_b32 s18, exec_lo
	v_cmpx_ne_u32_e32 0x7f, v69
	s_cbranch_execz .LBB292_826
; %bb.823:                              ;   in Loop: Header=BB292_796 Depth=1
	v_and_b32_e32 v2, 7, v3
	v_lshrrev_b32_e32 v26, 3, v69
	s_mov_b32 s19, exec_lo
	v_cmpx_gt_u32_e32 8, v69
; %bb.824:                              ;   in Loop: Header=BB292_796 Depth=1
	v_ffbh_u32_e32 v2, v2
	v_min_u32_e32 v2, 32, v2
	v_subrev_nc_u32_e32 v26, 28, v2
	v_lshlrev_b64 v[28:29], v26, v[3:4]
	v_sub_nc_u32_e32 v26, 29, v2
	v_and_b32_e32 v2, 7, v28
; %bb.825:                              ;   in Loop: Header=BB292_796 Depth=1
	s_or_b32 exec_lo, exec_lo, s19
	v_lshlrev_b32_e32 v3, 8, v3
	v_lshl_add_u32 v26, v26, 10, 0x2000
	v_lshlrev_b32_e32 v2, 23, v2
	v_and_or_b32 v3, 0x8000, v3, v26
	v_lshl_or_b32 v28, v3, 16, v2
.LBB292_826:                            ;   in Loop: Header=BB292_796 Depth=1
	s_or_b32 exec_lo, exec_lo, s18
.LBB292_827:                            ;   in Loop: Header=BB292_796 Depth=1
	s_or_b32 exec_lo, exec_lo, s15
.LBB292_828:                            ;   in Loop: Header=BB292_796 Depth=1
	s_or_b32 exec_lo, exec_lo, s4
	v_mov_b32_e32 v3, v12
	v_cmp_ne_u16_sdwa s15, v12, v4 src0_sel:BYTE_0 src1_sel:DWORD
	s_and_saveexec_b32 s4, s15
	s_cbranch_execz .LBB292_836
; %bb.829:                              ;   in Loop: Header=BB292_796 Depth=1
	v_cmp_ne_u16_sdwa s18, v12, v39 src0_sel:BYTE_0 src1_sel:DWORD
	v_mov_b32_e32 v19, 0x8000
	s_and_saveexec_b32 s15, s18
	s_cbranch_execz .LBB292_835
; %bb.830:                              ;   in Loop: Header=BB292_796 Depth=1
	v_and_b32_e32 v26, 0x7f, v12
	v_mov_b32_e32 v19, 0x7c01
	s_mov_b32 s18, exec_lo
	v_cmpx_ne_u32_e32 0x7f, v26
	s_cbranch_execz .LBB292_834
; %bb.831:                              ;   in Loop: Header=BB292_796 Depth=1
	v_and_b32_e32 v2, 7, v12
	v_lshrrev_b32_e32 v19, 3, v26
	s_mov_b32 s19, exec_lo
	v_cmpx_gt_u32_e32 8, v26
; %bb.832:                              ;   in Loop: Header=BB292_796 Depth=1
	v_ffbh_u32_e32 v2, v2
	v_min_u32_e32 v2, 32, v2
	v_subrev_nc_u32_e32 v19, 28, v2
	v_lshlrev_b64 v[80:81], v19, v[3:4]
	v_sub_nc_u32_e32 v19, 29, v2
	v_and_b32_e32 v2, 7, v80
; %bb.833:                              ;   in Loop: Header=BB292_796 Depth=1
	s_or_b32 exec_lo, exec_lo, s19
	v_lshlrev_b32_e32 v26, 8, v12
	v_lshl_add_u32 v19, v19, 10, 0x2000
	v_lshlrev_b32_e32 v2, 7, v2
	v_and_b32_e32 v26, 0x8000, v26
	v_and_b32_e32 v19, 0xfc00, v19
	v_or3_b32 v19, v26, v19, v2
.LBB292_834:                            ;   in Loop: Header=BB292_796 Depth=1
	s_or_b32 exec_lo, exec_lo, s18
.LBB292_835:                            ;   in Loop: Header=BB292_796 Depth=1
	s_or_b32 exec_lo, exec_lo, s15
.LBB292_836:                            ;   in Loop: Header=BB292_796 Depth=1
	s_or_b32 exec_lo, exec_lo, s4
	v_lshrrev_b16 v3, 8, v3
	v_mov_b32_e32 v69, 0
	v_mov_b32_e32 v26, 0
	s_mov_b32 s4, exec_lo
	v_cmpx_ne_u16_e32 0, v3
	s_cbranch_execz .LBB292_844
; %bb.837:                              ;   in Loop: Header=BB292_796 Depth=1
	v_bfrev_b32_e32 v26, 1
	s_mov_b32 s15, exec_lo
	v_cmpx_ne_u16_e32 0x80, v3
	s_cbranch_execz .LBB292_843
; %bb.838:                              ;   in Loop: Header=BB292_796 Depth=1
	v_and_b32_sdwa v71, v3, v48 dst_sel:DWORD dst_unused:UNUSED_PAD src0_sel:WORD_0 src1_sel:DWORD
	v_mov_b32_e32 v26, 0x7c010000
	s_mov_b32 s18, exec_lo
	v_cmpx_ne_u32_e32 0x7f, v71
	s_cbranch_execz .LBB292_842
; %bb.839:                              ;   in Loop: Header=BB292_796 Depth=1
	v_and_b32_sdwa v2, v3, v49 dst_sel:DWORD dst_unused:UNUSED_PAD src0_sel:WORD_0 src1_sel:DWORD
	v_lshrrev_b32_e32 v26, 3, v71
	s_mov_b32 s19, exec_lo
	v_cmpx_gt_u32_e32 8, v71
; %bb.840:                              ;   in Loop: Header=BB292_796 Depth=1
	v_ffbh_u32_e32 v2, v2
	v_min_u32_e32 v2, 32, v2
	v_subrev_nc_u32_e32 v26, 28, v2
	v_lshlrev_b64 v[80:81], v26, v[3:4]
	v_sub_nc_u32_e32 v26, 29, v2
	v_and_b32_e32 v2, 7, v80
; %bb.841:                              ;   in Loop: Header=BB292_796 Depth=1
	s_or_b32 exec_lo, exec_lo, s19
	v_lshlrev_b32_sdwa v3, v50, v3 dst_sel:DWORD dst_unused:UNUSED_PAD src0_sel:DWORD src1_sel:WORD_0
	v_lshl_add_u32 v26, v26, 10, 0x2000
	v_lshlrev_b32_e32 v2, 23, v2
	v_and_or_b32 v3, 0x8000, v3, v26
	v_lshl_or_b32 v26, v3, 16, v2
.LBB292_842:                            ;   in Loop: Header=BB292_796 Depth=1
	s_or_b32 exec_lo, exec_lo, s18
.LBB292_843:                            ;   in Loop: Header=BB292_796 Depth=1
	s_or_b32 exec_lo, exec_lo, s15
.LBB292_844:                            ;   in Loop: Header=BB292_796 Depth=1
	s_or_b32 exec_lo, exec_lo, s4
	v_lshrrev_b32_e32 v2, 16, v12
	v_cmp_ne_u16_sdwa s15, v2, v4 src0_sel:BYTE_0 src1_sel:DWORD
	s_and_saveexec_b32 s4, s15
	s_cbranch_execz .LBB292_852
; %bb.845:                              ;   in Loop: Header=BB292_796 Depth=1
	v_cmp_ne_u16_sdwa s18, v2, v39 src0_sel:BYTE_0 src1_sel:DWORD
	v_mov_b32_e32 v69, 0x8000
	s_and_saveexec_b32 s15, s18
	s_cbranch_execz .LBB292_851
; %bb.846:                              ;   in Loop: Header=BB292_796 Depth=1
	v_bfe_u32 v71, v12, 16, 7
	v_mov_b32_e32 v69, 0x7c01
	s_mov_b32 s18, exec_lo
	v_cmpx_ne_u32_e32 0x7f, v71
	s_cbranch_execz .LBB292_850
; %bb.847:                              ;   in Loop: Header=BB292_796 Depth=1
	v_and_b32_e32 v3, 7, v2
	v_lshrrev_b32_e32 v69, 3, v71
	s_mov_b32 s19, exec_lo
	v_cmpx_gt_u32_e32 8, v71
; %bb.848:                              ;   in Loop: Header=BB292_796 Depth=1
	v_ffbh_u32_e32 v3, v3
	v_min_u32_e32 v3, 32, v3
	v_subrev_nc_u32_e32 v29, 28, v3
	v_sub_nc_u32_e32 v69, 29, v3
	v_lshlrev_b64 v[80:81], v29, v[2:3]
	v_and_b32_e32 v3, 7, v80
; %bb.849:                              ;   in Loop: Header=BB292_796 Depth=1
	s_or_b32 exec_lo, exec_lo, s19
	v_lshlrev_b32_e32 v2, 8, v2
	v_lshl_add_u32 v29, v69, 10, 0x2000
	v_lshlrev_b32_e32 v3, 7, v3
	v_and_b32_e32 v2, 0x8000, v2
	v_and_b32_e32 v29, 0xfc00, v29
	v_or3_b32 v69, v2, v29, v3
.LBB292_850:                            ;   in Loop: Header=BB292_796 Depth=1
	s_or_b32 exec_lo, exec_lo, s18
.LBB292_851:                            ;   in Loop: Header=BB292_796 Depth=1
	s_or_b32 exec_lo, exec_lo, s15
.LBB292_852:                            ;   in Loop: Header=BB292_796 Depth=1
	s_or_b32 exec_lo, exec_lo, s4
	v_mov_b32_e32 v2, 0
	s_mov_b32 s4, exec_lo
	v_cmpx_lt_u64_e64 s[6:7], v[11:12]
	s_cbranch_execz .LBB292_860
; %bb.853:                              ;   in Loop: Header=BB292_796 Depth=1
	v_lshrrev_b32_e32 v3, 24, v12
	v_bfrev_b32_e32 v2, 1
	s_mov_b32 s15, exec_lo
	v_cmpx_ne_u32_e32 0x80, v3
	s_cbranch_execz .LBB292_859
; %bb.854:                              ;   in Loop: Header=BB292_796 Depth=1
	v_and_b32_e32 v12, 0x7f, v3
	v_mov_b32_e32 v2, 0x7c010000
	s_mov_b32 s18, exec_lo
	v_cmpx_ne_u32_e32 0x7f, v12
	s_cbranch_execz .LBB292_858
; %bb.855:                              ;   in Loop: Header=BB292_796 Depth=1
	v_and_b32_e32 v2, 7, v3
	v_lshrrev_b32_e32 v11, 3, v12
	s_mov_b32 s19, exec_lo
	v_cmpx_gt_u32_e32 8, v12
; %bb.856:                              ;   in Loop: Header=BB292_796 Depth=1
	v_ffbh_u32_e32 v2, v2
	v_min_u32_e32 v2, 32, v2
	v_subrev_nc_u32_e32 v11, 28, v2
	v_lshlrev_b64 v[80:81], v11, v[3:4]
	v_sub_nc_u32_e32 v11, 29, v2
	v_and_b32_e32 v2, 7, v80
; %bb.857:                              ;   in Loop: Header=BB292_796 Depth=1
	s_or_b32 exec_lo, exec_lo, s19
	v_lshlrev_b32_e32 v3, 8, v3
	v_lshl_add_u32 v11, v11, 10, 0x2000
	v_lshlrev_b32_e32 v2, 23, v2
	v_and_or_b32 v3, 0x8000, v3, v11
	v_lshl_or_b32 v2, v3, 16, v2
.LBB292_858:                            ;   in Loop: Header=BB292_796 Depth=1
	s_or_b32 exec_lo, exec_lo, s18
.LBB292_859:                            ;   in Loop: Header=BB292_796 Depth=1
	s_or_b32 exec_lo, exec_lo, s15
.LBB292_860:                            ;   in Loop: Header=BB292_796 Depth=1
	s_or_b32 exec_lo, exec_lo, s4
	v_or_b32_e32 v3, v28, v52
	s_waitcnt vmcnt(0) lgkmcnt(0)
	v_fma_mixlo_f16 v11, v53, v28, 0 op_sel:[0,1,0] op_sel_hi:[0,1,0]
	v_or_b32_e32 v12, v66, v64
	v_or_b32_e32 v19, v26, v19
	;; [unrolled: 1-line block ×3, first 2 shown]
	v_fma_mixlo_f16 v28, v53, v66, 0 op_sel:[0,1,0] op_sel_hi:[0,1,0]
	v_fma_mixlo_f16 v29, v53, v3, 0 op_sel_hi:[0,1,0]
	v_lshlrev_b32_e32 v3, 16, v11
	v_fma_mixlo_f16 v11, v53, v12, 0 op_sel_hi:[0,1,0]
	v_fma_mixlo_f16 v12, v53, v26, 0 op_sel:[0,1,0] op_sel_hi:[0,1,0]
	v_fma_mixlo_f16 v19, v53, v19, 0 op_sel_hi:[0,1,0]
	v_fma_mixlo_f16 v2, v53, v2, 0 op_sel:[0,1,0] op_sel_hi:[0,1,0]
	v_fma_mixlo_f16 v26, v53, v64, 0 op_sel_hi:[0,1,0]
	v_lshlrev_b32_e32 v83, 16, v28
	v_and_b32_e32 v28, 0xffff, v29
	v_and_b32_e32 v85, 0xffff, v11
	v_lshlrev_b32_e32 v81, 16, v12
	v_and_b32_e32 v84, 0xffff, v19
	v_lshlrev_b32_e32 v19, 16, v2
	v_and_b32_e32 v82, 0xffff, v26
	v_add_nc_u32_e32 v52, -7, v31
	v_cmp_eq_u32_e32 vcc_lo, v30, v51
	v_or_b32_e32 v2, v3, v28
	v_or_b32_e32 v11, v83, v85
	;; [unrolled: 1-line block ×4, first 2 shown]
	v_add_nc_u32_e32 v80, -6, v31
	v_add_nc_u32_e32 v71, -5, v31
	;; [unrolled: 1-line block ×6, first 2 shown]
	s_and_saveexec_b32 s15, vcc_lo
	s_cbranch_execz .LBB292_862
; %bb.861:                              ;   in Loop: Header=BB292_796 Depth=1
	v_cmp_lt_i32_e64 s4, v52, v27
	v_cndmask_b32_e64 v2, 0, v85, s4
	v_cmp_lt_i32_e64 s4, v80, v27
	v_cndmask_b32_e64 v11, 0, v83, s4
	v_cmp_lt_i32_e64 s4, v71, v27
	v_or_b32_e32 v11, v2, v11
	v_cndmask_b32_e64 v12, 0, v28, s4
	v_cmp_lt_i32_e64 s4, v69, v27
	v_cndmask_b32_e64 v3, 0, v3, s4
	v_cmp_lt_i32_e64 s4, v66, v27
	v_or_b32_e32 v2, v12, v3
	;; [unrolled: 5-line block ×3, first 2 shown]
	v_cndmask_b32_e64 v29, 0, v82, s4
	v_cmp_lt_i32_e64 s4, v31, v27
	v_cndmask_b32_e64 v19, 0, v19, s4
	v_or_b32_e32 v26, v29, v19
.LBB292_862:                            ;   in Loop: Header=BB292_796 Depth=1
	s_or_b32 exec_lo, exec_lo, s15
	v_and_b32_e32 v0, 0xffff, v0
	v_and_b32_e32 v3, 0xffff, v65
	;; [unrolled: 1-line block ×4, first 2 shown]
	v_mov_b32_e32 v81, 0
	v_lshl_or_b32 v68, v1, 16, v0
	;;#ASMSTART
	v_pk_mul_f16 v0, v68, v11;

	;;#ASMEND
	v_lshl_or_b32 v65, v54, 16, v3
	v_lshl_or_b32 v55, v55, 16, v19
	;; [unrolled: 1-line block ×3, first 2 shown]
	;;#ASMSTART
	v_pk_mul_f16 v1, v65, v2;

	;;#ASMEND
	;;#ASMSTART
	v_pk_mul_f16 v2, v55, v12;

	;;#ASMEND
	;; [unrolled: 4-line block ×3, first 2 shown]
	;;#ASMSTART
	v_pk_add_f16 v0, v0, v1;

	;;#ASMEND
	;;#ASMSTART
	v_pk_add_f16 v0, v0, v2;

	;;#ASMEND
	;; [unrolled: 4-line block ×3, first 2 shown]
	v_and_b32_e32 v1, 0xffff, v0
	v_lshrrev_b32_e32 v0, 16, v0
	;;#ASMSTART
	v_cvt_f32_f16 v67, v1;
	;;#ASMEND
	;;#ASMSTART
	v_cvt_f32_f16 v70, v0;
	;;#ASMEND
	flat_load_dwordx2 v[11:12], v[9:10] offset:256
	flat_load_dword v0, v[22:23]
	v_mov_b32_e32 v1, 0
	s_waitcnt vmcnt(1) lgkmcnt(1)
	v_cmp_ne_u16_sdwa s4, v11, v4 src0_sel:BYTE_0 src1_sel:DWORD
	s_and_saveexec_b32 s15, s4
	s_cbranch_execz .LBB292_870
; %bb.863:                              ;   in Loop: Header=BB292_796 Depth=1
	v_cmp_ne_u16_sdwa s4, v11, v39 src0_sel:BYTE_0 src1_sel:DWORD
	v_mov_b32_e32 v81, 0x8000
	s_and_saveexec_b32 s18, s4
	s_cbranch_execz .LBB292_869
; %bb.864:                              ;   in Loop: Header=BB292_796 Depth=1
	v_and_b32_e32 v19, 0x7f, v11
	v_mov_b32_e32 v81, 0x7c01
	s_mov_b32 s19, exec_lo
	v_cmpx_ne_u32_e32 0x7f, v19
	s_cbranch_execz .LBB292_868
; %bb.865:                              ;   in Loop: Header=BB292_796 Depth=1
	v_and_b32_e32 v2, 7, v11
	v_lshrrev_b32_e32 v3, 3, v19
	s_mov_b32 s20, exec_lo
	v_cmpx_gt_u32_e32 8, v19
; %bb.866:                              ;   in Loop: Header=BB292_796 Depth=1
	v_ffbh_u32_e32 v2, v2
	v_min_u32_e32 v19, 32, v2
	v_subrev_nc_u32_e32 v2, 28, v19
	v_lshlrev_b64 v[2:3], v2, v[11:12]
	v_sub_nc_u32_e32 v3, 29, v19
	v_and_b32_e32 v2, 7, v2
; %bb.867:                              ;   in Loop: Header=BB292_796 Depth=1
	s_or_b32 exec_lo, exec_lo, s20
	v_lshlrev_b32_e32 v19, 8, v11
	v_lshl_add_u32 v3, v3, 10, 0x2000
	v_lshlrev_b32_e32 v2, 7, v2
	v_and_b32_e32 v19, 0x8000, v19
	v_and_b32_e32 v3, 0xfc00, v3
	v_or3_b32 v81, v19, v3, v2
.LBB292_868:                            ;   in Loop: Header=BB292_796 Depth=1
	s_or_b32 exec_lo, exec_lo, s19
.LBB292_869:                            ;   in Loop: Header=BB292_796 Depth=1
	s_or_b32 exec_lo, exec_lo, s18
.LBB292_870:                            ;   in Loop: Header=BB292_796 Depth=1
	s_or_b32 exec_lo, exec_lo, s15
	v_lshrrev_b16 v3, 8, v11
	s_mov_b32 s15, exec_lo
	v_cmpx_ne_u16_e32 0, v3
	s_cbranch_execz .LBB292_878
; %bb.871:                              ;   in Loop: Header=BB292_796 Depth=1
	v_bfrev_b32_e32 v1, 1
	s_mov_b32 s18, exec_lo
	v_cmpx_ne_u16_e32 0x80, v3
	s_cbranch_execz .LBB292_877
; %bb.872:                              ;   in Loop: Header=BB292_796 Depth=1
	v_and_b32_sdwa v19, v3, v48 dst_sel:DWORD dst_unused:UNUSED_PAD src0_sel:WORD_0 src1_sel:DWORD
	v_mov_b32_e32 v1, 0x7c010000
	s_mov_b32 s19, exec_lo
	v_cmpx_ne_u32_e32 0x7f, v19
	s_cbranch_execz .LBB292_876
; %bb.873:                              ;   in Loop: Header=BB292_796 Depth=1
	v_and_b32_sdwa v1, v3, v49 dst_sel:DWORD dst_unused:UNUSED_PAD src0_sel:WORD_0 src1_sel:DWORD
	v_lshrrev_b32_e32 v2, 3, v19
	s_mov_b32 s20, exec_lo
	v_cmpx_gt_u32_e32 8, v19
; %bb.874:                              ;   in Loop: Header=BB292_796 Depth=1
	v_ffbh_u32_e32 v1, v1
	v_min_u32_e32 v19, 32, v1
	v_subrev_nc_u32_e32 v1, 28, v19
	v_lshlrev_b64 v[1:2], v1, v[3:4]
	v_sub_nc_u32_e32 v2, 29, v19
	v_and_b32_e32 v1, 7, v1
; %bb.875:                              ;   in Loop: Header=BB292_796 Depth=1
	s_or_b32 exec_lo, exec_lo, s20
	v_lshlrev_b32_sdwa v3, v50, v3 dst_sel:DWORD dst_unused:UNUSED_PAD src0_sel:DWORD src1_sel:WORD_0
	v_lshl_add_u32 v2, v2, 10, 0x2000
	v_lshlrev_b32_e32 v1, 23, v1
	v_and_or_b32 v2, 0x8000, v3, v2
	v_lshl_or_b32 v1, v2, 16, v1
.LBB292_876:                            ;   in Loop: Header=BB292_796 Depth=1
	s_or_b32 exec_lo, exec_lo, s19
.LBB292_877:                            ;   in Loop: Header=BB292_796 Depth=1
	s_or_b32 exec_lo, exec_lo, s18
.LBB292_878:                            ;   in Loop: Header=BB292_796 Depth=1
	s_or_b32 exec_lo, exec_lo, s15
	v_lshrrev_b32_e32 v2, 16, v11
	v_mov_b32_e32 v19, 0
	v_mov_b32_e32 v28, 0
	v_cmp_ne_u16_sdwa s4, v2, v4 src0_sel:BYTE_0 src1_sel:DWORD
	s_and_saveexec_b32 s15, s4
	s_cbranch_execz .LBB292_886
; %bb.879:                              ;   in Loop: Header=BB292_796 Depth=1
	v_cmp_ne_u16_sdwa s4, v2, v39 src0_sel:BYTE_0 src1_sel:DWORD
	v_mov_b32_e32 v28, 0x8000
	s_and_saveexec_b32 s18, s4
	s_cbranch_execz .LBB292_885
; %bb.880:                              ;   in Loop: Header=BB292_796 Depth=1
	v_bfe_u32 v82, v11, 16, 7
	v_mov_b32_e32 v28, 0x7c01
	s_mov_b32 s19, exec_lo
	v_cmpx_ne_u32_e32 0x7f, v82
	s_cbranch_execz .LBB292_884
; %bb.881:                              ;   in Loop: Header=BB292_796 Depth=1
	v_and_b32_e32 v3, 7, v2
	v_lshrrev_b32_e32 v26, 3, v82
	s_mov_b32 s20, exec_lo
	v_cmpx_gt_u32_e32 8, v82
; %bb.882:                              ;   in Loop: Header=BB292_796 Depth=1
	v_ffbh_u32_e32 v3, v3
	v_min_u32_e32 v3, 32, v3
	v_subrev_nc_u32_e32 v26, 28, v3
	v_lshlrev_b64 v[28:29], v26, v[2:3]
	v_sub_nc_u32_e32 v26, 29, v3
	v_and_b32_e32 v3, 7, v28
; %bb.883:                              ;   in Loop: Header=BB292_796 Depth=1
	s_or_b32 exec_lo, exec_lo, s20
	v_lshlrev_b32_e32 v2, 8, v2
	v_lshl_add_u32 v26, v26, 10, 0x2000
	v_lshlrev_b32_e32 v3, 7, v3
	v_and_b32_e32 v2, 0x8000, v2
	v_and_b32_e32 v26, 0xfc00, v26
	v_or3_b32 v28, v2, v26, v3
.LBB292_884:                            ;   in Loop: Header=BB292_796 Depth=1
	s_or_b32 exec_lo, exec_lo, s19
.LBB292_885:                            ;   in Loop: Header=BB292_796 Depth=1
	s_or_b32 exec_lo, exec_lo, s18
.LBB292_886:                            ;   in Loop: Header=BB292_796 Depth=1
	s_or_b32 exec_lo, exec_lo, s15
	s_mov_b32 s15, exec_lo
	v_cmpx_lt_u32_e32 0xffffff, v11
	s_cbranch_execz .LBB292_894
; %bb.887:                              ;   in Loop: Header=BB292_796 Depth=1
	v_lshrrev_b32_e32 v3, 24, v11
	v_bfrev_b32_e32 v19, 1
	s_mov_b32 s18, exec_lo
	v_cmpx_ne_u32_e32 0x80, v3
	s_cbranch_execz .LBB292_893
; %bb.888:                              ;   in Loop: Header=BB292_796 Depth=1
	v_and_b32_e32 v26, 0x7f, v3
	v_mov_b32_e32 v19, 0x7c010000
	s_mov_b32 s19, exec_lo
	v_cmpx_ne_u32_e32 0x7f, v26
	s_cbranch_execz .LBB292_892
; %bb.889:                              ;   in Loop: Header=BB292_796 Depth=1
	v_and_b32_e32 v2, 7, v3
	v_lshrrev_b32_e32 v19, 3, v26
	s_mov_b32 s20, exec_lo
	v_cmpx_gt_u32_e32 8, v26
; %bb.890:                              ;   in Loop: Header=BB292_796 Depth=1
	v_ffbh_u32_e32 v2, v2
	v_min_u32_e32 v2, 32, v2
	v_subrev_nc_u32_e32 v19, 28, v2
	v_lshlrev_b64 v[82:83], v19, v[3:4]
	v_sub_nc_u32_e32 v19, 29, v2
	v_and_b32_e32 v2, 7, v82
; %bb.891:                              ;   in Loop: Header=BB292_796 Depth=1
	s_or_b32 exec_lo, exec_lo, s20
	v_lshlrev_b32_e32 v3, 8, v3
	v_lshl_add_u32 v19, v19, 10, 0x2000
	v_lshlrev_b32_e32 v2, 23, v2
	v_and_or_b32 v3, 0x8000, v3, v19
	v_lshl_or_b32 v19, v3, 16, v2
.LBB292_892:                            ;   in Loop: Header=BB292_796 Depth=1
	s_or_b32 exec_lo, exec_lo, s19
.LBB292_893:                            ;   in Loop: Header=BB292_796 Depth=1
	s_or_b32 exec_lo, exec_lo, s18
.LBB292_894:                            ;   in Loop: Header=BB292_796 Depth=1
	s_or_b32 exec_lo, exec_lo, s15
	v_mov_b32_e32 v3, v12
	v_cmp_ne_u16_sdwa s4, v12, v4 src0_sel:BYTE_0 src1_sel:DWORD
	v_mov_b32_e32 v82, 0
	v_mov_b32_e32 v26, 0
	s_and_saveexec_b32 s15, s4
	s_cbranch_execz .LBB292_902
; %bb.895:                              ;   in Loop: Header=BB292_796 Depth=1
	v_cmp_ne_u16_sdwa s4, v12, v39 src0_sel:BYTE_0 src1_sel:DWORD
	v_mov_b32_e32 v26, 0x8000
	s_and_saveexec_b32 s18, s4
	s_cbranch_execz .LBB292_901
; %bb.896:                              ;   in Loop: Header=BB292_796 Depth=1
	v_and_b32_e32 v83, 0x7f, v12
	v_mov_b32_e32 v26, 0x7c01
	s_mov_b32 s19, exec_lo
	v_cmpx_ne_u32_e32 0x7f, v83
	s_cbranch_execz .LBB292_900
; %bb.897:                              ;   in Loop: Header=BB292_796 Depth=1
	v_and_b32_e32 v2, 7, v12
	v_lshrrev_b32_e32 v26, 3, v83
	s_mov_b32 s20, exec_lo
	v_cmpx_gt_u32_e32 8, v83
; %bb.898:                              ;   in Loop: Header=BB292_796 Depth=1
	v_ffbh_u32_e32 v2, v2
	v_min_u32_e32 v2, 32, v2
	v_subrev_nc_u32_e32 v26, 28, v2
	v_lshlrev_b64 v[83:84], v26, v[3:4]
	v_sub_nc_u32_e32 v26, 29, v2
	v_and_b32_e32 v2, 7, v83
; %bb.899:                              ;   in Loop: Header=BB292_796 Depth=1
	s_or_b32 exec_lo, exec_lo, s20
	v_lshlrev_b32_e32 v29, 8, v12
	v_lshl_add_u32 v26, v26, 10, 0x2000
	v_lshlrev_b32_e32 v2, 7, v2
	v_and_b32_e32 v29, 0x8000, v29
	v_and_b32_e32 v26, 0xfc00, v26
	v_or3_b32 v26, v29, v26, v2
.LBB292_900:                            ;   in Loop: Header=BB292_796 Depth=1
	s_or_b32 exec_lo, exec_lo, s19
.LBB292_901:                            ;   in Loop: Header=BB292_796 Depth=1
	s_or_b32 exec_lo, exec_lo, s18
.LBB292_902:                            ;   in Loop: Header=BB292_796 Depth=1
	s_or_b32 exec_lo, exec_lo, s15
	v_lshrrev_b16 v3, 8, v3
	v_mov_b32_e32 v83, 0
	s_mov_b32 s15, exec_lo
	v_cmpx_ne_u16_e32 0, v3
	s_cbranch_execz .LBB292_910
; %bb.903:                              ;   in Loop: Header=BB292_796 Depth=1
	v_bfrev_b32_e32 v83, 1
	s_mov_b32 s18, exec_lo
	v_cmpx_ne_u16_e32 0x80, v3
	s_cbranch_execz .LBB292_909
; %bb.904:                              ;   in Loop: Header=BB292_796 Depth=1
	v_and_b32_sdwa v84, v3, v48 dst_sel:DWORD dst_unused:UNUSED_PAD src0_sel:WORD_0 src1_sel:DWORD
	v_mov_b32_e32 v83, 0x7c010000
	s_mov_b32 s19, exec_lo
	v_cmpx_ne_u32_e32 0x7f, v84
	s_cbranch_execz .LBB292_908
; %bb.905:                              ;   in Loop: Header=BB292_796 Depth=1
	v_and_b32_sdwa v2, v3, v49 dst_sel:DWORD dst_unused:UNUSED_PAD src0_sel:WORD_0 src1_sel:DWORD
	v_lshrrev_b32_e32 v83, 3, v84
	s_mov_b32 s20, exec_lo
	v_cmpx_gt_u32_e32 8, v84
; %bb.906:                              ;   in Loop: Header=BB292_796 Depth=1
	v_ffbh_u32_e32 v2, v2
	v_min_u32_e32 v2, 32, v2
	v_subrev_nc_u32_e32 v29, 28, v2
	v_sub_nc_u32_e32 v83, 29, v2
	v_lshlrev_b64 v[84:85], v29, v[3:4]
	v_and_b32_e32 v2, 7, v84
; %bb.907:                              ;   in Loop: Header=BB292_796 Depth=1
	s_or_b32 exec_lo, exec_lo, s20
	v_lshlrev_b32_sdwa v3, v50, v3 dst_sel:DWORD dst_unused:UNUSED_PAD src0_sel:DWORD src1_sel:WORD_0
	v_lshl_add_u32 v29, v83, 10, 0x2000
	v_lshlrev_b32_e32 v2, 23, v2
	v_and_or_b32 v3, 0x8000, v3, v29
	v_lshl_or_b32 v83, v3, 16, v2
.LBB292_908:                            ;   in Loop: Header=BB292_796 Depth=1
	s_or_b32 exec_lo, exec_lo, s19
.LBB292_909:                            ;   in Loop: Header=BB292_796 Depth=1
	s_or_b32 exec_lo, exec_lo, s18
.LBB292_910:                            ;   in Loop: Header=BB292_796 Depth=1
	s_or_b32 exec_lo, exec_lo, s15
	v_lshrrev_b32_e32 v2, 16, v12
	v_cmp_ne_u16_sdwa s4, v2, v4 src0_sel:BYTE_0 src1_sel:DWORD
	s_and_saveexec_b32 s15, s4
	s_cbranch_execz .LBB292_918
; %bb.911:                              ;   in Loop: Header=BB292_796 Depth=1
	v_cmp_ne_u16_sdwa s4, v2, v39 src0_sel:BYTE_0 src1_sel:DWORD
	v_mov_b32_e32 v82, 0x8000
	s_and_saveexec_b32 s18, s4
	s_cbranch_execz .LBB292_917
; %bb.912:                              ;   in Loop: Header=BB292_796 Depth=1
	v_bfe_u32 v84, v12, 16, 7
	v_mov_b32_e32 v82, 0x7c01
	s_mov_b32 s19, exec_lo
	v_cmpx_ne_u32_e32 0x7f, v84
	s_cbranch_execz .LBB292_916
; %bb.913:                              ;   in Loop: Header=BB292_796 Depth=1
	v_and_b32_e32 v3, 7, v2
	v_lshrrev_b32_e32 v82, 3, v84
	s_mov_b32 s20, exec_lo
	v_cmpx_gt_u32_e32 8, v84
; %bb.914:                              ;   in Loop: Header=BB292_796 Depth=1
	v_ffbh_u32_e32 v3, v3
	v_min_u32_e32 v3, 32, v3
	v_subrev_nc_u32_e32 v29, 28, v3
	v_sub_nc_u32_e32 v82, 29, v3
	v_lshlrev_b64 v[84:85], v29, v[2:3]
	v_and_b32_e32 v3, 7, v84
; %bb.915:                              ;   in Loop: Header=BB292_796 Depth=1
	s_or_b32 exec_lo, exec_lo, s20
	v_lshlrev_b32_e32 v2, 8, v2
	v_lshl_add_u32 v29, v82, 10, 0x2000
	v_lshlrev_b32_e32 v3, 7, v3
	v_and_b32_e32 v2, 0x8000, v2
	v_and_b32_e32 v29, 0xfc00, v29
	v_or3_b32 v82, v2, v29, v3
.LBB292_916:                            ;   in Loop: Header=BB292_796 Depth=1
	s_or_b32 exec_lo, exec_lo, s19
.LBB292_917:                            ;   in Loop: Header=BB292_796 Depth=1
	s_or_b32 exec_lo, exec_lo, s18
.LBB292_918:                            ;   in Loop: Header=BB292_796 Depth=1
	s_or_b32 exec_lo, exec_lo, s15
	v_mov_b32_e32 v2, 0
	s_mov_b32 s15, exec_lo
	v_cmpx_lt_u64_e64 s[6:7], v[11:12]
	s_cbranch_execz .LBB292_926
; %bb.919:                              ;   in Loop: Header=BB292_796 Depth=1
	v_lshrrev_b32_e32 v3, 24, v12
	v_bfrev_b32_e32 v2, 1
	s_mov_b32 s18, exec_lo
	v_cmpx_ne_u32_e32 0x80, v3
	s_cbranch_execz .LBB292_925
; %bb.920:                              ;   in Loop: Header=BB292_796 Depth=1
	v_and_b32_e32 v12, 0x7f, v3
	v_mov_b32_e32 v2, 0x7c010000
	s_mov_b32 s19, exec_lo
	v_cmpx_ne_u32_e32 0x7f, v12
	s_cbranch_execz .LBB292_924
; %bb.921:                              ;   in Loop: Header=BB292_796 Depth=1
	v_and_b32_e32 v2, 7, v3
	v_lshrrev_b32_e32 v11, 3, v12
	s_mov_b32 s20, exec_lo
	v_cmpx_gt_u32_e32 8, v12
; %bb.922:                              ;   in Loop: Header=BB292_796 Depth=1
	v_ffbh_u32_e32 v2, v2
	v_min_u32_e32 v2, 32, v2
	v_subrev_nc_u32_e32 v11, 28, v2
	v_lshlrev_b64 v[84:85], v11, v[3:4]
	v_sub_nc_u32_e32 v11, 29, v2
	v_and_b32_e32 v2, 7, v84
; %bb.923:                              ;   in Loop: Header=BB292_796 Depth=1
	s_or_b32 exec_lo, exec_lo, s20
	v_lshlrev_b32_e32 v3, 8, v3
	v_lshl_add_u32 v11, v11, 10, 0x2000
	v_lshlrev_b32_e32 v2, 23, v2
	v_and_or_b32 v3, 0x8000, v3, v11
	v_lshl_or_b32 v2, v3, 16, v2
.LBB292_924:                            ;   in Loop: Header=BB292_796 Depth=1
	s_or_b32 exec_lo, exec_lo, s19
.LBB292_925:                            ;   in Loop: Header=BB292_796 Depth=1
	s_or_b32 exec_lo, exec_lo, s18
.LBB292_926:                            ;   in Loop: Header=BB292_796 Depth=1
	s_or_b32 exec_lo, exec_lo, s15
	v_or_b32_e32 v3, v19, v28
	s_waitcnt vmcnt(0) lgkmcnt(0)
	v_fma_mixlo_f16 v11, v0, v19, 0 op_sel:[0,1,0] op_sel_hi:[0,1,0]
	v_or_b32_e32 v19, v1, v81
	v_or_b32_e32 v26, v83, v26
	;; [unrolled: 1-line block ×3, first 2 shown]
	v_fma_mixlo_f16 v12, v0, v1, 0 op_sel:[0,1,0] op_sel_hi:[0,1,0]
	v_fma_mixlo_f16 v3, v0, v3, 0 op_sel_hi:[0,1,0]
	v_lshlrev_b32_e32 v1, 16, v11
	v_fma_mixlo_f16 v11, v0, v19, 0 op_sel_hi:[0,1,0]
	v_fma_mixlo_f16 v19, v0, v83, 0 op_sel:[0,1,0] op_sel_hi:[0,1,0]
	v_fma_mixlo_f16 v26, v0, v26, 0 op_sel_hi:[0,1,0]
	v_fma_mixlo_f16 v29, v0, v2, 0 op_sel:[0,1,0] op_sel_hi:[0,1,0]
	v_fma_mixlo_f16 v28, v0, v28, 0 op_sel_hi:[0,1,0]
	v_lshlrev_b32_e32 v12, 16, v12
	v_and_b32_e32 v3, 0xffff, v3
	v_and_b32_e32 v83, 0xffff, v11
	v_lshlrev_b32_e32 v2, 16, v19
	v_and_b32_e32 v26, 0xffff, v26
	v_lshlrev_b32_e32 v0, 16, v29
	v_and_b32_e32 v11, 0xffff, v28
	v_or_b32_e32 v19, v1, v3
	v_or_b32_e32 v82, v12, v83
	;; [unrolled: 1-line block ×4, first 2 shown]
	s_and_saveexec_b32 s15, vcc_lo
	s_cbranch_execz .LBB292_928
; %bb.927:                              ;   in Loop: Header=BB292_796 Depth=1
	v_cmp_lt_i32_e64 s4, v52, v27
	v_cndmask_b32_e64 v19, 0, v83, s4
	v_cmp_lt_i32_e64 s4, v80, v27
	v_cndmask_b32_e64 v12, 0, v12, s4
	v_cmp_lt_i32_e64 s4, v71, v27
	v_or_b32_e32 v82, v19, v12
	v_cndmask_b32_e64 v3, 0, v3, s4
	v_cmp_lt_i32_e64 s4, v69, v27
	v_cndmask_b32_e64 v1, 0, v1, s4
	v_cmp_lt_i32_e64 s4, v66, v27
	v_or_b32_e32 v19, v3, v1
	v_cndmask_b32_e64 v26, 0, v26, s4
	v_cmp_lt_i32_e64 s4, v64, v27
	v_cndmask_b32_e64 v2, 0, v2, s4
	v_cmp_lt_i32_e64 s4, v53, v27
	v_or_b32_e32 v81, v26, v2
	v_cndmask_b32_e64 v11, 0, v11, s4
	v_cmp_lt_i32_e64 s4, v31, v27
	v_cndmask_b32_e64 v0, 0, v0, s4
	v_or_b32_e32 v28, v11, v0
.LBB292_928:                            ;   in Loop: Header=BB292_796 Depth=1
	s_or_b32 exec_lo, exec_lo, s15
	;;#ASMSTART
	v_pk_mul_f16 v0, v68, v82;

	;;#ASMEND
	;;#ASMSTART
	v_pk_mul_f16 v1, v65, v19;

	;;#ASMEND
	;; [unrolled: 4-line block ×4, first 2 shown]
	;;#ASMSTART
	v_pk_add_f16 v0, v0, v1;

	;;#ASMEND
	;;#ASMSTART
	v_pk_add_f16 v0, v0, v2;

	;;#ASMEND
	;; [unrolled: 4-line block ×3, first 2 shown]
	v_and_b32_e32 v1, 0xffff, v0
	v_lshrrev_b32_e32 v0, 16, v0
	;;#ASMSTART
	v_cvt_f32_f16 v81, v1;
	;;#ASMEND
	;;#ASMSTART
	v_cvt_f32_f16 v82, v0;
	;;#ASMEND
	flat_load_dwordx2 v[11:12], v[9:10] offset:512
	flat_load_dword v0, v[22:23]
	v_mov_b32_e32 v1, 0
	v_mov_b32_e32 v83, 0
	s_waitcnt vmcnt(1) lgkmcnt(1)
	v_cmp_ne_u16_sdwa s4, v11, v4 src0_sel:BYTE_0 src1_sel:DWORD
	s_and_saveexec_b32 s15, s4
	s_cbranch_execz .LBB292_936
; %bb.929:                              ;   in Loop: Header=BB292_796 Depth=1
	v_cmp_ne_u16_sdwa s4, v11, v39 src0_sel:BYTE_0 src1_sel:DWORD
	v_mov_b32_e32 v83, 0x8000
	s_and_saveexec_b32 s18, s4
	s_cbranch_execz .LBB292_935
; %bb.930:                              ;   in Loop: Header=BB292_796 Depth=1
	v_and_b32_e32 v19, 0x7f, v11
	v_mov_b32_e32 v83, 0x7c01
	s_mov_b32 s19, exec_lo
	v_cmpx_ne_u32_e32 0x7f, v19
	s_cbranch_execz .LBB292_934
; %bb.931:                              ;   in Loop: Header=BB292_796 Depth=1
	v_and_b32_e32 v2, 7, v11
	v_lshrrev_b32_e32 v3, 3, v19
	s_mov_b32 s20, exec_lo
	v_cmpx_gt_u32_e32 8, v19
; %bb.932:                              ;   in Loop: Header=BB292_796 Depth=1
	v_ffbh_u32_e32 v2, v2
	v_min_u32_e32 v19, 32, v2
	v_subrev_nc_u32_e32 v2, 28, v19
	v_lshlrev_b64 v[2:3], v2, v[11:12]
	v_sub_nc_u32_e32 v3, 29, v19
	v_and_b32_e32 v2, 7, v2
; %bb.933:                              ;   in Loop: Header=BB292_796 Depth=1
	s_or_b32 exec_lo, exec_lo, s20
	v_lshlrev_b32_e32 v19, 8, v11
	v_lshl_add_u32 v3, v3, 10, 0x2000
	v_lshlrev_b32_e32 v2, 7, v2
	v_and_b32_e32 v19, 0x8000, v19
	v_and_b32_e32 v3, 0xfc00, v3
	v_or3_b32 v83, v19, v3, v2
.LBB292_934:                            ;   in Loop: Header=BB292_796 Depth=1
	s_or_b32 exec_lo, exec_lo, s19
.LBB292_935:                            ;   in Loop: Header=BB292_796 Depth=1
	s_or_b32 exec_lo, exec_lo, s18
.LBB292_936:                            ;   in Loop: Header=BB292_796 Depth=1
	s_or_b32 exec_lo, exec_lo, s15
	v_lshrrev_b16 v3, 8, v11
	s_mov_b32 s15, exec_lo
	v_cmpx_ne_u16_e32 0, v3
	s_cbranch_execz .LBB292_944
; %bb.937:                              ;   in Loop: Header=BB292_796 Depth=1
	v_bfrev_b32_e32 v1, 1
	s_mov_b32 s18, exec_lo
	v_cmpx_ne_u16_e32 0x80, v3
	s_cbranch_execz .LBB292_943
; %bb.938:                              ;   in Loop: Header=BB292_796 Depth=1
	v_and_b32_sdwa v19, v3, v48 dst_sel:DWORD dst_unused:UNUSED_PAD src0_sel:WORD_0 src1_sel:DWORD
	v_mov_b32_e32 v1, 0x7c010000
	s_mov_b32 s19, exec_lo
	v_cmpx_ne_u32_e32 0x7f, v19
	s_cbranch_execz .LBB292_942
; %bb.939:                              ;   in Loop: Header=BB292_796 Depth=1
	v_and_b32_sdwa v1, v3, v49 dst_sel:DWORD dst_unused:UNUSED_PAD src0_sel:WORD_0 src1_sel:DWORD
	v_lshrrev_b32_e32 v2, 3, v19
	s_mov_b32 s20, exec_lo
	v_cmpx_gt_u32_e32 8, v19
; %bb.940:                              ;   in Loop: Header=BB292_796 Depth=1
	v_ffbh_u32_e32 v1, v1
	v_min_u32_e32 v19, 32, v1
	v_subrev_nc_u32_e32 v1, 28, v19
	v_lshlrev_b64 v[1:2], v1, v[3:4]
	v_sub_nc_u32_e32 v2, 29, v19
	v_and_b32_e32 v1, 7, v1
; %bb.941:                              ;   in Loop: Header=BB292_796 Depth=1
	s_or_b32 exec_lo, exec_lo, s20
	v_lshlrev_b32_sdwa v3, v50, v3 dst_sel:DWORD dst_unused:UNUSED_PAD src0_sel:DWORD src1_sel:WORD_0
	v_lshl_add_u32 v2, v2, 10, 0x2000
	v_lshlrev_b32_e32 v1, 23, v1
	v_and_or_b32 v2, 0x8000, v3, v2
	v_lshl_or_b32 v1, v2, 16, v1
.LBB292_942:                            ;   in Loop: Header=BB292_796 Depth=1
	s_or_b32 exec_lo, exec_lo, s19
.LBB292_943:                            ;   in Loop: Header=BB292_796 Depth=1
	s_or_b32 exec_lo, exec_lo, s18
.LBB292_944:                            ;   in Loop: Header=BB292_796 Depth=1
	s_or_b32 exec_lo, exec_lo, s15
	v_lshrrev_b32_e32 v2, 16, v11
	v_mov_b32_e32 v19, 0
	v_mov_b32_e32 v28, 0
	v_cmp_ne_u16_sdwa s4, v2, v4 src0_sel:BYTE_0 src1_sel:DWORD
	s_and_saveexec_b32 s15, s4
	s_cbranch_execz .LBB292_952
; %bb.945:                              ;   in Loop: Header=BB292_796 Depth=1
	v_cmp_ne_u16_sdwa s4, v2, v39 src0_sel:BYTE_0 src1_sel:DWORD
	v_mov_b32_e32 v28, 0x8000
	s_and_saveexec_b32 s18, s4
	s_cbranch_execz .LBB292_951
; %bb.946:                              ;   in Loop: Header=BB292_796 Depth=1
	v_bfe_u32 v84, v11, 16, 7
	v_mov_b32_e32 v28, 0x7c01
	s_mov_b32 s19, exec_lo
	v_cmpx_ne_u32_e32 0x7f, v84
	s_cbranch_execz .LBB292_950
; %bb.947:                              ;   in Loop: Header=BB292_796 Depth=1
	v_and_b32_e32 v3, 7, v2
	v_lshrrev_b32_e32 v26, 3, v84
	s_mov_b32 s20, exec_lo
	v_cmpx_gt_u32_e32 8, v84
; %bb.948:                              ;   in Loop: Header=BB292_796 Depth=1
	v_ffbh_u32_e32 v3, v3
	v_min_u32_e32 v3, 32, v3
	v_subrev_nc_u32_e32 v26, 28, v3
	v_lshlrev_b64 v[28:29], v26, v[2:3]
	v_sub_nc_u32_e32 v26, 29, v3
	v_and_b32_e32 v3, 7, v28
; %bb.949:                              ;   in Loop: Header=BB292_796 Depth=1
	s_or_b32 exec_lo, exec_lo, s20
	v_lshlrev_b32_e32 v2, 8, v2
	v_lshl_add_u32 v26, v26, 10, 0x2000
	v_lshlrev_b32_e32 v3, 7, v3
	v_and_b32_e32 v2, 0x8000, v2
	v_and_b32_e32 v26, 0xfc00, v26
	v_or3_b32 v28, v2, v26, v3
.LBB292_950:                            ;   in Loop: Header=BB292_796 Depth=1
	s_or_b32 exec_lo, exec_lo, s19
.LBB292_951:                            ;   in Loop: Header=BB292_796 Depth=1
	s_or_b32 exec_lo, exec_lo, s18
.LBB292_952:                            ;   in Loop: Header=BB292_796 Depth=1
	s_or_b32 exec_lo, exec_lo, s15
	s_mov_b32 s15, exec_lo
	v_cmpx_lt_u32_e32 0xffffff, v11
	s_cbranch_execz .LBB292_960
; %bb.953:                              ;   in Loop: Header=BB292_796 Depth=1
	v_lshrrev_b32_e32 v3, 24, v11
	v_bfrev_b32_e32 v19, 1
	s_mov_b32 s18, exec_lo
	v_cmpx_ne_u32_e32 0x80, v3
	s_cbranch_execz .LBB292_959
; %bb.954:                              ;   in Loop: Header=BB292_796 Depth=1
	v_and_b32_e32 v26, 0x7f, v3
	v_mov_b32_e32 v19, 0x7c010000
	s_mov_b32 s19, exec_lo
	v_cmpx_ne_u32_e32 0x7f, v26
	s_cbranch_execz .LBB292_958
; %bb.955:                              ;   in Loop: Header=BB292_796 Depth=1
	v_and_b32_e32 v2, 7, v3
	v_lshrrev_b32_e32 v19, 3, v26
	s_mov_b32 s20, exec_lo
	v_cmpx_gt_u32_e32 8, v26
; %bb.956:                              ;   in Loop: Header=BB292_796 Depth=1
	v_ffbh_u32_e32 v2, v2
	v_min_u32_e32 v2, 32, v2
	v_subrev_nc_u32_e32 v19, 28, v2
	v_lshlrev_b64 v[84:85], v19, v[3:4]
	v_sub_nc_u32_e32 v19, 29, v2
	v_and_b32_e32 v2, 7, v84
; %bb.957:                              ;   in Loop: Header=BB292_796 Depth=1
	s_or_b32 exec_lo, exec_lo, s20
	v_lshlrev_b32_e32 v3, 8, v3
	v_lshl_add_u32 v19, v19, 10, 0x2000
	v_lshlrev_b32_e32 v2, 23, v2
	v_and_or_b32 v3, 0x8000, v3, v19
	v_lshl_or_b32 v19, v3, 16, v2
.LBB292_958:                            ;   in Loop: Header=BB292_796 Depth=1
	s_or_b32 exec_lo, exec_lo, s19
.LBB292_959:                            ;   in Loop: Header=BB292_796 Depth=1
	s_or_b32 exec_lo, exec_lo, s18
.LBB292_960:                            ;   in Loop: Header=BB292_796 Depth=1
	s_or_b32 exec_lo, exec_lo, s15
	v_mov_b32_e32 v3, v12
	v_cmp_ne_u16_sdwa s4, v12, v4 src0_sel:BYTE_0 src1_sel:DWORD
	v_mov_b32_e32 v84, 0
	v_mov_b32_e32 v26, 0
	s_and_saveexec_b32 s15, s4
	s_cbranch_execz .LBB292_968
; %bb.961:                              ;   in Loop: Header=BB292_796 Depth=1
	v_cmp_ne_u16_sdwa s4, v12, v39 src0_sel:BYTE_0 src1_sel:DWORD
	v_mov_b32_e32 v26, 0x8000
	s_and_saveexec_b32 s18, s4
	s_cbranch_execz .LBB292_967
; %bb.962:                              ;   in Loop: Header=BB292_796 Depth=1
	v_and_b32_e32 v85, 0x7f, v12
	v_mov_b32_e32 v26, 0x7c01
	s_mov_b32 s19, exec_lo
	v_cmpx_ne_u32_e32 0x7f, v85
	s_cbranch_execz .LBB292_966
; %bb.963:                              ;   in Loop: Header=BB292_796 Depth=1
	v_and_b32_e32 v2, 7, v12
	v_lshrrev_b32_e32 v26, 3, v85
	s_mov_b32 s20, exec_lo
	v_cmpx_gt_u32_e32 8, v85
; %bb.964:                              ;   in Loop: Header=BB292_796 Depth=1
	v_ffbh_u32_e32 v2, v2
	v_min_u32_e32 v2, 32, v2
	v_subrev_nc_u32_e32 v26, 28, v2
	v_lshlrev_b64 v[85:86], v26, v[3:4]
	v_sub_nc_u32_e32 v26, 29, v2
	v_and_b32_e32 v2, 7, v85
; %bb.965:                              ;   in Loop: Header=BB292_796 Depth=1
	s_or_b32 exec_lo, exec_lo, s20
	v_lshlrev_b32_e32 v29, 8, v12
	v_lshl_add_u32 v26, v26, 10, 0x2000
	v_lshlrev_b32_e32 v2, 7, v2
	v_and_b32_e32 v29, 0x8000, v29
	v_and_b32_e32 v26, 0xfc00, v26
	v_or3_b32 v26, v29, v26, v2
.LBB292_966:                            ;   in Loop: Header=BB292_796 Depth=1
	s_or_b32 exec_lo, exec_lo, s19
.LBB292_967:                            ;   in Loop: Header=BB292_796 Depth=1
	s_or_b32 exec_lo, exec_lo, s18
.LBB292_968:                            ;   in Loop: Header=BB292_796 Depth=1
	s_or_b32 exec_lo, exec_lo, s15
	v_lshrrev_b16 v3, 8, v3
	v_mov_b32_e32 v85, 0
	s_mov_b32 s15, exec_lo
	v_cmpx_ne_u16_e32 0, v3
	s_cbranch_execz .LBB292_976
; %bb.969:                              ;   in Loop: Header=BB292_796 Depth=1
	v_bfrev_b32_e32 v85, 1
	s_mov_b32 s18, exec_lo
	v_cmpx_ne_u16_e32 0x80, v3
	s_cbranch_execz .LBB292_975
; %bb.970:                              ;   in Loop: Header=BB292_796 Depth=1
	v_and_b32_sdwa v86, v3, v48 dst_sel:DWORD dst_unused:UNUSED_PAD src0_sel:WORD_0 src1_sel:DWORD
	v_mov_b32_e32 v85, 0x7c010000
	s_mov_b32 s19, exec_lo
	v_cmpx_ne_u32_e32 0x7f, v86
	s_cbranch_execz .LBB292_974
; %bb.971:                              ;   in Loop: Header=BB292_796 Depth=1
	v_and_b32_sdwa v2, v3, v49 dst_sel:DWORD dst_unused:UNUSED_PAD src0_sel:WORD_0 src1_sel:DWORD
	v_lshrrev_b32_e32 v85, 3, v86
	s_mov_b32 s20, exec_lo
	v_cmpx_gt_u32_e32 8, v86
; %bb.972:                              ;   in Loop: Header=BB292_796 Depth=1
	v_ffbh_u32_e32 v2, v2
	v_min_u32_e32 v2, 32, v2
	v_subrev_nc_u32_e32 v29, 28, v2
	v_sub_nc_u32_e32 v85, 29, v2
	v_lshlrev_b64 v[86:87], v29, v[3:4]
	v_and_b32_e32 v2, 7, v86
; %bb.973:                              ;   in Loop: Header=BB292_796 Depth=1
	s_or_b32 exec_lo, exec_lo, s20
	v_lshlrev_b32_sdwa v3, v50, v3 dst_sel:DWORD dst_unused:UNUSED_PAD src0_sel:DWORD src1_sel:WORD_0
	v_lshl_add_u32 v29, v85, 10, 0x2000
	v_lshlrev_b32_e32 v2, 23, v2
	v_and_or_b32 v3, 0x8000, v3, v29
	v_lshl_or_b32 v85, v3, 16, v2
.LBB292_974:                            ;   in Loop: Header=BB292_796 Depth=1
	s_or_b32 exec_lo, exec_lo, s19
.LBB292_975:                            ;   in Loop: Header=BB292_796 Depth=1
	s_or_b32 exec_lo, exec_lo, s18
.LBB292_976:                            ;   in Loop: Header=BB292_796 Depth=1
	s_or_b32 exec_lo, exec_lo, s15
	v_lshrrev_b32_e32 v2, 16, v12
	v_cmp_ne_u16_sdwa s4, v2, v4 src0_sel:BYTE_0 src1_sel:DWORD
	s_and_saveexec_b32 s15, s4
	s_cbranch_execz .LBB292_984
; %bb.977:                              ;   in Loop: Header=BB292_796 Depth=1
	v_cmp_ne_u16_sdwa s4, v2, v39 src0_sel:BYTE_0 src1_sel:DWORD
	v_mov_b32_e32 v84, 0x8000
	s_and_saveexec_b32 s18, s4
	s_cbranch_execz .LBB292_983
; %bb.978:                              ;   in Loop: Header=BB292_796 Depth=1
	v_bfe_u32 v86, v12, 16, 7
	v_mov_b32_e32 v84, 0x7c01
	s_mov_b32 s19, exec_lo
	v_cmpx_ne_u32_e32 0x7f, v86
	s_cbranch_execz .LBB292_982
; %bb.979:                              ;   in Loop: Header=BB292_796 Depth=1
	v_and_b32_e32 v3, 7, v2
	v_lshrrev_b32_e32 v84, 3, v86
	s_mov_b32 s20, exec_lo
	v_cmpx_gt_u32_e32 8, v86
; %bb.980:                              ;   in Loop: Header=BB292_796 Depth=1
	v_ffbh_u32_e32 v3, v3
	v_min_u32_e32 v3, 32, v3
	v_subrev_nc_u32_e32 v29, 28, v3
	v_sub_nc_u32_e32 v84, 29, v3
	v_lshlrev_b64 v[86:87], v29, v[2:3]
	v_and_b32_e32 v3, 7, v86
; %bb.981:                              ;   in Loop: Header=BB292_796 Depth=1
	s_or_b32 exec_lo, exec_lo, s20
	v_lshlrev_b32_e32 v2, 8, v2
	v_lshl_add_u32 v29, v84, 10, 0x2000
	v_lshlrev_b32_e32 v3, 7, v3
	v_and_b32_e32 v2, 0x8000, v2
	v_and_b32_e32 v29, 0xfc00, v29
	v_or3_b32 v84, v2, v29, v3
.LBB292_982:                            ;   in Loop: Header=BB292_796 Depth=1
	s_or_b32 exec_lo, exec_lo, s19
.LBB292_983:                            ;   in Loop: Header=BB292_796 Depth=1
	s_or_b32 exec_lo, exec_lo, s18
.LBB292_984:                            ;   in Loop: Header=BB292_796 Depth=1
	s_or_b32 exec_lo, exec_lo, s15
	v_mov_b32_e32 v2, 0
	s_mov_b32 s15, exec_lo
	v_cmpx_lt_u64_e64 s[6:7], v[11:12]
	s_cbranch_execz .LBB292_992
; %bb.985:                              ;   in Loop: Header=BB292_796 Depth=1
	v_lshrrev_b32_e32 v3, 24, v12
	v_bfrev_b32_e32 v2, 1
	s_mov_b32 s18, exec_lo
	v_cmpx_ne_u32_e32 0x80, v3
	s_cbranch_execz .LBB292_991
; %bb.986:                              ;   in Loop: Header=BB292_796 Depth=1
	v_and_b32_e32 v12, 0x7f, v3
	v_mov_b32_e32 v2, 0x7c010000
	s_mov_b32 s19, exec_lo
	v_cmpx_ne_u32_e32 0x7f, v12
	s_cbranch_execz .LBB292_990
; %bb.987:                              ;   in Loop: Header=BB292_796 Depth=1
	v_and_b32_e32 v2, 7, v3
	v_lshrrev_b32_e32 v11, 3, v12
	s_mov_b32 s20, exec_lo
	v_cmpx_gt_u32_e32 8, v12
; %bb.988:                              ;   in Loop: Header=BB292_796 Depth=1
	v_ffbh_u32_e32 v2, v2
	v_min_u32_e32 v2, 32, v2
	v_subrev_nc_u32_e32 v11, 28, v2
	v_lshlrev_b64 v[86:87], v11, v[3:4]
	v_sub_nc_u32_e32 v11, 29, v2
	v_and_b32_e32 v2, 7, v86
; %bb.989:                              ;   in Loop: Header=BB292_796 Depth=1
	s_or_b32 exec_lo, exec_lo, s20
	v_lshlrev_b32_e32 v3, 8, v3
	v_lshl_add_u32 v11, v11, 10, 0x2000
	v_lshlrev_b32_e32 v2, 23, v2
	v_and_or_b32 v3, 0x8000, v3, v11
	v_lshl_or_b32 v2, v3, 16, v2
.LBB292_990:                            ;   in Loop: Header=BB292_796 Depth=1
	s_or_b32 exec_lo, exec_lo, s19
.LBB292_991:                            ;   in Loop: Header=BB292_796 Depth=1
	s_or_b32 exec_lo, exec_lo, s18
.LBB292_992:                            ;   in Loop: Header=BB292_796 Depth=1
	s_or_b32 exec_lo, exec_lo, s15
	v_or_b32_e32 v3, v19, v28
	s_waitcnt vmcnt(0) lgkmcnt(0)
	v_fma_mixlo_f16 v11, v0, v19, 0 op_sel:[0,1,0] op_sel_hi:[0,1,0]
	v_or_b32_e32 v19, v1, v83
	v_or_b32_e32 v26, v85, v26
	v_or_b32_e32 v28, v2, v84
	v_fma_mixlo_f16 v12, v0, v1, 0 op_sel:[0,1,0] op_sel_hi:[0,1,0]
	v_fma_mixlo_f16 v3, v0, v3, 0 op_sel_hi:[0,1,0]
	v_lshlrev_b32_e32 v1, 16, v11
	v_fma_mixlo_f16 v11, v0, v19, 0 op_sel_hi:[0,1,0]
	v_fma_mixlo_f16 v19, v0, v85, 0 op_sel:[0,1,0] op_sel_hi:[0,1,0]
	v_fma_mixlo_f16 v26, v0, v26, 0 op_sel_hi:[0,1,0]
	v_fma_mixlo_f16 v29, v0, v2, 0 op_sel:[0,1,0] op_sel_hi:[0,1,0]
	v_fma_mixlo_f16 v28, v0, v28, 0 op_sel_hi:[0,1,0]
	v_lshlrev_b32_e32 v12, 16, v12
	v_and_b32_e32 v3, 0xffff, v3
	v_and_b32_e32 v85, 0xffff, v11
	v_lshlrev_b32_e32 v2, 16, v19
	v_and_b32_e32 v26, 0xffff, v26
	v_lshlrev_b32_e32 v0, 16, v29
	v_and_b32_e32 v11, 0xffff, v28
	v_or_b32_e32 v19, v1, v3
	v_or_b32_e32 v84, v12, v85
	;; [unrolled: 1-line block ×4, first 2 shown]
	s_and_saveexec_b32 s15, vcc_lo
	s_cbranch_execz .LBB292_994
; %bb.993:                              ;   in Loop: Header=BB292_796 Depth=1
	v_cmp_lt_i32_e64 s4, v52, v27
	v_cndmask_b32_e64 v19, 0, v85, s4
	v_cmp_lt_i32_e64 s4, v80, v27
	v_cndmask_b32_e64 v12, 0, v12, s4
	v_cmp_lt_i32_e64 s4, v71, v27
	v_or_b32_e32 v84, v19, v12
	v_cndmask_b32_e64 v3, 0, v3, s4
	v_cmp_lt_i32_e64 s4, v69, v27
	v_cndmask_b32_e64 v1, 0, v1, s4
	v_cmp_lt_i32_e64 s4, v66, v27
	v_or_b32_e32 v19, v3, v1
	;; [unrolled: 5-line block ×3, first 2 shown]
	v_cndmask_b32_e64 v11, 0, v11, s4
	v_cmp_lt_i32_e64 s4, v31, v27
	v_cndmask_b32_e64 v0, 0, v0, s4
	v_or_b32_e32 v28, v11, v0
.LBB292_994:                            ;   in Loop: Header=BB292_796 Depth=1
	s_or_b32 exec_lo, exec_lo, s15
	;;#ASMSTART
	v_pk_mul_f16 v0, v68, v84;

	;;#ASMEND
	;;#ASMSTART
	v_pk_mul_f16 v1, v65, v19;

	;;#ASMEND
	;; [unrolled: 4-line block ×4, first 2 shown]
	;;#ASMSTART
	v_pk_add_f16 v0, v0, v1;

	;;#ASMEND
	;;#ASMSTART
	v_pk_add_f16 v0, v0, v2;

	;;#ASMEND
	;; [unrolled: 4-line block ×3, first 2 shown]
	v_and_b32_e32 v1, 0xffff, v0
	v_lshrrev_b32_e32 v0, 16, v0
	;;#ASMSTART
	v_cvt_f32_f16 v83, v1;
	;;#ASMEND
	;;#ASMSTART
	v_cvt_f32_f16 v84, v0;
	;;#ASMEND
	flat_load_dwordx2 v[11:12], v[9:10] offset:768
	flat_load_dword v0, v[22:23]
	v_mov_b32_e32 v1, 0
	v_mov_b32_e32 v85, 0
	s_waitcnt vmcnt(1) lgkmcnt(1)
	v_cmp_ne_u16_sdwa s4, v11, v4 src0_sel:BYTE_0 src1_sel:DWORD
	s_and_saveexec_b32 s15, s4
	s_cbranch_execz .LBB292_1002
; %bb.995:                              ;   in Loop: Header=BB292_796 Depth=1
	v_cmp_ne_u16_sdwa s4, v11, v39 src0_sel:BYTE_0 src1_sel:DWORD
	v_mov_b32_e32 v85, 0x8000
	s_and_saveexec_b32 s18, s4
	s_cbranch_execz .LBB292_1001
; %bb.996:                              ;   in Loop: Header=BB292_796 Depth=1
	v_and_b32_e32 v19, 0x7f, v11
	v_mov_b32_e32 v85, 0x7c01
	s_mov_b32 s19, exec_lo
	v_cmpx_ne_u32_e32 0x7f, v19
	s_cbranch_execz .LBB292_1000
; %bb.997:                              ;   in Loop: Header=BB292_796 Depth=1
	v_and_b32_e32 v2, 7, v11
	v_lshrrev_b32_e32 v3, 3, v19
	s_mov_b32 s20, exec_lo
	v_cmpx_gt_u32_e32 8, v19
; %bb.998:                              ;   in Loop: Header=BB292_796 Depth=1
	v_ffbh_u32_e32 v2, v2
	v_min_u32_e32 v19, 32, v2
	v_subrev_nc_u32_e32 v2, 28, v19
	v_lshlrev_b64 v[2:3], v2, v[11:12]
	v_sub_nc_u32_e32 v3, 29, v19
	v_and_b32_e32 v2, 7, v2
; %bb.999:                              ;   in Loop: Header=BB292_796 Depth=1
	s_or_b32 exec_lo, exec_lo, s20
	v_lshlrev_b32_e32 v19, 8, v11
	v_lshl_add_u32 v3, v3, 10, 0x2000
	v_lshlrev_b32_e32 v2, 7, v2
	v_and_b32_e32 v19, 0x8000, v19
	v_and_b32_e32 v3, 0xfc00, v3
	v_or3_b32 v85, v19, v3, v2
.LBB292_1000:                           ;   in Loop: Header=BB292_796 Depth=1
	s_or_b32 exec_lo, exec_lo, s19
.LBB292_1001:                           ;   in Loop: Header=BB292_796 Depth=1
	s_or_b32 exec_lo, exec_lo, s18
.LBB292_1002:                           ;   in Loop: Header=BB292_796 Depth=1
	s_or_b32 exec_lo, exec_lo, s15
	v_lshrrev_b16 v3, 8, v11
	s_mov_b32 s15, exec_lo
	v_cmpx_ne_u16_e32 0, v3
	s_cbranch_execz .LBB292_1010
; %bb.1003:                             ;   in Loop: Header=BB292_796 Depth=1
	v_bfrev_b32_e32 v1, 1
	s_mov_b32 s18, exec_lo
	v_cmpx_ne_u16_e32 0x80, v3
	s_cbranch_execz .LBB292_1009
; %bb.1004:                             ;   in Loop: Header=BB292_796 Depth=1
	v_and_b32_sdwa v19, v3, v48 dst_sel:DWORD dst_unused:UNUSED_PAD src0_sel:WORD_0 src1_sel:DWORD
	v_mov_b32_e32 v1, 0x7c010000
	s_mov_b32 s19, exec_lo
	v_cmpx_ne_u32_e32 0x7f, v19
	s_cbranch_execz .LBB292_1008
; %bb.1005:                             ;   in Loop: Header=BB292_796 Depth=1
	v_and_b32_sdwa v1, v3, v49 dst_sel:DWORD dst_unused:UNUSED_PAD src0_sel:WORD_0 src1_sel:DWORD
	v_lshrrev_b32_e32 v2, 3, v19
	s_mov_b32 s20, exec_lo
	v_cmpx_gt_u32_e32 8, v19
; %bb.1006:                             ;   in Loop: Header=BB292_796 Depth=1
	v_ffbh_u32_e32 v1, v1
	v_min_u32_e32 v19, 32, v1
	v_subrev_nc_u32_e32 v1, 28, v19
	v_lshlrev_b64 v[1:2], v1, v[3:4]
	v_sub_nc_u32_e32 v2, 29, v19
	v_and_b32_e32 v1, 7, v1
; %bb.1007:                             ;   in Loop: Header=BB292_796 Depth=1
	s_or_b32 exec_lo, exec_lo, s20
	v_lshlrev_b32_sdwa v3, v50, v3 dst_sel:DWORD dst_unused:UNUSED_PAD src0_sel:DWORD src1_sel:WORD_0
	v_lshl_add_u32 v2, v2, 10, 0x2000
	v_lshlrev_b32_e32 v1, 23, v1
	v_and_or_b32 v2, 0x8000, v3, v2
	v_lshl_or_b32 v1, v2, 16, v1
.LBB292_1008:                           ;   in Loop: Header=BB292_796 Depth=1
	s_or_b32 exec_lo, exec_lo, s19
.LBB292_1009:                           ;   in Loop: Header=BB292_796 Depth=1
	s_or_b32 exec_lo, exec_lo, s18
.LBB292_1010:                           ;   in Loop: Header=BB292_796 Depth=1
	s_or_b32 exec_lo, exec_lo, s15
	v_lshrrev_b32_e32 v2, 16, v11
	v_mov_b32_e32 v19, 0
	v_mov_b32_e32 v28, 0
	v_cmp_ne_u16_sdwa s4, v2, v4 src0_sel:BYTE_0 src1_sel:DWORD
	s_and_saveexec_b32 s15, s4
	s_cbranch_execz .LBB292_1018
; %bb.1011:                             ;   in Loop: Header=BB292_796 Depth=1
	v_cmp_ne_u16_sdwa s4, v2, v39 src0_sel:BYTE_0 src1_sel:DWORD
	v_mov_b32_e32 v28, 0x8000
	s_and_saveexec_b32 s18, s4
	s_cbranch_execz .LBB292_1017
; %bb.1012:                             ;   in Loop: Header=BB292_796 Depth=1
	v_bfe_u32 v86, v11, 16, 7
	v_mov_b32_e32 v28, 0x7c01
	s_mov_b32 s19, exec_lo
	v_cmpx_ne_u32_e32 0x7f, v86
	s_cbranch_execz .LBB292_1016
; %bb.1013:                             ;   in Loop: Header=BB292_796 Depth=1
	v_and_b32_e32 v3, 7, v2
	v_lshrrev_b32_e32 v26, 3, v86
	s_mov_b32 s20, exec_lo
	v_cmpx_gt_u32_e32 8, v86
; %bb.1014:                             ;   in Loop: Header=BB292_796 Depth=1
	v_ffbh_u32_e32 v3, v3
	v_min_u32_e32 v3, 32, v3
	v_subrev_nc_u32_e32 v26, 28, v3
	v_lshlrev_b64 v[28:29], v26, v[2:3]
	v_sub_nc_u32_e32 v26, 29, v3
	v_and_b32_e32 v3, 7, v28
; %bb.1015:                             ;   in Loop: Header=BB292_796 Depth=1
	s_or_b32 exec_lo, exec_lo, s20
	v_lshlrev_b32_e32 v2, 8, v2
	v_lshl_add_u32 v26, v26, 10, 0x2000
	v_lshlrev_b32_e32 v3, 7, v3
	v_and_b32_e32 v2, 0x8000, v2
	v_and_b32_e32 v26, 0xfc00, v26
	v_or3_b32 v28, v2, v26, v3
.LBB292_1016:                           ;   in Loop: Header=BB292_796 Depth=1
	s_or_b32 exec_lo, exec_lo, s19
.LBB292_1017:                           ;   in Loop: Header=BB292_796 Depth=1
	s_or_b32 exec_lo, exec_lo, s18
.LBB292_1018:                           ;   in Loop: Header=BB292_796 Depth=1
	s_or_b32 exec_lo, exec_lo, s15
	s_mov_b32 s15, exec_lo
	v_cmpx_lt_u32_e32 0xffffff, v11
	s_cbranch_execz .LBB292_1026
; %bb.1019:                             ;   in Loop: Header=BB292_796 Depth=1
	v_lshrrev_b32_e32 v3, 24, v11
	v_bfrev_b32_e32 v19, 1
	s_mov_b32 s18, exec_lo
	v_cmpx_ne_u32_e32 0x80, v3
	s_cbranch_execz .LBB292_1025
; %bb.1020:                             ;   in Loop: Header=BB292_796 Depth=1
	v_and_b32_e32 v26, 0x7f, v3
	v_mov_b32_e32 v19, 0x7c010000
	s_mov_b32 s19, exec_lo
	v_cmpx_ne_u32_e32 0x7f, v26
	s_cbranch_execz .LBB292_1024
; %bb.1021:                             ;   in Loop: Header=BB292_796 Depth=1
	v_and_b32_e32 v2, 7, v3
	v_lshrrev_b32_e32 v19, 3, v26
	s_mov_b32 s20, exec_lo
	v_cmpx_gt_u32_e32 8, v26
; %bb.1022:                             ;   in Loop: Header=BB292_796 Depth=1
	v_ffbh_u32_e32 v2, v2
	v_min_u32_e32 v2, 32, v2
	v_subrev_nc_u32_e32 v19, 28, v2
	v_lshlrev_b64 v[86:87], v19, v[3:4]
	v_sub_nc_u32_e32 v19, 29, v2
	v_and_b32_e32 v2, 7, v86
; %bb.1023:                             ;   in Loop: Header=BB292_796 Depth=1
	s_or_b32 exec_lo, exec_lo, s20
	v_lshlrev_b32_e32 v3, 8, v3
	v_lshl_add_u32 v19, v19, 10, 0x2000
	v_lshlrev_b32_e32 v2, 23, v2
	v_and_or_b32 v3, 0x8000, v3, v19
	v_lshl_or_b32 v19, v3, 16, v2
.LBB292_1024:                           ;   in Loop: Header=BB292_796 Depth=1
	s_or_b32 exec_lo, exec_lo, s19
.LBB292_1025:                           ;   in Loop: Header=BB292_796 Depth=1
	s_or_b32 exec_lo, exec_lo, s18
.LBB292_1026:                           ;   in Loop: Header=BB292_796 Depth=1
	s_or_b32 exec_lo, exec_lo, s15
	v_mov_b32_e32 v3, v12
	v_cmp_ne_u16_sdwa s4, v12, v4 src0_sel:BYTE_0 src1_sel:DWORD
	v_mov_b32_e32 v86, 0
	v_mov_b32_e32 v26, 0
	s_and_saveexec_b32 s15, s4
	s_cbranch_execz .LBB292_1034
; %bb.1027:                             ;   in Loop: Header=BB292_796 Depth=1
	v_cmp_ne_u16_sdwa s4, v12, v39 src0_sel:BYTE_0 src1_sel:DWORD
	v_mov_b32_e32 v26, 0x8000
	s_and_saveexec_b32 s18, s4
	s_cbranch_execz .LBB292_1033
; %bb.1028:                             ;   in Loop: Header=BB292_796 Depth=1
	v_and_b32_e32 v87, 0x7f, v12
	v_mov_b32_e32 v26, 0x7c01
	s_mov_b32 s19, exec_lo
	v_cmpx_ne_u32_e32 0x7f, v87
	s_cbranch_execz .LBB292_1032
; %bb.1029:                             ;   in Loop: Header=BB292_796 Depth=1
	v_and_b32_e32 v2, 7, v12
	v_lshrrev_b32_e32 v26, 3, v87
	s_mov_b32 s20, exec_lo
	v_cmpx_gt_u32_e32 8, v87
; %bb.1030:                             ;   in Loop: Header=BB292_796 Depth=1
	v_ffbh_u32_e32 v2, v2
	v_min_u32_e32 v2, 32, v2
	v_subrev_nc_u32_e32 v26, 28, v2
	v_lshlrev_b64 v[96:97], v26, v[3:4]
	v_sub_nc_u32_e32 v26, 29, v2
	v_and_b32_e32 v2, 7, v96
; %bb.1031:                             ;   in Loop: Header=BB292_796 Depth=1
	s_or_b32 exec_lo, exec_lo, s20
	v_lshlrev_b32_e32 v29, 8, v12
	v_lshl_add_u32 v26, v26, 10, 0x2000
	v_lshlrev_b32_e32 v2, 7, v2
	v_and_b32_e32 v29, 0x8000, v29
	v_and_b32_e32 v26, 0xfc00, v26
	v_or3_b32 v26, v29, v26, v2
.LBB292_1032:                           ;   in Loop: Header=BB292_796 Depth=1
	s_or_b32 exec_lo, exec_lo, s19
.LBB292_1033:                           ;   in Loop: Header=BB292_796 Depth=1
	s_or_b32 exec_lo, exec_lo, s18
.LBB292_1034:                           ;   in Loop: Header=BB292_796 Depth=1
	s_or_b32 exec_lo, exec_lo, s15
	v_lshrrev_b16 v3, 8, v3
	v_mov_b32_e32 v87, 0
	s_mov_b32 s15, exec_lo
	v_cmpx_ne_u16_e32 0, v3
	s_cbranch_execz .LBB292_1042
; %bb.1035:                             ;   in Loop: Header=BB292_796 Depth=1
	v_bfrev_b32_e32 v87, 1
	s_mov_b32 s18, exec_lo
	v_cmpx_ne_u16_e32 0x80, v3
	s_cbranch_execz .LBB292_1041
; %bb.1036:                             ;   in Loop: Header=BB292_796 Depth=1
	v_and_b32_sdwa v96, v3, v48 dst_sel:DWORD dst_unused:UNUSED_PAD src0_sel:WORD_0 src1_sel:DWORD
	v_mov_b32_e32 v87, 0x7c010000
	s_mov_b32 s19, exec_lo
	v_cmpx_ne_u32_e32 0x7f, v96
	s_cbranch_execz .LBB292_1040
; %bb.1037:                             ;   in Loop: Header=BB292_796 Depth=1
	v_and_b32_sdwa v2, v3, v49 dst_sel:DWORD dst_unused:UNUSED_PAD src0_sel:WORD_0 src1_sel:DWORD
	v_lshrrev_b32_e32 v87, 3, v96
	s_mov_b32 s20, exec_lo
	v_cmpx_gt_u32_e32 8, v96
; %bb.1038:                             ;   in Loop: Header=BB292_796 Depth=1
	v_ffbh_u32_e32 v2, v2
	v_min_u32_e32 v2, 32, v2
	v_subrev_nc_u32_e32 v29, 28, v2
	v_sub_nc_u32_e32 v87, 29, v2
	v_lshlrev_b64 v[96:97], v29, v[3:4]
	v_and_b32_e32 v2, 7, v96
; %bb.1039:                             ;   in Loop: Header=BB292_796 Depth=1
	s_or_b32 exec_lo, exec_lo, s20
	v_lshlrev_b32_sdwa v3, v50, v3 dst_sel:DWORD dst_unused:UNUSED_PAD src0_sel:DWORD src1_sel:WORD_0
	v_lshl_add_u32 v29, v87, 10, 0x2000
	v_lshlrev_b32_e32 v2, 23, v2
	v_and_or_b32 v3, 0x8000, v3, v29
	v_lshl_or_b32 v87, v3, 16, v2
.LBB292_1040:                           ;   in Loop: Header=BB292_796 Depth=1
	s_or_b32 exec_lo, exec_lo, s19
.LBB292_1041:                           ;   in Loop: Header=BB292_796 Depth=1
	s_or_b32 exec_lo, exec_lo, s18
.LBB292_1042:                           ;   in Loop: Header=BB292_796 Depth=1
	s_or_b32 exec_lo, exec_lo, s15
	v_lshrrev_b32_e32 v2, 16, v12
	v_cmp_ne_u16_sdwa s4, v2, v4 src0_sel:BYTE_0 src1_sel:DWORD
	s_and_saveexec_b32 s15, s4
	s_cbranch_execz .LBB292_1050
; %bb.1043:                             ;   in Loop: Header=BB292_796 Depth=1
	v_cmp_ne_u16_sdwa s4, v2, v39 src0_sel:BYTE_0 src1_sel:DWORD
	v_mov_b32_e32 v86, 0x8000
	s_and_saveexec_b32 s18, s4
	s_cbranch_execz .LBB292_1049
; %bb.1044:                             ;   in Loop: Header=BB292_796 Depth=1
	v_bfe_u32 v96, v12, 16, 7
	v_mov_b32_e32 v86, 0x7c01
	s_mov_b32 s19, exec_lo
	v_cmpx_ne_u32_e32 0x7f, v96
	s_cbranch_execz .LBB292_1048
; %bb.1045:                             ;   in Loop: Header=BB292_796 Depth=1
	v_and_b32_e32 v3, 7, v2
	v_lshrrev_b32_e32 v86, 3, v96
	s_mov_b32 s20, exec_lo
	v_cmpx_gt_u32_e32 8, v96
; %bb.1046:                             ;   in Loop: Header=BB292_796 Depth=1
	v_ffbh_u32_e32 v3, v3
	v_min_u32_e32 v3, 32, v3
	v_subrev_nc_u32_e32 v29, 28, v3
	v_sub_nc_u32_e32 v86, 29, v3
	v_lshlrev_b64 v[96:97], v29, v[2:3]
	v_and_b32_e32 v3, 7, v96
; %bb.1047:                             ;   in Loop: Header=BB292_796 Depth=1
	s_or_b32 exec_lo, exec_lo, s20
	v_lshlrev_b32_e32 v2, 8, v2
	v_lshl_add_u32 v29, v86, 10, 0x2000
	v_lshlrev_b32_e32 v3, 7, v3
	v_and_b32_e32 v2, 0x8000, v2
	v_and_b32_e32 v29, 0xfc00, v29
	v_or3_b32 v86, v2, v29, v3
.LBB292_1048:                           ;   in Loop: Header=BB292_796 Depth=1
	s_or_b32 exec_lo, exec_lo, s19
.LBB292_1049:                           ;   in Loop: Header=BB292_796 Depth=1
	s_or_b32 exec_lo, exec_lo, s18
.LBB292_1050:                           ;   in Loop: Header=BB292_796 Depth=1
	s_or_b32 exec_lo, exec_lo, s15
	v_mov_b32_e32 v2, 0
	s_mov_b32 s15, exec_lo
	v_cmpx_lt_u64_e64 s[6:7], v[11:12]
	s_cbranch_execz .LBB292_1058
; %bb.1051:                             ;   in Loop: Header=BB292_796 Depth=1
	v_lshrrev_b32_e32 v3, 24, v12
	v_bfrev_b32_e32 v2, 1
	s_mov_b32 s18, exec_lo
	v_cmpx_ne_u32_e32 0x80, v3
	s_cbranch_execz .LBB292_1057
; %bb.1052:                             ;   in Loop: Header=BB292_796 Depth=1
	v_and_b32_e32 v12, 0x7f, v3
	v_mov_b32_e32 v2, 0x7c010000
	s_mov_b32 s19, exec_lo
	v_cmpx_ne_u32_e32 0x7f, v12
	s_cbranch_execz .LBB292_1056
; %bb.1053:                             ;   in Loop: Header=BB292_796 Depth=1
	v_and_b32_e32 v2, 7, v3
	v_lshrrev_b32_e32 v11, 3, v12
	s_mov_b32 s20, exec_lo
	v_cmpx_gt_u32_e32 8, v12
; %bb.1054:                             ;   in Loop: Header=BB292_796 Depth=1
	v_ffbh_u32_e32 v2, v2
	v_min_u32_e32 v2, 32, v2
	v_subrev_nc_u32_e32 v11, 28, v2
	v_lshlrev_b64 v[96:97], v11, v[3:4]
	v_sub_nc_u32_e32 v11, 29, v2
	v_and_b32_e32 v2, 7, v96
; %bb.1055:                             ;   in Loop: Header=BB292_796 Depth=1
	s_or_b32 exec_lo, exec_lo, s20
	v_lshlrev_b32_e32 v3, 8, v3
	v_lshl_add_u32 v11, v11, 10, 0x2000
	v_lshlrev_b32_e32 v2, 23, v2
	v_and_or_b32 v3, 0x8000, v3, v11
	v_lshl_or_b32 v2, v3, 16, v2
.LBB292_1056:                           ;   in Loop: Header=BB292_796 Depth=1
	s_or_b32 exec_lo, exec_lo, s19
.LBB292_1057:                           ;   in Loop: Header=BB292_796 Depth=1
	s_or_b32 exec_lo, exec_lo, s18
.LBB292_1058:                           ;   in Loop: Header=BB292_796 Depth=1
	s_or_b32 exec_lo, exec_lo, s15
	v_or_b32_e32 v3, v19, v28
	s_waitcnt vmcnt(0) lgkmcnt(0)
	v_fma_mixlo_f16 v11, v0, v19, 0 op_sel:[0,1,0] op_sel_hi:[0,1,0]
	v_or_b32_e32 v19, v1, v85
	v_or_b32_e32 v26, v87, v26
	v_or_b32_e32 v28, v2, v86
	v_fma_mixlo_f16 v12, v0, v1, 0 op_sel:[0,1,0] op_sel_hi:[0,1,0]
	v_fma_mixlo_f16 v3, v0, v3, 0 op_sel_hi:[0,1,0]
	v_lshlrev_b32_e32 v1, 16, v11
	v_fma_mixlo_f16 v11, v0, v19, 0 op_sel_hi:[0,1,0]
	v_fma_mixlo_f16 v19, v0, v87, 0 op_sel:[0,1,0] op_sel_hi:[0,1,0]
	v_fma_mixlo_f16 v26, v0, v26, 0 op_sel_hi:[0,1,0]
	v_fma_mixlo_f16 v29, v0, v2, 0 op_sel:[0,1,0] op_sel_hi:[0,1,0]
	v_fma_mixlo_f16 v28, v0, v28, 0 op_sel_hi:[0,1,0]
	v_lshlrev_b32_e32 v12, 16, v12
	v_and_b32_e32 v3, 0xffff, v3
	v_and_b32_e32 v87, 0xffff, v11
	v_lshlrev_b32_e32 v2, 16, v19
	v_and_b32_e32 v26, 0xffff, v26
	v_lshlrev_b32_e32 v0, 16, v29
	v_and_b32_e32 v11, 0xffff, v28
	v_or_b32_e32 v19, v1, v3
	v_or_b32_e32 v86, v12, v87
	v_or_b32_e32 v85, v2, v26
	v_or_b32_e32 v28, v0, v11
	s_and_saveexec_b32 s15, vcc_lo
	s_cbranch_execz .LBB292_1060
; %bb.1059:                             ;   in Loop: Header=BB292_796 Depth=1
	v_cmp_lt_i32_e64 s4, v52, v27
	v_cndmask_b32_e64 v19, 0, v87, s4
	v_cmp_lt_i32_e64 s4, v80, v27
	v_cndmask_b32_e64 v12, 0, v12, s4
	v_cmp_lt_i32_e64 s4, v71, v27
	v_or_b32_e32 v86, v19, v12
	v_cndmask_b32_e64 v3, 0, v3, s4
	v_cmp_lt_i32_e64 s4, v69, v27
	v_cndmask_b32_e64 v1, 0, v1, s4
	v_cmp_lt_i32_e64 s4, v66, v27
	v_or_b32_e32 v19, v3, v1
	;; [unrolled: 5-line block ×3, first 2 shown]
	v_cndmask_b32_e64 v11, 0, v11, s4
	v_cmp_lt_i32_e64 s4, v31, v27
	v_cndmask_b32_e64 v0, 0, v0, s4
	v_or_b32_e32 v28, v11, v0
.LBB292_1060:                           ;   in Loop: Header=BB292_796 Depth=1
	s_or_b32 exec_lo, exec_lo, s15
	;;#ASMSTART
	v_pk_mul_f16 v0, v68, v86;

	;;#ASMEND
	;;#ASMSTART
	v_pk_mul_f16 v1, v65, v19;

	;;#ASMEND
	;; [unrolled: 4-line block ×4, first 2 shown]
	;;#ASMSTART
	v_pk_add_f16 v0, v0, v1;

	;;#ASMEND
	;;#ASMSTART
	v_pk_add_f16 v0, v0, v2;

	;;#ASMEND
	;; [unrolled: 4-line block ×3, first 2 shown]
	v_and_b32_e32 v1, 0xffff, v0
	v_lshrrev_b32_e32 v0, 16, v0
	;;#ASMSTART
	v_cvt_f32_f16 v85, v1;
	;;#ASMEND
	;;#ASMSTART
	v_cvt_f32_f16 v86, v0;
	;;#ASMEND
	flat_load_dwordx2 v[11:12], v[9:10] offset:1024
	flat_load_dword v0, v[22:23]
	v_mov_b32_e32 v1, 0
	v_mov_b32_e32 v87, 0
	s_waitcnt vmcnt(1) lgkmcnt(1)
	v_cmp_ne_u16_sdwa s4, v11, v4 src0_sel:BYTE_0 src1_sel:DWORD
	s_and_saveexec_b32 s15, s4
	s_cbranch_execz .LBB292_1068
; %bb.1061:                             ;   in Loop: Header=BB292_796 Depth=1
	v_cmp_ne_u16_sdwa s4, v11, v39 src0_sel:BYTE_0 src1_sel:DWORD
	v_mov_b32_e32 v87, 0x8000
	s_and_saveexec_b32 s18, s4
	s_cbranch_execz .LBB292_1067
; %bb.1062:                             ;   in Loop: Header=BB292_796 Depth=1
	v_and_b32_e32 v19, 0x7f, v11
	v_mov_b32_e32 v87, 0x7c01
	s_mov_b32 s19, exec_lo
	v_cmpx_ne_u32_e32 0x7f, v19
	s_cbranch_execz .LBB292_1066
; %bb.1063:                             ;   in Loop: Header=BB292_796 Depth=1
	v_and_b32_e32 v2, 7, v11
	v_lshrrev_b32_e32 v3, 3, v19
	s_mov_b32 s20, exec_lo
	v_cmpx_gt_u32_e32 8, v19
; %bb.1064:                             ;   in Loop: Header=BB292_796 Depth=1
	v_ffbh_u32_e32 v2, v2
	v_min_u32_e32 v19, 32, v2
	v_subrev_nc_u32_e32 v2, 28, v19
	v_lshlrev_b64 v[2:3], v2, v[11:12]
	v_sub_nc_u32_e32 v3, 29, v19
	v_and_b32_e32 v2, 7, v2
; %bb.1065:                             ;   in Loop: Header=BB292_796 Depth=1
	s_or_b32 exec_lo, exec_lo, s20
	v_lshlrev_b32_e32 v19, 8, v11
	v_lshl_add_u32 v3, v3, 10, 0x2000
	v_lshlrev_b32_e32 v2, 7, v2
	v_and_b32_e32 v19, 0x8000, v19
	v_and_b32_e32 v3, 0xfc00, v3
	v_or3_b32 v87, v19, v3, v2
.LBB292_1066:                           ;   in Loop: Header=BB292_796 Depth=1
	s_or_b32 exec_lo, exec_lo, s19
.LBB292_1067:                           ;   in Loop: Header=BB292_796 Depth=1
	s_or_b32 exec_lo, exec_lo, s18
.LBB292_1068:                           ;   in Loop: Header=BB292_796 Depth=1
	s_or_b32 exec_lo, exec_lo, s15
	v_lshrrev_b16 v3, 8, v11
	s_mov_b32 s15, exec_lo
	v_cmpx_ne_u16_e32 0, v3
	s_cbranch_execz .LBB292_1076
; %bb.1069:                             ;   in Loop: Header=BB292_796 Depth=1
	v_bfrev_b32_e32 v1, 1
	s_mov_b32 s18, exec_lo
	v_cmpx_ne_u16_e32 0x80, v3
	s_cbranch_execz .LBB292_1075
; %bb.1070:                             ;   in Loop: Header=BB292_796 Depth=1
	v_and_b32_sdwa v19, v3, v48 dst_sel:DWORD dst_unused:UNUSED_PAD src0_sel:WORD_0 src1_sel:DWORD
	v_mov_b32_e32 v1, 0x7c010000
	s_mov_b32 s19, exec_lo
	v_cmpx_ne_u32_e32 0x7f, v19
	s_cbranch_execz .LBB292_1074
; %bb.1071:                             ;   in Loop: Header=BB292_796 Depth=1
	v_and_b32_sdwa v1, v3, v49 dst_sel:DWORD dst_unused:UNUSED_PAD src0_sel:WORD_0 src1_sel:DWORD
	v_lshrrev_b32_e32 v2, 3, v19
	s_mov_b32 s20, exec_lo
	v_cmpx_gt_u32_e32 8, v19
; %bb.1072:                             ;   in Loop: Header=BB292_796 Depth=1
	v_ffbh_u32_e32 v1, v1
	v_min_u32_e32 v19, 32, v1
	v_subrev_nc_u32_e32 v1, 28, v19
	v_lshlrev_b64 v[1:2], v1, v[3:4]
	v_sub_nc_u32_e32 v2, 29, v19
	v_and_b32_e32 v1, 7, v1
; %bb.1073:                             ;   in Loop: Header=BB292_796 Depth=1
	s_or_b32 exec_lo, exec_lo, s20
	v_lshlrev_b32_sdwa v3, v50, v3 dst_sel:DWORD dst_unused:UNUSED_PAD src0_sel:DWORD src1_sel:WORD_0
	v_lshl_add_u32 v2, v2, 10, 0x2000
	v_lshlrev_b32_e32 v1, 23, v1
	v_and_or_b32 v2, 0x8000, v3, v2
	v_lshl_or_b32 v1, v2, 16, v1
.LBB292_1074:                           ;   in Loop: Header=BB292_796 Depth=1
	s_or_b32 exec_lo, exec_lo, s19
.LBB292_1075:                           ;   in Loop: Header=BB292_796 Depth=1
	s_or_b32 exec_lo, exec_lo, s18
.LBB292_1076:                           ;   in Loop: Header=BB292_796 Depth=1
	s_or_b32 exec_lo, exec_lo, s15
	v_lshrrev_b32_e32 v2, 16, v11
	v_mov_b32_e32 v19, 0
	v_mov_b32_e32 v28, 0
	v_cmp_ne_u16_sdwa s4, v2, v4 src0_sel:BYTE_0 src1_sel:DWORD
	s_and_saveexec_b32 s15, s4
	s_cbranch_execz .LBB292_1084
; %bb.1077:                             ;   in Loop: Header=BB292_796 Depth=1
	v_cmp_ne_u16_sdwa s4, v2, v39 src0_sel:BYTE_0 src1_sel:DWORD
	v_mov_b32_e32 v28, 0x8000
	s_and_saveexec_b32 s18, s4
	s_cbranch_execz .LBB292_1083
; %bb.1078:                             ;   in Loop: Header=BB292_796 Depth=1
	v_bfe_u32 v96, v11, 16, 7
	v_mov_b32_e32 v28, 0x7c01
	s_mov_b32 s19, exec_lo
	v_cmpx_ne_u32_e32 0x7f, v96
	s_cbranch_execz .LBB292_1082
; %bb.1079:                             ;   in Loop: Header=BB292_796 Depth=1
	v_and_b32_e32 v3, 7, v2
	v_lshrrev_b32_e32 v26, 3, v96
	s_mov_b32 s20, exec_lo
	v_cmpx_gt_u32_e32 8, v96
; %bb.1080:                             ;   in Loop: Header=BB292_796 Depth=1
	v_ffbh_u32_e32 v3, v3
	v_min_u32_e32 v3, 32, v3
	v_subrev_nc_u32_e32 v26, 28, v3
	v_lshlrev_b64 v[28:29], v26, v[2:3]
	v_sub_nc_u32_e32 v26, 29, v3
	v_and_b32_e32 v3, 7, v28
; %bb.1081:                             ;   in Loop: Header=BB292_796 Depth=1
	s_or_b32 exec_lo, exec_lo, s20
	v_lshlrev_b32_e32 v2, 8, v2
	v_lshl_add_u32 v26, v26, 10, 0x2000
	v_lshlrev_b32_e32 v3, 7, v3
	v_and_b32_e32 v2, 0x8000, v2
	v_and_b32_e32 v26, 0xfc00, v26
	v_or3_b32 v28, v2, v26, v3
.LBB292_1082:                           ;   in Loop: Header=BB292_796 Depth=1
	s_or_b32 exec_lo, exec_lo, s19
.LBB292_1083:                           ;   in Loop: Header=BB292_796 Depth=1
	s_or_b32 exec_lo, exec_lo, s18
.LBB292_1084:                           ;   in Loop: Header=BB292_796 Depth=1
	s_or_b32 exec_lo, exec_lo, s15
	s_mov_b32 s15, exec_lo
	v_cmpx_lt_u32_e32 0xffffff, v11
	s_cbranch_execz .LBB292_1092
; %bb.1085:                             ;   in Loop: Header=BB292_796 Depth=1
	v_lshrrev_b32_e32 v3, 24, v11
	v_bfrev_b32_e32 v19, 1
	s_mov_b32 s18, exec_lo
	v_cmpx_ne_u32_e32 0x80, v3
	s_cbranch_execz .LBB292_1091
; %bb.1086:                             ;   in Loop: Header=BB292_796 Depth=1
	v_and_b32_e32 v26, 0x7f, v3
	v_mov_b32_e32 v19, 0x7c010000
	s_mov_b32 s19, exec_lo
	v_cmpx_ne_u32_e32 0x7f, v26
	s_cbranch_execz .LBB292_1090
; %bb.1087:                             ;   in Loop: Header=BB292_796 Depth=1
	v_and_b32_e32 v2, 7, v3
	v_lshrrev_b32_e32 v19, 3, v26
	s_mov_b32 s20, exec_lo
	v_cmpx_gt_u32_e32 8, v26
; %bb.1088:                             ;   in Loop: Header=BB292_796 Depth=1
	v_ffbh_u32_e32 v2, v2
	v_min_u32_e32 v2, 32, v2
	v_subrev_nc_u32_e32 v19, 28, v2
	v_lshlrev_b64 v[96:97], v19, v[3:4]
	v_sub_nc_u32_e32 v19, 29, v2
	v_and_b32_e32 v2, 7, v96
; %bb.1089:                             ;   in Loop: Header=BB292_796 Depth=1
	s_or_b32 exec_lo, exec_lo, s20
	v_lshlrev_b32_e32 v3, 8, v3
	v_lshl_add_u32 v19, v19, 10, 0x2000
	v_lshlrev_b32_e32 v2, 23, v2
	v_and_or_b32 v3, 0x8000, v3, v19
	v_lshl_or_b32 v19, v3, 16, v2
.LBB292_1090:                           ;   in Loop: Header=BB292_796 Depth=1
	s_or_b32 exec_lo, exec_lo, s19
.LBB292_1091:                           ;   in Loop: Header=BB292_796 Depth=1
	s_or_b32 exec_lo, exec_lo, s18
.LBB292_1092:                           ;   in Loop: Header=BB292_796 Depth=1
	s_or_b32 exec_lo, exec_lo, s15
	v_mov_b32_e32 v3, v12
	v_cmp_ne_u16_sdwa s4, v12, v4 src0_sel:BYTE_0 src1_sel:DWORD
	v_mov_b32_e32 v96, 0
	v_mov_b32_e32 v26, 0
	s_and_saveexec_b32 s15, s4
	s_cbranch_execz .LBB292_1100
; %bb.1093:                             ;   in Loop: Header=BB292_796 Depth=1
	v_cmp_ne_u16_sdwa s4, v12, v39 src0_sel:BYTE_0 src1_sel:DWORD
	v_mov_b32_e32 v26, 0x8000
	s_and_saveexec_b32 s18, s4
	s_cbranch_execz .LBB292_1099
; %bb.1094:                             ;   in Loop: Header=BB292_796 Depth=1
	v_and_b32_e32 v97, 0x7f, v12
	v_mov_b32_e32 v26, 0x7c01
	s_mov_b32 s19, exec_lo
	v_cmpx_ne_u32_e32 0x7f, v97
	s_cbranch_execz .LBB292_1098
; %bb.1095:                             ;   in Loop: Header=BB292_796 Depth=1
	v_and_b32_e32 v2, 7, v12
	v_lshrrev_b32_e32 v26, 3, v97
	s_mov_b32 s20, exec_lo
	v_cmpx_gt_u32_e32 8, v97
; %bb.1096:                             ;   in Loop: Header=BB292_796 Depth=1
	v_ffbh_u32_e32 v2, v2
	v_min_u32_e32 v2, 32, v2
	v_subrev_nc_u32_e32 v26, 28, v2
	v_lshlrev_b64 v[97:98], v26, v[3:4]
	v_sub_nc_u32_e32 v26, 29, v2
	v_and_b32_e32 v2, 7, v97
; %bb.1097:                             ;   in Loop: Header=BB292_796 Depth=1
	s_or_b32 exec_lo, exec_lo, s20
	v_lshlrev_b32_e32 v29, 8, v12
	v_lshl_add_u32 v26, v26, 10, 0x2000
	v_lshlrev_b32_e32 v2, 7, v2
	v_and_b32_e32 v29, 0x8000, v29
	v_and_b32_e32 v26, 0xfc00, v26
	v_or3_b32 v26, v29, v26, v2
.LBB292_1098:                           ;   in Loop: Header=BB292_796 Depth=1
	s_or_b32 exec_lo, exec_lo, s19
.LBB292_1099:                           ;   in Loop: Header=BB292_796 Depth=1
	s_or_b32 exec_lo, exec_lo, s18
.LBB292_1100:                           ;   in Loop: Header=BB292_796 Depth=1
	s_or_b32 exec_lo, exec_lo, s15
	v_lshrrev_b16 v3, 8, v3
	v_mov_b32_e32 v97, 0
	s_mov_b32 s15, exec_lo
	v_cmpx_ne_u16_e32 0, v3
	s_cbranch_execz .LBB292_1108
; %bb.1101:                             ;   in Loop: Header=BB292_796 Depth=1
	v_bfrev_b32_e32 v97, 1
	s_mov_b32 s18, exec_lo
	v_cmpx_ne_u16_e32 0x80, v3
	s_cbranch_execz .LBB292_1107
; %bb.1102:                             ;   in Loop: Header=BB292_796 Depth=1
	v_and_b32_sdwa v98, v3, v48 dst_sel:DWORD dst_unused:UNUSED_PAD src0_sel:WORD_0 src1_sel:DWORD
	v_mov_b32_e32 v97, 0x7c010000
	s_mov_b32 s19, exec_lo
	v_cmpx_ne_u32_e32 0x7f, v98
	s_cbranch_execz .LBB292_1106
; %bb.1103:                             ;   in Loop: Header=BB292_796 Depth=1
	v_and_b32_sdwa v2, v3, v49 dst_sel:DWORD dst_unused:UNUSED_PAD src0_sel:WORD_0 src1_sel:DWORD
	v_lshrrev_b32_e32 v97, 3, v98
	s_mov_b32 s20, exec_lo
	v_cmpx_gt_u32_e32 8, v98
; %bb.1104:                             ;   in Loop: Header=BB292_796 Depth=1
	v_ffbh_u32_e32 v2, v2
	v_min_u32_e32 v2, 32, v2
	v_subrev_nc_u32_e32 v29, 28, v2
	v_sub_nc_u32_e32 v97, 29, v2
	v_lshlrev_b64 v[98:99], v29, v[3:4]
	v_and_b32_e32 v2, 7, v98
; %bb.1105:                             ;   in Loop: Header=BB292_796 Depth=1
	s_or_b32 exec_lo, exec_lo, s20
	v_lshlrev_b32_sdwa v3, v50, v3 dst_sel:DWORD dst_unused:UNUSED_PAD src0_sel:DWORD src1_sel:WORD_0
	v_lshl_add_u32 v29, v97, 10, 0x2000
	v_lshlrev_b32_e32 v2, 23, v2
	v_and_or_b32 v3, 0x8000, v3, v29
	v_lshl_or_b32 v97, v3, 16, v2
.LBB292_1106:                           ;   in Loop: Header=BB292_796 Depth=1
	s_or_b32 exec_lo, exec_lo, s19
.LBB292_1107:                           ;   in Loop: Header=BB292_796 Depth=1
	s_or_b32 exec_lo, exec_lo, s18
.LBB292_1108:                           ;   in Loop: Header=BB292_796 Depth=1
	s_or_b32 exec_lo, exec_lo, s15
	v_lshrrev_b32_e32 v2, 16, v12
	v_cmp_ne_u16_sdwa s4, v2, v4 src0_sel:BYTE_0 src1_sel:DWORD
	s_and_saveexec_b32 s15, s4
	s_cbranch_execz .LBB292_1116
; %bb.1109:                             ;   in Loop: Header=BB292_796 Depth=1
	v_cmp_ne_u16_sdwa s4, v2, v39 src0_sel:BYTE_0 src1_sel:DWORD
	v_mov_b32_e32 v96, 0x8000
	s_and_saveexec_b32 s18, s4
	s_cbranch_execz .LBB292_1115
; %bb.1110:                             ;   in Loop: Header=BB292_796 Depth=1
	v_bfe_u32 v98, v12, 16, 7
	v_mov_b32_e32 v96, 0x7c01
	s_mov_b32 s19, exec_lo
	v_cmpx_ne_u32_e32 0x7f, v98
	s_cbranch_execz .LBB292_1114
; %bb.1111:                             ;   in Loop: Header=BB292_796 Depth=1
	v_and_b32_e32 v3, 7, v2
	v_lshrrev_b32_e32 v96, 3, v98
	s_mov_b32 s20, exec_lo
	v_cmpx_gt_u32_e32 8, v98
; %bb.1112:                             ;   in Loop: Header=BB292_796 Depth=1
	v_ffbh_u32_e32 v3, v3
	v_min_u32_e32 v3, 32, v3
	v_subrev_nc_u32_e32 v29, 28, v3
	v_sub_nc_u32_e32 v96, 29, v3
	v_lshlrev_b64 v[98:99], v29, v[2:3]
	v_and_b32_e32 v3, 7, v98
; %bb.1113:                             ;   in Loop: Header=BB292_796 Depth=1
	s_or_b32 exec_lo, exec_lo, s20
	v_lshlrev_b32_e32 v2, 8, v2
	v_lshl_add_u32 v29, v96, 10, 0x2000
	v_lshlrev_b32_e32 v3, 7, v3
	v_and_b32_e32 v2, 0x8000, v2
	v_and_b32_e32 v29, 0xfc00, v29
	v_or3_b32 v96, v2, v29, v3
.LBB292_1114:                           ;   in Loop: Header=BB292_796 Depth=1
	s_or_b32 exec_lo, exec_lo, s19
.LBB292_1115:                           ;   in Loop: Header=BB292_796 Depth=1
	s_or_b32 exec_lo, exec_lo, s18
.LBB292_1116:                           ;   in Loop: Header=BB292_796 Depth=1
	s_or_b32 exec_lo, exec_lo, s15
	v_mov_b32_e32 v2, 0
	s_mov_b32 s15, exec_lo
	v_cmpx_lt_u64_e64 s[6:7], v[11:12]
	s_cbranch_execz .LBB292_1124
; %bb.1117:                             ;   in Loop: Header=BB292_796 Depth=1
	v_lshrrev_b32_e32 v3, 24, v12
	v_bfrev_b32_e32 v2, 1
	s_mov_b32 s18, exec_lo
	v_cmpx_ne_u32_e32 0x80, v3
	s_cbranch_execz .LBB292_1123
; %bb.1118:                             ;   in Loop: Header=BB292_796 Depth=1
	v_and_b32_e32 v12, 0x7f, v3
	v_mov_b32_e32 v2, 0x7c010000
	s_mov_b32 s19, exec_lo
	v_cmpx_ne_u32_e32 0x7f, v12
	s_cbranch_execz .LBB292_1122
; %bb.1119:                             ;   in Loop: Header=BB292_796 Depth=1
	v_and_b32_e32 v2, 7, v3
	v_lshrrev_b32_e32 v11, 3, v12
	s_mov_b32 s20, exec_lo
	v_cmpx_gt_u32_e32 8, v12
; %bb.1120:                             ;   in Loop: Header=BB292_796 Depth=1
	v_ffbh_u32_e32 v2, v2
	v_min_u32_e32 v2, 32, v2
	v_subrev_nc_u32_e32 v11, 28, v2
	v_lshlrev_b64 v[98:99], v11, v[3:4]
	v_sub_nc_u32_e32 v11, 29, v2
	v_and_b32_e32 v2, 7, v98
; %bb.1121:                             ;   in Loop: Header=BB292_796 Depth=1
	s_or_b32 exec_lo, exec_lo, s20
	v_lshlrev_b32_e32 v3, 8, v3
	v_lshl_add_u32 v11, v11, 10, 0x2000
	v_lshlrev_b32_e32 v2, 23, v2
	v_and_or_b32 v3, 0x8000, v3, v11
	v_lshl_or_b32 v2, v3, 16, v2
.LBB292_1122:                           ;   in Loop: Header=BB292_796 Depth=1
	s_or_b32 exec_lo, exec_lo, s19
.LBB292_1123:                           ;   in Loop: Header=BB292_796 Depth=1
	s_or_b32 exec_lo, exec_lo, s18
.LBB292_1124:                           ;   in Loop: Header=BB292_796 Depth=1
	s_or_b32 exec_lo, exec_lo, s15
	v_or_b32_e32 v3, v19, v28
	s_waitcnt vmcnt(0) lgkmcnt(0)
	v_fma_mixlo_f16 v11, v0, v19, 0 op_sel:[0,1,0] op_sel_hi:[0,1,0]
	v_or_b32_e32 v19, v1, v87
	v_or_b32_e32 v26, v97, v26
	;; [unrolled: 1-line block ×3, first 2 shown]
	v_fma_mixlo_f16 v12, v0, v1, 0 op_sel:[0,1,0] op_sel_hi:[0,1,0]
	v_fma_mixlo_f16 v3, v0, v3, 0 op_sel_hi:[0,1,0]
	v_lshlrev_b32_e32 v1, 16, v11
	v_fma_mixlo_f16 v11, v0, v19, 0 op_sel_hi:[0,1,0]
	v_fma_mixlo_f16 v19, v0, v97, 0 op_sel:[0,1,0] op_sel_hi:[0,1,0]
	v_fma_mixlo_f16 v26, v0, v26, 0 op_sel_hi:[0,1,0]
	v_fma_mixlo_f16 v29, v0, v2, 0 op_sel:[0,1,0] op_sel_hi:[0,1,0]
	v_fma_mixlo_f16 v28, v0, v28, 0 op_sel_hi:[0,1,0]
	v_lshlrev_b32_e32 v12, 16, v12
	v_and_b32_e32 v3, 0xffff, v3
	v_and_b32_e32 v97, 0xffff, v11
	v_lshlrev_b32_e32 v2, 16, v19
	v_and_b32_e32 v26, 0xffff, v26
	v_lshlrev_b32_e32 v0, 16, v29
	v_and_b32_e32 v11, 0xffff, v28
	v_or_b32_e32 v19, v1, v3
	v_or_b32_e32 v96, v12, v97
	;; [unrolled: 1-line block ×4, first 2 shown]
	s_and_saveexec_b32 s15, vcc_lo
	s_cbranch_execz .LBB292_1126
; %bb.1125:                             ;   in Loop: Header=BB292_796 Depth=1
	v_cmp_lt_i32_e64 s4, v52, v27
	v_cndmask_b32_e64 v19, 0, v97, s4
	v_cmp_lt_i32_e64 s4, v80, v27
	v_cndmask_b32_e64 v12, 0, v12, s4
	v_cmp_lt_i32_e64 s4, v71, v27
	v_or_b32_e32 v96, v19, v12
	v_cndmask_b32_e64 v3, 0, v3, s4
	v_cmp_lt_i32_e64 s4, v69, v27
	v_cndmask_b32_e64 v1, 0, v1, s4
	v_cmp_lt_i32_e64 s4, v66, v27
	v_or_b32_e32 v19, v3, v1
	;; [unrolled: 5-line block ×3, first 2 shown]
	v_cndmask_b32_e64 v11, 0, v11, s4
	v_cmp_lt_i32_e64 s4, v31, v27
	v_cndmask_b32_e64 v0, 0, v0, s4
	v_or_b32_e32 v28, v11, v0
.LBB292_1126:                           ;   in Loop: Header=BB292_796 Depth=1
	s_or_b32 exec_lo, exec_lo, s15
	;;#ASMSTART
	v_pk_mul_f16 v0, v68, v96;

	;;#ASMEND
	;;#ASMSTART
	v_pk_mul_f16 v1, v65, v19;

	;;#ASMEND
	;;#ASMSTART
	v_pk_mul_f16 v2, v55, v87;

	;;#ASMEND
	;;#ASMSTART
	v_pk_mul_f16 v3, v54, v28;

	;;#ASMEND
	;;#ASMSTART
	v_pk_add_f16 v0, v0, v1;

	;;#ASMEND
	;;#ASMSTART
	v_pk_add_f16 v0, v0, v2;

	;;#ASMEND
	;; [unrolled: 4-line block ×3, first 2 shown]
	v_and_b32_e32 v1, 0xffff, v0
	v_lshrrev_b32_e32 v0, 16, v0
	;;#ASMSTART
	v_cvt_f32_f16 v87, v1;
	;;#ASMEND
	;;#ASMSTART
	v_cvt_f32_f16 v96, v0;
	;;#ASMEND
	flat_load_dwordx2 v[11:12], v[9:10] offset:1280
	flat_load_dword v0, v[22:23]
	v_mov_b32_e32 v1, 0
	v_mov_b32_e32 v97, 0
	s_waitcnt vmcnt(1) lgkmcnt(1)
	v_cmp_ne_u16_sdwa s4, v11, v4 src0_sel:BYTE_0 src1_sel:DWORD
	s_and_saveexec_b32 s15, s4
	s_cbranch_execz .LBB292_1134
; %bb.1127:                             ;   in Loop: Header=BB292_796 Depth=1
	v_cmp_ne_u16_sdwa s4, v11, v39 src0_sel:BYTE_0 src1_sel:DWORD
	v_mov_b32_e32 v97, 0x8000
	s_and_saveexec_b32 s18, s4
	s_cbranch_execz .LBB292_1133
; %bb.1128:                             ;   in Loop: Header=BB292_796 Depth=1
	v_and_b32_e32 v19, 0x7f, v11
	v_mov_b32_e32 v97, 0x7c01
	s_mov_b32 s19, exec_lo
	v_cmpx_ne_u32_e32 0x7f, v19
	s_cbranch_execz .LBB292_1132
; %bb.1129:                             ;   in Loop: Header=BB292_796 Depth=1
	v_and_b32_e32 v2, 7, v11
	v_lshrrev_b32_e32 v3, 3, v19
	s_mov_b32 s20, exec_lo
	v_cmpx_gt_u32_e32 8, v19
; %bb.1130:                             ;   in Loop: Header=BB292_796 Depth=1
	v_ffbh_u32_e32 v2, v2
	v_min_u32_e32 v19, 32, v2
	v_subrev_nc_u32_e32 v2, 28, v19
	v_lshlrev_b64 v[2:3], v2, v[11:12]
	v_sub_nc_u32_e32 v3, 29, v19
	v_and_b32_e32 v2, 7, v2
; %bb.1131:                             ;   in Loop: Header=BB292_796 Depth=1
	s_or_b32 exec_lo, exec_lo, s20
	v_lshlrev_b32_e32 v19, 8, v11
	v_lshl_add_u32 v3, v3, 10, 0x2000
	v_lshlrev_b32_e32 v2, 7, v2
	v_and_b32_e32 v19, 0x8000, v19
	v_and_b32_e32 v3, 0xfc00, v3
	v_or3_b32 v97, v19, v3, v2
.LBB292_1132:                           ;   in Loop: Header=BB292_796 Depth=1
	s_or_b32 exec_lo, exec_lo, s19
.LBB292_1133:                           ;   in Loop: Header=BB292_796 Depth=1
	s_or_b32 exec_lo, exec_lo, s18
.LBB292_1134:                           ;   in Loop: Header=BB292_796 Depth=1
	s_or_b32 exec_lo, exec_lo, s15
	v_lshrrev_b16 v3, 8, v11
	s_mov_b32 s15, exec_lo
	v_cmpx_ne_u16_e32 0, v3
	s_cbranch_execz .LBB292_1142
; %bb.1135:                             ;   in Loop: Header=BB292_796 Depth=1
	v_bfrev_b32_e32 v1, 1
	s_mov_b32 s18, exec_lo
	v_cmpx_ne_u16_e32 0x80, v3
	s_cbranch_execz .LBB292_1141
; %bb.1136:                             ;   in Loop: Header=BB292_796 Depth=1
	v_and_b32_sdwa v19, v3, v48 dst_sel:DWORD dst_unused:UNUSED_PAD src0_sel:WORD_0 src1_sel:DWORD
	v_mov_b32_e32 v1, 0x7c010000
	s_mov_b32 s19, exec_lo
	v_cmpx_ne_u32_e32 0x7f, v19
	s_cbranch_execz .LBB292_1140
; %bb.1137:                             ;   in Loop: Header=BB292_796 Depth=1
	v_and_b32_sdwa v1, v3, v49 dst_sel:DWORD dst_unused:UNUSED_PAD src0_sel:WORD_0 src1_sel:DWORD
	v_lshrrev_b32_e32 v2, 3, v19
	s_mov_b32 s20, exec_lo
	v_cmpx_gt_u32_e32 8, v19
; %bb.1138:                             ;   in Loop: Header=BB292_796 Depth=1
	v_ffbh_u32_e32 v1, v1
	v_min_u32_e32 v19, 32, v1
	v_subrev_nc_u32_e32 v1, 28, v19
	v_lshlrev_b64 v[1:2], v1, v[3:4]
	v_sub_nc_u32_e32 v2, 29, v19
	v_and_b32_e32 v1, 7, v1
; %bb.1139:                             ;   in Loop: Header=BB292_796 Depth=1
	s_or_b32 exec_lo, exec_lo, s20
	v_lshlrev_b32_sdwa v3, v50, v3 dst_sel:DWORD dst_unused:UNUSED_PAD src0_sel:DWORD src1_sel:WORD_0
	v_lshl_add_u32 v2, v2, 10, 0x2000
	v_lshlrev_b32_e32 v1, 23, v1
	v_and_or_b32 v2, 0x8000, v3, v2
	v_lshl_or_b32 v1, v2, 16, v1
.LBB292_1140:                           ;   in Loop: Header=BB292_796 Depth=1
	s_or_b32 exec_lo, exec_lo, s19
.LBB292_1141:                           ;   in Loop: Header=BB292_796 Depth=1
	s_or_b32 exec_lo, exec_lo, s18
.LBB292_1142:                           ;   in Loop: Header=BB292_796 Depth=1
	s_or_b32 exec_lo, exec_lo, s15
	v_lshrrev_b32_e32 v2, 16, v11
	v_mov_b32_e32 v19, 0
	v_mov_b32_e32 v28, 0
	v_cmp_ne_u16_sdwa s4, v2, v4 src0_sel:BYTE_0 src1_sel:DWORD
	s_and_saveexec_b32 s15, s4
	s_cbranch_execz .LBB292_1150
; %bb.1143:                             ;   in Loop: Header=BB292_796 Depth=1
	v_cmp_ne_u16_sdwa s4, v2, v39 src0_sel:BYTE_0 src1_sel:DWORD
	v_mov_b32_e32 v28, 0x8000
	s_and_saveexec_b32 s18, s4
	s_cbranch_execz .LBB292_1149
; %bb.1144:                             ;   in Loop: Header=BB292_796 Depth=1
	v_bfe_u32 v98, v11, 16, 7
	v_mov_b32_e32 v28, 0x7c01
	s_mov_b32 s19, exec_lo
	v_cmpx_ne_u32_e32 0x7f, v98
	s_cbranch_execz .LBB292_1148
; %bb.1145:                             ;   in Loop: Header=BB292_796 Depth=1
	v_and_b32_e32 v3, 7, v2
	v_lshrrev_b32_e32 v26, 3, v98
	s_mov_b32 s20, exec_lo
	v_cmpx_gt_u32_e32 8, v98
; %bb.1146:                             ;   in Loop: Header=BB292_796 Depth=1
	v_ffbh_u32_e32 v3, v3
	v_min_u32_e32 v3, 32, v3
	v_subrev_nc_u32_e32 v26, 28, v3
	v_lshlrev_b64 v[28:29], v26, v[2:3]
	v_sub_nc_u32_e32 v26, 29, v3
	v_and_b32_e32 v3, 7, v28
; %bb.1147:                             ;   in Loop: Header=BB292_796 Depth=1
	s_or_b32 exec_lo, exec_lo, s20
	v_lshlrev_b32_e32 v2, 8, v2
	v_lshl_add_u32 v26, v26, 10, 0x2000
	v_lshlrev_b32_e32 v3, 7, v3
	v_and_b32_e32 v2, 0x8000, v2
	v_and_b32_e32 v26, 0xfc00, v26
	v_or3_b32 v28, v2, v26, v3
.LBB292_1148:                           ;   in Loop: Header=BB292_796 Depth=1
	s_or_b32 exec_lo, exec_lo, s19
.LBB292_1149:                           ;   in Loop: Header=BB292_796 Depth=1
	s_or_b32 exec_lo, exec_lo, s18
.LBB292_1150:                           ;   in Loop: Header=BB292_796 Depth=1
	s_or_b32 exec_lo, exec_lo, s15
	s_mov_b32 s15, exec_lo
	v_cmpx_lt_u32_e32 0xffffff, v11
	s_cbranch_execz .LBB292_1158
; %bb.1151:                             ;   in Loop: Header=BB292_796 Depth=1
	v_lshrrev_b32_e32 v3, 24, v11
	v_bfrev_b32_e32 v19, 1
	s_mov_b32 s18, exec_lo
	v_cmpx_ne_u32_e32 0x80, v3
	s_cbranch_execz .LBB292_1157
; %bb.1152:                             ;   in Loop: Header=BB292_796 Depth=1
	v_and_b32_e32 v26, 0x7f, v3
	v_mov_b32_e32 v19, 0x7c010000
	s_mov_b32 s19, exec_lo
	v_cmpx_ne_u32_e32 0x7f, v26
	s_cbranch_execz .LBB292_1156
; %bb.1153:                             ;   in Loop: Header=BB292_796 Depth=1
	v_and_b32_e32 v2, 7, v3
	v_lshrrev_b32_e32 v19, 3, v26
	s_mov_b32 s20, exec_lo
	v_cmpx_gt_u32_e32 8, v26
; %bb.1154:                             ;   in Loop: Header=BB292_796 Depth=1
	v_ffbh_u32_e32 v2, v2
	v_min_u32_e32 v2, 32, v2
	v_subrev_nc_u32_e32 v19, 28, v2
	v_lshlrev_b64 v[98:99], v19, v[3:4]
	v_sub_nc_u32_e32 v19, 29, v2
	v_and_b32_e32 v2, 7, v98
; %bb.1155:                             ;   in Loop: Header=BB292_796 Depth=1
	s_or_b32 exec_lo, exec_lo, s20
	v_lshlrev_b32_e32 v3, 8, v3
	v_lshl_add_u32 v19, v19, 10, 0x2000
	v_lshlrev_b32_e32 v2, 23, v2
	v_and_or_b32 v3, 0x8000, v3, v19
	v_lshl_or_b32 v19, v3, 16, v2
.LBB292_1156:                           ;   in Loop: Header=BB292_796 Depth=1
	s_or_b32 exec_lo, exec_lo, s19
.LBB292_1157:                           ;   in Loop: Header=BB292_796 Depth=1
	s_or_b32 exec_lo, exec_lo, s18
.LBB292_1158:                           ;   in Loop: Header=BB292_796 Depth=1
	s_or_b32 exec_lo, exec_lo, s15
	v_mov_b32_e32 v3, v12
	v_cmp_ne_u16_sdwa s4, v12, v4 src0_sel:BYTE_0 src1_sel:DWORD
	v_mov_b32_e32 v98, 0
	v_mov_b32_e32 v26, 0
	s_and_saveexec_b32 s15, s4
	s_cbranch_execz .LBB292_1166
; %bb.1159:                             ;   in Loop: Header=BB292_796 Depth=1
	v_cmp_ne_u16_sdwa s4, v12, v39 src0_sel:BYTE_0 src1_sel:DWORD
	v_mov_b32_e32 v26, 0x8000
	s_and_saveexec_b32 s18, s4
	s_cbranch_execz .LBB292_1165
; %bb.1160:                             ;   in Loop: Header=BB292_796 Depth=1
	v_and_b32_e32 v99, 0x7f, v12
	v_mov_b32_e32 v26, 0x7c01
	s_mov_b32 s19, exec_lo
	v_cmpx_ne_u32_e32 0x7f, v99
	s_cbranch_execz .LBB292_1164
; %bb.1161:                             ;   in Loop: Header=BB292_796 Depth=1
	v_and_b32_e32 v2, 7, v12
	v_lshrrev_b32_e32 v26, 3, v99
	s_mov_b32 s20, exec_lo
	v_cmpx_gt_u32_e32 8, v99
; %bb.1162:                             ;   in Loop: Header=BB292_796 Depth=1
	v_ffbh_u32_e32 v2, v2
	v_min_u32_e32 v2, 32, v2
	v_subrev_nc_u32_e32 v26, 28, v2
	v_lshlrev_b64 v[99:100], v26, v[3:4]
	v_sub_nc_u32_e32 v26, 29, v2
	v_and_b32_e32 v2, 7, v99
; %bb.1163:                             ;   in Loop: Header=BB292_796 Depth=1
	s_or_b32 exec_lo, exec_lo, s20
	v_lshlrev_b32_e32 v29, 8, v12
	v_lshl_add_u32 v26, v26, 10, 0x2000
	v_lshlrev_b32_e32 v2, 7, v2
	v_and_b32_e32 v29, 0x8000, v29
	v_and_b32_e32 v26, 0xfc00, v26
	v_or3_b32 v26, v29, v26, v2
.LBB292_1164:                           ;   in Loop: Header=BB292_796 Depth=1
	s_or_b32 exec_lo, exec_lo, s19
.LBB292_1165:                           ;   in Loop: Header=BB292_796 Depth=1
	s_or_b32 exec_lo, exec_lo, s18
.LBB292_1166:                           ;   in Loop: Header=BB292_796 Depth=1
	s_or_b32 exec_lo, exec_lo, s15
	v_lshrrev_b16 v3, 8, v3
	v_mov_b32_e32 v99, 0
	s_mov_b32 s15, exec_lo
	v_cmpx_ne_u16_e32 0, v3
	s_cbranch_execz .LBB292_1174
; %bb.1167:                             ;   in Loop: Header=BB292_796 Depth=1
	v_bfrev_b32_e32 v99, 1
	s_mov_b32 s18, exec_lo
	v_cmpx_ne_u16_e32 0x80, v3
	s_cbranch_execz .LBB292_1173
; %bb.1168:                             ;   in Loop: Header=BB292_796 Depth=1
	v_and_b32_sdwa v100, v3, v48 dst_sel:DWORD dst_unused:UNUSED_PAD src0_sel:WORD_0 src1_sel:DWORD
	v_mov_b32_e32 v99, 0x7c010000
	s_mov_b32 s19, exec_lo
	v_cmpx_ne_u32_e32 0x7f, v100
	s_cbranch_execz .LBB292_1172
; %bb.1169:                             ;   in Loop: Header=BB292_796 Depth=1
	v_and_b32_sdwa v2, v3, v49 dst_sel:DWORD dst_unused:UNUSED_PAD src0_sel:WORD_0 src1_sel:DWORD
	v_lshrrev_b32_e32 v99, 3, v100
	s_mov_b32 s20, exec_lo
	v_cmpx_gt_u32_e32 8, v100
; %bb.1170:                             ;   in Loop: Header=BB292_796 Depth=1
	v_ffbh_u32_e32 v2, v2
	v_min_u32_e32 v2, 32, v2
	v_subrev_nc_u32_e32 v29, 28, v2
	v_sub_nc_u32_e32 v99, 29, v2
	v_lshlrev_b64 v[100:101], v29, v[3:4]
	v_and_b32_e32 v2, 7, v100
; %bb.1171:                             ;   in Loop: Header=BB292_796 Depth=1
	s_or_b32 exec_lo, exec_lo, s20
	v_lshlrev_b32_sdwa v3, v50, v3 dst_sel:DWORD dst_unused:UNUSED_PAD src0_sel:DWORD src1_sel:WORD_0
	v_lshl_add_u32 v29, v99, 10, 0x2000
	v_lshlrev_b32_e32 v2, 23, v2
	v_and_or_b32 v3, 0x8000, v3, v29
	v_lshl_or_b32 v99, v3, 16, v2
.LBB292_1172:                           ;   in Loop: Header=BB292_796 Depth=1
	s_or_b32 exec_lo, exec_lo, s19
.LBB292_1173:                           ;   in Loop: Header=BB292_796 Depth=1
	s_or_b32 exec_lo, exec_lo, s18
.LBB292_1174:                           ;   in Loop: Header=BB292_796 Depth=1
	s_or_b32 exec_lo, exec_lo, s15
	v_lshrrev_b32_e32 v2, 16, v12
	v_cmp_ne_u16_sdwa s4, v2, v4 src0_sel:BYTE_0 src1_sel:DWORD
	s_and_saveexec_b32 s15, s4
	s_cbranch_execz .LBB292_1182
; %bb.1175:                             ;   in Loop: Header=BB292_796 Depth=1
	v_cmp_ne_u16_sdwa s4, v2, v39 src0_sel:BYTE_0 src1_sel:DWORD
	v_mov_b32_e32 v98, 0x8000
	s_and_saveexec_b32 s18, s4
	s_cbranch_execz .LBB292_1181
; %bb.1176:                             ;   in Loop: Header=BB292_796 Depth=1
	v_bfe_u32 v100, v12, 16, 7
	v_mov_b32_e32 v98, 0x7c01
	s_mov_b32 s19, exec_lo
	v_cmpx_ne_u32_e32 0x7f, v100
	s_cbranch_execz .LBB292_1180
; %bb.1177:                             ;   in Loop: Header=BB292_796 Depth=1
	v_and_b32_e32 v3, 7, v2
	v_lshrrev_b32_e32 v98, 3, v100
	s_mov_b32 s20, exec_lo
	v_cmpx_gt_u32_e32 8, v100
; %bb.1178:                             ;   in Loop: Header=BB292_796 Depth=1
	v_ffbh_u32_e32 v3, v3
	v_min_u32_e32 v3, 32, v3
	v_subrev_nc_u32_e32 v29, 28, v3
	v_sub_nc_u32_e32 v98, 29, v3
	v_lshlrev_b64 v[100:101], v29, v[2:3]
	v_and_b32_e32 v3, 7, v100
; %bb.1179:                             ;   in Loop: Header=BB292_796 Depth=1
	s_or_b32 exec_lo, exec_lo, s20
	v_lshlrev_b32_e32 v2, 8, v2
	v_lshl_add_u32 v29, v98, 10, 0x2000
	v_lshlrev_b32_e32 v3, 7, v3
	v_and_b32_e32 v2, 0x8000, v2
	v_and_b32_e32 v29, 0xfc00, v29
	v_or3_b32 v98, v2, v29, v3
.LBB292_1180:                           ;   in Loop: Header=BB292_796 Depth=1
	s_or_b32 exec_lo, exec_lo, s19
.LBB292_1181:                           ;   in Loop: Header=BB292_796 Depth=1
	s_or_b32 exec_lo, exec_lo, s18
.LBB292_1182:                           ;   in Loop: Header=BB292_796 Depth=1
	s_or_b32 exec_lo, exec_lo, s15
	v_mov_b32_e32 v2, 0
	s_mov_b32 s15, exec_lo
	v_cmpx_lt_u64_e64 s[6:7], v[11:12]
	s_cbranch_execz .LBB292_1190
; %bb.1183:                             ;   in Loop: Header=BB292_796 Depth=1
	v_lshrrev_b32_e32 v3, 24, v12
	v_bfrev_b32_e32 v2, 1
	s_mov_b32 s18, exec_lo
	v_cmpx_ne_u32_e32 0x80, v3
	s_cbranch_execz .LBB292_1189
; %bb.1184:                             ;   in Loop: Header=BB292_796 Depth=1
	v_and_b32_e32 v12, 0x7f, v3
	v_mov_b32_e32 v2, 0x7c010000
	s_mov_b32 s19, exec_lo
	v_cmpx_ne_u32_e32 0x7f, v12
	s_cbranch_execz .LBB292_1188
; %bb.1185:                             ;   in Loop: Header=BB292_796 Depth=1
	v_and_b32_e32 v2, 7, v3
	v_lshrrev_b32_e32 v11, 3, v12
	s_mov_b32 s20, exec_lo
	v_cmpx_gt_u32_e32 8, v12
; %bb.1186:                             ;   in Loop: Header=BB292_796 Depth=1
	v_ffbh_u32_e32 v2, v2
	v_min_u32_e32 v2, 32, v2
	v_subrev_nc_u32_e32 v11, 28, v2
	v_lshlrev_b64 v[100:101], v11, v[3:4]
	v_sub_nc_u32_e32 v11, 29, v2
	v_and_b32_e32 v2, 7, v100
; %bb.1187:                             ;   in Loop: Header=BB292_796 Depth=1
	s_or_b32 exec_lo, exec_lo, s20
	v_lshlrev_b32_e32 v3, 8, v3
	v_lshl_add_u32 v11, v11, 10, 0x2000
	v_lshlrev_b32_e32 v2, 23, v2
	v_and_or_b32 v3, 0x8000, v3, v11
	v_lshl_or_b32 v2, v3, 16, v2
.LBB292_1188:                           ;   in Loop: Header=BB292_796 Depth=1
	s_or_b32 exec_lo, exec_lo, s19
.LBB292_1189:                           ;   in Loop: Header=BB292_796 Depth=1
	s_or_b32 exec_lo, exec_lo, s18
.LBB292_1190:                           ;   in Loop: Header=BB292_796 Depth=1
	s_or_b32 exec_lo, exec_lo, s15
	v_or_b32_e32 v3, v19, v28
	s_waitcnt vmcnt(0) lgkmcnt(0)
	v_fma_mixlo_f16 v11, v0, v19, 0 op_sel:[0,1,0] op_sel_hi:[0,1,0]
	v_or_b32_e32 v19, v1, v97
	v_or_b32_e32 v26, v99, v26
	v_or_b32_e32 v28, v2, v98
	v_fma_mixlo_f16 v12, v0, v1, 0 op_sel:[0,1,0] op_sel_hi:[0,1,0]
	v_fma_mixlo_f16 v3, v0, v3, 0 op_sel_hi:[0,1,0]
	v_lshlrev_b32_e32 v1, 16, v11
	v_fma_mixlo_f16 v11, v0, v19, 0 op_sel_hi:[0,1,0]
	v_fma_mixlo_f16 v19, v0, v99, 0 op_sel:[0,1,0] op_sel_hi:[0,1,0]
	v_fma_mixlo_f16 v26, v0, v26, 0 op_sel_hi:[0,1,0]
	v_fma_mixlo_f16 v29, v0, v2, 0 op_sel:[0,1,0] op_sel_hi:[0,1,0]
	v_fma_mixlo_f16 v28, v0, v28, 0 op_sel_hi:[0,1,0]
	v_lshlrev_b32_e32 v12, 16, v12
	v_and_b32_e32 v3, 0xffff, v3
	v_and_b32_e32 v99, 0xffff, v11
	v_lshlrev_b32_e32 v2, 16, v19
	v_and_b32_e32 v26, 0xffff, v26
	v_lshlrev_b32_e32 v0, 16, v29
	v_and_b32_e32 v11, 0xffff, v28
	v_or_b32_e32 v19, v1, v3
	v_or_b32_e32 v98, v12, v99
	;; [unrolled: 1-line block ×4, first 2 shown]
	s_and_saveexec_b32 s15, vcc_lo
	s_cbranch_execz .LBB292_1192
; %bb.1191:                             ;   in Loop: Header=BB292_796 Depth=1
	v_cmp_lt_i32_e64 s4, v52, v27
	v_cndmask_b32_e64 v19, 0, v99, s4
	v_cmp_lt_i32_e64 s4, v80, v27
	v_cndmask_b32_e64 v12, 0, v12, s4
	v_cmp_lt_i32_e64 s4, v71, v27
	v_or_b32_e32 v98, v19, v12
	v_cndmask_b32_e64 v3, 0, v3, s4
	v_cmp_lt_i32_e64 s4, v69, v27
	v_cndmask_b32_e64 v1, 0, v1, s4
	v_cmp_lt_i32_e64 s4, v66, v27
	v_or_b32_e32 v19, v3, v1
	v_cndmask_b32_e64 v26, 0, v26, s4
	v_cmp_lt_i32_e64 s4, v64, v27
	v_cndmask_b32_e64 v2, 0, v2, s4
	v_cmp_lt_i32_e64 s4, v53, v27
	v_or_b32_e32 v97, v26, v2
	v_cndmask_b32_e64 v11, 0, v11, s4
	v_cmp_lt_i32_e64 s4, v31, v27
	v_cndmask_b32_e64 v0, 0, v0, s4
	v_or_b32_e32 v28, v11, v0
.LBB292_1192:                           ;   in Loop: Header=BB292_796 Depth=1
	s_or_b32 exec_lo, exec_lo, s15
	;;#ASMSTART
	v_pk_mul_f16 v0, v68, v98;

	;;#ASMEND
	;;#ASMSTART
	v_pk_mul_f16 v1, v65, v19;

	;;#ASMEND
	;;#ASMSTART
	v_pk_mul_f16 v2, v55, v97;

	;;#ASMEND
	;;#ASMSTART
	v_pk_mul_f16 v3, v54, v28;

	;;#ASMEND
	;;#ASMSTART
	v_pk_add_f16 v0, v0, v1;

	;;#ASMEND
	;;#ASMSTART
	v_pk_add_f16 v0, v0, v2;

	;;#ASMEND
	;; [unrolled: 4-line block ×3, first 2 shown]
	v_and_b32_e32 v1, 0xffff, v0
	v_lshrrev_b32_e32 v0, 16, v0
	;;#ASMSTART
	v_cvt_f32_f16 v97, v1;
	;;#ASMEND
	;;#ASMSTART
	v_cvt_f32_f16 v98, v0;
	;;#ASMEND
	flat_load_dwordx2 v[11:12], v[9:10] offset:1536
	flat_load_dword v0, v[22:23]
	v_mov_b32_e32 v1, 0
	v_mov_b32_e32 v99, 0
	s_waitcnt vmcnt(1) lgkmcnt(1)
	v_cmp_ne_u16_sdwa s4, v11, v4 src0_sel:BYTE_0 src1_sel:DWORD
	s_and_saveexec_b32 s15, s4
	s_cbranch_execz .LBB292_1200
; %bb.1193:                             ;   in Loop: Header=BB292_796 Depth=1
	v_cmp_ne_u16_sdwa s4, v11, v39 src0_sel:BYTE_0 src1_sel:DWORD
	v_mov_b32_e32 v99, 0x8000
	s_and_saveexec_b32 s18, s4
	s_cbranch_execz .LBB292_1199
; %bb.1194:                             ;   in Loop: Header=BB292_796 Depth=1
	v_and_b32_e32 v19, 0x7f, v11
	v_mov_b32_e32 v99, 0x7c01
	s_mov_b32 s19, exec_lo
	v_cmpx_ne_u32_e32 0x7f, v19
	s_cbranch_execz .LBB292_1198
; %bb.1195:                             ;   in Loop: Header=BB292_796 Depth=1
	v_and_b32_e32 v2, 7, v11
	v_lshrrev_b32_e32 v3, 3, v19
	s_mov_b32 s20, exec_lo
	v_cmpx_gt_u32_e32 8, v19
; %bb.1196:                             ;   in Loop: Header=BB292_796 Depth=1
	v_ffbh_u32_e32 v2, v2
	v_min_u32_e32 v19, 32, v2
	v_subrev_nc_u32_e32 v2, 28, v19
	v_lshlrev_b64 v[2:3], v2, v[11:12]
	v_sub_nc_u32_e32 v3, 29, v19
	v_and_b32_e32 v2, 7, v2
; %bb.1197:                             ;   in Loop: Header=BB292_796 Depth=1
	s_or_b32 exec_lo, exec_lo, s20
	v_lshlrev_b32_e32 v19, 8, v11
	v_lshl_add_u32 v3, v3, 10, 0x2000
	v_lshlrev_b32_e32 v2, 7, v2
	v_and_b32_e32 v19, 0x8000, v19
	v_and_b32_e32 v3, 0xfc00, v3
	v_or3_b32 v99, v19, v3, v2
.LBB292_1198:                           ;   in Loop: Header=BB292_796 Depth=1
	s_or_b32 exec_lo, exec_lo, s19
.LBB292_1199:                           ;   in Loop: Header=BB292_796 Depth=1
	s_or_b32 exec_lo, exec_lo, s18
.LBB292_1200:                           ;   in Loop: Header=BB292_796 Depth=1
	s_or_b32 exec_lo, exec_lo, s15
	v_lshrrev_b16 v3, 8, v11
	s_mov_b32 s15, exec_lo
	v_cmpx_ne_u16_e32 0, v3
	s_cbranch_execz .LBB292_1208
; %bb.1201:                             ;   in Loop: Header=BB292_796 Depth=1
	v_bfrev_b32_e32 v1, 1
	s_mov_b32 s18, exec_lo
	v_cmpx_ne_u16_e32 0x80, v3
	s_cbranch_execz .LBB292_1207
; %bb.1202:                             ;   in Loop: Header=BB292_796 Depth=1
	v_and_b32_sdwa v19, v3, v48 dst_sel:DWORD dst_unused:UNUSED_PAD src0_sel:WORD_0 src1_sel:DWORD
	v_mov_b32_e32 v1, 0x7c010000
	s_mov_b32 s19, exec_lo
	v_cmpx_ne_u32_e32 0x7f, v19
	s_cbranch_execz .LBB292_1206
; %bb.1203:                             ;   in Loop: Header=BB292_796 Depth=1
	v_and_b32_sdwa v1, v3, v49 dst_sel:DWORD dst_unused:UNUSED_PAD src0_sel:WORD_0 src1_sel:DWORD
	v_lshrrev_b32_e32 v2, 3, v19
	s_mov_b32 s20, exec_lo
	v_cmpx_gt_u32_e32 8, v19
; %bb.1204:                             ;   in Loop: Header=BB292_796 Depth=1
	v_ffbh_u32_e32 v1, v1
	v_min_u32_e32 v19, 32, v1
	v_subrev_nc_u32_e32 v1, 28, v19
	v_lshlrev_b64 v[1:2], v1, v[3:4]
	v_sub_nc_u32_e32 v2, 29, v19
	v_and_b32_e32 v1, 7, v1
; %bb.1205:                             ;   in Loop: Header=BB292_796 Depth=1
	s_or_b32 exec_lo, exec_lo, s20
	v_lshlrev_b32_sdwa v3, v50, v3 dst_sel:DWORD dst_unused:UNUSED_PAD src0_sel:DWORD src1_sel:WORD_0
	v_lshl_add_u32 v2, v2, 10, 0x2000
	v_lshlrev_b32_e32 v1, 23, v1
	v_and_or_b32 v2, 0x8000, v3, v2
	v_lshl_or_b32 v1, v2, 16, v1
.LBB292_1206:                           ;   in Loop: Header=BB292_796 Depth=1
	s_or_b32 exec_lo, exec_lo, s19
.LBB292_1207:                           ;   in Loop: Header=BB292_796 Depth=1
	s_or_b32 exec_lo, exec_lo, s18
.LBB292_1208:                           ;   in Loop: Header=BB292_796 Depth=1
	s_or_b32 exec_lo, exec_lo, s15
	v_lshrrev_b32_e32 v2, 16, v11
	v_mov_b32_e32 v19, 0
	v_mov_b32_e32 v28, 0
	v_cmp_ne_u16_sdwa s4, v2, v4 src0_sel:BYTE_0 src1_sel:DWORD
	s_and_saveexec_b32 s15, s4
	s_cbranch_execz .LBB292_1216
; %bb.1209:                             ;   in Loop: Header=BB292_796 Depth=1
	v_cmp_ne_u16_sdwa s4, v2, v39 src0_sel:BYTE_0 src1_sel:DWORD
	v_mov_b32_e32 v28, 0x8000
	s_and_saveexec_b32 s18, s4
	s_cbranch_execz .LBB292_1215
; %bb.1210:                             ;   in Loop: Header=BB292_796 Depth=1
	v_bfe_u32 v100, v11, 16, 7
	v_mov_b32_e32 v28, 0x7c01
	s_mov_b32 s19, exec_lo
	v_cmpx_ne_u32_e32 0x7f, v100
	s_cbranch_execz .LBB292_1214
; %bb.1211:                             ;   in Loop: Header=BB292_796 Depth=1
	v_and_b32_e32 v3, 7, v2
	v_lshrrev_b32_e32 v26, 3, v100
	s_mov_b32 s20, exec_lo
	v_cmpx_gt_u32_e32 8, v100
; %bb.1212:                             ;   in Loop: Header=BB292_796 Depth=1
	v_ffbh_u32_e32 v3, v3
	v_min_u32_e32 v3, 32, v3
	v_subrev_nc_u32_e32 v26, 28, v3
	v_lshlrev_b64 v[28:29], v26, v[2:3]
	v_sub_nc_u32_e32 v26, 29, v3
	v_and_b32_e32 v3, 7, v28
; %bb.1213:                             ;   in Loop: Header=BB292_796 Depth=1
	s_or_b32 exec_lo, exec_lo, s20
	v_lshlrev_b32_e32 v2, 8, v2
	v_lshl_add_u32 v26, v26, 10, 0x2000
	v_lshlrev_b32_e32 v3, 7, v3
	v_and_b32_e32 v2, 0x8000, v2
	v_and_b32_e32 v26, 0xfc00, v26
	v_or3_b32 v28, v2, v26, v3
.LBB292_1214:                           ;   in Loop: Header=BB292_796 Depth=1
	s_or_b32 exec_lo, exec_lo, s19
.LBB292_1215:                           ;   in Loop: Header=BB292_796 Depth=1
	s_or_b32 exec_lo, exec_lo, s18
.LBB292_1216:                           ;   in Loop: Header=BB292_796 Depth=1
	s_or_b32 exec_lo, exec_lo, s15
	s_mov_b32 s15, exec_lo
	v_cmpx_lt_u32_e32 0xffffff, v11
	s_cbranch_execz .LBB292_1224
; %bb.1217:                             ;   in Loop: Header=BB292_796 Depth=1
	v_lshrrev_b32_e32 v3, 24, v11
	v_bfrev_b32_e32 v19, 1
	s_mov_b32 s18, exec_lo
	v_cmpx_ne_u32_e32 0x80, v3
	s_cbranch_execz .LBB292_1223
; %bb.1218:                             ;   in Loop: Header=BB292_796 Depth=1
	v_and_b32_e32 v26, 0x7f, v3
	v_mov_b32_e32 v19, 0x7c010000
	s_mov_b32 s19, exec_lo
	v_cmpx_ne_u32_e32 0x7f, v26
	s_cbranch_execz .LBB292_1222
; %bb.1219:                             ;   in Loop: Header=BB292_796 Depth=1
	v_and_b32_e32 v2, 7, v3
	v_lshrrev_b32_e32 v19, 3, v26
	s_mov_b32 s20, exec_lo
	v_cmpx_gt_u32_e32 8, v26
; %bb.1220:                             ;   in Loop: Header=BB292_796 Depth=1
	v_ffbh_u32_e32 v2, v2
	v_min_u32_e32 v2, 32, v2
	v_subrev_nc_u32_e32 v19, 28, v2
	v_lshlrev_b64 v[100:101], v19, v[3:4]
	v_sub_nc_u32_e32 v19, 29, v2
	v_and_b32_e32 v2, 7, v100
; %bb.1221:                             ;   in Loop: Header=BB292_796 Depth=1
	s_or_b32 exec_lo, exec_lo, s20
	v_lshlrev_b32_e32 v3, 8, v3
	v_lshl_add_u32 v19, v19, 10, 0x2000
	v_lshlrev_b32_e32 v2, 23, v2
	v_and_or_b32 v3, 0x8000, v3, v19
	v_lshl_or_b32 v19, v3, 16, v2
.LBB292_1222:                           ;   in Loop: Header=BB292_796 Depth=1
	s_or_b32 exec_lo, exec_lo, s19
.LBB292_1223:                           ;   in Loop: Header=BB292_796 Depth=1
	s_or_b32 exec_lo, exec_lo, s18
.LBB292_1224:                           ;   in Loop: Header=BB292_796 Depth=1
	s_or_b32 exec_lo, exec_lo, s15
	v_mov_b32_e32 v3, v12
	v_cmp_ne_u16_sdwa s4, v12, v4 src0_sel:BYTE_0 src1_sel:DWORD
	v_mov_b32_e32 v100, 0
	v_mov_b32_e32 v26, 0
	s_and_saveexec_b32 s15, s4
	s_cbranch_execz .LBB292_1232
; %bb.1225:                             ;   in Loop: Header=BB292_796 Depth=1
	v_cmp_ne_u16_sdwa s4, v12, v39 src0_sel:BYTE_0 src1_sel:DWORD
	v_mov_b32_e32 v26, 0x8000
	s_and_saveexec_b32 s18, s4
	s_cbranch_execz .LBB292_1231
; %bb.1226:                             ;   in Loop: Header=BB292_796 Depth=1
	v_and_b32_e32 v101, 0x7f, v12
	v_mov_b32_e32 v26, 0x7c01
	s_mov_b32 s19, exec_lo
	v_cmpx_ne_u32_e32 0x7f, v101
	s_cbranch_execz .LBB292_1230
; %bb.1227:                             ;   in Loop: Header=BB292_796 Depth=1
	v_and_b32_e32 v2, 7, v12
	v_lshrrev_b32_e32 v26, 3, v101
	s_mov_b32 s20, exec_lo
	v_cmpx_gt_u32_e32 8, v101
; %bb.1228:                             ;   in Loop: Header=BB292_796 Depth=1
	v_ffbh_u32_e32 v2, v2
	v_min_u32_e32 v2, 32, v2
	v_subrev_nc_u32_e32 v26, 28, v2
	v_lshlrev_b64 v[101:102], v26, v[3:4]
	v_sub_nc_u32_e32 v26, 29, v2
	v_and_b32_e32 v2, 7, v101
; %bb.1229:                             ;   in Loop: Header=BB292_796 Depth=1
	s_or_b32 exec_lo, exec_lo, s20
	v_lshlrev_b32_e32 v29, 8, v12
	v_lshl_add_u32 v26, v26, 10, 0x2000
	v_lshlrev_b32_e32 v2, 7, v2
	v_and_b32_e32 v29, 0x8000, v29
	v_and_b32_e32 v26, 0xfc00, v26
	v_or3_b32 v26, v29, v26, v2
.LBB292_1230:                           ;   in Loop: Header=BB292_796 Depth=1
	s_or_b32 exec_lo, exec_lo, s19
.LBB292_1231:                           ;   in Loop: Header=BB292_796 Depth=1
	s_or_b32 exec_lo, exec_lo, s18
.LBB292_1232:                           ;   in Loop: Header=BB292_796 Depth=1
	s_or_b32 exec_lo, exec_lo, s15
	v_lshrrev_b16 v3, 8, v3
	v_mov_b32_e32 v101, 0
	s_mov_b32 s15, exec_lo
	v_cmpx_ne_u16_e32 0, v3
	s_cbranch_execz .LBB292_1240
; %bb.1233:                             ;   in Loop: Header=BB292_796 Depth=1
	v_bfrev_b32_e32 v101, 1
	s_mov_b32 s18, exec_lo
	v_cmpx_ne_u16_e32 0x80, v3
	s_cbranch_execz .LBB292_1239
; %bb.1234:                             ;   in Loop: Header=BB292_796 Depth=1
	v_and_b32_sdwa v102, v3, v48 dst_sel:DWORD dst_unused:UNUSED_PAD src0_sel:WORD_0 src1_sel:DWORD
	v_mov_b32_e32 v101, 0x7c010000
	s_mov_b32 s19, exec_lo
	v_cmpx_ne_u32_e32 0x7f, v102
	s_cbranch_execz .LBB292_1238
; %bb.1235:                             ;   in Loop: Header=BB292_796 Depth=1
	v_and_b32_sdwa v2, v3, v49 dst_sel:DWORD dst_unused:UNUSED_PAD src0_sel:WORD_0 src1_sel:DWORD
	v_lshrrev_b32_e32 v101, 3, v102
	s_mov_b32 s20, exec_lo
	v_cmpx_gt_u32_e32 8, v102
; %bb.1236:                             ;   in Loop: Header=BB292_796 Depth=1
	v_ffbh_u32_e32 v2, v2
	v_min_u32_e32 v2, 32, v2
	v_subrev_nc_u32_e32 v29, 28, v2
	v_sub_nc_u32_e32 v101, 29, v2
	v_lshlrev_b64 v[102:103], v29, v[3:4]
	v_and_b32_e32 v2, 7, v102
; %bb.1237:                             ;   in Loop: Header=BB292_796 Depth=1
	s_or_b32 exec_lo, exec_lo, s20
	v_lshlrev_b32_sdwa v3, v50, v3 dst_sel:DWORD dst_unused:UNUSED_PAD src0_sel:DWORD src1_sel:WORD_0
	v_lshl_add_u32 v29, v101, 10, 0x2000
	v_lshlrev_b32_e32 v2, 23, v2
	v_and_or_b32 v3, 0x8000, v3, v29
	v_lshl_or_b32 v101, v3, 16, v2
.LBB292_1238:                           ;   in Loop: Header=BB292_796 Depth=1
	s_or_b32 exec_lo, exec_lo, s19
.LBB292_1239:                           ;   in Loop: Header=BB292_796 Depth=1
	s_or_b32 exec_lo, exec_lo, s18
.LBB292_1240:                           ;   in Loop: Header=BB292_796 Depth=1
	s_or_b32 exec_lo, exec_lo, s15
	v_lshrrev_b32_e32 v2, 16, v12
	v_cmp_ne_u16_sdwa s4, v2, v4 src0_sel:BYTE_0 src1_sel:DWORD
	s_and_saveexec_b32 s15, s4
	s_cbranch_execz .LBB292_1248
; %bb.1241:                             ;   in Loop: Header=BB292_796 Depth=1
	v_cmp_ne_u16_sdwa s4, v2, v39 src0_sel:BYTE_0 src1_sel:DWORD
	v_mov_b32_e32 v100, 0x8000
	s_and_saveexec_b32 s18, s4
	s_cbranch_execz .LBB292_1247
; %bb.1242:                             ;   in Loop: Header=BB292_796 Depth=1
	v_bfe_u32 v102, v12, 16, 7
	v_mov_b32_e32 v100, 0x7c01
	s_mov_b32 s19, exec_lo
	v_cmpx_ne_u32_e32 0x7f, v102
	s_cbranch_execz .LBB292_1246
; %bb.1243:                             ;   in Loop: Header=BB292_796 Depth=1
	v_and_b32_e32 v3, 7, v2
	v_lshrrev_b32_e32 v100, 3, v102
	s_mov_b32 s20, exec_lo
	v_cmpx_gt_u32_e32 8, v102
; %bb.1244:                             ;   in Loop: Header=BB292_796 Depth=1
	v_ffbh_u32_e32 v3, v3
	v_min_u32_e32 v3, 32, v3
	v_subrev_nc_u32_e32 v29, 28, v3
	v_sub_nc_u32_e32 v100, 29, v3
	v_lshlrev_b64 v[102:103], v29, v[2:3]
	v_and_b32_e32 v3, 7, v102
; %bb.1245:                             ;   in Loop: Header=BB292_796 Depth=1
	s_or_b32 exec_lo, exec_lo, s20
	v_lshlrev_b32_e32 v2, 8, v2
	v_lshl_add_u32 v29, v100, 10, 0x2000
	v_lshlrev_b32_e32 v3, 7, v3
	v_and_b32_e32 v2, 0x8000, v2
	v_and_b32_e32 v29, 0xfc00, v29
	v_or3_b32 v100, v2, v29, v3
.LBB292_1246:                           ;   in Loop: Header=BB292_796 Depth=1
	s_or_b32 exec_lo, exec_lo, s19
.LBB292_1247:                           ;   in Loop: Header=BB292_796 Depth=1
	s_or_b32 exec_lo, exec_lo, s18
.LBB292_1248:                           ;   in Loop: Header=BB292_796 Depth=1
	s_or_b32 exec_lo, exec_lo, s15
	v_mov_b32_e32 v2, 0
	s_mov_b32 s15, exec_lo
	v_cmpx_lt_u64_e64 s[6:7], v[11:12]
	s_cbranch_execz .LBB292_1256
; %bb.1249:                             ;   in Loop: Header=BB292_796 Depth=1
	v_lshrrev_b32_e32 v3, 24, v12
	v_bfrev_b32_e32 v2, 1
	s_mov_b32 s18, exec_lo
	v_cmpx_ne_u32_e32 0x80, v3
	s_cbranch_execz .LBB292_1255
; %bb.1250:                             ;   in Loop: Header=BB292_796 Depth=1
	v_and_b32_e32 v12, 0x7f, v3
	v_mov_b32_e32 v2, 0x7c010000
	s_mov_b32 s19, exec_lo
	v_cmpx_ne_u32_e32 0x7f, v12
	s_cbranch_execz .LBB292_1254
; %bb.1251:                             ;   in Loop: Header=BB292_796 Depth=1
	v_and_b32_e32 v2, 7, v3
	v_lshrrev_b32_e32 v11, 3, v12
	s_mov_b32 s20, exec_lo
	v_cmpx_gt_u32_e32 8, v12
; %bb.1252:                             ;   in Loop: Header=BB292_796 Depth=1
	v_ffbh_u32_e32 v2, v2
	v_min_u32_e32 v2, 32, v2
	v_subrev_nc_u32_e32 v11, 28, v2
	v_lshlrev_b64 v[102:103], v11, v[3:4]
	v_sub_nc_u32_e32 v11, 29, v2
	v_and_b32_e32 v2, 7, v102
; %bb.1253:                             ;   in Loop: Header=BB292_796 Depth=1
	s_or_b32 exec_lo, exec_lo, s20
	v_lshlrev_b32_e32 v3, 8, v3
	v_lshl_add_u32 v11, v11, 10, 0x2000
	v_lshlrev_b32_e32 v2, 23, v2
	v_and_or_b32 v3, 0x8000, v3, v11
	v_lshl_or_b32 v2, v3, 16, v2
.LBB292_1254:                           ;   in Loop: Header=BB292_796 Depth=1
	s_or_b32 exec_lo, exec_lo, s19
.LBB292_1255:                           ;   in Loop: Header=BB292_796 Depth=1
	s_or_b32 exec_lo, exec_lo, s18
.LBB292_1256:                           ;   in Loop: Header=BB292_796 Depth=1
	s_or_b32 exec_lo, exec_lo, s15
	v_or_b32_e32 v3, v19, v28
	s_waitcnt vmcnt(0) lgkmcnt(0)
	v_fma_mixlo_f16 v11, v0, v19, 0 op_sel:[0,1,0] op_sel_hi:[0,1,0]
	v_or_b32_e32 v19, v1, v99
	v_or_b32_e32 v26, v101, v26
	;; [unrolled: 1-line block ×3, first 2 shown]
	v_fma_mixlo_f16 v12, v0, v1, 0 op_sel:[0,1,0] op_sel_hi:[0,1,0]
	v_fma_mixlo_f16 v3, v0, v3, 0 op_sel_hi:[0,1,0]
	v_lshlrev_b32_e32 v1, 16, v11
	v_fma_mixlo_f16 v11, v0, v19, 0 op_sel_hi:[0,1,0]
	v_fma_mixlo_f16 v19, v0, v101, 0 op_sel:[0,1,0] op_sel_hi:[0,1,0]
	v_fma_mixlo_f16 v26, v0, v26, 0 op_sel_hi:[0,1,0]
	v_fma_mixlo_f16 v29, v0, v2, 0 op_sel:[0,1,0] op_sel_hi:[0,1,0]
	v_fma_mixlo_f16 v28, v0, v28, 0 op_sel_hi:[0,1,0]
	v_lshlrev_b32_e32 v12, 16, v12
	v_and_b32_e32 v3, 0xffff, v3
	v_and_b32_e32 v101, 0xffff, v11
	v_lshlrev_b32_e32 v2, 16, v19
	v_and_b32_e32 v26, 0xffff, v26
	v_lshlrev_b32_e32 v0, 16, v29
	v_and_b32_e32 v11, 0xffff, v28
	v_or_b32_e32 v19, v1, v3
	v_or_b32_e32 v100, v12, v101
	;; [unrolled: 1-line block ×4, first 2 shown]
	s_and_saveexec_b32 s15, vcc_lo
	s_cbranch_execz .LBB292_1258
; %bb.1257:                             ;   in Loop: Header=BB292_796 Depth=1
	v_cmp_lt_i32_e64 s4, v52, v27
	v_cndmask_b32_e64 v19, 0, v101, s4
	v_cmp_lt_i32_e64 s4, v80, v27
	v_cndmask_b32_e64 v12, 0, v12, s4
	v_cmp_lt_i32_e64 s4, v71, v27
	v_or_b32_e32 v100, v19, v12
	v_cndmask_b32_e64 v3, 0, v3, s4
	v_cmp_lt_i32_e64 s4, v69, v27
	v_cndmask_b32_e64 v1, 0, v1, s4
	v_cmp_lt_i32_e64 s4, v66, v27
	v_or_b32_e32 v19, v3, v1
	;; [unrolled: 5-line block ×3, first 2 shown]
	v_cndmask_b32_e64 v11, 0, v11, s4
	v_cmp_lt_i32_e64 s4, v31, v27
	v_cndmask_b32_e64 v0, 0, v0, s4
	v_or_b32_e32 v28, v11, v0
.LBB292_1258:                           ;   in Loop: Header=BB292_796 Depth=1
	s_or_b32 exec_lo, exec_lo, s15
	;;#ASMSTART
	v_pk_mul_f16 v0, v68, v100;

	;;#ASMEND
	;;#ASMSTART
	v_pk_mul_f16 v1, v65, v19;

	;;#ASMEND
	;; [unrolled: 4-line block ×4, first 2 shown]
	;;#ASMSTART
	v_pk_add_f16 v0, v0, v1;

	;;#ASMEND
	;;#ASMSTART
	v_pk_add_f16 v0, v0, v2;

	;;#ASMEND
	;;#ASMSTART
	v_pk_add_f16 v0, v0, v3;

	;;#ASMEND
	v_and_b32_e32 v1, 0xffff, v0
	v_lshrrev_b32_e32 v0, 16, v0
	;;#ASMSTART
	v_cvt_f32_f16 v99, v1;
	;;#ASMEND
	;;#ASMSTART
	v_cvt_f32_f16 v100, v0;
	;;#ASMEND
	flat_load_dwordx2 v[11:12], v[9:10] offset:1792
	flat_load_dword v0, v[22:23]
	v_mov_b32_e32 v1, 0
	v_mov_b32_e32 v101, 0
	s_waitcnt vmcnt(1) lgkmcnt(1)
	v_cmp_ne_u16_sdwa s4, v11, v4 src0_sel:BYTE_0 src1_sel:DWORD
	s_and_saveexec_b32 s15, s4
	s_cbranch_execz .LBB292_1266
; %bb.1259:                             ;   in Loop: Header=BB292_796 Depth=1
	v_cmp_ne_u16_sdwa s4, v11, v39 src0_sel:BYTE_0 src1_sel:DWORD
	v_mov_b32_e32 v101, 0x8000
	s_and_saveexec_b32 s18, s4
	s_cbranch_execz .LBB292_1265
; %bb.1260:                             ;   in Loop: Header=BB292_796 Depth=1
	v_and_b32_e32 v19, 0x7f, v11
	v_mov_b32_e32 v101, 0x7c01
	s_mov_b32 s19, exec_lo
	v_cmpx_ne_u32_e32 0x7f, v19
	s_cbranch_execz .LBB292_1264
; %bb.1261:                             ;   in Loop: Header=BB292_796 Depth=1
	v_and_b32_e32 v2, 7, v11
	v_lshrrev_b32_e32 v3, 3, v19
	s_mov_b32 s20, exec_lo
	v_cmpx_gt_u32_e32 8, v19
; %bb.1262:                             ;   in Loop: Header=BB292_796 Depth=1
	v_ffbh_u32_e32 v2, v2
	v_min_u32_e32 v19, 32, v2
	v_subrev_nc_u32_e32 v2, 28, v19
	v_lshlrev_b64 v[2:3], v2, v[11:12]
	v_sub_nc_u32_e32 v3, 29, v19
	v_and_b32_e32 v2, 7, v2
; %bb.1263:                             ;   in Loop: Header=BB292_796 Depth=1
	s_or_b32 exec_lo, exec_lo, s20
	v_lshlrev_b32_e32 v19, 8, v11
	v_lshl_add_u32 v3, v3, 10, 0x2000
	v_lshlrev_b32_e32 v2, 7, v2
	v_and_b32_e32 v19, 0x8000, v19
	v_and_b32_e32 v3, 0xfc00, v3
	v_or3_b32 v101, v19, v3, v2
.LBB292_1264:                           ;   in Loop: Header=BB292_796 Depth=1
	s_or_b32 exec_lo, exec_lo, s19
.LBB292_1265:                           ;   in Loop: Header=BB292_796 Depth=1
	s_or_b32 exec_lo, exec_lo, s18
.LBB292_1266:                           ;   in Loop: Header=BB292_796 Depth=1
	s_or_b32 exec_lo, exec_lo, s15
	v_lshrrev_b16 v3, 8, v11
	s_mov_b32 s15, exec_lo
	v_cmpx_ne_u16_e32 0, v3
	s_cbranch_execz .LBB292_1274
; %bb.1267:                             ;   in Loop: Header=BB292_796 Depth=1
	v_bfrev_b32_e32 v1, 1
	s_mov_b32 s18, exec_lo
	v_cmpx_ne_u16_e32 0x80, v3
	s_cbranch_execz .LBB292_1273
; %bb.1268:                             ;   in Loop: Header=BB292_796 Depth=1
	v_and_b32_sdwa v19, v3, v48 dst_sel:DWORD dst_unused:UNUSED_PAD src0_sel:WORD_0 src1_sel:DWORD
	v_mov_b32_e32 v1, 0x7c010000
	s_mov_b32 s19, exec_lo
	v_cmpx_ne_u32_e32 0x7f, v19
	s_cbranch_execz .LBB292_1272
; %bb.1269:                             ;   in Loop: Header=BB292_796 Depth=1
	v_and_b32_sdwa v1, v3, v49 dst_sel:DWORD dst_unused:UNUSED_PAD src0_sel:WORD_0 src1_sel:DWORD
	v_lshrrev_b32_e32 v2, 3, v19
	s_mov_b32 s20, exec_lo
	v_cmpx_gt_u32_e32 8, v19
; %bb.1270:                             ;   in Loop: Header=BB292_796 Depth=1
	v_ffbh_u32_e32 v1, v1
	v_min_u32_e32 v19, 32, v1
	v_subrev_nc_u32_e32 v1, 28, v19
	v_lshlrev_b64 v[1:2], v1, v[3:4]
	v_sub_nc_u32_e32 v2, 29, v19
	v_and_b32_e32 v1, 7, v1
; %bb.1271:                             ;   in Loop: Header=BB292_796 Depth=1
	s_or_b32 exec_lo, exec_lo, s20
	v_lshlrev_b32_sdwa v3, v50, v3 dst_sel:DWORD dst_unused:UNUSED_PAD src0_sel:DWORD src1_sel:WORD_0
	v_lshl_add_u32 v2, v2, 10, 0x2000
	v_lshlrev_b32_e32 v1, 23, v1
	v_and_or_b32 v2, 0x8000, v3, v2
	v_lshl_or_b32 v1, v2, 16, v1
.LBB292_1272:                           ;   in Loop: Header=BB292_796 Depth=1
	s_or_b32 exec_lo, exec_lo, s19
.LBB292_1273:                           ;   in Loop: Header=BB292_796 Depth=1
	s_or_b32 exec_lo, exec_lo, s18
.LBB292_1274:                           ;   in Loop: Header=BB292_796 Depth=1
	s_or_b32 exec_lo, exec_lo, s15
	v_lshrrev_b32_e32 v2, 16, v11
	v_mov_b32_e32 v19, 0
	v_mov_b32_e32 v28, 0
	v_cmp_ne_u16_sdwa s4, v2, v4 src0_sel:BYTE_0 src1_sel:DWORD
	s_and_saveexec_b32 s15, s4
	s_cbranch_execz .LBB292_1282
; %bb.1275:                             ;   in Loop: Header=BB292_796 Depth=1
	v_cmp_ne_u16_sdwa s4, v2, v39 src0_sel:BYTE_0 src1_sel:DWORD
	v_mov_b32_e32 v28, 0x8000
	s_and_saveexec_b32 s18, s4
	s_cbranch_execz .LBB292_1281
; %bb.1276:                             ;   in Loop: Header=BB292_796 Depth=1
	v_bfe_u32 v102, v11, 16, 7
	v_mov_b32_e32 v28, 0x7c01
	s_mov_b32 s19, exec_lo
	v_cmpx_ne_u32_e32 0x7f, v102
	s_cbranch_execz .LBB292_1280
; %bb.1277:                             ;   in Loop: Header=BB292_796 Depth=1
	v_and_b32_e32 v3, 7, v2
	v_lshrrev_b32_e32 v26, 3, v102
	s_mov_b32 s20, exec_lo
	v_cmpx_gt_u32_e32 8, v102
; %bb.1278:                             ;   in Loop: Header=BB292_796 Depth=1
	v_ffbh_u32_e32 v3, v3
	v_min_u32_e32 v3, 32, v3
	v_subrev_nc_u32_e32 v26, 28, v3
	v_lshlrev_b64 v[28:29], v26, v[2:3]
	v_sub_nc_u32_e32 v26, 29, v3
	v_and_b32_e32 v3, 7, v28
; %bb.1279:                             ;   in Loop: Header=BB292_796 Depth=1
	s_or_b32 exec_lo, exec_lo, s20
	v_lshlrev_b32_e32 v2, 8, v2
	v_lshl_add_u32 v26, v26, 10, 0x2000
	v_lshlrev_b32_e32 v3, 7, v3
	v_and_b32_e32 v2, 0x8000, v2
	v_and_b32_e32 v26, 0xfc00, v26
	v_or3_b32 v28, v2, v26, v3
.LBB292_1280:                           ;   in Loop: Header=BB292_796 Depth=1
	s_or_b32 exec_lo, exec_lo, s19
.LBB292_1281:                           ;   in Loop: Header=BB292_796 Depth=1
	s_or_b32 exec_lo, exec_lo, s18
.LBB292_1282:                           ;   in Loop: Header=BB292_796 Depth=1
	s_or_b32 exec_lo, exec_lo, s15
	s_mov_b32 s15, exec_lo
	v_cmpx_lt_u32_e32 0xffffff, v11
	s_cbranch_execz .LBB292_1290
; %bb.1283:                             ;   in Loop: Header=BB292_796 Depth=1
	v_lshrrev_b32_e32 v3, 24, v11
	v_bfrev_b32_e32 v19, 1
	s_mov_b32 s18, exec_lo
	v_cmpx_ne_u32_e32 0x80, v3
	s_cbranch_execz .LBB292_1289
; %bb.1284:                             ;   in Loop: Header=BB292_796 Depth=1
	v_and_b32_e32 v26, 0x7f, v3
	v_mov_b32_e32 v19, 0x7c010000
	s_mov_b32 s19, exec_lo
	v_cmpx_ne_u32_e32 0x7f, v26
	s_cbranch_execz .LBB292_1288
; %bb.1285:                             ;   in Loop: Header=BB292_796 Depth=1
	v_and_b32_e32 v2, 7, v3
	v_lshrrev_b32_e32 v19, 3, v26
	s_mov_b32 s20, exec_lo
	v_cmpx_gt_u32_e32 8, v26
; %bb.1286:                             ;   in Loop: Header=BB292_796 Depth=1
	v_ffbh_u32_e32 v2, v2
	v_min_u32_e32 v2, 32, v2
	v_subrev_nc_u32_e32 v19, 28, v2
	v_lshlrev_b64 v[102:103], v19, v[3:4]
	v_sub_nc_u32_e32 v19, 29, v2
	v_and_b32_e32 v2, 7, v102
; %bb.1287:                             ;   in Loop: Header=BB292_796 Depth=1
	s_or_b32 exec_lo, exec_lo, s20
	v_lshlrev_b32_e32 v3, 8, v3
	v_lshl_add_u32 v19, v19, 10, 0x2000
	v_lshlrev_b32_e32 v2, 23, v2
	v_and_or_b32 v3, 0x8000, v3, v19
	v_lshl_or_b32 v19, v3, 16, v2
.LBB292_1288:                           ;   in Loop: Header=BB292_796 Depth=1
	s_or_b32 exec_lo, exec_lo, s19
.LBB292_1289:                           ;   in Loop: Header=BB292_796 Depth=1
	s_or_b32 exec_lo, exec_lo, s18
.LBB292_1290:                           ;   in Loop: Header=BB292_796 Depth=1
	s_or_b32 exec_lo, exec_lo, s15
	v_mov_b32_e32 v3, v12
	v_cmp_ne_u16_sdwa s4, v12, v4 src0_sel:BYTE_0 src1_sel:DWORD
	v_mov_b32_e32 v102, 0
	v_mov_b32_e32 v26, 0
	s_and_saveexec_b32 s15, s4
	s_cbranch_execz .LBB292_1298
; %bb.1291:                             ;   in Loop: Header=BB292_796 Depth=1
	v_cmp_ne_u16_sdwa s4, v12, v39 src0_sel:BYTE_0 src1_sel:DWORD
	v_mov_b32_e32 v26, 0x8000
	s_and_saveexec_b32 s18, s4
	s_cbranch_execz .LBB292_1297
; %bb.1292:                             ;   in Loop: Header=BB292_796 Depth=1
	v_and_b32_e32 v103, 0x7f, v12
	v_mov_b32_e32 v26, 0x7c01
	s_mov_b32 s19, exec_lo
	v_cmpx_ne_u32_e32 0x7f, v103
	s_cbranch_execz .LBB292_1296
; %bb.1293:                             ;   in Loop: Header=BB292_796 Depth=1
	v_and_b32_e32 v2, 7, v12
	v_lshrrev_b32_e32 v26, 3, v103
	s_mov_b32 s20, exec_lo
	v_cmpx_gt_u32_e32 8, v103
; %bb.1294:                             ;   in Loop: Header=BB292_796 Depth=1
	v_ffbh_u32_e32 v2, v2
	v_min_u32_e32 v2, 32, v2
	v_subrev_nc_u32_e32 v26, 28, v2
	v_lshlrev_b64 v[112:113], v26, v[3:4]
	v_sub_nc_u32_e32 v26, 29, v2
	v_and_b32_e32 v2, 7, v112
; %bb.1295:                             ;   in Loop: Header=BB292_796 Depth=1
	s_or_b32 exec_lo, exec_lo, s20
	v_lshlrev_b32_e32 v29, 8, v12
	v_lshl_add_u32 v26, v26, 10, 0x2000
	v_lshlrev_b32_e32 v2, 7, v2
	v_and_b32_e32 v29, 0x8000, v29
	v_and_b32_e32 v26, 0xfc00, v26
	v_or3_b32 v26, v29, v26, v2
.LBB292_1296:                           ;   in Loop: Header=BB292_796 Depth=1
	s_or_b32 exec_lo, exec_lo, s19
.LBB292_1297:                           ;   in Loop: Header=BB292_796 Depth=1
	s_or_b32 exec_lo, exec_lo, s18
.LBB292_1298:                           ;   in Loop: Header=BB292_796 Depth=1
	s_or_b32 exec_lo, exec_lo, s15
	v_lshrrev_b16 v3, 8, v3
	v_mov_b32_e32 v103, 0
	s_mov_b32 s15, exec_lo
	v_cmpx_ne_u16_e32 0, v3
	s_cbranch_execz .LBB292_1306
; %bb.1299:                             ;   in Loop: Header=BB292_796 Depth=1
	v_bfrev_b32_e32 v103, 1
	s_mov_b32 s18, exec_lo
	v_cmpx_ne_u16_e32 0x80, v3
	s_cbranch_execz .LBB292_1305
; %bb.1300:                             ;   in Loop: Header=BB292_796 Depth=1
	v_and_b32_sdwa v112, v3, v48 dst_sel:DWORD dst_unused:UNUSED_PAD src0_sel:WORD_0 src1_sel:DWORD
	v_mov_b32_e32 v103, 0x7c010000
	s_mov_b32 s19, exec_lo
	v_cmpx_ne_u32_e32 0x7f, v112
	s_cbranch_execz .LBB292_1304
; %bb.1301:                             ;   in Loop: Header=BB292_796 Depth=1
	v_and_b32_sdwa v2, v3, v49 dst_sel:DWORD dst_unused:UNUSED_PAD src0_sel:WORD_0 src1_sel:DWORD
	v_lshrrev_b32_e32 v103, 3, v112
	s_mov_b32 s20, exec_lo
	v_cmpx_gt_u32_e32 8, v112
; %bb.1302:                             ;   in Loop: Header=BB292_796 Depth=1
	v_ffbh_u32_e32 v2, v2
	v_min_u32_e32 v2, 32, v2
	v_subrev_nc_u32_e32 v29, 28, v2
	v_sub_nc_u32_e32 v103, 29, v2
	v_lshlrev_b64 v[112:113], v29, v[3:4]
	v_and_b32_e32 v2, 7, v112
; %bb.1303:                             ;   in Loop: Header=BB292_796 Depth=1
	s_or_b32 exec_lo, exec_lo, s20
	v_lshlrev_b32_sdwa v3, v50, v3 dst_sel:DWORD dst_unused:UNUSED_PAD src0_sel:DWORD src1_sel:WORD_0
	v_lshl_add_u32 v29, v103, 10, 0x2000
	v_lshlrev_b32_e32 v2, 23, v2
	v_and_or_b32 v3, 0x8000, v3, v29
	v_lshl_or_b32 v103, v3, 16, v2
.LBB292_1304:                           ;   in Loop: Header=BB292_796 Depth=1
	s_or_b32 exec_lo, exec_lo, s19
.LBB292_1305:                           ;   in Loop: Header=BB292_796 Depth=1
	s_or_b32 exec_lo, exec_lo, s18
.LBB292_1306:                           ;   in Loop: Header=BB292_796 Depth=1
	s_or_b32 exec_lo, exec_lo, s15
	v_lshrrev_b32_e32 v2, 16, v12
	v_cmp_ne_u16_sdwa s4, v2, v4 src0_sel:BYTE_0 src1_sel:DWORD
	s_and_saveexec_b32 s15, s4
	s_cbranch_execz .LBB292_1314
; %bb.1307:                             ;   in Loop: Header=BB292_796 Depth=1
	v_cmp_ne_u16_sdwa s4, v2, v39 src0_sel:BYTE_0 src1_sel:DWORD
	v_mov_b32_e32 v102, 0x8000
	s_and_saveexec_b32 s18, s4
	s_cbranch_execz .LBB292_1313
; %bb.1308:                             ;   in Loop: Header=BB292_796 Depth=1
	v_bfe_u32 v112, v12, 16, 7
	v_mov_b32_e32 v102, 0x7c01
	s_mov_b32 s19, exec_lo
	v_cmpx_ne_u32_e32 0x7f, v112
	s_cbranch_execz .LBB292_1312
; %bb.1309:                             ;   in Loop: Header=BB292_796 Depth=1
	v_and_b32_e32 v3, 7, v2
	v_lshrrev_b32_e32 v102, 3, v112
	s_mov_b32 s20, exec_lo
	v_cmpx_gt_u32_e32 8, v112
; %bb.1310:                             ;   in Loop: Header=BB292_796 Depth=1
	v_ffbh_u32_e32 v3, v3
	v_min_u32_e32 v3, 32, v3
	v_subrev_nc_u32_e32 v29, 28, v3
	v_sub_nc_u32_e32 v102, 29, v3
	v_lshlrev_b64 v[112:113], v29, v[2:3]
	v_and_b32_e32 v3, 7, v112
; %bb.1311:                             ;   in Loop: Header=BB292_796 Depth=1
	s_or_b32 exec_lo, exec_lo, s20
	v_lshlrev_b32_e32 v2, 8, v2
	v_lshl_add_u32 v29, v102, 10, 0x2000
	v_lshlrev_b32_e32 v3, 7, v3
	v_and_b32_e32 v2, 0x8000, v2
	v_and_b32_e32 v29, 0xfc00, v29
	v_or3_b32 v102, v2, v29, v3
.LBB292_1312:                           ;   in Loop: Header=BB292_796 Depth=1
	s_or_b32 exec_lo, exec_lo, s19
.LBB292_1313:                           ;   in Loop: Header=BB292_796 Depth=1
	s_or_b32 exec_lo, exec_lo, s18
.LBB292_1314:                           ;   in Loop: Header=BB292_796 Depth=1
	s_or_b32 exec_lo, exec_lo, s15
	v_mov_b32_e32 v2, 0
	s_mov_b32 s15, exec_lo
	v_cmpx_lt_u64_e64 s[6:7], v[11:12]
	s_cbranch_execz .LBB292_1322
; %bb.1315:                             ;   in Loop: Header=BB292_796 Depth=1
	v_lshrrev_b32_e32 v3, 24, v12
	v_bfrev_b32_e32 v2, 1
	s_mov_b32 s18, exec_lo
	v_cmpx_ne_u32_e32 0x80, v3
	s_cbranch_execz .LBB292_1321
; %bb.1316:                             ;   in Loop: Header=BB292_796 Depth=1
	v_and_b32_e32 v12, 0x7f, v3
	v_mov_b32_e32 v2, 0x7c010000
	s_mov_b32 s19, exec_lo
	v_cmpx_ne_u32_e32 0x7f, v12
	s_cbranch_execz .LBB292_1320
; %bb.1317:                             ;   in Loop: Header=BB292_796 Depth=1
	v_and_b32_e32 v2, 7, v3
	v_lshrrev_b32_e32 v11, 3, v12
	s_mov_b32 s20, exec_lo
	v_cmpx_gt_u32_e32 8, v12
; %bb.1318:                             ;   in Loop: Header=BB292_796 Depth=1
	v_ffbh_u32_e32 v2, v2
	v_min_u32_e32 v2, 32, v2
	v_subrev_nc_u32_e32 v11, 28, v2
	v_lshlrev_b64 v[112:113], v11, v[3:4]
	v_sub_nc_u32_e32 v11, 29, v2
	v_and_b32_e32 v2, 7, v112
; %bb.1319:                             ;   in Loop: Header=BB292_796 Depth=1
	s_or_b32 exec_lo, exec_lo, s20
	v_lshlrev_b32_e32 v3, 8, v3
	v_lshl_add_u32 v11, v11, 10, 0x2000
	v_lshlrev_b32_e32 v2, 23, v2
	v_and_or_b32 v3, 0x8000, v3, v11
	v_lshl_or_b32 v2, v3, 16, v2
.LBB292_1320:                           ;   in Loop: Header=BB292_796 Depth=1
	s_or_b32 exec_lo, exec_lo, s19
.LBB292_1321:                           ;   in Loop: Header=BB292_796 Depth=1
	s_or_b32 exec_lo, exec_lo, s18
.LBB292_1322:                           ;   in Loop: Header=BB292_796 Depth=1
	s_or_b32 exec_lo, exec_lo, s15
	v_or_b32_e32 v3, v19, v28
	s_waitcnt vmcnt(0) lgkmcnt(0)
	v_fma_mixlo_f16 v11, v0, v19, 0 op_sel:[0,1,0] op_sel_hi:[0,1,0]
	v_or_b32_e32 v19, v1, v101
	v_or_b32_e32 v26, v103, v26
	;; [unrolled: 1-line block ×3, first 2 shown]
	v_fma_mixlo_f16 v12, v0, v1, 0 op_sel:[0,1,0] op_sel_hi:[0,1,0]
	v_fma_mixlo_f16 v3, v0, v3, 0 op_sel_hi:[0,1,0]
	v_lshlrev_b32_e32 v1, 16, v11
	v_fma_mixlo_f16 v11, v0, v19, 0 op_sel_hi:[0,1,0]
	v_fma_mixlo_f16 v19, v0, v103, 0 op_sel:[0,1,0] op_sel_hi:[0,1,0]
	v_fma_mixlo_f16 v26, v0, v26, 0 op_sel_hi:[0,1,0]
	v_fma_mixlo_f16 v29, v0, v2, 0 op_sel:[0,1,0] op_sel_hi:[0,1,0]
	v_fma_mixlo_f16 v28, v0, v28, 0 op_sel_hi:[0,1,0]
	v_lshlrev_b32_e32 v12, 16, v12
	v_and_b32_e32 v3, 0xffff, v3
	v_and_b32_e32 v103, 0xffff, v11
	v_lshlrev_b32_e32 v2, 16, v19
	v_and_b32_e32 v26, 0xffff, v26
	v_lshlrev_b32_e32 v0, 16, v29
	v_and_b32_e32 v11, 0xffff, v28
	v_or_b32_e32 v19, v1, v3
	v_or_b32_e32 v102, v12, v103
	;; [unrolled: 1-line block ×4, first 2 shown]
	s_and_saveexec_b32 s15, vcc_lo
	s_cbranch_execz .LBB292_1324
; %bb.1323:                             ;   in Loop: Header=BB292_796 Depth=1
	v_cmp_lt_i32_e64 s4, v52, v27
	v_cndmask_b32_e64 v19, 0, v103, s4
	v_cmp_lt_i32_e64 s4, v80, v27
	v_cndmask_b32_e64 v12, 0, v12, s4
	v_cmp_lt_i32_e64 s4, v71, v27
	v_or_b32_e32 v102, v19, v12
	v_cndmask_b32_e64 v3, 0, v3, s4
	v_cmp_lt_i32_e64 s4, v69, v27
	v_cndmask_b32_e64 v1, 0, v1, s4
	v_cmp_lt_i32_e64 s4, v66, v27
	v_or_b32_e32 v19, v3, v1
	;; [unrolled: 5-line block ×3, first 2 shown]
	v_cndmask_b32_e64 v11, 0, v11, s4
	v_cmp_lt_i32_e64 s4, v31, v27
	v_cndmask_b32_e64 v0, 0, v0, s4
	v_or_b32_e32 v28, v11, v0
.LBB292_1324:                           ;   in Loop: Header=BB292_796 Depth=1
	s_or_b32 exec_lo, exec_lo, s15
	v_add_co_u32 v9, s4, 0x800, v9
	;;#ASMSTART
	v_pk_mul_f16 v0, v68, v102;

	;;#ASMEND
	v_add_co_ci_u32_e64 v10, null, 0, v10, s4
	;;#ASMSTART
	v_pk_mul_f16 v1, v65, v19;

	;;#ASMEND
	;;#ASMSTART
	v_pk_mul_f16 v2, v55, v101;

	;;#ASMEND
	;; [unrolled: 4-line block ×3, first 2 shown]
	;;#ASMSTART
	v_pk_add_f16 v0, v0, v1;

	;;#ASMEND
	;;#ASMSTART
	v_pk_add_f16 v0, v0, v2;

	;;#ASMEND
	;; [unrolled: 4-line block ×3, first 2 shown]
	v_lshrrev_b32_e32 v1, 16, v0
	v_and_b32_e32 v0, 0xffff, v0
	;;#ASMSTART
	v_cvt_f32_f16 v0, v0;
	;;#ASMEND
	;;#ASMSTART
	v_cvt_f32_f16 v1, v1;
	;;#ASMEND
	flat_load_dwordx2 v[11:12], v[9:10]
	flat_load_dword v101, v[22:23]
	v_mov_b32_e32 v102, 0
	v_mov_b32_e32 v103, 0
	s_waitcnt vmcnt(1) lgkmcnt(1)
	v_cmp_ne_u16_sdwa s4, v11, v4 src0_sel:BYTE_0 src1_sel:DWORD
	s_and_saveexec_b32 s15, s4
	s_cbranch_execz .LBB292_1332
; %bb.1325:                             ;   in Loop: Header=BB292_796 Depth=1
	v_cmp_ne_u16_sdwa s4, v11, v39 src0_sel:BYTE_0 src1_sel:DWORD
	v_mov_b32_e32 v103, 0x8000
	s_and_saveexec_b32 s18, s4
	s_cbranch_execz .LBB292_1331
; %bb.1326:                             ;   in Loop: Header=BB292_796 Depth=1
	v_and_b32_e32 v19, 0x7f, v11
	v_mov_b32_e32 v103, 0x7c01
	s_mov_b32 s19, exec_lo
	v_cmpx_ne_u32_e32 0x7f, v19
	s_cbranch_execz .LBB292_1330
; %bb.1327:                             ;   in Loop: Header=BB292_796 Depth=1
	v_and_b32_e32 v2, 7, v11
	v_lshrrev_b32_e32 v3, 3, v19
	s_mov_b32 s20, exec_lo
	v_cmpx_gt_u32_e32 8, v19
; %bb.1328:                             ;   in Loop: Header=BB292_796 Depth=1
	v_ffbh_u32_e32 v2, v2
	v_min_u32_e32 v19, 32, v2
	v_subrev_nc_u32_e32 v2, 28, v19
	v_lshlrev_b64 v[2:3], v2, v[11:12]
	v_sub_nc_u32_e32 v3, 29, v19
	v_and_b32_e32 v2, 7, v2
; %bb.1329:                             ;   in Loop: Header=BB292_796 Depth=1
	s_or_b32 exec_lo, exec_lo, s20
	v_lshlrev_b32_e32 v19, 8, v11
	v_lshl_add_u32 v3, v3, 10, 0x2000
	v_lshlrev_b32_e32 v2, 7, v2
	v_and_b32_e32 v19, 0x8000, v19
	v_and_b32_e32 v3, 0xfc00, v3
	v_or3_b32 v103, v19, v3, v2
.LBB292_1330:                           ;   in Loop: Header=BB292_796 Depth=1
	s_or_b32 exec_lo, exec_lo, s19
.LBB292_1331:                           ;   in Loop: Header=BB292_796 Depth=1
	s_or_b32 exec_lo, exec_lo, s18
.LBB292_1332:                           ;   in Loop: Header=BB292_796 Depth=1
	s_or_b32 exec_lo, exec_lo, s15
	v_lshrrev_b16 v3, 8, v11
	s_mov_b32 s15, exec_lo
	v_cmpx_ne_u16_e32 0, v3
	s_cbranch_execz .LBB292_1340
; %bb.1333:                             ;   in Loop: Header=BB292_796 Depth=1
	v_bfrev_b32_e32 v102, 1
	s_mov_b32 s18, exec_lo
	v_cmpx_ne_u16_e32 0x80, v3
	s_cbranch_execz .LBB292_1339
; %bb.1334:                             ;   in Loop: Header=BB292_796 Depth=1
	v_and_b32_sdwa v26, v3, v48 dst_sel:DWORD dst_unused:UNUSED_PAD src0_sel:WORD_0 src1_sel:DWORD
	v_mov_b32_e32 v102, 0x7c010000
	s_mov_b32 s19, exec_lo
	v_cmpx_ne_u32_e32 0x7f, v26
	s_cbranch_execz .LBB292_1338
; %bb.1335:                             ;   in Loop: Header=BB292_796 Depth=1
	v_and_b32_sdwa v2, v3, v49 dst_sel:DWORD dst_unused:UNUSED_PAD src0_sel:WORD_0 src1_sel:DWORD
	v_lshrrev_b32_e32 v19, 3, v26
	s_mov_b32 s20, exec_lo
	v_cmpx_gt_u32_e32 8, v26
; %bb.1336:                             ;   in Loop: Header=BB292_796 Depth=1
	v_ffbh_u32_e32 v2, v2
	v_min_u32_e32 v2, 32, v2
	v_subrev_nc_u32_e32 v19, 28, v2
	v_lshlrev_b64 v[28:29], v19, v[3:4]
	v_sub_nc_u32_e32 v19, 29, v2
	v_and_b32_e32 v2, 7, v28
; %bb.1337:                             ;   in Loop: Header=BB292_796 Depth=1
	s_or_b32 exec_lo, exec_lo, s20
	v_lshlrev_b32_sdwa v3, v50, v3 dst_sel:DWORD dst_unused:UNUSED_PAD src0_sel:DWORD src1_sel:WORD_0
	v_lshl_add_u32 v19, v19, 10, 0x2000
	v_lshlrev_b32_e32 v2, 23, v2
	v_and_or_b32 v3, 0x8000, v3, v19
	v_lshl_or_b32 v102, v3, 16, v2
.LBB292_1338:                           ;   in Loop: Header=BB292_796 Depth=1
	s_or_b32 exec_lo, exec_lo, s19
.LBB292_1339:                           ;   in Loop: Header=BB292_796 Depth=1
	s_or_b32 exec_lo, exec_lo, s18
.LBB292_1340:                           ;   in Loop: Header=BB292_796 Depth=1
	s_or_b32 exec_lo, exec_lo, s15
	v_lshrrev_b32_e32 v2, 16, v11
	v_mov_b32_e32 v19, 0
	v_mov_b32_e32 v28, 0
	v_cmp_ne_u16_sdwa s4, v2, v4 src0_sel:BYTE_0 src1_sel:DWORD
	s_and_saveexec_b32 s15, s4
	s_cbranch_execz .LBB292_1348
; %bb.1341:                             ;   in Loop: Header=BB292_796 Depth=1
	v_cmp_ne_u16_sdwa s4, v2, v39 src0_sel:BYTE_0 src1_sel:DWORD
	v_mov_b32_e32 v28, 0x8000
	s_and_saveexec_b32 s18, s4
	s_cbranch_execz .LBB292_1347
; %bb.1342:                             ;   in Loop: Header=BB292_796 Depth=1
	v_bfe_u32 v112, v11, 16, 7
	v_mov_b32_e32 v28, 0x7c01
	s_mov_b32 s19, exec_lo
	v_cmpx_ne_u32_e32 0x7f, v112
	s_cbranch_execz .LBB292_1346
; %bb.1343:                             ;   in Loop: Header=BB292_796 Depth=1
	v_and_b32_e32 v3, 7, v2
	v_lshrrev_b32_e32 v26, 3, v112
	s_mov_b32 s20, exec_lo
	v_cmpx_gt_u32_e32 8, v112
; %bb.1344:                             ;   in Loop: Header=BB292_796 Depth=1
	v_ffbh_u32_e32 v3, v3
	v_min_u32_e32 v3, 32, v3
	v_subrev_nc_u32_e32 v26, 28, v3
	v_lshlrev_b64 v[28:29], v26, v[2:3]
	v_sub_nc_u32_e32 v26, 29, v3
	v_and_b32_e32 v3, 7, v28
; %bb.1345:                             ;   in Loop: Header=BB292_796 Depth=1
	s_or_b32 exec_lo, exec_lo, s20
	v_lshlrev_b32_e32 v2, 8, v2
	v_lshl_add_u32 v26, v26, 10, 0x2000
	v_lshlrev_b32_e32 v3, 7, v3
	v_and_b32_e32 v2, 0x8000, v2
	v_and_b32_e32 v26, 0xfc00, v26
	v_or3_b32 v28, v2, v26, v3
.LBB292_1346:                           ;   in Loop: Header=BB292_796 Depth=1
	s_or_b32 exec_lo, exec_lo, s19
.LBB292_1347:                           ;   in Loop: Header=BB292_796 Depth=1
	s_or_b32 exec_lo, exec_lo, s18
.LBB292_1348:                           ;   in Loop: Header=BB292_796 Depth=1
	s_or_b32 exec_lo, exec_lo, s15
	s_mov_b32 s15, exec_lo
	v_cmpx_lt_u32_e32 0xffffff, v11
	s_cbranch_execz .LBB292_1356
; %bb.1349:                             ;   in Loop: Header=BB292_796 Depth=1
	v_lshrrev_b32_e32 v3, 24, v11
	v_bfrev_b32_e32 v19, 1
	s_mov_b32 s18, exec_lo
	v_cmpx_ne_u32_e32 0x80, v3
	s_cbranch_execz .LBB292_1355
; %bb.1350:                             ;   in Loop: Header=BB292_796 Depth=1
	v_and_b32_e32 v26, 0x7f, v3
	v_mov_b32_e32 v19, 0x7c010000
	s_mov_b32 s19, exec_lo
	v_cmpx_ne_u32_e32 0x7f, v26
	s_cbranch_execz .LBB292_1354
; %bb.1351:                             ;   in Loop: Header=BB292_796 Depth=1
	v_and_b32_e32 v2, 7, v3
	v_lshrrev_b32_e32 v19, 3, v26
	s_mov_b32 s20, exec_lo
	v_cmpx_gt_u32_e32 8, v26
; %bb.1352:                             ;   in Loop: Header=BB292_796 Depth=1
	v_ffbh_u32_e32 v2, v2
	v_min_u32_e32 v2, 32, v2
	v_subrev_nc_u32_e32 v19, 28, v2
	v_lshlrev_b64 v[112:113], v19, v[3:4]
	v_sub_nc_u32_e32 v19, 29, v2
	v_and_b32_e32 v2, 7, v112
; %bb.1353:                             ;   in Loop: Header=BB292_796 Depth=1
	s_or_b32 exec_lo, exec_lo, s20
	v_lshlrev_b32_e32 v3, 8, v3
	v_lshl_add_u32 v19, v19, 10, 0x2000
	v_lshlrev_b32_e32 v2, 23, v2
	v_and_or_b32 v3, 0x8000, v3, v19
	v_lshl_or_b32 v19, v3, 16, v2
.LBB292_1354:                           ;   in Loop: Header=BB292_796 Depth=1
	s_or_b32 exec_lo, exec_lo, s19
.LBB292_1355:                           ;   in Loop: Header=BB292_796 Depth=1
	s_or_b32 exec_lo, exec_lo, s18
.LBB292_1356:                           ;   in Loop: Header=BB292_796 Depth=1
	s_or_b32 exec_lo, exec_lo, s15
	v_mov_b32_e32 v3, v12
	v_cmp_ne_u16_sdwa s4, v12, v4 src0_sel:BYTE_0 src1_sel:DWORD
	v_mov_b32_e32 v112, 0
	v_mov_b32_e32 v26, 0
	s_and_saveexec_b32 s15, s4
	s_cbranch_execz .LBB292_1364
; %bb.1357:                             ;   in Loop: Header=BB292_796 Depth=1
	v_cmp_ne_u16_sdwa s4, v12, v39 src0_sel:BYTE_0 src1_sel:DWORD
	v_mov_b32_e32 v26, 0x8000
	s_and_saveexec_b32 s18, s4
	s_cbranch_execz .LBB292_1363
; %bb.1358:                             ;   in Loop: Header=BB292_796 Depth=1
	v_and_b32_e32 v113, 0x7f, v12
	v_mov_b32_e32 v26, 0x7c01
	s_mov_b32 s19, exec_lo
	v_cmpx_ne_u32_e32 0x7f, v113
	s_cbranch_execz .LBB292_1362
; %bb.1359:                             ;   in Loop: Header=BB292_796 Depth=1
	v_and_b32_e32 v2, 7, v12
	v_lshrrev_b32_e32 v26, 3, v113
	s_mov_b32 s20, exec_lo
	v_cmpx_gt_u32_e32 8, v113
; %bb.1360:                             ;   in Loop: Header=BB292_796 Depth=1
	v_ffbh_u32_e32 v2, v2
	v_min_u32_e32 v2, 32, v2
	v_subrev_nc_u32_e32 v26, 28, v2
	v_lshlrev_b64 v[113:114], v26, v[3:4]
	v_sub_nc_u32_e32 v26, 29, v2
	v_and_b32_e32 v2, 7, v113
; %bb.1361:                             ;   in Loop: Header=BB292_796 Depth=1
	s_or_b32 exec_lo, exec_lo, s20
	v_lshlrev_b32_e32 v29, 8, v12
	v_lshl_add_u32 v26, v26, 10, 0x2000
	v_lshlrev_b32_e32 v2, 7, v2
	v_and_b32_e32 v29, 0x8000, v29
	v_and_b32_e32 v26, 0xfc00, v26
	v_or3_b32 v26, v29, v26, v2
.LBB292_1362:                           ;   in Loop: Header=BB292_796 Depth=1
	s_or_b32 exec_lo, exec_lo, s19
.LBB292_1363:                           ;   in Loop: Header=BB292_796 Depth=1
	s_or_b32 exec_lo, exec_lo, s18
.LBB292_1364:                           ;   in Loop: Header=BB292_796 Depth=1
	s_or_b32 exec_lo, exec_lo, s15
	v_lshrrev_b16 v3, 8, v3
	v_mov_b32_e32 v113, 0
	s_mov_b32 s15, exec_lo
	v_cmpx_ne_u16_e32 0, v3
	s_cbranch_execz .LBB292_1372
; %bb.1365:                             ;   in Loop: Header=BB292_796 Depth=1
	v_bfrev_b32_e32 v113, 1
	s_mov_b32 s18, exec_lo
	v_cmpx_ne_u16_e32 0x80, v3
	s_cbranch_execz .LBB292_1371
; %bb.1366:                             ;   in Loop: Header=BB292_796 Depth=1
	v_and_b32_sdwa v114, v3, v48 dst_sel:DWORD dst_unused:UNUSED_PAD src0_sel:WORD_0 src1_sel:DWORD
	v_mov_b32_e32 v113, 0x7c010000
	s_mov_b32 s19, exec_lo
	v_cmpx_ne_u32_e32 0x7f, v114
	s_cbranch_execz .LBB292_1370
; %bb.1367:                             ;   in Loop: Header=BB292_796 Depth=1
	v_and_b32_sdwa v2, v3, v49 dst_sel:DWORD dst_unused:UNUSED_PAD src0_sel:WORD_0 src1_sel:DWORD
	v_lshrrev_b32_e32 v113, 3, v114
	s_mov_b32 s20, exec_lo
	v_cmpx_gt_u32_e32 8, v114
; %bb.1368:                             ;   in Loop: Header=BB292_796 Depth=1
	v_ffbh_u32_e32 v2, v2
	v_min_u32_e32 v2, 32, v2
	v_subrev_nc_u32_e32 v29, 28, v2
	v_sub_nc_u32_e32 v113, 29, v2
	v_lshlrev_b64 v[114:115], v29, v[3:4]
	v_and_b32_e32 v2, 7, v114
; %bb.1369:                             ;   in Loop: Header=BB292_796 Depth=1
	s_or_b32 exec_lo, exec_lo, s20
	v_lshlrev_b32_sdwa v3, v50, v3 dst_sel:DWORD dst_unused:UNUSED_PAD src0_sel:DWORD src1_sel:WORD_0
	v_lshl_add_u32 v29, v113, 10, 0x2000
	v_lshlrev_b32_e32 v2, 23, v2
	v_and_or_b32 v3, 0x8000, v3, v29
	v_lshl_or_b32 v113, v3, 16, v2
.LBB292_1370:                           ;   in Loop: Header=BB292_796 Depth=1
	s_or_b32 exec_lo, exec_lo, s19
.LBB292_1371:                           ;   in Loop: Header=BB292_796 Depth=1
	s_or_b32 exec_lo, exec_lo, s18
.LBB292_1372:                           ;   in Loop: Header=BB292_796 Depth=1
	s_or_b32 exec_lo, exec_lo, s15
	v_lshrrev_b32_e32 v2, 16, v12
	v_cmp_ne_u16_sdwa s4, v2, v4 src0_sel:BYTE_0 src1_sel:DWORD
	s_and_saveexec_b32 s15, s4
	s_cbranch_execz .LBB292_1380
; %bb.1373:                             ;   in Loop: Header=BB292_796 Depth=1
	v_cmp_ne_u16_sdwa s4, v2, v39 src0_sel:BYTE_0 src1_sel:DWORD
	v_mov_b32_e32 v112, 0x8000
	s_and_saveexec_b32 s18, s4
	s_cbranch_execz .LBB292_1379
; %bb.1374:                             ;   in Loop: Header=BB292_796 Depth=1
	v_bfe_u32 v114, v12, 16, 7
	v_mov_b32_e32 v112, 0x7c01
	s_mov_b32 s19, exec_lo
	v_cmpx_ne_u32_e32 0x7f, v114
	s_cbranch_execz .LBB292_1378
; %bb.1375:                             ;   in Loop: Header=BB292_796 Depth=1
	v_and_b32_e32 v3, 7, v2
	v_lshrrev_b32_e32 v112, 3, v114
	s_mov_b32 s20, exec_lo
	v_cmpx_gt_u32_e32 8, v114
; %bb.1376:                             ;   in Loop: Header=BB292_796 Depth=1
	v_ffbh_u32_e32 v3, v3
	v_min_u32_e32 v3, 32, v3
	v_subrev_nc_u32_e32 v29, 28, v3
	v_sub_nc_u32_e32 v112, 29, v3
	v_lshlrev_b64 v[114:115], v29, v[2:3]
	v_and_b32_e32 v3, 7, v114
; %bb.1377:                             ;   in Loop: Header=BB292_796 Depth=1
	s_or_b32 exec_lo, exec_lo, s20
	v_lshlrev_b32_e32 v2, 8, v2
	v_lshl_add_u32 v29, v112, 10, 0x2000
	v_lshlrev_b32_e32 v3, 7, v3
	v_and_b32_e32 v2, 0x8000, v2
	v_and_b32_e32 v29, 0xfc00, v29
	v_or3_b32 v112, v2, v29, v3
.LBB292_1378:                           ;   in Loop: Header=BB292_796 Depth=1
	s_or_b32 exec_lo, exec_lo, s19
.LBB292_1379:                           ;   in Loop: Header=BB292_796 Depth=1
	s_or_b32 exec_lo, exec_lo, s18
.LBB292_1380:                           ;   in Loop: Header=BB292_796 Depth=1
	s_or_b32 exec_lo, exec_lo, s15
	v_mov_b32_e32 v2, 0
	s_mov_b32 s15, exec_lo
	v_cmpx_lt_u64_e64 s[6:7], v[11:12]
	s_cbranch_execz .LBB292_1388
; %bb.1381:                             ;   in Loop: Header=BB292_796 Depth=1
	v_lshrrev_b32_e32 v3, 24, v12
	v_bfrev_b32_e32 v2, 1
	s_mov_b32 s18, exec_lo
	v_cmpx_ne_u32_e32 0x80, v3
	s_cbranch_execz .LBB292_1387
; %bb.1382:                             ;   in Loop: Header=BB292_796 Depth=1
	v_and_b32_e32 v12, 0x7f, v3
	v_mov_b32_e32 v2, 0x7c010000
	s_mov_b32 s19, exec_lo
	v_cmpx_ne_u32_e32 0x7f, v12
	s_cbranch_execz .LBB292_1386
; %bb.1383:                             ;   in Loop: Header=BB292_796 Depth=1
	v_and_b32_e32 v2, 7, v3
	v_lshrrev_b32_e32 v11, 3, v12
	s_mov_b32 s20, exec_lo
	v_cmpx_gt_u32_e32 8, v12
; %bb.1384:                             ;   in Loop: Header=BB292_796 Depth=1
	v_ffbh_u32_e32 v2, v2
	v_min_u32_e32 v2, 32, v2
	v_subrev_nc_u32_e32 v11, 28, v2
	v_lshlrev_b64 v[114:115], v11, v[3:4]
	v_sub_nc_u32_e32 v11, 29, v2
	v_and_b32_e32 v2, 7, v114
; %bb.1385:                             ;   in Loop: Header=BB292_796 Depth=1
	s_or_b32 exec_lo, exec_lo, s20
	v_lshlrev_b32_e32 v3, 8, v3
	v_lshl_add_u32 v11, v11, 10, 0x2000
	v_lshlrev_b32_e32 v2, 23, v2
	v_and_or_b32 v3, 0x8000, v3, v11
	v_lshl_or_b32 v2, v3, 16, v2
.LBB292_1386:                           ;   in Loop: Header=BB292_796 Depth=1
	s_or_b32 exec_lo, exec_lo, s19
.LBB292_1387:                           ;   in Loop: Header=BB292_796 Depth=1
	s_or_b32 exec_lo, exec_lo, s18
.LBB292_1388:                           ;   in Loop: Header=BB292_796 Depth=1
	s_or_b32 exec_lo, exec_lo, s15
	v_or_b32_e32 v3, v19, v28
	s_waitcnt vmcnt(0) lgkmcnt(0)
	v_fma_mixlo_f16 v11, v101, v19, 0 op_sel:[0,1,0] op_sel_hi:[0,1,0]
	v_or_b32_e32 v12, v102, v103
	v_fma_mixlo_f16 v19, v101, v102, 0 op_sel:[0,1,0] op_sel_hi:[0,1,0]
	v_or_b32_e32 v28, v113, v26
	v_fma_mixlo_f16 v29, v101, v3, 0 op_sel_hi:[0,1,0]
	v_or_b32_e32 v102, v2, v112
	v_lshlrev_b32_e32 v3, 16, v11
	v_lshlrev_b32_e32 v26, 16, v19
	v_fma_mixlo_f16 v12, v101, v12, 0 op_sel_hi:[0,1,0]
	v_and_b32_e32 v11, 0xffff, v29
	v_fma_mixlo_f16 v19, v101, v113, 0 op_sel:[0,1,0] op_sel_hi:[0,1,0]
	v_fma_mixlo_f16 v28, v101, v28, 0 op_sel_hi:[0,1,0]
	v_fma_mixlo_f16 v2, v101, v2, 0 op_sel:[0,1,0] op_sel_hi:[0,1,0]
	v_fma_mixlo_f16 v29, v101, v102, 0 op_sel_hi:[0,1,0]
	v_and_b32_e32 v113, 0xffff, v12
	v_lshlrev_b32_e32 v12, 16, v19
	v_and_b32_e32 v101, 0xffff, v28
	v_lshlrev_b32_e32 v2, 16, v2
	v_and_b32_e32 v19, 0xffff, v29
	v_or_b32_e32 v28, v3, v11
	v_or_b32_e32 v112, v26, v113
	;; [unrolled: 1-line block ×4, first 2 shown]
	s_and_saveexec_b32 s15, vcc_lo
	s_cbranch_execz .LBB292_1390
; %bb.1389:                             ;   in Loop: Header=BB292_796 Depth=1
	v_cmp_lt_i32_e64 s4, v52, v27
	v_cndmask_b32_e64 v28, 0, v113, s4
	v_cmp_lt_i32_e64 s4, v80, v27
	v_cndmask_b32_e64 v26, 0, v26, s4
	v_cmp_lt_i32_e64 s4, v71, v27
	v_or_b32_e32 v112, v28, v26
	v_cndmask_b32_e64 v11, 0, v11, s4
	v_cmp_lt_i32_e64 s4, v69, v27
	v_cndmask_b32_e64 v3, 0, v3, s4
	v_cmp_lt_i32_e64 s4, v66, v27
	v_or_b32_e32 v28, v11, v3
	v_cndmask_b32_e64 v29, 0, v101, s4
	v_cmp_lt_i32_e64 s4, v64, v27
	v_cndmask_b32_e64 v12, 0, v12, s4
	v_cmp_lt_i32_e64 s4, v53, v27
	v_or_b32_e32 v103, v29, v12
	v_cndmask_b32_e64 v19, 0, v19, s4
	v_cmp_lt_i32_e64 s4, v31, v27
	v_cndmask_b32_e64 v2, 0, v2, s4
	v_or_b32_e32 v102, v19, v2
.LBB292_1390:                           ;   in Loop: Header=BB292_796 Depth=1
	s_or_b32 exec_lo, exec_lo, s15
	;;#ASMSTART
	v_pk_mul_f16 v2, v68, v112;

	;;#ASMEND
	;;#ASMSTART
	v_pk_mul_f16 v3, v65, v28;

	;;#ASMEND
	;; [unrolled: 4-line block ×4, first 2 shown]
	;;#ASMSTART
	v_pk_add_f16 v2, v2, v3;

	;;#ASMEND
	;;#ASMSTART
	v_pk_add_f16 v2, v2, v11;

	;;#ASMEND
	;;#ASMSTART
	v_pk_add_f16 v2, v2, v12;

	;;#ASMEND
	v_and_b32_e32 v3, 0xffff, v2
	v_lshrrev_b32_e32 v2, 16, v2
	;;#ASMSTART
	v_cvt_f32_f16 v101, v3;
	;;#ASMEND
	;;#ASMSTART
	v_cvt_f32_f16 v102, v2;
	;;#ASMEND
	flat_load_dwordx2 v[11:12], v[9:10] offset:256
	flat_load_dword v103, v[22:23]
	v_mov_b32_e32 v112, 0
	v_mov_b32_e32 v113, 0
	s_waitcnt vmcnt(1) lgkmcnt(1)
	v_cmp_ne_u16_sdwa s4, v11, v4 src0_sel:BYTE_0 src1_sel:DWORD
	s_and_saveexec_b32 s15, s4
	s_cbranch_execz .LBB292_1398
; %bb.1391:                             ;   in Loop: Header=BB292_796 Depth=1
	v_cmp_ne_u16_sdwa s4, v11, v39 src0_sel:BYTE_0 src1_sel:DWORD
	v_mov_b32_e32 v113, 0x8000
	s_and_saveexec_b32 s18, s4
	s_cbranch_execz .LBB292_1397
; %bb.1392:                             ;   in Loop: Header=BB292_796 Depth=1
	v_and_b32_e32 v19, 0x7f, v11
	v_mov_b32_e32 v113, 0x7c01
	s_mov_b32 s19, exec_lo
	v_cmpx_ne_u32_e32 0x7f, v19
	s_cbranch_execz .LBB292_1396
; %bb.1393:                             ;   in Loop: Header=BB292_796 Depth=1
	v_and_b32_e32 v2, 7, v11
	v_lshrrev_b32_e32 v3, 3, v19
	s_mov_b32 s20, exec_lo
	v_cmpx_gt_u32_e32 8, v19
; %bb.1394:                             ;   in Loop: Header=BB292_796 Depth=1
	v_ffbh_u32_e32 v2, v2
	v_min_u32_e32 v19, 32, v2
	v_subrev_nc_u32_e32 v2, 28, v19
	v_lshlrev_b64 v[2:3], v2, v[11:12]
	v_sub_nc_u32_e32 v3, 29, v19
	v_and_b32_e32 v2, 7, v2
; %bb.1395:                             ;   in Loop: Header=BB292_796 Depth=1
	s_or_b32 exec_lo, exec_lo, s20
	v_lshlrev_b32_e32 v19, 8, v11
	v_lshl_add_u32 v3, v3, 10, 0x2000
	v_lshlrev_b32_e32 v2, 7, v2
	v_and_b32_e32 v19, 0x8000, v19
	v_and_b32_e32 v3, 0xfc00, v3
	v_or3_b32 v113, v19, v3, v2
.LBB292_1396:                           ;   in Loop: Header=BB292_796 Depth=1
	s_or_b32 exec_lo, exec_lo, s19
.LBB292_1397:                           ;   in Loop: Header=BB292_796 Depth=1
	s_or_b32 exec_lo, exec_lo, s18
.LBB292_1398:                           ;   in Loop: Header=BB292_796 Depth=1
	s_or_b32 exec_lo, exec_lo, s15
	v_lshrrev_b16 v3, 8, v11
	s_mov_b32 s15, exec_lo
	v_cmpx_ne_u16_e32 0, v3
	s_cbranch_execz .LBB292_1406
; %bb.1399:                             ;   in Loop: Header=BB292_796 Depth=1
	v_bfrev_b32_e32 v112, 1
	s_mov_b32 s18, exec_lo
	v_cmpx_ne_u16_e32 0x80, v3
	s_cbranch_execz .LBB292_1405
; %bb.1400:                             ;   in Loop: Header=BB292_796 Depth=1
	v_and_b32_sdwa v26, v3, v48 dst_sel:DWORD dst_unused:UNUSED_PAD src0_sel:WORD_0 src1_sel:DWORD
	v_mov_b32_e32 v112, 0x7c010000
	s_mov_b32 s19, exec_lo
	v_cmpx_ne_u32_e32 0x7f, v26
	s_cbranch_execz .LBB292_1404
; %bb.1401:                             ;   in Loop: Header=BB292_796 Depth=1
	v_and_b32_sdwa v2, v3, v49 dst_sel:DWORD dst_unused:UNUSED_PAD src0_sel:WORD_0 src1_sel:DWORD
	v_lshrrev_b32_e32 v19, 3, v26
	s_mov_b32 s20, exec_lo
	v_cmpx_gt_u32_e32 8, v26
; %bb.1402:                             ;   in Loop: Header=BB292_796 Depth=1
	v_ffbh_u32_e32 v2, v2
	v_min_u32_e32 v2, 32, v2
	v_subrev_nc_u32_e32 v19, 28, v2
	v_lshlrev_b64 v[28:29], v19, v[3:4]
	v_sub_nc_u32_e32 v19, 29, v2
	v_and_b32_e32 v2, 7, v28
; %bb.1403:                             ;   in Loop: Header=BB292_796 Depth=1
	s_or_b32 exec_lo, exec_lo, s20
	v_lshlrev_b32_sdwa v3, v50, v3 dst_sel:DWORD dst_unused:UNUSED_PAD src0_sel:DWORD src1_sel:WORD_0
	v_lshl_add_u32 v19, v19, 10, 0x2000
	v_lshlrev_b32_e32 v2, 23, v2
	v_and_or_b32 v3, 0x8000, v3, v19
	v_lshl_or_b32 v112, v3, 16, v2
.LBB292_1404:                           ;   in Loop: Header=BB292_796 Depth=1
	s_or_b32 exec_lo, exec_lo, s19
.LBB292_1405:                           ;   in Loop: Header=BB292_796 Depth=1
	s_or_b32 exec_lo, exec_lo, s18
.LBB292_1406:                           ;   in Loop: Header=BB292_796 Depth=1
	s_or_b32 exec_lo, exec_lo, s15
	v_lshrrev_b32_e32 v2, 16, v11
	v_mov_b32_e32 v19, 0
	v_mov_b32_e32 v28, 0
	v_cmp_ne_u16_sdwa s4, v2, v4 src0_sel:BYTE_0 src1_sel:DWORD
	s_and_saveexec_b32 s15, s4
	s_cbranch_execz .LBB292_1414
; %bb.1407:                             ;   in Loop: Header=BB292_796 Depth=1
	v_cmp_ne_u16_sdwa s4, v2, v39 src0_sel:BYTE_0 src1_sel:DWORD
	v_mov_b32_e32 v28, 0x8000
	s_and_saveexec_b32 s18, s4
	s_cbranch_execz .LBB292_1413
; %bb.1408:                             ;   in Loop: Header=BB292_796 Depth=1
	v_bfe_u32 v114, v11, 16, 7
	v_mov_b32_e32 v28, 0x7c01
	s_mov_b32 s19, exec_lo
	v_cmpx_ne_u32_e32 0x7f, v114
	s_cbranch_execz .LBB292_1412
; %bb.1409:                             ;   in Loop: Header=BB292_796 Depth=1
	v_and_b32_e32 v3, 7, v2
	v_lshrrev_b32_e32 v26, 3, v114
	s_mov_b32 s20, exec_lo
	v_cmpx_gt_u32_e32 8, v114
; %bb.1410:                             ;   in Loop: Header=BB292_796 Depth=1
	v_ffbh_u32_e32 v3, v3
	v_min_u32_e32 v3, 32, v3
	v_subrev_nc_u32_e32 v26, 28, v3
	v_lshlrev_b64 v[28:29], v26, v[2:3]
	v_sub_nc_u32_e32 v26, 29, v3
	v_and_b32_e32 v3, 7, v28
; %bb.1411:                             ;   in Loop: Header=BB292_796 Depth=1
	s_or_b32 exec_lo, exec_lo, s20
	v_lshlrev_b32_e32 v2, 8, v2
	v_lshl_add_u32 v26, v26, 10, 0x2000
	v_lshlrev_b32_e32 v3, 7, v3
	v_and_b32_e32 v2, 0x8000, v2
	v_and_b32_e32 v26, 0xfc00, v26
	v_or3_b32 v28, v2, v26, v3
.LBB292_1412:                           ;   in Loop: Header=BB292_796 Depth=1
	s_or_b32 exec_lo, exec_lo, s19
.LBB292_1413:                           ;   in Loop: Header=BB292_796 Depth=1
	s_or_b32 exec_lo, exec_lo, s18
.LBB292_1414:                           ;   in Loop: Header=BB292_796 Depth=1
	s_or_b32 exec_lo, exec_lo, s15
	s_mov_b32 s15, exec_lo
	v_cmpx_lt_u32_e32 0xffffff, v11
	s_cbranch_execz .LBB292_1422
; %bb.1415:                             ;   in Loop: Header=BB292_796 Depth=1
	v_lshrrev_b32_e32 v3, 24, v11
	v_bfrev_b32_e32 v19, 1
	s_mov_b32 s18, exec_lo
	v_cmpx_ne_u32_e32 0x80, v3
	s_cbranch_execz .LBB292_1421
; %bb.1416:                             ;   in Loop: Header=BB292_796 Depth=1
	v_and_b32_e32 v26, 0x7f, v3
	v_mov_b32_e32 v19, 0x7c010000
	s_mov_b32 s19, exec_lo
	v_cmpx_ne_u32_e32 0x7f, v26
	s_cbranch_execz .LBB292_1420
; %bb.1417:                             ;   in Loop: Header=BB292_796 Depth=1
	v_and_b32_e32 v2, 7, v3
	v_lshrrev_b32_e32 v19, 3, v26
	s_mov_b32 s20, exec_lo
	v_cmpx_gt_u32_e32 8, v26
; %bb.1418:                             ;   in Loop: Header=BB292_796 Depth=1
	v_ffbh_u32_e32 v2, v2
	v_min_u32_e32 v2, 32, v2
	v_subrev_nc_u32_e32 v19, 28, v2
	v_lshlrev_b64 v[114:115], v19, v[3:4]
	v_sub_nc_u32_e32 v19, 29, v2
	v_and_b32_e32 v2, 7, v114
; %bb.1419:                             ;   in Loop: Header=BB292_796 Depth=1
	s_or_b32 exec_lo, exec_lo, s20
	v_lshlrev_b32_e32 v3, 8, v3
	v_lshl_add_u32 v19, v19, 10, 0x2000
	v_lshlrev_b32_e32 v2, 23, v2
	v_and_or_b32 v3, 0x8000, v3, v19
	v_lshl_or_b32 v19, v3, 16, v2
.LBB292_1420:                           ;   in Loop: Header=BB292_796 Depth=1
	s_or_b32 exec_lo, exec_lo, s19
.LBB292_1421:                           ;   in Loop: Header=BB292_796 Depth=1
	s_or_b32 exec_lo, exec_lo, s18
.LBB292_1422:                           ;   in Loop: Header=BB292_796 Depth=1
	s_or_b32 exec_lo, exec_lo, s15
	v_mov_b32_e32 v3, v12
	v_cmp_ne_u16_sdwa s4, v12, v4 src0_sel:BYTE_0 src1_sel:DWORD
	v_mov_b32_e32 v114, 0
	v_mov_b32_e32 v26, 0
	s_and_saveexec_b32 s15, s4
	s_cbranch_execz .LBB292_1430
; %bb.1423:                             ;   in Loop: Header=BB292_796 Depth=1
	v_cmp_ne_u16_sdwa s4, v12, v39 src0_sel:BYTE_0 src1_sel:DWORD
	v_mov_b32_e32 v26, 0x8000
	s_and_saveexec_b32 s18, s4
	s_cbranch_execz .LBB292_1429
; %bb.1424:                             ;   in Loop: Header=BB292_796 Depth=1
	v_and_b32_e32 v115, 0x7f, v12
	v_mov_b32_e32 v26, 0x7c01
	s_mov_b32 s19, exec_lo
	v_cmpx_ne_u32_e32 0x7f, v115
	s_cbranch_execz .LBB292_1428
; %bb.1425:                             ;   in Loop: Header=BB292_796 Depth=1
	v_and_b32_e32 v2, 7, v12
	v_lshrrev_b32_e32 v26, 3, v115
	s_mov_b32 s20, exec_lo
	v_cmpx_gt_u32_e32 8, v115
; %bb.1426:                             ;   in Loop: Header=BB292_796 Depth=1
	v_ffbh_u32_e32 v2, v2
	v_min_u32_e32 v2, 32, v2
	v_subrev_nc_u32_e32 v26, 28, v2
	v_lshlrev_b64 v[115:116], v26, v[3:4]
	v_sub_nc_u32_e32 v26, 29, v2
	v_and_b32_e32 v2, 7, v115
; %bb.1427:                             ;   in Loop: Header=BB292_796 Depth=1
	s_or_b32 exec_lo, exec_lo, s20
	v_lshlrev_b32_e32 v29, 8, v12
	v_lshl_add_u32 v26, v26, 10, 0x2000
	v_lshlrev_b32_e32 v2, 7, v2
	v_and_b32_e32 v29, 0x8000, v29
	v_and_b32_e32 v26, 0xfc00, v26
	v_or3_b32 v26, v29, v26, v2
.LBB292_1428:                           ;   in Loop: Header=BB292_796 Depth=1
	s_or_b32 exec_lo, exec_lo, s19
.LBB292_1429:                           ;   in Loop: Header=BB292_796 Depth=1
	s_or_b32 exec_lo, exec_lo, s18
.LBB292_1430:                           ;   in Loop: Header=BB292_796 Depth=1
	s_or_b32 exec_lo, exec_lo, s15
	v_lshrrev_b16 v3, 8, v3
	v_mov_b32_e32 v115, 0
	s_mov_b32 s15, exec_lo
	v_cmpx_ne_u16_e32 0, v3
	s_cbranch_execz .LBB292_1438
; %bb.1431:                             ;   in Loop: Header=BB292_796 Depth=1
	v_bfrev_b32_e32 v115, 1
	s_mov_b32 s18, exec_lo
	v_cmpx_ne_u16_e32 0x80, v3
	s_cbranch_execz .LBB292_1437
; %bb.1432:                             ;   in Loop: Header=BB292_796 Depth=1
	v_and_b32_sdwa v116, v3, v48 dst_sel:DWORD dst_unused:UNUSED_PAD src0_sel:WORD_0 src1_sel:DWORD
	v_mov_b32_e32 v115, 0x7c010000
	s_mov_b32 s19, exec_lo
	v_cmpx_ne_u32_e32 0x7f, v116
	s_cbranch_execz .LBB292_1436
; %bb.1433:                             ;   in Loop: Header=BB292_796 Depth=1
	v_and_b32_sdwa v2, v3, v49 dst_sel:DWORD dst_unused:UNUSED_PAD src0_sel:WORD_0 src1_sel:DWORD
	v_lshrrev_b32_e32 v115, 3, v116
	s_mov_b32 s20, exec_lo
	v_cmpx_gt_u32_e32 8, v116
; %bb.1434:                             ;   in Loop: Header=BB292_796 Depth=1
	v_ffbh_u32_e32 v2, v2
	v_min_u32_e32 v2, 32, v2
	v_subrev_nc_u32_e32 v29, 28, v2
	v_sub_nc_u32_e32 v115, 29, v2
	v_lshlrev_b64 v[116:117], v29, v[3:4]
	v_and_b32_e32 v2, 7, v116
; %bb.1435:                             ;   in Loop: Header=BB292_796 Depth=1
	s_or_b32 exec_lo, exec_lo, s20
	v_lshlrev_b32_sdwa v3, v50, v3 dst_sel:DWORD dst_unused:UNUSED_PAD src0_sel:DWORD src1_sel:WORD_0
	v_lshl_add_u32 v29, v115, 10, 0x2000
	v_lshlrev_b32_e32 v2, 23, v2
	v_and_or_b32 v3, 0x8000, v3, v29
	v_lshl_or_b32 v115, v3, 16, v2
.LBB292_1436:                           ;   in Loop: Header=BB292_796 Depth=1
	s_or_b32 exec_lo, exec_lo, s19
.LBB292_1437:                           ;   in Loop: Header=BB292_796 Depth=1
	s_or_b32 exec_lo, exec_lo, s18
.LBB292_1438:                           ;   in Loop: Header=BB292_796 Depth=1
	s_or_b32 exec_lo, exec_lo, s15
	v_lshrrev_b32_e32 v2, 16, v12
	v_cmp_ne_u16_sdwa s4, v2, v4 src0_sel:BYTE_0 src1_sel:DWORD
	s_and_saveexec_b32 s15, s4
	s_cbranch_execz .LBB292_1446
; %bb.1439:                             ;   in Loop: Header=BB292_796 Depth=1
	v_cmp_ne_u16_sdwa s4, v2, v39 src0_sel:BYTE_0 src1_sel:DWORD
	v_mov_b32_e32 v114, 0x8000
	s_and_saveexec_b32 s18, s4
	s_cbranch_execz .LBB292_1445
; %bb.1440:                             ;   in Loop: Header=BB292_796 Depth=1
	v_bfe_u32 v116, v12, 16, 7
	v_mov_b32_e32 v114, 0x7c01
	s_mov_b32 s19, exec_lo
	v_cmpx_ne_u32_e32 0x7f, v116
	s_cbranch_execz .LBB292_1444
; %bb.1441:                             ;   in Loop: Header=BB292_796 Depth=1
	v_and_b32_e32 v3, 7, v2
	v_lshrrev_b32_e32 v114, 3, v116
	s_mov_b32 s20, exec_lo
	v_cmpx_gt_u32_e32 8, v116
; %bb.1442:                             ;   in Loop: Header=BB292_796 Depth=1
	v_ffbh_u32_e32 v3, v3
	v_min_u32_e32 v3, 32, v3
	v_subrev_nc_u32_e32 v29, 28, v3
	v_sub_nc_u32_e32 v114, 29, v3
	v_lshlrev_b64 v[116:117], v29, v[2:3]
	v_and_b32_e32 v3, 7, v116
; %bb.1443:                             ;   in Loop: Header=BB292_796 Depth=1
	s_or_b32 exec_lo, exec_lo, s20
	v_lshlrev_b32_e32 v2, 8, v2
	v_lshl_add_u32 v29, v114, 10, 0x2000
	v_lshlrev_b32_e32 v3, 7, v3
	v_and_b32_e32 v2, 0x8000, v2
	v_and_b32_e32 v29, 0xfc00, v29
	v_or3_b32 v114, v2, v29, v3
.LBB292_1444:                           ;   in Loop: Header=BB292_796 Depth=1
	s_or_b32 exec_lo, exec_lo, s19
.LBB292_1445:                           ;   in Loop: Header=BB292_796 Depth=1
	s_or_b32 exec_lo, exec_lo, s18
.LBB292_1446:                           ;   in Loop: Header=BB292_796 Depth=1
	s_or_b32 exec_lo, exec_lo, s15
	v_mov_b32_e32 v2, 0
	s_mov_b32 s15, exec_lo
	v_cmpx_lt_u64_e64 s[6:7], v[11:12]
	s_cbranch_execz .LBB292_1454
; %bb.1447:                             ;   in Loop: Header=BB292_796 Depth=1
	v_lshrrev_b32_e32 v3, 24, v12
	v_bfrev_b32_e32 v2, 1
	s_mov_b32 s18, exec_lo
	v_cmpx_ne_u32_e32 0x80, v3
	s_cbranch_execz .LBB292_1453
; %bb.1448:                             ;   in Loop: Header=BB292_796 Depth=1
	v_and_b32_e32 v12, 0x7f, v3
	v_mov_b32_e32 v2, 0x7c010000
	s_mov_b32 s19, exec_lo
	v_cmpx_ne_u32_e32 0x7f, v12
	s_cbranch_execz .LBB292_1452
; %bb.1449:                             ;   in Loop: Header=BB292_796 Depth=1
	v_and_b32_e32 v2, 7, v3
	v_lshrrev_b32_e32 v11, 3, v12
	s_mov_b32 s20, exec_lo
	v_cmpx_gt_u32_e32 8, v12
; %bb.1450:                             ;   in Loop: Header=BB292_796 Depth=1
	v_ffbh_u32_e32 v2, v2
	v_min_u32_e32 v2, 32, v2
	v_subrev_nc_u32_e32 v11, 28, v2
	v_lshlrev_b64 v[116:117], v11, v[3:4]
	v_sub_nc_u32_e32 v11, 29, v2
	v_and_b32_e32 v2, 7, v116
; %bb.1451:                             ;   in Loop: Header=BB292_796 Depth=1
	s_or_b32 exec_lo, exec_lo, s20
	v_lshlrev_b32_e32 v3, 8, v3
	v_lshl_add_u32 v11, v11, 10, 0x2000
	v_lshlrev_b32_e32 v2, 23, v2
	v_and_or_b32 v3, 0x8000, v3, v11
	v_lshl_or_b32 v2, v3, 16, v2
.LBB292_1452:                           ;   in Loop: Header=BB292_796 Depth=1
	s_or_b32 exec_lo, exec_lo, s19
.LBB292_1453:                           ;   in Loop: Header=BB292_796 Depth=1
	s_or_b32 exec_lo, exec_lo, s18
.LBB292_1454:                           ;   in Loop: Header=BB292_796 Depth=1
	s_or_b32 exec_lo, exec_lo, s15
	v_or_b32_e32 v3, v19, v28
	s_waitcnt vmcnt(0) lgkmcnt(0)
	v_fma_mixlo_f16 v11, v103, v19, 0 op_sel:[0,1,0] op_sel_hi:[0,1,0]
	v_or_b32_e32 v12, v112, v113
	v_fma_mixlo_f16 v19, v103, v112, 0 op_sel:[0,1,0] op_sel_hi:[0,1,0]
	v_or_b32_e32 v28, v115, v26
	v_fma_mixlo_f16 v29, v103, v3, 0 op_sel_hi:[0,1,0]
	v_or_b32_e32 v112, v2, v114
	v_lshlrev_b32_e32 v3, 16, v11
	v_lshlrev_b32_e32 v26, 16, v19
	v_fma_mixlo_f16 v12, v103, v12, 0 op_sel_hi:[0,1,0]
	v_and_b32_e32 v11, 0xffff, v29
	v_fma_mixlo_f16 v19, v103, v115, 0 op_sel:[0,1,0] op_sel_hi:[0,1,0]
	v_fma_mixlo_f16 v28, v103, v28, 0 op_sel_hi:[0,1,0]
	v_fma_mixlo_f16 v2, v103, v2, 0 op_sel:[0,1,0] op_sel_hi:[0,1,0]
	v_fma_mixlo_f16 v29, v103, v112, 0 op_sel_hi:[0,1,0]
	v_and_b32_e32 v115, 0xffff, v12
	v_lshlrev_b32_e32 v12, 16, v19
	v_and_b32_e32 v103, 0xffff, v28
	v_lshlrev_b32_e32 v2, 16, v2
	v_and_b32_e32 v19, 0xffff, v29
	v_or_b32_e32 v28, v3, v11
	v_or_b32_e32 v114, v26, v115
	v_or_b32_e32 v113, v12, v103
	v_or_b32_e32 v112, v2, v19
	s_and_saveexec_b32 s15, vcc_lo
	s_cbranch_execz .LBB292_1456
; %bb.1455:                             ;   in Loop: Header=BB292_796 Depth=1
	v_cmp_lt_i32_e64 s4, v52, v27
	v_cndmask_b32_e64 v28, 0, v115, s4
	v_cmp_lt_i32_e64 s4, v80, v27
	v_cndmask_b32_e64 v26, 0, v26, s4
	v_cmp_lt_i32_e64 s4, v71, v27
	v_or_b32_e32 v114, v28, v26
	v_cndmask_b32_e64 v11, 0, v11, s4
	v_cmp_lt_i32_e64 s4, v69, v27
	v_cndmask_b32_e64 v3, 0, v3, s4
	v_cmp_lt_i32_e64 s4, v66, v27
	v_or_b32_e32 v28, v11, v3
	v_cndmask_b32_e64 v29, 0, v103, s4
	v_cmp_lt_i32_e64 s4, v64, v27
	v_cndmask_b32_e64 v12, 0, v12, s4
	v_cmp_lt_i32_e64 s4, v53, v27
	v_or_b32_e32 v113, v29, v12
	v_cndmask_b32_e64 v19, 0, v19, s4
	v_cmp_lt_i32_e64 s4, v31, v27
	v_cndmask_b32_e64 v2, 0, v2, s4
	v_or_b32_e32 v112, v19, v2
.LBB292_1456:                           ;   in Loop: Header=BB292_796 Depth=1
	s_or_b32 exec_lo, exec_lo, s15
	;;#ASMSTART
	v_pk_mul_f16 v2, v68, v114;

	;;#ASMEND
	;;#ASMSTART
	v_pk_mul_f16 v3, v65, v28;

	;;#ASMEND
	;; [unrolled: 4-line block ×4, first 2 shown]
	;;#ASMSTART
	v_pk_add_f16 v2, v2, v3;

	;;#ASMEND
	;;#ASMSTART
	v_pk_add_f16 v2, v2, v11;

	;;#ASMEND
	;;#ASMSTART
	v_pk_add_f16 v2, v2, v12;

	;;#ASMEND
	v_and_b32_e32 v3, 0xffff, v2
	v_lshrrev_b32_e32 v2, 16, v2
	;;#ASMSTART
	v_cvt_f32_f16 v103, v3;
	;;#ASMEND
	;;#ASMSTART
	v_cvt_f32_f16 v112, v2;
	;;#ASMEND
	flat_load_dwordx2 v[11:12], v[9:10] offset:512
	flat_load_dword v113, v[22:23]
	v_mov_b32_e32 v114, 0
	v_mov_b32_e32 v115, 0
	s_waitcnt vmcnt(1) lgkmcnt(1)
	v_cmp_ne_u16_sdwa s4, v11, v4 src0_sel:BYTE_0 src1_sel:DWORD
	s_and_saveexec_b32 s15, s4
	s_cbranch_execz .LBB292_1464
; %bb.1457:                             ;   in Loop: Header=BB292_796 Depth=1
	v_cmp_ne_u16_sdwa s4, v11, v39 src0_sel:BYTE_0 src1_sel:DWORD
	v_mov_b32_e32 v115, 0x8000
	s_and_saveexec_b32 s18, s4
	s_cbranch_execz .LBB292_1463
; %bb.1458:                             ;   in Loop: Header=BB292_796 Depth=1
	v_and_b32_e32 v19, 0x7f, v11
	v_mov_b32_e32 v115, 0x7c01
	s_mov_b32 s19, exec_lo
	v_cmpx_ne_u32_e32 0x7f, v19
	s_cbranch_execz .LBB292_1462
; %bb.1459:                             ;   in Loop: Header=BB292_796 Depth=1
	v_and_b32_e32 v2, 7, v11
	v_lshrrev_b32_e32 v3, 3, v19
	s_mov_b32 s20, exec_lo
	v_cmpx_gt_u32_e32 8, v19
; %bb.1460:                             ;   in Loop: Header=BB292_796 Depth=1
	v_ffbh_u32_e32 v2, v2
	v_min_u32_e32 v19, 32, v2
	v_subrev_nc_u32_e32 v2, 28, v19
	v_lshlrev_b64 v[2:3], v2, v[11:12]
	v_sub_nc_u32_e32 v3, 29, v19
	v_and_b32_e32 v2, 7, v2
; %bb.1461:                             ;   in Loop: Header=BB292_796 Depth=1
	s_or_b32 exec_lo, exec_lo, s20
	v_lshlrev_b32_e32 v19, 8, v11
	v_lshl_add_u32 v3, v3, 10, 0x2000
	v_lshlrev_b32_e32 v2, 7, v2
	v_and_b32_e32 v19, 0x8000, v19
	v_and_b32_e32 v3, 0xfc00, v3
	v_or3_b32 v115, v19, v3, v2
.LBB292_1462:                           ;   in Loop: Header=BB292_796 Depth=1
	s_or_b32 exec_lo, exec_lo, s19
.LBB292_1463:                           ;   in Loop: Header=BB292_796 Depth=1
	s_or_b32 exec_lo, exec_lo, s18
.LBB292_1464:                           ;   in Loop: Header=BB292_796 Depth=1
	s_or_b32 exec_lo, exec_lo, s15
	v_lshrrev_b16 v3, 8, v11
	s_mov_b32 s15, exec_lo
	v_cmpx_ne_u16_e32 0, v3
	s_cbranch_execz .LBB292_1472
; %bb.1465:                             ;   in Loop: Header=BB292_796 Depth=1
	v_bfrev_b32_e32 v114, 1
	s_mov_b32 s18, exec_lo
	v_cmpx_ne_u16_e32 0x80, v3
	s_cbranch_execz .LBB292_1471
; %bb.1466:                             ;   in Loop: Header=BB292_796 Depth=1
	v_and_b32_sdwa v26, v3, v48 dst_sel:DWORD dst_unused:UNUSED_PAD src0_sel:WORD_0 src1_sel:DWORD
	v_mov_b32_e32 v114, 0x7c010000
	s_mov_b32 s19, exec_lo
	v_cmpx_ne_u32_e32 0x7f, v26
	s_cbranch_execz .LBB292_1470
; %bb.1467:                             ;   in Loop: Header=BB292_796 Depth=1
	v_and_b32_sdwa v2, v3, v49 dst_sel:DWORD dst_unused:UNUSED_PAD src0_sel:WORD_0 src1_sel:DWORD
	v_lshrrev_b32_e32 v19, 3, v26
	s_mov_b32 s20, exec_lo
	v_cmpx_gt_u32_e32 8, v26
; %bb.1468:                             ;   in Loop: Header=BB292_796 Depth=1
	v_ffbh_u32_e32 v2, v2
	v_min_u32_e32 v2, 32, v2
	v_subrev_nc_u32_e32 v19, 28, v2
	v_lshlrev_b64 v[28:29], v19, v[3:4]
	v_sub_nc_u32_e32 v19, 29, v2
	v_and_b32_e32 v2, 7, v28
; %bb.1469:                             ;   in Loop: Header=BB292_796 Depth=1
	s_or_b32 exec_lo, exec_lo, s20
	v_lshlrev_b32_sdwa v3, v50, v3 dst_sel:DWORD dst_unused:UNUSED_PAD src0_sel:DWORD src1_sel:WORD_0
	v_lshl_add_u32 v19, v19, 10, 0x2000
	v_lshlrev_b32_e32 v2, 23, v2
	v_and_or_b32 v3, 0x8000, v3, v19
	v_lshl_or_b32 v114, v3, 16, v2
.LBB292_1470:                           ;   in Loop: Header=BB292_796 Depth=1
	s_or_b32 exec_lo, exec_lo, s19
.LBB292_1471:                           ;   in Loop: Header=BB292_796 Depth=1
	s_or_b32 exec_lo, exec_lo, s18
.LBB292_1472:                           ;   in Loop: Header=BB292_796 Depth=1
	s_or_b32 exec_lo, exec_lo, s15
	v_lshrrev_b32_e32 v2, 16, v11
	v_mov_b32_e32 v19, 0
	v_mov_b32_e32 v28, 0
	v_cmp_ne_u16_sdwa s4, v2, v4 src0_sel:BYTE_0 src1_sel:DWORD
	s_and_saveexec_b32 s15, s4
	s_cbranch_execz .LBB292_1480
; %bb.1473:                             ;   in Loop: Header=BB292_796 Depth=1
	v_cmp_ne_u16_sdwa s4, v2, v39 src0_sel:BYTE_0 src1_sel:DWORD
	v_mov_b32_e32 v28, 0x8000
	s_and_saveexec_b32 s18, s4
	s_cbranch_execz .LBB292_1479
; %bb.1474:                             ;   in Loop: Header=BB292_796 Depth=1
	v_bfe_u32 v116, v11, 16, 7
	v_mov_b32_e32 v28, 0x7c01
	s_mov_b32 s19, exec_lo
	v_cmpx_ne_u32_e32 0x7f, v116
	s_cbranch_execz .LBB292_1478
; %bb.1475:                             ;   in Loop: Header=BB292_796 Depth=1
	v_and_b32_e32 v3, 7, v2
	v_lshrrev_b32_e32 v26, 3, v116
	s_mov_b32 s20, exec_lo
	v_cmpx_gt_u32_e32 8, v116
; %bb.1476:                             ;   in Loop: Header=BB292_796 Depth=1
	v_ffbh_u32_e32 v3, v3
	v_min_u32_e32 v3, 32, v3
	v_subrev_nc_u32_e32 v26, 28, v3
	v_lshlrev_b64 v[28:29], v26, v[2:3]
	v_sub_nc_u32_e32 v26, 29, v3
	v_and_b32_e32 v3, 7, v28
; %bb.1477:                             ;   in Loop: Header=BB292_796 Depth=1
	s_or_b32 exec_lo, exec_lo, s20
	v_lshlrev_b32_e32 v2, 8, v2
	v_lshl_add_u32 v26, v26, 10, 0x2000
	v_lshlrev_b32_e32 v3, 7, v3
	v_and_b32_e32 v2, 0x8000, v2
	v_and_b32_e32 v26, 0xfc00, v26
	v_or3_b32 v28, v2, v26, v3
.LBB292_1478:                           ;   in Loop: Header=BB292_796 Depth=1
	s_or_b32 exec_lo, exec_lo, s19
.LBB292_1479:                           ;   in Loop: Header=BB292_796 Depth=1
	s_or_b32 exec_lo, exec_lo, s18
.LBB292_1480:                           ;   in Loop: Header=BB292_796 Depth=1
	s_or_b32 exec_lo, exec_lo, s15
	s_mov_b32 s15, exec_lo
	v_cmpx_lt_u32_e32 0xffffff, v11
	s_cbranch_execz .LBB292_1488
; %bb.1481:                             ;   in Loop: Header=BB292_796 Depth=1
	v_lshrrev_b32_e32 v3, 24, v11
	v_bfrev_b32_e32 v19, 1
	s_mov_b32 s18, exec_lo
	v_cmpx_ne_u32_e32 0x80, v3
	s_cbranch_execz .LBB292_1487
; %bb.1482:                             ;   in Loop: Header=BB292_796 Depth=1
	v_and_b32_e32 v26, 0x7f, v3
	v_mov_b32_e32 v19, 0x7c010000
	s_mov_b32 s19, exec_lo
	v_cmpx_ne_u32_e32 0x7f, v26
	s_cbranch_execz .LBB292_1486
; %bb.1483:                             ;   in Loop: Header=BB292_796 Depth=1
	v_and_b32_e32 v2, 7, v3
	v_lshrrev_b32_e32 v19, 3, v26
	s_mov_b32 s20, exec_lo
	v_cmpx_gt_u32_e32 8, v26
; %bb.1484:                             ;   in Loop: Header=BB292_796 Depth=1
	v_ffbh_u32_e32 v2, v2
	v_min_u32_e32 v2, 32, v2
	v_subrev_nc_u32_e32 v19, 28, v2
	v_lshlrev_b64 v[116:117], v19, v[3:4]
	v_sub_nc_u32_e32 v19, 29, v2
	v_and_b32_e32 v2, 7, v116
; %bb.1485:                             ;   in Loop: Header=BB292_796 Depth=1
	s_or_b32 exec_lo, exec_lo, s20
	v_lshlrev_b32_e32 v3, 8, v3
	v_lshl_add_u32 v19, v19, 10, 0x2000
	v_lshlrev_b32_e32 v2, 23, v2
	v_and_or_b32 v3, 0x8000, v3, v19
	v_lshl_or_b32 v19, v3, 16, v2
.LBB292_1486:                           ;   in Loop: Header=BB292_796 Depth=1
	s_or_b32 exec_lo, exec_lo, s19
.LBB292_1487:                           ;   in Loop: Header=BB292_796 Depth=1
	s_or_b32 exec_lo, exec_lo, s18
.LBB292_1488:                           ;   in Loop: Header=BB292_796 Depth=1
	s_or_b32 exec_lo, exec_lo, s15
	v_mov_b32_e32 v3, v12
	v_cmp_ne_u16_sdwa s4, v12, v4 src0_sel:BYTE_0 src1_sel:DWORD
	v_mov_b32_e32 v116, 0
	v_mov_b32_e32 v26, 0
	s_and_saveexec_b32 s15, s4
	s_cbranch_execz .LBB292_1496
; %bb.1489:                             ;   in Loop: Header=BB292_796 Depth=1
	v_cmp_ne_u16_sdwa s4, v12, v39 src0_sel:BYTE_0 src1_sel:DWORD
	v_mov_b32_e32 v26, 0x8000
	s_and_saveexec_b32 s18, s4
	s_cbranch_execz .LBB292_1495
; %bb.1490:                             ;   in Loop: Header=BB292_796 Depth=1
	v_and_b32_e32 v117, 0x7f, v12
	v_mov_b32_e32 v26, 0x7c01
	s_mov_b32 s19, exec_lo
	v_cmpx_ne_u32_e32 0x7f, v117
	s_cbranch_execz .LBB292_1494
; %bb.1491:                             ;   in Loop: Header=BB292_796 Depth=1
	v_and_b32_e32 v2, 7, v12
	v_lshrrev_b32_e32 v26, 3, v117
	s_mov_b32 s20, exec_lo
	v_cmpx_gt_u32_e32 8, v117
; %bb.1492:                             ;   in Loop: Header=BB292_796 Depth=1
	v_ffbh_u32_e32 v2, v2
	v_min_u32_e32 v2, 32, v2
	v_subrev_nc_u32_e32 v26, 28, v2
	v_lshlrev_b64 v[117:118], v26, v[3:4]
	v_sub_nc_u32_e32 v26, 29, v2
	v_and_b32_e32 v2, 7, v117
; %bb.1493:                             ;   in Loop: Header=BB292_796 Depth=1
	s_or_b32 exec_lo, exec_lo, s20
	v_lshlrev_b32_e32 v29, 8, v12
	v_lshl_add_u32 v26, v26, 10, 0x2000
	v_lshlrev_b32_e32 v2, 7, v2
	v_and_b32_e32 v29, 0x8000, v29
	v_and_b32_e32 v26, 0xfc00, v26
	v_or3_b32 v26, v29, v26, v2
.LBB292_1494:                           ;   in Loop: Header=BB292_796 Depth=1
	s_or_b32 exec_lo, exec_lo, s19
.LBB292_1495:                           ;   in Loop: Header=BB292_796 Depth=1
	s_or_b32 exec_lo, exec_lo, s18
.LBB292_1496:                           ;   in Loop: Header=BB292_796 Depth=1
	s_or_b32 exec_lo, exec_lo, s15
	v_lshrrev_b16 v3, 8, v3
	v_mov_b32_e32 v117, 0
	s_mov_b32 s15, exec_lo
	v_cmpx_ne_u16_e32 0, v3
	s_cbranch_execz .LBB292_1504
; %bb.1497:                             ;   in Loop: Header=BB292_796 Depth=1
	v_bfrev_b32_e32 v117, 1
	s_mov_b32 s18, exec_lo
	v_cmpx_ne_u16_e32 0x80, v3
	s_cbranch_execz .LBB292_1503
; %bb.1498:                             ;   in Loop: Header=BB292_796 Depth=1
	v_and_b32_sdwa v118, v3, v48 dst_sel:DWORD dst_unused:UNUSED_PAD src0_sel:WORD_0 src1_sel:DWORD
	v_mov_b32_e32 v117, 0x7c010000
	s_mov_b32 s19, exec_lo
	v_cmpx_ne_u32_e32 0x7f, v118
	s_cbranch_execz .LBB292_1502
; %bb.1499:                             ;   in Loop: Header=BB292_796 Depth=1
	v_and_b32_sdwa v2, v3, v49 dst_sel:DWORD dst_unused:UNUSED_PAD src0_sel:WORD_0 src1_sel:DWORD
	v_lshrrev_b32_e32 v117, 3, v118
	s_mov_b32 s20, exec_lo
	v_cmpx_gt_u32_e32 8, v118
; %bb.1500:                             ;   in Loop: Header=BB292_796 Depth=1
	v_ffbh_u32_e32 v2, v2
	v_min_u32_e32 v2, 32, v2
	v_subrev_nc_u32_e32 v29, 28, v2
	v_sub_nc_u32_e32 v117, 29, v2
	v_lshlrev_b64 v[118:119], v29, v[3:4]
	v_and_b32_e32 v2, 7, v118
; %bb.1501:                             ;   in Loop: Header=BB292_796 Depth=1
	s_or_b32 exec_lo, exec_lo, s20
	v_lshlrev_b32_sdwa v3, v50, v3 dst_sel:DWORD dst_unused:UNUSED_PAD src0_sel:DWORD src1_sel:WORD_0
	v_lshl_add_u32 v29, v117, 10, 0x2000
	v_lshlrev_b32_e32 v2, 23, v2
	v_and_or_b32 v3, 0x8000, v3, v29
	v_lshl_or_b32 v117, v3, 16, v2
.LBB292_1502:                           ;   in Loop: Header=BB292_796 Depth=1
	s_or_b32 exec_lo, exec_lo, s19
.LBB292_1503:                           ;   in Loop: Header=BB292_796 Depth=1
	s_or_b32 exec_lo, exec_lo, s18
.LBB292_1504:                           ;   in Loop: Header=BB292_796 Depth=1
	s_or_b32 exec_lo, exec_lo, s15
	v_lshrrev_b32_e32 v2, 16, v12
	v_cmp_ne_u16_sdwa s4, v2, v4 src0_sel:BYTE_0 src1_sel:DWORD
	s_and_saveexec_b32 s15, s4
	s_cbranch_execz .LBB292_1512
; %bb.1505:                             ;   in Loop: Header=BB292_796 Depth=1
	v_cmp_ne_u16_sdwa s4, v2, v39 src0_sel:BYTE_0 src1_sel:DWORD
	v_mov_b32_e32 v116, 0x8000
	s_and_saveexec_b32 s18, s4
	s_cbranch_execz .LBB292_1511
; %bb.1506:                             ;   in Loop: Header=BB292_796 Depth=1
	v_bfe_u32 v118, v12, 16, 7
	v_mov_b32_e32 v116, 0x7c01
	s_mov_b32 s19, exec_lo
	v_cmpx_ne_u32_e32 0x7f, v118
	s_cbranch_execz .LBB292_1510
; %bb.1507:                             ;   in Loop: Header=BB292_796 Depth=1
	v_and_b32_e32 v3, 7, v2
	v_lshrrev_b32_e32 v116, 3, v118
	s_mov_b32 s20, exec_lo
	v_cmpx_gt_u32_e32 8, v118
; %bb.1508:                             ;   in Loop: Header=BB292_796 Depth=1
	v_ffbh_u32_e32 v3, v3
	v_min_u32_e32 v3, 32, v3
	v_subrev_nc_u32_e32 v29, 28, v3
	v_sub_nc_u32_e32 v116, 29, v3
	v_lshlrev_b64 v[118:119], v29, v[2:3]
	v_and_b32_e32 v3, 7, v118
; %bb.1509:                             ;   in Loop: Header=BB292_796 Depth=1
	s_or_b32 exec_lo, exec_lo, s20
	v_lshlrev_b32_e32 v2, 8, v2
	v_lshl_add_u32 v29, v116, 10, 0x2000
	v_lshlrev_b32_e32 v3, 7, v3
	v_and_b32_e32 v2, 0x8000, v2
	v_and_b32_e32 v29, 0xfc00, v29
	v_or3_b32 v116, v2, v29, v3
.LBB292_1510:                           ;   in Loop: Header=BB292_796 Depth=1
	s_or_b32 exec_lo, exec_lo, s19
.LBB292_1511:                           ;   in Loop: Header=BB292_796 Depth=1
	s_or_b32 exec_lo, exec_lo, s18
.LBB292_1512:                           ;   in Loop: Header=BB292_796 Depth=1
	s_or_b32 exec_lo, exec_lo, s15
	v_mov_b32_e32 v2, 0
	s_mov_b32 s15, exec_lo
	v_cmpx_lt_u64_e64 s[6:7], v[11:12]
	s_cbranch_execz .LBB292_1520
; %bb.1513:                             ;   in Loop: Header=BB292_796 Depth=1
	v_lshrrev_b32_e32 v3, 24, v12
	v_bfrev_b32_e32 v2, 1
	s_mov_b32 s18, exec_lo
	v_cmpx_ne_u32_e32 0x80, v3
	s_cbranch_execz .LBB292_1519
; %bb.1514:                             ;   in Loop: Header=BB292_796 Depth=1
	v_and_b32_e32 v12, 0x7f, v3
	v_mov_b32_e32 v2, 0x7c010000
	s_mov_b32 s19, exec_lo
	v_cmpx_ne_u32_e32 0x7f, v12
	s_cbranch_execz .LBB292_1518
; %bb.1515:                             ;   in Loop: Header=BB292_796 Depth=1
	v_and_b32_e32 v2, 7, v3
	v_lshrrev_b32_e32 v11, 3, v12
	s_mov_b32 s20, exec_lo
	v_cmpx_gt_u32_e32 8, v12
; %bb.1516:                             ;   in Loop: Header=BB292_796 Depth=1
	v_ffbh_u32_e32 v2, v2
	v_min_u32_e32 v2, 32, v2
	v_subrev_nc_u32_e32 v11, 28, v2
	v_lshlrev_b64 v[118:119], v11, v[3:4]
	v_sub_nc_u32_e32 v11, 29, v2
	v_and_b32_e32 v2, 7, v118
; %bb.1517:                             ;   in Loop: Header=BB292_796 Depth=1
	s_or_b32 exec_lo, exec_lo, s20
	v_lshlrev_b32_e32 v3, 8, v3
	v_lshl_add_u32 v11, v11, 10, 0x2000
	v_lshlrev_b32_e32 v2, 23, v2
	v_and_or_b32 v3, 0x8000, v3, v11
	v_lshl_or_b32 v2, v3, 16, v2
.LBB292_1518:                           ;   in Loop: Header=BB292_796 Depth=1
	s_or_b32 exec_lo, exec_lo, s19
.LBB292_1519:                           ;   in Loop: Header=BB292_796 Depth=1
	s_or_b32 exec_lo, exec_lo, s18
.LBB292_1520:                           ;   in Loop: Header=BB292_796 Depth=1
	s_or_b32 exec_lo, exec_lo, s15
	v_or_b32_e32 v3, v19, v28
	s_waitcnt vmcnt(0) lgkmcnt(0)
	v_fma_mixlo_f16 v11, v113, v19, 0 op_sel:[0,1,0] op_sel_hi:[0,1,0]
	v_or_b32_e32 v12, v114, v115
	v_fma_mixlo_f16 v19, v113, v114, 0 op_sel:[0,1,0] op_sel_hi:[0,1,0]
	v_or_b32_e32 v28, v117, v26
	v_fma_mixlo_f16 v29, v113, v3, 0 op_sel_hi:[0,1,0]
	v_or_b32_e32 v114, v2, v116
	v_lshlrev_b32_e32 v3, 16, v11
	v_lshlrev_b32_e32 v26, 16, v19
	v_fma_mixlo_f16 v12, v113, v12, 0 op_sel_hi:[0,1,0]
	v_and_b32_e32 v11, 0xffff, v29
	v_fma_mixlo_f16 v19, v113, v117, 0 op_sel:[0,1,0] op_sel_hi:[0,1,0]
	v_fma_mixlo_f16 v28, v113, v28, 0 op_sel_hi:[0,1,0]
	v_fma_mixlo_f16 v2, v113, v2, 0 op_sel:[0,1,0] op_sel_hi:[0,1,0]
	v_fma_mixlo_f16 v29, v113, v114, 0 op_sel_hi:[0,1,0]
	v_and_b32_e32 v117, 0xffff, v12
	v_lshlrev_b32_e32 v12, 16, v19
	v_and_b32_e32 v113, 0xffff, v28
	v_lshlrev_b32_e32 v2, 16, v2
	v_and_b32_e32 v19, 0xffff, v29
	v_or_b32_e32 v28, v3, v11
	v_or_b32_e32 v116, v26, v117
	;; [unrolled: 1-line block ×4, first 2 shown]
	s_and_saveexec_b32 s15, vcc_lo
	s_cbranch_execz .LBB292_1522
; %bb.1521:                             ;   in Loop: Header=BB292_796 Depth=1
	v_cmp_lt_i32_e64 s4, v52, v27
	v_cndmask_b32_e64 v28, 0, v117, s4
	v_cmp_lt_i32_e64 s4, v80, v27
	v_cndmask_b32_e64 v26, 0, v26, s4
	v_cmp_lt_i32_e64 s4, v71, v27
	v_or_b32_e32 v116, v28, v26
	v_cndmask_b32_e64 v11, 0, v11, s4
	v_cmp_lt_i32_e64 s4, v69, v27
	v_cndmask_b32_e64 v3, 0, v3, s4
	v_cmp_lt_i32_e64 s4, v66, v27
	v_or_b32_e32 v28, v11, v3
	;; [unrolled: 5-line block ×3, first 2 shown]
	v_cndmask_b32_e64 v19, 0, v19, s4
	v_cmp_lt_i32_e64 s4, v31, v27
	v_cndmask_b32_e64 v2, 0, v2, s4
	v_or_b32_e32 v114, v19, v2
.LBB292_1522:                           ;   in Loop: Header=BB292_796 Depth=1
	s_or_b32 exec_lo, exec_lo, s15
	;;#ASMSTART
	v_pk_mul_f16 v2, v68, v116;

	;;#ASMEND
	;;#ASMSTART
	v_pk_mul_f16 v3, v65, v28;

	;;#ASMEND
	;; [unrolled: 4-line block ×4, first 2 shown]
	;;#ASMSTART
	v_pk_add_f16 v2, v2, v3;

	;;#ASMEND
	;;#ASMSTART
	v_pk_add_f16 v2, v2, v11;

	;;#ASMEND
	;; [unrolled: 4-line block ×3, first 2 shown]
	v_and_b32_e32 v3, 0xffff, v2
	v_lshrrev_b32_e32 v2, 16, v2
	;;#ASMSTART
	v_cvt_f32_f16 v11, v3;
	;;#ASMEND
	;;#ASMSTART
	v_cvt_f32_f16 v12, v2;
	;;#ASMEND
	flat_load_dwordx2 v[9:10], v[9:10] offset:768
	flat_load_dword v113, v[22:23]
	v_mov_b32_e32 v114, 0
	v_mov_b32_e32 v115, 0
	s_waitcnt vmcnt(1) lgkmcnt(1)
	v_cmp_ne_u16_sdwa s4, v9, v4 src0_sel:BYTE_0 src1_sel:DWORD
	s_and_saveexec_b32 s15, s4
	s_cbranch_execz .LBB292_1530
; %bb.1523:                             ;   in Loop: Header=BB292_796 Depth=1
	v_cmp_ne_u16_sdwa s4, v9, v39 src0_sel:BYTE_0 src1_sel:DWORD
	v_mov_b32_e32 v115, 0x8000
	s_and_saveexec_b32 s18, s4
	s_cbranch_execz .LBB292_1529
; %bb.1524:                             ;   in Loop: Header=BB292_796 Depth=1
	v_and_b32_e32 v19, 0x7f, v9
	v_mov_b32_e32 v115, 0x7c01
	s_mov_b32 s19, exec_lo
	v_cmpx_ne_u32_e32 0x7f, v19
	s_cbranch_execz .LBB292_1528
; %bb.1525:                             ;   in Loop: Header=BB292_796 Depth=1
	v_and_b32_e32 v2, 7, v9
	v_lshrrev_b32_e32 v3, 3, v19
	s_mov_b32 s20, exec_lo
	v_cmpx_gt_u32_e32 8, v19
; %bb.1526:                             ;   in Loop: Header=BB292_796 Depth=1
	v_ffbh_u32_e32 v2, v2
	v_min_u32_e32 v19, 32, v2
	v_subrev_nc_u32_e32 v2, 28, v19
	v_lshlrev_b64 v[2:3], v2, v[9:10]
	v_sub_nc_u32_e32 v3, 29, v19
	v_and_b32_e32 v2, 7, v2
; %bb.1527:                             ;   in Loop: Header=BB292_796 Depth=1
	s_or_b32 exec_lo, exec_lo, s20
	v_lshlrev_b32_e32 v19, 8, v9
	v_lshl_add_u32 v3, v3, 10, 0x2000
	v_lshlrev_b32_e32 v2, 7, v2
	v_and_b32_e32 v19, 0x8000, v19
	v_and_b32_e32 v3, 0xfc00, v3
	v_or3_b32 v115, v19, v3, v2
.LBB292_1528:                           ;   in Loop: Header=BB292_796 Depth=1
	s_or_b32 exec_lo, exec_lo, s19
.LBB292_1529:                           ;   in Loop: Header=BB292_796 Depth=1
	s_or_b32 exec_lo, exec_lo, s18
.LBB292_1530:                           ;   in Loop: Header=BB292_796 Depth=1
	s_or_b32 exec_lo, exec_lo, s15
	v_lshrrev_b16 v3, 8, v9
	s_mov_b32 s15, exec_lo
	v_cmpx_ne_u16_e32 0, v3
	s_cbranch_execz .LBB292_1538
; %bb.1531:                             ;   in Loop: Header=BB292_796 Depth=1
	v_bfrev_b32_e32 v114, 1
	s_mov_b32 s18, exec_lo
	v_cmpx_ne_u16_e32 0x80, v3
	s_cbranch_execz .LBB292_1537
; %bb.1532:                             ;   in Loop: Header=BB292_796 Depth=1
	v_and_b32_sdwa v26, v3, v48 dst_sel:DWORD dst_unused:UNUSED_PAD src0_sel:WORD_0 src1_sel:DWORD
	v_mov_b32_e32 v114, 0x7c010000
	s_mov_b32 s19, exec_lo
	v_cmpx_ne_u32_e32 0x7f, v26
	s_cbranch_execz .LBB292_1536
; %bb.1533:                             ;   in Loop: Header=BB292_796 Depth=1
	v_and_b32_sdwa v2, v3, v49 dst_sel:DWORD dst_unused:UNUSED_PAD src0_sel:WORD_0 src1_sel:DWORD
	v_lshrrev_b32_e32 v19, 3, v26
	s_mov_b32 s20, exec_lo
	v_cmpx_gt_u32_e32 8, v26
; %bb.1534:                             ;   in Loop: Header=BB292_796 Depth=1
	v_ffbh_u32_e32 v2, v2
	v_min_u32_e32 v2, 32, v2
	v_subrev_nc_u32_e32 v19, 28, v2
	v_lshlrev_b64 v[28:29], v19, v[3:4]
	v_sub_nc_u32_e32 v19, 29, v2
	v_and_b32_e32 v2, 7, v28
; %bb.1535:                             ;   in Loop: Header=BB292_796 Depth=1
	s_or_b32 exec_lo, exec_lo, s20
	v_lshlrev_b32_sdwa v3, v50, v3 dst_sel:DWORD dst_unused:UNUSED_PAD src0_sel:DWORD src1_sel:WORD_0
	v_lshl_add_u32 v19, v19, 10, 0x2000
	v_lshlrev_b32_e32 v2, 23, v2
	v_and_or_b32 v3, 0x8000, v3, v19
	v_lshl_or_b32 v114, v3, 16, v2
.LBB292_1536:                           ;   in Loop: Header=BB292_796 Depth=1
	s_or_b32 exec_lo, exec_lo, s19
.LBB292_1537:                           ;   in Loop: Header=BB292_796 Depth=1
	s_or_b32 exec_lo, exec_lo, s18
.LBB292_1538:                           ;   in Loop: Header=BB292_796 Depth=1
	s_or_b32 exec_lo, exec_lo, s15
	v_lshrrev_b32_e32 v2, 16, v9
	v_mov_b32_e32 v19, 0
	v_mov_b32_e32 v28, 0
	v_cmp_ne_u16_sdwa s4, v2, v4 src0_sel:BYTE_0 src1_sel:DWORD
	s_and_saveexec_b32 s15, s4
	s_cbranch_execz .LBB292_1546
; %bb.1539:                             ;   in Loop: Header=BB292_796 Depth=1
	v_cmp_ne_u16_sdwa s4, v2, v39 src0_sel:BYTE_0 src1_sel:DWORD
	v_mov_b32_e32 v28, 0x8000
	s_and_saveexec_b32 s18, s4
	s_cbranch_execz .LBB292_1545
; %bb.1540:                             ;   in Loop: Header=BB292_796 Depth=1
	v_bfe_u32 v116, v9, 16, 7
	v_mov_b32_e32 v28, 0x7c01
	s_mov_b32 s19, exec_lo
	v_cmpx_ne_u32_e32 0x7f, v116
	s_cbranch_execz .LBB292_1544
; %bb.1541:                             ;   in Loop: Header=BB292_796 Depth=1
	v_and_b32_e32 v3, 7, v2
	v_lshrrev_b32_e32 v26, 3, v116
	s_mov_b32 s20, exec_lo
	v_cmpx_gt_u32_e32 8, v116
; %bb.1542:                             ;   in Loop: Header=BB292_796 Depth=1
	v_ffbh_u32_e32 v3, v3
	v_min_u32_e32 v3, 32, v3
	v_subrev_nc_u32_e32 v26, 28, v3
	v_lshlrev_b64 v[28:29], v26, v[2:3]
	v_sub_nc_u32_e32 v26, 29, v3
	v_and_b32_e32 v3, 7, v28
; %bb.1543:                             ;   in Loop: Header=BB292_796 Depth=1
	s_or_b32 exec_lo, exec_lo, s20
	v_lshlrev_b32_e32 v2, 8, v2
	v_lshl_add_u32 v26, v26, 10, 0x2000
	v_lshlrev_b32_e32 v3, 7, v3
	v_and_b32_e32 v2, 0x8000, v2
	v_and_b32_e32 v26, 0xfc00, v26
	v_or3_b32 v28, v2, v26, v3
.LBB292_1544:                           ;   in Loop: Header=BB292_796 Depth=1
	s_or_b32 exec_lo, exec_lo, s19
.LBB292_1545:                           ;   in Loop: Header=BB292_796 Depth=1
	s_or_b32 exec_lo, exec_lo, s18
.LBB292_1546:                           ;   in Loop: Header=BB292_796 Depth=1
	s_or_b32 exec_lo, exec_lo, s15
	s_mov_b32 s15, exec_lo
	v_cmpx_lt_u32_e32 0xffffff, v9
	s_cbranch_execz .LBB292_1554
; %bb.1547:                             ;   in Loop: Header=BB292_796 Depth=1
	v_lshrrev_b32_e32 v3, 24, v9
	v_bfrev_b32_e32 v19, 1
	s_mov_b32 s18, exec_lo
	v_cmpx_ne_u32_e32 0x80, v3
	s_cbranch_execz .LBB292_1553
; %bb.1548:                             ;   in Loop: Header=BB292_796 Depth=1
	v_and_b32_e32 v26, 0x7f, v3
	v_mov_b32_e32 v19, 0x7c010000
	s_mov_b32 s19, exec_lo
	v_cmpx_ne_u32_e32 0x7f, v26
	s_cbranch_execz .LBB292_1552
; %bb.1549:                             ;   in Loop: Header=BB292_796 Depth=1
	v_and_b32_e32 v2, 7, v3
	v_lshrrev_b32_e32 v19, 3, v26
	s_mov_b32 s20, exec_lo
	v_cmpx_gt_u32_e32 8, v26
; %bb.1550:                             ;   in Loop: Header=BB292_796 Depth=1
	v_ffbh_u32_e32 v2, v2
	v_min_u32_e32 v2, 32, v2
	v_subrev_nc_u32_e32 v19, 28, v2
	v_lshlrev_b64 v[116:117], v19, v[3:4]
	v_sub_nc_u32_e32 v19, 29, v2
	v_and_b32_e32 v2, 7, v116
; %bb.1551:                             ;   in Loop: Header=BB292_796 Depth=1
	s_or_b32 exec_lo, exec_lo, s20
	v_lshlrev_b32_e32 v3, 8, v3
	v_lshl_add_u32 v19, v19, 10, 0x2000
	v_lshlrev_b32_e32 v2, 23, v2
	v_and_or_b32 v3, 0x8000, v3, v19
	v_lshl_or_b32 v19, v3, 16, v2
.LBB292_1552:                           ;   in Loop: Header=BB292_796 Depth=1
	s_or_b32 exec_lo, exec_lo, s19
.LBB292_1553:                           ;   in Loop: Header=BB292_796 Depth=1
	s_or_b32 exec_lo, exec_lo, s18
.LBB292_1554:                           ;   in Loop: Header=BB292_796 Depth=1
	s_or_b32 exec_lo, exec_lo, s15
	v_mov_b32_e32 v3, v10
	v_cmp_ne_u16_sdwa s4, v10, v4 src0_sel:BYTE_0 src1_sel:DWORD
	v_mov_b32_e32 v116, 0
	v_mov_b32_e32 v26, 0
	s_and_saveexec_b32 s15, s4
	s_cbranch_execz .LBB292_1562
; %bb.1555:                             ;   in Loop: Header=BB292_796 Depth=1
	v_cmp_ne_u16_sdwa s4, v10, v39 src0_sel:BYTE_0 src1_sel:DWORD
	v_mov_b32_e32 v26, 0x8000
	s_and_saveexec_b32 s18, s4
	s_cbranch_execz .LBB292_1561
; %bb.1556:                             ;   in Loop: Header=BB292_796 Depth=1
	v_and_b32_e32 v117, 0x7f, v10
	v_mov_b32_e32 v26, 0x7c01
	s_mov_b32 s19, exec_lo
	v_cmpx_ne_u32_e32 0x7f, v117
	s_cbranch_execz .LBB292_1560
; %bb.1557:                             ;   in Loop: Header=BB292_796 Depth=1
	v_and_b32_e32 v2, 7, v10
	v_lshrrev_b32_e32 v26, 3, v117
	s_mov_b32 s20, exec_lo
	v_cmpx_gt_u32_e32 8, v117
; %bb.1558:                             ;   in Loop: Header=BB292_796 Depth=1
	v_ffbh_u32_e32 v2, v2
	v_min_u32_e32 v2, 32, v2
	v_subrev_nc_u32_e32 v26, 28, v2
	v_lshlrev_b64 v[117:118], v26, v[3:4]
	v_sub_nc_u32_e32 v26, 29, v2
	v_and_b32_e32 v2, 7, v117
; %bb.1559:                             ;   in Loop: Header=BB292_796 Depth=1
	s_or_b32 exec_lo, exec_lo, s20
	v_lshlrev_b32_e32 v29, 8, v10
	v_lshl_add_u32 v26, v26, 10, 0x2000
	v_lshlrev_b32_e32 v2, 7, v2
	v_and_b32_e32 v29, 0x8000, v29
	v_and_b32_e32 v26, 0xfc00, v26
	v_or3_b32 v26, v29, v26, v2
.LBB292_1560:                           ;   in Loop: Header=BB292_796 Depth=1
	s_or_b32 exec_lo, exec_lo, s19
.LBB292_1561:                           ;   in Loop: Header=BB292_796 Depth=1
	s_or_b32 exec_lo, exec_lo, s18
.LBB292_1562:                           ;   in Loop: Header=BB292_796 Depth=1
	s_or_b32 exec_lo, exec_lo, s15
	v_lshrrev_b16 v3, 8, v3
	v_mov_b32_e32 v117, 0
	s_mov_b32 s15, exec_lo
	v_cmpx_ne_u16_e32 0, v3
	s_cbranch_execz .LBB292_1570
; %bb.1563:                             ;   in Loop: Header=BB292_796 Depth=1
	v_bfrev_b32_e32 v117, 1
	s_mov_b32 s18, exec_lo
	v_cmpx_ne_u16_e32 0x80, v3
	s_cbranch_execz .LBB292_1569
; %bb.1564:                             ;   in Loop: Header=BB292_796 Depth=1
	v_and_b32_sdwa v118, v3, v48 dst_sel:DWORD dst_unused:UNUSED_PAD src0_sel:WORD_0 src1_sel:DWORD
	v_mov_b32_e32 v117, 0x7c010000
	s_mov_b32 s19, exec_lo
	v_cmpx_ne_u32_e32 0x7f, v118
	s_cbranch_execz .LBB292_1568
; %bb.1565:                             ;   in Loop: Header=BB292_796 Depth=1
	v_and_b32_sdwa v2, v3, v49 dst_sel:DWORD dst_unused:UNUSED_PAD src0_sel:WORD_0 src1_sel:DWORD
	v_lshrrev_b32_e32 v117, 3, v118
	s_mov_b32 s20, exec_lo
	v_cmpx_gt_u32_e32 8, v118
; %bb.1566:                             ;   in Loop: Header=BB292_796 Depth=1
	v_ffbh_u32_e32 v2, v2
	v_min_u32_e32 v2, 32, v2
	v_subrev_nc_u32_e32 v29, 28, v2
	v_sub_nc_u32_e32 v117, 29, v2
	v_lshlrev_b64 v[118:119], v29, v[3:4]
	v_and_b32_e32 v2, 7, v118
; %bb.1567:                             ;   in Loop: Header=BB292_796 Depth=1
	s_or_b32 exec_lo, exec_lo, s20
	v_lshlrev_b32_sdwa v3, v50, v3 dst_sel:DWORD dst_unused:UNUSED_PAD src0_sel:DWORD src1_sel:WORD_0
	v_lshl_add_u32 v29, v117, 10, 0x2000
	v_lshlrev_b32_e32 v2, 23, v2
	v_and_or_b32 v3, 0x8000, v3, v29
	v_lshl_or_b32 v117, v3, 16, v2
.LBB292_1568:                           ;   in Loop: Header=BB292_796 Depth=1
	s_or_b32 exec_lo, exec_lo, s19
.LBB292_1569:                           ;   in Loop: Header=BB292_796 Depth=1
	s_or_b32 exec_lo, exec_lo, s18
.LBB292_1570:                           ;   in Loop: Header=BB292_796 Depth=1
	s_or_b32 exec_lo, exec_lo, s15
	v_lshrrev_b32_e32 v2, 16, v10
	v_cmp_ne_u16_sdwa s4, v2, v4 src0_sel:BYTE_0 src1_sel:DWORD
	s_and_saveexec_b32 s15, s4
	s_cbranch_execz .LBB292_1578
; %bb.1571:                             ;   in Loop: Header=BB292_796 Depth=1
	v_cmp_ne_u16_sdwa s4, v2, v39 src0_sel:BYTE_0 src1_sel:DWORD
	v_mov_b32_e32 v116, 0x8000
	s_and_saveexec_b32 s18, s4
	s_cbranch_execz .LBB292_1577
; %bb.1572:                             ;   in Loop: Header=BB292_796 Depth=1
	v_bfe_u32 v118, v10, 16, 7
	v_mov_b32_e32 v116, 0x7c01
	s_mov_b32 s19, exec_lo
	v_cmpx_ne_u32_e32 0x7f, v118
	s_cbranch_execz .LBB292_1576
; %bb.1573:                             ;   in Loop: Header=BB292_796 Depth=1
	v_and_b32_e32 v3, 7, v2
	v_lshrrev_b32_e32 v116, 3, v118
	s_mov_b32 s20, exec_lo
	v_cmpx_gt_u32_e32 8, v118
; %bb.1574:                             ;   in Loop: Header=BB292_796 Depth=1
	v_ffbh_u32_e32 v3, v3
	v_min_u32_e32 v3, 32, v3
	v_subrev_nc_u32_e32 v29, 28, v3
	v_sub_nc_u32_e32 v116, 29, v3
	v_lshlrev_b64 v[118:119], v29, v[2:3]
	v_and_b32_e32 v3, 7, v118
; %bb.1575:                             ;   in Loop: Header=BB292_796 Depth=1
	s_or_b32 exec_lo, exec_lo, s20
	v_lshlrev_b32_e32 v2, 8, v2
	v_lshl_add_u32 v29, v116, 10, 0x2000
	v_lshlrev_b32_e32 v3, 7, v3
	v_and_b32_e32 v2, 0x8000, v2
	v_and_b32_e32 v29, 0xfc00, v29
	v_or3_b32 v116, v2, v29, v3
.LBB292_1576:                           ;   in Loop: Header=BB292_796 Depth=1
	s_or_b32 exec_lo, exec_lo, s19
.LBB292_1577:                           ;   in Loop: Header=BB292_796 Depth=1
	s_or_b32 exec_lo, exec_lo, s18
.LBB292_1578:                           ;   in Loop: Header=BB292_796 Depth=1
	s_or_b32 exec_lo, exec_lo, s15
	v_mov_b32_e32 v2, 0
	s_mov_b32 s15, exec_lo
	v_cmpx_lt_u64_e64 s[6:7], v[9:10]
	s_cbranch_execz .LBB292_1586
; %bb.1579:                             ;   in Loop: Header=BB292_796 Depth=1
	v_lshrrev_b32_e32 v3, 24, v10
	v_bfrev_b32_e32 v2, 1
	s_mov_b32 s18, exec_lo
	v_cmpx_ne_u32_e32 0x80, v3
	s_cbranch_execz .LBB292_1585
; %bb.1580:                             ;   in Loop: Header=BB292_796 Depth=1
	v_and_b32_e32 v10, 0x7f, v3
	v_mov_b32_e32 v2, 0x7c010000
	s_mov_b32 s19, exec_lo
	v_cmpx_ne_u32_e32 0x7f, v10
	s_cbranch_execz .LBB292_1584
; %bb.1581:                             ;   in Loop: Header=BB292_796 Depth=1
	v_and_b32_e32 v2, 7, v3
	v_lshrrev_b32_e32 v9, 3, v10
	s_mov_b32 s20, exec_lo
	v_cmpx_gt_u32_e32 8, v10
; %bb.1582:                             ;   in Loop: Header=BB292_796 Depth=1
	v_ffbh_u32_e32 v2, v2
	v_min_u32_e32 v2, 32, v2
	v_subrev_nc_u32_e32 v9, 28, v2
	v_lshlrev_b64 v[118:119], v9, v[3:4]
	v_sub_nc_u32_e32 v9, 29, v2
	v_and_b32_e32 v2, 7, v118
; %bb.1583:                             ;   in Loop: Header=BB292_796 Depth=1
	s_or_b32 exec_lo, exec_lo, s20
	v_lshlrev_b32_e32 v3, 8, v3
	v_lshl_add_u32 v9, v9, 10, 0x2000
	v_lshlrev_b32_e32 v2, 23, v2
	v_and_or_b32 v3, 0x8000, v3, v9
	v_lshl_or_b32 v2, v3, 16, v2
.LBB292_1584:                           ;   in Loop: Header=BB292_796 Depth=1
	s_or_b32 exec_lo, exec_lo, s19
.LBB292_1585:                           ;   in Loop: Header=BB292_796 Depth=1
	s_or_b32 exec_lo, exec_lo, s18
.LBB292_1586:                           ;   in Loop: Header=BB292_796 Depth=1
	s_or_b32 exec_lo, exec_lo, s15
	v_or_b32_e32 v3, v19, v28
	s_waitcnt vmcnt(0) lgkmcnt(0)
	v_fma_mixlo_f16 v9, v113, v19, 0 op_sel:[0,1,0] op_sel_hi:[0,1,0]
	v_or_b32_e32 v10, v114, v115
	v_fma_mixlo_f16 v28, v113, v114, 0 op_sel:[0,1,0] op_sel_hi:[0,1,0]
	v_or_b32_e32 v26, v117, v26
	v_fma_mixlo_f16 v3, v113, v3, 0 op_sel_hi:[0,1,0]
	v_or_b32_e32 v29, v2, v116
	v_lshlrev_b32_e32 v19, 16, v9
	v_lshlrev_b32_e32 v115, 16, v28
	v_fma_mixlo_f16 v9, v113, v10, 0 op_sel_hi:[0,1,0]
	v_and_b32_e32 v28, 0xffff, v3
	v_fma_mixlo_f16 v3, v113, v117, 0 op_sel:[0,1,0] op_sel_hi:[0,1,0]
	v_fma_mixlo_f16 v10, v113, v26, 0 op_sel_hi:[0,1,0]
	v_fma_mixlo_f16 v2, v113, v2, 0 op_sel:[0,1,0] op_sel_hi:[0,1,0]
	v_fma_mixlo_f16 v29, v113, v29, 0 op_sel_hi:[0,1,0]
	v_and_b32_e32 v117, 0xffff, v9
	v_lshlrev_b32_e32 v113, 16, v3
	v_and_b32_e32 v116, 0xffff, v10
	v_lshlrev_b32_e32 v26, 16, v2
	v_and_b32_e32 v114, 0xffff, v29
	v_or_b32_e32 v2, v19, v28
	v_or_b32_e32 v10, v115, v117
	;; [unrolled: 1-line block ×4, first 2 shown]
	s_and_saveexec_b32 s4, vcc_lo
	s_cbranch_execz .LBB292_795
; %bb.1587:                             ;   in Loop: Header=BB292_796 Depth=1
	v_cmp_lt_i32_e32 vcc_lo, v52, v27
	v_cndmask_b32_e32 v2, 0, v117, vcc_lo
	v_cmp_lt_i32_e32 vcc_lo, v80, v27
	v_cndmask_b32_e32 v3, 0, v115, vcc_lo
	v_cmp_lt_i32_e32 vcc_lo, v71, v27
	v_or_b32_e32 v10, v2, v3
	v_cndmask_b32_e32 v9, 0, v28, vcc_lo
	v_cmp_lt_i32_e32 vcc_lo, v69, v27
	v_cndmask_b32_e32 v19, 0, v19, vcc_lo
	v_cmp_lt_i32_e32 vcc_lo, v66, v27
	v_or_b32_e32 v2, v9, v19
	;; [unrolled: 5-line block ×3, first 2 shown]
	v_cndmask_b32_e32 v52, 0, v114, vcc_lo
	v_cmp_lt_i32_e32 vcc_lo, v31, v27
	v_cndmask_b32_e32 v26, 0, v26, vcc_lo
	v_or_b32_e32 v3, v52, v26
	s_branch .LBB292_795
.LBB292_1588:
	s_or_b32 exec_lo, exec_lo, s13
	v_mov_b32_e32 v4, s16
	v_mov_b32_e32 v5, s17
	;; [unrolled: 1-line block ×4, first 2 shown]
.LBB292_1589:
	s_or_b32 exec_lo, exec_lo, s5
	v_lshlrev_b64 v[0:1], 2, v[4:5]
	s_getpc_b64 s[4:5]
	s_add_u32 s4, s4, llvm.amdgcn.dynlds.offset.table@rel32@lo+4
	s_addc_u32 s5, s5, llvm.amdgcn.dynlds.offset.table@rel32@hi+12
	s_barrier
	buffer_gl0_inv
	ds_bpermute_b32 v2, v14, v36
	v_add_co_u32 v0, vcc_lo, s4, v0
	v_add_co_ci_u32_e64 v1, null, s5, v1, vcc_lo
	ds_bpermute_b32 v3, v14, v35
	ds_bpermute_b32 v4, v14, v33
	;; [unrolled: 1-line block ×3, first 2 shown]
	global_load_dword v12, v[0:1], off
	ds_bpermute_b32 v0, v14, v34
	ds_bpermute_b32 v1, v14, v37
	;; [unrolled: 1-line block ×8, first 2 shown]
	v_and_b32_e32 v31, 28, v42
	v_lshrrev_b32_e32 v14, 2, v42
	s_mov_b32 s4, exec_lo
	s_waitcnt lgkmcnt(11)
	v_add_f32_e32 v2, v36, v2
	s_waitcnt lgkmcnt(10)
	v_add_f32_e32 v3, v35, v3
	;; [unrolled: 2-line block ×4, first 2 shown]
	v_and_b32_e32 v32, 0x3c3, v38
	s_waitcnt lgkmcnt(7)
	v_add_f32_e32 v0, v34, v0
	s_waitcnt lgkmcnt(6)
	v_add_f32_e32 v1, v37, v1
	;; [unrolled: 2-line block ×8, first 2 shown]
	ds_bpermute_b32 v6, v13, v0
	ds_bpermute_b32 v7, v13, v1
	;; [unrolled: 1-line block ×12, first 2 shown]
	v_mul_u32_u24_e32 v16, 0x180, v49
	s_waitcnt lgkmcnt(11)
	v_add_f32_e32 v11, v0, v6
	s_waitcnt lgkmcnt(10)
	v_add_f32_e32 v10, v1, v7
	;; [unrolled: 2-line block ×12, first 2 shown]
	s_waitcnt vmcnt(0)
	v_add_nc_u32_e32 v13, v12, v31
	v_cmpx_eq_u32_e32 64, v32
	s_cbranch_execz .LBB292_1591
; %bb.1590:
	v_add_nc_u32_e32 v17, v13, v16
	v_add_nc_u32_e32 v18, 0xfffffd00, v17
	;; [unrolled: 1-line block ×8, first 2 shown]
	ds_write_b32 v18, v11
	ds_write_b32 v19, v10
	;; [unrolled: 1-line block ×7, first 2 shown]
	v_add_nc_u32_e32 v18, 0xfffffde0, v17
	v_add_nc_u32_e32 v19, 0xfffffe00, v17
	;; [unrolled: 1-line block ×5, first 2 shown]
	ds_write_b32 v18, v4
	ds_write_b32 v19, v3
	;; [unrolled: 1-line block ×5, first 2 shown]
.LBB292_1591:
	s_or_b32 exec_lo, exec_lo, s4
	v_lshlrev_b32_e32 v14, 2, v14
	s_mov_b32 s5, exec_lo
	v_cmp_eq_u32_e32 vcc_lo, 0, v15
	s_waitcnt lgkmcnt(0)
	s_barrier
	v_add3_u32 v12, v12, v16, v14
	buffer_gl0_inv
	v_cmpx_gt_u32_e32 64, v38
	s_cbranch_execz .LBB292_1606
; %bb.1592:
	s_and_saveexec_b32 s4, vcc_lo
	s_cbranch_execnz .LBB292_1626
; %bb.1593:
	s_or_b32 exec_lo, exec_lo, s4
	s_and_saveexec_b32 s4, vcc_lo
	s_cbranch_execnz .LBB292_1627
.LBB292_1594:
	s_or_b32 exec_lo, exec_lo, s4
	s_and_saveexec_b32 s4, vcc_lo
	s_cbranch_execnz .LBB292_1628
.LBB292_1595:
	s_or_b32 exec_lo, exec_lo, s4
	s_and_saveexec_b32 s4, vcc_lo
	s_cbranch_execnz .LBB292_1629
.LBB292_1596:
	s_or_b32 exec_lo, exec_lo, s4
	s_and_saveexec_b32 s4, vcc_lo
	s_cbranch_execnz .LBB292_1630
.LBB292_1597:
	s_or_b32 exec_lo, exec_lo, s4
	s_and_saveexec_b32 s4, vcc_lo
	s_cbranch_execnz .LBB292_1631
.LBB292_1598:
	s_or_b32 exec_lo, exec_lo, s4
	s_and_saveexec_b32 s4, vcc_lo
	s_cbranch_execnz .LBB292_1632
.LBB292_1599:
	s_or_b32 exec_lo, exec_lo, s4
	s_and_saveexec_b32 s4, vcc_lo
	s_cbranch_execnz .LBB292_1633
.LBB292_1600:
	s_or_b32 exec_lo, exec_lo, s4
	s_and_saveexec_b32 s4, vcc_lo
	s_cbranch_execnz .LBB292_1634
.LBB292_1601:
	s_or_b32 exec_lo, exec_lo, s4
	s_and_saveexec_b32 s4, vcc_lo
	s_cbranch_execnz .LBB292_1635
.LBB292_1602:
	s_or_b32 exec_lo, exec_lo, s4
	s_and_saveexec_b32 s4, vcc_lo
	s_cbranch_execnz .LBB292_1636
.LBB292_1603:
	s_or_b32 exec_lo, exec_lo, s4
	s_and_saveexec_b32 s4, vcc_lo
	s_cbranch_execz .LBB292_1605
.LBB292_1604:
	ds_read_b32 v14, v12 offset:352
	s_waitcnt lgkmcnt(0)
	v_add_f32_e32 v0, v14, v0
.LBB292_1605:
	s_or_b32 exec_lo, exec_lo, s4
.LBB292_1606:
	s_or_b32 exec_lo, exec_lo, s5
	v_and_b32_e32 v14, 0x3e3, v38
	s_mov_b32 s5, exec_lo
	s_barrier
	buffer_gl0_inv
	v_cmpx_eq_u32_e32 32, v14
	s_cbranch_execz .LBB292_1608
; %bb.1607:
	ds_write2_b32 v13, v11, v10 offset1:8
	ds_write2_b32 v13, v9, v8 offset0:16 offset1:24
	ds_write2_b32 v13, v7, v6 offset0:32 offset1:40
	;; [unrolled: 1-line block ×5, first 2 shown]
.LBB292_1608:
	s_or_b32 exec_lo, exec_lo, s5
	s_mov_b32 s5, exec_lo
	s_waitcnt lgkmcnt(0)
	s_barrier
	buffer_gl0_inv
	v_cmpx_gt_u32_e32 32, v38
	s_cbranch_execz .LBB292_1623
; %bb.1609:
	s_and_saveexec_b32 s4, vcc_lo
	s_cbranch_execnz .LBB292_1637
; %bb.1610:
	s_or_b32 exec_lo, exec_lo, s4
	s_and_saveexec_b32 s4, vcc_lo
	s_cbranch_execnz .LBB292_1638
.LBB292_1611:
	s_or_b32 exec_lo, exec_lo, s4
	s_and_saveexec_b32 s4, vcc_lo
	s_cbranch_execnz .LBB292_1639
.LBB292_1612:
	s_or_b32 exec_lo, exec_lo, s4
	s_and_saveexec_b32 s4, vcc_lo
	s_cbranch_execnz .LBB292_1640
.LBB292_1613:
	s_or_b32 exec_lo, exec_lo, s4
	s_and_saveexec_b32 s4, vcc_lo
	s_cbranch_execnz .LBB292_1641
.LBB292_1614:
	s_or_b32 exec_lo, exec_lo, s4
	s_and_saveexec_b32 s4, vcc_lo
	s_cbranch_execnz .LBB292_1642
.LBB292_1615:
	s_or_b32 exec_lo, exec_lo, s4
	s_and_saveexec_b32 s4, vcc_lo
	s_cbranch_execnz .LBB292_1643
.LBB292_1616:
	s_or_b32 exec_lo, exec_lo, s4
	s_and_saveexec_b32 s4, vcc_lo
	s_cbranch_execnz .LBB292_1644
.LBB292_1617:
	s_or_b32 exec_lo, exec_lo, s4
	s_and_saveexec_b32 s4, vcc_lo
	s_cbranch_execnz .LBB292_1645
.LBB292_1618:
	s_or_b32 exec_lo, exec_lo, s4
	s_and_saveexec_b32 s4, vcc_lo
	s_cbranch_execnz .LBB292_1646
.LBB292_1619:
	s_or_b32 exec_lo, exec_lo, s4
	s_and_saveexec_b32 s4, vcc_lo
	s_cbranch_execnz .LBB292_1647
.LBB292_1620:
	s_or_b32 exec_lo, exec_lo, s4
	s_and_saveexec_b32 s4, vcc_lo
	s_cbranch_execz .LBB292_1622
.LBB292_1621:
	ds_read_b32 v12, v12 offset:352
	s_waitcnt lgkmcnt(0)
	v_add_f32_e32 v0, v12, v0
.LBB292_1622:
	s_or_b32 exec_lo, exec_lo, s4
.LBB292_1623:
	s_or_b32 exec_lo, exec_lo, s5
	s_mov_b32 s4, exec_lo
	s_barrier
	buffer_gl0_inv
	v_cmpx_eq_u32_e32 0, v14
	s_cbranch_execz .LBB292_1625
; %bb.1624:
	s_clause 0x1
	buffer_load_dword v13, off, s[0:3], s32 offset:224
	buffer_load_dword v14, off, s[0:3], s32 offset:220
	s_and_b32 s5, 0xffff, s9
	s_mul_i32 s6, s14, 0x60
	s_cmp_lg_u32 s5, 0
	v_lshrrev_b32_e32 v12, 1, v38
	s_cselect_b32 s5, -1, 0
	;;#ASMSTART
	v_cvt_f16_f32 v11, v11;

	;;#ASMEND
	s_cmp_lg_u32 s5, 0
	s_addc_u32 s5, s8, 0
	s_mul_i32 s7, s5, s10
	s_mul_i32 s10, s12, s5
	;; [unrolled: 1-line block ×3, first 2 shown]
	s_ashr_i32 s11, s10, 31
	s_mulk_i32 s8, 0x60
	s_ashr_i32 s7, s6, 31
	s_ashr_i32 s9, s8, 31
	s_lshl_b64 s[6:7], s[6:7], 1
	s_lshl_b64 s[8:9], s[8:9], 1
	s_waitcnt vmcnt(1)
	v_add_co_u32 v13, vcc_lo, v13, s8
	s_waitcnt vmcnt(0)
	v_add_co_ci_u32_e64 v14, null, s9, v14, vcc_lo
	s_lshl_b64 s[8:9], s[10:11], 1
	v_add_co_u32 v13, vcc_lo, v13, s8
	v_add_co_ci_u32_e64 v14, null, s9, v14, vcc_lo
	v_add_co_u32 v13, vcc_lo, v13, s6
	v_add_co_ci_u32_e64 v14, null, s7, v14, vcc_lo
	;; [unrolled: 2-line block ×3, first 2 shown]
	flat_store_short v[12:13], v11
	;;#ASMSTART
	v_cvt_f16_f32 v10, v10;

	;;#ASMEND
	flat_store_short v[12:13], v10 offset:16
	;;#ASMSTART
	v_cvt_f16_f32 v9, v9;

	;;#ASMEND
	flat_store_short v[12:13], v9 offset:32
	;; [unrolled: 5-line block ×11, first 2 shown]
.LBB292_1625:
	s_or_b32 exec_lo, exec_lo, s4
	s_clause 0x2f
	buffer_load_dword v127, off, s[0:3], s32
	buffer_load_dword v126, off, s[0:3], s32 offset:4
	buffer_load_dword v125, off, s[0:3], s32 offset:8
	;; [unrolled: 1-line block ×47, first 2 shown]
	s_waitcnt vmcnt(0) lgkmcnt(0)
	s_setpc_b64 s[30:31]
.LBB292_1626:
	ds_read_b32 v14, v12
	s_waitcnt lgkmcnt(0)
	v_add_f32_e32 v11, v14, v11
	s_or_b32 exec_lo, exec_lo, s4
	s_and_saveexec_b32 s4, vcc_lo
	s_cbranch_execz .LBB292_1594
.LBB292_1627:
	ds_read_b32 v14, v12 offset:32
	s_waitcnt lgkmcnt(0)
	v_add_f32_e32 v10, v14, v10
	s_or_b32 exec_lo, exec_lo, s4
	s_and_saveexec_b32 s4, vcc_lo
	s_cbranch_execz .LBB292_1595
.LBB292_1628:
	ds_read_b32 v14, v12 offset:64
	s_waitcnt lgkmcnt(0)
	v_add_f32_e32 v9, v14, v9
	s_or_b32 exec_lo, exec_lo, s4
	s_and_saveexec_b32 s4, vcc_lo
	s_cbranch_execz .LBB292_1596
.LBB292_1629:
	ds_read_b32 v14, v12 offset:96
	s_waitcnt lgkmcnt(0)
	v_add_f32_e32 v8, v14, v8
	s_or_b32 exec_lo, exec_lo, s4
	s_and_saveexec_b32 s4, vcc_lo
	s_cbranch_execz .LBB292_1597
.LBB292_1630:
	ds_read_b32 v14, v12 offset:128
	s_waitcnt lgkmcnt(0)
	v_add_f32_e32 v7, v14, v7
	s_or_b32 exec_lo, exec_lo, s4
	s_and_saveexec_b32 s4, vcc_lo
	s_cbranch_execz .LBB292_1598
.LBB292_1631:
	ds_read_b32 v14, v12 offset:160
	s_waitcnt lgkmcnt(0)
	v_add_f32_e32 v6, v14, v6
	s_or_b32 exec_lo, exec_lo, s4
	s_and_saveexec_b32 s4, vcc_lo
	s_cbranch_execz .LBB292_1599
.LBB292_1632:
	ds_read_b32 v14, v12 offset:192
	s_waitcnt lgkmcnt(0)
	v_add_f32_e32 v5, v14, v5
	s_or_b32 exec_lo, exec_lo, s4
	s_and_saveexec_b32 s4, vcc_lo
	s_cbranch_execz .LBB292_1600
.LBB292_1633:
	ds_read_b32 v14, v12 offset:224
	s_waitcnt lgkmcnt(0)
	v_add_f32_e32 v4, v14, v4
	s_or_b32 exec_lo, exec_lo, s4
	s_and_saveexec_b32 s4, vcc_lo
	s_cbranch_execz .LBB292_1601
.LBB292_1634:
	ds_read_b32 v14, v12 offset:256
	s_waitcnt lgkmcnt(0)
	v_add_f32_e32 v3, v14, v3
	s_or_b32 exec_lo, exec_lo, s4
	s_and_saveexec_b32 s4, vcc_lo
	s_cbranch_execz .LBB292_1602
.LBB292_1635:
	ds_read_b32 v14, v12 offset:288
	s_waitcnt lgkmcnt(0)
	v_add_f32_e32 v2, v14, v2
	s_or_b32 exec_lo, exec_lo, s4
	s_and_saveexec_b32 s4, vcc_lo
	s_cbranch_execz .LBB292_1603
.LBB292_1636:
	ds_read_b32 v14, v12 offset:320
	s_waitcnt lgkmcnt(0)
	v_add_f32_e32 v1, v14, v1
	s_or_b32 exec_lo, exec_lo, s4
	s_and_saveexec_b32 s4, vcc_lo
	s_cbranch_execnz .LBB292_1604
	s_branch .LBB292_1605
.LBB292_1637:
	ds_read_b32 v13, v12
	s_waitcnt lgkmcnt(0)
	v_add_f32_e32 v11, v13, v11
	s_or_b32 exec_lo, exec_lo, s4
	s_and_saveexec_b32 s4, vcc_lo
	s_cbranch_execz .LBB292_1611
.LBB292_1638:
	ds_read_b32 v13, v12 offset:32
	s_waitcnt lgkmcnt(0)
	v_add_f32_e32 v10, v13, v10
	s_or_b32 exec_lo, exec_lo, s4
	s_and_saveexec_b32 s4, vcc_lo
	s_cbranch_execz .LBB292_1612
.LBB292_1639:
	ds_read_b32 v13, v12 offset:64
	s_waitcnt lgkmcnt(0)
	v_add_f32_e32 v9, v13, v9
	s_or_b32 exec_lo, exec_lo, s4
	s_and_saveexec_b32 s4, vcc_lo
	s_cbranch_execz .LBB292_1613
.LBB292_1640:
	ds_read_b32 v13, v12 offset:96
	s_waitcnt lgkmcnt(0)
	v_add_f32_e32 v8, v13, v8
	s_or_b32 exec_lo, exec_lo, s4
	s_and_saveexec_b32 s4, vcc_lo
	s_cbranch_execz .LBB292_1614
.LBB292_1641:
	ds_read_b32 v13, v12 offset:128
	s_waitcnt lgkmcnt(0)
	v_add_f32_e32 v7, v13, v7
	s_or_b32 exec_lo, exec_lo, s4
	s_and_saveexec_b32 s4, vcc_lo
	s_cbranch_execz .LBB292_1615
.LBB292_1642:
	ds_read_b32 v13, v12 offset:160
	s_waitcnt lgkmcnt(0)
	v_add_f32_e32 v6, v13, v6
	s_or_b32 exec_lo, exec_lo, s4
	s_and_saveexec_b32 s4, vcc_lo
	s_cbranch_execz .LBB292_1616
.LBB292_1643:
	ds_read_b32 v13, v12 offset:192
	s_waitcnt lgkmcnt(0)
	v_add_f32_e32 v5, v13, v5
	s_or_b32 exec_lo, exec_lo, s4
	s_and_saveexec_b32 s4, vcc_lo
	s_cbranch_execz .LBB292_1617
.LBB292_1644:
	ds_read_b32 v13, v12 offset:224
	s_waitcnt lgkmcnt(0)
	v_add_f32_e32 v4, v13, v4
	s_or_b32 exec_lo, exec_lo, s4
	s_and_saveexec_b32 s4, vcc_lo
	s_cbranch_execz .LBB292_1618
.LBB292_1645:
	ds_read_b32 v13, v12 offset:256
	s_waitcnt lgkmcnt(0)
	v_add_f32_e32 v3, v13, v3
	s_or_b32 exec_lo, exec_lo, s4
	s_and_saveexec_b32 s4, vcc_lo
	s_cbranch_execz .LBB292_1619
.LBB292_1646:
	ds_read_b32 v13, v12 offset:288
	s_waitcnt lgkmcnt(0)
	v_add_f32_e32 v2, v13, v2
	s_or_b32 exec_lo, exec_lo, s4
	s_and_saveexec_b32 s4, vcc_lo
	s_cbranch_execz .LBB292_1620
.LBB292_1647:
	ds_read_b32 v13, v12 offset:320
	s_waitcnt lgkmcnt(0)
	v_add_f32_e32 v1, v13, v1
	s_or_b32 exec_lo, exec_lo, s4
	s_and_saveexec_b32 s4, vcc_lo
	s_cbranch_execnz .LBB292_1621
	s_branch .LBB292_1622
.Lfunc_end292:
	.size	_ZN4vllm22paged_attention_kernelIthLi96ELi32ELi128ELNS_18Fp8KVCacheDataTypeE1ELb0ELi0EEEvPfS2_PT_PKS3_PKT0_S9_ifPKiSB_iPKfiiiSD_SD_iiiii, .Lfunc_end292-_ZN4vllm22paged_attention_kernelIthLi96ELi32ELi128ELNS_18Fp8KVCacheDataTypeE1ELb0ELi0EEEvPfS2_PT_PKS3_PKT0_S9_ifPKiSB_iPKfiiiSD_SD_iiiii
                                        ; -- End function
	.set .L_ZN4vllm22paged_attention_kernelIthLi96ELi32ELi128ELNS_18Fp8KVCacheDataTypeE1ELb0ELi0EEEvPfS2_PT_PKS3_PKT0_S9_ifPKiSB_iPKfiiiSD_SD_iiiii.num_vgpr, 128
	.set .L_ZN4vllm22paged_attention_kernelIthLi96ELi32ELi128ELNS_18Fp8KVCacheDataTypeE1ELb0ELi0EEEvPfS2_PT_PKS3_PKT0_S9_ifPKiSB_iPKfiiiSD_SD_iiiii.num_agpr, 0
	.set .L_ZN4vllm22paged_attention_kernelIthLi96ELi32ELi128ELNS_18Fp8KVCacheDataTypeE1ELb0ELi0EEEvPfS2_PT_PKS3_PKT0_S9_ifPKiSB_iPKfiiiSD_SD_iiiii.numbered_sgpr, 33
	.set .L_ZN4vllm22paged_attention_kernelIthLi96ELi32ELi128ELNS_18Fp8KVCacheDataTypeE1ELb0ELi0EEEvPfS2_PT_PKS3_PKT0_S9_ifPKiSB_iPKfiiiSD_SD_iiiii.num_named_barrier, 0
	.set .L_ZN4vllm22paged_attention_kernelIthLi96ELi32ELi128ELNS_18Fp8KVCacheDataTypeE1ELb0ELi0EEEvPfS2_PT_PKS3_PKT0_S9_ifPKiSB_iPKfiiiSD_SD_iiiii.private_seg_size, 284
	.set .L_ZN4vllm22paged_attention_kernelIthLi96ELi32ELi128ELNS_18Fp8KVCacheDataTypeE1ELb0ELi0EEEvPfS2_PT_PKS3_PKT0_S9_ifPKiSB_iPKfiiiSD_SD_iiiii.uses_vcc, 1
	.set .L_ZN4vllm22paged_attention_kernelIthLi96ELi32ELi128ELNS_18Fp8KVCacheDataTypeE1ELb0ELi0EEEvPfS2_PT_PKS3_PKT0_S9_ifPKiSB_iPKfiiiSD_SD_iiiii.uses_flat_scratch, 0
	.set .L_ZN4vllm22paged_attention_kernelIthLi96ELi32ELi128ELNS_18Fp8KVCacheDataTypeE1ELb0ELi0EEEvPfS2_PT_PKS3_PKT0_S9_ifPKiSB_iPKfiiiSD_SD_iiiii.has_dyn_sized_stack, 0
	.set .L_ZN4vllm22paged_attention_kernelIthLi96ELi32ELi128ELNS_18Fp8KVCacheDataTypeE1ELb0ELi0EEEvPfS2_PT_PKS3_PKT0_S9_ifPKiSB_iPKfiiiSD_SD_iiiii.has_recursion, 0
	.set .L_ZN4vllm22paged_attention_kernelIthLi96ELi32ELi128ELNS_18Fp8KVCacheDataTypeE1ELb0ELi0EEEvPfS2_PT_PKS3_PKT0_S9_ifPKiSB_iPKfiiiSD_SD_iiiii.has_indirect_call, 0
	.section	.AMDGPU.csdata,"",@progbits
; Function info:
; codeLenInByte = 54196
; TotalNumSgprs: 35
; NumVgprs: 128
; ScratchSize: 284
; MemoryBound: 0
	.section	.text._ZN4vllm25paged_attention_v1_kernelIthLi96ELi32ELi128ELNS_18Fp8KVCacheDataTypeE1ELb0EEEvPT_PKS2_PKT0_S8_ifPKiSA_iPKfiiiSC_SC_iiiii,"axG",@progbits,_ZN4vllm25paged_attention_v1_kernelIthLi96ELi32ELi128ELNS_18Fp8KVCacheDataTypeE1ELb0EEEvPT_PKS2_PKT0_S8_ifPKiSA_iPKfiiiSC_SC_iiiii,comdat
	.protected	_ZN4vllm25paged_attention_v1_kernelIthLi96ELi32ELi128ELNS_18Fp8KVCacheDataTypeE1ELb0EEEvPT_PKS2_PKT0_S8_ifPKiSA_iPKfiiiSC_SC_iiiii ; -- Begin function _ZN4vllm25paged_attention_v1_kernelIthLi96ELi32ELi128ELNS_18Fp8KVCacheDataTypeE1ELb0EEEvPT_PKS2_PKT0_S8_ifPKiSA_iPKfiiiSC_SC_iiiii
	.globl	_ZN4vllm25paged_attention_v1_kernelIthLi96ELi32ELi128ELNS_18Fp8KVCacheDataTypeE1ELb0EEEvPT_PKS2_PKT0_S8_ifPKiSA_iPKfiiiSC_SC_iiiii
	.p2align	8
	.type	_ZN4vllm25paged_attention_v1_kernelIthLi96ELi32ELi128ELNS_18Fp8KVCacheDataTypeE1ELb0EEEvPT_PKS2_PKT0_S8_ifPKiSA_iPKfiiiSC_SC_iiiii,@function
_ZN4vllm25paged_attention_v1_kernelIthLi96ELi32ELi128ELNS_18Fp8KVCacheDataTypeE1ELb0EEEvPT_PKS2_PKT0_S8_ifPKiSA_iPKfiiiSC_SC_iiiii: ; @_ZN4vllm25paged_attention_v1_kernelIthLi96ELi32ELi128ELNS_18Fp8KVCacheDataTypeE1ELb0EEEvPT_PKS2_PKT0_S8_ifPKiSA_iPKfiiiSC_SC_iiiii
; %bb.0:
	s_clause 0x5
	s_load_dwordx8 s[16:23], s[4:5], 0x0
	s_load_dwordx4 s[36:39], s[4:5], 0x20
	s_load_dwordx2 s[10:11], s[4:5], 0x30
	s_load_dword s13, s[4:5], 0x38
	s_load_dwordx2 s[34:35], s[4:5], 0x40
	s_load_dwordx8 s[24:31], s[4:5], 0x48
	s_add_u32 s0, s0, s9
	s_addc_u32 s1, s1, 0
	v_mov_b32_e32 v31, v0
	s_mov_b32 s14, s8
	s_add_u32 s8, s4, 0x80
	s_addc_u32 s9, s5, 0
	s_getpc_b64 s[4:5]
	s_add_u32 s4, s4, _ZN4vllm22paged_attention_kernelIthLi96ELi32ELi128ELNS_18Fp8KVCacheDataTypeE1ELb0ELi0EEEvPfS2_PT_PKS3_PKT0_S9_ifPKiSB_iPKfiiiSD_SD_iiiii@rel32@lo+4
	s_addc_u32 s5, s5, _ZN4vllm22paged_attention_kernelIthLi96ELi32ELi128ELNS_18Fp8KVCacheDataTypeE1ELb0ELi0EEEvPfS2_PT_PKS3_PKT0_S9_ifPKiSB_iPKfiiiSD_SD_iiiii@rel32@hi+12
	s_mov_b32 s12, s6
	s_mov_b32 s15, 48
	;; [unrolled: 1-line block ×3, first 2 shown]
	s_waitcnt lgkmcnt(0)
	v_mov_b32_e32 v0, s16
	v_mov_b32_e32 v1, s17
	;; [unrolled: 1-line block ×24, first 2 shown]
	s_mov_b32 s13, s7
	s_swappc_b64 s[30:31], s[4:5]
	s_endpgm
	.section	.rodata,"a",@progbits
	.p2align	6, 0x0
	.amdhsa_kernel _ZN4vllm25paged_attention_v1_kernelIthLi96ELi32ELi128ELNS_18Fp8KVCacheDataTypeE1ELb0EEEvPT_PKS2_PKT0_S8_ifPKiSA_iPKfiiiSC_SC_iiiii
		.amdhsa_group_segment_fixed_size 224
		.amdhsa_private_segment_fixed_size 284
		.amdhsa_kernarg_size 384
		.amdhsa_user_sgpr_count 6
		.amdhsa_user_sgpr_private_segment_buffer 1
		.amdhsa_user_sgpr_dispatch_ptr 0
		.amdhsa_user_sgpr_queue_ptr 0
		.amdhsa_user_sgpr_kernarg_segment_ptr 1
		.amdhsa_user_sgpr_dispatch_id 0
		.amdhsa_user_sgpr_flat_scratch_init 0
		.amdhsa_user_sgpr_private_segment_size 0
		.amdhsa_wavefront_size32 1
		.amdhsa_uses_dynamic_stack 0
		.amdhsa_system_sgpr_private_segment_wavefront_offset 1
		.amdhsa_system_sgpr_workgroup_id_x 1
		.amdhsa_system_sgpr_workgroup_id_y 1
		.amdhsa_system_sgpr_workgroup_id_z 1
		.amdhsa_system_sgpr_workgroup_info 0
		.amdhsa_system_vgpr_workitem_id 0
		.amdhsa_next_free_vgpr 128
		.amdhsa_next_free_sgpr 40
		.amdhsa_reserve_vcc 1
		.amdhsa_reserve_flat_scratch 0
		.amdhsa_float_round_mode_32 0
		.amdhsa_float_round_mode_16_64 0
		.amdhsa_float_denorm_mode_32 3
		.amdhsa_float_denorm_mode_16_64 3
		.amdhsa_dx10_clamp 1
		.amdhsa_ieee_mode 1
		.amdhsa_fp16_overflow 0
		.amdhsa_workgroup_processor_mode 1
		.amdhsa_memory_ordered 1
		.amdhsa_forward_progress 1
		.amdhsa_shared_vgpr_count 0
		.amdhsa_exception_fp_ieee_invalid_op 0
		.amdhsa_exception_fp_denorm_src 0
		.amdhsa_exception_fp_ieee_div_zero 0
		.amdhsa_exception_fp_ieee_overflow 0
		.amdhsa_exception_fp_ieee_underflow 0
		.amdhsa_exception_fp_ieee_inexact 0
		.amdhsa_exception_int_div_zero 0
	.end_amdhsa_kernel
	.section	.text._ZN4vllm25paged_attention_v1_kernelIthLi96ELi32ELi128ELNS_18Fp8KVCacheDataTypeE1ELb0EEEvPT_PKS2_PKT0_S8_ifPKiSA_iPKfiiiSC_SC_iiiii,"axG",@progbits,_ZN4vllm25paged_attention_v1_kernelIthLi96ELi32ELi128ELNS_18Fp8KVCacheDataTypeE1ELb0EEEvPT_PKS2_PKT0_S8_ifPKiSA_iPKfiiiSC_SC_iiiii,comdat
.Lfunc_end293:
	.size	_ZN4vllm25paged_attention_v1_kernelIthLi96ELi32ELi128ELNS_18Fp8KVCacheDataTypeE1ELb0EEEvPT_PKS2_PKT0_S8_ifPKiSA_iPKfiiiSC_SC_iiiii, .Lfunc_end293-_ZN4vllm25paged_attention_v1_kernelIthLi96ELi32ELi128ELNS_18Fp8KVCacheDataTypeE1ELb0EEEvPT_PKS2_PKT0_S8_ifPKiSA_iPKfiiiSC_SC_iiiii
                                        ; -- End function
	.set _ZN4vllm25paged_attention_v1_kernelIthLi96ELi32ELi128ELNS_18Fp8KVCacheDataTypeE1ELb0EEEvPT_PKS2_PKT0_S8_ifPKiSA_iPKfiiiSC_SC_iiiii.num_vgpr, max(32, .L_ZN4vllm22paged_attention_kernelIthLi96ELi32ELi128ELNS_18Fp8KVCacheDataTypeE1ELb0ELi0EEEvPfS2_PT_PKS3_PKT0_S9_ifPKiSB_iPKfiiiSD_SD_iiiii.num_vgpr)
	.set _ZN4vllm25paged_attention_v1_kernelIthLi96ELi32ELi128ELNS_18Fp8KVCacheDataTypeE1ELb0EEEvPT_PKS2_PKT0_S8_ifPKiSA_iPKfiiiSC_SC_iiiii.num_agpr, max(0, .L_ZN4vllm22paged_attention_kernelIthLi96ELi32ELi128ELNS_18Fp8KVCacheDataTypeE1ELb0ELi0EEEvPfS2_PT_PKS3_PKT0_S9_ifPKiSB_iPKfiiiSD_SD_iiiii.num_agpr)
	.set _ZN4vllm25paged_attention_v1_kernelIthLi96ELi32ELi128ELNS_18Fp8KVCacheDataTypeE1ELb0EEEvPT_PKS2_PKT0_S8_ifPKiSA_iPKfiiiSC_SC_iiiii.numbered_sgpr, max(40, .L_ZN4vllm22paged_attention_kernelIthLi96ELi32ELi128ELNS_18Fp8KVCacheDataTypeE1ELb0ELi0EEEvPfS2_PT_PKS3_PKT0_S9_ifPKiSB_iPKfiiiSD_SD_iiiii.numbered_sgpr)
	.set _ZN4vllm25paged_attention_v1_kernelIthLi96ELi32ELi128ELNS_18Fp8KVCacheDataTypeE1ELb0EEEvPT_PKS2_PKT0_S8_ifPKiSA_iPKfiiiSC_SC_iiiii.num_named_barrier, max(0, .L_ZN4vllm22paged_attention_kernelIthLi96ELi32ELi128ELNS_18Fp8KVCacheDataTypeE1ELb0ELi0EEEvPfS2_PT_PKS3_PKT0_S9_ifPKiSB_iPKfiiiSD_SD_iiiii.num_named_barrier)
	.set _ZN4vllm25paged_attention_v1_kernelIthLi96ELi32ELi128ELNS_18Fp8KVCacheDataTypeE1ELb0EEEvPT_PKS2_PKT0_S8_ifPKiSA_iPKfiiiSC_SC_iiiii.private_seg_size, 0+max(.L_ZN4vllm22paged_attention_kernelIthLi96ELi32ELi128ELNS_18Fp8KVCacheDataTypeE1ELb0ELi0EEEvPfS2_PT_PKS3_PKT0_S9_ifPKiSB_iPKfiiiSD_SD_iiiii.private_seg_size)
	.set _ZN4vllm25paged_attention_v1_kernelIthLi96ELi32ELi128ELNS_18Fp8KVCacheDataTypeE1ELb0EEEvPT_PKS2_PKT0_S8_ifPKiSA_iPKfiiiSC_SC_iiiii.uses_vcc, or(1, .L_ZN4vllm22paged_attention_kernelIthLi96ELi32ELi128ELNS_18Fp8KVCacheDataTypeE1ELb0ELi0EEEvPfS2_PT_PKS3_PKT0_S9_ifPKiSB_iPKfiiiSD_SD_iiiii.uses_vcc)
	.set _ZN4vllm25paged_attention_v1_kernelIthLi96ELi32ELi128ELNS_18Fp8KVCacheDataTypeE1ELb0EEEvPT_PKS2_PKT0_S8_ifPKiSA_iPKfiiiSC_SC_iiiii.uses_flat_scratch, or(0, .L_ZN4vllm22paged_attention_kernelIthLi96ELi32ELi128ELNS_18Fp8KVCacheDataTypeE1ELb0ELi0EEEvPfS2_PT_PKS3_PKT0_S9_ifPKiSB_iPKfiiiSD_SD_iiiii.uses_flat_scratch)
	.set _ZN4vllm25paged_attention_v1_kernelIthLi96ELi32ELi128ELNS_18Fp8KVCacheDataTypeE1ELb0EEEvPT_PKS2_PKT0_S8_ifPKiSA_iPKfiiiSC_SC_iiiii.has_dyn_sized_stack, or(0, .L_ZN4vllm22paged_attention_kernelIthLi96ELi32ELi128ELNS_18Fp8KVCacheDataTypeE1ELb0ELi0EEEvPfS2_PT_PKS3_PKT0_S9_ifPKiSB_iPKfiiiSD_SD_iiiii.has_dyn_sized_stack)
	.set _ZN4vllm25paged_attention_v1_kernelIthLi96ELi32ELi128ELNS_18Fp8KVCacheDataTypeE1ELb0EEEvPT_PKS2_PKT0_S8_ifPKiSA_iPKfiiiSC_SC_iiiii.has_recursion, or(0, .L_ZN4vllm22paged_attention_kernelIthLi96ELi32ELi128ELNS_18Fp8KVCacheDataTypeE1ELb0ELi0EEEvPfS2_PT_PKS3_PKT0_S9_ifPKiSB_iPKfiiiSD_SD_iiiii.has_recursion)
	.set _ZN4vllm25paged_attention_v1_kernelIthLi96ELi32ELi128ELNS_18Fp8KVCacheDataTypeE1ELb0EEEvPT_PKS2_PKT0_S8_ifPKiSA_iPKfiiiSC_SC_iiiii.has_indirect_call, or(0, .L_ZN4vllm22paged_attention_kernelIthLi96ELi32ELi128ELNS_18Fp8KVCacheDataTypeE1ELb0ELi0EEEvPfS2_PT_PKS3_PKT0_S9_ifPKiSB_iPKfiiiSD_SD_iiiii.has_indirect_call)
	.section	.AMDGPU.csdata,"",@progbits
; Kernel info:
; codeLenInByte = 224
; TotalNumSgprs: 42
; NumVgprs: 128
; ScratchSize: 284
; MemoryBound: 0
; FloatMode: 240
; IeeeMode: 1
; LDSByteSize: 224 bytes/workgroup (compile time only)
; SGPRBlocks: 0
; VGPRBlocks: 15
; NumSGPRsForWavesPerEU: 42
; NumVGPRsForWavesPerEU: 128
; Occupancy: 8
; WaveLimiterHint : 1
; COMPUTE_PGM_RSRC2:SCRATCH_EN: 1
; COMPUTE_PGM_RSRC2:USER_SGPR: 6
; COMPUTE_PGM_RSRC2:TRAP_HANDLER: 0
; COMPUTE_PGM_RSRC2:TGID_X_EN: 1
; COMPUTE_PGM_RSRC2:TGID_Y_EN: 1
; COMPUTE_PGM_RSRC2:TGID_Z_EN: 1
; COMPUTE_PGM_RSRC2:TIDIG_COMP_CNT: 0
	.text
	.p2align	2                               ; -- Begin function _ZN4vllm22paged_attention_kernelIthLi112ELi32ELi128ELNS_18Fp8KVCacheDataTypeE1ELb0ELi0EEEvPfS2_PT_PKS3_PKT0_S9_ifPKiSB_iPKfiiiSD_SD_iiiii
	.type	_ZN4vllm22paged_attention_kernelIthLi112ELi32ELi128ELNS_18Fp8KVCacheDataTypeE1ELb0ELi0EEEvPfS2_PT_PKS3_PKT0_S9_ifPKiSB_iPKfiiiSD_SD_iiiii,@function
_ZN4vllm22paged_attention_kernelIthLi112ELi32ELi128ELNS_18Fp8KVCacheDataTypeE1ELb0ELi0EEEvPfS2_PT_PKS3_PKT0_S9_ifPKiSB_iPKfiiiSD_SD_iiiii: ; @_ZN4vllm22paged_attention_kernelIthLi112ELi32ELi128ELNS_18Fp8KVCacheDataTypeE1ELb0ELi0EEEvPfS2_PT_PKS3_PKT0_S9_ifPKiSB_iPKfiiiSD_SD_iiiii
; %bb.0:
	s_waitcnt vmcnt(0) expcnt(0) lgkmcnt(0)
	buffer_store_dword v40, off, s[0:3], s32 offset:188 ; 4-byte Folded Spill
	buffer_store_dword v41, off, s[0:3], s32 offset:184 ; 4-byte Folded Spill
	buffer_store_dword v42, off, s[0:3], s32 offset:180 ; 4-byte Folded Spill
	buffer_store_dword v43, off, s[0:3], s32 offset:176 ; 4-byte Folded Spill
	buffer_store_dword v44, off, s[0:3], s32 offset:172 ; 4-byte Folded Spill
	buffer_store_dword v45, off, s[0:3], s32 offset:168 ; 4-byte Folded Spill
	buffer_store_dword v46, off, s[0:3], s32 offset:164 ; 4-byte Folded Spill
	buffer_store_dword v47, off, s[0:3], s32 offset:160 ; 4-byte Folded Spill
	buffer_store_dword v56, off, s[0:3], s32 offset:156 ; 4-byte Folded Spill
	buffer_store_dword v57, off, s[0:3], s32 offset:152 ; 4-byte Folded Spill
	buffer_store_dword v58, off, s[0:3], s32 offset:148 ; 4-byte Folded Spill
	buffer_store_dword v59, off, s[0:3], s32 offset:144 ; 4-byte Folded Spill
	buffer_store_dword v60, off, s[0:3], s32 offset:140 ; 4-byte Folded Spill
	buffer_store_dword v61, off, s[0:3], s32 offset:136 ; 4-byte Folded Spill
	buffer_store_dword v62, off, s[0:3], s32 offset:132 ; 4-byte Folded Spill
	buffer_store_dword v63, off, s[0:3], s32 offset:128 ; 4-byte Folded Spill
	buffer_store_dword v72, off, s[0:3], s32 offset:124 ; 4-byte Folded Spill
	buffer_store_dword v73, off, s[0:3], s32 offset:120 ; 4-byte Folded Spill
	buffer_store_dword v74, off, s[0:3], s32 offset:116 ; 4-byte Folded Spill
	buffer_store_dword v75, off, s[0:3], s32 offset:112 ; 4-byte Folded Spill
	buffer_store_dword v76, off, s[0:3], s32 offset:108 ; 4-byte Folded Spill
	buffer_store_dword v77, off, s[0:3], s32 offset:104 ; 4-byte Folded Spill
	buffer_store_dword v78, off, s[0:3], s32 offset:100 ; 4-byte Folded Spill
	buffer_store_dword v79, off, s[0:3], s32 offset:96 ; 4-byte Folded Spill
	buffer_store_dword v88, off, s[0:3], s32 offset:92 ; 4-byte Folded Spill
	buffer_store_dword v89, off, s[0:3], s32 offset:88 ; 4-byte Folded Spill
	buffer_store_dword v90, off, s[0:3], s32 offset:84 ; 4-byte Folded Spill
	buffer_store_dword v91, off, s[0:3], s32 offset:80 ; 4-byte Folded Spill
	buffer_store_dword v92, off, s[0:3], s32 offset:76 ; 4-byte Folded Spill
	buffer_store_dword v93, off, s[0:3], s32 offset:72 ; 4-byte Folded Spill
	buffer_store_dword v94, off, s[0:3], s32 offset:68 ; 4-byte Folded Spill
	buffer_store_dword v95, off, s[0:3], s32 offset:64 ; 4-byte Folded Spill
	buffer_store_dword v104, off, s[0:3], s32 offset:60 ; 4-byte Folded Spill
	buffer_store_dword v105, off, s[0:3], s32 offset:56 ; 4-byte Folded Spill
	buffer_store_dword v106, off, s[0:3], s32 offset:52 ; 4-byte Folded Spill
	buffer_store_dword v107, off, s[0:3], s32 offset:48 ; 4-byte Folded Spill
	buffer_store_dword v108, off, s[0:3], s32 offset:44 ; 4-byte Folded Spill
	buffer_store_dword v109, off, s[0:3], s32 offset:40 ; 4-byte Folded Spill
	buffer_store_dword v110, off, s[0:3], s32 offset:36 ; 4-byte Folded Spill
	buffer_store_dword v111, off, s[0:3], s32 offset:32 ; 4-byte Folded Spill
	buffer_store_dword v120, off, s[0:3], s32 offset:28 ; 4-byte Folded Spill
	buffer_store_dword v121, off, s[0:3], s32 offset:24 ; 4-byte Folded Spill
	buffer_store_dword v122, off, s[0:3], s32 offset:20 ; 4-byte Folded Spill
	buffer_store_dword v123, off, s[0:3], s32 offset:16 ; 4-byte Folded Spill
	buffer_store_dword v124, off, s[0:3], s32 offset:12 ; 4-byte Folded Spill
	buffer_store_dword v125, off, s[0:3], s32 offset:8 ; 4-byte Folded Spill
	buffer_store_dword v126, off, s[0:3], s32 offset:4 ; 4-byte Folded Spill
	buffer_store_dword v127, off, s[0:3], s32 ; 4-byte Folded Spill
	s_mov_b32 s10, s13
	s_ashr_i32 s11, s13, 31
	buffer_store_dword v20, off, s[0:3], s32 offset:248 ; 4-byte Folded Spill
	buffer_store_dword v21, off, s[0:3], s32 offset:252 ; 4-byte Folded Spill
	;; [unrolled: 1-line block ×10, first 2 shown]
	s_lshl_b64 s[4:5], s[10:11], 2
	s_mov_b32 s16, s15
	v_add_co_u32 v0, vcc_lo, v12, s4
	v_add_co_ci_u32_e64 v1, null, s5, v13, vcc_lo
	s_clause 0x1
	s_load_dword s4, s[8:9], 0x10
	s_load_dword s5, s[8:9], 0x0
	flat_load_dword v28, v[0:1]
	v_sub_nc_u32_e32 v0, 0, v8
	v_max_i32_e32 v0, v8, v0
	v_cvt_f32_u32_e32 v1, v0
	v_sub_nc_u32_e32 v6, 0, v0
	v_rcp_iflag_f32_e32 v1, v1
	s_waitcnt lgkmcnt(0)
	s_lshr_b32 s4, s4, 16
	s_cmp_lg_u32 s4, 0
	s_cselect_b32 s4, -1, 0
	s_cmp_lg_u32 s4, 0
	s_addc_u32 s11, s5, 0
	v_mul_f32_e32 v1, 0x4f7ffffe, v1
	s_abs_i32 s4, s11
	s_mov_b32 s5, exec_lo
	v_cvt_u32_f32_e32 v1, v1
	v_mul_lo_u32 v6, v6, v1
	v_mul_hi_u32 v6, v1, v6
	v_add_nc_u32_e32 v1, v1, v6
	v_mul_hi_u32 v1, s4, v1
	v_mul_lo_u32 v6, v1, v0
	v_add_nc_u32_e32 v7, 1, v1
	v_sub_nc_u32_e32 v6, s4, v6
	s_abs_i32 s4, s12
	v_sub_nc_u32_e32 v9, v6, v0
	v_cmp_ge_u32_e32 vcc_lo, v6, v0
	v_cndmask_b32_e32 v1, v1, v7, vcc_lo
	v_cndmask_b32_e32 v6, v6, v9, vcc_lo
	v_xor_b32_e32 v7, s11, v8
	v_add_nc_u32_e32 v8, 1, v1
	v_cmp_ge_u32_e32 vcc_lo, v6, v0
	v_ashrrev_i32_e32 v7, 31, v7
	v_cndmask_b32_e32 v0, v1, v8, vcc_lo
	v_xor_b32_e32 v0, v0, v7
	v_sub_nc_u32_e32 v1, v0, v7
	v_sub_nc_u32_e32 v0, 0, v1
	v_max_i32_e32 v0, v1, v0
	v_cvt_f32_u32_e32 v6, v0
	v_sub_nc_u32_e32 v7, 0, v0
	v_rcp_iflag_f32_e32 v6, v6
	v_mul_f32_e32 v6, 0x4f7ffffe, v6
	v_cvt_u32_f32_e32 v6, v6
	v_mul_lo_u32 v7, v7, v6
	v_mul_hi_u32 v7, v6, v7
	v_add_nc_u32_e32 v6, v6, v7
	v_mad_u64_u32 v[12:13], null, s4, v6, 0
	v_mov_b32_e32 v6, 0
	buffer_store_dword v6, off, s[0:3], s32 offset:244 ; 4-byte Folded Spill
	v_cmpx_ne_u64_e32 0, v[15:16]
	s_cbranch_execz .LBB294_2
; %bb.1:
	s_ashr_i32 s13, s12, 31
	s_lshl_b64 s[6:7], s[12:13], 2
	v_add_co_u32 v6, vcc_lo, v15, s6
	v_add_co_ci_u32_e64 v7, null, s7, v16, vcc_lo
	flat_load_dword v6, v[6:7]
	s_waitcnt vmcnt(0) lgkmcnt(0)
	buffer_store_dword v6, off, s[0:3], s32 offset:244 ; 4-byte Folded Spill
.LBB294_2:
	s_or_b32 exec_lo, exec_lo, s5
	v_and_b32_e32 v11, 0x3ff, v31
	v_ashrrev_i32_e32 v1, 31, v1
	s_ashr_i32 s5, s12, 31
	s_mulk_i32 s12, 0x70
	s_mov_b32 s6, exec_lo
	v_cmpx_gt_u32_e32 14, v11
	s_cbranch_execz .LBB294_4
; %bb.3:
	v_mul_lo_u32 v6, v17, s10
	s_ashr_i32 s13, s12, 31
	v_lshlrev_b32_e32 v10, 4, v11
	s_lshl_b64 s[18:19], s[12:13], 1
	v_ashrrev_i32_e32 v7, 31, v6
	v_lshlrev_b64 v[6:7], 1, v[6:7]
	v_add_co_u32 v2, vcc_lo, v2, v6
	v_add_co_ci_u32_e64 v3, null, v3, v7, vcc_lo
	v_add_co_u32 v2, vcc_lo, v2, s18
	v_add_co_ci_u32_e64 v3, null, s19, v3, vcc_lo
	;; [unrolled: 2-line block ×3, first 2 shown]
	flat_load_dwordx4 v[6:9], v[2:3]
	s_waitcnt vmcnt(0) lgkmcnt(0)
	ds_write_b128 v10, v[6:9]
.LBB294_4:
	s_or_b32 exec_lo, exec_lo, s6
	v_mul_lo_u32 v2, v13, v0
	v_add_nc_u32_e32 v3, 1, v13
	s_waitcnt vmcnt(0)
	v_add_nc_u32_e32 v7, 31, v28
	v_xor_b32_e32 v1, s5, v1
	s_clause 0x1
	s_load_dword s13, s[8:9], 0x14
	s_load_dword s8, s[8:9], 0x8
	v_mov_b32_e32 v8, 0xff7fffff
	s_mov_b32 s9, exec_lo
	v_sub_nc_u32_e32 v2, s4, v2
	v_sub_nc_u32_e32 v6, v2, v0
	v_cmp_ge_u32_e32 vcc_lo, v2, v0
	v_cndmask_b32_e32 v3, v13, v3, vcc_lo
	v_cndmask_b32_e32 v2, v2, v6, vcc_lo
	v_add_nc_u32_e32 v6, 1, v3
	v_cmp_ge_u32_e32 vcc_lo, v2, v0
	v_mul_lo_u32 v0, v14, s10
	v_cndmask_b32_e32 v2, v3, v6, vcc_lo
	v_ashrrev_i32_e32 v3, 31, v7
	v_lshrrev_b32_e32 v6, 5, v11
	v_xor_b32_e32 v2, v2, v1
	v_lshrrev_b32_e32 v3, 27, v3
	v_sub_nc_u32_e32 v2, v2, v1
	v_ashrrev_i32_e32 v1, 31, v0
	v_add_nc_u32_e32 v3, v7, v3
	v_mul_lo_u32 v7, v2, v19
	v_lshlrev_b64 v[0:1], 2, v[0:1]
	v_ashrrev_i32_e32 v73, 5, v3
	v_lshrrev_b32_e32 v3, 3, v11
	v_and_b32_e32 v2, 31, v11
	v_cmp_ge_i32_e64 s4, v6, v73
	buffer_store_dword v3, off, s[0:3], s32 offset:296 ; 4-byte Folded Spill
	buffer_store_dword v0, off, s[0:3], s32 offset:288 ; 4-byte Folded Spill
	;; [unrolled: 1-line block ×3, first 2 shown]
	v_ashrrev_i32_e32 v0, 31, v7
	v_lshlrev_b32_e32 v10, 2, v2
	buffer_store_dword v6, off, s[0:3], s32 offset:276 ; 4-byte Folded Spill
	buffer_store_dword v7, off, s[0:3], s32 offset:300 ; 4-byte Folded Spill
	buffer_store_dword v0, off, s[0:3], s32 offset:304 ; 4-byte Folded Spill
	buffer_store_dword v2, off, s[0:3], s32 offset:272 ; 4-byte Folded Spill
	s_waitcnt lgkmcnt(0)
	s_waitcnt_vscnt null, 0x0
	s_barrier
	buffer_gl0_inv
	v_cmpx_lt_i32_e64 v6, v73
	s_cbranch_execz .LBB294_904
; %bb.5:
	s_clause 0x4
	buffer_load_dword v1, off, s[0:3], s32 offset:300
	buffer_load_dword v2, off, s[0:3], s32 offset:304
	buffer_load_dword v3, off, s[0:3], s32 offset:296
	buffer_load_dword v6, off, s[0:3], s32 offset:272
	buffer_load_dword v127, off, s[0:3], s32 offset:276
	s_getpc_b64 s[6:7]
	s_add_u32 s6, s6, llvm.amdgcn.dynlds.offset.table@rel32@lo+4
	s_addc_u32 s7, s7, llvm.amdgcn.dynlds.offset.table@rel32@hi+12
	s_ashr_i32 s17, s16, 31
	buffer_store_dword v11, off, s[0:3], s32 offset:324 ; 4-byte Folded Spill
	s_lshl_b64 s[18:19], s[16:17], 2
	buffer_store_dword v10, off, s[0:3], s32 offset:328 ; 4-byte Folded Spill
	s_add_u32 s6, s6, s18
	s_addc_u32 s7, s7, s19
	v_mov_b32_e32 v37, 0x80
	s_load_dword s6, s[6:7], 0x0
	s_mov_b32 s15, 0
	s_waitcnt vmcnt(4)
	v_add_co_u32 v1, vcc_lo, v4, v1
	s_clause 0x2
	buffer_load_dword v4, off, s[0:3], s32 offset:244
	buffer_load_dword v8, off, s[0:3], s32 offset:288
	;; [unrolled: 1-line block ×3, first 2 shown]
	s_waitcnt vmcnt(5)
	v_and_b32_e32 v3, 0x7c, v3
	s_waitcnt vmcnt(4)
	v_lshlrev_b32_e32 v0, 4, v6
	v_add_co_ci_u32_e64 v2, null, v5, v2, vcc_lo
	s_waitcnt vmcnt(3)
	v_lshl_or_b32 v74, v127, 5, v6
	v_mov_b32_e32 v5, 0
	s_waitcnt vmcnt(1)
	v_add_co_u32 v3, s5, v3, v8
	s_waitcnt vmcnt(0)
	v_add_co_ci_u32_e64 v6, null, 0, v9, s5
	v_add_co_u32 v0, s5, v1, v0
	v_add_co_ci_u32_e64 v1, null, 0, v2, s5
	buffer_store_dword v0, off, s[0:3], s32 offset:264 ; 4-byte Folded Spill
	buffer_store_dword v1, off, s[0:3], s32 offset:268 ; 4-byte Folded Spill
	buffer_load_dword v0, off, s[0:3], s32 offset:284 ; 4-byte Folded Reload
	v_cmp_neq_f32_e32 vcc_lo, 0, v4
	v_lshl_or_b32 v4, v127, 7, v10
	v_mov_b32_e32 v8, 0xff7fffff
	buffer_store_dword v73, off, s[0:3], s32 offset:260 ; 4-byte Folded Spill
	s_waitcnt lgkmcnt(0)
	v_add_nc_u32_e32 v16, s6, v4
	s_mov_b32 s6, -1
	s_mov_b32 s7, 0xffffff
	s_waitcnt vmcnt(0)
	v_add_co_u32 v14, s5, v0, v3
	buffer_load_dword v0, off, s[0:3], s32 offset:280 ; 4-byte Folded Reload
	s_waitcnt vmcnt(0)
	v_add_co_ci_u32_e64 v15, null, v0, v6, s5
	s_branch .LBB294_10
.LBB294_6:                              ;   in Loop: Header=BB294_10 Depth=1
	s_or_b32 exec_lo, exec_lo, s20
	v_lshlrev_b32_e32 v4, 8, v4
	v_lshl_add_u32 v17, v17, 10, 0x2000
	v_lshlrev_b32_e32 v16, 23, v16
	v_and_or_b32 v4, 0x8000, v4, v17
	v_lshl_or_b32 v34, v4, 16, v16
.LBB294_7:                              ;   in Loop: Header=BB294_10 Depth=1
	s_or_b32 exec_lo, exec_lo, s19
.LBB294_8:                              ;   in Loop: Header=BB294_10 Depth=1
	s_or_b32 exec_lo, exec_lo, s18
	v_mov_b32_e32 v16, v75
	v_mov_b32_e32 v127, v126
.LBB294_9:                              ;   in Loop: Header=BB294_10 Depth=1
	s_or_b32 exec_lo, exec_lo, s17
	v_or_b32_e32 v4, v72, v62
	v_fma_mixlo_f16 v17, v50, v72, 0 op_sel:[0,1,0] op_sel_hi:[0,1,0]
	v_or_b32_e32 v0, v2, v0
	v_fma_mixlo_f16 v35, v50, v7, 0 op_sel:[0,1,0] op_sel_hi:[0,1,0]
	v_fma_mixlo_f16 v72, v50, v27, 0 op_sel:[0,1,0] op_sel_hi:[0,1,0]
	v_fma_mixlo_f16 v4, v50, v4, 0 op_sel_hi:[0,1,0]
	buffer_store_dword v17, off, s[0:3], s32 offset:228 ; 4-byte Folded Spill
	v_fma_mixlo_f16 v17, v50, v59, 0 op_sel:[0,1,0] op_sel_hi:[0,1,0]
	v_cmp_lt_i32_e64 s5, v74, v28
	v_add_nc_u32_e32 v127, 4, v127
	buffer_store_dword v4, off, s[0:3], s32 offset:232 ; 4-byte Folded Spill
	v_or_b32_e32 v4, v59, v58
	buffer_store_dword v17, off, s[0:3], s32 offset:236 ; 4-byte Folded Spill
	v_fma_mixlo_f16 v17, v50, v106, 0 op_sel:[0,1,0] op_sel_hi:[0,1,0]
	v_fma_mixlo_f16 v59, v50, v29, 0 op_sel:[0,1,0] op_sel_hi:[0,1,0]
	;; [unrolled: 1-line block ×3, first 2 shown]
	v_fma_mixlo_f16 v4, v50, v4, 0 op_sel_hi:[0,1,0]
	buffer_store_dword v17, off, s[0:3], s32 offset:220 ; 4-byte Folded Spill
	v_fma_mixlo_f16 v17, v50, v0, 0 op_sel_hi:[0,1,0]
	v_or_b32_e32 v0, v10, v8
	buffer_store_dword v4, off, s[0:3], s32 offset:240 ; 4-byte Folded Spill
	v_or_b32_e32 v4, v106, v63
	v_fma_mixlo_f16 v106, v50, v79, 0 op_sel:[0,1,0] op_sel_hi:[0,1,0]
	v_fma_mixlo_f16 v8, v50, v0, 0 op_sel_hi:[0,1,0]
	v_or_b32_e32 v0, v29, v21
	v_fma_mixlo_f16 v4, v50, v4, 0 op_sel_hi:[0,1,0]
	v_fma_mixlo_f16 v21, v50, v1, 0 op_sel:[0,1,0] op_sel_hi:[0,1,0]
	v_fma_mixlo_f16 v63, v50, v0, 0 op_sel_hi:[0,1,0]
	buffer_store_dword v4, off, s[0:3], s32 offset:224 ; 4-byte Folded Spill
	v_or_b32_e32 v4, v107, v105
	v_or_b32_e32 v0, v12, v30
	v_fma_mixlo_f16 v30, v50, v12, 0 op_sel:[0,1,0] op_sel_hi:[0,1,0]
	v_fma_mixlo_f16 v12, v50, v13, 0 op_sel:[0,1,0] op_sel_hi:[0,1,0]
	v_fma_mixlo_f16 v4, v50, v4, 0 op_sel_hi:[0,1,0]
	buffer_store_dword v4, off, s[0:3], s32 offset:216 ; 4-byte Folded Spill
	v_fma_mixlo_f16 v4, v50, v107, 0 op_sel:[0,1,0] op_sel_hi:[0,1,0]
	buffer_store_dword v4, off, s[0:3], s32 offset:212 ; 4-byte Folded Spill
	v_or_b32_e32 v4, v104, v92
	v_fma_mixlo_f16 v92, v50, v124, 0 op_sel:[0,1,0] op_sel_hi:[0,1,0]
	v_fma_mixlo_f16 v104, v50, v104, 0 op_sel:[0,1,0] op_sel_hi:[0,1,0]
	v_fma_mixlo_f16 v105, v50, v4, 0 op_sel_hi:[0,1,0]
	v_or_b32_e32 v4, v79, v78
	v_fma_mixlo_f16 v78, v50, v125, 0 op_sel:[0,1,0] op_sel_hi:[0,1,0]
	v_fma_mixlo_f16 v107, v50, v4, 0 op_sel_hi:[0,1,0]
	v_or_b32_e32 v4, v124, v93
	;; [unrolled: 3-line block ×3, first 2 shown]
	v_fma_mixlo_f16 v79, v50, v4, 0 op_sel_hi:[0,1,0]
	v_or_b32_e32 v4, v108, v31
	v_fma_mixlo_f16 v108, v50, v20, 0 op_sel:[0,1,0] op_sel_hi:[0,1,0]
	v_fma_mixlo_f16 v31, v50, v9, 0 op_sel:[0,1,0] op_sel_hi:[0,1,0]
	v_fma_mixlo_f16 v125, v50, v4, 0 op_sel_hi:[0,1,0]
	v_or_b32_e32 v4, v27, v19
	v_fma_mixlo_f16 v27, v50, v2, 0 op_sel:[0,1,0] op_sel_hi:[0,1,0]
	v_fma_mixlo_f16 v2, v50, v51, 0 op_sel:[0,1,0] op_sel_hi:[0,1,0]
	v_fma_mixlo_f16 v62, v50, v4, 0 op_sel_hi:[0,1,0]
	v_or_b32_e32 v4, v120, v33
	v_fma_mixlo_f16 v33, v50, v0, 0 op_sel_hi:[0,1,0]
	v_or_b32_e32 v0, v3, v11
	buffer_store_dword v2, off, s[0:3], s32 offset:208 ; 4-byte Folded Spill
	v_fma_mixlo_f16 v2, v50, v54, 0 op_sel:[0,1,0] op_sel_hi:[0,1,0]
	v_fma_mixlo_f16 v121, v50, v4, 0 op_sel_hi:[0,1,0]
	v_or_b32_e32 v4, v20, v109
	v_fma_mixlo_f16 v29, v50, v0, 0 op_sel_hi:[0,1,0]
	v_or_b32_e32 v0, v13, v26
	v_fma_mixlo_f16 v20, v50, v113, 0 op_sel:[0,1,0] op_sel_hi:[0,1,0]
	v_fma_mixlo_f16 v120, v50, v120, 0 op_sel:[0,1,0] op_sel_hi:[0,1,0]
	v_fma_mixlo_f16 v109, v50, v4, 0 op_sel_hi:[0,1,0]
	v_or_b32_e32 v4, v9, v6
	v_fma_mixlo_f16 v13, v50, v0, 0 op_sel_hi:[0,1,0]
	v_or_b32_e32 v0, v39, v18
	v_fma_mixlo_f16 v6, v50, v39, 0 op_sel:[0,1,0] op_sel_hi:[0,1,0]
	v_fma_mixlo_f16 v39, v50, v123, 0 op_sel:[0,1,0] op_sel_hi:[0,1,0]
	;; [unrolled: 1-line block ×3, first 2 shown]
	v_fma_mixlo_f16 v19, v50, v4, 0 op_sel_hi:[0,1,0]
	v_fma_mixlo_f16 v11, v50, v0, 0 op_sel_hi:[0,1,0]
	v_or_b32_e32 v0, v123, v111
	v_and_b32_e32 v20, 0xffff, v20
	v_and_b32_e32 v9, 0xffff, v9
	v_fma_mixlo_f16 v111, v50, v0, 0 op_sel_hi:[0,1,0]
	v_or_b32_e32 v0, v110, v95
	v_fma_mixlo_f16 v95, v50, v110, 0 op_sel:[0,1,0] op_sel_hi:[0,1,0]
	v_fma_mixlo_f16 v110, v50, v0, 0 op_sel_hi:[0,1,0]
	v_or_b32_e32 v0, v1, v122
	v_fma_mixlo_f16 v122, v50, v76, 0 op_sel:[0,1,0] op_sel_hi:[0,1,0]
	buffer_load_dword v1, off, s[0:3], s32 offset:244 ; 4-byte Folded Reload
	v_fma_mixlo_f16 v26, v50, v0, 0 op_sel_hi:[0,1,0]
	v_or_b32_e32 v0, v7, v32
	v_fma_mixlo_f16 v7, v50, v94, 0 op_sel:[0,1,0] op_sel_hi:[0,1,0]
	v_fma_mixlo_f16 v18, v50, v0, 0 op_sel_hi:[0,1,0]
	v_or_b32_e32 v0, v89, v77
	v_fma_mixlo_f16 v77, v50, v89, 0 op_sel:[0,1,0] op_sel_hi:[0,1,0]
	;; [unrolled: 3-line block ×3, first 2 shown]
	v_fma_mixlo_f16 v123, v50, v0, 0 op_sel_hi:[0,1,0]
	v_or_b32_e32 v0, v91, v88
	v_fma_mixlo_f16 v76, v50, v0, 0 op_sel_hi:[0,1,0]
	v_or_b32_e32 v0, v94, v90
	v_fma_mixlo_f16 v90, v50, v44, 0 op_sel:[0,1,0] op_sel_hi:[0,1,0]
	v_fma_mixlo_f16 v32, v50, v0, 0 op_sel_hi:[0,1,0]
	v_or_b32_e32 v0, v47, v45
	v_fma_mixlo_f16 v45, v50, v57, 0 op_sel:[0,1,0] op_sel_hi:[0,1,0]
	v_fma_mixlo_f16 v47, v50, v47, 0 op_sel:[0,1,0] op_sel_hi:[0,1,0]
	v_fma_mixlo_f16 v88, v50, v0, 0 op_sel_hi:[0,1,0]
	v_or_b32_e32 v0, v44, v43
	v_fma_mixlo_f16 v43, v50, v60, 0 op_sel:[0,1,0] op_sel_hi:[0,1,0]
	v_fma_mixlo_f16 v91, v50, v0, 0 op_sel_hi:[0,1,0]
	v_or_b32_e32 v0, v57, v46
	;; [unrolled: 3-line block ×3, first 2 shown]
	v_fma_mixlo_f16 v44, v50, v0, 0 op_sel_hi:[0,1,0]
	v_or_b32_e32 v0, v119, v117
	v_fma_mixlo_f16 v117, v50, v41, 0 op_sel:[0,1,0] op_sel_hi:[0,1,0]
	v_fma_mixlo_f16 v119, v50, v119, 0 op_sel:[0,1,0] op_sel_hi:[0,1,0]
	v_fma_mixlo_f16 v56, v50, v0, 0 op_sel_hi:[0,1,0]
	v_or_b32_e32 v0, v116, v115
	v_fma_mixlo_f16 v115, v50, v42, 0 op_sel:[0,1,0] op_sel_hi:[0,1,0]
	v_fma_mixlo_f16 v60, v50, v0, 0 op_sel_hi:[0,1,0]
	v_or_b32_e32 v0, v41, v118
	;; [unrolled: 3-line block ×3, first 2 shown]
	v_fma_mixlo_f16 v116, v50, v0, 0 op_sel_hi:[0,1,0]
	v_or_b32_e32 v0, v103, v101
	v_fma_mixlo_f16 v103, v50, v103, 0 op_sel:[0,1,0] op_sel_hi:[0,1,0]
	v_fma_mixlo_f16 v40, v50, v0, 0 op_sel_hi:[0,1,0]
	v_or_b32_e32 v0, v100, v99
	v_fma_mixlo_f16 v99, v50, v114, 0 op_sel:[0,1,0] op_sel_hi:[0,1,0]
	v_fma_mixlo_f16 v42, v50, v0, 0 op_sel_hi:[0,1,0]
	v_or_b32_e32 v0, v113, v102
	v_fma_mixlo_f16 v101, v50, v0, 0 op_sel_hi:[0,1,0]
	v_or_b32_e32 v0, v114, v112
	v_fma_mixlo_f16 v112, v50, v84, 0 op_sel:[0,1,0] op_sel_hi:[0,1,0]
	v_fma_mixlo_f16 v114, v50, v36, 0 op_sel:[0,1,0] op_sel_hi:[0,1,0]
	v_fma_mixlo_f16 v100, v50, v0, 0 op_sel_hi:[0,1,0]
	v_or_b32_e32 v0, v87, v85
	v_fma_mixlo_f16 v85, v50, v97, 0 op_sel:[0,1,0] op_sel_hi:[0,1,0]
	v_fma_mixlo_f16 v87, v50, v87, 0 op_sel:[0,1,0] op_sel_hi:[0,1,0]
	v_fma_mixlo_f16 v102, v50, v0, 0 op_sel_hi:[0,1,0]
	v_or_b32_e32 v0, v84, v83
	v_fma_mixlo_f16 v83, v50, v98, 0 op_sel:[0,1,0] op_sel_hi:[0,1,0]
	v_fma_mixlo_f16 v113, v50, v0, 0 op_sel_hi:[0,1,0]
	v_or_b32_e32 v0, v97, v86
	;; [unrolled: 3-line block ×3, first 2 shown]
	v_fma_mixlo_f16 v84, v50, v0, 0 op_sel_hi:[0,1,0]
	v_or_b32_e32 v0, v71, v69
	v_fma_mixlo_f16 v71, v50, v71, 0 op_sel:[0,1,0] op_sel_hi:[0,1,0]
	v_fma_mixlo_f16 v96, v50, v0, 0 op_sel_hi:[0,1,0]
	v_or_b32_e32 v0, v68, v67
	v_fma_mixlo_f16 v68, v50, v82, 0 op_sel:[0,1,0] op_sel_hi:[0,1,0]
	v_fma_mixlo_f16 v67, v50, v81, 0 op_sel:[0,1,0] op_sel_hi:[0,1,0]
	v_fma_mixlo_f16 v98, v50, v0, 0 op_sel_hi:[0,1,0]
	v_or_b32_e32 v0, v81, v70
	v_fma_mixlo_f16 v81, v50, v55, 0 op_sel:[0,1,0] op_sel_hi:[0,1,0]
	v_fma_mixlo_f16 v70, v50, v0, 0 op_sel_hi:[0,1,0]
	v_or_b32_e32 v0, v82, v80
	v_fma_mixlo_f16 v69, v50, v0, 0 op_sel_hi:[0,1,0]
	buffer_load_dword v0, off, s[0:3], s32 offset:192 ; 4-byte Folded Reload
	s_waitcnt vmcnt(0)
	v_or_b32_e32 v0, v55, v0
	v_fma_mixlo_f16 v55, v50, v66, 0 op_sel:[0,1,0] op_sel_hi:[0,1,0]
	v_fma_mixlo_f16 v82, v50, v0, 0 op_sel_hi:[0,1,0]
	v_or_b32_e32 v0, v36, v52
	v_fma_mixlo_f16 v94, v50, v0, 0 op_sel_hi:[0,1,0]
	buffer_load_dword v0, off, s[0:3], s32 offset:196 ; 4-byte Folded Reload
	buffer_store_dword v2, off, s[0:3], s32 offset:196 ; 4-byte Folded Spill
	s_waitcnt vmcnt(0)
	v_or_b32_e32 v0, v65, v0
	v_fma_mixlo_f16 v65, v50, v65, 0 op_sel:[0,1,0] op_sel_hi:[0,1,0]
	v_fma_mixlo_f16 v80, v50, v0, 0 op_sel_hi:[0,1,0]
	v_or_b32_e32 v0, v66, v64
	v_fma_mixlo_f16 v64, v50, v0, 0 op_sel_hi:[0,1,0]
	v_sub_nc_u32_e32 v0, 1, v28
	v_add_nc_u32_e32 v0, v0, v74
	v_add_nc_u32_e32 v74, 0x80, v74
	v_cvt_f32_i32_e32 v0, v0
	v_mul_f32_e32 v0, v1, v0
	v_or_b32_e32 v1, v51, v48
	v_cndmask_b32_e32 v10, 0, v0, vcc_lo
	v_fma_mixlo_f16 v51, v50, v1, 0 op_sel_hi:[0,1,0]
	v_or_b32_e32 v1, v25, v24
	v_fma_mixlo_f16 v25, v50, v25, 0 op_sel:[0,1,0] op_sel_hi:[0,1,0]
	v_fma_mixlo_f16 v24, v50, v1, 0 op_sel_hi:[0,1,0]
	v_or_b32_e32 v1, v54, v38
	v_fma_mixlo_f16 v54, v50, v1, 0 op_sel_hi:[0,1,0]
	v_or_b32_e32 v1, v34, v53
	v_fma_mixlo_f16 v53, v50, v1, 0 op_sel_hi:[0,1,0]
	v_fma_mixlo_f16 v1, v50, v34, 0 op_sel:[0,1,0] op_sel_hi:[0,1,0]
	buffer_store_dword v1, off, s[0:3], s32 offset:192 ; 4-byte Folded Spill
	ds_read_b128 v[0:3], v5
	s_waitcnt lgkmcnt(0)
	v_lshrrev_b32_e32 v34, 16, v0
	v_and_b32_e32 v0, 0xffff, v0
	;;#ASMSTART
	v_cvt_f32_f16 v49, v0;
	;;#ASMEND
	v_and_b32_e32 v0, 0xffff, v94
	;;#ASMSTART
	v_cvt_f32_f16 v52, v34;
	;;#ASMEND
	;;#ASMSTART
	v_cvt_f32_f16 v34, v0;
	;;#ASMEND
	v_and_b32_e32 v0, 0xffff, v114
	;;#ASMSTART
	v_cvt_f32_f16 v126, v0;
	;;#ASMEND
	v_lshrrev_b32_e32 v0, 16, v1
	v_and_b32_e32 v1, 0xffff, v1
	;;#ASMSTART
	v_cvt_f32_f16 v73, v1;
	;;#ASMEND
	;;#ASMSTART
	v_cvt_f32_f16 v36, v0;
	;;#ASMEND
	v_and_b32_e32 v0, 0xffff, v82
	;;#ASMSTART
	v_cvt_f32_f16 v4, v0;
	;;#ASMEND
	v_and_b32_e32 v0, 0xffff, v81
	;;#ASMSTART
	v_cvt_f32_f16 v75, v0;
	;;#ASMEND
	v_lshrrev_b32_e32 v0, 16, v2
	v_and_b32_e32 v1, 0xffff, v2
	;;#ASMSTART
	v_cvt_f32_f16 v66, v1;
	;;#ASMEND
	;;#ASMSTART
	v_cvt_f32_f16 v82, v0;
	;;#ASMEND
	v_and_b32_e32 v0, 0xffff, v80
	;; [unrolled: 16-line block ×3, first 2 shown]
	;;#ASMSTART
	v_cvt_f32_f16 v80, v0;
	;;#ASMEND
	v_and_b32_e32 v0, 0xffff, v55
	;;#ASMSTART
	v_cvt_f32_f16 v81, v0;
	;;#ASMEND
	ds_read_b128 v[0:3], v5 offset:16
	v_and_b32_e32 v64, 0xffff, v97
	s_waitcnt lgkmcnt(0)
	v_lshrrev_b32_e32 v50, 16, v0
	v_and_b32_e32 v0, 0xffff, v0
	;;#ASMSTART
	v_cvt_f32_f16 v0, v0;
	;;#ASMEND
	;;#ASMSTART
	v_cvt_f32_f16 v55, v50;
	;;#ASMEND
	v_and_b32_e32 v50, 0xffff, v98
	;;#ASMSTART
	v_cvt_f32_f16 v50, v50;
	;;#ASMEND
	v_mul_f32_e32 v50, v0, v50
	v_and_b32_e32 v0, 0xffff, v1
	;;#ASMSTART
	v_cvt_f32_f16 v64, v64;
	;;#ASMEND
	;;#ASMSTART
	v_cvt_f32_f16 v0, v0;
	;;#ASMEND
	v_mul_f32_e32 v55, v55, v64
	v_fmac_f32_e32 v50, v49, v34
	v_lshrrev_b32_e32 v34, 16, v1
	;;#ASMSTART
	v_cvt_f32_f16 v1, v34;
	;;#ASMEND
	v_and_b32_e32 v34, 0xffff, v96
	v_and_b32_e32 v49, 0xffff, v71
	;;#ASMSTART
	v_cvt_f32_f16 v34, v34;
	;;#ASMEND
	;;#ASMSTART
	v_cvt_f32_f16 v49, v49;
	;;#ASMEND
	v_mul_f32_e32 v65, v0, v34
	v_mul_f32_e32 v64, v1, v49
	v_lshrrev_b32_e32 v1, 16, v2
	v_and_b32_e32 v0, 0xffff, v2
	v_and_b32_e32 v2, 0xffff, v70
	;;#ASMSTART
	v_cvt_f32_f16 v0, v0;
	;;#ASMEND
	;;#ASMSTART
	v_cvt_f32_f16 v1, v1;
	;;#ASMEND
	;; [unrolled: 3-line block ×3, first 2 shown]
	v_and_b32_e32 v34, 0xffff, v67
	v_mul_f32_e32 v67, v0, v2
	;;#ASMSTART
	v_cvt_f32_f16 v34, v34;
	;;#ASMEND
	v_and_b32_e32 v0, 0xffff, v3
	v_and_b32_e32 v2, 0xffff, v69
	;;#ASMSTART
	v_cvt_f32_f16 v0, v0;
	;;#ASMEND
	v_fmac_f32_e32 v67, v66, v114
	v_mul_f32_e32 v66, v1, v34
	v_lshrrev_b32_e32 v1, 16, v3
	v_and_b32_e32 v3, 0xffff, v68
	;;#ASMSTART
	v_cvt_f32_f16 v1, v1;
	;;#ASMEND
	;;#ASMSTART
	v_cvt_f32_f16 v2, v2;
	;;#ASMEND
	;; [unrolled: 3-line block ×3, first 2 shown]
	v_mul_f32_e32 v69, v0, v2
	v_mul_f32_e32 v68, v1, v3
	ds_read_b128 v[0:3], v5 offset:32
	v_fmac_f32_e32 v55, v52, v126
	v_fmac_f32_e32 v65, v73, v4
	;; [unrolled: 1-line block ×5, first 2 shown]
	v_and_b32_e32 v36, 0xffff, v113
	v_and_b32_e32 v38, 0xffff, v112
	v_fmac_f32_e32 v69, v48, v80
	s_waitcnt lgkmcnt(0)
	v_lshrrev_b32_e32 v34, 16, v0
	v_and_b32_e32 v0, 0xffff, v0
	;;#ASMSTART
	v_cvt_f32_f16 v0, v0;
	;;#ASMEND
	;;#ASMSTART
	v_cvt_f32_f16 v34, v34;
	;;#ASMEND
	;; [unrolled: 3-line block ×4, first 2 shown]
	v_fmac_f32_e32 v50, v0, v36
	v_fmac_f32_e32 v55, v34, v38
	v_lshrrev_b32_e32 v34, 16, v1
	v_and_b32_e32 v0, 0xffff, v1
	;;#ASMSTART
	v_cvt_f32_f16 v0, v0;
	;;#ASMEND
	;;#ASMSTART
	v_cvt_f32_f16 v1, v34;
	;;#ASMEND
	v_and_b32_e32 v34, 0xffff, v102
	v_and_b32_e32 v36, 0xffff, v87
	;;#ASMSTART
	v_cvt_f32_f16 v34, v34;
	;;#ASMEND
	;;#ASMSTART
	v_cvt_f32_f16 v36, v36;
	;;#ASMEND
	v_fmac_f32_e32 v65, v0, v34
	v_fmac_f32_e32 v64, v1, v36
	v_lshrrev_b32_e32 v1, 16, v2
	v_and_b32_e32 v0, 0xffff, v2
	v_and_b32_e32 v2, 0xffff, v86
	;;#ASMSTART
	v_cvt_f32_f16 v0, v0;
	;;#ASMEND
	;;#ASMSTART
	v_cvt_f32_f16 v1, v1;
	;;#ASMEND
	;; [unrolled: 3-line block ×3, first 2 shown]
	v_and_b32_e32 v34, 0xffff, v85
	;;#ASMSTART
	v_cvt_f32_f16 v34, v34;
	;;#ASMEND
	v_fmac_f32_e32 v67, v0, v2
	v_fmac_f32_e32 v66, v1, v34
	v_lshrrev_b32_e32 v1, 16, v3
	v_and_b32_e32 v0, 0xffff, v3
	v_and_b32_e32 v2, 0xffff, v84
	;; [unrolled: 1-line block ×3, first 2 shown]
	;;#ASMSTART
	v_cvt_f32_f16 v0, v0;
	;;#ASMEND
	;;#ASMSTART
	v_cvt_f32_f16 v1, v1;
	;;#ASMEND
	;; [unrolled: 3-line block ×4, first 2 shown]
	v_fmac_f32_e32 v69, v0, v2
	v_fmac_f32_e32 v68, v1, v3
	ds_read_b128 v[0:3], v5 offset:48
	v_and_b32_e32 v36, 0xffff, v42
	v_and_b32_e32 v38, 0xffff, v41
	s_waitcnt lgkmcnt(0)
	v_lshrrev_b32_e32 v34, 16, v0
	v_and_b32_e32 v0, 0xffff, v0
	;;#ASMSTART
	v_cvt_f32_f16 v0, v0;
	;;#ASMEND
	;;#ASMSTART
	v_cvt_f32_f16 v34, v34;
	;;#ASMEND
	;;#ASMSTART
	v_cvt_f32_f16 v36, v36;
	;;#ASMEND
	;;#ASMSTART
	v_cvt_f32_f16 v38, v38;
	;;#ASMEND
	v_fmac_f32_e32 v50, v0, v36
	v_fmac_f32_e32 v55, v34, v38
	v_lshrrev_b32_e32 v34, 16, v1
	v_and_b32_e32 v0, 0xffff, v1
	;;#ASMSTART
	v_cvt_f32_f16 v0, v0;
	;;#ASMEND
	;;#ASMSTART
	v_cvt_f32_f16 v1, v34;
	;;#ASMEND
	v_and_b32_e32 v34, 0xffff, v40
	v_and_b32_e32 v36, 0xffff, v103
	;;#ASMSTART
	v_cvt_f32_f16 v34, v34;
	;;#ASMEND
	;;#ASMSTART
	v_cvt_f32_f16 v36, v36;
	;;#ASMEND
	v_fmac_f32_e32 v65, v0, v34
	v_fmac_f32_e32 v64, v1, v36
	v_lshrrev_b32_e32 v1, 16, v2
	v_and_b32_e32 v0, 0xffff, v2
	v_and_b32_e32 v2, 0xffff, v101
	;;#ASMSTART
	v_cvt_f32_f16 v0, v0;
	;;#ASMEND
	;;#ASMSTART
	v_cvt_f32_f16 v1, v1;
	;;#ASMEND
	;; [unrolled: 3-line block ×4, first 2 shown]
	v_fmac_f32_e32 v67, v0, v2
	v_fmac_f32_e32 v66, v1, v20
	v_lshrrev_b32_e32 v1, 16, v3
	v_and_b32_e32 v0, 0xffff, v3
	v_and_b32_e32 v2, 0xffff, v100
	;; [unrolled: 1-line block ×3, first 2 shown]
	;;#ASMSTART
	v_cvt_f32_f16 v0, v0;
	;;#ASMEND
	;;#ASMSTART
	v_cvt_f32_f16 v1, v1;
	;;#ASMEND
	;; [unrolled: 3-line block ×4, first 2 shown]
	v_fmac_f32_e32 v69, v0, v2
	v_fmac_f32_e32 v68, v1, v3
	ds_read_b128 v[0:3], v5 offset:64
	v_and_b32_e32 v34, 0xffff, v60
	v_and_b32_e32 v36, 0xffff, v57
	s_waitcnt lgkmcnt(0)
	v_lshrrev_b32_e32 v20, 16, v0
	v_and_b32_e32 v0, 0xffff, v0
	;;#ASMSTART
	v_cvt_f32_f16 v0, v0;
	;;#ASMEND
	;;#ASMSTART
	v_cvt_f32_f16 v20, v20;
	;;#ASMEND
	;; [unrolled: 3-line block ×4, first 2 shown]
	v_fmac_f32_e32 v50, v0, v34
	v_fmac_f32_e32 v55, v20, v36
	v_lshrrev_b32_e32 v20, 16, v1
	v_and_b32_e32 v0, 0xffff, v1
	;;#ASMSTART
	v_cvt_f32_f16 v0, v0;
	;;#ASMEND
	;;#ASMSTART
	v_cvt_f32_f16 v1, v20;
	;;#ASMEND
	v_and_b32_e32 v20, 0xffff, v56
	v_and_b32_e32 v34, 0xffff, v119
	;;#ASMSTART
	v_cvt_f32_f16 v20, v20;
	;;#ASMEND
	;;#ASMSTART
	v_cvt_f32_f16 v34, v34;
	;;#ASMEND
	v_fmac_f32_e32 v65, v0, v20
	v_fmac_f32_e32 v64, v1, v34
	v_lshrrev_b32_e32 v1, 16, v2
	v_and_b32_e32 v0, 0xffff, v2
	v_and_b32_e32 v2, 0xffff, v118
	;;#ASMSTART
	v_cvt_f32_f16 v0, v0;
	;;#ASMEND
	;;#ASMSTART
	v_cvt_f32_f16 v1, v1;
	;;#ASMEND
	;; [unrolled: 3-line block ×3, first 2 shown]
	v_and_b32_e32 v20, 0xffff, v117
	;;#ASMSTART
	v_cvt_f32_f16 v20, v20;
	;;#ASMEND
	v_fmac_f32_e32 v67, v0, v2
	v_fmac_f32_e32 v66, v1, v20
	v_lshrrev_b32_e32 v1, 16, v3
	v_and_b32_e32 v0, 0xffff, v3
	v_and_b32_e32 v2, 0xffff, v116
	;; [unrolled: 1-line block ×3, first 2 shown]
	;;#ASMSTART
	v_cvt_f32_f16 v0, v0;
	;;#ASMEND
	;;#ASMSTART
	v_cvt_f32_f16 v1, v1;
	;;#ASMEND
	;; [unrolled: 3-line block ×4, first 2 shown]
	v_fmac_f32_e32 v69, v0, v2
	v_fmac_f32_e32 v68, v1, v3
	ds_read_b128 v[0:3], v5 offset:80
	v_and_b32_e32 v34, 0xffff, v91
	v_and_b32_e32 v36, 0xffff, v90
	s_waitcnt lgkmcnt(0)
	v_lshrrev_b32_e32 v20, 16, v0
	v_and_b32_e32 v0, 0xffff, v0
	;;#ASMSTART
	v_cvt_f32_f16 v0, v0;
	;;#ASMEND
	;;#ASMSTART
	v_cvt_f32_f16 v20, v20;
	;;#ASMEND
	;; [unrolled: 3-line block ×4, first 2 shown]
	v_fmac_f32_e32 v50, v0, v34
	v_fmac_f32_e32 v55, v20, v36
	v_lshrrev_b32_e32 v20, 16, v1
	v_and_b32_e32 v0, 0xffff, v1
	;;#ASMSTART
	v_cvt_f32_f16 v0, v0;
	;;#ASMEND
	;;#ASMSTART
	v_cvt_f32_f16 v1, v20;
	;;#ASMEND
	v_and_b32_e32 v20, 0xffff, v88
	v_and_b32_e32 v34, 0xffff, v47
	;;#ASMSTART
	v_cvt_f32_f16 v20, v20;
	;;#ASMEND
	;;#ASMSTART
	v_cvt_f32_f16 v34, v34;
	;;#ASMEND
	v_fmac_f32_e32 v65, v0, v20
	v_fmac_f32_e32 v64, v1, v34
	v_lshrrev_b32_e32 v1, 16, v2
	v_and_b32_e32 v0, 0xffff, v2
	v_and_b32_e32 v2, 0xffff, v46
	;;#ASMSTART
	v_cvt_f32_f16 v0, v0;
	;;#ASMEND
	;;#ASMSTART
	v_cvt_f32_f16 v1, v1;
	;;#ASMEND
	;; [unrolled: 3-line block ×3, first 2 shown]
	v_and_b32_e32 v20, 0xffff, v45
	;;#ASMSTART
	v_cvt_f32_f16 v20, v20;
	;;#ASMEND
	v_fmac_f32_e32 v67, v0, v2
	v_fmac_f32_e32 v66, v1, v20
	v_lshrrev_b32_e32 v1, 16, v3
	v_and_b32_e32 v0, 0xffff, v3
	v_and_b32_e32 v2, 0xffff, v44
	;; [unrolled: 1-line block ×3, first 2 shown]
	;;#ASMSTART
	v_cvt_f32_f16 v0, v0;
	;;#ASMEND
	;;#ASMSTART
	v_cvt_f32_f16 v1, v1;
	;;#ASMEND
	;;#ASMSTART
	v_cvt_f32_f16 v2, v2;
	;;#ASMEND
	;;#ASMSTART
	v_cvt_f32_f16 v3, v3;
	;;#ASMEND
	v_fmac_f32_e32 v69, v0, v2
	v_fmac_f32_e32 v68, v1, v3
	ds_read_b128 v[0:3], v5 offset:96
	v_and_b32_e32 v34, 0xffff, v123
	v_and_b32_e32 v36, 0xffff, v122
	s_waitcnt lgkmcnt(0)
	v_lshrrev_b32_e32 v20, 16, v0
	v_and_b32_e32 v0, 0xffff, v0
	;;#ASMSTART
	v_cvt_f32_f16 v0, v0;
	;;#ASMEND
	;;#ASMSTART
	v_cvt_f32_f16 v20, v20;
	;;#ASMEND
	;; [unrolled: 3-line block ×4, first 2 shown]
	v_fmac_f32_e32 v50, v0, v34
	v_fmac_f32_e32 v55, v20, v36
	v_lshrrev_b32_e32 v20, 16, v1
	v_and_b32_e32 v0, 0xffff, v1
	;;#ASMSTART
	v_cvt_f32_f16 v0, v0;
	;;#ASMEND
	;;#ASMSTART
	v_cvt_f32_f16 v1, v20;
	;;#ASMEND
	v_and_b32_e32 v20, 0xffff, v89
	v_and_b32_e32 v34, 0xffff, v77
	;;#ASMSTART
	v_cvt_f32_f16 v20, v20;
	;;#ASMEND
	;;#ASMSTART
	v_cvt_f32_f16 v34, v34;
	;;#ASMEND
	v_fmac_f32_e32 v65, v0, v20
	v_fmac_f32_e32 v64, v1, v34
	v_lshrrev_b32_e32 v1, 16, v2
	v_and_b32_e32 v0, 0xffff, v2
	v_and_b32_e32 v2, 0xffff, v76
	;;#ASMSTART
	v_cvt_f32_f16 v0, v0;
	;;#ASMEND
	;;#ASMSTART
	v_cvt_f32_f16 v1, v1;
	;;#ASMEND
	;; [unrolled: 3-line block ×3, first 2 shown]
	v_and_b32_e32 v20, 0xffff, v61
	;;#ASMSTART
	v_cvt_f32_f16 v20, v20;
	;;#ASMEND
	v_fmac_f32_e32 v67, v0, v2
	v_fmac_f32_e32 v66, v1, v20
	v_lshrrev_b32_e32 v1, 16, v3
	v_and_b32_e32 v0, 0xffff, v3
	v_and_b32_e32 v2, 0xffff, v32
	;; [unrolled: 1-line block ×3, first 2 shown]
	;;#ASMSTART
	v_cvt_f32_f16 v0, v0;
	;;#ASMEND
	;;#ASMSTART
	v_cvt_f32_f16 v1, v1;
	;;#ASMEND
	;; [unrolled: 3-line block ×4, first 2 shown]
	v_fmac_f32_e32 v69, v0, v2
	v_fmac_f32_e32 v68, v1, v3
	ds_read_b128 v[0:3], v5 offset:112
	v_and_b32_e32 v20, 0xffff, v110
	v_and_b32_e32 v32, 0xffff, v95
	s_waitcnt lgkmcnt(0)
	v_lshrrev_b32_e32 v7, 16, v0
	v_and_b32_e32 v0, 0xffff, v0
	;;#ASMSTART
	v_cvt_f32_f16 v0, v0;
	;;#ASMEND
	;;#ASMSTART
	v_cvt_f32_f16 v7, v7;
	;;#ASMEND
	;; [unrolled: 3-line block ×4, first 2 shown]
	v_fmac_f32_e32 v50, v0, v20
	v_fmac_f32_e32 v55, v7, v32
	v_lshrrev_b32_e32 v7, 16, v1
	v_and_b32_e32 v0, 0xffff, v1
	;;#ASMSTART
	v_cvt_f32_f16 v0, v0;
	;;#ASMEND
	;;#ASMSTART
	v_cvt_f32_f16 v1, v7;
	;;#ASMEND
	v_and_b32_e32 v7, 0xffff, v111
	v_and_b32_e32 v20, 0xffff, v39
	;;#ASMSTART
	v_cvt_f32_f16 v7, v7;
	;;#ASMEND
	;;#ASMSTART
	v_cvt_f32_f16 v20, v20;
	;;#ASMEND
	v_fmac_f32_e32 v65, v0, v7
	v_fmac_f32_e32 v64, v1, v20
	v_lshrrev_b32_e32 v1, 16, v2
	v_and_b32_e32 v0, 0xffff, v2
	v_and_b32_e32 v2, 0xffff, v26
	;;#ASMSTART
	v_cvt_f32_f16 v0, v0;
	;;#ASMEND
	;;#ASMSTART
	v_cvt_f32_f16 v1, v1;
	;;#ASMEND
	;; [unrolled: 3-line block ×3, first 2 shown]
	v_and_b32_e32 v7, 0xffff, v21
	;;#ASMSTART
	v_cvt_f32_f16 v7, v7;
	;;#ASMEND
	v_fmac_f32_e32 v67, v0, v2
	v_fmac_f32_e32 v66, v1, v7
	v_lshrrev_b32_e32 v1, 16, v3
	v_and_b32_e32 v0, 0xffff, v3
	v_and_b32_e32 v2, 0xffff, v18
	;; [unrolled: 1-line block ×3, first 2 shown]
	;;#ASMSTART
	v_cvt_f32_f16 v0, v0;
	;;#ASMEND
	;;#ASMSTART
	v_cvt_f32_f16 v1, v1;
	;;#ASMEND
	;; [unrolled: 3-line block ×4, first 2 shown]
	v_fmac_f32_e32 v69, v0, v2
	v_fmac_f32_e32 v68, v1, v3
	ds_read_b128 v[0:3], v5 offset:128
	v_and_b32_e32 v18, 0xffff, v29
	s_waitcnt lgkmcnt(0)
	v_lshrrev_b32_e32 v7, 16, v0
	v_and_b32_e32 v0, 0xffff, v0
	;;#ASMSTART
	v_cvt_f32_f16 v0, v0;
	;;#ASMEND
	;;#ASMSTART
	v_cvt_f32_f16 v7, v7;
	;;#ASMEND
	;; [unrolled: 3-line block ×4, first 2 shown]
	v_fmac_f32_e32 v50, v0, v18
	v_fmac_f32_e32 v55, v7, v9
	v_lshrrev_b32_e32 v7, 16, v1
	v_and_b32_e32 v0, 0xffff, v1
	;;#ASMSTART
	v_cvt_f32_f16 v0, v0;
	;;#ASMEND
	;;#ASMSTART
	v_cvt_f32_f16 v1, v7;
	;;#ASMEND
	v_and_b32_e32 v7, 0xffff, v33
	v_and_b32_e32 v9, 0xffff, v30
	;;#ASMSTART
	v_cvt_f32_f16 v7, v7;
	;;#ASMEND
	;;#ASMSTART
	v_cvt_f32_f16 v9, v9;
	;;#ASMEND
	v_fmac_f32_e32 v65, v0, v7
	v_fmac_f32_e32 v64, v1, v9
	v_lshrrev_b32_e32 v1, 16, v2
	v_and_b32_e32 v0, 0xffff, v2
	v_and_b32_e32 v2, 0xffff, v13
	;;#ASMSTART
	v_cvt_f32_f16 v0, v0;
	;;#ASMEND
	;;#ASMSTART
	v_cvt_f32_f16 v1, v1;
	;;#ASMEND
	;; [unrolled: 3-line block ×3, first 2 shown]
	v_and_b32_e32 v7, 0xffff, v12
	;;#ASMSTART
	v_cvt_f32_f16 v7, v7;
	;;#ASMEND
	v_fmac_f32_e32 v67, v0, v2
	v_fmac_f32_e32 v66, v1, v7
	v_lshrrev_b32_e32 v1, 16, v3
	v_and_b32_e32 v0, 0xffff, v3
	v_and_b32_e32 v2, 0xffff, v11
	;; [unrolled: 1-line block ×3, first 2 shown]
	;;#ASMSTART
	v_cvt_f32_f16 v0, v0;
	;;#ASMEND
	;;#ASMSTART
	v_cvt_f32_f16 v1, v1;
	;;#ASMEND
	;; [unrolled: 3-line block ×4, first 2 shown]
	v_fmac_f32_e32 v69, v0, v2
	v_fmac_f32_e32 v68, v1, v3
	ds_read_b128 v[0:3], v5 offset:144
	v_and_b32_e32 v7, 0xffff, v17
	v_and_b32_e32 v9, 0xffff, v27
	s_waitcnt lgkmcnt(0)
	v_lshrrev_b32_e32 v6, 16, v0
	v_and_b32_e32 v0, 0xffff, v0
	;;#ASMSTART
	v_cvt_f32_f16 v0, v0;
	;;#ASMEND
	;;#ASMSTART
	v_cvt_f32_f16 v6, v6;
	;;#ASMEND
	;;#ASMSTART
	v_cvt_f32_f16 v7, v7;
	;;#ASMEND
	;;#ASMSTART
	v_cvt_f32_f16 v9, v9;
	;;#ASMEND
	v_fmac_f32_e32 v50, v0, v7
	v_fmac_f32_e32 v55, v6, v9
	v_lshrrev_b32_e32 v6, 16, v1
	v_and_b32_e32 v0, 0xffff, v1
	;;#ASMSTART
	v_cvt_f32_f16 v0, v0;
	;;#ASMEND
	;;#ASMSTART
	v_cvt_f32_f16 v1, v6;
	;;#ASMEND
	v_and_b32_e32 v6, 0xffff, v19
	v_and_b32_e32 v7, 0xffff, v31
	;;#ASMSTART
	v_cvt_f32_f16 v6, v6;
	;;#ASMEND
	;;#ASMSTART
	v_cvt_f32_f16 v7, v7;
	;;#ASMEND
	v_fmac_f32_e32 v65, v0, v6
	v_fmac_f32_e32 v64, v1, v7
	v_lshrrev_b32_e32 v1, 16, v2
	v_and_b32_e32 v0, 0xffff, v2
	v_and_b32_e32 v2, 0xffff, v8
	;;#ASMSTART
	v_cvt_f32_f16 v0, v0;
	;;#ASMEND
	;;#ASMSTART
	v_cvt_f32_f16 v1, v1;
	;;#ASMEND
	;;#ASMSTART
	v_cvt_f32_f16 v2, v2;
	;;#ASMEND
	v_and_b32_e32 v6, 0xffff, v58
	;;#ASMSTART
	v_cvt_f32_f16 v6, v6;
	;;#ASMEND
	v_fmac_f32_e32 v67, v0, v2
	v_fmac_f32_e32 v66, v1, v6
	v_lshrrev_b32_e32 v1, 16, v3
	v_and_b32_e32 v0, 0xffff, v3
	v_and_b32_e32 v2, 0xffff, v63
	;; [unrolled: 1-line block ×3, first 2 shown]
	;;#ASMSTART
	v_cvt_f32_f16 v0, v0;
	;;#ASMEND
	;;#ASMSTART
	v_cvt_f32_f16 v1, v1;
	;;#ASMEND
	;; [unrolled: 3-line block ×4, first 2 shown]
	v_fmac_f32_e32 v69, v0, v2
	v_fmac_f32_e32 v68, v1, v3
	ds_read_b128 v[0:3], v5 offset:160
	v_and_b32_e32 v7, 0xffff, v62
	v_and_b32_e32 v8, 0xffff, v72
	s_waitcnt lgkmcnt(0)
	v_lshrrev_b32_e32 v6, 16, v0
	v_and_b32_e32 v0, 0xffff, v0
	;;#ASMSTART
	v_cvt_f32_f16 v0, v0;
	;;#ASMEND
	;;#ASMSTART
	v_cvt_f32_f16 v6, v6;
	;;#ASMEND
	;; [unrolled: 3-line block ×4, first 2 shown]
	v_fmac_f32_e32 v50, v0, v7
	v_fmac_f32_e32 v55, v6, v8
	v_lshrrev_b32_e32 v6, 16, v1
	v_and_b32_e32 v0, 0xffff, v1
	;;#ASMSTART
	v_cvt_f32_f16 v0, v0;
	;;#ASMEND
	;;#ASMSTART
	v_cvt_f32_f16 v1, v6;
	;;#ASMEND
	v_and_b32_e32 v6, 0xffff, v125
	v_and_b32_e32 v7, 0xffff, v124
	;;#ASMSTART
	v_cvt_f32_f16 v6, v6;
	;;#ASMEND
	;;#ASMSTART
	v_cvt_f32_f16 v7, v7;
	;;#ASMEND
	v_fmac_f32_e32 v65, v0, v6
	v_fmac_f32_e32 v64, v1, v7
	v_lshrrev_b32_e32 v1, 16, v2
	v_and_b32_e32 v0, 0xffff, v2
	v_and_b32_e32 v2, 0xffff, v121
	;;#ASMSTART
	v_cvt_f32_f16 v0, v0;
	;;#ASMEND
	;;#ASMSTART
	v_cvt_f32_f16 v1, v1;
	;;#ASMEND
	;; [unrolled: 3-line block ×3, first 2 shown]
	v_and_b32_e32 v6, 0xffff, v120
	;;#ASMSTART
	v_cvt_f32_f16 v6, v6;
	;;#ASMEND
	v_fmac_f32_e32 v67, v0, v2
	v_fmac_f32_e32 v66, v1, v6
	v_lshrrev_b32_e32 v1, 16, v3
	v_and_b32_e32 v0, 0xffff, v3
	v_and_b32_e32 v2, 0xffff, v109
	;; [unrolled: 1-line block ×3, first 2 shown]
	;;#ASMSTART
	v_cvt_f32_f16 v0, v0;
	;;#ASMEND
	;;#ASMSTART
	v_cvt_f32_f16 v1, v1;
	;;#ASMEND
	;; [unrolled: 3-line block ×4, first 2 shown]
	v_fmac_f32_e32 v69, v0, v2
	v_fmac_f32_e32 v68, v1, v3
	ds_read_b128 v[0:3], v5 offset:176
	v_and_b32_e32 v7, 0xffff, v107
	v_and_b32_e32 v8, 0xffff, v106
	s_waitcnt lgkmcnt(0)
	v_lshrrev_b32_e32 v6, 16, v0
	v_and_b32_e32 v0, 0xffff, v0
	;;#ASMSTART
	v_cvt_f32_f16 v0, v0;
	;;#ASMEND
	;;#ASMSTART
	v_cvt_f32_f16 v6, v6;
	;;#ASMEND
	;; [unrolled: 3-line block ×4, first 2 shown]
	v_fmac_f32_e32 v50, v0, v7
	v_fmac_f32_e32 v55, v6, v8
	v_lshrrev_b32_e32 v6, 16, v1
	v_and_b32_e32 v0, 0xffff, v1
	;;#ASMSTART
	v_cvt_f32_f16 v0, v0;
	;;#ASMEND
	;;#ASMSTART
	v_cvt_f32_f16 v1, v6;
	;;#ASMEND
	v_and_b32_e32 v6, 0xffff, v105
	v_and_b32_e32 v7, 0xffff, v104
	;;#ASMSTART
	v_cvt_f32_f16 v6, v6;
	;;#ASMEND
	;;#ASMSTART
	v_cvt_f32_f16 v7, v7;
	;;#ASMEND
	v_fmac_f32_e32 v65, v0, v6
	v_fmac_f32_e32 v64, v1, v7
	v_lshrrev_b32_e32 v1, 16, v2
	v_and_b32_e32 v0, 0xffff, v2
	v_and_b32_e32 v2, 0xffff, v93
	;;#ASMSTART
	v_cvt_f32_f16 v0, v0;
	;;#ASMEND
	;;#ASMSTART
	v_cvt_f32_f16 v1, v1;
	;;#ASMEND
	;; [unrolled: 3-line block ×3, first 2 shown]
	v_and_b32_e32 v6, 0xffff, v92
	;;#ASMSTART
	v_cvt_f32_f16 v6, v6;
	;;#ASMEND
	v_fmac_f32_e32 v67, v0, v2
	v_fmac_f32_e32 v66, v1, v6
	v_lshrrev_b32_e32 v1, 16, v3
	v_and_b32_e32 v0, 0xffff, v3
	v_and_b32_e32 v2, 0xffff, v79
	;; [unrolled: 1-line block ×3, first 2 shown]
	;;#ASMSTART
	v_cvt_f32_f16 v0, v0;
	;;#ASMEND
	;;#ASMSTART
	v_cvt_f32_f16 v1, v1;
	;;#ASMEND
	;; [unrolled: 3-line block ×4, first 2 shown]
	v_fmac_f32_e32 v69, v0, v2
	v_fmac_f32_e32 v68, v1, v3
	ds_read_b128 v[0:3], v5 offset:192
	s_waitcnt lgkmcnt(0)
	v_lshrrev_b32_e32 v6, 16, v0
	v_and_b32_e32 v0, 0xffff, v0
	;;#ASMSTART
	v_cvt_f32_f16 v0, v0;
	;;#ASMEND
	;;#ASMSTART
	v_cvt_f32_f16 v6, v6;
	;;#ASMEND
	buffer_load_dword v4, off, s[0:3], s32 offset:240 ; 4-byte Folded Reload
	s_waitcnt vmcnt(0)
	v_and_b32_e32 v7, 0xffff, v4
	;;#ASMSTART
	v_cvt_f32_f16 v7, v7;
	;;#ASMEND
	buffer_load_dword v4, off, s[0:3], s32 offset:236 ; 4-byte Folded Reload
	v_fmac_f32_e32 v50, v0, v7
	v_and_b32_e32 v0, 0xffff, v1
	s_waitcnt vmcnt(0)
	v_and_b32_e32 v8, 0xffff, v4
	;;#ASMSTART
	v_cvt_f32_f16 v8, v8;
	;;#ASMEND
	v_fmac_f32_e32 v55, v6, v8
	v_lshrrev_b32_e32 v6, 16, v1
	;;#ASMSTART
	v_cvt_f32_f16 v0, v0;
	;;#ASMEND
	;;#ASMSTART
	v_cvt_f32_f16 v1, v6;
	;;#ASMEND
	buffer_load_dword v4, off, s[0:3], s32 offset:232 ; 4-byte Folded Reload
	v_and_b32_e32 v8, 0xffff, v25
	s_waitcnt vmcnt(0)
	v_and_b32_e32 v6, 0xffff, v4
	;;#ASMSTART
	v_cvt_f32_f16 v6, v6;
	;;#ASMEND
	buffer_load_dword v4, off, s[0:3], s32 offset:228 ; 4-byte Folded Reload
	v_fmac_f32_e32 v65, v0, v6
	v_and_b32_e32 v0, 0xffff, v2
	s_waitcnt vmcnt(0)
	v_and_b32_e32 v7, 0xffff, v4
	;;#ASMSTART
	v_cvt_f32_f16 v7, v7;
	;;#ASMEND
	v_fmac_f32_e32 v64, v1, v7
	v_lshrrev_b32_e32 v1, 16, v2
	;;#ASMSTART
	v_cvt_f32_f16 v0, v0;
	;;#ASMEND
	;;#ASMSTART
	v_cvt_f32_f16 v1, v1;
	;;#ASMEND
	buffer_load_dword v2, off, s[0:3], s32 offset:224 ; 4-byte Folded Reload
	v_and_b32_e32 v7, 0xffff, v24
	s_waitcnt vmcnt(0)
	v_and_b32_e32 v2, 0xffff, v2
	;;#ASMSTART
	v_cvt_f32_f16 v2, v2;
	;;#ASMEND
	buffer_load_dword v4, off, s[0:3], s32 offset:220 ; 4-byte Folded Reload
	v_fmac_f32_e32 v67, v0, v2
	v_and_b32_e32 v0, 0xffff, v3
	s_waitcnt vmcnt(0)
	v_and_b32_e32 v6, 0xffff, v4
	;;#ASMSTART
	v_cvt_f32_f16 v6, v6;
	;;#ASMEND
	v_fmac_f32_e32 v66, v1, v6
	v_lshrrev_b32_e32 v1, 16, v3
	;;#ASMSTART
	v_cvt_f32_f16 v0, v0;
	;;#ASMEND
	;;#ASMSTART
	v_cvt_f32_f16 v1, v1;
	;;#ASMEND
	buffer_load_dword v2, off, s[0:3], s32 offset:216 ; 4-byte Folded Reload
	s_waitcnt vmcnt(0)
	v_and_b32_e32 v2, 0xffff, v2
	;;#ASMSTART
	v_cvt_f32_f16 v2, v2;
	;;#ASMEND
	buffer_load_dword v3, off, s[0:3], s32 offset:212 ; 4-byte Folded Reload
	v_fmac_f32_e32 v69, v0, v2
	s_waitcnt vmcnt(0)
	v_and_b32_e32 v3, 0xffff, v3
	;;#ASMSTART
	v_cvt_f32_f16 v3, v3;
	;;#ASMEND
	v_fmac_f32_e32 v68, v1, v3
	ds_read_b128 v[0:3], v5 offset:208
	s_waitcnt lgkmcnt(0)
	v_lshrrev_b32_e32 v6, 16, v0
	v_and_b32_e32 v0, 0xffff, v0
	;;#ASMSTART
	v_cvt_f32_f16 v0, v0;
	;;#ASMEND
	;;#ASMSTART
	v_cvt_f32_f16 v6, v6;
	;;#ASMEND
	;; [unrolled: 3-line block ×4, first 2 shown]
	v_fmac_f32_e32 v50, v0, v7
	v_fmac_f32_e32 v55, v6, v8
	v_lshrrev_b32_e32 v6, 16, v1
	v_and_b32_e32 v0, 0xffff, v1
	;;#ASMSTART
	v_cvt_f32_f16 v0, v0;
	;;#ASMEND
	;;#ASMSTART
	v_cvt_f32_f16 v1, v6;
	;;#ASMEND
	v_and_b32_e32 v6, 0xffff, v51
	;;#ASMSTART
	v_cvt_f32_f16 v6, v6;
	;;#ASMEND
	buffer_load_dword v4, off, s[0:3], s32 offset:208 ; 4-byte Folded Reload
	v_fmac_f32_e32 v65, v0, v6
	v_and_b32_e32 v0, 0xffff, v2
	s_waitcnt vmcnt(0)
	v_and_b32_e32 v7, 0xffff, v4
	;;#ASMSTART
	v_cvt_f32_f16 v7, v7;
	;;#ASMEND
	v_fmac_f32_e32 v64, v1, v7
	v_lshrrev_b32_e32 v1, 16, v2
	v_and_b32_e32 v2, 0xffff, v54
	;;#ASMSTART
	v_cvt_f32_f16 v0, v0;
	;;#ASMEND
	;;#ASMSTART
	v_cvt_f32_f16 v1, v1;
	;;#ASMEND
	;; [unrolled: 3-line block ×3, first 2 shown]
	buffer_load_dword v4, off, s[0:3], s32 offset:196 ; 4-byte Folded Reload
	v_fmac_f32_e32 v67, v0, v2
	v_and_b32_e32 v0, 0xffff, v3
	v_and_b32_e32 v2, 0xffff, v53
	s_waitcnt vmcnt(0)
	v_and_b32_e32 v6, 0xffff, v4
	;;#ASMSTART
	v_cvt_f32_f16 v6, v6;
	;;#ASMEND
	v_fmac_f32_e32 v66, v1, v6
	v_lshrrev_b32_e32 v1, 16, v3
	;;#ASMSTART
	v_cvt_f32_f16 v0, v0;
	;;#ASMEND
	;;#ASMSTART
	v_cvt_f32_f16 v1, v1;
	;;#ASMEND
	;; [unrolled: 3-line block ×3, first 2 shown]
	buffer_load_dword v3, off, s[0:3], s32 offset:192 ; 4-byte Folded Reload
	v_fmac_f32_e32 v69, v0, v2
	v_add_f32_e32 v0, v50, v55
	v_add_f32_e32 v0, v0, v65
	;; [unrolled: 1-line block ×6, first 2 shown]
	s_waitcnt vmcnt(0)
	v_and_b32_e32 v3, 0xffff, v3
	;;#ASMSTART
	v_cvt_f32_f16 v3, v3;
	;;#ASMEND
	v_fmac_f32_e32 v68, v1, v3
	s_clause 0x2
	buffer_load_dword v1, off, s[0:3], s32 offset:256
	buffer_load_dword v73, off, s[0:3], s32 offset:260
	;; [unrolled: 1-line block ×3, first 2 shown]
	v_add_f32_e32 v0, v68, v0
	s_waitcnt vmcnt(2)
	v_fmac_f32_e32 v10, v1, v0
	v_cndmask_b32_e64 v0, 0, v10, s5
	ds_write_b32 v16, v0
	s_waitcnt vmcnt(0)
	v_max_f32_e32 v0, v8, v8
	v_add_nc_u32_e32 v16, 0x200, v16
	v_max_f32_e32 v0, v0, v10
	v_cndmask_b32_e64 v8, v8, v0, s5
	v_add_co_u32 v14, s5, v14, 16
	v_add_co_ci_u32_e64 v15, null, 0, v15, s5
	v_cmp_ge_i32_e64 s5, v127, v73
	s_or_b32 s15, s5, s15
	s_andn2_b32 exec_lo, exec_lo, s15
	s_cbranch_execz .LBB294_903
.LBB294_10:                             ; =>This Inner Loop Header: Depth=1
	buffer_store_dword v8, off, s[0:3], s32 offset:204 ; 4-byte Folded Spill
	flat_load_dword v0, v[14:15]
	s_clause 0x2
	buffer_load_dword v1, off, s[0:3], s32 offset:200
	buffer_load_dword v2, off, s[0:3], s32 offset:264
	;; [unrolled: 1-line block ×3, first 2 shown]
	v_mov_b32_e32 v75, v16
	v_mov_b32_e32 v126, v127
	;; [unrolled: 1-line block ×3, first 2 shown]
	s_waitcnt vmcnt(0) lgkmcnt(0)
	v_mad_i64_i32 v[16:17], null, v0, v1, v[2:3]
	flat_load_dwordx2 v[24:25], v[16:17]
	s_clause 0x1
	buffer_load_dword v0, off, s[0:3], s32 offset:248
	buffer_load_dword v1, off, s[0:3], s32 offset:252
	s_waitcnt vmcnt(2) lgkmcnt(0)
	v_cmp_ne_u16_sdwa s5, v24, v5 src0_sel:BYTE_0 src1_sel:DWORD
	s_waitcnt vmcnt(0)
	flat_load_dword v50, v[0:1]
	s_and_saveexec_b32 s17, s5
	s_cbranch_execz .LBB294_18
; %bb.11:                               ;   in Loop: Header=BB294_10 Depth=1
	v_cmp_ne_u16_sdwa s5, v24, v37 src0_sel:BYTE_0 src1_sel:DWORD
	v_mov_b32_e32 v52, 0x8000
	s_and_saveexec_b32 s18, s5
	s_cbranch_execz .LBB294_17
; %bb.12:                               ;   in Loop: Header=BB294_10 Depth=1
	v_and_b32_e32 v2, 0x7f, v24
	v_mov_b32_e32 v52, 0x7c01
	s_mov_b32 s19, exec_lo
	v_cmpx_ne_u32_e32 0x7f, v2
	s_cbranch_execz .LBB294_16
; %bb.13:                               ;   in Loop: Header=BB294_10 Depth=1
	v_and_b32_e32 v0, 7, v24
	v_lshrrev_b32_e32 v1, 3, v2
	s_mov_b32 s20, exec_lo
	v_cmpx_gt_u32_e32 8, v2
; %bb.14:                               ;   in Loop: Header=BB294_10 Depth=1
	v_ffbh_u32_e32 v0, v0
	v_min_u32_e32 v2, 32, v0
	v_subrev_nc_u32_e32 v0, 28, v2
	v_lshlrev_b64 v[0:1], v0, v[24:25]
	v_sub_nc_u32_e32 v1, 29, v2
	v_and_b32_e32 v0, 7, v0
; %bb.15:                               ;   in Loop: Header=BB294_10 Depth=1
	s_or_b32 exec_lo, exec_lo, s20
	v_lshlrev_b32_e32 v2, 8, v24
	v_lshl_add_u32 v1, v1, 10, 0x2000
	v_lshlrev_b32_e32 v0, 7, v0
	v_and_b32_e32 v2, 0x8000, v2
	v_and_b32_e32 v1, 0xfc00, v1
	v_or3_b32 v52, v2, v1, v0
.LBB294_16:                             ;   in Loop: Header=BB294_10 Depth=1
	s_or_b32 exec_lo, exec_lo, s19
.LBB294_17:                             ;   in Loop: Header=BB294_10 Depth=1
	s_or_b32 exec_lo, exec_lo, s18
.LBB294_18:                             ;   in Loop: Header=BB294_10 Depth=1
	s_or_b32 exec_lo, exec_lo, s17
	v_lshrrev_b16 v4, 8, v24
	v_mov_b32_e32 v0, 0
	v_mov_b32_e32 v36, 0
	s_mov_b32 s17, exec_lo
	buffer_store_dword v0, off, s[0:3], s32 offset:192 ; 4-byte Folded Spill
	v_cmpx_ne_u16_e32 0, v4
	s_cbranch_execz .LBB294_26
; %bb.19:                               ;   in Loop: Header=BB294_10 Depth=1
	v_bfrev_b32_e32 v36, 1
	s_mov_b32 s18, exec_lo
	v_cmpx_ne_u16_e32 0x80, v4
	s_cbranch_execz .LBB294_25
; %bb.20:                               ;   in Loop: Header=BB294_10 Depth=1
	v_mov_b32_e32 v0, 0x7f
	v_mov_b32_e32 v36, 0x7c010000
	s_mov_b32 s19, exec_lo
	v_and_b32_sdwa v2, v4, v0 dst_sel:DWORD dst_unused:UNUSED_PAD src0_sel:WORD_0 src1_sel:DWORD
	v_cmpx_ne_u32_e32 0x7f, v2
	s_cbranch_execz .LBB294_24
; %bb.21:                               ;   in Loop: Header=BB294_10 Depth=1
	v_mov_b32_e32 v0, 7
	v_lshrrev_b32_e32 v1, 3, v2
	s_mov_b32 s20, exec_lo
	v_and_b32_sdwa v0, v4, v0 dst_sel:DWORD dst_unused:UNUSED_PAD src0_sel:WORD_0 src1_sel:DWORD
	v_cmpx_gt_u32_e32 8, v2
; %bb.22:                               ;   in Loop: Header=BB294_10 Depth=1
	v_ffbh_u32_e32 v0, v0
	v_min_u32_e32 v2, 32, v0
	v_subrev_nc_u32_e32 v0, 28, v2
	v_lshlrev_b64 v[0:1], v0, v[4:5]
	v_sub_nc_u32_e32 v1, 29, v2
	v_and_b32_e32 v0, 7, v0
; %bb.23:                               ;   in Loop: Header=BB294_10 Depth=1
	s_or_b32 exec_lo, exec_lo, s20
	v_mov_b32_e32 v2, 8
	v_lshl_add_u32 v1, v1, 10, 0x2000
	v_lshlrev_b32_e32 v0, 23, v0
	v_lshlrev_b32_sdwa v2, v2, v4 dst_sel:DWORD dst_unused:UNUSED_PAD src0_sel:DWORD src1_sel:WORD_0
	v_and_or_b32 v1, 0x8000, v2, v1
	v_lshl_or_b32 v36, v1, 16, v0
.LBB294_24:                             ;   in Loop: Header=BB294_10 Depth=1
	s_or_b32 exec_lo, exec_lo, s19
.LBB294_25:                             ;   in Loop: Header=BB294_10 Depth=1
	s_or_b32 exec_lo, exec_lo, s18
.LBB294_26:                             ;   in Loop: Header=BB294_10 Depth=1
	s_or_b32 exec_lo, exec_lo, s17
	v_lshrrev_b32_e32 v4, 16, v24
	v_cmp_ne_u16_sdwa s5, v4, v5 src0_sel:BYTE_0 src1_sel:DWORD
	s_and_saveexec_b32 s17, s5
	s_cbranch_execz .LBB294_34
; %bb.27:                               ;   in Loop: Header=BB294_10 Depth=1
	v_cmp_ne_u16_sdwa s5, v4, v37 src0_sel:BYTE_0 src1_sel:DWORD
	v_mov_b32_e32 v0, 0x8000
	buffer_store_dword v0, off, s[0:3], s32 offset:192 ; 4-byte Folded Spill
	s_and_saveexec_b32 s18, s5
	s_cbranch_execz .LBB294_33
; %bb.28:                               ;   in Loop: Header=BB294_10 Depth=1
	v_bfe_u32 v2, v24, 16, 7
	v_mov_b32_e32 v0, 0x7c01
	s_mov_b32 s19, exec_lo
	buffer_store_dword v0, off, s[0:3], s32 offset:192 ; 4-byte Folded Spill
	v_cmpx_ne_u32_e32 0x7f, v2
	s_cbranch_execz .LBB294_32
; %bb.29:                               ;   in Loop: Header=BB294_10 Depth=1
	v_and_b32_e32 v0, 7, v4
	v_lshrrev_b32_e32 v1, 3, v2
	s_mov_b32 s20, exec_lo
	v_cmpx_gt_u32_e32 8, v2
; %bb.30:                               ;   in Loop: Header=BB294_10 Depth=1
	v_ffbh_u32_e32 v0, v0
	v_min_u32_e32 v2, 32, v0
	v_subrev_nc_u32_e32 v0, 28, v2
	v_lshlrev_b64 v[0:1], v0, v[4:5]
	v_sub_nc_u32_e32 v1, 29, v2
	v_and_b32_e32 v0, 7, v0
; %bb.31:                               ;   in Loop: Header=BB294_10 Depth=1
	s_or_b32 exec_lo, exec_lo, s20
	v_lshlrev_b32_e32 v2, 8, v4
	v_lshl_add_u32 v1, v1, 10, 0x2000
	v_lshlrev_b32_e32 v0, 7, v0
	v_and_b32_e32 v2, 0x8000, v2
	v_and_b32_e32 v1, 0xfc00, v1
	v_or3_b32 v0, v2, v1, v0
	buffer_store_dword v0, off, s[0:3], s32 offset:192 ; 4-byte Folded Spill
.LBB294_32:                             ;   in Loop: Header=BB294_10 Depth=1
	s_or_b32 exec_lo, exec_lo, s19
.LBB294_33:                             ;   in Loop: Header=BB294_10 Depth=1
	s_or_b32 exec_lo, exec_lo, s18
.LBB294_34:                             ;   in Loop: Header=BB294_10 Depth=1
	s_or_b32 exec_lo, exec_lo, s17
	v_mov_b32_e32 v0, 0
	v_mov_b32_e32 v55, 0
	s_mov_b32 s17, exec_lo
	buffer_store_dword v0, off, s[0:3], s32 offset:196 ; 4-byte Folded Spill
	v_cmpx_lt_u32_e32 0xffffff, v24
	s_cbranch_execz .LBB294_42
; %bb.35:                               ;   in Loop: Header=BB294_10 Depth=1
	v_lshrrev_b32_e32 v4, 24, v24
	v_bfrev_b32_e32 v55, 1
	s_mov_b32 s18, exec_lo
	v_cmpx_ne_u32_e32 0x80, v4
	s_cbranch_execz .LBB294_41
; %bb.36:                               ;   in Loop: Header=BB294_10 Depth=1
	v_and_b32_e32 v2, 0x7f, v4
	v_mov_b32_e32 v55, 0x7c010000
	s_mov_b32 s19, exec_lo
	v_cmpx_ne_u32_e32 0x7f, v2
	s_cbranch_execz .LBB294_40
; %bb.37:                               ;   in Loop: Header=BB294_10 Depth=1
	v_and_b32_e32 v0, 7, v4
	v_lshrrev_b32_e32 v1, 3, v2
	s_mov_b32 s20, exec_lo
	v_cmpx_gt_u32_e32 8, v2
; %bb.38:                               ;   in Loop: Header=BB294_10 Depth=1
	v_ffbh_u32_e32 v0, v0
	v_min_u32_e32 v2, 32, v0
	v_subrev_nc_u32_e32 v0, 28, v2
	v_lshlrev_b64 v[0:1], v0, v[4:5]
	v_sub_nc_u32_e32 v1, 29, v2
	v_and_b32_e32 v0, 7, v0
; %bb.39:                               ;   in Loop: Header=BB294_10 Depth=1
	s_or_b32 exec_lo, exec_lo, s20
	v_lshlrev_b32_e32 v2, 8, v4
	v_lshl_add_u32 v1, v1, 10, 0x2000
	v_lshlrev_b32_e32 v0, 23, v0
	v_and_or_b32 v1, 0x8000, v2, v1
	v_lshl_or_b32 v55, v1, 16, v0
.LBB294_40:                             ;   in Loop: Header=BB294_10 Depth=1
	s_or_b32 exec_lo, exec_lo, s19
.LBB294_41:                             ;   in Loop: Header=BB294_10 Depth=1
	s_or_b32 exec_lo, exec_lo, s18
.LBB294_42:                             ;   in Loop: Header=BB294_10 Depth=1
	s_or_b32 exec_lo, exec_lo, s17
	v_mov_b32_e32 v4, v25
	v_cmp_ne_u16_sdwa s5, v25, v5 src0_sel:BYTE_0 src1_sel:DWORD
	s_and_saveexec_b32 s17, s5
	s_cbranch_execz .LBB294_50
; %bb.43:                               ;   in Loop: Header=BB294_10 Depth=1
	v_cmp_ne_u16_sdwa s5, v25, v37 src0_sel:BYTE_0 src1_sel:DWORD
	v_mov_b32_e32 v0, 0x8000
	buffer_store_dword v0, off, s[0:3], s32 offset:196 ; 4-byte Folded Spill
	s_and_saveexec_b32 s18, s5
	s_cbranch_execz .LBB294_49
; %bb.44:                               ;   in Loop: Header=BB294_10 Depth=1
	v_and_b32_e32 v2, 0x7f, v25
	v_mov_b32_e32 v0, 0x7c01
	s_mov_b32 s19, exec_lo
	buffer_store_dword v0, off, s[0:3], s32 offset:196 ; 4-byte Folded Spill
	v_cmpx_ne_u32_e32 0x7f, v2
	s_cbranch_execz .LBB294_48
; %bb.45:                               ;   in Loop: Header=BB294_10 Depth=1
	v_and_b32_e32 v0, 7, v25
	v_lshrrev_b32_e32 v1, 3, v2
	s_mov_b32 s20, exec_lo
	v_cmpx_gt_u32_e32 8, v2
; %bb.46:                               ;   in Loop: Header=BB294_10 Depth=1
	v_ffbh_u32_e32 v0, v0
	v_min_u32_e32 v2, 32, v0
	v_subrev_nc_u32_e32 v0, 28, v2
	v_lshlrev_b64 v[0:1], v0, v[4:5]
	v_sub_nc_u32_e32 v1, 29, v2
	v_and_b32_e32 v0, 7, v0
; %bb.47:                               ;   in Loop: Header=BB294_10 Depth=1
	s_or_b32 exec_lo, exec_lo, s20
	v_lshlrev_b32_e32 v2, 8, v25
	v_lshl_add_u32 v1, v1, 10, 0x2000
	v_lshlrev_b32_e32 v0, 7, v0
	v_and_b32_e32 v2, 0x8000, v2
	v_and_b32_e32 v1, 0xfc00, v1
	v_or3_b32 v0, v2, v1, v0
	buffer_store_dword v0, off, s[0:3], s32 offset:196 ; 4-byte Folded Spill
.LBB294_48:                             ;   in Loop: Header=BB294_10 Depth=1
	s_or_b32 exec_lo, exec_lo, s19
.LBB294_49:                             ;   in Loop: Header=BB294_10 Depth=1
	s_or_b32 exec_lo, exec_lo, s18
.LBB294_50:                             ;   in Loop: Header=BB294_10 Depth=1
	s_or_b32 exec_lo, exec_lo, s17
	v_lshrrev_b16 v4, 8, v4
	v_mov_b32_e32 v64, 0
	v_mov_b32_e32 v65, 0
	s_mov_b32 s17, exec_lo
	v_cmpx_ne_u16_e32 0, v4
	s_cbranch_execz .LBB294_58
; %bb.51:                               ;   in Loop: Header=BB294_10 Depth=1
	v_bfrev_b32_e32 v65, 1
	s_mov_b32 s18, exec_lo
	v_cmpx_ne_u16_e32 0x80, v4
	s_cbranch_execz .LBB294_57
; %bb.52:                               ;   in Loop: Header=BB294_10 Depth=1
	v_mov_b32_e32 v0, 0x7f
	v_mov_b32_e32 v65, 0x7c010000
	s_mov_b32 s19, exec_lo
	v_and_b32_sdwa v2, v4, v0 dst_sel:DWORD dst_unused:UNUSED_PAD src0_sel:WORD_0 src1_sel:DWORD
	v_cmpx_ne_u32_e32 0x7f, v2
	s_cbranch_execz .LBB294_56
; %bb.53:                               ;   in Loop: Header=BB294_10 Depth=1
	v_mov_b32_e32 v0, 7
	v_lshrrev_b32_e32 v1, 3, v2
	s_mov_b32 s20, exec_lo
	v_and_b32_sdwa v0, v4, v0 dst_sel:DWORD dst_unused:UNUSED_PAD src0_sel:WORD_0 src1_sel:DWORD
	v_cmpx_gt_u32_e32 8, v2
; %bb.54:                               ;   in Loop: Header=BB294_10 Depth=1
	v_ffbh_u32_e32 v0, v0
	v_min_u32_e32 v2, 32, v0
	v_subrev_nc_u32_e32 v0, 28, v2
	v_lshlrev_b64 v[0:1], v0, v[4:5]
	v_sub_nc_u32_e32 v1, 29, v2
	v_and_b32_e32 v0, 7, v0
; %bb.55:                               ;   in Loop: Header=BB294_10 Depth=1
	s_or_b32 exec_lo, exec_lo, s20
	v_mov_b32_e32 v2, 8
	v_lshl_add_u32 v1, v1, 10, 0x2000
	v_lshlrev_b32_e32 v0, 23, v0
	v_lshlrev_b32_sdwa v2, v2, v4 dst_sel:DWORD dst_unused:UNUSED_PAD src0_sel:DWORD src1_sel:WORD_0
	v_and_or_b32 v1, 0x8000, v2, v1
	v_lshl_or_b32 v65, v1, 16, v0
.LBB294_56:                             ;   in Loop: Header=BB294_10 Depth=1
	s_or_b32 exec_lo, exec_lo, s19
.LBB294_57:                             ;   in Loop: Header=BB294_10 Depth=1
	s_or_b32 exec_lo, exec_lo, s18
.LBB294_58:                             ;   in Loop: Header=BB294_10 Depth=1
	s_or_b32 exec_lo, exec_lo, s17
	v_lshrrev_b32_e32 v4, 16, v25
	v_cmp_ne_u16_sdwa s5, v4, v5 src0_sel:BYTE_0 src1_sel:DWORD
	s_and_saveexec_b32 s17, s5
	s_cbranch_execz .LBB294_66
; %bb.59:                               ;   in Loop: Header=BB294_10 Depth=1
	v_cmp_ne_u16_sdwa s5, v4, v37 src0_sel:BYTE_0 src1_sel:DWORD
	v_mov_b32_e32 v64, 0x8000
	s_and_saveexec_b32 s18, s5
	s_cbranch_execz .LBB294_65
; %bb.60:                               ;   in Loop: Header=BB294_10 Depth=1
	v_bfe_u32 v2, v25, 16, 7
	v_mov_b32_e32 v64, 0x7c01
	s_mov_b32 s19, exec_lo
	v_cmpx_ne_u32_e32 0x7f, v2
	s_cbranch_execz .LBB294_64
; %bb.61:                               ;   in Loop: Header=BB294_10 Depth=1
	v_and_b32_e32 v0, 7, v4
	v_lshrrev_b32_e32 v1, 3, v2
	s_mov_b32 s20, exec_lo
	v_cmpx_gt_u32_e32 8, v2
; %bb.62:                               ;   in Loop: Header=BB294_10 Depth=1
	v_ffbh_u32_e32 v0, v0
	v_min_u32_e32 v2, 32, v0
	v_subrev_nc_u32_e32 v0, 28, v2
	v_lshlrev_b64 v[0:1], v0, v[4:5]
	v_sub_nc_u32_e32 v1, 29, v2
	v_and_b32_e32 v0, 7, v0
; %bb.63:                               ;   in Loop: Header=BB294_10 Depth=1
	s_or_b32 exec_lo, exec_lo, s20
	v_lshlrev_b32_e32 v2, 8, v4
	v_lshl_add_u32 v1, v1, 10, 0x2000
	v_lshlrev_b32_e32 v0, 7, v0
	v_and_b32_e32 v2, 0x8000, v2
	v_and_b32_e32 v1, 0xfc00, v1
	v_or3_b32 v64, v2, v1, v0
.LBB294_64:                             ;   in Loop: Header=BB294_10 Depth=1
	s_or_b32 exec_lo, exec_lo, s19
.LBB294_65:                             ;   in Loop: Header=BB294_10 Depth=1
	s_or_b32 exec_lo, exec_lo, s18
.LBB294_66:                             ;   in Loop: Header=BB294_10 Depth=1
	s_or_b32 exec_lo, exec_lo, s17
	v_mov_b32_e32 v67, 0
	v_mov_b32_e32 v66, 0
	s_mov_b32 s17, exec_lo
	v_cmpx_lt_u64_e64 s[6:7], v[24:25]
	s_cbranch_execz .LBB294_74
; %bb.67:                               ;   in Loop: Header=BB294_10 Depth=1
	v_lshrrev_b32_e32 v4, 24, v25
	v_bfrev_b32_e32 v66, 1
	s_mov_b32 s18, exec_lo
	v_cmpx_ne_u32_e32 0x80, v4
	s_cbranch_execz .LBB294_73
; %bb.68:                               ;   in Loop: Header=BB294_10 Depth=1
	v_and_b32_e32 v2, 0x7f, v4
	v_mov_b32_e32 v66, 0x7c010000
	s_mov_b32 s19, exec_lo
	v_cmpx_ne_u32_e32 0x7f, v2
	s_cbranch_execz .LBB294_72
; %bb.69:                               ;   in Loop: Header=BB294_10 Depth=1
	v_and_b32_e32 v0, 7, v4
	v_lshrrev_b32_e32 v1, 3, v2
	s_mov_b32 s20, exec_lo
	v_cmpx_gt_u32_e32 8, v2
; %bb.70:                               ;   in Loop: Header=BB294_10 Depth=1
	v_ffbh_u32_e32 v0, v0
	v_min_u32_e32 v2, 32, v0
	v_subrev_nc_u32_e32 v0, 28, v2
	v_lshlrev_b64 v[0:1], v0, v[4:5]
	v_sub_nc_u32_e32 v1, 29, v2
	v_and_b32_e32 v0, 7, v0
; %bb.71:                               ;   in Loop: Header=BB294_10 Depth=1
	s_or_b32 exec_lo, exec_lo, s20
	v_lshlrev_b32_e32 v2, 8, v4
	v_lshl_add_u32 v1, v1, 10, 0x2000
	v_lshlrev_b32_e32 v0, 23, v0
	v_and_or_b32 v1, 0x8000, v2, v1
	v_lshl_or_b32 v66, v1, 16, v0
.LBB294_72:                             ;   in Loop: Header=BB294_10 Depth=1
	s_or_b32 exec_lo, exec_lo, s19
.LBB294_73:                             ;   in Loop: Header=BB294_10 Depth=1
	s_or_b32 exec_lo, exec_lo, s18
.LBB294_74:                             ;   in Loop: Header=BB294_10 Depth=1
	s_or_b32 exec_lo, exec_lo, s17
	flat_load_dwordx2 v[24:25], v[16:17] offset:8
	s_waitcnt vmcnt(0) lgkmcnt(0)
	v_cmp_ne_u16_sdwa s5, v24, v5 src0_sel:BYTE_0 src1_sel:DWORD
	s_and_saveexec_b32 s17, s5
	s_cbranch_execz .LBB294_82
; %bb.75:                               ;   in Loop: Header=BB294_10 Depth=1
	v_cmp_ne_u16_sdwa s5, v24, v37 src0_sel:BYTE_0 src1_sel:DWORD
	v_mov_b32_e32 v67, 0x8000
	s_and_saveexec_b32 s18, s5
	s_cbranch_execz .LBB294_81
; %bb.76:                               ;   in Loop: Header=BB294_10 Depth=1
	v_and_b32_e32 v2, 0x7f, v24
	v_mov_b32_e32 v67, 0x7c01
	s_mov_b32 s19, exec_lo
	v_cmpx_ne_u32_e32 0x7f, v2
	s_cbranch_execz .LBB294_80
; %bb.77:                               ;   in Loop: Header=BB294_10 Depth=1
	v_and_b32_e32 v0, 7, v24
	v_lshrrev_b32_e32 v1, 3, v2
	s_mov_b32 s20, exec_lo
	v_cmpx_gt_u32_e32 8, v2
; %bb.78:                               ;   in Loop: Header=BB294_10 Depth=1
	v_ffbh_u32_e32 v0, v0
	v_min_u32_e32 v2, 32, v0
	v_subrev_nc_u32_e32 v0, 28, v2
	v_lshlrev_b64 v[0:1], v0, v[24:25]
	v_sub_nc_u32_e32 v1, 29, v2
	v_and_b32_e32 v0, 7, v0
; %bb.79:                               ;   in Loop: Header=BB294_10 Depth=1
	s_or_b32 exec_lo, exec_lo, s20
	v_lshlrev_b32_e32 v2, 8, v24
	v_lshl_add_u32 v1, v1, 10, 0x2000
	v_lshlrev_b32_e32 v0, 7, v0
	v_and_b32_e32 v2, 0x8000, v2
	v_and_b32_e32 v1, 0xfc00, v1
	v_or3_b32 v67, v2, v1, v0
.LBB294_80:                             ;   in Loop: Header=BB294_10 Depth=1
	s_or_b32 exec_lo, exec_lo, s19
.LBB294_81:                             ;   in Loop: Header=BB294_10 Depth=1
	s_or_b32 exec_lo, exec_lo, s18
.LBB294_82:                             ;   in Loop: Header=BB294_10 Depth=1
	s_or_b32 exec_lo, exec_lo, s17
	v_lshrrev_b16 v4, 8, v24
	v_mov_b32_e32 v69, 0
	v_mov_b32_e32 v68, 0
	s_mov_b32 s17, exec_lo
	v_cmpx_ne_u16_e32 0, v4
	s_cbranch_execz .LBB294_90
; %bb.83:                               ;   in Loop: Header=BB294_10 Depth=1
	v_bfrev_b32_e32 v68, 1
	s_mov_b32 s18, exec_lo
	v_cmpx_ne_u16_e32 0x80, v4
	s_cbranch_execz .LBB294_89
; %bb.84:                               ;   in Loop: Header=BB294_10 Depth=1
	v_mov_b32_e32 v0, 0x7f
	v_mov_b32_e32 v68, 0x7c010000
	s_mov_b32 s19, exec_lo
	v_and_b32_sdwa v2, v4, v0 dst_sel:DWORD dst_unused:UNUSED_PAD src0_sel:WORD_0 src1_sel:DWORD
	v_cmpx_ne_u32_e32 0x7f, v2
	s_cbranch_execz .LBB294_88
; %bb.85:                               ;   in Loop: Header=BB294_10 Depth=1
	v_mov_b32_e32 v0, 7
	v_lshrrev_b32_e32 v1, 3, v2
	s_mov_b32 s20, exec_lo
	v_and_b32_sdwa v0, v4, v0 dst_sel:DWORD dst_unused:UNUSED_PAD src0_sel:WORD_0 src1_sel:DWORD
	v_cmpx_gt_u32_e32 8, v2
; %bb.86:                               ;   in Loop: Header=BB294_10 Depth=1
	v_ffbh_u32_e32 v0, v0
	v_min_u32_e32 v2, 32, v0
	v_subrev_nc_u32_e32 v0, 28, v2
	v_lshlrev_b64 v[0:1], v0, v[4:5]
	v_sub_nc_u32_e32 v1, 29, v2
	v_and_b32_e32 v0, 7, v0
; %bb.87:                               ;   in Loop: Header=BB294_10 Depth=1
	s_or_b32 exec_lo, exec_lo, s20
	v_mov_b32_e32 v2, 8
	v_lshl_add_u32 v1, v1, 10, 0x2000
	v_lshlrev_b32_e32 v0, 23, v0
	v_lshlrev_b32_sdwa v2, v2, v4 dst_sel:DWORD dst_unused:UNUSED_PAD src0_sel:DWORD src1_sel:WORD_0
	v_and_or_b32 v1, 0x8000, v2, v1
	v_lshl_or_b32 v68, v1, 16, v0
.LBB294_88:                             ;   in Loop: Header=BB294_10 Depth=1
	s_or_b32 exec_lo, exec_lo, s19
.LBB294_89:                             ;   in Loop: Header=BB294_10 Depth=1
	s_or_b32 exec_lo, exec_lo, s18
.LBB294_90:                             ;   in Loop: Header=BB294_10 Depth=1
	s_or_b32 exec_lo, exec_lo, s17
	v_lshrrev_b32_e32 v4, 16, v24
	v_cmp_ne_u16_sdwa s5, v4, v5 src0_sel:BYTE_0 src1_sel:DWORD
	s_and_saveexec_b32 s17, s5
	s_cbranch_execz .LBB294_98
; %bb.91:                               ;   in Loop: Header=BB294_10 Depth=1
	v_cmp_ne_u16_sdwa s5, v4, v37 src0_sel:BYTE_0 src1_sel:DWORD
	v_mov_b32_e32 v69, 0x8000
	s_and_saveexec_b32 s18, s5
	s_cbranch_execz .LBB294_97
; %bb.92:                               ;   in Loop: Header=BB294_10 Depth=1
	v_bfe_u32 v2, v24, 16, 7
	v_mov_b32_e32 v69, 0x7c01
	s_mov_b32 s19, exec_lo
	v_cmpx_ne_u32_e32 0x7f, v2
	s_cbranch_execz .LBB294_96
; %bb.93:                               ;   in Loop: Header=BB294_10 Depth=1
	v_and_b32_e32 v0, 7, v4
	v_lshrrev_b32_e32 v1, 3, v2
	s_mov_b32 s20, exec_lo
	v_cmpx_gt_u32_e32 8, v2
; %bb.94:                               ;   in Loop: Header=BB294_10 Depth=1
	v_ffbh_u32_e32 v0, v0
	v_min_u32_e32 v2, 32, v0
	v_subrev_nc_u32_e32 v0, 28, v2
	v_lshlrev_b64 v[0:1], v0, v[4:5]
	v_sub_nc_u32_e32 v1, 29, v2
	v_and_b32_e32 v0, 7, v0
; %bb.95:                               ;   in Loop: Header=BB294_10 Depth=1
	s_or_b32 exec_lo, exec_lo, s20
	v_lshlrev_b32_e32 v2, 8, v4
	v_lshl_add_u32 v1, v1, 10, 0x2000
	v_lshlrev_b32_e32 v0, 7, v0
	v_and_b32_e32 v2, 0x8000, v2
	v_and_b32_e32 v1, 0xfc00, v1
	v_or3_b32 v69, v2, v1, v0
.LBB294_96:                             ;   in Loop: Header=BB294_10 Depth=1
	s_or_b32 exec_lo, exec_lo, s19
.LBB294_97:                             ;   in Loop: Header=BB294_10 Depth=1
	s_or_b32 exec_lo, exec_lo, s18
.LBB294_98:                             ;   in Loop: Header=BB294_10 Depth=1
	s_or_b32 exec_lo, exec_lo, s17
	v_mov_b32_e32 v70, 0
	v_mov_b32_e32 v71, 0
	s_mov_b32 s17, exec_lo
	v_cmpx_lt_u32_e32 0xffffff, v24
	s_cbranch_execz .LBB294_106
; %bb.99:                               ;   in Loop: Header=BB294_10 Depth=1
	v_lshrrev_b32_e32 v4, 24, v24
	v_bfrev_b32_e32 v71, 1
	s_mov_b32 s18, exec_lo
	v_cmpx_ne_u32_e32 0x80, v4
	s_cbranch_execz .LBB294_105
; %bb.100:                              ;   in Loop: Header=BB294_10 Depth=1
	v_and_b32_e32 v2, 0x7f, v4
	v_mov_b32_e32 v71, 0x7c010000
	s_mov_b32 s19, exec_lo
	v_cmpx_ne_u32_e32 0x7f, v2
	s_cbranch_execz .LBB294_104
; %bb.101:                              ;   in Loop: Header=BB294_10 Depth=1
	v_and_b32_e32 v0, 7, v4
	v_lshrrev_b32_e32 v1, 3, v2
	s_mov_b32 s20, exec_lo
	v_cmpx_gt_u32_e32 8, v2
; %bb.102:                              ;   in Loop: Header=BB294_10 Depth=1
	v_ffbh_u32_e32 v0, v0
	v_min_u32_e32 v2, 32, v0
	v_subrev_nc_u32_e32 v0, 28, v2
	v_lshlrev_b64 v[0:1], v0, v[4:5]
	v_sub_nc_u32_e32 v1, 29, v2
	v_and_b32_e32 v0, 7, v0
; %bb.103:                              ;   in Loop: Header=BB294_10 Depth=1
	s_or_b32 exec_lo, exec_lo, s20
	v_lshlrev_b32_e32 v2, 8, v4
	v_lshl_add_u32 v1, v1, 10, 0x2000
	v_lshlrev_b32_e32 v0, 23, v0
	v_and_or_b32 v1, 0x8000, v2, v1
	v_lshl_or_b32 v71, v1, 16, v0
.LBB294_104:                            ;   in Loop: Header=BB294_10 Depth=1
	s_or_b32 exec_lo, exec_lo, s19
.LBB294_105:                            ;   in Loop: Header=BB294_10 Depth=1
	s_or_b32 exec_lo, exec_lo, s18
.LBB294_106:                            ;   in Loop: Header=BB294_10 Depth=1
	s_or_b32 exec_lo, exec_lo, s17
	v_mov_b32_e32 v4, v25
	v_cmp_ne_u16_sdwa s5, v25, v5 src0_sel:BYTE_0 src1_sel:DWORD
	s_and_saveexec_b32 s17, s5
	s_cbranch_execz .LBB294_114
; %bb.107:                              ;   in Loop: Header=BB294_10 Depth=1
	v_cmp_ne_u16_sdwa s5, v25, v37 src0_sel:BYTE_0 src1_sel:DWORD
	v_mov_b32_e32 v70, 0x8000
	s_and_saveexec_b32 s18, s5
	s_cbranch_execz .LBB294_113
; %bb.108:                              ;   in Loop: Header=BB294_10 Depth=1
	v_and_b32_e32 v2, 0x7f, v25
	v_mov_b32_e32 v70, 0x7c01
	s_mov_b32 s19, exec_lo
	v_cmpx_ne_u32_e32 0x7f, v2
	s_cbranch_execz .LBB294_112
; %bb.109:                              ;   in Loop: Header=BB294_10 Depth=1
	v_and_b32_e32 v0, 7, v25
	v_lshrrev_b32_e32 v1, 3, v2
	s_mov_b32 s20, exec_lo
	v_cmpx_gt_u32_e32 8, v2
; %bb.110:                              ;   in Loop: Header=BB294_10 Depth=1
	v_ffbh_u32_e32 v0, v0
	v_min_u32_e32 v2, 32, v0
	v_subrev_nc_u32_e32 v0, 28, v2
	v_lshlrev_b64 v[0:1], v0, v[4:5]
	v_sub_nc_u32_e32 v1, 29, v2
	v_and_b32_e32 v0, 7, v0
; %bb.111:                              ;   in Loop: Header=BB294_10 Depth=1
	s_or_b32 exec_lo, exec_lo, s20
	v_lshlrev_b32_e32 v2, 8, v25
	v_lshl_add_u32 v1, v1, 10, 0x2000
	v_lshlrev_b32_e32 v0, 7, v0
	v_and_b32_e32 v2, 0x8000, v2
	v_and_b32_e32 v1, 0xfc00, v1
	v_or3_b32 v70, v2, v1, v0
.LBB294_112:                            ;   in Loop: Header=BB294_10 Depth=1
	s_or_b32 exec_lo, exec_lo, s19
.LBB294_113:                            ;   in Loop: Header=BB294_10 Depth=1
	s_or_b32 exec_lo, exec_lo, s18
.LBB294_114:                            ;   in Loop: Header=BB294_10 Depth=1
	s_or_b32 exec_lo, exec_lo, s17
	v_lshrrev_b16 v4, 8, v4
	v_mov_b32_e32 v80, 0
	v_mov_b32_e32 v81, 0
	s_mov_b32 s17, exec_lo
	v_cmpx_ne_u16_e32 0, v4
	s_cbranch_execz .LBB294_122
; %bb.115:                              ;   in Loop: Header=BB294_10 Depth=1
	v_bfrev_b32_e32 v81, 1
	s_mov_b32 s18, exec_lo
	v_cmpx_ne_u16_e32 0x80, v4
	s_cbranch_execz .LBB294_121
; %bb.116:                              ;   in Loop: Header=BB294_10 Depth=1
	v_mov_b32_e32 v0, 0x7f
	v_mov_b32_e32 v81, 0x7c010000
	s_mov_b32 s19, exec_lo
	v_and_b32_sdwa v2, v4, v0 dst_sel:DWORD dst_unused:UNUSED_PAD src0_sel:WORD_0 src1_sel:DWORD
	v_cmpx_ne_u32_e32 0x7f, v2
	s_cbranch_execz .LBB294_120
; %bb.117:                              ;   in Loop: Header=BB294_10 Depth=1
	v_mov_b32_e32 v0, 7
	v_lshrrev_b32_e32 v1, 3, v2
	s_mov_b32 s20, exec_lo
	v_and_b32_sdwa v0, v4, v0 dst_sel:DWORD dst_unused:UNUSED_PAD src0_sel:WORD_0 src1_sel:DWORD
	v_cmpx_gt_u32_e32 8, v2
; %bb.118:                              ;   in Loop: Header=BB294_10 Depth=1
	v_ffbh_u32_e32 v0, v0
	v_min_u32_e32 v2, 32, v0
	v_subrev_nc_u32_e32 v0, 28, v2
	v_lshlrev_b64 v[0:1], v0, v[4:5]
	v_sub_nc_u32_e32 v1, 29, v2
	v_and_b32_e32 v0, 7, v0
; %bb.119:                              ;   in Loop: Header=BB294_10 Depth=1
	s_or_b32 exec_lo, exec_lo, s20
	v_mov_b32_e32 v2, 8
	v_lshl_add_u32 v1, v1, 10, 0x2000
	v_lshlrev_b32_e32 v0, 23, v0
	v_lshlrev_b32_sdwa v2, v2, v4 dst_sel:DWORD dst_unused:UNUSED_PAD src0_sel:DWORD src1_sel:WORD_0
	v_and_or_b32 v1, 0x8000, v2, v1
	v_lshl_or_b32 v81, v1, 16, v0
.LBB294_120:                            ;   in Loop: Header=BB294_10 Depth=1
	s_or_b32 exec_lo, exec_lo, s19
.LBB294_121:                            ;   in Loop: Header=BB294_10 Depth=1
	s_or_b32 exec_lo, exec_lo, s18
.LBB294_122:                            ;   in Loop: Header=BB294_10 Depth=1
	s_or_b32 exec_lo, exec_lo, s17
	v_lshrrev_b32_e32 v4, 16, v25
	v_cmp_ne_u16_sdwa s5, v4, v5 src0_sel:BYTE_0 src1_sel:DWORD
	s_and_saveexec_b32 s17, s5
	s_cbranch_execz .LBB294_130
; %bb.123:                              ;   in Loop: Header=BB294_10 Depth=1
	v_cmp_ne_u16_sdwa s5, v4, v37 src0_sel:BYTE_0 src1_sel:DWORD
	v_mov_b32_e32 v80, 0x8000
	s_and_saveexec_b32 s18, s5
	s_cbranch_execz .LBB294_129
; %bb.124:                              ;   in Loop: Header=BB294_10 Depth=1
	v_bfe_u32 v2, v25, 16, 7
	v_mov_b32_e32 v80, 0x7c01
	s_mov_b32 s19, exec_lo
	v_cmpx_ne_u32_e32 0x7f, v2
	s_cbranch_execz .LBB294_128
; %bb.125:                              ;   in Loop: Header=BB294_10 Depth=1
	v_and_b32_e32 v0, 7, v4
	v_lshrrev_b32_e32 v1, 3, v2
	s_mov_b32 s20, exec_lo
	v_cmpx_gt_u32_e32 8, v2
; %bb.126:                              ;   in Loop: Header=BB294_10 Depth=1
	v_ffbh_u32_e32 v0, v0
	v_min_u32_e32 v2, 32, v0
	v_subrev_nc_u32_e32 v0, 28, v2
	v_lshlrev_b64 v[0:1], v0, v[4:5]
	v_sub_nc_u32_e32 v1, 29, v2
	v_and_b32_e32 v0, 7, v0
; %bb.127:                              ;   in Loop: Header=BB294_10 Depth=1
	s_or_b32 exec_lo, exec_lo, s20
	v_lshlrev_b32_e32 v2, 8, v4
	v_lshl_add_u32 v1, v1, 10, 0x2000
	v_lshlrev_b32_e32 v0, 7, v0
	v_and_b32_e32 v2, 0x8000, v2
	v_and_b32_e32 v1, 0xfc00, v1
	v_or3_b32 v80, v2, v1, v0
.LBB294_128:                            ;   in Loop: Header=BB294_10 Depth=1
	s_or_b32 exec_lo, exec_lo, s19
.LBB294_129:                            ;   in Loop: Header=BB294_10 Depth=1
	s_or_b32 exec_lo, exec_lo, s18
.LBB294_130:                            ;   in Loop: Header=BB294_10 Depth=1
	s_or_b32 exec_lo, exec_lo, s17
	v_mov_b32_e32 v83, 0
	v_mov_b32_e32 v82, 0
	s_mov_b32 s17, exec_lo
	v_cmpx_lt_u64_e64 s[6:7], v[24:25]
	s_cbranch_execz .LBB294_138
; %bb.131:                              ;   in Loop: Header=BB294_10 Depth=1
	v_lshrrev_b32_e32 v4, 24, v25
	v_bfrev_b32_e32 v82, 1
	s_mov_b32 s18, exec_lo
	v_cmpx_ne_u32_e32 0x80, v4
	s_cbranch_execz .LBB294_137
; %bb.132:                              ;   in Loop: Header=BB294_10 Depth=1
	v_and_b32_e32 v2, 0x7f, v4
	v_mov_b32_e32 v82, 0x7c010000
	s_mov_b32 s19, exec_lo
	v_cmpx_ne_u32_e32 0x7f, v2
	s_cbranch_execz .LBB294_136
; %bb.133:                              ;   in Loop: Header=BB294_10 Depth=1
	v_and_b32_e32 v0, 7, v4
	v_lshrrev_b32_e32 v1, 3, v2
	s_mov_b32 s20, exec_lo
	v_cmpx_gt_u32_e32 8, v2
; %bb.134:                              ;   in Loop: Header=BB294_10 Depth=1
	v_ffbh_u32_e32 v0, v0
	v_min_u32_e32 v2, 32, v0
	v_subrev_nc_u32_e32 v0, 28, v2
	v_lshlrev_b64 v[0:1], v0, v[4:5]
	v_sub_nc_u32_e32 v1, 29, v2
	v_and_b32_e32 v0, 7, v0
; %bb.135:                              ;   in Loop: Header=BB294_10 Depth=1
	s_or_b32 exec_lo, exec_lo, s20
	v_lshlrev_b32_e32 v2, 8, v4
	v_lshl_add_u32 v1, v1, 10, 0x2000
	v_lshlrev_b32_e32 v0, 23, v0
	v_and_or_b32 v1, 0x8000, v2, v1
	v_lshl_or_b32 v82, v1, 16, v0
.LBB294_136:                            ;   in Loop: Header=BB294_10 Depth=1
	s_or_b32 exec_lo, exec_lo, s19
.LBB294_137:                            ;   in Loop: Header=BB294_10 Depth=1
	s_or_b32 exec_lo, exec_lo, s18
.LBB294_138:                            ;   in Loop: Header=BB294_10 Depth=1
	s_or_b32 exec_lo, exec_lo, s17
	flat_load_dwordx2 v[24:25], v[16:17] offset:512
	s_waitcnt vmcnt(0) lgkmcnt(0)
	v_cmp_ne_u16_sdwa s5, v24, v5 src0_sel:BYTE_0 src1_sel:DWORD
	s_and_saveexec_b32 s17, s5
	s_cbranch_execz .LBB294_146
; %bb.139:                              ;   in Loop: Header=BB294_10 Depth=1
	v_cmp_ne_u16_sdwa s5, v24, v37 src0_sel:BYTE_0 src1_sel:DWORD
	v_mov_b32_e32 v83, 0x8000
	s_and_saveexec_b32 s18, s5
	s_cbranch_execz .LBB294_145
; %bb.140:                              ;   in Loop: Header=BB294_10 Depth=1
	v_and_b32_e32 v2, 0x7f, v24
	v_mov_b32_e32 v83, 0x7c01
	s_mov_b32 s19, exec_lo
	v_cmpx_ne_u32_e32 0x7f, v2
	s_cbranch_execz .LBB294_144
; %bb.141:                              ;   in Loop: Header=BB294_10 Depth=1
	v_and_b32_e32 v0, 7, v24
	v_lshrrev_b32_e32 v1, 3, v2
	s_mov_b32 s20, exec_lo
	v_cmpx_gt_u32_e32 8, v2
; %bb.142:                              ;   in Loop: Header=BB294_10 Depth=1
	v_ffbh_u32_e32 v0, v0
	v_min_u32_e32 v2, 32, v0
	v_subrev_nc_u32_e32 v0, 28, v2
	v_lshlrev_b64 v[0:1], v0, v[24:25]
	v_sub_nc_u32_e32 v1, 29, v2
	v_and_b32_e32 v0, 7, v0
; %bb.143:                              ;   in Loop: Header=BB294_10 Depth=1
	s_or_b32 exec_lo, exec_lo, s20
	v_lshlrev_b32_e32 v2, 8, v24
	v_lshl_add_u32 v1, v1, 10, 0x2000
	v_lshlrev_b32_e32 v0, 7, v0
	v_and_b32_e32 v2, 0x8000, v2
	v_and_b32_e32 v1, 0xfc00, v1
	v_or3_b32 v83, v2, v1, v0
.LBB294_144:                            ;   in Loop: Header=BB294_10 Depth=1
	s_or_b32 exec_lo, exec_lo, s19
.LBB294_145:                            ;   in Loop: Header=BB294_10 Depth=1
	s_or_b32 exec_lo, exec_lo, s18
.LBB294_146:                            ;   in Loop: Header=BB294_10 Depth=1
	s_or_b32 exec_lo, exec_lo, s17
	v_lshrrev_b16 v4, 8, v24
	v_mov_b32_e32 v85, 0
	v_mov_b32_e32 v84, 0
	s_mov_b32 s17, exec_lo
	v_cmpx_ne_u16_e32 0, v4
	s_cbranch_execz .LBB294_154
; %bb.147:                              ;   in Loop: Header=BB294_10 Depth=1
	v_bfrev_b32_e32 v84, 1
	s_mov_b32 s18, exec_lo
	v_cmpx_ne_u16_e32 0x80, v4
	s_cbranch_execz .LBB294_153
; %bb.148:                              ;   in Loop: Header=BB294_10 Depth=1
	v_mov_b32_e32 v0, 0x7f
	v_mov_b32_e32 v84, 0x7c010000
	s_mov_b32 s19, exec_lo
	v_and_b32_sdwa v2, v4, v0 dst_sel:DWORD dst_unused:UNUSED_PAD src0_sel:WORD_0 src1_sel:DWORD
	v_cmpx_ne_u32_e32 0x7f, v2
	s_cbranch_execz .LBB294_152
; %bb.149:                              ;   in Loop: Header=BB294_10 Depth=1
	v_mov_b32_e32 v0, 7
	v_lshrrev_b32_e32 v1, 3, v2
	s_mov_b32 s20, exec_lo
	v_and_b32_sdwa v0, v4, v0 dst_sel:DWORD dst_unused:UNUSED_PAD src0_sel:WORD_0 src1_sel:DWORD
	v_cmpx_gt_u32_e32 8, v2
; %bb.150:                              ;   in Loop: Header=BB294_10 Depth=1
	v_ffbh_u32_e32 v0, v0
	v_min_u32_e32 v2, 32, v0
	v_subrev_nc_u32_e32 v0, 28, v2
	v_lshlrev_b64 v[0:1], v0, v[4:5]
	v_sub_nc_u32_e32 v1, 29, v2
	v_and_b32_e32 v0, 7, v0
; %bb.151:                              ;   in Loop: Header=BB294_10 Depth=1
	s_or_b32 exec_lo, exec_lo, s20
	v_mov_b32_e32 v2, 8
	v_lshl_add_u32 v1, v1, 10, 0x2000
	v_lshlrev_b32_e32 v0, 23, v0
	v_lshlrev_b32_sdwa v2, v2, v4 dst_sel:DWORD dst_unused:UNUSED_PAD src0_sel:DWORD src1_sel:WORD_0
	v_and_or_b32 v1, 0x8000, v2, v1
	v_lshl_or_b32 v84, v1, 16, v0
.LBB294_152:                            ;   in Loop: Header=BB294_10 Depth=1
	s_or_b32 exec_lo, exec_lo, s19
.LBB294_153:                            ;   in Loop: Header=BB294_10 Depth=1
	s_or_b32 exec_lo, exec_lo, s18
.LBB294_154:                            ;   in Loop: Header=BB294_10 Depth=1
	s_or_b32 exec_lo, exec_lo, s17
	v_lshrrev_b32_e32 v4, 16, v24
	v_cmp_ne_u16_sdwa s5, v4, v5 src0_sel:BYTE_0 src1_sel:DWORD
	s_and_saveexec_b32 s17, s5
	s_cbranch_execz .LBB294_162
; %bb.155:                              ;   in Loop: Header=BB294_10 Depth=1
	v_cmp_ne_u16_sdwa s5, v4, v37 src0_sel:BYTE_0 src1_sel:DWORD
	v_mov_b32_e32 v85, 0x8000
	s_and_saveexec_b32 s18, s5
	s_cbranch_execz .LBB294_161
; %bb.156:                              ;   in Loop: Header=BB294_10 Depth=1
	v_bfe_u32 v2, v24, 16, 7
	v_mov_b32_e32 v85, 0x7c01
	s_mov_b32 s19, exec_lo
	v_cmpx_ne_u32_e32 0x7f, v2
	s_cbranch_execz .LBB294_160
; %bb.157:                              ;   in Loop: Header=BB294_10 Depth=1
	v_and_b32_e32 v0, 7, v4
	v_lshrrev_b32_e32 v1, 3, v2
	s_mov_b32 s20, exec_lo
	v_cmpx_gt_u32_e32 8, v2
; %bb.158:                              ;   in Loop: Header=BB294_10 Depth=1
	v_ffbh_u32_e32 v0, v0
	v_min_u32_e32 v2, 32, v0
	v_subrev_nc_u32_e32 v0, 28, v2
	v_lshlrev_b64 v[0:1], v0, v[4:5]
	v_sub_nc_u32_e32 v1, 29, v2
	v_and_b32_e32 v0, 7, v0
; %bb.159:                              ;   in Loop: Header=BB294_10 Depth=1
	s_or_b32 exec_lo, exec_lo, s20
	v_lshlrev_b32_e32 v2, 8, v4
	v_lshl_add_u32 v1, v1, 10, 0x2000
	v_lshlrev_b32_e32 v0, 7, v0
	v_and_b32_e32 v2, 0x8000, v2
	v_and_b32_e32 v1, 0xfc00, v1
	v_or3_b32 v85, v2, v1, v0
.LBB294_160:                            ;   in Loop: Header=BB294_10 Depth=1
	s_or_b32 exec_lo, exec_lo, s19
.LBB294_161:                            ;   in Loop: Header=BB294_10 Depth=1
	s_or_b32 exec_lo, exec_lo, s18
.LBB294_162:                            ;   in Loop: Header=BB294_10 Depth=1
	s_or_b32 exec_lo, exec_lo, s17
	v_mov_b32_e32 v86, 0
	v_mov_b32_e32 v87, 0
	s_mov_b32 s17, exec_lo
	v_cmpx_lt_u32_e32 0xffffff, v24
	s_cbranch_execz .LBB294_170
; %bb.163:                              ;   in Loop: Header=BB294_10 Depth=1
	v_lshrrev_b32_e32 v4, 24, v24
	v_bfrev_b32_e32 v87, 1
	s_mov_b32 s18, exec_lo
	v_cmpx_ne_u32_e32 0x80, v4
	s_cbranch_execz .LBB294_169
; %bb.164:                              ;   in Loop: Header=BB294_10 Depth=1
	v_and_b32_e32 v2, 0x7f, v4
	v_mov_b32_e32 v87, 0x7c010000
	s_mov_b32 s19, exec_lo
	v_cmpx_ne_u32_e32 0x7f, v2
	s_cbranch_execz .LBB294_168
; %bb.165:                              ;   in Loop: Header=BB294_10 Depth=1
	v_and_b32_e32 v0, 7, v4
	v_lshrrev_b32_e32 v1, 3, v2
	s_mov_b32 s20, exec_lo
	v_cmpx_gt_u32_e32 8, v2
; %bb.166:                              ;   in Loop: Header=BB294_10 Depth=1
	v_ffbh_u32_e32 v0, v0
	v_min_u32_e32 v2, 32, v0
	v_subrev_nc_u32_e32 v0, 28, v2
	v_lshlrev_b64 v[0:1], v0, v[4:5]
	v_sub_nc_u32_e32 v1, 29, v2
	v_and_b32_e32 v0, 7, v0
; %bb.167:                              ;   in Loop: Header=BB294_10 Depth=1
	s_or_b32 exec_lo, exec_lo, s20
	v_lshlrev_b32_e32 v2, 8, v4
	v_lshl_add_u32 v1, v1, 10, 0x2000
	v_lshlrev_b32_e32 v0, 23, v0
	v_and_or_b32 v1, 0x8000, v2, v1
	v_lshl_or_b32 v87, v1, 16, v0
.LBB294_168:                            ;   in Loop: Header=BB294_10 Depth=1
	s_or_b32 exec_lo, exec_lo, s19
.LBB294_169:                            ;   in Loop: Header=BB294_10 Depth=1
	s_or_b32 exec_lo, exec_lo, s18
.LBB294_170:                            ;   in Loop: Header=BB294_10 Depth=1
	s_or_b32 exec_lo, exec_lo, s17
	v_mov_b32_e32 v4, v25
	v_cmp_ne_u16_sdwa s5, v25, v5 src0_sel:BYTE_0 src1_sel:DWORD
	s_and_saveexec_b32 s17, s5
	s_cbranch_execz .LBB294_178
; %bb.171:                              ;   in Loop: Header=BB294_10 Depth=1
	v_cmp_ne_u16_sdwa s5, v25, v37 src0_sel:BYTE_0 src1_sel:DWORD
	v_mov_b32_e32 v86, 0x8000
	s_and_saveexec_b32 s18, s5
	s_cbranch_execz .LBB294_177
; %bb.172:                              ;   in Loop: Header=BB294_10 Depth=1
	v_and_b32_e32 v2, 0x7f, v25
	v_mov_b32_e32 v86, 0x7c01
	s_mov_b32 s19, exec_lo
	v_cmpx_ne_u32_e32 0x7f, v2
	s_cbranch_execz .LBB294_176
; %bb.173:                              ;   in Loop: Header=BB294_10 Depth=1
	v_and_b32_e32 v0, 7, v25
	v_lshrrev_b32_e32 v1, 3, v2
	s_mov_b32 s20, exec_lo
	v_cmpx_gt_u32_e32 8, v2
; %bb.174:                              ;   in Loop: Header=BB294_10 Depth=1
	v_ffbh_u32_e32 v0, v0
	v_min_u32_e32 v2, 32, v0
	v_subrev_nc_u32_e32 v0, 28, v2
	v_lshlrev_b64 v[0:1], v0, v[4:5]
	v_sub_nc_u32_e32 v1, 29, v2
	v_and_b32_e32 v0, 7, v0
; %bb.175:                              ;   in Loop: Header=BB294_10 Depth=1
	s_or_b32 exec_lo, exec_lo, s20
	v_lshlrev_b32_e32 v2, 8, v25
	v_lshl_add_u32 v1, v1, 10, 0x2000
	v_lshlrev_b32_e32 v0, 7, v0
	v_and_b32_e32 v2, 0x8000, v2
	v_and_b32_e32 v1, 0xfc00, v1
	v_or3_b32 v86, v2, v1, v0
.LBB294_176:                            ;   in Loop: Header=BB294_10 Depth=1
	s_or_b32 exec_lo, exec_lo, s19
.LBB294_177:                            ;   in Loop: Header=BB294_10 Depth=1
	s_or_b32 exec_lo, exec_lo, s18
.LBB294_178:                            ;   in Loop: Header=BB294_10 Depth=1
	s_or_b32 exec_lo, exec_lo, s17
	v_lshrrev_b16 v4, 8, v4
	v_mov_b32_e32 v96, 0
	v_mov_b32_e32 v97, 0
	s_mov_b32 s17, exec_lo
	v_cmpx_ne_u16_e32 0, v4
	s_cbranch_execz .LBB294_186
; %bb.179:                              ;   in Loop: Header=BB294_10 Depth=1
	v_bfrev_b32_e32 v97, 1
	s_mov_b32 s18, exec_lo
	v_cmpx_ne_u16_e32 0x80, v4
	s_cbranch_execz .LBB294_185
; %bb.180:                              ;   in Loop: Header=BB294_10 Depth=1
	v_mov_b32_e32 v0, 0x7f
	v_mov_b32_e32 v97, 0x7c010000
	s_mov_b32 s19, exec_lo
	v_and_b32_sdwa v2, v4, v0 dst_sel:DWORD dst_unused:UNUSED_PAD src0_sel:WORD_0 src1_sel:DWORD
	v_cmpx_ne_u32_e32 0x7f, v2
	s_cbranch_execz .LBB294_184
; %bb.181:                              ;   in Loop: Header=BB294_10 Depth=1
	v_mov_b32_e32 v0, 7
	v_lshrrev_b32_e32 v1, 3, v2
	s_mov_b32 s20, exec_lo
	v_and_b32_sdwa v0, v4, v0 dst_sel:DWORD dst_unused:UNUSED_PAD src0_sel:WORD_0 src1_sel:DWORD
	v_cmpx_gt_u32_e32 8, v2
; %bb.182:                              ;   in Loop: Header=BB294_10 Depth=1
	v_ffbh_u32_e32 v0, v0
	v_min_u32_e32 v2, 32, v0
	v_subrev_nc_u32_e32 v0, 28, v2
	v_lshlrev_b64 v[0:1], v0, v[4:5]
	v_sub_nc_u32_e32 v1, 29, v2
	v_and_b32_e32 v0, 7, v0
; %bb.183:                              ;   in Loop: Header=BB294_10 Depth=1
	s_or_b32 exec_lo, exec_lo, s20
	v_mov_b32_e32 v2, 8
	v_lshl_add_u32 v1, v1, 10, 0x2000
	v_lshlrev_b32_e32 v0, 23, v0
	v_lshlrev_b32_sdwa v2, v2, v4 dst_sel:DWORD dst_unused:UNUSED_PAD src0_sel:DWORD src1_sel:WORD_0
	v_and_or_b32 v1, 0x8000, v2, v1
	v_lshl_or_b32 v97, v1, 16, v0
.LBB294_184:                            ;   in Loop: Header=BB294_10 Depth=1
	s_or_b32 exec_lo, exec_lo, s19
.LBB294_185:                            ;   in Loop: Header=BB294_10 Depth=1
	s_or_b32 exec_lo, exec_lo, s18
.LBB294_186:                            ;   in Loop: Header=BB294_10 Depth=1
	s_or_b32 exec_lo, exec_lo, s17
	v_lshrrev_b32_e32 v4, 16, v25
	v_cmp_ne_u16_sdwa s5, v4, v5 src0_sel:BYTE_0 src1_sel:DWORD
	s_and_saveexec_b32 s17, s5
	s_cbranch_execz .LBB294_194
; %bb.187:                              ;   in Loop: Header=BB294_10 Depth=1
	v_cmp_ne_u16_sdwa s5, v4, v37 src0_sel:BYTE_0 src1_sel:DWORD
	v_mov_b32_e32 v96, 0x8000
	s_and_saveexec_b32 s18, s5
	s_cbranch_execz .LBB294_193
; %bb.188:                              ;   in Loop: Header=BB294_10 Depth=1
	v_bfe_u32 v2, v25, 16, 7
	v_mov_b32_e32 v96, 0x7c01
	s_mov_b32 s19, exec_lo
	v_cmpx_ne_u32_e32 0x7f, v2
	s_cbranch_execz .LBB294_192
; %bb.189:                              ;   in Loop: Header=BB294_10 Depth=1
	v_and_b32_e32 v0, 7, v4
	v_lshrrev_b32_e32 v1, 3, v2
	s_mov_b32 s20, exec_lo
	v_cmpx_gt_u32_e32 8, v2
; %bb.190:                              ;   in Loop: Header=BB294_10 Depth=1
	v_ffbh_u32_e32 v0, v0
	v_min_u32_e32 v2, 32, v0
	v_subrev_nc_u32_e32 v0, 28, v2
	v_lshlrev_b64 v[0:1], v0, v[4:5]
	v_sub_nc_u32_e32 v1, 29, v2
	v_and_b32_e32 v0, 7, v0
; %bb.191:                              ;   in Loop: Header=BB294_10 Depth=1
	s_or_b32 exec_lo, exec_lo, s20
	v_lshlrev_b32_e32 v2, 8, v4
	v_lshl_add_u32 v1, v1, 10, 0x2000
	v_lshlrev_b32_e32 v0, 7, v0
	v_and_b32_e32 v2, 0x8000, v2
	v_and_b32_e32 v1, 0xfc00, v1
	v_or3_b32 v96, v2, v1, v0
.LBB294_192:                            ;   in Loop: Header=BB294_10 Depth=1
	s_or_b32 exec_lo, exec_lo, s19
.LBB294_193:                            ;   in Loop: Header=BB294_10 Depth=1
	s_or_b32 exec_lo, exec_lo, s18
.LBB294_194:                            ;   in Loop: Header=BB294_10 Depth=1
	s_or_b32 exec_lo, exec_lo, s17
	v_mov_b32_e32 v99, 0
	v_mov_b32_e32 v98, 0
	s_mov_b32 s17, exec_lo
	v_cmpx_lt_u64_e64 s[6:7], v[24:25]
	s_cbranch_execz .LBB294_202
; %bb.195:                              ;   in Loop: Header=BB294_10 Depth=1
	v_lshrrev_b32_e32 v4, 24, v25
	v_bfrev_b32_e32 v98, 1
	s_mov_b32 s18, exec_lo
	v_cmpx_ne_u32_e32 0x80, v4
	s_cbranch_execz .LBB294_201
; %bb.196:                              ;   in Loop: Header=BB294_10 Depth=1
	v_and_b32_e32 v2, 0x7f, v4
	v_mov_b32_e32 v98, 0x7c010000
	s_mov_b32 s19, exec_lo
	v_cmpx_ne_u32_e32 0x7f, v2
	s_cbranch_execz .LBB294_200
; %bb.197:                              ;   in Loop: Header=BB294_10 Depth=1
	v_and_b32_e32 v0, 7, v4
	v_lshrrev_b32_e32 v1, 3, v2
	s_mov_b32 s20, exec_lo
	v_cmpx_gt_u32_e32 8, v2
; %bb.198:                              ;   in Loop: Header=BB294_10 Depth=1
	v_ffbh_u32_e32 v0, v0
	v_min_u32_e32 v2, 32, v0
	v_subrev_nc_u32_e32 v0, 28, v2
	v_lshlrev_b64 v[0:1], v0, v[4:5]
	v_sub_nc_u32_e32 v1, 29, v2
	v_and_b32_e32 v0, 7, v0
; %bb.199:                              ;   in Loop: Header=BB294_10 Depth=1
	s_or_b32 exec_lo, exec_lo, s20
	v_lshlrev_b32_e32 v2, 8, v4
	v_lshl_add_u32 v1, v1, 10, 0x2000
	v_lshlrev_b32_e32 v0, 23, v0
	v_and_or_b32 v1, 0x8000, v2, v1
	v_lshl_or_b32 v98, v1, 16, v0
.LBB294_200:                            ;   in Loop: Header=BB294_10 Depth=1
	s_or_b32 exec_lo, exec_lo, s19
.LBB294_201:                            ;   in Loop: Header=BB294_10 Depth=1
	s_or_b32 exec_lo, exec_lo, s18
.LBB294_202:                            ;   in Loop: Header=BB294_10 Depth=1
	s_or_b32 exec_lo, exec_lo, s17
	flat_load_dwordx2 v[24:25], v[16:17] offset:520
	s_waitcnt vmcnt(0) lgkmcnt(0)
	v_cmp_ne_u16_sdwa s5, v24, v5 src0_sel:BYTE_0 src1_sel:DWORD
	s_and_saveexec_b32 s17, s5
	s_cbranch_execz .LBB294_210
; %bb.203:                              ;   in Loop: Header=BB294_10 Depth=1
	v_cmp_ne_u16_sdwa s5, v24, v37 src0_sel:BYTE_0 src1_sel:DWORD
	v_mov_b32_e32 v99, 0x8000
	s_and_saveexec_b32 s18, s5
	s_cbranch_execz .LBB294_209
; %bb.204:                              ;   in Loop: Header=BB294_10 Depth=1
	v_and_b32_e32 v2, 0x7f, v24
	v_mov_b32_e32 v99, 0x7c01
	s_mov_b32 s19, exec_lo
	v_cmpx_ne_u32_e32 0x7f, v2
	s_cbranch_execz .LBB294_208
; %bb.205:                              ;   in Loop: Header=BB294_10 Depth=1
	v_and_b32_e32 v0, 7, v24
	v_lshrrev_b32_e32 v1, 3, v2
	s_mov_b32 s20, exec_lo
	v_cmpx_gt_u32_e32 8, v2
; %bb.206:                              ;   in Loop: Header=BB294_10 Depth=1
	v_ffbh_u32_e32 v0, v0
	v_min_u32_e32 v2, 32, v0
	v_subrev_nc_u32_e32 v0, 28, v2
	v_lshlrev_b64 v[0:1], v0, v[24:25]
	v_sub_nc_u32_e32 v1, 29, v2
	v_and_b32_e32 v0, 7, v0
; %bb.207:                              ;   in Loop: Header=BB294_10 Depth=1
	s_or_b32 exec_lo, exec_lo, s20
	v_lshlrev_b32_e32 v2, 8, v24
	v_lshl_add_u32 v1, v1, 10, 0x2000
	v_lshlrev_b32_e32 v0, 7, v0
	v_and_b32_e32 v2, 0x8000, v2
	v_and_b32_e32 v1, 0xfc00, v1
	v_or3_b32 v99, v2, v1, v0
.LBB294_208:                            ;   in Loop: Header=BB294_10 Depth=1
	s_or_b32 exec_lo, exec_lo, s19
.LBB294_209:                            ;   in Loop: Header=BB294_10 Depth=1
	s_or_b32 exec_lo, exec_lo, s18
.LBB294_210:                            ;   in Loop: Header=BB294_10 Depth=1
	s_or_b32 exec_lo, exec_lo, s17
	v_lshrrev_b16 v4, 8, v24
	v_mov_b32_e32 v101, 0
	v_mov_b32_e32 v100, 0
	s_mov_b32 s17, exec_lo
	v_cmpx_ne_u16_e32 0, v4
	s_cbranch_execz .LBB294_218
; %bb.211:                              ;   in Loop: Header=BB294_10 Depth=1
	v_bfrev_b32_e32 v100, 1
	s_mov_b32 s18, exec_lo
	v_cmpx_ne_u16_e32 0x80, v4
	s_cbranch_execz .LBB294_217
; %bb.212:                              ;   in Loop: Header=BB294_10 Depth=1
	v_mov_b32_e32 v0, 0x7f
	v_mov_b32_e32 v100, 0x7c010000
	s_mov_b32 s19, exec_lo
	v_and_b32_sdwa v2, v4, v0 dst_sel:DWORD dst_unused:UNUSED_PAD src0_sel:WORD_0 src1_sel:DWORD
	v_cmpx_ne_u32_e32 0x7f, v2
	s_cbranch_execz .LBB294_216
; %bb.213:                              ;   in Loop: Header=BB294_10 Depth=1
	v_mov_b32_e32 v0, 7
	v_lshrrev_b32_e32 v1, 3, v2
	s_mov_b32 s20, exec_lo
	v_and_b32_sdwa v0, v4, v0 dst_sel:DWORD dst_unused:UNUSED_PAD src0_sel:WORD_0 src1_sel:DWORD
	v_cmpx_gt_u32_e32 8, v2
; %bb.214:                              ;   in Loop: Header=BB294_10 Depth=1
	v_ffbh_u32_e32 v0, v0
	v_min_u32_e32 v2, 32, v0
	v_subrev_nc_u32_e32 v0, 28, v2
	v_lshlrev_b64 v[0:1], v0, v[4:5]
	v_sub_nc_u32_e32 v1, 29, v2
	v_and_b32_e32 v0, 7, v0
; %bb.215:                              ;   in Loop: Header=BB294_10 Depth=1
	s_or_b32 exec_lo, exec_lo, s20
	v_mov_b32_e32 v2, 8
	v_lshl_add_u32 v1, v1, 10, 0x2000
	v_lshlrev_b32_e32 v0, 23, v0
	v_lshlrev_b32_sdwa v2, v2, v4 dst_sel:DWORD dst_unused:UNUSED_PAD src0_sel:DWORD src1_sel:WORD_0
	v_and_or_b32 v1, 0x8000, v2, v1
	v_lshl_or_b32 v100, v1, 16, v0
.LBB294_216:                            ;   in Loop: Header=BB294_10 Depth=1
	s_or_b32 exec_lo, exec_lo, s19
.LBB294_217:                            ;   in Loop: Header=BB294_10 Depth=1
	s_or_b32 exec_lo, exec_lo, s18
.LBB294_218:                            ;   in Loop: Header=BB294_10 Depth=1
	s_or_b32 exec_lo, exec_lo, s17
	v_lshrrev_b32_e32 v4, 16, v24
	v_cmp_ne_u16_sdwa s5, v4, v5 src0_sel:BYTE_0 src1_sel:DWORD
	s_and_saveexec_b32 s17, s5
	s_cbranch_execz .LBB294_226
; %bb.219:                              ;   in Loop: Header=BB294_10 Depth=1
	v_cmp_ne_u16_sdwa s5, v4, v37 src0_sel:BYTE_0 src1_sel:DWORD
	v_mov_b32_e32 v101, 0x8000
	s_and_saveexec_b32 s18, s5
	s_cbranch_execz .LBB294_225
; %bb.220:                              ;   in Loop: Header=BB294_10 Depth=1
	v_bfe_u32 v2, v24, 16, 7
	v_mov_b32_e32 v101, 0x7c01
	s_mov_b32 s19, exec_lo
	v_cmpx_ne_u32_e32 0x7f, v2
	s_cbranch_execz .LBB294_224
; %bb.221:                              ;   in Loop: Header=BB294_10 Depth=1
	v_and_b32_e32 v0, 7, v4
	v_lshrrev_b32_e32 v1, 3, v2
	s_mov_b32 s20, exec_lo
	v_cmpx_gt_u32_e32 8, v2
; %bb.222:                              ;   in Loop: Header=BB294_10 Depth=1
	v_ffbh_u32_e32 v0, v0
	v_min_u32_e32 v2, 32, v0
	v_subrev_nc_u32_e32 v0, 28, v2
	v_lshlrev_b64 v[0:1], v0, v[4:5]
	v_sub_nc_u32_e32 v1, 29, v2
	v_and_b32_e32 v0, 7, v0
; %bb.223:                              ;   in Loop: Header=BB294_10 Depth=1
	s_or_b32 exec_lo, exec_lo, s20
	v_lshlrev_b32_e32 v2, 8, v4
	v_lshl_add_u32 v1, v1, 10, 0x2000
	v_lshlrev_b32_e32 v0, 7, v0
	v_and_b32_e32 v2, 0x8000, v2
	v_and_b32_e32 v1, 0xfc00, v1
	v_or3_b32 v101, v2, v1, v0
.LBB294_224:                            ;   in Loop: Header=BB294_10 Depth=1
	s_or_b32 exec_lo, exec_lo, s19
.LBB294_225:                            ;   in Loop: Header=BB294_10 Depth=1
	s_or_b32 exec_lo, exec_lo, s18
.LBB294_226:                            ;   in Loop: Header=BB294_10 Depth=1
	s_or_b32 exec_lo, exec_lo, s17
	v_mov_b32_e32 v102, 0
	v_mov_b32_e32 v103, 0
	s_mov_b32 s17, exec_lo
	v_cmpx_lt_u32_e32 0xffffff, v24
	s_cbranch_execz .LBB294_234
; %bb.227:                              ;   in Loop: Header=BB294_10 Depth=1
	v_lshrrev_b32_e32 v4, 24, v24
	v_bfrev_b32_e32 v103, 1
	s_mov_b32 s18, exec_lo
	v_cmpx_ne_u32_e32 0x80, v4
	s_cbranch_execz .LBB294_233
; %bb.228:                              ;   in Loop: Header=BB294_10 Depth=1
	v_and_b32_e32 v2, 0x7f, v4
	v_mov_b32_e32 v103, 0x7c010000
	s_mov_b32 s19, exec_lo
	v_cmpx_ne_u32_e32 0x7f, v2
	s_cbranch_execz .LBB294_232
; %bb.229:                              ;   in Loop: Header=BB294_10 Depth=1
	v_and_b32_e32 v0, 7, v4
	v_lshrrev_b32_e32 v1, 3, v2
	s_mov_b32 s20, exec_lo
	v_cmpx_gt_u32_e32 8, v2
; %bb.230:                              ;   in Loop: Header=BB294_10 Depth=1
	v_ffbh_u32_e32 v0, v0
	v_min_u32_e32 v2, 32, v0
	v_subrev_nc_u32_e32 v0, 28, v2
	v_lshlrev_b64 v[0:1], v0, v[4:5]
	v_sub_nc_u32_e32 v1, 29, v2
	v_and_b32_e32 v0, 7, v0
; %bb.231:                              ;   in Loop: Header=BB294_10 Depth=1
	s_or_b32 exec_lo, exec_lo, s20
	v_lshlrev_b32_e32 v2, 8, v4
	v_lshl_add_u32 v1, v1, 10, 0x2000
	v_lshlrev_b32_e32 v0, 23, v0
	v_and_or_b32 v1, 0x8000, v2, v1
	v_lshl_or_b32 v103, v1, 16, v0
.LBB294_232:                            ;   in Loop: Header=BB294_10 Depth=1
	s_or_b32 exec_lo, exec_lo, s19
.LBB294_233:                            ;   in Loop: Header=BB294_10 Depth=1
	s_or_b32 exec_lo, exec_lo, s18
.LBB294_234:                            ;   in Loop: Header=BB294_10 Depth=1
	s_or_b32 exec_lo, exec_lo, s17
	v_mov_b32_e32 v4, v25
	v_cmp_ne_u16_sdwa s5, v25, v5 src0_sel:BYTE_0 src1_sel:DWORD
	s_and_saveexec_b32 s17, s5
	s_cbranch_execz .LBB294_242
; %bb.235:                              ;   in Loop: Header=BB294_10 Depth=1
	v_cmp_ne_u16_sdwa s5, v25, v37 src0_sel:BYTE_0 src1_sel:DWORD
	v_mov_b32_e32 v102, 0x8000
	s_and_saveexec_b32 s18, s5
	s_cbranch_execz .LBB294_241
; %bb.236:                              ;   in Loop: Header=BB294_10 Depth=1
	v_and_b32_e32 v2, 0x7f, v25
	v_mov_b32_e32 v102, 0x7c01
	s_mov_b32 s19, exec_lo
	v_cmpx_ne_u32_e32 0x7f, v2
	s_cbranch_execz .LBB294_240
; %bb.237:                              ;   in Loop: Header=BB294_10 Depth=1
	v_and_b32_e32 v0, 7, v25
	v_lshrrev_b32_e32 v1, 3, v2
	s_mov_b32 s20, exec_lo
	v_cmpx_gt_u32_e32 8, v2
; %bb.238:                              ;   in Loop: Header=BB294_10 Depth=1
	v_ffbh_u32_e32 v0, v0
	v_min_u32_e32 v2, 32, v0
	v_subrev_nc_u32_e32 v0, 28, v2
	v_lshlrev_b64 v[0:1], v0, v[4:5]
	v_sub_nc_u32_e32 v1, 29, v2
	v_and_b32_e32 v0, 7, v0
; %bb.239:                              ;   in Loop: Header=BB294_10 Depth=1
	s_or_b32 exec_lo, exec_lo, s20
	v_lshlrev_b32_e32 v2, 8, v25
	v_lshl_add_u32 v1, v1, 10, 0x2000
	v_lshlrev_b32_e32 v0, 7, v0
	v_and_b32_e32 v2, 0x8000, v2
	v_and_b32_e32 v1, 0xfc00, v1
	v_or3_b32 v102, v2, v1, v0
.LBB294_240:                            ;   in Loop: Header=BB294_10 Depth=1
	s_or_b32 exec_lo, exec_lo, s19
.LBB294_241:                            ;   in Loop: Header=BB294_10 Depth=1
	s_or_b32 exec_lo, exec_lo, s18
.LBB294_242:                            ;   in Loop: Header=BB294_10 Depth=1
	s_or_b32 exec_lo, exec_lo, s17
	v_lshrrev_b16 v4, 8, v4
	v_mov_b32_e32 v112, 0
	v_mov_b32_e32 v113, 0
	s_mov_b32 s17, exec_lo
	v_cmpx_ne_u16_e32 0, v4
	s_cbranch_execz .LBB294_250
; %bb.243:                              ;   in Loop: Header=BB294_10 Depth=1
	v_bfrev_b32_e32 v113, 1
	s_mov_b32 s18, exec_lo
	v_cmpx_ne_u16_e32 0x80, v4
	s_cbranch_execz .LBB294_249
; %bb.244:                              ;   in Loop: Header=BB294_10 Depth=1
	v_mov_b32_e32 v0, 0x7f
	v_mov_b32_e32 v113, 0x7c010000
	s_mov_b32 s19, exec_lo
	v_and_b32_sdwa v2, v4, v0 dst_sel:DWORD dst_unused:UNUSED_PAD src0_sel:WORD_0 src1_sel:DWORD
	v_cmpx_ne_u32_e32 0x7f, v2
	s_cbranch_execz .LBB294_248
; %bb.245:                              ;   in Loop: Header=BB294_10 Depth=1
	v_mov_b32_e32 v0, 7
	v_lshrrev_b32_e32 v1, 3, v2
	s_mov_b32 s20, exec_lo
	v_and_b32_sdwa v0, v4, v0 dst_sel:DWORD dst_unused:UNUSED_PAD src0_sel:WORD_0 src1_sel:DWORD
	v_cmpx_gt_u32_e32 8, v2
; %bb.246:                              ;   in Loop: Header=BB294_10 Depth=1
	v_ffbh_u32_e32 v0, v0
	v_min_u32_e32 v2, 32, v0
	v_subrev_nc_u32_e32 v0, 28, v2
	v_lshlrev_b64 v[0:1], v0, v[4:5]
	v_sub_nc_u32_e32 v1, 29, v2
	v_and_b32_e32 v0, 7, v0
; %bb.247:                              ;   in Loop: Header=BB294_10 Depth=1
	s_or_b32 exec_lo, exec_lo, s20
	v_mov_b32_e32 v2, 8
	v_lshl_add_u32 v1, v1, 10, 0x2000
	v_lshlrev_b32_e32 v0, 23, v0
	v_lshlrev_b32_sdwa v2, v2, v4 dst_sel:DWORD dst_unused:UNUSED_PAD src0_sel:DWORD src1_sel:WORD_0
	v_and_or_b32 v1, 0x8000, v2, v1
	v_lshl_or_b32 v113, v1, 16, v0
.LBB294_248:                            ;   in Loop: Header=BB294_10 Depth=1
	s_or_b32 exec_lo, exec_lo, s19
.LBB294_249:                            ;   in Loop: Header=BB294_10 Depth=1
	s_or_b32 exec_lo, exec_lo, s18
.LBB294_250:                            ;   in Loop: Header=BB294_10 Depth=1
	s_or_b32 exec_lo, exec_lo, s17
	v_lshrrev_b32_e32 v4, 16, v25
	v_cmp_ne_u16_sdwa s5, v4, v5 src0_sel:BYTE_0 src1_sel:DWORD
	s_and_saveexec_b32 s17, s5
	s_cbranch_execz .LBB294_258
; %bb.251:                              ;   in Loop: Header=BB294_10 Depth=1
	v_cmp_ne_u16_sdwa s5, v4, v37 src0_sel:BYTE_0 src1_sel:DWORD
	v_mov_b32_e32 v112, 0x8000
	s_and_saveexec_b32 s18, s5
	s_cbranch_execz .LBB294_257
; %bb.252:                              ;   in Loop: Header=BB294_10 Depth=1
	v_bfe_u32 v2, v25, 16, 7
	v_mov_b32_e32 v112, 0x7c01
	s_mov_b32 s19, exec_lo
	v_cmpx_ne_u32_e32 0x7f, v2
	s_cbranch_execz .LBB294_256
; %bb.253:                              ;   in Loop: Header=BB294_10 Depth=1
	v_and_b32_e32 v0, 7, v4
	v_lshrrev_b32_e32 v1, 3, v2
	s_mov_b32 s20, exec_lo
	v_cmpx_gt_u32_e32 8, v2
; %bb.254:                              ;   in Loop: Header=BB294_10 Depth=1
	v_ffbh_u32_e32 v0, v0
	v_min_u32_e32 v2, 32, v0
	v_subrev_nc_u32_e32 v0, 28, v2
	v_lshlrev_b64 v[0:1], v0, v[4:5]
	v_sub_nc_u32_e32 v1, 29, v2
	v_and_b32_e32 v0, 7, v0
; %bb.255:                              ;   in Loop: Header=BB294_10 Depth=1
	s_or_b32 exec_lo, exec_lo, s20
	v_lshlrev_b32_e32 v2, 8, v4
	v_lshl_add_u32 v1, v1, 10, 0x2000
	v_lshlrev_b32_e32 v0, 7, v0
	v_and_b32_e32 v2, 0x8000, v2
	v_and_b32_e32 v1, 0xfc00, v1
	v_or3_b32 v112, v2, v1, v0
.LBB294_256:                            ;   in Loop: Header=BB294_10 Depth=1
	s_or_b32 exec_lo, exec_lo, s19
.LBB294_257:                            ;   in Loop: Header=BB294_10 Depth=1
	s_or_b32 exec_lo, exec_lo, s18
.LBB294_258:                            ;   in Loop: Header=BB294_10 Depth=1
	s_or_b32 exec_lo, exec_lo, s17
	v_mov_b32_e32 v115, 0
	v_mov_b32_e32 v114, 0
	s_mov_b32 s17, exec_lo
	v_cmpx_lt_u64_e64 s[6:7], v[24:25]
	s_cbranch_execz .LBB294_266
; %bb.259:                              ;   in Loop: Header=BB294_10 Depth=1
	v_lshrrev_b32_e32 v4, 24, v25
	v_bfrev_b32_e32 v114, 1
	s_mov_b32 s18, exec_lo
	v_cmpx_ne_u32_e32 0x80, v4
	s_cbranch_execz .LBB294_265
; %bb.260:                              ;   in Loop: Header=BB294_10 Depth=1
	v_and_b32_e32 v2, 0x7f, v4
	v_mov_b32_e32 v114, 0x7c010000
	s_mov_b32 s19, exec_lo
	v_cmpx_ne_u32_e32 0x7f, v2
	s_cbranch_execz .LBB294_264
; %bb.261:                              ;   in Loop: Header=BB294_10 Depth=1
	v_and_b32_e32 v0, 7, v4
	v_lshrrev_b32_e32 v1, 3, v2
	s_mov_b32 s20, exec_lo
	v_cmpx_gt_u32_e32 8, v2
; %bb.262:                              ;   in Loop: Header=BB294_10 Depth=1
	v_ffbh_u32_e32 v0, v0
	v_min_u32_e32 v2, 32, v0
	v_subrev_nc_u32_e32 v0, 28, v2
	v_lshlrev_b64 v[0:1], v0, v[4:5]
	v_sub_nc_u32_e32 v1, 29, v2
	v_and_b32_e32 v0, 7, v0
; %bb.263:                              ;   in Loop: Header=BB294_10 Depth=1
	s_or_b32 exec_lo, exec_lo, s20
	v_lshlrev_b32_e32 v2, 8, v4
	v_lshl_add_u32 v1, v1, 10, 0x2000
	v_lshlrev_b32_e32 v0, 23, v0
	v_and_or_b32 v1, 0x8000, v2, v1
	v_lshl_or_b32 v114, v1, 16, v0
.LBB294_264:                            ;   in Loop: Header=BB294_10 Depth=1
	s_or_b32 exec_lo, exec_lo, s19
.LBB294_265:                            ;   in Loop: Header=BB294_10 Depth=1
	s_or_b32 exec_lo, exec_lo, s18
.LBB294_266:                            ;   in Loop: Header=BB294_10 Depth=1
	s_or_b32 exec_lo, exec_lo, s17
	flat_load_dwordx2 v[24:25], v[16:17] offset:1024
	s_waitcnt vmcnt(0) lgkmcnt(0)
	v_cmp_ne_u16_sdwa s5, v24, v5 src0_sel:BYTE_0 src1_sel:DWORD
	s_and_saveexec_b32 s17, s5
	s_cbranch_execz .LBB294_274
; %bb.267:                              ;   in Loop: Header=BB294_10 Depth=1
	v_cmp_ne_u16_sdwa s5, v24, v37 src0_sel:BYTE_0 src1_sel:DWORD
	v_mov_b32_e32 v115, 0x8000
	s_and_saveexec_b32 s18, s5
	s_cbranch_execz .LBB294_273
; %bb.268:                              ;   in Loop: Header=BB294_10 Depth=1
	v_and_b32_e32 v2, 0x7f, v24
	v_mov_b32_e32 v115, 0x7c01
	s_mov_b32 s19, exec_lo
	v_cmpx_ne_u32_e32 0x7f, v2
	s_cbranch_execz .LBB294_272
; %bb.269:                              ;   in Loop: Header=BB294_10 Depth=1
	v_and_b32_e32 v0, 7, v24
	v_lshrrev_b32_e32 v1, 3, v2
	s_mov_b32 s20, exec_lo
	v_cmpx_gt_u32_e32 8, v2
; %bb.270:                              ;   in Loop: Header=BB294_10 Depth=1
	v_ffbh_u32_e32 v0, v0
	v_min_u32_e32 v2, 32, v0
	v_subrev_nc_u32_e32 v0, 28, v2
	v_lshlrev_b64 v[0:1], v0, v[24:25]
	v_sub_nc_u32_e32 v1, 29, v2
	v_and_b32_e32 v0, 7, v0
; %bb.271:                              ;   in Loop: Header=BB294_10 Depth=1
	s_or_b32 exec_lo, exec_lo, s20
	v_lshlrev_b32_e32 v2, 8, v24
	v_lshl_add_u32 v1, v1, 10, 0x2000
	v_lshlrev_b32_e32 v0, 7, v0
	v_and_b32_e32 v2, 0x8000, v2
	v_and_b32_e32 v1, 0xfc00, v1
	v_or3_b32 v115, v2, v1, v0
.LBB294_272:                            ;   in Loop: Header=BB294_10 Depth=1
	s_or_b32 exec_lo, exec_lo, s19
.LBB294_273:                            ;   in Loop: Header=BB294_10 Depth=1
	s_or_b32 exec_lo, exec_lo, s18
.LBB294_274:                            ;   in Loop: Header=BB294_10 Depth=1
	s_or_b32 exec_lo, exec_lo, s17
	v_lshrrev_b16 v4, 8, v24
	v_mov_b32_e32 v117, 0
	v_mov_b32_e32 v116, 0
	s_mov_b32 s17, exec_lo
	v_cmpx_ne_u16_e32 0, v4
	s_cbranch_execz .LBB294_282
; %bb.275:                              ;   in Loop: Header=BB294_10 Depth=1
	v_bfrev_b32_e32 v116, 1
	s_mov_b32 s18, exec_lo
	v_cmpx_ne_u16_e32 0x80, v4
	s_cbranch_execz .LBB294_281
; %bb.276:                              ;   in Loop: Header=BB294_10 Depth=1
	v_mov_b32_e32 v0, 0x7f
	v_mov_b32_e32 v116, 0x7c010000
	s_mov_b32 s19, exec_lo
	v_and_b32_sdwa v2, v4, v0 dst_sel:DWORD dst_unused:UNUSED_PAD src0_sel:WORD_0 src1_sel:DWORD
	v_cmpx_ne_u32_e32 0x7f, v2
	s_cbranch_execz .LBB294_280
; %bb.277:                              ;   in Loop: Header=BB294_10 Depth=1
	v_mov_b32_e32 v0, 7
	v_lshrrev_b32_e32 v1, 3, v2
	s_mov_b32 s20, exec_lo
	v_and_b32_sdwa v0, v4, v0 dst_sel:DWORD dst_unused:UNUSED_PAD src0_sel:WORD_0 src1_sel:DWORD
	v_cmpx_gt_u32_e32 8, v2
; %bb.278:                              ;   in Loop: Header=BB294_10 Depth=1
	v_ffbh_u32_e32 v0, v0
	v_min_u32_e32 v2, 32, v0
	v_subrev_nc_u32_e32 v0, 28, v2
	v_lshlrev_b64 v[0:1], v0, v[4:5]
	v_sub_nc_u32_e32 v1, 29, v2
	v_and_b32_e32 v0, 7, v0
; %bb.279:                              ;   in Loop: Header=BB294_10 Depth=1
	s_or_b32 exec_lo, exec_lo, s20
	v_mov_b32_e32 v2, 8
	v_lshl_add_u32 v1, v1, 10, 0x2000
	v_lshlrev_b32_e32 v0, 23, v0
	v_lshlrev_b32_sdwa v2, v2, v4 dst_sel:DWORD dst_unused:UNUSED_PAD src0_sel:DWORD src1_sel:WORD_0
	v_and_or_b32 v1, 0x8000, v2, v1
	v_lshl_or_b32 v116, v1, 16, v0
.LBB294_280:                            ;   in Loop: Header=BB294_10 Depth=1
	s_or_b32 exec_lo, exec_lo, s19
.LBB294_281:                            ;   in Loop: Header=BB294_10 Depth=1
	s_or_b32 exec_lo, exec_lo, s18
.LBB294_282:                            ;   in Loop: Header=BB294_10 Depth=1
	s_or_b32 exec_lo, exec_lo, s17
	v_lshrrev_b32_e32 v4, 16, v24
	v_cmp_ne_u16_sdwa s5, v4, v5 src0_sel:BYTE_0 src1_sel:DWORD
	s_and_saveexec_b32 s17, s5
	s_cbranch_execz .LBB294_290
; %bb.283:                              ;   in Loop: Header=BB294_10 Depth=1
	v_cmp_ne_u16_sdwa s5, v4, v37 src0_sel:BYTE_0 src1_sel:DWORD
	v_mov_b32_e32 v117, 0x8000
	s_and_saveexec_b32 s18, s5
	s_cbranch_execz .LBB294_289
; %bb.284:                              ;   in Loop: Header=BB294_10 Depth=1
	v_bfe_u32 v2, v24, 16, 7
	v_mov_b32_e32 v117, 0x7c01
	s_mov_b32 s19, exec_lo
	v_cmpx_ne_u32_e32 0x7f, v2
	s_cbranch_execz .LBB294_288
; %bb.285:                              ;   in Loop: Header=BB294_10 Depth=1
	v_and_b32_e32 v0, 7, v4
	v_lshrrev_b32_e32 v1, 3, v2
	s_mov_b32 s20, exec_lo
	v_cmpx_gt_u32_e32 8, v2
; %bb.286:                              ;   in Loop: Header=BB294_10 Depth=1
	v_ffbh_u32_e32 v0, v0
	v_min_u32_e32 v2, 32, v0
	v_subrev_nc_u32_e32 v0, 28, v2
	v_lshlrev_b64 v[0:1], v0, v[4:5]
	v_sub_nc_u32_e32 v1, 29, v2
	v_and_b32_e32 v0, 7, v0
; %bb.287:                              ;   in Loop: Header=BB294_10 Depth=1
	s_or_b32 exec_lo, exec_lo, s20
	v_lshlrev_b32_e32 v2, 8, v4
	v_lshl_add_u32 v1, v1, 10, 0x2000
	v_lshlrev_b32_e32 v0, 7, v0
	v_and_b32_e32 v2, 0x8000, v2
	v_and_b32_e32 v1, 0xfc00, v1
	v_or3_b32 v117, v2, v1, v0
.LBB294_288:                            ;   in Loop: Header=BB294_10 Depth=1
	s_or_b32 exec_lo, exec_lo, s19
.LBB294_289:                            ;   in Loop: Header=BB294_10 Depth=1
	s_or_b32 exec_lo, exec_lo, s18
.LBB294_290:                            ;   in Loop: Header=BB294_10 Depth=1
	s_or_b32 exec_lo, exec_lo, s17
	v_mov_b32_e32 v118, 0
	v_mov_b32_e32 v119, 0
	s_mov_b32 s17, exec_lo
	v_cmpx_lt_u32_e32 0xffffff, v24
	s_cbranch_execz .LBB294_298
; %bb.291:                              ;   in Loop: Header=BB294_10 Depth=1
	v_lshrrev_b32_e32 v4, 24, v24
	v_bfrev_b32_e32 v119, 1
	s_mov_b32 s18, exec_lo
	v_cmpx_ne_u32_e32 0x80, v4
	s_cbranch_execz .LBB294_297
; %bb.292:                              ;   in Loop: Header=BB294_10 Depth=1
	v_and_b32_e32 v2, 0x7f, v4
	v_mov_b32_e32 v119, 0x7c010000
	s_mov_b32 s19, exec_lo
	v_cmpx_ne_u32_e32 0x7f, v2
	s_cbranch_execz .LBB294_296
; %bb.293:                              ;   in Loop: Header=BB294_10 Depth=1
	v_and_b32_e32 v0, 7, v4
	v_lshrrev_b32_e32 v1, 3, v2
	s_mov_b32 s20, exec_lo
	v_cmpx_gt_u32_e32 8, v2
; %bb.294:                              ;   in Loop: Header=BB294_10 Depth=1
	v_ffbh_u32_e32 v0, v0
	v_min_u32_e32 v2, 32, v0
	v_subrev_nc_u32_e32 v0, 28, v2
	v_lshlrev_b64 v[0:1], v0, v[4:5]
	v_sub_nc_u32_e32 v1, 29, v2
	v_and_b32_e32 v0, 7, v0
; %bb.295:                              ;   in Loop: Header=BB294_10 Depth=1
	s_or_b32 exec_lo, exec_lo, s20
	v_lshlrev_b32_e32 v2, 8, v4
	v_lshl_add_u32 v1, v1, 10, 0x2000
	v_lshlrev_b32_e32 v0, 23, v0
	v_and_or_b32 v1, 0x8000, v2, v1
	v_lshl_or_b32 v119, v1, 16, v0
.LBB294_296:                            ;   in Loop: Header=BB294_10 Depth=1
	s_or_b32 exec_lo, exec_lo, s19
.LBB294_297:                            ;   in Loop: Header=BB294_10 Depth=1
	s_or_b32 exec_lo, exec_lo, s18
.LBB294_298:                            ;   in Loop: Header=BB294_10 Depth=1
	s_or_b32 exec_lo, exec_lo, s17
	v_mov_b32_e32 v4, v25
	v_cmp_ne_u16_sdwa s5, v25, v5 src0_sel:BYTE_0 src1_sel:DWORD
	s_and_saveexec_b32 s17, s5
	s_cbranch_execz .LBB294_306
; %bb.299:                              ;   in Loop: Header=BB294_10 Depth=1
	v_cmp_ne_u16_sdwa s5, v25, v37 src0_sel:BYTE_0 src1_sel:DWORD
	v_mov_b32_e32 v118, 0x8000
	s_and_saveexec_b32 s18, s5
	s_cbranch_execz .LBB294_305
; %bb.300:                              ;   in Loop: Header=BB294_10 Depth=1
	v_and_b32_e32 v2, 0x7f, v25
	v_mov_b32_e32 v118, 0x7c01
	s_mov_b32 s19, exec_lo
	v_cmpx_ne_u32_e32 0x7f, v2
	s_cbranch_execz .LBB294_304
; %bb.301:                              ;   in Loop: Header=BB294_10 Depth=1
	v_and_b32_e32 v0, 7, v25
	v_lshrrev_b32_e32 v1, 3, v2
	s_mov_b32 s20, exec_lo
	v_cmpx_gt_u32_e32 8, v2
; %bb.302:                              ;   in Loop: Header=BB294_10 Depth=1
	v_ffbh_u32_e32 v0, v0
	v_min_u32_e32 v2, 32, v0
	v_subrev_nc_u32_e32 v0, 28, v2
	v_lshlrev_b64 v[0:1], v0, v[4:5]
	v_sub_nc_u32_e32 v1, 29, v2
	v_and_b32_e32 v0, 7, v0
; %bb.303:                              ;   in Loop: Header=BB294_10 Depth=1
	s_or_b32 exec_lo, exec_lo, s20
	v_lshlrev_b32_e32 v2, 8, v25
	v_lshl_add_u32 v1, v1, 10, 0x2000
	v_lshlrev_b32_e32 v0, 7, v0
	v_and_b32_e32 v2, 0x8000, v2
	v_and_b32_e32 v1, 0xfc00, v1
	v_or3_b32 v118, v2, v1, v0
.LBB294_304:                            ;   in Loop: Header=BB294_10 Depth=1
	s_or_b32 exec_lo, exec_lo, s19
.LBB294_305:                            ;   in Loop: Header=BB294_10 Depth=1
	s_or_b32 exec_lo, exec_lo, s18
.LBB294_306:                            ;   in Loop: Header=BB294_10 Depth=1
	s_or_b32 exec_lo, exec_lo, s17
	v_lshrrev_b16 v4, 8, v4
	v_mov_b32_e32 v40, 0
	v_mov_b32_e32 v41, 0
	s_mov_b32 s17, exec_lo
	v_cmpx_ne_u16_e32 0, v4
	s_cbranch_execz .LBB294_314
; %bb.307:                              ;   in Loop: Header=BB294_10 Depth=1
	v_bfrev_b32_e32 v41, 1
	s_mov_b32 s18, exec_lo
	v_cmpx_ne_u16_e32 0x80, v4
	s_cbranch_execz .LBB294_313
; %bb.308:                              ;   in Loop: Header=BB294_10 Depth=1
	v_mov_b32_e32 v0, 0x7f
	v_mov_b32_e32 v41, 0x7c010000
	s_mov_b32 s19, exec_lo
	v_and_b32_sdwa v2, v4, v0 dst_sel:DWORD dst_unused:UNUSED_PAD src0_sel:WORD_0 src1_sel:DWORD
	v_cmpx_ne_u32_e32 0x7f, v2
	s_cbranch_execz .LBB294_312
; %bb.309:                              ;   in Loop: Header=BB294_10 Depth=1
	v_mov_b32_e32 v0, 7
	v_lshrrev_b32_e32 v1, 3, v2
	s_mov_b32 s20, exec_lo
	v_and_b32_sdwa v0, v4, v0 dst_sel:DWORD dst_unused:UNUSED_PAD src0_sel:WORD_0 src1_sel:DWORD
	v_cmpx_gt_u32_e32 8, v2
; %bb.310:                              ;   in Loop: Header=BB294_10 Depth=1
	v_ffbh_u32_e32 v0, v0
	v_min_u32_e32 v2, 32, v0
	v_subrev_nc_u32_e32 v0, 28, v2
	v_lshlrev_b64 v[0:1], v0, v[4:5]
	v_sub_nc_u32_e32 v1, 29, v2
	v_and_b32_e32 v0, 7, v0
; %bb.311:                              ;   in Loop: Header=BB294_10 Depth=1
	s_or_b32 exec_lo, exec_lo, s20
	v_mov_b32_e32 v2, 8
	v_lshl_add_u32 v1, v1, 10, 0x2000
	v_lshlrev_b32_e32 v0, 23, v0
	v_lshlrev_b32_sdwa v2, v2, v4 dst_sel:DWORD dst_unused:UNUSED_PAD src0_sel:DWORD src1_sel:WORD_0
	v_and_or_b32 v1, 0x8000, v2, v1
	v_lshl_or_b32 v41, v1, 16, v0
.LBB294_312:                            ;   in Loop: Header=BB294_10 Depth=1
	s_or_b32 exec_lo, exec_lo, s19
.LBB294_313:                            ;   in Loop: Header=BB294_10 Depth=1
	s_or_b32 exec_lo, exec_lo, s18
.LBB294_314:                            ;   in Loop: Header=BB294_10 Depth=1
	s_or_b32 exec_lo, exec_lo, s17
	v_lshrrev_b32_e32 v4, 16, v25
	v_cmp_ne_u16_sdwa s5, v4, v5 src0_sel:BYTE_0 src1_sel:DWORD
	s_and_saveexec_b32 s17, s5
	s_cbranch_execz .LBB294_322
; %bb.315:                              ;   in Loop: Header=BB294_10 Depth=1
	v_cmp_ne_u16_sdwa s5, v4, v37 src0_sel:BYTE_0 src1_sel:DWORD
	v_mov_b32_e32 v40, 0x8000
	s_and_saveexec_b32 s18, s5
	s_cbranch_execz .LBB294_321
; %bb.316:                              ;   in Loop: Header=BB294_10 Depth=1
	v_bfe_u32 v2, v25, 16, 7
	v_mov_b32_e32 v40, 0x7c01
	s_mov_b32 s19, exec_lo
	v_cmpx_ne_u32_e32 0x7f, v2
	s_cbranch_execz .LBB294_320
; %bb.317:                              ;   in Loop: Header=BB294_10 Depth=1
	v_and_b32_e32 v0, 7, v4
	v_lshrrev_b32_e32 v1, 3, v2
	s_mov_b32 s20, exec_lo
	v_cmpx_gt_u32_e32 8, v2
; %bb.318:                              ;   in Loop: Header=BB294_10 Depth=1
	v_ffbh_u32_e32 v0, v0
	v_min_u32_e32 v2, 32, v0
	v_subrev_nc_u32_e32 v0, 28, v2
	v_lshlrev_b64 v[0:1], v0, v[4:5]
	v_sub_nc_u32_e32 v1, 29, v2
	v_and_b32_e32 v0, 7, v0
; %bb.319:                              ;   in Loop: Header=BB294_10 Depth=1
	s_or_b32 exec_lo, exec_lo, s20
	v_lshlrev_b32_e32 v2, 8, v4
	v_lshl_add_u32 v1, v1, 10, 0x2000
	v_lshlrev_b32_e32 v0, 7, v0
	v_and_b32_e32 v2, 0x8000, v2
	v_and_b32_e32 v1, 0xfc00, v1
	v_or3_b32 v40, v2, v1, v0
.LBB294_320:                            ;   in Loop: Header=BB294_10 Depth=1
	s_or_b32 exec_lo, exec_lo, s19
.LBB294_321:                            ;   in Loop: Header=BB294_10 Depth=1
	s_or_b32 exec_lo, exec_lo, s18
.LBB294_322:                            ;   in Loop: Header=BB294_10 Depth=1
	s_or_b32 exec_lo, exec_lo, s17
	v_mov_b32_e32 v43, 0
	v_mov_b32_e32 v42, 0
	s_mov_b32 s17, exec_lo
	v_cmpx_lt_u64_e64 s[6:7], v[24:25]
	s_cbranch_execz .LBB294_330
; %bb.323:                              ;   in Loop: Header=BB294_10 Depth=1
	v_lshrrev_b32_e32 v4, 24, v25
	v_bfrev_b32_e32 v42, 1
	s_mov_b32 s18, exec_lo
	v_cmpx_ne_u32_e32 0x80, v4
	s_cbranch_execz .LBB294_329
; %bb.324:                              ;   in Loop: Header=BB294_10 Depth=1
	v_and_b32_e32 v2, 0x7f, v4
	v_mov_b32_e32 v42, 0x7c010000
	s_mov_b32 s19, exec_lo
	v_cmpx_ne_u32_e32 0x7f, v2
	s_cbranch_execz .LBB294_328
; %bb.325:                              ;   in Loop: Header=BB294_10 Depth=1
	v_and_b32_e32 v0, 7, v4
	v_lshrrev_b32_e32 v1, 3, v2
	s_mov_b32 s20, exec_lo
	v_cmpx_gt_u32_e32 8, v2
; %bb.326:                              ;   in Loop: Header=BB294_10 Depth=1
	v_ffbh_u32_e32 v0, v0
	v_min_u32_e32 v2, 32, v0
	v_subrev_nc_u32_e32 v0, 28, v2
	v_lshlrev_b64 v[0:1], v0, v[4:5]
	v_sub_nc_u32_e32 v1, 29, v2
	v_and_b32_e32 v0, 7, v0
; %bb.327:                              ;   in Loop: Header=BB294_10 Depth=1
	s_or_b32 exec_lo, exec_lo, s20
	v_lshlrev_b32_e32 v2, 8, v4
	v_lshl_add_u32 v1, v1, 10, 0x2000
	v_lshlrev_b32_e32 v0, 23, v0
	v_and_or_b32 v1, 0x8000, v2, v1
	v_lshl_or_b32 v42, v1, 16, v0
.LBB294_328:                            ;   in Loop: Header=BB294_10 Depth=1
	s_or_b32 exec_lo, exec_lo, s19
.LBB294_329:                            ;   in Loop: Header=BB294_10 Depth=1
	s_or_b32 exec_lo, exec_lo, s18
.LBB294_330:                            ;   in Loop: Header=BB294_10 Depth=1
	s_or_b32 exec_lo, exec_lo, s17
	flat_load_dwordx2 v[24:25], v[16:17] offset:1032
	s_waitcnt vmcnt(0) lgkmcnt(0)
	v_cmp_ne_u16_sdwa s5, v24, v5 src0_sel:BYTE_0 src1_sel:DWORD
	s_and_saveexec_b32 s17, s5
	s_cbranch_execz .LBB294_338
; %bb.331:                              ;   in Loop: Header=BB294_10 Depth=1
	v_cmp_ne_u16_sdwa s5, v24, v37 src0_sel:BYTE_0 src1_sel:DWORD
	v_mov_b32_e32 v43, 0x8000
	s_and_saveexec_b32 s18, s5
	s_cbranch_execz .LBB294_337
; %bb.332:                              ;   in Loop: Header=BB294_10 Depth=1
	v_and_b32_e32 v2, 0x7f, v24
	v_mov_b32_e32 v43, 0x7c01
	s_mov_b32 s19, exec_lo
	v_cmpx_ne_u32_e32 0x7f, v2
	s_cbranch_execz .LBB294_336
; %bb.333:                              ;   in Loop: Header=BB294_10 Depth=1
	v_and_b32_e32 v0, 7, v24
	v_lshrrev_b32_e32 v1, 3, v2
	s_mov_b32 s20, exec_lo
	v_cmpx_gt_u32_e32 8, v2
; %bb.334:                              ;   in Loop: Header=BB294_10 Depth=1
	v_ffbh_u32_e32 v0, v0
	v_min_u32_e32 v2, 32, v0
	v_subrev_nc_u32_e32 v0, 28, v2
	v_lshlrev_b64 v[0:1], v0, v[24:25]
	v_sub_nc_u32_e32 v1, 29, v2
	v_and_b32_e32 v0, 7, v0
; %bb.335:                              ;   in Loop: Header=BB294_10 Depth=1
	s_or_b32 exec_lo, exec_lo, s20
	v_lshlrev_b32_e32 v2, 8, v24
	v_lshl_add_u32 v1, v1, 10, 0x2000
	v_lshlrev_b32_e32 v0, 7, v0
	v_and_b32_e32 v2, 0x8000, v2
	v_and_b32_e32 v1, 0xfc00, v1
	v_or3_b32 v43, v2, v1, v0
.LBB294_336:                            ;   in Loop: Header=BB294_10 Depth=1
	s_or_b32 exec_lo, exec_lo, s19
.LBB294_337:                            ;   in Loop: Header=BB294_10 Depth=1
	s_or_b32 exec_lo, exec_lo, s18
.LBB294_338:                            ;   in Loop: Header=BB294_10 Depth=1
	s_or_b32 exec_lo, exec_lo, s17
	v_lshrrev_b16 v4, 8, v24
	v_mov_b32_e32 v45, 0
	v_mov_b32_e32 v44, 0
	s_mov_b32 s17, exec_lo
	v_cmpx_ne_u16_e32 0, v4
	s_cbranch_execz .LBB294_346
; %bb.339:                              ;   in Loop: Header=BB294_10 Depth=1
	v_bfrev_b32_e32 v44, 1
	s_mov_b32 s18, exec_lo
	v_cmpx_ne_u16_e32 0x80, v4
	s_cbranch_execz .LBB294_345
; %bb.340:                              ;   in Loop: Header=BB294_10 Depth=1
	v_mov_b32_e32 v0, 0x7f
	v_mov_b32_e32 v44, 0x7c010000
	s_mov_b32 s19, exec_lo
	v_and_b32_sdwa v2, v4, v0 dst_sel:DWORD dst_unused:UNUSED_PAD src0_sel:WORD_0 src1_sel:DWORD
	v_cmpx_ne_u32_e32 0x7f, v2
	s_cbranch_execz .LBB294_344
; %bb.341:                              ;   in Loop: Header=BB294_10 Depth=1
	v_mov_b32_e32 v0, 7
	v_lshrrev_b32_e32 v1, 3, v2
	s_mov_b32 s20, exec_lo
	v_and_b32_sdwa v0, v4, v0 dst_sel:DWORD dst_unused:UNUSED_PAD src0_sel:WORD_0 src1_sel:DWORD
	v_cmpx_gt_u32_e32 8, v2
; %bb.342:                              ;   in Loop: Header=BB294_10 Depth=1
	v_ffbh_u32_e32 v0, v0
	v_min_u32_e32 v2, 32, v0
	v_subrev_nc_u32_e32 v0, 28, v2
	v_lshlrev_b64 v[0:1], v0, v[4:5]
	v_sub_nc_u32_e32 v1, 29, v2
	v_and_b32_e32 v0, 7, v0
; %bb.343:                              ;   in Loop: Header=BB294_10 Depth=1
	s_or_b32 exec_lo, exec_lo, s20
	v_mov_b32_e32 v2, 8
	v_lshl_add_u32 v1, v1, 10, 0x2000
	v_lshlrev_b32_e32 v0, 23, v0
	v_lshlrev_b32_sdwa v2, v2, v4 dst_sel:DWORD dst_unused:UNUSED_PAD src0_sel:DWORD src1_sel:WORD_0
	v_and_or_b32 v1, 0x8000, v2, v1
	v_lshl_or_b32 v44, v1, 16, v0
.LBB294_344:                            ;   in Loop: Header=BB294_10 Depth=1
	s_or_b32 exec_lo, exec_lo, s19
.LBB294_345:                            ;   in Loop: Header=BB294_10 Depth=1
	s_or_b32 exec_lo, exec_lo, s18
.LBB294_346:                            ;   in Loop: Header=BB294_10 Depth=1
	s_or_b32 exec_lo, exec_lo, s17
	v_lshrrev_b32_e32 v4, 16, v24
	v_cmp_ne_u16_sdwa s5, v4, v5 src0_sel:BYTE_0 src1_sel:DWORD
	s_and_saveexec_b32 s17, s5
	s_cbranch_execz .LBB294_354
; %bb.347:                              ;   in Loop: Header=BB294_10 Depth=1
	v_cmp_ne_u16_sdwa s5, v4, v37 src0_sel:BYTE_0 src1_sel:DWORD
	v_mov_b32_e32 v45, 0x8000
	s_and_saveexec_b32 s18, s5
	s_cbranch_execz .LBB294_353
; %bb.348:                              ;   in Loop: Header=BB294_10 Depth=1
	v_bfe_u32 v2, v24, 16, 7
	v_mov_b32_e32 v45, 0x7c01
	s_mov_b32 s19, exec_lo
	v_cmpx_ne_u32_e32 0x7f, v2
	s_cbranch_execz .LBB294_352
; %bb.349:                              ;   in Loop: Header=BB294_10 Depth=1
	v_and_b32_e32 v0, 7, v4
	v_lshrrev_b32_e32 v1, 3, v2
	s_mov_b32 s20, exec_lo
	v_cmpx_gt_u32_e32 8, v2
; %bb.350:                              ;   in Loop: Header=BB294_10 Depth=1
	v_ffbh_u32_e32 v0, v0
	v_min_u32_e32 v2, 32, v0
	v_subrev_nc_u32_e32 v0, 28, v2
	v_lshlrev_b64 v[0:1], v0, v[4:5]
	v_sub_nc_u32_e32 v1, 29, v2
	v_and_b32_e32 v0, 7, v0
; %bb.351:                              ;   in Loop: Header=BB294_10 Depth=1
	s_or_b32 exec_lo, exec_lo, s20
	v_lshlrev_b32_e32 v2, 8, v4
	v_lshl_add_u32 v1, v1, 10, 0x2000
	v_lshlrev_b32_e32 v0, 7, v0
	v_and_b32_e32 v2, 0x8000, v2
	v_and_b32_e32 v1, 0xfc00, v1
	v_or3_b32 v45, v2, v1, v0
.LBB294_352:                            ;   in Loop: Header=BB294_10 Depth=1
	s_or_b32 exec_lo, exec_lo, s19
.LBB294_353:                            ;   in Loop: Header=BB294_10 Depth=1
	s_or_b32 exec_lo, exec_lo, s18
.LBB294_354:                            ;   in Loop: Header=BB294_10 Depth=1
	s_or_b32 exec_lo, exec_lo, s17
	v_mov_b32_e32 v46, 0
	v_mov_b32_e32 v47, 0
	s_mov_b32 s17, exec_lo
	v_cmpx_lt_u32_e32 0xffffff, v24
	s_cbranch_execz .LBB294_362
; %bb.355:                              ;   in Loop: Header=BB294_10 Depth=1
	v_lshrrev_b32_e32 v4, 24, v24
	v_bfrev_b32_e32 v47, 1
	s_mov_b32 s18, exec_lo
	v_cmpx_ne_u32_e32 0x80, v4
	s_cbranch_execz .LBB294_361
; %bb.356:                              ;   in Loop: Header=BB294_10 Depth=1
	v_and_b32_e32 v2, 0x7f, v4
	v_mov_b32_e32 v47, 0x7c010000
	s_mov_b32 s19, exec_lo
	v_cmpx_ne_u32_e32 0x7f, v2
	s_cbranch_execz .LBB294_360
; %bb.357:                              ;   in Loop: Header=BB294_10 Depth=1
	v_and_b32_e32 v0, 7, v4
	v_lshrrev_b32_e32 v1, 3, v2
	s_mov_b32 s20, exec_lo
	v_cmpx_gt_u32_e32 8, v2
; %bb.358:                              ;   in Loop: Header=BB294_10 Depth=1
	v_ffbh_u32_e32 v0, v0
	v_min_u32_e32 v2, 32, v0
	v_subrev_nc_u32_e32 v0, 28, v2
	v_lshlrev_b64 v[0:1], v0, v[4:5]
	v_sub_nc_u32_e32 v1, 29, v2
	v_and_b32_e32 v0, 7, v0
; %bb.359:                              ;   in Loop: Header=BB294_10 Depth=1
	s_or_b32 exec_lo, exec_lo, s20
	v_lshlrev_b32_e32 v2, 8, v4
	v_lshl_add_u32 v1, v1, 10, 0x2000
	v_lshlrev_b32_e32 v0, 23, v0
	v_and_or_b32 v1, 0x8000, v2, v1
	v_lshl_or_b32 v47, v1, 16, v0
.LBB294_360:                            ;   in Loop: Header=BB294_10 Depth=1
	s_or_b32 exec_lo, exec_lo, s19
.LBB294_361:                            ;   in Loop: Header=BB294_10 Depth=1
	s_or_b32 exec_lo, exec_lo, s18
.LBB294_362:                            ;   in Loop: Header=BB294_10 Depth=1
	s_or_b32 exec_lo, exec_lo, s17
	v_mov_b32_e32 v4, v25
	v_cmp_ne_u16_sdwa s5, v25, v5 src0_sel:BYTE_0 src1_sel:DWORD
	s_and_saveexec_b32 s17, s5
	s_cbranch_execz .LBB294_370
; %bb.363:                              ;   in Loop: Header=BB294_10 Depth=1
	v_cmp_ne_u16_sdwa s5, v25, v37 src0_sel:BYTE_0 src1_sel:DWORD
	v_mov_b32_e32 v46, 0x8000
	s_and_saveexec_b32 s18, s5
	s_cbranch_execz .LBB294_369
; %bb.364:                              ;   in Loop: Header=BB294_10 Depth=1
	v_and_b32_e32 v2, 0x7f, v25
	v_mov_b32_e32 v46, 0x7c01
	s_mov_b32 s19, exec_lo
	v_cmpx_ne_u32_e32 0x7f, v2
	s_cbranch_execz .LBB294_368
; %bb.365:                              ;   in Loop: Header=BB294_10 Depth=1
	v_and_b32_e32 v0, 7, v25
	v_lshrrev_b32_e32 v1, 3, v2
	s_mov_b32 s20, exec_lo
	v_cmpx_gt_u32_e32 8, v2
; %bb.366:                              ;   in Loop: Header=BB294_10 Depth=1
	v_ffbh_u32_e32 v0, v0
	v_min_u32_e32 v2, 32, v0
	v_subrev_nc_u32_e32 v0, 28, v2
	v_lshlrev_b64 v[0:1], v0, v[4:5]
	v_sub_nc_u32_e32 v1, 29, v2
	v_and_b32_e32 v0, 7, v0
; %bb.367:                              ;   in Loop: Header=BB294_10 Depth=1
	s_or_b32 exec_lo, exec_lo, s20
	v_lshlrev_b32_e32 v2, 8, v25
	v_lshl_add_u32 v1, v1, 10, 0x2000
	v_lshlrev_b32_e32 v0, 7, v0
	v_and_b32_e32 v2, 0x8000, v2
	v_and_b32_e32 v1, 0xfc00, v1
	v_or3_b32 v46, v2, v1, v0
.LBB294_368:                            ;   in Loop: Header=BB294_10 Depth=1
	s_or_b32 exec_lo, exec_lo, s19
.LBB294_369:                            ;   in Loop: Header=BB294_10 Depth=1
	s_or_b32 exec_lo, exec_lo, s18
.LBB294_370:                            ;   in Loop: Header=BB294_10 Depth=1
	s_or_b32 exec_lo, exec_lo, s17
	v_lshrrev_b16 v4, 8, v4
	v_mov_b32_e32 v56, 0
	v_mov_b32_e32 v57, 0
	s_mov_b32 s17, exec_lo
	v_cmpx_ne_u16_e32 0, v4
	s_cbranch_execz .LBB294_378
; %bb.371:                              ;   in Loop: Header=BB294_10 Depth=1
	v_bfrev_b32_e32 v57, 1
	s_mov_b32 s18, exec_lo
	v_cmpx_ne_u16_e32 0x80, v4
	s_cbranch_execz .LBB294_377
; %bb.372:                              ;   in Loop: Header=BB294_10 Depth=1
	v_mov_b32_e32 v0, 0x7f
	v_mov_b32_e32 v57, 0x7c010000
	s_mov_b32 s19, exec_lo
	v_and_b32_sdwa v2, v4, v0 dst_sel:DWORD dst_unused:UNUSED_PAD src0_sel:WORD_0 src1_sel:DWORD
	v_cmpx_ne_u32_e32 0x7f, v2
	s_cbranch_execz .LBB294_376
; %bb.373:                              ;   in Loop: Header=BB294_10 Depth=1
	v_mov_b32_e32 v0, 7
	v_lshrrev_b32_e32 v1, 3, v2
	s_mov_b32 s20, exec_lo
	v_and_b32_sdwa v0, v4, v0 dst_sel:DWORD dst_unused:UNUSED_PAD src0_sel:WORD_0 src1_sel:DWORD
	v_cmpx_gt_u32_e32 8, v2
; %bb.374:                              ;   in Loop: Header=BB294_10 Depth=1
	v_ffbh_u32_e32 v0, v0
	v_min_u32_e32 v2, 32, v0
	v_subrev_nc_u32_e32 v0, 28, v2
	v_lshlrev_b64 v[0:1], v0, v[4:5]
	v_sub_nc_u32_e32 v1, 29, v2
	v_and_b32_e32 v0, 7, v0
; %bb.375:                              ;   in Loop: Header=BB294_10 Depth=1
	s_or_b32 exec_lo, exec_lo, s20
	v_mov_b32_e32 v2, 8
	v_lshl_add_u32 v1, v1, 10, 0x2000
	v_lshlrev_b32_e32 v0, 23, v0
	v_lshlrev_b32_sdwa v2, v2, v4 dst_sel:DWORD dst_unused:UNUSED_PAD src0_sel:DWORD src1_sel:WORD_0
	v_and_or_b32 v1, 0x8000, v2, v1
	v_lshl_or_b32 v57, v1, 16, v0
.LBB294_376:                            ;   in Loop: Header=BB294_10 Depth=1
	s_or_b32 exec_lo, exec_lo, s19
.LBB294_377:                            ;   in Loop: Header=BB294_10 Depth=1
	s_or_b32 exec_lo, exec_lo, s18
.LBB294_378:                            ;   in Loop: Header=BB294_10 Depth=1
	s_or_b32 exec_lo, exec_lo, s17
	v_lshrrev_b32_e32 v4, 16, v25
	v_cmp_ne_u16_sdwa s5, v4, v5 src0_sel:BYTE_0 src1_sel:DWORD
	s_and_saveexec_b32 s17, s5
	s_cbranch_execz .LBB294_386
; %bb.379:                              ;   in Loop: Header=BB294_10 Depth=1
	v_cmp_ne_u16_sdwa s5, v4, v37 src0_sel:BYTE_0 src1_sel:DWORD
	v_mov_b32_e32 v56, 0x8000
	s_and_saveexec_b32 s18, s5
	s_cbranch_execz .LBB294_385
; %bb.380:                              ;   in Loop: Header=BB294_10 Depth=1
	v_bfe_u32 v2, v25, 16, 7
	v_mov_b32_e32 v56, 0x7c01
	s_mov_b32 s19, exec_lo
	v_cmpx_ne_u32_e32 0x7f, v2
	s_cbranch_execz .LBB294_384
; %bb.381:                              ;   in Loop: Header=BB294_10 Depth=1
	v_and_b32_e32 v0, 7, v4
	v_lshrrev_b32_e32 v1, 3, v2
	s_mov_b32 s20, exec_lo
	v_cmpx_gt_u32_e32 8, v2
; %bb.382:                              ;   in Loop: Header=BB294_10 Depth=1
	v_ffbh_u32_e32 v0, v0
	v_min_u32_e32 v2, 32, v0
	v_subrev_nc_u32_e32 v0, 28, v2
	v_lshlrev_b64 v[0:1], v0, v[4:5]
	v_sub_nc_u32_e32 v1, 29, v2
	v_and_b32_e32 v0, 7, v0
; %bb.383:                              ;   in Loop: Header=BB294_10 Depth=1
	s_or_b32 exec_lo, exec_lo, s20
	v_lshlrev_b32_e32 v2, 8, v4
	v_lshl_add_u32 v1, v1, 10, 0x2000
	v_lshlrev_b32_e32 v0, 7, v0
	v_and_b32_e32 v2, 0x8000, v2
	v_and_b32_e32 v1, 0xfc00, v1
	v_or3_b32 v56, v2, v1, v0
.LBB294_384:                            ;   in Loop: Header=BB294_10 Depth=1
	s_or_b32 exec_lo, exec_lo, s19
.LBB294_385:                            ;   in Loop: Header=BB294_10 Depth=1
	s_or_b32 exec_lo, exec_lo, s18
.LBB294_386:                            ;   in Loop: Header=BB294_10 Depth=1
	s_or_b32 exec_lo, exec_lo, s17
	v_mov_b32_e32 v61, 0
	v_mov_b32_e32 v60, 0
	s_mov_b32 s17, exec_lo
	v_cmpx_lt_u64_e64 s[6:7], v[24:25]
	s_cbranch_execz .LBB294_394
; %bb.387:                              ;   in Loop: Header=BB294_10 Depth=1
	v_lshrrev_b32_e32 v4, 24, v25
	v_bfrev_b32_e32 v60, 1
	s_mov_b32 s18, exec_lo
	v_cmpx_ne_u32_e32 0x80, v4
	s_cbranch_execz .LBB294_393
; %bb.388:                              ;   in Loop: Header=BB294_10 Depth=1
	v_and_b32_e32 v2, 0x7f, v4
	v_mov_b32_e32 v60, 0x7c010000
	s_mov_b32 s19, exec_lo
	v_cmpx_ne_u32_e32 0x7f, v2
	s_cbranch_execz .LBB294_392
; %bb.389:                              ;   in Loop: Header=BB294_10 Depth=1
	v_and_b32_e32 v0, 7, v4
	v_lshrrev_b32_e32 v1, 3, v2
	s_mov_b32 s20, exec_lo
	v_cmpx_gt_u32_e32 8, v2
; %bb.390:                              ;   in Loop: Header=BB294_10 Depth=1
	v_ffbh_u32_e32 v0, v0
	v_min_u32_e32 v2, 32, v0
	v_subrev_nc_u32_e32 v0, 28, v2
	v_lshlrev_b64 v[0:1], v0, v[4:5]
	v_sub_nc_u32_e32 v1, 29, v2
	v_and_b32_e32 v0, 7, v0
; %bb.391:                              ;   in Loop: Header=BB294_10 Depth=1
	s_or_b32 exec_lo, exec_lo, s20
	v_lshlrev_b32_e32 v2, 8, v4
	v_lshl_add_u32 v1, v1, 10, 0x2000
	v_lshlrev_b32_e32 v0, 23, v0
	v_and_or_b32 v1, 0x8000, v2, v1
	v_lshl_or_b32 v60, v1, 16, v0
.LBB294_392:                            ;   in Loop: Header=BB294_10 Depth=1
	s_or_b32 exec_lo, exec_lo, s19
.LBB294_393:                            ;   in Loop: Header=BB294_10 Depth=1
	s_or_b32 exec_lo, exec_lo, s18
.LBB294_394:                            ;   in Loop: Header=BB294_10 Depth=1
	s_or_b32 exec_lo, exec_lo, s17
	flat_load_dwordx2 v[24:25], v[16:17] offset:1536
	s_waitcnt vmcnt(0) lgkmcnt(0)
	v_cmp_ne_u16_sdwa s5, v24, v5 src0_sel:BYTE_0 src1_sel:DWORD
	s_and_saveexec_b32 s17, s5
	s_cbranch_execz .LBB294_402
; %bb.395:                              ;   in Loop: Header=BB294_10 Depth=1
	v_cmp_ne_u16_sdwa s5, v24, v37 src0_sel:BYTE_0 src1_sel:DWORD
	v_mov_b32_e32 v61, 0x8000
	s_and_saveexec_b32 s18, s5
	s_cbranch_execz .LBB294_401
; %bb.396:                              ;   in Loop: Header=BB294_10 Depth=1
	v_and_b32_e32 v2, 0x7f, v24
	v_mov_b32_e32 v61, 0x7c01
	s_mov_b32 s19, exec_lo
	v_cmpx_ne_u32_e32 0x7f, v2
	s_cbranch_execz .LBB294_400
; %bb.397:                              ;   in Loop: Header=BB294_10 Depth=1
	v_and_b32_e32 v0, 7, v24
	v_lshrrev_b32_e32 v1, 3, v2
	s_mov_b32 s20, exec_lo
	v_cmpx_gt_u32_e32 8, v2
; %bb.398:                              ;   in Loop: Header=BB294_10 Depth=1
	v_ffbh_u32_e32 v0, v0
	v_min_u32_e32 v2, 32, v0
	v_subrev_nc_u32_e32 v0, 28, v2
	v_lshlrev_b64 v[0:1], v0, v[24:25]
	v_sub_nc_u32_e32 v1, 29, v2
	v_and_b32_e32 v0, 7, v0
; %bb.399:                              ;   in Loop: Header=BB294_10 Depth=1
	s_or_b32 exec_lo, exec_lo, s20
	v_lshlrev_b32_e32 v2, 8, v24
	v_lshl_add_u32 v1, v1, 10, 0x2000
	v_lshlrev_b32_e32 v0, 7, v0
	v_and_b32_e32 v2, 0x8000, v2
	v_and_b32_e32 v1, 0xfc00, v1
	v_or3_b32 v61, v2, v1, v0
.LBB294_400:                            ;   in Loop: Header=BB294_10 Depth=1
	s_or_b32 exec_lo, exec_lo, s19
.LBB294_401:                            ;   in Loop: Header=BB294_10 Depth=1
	s_or_b32 exec_lo, exec_lo, s18
.LBB294_402:                            ;   in Loop: Header=BB294_10 Depth=1
	s_or_b32 exec_lo, exec_lo, s17
	v_lshrrev_b16 v4, 8, v24
	v_mov_b32_e32 v77, 0
	v_mov_b32_e32 v76, 0
	s_mov_b32 s17, exec_lo
	v_cmpx_ne_u16_e32 0, v4
	s_cbranch_execz .LBB294_410
; %bb.403:                              ;   in Loop: Header=BB294_10 Depth=1
	v_bfrev_b32_e32 v76, 1
	s_mov_b32 s18, exec_lo
	v_cmpx_ne_u16_e32 0x80, v4
	s_cbranch_execz .LBB294_409
; %bb.404:                              ;   in Loop: Header=BB294_10 Depth=1
	v_mov_b32_e32 v0, 0x7f
	v_mov_b32_e32 v76, 0x7c010000
	s_mov_b32 s19, exec_lo
	v_and_b32_sdwa v2, v4, v0 dst_sel:DWORD dst_unused:UNUSED_PAD src0_sel:WORD_0 src1_sel:DWORD
	v_cmpx_ne_u32_e32 0x7f, v2
	s_cbranch_execz .LBB294_408
; %bb.405:                              ;   in Loop: Header=BB294_10 Depth=1
	v_mov_b32_e32 v0, 7
	v_lshrrev_b32_e32 v1, 3, v2
	s_mov_b32 s20, exec_lo
	v_and_b32_sdwa v0, v4, v0 dst_sel:DWORD dst_unused:UNUSED_PAD src0_sel:WORD_0 src1_sel:DWORD
	v_cmpx_gt_u32_e32 8, v2
; %bb.406:                              ;   in Loop: Header=BB294_10 Depth=1
	v_ffbh_u32_e32 v0, v0
	v_min_u32_e32 v2, 32, v0
	v_subrev_nc_u32_e32 v0, 28, v2
	v_lshlrev_b64 v[0:1], v0, v[4:5]
	v_sub_nc_u32_e32 v1, 29, v2
	v_and_b32_e32 v0, 7, v0
; %bb.407:                              ;   in Loop: Header=BB294_10 Depth=1
	s_or_b32 exec_lo, exec_lo, s20
	v_mov_b32_e32 v2, 8
	v_lshl_add_u32 v1, v1, 10, 0x2000
	v_lshlrev_b32_e32 v0, 23, v0
	v_lshlrev_b32_sdwa v2, v2, v4 dst_sel:DWORD dst_unused:UNUSED_PAD src0_sel:DWORD src1_sel:WORD_0
	v_and_or_b32 v1, 0x8000, v2, v1
	v_lshl_or_b32 v76, v1, 16, v0
.LBB294_408:                            ;   in Loop: Header=BB294_10 Depth=1
	s_or_b32 exec_lo, exec_lo, s19
.LBB294_409:                            ;   in Loop: Header=BB294_10 Depth=1
	s_or_b32 exec_lo, exec_lo, s18
.LBB294_410:                            ;   in Loop: Header=BB294_10 Depth=1
	s_or_b32 exec_lo, exec_lo, s17
	v_lshrrev_b32_e32 v4, 16, v24
	v_cmp_ne_u16_sdwa s5, v4, v5 src0_sel:BYTE_0 src1_sel:DWORD
	s_and_saveexec_b32 s17, s5
	s_cbranch_execz .LBB294_418
; %bb.411:                              ;   in Loop: Header=BB294_10 Depth=1
	v_cmp_ne_u16_sdwa s5, v4, v37 src0_sel:BYTE_0 src1_sel:DWORD
	v_mov_b32_e32 v77, 0x8000
	s_and_saveexec_b32 s18, s5
	s_cbranch_execz .LBB294_417
; %bb.412:                              ;   in Loop: Header=BB294_10 Depth=1
	v_bfe_u32 v2, v24, 16, 7
	v_mov_b32_e32 v77, 0x7c01
	s_mov_b32 s19, exec_lo
	v_cmpx_ne_u32_e32 0x7f, v2
	s_cbranch_execz .LBB294_416
; %bb.413:                              ;   in Loop: Header=BB294_10 Depth=1
	v_and_b32_e32 v0, 7, v4
	v_lshrrev_b32_e32 v1, 3, v2
	s_mov_b32 s20, exec_lo
	v_cmpx_gt_u32_e32 8, v2
; %bb.414:                              ;   in Loop: Header=BB294_10 Depth=1
	v_ffbh_u32_e32 v0, v0
	v_min_u32_e32 v2, 32, v0
	v_subrev_nc_u32_e32 v0, 28, v2
	v_lshlrev_b64 v[0:1], v0, v[4:5]
	v_sub_nc_u32_e32 v1, 29, v2
	v_and_b32_e32 v0, 7, v0
; %bb.415:                              ;   in Loop: Header=BB294_10 Depth=1
	s_or_b32 exec_lo, exec_lo, s20
	v_lshlrev_b32_e32 v2, 8, v4
	v_lshl_add_u32 v1, v1, 10, 0x2000
	v_lshlrev_b32_e32 v0, 7, v0
	v_and_b32_e32 v2, 0x8000, v2
	v_and_b32_e32 v1, 0xfc00, v1
	v_or3_b32 v77, v2, v1, v0
.LBB294_416:                            ;   in Loop: Header=BB294_10 Depth=1
	s_or_b32 exec_lo, exec_lo, s19
.LBB294_417:                            ;   in Loop: Header=BB294_10 Depth=1
	s_or_b32 exec_lo, exec_lo, s18
.LBB294_418:                            ;   in Loop: Header=BB294_10 Depth=1
	s_or_b32 exec_lo, exec_lo, s17
	v_mov_b32_e32 v88, 0
	v_mov_b32_e32 v89, 0
	s_mov_b32 s17, exec_lo
	v_cmpx_lt_u32_e32 0xffffff, v24
	s_cbranch_execz .LBB294_426
; %bb.419:                              ;   in Loop: Header=BB294_10 Depth=1
	v_lshrrev_b32_e32 v4, 24, v24
	v_bfrev_b32_e32 v89, 1
	s_mov_b32 s18, exec_lo
	v_cmpx_ne_u32_e32 0x80, v4
	s_cbranch_execz .LBB294_425
; %bb.420:                              ;   in Loop: Header=BB294_10 Depth=1
	v_and_b32_e32 v2, 0x7f, v4
	v_mov_b32_e32 v89, 0x7c010000
	s_mov_b32 s19, exec_lo
	v_cmpx_ne_u32_e32 0x7f, v2
	s_cbranch_execz .LBB294_424
; %bb.421:                              ;   in Loop: Header=BB294_10 Depth=1
	v_and_b32_e32 v0, 7, v4
	v_lshrrev_b32_e32 v1, 3, v2
	s_mov_b32 s20, exec_lo
	v_cmpx_gt_u32_e32 8, v2
; %bb.422:                              ;   in Loop: Header=BB294_10 Depth=1
	v_ffbh_u32_e32 v0, v0
	v_min_u32_e32 v2, 32, v0
	v_subrev_nc_u32_e32 v0, 28, v2
	v_lshlrev_b64 v[0:1], v0, v[4:5]
	v_sub_nc_u32_e32 v1, 29, v2
	v_and_b32_e32 v0, 7, v0
; %bb.423:                              ;   in Loop: Header=BB294_10 Depth=1
	s_or_b32 exec_lo, exec_lo, s20
	v_lshlrev_b32_e32 v2, 8, v4
	v_lshl_add_u32 v1, v1, 10, 0x2000
	v_lshlrev_b32_e32 v0, 23, v0
	v_and_or_b32 v1, 0x8000, v2, v1
	v_lshl_or_b32 v89, v1, 16, v0
.LBB294_424:                            ;   in Loop: Header=BB294_10 Depth=1
	s_or_b32 exec_lo, exec_lo, s19
.LBB294_425:                            ;   in Loop: Header=BB294_10 Depth=1
	s_or_b32 exec_lo, exec_lo, s18
.LBB294_426:                            ;   in Loop: Header=BB294_10 Depth=1
	s_or_b32 exec_lo, exec_lo, s17
	v_mov_b32_e32 v4, v25
	v_cmp_ne_u16_sdwa s5, v25, v5 src0_sel:BYTE_0 src1_sel:DWORD
	s_and_saveexec_b32 s17, s5
	s_cbranch_execz .LBB294_434
; %bb.427:                              ;   in Loop: Header=BB294_10 Depth=1
	v_cmp_ne_u16_sdwa s5, v25, v37 src0_sel:BYTE_0 src1_sel:DWORD
	v_mov_b32_e32 v88, 0x8000
	s_and_saveexec_b32 s18, s5
	s_cbranch_execz .LBB294_433
; %bb.428:                              ;   in Loop: Header=BB294_10 Depth=1
	v_and_b32_e32 v2, 0x7f, v25
	v_mov_b32_e32 v88, 0x7c01
	s_mov_b32 s19, exec_lo
	v_cmpx_ne_u32_e32 0x7f, v2
	s_cbranch_execz .LBB294_432
; %bb.429:                              ;   in Loop: Header=BB294_10 Depth=1
	v_and_b32_e32 v0, 7, v25
	v_lshrrev_b32_e32 v1, 3, v2
	s_mov_b32 s20, exec_lo
	v_cmpx_gt_u32_e32 8, v2
; %bb.430:                              ;   in Loop: Header=BB294_10 Depth=1
	v_ffbh_u32_e32 v0, v0
	v_min_u32_e32 v2, 32, v0
	v_subrev_nc_u32_e32 v0, 28, v2
	v_lshlrev_b64 v[0:1], v0, v[4:5]
	v_sub_nc_u32_e32 v1, 29, v2
	v_and_b32_e32 v0, 7, v0
; %bb.431:                              ;   in Loop: Header=BB294_10 Depth=1
	s_or_b32 exec_lo, exec_lo, s20
	v_lshlrev_b32_e32 v2, 8, v25
	v_lshl_add_u32 v1, v1, 10, 0x2000
	v_lshlrev_b32_e32 v0, 7, v0
	v_and_b32_e32 v2, 0x8000, v2
	v_and_b32_e32 v1, 0xfc00, v1
	v_or3_b32 v88, v2, v1, v0
.LBB294_432:                            ;   in Loop: Header=BB294_10 Depth=1
	s_or_b32 exec_lo, exec_lo, s19
.LBB294_433:                            ;   in Loop: Header=BB294_10 Depth=1
	s_or_b32 exec_lo, exec_lo, s18
.LBB294_434:                            ;   in Loop: Header=BB294_10 Depth=1
	s_or_b32 exec_lo, exec_lo, s17
	v_lshrrev_b16 v4, 8, v4
	v_mov_b32_e32 v90, 0
	v_mov_b32_e32 v91, 0
	s_mov_b32 s17, exec_lo
	v_cmpx_ne_u16_e32 0, v4
	s_cbranch_execz .LBB294_442
; %bb.435:                              ;   in Loop: Header=BB294_10 Depth=1
	v_bfrev_b32_e32 v91, 1
	s_mov_b32 s18, exec_lo
	v_cmpx_ne_u16_e32 0x80, v4
	s_cbranch_execz .LBB294_441
; %bb.436:                              ;   in Loop: Header=BB294_10 Depth=1
	v_mov_b32_e32 v0, 0x7f
	v_mov_b32_e32 v91, 0x7c010000
	s_mov_b32 s19, exec_lo
	v_and_b32_sdwa v2, v4, v0 dst_sel:DWORD dst_unused:UNUSED_PAD src0_sel:WORD_0 src1_sel:DWORD
	v_cmpx_ne_u32_e32 0x7f, v2
	s_cbranch_execz .LBB294_440
; %bb.437:                              ;   in Loop: Header=BB294_10 Depth=1
	v_mov_b32_e32 v0, 7
	v_lshrrev_b32_e32 v1, 3, v2
	s_mov_b32 s20, exec_lo
	v_and_b32_sdwa v0, v4, v0 dst_sel:DWORD dst_unused:UNUSED_PAD src0_sel:WORD_0 src1_sel:DWORD
	v_cmpx_gt_u32_e32 8, v2
; %bb.438:                              ;   in Loop: Header=BB294_10 Depth=1
	v_ffbh_u32_e32 v0, v0
	v_min_u32_e32 v2, 32, v0
	v_subrev_nc_u32_e32 v0, 28, v2
	v_lshlrev_b64 v[0:1], v0, v[4:5]
	v_sub_nc_u32_e32 v1, 29, v2
	v_and_b32_e32 v0, 7, v0
; %bb.439:                              ;   in Loop: Header=BB294_10 Depth=1
	s_or_b32 exec_lo, exec_lo, s20
	v_mov_b32_e32 v2, 8
	v_lshl_add_u32 v1, v1, 10, 0x2000
	v_lshlrev_b32_e32 v0, 23, v0
	v_lshlrev_b32_sdwa v2, v2, v4 dst_sel:DWORD dst_unused:UNUSED_PAD src0_sel:DWORD src1_sel:WORD_0
	v_and_or_b32 v1, 0x8000, v2, v1
	v_lshl_or_b32 v91, v1, 16, v0
.LBB294_440:                            ;   in Loop: Header=BB294_10 Depth=1
	s_or_b32 exec_lo, exec_lo, s19
.LBB294_441:                            ;   in Loop: Header=BB294_10 Depth=1
	s_or_b32 exec_lo, exec_lo, s18
.LBB294_442:                            ;   in Loop: Header=BB294_10 Depth=1
	s_or_b32 exec_lo, exec_lo, s17
	v_lshrrev_b32_e32 v4, 16, v25
	v_cmp_ne_u16_sdwa s5, v4, v5 src0_sel:BYTE_0 src1_sel:DWORD
	s_and_saveexec_b32 s17, s5
	s_cbranch_execz .LBB294_450
; %bb.443:                              ;   in Loop: Header=BB294_10 Depth=1
	v_cmp_ne_u16_sdwa s5, v4, v37 src0_sel:BYTE_0 src1_sel:DWORD
	v_mov_b32_e32 v90, 0x8000
	s_and_saveexec_b32 s18, s5
	s_cbranch_execz .LBB294_449
; %bb.444:                              ;   in Loop: Header=BB294_10 Depth=1
	v_bfe_u32 v2, v25, 16, 7
	v_mov_b32_e32 v90, 0x7c01
	s_mov_b32 s19, exec_lo
	v_cmpx_ne_u32_e32 0x7f, v2
	s_cbranch_execz .LBB294_448
; %bb.445:                              ;   in Loop: Header=BB294_10 Depth=1
	v_and_b32_e32 v0, 7, v4
	v_lshrrev_b32_e32 v1, 3, v2
	s_mov_b32 s20, exec_lo
	v_cmpx_gt_u32_e32 8, v2
; %bb.446:                              ;   in Loop: Header=BB294_10 Depth=1
	v_ffbh_u32_e32 v0, v0
	v_min_u32_e32 v2, 32, v0
	v_subrev_nc_u32_e32 v0, 28, v2
	v_lshlrev_b64 v[0:1], v0, v[4:5]
	v_sub_nc_u32_e32 v1, 29, v2
	v_and_b32_e32 v0, 7, v0
; %bb.447:                              ;   in Loop: Header=BB294_10 Depth=1
	s_or_b32 exec_lo, exec_lo, s20
	v_lshlrev_b32_e32 v2, 8, v4
	v_lshl_add_u32 v1, v1, 10, 0x2000
	v_lshlrev_b32_e32 v0, 7, v0
	v_and_b32_e32 v2, 0x8000, v2
	v_and_b32_e32 v1, 0xfc00, v1
	v_or3_b32 v90, v2, v1, v0
.LBB294_448:                            ;   in Loop: Header=BB294_10 Depth=1
	s_or_b32 exec_lo, exec_lo, s19
.LBB294_449:                            ;   in Loop: Header=BB294_10 Depth=1
	s_or_b32 exec_lo, exec_lo, s18
.LBB294_450:                            ;   in Loop: Header=BB294_10 Depth=1
	s_or_b32 exec_lo, exec_lo, s17
	v_mov_b32_e32 v95, 0
	v_mov_b32_e32 v94, 0
	s_mov_b32 s17, exec_lo
	v_cmpx_lt_u64_e64 s[6:7], v[24:25]
	s_cbranch_execz .LBB294_458
; %bb.451:                              ;   in Loop: Header=BB294_10 Depth=1
	v_lshrrev_b32_e32 v4, 24, v25
	v_bfrev_b32_e32 v94, 1
	s_mov_b32 s18, exec_lo
	v_cmpx_ne_u32_e32 0x80, v4
	s_cbranch_execz .LBB294_457
; %bb.452:                              ;   in Loop: Header=BB294_10 Depth=1
	v_and_b32_e32 v2, 0x7f, v4
	v_mov_b32_e32 v94, 0x7c010000
	s_mov_b32 s19, exec_lo
	v_cmpx_ne_u32_e32 0x7f, v2
	s_cbranch_execz .LBB294_456
; %bb.453:                              ;   in Loop: Header=BB294_10 Depth=1
	v_and_b32_e32 v0, 7, v4
	v_lshrrev_b32_e32 v1, 3, v2
	s_mov_b32 s20, exec_lo
	v_cmpx_gt_u32_e32 8, v2
; %bb.454:                              ;   in Loop: Header=BB294_10 Depth=1
	v_ffbh_u32_e32 v0, v0
	v_min_u32_e32 v2, 32, v0
	v_subrev_nc_u32_e32 v0, 28, v2
	v_lshlrev_b64 v[0:1], v0, v[4:5]
	v_sub_nc_u32_e32 v1, 29, v2
	v_and_b32_e32 v0, 7, v0
; %bb.455:                              ;   in Loop: Header=BB294_10 Depth=1
	s_or_b32 exec_lo, exec_lo, s20
	v_lshlrev_b32_e32 v2, 8, v4
	v_lshl_add_u32 v1, v1, 10, 0x2000
	v_lshlrev_b32_e32 v0, 23, v0
	v_and_or_b32 v1, 0x8000, v2, v1
	v_lshl_or_b32 v94, v1, 16, v0
.LBB294_456:                            ;   in Loop: Header=BB294_10 Depth=1
	s_or_b32 exec_lo, exec_lo, s19
.LBB294_457:                            ;   in Loop: Header=BB294_10 Depth=1
	s_or_b32 exec_lo, exec_lo, s18
.LBB294_458:                            ;   in Loop: Header=BB294_10 Depth=1
	s_or_b32 exec_lo, exec_lo, s17
	flat_load_dwordx2 v[24:25], v[16:17] offset:1544
	s_waitcnt vmcnt(0) lgkmcnt(0)
	v_cmp_ne_u16_sdwa s5, v24, v5 src0_sel:BYTE_0 src1_sel:DWORD
	s_and_saveexec_b32 s17, s5
	s_cbranch_execz .LBB294_466
; %bb.459:                              ;   in Loop: Header=BB294_10 Depth=1
	v_cmp_ne_u16_sdwa s5, v24, v37 src0_sel:BYTE_0 src1_sel:DWORD
	v_mov_b32_e32 v95, 0x8000
	s_and_saveexec_b32 s18, s5
	s_cbranch_execz .LBB294_465
; %bb.460:                              ;   in Loop: Header=BB294_10 Depth=1
	v_and_b32_e32 v2, 0x7f, v24
	v_mov_b32_e32 v95, 0x7c01
	s_mov_b32 s19, exec_lo
	v_cmpx_ne_u32_e32 0x7f, v2
	s_cbranch_execz .LBB294_464
; %bb.461:                              ;   in Loop: Header=BB294_10 Depth=1
	v_and_b32_e32 v0, 7, v24
	v_lshrrev_b32_e32 v1, 3, v2
	s_mov_b32 s20, exec_lo
	v_cmpx_gt_u32_e32 8, v2
; %bb.462:                              ;   in Loop: Header=BB294_10 Depth=1
	v_ffbh_u32_e32 v0, v0
	v_min_u32_e32 v2, 32, v0
	v_subrev_nc_u32_e32 v0, 28, v2
	v_lshlrev_b64 v[0:1], v0, v[24:25]
	v_sub_nc_u32_e32 v1, 29, v2
	v_and_b32_e32 v0, 7, v0
; %bb.463:                              ;   in Loop: Header=BB294_10 Depth=1
	s_or_b32 exec_lo, exec_lo, s20
	v_lshlrev_b32_e32 v2, 8, v24
	v_lshl_add_u32 v1, v1, 10, 0x2000
	v_lshlrev_b32_e32 v0, 7, v0
	v_and_b32_e32 v2, 0x8000, v2
	v_and_b32_e32 v1, 0xfc00, v1
	v_or3_b32 v95, v2, v1, v0
.LBB294_464:                            ;   in Loop: Header=BB294_10 Depth=1
	s_or_b32 exec_lo, exec_lo, s19
.LBB294_465:                            ;   in Loop: Header=BB294_10 Depth=1
	s_or_b32 exec_lo, exec_lo, s18
.LBB294_466:                            ;   in Loop: Header=BB294_10 Depth=1
	s_or_b32 exec_lo, exec_lo, s17
	v_lshrrev_b16 v4, 8, v24
	v_mov_b32_e32 v111, 0
	v_mov_b32_e32 v110, 0
	s_mov_b32 s17, exec_lo
	v_cmpx_ne_u16_e32 0, v4
	s_cbranch_execz .LBB294_474
; %bb.467:                              ;   in Loop: Header=BB294_10 Depth=1
	v_bfrev_b32_e32 v110, 1
	s_mov_b32 s18, exec_lo
	v_cmpx_ne_u16_e32 0x80, v4
	s_cbranch_execz .LBB294_473
; %bb.468:                              ;   in Loop: Header=BB294_10 Depth=1
	v_mov_b32_e32 v0, 0x7f
	v_mov_b32_e32 v110, 0x7c010000
	s_mov_b32 s19, exec_lo
	v_and_b32_sdwa v2, v4, v0 dst_sel:DWORD dst_unused:UNUSED_PAD src0_sel:WORD_0 src1_sel:DWORD
	v_cmpx_ne_u32_e32 0x7f, v2
	s_cbranch_execz .LBB294_472
; %bb.469:                              ;   in Loop: Header=BB294_10 Depth=1
	v_mov_b32_e32 v0, 7
	v_lshrrev_b32_e32 v1, 3, v2
	s_mov_b32 s20, exec_lo
	v_and_b32_sdwa v0, v4, v0 dst_sel:DWORD dst_unused:UNUSED_PAD src0_sel:WORD_0 src1_sel:DWORD
	v_cmpx_gt_u32_e32 8, v2
; %bb.470:                              ;   in Loop: Header=BB294_10 Depth=1
	v_ffbh_u32_e32 v0, v0
	v_min_u32_e32 v2, 32, v0
	v_subrev_nc_u32_e32 v0, 28, v2
	v_lshlrev_b64 v[0:1], v0, v[4:5]
	v_sub_nc_u32_e32 v1, 29, v2
	v_and_b32_e32 v0, 7, v0
; %bb.471:                              ;   in Loop: Header=BB294_10 Depth=1
	s_or_b32 exec_lo, exec_lo, s20
	v_mov_b32_e32 v2, 8
	v_lshl_add_u32 v1, v1, 10, 0x2000
	v_lshlrev_b32_e32 v0, 23, v0
	v_lshlrev_b32_sdwa v2, v2, v4 dst_sel:DWORD dst_unused:UNUSED_PAD src0_sel:DWORD src1_sel:WORD_0
	v_and_or_b32 v1, 0x8000, v2, v1
	v_lshl_or_b32 v110, v1, 16, v0
.LBB294_472:                            ;   in Loop: Header=BB294_10 Depth=1
	s_or_b32 exec_lo, exec_lo, s19
.LBB294_473:                            ;   in Loop: Header=BB294_10 Depth=1
	s_or_b32 exec_lo, exec_lo, s18
.LBB294_474:                            ;   in Loop: Header=BB294_10 Depth=1
	s_or_b32 exec_lo, exec_lo, s17
	v_lshrrev_b32_e32 v4, 16, v24
	v_cmp_ne_u16_sdwa s5, v4, v5 src0_sel:BYTE_0 src1_sel:DWORD
	s_and_saveexec_b32 s17, s5
	s_cbranch_execz .LBB294_482
; %bb.475:                              ;   in Loop: Header=BB294_10 Depth=1
	v_cmp_ne_u16_sdwa s5, v4, v37 src0_sel:BYTE_0 src1_sel:DWORD
	v_mov_b32_e32 v111, 0x8000
	s_and_saveexec_b32 s18, s5
	s_cbranch_execz .LBB294_481
; %bb.476:                              ;   in Loop: Header=BB294_10 Depth=1
	v_bfe_u32 v2, v24, 16, 7
	v_mov_b32_e32 v111, 0x7c01
	s_mov_b32 s19, exec_lo
	v_cmpx_ne_u32_e32 0x7f, v2
	s_cbranch_execz .LBB294_480
; %bb.477:                              ;   in Loop: Header=BB294_10 Depth=1
	v_and_b32_e32 v0, 7, v4
	v_lshrrev_b32_e32 v1, 3, v2
	s_mov_b32 s20, exec_lo
	v_cmpx_gt_u32_e32 8, v2
; %bb.478:                              ;   in Loop: Header=BB294_10 Depth=1
	v_ffbh_u32_e32 v0, v0
	v_min_u32_e32 v2, 32, v0
	v_subrev_nc_u32_e32 v0, 28, v2
	v_lshlrev_b64 v[0:1], v0, v[4:5]
	v_sub_nc_u32_e32 v1, 29, v2
	v_and_b32_e32 v0, 7, v0
; %bb.479:                              ;   in Loop: Header=BB294_10 Depth=1
	s_or_b32 exec_lo, exec_lo, s20
	v_lshlrev_b32_e32 v2, 8, v4
	v_lshl_add_u32 v1, v1, 10, 0x2000
	v_lshlrev_b32_e32 v0, 7, v0
	v_and_b32_e32 v2, 0x8000, v2
	v_and_b32_e32 v1, 0xfc00, v1
	v_or3_b32 v111, v2, v1, v0
.LBB294_480:                            ;   in Loop: Header=BB294_10 Depth=1
	s_or_b32 exec_lo, exec_lo, s19
.LBB294_481:                            ;   in Loop: Header=BB294_10 Depth=1
	s_or_b32 exec_lo, exec_lo, s18
.LBB294_482:                            ;   in Loop: Header=BB294_10 Depth=1
	s_or_b32 exec_lo, exec_lo, s17
	v_mov_b32_e32 v122, 0
	v_mov_b32_e32 v123, 0
	s_mov_b32 s17, exec_lo
	v_cmpx_lt_u32_e32 0xffffff, v24
	s_cbranch_execz .LBB294_490
; %bb.483:                              ;   in Loop: Header=BB294_10 Depth=1
	v_lshrrev_b32_e32 v4, 24, v24
	v_bfrev_b32_e32 v123, 1
	s_mov_b32 s18, exec_lo
	v_cmpx_ne_u32_e32 0x80, v4
	s_cbranch_execz .LBB294_489
; %bb.484:                              ;   in Loop: Header=BB294_10 Depth=1
	v_and_b32_e32 v2, 0x7f, v4
	v_mov_b32_e32 v123, 0x7c010000
	s_mov_b32 s19, exec_lo
	v_cmpx_ne_u32_e32 0x7f, v2
	s_cbranch_execz .LBB294_488
; %bb.485:                              ;   in Loop: Header=BB294_10 Depth=1
	v_and_b32_e32 v0, 7, v4
	v_lshrrev_b32_e32 v1, 3, v2
	s_mov_b32 s20, exec_lo
	v_cmpx_gt_u32_e32 8, v2
; %bb.486:                              ;   in Loop: Header=BB294_10 Depth=1
	v_ffbh_u32_e32 v0, v0
	v_min_u32_e32 v2, 32, v0
	v_subrev_nc_u32_e32 v0, 28, v2
	v_lshlrev_b64 v[0:1], v0, v[4:5]
	v_sub_nc_u32_e32 v1, 29, v2
	v_and_b32_e32 v0, 7, v0
; %bb.487:                              ;   in Loop: Header=BB294_10 Depth=1
	s_or_b32 exec_lo, exec_lo, s20
	v_lshlrev_b32_e32 v2, 8, v4
	v_lshl_add_u32 v1, v1, 10, 0x2000
	v_lshlrev_b32_e32 v0, 23, v0
	v_and_or_b32 v1, 0x8000, v2, v1
	v_lshl_or_b32 v123, v1, 16, v0
.LBB294_488:                            ;   in Loop: Header=BB294_10 Depth=1
	s_or_b32 exec_lo, exec_lo, s19
.LBB294_489:                            ;   in Loop: Header=BB294_10 Depth=1
	s_or_b32 exec_lo, exec_lo, s18
.LBB294_490:                            ;   in Loop: Header=BB294_10 Depth=1
	s_or_b32 exec_lo, exec_lo, s17
	v_mov_b32_e32 v4, v25
	v_cmp_ne_u16_sdwa s5, v25, v5 src0_sel:BYTE_0 src1_sel:DWORD
	s_and_saveexec_b32 s17, s5
	s_cbranch_execz .LBB294_498
; %bb.491:                              ;   in Loop: Header=BB294_10 Depth=1
	v_cmp_ne_u16_sdwa s5, v25, v37 src0_sel:BYTE_0 src1_sel:DWORD
	v_mov_b32_e32 v122, 0x8000
	s_and_saveexec_b32 s18, s5
	s_cbranch_execz .LBB294_497
; %bb.492:                              ;   in Loop: Header=BB294_10 Depth=1
	v_and_b32_e32 v2, 0x7f, v25
	v_mov_b32_e32 v122, 0x7c01
	s_mov_b32 s19, exec_lo
	v_cmpx_ne_u32_e32 0x7f, v2
	s_cbranch_execz .LBB294_496
; %bb.493:                              ;   in Loop: Header=BB294_10 Depth=1
	v_and_b32_e32 v0, 7, v25
	v_lshrrev_b32_e32 v1, 3, v2
	s_mov_b32 s20, exec_lo
	v_cmpx_gt_u32_e32 8, v2
; %bb.494:                              ;   in Loop: Header=BB294_10 Depth=1
	v_ffbh_u32_e32 v0, v0
	v_min_u32_e32 v2, 32, v0
	v_subrev_nc_u32_e32 v0, 28, v2
	v_lshlrev_b64 v[0:1], v0, v[4:5]
	v_sub_nc_u32_e32 v1, 29, v2
	v_and_b32_e32 v0, 7, v0
; %bb.495:                              ;   in Loop: Header=BB294_10 Depth=1
	s_or_b32 exec_lo, exec_lo, s20
	v_lshlrev_b32_e32 v2, 8, v25
	v_lshl_add_u32 v1, v1, 10, 0x2000
	v_lshlrev_b32_e32 v0, 7, v0
	v_and_b32_e32 v2, 0x8000, v2
	v_and_b32_e32 v1, 0xfc00, v1
	v_or3_b32 v122, v2, v1, v0
.LBB294_496:                            ;   in Loop: Header=BB294_10 Depth=1
	s_or_b32 exec_lo, exec_lo, s19
.LBB294_497:                            ;   in Loop: Header=BB294_10 Depth=1
	s_or_b32 exec_lo, exec_lo, s18
.LBB294_498:                            ;   in Loop: Header=BB294_10 Depth=1
	s_or_b32 exec_lo, exec_lo, s17
	v_lshrrev_b16 v4, 8, v4
	v_mov_b32_e32 v32, 0
	v_mov_b32_e32 v1, 0
	s_mov_b32 s17, exec_lo
	v_cmpx_ne_u16_e32 0, v4
	s_cbranch_execz .LBB294_506
; %bb.499:                              ;   in Loop: Header=BB294_10 Depth=1
	v_bfrev_b32_e32 v1, 1
	s_mov_b32 s18, exec_lo
	v_cmpx_ne_u16_e32 0x80, v4
	s_cbranch_execz .LBB294_505
; %bb.500:                              ;   in Loop: Header=BB294_10 Depth=1
	v_mov_b32_e32 v0, 0x7f
	v_mov_b32_e32 v1, 0x7c010000
	s_mov_b32 s19, exec_lo
	v_and_b32_sdwa v2, v4, v0 dst_sel:DWORD dst_unused:UNUSED_PAD src0_sel:WORD_0 src1_sel:DWORD
	v_cmpx_ne_u32_e32 0x7f, v2
	s_cbranch_execz .LBB294_504
; %bb.501:                              ;   in Loop: Header=BB294_10 Depth=1
	v_mov_b32_e32 v0, 7
	v_lshrrev_b32_e32 v1, 3, v2
	s_mov_b32 s20, exec_lo
	v_and_b32_sdwa v0, v4, v0 dst_sel:DWORD dst_unused:UNUSED_PAD src0_sel:WORD_0 src1_sel:DWORD
	v_cmpx_gt_u32_e32 8, v2
; %bb.502:                              ;   in Loop: Header=BB294_10 Depth=1
	v_ffbh_u32_e32 v0, v0
	v_min_u32_e32 v2, 32, v0
	v_subrev_nc_u32_e32 v0, 28, v2
	v_lshlrev_b64 v[0:1], v0, v[4:5]
	v_sub_nc_u32_e32 v1, 29, v2
	v_and_b32_e32 v0, 7, v0
; %bb.503:                              ;   in Loop: Header=BB294_10 Depth=1
	s_or_b32 exec_lo, exec_lo, s20
	v_mov_b32_e32 v2, 8
	v_lshl_add_u32 v1, v1, 10, 0x2000
	v_lshlrev_b32_e32 v0, 23, v0
	v_lshlrev_b32_sdwa v2, v2, v4 dst_sel:DWORD dst_unused:UNUSED_PAD src0_sel:DWORD src1_sel:WORD_0
	v_and_or_b32 v1, 0x8000, v2, v1
	v_lshl_or_b32 v1, v1, 16, v0
.LBB294_504:                            ;   in Loop: Header=BB294_10 Depth=1
	s_or_b32 exec_lo, exec_lo, s19
.LBB294_505:                            ;   in Loop: Header=BB294_10 Depth=1
	s_or_b32 exec_lo, exec_lo, s18
.LBB294_506:                            ;   in Loop: Header=BB294_10 Depth=1
	s_or_b32 exec_lo, exec_lo, s17
	v_lshrrev_b32_e32 v4, 16, v25
	v_cmp_ne_u16_sdwa s5, v4, v5 src0_sel:BYTE_0 src1_sel:DWORD
	s_and_saveexec_b32 s17, s5
	s_cbranch_execz .LBB294_514
; %bb.507:                              ;   in Loop: Header=BB294_10 Depth=1
	v_cmp_ne_u16_sdwa s5, v4, v37 src0_sel:BYTE_0 src1_sel:DWORD
	v_mov_b32_e32 v32, 0x8000
	s_and_saveexec_b32 s18, s5
	s_cbranch_execz .LBB294_513
; %bb.508:                              ;   in Loop: Header=BB294_10 Depth=1
	v_bfe_u32 v3, v25, 16, 7
	v_mov_b32_e32 v32, 0x7c01
	s_mov_b32 s19, exec_lo
	v_cmpx_ne_u32_e32 0x7f, v3
	s_cbranch_execz .LBB294_512
; %bb.509:                              ;   in Loop: Header=BB294_10 Depth=1
	v_and_b32_e32 v0, 7, v4
	v_lshrrev_b32_e32 v2, 3, v3
	s_mov_b32 s20, exec_lo
	v_cmpx_gt_u32_e32 8, v3
; %bb.510:                              ;   in Loop: Header=BB294_10 Depth=1
	v_ffbh_u32_e32 v0, v0
	v_min_u32_e32 v0, 32, v0
	v_subrev_nc_u32_e32 v2, 28, v0
	v_lshlrev_b64 v[6:7], v2, v[4:5]
	v_sub_nc_u32_e32 v2, 29, v0
	v_and_b32_e32 v0, 7, v6
; %bb.511:                              ;   in Loop: Header=BB294_10 Depth=1
	s_or_b32 exec_lo, exec_lo, s20
	v_lshlrev_b32_e32 v3, 8, v4
	v_lshl_add_u32 v2, v2, 10, 0x2000
	v_lshlrev_b32_e32 v0, 7, v0
	v_and_b32_e32 v3, 0x8000, v3
	v_and_b32_e32 v2, 0xfc00, v2
	v_or3_b32 v32, v3, v2, v0
.LBB294_512:                            ;   in Loop: Header=BB294_10 Depth=1
	s_or_b32 exec_lo, exec_lo, s19
.LBB294_513:                            ;   in Loop: Header=BB294_10 Depth=1
	s_or_b32 exec_lo, exec_lo, s18
.LBB294_514:                            ;   in Loop: Header=BB294_10 Depth=1
	s_or_b32 exec_lo, exec_lo, s17
	v_mov_b32_e32 v11, 0
	v_mov_b32_e32 v7, 0
	s_mov_b32 s17, exec_lo
	v_cmpx_lt_u64_e64 s[6:7], v[24:25]
	s_cbranch_execz .LBB294_522
; %bb.515:                              ;   in Loop: Header=BB294_10 Depth=1
	v_lshrrev_b32_e32 v4, 24, v25
	v_bfrev_b32_e32 v7, 1
	s_mov_b32 s18, exec_lo
	v_cmpx_ne_u32_e32 0x80, v4
	s_cbranch_execz .LBB294_521
; %bb.516:                              ;   in Loop: Header=BB294_10 Depth=1
	v_and_b32_e32 v3, 0x7f, v4
	v_mov_b32_e32 v7, 0x7c010000
	s_mov_b32 s19, exec_lo
	v_cmpx_ne_u32_e32 0x7f, v3
	s_cbranch_execz .LBB294_520
; %bb.517:                              ;   in Loop: Header=BB294_10 Depth=1
	v_and_b32_e32 v0, 7, v4
	v_lshrrev_b32_e32 v2, 3, v3
	s_mov_b32 s20, exec_lo
	v_cmpx_gt_u32_e32 8, v3
; %bb.518:                              ;   in Loop: Header=BB294_10 Depth=1
	v_ffbh_u32_e32 v0, v0
	v_min_u32_e32 v0, 32, v0
	v_subrev_nc_u32_e32 v2, 28, v0
	v_lshlrev_b64 v[6:7], v2, v[4:5]
	v_sub_nc_u32_e32 v2, 29, v0
	v_and_b32_e32 v0, 7, v6
; %bb.519:                              ;   in Loop: Header=BB294_10 Depth=1
	s_or_b32 exec_lo, exec_lo, s20
	v_lshlrev_b32_e32 v3, 8, v4
	v_lshl_add_u32 v2, v2, 10, 0x2000
	v_lshlrev_b32_e32 v0, 23, v0
	v_and_or_b32 v2, 0x8000, v3, v2
	v_lshl_or_b32 v7, v2, 16, v0
.LBB294_520:                            ;   in Loop: Header=BB294_10 Depth=1
	s_or_b32 exec_lo, exec_lo, s19
.LBB294_521:                            ;   in Loop: Header=BB294_10 Depth=1
	s_or_b32 exec_lo, exec_lo, s18
.LBB294_522:                            ;   in Loop: Header=BB294_10 Depth=1
	s_or_b32 exec_lo, exec_lo, s17
	v_add_co_u32 v16, s5, 0x800, v16
	v_add_co_ci_u32_e64 v17, null, 0, v17, s5
	flat_load_dwordx2 v[24:25], v[16:17]
	s_waitcnt vmcnt(0) lgkmcnt(0)
	v_cmp_ne_u16_sdwa s5, v24, v5 src0_sel:BYTE_0 src1_sel:DWORD
	s_and_saveexec_b32 s17, s5
	s_cbranch_execz .LBB294_530
; %bb.523:                              ;   in Loop: Header=BB294_10 Depth=1
	v_cmp_ne_u16_sdwa s5, v24, v37 src0_sel:BYTE_0 src1_sel:DWORD
	v_mov_b32_e32 v11, 0x8000
	s_and_saveexec_b32 s18, s5
	s_cbranch_execz .LBB294_529
; %bb.524:                              ;   in Loop: Header=BB294_10 Depth=1
	v_and_b32_e32 v3, 0x7f, v24
	v_mov_b32_e32 v11, 0x7c01
	s_mov_b32 s19, exec_lo
	v_cmpx_ne_u32_e32 0x7f, v3
	s_cbranch_execz .LBB294_528
; %bb.525:                              ;   in Loop: Header=BB294_10 Depth=1
	v_and_b32_e32 v0, 7, v24
	v_lshrrev_b32_e32 v2, 3, v3
	s_mov_b32 s20, exec_lo
	v_cmpx_gt_u32_e32 8, v3
; %bb.526:                              ;   in Loop: Header=BB294_10 Depth=1
	v_ffbh_u32_e32 v0, v0
	v_min_u32_e32 v0, 32, v0
	v_subrev_nc_u32_e32 v2, 28, v0
	v_lshlrev_b64 v[3:4], v2, v[24:25]
	v_sub_nc_u32_e32 v2, 29, v0
	v_and_b32_e32 v0, 7, v3
; %bb.527:                              ;   in Loop: Header=BB294_10 Depth=1
	s_or_b32 exec_lo, exec_lo, s20
	v_lshlrev_b32_e32 v3, 8, v24
	v_lshl_add_u32 v2, v2, 10, 0x2000
	v_lshlrev_b32_e32 v0, 7, v0
	v_and_b32_e32 v3, 0x8000, v3
	v_and_b32_e32 v2, 0xfc00, v2
	v_or3_b32 v11, v3, v2, v0
.LBB294_528:                            ;   in Loop: Header=BB294_10 Depth=1
	s_or_b32 exec_lo, exec_lo, s19
.LBB294_529:                            ;   in Loop: Header=BB294_10 Depth=1
	s_or_b32 exec_lo, exec_lo, s18
.LBB294_530:                            ;   in Loop: Header=BB294_10 Depth=1
	s_or_b32 exec_lo, exec_lo, s17
	v_lshrrev_b16 v4, 8, v24
	v_mov_b32_e32 v30, 0
	v_mov_b32_e32 v3, 0
	s_mov_b32 s17, exec_lo
	v_cmpx_ne_u16_e32 0, v4
	s_cbranch_execz .LBB294_538
; %bb.531:                              ;   in Loop: Header=BB294_10 Depth=1
	v_bfrev_b32_e32 v3, 1
	s_mov_b32 s18, exec_lo
	v_cmpx_ne_u16_e32 0x80, v4
	s_cbranch_execz .LBB294_537
; %bb.532:                              ;   in Loop: Header=BB294_10 Depth=1
	v_mov_b32_e32 v0, 0x7f
	v_mov_b32_e32 v3, 0x7c010000
	s_mov_b32 s19, exec_lo
	v_and_b32_sdwa v6, v4, v0 dst_sel:DWORD dst_unused:UNUSED_PAD src0_sel:WORD_0 src1_sel:DWORD
	v_cmpx_ne_u32_e32 0x7f, v6
	s_cbranch_execz .LBB294_536
; %bb.533:                              ;   in Loop: Header=BB294_10 Depth=1
	v_mov_b32_e32 v0, 7
	v_lshrrev_b32_e32 v2, 3, v6
	s_mov_b32 s20, exec_lo
	v_and_b32_sdwa v0, v4, v0 dst_sel:DWORD dst_unused:UNUSED_PAD src0_sel:WORD_0 src1_sel:DWORD
	v_cmpx_gt_u32_e32 8, v6
; %bb.534:                              ;   in Loop: Header=BB294_10 Depth=1
	v_ffbh_u32_e32 v0, v0
	v_min_u32_e32 v0, 32, v0
	v_subrev_nc_u32_e32 v2, 28, v0
	v_lshlrev_b64 v[8:9], v2, v[4:5]
	v_sub_nc_u32_e32 v2, 29, v0
	v_and_b32_e32 v0, 7, v8
; %bb.535:                              ;   in Loop: Header=BB294_10 Depth=1
	s_or_b32 exec_lo, exec_lo, s20
	v_mov_b32_e32 v3, 8
	v_lshl_add_u32 v2, v2, 10, 0x2000
	v_lshlrev_b32_e32 v0, 23, v0
	v_lshlrev_b32_sdwa v3, v3, v4 dst_sel:DWORD dst_unused:UNUSED_PAD src0_sel:DWORD src1_sel:WORD_0
	v_and_or_b32 v2, 0x8000, v3, v2
	v_lshl_or_b32 v3, v2, 16, v0
.LBB294_536:                            ;   in Loop: Header=BB294_10 Depth=1
	s_or_b32 exec_lo, exec_lo, s19
.LBB294_537:                            ;   in Loop: Header=BB294_10 Depth=1
	s_or_b32 exec_lo, exec_lo, s18
.LBB294_538:                            ;   in Loop: Header=BB294_10 Depth=1
	s_or_b32 exec_lo, exec_lo, s17
	v_lshrrev_b32_e32 v4, 16, v24
	v_cmp_ne_u16_sdwa s5, v4, v5 src0_sel:BYTE_0 src1_sel:DWORD
	s_and_saveexec_b32 s17, s5
	s_cbranch_execz .LBB294_546
; %bb.539:                              ;   in Loop: Header=BB294_10 Depth=1
	v_cmp_ne_u16_sdwa s5, v4, v37 src0_sel:BYTE_0 src1_sel:DWORD
	v_mov_b32_e32 v30, 0x8000
	s_and_saveexec_b32 s18, s5
	s_cbranch_execz .LBB294_545
; %bb.540:                              ;   in Loop: Header=BB294_10 Depth=1
	v_bfe_u32 v6, v24, 16, 7
	v_mov_b32_e32 v30, 0x7c01
	s_mov_b32 s19, exec_lo
	v_cmpx_ne_u32_e32 0x7f, v6
	s_cbranch_execz .LBB294_544
; %bb.541:                              ;   in Loop: Header=BB294_10 Depth=1
	v_and_b32_e32 v0, 7, v4
	v_lshrrev_b32_e32 v2, 3, v6
	s_mov_b32 s20, exec_lo
	v_cmpx_gt_u32_e32 8, v6
; %bb.542:                              ;   in Loop: Header=BB294_10 Depth=1
	v_ffbh_u32_e32 v0, v0
	v_min_u32_e32 v0, 32, v0
	v_subrev_nc_u32_e32 v2, 28, v0
	v_lshlrev_b64 v[8:9], v2, v[4:5]
	v_sub_nc_u32_e32 v2, 29, v0
	v_and_b32_e32 v0, 7, v8
; %bb.543:                              ;   in Loop: Header=BB294_10 Depth=1
	s_or_b32 exec_lo, exec_lo, s20
	v_lshlrev_b32_e32 v4, 8, v4
	v_lshl_add_u32 v2, v2, 10, 0x2000
	v_lshlrev_b32_e32 v0, 7, v0
	v_and_b32_e32 v4, 0x8000, v4
	v_and_b32_e32 v2, 0xfc00, v2
	v_or3_b32 v30, v4, v2, v0
.LBB294_544:                            ;   in Loop: Header=BB294_10 Depth=1
	s_or_b32 exec_lo, exec_lo, s19
.LBB294_545:                            ;   in Loop: Header=BB294_10 Depth=1
	s_or_b32 exec_lo, exec_lo, s18
.LBB294_546:                            ;   in Loop: Header=BB294_10 Depth=1
	s_or_b32 exec_lo, exec_lo, s17
	v_mov_b32_e32 v26, 0
	v_mov_b32_e32 v12, 0
	s_mov_b32 s17, exec_lo
	v_cmpx_lt_u32_e32 0xffffff, v24
	s_cbranch_execz .LBB294_554
; %bb.547:                              ;   in Loop: Header=BB294_10 Depth=1
	v_lshrrev_b32_e32 v4, 24, v24
	v_bfrev_b32_e32 v12, 1
	s_mov_b32 s18, exec_lo
	v_cmpx_ne_u32_e32 0x80, v4
	s_cbranch_execz .LBB294_553
; %bb.548:                              ;   in Loop: Header=BB294_10 Depth=1
	v_and_b32_e32 v6, 0x7f, v4
	v_mov_b32_e32 v12, 0x7c010000
	s_mov_b32 s19, exec_lo
	v_cmpx_ne_u32_e32 0x7f, v6
	s_cbranch_execz .LBB294_552
; %bb.549:                              ;   in Loop: Header=BB294_10 Depth=1
	v_and_b32_e32 v0, 7, v4
	v_lshrrev_b32_e32 v2, 3, v6
	s_mov_b32 s20, exec_lo
	v_cmpx_gt_u32_e32 8, v6
; %bb.550:                              ;   in Loop: Header=BB294_10 Depth=1
	v_ffbh_u32_e32 v0, v0
	v_min_u32_e32 v0, 32, v0
	v_subrev_nc_u32_e32 v2, 28, v0
	v_lshlrev_b64 v[8:9], v2, v[4:5]
	v_sub_nc_u32_e32 v2, 29, v0
	v_and_b32_e32 v0, 7, v8
; %bb.551:                              ;   in Loop: Header=BB294_10 Depth=1
	s_or_b32 exec_lo, exec_lo, s20
	v_lshlrev_b32_e32 v4, 8, v4
	v_lshl_add_u32 v2, v2, 10, 0x2000
	v_lshlrev_b32_e32 v0, 23, v0
	v_and_or_b32 v2, 0x8000, v4, v2
	v_lshl_or_b32 v12, v2, 16, v0
.LBB294_552:                            ;   in Loop: Header=BB294_10 Depth=1
	s_or_b32 exec_lo, exec_lo, s19
.LBB294_553:                            ;   in Loop: Header=BB294_10 Depth=1
	s_or_b32 exec_lo, exec_lo, s18
.LBB294_554:                            ;   in Loop: Header=BB294_10 Depth=1
	s_or_b32 exec_lo, exec_lo, s17
	v_mov_b32_e32 v4, v25
	v_cmp_ne_u16_sdwa s5, v25, v5 src0_sel:BYTE_0 src1_sel:DWORD
	s_and_saveexec_b32 s17, s5
	s_cbranch_execz .LBB294_562
; %bb.555:                              ;   in Loop: Header=BB294_10 Depth=1
	v_cmp_ne_u16_sdwa s5, v25, v37 src0_sel:BYTE_0 src1_sel:DWORD
	v_mov_b32_e32 v26, 0x8000
	s_and_saveexec_b32 s18, s5
	s_cbranch_execz .LBB294_561
; %bb.556:                              ;   in Loop: Header=BB294_10 Depth=1
	v_and_b32_e32 v6, 0x7f, v25
	v_mov_b32_e32 v26, 0x7c01
	s_mov_b32 s19, exec_lo
	v_cmpx_ne_u32_e32 0x7f, v6
	s_cbranch_execz .LBB294_560
; %bb.557:                              ;   in Loop: Header=BB294_10 Depth=1
	v_and_b32_e32 v0, 7, v25
	v_lshrrev_b32_e32 v2, 3, v6
	s_mov_b32 s20, exec_lo
	v_cmpx_gt_u32_e32 8, v6
; %bb.558:                              ;   in Loop: Header=BB294_10 Depth=1
	v_ffbh_u32_e32 v0, v0
	v_min_u32_e32 v0, 32, v0
	v_subrev_nc_u32_e32 v2, 28, v0
	v_lshlrev_b64 v[8:9], v2, v[4:5]
	v_sub_nc_u32_e32 v2, 29, v0
	v_and_b32_e32 v0, 7, v8
; %bb.559:                              ;   in Loop: Header=BB294_10 Depth=1
	s_or_b32 exec_lo, exec_lo, s20
	v_lshlrev_b32_e32 v6, 8, v25
	v_lshl_add_u32 v2, v2, 10, 0x2000
	v_lshlrev_b32_e32 v0, 7, v0
	v_and_b32_e32 v6, 0x8000, v6
	v_and_b32_e32 v2, 0xfc00, v2
	v_or3_b32 v26, v6, v2, v0
.LBB294_560:                            ;   in Loop: Header=BB294_10 Depth=1
	s_or_b32 exec_lo, exec_lo, s19
.LBB294_561:                            ;   in Loop: Header=BB294_10 Depth=1
	s_or_b32 exec_lo, exec_lo, s18
.LBB294_562:                            ;   in Loop: Header=BB294_10 Depth=1
	s_or_b32 exec_lo, exec_lo, s17
	v_lshrrev_b16 v4, 8, v4
	v_mov_b32_e32 v18, 0
	v_mov_b32_e32 v13, 0
	s_mov_b32 s17, exec_lo
	v_cmpx_ne_u16_e32 0, v4
	s_cbranch_execz .LBB294_570
; %bb.563:                              ;   in Loop: Header=BB294_10 Depth=1
	v_bfrev_b32_e32 v13, 1
	s_mov_b32 s18, exec_lo
	v_cmpx_ne_u16_e32 0x80, v4
	s_cbranch_execz .LBB294_569
; %bb.564:                              ;   in Loop: Header=BB294_10 Depth=1
	v_mov_b32_e32 v0, 0x7f
	v_mov_b32_e32 v13, 0x7c010000
	s_mov_b32 s19, exec_lo
	v_and_b32_sdwa v6, v4, v0 dst_sel:DWORD dst_unused:UNUSED_PAD src0_sel:WORD_0 src1_sel:DWORD
	v_cmpx_ne_u32_e32 0x7f, v6
	s_cbranch_execz .LBB294_568
; %bb.565:                              ;   in Loop: Header=BB294_10 Depth=1
	v_mov_b32_e32 v0, 7
	v_lshrrev_b32_e32 v2, 3, v6
	s_mov_b32 s20, exec_lo
	v_and_b32_sdwa v0, v4, v0 dst_sel:DWORD dst_unused:UNUSED_PAD src0_sel:WORD_0 src1_sel:DWORD
	v_cmpx_gt_u32_e32 8, v6
; %bb.566:                              ;   in Loop: Header=BB294_10 Depth=1
	v_ffbh_u32_e32 v0, v0
	v_min_u32_e32 v0, 32, v0
	v_subrev_nc_u32_e32 v2, 28, v0
	v_lshlrev_b64 v[8:9], v2, v[4:5]
	v_sub_nc_u32_e32 v2, 29, v0
	v_and_b32_e32 v0, 7, v8
; %bb.567:                              ;   in Loop: Header=BB294_10 Depth=1
	s_or_b32 exec_lo, exec_lo, s20
	v_mov_b32_e32 v6, 8
	v_lshl_add_u32 v2, v2, 10, 0x2000
	v_lshlrev_b32_e32 v0, 23, v0
	v_lshlrev_b32_sdwa v4, v6, v4 dst_sel:DWORD dst_unused:UNUSED_PAD src0_sel:DWORD src1_sel:WORD_0
	v_and_or_b32 v2, 0x8000, v4, v2
	v_lshl_or_b32 v13, v2, 16, v0
.LBB294_568:                            ;   in Loop: Header=BB294_10 Depth=1
	s_or_b32 exec_lo, exec_lo, s19
.LBB294_569:                            ;   in Loop: Header=BB294_10 Depth=1
	s_or_b32 exec_lo, exec_lo, s18
.LBB294_570:                            ;   in Loop: Header=BB294_10 Depth=1
	s_or_b32 exec_lo, exec_lo, s17
	v_lshrrev_b32_e32 v4, 16, v25
	v_cmp_ne_u16_sdwa s5, v4, v5 src0_sel:BYTE_0 src1_sel:DWORD
	s_and_saveexec_b32 s17, s5
	s_cbranch_execz .LBB294_578
; %bb.571:                              ;   in Loop: Header=BB294_10 Depth=1
	v_cmp_ne_u16_sdwa s5, v4, v37 src0_sel:BYTE_0 src1_sel:DWORD
	v_mov_b32_e32 v18, 0x8000
	s_and_saveexec_b32 s18, s5
	s_cbranch_execz .LBB294_577
; %bb.572:                              ;   in Loop: Header=BB294_10 Depth=1
	v_bfe_u32 v6, v25, 16, 7
	v_mov_b32_e32 v18, 0x7c01
	s_mov_b32 s19, exec_lo
	v_cmpx_ne_u32_e32 0x7f, v6
	s_cbranch_execz .LBB294_576
; %bb.573:                              ;   in Loop: Header=BB294_10 Depth=1
	v_and_b32_e32 v0, 7, v4
	v_lshrrev_b32_e32 v2, 3, v6
	s_mov_b32 s20, exec_lo
	v_cmpx_gt_u32_e32 8, v6
; %bb.574:                              ;   in Loop: Header=BB294_10 Depth=1
	v_ffbh_u32_e32 v0, v0
	v_min_u32_e32 v0, 32, v0
	v_subrev_nc_u32_e32 v2, 28, v0
	v_lshlrev_b64 v[8:9], v2, v[4:5]
	v_sub_nc_u32_e32 v2, 29, v0
	v_and_b32_e32 v0, 7, v8
; %bb.575:                              ;   in Loop: Header=BB294_10 Depth=1
	s_or_b32 exec_lo, exec_lo, s20
	v_lshlrev_b32_e32 v4, 8, v4
	v_lshl_add_u32 v2, v2, 10, 0x2000
	v_lshlrev_b32_e32 v0, 7, v0
	v_and_b32_e32 v4, 0x8000, v4
	v_and_b32_e32 v2, 0xfc00, v2
	v_or3_b32 v18, v4, v2, v0
.LBB294_576:                            ;   in Loop: Header=BB294_10 Depth=1
	s_or_b32 exec_lo, exec_lo, s19
.LBB294_577:                            ;   in Loop: Header=BB294_10 Depth=1
	s_or_b32 exec_lo, exec_lo, s18
.LBB294_578:                            ;   in Loop: Header=BB294_10 Depth=1
	s_or_b32 exec_lo, exec_lo, s17
	v_mov_b32_e32 v0, 0
	v_mov_b32_e32 v39, 0
	s_mov_b32 s17, exec_lo
	v_cmpx_lt_u64_e64 s[6:7], v[24:25]
	s_cbranch_execz .LBB294_586
; %bb.579:                              ;   in Loop: Header=BB294_10 Depth=1
	v_lshrrev_b32_e32 v4, 24, v25
	v_bfrev_b32_e32 v39, 1
	s_mov_b32 s18, exec_lo
	v_cmpx_ne_u32_e32 0x80, v4
	s_cbranch_execz .LBB294_585
; %bb.580:                              ;   in Loop: Header=BB294_10 Depth=1
	v_and_b32_e32 v8, 0x7f, v4
	v_mov_b32_e32 v39, 0x7c010000
	s_mov_b32 s19, exec_lo
	v_cmpx_ne_u32_e32 0x7f, v8
	s_cbranch_execz .LBB294_584
; %bb.581:                              ;   in Loop: Header=BB294_10 Depth=1
	v_and_b32_e32 v2, 7, v4
	v_lshrrev_b32_e32 v6, 3, v8
	s_mov_b32 s20, exec_lo
	v_cmpx_gt_u32_e32 8, v8
; %bb.582:                              ;   in Loop: Header=BB294_10 Depth=1
	v_ffbh_u32_e32 v2, v2
	v_min_u32_e32 v2, 32, v2
	v_subrev_nc_u32_e32 v6, 28, v2
	v_lshlrev_b64 v[8:9], v6, v[4:5]
	v_sub_nc_u32_e32 v6, 29, v2
	v_and_b32_e32 v2, 7, v8
; %bb.583:                              ;   in Loop: Header=BB294_10 Depth=1
	s_or_b32 exec_lo, exec_lo, s20
	v_lshlrev_b32_e32 v4, 8, v4
	v_lshl_add_u32 v6, v6, 10, 0x2000
	v_lshlrev_b32_e32 v2, 23, v2
	v_and_or_b32 v4, 0x8000, v4, v6
	v_lshl_or_b32 v39, v4, 16, v2
.LBB294_584:                            ;   in Loop: Header=BB294_10 Depth=1
	s_or_b32 exec_lo, exec_lo, s19
.LBB294_585:                            ;   in Loop: Header=BB294_10 Depth=1
	s_or_b32 exec_lo, exec_lo, s18
.LBB294_586:                            ;   in Loop: Header=BB294_10 Depth=1
	s_or_b32 exec_lo, exec_lo, s17
	flat_load_dwordx2 v[24:25], v[16:17] offset:8
	s_waitcnt vmcnt(0) lgkmcnt(0)
	v_cmp_ne_u16_sdwa s5, v24, v5 src0_sel:BYTE_0 src1_sel:DWORD
	s_and_saveexec_b32 s17, s5
	s_cbranch_execz .LBB294_594
; %bb.587:                              ;   in Loop: Header=BB294_10 Depth=1
	v_cmp_ne_u16_sdwa s5, v24, v37 src0_sel:BYTE_0 src1_sel:DWORD
	v_mov_b32_e32 v0, 0x8000
	s_and_saveexec_b32 s18, s5
	s_cbranch_execz .LBB294_593
; %bb.588:                              ;   in Loop: Header=BB294_10 Depth=1
	v_and_b32_e32 v4, 0x7f, v24
	v_mov_b32_e32 v0, 0x7c01
	s_mov_b32 s19, exec_lo
	v_cmpx_ne_u32_e32 0x7f, v4
	s_cbranch_execz .LBB294_592
; %bb.589:                              ;   in Loop: Header=BB294_10 Depth=1
	v_and_b32_e32 v0, 7, v24
	v_lshrrev_b32_e32 v2, 3, v4
	s_mov_b32 s20, exec_lo
	v_cmpx_gt_u32_e32 8, v4
; %bb.590:                              ;   in Loop: Header=BB294_10 Depth=1
	v_ffbh_u32_e32 v0, v0
	v_min_u32_e32 v0, 32, v0
	v_subrev_nc_u32_e32 v2, 28, v0
	v_lshlrev_b64 v[8:9], v2, v[24:25]
	v_sub_nc_u32_e32 v2, 29, v0
	v_and_b32_e32 v0, 7, v8
; %bb.591:                              ;   in Loop: Header=BB294_10 Depth=1
	s_or_b32 exec_lo, exec_lo, s20
	v_lshlrev_b32_e32 v4, 8, v24
	v_lshl_add_u32 v2, v2, 10, 0x2000
	v_lshlrev_b32_e32 v0, 7, v0
	v_and_b32_e32 v4, 0x8000, v4
	v_and_b32_e32 v2, 0xfc00, v2
	v_or3_b32 v0, v4, v2, v0
.LBB294_592:                            ;   in Loop: Header=BB294_10 Depth=1
	s_or_b32 exec_lo, exec_lo, s19
.LBB294_593:                            ;   in Loop: Header=BB294_10 Depth=1
	s_or_b32 exec_lo, exec_lo, s18
.LBB294_594:                            ;   in Loop: Header=BB294_10 Depth=1
	s_or_b32 exec_lo, exec_lo, s17
	v_lshrrev_b16 v4, 8, v24
	v_mov_b32_e32 v6, 0
	v_mov_b32_e32 v2, 0
	s_mov_b32 s17, exec_lo
	v_cmpx_ne_u16_e32 0, v4
	s_cbranch_execz .LBB294_602
; %bb.595:                              ;   in Loop: Header=BB294_10 Depth=1
	v_bfrev_b32_e32 v2, 1
	s_mov_b32 s18, exec_lo
	v_cmpx_ne_u16_e32 0x80, v4
	s_cbranch_execz .LBB294_601
; %bb.596:                              ;   in Loop: Header=BB294_10 Depth=1
	v_mov_b32_e32 v2, 0x7f
	s_mov_b32 s19, exec_lo
	v_and_b32_sdwa v9, v4, v2 dst_sel:DWORD dst_unused:UNUSED_PAD src0_sel:WORD_0 src1_sel:DWORD
	v_mov_b32_e32 v2, 0x7c010000
	v_cmpx_ne_u32_e32 0x7f, v9
	s_cbranch_execz .LBB294_600
; %bb.597:                              ;   in Loop: Header=BB294_10 Depth=1
	v_mov_b32_e32 v2, 7
	v_lshrrev_b32_e32 v8, 3, v9
	s_mov_b32 s20, exec_lo
	v_and_b32_sdwa v2, v4, v2 dst_sel:DWORD dst_unused:UNUSED_PAD src0_sel:WORD_0 src1_sel:DWORD
	v_cmpx_gt_u32_e32 8, v9
; %bb.598:                              ;   in Loop: Header=BB294_10 Depth=1
	v_ffbh_u32_e32 v2, v2
	v_min_u32_e32 v2, 32, v2
	v_subrev_nc_u32_e32 v8, 28, v2
	v_lshlrev_b64 v[9:10], v8, v[4:5]
	v_sub_nc_u32_e32 v8, 29, v2
	v_and_b32_e32 v2, 7, v9
; %bb.599:                              ;   in Loop: Header=BB294_10 Depth=1
	s_or_b32 exec_lo, exec_lo, s20
	v_mov_b32_e32 v9, 8
	v_lshl_add_u32 v8, v8, 10, 0x2000
	v_lshlrev_b32_e32 v2, 23, v2
	v_lshlrev_b32_sdwa v4, v9, v4 dst_sel:DWORD dst_unused:UNUSED_PAD src0_sel:DWORD src1_sel:WORD_0
	v_and_or_b32 v4, 0x8000, v4, v8
	v_lshl_or_b32 v2, v4, 16, v2
.LBB294_600:                            ;   in Loop: Header=BB294_10 Depth=1
	s_or_b32 exec_lo, exec_lo, s19
.LBB294_601:                            ;   in Loop: Header=BB294_10 Depth=1
	s_or_b32 exec_lo, exec_lo, s18
.LBB294_602:                            ;   in Loop: Header=BB294_10 Depth=1
	s_or_b32 exec_lo, exec_lo, s17
	v_lshrrev_b32_e32 v4, 16, v24
	v_cmp_ne_u16_sdwa s5, v4, v5 src0_sel:BYTE_0 src1_sel:DWORD
	s_and_saveexec_b32 s17, s5
	s_cbranch_execz .LBB294_610
; %bb.603:                              ;   in Loop: Header=BB294_10 Depth=1
	v_cmp_ne_u16_sdwa s5, v4, v37 src0_sel:BYTE_0 src1_sel:DWORD
	v_mov_b32_e32 v6, 0x8000
	s_and_saveexec_b32 s18, s5
	s_cbranch_execz .LBB294_609
; %bb.604:                              ;   in Loop: Header=BB294_10 Depth=1
	v_bfe_u32 v9, v24, 16, 7
	v_mov_b32_e32 v6, 0x7c01
	s_mov_b32 s19, exec_lo
	v_cmpx_ne_u32_e32 0x7f, v9
	s_cbranch_execz .LBB294_608
; %bb.605:                              ;   in Loop: Header=BB294_10 Depth=1
	v_and_b32_e32 v6, 7, v4
	v_lshrrev_b32_e32 v8, 3, v9
	s_mov_b32 s20, exec_lo
	v_cmpx_gt_u32_e32 8, v9
; %bb.606:                              ;   in Loop: Header=BB294_10 Depth=1
	v_ffbh_u32_e32 v6, v6
	v_min_u32_e32 v6, 32, v6
	v_subrev_nc_u32_e32 v8, 28, v6
	v_lshlrev_b64 v[9:10], v8, v[4:5]
	v_sub_nc_u32_e32 v8, 29, v6
	v_and_b32_e32 v6, 7, v9
; %bb.607:                              ;   in Loop: Header=BB294_10 Depth=1
	s_or_b32 exec_lo, exec_lo, s20
	v_lshlrev_b32_e32 v4, 8, v4
	v_lshl_add_u32 v8, v8, 10, 0x2000
	v_lshlrev_b32_e32 v6, 7, v6
	v_and_b32_e32 v4, 0x8000, v4
	v_and_b32_e32 v8, 0xfc00, v8
	v_or3_b32 v6, v4, v8, v6
.LBB294_608:                            ;   in Loop: Header=BB294_10 Depth=1
	s_or_b32 exec_lo, exec_lo, s19
.LBB294_609:                            ;   in Loop: Header=BB294_10 Depth=1
	s_or_b32 exec_lo, exec_lo, s18
.LBB294_610:                            ;   in Loop: Header=BB294_10 Depth=1
	s_or_b32 exec_lo, exec_lo, s17
	v_mov_b32_e32 v8, 0
	v_mov_b32_e32 v9, 0
	s_mov_b32 s17, exec_lo
	v_cmpx_lt_u32_e32 0xffffff, v24
	s_cbranch_execz .LBB294_618
; %bb.611:                              ;   in Loop: Header=BB294_10 Depth=1
	v_lshrrev_b32_e32 v4, 24, v24
	v_bfrev_b32_e32 v9, 1
	s_mov_b32 s18, exec_lo
	v_cmpx_ne_u32_e32 0x80, v4
	s_cbranch_execz .LBB294_617
; %bb.612:                              ;   in Loop: Header=BB294_10 Depth=1
	v_and_b32_e32 v19, 0x7f, v4
	v_mov_b32_e32 v9, 0x7c010000
	s_mov_b32 s19, exec_lo
	v_cmpx_ne_u32_e32 0x7f, v19
	s_cbranch_execz .LBB294_616
; %bb.613:                              ;   in Loop: Header=BB294_10 Depth=1
	v_and_b32_e32 v9, 7, v4
	v_lshrrev_b32_e32 v10, 3, v19
	s_mov_b32 s20, exec_lo
	v_cmpx_gt_u32_e32 8, v19
; %bb.614:                              ;   in Loop: Header=BB294_10 Depth=1
	v_ffbh_u32_e32 v9, v9
	v_min_u32_e32 v19, 32, v9
	v_subrev_nc_u32_e32 v9, 28, v19
	v_lshlrev_b64 v[9:10], v9, v[4:5]
	v_sub_nc_u32_e32 v10, 29, v19
	v_and_b32_e32 v9, 7, v9
; %bb.615:                              ;   in Loop: Header=BB294_10 Depth=1
	s_or_b32 exec_lo, exec_lo, s20
	v_lshlrev_b32_e32 v4, 8, v4
	v_lshl_add_u32 v10, v10, 10, 0x2000
	v_lshlrev_b32_e32 v9, 23, v9
	v_and_or_b32 v4, 0x8000, v4, v10
	v_lshl_or_b32 v9, v4, 16, v9
.LBB294_616:                            ;   in Loop: Header=BB294_10 Depth=1
	s_or_b32 exec_lo, exec_lo, s19
.LBB294_617:                            ;   in Loop: Header=BB294_10 Depth=1
	s_or_b32 exec_lo, exec_lo, s18
.LBB294_618:                            ;   in Loop: Header=BB294_10 Depth=1
	s_or_b32 exec_lo, exec_lo, s17
	v_mov_b32_e32 v4, v25
	v_cmp_ne_u16_sdwa s5, v25, v5 src0_sel:BYTE_0 src1_sel:DWORD
	s_and_saveexec_b32 s17, s5
	s_cbranch_execz .LBB294_626
; %bb.619:                              ;   in Loop: Header=BB294_10 Depth=1
	v_cmp_ne_u16_sdwa s5, v25, v37 src0_sel:BYTE_0 src1_sel:DWORD
	v_mov_b32_e32 v8, 0x8000
	s_and_saveexec_b32 s18, s5
	s_cbranch_execz .LBB294_625
; %bb.620:                              ;   in Loop: Header=BB294_10 Depth=1
	v_and_b32_e32 v19, 0x7f, v25
	v_mov_b32_e32 v8, 0x7c01
	s_mov_b32 s19, exec_lo
	v_cmpx_ne_u32_e32 0x7f, v19
	s_cbranch_execz .LBB294_624
; %bb.621:                              ;   in Loop: Header=BB294_10 Depth=1
	v_and_b32_e32 v8, 7, v25
	v_lshrrev_b32_e32 v10, 3, v19
	s_mov_b32 s20, exec_lo
	v_cmpx_gt_u32_e32 8, v19
; %bb.622:                              ;   in Loop: Header=BB294_10 Depth=1
	v_ffbh_u32_e32 v8, v8
	v_min_u32_e32 v8, 32, v8
	v_subrev_nc_u32_e32 v10, 28, v8
	v_lshlrev_b64 v[19:20], v10, v[4:5]
	v_sub_nc_u32_e32 v10, 29, v8
	v_and_b32_e32 v8, 7, v19
; %bb.623:                              ;   in Loop: Header=BB294_10 Depth=1
	s_or_b32 exec_lo, exec_lo, s20
	v_lshlrev_b32_e32 v19, 8, v25
	v_lshl_add_u32 v10, v10, 10, 0x2000
	v_lshlrev_b32_e32 v8, 7, v8
	v_and_b32_e32 v19, 0x8000, v19
	v_and_b32_e32 v10, 0xfc00, v10
	v_or3_b32 v8, v19, v10, v8
.LBB294_624:                            ;   in Loop: Header=BB294_10 Depth=1
	s_or_b32 exec_lo, exec_lo, s19
.LBB294_625:                            ;   in Loop: Header=BB294_10 Depth=1
	s_or_b32 exec_lo, exec_lo, s18
.LBB294_626:                            ;   in Loop: Header=BB294_10 Depth=1
	s_or_b32 exec_lo, exec_lo, s17
	v_lshrrev_b16 v4, 8, v4
	v_mov_b32_e32 v21, 0
	v_mov_b32_e32 v10, 0
	s_mov_b32 s17, exec_lo
	v_cmpx_ne_u16_e32 0, v4
	s_cbranch_execz .LBB294_634
; %bb.627:                              ;   in Loop: Header=BB294_10 Depth=1
	v_bfrev_b32_e32 v10, 1
	s_mov_b32 s18, exec_lo
	v_cmpx_ne_u16_e32 0x80, v4
	s_cbranch_execz .LBB294_633
; %bb.628:                              ;   in Loop: Header=BB294_10 Depth=1
	v_mov_b32_e32 v10, 0x7f
	s_mov_b32 s19, exec_lo
	v_and_b32_sdwa v20, v4, v10 dst_sel:DWORD dst_unused:UNUSED_PAD src0_sel:WORD_0 src1_sel:DWORD
	v_mov_b32_e32 v10, 0x7c010000
	v_cmpx_ne_u32_e32 0x7f, v20
	s_cbranch_execz .LBB294_632
; %bb.629:                              ;   in Loop: Header=BB294_10 Depth=1
	v_mov_b32_e32 v10, 7
	v_lshrrev_b32_e32 v19, 3, v20
	s_mov_b32 s20, exec_lo
	v_and_b32_sdwa v10, v4, v10 dst_sel:DWORD dst_unused:UNUSED_PAD src0_sel:WORD_0 src1_sel:DWORD
	v_cmpx_gt_u32_e32 8, v20
; %bb.630:                              ;   in Loop: Header=BB294_10 Depth=1
	v_ffbh_u32_e32 v10, v10
	v_min_u32_e32 v10, 32, v10
	v_subrev_nc_u32_e32 v19, 28, v10
	v_lshlrev_b64 v[33:34], v19, v[4:5]
	v_sub_nc_u32_e32 v19, 29, v10
	v_and_b32_e32 v10, 7, v33
; %bb.631:                              ;   in Loop: Header=BB294_10 Depth=1
	s_or_b32 exec_lo, exec_lo, s20
	v_mov_b32_e32 v20, 8
	v_lshl_add_u32 v19, v19, 10, 0x2000
	v_lshlrev_b32_e32 v10, 23, v10
	v_lshlrev_b32_sdwa v4, v20, v4 dst_sel:DWORD dst_unused:UNUSED_PAD src0_sel:DWORD src1_sel:WORD_0
	v_and_or_b32 v4, 0x8000, v4, v19
	v_lshl_or_b32 v10, v4, 16, v10
.LBB294_632:                            ;   in Loop: Header=BB294_10 Depth=1
	s_or_b32 exec_lo, exec_lo, s19
.LBB294_633:                            ;   in Loop: Header=BB294_10 Depth=1
	s_or_b32 exec_lo, exec_lo, s18
.LBB294_634:                            ;   in Loop: Header=BB294_10 Depth=1
	s_or_b32 exec_lo, exec_lo, s17
	v_lshrrev_b32_e32 v4, 16, v25
	v_cmp_ne_u16_sdwa s5, v4, v5 src0_sel:BYTE_0 src1_sel:DWORD
	s_and_saveexec_b32 s17, s5
	s_cbranch_execz .LBB294_642
; %bb.635:                              ;   in Loop: Header=BB294_10 Depth=1
	v_cmp_ne_u16_sdwa s5, v4, v37 src0_sel:BYTE_0 src1_sel:DWORD
	v_mov_b32_e32 v21, 0x8000
	s_and_saveexec_b32 s18, s5
	s_cbranch_execz .LBB294_641
; %bb.636:                              ;   in Loop: Header=BB294_10 Depth=1
	v_bfe_u32 v27, v25, 16, 7
	v_mov_b32_e32 v21, 0x7c01
	s_mov_b32 s19, exec_lo
	v_cmpx_ne_u32_e32 0x7f, v27
	s_cbranch_execz .LBB294_640
; %bb.637:                              ;   in Loop: Header=BB294_10 Depth=1
	v_and_b32_e32 v19, 7, v4
	v_lshrrev_b32_e32 v20, 3, v27
	s_mov_b32 s20, exec_lo
	v_cmpx_gt_u32_e32 8, v27
; %bb.638:                              ;   in Loop: Header=BB294_10 Depth=1
	v_ffbh_u32_e32 v19, v19
	v_min_u32_e32 v21, 32, v19
	v_subrev_nc_u32_e32 v19, 28, v21
	v_lshlrev_b64 v[19:20], v19, v[4:5]
	v_sub_nc_u32_e32 v20, 29, v21
	v_and_b32_e32 v19, 7, v19
; %bb.639:                              ;   in Loop: Header=BB294_10 Depth=1
	s_or_b32 exec_lo, exec_lo, s20
	v_lshlrev_b32_e32 v4, 8, v4
	v_lshl_add_u32 v20, v20, 10, 0x2000
	v_lshlrev_b32_e32 v19, 7, v19
	v_and_b32_e32 v4, 0x8000, v4
	v_and_b32_e32 v20, 0xfc00, v20
	v_or3_b32 v21, v4, v20, v19
.LBB294_640:                            ;   in Loop: Header=BB294_10 Depth=1
	s_or_b32 exec_lo, exec_lo, s19
.LBB294_641:                            ;   in Loop: Header=BB294_10 Depth=1
	s_or_b32 exec_lo, exec_lo, s18
.LBB294_642:                            ;   in Loop: Header=BB294_10 Depth=1
	s_or_b32 exec_lo, exec_lo, s17
	v_mov_b32_e32 v19, 0
	v_mov_b32_e32 v29, 0
	s_mov_b32 s17, exec_lo
	v_cmpx_lt_u64_e64 s[6:7], v[24:25]
	s_cbranch_execz .LBB294_650
; %bb.643:                              ;   in Loop: Header=BB294_10 Depth=1
	v_lshrrev_b32_e32 v4, 24, v25
	v_bfrev_b32_e32 v29, 1
	s_mov_b32 s18, exec_lo
	v_cmpx_ne_u32_e32 0x80, v4
	s_cbranch_execz .LBB294_649
; %bb.644:                              ;   in Loop: Header=BB294_10 Depth=1
	v_and_b32_e32 v25, 0x7f, v4
	v_mov_b32_e32 v29, 0x7c010000
	s_mov_b32 s19, exec_lo
	v_cmpx_ne_u32_e32 0x7f, v25
	s_cbranch_execz .LBB294_648
; %bb.645:                              ;   in Loop: Header=BB294_10 Depth=1
	v_and_b32_e32 v20, 7, v4
	v_lshrrev_b32_e32 v24, 3, v25
	s_mov_b32 s20, exec_lo
	v_cmpx_gt_u32_e32 8, v25
; %bb.646:                              ;   in Loop: Header=BB294_10 Depth=1
	v_ffbh_u32_e32 v20, v20
	v_min_u32_e32 v20, 32, v20
	v_subrev_nc_u32_e32 v24, 28, v20
	v_lshlrev_b64 v[33:34], v24, v[4:5]
	v_sub_nc_u32_e32 v24, 29, v20
	v_and_b32_e32 v20, 7, v33
; %bb.647:                              ;   in Loop: Header=BB294_10 Depth=1
	s_or_b32 exec_lo, exec_lo, s20
	v_lshlrev_b32_e32 v4, 8, v4
	v_lshl_add_u32 v24, v24, 10, 0x2000
	v_lshlrev_b32_e32 v20, 23, v20
	v_and_or_b32 v4, 0x8000, v4, v24
	v_lshl_or_b32 v29, v4, 16, v20
.LBB294_648:                            ;   in Loop: Header=BB294_10 Depth=1
	s_or_b32 exec_lo, exec_lo, s19
.LBB294_649:                            ;   in Loop: Header=BB294_10 Depth=1
	s_or_b32 exec_lo, exec_lo, s18
.LBB294_650:                            ;   in Loop: Header=BB294_10 Depth=1
	s_or_b32 exec_lo, exec_lo, s17
	flat_load_dwordx2 v[24:25], v[16:17] offset:512
	s_waitcnt vmcnt(0) lgkmcnt(0)
	v_cmp_ne_u16_sdwa s5, v24, v5 src0_sel:BYTE_0 src1_sel:DWORD
	s_and_saveexec_b32 s17, s5
	s_cbranch_execz .LBB294_658
; %bb.651:                              ;   in Loop: Header=BB294_10 Depth=1
	v_cmp_ne_u16_sdwa s5, v24, v37 src0_sel:BYTE_0 src1_sel:DWORD
	v_mov_b32_e32 v19, 0x8000
	s_and_saveexec_b32 s18, s5
	s_cbranch_execz .LBB294_657
; %bb.652:                              ;   in Loop: Header=BB294_10 Depth=1
	v_and_b32_e32 v20, 0x7f, v24
	v_mov_b32_e32 v19, 0x7c01
	s_mov_b32 s19, exec_lo
	v_cmpx_ne_u32_e32 0x7f, v20
	s_cbranch_execz .LBB294_656
; %bb.653:                              ;   in Loop: Header=BB294_10 Depth=1
	v_and_b32_e32 v4, 7, v24
	v_lshrrev_b32_e32 v19, 3, v20
	s_mov_b32 s20, exec_lo
	v_cmpx_gt_u32_e32 8, v20
; %bb.654:                              ;   in Loop: Header=BB294_10 Depth=1
	v_ffbh_u32_e32 v4, v4
	v_min_u32_e32 v4, 32, v4
	v_subrev_nc_u32_e32 v19, 28, v4
	v_lshlrev_b64 v[33:34], v19, v[24:25]
	v_sub_nc_u32_e32 v19, 29, v4
	v_and_b32_e32 v4, 7, v33
; %bb.655:                              ;   in Loop: Header=BB294_10 Depth=1
	s_or_b32 exec_lo, exec_lo, s20
	v_lshlrev_b32_e32 v20, 8, v24
	v_lshl_add_u32 v19, v19, 10, 0x2000
	v_lshlrev_b32_e32 v4, 7, v4
	v_and_b32_e32 v20, 0x8000, v20
	v_and_b32_e32 v19, 0xfc00, v19
	v_or3_b32 v19, v20, v19, v4
.LBB294_656:                            ;   in Loop: Header=BB294_10 Depth=1
	s_or_b32 exec_lo, exec_lo, s19
.LBB294_657:                            ;   in Loop: Header=BB294_10 Depth=1
	s_or_b32 exec_lo, exec_lo, s18
.LBB294_658:                            ;   in Loop: Header=BB294_10 Depth=1
	s_or_b32 exec_lo, exec_lo, s17
	v_lshrrev_b16 v4, 8, v24
	v_mov_b32_e32 v31, 0
	v_mov_b32_e32 v27, 0
	s_mov_b32 s17, exec_lo
	v_cmpx_ne_u16_e32 0, v4
	s_cbranch_execz .LBB294_666
; %bb.659:                              ;   in Loop: Header=BB294_10 Depth=1
	v_bfrev_b32_e32 v27, 1
	s_mov_b32 s18, exec_lo
	v_cmpx_ne_u16_e32 0x80, v4
	s_cbranch_execz .LBB294_665
; %bb.660:                              ;   in Loop: Header=BB294_10 Depth=1
	v_mov_b32_e32 v20, 0x7f
	v_mov_b32_e32 v27, 0x7c010000
	s_mov_b32 s19, exec_lo
	v_and_b32_sdwa v33, v4, v20 dst_sel:DWORD dst_unused:UNUSED_PAD src0_sel:WORD_0 src1_sel:DWORD
	v_cmpx_ne_u32_e32 0x7f, v33
	s_cbranch_execz .LBB294_664
; %bb.661:                              ;   in Loop: Header=BB294_10 Depth=1
	v_mov_b32_e32 v20, 7
	v_lshrrev_b32_e32 v27, 3, v33
	s_mov_b32 s20, exec_lo
	v_and_b32_sdwa v20, v4, v20 dst_sel:DWORD dst_unused:UNUSED_PAD src0_sel:WORD_0 src1_sel:DWORD
	v_cmpx_gt_u32_e32 8, v33
; %bb.662:                              ;   in Loop: Header=BB294_10 Depth=1
	v_ffbh_u32_e32 v20, v20
	v_min_u32_e32 v20, 32, v20
	v_subrev_nc_u32_e32 v27, 28, v20
	v_lshlrev_b64 v[33:34], v27, v[4:5]
	v_sub_nc_u32_e32 v27, 29, v20
	v_and_b32_e32 v20, 7, v33
; %bb.663:                              ;   in Loop: Header=BB294_10 Depth=1
	s_or_b32 exec_lo, exec_lo, s20
	v_mov_b32_e32 v33, 8
	v_lshl_add_u32 v27, v27, 10, 0x2000
	v_lshlrev_b32_e32 v20, 23, v20
	v_lshlrev_b32_sdwa v4, v33, v4 dst_sel:DWORD dst_unused:UNUSED_PAD src0_sel:DWORD src1_sel:WORD_0
	v_and_or_b32 v4, 0x8000, v4, v27
	v_lshl_or_b32 v27, v4, 16, v20
.LBB294_664:                            ;   in Loop: Header=BB294_10 Depth=1
	s_or_b32 exec_lo, exec_lo, s19
.LBB294_665:                            ;   in Loop: Header=BB294_10 Depth=1
	s_or_b32 exec_lo, exec_lo, s18
.LBB294_666:                            ;   in Loop: Header=BB294_10 Depth=1
	s_or_b32 exec_lo, exec_lo, s17
	v_lshrrev_b32_e32 v4, 16, v24
	v_cmp_ne_u16_sdwa s5, v4, v5 src0_sel:BYTE_0 src1_sel:DWORD
	s_and_saveexec_b32 s17, s5
	s_cbranch_execz .LBB294_674
; %bb.667:                              ;   in Loop: Header=BB294_10 Depth=1
	v_cmp_ne_u16_sdwa s5, v4, v37 src0_sel:BYTE_0 src1_sel:DWORD
	v_mov_b32_e32 v31, 0x8000
	s_and_saveexec_b32 s18, s5
	s_cbranch_execz .LBB294_673
; %bb.668:                              ;   in Loop: Header=BB294_10 Depth=1
	v_bfe_u32 v33, v24, 16, 7
	v_mov_b32_e32 v31, 0x7c01
	s_mov_b32 s19, exec_lo
	v_cmpx_ne_u32_e32 0x7f, v33
	s_cbranch_execz .LBB294_672
; %bb.669:                              ;   in Loop: Header=BB294_10 Depth=1
	v_and_b32_e32 v20, 7, v4
	v_lshrrev_b32_e32 v31, 3, v33
	s_mov_b32 s20, exec_lo
	v_cmpx_gt_u32_e32 8, v33
; %bb.670:                              ;   in Loop: Header=BB294_10 Depth=1
	v_ffbh_u32_e32 v20, v20
	v_min_u32_e32 v20, 32, v20
	v_subrev_nc_u32_e32 v31, 28, v20
	v_lshlrev_b64 v[33:34], v31, v[4:5]
	v_sub_nc_u32_e32 v31, 29, v20
	v_and_b32_e32 v20, 7, v33
; %bb.671:                              ;   in Loop: Header=BB294_10 Depth=1
	s_or_b32 exec_lo, exec_lo, s20
	v_lshlrev_b32_e32 v4, 8, v4
	v_lshl_add_u32 v31, v31, 10, 0x2000
	v_lshlrev_b32_e32 v20, 7, v20
	v_and_b32_e32 v4, 0x8000, v4
	v_and_b32_e32 v31, 0xfc00, v31
	v_or3_b32 v31, v4, v31, v20
.LBB294_672:                            ;   in Loop: Header=BB294_10 Depth=1
	s_or_b32 exec_lo, exec_lo, s19
.LBB294_673:                            ;   in Loop: Header=BB294_10 Depth=1
	s_or_b32 exec_lo, exec_lo, s18
.LBB294_674:                            ;   in Loop: Header=BB294_10 Depth=1
	s_or_b32 exec_lo, exec_lo, s17
	v_mov_b32_e32 v33, 0
	v_mov_b32_e32 v108, 0
	s_mov_b32 s17, exec_lo
	v_cmpx_lt_u32_e32 0xffffff, v24
	s_cbranch_execz .LBB294_682
; %bb.675:                              ;   in Loop: Header=BB294_10 Depth=1
	v_lshrrev_b32_e32 v4, 24, v24
	v_bfrev_b32_e32 v108, 1
	s_mov_b32 s18, exec_lo
	v_cmpx_ne_u32_e32 0x80, v4
	s_cbranch_execz .LBB294_681
; %bb.676:                              ;   in Loop: Header=BB294_10 Depth=1
	v_and_b32_e32 v38, 0x7f, v4
	v_mov_b32_e32 v108, 0x7c010000
	s_mov_b32 s19, exec_lo
	v_cmpx_ne_u32_e32 0x7f, v38
	s_cbranch_execz .LBB294_680
; %bb.677:                              ;   in Loop: Header=BB294_10 Depth=1
	v_and_b32_e32 v20, 7, v4
	v_lshrrev_b32_e32 v34, 3, v38
	s_mov_b32 s20, exec_lo
	v_cmpx_gt_u32_e32 8, v38
; %bb.678:                              ;   in Loop: Header=BB294_10 Depth=1
	v_ffbh_u32_e32 v20, v20
	v_min_u32_e32 v20, 32, v20
	v_subrev_nc_u32_e32 v34, 28, v20
	v_lshlrev_b64 v[48:49], v34, v[4:5]
	v_sub_nc_u32_e32 v34, 29, v20
	v_and_b32_e32 v20, 7, v48
; %bb.679:                              ;   in Loop: Header=BB294_10 Depth=1
	s_or_b32 exec_lo, exec_lo, s20
	v_lshlrev_b32_e32 v4, 8, v4
	v_lshl_add_u32 v34, v34, 10, 0x2000
	v_lshlrev_b32_e32 v20, 23, v20
	v_and_or_b32 v4, 0x8000, v4, v34
	v_lshl_or_b32 v108, v4, 16, v20
.LBB294_680:                            ;   in Loop: Header=BB294_10 Depth=1
	s_or_b32 exec_lo, exec_lo, s19
.LBB294_681:                            ;   in Loop: Header=BB294_10 Depth=1
	s_or_b32 exec_lo, exec_lo, s18
.LBB294_682:                            ;   in Loop: Header=BB294_10 Depth=1
	s_or_b32 exec_lo, exec_lo, s17
	v_mov_b32_e32 v4, v25
	v_cmp_ne_u16_sdwa s5, v25, v5 src0_sel:BYTE_0 src1_sel:DWORD
	s_and_saveexec_b32 s17, s5
	s_cbranch_execz .LBB294_690
; %bb.683:                              ;   in Loop: Header=BB294_10 Depth=1
	v_cmp_ne_u16_sdwa s5, v25, v37 src0_sel:BYTE_0 src1_sel:DWORD
	v_mov_b32_e32 v33, 0x8000
	s_and_saveexec_b32 s18, s5
	s_cbranch_execz .LBB294_689
; %bb.684:                              ;   in Loop: Header=BB294_10 Depth=1
	v_and_b32_e32 v34, 0x7f, v25
	v_mov_b32_e32 v33, 0x7c01
	s_mov_b32 s19, exec_lo
	v_cmpx_ne_u32_e32 0x7f, v34
	s_cbranch_execz .LBB294_688
; %bb.685:                              ;   in Loop: Header=BB294_10 Depth=1
	v_and_b32_e32 v20, 7, v25
	v_lshrrev_b32_e32 v33, 3, v34
	s_mov_b32 s20, exec_lo
	v_cmpx_gt_u32_e32 8, v34
; %bb.686:                              ;   in Loop: Header=BB294_10 Depth=1
	v_ffbh_u32_e32 v20, v20
	v_min_u32_e32 v20, 32, v20
	v_subrev_nc_u32_e32 v33, 28, v20
	v_lshlrev_b64 v[34:35], v33, v[4:5]
	v_sub_nc_u32_e32 v33, 29, v20
	v_and_b32_e32 v20, 7, v34
; %bb.687:                              ;   in Loop: Header=BB294_10 Depth=1
	s_or_b32 exec_lo, exec_lo, s20
	v_lshlrev_b32_e32 v34, 8, v25
	v_lshl_add_u32 v33, v33, 10, 0x2000
	v_lshlrev_b32_e32 v20, 7, v20
	v_and_b32_e32 v34, 0x8000, v34
	v_and_b32_e32 v33, 0xfc00, v33
	v_or3_b32 v33, v34, v33, v20
.LBB294_688:                            ;   in Loop: Header=BB294_10 Depth=1
	s_or_b32 exec_lo, exec_lo, s19
.LBB294_689:                            ;   in Loop: Header=BB294_10 Depth=1
	s_or_b32 exec_lo, exec_lo, s18
.LBB294_690:                            ;   in Loop: Header=BB294_10 Depth=1
	s_or_b32 exec_lo, exec_lo, s17
	v_lshrrev_b16 v4, 8, v4
	v_mov_b32_e32 v109, 0
	v_mov_b32_e32 v120, 0
	s_mov_b32 s17, exec_lo
	v_cmpx_ne_u16_e32 0, v4
	s_cbranch_execz .LBB294_698
; %bb.691:                              ;   in Loop: Header=BB294_10 Depth=1
	v_bfrev_b32_e32 v120, 1
	s_mov_b32 s18, exec_lo
	v_cmpx_ne_u16_e32 0x80, v4
	s_cbranch_execz .LBB294_697
; %bb.692:                              ;   in Loop: Header=BB294_10 Depth=1
	v_mov_b32_e32 v20, 0x7f
	v_mov_b32_e32 v120, 0x7c010000
	s_mov_b32 s19, exec_lo
	v_and_b32_sdwa v38, v4, v20 dst_sel:DWORD dst_unused:UNUSED_PAD src0_sel:WORD_0 src1_sel:DWORD
	v_cmpx_ne_u32_e32 0x7f, v38
	s_cbranch_execz .LBB294_696
; %bb.693:                              ;   in Loop: Header=BB294_10 Depth=1
	v_mov_b32_e32 v20, 7
	v_lshrrev_b32_e32 v34, 3, v38
	s_mov_b32 s20, exec_lo
	v_and_b32_sdwa v20, v4, v20 dst_sel:DWORD dst_unused:UNUSED_PAD src0_sel:WORD_0 src1_sel:DWORD
	v_cmpx_gt_u32_e32 8, v38
; %bb.694:                              ;   in Loop: Header=BB294_10 Depth=1
	v_ffbh_u32_e32 v20, v20
	v_min_u32_e32 v20, 32, v20
	v_subrev_nc_u32_e32 v34, 28, v20
	v_lshlrev_b64 v[48:49], v34, v[4:5]
	v_sub_nc_u32_e32 v34, 29, v20
	v_and_b32_e32 v20, 7, v48
; %bb.695:                              ;   in Loop: Header=BB294_10 Depth=1
	s_or_b32 exec_lo, exec_lo, s20
	v_mov_b32_e32 v35, 8
	v_lshl_add_u32 v34, v34, 10, 0x2000
	v_lshlrev_b32_e32 v20, 23, v20
	v_lshlrev_b32_sdwa v4, v35, v4 dst_sel:DWORD dst_unused:UNUSED_PAD src0_sel:DWORD src1_sel:WORD_0
	v_and_or_b32 v4, 0x8000, v4, v34
	v_lshl_or_b32 v120, v4, 16, v20
.LBB294_696:                            ;   in Loop: Header=BB294_10 Depth=1
	s_or_b32 exec_lo, exec_lo, s19
.LBB294_697:                            ;   in Loop: Header=BB294_10 Depth=1
	s_or_b32 exec_lo, exec_lo, s18
.LBB294_698:                            ;   in Loop: Header=BB294_10 Depth=1
	s_or_b32 exec_lo, exec_lo, s17
	v_lshrrev_b32_e32 v4, 16, v25
	v_cmp_ne_u16_sdwa s5, v4, v5 src0_sel:BYTE_0 src1_sel:DWORD
	s_and_saveexec_b32 s17, s5
	s_cbranch_execz .LBB294_706
; %bb.699:                              ;   in Loop: Header=BB294_10 Depth=1
	v_cmp_ne_u16_sdwa s5, v4, v37 src0_sel:BYTE_0 src1_sel:DWORD
	v_mov_b32_e32 v109, 0x8000
	s_and_saveexec_b32 s18, s5
	s_cbranch_execz .LBB294_705
; %bb.700:                              ;   in Loop: Header=BB294_10 Depth=1
	v_bfe_u32 v38, v25, 16, 7
	v_mov_b32_e32 v109, 0x7c01
	s_mov_b32 s19, exec_lo
	v_cmpx_ne_u32_e32 0x7f, v38
	s_cbranch_execz .LBB294_704
; %bb.701:                              ;   in Loop: Header=BB294_10 Depth=1
	v_and_b32_e32 v20, 7, v4
	v_lshrrev_b32_e32 v34, 3, v38
	s_mov_b32 s20, exec_lo
	v_cmpx_gt_u32_e32 8, v38
; %bb.702:                              ;   in Loop: Header=BB294_10 Depth=1
	v_ffbh_u32_e32 v20, v20
	v_min_u32_e32 v20, 32, v20
	v_subrev_nc_u32_e32 v34, 28, v20
	v_lshlrev_b64 v[48:49], v34, v[4:5]
	v_sub_nc_u32_e32 v34, 29, v20
	v_and_b32_e32 v20, 7, v48
; %bb.703:                              ;   in Loop: Header=BB294_10 Depth=1
	s_or_b32 exec_lo, exec_lo, s20
	v_lshlrev_b32_e32 v4, 8, v4
	v_lshl_add_u32 v34, v34, 10, 0x2000
	v_lshlrev_b32_e32 v20, 7, v20
	v_and_b32_e32 v4, 0x8000, v4
	v_and_b32_e32 v34, 0xfc00, v34
	v_or3_b32 v109, v4, v34, v20
.LBB294_704:                            ;   in Loop: Header=BB294_10 Depth=1
	s_or_b32 exec_lo, exec_lo, s19
.LBB294_705:                            ;   in Loop: Header=BB294_10 Depth=1
	s_or_b32 exec_lo, exec_lo, s18
.LBB294_706:                            ;   in Loop: Header=BB294_10 Depth=1
	s_or_b32 exec_lo, exec_lo, s17
	v_mov_b32_e32 v78, 0
	v_mov_b32_e32 v20, 0
	s_mov_b32 s17, exec_lo
	v_cmpx_lt_u64_e64 s[6:7], v[24:25]
	s_cbranch_execz .LBB294_714
; %bb.707:                              ;   in Loop: Header=BB294_10 Depth=1
	v_lshrrev_b32_e32 v4, 24, v25
	v_bfrev_b32_e32 v20, 1
	s_mov_b32 s18, exec_lo
	v_cmpx_ne_u32_e32 0x80, v4
	s_cbranch_execz .LBB294_713
; %bb.708:                              ;   in Loop: Header=BB294_10 Depth=1
	v_and_b32_e32 v25, 0x7f, v4
	v_mov_b32_e32 v20, 0x7c010000
	s_mov_b32 s19, exec_lo
	v_cmpx_ne_u32_e32 0x7f, v25
	s_cbranch_execz .LBB294_712
; %bb.709:                              ;   in Loop: Header=BB294_10 Depth=1
	v_and_b32_e32 v20, 7, v4
	v_lshrrev_b32_e32 v24, 3, v25
	s_mov_b32 s20, exec_lo
	v_cmpx_gt_u32_e32 8, v25
; %bb.710:                              ;   in Loop: Header=BB294_10 Depth=1
	v_ffbh_u32_e32 v20, v20
	v_min_u32_e32 v20, 32, v20
	v_subrev_nc_u32_e32 v24, 28, v20
	v_lshlrev_b64 v[34:35], v24, v[4:5]
	v_sub_nc_u32_e32 v24, 29, v20
	v_and_b32_e32 v20, 7, v34
; %bb.711:                              ;   in Loop: Header=BB294_10 Depth=1
	s_or_b32 exec_lo, exec_lo, s20
	v_lshlrev_b32_e32 v4, 8, v4
	v_lshl_add_u32 v24, v24, 10, 0x2000
	v_lshlrev_b32_e32 v20, 23, v20
	v_and_or_b32 v4, 0x8000, v4, v24
	v_lshl_or_b32 v20, v4, 16, v20
.LBB294_712:                            ;   in Loop: Header=BB294_10 Depth=1
	s_or_b32 exec_lo, exec_lo, s19
.LBB294_713:                            ;   in Loop: Header=BB294_10 Depth=1
	s_or_b32 exec_lo, exec_lo, s18
.LBB294_714:                            ;   in Loop: Header=BB294_10 Depth=1
	s_or_b32 exec_lo, exec_lo, s17
	flat_load_dwordx2 v[24:25], v[16:17] offset:520
	s_waitcnt vmcnt(0) lgkmcnt(0)
	v_cmp_ne_u16_sdwa s5, v24, v5 src0_sel:BYTE_0 src1_sel:DWORD
	s_and_saveexec_b32 s17, s5
	s_cbranch_execz .LBB294_722
; %bb.715:                              ;   in Loop: Header=BB294_10 Depth=1
	v_cmp_ne_u16_sdwa s5, v24, v37 src0_sel:BYTE_0 src1_sel:DWORD
	v_mov_b32_e32 v78, 0x8000
	s_and_saveexec_b32 s18, s5
	s_cbranch_execz .LBB294_721
; %bb.716:                              ;   in Loop: Header=BB294_10 Depth=1
	v_and_b32_e32 v38, 0x7f, v24
	v_mov_b32_e32 v78, 0x7c01
	s_mov_b32 s19, exec_lo
	v_cmpx_ne_u32_e32 0x7f, v38
	s_cbranch_execz .LBB294_720
; %bb.717:                              ;   in Loop: Header=BB294_10 Depth=1
	v_and_b32_e32 v4, 7, v24
	v_lshrrev_b32_e32 v34, 3, v38
	s_mov_b32 s20, exec_lo
	v_cmpx_gt_u32_e32 8, v38
; %bb.718:                              ;   in Loop: Header=BB294_10 Depth=1
	v_ffbh_u32_e32 v4, v4
	v_min_u32_e32 v4, 32, v4
	v_subrev_nc_u32_e32 v34, 28, v4
	v_lshlrev_b64 v[48:49], v34, v[24:25]
	v_sub_nc_u32_e32 v34, 29, v4
	v_and_b32_e32 v4, 7, v48
; %bb.719:                              ;   in Loop: Header=BB294_10 Depth=1
	s_or_b32 exec_lo, exec_lo, s20
	v_lshlrev_b32_e32 v35, 8, v24
	v_lshl_add_u32 v34, v34, 10, 0x2000
	v_lshlrev_b32_e32 v4, 7, v4
	v_and_b32_e32 v35, 0x8000, v35
	v_and_b32_e32 v34, 0xfc00, v34
	v_or3_b32 v78, v35, v34, v4
.LBB294_720:                            ;   in Loop: Header=BB294_10 Depth=1
	s_or_b32 exec_lo, exec_lo, s19
.LBB294_721:                            ;   in Loop: Header=BB294_10 Depth=1
	s_or_b32 exec_lo, exec_lo, s18
.LBB294_722:                            ;   in Loop: Header=BB294_10 Depth=1
	s_or_b32 exec_lo, exec_lo, s17
	v_lshrrev_b16 v4, 8, v24
	v_mov_b32_e32 v92, 0
	v_mov_b32_e32 v79, 0
	s_mov_b32 s17, exec_lo
	v_cmpx_ne_u16_e32 0, v4
	s_cbranch_execz .LBB294_730
; %bb.723:                              ;   in Loop: Header=BB294_10 Depth=1
	v_bfrev_b32_e32 v79, 1
	s_mov_b32 s18, exec_lo
	v_cmpx_ne_u16_e32 0x80, v4
	s_cbranch_execz .LBB294_729
; %bb.724:                              ;   in Loop: Header=BB294_10 Depth=1
	v_mov_b32_e32 v34, 0x7f
	v_mov_b32_e32 v79, 0x7c010000
	s_mov_b32 s19, exec_lo
	v_and_b32_sdwa v48, v4, v34 dst_sel:DWORD dst_unused:UNUSED_PAD src0_sel:WORD_0 src1_sel:DWORD
	v_cmpx_ne_u32_e32 0x7f, v48
	s_cbranch_execz .LBB294_728
; %bb.725:                              ;   in Loop: Header=BB294_10 Depth=1
	v_mov_b32_e32 v34, 7
	v_lshrrev_b32_e32 v38, 3, v48
	s_mov_b32 s20, exec_lo
	v_and_b32_sdwa v34, v4, v34 dst_sel:DWORD dst_unused:UNUSED_PAD src0_sel:WORD_0 src1_sel:DWORD
	v_cmpx_gt_u32_e32 8, v48
; %bb.726:                              ;   in Loop: Header=BB294_10 Depth=1
	v_ffbh_u32_e32 v34, v34
	v_min_u32_e32 v38, 32, v34
	v_subrev_nc_u32_e32 v34, 28, v38
	v_sub_nc_u32_e32 v38, 29, v38
	v_lshlrev_b64 v[34:35], v34, v[4:5]
	v_and_b32_e32 v34, 7, v34
; %bb.727:                              ;   in Loop: Header=BB294_10 Depth=1
	s_or_b32 exec_lo, exec_lo, s20
	v_mov_b32_e32 v35, 8
	v_lshlrev_b32_e32 v34, 23, v34
	v_lshlrev_b32_sdwa v4, v35, v4 dst_sel:DWORD dst_unused:UNUSED_PAD src0_sel:DWORD src1_sel:WORD_0
	v_lshl_add_u32 v35, v38, 10, 0x2000
	v_and_or_b32 v4, 0x8000, v4, v35
	v_lshl_or_b32 v79, v4, 16, v34
.LBB294_728:                            ;   in Loop: Header=BB294_10 Depth=1
	s_or_b32 exec_lo, exec_lo, s19
.LBB294_729:                            ;   in Loop: Header=BB294_10 Depth=1
	s_or_b32 exec_lo, exec_lo, s18
.LBB294_730:                            ;   in Loop: Header=BB294_10 Depth=1
	s_or_b32 exec_lo, exec_lo, s17
	v_lshrrev_b32_e32 v4, 16, v24
	v_cmp_ne_u16_sdwa s5, v4, v5 src0_sel:BYTE_0 src1_sel:DWORD
	s_and_saveexec_b32 s17, s5
	s_cbranch_execz .LBB294_738
; %bb.731:                              ;   in Loop: Header=BB294_10 Depth=1
	v_cmp_ne_u16_sdwa s5, v4, v37 src0_sel:BYTE_0 src1_sel:DWORD
	v_mov_b32_e32 v92, 0x8000
	s_and_saveexec_b32 s18, s5
	s_cbranch_execz .LBB294_737
; %bb.732:                              ;   in Loop: Header=BB294_10 Depth=1
	v_bfe_u32 v48, v24, 16, 7
	v_mov_b32_e32 v92, 0x7c01
	s_mov_b32 s19, exec_lo
	v_cmpx_ne_u32_e32 0x7f, v48
	s_cbranch_execz .LBB294_736
; %bb.733:                              ;   in Loop: Header=BB294_10 Depth=1
	v_and_b32_e32 v34, 7, v4
	v_lshrrev_b32_e32 v38, 3, v48
	s_mov_b32 s20, exec_lo
	v_cmpx_gt_u32_e32 8, v48
; %bb.734:                              ;   in Loop: Header=BB294_10 Depth=1
	v_ffbh_u32_e32 v34, v34
	v_min_u32_e32 v38, 32, v34
	v_subrev_nc_u32_e32 v34, 28, v38
	v_sub_nc_u32_e32 v38, 29, v38
	v_lshlrev_b64 v[34:35], v34, v[4:5]
	v_and_b32_e32 v34, 7, v34
; %bb.735:                              ;   in Loop: Header=BB294_10 Depth=1
	s_or_b32 exec_lo, exec_lo, s20
	v_lshlrev_b32_e32 v4, 8, v4
	v_lshl_add_u32 v35, v38, 10, 0x2000
	v_lshlrev_b32_e32 v34, 7, v34
	v_and_b32_e32 v4, 0x8000, v4
	v_and_b32_e32 v35, 0xfc00, v35
	v_or3_b32 v92, v4, v35, v34
.LBB294_736:                            ;   in Loop: Header=BB294_10 Depth=1
	s_or_b32 exec_lo, exec_lo, s19
.LBB294_737:                            ;   in Loop: Header=BB294_10 Depth=1
	s_or_b32 exec_lo, exec_lo, s18
.LBB294_738:                            ;   in Loop: Header=BB294_10 Depth=1
	s_or_b32 exec_lo, exec_lo, s17
	v_mov_b32_e32 v93, 0
	v_mov_b32_e32 v104, 0
	s_mov_b32 s17, exec_lo
	v_cmpx_lt_u32_e32 0xffffff, v24
	s_cbranch_execz .LBB294_746
; %bb.739:                              ;   in Loop: Header=BB294_10 Depth=1
	v_lshrrev_b32_e32 v4, 24, v24
	v_bfrev_b32_e32 v104, 1
	s_mov_b32 s18, exec_lo
	v_cmpx_ne_u32_e32 0x80, v4
	s_cbranch_execz .LBB294_745
; %bb.740:                              ;   in Loop: Header=BB294_10 Depth=1
	v_and_b32_e32 v48, 0x7f, v4
	v_mov_b32_e32 v104, 0x7c010000
	s_mov_b32 s19, exec_lo
	v_cmpx_ne_u32_e32 0x7f, v48
	s_cbranch_execz .LBB294_744
; %bb.741:                              ;   in Loop: Header=BB294_10 Depth=1
	v_and_b32_e32 v34, 7, v4
	v_lshrrev_b32_e32 v38, 3, v48
	s_mov_b32 s20, exec_lo
	v_cmpx_gt_u32_e32 8, v48
; %bb.742:                              ;   in Loop: Header=BB294_10 Depth=1
	v_ffbh_u32_e32 v34, v34
	v_min_u32_e32 v38, 32, v34
	v_subrev_nc_u32_e32 v34, 28, v38
	v_sub_nc_u32_e32 v38, 29, v38
	v_lshlrev_b64 v[34:35], v34, v[4:5]
	v_and_b32_e32 v34, 7, v34
; %bb.743:                              ;   in Loop: Header=BB294_10 Depth=1
	s_or_b32 exec_lo, exec_lo, s20
	v_lshlrev_b32_e32 v4, 8, v4
	v_lshl_add_u32 v35, v38, 10, 0x2000
	v_lshlrev_b32_e32 v34, 23, v34
	v_and_or_b32 v4, 0x8000, v4, v35
	v_lshl_or_b32 v104, v4, 16, v34
.LBB294_744:                            ;   in Loop: Header=BB294_10 Depth=1
	s_or_b32 exec_lo, exec_lo, s19
.LBB294_745:                            ;   in Loop: Header=BB294_10 Depth=1
	s_or_b32 exec_lo, exec_lo, s18
.LBB294_746:                            ;   in Loop: Header=BB294_10 Depth=1
	s_or_b32 exec_lo, exec_lo, s17
	v_mov_b32_e32 v4, v25
	v_cmp_ne_u16_sdwa s5, v25, v5 src0_sel:BYTE_0 src1_sel:DWORD
	s_and_saveexec_b32 s17, s5
	s_cbranch_execz .LBB294_754
; %bb.747:                              ;   in Loop: Header=BB294_10 Depth=1
	v_cmp_ne_u16_sdwa s5, v25, v37 src0_sel:BYTE_0 src1_sel:DWORD
	v_mov_b32_e32 v93, 0x8000
	s_and_saveexec_b32 s18, s5
	s_cbranch_execz .LBB294_753
; %bb.748:                              ;   in Loop: Header=BB294_10 Depth=1
	v_and_b32_e32 v48, 0x7f, v25
	v_mov_b32_e32 v93, 0x7c01
	s_mov_b32 s19, exec_lo
	v_cmpx_ne_u32_e32 0x7f, v48
	s_cbranch_execz .LBB294_752
; %bb.749:                              ;   in Loop: Header=BB294_10 Depth=1
	v_and_b32_e32 v34, 7, v25
	v_lshrrev_b32_e32 v38, 3, v48
	s_mov_b32 s20, exec_lo
	v_cmpx_gt_u32_e32 8, v48
; %bb.750:                              ;   in Loop: Header=BB294_10 Depth=1
	v_ffbh_u32_e32 v34, v34
	v_min_u32_e32 v38, 32, v34
	v_subrev_nc_u32_e32 v34, 28, v38
	v_sub_nc_u32_e32 v38, 29, v38
	v_lshlrev_b64 v[34:35], v34, v[4:5]
	v_and_b32_e32 v34, 7, v34
; %bb.751:                              ;   in Loop: Header=BB294_10 Depth=1
	s_or_b32 exec_lo, exec_lo, s20
	v_lshlrev_b32_e32 v35, 8, v25
	v_lshl_add_u32 v38, v38, 10, 0x2000
	v_lshlrev_b32_e32 v34, 7, v34
	v_and_b32_e32 v35, 0x8000, v35
	v_and_b32_e32 v38, 0xfc00, v38
	v_or3_b32 v93, v35, v38, v34
.LBB294_752:                            ;   in Loop: Header=BB294_10 Depth=1
	s_or_b32 exec_lo, exec_lo, s19
.LBB294_753:                            ;   in Loop: Header=BB294_10 Depth=1
	s_or_b32 exec_lo, exec_lo, s18
.LBB294_754:                            ;   in Loop: Header=BB294_10 Depth=1
	s_or_b32 exec_lo, exec_lo, s17
	v_lshrrev_b16 v4, 8, v4
	v_mov_b32_e32 v121, 0
	v_mov_b32_e32 v124, 0
	s_mov_b32 s17, exec_lo
	v_cmpx_ne_u16_e32 0, v4
	s_cbranch_execz .LBB294_762
; %bb.755:                              ;   in Loop: Header=BB294_10 Depth=1
	v_bfrev_b32_e32 v124, 1
	s_mov_b32 s18, exec_lo
	v_cmpx_ne_u16_e32 0x80, v4
	s_cbranch_execz .LBB294_761
; %bb.756:                              ;   in Loop: Header=BB294_10 Depth=1
	v_mov_b32_e32 v34, 0x7f
	v_mov_b32_e32 v124, 0x7c010000
	s_mov_b32 s19, exec_lo
	v_and_b32_sdwa v48, v4, v34 dst_sel:DWORD dst_unused:UNUSED_PAD src0_sel:WORD_0 src1_sel:DWORD
	v_cmpx_ne_u32_e32 0x7f, v48
	s_cbranch_execz .LBB294_760
; %bb.757:                              ;   in Loop: Header=BB294_10 Depth=1
	v_mov_b32_e32 v34, 7
	v_lshrrev_b32_e32 v38, 3, v48
	s_mov_b32 s20, exec_lo
	v_and_b32_sdwa v34, v4, v34 dst_sel:DWORD dst_unused:UNUSED_PAD src0_sel:WORD_0 src1_sel:DWORD
	v_cmpx_gt_u32_e32 8, v48
; %bb.758:                              ;   in Loop: Header=BB294_10 Depth=1
	v_ffbh_u32_e32 v34, v34
	v_min_u32_e32 v38, 32, v34
	v_subrev_nc_u32_e32 v34, 28, v38
	v_sub_nc_u32_e32 v38, 29, v38
	v_lshlrev_b64 v[34:35], v34, v[4:5]
	v_and_b32_e32 v34, 7, v34
; %bb.759:                              ;   in Loop: Header=BB294_10 Depth=1
	s_or_b32 exec_lo, exec_lo, s20
	v_mov_b32_e32 v35, 8
	v_lshlrev_b32_e32 v34, 23, v34
	v_lshlrev_b32_sdwa v4, v35, v4 dst_sel:DWORD dst_unused:UNUSED_PAD src0_sel:DWORD src1_sel:WORD_0
	v_lshl_add_u32 v35, v38, 10, 0x2000
	v_and_or_b32 v4, 0x8000, v4, v35
	v_lshl_or_b32 v124, v4, 16, v34
.LBB294_760:                            ;   in Loop: Header=BB294_10 Depth=1
	s_or_b32 exec_lo, exec_lo, s19
.LBB294_761:                            ;   in Loop: Header=BB294_10 Depth=1
	s_or_b32 exec_lo, exec_lo, s18
.LBB294_762:                            ;   in Loop: Header=BB294_10 Depth=1
	s_or_b32 exec_lo, exec_lo, s17
	v_lshrrev_b32_e32 v4, 16, v25
	v_cmp_ne_u16_sdwa s5, v4, v5 src0_sel:BYTE_0 src1_sel:DWORD
	s_and_saveexec_b32 s17, s5
	s_cbranch_execz .LBB294_770
; %bb.763:                              ;   in Loop: Header=BB294_10 Depth=1
	v_cmp_ne_u16_sdwa s5, v4, v37 src0_sel:BYTE_0 src1_sel:DWORD
	v_mov_b32_e32 v121, 0x8000
	s_and_saveexec_b32 s18, s5
	s_cbranch_execz .LBB294_769
; %bb.764:                              ;   in Loop: Header=BB294_10 Depth=1
	v_bfe_u32 v48, v25, 16, 7
	v_mov_b32_e32 v121, 0x7c01
	s_mov_b32 s19, exec_lo
	v_cmpx_ne_u32_e32 0x7f, v48
	s_cbranch_execz .LBB294_768
; %bb.765:                              ;   in Loop: Header=BB294_10 Depth=1
	v_and_b32_e32 v34, 7, v4
	v_lshrrev_b32_e32 v38, 3, v48
	s_mov_b32 s20, exec_lo
	v_cmpx_gt_u32_e32 8, v48
; %bb.766:                              ;   in Loop: Header=BB294_10 Depth=1
	v_ffbh_u32_e32 v34, v34
	v_min_u32_e32 v38, 32, v34
	v_subrev_nc_u32_e32 v34, 28, v38
	v_sub_nc_u32_e32 v38, 29, v38
	v_lshlrev_b64 v[34:35], v34, v[4:5]
	v_and_b32_e32 v34, 7, v34
; %bb.767:                              ;   in Loop: Header=BB294_10 Depth=1
	s_or_b32 exec_lo, exec_lo, s20
	v_lshlrev_b32_e32 v4, 8, v4
	v_lshl_add_u32 v35, v38, 10, 0x2000
	v_lshlrev_b32_e32 v34, 7, v34
	v_and_b32_e32 v4, 0x8000, v4
	v_and_b32_e32 v35, 0xfc00, v35
	v_or3_b32 v121, v4, v35, v34
.LBB294_768:                            ;   in Loop: Header=BB294_10 Depth=1
	s_or_b32 exec_lo, exec_lo, s19
.LBB294_769:                            ;   in Loop: Header=BB294_10 Depth=1
	s_or_b32 exec_lo, exec_lo, s18
.LBB294_770:                            ;   in Loop: Header=BB294_10 Depth=1
	s_or_b32 exec_lo, exec_lo, s17
	v_mov_b32_e32 v58, 0
	v_mov_b32_e32 v125, 0
	s_mov_b32 s17, exec_lo
	v_cmpx_lt_u64_e64 s[6:7], v[24:25]
	s_cbranch_execz .LBB294_778
; %bb.771:                              ;   in Loop: Header=BB294_10 Depth=1
	v_lshrrev_b32_e32 v4, 24, v25
	v_bfrev_b32_e32 v125, 1
	s_mov_b32 s18, exec_lo
	v_cmpx_ne_u32_e32 0x80, v4
	s_cbranch_execz .LBB294_777
; %bb.772:                              ;   in Loop: Header=BB294_10 Depth=1
	v_and_b32_e32 v34, 0x7f, v4
	v_mov_b32_e32 v125, 0x7c010000
	s_mov_b32 s19, exec_lo
	v_cmpx_ne_u32_e32 0x7f, v34
	s_cbranch_execz .LBB294_776
; %bb.773:                              ;   in Loop: Header=BB294_10 Depth=1
	v_and_b32_e32 v24, 7, v4
	v_lshrrev_b32_e32 v25, 3, v34
	s_mov_b32 s20, exec_lo
	v_cmpx_gt_u32_e32 8, v34
; %bb.774:                              ;   in Loop: Header=BB294_10 Depth=1
	v_ffbh_u32_e32 v24, v24
	v_min_u32_e32 v34, 32, v24
	v_subrev_nc_u32_e32 v24, 28, v34
	v_lshlrev_b64 v[24:25], v24, v[4:5]
	v_sub_nc_u32_e32 v25, 29, v34
	v_and_b32_e32 v24, 7, v24
; %bb.775:                              ;   in Loop: Header=BB294_10 Depth=1
	s_or_b32 exec_lo, exec_lo, s20
	v_lshlrev_b32_e32 v4, 8, v4
	v_lshl_add_u32 v25, v25, 10, 0x2000
	v_lshlrev_b32_e32 v24, 23, v24
	v_and_or_b32 v4, 0x8000, v4, v25
	v_lshl_or_b32 v125, v4, 16, v24
.LBB294_776:                            ;   in Loop: Header=BB294_10 Depth=1
	s_or_b32 exec_lo, exec_lo, s19
.LBB294_777:                            ;   in Loop: Header=BB294_10 Depth=1
	s_or_b32 exec_lo, exec_lo, s18
.LBB294_778:                            ;   in Loop: Header=BB294_10 Depth=1
	s_or_b32 exec_lo, exec_lo, s17
	flat_load_dwordx2 v[24:25], v[16:17] offset:1024
	s_waitcnt vmcnt(0) lgkmcnt(0)
	v_cmp_ne_u16_sdwa s5, v24, v5 src0_sel:BYTE_0 src1_sel:DWORD
	s_and_saveexec_b32 s17, s5
	s_cbranch_execz .LBB294_786
; %bb.779:                              ;   in Loop: Header=BB294_10 Depth=1
	v_cmp_ne_u16_sdwa s5, v24, v37 src0_sel:BYTE_0 src1_sel:DWORD
	v_mov_b32_e32 v58, 0x8000
	s_and_saveexec_b32 s18, s5
	s_cbranch_execz .LBB294_785
; %bb.780:                              ;   in Loop: Header=BB294_10 Depth=1
	v_and_b32_e32 v38, 0x7f, v24
	v_mov_b32_e32 v58, 0x7c01
	s_mov_b32 s19, exec_lo
	v_cmpx_ne_u32_e32 0x7f, v38
	s_cbranch_execz .LBB294_784
; %bb.781:                              ;   in Loop: Header=BB294_10 Depth=1
	v_and_b32_e32 v4, 7, v24
	v_lshrrev_b32_e32 v34, 3, v38
	s_mov_b32 s20, exec_lo
	v_cmpx_gt_u32_e32 8, v38
; %bb.782:                              ;   in Loop: Header=BB294_10 Depth=1
	v_ffbh_u32_e32 v4, v4
	v_min_u32_e32 v4, 32, v4
	v_subrev_nc_u32_e32 v34, 28, v4
	v_lshlrev_b64 v[48:49], v34, v[24:25]
	v_sub_nc_u32_e32 v34, 29, v4
	v_and_b32_e32 v4, 7, v48
; %bb.783:                              ;   in Loop: Header=BB294_10 Depth=1
	s_or_b32 exec_lo, exec_lo, s20
	v_lshlrev_b32_e32 v35, 8, v24
	v_lshl_add_u32 v34, v34, 10, 0x2000
	v_lshlrev_b32_e32 v4, 7, v4
	v_and_b32_e32 v35, 0x8000, v35
	v_and_b32_e32 v34, 0xfc00, v34
	v_or3_b32 v58, v35, v34, v4
.LBB294_784:                            ;   in Loop: Header=BB294_10 Depth=1
	s_or_b32 exec_lo, exec_lo, s19
.LBB294_785:                            ;   in Loop: Header=BB294_10 Depth=1
	s_or_b32 exec_lo, exec_lo, s18
.LBB294_786:                            ;   in Loop: Header=BB294_10 Depth=1
	s_or_b32 exec_lo, exec_lo, s17
	v_lshrrev_b16 v4, 8, v24
	v_mov_b32_e32 v62, 0
	v_mov_b32_e32 v59, 0
	s_mov_b32 s17, exec_lo
	v_cmpx_ne_u16_e32 0, v4
	s_cbranch_execz .LBB294_794
; %bb.787:                              ;   in Loop: Header=BB294_10 Depth=1
	v_bfrev_b32_e32 v59, 1
	s_mov_b32 s18, exec_lo
	v_cmpx_ne_u16_e32 0x80, v4
	s_cbranch_execz .LBB294_793
; %bb.788:                              ;   in Loop: Header=BB294_10 Depth=1
	v_mov_b32_e32 v34, 0x7f
	v_mov_b32_e32 v59, 0x7c010000
	s_mov_b32 s19, exec_lo
	v_and_b32_sdwa v48, v4, v34 dst_sel:DWORD dst_unused:UNUSED_PAD src0_sel:WORD_0 src1_sel:DWORD
	v_cmpx_ne_u32_e32 0x7f, v48
	s_cbranch_execz .LBB294_792
; %bb.789:                              ;   in Loop: Header=BB294_10 Depth=1
	v_mov_b32_e32 v34, 7
	v_lshrrev_b32_e32 v38, 3, v48
	s_mov_b32 s20, exec_lo
	v_and_b32_sdwa v34, v4, v34 dst_sel:DWORD dst_unused:UNUSED_PAD src0_sel:WORD_0 src1_sel:DWORD
	v_cmpx_gt_u32_e32 8, v48
; %bb.790:                              ;   in Loop: Header=BB294_10 Depth=1
	v_ffbh_u32_e32 v34, v34
	v_min_u32_e32 v38, 32, v34
	v_subrev_nc_u32_e32 v34, 28, v38
	v_sub_nc_u32_e32 v38, 29, v38
	v_lshlrev_b64 v[34:35], v34, v[4:5]
	v_and_b32_e32 v34, 7, v34
; %bb.791:                              ;   in Loop: Header=BB294_10 Depth=1
	s_or_b32 exec_lo, exec_lo, s20
	v_mov_b32_e32 v35, 8
	v_lshlrev_b32_e32 v34, 23, v34
	v_lshlrev_b32_sdwa v4, v35, v4 dst_sel:DWORD dst_unused:UNUSED_PAD src0_sel:DWORD src1_sel:WORD_0
	v_lshl_add_u32 v35, v38, 10, 0x2000
	v_and_or_b32 v4, 0x8000, v4, v35
	v_lshl_or_b32 v59, v4, 16, v34
.LBB294_792:                            ;   in Loop: Header=BB294_10 Depth=1
	s_or_b32 exec_lo, exec_lo, s19
.LBB294_793:                            ;   in Loop: Header=BB294_10 Depth=1
	s_or_b32 exec_lo, exec_lo, s18
.LBB294_794:                            ;   in Loop: Header=BB294_10 Depth=1
	s_or_b32 exec_lo, exec_lo, s17
	v_lshrrev_b32_e32 v4, 16, v24
	v_cmp_ne_u16_sdwa s5, v4, v5 src0_sel:BYTE_0 src1_sel:DWORD
	s_and_saveexec_b32 s17, s5
	s_cbranch_execz .LBB294_802
; %bb.795:                              ;   in Loop: Header=BB294_10 Depth=1
	v_cmp_ne_u16_sdwa s5, v4, v37 src0_sel:BYTE_0 src1_sel:DWORD
	v_mov_b32_e32 v62, 0x8000
	s_and_saveexec_b32 s18, s5
	s_cbranch_execz .LBB294_801
; %bb.796:                              ;   in Loop: Header=BB294_10 Depth=1
	v_bfe_u32 v48, v24, 16, 7
	v_mov_b32_e32 v62, 0x7c01
	s_mov_b32 s19, exec_lo
	v_cmpx_ne_u32_e32 0x7f, v48
	s_cbranch_execz .LBB294_800
; %bb.797:                              ;   in Loop: Header=BB294_10 Depth=1
	v_and_b32_e32 v34, 7, v4
	v_lshrrev_b32_e32 v38, 3, v48
	s_mov_b32 s20, exec_lo
	v_cmpx_gt_u32_e32 8, v48
; %bb.798:                              ;   in Loop: Header=BB294_10 Depth=1
	v_ffbh_u32_e32 v34, v34
	v_min_u32_e32 v38, 32, v34
	v_subrev_nc_u32_e32 v34, 28, v38
	v_sub_nc_u32_e32 v38, 29, v38
	v_lshlrev_b64 v[34:35], v34, v[4:5]
	v_and_b32_e32 v34, 7, v34
; %bb.799:                              ;   in Loop: Header=BB294_10 Depth=1
	s_or_b32 exec_lo, exec_lo, s20
	v_lshlrev_b32_e32 v4, 8, v4
	v_lshl_add_u32 v35, v38, 10, 0x2000
	v_lshlrev_b32_e32 v34, 7, v34
	v_and_b32_e32 v4, 0x8000, v4
	v_and_b32_e32 v35, 0xfc00, v35
	v_or3_b32 v62, v4, v35, v34
.LBB294_800:                            ;   in Loop: Header=BB294_10 Depth=1
	s_or_b32 exec_lo, exec_lo, s19
.LBB294_801:                            ;   in Loop: Header=BB294_10 Depth=1
	s_or_b32 exec_lo, exec_lo, s18
.LBB294_802:                            ;   in Loop: Header=BB294_10 Depth=1
	s_or_b32 exec_lo, exec_lo, s17
	v_mov_b32_e32 v63, 0
	v_mov_b32_e32 v72, 0
	s_mov_b32 s17, exec_lo
	v_cmpx_lt_u32_e32 0xffffff, v24
	s_cbranch_execz .LBB294_810
; %bb.803:                              ;   in Loop: Header=BB294_10 Depth=1
	v_lshrrev_b32_e32 v4, 24, v24
	v_bfrev_b32_e32 v72, 1
	s_mov_b32 s18, exec_lo
	v_cmpx_ne_u32_e32 0x80, v4
	s_cbranch_execz .LBB294_809
; %bb.804:                              ;   in Loop: Header=BB294_10 Depth=1
	v_and_b32_e32 v48, 0x7f, v4
	v_mov_b32_e32 v72, 0x7c010000
	s_mov_b32 s19, exec_lo
	v_cmpx_ne_u32_e32 0x7f, v48
	s_cbranch_execz .LBB294_808
; %bb.805:                              ;   in Loop: Header=BB294_10 Depth=1
	v_and_b32_e32 v34, 7, v4
	v_lshrrev_b32_e32 v38, 3, v48
	s_mov_b32 s20, exec_lo
	v_cmpx_gt_u32_e32 8, v48
; %bb.806:                              ;   in Loop: Header=BB294_10 Depth=1
	v_ffbh_u32_e32 v34, v34
	v_min_u32_e32 v38, 32, v34
	v_subrev_nc_u32_e32 v34, 28, v38
	v_sub_nc_u32_e32 v38, 29, v38
	v_lshlrev_b64 v[34:35], v34, v[4:5]
	v_and_b32_e32 v34, 7, v34
; %bb.807:                              ;   in Loop: Header=BB294_10 Depth=1
	s_or_b32 exec_lo, exec_lo, s20
	v_lshlrev_b32_e32 v4, 8, v4
	v_lshl_add_u32 v35, v38, 10, 0x2000
	v_lshlrev_b32_e32 v34, 23, v34
	v_and_or_b32 v4, 0x8000, v4, v35
	v_lshl_or_b32 v72, v4, 16, v34
.LBB294_808:                            ;   in Loop: Header=BB294_10 Depth=1
	s_or_b32 exec_lo, exec_lo, s19
.LBB294_809:                            ;   in Loop: Header=BB294_10 Depth=1
	s_or_b32 exec_lo, exec_lo, s18
.LBB294_810:                            ;   in Loop: Header=BB294_10 Depth=1
	s_or_b32 exec_lo, exec_lo, s17
	v_mov_b32_e32 v4, v25
	v_cmp_ne_u16_sdwa s5, v25, v5 src0_sel:BYTE_0 src1_sel:DWORD
	s_and_saveexec_b32 s17, s5
	s_cbranch_execz .LBB294_818
; %bb.811:                              ;   in Loop: Header=BB294_10 Depth=1
	v_cmp_ne_u16_sdwa s5, v25, v37 src0_sel:BYTE_0 src1_sel:DWORD
	v_mov_b32_e32 v63, 0x8000
	s_and_saveexec_b32 s18, s5
	s_cbranch_execz .LBB294_817
; %bb.812:                              ;   in Loop: Header=BB294_10 Depth=1
	v_and_b32_e32 v48, 0x7f, v25
	v_mov_b32_e32 v63, 0x7c01
	s_mov_b32 s19, exec_lo
	v_cmpx_ne_u32_e32 0x7f, v48
	s_cbranch_execz .LBB294_816
; %bb.813:                              ;   in Loop: Header=BB294_10 Depth=1
	v_and_b32_e32 v34, 7, v25
	v_lshrrev_b32_e32 v38, 3, v48
	s_mov_b32 s20, exec_lo
	v_cmpx_gt_u32_e32 8, v48
; %bb.814:                              ;   in Loop: Header=BB294_10 Depth=1
	v_ffbh_u32_e32 v34, v34
	v_min_u32_e32 v38, 32, v34
	v_subrev_nc_u32_e32 v34, 28, v38
	v_sub_nc_u32_e32 v38, 29, v38
	v_lshlrev_b64 v[34:35], v34, v[4:5]
	v_and_b32_e32 v34, 7, v34
; %bb.815:                              ;   in Loop: Header=BB294_10 Depth=1
	s_or_b32 exec_lo, exec_lo, s20
	v_lshlrev_b32_e32 v35, 8, v25
	v_lshl_add_u32 v38, v38, 10, 0x2000
	v_lshlrev_b32_e32 v34, 7, v34
	v_and_b32_e32 v35, 0x8000, v35
	v_and_b32_e32 v38, 0xfc00, v38
	v_or3_b32 v63, v35, v38, v34
.LBB294_816:                            ;   in Loop: Header=BB294_10 Depth=1
	s_or_b32 exec_lo, exec_lo, s19
.LBB294_817:                            ;   in Loop: Header=BB294_10 Depth=1
	s_or_b32 exec_lo, exec_lo, s18
.LBB294_818:                            ;   in Loop: Header=BB294_10 Depth=1
	s_or_b32 exec_lo, exec_lo, s17
	v_lshrrev_b16 v4, 8, v4
	v_mov_b32_e32 v105, 0
	v_mov_b32_e32 v106, 0
	s_mov_b32 s17, exec_lo
	v_cmpx_ne_u16_e32 0, v4
	s_cbranch_execz .LBB294_826
; %bb.819:                              ;   in Loop: Header=BB294_10 Depth=1
	v_bfrev_b32_e32 v106, 1
	s_mov_b32 s18, exec_lo
	v_cmpx_ne_u16_e32 0x80, v4
	s_cbranch_execz .LBB294_825
; %bb.820:                              ;   in Loop: Header=BB294_10 Depth=1
	v_mov_b32_e32 v34, 0x7f
	v_mov_b32_e32 v106, 0x7c010000
	s_mov_b32 s19, exec_lo
	v_and_b32_sdwa v48, v4, v34 dst_sel:DWORD dst_unused:UNUSED_PAD src0_sel:WORD_0 src1_sel:DWORD
	v_cmpx_ne_u32_e32 0x7f, v48
	s_cbranch_execz .LBB294_824
; %bb.821:                              ;   in Loop: Header=BB294_10 Depth=1
	v_mov_b32_e32 v34, 7
	v_lshrrev_b32_e32 v38, 3, v48
	s_mov_b32 s20, exec_lo
	v_and_b32_sdwa v34, v4, v34 dst_sel:DWORD dst_unused:UNUSED_PAD src0_sel:WORD_0 src1_sel:DWORD
	v_cmpx_gt_u32_e32 8, v48
; %bb.822:                              ;   in Loop: Header=BB294_10 Depth=1
	v_ffbh_u32_e32 v34, v34
	v_min_u32_e32 v38, 32, v34
	v_subrev_nc_u32_e32 v34, 28, v38
	v_sub_nc_u32_e32 v38, 29, v38
	v_lshlrev_b64 v[34:35], v34, v[4:5]
	v_and_b32_e32 v34, 7, v34
; %bb.823:                              ;   in Loop: Header=BB294_10 Depth=1
	s_or_b32 exec_lo, exec_lo, s20
	v_mov_b32_e32 v35, 8
	v_lshlrev_b32_e32 v34, 23, v34
	v_lshlrev_b32_sdwa v4, v35, v4 dst_sel:DWORD dst_unused:UNUSED_PAD src0_sel:DWORD src1_sel:WORD_0
	v_lshl_add_u32 v35, v38, 10, 0x2000
	v_and_or_b32 v4, 0x8000, v4, v35
	v_lshl_or_b32 v106, v4, 16, v34
.LBB294_824:                            ;   in Loop: Header=BB294_10 Depth=1
	s_or_b32 exec_lo, exec_lo, s19
.LBB294_825:                            ;   in Loop: Header=BB294_10 Depth=1
	s_or_b32 exec_lo, exec_lo, s18
.LBB294_826:                            ;   in Loop: Header=BB294_10 Depth=1
	s_or_b32 exec_lo, exec_lo, s17
	v_lshrrev_b32_e32 v4, 16, v25
	v_cmp_ne_u16_sdwa s5, v4, v5 src0_sel:BYTE_0 src1_sel:DWORD
	s_and_saveexec_b32 s17, s5
	s_cbranch_execz .LBB294_834
; %bb.827:                              ;   in Loop: Header=BB294_10 Depth=1
	v_cmp_ne_u16_sdwa s5, v4, v37 src0_sel:BYTE_0 src1_sel:DWORD
	v_mov_b32_e32 v105, 0x8000
	s_and_saveexec_b32 s18, s5
	s_cbranch_execz .LBB294_833
; %bb.828:                              ;   in Loop: Header=BB294_10 Depth=1
	v_bfe_u32 v48, v25, 16, 7
	v_mov_b32_e32 v105, 0x7c01
	s_mov_b32 s19, exec_lo
	v_cmpx_ne_u32_e32 0x7f, v48
	s_cbranch_execz .LBB294_832
; %bb.829:                              ;   in Loop: Header=BB294_10 Depth=1
	v_and_b32_e32 v34, 7, v4
	v_lshrrev_b32_e32 v38, 3, v48
	s_mov_b32 s20, exec_lo
	v_cmpx_gt_u32_e32 8, v48
; %bb.830:                              ;   in Loop: Header=BB294_10 Depth=1
	v_ffbh_u32_e32 v34, v34
	v_min_u32_e32 v38, 32, v34
	v_subrev_nc_u32_e32 v34, 28, v38
	v_sub_nc_u32_e32 v38, 29, v38
	v_lshlrev_b64 v[34:35], v34, v[4:5]
	v_and_b32_e32 v34, 7, v34
; %bb.831:                              ;   in Loop: Header=BB294_10 Depth=1
	s_or_b32 exec_lo, exec_lo, s20
	v_lshlrev_b32_e32 v4, 8, v4
	v_lshl_add_u32 v35, v38, 10, 0x2000
	v_lshlrev_b32_e32 v34, 7, v34
	v_and_b32_e32 v4, 0x8000, v4
	v_and_b32_e32 v35, 0xfc00, v35
	v_or3_b32 v105, v4, v35, v34
.LBB294_832:                            ;   in Loop: Header=BB294_10 Depth=1
	s_or_b32 exec_lo, exec_lo, s19
.LBB294_833:                            ;   in Loop: Header=BB294_10 Depth=1
	s_or_b32 exec_lo, exec_lo, s18
.LBB294_834:                            ;   in Loop: Header=BB294_10 Depth=1
	s_or_b32 exec_lo, exec_lo, s17
	v_cmp_lt_u64_e64 s5, s[6:7], v[24:25]
	v_mov_b32_e32 v24, 0
	v_mov_b32_e32 v107, 0
	s_and_saveexec_b32 s17, s5
	s_cbranch_execz .LBB294_842
; %bb.835:                              ;   in Loop: Header=BB294_10 Depth=1
	v_lshrrev_b32_e32 v4, 24, v25
	v_bfrev_b32_e32 v107, 1
	s_mov_b32 s18, exec_lo
	v_cmpx_ne_u32_e32 0x80, v4
	s_cbranch_execz .LBB294_841
; %bb.836:                              ;   in Loop: Header=BB294_10 Depth=1
	v_and_b32_e32 v38, 0x7f, v4
	v_mov_b32_e32 v107, 0x7c010000
	s_mov_b32 s19, exec_lo
	v_cmpx_ne_u32_e32 0x7f, v38
	s_cbranch_execz .LBB294_840
; %bb.837:                              ;   in Loop: Header=BB294_10 Depth=1
	v_and_b32_e32 v25, 7, v4
	v_lshrrev_b32_e32 v34, 3, v38
	s_mov_b32 s20, exec_lo
	v_cmpx_gt_u32_e32 8, v38
; %bb.838:                              ;   in Loop: Header=BB294_10 Depth=1
	v_ffbh_u32_e32 v25, v25
	v_min_u32_e32 v25, 32, v25
	v_subrev_nc_u32_e32 v34, 28, v25
	v_lshlrev_b64 v[48:49], v34, v[4:5]
	v_sub_nc_u32_e32 v34, 29, v25
	v_and_b32_e32 v25, 7, v48
; %bb.839:                              ;   in Loop: Header=BB294_10 Depth=1
	s_or_b32 exec_lo, exec_lo, s20
	v_lshlrev_b32_e32 v4, 8, v4
	v_lshl_add_u32 v34, v34, 10, 0x2000
	v_lshlrev_b32_e32 v25, 23, v25
	v_and_or_b32 v4, 0x8000, v4, v34
	v_lshl_or_b32 v107, v4, 16, v25
.LBB294_840:                            ;   in Loop: Header=BB294_10 Depth=1
	s_or_b32 exec_lo, exec_lo, s19
.LBB294_841:                            ;   in Loop: Header=BB294_10 Depth=1
	s_or_b32 exec_lo, exec_lo, s18
.LBB294_842:                            ;   in Loop: Header=BB294_10 Depth=1
	s_or_b32 exec_lo, exec_lo, s17
	flat_load_dwordx2 v[16:17], v[16:17] offset:1032
	s_waitcnt vmcnt(0) lgkmcnt(0)
	v_cmp_ne_u16_sdwa s5, v16, v5 src0_sel:BYTE_0 src1_sel:DWORD
	s_and_saveexec_b32 s17, s5
	s_cbranch_execz .LBB294_850
; %bb.843:                              ;   in Loop: Header=BB294_10 Depth=1
	v_cmp_ne_u16_sdwa s5, v16, v37 src0_sel:BYTE_0 src1_sel:DWORD
	v_mov_b32_e32 v24, 0x8000
	s_and_saveexec_b32 s18, s5
	s_cbranch_execz .LBB294_849
; %bb.844:                              ;   in Loop: Header=BB294_10 Depth=1
	v_and_b32_e32 v25, 0x7f, v16
	v_mov_b32_e32 v24, 0x7c01
	s_mov_b32 s19, exec_lo
	v_cmpx_ne_u32_e32 0x7f, v25
	s_cbranch_execz .LBB294_848
; %bb.845:                              ;   in Loop: Header=BB294_10 Depth=1
	v_and_b32_e32 v4, 7, v16
	v_lshrrev_b32_e32 v24, 3, v25
	s_mov_b32 s20, exec_lo
	v_cmpx_gt_u32_e32 8, v25
; %bb.846:                              ;   in Loop: Header=BB294_10 Depth=1
	v_ffbh_u32_e32 v4, v4
	v_min_u32_e32 v4, 32, v4
	v_subrev_nc_u32_e32 v24, 28, v4
	v_lshlrev_b64 v[34:35], v24, v[16:17]
	v_sub_nc_u32_e32 v24, 29, v4
	v_and_b32_e32 v4, 7, v34
; %bb.847:                              ;   in Loop: Header=BB294_10 Depth=1
	s_or_b32 exec_lo, exec_lo, s20
	v_lshlrev_b32_e32 v25, 8, v16
	v_lshl_add_u32 v24, v24, 10, 0x2000
	v_lshlrev_b32_e32 v4, 7, v4
	v_and_b32_e32 v25, 0x8000, v25
	v_and_b32_e32 v24, 0xfc00, v24
	v_or3_b32 v24, v25, v24, v4
.LBB294_848:                            ;   in Loop: Header=BB294_10 Depth=1
	s_or_b32 exec_lo, exec_lo, s19
.LBB294_849:                            ;   in Loop: Header=BB294_10 Depth=1
	s_or_b32 exec_lo, exec_lo, s18
.LBB294_850:                            ;   in Loop: Header=BB294_10 Depth=1
	s_or_b32 exec_lo, exec_lo, s17
	v_lshrrev_b16 v4, 8, v16
	v_mov_b32_e32 v48, 0
	v_mov_b32_e32 v25, 0
	s_mov_b32 s17, exec_lo
	v_cmpx_ne_u16_e32 0, v4
	s_cbranch_execz .LBB294_858
; %bb.851:                              ;   in Loop: Header=BB294_10 Depth=1
	v_bfrev_b32_e32 v25, 1
	s_mov_b32 s18, exec_lo
	v_cmpx_ne_u16_e32 0x80, v4
	s_cbranch_execz .LBB294_857
; %bb.852:                              ;   in Loop: Header=BB294_10 Depth=1
	v_mov_b32_e32 v25, 0x7f
	s_mov_b32 s19, exec_lo
	v_and_b32_sdwa v38, v4, v25 dst_sel:DWORD dst_unused:UNUSED_PAD src0_sel:WORD_0 src1_sel:DWORD
	v_mov_b32_e32 v25, 0x7c010000
	v_cmpx_ne_u32_e32 0x7f, v38
	s_cbranch_execz .LBB294_856
; %bb.853:                              ;   in Loop: Header=BB294_10 Depth=1
	v_mov_b32_e32 v25, 7
	v_lshrrev_b32_e32 v34, 3, v38
	s_mov_b32 s20, exec_lo
	v_and_b32_sdwa v25, v4, v25 dst_sel:DWORD dst_unused:UNUSED_PAD src0_sel:WORD_0 src1_sel:DWORD
	v_cmpx_gt_u32_e32 8, v38
	s_cbranch_execz .LBB294_855
; %bb.854:                              ;   in Loop: Header=BB294_10 Depth=1
	v_ffbh_u32_e32 v25, v25
	v_mov_b32_e32 v35, v52
	v_min_u32_e32 v25, 32, v25
	v_subrev_nc_u32_e32 v34, 28, v25
	v_lshlrev_b64 v[51:52], v34, v[4:5]
	v_mov_b32_e32 v52, v35
	v_sub_nc_u32_e32 v34, 29, v25
	v_and_b32_e32 v25, 7, v51
.LBB294_855:                            ;   in Loop: Header=BB294_10 Depth=1
	s_or_b32 exec_lo, exec_lo, s20
	v_mov_b32_e32 v35, 8
	v_lshl_add_u32 v34, v34, 10, 0x2000
	v_lshlrev_b32_e32 v25, 23, v25
	v_lshlrev_b32_sdwa v4, v35, v4 dst_sel:DWORD dst_unused:UNUSED_PAD src0_sel:DWORD src1_sel:WORD_0
	v_and_or_b32 v4, 0x8000, v4, v34
	v_lshl_or_b32 v25, v4, 16, v25
.LBB294_856:                            ;   in Loop: Header=BB294_10 Depth=1
	s_or_b32 exec_lo, exec_lo, s19
.LBB294_857:                            ;   in Loop: Header=BB294_10 Depth=1
	s_or_b32 exec_lo, exec_lo, s18
.LBB294_858:                            ;   in Loop: Header=BB294_10 Depth=1
	s_or_b32 exec_lo, exec_lo, s17
	v_lshrrev_b32_e32 v4, 16, v16
	v_cmp_ne_u16_sdwa s5, v4, v5 src0_sel:BYTE_0 src1_sel:DWORD
	s_and_saveexec_b32 s17, s5
	s_cbranch_execz .LBB294_866
; %bb.859:                              ;   in Loop: Header=BB294_10 Depth=1
	v_cmp_ne_u16_sdwa s5, v4, v37 src0_sel:BYTE_0 src1_sel:DWORD
	v_mov_b32_e32 v48, 0x8000
	s_and_saveexec_b32 s18, s5
	s_cbranch_execz .LBB294_865
; %bb.860:                              ;   in Loop: Header=BB294_10 Depth=1
	v_bfe_u32 v49, v16, 16, 7
	v_mov_b32_e32 v48, 0x7c01
	s_mov_b32 s19, exec_lo
	v_cmpx_ne_u32_e32 0x7f, v49
	s_cbranch_execz .LBB294_864
; %bb.861:                              ;   in Loop: Header=BB294_10 Depth=1
	v_and_b32_e32 v34, 7, v4
	v_lshrrev_b32_e32 v38, 3, v49
	s_mov_b32 s20, exec_lo
	v_cmpx_gt_u32_e32 8, v49
; %bb.862:                              ;   in Loop: Header=BB294_10 Depth=1
	v_ffbh_u32_e32 v34, v34
	v_min_u32_e32 v38, 32, v34
	v_subrev_nc_u32_e32 v34, 28, v38
	v_sub_nc_u32_e32 v38, 29, v38
	v_lshlrev_b64 v[34:35], v34, v[4:5]
	v_and_b32_e32 v34, 7, v34
; %bb.863:                              ;   in Loop: Header=BB294_10 Depth=1
	s_or_b32 exec_lo, exec_lo, s20
	v_lshlrev_b32_e32 v4, 8, v4
	v_lshl_add_u32 v35, v38, 10, 0x2000
	v_lshlrev_b32_e32 v34, 7, v34
	v_and_b32_e32 v4, 0x8000, v4
	v_and_b32_e32 v35, 0xfc00, v35
	v_or3_b32 v48, v4, v35, v34
.LBB294_864:                            ;   in Loop: Header=BB294_10 Depth=1
	s_or_b32 exec_lo, exec_lo, s19
.LBB294_865:                            ;   in Loop: Header=BB294_10 Depth=1
	s_or_b32 exec_lo, exec_lo, s18
.LBB294_866:                            ;   in Loop: Header=BB294_10 Depth=1
	s_or_b32 exec_lo, exec_lo, s17
	v_mov_b32_e32 v38, 0
	v_mov_b32_e32 v51, 0
	s_mov_b32 s17, exec_lo
	v_cmpx_lt_u32_e32 0xffffff, v16
	s_cbranch_execz .LBB294_874
; %bb.867:                              ;   in Loop: Header=BB294_10 Depth=1
	v_lshrrev_b32_e32 v4, 24, v16
	v_bfrev_b32_e32 v51, 1
	s_mov_b32 s18, exec_lo
	v_cmpx_ne_u32_e32 0x80, v4
	s_cbranch_execz .LBB294_873
; %bb.868:                              ;   in Loop: Header=BB294_10 Depth=1
	v_mov_b32_e32 v53, v52
	v_and_b32_e32 v52, 0x7f, v4
	v_mov_b32_e32 v51, 0x7c010000
	s_mov_b32 s19, exec_lo
	v_cmpx_ne_u32_e32 0x7f, v52
	s_cbranch_execz .LBB294_872
; %bb.869:                              ;   in Loop: Header=BB294_10 Depth=1
	v_and_b32_e32 v34, 7, v4
	v_lshrrev_b32_e32 v49, 3, v52
	s_mov_b32 s20, exec_lo
	v_cmpx_gt_u32_e32 8, v52
; %bb.870:                              ;   in Loop: Header=BB294_10 Depth=1
	v_ffbh_u32_e32 v34, v34
	v_min_u32_e32 v49, 32, v34
	v_subrev_nc_u32_e32 v34, 28, v49
	v_sub_nc_u32_e32 v49, 29, v49
	v_lshlrev_b64 v[34:35], v34, v[4:5]
	v_and_b32_e32 v34, 7, v34
; %bb.871:                              ;   in Loop: Header=BB294_10 Depth=1
	s_or_b32 exec_lo, exec_lo, s20
	v_lshlrev_b32_e32 v4, 8, v4
	v_lshl_add_u32 v35, v49, 10, 0x2000
	v_lshlrev_b32_e32 v34, 23, v34
	v_and_or_b32 v4, 0x8000, v4, v35
	v_lshl_or_b32 v51, v4, 16, v34
.LBB294_872:                            ;   in Loop: Header=BB294_10 Depth=1
	s_or_b32 exec_lo, exec_lo, s19
	v_mov_b32_e32 v52, v53
.LBB294_873:                            ;   in Loop: Header=BB294_10 Depth=1
	s_or_b32 exec_lo, exec_lo, s18
.LBB294_874:                            ;   in Loop: Header=BB294_10 Depth=1
	s_or_b32 exec_lo, exec_lo, s17
	v_mov_b32_e32 v4, v17
	v_cmp_ne_u16_sdwa s5, v17, v5 src0_sel:BYTE_0 src1_sel:DWORD
	s_and_saveexec_b32 s17, s5
	s_cbranch_execz .LBB294_882
; %bb.875:                              ;   in Loop: Header=BB294_10 Depth=1
	v_cmp_ne_u16_sdwa s5, v17, v37 src0_sel:BYTE_0 src1_sel:DWORD
	v_mov_b32_e32 v38, 0x8000
	s_and_saveexec_b32 s18, s5
	s_cbranch_execz .LBB294_881
; %bb.876:                              ;   in Loop: Header=BB294_10 Depth=1
	v_and_b32_e32 v49, 0x7f, v17
	v_mov_b32_e32 v38, 0x7c01
	s_mov_b32 s19, exec_lo
	v_cmpx_ne_u32_e32 0x7f, v49
	s_cbranch_execz .LBB294_880
; %bb.877:                              ;   in Loop: Header=BB294_10 Depth=1
	v_and_b32_e32 v34, 7, v17
	v_lshrrev_b32_e32 v38, 3, v49
	s_mov_b32 s20, exec_lo
	v_cmpx_gt_u32_e32 8, v49
; %bb.878:                              ;   in Loop: Header=BB294_10 Depth=1
	v_ffbh_u32_e32 v34, v34
	v_min_u32_e32 v38, 32, v34
	v_subrev_nc_u32_e32 v34, 28, v38
	v_sub_nc_u32_e32 v38, 29, v38
	v_lshlrev_b64 v[34:35], v34, v[4:5]
	v_and_b32_e32 v34, 7, v34
; %bb.879:                              ;   in Loop: Header=BB294_10 Depth=1
	s_or_b32 exec_lo, exec_lo, s20
	v_lshlrev_b32_e32 v35, 8, v17
	v_lshl_add_u32 v38, v38, 10, 0x2000
	v_lshlrev_b32_e32 v34, 7, v34
	v_and_b32_e32 v35, 0x8000, v35
	v_and_b32_e32 v38, 0xfc00, v38
	v_or3_b32 v38, v35, v38, v34
.LBB294_880:                            ;   in Loop: Header=BB294_10 Depth=1
	s_or_b32 exec_lo, exec_lo, s19
.LBB294_881:                            ;   in Loop: Header=BB294_10 Depth=1
	s_or_b32 exec_lo, exec_lo, s18
.LBB294_882:                            ;   in Loop: Header=BB294_10 Depth=1
	s_or_b32 exec_lo, exec_lo, s17
	v_lshrrev_b16 v4, 8, v4
	v_mov_b32_e32 v53, 0
	v_mov_b32_e32 v54, 0
	s_mov_b32 s17, exec_lo
	v_cmpx_ne_u16_e32 0, v4
	s_cbranch_execz .LBB294_890
; %bb.883:                              ;   in Loop: Header=BB294_10 Depth=1
	v_bfrev_b32_e32 v54, 1
	s_mov_b32 s18, exec_lo
	v_cmpx_ne_u16_e32 0x80, v4
	s_cbranch_execz .LBB294_889
; %bb.884:                              ;   in Loop: Header=BB294_10 Depth=1
	v_mov_b32_e32 v34, 0x7f
	v_mov_b32_e32 v127, v52
	;; [unrolled: 1-line block ×3, first 2 shown]
	s_mov_b32 s19, exec_lo
	v_and_b32_sdwa v52, v4, v34 dst_sel:DWORD dst_unused:UNUSED_PAD src0_sel:WORD_0 src1_sel:DWORD
	v_cmpx_ne_u32_e32 0x7f, v52
	s_cbranch_execz .LBB294_888
; %bb.885:                              ;   in Loop: Header=BB294_10 Depth=1
	v_mov_b32_e32 v34, 7
	v_lshrrev_b32_e32 v49, 3, v52
	s_mov_b32 s20, exec_lo
	v_and_b32_sdwa v34, v4, v34 dst_sel:DWORD dst_unused:UNUSED_PAD src0_sel:WORD_0 src1_sel:DWORD
	v_cmpx_gt_u32_e32 8, v52
; %bb.886:                              ;   in Loop: Header=BB294_10 Depth=1
	v_ffbh_u32_e32 v34, v34
	v_min_u32_e32 v49, 32, v34
	v_subrev_nc_u32_e32 v34, 28, v49
	v_sub_nc_u32_e32 v49, 29, v49
	v_lshlrev_b64 v[34:35], v34, v[4:5]
	v_and_b32_e32 v34, 7, v34
; %bb.887:                              ;   in Loop: Header=BB294_10 Depth=1
	s_or_b32 exec_lo, exec_lo, s20
	v_mov_b32_e32 v35, 8
	v_lshlrev_b32_e32 v34, 23, v34
	v_lshlrev_b32_sdwa v4, v35, v4 dst_sel:DWORD dst_unused:UNUSED_PAD src0_sel:DWORD src1_sel:WORD_0
	v_lshl_add_u32 v35, v49, 10, 0x2000
	v_and_or_b32 v4, 0x8000, v4, v35
	v_lshl_or_b32 v54, v4, 16, v34
.LBB294_888:                            ;   in Loop: Header=BB294_10 Depth=1
	s_or_b32 exec_lo, exec_lo, s19
	v_mov_b32_e32 v52, v127
.LBB294_889:                            ;   in Loop: Header=BB294_10 Depth=1
	s_or_b32 exec_lo, exec_lo, s18
.LBB294_890:                            ;   in Loop: Header=BB294_10 Depth=1
	s_or_b32 exec_lo, exec_lo, s17
	v_lshrrev_b32_e32 v4, 16, v17
	v_cmp_ne_u16_sdwa s5, v4, v5 src0_sel:BYTE_0 src1_sel:DWORD
	s_and_saveexec_b32 s17, s5
	s_cbranch_execz .LBB294_898
; %bb.891:                              ;   in Loop: Header=BB294_10 Depth=1
	v_cmp_ne_u16_sdwa s5, v4, v37 src0_sel:BYTE_0 src1_sel:DWORD
	v_mov_b32_e32 v53, 0x8000
	s_and_saveexec_b32 s18, s5
	s_cbranch_execz .LBB294_897
; %bb.892:                              ;   in Loop: Header=BB294_10 Depth=1
	v_mov_b32_e32 v127, v52
	v_bfe_u32 v52, v17, 16, 7
	v_mov_b32_e32 v53, 0x7c01
	s_mov_b32 s19, exec_lo
	v_cmpx_ne_u32_e32 0x7f, v52
	s_cbranch_execz .LBB294_896
; %bb.893:                              ;   in Loop: Header=BB294_10 Depth=1
	v_and_b32_e32 v34, 7, v4
	v_lshrrev_b32_e32 v49, 3, v52
	s_mov_b32 s20, exec_lo
	v_cmpx_gt_u32_e32 8, v52
; %bb.894:                              ;   in Loop: Header=BB294_10 Depth=1
	v_ffbh_u32_e32 v34, v34
	v_min_u32_e32 v49, 32, v34
	v_subrev_nc_u32_e32 v34, 28, v49
	v_sub_nc_u32_e32 v49, 29, v49
	v_lshlrev_b64 v[34:35], v34, v[4:5]
	v_and_b32_e32 v34, 7, v34
; %bb.895:                              ;   in Loop: Header=BB294_10 Depth=1
	s_or_b32 exec_lo, exec_lo, s20
	v_lshlrev_b32_e32 v4, 8, v4
	v_lshl_add_u32 v35, v49, 10, 0x2000
	v_lshlrev_b32_e32 v34, 7, v34
	v_and_b32_e32 v4, 0x8000, v4
	v_and_b32_e32 v35, 0xfc00, v35
	v_or3_b32 v53, v4, v35, v34
.LBB294_896:                            ;   in Loop: Header=BB294_10 Depth=1
	s_or_b32 exec_lo, exec_lo, s19
	v_mov_b32_e32 v52, v127
.LBB294_897:                            ;   in Loop: Header=BB294_10 Depth=1
	s_or_b32 exec_lo, exec_lo, s18
.LBB294_898:                            ;   in Loop: Header=BB294_10 Depth=1
	s_or_b32 exec_lo, exec_lo, s17
	v_mov_b32_e32 v34, 0
	v_cmp_lt_u64_e64 s5, s[6:7], v[16:17]
	s_mov_b32 s17, exec_lo
	v_mov_b32_e32 v16, v75
	v_mov_b32_e32 v127, v126
	s_and_b32 s5, s17, s5
	s_mov_b32 exec_lo, s5
	s_cbranch_execz .LBB294_9
; %bb.899:                              ;   in Loop: Header=BB294_10 Depth=1
	v_lshrrev_b32_e32 v4, 24, v17
	v_bfrev_b32_e32 v34, 1
	s_mov_b32 s18, exec_lo
	v_cmpx_ne_u32_e32 0x80, v4
	s_cbranch_execz .LBB294_8
; %bb.900:                              ;   in Loop: Header=BB294_10 Depth=1
	v_and_b32_e32 v49, 0x7f, v4
	v_mov_b32_e32 v34, 0x7c010000
	s_mov_b32 s19, exec_lo
	v_cmpx_ne_u32_e32 0x7f, v49
	s_cbranch_execz .LBB294_7
; %bb.901:                              ;   in Loop: Header=BB294_10 Depth=1
	v_and_b32_e32 v16, 7, v4
	v_lshrrev_b32_e32 v17, 3, v49
	s_mov_b32 s20, exec_lo
	v_cmpx_gt_u32_e32 8, v49
	s_cbranch_execz .LBB294_6
; %bb.902:                              ;   in Loop: Header=BB294_10 Depth=1
	v_ffbh_u32_e32 v16, v16
	v_min_u32_e32 v34, 32, v16
	v_subrev_nc_u32_e32 v16, 28, v34
	v_lshlrev_b64 v[16:17], v16, v[4:5]
	v_sub_nc_u32_e32 v17, 29, v34
	v_and_b32_e32 v16, 7, v16
	s_branch .LBB294_6
.LBB294_903:
	s_or_b32 exec_lo, exec_lo, s15
	s_clause 0x1
	buffer_load_dword v11, off, s[0:3], s32 offset:324
	buffer_load_dword v10, off, s[0:3], s32 offset:328
.LBB294_904:
	s_or_b32 exec_lo, exec_lo, s9
	v_mbcnt_lo_u32_b32 v0, -1, 0
	v_max_f32_e32 v4, v8, v8
	s_lshr_b32 s9, s13, 16
	v_xor_b32_e32 v1, 16, v0
	v_xor_b32_e32 v3, 8, v0
	v_cmp_gt_i32_e32 vcc_lo, 32, v1
	v_cndmask_b32_e32 v1, v0, v1, vcc_lo
	v_cmp_gt_i32_e32 vcc_lo, 32, v3
	v_lshlrev_b32_e32 v1, 2, v1
	v_cndmask_b32_e32 v3, v0, v3, vcc_lo
	ds_bpermute_b32 v2, v1, v8
	s_waitcnt lgkmcnt(0)
	v_max_f32_e32 v5, v2, v2
	v_lshlrev_b32_e32 v2, 2, v3
	v_max_f32_e32 v4, v4, v5
	v_xor_b32_e32 v5, 4, v0
	ds_bpermute_b32 v3, v2, v4
	v_cmp_gt_i32_e32 vcc_lo, 32, v5
	v_cndmask_b32_e32 v5, v0, v5, vcc_lo
	s_waitcnt lgkmcnt(0)
	v_max_f32_e32 v6, v3, v3
	v_lshlrev_b32_e32 v3, 2, v5
	v_max_f32_e32 v4, v4, v6
	v_xor_b32_e32 v6, 2, v0
	ds_bpermute_b32 v5, v3, v4
	v_cmp_gt_i32_e32 vcc_lo, 32, v6
	v_cndmask_b32_e32 v6, v0, v6, vcc_lo
	v_lshlrev_b32_e32 v14, 2, v6
	v_xor_b32_e32 v6, 1, v0
	v_cmp_gt_i32_e32 vcc_lo, 32, v6
	s_waitcnt lgkmcnt(0)
	v_max_f32_e32 v5, v5, v5
	v_cndmask_b32_e32 v6, v0, v6, vcc_lo
	v_max_f32_e32 v4, v4, v5
	v_lshlrev_b32_e32 v13, 2, v6
	ds_bpermute_b32 v5, v14, v4
	s_waitcnt lgkmcnt(0)
	v_max_f32_e32 v5, v5, v5
	v_max_f32_e32 v0, v4, v5
	buffer_load_dword v4, off, s[0:3], s32 offset:272 ; 4-byte Folded Reload
	ds_bpermute_b32 v5, v13, v0
	s_waitcnt vmcnt(0)
	v_cmp_eq_u32_e32 vcc_lo, 0, v4
	buffer_load_dword v4, off, s[0:3], s32 offset:276 ; 4-byte Folded Reload
	s_waitcnt vmcnt(0)
	v_lshlrev_b32_e32 v4, 2, v4
	s_and_saveexec_b32 s5, vcc_lo
	s_cbranch_execz .LBB294_906
; %bb.905:
	s_waitcnt lgkmcnt(0)
	v_max_f32_e32 v5, v5, v5
	v_max_f32_e32 v0, v0, v0
	;; [unrolled: 1-line block ×3, first 2 shown]
	ds_write_b32 v4, v0 offset:224
.LBB294_906:
	s_or_b32 exec_lo, exec_lo, s5
	buffer_load_dword v0, off, s[0:3], s32 offset:272 ; 4-byte Folded Reload
	s_waitcnt vmcnt(0) lgkmcnt(0)
	s_waitcnt_vscnt null, 0x0
	s_barrier
	buffer_gl0_inv
	v_cmp_gt_u32_e64 s5, 4, v0
	v_mov_b32_e32 v0, 0xff7fffff
	s_and_saveexec_b32 s6, s5
; %bb.907:
	ds_read_b32 v0, v10 offset:224
; %bb.908:
	s_or_b32 exec_lo, exec_lo, s6
	s_waitcnt lgkmcnt(0)
	ds_bpermute_b32 v5, v14, v0
	v_max_f32_e32 v0, v0, v0
	v_mov_b32_e32 v6, 0
	s_waitcnt lgkmcnt(0)
	v_max_f32_e32 v5, v5, v5
	v_max_f32_e32 v0, v0, v5
	ds_bpermute_b32 v5, v13, v0
	s_waitcnt lgkmcnt(0)
	v_max_f32_e32 v5, v5, v5
	v_max_f32_e32 v0, v0, v5
	ds_bpermute_b32 v5, v6, v0
	v_lshlrev_b32_e32 v0, 5, v73
	v_min_i32_e32 v0, v0, v28
	v_cmp_lt_i32_e64 s6, v11, v0
	s_and_saveexec_b32 s13, s6
	s_cbranch_execz .LBB294_912
; %bb.909:
	s_getpc_b64 s[18:19]
	s_add_u32 s18, s18, llvm.amdgcn.dynlds.offset.table@rel32@lo+4
	s_addc_u32 s19, s19, llvm.amdgcn.dynlds.offset.table@rel32@hi+12
	s_ashr_i32 s17, s16, 31
	v_mov_b32_e32 v6, 0
	s_lshl_b64 s[20:21], s[16:17], 2
	v_mov_b32_e32 v8, v11
	s_add_u32 s18, s18, s20
	s_addc_u32 s19, s19, s21
	s_mov_b32 s15, 0
	s_load_dword s7, s[18:19], 0x0
	s_waitcnt lgkmcnt(0)
	v_lshl_add_u32 v7, v11, 2, s7
	.p2align	6
.LBB294_910:                            ; =>This Inner Loop Header: Depth=1
	ds_read_b32 v9, v7
	v_add_nc_u32_e32 v8, 0x80, v8
	v_cmp_ge_i32_e64 s7, v8, v0
	s_or_b32 s15, s7, s15
	s_waitcnt lgkmcnt(0)
	v_sub_f32_e32 v9, v9, v5
	v_mul_f32_e32 v9, 0x3fb8aa3b, v9
	v_exp_f32_e32 v9, v9
	ds_write_b32 v7, v9
	v_add_f32_e32 v6, v6, v9
	v_add_nc_u32_e32 v7, 0x200, v7
	s_andn2_b32 exec_lo, exec_lo, s15
	s_cbranch_execnz .LBB294_910
; %bb.911:
	s_or_b32 exec_lo, exec_lo, s15
.LBB294_912:
	s_or_b32 exec_lo, exec_lo, s13
	ds_bpermute_b32 v1, v1, v6
	s_waitcnt lgkmcnt(0)
	v_add_f32_e32 v1, v6, v1
	ds_bpermute_b32 v2, v2, v1
	s_waitcnt lgkmcnt(0)
	v_add_f32_e32 v1, v1, v2
	;; [unrolled: 3-line block ×5, first 2 shown]
	s_and_saveexec_b32 s7, vcc_lo
; %bb.913:
	ds_write_b32 v4, v1 offset:240
; %bb.914:
	s_or_b32 exec_lo, exec_lo, s7
	s_waitcnt lgkmcnt(0)
	s_barrier
	buffer_gl0_inv
	s_and_saveexec_b32 s7, s5
; %bb.915:
	ds_read_b32 v1, v10 offset:240
; %bb.916:
	s_or_b32 exec_lo, exec_lo, s7
	s_waitcnt lgkmcnt(0)
	ds_bpermute_b32 v2, v14, v1
	s_waitcnt lgkmcnt(0)
	v_add_f32_e32 v1, v1, v2
	ds_bpermute_b32 v2, v13, v1
	s_waitcnt lgkmcnt(0)
	v_add_f32_e32 v1, v1, v2
	v_mov_b32_e32 v2, 0
	ds_bpermute_b32 v1, v2, v1
	s_and_saveexec_b32 s5, s6
	s_cbranch_execz .LBB294_919
; %bb.917:
	s_waitcnt lgkmcnt(0)
	v_add_f32_e32 v2, 0x358637bd, v1
	s_getpc_b64 s[6:7]
	s_add_u32 s6, s6, llvm.amdgcn.dynlds.offset.table@rel32@lo+4
	s_addc_u32 s7, s7, llvm.amdgcn.dynlds.offset.table@rel32@hi+12
	s_ashr_i32 s17, s16, 31
	s_lshl_b64 s[18:19], s[16:17], 2
	v_div_scale_f32 v1, null, v2, v2, 1.0
	v_div_scale_f32 v5, vcc_lo, 1.0, v2, 1.0
	s_add_u32 s6, s6, s18
	v_rcp_f32_e32 v3, v1
	s_addc_u32 s7, s7, s19
	s_load_dword s6, s[6:7], 0x0
	v_fma_f32 v4, -v1, v3, 1.0
	v_fmac_f32_e32 v3, v4, v3
	v_mul_f32_e32 v4, v5, v3
	v_fma_f32 v6, -v1, v4, v5
	v_fmac_f32_e32 v4, v6, v3
	v_fma_f32 v1, -v1, v4, v5
	v_div_fmas_f32 v3, v1, v3, v4
	s_waitcnt lgkmcnt(0)
	v_lshl_add_u32 v1, v11, 2, s6
	s_mov_b32 s6, 0
	v_div_fixup_f32 v2, v3, v2, 1.0
	v_mov_b32_e32 v3, v11
.LBB294_918:                            ; =>This Inner Loop Header: Depth=1
	ds_read_b32 v4, v1
	v_add_nc_u32_e32 v3, 0x80, v3
	v_cmp_ge_i32_e32 vcc_lo, v3, v0
	s_or_b32 s6, vcc_lo, s6
	s_waitcnt lgkmcnt(0)
	v_mul_f32_e32 v4, v2, v4
	ds_write_b32 v1, v4
	v_add_nc_u32_e32 v1, 0x200, v1
	s_andn2_b32 exec_lo, exec_lo, s6
	s_cbranch_execnz .LBB294_918
.LBB294_919:
	s_or_b32 exec_lo, exec_lo, s5
	s_waitcnt lgkmcnt(0)
	s_barrier
	buffer_gl0_inv
	s_and_saveexec_b32 s5, s4
	s_xor_b32 s4, exec_lo, s5
; %bb.920:
                                        ; implicit-def: $vgpr0
                                        ; kill: killed $vgpr0
	s_ashr_i32 s17, s16, 31
                                        ; implicit-def: $vgpr0
                                        ; kill: killed $vgpr0
                                        ; implicit-def: $vgpr28
                                        ; implicit-def: $vgpr73
                                        ; implicit-def: $vgpr22_vgpr23
                                        ; implicit-def: $vgpr0
                                        ; kill: killed $vgpr0
                                        ; implicit-def: $vgpr0
                                        ; kill: killed $vgpr0
	;; [unrolled: 2-line block ×6, first 2 shown]
                                        ; implicit-def: $vgpr0_vgpr1
                                        ; kill: killed $vgpr0_vgpr1
; %bb.921:
	s_or_saveexec_b32 s5, s4
	v_mov_b32_e32 v4, s16
	v_mov_b32_e32 v36, 0
	;; [unrolled: 1-line block ×4, first 2 shown]
	v_and_b32_e32 v15, 3, v11
	v_mov_b32_e32 v39, 0
	v_mov_b32_e32 v38, 0
	;; [unrolled: 1-line block ×13, first 2 shown]
	s_xor_b32 exec_lo, exec_lo, s5
	s_cbranch_execz .LBB294_1849
; %bb.922:
	s_clause 0x1
	buffer_load_dword v2, off, s[0:3], s32 offset:320
	buffer_load_dword v3, off, s[0:3], s32 offset:300
	v_lshlrev_b32_e32 v0, 3, v44
	s_ashr_i32 s17, s16, 31
	s_getpc_b64 s[6:7]
	s_add_u32 s6, s6, llvm.amdgcn.dynlds.offset.table@rel32@lo+4
	s_addc_u32 s7, s7, llvm.amdgcn.dynlds.offset.table@rel32@hi+12
	s_lshl_b64 s[18:19], s[16:17], 2
	v_add_nc_u32_e32 v30, -1, v73
	v_and_b32_e32 v1, 24, v0
	v_and_b32_e32 v0, 0xf8, v0
	s_add_u32 s6, s6, s18
	s_addc_u32 s7, s7, s19
	v_mov_b32_e32 v49, 0x80
	v_mov_b32_e32 v50, 0x7f
	;; [unrolled: 1-line block ×18, first 2 shown]
	s_mov_b32 s13, 0
	s_waitcnt vmcnt(0)
	v_add_co_u32 v2, vcc_lo, v2, v3
	s_clause 0x2
	buffer_load_dword v3, off, s[0:3], s32 offset:316
	buffer_load_dword v4, off, s[0:3], s32 offset:304
	;; [unrolled: 1-line block ×3, first 2 shown]
	s_load_dword s4, s[6:7], 0x0
	s_mov_b32 s6, -1
	s_mov_b32 s7, 0xffffff
	s_waitcnt vmcnt(1)
	v_add_co_ci_u32_e64 v3, null, v3, v4, vcc_lo
	s_waitcnt vmcnt(0)
	v_and_b32_e32 v7, 0x7c, v5
	v_add_co_u32 v5, vcc_lo, v2, v0
	v_add_co_ci_u32_e64 v6, null, 0, v3, vcc_lo
	s_clause 0x2
	buffer_load_dword v2, off, s[0:3], s32 offset:288
	buffer_load_dword v3, off, s[0:3], s32 offset:292
	;; [unrolled: 1-line block ×3, first 2 shown]
	v_lshlrev_b32_e32 v0, 5, v15
	v_mov_b32_e32 v4, 0
	s_waitcnt vmcnt(2)
	v_add_co_u32 v2, vcc_lo, v7, v2
	buffer_load_dword v7, off, s[0:3], s32 offset:284 ; 4-byte Folded Reload
	s_waitcnt vmcnt(2)
	v_add_co_ci_u32_e64 v3, null, 0, v3, vcc_lo
	s_waitcnt vmcnt(0)
	v_add_co_u32 v7, vcc_lo, v7, v2
	buffer_load_dword v2, off, s[0:3], s32 offset:280 ; 4-byte Folded Reload
	v_lshlrev_b32_e32 v9, 5, v53
	v_lshl_or_b32 v0, v53, 7, v0
	v_or3_b32 v31, v9, v1, 7
	s_waitcnt lgkmcnt(0)
	v_add_nc_u32_e32 v48, s4, v0
	s_waitcnt vmcnt(0)
	v_add_co_ci_u32_e64 v8, null, v2, v3, vcc_lo
	s_branch .LBB294_924
.LBB294_923:                            ;   in Loop: Header=BB294_924 Depth=1
	s_or_b32 exec_lo, exec_lo, s4
	v_add_f32_e32 v0, v0, v1
	v_add_f32_e32 v1, v101, v102
	;; [unrolled: 1-line block ×8, first 2 shown]
	v_add_nc_u32_e32 v53, 4, v53
	v_add_f32_e32 v26, v26, v27
	v_add_f32_e32 v17, v17, v11
	;; [unrolled: 1-line block ×3, first 2 shown]
	;;#ASMSTART
	v_pk_mul_f16 v0, v67, v10;

	;;#ASMEND
	;;#ASMSTART
	v_pk_mul_f16 v1, v65, v2;

	;;#ASMEND
	;; [unrolled: 4-line block ×4, first 2 shown]
	;;#ASMSTART
	v_pk_add_f16 v0, v0, v1;

	;;#ASMEND
	;;#ASMSTART
	v_pk_add_f16 v0, v0, v2;

	;;#ASMEND
	;; [unrolled: 4-line block ×3, first 2 shown]
	v_and_b32_e32 v3, 0xffff, v0
	v_lshrrev_b32_e32 v9, 16, v0
	;;#ASMSTART
	v_cvt_f32_f16 v3, v3;
	;;#ASMEND
	v_add_f32_e32 v20, v20, v12
	v_add_f32_e32 v24, v24, v18
	;; [unrolled: 1-line block ×8, first 2 shown]
	;;#ASMSTART
	v_cvt_f32_f16 v9, v9;
	;;#ASMEND
	v_add_f32_e32 v3, v3, v9
	v_cmp_ge_i32_e32 vcc_lo, v53, v73
	v_add_co_u32 v7, s4, v7, 16
	v_add_f32_e32 v21, v21, v26
	v_add_f32_e32 v34, v34, v11
	;; [unrolled: 1-line block ×8, first 2 shown]
	v_add_co_ci_u32_e64 v8, null, 0, v8, s4
	v_add_nc_u32_e32 v31, 0x80, v31
	v_add_nc_u32_e32 v48, 0x200, v48
	s_or_b32 s13, vcc_lo, s13
	s_andn2_b32 exec_lo, exec_lo, s13
	s_cbranch_execz .LBB294_1848
.LBB294_924:                            ; =>This Inner Loop Header: Depth=1
	flat_load_dword v9, v[7:8]
	ds_read2_b64 v[0:3], v48 offset1:1
	ds_read2_b64 v[64:67], v48 offset0:2 offset1:3
	s_waitcnt lgkmcnt(1)
	;;#ASMSTART
	v_cvt_f16_f32 v0, v0;

	;;#ASMEND
	buffer_load_dword v10, off, s[0:3], s32 offset:200 ; 4-byte Folded Reload
	;;#ASMSTART
	v_cvt_f16_f32 v1, v1;

	;;#ASMEND
	;;#ASMSTART
	v_cvt_f16_f32 v27, v2;

	;;#ASMEND
	;; [unrolled: 4-line block ×3, first 2 shown]
	s_waitcnt lgkmcnt(0)
	;;#ASMSTART
	v_cvt_f16_f32 v29, v64;

	;;#ASMEND
	;;#ASMSTART
	v_cvt_f16_f32 v19, v65;

	;;#ASMEND
	;; [unrolled: 4-line block ×4, first 2 shown]
	v_mov_b32_e32 v65, 0
	s_waitcnt vmcnt(0)
	v_mad_i64_i32 v[9:10], null, v9, v10, v[5:6]
	flat_load_dwordx2 v[11:12], v[9:10]
	flat_load_dword v64, v[22:23]
	s_waitcnt vmcnt(1) lgkmcnt(1)
	v_cmp_ne_u16_sdwa s15, v11, v4 src0_sel:BYTE_0 src1_sel:DWORD
	s_and_saveexec_b32 s4, s15
	s_cbranch_execz .LBB294_932
; %bb.925:                              ;   in Loop: Header=BB294_924 Depth=1
	v_cmp_ne_u16_sdwa s18, v11, v49 src0_sel:BYTE_0 src1_sel:DWORD
	v_mov_b32_e32 v65, 0x8000
	s_and_saveexec_b32 s15, s18
	s_cbranch_execz .LBB294_931
; %bb.926:                              ;   in Loop: Header=BB294_924 Depth=1
	v_and_b32_e32 v54, 0x7f, v11
	v_mov_b32_e32 v65, 0x7c01
	s_mov_b32 s18, exec_lo
	v_cmpx_ne_u32_e32 0x7f, v54
	s_cbranch_execz .LBB294_930
; %bb.927:                              ;   in Loop: Header=BB294_924 Depth=1
	v_and_b32_e32 v2, 7, v11
	v_lshrrev_b32_e32 v3, 3, v54
	s_mov_b32 s19, exec_lo
	v_cmpx_gt_u32_e32 8, v54
; %bb.928:                              ;   in Loop: Header=BB294_924 Depth=1
	v_ffbh_u32_e32 v2, v2
	v_min_u32_e32 v54, 32, v2
	v_subrev_nc_u32_e32 v2, 28, v54
	v_lshlrev_b64 v[2:3], v2, v[11:12]
	v_sub_nc_u32_e32 v3, 29, v54
	v_and_b32_e32 v2, 7, v2
; %bb.929:                              ;   in Loop: Header=BB294_924 Depth=1
	s_or_b32 exec_lo, exec_lo, s19
	v_lshlrev_b32_e32 v54, 8, v11
	v_lshl_add_u32 v3, v3, 10, 0x2000
	v_lshlrev_b32_e32 v2, 7, v2
	v_and_b32_e32 v54, 0x8000, v54
	v_and_b32_e32 v3, 0xfc00, v3
	v_or3_b32 v65, v54, v3, v2
.LBB294_930:                            ;   in Loop: Header=BB294_924 Depth=1
	s_or_b32 exec_lo, exec_lo, s18
.LBB294_931:                            ;   in Loop: Header=BB294_924 Depth=1
	s_or_b32 exec_lo, exec_lo, s15
.LBB294_932:                            ;   in Loop: Header=BB294_924 Depth=1
	s_or_b32 exec_lo, exec_lo, s4
	v_lshrrev_b16 v3, 8, v11
	v_mov_b32_e32 v54, 0
	v_mov_b32_e32 v66, 0
	s_mov_b32 s4, exec_lo
	v_cmpx_ne_u16_e32 0, v3
	s_cbranch_execz .LBB294_940
; %bb.933:                              ;   in Loop: Header=BB294_924 Depth=1
	v_bfrev_b32_e32 v66, 1
	s_mov_b32 s15, exec_lo
	v_cmpx_ne_u16_e32 0x80, v3
	s_cbranch_execz .LBB294_939
; %bb.934:                              ;   in Loop: Header=BB294_924 Depth=1
	v_and_b32_sdwa v67, v3, v50 dst_sel:DWORD dst_unused:UNUSED_PAD src0_sel:WORD_0 src1_sel:DWORD
	v_mov_b32_e32 v66, 0x7c010000
	s_mov_b32 s18, exec_lo
	v_cmpx_ne_u32_e32 0x7f, v67
	s_cbranch_execz .LBB294_938
; %bb.935:                              ;   in Loop: Header=BB294_924 Depth=1
	v_and_b32_sdwa v2, v3, v51 dst_sel:DWORD dst_unused:UNUSED_PAD src0_sel:WORD_0 src1_sel:DWORD
	v_lshrrev_b32_e32 v66, 3, v67
	s_mov_b32 s19, exec_lo
	v_cmpx_gt_u32_e32 8, v67
; %bb.936:                              ;   in Loop: Header=BB294_924 Depth=1
	v_ffbh_u32_e32 v2, v2
	v_min_u32_e32 v2, 32, v2
	v_subrev_nc_u32_e32 v66, 28, v2
	v_lshlrev_b64 v[67:68], v66, v[3:4]
	v_sub_nc_u32_e32 v66, 29, v2
	v_and_b32_e32 v2, 7, v67
; %bb.937:                              ;   in Loop: Header=BB294_924 Depth=1
	s_or_b32 exec_lo, exec_lo, s19
	v_lshlrev_b32_sdwa v3, v52, v3 dst_sel:DWORD dst_unused:UNUSED_PAD src0_sel:DWORD src1_sel:WORD_0
	v_lshl_add_u32 v66, v66, 10, 0x2000
	v_lshlrev_b32_e32 v2, 23, v2
	v_and_or_b32 v3, 0x8000, v3, v66
	v_lshl_or_b32 v66, v3, 16, v2
.LBB294_938:                            ;   in Loop: Header=BB294_924 Depth=1
	s_or_b32 exec_lo, exec_lo, s18
.LBB294_939:                            ;   in Loop: Header=BB294_924 Depth=1
	s_or_b32 exec_lo, exec_lo, s15
.LBB294_940:                            ;   in Loop: Header=BB294_924 Depth=1
	s_or_b32 exec_lo, exec_lo, s4
	v_lshrrev_b32_e32 v2, 16, v11
	v_cmp_ne_u16_sdwa s15, v2, v4 src0_sel:BYTE_0 src1_sel:DWORD
	s_and_saveexec_b32 s4, s15
	s_cbranch_execz .LBB294_948
; %bb.941:                              ;   in Loop: Header=BB294_924 Depth=1
	v_cmp_ne_u16_sdwa s18, v2, v49 src0_sel:BYTE_0 src1_sel:DWORD
	v_mov_b32_e32 v54, 0x8000
	s_and_saveexec_b32 s15, s18
	s_cbranch_execz .LBB294_947
; %bb.942:                              ;   in Loop: Header=BB294_924 Depth=1
	v_bfe_u32 v67, v11, 16, 7
	v_mov_b32_e32 v54, 0x7c01
	s_mov_b32 s18, exec_lo
	v_cmpx_ne_u32_e32 0x7f, v67
	s_cbranch_execz .LBB294_946
; %bb.943:                              ;   in Loop: Header=BB294_924 Depth=1
	v_and_b32_e32 v3, 7, v2
	v_lshrrev_b32_e32 v54, 3, v67
	s_mov_b32 s19, exec_lo
	v_cmpx_gt_u32_e32 8, v67
; %bb.944:                              ;   in Loop: Header=BB294_924 Depth=1
	v_ffbh_u32_e32 v3, v3
	v_min_u32_e32 v3, 32, v3
	v_subrev_nc_u32_e32 v54, 28, v3
	v_lshlrev_b64 v[67:68], v54, v[2:3]
	v_sub_nc_u32_e32 v54, 29, v3
	v_and_b32_e32 v3, 7, v67
; %bb.945:                              ;   in Loop: Header=BB294_924 Depth=1
	s_or_b32 exec_lo, exec_lo, s19
	v_lshlrev_b32_e32 v2, 8, v2
	v_lshl_add_u32 v54, v54, 10, 0x2000
	v_lshlrev_b32_e32 v3, 7, v3
	v_and_b32_e32 v2, 0x8000, v2
	v_and_b32_e32 v54, 0xfc00, v54
	v_or3_b32 v54, v2, v54, v3
.LBB294_946:                            ;   in Loop: Header=BB294_924 Depth=1
	s_or_b32 exec_lo, exec_lo, s18
.LBB294_947:                            ;   in Loop: Header=BB294_924 Depth=1
	s_or_b32 exec_lo, exec_lo, s15
.LBB294_948:                            ;   in Loop: Header=BB294_924 Depth=1
	s_or_b32 exec_lo, exec_lo, s4
	v_mov_b32_e32 v67, 0
	v_mov_b32_e32 v68, 0
	s_mov_b32 s4, exec_lo
	v_cmpx_lt_u32_e32 0xffffff, v11
	s_cbranch_execz .LBB294_956
; %bb.949:                              ;   in Loop: Header=BB294_924 Depth=1
	v_lshrrev_b32_e32 v3, 24, v11
	v_bfrev_b32_e32 v68, 1
	s_mov_b32 s15, exec_lo
	v_cmpx_ne_u32_e32 0x80, v3
	s_cbranch_execz .LBB294_955
; %bb.950:                              ;   in Loop: Header=BB294_924 Depth=1
	v_and_b32_e32 v69, 0x7f, v3
	v_mov_b32_e32 v68, 0x7c010000
	s_mov_b32 s18, exec_lo
	v_cmpx_ne_u32_e32 0x7f, v69
	s_cbranch_execz .LBB294_954
; %bb.951:                              ;   in Loop: Header=BB294_924 Depth=1
	v_and_b32_e32 v2, 7, v3
	v_lshrrev_b32_e32 v68, 3, v69
	s_mov_b32 s19, exec_lo
	v_cmpx_gt_u32_e32 8, v69
; %bb.952:                              ;   in Loop: Header=BB294_924 Depth=1
	v_ffbh_u32_e32 v2, v2
	v_min_u32_e32 v2, 32, v2
	v_subrev_nc_u32_e32 v68, 28, v2
	v_lshlrev_b64 v[69:70], v68, v[3:4]
	v_sub_nc_u32_e32 v68, 29, v2
	v_and_b32_e32 v2, 7, v69
; %bb.953:                              ;   in Loop: Header=BB294_924 Depth=1
	s_or_b32 exec_lo, exec_lo, s19
	v_lshlrev_b32_e32 v3, 8, v3
	v_lshl_add_u32 v68, v68, 10, 0x2000
	v_lshlrev_b32_e32 v2, 23, v2
	v_and_or_b32 v3, 0x8000, v3, v68
	v_lshl_or_b32 v68, v3, 16, v2
.LBB294_954:                            ;   in Loop: Header=BB294_924 Depth=1
	s_or_b32 exec_lo, exec_lo, s18
.LBB294_955:                            ;   in Loop: Header=BB294_924 Depth=1
	s_or_b32 exec_lo, exec_lo, s15
.LBB294_956:                            ;   in Loop: Header=BB294_924 Depth=1
	s_or_b32 exec_lo, exec_lo, s4
	v_mov_b32_e32 v3, v12
	v_cmp_ne_u16_sdwa s15, v12, v4 src0_sel:BYTE_0 src1_sel:DWORD
	s_and_saveexec_b32 s4, s15
	s_cbranch_execz .LBB294_964
; %bb.957:                              ;   in Loop: Header=BB294_924 Depth=1
	v_cmp_ne_u16_sdwa s18, v12, v49 src0_sel:BYTE_0 src1_sel:DWORD
	v_mov_b32_e32 v67, 0x8000
	s_and_saveexec_b32 s15, s18
	s_cbranch_execz .LBB294_963
; %bb.958:                              ;   in Loop: Header=BB294_924 Depth=1
	v_and_b32_e32 v69, 0x7f, v12
	v_mov_b32_e32 v67, 0x7c01
	s_mov_b32 s18, exec_lo
	v_cmpx_ne_u32_e32 0x7f, v69
	s_cbranch_execz .LBB294_962
; %bb.959:                              ;   in Loop: Header=BB294_924 Depth=1
	v_and_b32_e32 v2, 7, v12
	v_lshrrev_b32_e32 v67, 3, v69
	s_mov_b32 s19, exec_lo
	v_cmpx_gt_u32_e32 8, v69
; %bb.960:                              ;   in Loop: Header=BB294_924 Depth=1
	v_ffbh_u32_e32 v2, v2
	v_min_u32_e32 v2, 32, v2
	v_subrev_nc_u32_e32 v67, 28, v2
	v_lshlrev_b64 v[69:70], v67, v[3:4]
	v_sub_nc_u32_e32 v67, 29, v2
	v_and_b32_e32 v2, 7, v69
; %bb.961:                              ;   in Loop: Header=BB294_924 Depth=1
	s_or_b32 exec_lo, exec_lo, s19
	v_lshlrev_b32_e32 v69, 8, v12
	v_lshl_add_u32 v67, v67, 10, 0x2000
	v_lshlrev_b32_e32 v2, 7, v2
	v_and_b32_e32 v69, 0x8000, v69
	v_and_b32_e32 v67, 0xfc00, v67
	v_or3_b32 v67, v69, v67, v2
.LBB294_962:                            ;   in Loop: Header=BB294_924 Depth=1
	s_or_b32 exec_lo, exec_lo, s18
.LBB294_963:                            ;   in Loop: Header=BB294_924 Depth=1
	s_or_b32 exec_lo, exec_lo, s15
.LBB294_964:                            ;   in Loop: Header=BB294_924 Depth=1
	s_or_b32 exec_lo, exec_lo, s4
	v_lshrrev_b16 v3, 8, v3
	v_mov_b32_e32 v70, 0
	v_mov_b32_e32 v69, 0
	s_mov_b32 s4, exec_lo
	v_cmpx_ne_u16_e32 0, v3
	s_cbranch_execz .LBB294_972
; %bb.965:                              ;   in Loop: Header=BB294_924 Depth=1
	v_bfrev_b32_e32 v69, 1
	s_mov_b32 s15, exec_lo
	v_cmpx_ne_u16_e32 0x80, v3
	s_cbranch_execz .LBB294_971
; %bb.966:                              ;   in Loop: Header=BB294_924 Depth=1
	v_and_b32_sdwa v71, v3, v50 dst_sel:DWORD dst_unused:UNUSED_PAD src0_sel:WORD_0 src1_sel:DWORD
	v_mov_b32_e32 v69, 0x7c010000
	s_mov_b32 s18, exec_lo
	v_cmpx_ne_u32_e32 0x7f, v71
	s_cbranch_execz .LBB294_970
; %bb.967:                              ;   in Loop: Header=BB294_924 Depth=1
	v_and_b32_sdwa v2, v3, v51 dst_sel:DWORD dst_unused:UNUSED_PAD src0_sel:WORD_0 src1_sel:DWORD
	v_lshrrev_b32_e32 v69, 3, v71
	s_mov_b32 s19, exec_lo
	v_cmpx_gt_u32_e32 8, v71
; %bb.968:                              ;   in Loop: Header=BB294_924 Depth=1
	v_ffbh_u32_e32 v2, v2
	v_min_u32_e32 v2, 32, v2
	v_subrev_nc_u32_e32 v69, 28, v2
	v_lshlrev_b64 v[80:81], v69, v[3:4]
	v_sub_nc_u32_e32 v69, 29, v2
	v_and_b32_e32 v2, 7, v80
; %bb.969:                              ;   in Loop: Header=BB294_924 Depth=1
	s_or_b32 exec_lo, exec_lo, s19
	v_lshlrev_b32_sdwa v3, v52, v3 dst_sel:DWORD dst_unused:UNUSED_PAD src0_sel:DWORD src1_sel:WORD_0
	v_lshl_add_u32 v69, v69, 10, 0x2000
	v_lshlrev_b32_e32 v2, 23, v2
	v_and_or_b32 v3, 0x8000, v3, v69
	v_lshl_or_b32 v69, v3, 16, v2
.LBB294_970:                            ;   in Loop: Header=BB294_924 Depth=1
	s_or_b32 exec_lo, exec_lo, s18
.LBB294_971:                            ;   in Loop: Header=BB294_924 Depth=1
	s_or_b32 exec_lo, exec_lo, s15
.LBB294_972:                            ;   in Loop: Header=BB294_924 Depth=1
	s_or_b32 exec_lo, exec_lo, s4
	v_lshrrev_b32_e32 v2, 16, v12
	v_cmp_ne_u16_sdwa s15, v2, v4 src0_sel:BYTE_0 src1_sel:DWORD
	s_and_saveexec_b32 s4, s15
	s_cbranch_execz .LBB294_980
; %bb.973:                              ;   in Loop: Header=BB294_924 Depth=1
	v_cmp_ne_u16_sdwa s18, v2, v49 src0_sel:BYTE_0 src1_sel:DWORD
	v_mov_b32_e32 v70, 0x8000
	s_and_saveexec_b32 s15, s18
	s_cbranch_execz .LBB294_979
; %bb.974:                              ;   in Loop: Header=BB294_924 Depth=1
	v_bfe_u32 v71, v12, 16, 7
	v_mov_b32_e32 v70, 0x7c01
	s_mov_b32 s18, exec_lo
	v_cmpx_ne_u32_e32 0x7f, v71
	s_cbranch_execz .LBB294_978
; %bb.975:                              ;   in Loop: Header=BB294_924 Depth=1
	v_and_b32_e32 v3, 7, v2
	v_lshrrev_b32_e32 v70, 3, v71
	s_mov_b32 s19, exec_lo
	v_cmpx_gt_u32_e32 8, v71
; %bb.976:                              ;   in Loop: Header=BB294_924 Depth=1
	v_ffbh_u32_e32 v3, v3
	v_min_u32_e32 v3, 32, v3
	v_subrev_nc_u32_e32 v70, 28, v3
	v_lshlrev_b64 v[80:81], v70, v[2:3]
	v_sub_nc_u32_e32 v70, 29, v3
	v_and_b32_e32 v3, 7, v80
; %bb.977:                              ;   in Loop: Header=BB294_924 Depth=1
	s_or_b32 exec_lo, exec_lo, s19
	v_lshlrev_b32_e32 v2, 8, v2
	v_lshl_add_u32 v70, v70, 10, 0x2000
	v_lshlrev_b32_e32 v3, 7, v3
	v_and_b32_e32 v2, 0x8000, v2
	v_and_b32_e32 v70, 0xfc00, v70
	v_or3_b32 v70, v2, v70, v3
.LBB294_978:                            ;   in Loop: Header=BB294_924 Depth=1
	s_or_b32 exec_lo, exec_lo, s18
.LBB294_979:                            ;   in Loop: Header=BB294_924 Depth=1
	s_or_b32 exec_lo, exec_lo, s15
.LBB294_980:                            ;   in Loop: Header=BB294_924 Depth=1
	s_or_b32 exec_lo, exec_lo, s4
	v_mov_b32_e32 v2, 0
	s_mov_b32 s4, exec_lo
	v_cmpx_lt_u64_e64 s[6:7], v[11:12]
	s_cbranch_execz .LBB294_988
; %bb.981:                              ;   in Loop: Header=BB294_924 Depth=1
	v_lshrrev_b32_e32 v3, 24, v12
	v_bfrev_b32_e32 v2, 1
	s_mov_b32 s15, exec_lo
	v_cmpx_ne_u32_e32 0x80, v3
	s_cbranch_execz .LBB294_987
; %bb.982:                              ;   in Loop: Header=BB294_924 Depth=1
	v_and_b32_e32 v12, 0x7f, v3
	v_mov_b32_e32 v2, 0x7c010000
	s_mov_b32 s18, exec_lo
	v_cmpx_ne_u32_e32 0x7f, v12
	s_cbranch_execz .LBB294_986
; %bb.983:                              ;   in Loop: Header=BB294_924 Depth=1
	v_and_b32_e32 v2, 7, v3
	v_lshrrev_b32_e32 v11, 3, v12
	s_mov_b32 s19, exec_lo
	v_cmpx_gt_u32_e32 8, v12
; %bb.984:                              ;   in Loop: Header=BB294_924 Depth=1
	v_ffbh_u32_e32 v2, v2
	v_min_u32_e32 v2, 32, v2
	v_subrev_nc_u32_e32 v11, 28, v2
	v_lshlrev_b64 v[80:81], v11, v[3:4]
	v_sub_nc_u32_e32 v11, 29, v2
	v_and_b32_e32 v2, 7, v80
; %bb.985:                              ;   in Loop: Header=BB294_924 Depth=1
	s_or_b32 exec_lo, exec_lo, s19
	v_lshlrev_b32_e32 v3, 8, v3
	v_lshl_add_u32 v11, v11, 10, 0x2000
	v_lshlrev_b32_e32 v2, 23, v2
	v_and_or_b32 v3, 0x8000, v3, v11
	v_lshl_or_b32 v2, v3, 16, v2
.LBB294_986:                            ;   in Loop: Header=BB294_924 Depth=1
	s_or_b32 exec_lo, exec_lo, s18
.LBB294_987:                            ;   in Loop: Header=BB294_924 Depth=1
	s_or_b32 exec_lo, exec_lo, s15
.LBB294_988:                            ;   in Loop: Header=BB294_924 Depth=1
	s_or_b32 exec_lo, exec_lo, s4
	v_or_b32_e32 v3, v68, v54
	s_waitcnt vmcnt(0) lgkmcnt(0)
	v_fma_mixlo_f16 v11, v64, v68, 0 op_sel:[0,1,0] op_sel_hi:[0,1,0]
	v_or_b32_e32 v12, v66, v65
	v_fma_mixlo_f16 v65, v64, v66, 0 op_sel:[0,1,0] op_sel_hi:[0,1,0]
	v_or_b32_e32 v67, v69, v67
	v_fma_mixlo_f16 v66, v64, v3, 0 op_sel_hi:[0,1,0]
	v_or_b32_e32 v68, v2, v70
	v_lshlrev_b32_e32 v3, 16, v11
	v_lshlrev_b32_e32 v83, 16, v65
	v_fma_mixlo_f16 v11, v64, v12, 0 op_sel_hi:[0,1,0]
	v_and_b32_e32 v65, 0xffff, v66
	v_fma_mixlo_f16 v12, v64, v69, 0 op_sel:[0,1,0] op_sel_hi:[0,1,0]
	v_fma_mixlo_f16 v66, v64, v67, 0 op_sel_hi:[0,1,0]
	v_fma_mixlo_f16 v2, v64, v2, 0 op_sel:[0,1,0] op_sel_hi:[0,1,0]
	v_fma_mixlo_f16 v68, v64, v68, 0 op_sel_hi:[0,1,0]
	v_and_b32_e32 v85, 0xffff, v11
	v_lshlrev_b32_e32 v67, 16, v12
	v_and_b32_e32 v84, 0xffff, v66
	v_lshlrev_b32_e32 v64, 16, v2
	v_and_b32_e32 v68, 0xffff, v68
	v_add_nc_u32_e32 v54, -7, v31
	v_cmp_eq_u32_e32 vcc_lo, v30, v53
	v_or_b32_e32 v2, v3, v65
	v_or_b32_e32 v11, v83, v85
	;; [unrolled: 1-line block ×4, first 2 shown]
	v_add_nc_u32_e32 v82, -6, v31
	v_add_nc_u32_e32 v81, -5, v31
	;; [unrolled: 1-line block ×6, first 2 shown]
	s_and_saveexec_b32 s15, vcc_lo
	s_cbranch_execz .LBB294_990
; %bb.989:                              ;   in Loop: Header=BB294_924 Depth=1
	v_cmp_lt_i32_e64 s4, v54, v28
	v_cndmask_b32_e64 v2, 0, v85, s4
	v_cmp_lt_i32_e64 s4, v82, v28
	v_cndmask_b32_e64 v11, 0, v83, s4
	v_cmp_lt_i32_e64 s4, v81, v28
	v_or_b32_e32 v11, v2, v11
	v_cndmask_b32_e64 v12, 0, v65, s4
	v_cmp_lt_i32_e64 s4, v80, v28
	v_cndmask_b32_e64 v3, 0, v3, s4
	v_cmp_lt_i32_e64 s4, v71, v28
	v_or_b32_e32 v2, v12, v3
	;; [unrolled: 5-line block ×3, first 2 shown]
	v_cndmask_b32_e64 v67, 0, v68, s4
	v_cmp_lt_i32_e64 s4, v31, v28
	v_cndmask_b32_e64 v64, 0, v64, s4
	v_or_b32_e32 v66, v67, v64
.LBB294_990:                            ;   in Loop: Header=BB294_924 Depth=1
	s_or_b32 exec_lo, exec_lo, s15
	v_and_b32_e32 v0, 0xffff, v0
	v_and_b32_e32 v3, 0xffff, v27
	;; [unrolled: 1-line block ×4, first 2 shown]
	v_lshl_or_b32 v67, v1, 16, v0
	;;#ASMSTART
	v_pk_mul_f16 v0, v67, v11;

	;;#ASMEND
	v_lshl_or_b32 v65, v18, 16, v3
	v_lshl_or_b32 v64, v19, 16, v27
	;; [unrolled: 1-line block ×3, first 2 shown]
	;;#ASMSTART
	v_pk_mul_f16 v1, v65, v2;

	;;#ASMEND
	;;#ASMSTART
	v_pk_mul_f16 v2, v64, v12;

	;;#ASMEND
	;; [unrolled: 4-line block ×3, first 2 shown]
	;;#ASMSTART
	v_pk_add_f16 v0, v0, v1;

	;;#ASMEND
	;;#ASMSTART
	v_pk_add_f16 v0, v0, v2;

	;;#ASMEND
	;; [unrolled: 4-line block ×3, first 2 shown]
	v_and_b32_e32 v1, 0xffff, v0
	v_lshrrev_b32_e32 v0, 16, v0
	;;#ASMSTART
	v_cvt_f32_f16 v66, v1;
	;;#ASMEND
	;;#ASMSTART
	v_cvt_f32_f16 v68, v0;
	;;#ASMEND
	flat_load_dwordx2 v[11:12], v[9:10] offset:256
	flat_load_dword v0, v[22:23]
	v_mov_b32_e32 v1, 0
	v_mov_b32_e32 v18, 0
	s_waitcnt vmcnt(1) lgkmcnt(1)
	v_cmp_ne_u16_sdwa s4, v11, v4 src0_sel:BYTE_0 src1_sel:DWORD
	s_and_saveexec_b32 s15, s4
	s_cbranch_execz .LBB294_998
; %bb.991:                              ;   in Loop: Header=BB294_924 Depth=1
	v_cmp_ne_u16_sdwa s4, v11, v49 src0_sel:BYTE_0 src1_sel:DWORD
	v_mov_b32_e32 v18, 0x8000
	s_and_saveexec_b32 s18, s4
	s_cbranch_execz .LBB294_997
; %bb.992:                              ;   in Loop: Header=BB294_924 Depth=1
	v_and_b32_e32 v19, 0x7f, v11
	v_mov_b32_e32 v18, 0x7c01
	s_mov_b32 s19, exec_lo
	v_cmpx_ne_u32_e32 0x7f, v19
	s_cbranch_execz .LBB294_996
; %bb.993:                              ;   in Loop: Header=BB294_924 Depth=1
	v_and_b32_e32 v2, 7, v11
	v_lshrrev_b32_e32 v3, 3, v19
	s_mov_b32 s20, exec_lo
	v_cmpx_gt_u32_e32 8, v19
; %bb.994:                              ;   in Loop: Header=BB294_924 Depth=1
	v_ffbh_u32_e32 v2, v2
	v_min_u32_e32 v18, 32, v2
	v_subrev_nc_u32_e32 v2, 28, v18
	v_lshlrev_b64 v[2:3], v2, v[11:12]
	v_sub_nc_u32_e32 v3, 29, v18
	v_and_b32_e32 v2, 7, v2
; %bb.995:                              ;   in Loop: Header=BB294_924 Depth=1
	s_or_b32 exec_lo, exec_lo, s20
	v_lshlrev_b32_e32 v18, 8, v11
	v_lshl_add_u32 v3, v3, 10, 0x2000
	v_lshlrev_b32_e32 v2, 7, v2
	v_and_b32_e32 v18, 0x8000, v18
	v_and_b32_e32 v3, 0xfc00, v3
	v_or3_b32 v18, v18, v3, v2
.LBB294_996:                            ;   in Loop: Header=BB294_924 Depth=1
	s_or_b32 exec_lo, exec_lo, s19
.LBB294_997:                            ;   in Loop: Header=BB294_924 Depth=1
	s_or_b32 exec_lo, exec_lo, s18
.LBB294_998:                            ;   in Loop: Header=BB294_924 Depth=1
	s_or_b32 exec_lo, exec_lo, s15
	v_lshrrev_b16 v3, 8, v11
	s_mov_b32 s15, exec_lo
	v_cmpx_ne_u16_e32 0, v3
	s_cbranch_execz .LBB294_1006
; %bb.999:                              ;   in Loop: Header=BB294_924 Depth=1
	v_bfrev_b32_e32 v1, 1
	s_mov_b32 s18, exec_lo
	v_cmpx_ne_u16_e32 0x80, v3
	s_cbranch_execz .LBB294_1005
; %bb.1000:                             ;   in Loop: Header=BB294_924 Depth=1
	v_and_b32_sdwa v19, v3, v50 dst_sel:DWORD dst_unused:UNUSED_PAD src0_sel:WORD_0 src1_sel:DWORD
	v_mov_b32_e32 v1, 0x7c010000
	s_mov_b32 s19, exec_lo
	v_cmpx_ne_u32_e32 0x7f, v19
	s_cbranch_execz .LBB294_1004
; %bb.1001:                             ;   in Loop: Header=BB294_924 Depth=1
	v_and_b32_sdwa v1, v3, v51 dst_sel:DWORD dst_unused:UNUSED_PAD src0_sel:WORD_0 src1_sel:DWORD
	v_lshrrev_b32_e32 v2, 3, v19
	s_mov_b32 s20, exec_lo
	v_cmpx_gt_u32_e32 8, v19
; %bb.1002:                             ;   in Loop: Header=BB294_924 Depth=1
	v_ffbh_u32_e32 v1, v1
	v_min_u32_e32 v19, 32, v1
	v_subrev_nc_u32_e32 v1, 28, v19
	v_lshlrev_b64 v[1:2], v1, v[3:4]
	v_sub_nc_u32_e32 v2, 29, v19
	v_and_b32_e32 v1, 7, v1
; %bb.1003:                             ;   in Loop: Header=BB294_924 Depth=1
	s_or_b32 exec_lo, exec_lo, s20
	v_lshlrev_b32_sdwa v3, v52, v3 dst_sel:DWORD dst_unused:UNUSED_PAD src0_sel:DWORD src1_sel:WORD_0
	v_lshl_add_u32 v2, v2, 10, 0x2000
	v_lshlrev_b32_e32 v1, 23, v1
	v_and_or_b32 v2, 0x8000, v3, v2
	v_lshl_or_b32 v1, v2, 16, v1
.LBB294_1004:                           ;   in Loop: Header=BB294_924 Depth=1
	s_or_b32 exec_lo, exec_lo, s19
.LBB294_1005:                           ;   in Loop: Header=BB294_924 Depth=1
	s_or_b32 exec_lo, exec_lo, s18
.LBB294_1006:                           ;   in Loop: Header=BB294_924 Depth=1
	s_or_b32 exec_lo, exec_lo, s15
	v_lshrrev_b32_e32 v2, 16, v11
	v_mov_b32_e32 v19, 0
	v_mov_b32_e32 v26, 0
	v_cmp_ne_u16_sdwa s4, v2, v4 src0_sel:BYTE_0 src1_sel:DWORD
	s_and_saveexec_b32 s15, s4
	s_cbranch_execz .LBB294_1014
; %bb.1007:                             ;   in Loop: Header=BB294_924 Depth=1
	v_cmp_ne_u16_sdwa s4, v2, v49 src0_sel:BYTE_0 src1_sel:DWORD
	v_mov_b32_e32 v26, 0x8000
	s_and_saveexec_b32 s18, s4
	s_cbranch_execz .LBB294_1013
; %bb.1008:                             ;   in Loop: Header=BB294_924 Depth=1
	v_bfe_u32 v27, v11, 16, 7
	v_mov_b32_e32 v26, 0x7c01
	s_mov_b32 s19, exec_lo
	v_cmpx_ne_u32_e32 0x7f, v27
	s_cbranch_execz .LBB294_1012
; %bb.1009:                             ;   in Loop: Header=BB294_924 Depth=1
	v_and_b32_e32 v3, 7, v2
	v_lshrrev_b32_e32 v26, 3, v27
	s_mov_b32 s20, exec_lo
	v_cmpx_gt_u32_e32 8, v27
; %bb.1010:                             ;   in Loop: Header=BB294_924 Depth=1
	v_ffbh_u32_e32 v3, v3
	v_min_u32_e32 v3, 32, v3
	v_subrev_nc_u32_e32 v26, 28, v3
	v_lshlrev_b64 v[83:84], v26, v[2:3]
	v_sub_nc_u32_e32 v26, 29, v3
	v_and_b32_e32 v3, 7, v83
; %bb.1011:                             ;   in Loop: Header=BB294_924 Depth=1
	s_or_b32 exec_lo, exec_lo, s20
	v_lshlrev_b32_e32 v2, 8, v2
	v_lshl_add_u32 v26, v26, 10, 0x2000
	v_lshlrev_b32_e32 v3, 7, v3
	v_and_b32_e32 v2, 0x8000, v2
	v_and_b32_e32 v26, 0xfc00, v26
	v_or3_b32 v26, v2, v26, v3
.LBB294_1012:                           ;   in Loop: Header=BB294_924 Depth=1
	s_or_b32 exec_lo, exec_lo, s19
.LBB294_1013:                           ;   in Loop: Header=BB294_924 Depth=1
	s_or_b32 exec_lo, exec_lo, s18
.LBB294_1014:                           ;   in Loop: Header=BB294_924 Depth=1
	s_or_b32 exec_lo, exec_lo, s15
	s_mov_b32 s15, exec_lo
	v_cmpx_lt_u32_e32 0xffffff, v11
	s_cbranch_execz .LBB294_1022
; %bb.1015:                             ;   in Loop: Header=BB294_924 Depth=1
	v_lshrrev_b32_e32 v3, 24, v11
	v_bfrev_b32_e32 v19, 1
	s_mov_b32 s18, exec_lo
	v_cmpx_ne_u32_e32 0x80, v3
	s_cbranch_execz .LBB294_1021
; %bb.1016:                             ;   in Loop: Header=BB294_924 Depth=1
	v_and_b32_e32 v27, 0x7f, v3
	v_mov_b32_e32 v19, 0x7c010000
	s_mov_b32 s19, exec_lo
	v_cmpx_ne_u32_e32 0x7f, v27
	s_cbranch_execz .LBB294_1020
; %bb.1017:                             ;   in Loop: Header=BB294_924 Depth=1
	v_and_b32_e32 v2, 7, v3
	v_lshrrev_b32_e32 v19, 3, v27
	s_mov_b32 s20, exec_lo
	v_cmpx_gt_u32_e32 8, v27
; %bb.1018:                             ;   in Loop: Header=BB294_924 Depth=1
	v_ffbh_u32_e32 v2, v2
	v_min_u32_e32 v2, 32, v2
	v_subrev_nc_u32_e32 v19, 28, v2
	v_lshlrev_b64 v[83:84], v19, v[3:4]
	v_sub_nc_u32_e32 v19, 29, v2
	v_and_b32_e32 v2, 7, v83
; %bb.1019:                             ;   in Loop: Header=BB294_924 Depth=1
	s_or_b32 exec_lo, exec_lo, s20
	v_lshlrev_b32_e32 v3, 8, v3
	v_lshl_add_u32 v19, v19, 10, 0x2000
	v_lshlrev_b32_e32 v2, 23, v2
	v_and_or_b32 v3, 0x8000, v3, v19
	v_lshl_or_b32 v19, v3, 16, v2
.LBB294_1020:                           ;   in Loop: Header=BB294_924 Depth=1
	s_or_b32 exec_lo, exec_lo, s19
.LBB294_1021:                           ;   in Loop: Header=BB294_924 Depth=1
	s_or_b32 exec_lo, exec_lo, s18
.LBB294_1022:                           ;   in Loop: Header=BB294_924 Depth=1
	s_or_b32 exec_lo, exec_lo, s15
	v_mov_b32_e32 v3, v12
	v_cmp_ne_u16_sdwa s4, v12, v4 src0_sel:BYTE_0 src1_sel:DWORD
	v_mov_b32_e32 v27, 0
	v_mov_b32_e32 v29, 0
	s_and_saveexec_b32 s15, s4
	s_cbranch_execz .LBB294_1030
; %bb.1023:                             ;   in Loop: Header=BB294_924 Depth=1
	v_cmp_ne_u16_sdwa s4, v12, v49 src0_sel:BYTE_0 src1_sel:DWORD
	v_mov_b32_e32 v29, 0x8000
	s_and_saveexec_b32 s18, s4
	s_cbranch_execz .LBB294_1029
; %bb.1024:                             ;   in Loop: Header=BB294_924 Depth=1
	v_and_b32_e32 v83, 0x7f, v12
	v_mov_b32_e32 v29, 0x7c01
	s_mov_b32 s19, exec_lo
	v_cmpx_ne_u32_e32 0x7f, v83
	s_cbranch_execz .LBB294_1028
; %bb.1025:                             ;   in Loop: Header=BB294_924 Depth=1
	v_and_b32_e32 v2, 7, v12
	v_lshrrev_b32_e32 v29, 3, v83
	s_mov_b32 s20, exec_lo
	v_cmpx_gt_u32_e32 8, v83
; %bb.1026:                             ;   in Loop: Header=BB294_924 Depth=1
	v_ffbh_u32_e32 v2, v2
	v_min_u32_e32 v2, 32, v2
	v_subrev_nc_u32_e32 v29, 28, v2
	v_lshlrev_b64 v[83:84], v29, v[3:4]
	v_sub_nc_u32_e32 v29, 29, v2
	v_and_b32_e32 v2, 7, v83
; %bb.1027:                             ;   in Loop: Header=BB294_924 Depth=1
	s_or_b32 exec_lo, exec_lo, s20
	v_lshlrev_b32_e32 v83, 8, v12
	v_lshl_add_u32 v29, v29, 10, 0x2000
	v_lshlrev_b32_e32 v2, 7, v2
	v_and_b32_e32 v83, 0x8000, v83
	v_and_b32_e32 v29, 0xfc00, v29
	v_or3_b32 v29, v83, v29, v2
.LBB294_1028:                           ;   in Loop: Header=BB294_924 Depth=1
	s_or_b32 exec_lo, exec_lo, s19
.LBB294_1029:                           ;   in Loop: Header=BB294_924 Depth=1
	s_or_b32 exec_lo, exec_lo, s18
.LBB294_1030:                           ;   in Loop: Header=BB294_924 Depth=1
	s_or_b32 exec_lo, exec_lo, s15
	v_lshrrev_b16 v3, 8, v3
	v_mov_b32_e32 v83, 0
	s_mov_b32 s15, exec_lo
	v_cmpx_ne_u16_e32 0, v3
	s_cbranch_execz .LBB294_1038
; %bb.1031:                             ;   in Loop: Header=BB294_924 Depth=1
	v_bfrev_b32_e32 v83, 1
	s_mov_b32 s18, exec_lo
	v_cmpx_ne_u16_e32 0x80, v3
	s_cbranch_execz .LBB294_1037
; %bb.1032:                             ;   in Loop: Header=BB294_924 Depth=1
	v_and_b32_sdwa v84, v3, v50 dst_sel:DWORD dst_unused:UNUSED_PAD src0_sel:WORD_0 src1_sel:DWORD
	v_mov_b32_e32 v83, 0x7c010000
	s_mov_b32 s19, exec_lo
	v_cmpx_ne_u32_e32 0x7f, v84
	s_cbranch_execz .LBB294_1036
; %bb.1033:                             ;   in Loop: Header=BB294_924 Depth=1
	v_and_b32_sdwa v2, v3, v51 dst_sel:DWORD dst_unused:UNUSED_PAD src0_sel:WORD_0 src1_sel:DWORD
	v_lshrrev_b32_e32 v83, 3, v84
	s_mov_b32 s20, exec_lo
	v_cmpx_gt_u32_e32 8, v84
; %bb.1034:                             ;   in Loop: Header=BB294_924 Depth=1
	v_ffbh_u32_e32 v2, v2
	v_min_u32_e32 v2, 32, v2
	v_subrev_nc_u32_e32 v83, 28, v2
	v_lshlrev_b64 v[84:85], v83, v[3:4]
	v_sub_nc_u32_e32 v83, 29, v2
	v_and_b32_e32 v2, 7, v84
; %bb.1035:                             ;   in Loop: Header=BB294_924 Depth=1
	s_or_b32 exec_lo, exec_lo, s20
	v_lshlrev_b32_sdwa v3, v52, v3 dst_sel:DWORD dst_unused:UNUSED_PAD src0_sel:DWORD src1_sel:WORD_0
	v_lshl_add_u32 v83, v83, 10, 0x2000
	v_lshlrev_b32_e32 v2, 23, v2
	v_and_or_b32 v3, 0x8000, v3, v83
	v_lshl_or_b32 v83, v3, 16, v2
.LBB294_1036:                           ;   in Loop: Header=BB294_924 Depth=1
	s_or_b32 exec_lo, exec_lo, s19
.LBB294_1037:                           ;   in Loop: Header=BB294_924 Depth=1
	s_or_b32 exec_lo, exec_lo, s18
.LBB294_1038:                           ;   in Loop: Header=BB294_924 Depth=1
	s_or_b32 exec_lo, exec_lo, s15
	v_lshrrev_b32_e32 v2, 16, v12
	v_cmp_ne_u16_sdwa s4, v2, v4 src0_sel:BYTE_0 src1_sel:DWORD
	s_and_saveexec_b32 s15, s4
	s_cbranch_execz .LBB294_1046
; %bb.1039:                             ;   in Loop: Header=BB294_924 Depth=1
	v_cmp_ne_u16_sdwa s4, v2, v49 src0_sel:BYTE_0 src1_sel:DWORD
	v_mov_b32_e32 v27, 0x8000
	s_and_saveexec_b32 s18, s4
	s_cbranch_execz .LBB294_1045
; %bb.1040:                             ;   in Loop: Header=BB294_924 Depth=1
	v_bfe_u32 v84, v12, 16, 7
	v_mov_b32_e32 v27, 0x7c01
	s_mov_b32 s19, exec_lo
	v_cmpx_ne_u32_e32 0x7f, v84
	s_cbranch_execz .LBB294_1044
; %bb.1041:                             ;   in Loop: Header=BB294_924 Depth=1
	v_and_b32_e32 v3, 7, v2
	v_lshrrev_b32_e32 v27, 3, v84
	s_mov_b32 s20, exec_lo
	v_cmpx_gt_u32_e32 8, v84
; %bb.1042:                             ;   in Loop: Header=BB294_924 Depth=1
	v_ffbh_u32_e32 v3, v3
	v_min_u32_e32 v3, 32, v3
	v_subrev_nc_u32_e32 v27, 28, v3
	v_lshlrev_b64 v[84:85], v27, v[2:3]
	v_sub_nc_u32_e32 v27, 29, v3
	v_and_b32_e32 v3, 7, v84
; %bb.1043:                             ;   in Loop: Header=BB294_924 Depth=1
	s_or_b32 exec_lo, exec_lo, s20
	v_lshlrev_b32_e32 v2, 8, v2
	v_lshl_add_u32 v27, v27, 10, 0x2000
	v_lshlrev_b32_e32 v3, 7, v3
	v_and_b32_e32 v2, 0x8000, v2
	v_and_b32_e32 v27, 0xfc00, v27
	v_or3_b32 v27, v2, v27, v3
.LBB294_1044:                           ;   in Loop: Header=BB294_924 Depth=1
	s_or_b32 exec_lo, exec_lo, s19
.LBB294_1045:                           ;   in Loop: Header=BB294_924 Depth=1
	s_or_b32 exec_lo, exec_lo, s18
.LBB294_1046:                           ;   in Loop: Header=BB294_924 Depth=1
	s_or_b32 exec_lo, exec_lo, s15
	v_mov_b32_e32 v2, 0
	s_mov_b32 s15, exec_lo
	v_cmpx_lt_u64_e64 s[6:7], v[11:12]
	s_cbranch_execz .LBB294_1054
; %bb.1047:                             ;   in Loop: Header=BB294_924 Depth=1
	v_lshrrev_b32_e32 v3, 24, v12
	v_bfrev_b32_e32 v2, 1
	s_mov_b32 s18, exec_lo
	v_cmpx_ne_u32_e32 0x80, v3
	s_cbranch_execz .LBB294_1053
; %bb.1048:                             ;   in Loop: Header=BB294_924 Depth=1
	v_and_b32_e32 v12, 0x7f, v3
	v_mov_b32_e32 v2, 0x7c010000
	s_mov_b32 s19, exec_lo
	v_cmpx_ne_u32_e32 0x7f, v12
	s_cbranch_execz .LBB294_1052
; %bb.1049:                             ;   in Loop: Header=BB294_924 Depth=1
	v_and_b32_e32 v2, 7, v3
	v_lshrrev_b32_e32 v11, 3, v12
	s_mov_b32 s20, exec_lo
	v_cmpx_gt_u32_e32 8, v12
; %bb.1050:                             ;   in Loop: Header=BB294_924 Depth=1
	v_ffbh_u32_e32 v2, v2
	v_min_u32_e32 v2, 32, v2
	v_subrev_nc_u32_e32 v11, 28, v2
	v_lshlrev_b64 v[84:85], v11, v[3:4]
	v_sub_nc_u32_e32 v11, 29, v2
	v_and_b32_e32 v2, 7, v84
; %bb.1051:                             ;   in Loop: Header=BB294_924 Depth=1
	s_or_b32 exec_lo, exec_lo, s20
	v_lshlrev_b32_e32 v3, 8, v3
	v_lshl_add_u32 v11, v11, 10, 0x2000
	v_lshlrev_b32_e32 v2, 23, v2
	v_and_or_b32 v3, 0x8000, v3, v11
	v_lshl_or_b32 v2, v3, 16, v2
.LBB294_1052:                           ;   in Loop: Header=BB294_924 Depth=1
	s_or_b32 exec_lo, exec_lo, s19
.LBB294_1053:                           ;   in Loop: Header=BB294_924 Depth=1
	s_or_b32 exec_lo, exec_lo, s18
.LBB294_1054:                           ;   in Loop: Header=BB294_924 Depth=1
	s_or_b32 exec_lo, exec_lo, s15
	v_or_b32_e32 v3, v19, v26
	s_waitcnt vmcnt(0) lgkmcnt(0)
	v_fma_mixlo_f16 v11, v0, v19, 0 op_sel:[0,1,0] op_sel_hi:[0,1,0]
	v_or_b32_e32 v18, v1, v18
	v_or_b32_e32 v19, v83, v29
	;; [unrolled: 1-line block ×3, first 2 shown]
	v_fma_mixlo_f16 v12, v0, v1, 0 op_sel:[0,1,0] op_sel_hi:[0,1,0]
	v_fma_mixlo_f16 v3, v0, v3, 0 op_sel_hi:[0,1,0]
	v_lshlrev_b32_e32 v1, 16, v11
	v_fma_mixlo_f16 v11, v0, v18, 0 op_sel_hi:[0,1,0]
	v_fma_mixlo_f16 v18, v0, v83, 0 op_sel:[0,1,0] op_sel_hi:[0,1,0]
	v_fma_mixlo_f16 v19, v0, v19, 0 op_sel_hi:[0,1,0]
	v_fma_mixlo_f16 v27, v0, v2, 0 op_sel:[0,1,0] op_sel_hi:[0,1,0]
	v_fma_mixlo_f16 v26, v0, v26, 0 op_sel_hi:[0,1,0]
	v_lshlrev_b32_e32 v12, 16, v12
	v_and_b32_e32 v3, 0xffff, v3
	v_and_b32_e32 v83, 0xffff, v11
	v_lshlrev_b32_e32 v2, 16, v18
	v_and_b32_e32 v19, 0xffff, v19
	v_lshlrev_b32_e32 v0, 16, v27
	v_and_b32_e32 v11, 0xffff, v26
	v_or_b32_e32 v18, v1, v3
	v_or_b32_e32 v29, v12, v83
	;; [unrolled: 1-line block ×4, first 2 shown]
	s_and_saveexec_b32 s15, vcc_lo
	s_cbranch_execz .LBB294_1056
; %bb.1055:                             ;   in Loop: Header=BB294_924 Depth=1
	v_cmp_lt_i32_e64 s4, v54, v28
	v_cndmask_b32_e64 v18, 0, v83, s4
	v_cmp_lt_i32_e64 s4, v82, v28
	v_cndmask_b32_e64 v12, 0, v12, s4
	v_cmp_lt_i32_e64 s4, v81, v28
	v_or_b32_e32 v29, v18, v12
	v_cndmask_b32_e64 v3, 0, v3, s4
	v_cmp_lt_i32_e64 s4, v80, v28
	v_cndmask_b32_e64 v1, 0, v1, s4
	v_cmp_lt_i32_e64 s4, v71, v28
	v_or_b32_e32 v18, v3, v1
	;; [unrolled: 5-line block ×3, first 2 shown]
	v_cndmask_b32_e64 v11, 0, v11, s4
	v_cmp_lt_i32_e64 s4, v31, v28
	v_cndmask_b32_e64 v0, 0, v0, s4
	v_or_b32_e32 v26, v11, v0
.LBB294_1056:                           ;   in Loop: Header=BB294_924 Depth=1
	s_or_b32 exec_lo, exec_lo, s15
	;;#ASMSTART
	v_pk_mul_f16 v0, v67, v29;

	;;#ASMEND
	;;#ASMSTART
	v_pk_mul_f16 v1, v65, v18;

	;;#ASMEND
	;;#ASMSTART
	v_pk_mul_f16 v2, v64, v27;

	;;#ASMEND
	;;#ASMSTART
	v_pk_mul_f16 v3, v55, v26;

	;;#ASMEND
	;;#ASMSTART
	v_pk_add_f16 v0, v0, v1;

	;;#ASMEND
	;;#ASMSTART
	v_pk_add_f16 v0, v0, v2;

	;;#ASMEND
	;; [unrolled: 4-line block ×3, first 2 shown]
	v_and_b32_e32 v1, 0xffff, v0
	v_lshrrev_b32_e32 v0, 16, v0
	;;#ASMSTART
	v_cvt_f32_f16 v83, v1;
	;;#ASMEND
	;;#ASMSTART
	v_cvt_f32_f16 v84, v0;
	;;#ASMEND
	flat_load_dwordx2 v[11:12], v[9:10] offset:512
	flat_load_dword v0, v[22:23]
	v_mov_b32_e32 v1, 0
	v_mov_b32_e32 v18, 0
	s_waitcnt vmcnt(1) lgkmcnt(1)
	v_cmp_ne_u16_sdwa s4, v11, v4 src0_sel:BYTE_0 src1_sel:DWORD
	s_and_saveexec_b32 s15, s4
	s_cbranch_execz .LBB294_1064
; %bb.1057:                             ;   in Loop: Header=BB294_924 Depth=1
	v_cmp_ne_u16_sdwa s4, v11, v49 src0_sel:BYTE_0 src1_sel:DWORD
	v_mov_b32_e32 v18, 0x8000
	s_and_saveexec_b32 s18, s4
	s_cbranch_execz .LBB294_1063
; %bb.1058:                             ;   in Loop: Header=BB294_924 Depth=1
	v_and_b32_e32 v19, 0x7f, v11
	v_mov_b32_e32 v18, 0x7c01
	s_mov_b32 s19, exec_lo
	v_cmpx_ne_u32_e32 0x7f, v19
	s_cbranch_execz .LBB294_1062
; %bb.1059:                             ;   in Loop: Header=BB294_924 Depth=1
	v_and_b32_e32 v2, 7, v11
	v_lshrrev_b32_e32 v3, 3, v19
	s_mov_b32 s20, exec_lo
	v_cmpx_gt_u32_e32 8, v19
; %bb.1060:                             ;   in Loop: Header=BB294_924 Depth=1
	v_ffbh_u32_e32 v2, v2
	v_min_u32_e32 v18, 32, v2
	v_subrev_nc_u32_e32 v2, 28, v18
	v_lshlrev_b64 v[2:3], v2, v[11:12]
	v_sub_nc_u32_e32 v3, 29, v18
	v_and_b32_e32 v2, 7, v2
; %bb.1061:                             ;   in Loop: Header=BB294_924 Depth=1
	s_or_b32 exec_lo, exec_lo, s20
	v_lshlrev_b32_e32 v18, 8, v11
	v_lshl_add_u32 v3, v3, 10, 0x2000
	v_lshlrev_b32_e32 v2, 7, v2
	v_and_b32_e32 v18, 0x8000, v18
	v_and_b32_e32 v3, 0xfc00, v3
	v_or3_b32 v18, v18, v3, v2
.LBB294_1062:                           ;   in Loop: Header=BB294_924 Depth=1
	s_or_b32 exec_lo, exec_lo, s19
.LBB294_1063:                           ;   in Loop: Header=BB294_924 Depth=1
	s_or_b32 exec_lo, exec_lo, s18
.LBB294_1064:                           ;   in Loop: Header=BB294_924 Depth=1
	s_or_b32 exec_lo, exec_lo, s15
	v_lshrrev_b16 v3, 8, v11
	s_mov_b32 s15, exec_lo
	v_cmpx_ne_u16_e32 0, v3
	s_cbranch_execz .LBB294_1072
; %bb.1065:                             ;   in Loop: Header=BB294_924 Depth=1
	v_bfrev_b32_e32 v1, 1
	s_mov_b32 s18, exec_lo
	v_cmpx_ne_u16_e32 0x80, v3
	s_cbranch_execz .LBB294_1071
; %bb.1066:                             ;   in Loop: Header=BB294_924 Depth=1
	v_and_b32_sdwa v19, v3, v50 dst_sel:DWORD dst_unused:UNUSED_PAD src0_sel:WORD_0 src1_sel:DWORD
	v_mov_b32_e32 v1, 0x7c010000
	s_mov_b32 s19, exec_lo
	v_cmpx_ne_u32_e32 0x7f, v19
	s_cbranch_execz .LBB294_1070
; %bb.1067:                             ;   in Loop: Header=BB294_924 Depth=1
	v_and_b32_sdwa v1, v3, v51 dst_sel:DWORD dst_unused:UNUSED_PAD src0_sel:WORD_0 src1_sel:DWORD
	v_lshrrev_b32_e32 v2, 3, v19
	s_mov_b32 s20, exec_lo
	v_cmpx_gt_u32_e32 8, v19
; %bb.1068:                             ;   in Loop: Header=BB294_924 Depth=1
	v_ffbh_u32_e32 v1, v1
	v_min_u32_e32 v19, 32, v1
	v_subrev_nc_u32_e32 v1, 28, v19
	v_lshlrev_b64 v[1:2], v1, v[3:4]
	v_sub_nc_u32_e32 v2, 29, v19
	v_and_b32_e32 v1, 7, v1
; %bb.1069:                             ;   in Loop: Header=BB294_924 Depth=1
	s_or_b32 exec_lo, exec_lo, s20
	v_lshlrev_b32_sdwa v3, v52, v3 dst_sel:DWORD dst_unused:UNUSED_PAD src0_sel:DWORD src1_sel:WORD_0
	v_lshl_add_u32 v2, v2, 10, 0x2000
	v_lshlrev_b32_e32 v1, 23, v1
	v_and_or_b32 v2, 0x8000, v3, v2
	v_lshl_or_b32 v1, v2, 16, v1
.LBB294_1070:                           ;   in Loop: Header=BB294_924 Depth=1
	s_or_b32 exec_lo, exec_lo, s19
.LBB294_1071:                           ;   in Loop: Header=BB294_924 Depth=1
	s_or_b32 exec_lo, exec_lo, s18
.LBB294_1072:                           ;   in Loop: Header=BB294_924 Depth=1
	s_or_b32 exec_lo, exec_lo, s15
	v_lshrrev_b32_e32 v2, 16, v11
	v_mov_b32_e32 v19, 0
	v_mov_b32_e32 v26, 0
	v_cmp_ne_u16_sdwa s4, v2, v4 src0_sel:BYTE_0 src1_sel:DWORD
	s_and_saveexec_b32 s15, s4
	s_cbranch_execz .LBB294_1080
; %bb.1073:                             ;   in Loop: Header=BB294_924 Depth=1
	v_cmp_ne_u16_sdwa s4, v2, v49 src0_sel:BYTE_0 src1_sel:DWORD
	v_mov_b32_e32 v26, 0x8000
	s_and_saveexec_b32 s18, s4
	s_cbranch_execz .LBB294_1079
; %bb.1074:                             ;   in Loop: Header=BB294_924 Depth=1
	v_bfe_u32 v27, v11, 16, 7
	v_mov_b32_e32 v26, 0x7c01
	s_mov_b32 s19, exec_lo
	v_cmpx_ne_u32_e32 0x7f, v27
	s_cbranch_execz .LBB294_1078
; %bb.1075:                             ;   in Loop: Header=BB294_924 Depth=1
	v_and_b32_e32 v3, 7, v2
	v_lshrrev_b32_e32 v26, 3, v27
	s_mov_b32 s20, exec_lo
	v_cmpx_gt_u32_e32 8, v27
; %bb.1076:                             ;   in Loop: Header=BB294_924 Depth=1
	v_ffbh_u32_e32 v3, v3
	v_min_u32_e32 v3, 32, v3
	v_subrev_nc_u32_e32 v26, 28, v3
	v_lshlrev_b64 v[85:86], v26, v[2:3]
	v_sub_nc_u32_e32 v26, 29, v3
	v_and_b32_e32 v3, 7, v85
; %bb.1077:                             ;   in Loop: Header=BB294_924 Depth=1
	s_or_b32 exec_lo, exec_lo, s20
	v_lshlrev_b32_e32 v2, 8, v2
	v_lshl_add_u32 v26, v26, 10, 0x2000
	v_lshlrev_b32_e32 v3, 7, v3
	v_and_b32_e32 v2, 0x8000, v2
	v_and_b32_e32 v26, 0xfc00, v26
	v_or3_b32 v26, v2, v26, v3
.LBB294_1078:                           ;   in Loop: Header=BB294_924 Depth=1
	s_or_b32 exec_lo, exec_lo, s19
.LBB294_1079:                           ;   in Loop: Header=BB294_924 Depth=1
	s_or_b32 exec_lo, exec_lo, s18
.LBB294_1080:                           ;   in Loop: Header=BB294_924 Depth=1
	s_or_b32 exec_lo, exec_lo, s15
	s_mov_b32 s15, exec_lo
	v_cmpx_lt_u32_e32 0xffffff, v11
	s_cbranch_execz .LBB294_1088
; %bb.1081:                             ;   in Loop: Header=BB294_924 Depth=1
	v_lshrrev_b32_e32 v3, 24, v11
	v_bfrev_b32_e32 v19, 1
	s_mov_b32 s18, exec_lo
	v_cmpx_ne_u32_e32 0x80, v3
	s_cbranch_execz .LBB294_1087
; %bb.1082:                             ;   in Loop: Header=BB294_924 Depth=1
	v_and_b32_e32 v27, 0x7f, v3
	v_mov_b32_e32 v19, 0x7c010000
	s_mov_b32 s19, exec_lo
	v_cmpx_ne_u32_e32 0x7f, v27
	s_cbranch_execz .LBB294_1086
; %bb.1083:                             ;   in Loop: Header=BB294_924 Depth=1
	v_and_b32_e32 v2, 7, v3
	v_lshrrev_b32_e32 v19, 3, v27
	s_mov_b32 s20, exec_lo
	v_cmpx_gt_u32_e32 8, v27
; %bb.1084:                             ;   in Loop: Header=BB294_924 Depth=1
	v_ffbh_u32_e32 v2, v2
	v_min_u32_e32 v2, 32, v2
	v_subrev_nc_u32_e32 v19, 28, v2
	v_lshlrev_b64 v[85:86], v19, v[3:4]
	v_sub_nc_u32_e32 v19, 29, v2
	v_and_b32_e32 v2, 7, v85
; %bb.1085:                             ;   in Loop: Header=BB294_924 Depth=1
	s_or_b32 exec_lo, exec_lo, s20
	v_lshlrev_b32_e32 v3, 8, v3
	v_lshl_add_u32 v19, v19, 10, 0x2000
	v_lshlrev_b32_e32 v2, 23, v2
	v_and_or_b32 v3, 0x8000, v3, v19
	v_lshl_or_b32 v19, v3, 16, v2
.LBB294_1086:                           ;   in Loop: Header=BB294_924 Depth=1
	s_or_b32 exec_lo, exec_lo, s19
.LBB294_1087:                           ;   in Loop: Header=BB294_924 Depth=1
	s_or_b32 exec_lo, exec_lo, s18
.LBB294_1088:                           ;   in Loop: Header=BB294_924 Depth=1
	s_or_b32 exec_lo, exec_lo, s15
	v_mov_b32_e32 v3, v12
	v_cmp_ne_u16_sdwa s4, v12, v4 src0_sel:BYTE_0 src1_sel:DWORD
	v_mov_b32_e32 v27, 0
	v_mov_b32_e32 v29, 0
	s_and_saveexec_b32 s15, s4
	s_cbranch_execz .LBB294_1096
; %bb.1089:                             ;   in Loop: Header=BB294_924 Depth=1
	v_cmp_ne_u16_sdwa s4, v12, v49 src0_sel:BYTE_0 src1_sel:DWORD
	v_mov_b32_e32 v29, 0x8000
	s_and_saveexec_b32 s18, s4
	s_cbranch_execz .LBB294_1095
; %bb.1090:                             ;   in Loop: Header=BB294_924 Depth=1
	v_and_b32_e32 v85, 0x7f, v12
	v_mov_b32_e32 v29, 0x7c01
	s_mov_b32 s19, exec_lo
	v_cmpx_ne_u32_e32 0x7f, v85
	s_cbranch_execz .LBB294_1094
; %bb.1091:                             ;   in Loop: Header=BB294_924 Depth=1
	v_and_b32_e32 v2, 7, v12
	v_lshrrev_b32_e32 v29, 3, v85
	s_mov_b32 s20, exec_lo
	v_cmpx_gt_u32_e32 8, v85
; %bb.1092:                             ;   in Loop: Header=BB294_924 Depth=1
	v_ffbh_u32_e32 v2, v2
	v_min_u32_e32 v2, 32, v2
	v_subrev_nc_u32_e32 v29, 28, v2
	v_lshlrev_b64 v[85:86], v29, v[3:4]
	v_sub_nc_u32_e32 v29, 29, v2
	v_and_b32_e32 v2, 7, v85
; %bb.1093:                             ;   in Loop: Header=BB294_924 Depth=1
	s_or_b32 exec_lo, exec_lo, s20
	v_lshlrev_b32_e32 v85, 8, v12
	v_lshl_add_u32 v29, v29, 10, 0x2000
	v_lshlrev_b32_e32 v2, 7, v2
	v_and_b32_e32 v85, 0x8000, v85
	v_and_b32_e32 v29, 0xfc00, v29
	v_or3_b32 v29, v85, v29, v2
.LBB294_1094:                           ;   in Loop: Header=BB294_924 Depth=1
	s_or_b32 exec_lo, exec_lo, s19
.LBB294_1095:                           ;   in Loop: Header=BB294_924 Depth=1
	s_or_b32 exec_lo, exec_lo, s18
.LBB294_1096:                           ;   in Loop: Header=BB294_924 Depth=1
	s_or_b32 exec_lo, exec_lo, s15
	v_lshrrev_b16 v3, 8, v3
	v_mov_b32_e32 v85, 0
	s_mov_b32 s15, exec_lo
	v_cmpx_ne_u16_e32 0, v3
	s_cbranch_execz .LBB294_1104
; %bb.1097:                             ;   in Loop: Header=BB294_924 Depth=1
	v_bfrev_b32_e32 v85, 1
	s_mov_b32 s18, exec_lo
	v_cmpx_ne_u16_e32 0x80, v3
	s_cbranch_execz .LBB294_1103
; %bb.1098:                             ;   in Loop: Header=BB294_924 Depth=1
	v_and_b32_sdwa v86, v3, v50 dst_sel:DWORD dst_unused:UNUSED_PAD src0_sel:WORD_0 src1_sel:DWORD
	v_mov_b32_e32 v85, 0x7c010000
	s_mov_b32 s19, exec_lo
	v_cmpx_ne_u32_e32 0x7f, v86
	s_cbranch_execz .LBB294_1102
; %bb.1099:                             ;   in Loop: Header=BB294_924 Depth=1
	v_and_b32_sdwa v2, v3, v51 dst_sel:DWORD dst_unused:UNUSED_PAD src0_sel:WORD_0 src1_sel:DWORD
	v_lshrrev_b32_e32 v85, 3, v86
	s_mov_b32 s20, exec_lo
	v_cmpx_gt_u32_e32 8, v86
; %bb.1100:                             ;   in Loop: Header=BB294_924 Depth=1
	v_ffbh_u32_e32 v2, v2
	v_min_u32_e32 v2, 32, v2
	v_subrev_nc_u32_e32 v85, 28, v2
	v_lshlrev_b64 v[86:87], v85, v[3:4]
	v_sub_nc_u32_e32 v85, 29, v2
	v_and_b32_e32 v2, 7, v86
; %bb.1101:                             ;   in Loop: Header=BB294_924 Depth=1
	s_or_b32 exec_lo, exec_lo, s20
	v_lshlrev_b32_sdwa v3, v52, v3 dst_sel:DWORD dst_unused:UNUSED_PAD src0_sel:DWORD src1_sel:WORD_0
	v_lshl_add_u32 v85, v85, 10, 0x2000
	v_lshlrev_b32_e32 v2, 23, v2
	v_and_or_b32 v3, 0x8000, v3, v85
	v_lshl_or_b32 v85, v3, 16, v2
.LBB294_1102:                           ;   in Loop: Header=BB294_924 Depth=1
	s_or_b32 exec_lo, exec_lo, s19
.LBB294_1103:                           ;   in Loop: Header=BB294_924 Depth=1
	s_or_b32 exec_lo, exec_lo, s18
.LBB294_1104:                           ;   in Loop: Header=BB294_924 Depth=1
	s_or_b32 exec_lo, exec_lo, s15
	v_lshrrev_b32_e32 v2, 16, v12
	v_cmp_ne_u16_sdwa s4, v2, v4 src0_sel:BYTE_0 src1_sel:DWORD
	s_and_saveexec_b32 s15, s4
	s_cbranch_execz .LBB294_1112
; %bb.1105:                             ;   in Loop: Header=BB294_924 Depth=1
	v_cmp_ne_u16_sdwa s4, v2, v49 src0_sel:BYTE_0 src1_sel:DWORD
	v_mov_b32_e32 v27, 0x8000
	s_and_saveexec_b32 s18, s4
	s_cbranch_execz .LBB294_1111
; %bb.1106:                             ;   in Loop: Header=BB294_924 Depth=1
	v_bfe_u32 v86, v12, 16, 7
	v_mov_b32_e32 v27, 0x7c01
	s_mov_b32 s19, exec_lo
	v_cmpx_ne_u32_e32 0x7f, v86
	s_cbranch_execz .LBB294_1110
; %bb.1107:                             ;   in Loop: Header=BB294_924 Depth=1
	v_and_b32_e32 v3, 7, v2
	v_lshrrev_b32_e32 v27, 3, v86
	s_mov_b32 s20, exec_lo
	v_cmpx_gt_u32_e32 8, v86
; %bb.1108:                             ;   in Loop: Header=BB294_924 Depth=1
	v_ffbh_u32_e32 v3, v3
	v_min_u32_e32 v3, 32, v3
	v_subrev_nc_u32_e32 v27, 28, v3
	v_lshlrev_b64 v[86:87], v27, v[2:3]
	v_sub_nc_u32_e32 v27, 29, v3
	v_and_b32_e32 v3, 7, v86
; %bb.1109:                             ;   in Loop: Header=BB294_924 Depth=1
	s_or_b32 exec_lo, exec_lo, s20
	v_lshlrev_b32_e32 v2, 8, v2
	v_lshl_add_u32 v27, v27, 10, 0x2000
	v_lshlrev_b32_e32 v3, 7, v3
	v_and_b32_e32 v2, 0x8000, v2
	v_and_b32_e32 v27, 0xfc00, v27
	v_or3_b32 v27, v2, v27, v3
.LBB294_1110:                           ;   in Loop: Header=BB294_924 Depth=1
	s_or_b32 exec_lo, exec_lo, s19
.LBB294_1111:                           ;   in Loop: Header=BB294_924 Depth=1
	s_or_b32 exec_lo, exec_lo, s18
.LBB294_1112:                           ;   in Loop: Header=BB294_924 Depth=1
	s_or_b32 exec_lo, exec_lo, s15
	v_mov_b32_e32 v2, 0
	s_mov_b32 s15, exec_lo
	v_cmpx_lt_u64_e64 s[6:7], v[11:12]
	s_cbranch_execz .LBB294_1120
; %bb.1113:                             ;   in Loop: Header=BB294_924 Depth=1
	v_lshrrev_b32_e32 v3, 24, v12
	v_bfrev_b32_e32 v2, 1
	s_mov_b32 s18, exec_lo
	v_cmpx_ne_u32_e32 0x80, v3
	s_cbranch_execz .LBB294_1119
; %bb.1114:                             ;   in Loop: Header=BB294_924 Depth=1
	v_and_b32_e32 v12, 0x7f, v3
	v_mov_b32_e32 v2, 0x7c010000
	s_mov_b32 s19, exec_lo
	v_cmpx_ne_u32_e32 0x7f, v12
	s_cbranch_execz .LBB294_1118
; %bb.1115:                             ;   in Loop: Header=BB294_924 Depth=1
	v_and_b32_e32 v2, 7, v3
	v_lshrrev_b32_e32 v11, 3, v12
	s_mov_b32 s20, exec_lo
	v_cmpx_gt_u32_e32 8, v12
; %bb.1116:                             ;   in Loop: Header=BB294_924 Depth=1
	v_ffbh_u32_e32 v2, v2
	v_min_u32_e32 v2, 32, v2
	v_subrev_nc_u32_e32 v11, 28, v2
	v_lshlrev_b64 v[86:87], v11, v[3:4]
	v_sub_nc_u32_e32 v11, 29, v2
	v_and_b32_e32 v2, 7, v86
; %bb.1117:                             ;   in Loop: Header=BB294_924 Depth=1
	s_or_b32 exec_lo, exec_lo, s20
	v_lshlrev_b32_e32 v3, 8, v3
	v_lshl_add_u32 v11, v11, 10, 0x2000
	v_lshlrev_b32_e32 v2, 23, v2
	v_and_or_b32 v3, 0x8000, v3, v11
	v_lshl_or_b32 v2, v3, 16, v2
.LBB294_1118:                           ;   in Loop: Header=BB294_924 Depth=1
	s_or_b32 exec_lo, exec_lo, s19
.LBB294_1119:                           ;   in Loop: Header=BB294_924 Depth=1
	s_or_b32 exec_lo, exec_lo, s18
.LBB294_1120:                           ;   in Loop: Header=BB294_924 Depth=1
	s_or_b32 exec_lo, exec_lo, s15
	v_or_b32_e32 v3, v19, v26
	s_waitcnt vmcnt(0) lgkmcnt(0)
	v_fma_mixlo_f16 v11, v0, v19, 0 op_sel:[0,1,0] op_sel_hi:[0,1,0]
	v_or_b32_e32 v18, v1, v18
	v_or_b32_e32 v19, v85, v29
	;; [unrolled: 1-line block ×3, first 2 shown]
	v_fma_mixlo_f16 v12, v0, v1, 0 op_sel:[0,1,0] op_sel_hi:[0,1,0]
	v_fma_mixlo_f16 v3, v0, v3, 0 op_sel_hi:[0,1,0]
	v_lshlrev_b32_e32 v1, 16, v11
	v_fma_mixlo_f16 v11, v0, v18, 0 op_sel_hi:[0,1,0]
	v_fma_mixlo_f16 v18, v0, v85, 0 op_sel:[0,1,0] op_sel_hi:[0,1,0]
	v_fma_mixlo_f16 v19, v0, v19, 0 op_sel_hi:[0,1,0]
	v_fma_mixlo_f16 v27, v0, v2, 0 op_sel:[0,1,0] op_sel_hi:[0,1,0]
	v_fma_mixlo_f16 v26, v0, v26, 0 op_sel_hi:[0,1,0]
	v_lshlrev_b32_e32 v12, 16, v12
	v_and_b32_e32 v3, 0xffff, v3
	v_and_b32_e32 v85, 0xffff, v11
	v_lshlrev_b32_e32 v2, 16, v18
	v_and_b32_e32 v19, 0xffff, v19
	v_lshlrev_b32_e32 v0, 16, v27
	v_and_b32_e32 v11, 0xffff, v26
	v_or_b32_e32 v18, v1, v3
	v_or_b32_e32 v29, v12, v85
	;; [unrolled: 1-line block ×4, first 2 shown]
	s_and_saveexec_b32 s15, vcc_lo
	s_cbranch_execz .LBB294_1122
; %bb.1121:                             ;   in Loop: Header=BB294_924 Depth=1
	v_cmp_lt_i32_e64 s4, v54, v28
	v_cndmask_b32_e64 v18, 0, v85, s4
	v_cmp_lt_i32_e64 s4, v82, v28
	v_cndmask_b32_e64 v12, 0, v12, s4
	v_cmp_lt_i32_e64 s4, v81, v28
	v_or_b32_e32 v29, v18, v12
	v_cndmask_b32_e64 v3, 0, v3, s4
	v_cmp_lt_i32_e64 s4, v80, v28
	v_cndmask_b32_e64 v1, 0, v1, s4
	v_cmp_lt_i32_e64 s4, v71, v28
	v_or_b32_e32 v18, v3, v1
	;; [unrolled: 5-line block ×3, first 2 shown]
	v_cndmask_b32_e64 v11, 0, v11, s4
	v_cmp_lt_i32_e64 s4, v31, v28
	v_cndmask_b32_e64 v0, 0, v0, s4
	v_or_b32_e32 v26, v11, v0
.LBB294_1122:                           ;   in Loop: Header=BB294_924 Depth=1
	s_or_b32 exec_lo, exec_lo, s15
	;;#ASMSTART
	v_pk_mul_f16 v0, v67, v29;

	;;#ASMEND
	;;#ASMSTART
	v_pk_mul_f16 v1, v65, v18;

	;;#ASMEND
	;; [unrolled: 4-line block ×4, first 2 shown]
	;;#ASMSTART
	v_pk_add_f16 v0, v0, v1;

	;;#ASMEND
	;;#ASMSTART
	v_pk_add_f16 v0, v0, v2;

	;;#ASMEND
	;; [unrolled: 4-line block ×3, first 2 shown]
	v_and_b32_e32 v1, 0xffff, v0
	v_lshrrev_b32_e32 v0, 16, v0
	;;#ASMSTART
	v_cvt_f32_f16 v85, v1;
	;;#ASMEND
	;;#ASMSTART
	v_cvt_f32_f16 v86, v0;
	;;#ASMEND
	flat_load_dwordx2 v[11:12], v[9:10] offset:768
	flat_load_dword v0, v[22:23]
	v_mov_b32_e32 v1, 0
	v_mov_b32_e32 v18, 0
	s_waitcnt vmcnt(1) lgkmcnt(1)
	v_cmp_ne_u16_sdwa s4, v11, v4 src0_sel:BYTE_0 src1_sel:DWORD
	s_and_saveexec_b32 s15, s4
	s_cbranch_execz .LBB294_1130
; %bb.1123:                             ;   in Loop: Header=BB294_924 Depth=1
	v_cmp_ne_u16_sdwa s4, v11, v49 src0_sel:BYTE_0 src1_sel:DWORD
	v_mov_b32_e32 v18, 0x8000
	s_and_saveexec_b32 s18, s4
	s_cbranch_execz .LBB294_1129
; %bb.1124:                             ;   in Loop: Header=BB294_924 Depth=1
	v_and_b32_e32 v19, 0x7f, v11
	v_mov_b32_e32 v18, 0x7c01
	s_mov_b32 s19, exec_lo
	v_cmpx_ne_u32_e32 0x7f, v19
	s_cbranch_execz .LBB294_1128
; %bb.1125:                             ;   in Loop: Header=BB294_924 Depth=1
	v_and_b32_e32 v2, 7, v11
	v_lshrrev_b32_e32 v3, 3, v19
	s_mov_b32 s20, exec_lo
	v_cmpx_gt_u32_e32 8, v19
; %bb.1126:                             ;   in Loop: Header=BB294_924 Depth=1
	v_ffbh_u32_e32 v2, v2
	v_min_u32_e32 v18, 32, v2
	v_subrev_nc_u32_e32 v2, 28, v18
	v_lshlrev_b64 v[2:3], v2, v[11:12]
	v_sub_nc_u32_e32 v3, 29, v18
	v_and_b32_e32 v2, 7, v2
; %bb.1127:                             ;   in Loop: Header=BB294_924 Depth=1
	s_or_b32 exec_lo, exec_lo, s20
	v_lshlrev_b32_e32 v18, 8, v11
	v_lshl_add_u32 v3, v3, 10, 0x2000
	v_lshlrev_b32_e32 v2, 7, v2
	v_and_b32_e32 v18, 0x8000, v18
	v_and_b32_e32 v3, 0xfc00, v3
	v_or3_b32 v18, v18, v3, v2
.LBB294_1128:                           ;   in Loop: Header=BB294_924 Depth=1
	s_or_b32 exec_lo, exec_lo, s19
.LBB294_1129:                           ;   in Loop: Header=BB294_924 Depth=1
	s_or_b32 exec_lo, exec_lo, s18
.LBB294_1130:                           ;   in Loop: Header=BB294_924 Depth=1
	s_or_b32 exec_lo, exec_lo, s15
	v_lshrrev_b16 v3, 8, v11
	s_mov_b32 s15, exec_lo
	v_cmpx_ne_u16_e32 0, v3
	s_cbranch_execz .LBB294_1138
; %bb.1131:                             ;   in Loop: Header=BB294_924 Depth=1
	v_bfrev_b32_e32 v1, 1
	s_mov_b32 s18, exec_lo
	v_cmpx_ne_u16_e32 0x80, v3
	s_cbranch_execz .LBB294_1137
; %bb.1132:                             ;   in Loop: Header=BB294_924 Depth=1
	v_and_b32_sdwa v19, v3, v50 dst_sel:DWORD dst_unused:UNUSED_PAD src0_sel:WORD_0 src1_sel:DWORD
	v_mov_b32_e32 v1, 0x7c010000
	s_mov_b32 s19, exec_lo
	v_cmpx_ne_u32_e32 0x7f, v19
	s_cbranch_execz .LBB294_1136
; %bb.1133:                             ;   in Loop: Header=BB294_924 Depth=1
	v_and_b32_sdwa v1, v3, v51 dst_sel:DWORD dst_unused:UNUSED_PAD src0_sel:WORD_0 src1_sel:DWORD
	v_lshrrev_b32_e32 v2, 3, v19
	s_mov_b32 s20, exec_lo
	v_cmpx_gt_u32_e32 8, v19
; %bb.1134:                             ;   in Loop: Header=BB294_924 Depth=1
	v_ffbh_u32_e32 v1, v1
	v_min_u32_e32 v19, 32, v1
	v_subrev_nc_u32_e32 v1, 28, v19
	v_lshlrev_b64 v[1:2], v1, v[3:4]
	v_sub_nc_u32_e32 v2, 29, v19
	v_and_b32_e32 v1, 7, v1
; %bb.1135:                             ;   in Loop: Header=BB294_924 Depth=1
	s_or_b32 exec_lo, exec_lo, s20
	v_lshlrev_b32_sdwa v3, v52, v3 dst_sel:DWORD dst_unused:UNUSED_PAD src0_sel:DWORD src1_sel:WORD_0
	v_lshl_add_u32 v2, v2, 10, 0x2000
	v_lshlrev_b32_e32 v1, 23, v1
	v_and_or_b32 v2, 0x8000, v3, v2
	v_lshl_or_b32 v1, v2, 16, v1
.LBB294_1136:                           ;   in Loop: Header=BB294_924 Depth=1
	s_or_b32 exec_lo, exec_lo, s19
.LBB294_1137:                           ;   in Loop: Header=BB294_924 Depth=1
	s_or_b32 exec_lo, exec_lo, s18
.LBB294_1138:                           ;   in Loop: Header=BB294_924 Depth=1
	s_or_b32 exec_lo, exec_lo, s15
	v_lshrrev_b32_e32 v2, 16, v11
	v_mov_b32_e32 v19, 0
	v_mov_b32_e32 v26, 0
	v_cmp_ne_u16_sdwa s4, v2, v4 src0_sel:BYTE_0 src1_sel:DWORD
	s_and_saveexec_b32 s15, s4
	s_cbranch_execz .LBB294_1146
; %bb.1139:                             ;   in Loop: Header=BB294_924 Depth=1
	v_cmp_ne_u16_sdwa s4, v2, v49 src0_sel:BYTE_0 src1_sel:DWORD
	v_mov_b32_e32 v26, 0x8000
	s_and_saveexec_b32 s18, s4
	s_cbranch_execz .LBB294_1145
; %bb.1140:                             ;   in Loop: Header=BB294_924 Depth=1
	v_bfe_u32 v27, v11, 16, 7
	v_mov_b32_e32 v26, 0x7c01
	s_mov_b32 s19, exec_lo
	v_cmpx_ne_u32_e32 0x7f, v27
	s_cbranch_execz .LBB294_1144
; %bb.1141:                             ;   in Loop: Header=BB294_924 Depth=1
	v_and_b32_e32 v3, 7, v2
	v_lshrrev_b32_e32 v26, 3, v27
	s_mov_b32 s20, exec_lo
	v_cmpx_gt_u32_e32 8, v27
; %bb.1142:                             ;   in Loop: Header=BB294_924 Depth=1
	v_ffbh_u32_e32 v3, v3
	v_min_u32_e32 v3, 32, v3
	v_subrev_nc_u32_e32 v26, 28, v3
	v_lshlrev_b64 v[96:97], v26, v[2:3]
	v_sub_nc_u32_e32 v26, 29, v3
	v_and_b32_e32 v3, 7, v96
; %bb.1143:                             ;   in Loop: Header=BB294_924 Depth=1
	s_or_b32 exec_lo, exec_lo, s20
	v_lshlrev_b32_e32 v2, 8, v2
	v_lshl_add_u32 v26, v26, 10, 0x2000
	v_lshlrev_b32_e32 v3, 7, v3
	v_and_b32_e32 v2, 0x8000, v2
	v_and_b32_e32 v26, 0xfc00, v26
	v_or3_b32 v26, v2, v26, v3
.LBB294_1144:                           ;   in Loop: Header=BB294_924 Depth=1
	s_or_b32 exec_lo, exec_lo, s19
.LBB294_1145:                           ;   in Loop: Header=BB294_924 Depth=1
	s_or_b32 exec_lo, exec_lo, s18
.LBB294_1146:                           ;   in Loop: Header=BB294_924 Depth=1
	s_or_b32 exec_lo, exec_lo, s15
	s_mov_b32 s15, exec_lo
	v_cmpx_lt_u32_e32 0xffffff, v11
	s_cbranch_execz .LBB294_1154
; %bb.1147:                             ;   in Loop: Header=BB294_924 Depth=1
	v_lshrrev_b32_e32 v3, 24, v11
	v_bfrev_b32_e32 v19, 1
	s_mov_b32 s18, exec_lo
	v_cmpx_ne_u32_e32 0x80, v3
	s_cbranch_execz .LBB294_1153
; %bb.1148:                             ;   in Loop: Header=BB294_924 Depth=1
	v_and_b32_e32 v27, 0x7f, v3
	v_mov_b32_e32 v19, 0x7c010000
	s_mov_b32 s19, exec_lo
	v_cmpx_ne_u32_e32 0x7f, v27
	s_cbranch_execz .LBB294_1152
; %bb.1149:                             ;   in Loop: Header=BB294_924 Depth=1
	v_and_b32_e32 v2, 7, v3
	v_lshrrev_b32_e32 v19, 3, v27
	s_mov_b32 s20, exec_lo
	v_cmpx_gt_u32_e32 8, v27
; %bb.1150:                             ;   in Loop: Header=BB294_924 Depth=1
	v_ffbh_u32_e32 v2, v2
	v_min_u32_e32 v2, 32, v2
	v_subrev_nc_u32_e32 v19, 28, v2
	v_lshlrev_b64 v[96:97], v19, v[3:4]
	v_sub_nc_u32_e32 v19, 29, v2
	v_and_b32_e32 v2, 7, v96
; %bb.1151:                             ;   in Loop: Header=BB294_924 Depth=1
	s_or_b32 exec_lo, exec_lo, s20
	v_lshlrev_b32_e32 v3, 8, v3
	v_lshl_add_u32 v19, v19, 10, 0x2000
	v_lshlrev_b32_e32 v2, 23, v2
	v_and_or_b32 v3, 0x8000, v3, v19
	v_lshl_or_b32 v19, v3, 16, v2
.LBB294_1152:                           ;   in Loop: Header=BB294_924 Depth=1
	s_or_b32 exec_lo, exec_lo, s19
.LBB294_1153:                           ;   in Loop: Header=BB294_924 Depth=1
	s_or_b32 exec_lo, exec_lo, s18
.LBB294_1154:                           ;   in Loop: Header=BB294_924 Depth=1
	s_or_b32 exec_lo, exec_lo, s15
	v_mov_b32_e32 v3, v12
	v_cmp_ne_u16_sdwa s4, v12, v4 src0_sel:BYTE_0 src1_sel:DWORD
	v_mov_b32_e32 v27, 0
	v_mov_b32_e32 v29, 0
	s_and_saveexec_b32 s15, s4
	s_cbranch_execz .LBB294_1162
; %bb.1155:                             ;   in Loop: Header=BB294_924 Depth=1
	v_cmp_ne_u16_sdwa s4, v12, v49 src0_sel:BYTE_0 src1_sel:DWORD
	v_mov_b32_e32 v29, 0x8000
	s_and_saveexec_b32 s18, s4
	s_cbranch_execz .LBB294_1161
; %bb.1156:                             ;   in Loop: Header=BB294_924 Depth=1
	v_and_b32_e32 v87, 0x7f, v12
	v_mov_b32_e32 v29, 0x7c01
	s_mov_b32 s19, exec_lo
	v_cmpx_ne_u32_e32 0x7f, v87
	s_cbranch_execz .LBB294_1160
; %bb.1157:                             ;   in Loop: Header=BB294_924 Depth=1
	v_and_b32_e32 v2, 7, v12
	v_lshrrev_b32_e32 v29, 3, v87
	s_mov_b32 s20, exec_lo
	v_cmpx_gt_u32_e32 8, v87
; %bb.1158:                             ;   in Loop: Header=BB294_924 Depth=1
	v_ffbh_u32_e32 v2, v2
	v_min_u32_e32 v2, 32, v2
	v_subrev_nc_u32_e32 v29, 28, v2
	v_lshlrev_b64 v[96:97], v29, v[3:4]
	v_sub_nc_u32_e32 v29, 29, v2
	v_and_b32_e32 v2, 7, v96
; %bb.1159:                             ;   in Loop: Header=BB294_924 Depth=1
	s_or_b32 exec_lo, exec_lo, s20
	v_lshlrev_b32_e32 v87, 8, v12
	v_lshl_add_u32 v29, v29, 10, 0x2000
	v_lshlrev_b32_e32 v2, 7, v2
	v_and_b32_e32 v87, 0x8000, v87
	v_and_b32_e32 v29, 0xfc00, v29
	v_or3_b32 v29, v87, v29, v2
.LBB294_1160:                           ;   in Loop: Header=BB294_924 Depth=1
	s_or_b32 exec_lo, exec_lo, s19
.LBB294_1161:                           ;   in Loop: Header=BB294_924 Depth=1
	s_or_b32 exec_lo, exec_lo, s18
.LBB294_1162:                           ;   in Loop: Header=BB294_924 Depth=1
	s_or_b32 exec_lo, exec_lo, s15
	v_lshrrev_b16 v3, 8, v3
	v_mov_b32_e32 v87, 0
	s_mov_b32 s15, exec_lo
	v_cmpx_ne_u16_e32 0, v3
	s_cbranch_execz .LBB294_1170
; %bb.1163:                             ;   in Loop: Header=BB294_924 Depth=1
	v_bfrev_b32_e32 v87, 1
	s_mov_b32 s18, exec_lo
	v_cmpx_ne_u16_e32 0x80, v3
	s_cbranch_execz .LBB294_1169
; %bb.1164:                             ;   in Loop: Header=BB294_924 Depth=1
	v_and_b32_sdwa v96, v3, v50 dst_sel:DWORD dst_unused:UNUSED_PAD src0_sel:WORD_0 src1_sel:DWORD
	v_mov_b32_e32 v87, 0x7c010000
	s_mov_b32 s19, exec_lo
	v_cmpx_ne_u32_e32 0x7f, v96
	s_cbranch_execz .LBB294_1168
; %bb.1165:                             ;   in Loop: Header=BB294_924 Depth=1
	v_and_b32_sdwa v2, v3, v51 dst_sel:DWORD dst_unused:UNUSED_PAD src0_sel:WORD_0 src1_sel:DWORD
	v_lshrrev_b32_e32 v87, 3, v96
	s_mov_b32 s20, exec_lo
	v_cmpx_gt_u32_e32 8, v96
; %bb.1166:                             ;   in Loop: Header=BB294_924 Depth=1
	v_ffbh_u32_e32 v2, v2
	v_min_u32_e32 v2, 32, v2
	v_subrev_nc_u32_e32 v87, 28, v2
	v_lshlrev_b64 v[96:97], v87, v[3:4]
	v_sub_nc_u32_e32 v87, 29, v2
	v_and_b32_e32 v2, 7, v96
; %bb.1167:                             ;   in Loop: Header=BB294_924 Depth=1
	s_or_b32 exec_lo, exec_lo, s20
	v_lshlrev_b32_sdwa v3, v52, v3 dst_sel:DWORD dst_unused:UNUSED_PAD src0_sel:DWORD src1_sel:WORD_0
	v_lshl_add_u32 v87, v87, 10, 0x2000
	v_lshlrev_b32_e32 v2, 23, v2
	v_and_or_b32 v3, 0x8000, v3, v87
	v_lshl_or_b32 v87, v3, 16, v2
.LBB294_1168:                           ;   in Loop: Header=BB294_924 Depth=1
	s_or_b32 exec_lo, exec_lo, s19
.LBB294_1169:                           ;   in Loop: Header=BB294_924 Depth=1
	s_or_b32 exec_lo, exec_lo, s18
.LBB294_1170:                           ;   in Loop: Header=BB294_924 Depth=1
	s_or_b32 exec_lo, exec_lo, s15
	v_lshrrev_b32_e32 v2, 16, v12
	v_cmp_ne_u16_sdwa s4, v2, v4 src0_sel:BYTE_0 src1_sel:DWORD
	s_and_saveexec_b32 s15, s4
	s_cbranch_execz .LBB294_1178
; %bb.1171:                             ;   in Loop: Header=BB294_924 Depth=1
	v_cmp_ne_u16_sdwa s4, v2, v49 src0_sel:BYTE_0 src1_sel:DWORD
	v_mov_b32_e32 v27, 0x8000
	s_and_saveexec_b32 s18, s4
	s_cbranch_execz .LBB294_1177
; %bb.1172:                             ;   in Loop: Header=BB294_924 Depth=1
	v_bfe_u32 v96, v12, 16, 7
	v_mov_b32_e32 v27, 0x7c01
	s_mov_b32 s19, exec_lo
	v_cmpx_ne_u32_e32 0x7f, v96
	s_cbranch_execz .LBB294_1176
; %bb.1173:                             ;   in Loop: Header=BB294_924 Depth=1
	v_and_b32_e32 v3, 7, v2
	v_lshrrev_b32_e32 v27, 3, v96
	s_mov_b32 s20, exec_lo
	v_cmpx_gt_u32_e32 8, v96
; %bb.1174:                             ;   in Loop: Header=BB294_924 Depth=1
	v_ffbh_u32_e32 v3, v3
	v_min_u32_e32 v3, 32, v3
	v_subrev_nc_u32_e32 v27, 28, v3
	v_lshlrev_b64 v[96:97], v27, v[2:3]
	v_sub_nc_u32_e32 v27, 29, v3
	v_and_b32_e32 v3, 7, v96
; %bb.1175:                             ;   in Loop: Header=BB294_924 Depth=1
	s_or_b32 exec_lo, exec_lo, s20
	v_lshlrev_b32_e32 v2, 8, v2
	v_lshl_add_u32 v27, v27, 10, 0x2000
	v_lshlrev_b32_e32 v3, 7, v3
	v_and_b32_e32 v2, 0x8000, v2
	v_and_b32_e32 v27, 0xfc00, v27
	v_or3_b32 v27, v2, v27, v3
.LBB294_1176:                           ;   in Loop: Header=BB294_924 Depth=1
	s_or_b32 exec_lo, exec_lo, s19
.LBB294_1177:                           ;   in Loop: Header=BB294_924 Depth=1
	s_or_b32 exec_lo, exec_lo, s18
.LBB294_1178:                           ;   in Loop: Header=BB294_924 Depth=1
	s_or_b32 exec_lo, exec_lo, s15
	v_mov_b32_e32 v2, 0
	s_mov_b32 s15, exec_lo
	v_cmpx_lt_u64_e64 s[6:7], v[11:12]
	s_cbranch_execz .LBB294_1186
; %bb.1179:                             ;   in Loop: Header=BB294_924 Depth=1
	v_lshrrev_b32_e32 v3, 24, v12
	v_bfrev_b32_e32 v2, 1
	s_mov_b32 s18, exec_lo
	v_cmpx_ne_u32_e32 0x80, v3
	s_cbranch_execz .LBB294_1185
; %bb.1180:                             ;   in Loop: Header=BB294_924 Depth=1
	v_and_b32_e32 v12, 0x7f, v3
	v_mov_b32_e32 v2, 0x7c010000
	s_mov_b32 s19, exec_lo
	v_cmpx_ne_u32_e32 0x7f, v12
	s_cbranch_execz .LBB294_1184
; %bb.1181:                             ;   in Loop: Header=BB294_924 Depth=1
	v_and_b32_e32 v2, 7, v3
	v_lshrrev_b32_e32 v11, 3, v12
	s_mov_b32 s20, exec_lo
	v_cmpx_gt_u32_e32 8, v12
; %bb.1182:                             ;   in Loop: Header=BB294_924 Depth=1
	v_ffbh_u32_e32 v2, v2
	v_min_u32_e32 v2, 32, v2
	v_subrev_nc_u32_e32 v11, 28, v2
	v_lshlrev_b64 v[96:97], v11, v[3:4]
	v_sub_nc_u32_e32 v11, 29, v2
	v_and_b32_e32 v2, 7, v96
; %bb.1183:                             ;   in Loop: Header=BB294_924 Depth=1
	s_or_b32 exec_lo, exec_lo, s20
	v_lshlrev_b32_e32 v3, 8, v3
	v_lshl_add_u32 v11, v11, 10, 0x2000
	v_lshlrev_b32_e32 v2, 23, v2
	v_and_or_b32 v3, 0x8000, v3, v11
	v_lshl_or_b32 v2, v3, 16, v2
.LBB294_1184:                           ;   in Loop: Header=BB294_924 Depth=1
	s_or_b32 exec_lo, exec_lo, s19
.LBB294_1185:                           ;   in Loop: Header=BB294_924 Depth=1
	s_or_b32 exec_lo, exec_lo, s18
.LBB294_1186:                           ;   in Loop: Header=BB294_924 Depth=1
	s_or_b32 exec_lo, exec_lo, s15
	v_or_b32_e32 v3, v19, v26
	s_waitcnt vmcnt(0) lgkmcnt(0)
	v_fma_mixlo_f16 v11, v0, v19, 0 op_sel:[0,1,0] op_sel_hi:[0,1,0]
	v_or_b32_e32 v18, v1, v18
	v_or_b32_e32 v19, v87, v29
	;; [unrolled: 1-line block ×3, first 2 shown]
	v_fma_mixlo_f16 v12, v0, v1, 0 op_sel:[0,1,0] op_sel_hi:[0,1,0]
	v_fma_mixlo_f16 v3, v0, v3, 0 op_sel_hi:[0,1,0]
	v_lshlrev_b32_e32 v1, 16, v11
	v_fma_mixlo_f16 v11, v0, v18, 0 op_sel_hi:[0,1,0]
	v_fma_mixlo_f16 v18, v0, v87, 0 op_sel:[0,1,0] op_sel_hi:[0,1,0]
	v_fma_mixlo_f16 v19, v0, v19, 0 op_sel_hi:[0,1,0]
	v_fma_mixlo_f16 v27, v0, v2, 0 op_sel:[0,1,0] op_sel_hi:[0,1,0]
	v_fma_mixlo_f16 v26, v0, v26, 0 op_sel_hi:[0,1,0]
	v_lshlrev_b32_e32 v12, 16, v12
	v_and_b32_e32 v3, 0xffff, v3
	v_and_b32_e32 v87, 0xffff, v11
	v_lshlrev_b32_e32 v2, 16, v18
	v_and_b32_e32 v19, 0xffff, v19
	v_lshlrev_b32_e32 v0, 16, v27
	v_and_b32_e32 v11, 0xffff, v26
	v_or_b32_e32 v18, v1, v3
	v_or_b32_e32 v29, v12, v87
	;; [unrolled: 1-line block ×4, first 2 shown]
	s_and_saveexec_b32 s15, vcc_lo
	s_cbranch_execz .LBB294_1188
; %bb.1187:                             ;   in Loop: Header=BB294_924 Depth=1
	v_cmp_lt_i32_e64 s4, v54, v28
	v_cndmask_b32_e64 v18, 0, v87, s4
	v_cmp_lt_i32_e64 s4, v82, v28
	v_cndmask_b32_e64 v12, 0, v12, s4
	v_cmp_lt_i32_e64 s4, v81, v28
	v_or_b32_e32 v29, v18, v12
	v_cndmask_b32_e64 v3, 0, v3, s4
	v_cmp_lt_i32_e64 s4, v80, v28
	v_cndmask_b32_e64 v1, 0, v1, s4
	v_cmp_lt_i32_e64 s4, v71, v28
	v_or_b32_e32 v18, v3, v1
	;; [unrolled: 5-line block ×3, first 2 shown]
	v_cndmask_b32_e64 v11, 0, v11, s4
	v_cmp_lt_i32_e64 s4, v31, v28
	v_cndmask_b32_e64 v0, 0, v0, s4
	v_or_b32_e32 v26, v11, v0
.LBB294_1188:                           ;   in Loop: Header=BB294_924 Depth=1
	s_or_b32 exec_lo, exec_lo, s15
	;;#ASMSTART
	v_pk_mul_f16 v0, v67, v29;

	;;#ASMEND
	;;#ASMSTART
	v_pk_mul_f16 v1, v65, v18;

	;;#ASMEND
	;; [unrolled: 4-line block ×4, first 2 shown]
	;;#ASMSTART
	v_pk_add_f16 v0, v0, v1;

	;;#ASMEND
	;;#ASMSTART
	v_pk_add_f16 v0, v0, v2;

	;;#ASMEND
	;;#ASMSTART
	v_pk_add_f16 v0, v0, v3;

	;;#ASMEND
	v_and_b32_e32 v1, 0xffff, v0
	v_lshrrev_b32_e32 v0, 16, v0
	;;#ASMSTART
	v_cvt_f32_f16 v87, v1;
	;;#ASMEND
	;;#ASMSTART
	v_cvt_f32_f16 v96, v0;
	;;#ASMEND
	flat_load_dwordx2 v[11:12], v[9:10] offset:1024
	flat_load_dword v0, v[22:23]
	v_mov_b32_e32 v1, 0
	v_mov_b32_e32 v18, 0
	s_waitcnt vmcnt(1) lgkmcnt(1)
	v_cmp_ne_u16_sdwa s4, v11, v4 src0_sel:BYTE_0 src1_sel:DWORD
	s_and_saveexec_b32 s15, s4
	s_cbranch_execz .LBB294_1196
; %bb.1189:                             ;   in Loop: Header=BB294_924 Depth=1
	v_cmp_ne_u16_sdwa s4, v11, v49 src0_sel:BYTE_0 src1_sel:DWORD
	v_mov_b32_e32 v18, 0x8000
	s_and_saveexec_b32 s18, s4
	s_cbranch_execz .LBB294_1195
; %bb.1190:                             ;   in Loop: Header=BB294_924 Depth=1
	v_and_b32_e32 v19, 0x7f, v11
	v_mov_b32_e32 v18, 0x7c01
	s_mov_b32 s19, exec_lo
	v_cmpx_ne_u32_e32 0x7f, v19
	s_cbranch_execz .LBB294_1194
; %bb.1191:                             ;   in Loop: Header=BB294_924 Depth=1
	v_and_b32_e32 v2, 7, v11
	v_lshrrev_b32_e32 v3, 3, v19
	s_mov_b32 s20, exec_lo
	v_cmpx_gt_u32_e32 8, v19
; %bb.1192:                             ;   in Loop: Header=BB294_924 Depth=1
	v_ffbh_u32_e32 v2, v2
	v_min_u32_e32 v18, 32, v2
	v_subrev_nc_u32_e32 v2, 28, v18
	v_lshlrev_b64 v[2:3], v2, v[11:12]
	v_sub_nc_u32_e32 v3, 29, v18
	v_and_b32_e32 v2, 7, v2
; %bb.1193:                             ;   in Loop: Header=BB294_924 Depth=1
	s_or_b32 exec_lo, exec_lo, s20
	v_lshlrev_b32_e32 v18, 8, v11
	v_lshl_add_u32 v3, v3, 10, 0x2000
	v_lshlrev_b32_e32 v2, 7, v2
	v_and_b32_e32 v18, 0x8000, v18
	v_and_b32_e32 v3, 0xfc00, v3
	v_or3_b32 v18, v18, v3, v2
.LBB294_1194:                           ;   in Loop: Header=BB294_924 Depth=1
	s_or_b32 exec_lo, exec_lo, s19
.LBB294_1195:                           ;   in Loop: Header=BB294_924 Depth=1
	s_or_b32 exec_lo, exec_lo, s18
.LBB294_1196:                           ;   in Loop: Header=BB294_924 Depth=1
	s_or_b32 exec_lo, exec_lo, s15
	v_lshrrev_b16 v3, 8, v11
	s_mov_b32 s15, exec_lo
	v_cmpx_ne_u16_e32 0, v3
	s_cbranch_execz .LBB294_1204
; %bb.1197:                             ;   in Loop: Header=BB294_924 Depth=1
	v_bfrev_b32_e32 v1, 1
	s_mov_b32 s18, exec_lo
	v_cmpx_ne_u16_e32 0x80, v3
	s_cbranch_execz .LBB294_1203
; %bb.1198:                             ;   in Loop: Header=BB294_924 Depth=1
	v_and_b32_sdwa v19, v3, v50 dst_sel:DWORD dst_unused:UNUSED_PAD src0_sel:WORD_0 src1_sel:DWORD
	v_mov_b32_e32 v1, 0x7c010000
	s_mov_b32 s19, exec_lo
	v_cmpx_ne_u32_e32 0x7f, v19
	s_cbranch_execz .LBB294_1202
; %bb.1199:                             ;   in Loop: Header=BB294_924 Depth=1
	v_and_b32_sdwa v1, v3, v51 dst_sel:DWORD dst_unused:UNUSED_PAD src0_sel:WORD_0 src1_sel:DWORD
	v_lshrrev_b32_e32 v2, 3, v19
	s_mov_b32 s20, exec_lo
	v_cmpx_gt_u32_e32 8, v19
; %bb.1200:                             ;   in Loop: Header=BB294_924 Depth=1
	v_ffbh_u32_e32 v1, v1
	v_min_u32_e32 v19, 32, v1
	v_subrev_nc_u32_e32 v1, 28, v19
	v_lshlrev_b64 v[1:2], v1, v[3:4]
	v_sub_nc_u32_e32 v2, 29, v19
	v_and_b32_e32 v1, 7, v1
; %bb.1201:                             ;   in Loop: Header=BB294_924 Depth=1
	s_or_b32 exec_lo, exec_lo, s20
	v_lshlrev_b32_sdwa v3, v52, v3 dst_sel:DWORD dst_unused:UNUSED_PAD src0_sel:DWORD src1_sel:WORD_0
	v_lshl_add_u32 v2, v2, 10, 0x2000
	v_lshlrev_b32_e32 v1, 23, v1
	v_and_or_b32 v2, 0x8000, v3, v2
	v_lshl_or_b32 v1, v2, 16, v1
.LBB294_1202:                           ;   in Loop: Header=BB294_924 Depth=1
	s_or_b32 exec_lo, exec_lo, s19
.LBB294_1203:                           ;   in Loop: Header=BB294_924 Depth=1
	s_or_b32 exec_lo, exec_lo, s18
.LBB294_1204:                           ;   in Loop: Header=BB294_924 Depth=1
	s_or_b32 exec_lo, exec_lo, s15
	v_lshrrev_b32_e32 v2, 16, v11
	v_mov_b32_e32 v19, 0
	v_mov_b32_e32 v26, 0
	v_cmp_ne_u16_sdwa s4, v2, v4 src0_sel:BYTE_0 src1_sel:DWORD
	s_and_saveexec_b32 s15, s4
	s_cbranch_execz .LBB294_1212
; %bb.1205:                             ;   in Loop: Header=BB294_924 Depth=1
	v_cmp_ne_u16_sdwa s4, v2, v49 src0_sel:BYTE_0 src1_sel:DWORD
	v_mov_b32_e32 v26, 0x8000
	s_and_saveexec_b32 s18, s4
	s_cbranch_execz .LBB294_1211
; %bb.1206:                             ;   in Loop: Header=BB294_924 Depth=1
	v_bfe_u32 v27, v11, 16, 7
	v_mov_b32_e32 v26, 0x7c01
	s_mov_b32 s19, exec_lo
	v_cmpx_ne_u32_e32 0x7f, v27
	s_cbranch_execz .LBB294_1210
; %bb.1207:                             ;   in Loop: Header=BB294_924 Depth=1
	v_and_b32_e32 v3, 7, v2
	v_lshrrev_b32_e32 v26, 3, v27
	s_mov_b32 s20, exec_lo
	v_cmpx_gt_u32_e32 8, v27
; %bb.1208:                             ;   in Loop: Header=BB294_924 Depth=1
	v_ffbh_u32_e32 v3, v3
	v_min_u32_e32 v3, 32, v3
	v_subrev_nc_u32_e32 v26, 28, v3
	v_lshlrev_b64 v[97:98], v26, v[2:3]
	v_sub_nc_u32_e32 v26, 29, v3
	v_and_b32_e32 v3, 7, v97
; %bb.1209:                             ;   in Loop: Header=BB294_924 Depth=1
	s_or_b32 exec_lo, exec_lo, s20
	v_lshlrev_b32_e32 v2, 8, v2
	v_lshl_add_u32 v26, v26, 10, 0x2000
	v_lshlrev_b32_e32 v3, 7, v3
	v_and_b32_e32 v2, 0x8000, v2
	v_and_b32_e32 v26, 0xfc00, v26
	v_or3_b32 v26, v2, v26, v3
.LBB294_1210:                           ;   in Loop: Header=BB294_924 Depth=1
	s_or_b32 exec_lo, exec_lo, s19
.LBB294_1211:                           ;   in Loop: Header=BB294_924 Depth=1
	s_or_b32 exec_lo, exec_lo, s18
.LBB294_1212:                           ;   in Loop: Header=BB294_924 Depth=1
	s_or_b32 exec_lo, exec_lo, s15
	s_mov_b32 s15, exec_lo
	v_cmpx_lt_u32_e32 0xffffff, v11
	s_cbranch_execz .LBB294_1220
; %bb.1213:                             ;   in Loop: Header=BB294_924 Depth=1
	v_lshrrev_b32_e32 v3, 24, v11
	v_bfrev_b32_e32 v19, 1
	s_mov_b32 s18, exec_lo
	v_cmpx_ne_u32_e32 0x80, v3
	s_cbranch_execz .LBB294_1219
; %bb.1214:                             ;   in Loop: Header=BB294_924 Depth=1
	v_and_b32_e32 v27, 0x7f, v3
	v_mov_b32_e32 v19, 0x7c010000
	s_mov_b32 s19, exec_lo
	v_cmpx_ne_u32_e32 0x7f, v27
	s_cbranch_execz .LBB294_1218
; %bb.1215:                             ;   in Loop: Header=BB294_924 Depth=1
	v_and_b32_e32 v2, 7, v3
	v_lshrrev_b32_e32 v19, 3, v27
	s_mov_b32 s20, exec_lo
	v_cmpx_gt_u32_e32 8, v27
; %bb.1216:                             ;   in Loop: Header=BB294_924 Depth=1
	v_ffbh_u32_e32 v2, v2
	v_min_u32_e32 v2, 32, v2
	v_subrev_nc_u32_e32 v19, 28, v2
	v_lshlrev_b64 v[97:98], v19, v[3:4]
	v_sub_nc_u32_e32 v19, 29, v2
	v_and_b32_e32 v2, 7, v97
; %bb.1217:                             ;   in Loop: Header=BB294_924 Depth=1
	s_or_b32 exec_lo, exec_lo, s20
	v_lshlrev_b32_e32 v3, 8, v3
	v_lshl_add_u32 v19, v19, 10, 0x2000
	v_lshlrev_b32_e32 v2, 23, v2
	v_and_or_b32 v3, 0x8000, v3, v19
	v_lshl_or_b32 v19, v3, 16, v2
.LBB294_1218:                           ;   in Loop: Header=BB294_924 Depth=1
	s_or_b32 exec_lo, exec_lo, s19
.LBB294_1219:                           ;   in Loop: Header=BB294_924 Depth=1
	s_or_b32 exec_lo, exec_lo, s18
.LBB294_1220:                           ;   in Loop: Header=BB294_924 Depth=1
	s_or_b32 exec_lo, exec_lo, s15
	v_mov_b32_e32 v3, v12
	v_cmp_ne_u16_sdwa s4, v12, v4 src0_sel:BYTE_0 src1_sel:DWORD
	v_mov_b32_e32 v27, 0
	v_mov_b32_e32 v29, 0
	s_and_saveexec_b32 s15, s4
	s_cbranch_execz .LBB294_1228
; %bb.1221:                             ;   in Loop: Header=BB294_924 Depth=1
	v_cmp_ne_u16_sdwa s4, v12, v49 src0_sel:BYTE_0 src1_sel:DWORD
	v_mov_b32_e32 v29, 0x8000
	s_and_saveexec_b32 s18, s4
	s_cbranch_execz .LBB294_1227
; %bb.1222:                             ;   in Loop: Header=BB294_924 Depth=1
	v_and_b32_e32 v97, 0x7f, v12
	v_mov_b32_e32 v29, 0x7c01
	s_mov_b32 s19, exec_lo
	v_cmpx_ne_u32_e32 0x7f, v97
	s_cbranch_execz .LBB294_1226
; %bb.1223:                             ;   in Loop: Header=BB294_924 Depth=1
	v_and_b32_e32 v2, 7, v12
	v_lshrrev_b32_e32 v29, 3, v97
	s_mov_b32 s20, exec_lo
	v_cmpx_gt_u32_e32 8, v97
; %bb.1224:                             ;   in Loop: Header=BB294_924 Depth=1
	v_ffbh_u32_e32 v2, v2
	v_min_u32_e32 v2, 32, v2
	v_subrev_nc_u32_e32 v29, 28, v2
	v_lshlrev_b64 v[97:98], v29, v[3:4]
	v_sub_nc_u32_e32 v29, 29, v2
	v_and_b32_e32 v2, 7, v97
; %bb.1225:                             ;   in Loop: Header=BB294_924 Depth=1
	s_or_b32 exec_lo, exec_lo, s20
	v_lshlrev_b32_e32 v97, 8, v12
	v_lshl_add_u32 v29, v29, 10, 0x2000
	v_lshlrev_b32_e32 v2, 7, v2
	v_and_b32_e32 v97, 0x8000, v97
	v_and_b32_e32 v29, 0xfc00, v29
	v_or3_b32 v29, v97, v29, v2
.LBB294_1226:                           ;   in Loop: Header=BB294_924 Depth=1
	s_or_b32 exec_lo, exec_lo, s19
.LBB294_1227:                           ;   in Loop: Header=BB294_924 Depth=1
	s_or_b32 exec_lo, exec_lo, s18
.LBB294_1228:                           ;   in Loop: Header=BB294_924 Depth=1
	s_or_b32 exec_lo, exec_lo, s15
	v_lshrrev_b16 v3, 8, v3
	v_mov_b32_e32 v97, 0
	s_mov_b32 s15, exec_lo
	v_cmpx_ne_u16_e32 0, v3
	s_cbranch_execz .LBB294_1236
; %bb.1229:                             ;   in Loop: Header=BB294_924 Depth=1
	v_bfrev_b32_e32 v97, 1
	s_mov_b32 s18, exec_lo
	v_cmpx_ne_u16_e32 0x80, v3
	s_cbranch_execz .LBB294_1235
; %bb.1230:                             ;   in Loop: Header=BB294_924 Depth=1
	v_and_b32_sdwa v98, v3, v50 dst_sel:DWORD dst_unused:UNUSED_PAD src0_sel:WORD_0 src1_sel:DWORD
	v_mov_b32_e32 v97, 0x7c010000
	s_mov_b32 s19, exec_lo
	v_cmpx_ne_u32_e32 0x7f, v98
	s_cbranch_execz .LBB294_1234
; %bb.1231:                             ;   in Loop: Header=BB294_924 Depth=1
	v_and_b32_sdwa v2, v3, v51 dst_sel:DWORD dst_unused:UNUSED_PAD src0_sel:WORD_0 src1_sel:DWORD
	v_lshrrev_b32_e32 v97, 3, v98
	s_mov_b32 s20, exec_lo
	v_cmpx_gt_u32_e32 8, v98
; %bb.1232:                             ;   in Loop: Header=BB294_924 Depth=1
	v_ffbh_u32_e32 v2, v2
	v_min_u32_e32 v2, 32, v2
	v_subrev_nc_u32_e32 v97, 28, v2
	v_lshlrev_b64 v[98:99], v97, v[3:4]
	v_sub_nc_u32_e32 v97, 29, v2
	v_and_b32_e32 v2, 7, v98
; %bb.1233:                             ;   in Loop: Header=BB294_924 Depth=1
	s_or_b32 exec_lo, exec_lo, s20
	v_lshlrev_b32_sdwa v3, v52, v3 dst_sel:DWORD dst_unused:UNUSED_PAD src0_sel:DWORD src1_sel:WORD_0
	v_lshl_add_u32 v97, v97, 10, 0x2000
	v_lshlrev_b32_e32 v2, 23, v2
	v_and_or_b32 v3, 0x8000, v3, v97
	v_lshl_or_b32 v97, v3, 16, v2
.LBB294_1234:                           ;   in Loop: Header=BB294_924 Depth=1
	s_or_b32 exec_lo, exec_lo, s19
.LBB294_1235:                           ;   in Loop: Header=BB294_924 Depth=1
	s_or_b32 exec_lo, exec_lo, s18
.LBB294_1236:                           ;   in Loop: Header=BB294_924 Depth=1
	s_or_b32 exec_lo, exec_lo, s15
	v_lshrrev_b32_e32 v2, 16, v12
	v_cmp_ne_u16_sdwa s4, v2, v4 src0_sel:BYTE_0 src1_sel:DWORD
	s_and_saveexec_b32 s15, s4
	s_cbranch_execz .LBB294_1244
; %bb.1237:                             ;   in Loop: Header=BB294_924 Depth=1
	v_cmp_ne_u16_sdwa s4, v2, v49 src0_sel:BYTE_0 src1_sel:DWORD
	v_mov_b32_e32 v27, 0x8000
	s_and_saveexec_b32 s18, s4
	s_cbranch_execz .LBB294_1243
; %bb.1238:                             ;   in Loop: Header=BB294_924 Depth=1
	v_bfe_u32 v98, v12, 16, 7
	v_mov_b32_e32 v27, 0x7c01
	s_mov_b32 s19, exec_lo
	v_cmpx_ne_u32_e32 0x7f, v98
	s_cbranch_execz .LBB294_1242
; %bb.1239:                             ;   in Loop: Header=BB294_924 Depth=1
	v_and_b32_e32 v3, 7, v2
	v_lshrrev_b32_e32 v27, 3, v98
	s_mov_b32 s20, exec_lo
	v_cmpx_gt_u32_e32 8, v98
; %bb.1240:                             ;   in Loop: Header=BB294_924 Depth=1
	v_ffbh_u32_e32 v3, v3
	v_min_u32_e32 v3, 32, v3
	v_subrev_nc_u32_e32 v27, 28, v3
	v_lshlrev_b64 v[98:99], v27, v[2:3]
	v_sub_nc_u32_e32 v27, 29, v3
	v_and_b32_e32 v3, 7, v98
; %bb.1241:                             ;   in Loop: Header=BB294_924 Depth=1
	s_or_b32 exec_lo, exec_lo, s20
	v_lshlrev_b32_e32 v2, 8, v2
	v_lshl_add_u32 v27, v27, 10, 0x2000
	v_lshlrev_b32_e32 v3, 7, v3
	v_and_b32_e32 v2, 0x8000, v2
	v_and_b32_e32 v27, 0xfc00, v27
	v_or3_b32 v27, v2, v27, v3
.LBB294_1242:                           ;   in Loop: Header=BB294_924 Depth=1
	s_or_b32 exec_lo, exec_lo, s19
.LBB294_1243:                           ;   in Loop: Header=BB294_924 Depth=1
	s_or_b32 exec_lo, exec_lo, s18
.LBB294_1244:                           ;   in Loop: Header=BB294_924 Depth=1
	s_or_b32 exec_lo, exec_lo, s15
	v_mov_b32_e32 v2, 0
	s_mov_b32 s15, exec_lo
	v_cmpx_lt_u64_e64 s[6:7], v[11:12]
	s_cbranch_execz .LBB294_1252
; %bb.1245:                             ;   in Loop: Header=BB294_924 Depth=1
	v_lshrrev_b32_e32 v3, 24, v12
	v_bfrev_b32_e32 v2, 1
	s_mov_b32 s18, exec_lo
	v_cmpx_ne_u32_e32 0x80, v3
	s_cbranch_execz .LBB294_1251
; %bb.1246:                             ;   in Loop: Header=BB294_924 Depth=1
	v_and_b32_e32 v12, 0x7f, v3
	v_mov_b32_e32 v2, 0x7c010000
	s_mov_b32 s19, exec_lo
	v_cmpx_ne_u32_e32 0x7f, v12
	s_cbranch_execz .LBB294_1250
; %bb.1247:                             ;   in Loop: Header=BB294_924 Depth=1
	v_and_b32_e32 v2, 7, v3
	v_lshrrev_b32_e32 v11, 3, v12
	s_mov_b32 s20, exec_lo
	v_cmpx_gt_u32_e32 8, v12
; %bb.1248:                             ;   in Loop: Header=BB294_924 Depth=1
	v_ffbh_u32_e32 v2, v2
	v_min_u32_e32 v2, 32, v2
	v_subrev_nc_u32_e32 v11, 28, v2
	v_lshlrev_b64 v[98:99], v11, v[3:4]
	v_sub_nc_u32_e32 v11, 29, v2
	v_and_b32_e32 v2, 7, v98
; %bb.1249:                             ;   in Loop: Header=BB294_924 Depth=1
	s_or_b32 exec_lo, exec_lo, s20
	v_lshlrev_b32_e32 v3, 8, v3
	v_lshl_add_u32 v11, v11, 10, 0x2000
	v_lshlrev_b32_e32 v2, 23, v2
	v_and_or_b32 v3, 0x8000, v3, v11
	v_lshl_or_b32 v2, v3, 16, v2
.LBB294_1250:                           ;   in Loop: Header=BB294_924 Depth=1
	s_or_b32 exec_lo, exec_lo, s19
.LBB294_1251:                           ;   in Loop: Header=BB294_924 Depth=1
	s_or_b32 exec_lo, exec_lo, s18
.LBB294_1252:                           ;   in Loop: Header=BB294_924 Depth=1
	s_or_b32 exec_lo, exec_lo, s15
	v_or_b32_e32 v3, v19, v26
	s_waitcnt vmcnt(0) lgkmcnt(0)
	v_fma_mixlo_f16 v11, v0, v19, 0 op_sel:[0,1,0] op_sel_hi:[0,1,0]
	v_or_b32_e32 v18, v1, v18
	v_or_b32_e32 v19, v97, v29
	;; [unrolled: 1-line block ×3, first 2 shown]
	v_fma_mixlo_f16 v12, v0, v1, 0 op_sel:[0,1,0] op_sel_hi:[0,1,0]
	v_fma_mixlo_f16 v3, v0, v3, 0 op_sel_hi:[0,1,0]
	v_lshlrev_b32_e32 v1, 16, v11
	v_fma_mixlo_f16 v11, v0, v18, 0 op_sel_hi:[0,1,0]
	v_fma_mixlo_f16 v18, v0, v97, 0 op_sel:[0,1,0] op_sel_hi:[0,1,0]
	v_fma_mixlo_f16 v19, v0, v19, 0 op_sel_hi:[0,1,0]
	v_fma_mixlo_f16 v27, v0, v2, 0 op_sel:[0,1,0] op_sel_hi:[0,1,0]
	v_fma_mixlo_f16 v26, v0, v26, 0 op_sel_hi:[0,1,0]
	v_lshlrev_b32_e32 v12, 16, v12
	v_and_b32_e32 v3, 0xffff, v3
	v_and_b32_e32 v97, 0xffff, v11
	v_lshlrev_b32_e32 v2, 16, v18
	v_and_b32_e32 v19, 0xffff, v19
	v_lshlrev_b32_e32 v0, 16, v27
	v_and_b32_e32 v11, 0xffff, v26
	v_or_b32_e32 v18, v1, v3
	v_or_b32_e32 v29, v12, v97
	;; [unrolled: 1-line block ×4, first 2 shown]
	s_and_saveexec_b32 s15, vcc_lo
	s_cbranch_execz .LBB294_1254
; %bb.1253:                             ;   in Loop: Header=BB294_924 Depth=1
	v_cmp_lt_i32_e64 s4, v54, v28
	v_cndmask_b32_e64 v18, 0, v97, s4
	v_cmp_lt_i32_e64 s4, v82, v28
	v_cndmask_b32_e64 v12, 0, v12, s4
	v_cmp_lt_i32_e64 s4, v81, v28
	v_or_b32_e32 v29, v18, v12
	v_cndmask_b32_e64 v3, 0, v3, s4
	v_cmp_lt_i32_e64 s4, v80, v28
	v_cndmask_b32_e64 v1, 0, v1, s4
	v_cmp_lt_i32_e64 s4, v71, v28
	v_or_b32_e32 v18, v3, v1
	;; [unrolled: 5-line block ×3, first 2 shown]
	v_cndmask_b32_e64 v11, 0, v11, s4
	v_cmp_lt_i32_e64 s4, v31, v28
	v_cndmask_b32_e64 v0, 0, v0, s4
	v_or_b32_e32 v26, v11, v0
.LBB294_1254:                           ;   in Loop: Header=BB294_924 Depth=1
	s_or_b32 exec_lo, exec_lo, s15
	;;#ASMSTART
	v_pk_mul_f16 v0, v67, v29;

	;;#ASMEND
	;;#ASMSTART
	v_pk_mul_f16 v1, v65, v18;

	;;#ASMEND
	;; [unrolled: 4-line block ×4, first 2 shown]
	;;#ASMSTART
	v_pk_add_f16 v0, v0, v1;

	;;#ASMEND
	;;#ASMSTART
	v_pk_add_f16 v0, v0, v2;

	;;#ASMEND
	;; [unrolled: 4-line block ×3, first 2 shown]
	v_and_b32_e32 v1, 0xffff, v0
	v_lshrrev_b32_e32 v0, 16, v0
	;;#ASMSTART
	v_cvt_f32_f16 v97, v1;
	;;#ASMEND
	;;#ASMSTART
	v_cvt_f32_f16 v98, v0;
	;;#ASMEND
	flat_load_dwordx2 v[11:12], v[9:10] offset:1280
	flat_load_dword v0, v[22:23]
	v_mov_b32_e32 v1, 0
	v_mov_b32_e32 v18, 0
	s_waitcnt vmcnt(1) lgkmcnt(1)
	v_cmp_ne_u16_sdwa s4, v11, v4 src0_sel:BYTE_0 src1_sel:DWORD
	s_and_saveexec_b32 s15, s4
	s_cbranch_execz .LBB294_1262
; %bb.1255:                             ;   in Loop: Header=BB294_924 Depth=1
	v_cmp_ne_u16_sdwa s4, v11, v49 src0_sel:BYTE_0 src1_sel:DWORD
	v_mov_b32_e32 v18, 0x8000
	s_and_saveexec_b32 s18, s4
	s_cbranch_execz .LBB294_1261
; %bb.1256:                             ;   in Loop: Header=BB294_924 Depth=1
	v_and_b32_e32 v19, 0x7f, v11
	v_mov_b32_e32 v18, 0x7c01
	s_mov_b32 s19, exec_lo
	v_cmpx_ne_u32_e32 0x7f, v19
	s_cbranch_execz .LBB294_1260
; %bb.1257:                             ;   in Loop: Header=BB294_924 Depth=1
	v_and_b32_e32 v2, 7, v11
	v_lshrrev_b32_e32 v3, 3, v19
	s_mov_b32 s20, exec_lo
	v_cmpx_gt_u32_e32 8, v19
; %bb.1258:                             ;   in Loop: Header=BB294_924 Depth=1
	v_ffbh_u32_e32 v2, v2
	v_min_u32_e32 v18, 32, v2
	v_subrev_nc_u32_e32 v2, 28, v18
	v_lshlrev_b64 v[2:3], v2, v[11:12]
	v_sub_nc_u32_e32 v3, 29, v18
	v_and_b32_e32 v2, 7, v2
; %bb.1259:                             ;   in Loop: Header=BB294_924 Depth=1
	s_or_b32 exec_lo, exec_lo, s20
	v_lshlrev_b32_e32 v18, 8, v11
	v_lshl_add_u32 v3, v3, 10, 0x2000
	v_lshlrev_b32_e32 v2, 7, v2
	v_and_b32_e32 v18, 0x8000, v18
	v_and_b32_e32 v3, 0xfc00, v3
	v_or3_b32 v18, v18, v3, v2
.LBB294_1260:                           ;   in Loop: Header=BB294_924 Depth=1
	s_or_b32 exec_lo, exec_lo, s19
.LBB294_1261:                           ;   in Loop: Header=BB294_924 Depth=1
	s_or_b32 exec_lo, exec_lo, s18
.LBB294_1262:                           ;   in Loop: Header=BB294_924 Depth=1
	s_or_b32 exec_lo, exec_lo, s15
	v_lshrrev_b16 v3, 8, v11
	s_mov_b32 s15, exec_lo
	v_cmpx_ne_u16_e32 0, v3
	s_cbranch_execz .LBB294_1270
; %bb.1263:                             ;   in Loop: Header=BB294_924 Depth=1
	v_bfrev_b32_e32 v1, 1
	s_mov_b32 s18, exec_lo
	v_cmpx_ne_u16_e32 0x80, v3
	s_cbranch_execz .LBB294_1269
; %bb.1264:                             ;   in Loop: Header=BB294_924 Depth=1
	v_and_b32_sdwa v19, v3, v50 dst_sel:DWORD dst_unused:UNUSED_PAD src0_sel:WORD_0 src1_sel:DWORD
	v_mov_b32_e32 v1, 0x7c010000
	s_mov_b32 s19, exec_lo
	v_cmpx_ne_u32_e32 0x7f, v19
	s_cbranch_execz .LBB294_1268
; %bb.1265:                             ;   in Loop: Header=BB294_924 Depth=1
	v_and_b32_sdwa v1, v3, v51 dst_sel:DWORD dst_unused:UNUSED_PAD src0_sel:WORD_0 src1_sel:DWORD
	v_lshrrev_b32_e32 v2, 3, v19
	s_mov_b32 s20, exec_lo
	v_cmpx_gt_u32_e32 8, v19
; %bb.1266:                             ;   in Loop: Header=BB294_924 Depth=1
	v_ffbh_u32_e32 v1, v1
	v_min_u32_e32 v19, 32, v1
	v_subrev_nc_u32_e32 v1, 28, v19
	v_lshlrev_b64 v[1:2], v1, v[3:4]
	v_sub_nc_u32_e32 v2, 29, v19
	v_and_b32_e32 v1, 7, v1
; %bb.1267:                             ;   in Loop: Header=BB294_924 Depth=1
	s_or_b32 exec_lo, exec_lo, s20
	v_lshlrev_b32_sdwa v3, v52, v3 dst_sel:DWORD dst_unused:UNUSED_PAD src0_sel:DWORD src1_sel:WORD_0
	v_lshl_add_u32 v2, v2, 10, 0x2000
	v_lshlrev_b32_e32 v1, 23, v1
	v_and_or_b32 v2, 0x8000, v3, v2
	v_lshl_or_b32 v1, v2, 16, v1
.LBB294_1268:                           ;   in Loop: Header=BB294_924 Depth=1
	s_or_b32 exec_lo, exec_lo, s19
.LBB294_1269:                           ;   in Loop: Header=BB294_924 Depth=1
	s_or_b32 exec_lo, exec_lo, s18
.LBB294_1270:                           ;   in Loop: Header=BB294_924 Depth=1
	s_or_b32 exec_lo, exec_lo, s15
	v_lshrrev_b32_e32 v2, 16, v11
	v_mov_b32_e32 v19, 0
	v_mov_b32_e32 v26, 0
	v_cmp_ne_u16_sdwa s4, v2, v4 src0_sel:BYTE_0 src1_sel:DWORD
	s_and_saveexec_b32 s15, s4
	s_cbranch_execz .LBB294_1278
; %bb.1271:                             ;   in Loop: Header=BB294_924 Depth=1
	v_cmp_ne_u16_sdwa s4, v2, v49 src0_sel:BYTE_0 src1_sel:DWORD
	v_mov_b32_e32 v26, 0x8000
	s_and_saveexec_b32 s18, s4
	s_cbranch_execz .LBB294_1277
; %bb.1272:                             ;   in Loop: Header=BB294_924 Depth=1
	v_bfe_u32 v27, v11, 16, 7
	v_mov_b32_e32 v26, 0x7c01
	s_mov_b32 s19, exec_lo
	v_cmpx_ne_u32_e32 0x7f, v27
	s_cbranch_execz .LBB294_1276
; %bb.1273:                             ;   in Loop: Header=BB294_924 Depth=1
	v_and_b32_e32 v3, 7, v2
	v_lshrrev_b32_e32 v26, 3, v27
	s_mov_b32 s20, exec_lo
	v_cmpx_gt_u32_e32 8, v27
; %bb.1274:                             ;   in Loop: Header=BB294_924 Depth=1
	v_ffbh_u32_e32 v3, v3
	v_min_u32_e32 v3, 32, v3
	v_subrev_nc_u32_e32 v26, 28, v3
	v_lshlrev_b64 v[99:100], v26, v[2:3]
	v_sub_nc_u32_e32 v26, 29, v3
	v_and_b32_e32 v3, 7, v99
; %bb.1275:                             ;   in Loop: Header=BB294_924 Depth=1
	s_or_b32 exec_lo, exec_lo, s20
	v_lshlrev_b32_e32 v2, 8, v2
	v_lshl_add_u32 v26, v26, 10, 0x2000
	v_lshlrev_b32_e32 v3, 7, v3
	v_and_b32_e32 v2, 0x8000, v2
	v_and_b32_e32 v26, 0xfc00, v26
	v_or3_b32 v26, v2, v26, v3
.LBB294_1276:                           ;   in Loop: Header=BB294_924 Depth=1
	s_or_b32 exec_lo, exec_lo, s19
.LBB294_1277:                           ;   in Loop: Header=BB294_924 Depth=1
	s_or_b32 exec_lo, exec_lo, s18
.LBB294_1278:                           ;   in Loop: Header=BB294_924 Depth=1
	s_or_b32 exec_lo, exec_lo, s15
	s_mov_b32 s15, exec_lo
	v_cmpx_lt_u32_e32 0xffffff, v11
	s_cbranch_execz .LBB294_1286
; %bb.1279:                             ;   in Loop: Header=BB294_924 Depth=1
	v_lshrrev_b32_e32 v3, 24, v11
	v_bfrev_b32_e32 v19, 1
	s_mov_b32 s18, exec_lo
	v_cmpx_ne_u32_e32 0x80, v3
	s_cbranch_execz .LBB294_1285
; %bb.1280:                             ;   in Loop: Header=BB294_924 Depth=1
	v_and_b32_e32 v27, 0x7f, v3
	v_mov_b32_e32 v19, 0x7c010000
	s_mov_b32 s19, exec_lo
	v_cmpx_ne_u32_e32 0x7f, v27
	s_cbranch_execz .LBB294_1284
; %bb.1281:                             ;   in Loop: Header=BB294_924 Depth=1
	v_and_b32_e32 v2, 7, v3
	v_lshrrev_b32_e32 v19, 3, v27
	s_mov_b32 s20, exec_lo
	v_cmpx_gt_u32_e32 8, v27
; %bb.1282:                             ;   in Loop: Header=BB294_924 Depth=1
	v_ffbh_u32_e32 v2, v2
	v_min_u32_e32 v2, 32, v2
	v_subrev_nc_u32_e32 v19, 28, v2
	v_lshlrev_b64 v[99:100], v19, v[3:4]
	v_sub_nc_u32_e32 v19, 29, v2
	v_and_b32_e32 v2, 7, v99
; %bb.1283:                             ;   in Loop: Header=BB294_924 Depth=1
	s_or_b32 exec_lo, exec_lo, s20
	v_lshlrev_b32_e32 v3, 8, v3
	v_lshl_add_u32 v19, v19, 10, 0x2000
	v_lshlrev_b32_e32 v2, 23, v2
	v_and_or_b32 v3, 0x8000, v3, v19
	v_lshl_or_b32 v19, v3, 16, v2
.LBB294_1284:                           ;   in Loop: Header=BB294_924 Depth=1
	s_or_b32 exec_lo, exec_lo, s19
.LBB294_1285:                           ;   in Loop: Header=BB294_924 Depth=1
	s_or_b32 exec_lo, exec_lo, s18
.LBB294_1286:                           ;   in Loop: Header=BB294_924 Depth=1
	s_or_b32 exec_lo, exec_lo, s15
	v_mov_b32_e32 v3, v12
	v_cmp_ne_u16_sdwa s4, v12, v4 src0_sel:BYTE_0 src1_sel:DWORD
	v_mov_b32_e32 v27, 0
	v_mov_b32_e32 v29, 0
	s_and_saveexec_b32 s15, s4
	s_cbranch_execz .LBB294_1294
; %bb.1287:                             ;   in Loop: Header=BB294_924 Depth=1
	v_cmp_ne_u16_sdwa s4, v12, v49 src0_sel:BYTE_0 src1_sel:DWORD
	v_mov_b32_e32 v29, 0x8000
	s_and_saveexec_b32 s18, s4
	s_cbranch_execz .LBB294_1293
; %bb.1288:                             ;   in Loop: Header=BB294_924 Depth=1
	v_and_b32_e32 v99, 0x7f, v12
	v_mov_b32_e32 v29, 0x7c01
	s_mov_b32 s19, exec_lo
	v_cmpx_ne_u32_e32 0x7f, v99
	s_cbranch_execz .LBB294_1292
; %bb.1289:                             ;   in Loop: Header=BB294_924 Depth=1
	v_and_b32_e32 v2, 7, v12
	v_lshrrev_b32_e32 v29, 3, v99
	s_mov_b32 s20, exec_lo
	v_cmpx_gt_u32_e32 8, v99
; %bb.1290:                             ;   in Loop: Header=BB294_924 Depth=1
	v_ffbh_u32_e32 v2, v2
	v_min_u32_e32 v2, 32, v2
	v_subrev_nc_u32_e32 v29, 28, v2
	v_lshlrev_b64 v[99:100], v29, v[3:4]
	v_sub_nc_u32_e32 v29, 29, v2
	v_and_b32_e32 v2, 7, v99
; %bb.1291:                             ;   in Loop: Header=BB294_924 Depth=1
	s_or_b32 exec_lo, exec_lo, s20
	v_lshlrev_b32_e32 v99, 8, v12
	v_lshl_add_u32 v29, v29, 10, 0x2000
	v_lshlrev_b32_e32 v2, 7, v2
	v_and_b32_e32 v99, 0x8000, v99
	v_and_b32_e32 v29, 0xfc00, v29
	v_or3_b32 v29, v99, v29, v2
.LBB294_1292:                           ;   in Loop: Header=BB294_924 Depth=1
	s_or_b32 exec_lo, exec_lo, s19
.LBB294_1293:                           ;   in Loop: Header=BB294_924 Depth=1
	s_or_b32 exec_lo, exec_lo, s18
.LBB294_1294:                           ;   in Loop: Header=BB294_924 Depth=1
	s_or_b32 exec_lo, exec_lo, s15
	v_lshrrev_b16 v3, 8, v3
	v_mov_b32_e32 v99, 0
	s_mov_b32 s15, exec_lo
	v_cmpx_ne_u16_e32 0, v3
	s_cbranch_execz .LBB294_1302
; %bb.1295:                             ;   in Loop: Header=BB294_924 Depth=1
	v_bfrev_b32_e32 v99, 1
	s_mov_b32 s18, exec_lo
	v_cmpx_ne_u16_e32 0x80, v3
	s_cbranch_execz .LBB294_1301
; %bb.1296:                             ;   in Loop: Header=BB294_924 Depth=1
	v_and_b32_sdwa v100, v3, v50 dst_sel:DWORD dst_unused:UNUSED_PAD src0_sel:WORD_0 src1_sel:DWORD
	v_mov_b32_e32 v99, 0x7c010000
	s_mov_b32 s19, exec_lo
	v_cmpx_ne_u32_e32 0x7f, v100
	s_cbranch_execz .LBB294_1300
; %bb.1297:                             ;   in Loop: Header=BB294_924 Depth=1
	v_and_b32_sdwa v2, v3, v51 dst_sel:DWORD dst_unused:UNUSED_PAD src0_sel:WORD_0 src1_sel:DWORD
	v_lshrrev_b32_e32 v99, 3, v100
	s_mov_b32 s20, exec_lo
	v_cmpx_gt_u32_e32 8, v100
; %bb.1298:                             ;   in Loop: Header=BB294_924 Depth=1
	v_ffbh_u32_e32 v2, v2
	v_min_u32_e32 v2, 32, v2
	v_subrev_nc_u32_e32 v99, 28, v2
	v_lshlrev_b64 v[100:101], v99, v[3:4]
	v_sub_nc_u32_e32 v99, 29, v2
	v_and_b32_e32 v2, 7, v100
; %bb.1299:                             ;   in Loop: Header=BB294_924 Depth=1
	s_or_b32 exec_lo, exec_lo, s20
	v_lshlrev_b32_sdwa v3, v52, v3 dst_sel:DWORD dst_unused:UNUSED_PAD src0_sel:DWORD src1_sel:WORD_0
	v_lshl_add_u32 v99, v99, 10, 0x2000
	v_lshlrev_b32_e32 v2, 23, v2
	v_and_or_b32 v3, 0x8000, v3, v99
	v_lshl_or_b32 v99, v3, 16, v2
.LBB294_1300:                           ;   in Loop: Header=BB294_924 Depth=1
	s_or_b32 exec_lo, exec_lo, s19
.LBB294_1301:                           ;   in Loop: Header=BB294_924 Depth=1
	s_or_b32 exec_lo, exec_lo, s18
.LBB294_1302:                           ;   in Loop: Header=BB294_924 Depth=1
	s_or_b32 exec_lo, exec_lo, s15
	v_lshrrev_b32_e32 v2, 16, v12
	v_cmp_ne_u16_sdwa s4, v2, v4 src0_sel:BYTE_0 src1_sel:DWORD
	s_and_saveexec_b32 s15, s4
	s_cbranch_execz .LBB294_1310
; %bb.1303:                             ;   in Loop: Header=BB294_924 Depth=1
	v_cmp_ne_u16_sdwa s4, v2, v49 src0_sel:BYTE_0 src1_sel:DWORD
	v_mov_b32_e32 v27, 0x8000
	s_and_saveexec_b32 s18, s4
	s_cbranch_execz .LBB294_1309
; %bb.1304:                             ;   in Loop: Header=BB294_924 Depth=1
	v_bfe_u32 v100, v12, 16, 7
	v_mov_b32_e32 v27, 0x7c01
	s_mov_b32 s19, exec_lo
	v_cmpx_ne_u32_e32 0x7f, v100
	s_cbranch_execz .LBB294_1308
; %bb.1305:                             ;   in Loop: Header=BB294_924 Depth=1
	v_and_b32_e32 v3, 7, v2
	v_lshrrev_b32_e32 v27, 3, v100
	s_mov_b32 s20, exec_lo
	v_cmpx_gt_u32_e32 8, v100
; %bb.1306:                             ;   in Loop: Header=BB294_924 Depth=1
	v_ffbh_u32_e32 v3, v3
	v_min_u32_e32 v3, 32, v3
	v_subrev_nc_u32_e32 v27, 28, v3
	v_lshlrev_b64 v[100:101], v27, v[2:3]
	v_sub_nc_u32_e32 v27, 29, v3
	v_and_b32_e32 v3, 7, v100
; %bb.1307:                             ;   in Loop: Header=BB294_924 Depth=1
	s_or_b32 exec_lo, exec_lo, s20
	v_lshlrev_b32_e32 v2, 8, v2
	v_lshl_add_u32 v27, v27, 10, 0x2000
	v_lshlrev_b32_e32 v3, 7, v3
	v_and_b32_e32 v2, 0x8000, v2
	v_and_b32_e32 v27, 0xfc00, v27
	v_or3_b32 v27, v2, v27, v3
.LBB294_1308:                           ;   in Loop: Header=BB294_924 Depth=1
	s_or_b32 exec_lo, exec_lo, s19
.LBB294_1309:                           ;   in Loop: Header=BB294_924 Depth=1
	s_or_b32 exec_lo, exec_lo, s18
.LBB294_1310:                           ;   in Loop: Header=BB294_924 Depth=1
	s_or_b32 exec_lo, exec_lo, s15
	v_mov_b32_e32 v2, 0
	s_mov_b32 s15, exec_lo
	v_cmpx_lt_u64_e64 s[6:7], v[11:12]
	s_cbranch_execz .LBB294_1318
; %bb.1311:                             ;   in Loop: Header=BB294_924 Depth=1
	v_lshrrev_b32_e32 v3, 24, v12
	v_bfrev_b32_e32 v2, 1
	s_mov_b32 s18, exec_lo
	v_cmpx_ne_u32_e32 0x80, v3
	s_cbranch_execz .LBB294_1317
; %bb.1312:                             ;   in Loop: Header=BB294_924 Depth=1
	v_and_b32_e32 v12, 0x7f, v3
	v_mov_b32_e32 v2, 0x7c010000
	s_mov_b32 s19, exec_lo
	v_cmpx_ne_u32_e32 0x7f, v12
	s_cbranch_execz .LBB294_1316
; %bb.1313:                             ;   in Loop: Header=BB294_924 Depth=1
	v_and_b32_e32 v2, 7, v3
	v_lshrrev_b32_e32 v11, 3, v12
	s_mov_b32 s20, exec_lo
	v_cmpx_gt_u32_e32 8, v12
; %bb.1314:                             ;   in Loop: Header=BB294_924 Depth=1
	v_ffbh_u32_e32 v2, v2
	v_min_u32_e32 v2, 32, v2
	v_subrev_nc_u32_e32 v11, 28, v2
	v_lshlrev_b64 v[100:101], v11, v[3:4]
	v_sub_nc_u32_e32 v11, 29, v2
	v_and_b32_e32 v2, 7, v100
; %bb.1315:                             ;   in Loop: Header=BB294_924 Depth=1
	s_or_b32 exec_lo, exec_lo, s20
	v_lshlrev_b32_e32 v3, 8, v3
	v_lshl_add_u32 v11, v11, 10, 0x2000
	v_lshlrev_b32_e32 v2, 23, v2
	v_and_or_b32 v3, 0x8000, v3, v11
	v_lshl_or_b32 v2, v3, 16, v2
.LBB294_1316:                           ;   in Loop: Header=BB294_924 Depth=1
	s_or_b32 exec_lo, exec_lo, s19
.LBB294_1317:                           ;   in Loop: Header=BB294_924 Depth=1
	s_or_b32 exec_lo, exec_lo, s18
.LBB294_1318:                           ;   in Loop: Header=BB294_924 Depth=1
	s_or_b32 exec_lo, exec_lo, s15
	v_or_b32_e32 v3, v19, v26
	s_waitcnt vmcnt(0) lgkmcnt(0)
	v_fma_mixlo_f16 v11, v0, v19, 0 op_sel:[0,1,0] op_sel_hi:[0,1,0]
	v_or_b32_e32 v18, v1, v18
	v_or_b32_e32 v19, v99, v29
	v_or_b32_e32 v26, v2, v27
	v_fma_mixlo_f16 v12, v0, v1, 0 op_sel:[0,1,0] op_sel_hi:[0,1,0]
	v_fma_mixlo_f16 v3, v0, v3, 0 op_sel_hi:[0,1,0]
	v_lshlrev_b32_e32 v1, 16, v11
	v_fma_mixlo_f16 v11, v0, v18, 0 op_sel_hi:[0,1,0]
	v_fma_mixlo_f16 v18, v0, v99, 0 op_sel:[0,1,0] op_sel_hi:[0,1,0]
	v_fma_mixlo_f16 v19, v0, v19, 0 op_sel_hi:[0,1,0]
	v_fma_mixlo_f16 v27, v0, v2, 0 op_sel:[0,1,0] op_sel_hi:[0,1,0]
	v_fma_mixlo_f16 v26, v0, v26, 0 op_sel_hi:[0,1,0]
	v_lshlrev_b32_e32 v12, 16, v12
	v_and_b32_e32 v3, 0xffff, v3
	v_and_b32_e32 v99, 0xffff, v11
	v_lshlrev_b32_e32 v2, 16, v18
	v_and_b32_e32 v19, 0xffff, v19
	v_lshlrev_b32_e32 v0, 16, v27
	v_and_b32_e32 v11, 0xffff, v26
	v_or_b32_e32 v18, v1, v3
	v_or_b32_e32 v29, v12, v99
	;; [unrolled: 1-line block ×4, first 2 shown]
	s_and_saveexec_b32 s15, vcc_lo
	s_cbranch_execz .LBB294_1320
; %bb.1319:                             ;   in Loop: Header=BB294_924 Depth=1
	v_cmp_lt_i32_e64 s4, v54, v28
	v_cndmask_b32_e64 v18, 0, v99, s4
	v_cmp_lt_i32_e64 s4, v82, v28
	v_cndmask_b32_e64 v12, 0, v12, s4
	v_cmp_lt_i32_e64 s4, v81, v28
	v_or_b32_e32 v29, v18, v12
	v_cndmask_b32_e64 v3, 0, v3, s4
	v_cmp_lt_i32_e64 s4, v80, v28
	v_cndmask_b32_e64 v1, 0, v1, s4
	v_cmp_lt_i32_e64 s4, v71, v28
	v_or_b32_e32 v18, v3, v1
	v_cndmask_b32_e64 v19, 0, v19, s4
	v_cmp_lt_i32_e64 s4, v70, v28
	v_cndmask_b32_e64 v2, 0, v2, s4
	v_cmp_lt_i32_e64 s4, v69, v28
	v_or_b32_e32 v27, v19, v2
	v_cndmask_b32_e64 v11, 0, v11, s4
	v_cmp_lt_i32_e64 s4, v31, v28
	v_cndmask_b32_e64 v0, 0, v0, s4
	v_or_b32_e32 v26, v11, v0
.LBB294_1320:                           ;   in Loop: Header=BB294_924 Depth=1
	s_or_b32 exec_lo, exec_lo, s15
	;;#ASMSTART
	v_pk_mul_f16 v0, v67, v29;

	;;#ASMEND
	;;#ASMSTART
	v_pk_mul_f16 v1, v65, v18;

	;;#ASMEND
	;; [unrolled: 4-line block ×4, first 2 shown]
	;;#ASMSTART
	v_pk_add_f16 v0, v0, v1;

	;;#ASMEND
	;;#ASMSTART
	v_pk_add_f16 v0, v0, v2;

	;;#ASMEND
	;; [unrolled: 4-line block ×3, first 2 shown]
	v_and_b32_e32 v1, 0xffff, v0
	v_lshrrev_b32_e32 v0, 16, v0
	;;#ASMSTART
	v_cvt_f32_f16 v99, v1;
	;;#ASMEND
	;;#ASMSTART
	v_cvt_f32_f16 v100, v0;
	;;#ASMEND
	flat_load_dwordx2 v[11:12], v[9:10] offset:1536
	flat_load_dword v0, v[22:23]
	v_mov_b32_e32 v1, 0
	v_mov_b32_e32 v18, 0
	s_waitcnt vmcnt(1) lgkmcnt(1)
	v_cmp_ne_u16_sdwa s4, v11, v4 src0_sel:BYTE_0 src1_sel:DWORD
	s_and_saveexec_b32 s15, s4
	s_cbranch_execz .LBB294_1328
; %bb.1321:                             ;   in Loop: Header=BB294_924 Depth=1
	v_cmp_ne_u16_sdwa s4, v11, v49 src0_sel:BYTE_0 src1_sel:DWORD
	v_mov_b32_e32 v18, 0x8000
	s_and_saveexec_b32 s18, s4
	s_cbranch_execz .LBB294_1327
; %bb.1322:                             ;   in Loop: Header=BB294_924 Depth=1
	v_and_b32_e32 v19, 0x7f, v11
	v_mov_b32_e32 v18, 0x7c01
	s_mov_b32 s19, exec_lo
	v_cmpx_ne_u32_e32 0x7f, v19
	s_cbranch_execz .LBB294_1326
; %bb.1323:                             ;   in Loop: Header=BB294_924 Depth=1
	v_and_b32_e32 v2, 7, v11
	v_lshrrev_b32_e32 v3, 3, v19
	s_mov_b32 s20, exec_lo
	v_cmpx_gt_u32_e32 8, v19
; %bb.1324:                             ;   in Loop: Header=BB294_924 Depth=1
	v_ffbh_u32_e32 v2, v2
	v_min_u32_e32 v18, 32, v2
	v_subrev_nc_u32_e32 v2, 28, v18
	v_lshlrev_b64 v[2:3], v2, v[11:12]
	v_sub_nc_u32_e32 v3, 29, v18
	v_and_b32_e32 v2, 7, v2
; %bb.1325:                             ;   in Loop: Header=BB294_924 Depth=1
	s_or_b32 exec_lo, exec_lo, s20
	v_lshlrev_b32_e32 v18, 8, v11
	v_lshl_add_u32 v3, v3, 10, 0x2000
	v_lshlrev_b32_e32 v2, 7, v2
	v_and_b32_e32 v18, 0x8000, v18
	v_and_b32_e32 v3, 0xfc00, v3
	v_or3_b32 v18, v18, v3, v2
.LBB294_1326:                           ;   in Loop: Header=BB294_924 Depth=1
	s_or_b32 exec_lo, exec_lo, s19
.LBB294_1327:                           ;   in Loop: Header=BB294_924 Depth=1
	s_or_b32 exec_lo, exec_lo, s18
.LBB294_1328:                           ;   in Loop: Header=BB294_924 Depth=1
	s_or_b32 exec_lo, exec_lo, s15
	v_lshrrev_b16 v3, 8, v11
	s_mov_b32 s15, exec_lo
	v_cmpx_ne_u16_e32 0, v3
	s_cbranch_execz .LBB294_1336
; %bb.1329:                             ;   in Loop: Header=BB294_924 Depth=1
	v_bfrev_b32_e32 v1, 1
	s_mov_b32 s18, exec_lo
	v_cmpx_ne_u16_e32 0x80, v3
	s_cbranch_execz .LBB294_1335
; %bb.1330:                             ;   in Loop: Header=BB294_924 Depth=1
	v_and_b32_sdwa v19, v3, v50 dst_sel:DWORD dst_unused:UNUSED_PAD src0_sel:WORD_0 src1_sel:DWORD
	v_mov_b32_e32 v1, 0x7c010000
	s_mov_b32 s19, exec_lo
	v_cmpx_ne_u32_e32 0x7f, v19
	s_cbranch_execz .LBB294_1334
; %bb.1331:                             ;   in Loop: Header=BB294_924 Depth=1
	v_and_b32_sdwa v1, v3, v51 dst_sel:DWORD dst_unused:UNUSED_PAD src0_sel:WORD_0 src1_sel:DWORD
	v_lshrrev_b32_e32 v2, 3, v19
	s_mov_b32 s20, exec_lo
	v_cmpx_gt_u32_e32 8, v19
; %bb.1332:                             ;   in Loop: Header=BB294_924 Depth=1
	v_ffbh_u32_e32 v1, v1
	v_min_u32_e32 v19, 32, v1
	v_subrev_nc_u32_e32 v1, 28, v19
	v_lshlrev_b64 v[1:2], v1, v[3:4]
	v_sub_nc_u32_e32 v2, 29, v19
	v_and_b32_e32 v1, 7, v1
; %bb.1333:                             ;   in Loop: Header=BB294_924 Depth=1
	s_or_b32 exec_lo, exec_lo, s20
	v_lshlrev_b32_sdwa v3, v52, v3 dst_sel:DWORD dst_unused:UNUSED_PAD src0_sel:DWORD src1_sel:WORD_0
	v_lshl_add_u32 v2, v2, 10, 0x2000
	v_lshlrev_b32_e32 v1, 23, v1
	v_and_or_b32 v2, 0x8000, v3, v2
	v_lshl_or_b32 v1, v2, 16, v1
.LBB294_1334:                           ;   in Loop: Header=BB294_924 Depth=1
	s_or_b32 exec_lo, exec_lo, s19
.LBB294_1335:                           ;   in Loop: Header=BB294_924 Depth=1
	s_or_b32 exec_lo, exec_lo, s18
.LBB294_1336:                           ;   in Loop: Header=BB294_924 Depth=1
	s_or_b32 exec_lo, exec_lo, s15
	v_lshrrev_b32_e32 v2, 16, v11
	v_mov_b32_e32 v19, 0
	v_mov_b32_e32 v26, 0
	v_cmp_ne_u16_sdwa s4, v2, v4 src0_sel:BYTE_0 src1_sel:DWORD
	s_and_saveexec_b32 s15, s4
	s_cbranch_execz .LBB294_1344
; %bb.1337:                             ;   in Loop: Header=BB294_924 Depth=1
	v_cmp_ne_u16_sdwa s4, v2, v49 src0_sel:BYTE_0 src1_sel:DWORD
	v_mov_b32_e32 v26, 0x8000
	s_and_saveexec_b32 s18, s4
	s_cbranch_execz .LBB294_1343
; %bb.1338:                             ;   in Loop: Header=BB294_924 Depth=1
	v_bfe_u32 v27, v11, 16, 7
	v_mov_b32_e32 v26, 0x7c01
	s_mov_b32 s19, exec_lo
	v_cmpx_ne_u32_e32 0x7f, v27
	s_cbranch_execz .LBB294_1342
; %bb.1339:                             ;   in Loop: Header=BB294_924 Depth=1
	v_and_b32_e32 v3, 7, v2
	v_lshrrev_b32_e32 v26, 3, v27
	s_mov_b32 s20, exec_lo
	v_cmpx_gt_u32_e32 8, v27
; %bb.1340:                             ;   in Loop: Header=BB294_924 Depth=1
	v_ffbh_u32_e32 v3, v3
	v_min_u32_e32 v3, 32, v3
	v_subrev_nc_u32_e32 v26, 28, v3
	v_lshlrev_b64 v[101:102], v26, v[2:3]
	v_sub_nc_u32_e32 v26, 29, v3
	v_and_b32_e32 v3, 7, v101
; %bb.1341:                             ;   in Loop: Header=BB294_924 Depth=1
	s_or_b32 exec_lo, exec_lo, s20
	v_lshlrev_b32_e32 v2, 8, v2
	v_lshl_add_u32 v26, v26, 10, 0x2000
	v_lshlrev_b32_e32 v3, 7, v3
	v_and_b32_e32 v2, 0x8000, v2
	v_and_b32_e32 v26, 0xfc00, v26
	v_or3_b32 v26, v2, v26, v3
.LBB294_1342:                           ;   in Loop: Header=BB294_924 Depth=1
	s_or_b32 exec_lo, exec_lo, s19
.LBB294_1343:                           ;   in Loop: Header=BB294_924 Depth=1
	s_or_b32 exec_lo, exec_lo, s18
.LBB294_1344:                           ;   in Loop: Header=BB294_924 Depth=1
	s_or_b32 exec_lo, exec_lo, s15
	s_mov_b32 s15, exec_lo
	v_cmpx_lt_u32_e32 0xffffff, v11
	s_cbranch_execz .LBB294_1352
; %bb.1345:                             ;   in Loop: Header=BB294_924 Depth=1
	v_lshrrev_b32_e32 v3, 24, v11
	v_bfrev_b32_e32 v19, 1
	s_mov_b32 s18, exec_lo
	v_cmpx_ne_u32_e32 0x80, v3
	s_cbranch_execz .LBB294_1351
; %bb.1346:                             ;   in Loop: Header=BB294_924 Depth=1
	v_and_b32_e32 v27, 0x7f, v3
	v_mov_b32_e32 v19, 0x7c010000
	s_mov_b32 s19, exec_lo
	v_cmpx_ne_u32_e32 0x7f, v27
	s_cbranch_execz .LBB294_1350
; %bb.1347:                             ;   in Loop: Header=BB294_924 Depth=1
	v_and_b32_e32 v2, 7, v3
	v_lshrrev_b32_e32 v19, 3, v27
	s_mov_b32 s20, exec_lo
	v_cmpx_gt_u32_e32 8, v27
; %bb.1348:                             ;   in Loop: Header=BB294_924 Depth=1
	v_ffbh_u32_e32 v2, v2
	v_min_u32_e32 v2, 32, v2
	v_subrev_nc_u32_e32 v19, 28, v2
	v_lshlrev_b64 v[101:102], v19, v[3:4]
	v_sub_nc_u32_e32 v19, 29, v2
	v_and_b32_e32 v2, 7, v101
; %bb.1349:                             ;   in Loop: Header=BB294_924 Depth=1
	s_or_b32 exec_lo, exec_lo, s20
	v_lshlrev_b32_e32 v3, 8, v3
	v_lshl_add_u32 v19, v19, 10, 0x2000
	v_lshlrev_b32_e32 v2, 23, v2
	v_and_or_b32 v3, 0x8000, v3, v19
	v_lshl_or_b32 v19, v3, 16, v2
.LBB294_1350:                           ;   in Loop: Header=BB294_924 Depth=1
	s_or_b32 exec_lo, exec_lo, s19
.LBB294_1351:                           ;   in Loop: Header=BB294_924 Depth=1
	s_or_b32 exec_lo, exec_lo, s18
.LBB294_1352:                           ;   in Loop: Header=BB294_924 Depth=1
	s_or_b32 exec_lo, exec_lo, s15
	v_mov_b32_e32 v3, v12
	v_cmp_ne_u16_sdwa s4, v12, v4 src0_sel:BYTE_0 src1_sel:DWORD
	v_mov_b32_e32 v27, 0
	v_mov_b32_e32 v29, 0
	s_and_saveexec_b32 s15, s4
	s_cbranch_execz .LBB294_1360
; %bb.1353:                             ;   in Loop: Header=BB294_924 Depth=1
	v_cmp_ne_u16_sdwa s4, v12, v49 src0_sel:BYTE_0 src1_sel:DWORD
	v_mov_b32_e32 v29, 0x8000
	s_and_saveexec_b32 s18, s4
	s_cbranch_execz .LBB294_1359
; %bb.1354:                             ;   in Loop: Header=BB294_924 Depth=1
	v_and_b32_e32 v101, 0x7f, v12
	v_mov_b32_e32 v29, 0x7c01
	s_mov_b32 s19, exec_lo
	v_cmpx_ne_u32_e32 0x7f, v101
	s_cbranch_execz .LBB294_1358
; %bb.1355:                             ;   in Loop: Header=BB294_924 Depth=1
	v_and_b32_e32 v2, 7, v12
	v_lshrrev_b32_e32 v29, 3, v101
	s_mov_b32 s20, exec_lo
	v_cmpx_gt_u32_e32 8, v101
; %bb.1356:                             ;   in Loop: Header=BB294_924 Depth=1
	v_ffbh_u32_e32 v2, v2
	v_min_u32_e32 v2, 32, v2
	v_subrev_nc_u32_e32 v29, 28, v2
	v_lshlrev_b64 v[101:102], v29, v[3:4]
	v_sub_nc_u32_e32 v29, 29, v2
	v_and_b32_e32 v2, 7, v101
; %bb.1357:                             ;   in Loop: Header=BB294_924 Depth=1
	s_or_b32 exec_lo, exec_lo, s20
	v_lshlrev_b32_e32 v101, 8, v12
	v_lshl_add_u32 v29, v29, 10, 0x2000
	v_lshlrev_b32_e32 v2, 7, v2
	v_and_b32_e32 v101, 0x8000, v101
	v_and_b32_e32 v29, 0xfc00, v29
	v_or3_b32 v29, v101, v29, v2
.LBB294_1358:                           ;   in Loop: Header=BB294_924 Depth=1
	s_or_b32 exec_lo, exec_lo, s19
.LBB294_1359:                           ;   in Loop: Header=BB294_924 Depth=1
	s_or_b32 exec_lo, exec_lo, s18
.LBB294_1360:                           ;   in Loop: Header=BB294_924 Depth=1
	s_or_b32 exec_lo, exec_lo, s15
	v_lshrrev_b16 v3, 8, v3
	v_mov_b32_e32 v101, 0
	s_mov_b32 s15, exec_lo
	v_cmpx_ne_u16_e32 0, v3
	s_cbranch_execz .LBB294_1368
; %bb.1361:                             ;   in Loop: Header=BB294_924 Depth=1
	v_bfrev_b32_e32 v101, 1
	s_mov_b32 s18, exec_lo
	v_cmpx_ne_u16_e32 0x80, v3
	s_cbranch_execz .LBB294_1367
; %bb.1362:                             ;   in Loop: Header=BB294_924 Depth=1
	v_and_b32_sdwa v102, v3, v50 dst_sel:DWORD dst_unused:UNUSED_PAD src0_sel:WORD_0 src1_sel:DWORD
	v_mov_b32_e32 v101, 0x7c010000
	s_mov_b32 s19, exec_lo
	v_cmpx_ne_u32_e32 0x7f, v102
	s_cbranch_execz .LBB294_1366
; %bb.1363:                             ;   in Loop: Header=BB294_924 Depth=1
	v_and_b32_sdwa v2, v3, v51 dst_sel:DWORD dst_unused:UNUSED_PAD src0_sel:WORD_0 src1_sel:DWORD
	v_lshrrev_b32_e32 v101, 3, v102
	s_mov_b32 s20, exec_lo
	v_cmpx_gt_u32_e32 8, v102
; %bb.1364:                             ;   in Loop: Header=BB294_924 Depth=1
	v_ffbh_u32_e32 v2, v2
	v_min_u32_e32 v2, 32, v2
	v_subrev_nc_u32_e32 v101, 28, v2
	v_lshlrev_b64 v[102:103], v101, v[3:4]
	v_sub_nc_u32_e32 v101, 29, v2
	v_and_b32_e32 v2, 7, v102
; %bb.1365:                             ;   in Loop: Header=BB294_924 Depth=1
	s_or_b32 exec_lo, exec_lo, s20
	v_lshlrev_b32_sdwa v3, v52, v3 dst_sel:DWORD dst_unused:UNUSED_PAD src0_sel:DWORD src1_sel:WORD_0
	v_lshl_add_u32 v101, v101, 10, 0x2000
	v_lshlrev_b32_e32 v2, 23, v2
	v_and_or_b32 v3, 0x8000, v3, v101
	v_lshl_or_b32 v101, v3, 16, v2
.LBB294_1366:                           ;   in Loop: Header=BB294_924 Depth=1
	s_or_b32 exec_lo, exec_lo, s19
.LBB294_1367:                           ;   in Loop: Header=BB294_924 Depth=1
	s_or_b32 exec_lo, exec_lo, s18
.LBB294_1368:                           ;   in Loop: Header=BB294_924 Depth=1
	s_or_b32 exec_lo, exec_lo, s15
	v_lshrrev_b32_e32 v2, 16, v12
	v_cmp_ne_u16_sdwa s4, v2, v4 src0_sel:BYTE_0 src1_sel:DWORD
	s_and_saveexec_b32 s15, s4
	s_cbranch_execz .LBB294_1376
; %bb.1369:                             ;   in Loop: Header=BB294_924 Depth=1
	v_cmp_ne_u16_sdwa s4, v2, v49 src0_sel:BYTE_0 src1_sel:DWORD
	v_mov_b32_e32 v27, 0x8000
	s_and_saveexec_b32 s18, s4
	s_cbranch_execz .LBB294_1375
; %bb.1370:                             ;   in Loop: Header=BB294_924 Depth=1
	v_bfe_u32 v102, v12, 16, 7
	v_mov_b32_e32 v27, 0x7c01
	s_mov_b32 s19, exec_lo
	v_cmpx_ne_u32_e32 0x7f, v102
	s_cbranch_execz .LBB294_1374
; %bb.1371:                             ;   in Loop: Header=BB294_924 Depth=1
	v_and_b32_e32 v3, 7, v2
	v_lshrrev_b32_e32 v27, 3, v102
	s_mov_b32 s20, exec_lo
	v_cmpx_gt_u32_e32 8, v102
; %bb.1372:                             ;   in Loop: Header=BB294_924 Depth=1
	v_ffbh_u32_e32 v3, v3
	v_min_u32_e32 v3, 32, v3
	v_subrev_nc_u32_e32 v27, 28, v3
	v_lshlrev_b64 v[102:103], v27, v[2:3]
	v_sub_nc_u32_e32 v27, 29, v3
	v_and_b32_e32 v3, 7, v102
; %bb.1373:                             ;   in Loop: Header=BB294_924 Depth=1
	s_or_b32 exec_lo, exec_lo, s20
	v_lshlrev_b32_e32 v2, 8, v2
	v_lshl_add_u32 v27, v27, 10, 0x2000
	v_lshlrev_b32_e32 v3, 7, v3
	v_and_b32_e32 v2, 0x8000, v2
	v_and_b32_e32 v27, 0xfc00, v27
	v_or3_b32 v27, v2, v27, v3
.LBB294_1374:                           ;   in Loop: Header=BB294_924 Depth=1
	s_or_b32 exec_lo, exec_lo, s19
.LBB294_1375:                           ;   in Loop: Header=BB294_924 Depth=1
	s_or_b32 exec_lo, exec_lo, s18
.LBB294_1376:                           ;   in Loop: Header=BB294_924 Depth=1
	s_or_b32 exec_lo, exec_lo, s15
	v_mov_b32_e32 v2, 0
	s_mov_b32 s15, exec_lo
	v_cmpx_lt_u64_e64 s[6:7], v[11:12]
	s_cbranch_execz .LBB294_1384
; %bb.1377:                             ;   in Loop: Header=BB294_924 Depth=1
	v_lshrrev_b32_e32 v3, 24, v12
	v_bfrev_b32_e32 v2, 1
	s_mov_b32 s18, exec_lo
	v_cmpx_ne_u32_e32 0x80, v3
	s_cbranch_execz .LBB294_1383
; %bb.1378:                             ;   in Loop: Header=BB294_924 Depth=1
	v_and_b32_e32 v12, 0x7f, v3
	v_mov_b32_e32 v2, 0x7c010000
	s_mov_b32 s19, exec_lo
	v_cmpx_ne_u32_e32 0x7f, v12
	s_cbranch_execz .LBB294_1382
; %bb.1379:                             ;   in Loop: Header=BB294_924 Depth=1
	v_and_b32_e32 v2, 7, v3
	v_lshrrev_b32_e32 v11, 3, v12
	s_mov_b32 s20, exec_lo
	v_cmpx_gt_u32_e32 8, v12
; %bb.1380:                             ;   in Loop: Header=BB294_924 Depth=1
	v_ffbh_u32_e32 v2, v2
	v_min_u32_e32 v2, 32, v2
	v_subrev_nc_u32_e32 v11, 28, v2
	v_lshlrev_b64 v[102:103], v11, v[3:4]
	v_sub_nc_u32_e32 v11, 29, v2
	v_and_b32_e32 v2, 7, v102
; %bb.1381:                             ;   in Loop: Header=BB294_924 Depth=1
	s_or_b32 exec_lo, exec_lo, s20
	v_lshlrev_b32_e32 v3, 8, v3
	v_lshl_add_u32 v11, v11, 10, 0x2000
	v_lshlrev_b32_e32 v2, 23, v2
	v_and_or_b32 v3, 0x8000, v3, v11
	v_lshl_or_b32 v2, v3, 16, v2
.LBB294_1382:                           ;   in Loop: Header=BB294_924 Depth=1
	s_or_b32 exec_lo, exec_lo, s19
.LBB294_1383:                           ;   in Loop: Header=BB294_924 Depth=1
	s_or_b32 exec_lo, exec_lo, s18
.LBB294_1384:                           ;   in Loop: Header=BB294_924 Depth=1
	s_or_b32 exec_lo, exec_lo, s15
	v_or_b32_e32 v3, v19, v26
	s_waitcnt vmcnt(0) lgkmcnt(0)
	v_fma_mixlo_f16 v11, v0, v19, 0 op_sel:[0,1,0] op_sel_hi:[0,1,0]
	v_or_b32_e32 v18, v1, v18
	v_or_b32_e32 v19, v101, v29
	;; [unrolled: 1-line block ×3, first 2 shown]
	v_fma_mixlo_f16 v12, v0, v1, 0 op_sel:[0,1,0] op_sel_hi:[0,1,0]
	v_fma_mixlo_f16 v3, v0, v3, 0 op_sel_hi:[0,1,0]
	v_lshlrev_b32_e32 v1, 16, v11
	v_fma_mixlo_f16 v11, v0, v18, 0 op_sel_hi:[0,1,0]
	v_fma_mixlo_f16 v18, v0, v101, 0 op_sel:[0,1,0] op_sel_hi:[0,1,0]
	v_fma_mixlo_f16 v19, v0, v19, 0 op_sel_hi:[0,1,0]
	v_fma_mixlo_f16 v27, v0, v2, 0 op_sel:[0,1,0] op_sel_hi:[0,1,0]
	v_fma_mixlo_f16 v26, v0, v26, 0 op_sel_hi:[0,1,0]
	v_lshlrev_b32_e32 v12, 16, v12
	v_and_b32_e32 v3, 0xffff, v3
	v_and_b32_e32 v101, 0xffff, v11
	v_lshlrev_b32_e32 v2, 16, v18
	v_and_b32_e32 v19, 0xffff, v19
	v_lshlrev_b32_e32 v0, 16, v27
	v_and_b32_e32 v11, 0xffff, v26
	v_or_b32_e32 v18, v1, v3
	v_or_b32_e32 v29, v12, v101
	v_or_b32_e32 v27, v2, v19
	v_or_b32_e32 v26, v0, v11
	s_and_saveexec_b32 s15, vcc_lo
	s_cbranch_execz .LBB294_1386
; %bb.1385:                             ;   in Loop: Header=BB294_924 Depth=1
	v_cmp_lt_i32_e64 s4, v54, v28
	v_cndmask_b32_e64 v18, 0, v101, s4
	v_cmp_lt_i32_e64 s4, v82, v28
	v_cndmask_b32_e64 v12, 0, v12, s4
	v_cmp_lt_i32_e64 s4, v81, v28
	v_or_b32_e32 v29, v18, v12
	v_cndmask_b32_e64 v3, 0, v3, s4
	v_cmp_lt_i32_e64 s4, v80, v28
	v_cndmask_b32_e64 v1, 0, v1, s4
	v_cmp_lt_i32_e64 s4, v71, v28
	v_or_b32_e32 v18, v3, v1
	;; [unrolled: 5-line block ×3, first 2 shown]
	v_cndmask_b32_e64 v11, 0, v11, s4
	v_cmp_lt_i32_e64 s4, v31, v28
	v_cndmask_b32_e64 v0, 0, v0, s4
	v_or_b32_e32 v26, v11, v0
.LBB294_1386:                           ;   in Loop: Header=BB294_924 Depth=1
	s_or_b32 exec_lo, exec_lo, s15
	;;#ASMSTART
	v_pk_mul_f16 v0, v67, v29;

	;;#ASMEND
	;;#ASMSTART
	v_pk_mul_f16 v1, v65, v18;

	;;#ASMEND
	;; [unrolled: 4-line block ×4, first 2 shown]
	;;#ASMSTART
	v_pk_add_f16 v0, v0, v1;

	;;#ASMEND
	;;#ASMSTART
	v_pk_add_f16 v0, v0, v2;

	;;#ASMEND
	;; [unrolled: 4-line block ×3, first 2 shown]
	v_and_b32_e32 v1, 0xffff, v0
	v_lshrrev_b32_e32 v0, 16, v0
	;;#ASMSTART
	v_cvt_f32_f16 v101, v1;
	;;#ASMEND
	;;#ASMSTART
	v_cvt_f32_f16 v102, v0;
	;;#ASMEND
	flat_load_dwordx2 v[11:12], v[9:10] offset:1792
	flat_load_dword v0, v[22:23]
	v_mov_b32_e32 v1, 0
	v_mov_b32_e32 v18, 0
	s_waitcnt vmcnt(1) lgkmcnt(1)
	v_cmp_ne_u16_sdwa s4, v11, v4 src0_sel:BYTE_0 src1_sel:DWORD
	s_and_saveexec_b32 s15, s4
	s_cbranch_execz .LBB294_1394
; %bb.1387:                             ;   in Loop: Header=BB294_924 Depth=1
	v_cmp_ne_u16_sdwa s4, v11, v49 src0_sel:BYTE_0 src1_sel:DWORD
	v_mov_b32_e32 v18, 0x8000
	s_and_saveexec_b32 s18, s4
	s_cbranch_execz .LBB294_1393
; %bb.1388:                             ;   in Loop: Header=BB294_924 Depth=1
	v_and_b32_e32 v19, 0x7f, v11
	v_mov_b32_e32 v18, 0x7c01
	s_mov_b32 s19, exec_lo
	v_cmpx_ne_u32_e32 0x7f, v19
	s_cbranch_execz .LBB294_1392
; %bb.1389:                             ;   in Loop: Header=BB294_924 Depth=1
	v_and_b32_e32 v2, 7, v11
	v_lshrrev_b32_e32 v3, 3, v19
	s_mov_b32 s20, exec_lo
	v_cmpx_gt_u32_e32 8, v19
; %bb.1390:                             ;   in Loop: Header=BB294_924 Depth=1
	v_ffbh_u32_e32 v2, v2
	v_min_u32_e32 v18, 32, v2
	v_subrev_nc_u32_e32 v2, 28, v18
	v_lshlrev_b64 v[2:3], v2, v[11:12]
	v_sub_nc_u32_e32 v3, 29, v18
	v_and_b32_e32 v2, 7, v2
; %bb.1391:                             ;   in Loop: Header=BB294_924 Depth=1
	s_or_b32 exec_lo, exec_lo, s20
	v_lshlrev_b32_e32 v18, 8, v11
	v_lshl_add_u32 v3, v3, 10, 0x2000
	v_lshlrev_b32_e32 v2, 7, v2
	v_and_b32_e32 v18, 0x8000, v18
	v_and_b32_e32 v3, 0xfc00, v3
	v_or3_b32 v18, v18, v3, v2
.LBB294_1392:                           ;   in Loop: Header=BB294_924 Depth=1
	s_or_b32 exec_lo, exec_lo, s19
.LBB294_1393:                           ;   in Loop: Header=BB294_924 Depth=1
	s_or_b32 exec_lo, exec_lo, s18
.LBB294_1394:                           ;   in Loop: Header=BB294_924 Depth=1
	s_or_b32 exec_lo, exec_lo, s15
	v_lshrrev_b16 v3, 8, v11
	s_mov_b32 s15, exec_lo
	v_cmpx_ne_u16_e32 0, v3
	s_cbranch_execz .LBB294_1402
; %bb.1395:                             ;   in Loop: Header=BB294_924 Depth=1
	v_bfrev_b32_e32 v1, 1
	s_mov_b32 s18, exec_lo
	v_cmpx_ne_u16_e32 0x80, v3
	s_cbranch_execz .LBB294_1401
; %bb.1396:                             ;   in Loop: Header=BB294_924 Depth=1
	v_and_b32_sdwa v19, v3, v50 dst_sel:DWORD dst_unused:UNUSED_PAD src0_sel:WORD_0 src1_sel:DWORD
	v_mov_b32_e32 v1, 0x7c010000
	s_mov_b32 s19, exec_lo
	v_cmpx_ne_u32_e32 0x7f, v19
	s_cbranch_execz .LBB294_1400
; %bb.1397:                             ;   in Loop: Header=BB294_924 Depth=1
	v_and_b32_sdwa v1, v3, v51 dst_sel:DWORD dst_unused:UNUSED_PAD src0_sel:WORD_0 src1_sel:DWORD
	v_lshrrev_b32_e32 v2, 3, v19
	s_mov_b32 s20, exec_lo
	v_cmpx_gt_u32_e32 8, v19
; %bb.1398:                             ;   in Loop: Header=BB294_924 Depth=1
	v_ffbh_u32_e32 v1, v1
	v_min_u32_e32 v19, 32, v1
	v_subrev_nc_u32_e32 v1, 28, v19
	v_lshlrev_b64 v[1:2], v1, v[3:4]
	v_sub_nc_u32_e32 v2, 29, v19
	v_and_b32_e32 v1, 7, v1
; %bb.1399:                             ;   in Loop: Header=BB294_924 Depth=1
	s_or_b32 exec_lo, exec_lo, s20
	v_lshlrev_b32_sdwa v3, v52, v3 dst_sel:DWORD dst_unused:UNUSED_PAD src0_sel:DWORD src1_sel:WORD_0
	v_lshl_add_u32 v2, v2, 10, 0x2000
	v_lshlrev_b32_e32 v1, 23, v1
	v_and_or_b32 v2, 0x8000, v3, v2
	v_lshl_or_b32 v1, v2, 16, v1
.LBB294_1400:                           ;   in Loop: Header=BB294_924 Depth=1
	s_or_b32 exec_lo, exec_lo, s19
.LBB294_1401:                           ;   in Loop: Header=BB294_924 Depth=1
	s_or_b32 exec_lo, exec_lo, s18
.LBB294_1402:                           ;   in Loop: Header=BB294_924 Depth=1
	s_or_b32 exec_lo, exec_lo, s15
	v_lshrrev_b32_e32 v2, 16, v11
	v_mov_b32_e32 v19, 0
	v_mov_b32_e32 v26, 0
	v_cmp_ne_u16_sdwa s4, v2, v4 src0_sel:BYTE_0 src1_sel:DWORD
	s_and_saveexec_b32 s15, s4
	s_cbranch_execz .LBB294_1410
; %bb.1403:                             ;   in Loop: Header=BB294_924 Depth=1
	v_cmp_ne_u16_sdwa s4, v2, v49 src0_sel:BYTE_0 src1_sel:DWORD
	v_mov_b32_e32 v26, 0x8000
	s_and_saveexec_b32 s18, s4
	s_cbranch_execz .LBB294_1409
; %bb.1404:                             ;   in Loop: Header=BB294_924 Depth=1
	v_bfe_u32 v27, v11, 16, 7
	v_mov_b32_e32 v26, 0x7c01
	s_mov_b32 s19, exec_lo
	v_cmpx_ne_u32_e32 0x7f, v27
	s_cbranch_execz .LBB294_1408
; %bb.1405:                             ;   in Loop: Header=BB294_924 Depth=1
	v_and_b32_e32 v3, 7, v2
	v_lshrrev_b32_e32 v26, 3, v27
	s_mov_b32 s20, exec_lo
	v_cmpx_gt_u32_e32 8, v27
; %bb.1406:                             ;   in Loop: Header=BB294_924 Depth=1
	v_ffbh_u32_e32 v3, v3
	v_min_u32_e32 v3, 32, v3
	v_subrev_nc_u32_e32 v26, 28, v3
	v_lshlrev_b64 v[112:113], v26, v[2:3]
	v_sub_nc_u32_e32 v26, 29, v3
	v_and_b32_e32 v3, 7, v112
; %bb.1407:                             ;   in Loop: Header=BB294_924 Depth=1
	s_or_b32 exec_lo, exec_lo, s20
	v_lshlrev_b32_e32 v2, 8, v2
	v_lshl_add_u32 v26, v26, 10, 0x2000
	v_lshlrev_b32_e32 v3, 7, v3
	v_and_b32_e32 v2, 0x8000, v2
	v_and_b32_e32 v26, 0xfc00, v26
	v_or3_b32 v26, v2, v26, v3
.LBB294_1408:                           ;   in Loop: Header=BB294_924 Depth=1
	s_or_b32 exec_lo, exec_lo, s19
.LBB294_1409:                           ;   in Loop: Header=BB294_924 Depth=1
	s_or_b32 exec_lo, exec_lo, s18
.LBB294_1410:                           ;   in Loop: Header=BB294_924 Depth=1
	s_or_b32 exec_lo, exec_lo, s15
	s_mov_b32 s15, exec_lo
	v_cmpx_lt_u32_e32 0xffffff, v11
	s_cbranch_execz .LBB294_1418
; %bb.1411:                             ;   in Loop: Header=BB294_924 Depth=1
	v_lshrrev_b32_e32 v3, 24, v11
	v_bfrev_b32_e32 v19, 1
	s_mov_b32 s18, exec_lo
	v_cmpx_ne_u32_e32 0x80, v3
	s_cbranch_execz .LBB294_1417
; %bb.1412:                             ;   in Loop: Header=BB294_924 Depth=1
	v_and_b32_e32 v27, 0x7f, v3
	v_mov_b32_e32 v19, 0x7c010000
	s_mov_b32 s19, exec_lo
	v_cmpx_ne_u32_e32 0x7f, v27
	s_cbranch_execz .LBB294_1416
; %bb.1413:                             ;   in Loop: Header=BB294_924 Depth=1
	v_and_b32_e32 v2, 7, v3
	v_lshrrev_b32_e32 v19, 3, v27
	s_mov_b32 s20, exec_lo
	v_cmpx_gt_u32_e32 8, v27
; %bb.1414:                             ;   in Loop: Header=BB294_924 Depth=1
	v_ffbh_u32_e32 v2, v2
	v_min_u32_e32 v2, 32, v2
	v_subrev_nc_u32_e32 v19, 28, v2
	v_lshlrev_b64 v[112:113], v19, v[3:4]
	v_sub_nc_u32_e32 v19, 29, v2
	v_and_b32_e32 v2, 7, v112
; %bb.1415:                             ;   in Loop: Header=BB294_924 Depth=1
	s_or_b32 exec_lo, exec_lo, s20
	v_lshlrev_b32_e32 v3, 8, v3
	v_lshl_add_u32 v19, v19, 10, 0x2000
	v_lshlrev_b32_e32 v2, 23, v2
	v_and_or_b32 v3, 0x8000, v3, v19
	v_lshl_or_b32 v19, v3, 16, v2
.LBB294_1416:                           ;   in Loop: Header=BB294_924 Depth=1
	s_or_b32 exec_lo, exec_lo, s19
.LBB294_1417:                           ;   in Loop: Header=BB294_924 Depth=1
	s_or_b32 exec_lo, exec_lo, s18
.LBB294_1418:                           ;   in Loop: Header=BB294_924 Depth=1
	s_or_b32 exec_lo, exec_lo, s15
	v_mov_b32_e32 v3, v12
	v_cmp_ne_u16_sdwa s4, v12, v4 src0_sel:BYTE_0 src1_sel:DWORD
	v_mov_b32_e32 v27, 0
	v_mov_b32_e32 v29, 0
	s_and_saveexec_b32 s15, s4
	s_cbranch_execz .LBB294_1426
; %bb.1419:                             ;   in Loop: Header=BB294_924 Depth=1
	v_cmp_ne_u16_sdwa s4, v12, v49 src0_sel:BYTE_0 src1_sel:DWORD
	v_mov_b32_e32 v29, 0x8000
	s_and_saveexec_b32 s18, s4
	s_cbranch_execz .LBB294_1425
; %bb.1420:                             ;   in Loop: Header=BB294_924 Depth=1
	v_and_b32_e32 v103, 0x7f, v12
	v_mov_b32_e32 v29, 0x7c01
	s_mov_b32 s19, exec_lo
	v_cmpx_ne_u32_e32 0x7f, v103
	s_cbranch_execz .LBB294_1424
; %bb.1421:                             ;   in Loop: Header=BB294_924 Depth=1
	v_and_b32_e32 v2, 7, v12
	v_lshrrev_b32_e32 v29, 3, v103
	s_mov_b32 s20, exec_lo
	v_cmpx_gt_u32_e32 8, v103
; %bb.1422:                             ;   in Loop: Header=BB294_924 Depth=1
	v_ffbh_u32_e32 v2, v2
	v_min_u32_e32 v2, 32, v2
	v_subrev_nc_u32_e32 v29, 28, v2
	v_lshlrev_b64 v[112:113], v29, v[3:4]
	v_sub_nc_u32_e32 v29, 29, v2
	v_and_b32_e32 v2, 7, v112
; %bb.1423:                             ;   in Loop: Header=BB294_924 Depth=1
	s_or_b32 exec_lo, exec_lo, s20
	v_lshlrev_b32_e32 v103, 8, v12
	v_lshl_add_u32 v29, v29, 10, 0x2000
	v_lshlrev_b32_e32 v2, 7, v2
	v_and_b32_e32 v103, 0x8000, v103
	v_and_b32_e32 v29, 0xfc00, v29
	v_or3_b32 v29, v103, v29, v2
.LBB294_1424:                           ;   in Loop: Header=BB294_924 Depth=1
	s_or_b32 exec_lo, exec_lo, s19
.LBB294_1425:                           ;   in Loop: Header=BB294_924 Depth=1
	s_or_b32 exec_lo, exec_lo, s18
.LBB294_1426:                           ;   in Loop: Header=BB294_924 Depth=1
	s_or_b32 exec_lo, exec_lo, s15
	v_lshrrev_b16 v3, 8, v3
	v_mov_b32_e32 v103, 0
	s_mov_b32 s15, exec_lo
	v_cmpx_ne_u16_e32 0, v3
	s_cbranch_execz .LBB294_1434
; %bb.1427:                             ;   in Loop: Header=BB294_924 Depth=1
	v_bfrev_b32_e32 v103, 1
	s_mov_b32 s18, exec_lo
	v_cmpx_ne_u16_e32 0x80, v3
	s_cbranch_execz .LBB294_1433
; %bb.1428:                             ;   in Loop: Header=BB294_924 Depth=1
	v_and_b32_sdwa v112, v3, v50 dst_sel:DWORD dst_unused:UNUSED_PAD src0_sel:WORD_0 src1_sel:DWORD
	v_mov_b32_e32 v103, 0x7c010000
	s_mov_b32 s19, exec_lo
	v_cmpx_ne_u32_e32 0x7f, v112
	s_cbranch_execz .LBB294_1432
; %bb.1429:                             ;   in Loop: Header=BB294_924 Depth=1
	v_and_b32_sdwa v2, v3, v51 dst_sel:DWORD dst_unused:UNUSED_PAD src0_sel:WORD_0 src1_sel:DWORD
	v_lshrrev_b32_e32 v103, 3, v112
	s_mov_b32 s20, exec_lo
	v_cmpx_gt_u32_e32 8, v112
; %bb.1430:                             ;   in Loop: Header=BB294_924 Depth=1
	v_ffbh_u32_e32 v2, v2
	v_min_u32_e32 v2, 32, v2
	v_subrev_nc_u32_e32 v103, 28, v2
	v_lshlrev_b64 v[112:113], v103, v[3:4]
	v_sub_nc_u32_e32 v103, 29, v2
	v_and_b32_e32 v2, 7, v112
; %bb.1431:                             ;   in Loop: Header=BB294_924 Depth=1
	s_or_b32 exec_lo, exec_lo, s20
	v_lshlrev_b32_sdwa v3, v52, v3 dst_sel:DWORD dst_unused:UNUSED_PAD src0_sel:DWORD src1_sel:WORD_0
	v_lshl_add_u32 v103, v103, 10, 0x2000
	v_lshlrev_b32_e32 v2, 23, v2
	v_and_or_b32 v3, 0x8000, v3, v103
	v_lshl_or_b32 v103, v3, 16, v2
.LBB294_1432:                           ;   in Loop: Header=BB294_924 Depth=1
	s_or_b32 exec_lo, exec_lo, s19
.LBB294_1433:                           ;   in Loop: Header=BB294_924 Depth=1
	s_or_b32 exec_lo, exec_lo, s18
.LBB294_1434:                           ;   in Loop: Header=BB294_924 Depth=1
	s_or_b32 exec_lo, exec_lo, s15
	v_lshrrev_b32_e32 v2, 16, v12
	v_cmp_ne_u16_sdwa s4, v2, v4 src0_sel:BYTE_0 src1_sel:DWORD
	s_and_saveexec_b32 s15, s4
	s_cbranch_execz .LBB294_1442
; %bb.1435:                             ;   in Loop: Header=BB294_924 Depth=1
	v_cmp_ne_u16_sdwa s4, v2, v49 src0_sel:BYTE_0 src1_sel:DWORD
	v_mov_b32_e32 v27, 0x8000
	s_and_saveexec_b32 s18, s4
	s_cbranch_execz .LBB294_1441
; %bb.1436:                             ;   in Loop: Header=BB294_924 Depth=1
	v_bfe_u32 v112, v12, 16, 7
	v_mov_b32_e32 v27, 0x7c01
	s_mov_b32 s19, exec_lo
	v_cmpx_ne_u32_e32 0x7f, v112
	s_cbranch_execz .LBB294_1440
; %bb.1437:                             ;   in Loop: Header=BB294_924 Depth=1
	v_and_b32_e32 v3, 7, v2
	v_lshrrev_b32_e32 v27, 3, v112
	s_mov_b32 s20, exec_lo
	v_cmpx_gt_u32_e32 8, v112
; %bb.1438:                             ;   in Loop: Header=BB294_924 Depth=1
	v_ffbh_u32_e32 v3, v3
	v_min_u32_e32 v3, 32, v3
	v_subrev_nc_u32_e32 v27, 28, v3
	v_lshlrev_b64 v[112:113], v27, v[2:3]
	v_sub_nc_u32_e32 v27, 29, v3
	v_and_b32_e32 v3, 7, v112
; %bb.1439:                             ;   in Loop: Header=BB294_924 Depth=1
	s_or_b32 exec_lo, exec_lo, s20
	v_lshlrev_b32_e32 v2, 8, v2
	v_lshl_add_u32 v27, v27, 10, 0x2000
	v_lshlrev_b32_e32 v3, 7, v3
	v_and_b32_e32 v2, 0x8000, v2
	v_and_b32_e32 v27, 0xfc00, v27
	v_or3_b32 v27, v2, v27, v3
.LBB294_1440:                           ;   in Loop: Header=BB294_924 Depth=1
	s_or_b32 exec_lo, exec_lo, s19
.LBB294_1441:                           ;   in Loop: Header=BB294_924 Depth=1
	s_or_b32 exec_lo, exec_lo, s18
.LBB294_1442:                           ;   in Loop: Header=BB294_924 Depth=1
	s_or_b32 exec_lo, exec_lo, s15
	v_mov_b32_e32 v2, 0
	s_mov_b32 s15, exec_lo
	v_cmpx_lt_u64_e64 s[6:7], v[11:12]
	s_cbranch_execz .LBB294_1450
; %bb.1443:                             ;   in Loop: Header=BB294_924 Depth=1
	v_lshrrev_b32_e32 v3, 24, v12
	v_bfrev_b32_e32 v2, 1
	s_mov_b32 s18, exec_lo
	v_cmpx_ne_u32_e32 0x80, v3
	s_cbranch_execz .LBB294_1449
; %bb.1444:                             ;   in Loop: Header=BB294_924 Depth=1
	v_and_b32_e32 v12, 0x7f, v3
	v_mov_b32_e32 v2, 0x7c010000
	s_mov_b32 s19, exec_lo
	v_cmpx_ne_u32_e32 0x7f, v12
	s_cbranch_execz .LBB294_1448
; %bb.1445:                             ;   in Loop: Header=BB294_924 Depth=1
	v_and_b32_e32 v2, 7, v3
	v_lshrrev_b32_e32 v11, 3, v12
	s_mov_b32 s20, exec_lo
	v_cmpx_gt_u32_e32 8, v12
; %bb.1446:                             ;   in Loop: Header=BB294_924 Depth=1
	v_ffbh_u32_e32 v2, v2
	v_min_u32_e32 v2, 32, v2
	v_subrev_nc_u32_e32 v11, 28, v2
	v_lshlrev_b64 v[112:113], v11, v[3:4]
	v_sub_nc_u32_e32 v11, 29, v2
	v_and_b32_e32 v2, 7, v112
; %bb.1447:                             ;   in Loop: Header=BB294_924 Depth=1
	s_or_b32 exec_lo, exec_lo, s20
	v_lshlrev_b32_e32 v3, 8, v3
	v_lshl_add_u32 v11, v11, 10, 0x2000
	v_lshlrev_b32_e32 v2, 23, v2
	v_and_or_b32 v3, 0x8000, v3, v11
	v_lshl_or_b32 v2, v3, 16, v2
.LBB294_1448:                           ;   in Loop: Header=BB294_924 Depth=1
	s_or_b32 exec_lo, exec_lo, s19
.LBB294_1449:                           ;   in Loop: Header=BB294_924 Depth=1
	s_or_b32 exec_lo, exec_lo, s18
.LBB294_1450:                           ;   in Loop: Header=BB294_924 Depth=1
	s_or_b32 exec_lo, exec_lo, s15
	v_or_b32_e32 v3, v19, v26
	s_waitcnt vmcnt(0) lgkmcnt(0)
	v_fma_mixlo_f16 v11, v0, v19, 0 op_sel:[0,1,0] op_sel_hi:[0,1,0]
	v_or_b32_e32 v18, v1, v18
	v_or_b32_e32 v19, v103, v29
	;; [unrolled: 1-line block ×3, first 2 shown]
	v_fma_mixlo_f16 v12, v0, v1, 0 op_sel:[0,1,0] op_sel_hi:[0,1,0]
	v_fma_mixlo_f16 v3, v0, v3, 0 op_sel_hi:[0,1,0]
	v_lshlrev_b32_e32 v1, 16, v11
	v_fma_mixlo_f16 v11, v0, v18, 0 op_sel_hi:[0,1,0]
	v_fma_mixlo_f16 v18, v0, v103, 0 op_sel:[0,1,0] op_sel_hi:[0,1,0]
	v_fma_mixlo_f16 v19, v0, v19, 0 op_sel_hi:[0,1,0]
	v_fma_mixlo_f16 v27, v0, v2, 0 op_sel:[0,1,0] op_sel_hi:[0,1,0]
	v_fma_mixlo_f16 v26, v0, v26, 0 op_sel_hi:[0,1,0]
	v_lshlrev_b32_e32 v12, 16, v12
	v_and_b32_e32 v3, 0xffff, v3
	v_and_b32_e32 v103, 0xffff, v11
	v_lshlrev_b32_e32 v2, 16, v18
	v_and_b32_e32 v19, 0xffff, v19
	v_lshlrev_b32_e32 v0, 16, v27
	v_and_b32_e32 v11, 0xffff, v26
	v_or_b32_e32 v18, v1, v3
	v_or_b32_e32 v29, v12, v103
	;; [unrolled: 1-line block ×4, first 2 shown]
	s_and_saveexec_b32 s15, vcc_lo
	s_cbranch_execz .LBB294_1452
; %bb.1451:                             ;   in Loop: Header=BB294_924 Depth=1
	v_cmp_lt_i32_e64 s4, v54, v28
	v_cndmask_b32_e64 v18, 0, v103, s4
	v_cmp_lt_i32_e64 s4, v82, v28
	v_cndmask_b32_e64 v12, 0, v12, s4
	v_cmp_lt_i32_e64 s4, v81, v28
	v_or_b32_e32 v29, v18, v12
	v_cndmask_b32_e64 v3, 0, v3, s4
	v_cmp_lt_i32_e64 s4, v80, v28
	v_cndmask_b32_e64 v1, 0, v1, s4
	v_cmp_lt_i32_e64 s4, v71, v28
	v_or_b32_e32 v18, v3, v1
	;; [unrolled: 5-line block ×3, first 2 shown]
	v_cndmask_b32_e64 v11, 0, v11, s4
	v_cmp_lt_i32_e64 s4, v31, v28
	v_cndmask_b32_e64 v0, 0, v0, s4
	v_or_b32_e32 v26, v11, v0
.LBB294_1452:                           ;   in Loop: Header=BB294_924 Depth=1
	s_or_b32 exec_lo, exec_lo, s15
	v_add_co_u32 v9, s4, 0x800, v9
	;;#ASMSTART
	v_pk_mul_f16 v0, v67, v29;

	;;#ASMEND
	v_add_co_ci_u32_e64 v10, null, 0, v10, s4
	;;#ASMSTART
	v_pk_mul_f16 v1, v65, v18;

	;;#ASMEND
	;;#ASMSTART
	v_pk_mul_f16 v2, v64, v27;

	;;#ASMEND
	;; [unrolled: 4-line block ×3, first 2 shown]
	;;#ASMSTART
	v_pk_add_f16 v0, v0, v1;

	;;#ASMEND
	;;#ASMSTART
	v_pk_add_f16 v0, v0, v2;

	;;#ASMEND
	;;#ASMSTART
	v_pk_add_f16 v0, v0, v3;

	;;#ASMEND
	v_lshrrev_b32_e32 v1, 16, v0
	v_and_b32_e32 v0, 0xffff, v0
	;;#ASMSTART
	v_cvt_f32_f16 v103, v0;
	;;#ASMEND
	;;#ASMSTART
	v_cvt_f32_f16 v112, v1;
	;;#ASMEND
	flat_load_dwordx2 v[11:12], v[9:10]
	flat_load_dword v0, v[22:23]
	v_mov_b32_e32 v1, 0
	v_mov_b32_e32 v18, 0
	s_waitcnt vmcnt(1) lgkmcnt(1)
	v_cmp_ne_u16_sdwa s4, v11, v4 src0_sel:BYTE_0 src1_sel:DWORD
	s_and_saveexec_b32 s15, s4
	s_cbranch_execz .LBB294_1460
; %bb.1453:                             ;   in Loop: Header=BB294_924 Depth=1
	v_cmp_ne_u16_sdwa s4, v11, v49 src0_sel:BYTE_0 src1_sel:DWORD
	v_mov_b32_e32 v18, 0x8000
	s_and_saveexec_b32 s18, s4
	s_cbranch_execz .LBB294_1459
; %bb.1454:                             ;   in Loop: Header=BB294_924 Depth=1
	v_and_b32_e32 v19, 0x7f, v11
	v_mov_b32_e32 v18, 0x7c01
	s_mov_b32 s19, exec_lo
	v_cmpx_ne_u32_e32 0x7f, v19
	s_cbranch_execz .LBB294_1458
; %bb.1455:                             ;   in Loop: Header=BB294_924 Depth=1
	v_and_b32_e32 v2, 7, v11
	v_lshrrev_b32_e32 v3, 3, v19
	s_mov_b32 s20, exec_lo
	v_cmpx_gt_u32_e32 8, v19
; %bb.1456:                             ;   in Loop: Header=BB294_924 Depth=1
	v_ffbh_u32_e32 v2, v2
	v_min_u32_e32 v18, 32, v2
	v_subrev_nc_u32_e32 v2, 28, v18
	v_lshlrev_b64 v[2:3], v2, v[11:12]
	v_sub_nc_u32_e32 v3, 29, v18
	v_and_b32_e32 v2, 7, v2
; %bb.1457:                             ;   in Loop: Header=BB294_924 Depth=1
	s_or_b32 exec_lo, exec_lo, s20
	v_lshlrev_b32_e32 v18, 8, v11
	v_lshl_add_u32 v3, v3, 10, 0x2000
	v_lshlrev_b32_e32 v2, 7, v2
	v_and_b32_e32 v18, 0x8000, v18
	v_and_b32_e32 v3, 0xfc00, v3
	v_or3_b32 v18, v18, v3, v2
.LBB294_1458:                           ;   in Loop: Header=BB294_924 Depth=1
	s_or_b32 exec_lo, exec_lo, s19
.LBB294_1459:                           ;   in Loop: Header=BB294_924 Depth=1
	s_or_b32 exec_lo, exec_lo, s18
.LBB294_1460:                           ;   in Loop: Header=BB294_924 Depth=1
	s_or_b32 exec_lo, exec_lo, s15
	v_lshrrev_b16 v3, 8, v11
	s_mov_b32 s15, exec_lo
	v_cmpx_ne_u16_e32 0, v3
	s_cbranch_execz .LBB294_1468
; %bb.1461:                             ;   in Loop: Header=BB294_924 Depth=1
	v_bfrev_b32_e32 v1, 1
	s_mov_b32 s18, exec_lo
	v_cmpx_ne_u16_e32 0x80, v3
	s_cbranch_execz .LBB294_1467
; %bb.1462:                             ;   in Loop: Header=BB294_924 Depth=1
	v_and_b32_sdwa v19, v3, v50 dst_sel:DWORD dst_unused:UNUSED_PAD src0_sel:WORD_0 src1_sel:DWORD
	v_mov_b32_e32 v1, 0x7c010000
	s_mov_b32 s19, exec_lo
	v_cmpx_ne_u32_e32 0x7f, v19
	s_cbranch_execz .LBB294_1466
; %bb.1463:                             ;   in Loop: Header=BB294_924 Depth=1
	v_and_b32_sdwa v1, v3, v51 dst_sel:DWORD dst_unused:UNUSED_PAD src0_sel:WORD_0 src1_sel:DWORD
	v_lshrrev_b32_e32 v2, 3, v19
	s_mov_b32 s20, exec_lo
	v_cmpx_gt_u32_e32 8, v19
; %bb.1464:                             ;   in Loop: Header=BB294_924 Depth=1
	v_ffbh_u32_e32 v1, v1
	v_min_u32_e32 v19, 32, v1
	v_subrev_nc_u32_e32 v1, 28, v19
	v_lshlrev_b64 v[1:2], v1, v[3:4]
	v_sub_nc_u32_e32 v2, 29, v19
	v_and_b32_e32 v1, 7, v1
; %bb.1465:                             ;   in Loop: Header=BB294_924 Depth=1
	s_or_b32 exec_lo, exec_lo, s20
	v_lshlrev_b32_sdwa v3, v52, v3 dst_sel:DWORD dst_unused:UNUSED_PAD src0_sel:DWORD src1_sel:WORD_0
	v_lshl_add_u32 v2, v2, 10, 0x2000
	v_lshlrev_b32_e32 v1, 23, v1
	v_and_or_b32 v2, 0x8000, v3, v2
	v_lshl_or_b32 v1, v2, 16, v1
.LBB294_1466:                           ;   in Loop: Header=BB294_924 Depth=1
	s_or_b32 exec_lo, exec_lo, s19
.LBB294_1467:                           ;   in Loop: Header=BB294_924 Depth=1
	s_or_b32 exec_lo, exec_lo, s18
.LBB294_1468:                           ;   in Loop: Header=BB294_924 Depth=1
	s_or_b32 exec_lo, exec_lo, s15
	v_lshrrev_b32_e32 v2, 16, v11
	v_mov_b32_e32 v19, 0
	v_mov_b32_e32 v26, 0
	v_cmp_ne_u16_sdwa s4, v2, v4 src0_sel:BYTE_0 src1_sel:DWORD
	s_and_saveexec_b32 s15, s4
	s_cbranch_execz .LBB294_1476
; %bb.1469:                             ;   in Loop: Header=BB294_924 Depth=1
	v_cmp_ne_u16_sdwa s4, v2, v49 src0_sel:BYTE_0 src1_sel:DWORD
	v_mov_b32_e32 v26, 0x8000
	s_and_saveexec_b32 s18, s4
	s_cbranch_execz .LBB294_1475
; %bb.1470:                             ;   in Loop: Header=BB294_924 Depth=1
	v_bfe_u32 v27, v11, 16, 7
	v_mov_b32_e32 v26, 0x7c01
	s_mov_b32 s19, exec_lo
	v_cmpx_ne_u32_e32 0x7f, v27
	s_cbranch_execz .LBB294_1474
; %bb.1471:                             ;   in Loop: Header=BB294_924 Depth=1
	v_and_b32_e32 v3, 7, v2
	v_lshrrev_b32_e32 v26, 3, v27
	s_mov_b32 s20, exec_lo
	v_cmpx_gt_u32_e32 8, v27
; %bb.1472:                             ;   in Loop: Header=BB294_924 Depth=1
	v_ffbh_u32_e32 v3, v3
	v_min_u32_e32 v3, 32, v3
	v_subrev_nc_u32_e32 v26, 28, v3
	v_lshlrev_b64 v[113:114], v26, v[2:3]
	v_sub_nc_u32_e32 v26, 29, v3
	v_and_b32_e32 v3, 7, v113
; %bb.1473:                             ;   in Loop: Header=BB294_924 Depth=1
	s_or_b32 exec_lo, exec_lo, s20
	v_lshlrev_b32_e32 v2, 8, v2
	v_lshl_add_u32 v26, v26, 10, 0x2000
	v_lshlrev_b32_e32 v3, 7, v3
	v_and_b32_e32 v2, 0x8000, v2
	v_and_b32_e32 v26, 0xfc00, v26
	v_or3_b32 v26, v2, v26, v3
.LBB294_1474:                           ;   in Loop: Header=BB294_924 Depth=1
	s_or_b32 exec_lo, exec_lo, s19
.LBB294_1475:                           ;   in Loop: Header=BB294_924 Depth=1
	s_or_b32 exec_lo, exec_lo, s18
.LBB294_1476:                           ;   in Loop: Header=BB294_924 Depth=1
	s_or_b32 exec_lo, exec_lo, s15
	s_mov_b32 s15, exec_lo
	v_cmpx_lt_u32_e32 0xffffff, v11
	s_cbranch_execz .LBB294_1484
; %bb.1477:                             ;   in Loop: Header=BB294_924 Depth=1
	v_lshrrev_b32_e32 v3, 24, v11
	v_bfrev_b32_e32 v19, 1
	s_mov_b32 s18, exec_lo
	v_cmpx_ne_u32_e32 0x80, v3
	s_cbranch_execz .LBB294_1483
; %bb.1478:                             ;   in Loop: Header=BB294_924 Depth=1
	v_and_b32_e32 v27, 0x7f, v3
	v_mov_b32_e32 v19, 0x7c010000
	s_mov_b32 s19, exec_lo
	v_cmpx_ne_u32_e32 0x7f, v27
	s_cbranch_execz .LBB294_1482
; %bb.1479:                             ;   in Loop: Header=BB294_924 Depth=1
	v_and_b32_e32 v2, 7, v3
	v_lshrrev_b32_e32 v19, 3, v27
	s_mov_b32 s20, exec_lo
	v_cmpx_gt_u32_e32 8, v27
; %bb.1480:                             ;   in Loop: Header=BB294_924 Depth=1
	v_ffbh_u32_e32 v2, v2
	v_min_u32_e32 v2, 32, v2
	v_subrev_nc_u32_e32 v19, 28, v2
	v_lshlrev_b64 v[113:114], v19, v[3:4]
	v_sub_nc_u32_e32 v19, 29, v2
	v_and_b32_e32 v2, 7, v113
; %bb.1481:                             ;   in Loop: Header=BB294_924 Depth=1
	s_or_b32 exec_lo, exec_lo, s20
	v_lshlrev_b32_e32 v3, 8, v3
	v_lshl_add_u32 v19, v19, 10, 0x2000
	v_lshlrev_b32_e32 v2, 23, v2
	v_and_or_b32 v3, 0x8000, v3, v19
	v_lshl_or_b32 v19, v3, 16, v2
.LBB294_1482:                           ;   in Loop: Header=BB294_924 Depth=1
	s_or_b32 exec_lo, exec_lo, s19
.LBB294_1483:                           ;   in Loop: Header=BB294_924 Depth=1
	s_or_b32 exec_lo, exec_lo, s18
.LBB294_1484:                           ;   in Loop: Header=BB294_924 Depth=1
	s_or_b32 exec_lo, exec_lo, s15
	v_mov_b32_e32 v3, v12
	v_cmp_ne_u16_sdwa s4, v12, v4 src0_sel:BYTE_0 src1_sel:DWORD
	v_mov_b32_e32 v27, 0
	v_mov_b32_e32 v29, 0
	s_and_saveexec_b32 s15, s4
	s_cbranch_execz .LBB294_1492
; %bb.1485:                             ;   in Loop: Header=BB294_924 Depth=1
	v_cmp_ne_u16_sdwa s4, v12, v49 src0_sel:BYTE_0 src1_sel:DWORD
	v_mov_b32_e32 v29, 0x8000
	s_and_saveexec_b32 s18, s4
	s_cbranch_execz .LBB294_1491
; %bb.1486:                             ;   in Loop: Header=BB294_924 Depth=1
	v_and_b32_e32 v113, 0x7f, v12
	v_mov_b32_e32 v29, 0x7c01
	s_mov_b32 s19, exec_lo
	v_cmpx_ne_u32_e32 0x7f, v113
	s_cbranch_execz .LBB294_1490
; %bb.1487:                             ;   in Loop: Header=BB294_924 Depth=1
	v_and_b32_e32 v2, 7, v12
	v_lshrrev_b32_e32 v29, 3, v113
	s_mov_b32 s20, exec_lo
	v_cmpx_gt_u32_e32 8, v113
; %bb.1488:                             ;   in Loop: Header=BB294_924 Depth=1
	v_ffbh_u32_e32 v2, v2
	v_min_u32_e32 v2, 32, v2
	v_subrev_nc_u32_e32 v29, 28, v2
	v_lshlrev_b64 v[113:114], v29, v[3:4]
	v_sub_nc_u32_e32 v29, 29, v2
	v_and_b32_e32 v2, 7, v113
; %bb.1489:                             ;   in Loop: Header=BB294_924 Depth=1
	s_or_b32 exec_lo, exec_lo, s20
	v_lshlrev_b32_e32 v113, 8, v12
	v_lshl_add_u32 v29, v29, 10, 0x2000
	v_lshlrev_b32_e32 v2, 7, v2
	v_and_b32_e32 v113, 0x8000, v113
	v_and_b32_e32 v29, 0xfc00, v29
	v_or3_b32 v29, v113, v29, v2
.LBB294_1490:                           ;   in Loop: Header=BB294_924 Depth=1
	s_or_b32 exec_lo, exec_lo, s19
.LBB294_1491:                           ;   in Loop: Header=BB294_924 Depth=1
	s_or_b32 exec_lo, exec_lo, s18
.LBB294_1492:                           ;   in Loop: Header=BB294_924 Depth=1
	s_or_b32 exec_lo, exec_lo, s15
	v_lshrrev_b16 v3, 8, v3
	v_mov_b32_e32 v113, 0
	s_mov_b32 s15, exec_lo
	v_cmpx_ne_u16_e32 0, v3
	s_cbranch_execz .LBB294_1500
; %bb.1493:                             ;   in Loop: Header=BB294_924 Depth=1
	v_bfrev_b32_e32 v113, 1
	s_mov_b32 s18, exec_lo
	v_cmpx_ne_u16_e32 0x80, v3
	s_cbranch_execz .LBB294_1499
; %bb.1494:                             ;   in Loop: Header=BB294_924 Depth=1
	v_and_b32_sdwa v114, v3, v50 dst_sel:DWORD dst_unused:UNUSED_PAD src0_sel:WORD_0 src1_sel:DWORD
	v_mov_b32_e32 v113, 0x7c010000
	s_mov_b32 s19, exec_lo
	v_cmpx_ne_u32_e32 0x7f, v114
	s_cbranch_execz .LBB294_1498
; %bb.1495:                             ;   in Loop: Header=BB294_924 Depth=1
	v_and_b32_sdwa v2, v3, v51 dst_sel:DWORD dst_unused:UNUSED_PAD src0_sel:WORD_0 src1_sel:DWORD
	v_lshrrev_b32_e32 v113, 3, v114
	s_mov_b32 s20, exec_lo
	v_cmpx_gt_u32_e32 8, v114
; %bb.1496:                             ;   in Loop: Header=BB294_924 Depth=1
	v_ffbh_u32_e32 v2, v2
	v_min_u32_e32 v2, 32, v2
	v_subrev_nc_u32_e32 v113, 28, v2
	v_lshlrev_b64 v[114:115], v113, v[3:4]
	v_sub_nc_u32_e32 v113, 29, v2
	v_and_b32_e32 v2, 7, v114
; %bb.1497:                             ;   in Loop: Header=BB294_924 Depth=1
	s_or_b32 exec_lo, exec_lo, s20
	v_lshlrev_b32_sdwa v3, v52, v3 dst_sel:DWORD dst_unused:UNUSED_PAD src0_sel:DWORD src1_sel:WORD_0
	v_lshl_add_u32 v113, v113, 10, 0x2000
	v_lshlrev_b32_e32 v2, 23, v2
	v_and_or_b32 v3, 0x8000, v3, v113
	v_lshl_or_b32 v113, v3, 16, v2
.LBB294_1498:                           ;   in Loop: Header=BB294_924 Depth=1
	s_or_b32 exec_lo, exec_lo, s19
.LBB294_1499:                           ;   in Loop: Header=BB294_924 Depth=1
	s_or_b32 exec_lo, exec_lo, s18
.LBB294_1500:                           ;   in Loop: Header=BB294_924 Depth=1
	s_or_b32 exec_lo, exec_lo, s15
	v_lshrrev_b32_e32 v2, 16, v12
	v_cmp_ne_u16_sdwa s4, v2, v4 src0_sel:BYTE_0 src1_sel:DWORD
	s_and_saveexec_b32 s15, s4
	s_cbranch_execz .LBB294_1508
; %bb.1501:                             ;   in Loop: Header=BB294_924 Depth=1
	v_cmp_ne_u16_sdwa s4, v2, v49 src0_sel:BYTE_0 src1_sel:DWORD
	v_mov_b32_e32 v27, 0x8000
	s_and_saveexec_b32 s18, s4
	s_cbranch_execz .LBB294_1507
; %bb.1502:                             ;   in Loop: Header=BB294_924 Depth=1
	v_bfe_u32 v114, v12, 16, 7
	v_mov_b32_e32 v27, 0x7c01
	s_mov_b32 s19, exec_lo
	v_cmpx_ne_u32_e32 0x7f, v114
	s_cbranch_execz .LBB294_1506
; %bb.1503:                             ;   in Loop: Header=BB294_924 Depth=1
	v_and_b32_e32 v3, 7, v2
	v_lshrrev_b32_e32 v27, 3, v114
	s_mov_b32 s20, exec_lo
	v_cmpx_gt_u32_e32 8, v114
; %bb.1504:                             ;   in Loop: Header=BB294_924 Depth=1
	v_ffbh_u32_e32 v3, v3
	v_min_u32_e32 v3, 32, v3
	v_subrev_nc_u32_e32 v27, 28, v3
	v_lshlrev_b64 v[114:115], v27, v[2:3]
	v_sub_nc_u32_e32 v27, 29, v3
	v_and_b32_e32 v3, 7, v114
; %bb.1505:                             ;   in Loop: Header=BB294_924 Depth=1
	s_or_b32 exec_lo, exec_lo, s20
	v_lshlrev_b32_e32 v2, 8, v2
	v_lshl_add_u32 v27, v27, 10, 0x2000
	v_lshlrev_b32_e32 v3, 7, v3
	v_and_b32_e32 v2, 0x8000, v2
	v_and_b32_e32 v27, 0xfc00, v27
	v_or3_b32 v27, v2, v27, v3
.LBB294_1506:                           ;   in Loop: Header=BB294_924 Depth=1
	s_or_b32 exec_lo, exec_lo, s19
.LBB294_1507:                           ;   in Loop: Header=BB294_924 Depth=1
	s_or_b32 exec_lo, exec_lo, s18
.LBB294_1508:                           ;   in Loop: Header=BB294_924 Depth=1
	s_or_b32 exec_lo, exec_lo, s15
	v_mov_b32_e32 v2, 0
	s_mov_b32 s15, exec_lo
	v_cmpx_lt_u64_e64 s[6:7], v[11:12]
	s_cbranch_execz .LBB294_1516
; %bb.1509:                             ;   in Loop: Header=BB294_924 Depth=1
	v_lshrrev_b32_e32 v3, 24, v12
	v_bfrev_b32_e32 v2, 1
	s_mov_b32 s18, exec_lo
	v_cmpx_ne_u32_e32 0x80, v3
	s_cbranch_execz .LBB294_1515
; %bb.1510:                             ;   in Loop: Header=BB294_924 Depth=1
	v_and_b32_e32 v12, 0x7f, v3
	v_mov_b32_e32 v2, 0x7c010000
	s_mov_b32 s19, exec_lo
	v_cmpx_ne_u32_e32 0x7f, v12
	s_cbranch_execz .LBB294_1514
; %bb.1511:                             ;   in Loop: Header=BB294_924 Depth=1
	v_and_b32_e32 v2, 7, v3
	v_lshrrev_b32_e32 v11, 3, v12
	s_mov_b32 s20, exec_lo
	v_cmpx_gt_u32_e32 8, v12
; %bb.1512:                             ;   in Loop: Header=BB294_924 Depth=1
	v_ffbh_u32_e32 v2, v2
	v_min_u32_e32 v2, 32, v2
	v_subrev_nc_u32_e32 v11, 28, v2
	v_lshlrev_b64 v[114:115], v11, v[3:4]
	v_sub_nc_u32_e32 v11, 29, v2
	v_and_b32_e32 v2, 7, v114
; %bb.1513:                             ;   in Loop: Header=BB294_924 Depth=1
	s_or_b32 exec_lo, exec_lo, s20
	v_lshlrev_b32_e32 v3, 8, v3
	v_lshl_add_u32 v11, v11, 10, 0x2000
	v_lshlrev_b32_e32 v2, 23, v2
	v_and_or_b32 v3, 0x8000, v3, v11
	v_lshl_or_b32 v2, v3, 16, v2
.LBB294_1514:                           ;   in Loop: Header=BB294_924 Depth=1
	s_or_b32 exec_lo, exec_lo, s19
.LBB294_1515:                           ;   in Loop: Header=BB294_924 Depth=1
	s_or_b32 exec_lo, exec_lo, s18
.LBB294_1516:                           ;   in Loop: Header=BB294_924 Depth=1
	s_or_b32 exec_lo, exec_lo, s15
	v_or_b32_e32 v3, v19, v26
	s_waitcnt vmcnt(0) lgkmcnt(0)
	v_fma_mixlo_f16 v11, v0, v19, 0 op_sel:[0,1,0] op_sel_hi:[0,1,0]
	v_or_b32_e32 v18, v1, v18
	v_or_b32_e32 v19, v113, v29
	;; [unrolled: 1-line block ×3, first 2 shown]
	v_fma_mixlo_f16 v12, v0, v1, 0 op_sel:[0,1,0] op_sel_hi:[0,1,0]
	v_fma_mixlo_f16 v3, v0, v3, 0 op_sel_hi:[0,1,0]
	v_lshlrev_b32_e32 v1, 16, v11
	v_fma_mixlo_f16 v11, v0, v18, 0 op_sel_hi:[0,1,0]
	v_fma_mixlo_f16 v18, v0, v113, 0 op_sel:[0,1,0] op_sel_hi:[0,1,0]
	v_fma_mixlo_f16 v19, v0, v19, 0 op_sel_hi:[0,1,0]
	v_fma_mixlo_f16 v27, v0, v2, 0 op_sel:[0,1,0] op_sel_hi:[0,1,0]
	v_fma_mixlo_f16 v26, v0, v26, 0 op_sel_hi:[0,1,0]
	v_lshlrev_b32_e32 v12, 16, v12
	v_and_b32_e32 v3, 0xffff, v3
	v_and_b32_e32 v113, 0xffff, v11
	v_lshlrev_b32_e32 v2, 16, v18
	v_and_b32_e32 v19, 0xffff, v19
	v_lshlrev_b32_e32 v0, 16, v27
	v_and_b32_e32 v11, 0xffff, v26
	v_or_b32_e32 v18, v1, v3
	v_or_b32_e32 v29, v12, v113
	;; [unrolled: 1-line block ×4, first 2 shown]
	s_and_saveexec_b32 s15, vcc_lo
	s_cbranch_execz .LBB294_1518
; %bb.1517:                             ;   in Loop: Header=BB294_924 Depth=1
	v_cmp_lt_i32_e64 s4, v54, v28
	v_cndmask_b32_e64 v18, 0, v113, s4
	v_cmp_lt_i32_e64 s4, v82, v28
	v_cndmask_b32_e64 v12, 0, v12, s4
	v_cmp_lt_i32_e64 s4, v81, v28
	v_or_b32_e32 v29, v18, v12
	v_cndmask_b32_e64 v3, 0, v3, s4
	v_cmp_lt_i32_e64 s4, v80, v28
	v_cndmask_b32_e64 v1, 0, v1, s4
	v_cmp_lt_i32_e64 s4, v71, v28
	v_or_b32_e32 v18, v3, v1
	;; [unrolled: 5-line block ×3, first 2 shown]
	v_cndmask_b32_e64 v11, 0, v11, s4
	v_cmp_lt_i32_e64 s4, v31, v28
	v_cndmask_b32_e64 v0, 0, v0, s4
	v_or_b32_e32 v26, v11, v0
.LBB294_1518:                           ;   in Loop: Header=BB294_924 Depth=1
	s_or_b32 exec_lo, exec_lo, s15
	;;#ASMSTART
	v_pk_mul_f16 v0, v67, v29;

	;;#ASMEND
	;;#ASMSTART
	v_pk_mul_f16 v1, v65, v18;

	;;#ASMEND
	;;#ASMSTART
	v_pk_mul_f16 v2, v64, v27;

	;;#ASMEND
	;;#ASMSTART
	v_pk_mul_f16 v3, v55, v26;

	;;#ASMEND
	;;#ASMSTART
	v_pk_add_f16 v0, v0, v1;

	;;#ASMEND
	;;#ASMSTART
	v_pk_add_f16 v0, v0, v2;

	;;#ASMEND
	;; [unrolled: 4-line block ×3, first 2 shown]
	v_and_b32_e32 v1, 0xffff, v0
	v_lshrrev_b32_e32 v2, 16, v0
	;;#ASMSTART
	v_cvt_f32_f16 v0, v1;
	;;#ASMEND
	;;#ASMSTART
	v_cvt_f32_f16 v1, v2;
	;;#ASMEND
	flat_load_dwordx2 v[11:12], v[9:10] offset:256
	flat_load_dword v18, v[22:23]
	v_mov_b32_e32 v19, 0
	v_mov_b32_e32 v26, 0
	s_waitcnt vmcnt(1) lgkmcnt(1)
	v_cmp_ne_u16_sdwa s4, v11, v4 src0_sel:BYTE_0 src1_sel:DWORD
	s_and_saveexec_b32 s15, s4
	s_cbranch_execz .LBB294_1526
; %bb.1519:                             ;   in Loop: Header=BB294_924 Depth=1
	v_cmp_ne_u16_sdwa s4, v11, v49 src0_sel:BYTE_0 src1_sel:DWORD
	v_mov_b32_e32 v26, 0x8000
	s_and_saveexec_b32 s18, s4
	s_cbranch_execz .LBB294_1525
; %bb.1520:                             ;   in Loop: Header=BB294_924 Depth=1
	v_and_b32_e32 v27, 0x7f, v11
	v_mov_b32_e32 v26, 0x7c01
	s_mov_b32 s19, exec_lo
	v_cmpx_ne_u32_e32 0x7f, v27
	s_cbranch_execz .LBB294_1524
; %bb.1521:                             ;   in Loop: Header=BB294_924 Depth=1
	v_and_b32_e32 v2, 7, v11
	v_lshrrev_b32_e32 v3, 3, v27
	s_mov_b32 s20, exec_lo
	v_cmpx_gt_u32_e32 8, v27
; %bb.1522:                             ;   in Loop: Header=BB294_924 Depth=1
	v_ffbh_u32_e32 v2, v2
	v_min_u32_e32 v26, 32, v2
	v_subrev_nc_u32_e32 v2, 28, v26
	v_lshlrev_b64 v[2:3], v2, v[11:12]
	v_sub_nc_u32_e32 v3, 29, v26
	v_and_b32_e32 v2, 7, v2
; %bb.1523:                             ;   in Loop: Header=BB294_924 Depth=1
	s_or_b32 exec_lo, exec_lo, s20
	v_lshlrev_b32_e32 v26, 8, v11
	v_lshl_add_u32 v3, v3, 10, 0x2000
	v_lshlrev_b32_e32 v2, 7, v2
	v_and_b32_e32 v26, 0x8000, v26
	v_and_b32_e32 v3, 0xfc00, v3
	v_or3_b32 v26, v26, v3, v2
.LBB294_1524:                           ;   in Loop: Header=BB294_924 Depth=1
	s_or_b32 exec_lo, exec_lo, s19
.LBB294_1525:                           ;   in Loop: Header=BB294_924 Depth=1
	s_or_b32 exec_lo, exec_lo, s18
.LBB294_1526:                           ;   in Loop: Header=BB294_924 Depth=1
	s_or_b32 exec_lo, exec_lo, s15
	v_lshrrev_b16 v3, 8, v11
	s_mov_b32 s15, exec_lo
	v_cmpx_ne_u16_e32 0, v3
	s_cbranch_execz .LBB294_1534
; %bb.1527:                             ;   in Loop: Header=BB294_924 Depth=1
	v_bfrev_b32_e32 v19, 1
	s_mov_b32 s18, exec_lo
	v_cmpx_ne_u16_e32 0x80, v3
	s_cbranch_execz .LBB294_1533
; %bb.1528:                             ;   in Loop: Header=BB294_924 Depth=1
	v_and_b32_sdwa v27, v3, v50 dst_sel:DWORD dst_unused:UNUSED_PAD src0_sel:WORD_0 src1_sel:DWORD
	v_mov_b32_e32 v19, 0x7c010000
	s_mov_b32 s19, exec_lo
	v_cmpx_ne_u32_e32 0x7f, v27
	s_cbranch_execz .LBB294_1532
; %bb.1529:                             ;   in Loop: Header=BB294_924 Depth=1
	v_and_b32_sdwa v2, v3, v51 dst_sel:DWORD dst_unused:UNUSED_PAD src0_sel:WORD_0 src1_sel:DWORD
	v_lshrrev_b32_e32 v19, 3, v27
	s_mov_b32 s20, exec_lo
	v_cmpx_gt_u32_e32 8, v27
; %bb.1530:                             ;   in Loop: Header=BB294_924 Depth=1
	v_ffbh_u32_e32 v2, v2
	v_min_u32_e32 v2, 32, v2
	v_subrev_nc_u32_e32 v19, 28, v2
	v_lshlrev_b64 v[113:114], v19, v[3:4]
	v_sub_nc_u32_e32 v19, 29, v2
	v_and_b32_e32 v2, 7, v113
; %bb.1531:                             ;   in Loop: Header=BB294_924 Depth=1
	s_or_b32 exec_lo, exec_lo, s20
	v_lshlrev_b32_sdwa v3, v52, v3 dst_sel:DWORD dst_unused:UNUSED_PAD src0_sel:DWORD src1_sel:WORD_0
	v_lshl_add_u32 v19, v19, 10, 0x2000
	v_lshlrev_b32_e32 v2, 23, v2
	v_and_or_b32 v3, 0x8000, v3, v19
	v_lshl_or_b32 v19, v3, 16, v2
.LBB294_1532:                           ;   in Loop: Header=BB294_924 Depth=1
	s_or_b32 exec_lo, exec_lo, s19
.LBB294_1533:                           ;   in Loop: Header=BB294_924 Depth=1
	s_or_b32 exec_lo, exec_lo, s18
.LBB294_1534:                           ;   in Loop: Header=BB294_924 Depth=1
	s_or_b32 exec_lo, exec_lo, s15
	v_lshrrev_b32_e32 v2, 16, v11
	v_mov_b32_e32 v27, 0
	v_mov_b32_e32 v29, 0
	v_cmp_ne_u16_sdwa s4, v2, v4 src0_sel:BYTE_0 src1_sel:DWORD
	s_and_saveexec_b32 s15, s4
	s_cbranch_execz .LBB294_1542
; %bb.1535:                             ;   in Loop: Header=BB294_924 Depth=1
	v_cmp_ne_u16_sdwa s4, v2, v49 src0_sel:BYTE_0 src1_sel:DWORD
	v_mov_b32_e32 v29, 0x8000
	s_and_saveexec_b32 s18, s4
	s_cbranch_execz .LBB294_1541
; %bb.1536:                             ;   in Loop: Header=BB294_924 Depth=1
	v_bfe_u32 v113, v11, 16, 7
	v_mov_b32_e32 v29, 0x7c01
	s_mov_b32 s19, exec_lo
	v_cmpx_ne_u32_e32 0x7f, v113
	s_cbranch_execz .LBB294_1540
; %bb.1537:                             ;   in Loop: Header=BB294_924 Depth=1
	v_and_b32_e32 v3, 7, v2
	v_lshrrev_b32_e32 v29, 3, v113
	s_mov_b32 s20, exec_lo
	v_cmpx_gt_u32_e32 8, v113
; %bb.1538:                             ;   in Loop: Header=BB294_924 Depth=1
	v_ffbh_u32_e32 v3, v3
	v_min_u32_e32 v3, 32, v3
	v_subrev_nc_u32_e32 v29, 28, v3
	v_lshlrev_b64 v[113:114], v29, v[2:3]
	v_sub_nc_u32_e32 v29, 29, v3
	v_and_b32_e32 v3, 7, v113
; %bb.1539:                             ;   in Loop: Header=BB294_924 Depth=1
	s_or_b32 exec_lo, exec_lo, s20
	v_lshlrev_b32_e32 v2, 8, v2
	v_lshl_add_u32 v29, v29, 10, 0x2000
	v_lshlrev_b32_e32 v3, 7, v3
	v_and_b32_e32 v2, 0x8000, v2
	v_and_b32_e32 v29, 0xfc00, v29
	v_or3_b32 v29, v2, v29, v3
.LBB294_1540:                           ;   in Loop: Header=BB294_924 Depth=1
	s_or_b32 exec_lo, exec_lo, s19
.LBB294_1541:                           ;   in Loop: Header=BB294_924 Depth=1
	s_or_b32 exec_lo, exec_lo, s18
.LBB294_1542:                           ;   in Loop: Header=BB294_924 Depth=1
	s_or_b32 exec_lo, exec_lo, s15
	s_mov_b32 s15, exec_lo
	v_cmpx_lt_u32_e32 0xffffff, v11
	s_cbranch_execz .LBB294_1550
; %bb.1543:                             ;   in Loop: Header=BB294_924 Depth=1
	v_lshrrev_b32_e32 v3, 24, v11
	v_bfrev_b32_e32 v27, 1
	s_mov_b32 s18, exec_lo
	v_cmpx_ne_u32_e32 0x80, v3
	s_cbranch_execz .LBB294_1549
; %bb.1544:                             ;   in Loop: Header=BB294_924 Depth=1
	v_and_b32_e32 v113, 0x7f, v3
	v_mov_b32_e32 v27, 0x7c010000
	s_mov_b32 s19, exec_lo
	v_cmpx_ne_u32_e32 0x7f, v113
	s_cbranch_execz .LBB294_1548
; %bb.1545:                             ;   in Loop: Header=BB294_924 Depth=1
	v_and_b32_e32 v2, 7, v3
	v_lshrrev_b32_e32 v27, 3, v113
	s_mov_b32 s20, exec_lo
	v_cmpx_gt_u32_e32 8, v113
; %bb.1546:                             ;   in Loop: Header=BB294_924 Depth=1
	v_ffbh_u32_e32 v2, v2
	v_min_u32_e32 v2, 32, v2
	v_subrev_nc_u32_e32 v27, 28, v2
	v_lshlrev_b64 v[113:114], v27, v[3:4]
	v_sub_nc_u32_e32 v27, 29, v2
	v_and_b32_e32 v2, 7, v113
; %bb.1547:                             ;   in Loop: Header=BB294_924 Depth=1
	s_or_b32 exec_lo, exec_lo, s20
	v_lshlrev_b32_e32 v3, 8, v3
	v_lshl_add_u32 v27, v27, 10, 0x2000
	v_lshlrev_b32_e32 v2, 23, v2
	v_and_or_b32 v3, 0x8000, v3, v27
	v_lshl_or_b32 v27, v3, 16, v2
.LBB294_1548:                           ;   in Loop: Header=BB294_924 Depth=1
	s_or_b32 exec_lo, exec_lo, s19
.LBB294_1549:                           ;   in Loop: Header=BB294_924 Depth=1
	s_or_b32 exec_lo, exec_lo, s18
.LBB294_1550:                           ;   in Loop: Header=BB294_924 Depth=1
	s_or_b32 exec_lo, exec_lo, s15
	v_mov_b32_e32 v3, v12
	v_cmp_ne_u16_sdwa s4, v12, v4 src0_sel:BYTE_0 src1_sel:DWORD
	v_mov_b32_e32 v113, 0
	v_mov_b32_e32 v114, 0
	s_and_saveexec_b32 s15, s4
	s_cbranch_execz .LBB294_1558
; %bb.1551:                             ;   in Loop: Header=BB294_924 Depth=1
	v_cmp_ne_u16_sdwa s4, v12, v49 src0_sel:BYTE_0 src1_sel:DWORD
	v_mov_b32_e32 v114, 0x8000
	s_and_saveexec_b32 s18, s4
	s_cbranch_execz .LBB294_1557
; %bb.1552:                             ;   in Loop: Header=BB294_924 Depth=1
	v_and_b32_e32 v115, 0x7f, v12
	v_mov_b32_e32 v114, 0x7c01
	s_mov_b32 s19, exec_lo
	v_cmpx_ne_u32_e32 0x7f, v115
	s_cbranch_execz .LBB294_1556
; %bb.1553:                             ;   in Loop: Header=BB294_924 Depth=1
	v_and_b32_e32 v2, 7, v12
	v_lshrrev_b32_e32 v114, 3, v115
	s_mov_b32 s20, exec_lo
	v_cmpx_gt_u32_e32 8, v115
; %bb.1554:                             ;   in Loop: Header=BB294_924 Depth=1
	v_ffbh_u32_e32 v2, v2
	v_min_u32_e32 v2, 32, v2
	v_subrev_nc_u32_e32 v114, 28, v2
	v_lshlrev_b64 v[115:116], v114, v[3:4]
	v_sub_nc_u32_e32 v114, 29, v2
	v_and_b32_e32 v2, 7, v115
; %bb.1555:                             ;   in Loop: Header=BB294_924 Depth=1
	s_or_b32 exec_lo, exec_lo, s20
	v_lshlrev_b32_e32 v115, 8, v12
	v_lshl_add_u32 v114, v114, 10, 0x2000
	v_lshlrev_b32_e32 v2, 7, v2
	v_and_b32_e32 v115, 0x8000, v115
	v_and_b32_e32 v114, 0xfc00, v114
	v_or3_b32 v114, v115, v114, v2
.LBB294_1556:                           ;   in Loop: Header=BB294_924 Depth=1
	s_or_b32 exec_lo, exec_lo, s19
.LBB294_1557:                           ;   in Loop: Header=BB294_924 Depth=1
	s_or_b32 exec_lo, exec_lo, s18
.LBB294_1558:                           ;   in Loop: Header=BB294_924 Depth=1
	s_or_b32 exec_lo, exec_lo, s15
	v_lshrrev_b16 v3, 8, v3
	v_mov_b32_e32 v115, 0
	s_mov_b32 s15, exec_lo
	v_cmpx_ne_u16_e32 0, v3
	s_cbranch_execz .LBB294_1566
; %bb.1559:                             ;   in Loop: Header=BB294_924 Depth=1
	v_bfrev_b32_e32 v115, 1
	s_mov_b32 s18, exec_lo
	v_cmpx_ne_u16_e32 0x80, v3
	s_cbranch_execz .LBB294_1565
; %bb.1560:                             ;   in Loop: Header=BB294_924 Depth=1
	v_and_b32_sdwa v116, v3, v50 dst_sel:DWORD dst_unused:UNUSED_PAD src0_sel:WORD_0 src1_sel:DWORD
	v_mov_b32_e32 v115, 0x7c010000
	s_mov_b32 s19, exec_lo
	v_cmpx_ne_u32_e32 0x7f, v116
	s_cbranch_execz .LBB294_1564
; %bb.1561:                             ;   in Loop: Header=BB294_924 Depth=1
	v_and_b32_sdwa v2, v3, v51 dst_sel:DWORD dst_unused:UNUSED_PAD src0_sel:WORD_0 src1_sel:DWORD
	v_lshrrev_b32_e32 v115, 3, v116
	s_mov_b32 s20, exec_lo
	v_cmpx_gt_u32_e32 8, v116
; %bb.1562:                             ;   in Loop: Header=BB294_924 Depth=1
	v_ffbh_u32_e32 v2, v2
	v_min_u32_e32 v2, 32, v2
	v_subrev_nc_u32_e32 v115, 28, v2
	v_lshlrev_b64 v[116:117], v115, v[3:4]
	v_sub_nc_u32_e32 v115, 29, v2
	v_and_b32_e32 v2, 7, v116
; %bb.1563:                             ;   in Loop: Header=BB294_924 Depth=1
	s_or_b32 exec_lo, exec_lo, s20
	v_lshlrev_b32_sdwa v3, v52, v3 dst_sel:DWORD dst_unused:UNUSED_PAD src0_sel:DWORD src1_sel:WORD_0
	v_lshl_add_u32 v115, v115, 10, 0x2000
	v_lshlrev_b32_e32 v2, 23, v2
	v_and_or_b32 v3, 0x8000, v3, v115
	v_lshl_or_b32 v115, v3, 16, v2
.LBB294_1564:                           ;   in Loop: Header=BB294_924 Depth=1
	s_or_b32 exec_lo, exec_lo, s19
.LBB294_1565:                           ;   in Loop: Header=BB294_924 Depth=1
	s_or_b32 exec_lo, exec_lo, s18
.LBB294_1566:                           ;   in Loop: Header=BB294_924 Depth=1
	s_or_b32 exec_lo, exec_lo, s15
	v_lshrrev_b32_e32 v2, 16, v12
	v_cmp_ne_u16_sdwa s4, v2, v4 src0_sel:BYTE_0 src1_sel:DWORD
	s_and_saveexec_b32 s15, s4
	s_cbranch_execz .LBB294_1574
; %bb.1567:                             ;   in Loop: Header=BB294_924 Depth=1
	v_cmp_ne_u16_sdwa s4, v2, v49 src0_sel:BYTE_0 src1_sel:DWORD
	v_mov_b32_e32 v113, 0x8000
	s_and_saveexec_b32 s18, s4
	s_cbranch_execz .LBB294_1573
; %bb.1568:                             ;   in Loop: Header=BB294_924 Depth=1
	v_bfe_u32 v116, v12, 16, 7
	v_mov_b32_e32 v113, 0x7c01
	s_mov_b32 s19, exec_lo
	v_cmpx_ne_u32_e32 0x7f, v116
	s_cbranch_execz .LBB294_1572
; %bb.1569:                             ;   in Loop: Header=BB294_924 Depth=1
	v_and_b32_e32 v3, 7, v2
	v_lshrrev_b32_e32 v113, 3, v116
	s_mov_b32 s20, exec_lo
	v_cmpx_gt_u32_e32 8, v116
; %bb.1570:                             ;   in Loop: Header=BB294_924 Depth=1
	v_ffbh_u32_e32 v3, v3
	v_min_u32_e32 v3, 32, v3
	v_subrev_nc_u32_e32 v113, 28, v3
	v_lshlrev_b64 v[116:117], v113, v[2:3]
	v_sub_nc_u32_e32 v113, 29, v3
	v_and_b32_e32 v3, 7, v116
; %bb.1571:                             ;   in Loop: Header=BB294_924 Depth=1
	s_or_b32 exec_lo, exec_lo, s20
	v_lshlrev_b32_e32 v2, 8, v2
	v_lshl_add_u32 v113, v113, 10, 0x2000
	v_lshlrev_b32_e32 v3, 7, v3
	v_and_b32_e32 v2, 0x8000, v2
	v_and_b32_e32 v113, 0xfc00, v113
	v_or3_b32 v113, v2, v113, v3
.LBB294_1572:                           ;   in Loop: Header=BB294_924 Depth=1
	s_or_b32 exec_lo, exec_lo, s19
.LBB294_1573:                           ;   in Loop: Header=BB294_924 Depth=1
	s_or_b32 exec_lo, exec_lo, s18
.LBB294_1574:                           ;   in Loop: Header=BB294_924 Depth=1
	s_or_b32 exec_lo, exec_lo, s15
	v_mov_b32_e32 v2, 0
	s_mov_b32 s15, exec_lo
	v_cmpx_lt_u64_e64 s[6:7], v[11:12]
	s_cbranch_execz .LBB294_1582
; %bb.1575:                             ;   in Loop: Header=BB294_924 Depth=1
	v_lshrrev_b32_e32 v3, 24, v12
	v_bfrev_b32_e32 v2, 1
	s_mov_b32 s18, exec_lo
	v_cmpx_ne_u32_e32 0x80, v3
	s_cbranch_execz .LBB294_1581
; %bb.1576:                             ;   in Loop: Header=BB294_924 Depth=1
	v_and_b32_e32 v12, 0x7f, v3
	v_mov_b32_e32 v2, 0x7c010000
	s_mov_b32 s19, exec_lo
	v_cmpx_ne_u32_e32 0x7f, v12
	s_cbranch_execz .LBB294_1580
; %bb.1577:                             ;   in Loop: Header=BB294_924 Depth=1
	v_and_b32_e32 v2, 7, v3
	v_lshrrev_b32_e32 v11, 3, v12
	s_mov_b32 s20, exec_lo
	v_cmpx_gt_u32_e32 8, v12
; %bb.1578:                             ;   in Loop: Header=BB294_924 Depth=1
	v_ffbh_u32_e32 v2, v2
	v_min_u32_e32 v2, 32, v2
	v_subrev_nc_u32_e32 v11, 28, v2
	v_lshlrev_b64 v[116:117], v11, v[3:4]
	v_sub_nc_u32_e32 v11, 29, v2
	v_and_b32_e32 v2, 7, v116
; %bb.1579:                             ;   in Loop: Header=BB294_924 Depth=1
	s_or_b32 exec_lo, exec_lo, s20
	v_lshlrev_b32_e32 v3, 8, v3
	v_lshl_add_u32 v11, v11, 10, 0x2000
	v_lshlrev_b32_e32 v2, 23, v2
	v_and_or_b32 v3, 0x8000, v3, v11
	v_lshl_or_b32 v2, v3, 16, v2
.LBB294_1580:                           ;   in Loop: Header=BB294_924 Depth=1
	s_or_b32 exec_lo, exec_lo, s19
.LBB294_1581:                           ;   in Loop: Header=BB294_924 Depth=1
	s_or_b32 exec_lo, exec_lo, s18
.LBB294_1582:                           ;   in Loop: Header=BB294_924 Depth=1
	s_or_b32 exec_lo, exec_lo, s15
	v_or_b32_e32 v3, v27, v29
	s_waitcnt vmcnt(0) lgkmcnt(0)
	v_fma_mixlo_f16 v11, v18, v27, 0 op_sel:[0,1,0] op_sel_hi:[0,1,0]
	v_or_b32_e32 v12, v19, v26
	v_or_b32_e32 v26, v115, v114
	;; [unrolled: 1-line block ×3, first 2 shown]
	v_fma_mixlo_f16 v27, v18, v3, 0 op_sel_hi:[0,1,0]
	v_fma_mixlo_f16 v19, v18, v19, 0 op_sel:[0,1,0] op_sel_hi:[0,1,0]
	v_lshlrev_b32_e32 v3, 16, v11
	v_fma_mixlo_f16 v12, v18, v12, 0 op_sel_hi:[0,1,0]
	v_fma_mixlo_f16 v26, v18, v26, 0 op_sel_hi:[0,1,0]
	v_and_b32_e32 v11, 0xffff, v27
	v_fma_mixlo_f16 v27, v18, v115, 0 op_sel:[0,1,0] op_sel_hi:[0,1,0]
	v_fma_mixlo_f16 v2, v18, v2, 0 op_sel:[0,1,0] op_sel_hi:[0,1,0]
	v_fma_mixlo_f16 v18, v18, v29, 0 op_sel_hi:[0,1,0]
	v_lshlrev_b32_e32 v19, 16, v19
	v_and_b32_e32 v115, 0xffff, v12
	v_lshlrev_b32_e32 v12, 16, v27
	v_and_b32_e32 v27, 0xffff, v26
	;; [unrolled: 2-line block ×3, first 2 shown]
	v_or_b32_e32 v26, v3, v11
	v_or_b32_e32 v114, v19, v115
	;; [unrolled: 1-line block ×4, first 2 shown]
	s_and_saveexec_b32 s15, vcc_lo
	s_cbranch_execz .LBB294_1584
; %bb.1583:                             ;   in Loop: Header=BB294_924 Depth=1
	v_cmp_lt_i32_e64 s4, v54, v28
	v_cndmask_b32_e64 v26, 0, v115, s4
	v_cmp_lt_i32_e64 s4, v82, v28
	v_cndmask_b32_e64 v19, 0, v19, s4
	v_cmp_lt_i32_e64 s4, v81, v28
	v_or_b32_e32 v114, v26, v19
	v_cndmask_b32_e64 v11, 0, v11, s4
	v_cmp_lt_i32_e64 s4, v80, v28
	v_cndmask_b32_e64 v3, 0, v3, s4
	v_cmp_lt_i32_e64 s4, v71, v28
	v_or_b32_e32 v26, v11, v3
	;; [unrolled: 5-line block ×3, first 2 shown]
	v_cndmask_b32_e64 v18, 0, v18, s4
	v_cmp_lt_i32_e64 s4, v31, v28
	v_cndmask_b32_e64 v2, 0, v2, s4
	v_or_b32_e32 v29, v18, v2
.LBB294_1584:                           ;   in Loop: Header=BB294_924 Depth=1
	s_or_b32 exec_lo, exec_lo, s15
	;;#ASMSTART
	v_pk_mul_f16 v2, v67, v114;

	;;#ASMEND
	;;#ASMSTART
	v_pk_mul_f16 v3, v65, v26;

	;;#ASMEND
	;; [unrolled: 4-line block ×4, first 2 shown]
	;;#ASMSTART
	v_pk_add_f16 v2, v2, v3;

	;;#ASMEND
	;;#ASMSTART
	v_pk_add_f16 v2, v2, v11;

	;;#ASMEND
	;; [unrolled: 4-line block ×3, first 2 shown]
	v_and_b32_e32 v3, 0xffff, v2
	v_lshrrev_b32_e32 v2, 16, v2
	;;#ASMSTART
	v_cvt_f32_f16 v18, v3;
	;;#ASMEND
	;;#ASMSTART
	v_cvt_f32_f16 v19, v2;
	;;#ASMEND
	flat_load_dwordx2 v[11:12], v[9:10] offset:512
	flat_load_dword v26, v[22:23]
	v_mov_b32_e32 v27, 0
	v_mov_b32_e32 v29, 0
	s_waitcnt vmcnt(1) lgkmcnt(1)
	v_cmp_ne_u16_sdwa s4, v11, v4 src0_sel:BYTE_0 src1_sel:DWORD
	s_and_saveexec_b32 s15, s4
	s_cbranch_execz .LBB294_1592
; %bb.1585:                             ;   in Loop: Header=BB294_924 Depth=1
	v_cmp_ne_u16_sdwa s4, v11, v49 src0_sel:BYTE_0 src1_sel:DWORD
	v_mov_b32_e32 v29, 0x8000
	s_and_saveexec_b32 s18, s4
	s_cbranch_execz .LBB294_1591
; %bb.1586:                             ;   in Loop: Header=BB294_924 Depth=1
	v_and_b32_e32 v113, 0x7f, v11
	v_mov_b32_e32 v29, 0x7c01
	s_mov_b32 s19, exec_lo
	v_cmpx_ne_u32_e32 0x7f, v113
	s_cbranch_execz .LBB294_1590
; %bb.1587:                             ;   in Loop: Header=BB294_924 Depth=1
	v_and_b32_e32 v2, 7, v11
	v_lshrrev_b32_e32 v3, 3, v113
	s_mov_b32 s20, exec_lo
	v_cmpx_gt_u32_e32 8, v113
; %bb.1588:                             ;   in Loop: Header=BB294_924 Depth=1
	v_ffbh_u32_e32 v2, v2
	v_min_u32_e32 v29, 32, v2
	v_subrev_nc_u32_e32 v2, 28, v29
	v_lshlrev_b64 v[2:3], v2, v[11:12]
	v_sub_nc_u32_e32 v3, 29, v29
	v_and_b32_e32 v2, 7, v2
; %bb.1589:                             ;   in Loop: Header=BB294_924 Depth=1
	s_or_b32 exec_lo, exec_lo, s20
	v_lshlrev_b32_e32 v29, 8, v11
	v_lshl_add_u32 v3, v3, 10, 0x2000
	v_lshlrev_b32_e32 v2, 7, v2
	v_and_b32_e32 v29, 0x8000, v29
	v_and_b32_e32 v3, 0xfc00, v3
	v_or3_b32 v29, v29, v3, v2
.LBB294_1590:                           ;   in Loop: Header=BB294_924 Depth=1
	s_or_b32 exec_lo, exec_lo, s19
.LBB294_1591:                           ;   in Loop: Header=BB294_924 Depth=1
	s_or_b32 exec_lo, exec_lo, s18
.LBB294_1592:                           ;   in Loop: Header=BB294_924 Depth=1
	s_or_b32 exec_lo, exec_lo, s15
	v_lshrrev_b16 v3, 8, v11
	s_mov_b32 s15, exec_lo
	v_cmpx_ne_u16_e32 0, v3
	s_cbranch_execz .LBB294_1600
; %bb.1593:                             ;   in Loop: Header=BB294_924 Depth=1
	v_bfrev_b32_e32 v27, 1
	s_mov_b32 s18, exec_lo
	v_cmpx_ne_u16_e32 0x80, v3
	s_cbranch_execz .LBB294_1599
; %bb.1594:                             ;   in Loop: Header=BB294_924 Depth=1
	v_and_b32_sdwa v113, v3, v50 dst_sel:DWORD dst_unused:UNUSED_PAD src0_sel:WORD_0 src1_sel:DWORD
	v_mov_b32_e32 v27, 0x7c010000
	s_mov_b32 s19, exec_lo
	v_cmpx_ne_u32_e32 0x7f, v113
	s_cbranch_execz .LBB294_1598
; %bb.1595:                             ;   in Loop: Header=BB294_924 Depth=1
	v_and_b32_sdwa v2, v3, v51 dst_sel:DWORD dst_unused:UNUSED_PAD src0_sel:WORD_0 src1_sel:DWORD
	v_lshrrev_b32_e32 v27, 3, v113
	s_mov_b32 s20, exec_lo
	v_cmpx_gt_u32_e32 8, v113
; %bb.1596:                             ;   in Loop: Header=BB294_924 Depth=1
	v_ffbh_u32_e32 v2, v2
	v_min_u32_e32 v2, 32, v2
	v_subrev_nc_u32_e32 v27, 28, v2
	v_lshlrev_b64 v[113:114], v27, v[3:4]
	v_sub_nc_u32_e32 v27, 29, v2
	v_and_b32_e32 v2, 7, v113
; %bb.1597:                             ;   in Loop: Header=BB294_924 Depth=1
	s_or_b32 exec_lo, exec_lo, s20
	v_lshlrev_b32_sdwa v3, v52, v3 dst_sel:DWORD dst_unused:UNUSED_PAD src0_sel:DWORD src1_sel:WORD_0
	v_lshl_add_u32 v27, v27, 10, 0x2000
	v_lshlrev_b32_e32 v2, 23, v2
	v_and_or_b32 v3, 0x8000, v3, v27
	v_lshl_or_b32 v27, v3, 16, v2
.LBB294_1598:                           ;   in Loop: Header=BB294_924 Depth=1
	s_or_b32 exec_lo, exec_lo, s19
.LBB294_1599:                           ;   in Loop: Header=BB294_924 Depth=1
	s_or_b32 exec_lo, exec_lo, s18
.LBB294_1600:                           ;   in Loop: Header=BB294_924 Depth=1
	s_or_b32 exec_lo, exec_lo, s15
	v_lshrrev_b32_e32 v2, 16, v11
	v_mov_b32_e32 v113, 0
	v_mov_b32_e32 v114, 0
	v_cmp_ne_u16_sdwa s4, v2, v4 src0_sel:BYTE_0 src1_sel:DWORD
	s_and_saveexec_b32 s15, s4
	s_cbranch_execz .LBB294_1608
; %bb.1601:                             ;   in Loop: Header=BB294_924 Depth=1
	v_cmp_ne_u16_sdwa s4, v2, v49 src0_sel:BYTE_0 src1_sel:DWORD
	v_mov_b32_e32 v114, 0x8000
	s_and_saveexec_b32 s18, s4
	s_cbranch_execz .LBB294_1607
; %bb.1602:                             ;   in Loop: Header=BB294_924 Depth=1
	v_bfe_u32 v115, v11, 16, 7
	v_mov_b32_e32 v114, 0x7c01
	s_mov_b32 s19, exec_lo
	v_cmpx_ne_u32_e32 0x7f, v115
	s_cbranch_execz .LBB294_1606
; %bb.1603:                             ;   in Loop: Header=BB294_924 Depth=1
	v_and_b32_e32 v3, 7, v2
	v_lshrrev_b32_e32 v114, 3, v115
	s_mov_b32 s20, exec_lo
	v_cmpx_gt_u32_e32 8, v115
; %bb.1604:                             ;   in Loop: Header=BB294_924 Depth=1
	v_ffbh_u32_e32 v3, v3
	v_min_u32_e32 v3, 32, v3
	v_subrev_nc_u32_e32 v114, 28, v3
	v_lshlrev_b64 v[115:116], v114, v[2:3]
	v_sub_nc_u32_e32 v114, 29, v3
	v_and_b32_e32 v3, 7, v115
; %bb.1605:                             ;   in Loop: Header=BB294_924 Depth=1
	s_or_b32 exec_lo, exec_lo, s20
	v_lshlrev_b32_e32 v2, 8, v2
	v_lshl_add_u32 v114, v114, 10, 0x2000
	v_lshlrev_b32_e32 v3, 7, v3
	v_and_b32_e32 v2, 0x8000, v2
	v_and_b32_e32 v114, 0xfc00, v114
	v_or3_b32 v114, v2, v114, v3
.LBB294_1606:                           ;   in Loop: Header=BB294_924 Depth=1
	s_or_b32 exec_lo, exec_lo, s19
.LBB294_1607:                           ;   in Loop: Header=BB294_924 Depth=1
	s_or_b32 exec_lo, exec_lo, s18
.LBB294_1608:                           ;   in Loop: Header=BB294_924 Depth=1
	s_or_b32 exec_lo, exec_lo, s15
	s_mov_b32 s15, exec_lo
	v_cmpx_lt_u32_e32 0xffffff, v11
	s_cbranch_execz .LBB294_1616
; %bb.1609:                             ;   in Loop: Header=BB294_924 Depth=1
	v_lshrrev_b32_e32 v3, 24, v11
	v_bfrev_b32_e32 v113, 1
	s_mov_b32 s18, exec_lo
	v_cmpx_ne_u32_e32 0x80, v3
	s_cbranch_execz .LBB294_1615
; %bb.1610:                             ;   in Loop: Header=BB294_924 Depth=1
	v_and_b32_e32 v115, 0x7f, v3
	v_mov_b32_e32 v113, 0x7c010000
	s_mov_b32 s19, exec_lo
	v_cmpx_ne_u32_e32 0x7f, v115
	s_cbranch_execz .LBB294_1614
; %bb.1611:                             ;   in Loop: Header=BB294_924 Depth=1
	v_and_b32_e32 v2, 7, v3
	v_lshrrev_b32_e32 v113, 3, v115
	s_mov_b32 s20, exec_lo
	v_cmpx_gt_u32_e32 8, v115
; %bb.1612:                             ;   in Loop: Header=BB294_924 Depth=1
	v_ffbh_u32_e32 v2, v2
	v_min_u32_e32 v2, 32, v2
	v_subrev_nc_u32_e32 v113, 28, v2
	v_lshlrev_b64 v[115:116], v113, v[3:4]
	v_sub_nc_u32_e32 v113, 29, v2
	v_and_b32_e32 v2, 7, v115
; %bb.1613:                             ;   in Loop: Header=BB294_924 Depth=1
	s_or_b32 exec_lo, exec_lo, s20
	v_lshlrev_b32_e32 v3, 8, v3
	v_lshl_add_u32 v113, v113, 10, 0x2000
	v_lshlrev_b32_e32 v2, 23, v2
	v_and_or_b32 v3, 0x8000, v3, v113
	v_lshl_or_b32 v113, v3, 16, v2
.LBB294_1614:                           ;   in Loop: Header=BB294_924 Depth=1
	s_or_b32 exec_lo, exec_lo, s19
.LBB294_1615:                           ;   in Loop: Header=BB294_924 Depth=1
	s_or_b32 exec_lo, exec_lo, s18
.LBB294_1616:                           ;   in Loop: Header=BB294_924 Depth=1
	s_or_b32 exec_lo, exec_lo, s15
	v_mov_b32_e32 v3, v12
	v_cmp_ne_u16_sdwa s4, v12, v4 src0_sel:BYTE_0 src1_sel:DWORD
	v_mov_b32_e32 v115, 0
	v_mov_b32_e32 v116, 0
	s_and_saveexec_b32 s15, s4
	s_cbranch_execz .LBB294_1624
; %bb.1617:                             ;   in Loop: Header=BB294_924 Depth=1
	v_cmp_ne_u16_sdwa s4, v12, v49 src0_sel:BYTE_0 src1_sel:DWORD
	v_mov_b32_e32 v116, 0x8000
	s_and_saveexec_b32 s18, s4
	s_cbranch_execz .LBB294_1623
; %bb.1618:                             ;   in Loop: Header=BB294_924 Depth=1
	v_and_b32_e32 v117, 0x7f, v12
	v_mov_b32_e32 v116, 0x7c01
	s_mov_b32 s19, exec_lo
	v_cmpx_ne_u32_e32 0x7f, v117
	s_cbranch_execz .LBB294_1622
; %bb.1619:                             ;   in Loop: Header=BB294_924 Depth=1
	v_and_b32_e32 v2, 7, v12
	v_lshrrev_b32_e32 v116, 3, v117
	s_mov_b32 s20, exec_lo
	v_cmpx_gt_u32_e32 8, v117
; %bb.1620:                             ;   in Loop: Header=BB294_924 Depth=1
	v_ffbh_u32_e32 v2, v2
	v_min_u32_e32 v2, 32, v2
	v_subrev_nc_u32_e32 v116, 28, v2
	v_lshlrev_b64 v[117:118], v116, v[3:4]
	v_sub_nc_u32_e32 v116, 29, v2
	v_and_b32_e32 v2, 7, v117
; %bb.1621:                             ;   in Loop: Header=BB294_924 Depth=1
	s_or_b32 exec_lo, exec_lo, s20
	v_lshlrev_b32_e32 v117, 8, v12
	v_lshl_add_u32 v116, v116, 10, 0x2000
	v_lshlrev_b32_e32 v2, 7, v2
	v_and_b32_e32 v117, 0x8000, v117
	v_and_b32_e32 v116, 0xfc00, v116
	v_or3_b32 v116, v117, v116, v2
.LBB294_1622:                           ;   in Loop: Header=BB294_924 Depth=1
	s_or_b32 exec_lo, exec_lo, s19
.LBB294_1623:                           ;   in Loop: Header=BB294_924 Depth=1
	s_or_b32 exec_lo, exec_lo, s18
.LBB294_1624:                           ;   in Loop: Header=BB294_924 Depth=1
	s_or_b32 exec_lo, exec_lo, s15
	v_lshrrev_b16 v3, 8, v3
	v_mov_b32_e32 v117, 0
	s_mov_b32 s15, exec_lo
	v_cmpx_ne_u16_e32 0, v3
	s_cbranch_execz .LBB294_1632
; %bb.1625:                             ;   in Loop: Header=BB294_924 Depth=1
	v_bfrev_b32_e32 v117, 1
	s_mov_b32 s18, exec_lo
	v_cmpx_ne_u16_e32 0x80, v3
	s_cbranch_execz .LBB294_1631
; %bb.1626:                             ;   in Loop: Header=BB294_924 Depth=1
	v_and_b32_sdwa v118, v3, v50 dst_sel:DWORD dst_unused:UNUSED_PAD src0_sel:WORD_0 src1_sel:DWORD
	v_mov_b32_e32 v117, 0x7c010000
	s_mov_b32 s19, exec_lo
	v_cmpx_ne_u32_e32 0x7f, v118
	s_cbranch_execz .LBB294_1630
; %bb.1627:                             ;   in Loop: Header=BB294_924 Depth=1
	v_and_b32_sdwa v2, v3, v51 dst_sel:DWORD dst_unused:UNUSED_PAD src0_sel:WORD_0 src1_sel:DWORD
	v_lshrrev_b32_e32 v117, 3, v118
	s_mov_b32 s20, exec_lo
	v_cmpx_gt_u32_e32 8, v118
; %bb.1628:                             ;   in Loop: Header=BB294_924 Depth=1
	v_ffbh_u32_e32 v2, v2
	v_min_u32_e32 v2, 32, v2
	v_subrev_nc_u32_e32 v117, 28, v2
	v_lshlrev_b64 v[118:119], v117, v[3:4]
	v_sub_nc_u32_e32 v117, 29, v2
	v_and_b32_e32 v2, 7, v118
; %bb.1629:                             ;   in Loop: Header=BB294_924 Depth=1
	s_or_b32 exec_lo, exec_lo, s20
	v_lshlrev_b32_sdwa v3, v52, v3 dst_sel:DWORD dst_unused:UNUSED_PAD src0_sel:DWORD src1_sel:WORD_0
	v_lshl_add_u32 v117, v117, 10, 0x2000
	v_lshlrev_b32_e32 v2, 23, v2
	v_and_or_b32 v3, 0x8000, v3, v117
	v_lshl_or_b32 v117, v3, 16, v2
.LBB294_1630:                           ;   in Loop: Header=BB294_924 Depth=1
	s_or_b32 exec_lo, exec_lo, s19
.LBB294_1631:                           ;   in Loop: Header=BB294_924 Depth=1
	s_or_b32 exec_lo, exec_lo, s18
.LBB294_1632:                           ;   in Loop: Header=BB294_924 Depth=1
	s_or_b32 exec_lo, exec_lo, s15
	v_lshrrev_b32_e32 v2, 16, v12
	v_cmp_ne_u16_sdwa s4, v2, v4 src0_sel:BYTE_0 src1_sel:DWORD
	s_and_saveexec_b32 s15, s4
	s_cbranch_execz .LBB294_1640
; %bb.1633:                             ;   in Loop: Header=BB294_924 Depth=1
	v_cmp_ne_u16_sdwa s4, v2, v49 src0_sel:BYTE_0 src1_sel:DWORD
	v_mov_b32_e32 v115, 0x8000
	s_and_saveexec_b32 s18, s4
	s_cbranch_execz .LBB294_1639
; %bb.1634:                             ;   in Loop: Header=BB294_924 Depth=1
	v_bfe_u32 v118, v12, 16, 7
	v_mov_b32_e32 v115, 0x7c01
	s_mov_b32 s19, exec_lo
	v_cmpx_ne_u32_e32 0x7f, v118
	s_cbranch_execz .LBB294_1638
; %bb.1635:                             ;   in Loop: Header=BB294_924 Depth=1
	v_and_b32_e32 v3, 7, v2
	v_lshrrev_b32_e32 v115, 3, v118
	s_mov_b32 s20, exec_lo
	v_cmpx_gt_u32_e32 8, v118
; %bb.1636:                             ;   in Loop: Header=BB294_924 Depth=1
	v_ffbh_u32_e32 v3, v3
	v_min_u32_e32 v3, 32, v3
	v_subrev_nc_u32_e32 v115, 28, v3
	v_lshlrev_b64 v[118:119], v115, v[2:3]
	v_sub_nc_u32_e32 v115, 29, v3
	v_and_b32_e32 v3, 7, v118
; %bb.1637:                             ;   in Loop: Header=BB294_924 Depth=1
	s_or_b32 exec_lo, exec_lo, s20
	v_lshlrev_b32_e32 v2, 8, v2
	v_lshl_add_u32 v115, v115, 10, 0x2000
	v_lshlrev_b32_e32 v3, 7, v3
	v_and_b32_e32 v2, 0x8000, v2
	v_and_b32_e32 v115, 0xfc00, v115
	v_or3_b32 v115, v2, v115, v3
.LBB294_1638:                           ;   in Loop: Header=BB294_924 Depth=1
	s_or_b32 exec_lo, exec_lo, s19
.LBB294_1639:                           ;   in Loop: Header=BB294_924 Depth=1
	s_or_b32 exec_lo, exec_lo, s18
.LBB294_1640:                           ;   in Loop: Header=BB294_924 Depth=1
	s_or_b32 exec_lo, exec_lo, s15
	v_mov_b32_e32 v2, 0
	s_mov_b32 s15, exec_lo
	v_cmpx_lt_u64_e64 s[6:7], v[11:12]
	s_cbranch_execz .LBB294_1648
; %bb.1641:                             ;   in Loop: Header=BB294_924 Depth=1
	v_lshrrev_b32_e32 v3, 24, v12
	v_bfrev_b32_e32 v2, 1
	s_mov_b32 s18, exec_lo
	v_cmpx_ne_u32_e32 0x80, v3
	s_cbranch_execz .LBB294_1647
; %bb.1642:                             ;   in Loop: Header=BB294_924 Depth=1
	v_and_b32_e32 v12, 0x7f, v3
	v_mov_b32_e32 v2, 0x7c010000
	s_mov_b32 s19, exec_lo
	v_cmpx_ne_u32_e32 0x7f, v12
	s_cbranch_execz .LBB294_1646
; %bb.1643:                             ;   in Loop: Header=BB294_924 Depth=1
	v_and_b32_e32 v2, 7, v3
	v_lshrrev_b32_e32 v11, 3, v12
	s_mov_b32 s20, exec_lo
	v_cmpx_gt_u32_e32 8, v12
; %bb.1644:                             ;   in Loop: Header=BB294_924 Depth=1
	v_ffbh_u32_e32 v2, v2
	v_min_u32_e32 v2, 32, v2
	v_subrev_nc_u32_e32 v11, 28, v2
	v_lshlrev_b64 v[118:119], v11, v[3:4]
	v_sub_nc_u32_e32 v11, 29, v2
	v_and_b32_e32 v2, 7, v118
; %bb.1645:                             ;   in Loop: Header=BB294_924 Depth=1
	s_or_b32 exec_lo, exec_lo, s20
	v_lshlrev_b32_e32 v3, 8, v3
	v_lshl_add_u32 v11, v11, 10, 0x2000
	v_lshlrev_b32_e32 v2, 23, v2
	v_and_or_b32 v3, 0x8000, v3, v11
	v_lshl_or_b32 v2, v3, 16, v2
.LBB294_1646:                           ;   in Loop: Header=BB294_924 Depth=1
	s_or_b32 exec_lo, exec_lo, s19
.LBB294_1647:                           ;   in Loop: Header=BB294_924 Depth=1
	s_or_b32 exec_lo, exec_lo, s18
.LBB294_1648:                           ;   in Loop: Header=BB294_924 Depth=1
	s_or_b32 exec_lo, exec_lo, s15
	v_or_b32_e32 v3, v113, v114
	s_waitcnt vmcnt(0) lgkmcnt(0)
	v_fma_mixlo_f16 v11, v26, v113, 0 op_sel:[0,1,0] op_sel_hi:[0,1,0]
	v_or_b32_e32 v12, v27, v29
	v_or_b32_e32 v29, v117, v116
	;; [unrolled: 1-line block ×3, first 2 shown]
	v_fma_mixlo_f16 v113, v26, v3, 0 op_sel_hi:[0,1,0]
	v_fma_mixlo_f16 v27, v26, v27, 0 op_sel:[0,1,0] op_sel_hi:[0,1,0]
	v_lshlrev_b32_e32 v3, 16, v11
	v_fma_mixlo_f16 v12, v26, v12, 0 op_sel_hi:[0,1,0]
	v_fma_mixlo_f16 v29, v26, v29, 0 op_sel_hi:[0,1,0]
	v_and_b32_e32 v11, 0xffff, v113
	v_fma_mixlo_f16 v113, v26, v117, 0 op_sel:[0,1,0] op_sel_hi:[0,1,0]
	v_fma_mixlo_f16 v2, v26, v2, 0 op_sel:[0,1,0] op_sel_hi:[0,1,0]
	v_fma_mixlo_f16 v26, v26, v114, 0 op_sel_hi:[0,1,0]
	v_lshlrev_b32_e32 v27, 16, v27
	v_and_b32_e32 v117, 0xffff, v12
	v_lshlrev_b32_e32 v12, 16, v113
	v_and_b32_e32 v113, 0xffff, v29
	;; [unrolled: 2-line block ×3, first 2 shown]
	v_or_b32_e32 v29, v3, v11
	v_or_b32_e32 v116, v27, v117
	;; [unrolled: 1-line block ×4, first 2 shown]
	s_and_saveexec_b32 s15, vcc_lo
	s_cbranch_execz .LBB294_1650
; %bb.1649:                             ;   in Loop: Header=BB294_924 Depth=1
	v_cmp_lt_i32_e64 s4, v54, v28
	v_cndmask_b32_e64 v29, 0, v117, s4
	v_cmp_lt_i32_e64 s4, v82, v28
	v_cndmask_b32_e64 v27, 0, v27, s4
	v_cmp_lt_i32_e64 s4, v81, v28
	v_or_b32_e32 v116, v29, v27
	v_cndmask_b32_e64 v11, 0, v11, s4
	v_cmp_lt_i32_e64 s4, v80, v28
	v_cndmask_b32_e64 v3, 0, v3, s4
	v_cmp_lt_i32_e64 s4, v71, v28
	v_or_b32_e32 v29, v11, v3
	;; [unrolled: 5-line block ×3, first 2 shown]
	v_cndmask_b32_e64 v26, 0, v26, s4
	v_cmp_lt_i32_e64 s4, v31, v28
	v_cndmask_b32_e64 v2, 0, v2, s4
	v_or_b32_e32 v114, v26, v2
.LBB294_1650:                           ;   in Loop: Header=BB294_924 Depth=1
	s_or_b32 exec_lo, exec_lo, s15
	;;#ASMSTART
	v_pk_mul_f16 v2, v67, v116;

	;;#ASMEND
	;;#ASMSTART
	v_pk_mul_f16 v3, v65, v29;

	;;#ASMEND
	;; [unrolled: 4-line block ×4, first 2 shown]
	;;#ASMSTART
	v_pk_add_f16 v2, v2, v3;

	;;#ASMEND
	;;#ASMSTART
	v_pk_add_f16 v2, v2, v11;

	;;#ASMEND
	;; [unrolled: 4-line block ×3, first 2 shown]
	v_and_b32_e32 v3, 0xffff, v2
	v_lshrrev_b32_e32 v2, 16, v2
	;;#ASMSTART
	v_cvt_f32_f16 v26, v3;
	;;#ASMEND
	;;#ASMSTART
	v_cvt_f32_f16 v27, v2;
	;;#ASMEND
	flat_load_dwordx2 v[11:12], v[9:10] offset:768
	flat_load_dword v29, v[22:23]
	v_mov_b32_e32 v113, 0
	v_mov_b32_e32 v114, 0
	s_waitcnt vmcnt(1) lgkmcnt(1)
	v_cmp_ne_u16_sdwa s4, v11, v4 src0_sel:BYTE_0 src1_sel:DWORD
	s_and_saveexec_b32 s15, s4
	s_cbranch_execz .LBB294_1658
; %bb.1651:                             ;   in Loop: Header=BB294_924 Depth=1
	v_cmp_ne_u16_sdwa s4, v11, v49 src0_sel:BYTE_0 src1_sel:DWORD
	v_mov_b32_e32 v114, 0x8000
	s_and_saveexec_b32 s18, s4
	s_cbranch_execz .LBB294_1657
; %bb.1652:                             ;   in Loop: Header=BB294_924 Depth=1
	v_and_b32_e32 v115, 0x7f, v11
	v_mov_b32_e32 v114, 0x7c01
	s_mov_b32 s19, exec_lo
	v_cmpx_ne_u32_e32 0x7f, v115
	s_cbranch_execz .LBB294_1656
; %bb.1653:                             ;   in Loop: Header=BB294_924 Depth=1
	v_and_b32_e32 v2, 7, v11
	v_lshrrev_b32_e32 v3, 3, v115
	s_mov_b32 s20, exec_lo
	v_cmpx_gt_u32_e32 8, v115
; %bb.1654:                             ;   in Loop: Header=BB294_924 Depth=1
	v_ffbh_u32_e32 v2, v2
	v_min_u32_e32 v114, 32, v2
	v_subrev_nc_u32_e32 v2, 28, v114
	v_lshlrev_b64 v[2:3], v2, v[11:12]
	v_sub_nc_u32_e32 v3, 29, v114
	v_and_b32_e32 v2, 7, v2
; %bb.1655:                             ;   in Loop: Header=BB294_924 Depth=1
	s_or_b32 exec_lo, exec_lo, s20
	v_lshlrev_b32_e32 v114, 8, v11
	v_lshl_add_u32 v3, v3, 10, 0x2000
	v_lshlrev_b32_e32 v2, 7, v2
	v_and_b32_e32 v114, 0x8000, v114
	v_and_b32_e32 v3, 0xfc00, v3
	v_or3_b32 v114, v114, v3, v2
.LBB294_1656:                           ;   in Loop: Header=BB294_924 Depth=1
	s_or_b32 exec_lo, exec_lo, s19
.LBB294_1657:                           ;   in Loop: Header=BB294_924 Depth=1
	s_or_b32 exec_lo, exec_lo, s18
.LBB294_1658:                           ;   in Loop: Header=BB294_924 Depth=1
	s_or_b32 exec_lo, exec_lo, s15
	v_lshrrev_b16 v3, 8, v11
	s_mov_b32 s15, exec_lo
	v_cmpx_ne_u16_e32 0, v3
	s_cbranch_execz .LBB294_1666
; %bb.1659:                             ;   in Loop: Header=BB294_924 Depth=1
	v_bfrev_b32_e32 v113, 1
	s_mov_b32 s18, exec_lo
	v_cmpx_ne_u16_e32 0x80, v3
	s_cbranch_execz .LBB294_1665
; %bb.1660:                             ;   in Loop: Header=BB294_924 Depth=1
	v_and_b32_sdwa v115, v3, v50 dst_sel:DWORD dst_unused:UNUSED_PAD src0_sel:WORD_0 src1_sel:DWORD
	v_mov_b32_e32 v113, 0x7c010000
	s_mov_b32 s19, exec_lo
	v_cmpx_ne_u32_e32 0x7f, v115
	s_cbranch_execz .LBB294_1664
; %bb.1661:                             ;   in Loop: Header=BB294_924 Depth=1
	v_and_b32_sdwa v2, v3, v51 dst_sel:DWORD dst_unused:UNUSED_PAD src0_sel:WORD_0 src1_sel:DWORD
	v_lshrrev_b32_e32 v113, 3, v115
	s_mov_b32 s20, exec_lo
	v_cmpx_gt_u32_e32 8, v115
; %bb.1662:                             ;   in Loop: Header=BB294_924 Depth=1
	v_ffbh_u32_e32 v2, v2
	v_min_u32_e32 v2, 32, v2
	v_subrev_nc_u32_e32 v113, 28, v2
	v_lshlrev_b64 v[115:116], v113, v[3:4]
	v_sub_nc_u32_e32 v113, 29, v2
	v_and_b32_e32 v2, 7, v115
; %bb.1663:                             ;   in Loop: Header=BB294_924 Depth=1
	s_or_b32 exec_lo, exec_lo, s20
	v_lshlrev_b32_sdwa v3, v52, v3 dst_sel:DWORD dst_unused:UNUSED_PAD src0_sel:DWORD src1_sel:WORD_0
	v_lshl_add_u32 v113, v113, 10, 0x2000
	v_lshlrev_b32_e32 v2, 23, v2
	v_and_or_b32 v3, 0x8000, v3, v113
	v_lshl_or_b32 v113, v3, 16, v2
.LBB294_1664:                           ;   in Loop: Header=BB294_924 Depth=1
	s_or_b32 exec_lo, exec_lo, s19
.LBB294_1665:                           ;   in Loop: Header=BB294_924 Depth=1
	s_or_b32 exec_lo, exec_lo, s18
.LBB294_1666:                           ;   in Loop: Header=BB294_924 Depth=1
	s_or_b32 exec_lo, exec_lo, s15
	v_lshrrev_b32_e32 v2, 16, v11
	v_mov_b32_e32 v115, 0
	v_mov_b32_e32 v116, 0
	v_cmp_ne_u16_sdwa s4, v2, v4 src0_sel:BYTE_0 src1_sel:DWORD
	s_and_saveexec_b32 s15, s4
	s_cbranch_execz .LBB294_1674
; %bb.1667:                             ;   in Loop: Header=BB294_924 Depth=1
	v_cmp_ne_u16_sdwa s4, v2, v49 src0_sel:BYTE_0 src1_sel:DWORD
	v_mov_b32_e32 v116, 0x8000
	s_and_saveexec_b32 s18, s4
	s_cbranch_execz .LBB294_1673
; %bb.1668:                             ;   in Loop: Header=BB294_924 Depth=1
	v_bfe_u32 v117, v11, 16, 7
	v_mov_b32_e32 v116, 0x7c01
	s_mov_b32 s19, exec_lo
	v_cmpx_ne_u32_e32 0x7f, v117
	s_cbranch_execz .LBB294_1672
; %bb.1669:                             ;   in Loop: Header=BB294_924 Depth=1
	v_and_b32_e32 v3, 7, v2
	v_lshrrev_b32_e32 v116, 3, v117
	s_mov_b32 s20, exec_lo
	v_cmpx_gt_u32_e32 8, v117
; %bb.1670:                             ;   in Loop: Header=BB294_924 Depth=1
	v_ffbh_u32_e32 v3, v3
	v_min_u32_e32 v3, 32, v3
	v_subrev_nc_u32_e32 v116, 28, v3
	v_lshlrev_b64 v[117:118], v116, v[2:3]
	v_sub_nc_u32_e32 v116, 29, v3
	v_and_b32_e32 v3, 7, v117
; %bb.1671:                             ;   in Loop: Header=BB294_924 Depth=1
	s_or_b32 exec_lo, exec_lo, s20
	v_lshlrev_b32_e32 v2, 8, v2
	v_lshl_add_u32 v116, v116, 10, 0x2000
	v_lshlrev_b32_e32 v3, 7, v3
	v_and_b32_e32 v2, 0x8000, v2
	v_and_b32_e32 v116, 0xfc00, v116
	v_or3_b32 v116, v2, v116, v3
.LBB294_1672:                           ;   in Loop: Header=BB294_924 Depth=1
	s_or_b32 exec_lo, exec_lo, s19
.LBB294_1673:                           ;   in Loop: Header=BB294_924 Depth=1
	s_or_b32 exec_lo, exec_lo, s18
.LBB294_1674:                           ;   in Loop: Header=BB294_924 Depth=1
	s_or_b32 exec_lo, exec_lo, s15
	s_mov_b32 s15, exec_lo
	v_cmpx_lt_u32_e32 0xffffff, v11
	s_cbranch_execz .LBB294_1682
; %bb.1675:                             ;   in Loop: Header=BB294_924 Depth=1
	v_lshrrev_b32_e32 v3, 24, v11
	v_bfrev_b32_e32 v115, 1
	s_mov_b32 s18, exec_lo
	v_cmpx_ne_u32_e32 0x80, v3
	s_cbranch_execz .LBB294_1681
; %bb.1676:                             ;   in Loop: Header=BB294_924 Depth=1
	v_and_b32_e32 v117, 0x7f, v3
	v_mov_b32_e32 v115, 0x7c010000
	s_mov_b32 s19, exec_lo
	v_cmpx_ne_u32_e32 0x7f, v117
	s_cbranch_execz .LBB294_1680
; %bb.1677:                             ;   in Loop: Header=BB294_924 Depth=1
	v_and_b32_e32 v2, 7, v3
	v_lshrrev_b32_e32 v115, 3, v117
	s_mov_b32 s20, exec_lo
	v_cmpx_gt_u32_e32 8, v117
; %bb.1678:                             ;   in Loop: Header=BB294_924 Depth=1
	v_ffbh_u32_e32 v2, v2
	v_min_u32_e32 v2, 32, v2
	v_subrev_nc_u32_e32 v115, 28, v2
	v_lshlrev_b64 v[117:118], v115, v[3:4]
	v_sub_nc_u32_e32 v115, 29, v2
	v_and_b32_e32 v2, 7, v117
; %bb.1679:                             ;   in Loop: Header=BB294_924 Depth=1
	s_or_b32 exec_lo, exec_lo, s20
	v_lshlrev_b32_e32 v3, 8, v3
	v_lshl_add_u32 v115, v115, 10, 0x2000
	v_lshlrev_b32_e32 v2, 23, v2
	v_and_or_b32 v3, 0x8000, v3, v115
	v_lshl_or_b32 v115, v3, 16, v2
.LBB294_1680:                           ;   in Loop: Header=BB294_924 Depth=1
	s_or_b32 exec_lo, exec_lo, s19
.LBB294_1681:                           ;   in Loop: Header=BB294_924 Depth=1
	s_or_b32 exec_lo, exec_lo, s18
.LBB294_1682:                           ;   in Loop: Header=BB294_924 Depth=1
	s_or_b32 exec_lo, exec_lo, s15
	v_mov_b32_e32 v3, v12
	v_cmp_ne_u16_sdwa s4, v12, v4 src0_sel:BYTE_0 src1_sel:DWORD
	v_mov_b32_e32 v117, 0
	v_mov_b32_e32 v118, 0
	s_and_saveexec_b32 s15, s4
	s_cbranch_execz .LBB294_1690
; %bb.1683:                             ;   in Loop: Header=BB294_924 Depth=1
	v_cmp_ne_u16_sdwa s4, v12, v49 src0_sel:BYTE_0 src1_sel:DWORD
	v_mov_b32_e32 v118, 0x8000
	s_and_saveexec_b32 s18, s4
	s_cbranch_execz .LBB294_1689
; %bb.1684:                             ;   in Loop: Header=BB294_924 Depth=1
	v_and_b32_e32 v119, 0x7f, v12
	v_mov_b32_e32 v118, 0x7c01
	s_mov_b32 s19, exec_lo
	v_cmpx_ne_u32_e32 0x7f, v119
	s_cbranch_execz .LBB294_1688
; %bb.1685:                             ;   in Loop: Header=BB294_924 Depth=1
	v_and_b32_e32 v2, 7, v12
	v_lshrrev_b32_e32 v118, 3, v119
	s_mov_b32 s20, exec_lo
	v_cmpx_gt_u32_e32 8, v119
; %bb.1686:                             ;   in Loop: Header=BB294_924 Depth=1
	v_ffbh_u32_e32 v2, v2
	v_min_u32_e32 v2, 32, v2
	v_subrev_nc_u32_e32 v118, 28, v2
	v_lshlrev_b64 v[40:41], v118, v[3:4]
	v_sub_nc_u32_e32 v118, 29, v2
	v_and_b32_e32 v2, 7, v40
; %bb.1687:                             ;   in Loop: Header=BB294_924 Depth=1
	s_or_b32 exec_lo, exec_lo, s20
	v_lshlrev_b32_e32 v119, 8, v12
	v_lshl_add_u32 v118, v118, 10, 0x2000
	v_lshlrev_b32_e32 v2, 7, v2
	v_and_b32_e32 v119, 0x8000, v119
	v_and_b32_e32 v118, 0xfc00, v118
	v_or3_b32 v118, v119, v118, v2
.LBB294_1688:                           ;   in Loop: Header=BB294_924 Depth=1
	s_or_b32 exec_lo, exec_lo, s19
.LBB294_1689:                           ;   in Loop: Header=BB294_924 Depth=1
	s_or_b32 exec_lo, exec_lo, s18
.LBB294_1690:                           ;   in Loop: Header=BB294_924 Depth=1
	s_or_b32 exec_lo, exec_lo, s15
	v_lshrrev_b16 v3, 8, v3
	v_mov_b32_e32 v119, 0
	s_mov_b32 s15, exec_lo
	v_cmpx_ne_u16_e32 0, v3
	s_cbranch_execz .LBB294_1698
; %bb.1691:                             ;   in Loop: Header=BB294_924 Depth=1
	v_bfrev_b32_e32 v119, 1
	s_mov_b32 s18, exec_lo
	v_cmpx_ne_u16_e32 0x80, v3
	s_cbranch_execz .LBB294_1697
; %bb.1692:                             ;   in Loop: Header=BB294_924 Depth=1
	v_and_b32_sdwa v40, v3, v50 dst_sel:DWORD dst_unused:UNUSED_PAD src0_sel:WORD_0 src1_sel:DWORD
	v_mov_b32_e32 v119, 0x7c010000
	s_mov_b32 s19, exec_lo
	v_cmpx_ne_u32_e32 0x7f, v40
	s_cbranch_execz .LBB294_1696
; %bb.1693:                             ;   in Loop: Header=BB294_924 Depth=1
	v_and_b32_sdwa v2, v3, v51 dst_sel:DWORD dst_unused:UNUSED_PAD src0_sel:WORD_0 src1_sel:DWORD
	v_lshrrev_b32_e32 v119, 3, v40
	s_mov_b32 s20, exec_lo
	v_cmpx_gt_u32_e32 8, v40
; %bb.1694:                             ;   in Loop: Header=BB294_924 Depth=1
	v_ffbh_u32_e32 v2, v2
	v_min_u32_e32 v2, 32, v2
	v_subrev_nc_u32_e32 v119, 28, v2
	v_lshlrev_b64 v[40:41], v119, v[3:4]
	v_sub_nc_u32_e32 v119, 29, v2
	v_and_b32_e32 v2, 7, v40
; %bb.1695:                             ;   in Loop: Header=BB294_924 Depth=1
	s_or_b32 exec_lo, exec_lo, s20
	v_lshlrev_b32_sdwa v3, v52, v3 dst_sel:DWORD dst_unused:UNUSED_PAD src0_sel:DWORD src1_sel:WORD_0
	v_lshl_add_u32 v119, v119, 10, 0x2000
	v_lshlrev_b32_e32 v2, 23, v2
	v_and_or_b32 v3, 0x8000, v3, v119
	v_lshl_or_b32 v119, v3, 16, v2
.LBB294_1696:                           ;   in Loop: Header=BB294_924 Depth=1
	s_or_b32 exec_lo, exec_lo, s19
.LBB294_1697:                           ;   in Loop: Header=BB294_924 Depth=1
	s_or_b32 exec_lo, exec_lo, s18
.LBB294_1698:                           ;   in Loop: Header=BB294_924 Depth=1
	s_or_b32 exec_lo, exec_lo, s15
	v_lshrrev_b32_e32 v2, 16, v12
	v_cmp_ne_u16_sdwa s4, v2, v4 src0_sel:BYTE_0 src1_sel:DWORD
	s_and_saveexec_b32 s15, s4
	s_cbranch_execz .LBB294_1706
; %bb.1699:                             ;   in Loop: Header=BB294_924 Depth=1
	v_cmp_ne_u16_sdwa s4, v2, v49 src0_sel:BYTE_0 src1_sel:DWORD
	v_mov_b32_e32 v117, 0x8000
	s_and_saveexec_b32 s18, s4
	s_cbranch_execz .LBB294_1705
; %bb.1700:                             ;   in Loop: Header=BB294_924 Depth=1
	v_bfe_u32 v40, v12, 16, 7
	v_mov_b32_e32 v117, 0x7c01
	s_mov_b32 s19, exec_lo
	v_cmpx_ne_u32_e32 0x7f, v40
	s_cbranch_execz .LBB294_1704
; %bb.1701:                             ;   in Loop: Header=BB294_924 Depth=1
	v_and_b32_e32 v3, 7, v2
	v_lshrrev_b32_e32 v117, 3, v40
	s_mov_b32 s20, exec_lo
	v_cmpx_gt_u32_e32 8, v40
; %bb.1702:                             ;   in Loop: Header=BB294_924 Depth=1
	v_ffbh_u32_e32 v3, v3
	v_min_u32_e32 v3, 32, v3
	v_subrev_nc_u32_e32 v117, 28, v3
	v_lshlrev_b64 v[40:41], v117, v[2:3]
	v_sub_nc_u32_e32 v117, 29, v3
	v_and_b32_e32 v3, 7, v40
; %bb.1703:                             ;   in Loop: Header=BB294_924 Depth=1
	s_or_b32 exec_lo, exec_lo, s20
	v_lshlrev_b32_e32 v2, 8, v2
	v_lshl_add_u32 v117, v117, 10, 0x2000
	v_lshlrev_b32_e32 v3, 7, v3
	v_and_b32_e32 v2, 0x8000, v2
	v_and_b32_e32 v117, 0xfc00, v117
	v_or3_b32 v117, v2, v117, v3
.LBB294_1704:                           ;   in Loop: Header=BB294_924 Depth=1
	s_or_b32 exec_lo, exec_lo, s19
.LBB294_1705:                           ;   in Loop: Header=BB294_924 Depth=1
	s_or_b32 exec_lo, exec_lo, s18
.LBB294_1706:                           ;   in Loop: Header=BB294_924 Depth=1
	s_or_b32 exec_lo, exec_lo, s15
	v_mov_b32_e32 v2, 0
	s_mov_b32 s15, exec_lo
	v_cmpx_lt_u64_e64 s[6:7], v[11:12]
	s_cbranch_execz .LBB294_1714
; %bb.1707:                             ;   in Loop: Header=BB294_924 Depth=1
	v_lshrrev_b32_e32 v3, 24, v12
	v_bfrev_b32_e32 v2, 1
	s_mov_b32 s18, exec_lo
	v_cmpx_ne_u32_e32 0x80, v3
	s_cbranch_execz .LBB294_1713
; %bb.1708:                             ;   in Loop: Header=BB294_924 Depth=1
	v_and_b32_e32 v12, 0x7f, v3
	v_mov_b32_e32 v2, 0x7c010000
	s_mov_b32 s19, exec_lo
	v_cmpx_ne_u32_e32 0x7f, v12
	s_cbranch_execz .LBB294_1712
; %bb.1709:                             ;   in Loop: Header=BB294_924 Depth=1
	v_and_b32_e32 v2, 7, v3
	v_lshrrev_b32_e32 v11, 3, v12
	s_mov_b32 s20, exec_lo
	v_cmpx_gt_u32_e32 8, v12
; %bb.1710:                             ;   in Loop: Header=BB294_924 Depth=1
	v_ffbh_u32_e32 v2, v2
	v_min_u32_e32 v2, 32, v2
	v_subrev_nc_u32_e32 v11, 28, v2
	v_lshlrev_b64 v[40:41], v11, v[3:4]
	v_sub_nc_u32_e32 v11, 29, v2
	v_and_b32_e32 v2, 7, v40
; %bb.1711:                             ;   in Loop: Header=BB294_924 Depth=1
	s_or_b32 exec_lo, exec_lo, s20
	v_lshlrev_b32_e32 v3, 8, v3
	v_lshl_add_u32 v11, v11, 10, 0x2000
	v_lshlrev_b32_e32 v2, 23, v2
	v_and_or_b32 v3, 0x8000, v3, v11
	v_lshl_or_b32 v2, v3, 16, v2
.LBB294_1712:                           ;   in Loop: Header=BB294_924 Depth=1
	s_or_b32 exec_lo, exec_lo, s19
.LBB294_1713:                           ;   in Loop: Header=BB294_924 Depth=1
	s_or_b32 exec_lo, exec_lo, s18
.LBB294_1714:                           ;   in Loop: Header=BB294_924 Depth=1
	s_or_b32 exec_lo, exec_lo, s15
	v_or_b32_e32 v3, v115, v116
	s_waitcnt vmcnt(0) lgkmcnt(0)
	v_fma_mixlo_f16 v11, v29, v115, 0 op_sel:[0,1,0] op_sel_hi:[0,1,0]
	v_or_b32_e32 v12, v113, v114
	v_or_b32_e32 v114, v119, v118
	v_or_b32_e32 v116, v2, v117
	v_fma_mixlo_f16 v115, v29, v3, 0 op_sel_hi:[0,1,0]
	v_fma_mixlo_f16 v113, v29, v113, 0 op_sel:[0,1,0] op_sel_hi:[0,1,0]
	v_lshlrev_b32_e32 v3, 16, v11
	v_fma_mixlo_f16 v12, v29, v12, 0 op_sel_hi:[0,1,0]
	v_fma_mixlo_f16 v114, v29, v114, 0 op_sel_hi:[0,1,0]
	v_and_b32_e32 v11, 0xffff, v115
	v_fma_mixlo_f16 v115, v29, v119, 0 op_sel:[0,1,0] op_sel_hi:[0,1,0]
	v_fma_mixlo_f16 v2, v29, v2, 0 op_sel:[0,1,0] op_sel_hi:[0,1,0]
	v_fma_mixlo_f16 v29, v29, v116, 0 op_sel_hi:[0,1,0]
	v_lshlrev_b32_e32 v113, 16, v113
	v_and_b32_e32 v119, 0xffff, v12
	v_lshlrev_b32_e32 v12, 16, v115
	v_and_b32_e32 v115, 0xffff, v114
	;; [unrolled: 2-line block ×3, first 2 shown]
	v_or_b32_e32 v114, v3, v11
	v_or_b32_e32 v118, v113, v119
	;; [unrolled: 1-line block ×4, first 2 shown]
	s_and_saveexec_b32 s15, vcc_lo
	s_cbranch_execz .LBB294_1716
; %bb.1715:                             ;   in Loop: Header=BB294_924 Depth=1
	v_cmp_lt_i32_e64 s4, v54, v28
	v_cndmask_b32_e64 v114, 0, v119, s4
	v_cmp_lt_i32_e64 s4, v82, v28
	v_cndmask_b32_e64 v113, 0, v113, s4
	v_cmp_lt_i32_e64 s4, v81, v28
	v_or_b32_e32 v118, v114, v113
	v_cndmask_b32_e64 v11, 0, v11, s4
	v_cmp_lt_i32_e64 s4, v80, v28
	v_cndmask_b32_e64 v3, 0, v3, s4
	v_cmp_lt_i32_e64 s4, v71, v28
	v_or_b32_e32 v114, v11, v3
	;; [unrolled: 5-line block ×3, first 2 shown]
	v_cndmask_b32_e64 v29, 0, v29, s4
	v_cmp_lt_i32_e64 s4, v31, v28
	v_cndmask_b32_e64 v2, 0, v2, s4
	v_or_b32_e32 v116, v29, v2
.LBB294_1716:                           ;   in Loop: Header=BB294_924 Depth=1
	s_or_b32 exec_lo, exec_lo, s15
	;;#ASMSTART
	v_pk_mul_f16 v2, v67, v118;

	;;#ASMEND
	;;#ASMSTART
	v_pk_mul_f16 v3, v65, v114;

	;;#ASMEND
	;; [unrolled: 4-line block ×4, first 2 shown]
	;;#ASMSTART
	v_pk_add_f16 v2, v2, v3;

	;;#ASMEND
	;;#ASMSTART
	v_pk_add_f16 v2, v2, v11;

	;;#ASMEND
	;; [unrolled: 4-line block ×3, first 2 shown]
	v_and_b32_e32 v3, 0xffff, v2
	v_lshrrev_b32_e32 v2, 16, v2
	;;#ASMSTART
	v_cvt_f32_f16 v29, v3;
	;;#ASMEND
	;;#ASMSTART
	v_cvt_f32_f16 v113, v2;
	;;#ASMEND
	flat_load_dwordx2 v[11:12], v[9:10] offset:1024
	flat_load_dword v114, v[22:23]
	v_mov_b32_e32 v115, 0
	v_mov_b32_e32 v116, 0
	s_waitcnt vmcnt(1) lgkmcnt(1)
	v_cmp_ne_u16_sdwa s4, v11, v4 src0_sel:BYTE_0 src1_sel:DWORD
	s_and_saveexec_b32 s15, s4
	s_cbranch_execz .LBB294_1724
; %bb.1717:                             ;   in Loop: Header=BB294_924 Depth=1
	v_cmp_ne_u16_sdwa s4, v11, v49 src0_sel:BYTE_0 src1_sel:DWORD
	v_mov_b32_e32 v116, 0x8000
	s_and_saveexec_b32 s18, s4
	s_cbranch_execz .LBB294_1723
; %bb.1718:                             ;   in Loop: Header=BB294_924 Depth=1
	v_and_b32_e32 v117, 0x7f, v11
	v_mov_b32_e32 v116, 0x7c01
	s_mov_b32 s19, exec_lo
	v_cmpx_ne_u32_e32 0x7f, v117
	s_cbranch_execz .LBB294_1722
; %bb.1719:                             ;   in Loop: Header=BB294_924 Depth=1
	v_and_b32_e32 v2, 7, v11
	v_lshrrev_b32_e32 v3, 3, v117
	s_mov_b32 s20, exec_lo
	v_cmpx_gt_u32_e32 8, v117
; %bb.1720:                             ;   in Loop: Header=BB294_924 Depth=1
	v_ffbh_u32_e32 v2, v2
	v_min_u32_e32 v116, 32, v2
	v_subrev_nc_u32_e32 v2, 28, v116
	v_lshlrev_b64 v[2:3], v2, v[11:12]
	v_sub_nc_u32_e32 v3, 29, v116
	v_and_b32_e32 v2, 7, v2
; %bb.1721:                             ;   in Loop: Header=BB294_924 Depth=1
	s_or_b32 exec_lo, exec_lo, s20
	v_lshlrev_b32_e32 v116, 8, v11
	v_lshl_add_u32 v3, v3, 10, 0x2000
	v_lshlrev_b32_e32 v2, 7, v2
	v_and_b32_e32 v116, 0x8000, v116
	v_and_b32_e32 v3, 0xfc00, v3
	v_or3_b32 v116, v116, v3, v2
.LBB294_1722:                           ;   in Loop: Header=BB294_924 Depth=1
	s_or_b32 exec_lo, exec_lo, s19
.LBB294_1723:                           ;   in Loop: Header=BB294_924 Depth=1
	s_or_b32 exec_lo, exec_lo, s18
.LBB294_1724:                           ;   in Loop: Header=BB294_924 Depth=1
	s_or_b32 exec_lo, exec_lo, s15
	v_lshrrev_b16 v3, 8, v11
	s_mov_b32 s15, exec_lo
	v_cmpx_ne_u16_e32 0, v3
	s_cbranch_execz .LBB294_1732
; %bb.1725:                             ;   in Loop: Header=BB294_924 Depth=1
	v_bfrev_b32_e32 v115, 1
	s_mov_b32 s18, exec_lo
	v_cmpx_ne_u16_e32 0x80, v3
	s_cbranch_execz .LBB294_1731
; %bb.1726:                             ;   in Loop: Header=BB294_924 Depth=1
	v_and_b32_sdwa v117, v3, v50 dst_sel:DWORD dst_unused:UNUSED_PAD src0_sel:WORD_0 src1_sel:DWORD
	v_mov_b32_e32 v115, 0x7c010000
	s_mov_b32 s19, exec_lo
	v_cmpx_ne_u32_e32 0x7f, v117
	s_cbranch_execz .LBB294_1730
; %bb.1727:                             ;   in Loop: Header=BB294_924 Depth=1
	v_and_b32_sdwa v2, v3, v51 dst_sel:DWORD dst_unused:UNUSED_PAD src0_sel:WORD_0 src1_sel:DWORD
	v_lshrrev_b32_e32 v115, 3, v117
	s_mov_b32 s20, exec_lo
	v_cmpx_gt_u32_e32 8, v117
; %bb.1728:                             ;   in Loop: Header=BB294_924 Depth=1
	v_ffbh_u32_e32 v2, v2
	v_min_u32_e32 v2, 32, v2
	v_subrev_nc_u32_e32 v115, 28, v2
	v_lshlrev_b64 v[117:118], v115, v[3:4]
	v_sub_nc_u32_e32 v115, 29, v2
	v_and_b32_e32 v2, 7, v117
; %bb.1729:                             ;   in Loop: Header=BB294_924 Depth=1
	s_or_b32 exec_lo, exec_lo, s20
	v_lshlrev_b32_sdwa v3, v52, v3 dst_sel:DWORD dst_unused:UNUSED_PAD src0_sel:DWORD src1_sel:WORD_0
	v_lshl_add_u32 v115, v115, 10, 0x2000
	v_lshlrev_b32_e32 v2, 23, v2
	v_and_or_b32 v3, 0x8000, v3, v115
	v_lshl_or_b32 v115, v3, 16, v2
.LBB294_1730:                           ;   in Loop: Header=BB294_924 Depth=1
	s_or_b32 exec_lo, exec_lo, s19
.LBB294_1731:                           ;   in Loop: Header=BB294_924 Depth=1
	s_or_b32 exec_lo, exec_lo, s18
.LBB294_1732:                           ;   in Loop: Header=BB294_924 Depth=1
	s_or_b32 exec_lo, exec_lo, s15
	v_lshrrev_b32_e32 v2, 16, v11
	v_mov_b32_e32 v117, 0
	v_mov_b32_e32 v118, 0
	v_cmp_ne_u16_sdwa s4, v2, v4 src0_sel:BYTE_0 src1_sel:DWORD
	s_and_saveexec_b32 s15, s4
	s_cbranch_execz .LBB294_1740
; %bb.1733:                             ;   in Loop: Header=BB294_924 Depth=1
	v_cmp_ne_u16_sdwa s4, v2, v49 src0_sel:BYTE_0 src1_sel:DWORD
	v_mov_b32_e32 v118, 0x8000
	s_and_saveexec_b32 s18, s4
	s_cbranch_execz .LBB294_1739
; %bb.1734:                             ;   in Loop: Header=BB294_924 Depth=1
	v_bfe_u32 v119, v11, 16, 7
	v_mov_b32_e32 v118, 0x7c01
	s_mov_b32 s19, exec_lo
	v_cmpx_ne_u32_e32 0x7f, v119
	s_cbranch_execz .LBB294_1738
; %bb.1735:                             ;   in Loop: Header=BB294_924 Depth=1
	v_and_b32_e32 v3, 7, v2
	v_lshrrev_b32_e32 v118, 3, v119
	s_mov_b32 s20, exec_lo
	v_cmpx_gt_u32_e32 8, v119
; %bb.1736:                             ;   in Loop: Header=BB294_924 Depth=1
	v_ffbh_u32_e32 v3, v3
	v_min_u32_e32 v3, 32, v3
	v_subrev_nc_u32_e32 v118, 28, v3
	v_lshlrev_b64 v[40:41], v118, v[2:3]
	v_sub_nc_u32_e32 v118, 29, v3
	v_and_b32_e32 v3, 7, v40
; %bb.1737:                             ;   in Loop: Header=BB294_924 Depth=1
	s_or_b32 exec_lo, exec_lo, s20
	v_lshlrev_b32_e32 v2, 8, v2
	v_lshl_add_u32 v118, v118, 10, 0x2000
	v_lshlrev_b32_e32 v3, 7, v3
	v_and_b32_e32 v2, 0x8000, v2
	v_and_b32_e32 v118, 0xfc00, v118
	v_or3_b32 v118, v2, v118, v3
.LBB294_1738:                           ;   in Loop: Header=BB294_924 Depth=1
	s_or_b32 exec_lo, exec_lo, s19
.LBB294_1739:                           ;   in Loop: Header=BB294_924 Depth=1
	s_or_b32 exec_lo, exec_lo, s18
.LBB294_1740:                           ;   in Loop: Header=BB294_924 Depth=1
	s_or_b32 exec_lo, exec_lo, s15
	s_mov_b32 s15, exec_lo
	v_cmpx_lt_u32_e32 0xffffff, v11
	s_cbranch_execz .LBB294_1748
; %bb.1741:                             ;   in Loop: Header=BB294_924 Depth=1
	v_lshrrev_b32_e32 v3, 24, v11
	v_bfrev_b32_e32 v117, 1
	s_mov_b32 s18, exec_lo
	v_cmpx_ne_u32_e32 0x80, v3
	s_cbranch_execz .LBB294_1747
; %bb.1742:                             ;   in Loop: Header=BB294_924 Depth=1
	v_and_b32_e32 v119, 0x7f, v3
	v_mov_b32_e32 v117, 0x7c010000
	s_mov_b32 s19, exec_lo
	v_cmpx_ne_u32_e32 0x7f, v119
	s_cbranch_execz .LBB294_1746
; %bb.1743:                             ;   in Loop: Header=BB294_924 Depth=1
	v_and_b32_e32 v2, 7, v3
	v_lshrrev_b32_e32 v117, 3, v119
	s_mov_b32 s20, exec_lo
	v_cmpx_gt_u32_e32 8, v119
; %bb.1744:                             ;   in Loop: Header=BB294_924 Depth=1
	v_ffbh_u32_e32 v2, v2
	v_min_u32_e32 v2, 32, v2
	v_subrev_nc_u32_e32 v117, 28, v2
	v_lshlrev_b64 v[40:41], v117, v[3:4]
	v_sub_nc_u32_e32 v117, 29, v2
	v_and_b32_e32 v2, 7, v40
; %bb.1745:                             ;   in Loop: Header=BB294_924 Depth=1
	s_or_b32 exec_lo, exec_lo, s20
	v_lshlrev_b32_e32 v3, 8, v3
	v_lshl_add_u32 v117, v117, 10, 0x2000
	v_lshlrev_b32_e32 v2, 23, v2
	v_and_or_b32 v3, 0x8000, v3, v117
	v_lshl_or_b32 v117, v3, 16, v2
.LBB294_1746:                           ;   in Loop: Header=BB294_924 Depth=1
	s_or_b32 exec_lo, exec_lo, s19
.LBB294_1747:                           ;   in Loop: Header=BB294_924 Depth=1
	s_or_b32 exec_lo, exec_lo, s18
.LBB294_1748:                           ;   in Loop: Header=BB294_924 Depth=1
	s_or_b32 exec_lo, exec_lo, s15
	v_mov_b32_e32 v3, v12
	v_cmp_ne_u16_sdwa s4, v12, v4 src0_sel:BYTE_0 src1_sel:DWORD
	v_mov_b32_e32 v119, 0
	v_mov_b32_e32 v40, 0
	s_and_saveexec_b32 s15, s4
	s_cbranch_execz .LBB294_1756
; %bb.1749:                             ;   in Loop: Header=BB294_924 Depth=1
	v_cmp_ne_u16_sdwa s4, v12, v49 src0_sel:BYTE_0 src1_sel:DWORD
	v_mov_b32_e32 v40, 0x8000
	s_and_saveexec_b32 s18, s4
	s_cbranch_execz .LBB294_1755
; %bb.1750:                             ;   in Loop: Header=BB294_924 Depth=1
	v_and_b32_e32 v41, 0x7f, v12
	v_mov_b32_e32 v40, 0x7c01
	s_mov_b32 s19, exec_lo
	v_cmpx_ne_u32_e32 0x7f, v41
	s_cbranch_execz .LBB294_1754
; %bb.1751:                             ;   in Loop: Header=BB294_924 Depth=1
	v_and_b32_e32 v2, 7, v12
	v_lshrrev_b32_e32 v40, 3, v41
	s_mov_b32 s20, exec_lo
	v_cmpx_gt_u32_e32 8, v41
; %bb.1752:                             ;   in Loop: Header=BB294_924 Depth=1
	v_ffbh_u32_e32 v2, v2
	v_min_u32_e32 v2, 32, v2
	v_subrev_nc_u32_e32 v40, 28, v2
	v_lshlrev_b64 v[41:42], v40, v[3:4]
	v_sub_nc_u32_e32 v40, 29, v2
	v_and_b32_e32 v2, 7, v41
; %bb.1753:                             ;   in Loop: Header=BB294_924 Depth=1
	s_or_b32 exec_lo, exec_lo, s20
	v_lshlrev_b32_e32 v41, 8, v12
	v_lshl_add_u32 v40, v40, 10, 0x2000
	v_lshlrev_b32_e32 v2, 7, v2
	v_and_b32_e32 v41, 0x8000, v41
	v_and_b32_e32 v40, 0xfc00, v40
	v_or3_b32 v40, v41, v40, v2
.LBB294_1754:                           ;   in Loop: Header=BB294_924 Depth=1
	s_or_b32 exec_lo, exec_lo, s19
.LBB294_1755:                           ;   in Loop: Header=BB294_924 Depth=1
	s_or_b32 exec_lo, exec_lo, s18
.LBB294_1756:                           ;   in Loop: Header=BB294_924 Depth=1
	s_or_b32 exec_lo, exec_lo, s15
	v_lshrrev_b16 v3, 8, v3
	v_mov_b32_e32 v41, 0
	s_mov_b32 s15, exec_lo
	v_cmpx_ne_u16_e32 0, v3
	s_cbranch_execz .LBB294_1764
; %bb.1757:                             ;   in Loop: Header=BB294_924 Depth=1
	v_bfrev_b32_e32 v41, 1
	s_mov_b32 s18, exec_lo
	v_cmpx_ne_u16_e32 0x80, v3
	s_cbranch_execz .LBB294_1763
; %bb.1758:                             ;   in Loop: Header=BB294_924 Depth=1
	v_and_b32_sdwa v42, v3, v50 dst_sel:DWORD dst_unused:UNUSED_PAD src0_sel:WORD_0 src1_sel:DWORD
	v_mov_b32_e32 v41, 0x7c010000
	s_mov_b32 s19, exec_lo
	v_cmpx_ne_u32_e32 0x7f, v42
	s_cbranch_execz .LBB294_1762
; %bb.1759:                             ;   in Loop: Header=BB294_924 Depth=1
	v_and_b32_sdwa v2, v3, v51 dst_sel:DWORD dst_unused:UNUSED_PAD src0_sel:WORD_0 src1_sel:DWORD
	v_lshrrev_b32_e32 v41, 3, v42
	s_mov_b32 s20, exec_lo
	v_cmpx_gt_u32_e32 8, v42
; %bb.1760:                             ;   in Loop: Header=BB294_924 Depth=1
	v_ffbh_u32_e32 v2, v2
	v_min_u32_e32 v2, 32, v2
	v_subrev_nc_u32_e32 v41, 28, v2
	v_lshlrev_b64 v[42:43], v41, v[3:4]
	v_sub_nc_u32_e32 v41, 29, v2
	v_and_b32_e32 v2, 7, v42
; %bb.1761:                             ;   in Loop: Header=BB294_924 Depth=1
	s_or_b32 exec_lo, exec_lo, s20
	v_lshlrev_b32_sdwa v3, v52, v3 dst_sel:DWORD dst_unused:UNUSED_PAD src0_sel:DWORD src1_sel:WORD_0
	v_lshl_add_u32 v41, v41, 10, 0x2000
	v_lshlrev_b32_e32 v2, 23, v2
	v_and_or_b32 v3, 0x8000, v3, v41
	v_lshl_or_b32 v41, v3, 16, v2
.LBB294_1762:                           ;   in Loop: Header=BB294_924 Depth=1
	s_or_b32 exec_lo, exec_lo, s19
.LBB294_1763:                           ;   in Loop: Header=BB294_924 Depth=1
	s_or_b32 exec_lo, exec_lo, s18
.LBB294_1764:                           ;   in Loop: Header=BB294_924 Depth=1
	s_or_b32 exec_lo, exec_lo, s15
	v_lshrrev_b32_e32 v2, 16, v12
	v_cmp_ne_u16_sdwa s4, v2, v4 src0_sel:BYTE_0 src1_sel:DWORD
	s_and_saveexec_b32 s15, s4
	s_cbranch_execz .LBB294_1772
; %bb.1765:                             ;   in Loop: Header=BB294_924 Depth=1
	v_cmp_ne_u16_sdwa s4, v2, v49 src0_sel:BYTE_0 src1_sel:DWORD
	v_mov_b32_e32 v119, 0x8000
	s_and_saveexec_b32 s18, s4
	s_cbranch_execz .LBB294_1771
; %bb.1766:                             ;   in Loop: Header=BB294_924 Depth=1
	v_bfe_u32 v42, v12, 16, 7
	v_mov_b32_e32 v119, 0x7c01
	s_mov_b32 s19, exec_lo
	v_cmpx_ne_u32_e32 0x7f, v42
	s_cbranch_execz .LBB294_1770
; %bb.1767:                             ;   in Loop: Header=BB294_924 Depth=1
	v_and_b32_e32 v3, 7, v2
	v_lshrrev_b32_e32 v119, 3, v42
	s_mov_b32 s20, exec_lo
	v_cmpx_gt_u32_e32 8, v42
; %bb.1768:                             ;   in Loop: Header=BB294_924 Depth=1
	v_ffbh_u32_e32 v3, v3
	v_min_u32_e32 v3, 32, v3
	v_subrev_nc_u32_e32 v119, 28, v3
	v_lshlrev_b64 v[42:43], v119, v[2:3]
	v_sub_nc_u32_e32 v119, 29, v3
	v_and_b32_e32 v3, 7, v42
; %bb.1769:                             ;   in Loop: Header=BB294_924 Depth=1
	s_or_b32 exec_lo, exec_lo, s20
	v_lshlrev_b32_e32 v2, 8, v2
	v_lshl_add_u32 v119, v119, 10, 0x2000
	v_lshlrev_b32_e32 v3, 7, v3
	v_and_b32_e32 v2, 0x8000, v2
	v_and_b32_e32 v119, 0xfc00, v119
	v_or3_b32 v119, v2, v119, v3
.LBB294_1770:                           ;   in Loop: Header=BB294_924 Depth=1
	s_or_b32 exec_lo, exec_lo, s19
.LBB294_1771:                           ;   in Loop: Header=BB294_924 Depth=1
	s_or_b32 exec_lo, exec_lo, s18
.LBB294_1772:                           ;   in Loop: Header=BB294_924 Depth=1
	s_or_b32 exec_lo, exec_lo, s15
	v_mov_b32_e32 v2, 0
	s_mov_b32 s15, exec_lo
	v_cmpx_lt_u64_e64 s[6:7], v[11:12]
	s_cbranch_execz .LBB294_1780
; %bb.1773:                             ;   in Loop: Header=BB294_924 Depth=1
	v_lshrrev_b32_e32 v3, 24, v12
	v_bfrev_b32_e32 v2, 1
	s_mov_b32 s18, exec_lo
	v_cmpx_ne_u32_e32 0x80, v3
	s_cbranch_execz .LBB294_1779
; %bb.1774:                             ;   in Loop: Header=BB294_924 Depth=1
	v_and_b32_e32 v12, 0x7f, v3
	v_mov_b32_e32 v2, 0x7c010000
	s_mov_b32 s19, exec_lo
	v_cmpx_ne_u32_e32 0x7f, v12
	s_cbranch_execz .LBB294_1778
; %bb.1775:                             ;   in Loop: Header=BB294_924 Depth=1
	v_and_b32_e32 v2, 7, v3
	v_lshrrev_b32_e32 v11, 3, v12
	s_mov_b32 s20, exec_lo
	v_cmpx_gt_u32_e32 8, v12
; %bb.1776:                             ;   in Loop: Header=BB294_924 Depth=1
	v_ffbh_u32_e32 v2, v2
	v_min_u32_e32 v2, 32, v2
	v_subrev_nc_u32_e32 v11, 28, v2
	v_lshlrev_b64 v[42:43], v11, v[3:4]
	v_sub_nc_u32_e32 v11, 29, v2
	v_and_b32_e32 v2, 7, v42
; %bb.1777:                             ;   in Loop: Header=BB294_924 Depth=1
	s_or_b32 exec_lo, exec_lo, s20
	v_lshlrev_b32_e32 v3, 8, v3
	v_lshl_add_u32 v11, v11, 10, 0x2000
	v_lshlrev_b32_e32 v2, 23, v2
	v_and_or_b32 v3, 0x8000, v3, v11
	v_lshl_or_b32 v2, v3, 16, v2
.LBB294_1778:                           ;   in Loop: Header=BB294_924 Depth=1
	s_or_b32 exec_lo, exec_lo, s19
.LBB294_1779:                           ;   in Loop: Header=BB294_924 Depth=1
	s_or_b32 exec_lo, exec_lo, s18
.LBB294_1780:                           ;   in Loop: Header=BB294_924 Depth=1
	s_or_b32 exec_lo, exec_lo, s15
	v_or_b32_e32 v3, v117, v118
	s_waitcnt vmcnt(0) lgkmcnt(0)
	v_fma_mixlo_f16 v11, v114, v117, 0 op_sel:[0,1,0] op_sel_hi:[0,1,0]
	v_or_b32_e32 v12, v115, v116
	v_or_b32_e32 v116, v41, v40
	;; [unrolled: 1-line block ×3, first 2 shown]
	v_fma_mixlo_f16 v117, v114, v3, 0 op_sel_hi:[0,1,0]
	v_fma_mixlo_f16 v115, v114, v115, 0 op_sel:[0,1,0] op_sel_hi:[0,1,0]
	v_lshlrev_b32_e32 v3, 16, v11
	v_fma_mixlo_f16 v12, v114, v12, 0 op_sel_hi:[0,1,0]
	v_fma_mixlo_f16 v116, v114, v116, 0 op_sel_hi:[0,1,0]
	v_and_b32_e32 v11, 0xffff, v117
	v_fma_mixlo_f16 v117, v114, v41, 0 op_sel:[0,1,0] op_sel_hi:[0,1,0]
	v_fma_mixlo_f16 v2, v114, v2, 0 op_sel:[0,1,0] op_sel_hi:[0,1,0]
	v_fma_mixlo_f16 v114, v114, v118, 0 op_sel_hi:[0,1,0]
	v_lshlrev_b32_e32 v115, 16, v115
	v_and_b32_e32 v41, 0xffff, v12
	v_lshlrev_b32_e32 v12, 16, v117
	v_and_b32_e32 v117, 0xffff, v116
	;; [unrolled: 2-line block ×3, first 2 shown]
	v_or_b32_e32 v116, v3, v11
	v_or_b32_e32 v40, v115, v41
	;; [unrolled: 1-line block ×4, first 2 shown]
	s_and_saveexec_b32 s15, vcc_lo
	s_cbranch_execz .LBB294_1782
; %bb.1781:                             ;   in Loop: Header=BB294_924 Depth=1
	v_cmp_lt_i32_e64 s4, v54, v28
	v_cndmask_b32_e64 v116, 0, v41, s4
	v_cmp_lt_i32_e64 s4, v82, v28
	v_cndmask_b32_e64 v115, 0, v115, s4
	v_cmp_lt_i32_e64 s4, v81, v28
	v_or_b32_e32 v40, v116, v115
	v_cndmask_b32_e64 v11, 0, v11, s4
	v_cmp_lt_i32_e64 s4, v80, v28
	v_cndmask_b32_e64 v3, 0, v3, s4
	v_cmp_lt_i32_e64 s4, v71, v28
	v_or_b32_e32 v116, v11, v3
	;; [unrolled: 5-line block ×3, first 2 shown]
	v_cndmask_b32_e64 v114, 0, v114, s4
	v_cmp_lt_i32_e64 s4, v31, v28
	v_cndmask_b32_e64 v2, 0, v2, s4
	v_or_b32_e32 v118, v114, v2
.LBB294_1782:                           ;   in Loop: Header=BB294_924 Depth=1
	s_or_b32 exec_lo, exec_lo, s15
	;;#ASMSTART
	v_pk_mul_f16 v2, v67, v40;

	;;#ASMEND
	;;#ASMSTART
	v_pk_mul_f16 v3, v65, v116;

	;;#ASMEND
	;; [unrolled: 4-line block ×4, first 2 shown]
	;;#ASMSTART
	v_pk_add_f16 v2, v2, v3;

	;;#ASMEND
	;;#ASMSTART
	v_pk_add_f16 v2, v2, v11;

	;;#ASMEND
	;; [unrolled: 4-line block ×3, first 2 shown]
	v_and_b32_e32 v3, 0xffff, v2
	v_lshrrev_b32_e32 v2, 16, v2
	;;#ASMSTART
	v_cvt_f32_f16 v11, v3;
	;;#ASMEND
	;;#ASMSTART
	v_cvt_f32_f16 v12, v2;
	;;#ASMEND
	flat_load_dwordx2 v[9:10], v[9:10] offset:1280
	flat_load_dword v114, v[22:23]
	v_mov_b32_e32 v115, 0
	v_mov_b32_e32 v116, 0
	s_waitcnt vmcnt(1) lgkmcnt(1)
	v_cmp_ne_u16_sdwa s4, v9, v4 src0_sel:BYTE_0 src1_sel:DWORD
	s_and_saveexec_b32 s15, s4
	s_cbranch_execz .LBB294_1790
; %bb.1783:                             ;   in Loop: Header=BB294_924 Depth=1
	v_cmp_ne_u16_sdwa s4, v9, v49 src0_sel:BYTE_0 src1_sel:DWORD
	v_mov_b32_e32 v116, 0x8000
	s_and_saveexec_b32 s18, s4
	s_cbranch_execz .LBB294_1789
; %bb.1784:                             ;   in Loop: Header=BB294_924 Depth=1
	v_and_b32_e32 v117, 0x7f, v9
	v_mov_b32_e32 v116, 0x7c01
	s_mov_b32 s19, exec_lo
	v_cmpx_ne_u32_e32 0x7f, v117
	s_cbranch_execz .LBB294_1788
; %bb.1785:                             ;   in Loop: Header=BB294_924 Depth=1
	v_and_b32_e32 v2, 7, v9
	v_lshrrev_b32_e32 v3, 3, v117
	s_mov_b32 s20, exec_lo
	v_cmpx_gt_u32_e32 8, v117
; %bb.1786:                             ;   in Loop: Header=BB294_924 Depth=1
	v_ffbh_u32_e32 v2, v2
	v_min_u32_e32 v116, 32, v2
	v_subrev_nc_u32_e32 v2, 28, v116
	v_lshlrev_b64 v[2:3], v2, v[9:10]
	v_sub_nc_u32_e32 v3, 29, v116
	v_and_b32_e32 v2, 7, v2
; %bb.1787:                             ;   in Loop: Header=BB294_924 Depth=1
	s_or_b32 exec_lo, exec_lo, s20
	v_lshlrev_b32_e32 v116, 8, v9
	v_lshl_add_u32 v3, v3, 10, 0x2000
	v_lshlrev_b32_e32 v2, 7, v2
	v_and_b32_e32 v116, 0x8000, v116
	v_and_b32_e32 v3, 0xfc00, v3
	v_or3_b32 v116, v116, v3, v2
.LBB294_1788:                           ;   in Loop: Header=BB294_924 Depth=1
	s_or_b32 exec_lo, exec_lo, s19
.LBB294_1789:                           ;   in Loop: Header=BB294_924 Depth=1
	s_or_b32 exec_lo, exec_lo, s18
.LBB294_1790:                           ;   in Loop: Header=BB294_924 Depth=1
	s_or_b32 exec_lo, exec_lo, s15
	v_lshrrev_b16 v3, 8, v9
	s_mov_b32 s15, exec_lo
	v_cmpx_ne_u16_e32 0, v3
	s_cbranch_execz .LBB294_1798
; %bb.1791:                             ;   in Loop: Header=BB294_924 Depth=1
	v_bfrev_b32_e32 v115, 1
	s_mov_b32 s18, exec_lo
	v_cmpx_ne_u16_e32 0x80, v3
	s_cbranch_execz .LBB294_1797
; %bb.1792:                             ;   in Loop: Header=BB294_924 Depth=1
	v_and_b32_sdwa v117, v3, v50 dst_sel:DWORD dst_unused:UNUSED_PAD src0_sel:WORD_0 src1_sel:DWORD
	v_mov_b32_e32 v115, 0x7c010000
	s_mov_b32 s19, exec_lo
	v_cmpx_ne_u32_e32 0x7f, v117
	s_cbranch_execz .LBB294_1796
; %bb.1793:                             ;   in Loop: Header=BB294_924 Depth=1
	v_and_b32_sdwa v2, v3, v51 dst_sel:DWORD dst_unused:UNUSED_PAD src0_sel:WORD_0 src1_sel:DWORD
	v_lshrrev_b32_e32 v115, 3, v117
	s_mov_b32 s20, exec_lo
	v_cmpx_gt_u32_e32 8, v117
; %bb.1794:                             ;   in Loop: Header=BB294_924 Depth=1
	v_ffbh_u32_e32 v2, v2
	v_min_u32_e32 v2, 32, v2
	v_subrev_nc_u32_e32 v115, 28, v2
	v_lshlrev_b64 v[117:118], v115, v[3:4]
	v_sub_nc_u32_e32 v115, 29, v2
	v_and_b32_e32 v2, 7, v117
; %bb.1795:                             ;   in Loop: Header=BB294_924 Depth=1
	s_or_b32 exec_lo, exec_lo, s20
	v_lshlrev_b32_sdwa v3, v52, v3 dst_sel:DWORD dst_unused:UNUSED_PAD src0_sel:DWORD src1_sel:WORD_0
	v_lshl_add_u32 v115, v115, 10, 0x2000
	v_lshlrev_b32_e32 v2, 23, v2
	v_and_or_b32 v3, 0x8000, v3, v115
	v_lshl_or_b32 v115, v3, 16, v2
.LBB294_1796:                           ;   in Loop: Header=BB294_924 Depth=1
	s_or_b32 exec_lo, exec_lo, s19
.LBB294_1797:                           ;   in Loop: Header=BB294_924 Depth=1
	s_or_b32 exec_lo, exec_lo, s18
.LBB294_1798:                           ;   in Loop: Header=BB294_924 Depth=1
	s_or_b32 exec_lo, exec_lo, s15
	v_lshrrev_b32_e32 v2, 16, v9
	v_mov_b32_e32 v117, 0
	v_mov_b32_e32 v118, 0
	v_cmp_ne_u16_sdwa s4, v2, v4 src0_sel:BYTE_0 src1_sel:DWORD
	s_and_saveexec_b32 s15, s4
	s_cbranch_execz .LBB294_1806
; %bb.1799:                             ;   in Loop: Header=BB294_924 Depth=1
	v_cmp_ne_u16_sdwa s4, v2, v49 src0_sel:BYTE_0 src1_sel:DWORD
	v_mov_b32_e32 v118, 0x8000
	s_and_saveexec_b32 s18, s4
	s_cbranch_execz .LBB294_1805
; %bb.1800:                             ;   in Loop: Header=BB294_924 Depth=1
	v_bfe_u32 v119, v9, 16, 7
	v_mov_b32_e32 v118, 0x7c01
	s_mov_b32 s19, exec_lo
	v_cmpx_ne_u32_e32 0x7f, v119
	s_cbranch_execz .LBB294_1804
; %bb.1801:                             ;   in Loop: Header=BB294_924 Depth=1
	v_and_b32_e32 v3, 7, v2
	v_lshrrev_b32_e32 v118, 3, v119
	s_mov_b32 s20, exec_lo
	v_cmpx_gt_u32_e32 8, v119
; %bb.1802:                             ;   in Loop: Header=BB294_924 Depth=1
	v_ffbh_u32_e32 v3, v3
	v_min_u32_e32 v3, 32, v3
	v_subrev_nc_u32_e32 v118, 28, v3
	v_lshlrev_b64 v[40:41], v118, v[2:3]
	v_sub_nc_u32_e32 v118, 29, v3
	v_and_b32_e32 v3, 7, v40
; %bb.1803:                             ;   in Loop: Header=BB294_924 Depth=1
	s_or_b32 exec_lo, exec_lo, s20
	v_lshlrev_b32_e32 v2, 8, v2
	v_lshl_add_u32 v118, v118, 10, 0x2000
	v_lshlrev_b32_e32 v3, 7, v3
	v_and_b32_e32 v2, 0x8000, v2
	v_and_b32_e32 v118, 0xfc00, v118
	v_or3_b32 v118, v2, v118, v3
.LBB294_1804:                           ;   in Loop: Header=BB294_924 Depth=1
	s_or_b32 exec_lo, exec_lo, s19
.LBB294_1805:                           ;   in Loop: Header=BB294_924 Depth=1
	s_or_b32 exec_lo, exec_lo, s18
.LBB294_1806:                           ;   in Loop: Header=BB294_924 Depth=1
	s_or_b32 exec_lo, exec_lo, s15
	s_mov_b32 s15, exec_lo
	v_cmpx_lt_u32_e32 0xffffff, v9
	s_cbranch_execz .LBB294_1814
; %bb.1807:                             ;   in Loop: Header=BB294_924 Depth=1
	v_lshrrev_b32_e32 v3, 24, v9
	v_bfrev_b32_e32 v117, 1
	s_mov_b32 s18, exec_lo
	v_cmpx_ne_u32_e32 0x80, v3
	s_cbranch_execz .LBB294_1813
; %bb.1808:                             ;   in Loop: Header=BB294_924 Depth=1
	v_and_b32_e32 v119, 0x7f, v3
	v_mov_b32_e32 v117, 0x7c010000
	s_mov_b32 s19, exec_lo
	v_cmpx_ne_u32_e32 0x7f, v119
	s_cbranch_execz .LBB294_1812
; %bb.1809:                             ;   in Loop: Header=BB294_924 Depth=1
	v_and_b32_e32 v2, 7, v3
	v_lshrrev_b32_e32 v117, 3, v119
	s_mov_b32 s20, exec_lo
	v_cmpx_gt_u32_e32 8, v119
; %bb.1810:                             ;   in Loop: Header=BB294_924 Depth=1
	v_ffbh_u32_e32 v2, v2
	v_min_u32_e32 v2, 32, v2
	v_subrev_nc_u32_e32 v117, 28, v2
	v_lshlrev_b64 v[40:41], v117, v[3:4]
	v_sub_nc_u32_e32 v117, 29, v2
	v_and_b32_e32 v2, 7, v40
; %bb.1811:                             ;   in Loop: Header=BB294_924 Depth=1
	s_or_b32 exec_lo, exec_lo, s20
	v_lshlrev_b32_e32 v3, 8, v3
	v_lshl_add_u32 v117, v117, 10, 0x2000
	v_lshlrev_b32_e32 v2, 23, v2
	v_and_or_b32 v3, 0x8000, v3, v117
	v_lshl_or_b32 v117, v3, 16, v2
.LBB294_1812:                           ;   in Loop: Header=BB294_924 Depth=1
	s_or_b32 exec_lo, exec_lo, s19
.LBB294_1813:                           ;   in Loop: Header=BB294_924 Depth=1
	s_or_b32 exec_lo, exec_lo, s18
.LBB294_1814:                           ;   in Loop: Header=BB294_924 Depth=1
	s_or_b32 exec_lo, exec_lo, s15
	v_mov_b32_e32 v3, v10
	v_cmp_ne_u16_sdwa s4, v10, v4 src0_sel:BYTE_0 src1_sel:DWORD
	v_mov_b32_e32 v119, 0
	v_mov_b32_e32 v40, 0
	s_and_saveexec_b32 s15, s4
	s_cbranch_execz .LBB294_1822
; %bb.1815:                             ;   in Loop: Header=BB294_924 Depth=1
	v_cmp_ne_u16_sdwa s4, v10, v49 src0_sel:BYTE_0 src1_sel:DWORD
	v_mov_b32_e32 v40, 0x8000
	s_and_saveexec_b32 s18, s4
	s_cbranch_execz .LBB294_1821
; %bb.1816:                             ;   in Loop: Header=BB294_924 Depth=1
	v_and_b32_e32 v41, 0x7f, v10
	v_mov_b32_e32 v40, 0x7c01
	s_mov_b32 s19, exec_lo
	v_cmpx_ne_u32_e32 0x7f, v41
	s_cbranch_execz .LBB294_1820
; %bb.1817:                             ;   in Loop: Header=BB294_924 Depth=1
	v_and_b32_e32 v2, 7, v10
	v_lshrrev_b32_e32 v40, 3, v41
	s_mov_b32 s20, exec_lo
	v_cmpx_gt_u32_e32 8, v41
; %bb.1818:                             ;   in Loop: Header=BB294_924 Depth=1
	v_ffbh_u32_e32 v2, v2
	v_min_u32_e32 v2, 32, v2
	v_subrev_nc_u32_e32 v40, 28, v2
	v_lshlrev_b64 v[41:42], v40, v[3:4]
	v_sub_nc_u32_e32 v40, 29, v2
	v_and_b32_e32 v2, 7, v41
; %bb.1819:                             ;   in Loop: Header=BB294_924 Depth=1
	s_or_b32 exec_lo, exec_lo, s20
	v_lshlrev_b32_e32 v41, 8, v10
	v_lshl_add_u32 v40, v40, 10, 0x2000
	v_lshlrev_b32_e32 v2, 7, v2
	v_and_b32_e32 v41, 0x8000, v41
	v_and_b32_e32 v40, 0xfc00, v40
	v_or3_b32 v40, v41, v40, v2
.LBB294_1820:                           ;   in Loop: Header=BB294_924 Depth=1
	s_or_b32 exec_lo, exec_lo, s19
.LBB294_1821:                           ;   in Loop: Header=BB294_924 Depth=1
	s_or_b32 exec_lo, exec_lo, s18
.LBB294_1822:                           ;   in Loop: Header=BB294_924 Depth=1
	s_or_b32 exec_lo, exec_lo, s15
	v_lshrrev_b16 v3, 8, v3
	v_mov_b32_e32 v41, 0
	s_mov_b32 s15, exec_lo
	v_cmpx_ne_u16_e32 0, v3
	s_cbranch_execz .LBB294_1830
; %bb.1823:                             ;   in Loop: Header=BB294_924 Depth=1
	v_bfrev_b32_e32 v41, 1
	s_mov_b32 s18, exec_lo
	v_cmpx_ne_u16_e32 0x80, v3
	s_cbranch_execz .LBB294_1829
; %bb.1824:                             ;   in Loop: Header=BB294_924 Depth=1
	v_and_b32_sdwa v42, v3, v50 dst_sel:DWORD dst_unused:UNUSED_PAD src0_sel:WORD_0 src1_sel:DWORD
	v_mov_b32_e32 v41, 0x7c010000
	s_mov_b32 s19, exec_lo
	v_cmpx_ne_u32_e32 0x7f, v42
	s_cbranch_execz .LBB294_1828
; %bb.1825:                             ;   in Loop: Header=BB294_924 Depth=1
	v_and_b32_sdwa v2, v3, v51 dst_sel:DWORD dst_unused:UNUSED_PAD src0_sel:WORD_0 src1_sel:DWORD
	v_lshrrev_b32_e32 v41, 3, v42
	s_mov_b32 s20, exec_lo
	v_cmpx_gt_u32_e32 8, v42
; %bb.1826:                             ;   in Loop: Header=BB294_924 Depth=1
	v_ffbh_u32_e32 v2, v2
	v_min_u32_e32 v2, 32, v2
	v_subrev_nc_u32_e32 v41, 28, v2
	v_lshlrev_b64 v[42:43], v41, v[3:4]
	v_sub_nc_u32_e32 v41, 29, v2
	v_and_b32_e32 v2, 7, v42
; %bb.1827:                             ;   in Loop: Header=BB294_924 Depth=1
	s_or_b32 exec_lo, exec_lo, s20
	v_lshlrev_b32_sdwa v3, v52, v3 dst_sel:DWORD dst_unused:UNUSED_PAD src0_sel:DWORD src1_sel:WORD_0
	v_lshl_add_u32 v41, v41, 10, 0x2000
	v_lshlrev_b32_e32 v2, 23, v2
	v_and_or_b32 v3, 0x8000, v3, v41
	v_lshl_or_b32 v41, v3, 16, v2
.LBB294_1828:                           ;   in Loop: Header=BB294_924 Depth=1
	s_or_b32 exec_lo, exec_lo, s19
.LBB294_1829:                           ;   in Loop: Header=BB294_924 Depth=1
	s_or_b32 exec_lo, exec_lo, s18
.LBB294_1830:                           ;   in Loop: Header=BB294_924 Depth=1
	s_or_b32 exec_lo, exec_lo, s15
	v_lshrrev_b32_e32 v2, 16, v10
	v_cmp_ne_u16_sdwa s4, v2, v4 src0_sel:BYTE_0 src1_sel:DWORD
	s_and_saveexec_b32 s15, s4
	s_cbranch_execz .LBB294_1838
; %bb.1831:                             ;   in Loop: Header=BB294_924 Depth=1
	v_cmp_ne_u16_sdwa s4, v2, v49 src0_sel:BYTE_0 src1_sel:DWORD
	v_mov_b32_e32 v119, 0x8000
	s_and_saveexec_b32 s18, s4
	s_cbranch_execz .LBB294_1837
; %bb.1832:                             ;   in Loop: Header=BB294_924 Depth=1
	v_bfe_u32 v42, v10, 16, 7
	v_mov_b32_e32 v119, 0x7c01
	s_mov_b32 s19, exec_lo
	v_cmpx_ne_u32_e32 0x7f, v42
	s_cbranch_execz .LBB294_1836
; %bb.1833:                             ;   in Loop: Header=BB294_924 Depth=1
	v_and_b32_e32 v3, 7, v2
	v_lshrrev_b32_e32 v119, 3, v42
	s_mov_b32 s20, exec_lo
	v_cmpx_gt_u32_e32 8, v42
; %bb.1834:                             ;   in Loop: Header=BB294_924 Depth=1
	v_ffbh_u32_e32 v3, v3
	v_min_u32_e32 v3, 32, v3
	v_subrev_nc_u32_e32 v119, 28, v3
	v_lshlrev_b64 v[42:43], v119, v[2:3]
	v_sub_nc_u32_e32 v119, 29, v3
	v_and_b32_e32 v3, 7, v42
; %bb.1835:                             ;   in Loop: Header=BB294_924 Depth=1
	s_or_b32 exec_lo, exec_lo, s20
	v_lshlrev_b32_e32 v2, 8, v2
	v_lshl_add_u32 v119, v119, 10, 0x2000
	v_lshlrev_b32_e32 v3, 7, v3
	v_and_b32_e32 v2, 0x8000, v2
	v_and_b32_e32 v119, 0xfc00, v119
	v_or3_b32 v119, v2, v119, v3
.LBB294_1836:                           ;   in Loop: Header=BB294_924 Depth=1
	s_or_b32 exec_lo, exec_lo, s19
.LBB294_1837:                           ;   in Loop: Header=BB294_924 Depth=1
	s_or_b32 exec_lo, exec_lo, s18
.LBB294_1838:                           ;   in Loop: Header=BB294_924 Depth=1
	s_or_b32 exec_lo, exec_lo, s15
	v_mov_b32_e32 v2, 0
	s_mov_b32 s15, exec_lo
	v_cmpx_lt_u64_e64 s[6:7], v[9:10]
	s_cbranch_execz .LBB294_1846
; %bb.1839:                             ;   in Loop: Header=BB294_924 Depth=1
	v_lshrrev_b32_e32 v3, 24, v10
	v_bfrev_b32_e32 v2, 1
	s_mov_b32 s18, exec_lo
	v_cmpx_ne_u32_e32 0x80, v3
	s_cbranch_execz .LBB294_1845
; %bb.1840:                             ;   in Loop: Header=BB294_924 Depth=1
	v_and_b32_e32 v10, 0x7f, v3
	v_mov_b32_e32 v2, 0x7c010000
	s_mov_b32 s19, exec_lo
	v_cmpx_ne_u32_e32 0x7f, v10
	s_cbranch_execz .LBB294_1844
; %bb.1841:                             ;   in Loop: Header=BB294_924 Depth=1
	v_and_b32_e32 v2, 7, v3
	v_lshrrev_b32_e32 v9, 3, v10
	s_mov_b32 s20, exec_lo
	v_cmpx_gt_u32_e32 8, v10
; %bb.1842:                             ;   in Loop: Header=BB294_924 Depth=1
	v_ffbh_u32_e32 v2, v2
	v_min_u32_e32 v2, 32, v2
	v_subrev_nc_u32_e32 v9, 28, v2
	v_lshlrev_b64 v[42:43], v9, v[3:4]
	v_sub_nc_u32_e32 v9, 29, v2
	v_and_b32_e32 v2, 7, v42
; %bb.1843:                             ;   in Loop: Header=BB294_924 Depth=1
	s_or_b32 exec_lo, exec_lo, s20
	v_lshlrev_b32_e32 v3, 8, v3
	v_lshl_add_u32 v9, v9, 10, 0x2000
	v_lshlrev_b32_e32 v2, 23, v2
	v_and_or_b32 v3, 0x8000, v3, v9
	v_lshl_or_b32 v2, v3, 16, v2
.LBB294_1844:                           ;   in Loop: Header=BB294_924 Depth=1
	s_or_b32 exec_lo, exec_lo, s19
.LBB294_1845:                           ;   in Loop: Header=BB294_924 Depth=1
	s_or_b32 exec_lo, exec_lo, s18
.LBB294_1846:                           ;   in Loop: Header=BB294_924 Depth=1
	s_or_b32 exec_lo, exec_lo, s15
	v_or_b32_e32 v3, v117, v118
	s_waitcnt vmcnt(0) lgkmcnt(0)
	v_fma_mixlo_f16 v9, v114, v117, 0 op_sel:[0,1,0] op_sel_hi:[0,1,0]
	v_or_b32_e32 v10, v115, v116
	v_fma_mixlo_f16 v116, v114, v115, 0 op_sel:[0,1,0] op_sel_hi:[0,1,0]
	v_or_b32_e32 v117, v41, v40
	v_fma_mixlo_f16 v3, v114, v3, 0 op_sel_hi:[0,1,0]
	v_or_b32_e32 v118, v2, v119
	v_lshlrev_b32_e32 v115, 16, v9
	v_lshlrev_b32_e32 v119, 16, v116
	v_fma_mixlo_f16 v9, v114, v10, 0 op_sel_hi:[0,1,0]
	v_and_b32_e32 v116, 0xffff, v3
	v_fma_mixlo_f16 v3, v114, v41, 0 op_sel:[0,1,0] op_sel_hi:[0,1,0]
	v_fma_mixlo_f16 v10, v114, v117, 0 op_sel_hi:[0,1,0]
	v_fma_mixlo_f16 v2, v114, v2, 0 op_sel:[0,1,0] op_sel_hi:[0,1,0]
	v_fma_mixlo_f16 v118, v114, v118, 0 op_sel_hi:[0,1,0]
	v_and_b32_e32 v41, 0xffff, v9
	v_lshlrev_b32_e32 v117, 16, v3
	v_and_b32_e32 v40, 0xffff, v10
	v_lshlrev_b32_e32 v114, 16, v2
	v_and_b32_e32 v118, 0xffff, v118
	v_or_b32_e32 v2, v115, v116
	v_or_b32_e32 v10, v119, v41
	;; [unrolled: 1-line block ×4, first 2 shown]
	s_and_saveexec_b32 s4, vcc_lo
	s_cbranch_execz .LBB294_923
; %bb.1847:                             ;   in Loop: Header=BB294_924 Depth=1
	v_cmp_lt_i32_e32 vcc_lo, v54, v28
	v_cndmask_b32_e32 v2, 0, v41, vcc_lo
	v_cmp_lt_i32_e32 vcc_lo, v82, v28
	v_cndmask_b32_e32 v3, 0, v119, vcc_lo
	v_cmp_lt_i32_e32 vcc_lo, v81, v28
	v_or_b32_e32 v10, v2, v3
	v_cndmask_b32_e32 v9, 0, v116, vcc_lo
	v_cmp_lt_i32_e32 vcc_lo, v80, v28
	v_cndmask_b32_e32 v54, 0, v115, vcc_lo
	v_cmp_lt_i32_e32 vcc_lo, v71, v28
	v_or_b32_e32 v2, v9, v54
	;; [unrolled: 5-line block ×3, first 2 shown]
	v_cndmask_b32_e32 v69, 0, v118, vcc_lo
	v_cmp_lt_i32_e32 vcc_lo, v31, v28
	v_cndmask_b32_e32 v80, 0, v114, vcc_lo
	v_or_b32_e32 v3, v69, v80
	s_branch .LBB294_923
.LBB294_1848:
	s_or_b32 exec_lo, exec_lo, s13
	v_mov_b32_e32 v4, s16
	v_mov_b32_e32 v5, s17
.LBB294_1849:
	s_or_b32 exec_lo, exec_lo, s5
	ds_bpermute_b32 v11, v14, v20
	s_waitcnt lgkmcnt(0)
	s_barrier
	buffer_gl0_inv
	v_lshlrev_b64 v[0:1], 2, v[4:5]
	s_getpc_b64 s[4:5]
	s_add_u32 s4, s4, llvm.amdgcn.dynlds.offset.table@rel32@lo+4
	s_addc_u32 s5, s5, llvm.amdgcn.dynlds.offset.table@rel32@hi+12
	ds_bpermute_b32 v2, v14, v38
	ds_bpermute_b32 v3, v14, v37
	;; [unrolled: 1-line block ×4, first 2 shown]
	v_add_co_u32 v0, vcc_lo, s4, v0
	v_add_co_ci_u32_e64 v1, null, s5, v1, vcc_lo
	ds_bpermute_b32 v6, v14, v33
	ds_bpermute_b32 v7, v14, v32
	;; [unrolled: 1-line block ×3, first 2 shown]
	global_load_dword v18, v[0:1], off
	ds_bpermute_b32 v0, v14, v36
	ds_bpermute_b32 v1, v14, v39
	v_add_f32_e32 v20, v20, v11
	buffer_load_dword v11, off, s[0:3], s32 offset:272 ; 4-byte Folded Reload
	ds_bpermute_b32 v9, v14, v24
	ds_bpermute_b32 v10, v14, v21
	;; [unrolled: 1-line block ×4, first 2 shown]
	s_waitcnt lgkmcnt(12)
	v_add_f32_e32 v2, v38, v2
	s_waitcnt lgkmcnt(11)
	v_add_f32_e32 v3, v37, v3
	;; [unrolled: 2-line block ×4, first 2 shown]
	s_mov_b32 s4, exec_lo
	s_waitcnt lgkmcnt(8)
	v_add_f32_e32 v6, v33, v6
	s_waitcnt lgkmcnt(7)
	v_add_f32_e32 v19, v32, v7
	;; [unrolled: 2-line block ×3, first 2 shown]
	ds_bpermute_b32 v25, v13, v4
	s_waitcnt lgkmcnt(6)
	v_add_f32_e32 v0, v36, v0
	s_waitcnt lgkmcnt(5)
	v_add_f32_e32 v1, v39, v1
	ds_bpermute_b32 v26, v13, v5
	ds_bpermute_b32 v27, v13, v6
	s_waitcnt lgkmcnt(6)
	v_add_f32_e32 v23, v24, v9
	s_waitcnt lgkmcnt(5)
	v_add_f32_e32 v21, v21, v10
	;; [unrolled: 2-line block ×4, first 2 shown]
	ds_bpermute_b32 v7, v13, v0
	ds_bpermute_b32 v8, v13, v1
	;; [unrolled: 1-line block ×11, first 2 shown]
	v_and_b32_e32 v36, 0x3c3, v44
	s_waitcnt lgkmcnt(10)
	v_add_f32_e32 v13, v0, v7
	s_waitcnt lgkmcnt(9)
	v_add_f32_e32 v12, v1, v8
	v_add_f32_e32 v8, v5, v26
	s_waitcnt lgkmcnt(7)
	v_add_f32_e32 v10, v3, v10
	;; [unrolled: 3-line block ×3, first 2 shown]
	s_waitcnt lgkmcnt(5)
	v_add_f32_e32 v5, v22, v29
	s_waitcnt lgkmcnt(3)
	v_add_f32_e32 v3, v21, v31
	s_waitcnt lgkmcnt(1)
	v_add_f32_e32 v1, v24, v33
	s_waitcnt lgkmcnt(0)
	v_add_f32_e32 v0, v16, v34
	s_waitcnt vmcnt(0)
	v_lshrrev_b32_e32 v14, 2, v11
	v_and_b32_e32 v35, 28, v11
	buffer_load_dword v11, off, s[0:3], s32 offset:276 ; 4-byte Folded Reload
	v_add_nc_u32_e32 v16, v18, v35
	s_waitcnt vmcnt(0)
	v_mul_u32_u24_e32 v17, 0x1c0, v11
	v_add_f32_e32 v11, v2, v9
	v_add_f32_e32 v9, v4, v25
	;; [unrolled: 1-line block ×4, first 2 shown]
	v_cmpx_eq_u32_e32 64, v36
	s_cbranch_execz .LBB294_1851
; %bb.1850:
	v_add_nc_u32_e32 v19, v16, v17
	v_add_nc_u32_e32 v20, 0xfffffc80, v19
	;; [unrolled: 1-line block ×7, first 2 shown]
	ds_write_b32 v20, v13
	ds_write_b32 v21, v12
	;; [unrolled: 1-line block ×4, first 2 shown]
	v_add_nc_u32_e32 v20, 0xfffffd40, v19
	v_add_nc_u32_e32 v21, 0xfffffd60, v19
	;; [unrolled: 1-line block ×3, first 2 shown]
	ds_write_b32 v24, v9
	ds_write_b32 v25, v8
	;; [unrolled: 1-line block ×5, first 2 shown]
	v_add_nc_u32_e32 v20, 0xfffffda0, v19
	v_add_nc_u32_e32 v21, 0xfffffdc0, v19
	;; [unrolled: 1-line block ×5, first 2 shown]
	ds_write_b32 v20, v4
	ds_write_b32 v21, v3
	;; [unrolled: 1-line block ×5, first 2 shown]
.LBB294_1851:
	s_or_b32 exec_lo, exec_lo, s4
	v_lshlrev_b32_e32 v14, 2, v14
	s_mov_b32 s5, exec_lo
	v_cmp_eq_u32_e32 vcc_lo, 0, v15
	s_waitcnt lgkmcnt(0)
	s_barrier
	v_add3_u32 v14, v18, v17, v14
	buffer_gl0_inv
	v_cmpx_gt_u32_e32 64, v44
	s_cbranch_execz .LBB294_1868
; %bb.1852:
	s_and_saveexec_b32 s4, vcc_lo
	s_cbranch_execnz .LBB294_1890
; %bb.1853:
	s_or_b32 exec_lo, exec_lo, s4
	s_and_saveexec_b32 s4, vcc_lo
	s_cbranch_execnz .LBB294_1891
.LBB294_1854:
	s_or_b32 exec_lo, exec_lo, s4
	s_and_saveexec_b32 s4, vcc_lo
	s_cbranch_execnz .LBB294_1892
.LBB294_1855:
	s_or_b32 exec_lo, exec_lo, s4
	s_and_saveexec_b32 s4, vcc_lo
	s_cbranch_execnz .LBB294_1893
.LBB294_1856:
	s_or_b32 exec_lo, exec_lo, s4
	s_and_saveexec_b32 s4, vcc_lo
	s_cbranch_execnz .LBB294_1894
.LBB294_1857:
	s_or_b32 exec_lo, exec_lo, s4
	s_and_saveexec_b32 s4, vcc_lo
	s_cbranch_execnz .LBB294_1895
.LBB294_1858:
	s_or_b32 exec_lo, exec_lo, s4
	s_and_saveexec_b32 s4, vcc_lo
	s_cbranch_execnz .LBB294_1896
.LBB294_1859:
	s_or_b32 exec_lo, exec_lo, s4
	s_and_saveexec_b32 s4, vcc_lo
	s_cbranch_execnz .LBB294_1897
.LBB294_1860:
	s_or_b32 exec_lo, exec_lo, s4
	s_and_saveexec_b32 s4, vcc_lo
	s_cbranch_execnz .LBB294_1898
.LBB294_1861:
	s_or_b32 exec_lo, exec_lo, s4
	s_and_saveexec_b32 s4, vcc_lo
	s_cbranch_execnz .LBB294_1899
.LBB294_1862:
	s_or_b32 exec_lo, exec_lo, s4
	s_and_saveexec_b32 s4, vcc_lo
	s_cbranch_execnz .LBB294_1900
.LBB294_1863:
	s_or_b32 exec_lo, exec_lo, s4
	s_and_saveexec_b32 s4, vcc_lo
	s_cbranch_execnz .LBB294_1901
.LBB294_1864:
	s_or_b32 exec_lo, exec_lo, s4
	s_and_saveexec_b32 s4, vcc_lo
	s_cbranch_execnz .LBB294_1902
.LBB294_1865:
	s_or_b32 exec_lo, exec_lo, s4
	s_and_saveexec_b32 s4, vcc_lo
	s_cbranch_execz .LBB294_1867
.LBB294_1866:
	ds_read_b32 v15, v14 offset:416
	s_waitcnt lgkmcnt(0)
	v_add_f32_e32 v0, v15, v0
.LBB294_1867:
	s_or_b32 exec_lo, exec_lo, s4
.LBB294_1868:
	s_or_b32 exec_lo, exec_lo, s5
	v_and_b32_e32 v15, 0x3e3, v44
	s_mov_b32 s5, exec_lo
	s_barrier
	buffer_gl0_inv
	v_cmpx_eq_u32_e32 32, v15
	s_cbranch_execz .LBB294_1870
; %bb.1869:
	ds_write2_b32 v16, v13, v12 offset1:8
	ds_write2_b32 v16, v11, v10 offset0:16 offset1:24
	ds_write2_b32 v16, v9, v8 offset0:32 offset1:40
	;; [unrolled: 1-line block ×6, first 2 shown]
.LBB294_1870:
	s_or_b32 exec_lo, exec_lo, s5
	s_mov_b32 s5, exec_lo
	s_waitcnt lgkmcnt(0)
	s_barrier
	buffer_gl0_inv
	v_cmpx_gt_u32_e32 32, v44
	s_cbranch_execz .LBB294_1887
; %bb.1871:
	s_and_saveexec_b32 s4, vcc_lo
	s_cbranch_execnz .LBB294_1903
; %bb.1872:
	s_or_b32 exec_lo, exec_lo, s4
	s_and_saveexec_b32 s4, vcc_lo
	s_cbranch_execnz .LBB294_1904
.LBB294_1873:
	s_or_b32 exec_lo, exec_lo, s4
	s_and_saveexec_b32 s4, vcc_lo
	s_cbranch_execnz .LBB294_1905
.LBB294_1874:
	s_or_b32 exec_lo, exec_lo, s4
	s_and_saveexec_b32 s4, vcc_lo
	s_cbranch_execnz .LBB294_1906
.LBB294_1875:
	s_or_b32 exec_lo, exec_lo, s4
	s_and_saveexec_b32 s4, vcc_lo
	s_cbranch_execnz .LBB294_1907
.LBB294_1876:
	s_or_b32 exec_lo, exec_lo, s4
	s_and_saveexec_b32 s4, vcc_lo
	s_cbranch_execnz .LBB294_1908
.LBB294_1877:
	s_or_b32 exec_lo, exec_lo, s4
	s_and_saveexec_b32 s4, vcc_lo
	s_cbranch_execnz .LBB294_1909
.LBB294_1878:
	s_or_b32 exec_lo, exec_lo, s4
	s_and_saveexec_b32 s4, vcc_lo
	s_cbranch_execnz .LBB294_1910
.LBB294_1879:
	s_or_b32 exec_lo, exec_lo, s4
	s_and_saveexec_b32 s4, vcc_lo
	s_cbranch_execnz .LBB294_1911
.LBB294_1880:
	s_or_b32 exec_lo, exec_lo, s4
	s_and_saveexec_b32 s4, vcc_lo
	s_cbranch_execnz .LBB294_1912
.LBB294_1881:
	s_or_b32 exec_lo, exec_lo, s4
	s_and_saveexec_b32 s4, vcc_lo
	s_cbranch_execnz .LBB294_1913
.LBB294_1882:
	s_or_b32 exec_lo, exec_lo, s4
	s_and_saveexec_b32 s4, vcc_lo
	s_cbranch_execnz .LBB294_1914
.LBB294_1883:
	s_or_b32 exec_lo, exec_lo, s4
	s_and_saveexec_b32 s4, vcc_lo
	s_cbranch_execnz .LBB294_1915
.LBB294_1884:
	s_or_b32 exec_lo, exec_lo, s4
	s_and_saveexec_b32 s4, vcc_lo
	s_cbranch_execz .LBB294_1886
.LBB294_1885:
	ds_read_b32 v14, v14 offset:416
	s_waitcnt lgkmcnt(0)
	v_add_f32_e32 v0, v14, v0
.LBB294_1886:
	s_or_b32 exec_lo, exec_lo, s4
.LBB294_1887:
	s_or_b32 exec_lo, exec_lo, s5
	s_mov_b32 s4, exec_lo
	s_barrier
	buffer_gl0_inv
	v_cmpx_eq_u32_e32 0, v15
	s_cbranch_execz .LBB294_1889
; %bb.1888:
	s_clause 0x1
	buffer_load_dword v15, off, s[0:3], s32 offset:312
	buffer_load_dword v16, off, s[0:3], s32 offset:308
	s_and_b32 s5, 0xffff, s9
	s_mul_i32 s6, s14, 0x70
	s_cmp_lg_u32 s5, 0
	v_lshrrev_b32_e32 v14, 1, v44
	s_cselect_b32 s5, -1, 0
	;;#ASMSTART
	v_cvt_f16_f32 v13, v13;

	;;#ASMEND
	s_cmp_lg_u32 s5, 0
	s_addc_u32 s5, s8, 0
	s_mul_i32 s7, s5, s10
	s_mul_i32 s10, s12, s5
	;; [unrolled: 1-line block ×3, first 2 shown]
	s_ashr_i32 s11, s10, 31
	s_mulk_i32 s8, 0x70
	s_ashr_i32 s7, s6, 31
	s_ashr_i32 s9, s8, 31
	s_lshl_b64 s[6:7], s[6:7], 1
	s_lshl_b64 s[8:9], s[8:9], 1
	s_waitcnt vmcnt(1)
	v_add_co_u32 v15, vcc_lo, v15, s8
	s_waitcnt vmcnt(0)
	v_add_co_ci_u32_e64 v16, null, s9, v16, vcc_lo
	s_lshl_b64 s[8:9], s[10:11], 1
	v_add_co_u32 v15, vcc_lo, v15, s8
	v_add_co_ci_u32_e64 v16, null, s9, v16, vcc_lo
	v_add_co_u32 v15, vcc_lo, v15, s6
	v_add_co_ci_u32_e64 v16, null, s7, v16, vcc_lo
	;; [unrolled: 2-line block ×3, first 2 shown]
	flat_store_short v[14:15], v13
	;;#ASMSTART
	v_cvt_f16_f32 v12, v12;

	;;#ASMEND
	flat_store_short v[14:15], v12 offset:16
	;;#ASMSTART
	v_cvt_f16_f32 v11, v11;

	;;#ASMEND
	flat_store_short v[14:15], v11 offset:32
	;; [unrolled: 5-line block ×13, first 2 shown]
.LBB294_1889:
	s_or_b32 exec_lo, exec_lo, s4
	s_clause 0x2f
	buffer_load_dword v127, off, s[0:3], s32
	buffer_load_dword v126, off, s[0:3], s32 offset:4
	buffer_load_dword v125, off, s[0:3], s32 offset:8
	;; [unrolled: 1-line block ×47, first 2 shown]
	s_waitcnt vmcnt(0) lgkmcnt(0)
	s_setpc_b64 s[30:31]
.LBB294_1890:
	ds_read_b32 v15, v14
	s_waitcnt lgkmcnt(0)
	v_add_f32_e32 v13, v15, v13
	s_or_b32 exec_lo, exec_lo, s4
	s_and_saveexec_b32 s4, vcc_lo
	s_cbranch_execz .LBB294_1854
.LBB294_1891:
	ds_read_b32 v15, v14 offset:32
	s_waitcnt lgkmcnt(0)
	v_add_f32_e32 v12, v15, v12
	s_or_b32 exec_lo, exec_lo, s4
	s_and_saveexec_b32 s4, vcc_lo
	s_cbranch_execz .LBB294_1855
.LBB294_1892:
	ds_read_b32 v15, v14 offset:64
	s_waitcnt lgkmcnt(0)
	v_add_f32_e32 v11, v15, v11
	s_or_b32 exec_lo, exec_lo, s4
	s_and_saveexec_b32 s4, vcc_lo
	s_cbranch_execz .LBB294_1856
.LBB294_1893:
	ds_read_b32 v15, v14 offset:96
	s_waitcnt lgkmcnt(0)
	v_add_f32_e32 v10, v15, v10
	s_or_b32 exec_lo, exec_lo, s4
	s_and_saveexec_b32 s4, vcc_lo
	s_cbranch_execz .LBB294_1857
.LBB294_1894:
	ds_read_b32 v15, v14 offset:128
	s_waitcnt lgkmcnt(0)
	v_add_f32_e32 v9, v15, v9
	s_or_b32 exec_lo, exec_lo, s4
	s_and_saveexec_b32 s4, vcc_lo
	s_cbranch_execz .LBB294_1858
.LBB294_1895:
	ds_read_b32 v15, v14 offset:160
	s_waitcnt lgkmcnt(0)
	v_add_f32_e32 v8, v15, v8
	s_or_b32 exec_lo, exec_lo, s4
	s_and_saveexec_b32 s4, vcc_lo
	s_cbranch_execz .LBB294_1859
.LBB294_1896:
	ds_read_b32 v15, v14 offset:192
	s_waitcnt lgkmcnt(0)
	v_add_f32_e32 v7, v15, v7
	s_or_b32 exec_lo, exec_lo, s4
	s_and_saveexec_b32 s4, vcc_lo
	s_cbranch_execz .LBB294_1860
.LBB294_1897:
	ds_read_b32 v15, v14 offset:224
	s_waitcnt lgkmcnt(0)
	v_add_f32_e32 v6, v15, v6
	s_or_b32 exec_lo, exec_lo, s4
	s_and_saveexec_b32 s4, vcc_lo
	s_cbranch_execz .LBB294_1861
.LBB294_1898:
	ds_read_b32 v15, v14 offset:256
	s_waitcnt lgkmcnt(0)
	v_add_f32_e32 v5, v15, v5
	s_or_b32 exec_lo, exec_lo, s4
	s_and_saveexec_b32 s4, vcc_lo
	s_cbranch_execz .LBB294_1862
.LBB294_1899:
	ds_read_b32 v15, v14 offset:288
	s_waitcnt lgkmcnt(0)
	v_add_f32_e32 v4, v15, v4
	s_or_b32 exec_lo, exec_lo, s4
	s_and_saveexec_b32 s4, vcc_lo
	s_cbranch_execz .LBB294_1863
.LBB294_1900:
	ds_read_b32 v15, v14 offset:320
	s_waitcnt lgkmcnt(0)
	v_add_f32_e32 v3, v15, v3
	s_or_b32 exec_lo, exec_lo, s4
	s_and_saveexec_b32 s4, vcc_lo
	s_cbranch_execz .LBB294_1864
.LBB294_1901:
	ds_read_b32 v15, v14 offset:352
	s_waitcnt lgkmcnt(0)
	v_add_f32_e32 v2, v15, v2
	s_or_b32 exec_lo, exec_lo, s4
	s_and_saveexec_b32 s4, vcc_lo
	s_cbranch_execz .LBB294_1865
.LBB294_1902:
	ds_read_b32 v15, v14 offset:384
	s_waitcnt lgkmcnt(0)
	v_add_f32_e32 v1, v15, v1
	s_or_b32 exec_lo, exec_lo, s4
	s_and_saveexec_b32 s4, vcc_lo
	s_cbranch_execnz .LBB294_1866
	s_branch .LBB294_1867
.LBB294_1903:
	ds_read_b32 v16, v14
	s_waitcnt lgkmcnt(0)
	v_add_f32_e32 v13, v16, v13
	s_or_b32 exec_lo, exec_lo, s4
	s_and_saveexec_b32 s4, vcc_lo
	s_cbranch_execz .LBB294_1873
.LBB294_1904:
	ds_read_b32 v16, v14 offset:32
	s_waitcnt lgkmcnt(0)
	v_add_f32_e32 v12, v16, v12
	s_or_b32 exec_lo, exec_lo, s4
	s_and_saveexec_b32 s4, vcc_lo
	s_cbranch_execz .LBB294_1874
.LBB294_1905:
	ds_read_b32 v16, v14 offset:64
	s_waitcnt lgkmcnt(0)
	v_add_f32_e32 v11, v16, v11
	s_or_b32 exec_lo, exec_lo, s4
	s_and_saveexec_b32 s4, vcc_lo
	s_cbranch_execz .LBB294_1875
.LBB294_1906:
	ds_read_b32 v16, v14 offset:96
	s_waitcnt lgkmcnt(0)
	v_add_f32_e32 v10, v16, v10
	s_or_b32 exec_lo, exec_lo, s4
	s_and_saveexec_b32 s4, vcc_lo
	s_cbranch_execz .LBB294_1876
.LBB294_1907:
	ds_read_b32 v16, v14 offset:128
	s_waitcnt lgkmcnt(0)
	v_add_f32_e32 v9, v16, v9
	s_or_b32 exec_lo, exec_lo, s4
	s_and_saveexec_b32 s4, vcc_lo
	s_cbranch_execz .LBB294_1877
.LBB294_1908:
	ds_read_b32 v16, v14 offset:160
	s_waitcnt lgkmcnt(0)
	v_add_f32_e32 v8, v16, v8
	s_or_b32 exec_lo, exec_lo, s4
	s_and_saveexec_b32 s4, vcc_lo
	s_cbranch_execz .LBB294_1878
.LBB294_1909:
	ds_read_b32 v16, v14 offset:192
	s_waitcnt lgkmcnt(0)
	v_add_f32_e32 v7, v16, v7
	s_or_b32 exec_lo, exec_lo, s4
	s_and_saveexec_b32 s4, vcc_lo
	s_cbranch_execz .LBB294_1879
.LBB294_1910:
	ds_read_b32 v16, v14 offset:224
	s_waitcnt lgkmcnt(0)
	v_add_f32_e32 v6, v16, v6
	s_or_b32 exec_lo, exec_lo, s4
	s_and_saveexec_b32 s4, vcc_lo
	s_cbranch_execz .LBB294_1880
.LBB294_1911:
	ds_read_b32 v16, v14 offset:256
	s_waitcnt lgkmcnt(0)
	v_add_f32_e32 v5, v16, v5
	s_or_b32 exec_lo, exec_lo, s4
	s_and_saveexec_b32 s4, vcc_lo
	s_cbranch_execz .LBB294_1881
.LBB294_1912:
	ds_read_b32 v16, v14 offset:288
	s_waitcnt lgkmcnt(0)
	v_add_f32_e32 v4, v16, v4
	s_or_b32 exec_lo, exec_lo, s4
	s_and_saveexec_b32 s4, vcc_lo
	s_cbranch_execz .LBB294_1882
.LBB294_1913:
	ds_read_b32 v16, v14 offset:320
	s_waitcnt lgkmcnt(0)
	v_add_f32_e32 v3, v16, v3
	s_or_b32 exec_lo, exec_lo, s4
	s_and_saveexec_b32 s4, vcc_lo
	s_cbranch_execz .LBB294_1883
.LBB294_1914:
	ds_read_b32 v16, v14 offset:352
	s_waitcnt lgkmcnt(0)
	v_add_f32_e32 v2, v16, v2
	s_or_b32 exec_lo, exec_lo, s4
	s_and_saveexec_b32 s4, vcc_lo
	s_cbranch_execz .LBB294_1884
.LBB294_1915:
	ds_read_b32 v16, v14 offset:384
	s_waitcnt lgkmcnt(0)
	v_add_f32_e32 v1, v16, v1
	s_or_b32 exec_lo, exec_lo, s4
	s_and_saveexec_b32 s4, vcc_lo
	s_cbranch_execnz .LBB294_1885
	s_branch .LBB294_1886
.Lfunc_end294:
	.size	_ZN4vllm22paged_attention_kernelIthLi112ELi32ELi128ELNS_18Fp8KVCacheDataTypeE1ELb0ELi0EEEvPfS2_PT_PKS3_PKT0_S9_ifPKiSB_iPKfiiiSD_SD_iiiii, .Lfunc_end294-_ZN4vllm22paged_attention_kernelIthLi112ELi32ELi128ELNS_18Fp8KVCacheDataTypeE1ELb0ELi0EEEvPfS2_PT_PKS3_PKT0_S9_ifPKiSB_iPKfiiiSD_SD_iiiii
                                        ; -- End function
	.set .L_ZN4vllm22paged_attention_kernelIthLi112ELi32ELi128ELNS_18Fp8KVCacheDataTypeE1ELb0ELi0EEEvPfS2_PT_PKS3_PKT0_S9_ifPKiSB_iPKfiiiSD_SD_iiiii.num_vgpr, 128
	.set .L_ZN4vllm22paged_attention_kernelIthLi112ELi32ELi128ELNS_18Fp8KVCacheDataTypeE1ELb0ELi0EEEvPfS2_PT_PKS3_PKT0_S9_ifPKiSB_iPKfiiiSD_SD_iiiii.num_agpr, 0
	.set .L_ZN4vllm22paged_attention_kernelIthLi112ELi32ELi128ELNS_18Fp8KVCacheDataTypeE1ELb0ELi0EEEvPfS2_PT_PKS3_PKT0_S9_ifPKiSB_iPKfiiiSD_SD_iiiii.numbered_sgpr, 33
	.set .L_ZN4vllm22paged_attention_kernelIthLi112ELi32ELi128ELNS_18Fp8KVCacheDataTypeE1ELb0ELi0EEEvPfS2_PT_PKS3_PKT0_S9_ifPKiSB_iPKfiiiSD_SD_iiiii.num_named_barrier, 0
	.set .L_ZN4vllm22paged_attention_kernelIthLi112ELi32ELi128ELNS_18Fp8KVCacheDataTypeE1ELb0ELi0EEEvPfS2_PT_PKS3_PKT0_S9_ifPKiSB_iPKfiiiSD_SD_iiiii.private_seg_size, 336
	.set .L_ZN4vllm22paged_attention_kernelIthLi112ELi32ELi128ELNS_18Fp8KVCacheDataTypeE1ELb0ELi0EEEvPfS2_PT_PKS3_PKT0_S9_ifPKiSB_iPKfiiiSD_SD_iiiii.uses_vcc, 1
	.set .L_ZN4vllm22paged_attention_kernelIthLi112ELi32ELi128ELNS_18Fp8KVCacheDataTypeE1ELb0ELi0EEEvPfS2_PT_PKS3_PKT0_S9_ifPKiSB_iPKfiiiSD_SD_iiiii.uses_flat_scratch, 0
	.set .L_ZN4vllm22paged_attention_kernelIthLi112ELi32ELi128ELNS_18Fp8KVCacheDataTypeE1ELb0ELi0EEEvPfS2_PT_PKS3_PKT0_S9_ifPKiSB_iPKfiiiSD_SD_iiiii.has_dyn_sized_stack, 0
	.set .L_ZN4vllm22paged_attention_kernelIthLi112ELi32ELi128ELNS_18Fp8KVCacheDataTypeE1ELb0ELi0EEEvPfS2_PT_PKS3_PKT0_S9_ifPKiSB_iPKfiiiSD_SD_iiiii.has_recursion, 0
	.set .L_ZN4vllm22paged_attention_kernelIthLi112ELi32ELi128ELNS_18Fp8KVCacheDataTypeE1ELb0ELi0EEEvPfS2_PT_PKS3_PKT0_S9_ifPKiSB_iPKfiiiSD_SD_iiiii.has_indirect_call, 0
	.section	.AMDGPU.csdata,"",@progbits
; Function info:
; codeLenInByte = 63512
; TotalNumSgprs: 35
; NumVgprs: 128
; ScratchSize: 336
; MemoryBound: 0
	.section	.text._ZN4vllm25paged_attention_v1_kernelIthLi112ELi32ELi128ELNS_18Fp8KVCacheDataTypeE1ELb0EEEvPT_PKS2_PKT0_S8_ifPKiSA_iPKfiiiSC_SC_iiiii,"axG",@progbits,_ZN4vllm25paged_attention_v1_kernelIthLi112ELi32ELi128ELNS_18Fp8KVCacheDataTypeE1ELb0EEEvPT_PKS2_PKT0_S8_ifPKiSA_iPKfiiiSC_SC_iiiii,comdat
	.protected	_ZN4vllm25paged_attention_v1_kernelIthLi112ELi32ELi128ELNS_18Fp8KVCacheDataTypeE1ELb0EEEvPT_PKS2_PKT0_S8_ifPKiSA_iPKfiiiSC_SC_iiiii ; -- Begin function _ZN4vllm25paged_attention_v1_kernelIthLi112ELi32ELi128ELNS_18Fp8KVCacheDataTypeE1ELb0EEEvPT_PKS2_PKT0_S8_ifPKiSA_iPKfiiiSC_SC_iiiii
	.globl	_ZN4vllm25paged_attention_v1_kernelIthLi112ELi32ELi128ELNS_18Fp8KVCacheDataTypeE1ELb0EEEvPT_PKS2_PKT0_S8_ifPKiSA_iPKfiiiSC_SC_iiiii
	.p2align	8
	.type	_ZN4vllm25paged_attention_v1_kernelIthLi112ELi32ELi128ELNS_18Fp8KVCacheDataTypeE1ELb0EEEvPT_PKS2_PKT0_S8_ifPKiSA_iPKfiiiSC_SC_iiiii,@function
_ZN4vllm25paged_attention_v1_kernelIthLi112ELi32ELi128ELNS_18Fp8KVCacheDataTypeE1ELb0EEEvPT_PKS2_PKT0_S8_ifPKiSA_iPKfiiiSC_SC_iiiii: ; @_ZN4vllm25paged_attention_v1_kernelIthLi112ELi32ELi128ELNS_18Fp8KVCacheDataTypeE1ELb0EEEvPT_PKS2_PKT0_S8_ifPKiSA_iPKfiiiSC_SC_iiiii
; %bb.0:
	s_clause 0x5
	s_load_dwordx8 s[16:23], s[4:5], 0x0
	s_load_dwordx4 s[36:39], s[4:5], 0x20
	s_load_dwordx2 s[10:11], s[4:5], 0x30
	s_load_dword s13, s[4:5], 0x38
	s_load_dwordx2 s[34:35], s[4:5], 0x40
	s_load_dwordx8 s[24:31], s[4:5], 0x48
	s_add_u32 s0, s0, s9
	s_addc_u32 s1, s1, 0
	v_mov_b32_e32 v31, v0
	s_mov_b32 s14, s8
	s_add_u32 s8, s4, 0x80
	s_addc_u32 s9, s5, 0
	s_getpc_b64 s[4:5]
	s_add_u32 s4, s4, _ZN4vllm22paged_attention_kernelIthLi112ELi32ELi128ELNS_18Fp8KVCacheDataTypeE1ELb0ELi0EEEvPfS2_PT_PKS3_PKT0_S9_ifPKiSB_iPKfiiiSD_SD_iiiii@rel32@lo+4
	s_addc_u32 s5, s5, _ZN4vllm22paged_attention_kernelIthLi112ELi32ELi128ELNS_18Fp8KVCacheDataTypeE1ELb0ELi0EEEvPfS2_PT_PKS3_PKT0_S9_ifPKiSB_iPKfiiiSD_SD_iiiii@rel32@hi+12
	s_mov_b32 s12, s6
	s_mov_b32 s15, 34
	;; [unrolled: 1-line block ×3, first 2 shown]
	s_waitcnt lgkmcnt(0)
	v_mov_b32_e32 v0, s16
	v_mov_b32_e32 v1, s17
	;; [unrolled: 1-line block ×24, first 2 shown]
	s_mov_b32 s13, s7
	s_swappc_b64 s[30:31], s[4:5]
	s_endpgm
	.section	.rodata,"a",@progbits
	.p2align	6, 0x0
	.amdhsa_kernel _ZN4vllm25paged_attention_v1_kernelIthLi112ELi32ELi128ELNS_18Fp8KVCacheDataTypeE1ELb0EEEvPT_PKS2_PKT0_S8_ifPKiSA_iPKfiiiSC_SC_iiiii
		.amdhsa_group_segment_fixed_size 256
		.amdhsa_private_segment_fixed_size 336
		.amdhsa_kernarg_size 384
		.amdhsa_user_sgpr_count 6
		.amdhsa_user_sgpr_private_segment_buffer 1
		.amdhsa_user_sgpr_dispatch_ptr 0
		.amdhsa_user_sgpr_queue_ptr 0
		.amdhsa_user_sgpr_kernarg_segment_ptr 1
		.amdhsa_user_sgpr_dispatch_id 0
		.amdhsa_user_sgpr_flat_scratch_init 0
		.amdhsa_user_sgpr_private_segment_size 0
		.amdhsa_wavefront_size32 1
		.amdhsa_uses_dynamic_stack 0
		.amdhsa_system_sgpr_private_segment_wavefront_offset 1
		.amdhsa_system_sgpr_workgroup_id_x 1
		.amdhsa_system_sgpr_workgroup_id_y 1
		.amdhsa_system_sgpr_workgroup_id_z 1
		.amdhsa_system_sgpr_workgroup_info 0
		.amdhsa_system_vgpr_workitem_id 0
		.amdhsa_next_free_vgpr 128
		.amdhsa_next_free_sgpr 40
		.amdhsa_reserve_vcc 1
		.amdhsa_reserve_flat_scratch 0
		.amdhsa_float_round_mode_32 0
		.amdhsa_float_round_mode_16_64 0
		.amdhsa_float_denorm_mode_32 3
		.amdhsa_float_denorm_mode_16_64 3
		.amdhsa_dx10_clamp 1
		.amdhsa_ieee_mode 1
		.amdhsa_fp16_overflow 0
		.amdhsa_workgroup_processor_mode 1
		.amdhsa_memory_ordered 1
		.amdhsa_forward_progress 1
		.amdhsa_shared_vgpr_count 0
		.amdhsa_exception_fp_ieee_invalid_op 0
		.amdhsa_exception_fp_denorm_src 0
		.amdhsa_exception_fp_ieee_div_zero 0
		.amdhsa_exception_fp_ieee_overflow 0
		.amdhsa_exception_fp_ieee_underflow 0
		.amdhsa_exception_fp_ieee_inexact 0
		.amdhsa_exception_int_div_zero 0
	.end_amdhsa_kernel
	.section	.text._ZN4vllm25paged_attention_v1_kernelIthLi112ELi32ELi128ELNS_18Fp8KVCacheDataTypeE1ELb0EEEvPT_PKS2_PKT0_S8_ifPKiSA_iPKfiiiSC_SC_iiiii,"axG",@progbits,_ZN4vllm25paged_attention_v1_kernelIthLi112ELi32ELi128ELNS_18Fp8KVCacheDataTypeE1ELb0EEEvPT_PKS2_PKT0_S8_ifPKiSA_iPKfiiiSC_SC_iiiii,comdat
.Lfunc_end295:
	.size	_ZN4vllm25paged_attention_v1_kernelIthLi112ELi32ELi128ELNS_18Fp8KVCacheDataTypeE1ELb0EEEvPT_PKS2_PKT0_S8_ifPKiSA_iPKfiiiSC_SC_iiiii, .Lfunc_end295-_ZN4vllm25paged_attention_v1_kernelIthLi112ELi32ELi128ELNS_18Fp8KVCacheDataTypeE1ELb0EEEvPT_PKS2_PKT0_S8_ifPKiSA_iPKfiiiSC_SC_iiiii
                                        ; -- End function
	.set _ZN4vllm25paged_attention_v1_kernelIthLi112ELi32ELi128ELNS_18Fp8KVCacheDataTypeE1ELb0EEEvPT_PKS2_PKT0_S8_ifPKiSA_iPKfiiiSC_SC_iiiii.num_vgpr, max(32, .L_ZN4vllm22paged_attention_kernelIthLi112ELi32ELi128ELNS_18Fp8KVCacheDataTypeE1ELb0ELi0EEEvPfS2_PT_PKS3_PKT0_S9_ifPKiSB_iPKfiiiSD_SD_iiiii.num_vgpr)
	.set _ZN4vllm25paged_attention_v1_kernelIthLi112ELi32ELi128ELNS_18Fp8KVCacheDataTypeE1ELb0EEEvPT_PKS2_PKT0_S8_ifPKiSA_iPKfiiiSC_SC_iiiii.num_agpr, max(0, .L_ZN4vllm22paged_attention_kernelIthLi112ELi32ELi128ELNS_18Fp8KVCacheDataTypeE1ELb0ELi0EEEvPfS2_PT_PKS3_PKT0_S9_ifPKiSB_iPKfiiiSD_SD_iiiii.num_agpr)
	.set _ZN4vllm25paged_attention_v1_kernelIthLi112ELi32ELi128ELNS_18Fp8KVCacheDataTypeE1ELb0EEEvPT_PKS2_PKT0_S8_ifPKiSA_iPKfiiiSC_SC_iiiii.numbered_sgpr, max(40, .L_ZN4vllm22paged_attention_kernelIthLi112ELi32ELi128ELNS_18Fp8KVCacheDataTypeE1ELb0ELi0EEEvPfS2_PT_PKS3_PKT0_S9_ifPKiSB_iPKfiiiSD_SD_iiiii.numbered_sgpr)
	.set _ZN4vllm25paged_attention_v1_kernelIthLi112ELi32ELi128ELNS_18Fp8KVCacheDataTypeE1ELb0EEEvPT_PKS2_PKT0_S8_ifPKiSA_iPKfiiiSC_SC_iiiii.num_named_barrier, max(0, .L_ZN4vllm22paged_attention_kernelIthLi112ELi32ELi128ELNS_18Fp8KVCacheDataTypeE1ELb0ELi0EEEvPfS2_PT_PKS3_PKT0_S9_ifPKiSB_iPKfiiiSD_SD_iiiii.num_named_barrier)
	.set _ZN4vllm25paged_attention_v1_kernelIthLi112ELi32ELi128ELNS_18Fp8KVCacheDataTypeE1ELb0EEEvPT_PKS2_PKT0_S8_ifPKiSA_iPKfiiiSC_SC_iiiii.private_seg_size, 0+max(.L_ZN4vllm22paged_attention_kernelIthLi112ELi32ELi128ELNS_18Fp8KVCacheDataTypeE1ELb0ELi0EEEvPfS2_PT_PKS3_PKT0_S9_ifPKiSB_iPKfiiiSD_SD_iiiii.private_seg_size)
	.set _ZN4vllm25paged_attention_v1_kernelIthLi112ELi32ELi128ELNS_18Fp8KVCacheDataTypeE1ELb0EEEvPT_PKS2_PKT0_S8_ifPKiSA_iPKfiiiSC_SC_iiiii.uses_vcc, or(1, .L_ZN4vllm22paged_attention_kernelIthLi112ELi32ELi128ELNS_18Fp8KVCacheDataTypeE1ELb0ELi0EEEvPfS2_PT_PKS3_PKT0_S9_ifPKiSB_iPKfiiiSD_SD_iiiii.uses_vcc)
	.set _ZN4vllm25paged_attention_v1_kernelIthLi112ELi32ELi128ELNS_18Fp8KVCacheDataTypeE1ELb0EEEvPT_PKS2_PKT0_S8_ifPKiSA_iPKfiiiSC_SC_iiiii.uses_flat_scratch, or(0, .L_ZN4vllm22paged_attention_kernelIthLi112ELi32ELi128ELNS_18Fp8KVCacheDataTypeE1ELb0ELi0EEEvPfS2_PT_PKS3_PKT0_S9_ifPKiSB_iPKfiiiSD_SD_iiiii.uses_flat_scratch)
	.set _ZN4vllm25paged_attention_v1_kernelIthLi112ELi32ELi128ELNS_18Fp8KVCacheDataTypeE1ELb0EEEvPT_PKS2_PKT0_S8_ifPKiSA_iPKfiiiSC_SC_iiiii.has_dyn_sized_stack, or(0, .L_ZN4vllm22paged_attention_kernelIthLi112ELi32ELi128ELNS_18Fp8KVCacheDataTypeE1ELb0ELi0EEEvPfS2_PT_PKS3_PKT0_S9_ifPKiSB_iPKfiiiSD_SD_iiiii.has_dyn_sized_stack)
	.set _ZN4vllm25paged_attention_v1_kernelIthLi112ELi32ELi128ELNS_18Fp8KVCacheDataTypeE1ELb0EEEvPT_PKS2_PKT0_S8_ifPKiSA_iPKfiiiSC_SC_iiiii.has_recursion, or(0, .L_ZN4vllm22paged_attention_kernelIthLi112ELi32ELi128ELNS_18Fp8KVCacheDataTypeE1ELb0ELi0EEEvPfS2_PT_PKS3_PKT0_S9_ifPKiSB_iPKfiiiSD_SD_iiiii.has_recursion)
	.set _ZN4vllm25paged_attention_v1_kernelIthLi112ELi32ELi128ELNS_18Fp8KVCacheDataTypeE1ELb0EEEvPT_PKS2_PKT0_S8_ifPKiSA_iPKfiiiSC_SC_iiiii.has_indirect_call, or(0, .L_ZN4vllm22paged_attention_kernelIthLi112ELi32ELi128ELNS_18Fp8KVCacheDataTypeE1ELb0ELi0EEEvPfS2_PT_PKS3_PKT0_S9_ifPKiSB_iPKfiiiSD_SD_iiiii.has_indirect_call)
	.section	.AMDGPU.csdata,"",@progbits
; Kernel info:
; codeLenInByte = 224
; TotalNumSgprs: 42
; NumVgprs: 128
; ScratchSize: 336
; MemoryBound: 0
; FloatMode: 240
; IeeeMode: 1
; LDSByteSize: 256 bytes/workgroup (compile time only)
; SGPRBlocks: 0
; VGPRBlocks: 15
; NumSGPRsForWavesPerEU: 42
; NumVGPRsForWavesPerEU: 128
; Occupancy: 8
; WaveLimiterHint : 1
; COMPUTE_PGM_RSRC2:SCRATCH_EN: 1
; COMPUTE_PGM_RSRC2:USER_SGPR: 6
; COMPUTE_PGM_RSRC2:TRAP_HANDLER: 0
; COMPUTE_PGM_RSRC2:TGID_X_EN: 1
; COMPUTE_PGM_RSRC2:TGID_Y_EN: 1
; COMPUTE_PGM_RSRC2:TGID_Z_EN: 1
; COMPUTE_PGM_RSRC2:TIDIG_COMP_CNT: 0
	.text
	.p2align	2                               ; -- Begin function _ZN4vllm22paged_attention_kernelIthLi120ELi32ELi128ELNS_18Fp8KVCacheDataTypeE1ELb0ELi0EEEvPfS2_PT_PKS3_PKT0_S9_ifPKiSB_iPKfiiiSD_SD_iiiii
	.type	_ZN4vllm22paged_attention_kernelIthLi120ELi32ELi128ELNS_18Fp8KVCacheDataTypeE1ELb0ELi0EEEvPfS2_PT_PKS3_PKT0_S9_ifPKiSB_iPKfiiiSD_SD_iiiii,@function
_ZN4vllm22paged_attention_kernelIthLi120ELi32ELi128ELNS_18Fp8KVCacheDataTypeE1ELb0ELi0EEEvPfS2_PT_PKS3_PKT0_S9_ifPKiSB_iPKfiiiSD_SD_iiiii: ; @_ZN4vllm22paged_attention_kernelIthLi120ELi32ELi128ELNS_18Fp8KVCacheDataTypeE1ELb0ELi0EEEvPfS2_PT_PKS3_PKT0_S9_ifPKiSB_iPKfiiiSD_SD_iiiii
; %bb.0:
	s_waitcnt vmcnt(0) expcnt(0) lgkmcnt(0)
	buffer_store_dword v40, off, s[0:3], s32 offset:188 ; 4-byte Folded Spill
	buffer_store_dword v41, off, s[0:3], s32 offset:184 ; 4-byte Folded Spill
	;; [unrolled: 1-line block ×47, first 2 shown]
	buffer_store_dword v127, off, s[0:3], s32 ; 4-byte Folded Spill
	s_mov_b32 s10, s13
	s_ashr_i32 s11, s13, 31
	buffer_store_dword v20, off, s[0:3], s32 offset:308 ; 4-byte Folded Spill
	buffer_store_dword v21, off, s[0:3], s32 offset:312 ; 4-byte Folded Spill
	;; [unrolled: 1-line block ×4, first 2 shown]
	s_lshl_b64 s[4:5], s[10:11], 2
	buffer_store_dword v1, off, s[0:3], s32 offset:340 ; 4-byte Folded Spill
	buffer_store_dword v0, off, s[0:3], s32 offset:344 ; 4-byte Folded Spill
	v_add_co_u32 v0, vcc_lo, v12, s4
	v_add_co_ci_u32_e64 v1, null, s5, v13, vcc_lo
	s_clause 0x1
	s_load_dword s4, s[8:9], 0x10
	s_load_dword s5, s[8:9], 0x0
	v_mov_b32_e32 v26, v6
	flat_load_dword v28, v[0:1]
	v_sub_nc_u32_e32 v0, 0, v8
	v_mov_b32_e32 v18, v7
	s_mov_b32 s16, s15
	v_max_i32_e32 v0, v8, v0
	v_cvt_f32_u32_e32 v1, v0
	v_sub_nc_u32_e32 v6, 0, v0
	v_rcp_iflag_f32_e32 v1, v1
	s_waitcnt lgkmcnt(0)
	s_lshr_b32 s4, s4, 16
	s_cmp_lg_u32 s4, 0
	s_cselect_b32 s4, -1, 0
	s_cmp_lg_u32 s4, 0
	s_addc_u32 s11, s5, 0
	v_mul_f32_e32 v1, 0x4f7ffffe, v1
	s_abs_i32 s4, s11
	s_mov_b32 s5, exec_lo
	v_cvt_u32_f32_e32 v1, v1
	v_mul_lo_u32 v6, v6, v1
	v_mul_hi_u32 v6, v1, v6
	v_add_nc_u32_e32 v1, v1, v6
	v_mul_hi_u32 v1, s4, v1
	v_mul_lo_u32 v6, v1, v0
	v_add_nc_u32_e32 v7, 1, v1
	v_sub_nc_u32_e32 v6, s4, v6
	s_abs_i32 s4, s12
	v_sub_nc_u32_e32 v9, v6, v0
	v_cmp_ge_u32_e32 vcc_lo, v6, v0
	v_cndmask_b32_e32 v1, v1, v7, vcc_lo
	v_cndmask_b32_e32 v6, v6, v9, vcc_lo
	v_xor_b32_e32 v7, s11, v8
	v_add_nc_u32_e32 v8, 1, v1
	v_cmp_ge_u32_e32 vcc_lo, v6, v0
	v_ashrrev_i32_e32 v7, 31, v7
	v_cndmask_b32_e32 v0, v1, v8, vcc_lo
	v_xor_b32_e32 v0, v0, v7
	v_sub_nc_u32_e32 v1, v0, v7
	v_sub_nc_u32_e32 v0, 0, v1
	v_max_i32_e32 v0, v1, v0
	v_cvt_f32_u32_e32 v6, v0
	v_sub_nc_u32_e32 v7, 0, v0
	v_rcp_iflag_f32_e32 v6, v6
	v_mul_f32_e32 v6, 0x4f7ffffe, v6
	v_cvt_u32_f32_e32 v6, v6
	v_mul_lo_u32 v7, v7, v6
	v_mul_hi_u32 v7, v6, v7
	v_add_nc_u32_e32 v6, v6, v7
	v_mad_u64_u32 v[12:13], null, s4, v6, 0
	v_mov_b32_e32 v6, 0
	buffer_store_dword v6, off, s[0:3], s32 offset:304 ; 4-byte Folded Spill
	v_cmpx_ne_u64_e32 0, v[15:16]
	s_cbranch_execz .LBB296_2
; %bb.1:
	s_ashr_i32 s13, s12, 31
	s_lshl_b64 s[6:7], s[12:13], 2
	v_add_co_u32 v6, vcc_lo, v15, s6
	v_add_co_ci_u32_e64 v7, null, s7, v16, vcc_lo
	flat_load_dword v6, v[6:7]
	s_waitcnt vmcnt(0) lgkmcnt(0)
	buffer_store_dword v6, off, s[0:3], s32 offset:304 ; 4-byte Folded Spill
.LBB296_2:
	s_or_b32 exec_lo, exec_lo, s5
	v_and_b32_e32 v12, 0x3ff, v31
	v_ashrrev_i32_e32 v1, 31, v1
	s_ashr_i32 s5, s12, 31
	s_mulk_i32 s12, 0x78
	s_mov_b32 s6, exec_lo
	v_cmpx_gt_u32_e32 15, v12
	s_cbranch_execz .LBB296_4
; %bb.3:
	v_mul_lo_u32 v6, v17, s10
	s_ashr_i32 s13, s12, 31
	v_lshlrev_b32_e32 v15, 4, v12
	s_lshl_b64 s[18:19], s[12:13], 1
	v_ashrrev_i32_e32 v7, 31, v6
	v_lshlrev_b64 v[6:7], 1, v[6:7]
	v_add_co_u32 v2, vcc_lo, v2, v6
	v_add_co_ci_u32_e64 v3, null, v3, v7, vcc_lo
	v_add_co_u32 v2, vcc_lo, v2, s18
	v_add_co_ci_u32_e64 v3, null, s19, v3, vcc_lo
	;; [unrolled: 2-line block ×3, first 2 shown]
	flat_load_dwordx4 v[6:9], v[2:3]
	s_waitcnt vmcnt(0) lgkmcnt(0)
	ds_write_b128 v15, v[6:9]
.LBB296_4:
	s_or_b32 exec_lo, exec_lo, s6
	v_mul_lo_u32 v2, v13, v0
	v_add_nc_u32_e32 v3, 1, v13
	s_waitcnt vmcnt(0)
	v_add_nc_u32_e32 v7, 31, v28
	v_xor_b32_e32 v1, s5, v1
	s_clause 0x1
	s_load_dword s13, s[8:9], 0x14
	s_load_dword s8, s[8:9], 0x8
	v_mov_b32_e32 v8, 0xff7fffff
	v_sub_nc_u32_e32 v2, s4, v2
	v_sub_nc_u32_e32 v6, v2, v0
	v_cmp_ge_u32_e32 vcc_lo, v2, v0
	v_cndmask_b32_e32 v3, v13, v3, vcc_lo
	v_cndmask_b32_e32 v2, v2, v6, vcc_lo
	v_add_nc_u32_e32 v6, 1, v3
	v_cmp_ge_u32_e32 vcc_lo, v2, v0
	v_mul_lo_u32 v0, v14, s10
	v_cndmask_b32_e32 v2, v3, v6, vcc_lo
	v_ashrrev_i32_e32 v3, 31, v7
	v_lshrrev_b32_e32 v6, 5, v12
	v_xor_b32_e32 v2, v2, v1
	v_lshrrev_b32_e32 v3, 27, v3
	v_sub_nc_u32_e32 v2, v2, v1
	v_add_nc_u32_e32 v3, v7, v3
	v_ashrrev_i32_e32 v1, 31, v0
	v_mul_lo_u32 v27, v2, v19
	v_ashrrev_i32_e32 v3, 5, v3
	v_and_b32_e32 v2, 31, v12
	v_lshlrev_b64 v[49:50], 2, v[0:1]
	v_lshrrev_b32_e32 v19, 3, v12
	buffer_store_dword v6, off, s[0:3], s32 offset:336 ; 4-byte Folded Spill
	buffer_store_dword v3, off, s[0:3], s32 offset:236 ; 4-byte Folded Spill
	v_cmp_ge_i32_e64 s4, v6, v3
	v_lshlrev_b32_e32 v15, 2, v2
	v_ashrrev_i32_e32 v29, 31, v27
	v_cmp_lt_i32_e32 vcc_lo, v6, v3
	buffer_store_dword v2, off, s[0:3], s32 offset:332 ; 4-byte Folded Spill
	s_waitcnt lgkmcnt(0)
	s_waitcnt_vscnt null, 0x0
	s_barrier
	buffer_gl0_inv
	s_mov_b32 s9, exec_lo
	s_and_b32 s5, s9, vcc_lo
	buffer_store_dword v12, off, s[0:3], s32 offset:328 ; 4-byte Folded Spill
	s_mov_b32 exec_lo, s5
	s_cbranch_execz .LBB296_968
; %bb.5:
	s_getpc_b64 s[6:7]
	s_add_u32 s6, s6, llvm.amdgcn.dynlds.offset.table@rel32@lo+4
	s_addc_u32 s7, s7, llvm.amdgcn.dynlds.offset.table@rel32@hi+12
	s_ashr_i32 s17, s16, 31
	buffer_store_dword v26, off, s[0:3], s32 offset:360 ; 4-byte Folded Spill
	buffer_store_dword v18, off, s[0:3], s32 offset:356 ; 4-byte Folded Spill
	s_lshl_b64 s[18:19], s[16:17], 2
	s_clause 0x1
	buffer_load_dword v6, off, s[0:3], s32 offset:332
	buffer_load_dword v95, off, s[0:3], s32 offset:336
	v_and_b32_e32 v3, 0x7c, v19
	s_add_u32 s6, s6, s18
	s_addc_u32 s7, s7, s19
	v_add_co_u32 v1, vcc_lo, v4, v27
	buffer_load_dword v4, off, s[0:3], s32 offset:304 ; 4-byte Folded Reload
	s_load_dword s6, s[6:7], 0x0
	buffer_store_dword v27, off, s[0:3], s32 offset:376 ; 4-byte Folded Spill
	buffer_store_dword v29, off, s[0:3], s32 offset:380 ; 4-byte Folded Spill
	;; [unrolled: 1-line block ×4, first 2 shown]
	v_add_co_u32 v3, s5, v3, v49
	buffer_store_dword v49, off, s[0:3], s32 offset:364 ; 4-byte Folded Spill
	buffer_store_dword v50, off, s[0:3], s32 offset:368 ; 4-byte Folded Spill
	v_add_co_ci_u32_e64 v2, null, v5, v29, vcc_lo
	v_mov_b32_e32 v5, 0
	v_mov_b32_e32 v8, 0xff7fffff
	;; [unrolled: 1-line block ×3, first 2 shown]
	s_mov_b32 s15, 0
	s_waitcnt vmcnt(2)
	v_lshlrev_b32_e32 v0, 4, v6
	s_waitcnt vmcnt(1)
	v_lshl_or_b32 v63, v95, 5, v6
	s_waitcnt vmcnt(0)
	v_cmp_neq_f32_e32 vcc_lo, 0, v4
	v_lshl_or_b32 v4, v95, 7, v15
	s_waitcnt lgkmcnt(0)
	v_add_nc_u32_e32 v93, s6, v4
	v_add_co_ci_u32_e64 v6, null, 0, v50, s5
	v_add_co_u32 v0, s5, v1, v0
	v_add_co_ci_u32_e64 v1, null, 0, v2, s5
	v_add_co_u32 v43, s5, v10, v3
	v_add_co_ci_u32_e64 v44, null, v11, v6, s5
	s_mov_b32 s6, -1
	s_mov_b32 s7, 0xffffff
	buffer_store_dword v0, off, s[0:3], s32 offset:320 ; 4-byte Folded Spill
	buffer_store_dword v1, off, s[0:3], s32 offset:324 ; 4-byte Folded Spill
	buffer_store_dword v10, off, s[0:3], s32 offset:352 ; 4-byte Folded Spill
	buffer_store_dword v11, off, s[0:3], s32 offset:348 ; 4-byte Folded Spill
	s_branch .LBB296_10
.LBB296_6:                              ;   in Loop: Header=BB296_10 Depth=1
	s_or_b32 exec_lo, exec_lo, s20
	v_lshlrev_b32_e32 v4, 8, v4
	v_lshl_add_u32 v17, v17, 10, 0x2000
	v_lshlrev_b32_e32 v16, 23, v16
	v_and_or_b32 v4, 0x8000, v4, v17
	v_lshl_or_b32 v62, v4, 16, v16
.LBB296_7:                              ;   in Loop: Header=BB296_10 Depth=1
	s_or_b32 exec_lo, exec_lo, s19
.LBB296_8:                              ;   in Loop: Header=BB296_10 Depth=1
	s_or_b32 exec_lo, exec_lo, s18
	s_clause 0x2
	buffer_load_dword v63, off, s[0:3], s32 offset:224
	buffer_load_dword v93, off, s[0:3], s32 offset:228
	;; [unrolled: 1-line block ×3, first 2 shown]
.LBB296_9:                              ;   in Loop: Header=BB296_10 Depth=1
	s_or_b32 exec_lo, exec_lo, s17
	v_or_b32_e32 v4, v74, v72
	v_or_b32_e32 v0, v8, v0
	v_fma_mixlo_f16 v16, v50, v74, 0 op_sel:[0,1,0] op_sel_hi:[0,1,0]
	v_fma_mixlo_f16 v74, v50, v70, 0 op_sel:[0,1,0] op_sel_hi:[0,1,0]
	;; [unrolled: 1-line block ×3, first 2 shown]
	v_fma_mixlo_f16 v4, v50, v4, 0 op_sel_hi:[0,1,0]
	v_fma_mixlo_f16 v67, v50, v34, 0 op_sel:[0,1,0] op_sel_hi:[0,1,0]
	buffer_store_dword v16, off, s[0:3], s32 offset:264 ; 4-byte Folded Spill
	v_fma_mixlo_f16 v16, v50, v61, 0 op_sel:[0,1,0] op_sel_hi:[0,1,0]
	s_waitcnt vmcnt(2)
	v_cmp_lt_i32_e64 s5, v63, v28
	buffer_store_dword v4, off, s[0:3], s32 offset:268 ; 4-byte Folded Spill
	v_or_b32_e32 v4, v61, v60
	v_fma_mixlo_f16 v61, v50, v7, 0 op_sel:[0,1,0] op_sel_hi:[0,1,0]
	buffer_store_dword v16, off, s[0:3], s32 offset:272 ; 4-byte Folded Spill
	v_fma_mixlo_f16 v16, v50, v109, 0 op_sel:[0,1,0] op_sel_hi:[0,1,0]
	s_waitcnt vmcnt(0)
	v_add_nc_u32_e32 v95, 4, v95
	v_fma_mixlo_f16 v4, v50, v4, 0 op_sel_hi:[0,1,0]
	buffer_store_dword v16, off, s[0:3], s32 offset:256 ; 4-byte Folded Spill
	v_fma_mixlo_f16 v16, v50, v106, 0 op_sel:[0,1,0] op_sel_hi:[0,1,0]
	buffer_store_dword v4, off, s[0:3], s32 offset:276 ; 4-byte Folded Spill
	v_or_b32_e32 v4, v109, v73
	v_fma_mixlo_f16 v109, v50, v91, 0 op_sel:[0,1,0] op_sel_hi:[0,1,0]
	buffer_store_dword v16, off, s[0:3], s32 offset:296 ; 4-byte Folded Spill
	v_fma_mixlo_f16 v16, v50, v126, 0 op_sel:[0,1,0] op_sel_hi:[0,1,0]
	v_fma_mixlo_f16 v4, v50, v4, 0 op_sel_hi:[0,1,0]
	buffer_store_dword v16, off, s[0:3], s32 offset:288 ; 4-byte Folded Spill
	buffer_store_dword v4, off, s[0:3], s32 offset:260 ; 4-byte Folded Spill
	v_or_b32_e32 v4, v24, v107
	v_fma_mixlo_f16 v4, v50, v4, 0 op_sel_hi:[0,1,0]
	buffer_store_dword v4, off, s[0:3], s32 offset:252 ; 4-byte Folded Spill
	v_fma_mixlo_f16 v4, v50, v24, 0 op_sel:[0,1,0] op_sel_hi:[0,1,0]
	buffer_store_dword v4, off, s[0:3], s32 offset:248 ; 4-byte Folded Spill
	v_or_b32_e32 v4, v106, v104
	v_fma_mixlo_f16 v106, v50, v8, 0 op_sel:[0,1,0] op_sel_hi:[0,1,0]
	v_fma_mixlo_f16 v8, v50, v123, 0 op_sel:[0,1,0] op_sel_hi:[0,1,0]
	v_fma_mixlo_f16 v4, v50, v4, 0 op_sel_hi:[0,1,0]
	buffer_store_dword v4, off, s[0:3], s32 offset:300 ; 4-byte Folded Spill
	v_or_b32_e32 v4, v91, v90
	v_fma_mixlo_f16 v91, v50, v31, 0 op_sel:[0,1,0] op_sel_hi:[0,1,0]
	v_fma_mixlo_f16 v90, v50, v12, 0 op_sel:[0,1,0] op_sel_hi:[0,1,0]
	v_fma_mixlo_f16 v107, v50, v4, 0 op_sel_hi:[0,1,0]
	v_or_b32_e32 v4, v126, v105
	v_fma_mixlo_f16 v105, v50, v0, 0 op_sel_hi:[0,1,0]
	v_or_b32_e32 v0, v124, v27
	v_fma_mixlo_f16 v27, v50, v83, 0 op_sel:[0,1,0] op_sel_hi:[0,1,0]
	v_fma_mixlo_f16 v126, v50, v120, 0 op_sel:[0,1,0] op_sel_hi:[0,1,0]
	v_fma_mixlo_f16 v4, v50, v4, 0 op_sel_hi:[0,1,0]
	v_fma_mixlo_f16 v124, v50, v124, 0 op_sel:[0,1,0] op_sel_hi:[0,1,0]
	buffer_store_dword v4, off, s[0:3], s32 offset:292 ; 4-byte Folded Spill
	v_or_b32_e32 v4, v127, v125
	v_fma_mixlo_f16 v125, v50, v0, 0 op_sel_hi:[0,1,0]
	v_or_b32_e32 v0, v64, v121
	v_fma_mixlo_f16 v4, v50, v4, 0 op_sel_hi:[0,1,0]
	v_fma_mixlo_f16 v121, v50, v0, 0 op_sel_hi:[0,1,0]
	v_or_b32_e32 v0, v12, v2
	v_fma_mixlo_f16 v2, v50, v51, 0 op_sel:[0,1,0] op_sel_hi:[0,1,0]
	buffer_store_dword v4, off, s[0:3], s32 offset:284 ; 4-byte Folded Spill
	v_fma_mixlo_f16 v4, v50, v127, 0 op_sel:[0,1,0] op_sel_hi:[0,1,0]
	v_fma_mixlo_f16 v72, v50, v0, 0 op_sel_hi:[0,1,0]
	v_or_b32_e32 v0, v7, v6
	v_fma_mixlo_f16 v7, v50, v110, 0 op_sel:[0,1,0] op_sel_hi:[0,1,0]
	v_fma_mixlo_f16 v6, v50, v94, 0 op_sel:[0,1,0] op_sel_hi:[0,1,0]
	buffer_store_dword v4, off, s[0:3], s32 offset:280 ; 4-byte Folded Spill
	v_or_b32_e32 v4, v120, v26
	v_fma_mixlo_f16 v60, v50, v0, 0 op_sel_hi:[0,1,0]
	v_or_b32_e32 v0, v31, v19
	v_fma_mixlo_f16 v26, v50, v21, 0 op_sel:[0,1,0] op_sel_hi:[0,1,0]
	v_fma_mixlo_f16 v19, v50, v29, 0 op_sel:[0,1,0] op_sel_hi:[0,1,0]
	;; [unrolled: 1-line block ×4, first 2 shown]
	v_fma_mixlo_f16 v31, v50, v0, 0 op_sel_hi:[0,1,0]
	v_or_b32_e32 v0, v70, v38
	v_fma_mixlo_f16 v38, v50, v18, 0 op_sel:[0,1,0] op_sel_hi:[0,1,0]
	v_fma_mixlo_f16 v127, v50, v4, 0 op_sel_hi:[0,1,0]
	v_and_b32_e32 v6, 0xffff, v6
	v_fma_mixlo_f16 v73, v50, v0, 0 op_sel_hi:[0,1,0]
	v_or_b32_e32 v0, v21, v20
	v_fma_mixlo_f16 v21, v50, v48, 0 op_sel:[0,1,0] op_sel_hi:[0,1,0]
	v_fma_mixlo_f16 v24, v50, v0, 0 op_sel_hi:[0,1,0]
	v_or_b32_e32 v0, v18, v13
	v_fma_mixlo_f16 v13, v50, v58, 0 op_sel:[0,1,0] op_sel_hi:[0,1,0]
	;; [unrolled: 3-line block ×6, first 2 shown]
	buffer_load_dword v1, off, s[0:3], s32 offset:304 ; 4-byte Folded Reload
	v_fma_mixlo_f16 v18, v50, v0, 0 op_sel_hi:[0,1,0]
	v_or_b32_e32 v0, v29, v3
	v_fma_mixlo_f16 v29, v50, v32, 0 op_sel:[0,1,0] op_sel_hi:[0,1,0]
	v_fma_mixlo_f16 v12, v50, v0, 0 op_sel_hi:[0,1,0]
	v_or_b32_e32 v0, v48, v82
	v_fma_mixlo_f16 v20, v50, v0, 0 op_sel_hi:[0,1,0]
	v_or_b32_e32 v0, v110, v36
	v_fma_mixlo_f16 v36, v50, v78, 0 op_sel:[0,1,0] op_sel_hi:[0,1,0]
	v_fma_mixlo_f16 v110, v50, v0, 0 op_sel_hi:[0,1,0]
	v_or_b32_e32 v0, v94, v69
	v_fma_mixlo_f16 v17, v50, v0, 0 op_sel_hi:[0,1,0]
	v_or_b32_e32 v0, v123, v108
	;; [unrolled: 2-line block ×3, first 2 shown]
	v_fma_mixlo_f16 v122, v50, v14, 0 op_sel:[0,1,0] op_sel_hi:[0,1,0]
	v_fma_mixlo_f16 v48, v50, v0, 0 op_sel_hi:[0,1,0]
	v_or_b32_e32 v0, v77, v15
	v_fma_mixlo_f16 v77, v50, v77, 0 op_sel:[0,1,0] op_sel_hi:[0,1,0]
	v_fma_mixlo_f16 v108, v50, v0, 0 op_sel_hi:[0,1,0]
	v_or_b32_e32 v0, v14, v59
	;; [unrolled: 3-line block ×4, first 2 shown]
	v_fma_mixlo_f16 v16, v50, v0, 0 op_sel_hi:[0,1,0]
	v_or_b32_e32 v0, v47, v45
	v_fma_mixlo_f16 v45, v50, v57, 0 op_sel:[0,1,0] op_sel_hi:[0,1,0]
	v_fma_mixlo_f16 v47, v50, v47, 0 op_sel:[0,1,0] op_sel_hi:[0,1,0]
	v_fma_mixlo_f16 v88, v50, v0, 0 op_sel_hi:[0,1,0]
	v_or_b32_e32 v0, v10, v9
	v_fma_mixlo_f16 v92, v50, v0, 0 op_sel_hi:[0,1,0]
	v_or_b32_e32 v0, v57, v46
	v_fma_mixlo_f16 v57, v50, v116, 0 op_sel:[0,1,0] op_sel_hi:[0,1,0]
	v_fma_mixlo_f16 v46, v50, v0, 0 op_sel_hi:[0,1,0]
	v_or_b32_e32 v0, v58, v56
	v_fma_mixlo_f16 v10, v50, v0, 0 op_sel_hi:[0,1,0]
	v_or_b32_e32 v0, v119, v117
	v_fma_mixlo_f16 v117, v50, v41, 0 op_sel:[0,1,0] op_sel_hi:[0,1,0]
	v_fma_mixlo_f16 v119, v50, v119, 0 op_sel:[0,1,0] op_sel_hi:[0,1,0]
	v_fma_mixlo_f16 v56, v50, v0, 0 op_sel_hi:[0,1,0]
	v_or_b32_e32 v0, v116, v115
	v_fma_mixlo_f16 v115, v50, v42, 0 op_sel:[0,1,0] op_sel_hi:[0,1,0]
	v_fma_mixlo_f16 v58, v50, v0, 0 op_sel_hi:[0,1,0]
	v_or_b32_e32 v0, v41, v118
	;; [unrolled: 3-line block ×3, first 2 shown]
	v_fma_mixlo_f16 v116, v50, v0, 0 op_sel_hi:[0,1,0]
	v_or_b32_e32 v0, v103, v101
	v_fma_mixlo_f16 v101, v50, v113, 0 op_sel:[0,1,0] op_sel_hi:[0,1,0]
	v_fma_mixlo_f16 v103, v50, v103, 0 op_sel:[0,1,0] op_sel_hi:[0,1,0]
	v_fma_mixlo_f16 v40, v50, v0, 0 op_sel_hi:[0,1,0]
	v_or_b32_e32 v0, v100, v99
	v_fma_mixlo_f16 v99, v50, v114, 0 op_sel:[0,1,0] op_sel_hi:[0,1,0]
	v_fma_mixlo_f16 v42, v50, v0, 0 op_sel_hi:[0,1,0]
	v_or_b32_e32 v0, v113, v102
	v_fma_mixlo_f16 v102, v50, v0, 0 op_sel_hi:[0,1,0]
	v_or_b32_e32 v0, v114, v112
	v_fma_mixlo_f16 v112, v50, v87, 0 op_sel:[0,1,0] op_sel_hi:[0,1,0]
	v_fma_mixlo_f16 v114, v50, v84, 0 op_sel:[0,1,0] op_sel_hi:[0,1,0]
	v_fma_mixlo_f16 v100, v50, v0, 0 op_sel_hi:[0,1,0]
	v_or_b32_e32 v0, v87, v85
	v_fma_mixlo_f16 v113, v50, v0, 0 op_sel_hi:[0,1,0]
	v_or_b32_e32 v0, v84, v53
	v_fma_mixlo_f16 v84, v50, v98, 0 op_sel:[0,1,0] op_sel_hi:[0,1,0]
	v_fma_mixlo_f16 v32, v50, v0, 0 op_sel_hi:[0,1,0]
	v_or_b32_e32 v0, v97, v86
	v_fma_mixlo_f16 v86, v50, v97, 0 op_sel:[0,1,0] op_sel_hi:[0,1,0]
	;; [unrolled: 3-line block ×3, first 2 shown]
	v_fma_mixlo_f16 v85, v50, v0, 0 op_sel_hi:[0,1,0]
	buffer_load_dword v0, off, s[0:3], s32 offset:212 ; 4-byte Folded Reload
	s_waitcnt vmcnt(0)
	v_or_b32_e32 v0, v71, v0
	v_fma_mixlo_f16 v97, v50, v0, 0 op_sel_hi:[0,1,0]
	buffer_load_dword v0, off, s[0:3], s32 offset:208 ; 4-byte Folded Reload
	buffer_store_dword v2, off, s[0:3], s32 offset:208 ; 4-byte Folded Spill
	v_fma_mixlo_f16 v2, v50, v49, 0 op_sel:[0,1,0] op_sel_hi:[0,1,0]
	s_waitcnt vmcnt(0)
	v_or_b32_e32 v0, v68, v0
	v_fma_mixlo_f16 v68, v50, v35, 0 op_sel:[0,1,0] op_sel_hi:[0,1,0]
	v_fma_mixlo_f16 v71, v50, v0, 0 op_sel_hi:[0,1,0]
	buffer_load_dword v0, off, s[0:3], s32 offset:216 ; 4-byte Folded Reload
	s_waitcnt vmcnt(0)
	v_or_b32_e32 v0, v34, v0
	v_fma_mixlo_f16 v96, v50, v0, 0 op_sel_hi:[0,1,0]
	buffer_load_dword v0, off, s[0:3], s32 offset:220 ; 4-byte Folded Reload
	s_waitcnt vmcnt(0)
	v_or_b32_e32 v0, v35, v0
	;; [unrolled: 4-line block ×4, first 2 shown]
	v_fma_mixlo_f16 v54, v50, v54, 0 op_sel:[0,1,0] op_sel_hi:[0,1,0]
	v_fma_mixlo_f16 v78, v50, v0, 0 op_sel_hi:[0,1,0]
	buffer_load_dword v0, off, s[0:3], s32 offset:200 ; 4-byte Folded Reload
	buffer_store_dword v2, off, s[0:3], s32 offset:200 ; 4-byte Folded Spill
	s_waitcnt vmcnt(0)
	v_or_b32_e32 v0, v65, v0
	v_fma_mixlo_f16 v4, v50, v0, 0 op_sel_hi:[0,1,0]
	buffer_load_dword v0, off, s[0:3], s32 offset:204 ; 4-byte Folded Reload
	s_waitcnt vmcnt(0)
	v_or_b32_e32 v0, v55, v0
	v_fma_mixlo_f16 v55, v50, v55, 0 op_sel:[0,1,0] op_sel_hi:[0,1,0]
	v_fma_mixlo_f16 v65, v50, v0, 0 op_sel_hi:[0,1,0]
	v_sub_nc_u32_e32 v0, 1, v28
	v_add_nc_u32_e32 v0, v0, v63
	v_add_nc_u32_e32 v63, 0x80, v63
	v_cvt_f32_i32_e32 v0, v0
	v_mul_f32_e32 v0, v1, v0
	v_or_b32_e32 v1, v51, v52
	v_fma_mixlo_f16 v51, v50, v25, 0 op_sel:[0,1,0] op_sel_hi:[0,1,0]
	v_cndmask_b32_e32 v15, 0, v0, vcc_lo
	v_fma_mixlo_f16 v52, v50, v1, 0 op_sel_hi:[0,1,0]
	v_or_b32_e32 v1, v25, v76
	v_fma_mixlo_f16 v76, v50, v1, 0 op_sel_hi:[0,1,0]
	v_or_b32_e32 v1, v49, v111
	v_fma_mixlo_f16 v1, v50, v1, 0 op_sel_hi:[0,1,0]
	buffer_store_dword v1, off, s[0:3], s32 offset:204 ; 4-byte Folded Spill
	v_or_b32_e32 v1, v62, v79
	v_fma_mixlo_f16 v1, v50, v1, 0 op_sel_hi:[0,1,0]
	buffer_store_dword v1, off, s[0:3], s32 offset:196 ; 4-byte Folded Spill
	v_fma_mixlo_f16 v1, v50, v62, 0 op_sel:[0,1,0] op_sel_hi:[0,1,0]
	buffer_store_dword v1, off, s[0:3], s32 offset:192 ; 4-byte Folded Spill
	ds_read_b128 v[0:3], v5
	s_waitcnt lgkmcnt(0)
	v_lshrrev_b32_e32 v9, 16, v0
	v_and_b32_e32 v0, 0xffff, v0
	;;#ASMSTART
	v_cvt_f32_f16 v14, v0;
	;;#ASMEND
	v_and_b32_e32 v0, 0xffff, v78
	;;#ASMSTART
	v_cvt_f32_f16 v82, v9;
	;;#ASMEND
	;;#ASMSTART
	v_cvt_f32_f16 v62, v0;
	;;#ASMEND
	v_and_b32_e32 v0, 0xffff, v54
	;;#ASMSTART
	v_cvt_f32_f16 v9, v0;
	;;#ASMEND
	v_lshrrev_b32_e32 v0, 16, v1
	v_and_b32_e32 v1, 0xffff, v1
	;;#ASMSTART
	v_cvt_f32_f16 v34, v1;
	;;#ASMEND
	;;#ASMSTART
	v_cvt_f32_f16 v111, v0;
	;;#ASMEND
	v_and_b32_e32 v0, 0xffff, v53
	;;#ASMSTART
	v_cvt_f32_f16 v81, v0;
	;;#ASMEND
	v_and_b32_e32 v0, 0xffff, v36
	;;#ASMSTART
	v_cvt_f32_f16 v35, v0;
	;;#ASMEND
	v_lshrrev_b32_e32 v0, 16, v2
	v_and_b32_e32 v1, 0xffff, v2
	;;#ASMSTART
	v_cvt_f32_f16 v54, v1;
	;;#ASMEND
	;;#ASMSTART
	v_cvt_f32_f16 v53, v0;
	;;#ASMEND
	v_and_b32_e32 v0, 0xffff, v4
	;;#ASMSTART
	v_cvt_f32_f16 v78, v0;
	;;#ASMEND
	v_and_b32_e32 v0, 0xffff, v66
	v_and_b32_e32 v1, 0xffff, v3
	;;#ASMSTART
	v_cvt_f32_f16 v79, v0;
	;;#ASMEND
	v_lshrrev_b32_e32 v0, 16, v3
	;;#ASMSTART
	v_cvt_f32_f16 v25, v1;
	;;#ASMEND
	v_and_b32_e32 v1, 0xffff, v65
	;;#ASMSTART
	v_cvt_f32_f16 v0, v0;
	;;#ASMEND
	;;#ASMSTART
	v_cvt_f32_f16 v36, v1;
	;;#ASMEND
	v_and_b32_e32 v1, 0xffff, v55
	;;#ASMSTART
	v_cvt_f32_f16 v49, v1;
	;;#ASMEND
	ds_read_b128 v[1:4], v5 offset:16
	v_and_b32_e32 v65, 0xffff, v98
	s_waitcnt lgkmcnt(0)
	v_lshrrev_b32_e32 v50, 16, v1
	v_and_b32_e32 v1, 0xffff, v1
	;;#ASMSTART
	v_cvt_f32_f16 v1, v1;
	;;#ASMEND
	;;#ASMSTART
	v_cvt_f32_f16 v55, v50;
	;;#ASMEND
	v_and_b32_e32 v50, 0xffff, v71
	;;#ASMSTART
	v_cvt_f32_f16 v50, v50;
	;;#ASMEND
	;;#ASMSTART
	v_cvt_f32_f16 v65, v65;
	;;#ASMEND
	v_mul_f32_e32 v55, v55, v65
	v_mul_f32_e32 v50, v1, v50
	v_and_b32_e32 v1, 0xffff, v2
	;;#ASMSTART
	v_cvt_f32_f16 v1, v1;
	;;#ASMEND
	v_fmac_f32_e32 v55, v82, v9
	v_lshrrev_b32_e32 v9, 16, v2
	v_fmac_f32_e32 v50, v14, v62
	;;#ASMSTART
	v_cvt_f32_f16 v2, v9;
	;;#ASMEND
	v_and_b32_e32 v9, 0xffff, v97
	v_and_b32_e32 v14, 0xffff, v64
	;;#ASMSTART
	v_cvt_f32_f16 v9, v9;
	;;#ASMEND
	;;#ASMSTART
	v_cvt_f32_f16 v14, v14;
	;;#ASMEND
	v_mul_f32_e32 v65, v1, v9
	v_mul_f32_e32 v64, v2, v14
	v_lshrrev_b32_e32 v2, 16, v3
	v_and_b32_e32 v1, 0xffff, v3
	v_and_b32_e32 v3, 0xffff, v96
	;;#ASMSTART
	v_cvt_f32_f16 v1, v1;
	;;#ASMEND
	;;#ASMSTART
	v_cvt_f32_f16 v2, v2;
	;;#ASMEND
	;; [unrolled: 3-line block ×3, first 2 shown]
	v_and_b32_e32 v9, 0xffff, v67
	;;#ASMSTART
	v_cvt_f32_f16 v9, v9;
	;;#ASMEND
	v_mul_f32_e32 v67, v1, v3
	v_mul_f32_e32 v66, v2, v9
	v_lshrrev_b32_e32 v2, 16, v4
	v_and_b32_e32 v1, 0xffff, v4
	v_and_b32_e32 v3, 0xffff, v69
	;; [unrolled: 1-line block ×3, first 2 shown]
	;;#ASMSTART
	v_cvt_f32_f16 v1, v1;
	;;#ASMEND
	;;#ASMSTART
	v_cvt_f32_f16 v2, v2;
	;;#ASMEND
	;; [unrolled: 3-line block ×4, first 2 shown]
	v_mul_f32_e32 v68, v2, v4
	v_mul_f32_e32 v69, v1, v3
	v_fmac_f32_e32 v65, v34, v81
	v_fmac_f32_e32 v64, v111, v35
	;; [unrolled: 1-line block ×4, first 2 shown]
	ds_read_b128 v[0:3], v5 offset:32
	v_fmac_f32_e32 v66, v53, v79
	v_and_b32_e32 v9, 0xffff, v32
	v_and_b32_e32 v14, 0xffff, v114
	v_fmac_f32_e32 v69, v25, v36
	s_waitcnt lgkmcnt(0)
	v_lshrrev_b32_e32 v4, 16, v0
	v_and_b32_e32 v0, 0xffff, v0
	;;#ASMSTART
	v_cvt_f32_f16 v0, v0;
	;;#ASMEND
	;;#ASMSTART
	v_cvt_f32_f16 v4, v4;
	;;#ASMEND
	;;#ASMSTART
	v_cvt_f32_f16 v9, v9;
	;;#ASMEND
	;;#ASMSTART
	v_cvt_f32_f16 v14, v14;
	;;#ASMEND
	v_fmac_f32_e32 v50, v0, v9
	v_fmac_f32_e32 v55, v4, v14
	v_lshrrev_b32_e32 v4, 16, v1
	v_and_b32_e32 v0, 0xffff, v1
	;;#ASMSTART
	v_cvt_f32_f16 v0, v0;
	;;#ASMEND
	;;#ASMSTART
	v_cvt_f32_f16 v1, v4;
	;;#ASMEND
	v_and_b32_e32 v4, 0xffff, v113
	v_and_b32_e32 v9, 0xffff, v112
	;;#ASMSTART
	v_cvt_f32_f16 v4, v4;
	;;#ASMEND
	;;#ASMSTART
	v_cvt_f32_f16 v9, v9;
	;;#ASMEND
	v_fmac_f32_e32 v65, v0, v4
	v_fmac_f32_e32 v64, v1, v9
	v_lshrrev_b32_e32 v1, 16, v2
	v_and_b32_e32 v0, 0xffff, v2
	v_and_b32_e32 v2, 0xffff, v87
	;;#ASMSTART
	v_cvt_f32_f16 v0, v0;
	;;#ASMEND
	;;#ASMSTART
	v_cvt_f32_f16 v1, v1;
	;;#ASMEND
	;; [unrolled: 3-line block ×3, first 2 shown]
	v_and_b32_e32 v4, 0xffff, v86
	;;#ASMSTART
	v_cvt_f32_f16 v4, v4;
	;;#ASMEND
	v_fmac_f32_e32 v67, v0, v2
	v_fmac_f32_e32 v66, v1, v4
	v_lshrrev_b32_e32 v1, 16, v3
	v_and_b32_e32 v0, 0xffff, v3
	v_and_b32_e32 v2, 0xffff, v85
	;; [unrolled: 1-line block ×3, first 2 shown]
	;;#ASMSTART
	v_cvt_f32_f16 v0, v0;
	;;#ASMEND
	;;#ASMSTART
	v_cvt_f32_f16 v1, v1;
	;;#ASMEND
	;; [unrolled: 3-line block ×4, first 2 shown]
	v_fmac_f32_e32 v69, v0, v2
	v_fmac_f32_e32 v68, v1, v3
	ds_read_b128 v[0:3], v5 offset:48
	v_and_b32_e32 v9, 0xffff, v42
	v_and_b32_e32 v14, 0xffff, v41
	s_waitcnt lgkmcnt(0)
	v_lshrrev_b32_e32 v4, 16, v0
	v_and_b32_e32 v0, 0xffff, v0
	;;#ASMSTART
	v_cvt_f32_f16 v0, v0;
	;;#ASMEND
	;;#ASMSTART
	v_cvt_f32_f16 v4, v4;
	;;#ASMEND
	;; [unrolled: 3-line block ×4, first 2 shown]
	v_fmac_f32_e32 v50, v0, v9
	v_fmac_f32_e32 v55, v4, v14
	v_lshrrev_b32_e32 v4, 16, v1
	v_and_b32_e32 v0, 0xffff, v1
	;;#ASMSTART
	v_cvt_f32_f16 v0, v0;
	;;#ASMEND
	;;#ASMSTART
	v_cvt_f32_f16 v1, v4;
	;;#ASMEND
	v_and_b32_e32 v4, 0xffff, v40
	v_and_b32_e32 v9, 0xffff, v103
	;;#ASMSTART
	v_cvt_f32_f16 v4, v4;
	;;#ASMEND
	;;#ASMSTART
	v_cvt_f32_f16 v9, v9;
	;;#ASMEND
	v_fmac_f32_e32 v65, v0, v4
	v_fmac_f32_e32 v64, v1, v9
	v_lshrrev_b32_e32 v1, 16, v2
	v_and_b32_e32 v0, 0xffff, v2
	v_and_b32_e32 v2, 0xffff, v102
	;;#ASMSTART
	v_cvt_f32_f16 v0, v0;
	;;#ASMEND
	;;#ASMSTART
	v_cvt_f32_f16 v1, v1;
	;;#ASMEND
	;; [unrolled: 3-line block ×3, first 2 shown]
	v_and_b32_e32 v4, 0xffff, v101
	;;#ASMSTART
	v_cvt_f32_f16 v4, v4;
	;;#ASMEND
	v_fmac_f32_e32 v67, v0, v2
	v_fmac_f32_e32 v66, v1, v4
	v_lshrrev_b32_e32 v1, 16, v3
	v_and_b32_e32 v0, 0xffff, v3
	v_and_b32_e32 v2, 0xffff, v100
	;; [unrolled: 1-line block ×3, first 2 shown]
	;;#ASMSTART
	v_cvt_f32_f16 v0, v0;
	;;#ASMEND
	;;#ASMSTART
	v_cvt_f32_f16 v1, v1;
	;;#ASMEND
	;; [unrolled: 3-line block ×4, first 2 shown]
	v_fmac_f32_e32 v69, v0, v2
	v_fmac_f32_e32 v68, v1, v3
	ds_read_b128 v[0:3], v5 offset:64
	v_and_b32_e32 v9, 0xffff, v58
	v_and_b32_e32 v14, 0xffff, v57
	s_waitcnt lgkmcnt(0)
	v_lshrrev_b32_e32 v4, 16, v0
	v_and_b32_e32 v0, 0xffff, v0
	;;#ASMSTART
	v_cvt_f32_f16 v0, v0;
	;;#ASMEND
	;;#ASMSTART
	v_cvt_f32_f16 v4, v4;
	;;#ASMEND
	;; [unrolled: 3-line block ×4, first 2 shown]
	v_fmac_f32_e32 v50, v0, v9
	v_fmac_f32_e32 v55, v4, v14
	v_lshrrev_b32_e32 v4, 16, v1
	v_and_b32_e32 v0, 0xffff, v1
	;;#ASMSTART
	v_cvt_f32_f16 v0, v0;
	;;#ASMEND
	;;#ASMSTART
	v_cvt_f32_f16 v1, v4;
	;;#ASMEND
	v_and_b32_e32 v4, 0xffff, v56
	v_and_b32_e32 v9, 0xffff, v119
	;;#ASMSTART
	v_cvt_f32_f16 v4, v4;
	;;#ASMEND
	;;#ASMSTART
	v_cvt_f32_f16 v9, v9;
	;;#ASMEND
	v_fmac_f32_e32 v65, v0, v4
	v_fmac_f32_e32 v64, v1, v9
	v_lshrrev_b32_e32 v1, 16, v2
	v_and_b32_e32 v0, 0xffff, v2
	v_and_b32_e32 v2, 0xffff, v118
	;;#ASMSTART
	v_cvt_f32_f16 v0, v0;
	;;#ASMEND
	;;#ASMSTART
	v_cvt_f32_f16 v1, v1;
	;;#ASMEND
	;; [unrolled: 3-line block ×3, first 2 shown]
	v_and_b32_e32 v4, 0xffff, v117
	;;#ASMSTART
	v_cvt_f32_f16 v4, v4;
	;;#ASMEND
	v_fmac_f32_e32 v67, v0, v2
	v_fmac_f32_e32 v66, v1, v4
	v_lshrrev_b32_e32 v1, 16, v3
	v_and_b32_e32 v0, 0xffff, v3
	v_and_b32_e32 v2, 0xffff, v116
	;; [unrolled: 1-line block ×3, first 2 shown]
	;;#ASMSTART
	v_cvt_f32_f16 v0, v0;
	;;#ASMEND
	;;#ASMSTART
	v_cvt_f32_f16 v1, v1;
	;;#ASMEND
	;; [unrolled: 3-line block ×4, first 2 shown]
	v_fmac_f32_e32 v69, v0, v2
	v_fmac_f32_e32 v68, v1, v3
	ds_read_b128 v[0:3], v5 offset:80
	v_and_b32_e32 v9, 0xffff, v92
	v_and_b32_e32 v14, 0xffff, v89
	s_waitcnt lgkmcnt(0)
	v_lshrrev_b32_e32 v4, 16, v0
	v_and_b32_e32 v0, 0xffff, v0
	;;#ASMSTART
	v_cvt_f32_f16 v0, v0;
	;;#ASMEND
	;;#ASMSTART
	v_cvt_f32_f16 v4, v4;
	;;#ASMEND
	;; [unrolled: 3-line block ×4, first 2 shown]
	v_fmac_f32_e32 v50, v0, v9
	v_fmac_f32_e32 v55, v4, v14
	v_lshrrev_b32_e32 v4, 16, v1
	v_and_b32_e32 v0, 0xffff, v1
	;;#ASMSTART
	v_cvt_f32_f16 v0, v0;
	;;#ASMEND
	;;#ASMSTART
	v_cvt_f32_f16 v1, v4;
	;;#ASMEND
	v_and_b32_e32 v4, 0xffff, v88
	v_and_b32_e32 v9, 0xffff, v47
	;;#ASMSTART
	v_cvt_f32_f16 v4, v4;
	;;#ASMEND
	;;#ASMSTART
	v_cvt_f32_f16 v9, v9;
	;;#ASMEND
	v_fmac_f32_e32 v65, v0, v4
	v_fmac_f32_e32 v64, v1, v9
	v_lshrrev_b32_e32 v1, 16, v2
	v_and_b32_e32 v0, 0xffff, v2
	v_and_b32_e32 v2, 0xffff, v46
	;;#ASMSTART
	v_cvt_f32_f16 v0, v0;
	;;#ASMEND
	;;#ASMSTART
	v_cvt_f32_f16 v1, v1;
	;;#ASMEND
	;; [unrolled: 3-line block ×3, first 2 shown]
	v_and_b32_e32 v4, 0xffff, v45
	;;#ASMSTART
	v_cvt_f32_f16 v4, v4;
	;;#ASMEND
	v_fmac_f32_e32 v67, v0, v2
	v_fmac_f32_e32 v66, v1, v4
	v_lshrrev_b32_e32 v1, 16, v3
	v_and_b32_e32 v0, 0xffff, v3
	v_and_b32_e32 v2, 0xffff, v10
	;; [unrolled: 1-line block ×3, first 2 shown]
	;;#ASMSTART
	v_cvt_f32_f16 v0, v0;
	;;#ASMEND
	;;#ASMSTART
	v_cvt_f32_f16 v1, v1;
	;;#ASMEND
	;; [unrolled: 3-line block ×4, first 2 shown]
	v_fmac_f32_e32 v69, v0, v2
	v_fmac_f32_e32 v68, v1, v3
	ds_read_b128 v[0:3], v5 offset:96
	v_and_b32_e32 v9, 0xffff, v123
	v_and_b32_e32 v10, 0xffff, v122
	s_waitcnt lgkmcnt(0)
	v_lshrrev_b32_e32 v4, 16, v0
	v_and_b32_e32 v0, 0xffff, v0
	;;#ASMSTART
	v_cvt_f32_f16 v0, v0;
	;;#ASMEND
	;;#ASMSTART
	v_cvt_f32_f16 v4, v4;
	;;#ASMEND
	;; [unrolled: 3-line block ×4, first 2 shown]
	v_fmac_f32_e32 v50, v0, v9
	v_fmac_f32_e32 v55, v4, v10
	v_lshrrev_b32_e32 v4, 16, v1
	v_and_b32_e32 v0, 0xffff, v1
	;;#ASMSTART
	v_cvt_f32_f16 v0, v0;
	;;#ASMEND
	;;#ASMSTART
	v_cvt_f32_f16 v1, v4;
	;;#ASMEND
	v_and_b32_e32 v4, 0xffff, v108
	v_and_b32_e32 v9, 0xffff, v77
	;;#ASMSTART
	v_cvt_f32_f16 v4, v4;
	;;#ASMEND
	;;#ASMSTART
	v_cvt_f32_f16 v9, v9;
	;;#ASMEND
	v_fmac_f32_e32 v65, v0, v4
	v_fmac_f32_e32 v64, v1, v9
	v_lshrrev_b32_e32 v1, 16, v2
	v_and_b32_e32 v0, 0xffff, v2
	v_and_b32_e32 v2, 0xffff, v75
	;;#ASMSTART
	v_cvt_f32_f16 v0, v0;
	;;#ASMEND
	;;#ASMSTART
	v_cvt_f32_f16 v1, v1;
	;;#ASMEND
	;;#ASMSTART
	v_cvt_f32_f16 v2, v2;
	;;#ASMEND
	v_and_b32_e32 v4, 0xffff, v11
	;;#ASMSTART
	v_cvt_f32_f16 v4, v4;
	;;#ASMEND
	v_fmac_f32_e32 v67, v0, v2
	v_fmac_f32_e32 v66, v1, v4
	v_lshrrev_b32_e32 v1, 16, v3
	v_and_b32_e32 v0, 0xffff, v3
	v_and_b32_e32 v2, 0xffff, v16
	v_and_b32_e32 v3, 0xffff, v59
	;;#ASMSTART
	v_cvt_f32_f16 v0, v0;
	;;#ASMEND
	;;#ASMSTART
	v_cvt_f32_f16 v1, v1;
	;;#ASMEND
	;; [unrolled: 3-line block ×4, first 2 shown]
	v_fmac_f32_e32 v69, v0, v2
	v_fmac_f32_e32 v68, v1, v3
	ds_read_b128 v[0:3], v5 offset:112
	v_and_b32_e32 v9, 0xffff, v17
	s_waitcnt lgkmcnt(0)
	v_lshrrev_b32_e32 v4, 16, v0
	v_and_b32_e32 v0, 0xffff, v0
	;;#ASMSTART
	v_cvt_f32_f16 v0, v0;
	;;#ASMEND
	;;#ASMSTART
	v_cvt_f32_f16 v4, v4;
	;;#ASMEND
	;; [unrolled: 3-line block ×4, first 2 shown]
	v_fmac_f32_e32 v50, v0, v9
	v_fmac_f32_e32 v55, v4, v6
	v_lshrrev_b32_e32 v4, 16, v1
	v_and_b32_e32 v0, 0xffff, v1
	;;#ASMSTART
	v_cvt_f32_f16 v0, v0;
	;;#ASMEND
	;;#ASMSTART
	v_cvt_f32_f16 v1, v4;
	;;#ASMEND
	v_and_b32_e32 v4, 0xffff, v110
	v_and_b32_e32 v6, 0xffff, v7
	;;#ASMSTART
	v_cvt_f32_f16 v4, v4;
	;;#ASMEND
	;;#ASMSTART
	v_cvt_f32_f16 v6, v6;
	;;#ASMEND
	v_fmac_f32_e32 v65, v0, v4
	v_fmac_f32_e32 v64, v1, v6
	v_lshrrev_b32_e32 v1, 16, v2
	v_and_b32_e32 v0, 0xffff, v2
	v_and_b32_e32 v2, 0xffff, v94
	;;#ASMSTART
	v_cvt_f32_f16 v0, v0;
	;;#ASMEND
	;;#ASMSTART
	v_cvt_f32_f16 v1, v1;
	;;#ASMEND
	;; [unrolled: 3-line block ×3, first 2 shown]
	v_and_b32_e32 v4, 0xffff, v8
	;;#ASMSTART
	v_cvt_f32_f16 v4, v4;
	;;#ASMEND
	v_fmac_f32_e32 v67, v0, v2
	v_fmac_f32_e32 v66, v1, v4
	v_lshrrev_b32_e32 v1, 16, v3
	v_and_b32_e32 v0, 0xffff, v3
	v_and_b32_e32 v2, 0xffff, v48
	;; [unrolled: 1-line block ×3, first 2 shown]
	;;#ASMSTART
	v_cvt_f32_f16 v0, v0;
	;;#ASMEND
	;;#ASMSTART
	v_cvt_f32_f16 v1, v1;
	;;#ASMEND
	;; [unrolled: 3-line block ×4, first 2 shown]
	v_fmac_f32_e32 v69, v0, v2
	v_fmac_f32_e32 v68, v1, v3
	ds_read_b128 v[0:3], v5 offset:128
	v_and_b32_e32 v6, 0xffff, v18
	v_and_b32_e32 v9, 0xffff, v83
	;; [unrolled: 1-line block ×3, first 2 shown]
	s_waitcnt lgkmcnt(0)
	v_lshrrev_b32_e32 v4, 16, v0
	v_and_b32_e32 v0, 0xffff, v0
	;;#ASMSTART
	v_cvt_f32_f16 v0, v0;
	;;#ASMEND
	;;#ASMSTART
	v_cvt_f32_f16 v4, v4;
	;;#ASMEND
	;; [unrolled: 3-line block ×4, first 2 shown]
	v_fmac_f32_e32 v50, v0, v6
	v_fmac_f32_e32 v55, v4, v9
	v_lshrrev_b32_e32 v4, 16, v1
	v_and_b32_e32 v0, 0xffff, v1
	;;#ASMSTART
	v_cvt_f32_f16 v0, v0;
	;;#ASMEND
	;;#ASMSTART
	v_cvt_f32_f16 v1, v4;
	;;#ASMEND
	v_and_b32_e32 v4, 0xffff, v80
	v_and_b32_e32 v6, 0xffff, v30
	;;#ASMSTART
	v_cvt_f32_f16 v4, v4;
	;;#ASMEND
	;;#ASMSTART
	v_cvt_f32_f16 v6, v6;
	;;#ASMEND
	v_fmac_f32_e32 v65, v0, v4
	v_fmac_f32_e32 v64, v1, v6
	v_lshrrev_b32_e32 v1, 16, v2
	v_and_b32_e32 v0, 0xffff, v2
	v_and_b32_e32 v2, 0xffff, v12
	;;#ASMSTART
	v_cvt_f32_f16 v0, v0;
	;;#ASMEND
	;;#ASMSTART
	v_cvt_f32_f16 v1, v1;
	;;#ASMEND
	;; [unrolled: 3-line block ×3, first 2 shown]
	v_and_b32_e32 v4, 0xffff, v19
	;;#ASMSTART
	v_cvt_f32_f16 v4, v4;
	;;#ASMEND
	v_fmac_f32_e32 v67, v0, v2
	v_fmac_f32_e32 v66, v1, v4
	v_lshrrev_b32_e32 v1, 16, v3
	v_and_b32_e32 v0, 0xffff, v3
	v_and_b32_e32 v2, 0xffff, v20
	;; [unrolled: 1-line block ×3, first 2 shown]
	;;#ASMSTART
	v_cvt_f32_f16 v0, v0;
	;;#ASMEND
	;;#ASMSTART
	v_cvt_f32_f16 v1, v1;
	;;#ASMEND
	;;#ASMSTART
	v_cvt_f32_f16 v2, v2;
	;;#ASMEND
	;;#ASMSTART
	v_cvt_f32_f16 v3, v3;
	;;#ASMEND
	v_fmac_f32_e32 v69, v0, v2
	v_fmac_f32_e32 v68, v1, v3
	ds_read_b128 v[0:3], v5 offset:144
	v_and_b32_e32 v6, 0xffff, v70
	s_waitcnt lgkmcnt(0)
	v_lshrrev_b32_e32 v4, 16, v0
	v_and_b32_e32 v0, 0xffff, v0
	;;#ASMSTART
	v_cvt_f32_f16 v0, v0;
	;;#ASMEND
	;;#ASMSTART
	v_cvt_f32_f16 v4, v4;
	;;#ASMEND
	;; [unrolled: 3-line block ×4, first 2 shown]
	v_fmac_f32_e32 v50, v0, v6
	v_fmac_f32_e32 v55, v4, v7
	v_lshrrev_b32_e32 v4, 16, v1
	v_and_b32_e32 v0, 0xffff, v1
	;;#ASMSTART
	v_cvt_f32_f16 v0, v0;
	;;#ASMEND
	;;#ASMSTART
	v_cvt_f32_f16 v1, v4;
	;;#ASMEND
	v_and_b32_e32 v4, 0xffff, v24
	v_and_b32_e32 v6, 0xffff, v26
	;;#ASMSTART
	v_cvt_f32_f16 v4, v4;
	;;#ASMEND
	;;#ASMSTART
	v_cvt_f32_f16 v6, v6;
	;;#ASMEND
	v_fmac_f32_e32 v65, v0, v4
	v_fmac_f32_e32 v64, v1, v6
	v_lshrrev_b32_e32 v1, 16, v2
	v_and_b32_e32 v0, 0xffff, v2
	v_and_b32_e32 v2, 0xffff, v39
	;;#ASMSTART
	v_cvt_f32_f16 v0, v0;
	;;#ASMEND
	;;#ASMSTART
	v_cvt_f32_f16 v1, v1;
	;;#ASMEND
	;; [unrolled: 3-line block ×3, first 2 shown]
	v_and_b32_e32 v4, 0xffff, v33
	;;#ASMSTART
	v_cvt_f32_f16 v4, v4;
	;;#ASMEND
	v_fmac_f32_e32 v67, v0, v2
	v_fmac_f32_e32 v66, v1, v4
	v_lshrrev_b32_e32 v1, 16, v3
	v_and_b32_e32 v0, 0xffff, v3
	v_and_b32_e32 v2, 0xffff, v104
	;; [unrolled: 1-line block ×3, first 2 shown]
	;;#ASMSTART
	v_cvt_f32_f16 v0, v0;
	;;#ASMEND
	;;#ASMSTART
	v_cvt_f32_f16 v1, v1;
	;;#ASMEND
	;;#ASMSTART
	v_cvt_f32_f16 v2, v2;
	;;#ASMEND
	;;#ASMSTART
	v_cvt_f32_f16 v3, v3;
	;;#ASMEND
	v_fmac_f32_e32 v69, v0, v2
	v_fmac_f32_e32 v68, v1, v3
	ds_read_b128 v[0:3], v5 offset:160
	v_and_b32_e32 v6, 0xffff, v60
	v_and_b32_e32 v7, 0xffff, v61
	s_waitcnt lgkmcnt(0)
	v_lshrrev_b32_e32 v4, 16, v0
	v_and_b32_e32 v0, 0xffff, v0
	;;#ASMSTART
	v_cvt_f32_f16 v0, v0;
	;;#ASMEND
	;;#ASMSTART
	v_cvt_f32_f16 v4, v4;
	;;#ASMEND
	;;#ASMSTART
	v_cvt_f32_f16 v6, v6;
	;;#ASMEND
	;;#ASMSTART
	v_cvt_f32_f16 v7, v7;
	;;#ASMEND
	v_fmac_f32_e32 v50, v0, v6
	v_fmac_f32_e32 v55, v4, v7
	v_lshrrev_b32_e32 v4, 16, v1
	v_and_b32_e32 v0, 0xffff, v1
	;;#ASMSTART
	v_cvt_f32_f16 v0, v0;
	;;#ASMEND
	;;#ASMSTART
	v_cvt_f32_f16 v1, v4;
	;;#ASMEND
	v_and_b32_e32 v4, 0xffff, v72
	v_and_b32_e32 v6, 0xffff, v90
	;;#ASMSTART
	v_cvt_f32_f16 v4, v4;
	;;#ASMEND
	;;#ASMSTART
	v_cvt_f32_f16 v6, v6;
	;;#ASMEND
	v_fmac_f32_e32 v65, v0, v4
	v_fmac_f32_e32 v64, v1, v6
	v_lshrrev_b32_e32 v1, 16, v2
	v_and_b32_e32 v0, 0xffff, v2
	v_and_b32_e32 v2, 0xffff, v31
	;;#ASMSTART
	v_cvt_f32_f16 v0, v0;
	;;#ASMEND
	;;#ASMSTART
	v_cvt_f32_f16 v1, v1;
	;;#ASMEND
	;; [unrolled: 3-line block ×3, first 2 shown]
	v_and_b32_e32 v4, 0xffff, v91
	;;#ASMSTART
	v_cvt_f32_f16 v4, v4;
	;;#ASMEND
	v_fmac_f32_e32 v67, v0, v2
	v_fmac_f32_e32 v66, v1, v4
	v_lshrrev_b32_e32 v1, 16, v3
	v_and_b32_e32 v0, 0xffff, v3
	v_and_b32_e32 v2, 0xffff, v73
	;; [unrolled: 1-line block ×3, first 2 shown]
	;;#ASMSTART
	v_cvt_f32_f16 v0, v0;
	;;#ASMEND
	;;#ASMSTART
	v_cvt_f32_f16 v1, v1;
	;;#ASMEND
	;; [unrolled: 3-line block ×4, first 2 shown]
	v_fmac_f32_e32 v69, v0, v2
	v_fmac_f32_e32 v68, v1, v3
	ds_read_b128 v[0:3], v5 offset:176
	v_and_b32_e32 v6, 0xffff, v105
	v_and_b32_e32 v7, 0xffff, v106
	s_waitcnt lgkmcnt(0)
	v_lshrrev_b32_e32 v4, 16, v0
	v_and_b32_e32 v0, 0xffff, v0
	;;#ASMSTART
	v_cvt_f32_f16 v0, v0;
	;;#ASMEND
	;;#ASMSTART
	v_cvt_f32_f16 v4, v4;
	;;#ASMEND
	;; [unrolled: 3-line block ×4, first 2 shown]
	v_fmac_f32_e32 v50, v0, v6
	v_fmac_f32_e32 v55, v4, v7
	v_lshrrev_b32_e32 v4, 16, v1
	v_and_b32_e32 v0, 0xffff, v1
	;;#ASMSTART
	v_cvt_f32_f16 v0, v0;
	;;#ASMEND
	;;#ASMSTART
	v_cvt_f32_f16 v1, v4;
	;;#ASMEND
	v_and_b32_e32 v4, 0xffff, v127
	v_and_b32_e32 v6, 0xffff, v126
	;;#ASMSTART
	v_cvt_f32_f16 v4, v4;
	;;#ASMEND
	;;#ASMSTART
	v_cvt_f32_f16 v6, v6;
	;;#ASMEND
	v_fmac_f32_e32 v65, v0, v4
	v_fmac_f32_e32 v64, v1, v6
	v_lshrrev_b32_e32 v1, 16, v2
	v_and_b32_e32 v0, 0xffff, v2
	v_and_b32_e32 v2, 0xffff, v125
	;;#ASMSTART
	v_cvt_f32_f16 v0, v0;
	;;#ASMEND
	;;#ASMSTART
	v_cvt_f32_f16 v1, v1;
	;;#ASMEND
	;; [unrolled: 3-line block ×3, first 2 shown]
	v_and_b32_e32 v4, 0xffff, v124
	;;#ASMSTART
	v_cvt_f32_f16 v4, v4;
	;;#ASMEND
	v_fmac_f32_e32 v67, v0, v2
	v_fmac_f32_e32 v66, v1, v4
	v_lshrrev_b32_e32 v1, 16, v3
	v_and_b32_e32 v0, 0xffff, v3
	v_and_b32_e32 v2, 0xffff, v121
	;; [unrolled: 1-line block ×3, first 2 shown]
	;;#ASMSTART
	v_cvt_f32_f16 v0, v0;
	;;#ASMEND
	;;#ASMSTART
	v_cvt_f32_f16 v1, v1;
	;;#ASMEND
	;; [unrolled: 3-line block ×4, first 2 shown]
	v_fmac_f32_e32 v69, v0, v2
	v_fmac_f32_e32 v68, v1, v3
	ds_read_b128 v[0:3], v5 offset:192
	v_and_b32_e32 v6, 0xffff, v107
	v_and_b32_e32 v7, 0xffff, v109
	s_waitcnt lgkmcnt(0)
	v_lshrrev_b32_e32 v4, 16, v0
	v_and_b32_e32 v0, 0xffff, v0
	;;#ASMSTART
	v_cvt_f32_f16 v0, v0;
	;;#ASMEND
	;;#ASMSTART
	v_cvt_f32_f16 v4, v4;
	;;#ASMEND
	;; [unrolled: 3-line block ×4, first 2 shown]
	v_fmac_f32_e32 v50, v0, v6
	v_fmac_f32_e32 v55, v4, v7
	v_lshrrev_b32_e32 v4, 16, v1
	v_and_b32_e32 v0, 0xffff, v1
	;;#ASMSTART
	v_cvt_f32_f16 v0, v0;
	;;#ASMEND
	;;#ASMSTART
	v_cvt_f32_f16 v1, v4;
	;;#ASMEND
	buffer_load_dword v4, off, s[0:3], s32 offset:300 ; 4-byte Folded Reload
	s_waitcnt vmcnt(0)
	v_and_b32_e32 v4, 0xffff, v4
	;;#ASMSTART
	v_cvt_f32_f16 v4, v4;
	;;#ASMEND
	buffer_load_dword v6, off, s[0:3], s32 offset:296 ; 4-byte Folded Reload
	v_fmac_f32_e32 v65, v0, v4
	v_and_b32_e32 v0, 0xffff, v2
	s_waitcnt vmcnt(0)
	v_and_b32_e32 v6, 0xffff, v6
	;;#ASMSTART
	v_cvt_f32_f16 v6, v6;
	;;#ASMEND
	v_fmac_f32_e32 v64, v1, v6
	v_lshrrev_b32_e32 v1, 16, v2
	;;#ASMSTART
	v_cvt_f32_f16 v0, v0;
	;;#ASMEND
	;;#ASMSTART
	v_cvt_f32_f16 v1, v1;
	;;#ASMEND
	buffer_load_dword v2, off, s[0:3], s32 offset:292 ; 4-byte Folded Reload
	s_waitcnt vmcnt(0)
	v_and_b32_e32 v2, 0xffff, v2
	;;#ASMSTART
	v_cvt_f32_f16 v2, v2;
	;;#ASMEND
	buffer_load_dword v4, off, s[0:3], s32 offset:288 ; 4-byte Folded Reload
	v_fmac_f32_e32 v67, v0, v2
	v_and_b32_e32 v0, 0xffff, v3
	s_waitcnt vmcnt(0)
	v_and_b32_e32 v4, 0xffff, v4
	;;#ASMSTART
	v_cvt_f32_f16 v4, v4;
	;;#ASMEND
	v_fmac_f32_e32 v66, v1, v4
	v_lshrrev_b32_e32 v1, 16, v3
	;;#ASMSTART
	v_cvt_f32_f16 v0, v0;
	;;#ASMEND
	;;#ASMSTART
	v_cvt_f32_f16 v1, v1;
	;;#ASMEND
	buffer_load_dword v2, off, s[0:3], s32 offset:284 ; 4-byte Folded Reload
	s_waitcnt vmcnt(0)
	v_and_b32_e32 v2, 0xffff, v2
	;;#ASMSTART
	v_cvt_f32_f16 v2, v2;
	;;#ASMEND
	buffer_load_dword v3, off, s[0:3], s32 offset:280 ; 4-byte Folded Reload
	v_fmac_f32_e32 v69, v0, v2
	s_waitcnt vmcnt(0)
	v_and_b32_e32 v3, 0xffff, v3
	;;#ASMSTART
	v_cvt_f32_f16 v3, v3;
	;;#ASMEND
	v_fmac_f32_e32 v68, v1, v3
	ds_read_b128 v[0:3], v5 offset:208
	s_waitcnt lgkmcnt(0)
	v_lshrrev_b32_e32 v4, 16, v0
	v_and_b32_e32 v0, 0xffff, v0
	;;#ASMSTART
	v_cvt_f32_f16 v0, v0;
	;;#ASMEND
	;;#ASMSTART
	v_cvt_f32_f16 v4, v4;
	;;#ASMEND
	buffer_load_dword v6, off, s[0:3], s32 offset:276 ; 4-byte Folded Reload
	s_waitcnt vmcnt(0)
	v_and_b32_e32 v6, 0xffff, v6
	;;#ASMSTART
	v_cvt_f32_f16 v6, v6;
	;;#ASMEND
	buffer_load_dword v7, off, s[0:3], s32 offset:272 ; 4-byte Folded Reload
	v_fmac_f32_e32 v50, v0, v6
	v_and_b32_e32 v0, 0xffff, v1
	s_waitcnt vmcnt(0)
	v_and_b32_e32 v7, 0xffff, v7
	;;#ASMSTART
	v_cvt_f32_f16 v7, v7;
	;;#ASMEND
	v_fmac_f32_e32 v55, v4, v7
	v_lshrrev_b32_e32 v4, 16, v1
	;;#ASMSTART
	v_cvt_f32_f16 v0, v0;
	;;#ASMEND
	;;#ASMSTART
	v_cvt_f32_f16 v1, v4;
	;;#ASMEND
	buffer_load_dword v4, off, s[0:3], s32 offset:268 ; 4-byte Folded Reload
	v_and_b32_e32 v7, 0xffff, v51
	s_waitcnt vmcnt(0)
	v_and_b32_e32 v4, 0xffff, v4
	;;#ASMSTART
	v_cvt_f32_f16 v4, v4;
	;;#ASMEND
	buffer_load_dword v6, off, s[0:3], s32 offset:264 ; 4-byte Folded Reload
	v_fmac_f32_e32 v65, v0, v4
	v_and_b32_e32 v0, 0xffff, v2
	s_waitcnt vmcnt(0)
	v_and_b32_e32 v6, 0xffff, v6
	;;#ASMSTART
	v_cvt_f32_f16 v6, v6;
	;;#ASMEND
	v_fmac_f32_e32 v64, v1, v6
	v_lshrrev_b32_e32 v1, 16, v2
	;;#ASMSTART
	v_cvt_f32_f16 v0, v0;
	;;#ASMEND
	;;#ASMSTART
	v_cvt_f32_f16 v1, v1;
	;;#ASMEND
	buffer_load_dword v2, off, s[0:3], s32 offset:260 ; 4-byte Folded Reload
	v_and_b32_e32 v6, 0xffff, v76
	s_waitcnt vmcnt(0)
	v_and_b32_e32 v2, 0xffff, v2
	;;#ASMSTART
	v_cvt_f32_f16 v2, v2;
	;;#ASMEND
	buffer_load_dword v4, off, s[0:3], s32 offset:256 ; 4-byte Folded Reload
	v_fmac_f32_e32 v67, v0, v2
	v_and_b32_e32 v0, 0xffff, v3
	s_waitcnt vmcnt(0)
	v_and_b32_e32 v4, 0xffff, v4
	;;#ASMSTART
	v_cvt_f32_f16 v4, v4;
	;;#ASMEND
	v_fmac_f32_e32 v66, v1, v4
	v_lshrrev_b32_e32 v1, 16, v3
	;;#ASMSTART
	v_cvt_f32_f16 v0, v0;
	;;#ASMEND
	;;#ASMSTART
	v_cvt_f32_f16 v1, v1;
	;;#ASMEND
	buffer_load_dword v2, off, s[0:3], s32 offset:252 ; 4-byte Folded Reload
	s_waitcnt vmcnt(0)
	v_and_b32_e32 v2, 0xffff, v2
	;;#ASMSTART
	v_cvt_f32_f16 v2, v2;
	;;#ASMEND
	buffer_load_dword v3, off, s[0:3], s32 offset:248 ; 4-byte Folded Reload
	v_fmac_f32_e32 v69, v0, v2
	s_waitcnt vmcnt(0)
	v_and_b32_e32 v3, 0xffff, v3
	;;#ASMSTART
	v_cvt_f32_f16 v3, v3;
	;;#ASMEND
	v_fmac_f32_e32 v68, v1, v3
	ds_read_b128 v[0:3], v5 offset:224
	s_waitcnt lgkmcnt(0)
	v_lshrrev_b32_e32 v4, 16, v0
	v_and_b32_e32 v0, 0xffff, v0
	;;#ASMSTART
	v_cvt_f32_f16 v0, v0;
	;;#ASMEND
	;;#ASMSTART
	v_cvt_f32_f16 v4, v4;
	;;#ASMEND
	;; [unrolled: 3-line block ×4, first 2 shown]
	v_fmac_f32_e32 v50, v0, v6
	v_fmac_f32_e32 v55, v4, v7
	v_lshrrev_b32_e32 v4, 16, v1
	v_and_b32_e32 v0, 0xffff, v1
	;;#ASMSTART
	v_cvt_f32_f16 v0, v0;
	;;#ASMEND
	;;#ASMSTART
	v_cvt_f32_f16 v1, v4;
	;;#ASMEND
	v_and_b32_e32 v4, 0xffff, v52
	;;#ASMSTART
	v_cvt_f32_f16 v4, v4;
	;;#ASMEND
	buffer_load_dword v6, off, s[0:3], s32 offset:208 ; 4-byte Folded Reload
	v_fmac_f32_e32 v65, v0, v4
	v_and_b32_e32 v0, 0xffff, v2
	s_waitcnt vmcnt(0)
	v_and_b32_e32 v6, 0xffff, v6
	;;#ASMSTART
	v_cvt_f32_f16 v6, v6;
	;;#ASMEND
	v_fmac_f32_e32 v64, v1, v6
	v_lshrrev_b32_e32 v1, 16, v2
	;;#ASMSTART
	v_cvt_f32_f16 v0, v0;
	;;#ASMEND
	;;#ASMSTART
	v_cvt_f32_f16 v1, v1;
	;;#ASMEND
	buffer_load_dword v2, off, s[0:3], s32 offset:204 ; 4-byte Folded Reload
	s_waitcnt vmcnt(0)
	v_and_b32_e32 v2, 0xffff, v2
	;;#ASMSTART
	v_cvt_f32_f16 v2, v2;
	;;#ASMEND
	buffer_load_dword v4, off, s[0:3], s32 offset:200 ; 4-byte Folded Reload
	v_fmac_f32_e32 v67, v0, v2
	v_and_b32_e32 v0, 0xffff, v3
	s_waitcnt vmcnt(0)
	v_and_b32_e32 v4, 0xffff, v4
	;;#ASMSTART
	v_cvt_f32_f16 v4, v4;
	;;#ASMEND
	v_fmac_f32_e32 v66, v1, v4
	v_lshrrev_b32_e32 v1, 16, v3
	;;#ASMSTART
	v_cvt_f32_f16 v0, v0;
	;;#ASMEND
	;;#ASMSTART
	v_cvt_f32_f16 v1, v1;
	;;#ASMEND
	buffer_load_dword v2, off, s[0:3], s32 offset:196 ; 4-byte Folded Reload
	s_waitcnt vmcnt(0)
	v_and_b32_e32 v2, 0xffff, v2
	;;#ASMSTART
	v_cvt_f32_f16 v2, v2;
	;;#ASMEND
	buffer_load_dword v3, off, s[0:3], s32 offset:192 ; 4-byte Folded Reload
	v_fmac_f32_e32 v69, v0, v2
	v_add_f32_e32 v0, v50, v55
	v_add_f32_e32 v0, v0, v65
	;; [unrolled: 1-line block ×6, first 2 shown]
	s_waitcnt vmcnt(0)
	v_and_b32_e32 v3, 0xffff, v3
	;;#ASMSTART
	v_cvt_f32_f16 v3, v3;
	;;#ASMEND
	v_fmac_f32_e32 v68, v1, v3
	s_clause 0x1
	buffer_load_dword v1, off, s[0:3], s32 offset:316
	buffer_load_dword v8, off, s[0:3], s32 offset:244
	v_add_f32_e32 v0, v68, v0
	s_waitcnt vmcnt(1)
	v_fmac_f32_e32 v15, v1, v0
	v_cndmask_b32_e64 v0, 0, v15, s5
	ds_write_b32 v93, v0
	s_waitcnt vmcnt(0)
	v_max_f32_e32 v0, v8, v8
	v_add_nc_u32_e32 v93, 0x200, v93
	v_max_f32_e32 v0, v0, v15
	v_cndmask_b32_e64 v8, v8, v0, s5
	buffer_load_dword v0, off, s[0:3], s32 offset:236 ; 4-byte Folded Reload
	v_add_co_u32 v43, s5, v43, 16
	v_add_co_ci_u32_e64 v44, null, 0, v44, s5
	s_waitcnt vmcnt(0)
	v_cmp_ge_i32_e64 s5, v95, v0
	s_or_b32 s15, s5, s15
	s_andn2_b32 exec_lo, exec_lo, s15
	s_cbranch_execz .LBB296_967
.LBB296_10:                             ; =>This Inner Loop Header: Depth=1
	buffer_store_dword v95, off, s[0:3], s32 offset:232 ; 4-byte Folded Spill
	buffer_store_dword v93, off, s[0:3], s32 offset:228 ; 4-byte Folded Spill
	;; [unrolled: 1-line block ×4, first 2 shown]
	flat_load_dword v0, v[43:44]
	s_clause 0x2
	buffer_load_dword v1, off, s[0:3], s32 offset:240
	buffer_load_dword v2, off, s[0:3], s32 offset:320
	;; [unrolled: 1-line block ×3, first 2 shown]
	s_waitcnt vmcnt(0) lgkmcnt(0)
	v_mad_i64_i32 v[16:17], null, v0, v1, v[2:3]
	flat_load_dwordx2 v[24:25], v[16:17]
	s_clause 0x1
	buffer_load_dword v0, off, s[0:3], s32 offset:308
	buffer_load_dword v1, off, s[0:3], s32 offset:312
	s_waitcnt vmcnt(2) lgkmcnt(0)
	v_cmp_ne_u16_sdwa s5, v24, v5 src0_sel:BYTE_0 src1_sel:DWORD
	s_waitcnt vmcnt(0)
	flat_load_dword v50, v[0:1]
	v_mov_b32_e32 v0, 0
	buffer_store_dword v0, off, s[0:3], s32 offset:192 ; 4-byte Folded Spill
	s_and_saveexec_b32 s17, s5
	s_cbranch_execz .LBB296_18
; %bb.11:                               ;   in Loop: Header=BB296_10 Depth=1
	v_cmp_ne_u16_sdwa s5, v24, v37 src0_sel:BYTE_0 src1_sel:DWORD
	v_mov_b32_e32 v0, 0x8000
	buffer_store_dword v0, off, s[0:3], s32 offset:192 ; 4-byte Folded Spill
	s_and_saveexec_b32 s18, s5
	s_cbranch_execz .LBB296_17
; %bb.12:                               ;   in Loop: Header=BB296_10 Depth=1
	v_and_b32_e32 v2, 0x7f, v24
	v_mov_b32_e32 v0, 0x7c01
	s_mov_b32 s19, exec_lo
	buffer_store_dword v0, off, s[0:3], s32 offset:192 ; 4-byte Folded Spill
	v_cmpx_ne_u32_e32 0x7f, v2
	s_cbranch_execz .LBB296_16
; %bb.13:                               ;   in Loop: Header=BB296_10 Depth=1
	v_and_b32_e32 v0, 7, v24
	v_lshrrev_b32_e32 v1, 3, v2
	s_mov_b32 s20, exec_lo
	v_cmpx_gt_u32_e32 8, v2
; %bb.14:                               ;   in Loop: Header=BB296_10 Depth=1
	v_ffbh_u32_e32 v0, v0
	v_min_u32_e32 v2, 32, v0
	v_subrev_nc_u32_e32 v0, 28, v2
	v_lshlrev_b64 v[0:1], v0, v[24:25]
	v_sub_nc_u32_e32 v1, 29, v2
	v_and_b32_e32 v0, 7, v0
; %bb.15:                               ;   in Loop: Header=BB296_10 Depth=1
	s_or_b32 exec_lo, exec_lo, s20
	v_lshlrev_b32_e32 v2, 8, v24
	v_lshl_add_u32 v1, v1, 10, 0x2000
	v_lshlrev_b32_e32 v0, 7, v0
	v_and_b32_e32 v2, 0x8000, v2
	v_and_b32_e32 v1, 0xfc00, v1
	v_or3_b32 v0, v2, v1, v0
	buffer_store_dword v0, off, s[0:3], s32 offset:192 ; 4-byte Folded Spill
.LBB296_16:                             ;   in Loop: Header=BB296_10 Depth=1
	s_or_b32 exec_lo, exec_lo, s19
.LBB296_17:                             ;   in Loop: Header=BB296_10 Depth=1
	s_or_b32 exec_lo, exec_lo, s18
.LBB296_18:                             ;   in Loop: Header=BB296_10 Depth=1
	s_or_b32 exec_lo, exec_lo, s17
	v_lshrrev_b16 v4, 8, v24
	v_mov_b32_e32 v0, 0
	v_mov_b32_e32 v54, 0
	s_mov_b32 s17, exec_lo
	buffer_store_dword v0, off, s[0:3], s32 offset:196 ; 4-byte Folded Spill
	v_cmpx_ne_u16_e32 0, v4
	s_cbranch_execz .LBB296_26
; %bb.19:                               ;   in Loop: Header=BB296_10 Depth=1
	v_bfrev_b32_e32 v54, 1
	s_mov_b32 s18, exec_lo
	v_cmpx_ne_u16_e32 0x80, v4
	s_cbranch_execz .LBB296_25
; %bb.20:                               ;   in Loop: Header=BB296_10 Depth=1
	v_mov_b32_e32 v0, 0x7f
	v_mov_b32_e32 v54, 0x7c010000
	s_mov_b32 s19, exec_lo
	v_and_b32_sdwa v2, v4, v0 dst_sel:DWORD dst_unused:UNUSED_PAD src0_sel:WORD_0 src1_sel:DWORD
	v_cmpx_ne_u32_e32 0x7f, v2
	s_cbranch_execz .LBB296_24
; %bb.21:                               ;   in Loop: Header=BB296_10 Depth=1
	v_mov_b32_e32 v0, 7
	v_lshrrev_b32_e32 v1, 3, v2
	s_mov_b32 s20, exec_lo
	v_and_b32_sdwa v0, v4, v0 dst_sel:DWORD dst_unused:UNUSED_PAD src0_sel:WORD_0 src1_sel:DWORD
	v_cmpx_gt_u32_e32 8, v2
; %bb.22:                               ;   in Loop: Header=BB296_10 Depth=1
	v_ffbh_u32_e32 v0, v0
	v_min_u32_e32 v2, 32, v0
	v_subrev_nc_u32_e32 v0, 28, v2
	v_lshlrev_b64 v[0:1], v0, v[4:5]
	v_sub_nc_u32_e32 v1, 29, v2
	v_and_b32_e32 v0, 7, v0
; %bb.23:                               ;   in Loop: Header=BB296_10 Depth=1
	s_or_b32 exec_lo, exec_lo, s20
	v_mov_b32_e32 v2, 8
	v_lshl_add_u32 v1, v1, 10, 0x2000
	v_lshlrev_b32_e32 v0, 23, v0
	v_lshlrev_b32_sdwa v2, v2, v4 dst_sel:DWORD dst_unused:UNUSED_PAD src0_sel:DWORD src1_sel:WORD_0
	v_and_or_b32 v1, 0x8000, v2, v1
	v_lshl_or_b32 v54, v1, 16, v0
.LBB296_24:                             ;   in Loop: Header=BB296_10 Depth=1
	s_or_b32 exec_lo, exec_lo, s19
.LBB296_25:                             ;   in Loop: Header=BB296_10 Depth=1
	s_or_b32 exec_lo, exec_lo, s18
.LBB296_26:                             ;   in Loop: Header=BB296_10 Depth=1
	s_or_b32 exec_lo, exec_lo, s17
	v_lshrrev_b32_e32 v4, 16, v24
	v_cmp_ne_u16_sdwa s5, v4, v5 src0_sel:BYTE_0 src1_sel:DWORD
	s_and_saveexec_b32 s17, s5
	s_cbranch_execz .LBB296_34
; %bb.27:                               ;   in Loop: Header=BB296_10 Depth=1
	v_cmp_ne_u16_sdwa s5, v4, v37 src0_sel:BYTE_0 src1_sel:DWORD
	v_mov_b32_e32 v0, 0x8000
	buffer_store_dword v0, off, s[0:3], s32 offset:196 ; 4-byte Folded Spill
	s_and_saveexec_b32 s18, s5
	s_cbranch_execz .LBB296_33
; %bb.28:                               ;   in Loop: Header=BB296_10 Depth=1
	v_bfe_u32 v2, v24, 16, 7
	v_mov_b32_e32 v0, 0x7c01
	s_mov_b32 s19, exec_lo
	buffer_store_dword v0, off, s[0:3], s32 offset:196 ; 4-byte Folded Spill
	v_cmpx_ne_u32_e32 0x7f, v2
	s_cbranch_execz .LBB296_32
; %bb.29:                               ;   in Loop: Header=BB296_10 Depth=1
	v_and_b32_e32 v0, 7, v4
	v_lshrrev_b32_e32 v1, 3, v2
	s_mov_b32 s20, exec_lo
	v_cmpx_gt_u32_e32 8, v2
; %bb.30:                               ;   in Loop: Header=BB296_10 Depth=1
	v_ffbh_u32_e32 v0, v0
	v_min_u32_e32 v2, 32, v0
	v_subrev_nc_u32_e32 v0, 28, v2
	v_lshlrev_b64 v[0:1], v0, v[4:5]
	v_sub_nc_u32_e32 v1, 29, v2
	v_and_b32_e32 v0, 7, v0
; %bb.31:                               ;   in Loop: Header=BB296_10 Depth=1
	s_or_b32 exec_lo, exec_lo, s20
	v_lshlrev_b32_e32 v2, 8, v4
	v_lshl_add_u32 v1, v1, 10, 0x2000
	v_lshlrev_b32_e32 v0, 7, v0
	v_and_b32_e32 v2, 0x8000, v2
	v_and_b32_e32 v1, 0xfc00, v1
	v_or3_b32 v0, v2, v1, v0
	buffer_store_dword v0, off, s[0:3], s32 offset:196 ; 4-byte Folded Spill
.LBB296_32:                             ;   in Loop: Header=BB296_10 Depth=1
	s_or_b32 exec_lo, exec_lo, s19
.LBB296_33:                             ;   in Loop: Header=BB296_10 Depth=1
	s_or_b32 exec_lo, exec_lo, s18
.LBB296_34:                             ;   in Loop: Header=BB296_10 Depth=1
	s_or_b32 exec_lo, exec_lo, s17
	v_mov_b32_e32 v0, 0
	v_mov_b32_e32 v78, 0
	s_mov_b32 s17, exec_lo
	buffer_store_dword v0, off, s[0:3], s32 offset:200 ; 4-byte Folded Spill
	v_cmpx_lt_u32_e32 0xffffff, v24
	s_cbranch_execz .LBB296_42
; %bb.35:                               ;   in Loop: Header=BB296_10 Depth=1
	v_lshrrev_b32_e32 v4, 24, v24
	v_bfrev_b32_e32 v78, 1
	s_mov_b32 s18, exec_lo
	v_cmpx_ne_u32_e32 0x80, v4
	s_cbranch_execz .LBB296_41
; %bb.36:                               ;   in Loop: Header=BB296_10 Depth=1
	v_and_b32_e32 v2, 0x7f, v4
	v_mov_b32_e32 v78, 0x7c010000
	s_mov_b32 s19, exec_lo
	v_cmpx_ne_u32_e32 0x7f, v2
	s_cbranch_execz .LBB296_40
; %bb.37:                               ;   in Loop: Header=BB296_10 Depth=1
	v_and_b32_e32 v0, 7, v4
	v_lshrrev_b32_e32 v1, 3, v2
	s_mov_b32 s20, exec_lo
	v_cmpx_gt_u32_e32 8, v2
; %bb.38:                               ;   in Loop: Header=BB296_10 Depth=1
	v_ffbh_u32_e32 v0, v0
	v_min_u32_e32 v2, 32, v0
	v_subrev_nc_u32_e32 v0, 28, v2
	v_lshlrev_b64 v[0:1], v0, v[4:5]
	v_sub_nc_u32_e32 v1, 29, v2
	v_and_b32_e32 v0, 7, v0
; %bb.39:                               ;   in Loop: Header=BB296_10 Depth=1
	s_or_b32 exec_lo, exec_lo, s20
	v_lshlrev_b32_e32 v2, 8, v4
	v_lshl_add_u32 v1, v1, 10, 0x2000
	v_lshlrev_b32_e32 v0, 23, v0
	v_and_or_b32 v1, 0x8000, v2, v1
	v_lshl_or_b32 v78, v1, 16, v0
.LBB296_40:                             ;   in Loop: Header=BB296_10 Depth=1
	s_or_b32 exec_lo, exec_lo, s19
.LBB296_41:                             ;   in Loop: Header=BB296_10 Depth=1
	s_or_b32 exec_lo, exec_lo, s18
.LBB296_42:                             ;   in Loop: Header=BB296_10 Depth=1
	s_or_b32 exec_lo, exec_lo, s17
	v_mov_b32_e32 v4, v25
	v_cmp_ne_u16_sdwa s5, v25, v5 src0_sel:BYTE_0 src1_sel:DWORD
	s_and_saveexec_b32 s17, s5
	s_cbranch_execz .LBB296_50
; %bb.43:                               ;   in Loop: Header=BB296_10 Depth=1
	v_cmp_ne_u16_sdwa s5, v25, v37 src0_sel:BYTE_0 src1_sel:DWORD
	v_mov_b32_e32 v0, 0x8000
	buffer_store_dword v0, off, s[0:3], s32 offset:200 ; 4-byte Folded Spill
	s_and_saveexec_b32 s18, s5
	s_cbranch_execz .LBB296_49
; %bb.44:                               ;   in Loop: Header=BB296_10 Depth=1
	v_and_b32_e32 v2, 0x7f, v25
	v_mov_b32_e32 v0, 0x7c01
	s_mov_b32 s19, exec_lo
	buffer_store_dword v0, off, s[0:3], s32 offset:200 ; 4-byte Folded Spill
	v_cmpx_ne_u32_e32 0x7f, v2
	s_cbranch_execz .LBB296_48
; %bb.45:                               ;   in Loop: Header=BB296_10 Depth=1
	v_and_b32_e32 v0, 7, v25
	v_lshrrev_b32_e32 v1, 3, v2
	s_mov_b32 s20, exec_lo
	v_cmpx_gt_u32_e32 8, v2
; %bb.46:                               ;   in Loop: Header=BB296_10 Depth=1
	v_ffbh_u32_e32 v0, v0
	v_min_u32_e32 v2, 32, v0
	v_subrev_nc_u32_e32 v0, 28, v2
	v_lshlrev_b64 v[0:1], v0, v[4:5]
	v_sub_nc_u32_e32 v1, 29, v2
	v_and_b32_e32 v0, 7, v0
; %bb.47:                               ;   in Loop: Header=BB296_10 Depth=1
	s_or_b32 exec_lo, exec_lo, s20
	v_lshlrev_b32_e32 v2, 8, v25
	v_lshl_add_u32 v1, v1, 10, 0x2000
	v_lshlrev_b32_e32 v0, 7, v0
	v_and_b32_e32 v2, 0x8000, v2
	v_and_b32_e32 v1, 0xfc00, v1
	v_or3_b32 v0, v2, v1, v0
	buffer_store_dword v0, off, s[0:3], s32 offset:200 ; 4-byte Folded Spill
.LBB296_48:                             ;   in Loop: Header=BB296_10 Depth=1
	s_or_b32 exec_lo, exec_lo, s19
.LBB296_49:                             ;   in Loop: Header=BB296_10 Depth=1
	s_or_b32 exec_lo, exec_lo, s18
.LBB296_50:                             ;   in Loop: Header=BB296_10 Depth=1
	s_or_b32 exec_lo, exec_lo, s17
	v_lshrrev_b16 v4, 8, v4
	v_mov_b32_e32 v0, 0
	v_mov_b32_e32 v65, 0
	s_mov_b32 s17, exec_lo
	buffer_store_dword v0, off, s[0:3], s32 offset:204 ; 4-byte Folded Spill
	v_cmpx_ne_u16_e32 0, v4
	s_cbranch_execz .LBB296_58
; %bb.51:                               ;   in Loop: Header=BB296_10 Depth=1
	v_bfrev_b32_e32 v65, 1
	s_mov_b32 s18, exec_lo
	v_cmpx_ne_u16_e32 0x80, v4
	s_cbranch_execz .LBB296_57
; %bb.52:                               ;   in Loop: Header=BB296_10 Depth=1
	v_mov_b32_e32 v0, 0x7f
	v_mov_b32_e32 v65, 0x7c010000
	s_mov_b32 s19, exec_lo
	v_and_b32_sdwa v2, v4, v0 dst_sel:DWORD dst_unused:UNUSED_PAD src0_sel:WORD_0 src1_sel:DWORD
	v_cmpx_ne_u32_e32 0x7f, v2
	s_cbranch_execz .LBB296_56
; %bb.53:                               ;   in Loop: Header=BB296_10 Depth=1
	v_mov_b32_e32 v0, 7
	v_lshrrev_b32_e32 v1, 3, v2
	s_mov_b32 s20, exec_lo
	v_and_b32_sdwa v0, v4, v0 dst_sel:DWORD dst_unused:UNUSED_PAD src0_sel:WORD_0 src1_sel:DWORD
	v_cmpx_gt_u32_e32 8, v2
; %bb.54:                               ;   in Loop: Header=BB296_10 Depth=1
	v_ffbh_u32_e32 v0, v0
	v_min_u32_e32 v2, 32, v0
	v_subrev_nc_u32_e32 v0, 28, v2
	v_lshlrev_b64 v[0:1], v0, v[4:5]
	v_sub_nc_u32_e32 v1, 29, v2
	v_and_b32_e32 v0, 7, v0
; %bb.55:                               ;   in Loop: Header=BB296_10 Depth=1
	s_or_b32 exec_lo, exec_lo, s20
	v_mov_b32_e32 v2, 8
	v_lshl_add_u32 v1, v1, 10, 0x2000
	v_lshlrev_b32_e32 v0, 23, v0
	v_lshlrev_b32_sdwa v2, v2, v4 dst_sel:DWORD dst_unused:UNUSED_PAD src0_sel:DWORD src1_sel:WORD_0
	v_and_or_b32 v1, 0x8000, v2, v1
	v_lshl_or_b32 v65, v1, 16, v0
.LBB296_56:                             ;   in Loop: Header=BB296_10 Depth=1
	s_or_b32 exec_lo, exec_lo, s19
.LBB296_57:                             ;   in Loop: Header=BB296_10 Depth=1
	s_or_b32 exec_lo, exec_lo, s18
.LBB296_58:                             ;   in Loop: Header=BB296_10 Depth=1
	s_or_b32 exec_lo, exec_lo, s17
	v_lshrrev_b32_e32 v4, 16, v25
	v_cmp_ne_u16_sdwa s5, v4, v5 src0_sel:BYTE_0 src1_sel:DWORD
	s_and_saveexec_b32 s17, s5
	s_cbranch_execz .LBB296_66
; %bb.59:                               ;   in Loop: Header=BB296_10 Depth=1
	v_cmp_ne_u16_sdwa s5, v4, v37 src0_sel:BYTE_0 src1_sel:DWORD
	v_mov_b32_e32 v0, 0x8000
	buffer_store_dword v0, off, s[0:3], s32 offset:204 ; 4-byte Folded Spill
	s_and_saveexec_b32 s18, s5
	s_cbranch_execz .LBB296_65
; %bb.60:                               ;   in Loop: Header=BB296_10 Depth=1
	v_bfe_u32 v2, v25, 16, 7
	v_mov_b32_e32 v0, 0x7c01
	s_mov_b32 s19, exec_lo
	buffer_store_dword v0, off, s[0:3], s32 offset:204 ; 4-byte Folded Spill
	v_cmpx_ne_u32_e32 0x7f, v2
	s_cbranch_execz .LBB296_64
; %bb.61:                               ;   in Loop: Header=BB296_10 Depth=1
	v_and_b32_e32 v0, 7, v4
	v_lshrrev_b32_e32 v1, 3, v2
	s_mov_b32 s20, exec_lo
	v_cmpx_gt_u32_e32 8, v2
; %bb.62:                               ;   in Loop: Header=BB296_10 Depth=1
	v_ffbh_u32_e32 v0, v0
	v_min_u32_e32 v2, 32, v0
	v_subrev_nc_u32_e32 v0, 28, v2
	v_lshlrev_b64 v[0:1], v0, v[4:5]
	v_sub_nc_u32_e32 v1, 29, v2
	v_and_b32_e32 v0, 7, v0
; %bb.63:                               ;   in Loop: Header=BB296_10 Depth=1
	s_or_b32 exec_lo, exec_lo, s20
	v_lshlrev_b32_e32 v2, 8, v4
	v_lshl_add_u32 v1, v1, 10, 0x2000
	v_lshlrev_b32_e32 v0, 7, v0
	v_and_b32_e32 v2, 0x8000, v2
	v_and_b32_e32 v1, 0xfc00, v1
	v_or3_b32 v0, v2, v1, v0
	buffer_store_dword v0, off, s[0:3], s32 offset:204 ; 4-byte Folded Spill
.LBB296_64:                             ;   in Loop: Header=BB296_10 Depth=1
	s_or_b32 exec_lo, exec_lo, s19
.LBB296_65:                             ;   in Loop: Header=BB296_10 Depth=1
	s_or_b32 exec_lo, exec_lo, s18
.LBB296_66:                             ;   in Loop: Header=BB296_10 Depth=1
	s_or_b32 exec_lo, exec_lo, s17
	v_mov_b32_e32 v0, 0
	v_mov_b32_e32 v55, 0
	s_mov_b32 s17, exec_lo
	buffer_store_dword v0, off, s[0:3], s32 offset:208 ; 4-byte Folded Spill
	v_cmpx_lt_u64_e64 s[6:7], v[24:25]
	s_cbranch_execz .LBB296_74
; %bb.67:                               ;   in Loop: Header=BB296_10 Depth=1
	v_lshrrev_b32_e32 v4, 24, v25
	v_bfrev_b32_e32 v55, 1
	s_mov_b32 s18, exec_lo
	v_cmpx_ne_u32_e32 0x80, v4
	s_cbranch_execz .LBB296_73
; %bb.68:                               ;   in Loop: Header=BB296_10 Depth=1
	v_and_b32_e32 v2, 0x7f, v4
	v_mov_b32_e32 v55, 0x7c010000
	s_mov_b32 s19, exec_lo
	v_cmpx_ne_u32_e32 0x7f, v2
	s_cbranch_execz .LBB296_72
; %bb.69:                               ;   in Loop: Header=BB296_10 Depth=1
	v_and_b32_e32 v0, 7, v4
	v_lshrrev_b32_e32 v1, 3, v2
	s_mov_b32 s20, exec_lo
	v_cmpx_gt_u32_e32 8, v2
; %bb.70:                               ;   in Loop: Header=BB296_10 Depth=1
	v_ffbh_u32_e32 v0, v0
	v_min_u32_e32 v2, 32, v0
	v_subrev_nc_u32_e32 v0, 28, v2
	v_lshlrev_b64 v[0:1], v0, v[4:5]
	v_sub_nc_u32_e32 v1, 29, v2
	v_and_b32_e32 v0, 7, v0
; %bb.71:                               ;   in Loop: Header=BB296_10 Depth=1
	s_or_b32 exec_lo, exec_lo, s20
	v_lshlrev_b32_e32 v2, 8, v4
	v_lshl_add_u32 v1, v1, 10, 0x2000
	v_lshlrev_b32_e32 v0, 23, v0
	v_and_or_b32 v1, 0x8000, v2, v1
	v_lshl_or_b32 v55, v1, 16, v0
.LBB296_72:                             ;   in Loop: Header=BB296_10 Depth=1
	s_or_b32 exec_lo, exec_lo, s19
.LBB296_73:                             ;   in Loop: Header=BB296_10 Depth=1
	s_or_b32 exec_lo, exec_lo, s18
.LBB296_74:                             ;   in Loop: Header=BB296_10 Depth=1
	s_or_b32 exec_lo, exec_lo, s17
	flat_load_dwordx2 v[24:25], v[16:17] offset:8
	s_waitcnt vmcnt(0) lgkmcnt(0)
	v_cmp_ne_u16_sdwa s5, v24, v5 src0_sel:BYTE_0 src1_sel:DWORD
	s_and_saveexec_b32 s17, s5
	s_cbranch_execz .LBB296_82
; %bb.75:                               ;   in Loop: Header=BB296_10 Depth=1
	v_cmp_ne_u16_sdwa s5, v24, v37 src0_sel:BYTE_0 src1_sel:DWORD
	v_mov_b32_e32 v0, 0x8000
	buffer_store_dword v0, off, s[0:3], s32 offset:208 ; 4-byte Folded Spill
	s_and_saveexec_b32 s18, s5
	s_cbranch_execz .LBB296_81
; %bb.76:                               ;   in Loop: Header=BB296_10 Depth=1
	v_and_b32_e32 v2, 0x7f, v24
	v_mov_b32_e32 v0, 0x7c01
	s_mov_b32 s19, exec_lo
	buffer_store_dword v0, off, s[0:3], s32 offset:208 ; 4-byte Folded Spill
	v_cmpx_ne_u32_e32 0x7f, v2
	s_cbranch_execz .LBB296_80
; %bb.77:                               ;   in Loop: Header=BB296_10 Depth=1
	v_and_b32_e32 v0, 7, v24
	v_lshrrev_b32_e32 v1, 3, v2
	s_mov_b32 s20, exec_lo
	v_cmpx_gt_u32_e32 8, v2
; %bb.78:                               ;   in Loop: Header=BB296_10 Depth=1
	v_ffbh_u32_e32 v0, v0
	v_min_u32_e32 v2, 32, v0
	v_subrev_nc_u32_e32 v0, 28, v2
	v_lshlrev_b64 v[0:1], v0, v[24:25]
	v_sub_nc_u32_e32 v1, 29, v2
	v_and_b32_e32 v0, 7, v0
; %bb.79:                               ;   in Loop: Header=BB296_10 Depth=1
	s_or_b32 exec_lo, exec_lo, s20
	v_lshlrev_b32_e32 v2, 8, v24
	v_lshl_add_u32 v1, v1, 10, 0x2000
	v_lshlrev_b32_e32 v0, 7, v0
	v_and_b32_e32 v2, 0x8000, v2
	v_and_b32_e32 v1, 0xfc00, v1
	v_or3_b32 v0, v2, v1, v0
	buffer_store_dword v0, off, s[0:3], s32 offset:208 ; 4-byte Folded Spill
.LBB296_80:                             ;   in Loop: Header=BB296_10 Depth=1
	s_or_b32 exec_lo, exec_lo, s19
.LBB296_81:                             ;   in Loop: Header=BB296_10 Depth=1
	s_or_b32 exec_lo, exec_lo, s18
.LBB296_82:                             ;   in Loop: Header=BB296_10 Depth=1
	s_or_b32 exec_lo, exec_lo, s17
	v_lshrrev_b16 v4, 8, v24
	v_mov_b32_e32 v0, 0
	v_mov_b32_e32 v68, 0
	s_mov_b32 s17, exec_lo
	buffer_store_dword v0, off, s[0:3], s32 offset:212 ; 4-byte Folded Spill
	v_cmpx_ne_u16_e32 0, v4
	s_cbranch_execz .LBB296_90
; %bb.83:                               ;   in Loop: Header=BB296_10 Depth=1
	v_bfrev_b32_e32 v68, 1
	s_mov_b32 s18, exec_lo
	v_cmpx_ne_u16_e32 0x80, v4
	s_cbranch_execz .LBB296_89
; %bb.84:                               ;   in Loop: Header=BB296_10 Depth=1
	v_mov_b32_e32 v0, 0x7f
	v_mov_b32_e32 v68, 0x7c010000
	s_mov_b32 s19, exec_lo
	v_and_b32_sdwa v2, v4, v0 dst_sel:DWORD dst_unused:UNUSED_PAD src0_sel:WORD_0 src1_sel:DWORD
	v_cmpx_ne_u32_e32 0x7f, v2
	s_cbranch_execz .LBB296_88
; %bb.85:                               ;   in Loop: Header=BB296_10 Depth=1
	v_mov_b32_e32 v0, 7
	v_lshrrev_b32_e32 v1, 3, v2
	s_mov_b32 s20, exec_lo
	v_and_b32_sdwa v0, v4, v0 dst_sel:DWORD dst_unused:UNUSED_PAD src0_sel:WORD_0 src1_sel:DWORD
	v_cmpx_gt_u32_e32 8, v2
; %bb.86:                               ;   in Loop: Header=BB296_10 Depth=1
	v_ffbh_u32_e32 v0, v0
	v_min_u32_e32 v2, 32, v0
	v_subrev_nc_u32_e32 v0, 28, v2
	v_lshlrev_b64 v[0:1], v0, v[4:5]
	v_sub_nc_u32_e32 v1, 29, v2
	v_and_b32_e32 v0, 7, v0
; %bb.87:                               ;   in Loop: Header=BB296_10 Depth=1
	s_or_b32 exec_lo, exec_lo, s20
	v_mov_b32_e32 v2, 8
	v_lshl_add_u32 v1, v1, 10, 0x2000
	v_lshlrev_b32_e32 v0, 23, v0
	v_lshlrev_b32_sdwa v2, v2, v4 dst_sel:DWORD dst_unused:UNUSED_PAD src0_sel:DWORD src1_sel:WORD_0
	v_and_or_b32 v1, 0x8000, v2, v1
	v_lshl_or_b32 v68, v1, 16, v0
.LBB296_88:                             ;   in Loop: Header=BB296_10 Depth=1
	s_or_b32 exec_lo, exec_lo, s19
.LBB296_89:                             ;   in Loop: Header=BB296_10 Depth=1
	s_or_b32 exec_lo, exec_lo, s18
.LBB296_90:                             ;   in Loop: Header=BB296_10 Depth=1
	s_or_b32 exec_lo, exec_lo, s17
	v_lshrrev_b32_e32 v4, 16, v24
	v_cmp_ne_u16_sdwa s5, v4, v5 src0_sel:BYTE_0 src1_sel:DWORD
	s_and_saveexec_b32 s17, s5
	s_cbranch_execz .LBB296_98
; %bb.91:                               ;   in Loop: Header=BB296_10 Depth=1
	v_cmp_ne_u16_sdwa s5, v4, v37 src0_sel:BYTE_0 src1_sel:DWORD
	v_mov_b32_e32 v0, 0x8000
	buffer_store_dword v0, off, s[0:3], s32 offset:212 ; 4-byte Folded Spill
	s_and_saveexec_b32 s18, s5
	s_cbranch_execz .LBB296_97
; %bb.92:                               ;   in Loop: Header=BB296_10 Depth=1
	v_bfe_u32 v2, v24, 16, 7
	v_mov_b32_e32 v0, 0x7c01
	s_mov_b32 s19, exec_lo
	buffer_store_dword v0, off, s[0:3], s32 offset:212 ; 4-byte Folded Spill
	v_cmpx_ne_u32_e32 0x7f, v2
	s_cbranch_execz .LBB296_96
; %bb.93:                               ;   in Loop: Header=BB296_10 Depth=1
	v_and_b32_e32 v0, 7, v4
	v_lshrrev_b32_e32 v1, 3, v2
	s_mov_b32 s20, exec_lo
	v_cmpx_gt_u32_e32 8, v2
; %bb.94:                               ;   in Loop: Header=BB296_10 Depth=1
	v_ffbh_u32_e32 v0, v0
	v_min_u32_e32 v2, 32, v0
	v_subrev_nc_u32_e32 v0, 28, v2
	v_lshlrev_b64 v[0:1], v0, v[4:5]
	v_sub_nc_u32_e32 v1, 29, v2
	v_and_b32_e32 v0, 7, v0
; %bb.95:                               ;   in Loop: Header=BB296_10 Depth=1
	s_or_b32 exec_lo, exec_lo, s20
	v_lshlrev_b32_e32 v2, 8, v4
	v_lshl_add_u32 v1, v1, 10, 0x2000
	v_lshlrev_b32_e32 v0, 7, v0
	v_and_b32_e32 v2, 0x8000, v2
	v_and_b32_e32 v1, 0xfc00, v1
	v_or3_b32 v0, v2, v1, v0
	buffer_store_dword v0, off, s[0:3], s32 offset:212 ; 4-byte Folded Spill
.LBB296_96:                             ;   in Loop: Header=BB296_10 Depth=1
	s_or_b32 exec_lo, exec_lo, s19
.LBB296_97:                             ;   in Loop: Header=BB296_10 Depth=1
	s_or_b32 exec_lo, exec_lo, s18
.LBB296_98:                             ;   in Loop: Header=BB296_10 Depth=1
	s_or_b32 exec_lo, exec_lo, s17
	v_mov_b32_e32 v0, 0
	v_mov_b32_e32 v71, 0
	s_mov_b32 s17, exec_lo
	buffer_store_dword v0, off, s[0:3], s32 offset:216 ; 4-byte Folded Spill
	v_cmpx_lt_u32_e32 0xffffff, v24
	s_cbranch_execz .LBB296_106
; %bb.99:                               ;   in Loop: Header=BB296_10 Depth=1
	v_lshrrev_b32_e32 v4, 24, v24
	v_bfrev_b32_e32 v71, 1
	s_mov_b32 s18, exec_lo
	v_cmpx_ne_u32_e32 0x80, v4
	s_cbranch_execz .LBB296_105
; %bb.100:                              ;   in Loop: Header=BB296_10 Depth=1
	v_and_b32_e32 v2, 0x7f, v4
	v_mov_b32_e32 v71, 0x7c010000
	s_mov_b32 s19, exec_lo
	v_cmpx_ne_u32_e32 0x7f, v2
	s_cbranch_execz .LBB296_104
; %bb.101:                              ;   in Loop: Header=BB296_10 Depth=1
	v_and_b32_e32 v0, 7, v4
	v_lshrrev_b32_e32 v1, 3, v2
	s_mov_b32 s20, exec_lo
	v_cmpx_gt_u32_e32 8, v2
; %bb.102:                              ;   in Loop: Header=BB296_10 Depth=1
	v_ffbh_u32_e32 v0, v0
	v_min_u32_e32 v2, 32, v0
	v_subrev_nc_u32_e32 v0, 28, v2
	v_lshlrev_b64 v[0:1], v0, v[4:5]
	v_sub_nc_u32_e32 v1, 29, v2
	v_and_b32_e32 v0, 7, v0
; %bb.103:                              ;   in Loop: Header=BB296_10 Depth=1
	s_or_b32 exec_lo, exec_lo, s20
	v_lshlrev_b32_e32 v2, 8, v4
	v_lshl_add_u32 v1, v1, 10, 0x2000
	v_lshlrev_b32_e32 v0, 23, v0
	v_and_or_b32 v1, 0x8000, v2, v1
	v_lshl_or_b32 v71, v1, 16, v0
.LBB296_104:                            ;   in Loop: Header=BB296_10 Depth=1
	s_or_b32 exec_lo, exec_lo, s19
.LBB296_105:                            ;   in Loop: Header=BB296_10 Depth=1
	s_or_b32 exec_lo, exec_lo, s18
.LBB296_106:                            ;   in Loop: Header=BB296_10 Depth=1
	s_or_b32 exec_lo, exec_lo, s17
	v_mov_b32_e32 v4, v25
	v_cmp_ne_u16_sdwa s5, v25, v5 src0_sel:BYTE_0 src1_sel:DWORD
	s_and_saveexec_b32 s17, s5
	s_cbranch_execz .LBB296_114
; %bb.107:                              ;   in Loop: Header=BB296_10 Depth=1
	v_cmp_ne_u16_sdwa s5, v25, v37 src0_sel:BYTE_0 src1_sel:DWORD
	v_mov_b32_e32 v0, 0x8000
	buffer_store_dword v0, off, s[0:3], s32 offset:216 ; 4-byte Folded Spill
	s_and_saveexec_b32 s18, s5
	s_cbranch_execz .LBB296_113
; %bb.108:                              ;   in Loop: Header=BB296_10 Depth=1
	v_and_b32_e32 v2, 0x7f, v25
	v_mov_b32_e32 v0, 0x7c01
	s_mov_b32 s19, exec_lo
	buffer_store_dword v0, off, s[0:3], s32 offset:216 ; 4-byte Folded Spill
	v_cmpx_ne_u32_e32 0x7f, v2
	s_cbranch_execz .LBB296_112
; %bb.109:                              ;   in Loop: Header=BB296_10 Depth=1
	v_and_b32_e32 v0, 7, v25
	v_lshrrev_b32_e32 v1, 3, v2
	s_mov_b32 s20, exec_lo
	v_cmpx_gt_u32_e32 8, v2
; %bb.110:                              ;   in Loop: Header=BB296_10 Depth=1
	v_ffbh_u32_e32 v0, v0
	v_min_u32_e32 v2, 32, v0
	v_subrev_nc_u32_e32 v0, 28, v2
	v_lshlrev_b64 v[0:1], v0, v[4:5]
	v_sub_nc_u32_e32 v1, 29, v2
	v_and_b32_e32 v0, 7, v0
; %bb.111:                              ;   in Loop: Header=BB296_10 Depth=1
	s_or_b32 exec_lo, exec_lo, s20
	v_lshlrev_b32_e32 v2, 8, v25
	v_lshl_add_u32 v1, v1, 10, 0x2000
	v_lshlrev_b32_e32 v0, 7, v0
	v_and_b32_e32 v2, 0x8000, v2
	v_and_b32_e32 v1, 0xfc00, v1
	v_or3_b32 v0, v2, v1, v0
	buffer_store_dword v0, off, s[0:3], s32 offset:216 ; 4-byte Folded Spill
.LBB296_112:                            ;   in Loop: Header=BB296_10 Depth=1
	s_or_b32 exec_lo, exec_lo, s19
.LBB296_113:                            ;   in Loop: Header=BB296_10 Depth=1
	s_or_b32 exec_lo, exec_lo, s18
.LBB296_114:                            ;   in Loop: Header=BB296_10 Depth=1
	s_or_b32 exec_lo, exec_lo, s17
	v_lshrrev_b16 v4, 8, v4
	v_mov_b32_e32 v0, 0
	v_mov_b32_e32 v34, 0
	s_mov_b32 s17, exec_lo
	buffer_store_dword v0, off, s[0:3], s32 offset:220 ; 4-byte Folded Spill
	v_cmpx_ne_u16_e32 0, v4
	s_cbranch_execz .LBB296_122
; %bb.115:                              ;   in Loop: Header=BB296_10 Depth=1
	v_bfrev_b32_e32 v34, 1
	s_mov_b32 s18, exec_lo
	v_cmpx_ne_u16_e32 0x80, v4
	s_cbranch_execz .LBB296_121
; %bb.116:                              ;   in Loop: Header=BB296_10 Depth=1
	v_mov_b32_e32 v0, 0x7f
	v_mov_b32_e32 v34, 0x7c010000
	s_mov_b32 s19, exec_lo
	v_and_b32_sdwa v2, v4, v0 dst_sel:DWORD dst_unused:UNUSED_PAD src0_sel:WORD_0 src1_sel:DWORD
	v_cmpx_ne_u32_e32 0x7f, v2
	s_cbranch_execz .LBB296_120
; %bb.117:                              ;   in Loop: Header=BB296_10 Depth=1
	v_mov_b32_e32 v0, 7
	v_lshrrev_b32_e32 v1, 3, v2
	s_mov_b32 s20, exec_lo
	v_and_b32_sdwa v0, v4, v0 dst_sel:DWORD dst_unused:UNUSED_PAD src0_sel:WORD_0 src1_sel:DWORD
	v_cmpx_gt_u32_e32 8, v2
; %bb.118:                              ;   in Loop: Header=BB296_10 Depth=1
	v_ffbh_u32_e32 v0, v0
	v_min_u32_e32 v2, 32, v0
	v_subrev_nc_u32_e32 v0, 28, v2
	v_lshlrev_b64 v[0:1], v0, v[4:5]
	v_sub_nc_u32_e32 v1, 29, v2
	v_and_b32_e32 v0, 7, v0
; %bb.119:                              ;   in Loop: Header=BB296_10 Depth=1
	s_or_b32 exec_lo, exec_lo, s20
	v_mov_b32_e32 v2, 8
	v_lshl_add_u32 v1, v1, 10, 0x2000
	v_lshlrev_b32_e32 v0, 23, v0
	v_lshlrev_b32_sdwa v2, v2, v4 dst_sel:DWORD dst_unused:UNUSED_PAD src0_sel:DWORD src1_sel:WORD_0
	v_and_or_b32 v1, 0x8000, v2, v1
	v_lshl_or_b32 v34, v1, 16, v0
.LBB296_120:                            ;   in Loop: Header=BB296_10 Depth=1
	s_or_b32 exec_lo, exec_lo, s19
.LBB296_121:                            ;   in Loop: Header=BB296_10 Depth=1
	s_or_b32 exec_lo, exec_lo, s18
.LBB296_122:                            ;   in Loop: Header=BB296_10 Depth=1
	s_or_b32 exec_lo, exec_lo, s17
	v_lshrrev_b32_e32 v4, 16, v25
	v_cmp_ne_u16_sdwa s5, v4, v5 src0_sel:BYTE_0 src1_sel:DWORD
	s_and_saveexec_b32 s17, s5
	s_cbranch_execz .LBB296_130
; %bb.123:                              ;   in Loop: Header=BB296_10 Depth=1
	v_cmp_ne_u16_sdwa s5, v4, v37 src0_sel:BYTE_0 src1_sel:DWORD
	v_mov_b32_e32 v0, 0x8000
	buffer_store_dword v0, off, s[0:3], s32 offset:220 ; 4-byte Folded Spill
	s_and_saveexec_b32 s18, s5
	s_cbranch_execz .LBB296_129
; %bb.124:                              ;   in Loop: Header=BB296_10 Depth=1
	v_bfe_u32 v2, v25, 16, 7
	v_mov_b32_e32 v0, 0x7c01
	s_mov_b32 s19, exec_lo
	buffer_store_dword v0, off, s[0:3], s32 offset:220 ; 4-byte Folded Spill
	v_cmpx_ne_u32_e32 0x7f, v2
	s_cbranch_execz .LBB296_128
; %bb.125:                              ;   in Loop: Header=BB296_10 Depth=1
	v_and_b32_e32 v0, 7, v4
	v_lshrrev_b32_e32 v1, 3, v2
	s_mov_b32 s20, exec_lo
	v_cmpx_gt_u32_e32 8, v2
; %bb.126:                              ;   in Loop: Header=BB296_10 Depth=1
	v_ffbh_u32_e32 v0, v0
	v_min_u32_e32 v2, 32, v0
	v_subrev_nc_u32_e32 v0, 28, v2
	v_lshlrev_b64 v[0:1], v0, v[4:5]
	v_sub_nc_u32_e32 v1, 29, v2
	v_and_b32_e32 v0, 7, v0
; %bb.127:                              ;   in Loop: Header=BB296_10 Depth=1
	s_or_b32 exec_lo, exec_lo, s20
	v_lshlrev_b32_e32 v2, 8, v4
	v_lshl_add_u32 v1, v1, 10, 0x2000
	v_lshlrev_b32_e32 v0, 7, v0
	v_and_b32_e32 v2, 0x8000, v2
	v_and_b32_e32 v1, 0xfc00, v1
	v_or3_b32 v0, v2, v1, v0
	buffer_store_dword v0, off, s[0:3], s32 offset:220 ; 4-byte Folded Spill
.LBB296_128:                            ;   in Loop: Header=BB296_10 Depth=1
	s_or_b32 exec_lo, exec_lo, s19
.LBB296_129:                            ;   in Loop: Header=BB296_10 Depth=1
	s_or_b32 exec_lo, exec_lo, s18
.LBB296_130:                            ;   in Loop: Header=BB296_10 Depth=1
	s_or_b32 exec_lo, exec_lo, s17
	v_mov_b32_e32 v53, 0
	v_mov_b32_e32 v35, 0
	s_mov_b32 s17, exec_lo
	v_cmpx_lt_u64_e64 s[6:7], v[24:25]
	s_cbranch_execz .LBB296_138
; %bb.131:                              ;   in Loop: Header=BB296_10 Depth=1
	v_lshrrev_b32_e32 v4, 24, v25
	v_bfrev_b32_e32 v35, 1
	s_mov_b32 s18, exec_lo
	v_cmpx_ne_u32_e32 0x80, v4
	s_cbranch_execz .LBB296_137
; %bb.132:                              ;   in Loop: Header=BB296_10 Depth=1
	v_and_b32_e32 v2, 0x7f, v4
	v_mov_b32_e32 v35, 0x7c010000
	s_mov_b32 s19, exec_lo
	v_cmpx_ne_u32_e32 0x7f, v2
	s_cbranch_execz .LBB296_136
; %bb.133:                              ;   in Loop: Header=BB296_10 Depth=1
	v_and_b32_e32 v0, 7, v4
	v_lshrrev_b32_e32 v1, 3, v2
	s_mov_b32 s20, exec_lo
	v_cmpx_gt_u32_e32 8, v2
; %bb.134:                              ;   in Loop: Header=BB296_10 Depth=1
	v_ffbh_u32_e32 v0, v0
	v_min_u32_e32 v2, 32, v0
	v_subrev_nc_u32_e32 v0, 28, v2
	v_lshlrev_b64 v[0:1], v0, v[4:5]
	v_sub_nc_u32_e32 v1, 29, v2
	v_and_b32_e32 v0, 7, v0
; %bb.135:                              ;   in Loop: Header=BB296_10 Depth=1
	s_or_b32 exec_lo, exec_lo, s20
	v_lshlrev_b32_e32 v2, 8, v4
	v_lshl_add_u32 v1, v1, 10, 0x2000
	v_lshlrev_b32_e32 v0, 23, v0
	v_and_or_b32 v1, 0x8000, v2, v1
	v_lshl_or_b32 v35, v1, 16, v0
.LBB296_136:                            ;   in Loop: Header=BB296_10 Depth=1
	s_or_b32 exec_lo, exec_lo, s19
.LBB296_137:                            ;   in Loop: Header=BB296_10 Depth=1
	s_or_b32 exec_lo, exec_lo, s18
.LBB296_138:                            ;   in Loop: Header=BB296_10 Depth=1
	s_or_b32 exec_lo, exec_lo, s17
	flat_load_dwordx2 v[24:25], v[16:17] offset:512
	s_waitcnt vmcnt(0) lgkmcnt(0)
	v_cmp_ne_u16_sdwa s5, v24, v5 src0_sel:BYTE_0 src1_sel:DWORD
	s_and_saveexec_b32 s17, s5
	s_cbranch_execz .LBB296_146
; %bb.139:                              ;   in Loop: Header=BB296_10 Depth=1
	v_cmp_ne_u16_sdwa s5, v24, v37 src0_sel:BYTE_0 src1_sel:DWORD
	v_mov_b32_e32 v53, 0x8000
	s_and_saveexec_b32 s18, s5
	s_cbranch_execz .LBB296_145
; %bb.140:                              ;   in Loop: Header=BB296_10 Depth=1
	v_and_b32_e32 v2, 0x7f, v24
	v_mov_b32_e32 v53, 0x7c01
	s_mov_b32 s19, exec_lo
	v_cmpx_ne_u32_e32 0x7f, v2
	s_cbranch_execz .LBB296_144
; %bb.141:                              ;   in Loop: Header=BB296_10 Depth=1
	v_and_b32_e32 v0, 7, v24
	v_lshrrev_b32_e32 v1, 3, v2
	s_mov_b32 s20, exec_lo
	v_cmpx_gt_u32_e32 8, v2
; %bb.142:                              ;   in Loop: Header=BB296_10 Depth=1
	v_ffbh_u32_e32 v0, v0
	v_min_u32_e32 v2, 32, v0
	v_subrev_nc_u32_e32 v0, 28, v2
	v_lshlrev_b64 v[0:1], v0, v[24:25]
	v_sub_nc_u32_e32 v1, 29, v2
	v_and_b32_e32 v0, 7, v0
; %bb.143:                              ;   in Loop: Header=BB296_10 Depth=1
	s_or_b32 exec_lo, exec_lo, s20
	v_lshlrev_b32_e32 v2, 8, v24
	v_lshl_add_u32 v1, v1, 10, 0x2000
	v_lshlrev_b32_e32 v0, 7, v0
	v_and_b32_e32 v2, 0x8000, v2
	v_and_b32_e32 v1, 0xfc00, v1
	v_or3_b32 v53, v2, v1, v0
.LBB296_144:                            ;   in Loop: Header=BB296_10 Depth=1
	s_or_b32 exec_lo, exec_lo, s19
.LBB296_145:                            ;   in Loop: Header=BB296_10 Depth=1
	s_or_b32 exec_lo, exec_lo, s18
.LBB296_146:                            ;   in Loop: Header=BB296_10 Depth=1
	s_or_b32 exec_lo, exec_lo, s17
	v_lshrrev_b16 v4, 8, v24
	v_mov_b32_e32 v85, 0
	v_mov_b32_e32 v84, 0
	s_mov_b32 s17, exec_lo
	v_cmpx_ne_u16_e32 0, v4
	s_cbranch_execz .LBB296_154
; %bb.147:                              ;   in Loop: Header=BB296_10 Depth=1
	v_bfrev_b32_e32 v84, 1
	s_mov_b32 s18, exec_lo
	v_cmpx_ne_u16_e32 0x80, v4
	s_cbranch_execz .LBB296_153
; %bb.148:                              ;   in Loop: Header=BB296_10 Depth=1
	v_mov_b32_e32 v0, 0x7f
	v_mov_b32_e32 v84, 0x7c010000
	s_mov_b32 s19, exec_lo
	v_and_b32_sdwa v2, v4, v0 dst_sel:DWORD dst_unused:UNUSED_PAD src0_sel:WORD_0 src1_sel:DWORD
	v_cmpx_ne_u32_e32 0x7f, v2
	s_cbranch_execz .LBB296_152
; %bb.149:                              ;   in Loop: Header=BB296_10 Depth=1
	v_mov_b32_e32 v0, 7
	v_lshrrev_b32_e32 v1, 3, v2
	s_mov_b32 s20, exec_lo
	v_and_b32_sdwa v0, v4, v0 dst_sel:DWORD dst_unused:UNUSED_PAD src0_sel:WORD_0 src1_sel:DWORD
	v_cmpx_gt_u32_e32 8, v2
; %bb.150:                              ;   in Loop: Header=BB296_10 Depth=1
	v_ffbh_u32_e32 v0, v0
	v_min_u32_e32 v2, 32, v0
	v_subrev_nc_u32_e32 v0, 28, v2
	v_lshlrev_b64 v[0:1], v0, v[4:5]
	v_sub_nc_u32_e32 v1, 29, v2
	v_and_b32_e32 v0, 7, v0
; %bb.151:                              ;   in Loop: Header=BB296_10 Depth=1
	s_or_b32 exec_lo, exec_lo, s20
	v_mov_b32_e32 v2, 8
	v_lshl_add_u32 v1, v1, 10, 0x2000
	v_lshlrev_b32_e32 v0, 23, v0
	v_lshlrev_b32_sdwa v2, v2, v4 dst_sel:DWORD dst_unused:UNUSED_PAD src0_sel:DWORD src1_sel:WORD_0
	v_and_or_b32 v1, 0x8000, v2, v1
	v_lshl_or_b32 v84, v1, 16, v0
.LBB296_152:                            ;   in Loop: Header=BB296_10 Depth=1
	s_or_b32 exec_lo, exec_lo, s19
.LBB296_153:                            ;   in Loop: Header=BB296_10 Depth=1
	s_or_b32 exec_lo, exec_lo, s18
.LBB296_154:                            ;   in Loop: Header=BB296_10 Depth=1
	s_or_b32 exec_lo, exec_lo, s17
	v_lshrrev_b32_e32 v4, 16, v24
	v_cmp_ne_u16_sdwa s5, v4, v5 src0_sel:BYTE_0 src1_sel:DWORD
	s_and_saveexec_b32 s17, s5
	s_cbranch_execz .LBB296_162
; %bb.155:                              ;   in Loop: Header=BB296_10 Depth=1
	v_cmp_ne_u16_sdwa s5, v4, v37 src0_sel:BYTE_0 src1_sel:DWORD
	v_mov_b32_e32 v85, 0x8000
	s_and_saveexec_b32 s18, s5
	s_cbranch_execz .LBB296_161
; %bb.156:                              ;   in Loop: Header=BB296_10 Depth=1
	v_bfe_u32 v2, v24, 16, 7
	v_mov_b32_e32 v85, 0x7c01
	s_mov_b32 s19, exec_lo
	v_cmpx_ne_u32_e32 0x7f, v2
	s_cbranch_execz .LBB296_160
; %bb.157:                              ;   in Loop: Header=BB296_10 Depth=1
	v_and_b32_e32 v0, 7, v4
	v_lshrrev_b32_e32 v1, 3, v2
	s_mov_b32 s20, exec_lo
	v_cmpx_gt_u32_e32 8, v2
; %bb.158:                              ;   in Loop: Header=BB296_10 Depth=1
	v_ffbh_u32_e32 v0, v0
	v_min_u32_e32 v2, 32, v0
	v_subrev_nc_u32_e32 v0, 28, v2
	v_lshlrev_b64 v[0:1], v0, v[4:5]
	v_sub_nc_u32_e32 v1, 29, v2
	v_and_b32_e32 v0, 7, v0
; %bb.159:                              ;   in Loop: Header=BB296_10 Depth=1
	s_or_b32 exec_lo, exec_lo, s20
	v_lshlrev_b32_e32 v2, 8, v4
	v_lshl_add_u32 v1, v1, 10, 0x2000
	v_lshlrev_b32_e32 v0, 7, v0
	v_and_b32_e32 v2, 0x8000, v2
	v_and_b32_e32 v1, 0xfc00, v1
	v_or3_b32 v85, v2, v1, v0
.LBB296_160:                            ;   in Loop: Header=BB296_10 Depth=1
	s_or_b32 exec_lo, exec_lo, s19
.LBB296_161:                            ;   in Loop: Header=BB296_10 Depth=1
	s_or_b32 exec_lo, exec_lo, s18
.LBB296_162:                            ;   in Loop: Header=BB296_10 Depth=1
	s_or_b32 exec_lo, exec_lo, s17
	v_mov_b32_e32 v86, 0
	v_mov_b32_e32 v87, 0
	s_mov_b32 s17, exec_lo
	v_cmpx_lt_u32_e32 0xffffff, v24
	s_cbranch_execz .LBB296_170
; %bb.163:                              ;   in Loop: Header=BB296_10 Depth=1
	v_lshrrev_b32_e32 v4, 24, v24
	v_bfrev_b32_e32 v87, 1
	s_mov_b32 s18, exec_lo
	v_cmpx_ne_u32_e32 0x80, v4
	s_cbranch_execz .LBB296_169
; %bb.164:                              ;   in Loop: Header=BB296_10 Depth=1
	v_and_b32_e32 v2, 0x7f, v4
	v_mov_b32_e32 v87, 0x7c010000
	s_mov_b32 s19, exec_lo
	v_cmpx_ne_u32_e32 0x7f, v2
	s_cbranch_execz .LBB296_168
; %bb.165:                              ;   in Loop: Header=BB296_10 Depth=1
	v_and_b32_e32 v0, 7, v4
	v_lshrrev_b32_e32 v1, 3, v2
	s_mov_b32 s20, exec_lo
	v_cmpx_gt_u32_e32 8, v2
; %bb.166:                              ;   in Loop: Header=BB296_10 Depth=1
	v_ffbh_u32_e32 v0, v0
	v_min_u32_e32 v2, 32, v0
	v_subrev_nc_u32_e32 v0, 28, v2
	v_lshlrev_b64 v[0:1], v0, v[4:5]
	v_sub_nc_u32_e32 v1, 29, v2
	v_and_b32_e32 v0, 7, v0
; %bb.167:                              ;   in Loop: Header=BB296_10 Depth=1
	s_or_b32 exec_lo, exec_lo, s20
	v_lshlrev_b32_e32 v2, 8, v4
	v_lshl_add_u32 v1, v1, 10, 0x2000
	v_lshlrev_b32_e32 v0, 23, v0
	v_and_or_b32 v1, 0x8000, v2, v1
	v_lshl_or_b32 v87, v1, 16, v0
.LBB296_168:                            ;   in Loop: Header=BB296_10 Depth=1
	s_or_b32 exec_lo, exec_lo, s19
.LBB296_169:                            ;   in Loop: Header=BB296_10 Depth=1
	s_or_b32 exec_lo, exec_lo, s18
.LBB296_170:                            ;   in Loop: Header=BB296_10 Depth=1
	s_or_b32 exec_lo, exec_lo, s17
	v_mov_b32_e32 v4, v25
	v_cmp_ne_u16_sdwa s5, v25, v5 src0_sel:BYTE_0 src1_sel:DWORD
	s_and_saveexec_b32 s17, s5
	s_cbranch_execz .LBB296_178
; %bb.171:                              ;   in Loop: Header=BB296_10 Depth=1
	v_cmp_ne_u16_sdwa s5, v25, v37 src0_sel:BYTE_0 src1_sel:DWORD
	v_mov_b32_e32 v86, 0x8000
	s_and_saveexec_b32 s18, s5
	s_cbranch_execz .LBB296_177
; %bb.172:                              ;   in Loop: Header=BB296_10 Depth=1
	v_and_b32_e32 v2, 0x7f, v25
	v_mov_b32_e32 v86, 0x7c01
	s_mov_b32 s19, exec_lo
	v_cmpx_ne_u32_e32 0x7f, v2
	s_cbranch_execz .LBB296_176
; %bb.173:                              ;   in Loop: Header=BB296_10 Depth=1
	v_and_b32_e32 v0, 7, v25
	v_lshrrev_b32_e32 v1, 3, v2
	s_mov_b32 s20, exec_lo
	v_cmpx_gt_u32_e32 8, v2
; %bb.174:                              ;   in Loop: Header=BB296_10 Depth=1
	v_ffbh_u32_e32 v0, v0
	v_min_u32_e32 v2, 32, v0
	v_subrev_nc_u32_e32 v0, 28, v2
	v_lshlrev_b64 v[0:1], v0, v[4:5]
	v_sub_nc_u32_e32 v1, 29, v2
	v_and_b32_e32 v0, 7, v0
; %bb.175:                              ;   in Loop: Header=BB296_10 Depth=1
	s_or_b32 exec_lo, exec_lo, s20
	v_lshlrev_b32_e32 v2, 8, v25
	v_lshl_add_u32 v1, v1, 10, 0x2000
	v_lshlrev_b32_e32 v0, 7, v0
	v_and_b32_e32 v2, 0x8000, v2
	v_and_b32_e32 v1, 0xfc00, v1
	v_or3_b32 v86, v2, v1, v0
.LBB296_176:                            ;   in Loop: Header=BB296_10 Depth=1
	s_or_b32 exec_lo, exec_lo, s19
.LBB296_177:                            ;   in Loop: Header=BB296_10 Depth=1
	s_or_b32 exec_lo, exec_lo, s18
.LBB296_178:                            ;   in Loop: Header=BB296_10 Depth=1
	s_or_b32 exec_lo, exec_lo, s17
	v_lshrrev_b16 v4, 8, v4
	v_mov_b32_e32 v96, 0
	v_mov_b32_e32 v97, 0
	s_mov_b32 s17, exec_lo
	v_cmpx_ne_u16_e32 0, v4
	s_cbranch_execz .LBB296_186
; %bb.179:                              ;   in Loop: Header=BB296_10 Depth=1
	v_bfrev_b32_e32 v97, 1
	s_mov_b32 s18, exec_lo
	v_cmpx_ne_u16_e32 0x80, v4
	s_cbranch_execz .LBB296_185
; %bb.180:                              ;   in Loop: Header=BB296_10 Depth=1
	v_mov_b32_e32 v0, 0x7f
	v_mov_b32_e32 v97, 0x7c010000
	s_mov_b32 s19, exec_lo
	v_and_b32_sdwa v2, v4, v0 dst_sel:DWORD dst_unused:UNUSED_PAD src0_sel:WORD_0 src1_sel:DWORD
	v_cmpx_ne_u32_e32 0x7f, v2
	s_cbranch_execz .LBB296_184
; %bb.181:                              ;   in Loop: Header=BB296_10 Depth=1
	v_mov_b32_e32 v0, 7
	v_lshrrev_b32_e32 v1, 3, v2
	s_mov_b32 s20, exec_lo
	v_and_b32_sdwa v0, v4, v0 dst_sel:DWORD dst_unused:UNUSED_PAD src0_sel:WORD_0 src1_sel:DWORD
	v_cmpx_gt_u32_e32 8, v2
; %bb.182:                              ;   in Loop: Header=BB296_10 Depth=1
	v_ffbh_u32_e32 v0, v0
	v_min_u32_e32 v2, 32, v0
	v_subrev_nc_u32_e32 v0, 28, v2
	v_lshlrev_b64 v[0:1], v0, v[4:5]
	v_sub_nc_u32_e32 v1, 29, v2
	v_and_b32_e32 v0, 7, v0
; %bb.183:                              ;   in Loop: Header=BB296_10 Depth=1
	s_or_b32 exec_lo, exec_lo, s20
	v_mov_b32_e32 v2, 8
	v_lshl_add_u32 v1, v1, 10, 0x2000
	v_lshlrev_b32_e32 v0, 23, v0
	v_lshlrev_b32_sdwa v2, v2, v4 dst_sel:DWORD dst_unused:UNUSED_PAD src0_sel:DWORD src1_sel:WORD_0
	v_and_or_b32 v1, 0x8000, v2, v1
	v_lshl_or_b32 v97, v1, 16, v0
.LBB296_184:                            ;   in Loop: Header=BB296_10 Depth=1
	s_or_b32 exec_lo, exec_lo, s19
.LBB296_185:                            ;   in Loop: Header=BB296_10 Depth=1
	s_or_b32 exec_lo, exec_lo, s18
.LBB296_186:                            ;   in Loop: Header=BB296_10 Depth=1
	s_or_b32 exec_lo, exec_lo, s17
	v_lshrrev_b32_e32 v4, 16, v25
	v_cmp_ne_u16_sdwa s5, v4, v5 src0_sel:BYTE_0 src1_sel:DWORD
	s_and_saveexec_b32 s17, s5
	s_cbranch_execz .LBB296_194
; %bb.187:                              ;   in Loop: Header=BB296_10 Depth=1
	v_cmp_ne_u16_sdwa s5, v4, v37 src0_sel:BYTE_0 src1_sel:DWORD
	v_mov_b32_e32 v96, 0x8000
	s_and_saveexec_b32 s18, s5
	s_cbranch_execz .LBB296_193
; %bb.188:                              ;   in Loop: Header=BB296_10 Depth=1
	v_bfe_u32 v2, v25, 16, 7
	v_mov_b32_e32 v96, 0x7c01
	s_mov_b32 s19, exec_lo
	v_cmpx_ne_u32_e32 0x7f, v2
	s_cbranch_execz .LBB296_192
; %bb.189:                              ;   in Loop: Header=BB296_10 Depth=1
	v_and_b32_e32 v0, 7, v4
	v_lshrrev_b32_e32 v1, 3, v2
	s_mov_b32 s20, exec_lo
	v_cmpx_gt_u32_e32 8, v2
; %bb.190:                              ;   in Loop: Header=BB296_10 Depth=1
	v_ffbh_u32_e32 v0, v0
	v_min_u32_e32 v2, 32, v0
	v_subrev_nc_u32_e32 v0, 28, v2
	v_lshlrev_b64 v[0:1], v0, v[4:5]
	v_sub_nc_u32_e32 v1, 29, v2
	v_and_b32_e32 v0, 7, v0
; %bb.191:                              ;   in Loop: Header=BB296_10 Depth=1
	s_or_b32 exec_lo, exec_lo, s20
	v_lshlrev_b32_e32 v2, 8, v4
	v_lshl_add_u32 v1, v1, 10, 0x2000
	v_lshlrev_b32_e32 v0, 7, v0
	v_and_b32_e32 v2, 0x8000, v2
	v_and_b32_e32 v1, 0xfc00, v1
	v_or3_b32 v96, v2, v1, v0
.LBB296_192:                            ;   in Loop: Header=BB296_10 Depth=1
	s_or_b32 exec_lo, exec_lo, s19
.LBB296_193:                            ;   in Loop: Header=BB296_10 Depth=1
	s_or_b32 exec_lo, exec_lo, s18
.LBB296_194:                            ;   in Loop: Header=BB296_10 Depth=1
	s_or_b32 exec_lo, exec_lo, s17
	v_mov_b32_e32 v99, 0
	v_mov_b32_e32 v98, 0
	s_mov_b32 s17, exec_lo
	v_cmpx_lt_u64_e64 s[6:7], v[24:25]
	s_cbranch_execz .LBB296_202
; %bb.195:                              ;   in Loop: Header=BB296_10 Depth=1
	v_lshrrev_b32_e32 v4, 24, v25
	v_bfrev_b32_e32 v98, 1
	s_mov_b32 s18, exec_lo
	v_cmpx_ne_u32_e32 0x80, v4
	s_cbranch_execz .LBB296_201
; %bb.196:                              ;   in Loop: Header=BB296_10 Depth=1
	v_and_b32_e32 v2, 0x7f, v4
	v_mov_b32_e32 v98, 0x7c010000
	s_mov_b32 s19, exec_lo
	v_cmpx_ne_u32_e32 0x7f, v2
	s_cbranch_execz .LBB296_200
; %bb.197:                              ;   in Loop: Header=BB296_10 Depth=1
	v_and_b32_e32 v0, 7, v4
	v_lshrrev_b32_e32 v1, 3, v2
	s_mov_b32 s20, exec_lo
	v_cmpx_gt_u32_e32 8, v2
; %bb.198:                              ;   in Loop: Header=BB296_10 Depth=1
	v_ffbh_u32_e32 v0, v0
	v_min_u32_e32 v2, 32, v0
	v_subrev_nc_u32_e32 v0, 28, v2
	v_lshlrev_b64 v[0:1], v0, v[4:5]
	v_sub_nc_u32_e32 v1, 29, v2
	v_and_b32_e32 v0, 7, v0
; %bb.199:                              ;   in Loop: Header=BB296_10 Depth=1
	s_or_b32 exec_lo, exec_lo, s20
	v_lshlrev_b32_e32 v2, 8, v4
	v_lshl_add_u32 v1, v1, 10, 0x2000
	v_lshlrev_b32_e32 v0, 23, v0
	v_and_or_b32 v1, 0x8000, v2, v1
	v_lshl_or_b32 v98, v1, 16, v0
.LBB296_200:                            ;   in Loop: Header=BB296_10 Depth=1
	s_or_b32 exec_lo, exec_lo, s19
.LBB296_201:                            ;   in Loop: Header=BB296_10 Depth=1
	s_or_b32 exec_lo, exec_lo, s18
.LBB296_202:                            ;   in Loop: Header=BB296_10 Depth=1
	s_or_b32 exec_lo, exec_lo, s17
	flat_load_dwordx2 v[24:25], v[16:17] offset:520
	s_waitcnt vmcnt(0) lgkmcnt(0)
	v_cmp_ne_u16_sdwa s5, v24, v5 src0_sel:BYTE_0 src1_sel:DWORD
	s_and_saveexec_b32 s17, s5
	s_cbranch_execz .LBB296_210
; %bb.203:                              ;   in Loop: Header=BB296_10 Depth=1
	v_cmp_ne_u16_sdwa s5, v24, v37 src0_sel:BYTE_0 src1_sel:DWORD
	v_mov_b32_e32 v99, 0x8000
	s_and_saveexec_b32 s18, s5
	s_cbranch_execz .LBB296_209
; %bb.204:                              ;   in Loop: Header=BB296_10 Depth=1
	v_and_b32_e32 v2, 0x7f, v24
	v_mov_b32_e32 v99, 0x7c01
	s_mov_b32 s19, exec_lo
	v_cmpx_ne_u32_e32 0x7f, v2
	s_cbranch_execz .LBB296_208
; %bb.205:                              ;   in Loop: Header=BB296_10 Depth=1
	v_and_b32_e32 v0, 7, v24
	v_lshrrev_b32_e32 v1, 3, v2
	s_mov_b32 s20, exec_lo
	v_cmpx_gt_u32_e32 8, v2
; %bb.206:                              ;   in Loop: Header=BB296_10 Depth=1
	v_ffbh_u32_e32 v0, v0
	v_min_u32_e32 v2, 32, v0
	v_subrev_nc_u32_e32 v0, 28, v2
	v_lshlrev_b64 v[0:1], v0, v[24:25]
	v_sub_nc_u32_e32 v1, 29, v2
	v_and_b32_e32 v0, 7, v0
; %bb.207:                              ;   in Loop: Header=BB296_10 Depth=1
	s_or_b32 exec_lo, exec_lo, s20
	v_lshlrev_b32_e32 v2, 8, v24
	v_lshl_add_u32 v1, v1, 10, 0x2000
	v_lshlrev_b32_e32 v0, 7, v0
	v_and_b32_e32 v2, 0x8000, v2
	v_and_b32_e32 v1, 0xfc00, v1
	v_or3_b32 v99, v2, v1, v0
.LBB296_208:                            ;   in Loop: Header=BB296_10 Depth=1
	s_or_b32 exec_lo, exec_lo, s19
.LBB296_209:                            ;   in Loop: Header=BB296_10 Depth=1
	s_or_b32 exec_lo, exec_lo, s18
.LBB296_210:                            ;   in Loop: Header=BB296_10 Depth=1
	s_or_b32 exec_lo, exec_lo, s17
	v_lshrrev_b16 v4, 8, v24
	v_mov_b32_e32 v101, 0
	v_mov_b32_e32 v100, 0
	s_mov_b32 s17, exec_lo
	v_cmpx_ne_u16_e32 0, v4
	s_cbranch_execz .LBB296_218
; %bb.211:                              ;   in Loop: Header=BB296_10 Depth=1
	v_bfrev_b32_e32 v100, 1
	s_mov_b32 s18, exec_lo
	v_cmpx_ne_u16_e32 0x80, v4
	s_cbranch_execz .LBB296_217
; %bb.212:                              ;   in Loop: Header=BB296_10 Depth=1
	v_mov_b32_e32 v0, 0x7f
	v_mov_b32_e32 v100, 0x7c010000
	s_mov_b32 s19, exec_lo
	v_and_b32_sdwa v2, v4, v0 dst_sel:DWORD dst_unused:UNUSED_PAD src0_sel:WORD_0 src1_sel:DWORD
	v_cmpx_ne_u32_e32 0x7f, v2
	s_cbranch_execz .LBB296_216
; %bb.213:                              ;   in Loop: Header=BB296_10 Depth=1
	v_mov_b32_e32 v0, 7
	v_lshrrev_b32_e32 v1, 3, v2
	s_mov_b32 s20, exec_lo
	v_and_b32_sdwa v0, v4, v0 dst_sel:DWORD dst_unused:UNUSED_PAD src0_sel:WORD_0 src1_sel:DWORD
	v_cmpx_gt_u32_e32 8, v2
; %bb.214:                              ;   in Loop: Header=BB296_10 Depth=1
	v_ffbh_u32_e32 v0, v0
	v_min_u32_e32 v2, 32, v0
	v_subrev_nc_u32_e32 v0, 28, v2
	v_lshlrev_b64 v[0:1], v0, v[4:5]
	v_sub_nc_u32_e32 v1, 29, v2
	v_and_b32_e32 v0, 7, v0
; %bb.215:                              ;   in Loop: Header=BB296_10 Depth=1
	s_or_b32 exec_lo, exec_lo, s20
	v_mov_b32_e32 v2, 8
	v_lshl_add_u32 v1, v1, 10, 0x2000
	v_lshlrev_b32_e32 v0, 23, v0
	v_lshlrev_b32_sdwa v2, v2, v4 dst_sel:DWORD dst_unused:UNUSED_PAD src0_sel:DWORD src1_sel:WORD_0
	v_and_or_b32 v1, 0x8000, v2, v1
	v_lshl_or_b32 v100, v1, 16, v0
.LBB296_216:                            ;   in Loop: Header=BB296_10 Depth=1
	s_or_b32 exec_lo, exec_lo, s19
.LBB296_217:                            ;   in Loop: Header=BB296_10 Depth=1
	s_or_b32 exec_lo, exec_lo, s18
.LBB296_218:                            ;   in Loop: Header=BB296_10 Depth=1
	s_or_b32 exec_lo, exec_lo, s17
	v_lshrrev_b32_e32 v4, 16, v24
	v_cmp_ne_u16_sdwa s5, v4, v5 src0_sel:BYTE_0 src1_sel:DWORD
	s_and_saveexec_b32 s17, s5
	s_cbranch_execz .LBB296_226
; %bb.219:                              ;   in Loop: Header=BB296_10 Depth=1
	v_cmp_ne_u16_sdwa s5, v4, v37 src0_sel:BYTE_0 src1_sel:DWORD
	v_mov_b32_e32 v101, 0x8000
	s_and_saveexec_b32 s18, s5
	s_cbranch_execz .LBB296_225
; %bb.220:                              ;   in Loop: Header=BB296_10 Depth=1
	v_bfe_u32 v2, v24, 16, 7
	v_mov_b32_e32 v101, 0x7c01
	s_mov_b32 s19, exec_lo
	v_cmpx_ne_u32_e32 0x7f, v2
	s_cbranch_execz .LBB296_224
; %bb.221:                              ;   in Loop: Header=BB296_10 Depth=1
	v_and_b32_e32 v0, 7, v4
	v_lshrrev_b32_e32 v1, 3, v2
	s_mov_b32 s20, exec_lo
	v_cmpx_gt_u32_e32 8, v2
; %bb.222:                              ;   in Loop: Header=BB296_10 Depth=1
	v_ffbh_u32_e32 v0, v0
	v_min_u32_e32 v2, 32, v0
	v_subrev_nc_u32_e32 v0, 28, v2
	v_lshlrev_b64 v[0:1], v0, v[4:5]
	v_sub_nc_u32_e32 v1, 29, v2
	v_and_b32_e32 v0, 7, v0
; %bb.223:                              ;   in Loop: Header=BB296_10 Depth=1
	s_or_b32 exec_lo, exec_lo, s20
	v_lshlrev_b32_e32 v2, 8, v4
	v_lshl_add_u32 v1, v1, 10, 0x2000
	v_lshlrev_b32_e32 v0, 7, v0
	v_and_b32_e32 v2, 0x8000, v2
	v_and_b32_e32 v1, 0xfc00, v1
	v_or3_b32 v101, v2, v1, v0
.LBB296_224:                            ;   in Loop: Header=BB296_10 Depth=1
	s_or_b32 exec_lo, exec_lo, s19
.LBB296_225:                            ;   in Loop: Header=BB296_10 Depth=1
	s_or_b32 exec_lo, exec_lo, s18
.LBB296_226:                            ;   in Loop: Header=BB296_10 Depth=1
	s_or_b32 exec_lo, exec_lo, s17
	v_mov_b32_e32 v102, 0
	v_mov_b32_e32 v103, 0
	s_mov_b32 s17, exec_lo
	v_cmpx_lt_u32_e32 0xffffff, v24
	s_cbranch_execz .LBB296_234
; %bb.227:                              ;   in Loop: Header=BB296_10 Depth=1
	v_lshrrev_b32_e32 v4, 24, v24
	v_bfrev_b32_e32 v103, 1
	s_mov_b32 s18, exec_lo
	v_cmpx_ne_u32_e32 0x80, v4
	s_cbranch_execz .LBB296_233
; %bb.228:                              ;   in Loop: Header=BB296_10 Depth=1
	v_and_b32_e32 v2, 0x7f, v4
	v_mov_b32_e32 v103, 0x7c010000
	s_mov_b32 s19, exec_lo
	v_cmpx_ne_u32_e32 0x7f, v2
	s_cbranch_execz .LBB296_232
; %bb.229:                              ;   in Loop: Header=BB296_10 Depth=1
	v_and_b32_e32 v0, 7, v4
	v_lshrrev_b32_e32 v1, 3, v2
	s_mov_b32 s20, exec_lo
	v_cmpx_gt_u32_e32 8, v2
; %bb.230:                              ;   in Loop: Header=BB296_10 Depth=1
	v_ffbh_u32_e32 v0, v0
	v_min_u32_e32 v2, 32, v0
	v_subrev_nc_u32_e32 v0, 28, v2
	v_lshlrev_b64 v[0:1], v0, v[4:5]
	v_sub_nc_u32_e32 v1, 29, v2
	v_and_b32_e32 v0, 7, v0
; %bb.231:                              ;   in Loop: Header=BB296_10 Depth=1
	s_or_b32 exec_lo, exec_lo, s20
	v_lshlrev_b32_e32 v2, 8, v4
	v_lshl_add_u32 v1, v1, 10, 0x2000
	v_lshlrev_b32_e32 v0, 23, v0
	v_and_or_b32 v1, 0x8000, v2, v1
	v_lshl_or_b32 v103, v1, 16, v0
.LBB296_232:                            ;   in Loop: Header=BB296_10 Depth=1
	s_or_b32 exec_lo, exec_lo, s19
.LBB296_233:                            ;   in Loop: Header=BB296_10 Depth=1
	s_or_b32 exec_lo, exec_lo, s18
.LBB296_234:                            ;   in Loop: Header=BB296_10 Depth=1
	s_or_b32 exec_lo, exec_lo, s17
	v_mov_b32_e32 v4, v25
	v_cmp_ne_u16_sdwa s5, v25, v5 src0_sel:BYTE_0 src1_sel:DWORD
	s_and_saveexec_b32 s17, s5
	s_cbranch_execz .LBB296_242
; %bb.235:                              ;   in Loop: Header=BB296_10 Depth=1
	v_cmp_ne_u16_sdwa s5, v25, v37 src0_sel:BYTE_0 src1_sel:DWORD
	v_mov_b32_e32 v102, 0x8000
	s_and_saveexec_b32 s18, s5
	s_cbranch_execz .LBB296_241
; %bb.236:                              ;   in Loop: Header=BB296_10 Depth=1
	v_and_b32_e32 v2, 0x7f, v25
	v_mov_b32_e32 v102, 0x7c01
	s_mov_b32 s19, exec_lo
	v_cmpx_ne_u32_e32 0x7f, v2
	s_cbranch_execz .LBB296_240
; %bb.237:                              ;   in Loop: Header=BB296_10 Depth=1
	v_and_b32_e32 v0, 7, v25
	v_lshrrev_b32_e32 v1, 3, v2
	s_mov_b32 s20, exec_lo
	v_cmpx_gt_u32_e32 8, v2
; %bb.238:                              ;   in Loop: Header=BB296_10 Depth=1
	v_ffbh_u32_e32 v0, v0
	v_min_u32_e32 v2, 32, v0
	v_subrev_nc_u32_e32 v0, 28, v2
	v_lshlrev_b64 v[0:1], v0, v[4:5]
	v_sub_nc_u32_e32 v1, 29, v2
	v_and_b32_e32 v0, 7, v0
; %bb.239:                              ;   in Loop: Header=BB296_10 Depth=1
	s_or_b32 exec_lo, exec_lo, s20
	v_lshlrev_b32_e32 v2, 8, v25
	v_lshl_add_u32 v1, v1, 10, 0x2000
	v_lshlrev_b32_e32 v0, 7, v0
	v_and_b32_e32 v2, 0x8000, v2
	v_and_b32_e32 v1, 0xfc00, v1
	v_or3_b32 v102, v2, v1, v0
.LBB296_240:                            ;   in Loop: Header=BB296_10 Depth=1
	s_or_b32 exec_lo, exec_lo, s19
.LBB296_241:                            ;   in Loop: Header=BB296_10 Depth=1
	s_or_b32 exec_lo, exec_lo, s18
.LBB296_242:                            ;   in Loop: Header=BB296_10 Depth=1
	s_or_b32 exec_lo, exec_lo, s17
	v_lshrrev_b16 v4, 8, v4
	v_mov_b32_e32 v112, 0
	v_mov_b32_e32 v113, 0
	s_mov_b32 s17, exec_lo
	v_cmpx_ne_u16_e32 0, v4
	s_cbranch_execz .LBB296_250
; %bb.243:                              ;   in Loop: Header=BB296_10 Depth=1
	v_bfrev_b32_e32 v113, 1
	s_mov_b32 s18, exec_lo
	v_cmpx_ne_u16_e32 0x80, v4
	s_cbranch_execz .LBB296_249
; %bb.244:                              ;   in Loop: Header=BB296_10 Depth=1
	v_mov_b32_e32 v0, 0x7f
	v_mov_b32_e32 v113, 0x7c010000
	s_mov_b32 s19, exec_lo
	v_and_b32_sdwa v2, v4, v0 dst_sel:DWORD dst_unused:UNUSED_PAD src0_sel:WORD_0 src1_sel:DWORD
	v_cmpx_ne_u32_e32 0x7f, v2
	s_cbranch_execz .LBB296_248
; %bb.245:                              ;   in Loop: Header=BB296_10 Depth=1
	v_mov_b32_e32 v0, 7
	v_lshrrev_b32_e32 v1, 3, v2
	s_mov_b32 s20, exec_lo
	v_and_b32_sdwa v0, v4, v0 dst_sel:DWORD dst_unused:UNUSED_PAD src0_sel:WORD_0 src1_sel:DWORD
	v_cmpx_gt_u32_e32 8, v2
; %bb.246:                              ;   in Loop: Header=BB296_10 Depth=1
	v_ffbh_u32_e32 v0, v0
	v_min_u32_e32 v2, 32, v0
	v_subrev_nc_u32_e32 v0, 28, v2
	v_lshlrev_b64 v[0:1], v0, v[4:5]
	v_sub_nc_u32_e32 v1, 29, v2
	v_and_b32_e32 v0, 7, v0
; %bb.247:                              ;   in Loop: Header=BB296_10 Depth=1
	s_or_b32 exec_lo, exec_lo, s20
	v_mov_b32_e32 v2, 8
	v_lshl_add_u32 v1, v1, 10, 0x2000
	v_lshlrev_b32_e32 v0, 23, v0
	v_lshlrev_b32_sdwa v2, v2, v4 dst_sel:DWORD dst_unused:UNUSED_PAD src0_sel:DWORD src1_sel:WORD_0
	v_and_or_b32 v1, 0x8000, v2, v1
	v_lshl_or_b32 v113, v1, 16, v0
.LBB296_248:                            ;   in Loop: Header=BB296_10 Depth=1
	s_or_b32 exec_lo, exec_lo, s19
.LBB296_249:                            ;   in Loop: Header=BB296_10 Depth=1
	s_or_b32 exec_lo, exec_lo, s18
.LBB296_250:                            ;   in Loop: Header=BB296_10 Depth=1
	s_or_b32 exec_lo, exec_lo, s17
	v_lshrrev_b32_e32 v4, 16, v25
	v_cmp_ne_u16_sdwa s5, v4, v5 src0_sel:BYTE_0 src1_sel:DWORD
	s_and_saveexec_b32 s17, s5
	s_cbranch_execz .LBB296_258
; %bb.251:                              ;   in Loop: Header=BB296_10 Depth=1
	v_cmp_ne_u16_sdwa s5, v4, v37 src0_sel:BYTE_0 src1_sel:DWORD
	v_mov_b32_e32 v112, 0x8000
	s_and_saveexec_b32 s18, s5
	s_cbranch_execz .LBB296_257
; %bb.252:                              ;   in Loop: Header=BB296_10 Depth=1
	v_bfe_u32 v2, v25, 16, 7
	v_mov_b32_e32 v112, 0x7c01
	s_mov_b32 s19, exec_lo
	v_cmpx_ne_u32_e32 0x7f, v2
	s_cbranch_execz .LBB296_256
; %bb.253:                              ;   in Loop: Header=BB296_10 Depth=1
	v_and_b32_e32 v0, 7, v4
	v_lshrrev_b32_e32 v1, 3, v2
	s_mov_b32 s20, exec_lo
	v_cmpx_gt_u32_e32 8, v2
; %bb.254:                              ;   in Loop: Header=BB296_10 Depth=1
	v_ffbh_u32_e32 v0, v0
	v_min_u32_e32 v2, 32, v0
	v_subrev_nc_u32_e32 v0, 28, v2
	v_lshlrev_b64 v[0:1], v0, v[4:5]
	v_sub_nc_u32_e32 v1, 29, v2
	v_and_b32_e32 v0, 7, v0
; %bb.255:                              ;   in Loop: Header=BB296_10 Depth=1
	s_or_b32 exec_lo, exec_lo, s20
	v_lshlrev_b32_e32 v2, 8, v4
	v_lshl_add_u32 v1, v1, 10, 0x2000
	v_lshlrev_b32_e32 v0, 7, v0
	v_and_b32_e32 v2, 0x8000, v2
	v_and_b32_e32 v1, 0xfc00, v1
	v_or3_b32 v112, v2, v1, v0
.LBB296_256:                            ;   in Loop: Header=BB296_10 Depth=1
	s_or_b32 exec_lo, exec_lo, s19
.LBB296_257:                            ;   in Loop: Header=BB296_10 Depth=1
	s_or_b32 exec_lo, exec_lo, s18
.LBB296_258:                            ;   in Loop: Header=BB296_10 Depth=1
	s_or_b32 exec_lo, exec_lo, s17
	v_mov_b32_e32 v115, 0
	v_mov_b32_e32 v114, 0
	s_mov_b32 s17, exec_lo
	v_cmpx_lt_u64_e64 s[6:7], v[24:25]
	s_cbranch_execz .LBB296_266
; %bb.259:                              ;   in Loop: Header=BB296_10 Depth=1
	v_lshrrev_b32_e32 v4, 24, v25
	v_bfrev_b32_e32 v114, 1
	s_mov_b32 s18, exec_lo
	v_cmpx_ne_u32_e32 0x80, v4
	s_cbranch_execz .LBB296_265
; %bb.260:                              ;   in Loop: Header=BB296_10 Depth=1
	v_and_b32_e32 v2, 0x7f, v4
	v_mov_b32_e32 v114, 0x7c010000
	s_mov_b32 s19, exec_lo
	v_cmpx_ne_u32_e32 0x7f, v2
	s_cbranch_execz .LBB296_264
; %bb.261:                              ;   in Loop: Header=BB296_10 Depth=1
	v_and_b32_e32 v0, 7, v4
	v_lshrrev_b32_e32 v1, 3, v2
	s_mov_b32 s20, exec_lo
	v_cmpx_gt_u32_e32 8, v2
; %bb.262:                              ;   in Loop: Header=BB296_10 Depth=1
	v_ffbh_u32_e32 v0, v0
	v_min_u32_e32 v2, 32, v0
	v_subrev_nc_u32_e32 v0, 28, v2
	v_lshlrev_b64 v[0:1], v0, v[4:5]
	v_sub_nc_u32_e32 v1, 29, v2
	v_and_b32_e32 v0, 7, v0
; %bb.263:                              ;   in Loop: Header=BB296_10 Depth=1
	s_or_b32 exec_lo, exec_lo, s20
	v_lshlrev_b32_e32 v2, 8, v4
	v_lshl_add_u32 v1, v1, 10, 0x2000
	v_lshlrev_b32_e32 v0, 23, v0
	v_and_or_b32 v1, 0x8000, v2, v1
	v_lshl_or_b32 v114, v1, 16, v0
.LBB296_264:                            ;   in Loop: Header=BB296_10 Depth=1
	s_or_b32 exec_lo, exec_lo, s19
.LBB296_265:                            ;   in Loop: Header=BB296_10 Depth=1
	s_or_b32 exec_lo, exec_lo, s18
.LBB296_266:                            ;   in Loop: Header=BB296_10 Depth=1
	s_or_b32 exec_lo, exec_lo, s17
	flat_load_dwordx2 v[24:25], v[16:17] offset:1024
	s_waitcnt vmcnt(0) lgkmcnt(0)
	v_cmp_ne_u16_sdwa s5, v24, v5 src0_sel:BYTE_0 src1_sel:DWORD
	s_and_saveexec_b32 s17, s5
	s_cbranch_execz .LBB296_274
; %bb.267:                              ;   in Loop: Header=BB296_10 Depth=1
	v_cmp_ne_u16_sdwa s5, v24, v37 src0_sel:BYTE_0 src1_sel:DWORD
	v_mov_b32_e32 v115, 0x8000
	s_and_saveexec_b32 s18, s5
	s_cbranch_execz .LBB296_273
; %bb.268:                              ;   in Loop: Header=BB296_10 Depth=1
	v_and_b32_e32 v2, 0x7f, v24
	v_mov_b32_e32 v115, 0x7c01
	s_mov_b32 s19, exec_lo
	v_cmpx_ne_u32_e32 0x7f, v2
	s_cbranch_execz .LBB296_272
; %bb.269:                              ;   in Loop: Header=BB296_10 Depth=1
	v_and_b32_e32 v0, 7, v24
	v_lshrrev_b32_e32 v1, 3, v2
	s_mov_b32 s20, exec_lo
	v_cmpx_gt_u32_e32 8, v2
; %bb.270:                              ;   in Loop: Header=BB296_10 Depth=1
	v_ffbh_u32_e32 v0, v0
	v_min_u32_e32 v2, 32, v0
	v_subrev_nc_u32_e32 v0, 28, v2
	v_lshlrev_b64 v[0:1], v0, v[24:25]
	v_sub_nc_u32_e32 v1, 29, v2
	v_and_b32_e32 v0, 7, v0
; %bb.271:                              ;   in Loop: Header=BB296_10 Depth=1
	s_or_b32 exec_lo, exec_lo, s20
	v_lshlrev_b32_e32 v2, 8, v24
	v_lshl_add_u32 v1, v1, 10, 0x2000
	v_lshlrev_b32_e32 v0, 7, v0
	v_and_b32_e32 v2, 0x8000, v2
	v_and_b32_e32 v1, 0xfc00, v1
	v_or3_b32 v115, v2, v1, v0
.LBB296_272:                            ;   in Loop: Header=BB296_10 Depth=1
	s_or_b32 exec_lo, exec_lo, s19
.LBB296_273:                            ;   in Loop: Header=BB296_10 Depth=1
	s_or_b32 exec_lo, exec_lo, s18
.LBB296_274:                            ;   in Loop: Header=BB296_10 Depth=1
	s_or_b32 exec_lo, exec_lo, s17
	v_lshrrev_b16 v4, 8, v24
	v_mov_b32_e32 v117, 0
	v_mov_b32_e32 v116, 0
	s_mov_b32 s17, exec_lo
	v_cmpx_ne_u16_e32 0, v4
	s_cbranch_execz .LBB296_282
; %bb.275:                              ;   in Loop: Header=BB296_10 Depth=1
	v_bfrev_b32_e32 v116, 1
	s_mov_b32 s18, exec_lo
	v_cmpx_ne_u16_e32 0x80, v4
	s_cbranch_execz .LBB296_281
; %bb.276:                              ;   in Loop: Header=BB296_10 Depth=1
	v_mov_b32_e32 v0, 0x7f
	v_mov_b32_e32 v116, 0x7c010000
	s_mov_b32 s19, exec_lo
	v_and_b32_sdwa v2, v4, v0 dst_sel:DWORD dst_unused:UNUSED_PAD src0_sel:WORD_0 src1_sel:DWORD
	v_cmpx_ne_u32_e32 0x7f, v2
	s_cbranch_execz .LBB296_280
; %bb.277:                              ;   in Loop: Header=BB296_10 Depth=1
	v_mov_b32_e32 v0, 7
	v_lshrrev_b32_e32 v1, 3, v2
	s_mov_b32 s20, exec_lo
	v_and_b32_sdwa v0, v4, v0 dst_sel:DWORD dst_unused:UNUSED_PAD src0_sel:WORD_0 src1_sel:DWORD
	v_cmpx_gt_u32_e32 8, v2
; %bb.278:                              ;   in Loop: Header=BB296_10 Depth=1
	v_ffbh_u32_e32 v0, v0
	v_min_u32_e32 v2, 32, v0
	v_subrev_nc_u32_e32 v0, 28, v2
	v_lshlrev_b64 v[0:1], v0, v[4:5]
	v_sub_nc_u32_e32 v1, 29, v2
	v_and_b32_e32 v0, 7, v0
; %bb.279:                              ;   in Loop: Header=BB296_10 Depth=1
	s_or_b32 exec_lo, exec_lo, s20
	v_mov_b32_e32 v2, 8
	v_lshl_add_u32 v1, v1, 10, 0x2000
	v_lshlrev_b32_e32 v0, 23, v0
	v_lshlrev_b32_sdwa v2, v2, v4 dst_sel:DWORD dst_unused:UNUSED_PAD src0_sel:DWORD src1_sel:WORD_0
	v_and_or_b32 v1, 0x8000, v2, v1
	v_lshl_or_b32 v116, v1, 16, v0
.LBB296_280:                            ;   in Loop: Header=BB296_10 Depth=1
	s_or_b32 exec_lo, exec_lo, s19
.LBB296_281:                            ;   in Loop: Header=BB296_10 Depth=1
	s_or_b32 exec_lo, exec_lo, s18
.LBB296_282:                            ;   in Loop: Header=BB296_10 Depth=1
	s_or_b32 exec_lo, exec_lo, s17
	v_lshrrev_b32_e32 v4, 16, v24
	v_cmp_ne_u16_sdwa s5, v4, v5 src0_sel:BYTE_0 src1_sel:DWORD
	s_and_saveexec_b32 s17, s5
	s_cbranch_execz .LBB296_290
; %bb.283:                              ;   in Loop: Header=BB296_10 Depth=1
	v_cmp_ne_u16_sdwa s5, v4, v37 src0_sel:BYTE_0 src1_sel:DWORD
	v_mov_b32_e32 v117, 0x8000
	s_and_saveexec_b32 s18, s5
	s_cbranch_execz .LBB296_289
; %bb.284:                              ;   in Loop: Header=BB296_10 Depth=1
	v_bfe_u32 v2, v24, 16, 7
	v_mov_b32_e32 v117, 0x7c01
	s_mov_b32 s19, exec_lo
	v_cmpx_ne_u32_e32 0x7f, v2
	s_cbranch_execz .LBB296_288
; %bb.285:                              ;   in Loop: Header=BB296_10 Depth=1
	v_and_b32_e32 v0, 7, v4
	v_lshrrev_b32_e32 v1, 3, v2
	s_mov_b32 s20, exec_lo
	v_cmpx_gt_u32_e32 8, v2
; %bb.286:                              ;   in Loop: Header=BB296_10 Depth=1
	v_ffbh_u32_e32 v0, v0
	v_min_u32_e32 v2, 32, v0
	v_subrev_nc_u32_e32 v0, 28, v2
	v_lshlrev_b64 v[0:1], v0, v[4:5]
	v_sub_nc_u32_e32 v1, 29, v2
	v_and_b32_e32 v0, 7, v0
; %bb.287:                              ;   in Loop: Header=BB296_10 Depth=1
	s_or_b32 exec_lo, exec_lo, s20
	v_lshlrev_b32_e32 v2, 8, v4
	v_lshl_add_u32 v1, v1, 10, 0x2000
	v_lshlrev_b32_e32 v0, 7, v0
	v_and_b32_e32 v2, 0x8000, v2
	v_and_b32_e32 v1, 0xfc00, v1
	v_or3_b32 v117, v2, v1, v0
.LBB296_288:                            ;   in Loop: Header=BB296_10 Depth=1
	s_or_b32 exec_lo, exec_lo, s19
.LBB296_289:                            ;   in Loop: Header=BB296_10 Depth=1
	s_or_b32 exec_lo, exec_lo, s18
.LBB296_290:                            ;   in Loop: Header=BB296_10 Depth=1
	s_or_b32 exec_lo, exec_lo, s17
	v_mov_b32_e32 v118, 0
	v_mov_b32_e32 v119, 0
	s_mov_b32 s17, exec_lo
	v_cmpx_lt_u32_e32 0xffffff, v24
	s_cbranch_execz .LBB296_298
; %bb.291:                              ;   in Loop: Header=BB296_10 Depth=1
	v_lshrrev_b32_e32 v4, 24, v24
	v_bfrev_b32_e32 v119, 1
	s_mov_b32 s18, exec_lo
	v_cmpx_ne_u32_e32 0x80, v4
	s_cbranch_execz .LBB296_297
; %bb.292:                              ;   in Loop: Header=BB296_10 Depth=1
	v_and_b32_e32 v2, 0x7f, v4
	v_mov_b32_e32 v119, 0x7c010000
	s_mov_b32 s19, exec_lo
	v_cmpx_ne_u32_e32 0x7f, v2
	s_cbranch_execz .LBB296_296
; %bb.293:                              ;   in Loop: Header=BB296_10 Depth=1
	v_and_b32_e32 v0, 7, v4
	v_lshrrev_b32_e32 v1, 3, v2
	s_mov_b32 s20, exec_lo
	v_cmpx_gt_u32_e32 8, v2
; %bb.294:                              ;   in Loop: Header=BB296_10 Depth=1
	v_ffbh_u32_e32 v0, v0
	v_min_u32_e32 v2, 32, v0
	v_subrev_nc_u32_e32 v0, 28, v2
	v_lshlrev_b64 v[0:1], v0, v[4:5]
	v_sub_nc_u32_e32 v1, 29, v2
	v_and_b32_e32 v0, 7, v0
; %bb.295:                              ;   in Loop: Header=BB296_10 Depth=1
	s_or_b32 exec_lo, exec_lo, s20
	v_lshlrev_b32_e32 v2, 8, v4
	v_lshl_add_u32 v1, v1, 10, 0x2000
	v_lshlrev_b32_e32 v0, 23, v0
	v_and_or_b32 v1, 0x8000, v2, v1
	v_lshl_or_b32 v119, v1, 16, v0
.LBB296_296:                            ;   in Loop: Header=BB296_10 Depth=1
	s_or_b32 exec_lo, exec_lo, s19
.LBB296_297:                            ;   in Loop: Header=BB296_10 Depth=1
	s_or_b32 exec_lo, exec_lo, s18
.LBB296_298:                            ;   in Loop: Header=BB296_10 Depth=1
	s_or_b32 exec_lo, exec_lo, s17
	v_mov_b32_e32 v4, v25
	v_cmp_ne_u16_sdwa s5, v25, v5 src0_sel:BYTE_0 src1_sel:DWORD
	s_and_saveexec_b32 s17, s5
	s_cbranch_execz .LBB296_306
; %bb.299:                              ;   in Loop: Header=BB296_10 Depth=1
	v_cmp_ne_u16_sdwa s5, v25, v37 src0_sel:BYTE_0 src1_sel:DWORD
	v_mov_b32_e32 v118, 0x8000
	s_and_saveexec_b32 s18, s5
	s_cbranch_execz .LBB296_305
; %bb.300:                              ;   in Loop: Header=BB296_10 Depth=1
	v_and_b32_e32 v2, 0x7f, v25
	v_mov_b32_e32 v118, 0x7c01
	s_mov_b32 s19, exec_lo
	v_cmpx_ne_u32_e32 0x7f, v2
	s_cbranch_execz .LBB296_304
; %bb.301:                              ;   in Loop: Header=BB296_10 Depth=1
	v_and_b32_e32 v0, 7, v25
	v_lshrrev_b32_e32 v1, 3, v2
	s_mov_b32 s20, exec_lo
	v_cmpx_gt_u32_e32 8, v2
; %bb.302:                              ;   in Loop: Header=BB296_10 Depth=1
	v_ffbh_u32_e32 v0, v0
	v_min_u32_e32 v2, 32, v0
	v_subrev_nc_u32_e32 v0, 28, v2
	v_lshlrev_b64 v[0:1], v0, v[4:5]
	v_sub_nc_u32_e32 v1, 29, v2
	v_and_b32_e32 v0, 7, v0
; %bb.303:                              ;   in Loop: Header=BB296_10 Depth=1
	s_or_b32 exec_lo, exec_lo, s20
	v_lshlrev_b32_e32 v2, 8, v25
	v_lshl_add_u32 v1, v1, 10, 0x2000
	v_lshlrev_b32_e32 v0, 7, v0
	v_and_b32_e32 v2, 0x8000, v2
	v_and_b32_e32 v1, 0xfc00, v1
	v_or3_b32 v118, v2, v1, v0
.LBB296_304:                            ;   in Loop: Header=BB296_10 Depth=1
	s_or_b32 exec_lo, exec_lo, s19
.LBB296_305:                            ;   in Loop: Header=BB296_10 Depth=1
	s_or_b32 exec_lo, exec_lo, s18
.LBB296_306:                            ;   in Loop: Header=BB296_10 Depth=1
	s_or_b32 exec_lo, exec_lo, s17
	v_lshrrev_b16 v4, 8, v4
	v_mov_b32_e32 v40, 0
	v_mov_b32_e32 v41, 0
	s_mov_b32 s17, exec_lo
	v_cmpx_ne_u16_e32 0, v4
	s_cbranch_execz .LBB296_314
; %bb.307:                              ;   in Loop: Header=BB296_10 Depth=1
	v_bfrev_b32_e32 v41, 1
	s_mov_b32 s18, exec_lo
	v_cmpx_ne_u16_e32 0x80, v4
	s_cbranch_execz .LBB296_313
; %bb.308:                              ;   in Loop: Header=BB296_10 Depth=1
	v_mov_b32_e32 v0, 0x7f
	v_mov_b32_e32 v41, 0x7c010000
	s_mov_b32 s19, exec_lo
	v_and_b32_sdwa v2, v4, v0 dst_sel:DWORD dst_unused:UNUSED_PAD src0_sel:WORD_0 src1_sel:DWORD
	v_cmpx_ne_u32_e32 0x7f, v2
	s_cbranch_execz .LBB296_312
; %bb.309:                              ;   in Loop: Header=BB296_10 Depth=1
	v_mov_b32_e32 v0, 7
	v_lshrrev_b32_e32 v1, 3, v2
	s_mov_b32 s20, exec_lo
	v_and_b32_sdwa v0, v4, v0 dst_sel:DWORD dst_unused:UNUSED_PAD src0_sel:WORD_0 src1_sel:DWORD
	v_cmpx_gt_u32_e32 8, v2
; %bb.310:                              ;   in Loop: Header=BB296_10 Depth=1
	v_ffbh_u32_e32 v0, v0
	v_min_u32_e32 v2, 32, v0
	v_subrev_nc_u32_e32 v0, 28, v2
	v_lshlrev_b64 v[0:1], v0, v[4:5]
	v_sub_nc_u32_e32 v1, 29, v2
	v_and_b32_e32 v0, 7, v0
; %bb.311:                              ;   in Loop: Header=BB296_10 Depth=1
	s_or_b32 exec_lo, exec_lo, s20
	v_mov_b32_e32 v2, 8
	v_lshl_add_u32 v1, v1, 10, 0x2000
	v_lshlrev_b32_e32 v0, 23, v0
	v_lshlrev_b32_sdwa v2, v2, v4 dst_sel:DWORD dst_unused:UNUSED_PAD src0_sel:DWORD src1_sel:WORD_0
	v_and_or_b32 v1, 0x8000, v2, v1
	v_lshl_or_b32 v41, v1, 16, v0
.LBB296_312:                            ;   in Loop: Header=BB296_10 Depth=1
	s_or_b32 exec_lo, exec_lo, s19
.LBB296_313:                            ;   in Loop: Header=BB296_10 Depth=1
	s_or_b32 exec_lo, exec_lo, s18
.LBB296_314:                            ;   in Loop: Header=BB296_10 Depth=1
	s_or_b32 exec_lo, exec_lo, s17
	v_lshrrev_b32_e32 v4, 16, v25
	v_cmp_ne_u16_sdwa s5, v4, v5 src0_sel:BYTE_0 src1_sel:DWORD
	s_and_saveexec_b32 s17, s5
	s_cbranch_execz .LBB296_322
; %bb.315:                              ;   in Loop: Header=BB296_10 Depth=1
	v_cmp_ne_u16_sdwa s5, v4, v37 src0_sel:BYTE_0 src1_sel:DWORD
	v_mov_b32_e32 v40, 0x8000
	s_and_saveexec_b32 s18, s5
	s_cbranch_execz .LBB296_321
; %bb.316:                              ;   in Loop: Header=BB296_10 Depth=1
	v_bfe_u32 v2, v25, 16, 7
	v_mov_b32_e32 v40, 0x7c01
	s_mov_b32 s19, exec_lo
	v_cmpx_ne_u32_e32 0x7f, v2
	s_cbranch_execz .LBB296_320
; %bb.317:                              ;   in Loop: Header=BB296_10 Depth=1
	v_and_b32_e32 v0, 7, v4
	v_lshrrev_b32_e32 v1, 3, v2
	s_mov_b32 s20, exec_lo
	v_cmpx_gt_u32_e32 8, v2
; %bb.318:                              ;   in Loop: Header=BB296_10 Depth=1
	v_ffbh_u32_e32 v0, v0
	v_min_u32_e32 v2, 32, v0
	v_subrev_nc_u32_e32 v0, 28, v2
	v_lshlrev_b64 v[0:1], v0, v[4:5]
	v_sub_nc_u32_e32 v1, 29, v2
	v_and_b32_e32 v0, 7, v0
; %bb.319:                              ;   in Loop: Header=BB296_10 Depth=1
	s_or_b32 exec_lo, exec_lo, s20
	v_lshlrev_b32_e32 v2, 8, v4
	v_lshl_add_u32 v1, v1, 10, 0x2000
	v_lshlrev_b32_e32 v0, 7, v0
	v_and_b32_e32 v2, 0x8000, v2
	v_and_b32_e32 v1, 0xfc00, v1
	v_or3_b32 v40, v2, v1, v0
.LBB296_320:                            ;   in Loop: Header=BB296_10 Depth=1
	s_or_b32 exec_lo, exec_lo, s19
.LBB296_321:                            ;   in Loop: Header=BB296_10 Depth=1
	s_or_b32 exec_lo, exec_lo, s18
.LBB296_322:                            ;   in Loop: Header=BB296_10 Depth=1
	s_or_b32 exec_lo, exec_lo, s17
	v_mov_b32_e32 v9, 0
	v_mov_b32_e32 v42, 0
	s_mov_b32 s17, exec_lo
	v_cmpx_lt_u64_e64 s[6:7], v[24:25]
	s_cbranch_execz .LBB296_330
; %bb.323:                              ;   in Loop: Header=BB296_10 Depth=1
	v_lshrrev_b32_e32 v4, 24, v25
	v_bfrev_b32_e32 v42, 1
	s_mov_b32 s18, exec_lo
	v_cmpx_ne_u32_e32 0x80, v4
	s_cbranch_execz .LBB296_329
; %bb.324:                              ;   in Loop: Header=BB296_10 Depth=1
	v_and_b32_e32 v2, 0x7f, v4
	v_mov_b32_e32 v42, 0x7c010000
	s_mov_b32 s19, exec_lo
	v_cmpx_ne_u32_e32 0x7f, v2
	s_cbranch_execz .LBB296_328
; %bb.325:                              ;   in Loop: Header=BB296_10 Depth=1
	v_and_b32_e32 v0, 7, v4
	v_lshrrev_b32_e32 v1, 3, v2
	s_mov_b32 s20, exec_lo
	v_cmpx_gt_u32_e32 8, v2
; %bb.326:                              ;   in Loop: Header=BB296_10 Depth=1
	v_ffbh_u32_e32 v0, v0
	v_min_u32_e32 v2, 32, v0
	v_subrev_nc_u32_e32 v0, 28, v2
	v_lshlrev_b64 v[0:1], v0, v[4:5]
	v_sub_nc_u32_e32 v1, 29, v2
	v_and_b32_e32 v0, 7, v0
; %bb.327:                              ;   in Loop: Header=BB296_10 Depth=1
	s_or_b32 exec_lo, exec_lo, s20
	v_lshlrev_b32_e32 v2, 8, v4
	v_lshl_add_u32 v1, v1, 10, 0x2000
	v_lshlrev_b32_e32 v0, 23, v0
	v_and_or_b32 v1, 0x8000, v2, v1
	v_lshl_or_b32 v42, v1, 16, v0
.LBB296_328:                            ;   in Loop: Header=BB296_10 Depth=1
	s_or_b32 exec_lo, exec_lo, s19
.LBB296_329:                            ;   in Loop: Header=BB296_10 Depth=1
	s_or_b32 exec_lo, exec_lo, s18
.LBB296_330:                            ;   in Loop: Header=BB296_10 Depth=1
	s_or_b32 exec_lo, exec_lo, s17
	flat_load_dwordx2 v[24:25], v[16:17] offset:1032
	s_waitcnt vmcnt(0) lgkmcnt(0)
	v_cmp_ne_u16_sdwa s5, v24, v5 src0_sel:BYTE_0 src1_sel:DWORD
	s_and_saveexec_b32 s17, s5
	s_cbranch_execz .LBB296_338
; %bb.331:                              ;   in Loop: Header=BB296_10 Depth=1
	v_cmp_ne_u16_sdwa s5, v24, v37 src0_sel:BYTE_0 src1_sel:DWORD
	v_mov_b32_e32 v9, 0x8000
	s_and_saveexec_b32 s18, s5
	s_cbranch_execz .LBB296_337
; %bb.332:                              ;   in Loop: Header=BB296_10 Depth=1
	v_and_b32_e32 v2, 0x7f, v24
	v_mov_b32_e32 v9, 0x7c01
	s_mov_b32 s19, exec_lo
	v_cmpx_ne_u32_e32 0x7f, v2
	s_cbranch_execz .LBB296_336
; %bb.333:                              ;   in Loop: Header=BB296_10 Depth=1
	v_and_b32_e32 v0, 7, v24
	v_lshrrev_b32_e32 v1, 3, v2
	s_mov_b32 s20, exec_lo
	v_cmpx_gt_u32_e32 8, v2
; %bb.334:                              ;   in Loop: Header=BB296_10 Depth=1
	v_ffbh_u32_e32 v0, v0
	v_min_u32_e32 v2, 32, v0
	v_subrev_nc_u32_e32 v0, 28, v2
	v_lshlrev_b64 v[0:1], v0, v[24:25]
	v_sub_nc_u32_e32 v1, 29, v2
	v_and_b32_e32 v0, 7, v0
; %bb.335:                              ;   in Loop: Header=BB296_10 Depth=1
	s_or_b32 exec_lo, exec_lo, s20
	v_lshlrev_b32_e32 v2, 8, v24
	v_lshl_add_u32 v1, v1, 10, 0x2000
	v_lshlrev_b32_e32 v0, 7, v0
	v_and_b32_e32 v2, 0x8000, v2
	v_and_b32_e32 v1, 0xfc00, v1
	v_or3_b32 v9, v2, v1, v0
.LBB296_336:                            ;   in Loop: Header=BB296_10 Depth=1
	s_or_b32 exec_lo, exec_lo, s19
.LBB296_337:                            ;   in Loop: Header=BB296_10 Depth=1
	s_or_b32 exec_lo, exec_lo, s18
.LBB296_338:                            ;   in Loop: Header=BB296_10 Depth=1
	s_or_b32 exec_lo, exec_lo, s17
	v_lshrrev_b16 v4, 8, v24
	v_mov_b32_e32 v45, 0
	v_mov_b32_e32 v10, 0
	s_mov_b32 s17, exec_lo
	v_cmpx_ne_u16_e32 0, v4
	s_cbranch_execz .LBB296_346
; %bb.339:                              ;   in Loop: Header=BB296_10 Depth=1
	v_bfrev_b32_e32 v10, 1
	s_mov_b32 s18, exec_lo
	v_cmpx_ne_u16_e32 0x80, v4
	s_cbranch_execz .LBB296_345
; %bb.340:                              ;   in Loop: Header=BB296_10 Depth=1
	v_mov_b32_e32 v0, 0x7f
	v_mov_b32_e32 v10, 0x7c010000
	s_mov_b32 s19, exec_lo
	v_and_b32_sdwa v2, v4, v0 dst_sel:DWORD dst_unused:UNUSED_PAD src0_sel:WORD_0 src1_sel:DWORD
	v_cmpx_ne_u32_e32 0x7f, v2
	s_cbranch_execz .LBB296_344
; %bb.341:                              ;   in Loop: Header=BB296_10 Depth=1
	v_mov_b32_e32 v0, 7
	v_lshrrev_b32_e32 v1, 3, v2
	s_mov_b32 s20, exec_lo
	v_and_b32_sdwa v0, v4, v0 dst_sel:DWORD dst_unused:UNUSED_PAD src0_sel:WORD_0 src1_sel:DWORD
	v_cmpx_gt_u32_e32 8, v2
; %bb.342:                              ;   in Loop: Header=BB296_10 Depth=1
	v_ffbh_u32_e32 v0, v0
	v_min_u32_e32 v2, 32, v0
	v_subrev_nc_u32_e32 v0, 28, v2
	v_lshlrev_b64 v[0:1], v0, v[4:5]
	v_sub_nc_u32_e32 v1, 29, v2
	v_and_b32_e32 v0, 7, v0
; %bb.343:                              ;   in Loop: Header=BB296_10 Depth=1
	s_or_b32 exec_lo, exec_lo, s20
	v_mov_b32_e32 v2, 8
	v_lshl_add_u32 v1, v1, 10, 0x2000
	v_lshlrev_b32_e32 v0, 23, v0
	v_lshlrev_b32_sdwa v2, v2, v4 dst_sel:DWORD dst_unused:UNUSED_PAD src0_sel:DWORD src1_sel:WORD_0
	v_and_or_b32 v1, 0x8000, v2, v1
	v_lshl_or_b32 v10, v1, 16, v0
.LBB296_344:                            ;   in Loop: Header=BB296_10 Depth=1
	s_or_b32 exec_lo, exec_lo, s19
.LBB296_345:                            ;   in Loop: Header=BB296_10 Depth=1
	s_or_b32 exec_lo, exec_lo, s18
.LBB296_346:                            ;   in Loop: Header=BB296_10 Depth=1
	s_or_b32 exec_lo, exec_lo, s17
	v_lshrrev_b32_e32 v4, 16, v24
	v_cmp_ne_u16_sdwa s5, v4, v5 src0_sel:BYTE_0 src1_sel:DWORD
	s_and_saveexec_b32 s17, s5
	s_cbranch_execz .LBB296_354
; %bb.347:                              ;   in Loop: Header=BB296_10 Depth=1
	v_cmp_ne_u16_sdwa s5, v4, v37 src0_sel:BYTE_0 src1_sel:DWORD
	v_mov_b32_e32 v45, 0x8000
	s_and_saveexec_b32 s18, s5
	s_cbranch_execz .LBB296_353
; %bb.348:                              ;   in Loop: Header=BB296_10 Depth=1
	v_bfe_u32 v2, v24, 16, 7
	v_mov_b32_e32 v45, 0x7c01
	s_mov_b32 s19, exec_lo
	v_cmpx_ne_u32_e32 0x7f, v2
	s_cbranch_execz .LBB296_352
; %bb.349:                              ;   in Loop: Header=BB296_10 Depth=1
	v_and_b32_e32 v0, 7, v4
	v_lshrrev_b32_e32 v1, 3, v2
	s_mov_b32 s20, exec_lo
	v_cmpx_gt_u32_e32 8, v2
; %bb.350:                              ;   in Loop: Header=BB296_10 Depth=1
	v_ffbh_u32_e32 v0, v0
	v_min_u32_e32 v2, 32, v0
	v_subrev_nc_u32_e32 v0, 28, v2
	v_lshlrev_b64 v[0:1], v0, v[4:5]
	v_sub_nc_u32_e32 v1, 29, v2
	v_and_b32_e32 v0, 7, v0
; %bb.351:                              ;   in Loop: Header=BB296_10 Depth=1
	s_or_b32 exec_lo, exec_lo, s20
	v_lshlrev_b32_e32 v2, 8, v4
	v_lshl_add_u32 v1, v1, 10, 0x2000
	v_lshlrev_b32_e32 v0, 7, v0
	v_and_b32_e32 v2, 0x8000, v2
	v_and_b32_e32 v1, 0xfc00, v1
	v_or3_b32 v45, v2, v1, v0
.LBB296_352:                            ;   in Loop: Header=BB296_10 Depth=1
	s_or_b32 exec_lo, exec_lo, s19
.LBB296_353:                            ;   in Loop: Header=BB296_10 Depth=1
	s_or_b32 exec_lo, exec_lo, s18
.LBB296_354:                            ;   in Loop: Header=BB296_10 Depth=1
	s_or_b32 exec_lo, exec_lo, s17
	v_mov_b32_e32 v46, 0
	v_mov_b32_e32 v47, 0
	s_mov_b32 s17, exec_lo
	v_cmpx_lt_u32_e32 0xffffff, v24
	s_cbranch_execz .LBB296_362
; %bb.355:                              ;   in Loop: Header=BB296_10 Depth=1
	v_lshrrev_b32_e32 v4, 24, v24
	v_bfrev_b32_e32 v47, 1
	s_mov_b32 s18, exec_lo
	v_cmpx_ne_u32_e32 0x80, v4
	s_cbranch_execz .LBB296_361
; %bb.356:                              ;   in Loop: Header=BB296_10 Depth=1
	v_and_b32_e32 v2, 0x7f, v4
	v_mov_b32_e32 v47, 0x7c010000
	s_mov_b32 s19, exec_lo
	v_cmpx_ne_u32_e32 0x7f, v2
	s_cbranch_execz .LBB296_360
; %bb.357:                              ;   in Loop: Header=BB296_10 Depth=1
	v_and_b32_e32 v0, 7, v4
	v_lshrrev_b32_e32 v1, 3, v2
	s_mov_b32 s20, exec_lo
	v_cmpx_gt_u32_e32 8, v2
; %bb.358:                              ;   in Loop: Header=BB296_10 Depth=1
	v_ffbh_u32_e32 v0, v0
	v_min_u32_e32 v2, 32, v0
	v_subrev_nc_u32_e32 v0, 28, v2
	v_lshlrev_b64 v[0:1], v0, v[4:5]
	v_sub_nc_u32_e32 v1, 29, v2
	v_and_b32_e32 v0, 7, v0
; %bb.359:                              ;   in Loop: Header=BB296_10 Depth=1
	s_or_b32 exec_lo, exec_lo, s20
	v_lshlrev_b32_e32 v2, 8, v4
	v_lshl_add_u32 v1, v1, 10, 0x2000
	v_lshlrev_b32_e32 v0, 23, v0
	v_and_or_b32 v1, 0x8000, v2, v1
	v_lshl_or_b32 v47, v1, 16, v0
.LBB296_360:                            ;   in Loop: Header=BB296_10 Depth=1
	s_or_b32 exec_lo, exec_lo, s19
.LBB296_361:                            ;   in Loop: Header=BB296_10 Depth=1
	s_or_b32 exec_lo, exec_lo, s18
.LBB296_362:                            ;   in Loop: Header=BB296_10 Depth=1
	s_or_b32 exec_lo, exec_lo, s17
	v_mov_b32_e32 v4, v25
	v_cmp_ne_u16_sdwa s5, v25, v5 src0_sel:BYTE_0 src1_sel:DWORD
	s_and_saveexec_b32 s17, s5
	s_cbranch_execz .LBB296_370
; %bb.363:                              ;   in Loop: Header=BB296_10 Depth=1
	v_cmp_ne_u16_sdwa s5, v25, v37 src0_sel:BYTE_0 src1_sel:DWORD
	v_mov_b32_e32 v46, 0x8000
	s_and_saveexec_b32 s18, s5
	s_cbranch_execz .LBB296_369
; %bb.364:                              ;   in Loop: Header=BB296_10 Depth=1
	v_and_b32_e32 v2, 0x7f, v25
	v_mov_b32_e32 v46, 0x7c01
	s_mov_b32 s19, exec_lo
	v_cmpx_ne_u32_e32 0x7f, v2
	s_cbranch_execz .LBB296_368
; %bb.365:                              ;   in Loop: Header=BB296_10 Depth=1
	v_and_b32_e32 v0, 7, v25
	v_lshrrev_b32_e32 v1, 3, v2
	s_mov_b32 s20, exec_lo
	v_cmpx_gt_u32_e32 8, v2
; %bb.366:                              ;   in Loop: Header=BB296_10 Depth=1
	v_ffbh_u32_e32 v0, v0
	v_min_u32_e32 v2, 32, v0
	v_subrev_nc_u32_e32 v0, 28, v2
	v_lshlrev_b64 v[0:1], v0, v[4:5]
	v_sub_nc_u32_e32 v1, 29, v2
	v_and_b32_e32 v0, 7, v0
; %bb.367:                              ;   in Loop: Header=BB296_10 Depth=1
	s_or_b32 exec_lo, exec_lo, s20
	v_lshlrev_b32_e32 v2, 8, v25
	v_lshl_add_u32 v1, v1, 10, 0x2000
	v_lshlrev_b32_e32 v0, 7, v0
	v_and_b32_e32 v2, 0x8000, v2
	v_and_b32_e32 v1, 0xfc00, v1
	v_or3_b32 v46, v2, v1, v0
.LBB296_368:                            ;   in Loop: Header=BB296_10 Depth=1
	s_or_b32 exec_lo, exec_lo, s19
.LBB296_369:                            ;   in Loop: Header=BB296_10 Depth=1
	s_or_b32 exec_lo, exec_lo, s18
.LBB296_370:                            ;   in Loop: Header=BB296_10 Depth=1
	s_or_b32 exec_lo, exec_lo, s17
	v_lshrrev_b16 v4, 8, v4
	v_mov_b32_e32 v56, 0
	v_mov_b32_e32 v57, 0
	s_mov_b32 s17, exec_lo
	v_cmpx_ne_u16_e32 0, v4
	s_cbranch_execz .LBB296_378
; %bb.371:                              ;   in Loop: Header=BB296_10 Depth=1
	v_bfrev_b32_e32 v57, 1
	s_mov_b32 s18, exec_lo
	v_cmpx_ne_u16_e32 0x80, v4
	s_cbranch_execz .LBB296_377
; %bb.372:                              ;   in Loop: Header=BB296_10 Depth=1
	v_mov_b32_e32 v0, 0x7f
	v_mov_b32_e32 v57, 0x7c010000
	s_mov_b32 s19, exec_lo
	v_and_b32_sdwa v2, v4, v0 dst_sel:DWORD dst_unused:UNUSED_PAD src0_sel:WORD_0 src1_sel:DWORD
	v_cmpx_ne_u32_e32 0x7f, v2
	s_cbranch_execz .LBB296_376
; %bb.373:                              ;   in Loop: Header=BB296_10 Depth=1
	v_mov_b32_e32 v0, 7
	v_lshrrev_b32_e32 v1, 3, v2
	s_mov_b32 s20, exec_lo
	v_and_b32_sdwa v0, v4, v0 dst_sel:DWORD dst_unused:UNUSED_PAD src0_sel:WORD_0 src1_sel:DWORD
	v_cmpx_gt_u32_e32 8, v2
; %bb.374:                              ;   in Loop: Header=BB296_10 Depth=1
	v_ffbh_u32_e32 v0, v0
	v_min_u32_e32 v2, 32, v0
	v_subrev_nc_u32_e32 v0, 28, v2
	v_lshlrev_b64 v[0:1], v0, v[4:5]
	v_sub_nc_u32_e32 v1, 29, v2
	v_and_b32_e32 v0, 7, v0
; %bb.375:                              ;   in Loop: Header=BB296_10 Depth=1
	s_or_b32 exec_lo, exec_lo, s20
	v_mov_b32_e32 v2, 8
	v_lshl_add_u32 v1, v1, 10, 0x2000
	v_lshlrev_b32_e32 v0, 23, v0
	v_lshlrev_b32_sdwa v2, v2, v4 dst_sel:DWORD dst_unused:UNUSED_PAD src0_sel:DWORD src1_sel:WORD_0
	v_and_or_b32 v1, 0x8000, v2, v1
	v_lshl_or_b32 v57, v1, 16, v0
.LBB296_376:                            ;   in Loop: Header=BB296_10 Depth=1
	s_or_b32 exec_lo, exec_lo, s19
.LBB296_377:                            ;   in Loop: Header=BB296_10 Depth=1
	s_or_b32 exec_lo, exec_lo, s18
.LBB296_378:                            ;   in Loop: Header=BB296_10 Depth=1
	s_or_b32 exec_lo, exec_lo, s17
	v_lshrrev_b32_e32 v4, 16, v25
	v_cmp_ne_u16_sdwa s5, v4, v5 src0_sel:BYTE_0 src1_sel:DWORD
	s_and_saveexec_b32 s17, s5
	s_cbranch_execz .LBB296_386
; %bb.379:                              ;   in Loop: Header=BB296_10 Depth=1
	v_cmp_ne_u16_sdwa s5, v4, v37 src0_sel:BYTE_0 src1_sel:DWORD
	v_mov_b32_e32 v56, 0x8000
	s_and_saveexec_b32 s18, s5
	s_cbranch_execz .LBB296_385
; %bb.380:                              ;   in Loop: Header=BB296_10 Depth=1
	v_bfe_u32 v2, v25, 16, 7
	v_mov_b32_e32 v56, 0x7c01
	s_mov_b32 s19, exec_lo
	v_cmpx_ne_u32_e32 0x7f, v2
	s_cbranch_execz .LBB296_384
; %bb.381:                              ;   in Loop: Header=BB296_10 Depth=1
	v_and_b32_e32 v0, 7, v4
	v_lshrrev_b32_e32 v1, 3, v2
	s_mov_b32 s20, exec_lo
	v_cmpx_gt_u32_e32 8, v2
; %bb.382:                              ;   in Loop: Header=BB296_10 Depth=1
	v_ffbh_u32_e32 v0, v0
	v_min_u32_e32 v2, 32, v0
	v_subrev_nc_u32_e32 v0, 28, v2
	v_lshlrev_b64 v[0:1], v0, v[4:5]
	v_sub_nc_u32_e32 v1, 29, v2
	v_and_b32_e32 v0, 7, v0
; %bb.383:                              ;   in Loop: Header=BB296_10 Depth=1
	s_or_b32 exec_lo, exec_lo, s20
	v_lshlrev_b32_e32 v2, 8, v4
	v_lshl_add_u32 v1, v1, 10, 0x2000
	v_lshlrev_b32_e32 v0, 7, v0
	v_and_b32_e32 v2, 0x8000, v2
	v_and_b32_e32 v1, 0xfc00, v1
	v_or3_b32 v56, v2, v1, v0
.LBB296_384:                            ;   in Loop: Header=BB296_10 Depth=1
	s_or_b32 exec_lo, exec_lo, s19
.LBB296_385:                            ;   in Loop: Header=BB296_10 Depth=1
	s_or_b32 exec_lo, exec_lo, s18
.LBB296_386:                            ;   in Loop: Header=BB296_10 Depth=1
	s_or_b32 exec_lo, exec_lo, s17
	v_mov_b32_e32 v59, 0
	v_mov_b32_e32 v58, 0
	s_mov_b32 s17, exec_lo
	v_cmpx_lt_u64_e64 s[6:7], v[24:25]
	s_cbranch_execz .LBB296_394
; %bb.387:                              ;   in Loop: Header=BB296_10 Depth=1
	v_lshrrev_b32_e32 v4, 24, v25
	v_bfrev_b32_e32 v58, 1
	s_mov_b32 s18, exec_lo
	v_cmpx_ne_u32_e32 0x80, v4
	s_cbranch_execz .LBB296_393
; %bb.388:                              ;   in Loop: Header=BB296_10 Depth=1
	v_and_b32_e32 v2, 0x7f, v4
	v_mov_b32_e32 v58, 0x7c010000
	s_mov_b32 s19, exec_lo
	v_cmpx_ne_u32_e32 0x7f, v2
	s_cbranch_execz .LBB296_392
; %bb.389:                              ;   in Loop: Header=BB296_10 Depth=1
	v_and_b32_e32 v0, 7, v4
	v_lshrrev_b32_e32 v1, 3, v2
	s_mov_b32 s20, exec_lo
	v_cmpx_gt_u32_e32 8, v2
; %bb.390:                              ;   in Loop: Header=BB296_10 Depth=1
	v_ffbh_u32_e32 v0, v0
	v_min_u32_e32 v2, 32, v0
	v_subrev_nc_u32_e32 v0, 28, v2
	v_lshlrev_b64 v[0:1], v0, v[4:5]
	v_sub_nc_u32_e32 v1, 29, v2
	v_and_b32_e32 v0, 7, v0
; %bb.391:                              ;   in Loop: Header=BB296_10 Depth=1
	s_or_b32 exec_lo, exec_lo, s20
	v_lshlrev_b32_e32 v2, 8, v4
	v_lshl_add_u32 v1, v1, 10, 0x2000
	v_lshlrev_b32_e32 v0, 23, v0
	v_and_or_b32 v1, 0x8000, v2, v1
	v_lshl_or_b32 v58, v1, 16, v0
.LBB296_392:                            ;   in Loop: Header=BB296_10 Depth=1
	s_or_b32 exec_lo, exec_lo, s19
.LBB296_393:                            ;   in Loop: Header=BB296_10 Depth=1
	s_or_b32 exec_lo, exec_lo, s18
.LBB296_394:                            ;   in Loop: Header=BB296_10 Depth=1
	s_or_b32 exec_lo, exec_lo, s17
	flat_load_dwordx2 v[24:25], v[16:17] offset:1536
	s_waitcnt vmcnt(0) lgkmcnt(0)
	v_cmp_ne_u16_sdwa s5, v24, v5 src0_sel:BYTE_0 src1_sel:DWORD
	s_and_saveexec_b32 s17, s5
	s_cbranch_execz .LBB296_402
; %bb.395:                              ;   in Loop: Header=BB296_10 Depth=1
	v_cmp_ne_u16_sdwa s5, v24, v37 src0_sel:BYTE_0 src1_sel:DWORD
	v_mov_b32_e32 v59, 0x8000
	s_and_saveexec_b32 s18, s5
	s_cbranch_execz .LBB296_401
; %bb.396:                              ;   in Loop: Header=BB296_10 Depth=1
	v_and_b32_e32 v2, 0x7f, v24
	v_mov_b32_e32 v59, 0x7c01
	s_mov_b32 s19, exec_lo
	v_cmpx_ne_u32_e32 0x7f, v2
	s_cbranch_execz .LBB296_400
; %bb.397:                              ;   in Loop: Header=BB296_10 Depth=1
	v_and_b32_e32 v0, 7, v24
	v_lshrrev_b32_e32 v1, 3, v2
	s_mov_b32 s20, exec_lo
	v_cmpx_gt_u32_e32 8, v2
; %bb.398:                              ;   in Loop: Header=BB296_10 Depth=1
	v_ffbh_u32_e32 v0, v0
	v_min_u32_e32 v2, 32, v0
	v_subrev_nc_u32_e32 v0, 28, v2
	v_lshlrev_b64 v[0:1], v0, v[24:25]
	v_sub_nc_u32_e32 v1, 29, v2
	v_and_b32_e32 v0, 7, v0
; %bb.399:                              ;   in Loop: Header=BB296_10 Depth=1
	s_or_b32 exec_lo, exec_lo, s20
	v_lshlrev_b32_e32 v2, 8, v24
	v_lshl_add_u32 v1, v1, 10, 0x2000
	v_lshlrev_b32_e32 v0, 7, v0
	v_and_b32_e32 v2, 0x8000, v2
	v_and_b32_e32 v1, 0xfc00, v1
	v_or3_b32 v59, v2, v1, v0
.LBB296_400:                            ;   in Loop: Header=BB296_10 Depth=1
	s_or_b32 exec_lo, exec_lo, s19
.LBB296_401:                            ;   in Loop: Header=BB296_10 Depth=1
	s_or_b32 exec_lo, exec_lo, s18
.LBB296_402:                            ;   in Loop: Header=BB296_10 Depth=1
	s_or_b32 exec_lo, exec_lo, s17
	v_lshrrev_b16 v4, 8, v24
	v_mov_b32_e32 v15, 0
	v_mov_b32_e32 v14, 0
	s_mov_b32 s17, exec_lo
	v_cmpx_ne_u16_e32 0, v4
	s_cbranch_execz .LBB296_410
; %bb.403:                              ;   in Loop: Header=BB296_10 Depth=1
	v_bfrev_b32_e32 v14, 1
	s_mov_b32 s18, exec_lo
	v_cmpx_ne_u16_e32 0x80, v4
	s_cbranch_execz .LBB296_409
; %bb.404:                              ;   in Loop: Header=BB296_10 Depth=1
	v_mov_b32_e32 v0, 0x7f
	v_mov_b32_e32 v14, 0x7c010000
	s_mov_b32 s19, exec_lo
	v_and_b32_sdwa v2, v4, v0 dst_sel:DWORD dst_unused:UNUSED_PAD src0_sel:WORD_0 src1_sel:DWORD
	v_cmpx_ne_u32_e32 0x7f, v2
	s_cbranch_execz .LBB296_408
; %bb.405:                              ;   in Loop: Header=BB296_10 Depth=1
	v_mov_b32_e32 v0, 7
	v_lshrrev_b32_e32 v1, 3, v2
	s_mov_b32 s20, exec_lo
	v_and_b32_sdwa v0, v4, v0 dst_sel:DWORD dst_unused:UNUSED_PAD src0_sel:WORD_0 src1_sel:DWORD
	v_cmpx_gt_u32_e32 8, v2
; %bb.406:                              ;   in Loop: Header=BB296_10 Depth=1
	v_ffbh_u32_e32 v0, v0
	v_min_u32_e32 v2, 32, v0
	v_subrev_nc_u32_e32 v0, 28, v2
	v_lshlrev_b64 v[0:1], v0, v[4:5]
	v_sub_nc_u32_e32 v1, 29, v2
	v_and_b32_e32 v0, 7, v0
; %bb.407:                              ;   in Loop: Header=BB296_10 Depth=1
	s_or_b32 exec_lo, exec_lo, s20
	v_mov_b32_e32 v2, 8
	v_lshl_add_u32 v1, v1, 10, 0x2000
	v_lshlrev_b32_e32 v0, 23, v0
	v_lshlrev_b32_sdwa v2, v2, v4 dst_sel:DWORD dst_unused:UNUSED_PAD src0_sel:DWORD src1_sel:WORD_0
	v_and_or_b32 v1, 0x8000, v2, v1
	v_lshl_or_b32 v14, v1, 16, v0
.LBB296_408:                            ;   in Loop: Header=BB296_10 Depth=1
	s_or_b32 exec_lo, exec_lo, s19
.LBB296_409:                            ;   in Loop: Header=BB296_10 Depth=1
	s_or_b32 exec_lo, exec_lo, s18
.LBB296_410:                            ;   in Loop: Header=BB296_10 Depth=1
	s_or_b32 exec_lo, exec_lo, s17
	v_lshrrev_b32_e32 v4, 16, v24
	v_cmp_ne_u16_sdwa s5, v4, v5 src0_sel:BYTE_0 src1_sel:DWORD
	s_and_saveexec_b32 s17, s5
	s_cbranch_execz .LBB296_418
; %bb.411:                              ;   in Loop: Header=BB296_10 Depth=1
	v_cmp_ne_u16_sdwa s5, v4, v37 src0_sel:BYTE_0 src1_sel:DWORD
	v_mov_b32_e32 v15, 0x8000
	s_and_saveexec_b32 s18, s5
	s_cbranch_execz .LBB296_417
; %bb.412:                              ;   in Loop: Header=BB296_10 Depth=1
	v_bfe_u32 v2, v24, 16, 7
	v_mov_b32_e32 v15, 0x7c01
	s_mov_b32 s19, exec_lo
	v_cmpx_ne_u32_e32 0x7f, v2
	s_cbranch_execz .LBB296_416
; %bb.413:                              ;   in Loop: Header=BB296_10 Depth=1
	v_and_b32_e32 v0, 7, v4
	v_lshrrev_b32_e32 v1, 3, v2
	s_mov_b32 s20, exec_lo
	v_cmpx_gt_u32_e32 8, v2
; %bb.414:                              ;   in Loop: Header=BB296_10 Depth=1
	v_ffbh_u32_e32 v0, v0
	v_min_u32_e32 v2, 32, v0
	v_subrev_nc_u32_e32 v0, 28, v2
	v_lshlrev_b64 v[0:1], v0, v[4:5]
	v_sub_nc_u32_e32 v1, 29, v2
	v_and_b32_e32 v0, 7, v0
; %bb.415:                              ;   in Loop: Header=BB296_10 Depth=1
	s_or_b32 exec_lo, exec_lo, s20
	v_lshlrev_b32_e32 v2, 8, v4
	v_lshl_add_u32 v1, v1, 10, 0x2000
	v_lshlrev_b32_e32 v0, 7, v0
	v_and_b32_e32 v2, 0x8000, v2
	v_and_b32_e32 v1, 0xfc00, v1
	v_or3_b32 v15, v2, v1, v0
.LBB296_416:                            ;   in Loop: Header=BB296_10 Depth=1
	s_or_b32 exec_lo, exec_lo, s19
.LBB296_417:                            ;   in Loop: Header=BB296_10 Depth=1
	s_or_b32 exec_lo, exec_lo, s18
.LBB296_418:                            ;   in Loop: Header=BB296_10 Depth=1
	s_or_b32 exec_lo, exec_lo, s17
	v_mov_b32_e32 v75, 0
	v_mov_b32_e32 v77, 0
	s_mov_b32 s17, exec_lo
	v_cmpx_lt_u32_e32 0xffffff, v24
	s_cbranch_execz .LBB296_426
; %bb.419:                              ;   in Loop: Header=BB296_10 Depth=1
	v_lshrrev_b32_e32 v4, 24, v24
	v_bfrev_b32_e32 v77, 1
	s_mov_b32 s18, exec_lo
	v_cmpx_ne_u32_e32 0x80, v4
	s_cbranch_execz .LBB296_425
; %bb.420:                              ;   in Loop: Header=BB296_10 Depth=1
	v_and_b32_e32 v2, 0x7f, v4
	v_mov_b32_e32 v77, 0x7c010000
	s_mov_b32 s19, exec_lo
	v_cmpx_ne_u32_e32 0x7f, v2
	s_cbranch_execz .LBB296_424
; %bb.421:                              ;   in Loop: Header=BB296_10 Depth=1
	v_and_b32_e32 v0, 7, v4
	v_lshrrev_b32_e32 v1, 3, v2
	s_mov_b32 s20, exec_lo
	v_cmpx_gt_u32_e32 8, v2
; %bb.422:                              ;   in Loop: Header=BB296_10 Depth=1
	v_ffbh_u32_e32 v0, v0
	v_min_u32_e32 v2, 32, v0
	v_subrev_nc_u32_e32 v0, 28, v2
	v_lshlrev_b64 v[0:1], v0, v[4:5]
	v_sub_nc_u32_e32 v1, 29, v2
	v_and_b32_e32 v0, 7, v0
; %bb.423:                              ;   in Loop: Header=BB296_10 Depth=1
	s_or_b32 exec_lo, exec_lo, s20
	v_lshlrev_b32_e32 v2, 8, v4
	v_lshl_add_u32 v1, v1, 10, 0x2000
	v_lshlrev_b32_e32 v0, 23, v0
	v_and_or_b32 v1, 0x8000, v2, v1
	v_lshl_or_b32 v77, v1, 16, v0
.LBB296_424:                            ;   in Loop: Header=BB296_10 Depth=1
	s_or_b32 exec_lo, exec_lo, s19
.LBB296_425:                            ;   in Loop: Header=BB296_10 Depth=1
	s_or_b32 exec_lo, exec_lo, s18
.LBB296_426:                            ;   in Loop: Header=BB296_10 Depth=1
	s_or_b32 exec_lo, exec_lo, s17
	v_mov_b32_e32 v4, v25
	v_cmp_ne_u16_sdwa s5, v25, v5 src0_sel:BYTE_0 src1_sel:DWORD
	s_and_saveexec_b32 s17, s5
	s_cbranch_execz .LBB296_434
; %bb.427:                              ;   in Loop: Header=BB296_10 Depth=1
	v_cmp_ne_u16_sdwa s5, v25, v37 src0_sel:BYTE_0 src1_sel:DWORD
	v_mov_b32_e32 v75, 0x8000
	s_and_saveexec_b32 s18, s5
	s_cbranch_execz .LBB296_433
; %bb.428:                              ;   in Loop: Header=BB296_10 Depth=1
	v_and_b32_e32 v2, 0x7f, v25
	v_mov_b32_e32 v75, 0x7c01
	s_mov_b32 s19, exec_lo
	v_cmpx_ne_u32_e32 0x7f, v2
	s_cbranch_execz .LBB296_432
; %bb.429:                              ;   in Loop: Header=BB296_10 Depth=1
	v_and_b32_e32 v0, 7, v25
	v_lshrrev_b32_e32 v1, 3, v2
	s_mov_b32 s20, exec_lo
	v_cmpx_gt_u32_e32 8, v2
; %bb.430:                              ;   in Loop: Header=BB296_10 Depth=1
	v_ffbh_u32_e32 v0, v0
	v_min_u32_e32 v2, 32, v0
	v_subrev_nc_u32_e32 v0, 28, v2
	v_lshlrev_b64 v[0:1], v0, v[4:5]
	v_sub_nc_u32_e32 v1, 29, v2
	v_and_b32_e32 v0, 7, v0
; %bb.431:                              ;   in Loop: Header=BB296_10 Depth=1
	s_or_b32 exec_lo, exec_lo, s20
	v_lshlrev_b32_e32 v2, 8, v25
	v_lshl_add_u32 v1, v1, 10, 0x2000
	v_lshlrev_b32_e32 v0, 7, v0
	v_and_b32_e32 v2, 0x8000, v2
	v_and_b32_e32 v1, 0xfc00, v1
	v_or3_b32 v75, v2, v1, v0
.LBB296_432:                            ;   in Loop: Header=BB296_10 Depth=1
	s_or_b32 exec_lo, exec_lo, s19
.LBB296_433:                            ;   in Loop: Header=BB296_10 Depth=1
	s_or_b32 exec_lo, exec_lo, s18
.LBB296_434:                            ;   in Loop: Header=BB296_10 Depth=1
	s_or_b32 exec_lo, exec_lo, s17
	v_lshrrev_b16 v4, 8, v4
	v_mov_b32_e32 v88, 0
	v_mov_b32_e32 v89, 0
	s_mov_b32 s17, exec_lo
	v_cmpx_ne_u16_e32 0, v4
	s_cbranch_execz .LBB296_442
; %bb.435:                              ;   in Loop: Header=BB296_10 Depth=1
	v_bfrev_b32_e32 v89, 1
	s_mov_b32 s18, exec_lo
	v_cmpx_ne_u16_e32 0x80, v4
	s_cbranch_execz .LBB296_441
; %bb.436:                              ;   in Loop: Header=BB296_10 Depth=1
	v_mov_b32_e32 v0, 0x7f
	v_mov_b32_e32 v89, 0x7c010000
	s_mov_b32 s19, exec_lo
	v_and_b32_sdwa v2, v4, v0 dst_sel:DWORD dst_unused:UNUSED_PAD src0_sel:WORD_0 src1_sel:DWORD
	v_cmpx_ne_u32_e32 0x7f, v2
	s_cbranch_execz .LBB296_440
; %bb.437:                              ;   in Loop: Header=BB296_10 Depth=1
	v_mov_b32_e32 v0, 7
	v_lshrrev_b32_e32 v1, 3, v2
	s_mov_b32 s20, exec_lo
	v_and_b32_sdwa v0, v4, v0 dst_sel:DWORD dst_unused:UNUSED_PAD src0_sel:WORD_0 src1_sel:DWORD
	v_cmpx_gt_u32_e32 8, v2
; %bb.438:                              ;   in Loop: Header=BB296_10 Depth=1
	v_ffbh_u32_e32 v0, v0
	v_min_u32_e32 v2, 32, v0
	v_subrev_nc_u32_e32 v0, 28, v2
	v_lshlrev_b64 v[0:1], v0, v[4:5]
	v_sub_nc_u32_e32 v1, 29, v2
	v_and_b32_e32 v0, 7, v0
; %bb.439:                              ;   in Loop: Header=BB296_10 Depth=1
	s_or_b32 exec_lo, exec_lo, s20
	v_mov_b32_e32 v2, 8
	v_lshl_add_u32 v1, v1, 10, 0x2000
	v_lshlrev_b32_e32 v0, 23, v0
	v_lshlrev_b32_sdwa v2, v2, v4 dst_sel:DWORD dst_unused:UNUSED_PAD src0_sel:DWORD src1_sel:WORD_0
	v_and_or_b32 v1, 0x8000, v2, v1
	v_lshl_or_b32 v89, v1, 16, v0
.LBB296_440:                            ;   in Loop: Header=BB296_10 Depth=1
	s_or_b32 exec_lo, exec_lo, s19
.LBB296_441:                            ;   in Loop: Header=BB296_10 Depth=1
	s_or_b32 exec_lo, exec_lo, s18
.LBB296_442:                            ;   in Loop: Header=BB296_10 Depth=1
	s_or_b32 exec_lo, exec_lo, s17
	v_lshrrev_b32_e32 v4, 16, v25
	v_cmp_ne_u16_sdwa s5, v4, v5 src0_sel:BYTE_0 src1_sel:DWORD
	s_and_saveexec_b32 s17, s5
	s_cbranch_execz .LBB296_450
; %bb.443:                              ;   in Loop: Header=BB296_10 Depth=1
	v_cmp_ne_u16_sdwa s5, v4, v37 src0_sel:BYTE_0 src1_sel:DWORD
	v_mov_b32_e32 v88, 0x8000
	s_and_saveexec_b32 s18, s5
	s_cbranch_execz .LBB296_449
; %bb.444:                              ;   in Loop: Header=BB296_10 Depth=1
	v_bfe_u32 v2, v25, 16, 7
	v_mov_b32_e32 v88, 0x7c01
	s_mov_b32 s19, exec_lo
	v_cmpx_ne_u32_e32 0x7f, v2
	s_cbranch_execz .LBB296_448
; %bb.445:                              ;   in Loop: Header=BB296_10 Depth=1
	v_and_b32_e32 v0, 7, v4
	v_lshrrev_b32_e32 v1, 3, v2
	s_mov_b32 s20, exec_lo
	v_cmpx_gt_u32_e32 8, v2
; %bb.446:                              ;   in Loop: Header=BB296_10 Depth=1
	v_ffbh_u32_e32 v0, v0
	v_min_u32_e32 v2, 32, v0
	v_subrev_nc_u32_e32 v0, 28, v2
	v_lshlrev_b64 v[0:1], v0, v[4:5]
	v_sub_nc_u32_e32 v1, 29, v2
	v_and_b32_e32 v0, 7, v0
; %bb.447:                              ;   in Loop: Header=BB296_10 Depth=1
	s_or_b32 exec_lo, exec_lo, s20
	v_lshlrev_b32_e32 v2, 8, v4
	v_lshl_add_u32 v1, v1, 10, 0x2000
	v_lshlrev_b32_e32 v0, 7, v0
	v_and_b32_e32 v2, 0x8000, v2
	v_and_b32_e32 v1, 0xfc00, v1
	v_or3_b32 v88, v2, v1, v0
.LBB296_448:                            ;   in Loop: Header=BB296_10 Depth=1
	s_or_b32 exec_lo, exec_lo, s19
.LBB296_449:                            ;   in Loop: Header=BB296_10 Depth=1
	s_or_b32 exec_lo, exec_lo, s18
.LBB296_450:                            ;   in Loop: Header=BB296_10 Depth=1
	s_or_b32 exec_lo, exec_lo, s17
	v_mov_b32_e32 v69, 0
	v_mov_b32_e32 v92, 0
	s_mov_b32 s17, exec_lo
	v_cmpx_lt_u64_e64 s[6:7], v[24:25]
	s_cbranch_execz .LBB296_458
; %bb.451:                              ;   in Loop: Header=BB296_10 Depth=1
	v_lshrrev_b32_e32 v4, 24, v25
	v_bfrev_b32_e32 v92, 1
	s_mov_b32 s18, exec_lo
	v_cmpx_ne_u32_e32 0x80, v4
	s_cbranch_execz .LBB296_457
; %bb.452:                              ;   in Loop: Header=BB296_10 Depth=1
	v_and_b32_e32 v2, 0x7f, v4
	v_mov_b32_e32 v92, 0x7c010000
	s_mov_b32 s19, exec_lo
	v_cmpx_ne_u32_e32 0x7f, v2
	s_cbranch_execz .LBB296_456
; %bb.453:                              ;   in Loop: Header=BB296_10 Depth=1
	v_and_b32_e32 v0, 7, v4
	v_lshrrev_b32_e32 v1, 3, v2
	s_mov_b32 s20, exec_lo
	v_cmpx_gt_u32_e32 8, v2
; %bb.454:                              ;   in Loop: Header=BB296_10 Depth=1
	v_ffbh_u32_e32 v0, v0
	v_min_u32_e32 v2, 32, v0
	v_subrev_nc_u32_e32 v0, 28, v2
	v_lshlrev_b64 v[0:1], v0, v[4:5]
	v_sub_nc_u32_e32 v1, 29, v2
	v_and_b32_e32 v0, 7, v0
; %bb.455:                              ;   in Loop: Header=BB296_10 Depth=1
	s_or_b32 exec_lo, exec_lo, s20
	v_lshlrev_b32_e32 v2, 8, v4
	v_lshl_add_u32 v1, v1, 10, 0x2000
	v_lshlrev_b32_e32 v0, 23, v0
	v_and_or_b32 v1, 0x8000, v2, v1
	v_lshl_or_b32 v92, v1, 16, v0
.LBB296_456:                            ;   in Loop: Header=BB296_10 Depth=1
	s_or_b32 exec_lo, exec_lo, s19
.LBB296_457:                            ;   in Loop: Header=BB296_10 Depth=1
	s_or_b32 exec_lo, exec_lo, s18
.LBB296_458:                            ;   in Loop: Header=BB296_10 Depth=1
	s_or_b32 exec_lo, exec_lo, s17
	flat_load_dwordx2 v[24:25], v[16:17] offset:1544
	s_waitcnt vmcnt(0) lgkmcnt(0)
	v_cmp_ne_u16_sdwa s5, v24, v5 src0_sel:BYTE_0 src1_sel:DWORD
	s_and_saveexec_b32 s17, s5
	s_cbranch_execz .LBB296_466
; %bb.459:                              ;   in Loop: Header=BB296_10 Depth=1
	v_cmp_ne_u16_sdwa s5, v24, v37 src0_sel:BYTE_0 src1_sel:DWORD
	v_mov_b32_e32 v69, 0x8000
	s_and_saveexec_b32 s18, s5
	s_cbranch_execz .LBB296_465
; %bb.460:                              ;   in Loop: Header=BB296_10 Depth=1
	v_and_b32_e32 v2, 0x7f, v24
	v_mov_b32_e32 v69, 0x7c01
	s_mov_b32 s19, exec_lo
	v_cmpx_ne_u32_e32 0x7f, v2
	s_cbranch_execz .LBB296_464
; %bb.461:                              ;   in Loop: Header=BB296_10 Depth=1
	v_and_b32_e32 v0, 7, v24
	v_lshrrev_b32_e32 v1, 3, v2
	s_mov_b32 s20, exec_lo
	v_cmpx_gt_u32_e32 8, v2
; %bb.462:                              ;   in Loop: Header=BB296_10 Depth=1
	v_ffbh_u32_e32 v0, v0
	v_min_u32_e32 v2, 32, v0
	v_subrev_nc_u32_e32 v0, 28, v2
	v_lshlrev_b64 v[0:1], v0, v[24:25]
	v_sub_nc_u32_e32 v1, 29, v2
	v_and_b32_e32 v0, 7, v0
; %bb.463:                              ;   in Loop: Header=BB296_10 Depth=1
	s_or_b32 exec_lo, exec_lo, s20
	v_lshlrev_b32_e32 v2, 8, v24
	v_lshl_add_u32 v1, v1, 10, 0x2000
	v_lshlrev_b32_e32 v0, 7, v0
	v_and_b32_e32 v2, 0x8000, v2
	v_and_b32_e32 v1, 0xfc00, v1
	v_or3_b32 v69, v2, v1, v0
.LBB296_464:                            ;   in Loop: Header=BB296_10 Depth=1
	s_or_b32 exec_lo, exec_lo, s19
.LBB296_465:                            ;   in Loop: Header=BB296_10 Depth=1
	s_or_b32 exec_lo, exec_lo, s18
.LBB296_466:                            ;   in Loop: Header=BB296_10 Depth=1
	s_or_b32 exec_lo, exec_lo, s17
	v_lshrrev_b16 v4, 8, v24
	v_mov_b32_e32 v36, 0
	v_mov_b32_e32 v94, 0
	s_mov_b32 s17, exec_lo
	v_cmpx_ne_u16_e32 0, v4
	s_cbranch_execz .LBB296_474
; %bb.467:                              ;   in Loop: Header=BB296_10 Depth=1
	v_bfrev_b32_e32 v94, 1
	s_mov_b32 s18, exec_lo
	v_cmpx_ne_u16_e32 0x80, v4
	s_cbranch_execz .LBB296_473
; %bb.468:                              ;   in Loop: Header=BB296_10 Depth=1
	v_mov_b32_e32 v0, 0x7f
	v_mov_b32_e32 v94, 0x7c010000
	s_mov_b32 s19, exec_lo
	v_and_b32_sdwa v2, v4, v0 dst_sel:DWORD dst_unused:UNUSED_PAD src0_sel:WORD_0 src1_sel:DWORD
	v_cmpx_ne_u32_e32 0x7f, v2
	s_cbranch_execz .LBB296_472
; %bb.469:                              ;   in Loop: Header=BB296_10 Depth=1
	v_mov_b32_e32 v0, 7
	v_lshrrev_b32_e32 v1, 3, v2
	s_mov_b32 s20, exec_lo
	v_and_b32_sdwa v0, v4, v0 dst_sel:DWORD dst_unused:UNUSED_PAD src0_sel:WORD_0 src1_sel:DWORD
	v_cmpx_gt_u32_e32 8, v2
; %bb.470:                              ;   in Loop: Header=BB296_10 Depth=1
	v_ffbh_u32_e32 v0, v0
	v_min_u32_e32 v2, 32, v0
	v_subrev_nc_u32_e32 v0, 28, v2
	v_lshlrev_b64 v[0:1], v0, v[4:5]
	v_sub_nc_u32_e32 v1, 29, v2
	v_and_b32_e32 v0, 7, v0
; %bb.471:                              ;   in Loop: Header=BB296_10 Depth=1
	s_or_b32 exec_lo, exec_lo, s20
	v_mov_b32_e32 v2, 8
	v_lshl_add_u32 v1, v1, 10, 0x2000
	v_lshlrev_b32_e32 v0, 23, v0
	v_lshlrev_b32_sdwa v2, v2, v4 dst_sel:DWORD dst_unused:UNUSED_PAD src0_sel:DWORD src1_sel:WORD_0
	v_and_or_b32 v1, 0x8000, v2, v1
	v_lshl_or_b32 v94, v1, 16, v0
.LBB296_472:                            ;   in Loop: Header=BB296_10 Depth=1
	s_or_b32 exec_lo, exec_lo, s19
.LBB296_473:                            ;   in Loop: Header=BB296_10 Depth=1
	s_or_b32 exec_lo, exec_lo, s18
.LBB296_474:                            ;   in Loop: Header=BB296_10 Depth=1
	s_or_b32 exec_lo, exec_lo, s17
	v_lshrrev_b32_e32 v4, 16, v24
	v_cmp_ne_u16_sdwa s5, v4, v5 src0_sel:BYTE_0 src1_sel:DWORD
	s_and_saveexec_b32 s17, s5
	s_cbranch_execz .LBB296_482
; %bb.475:                              ;   in Loop: Header=BB296_10 Depth=1
	v_cmp_ne_u16_sdwa s5, v4, v37 src0_sel:BYTE_0 src1_sel:DWORD
	v_mov_b32_e32 v36, 0x8000
	s_and_saveexec_b32 s18, s5
	s_cbranch_execz .LBB296_481
; %bb.476:                              ;   in Loop: Header=BB296_10 Depth=1
	v_bfe_u32 v2, v24, 16, 7
	v_mov_b32_e32 v36, 0x7c01
	s_mov_b32 s19, exec_lo
	v_cmpx_ne_u32_e32 0x7f, v2
	s_cbranch_execz .LBB296_480
; %bb.477:                              ;   in Loop: Header=BB296_10 Depth=1
	v_and_b32_e32 v0, 7, v4
	v_lshrrev_b32_e32 v1, 3, v2
	s_mov_b32 s20, exec_lo
	v_cmpx_gt_u32_e32 8, v2
; %bb.478:                              ;   in Loop: Header=BB296_10 Depth=1
	v_ffbh_u32_e32 v0, v0
	v_min_u32_e32 v2, 32, v0
	v_subrev_nc_u32_e32 v0, 28, v2
	v_lshlrev_b64 v[0:1], v0, v[4:5]
	v_sub_nc_u32_e32 v1, 29, v2
	v_and_b32_e32 v0, 7, v0
; %bb.479:                              ;   in Loop: Header=BB296_10 Depth=1
	s_or_b32 exec_lo, exec_lo, s20
	v_lshlrev_b32_e32 v2, 8, v4
	v_lshl_add_u32 v1, v1, 10, 0x2000
	v_lshlrev_b32_e32 v0, 7, v0
	v_and_b32_e32 v2, 0x8000, v2
	v_and_b32_e32 v1, 0xfc00, v1
	v_or3_b32 v36, v2, v1, v0
.LBB296_480:                            ;   in Loop: Header=BB296_10 Depth=1
	s_or_b32 exec_lo, exec_lo, s19
.LBB296_481:                            ;   in Loop: Header=BB296_10 Depth=1
	s_or_b32 exec_lo, exec_lo, s18
.LBB296_482:                            ;   in Loop: Header=BB296_10 Depth=1
	s_or_b32 exec_lo, exec_lo, s17
	v_mov_b32_e32 v108, 0
	v_mov_b32_e32 v110, 0
	s_mov_b32 s17, exec_lo
	v_cmpx_lt_u32_e32 0xffffff, v24
	s_cbranch_execz .LBB296_490
; %bb.483:                              ;   in Loop: Header=BB296_10 Depth=1
	v_lshrrev_b32_e32 v4, 24, v24
	v_bfrev_b32_e32 v110, 1
	s_mov_b32 s18, exec_lo
	v_cmpx_ne_u32_e32 0x80, v4
	s_cbranch_execz .LBB296_489
; %bb.484:                              ;   in Loop: Header=BB296_10 Depth=1
	v_and_b32_e32 v2, 0x7f, v4
	v_mov_b32_e32 v110, 0x7c010000
	s_mov_b32 s19, exec_lo
	v_cmpx_ne_u32_e32 0x7f, v2
	s_cbranch_execz .LBB296_488
; %bb.485:                              ;   in Loop: Header=BB296_10 Depth=1
	v_and_b32_e32 v0, 7, v4
	v_lshrrev_b32_e32 v1, 3, v2
	s_mov_b32 s20, exec_lo
	v_cmpx_gt_u32_e32 8, v2
; %bb.486:                              ;   in Loop: Header=BB296_10 Depth=1
	v_ffbh_u32_e32 v0, v0
	v_min_u32_e32 v2, 32, v0
	v_subrev_nc_u32_e32 v0, 28, v2
	v_lshlrev_b64 v[0:1], v0, v[4:5]
	v_sub_nc_u32_e32 v1, 29, v2
	v_and_b32_e32 v0, 7, v0
; %bb.487:                              ;   in Loop: Header=BB296_10 Depth=1
	s_or_b32 exec_lo, exec_lo, s20
	v_lshlrev_b32_e32 v2, 8, v4
	v_lshl_add_u32 v1, v1, 10, 0x2000
	v_lshlrev_b32_e32 v0, 23, v0
	v_and_or_b32 v1, 0x8000, v2, v1
	v_lshl_or_b32 v110, v1, 16, v0
.LBB296_488:                            ;   in Loop: Header=BB296_10 Depth=1
	s_or_b32 exec_lo, exec_lo, s19
.LBB296_489:                            ;   in Loop: Header=BB296_10 Depth=1
	s_or_b32 exec_lo, exec_lo, s18
.LBB296_490:                            ;   in Loop: Header=BB296_10 Depth=1
	s_or_b32 exec_lo, exec_lo, s17
	v_mov_b32_e32 v4, v25
	v_cmp_ne_u16_sdwa s5, v25, v5 src0_sel:BYTE_0 src1_sel:DWORD
	s_and_saveexec_b32 s17, s5
	s_cbranch_execz .LBB296_498
; %bb.491:                              ;   in Loop: Header=BB296_10 Depth=1
	v_cmp_ne_u16_sdwa s5, v25, v37 src0_sel:BYTE_0 src1_sel:DWORD
	v_mov_b32_e32 v108, 0x8000
	s_and_saveexec_b32 s18, s5
	s_cbranch_execz .LBB296_497
; %bb.492:                              ;   in Loop: Header=BB296_10 Depth=1
	v_and_b32_e32 v2, 0x7f, v25
	v_mov_b32_e32 v108, 0x7c01
	s_mov_b32 s19, exec_lo
	v_cmpx_ne_u32_e32 0x7f, v2
	s_cbranch_execz .LBB296_496
; %bb.493:                              ;   in Loop: Header=BB296_10 Depth=1
	v_and_b32_e32 v0, 7, v25
	v_lshrrev_b32_e32 v1, 3, v2
	s_mov_b32 s20, exec_lo
	v_cmpx_gt_u32_e32 8, v2
; %bb.494:                              ;   in Loop: Header=BB296_10 Depth=1
	v_ffbh_u32_e32 v0, v0
	v_min_u32_e32 v2, 32, v0
	v_subrev_nc_u32_e32 v0, 28, v2
	v_lshlrev_b64 v[0:1], v0, v[4:5]
	v_sub_nc_u32_e32 v1, 29, v2
	v_and_b32_e32 v0, 7, v0
; %bb.495:                              ;   in Loop: Header=BB296_10 Depth=1
	s_or_b32 exec_lo, exec_lo, s20
	v_lshlrev_b32_e32 v2, 8, v25
	v_lshl_add_u32 v1, v1, 10, 0x2000
	v_lshlrev_b32_e32 v0, 7, v0
	v_and_b32_e32 v2, 0x8000, v2
	v_and_b32_e32 v1, 0xfc00, v1
	v_or3_b32 v108, v2, v1, v0
.LBB296_496:                            ;   in Loop: Header=BB296_10 Depth=1
	s_or_b32 exec_lo, exec_lo, s19
.LBB296_497:                            ;   in Loop: Header=BB296_10 Depth=1
	s_or_b32 exec_lo, exec_lo, s18
.LBB296_498:                            ;   in Loop: Header=BB296_10 Depth=1
	s_or_b32 exec_lo, exec_lo, s17
	v_lshrrev_b16 v4, 8, v4
	v_mov_b32_e32 v122, 0
	v_mov_b32_e32 v123, 0
	s_mov_b32 s17, exec_lo
	v_cmpx_ne_u16_e32 0, v4
	s_cbranch_execz .LBB296_506
; %bb.499:                              ;   in Loop: Header=BB296_10 Depth=1
	v_bfrev_b32_e32 v123, 1
	s_mov_b32 s18, exec_lo
	v_cmpx_ne_u16_e32 0x80, v4
	s_cbranch_execz .LBB296_505
; %bb.500:                              ;   in Loop: Header=BB296_10 Depth=1
	v_mov_b32_e32 v0, 0x7f
	v_mov_b32_e32 v123, 0x7c010000
	s_mov_b32 s19, exec_lo
	v_and_b32_sdwa v2, v4, v0 dst_sel:DWORD dst_unused:UNUSED_PAD src0_sel:WORD_0 src1_sel:DWORD
	v_cmpx_ne_u32_e32 0x7f, v2
	s_cbranch_execz .LBB296_504
; %bb.501:                              ;   in Loop: Header=BB296_10 Depth=1
	v_mov_b32_e32 v0, 7
	v_lshrrev_b32_e32 v1, 3, v2
	s_mov_b32 s20, exec_lo
	v_and_b32_sdwa v0, v4, v0 dst_sel:DWORD dst_unused:UNUSED_PAD src0_sel:WORD_0 src1_sel:DWORD
	v_cmpx_gt_u32_e32 8, v2
; %bb.502:                              ;   in Loop: Header=BB296_10 Depth=1
	v_ffbh_u32_e32 v0, v0
	v_min_u32_e32 v2, 32, v0
	v_subrev_nc_u32_e32 v0, 28, v2
	v_lshlrev_b64 v[0:1], v0, v[4:5]
	v_sub_nc_u32_e32 v1, 29, v2
	v_and_b32_e32 v0, 7, v0
; %bb.503:                              ;   in Loop: Header=BB296_10 Depth=1
	s_or_b32 exec_lo, exec_lo, s20
	v_mov_b32_e32 v2, 8
	v_lshl_add_u32 v1, v1, 10, 0x2000
	v_lshlrev_b32_e32 v0, 23, v0
	v_lshlrev_b32_sdwa v2, v2, v4 dst_sel:DWORD dst_unused:UNUSED_PAD src0_sel:DWORD src1_sel:WORD_0
	v_and_or_b32 v1, 0x8000, v2, v1
	v_lshl_or_b32 v123, v1, 16, v0
.LBB296_504:                            ;   in Loop: Header=BB296_10 Depth=1
	s_or_b32 exec_lo, exec_lo, s19
.LBB296_505:                            ;   in Loop: Header=BB296_10 Depth=1
	s_or_b32 exec_lo, exec_lo, s18
.LBB296_506:                            ;   in Loop: Header=BB296_10 Depth=1
	s_or_b32 exec_lo, exec_lo, s17
	v_lshrrev_b32_e32 v4, 16, v25
	v_cmp_ne_u16_sdwa s5, v4, v5 src0_sel:BYTE_0 src1_sel:DWORD
	s_and_saveexec_b32 s17, s5
	s_cbranch_execz .LBB296_514
; %bb.507:                              ;   in Loop: Header=BB296_10 Depth=1
	v_cmp_ne_u16_sdwa s5, v4, v37 src0_sel:BYTE_0 src1_sel:DWORD
	v_mov_b32_e32 v122, 0x8000
	s_and_saveexec_b32 s18, s5
	s_cbranch_execz .LBB296_513
; %bb.508:                              ;   in Loop: Header=BB296_10 Depth=1
	v_bfe_u32 v2, v25, 16, 7
	v_mov_b32_e32 v122, 0x7c01
	s_mov_b32 s19, exec_lo
	v_cmpx_ne_u32_e32 0x7f, v2
	s_cbranch_execz .LBB296_512
; %bb.509:                              ;   in Loop: Header=BB296_10 Depth=1
	v_and_b32_e32 v0, 7, v4
	v_lshrrev_b32_e32 v1, 3, v2
	s_mov_b32 s20, exec_lo
	v_cmpx_gt_u32_e32 8, v2
; %bb.510:                              ;   in Loop: Header=BB296_10 Depth=1
	v_ffbh_u32_e32 v0, v0
	v_min_u32_e32 v2, 32, v0
	v_subrev_nc_u32_e32 v0, 28, v2
	v_lshlrev_b64 v[0:1], v0, v[4:5]
	v_sub_nc_u32_e32 v1, 29, v2
	v_and_b32_e32 v0, 7, v0
; %bb.511:                              ;   in Loop: Header=BB296_10 Depth=1
	s_or_b32 exec_lo, exec_lo, s20
	v_lshlrev_b32_e32 v2, 8, v4
	v_lshl_add_u32 v1, v1, 10, 0x2000
	v_lshlrev_b32_e32 v0, 7, v0
	v_and_b32_e32 v2, 0x8000, v2
	v_and_b32_e32 v1, 0xfc00, v1
	v_or3_b32 v122, v2, v1, v0
.LBB296_512:                            ;   in Loop: Header=BB296_10 Depth=1
	s_or_b32 exec_lo, exec_lo, s19
.LBB296_513:                            ;   in Loop: Header=BB296_10 Depth=1
	s_or_b32 exec_lo, exec_lo, s18
.LBB296_514:                            ;   in Loop: Header=BB296_10 Depth=1
	s_or_b32 exec_lo, exec_lo, s17
	v_mov_b32_e32 v1, 0
	v_mov_b32_e32 v32, 0
	s_mov_b32 s17, exec_lo
	v_cmpx_lt_u64_e64 s[6:7], v[24:25]
	s_cbranch_execz .LBB296_522
; %bb.515:                              ;   in Loop: Header=BB296_10 Depth=1
	v_lshrrev_b32_e32 v4, 24, v25
	v_bfrev_b32_e32 v32, 1
	s_mov_b32 s18, exec_lo
	v_cmpx_ne_u32_e32 0x80, v4
	s_cbranch_execz .LBB296_521
; %bb.516:                              ;   in Loop: Header=BB296_10 Depth=1
	v_and_b32_e32 v3, 0x7f, v4
	v_mov_b32_e32 v32, 0x7c010000
	s_mov_b32 s19, exec_lo
	v_cmpx_ne_u32_e32 0x7f, v3
	s_cbranch_execz .LBB296_520
; %bb.517:                              ;   in Loop: Header=BB296_10 Depth=1
	v_and_b32_e32 v0, 7, v4
	v_lshrrev_b32_e32 v2, 3, v3
	s_mov_b32 s20, exec_lo
	v_cmpx_gt_u32_e32 8, v3
; %bb.518:                              ;   in Loop: Header=BB296_10 Depth=1
	v_ffbh_u32_e32 v0, v0
	v_min_u32_e32 v0, 32, v0
	v_subrev_nc_u32_e32 v2, 28, v0
	v_lshlrev_b64 v[6:7], v2, v[4:5]
	v_sub_nc_u32_e32 v2, 29, v0
	v_and_b32_e32 v0, 7, v6
; %bb.519:                              ;   in Loop: Header=BB296_10 Depth=1
	s_or_b32 exec_lo, exec_lo, s20
	v_lshlrev_b32_e32 v3, 8, v4
	v_lshl_add_u32 v2, v2, 10, 0x2000
	v_lshlrev_b32_e32 v0, 23, v0
	v_and_or_b32 v2, 0x8000, v3, v2
	v_lshl_or_b32 v32, v2, 16, v0
.LBB296_520:                            ;   in Loop: Header=BB296_10 Depth=1
	s_or_b32 exec_lo, exec_lo, s19
.LBB296_521:                            ;   in Loop: Header=BB296_10 Depth=1
	s_or_b32 exec_lo, exec_lo, s18
.LBB296_522:                            ;   in Loop: Header=BB296_10 Depth=1
	s_or_b32 exec_lo, exec_lo, s17
	v_add_co_u32 v16, s5, 0x800, v16
	v_add_co_ci_u32_e64 v17, null, 0, v17, s5
	flat_load_dwordx2 v[24:25], v[16:17]
	s_waitcnt vmcnt(0) lgkmcnt(0)
	v_cmp_ne_u16_sdwa s5, v24, v5 src0_sel:BYTE_0 src1_sel:DWORD
	s_and_saveexec_b32 s17, s5
	s_cbranch_execz .LBB296_530
; %bb.523:                              ;   in Loop: Header=BB296_10 Depth=1
	v_cmp_ne_u16_sdwa s5, v24, v37 src0_sel:BYTE_0 src1_sel:DWORD
	v_mov_b32_e32 v1, 0x8000
	s_and_saveexec_b32 s18, s5
	s_cbranch_execz .LBB296_529
; %bb.524:                              ;   in Loop: Header=BB296_10 Depth=1
	v_and_b32_e32 v2, 0x7f, v24
	v_mov_b32_e32 v1, 0x7c01
	s_mov_b32 s19, exec_lo
	v_cmpx_ne_u32_e32 0x7f, v2
	s_cbranch_execz .LBB296_528
; %bb.525:                              ;   in Loop: Header=BB296_10 Depth=1
	v_and_b32_e32 v0, 7, v24
	v_lshrrev_b32_e32 v1, 3, v2
	s_mov_b32 s20, exec_lo
	v_cmpx_gt_u32_e32 8, v2
; %bb.526:                              ;   in Loop: Header=BB296_10 Depth=1
	v_ffbh_u32_e32 v0, v0
	v_min_u32_e32 v2, 32, v0
	v_subrev_nc_u32_e32 v0, 28, v2
	v_lshlrev_b64 v[0:1], v0, v[24:25]
	v_sub_nc_u32_e32 v1, 29, v2
	v_and_b32_e32 v0, 7, v0
; %bb.527:                              ;   in Loop: Header=BB296_10 Depth=1
	s_or_b32 exec_lo, exec_lo, s20
	v_lshlrev_b32_e32 v2, 8, v24
	v_lshl_add_u32 v1, v1, 10, 0x2000
	v_lshlrev_b32_e32 v0, 7, v0
	v_and_b32_e32 v2, 0x8000, v2
	v_and_b32_e32 v1, 0xfc00, v1
	v_or3_b32 v1, v2, v1, v0
.LBB296_528:                            ;   in Loop: Header=BB296_10 Depth=1
	s_or_b32 exec_lo, exec_lo, s19
.LBB296_529:                            ;   in Loop: Header=BB296_10 Depth=1
	s_or_b32 exec_lo, exec_lo, s18
.LBB296_530:                            ;   in Loop: Header=BB296_10 Depth=1
	s_or_b32 exec_lo, exec_lo, s17
	v_lshrrev_b16 v4, 8, v24
	v_mov_b32_e32 v81, 0
	v_mov_b32_e32 v11, 0
	s_mov_b32 s17, exec_lo
	v_cmpx_ne_u16_e32 0, v4
	s_cbranch_execz .LBB296_538
; %bb.531:                              ;   in Loop: Header=BB296_10 Depth=1
	v_bfrev_b32_e32 v11, 1
	s_mov_b32 s18, exec_lo
	v_cmpx_ne_u16_e32 0x80, v4
	s_cbranch_execz .LBB296_537
; %bb.532:                              ;   in Loop: Header=BB296_10 Depth=1
	v_mov_b32_e32 v0, 0x7f
	v_mov_b32_e32 v11, 0x7c010000
	s_mov_b32 s19, exec_lo
	v_and_b32_sdwa v3, v4, v0 dst_sel:DWORD dst_unused:UNUSED_PAD src0_sel:WORD_0 src1_sel:DWORD
	v_cmpx_ne_u32_e32 0x7f, v3
	s_cbranch_execz .LBB296_536
; %bb.533:                              ;   in Loop: Header=BB296_10 Depth=1
	v_mov_b32_e32 v0, 7
	v_lshrrev_b32_e32 v2, 3, v3
	s_mov_b32 s20, exec_lo
	v_and_b32_sdwa v0, v4, v0 dst_sel:DWORD dst_unused:UNUSED_PAD src0_sel:WORD_0 src1_sel:DWORD
	v_cmpx_gt_u32_e32 8, v3
; %bb.534:                              ;   in Loop: Header=BB296_10 Depth=1
	v_ffbh_u32_e32 v0, v0
	v_min_u32_e32 v0, 32, v0
	v_subrev_nc_u32_e32 v2, 28, v0
	v_lshlrev_b64 v[6:7], v2, v[4:5]
	v_sub_nc_u32_e32 v2, 29, v0
	v_and_b32_e32 v0, 7, v6
; %bb.535:                              ;   in Loop: Header=BB296_10 Depth=1
	s_or_b32 exec_lo, exec_lo, s20
	v_mov_b32_e32 v3, 8
	v_lshl_add_u32 v2, v2, 10, 0x2000
	v_lshlrev_b32_e32 v0, 23, v0
	v_lshlrev_b32_sdwa v3, v3, v4 dst_sel:DWORD dst_unused:UNUSED_PAD src0_sel:DWORD src1_sel:WORD_0
	v_and_or_b32 v2, 0x8000, v3, v2
	v_lshl_or_b32 v11, v2, 16, v0
.LBB296_536:                            ;   in Loop: Header=BB296_10 Depth=1
	s_or_b32 exec_lo, exec_lo, s19
.LBB296_537:                            ;   in Loop: Header=BB296_10 Depth=1
	s_or_b32 exec_lo, exec_lo, s18
.LBB296_538:                            ;   in Loop: Header=BB296_10 Depth=1
	s_or_b32 exec_lo, exec_lo, s17
	v_lshrrev_b32_e32 v4, 16, v24
	v_cmp_ne_u16_sdwa s5, v4, v5 src0_sel:BYTE_0 src1_sel:DWORD
	s_and_saveexec_b32 s17, s5
	s_cbranch_execz .LBB296_546
; %bb.539:                              ;   in Loop: Header=BB296_10 Depth=1
	v_cmp_ne_u16_sdwa s5, v4, v37 src0_sel:BYTE_0 src1_sel:DWORD
	v_mov_b32_e32 v81, 0x8000
	s_and_saveexec_b32 s18, s5
	s_cbranch_execz .LBB296_545
; %bb.540:                              ;   in Loop: Header=BB296_10 Depth=1
	v_bfe_u32 v3, v24, 16, 7
	v_mov_b32_e32 v81, 0x7c01
	s_mov_b32 s19, exec_lo
	v_cmpx_ne_u32_e32 0x7f, v3
	s_cbranch_execz .LBB296_544
; %bb.541:                              ;   in Loop: Header=BB296_10 Depth=1
	v_and_b32_e32 v0, 7, v4
	v_lshrrev_b32_e32 v2, 3, v3
	s_mov_b32 s20, exec_lo
	v_cmpx_gt_u32_e32 8, v3
; %bb.542:                              ;   in Loop: Header=BB296_10 Depth=1
	v_ffbh_u32_e32 v0, v0
	v_min_u32_e32 v0, 32, v0
	v_subrev_nc_u32_e32 v2, 28, v0
	v_lshlrev_b64 v[6:7], v2, v[4:5]
	v_sub_nc_u32_e32 v2, 29, v0
	v_and_b32_e32 v0, 7, v6
; %bb.543:                              ;   in Loop: Header=BB296_10 Depth=1
	s_or_b32 exec_lo, exec_lo, s20
	v_lshlrev_b32_e32 v3, 8, v4
	v_lshl_add_u32 v2, v2, 10, 0x2000
	v_lshlrev_b32_e32 v0, 7, v0
	v_and_b32_e32 v3, 0x8000, v3
	v_and_b32_e32 v2, 0xfc00, v2
	v_or3_b32 v81, v3, v2, v0
.LBB296_544:                            ;   in Loop: Header=BB296_10 Depth=1
	s_or_b32 exec_lo, exec_lo, s19
.LBB296_545:                            ;   in Loop: Header=BB296_10 Depth=1
	s_or_b32 exec_lo, exec_lo, s18
.LBB296_546:                            ;   in Loop: Header=BB296_10 Depth=1
	s_or_b32 exec_lo, exec_lo, s17
	v_mov_b32_e32 v3, 0
	v_mov_b32_e32 v30, 0
	s_mov_b32 s17, exec_lo
	v_cmpx_lt_u32_e32 0xffffff, v24
	s_cbranch_execz .LBB296_554
; %bb.547:                              ;   in Loop: Header=BB296_10 Depth=1
	v_lshrrev_b32_e32 v4, 24, v24
	v_bfrev_b32_e32 v30, 1
	s_mov_b32 s18, exec_lo
	v_cmpx_ne_u32_e32 0x80, v4
	s_cbranch_execz .LBB296_553
; %bb.548:                              ;   in Loop: Header=BB296_10 Depth=1
	v_and_b32_e32 v6, 0x7f, v4
	v_mov_b32_e32 v30, 0x7c010000
	s_mov_b32 s19, exec_lo
	v_cmpx_ne_u32_e32 0x7f, v6
	s_cbranch_execz .LBB296_552
; %bb.549:                              ;   in Loop: Header=BB296_10 Depth=1
	v_and_b32_e32 v0, 7, v4
	v_lshrrev_b32_e32 v2, 3, v6
	s_mov_b32 s20, exec_lo
	v_cmpx_gt_u32_e32 8, v6
; %bb.550:                              ;   in Loop: Header=BB296_10 Depth=1
	v_ffbh_u32_e32 v0, v0
	v_min_u32_e32 v0, 32, v0
	v_subrev_nc_u32_e32 v2, 28, v0
	v_lshlrev_b64 v[6:7], v2, v[4:5]
	v_sub_nc_u32_e32 v2, 29, v0
	v_and_b32_e32 v0, 7, v6
; %bb.551:                              ;   in Loop: Header=BB296_10 Depth=1
	s_or_b32 exec_lo, exec_lo, s20
	v_lshlrev_b32_e32 v4, 8, v4
	v_lshl_add_u32 v2, v2, 10, 0x2000
	v_lshlrev_b32_e32 v0, 23, v0
	v_and_or_b32 v2, 0x8000, v4, v2
	v_lshl_or_b32 v30, v2, 16, v0
.LBB296_552:                            ;   in Loop: Header=BB296_10 Depth=1
	s_or_b32 exec_lo, exec_lo, s19
.LBB296_553:                            ;   in Loop: Header=BB296_10 Depth=1
	s_or_b32 exec_lo, exec_lo, s18
.LBB296_554:                            ;   in Loop: Header=BB296_10 Depth=1
	s_or_b32 exec_lo, exec_lo, s17
	v_mov_b32_e32 v4, v25
	v_cmp_ne_u16_sdwa s5, v25, v5 src0_sel:BYTE_0 src1_sel:DWORD
	s_and_saveexec_b32 s17, s5
	s_cbranch_execz .LBB296_562
; %bb.555:                              ;   in Loop: Header=BB296_10 Depth=1
	v_cmp_ne_u16_sdwa s5, v25, v37 src0_sel:BYTE_0 src1_sel:DWORD
	v_mov_b32_e32 v3, 0x8000
	s_and_saveexec_b32 s18, s5
	s_cbranch_execz .LBB296_561
; %bb.556:                              ;   in Loop: Header=BB296_10 Depth=1
	v_and_b32_e32 v6, 0x7f, v25
	v_mov_b32_e32 v3, 0x7c01
	s_mov_b32 s19, exec_lo
	v_cmpx_ne_u32_e32 0x7f, v6
	s_cbranch_execz .LBB296_560
; %bb.557:                              ;   in Loop: Header=BB296_10 Depth=1
	v_and_b32_e32 v0, 7, v25
	v_lshrrev_b32_e32 v2, 3, v6
	s_mov_b32 s20, exec_lo
	v_cmpx_gt_u32_e32 8, v6
; %bb.558:                              ;   in Loop: Header=BB296_10 Depth=1
	v_ffbh_u32_e32 v0, v0
	v_min_u32_e32 v0, 32, v0
	v_subrev_nc_u32_e32 v2, 28, v0
	v_lshlrev_b64 v[6:7], v2, v[4:5]
	v_sub_nc_u32_e32 v2, 29, v0
	v_and_b32_e32 v0, 7, v6
; %bb.559:                              ;   in Loop: Header=BB296_10 Depth=1
	s_or_b32 exec_lo, exec_lo, s20
	v_lshlrev_b32_e32 v3, 8, v25
	v_lshl_add_u32 v2, v2, 10, 0x2000
	v_lshlrev_b32_e32 v0, 7, v0
	v_and_b32_e32 v3, 0x8000, v3
	v_and_b32_e32 v2, 0xfc00, v2
	v_or3_b32 v3, v3, v2, v0
.LBB296_560:                            ;   in Loop: Header=BB296_10 Depth=1
	s_or_b32 exec_lo, exec_lo, s19
.LBB296_561:                            ;   in Loop: Header=BB296_10 Depth=1
	s_or_b32 exec_lo, exec_lo, s18
.LBB296_562:                            ;   in Loop: Header=BB296_10 Depth=1
	s_or_b32 exec_lo, exec_lo, s17
	v_lshrrev_b16 v4, 8, v4
	v_mov_b32_e32 v82, 0
	v_mov_b32_e32 v29, 0
	s_mov_b32 s17, exec_lo
	v_cmpx_ne_u16_e32 0, v4
	s_cbranch_execz .LBB296_570
; %bb.563:                              ;   in Loop: Header=BB296_10 Depth=1
	v_bfrev_b32_e32 v29, 1
	s_mov_b32 s18, exec_lo
	v_cmpx_ne_u16_e32 0x80, v4
	s_cbranch_execz .LBB296_569
; %bb.564:                              ;   in Loop: Header=BB296_10 Depth=1
	v_mov_b32_e32 v0, 0x7f
	v_mov_b32_e32 v29, 0x7c010000
	s_mov_b32 s19, exec_lo
	v_and_b32_sdwa v6, v4, v0 dst_sel:DWORD dst_unused:UNUSED_PAD src0_sel:WORD_0 src1_sel:DWORD
	v_cmpx_ne_u32_e32 0x7f, v6
	s_cbranch_execz .LBB296_568
; %bb.565:                              ;   in Loop: Header=BB296_10 Depth=1
	v_mov_b32_e32 v0, 7
	v_lshrrev_b32_e32 v2, 3, v6
	s_mov_b32 s20, exec_lo
	v_and_b32_sdwa v0, v4, v0 dst_sel:DWORD dst_unused:UNUSED_PAD src0_sel:WORD_0 src1_sel:DWORD
	v_cmpx_gt_u32_e32 8, v6
; %bb.566:                              ;   in Loop: Header=BB296_10 Depth=1
	v_ffbh_u32_e32 v0, v0
	v_min_u32_e32 v0, 32, v0
	v_subrev_nc_u32_e32 v2, 28, v0
	v_lshlrev_b64 v[6:7], v2, v[4:5]
	v_sub_nc_u32_e32 v2, 29, v0
	v_and_b32_e32 v0, 7, v6
; %bb.567:                              ;   in Loop: Header=BB296_10 Depth=1
	s_or_b32 exec_lo, exec_lo, s20
	v_mov_b32_e32 v6, 8
	v_lshl_add_u32 v2, v2, 10, 0x2000
	v_lshlrev_b32_e32 v0, 23, v0
	v_lshlrev_b32_sdwa v4, v6, v4 dst_sel:DWORD dst_unused:UNUSED_PAD src0_sel:DWORD src1_sel:WORD_0
	v_and_or_b32 v2, 0x8000, v4, v2
	v_lshl_or_b32 v29, v2, 16, v0
.LBB296_568:                            ;   in Loop: Header=BB296_10 Depth=1
	s_or_b32 exec_lo, exec_lo, s19
.LBB296_569:                            ;   in Loop: Header=BB296_10 Depth=1
	s_or_b32 exec_lo, exec_lo, s18
.LBB296_570:                            ;   in Loop: Header=BB296_10 Depth=1
	s_or_b32 exec_lo, exec_lo, s17
	v_lshrrev_b32_e32 v4, 16, v25
	v_cmp_ne_u16_sdwa s5, v4, v5 src0_sel:BYTE_0 src1_sel:DWORD
	s_and_saveexec_b32 s17, s5
	s_cbranch_execz .LBB296_578
; %bb.571:                              ;   in Loop: Header=BB296_10 Depth=1
	v_cmp_ne_u16_sdwa s5, v4, v37 src0_sel:BYTE_0 src1_sel:DWORD
	v_mov_b32_e32 v82, 0x8000
	s_and_saveexec_b32 s18, s5
	s_cbranch_execz .LBB296_577
; %bb.572:                              ;   in Loop: Header=BB296_10 Depth=1
	v_bfe_u32 v6, v25, 16, 7
	v_mov_b32_e32 v82, 0x7c01
	s_mov_b32 s19, exec_lo
	v_cmpx_ne_u32_e32 0x7f, v6
	s_cbranch_execz .LBB296_576
; %bb.573:                              ;   in Loop: Header=BB296_10 Depth=1
	v_and_b32_e32 v0, 7, v4
	v_lshrrev_b32_e32 v2, 3, v6
	s_mov_b32 s20, exec_lo
	v_cmpx_gt_u32_e32 8, v6
; %bb.574:                              ;   in Loop: Header=BB296_10 Depth=1
	v_ffbh_u32_e32 v0, v0
	v_min_u32_e32 v0, 32, v0
	v_subrev_nc_u32_e32 v2, 28, v0
	v_lshlrev_b64 v[6:7], v2, v[4:5]
	v_sub_nc_u32_e32 v2, 29, v0
	v_and_b32_e32 v0, 7, v6
; %bb.575:                              ;   in Loop: Header=BB296_10 Depth=1
	s_or_b32 exec_lo, exec_lo, s20
	v_lshlrev_b32_e32 v4, 8, v4
	v_lshl_add_u32 v2, v2, 10, 0x2000
	v_lshlrev_b32_e32 v0, 7, v0
	v_and_b32_e32 v4, 0x8000, v4
	v_and_b32_e32 v2, 0xfc00, v2
	v_or3_b32 v82, v4, v2, v0
.LBB296_576:                            ;   in Loop: Header=BB296_10 Depth=1
	s_or_b32 exec_lo, exec_lo, s19
.LBB296_577:                            ;   in Loop: Header=BB296_10 Depth=1
	s_or_b32 exec_lo, exec_lo, s18
.LBB296_578:                            ;   in Loop: Header=BB296_10 Depth=1
	s_or_b32 exec_lo, exec_lo, s17
	v_mov_b32_e32 v13, 0
	v_mov_b32_e32 v48, 0
	s_mov_b32 s17, exec_lo
	v_cmpx_lt_u64_e64 s[6:7], v[24:25]
	s_cbranch_execz .LBB296_586
; %bb.579:                              ;   in Loop: Header=BB296_10 Depth=1
	v_lshrrev_b32_e32 v4, 24, v25
	v_bfrev_b32_e32 v48, 1
	s_mov_b32 s18, exec_lo
	v_cmpx_ne_u32_e32 0x80, v4
	s_cbranch_execz .LBB296_585
; %bb.580:                              ;   in Loop: Header=BB296_10 Depth=1
	v_and_b32_e32 v6, 0x7f, v4
	v_mov_b32_e32 v48, 0x7c010000
	s_mov_b32 s19, exec_lo
	v_cmpx_ne_u32_e32 0x7f, v6
	s_cbranch_execz .LBB296_584
; %bb.581:                              ;   in Loop: Header=BB296_10 Depth=1
	v_and_b32_e32 v0, 7, v4
	v_lshrrev_b32_e32 v2, 3, v6
	s_mov_b32 s20, exec_lo
	v_cmpx_gt_u32_e32 8, v6
; %bb.582:                              ;   in Loop: Header=BB296_10 Depth=1
	v_ffbh_u32_e32 v0, v0
	v_min_u32_e32 v0, 32, v0
	v_subrev_nc_u32_e32 v2, 28, v0
	v_lshlrev_b64 v[6:7], v2, v[4:5]
	v_sub_nc_u32_e32 v2, 29, v0
	v_and_b32_e32 v0, 7, v6
; %bb.583:                              ;   in Loop: Header=BB296_10 Depth=1
	s_or_b32 exec_lo, exec_lo, s20
	v_lshlrev_b32_e32 v4, 8, v4
	v_lshl_add_u32 v2, v2, 10, 0x2000
	v_lshlrev_b32_e32 v0, 23, v0
	v_and_or_b32 v2, 0x8000, v4, v2
	v_lshl_or_b32 v48, v2, 16, v0
.LBB296_584:                            ;   in Loop: Header=BB296_10 Depth=1
	s_or_b32 exec_lo, exec_lo, s19
.LBB296_585:                            ;   in Loop: Header=BB296_10 Depth=1
	s_or_b32 exec_lo, exec_lo, s18
.LBB296_586:                            ;   in Loop: Header=BB296_10 Depth=1
	s_or_b32 exec_lo, exec_lo, s17
	flat_load_dwordx2 v[24:25], v[16:17] offset:8
	s_waitcnt vmcnt(0) lgkmcnt(0)
	v_cmp_ne_u16_sdwa s5, v24, v5 src0_sel:BYTE_0 src1_sel:DWORD
	s_and_saveexec_b32 s17, s5
	s_cbranch_execz .LBB296_594
; %bb.587:                              ;   in Loop: Header=BB296_10 Depth=1
	v_cmp_ne_u16_sdwa s5, v24, v37 src0_sel:BYTE_0 src1_sel:DWORD
	v_mov_b32_e32 v13, 0x8000
	s_and_saveexec_b32 s18, s5
	s_cbranch_execz .LBB296_593
; %bb.588:                              ;   in Loop: Header=BB296_10 Depth=1
	v_and_b32_e32 v4, 0x7f, v24
	v_mov_b32_e32 v13, 0x7c01
	s_mov_b32 s19, exec_lo
	v_cmpx_ne_u32_e32 0x7f, v4
	s_cbranch_execz .LBB296_592
; %bb.589:                              ;   in Loop: Header=BB296_10 Depth=1
	v_and_b32_e32 v0, 7, v24
	v_lshrrev_b32_e32 v2, 3, v4
	s_mov_b32 s20, exec_lo
	v_cmpx_gt_u32_e32 8, v4
; %bb.590:                              ;   in Loop: Header=BB296_10 Depth=1
	v_ffbh_u32_e32 v0, v0
	v_min_u32_e32 v0, 32, v0
	v_subrev_nc_u32_e32 v2, 28, v0
	v_lshlrev_b64 v[6:7], v2, v[24:25]
	v_sub_nc_u32_e32 v2, 29, v0
	v_and_b32_e32 v0, 7, v6
; %bb.591:                              ;   in Loop: Header=BB296_10 Depth=1
	s_or_b32 exec_lo, exec_lo, s20
	v_lshlrev_b32_e32 v4, 8, v24
	v_lshl_add_u32 v2, v2, 10, 0x2000
	v_lshlrev_b32_e32 v0, 7, v0
	v_and_b32_e32 v4, 0x8000, v4
	v_and_b32_e32 v2, 0xfc00, v2
	v_or3_b32 v13, v4, v2, v0
.LBB296_592:                            ;   in Loop: Header=BB296_10 Depth=1
	s_or_b32 exec_lo, exec_lo, s19
.LBB296_593:                            ;   in Loop: Header=BB296_10 Depth=1
	s_or_b32 exec_lo, exec_lo, s18
.LBB296_594:                            ;   in Loop: Header=BB296_10 Depth=1
	s_or_b32 exec_lo, exec_lo, s17
	v_lshrrev_b16 v4, 8, v24
	v_mov_b32_e32 v20, 0
	v_mov_b32_e32 v18, 0
	s_mov_b32 s17, exec_lo
	v_cmpx_ne_u16_e32 0, v4
	s_cbranch_execz .LBB296_602
; %bb.595:                              ;   in Loop: Header=BB296_10 Depth=1
	v_bfrev_b32_e32 v18, 1
	s_mov_b32 s18, exec_lo
	v_cmpx_ne_u16_e32 0x80, v4
	s_cbranch_execz .LBB296_601
; %bb.596:                              ;   in Loop: Header=BB296_10 Depth=1
	v_mov_b32_e32 v0, 0x7f
	v_mov_b32_e32 v18, 0x7c010000
	s_mov_b32 s19, exec_lo
	v_and_b32_sdwa v6, v4, v0 dst_sel:DWORD dst_unused:UNUSED_PAD src0_sel:WORD_0 src1_sel:DWORD
	v_cmpx_ne_u32_e32 0x7f, v6
	s_cbranch_execz .LBB296_600
; %bb.597:                              ;   in Loop: Header=BB296_10 Depth=1
	v_mov_b32_e32 v0, 7
	v_lshrrev_b32_e32 v2, 3, v6
	s_mov_b32 s20, exec_lo
	v_and_b32_sdwa v0, v4, v0 dst_sel:DWORD dst_unused:UNUSED_PAD src0_sel:WORD_0 src1_sel:DWORD
	v_cmpx_gt_u32_e32 8, v6
; %bb.598:                              ;   in Loop: Header=BB296_10 Depth=1
	v_ffbh_u32_e32 v0, v0
	v_min_u32_e32 v0, 32, v0
	v_subrev_nc_u32_e32 v2, 28, v0
	v_lshlrev_b64 v[6:7], v2, v[4:5]
	v_sub_nc_u32_e32 v2, 29, v0
	v_and_b32_e32 v0, 7, v6
; %bb.599:                              ;   in Loop: Header=BB296_10 Depth=1
	s_or_b32 exec_lo, exec_lo, s20
	v_mov_b32_e32 v6, 8
	v_lshl_add_u32 v2, v2, 10, 0x2000
	v_lshlrev_b32_e32 v0, 23, v0
	v_lshlrev_b32_sdwa v4, v6, v4 dst_sel:DWORD dst_unused:UNUSED_PAD src0_sel:DWORD src1_sel:WORD_0
	v_and_or_b32 v2, 0x8000, v4, v2
	v_lshl_or_b32 v18, v2, 16, v0
.LBB296_600:                            ;   in Loop: Header=BB296_10 Depth=1
	s_or_b32 exec_lo, exec_lo, s19
.LBB296_601:                            ;   in Loop: Header=BB296_10 Depth=1
	s_or_b32 exec_lo, exec_lo, s18
.LBB296_602:                            ;   in Loop: Header=BB296_10 Depth=1
	s_or_b32 exec_lo, exec_lo, s17
	v_lshrrev_b32_e32 v4, 16, v24
	v_cmp_ne_u16_sdwa s5, v4, v5 src0_sel:BYTE_0 src1_sel:DWORD
	s_and_saveexec_b32 s17, s5
	s_cbranch_execz .LBB296_610
; %bb.603:                              ;   in Loop: Header=BB296_10 Depth=1
	v_cmp_ne_u16_sdwa s5, v4, v37 src0_sel:BYTE_0 src1_sel:DWORD
	v_mov_b32_e32 v20, 0x8000
	s_and_saveexec_b32 s18, s5
	s_cbranch_execz .LBB296_609
; %bb.604:                              ;   in Loop: Header=BB296_10 Depth=1
	v_bfe_u32 v6, v24, 16, 7
	v_mov_b32_e32 v20, 0x7c01
	s_mov_b32 s19, exec_lo
	v_cmpx_ne_u32_e32 0x7f, v6
	s_cbranch_execz .LBB296_608
; %bb.605:                              ;   in Loop: Header=BB296_10 Depth=1
	v_and_b32_e32 v0, 7, v4
	v_lshrrev_b32_e32 v2, 3, v6
	s_mov_b32 s20, exec_lo
	v_cmpx_gt_u32_e32 8, v6
; %bb.606:                              ;   in Loop: Header=BB296_10 Depth=1
	v_ffbh_u32_e32 v0, v0
	v_min_u32_e32 v0, 32, v0
	v_subrev_nc_u32_e32 v2, 28, v0
	v_lshlrev_b64 v[6:7], v2, v[4:5]
	v_sub_nc_u32_e32 v2, 29, v0
	v_and_b32_e32 v0, 7, v6
; %bb.607:                              ;   in Loop: Header=BB296_10 Depth=1
	s_or_b32 exec_lo, exec_lo, s20
	v_lshlrev_b32_e32 v4, 8, v4
	v_lshl_add_u32 v2, v2, 10, 0x2000
	v_lshlrev_b32_e32 v0, 7, v0
	v_and_b32_e32 v4, 0x8000, v4
	v_and_b32_e32 v2, 0xfc00, v2
	v_or3_b32 v20, v4, v2, v0
.LBB296_608:                            ;   in Loop: Header=BB296_10 Depth=1
	s_or_b32 exec_lo, exec_lo, s19
.LBB296_609:                            ;   in Loop: Header=BB296_10 Depth=1
	s_or_b32 exec_lo, exec_lo, s18
.LBB296_610:                            ;   in Loop: Header=BB296_10 Depth=1
	s_or_b32 exec_lo, exec_lo, s17
	v_mov_b32_e32 v33, 0
	v_mov_b32_e32 v21, 0
	s_mov_b32 s17, exec_lo
	v_cmpx_lt_u32_e32 0xffffff, v24
	s_cbranch_execz .LBB296_618
; %bb.611:                              ;   in Loop: Header=BB296_10 Depth=1
	v_lshrrev_b32_e32 v4, 24, v24
	v_bfrev_b32_e32 v21, 1
	s_mov_b32 s18, exec_lo
	v_cmpx_ne_u32_e32 0x80, v4
	s_cbranch_execz .LBB296_617
; %bb.612:                              ;   in Loop: Header=BB296_10 Depth=1
	v_and_b32_e32 v6, 0x7f, v4
	v_mov_b32_e32 v21, 0x7c010000
	s_mov_b32 s19, exec_lo
	v_cmpx_ne_u32_e32 0x7f, v6
	s_cbranch_execz .LBB296_616
; %bb.613:                              ;   in Loop: Header=BB296_10 Depth=1
	v_and_b32_e32 v0, 7, v4
	v_lshrrev_b32_e32 v2, 3, v6
	s_mov_b32 s20, exec_lo
	v_cmpx_gt_u32_e32 8, v6
; %bb.614:                              ;   in Loop: Header=BB296_10 Depth=1
	v_ffbh_u32_e32 v0, v0
	v_min_u32_e32 v0, 32, v0
	v_subrev_nc_u32_e32 v2, 28, v0
	v_lshlrev_b64 v[6:7], v2, v[4:5]
	v_sub_nc_u32_e32 v2, 29, v0
	v_and_b32_e32 v0, 7, v6
; %bb.615:                              ;   in Loop: Header=BB296_10 Depth=1
	s_or_b32 exec_lo, exec_lo, s20
	v_lshlrev_b32_e32 v4, 8, v4
	v_lshl_add_u32 v2, v2, 10, 0x2000
	v_lshlrev_b32_e32 v0, 23, v0
	v_and_or_b32 v2, 0x8000, v4, v2
	v_lshl_or_b32 v21, v2, 16, v0
.LBB296_616:                            ;   in Loop: Header=BB296_10 Depth=1
	s_or_b32 exec_lo, exec_lo, s19
.LBB296_617:                            ;   in Loop: Header=BB296_10 Depth=1
	s_or_b32 exec_lo, exec_lo, s18
.LBB296_618:                            ;   in Loop: Header=BB296_10 Depth=1
	s_or_b32 exec_lo, exec_lo, s17
	v_mov_b32_e32 v4, v25
	v_cmp_ne_u16_sdwa s5, v25, v5 src0_sel:BYTE_0 src1_sel:DWORD
	s_and_saveexec_b32 s17, s5
	s_cbranch_execz .LBB296_626
; %bb.619:                              ;   in Loop: Header=BB296_10 Depth=1
	v_cmp_ne_u16_sdwa s5, v25, v37 src0_sel:BYTE_0 src1_sel:DWORD
	v_mov_b32_e32 v33, 0x8000
	s_and_saveexec_b32 s18, s5
	s_cbranch_execz .LBB296_625
; %bb.620:                              ;   in Loop: Header=BB296_10 Depth=1
	v_and_b32_e32 v6, 0x7f, v25
	v_mov_b32_e32 v33, 0x7c01
	s_mov_b32 s19, exec_lo
	v_cmpx_ne_u32_e32 0x7f, v6
	s_cbranch_execz .LBB296_624
; %bb.621:                              ;   in Loop: Header=BB296_10 Depth=1
	v_and_b32_e32 v0, 7, v25
	v_lshrrev_b32_e32 v2, 3, v6
	s_mov_b32 s20, exec_lo
	v_cmpx_gt_u32_e32 8, v6
; %bb.622:                              ;   in Loop: Header=BB296_10 Depth=1
	v_ffbh_u32_e32 v0, v0
	v_min_u32_e32 v0, 32, v0
	v_subrev_nc_u32_e32 v2, 28, v0
	v_lshlrev_b64 v[6:7], v2, v[4:5]
	v_sub_nc_u32_e32 v2, 29, v0
	v_and_b32_e32 v0, 7, v6
; %bb.623:                              ;   in Loop: Header=BB296_10 Depth=1
	s_or_b32 exec_lo, exec_lo, s20
	v_lshlrev_b32_e32 v6, 8, v25
	v_lshl_add_u32 v2, v2, 10, 0x2000
	v_lshlrev_b32_e32 v0, 7, v0
	v_and_b32_e32 v6, 0x8000, v6
	v_and_b32_e32 v2, 0xfc00, v2
	v_or3_b32 v33, v6, v2, v0
.LBB296_624:                            ;   in Loop: Header=BB296_10 Depth=1
	s_or_b32 exec_lo, exec_lo, s19
.LBB296_625:                            ;   in Loop: Header=BB296_10 Depth=1
	s_or_b32 exec_lo, exec_lo, s18
.LBB296_626:                            ;   in Loop: Header=BB296_10 Depth=1
	s_or_b32 exec_lo, exec_lo, s17
	v_lshrrev_b16 v4, 8, v4
	v_mov_b32_e32 v80, 0
	v_mov_b32_e32 v39, 0
	s_mov_b32 s17, exec_lo
	v_cmpx_ne_u16_e32 0, v4
	s_cbranch_execz .LBB296_634
; %bb.627:                              ;   in Loop: Header=BB296_10 Depth=1
	v_bfrev_b32_e32 v39, 1
	s_mov_b32 s18, exec_lo
	v_cmpx_ne_u16_e32 0x80, v4
	s_cbranch_execz .LBB296_633
; %bb.628:                              ;   in Loop: Header=BB296_10 Depth=1
	v_mov_b32_e32 v0, 0x7f
	v_mov_b32_e32 v39, 0x7c010000
	s_mov_b32 s19, exec_lo
	v_and_b32_sdwa v6, v4, v0 dst_sel:DWORD dst_unused:UNUSED_PAD src0_sel:WORD_0 src1_sel:DWORD
	v_cmpx_ne_u32_e32 0x7f, v6
	s_cbranch_execz .LBB296_632
; %bb.629:                              ;   in Loop: Header=BB296_10 Depth=1
	v_mov_b32_e32 v0, 7
	v_lshrrev_b32_e32 v2, 3, v6
	s_mov_b32 s20, exec_lo
	v_and_b32_sdwa v0, v4, v0 dst_sel:DWORD dst_unused:UNUSED_PAD src0_sel:WORD_0 src1_sel:DWORD
	v_cmpx_gt_u32_e32 8, v6
; %bb.630:                              ;   in Loop: Header=BB296_10 Depth=1
	v_ffbh_u32_e32 v0, v0
	v_min_u32_e32 v0, 32, v0
	v_subrev_nc_u32_e32 v2, 28, v0
	v_lshlrev_b64 v[6:7], v2, v[4:5]
	v_sub_nc_u32_e32 v2, 29, v0
	v_and_b32_e32 v0, 7, v6
; %bb.631:                              ;   in Loop: Header=BB296_10 Depth=1
	s_or_b32 exec_lo, exec_lo, s20
	v_mov_b32_e32 v6, 8
	v_lshl_add_u32 v2, v2, 10, 0x2000
	v_lshlrev_b32_e32 v0, 23, v0
	v_lshlrev_b32_sdwa v4, v6, v4 dst_sel:DWORD dst_unused:UNUSED_PAD src0_sel:DWORD src1_sel:WORD_0
	v_and_or_b32 v2, 0x8000, v4, v2
	v_lshl_or_b32 v39, v2, 16, v0
.LBB296_632:                            ;   in Loop: Header=BB296_10 Depth=1
	s_or_b32 exec_lo, exec_lo, s19
.LBB296_633:                            ;   in Loop: Header=BB296_10 Depth=1
	s_or_b32 exec_lo, exec_lo, s18
.LBB296_634:                            ;   in Loop: Header=BB296_10 Depth=1
	s_or_b32 exec_lo, exec_lo, s17
	v_lshrrev_b32_e32 v4, 16, v25
	v_cmp_ne_u16_sdwa s5, v4, v5 src0_sel:BYTE_0 src1_sel:DWORD
	s_and_saveexec_b32 s17, s5
	s_cbranch_execz .LBB296_642
; %bb.635:                              ;   in Loop: Header=BB296_10 Depth=1
	v_cmp_ne_u16_sdwa s5, v4, v37 src0_sel:BYTE_0 src1_sel:DWORD
	v_mov_b32_e32 v80, 0x8000
	s_and_saveexec_b32 s18, s5
	s_cbranch_execz .LBB296_641
; %bb.636:                              ;   in Loop: Header=BB296_10 Depth=1
	v_bfe_u32 v6, v25, 16, 7
	v_mov_b32_e32 v80, 0x7c01
	s_mov_b32 s19, exec_lo
	v_cmpx_ne_u32_e32 0x7f, v6
	s_cbranch_execz .LBB296_640
; %bb.637:                              ;   in Loop: Header=BB296_10 Depth=1
	v_and_b32_e32 v0, 7, v4
	v_lshrrev_b32_e32 v2, 3, v6
	s_mov_b32 s20, exec_lo
	v_cmpx_gt_u32_e32 8, v6
; %bb.638:                              ;   in Loop: Header=BB296_10 Depth=1
	v_ffbh_u32_e32 v0, v0
	v_min_u32_e32 v0, 32, v0
	v_subrev_nc_u32_e32 v2, 28, v0
	v_lshlrev_b64 v[6:7], v2, v[4:5]
	v_sub_nc_u32_e32 v2, 29, v0
	v_and_b32_e32 v0, 7, v6
; %bb.639:                              ;   in Loop: Header=BB296_10 Depth=1
	s_or_b32 exec_lo, exec_lo, s20
	v_lshlrev_b32_e32 v4, 8, v4
	v_lshl_add_u32 v2, v2, 10, 0x2000
	v_lshlrev_b32_e32 v0, 7, v0
	v_and_b32_e32 v4, 0x8000, v4
	v_and_b32_e32 v2, 0xfc00, v2
	v_or3_b32 v80, v4, v2, v0
.LBB296_640:                            ;   in Loop: Header=BB296_10 Depth=1
	s_or_b32 exec_lo, exec_lo, s19
.LBB296_641:                            ;   in Loop: Header=BB296_10 Depth=1
	s_or_b32 exec_lo, exec_lo, s18
.LBB296_642:                            ;   in Loop: Header=BB296_10 Depth=1
	s_or_b32 exec_lo, exec_lo, s17
	v_mov_b32_e32 v6, 0
	v_mov_b32_e32 v83, 0
	s_mov_b32 s17, exec_lo
	v_cmpx_lt_u64_e64 s[6:7], v[24:25]
	s_cbranch_execz .LBB296_650
; %bb.643:                              ;   in Loop: Header=BB296_10 Depth=1
	v_lshrrev_b32_e32 v4, 24, v25
	v_bfrev_b32_e32 v83, 1
	s_mov_b32 s18, exec_lo
	v_cmpx_ne_u32_e32 0x80, v4
	s_cbranch_execz .LBB296_649
; %bb.644:                              ;   in Loop: Header=BB296_10 Depth=1
	v_and_b32_e32 v7, 0x7f, v4
	v_mov_b32_e32 v83, 0x7c010000
	s_mov_b32 s19, exec_lo
	v_cmpx_ne_u32_e32 0x7f, v7
	s_cbranch_execz .LBB296_648
; %bb.645:                              ;   in Loop: Header=BB296_10 Depth=1
	v_and_b32_e32 v0, 7, v4
	v_lshrrev_b32_e32 v2, 3, v7
	s_mov_b32 s20, exec_lo
	v_cmpx_gt_u32_e32 8, v7
; %bb.646:                              ;   in Loop: Header=BB296_10 Depth=1
	v_ffbh_u32_e32 v0, v0
	v_min_u32_e32 v0, 32, v0
	v_subrev_nc_u32_e32 v2, 28, v0
	v_lshlrev_b64 v[7:8], v2, v[4:5]
	v_sub_nc_u32_e32 v2, 29, v0
	v_and_b32_e32 v0, 7, v7
; %bb.647:                              ;   in Loop: Header=BB296_10 Depth=1
	s_or_b32 exec_lo, exec_lo, s20
	v_lshlrev_b32_e32 v4, 8, v4
	v_lshl_add_u32 v2, v2, 10, 0x2000
	v_lshlrev_b32_e32 v0, 23, v0
	v_and_or_b32 v2, 0x8000, v4, v2
	v_lshl_or_b32 v83, v2, 16, v0
.LBB296_648:                            ;   in Loop: Header=BB296_10 Depth=1
	s_or_b32 exec_lo, exec_lo, s19
.LBB296_649:                            ;   in Loop: Header=BB296_10 Depth=1
	s_or_b32 exec_lo, exec_lo, s18
.LBB296_650:                            ;   in Loop: Header=BB296_10 Depth=1
	s_or_b32 exec_lo, exec_lo, s17
	flat_load_dwordx2 v[24:25], v[16:17] offset:512
	s_waitcnt vmcnt(0) lgkmcnt(0)
	v_cmp_ne_u16_sdwa s5, v24, v5 src0_sel:BYTE_0 src1_sel:DWORD
	s_and_saveexec_b32 s17, s5
	s_cbranch_execz .LBB296_658
; %bb.651:                              ;   in Loop: Header=BB296_10 Depth=1
	v_cmp_ne_u16_sdwa s5, v24, v37 src0_sel:BYTE_0 src1_sel:DWORD
	v_mov_b32_e32 v6, 0x8000
	s_and_saveexec_b32 s18, s5
	s_cbranch_execz .LBB296_657
; %bb.652:                              ;   in Loop: Header=BB296_10 Depth=1
	v_and_b32_e32 v4, 0x7f, v24
	v_mov_b32_e32 v6, 0x7c01
	s_mov_b32 s19, exec_lo
	v_cmpx_ne_u32_e32 0x7f, v4
	s_cbranch_execz .LBB296_656
; %bb.653:                              ;   in Loop: Header=BB296_10 Depth=1
	v_and_b32_e32 v0, 7, v24
	v_lshrrev_b32_e32 v2, 3, v4
	s_mov_b32 s20, exec_lo
	v_cmpx_gt_u32_e32 8, v4
; %bb.654:                              ;   in Loop: Header=BB296_10 Depth=1
	v_ffbh_u32_e32 v0, v0
	v_min_u32_e32 v0, 32, v0
	v_subrev_nc_u32_e32 v2, 28, v0
	v_lshlrev_b64 v[6:7], v2, v[24:25]
	v_sub_nc_u32_e32 v2, 29, v0
	v_and_b32_e32 v0, 7, v6
; %bb.655:                              ;   in Loop: Header=BB296_10 Depth=1
	s_or_b32 exec_lo, exec_lo, s20
	v_lshlrev_b32_e32 v4, 8, v24
	v_lshl_add_u32 v2, v2, 10, 0x2000
	v_lshlrev_b32_e32 v0, 7, v0
	v_and_b32_e32 v4, 0x8000, v4
	v_and_b32_e32 v2, 0xfc00, v2
	v_or3_b32 v6, v4, v2, v0
.LBB296_656:                            ;   in Loop: Header=BB296_10 Depth=1
	s_or_b32 exec_lo, exec_lo, s19
.LBB296_657:                            ;   in Loop: Header=BB296_10 Depth=1
	s_or_b32 exec_lo, exec_lo, s18
.LBB296_658:                            ;   in Loop: Header=BB296_10 Depth=1
	s_or_b32 exec_lo, exec_lo, s17
	v_lshrrev_b16 v4, 8, v24
	v_mov_b32_e32 v2, 0
	v_mov_b32_e32 v7, 0
	s_mov_b32 s17, exec_lo
	v_cmpx_ne_u16_e32 0, v4
	s_cbranch_execz .LBB296_666
; %bb.659:                              ;   in Loop: Header=BB296_10 Depth=1
	v_bfrev_b32_e32 v7, 1
	s_mov_b32 s18, exec_lo
	v_cmpx_ne_u16_e32 0x80, v4
	s_cbranch_execz .LBB296_665
; %bb.660:                              ;   in Loop: Header=BB296_10 Depth=1
	v_mov_b32_e32 v0, 0x7f
	v_mov_b32_e32 v7, 0x7c010000
	s_mov_b32 s19, exec_lo
	v_and_b32_sdwa v8, v4, v0 dst_sel:DWORD dst_unused:UNUSED_PAD src0_sel:WORD_0 src1_sel:DWORD
	v_cmpx_ne_u32_e32 0x7f, v8
	s_cbranch_execz .LBB296_664
; %bb.661:                              ;   in Loop: Header=BB296_10 Depth=1
	v_mov_b32_e32 v0, 7
	v_lshrrev_b32_e32 v7, 3, v8
	s_mov_b32 s20, exec_lo
	v_and_b32_sdwa v0, v4, v0 dst_sel:DWORD dst_unused:UNUSED_PAD src0_sel:WORD_0 src1_sel:DWORD
	v_cmpx_gt_u32_e32 8, v8
; %bb.662:                              ;   in Loop: Header=BB296_10 Depth=1
	v_ffbh_u32_e32 v0, v0
	v_min_u32_e32 v0, 32, v0
	v_subrev_nc_u32_e32 v7, 28, v0
	v_lshlrev_b64 v[26:27], v7, v[4:5]
	v_sub_nc_u32_e32 v7, 29, v0
	v_and_b32_e32 v0, 7, v26
; %bb.663:                              ;   in Loop: Header=BB296_10 Depth=1
	s_or_b32 exec_lo, exec_lo, s20
	v_mov_b32_e32 v8, 8
	v_lshl_add_u32 v7, v7, 10, 0x2000
	v_lshlrev_b32_e32 v0, 23, v0
	v_lshlrev_b32_sdwa v4, v8, v4 dst_sel:DWORD dst_unused:UNUSED_PAD src0_sel:DWORD src1_sel:WORD_0
	v_and_or_b32 v4, 0x8000, v4, v7
	v_lshl_or_b32 v7, v4, 16, v0
.LBB296_664:                            ;   in Loop: Header=BB296_10 Depth=1
	s_or_b32 exec_lo, exec_lo, s19
.LBB296_665:                            ;   in Loop: Header=BB296_10 Depth=1
	s_or_b32 exec_lo, exec_lo, s18
.LBB296_666:                            ;   in Loop: Header=BB296_10 Depth=1
	s_or_b32 exec_lo, exec_lo, s17
	v_lshrrev_b32_e32 v4, 16, v24
	v_cmp_ne_u16_sdwa s5, v4, v5 src0_sel:BYTE_0 src1_sel:DWORD
	s_and_saveexec_b32 s17, s5
	s_cbranch_execz .LBB296_674
; %bb.667:                              ;   in Loop: Header=BB296_10 Depth=1
	v_cmp_ne_u16_sdwa s5, v4, v37 src0_sel:BYTE_0 src1_sel:DWORD
	v_mov_b32_e32 v2, 0x8000
	s_and_saveexec_b32 s18, s5
	s_cbranch_execz .LBB296_673
; %bb.668:                              ;   in Loop: Header=BB296_10 Depth=1
	v_bfe_u32 v8, v24, 16, 7
	v_mov_b32_e32 v2, 0x7c01
	s_mov_b32 s19, exec_lo
	v_cmpx_ne_u32_e32 0x7f, v8
	s_cbranch_execz .LBB296_672
; %bb.669:                              ;   in Loop: Header=BB296_10 Depth=1
	v_and_b32_e32 v0, 7, v4
	v_lshrrev_b32_e32 v2, 3, v8
	s_mov_b32 s20, exec_lo
	v_cmpx_gt_u32_e32 8, v8
; %bb.670:                              ;   in Loop: Header=BB296_10 Depth=1
	v_ffbh_u32_e32 v0, v0
	v_min_u32_e32 v0, 32, v0
	v_subrev_nc_u32_e32 v2, 28, v0
	v_lshlrev_b64 v[26:27], v2, v[4:5]
	v_sub_nc_u32_e32 v2, 29, v0
	v_and_b32_e32 v0, 7, v26
; %bb.671:                              ;   in Loop: Header=BB296_10 Depth=1
	s_or_b32 exec_lo, exec_lo, s20
	v_lshlrev_b32_e32 v4, 8, v4
	v_lshl_add_u32 v2, v2, 10, 0x2000
	v_lshlrev_b32_e32 v0, 7, v0
	v_and_b32_e32 v4, 0x8000, v4
	v_and_b32_e32 v2, 0xfc00, v2
	v_or3_b32 v2, v4, v2, v0
.LBB296_672:                            ;   in Loop: Header=BB296_10 Depth=1
	s_or_b32 exec_lo, exec_lo, s19
.LBB296_673:                            ;   in Loop: Header=BB296_10 Depth=1
	s_or_b32 exec_lo, exec_lo, s18
.LBB296_674:                            ;   in Loop: Header=BB296_10 Depth=1
	s_or_b32 exec_lo, exec_lo, s17
	v_mov_b32_e32 v19, 0
	v_mov_b32_e32 v12, 0
	s_mov_b32 s17, exec_lo
	v_cmpx_lt_u32_e32 0xffffff, v24
	s_cbranch_execz .LBB296_682
; %bb.675:                              ;   in Loop: Header=BB296_10 Depth=1
	v_lshrrev_b32_e32 v4, 24, v24
	v_bfrev_b32_e32 v12, 1
	s_mov_b32 s18, exec_lo
	v_cmpx_ne_u32_e32 0x80, v4
	s_cbranch_execz .LBB296_681
; %bb.676:                              ;   in Loop: Header=BB296_10 Depth=1
	v_and_b32_e32 v26, 0x7f, v4
	v_mov_b32_e32 v12, 0x7c010000
	s_mov_b32 s19, exec_lo
	v_cmpx_ne_u32_e32 0x7f, v26
	s_cbranch_execz .LBB296_680
; %bb.677:                              ;   in Loop: Header=BB296_10 Depth=1
	v_and_b32_e32 v0, 7, v4
	v_lshrrev_b32_e32 v8, 3, v26
	s_mov_b32 s20, exec_lo
	v_cmpx_gt_u32_e32 8, v26
; %bb.678:                              ;   in Loop: Header=BB296_10 Depth=1
	v_ffbh_u32_e32 v0, v0
	v_min_u32_e32 v0, 32, v0
	v_subrev_nc_u32_e32 v8, 28, v0
	v_lshlrev_b64 v[26:27], v8, v[4:5]
	v_sub_nc_u32_e32 v8, 29, v0
	v_and_b32_e32 v0, 7, v26
; %bb.679:                              ;   in Loop: Header=BB296_10 Depth=1
	s_or_b32 exec_lo, exec_lo, s20
	v_lshlrev_b32_e32 v4, 8, v4
	v_lshl_add_u32 v8, v8, 10, 0x2000
	v_lshlrev_b32_e32 v0, 23, v0
	v_and_or_b32 v4, 0x8000, v4, v8
	v_lshl_or_b32 v12, v4, 16, v0
.LBB296_680:                            ;   in Loop: Header=BB296_10 Depth=1
	s_or_b32 exec_lo, exec_lo, s19
.LBB296_681:                            ;   in Loop: Header=BB296_10 Depth=1
	s_or_b32 exec_lo, exec_lo, s18
.LBB296_682:                            ;   in Loop: Header=BB296_10 Depth=1
	s_or_b32 exec_lo, exec_lo, s17
	v_mov_b32_e32 v4, v25
	v_cmp_ne_u16_sdwa s5, v25, v5 src0_sel:BYTE_0 src1_sel:DWORD
	s_and_saveexec_b32 s17, s5
	s_cbranch_execz .LBB296_690
; %bb.683:                              ;   in Loop: Header=BB296_10 Depth=1
	v_cmp_ne_u16_sdwa s5, v25, v37 src0_sel:BYTE_0 src1_sel:DWORD
	v_mov_b32_e32 v19, 0x8000
	s_and_saveexec_b32 s18, s5
	s_cbranch_execz .LBB296_689
; %bb.684:                              ;   in Loop: Header=BB296_10 Depth=1
	v_and_b32_e32 v26, 0x7f, v25
	v_mov_b32_e32 v19, 0x7c01
	s_mov_b32 s19, exec_lo
	v_cmpx_ne_u32_e32 0x7f, v26
	s_cbranch_execz .LBB296_688
; %bb.685:                              ;   in Loop: Header=BB296_10 Depth=1
	v_and_b32_e32 v0, 7, v25
	v_lshrrev_b32_e32 v8, 3, v26
	s_mov_b32 s20, exec_lo
	v_cmpx_gt_u32_e32 8, v26
; %bb.686:                              ;   in Loop: Header=BB296_10 Depth=1
	v_ffbh_u32_e32 v0, v0
	v_min_u32_e32 v0, 32, v0
	v_subrev_nc_u32_e32 v8, 28, v0
	v_lshlrev_b64 v[26:27], v8, v[4:5]
	v_sub_nc_u32_e32 v8, 29, v0
	v_and_b32_e32 v0, 7, v26
; %bb.687:                              ;   in Loop: Header=BB296_10 Depth=1
	s_or_b32 exec_lo, exec_lo, s20
	v_lshlrev_b32_e32 v19, 8, v25
	v_lshl_add_u32 v8, v8, 10, 0x2000
	v_lshlrev_b32_e32 v0, 7, v0
	v_and_b32_e32 v19, 0x8000, v19
	v_and_b32_e32 v8, 0xfc00, v8
	v_or3_b32 v19, v19, v8, v0
.LBB296_688:                            ;   in Loop: Header=BB296_10 Depth=1
	s_or_b32 exec_lo, exec_lo, s19
.LBB296_689:                            ;   in Loop: Header=BB296_10 Depth=1
	s_or_b32 exec_lo, exec_lo, s18
.LBB296_690:                            ;   in Loop: Header=BB296_10 Depth=1
	s_or_b32 exec_lo, exec_lo, s17
	v_lshrrev_b16 v4, 8, v4
	v_mov_b32_e32 v38, 0
	v_mov_b32_e32 v31, 0
	s_mov_b32 s17, exec_lo
	v_cmpx_ne_u16_e32 0, v4
	s_cbranch_execz .LBB296_698
; %bb.691:                              ;   in Loop: Header=BB296_10 Depth=1
	v_bfrev_b32_e32 v31, 1
	s_mov_b32 s18, exec_lo
	v_cmpx_ne_u16_e32 0x80, v4
	s_cbranch_execz .LBB296_697
; %bb.692:                              ;   in Loop: Header=BB296_10 Depth=1
	v_mov_b32_e32 v0, 0x7f
	v_mov_b32_e32 v31, 0x7c010000
	s_mov_b32 s19, exec_lo
	v_and_b32_sdwa v26, v4, v0 dst_sel:DWORD dst_unused:UNUSED_PAD src0_sel:WORD_0 src1_sel:DWORD
	v_cmpx_ne_u32_e32 0x7f, v26
	s_cbranch_execz .LBB296_696
; %bb.693:                              ;   in Loop: Header=BB296_10 Depth=1
	v_mov_b32_e32 v0, 7
	v_lshrrev_b32_e32 v8, 3, v26
	s_mov_b32 s20, exec_lo
	v_and_b32_sdwa v0, v4, v0 dst_sel:DWORD dst_unused:UNUSED_PAD src0_sel:WORD_0 src1_sel:DWORD
	v_cmpx_gt_u32_e32 8, v26
; %bb.694:                              ;   in Loop: Header=BB296_10 Depth=1
	v_ffbh_u32_e32 v0, v0
	v_min_u32_e32 v0, 32, v0
	v_subrev_nc_u32_e32 v8, 28, v0
	v_lshlrev_b64 v[26:27], v8, v[4:5]
	v_sub_nc_u32_e32 v8, 29, v0
	v_and_b32_e32 v0, 7, v26
; %bb.695:                              ;   in Loop: Header=BB296_10 Depth=1
	s_or_b32 exec_lo, exec_lo, s20
	v_mov_b32_e32 v26, 8
	v_lshl_add_u32 v8, v8, 10, 0x2000
	v_lshlrev_b32_e32 v0, 23, v0
	v_lshlrev_b32_sdwa v4, v26, v4 dst_sel:DWORD dst_unused:UNUSED_PAD src0_sel:DWORD src1_sel:WORD_0
	v_and_or_b32 v4, 0x8000, v4, v8
	v_lshl_or_b32 v31, v4, 16, v0
.LBB296_696:                            ;   in Loop: Header=BB296_10 Depth=1
	s_or_b32 exec_lo, exec_lo, s19
.LBB296_697:                            ;   in Loop: Header=BB296_10 Depth=1
	s_or_b32 exec_lo, exec_lo, s18
.LBB296_698:                            ;   in Loop: Header=BB296_10 Depth=1
	s_or_b32 exec_lo, exec_lo, s17
	v_lshrrev_b32_e32 v4, 16, v25
	v_cmp_ne_u16_sdwa s5, v4, v5 src0_sel:BYTE_0 src1_sel:DWORD
	s_and_saveexec_b32 s17, s5
	s_cbranch_execz .LBB296_706
; %bb.699:                              ;   in Loop: Header=BB296_10 Depth=1
	v_cmp_ne_u16_sdwa s5, v4, v37 src0_sel:BYTE_0 src1_sel:DWORD
	v_mov_b32_e32 v38, 0x8000
	s_and_saveexec_b32 s18, s5
	s_cbranch_execz .LBB296_705
; %bb.700:                              ;   in Loop: Header=BB296_10 Depth=1
	v_bfe_u32 v26, v25, 16, 7
	v_mov_b32_e32 v38, 0x7c01
	s_mov_b32 s19, exec_lo
	v_cmpx_ne_u32_e32 0x7f, v26
	s_cbranch_execz .LBB296_704
; %bb.701:                              ;   in Loop: Header=BB296_10 Depth=1
	v_and_b32_e32 v0, 7, v4
	v_lshrrev_b32_e32 v8, 3, v26
	s_mov_b32 s20, exec_lo
	v_cmpx_gt_u32_e32 8, v26
; %bb.702:                              ;   in Loop: Header=BB296_10 Depth=1
	v_ffbh_u32_e32 v0, v0
	v_min_u32_e32 v0, 32, v0
	v_subrev_nc_u32_e32 v8, 28, v0
	v_lshlrev_b64 v[26:27], v8, v[4:5]
	v_sub_nc_u32_e32 v8, 29, v0
	v_and_b32_e32 v0, 7, v26
; %bb.703:                              ;   in Loop: Header=BB296_10 Depth=1
	s_or_b32 exec_lo, exec_lo, s20
	v_lshlrev_b32_e32 v4, 8, v4
	v_lshl_add_u32 v8, v8, 10, 0x2000
	v_lshlrev_b32_e32 v0, 7, v0
	v_and_b32_e32 v4, 0x8000, v4
	v_and_b32_e32 v8, 0xfc00, v8
	v_or3_b32 v38, v4, v8, v0
.LBB296_704:                            ;   in Loop: Header=BB296_10 Depth=1
	s_or_b32 exec_lo, exec_lo, s19
.LBB296_705:                            ;   in Loop: Header=BB296_10 Depth=1
	s_or_b32 exec_lo, exec_lo, s18
.LBB296_706:                            ;   in Loop: Header=BB296_10 Depth=1
	s_or_b32 exec_lo, exec_lo, s17
	v_mov_b32_e32 v0, 0
	v_mov_b32_e32 v70, 0
	s_mov_b32 s17, exec_lo
	v_cmpx_lt_u64_e64 s[6:7], v[24:25]
	s_cbranch_execz .LBB296_714
; %bb.707:                              ;   in Loop: Header=BB296_10 Depth=1
	v_lshrrev_b32_e32 v4, 24, v25
	v_bfrev_b32_e32 v70, 1
	s_mov_b32 s18, exec_lo
	v_cmpx_ne_u32_e32 0x80, v4
	s_cbranch_execz .LBB296_713
; %bb.708:                              ;   in Loop: Header=BB296_10 Depth=1
	v_and_b32_e32 v25, 0x7f, v4
	v_mov_b32_e32 v70, 0x7c010000
	s_mov_b32 s19, exec_lo
	v_cmpx_ne_u32_e32 0x7f, v25
	s_cbranch_execz .LBB296_712
; %bb.709:                              ;   in Loop: Header=BB296_10 Depth=1
	v_and_b32_e32 v8, 7, v4
	v_lshrrev_b32_e32 v24, 3, v25
	s_mov_b32 s20, exec_lo
	v_cmpx_gt_u32_e32 8, v25
; %bb.710:                              ;   in Loop: Header=BB296_10 Depth=1
	v_ffbh_u32_e32 v8, v8
	v_min_u32_e32 v8, 32, v8
	v_subrev_nc_u32_e32 v24, 28, v8
	v_lshlrev_b64 v[25:26], v24, v[4:5]
	v_sub_nc_u32_e32 v24, 29, v8
	v_and_b32_e32 v8, 7, v25
; %bb.711:                              ;   in Loop: Header=BB296_10 Depth=1
	s_or_b32 exec_lo, exec_lo, s20
	v_lshlrev_b32_e32 v4, 8, v4
	v_lshl_add_u32 v24, v24, 10, 0x2000
	v_lshlrev_b32_e32 v8, 23, v8
	v_and_or_b32 v4, 0x8000, v4, v24
	v_lshl_or_b32 v70, v4, 16, v8
.LBB296_712:                            ;   in Loop: Header=BB296_10 Depth=1
	s_or_b32 exec_lo, exec_lo, s19
.LBB296_713:                            ;   in Loop: Header=BB296_10 Depth=1
	s_or_b32 exec_lo, exec_lo, s18
.LBB296_714:                            ;   in Loop: Header=BB296_10 Depth=1
	s_or_b32 exec_lo, exec_lo, s17
	flat_load_dwordx2 v[24:25], v[16:17] offset:520
	s_waitcnt vmcnt(0) lgkmcnt(0)
	v_cmp_ne_u16_sdwa s5, v24, v5 src0_sel:BYTE_0 src1_sel:DWORD
	s_and_saveexec_b32 s17, s5
	s_cbranch_execz .LBB296_722
; %bb.715:                              ;   in Loop: Header=BB296_10 Depth=1
	v_cmp_ne_u16_sdwa s5, v24, v37 src0_sel:BYTE_0 src1_sel:DWORD
	v_mov_b32_e32 v0, 0x8000
	s_and_saveexec_b32 s18, s5
	s_cbranch_execz .LBB296_721
; %bb.716:                              ;   in Loop: Header=BB296_10 Depth=1
	v_and_b32_e32 v8, 0x7f, v24
	v_mov_b32_e32 v0, 0x7c01
	s_mov_b32 s19, exec_lo
	v_cmpx_ne_u32_e32 0x7f, v8
	s_cbranch_execz .LBB296_720
; %bb.717:                              ;   in Loop: Header=BB296_10 Depth=1
	v_and_b32_e32 v0, 7, v24
	v_lshrrev_b32_e32 v4, 3, v8
	s_mov_b32 s20, exec_lo
	v_cmpx_gt_u32_e32 8, v8
; %bb.718:                              ;   in Loop: Header=BB296_10 Depth=1
	v_ffbh_u32_e32 v0, v0
	v_min_u32_e32 v0, 32, v0
	v_subrev_nc_u32_e32 v4, 28, v0
	v_lshlrev_b64 v[26:27], v4, v[24:25]
	v_sub_nc_u32_e32 v4, 29, v0
	v_and_b32_e32 v0, 7, v26
; %bb.719:                              ;   in Loop: Header=BB296_10 Depth=1
	s_or_b32 exec_lo, exec_lo, s20
	v_lshlrev_b32_e32 v8, 8, v24
	v_lshl_add_u32 v4, v4, 10, 0x2000
	v_lshlrev_b32_e32 v0, 7, v0
	v_and_b32_e32 v8, 0x8000, v8
	v_and_b32_e32 v4, 0xfc00, v4
	v_or3_b32 v0, v8, v4, v0
.LBB296_720:                            ;   in Loop: Header=BB296_10 Depth=1
	s_or_b32 exec_lo, exec_lo, s19
.LBB296_721:                            ;   in Loop: Header=BB296_10 Depth=1
	s_or_b32 exec_lo, exec_lo, s18
.LBB296_722:                            ;   in Loop: Header=BB296_10 Depth=1
	s_or_b32 exec_lo, exec_lo, s17
	v_lshrrev_b16 v4, 8, v24
	v_mov_b32_e32 v26, 0
	v_mov_b32_e32 v8, 0
	s_mov_b32 s17, exec_lo
	v_cmpx_ne_u16_e32 0, v4
	s_cbranch_execz .LBB296_730
; %bb.723:                              ;   in Loop: Header=BB296_10 Depth=1
	v_bfrev_b32_e32 v8, 1
	s_mov_b32 s18, exec_lo
	v_cmpx_ne_u16_e32 0x80, v4
	s_cbranch_execz .LBB296_729
; %bb.724:                              ;   in Loop: Header=BB296_10 Depth=1
	v_mov_b32_e32 v8, 0x7f
	s_mov_b32 s19, exec_lo
	v_and_b32_sdwa v49, v4, v8 dst_sel:DWORD dst_unused:UNUSED_PAD src0_sel:WORD_0 src1_sel:DWORD
	v_mov_b32_e32 v8, 0x7c010000
	v_cmpx_ne_u32_e32 0x7f, v49
	s_cbranch_execz .LBB296_728
; %bb.725:                              ;   in Loop: Header=BB296_10 Depth=1
	v_mov_b32_e32 v8, 7
	v_lshrrev_b32_e32 v27, 3, v49
	s_mov_b32 s20, exec_lo
	v_and_b32_sdwa v8, v4, v8 dst_sel:DWORD dst_unused:UNUSED_PAD src0_sel:WORD_0 src1_sel:DWORD
	v_cmpx_gt_u32_e32 8, v49
; %bb.726:                              ;   in Loop: Header=BB296_10 Depth=1
	v_ffbh_u32_e32 v8, v8
	v_min_u32_e32 v8, 32, v8
	v_subrev_nc_u32_e32 v27, 28, v8
	v_lshlrev_b64 v[51:52], v27, v[4:5]
	v_sub_nc_u32_e32 v27, 29, v8
	v_and_b32_e32 v8, 7, v51
; %bb.727:                              ;   in Loop: Header=BB296_10 Depth=1
	s_or_b32 exec_lo, exec_lo, s20
	v_mov_b32_e32 v49, 8
	v_lshl_add_u32 v27, v27, 10, 0x2000
	v_lshlrev_b32_e32 v8, 23, v8
	v_lshlrev_b32_sdwa v4, v49, v4 dst_sel:DWORD dst_unused:UNUSED_PAD src0_sel:DWORD src1_sel:WORD_0
	v_and_or_b32 v4, 0x8000, v4, v27
	v_lshl_or_b32 v8, v4, 16, v8
.LBB296_728:                            ;   in Loop: Header=BB296_10 Depth=1
	s_or_b32 exec_lo, exec_lo, s19
.LBB296_729:                            ;   in Loop: Header=BB296_10 Depth=1
	s_or_b32 exec_lo, exec_lo, s18
.LBB296_730:                            ;   in Loop: Header=BB296_10 Depth=1
	s_or_b32 exec_lo, exec_lo, s17
	v_lshrrev_b32_e32 v4, 16, v24
	v_cmp_ne_u16_sdwa s5, v4, v5 src0_sel:BYTE_0 src1_sel:DWORD
	s_and_saveexec_b32 s17, s5
	s_cbranch_execz .LBB296_738
; %bb.731:                              ;   in Loop: Header=BB296_10 Depth=1
	v_cmp_ne_u16_sdwa s5, v4, v37 src0_sel:BYTE_0 src1_sel:DWORD
	v_mov_b32_e32 v26, 0x8000
	s_and_saveexec_b32 s18, s5
	s_cbranch_execz .LBB296_737
; %bb.732:                              ;   in Loop: Header=BB296_10 Depth=1
	v_bfe_u32 v49, v24, 16, 7
	v_mov_b32_e32 v26, 0x7c01
	s_mov_b32 s19, exec_lo
	v_cmpx_ne_u32_e32 0x7f, v49
	s_cbranch_execz .LBB296_736
; %bb.733:                              ;   in Loop: Header=BB296_10 Depth=1
	v_and_b32_e32 v26, 7, v4
	v_lshrrev_b32_e32 v27, 3, v49
	s_mov_b32 s20, exec_lo
	v_cmpx_gt_u32_e32 8, v49
; %bb.734:                              ;   in Loop: Header=BB296_10 Depth=1
	v_ffbh_u32_e32 v26, v26
	v_min_u32_e32 v49, 32, v26
	v_subrev_nc_u32_e32 v26, 28, v49
	v_lshlrev_b64 v[26:27], v26, v[4:5]
	v_sub_nc_u32_e32 v27, 29, v49
	v_and_b32_e32 v26, 7, v26
; %bb.735:                              ;   in Loop: Header=BB296_10 Depth=1
	s_or_b32 exec_lo, exec_lo, s20
	v_lshlrev_b32_e32 v4, 8, v4
	v_lshl_add_u32 v27, v27, 10, 0x2000
	v_lshlrev_b32_e32 v26, 7, v26
	v_and_b32_e32 v4, 0x8000, v4
	v_and_b32_e32 v27, 0xfc00, v27
	v_or3_b32 v26, v4, v27, v26
.LBB296_736:                            ;   in Loop: Header=BB296_10 Depth=1
	s_or_b32 exec_lo, exec_lo, s19
.LBB296_737:                            ;   in Loop: Header=BB296_10 Depth=1
	s_or_b32 exec_lo, exec_lo, s18
.LBB296_738:                            ;   in Loop: Header=BB296_10 Depth=1
	s_or_b32 exec_lo, exec_lo, s17
	v_mov_b32_e32 v27, 0
	v_mov_b32_e32 v120, 0
	s_mov_b32 s17, exec_lo
	v_cmpx_lt_u32_e32 0xffffff, v24
	s_cbranch_execz .LBB296_746
; %bb.739:                              ;   in Loop: Header=BB296_10 Depth=1
	v_lshrrev_b32_e32 v4, 24, v24
	v_bfrev_b32_e32 v120, 1
	s_mov_b32 s18, exec_lo
	v_cmpx_ne_u32_e32 0x80, v4
	s_cbranch_execz .LBB296_745
; %bb.740:                              ;   in Loop: Header=BB296_10 Depth=1
	v_and_b32_e32 v52, 0x7f, v4
	v_mov_b32_e32 v120, 0x7c010000
	s_mov_b32 s19, exec_lo
	v_cmpx_ne_u32_e32 0x7f, v52
	s_cbranch_execz .LBB296_744
; %bb.741:                              ;   in Loop: Header=BB296_10 Depth=1
	v_and_b32_e32 v49, 7, v4
	v_lshrrev_b32_e32 v51, 3, v52
	s_mov_b32 s20, exec_lo
	v_cmpx_gt_u32_e32 8, v52
; %bb.742:                              ;   in Loop: Header=BB296_10 Depth=1
	v_ffbh_u32_e32 v49, v49
	v_min_u32_e32 v49, 32, v49
	v_subrev_nc_u32_e32 v51, 28, v49
	v_lshlrev_b64 v[60:61], v51, v[4:5]
	v_sub_nc_u32_e32 v51, 29, v49
	v_and_b32_e32 v49, 7, v60
; %bb.743:                              ;   in Loop: Header=BB296_10 Depth=1
	s_or_b32 exec_lo, exec_lo, s20
	v_lshlrev_b32_e32 v4, 8, v4
	v_lshl_add_u32 v51, v51, 10, 0x2000
	v_lshlrev_b32_e32 v49, 23, v49
	v_and_or_b32 v4, 0x8000, v4, v51
	v_lshl_or_b32 v120, v4, 16, v49
.LBB296_744:                            ;   in Loop: Header=BB296_10 Depth=1
	s_or_b32 exec_lo, exec_lo, s19
.LBB296_745:                            ;   in Loop: Header=BB296_10 Depth=1
	s_or_b32 exec_lo, exec_lo, s18
.LBB296_746:                            ;   in Loop: Header=BB296_10 Depth=1
	s_or_b32 exec_lo, exec_lo, s17
	v_mov_b32_e32 v4, v25
	v_cmp_ne_u16_sdwa s5, v25, v5 src0_sel:BYTE_0 src1_sel:DWORD
	s_and_saveexec_b32 s17, s5
	s_cbranch_execz .LBB296_754
; %bb.747:                              ;   in Loop: Header=BB296_10 Depth=1
	v_cmp_ne_u16_sdwa s5, v25, v37 src0_sel:BYTE_0 src1_sel:DWORD
	v_mov_b32_e32 v27, 0x8000
	s_and_saveexec_b32 s18, s5
	s_cbranch_execz .LBB296_753
; %bb.748:                              ;   in Loop: Header=BB296_10 Depth=1
	v_and_b32_e32 v51, 0x7f, v25
	v_mov_b32_e32 v27, 0x7c01
	s_mov_b32 s19, exec_lo
	v_cmpx_ne_u32_e32 0x7f, v51
	s_cbranch_execz .LBB296_752
; %bb.749:                              ;   in Loop: Header=BB296_10 Depth=1
	v_and_b32_e32 v27, 7, v25
	v_lshrrev_b32_e32 v49, 3, v51
	s_mov_b32 s20, exec_lo
	v_cmpx_gt_u32_e32 8, v51
; %bb.750:                              ;   in Loop: Header=BB296_10 Depth=1
	v_ffbh_u32_e32 v27, v27
	v_min_u32_e32 v27, 32, v27
	v_subrev_nc_u32_e32 v49, 28, v27
	v_lshlrev_b64 v[51:52], v49, v[4:5]
	v_sub_nc_u32_e32 v49, 29, v27
	v_and_b32_e32 v27, 7, v51
; %bb.751:                              ;   in Loop: Header=BB296_10 Depth=1
	s_or_b32 exec_lo, exec_lo, s20
	v_lshlrev_b32_e32 v51, 8, v25
	v_lshl_add_u32 v49, v49, 10, 0x2000
	v_lshlrev_b32_e32 v27, 7, v27
	v_and_b32_e32 v51, 0x8000, v51
	v_and_b32_e32 v49, 0xfc00, v49
	v_or3_b32 v27, v51, v49, v27
.LBB296_752:                            ;   in Loop: Header=BB296_10 Depth=1
	s_or_b32 exec_lo, exec_lo, s19
.LBB296_753:                            ;   in Loop: Header=BB296_10 Depth=1
	s_or_b32 exec_lo, exec_lo, s18
.LBB296_754:                            ;   in Loop: Header=BB296_10 Depth=1
	s_or_b32 exec_lo, exec_lo, s17
	v_lshrrev_b16 v4, 8, v4
	v_mov_b32_e32 v121, 0
	v_mov_b32_e32 v124, 0
	s_mov_b32 s17, exec_lo
	v_cmpx_ne_u16_e32 0, v4
	s_cbranch_execz .LBB296_762
; %bb.755:                              ;   in Loop: Header=BB296_10 Depth=1
	v_bfrev_b32_e32 v124, 1
	s_mov_b32 s18, exec_lo
	v_cmpx_ne_u16_e32 0x80, v4
	s_cbranch_execz .LBB296_761
; %bb.756:                              ;   in Loop: Header=BB296_10 Depth=1
	v_mov_b32_e32 v49, 0x7f
	v_mov_b32_e32 v124, 0x7c010000
	s_mov_b32 s19, exec_lo
	v_and_b32_sdwa v52, v4, v49 dst_sel:DWORD dst_unused:UNUSED_PAD src0_sel:WORD_0 src1_sel:DWORD
	v_cmpx_ne_u32_e32 0x7f, v52
	s_cbranch_execz .LBB296_760
; %bb.757:                              ;   in Loop: Header=BB296_10 Depth=1
	v_mov_b32_e32 v49, 7
	v_lshrrev_b32_e32 v51, 3, v52
	s_mov_b32 s20, exec_lo
	v_and_b32_sdwa v49, v4, v49 dst_sel:DWORD dst_unused:UNUSED_PAD src0_sel:WORD_0 src1_sel:DWORD
	v_cmpx_gt_u32_e32 8, v52
; %bb.758:                              ;   in Loop: Header=BB296_10 Depth=1
	v_ffbh_u32_e32 v49, v49
	v_min_u32_e32 v49, 32, v49
	v_subrev_nc_u32_e32 v51, 28, v49
	v_lshlrev_b64 v[60:61], v51, v[4:5]
	v_sub_nc_u32_e32 v51, 29, v49
	v_and_b32_e32 v49, 7, v60
; %bb.759:                              ;   in Loop: Header=BB296_10 Depth=1
	s_or_b32 exec_lo, exec_lo, s20
	v_mov_b32_e32 v52, 8
	v_lshl_add_u32 v51, v51, 10, 0x2000
	v_lshlrev_b32_e32 v49, 23, v49
	v_lshlrev_b32_sdwa v4, v52, v4 dst_sel:DWORD dst_unused:UNUSED_PAD src0_sel:DWORD src1_sel:WORD_0
	v_and_or_b32 v4, 0x8000, v4, v51
	v_lshl_or_b32 v124, v4, 16, v49
.LBB296_760:                            ;   in Loop: Header=BB296_10 Depth=1
	s_or_b32 exec_lo, exec_lo, s19
.LBB296_761:                            ;   in Loop: Header=BB296_10 Depth=1
	s_or_b32 exec_lo, exec_lo, s18
.LBB296_762:                            ;   in Loop: Header=BB296_10 Depth=1
	s_or_b32 exec_lo, exec_lo, s17
	v_lshrrev_b32_e32 v4, 16, v25
	v_cmp_ne_u16_sdwa s5, v4, v5 src0_sel:BYTE_0 src1_sel:DWORD
	s_and_saveexec_b32 s17, s5
	s_cbranch_execz .LBB296_770
; %bb.763:                              ;   in Loop: Header=BB296_10 Depth=1
	v_cmp_ne_u16_sdwa s5, v4, v37 src0_sel:BYTE_0 src1_sel:DWORD
	v_mov_b32_e32 v121, 0x8000
	s_and_saveexec_b32 s18, s5
	s_cbranch_execz .LBB296_769
; %bb.764:                              ;   in Loop: Header=BB296_10 Depth=1
	v_bfe_u32 v52, v25, 16, 7
	v_mov_b32_e32 v121, 0x7c01
	s_mov_b32 s19, exec_lo
	v_cmpx_ne_u32_e32 0x7f, v52
	s_cbranch_execz .LBB296_768
; %bb.765:                              ;   in Loop: Header=BB296_10 Depth=1
	v_and_b32_e32 v49, 7, v4
	v_lshrrev_b32_e32 v51, 3, v52
	s_mov_b32 s20, exec_lo
	v_cmpx_gt_u32_e32 8, v52
; %bb.766:                              ;   in Loop: Header=BB296_10 Depth=1
	v_ffbh_u32_e32 v49, v49
	v_min_u32_e32 v49, 32, v49
	v_subrev_nc_u32_e32 v51, 28, v49
	v_lshlrev_b64 v[60:61], v51, v[4:5]
	v_sub_nc_u32_e32 v51, 29, v49
	v_and_b32_e32 v49, 7, v60
; %bb.767:                              ;   in Loop: Header=BB296_10 Depth=1
	s_or_b32 exec_lo, exec_lo, s20
	v_lshlrev_b32_e32 v4, 8, v4
	v_lshl_add_u32 v51, v51, 10, 0x2000
	v_lshlrev_b32_e32 v49, 7, v49
	v_and_b32_e32 v4, 0x8000, v4
	v_and_b32_e32 v51, 0xfc00, v51
	v_or3_b32 v121, v4, v51, v49
.LBB296_768:                            ;   in Loop: Header=BB296_10 Depth=1
	s_or_b32 exec_lo, exec_lo, s19
.LBB296_769:                            ;   in Loop: Header=BB296_10 Depth=1
	s_or_b32 exec_lo, exec_lo, s18
.LBB296_770:                            ;   in Loop: Header=BB296_10 Depth=1
	s_or_b32 exec_lo, exec_lo, s17
	v_mov_b32_e32 v90, 0
	v_mov_b32_e32 v64, 0
	s_mov_b32 s17, exec_lo
	v_cmpx_lt_u64_e64 s[6:7], v[24:25]
	s_cbranch_execz .LBB296_778
; %bb.771:                              ;   in Loop: Header=BB296_10 Depth=1
	v_lshrrev_b32_e32 v4, 24, v25
	v_bfrev_b32_e32 v64, 1
	s_mov_b32 s18, exec_lo
	v_cmpx_ne_u32_e32 0x80, v4
	s_cbranch_execz .LBB296_777
; %bb.772:                              ;   in Loop: Header=BB296_10 Depth=1
	v_and_b32_e32 v49, 0x7f, v4
	v_mov_b32_e32 v64, 0x7c010000
	s_mov_b32 s19, exec_lo
	v_cmpx_ne_u32_e32 0x7f, v49
	s_cbranch_execz .LBB296_776
; %bb.773:                              ;   in Loop: Header=BB296_10 Depth=1
	v_and_b32_e32 v24, 7, v4
	v_lshrrev_b32_e32 v25, 3, v49
	s_mov_b32 s20, exec_lo
	v_cmpx_gt_u32_e32 8, v49
; %bb.774:                              ;   in Loop: Header=BB296_10 Depth=1
	v_ffbh_u32_e32 v24, v24
	v_min_u32_e32 v49, 32, v24
	v_subrev_nc_u32_e32 v24, 28, v49
	v_lshlrev_b64 v[24:25], v24, v[4:5]
	v_sub_nc_u32_e32 v25, 29, v49
	v_and_b32_e32 v24, 7, v24
; %bb.775:                              ;   in Loop: Header=BB296_10 Depth=1
	s_or_b32 exec_lo, exec_lo, s20
	v_lshlrev_b32_e32 v4, 8, v4
	v_lshl_add_u32 v25, v25, 10, 0x2000
	v_lshlrev_b32_e32 v24, 23, v24
	v_and_or_b32 v4, 0x8000, v4, v25
	v_lshl_or_b32 v64, v4, 16, v24
.LBB296_776:                            ;   in Loop: Header=BB296_10 Depth=1
	s_or_b32 exec_lo, exec_lo, s19
.LBB296_777:                            ;   in Loop: Header=BB296_10 Depth=1
	s_or_b32 exec_lo, exec_lo, s18
.LBB296_778:                            ;   in Loop: Header=BB296_10 Depth=1
	s_or_b32 exec_lo, exec_lo, s17
	flat_load_dwordx2 v[24:25], v[16:17] offset:1024
	s_waitcnt vmcnt(0) lgkmcnt(0)
	v_cmp_ne_u16_sdwa s5, v24, v5 src0_sel:BYTE_0 src1_sel:DWORD
	s_and_saveexec_b32 s17, s5
	s_cbranch_execz .LBB296_786
; %bb.779:                              ;   in Loop: Header=BB296_10 Depth=1
	v_cmp_ne_u16_sdwa s5, v24, v37 src0_sel:BYTE_0 src1_sel:DWORD
	v_mov_b32_e32 v90, 0x8000
	s_and_saveexec_b32 s18, s5
	s_cbranch_execz .LBB296_785
; %bb.780:                              ;   in Loop: Header=BB296_10 Depth=1
	v_and_b32_e32 v51, 0x7f, v24
	v_mov_b32_e32 v90, 0x7c01
	s_mov_b32 s19, exec_lo
	v_cmpx_ne_u32_e32 0x7f, v51
	s_cbranch_execz .LBB296_784
; %bb.781:                              ;   in Loop: Header=BB296_10 Depth=1
	v_and_b32_e32 v4, 7, v24
	v_lshrrev_b32_e32 v49, 3, v51
	s_mov_b32 s20, exec_lo
	v_cmpx_gt_u32_e32 8, v51
; %bb.782:                              ;   in Loop: Header=BB296_10 Depth=1
	v_ffbh_u32_e32 v4, v4
	v_min_u32_e32 v4, 32, v4
	v_subrev_nc_u32_e32 v49, 28, v4
	v_lshlrev_b64 v[51:52], v49, v[24:25]
	v_sub_nc_u32_e32 v49, 29, v4
	v_and_b32_e32 v4, 7, v51
; %bb.783:                              ;   in Loop: Header=BB296_10 Depth=1
	s_or_b32 exec_lo, exec_lo, s20
	v_lshlrev_b32_e32 v51, 8, v24
	v_lshl_add_u32 v49, v49, 10, 0x2000
	v_lshlrev_b32_e32 v4, 7, v4
	v_and_b32_e32 v51, 0x8000, v51
	v_and_b32_e32 v49, 0xfc00, v49
	v_or3_b32 v90, v51, v49, v4
.LBB296_784:                            ;   in Loop: Header=BB296_10 Depth=1
	s_or_b32 exec_lo, exec_lo, s19
.LBB296_785:                            ;   in Loop: Header=BB296_10 Depth=1
	s_or_b32 exec_lo, exec_lo, s18
.LBB296_786:                            ;   in Loop: Header=BB296_10 Depth=1
	s_or_b32 exec_lo, exec_lo, s17
	v_lshrrev_b16 v4, 8, v24
	v_mov_b32_e32 v104, 0
	v_mov_b32_e32 v91, 0
	s_mov_b32 s17, exec_lo
	v_cmpx_ne_u16_e32 0, v4
	s_cbranch_execz .LBB296_794
; %bb.787:                              ;   in Loop: Header=BB296_10 Depth=1
	v_bfrev_b32_e32 v91, 1
	s_mov_b32 s18, exec_lo
	v_cmpx_ne_u16_e32 0x80, v4
	s_cbranch_execz .LBB296_793
; %bb.788:                              ;   in Loop: Header=BB296_10 Depth=1
	v_mov_b32_e32 v49, 0x7f
	v_mov_b32_e32 v91, 0x7c010000
	s_mov_b32 s19, exec_lo
	v_and_b32_sdwa v52, v4, v49 dst_sel:DWORD dst_unused:UNUSED_PAD src0_sel:WORD_0 src1_sel:DWORD
	v_cmpx_ne_u32_e32 0x7f, v52
	s_cbranch_execz .LBB296_792
; %bb.789:                              ;   in Loop: Header=BB296_10 Depth=1
	v_mov_b32_e32 v49, 7
	v_lshrrev_b32_e32 v51, 3, v52
	s_mov_b32 s20, exec_lo
	v_and_b32_sdwa v49, v4, v49 dst_sel:DWORD dst_unused:UNUSED_PAD src0_sel:WORD_0 src1_sel:DWORD
	v_cmpx_gt_u32_e32 8, v52
; %bb.790:                              ;   in Loop: Header=BB296_10 Depth=1
	v_ffbh_u32_e32 v49, v49
	v_min_u32_e32 v49, 32, v49
	v_subrev_nc_u32_e32 v51, 28, v49
	v_lshlrev_b64 v[60:61], v51, v[4:5]
	v_sub_nc_u32_e32 v51, 29, v49
	v_and_b32_e32 v49, 7, v60
; %bb.791:                              ;   in Loop: Header=BB296_10 Depth=1
	s_or_b32 exec_lo, exec_lo, s20
	v_mov_b32_e32 v52, 8
	v_lshl_add_u32 v51, v51, 10, 0x2000
	v_lshlrev_b32_e32 v49, 23, v49
	v_lshlrev_b32_sdwa v4, v52, v4 dst_sel:DWORD dst_unused:UNUSED_PAD src0_sel:DWORD src1_sel:WORD_0
	v_and_or_b32 v4, 0x8000, v4, v51
	v_lshl_or_b32 v91, v4, 16, v49
.LBB296_792:                            ;   in Loop: Header=BB296_10 Depth=1
	s_or_b32 exec_lo, exec_lo, s19
.LBB296_793:                            ;   in Loop: Header=BB296_10 Depth=1
	s_or_b32 exec_lo, exec_lo, s18
.LBB296_794:                            ;   in Loop: Header=BB296_10 Depth=1
	s_or_b32 exec_lo, exec_lo, s17
	v_lshrrev_b32_e32 v4, 16, v24
	v_cmp_ne_u16_sdwa s5, v4, v5 src0_sel:BYTE_0 src1_sel:DWORD
	s_and_saveexec_b32 s17, s5
	s_cbranch_execz .LBB296_802
; %bb.795:                              ;   in Loop: Header=BB296_10 Depth=1
	v_cmp_ne_u16_sdwa s5, v4, v37 src0_sel:BYTE_0 src1_sel:DWORD
	v_mov_b32_e32 v104, 0x8000
	s_and_saveexec_b32 s18, s5
	s_cbranch_execz .LBB296_801
; %bb.796:                              ;   in Loop: Header=BB296_10 Depth=1
	v_bfe_u32 v52, v24, 16, 7
	v_mov_b32_e32 v104, 0x7c01
	s_mov_b32 s19, exec_lo
	v_cmpx_ne_u32_e32 0x7f, v52
	s_cbranch_execz .LBB296_800
; %bb.797:                              ;   in Loop: Header=BB296_10 Depth=1
	v_and_b32_e32 v49, 7, v4
	v_lshrrev_b32_e32 v51, 3, v52
	s_mov_b32 s20, exec_lo
	v_cmpx_gt_u32_e32 8, v52
; %bb.798:                              ;   in Loop: Header=BB296_10 Depth=1
	v_ffbh_u32_e32 v49, v49
	v_min_u32_e32 v49, 32, v49
	v_subrev_nc_u32_e32 v51, 28, v49
	v_lshlrev_b64 v[60:61], v51, v[4:5]
	v_sub_nc_u32_e32 v51, 29, v49
	v_and_b32_e32 v49, 7, v60
; %bb.799:                              ;   in Loop: Header=BB296_10 Depth=1
	s_or_b32 exec_lo, exec_lo, s20
	v_lshlrev_b32_e32 v4, 8, v4
	v_lshl_add_u32 v51, v51, 10, 0x2000
	v_lshlrev_b32_e32 v49, 7, v49
	v_and_b32_e32 v4, 0x8000, v4
	v_and_b32_e32 v51, 0xfc00, v51
	v_or3_b32 v104, v4, v51, v49
.LBB296_800:                            ;   in Loop: Header=BB296_10 Depth=1
	s_or_b32 exec_lo, exec_lo, s19
.LBB296_801:                            ;   in Loop: Header=BB296_10 Depth=1
	s_or_b32 exec_lo, exec_lo, s18
.LBB296_802:                            ;   in Loop: Header=BB296_10 Depth=1
	s_or_b32 exec_lo, exec_lo, s17
	v_mov_b32_e32 v105, 0
	v_mov_b32_e32 v106, 0
	s_mov_b32 s17, exec_lo
	v_cmpx_lt_u32_e32 0xffffff, v24
	s_cbranch_execz .LBB296_810
; %bb.803:                              ;   in Loop: Header=BB296_10 Depth=1
	v_lshrrev_b32_e32 v4, 24, v24
	v_bfrev_b32_e32 v106, 1
	s_mov_b32 s18, exec_lo
	v_cmpx_ne_u32_e32 0x80, v4
	s_cbranch_execz .LBB296_809
; %bb.804:                              ;   in Loop: Header=BB296_10 Depth=1
	v_and_b32_e32 v52, 0x7f, v4
	v_mov_b32_e32 v106, 0x7c010000
	s_mov_b32 s19, exec_lo
	v_cmpx_ne_u32_e32 0x7f, v52
	s_cbranch_execz .LBB296_808
; %bb.805:                              ;   in Loop: Header=BB296_10 Depth=1
	v_and_b32_e32 v49, 7, v4
	v_lshrrev_b32_e32 v51, 3, v52
	s_mov_b32 s20, exec_lo
	v_cmpx_gt_u32_e32 8, v52
; %bb.806:                              ;   in Loop: Header=BB296_10 Depth=1
	v_ffbh_u32_e32 v49, v49
	v_min_u32_e32 v49, 32, v49
	v_subrev_nc_u32_e32 v51, 28, v49
	v_lshlrev_b64 v[60:61], v51, v[4:5]
	v_sub_nc_u32_e32 v51, 29, v49
	v_and_b32_e32 v49, 7, v60
; %bb.807:                              ;   in Loop: Header=BB296_10 Depth=1
	s_or_b32 exec_lo, exec_lo, s20
	v_lshlrev_b32_e32 v4, 8, v4
	v_lshl_add_u32 v51, v51, 10, 0x2000
	v_lshlrev_b32_e32 v49, 23, v49
	v_and_or_b32 v4, 0x8000, v4, v51
	v_lshl_or_b32 v106, v4, 16, v49
.LBB296_808:                            ;   in Loop: Header=BB296_10 Depth=1
	s_or_b32 exec_lo, exec_lo, s19
.LBB296_809:                            ;   in Loop: Header=BB296_10 Depth=1
	s_or_b32 exec_lo, exec_lo, s18
.LBB296_810:                            ;   in Loop: Header=BB296_10 Depth=1
	s_or_b32 exec_lo, exec_lo, s17
	v_mov_b32_e32 v4, v25
	v_cmp_ne_u16_sdwa s5, v25, v5 src0_sel:BYTE_0 src1_sel:DWORD
	s_and_saveexec_b32 s17, s5
	s_cbranch_execz .LBB296_818
; %bb.811:                              ;   in Loop: Header=BB296_10 Depth=1
	v_cmp_ne_u16_sdwa s5, v25, v37 src0_sel:BYTE_0 src1_sel:DWORD
	v_mov_b32_e32 v105, 0x8000
	s_and_saveexec_b32 s18, s5
	s_cbranch_execz .LBB296_817
; %bb.812:                              ;   in Loop: Header=BB296_10 Depth=1
	v_and_b32_e32 v52, 0x7f, v25
	v_mov_b32_e32 v105, 0x7c01
	s_mov_b32 s19, exec_lo
	v_cmpx_ne_u32_e32 0x7f, v52
	s_cbranch_execz .LBB296_816
; %bb.813:                              ;   in Loop: Header=BB296_10 Depth=1
	v_and_b32_e32 v49, 7, v25
	v_lshrrev_b32_e32 v51, 3, v52
	s_mov_b32 s20, exec_lo
	v_cmpx_gt_u32_e32 8, v52
; %bb.814:                              ;   in Loop: Header=BB296_10 Depth=1
	v_ffbh_u32_e32 v49, v49
	v_min_u32_e32 v49, 32, v49
	v_subrev_nc_u32_e32 v51, 28, v49
	v_lshlrev_b64 v[60:61], v51, v[4:5]
	v_sub_nc_u32_e32 v51, 29, v49
	v_and_b32_e32 v49, 7, v60
; %bb.815:                              ;   in Loop: Header=BB296_10 Depth=1
	s_or_b32 exec_lo, exec_lo, s20
	v_lshlrev_b32_e32 v52, 8, v25
	v_lshl_add_u32 v51, v51, 10, 0x2000
	v_lshlrev_b32_e32 v49, 7, v49
	v_and_b32_e32 v52, 0x8000, v52
	v_and_b32_e32 v51, 0xfc00, v51
	v_or3_b32 v105, v52, v51, v49
.LBB296_816:                            ;   in Loop: Header=BB296_10 Depth=1
	s_or_b32 exec_lo, exec_lo, s19
.LBB296_817:                            ;   in Loop: Header=BB296_10 Depth=1
	s_or_b32 exec_lo, exec_lo, s18
.LBB296_818:                            ;   in Loop: Header=BB296_10 Depth=1
	s_or_b32 exec_lo, exec_lo, s17
	v_lshrrev_b16 v4, 8, v4
	v_mov_b32_e32 v125, 0
	v_mov_b32_e32 v126, 0
	s_mov_b32 s17, exec_lo
	v_cmpx_ne_u16_e32 0, v4
	s_cbranch_execz .LBB296_826
; %bb.819:                              ;   in Loop: Header=BB296_10 Depth=1
	v_bfrev_b32_e32 v126, 1
	s_mov_b32 s18, exec_lo
	v_cmpx_ne_u16_e32 0x80, v4
	s_cbranch_execz .LBB296_825
; %bb.820:                              ;   in Loop: Header=BB296_10 Depth=1
	v_mov_b32_e32 v49, 0x7f
	v_mov_b32_e32 v126, 0x7c010000
	s_mov_b32 s19, exec_lo
	v_and_b32_sdwa v52, v4, v49 dst_sel:DWORD dst_unused:UNUSED_PAD src0_sel:WORD_0 src1_sel:DWORD
	v_cmpx_ne_u32_e32 0x7f, v52
	s_cbranch_execz .LBB296_824
; %bb.821:                              ;   in Loop: Header=BB296_10 Depth=1
	v_mov_b32_e32 v49, 7
	v_lshrrev_b32_e32 v51, 3, v52
	s_mov_b32 s20, exec_lo
	v_and_b32_sdwa v49, v4, v49 dst_sel:DWORD dst_unused:UNUSED_PAD src0_sel:WORD_0 src1_sel:DWORD
	v_cmpx_gt_u32_e32 8, v52
; %bb.822:                              ;   in Loop: Header=BB296_10 Depth=1
	v_ffbh_u32_e32 v49, v49
	v_min_u32_e32 v49, 32, v49
	v_subrev_nc_u32_e32 v51, 28, v49
	v_lshlrev_b64 v[60:61], v51, v[4:5]
	v_sub_nc_u32_e32 v51, 29, v49
	v_and_b32_e32 v49, 7, v60
; %bb.823:                              ;   in Loop: Header=BB296_10 Depth=1
	s_or_b32 exec_lo, exec_lo, s20
	v_mov_b32_e32 v52, 8
	v_lshl_add_u32 v51, v51, 10, 0x2000
	v_lshlrev_b32_e32 v49, 23, v49
	v_lshlrev_b32_sdwa v4, v52, v4 dst_sel:DWORD dst_unused:UNUSED_PAD src0_sel:DWORD src1_sel:WORD_0
	v_and_or_b32 v4, 0x8000, v4, v51
	v_lshl_or_b32 v126, v4, 16, v49
.LBB296_824:                            ;   in Loop: Header=BB296_10 Depth=1
	s_or_b32 exec_lo, exec_lo, s19
.LBB296_825:                            ;   in Loop: Header=BB296_10 Depth=1
	s_or_b32 exec_lo, exec_lo, s18
.LBB296_826:                            ;   in Loop: Header=BB296_10 Depth=1
	s_or_b32 exec_lo, exec_lo, s17
	v_lshrrev_b32_e32 v4, 16, v25
	v_cmp_ne_u16_sdwa s5, v4, v5 src0_sel:BYTE_0 src1_sel:DWORD
	s_and_saveexec_b32 s17, s5
	s_cbranch_execz .LBB296_834
; %bb.827:                              ;   in Loop: Header=BB296_10 Depth=1
	v_cmp_ne_u16_sdwa s5, v4, v37 src0_sel:BYTE_0 src1_sel:DWORD
	v_mov_b32_e32 v125, 0x8000
	s_and_saveexec_b32 s18, s5
	s_cbranch_execz .LBB296_833
; %bb.828:                              ;   in Loop: Header=BB296_10 Depth=1
	v_bfe_u32 v52, v25, 16, 7
	v_mov_b32_e32 v125, 0x7c01
	s_mov_b32 s19, exec_lo
	v_cmpx_ne_u32_e32 0x7f, v52
	s_cbranch_execz .LBB296_832
; %bb.829:                              ;   in Loop: Header=BB296_10 Depth=1
	v_and_b32_e32 v49, 7, v4
	v_lshrrev_b32_e32 v51, 3, v52
	s_mov_b32 s20, exec_lo
	v_cmpx_gt_u32_e32 8, v52
; %bb.830:                              ;   in Loop: Header=BB296_10 Depth=1
	v_ffbh_u32_e32 v49, v49
	v_min_u32_e32 v49, 32, v49
	v_subrev_nc_u32_e32 v51, 28, v49
	v_lshlrev_b64 v[60:61], v51, v[4:5]
	v_sub_nc_u32_e32 v51, 29, v49
	v_and_b32_e32 v49, 7, v60
; %bb.831:                              ;   in Loop: Header=BB296_10 Depth=1
	s_or_b32 exec_lo, exec_lo, s20
	v_lshlrev_b32_e32 v4, 8, v4
	v_lshl_add_u32 v51, v51, 10, 0x2000
	v_lshlrev_b32_e32 v49, 7, v49
	v_and_b32_e32 v4, 0x8000, v4
	v_and_b32_e32 v51, 0xfc00, v51
	v_or3_b32 v125, v4, v51, v49
.LBB296_832:                            ;   in Loop: Header=BB296_10 Depth=1
	s_or_b32 exec_lo, exec_lo, s19
.LBB296_833:                            ;   in Loop: Header=BB296_10 Depth=1
	s_or_b32 exec_lo, exec_lo, s18
.LBB296_834:                            ;   in Loop: Header=BB296_10 Depth=1
	s_or_b32 exec_lo, exec_lo, s17
	v_mov_b32_e32 v60, 0
	v_mov_b32_e32 v127, 0
	s_mov_b32 s17, exec_lo
	v_cmpx_lt_u64_e64 s[6:7], v[24:25]
	s_cbranch_execz .LBB296_842
; %bb.835:                              ;   in Loop: Header=BB296_10 Depth=1
	v_lshrrev_b32_e32 v4, 24, v25
	v_bfrev_b32_e32 v127, 1
	s_mov_b32 s18, exec_lo
	v_cmpx_ne_u32_e32 0x80, v4
	s_cbranch_execz .LBB296_841
; %bb.836:                              ;   in Loop: Header=BB296_10 Depth=1
	v_and_b32_e32 v49, 0x7f, v4
	v_mov_b32_e32 v127, 0x7c010000
	s_mov_b32 s19, exec_lo
	v_cmpx_ne_u32_e32 0x7f, v49
	s_cbranch_execz .LBB296_840
; %bb.837:                              ;   in Loop: Header=BB296_10 Depth=1
	v_and_b32_e32 v24, 7, v4
	v_lshrrev_b32_e32 v25, 3, v49
	s_mov_b32 s20, exec_lo
	v_cmpx_gt_u32_e32 8, v49
; %bb.838:                              ;   in Loop: Header=BB296_10 Depth=1
	v_ffbh_u32_e32 v24, v24
	v_min_u32_e32 v49, 32, v24
	v_subrev_nc_u32_e32 v24, 28, v49
	v_lshlrev_b64 v[24:25], v24, v[4:5]
	v_sub_nc_u32_e32 v25, 29, v49
	v_and_b32_e32 v24, 7, v24
; %bb.839:                              ;   in Loop: Header=BB296_10 Depth=1
	s_or_b32 exec_lo, exec_lo, s20
	v_lshlrev_b32_e32 v4, 8, v4
	v_lshl_add_u32 v25, v25, 10, 0x2000
	v_lshlrev_b32_e32 v24, 23, v24
	v_and_or_b32 v4, 0x8000, v4, v25
	v_lshl_or_b32 v127, v4, 16, v24
.LBB296_840:                            ;   in Loop: Header=BB296_10 Depth=1
	s_or_b32 exec_lo, exec_lo, s19
.LBB296_841:                            ;   in Loop: Header=BB296_10 Depth=1
	s_or_b32 exec_lo, exec_lo, s18
.LBB296_842:                            ;   in Loop: Header=BB296_10 Depth=1
	s_or_b32 exec_lo, exec_lo, s17
	flat_load_dwordx2 v[24:25], v[16:17] offset:1032
	s_waitcnt vmcnt(0) lgkmcnt(0)
	v_cmp_ne_u16_sdwa s5, v24, v5 src0_sel:BYTE_0 src1_sel:DWORD
	s_and_saveexec_b32 s17, s5
	s_cbranch_execz .LBB296_850
; %bb.843:                              ;   in Loop: Header=BB296_10 Depth=1
	v_cmp_ne_u16_sdwa s5, v24, v37 src0_sel:BYTE_0 src1_sel:DWORD
	v_mov_b32_e32 v60, 0x8000
	s_and_saveexec_b32 s18, s5
	s_cbranch_execz .LBB296_849
; %bb.844:                              ;   in Loop: Header=BB296_10 Depth=1
	v_and_b32_e32 v51, 0x7f, v24
	v_mov_b32_e32 v60, 0x7c01
	s_mov_b32 s19, exec_lo
	v_cmpx_ne_u32_e32 0x7f, v51
	s_cbranch_execz .LBB296_848
; %bb.845:                              ;   in Loop: Header=BB296_10 Depth=1
	v_and_b32_e32 v4, 7, v24
	v_lshrrev_b32_e32 v49, 3, v51
	s_mov_b32 s20, exec_lo
	v_cmpx_gt_u32_e32 8, v51
; %bb.846:                              ;   in Loop: Header=BB296_10 Depth=1
	v_ffbh_u32_e32 v4, v4
	v_min_u32_e32 v4, 32, v4
	v_subrev_nc_u32_e32 v49, 28, v4
	v_lshlrev_b64 v[51:52], v49, v[24:25]
	v_sub_nc_u32_e32 v49, 29, v4
	v_and_b32_e32 v4, 7, v51
; %bb.847:                              ;   in Loop: Header=BB296_10 Depth=1
	s_or_b32 exec_lo, exec_lo, s20
	v_lshlrev_b32_e32 v51, 8, v24
	v_lshl_add_u32 v49, v49, 10, 0x2000
	v_lshlrev_b32_e32 v4, 7, v4
	v_and_b32_e32 v51, 0x8000, v51
	v_and_b32_e32 v49, 0xfc00, v49
	v_or3_b32 v60, v51, v49, v4
.LBB296_848:                            ;   in Loop: Header=BB296_10 Depth=1
	s_or_b32 exec_lo, exec_lo, s19
.LBB296_849:                            ;   in Loop: Header=BB296_10 Depth=1
	s_or_b32 exec_lo, exec_lo, s18
.LBB296_850:                            ;   in Loop: Header=BB296_10 Depth=1
	s_or_b32 exec_lo, exec_lo, s17
	v_lshrrev_b16 v4, 8, v24
	v_mov_b32_e32 v72, 0
	v_mov_b32_e32 v61, 0
	s_mov_b32 s17, exec_lo
	v_cmpx_ne_u16_e32 0, v4
	s_cbranch_execz .LBB296_858
; %bb.851:                              ;   in Loop: Header=BB296_10 Depth=1
	v_bfrev_b32_e32 v61, 1
	s_mov_b32 s18, exec_lo
	v_cmpx_ne_u16_e32 0x80, v4
	s_cbranch_execz .LBB296_857
; %bb.852:                              ;   in Loop: Header=BB296_10 Depth=1
	v_mov_b32_e32 v49, 0x7f
	v_mov_b32_e32 v61, 0x7c010000
	s_mov_b32 s19, exec_lo
	v_and_b32_sdwa v52, v4, v49 dst_sel:DWORD dst_unused:UNUSED_PAD src0_sel:WORD_0 src1_sel:DWORD
	v_cmpx_ne_u32_e32 0x7f, v52
	s_cbranch_execz .LBB296_856
; %bb.853:                              ;   in Loop: Header=BB296_10 Depth=1
	v_mov_b32_e32 v49, 7
	v_lshrrev_b32_e32 v51, 3, v52
	s_mov_b32 s20, exec_lo
	v_and_b32_sdwa v49, v4, v49 dst_sel:DWORD dst_unused:UNUSED_PAD src0_sel:WORD_0 src1_sel:DWORD
	v_cmpx_gt_u32_e32 8, v52
; %bb.854:                              ;   in Loop: Header=BB296_10 Depth=1
	v_ffbh_u32_e32 v49, v49
	v_min_u32_e32 v49, 32, v49
	v_subrev_nc_u32_e32 v51, 28, v49
	v_lshlrev_b64 v[61:62], v51, v[4:5]
	v_sub_nc_u32_e32 v51, 29, v49
	v_and_b32_e32 v49, 7, v61
; %bb.855:                              ;   in Loop: Header=BB296_10 Depth=1
	s_or_b32 exec_lo, exec_lo, s20
	v_mov_b32_e32 v52, 8
	v_lshl_add_u32 v51, v51, 10, 0x2000
	v_lshlrev_b32_e32 v49, 23, v49
	v_lshlrev_b32_sdwa v4, v52, v4 dst_sel:DWORD dst_unused:UNUSED_PAD src0_sel:DWORD src1_sel:WORD_0
	v_and_or_b32 v4, 0x8000, v4, v51
	v_lshl_or_b32 v61, v4, 16, v49
.LBB296_856:                            ;   in Loop: Header=BB296_10 Depth=1
	s_or_b32 exec_lo, exec_lo, s19
.LBB296_857:                            ;   in Loop: Header=BB296_10 Depth=1
	s_or_b32 exec_lo, exec_lo, s18
.LBB296_858:                            ;   in Loop: Header=BB296_10 Depth=1
	s_or_b32 exec_lo, exec_lo, s17
	v_lshrrev_b32_e32 v4, 16, v24
	v_cmp_ne_u16_sdwa s5, v4, v5 src0_sel:BYTE_0 src1_sel:DWORD
	s_and_saveexec_b32 s17, s5
	s_cbranch_execz .LBB296_866
; %bb.859:                              ;   in Loop: Header=BB296_10 Depth=1
	v_cmp_ne_u16_sdwa s5, v4, v37 src0_sel:BYTE_0 src1_sel:DWORD
	v_mov_b32_e32 v72, 0x8000
	s_and_saveexec_b32 s18, s5
	s_cbranch_execz .LBB296_865
; %bb.860:                              ;   in Loop: Header=BB296_10 Depth=1
	v_bfe_u32 v52, v24, 16, 7
	v_mov_b32_e32 v72, 0x7c01
	s_mov_b32 s19, exec_lo
	v_cmpx_ne_u32_e32 0x7f, v52
	s_cbranch_execz .LBB296_864
; %bb.861:                              ;   in Loop: Header=BB296_10 Depth=1
	v_and_b32_e32 v49, 7, v4
	v_lshrrev_b32_e32 v51, 3, v52
	s_mov_b32 s20, exec_lo
	v_cmpx_gt_u32_e32 8, v52
; %bb.862:                              ;   in Loop: Header=BB296_10 Depth=1
	v_ffbh_u32_e32 v49, v49
	v_min_u32_e32 v49, 32, v49
	v_subrev_nc_u32_e32 v51, 28, v49
	v_lshlrev_b64 v[62:63], v51, v[4:5]
	v_sub_nc_u32_e32 v51, 29, v49
	v_and_b32_e32 v49, 7, v62
; %bb.863:                              ;   in Loop: Header=BB296_10 Depth=1
	s_or_b32 exec_lo, exec_lo, s20
	v_lshlrev_b32_e32 v4, 8, v4
	v_lshl_add_u32 v51, v51, 10, 0x2000
	v_lshlrev_b32_e32 v49, 7, v49
	v_and_b32_e32 v4, 0x8000, v4
	v_and_b32_e32 v51, 0xfc00, v51
	v_or3_b32 v72, v4, v51, v49
.LBB296_864:                            ;   in Loop: Header=BB296_10 Depth=1
	s_or_b32 exec_lo, exec_lo, s19
.LBB296_865:                            ;   in Loop: Header=BB296_10 Depth=1
	s_or_b32 exec_lo, exec_lo, s18
.LBB296_866:                            ;   in Loop: Header=BB296_10 Depth=1
	s_or_b32 exec_lo, exec_lo, s17
	v_mov_b32_e32 v73, 0
	v_mov_b32_e32 v74, 0
	s_mov_b32 s17, exec_lo
	v_cmpx_lt_u32_e32 0xffffff, v24
	s_cbranch_execz .LBB296_874
; %bb.867:                              ;   in Loop: Header=BB296_10 Depth=1
	v_lshrrev_b32_e32 v4, 24, v24
	v_bfrev_b32_e32 v74, 1
	s_mov_b32 s18, exec_lo
	v_cmpx_ne_u32_e32 0x80, v4
	s_cbranch_execz .LBB296_873
; %bb.868:                              ;   in Loop: Header=BB296_10 Depth=1
	v_and_b32_e32 v52, 0x7f, v4
	v_mov_b32_e32 v74, 0x7c010000
	s_mov_b32 s19, exec_lo
	v_cmpx_ne_u32_e32 0x7f, v52
	s_cbranch_execz .LBB296_872
; %bb.869:                              ;   in Loop: Header=BB296_10 Depth=1
	v_and_b32_e32 v49, 7, v4
	v_lshrrev_b32_e32 v51, 3, v52
	s_mov_b32 s20, exec_lo
	v_cmpx_gt_u32_e32 8, v52
; %bb.870:                              ;   in Loop: Header=BB296_10 Depth=1
	v_ffbh_u32_e32 v49, v49
	v_min_u32_e32 v49, 32, v49
	v_subrev_nc_u32_e32 v51, 28, v49
	v_lshlrev_b64 v[62:63], v51, v[4:5]
	v_sub_nc_u32_e32 v51, 29, v49
	v_and_b32_e32 v49, 7, v62
; %bb.871:                              ;   in Loop: Header=BB296_10 Depth=1
	s_or_b32 exec_lo, exec_lo, s20
	v_lshlrev_b32_e32 v4, 8, v4
	v_lshl_add_u32 v51, v51, 10, 0x2000
	v_lshlrev_b32_e32 v49, 23, v49
	v_and_or_b32 v4, 0x8000, v4, v51
	v_lshl_or_b32 v74, v4, 16, v49
.LBB296_872:                            ;   in Loop: Header=BB296_10 Depth=1
	s_or_b32 exec_lo, exec_lo, s19
.LBB296_873:                            ;   in Loop: Header=BB296_10 Depth=1
	s_or_b32 exec_lo, exec_lo, s18
.LBB296_874:                            ;   in Loop: Header=BB296_10 Depth=1
	s_or_b32 exec_lo, exec_lo, s17
	v_mov_b32_e32 v4, v25
	v_cmp_ne_u16_sdwa s5, v25, v5 src0_sel:BYTE_0 src1_sel:DWORD
	s_and_saveexec_b32 s17, s5
	s_cbranch_execz .LBB296_882
; %bb.875:                              ;   in Loop: Header=BB296_10 Depth=1
	v_cmp_ne_u16_sdwa s5, v25, v37 src0_sel:BYTE_0 src1_sel:DWORD
	v_mov_b32_e32 v73, 0x8000
	s_and_saveexec_b32 s18, s5
	s_cbranch_execz .LBB296_881
; %bb.876:                              ;   in Loop: Header=BB296_10 Depth=1
	v_and_b32_e32 v52, 0x7f, v25
	v_mov_b32_e32 v73, 0x7c01
	s_mov_b32 s19, exec_lo
	v_cmpx_ne_u32_e32 0x7f, v52
	s_cbranch_execz .LBB296_880
; %bb.877:                              ;   in Loop: Header=BB296_10 Depth=1
	v_and_b32_e32 v49, 7, v25
	v_lshrrev_b32_e32 v51, 3, v52
	s_mov_b32 s20, exec_lo
	v_cmpx_gt_u32_e32 8, v52
; %bb.878:                              ;   in Loop: Header=BB296_10 Depth=1
	v_ffbh_u32_e32 v49, v49
	v_min_u32_e32 v49, 32, v49
	v_subrev_nc_u32_e32 v51, 28, v49
	v_lshlrev_b64 v[62:63], v51, v[4:5]
	v_sub_nc_u32_e32 v51, 29, v49
	v_and_b32_e32 v49, 7, v62
; %bb.879:                              ;   in Loop: Header=BB296_10 Depth=1
	s_or_b32 exec_lo, exec_lo, s20
	v_lshlrev_b32_e32 v52, 8, v25
	v_lshl_add_u32 v51, v51, 10, 0x2000
	v_lshlrev_b32_e32 v49, 7, v49
	v_and_b32_e32 v52, 0x8000, v52
	v_and_b32_e32 v51, 0xfc00, v51
	v_or3_b32 v73, v52, v51, v49
.LBB296_880:                            ;   in Loop: Header=BB296_10 Depth=1
	s_or_b32 exec_lo, exec_lo, s19
.LBB296_881:                            ;   in Loop: Header=BB296_10 Depth=1
	s_or_b32 exec_lo, exec_lo, s18
.LBB296_882:                            ;   in Loop: Header=BB296_10 Depth=1
	s_or_b32 exec_lo, exec_lo, s17
	v_lshrrev_b16 v4, 8, v4
	v_mov_b32_e32 v107, 0
	v_mov_b32_e32 v109, 0
	s_mov_b32 s17, exec_lo
	v_cmpx_ne_u16_e32 0, v4
	s_cbranch_execz .LBB296_890
; %bb.883:                              ;   in Loop: Header=BB296_10 Depth=1
	v_bfrev_b32_e32 v109, 1
	s_mov_b32 s18, exec_lo
	v_cmpx_ne_u16_e32 0x80, v4
	s_cbranch_execz .LBB296_889
; %bb.884:                              ;   in Loop: Header=BB296_10 Depth=1
	v_mov_b32_e32 v49, 0x7f
	v_mov_b32_e32 v109, 0x7c010000
	s_mov_b32 s19, exec_lo
	v_and_b32_sdwa v52, v4, v49 dst_sel:DWORD dst_unused:UNUSED_PAD src0_sel:WORD_0 src1_sel:DWORD
	v_cmpx_ne_u32_e32 0x7f, v52
	s_cbranch_execz .LBB296_888
; %bb.885:                              ;   in Loop: Header=BB296_10 Depth=1
	v_mov_b32_e32 v49, 7
	v_lshrrev_b32_e32 v51, 3, v52
	s_mov_b32 s20, exec_lo
	v_and_b32_sdwa v49, v4, v49 dst_sel:DWORD dst_unused:UNUSED_PAD src0_sel:WORD_0 src1_sel:DWORD
	v_cmpx_gt_u32_e32 8, v52
; %bb.886:                              ;   in Loop: Header=BB296_10 Depth=1
	v_ffbh_u32_e32 v49, v49
	v_min_u32_e32 v49, 32, v49
	v_subrev_nc_u32_e32 v51, 28, v49
	v_lshlrev_b64 v[62:63], v51, v[4:5]
	v_sub_nc_u32_e32 v51, 29, v49
	v_and_b32_e32 v49, 7, v62
; %bb.887:                              ;   in Loop: Header=BB296_10 Depth=1
	s_or_b32 exec_lo, exec_lo, s20
	v_mov_b32_e32 v52, 8
	v_lshl_add_u32 v51, v51, 10, 0x2000
	v_lshlrev_b32_e32 v49, 23, v49
	v_lshlrev_b32_sdwa v4, v52, v4 dst_sel:DWORD dst_unused:UNUSED_PAD src0_sel:DWORD src1_sel:WORD_0
	v_and_or_b32 v4, 0x8000, v4, v51
	v_lshl_or_b32 v109, v4, 16, v49
.LBB296_888:                            ;   in Loop: Header=BB296_10 Depth=1
	s_or_b32 exec_lo, exec_lo, s19
.LBB296_889:                            ;   in Loop: Header=BB296_10 Depth=1
	s_or_b32 exec_lo, exec_lo, s18
.LBB296_890:                            ;   in Loop: Header=BB296_10 Depth=1
	s_or_b32 exec_lo, exec_lo, s17
	v_lshrrev_b32_e32 v4, 16, v25
	v_cmp_ne_u16_sdwa s5, v4, v5 src0_sel:BYTE_0 src1_sel:DWORD
	s_and_saveexec_b32 s17, s5
	s_cbranch_execz .LBB296_898
; %bb.891:                              ;   in Loop: Header=BB296_10 Depth=1
	v_cmp_ne_u16_sdwa s5, v4, v37 src0_sel:BYTE_0 src1_sel:DWORD
	v_mov_b32_e32 v107, 0x8000
	s_and_saveexec_b32 s18, s5
	s_cbranch_execz .LBB296_897
; %bb.892:                              ;   in Loop: Header=BB296_10 Depth=1
	v_bfe_u32 v52, v25, 16, 7
	v_mov_b32_e32 v107, 0x7c01
	s_mov_b32 s19, exec_lo
	v_cmpx_ne_u32_e32 0x7f, v52
	s_cbranch_execz .LBB296_896
; %bb.893:                              ;   in Loop: Header=BB296_10 Depth=1
	v_and_b32_e32 v49, 7, v4
	v_lshrrev_b32_e32 v51, 3, v52
	s_mov_b32 s20, exec_lo
	v_cmpx_gt_u32_e32 8, v52
; %bb.894:                              ;   in Loop: Header=BB296_10 Depth=1
	v_ffbh_u32_e32 v49, v49
	v_min_u32_e32 v49, 32, v49
	v_subrev_nc_u32_e32 v51, 28, v49
	v_lshlrev_b64 v[62:63], v51, v[4:5]
	v_sub_nc_u32_e32 v51, 29, v49
	v_and_b32_e32 v49, 7, v62
; %bb.895:                              ;   in Loop: Header=BB296_10 Depth=1
	s_or_b32 exec_lo, exec_lo, s20
	v_lshlrev_b32_e32 v4, 8, v4
	v_lshl_add_u32 v51, v51, 10, 0x2000
	v_lshlrev_b32_e32 v49, 7, v49
	v_and_b32_e32 v4, 0x8000, v4
	v_and_b32_e32 v51, 0xfc00, v51
	v_or3_b32 v107, v4, v51, v49
.LBB296_896:                            ;   in Loop: Header=BB296_10 Depth=1
	s_or_b32 exec_lo, exec_lo, s19
.LBB296_897:                            ;   in Loop: Header=BB296_10 Depth=1
	s_or_b32 exec_lo, exec_lo, s18
.LBB296_898:                            ;   in Loop: Header=BB296_10 Depth=1
	s_or_b32 exec_lo, exec_lo, s17
	v_cmp_lt_u64_e64 s5, s[6:7], v[24:25]
	v_mov_b32_e32 v76, 0
	v_mov_b32_e32 v24, 0
	s_and_saveexec_b32 s17, s5
	s_cbranch_execz .LBB296_906
; %bb.899:                              ;   in Loop: Header=BB296_10 Depth=1
	v_lshrrev_b32_e32 v4, 24, v25
	v_bfrev_b32_e32 v24, 1
	s_mov_b32 s18, exec_lo
	v_cmpx_ne_u32_e32 0x80, v4
	s_cbranch_execz .LBB296_905
; %bb.900:                              ;   in Loop: Header=BB296_10 Depth=1
	v_and_b32_e32 v49, 0x7f, v4
	v_mov_b32_e32 v24, 0x7c010000
	s_mov_b32 s19, exec_lo
	v_cmpx_ne_u32_e32 0x7f, v49
	s_cbranch_execz .LBB296_904
; %bb.901:                              ;   in Loop: Header=BB296_10 Depth=1
	v_and_b32_e32 v24, 7, v4
	v_lshrrev_b32_e32 v25, 3, v49
	s_mov_b32 s20, exec_lo
	v_cmpx_gt_u32_e32 8, v49
; %bb.902:                              ;   in Loop: Header=BB296_10 Depth=1
	v_ffbh_u32_e32 v24, v24
	v_min_u32_e32 v49, 32, v24
	v_subrev_nc_u32_e32 v24, 28, v49
	v_lshlrev_b64 v[24:25], v24, v[4:5]
	v_sub_nc_u32_e32 v25, 29, v49
	v_and_b32_e32 v24, 7, v24
; %bb.903:                              ;   in Loop: Header=BB296_10 Depth=1
	s_or_b32 exec_lo, exec_lo, s20
	v_lshlrev_b32_e32 v4, 8, v4
	v_lshl_add_u32 v25, v25, 10, 0x2000
	v_lshlrev_b32_e32 v24, 23, v24
	v_and_or_b32 v4, 0x8000, v4, v25
	v_lshl_or_b32 v24, v4, 16, v24
.LBB296_904:                            ;   in Loop: Header=BB296_10 Depth=1
	s_or_b32 exec_lo, exec_lo, s19
.LBB296_905:                            ;   in Loop: Header=BB296_10 Depth=1
	s_or_b32 exec_lo, exec_lo, s18
.LBB296_906:                            ;   in Loop: Header=BB296_10 Depth=1
	s_or_b32 exec_lo, exec_lo, s17
	flat_load_dwordx2 v[16:17], v[16:17] offset:1536
	s_waitcnt vmcnt(0) lgkmcnt(0)
	v_cmp_ne_u16_sdwa s5, v16, v5 src0_sel:BYTE_0 src1_sel:DWORD
	s_and_saveexec_b32 s17, s5
	s_cbranch_execz .LBB296_914
; %bb.907:                              ;   in Loop: Header=BB296_10 Depth=1
	v_cmp_ne_u16_sdwa s5, v16, v37 src0_sel:BYTE_0 src1_sel:DWORD
	v_mov_b32_e32 v76, 0x8000
	s_and_saveexec_b32 s18, s5
	s_cbranch_execz .LBB296_913
; %bb.908:                              ;   in Loop: Header=BB296_10 Depth=1
	v_and_b32_e32 v49, 0x7f, v16
	v_mov_b32_e32 v76, 0x7c01
	s_mov_b32 s19, exec_lo
	v_cmpx_ne_u32_e32 0x7f, v49
	s_cbranch_execz .LBB296_912
; %bb.909:                              ;   in Loop: Header=BB296_10 Depth=1
	v_and_b32_e32 v4, 7, v16
	v_lshrrev_b32_e32 v25, 3, v49
	s_mov_b32 s20, exec_lo
	v_cmpx_gt_u32_e32 8, v49
; %bb.910:                              ;   in Loop: Header=BB296_10 Depth=1
	v_ffbh_u32_e32 v4, v4
	v_min_u32_e32 v4, 32, v4
	v_subrev_nc_u32_e32 v25, 28, v4
	v_lshlrev_b64 v[51:52], v25, v[16:17]
	v_sub_nc_u32_e32 v25, 29, v4
	v_and_b32_e32 v4, 7, v51
; %bb.911:                              ;   in Loop: Header=BB296_10 Depth=1
	s_or_b32 exec_lo, exec_lo, s20
	v_lshlrev_b32_e32 v49, 8, v16
	v_lshl_add_u32 v25, v25, 10, 0x2000
	v_lshlrev_b32_e32 v4, 7, v4
	v_and_b32_e32 v49, 0x8000, v49
	v_and_b32_e32 v25, 0xfc00, v25
	v_or3_b32 v76, v49, v25, v4
.LBB296_912:                            ;   in Loop: Header=BB296_10 Depth=1
	s_or_b32 exec_lo, exec_lo, s19
.LBB296_913:                            ;   in Loop: Header=BB296_10 Depth=1
	s_or_b32 exec_lo, exec_lo, s18
.LBB296_914:                            ;   in Loop: Header=BB296_10 Depth=1
	s_or_b32 exec_lo, exec_lo, s17
	v_lshrrev_b16 v4, 8, v16
	v_mov_b32_e32 v52, 0
	v_mov_b32_e32 v25, 0
	s_mov_b32 s17, exec_lo
	v_cmpx_ne_u16_e32 0, v4
	s_cbranch_execz .LBB296_922
; %bb.915:                              ;   in Loop: Header=BB296_10 Depth=1
	v_bfrev_b32_e32 v25, 1
	s_mov_b32 s18, exec_lo
	v_cmpx_ne_u16_e32 0x80, v4
	s_cbranch_execz .LBB296_921
; %bb.916:                              ;   in Loop: Header=BB296_10 Depth=1
	v_mov_b32_e32 v25, 0x7f
	s_mov_b32 s19, exec_lo
	v_and_b32_sdwa v51, v4, v25 dst_sel:DWORD dst_unused:UNUSED_PAD src0_sel:WORD_0 src1_sel:DWORD
	v_mov_b32_e32 v25, 0x7c010000
	v_cmpx_ne_u32_e32 0x7f, v51
	s_cbranch_execz .LBB296_920
; %bb.917:                              ;   in Loop: Header=BB296_10 Depth=1
	v_mov_b32_e32 v25, 7
	v_lshrrev_b32_e32 v49, 3, v51
	s_mov_b32 s20, exec_lo
	v_and_b32_sdwa v25, v4, v25 dst_sel:DWORD dst_unused:UNUSED_PAD src0_sel:WORD_0 src1_sel:DWORD
	v_cmpx_gt_u32_e32 8, v51
; %bb.918:                              ;   in Loop: Header=BB296_10 Depth=1
	v_ffbh_u32_e32 v25, v25
	v_min_u32_e32 v25, 32, v25
	v_subrev_nc_u32_e32 v49, 28, v25
	v_lshlrev_b64 v[62:63], v49, v[4:5]
	v_sub_nc_u32_e32 v49, 29, v25
	v_and_b32_e32 v25, 7, v62
; %bb.919:                              ;   in Loop: Header=BB296_10 Depth=1
	s_or_b32 exec_lo, exec_lo, s20
	v_mov_b32_e32 v51, 8
	v_lshl_add_u32 v49, v49, 10, 0x2000
	v_lshlrev_b32_e32 v25, 23, v25
	v_lshlrev_b32_sdwa v4, v51, v4 dst_sel:DWORD dst_unused:UNUSED_PAD src0_sel:DWORD src1_sel:WORD_0
	v_and_or_b32 v4, 0x8000, v4, v49
	v_lshl_or_b32 v25, v4, 16, v25
.LBB296_920:                            ;   in Loop: Header=BB296_10 Depth=1
	s_or_b32 exec_lo, exec_lo, s19
.LBB296_921:                            ;   in Loop: Header=BB296_10 Depth=1
	s_or_b32 exec_lo, exec_lo, s18
.LBB296_922:                            ;   in Loop: Header=BB296_10 Depth=1
	s_or_b32 exec_lo, exec_lo, s17
	v_lshrrev_b32_e32 v4, 16, v16
	v_cmp_ne_u16_sdwa s5, v4, v5 src0_sel:BYTE_0 src1_sel:DWORD
	s_and_saveexec_b32 s17, s5
	s_cbranch_execz .LBB296_930
; %bb.923:                              ;   in Loop: Header=BB296_10 Depth=1
	v_cmp_ne_u16_sdwa s5, v4, v37 src0_sel:BYTE_0 src1_sel:DWORD
	v_mov_b32_e32 v52, 0x8000
	s_and_saveexec_b32 s18, s5
	s_cbranch_execz .LBB296_929
; %bb.924:                              ;   in Loop: Header=BB296_10 Depth=1
	v_bfe_u32 v62, v16, 16, 7
	v_mov_b32_e32 v52, 0x7c01
	s_mov_b32 s19, exec_lo
	v_cmpx_ne_u32_e32 0x7f, v62
	s_cbranch_execz .LBB296_928
; %bb.925:                              ;   in Loop: Header=BB296_10 Depth=1
	v_and_b32_e32 v49, 7, v4
	v_lshrrev_b32_e32 v51, 3, v62
	s_mov_b32 s20, exec_lo
	v_cmpx_gt_u32_e32 8, v62
; %bb.926:                              ;   in Loop: Header=BB296_10 Depth=1
	v_ffbh_u32_e32 v49, v49
	v_min_u32_e32 v49, 32, v49
	v_subrev_nc_u32_e32 v51, 28, v49
	v_lshlrev_b64 v[62:63], v51, v[4:5]
	v_sub_nc_u32_e32 v51, 29, v49
	v_and_b32_e32 v49, 7, v62
; %bb.927:                              ;   in Loop: Header=BB296_10 Depth=1
	s_or_b32 exec_lo, exec_lo, s20
	v_lshlrev_b32_e32 v4, 8, v4
	v_lshl_add_u32 v51, v51, 10, 0x2000
	v_lshlrev_b32_e32 v49, 7, v49
	v_and_b32_e32 v4, 0x8000, v4
	v_and_b32_e32 v51, 0xfc00, v51
	v_or3_b32 v52, v4, v51, v49
.LBB296_928:                            ;   in Loop: Header=BB296_10 Depth=1
	s_or_b32 exec_lo, exec_lo, s19
.LBB296_929:                            ;   in Loop: Header=BB296_10 Depth=1
	s_or_b32 exec_lo, exec_lo, s18
.LBB296_930:                            ;   in Loop: Header=BB296_10 Depth=1
	s_or_b32 exec_lo, exec_lo, s17
	v_mov_b32_e32 v111, 0
	v_mov_b32_e32 v51, 0
	s_mov_b32 s17, exec_lo
	v_cmpx_lt_u32_e32 0xffffff, v16
	s_cbranch_execz .LBB296_938
; %bb.931:                              ;   in Loop: Header=BB296_10 Depth=1
	v_lshrrev_b32_e32 v4, 24, v16
	v_bfrev_b32_e32 v51, 1
	s_mov_b32 s18, exec_lo
	v_cmpx_ne_u32_e32 0x80, v4
	s_cbranch_execz .LBB296_937
; %bb.932:                              ;   in Loop: Header=BB296_10 Depth=1
	v_and_b32_e32 v62, 0x7f, v4
	v_mov_b32_e32 v51, 0x7c010000
	s_mov_b32 s19, exec_lo
	v_cmpx_ne_u32_e32 0x7f, v62
	s_cbranch_execz .LBB296_936
; %bb.933:                              ;   in Loop: Header=BB296_10 Depth=1
	v_and_b32_e32 v49, 7, v4
	v_lshrrev_b32_e32 v51, 3, v62
	s_mov_b32 s20, exec_lo
	v_cmpx_gt_u32_e32 8, v62
; %bb.934:                              ;   in Loop: Header=BB296_10 Depth=1
	v_ffbh_u32_e32 v49, v49
	v_min_u32_e32 v49, 32, v49
	v_subrev_nc_u32_e32 v51, 28, v49
	v_lshlrev_b64 v[62:63], v51, v[4:5]
	v_sub_nc_u32_e32 v51, 29, v49
	v_and_b32_e32 v49, 7, v62
; %bb.935:                              ;   in Loop: Header=BB296_10 Depth=1
	s_or_b32 exec_lo, exec_lo, s20
	v_lshlrev_b32_e32 v4, 8, v4
	v_lshl_add_u32 v51, v51, 10, 0x2000
	v_lshlrev_b32_e32 v49, 23, v49
	v_and_or_b32 v4, 0x8000, v4, v51
	v_lshl_or_b32 v51, v4, 16, v49
.LBB296_936:                            ;   in Loop: Header=BB296_10 Depth=1
	s_or_b32 exec_lo, exec_lo, s19
.LBB296_937:                            ;   in Loop: Header=BB296_10 Depth=1
	s_or_b32 exec_lo, exec_lo, s18
.LBB296_938:                            ;   in Loop: Header=BB296_10 Depth=1
	s_or_b32 exec_lo, exec_lo, s17
	v_mov_b32_e32 v4, v17
	v_cmp_ne_u16_sdwa s5, v17, v5 src0_sel:BYTE_0 src1_sel:DWORD
	s_and_saveexec_b32 s17, s5
	s_cbranch_execz .LBB296_946
; %bb.939:                              ;   in Loop: Header=BB296_10 Depth=1
	v_cmp_ne_u16_sdwa s5, v17, v37 src0_sel:BYTE_0 src1_sel:DWORD
	v_mov_b32_e32 v111, 0x8000
	s_and_saveexec_b32 s18, s5
	s_cbranch_execz .LBB296_945
; %bb.940:                              ;   in Loop: Header=BB296_10 Depth=1
	v_and_b32_e32 v63, 0x7f, v17
	v_mov_b32_e32 v111, 0x7c01
	s_mov_b32 s19, exec_lo
	v_cmpx_ne_u32_e32 0x7f, v63
	s_cbranch_execz .LBB296_944
; %bb.941:                              ;   in Loop: Header=BB296_10 Depth=1
	v_and_b32_e32 v49, 7, v17
	v_lshrrev_b32_e32 v62, 3, v63
	s_mov_b32 s20, exec_lo
	v_cmpx_gt_u32_e32 8, v63
; %bb.942:                              ;   in Loop: Header=BB296_10 Depth=1
	v_ffbh_u32_e32 v49, v49
	v_min_u32_e32 v49, 32, v49
	v_subrev_nc_u32_e32 v66, 28, v49
	v_sub_nc_u32_e32 v62, 29, v49
	v_lshlrev_b64 v[66:67], v66, v[4:5]
	v_and_b32_e32 v49, 7, v66
; %bb.943:                              ;   in Loop: Header=BB296_10 Depth=1
	s_or_b32 exec_lo, exec_lo, s20
	v_lshlrev_b32_e32 v66, 8, v17
	v_lshl_add_u32 v67, v62, 10, 0x2000
	v_lshlrev_b32_e32 v49, 7, v49
	v_and_b32_e32 v66, 0x8000, v66
	v_and_b32_e32 v67, 0xfc00, v67
	v_or3_b32 v111, v66, v67, v49
.LBB296_944:                            ;   in Loop: Header=BB296_10 Depth=1
	s_or_b32 exec_lo, exec_lo, s19
.LBB296_945:                            ;   in Loop: Header=BB296_10 Depth=1
	s_or_b32 exec_lo, exec_lo, s18
.LBB296_946:                            ;   in Loop: Header=BB296_10 Depth=1
	s_or_b32 exec_lo, exec_lo, s17
	v_lshrrev_b16 v4, 8, v4
	v_mov_b32_e32 v79, 0
	v_mov_b32_e32 v49, 0
	s_mov_b32 s17, exec_lo
	v_cmpx_ne_u16_e32 0, v4
	s_cbranch_execz .LBB296_954
; %bb.947:                              ;   in Loop: Header=BB296_10 Depth=1
	v_bfrev_b32_e32 v49, 1
	s_mov_b32 s18, exec_lo
	v_cmpx_ne_u16_e32 0x80, v4
	s_cbranch_execz .LBB296_953
; %bb.948:                              ;   in Loop: Header=BB296_10 Depth=1
	v_mov_b32_e32 v49, 0x7f
	s_mov_b32 s19, exec_lo
	v_and_b32_sdwa v63, v4, v49 dst_sel:DWORD dst_unused:UNUSED_PAD src0_sel:WORD_0 src1_sel:DWORD
	v_mov_b32_e32 v49, 0x7c010000
	v_cmpx_ne_u32_e32 0x7f, v63
	s_cbranch_execz .LBB296_952
; %bb.949:                              ;   in Loop: Header=BB296_10 Depth=1
	v_mov_b32_e32 v49, 7
	v_lshrrev_b32_e32 v62, 3, v63
	s_mov_b32 s20, exec_lo
	v_and_b32_sdwa v49, v4, v49 dst_sel:DWORD dst_unused:UNUSED_PAD src0_sel:WORD_0 src1_sel:DWORD
	v_cmpx_gt_u32_e32 8, v63
; %bb.950:                              ;   in Loop: Header=BB296_10 Depth=1
	v_ffbh_u32_e32 v49, v49
	v_min_u32_e32 v49, 32, v49
	v_subrev_nc_u32_e32 v66, 28, v49
	v_sub_nc_u32_e32 v62, 29, v49
	v_lshlrev_b64 v[66:67], v66, v[4:5]
	v_and_b32_e32 v49, 7, v66
; %bb.951:                              ;   in Loop: Header=BB296_10 Depth=1
	s_or_b32 exec_lo, exec_lo, s20
	v_mov_b32_e32 v66, 8
	v_lshlrev_b32_e32 v49, 23, v49
	v_lshlrev_b32_sdwa v4, v66, v4 dst_sel:DWORD dst_unused:UNUSED_PAD src0_sel:DWORD src1_sel:WORD_0
	v_lshl_add_u32 v66, v62, 10, 0x2000
	v_and_or_b32 v4, 0x8000, v4, v66
	v_lshl_or_b32 v49, v4, 16, v49
.LBB296_952:                            ;   in Loop: Header=BB296_10 Depth=1
	s_or_b32 exec_lo, exec_lo, s19
.LBB296_953:                            ;   in Loop: Header=BB296_10 Depth=1
	s_or_b32 exec_lo, exec_lo, s18
.LBB296_954:                            ;   in Loop: Header=BB296_10 Depth=1
	s_or_b32 exec_lo, exec_lo, s17
	v_lshrrev_b32_e32 v4, 16, v17
	v_cmp_ne_u16_sdwa s5, v4, v5 src0_sel:BYTE_0 src1_sel:DWORD
	s_and_saveexec_b32 s17, s5
	s_cbranch_execz .LBB296_962
; %bb.955:                              ;   in Loop: Header=BB296_10 Depth=1
	v_cmp_ne_u16_sdwa s5, v4, v37 src0_sel:BYTE_0 src1_sel:DWORD
	v_mov_b32_e32 v79, 0x8000
	s_and_saveexec_b32 s18, s5
	s_cbranch_execz .LBB296_961
; %bb.956:                              ;   in Loop: Header=BB296_10 Depth=1
	v_bfe_u32 v67, v17, 16, 7
	v_mov_b32_e32 v79, 0x7c01
	s_mov_b32 s19, exec_lo
	v_cmpx_ne_u32_e32 0x7f, v67
	s_cbranch_execz .LBB296_960
; %bb.957:                              ;   in Loop: Header=BB296_10 Depth=1
	v_and_b32_e32 v62, 7, v4
	v_lshrrev_b32_e32 v63, 3, v67
	s_mov_b32 s20, exec_lo
	v_cmpx_gt_u32_e32 8, v67
; %bb.958:                              ;   in Loop: Header=BB296_10 Depth=1
	v_ffbh_u32_e32 v66, v62
	v_min_u32_e32 v62, 32, v66
	v_subrev_nc_u32_e32 v66, 28, v62
	v_sub_nc_u32_e32 v63, 29, v62
	v_lshlrev_b64 v[66:67], v66, v[4:5]
	v_and_b32_e32 v62, 7, v66
; %bb.959:                              ;   in Loop: Header=BB296_10 Depth=1
	s_or_b32 exec_lo, exec_lo, s20
	v_lshlrev_b32_e32 v4, 8, v4
	v_lshl_add_u32 v66, v63, 10, 0x2000
	v_lshlrev_b32_e32 v67, 7, v62
	v_and_b32_e32 v4, 0x8000, v4
	v_and_b32_e32 v66, 0xfc00, v66
	v_or3_b32 v79, v4, v66, v67
.LBB296_960:                            ;   in Loop: Header=BB296_10 Depth=1
	s_or_b32 exec_lo, exec_lo, s19
.LBB296_961:                            ;   in Loop: Header=BB296_10 Depth=1
	s_or_b32 exec_lo, exec_lo, s18
.LBB296_962:                            ;   in Loop: Header=BB296_10 Depth=1
	s_or_b32 exec_lo, exec_lo, s17
	v_mov_b32_e32 v62, 0
	v_cmp_lt_u64_e64 s5, s[6:7], v[16:17]
	s_mov_b32 s17, exec_lo
	s_clause 0x2
	buffer_load_dword v63, off, s[0:3], s32 offset:224
	buffer_load_dword v93, off, s[0:3], s32 offset:228
	;; [unrolled: 1-line block ×3, first 2 shown]
	s_and_b32 s5, s17, s5
	s_mov_b32 exec_lo, s5
	s_cbranch_execz .LBB296_9
; %bb.963:                              ;   in Loop: Header=BB296_10 Depth=1
	v_lshrrev_b32_e32 v4, 24, v17
	v_bfrev_b32_e32 v62, 1
	s_mov_b32 s18, exec_lo
	v_cmpx_ne_u32_e32 0x80, v4
	s_cbranch_execz .LBB296_8
; %bb.964:                              ;   in Loop: Header=BB296_10 Depth=1
	s_waitcnt vmcnt(2)
	v_and_b32_e32 v63, 0x7f, v4
	v_mov_b32_e32 v62, 0x7c010000
	s_mov_b32 s19, exec_lo
	v_cmpx_ne_u32_e32 0x7f, v63
	s_cbranch_execz .LBB296_7
; %bb.965:                              ;   in Loop: Header=BB296_10 Depth=1
	v_and_b32_e32 v16, 7, v4
	v_lshrrev_b32_e32 v17, 3, v63
	s_mov_b32 s20, exec_lo
	v_cmpx_gt_u32_e32 8, v63
	s_cbranch_execz .LBB296_6
; %bb.966:                              ;   in Loop: Header=BB296_10 Depth=1
	v_ffbh_u32_e32 v16, v16
	v_min_u32_e32 v66, 32, v16
	v_subrev_nc_u32_e32 v16, 28, v66
	v_lshlrev_b64 v[16:17], v16, v[4:5]
	v_sub_nc_u32_e32 v17, 29, v66
	v_and_b32_e32 v16, 7, v16
	s_branch .LBB296_6
.LBB296_967:
	s_or_b32 exec_lo, exec_lo, s15
	s_clause 0xa
	buffer_load_dword v12, off, s[0:3], s32 offset:328
	buffer_load_dword v11, off, s[0:3], s32 offset:348
	buffer_load_dword v10, off, s[0:3], s32 offset:352
	buffer_load_dword v18, off, s[0:3], s32 offset:356
	buffer_load_dword v26, off, s[0:3], s32 offset:360
	buffer_load_dword v49, off, s[0:3], s32 offset:364
	buffer_load_dword v50, off, s[0:3], s32 offset:368
	buffer_load_dword v19, off, s[0:3], s32 offset:372
	buffer_load_dword v27, off, s[0:3], s32 offset:376
	buffer_load_dword v29, off, s[0:3], s32 offset:380
	buffer_load_dword v15, off, s[0:3], s32 offset:384
.LBB296_968:
	s_or_b32 exec_lo, exec_lo, s9
	v_mbcnt_lo_u32_b32 v0, -1, 0
	v_max_f32_e32 v4, v8, v8
	s_lshr_b32 s9, s13, 16
	v_xor_b32_e32 v1, 16, v0
	v_xor_b32_e32 v3, 8, v0
	v_cmp_gt_i32_e32 vcc_lo, 32, v1
	v_cndmask_b32_e32 v1, v0, v1, vcc_lo
	v_cmp_gt_i32_e32 vcc_lo, 32, v3
	v_lshlrev_b32_e32 v1, 2, v1
	v_cndmask_b32_e32 v3, v0, v3, vcc_lo
	ds_bpermute_b32 v2, v1, v8
	s_waitcnt lgkmcnt(0)
	v_max_f32_e32 v5, v2, v2
	v_lshlrev_b32_e32 v2, 2, v3
	v_max_f32_e32 v4, v4, v5
	v_xor_b32_e32 v5, 4, v0
	ds_bpermute_b32 v3, v2, v4
	v_cmp_gt_i32_e32 vcc_lo, 32, v5
	v_cndmask_b32_e32 v5, v0, v5, vcc_lo
	s_waitcnt lgkmcnt(0)
	v_max_f32_e32 v6, v3, v3
	v_lshlrev_b32_e32 v3, 2, v5
	v_max_f32_e32 v4, v4, v6
	v_xor_b32_e32 v6, 2, v0
	ds_bpermute_b32 v5, v3, v4
	v_cmp_gt_i32_e32 vcc_lo, 32, v6
	v_cndmask_b32_e32 v6, v0, v6, vcc_lo
	v_lshlrev_b32_e32 v14, 2, v6
	v_xor_b32_e32 v6, 1, v0
	v_cmp_gt_i32_e32 vcc_lo, 32, v6
	s_waitcnt lgkmcnt(0)
	v_max_f32_e32 v5, v5, v5
	v_cndmask_b32_e32 v6, v0, v6, vcc_lo
	v_max_f32_e32 v4, v4, v5
	v_lshlrev_b32_e32 v13, 2, v6
	ds_bpermute_b32 v5, v14, v4
	s_waitcnt lgkmcnt(0)
	v_max_f32_e32 v5, v5, v5
	v_max_f32_e32 v0, v4, v5
	buffer_load_dword v4, off, s[0:3], s32 offset:332 ; 4-byte Folded Reload
	ds_bpermute_b32 v5, v13, v0
	s_waitcnt vmcnt(0)
	v_cmp_eq_u32_e32 vcc_lo, 0, v4
	buffer_load_dword v4, off, s[0:3], s32 offset:336 ; 4-byte Folded Reload
	s_waitcnt vmcnt(0)
	v_lshlrev_b32_e32 v4, 2, v4
	s_and_saveexec_b32 s5, vcc_lo
	s_cbranch_execz .LBB296_970
; %bb.969:
	s_waitcnt lgkmcnt(0)
	v_max_f32_e32 v5, v5, v5
	v_max_f32_e32 v0, v0, v0
	;; [unrolled: 1-line block ×3, first 2 shown]
	ds_write_b32 v4, v0 offset:240
.LBB296_970:
	s_or_b32 exec_lo, exec_lo, s5
	buffer_load_dword v0, off, s[0:3], s32 offset:332 ; 4-byte Folded Reload
	s_waitcnt vmcnt(0) lgkmcnt(0)
	s_waitcnt_vscnt null, 0x0
	s_barrier
	buffer_gl0_inv
	v_cmp_gt_u32_e64 s5, 4, v0
	v_mov_b32_e32 v0, 0xff7fffff
	s_and_saveexec_b32 s6, s5
; %bb.971:
	ds_read_b32 v0, v15 offset:240
; %bb.972:
	s_or_b32 exec_lo, exec_lo, s6
	s_waitcnt lgkmcnt(0)
	ds_bpermute_b32 v5, v14, v0
	v_max_f32_e32 v0, v0, v0
	v_mov_b32_e32 v6, 0
	s_waitcnt lgkmcnt(0)
	v_max_f32_e32 v5, v5, v5
	v_max_f32_e32 v0, v0, v5
	ds_bpermute_b32 v5, v13, v0
	s_waitcnt lgkmcnt(0)
	v_max_f32_e32 v5, v5, v5
	v_max_f32_e32 v0, v0, v5
	ds_bpermute_b32 v5, v6, v0
	buffer_load_dword v0, off, s[0:3], s32 offset:236 ; 4-byte Folded Reload
	s_waitcnt vmcnt(0)
	v_lshlrev_b32_e32 v0, 5, v0
	v_min_i32_e32 v0, v0, v28
	v_cmp_lt_i32_e64 s6, v12, v0
	s_and_saveexec_b32 s13, s6
	s_cbranch_execz .LBB296_976
; %bb.973:
	s_getpc_b64 s[18:19]
	s_add_u32 s18, s18, llvm.amdgcn.dynlds.offset.table@rel32@lo+4
	s_addc_u32 s19, s19, llvm.amdgcn.dynlds.offset.table@rel32@hi+12
	s_ashr_i32 s17, s16, 31
	v_mov_b32_e32 v6, 0
	s_lshl_b64 s[20:21], s[16:17], 2
	v_mov_b32_e32 v8, v12
	s_add_u32 s18, s18, s20
	s_addc_u32 s19, s19, s21
	s_mov_b32 s15, 0
	s_load_dword s7, s[18:19], 0x0
	s_waitcnt lgkmcnt(0)
	v_lshl_add_u32 v7, v12, 2, s7
	.p2align	6
.LBB296_974:                            ; =>This Inner Loop Header: Depth=1
	ds_read_b32 v9, v7
	v_add_nc_u32_e32 v8, 0x80, v8
	v_cmp_ge_i32_e64 s7, v8, v0
	s_or_b32 s15, s7, s15
	s_waitcnt lgkmcnt(0)
	v_sub_f32_e32 v9, v9, v5
	v_mul_f32_e32 v9, 0x3fb8aa3b, v9
	v_exp_f32_e32 v9, v9
	ds_write_b32 v7, v9
	v_add_f32_e32 v6, v6, v9
	v_add_nc_u32_e32 v7, 0x200, v7
	s_andn2_b32 exec_lo, exec_lo, s15
	s_cbranch_execnz .LBB296_974
; %bb.975:
	s_or_b32 exec_lo, exec_lo, s15
.LBB296_976:
	s_or_b32 exec_lo, exec_lo, s13
	ds_bpermute_b32 v1, v1, v6
	s_waitcnt lgkmcnt(0)
	v_add_f32_e32 v1, v6, v1
	ds_bpermute_b32 v2, v2, v1
	s_waitcnt lgkmcnt(0)
	v_add_f32_e32 v1, v1, v2
	;; [unrolled: 3-line block ×5, first 2 shown]
	s_and_saveexec_b32 s7, vcc_lo
; %bb.977:
	ds_write_b32 v4, v1 offset:256
; %bb.978:
	s_or_b32 exec_lo, exec_lo, s7
	s_waitcnt lgkmcnt(0)
	s_barrier
	buffer_gl0_inv
	s_and_saveexec_b32 s7, s5
; %bb.979:
	ds_read_b32 v1, v15 offset:256
; %bb.980:
	s_or_b32 exec_lo, exec_lo, s7
	s_waitcnt lgkmcnt(0)
	ds_bpermute_b32 v2, v14, v1
	s_waitcnt lgkmcnt(0)
	v_add_f32_e32 v1, v1, v2
	ds_bpermute_b32 v2, v13, v1
	s_waitcnt lgkmcnt(0)
	v_add_f32_e32 v1, v1, v2
	v_mov_b32_e32 v2, 0
	ds_bpermute_b32 v1, v2, v1
	s_and_saveexec_b32 s5, s6
	s_cbranch_execz .LBB296_983
; %bb.981:
	s_waitcnt lgkmcnt(0)
	v_add_f32_e32 v2, 0x358637bd, v1
	s_getpc_b64 s[6:7]
	s_add_u32 s6, s6, llvm.amdgcn.dynlds.offset.table@rel32@lo+4
	s_addc_u32 s7, s7, llvm.amdgcn.dynlds.offset.table@rel32@hi+12
	s_ashr_i32 s17, s16, 31
	s_lshl_b64 s[18:19], s[16:17], 2
	v_div_scale_f32 v1, null, v2, v2, 1.0
	v_div_scale_f32 v5, vcc_lo, 1.0, v2, 1.0
	s_add_u32 s6, s6, s18
	v_rcp_f32_e32 v3, v1
	s_addc_u32 s7, s7, s19
	s_load_dword s6, s[6:7], 0x0
	v_fma_f32 v4, -v1, v3, 1.0
	v_fmac_f32_e32 v3, v4, v3
	v_mul_f32_e32 v4, v5, v3
	v_fma_f32 v6, -v1, v4, v5
	v_fmac_f32_e32 v4, v6, v3
	v_fma_f32 v1, -v1, v4, v5
	v_div_fmas_f32 v3, v1, v3, v4
	s_waitcnt lgkmcnt(0)
	v_lshl_add_u32 v1, v12, 2, s6
	s_mov_b32 s6, 0
	v_div_fixup_f32 v2, v3, v2, 1.0
	v_mov_b32_e32 v3, v12
.LBB296_982:                            ; =>This Inner Loop Header: Depth=1
	ds_read_b32 v4, v1
	v_add_nc_u32_e32 v3, 0x80, v3
	v_cmp_ge_i32_e32 vcc_lo, v3, v0
	s_or_b32 s6, vcc_lo, s6
	s_waitcnt lgkmcnt(0)
	v_mul_f32_e32 v4, v2, v4
	ds_write_b32 v1, v4
	v_add_nc_u32_e32 v1, 0x200, v1
	s_andn2_b32 exec_lo, exec_lo, s6
	s_cbranch_execnz .LBB296_982
.LBB296_983:
	s_or_b32 exec_lo, exec_lo, s5
	s_waitcnt lgkmcnt(0)
	s_barrier
	buffer_gl0_inv
	s_and_saveexec_b32 s5, s4
	s_xor_b32 s4, exec_lo, s5
; %bb.984:
	s_ashr_i32 s17, s16, 31
                                        ; implicit-def: $vgpr0
                                        ; implicit-def: $vgpr28
                                        ; kill: killed $vgpr0
                                        ; implicit-def: $vgpr26
                                        ; implicit-def: $vgpr18
                                        ; implicit-def: $vgpr10
                                        ; implicit-def: $vgpr11
                                        ; implicit-def: $vgpr0
                                        ; kill: killed $vgpr0
                                        ; implicit-def: $vgpr22_vgpr23
                                        ; implicit-def: $vgpr27
                                        ; implicit-def: $vgpr29
                                        ; implicit-def: $vgpr19
                                        ; implicit-def: $vgpr49_vgpr50
; %bb.985:
	s_or_saveexec_b32 s5, s4
	buffer_load_dword v0, off, s[0:3], s32 offset:328 ; 4-byte Folded Reload
	v_mov_b32_e32 v4, s16
	v_mov_b32_e32 v37, 0
	;; [unrolled: 1-line block ×17, first 2 shown]
	s_waitcnt vmcnt(0)
	v_and_b32_e32 v15, 3, v0
	s_xor_b32 exec_lo, exec_lo, s5
	s_cbranch_execz .LBB296_1979
; %bb.986:
	s_clause 0x2
	buffer_load_dword v0, off, s[0:3], s32 offset:328
	buffer_load_dword v54, off, s[0:3], s32 offset:336
	buffer_load_dword v4, off, s[0:3], s32 offset:236
	s_ashr_i32 s17, s16, 31
	s_getpc_b64 s[6:7]
	s_add_u32 s6, s6, llvm.amdgcn.dynlds.offset.table@rel32@lo+4
	s_addc_u32 s7, s7, llvm.amdgcn.dynlds.offset.table@rel32@hi+12
	s_lshl_b64 s[18:19], s[16:17], 2
	v_add_co_u32 v2, vcc_lo, v26, v27
	s_add_u32 s6, s6, s18
	s_addc_u32 s7, s7, s19
	v_add_co_ci_u32_e64 v3, null, v18, v29, vcc_lo
	s_load_dword s4, s[6:7], 0x0
	v_and_b32_e32 v7, 0x7c, v19
	v_mov_b32_e32 v51, 0x7f
	v_mov_b32_e32 v52, 7
	;; [unrolled: 1-line block ×18, first 2 shown]
	s_mov_b32 s6, -1
	s_mov_b32 s7, 0xffffff
	s_mov_b32 s13, 0
	s_waitcnt vmcnt(2)
	v_lshlrev_b32_e32 v0, 3, v0
	s_waitcnt vmcnt(1)
	v_lshlrev_b32_e32 v9, 5, v54
	s_waitcnt vmcnt(0)
	v_add_nc_u32_e32 v30, -1, v4
	v_mov_b32_e32 v4, 0
	v_and_b32_e32 v1, 24, v0
	v_and_b32_e32 v0, 0xf8, v0
	v_or3_b32 v31, v9, v1, 7
	v_add_co_u32 v5, vcc_lo, v2, v0
	v_lshlrev_b32_e32 v0, 5, v15
	v_add_co_ci_u32_e64 v6, null, 0, v3, vcc_lo
	v_add_co_u32 v2, vcc_lo, v7, v49
	v_add_co_ci_u32_e64 v3, null, 0, v50, vcc_lo
	v_lshl_or_b32 v0, v54, 7, v0
	v_add_co_u32 v7, vcc_lo, v10, v2
	v_add_co_ci_u32_e64 v8, null, v11, v3, vcc_lo
	s_waitcnt lgkmcnt(0)
	v_add_nc_u32_e32 v49, s4, v0
	v_mov_b32_e32 v50, 0x80
	s_branch .LBB296_988
.LBB296_987:                            ;   in Loop: Header=BB296_988 Depth=1
	s_or_b32 exec_lo, exec_lo, s4
	v_add_f32_e32 v0, v0, v1
	v_add_f32_e32 v1, v102, v103
	;; [unrolled: 1-line block ×8, first 2 shown]
	v_add_nc_u32_e32 v54, 4, v54
	v_add_f32_e32 v29, v29, v114
	v_add_f32_e32 v26, v26, v27
	;; [unrolled: 1-line block ×3, first 2 shown]
	;;#ASMSTART
	v_pk_mul_f16 v0, v68, v10;

	;;#ASMEND
	;;#ASMSTART
	v_pk_mul_f16 v1, v66, v2;

	;;#ASMEND
	;; [unrolled: 4-line block ×4, first 2 shown]
	;;#ASMSTART
	v_pk_add_f16 v0, v0, v1;

	;;#ASMEND
	;;#ASMSTART
	v_pk_add_f16 v0, v0, v2;

	;;#ASMEND
	;; [unrolled: 4-line block ×3, first 2 shown]
	v_and_b32_e32 v3, 0xffff, v0
	v_lshrrev_b32_e32 v9, 16, v0
	v_add_f32_e32 v0, v86, v87
	;;#ASMSTART
	v_cvt_f32_f16 v3, v3;
	;;#ASMEND
	;;#ASMSTART
	v_cvt_f32_f16 v9, v9;
	;;#ASMEND
	v_add_f32_e32 v17, v17, v11
	v_add_f32_e32 v20, v20, v12
	;; [unrolled: 1-line block ×3, first 2 shown]
	buffer_load_dword v0, off, s[0:3], s32 offset:236 ; 4-byte Folded Reload
	v_add_f32_e32 v25, v25, v18
	v_add_f32_e32 v11, v100, v101
	;; [unrolled: 1-line block ×7, first 2 shown]
	v_add_co_u32 v7, s4, v7, 16
	v_add_f32_e32 v21, v21, v29
	v_add_f32_e32 v24, v24, v26
	;; [unrolled: 1-line block ×8, first 2 shown]
	v_add_co_ci_u32_e64 v8, null, 0, v8, s4
	v_add_nc_u32_e32 v31, 0x80, v31
	v_add_nc_u32_e32 v49, 0x200, v49
	s_waitcnt vmcnt(0)
	v_cmp_ge_i32_e32 vcc_lo, v54, v0
	s_or_b32 s13, vcc_lo, s13
	s_andn2_b32 exec_lo, exec_lo, s13
	s_cbranch_execz .LBB296_1978
.LBB296_988:                            ; =>This Inner Loop Header: Depth=1
	flat_load_dword v9, v[7:8]
	ds_read2_b64 v[0:3], v49 offset1:1
	ds_read2_b64 v[64:67], v49 offset0:2 offset1:3
	s_waitcnt lgkmcnt(1)
	;;#ASMSTART
	v_cvt_f16_f32 v0, v0;

	;;#ASMEND
	buffer_load_dword v10, off, s[0:3], s32 offset:240 ; 4-byte Folded Reload
	;;#ASMSTART
	v_cvt_f16_f32 v1, v1;

	;;#ASMEND
	;;#ASMSTART
	v_cvt_f16_f32 v27, v2;

	;;#ASMEND
	;; [unrolled: 4-line block ×3, first 2 shown]
	s_waitcnt lgkmcnt(0)
	;;#ASMSTART
	v_cvt_f16_f32 v29, v64;

	;;#ASMEND
	;;#ASMSTART
	v_cvt_f16_f32 v19, v65;

	;;#ASMEND
	;;#ASMSTART
	v_cvt_f16_f32 v64, v66;

	;;#ASMEND
	;;#ASMSTART
	v_cvt_f16_f32 v26, v67;

	;;#ASMEND
	v_mov_b32_e32 v66, 0
	s_waitcnt vmcnt(0)
	v_mad_i64_i32 v[9:10], null, v9, v10, v[5:6]
	flat_load_dwordx2 v[11:12], v[9:10]
	flat_load_dword v65, v[22:23]
	s_waitcnt vmcnt(1) lgkmcnt(1)
	v_cmp_ne_u16_sdwa s15, v11, v4 src0_sel:BYTE_0 src1_sel:DWORD
	s_and_saveexec_b32 s4, s15
	s_cbranch_execz .LBB296_996
; %bb.989:                              ;   in Loop: Header=BB296_988 Depth=1
	v_cmp_ne_u16_sdwa s18, v11, v50 src0_sel:BYTE_0 src1_sel:DWORD
	v_mov_b32_e32 v66, 0x8000
	s_and_saveexec_b32 s15, s18
	s_cbranch_execz .LBB296_995
; %bb.990:                              ;   in Loop: Header=BB296_988 Depth=1
	v_and_b32_e32 v55, 0x7f, v11
	v_mov_b32_e32 v66, 0x7c01
	s_mov_b32 s18, exec_lo
	v_cmpx_ne_u32_e32 0x7f, v55
	s_cbranch_execz .LBB296_994
; %bb.991:                              ;   in Loop: Header=BB296_988 Depth=1
	v_and_b32_e32 v2, 7, v11
	v_lshrrev_b32_e32 v3, 3, v55
	s_mov_b32 s19, exec_lo
	v_cmpx_gt_u32_e32 8, v55
; %bb.992:                              ;   in Loop: Header=BB296_988 Depth=1
	v_ffbh_u32_e32 v2, v2
	v_min_u32_e32 v55, 32, v2
	v_subrev_nc_u32_e32 v2, 28, v55
	v_lshlrev_b64 v[2:3], v2, v[11:12]
	v_sub_nc_u32_e32 v3, 29, v55
	v_and_b32_e32 v2, 7, v2
; %bb.993:                              ;   in Loop: Header=BB296_988 Depth=1
	s_or_b32 exec_lo, exec_lo, s19
	v_lshlrev_b32_e32 v55, 8, v11
	v_lshl_add_u32 v3, v3, 10, 0x2000
	v_lshlrev_b32_e32 v2, 7, v2
	v_and_b32_e32 v55, 0x8000, v55
	v_and_b32_e32 v3, 0xfc00, v3
	v_or3_b32 v66, v55, v3, v2
.LBB296_994:                            ;   in Loop: Header=BB296_988 Depth=1
	s_or_b32 exec_lo, exec_lo, s18
.LBB296_995:                            ;   in Loop: Header=BB296_988 Depth=1
	s_or_b32 exec_lo, exec_lo, s15
.LBB296_996:                            ;   in Loop: Header=BB296_988 Depth=1
	s_or_b32 exec_lo, exec_lo, s4
	v_lshrrev_b16 v3, 8, v11
	v_mov_b32_e32 v55, 0
	v_mov_b32_e32 v67, 0
	s_mov_b32 s4, exec_lo
	v_cmpx_ne_u16_e32 0, v3
	s_cbranch_execz .LBB296_1004
; %bb.997:                              ;   in Loop: Header=BB296_988 Depth=1
	v_bfrev_b32_e32 v67, 1
	s_mov_b32 s15, exec_lo
	v_cmpx_ne_u16_e32 0x80, v3
	s_cbranch_execz .LBB296_1003
; %bb.998:                              ;   in Loop: Header=BB296_988 Depth=1
	v_and_b32_sdwa v68, v3, v51 dst_sel:DWORD dst_unused:UNUSED_PAD src0_sel:WORD_0 src1_sel:DWORD
	v_mov_b32_e32 v67, 0x7c010000
	s_mov_b32 s18, exec_lo
	v_cmpx_ne_u32_e32 0x7f, v68
	s_cbranch_execz .LBB296_1002
; %bb.999:                              ;   in Loop: Header=BB296_988 Depth=1
	v_and_b32_sdwa v2, v3, v52 dst_sel:DWORD dst_unused:UNUSED_PAD src0_sel:WORD_0 src1_sel:DWORD
	v_lshrrev_b32_e32 v67, 3, v68
	s_mov_b32 s19, exec_lo
	v_cmpx_gt_u32_e32 8, v68
; %bb.1000:                             ;   in Loop: Header=BB296_988 Depth=1
	v_ffbh_u32_e32 v2, v2
	v_min_u32_e32 v2, 32, v2
	v_subrev_nc_u32_e32 v67, 28, v2
	v_lshlrev_b64 v[68:69], v67, v[3:4]
	v_sub_nc_u32_e32 v67, 29, v2
	v_and_b32_e32 v2, 7, v68
; %bb.1001:                             ;   in Loop: Header=BB296_988 Depth=1
	s_or_b32 exec_lo, exec_lo, s19
	v_lshlrev_b32_sdwa v3, v53, v3 dst_sel:DWORD dst_unused:UNUSED_PAD src0_sel:DWORD src1_sel:WORD_0
	v_lshl_add_u32 v67, v67, 10, 0x2000
	v_lshlrev_b32_e32 v2, 23, v2
	v_and_or_b32 v3, 0x8000, v3, v67
	v_lshl_or_b32 v67, v3, 16, v2
.LBB296_1002:                           ;   in Loop: Header=BB296_988 Depth=1
	s_or_b32 exec_lo, exec_lo, s18
.LBB296_1003:                           ;   in Loop: Header=BB296_988 Depth=1
	s_or_b32 exec_lo, exec_lo, s15
.LBB296_1004:                           ;   in Loop: Header=BB296_988 Depth=1
	s_or_b32 exec_lo, exec_lo, s4
	v_lshrrev_b32_e32 v2, 16, v11
	v_cmp_ne_u16_sdwa s15, v2, v4 src0_sel:BYTE_0 src1_sel:DWORD
	s_and_saveexec_b32 s4, s15
	s_cbranch_execz .LBB296_1012
; %bb.1005:                             ;   in Loop: Header=BB296_988 Depth=1
	v_cmp_ne_u16_sdwa s18, v2, v50 src0_sel:BYTE_0 src1_sel:DWORD
	v_mov_b32_e32 v55, 0x8000
	s_and_saveexec_b32 s15, s18
	s_cbranch_execz .LBB296_1011
; %bb.1006:                             ;   in Loop: Header=BB296_988 Depth=1
	v_bfe_u32 v68, v11, 16, 7
	v_mov_b32_e32 v55, 0x7c01
	s_mov_b32 s18, exec_lo
	v_cmpx_ne_u32_e32 0x7f, v68
	s_cbranch_execz .LBB296_1010
; %bb.1007:                             ;   in Loop: Header=BB296_988 Depth=1
	v_and_b32_e32 v3, 7, v2
	v_lshrrev_b32_e32 v55, 3, v68
	s_mov_b32 s19, exec_lo
	v_cmpx_gt_u32_e32 8, v68
; %bb.1008:                             ;   in Loop: Header=BB296_988 Depth=1
	v_ffbh_u32_e32 v3, v3
	v_min_u32_e32 v3, 32, v3
	v_subrev_nc_u32_e32 v55, 28, v3
	v_lshlrev_b64 v[68:69], v55, v[2:3]
	v_sub_nc_u32_e32 v55, 29, v3
	v_and_b32_e32 v3, 7, v68
; %bb.1009:                             ;   in Loop: Header=BB296_988 Depth=1
	s_or_b32 exec_lo, exec_lo, s19
	v_lshlrev_b32_e32 v2, 8, v2
	v_lshl_add_u32 v55, v55, 10, 0x2000
	v_lshlrev_b32_e32 v3, 7, v3
	v_and_b32_e32 v2, 0x8000, v2
	v_and_b32_e32 v55, 0xfc00, v55
	v_or3_b32 v55, v2, v55, v3
.LBB296_1010:                           ;   in Loop: Header=BB296_988 Depth=1
	s_or_b32 exec_lo, exec_lo, s18
.LBB296_1011:                           ;   in Loop: Header=BB296_988 Depth=1
	s_or_b32 exec_lo, exec_lo, s15
.LBB296_1012:                           ;   in Loop: Header=BB296_988 Depth=1
	s_or_b32 exec_lo, exec_lo, s4
	v_mov_b32_e32 v68, 0
	v_mov_b32_e32 v69, 0
	s_mov_b32 s4, exec_lo
	v_cmpx_lt_u32_e32 0xffffff, v11
	s_cbranch_execz .LBB296_1020
; %bb.1013:                             ;   in Loop: Header=BB296_988 Depth=1
	v_lshrrev_b32_e32 v3, 24, v11
	v_bfrev_b32_e32 v69, 1
	s_mov_b32 s15, exec_lo
	v_cmpx_ne_u32_e32 0x80, v3
	s_cbranch_execz .LBB296_1019
; %bb.1014:                             ;   in Loop: Header=BB296_988 Depth=1
	v_and_b32_e32 v70, 0x7f, v3
	v_mov_b32_e32 v69, 0x7c010000
	s_mov_b32 s18, exec_lo
	v_cmpx_ne_u32_e32 0x7f, v70
	s_cbranch_execz .LBB296_1018
; %bb.1015:                             ;   in Loop: Header=BB296_988 Depth=1
	v_and_b32_e32 v2, 7, v3
	v_lshrrev_b32_e32 v69, 3, v70
	s_mov_b32 s19, exec_lo
	v_cmpx_gt_u32_e32 8, v70
; %bb.1016:                             ;   in Loop: Header=BB296_988 Depth=1
	v_ffbh_u32_e32 v2, v2
	v_min_u32_e32 v2, 32, v2
	v_subrev_nc_u32_e32 v69, 28, v2
	v_lshlrev_b64 v[70:71], v69, v[3:4]
	v_sub_nc_u32_e32 v69, 29, v2
	v_and_b32_e32 v2, 7, v70
; %bb.1017:                             ;   in Loop: Header=BB296_988 Depth=1
	s_or_b32 exec_lo, exec_lo, s19
	v_lshlrev_b32_e32 v3, 8, v3
	v_lshl_add_u32 v69, v69, 10, 0x2000
	v_lshlrev_b32_e32 v2, 23, v2
	v_and_or_b32 v3, 0x8000, v3, v69
	v_lshl_or_b32 v69, v3, 16, v2
.LBB296_1018:                           ;   in Loop: Header=BB296_988 Depth=1
	s_or_b32 exec_lo, exec_lo, s18
.LBB296_1019:                           ;   in Loop: Header=BB296_988 Depth=1
	s_or_b32 exec_lo, exec_lo, s15
.LBB296_1020:                           ;   in Loop: Header=BB296_988 Depth=1
	s_or_b32 exec_lo, exec_lo, s4
	v_mov_b32_e32 v3, v12
	v_cmp_ne_u16_sdwa s15, v12, v4 src0_sel:BYTE_0 src1_sel:DWORD
	s_and_saveexec_b32 s4, s15
	s_cbranch_execz .LBB296_1028
; %bb.1021:                             ;   in Loop: Header=BB296_988 Depth=1
	v_cmp_ne_u16_sdwa s18, v12, v50 src0_sel:BYTE_0 src1_sel:DWORD
	v_mov_b32_e32 v68, 0x8000
	s_and_saveexec_b32 s15, s18
	s_cbranch_execz .LBB296_1027
; %bb.1022:                             ;   in Loop: Header=BB296_988 Depth=1
	v_and_b32_e32 v70, 0x7f, v12
	v_mov_b32_e32 v68, 0x7c01
	s_mov_b32 s18, exec_lo
	v_cmpx_ne_u32_e32 0x7f, v70
	s_cbranch_execz .LBB296_1026
; %bb.1023:                             ;   in Loop: Header=BB296_988 Depth=1
	v_and_b32_e32 v2, 7, v12
	v_lshrrev_b32_e32 v68, 3, v70
	s_mov_b32 s19, exec_lo
	v_cmpx_gt_u32_e32 8, v70
; %bb.1024:                             ;   in Loop: Header=BB296_988 Depth=1
	v_ffbh_u32_e32 v2, v2
	v_min_u32_e32 v2, 32, v2
	v_subrev_nc_u32_e32 v68, 28, v2
	v_lshlrev_b64 v[70:71], v68, v[3:4]
	v_sub_nc_u32_e32 v68, 29, v2
	v_and_b32_e32 v2, 7, v70
; %bb.1025:                             ;   in Loop: Header=BB296_988 Depth=1
	s_or_b32 exec_lo, exec_lo, s19
	v_lshlrev_b32_e32 v70, 8, v12
	v_lshl_add_u32 v68, v68, 10, 0x2000
	v_lshlrev_b32_e32 v2, 7, v2
	v_and_b32_e32 v70, 0x8000, v70
	v_and_b32_e32 v68, 0xfc00, v68
	v_or3_b32 v68, v70, v68, v2
.LBB296_1026:                           ;   in Loop: Header=BB296_988 Depth=1
	s_or_b32 exec_lo, exec_lo, s18
.LBB296_1027:                           ;   in Loop: Header=BB296_988 Depth=1
	s_or_b32 exec_lo, exec_lo, s15
.LBB296_1028:                           ;   in Loop: Header=BB296_988 Depth=1
	s_or_b32 exec_lo, exec_lo, s4
	v_lshrrev_b16 v3, 8, v3
	v_mov_b32_e32 v71, 0
	v_mov_b32_e32 v70, 0
	s_mov_b32 s4, exec_lo
	v_cmpx_ne_u16_e32 0, v3
	s_cbranch_execz .LBB296_1036
; %bb.1029:                             ;   in Loop: Header=BB296_988 Depth=1
	v_bfrev_b32_e32 v70, 1
	s_mov_b32 s15, exec_lo
	v_cmpx_ne_u16_e32 0x80, v3
	s_cbranch_execz .LBB296_1035
; %bb.1030:                             ;   in Loop: Header=BB296_988 Depth=1
	v_and_b32_sdwa v80, v3, v51 dst_sel:DWORD dst_unused:UNUSED_PAD src0_sel:WORD_0 src1_sel:DWORD
	v_mov_b32_e32 v70, 0x7c010000
	s_mov_b32 s18, exec_lo
	v_cmpx_ne_u32_e32 0x7f, v80
	s_cbranch_execz .LBB296_1034
; %bb.1031:                             ;   in Loop: Header=BB296_988 Depth=1
	v_and_b32_sdwa v2, v3, v52 dst_sel:DWORD dst_unused:UNUSED_PAD src0_sel:WORD_0 src1_sel:DWORD
	v_lshrrev_b32_e32 v70, 3, v80
	s_mov_b32 s19, exec_lo
	v_cmpx_gt_u32_e32 8, v80
; %bb.1032:                             ;   in Loop: Header=BB296_988 Depth=1
	v_ffbh_u32_e32 v2, v2
	v_min_u32_e32 v2, 32, v2
	v_subrev_nc_u32_e32 v70, 28, v2
	v_lshlrev_b64 v[80:81], v70, v[3:4]
	v_sub_nc_u32_e32 v70, 29, v2
	v_and_b32_e32 v2, 7, v80
; %bb.1033:                             ;   in Loop: Header=BB296_988 Depth=1
	s_or_b32 exec_lo, exec_lo, s19
	v_lshlrev_b32_sdwa v3, v53, v3 dst_sel:DWORD dst_unused:UNUSED_PAD src0_sel:DWORD src1_sel:WORD_0
	v_lshl_add_u32 v70, v70, 10, 0x2000
	v_lshlrev_b32_e32 v2, 23, v2
	v_and_or_b32 v3, 0x8000, v3, v70
	v_lshl_or_b32 v70, v3, 16, v2
.LBB296_1034:                           ;   in Loop: Header=BB296_988 Depth=1
	s_or_b32 exec_lo, exec_lo, s18
.LBB296_1035:                           ;   in Loop: Header=BB296_988 Depth=1
	s_or_b32 exec_lo, exec_lo, s15
.LBB296_1036:                           ;   in Loop: Header=BB296_988 Depth=1
	s_or_b32 exec_lo, exec_lo, s4
	v_lshrrev_b32_e32 v2, 16, v12
	v_cmp_ne_u16_sdwa s15, v2, v4 src0_sel:BYTE_0 src1_sel:DWORD
	s_and_saveexec_b32 s4, s15
	s_cbranch_execz .LBB296_1044
; %bb.1037:                             ;   in Loop: Header=BB296_988 Depth=1
	v_cmp_ne_u16_sdwa s18, v2, v50 src0_sel:BYTE_0 src1_sel:DWORD
	v_mov_b32_e32 v71, 0x8000
	s_and_saveexec_b32 s15, s18
	s_cbranch_execz .LBB296_1043
; %bb.1038:                             ;   in Loop: Header=BB296_988 Depth=1
	v_bfe_u32 v80, v12, 16, 7
	v_mov_b32_e32 v71, 0x7c01
	s_mov_b32 s18, exec_lo
	v_cmpx_ne_u32_e32 0x7f, v80
	s_cbranch_execz .LBB296_1042
; %bb.1039:                             ;   in Loop: Header=BB296_988 Depth=1
	v_and_b32_e32 v3, 7, v2
	v_lshrrev_b32_e32 v71, 3, v80
	s_mov_b32 s19, exec_lo
	v_cmpx_gt_u32_e32 8, v80
; %bb.1040:                             ;   in Loop: Header=BB296_988 Depth=1
	v_ffbh_u32_e32 v3, v3
	v_min_u32_e32 v3, 32, v3
	v_subrev_nc_u32_e32 v71, 28, v3
	v_lshlrev_b64 v[80:81], v71, v[2:3]
	v_sub_nc_u32_e32 v71, 29, v3
	v_and_b32_e32 v3, 7, v80
; %bb.1041:                             ;   in Loop: Header=BB296_988 Depth=1
	s_or_b32 exec_lo, exec_lo, s19
	v_lshlrev_b32_e32 v2, 8, v2
	v_lshl_add_u32 v71, v71, 10, 0x2000
	v_lshlrev_b32_e32 v3, 7, v3
	v_and_b32_e32 v2, 0x8000, v2
	v_and_b32_e32 v71, 0xfc00, v71
	v_or3_b32 v71, v2, v71, v3
.LBB296_1042:                           ;   in Loop: Header=BB296_988 Depth=1
	s_or_b32 exec_lo, exec_lo, s18
.LBB296_1043:                           ;   in Loop: Header=BB296_988 Depth=1
	s_or_b32 exec_lo, exec_lo, s15
.LBB296_1044:                           ;   in Loop: Header=BB296_988 Depth=1
	s_or_b32 exec_lo, exec_lo, s4
	v_mov_b32_e32 v2, 0
	s_mov_b32 s4, exec_lo
	v_cmpx_lt_u64_e64 s[6:7], v[11:12]
	s_cbranch_execz .LBB296_1052
; %bb.1045:                             ;   in Loop: Header=BB296_988 Depth=1
	v_lshrrev_b32_e32 v3, 24, v12
	v_bfrev_b32_e32 v2, 1
	s_mov_b32 s15, exec_lo
	v_cmpx_ne_u32_e32 0x80, v3
	s_cbranch_execz .LBB296_1051
; %bb.1046:                             ;   in Loop: Header=BB296_988 Depth=1
	v_and_b32_e32 v12, 0x7f, v3
	v_mov_b32_e32 v2, 0x7c010000
	s_mov_b32 s18, exec_lo
	v_cmpx_ne_u32_e32 0x7f, v12
	s_cbranch_execz .LBB296_1050
; %bb.1047:                             ;   in Loop: Header=BB296_988 Depth=1
	v_and_b32_e32 v2, 7, v3
	v_lshrrev_b32_e32 v11, 3, v12
	s_mov_b32 s19, exec_lo
	v_cmpx_gt_u32_e32 8, v12
; %bb.1048:                             ;   in Loop: Header=BB296_988 Depth=1
	v_ffbh_u32_e32 v2, v2
	v_min_u32_e32 v2, 32, v2
	v_subrev_nc_u32_e32 v11, 28, v2
	v_lshlrev_b64 v[80:81], v11, v[3:4]
	v_sub_nc_u32_e32 v11, 29, v2
	v_and_b32_e32 v2, 7, v80
; %bb.1049:                             ;   in Loop: Header=BB296_988 Depth=1
	s_or_b32 exec_lo, exec_lo, s19
	v_lshlrev_b32_e32 v3, 8, v3
	v_lshl_add_u32 v11, v11, 10, 0x2000
	v_lshlrev_b32_e32 v2, 23, v2
	v_and_or_b32 v3, 0x8000, v3, v11
	v_lshl_or_b32 v2, v3, 16, v2
.LBB296_1050:                           ;   in Loop: Header=BB296_988 Depth=1
	s_or_b32 exec_lo, exec_lo, s18
.LBB296_1051:                           ;   in Loop: Header=BB296_988 Depth=1
	s_or_b32 exec_lo, exec_lo, s15
.LBB296_1052:                           ;   in Loop: Header=BB296_988 Depth=1
	s_or_b32 exec_lo, exec_lo, s4
	v_or_b32_e32 v3, v69, v55
	s_waitcnt vmcnt(0) lgkmcnt(0)
	v_fma_mixlo_f16 v11, v65, v69, 0 op_sel:[0,1,0] op_sel_hi:[0,1,0]
	v_or_b32_e32 v12, v67, v66
	v_fma_mixlo_f16 v66, v65, v67, 0 op_sel:[0,1,0] op_sel_hi:[0,1,0]
	v_or_b32_e32 v68, v70, v68
	v_fma_mixlo_f16 v67, v65, v3, 0 op_sel_hi:[0,1,0]
	v_or_b32_e32 v69, v2, v71
	v_lshlrev_b32_e32 v3, 16, v11
	v_lshlrev_b32_e32 v84, 16, v66
	v_fma_mixlo_f16 v11, v65, v12, 0 op_sel_hi:[0,1,0]
	v_and_b32_e32 v66, 0xffff, v67
	v_fma_mixlo_f16 v12, v65, v70, 0 op_sel:[0,1,0] op_sel_hi:[0,1,0]
	v_fma_mixlo_f16 v67, v65, v68, 0 op_sel_hi:[0,1,0]
	v_fma_mixlo_f16 v2, v65, v2, 0 op_sel:[0,1,0] op_sel_hi:[0,1,0]
	v_fma_mixlo_f16 v69, v65, v69, 0 op_sel_hi:[0,1,0]
	v_and_b32_e32 v86, 0xffff, v11
	v_lshlrev_b32_e32 v68, 16, v12
	v_and_b32_e32 v85, 0xffff, v67
	v_lshlrev_b32_e32 v65, 16, v2
	v_and_b32_e32 v69, 0xffff, v69
	v_add_nc_u32_e32 v55, -7, v31
	v_cmp_eq_u32_e32 vcc_lo, v30, v54
	v_or_b32_e32 v2, v3, v66
	v_or_b32_e32 v11, v84, v86
	;; [unrolled: 1-line block ×4, first 2 shown]
	v_add_nc_u32_e32 v83, -6, v31
	v_add_nc_u32_e32 v82, -5, v31
	;; [unrolled: 1-line block ×6, first 2 shown]
	s_and_saveexec_b32 s15, vcc_lo
	s_cbranch_execz .LBB296_1054
; %bb.1053:                             ;   in Loop: Header=BB296_988 Depth=1
	v_cmp_lt_i32_e64 s4, v55, v28
	v_cndmask_b32_e64 v2, 0, v86, s4
	v_cmp_lt_i32_e64 s4, v83, v28
	v_cndmask_b32_e64 v11, 0, v84, s4
	v_cmp_lt_i32_e64 s4, v82, v28
	v_or_b32_e32 v11, v2, v11
	v_cndmask_b32_e64 v12, 0, v66, s4
	v_cmp_lt_i32_e64 s4, v81, v28
	v_cndmask_b32_e64 v3, 0, v3, s4
	v_cmp_lt_i32_e64 s4, v80, v28
	v_or_b32_e32 v2, v12, v3
	;; [unrolled: 5-line block ×3, first 2 shown]
	v_cndmask_b32_e64 v68, 0, v69, s4
	v_cmp_lt_i32_e64 s4, v31, v28
	v_cndmask_b32_e64 v65, 0, v65, s4
	v_or_b32_e32 v67, v68, v65
.LBB296_1054:                           ;   in Loop: Header=BB296_988 Depth=1
	s_or_b32 exec_lo, exec_lo, s15
	v_and_b32_e32 v0, 0xffff, v0
	v_and_b32_e32 v3, 0xffff, v27
	;; [unrolled: 1-line block ×4, first 2 shown]
	v_lshl_or_b32 v68, v1, 16, v0
	;;#ASMSTART
	v_pk_mul_f16 v0, v68, v11;

	;;#ASMEND
	v_lshl_or_b32 v66, v18, 16, v3
	v_lshl_or_b32 v65, v19, 16, v27
	;; [unrolled: 1-line block ×3, first 2 shown]
	;;#ASMSTART
	v_pk_mul_f16 v1, v66, v2;

	;;#ASMEND
	;;#ASMSTART
	v_pk_mul_f16 v2, v65, v12;

	;;#ASMEND
	;; [unrolled: 4-line block ×3, first 2 shown]
	;;#ASMSTART
	v_pk_add_f16 v0, v0, v1;

	;;#ASMEND
	;;#ASMSTART
	v_pk_add_f16 v0, v0, v2;

	;;#ASMEND
	;; [unrolled: 4-line block ×3, first 2 shown]
	v_and_b32_e32 v1, 0xffff, v0
	v_lshrrev_b32_e32 v0, 16, v0
	;;#ASMSTART
	v_cvt_f32_f16 v67, v1;
	;;#ASMEND
	;;#ASMSTART
	v_cvt_f32_f16 v69, v0;
	;;#ASMEND
	flat_load_dwordx2 v[11:12], v[9:10] offset:256
	flat_load_dword v0, v[22:23]
	v_mov_b32_e32 v1, 0
	v_mov_b32_e32 v18, 0
	s_waitcnt vmcnt(1) lgkmcnt(1)
	v_cmp_ne_u16_sdwa s4, v11, v4 src0_sel:BYTE_0 src1_sel:DWORD
	s_and_saveexec_b32 s15, s4
	s_cbranch_execz .LBB296_1062
; %bb.1055:                             ;   in Loop: Header=BB296_988 Depth=1
	v_cmp_ne_u16_sdwa s4, v11, v50 src0_sel:BYTE_0 src1_sel:DWORD
	v_mov_b32_e32 v18, 0x8000
	s_and_saveexec_b32 s18, s4
	s_cbranch_execz .LBB296_1061
; %bb.1056:                             ;   in Loop: Header=BB296_988 Depth=1
	v_and_b32_e32 v19, 0x7f, v11
	v_mov_b32_e32 v18, 0x7c01
	s_mov_b32 s19, exec_lo
	v_cmpx_ne_u32_e32 0x7f, v19
	s_cbranch_execz .LBB296_1060
; %bb.1057:                             ;   in Loop: Header=BB296_988 Depth=1
	v_and_b32_e32 v2, 7, v11
	v_lshrrev_b32_e32 v3, 3, v19
	s_mov_b32 s20, exec_lo
	v_cmpx_gt_u32_e32 8, v19
; %bb.1058:                             ;   in Loop: Header=BB296_988 Depth=1
	v_ffbh_u32_e32 v2, v2
	v_min_u32_e32 v18, 32, v2
	v_subrev_nc_u32_e32 v2, 28, v18
	v_lshlrev_b64 v[2:3], v2, v[11:12]
	v_sub_nc_u32_e32 v3, 29, v18
	v_and_b32_e32 v2, 7, v2
; %bb.1059:                             ;   in Loop: Header=BB296_988 Depth=1
	s_or_b32 exec_lo, exec_lo, s20
	v_lshlrev_b32_e32 v18, 8, v11
	v_lshl_add_u32 v3, v3, 10, 0x2000
	v_lshlrev_b32_e32 v2, 7, v2
	v_and_b32_e32 v18, 0x8000, v18
	v_and_b32_e32 v3, 0xfc00, v3
	v_or3_b32 v18, v18, v3, v2
.LBB296_1060:                           ;   in Loop: Header=BB296_988 Depth=1
	s_or_b32 exec_lo, exec_lo, s19
.LBB296_1061:                           ;   in Loop: Header=BB296_988 Depth=1
	s_or_b32 exec_lo, exec_lo, s18
.LBB296_1062:                           ;   in Loop: Header=BB296_988 Depth=1
	s_or_b32 exec_lo, exec_lo, s15
	v_lshrrev_b16 v3, 8, v11
	s_mov_b32 s15, exec_lo
	v_cmpx_ne_u16_e32 0, v3
	s_cbranch_execz .LBB296_1070
; %bb.1063:                             ;   in Loop: Header=BB296_988 Depth=1
	v_bfrev_b32_e32 v1, 1
	s_mov_b32 s18, exec_lo
	v_cmpx_ne_u16_e32 0x80, v3
	s_cbranch_execz .LBB296_1069
; %bb.1064:                             ;   in Loop: Header=BB296_988 Depth=1
	v_and_b32_sdwa v19, v3, v51 dst_sel:DWORD dst_unused:UNUSED_PAD src0_sel:WORD_0 src1_sel:DWORD
	v_mov_b32_e32 v1, 0x7c010000
	s_mov_b32 s19, exec_lo
	v_cmpx_ne_u32_e32 0x7f, v19
	s_cbranch_execz .LBB296_1068
; %bb.1065:                             ;   in Loop: Header=BB296_988 Depth=1
	v_and_b32_sdwa v1, v3, v52 dst_sel:DWORD dst_unused:UNUSED_PAD src0_sel:WORD_0 src1_sel:DWORD
	v_lshrrev_b32_e32 v2, 3, v19
	s_mov_b32 s20, exec_lo
	v_cmpx_gt_u32_e32 8, v19
; %bb.1066:                             ;   in Loop: Header=BB296_988 Depth=1
	v_ffbh_u32_e32 v1, v1
	v_min_u32_e32 v19, 32, v1
	v_subrev_nc_u32_e32 v1, 28, v19
	v_lshlrev_b64 v[1:2], v1, v[3:4]
	v_sub_nc_u32_e32 v2, 29, v19
	v_and_b32_e32 v1, 7, v1
; %bb.1067:                             ;   in Loop: Header=BB296_988 Depth=1
	s_or_b32 exec_lo, exec_lo, s20
	v_lshlrev_b32_sdwa v3, v53, v3 dst_sel:DWORD dst_unused:UNUSED_PAD src0_sel:DWORD src1_sel:WORD_0
	v_lshl_add_u32 v2, v2, 10, 0x2000
	v_lshlrev_b32_e32 v1, 23, v1
	v_and_or_b32 v2, 0x8000, v3, v2
	v_lshl_or_b32 v1, v2, 16, v1
.LBB296_1068:                           ;   in Loop: Header=BB296_988 Depth=1
	s_or_b32 exec_lo, exec_lo, s19
.LBB296_1069:                           ;   in Loop: Header=BB296_988 Depth=1
	s_or_b32 exec_lo, exec_lo, s18
.LBB296_1070:                           ;   in Loop: Header=BB296_988 Depth=1
	s_or_b32 exec_lo, exec_lo, s15
	v_lshrrev_b32_e32 v2, 16, v11
	v_mov_b32_e32 v19, 0
	v_mov_b32_e32 v26, 0
	v_cmp_ne_u16_sdwa s4, v2, v4 src0_sel:BYTE_0 src1_sel:DWORD
	s_and_saveexec_b32 s15, s4
	s_cbranch_execz .LBB296_1078
; %bb.1071:                             ;   in Loop: Header=BB296_988 Depth=1
	v_cmp_ne_u16_sdwa s4, v2, v50 src0_sel:BYTE_0 src1_sel:DWORD
	v_mov_b32_e32 v26, 0x8000
	s_and_saveexec_b32 s18, s4
	s_cbranch_execz .LBB296_1077
; %bb.1072:                             ;   in Loop: Header=BB296_988 Depth=1
	v_bfe_u32 v27, v11, 16, 7
	v_mov_b32_e32 v26, 0x7c01
	s_mov_b32 s19, exec_lo
	v_cmpx_ne_u32_e32 0x7f, v27
	s_cbranch_execz .LBB296_1076
; %bb.1073:                             ;   in Loop: Header=BB296_988 Depth=1
	v_and_b32_e32 v3, 7, v2
	v_lshrrev_b32_e32 v26, 3, v27
	s_mov_b32 s20, exec_lo
	v_cmpx_gt_u32_e32 8, v27
; %bb.1074:                             ;   in Loop: Header=BB296_988 Depth=1
	v_ffbh_u32_e32 v3, v3
	v_min_u32_e32 v3, 32, v3
	v_subrev_nc_u32_e32 v26, 28, v3
	v_lshlrev_b64 v[84:85], v26, v[2:3]
	v_sub_nc_u32_e32 v26, 29, v3
	v_and_b32_e32 v3, 7, v84
; %bb.1075:                             ;   in Loop: Header=BB296_988 Depth=1
	s_or_b32 exec_lo, exec_lo, s20
	v_lshlrev_b32_e32 v2, 8, v2
	v_lshl_add_u32 v26, v26, 10, 0x2000
	v_lshlrev_b32_e32 v3, 7, v3
	v_and_b32_e32 v2, 0x8000, v2
	v_and_b32_e32 v26, 0xfc00, v26
	v_or3_b32 v26, v2, v26, v3
.LBB296_1076:                           ;   in Loop: Header=BB296_988 Depth=1
	s_or_b32 exec_lo, exec_lo, s19
.LBB296_1077:                           ;   in Loop: Header=BB296_988 Depth=1
	s_or_b32 exec_lo, exec_lo, s18
.LBB296_1078:                           ;   in Loop: Header=BB296_988 Depth=1
	s_or_b32 exec_lo, exec_lo, s15
	s_mov_b32 s15, exec_lo
	v_cmpx_lt_u32_e32 0xffffff, v11
	s_cbranch_execz .LBB296_1086
; %bb.1079:                             ;   in Loop: Header=BB296_988 Depth=1
	v_lshrrev_b32_e32 v3, 24, v11
	v_bfrev_b32_e32 v19, 1
	s_mov_b32 s18, exec_lo
	v_cmpx_ne_u32_e32 0x80, v3
	s_cbranch_execz .LBB296_1085
; %bb.1080:                             ;   in Loop: Header=BB296_988 Depth=1
	v_and_b32_e32 v27, 0x7f, v3
	v_mov_b32_e32 v19, 0x7c010000
	s_mov_b32 s19, exec_lo
	v_cmpx_ne_u32_e32 0x7f, v27
	s_cbranch_execz .LBB296_1084
; %bb.1081:                             ;   in Loop: Header=BB296_988 Depth=1
	v_and_b32_e32 v2, 7, v3
	v_lshrrev_b32_e32 v19, 3, v27
	s_mov_b32 s20, exec_lo
	v_cmpx_gt_u32_e32 8, v27
; %bb.1082:                             ;   in Loop: Header=BB296_988 Depth=1
	v_ffbh_u32_e32 v2, v2
	v_min_u32_e32 v2, 32, v2
	v_subrev_nc_u32_e32 v19, 28, v2
	v_lshlrev_b64 v[84:85], v19, v[3:4]
	v_sub_nc_u32_e32 v19, 29, v2
	v_and_b32_e32 v2, 7, v84
; %bb.1083:                             ;   in Loop: Header=BB296_988 Depth=1
	s_or_b32 exec_lo, exec_lo, s20
	v_lshlrev_b32_e32 v3, 8, v3
	v_lshl_add_u32 v19, v19, 10, 0x2000
	v_lshlrev_b32_e32 v2, 23, v2
	v_and_or_b32 v3, 0x8000, v3, v19
	v_lshl_or_b32 v19, v3, 16, v2
.LBB296_1084:                           ;   in Loop: Header=BB296_988 Depth=1
	s_or_b32 exec_lo, exec_lo, s19
.LBB296_1085:                           ;   in Loop: Header=BB296_988 Depth=1
	s_or_b32 exec_lo, exec_lo, s18
.LBB296_1086:                           ;   in Loop: Header=BB296_988 Depth=1
	s_or_b32 exec_lo, exec_lo, s15
	v_mov_b32_e32 v3, v12
	v_cmp_ne_u16_sdwa s4, v12, v4 src0_sel:BYTE_0 src1_sel:DWORD
	v_mov_b32_e32 v27, 0
	v_mov_b32_e32 v29, 0
	s_and_saveexec_b32 s15, s4
	s_cbranch_execz .LBB296_1094
; %bb.1087:                             ;   in Loop: Header=BB296_988 Depth=1
	v_cmp_ne_u16_sdwa s4, v12, v50 src0_sel:BYTE_0 src1_sel:DWORD
	v_mov_b32_e32 v29, 0x8000
	s_and_saveexec_b32 s18, s4
	s_cbranch_execz .LBB296_1093
; %bb.1088:                             ;   in Loop: Header=BB296_988 Depth=1
	v_and_b32_e32 v84, 0x7f, v12
	v_mov_b32_e32 v29, 0x7c01
	s_mov_b32 s19, exec_lo
	v_cmpx_ne_u32_e32 0x7f, v84
	s_cbranch_execz .LBB296_1092
; %bb.1089:                             ;   in Loop: Header=BB296_988 Depth=1
	v_and_b32_e32 v2, 7, v12
	v_lshrrev_b32_e32 v29, 3, v84
	s_mov_b32 s20, exec_lo
	v_cmpx_gt_u32_e32 8, v84
; %bb.1090:                             ;   in Loop: Header=BB296_988 Depth=1
	v_ffbh_u32_e32 v2, v2
	v_min_u32_e32 v2, 32, v2
	v_subrev_nc_u32_e32 v29, 28, v2
	v_lshlrev_b64 v[84:85], v29, v[3:4]
	v_sub_nc_u32_e32 v29, 29, v2
	v_and_b32_e32 v2, 7, v84
; %bb.1091:                             ;   in Loop: Header=BB296_988 Depth=1
	s_or_b32 exec_lo, exec_lo, s20
	v_lshlrev_b32_e32 v84, 8, v12
	v_lshl_add_u32 v29, v29, 10, 0x2000
	v_lshlrev_b32_e32 v2, 7, v2
	v_and_b32_e32 v84, 0x8000, v84
	v_and_b32_e32 v29, 0xfc00, v29
	v_or3_b32 v29, v84, v29, v2
.LBB296_1092:                           ;   in Loop: Header=BB296_988 Depth=1
	s_or_b32 exec_lo, exec_lo, s19
.LBB296_1093:                           ;   in Loop: Header=BB296_988 Depth=1
	s_or_b32 exec_lo, exec_lo, s18
.LBB296_1094:                           ;   in Loop: Header=BB296_988 Depth=1
	s_or_b32 exec_lo, exec_lo, s15
	v_lshrrev_b16 v3, 8, v3
	v_mov_b32_e32 v84, 0
	s_mov_b32 s15, exec_lo
	v_cmpx_ne_u16_e32 0, v3
	s_cbranch_execz .LBB296_1102
; %bb.1095:                             ;   in Loop: Header=BB296_988 Depth=1
	v_bfrev_b32_e32 v84, 1
	s_mov_b32 s18, exec_lo
	v_cmpx_ne_u16_e32 0x80, v3
	s_cbranch_execz .LBB296_1101
; %bb.1096:                             ;   in Loop: Header=BB296_988 Depth=1
	v_and_b32_sdwa v85, v3, v51 dst_sel:DWORD dst_unused:UNUSED_PAD src0_sel:WORD_0 src1_sel:DWORD
	v_mov_b32_e32 v84, 0x7c010000
	s_mov_b32 s19, exec_lo
	v_cmpx_ne_u32_e32 0x7f, v85
	s_cbranch_execz .LBB296_1100
; %bb.1097:                             ;   in Loop: Header=BB296_988 Depth=1
	v_and_b32_sdwa v2, v3, v52 dst_sel:DWORD dst_unused:UNUSED_PAD src0_sel:WORD_0 src1_sel:DWORD
	v_lshrrev_b32_e32 v84, 3, v85
	s_mov_b32 s20, exec_lo
	v_cmpx_gt_u32_e32 8, v85
; %bb.1098:                             ;   in Loop: Header=BB296_988 Depth=1
	v_ffbh_u32_e32 v2, v2
	v_min_u32_e32 v2, 32, v2
	v_subrev_nc_u32_e32 v84, 28, v2
	v_lshlrev_b64 v[85:86], v84, v[3:4]
	v_sub_nc_u32_e32 v84, 29, v2
	v_and_b32_e32 v2, 7, v85
; %bb.1099:                             ;   in Loop: Header=BB296_988 Depth=1
	s_or_b32 exec_lo, exec_lo, s20
	v_lshlrev_b32_sdwa v3, v53, v3 dst_sel:DWORD dst_unused:UNUSED_PAD src0_sel:DWORD src1_sel:WORD_0
	v_lshl_add_u32 v84, v84, 10, 0x2000
	v_lshlrev_b32_e32 v2, 23, v2
	v_and_or_b32 v3, 0x8000, v3, v84
	v_lshl_or_b32 v84, v3, 16, v2
.LBB296_1100:                           ;   in Loop: Header=BB296_988 Depth=1
	s_or_b32 exec_lo, exec_lo, s19
.LBB296_1101:                           ;   in Loop: Header=BB296_988 Depth=1
	s_or_b32 exec_lo, exec_lo, s18
.LBB296_1102:                           ;   in Loop: Header=BB296_988 Depth=1
	s_or_b32 exec_lo, exec_lo, s15
	v_lshrrev_b32_e32 v2, 16, v12
	v_cmp_ne_u16_sdwa s4, v2, v4 src0_sel:BYTE_0 src1_sel:DWORD
	s_and_saveexec_b32 s15, s4
	s_cbranch_execz .LBB296_1110
; %bb.1103:                             ;   in Loop: Header=BB296_988 Depth=1
	v_cmp_ne_u16_sdwa s4, v2, v50 src0_sel:BYTE_0 src1_sel:DWORD
	v_mov_b32_e32 v27, 0x8000
	s_and_saveexec_b32 s18, s4
	s_cbranch_execz .LBB296_1109
; %bb.1104:                             ;   in Loop: Header=BB296_988 Depth=1
	v_bfe_u32 v85, v12, 16, 7
	v_mov_b32_e32 v27, 0x7c01
	s_mov_b32 s19, exec_lo
	v_cmpx_ne_u32_e32 0x7f, v85
	s_cbranch_execz .LBB296_1108
; %bb.1105:                             ;   in Loop: Header=BB296_988 Depth=1
	v_and_b32_e32 v3, 7, v2
	v_lshrrev_b32_e32 v27, 3, v85
	s_mov_b32 s20, exec_lo
	v_cmpx_gt_u32_e32 8, v85
; %bb.1106:                             ;   in Loop: Header=BB296_988 Depth=1
	v_ffbh_u32_e32 v3, v3
	v_min_u32_e32 v3, 32, v3
	v_subrev_nc_u32_e32 v27, 28, v3
	v_lshlrev_b64 v[85:86], v27, v[2:3]
	v_sub_nc_u32_e32 v27, 29, v3
	v_and_b32_e32 v3, 7, v85
; %bb.1107:                             ;   in Loop: Header=BB296_988 Depth=1
	s_or_b32 exec_lo, exec_lo, s20
	v_lshlrev_b32_e32 v2, 8, v2
	v_lshl_add_u32 v27, v27, 10, 0x2000
	v_lshlrev_b32_e32 v3, 7, v3
	v_and_b32_e32 v2, 0x8000, v2
	v_and_b32_e32 v27, 0xfc00, v27
	v_or3_b32 v27, v2, v27, v3
.LBB296_1108:                           ;   in Loop: Header=BB296_988 Depth=1
	s_or_b32 exec_lo, exec_lo, s19
.LBB296_1109:                           ;   in Loop: Header=BB296_988 Depth=1
	s_or_b32 exec_lo, exec_lo, s18
.LBB296_1110:                           ;   in Loop: Header=BB296_988 Depth=1
	s_or_b32 exec_lo, exec_lo, s15
	v_mov_b32_e32 v2, 0
	s_mov_b32 s15, exec_lo
	v_cmpx_lt_u64_e64 s[6:7], v[11:12]
	s_cbranch_execz .LBB296_1118
; %bb.1111:                             ;   in Loop: Header=BB296_988 Depth=1
	v_lshrrev_b32_e32 v3, 24, v12
	v_bfrev_b32_e32 v2, 1
	s_mov_b32 s18, exec_lo
	v_cmpx_ne_u32_e32 0x80, v3
	s_cbranch_execz .LBB296_1117
; %bb.1112:                             ;   in Loop: Header=BB296_988 Depth=1
	v_and_b32_e32 v12, 0x7f, v3
	v_mov_b32_e32 v2, 0x7c010000
	s_mov_b32 s19, exec_lo
	v_cmpx_ne_u32_e32 0x7f, v12
	s_cbranch_execz .LBB296_1116
; %bb.1113:                             ;   in Loop: Header=BB296_988 Depth=1
	v_and_b32_e32 v2, 7, v3
	v_lshrrev_b32_e32 v11, 3, v12
	s_mov_b32 s20, exec_lo
	v_cmpx_gt_u32_e32 8, v12
; %bb.1114:                             ;   in Loop: Header=BB296_988 Depth=1
	v_ffbh_u32_e32 v2, v2
	v_min_u32_e32 v2, 32, v2
	v_subrev_nc_u32_e32 v11, 28, v2
	v_lshlrev_b64 v[85:86], v11, v[3:4]
	v_sub_nc_u32_e32 v11, 29, v2
	v_and_b32_e32 v2, 7, v85
; %bb.1115:                             ;   in Loop: Header=BB296_988 Depth=1
	s_or_b32 exec_lo, exec_lo, s20
	v_lshlrev_b32_e32 v3, 8, v3
	v_lshl_add_u32 v11, v11, 10, 0x2000
	v_lshlrev_b32_e32 v2, 23, v2
	v_and_or_b32 v3, 0x8000, v3, v11
	v_lshl_or_b32 v2, v3, 16, v2
.LBB296_1116:                           ;   in Loop: Header=BB296_988 Depth=1
	s_or_b32 exec_lo, exec_lo, s19
.LBB296_1117:                           ;   in Loop: Header=BB296_988 Depth=1
	s_or_b32 exec_lo, exec_lo, s18
.LBB296_1118:                           ;   in Loop: Header=BB296_988 Depth=1
	s_or_b32 exec_lo, exec_lo, s15
	v_or_b32_e32 v3, v19, v26
	s_waitcnt vmcnt(0) lgkmcnt(0)
	v_fma_mixlo_f16 v11, v0, v19, 0 op_sel:[0,1,0] op_sel_hi:[0,1,0]
	v_or_b32_e32 v18, v1, v18
	v_or_b32_e32 v19, v84, v29
	;; [unrolled: 1-line block ×3, first 2 shown]
	v_fma_mixlo_f16 v12, v0, v1, 0 op_sel:[0,1,0] op_sel_hi:[0,1,0]
	v_fma_mixlo_f16 v3, v0, v3, 0 op_sel_hi:[0,1,0]
	v_lshlrev_b32_e32 v1, 16, v11
	v_fma_mixlo_f16 v11, v0, v18, 0 op_sel_hi:[0,1,0]
	v_fma_mixlo_f16 v18, v0, v84, 0 op_sel:[0,1,0] op_sel_hi:[0,1,0]
	v_fma_mixlo_f16 v19, v0, v19, 0 op_sel_hi:[0,1,0]
	v_fma_mixlo_f16 v27, v0, v2, 0 op_sel:[0,1,0] op_sel_hi:[0,1,0]
	v_fma_mixlo_f16 v26, v0, v26, 0 op_sel_hi:[0,1,0]
	v_lshlrev_b32_e32 v12, 16, v12
	v_and_b32_e32 v3, 0xffff, v3
	v_and_b32_e32 v84, 0xffff, v11
	v_lshlrev_b32_e32 v2, 16, v18
	v_and_b32_e32 v19, 0xffff, v19
	v_lshlrev_b32_e32 v0, 16, v27
	v_and_b32_e32 v11, 0xffff, v26
	v_or_b32_e32 v18, v1, v3
	v_or_b32_e32 v29, v12, v84
	;; [unrolled: 1-line block ×4, first 2 shown]
	s_and_saveexec_b32 s15, vcc_lo
	s_cbranch_execz .LBB296_1120
; %bb.1119:                             ;   in Loop: Header=BB296_988 Depth=1
	v_cmp_lt_i32_e64 s4, v55, v28
	v_cndmask_b32_e64 v18, 0, v84, s4
	v_cmp_lt_i32_e64 s4, v83, v28
	v_cndmask_b32_e64 v12, 0, v12, s4
	v_cmp_lt_i32_e64 s4, v82, v28
	v_or_b32_e32 v29, v18, v12
	v_cndmask_b32_e64 v3, 0, v3, s4
	v_cmp_lt_i32_e64 s4, v81, v28
	v_cndmask_b32_e64 v1, 0, v1, s4
	v_cmp_lt_i32_e64 s4, v80, v28
	v_or_b32_e32 v18, v3, v1
	;; [unrolled: 5-line block ×3, first 2 shown]
	v_cndmask_b32_e64 v11, 0, v11, s4
	v_cmp_lt_i32_e64 s4, v31, v28
	v_cndmask_b32_e64 v0, 0, v0, s4
	v_or_b32_e32 v26, v11, v0
.LBB296_1120:                           ;   in Loop: Header=BB296_988 Depth=1
	s_or_b32 exec_lo, exec_lo, s15
	;;#ASMSTART
	v_pk_mul_f16 v0, v68, v29;

	;;#ASMEND
	;;#ASMSTART
	v_pk_mul_f16 v1, v66, v18;

	;;#ASMEND
	;; [unrolled: 4-line block ×4, first 2 shown]
	;;#ASMSTART
	v_pk_add_f16 v0, v0, v1;

	;;#ASMEND
	;;#ASMSTART
	v_pk_add_f16 v0, v0, v2;

	;;#ASMEND
	;; [unrolled: 4-line block ×3, first 2 shown]
	v_and_b32_e32 v1, 0xffff, v0
	v_lshrrev_b32_e32 v0, 16, v0
	;;#ASMSTART
	v_cvt_f32_f16 v84, v1;
	;;#ASMEND
	;;#ASMSTART
	v_cvt_f32_f16 v85, v0;
	;;#ASMEND
	flat_load_dwordx2 v[11:12], v[9:10] offset:512
	flat_load_dword v0, v[22:23]
	v_mov_b32_e32 v1, 0
	v_mov_b32_e32 v18, 0
	s_waitcnt vmcnt(1) lgkmcnt(1)
	v_cmp_ne_u16_sdwa s4, v11, v4 src0_sel:BYTE_0 src1_sel:DWORD
	s_and_saveexec_b32 s15, s4
	s_cbranch_execz .LBB296_1128
; %bb.1121:                             ;   in Loop: Header=BB296_988 Depth=1
	v_cmp_ne_u16_sdwa s4, v11, v50 src0_sel:BYTE_0 src1_sel:DWORD
	v_mov_b32_e32 v18, 0x8000
	s_and_saveexec_b32 s18, s4
	s_cbranch_execz .LBB296_1127
; %bb.1122:                             ;   in Loop: Header=BB296_988 Depth=1
	v_and_b32_e32 v19, 0x7f, v11
	v_mov_b32_e32 v18, 0x7c01
	s_mov_b32 s19, exec_lo
	v_cmpx_ne_u32_e32 0x7f, v19
	s_cbranch_execz .LBB296_1126
; %bb.1123:                             ;   in Loop: Header=BB296_988 Depth=1
	v_and_b32_e32 v2, 7, v11
	v_lshrrev_b32_e32 v3, 3, v19
	s_mov_b32 s20, exec_lo
	v_cmpx_gt_u32_e32 8, v19
; %bb.1124:                             ;   in Loop: Header=BB296_988 Depth=1
	v_ffbh_u32_e32 v2, v2
	v_min_u32_e32 v18, 32, v2
	v_subrev_nc_u32_e32 v2, 28, v18
	v_lshlrev_b64 v[2:3], v2, v[11:12]
	v_sub_nc_u32_e32 v3, 29, v18
	v_and_b32_e32 v2, 7, v2
; %bb.1125:                             ;   in Loop: Header=BB296_988 Depth=1
	s_or_b32 exec_lo, exec_lo, s20
	v_lshlrev_b32_e32 v18, 8, v11
	v_lshl_add_u32 v3, v3, 10, 0x2000
	v_lshlrev_b32_e32 v2, 7, v2
	v_and_b32_e32 v18, 0x8000, v18
	v_and_b32_e32 v3, 0xfc00, v3
	v_or3_b32 v18, v18, v3, v2
.LBB296_1126:                           ;   in Loop: Header=BB296_988 Depth=1
	s_or_b32 exec_lo, exec_lo, s19
.LBB296_1127:                           ;   in Loop: Header=BB296_988 Depth=1
	s_or_b32 exec_lo, exec_lo, s18
.LBB296_1128:                           ;   in Loop: Header=BB296_988 Depth=1
	s_or_b32 exec_lo, exec_lo, s15
	v_lshrrev_b16 v3, 8, v11
	s_mov_b32 s15, exec_lo
	v_cmpx_ne_u16_e32 0, v3
	s_cbranch_execz .LBB296_1136
; %bb.1129:                             ;   in Loop: Header=BB296_988 Depth=1
	v_bfrev_b32_e32 v1, 1
	s_mov_b32 s18, exec_lo
	v_cmpx_ne_u16_e32 0x80, v3
	s_cbranch_execz .LBB296_1135
; %bb.1130:                             ;   in Loop: Header=BB296_988 Depth=1
	v_and_b32_sdwa v19, v3, v51 dst_sel:DWORD dst_unused:UNUSED_PAD src0_sel:WORD_0 src1_sel:DWORD
	v_mov_b32_e32 v1, 0x7c010000
	s_mov_b32 s19, exec_lo
	v_cmpx_ne_u32_e32 0x7f, v19
	s_cbranch_execz .LBB296_1134
; %bb.1131:                             ;   in Loop: Header=BB296_988 Depth=1
	v_and_b32_sdwa v1, v3, v52 dst_sel:DWORD dst_unused:UNUSED_PAD src0_sel:WORD_0 src1_sel:DWORD
	v_lshrrev_b32_e32 v2, 3, v19
	s_mov_b32 s20, exec_lo
	v_cmpx_gt_u32_e32 8, v19
; %bb.1132:                             ;   in Loop: Header=BB296_988 Depth=1
	v_ffbh_u32_e32 v1, v1
	v_min_u32_e32 v19, 32, v1
	v_subrev_nc_u32_e32 v1, 28, v19
	v_lshlrev_b64 v[1:2], v1, v[3:4]
	v_sub_nc_u32_e32 v2, 29, v19
	v_and_b32_e32 v1, 7, v1
; %bb.1133:                             ;   in Loop: Header=BB296_988 Depth=1
	s_or_b32 exec_lo, exec_lo, s20
	v_lshlrev_b32_sdwa v3, v53, v3 dst_sel:DWORD dst_unused:UNUSED_PAD src0_sel:DWORD src1_sel:WORD_0
	v_lshl_add_u32 v2, v2, 10, 0x2000
	v_lshlrev_b32_e32 v1, 23, v1
	v_and_or_b32 v2, 0x8000, v3, v2
	v_lshl_or_b32 v1, v2, 16, v1
.LBB296_1134:                           ;   in Loop: Header=BB296_988 Depth=1
	s_or_b32 exec_lo, exec_lo, s19
.LBB296_1135:                           ;   in Loop: Header=BB296_988 Depth=1
	s_or_b32 exec_lo, exec_lo, s18
.LBB296_1136:                           ;   in Loop: Header=BB296_988 Depth=1
	s_or_b32 exec_lo, exec_lo, s15
	v_lshrrev_b32_e32 v2, 16, v11
	v_mov_b32_e32 v19, 0
	v_mov_b32_e32 v26, 0
	v_cmp_ne_u16_sdwa s4, v2, v4 src0_sel:BYTE_0 src1_sel:DWORD
	s_and_saveexec_b32 s15, s4
	s_cbranch_execz .LBB296_1144
; %bb.1137:                             ;   in Loop: Header=BB296_988 Depth=1
	v_cmp_ne_u16_sdwa s4, v2, v50 src0_sel:BYTE_0 src1_sel:DWORD
	v_mov_b32_e32 v26, 0x8000
	s_and_saveexec_b32 s18, s4
	s_cbranch_execz .LBB296_1143
; %bb.1138:                             ;   in Loop: Header=BB296_988 Depth=1
	v_bfe_u32 v27, v11, 16, 7
	v_mov_b32_e32 v26, 0x7c01
	s_mov_b32 s19, exec_lo
	v_cmpx_ne_u32_e32 0x7f, v27
	s_cbranch_execz .LBB296_1142
; %bb.1139:                             ;   in Loop: Header=BB296_988 Depth=1
	v_and_b32_e32 v3, 7, v2
	v_lshrrev_b32_e32 v26, 3, v27
	s_mov_b32 s20, exec_lo
	v_cmpx_gt_u32_e32 8, v27
; %bb.1140:                             ;   in Loop: Header=BB296_988 Depth=1
	v_ffbh_u32_e32 v3, v3
	v_min_u32_e32 v3, 32, v3
	v_subrev_nc_u32_e32 v26, 28, v3
	v_lshlrev_b64 v[86:87], v26, v[2:3]
	v_sub_nc_u32_e32 v26, 29, v3
	v_and_b32_e32 v3, 7, v86
; %bb.1141:                             ;   in Loop: Header=BB296_988 Depth=1
	s_or_b32 exec_lo, exec_lo, s20
	v_lshlrev_b32_e32 v2, 8, v2
	v_lshl_add_u32 v26, v26, 10, 0x2000
	v_lshlrev_b32_e32 v3, 7, v3
	v_and_b32_e32 v2, 0x8000, v2
	v_and_b32_e32 v26, 0xfc00, v26
	v_or3_b32 v26, v2, v26, v3
.LBB296_1142:                           ;   in Loop: Header=BB296_988 Depth=1
	s_or_b32 exec_lo, exec_lo, s19
.LBB296_1143:                           ;   in Loop: Header=BB296_988 Depth=1
	s_or_b32 exec_lo, exec_lo, s18
.LBB296_1144:                           ;   in Loop: Header=BB296_988 Depth=1
	s_or_b32 exec_lo, exec_lo, s15
	s_mov_b32 s15, exec_lo
	v_cmpx_lt_u32_e32 0xffffff, v11
	s_cbranch_execz .LBB296_1152
; %bb.1145:                             ;   in Loop: Header=BB296_988 Depth=1
	v_lshrrev_b32_e32 v3, 24, v11
	v_bfrev_b32_e32 v19, 1
	s_mov_b32 s18, exec_lo
	v_cmpx_ne_u32_e32 0x80, v3
	s_cbranch_execz .LBB296_1151
; %bb.1146:                             ;   in Loop: Header=BB296_988 Depth=1
	v_and_b32_e32 v27, 0x7f, v3
	v_mov_b32_e32 v19, 0x7c010000
	s_mov_b32 s19, exec_lo
	v_cmpx_ne_u32_e32 0x7f, v27
	s_cbranch_execz .LBB296_1150
; %bb.1147:                             ;   in Loop: Header=BB296_988 Depth=1
	v_and_b32_e32 v2, 7, v3
	v_lshrrev_b32_e32 v19, 3, v27
	s_mov_b32 s20, exec_lo
	v_cmpx_gt_u32_e32 8, v27
; %bb.1148:                             ;   in Loop: Header=BB296_988 Depth=1
	v_ffbh_u32_e32 v2, v2
	v_min_u32_e32 v2, 32, v2
	v_subrev_nc_u32_e32 v19, 28, v2
	v_lshlrev_b64 v[86:87], v19, v[3:4]
	v_sub_nc_u32_e32 v19, 29, v2
	v_and_b32_e32 v2, 7, v86
; %bb.1149:                             ;   in Loop: Header=BB296_988 Depth=1
	s_or_b32 exec_lo, exec_lo, s20
	v_lshlrev_b32_e32 v3, 8, v3
	v_lshl_add_u32 v19, v19, 10, 0x2000
	v_lshlrev_b32_e32 v2, 23, v2
	v_and_or_b32 v3, 0x8000, v3, v19
	v_lshl_or_b32 v19, v3, 16, v2
.LBB296_1150:                           ;   in Loop: Header=BB296_988 Depth=1
	s_or_b32 exec_lo, exec_lo, s19
.LBB296_1151:                           ;   in Loop: Header=BB296_988 Depth=1
	s_or_b32 exec_lo, exec_lo, s18
.LBB296_1152:                           ;   in Loop: Header=BB296_988 Depth=1
	s_or_b32 exec_lo, exec_lo, s15
	v_mov_b32_e32 v3, v12
	v_cmp_ne_u16_sdwa s4, v12, v4 src0_sel:BYTE_0 src1_sel:DWORD
	v_mov_b32_e32 v27, 0
	v_mov_b32_e32 v29, 0
	s_and_saveexec_b32 s15, s4
	s_cbranch_execz .LBB296_1160
; %bb.1153:                             ;   in Loop: Header=BB296_988 Depth=1
	v_cmp_ne_u16_sdwa s4, v12, v50 src0_sel:BYTE_0 src1_sel:DWORD
	v_mov_b32_e32 v29, 0x8000
	s_and_saveexec_b32 s18, s4
	s_cbranch_execz .LBB296_1159
; %bb.1154:                             ;   in Loop: Header=BB296_988 Depth=1
	v_and_b32_e32 v86, 0x7f, v12
	v_mov_b32_e32 v29, 0x7c01
	s_mov_b32 s19, exec_lo
	v_cmpx_ne_u32_e32 0x7f, v86
	s_cbranch_execz .LBB296_1158
; %bb.1155:                             ;   in Loop: Header=BB296_988 Depth=1
	v_and_b32_e32 v2, 7, v12
	v_lshrrev_b32_e32 v29, 3, v86
	s_mov_b32 s20, exec_lo
	v_cmpx_gt_u32_e32 8, v86
; %bb.1156:                             ;   in Loop: Header=BB296_988 Depth=1
	v_ffbh_u32_e32 v2, v2
	v_min_u32_e32 v2, 32, v2
	v_subrev_nc_u32_e32 v29, 28, v2
	v_lshlrev_b64 v[86:87], v29, v[3:4]
	v_sub_nc_u32_e32 v29, 29, v2
	v_and_b32_e32 v2, 7, v86
; %bb.1157:                             ;   in Loop: Header=BB296_988 Depth=1
	s_or_b32 exec_lo, exec_lo, s20
	v_lshlrev_b32_e32 v86, 8, v12
	v_lshl_add_u32 v29, v29, 10, 0x2000
	v_lshlrev_b32_e32 v2, 7, v2
	v_and_b32_e32 v86, 0x8000, v86
	v_and_b32_e32 v29, 0xfc00, v29
	v_or3_b32 v29, v86, v29, v2
.LBB296_1158:                           ;   in Loop: Header=BB296_988 Depth=1
	s_or_b32 exec_lo, exec_lo, s19
.LBB296_1159:                           ;   in Loop: Header=BB296_988 Depth=1
	s_or_b32 exec_lo, exec_lo, s18
.LBB296_1160:                           ;   in Loop: Header=BB296_988 Depth=1
	s_or_b32 exec_lo, exec_lo, s15
	v_lshrrev_b16 v3, 8, v3
	v_mov_b32_e32 v86, 0
	s_mov_b32 s15, exec_lo
	v_cmpx_ne_u16_e32 0, v3
	s_cbranch_execz .LBB296_1168
; %bb.1161:                             ;   in Loop: Header=BB296_988 Depth=1
	v_bfrev_b32_e32 v86, 1
	s_mov_b32 s18, exec_lo
	v_cmpx_ne_u16_e32 0x80, v3
	s_cbranch_execz .LBB296_1167
; %bb.1162:                             ;   in Loop: Header=BB296_988 Depth=1
	v_and_b32_sdwa v87, v3, v51 dst_sel:DWORD dst_unused:UNUSED_PAD src0_sel:WORD_0 src1_sel:DWORD
	v_mov_b32_e32 v86, 0x7c010000
	s_mov_b32 s19, exec_lo
	v_cmpx_ne_u32_e32 0x7f, v87
	s_cbranch_execz .LBB296_1166
; %bb.1163:                             ;   in Loop: Header=BB296_988 Depth=1
	v_and_b32_sdwa v2, v3, v52 dst_sel:DWORD dst_unused:UNUSED_PAD src0_sel:WORD_0 src1_sel:DWORD
	v_lshrrev_b32_e32 v86, 3, v87
	s_mov_b32 s20, exec_lo
	v_cmpx_gt_u32_e32 8, v87
; %bb.1164:                             ;   in Loop: Header=BB296_988 Depth=1
	v_ffbh_u32_e32 v2, v2
	v_min_u32_e32 v2, 32, v2
	v_subrev_nc_u32_e32 v86, 28, v2
	v_lshlrev_b64 v[96:97], v86, v[3:4]
	v_sub_nc_u32_e32 v86, 29, v2
	v_and_b32_e32 v2, 7, v96
; %bb.1165:                             ;   in Loop: Header=BB296_988 Depth=1
	s_or_b32 exec_lo, exec_lo, s20
	v_lshlrev_b32_sdwa v3, v53, v3 dst_sel:DWORD dst_unused:UNUSED_PAD src0_sel:DWORD src1_sel:WORD_0
	v_lshl_add_u32 v86, v86, 10, 0x2000
	v_lshlrev_b32_e32 v2, 23, v2
	v_and_or_b32 v3, 0x8000, v3, v86
	v_lshl_or_b32 v86, v3, 16, v2
.LBB296_1166:                           ;   in Loop: Header=BB296_988 Depth=1
	s_or_b32 exec_lo, exec_lo, s19
.LBB296_1167:                           ;   in Loop: Header=BB296_988 Depth=1
	s_or_b32 exec_lo, exec_lo, s18
.LBB296_1168:                           ;   in Loop: Header=BB296_988 Depth=1
	s_or_b32 exec_lo, exec_lo, s15
	v_lshrrev_b32_e32 v2, 16, v12
	v_cmp_ne_u16_sdwa s4, v2, v4 src0_sel:BYTE_0 src1_sel:DWORD
	s_and_saveexec_b32 s15, s4
	s_cbranch_execz .LBB296_1176
; %bb.1169:                             ;   in Loop: Header=BB296_988 Depth=1
	v_cmp_ne_u16_sdwa s4, v2, v50 src0_sel:BYTE_0 src1_sel:DWORD
	v_mov_b32_e32 v27, 0x8000
	s_and_saveexec_b32 s18, s4
	s_cbranch_execz .LBB296_1175
; %bb.1170:                             ;   in Loop: Header=BB296_988 Depth=1
	v_bfe_u32 v87, v12, 16, 7
	v_mov_b32_e32 v27, 0x7c01
	s_mov_b32 s19, exec_lo
	v_cmpx_ne_u32_e32 0x7f, v87
	s_cbranch_execz .LBB296_1174
; %bb.1171:                             ;   in Loop: Header=BB296_988 Depth=1
	v_and_b32_e32 v3, 7, v2
	v_lshrrev_b32_e32 v27, 3, v87
	s_mov_b32 s20, exec_lo
	v_cmpx_gt_u32_e32 8, v87
; %bb.1172:                             ;   in Loop: Header=BB296_988 Depth=1
	v_ffbh_u32_e32 v3, v3
	v_min_u32_e32 v3, 32, v3
	v_subrev_nc_u32_e32 v27, 28, v3
	v_lshlrev_b64 v[96:97], v27, v[2:3]
	v_sub_nc_u32_e32 v27, 29, v3
	v_and_b32_e32 v3, 7, v96
; %bb.1173:                             ;   in Loop: Header=BB296_988 Depth=1
	s_or_b32 exec_lo, exec_lo, s20
	v_lshlrev_b32_e32 v2, 8, v2
	v_lshl_add_u32 v27, v27, 10, 0x2000
	v_lshlrev_b32_e32 v3, 7, v3
	v_and_b32_e32 v2, 0x8000, v2
	v_and_b32_e32 v27, 0xfc00, v27
	v_or3_b32 v27, v2, v27, v3
.LBB296_1174:                           ;   in Loop: Header=BB296_988 Depth=1
	s_or_b32 exec_lo, exec_lo, s19
.LBB296_1175:                           ;   in Loop: Header=BB296_988 Depth=1
	s_or_b32 exec_lo, exec_lo, s18
.LBB296_1176:                           ;   in Loop: Header=BB296_988 Depth=1
	s_or_b32 exec_lo, exec_lo, s15
	v_mov_b32_e32 v2, 0
	s_mov_b32 s15, exec_lo
	v_cmpx_lt_u64_e64 s[6:7], v[11:12]
	s_cbranch_execz .LBB296_1184
; %bb.1177:                             ;   in Loop: Header=BB296_988 Depth=1
	v_lshrrev_b32_e32 v3, 24, v12
	v_bfrev_b32_e32 v2, 1
	s_mov_b32 s18, exec_lo
	v_cmpx_ne_u32_e32 0x80, v3
	s_cbranch_execz .LBB296_1183
; %bb.1178:                             ;   in Loop: Header=BB296_988 Depth=1
	v_and_b32_e32 v12, 0x7f, v3
	v_mov_b32_e32 v2, 0x7c010000
	s_mov_b32 s19, exec_lo
	v_cmpx_ne_u32_e32 0x7f, v12
	s_cbranch_execz .LBB296_1182
; %bb.1179:                             ;   in Loop: Header=BB296_988 Depth=1
	v_and_b32_e32 v2, 7, v3
	v_lshrrev_b32_e32 v11, 3, v12
	s_mov_b32 s20, exec_lo
	v_cmpx_gt_u32_e32 8, v12
; %bb.1180:                             ;   in Loop: Header=BB296_988 Depth=1
	v_ffbh_u32_e32 v2, v2
	v_min_u32_e32 v2, 32, v2
	v_subrev_nc_u32_e32 v11, 28, v2
	v_lshlrev_b64 v[96:97], v11, v[3:4]
	v_sub_nc_u32_e32 v11, 29, v2
	v_and_b32_e32 v2, 7, v96
; %bb.1181:                             ;   in Loop: Header=BB296_988 Depth=1
	s_or_b32 exec_lo, exec_lo, s20
	v_lshlrev_b32_e32 v3, 8, v3
	v_lshl_add_u32 v11, v11, 10, 0x2000
	v_lshlrev_b32_e32 v2, 23, v2
	v_and_or_b32 v3, 0x8000, v3, v11
	v_lshl_or_b32 v2, v3, 16, v2
.LBB296_1182:                           ;   in Loop: Header=BB296_988 Depth=1
	s_or_b32 exec_lo, exec_lo, s19
.LBB296_1183:                           ;   in Loop: Header=BB296_988 Depth=1
	s_or_b32 exec_lo, exec_lo, s18
.LBB296_1184:                           ;   in Loop: Header=BB296_988 Depth=1
	s_or_b32 exec_lo, exec_lo, s15
	v_or_b32_e32 v3, v19, v26
	s_waitcnt vmcnt(0) lgkmcnt(0)
	v_fma_mixlo_f16 v11, v0, v19, 0 op_sel:[0,1,0] op_sel_hi:[0,1,0]
	v_or_b32_e32 v18, v1, v18
	v_or_b32_e32 v19, v86, v29
	;; [unrolled: 1-line block ×3, first 2 shown]
	v_fma_mixlo_f16 v12, v0, v1, 0 op_sel:[0,1,0] op_sel_hi:[0,1,0]
	v_fma_mixlo_f16 v3, v0, v3, 0 op_sel_hi:[0,1,0]
	v_lshlrev_b32_e32 v1, 16, v11
	v_fma_mixlo_f16 v11, v0, v18, 0 op_sel_hi:[0,1,0]
	v_fma_mixlo_f16 v18, v0, v86, 0 op_sel:[0,1,0] op_sel_hi:[0,1,0]
	v_fma_mixlo_f16 v19, v0, v19, 0 op_sel_hi:[0,1,0]
	v_fma_mixlo_f16 v27, v0, v2, 0 op_sel:[0,1,0] op_sel_hi:[0,1,0]
	v_fma_mixlo_f16 v26, v0, v26, 0 op_sel_hi:[0,1,0]
	v_lshlrev_b32_e32 v12, 16, v12
	v_and_b32_e32 v3, 0xffff, v3
	v_and_b32_e32 v86, 0xffff, v11
	v_lshlrev_b32_e32 v2, 16, v18
	v_and_b32_e32 v19, 0xffff, v19
	v_lshlrev_b32_e32 v0, 16, v27
	v_and_b32_e32 v11, 0xffff, v26
	v_or_b32_e32 v18, v1, v3
	v_or_b32_e32 v29, v12, v86
	;; [unrolled: 1-line block ×4, first 2 shown]
	s_and_saveexec_b32 s15, vcc_lo
	s_cbranch_execz .LBB296_1186
; %bb.1185:                             ;   in Loop: Header=BB296_988 Depth=1
	v_cmp_lt_i32_e64 s4, v55, v28
	v_cndmask_b32_e64 v18, 0, v86, s4
	v_cmp_lt_i32_e64 s4, v83, v28
	v_cndmask_b32_e64 v12, 0, v12, s4
	v_cmp_lt_i32_e64 s4, v82, v28
	v_or_b32_e32 v29, v18, v12
	v_cndmask_b32_e64 v3, 0, v3, s4
	v_cmp_lt_i32_e64 s4, v81, v28
	v_cndmask_b32_e64 v1, 0, v1, s4
	v_cmp_lt_i32_e64 s4, v80, v28
	v_or_b32_e32 v18, v3, v1
	;; [unrolled: 5-line block ×3, first 2 shown]
	v_cndmask_b32_e64 v11, 0, v11, s4
	v_cmp_lt_i32_e64 s4, v31, v28
	v_cndmask_b32_e64 v0, 0, v0, s4
	v_or_b32_e32 v26, v11, v0
.LBB296_1186:                           ;   in Loop: Header=BB296_988 Depth=1
	s_or_b32 exec_lo, exec_lo, s15
	;;#ASMSTART
	v_pk_mul_f16 v0, v68, v29;

	;;#ASMEND
	;;#ASMSTART
	v_pk_mul_f16 v1, v66, v18;

	;;#ASMEND
	;; [unrolled: 4-line block ×4, first 2 shown]
	;;#ASMSTART
	v_pk_add_f16 v0, v0, v1;

	;;#ASMEND
	;;#ASMSTART
	v_pk_add_f16 v0, v0, v2;

	;;#ASMEND
	;; [unrolled: 4-line block ×3, first 2 shown]
	v_and_b32_e32 v1, 0xffff, v0
	v_lshrrev_b32_e32 v0, 16, v0
	;;#ASMSTART
	v_cvt_f32_f16 v86, v1;
	;;#ASMEND
	;;#ASMSTART
	v_cvt_f32_f16 v87, v0;
	;;#ASMEND
	flat_load_dwordx2 v[11:12], v[9:10] offset:768
	flat_load_dword v0, v[22:23]
	v_mov_b32_e32 v1, 0
	v_mov_b32_e32 v18, 0
	s_waitcnt vmcnt(1) lgkmcnt(1)
	v_cmp_ne_u16_sdwa s4, v11, v4 src0_sel:BYTE_0 src1_sel:DWORD
	s_and_saveexec_b32 s15, s4
	s_cbranch_execz .LBB296_1194
; %bb.1187:                             ;   in Loop: Header=BB296_988 Depth=1
	v_cmp_ne_u16_sdwa s4, v11, v50 src0_sel:BYTE_0 src1_sel:DWORD
	v_mov_b32_e32 v18, 0x8000
	s_and_saveexec_b32 s18, s4
	s_cbranch_execz .LBB296_1193
; %bb.1188:                             ;   in Loop: Header=BB296_988 Depth=1
	v_and_b32_e32 v19, 0x7f, v11
	v_mov_b32_e32 v18, 0x7c01
	s_mov_b32 s19, exec_lo
	v_cmpx_ne_u32_e32 0x7f, v19
	s_cbranch_execz .LBB296_1192
; %bb.1189:                             ;   in Loop: Header=BB296_988 Depth=1
	v_and_b32_e32 v2, 7, v11
	v_lshrrev_b32_e32 v3, 3, v19
	s_mov_b32 s20, exec_lo
	v_cmpx_gt_u32_e32 8, v19
; %bb.1190:                             ;   in Loop: Header=BB296_988 Depth=1
	v_ffbh_u32_e32 v2, v2
	v_min_u32_e32 v18, 32, v2
	v_subrev_nc_u32_e32 v2, 28, v18
	v_lshlrev_b64 v[2:3], v2, v[11:12]
	v_sub_nc_u32_e32 v3, 29, v18
	v_and_b32_e32 v2, 7, v2
; %bb.1191:                             ;   in Loop: Header=BB296_988 Depth=1
	s_or_b32 exec_lo, exec_lo, s20
	v_lshlrev_b32_e32 v18, 8, v11
	v_lshl_add_u32 v3, v3, 10, 0x2000
	v_lshlrev_b32_e32 v2, 7, v2
	v_and_b32_e32 v18, 0x8000, v18
	v_and_b32_e32 v3, 0xfc00, v3
	v_or3_b32 v18, v18, v3, v2
.LBB296_1192:                           ;   in Loop: Header=BB296_988 Depth=1
	s_or_b32 exec_lo, exec_lo, s19
.LBB296_1193:                           ;   in Loop: Header=BB296_988 Depth=1
	s_or_b32 exec_lo, exec_lo, s18
.LBB296_1194:                           ;   in Loop: Header=BB296_988 Depth=1
	s_or_b32 exec_lo, exec_lo, s15
	v_lshrrev_b16 v3, 8, v11
	s_mov_b32 s15, exec_lo
	v_cmpx_ne_u16_e32 0, v3
	s_cbranch_execz .LBB296_1202
; %bb.1195:                             ;   in Loop: Header=BB296_988 Depth=1
	v_bfrev_b32_e32 v1, 1
	s_mov_b32 s18, exec_lo
	v_cmpx_ne_u16_e32 0x80, v3
	s_cbranch_execz .LBB296_1201
; %bb.1196:                             ;   in Loop: Header=BB296_988 Depth=1
	v_and_b32_sdwa v19, v3, v51 dst_sel:DWORD dst_unused:UNUSED_PAD src0_sel:WORD_0 src1_sel:DWORD
	v_mov_b32_e32 v1, 0x7c010000
	s_mov_b32 s19, exec_lo
	v_cmpx_ne_u32_e32 0x7f, v19
	s_cbranch_execz .LBB296_1200
; %bb.1197:                             ;   in Loop: Header=BB296_988 Depth=1
	v_and_b32_sdwa v1, v3, v52 dst_sel:DWORD dst_unused:UNUSED_PAD src0_sel:WORD_0 src1_sel:DWORD
	v_lshrrev_b32_e32 v2, 3, v19
	s_mov_b32 s20, exec_lo
	v_cmpx_gt_u32_e32 8, v19
; %bb.1198:                             ;   in Loop: Header=BB296_988 Depth=1
	v_ffbh_u32_e32 v1, v1
	v_min_u32_e32 v19, 32, v1
	v_subrev_nc_u32_e32 v1, 28, v19
	v_lshlrev_b64 v[1:2], v1, v[3:4]
	v_sub_nc_u32_e32 v2, 29, v19
	v_and_b32_e32 v1, 7, v1
; %bb.1199:                             ;   in Loop: Header=BB296_988 Depth=1
	s_or_b32 exec_lo, exec_lo, s20
	v_lshlrev_b32_sdwa v3, v53, v3 dst_sel:DWORD dst_unused:UNUSED_PAD src0_sel:DWORD src1_sel:WORD_0
	v_lshl_add_u32 v2, v2, 10, 0x2000
	v_lshlrev_b32_e32 v1, 23, v1
	v_and_or_b32 v2, 0x8000, v3, v2
	v_lshl_or_b32 v1, v2, 16, v1
.LBB296_1200:                           ;   in Loop: Header=BB296_988 Depth=1
	s_or_b32 exec_lo, exec_lo, s19
.LBB296_1201:                           ;   in Loop: Header=BB296_988 Depth=1
	s_or_b32 exec_lo, exec_lo, s18
.LBB296_1202:                           ;   in Loop: Header=BB296_988 Depth=1
	s_or_b32 exec_lo, exec_lo, s15
	v_lshrrev_b32_e32 v2, 16, v11
	v_mov_b32_e32 v19, 0
	v_mov_b32_e32 v26, 0
	v_cmp_ne_u16_sdwa s4, v2, v4 src0_sel:BYTE_0 src1_sel:DWORD
	s_and_saveexec_b32 s15, s4
	s_cbranch_execz .LBB296_1210
; %bb.1203:                             ;   in Loop: Header=BB296_988 Depth=1
	v_cmp_ne_u16_sdwa s4, v2, v50 src0_sel:BYTE_0 src1_sel:DWORD
	v_mov_b32_e32 v26, 0x8000
	s_and_saveexec_b32 s18, s4
	s_cbranch_execz .LBB296_1209
; %bb.1204:                             ;   in Loop: Header=BB296_988 Depth=1
	v_bfe_u32 v27, v11, 16, 7
	v_mov_b32_e32 v26, 0x7c01
	s_mov_b32 s19, exec_lo
	v_cmpx_ne_u32_e32 0x7f, v27
	s_cbranch_execz .LBB296_1208
; %bb.1205:                             ;   in Loop: Header=BB296_988 Depth=1
	v_and_b32_e32 v3, 7, v2
	v_lshrrev_b32_e32 v26, 3, v27
	s_mov_b32 s20, exec_lo
	v_cmpx_gt_u32_e32 8, v27
; %bb.1206:                             ;   in Loop: Header=BB296_988 Depth=1
	v_ffbh_u32_e32 v3, v3
	v_min_u32_e32 v3, 32, v3
	v_subrev_nc_u32_e32 v26, 28, v3
	v_lshlrev_b64 v[96:97], v26, v[2:3]
	v_sub_nc_u32_e32 v26, 29, v3
	v_and_b32_e32 v3, 7, v96
; %bb.1207:                             ;   in Loop: Header=BB296_988 Depth=1
	s_or_b32 exec_lo, exec_lo, s20
	v_lshlrev_b32_e32 v2, 8, v2
	v_lshl_add_u32 v26, v26, 10, 0x2000
	v_lshlrev_b32_e32 v3, 7, v3
	v_and_b32_e32 v2, 0x8000, v2
	v_and_b32_e32 v26, 0xfc00, v26
	v_or3_b32 v26, v2, v26, v3
.LBB296_1208:                           ;   in Loop: Header=BB296_988 Depth=1
	s_or_b32 exec_lo, exec_lo, s19
.LBB296_1209:                           ;   in Loop: Header=BB296_988 Depth=1
	s_or_b32 exec_lo, exec_lo, s18
.LBB296_1210:                           ;   in Loop: Header=BB296_988 Depth=1
	s_or_b32 exec_lo, exec_lo, s15
	s_mov_b32 s15, exec_lo
	v_cmpx_lt_u32_e32 0xffffff, v11
	s_cbranch_execz .LBB296_1218
; %bb.1211:                             ;   in Loop: Header=BB296_988 Depth=1
	v_lshrrev_b32_e32 v3, 24, v11
	v_bfrev_b32_e32 v19, 1
	s_mov_b32 s18, exec_lo
	v_cmpx_ne_u32_e32 0x80, v3
	s_cbranch_execz .LBB296_1217
; %bb.1212:                             ;   in Loop: Header=BB296_988 Depth=1
	v_and_b32_e32 v27, 0x7f, v3
	v_mov_b32_e32 v19, 0x7c010000
	s_mov_b32 s19, exec_lo
	v_cmpx_ne_u32_e32 0x7f, v27
	s_cbranch_execz .LBB296_1216
; %bb.1213:                             ;   in Loop: Header=BB296_988 Depth=1
	v_and_b32_e32 v2, 7, v3
	v_lshrrev_b32_e32 v19, 3, v27
	s_mov_b32 s20, exec_lo
	v_cmpx_gt_u32_e32 8, v27
; %bb.1214:                             ;   in Loop: Header=BB296_988 Depth=1
	v_ffbh_u32_e32 v2, v2
	v_min_u32_e32 v2, 32, v2
	v_subrev_nc_u32_e32 v19, 28, v2
	v_lshlrev_b64 v[96:97], v19, v[3:4]
	v_sub_nc_u32_e32 v19, 29, v2
	v_and_b32_e32 v2, 7, v96
; %bb.1215:                             ;   in Loop: Header=BB296_988 Depth=1
	s_or_b32 exec_lo, exec_lo, s20
	v_lshlrev_b32_e32 v3, 8, v3
	v_lshl_add_u32 v19, v19, 10, 0x2000
	v_lshlrev_b32_e32 v2, 23, v2
	v_and_or_b32 v3, 0x8000, v3, v19
	v_lshl_or_b32 v19, v3, 16, v2
.LBB296_1216:                           ;   in Loop: Header=BB296_988 Depth=1
	s_or_b32 exec_lo, exec_lo, s19
.LBB296_1217:                           ;   in Loop: Header=BB296_988 Depth=1
	s_or_b32 exec_lo, exec_lo, s18
.LBB296_1218:                           ;   in Loop: Header=BB296_988 Depth=1
	s_or_b32 exec_lo, exec_lo, s15
	v_mov_b32_e32 v3, v12
	v_cmp_ne_u16_sdwa s4, v12, v4 src0_sel:BYTE_0 src1_sel:DWORD
	v_mov_b32_e32 v27, 0
	v_mov_b32_e32 v29, 0
	s_and_saveexec_b32 s15, s4
	s_cbranch_execz .LBB296_1226
; %bb.1219:                             ;   in Loop: Header=BB296_988 Depth=1
	v_cmp_ne_u16_sdwa s4, v12, v50 src0_sel:BYTE_0 src1_sel:DWORD
	v_mov_b32_e32 v29, 0x8000
	s_and_saveexec_b32 s18, s4
	s_cbranch_execz .LBB296_1225
; %bb.1220:                             ;   in Loop: Header=BB296_988 Depth=1
	v_and_b32_e32 v96, 0x7f, v12
	v_mov_b32_e32 v29, 0x7c01
	s_mov_b32 s19, exec_lo
	v_cmpx_ne_u32_e32 0x7f, v96
	s_cbranch_execz .LBB296_1224
; %bb.1221:                             ;   in Loop: Header=BB296_988 Depth=1
	v_and_b32_e32 v2, 7, v12
	v_lshrrev_b32_e32 v29, 3, v96
	s_mov_b32 s20, exec_lo
	v_cmpx_gt_u32_e32 8, v96
; %bb.1222:                             ;   in Loop: Header=BB296_988 Depth=1
	v_ffbh_u32_e32 v2, v2
	v_min_u32_e32 v2, 32, v2
	v_subrev_nc_u32_e32 v29, 28, v2
	v_lshlrev_b64 v[96:97], v29, v[3:4]
	v_sub_nc_u32_e32 v29, 29, v2
	v_and_b32_e32 v2, 7, v96
; %bb.1223:                             ;   in Loop: Header=BB296_988 Depth=1
	s_or_b32 exec_lo, exec_lo, s20
	v_lshlrev_b32_e32 v96, 8, v12
	v_lshl_add_u32 v29, v29, 10, 0x2000
	v_lshlrev_b32_e32 v2, 7, v2
	v_and_b32_e32 v96, 0x8000, v96
	v_and_b32_e32 v29, 0xfc00, v29
	v_or3_b32 v29, v96, v29, v2
.LBB296_1224:                           ;   in Loop: Header=BB296_988 Depth=1
	s_or_b32 exec_lo, exec_lo, s19
.LBB296_1225:                           ;   in Loop: Header=BB296_988 Depth=1
	s_or_b32 exec_lo, exec_lo, s18
.LBB296_1226:                           ;   in Loop: Header=BB296_988 Depth=1
	s_or_b32 exec_lo, exec_lo, s15
	v_lshrrev_b16 v3, 8, v3
	v_mov_b32_e32 v96, 0
	s_mov_b32 s15, exec_lo
	v_cmpx_ne_u16_e32 0, v3
	s_cbranch_execz .LBB296_1234
; %bb.1227:                             ;   in Loop: Header=BB296_988 Depth=1
	v_bfrev_b32_e32 v96, 1
	s_mov_b32 s18, exec_lo
	v_cmpx_ne_u16_e32 0x80, v3
	s_cbranch_execz .LBB296_1233
; %bb.1228:                             ;   in Loop: Header=BB296_988 Depth=1
	v_and_b32_sdwa v97, v3, v51 dst_sel:DWORD dst_unused:UNUSED_PAD src0_sel:WORD_0 src1_sel:DWORD
	v_mov_b32_e32 v96, 0x7c010000
	s_mov_b32 s19, exec_lo
	v_cmpx_ne_u32_e32 0x7f, v97
	s_cbranch_execz .LBB296_1232
; %bb.1229:                             ;   in Loop: Header=BB296_988 Depth=1
	v_and_b32_sdwa v2, v3, v52 dst_sel:DWORD dst_unused:UNUSED_PAD src0_sel:WORD_0 src1_sel:DWORD
	v_lshrrev_b32_e32 v96, 3, v97
	s_mov_b32 s20, exec_lo
	v_cmpx_gt_u32_e32 8, v97
; %bb.1230:                             ;   in Loop: Header=BB296_988 Depth=1
	v_ffbh_u32_e32 v2, v2
	v_min_u32_e32 v2, 32, v2
	v_subrev_nc_u32_e32 v96, 28, v2
	v_lshlrev_b64 v[97:98], v96, v[3:4]
	v_sub_nc_u32_e32 v96, 29, v2
	v_and_b32_e32 v2, 7, v97
; %bb.1231:                             ;   in Loop: Header=BB296_988 Depth=1
	s_or_b32 exec_lo, exec_lo, s20
	v_lshlrev_b32_sdwa v3, v53, v3 dst_sel:DWORD dst_unused:UNUSED_PAD src0_sel:DWORD src1_sel:WORD_0
	v_lshl_add_u32 v96, v96, 10, 0x2000
	v_lshlrev_b32_e32 v2, 23, v2
	v_and_or_b32 v3, 0x8000, v3, v96
	v_lshl_or_b32 v96, v3, 16, v2
.LBB296_1232:                           ;   in Loop: Header=BB296_988 Depth=1
	s_or_b32 exec_lo, exec_lo, s19
.LBB296_1233:                           ;   in Loop: Header=BB296_988 Depth=1
	s_or_b32 exec_lo, exec_lo, s18
.LBB296_1234:                           ;   in Loop: Header=BB296_988 Depth=1
	s_or_b32 exec_lo, exec_lo, s15
	v_lshrrev_b32_e32 v2, 16, v12
	v_cmp_ne_u16_sdwa s4, v2, v4 src0_sel:BYTE_0 src1_sel:DWORD
	s_and_saveexec_b32 s15, s4
	s_cbranch_execz .LBB296_1242
; %bb.1235:                             ;   in Loop: Header=BB296_988 Depth=1
	v_cmp_ne_u16_sdwa s4, v2, v50 src0_sel:BYTE_0 src1_sel:DWORD
	v_mov_b32_e32 v27, 0x8000
	s_and_saveexec_b32 s18, s4
	s_cbranch_execz .LBB296_1241
; %bb.1236:                             ;   in Loop: Header=BB296_988 Depth=1
	v_bfe_u32 v97, v12, 16, 7
	v_mov_b32_e32 v27, 0x7c01
	s_mov_b32 s19, exec_lo
	v_cmpx_ne_u32_e32 0x7f, v97
	s_cbranch_execz .LBB296_1240
; %bb.1237:                             ;   in Loop: Header=BB296_988 Depth=1
	v_and_b32_e32 v3, 7, v2
	v_lshrrev_b32_e32 v27, 3, v97
	s_mov_b32 s20, exec_lo
	v_cmpx_gt_u32_e32 8, v97
; %bb.1238:                             ;   in Loop: Header=BB296_988 Depth=1
	v_ffbh_u32_e32 v3, v3
	v_min_u32_e32 v3, 32, v3
	v_subrev_nc_u32_e32 v27, 28, v3
	v_lshlrev_b64 v[97:98], v27, v[2:3]
	v_sub_nc_u32_e32 v27, 29, v3
	v_and_b32_e32 v3, 7, v97
; %bb.1239:                             ;   in Loop: Header=BB296_988 Depth=1
	s_or_b32 exec_lo, exec_lo, s20
	v_lshlrev_b32_e32 v2, 8, v2
	v_lshl_add_u32 v27, v27, 10, 0x2000
	v_lshlrev_b32_e32 v3, 7, v3
	v_and_b32_e32 v2, 0x8000, v2
	v_and_b32_e32 v27, 0xfc00, v27
	v_or3_b32 v27, v2, v27, v3
.LBB296_1240:                           ;   in Loop: Header=BB296_988 Depth=1
	s_or_b32 exec_lo, exec_lo, s19
.LBB296_1241:                           ;   in Loop: Header=BB296_988 Depth=1
	s_or_b32 exec_lo, exec_lo, s18
.LBB296_1242:                           ;   in Loop: Header=BB296_988 Depth=1
	s_or_b32 exec_lo, exec_lo, s15
	v_mov_b32_e32 v2, 0
	s_mov_b32 s15, exec_lo
	v_cmpx_lt_u64_e64 s[6:7], v[11:12]
	s_cbranch_execz .LBB296_1250
; %bb.1243:                             ;   in Loop: Header=BB296_988 Depth=1
	v_lshrrev_b32_e32 v3, 24, v12
	v_bfrev_b32_e32 v2, 1
	s_mov_b32 s18, exec_lo
	v_cmpx_ne_u32_e32 0x80, v3
	s_cbranch_execz .LBB296_1249
; %bb.1244:                             ;   in Loop: Header=BB296_988 Depth=1
	v_and_b32_e32 v12, 0x7f, v3
	v_mov_b32_e32 v2, 0x7c010000
	s_mov_b32 s19, exec_lo
	v_cmpx_ne_u32_e32 0x7f, v12
	s_cbranch_execz .LBB296_1248
; %bb.1245:                             ;   in Loop: Header=BB296_988 Depth=1
	v_and_b32_e32 v2, 7, v3
	v_lshrrev_b32_e32 v11, 3, v12
	s_mov_b32 s20, exec_lo
	v_cmpx_gt_u32_e32 8, v12
; %bb.1246:                             ;   in Loop: Header=BB296_988 Depth=1
	v_ffbh_u32_e32 v2, v2
	v_min_u32_e32 v2, 32, v2
	v_subrev_nc_u32_e32 v11, 28, v2
	v_lshlrev_b64 v[97:98], v11, v[3:4]
	v_sub_nc_u32_e32 v11, 29, v2
	v_and_b32_e32 v2, 7, v97
; %bb.1247:                             ;   in Loop: Header=BB296_988 Depth=1
	s_or_b32 exec_lo, exec_lo, s20
	v_lshlrev_b32_e32 v3, 8, v3
	v_lshl_add_u32 v11, v11, 10, 0x2000
	v_lshlrev_b32_e32 v2, 23, v2
	v_and_or_b32 v3, 0x8000, v3, v11
	v_lshl_or_b32 v2, v3, 16, v2
.LBB296_1248:                           ;   in Loop: Header=BB296_988 Depth=1
	s_or_b32 exec_lo, exec_lo, s19
.LBB296_1249:                           ;   in Loop: Header=BB296_988 Depth=1
	s_or_b32 exec_lo, exec_lo, s18
.LBB296_1250:                           ;   in Loop: Header=BB296_988 Depth=1
	s_or_b32 exec_lo, exec_lo, s15
	v_or_b32_e32 v3, v19, v26
	s_waitcnt vmcnt(0) lgkmcnt(0)
	v_fma_mixlo_f16 v11, v0, v19, 0 op_sel:[0,1,0] op_sel_hi:[0,1,0]
	v_or_b32_e32 v18, v1, v18
	v_or_b32_e32 v19, v96, v29
	;; [unrolled: 1-line block ×3, first 2 shown]
	v_fma_mixlo_f16 v12, v0, v1, 0 op_sel:[0,1,0] op_sel_hi:[0,1,0]
	v_fma_mixlo_f16 v3, v0, v3, 0 op_sel_hi:[0,1,0]
	v_lshlrev_b32_e32 v1, 16, v11
	v_fma_mixlo_f16 v11, v0, v18, 0 op_sel_hi:[0,1,0]
	v_fma_mixlo_f16 v18, v0, v96, 0 op_sel:[0,1,0] op_sel_hi:[0,1,0]
	v_fma_mixlo_f16 v19, v0, v19, 0 op_sel_hi:[0,1,0]
	v_fma_mixlo_f16 v27, v0, v2, 0 op_sel:[0,1,0] op_sel_hi:[0,1,0]
	v_fma_mixlo_f16 v26, v0, v26, 0 op_sel_hi:[0,1,0]
	v_lshlrev_b32_e32 v12, 16, v12
	v_and_b32_e32 v3, 0xffff, v3
	v_and_b32_e32 v96, 0xffff, v11
	v_lshlrev_b32_e32 v2, 16, v18
	v_and_b32_e32 v19, 0xffff, v19
	v_lshlrev_b32_e32 v0, 16, v27
	v_and_b32_e32 v11, 0xffff, v26
	v_or_b32_e32 v18, v1, v3
	v_or_b32_e32 v29, v12, v96
	;; [unrolled: 1-line block ×4, first 2 shown]
	s_and_saveexec_b32 s15, vcc_lo
	s_cbranch_execz .LBB296_1252
; %bb.1251:                             ;   in Loop: Header=BB296_988 Depth=1
	v_cmp_lt_i32_e64 s4, v55, v28
	v_cndmask_b32_e64 v18, 0, v96, s4
	v_cmp_lt_i32_e64 s4, v83, v28
	v_cndmask_b32_e64 v12, 0, v12, s4
	v_cmp_lt_i32_e64 s4, v82, v28
	v_or_b32_e32 v29, v18, v12
	v_cndmask_b32_e64 v3, 0, v3, s4
	v_cmp_lt_i32_e64 s4, v81, v28
	v_cndmask_b32_e64 v1, 0, v1, s4
	v_cmp_lt_i32_e64 s4, v80, v28
	v_or_b32_e32 v18, v3, v1
	;; [unrolled: 5-line block ×3, first 2 shown]
	v_cndmask_b32_e64 v11, 0, v11, s4
	v_cmp_lt_i32_e64 s4, v31, v28
	v_cndmask_b32_e64 v0, 0, v0, s4
	v_or_b32_e32 v26, v11, v0
.LBB296_1252:                           ;   in Loop: Header=BB296_988 Depth=1
	s_or_b32 exec_lo, exec_lo, s15
	;;#ASMSTART
	v_pk_mul_f16 v0, v68, v29;

	;;#ASMEND
	;;#ASMSTART
	v_pk_mul_f16 v1, v66, v18;

	;;#ASMEND
	;; [unrolled: 4-line block ×4, first 2 shown]
	;;#ASMSTART
	v_pk_add_f16 v0, v0, v1;

	;;#ASMEND
	;;#ASMSTART
	v_pk_add_f16 v0, v0, v2;

	;;#ASMEND
	;; [unrolled: 4-line block ×3, first 2 shown]
	v_and_b32_e32 v1, 0xffff, v0
	v_lshrrev_b32_e32 v0, 16, v0
	;;#ASMSTART
	v_cvt_f32_f16 v96, v1;
	;;#ASMEND
	;;#ASMSTART
	v_cvt_f32_f16 v97, v0;
	;;#ASMEND
	flat_load_dwordx2 v[11:12], v[9:10] offset:1024
	flat_load_dword v0, v[22:23]
	v_mov_b32_e32 v1, 0
	v_mov_b32_e32 v18, 0
	s_waitcnt vmcnt(1) lgkmcnt(1)
	v_cmp_ne_u16_sdwa s4, v11, v4 src0_sel:BYTE_0 src1_sel:DWORD
	s_and_saveexec_b32 s15, s4
	s_cbranch_execz .LBB296_1260
; %bb.1253:                             ;   in Loop: Header=BB296_988 Depth=1
	v_cmp_ne_u16_sdwa s4, v11, v50 src0_sel:BYTE_0 src1_sel:DWORD
	v_mov_b32_e32 v18, 0x8000
	s_and_saveexec_b32 s18, s4
	s_cbranch_execz .LBB296_1259
; %bb.1254:                             ;   in Loop: Header=BB296_988 Depth=1
	v_and_b32_e32 v19, 0x7f, v11
	v_mov_b32_e32 v18, 0x7c01
	s_mov_b32 s19, exec_lo
	v_cmpx_ne_u32_e32 0x7f, v19
	s_cbranch_execz .LBB296_1258
; %bb.1255:                             ;   in Loop: Header=BB296_988 Depth=1
	v_and_b32_e32 v2, 7, v11
	v_lshrrev_b32_e32 v3, 3, v19
	s_mov_b32 s20, exec_lo
	v_cmpx_gt_u32_e32 8, v19
; %bb.1256:                             ;   in Loop: Header=BB296_988 Depth=1
	v_ffbh_u32_e32 v2, v2
	v_min_u32_e32 v18, 32, v2
	v_subrev_nc_u32_e32 v2, 28, v18
	v_lshlrev_b64 v[2:3], v2, v[11:12]
	v_sub_nc_u32_e32 v3, 29, v18
	v_and_b32_e32 v2, 7, v2
; %bb.1257:                             ;   in Loop: Header=BB296_988 Depth=1
	s_or_b32 exec_lo, exec_lo, s20
	v_lshlrev_b32_e32 v18, 8, v11
	v_lshl_add_u32 v3, v3, 10, 0x2000
	v_lshlrev_b32_e32 v2, 7, v2
	v_and_b32_e32 v18, 0x8000, v18
	v_and_b32_e32 v3, 0xfc00, v3
	v_or3_b32 v18, v18, v3, v2
.LBB296_1258:                           ;   in Loop: Header=BB296_988 Depth=1
	s_or_b32 exec_lo, exec_lo, s19
.LBB296_1259:                           ;   in Loop: Header=BB296_988 Depth=1
	s_or_b32 exec_lo, exec_lo, s18
.LBB296_1260:                           ;   in Loop: Header=BB296_988 Depth=1
	s_or_b32 exec_lo, exec_lo, s15
	v_lshrrev_b16 v3, 8, v11
	s_mov_b32 s15, exec_lo
	v_cmpx_ne_u16_e32 0, v3
	s_cbranch_execz .LBB296_1268
; %bb.1261:                             ;   in Loop: Header=BB296_988 Depth=1
	v_bfrev_b32_e32 v1, 1
	s_mov_b32 s18, exec_lo
	v_cmpx_ne_u16_e32 0x80, v3
	s_cbranch_execz .LBB296_1267
; %bb.1262:                             ;   in Loop: Header=BB296_988 Depth=1
	v_and_b32_sdwa v19, v3, v51 dst_sel:DWORD dst_unused:UNUSED_PAD src0_sel:WORD_0 src1_sel:DWORD
	v_mov_b32_e32 v1, 0x7c010000
	s_mov_b32 s19, exec_lo
	v_cmpx_ne_u32_e32 0x7f, v19
	s_cbranch_execz .LBB296_1266
; %bb.1263:                             ;   in Loop: Header=BB296_988 Depth=1
	v_and_b32_sdwa v1, v3, v52 dst_sel:DWORD dst_unused:UNUSED_PAD src0_sel:WORD_0 src1_sel:DWORD
	v_lshrrev_b32_e32 v2, 3, v19
	s_mov_b32 s20, exec_lo
	v_cmpx_gt_u32_e32 8, v19
; %bb.1264:                             ;   in Loop: Header=BB296_988 Depth=1
	v_ffbh_u32_e32 v1, v1
	v_min_u32_e32 v19, 32, v1
	v_subrev_nc_u32_e32 v1, 28, v19
	v_lshlrev_b64 v[1:2], v1, v[3:4]
	v_sub_nc_u32_e32 v2, 29, v19
	v_and_b32_e32 v1, 7, v1
; %bb.1265:                             ;   in Loop: Header=BB296_988 Depth=1
	s_or_b32 exec_lo, exec_lo, s20
	v_lshlrev_b32_sdwa v3, v53, v3 dst_sel:DWORD dst_unused:UNUSED_PAD src0_sel:DWORD src1_sel:WORD_0
	v_lshl_add_u32 v2, v2, 10, 0x2000
	v_lshlrev_b32_e32 v1, 23, v1
	v_and_or_b32 v2, 0x8000, v3, v2
	v_lshl_or_b32 v1, v2, 16, v1
.LBB296_1266:                           ;   in Loop: Header=BB296_988 Depth=1
	s_or_b32 exec_lo, exec_lo, s19
.LBB296_1267:                           ;   in Loop: Header=BB296_988 Depth=1
	s_or_b32 exec_lo, exec_lo, s18
.LBB296_1268:                           ;   in Loop: Header=BB296_988 Depth=1
	s_or_b32 exec_lo, exec_lo, s15
	v_lshrrev_b32_e32 v2, 16, v11
	v_mov_b32_e32 v19, 0
	v_mov_b32_e32 v26, 0
	v_cmp_ne_u16_sdwa s4, v2, v4 src0_sel:BYTE_0 src1_sel:DWORD
	s_and_saveexec_b32 s15, s4
	s_cbranch_execz .LBB296_1276
; %bb.1269:                             ;   in Loop: Header=BB296_988 Depth=1
	v_cmp_ne_u16_sdwa s4, v2, v50 src0_sel:BYTE_0 src1_sel:DWORD
	v_mov_b32_e32 v26, 0x8000
	s_and_saveexec_b32 s18, s4
	s_cbranch_execz .LBB296_1275
; %bb.1270:                             ;   in Loop: Header=BB296_988 Depth=1
	v_bfe_u32 v27, v11, 16, 7
	v_mov_b32_e32 v26, 0x7c01
	s_mov_b32 s19, exec_lo
	v_cmpx_ne_u32_e32 0x7f, v27
	s_cbranch_execz .LBB296_1274
; %bb.1271:                             ;   in Loop: Header=BB296_988 Depth=1
	v_and_b32_e32 v3, 7, v2
	v_lshrrev_b32_e32 v26, 3, v27
	s_mov_b32 s20, exec_lo
	v_cmpx_gt_u32_e32 8, v27
; %bb.1272:                             ;   in Loop: Header=BB296_988 Depth=1
	v_ffbh_u32_e32 v3, v3
	v_min_u32_e32 v3, 32, v3
	v_subrev_nc_u32_e32 v26, 28, v3
	v_lshlrev_b64 v[98:99], v26, v[2:3]
	v_sub_nc_u32_e32 v26, 29, v3
	v_and_b32_e32 v3, 7, v98
; %bb.1273:                             ;   in Loop: Header=BB296_988 Depth=1
	s_or_b32 exec_lo, exec_lo, s20
	v_lshlrev_b32_e32 v2, 8, v2
	v_lshl_add_u32 v26, v26, 10, 0x2000
	v_lshlrev_b32_e32 v3, 7, v3
	v_and_b32_e32 v2, 0x8000, v2
	v_and_b32_e32 v26, 0xfc00, v26
	v_or3_b32 v26, v2, v26, v3
.LBB296_1274:                           ;   in Loop: Header=BB296_988 Depth=1
	s_or_b32 exec_lo, exec_lo, s19
.LBB296_1275:                           ;   in Loop: Header=BB296_988 Depth=1
	s_or_b32 exec_lo, exec_lo, s18
.LBB296_1276:                           ;   in Loop: Header=BB296_988 Depth=1
	s_or_b32 exec_lo, exec_lo, s15
	s_mov_b32 s15, exec_lo
	v_cmpx_lt_u32_e32 0xffffff, v11
	s_cbranch_execz .LBB296_1284
; %bb.1277:                             ;   in Loop: Header=BB296_988 Depth=1
	v_lshrrev_b32_e32 v3, 24, v11
	v_bfrev_b32_e32 v19, 1
	s_mov_b32 s18, exec_lo
	v_cmpx_ne_u32_e32 0x80, v3
	s_cbranch_execz .LBB296_1283
; %bb.1278:                             ;   in Loop: Header=BB296_988 Depth=1
	v_and_b32_e32 v27, 0x7f, v3
	v_mov_b32_e32 v19, 0x7c010000
	s_mov_b32 s19, exec_lo
	v_cmpx_ne_u32_e32 0x7f, v27
	s_cbranch_execz .LBB296_1282
; %bb.1279:                             ;   in Loop: Header=BB296_988 Depth=1
	v_and_b32_e32 v2, 7, v3
	v_lshrrev_b32_e32 v19, 3, v27
	s_mov_b32 s20, exec_lo
	v_cmpx_gt_u32_e32 8, v27
; %bb.1280:                             ;   in Loop: Header=BB296_988 Depth=1
	v_ffbh_u32_e32 v2, v2
	v_min_u32_e32 v2, 32, v2
	v_subrev_nc_u32_e32 v19, 28, v2
	v_lshlrev_b64 v[98:99], v19, v[3:4]
	v_sub_nc_u32_e32 v19, 29, v2
	v_and_b32_e32 v2, 7, v98
; %bb.1281:                             ;   in Loop: Header=BB296_988 Depth=1
	s_or_b32 exec_lo, exec_lo, s20
	v_lshlrev_b32_e32 v3, 8, v3
	v_lshl_add_u32 v19, v19, 10, 0x2000
	v_lshlrev_b32_e32 v2, 23, v2
	v_and_or_b32 v3, 0x8000, v3, v19
	v_lshl_or_b32 v19, v3, 16, v2
.LBB296_1282:                           ;   in Loop: Header=BB296_988 Depth=1
	s_or_b32 exec_lo, exec_lo, s19
.LBB296_1283:                           ;   in Loop: Header=BB296_988 Depth=1
	s_or_b32 exec_lo, exec_lo, s18
.LBB296_1284:                           ;   in Loop: Header=BB296_988 Depth=1
	s_or_b32 exec_lo, exec_lo, s15
	v_mov_b32_e32 v3, v12
	v_cmp_ne_u16_sdwa s4, v12, v4 src0_sel:BYTE_0 src1_sel:DWORD
	v_mov_b32_e32 v27, 0
	v_mov_b32_e32 v29, 0
	s_and_saveexec_b32 s15, s4
	s_cbranch_execz .LBB296_1292
; %bb.1285:                             ;   in Loop: Header=BB296_988 Depth=1
	v_cmp_ne_u16_sdwa s4, v12, v50 src0_sel:BYTE_0 src1_sel:DWORD
	v_mov_b32_e32 v29, 0x8000
	s_and_saveexec_b32 s18, s4
	s_cbranch_execz .LBB296_1291
; %bb.1286:                             ;   in Loop: Header=BB296_988 Depth=1
	v_and_b32_e32 v98, 0x7f, v12
	v_mov_b32_e32 v29, 0x7c01
	s_mov_b32 s19, exec_lo
	v_cmpx_ne_u32_e32 0x7f, v98
	s_cbranch_execz .LBB296_1290
; %bb.1287:                             ;   in Loop: Header=BB296_988 Depth=1
	v_and_b32_e32 v2, 7, v12
	v_lshrrev_b32_e32 v29, 3, v98
	s_mov_b32 s20, exec_lo
	v_cmpx_gt_u32_e32 8, v98
; %bb.1288:                             ;   in Loop: Header=BB296_988 Depth=1
	v_ffbh_u32_e32 v2, v2
	v_min_u32_e32 v2, 32, v2
	v_subrev_nc_u32_e32 v29, 28, v2
	v_lshlrev_b64 v[98:99], v29, v[3:4]
	v_sub_nc_u32_e32 v29, 29, v2
	v_and_b32_e32 v2, 7, v98
; %bb.1289:                             ;   in Loop: Header=BB296_988 Depth=1
	s_or_b32 exec_lo, exec_lo, s20
	v_lshlrev_b32_e32 v98, 8, v12
	v_lshl_add_u32 v29, v29, 10, 0x2000
	v_lshlrev_b32_e32 v2, 7, v2
	v_and_b32_e32 v98, 0x8000, v98
	v_and_b32_e32 v29, 0xfc00, v29
	v_or3_b32 v29, v98, v29, v2
.LBB296_1290:                           ;   in Loop: Header=BB296_988 Depth=1
	s_or_b32 exec_lo, exec_lo, s19
.LBB296_1291:                           ;   in Loop: Header=BB296_988 Depth=1
	s_or_b32 exec_lo, exec_lo, s18
.LBB296_1292:                           ;   in Loop: Header=BB296_988 Depth=1
	s_or_b32 exec_lo, exec_lo, s15
	v_lshrrev_b16 v3, 8, v3
	v_mov_b32_e32 v98, 0
	s_mov_b32 s15, exec_lo
	v_cmpx_ne_u16_e32 0, v3
	s_cbranch_execz .LBB296_1300
; %bb.1293:                             ;   in Loop: Header=BB296_988 Depth=1
	v_bfrev_b32_e32 v98, 1
	s_mov_b32 s18, exec_lo
	v_cmpx_ne_u16_e32 0x80, v3
	s_cbranch_execz .LBB296_1299
; %bb.1294:                             ;   in Loop: Header=BB296_988 Depth=1
	v_and_b32_sdwa v99, v3, v51 dst_sel:DWORD dst_unused:UNUSED_PAD src0_sel:WORD_0 src1_sel:DWORD
	v_mov_b32_e32 v98, 0x7c010000
	s_mov_b32 s19, exec_lo
	v_cmpx_ne_u32_e32 0x7f, v99
	s_cbranch_execz .LBB296_1298
; %bb.1295:                             ;   in Loop: Header=BB296_988 Depth=1
	v_and_b32_sdwa v2, v3, v52 dst_sel:DWORD dst_unused:UNUSED_PAD src0_sel:WORD_0 src1_sel:DWORD
	v_lshrrev_b32_e32 v98, 3, v99
	s_mov_b32 s20, exec_lo
	v_cmpx_gt_u32_e32 8, v99
; %bb.1296:                             ;   in Loop: Header=BB296_988 Depth=1
	v_ffbh_u32_e32 v2, v2
	v_min_u32_e32 v2, 32, v2
	v_subrev_nc_u32_e32 v98, 28, v2
	v_lshlrev_b64 v[99:100], v98, v[3:4]
	v_sub_nc_u32_e32 v98, 29, v2
	v_and_b32_e32 v2, 7, v99
; %bb.1297:                             ;   in Loop: Header=BB296_988 Depth=1
	s_or_b32 exec_lo, exec_lo, s20
	v_lshlrev_b32_sdwa v3, v53, v3 dst_sel:DWORD dst_unused:UNUSED_PAD src0_sel:DWORD src1_sel:WORD_0
	v_lshl_add_u32 v98, v98, 10, 0x2000
	v_lshlrev_b32_e32 v2, 23, v2
	v_and_or_b32 v3, 0x8000, v3, v98
	v_lshl_or_b32 v98, v3, 16, v2
.LBB296_1298:                           ;   in Loop: Header=BB296_988 Depth=1
	s_or_b32 exec_lo, exec_lo, s19
.LBB296_1299:                           ;   in Loop: Header=BB296_988 Depth=1
	s_or_b32 exec_lo, exec_lo, s18
.LBB296_1300:                           ;   in Loop: Header=BB296_988 Depth=1
	s_or_b32 exec_lo, exec_lo, s15
	v_lshrrev_b32_e32 v2, 16, v12
	v_cmp_ne_u16_sdwa s4, v2, v4 src0_sel:BYTE_0 src1_sel:DWORD
	s_and_saveexec_b32 s15, s4
	s_cbranch_execz .LBB296_1308
; %bb.1301:                             ;   in Loop: Header=BB296_988 Depth=1
	v_cmp_ne_u16_sdwa s4, v2, v50 src0_sel:BYTE_0 src1_sel:DWORD
	v_mov_b32_e32 v27, 0x8000
	s_and_saveexec_b32 s18, s4
	s_cbranch_execz .LBB296_1307
; %bb.1302:                             ;   in Loop: Header=BB296_988 Depth=1
	v_bfe_u32 v99, v12, 16, 7
	v_mov_b32_e32 v27, 0x7c01
	s_mov_b32 s19, exec_lo
	v_cmpx_ne_u32_e32 0x7f, v99
	s_cbranch_execz .LBB296_1306
; %bb.1303:                             ;   in Loop: Header=BB296_988 Depth=1
	v_and_b32_e32 v3, 7, v2
	v_lshrrev_b32_e32 v27, 3, v99
	s_mov_b32 s20, exec_lo
	v_cmpx_gt_u32_e32 8, v99
; %bb.1304:                             ;   in Loop: Header=BB296_988 Depth=1
	v_ffbh_u32_e32 v3, v3
	v_min_u32_e32 v3, 32, v3
	v_subrev_nc_u32_e32 v27, 28, v3
	v_lshlrev_b64 v[99:100], v27, v[2:3]
	v_sub_nc_u32_e32 v27, 29, v3
	v_and_b32_e32 v3, 7, v99
; %bb.1305:                             ;   in Loop: Header=BB296_988 Depth=1
	s_or_b32 exec_lo, exec_lo, s20
	v_lshlrev_b32_e32 v2, 8, v2
	v_lshl_add_u32 v27, v27, 10, 0x2000
	v_lshlrev_b32_e32 v3, 7, v3
	v_and_b32_e32 v2, 0x8000, v2
	v_and_b32_e32 v27, 0xfc00, v27
	v_or3_b32 v27, v2, v27, v3
.LBB296_1306:                           ;   in Loop: Header=BB296_988 Depth=1
	s_or_b32 exec_lo, exec_lo, s19
.LBB296_1307:                           ;   in Loop: Header=BB296_988 Depth=1
	s_or_b32 exec_lo, exec_lo, s18
.LBB296_1308:                           ;   in Loop: Header=BB296_988 Depth=1
	s_or_b32 exec_lo, exec_lo, s15
	v_mov_b32_e32 v2, 0
	s_mov_b32 s15, exec_lo
	v_cmpx_lt_u64_e64 s[6:7], v[11:12]
	s_cbranch_execz .LBB296_1316
; %bb.1309:                             ;   in Loop: Header=BB296_988 Depth=1
	v_lshrrev_b32_e32 v3, 24, v12
	v_bfrev_b32_e32 v2, 1
	s_mov_b32 s18, exec_lo
	v_cmpx_ne_u32_e32 0x80, v3
	s_cbranch_execz .LBB296_1315
; %bb.1310:                             ;   in Loop: Header=BB296_988 Depth=1
	v_and_b32_e32 v12, 0x7f, v3
	v_mov_b32_e32 v2, 0x7c010000
	s_mov_b32 s19, exec_lo
	v_cmpx_ne_u32_e32 0x7f, v12
	s_cbranch_execz .LBB296_1314
; %bb.1311:                             ;   in Loop: Header=BB296_988 Depth=1
	v_and_b32_e32 v2, 7, v3
	v_lshrrev_b32_e32 v11, 3, v12
	s_mov_b32 s20, exec_lo
	v_cmpx_gt_u32_e32 8, v12
; %bb.1312:                             ;   in Loop: Header=BB296_988 Depth=1
	v_ffbh_u32_e32 v2, v2
	v_min_u32_e32 v2, 32, v2
	v_subrev_nc_u32_e32 v11, 28, v2
	v_lshlrev_b64 v[99:100], v11, v[3:4]
	v_sub_nc_u32_e32 v11, 29, v2
	v_and_b32_e32 v2, 7, v99
; %bb.1313:                             ;   in Loop: Header=BB296_988 Depth=1
	s_or_b32 exec_lo, exec_lo, s20
	v_lshlrev_b32_e32 v3, 8, v3
	v_lshl_add_u32 v11, v11, 10, 0x2000
	v_lshlrev_b32_e32 v2, 23, v2
	v_and_or_b32 v3, 0x8000, v3, v11
	v_lshl_or_b32 v2, v3, 16, v2
.LBB296_1314:                           ;   in Loop: Header=BB296_988 Depth=1
	s_or_b32 exec_lo, exec_lo, s19
.LBB296_1315:                           ;   in Loop: Header=BB296_988 Depth=1
	s_or_b32 exec_lo, exec_lo, s18
.LBB296_1316:                           ;   in Loop: Header=BB296_988 Depth=1
	s_or_b32 exec_lo, exec_lo, s15
	v_or_b32_e32 v3, v19, v26
	s_waitcnt vmcnt(0) lgkmcnt(0)
	v_fma_mixlo_f16 v11, v0, v19, 0 op_sel:[0,1,0] op_sel_hi:[0,1,0]
	v_or_b32_e32 v18, v1, v18
	v_or_b32_e32 v19, v98, v29
	;; [unrolled: 1-line block ×3, first 2 shown]
	v_fma_mixlo_f16 v12, v0, v1, 0 op_sel:[0,1,0] op_sel_hi:[0,1,0]
	v_fma_mixlo_f16 v3, v0, v3, 0 op_sel_hi:[0,1,0]
	v_lshlrev_b32_e32 v1, 16, v11
	v_fma_mixlo_f16 v11, v0, v18, 0 op_sel_hi:[0,1,0]
	v_fma_mixlo_f16 v18, v0, v98, 0 op_sel:[0,1,0] op_sel_hi:[0,1,0]
	v_fma_mixlo_f16 v19, v0, v19, 0 op_sel_hi:[0,1,0]
	v_fma_mixlo_f16 v27, v0, v2, 0 op_sel:[0,1,0] op_sel_hi:[0,1,0]
	v_fma_mixlo_f16 v26, v0, v26, 0 op_sel_hi:[0,1,0]
	v_lshlrev_b32_e32 v12, 16, v12
	v_and_b32_e32 v3, 0xffff, v3
	v_and_b32_e32 v98, 0xffff, v11
	v_lshlrev_b32_e32 v2, 16, v18
	v_and_b32_e32 v19, 0xffff, v19
	v_lshlrev_b32_e32 v0, 16, v27
	v_and_b32_e32 v11, 0xffff, v26
	v_or_b32_e32 v18, v1, v3
	v_or_b32_e32 v29, v12, v98
	;; [unrolled: 1-line block ×4, first 2 shown]
	s_and_saveexec_b32 s15, vcc_lo
	s_cbranch_execz .LBB296_1318
; %bb.1317:                             ;   in Loop: Header=BB296_988 Depth=1
	v_cmp_lt_i32_e64 s4, v55, v28
	v_cndmask_b32_e64 v18, 0, v98, s4
	v_cmp_lt_i32_e64 s4, v83, v28
	v_cndmask_b32_e64 v12, 0, v12, s4
	v_cmp_lt_i32_e64 s4, v82, v28
	v_or_b32_e32 v29, v18, v12
	v_cndmask_b32_e64 v3, 0, v3, s4
	v_cmp_lt_i32_e64 s4, v81, v28
	v_cndmask_b32_e64 v1, 0, v1, s4
	v_cmp_lt_i32_e64 s4, v80, v28
	v_or_b32_e32 v18, v3, v1
	;; [unrolled: 5-line block ×3, first 2 shown]
	v_cndmask_b32_e64 v11, 0, v11, s4
	v_cmp_lt_i32_e64 s4, v31, v28
	v_cndmask_b32_e64 v0, 0, v0, s4
	v_or_b32_e32 v26, v11, v0
.LBB296_1318:                           ;   in Loop: Header=BB296_988 Depth=1
	s_or_b32 exec_lo, exec_lo, s15
	;;#ASMSTART
	v_pk_mul_f16 v0, v68, v29;

	;;#ASMEND
	;;#ASMSTART
	v_pk_mul_f16 v1, v66, v18;

	;;#ASMEND
	;; [unrolled: 4-line block ×4, first 2 shown]
	;;#ASMSTART
	v_pk_add_f16 v0, v0, v1;

	;;#ASMEND
	;;#ASMSTART
	v_pk_add_f16 v0, v0, v2;

	;;#ASMEND
	;; [unrolled: 4-line block ×3, first 2 shown]
	v_and_b32_e32 v1, 0xffff, v0
	v_lshrrev_b32_e32 v0, 16, v0
	;;#ASMSTART
	v_cvt_f32_f16 v98, v1;
	;;#ASMEND
	;;#ASMSTART
	v_cvt_f32_f16 v99, v0;
	;;#ASMEND
	flat_load_dwordx2 v[11:12], v[9:10] offset:1280
	flat_load_dword v0, v[22:23]
	v_mov_b32_e32 v1, 0
	v_mov_b32_e32 v18, 0
	s_waitcnt vmcnt(1) lgkmcnt(1)
	v_cmp_ne_u16_sdwa s4, v11, v4 src0_sel:BYTE_0 src1_sel:DWORD
	s_and_saveexec_b32 s15, s4
	s_cbranch_execz .LBB296_1326
; %bb.1319:                             ;   in Loop: Header=BB296_988 Depth=1
	v_cmp_ne_u16_sdwa s4, v11, v50 src0_sel:BYTE_0 src1_sel:DWORD
	v_mov_b32_e32 v18, 0x8000
	s_and_saveexec_b32 s18, s4
	s_cbranch_execz .LBB296_1325
; %bb.1320:                             ;   in Loop: Header=BB296_988 Depth=1
	v_and_b32_e32 v19, 0x7f, v11
	v_mov_b32_e32 v18, 0x7c01
	s_mov_b32 s19, exec_lo
	v_cmpx_ne_u32_e32 0x7f, v19
	s_cbranch_execz .LBB296_1324
; %bb.1321:                             ;   in Loop: Header=BB296_988 Depth=1
	v_and_b32_e32 v2, 7, v11
	v_lshrrev_b32_e32 v3, 3, v19
	s_mov_b32 s20, exec_lo
	v_cmpx_gt_u32_e32 8, v19
; %bb.1322:                             ;   in Loop: Header=BB296_988 Depth=1
	v_ffbh_u32_e32 v2, v2
	v_min_u32_e32 v18, 32, v2
	v_subrev_nc_u32_e32 v2, 28, v18
	v_lshlrev_b64 v[2:3], v2, v[11:12]
	v_sub_nc_u32_e32 v3, 29, v18
	v_and_b32_e32 v2, 7, v2
; %bb.1323:                             ;   in Loop: Header=BB296_988 Depth=1
	s_or_b32 exec_lo, exec_lo, s20
	v_lshlrev_b32_e32 v18, 8, v11
	v_lshl_add_u32 v3, v3, 10, 0x2000
	v_lshlrev_b32_e32 v2, 7, v2
	v_and_b32_e32 v18, 0x8000, v18
	v_and_b32_e32 v3, 0xfc00, v3
	v_or3_b32 v18, v18, v3, v2
.LBB296_1324:                           ;   in Loop: Header=BB296_988 Depth=1
	s_or_b32 exec_lo, exec_lo, s19
.LBB296_1325:                           ;   in Loop: Header=BB296_988 Depth=1
	s_or_b32 exec_lo, exec_lo, s18
.LBB296_1326:                           ;   in Loop: Header=BB296_988 Depth=1
	s_or_b32 exec_lo, exec_lo, s15
	v_lshrrev_b16 v3, 8, v11
	s_mov_b32 s15, exec_lo
	v_cmpx_ne_u16_e32 0, v3
	s_cbranch_execz .LBB296_1334
; %bb.1327:                             ;   in Loop: Header=BB296_988 Depth=1
	v_bfrev_b32_e32 v1, 1
	s_mov_b32 s18, exec_lo
	v_cmpx_ne_u16_e32 0x80, v3
	s_cbranch_execz .LBB296_1333
; %bb.1328:                             ;   in Loop: Header=BB296_988 Depth=1
	v_and_b32_sdwa v19, v3, v51 dst_sel:DWORD dst_unused:UNUSED_PAD src0_sel:WORD_0 src1_sel:DWORD
	v_mov_b32_e32 v1, 0x7c010000
	s_mov_b32 s19, exec_lo
	v_cmpx_ne_u32_e32 0x7f, v19
	s_cbranch_execz .LBB296_1332
; %bb.1329:                             ;   in Loop: Header=BB296_988 Depth=1
	v_and_b32_sdwa v1, v3, v52 dst_sel:DWORD dst_unused:UNUSED_PAD src0_sel:WORD_0 src1_sel:DWORD
	v_lshrrev_b32_e32 v2, 3, v19
	s_mov_b32 s20, exec_lo
	v_cmpx_gt_u32_e32 8, v19
; %bb.1330:                             ;   in Loop: Header=BB296_988 Depth=1
	v_ffbh_u32_e32 v1, v1
	v_min_u32_e32 v19, 32, v1
	v_subrev_nc_u32_e32 v1, 28, v19
	v_lshlrev_b64 v[1:2], v1, v[3:4]
	v_sub_nc_u32_e32 v2, 29, v19
	v_and_b32_e32 v1, 7, v1
; %bb.1331:                             ;   in Loop: Header=BB296_988 Depth=1
	s_or_b32 exec_lo, exec_lo, s20
	v_lshlrev_b32_sdwa v3, v53, v3 dst_sel:DWORD dst_unused:UNUSED_PAD src0_sel:DWORD src1_sel:WORD_0
	v_lshl_add_u32 v2, v2, 10, 0x2000
	v_lshlrev_b32_e32 v1, 23, v1
	v_and_or_b32 v2, 0x8000, v3, v2
	v_lshl_or_b32 v1, v2, 16, v1
.LBB296_1332:                           ;   in Loop: Header=BB296_988 Depth=1
	s_or_b32 exec_lo, exec_lo, s19
.LBB296_1333:                           ;   in Loop: Header=BB296_988 Depth=1
	s_or_b32 exec_lo, exec_lo, s18
.LBB296_1334:                           ;   in Loop: Header=BB296_988 Depth=1
	s_or_b32 exec_lo, exec_lo, s15
	v_lshrrev_b32_e32 v2, 16, v11
	v_mov_b32_e32 v19, 0
	v_mov_b32_e32 v26, 0
	v_cmp_ne_u16_sdwa s4, v2, v4 src0_sel:BYTE_0 src1_sel:DWORD
	s_and_saveexec_b32 s15, s4
	s_cbranch_execz .LBB296_1342
; %bb.1335:                             ;   in Loop: Header=BB296_988 Depth=1
	v_cmp_ne_u16_sdwa s4, v2, v50 src0_sel:BYTE_0 src1_sel:DWORD
	v_mov_b32_e32 v26, 0x8000
	s_and_saveexec_b32 s18, s4
	s_cbranch_execz .LBB296_1341
; %bb.1336:                             ;   in Loop: Header=BB296_988 Depth=1
	v_bfe_u32 v27, v11, 16, 7
	v_mov_b32_e32 v26, 0x7c01
	s_mov_b32 s19, exec_lo
	v_cmpx_ne_u32_e32 0x7f, v27
	s_cbranch_execz .LBB296_1340
; %bb.1337:                             ;   in Loop: Header=BB296_988 Depth=1
	v_and_b32_e32 v3, 7, v2
	v_lshrrev_b32_e32 v26, 3, v27
	s_mov_b32 s20, exec_lo
	v_cmpx_gt_u32_e32 8, v27
; %bb.1338:                             ;   in Loop: Header=BB296_988 Depth=1
	v_ffbh_u32_e32 v3, v3
	v_min_u32_e32 v3, 32, v3
	v_subrev_nc_u32_e32 v26, 28, v3
	v_lshlrev_b64 v[100:101], v26, v[2:3]
	v_sub_nc_u32_e32 v26, 29, v3
	v_and_b32_e32 v3, 7, v100
; %bb.1339:                             ;   in Loop: Header=BB296_988 Depth=1
	s_or_b32 exec_lo, exec_lo, s20
	v_lshlrev_b32_e32 v2, 8, v2
	v_lshl_add_u32 v26, v26, 10, 0x2000
	v_lshlrev_b32_e32 v3, 7, v3
	v_and_b32_e32 v2, 0x8000, v2
	v_and_b32_e32 v26, 0xfc00, v26
	v_or3_b32 v26, v2, v26, v3
.LBB296_1340:                           ;   in Loop: Header=BB296_988 Depth=1
	s_or_b32 exec_lo, exec_lo, s19
.LBB296_1341:                           ;   in Loop: Header=BB296_988 Depth=1
	s_or_b32 exec_lo, exec_lo, s18
.LBB296_1342:                           ;   in Loop: Header=BB296_988 Depth=1
	s_or_b32 exec_lo, exec_lo, s15
	s_mov_b32 s15, exec_lo
	v_cmpx_lt_u32_e32 0xffffff, v11
	s_cbranch_execz .LBB296_1350
; %bb.1343:                             ;   in Loop: Header=BB296_988 Depth=1
	v_lshrrev_b32_e32 v3, 24, v11
	v_bfrev_b32_e32 v19, 1
	s_mov_b32 s18, exec_lo
	v_cmpx_ne_u32_e32 0x80, v3
	s_cbranch_execz .LBB296_1349
; %bb.1344:                             ;   in Loop: Header=BB296_988 Depth=1
	v_and_b32_e32 v27, 0x7f, v3
	v_mov_b32_e32 v19, 0x7c010000
	s_mov_b32 s19, exec_lo
	v_cmpx_ne_u32_e32 0x7f, v27
	s_cbranch_execz .LBB296_1348
; %bb.1345:                             ;   in Loop: Header=BB296_988 Depth=1
	v_and_b32_e32 v2, 7, v3
	v_lshrrev_b32_e32 v19, 3, v27
	s_mov_b32 s20, exec_lo
	v_cmpx_gt_u32_e32 8, v27
; %bb.1346:                             ;   in Loop: Header=BB296_988 Depth=1
	v_ffbh_u32_e32 v2, v2
	v_min_u32_e32 v2, 32, v2
	v_subrev_nc_u32_e32 v19, 28, v2
	v_lshlrev_b64 v[100:101], v19, v[3:4]
	v_sub_nc_u32_e32 v19, 29, v2
	v_and_b32_e32 v2, 7, v100
; %bb.1347:                             ;   in Loop: Header=BB296_988 Depth=1
	s_or_b32 exec_lo, exec_lo, s20
	v_lshlrev_b32_e32 v3, 8, v3
	v_lshl_add_u32 v19, v19, 10, 0x2000
	v_lshlrev_b32_e32 v2, 23, v2
	v_and_or_b32 v3, 0x8000, v3, v19
	v_lshl_or_b32 v19, v3, 16, v2
.LBB296_1348:                           ;   in Loop: Header=BB296_988 Depth=1
	s_or_b32 exec_lo, exec_lo, s19
.LBB296_1349:                           ;   in Loop: Header=BB296_988 Depth=1
	s_or_b32 exec_lo, exec_lo, s18
.LBB296_1350:                           ;   in Loop: Header=BB296_988 Depth=1
	s_or_b32 exec_lo, exec_lo, s15
	v_mov_b32_e32 v3, v12
	v_cmp_ne_u16_sdwa s4, v12, v4 src0_sel:BYTE_0 src1_sel:DWORD
	v_mov_b32_e32 v27, 0
	v_mov_b32_e32 v29, 0
	s_and_saveexec_b32 s15, s4
	s_cbranch_execz .LBB296_1358
; %bb.1351:                             ;   in Loop: Header=BB296_988 Depth=1
	v_cmp_ne_u16_sdwa s4, v12, v50 src0_sel:BYTE_0 src1_sel:DWORD
	v_mov_b32_e32 v29, 0x8000
	s_and_saveexec_b32 s18, s4
	s_cbranch_execz .LBB296_1357
; %bb.1352:                             ;   in Loop: Header=BB296_988 Depth=1
	v_and_b32_e32 v100, 0x7f, v12
	v_mov_b32_e32 v29, 0x7c01
	s_mov_b32 s19, exec_lo
	v_cmpx_ne_u32_e32 0x7f, v100
	s_cbranch_execz .LBB296_1356
; %bb.1353:                             ;   in Loop: Header=BB296_988 Depth=1
	v_and_b32_e32 v2, 7, v12
	v_lshrrev_b32_e32 v29, 3, v100
	s_mov_b32 s20, exec_lo
	v_cmpx_gt_u32_e32 8, v100
; %bb.1354:                             ;   in Loop: Header=BB296_988 Depth=1
	v_ffbh_u32_e32 v2, v2
	v_min_u32_e32 v2, 32, v2
	v_subrev_nc_u32_e32 v29, 28, v2
	v_lshlrev_b64 v[100:101], v29, v[3:4]
	v_sub_nc_u32_e32 v29, 29, v2
	v_and_b32_e32 v2, 7, v100
; %bb.1355:                             ;   in Loop: Header=BB296_988 Depth=1
	s_or_b32 exec_lo, exec_lo, s20
	v_lshlrev_b32_e32 v100, 8, v12
	v_lshl_add_u32 v29, v29, 10, 0x2000
	v_lshlrev_b32_e32 v2, 7, v2
	v_and_b32_e32 v100, 0x8000, v100
	v_and_b32_e32 v29, 0xfc00, v29
	v_or3_b32 v29, v100, v29, v2
.LBB296_1356:                           ;   in Loop: Header=BB296_988 Depth=1
	s_or_b32 exec_lo, exec_lo, s19
.LBB296_1357:                           ;   in Loop: Header=BB296_988 Depth=1
	s_or_b32 exec_lo, exec_lo, s18
.LBB296_1358:                           ;   in Loop: Header=BB296_988 Depth=1
	s_or_b32 exec_lo, exec_lo, s15
	v_lshrrev_b16 v3, 8, v3
	v_mov_b32_e32 v100, 0
	s_mov_b32 s15, exec_lo
	v_cmpx_ne_u16_e32 0, v3
	s_cbranch_execz .LBB296_1366
; %bb.1359:                             ;   in Loop: Header=BB296_988 Depth=1
	v_bfrev_b32_e32 v100, 1
	s_mov_b32 s18, exec_lo
	v_cmpx_ne_u16_e32 0x80, v3
	s_cbranch_execz .LBB296_1365
; %bb.1360:                             ;   in Loop: Header=BB296_988 Depth=1
	v_and_b32_sdwa v101, v3, v51 dst_sel:DWORD dst_unused:UNUSED_PAD src0_sel:WORD_0 src1_sel:DWORD
	v_mov_b32_e32 v100, 0x7c010000
	s_mov_b32 s19, exec_lo
	v_cmpx_ne_u32_e32 0x7f, v101
	s_cbranch_execz .LBB296_1364
; %bb.1361:                             ;   in Loop: Header=BB296_988 Depth=1
	v_and_b32_sdwa v2, v3, v52 dst_sel:DWORD dst_unused:UNUSED_PAD src0_sel:WORD_0 src1_sel:DWORD
	v_lshrrev_b32_e32 v100, 3, v101
	s_mov_b32 s20, exec_lo
	v_cmpx_gt_u32_e32 8, v101
; %bb.1362:                             ;   in Loop: Header=BB296_988 Depth=1
	v_ffbh_u32_e32 v2, v2
	v_min_u32_e32 v2, 32, v2
	v_subrev_nc_u32_e32 v100, 28, v2
	v_lshlrev_b64 v[101:102], v100, v[3:4]
	v_sub_nc_u32_e32 v100, 29, v2
	v_and_b32_e32 v2, 7, v101
; %bb.1363:                             ;   in Loop: Header=BB296_988 Depth=1
	s_or_b32 exec_lo, exec_lo, s20
	v_lshlrev_b32_sdwa v3, v53, v3 dst_sel:DWORD dst_unused:UNUSED_PAD src0_sel:DWORD src1_sel:WORD_0
	v_lshl_add_u32 v100, v100, 10, 0x2000
	v_lshlrev_b32_e32 v2, 23, v2
	v_and_or_b32 v3, 0x8000, v3, v100
	v_lshl_or_b32 v100, v3, 16, v2
.LBB296_1364:                           ;   in Loop: Header=BB296_988 Depth=1
	s_or_b32 exec_lo, exec_lo, s19
.LBB296_1365:                           ;   in Loop: Header=BB296_988 Depth=1
	s_or_b32 exec_lo, exec_lo, s18
.LBB296_1366:                           ;   in Loop: Header=BB296_988 Depth=1
	s_or_b32 exec_lo, exec_lo, s15
	v_lshrrev_b32_e32 v2, 16, v12
	v_cmp_ne_u16_sdwa s4, v2, v4 src0_sel:BYTE_0 src1_sel:DWORD
	s_and_saveexec_b32 s15, s4
	s_cbranch_execz .LBB296_1374
; %bb.1367:                             ;   in Loop: Header=BB296_988 Depth=1
	v_cmp_ne_u16_sdwa s4, v2, v50 src0_sel:BYTE_0 src1_sel:DWORD
	v_mov_b32_e32 v27, 0x8000
	s_and_saveexec_b32 s18, s4
	s_cbranch_execz .LBB296_1373
; %bb.1368:                             ;   in Loop: Header=BB296_988 Depth=1
	v_bfe_u32 v101, v12, 16, 7
	v_mov_b32_e32 v27, 0x7c01
	s_mov_b32 s19, exec_lo
	v_cmpx_ne_u32_e32 0x7f, v101
	s_cbranch_execz .LBB296_1372
; %bb.1369:                             ;   in Loop: Header=BB296_988 Depth=1
	v_and_b32_e32 v3, 7, v2
	v_lshrrev_b32_e32 v27, 3, v101
	s_mov_b32 s20, exec_lo
	v_cmpx_gt_u32_e32 8, v101
; %bb.1370:                             ;   in Loop: Header=BB296_988 Depth=1
	v_ffbh_u32_e32 v3, v3
	v_min_u32_e32 v3, 32, v3
	v_subrev_nc_u32_e32 v27, 28, v3
	v_lshlrev_b64 v[101:102], v27, v[2:3]
	v_sub_nc_u32_e32 v27, 29, v3
	v_and_b32_e32 v3, 7, v101
; %bb.1371:                             ;   in Loop: Header=BB296_988 Depth=1
	s_or_b32 exec_lo, exec_lo, s20
	v_lshlrev_b32_e32 v2, 8, v2
	v_lshl_add_u32 v27, v27, 10, 0x2000
	v_lshlrev_b32_e32 v3, 7, v3
	v_and_b32_e32 v2, 0x8000, v2
	v_and_b32_e32 v27, 0xfc00, v27
	v_or3_b32 v27, v2, v27, v3
.LBB296_1372:                           ;   in Loop: Header=BB296_988 Depth=1
	s_or_b32 exec_lo, exec_lo, s19
.LBB296_1373:                           ;   in Loop: Header=BB296_988 Depth=1
	s_or_b32 exec_lo, exec_lo, s18
.LBB296_1374:                           ;   in Loop: Header=BB296_988 Depth=1
	s_or_b32 exec_lo, exec_lo, s15
	v_mov_b32_e32 v2, 0
	s_mov_b32 s15, exec_lo
	v_cmpx_lt_u64_e64 s[6:7], v[11:12]
	s_cbranch_execz .LBB296_1382
; %bb.1375:                             ;   in Loop: Header=BB296_988 Depth=1
	v_lshrrev_b32_e32 v3, 24, v12
	v_bfrev_b32_e32 v2, 1
	s_mov_b32 s18, exec_lo
	v_cmpx_ne_u32_e32 0x80, v3
	s_cbranch_execz .LBB296_1381
; %bb.1376:                             ;   in Loop: Header=BB296_988 Depth=1
	v_and_b32_e32 v12, 0x7f, v3
	v_mov_b32_e32 v2, 0x7c010000
	s_mov_b32 s19, exec_lo
	v_cmpx_ne_u32_e32 0x7f, v12
	s_cbranch_execz .LBB296_1380
; %bb.1377:                             ;   in Loop: Header=BB296_988 Depth=1
	v_and_b32_e32 v2, 7, v3
	v_lshrrev_b32_e32 v11, 3, v12
	s_mov_b32 s20, exec_lo
	v_cmpx_gt_u32_e32 8, v12
; %bb.1378:                             ;   in Loop: Header=BB296_988 Depth=1
	v_ffbh_u32_e32 v2, v2
	v_min_u32_e32 v2, 32, v2
	v_subrev_nc_u32_e32 v11, 28, v2
	v_lshlrev_b64 v[101:102], v11, v[3:4]
	v_sub_nc_u32_e32 v11, 29, v2
	v_and_b32_e32 v2, 7, v101
; %bb.1379:                             ;   in Loop: Header=BB296_988 Depth=1
	s_or_b32 exec_lo, exec_lo, s20
	v_lshlrev_b32_e32 v3, 8, v3
	v_lshl_add_u32 v11, v11, 10, 0x2000
	v_lshlrev_b32_e32 v2, 23, v2
	v_and_or_b32 v3, 0x8000, v3, v11
	v_lshl_or_b32 v2, v3, 16, v2
.LBB296_1380:                           ;   in Loop: Header=BB296_988 Depth=1
	s_or_b32 exec_lo, exec_lo, s19
.LBB296_1381:                           ;   in Loop: Header=BB296_988 Depth=1
	s_or_b32 exec_lo, exec_lo, s18
.LBB296_1382:                           ;   in Loop: Header=BB296_988 Depth=1
	s_or_b32 exec_lo, exec_lo, s15
	v_or_b32_e32 v3, v19, v26
	s_waitcnt vmcnt(0) lgkmcnt(0)
	v_fma_mixlo_f16 v11, v0, v19, 0 op_sel:[0,1,0] op_sel_hi:[0,1,0]
	v_or_b32_e32 v18, v1, v18
	v_or_b32_e32 v19, v100, v29
	;; [unrolled: 1-line block ×3, first 2 shown]
	v_fma_mixlo_f16 v12, v0, v1, 0 op_sel:[0,1,0] op_sel_hi:[0,1,0]
	v_fma_mixlo_f16 v3, v0, v3, 0 op_sel_hi:[0,1,0]
	v_lshlrev_b32_e32 v1, 16, v11
	v_fma_mixlo_f16 v11, v0, v18, 0 op_sel_hi:[0,1,0]
	v_fma_mixlo_f16 v18, v0, v100, 0 op_sel:[0,1,0] op_sel_hi:[0,1,0]
	v_fma_mixlo_f16 v19, v0, v19, 0 op_sel_hi:[0,1,0]
	v_fma_mixlo_f16 v27, v0, v2, 0 op_sel:[0,1,0] op_sel_hi:[0,1,0]
	v_fma_mixlo_f16 v26, v0, v26, 0 op_sel_hi:[0,1,0]
	v_lshlrev_b32_e32 v12, 16, v12
	v_and_b32_e32 v3, 0xffff, v3
	v_and_b32_e32 v100, 0xffff, v11
	v_lshlrev_b32_e32 v2, 16, v18
	v_and_b32_e32 v19, 0xffff, v19
	v_lshlrev_b32_e32 v0, 16, v27
	v_and_b32_e32 v11, 0xffff, v26
	v_or_b32_e32 v18, v1, v3
	v_or_b32_e32 v29, v12, v100
	;; [unrolled: 1-line block ×4, first 2 shown]
	s_and_saveexec_b32 s15, vcc_lo
	s_cbranch_execz .LBB296_1384
; %bb.1383:                             ;   in Loop: Header=BB296_988 Depth=1
	v_cmp_lt_i32_e64 s4, v55, v28
	v_cndmask_b32_e64 v18, 0, v100, s4
	v_cmp_lt_i32_e64 s4, v83, v28
	v_cndmask_b32_e64 v12, 0, v12, s4
	v_cmp_lt_i32_e64 s4, v82, v28
	v_or_b32_e32 v29, v18, v12
	v_cndmask_b32_e64 v3, 0, v3, s4
	v_cmp_lt_i32_e64 s4, v81, v28
	v_cndmask_b32_e64 v1, 0, v1, s4
	v_cmp_lt_i32_e64 s4, v80, v28
	v_or_b32_e32 v18, v3, v1
	;; [unrolled: 5-line block ×3, first 2 shown]
	v_cndmask_b32_e64 v11, 0, v11, s4
	v_cmp_lt_i32_e64 s4, v31, v28
	v_cndmask_b32_e64 v0, 0, v0, s4
	v_or_b32_e32 v26, v11, v0
.LBB296_1384:                           ;   in Loop: Header=BB296_988 Depth=1
	s_or_b32 exec_lo, exec_lo, s15
	;;#ASMSTART
	v_pk_mul_f16 v0, v68, v29;

	;;#ASMEND
	;;#ASMSTART
	v_pk_mul_f16 v1, v66, v18;

	;;#ASMEND
	;; [unrolled: 4-line block ×4, first 2 shown]
	;;#ASMSTART
	v_pk_add_f16 v0, v0, v1;

	;;#ASMEND
	;;#ASMSTART
	v_pk_add_f16 v0, v0, v2;

	;;#ASMEND
	;; [unrolled: 4-line block ×3, first 2 shown]
	v_and_b32_e32 v1, 0xffff, v0
	v_lshrrev_b32_e32 v0, 16, v0
	;;#ASMSTART
	v_cvt_f32_f16 v100, v1;
	;;#ASMEND
	;;#ASMSTART
	v_cvt_f32_f16 v101, v0;
	;;#ASMEND
	flat_load_dwordx2 v[11:12], v[9:10] offset:1536
	flat_load_dword v0, v[22:23]
	v_mov_b32_e32 v1, 0
	v_mov_b32_e32 v18, 0
	s_waitcnt vmcnt(1) lgkmcnt(1)
	v_cmp_ne_u16_sdwa s4, v11, v4 src0_sel:BYTE_0 src1_sel:DWORD
	s_and_saveexec_b32 s15, s4
	s_cbranch_execz .LBB296_1392
; %bb.1385:                             ;   in Loop: Header=BB296_988 Depth=1
	v_cmp_ne_u16_sdwa s4, v11, v50 src0_sel:BYTE_0 src1_sel:DWORD
	v_mov_b32_e32 v18, 0x8000
	s_and_saveexec_b32 s18, s4
	s_cbranch_execz .LBB296_1391
; %bb.1386:                             ;   in Loop: Header=BB296_988 Depth=1
	v_and_b32_e32 v19, 0x7f, v11
	v_mov_b32_e32 v18, 0x7c01
	s_mov_b32 s19, exec_lo
	v_cmpx_ne_u32_e32 0x7f, v19
	s_cbranch_execz .LBB296_1390
; %bb.1387:                             ;   in Loop: Header=BB296_988 Depth=1
	v_and_b32_e32 v2, 7, v11
	v_lshrrev_b32_e32 v3, 3, v19
	s_mov_b32 s20, exec_lo
	v_cmpx_gt_u32_e32 8, v19
; %bb.1388:                             ;   in Loop: Header=BB296_988 Depth=1
	v_ffbh_u32_e32 v2, v2
	v_min_u32_e32 v18, 32, v2
	v_subrev_nc_u32_e32 v2, 28, v18
	v_lshlrev_b64 v[2:3], v2, v[11:12]
	v_sub_nc_u32_e32 v3, 29, v18
	v_and_b32_e32 v2, 7, v2
; %bb.1389:                             ;   in Loop: Header=BB296_988 Depth=1
	s_or_b32 exec_lo, exec_lo, s20
	v_lshlrev_b32_e32 v18, 8, v11
	v_lshl_add_u32 v3, v3, 10, 0x2000
	v_lshlrev_b32_e32 v2, 7, v2
	v_and_b32_e32 v18, 0x8000, v18
	v_and_b32_e32 v3, 0xfc00, v3
	v_or3_b32 v18, v18, v3, v2
.LBB296_1390:                           ;   in Loop: Header=BB296_988 Depth=1
	s_or_b32 exec_lo, exec_lo, s19
.LBB296_1391:                           ;   in Loop: Header=BB296_988 Depth=1
	s_or_b32 exec_lo, exec_lo, s18
.LBB296_1392:                           ;   in Loop: Header=BB296_988 Depth=1
	s_or_b32 exec_lo, exec_lo, s15
	v_lshrrev_b16 v3, 8, v11
	s_mov_b32 s15, exec_lo
	v_cmpx_ne_u16_e32 0, v3
	s_cbranch_execz .LBB296_1400
; %bb.1393:                             ;   in Loop: Header=BB296_988 Depth=1
	v_bfrev_b32_e32 v1, 1
	s_mov_b32 s18, exec_lo
	v_cmpx_ne_u16_e32 0x80, v3
	s_cbranch_execz .LBB296_1399
; %bb.1394:                             ;   in Loop: Header=BB296_988 Depth=1
	v_and_b32_sdwa v19, v3, v51 dst_sel:DWORD dst_unused:UNUSED_PAD src0_sel:WORD_0 src1_sel:DWORD
	v_mov_b32_e32 v1, 0x7c010000
	s_mov_b32 s19, exec_lo
	v_cmpx_ne_u32_e32 0x7f, v19
	s_cbranch_execz .LBB296_1398
; %bb.1395:                             ;   in Loop: Header=BB296_988 Depth=1
	v_and_b32_sdwa v1, v3, v52 dst_sel:DWORD dst_unused:UNUSED_PAD src0_sel:WORD_0 src1_sel:DWORD
	v_lshrrev_b32_e32 v2, 3, v19
	s_mov_b32 s20, exec_lo
	v_cmpx_gt_u32_e32 8, v19
; %bb.1396:                             ;   in Loop: Header=BB296_988 Depth=1
	v_ffbh_u32_e32 v1, v1
	v_min_u32_e32 v19, 32, v1
	v_subrev_nc_u32_e32 v1, 28, v19
	v_lshlrev_b64 v[1:2], v1, v[3:4]
	v_sub_nc_u32_e32 v2, 29, v19
	v_and_b32_e32 v1, 7, v1
; %bb.1397:                             ;   in Loop: Header=BB296_988 Depth=1
	s_or_b32 exec_lo, exec_lo, s20
	v_lshlrev_b32_sdwa v3, v53, v3 dst_sel:DWORD dst_unused:UNUSED_PAD src0_sel:DWORD src1_sel:WORD_0
	v_lshl_add_u32 v2, v2, 10, 0x2000
	v_lshlrev_b32_e32 v1, 23, v1
	v_and_or_b32 v2, 0x8000, v3, v2
	v_lshl_or_b32 v1, v2, 16, v1
.LBB296_1398:                           ;   in Loop: Header=BB296_988 Depth=1
	s_or_b32 exec_lo, exec_lo, s19
.LBB296_1399:                           ;   in Loop: Header=BB296_988 Depth=1
	s_or_b32 exec_lo, exec_lo, s18
.LBB296_1400:                           ;   in Loop: Header=BB296_988 Depth=1
	s_or_b32 exec_lo, exec_lo, s15
	v_lshrrev_b32_e32 v2, 16, v11
	v_mov_b32_e32 v19, 0
	v_mov_b32_e32 v26, 0
	v_cmp_ne_u16_sdwa s4, v2, v4 src0_sel:BYTE_0 src1_sel:DWORD
	s_and_saveexec_b32 s15, s4
	s_cbranch_execz .LBB296_1408
; %bb.1401:                             ;   in Loop: Header=BB296_988 Depth=1
	v_cmp_ne_u16_sdwa s4, v2, v50 src0_sel:BYTE_0 src1_sel:DWORD
	v_mov_b32_e32 v26, 0x8000
	s_and_saveexec_b32 s18, s4
	s_cbranch_execz .LBB296_1407
; %bb.1402:                             ;   in Loop: Header=BB296_988 Depth=1
	v_bfe_u32 v27, v11, 16, 7
	v_mov_b32_e32 v26, 0x7c01
	s_mov_b32 s19, exec_lo
	v_cmpx_ne_u32_e32 0x7f, v27
	s_cbranch_execz .LBB296_1406
; %bb.1403:                             ;   in Loop: Header=BB296_988 Depth=1
	v_and_b32_e32 v3, 7, v2
	v_lshrrev_b32_e32 v26, 3, v27
	s_mov_b32 s20, exec_lo
	v_cmpx_gt_u32_e32 8, v27
; %bb.1404:                             ;   in Loop: Header=BB296_988 Depth=1
	v_ffbh_u32_e32 v3, v3
	v_min_u32_e32 v3, 32, v3
	v_subrev_nc_u32_e32 v26, 28, v3
	v_lshlrev_b64 v[102:103], v26, v[2:3]
	v_sub_nc_u32_e32 v26, 29, v3
	v_and_b32_e32 v3, 7, v102
; %bb.1405:                             ;   in Loop: Header=BB296_988 Depth=1
	s_or_b32 exec_lo, exec_lo, s20
	v_lshlrev_b32_e32 v2, 8, v2
	v_lshl_add_u32 v26, v26, 10, 0x2000
	v_lshlrev_b32_e32 v3, 7, v3
	v_and_b32_e32 v2, 0x8000, v2
	v_and_b32_e32 v26, 0xfc00, v26
	v_or3_b32 v26, v2, v26, v3
.LBB296_1406:                           ;   in Loop: Header=BB296_988 Depth=1
	s_or_b32 exec_lo, exec_lo, s19
.LBB296_1407:                           ;   in Loop: Header=BB296_988 Depth=1
	s_or_b32 exec_lo, exec_lo, s18
.LBB296_1408:                           ;   in Loop: Header=BB296_988 Depth=1
	s_or_b32 exec_lo, exec_lo, s15
	s_mov_b32 s15, exec_lo
	v_cmpx_lt_u32_e32 0xffffff, v11
	s_cbranch_execz .LBB296_1416
; %bb.1409:                             ;   in Loop: Header=BB296_988 Depth=1
	v_lshrrev_b32_e32 v3, 24, v11
	v_bfrev_b32_e32 v19, 1
	s_mov_b32 s18, exec_lo
	v_cmpx_ne_u32_e32 0x80, v3
	s_cbranch_execz .LBB296_1415
; %bb.1410:                             ;   in Loop: Header=BB296_988 Depth=1
	v_and_b32_e32 v27, 0x7f, v3
	v_mov_b32_e32 v19, 0x7c010000
	s_mov_b32 s19, exec_lo
	v_cmpx_ne_u32_e32 0x7f, v27
	s_cbranch_execz .LBB296_1414
; %bb.1411:                             ;   in Loop: Header=BB296_988 Depth=1
	v_and_b32_e32 v2, 7, v3
	v_lshrrev_b32_e32 v19, 3, v27
	s_mov_b32 s20, exec_lo
	v_cmpx_gt_u32_e32 8, v27
; %bb.1412:                             ;   in Loop: Header=BB296_988 Depth=1
	v_ffbh_u32_e32 v2, v2
	v_min_u32_e32 v2, 32, v2
	v_subrev_nc_u32_e32 v19, 28, v2
	v_lshlrev_b64 v[102:103], v19, v[3:4]
	v_sub_nc_u32_e32 v19, 29, v2
	v_and_b32_e32 v2, 7, v102
; %bb.1413:                             ;   in Loop: Header=BB296_988 Depth=1
	s_or_b32 exec_lo, exec_lo, s20
	v_lshlrev_b32_e32 v3, 8, v3
	v_lshl_add_u32 v19, v19, 10, 0x2000
	v_lshlrev_b32_e32 v2, 23, v2
	v_and_or_b32 v3, 0x8000, v3, v19
	v_lshl_or_b32 v19, v3, 16, v2
.LBB296_1414:                           ;   in Loop: Header=BB296_988 Depth=1
	s_or_b32 exec_lo, exec_lo, s19
.LBB296_1415:                           ;   in Loop: Header=BB296_988 Depth=1
	s_or_b32 exec_lo, exec_lo, s18
.LBB296_1416:                           ;   in Loop: Header=BB296_988 Depth=1
	s_or_b32 exec_lo, exec_lo, s15
	v_mov_b32_e32 v3, v12
	v_cmp_ne_u16_sdwa s4, v12, v4 src0_sel:BYTE_0 src1_sel:DWORD
	v_mov_b32_e32 v27, 0
	v_mov_b32_e32 v29, 0
	s_and_saveexec_b32 s15, s4
	s_cbranch_execz .LBB296_1424
; %bb.1417:                             ;   in Loop: Header=BB296_988 Depth=1
	v_cmp_ne_u16_sdwa s4, v12, v50 src0_sel:BYTE_0 src1_sel:DWORD
	v_mov_b32_e32 v29, 0x8000
	s_and_saveexec_b32 s18, s4
	s_cbranch_execz .LBB296_1423
; %bb.1418:                             ;   in Loop: Header=BB296_988 Depth=1
	v_and_b32_e32 v102, 0x7f, v12
	v_mov_b32_e32 v29, 0x7c01
	s_mov_b32 s19, exec_lo
	v_cmpx_ne_u32_e32 0x7f, v102
	s_cbranch_execz .LBB296_1422
; %bb.1419:                             ;   in Loop: Header=BB296_988 Depth=1
	v_and_b32_e32 v2, 7, v12
	v_lshrrev_b32_e32 v29, 3, v102
	s_mov_b32 s20, exec_lo
	v_cmpx_gt_u32_e32 8, v102
; %bb.1420:                             ;   in Loop: Header=BB296_988 Depth=1
	v_ffbh_u32_e32 v2, v2
	v_min_u32_e32 v2, 32, v2
	v_subrev_nc_u32_e32 v29, 28, v2
	v_lshlrev_b64 v[102:103], v29, v[3:4]
	v_sub_nc_u32_e32 v29, 29, v2
	v_and_b32_e32 v2, 7, v102
; %bb.1421:                             ;   in Loop: Header=BB296_988 Depth=1
	s_or_b32 exec_lo, exec_lo, s20
	v_lshlrev_b32_e32 v102, 8, v12
	v_lshl_add_u32 v29, v29, 10, 0x2000
	v_lshlrev_b32_e32 v2, 7, v2
	v_and_b32_e32 v102, 0x8000, v102
	v_and_b32_e32 v29, 0xfc00, v29
	v_or3_b32 v29, v102, v29, v2
.LBB296_1422:                           ;   in Loop: Header=BB296_988 Depth=1
	s_or_b32 exec_lo, exec_lo, s19
.LBB296_1423:                           ;   in Loop: Header=BB296_988 Depth=1
	s_or_b32 exec_lo, exec_lo, s18
.LBB296_1424:                           ;   in Loop: Header=BB296_988 Depth=1
	s_or_b32 exec_lo, exec_lo, s15
	v_lshrrev_b16 v3, 8, v3
	v_mov_b32_e32 v102, 0
	s_mov_b32 s15, exec_lo
	v_cmpx_ne_u16_e32 0, v3
	s_cbranch_execz .LBB296_1432
; %bb.1425:                             ;   in Loop: Header=BB296_988 Depth=1
	v_bfrev_b32_e32 v102, 1
	s_mov_b32 s18, exec_lo
	v_cmpx_ne_u16_e32 0x80, v3
	s_cbranch_execz .LBB296_1431
; %bb.1426:                             ;   in Loop: Header=BB296_988 Depth=1
	v_and_b32_sdwa v103, v3, v51 dst_sel:DWORD dst_unused:UNUSED_PAD src0_sel:WORD_0 src1_sel:DWORD
	v_mov_b32_e32 v102, 0x7c010000
	s_mov_b32 s19, exec_lo
	v_cmpx_ne_u32_e32 0x7f, v103
	s_cbranch_execz .LBB296_1430
; %bb.1427:                             ;   in Loop: Header=BB296_988 Depth=1
	v_and_b32_sdwa v2, v3, v52 dst_sel:DWORD dst_unused:UNUSED_PAD src0_sel:WORD_0 src1_sel:DWORD
	v_lshrrev_b32_e32 v102, 3, v103
	s_mov_b32 s20, exec_lo
	v_cmpx_gt_u32_e32 8, v103
; %bb.1428:                             ;   in Loop: Header=BB296_988 Depth=1
	v_ffbh_u32_e32 v2, v2
	v_min_u32_e32 v2, 32, v2
	v_subrev_nc_u32_e32 v102, 28, v2
	v_lshlrev_b64 v[112:113], v102, v[3:4]
	v_sub_nc_u32_e32 v102, 29, v2
	v_and_b32_e32 v2, 7, v112
; %bb.1429:                             ;   in Loop: Header=BB296_988 Depth=1
	s_or_b32 exec_lo, exec_lo, s20
	v_lshlrev_b32_sdwa v3, v53, v3 dst_sel:DWORD dst_unused:UNUSED_PAD src0_sel:DWORD src1_sel:WORD_0
	v_lshl_add_u32 v102, v102, 10, 0x2000
	v_lshlrev_b32_e32 v2, 23, v2
	v_and_or_b32 v3, 0x8000, v3, v102
	v_lshl_or_b32 v102, v3, 16, v2
.LBB296_1430:                           ;   in Loop: Header=BB296_988 Depth=1
	s_or_b32 exec_lo, exec_lo, s19
.LBB296_1431:                           ;   in Loop: Header=BB296_988 Depth=1
	s_or_b32 exec_lo, exec_lo, s18
.LBB296_1432:                           ;   in Loop: Header=BB296_988 Depth=1
	s_or_b32 exec_lo, exec_lo, s15
	v_lshrrev_b32_e32 v2, 16, v12
	v_cmp_ne_u16_sdwa s4, v2, v4 src0_sel:BYTE_0 src1_sel:DWORD
	s_and_saveexec_b32 s15, s4
	s_cbranch_execz .LBB296_1440
; %bb.1433:                             ;   in Loop: Header=BB296_988 Depth=1
	v_cmp_ne_u16_sdwa s4, v2, v50 src0_sel:BYTE_0 src1_sel:DWORD
	v_mov_b32_e32 v27, 0x8000
	s_and_saveexec_b32 s18, s4
	s_cbranch_execz .LBB296_1439
; %bb.1434:                             ;   in Loop: Header=BB296_988 Depth=1
	v_bfe_u32 v103, v12, 16, 7
	v_mov_b32_e32 v27, 0x7c01
	s_mov_b32 s19, exec_lo
	v_cmpx_ne_u32_e32 0x7f, v103
	s_cbranch_execz .LBB296_1438
; %bb.1435:                             ;   in Loop: Header=BB296_988 Depth=1
	v_and_b32_e32 v3, 7, v2
	v_lshrrev_b32_e32 v27, 3, v103
	s_mov_b32 s20, exec_lo
	v_cmpx_gt_u32_e32 8, v103
; %bb.1436:                             ;   in Loop: Header=BB296_988 Depth=1
	v_ffbh_u32_e32 v3, v3
	v_min_u32_e32 v3, 32, v3
	v_subrev_nc_u32_e32 v27, 28, v3
	v_lshlrev_b64 v[112:113], v27, v[2:3]
	v_sub_nc_u32_e32 v27, 29, v3
	v_and_b32_e32 v3, 7, v112
; %bb.1437:                             ;   in Loop: Header=BB296_988 Depth=1
	s_or_b32 exec_lo, exec_lo, s20
	v_lshlrev_b32_e32 v2, 8, v2
	v_lshl_add_u32 v27, v27, 10, 0x2000
	v_lshlrev_b32_e32 v3, 7, v3
	v_and_b32_e32 v2, 0x8000, v2
	v_and_b32_e32 v27, 0xfc00, v27
	v_or3_b32 v27, v2, v27, v3
.LBB296_1438:                           ;   in Loop: Header=BB296_988 Depth=1
	s_or_b32 exec_lo, exec_lo, s19
.LBB296_1439:                           ;   in Loop: Header=BB296_988 Depth=1
	s_or_b32 exec_lo, exec_lo, s18
.LBB296_1440:                           ;   in Loop: Header=BB296_988 Depth=1
	s_or_b32 exec_lo, exec_lo, s15
	v_mov_b32_e32 v2, 0
	s_mov_b32 s15, exec_lo
	v_cmpx_lt_u64_e64 s[6:7], v[11:12]
	s_cbranch_execz .LBB296_1448
; %bb.1441:                             ;   in Loop: Header=BB296_988 Depth=1
	v_lshrrev_b32_e32 v3, 24, v12
	v_bfrev_b32_e32 v2, 1
	s_mov_b32 s18, exec_lo
	v_cmpx_ne_u32_e32 0x80, v3
	s_cbranch_execz .LBB296_1447
; %bb.1442:                             ;   in Loop: Header=BB296_988 Depth=1
	v_and_b32_e32 v12, 0x7f, v3
	v_mov_b32_e32 v2, 0x7c010000
	s_mov_b32 s19, exec_lo
	v_cmpx_ne_u32_e32 0x7f, v12
	s_cbranch_execz .LBB296_1446
; %bb.1443:                             ;   in Loop: Header=BB296_988 Depth=1
	v_and_b32_e32 v2, 7, v3
	v_lshrrev_b32_e32 v11, 3, v12
	s_mov_b32 s20, exec_lo
	v_cmpx_gt_u32_e32 8, v12
; %bb.1444:                             ;   in Loop: Header=BB296_988 Depth=1
	v_ffbh_u32_e32 v2, v2
	v_min_u32_e32 v2, 32, v2
	v_subrev_nc_u32_e32 v11, 28, v2
	v_lshlrev_b64 v[112:113], v11, v[3:4]
	v_sub_nc_u32_e32 v11, 29, v2
	v_and_b32_e32 v2, 7, v112
; %bb.1445:                             ;   in Loop: Header=BB296_988 Depth=1
	s_or_b32 exec_lo, exec_lo, s20
	v_lshlrev_b32_e32 v3, 8, v3
	v_lshl_add_u32 v11, v11, 10, 0x2000
	v_lshlrev_b32_e32 v2, 23, v2
	v_and_or_b32 v3, 0x8000, v3, v11
	v_lshl_or_b32 v2, v3, 16, v2
.LBB296_1446:                           ;   in Loop: Header=BB296_988 Depth=1
	s_or_b32 exec_lo, exec_lo, s19
.LBB296_1447:                           ;   in Loop: Header=BB296_988 Depth=1
	s_or_b32 exec_lo, exec_lo, s18
.LBB296_1448:                           ;   in Loop: Header=BB296_988 Depth=1
	s_or_b32 exec_lo, exec_lo, s15
	v_or_b32_e32 v3, v19, v26
	s_waitcnt vmcnt(0) lgkmcnt(0)
	v_fma_mixlo_f16 v11, v0, v19, 0 op_sel:[0,1,0] op_sel_hi:[0,1,0]
	v_or_b32_e32 v18, v1, v18
	v_or_b32_e32 v19, v102, v29
	;; [unrolled: 1-line block ×3, first 2 shown]
	v_fma_mixlo_f16 v12, v0, v1, 0 op_sel:[0,1,0] op_sel_hi:[0,1,0]
	v_fma_mixlo_f16 v3, v0, v3, 0 op_sel_hi:[0,1,0]
	v_lshlrev_b32_e32 v1, 16, v11
	v_fma_mixlo_f16 v11, v0, v18, 0 op_sel_hi:[0,1,0]
	v_fma_mixlo_f16 v18, v0, v102, 0 op_sel:[0,1,0] op_sel_hi:[0,1,0]
	v_fma_mixlo_f16 v19, v0, v19, 0 op_sel_hi:[0,1,0]
	v_fma_mixlo_f16 v27, v0, v2, 0 op_sel:[0,1,0] op_sel_hi:[0,1,0]
	v_fma_mixlo_f16 v26, v0, v26, 0 op_sel_hi:[0,1,0]
	v_lshlrev_b32_e32 v12, 16, v12
	v_and_b32_e32 v3, 0xffff, v3
	v_and_b32_e32 v102, 0xffff, v11
	v_lshlrev_b32_e32 v2, 16, v18
	v_and_b32_e32 v19, 0xffff, v19
	v_lshlrev_b32_e32 v0, 16, v27
	v_and_b32_e32 v11, 0xffff, v26
	v_or_b32_e32 v18, v1, v3
	v_or_b32_e32 v29, v12, v102
	;; [unrolled: 1-line block ×4, first 2 shown]
	s_and_saveexec_b32 s15, vcc_lo
	s_cbranch_execz .LBB296_1450
; %bb.1449:                             ;   in Loop: Header=BB296_988 Depth=1
	v_cmp_lt_i32_e64 s4, v55, v28
	v_cndmask_b32_e64 v18, 0, v102, s4
	v_cmp_lt_i32_e64 s4, v83, v28
	v_cndmask_b32_e64 v12, 0, v12, s4
	v_cmp_lt_i32_e64 s4, v82, v28
	v_or_b32_e32 v29, v18, v12
	v_cndmask_b32_e64 v3, 0, v3, s4
	v_cmp_lt_i32_e64 s4, v81, v28
	v_cndmask_b32_e64 v1, 0, v1, s4
	v_cmp_lt_i32_e64 s4, v80, v28
	v_or_b32_e32 v18, v3, v1
	;; [unrolled: 5-line block ×3, first 2 shown]
	v_cndmask_b32_e64 v11, 0, v11, s4
	v_cmp_lt_i32_e64 s4, v31, v28
	v_cndmask_b32_e64 v0, 0, v0, s4
	v_or_b32_e32 v26, v11, v0
.LBB296_1450:                           ;   in Loop: Header=BB296_988 Depth=1
	s_or_b32 exec_lo, exec_lo, s15
	;;#ASMSTART
	v_pk_mul_f16 v0, v68, v29;

	;;#ASMEND
	;;#ASMSTART
	v_pk_mul_f16 v1, v66, v18;

	;;#ASMEND
	;; [unrolled: 4-line block ×4, first 2 shown]
	;;#ASMSTART
	v_pk_add_f16 v0, v0, v1;

	;;#ASMEND
	;;#ASMSTART
	v_pk_add_f16 v0, v0, v2;

	;;#ASMEND
	;; [unrolled: 4-line block ×3, first 2 shown]
	v_and_b32_e32 v1, 0xffff, v0
	v_lshrrev_b32_e32 v0, 16, v0
	;;#ASMSTART
	v_cvt_f32_f16 v102, v1;
	;;#ASMEND
	;;#ASMSTART
	v_cvt_f32_f16 v103, v0;
	;;#ASMEND
	flat_load_dwordx2 v[11:12], v[9:10] offset:1792
	flat_load_dword v0, v[22:23]
	v_mov_b32_e32 v1, 0
	v_mov_b32_e32 v18, 0
	s_waitcnt vmcnt(1) lgkmcnt(1)
	v_cmp_ne_u16_sdwa s4, v11, v4 src0_sel:BYTE_0 src1_sel:DWORD
	s_and_saveexec_b32 s15, s4
	s_cbranch_execz .LBB296_1458
; %bb.1451:                             ;   in Loop: Header=BB296_988 Depth=1
	v_cmp_ne_u16_sdwa s4, v11, v50 src0_sel:BYTE_0 src1_sel:DWORD
	v_mov_b32_e32 v18, 0x8000
	s_and_saveexec_b32 s18, s4
	s_cbranch_execz .LBB296_1457
; %bb.1452:                             ;   in Loop: Header=BB296_988 Depth=1
	v_and_b32_e32 v19, 0x7f, v11
	v_mov_b32_e32 v18, 0x7c01
	s_mov_b32 s19, exec_lo
	v_cmpx_ne_u32_e32 0x7f, v19
	s_cbranch_execz .LBB296_1456
; %bb.1453:                             ;   in Loop: Header=BB296_988 Depth=1
	v_and_b32_e32 v2, 7, v11
	v_lshrrev_b32_e32 v3, 3, v19
	s_mov_b32 s20, exec_lo
	v_cmpx_gt_u32_e32 8, v19
; %bb.1454:                             ;   in Loop: Header=BB296_988 Depth=1
	v_ffbh_u32_e32 v2, v2
	v_min_u32_e32 v18, 32, v2
	v_subrev_nc_u32_e32 v2, 28, v18
	v_lshlrev_b64 v[2:3], v2, v[11:12]
	v_sub_nc_u32_e32 v3, 29, v18
	v_and_b32_e32 v2, 7, v2
; %bb.1455:                             ;   in Loop: Header=BB296_988 Depth=1
	s_or_b32 exec_lo, exec_lo, s20
	v_lshlrev_b32_e32 v18, 8, v11
	v_lshl_add_u32 v3, v3, 10, 0x2000
	v_lshlrev_b32_e32 v2, 7, v2
	v_and_b32_e32 v18, 0x8000, v18
	v_and_b32_e32 v3, 0xfc00, v3
	v_or3_b32 v18, v18, v3, v2
.LBB296_1456:                           ;   in Loop: Header=BB296_988 Depth=1
	s_or_b32 exec_lo, exec_lo, s19
.LBB296_1457:                           ;   in Loop: Header=BB296_988 Depth=1
	s_or_b32 exec_lo, exec_lo, s18
.LBB296_1458:                           ;   in Loop: Header=BB296_988 Depth=1
	s_or_b32 exec_lo, exec_lo, s15
	v_lshrrev_b16 v3, 8, v11
	s_mov_b32 s15, exec_lo
	v_cmpx_ne_u16_e32 0, v3
	s_cbranch_execz .LBB296_1466
; %bb.1459:                             ;   in Loop: Header=BB296_988 Depth=1
	v_bfrev_b32_e32 v1, 1
	s_mov_b32 s18, exec_lo
	v_cmpx_ne_u16_e32 0x80, v3
	s_cbranch_execz .LBB296_1465
; %bb.1460:                             ;   in Loop: Header=BB296_988 Depth=1
	v_and_b32_sdwa v19, v3, v51 dst_sel:DWORD dst_unused:UNUSED_PAD src0_sel:WORD_0 src1_sel:DWORD
	v_mov_b32_e32 v1, 0x7c010000
	s_mov_b32 s19, exec_lo
	v_cmpx_ne_u32_e32 0x7f, v19
	s_cbranch_execz .LBB296_1464
; %bb.1461:                             ;   in Loop: Header=BB296_988 Depth=1
	v_and_b32_sdwa v1, v3, v52 dst_sel:DWORD dst_unused:UNUSED_PAD src0_sel:WORD_0 src1_sel:DWORD
	v_lshrrev_b32_e32 v2, 3, v19
	s_mov_b32 s20, exec_lo
	v_cmpx_gt_u32_e32 8, v19
; %bb.1462:                             ;   in Loop: Header=BB296_988 Depth=1
	v_ffbh_u32_e32 v1, v1
	v_min_u32_e32 v19, 32, v1
	v_subrev_nc_u32_e32 v1, 28, v19
	v_lshlrev_b64 v[1:2], v1, v[3:4]
	v_sub_nc_u32_e32 v2, 29, v19
	v_and_b32_e32 v1, 7, v1
; %bb.1463:                             ;   in Loop: Header=BB296_988 Depth=1
	s_or_b32 exec_lo, exec_lo, s20
	v_lshlrev_b32_sdwa v3, v53, v3 dst_sel:DWORD dst_unused:UNUSED_PAD src0_sel:DWORD src1_sel:WORD_0
	v_lshl_add_u32 v2, v2, 10, 0x2000
	v_lshlrev_b32_e32 v1, 23, v1
	v_and_or_b32 v2, 0x8000, v3, v2
	v_lshl_or_b32 v1, v2, 16, v1
.LBB296_1464:                           ;   in Loop: Header=BB296_988 Depth=1
	s_or_b32 exec_lo, exec_lo, s19
.LBB296_1465:                           ;   in Loop: Header=BB296_988 Depth=1
	s_or_b32 exec_lo, exec_lo, s18
.LBB296_1466:                           ;   in Loop: Header=BB296_988 Depth=1
	s_or_b32 exec_lo, exec_lo, s15
	v_lshrrev_b32_e32 v2, 16, v11
	v_mov_b32_e32 v19, 0
	v_mov_b32_e32 v26, 0
	v_cmp_ne_u16_sdwa s4, v2, v4 src0_sel:BYTE_0 src1_sel:DWORD
	s_and_saveexec_b32 s15, s4
	s_cbranch_execz .LBB296_1474
; %bb.1467:                             ;   in Loop: Header=BB296_988 Depth=1
	v_cmp_ne_u16_sdwa s4, v2, v50 src0_sel:BYTE_0 src1_sel:DWORD
	v_mov_b32_e32 v26, 0x8000
	s_and_saveexec_b32 s18, s4
	s_cbranch_execz .LBB296_1473
; %bb.1468:                             ;   in Loop: Header=BB296_988 Depth=1
	v_bfe_u32 v27, v11, 16, 7
	v_mov_b32_e32 v26, 0x7c01
	s_mov_b32 s19, exec_lo
	v_cmpx_ne_u32_e32 0x7f, v27
	s_cbranch_execz .LBB296_1472
; %bb.1469:                             ;   in Loop: Header=BB296_988 Depth=1
	v_and_b32_e32 v3, 7, v2
	v_lshrrev_b32_e32 v26, 3, v27
	s_mov_b32 s20, exec_lo
	v_cmpx_gt_u32_e32 8, v27
; %bb.1470:                             ;   in Loop: Header=BB296_988 Depth=1
	v_ffbh_u32_e32 v3, v3
	v_min_u32_e32 v3, 32, v3
	v_subrev_nc_u32_e32 v26, 28, v3
	v_lshlrev_b64 v[112:113], v26, v[2:3]
	v_sub_nc_u32_e32 v26, 29, v3
	v_and_b32_e32 v3, 7, v112
; %bb.1471:                             ;   in Loop: Header=BB296_988 Depth=1
	s_or_b32 exec_lo, exec_lo, s20
	v_lshlrev_b32_e32 v2, 8, v2
	v_lshl_add_u32 v26, v26, 10, 0x2000
	v_lshlrev_b32_e32 v3, 7, v3
	v_and_b32_e32 v2, 0x8000, v2
	v_and_b32_e32 v26, 0xfc00, v26
	v_or3_b32 v26, v2, v26, v3
.LBB296_1472:                           ;   in Loop: Header=BB296_988 Depth=1
	s_or_b32 exec_lo, exec_lo, s19
.LBB296_1473:                           ;   in Loop: Header=BB296_988 Depth=1
	s_or_b32 exec_lo, exec_lo, s18
.LBB296_1474:                           ;   in Loop: Header=BB296_988 Depth=1
	s_or_b32 exec_lo, exec_lo, s15
	s_mov_b32 s15, exec_lo
	v_cmpx_lt_u32_e32 0xffffff, v11
	s_cbranch_execz .LBB296_1482
; %bb.1475:                             ;   in Loop: Header=BB296_988 Depth=1
	v_lshrrev_b32_e32 v3, 24, v11
	v_bfrev_b32_e32 v19, 1
	s_mov_b32 s18, exec_lo
	v_cmpx_ne_u32_e32 0x80, v3
	s_cbranch_execz .LBB296_1481
; %bb.1476:                             ;   in Loop: Header=BB296_988 Depth=1
	v_and_b32_e32 v27, 0x7f, v3
	v_mov_b32_e32 v19, 0x7c010000
	s_mov_b32 s19, exec_lo
	v_cmpx_ne_u32_e32 0x7f, v27
	s_cbranch_execz .LBB296_1480
; %bb.1477:                             ;   in Loop: Header=BB296_988 Depth=1
	v_and_b32_e32 v2, 7, v3
	v_lshrrev_b32_e32 v19, 3, v27
	s_mov_b32 s20, exec_lo
	v_cmpx_gt_u32_e32 8, v27
; %bb.1478:                             ;   in Loop: Header=BB296_988 Depth=1
	v_ffbh_u32_e32 v2, v2
	v_min_u32_e32 v2, 32, v2
	v_subrev_nc_u32_e32 v19, 28, v2
	v_lshlrev_b64 v[112:113], v19, v[3:4]
	v_sub_nc_u32_e32 v19, 29, v2
	v_and_b32_e32 v2, 7, v112
; %bb.1479:                             ;   in Loop: Header=BB296_988 Depth=1
	s_or_b32 exec_lo, exec_lo, s20
	v_lshlrev_b32_e32 v3, 8, v3
	v_lshl_add_u32 v19, v19, 10, 0x2000
	v_lshlrev_b32_e32 v2, 23, v2
	v_and_or_b32 v3, 0x8000, v3, v19
	v_lshl_or_b32 v19, v3, 16, v2
.LBB296_1480:                           ;   in Loop: Header=BB296_988 Depth=1
	s_or_b32 exec_lo, exec_lo, s19
.LBB296_1481:                           ;   in Loop: Header=BB296_988 Depth=1
	s_or_b32 exec_lo, exec_lo, s18
.LBB296_1482:                           ;   in Loop: Header=BB296_988 Depth=1
	s_or_b32 exec_lo, exec_lo, s15
	v_mov_b32_e32 v3, v12
	v_cmp_ne_u16_sdwa s4, v12, v4 src0_sel:BYTE_0 src1_sel:DWORD
	v_mov_b32_e32 v27, 0
	v_mov_b32_e32 v29, 0
	s_and_saveexec_b32 s15, s4
	s_cbranch_execz .LBB296_1490
; %bb.1483:                             ;   in Loop: Header=BB296_988 Depth=1
	v_cmp_ne_u16_sdwa s4, v12, v50 src0_sel:BYTE_0 src1_sel:DWORD
	v_mov_b32_e32 v29, 0x8000
	s_and_saveexec_b32 s18, s4
	s_cbranch_execz .LBB296_1489
; %bb.1484:                             ;   in Loop: Header=BB296_988 Depth=1
	v_and_b32_e32 v112, 0x7f, v12
	v_mov_b32_e32 v29, 0x7c01
	s_mov_b32 s19, exec_lo
	v_cmpx_ne_u32_e32 0x7f, v112
	s_cbranch_execz .LBB296_1488
; %bb.1485:                             ;   in Loop: Header=BB296_988 Depth=1
	v_and_b32_e32 v2, 7, v12
	v_lshrrev_b32_e32 v29, 3, v112
	s_mov_b32 s20, exec_lo
	v_cmpx_gt_u32_e32 8, v112
; %bb.1486:                             ;   in Loop: Header=BB296_988 Depth=1
	v_ffbh_u32_e32 v2, v2
	v_min_u32_e32 v2, 32, v2
	v_subrev_nc_u32_e32 v29, 28, v2
	v_lshlrev_b64 v[112:113], v29, v[3:4]
	v_sub_nc_u32_e32 v29, 29, v2
	v_and_b32_e32 v2, 7, v112
; %bb.1487:                             ;   in Loop: Header=BB296_988 Depth=1
	s_or_b32 exec_lo, exec_lo, s20
	v_lshlrev_b32_e32 v112, 8, v12
	v_lshl_add_u32 v29, v29, 10, 0x2000
	v_lshlrev_b32_e32 v2, 7, v2
	v_and_b32_e32 v112, 0x8000, v112
	v_and_b32_e32 v29, 0xfc00, v29
	v_or3_b32 v29, v112, v29, v2
.LBB296_1488:                           ;   in Loop: Header=BB296_988 Depth=1
	s_or_b32 exec_lo, exec_lo, s19
.LBB296_1489:                           ;   in Loop: Header=BB296_988 Depth=1
	s_or_b32 exec_lo, exec_lo, s18
.LBB296_1490:                           ;   in Loop: Header=BB296_988 Depth=1
	s_or_b32 exec_lo, exec_lo, s15
	v_lshrrev_b16 v3, 8, v3
	v_mov_b32_e32 v112, 0
	s_mov_b32 s15, exec_lo
	v_cmpx_ne_u16_e32 0, v3
	s_cbranch_execz .LBB296_1498
; %bb.1491:                             ;   in Loop: Header=BB296_988 Depth=1
	v_bfrev_b32_e32 v112, 1
	s_mov_b32 s18, exec_lo
	v_cmpx_ne_u16_e32 0x80, v3
	s_cbranch_execz .LBB296_1497
; %bb.1492:                             ;   in Loop: Header=BB296_988 Depth=1
	v_and_b32_sdwa v113, v3, v51 dst_sel:DWORD dst_unused:UNUSED_PAD src0_sel:WORD_0 src1_sel:DWORD
	v_mov_b32_e32 v112, 0x7c010000
	s_mov_b32 s19, exec_lo
	v_cmpx_ne_u32_e32 0x7f, v113
	s_cbranch_execz .LBB296_1496
; %bb.1493:                             ;   in Loop: Header=BB296_988 Depth=1
	v_and_b32_sdwa v2, v3, v52 dst_sel:DWORD dst_unused:UNUSED_PAD src0_sel:WORD_0 src1_sel:DWORD
	v_lshrrev_b32_e32 v112, 3, v113
	s_mov_b32 s20, exec_lo
	v_cmpx_gt_u32_e32 8, v113
; %bb.1494:                             ;   in Loop: Header=BB296_988 Depth=1
	v_ffbh_u32_e32 v2, v2
	v_min_u32_e32 v2, 32, v2
	v_subrev_nc_u32_e32 v112, 28, v2
	v_lshlrev_b64 v[113:114], v112, v[3:4]
	v_sub_nc_u32_e32 v112, 29, v2
	v_and_b32_e32 v2, 7, v113
; %bb.1495:                             ;   in Loop: Header=BB296_988 Depth=1
	s_or_b32 exec_lo, exec_lo, s20
	v_lshlrev_b32_sdwa v3, v53, v3 dst_sel:DWORD dst_unused:UNUSED_PAD src0_sel:DWORD src1_sel:WORD_0
	v_lshl_add_u32 v112, v112, 10, 0x2000
	v_lshlrev_b32_e32 v2, 23, v2
	v_and_or_b32 v3, 0x8000, v3, v112
	v_lshl_or_b32 v112, v3, 16, v2
.LBB296_1496:                           ;   in Loop: Header=BB296_988 Depth=1
	s_or_b32 exec_lo, exec_lo, s19
.LBB296_1497:                           ;   in Loop: Header=BB296_988 Depth=1
	s_or_b32 exec_lo, exec_lo, s18
.LBB296_1498:                           ;   in Loop: Header=BB296_988 Depth=1
	s_or_b32 exec_lo, exec_lo, s15
	v_lshrrev_b32_e32 v2, 16, v12
	v_cmp_ne_u16_sdwa s4, v2, v4 src0_sel:BYTE_0 src1_sel:DWORD
	s_and_saveexec_b32 s15, s4
	s_cbranch_execz .LBB296_1506
; %bb.1499:                             ;   in Loop: Header=BB296_988 Depth=1
	v_cmp_ne_u16_sdwa s4, v2, v50 src0_sel:BYTE_0 src1_sel:DWORD
	v_mov_b32_e32 v27, 0x8000
	s_and_saveexec_b32 s18, s4
	s_cbranch_execz .LBB296_1505
; %bb.1500:                             ;   in Loop: Header=BB296_988 Depth=1
	v_bfe_u32 v113, v12, 16, 7
	v_mov_b32_e32 v27, 0x7c01
	s_mov_b32 s19, exec_lo
	v_cmpx_ne_u32_e32 0x7f, v113
	s_cbranch_execz .LBB296_1504
; %bb.1501:                             ;   in Loop: Header=BB296_988 Depth=1
	v_and_b32_e32 v3, 7, v2
	v_lshrrev_b32_e32 v27, 3, v113
	s_mov_b32 s20, exec_lo
	v_cmpx_gt_u32_e32 8, v113
; %bb.1502:                             ;   in Loop: Header=BB296_988 Depth=1
	v_ffbh_u32_e32 v3, v3
	v_min_u32_e32 v3, 32, v3
	v_subrev_nc_u32_e32 v27, 28, v3
	v_lshlrev_b64 v[113:114], v27, v[2:3]
	v_sub_nc_u32_e32 v27, 29, v3
	v_and_b32_e32 v3, 7, v113
; %bb.1503:                             ;   in Loop: Header=BB296_988 Depth=1
	s_or_b32 exec_lo, exec_lo, s20
	v_lshlrev_b32_e32 v2, 8, v2
	v_lshl_add_u32 v27, v27, 10, 0x2000
	v_lshlrev_b32_e32 v3, 7, v3
	v_and_b32_e32 v2, 0x8000, v2
	v_and_b32_e32 v27, 0xfc00, v27
	v_or3_b32 v27, v2, v27, v3
.LBB296_1504:                           ;   in Loop: Header=BB296_988 Depth=1
	s_or_b32 exec_lo, exec_lo, s19
.LBB296_1505:                           ;   in Loop: Header=BB296_988 Depth=1
	s_or_b32 exec_lo, exec_lo, s18
.LBB296_1506:                           ;   in Loop: Header=BB296_988 Depth=1
	s_or_b32 exec_lo, exec_lo, s15
	v_mov_b32_e32 v2, 0
	s_mov_b32 s15, exec_lo
	v_cmpx_lt_u64_e64 s[6:7], v[11:12]
	s_cbranch_execz .LBB296_1514
; %bb.1507:                             ;   in Loop: Header=BB296_988 Depth=1
	v_lshrrev_b32_e32 v3, 24, v12
	v_bfrev_b32_e32 v2, 1
	s_mov_b32 s18, exec_lo
	v_cmpx_ne_u32_e32 0x80, v3
	s_cbranch_execz .LBB296_1513
; %bb.1508:                             ;   in Loop: Header=BB296_988 Depth=1
	v_and_b32_e32 v12, 0x7f, v3
	v_mov_b32_e32 v2, 0x7c010000
	s_mov_b32 s19, exec_lo
	v_cmpx_ne_u32_e32 0x7f, v12
	s_cbranch_execz .LBB296_1512
; %bb.1509:                             ;   in Loop: Header=BB296_988 Depth=1
	v_and_b32_e32 v2, 7, v3
	v_lshrrev_b32_e32 v11, 3, v12
	s_mov_b32 s20, exec_lo
	v_cmpx_gt_u32_e32 8, v12
; %bb.1510:                             ;   in Loop: Header=BB296_988 Depth=1
	v_ffbh_u32_e32 v2, v2
	v_min_u32_e32 v2, 32, v2
	v_subrev_nc_u32_e32 v11, 28, v2
	v_lshlrev_b64 v[113:114], v11, v[3:4]
	v_sub_nc_u32_e32 v11, 29, v2
	v_and_b32_e32 v2, 7, v113
; %bb.1511:                             ;   in Loop: Header=BB296_988 Depth=1
	s_or_b32 exec_lo, exec_lo, s20
	v_lshlrev_b32_e32 v3, 8, v3
	v_lshl_add_u32 v11, v11, 10, 0x2000
	v_lshlrev_b32_e32 v2, 23, v2
	v_and_or_b32 v3, 0x8000, v3, v11
	v_lshl_or_b32 v2, v3, 16, v2
.LBB296_1512:                           ;   in Loop: Header=BB296_988 Depth=1
	s_or_b32 exec_lo, exec_lo, s19
.LBB296_1513:                           ;   in Loop: Header=BB296_988 Depth=1
	s_or_b32 exec_lo, exec_lo, s18
.LBB296_1514:                           ;   in Loop: Header=BB296_988 Depth=1
	s_or_b32 exec_lo, exec_lo, s15
	v_or_b32_e32 v3, v19, v26
	s_waitcnt vmcnt(0) lgkmcnt(0)
	v_fma_mixlo_f16 v11, v0, v19, 0 op_sel:[0,1,0] op_sel_hi:[0,1,0]
	v_or_b32_e32 v18, v1, v18
	v_or_b32_e32 v19, v112, v29
	;; [unrolled: 1-line block ×3, first 2 shown]
	v_fma_mixlo_f16 v12, v0, v1, 0 op_sel:[0,1,0] op_sel_hi:[0,1,0]
	v_fma_mixlo_f16 v3, v0, v3, 0 op_sel_hi:[0,1,0]
	v_lshlrev_b32_e32 v1, 16, v11
	v_fma_mixlo_f16 v11, v0, v18, 0 op_sel_hi:[0,1,0]
	v_fma_mixlo_f16 v18, v0, v112, 0 op_sel:[0,1,0] op_sel_hi:[0,1,0]
	v_fma_mixlo_f16 v19, v0, v19, 0 op_sel_hi:[0,1,0]
	v_fma_mixlo_f16 v27, v0, v2, 0 op_sel:[0,1,0] op_sel_hi:[0,1,0]
	v_fma_mixlo_f16 v26, v0, v26, 0 op_sel_hi:[0,1,0]
	v_lshlrev_b32_e32 v12, 16, v12
	v_and_b32_e32 v3, 0xffff, v3
	v_and_b32_e32 v112, 0xffff, v11
	v_lshlrev_b32_e32 v2, 16, v18
	v_and_b32_e32 v19, 0xffff, v19
	v_lshlrev_b32_e32 v0, 16, v27
	v_and_b32_e32 v11, 0xffff, v26
	v_or_b32_e32 v18, v1, v3
	v_or_b32_e32 v29, v12, v112
	;; [unrolled: 1-line block ×4, first 2 shown]
	s_and_saveexec_b32 s15, vcc_lo
	s_cbranch_execz .LBB296_1516
; %bb.1515:                             ;   in Loop: Header=BB296_988 Depth=1
	v_cmp_lt_i32_e64 s4, v55, v28
	v_cndmask_b32_e64 v18, 0, v112, s4
	v_cmp_lt_i32_e64 s4, v83, v28
	v_cndmask_b32_e64 v12, 0, v12, s4
	v_cmp_lt_i32_e64 s4, v82, v28
	v_or_b32_e32 v29, v18, v12
	v_cndmask_b32_e64 v3, 0, v3, s4
	v_cmp_lt_i32_e64 s4, v81, v28
	v_cndmask_b32_e64 v1, 0, v1, s4
	v_cmp_lt_i32_e64 s4, v80, v28
	v_or_b32_e32 v18, v3, v1
	;; [unrolled: 5-line block ×3, first 2 shown]
	v_cndmask_b32_e64 v11, 0, v11, s4
	v_cmp_lt_i32_e64 s4, v31, v28
	v_cndmask_b32_e64 v0, 0, v0, s4
	v_or_b32_e32 v26, v11, v0
.LBB296_1516:                           ;   in Loop: Header=BB296_988 Depth=1
	s_or_b32 exec_lo, exec_lo, s15
	v_add_co_u32 v9, s4, 0x800, v9
	;;#ASMSTART
	v_pk_mul_f16 v0, v68, v29;

	;;#ASMEND
	v_add_co_ci_u32_e64 v10, null, 0, v10, s4
	;;#ASMSTART
	v_pk_mul_f16 v1, v66, v18;

	;;#ASMEND
	;;#ASMSTART
	v_pk_mul_f16 v2, v65, v27;

	;;#ASMEND
	;;#ASMSTART
	v_pk_mul_f16 v3, v64, v26;

	;;#ASMEND
	;;#ASMSTART
	v_pk_add_f16 v0, v0, v1;

	;;#ASMEND
	;;#ASMSTART
	v_pk_add_f16 v0, v0, v2;

	;;#ASMEND
	;; [unrolled: 4-line block ×3, first 2 shown]
	v_lshrrev_b32_e32 v1, 16, v0
	v_and_b32_e32 v0, 0xffff, v0
	;;#ASMSTART
	v_cvt_f32_f16 v112, v0;
	;;#ASMEND
	;;#ASMSTART
	v_cvt_f32_f16 v113, v1;
	;;#ASMEND
	flat_load_dwordx2 v[11:12], v[9:10]
	flat_load_dword v0, v[22:23]
	v_mov_b32_e32 v1, 0
	v_mov_b32_e32 v18, 0
	s_waitcnt vmcnt(1) lgkmcnt(1)
	v_cmp_ne_u16_sdwa s4, v11, v4 src0_sel:BYTE_0 src1_sel:DWORD
	s_and_saveexec_b32 s15, s4
	s_cbranch_execz .LBB296_1524
; %bb.1517:                             ;   in Loop: Header=BB296_988 Depth=1
	v_cmp_ne_u16_sdwa s4, v11, v50 src0_sel:BYTE_0 src1_sel:DWORD
	v_mov_b32_e32 v18, 0x8000
	s_and_saveexec_b32 s18, s4
	s_cbranch_execz .LBB296_1523
; %bb.1518:                             ;   in Loop: Header=BB296_988 Depth=1
	v_and_b32_e32 v19, 0x7f, v11
	v_mov_b32_e32 v18, 0x7c01
	s_mov_b32 s19, exec_lo
	v_cmpx_ne_u32_e32 0x7f, v19
	s_cbranch_execz .LBB296_1522
; %bb.1519:                             ;   in Loop: Header=BB296_988 Depth=1
	v_and_b32_e32 v2, 7, v11
	v_lshrrev_b32_e32 v3, 3, v19
	s_mov_b32 s20, exec_lo
	v_cmpx_gt_u32_e32 8, v19
; %bb.1520:                             ;   in Loop: Header=BB296_988 Depth=1
	v_ffbh_u32_e32 v2, v2
	v_min_u32_e32 v18, 32, v2
	v_subrev_nc_u32_e32 v2, 28, v18
	v_lshlrev_b64 v[2:3], v2, v[11:12]
	v_sub_nc_u32_e32 v3, 29, v18
	v_and_b32_e32 v2, 7, v2
; %bb.1521:                             ;   in Loop: Header=BB296_988 Depth=1
	s_or_b32 exec_lo, exec_lo, s20
	v_lshlrev_b32_e32 v18, 8, v11
	v_lshl_add_u32 v3, v3, 10, 0x2000
	v_lshlrev_b32_e32 v2, 7, v2
	v_and_b32_e32 v18, 0x8000, v18
	v_and_b32_e32 v3, 0xfc00, v3
	v_or3_b32 v18, v18, v3, v2
.LBB296_1522:                           ;   in Loop: Header=BB296_988 Depth=1
	s_or_b32 exec_lo, exec_lo, s19
.LBB296_1523:                           ;   in Loop: Header=BB296_988 Depth=1
	s_or_b32 exec_lo, exec_lo, s18
.LBB296_1524:                           ;   in Loop: Header=BB296_988 Depth=1
	s_or_b32 exec_lo, exec_lo, s15
	v_lshrrev_b16 v3, 8, v11
	s_mov_b32 s15, exec_lo
	v_cmpx_ne_u16_e32 0, v3
	s_cbranch_execz .LBB296_1532
; %bb.1525:                             ;   in Loop: Header=BB296_988 Depth=1
	v_bfrev_b32_e32 v1, 1
	s_mov_b32 s18, exec_lo
	v_cmpx_ne_u16_e32 0x80, v3
	s_cbranch_execz .LBB296_1531
; %bb.1526:                             ;   in Loop: Header=BB296_988 Depth=1
	v_and_b32_sdwa v19, v3, v51 dst_sel:DWORD dst_unused:UNUSED_PAD src0_sel:WORD_0 src1_sel:DWORD
	v_mov_b32_e32 v1, 0x7c010000
	s_mov_b32 s19, exec_lo
	v_cmpx_ne_u32_e32 0x7f, v19
	s_cbranch_execz .LBB296_1530
; %bb.1527:                             ;   in Loop: Header=BB296_988 Depth=1
	v_and_b32_sdwa v1, v3, v52 dst_sel:DWORD dst_unused:UNUSED_PAD src0_sel:WORD_0 src1_sel:DWORD
	v_lshrrev_b32_e32 v2, 3, v19
	s_mov_b32 s20, exec_lo
	v_cmpx_gt_u32_e32 8, v19
; %bb.1528:                             ;   in Loop: Header=BB296_988 Depth=1
	v_ffbh_u32_e32 v1, v1
	v_min_u32_e32 v19, 32, v1
	v_subrev_nc_u32_e32 v1, 28, v19
	v_lshlrev_b64 v[1:2], v1, v[3:4]
	v_sub_nc_u32_e32 v2, 29, v19
	v_and_b32_e32 v1, 7, v1
; %bb.1529:                             ;   in Loop: Header=BB296_988 Depth=1
	s_or_b32 exec_lo, exec_lo, s20
	v_lshlrev_b32_sdwa v3, v53, v3 dst_sel:DWORD dst_unused:UNUSED_PAD src0_sel:DWORD src1_sel:WORD_0
	v_lshl_add_u32 v2, v2, 10, 0x2000
	v_lshlrev_b32_e32 v1, 23, v1
	v_and_or_b32 v2, 0x8000, v3, v2
	v_lshl_or_b32 v1, v2, 16, v1
.LBB296_1530:                           ;   in Loop: Header=BB296_988 Depth=1
	s_or_b32 exec_lo, exec_lo, s19
.LBB296_1531:                           ;   in Loop: Header=BB296_988 Depth=1
	s_or_b32 exec_lo, exec_lo, s18
.LBB296_1532:                           ;   in Loop: Header=BB296_988 Depth=1
	s_or_b32 exec_lo, exec_lo, s15
	v_lshrrev_b32_e32 v2, 16, v11
	v_mov_b32_e32 v19, 0
	v_mov_b32_e32 v26, 0
	v_cmp_ne_u16_sdwa s4, v2, v4 src0_sel:BYTE_0 src1_sel:DWORD
	s_and_saveexec_b32 s15, s4
	s_cbranch_execz .LBB296_1540
; %bb.1533:                             ;   in Loop: Header=BB296_988 Depth=1
	v_cmp_ne_u16_sdwa s4, v2, v50 src0_sel:BYTE_0 src1_sel:DWORD
	v_mov_b32_e32 v26, 0x8000
	s_and_saveexec_b32 s18, s4
	s_cbranch_execz .LBB296_1539
; %bb.1534:                             ;   in Loop: Header=BB296_988 Depth=1
	v_bfe_u32 v27, v11, 16, 7
	v_mov_b32_e32 v26, 0x7c01
	s_mov_b32 s19, exec_lo
	v_cmpx_ne_u32_e32 0x7f, v27
	s_cbranch_execz .LBB296_1538
; %bb.1535:                             ;   in Loop: Header=BB296_988 Depth=1
	v_and_b32_e32 v3, 7, v2
	v_lshrrev_b32_e32 v26, 3, v27
	s_mov_b32 s20, exec_lo
	v_cmpx_gt_u32_e32 8, v27
; %bb.1536:                             ;   in Loop: Header=BB296_988 Depth=1
	v_ffbh_u32_e32 v3, v3
	v_min_u32_e32 v3, 32, v3
	v_subrev_nc_u32_e32 v26, 28, v3
	v_lshlrev_b64 v[114:115], v26, v[2:3]
	v_sub_nc_u32_e32 v26, 29, v3
	v_and_b32_e32 v3, 7, v114
; %bb.1537:                             ;   in Loop: Header=BB296_988 Depth=1
	s_or_b32 exec_lo, exec_lo, s20
	v_lshlrev_b32_e32 v2, 8, v2
	v_lshl_add_u32 v26, v26, 10, 0x2000
	v_lshlrev_b32_e32 v3, 7, v3
	v_and_b32_e32 v2, 0x8000, v2
	v_and_b32_e32 v26, 0xfc00, v26
	v_or3_b32 v26, v2, v26, v3
.LBB296_1538:                           ;   in Loop: Header=BB296_988 Depth=1
	s_or_b32 exec_lo, exec_lo, s19
.LBB296_1539:                           ;   in Loop: Header=BB296_988 Depth=1
	s_or_b32 exec_lo, exec_lo, s18
.LBB296_1540:                           ;   in Loop: Header=BB296_988 Depth=1
	s_or_b32 exec_lo, exec_lo, s15
	s_mov_b32 s15, exec_lo
	v_cmpx_lt_u32_e32 0xffffff, v11
	s_cbranch_execz .LBB296_1548
; %bb.1541:                             ;   in Loop: Header=BB296_988 Depth=1
	v_lshrrev_b32_e32 v3, 24, v11
	v_bfrev_b32_e32 v19, 1
	s_mov_b32 s18, exec_lo
	v_cmpx_ne_u32_e32 0x80, v3
	s_cbranch_execz .LBB296_1547
; %bb.1542:                             ;   in Loop: Header=BB296_988 Depth=1
	v_and_b32_e32 v27, 0x7f, v3
	v_mov_b32_e32 v19, 0x7c010000
	s_mov_b32 s19, exec_lo
	v_cmpx_ne_u32_e32 0x7f, v27
	s_cbranch_execz .LBB296_1546
; %bb.1543:                             ;   in Loop: Header=BB296_988 Depth=1
	v_and_b32_e32 v2, 7, v3
	v_lshrrev_b32_e32 v19, 3, v27
	s_mov_b32 s20, exec_lo
	v_cmpx_gt_u32_e32 8, v27
; %bb.1544:                             ;   in Loop: Header=BB296_988 Depth=1
	v_ffbh_u32_e32 v2, v2
	v_min_u32_e32 v2, 32, v2
	v_subrev_nc_u32_e32 v19, 28, v2
	v_lshlrev_b64 v[114:115], v19, v[3:4]
	v_sub_nc_u32_e32 v19, 29, v2
	v_and_b32_e32 v2, 7, v114
; %bb.1545:                             ;   in Loop: Header=BB296_988 Depth=1
	s_or_b32 exec_lo, exec_lo, s20
	v_lshlrev_b32_e32 v3, 8, v3
	v_lshl_add_u32 v19, v19, 10, 0x2000
	v_lshlrev_b32_e32 v2, 23, v2
	v_and_or_b32 v3, 0x8000, v3, v19
	v_lshl_or_b32 v19, v3, 16, v2
.LBB296_1546:                           ;   in Loop: Header=BB296_988 Depth=1
	s_or_b32 exec_lo, exec_lo, s19
.LBB296_1547:                           ;   in Loop: Header=BB296_988 Depth=1
	s_or_b32 exec_lo, exec_lo, s18
.LBB296_1548:                           ;   in Loop: Header=BB296_988 Depth=1
	s_or_b32 exec_lo, exec_lo, s15
	v_mov_b32_e32 v3, v12
	v_cmp_ne_u16_sdwa s4, v12, v4 src0_sel:BYTE_0 src1_sel:DWORD
	v_mov_b32_e32 v27, 0
	v_mov_b32_e32 v29, 0
	s_and_saveexec_b32 s15, s4
	s_cbranch_execz .LBB296_1556
; %bb.1549:                             ;   in Loop: Header=BB296_988 Depth=1
	v_cmp_ne_u16_sdwa s4, v12, v50 src0_sel:BYTE_0 src1_sel:DWORD
	v_mov_b32_e32 v29, 0x8000
	s_and_saveexec_b32 s18, s4
	s_cbranch_execz .LBB296_1555
; %bb.1550:                             ;   in Loop: Header=BB296_988 Depth=1
	v_and_b32_e32 v114, 0x7f, v12
	v_mov_b32_e32 v29, 0x7c01
	s_mov_b32 s19, exec_lo
	v_cmpx_ne_u32_e32 0x7f, v114
	s_cbranch_execz .LBB296_1554
; %bb.1551:                             ;   in Loop: Header=BB296_988 Depth=1
	v_and_b32_e32 v2, 7, v12
	v_lshrrev_b32_e32 v29, 3, v114
	s_mov_b32 s20, exec_lo
	v_cmpx_gt_u32_e32 8, v114
; %bb.1552:                             ;   in Loop: Header=BB296_988 Depth=1
	v_ffbh_u32_e32 v2, v2
	v_min_u32_e32 v2, 32, v2
	v_subrev_nc_u32_e32 v29, 28, v2
	v_lshlrev_b64 v[114:115], v29, v[3:4]
	v_sub_nc_u32_e32 v29, 29, v2
	v_and_b32_e32 v2, 7, v114
; %bb.1553:                             ;   in Loop: Header=BB296_988 Depth=1
	s_or_b32 exec_lo, exec_lo, s20
	v_lshlrev_b32_e32 v114, 8, v12
	v_lshl_add_u32 v29, v29, 10, 0x2000
	v_lshlrev_b32_e32 v2, 7, v2
	v_and_b32_e32 v114, 0x8000, v114
	v_and_b32_e32 v29, 0xfc00, v29
	v_or3_b32 v29, v114, v29, v2
.LBB296_1554:                           ;   in Loop: Header=BB296_988 Depth=1
	s_or_b32 exec_lo, exec_lo, s19
.LBB296_1555:                           ;   in Loop: Header=BB296_988 Depth=1
	s_or_b32 exec_lo, exec_lo, s18
.LBB296_1556:                           ;   in Loop: Header=BB296_988 Depth=1
	s_or_b32 exec_lo, exec_lo, s15
	v_lshrrev_b16 v3, 8, v3
	v_mov_b32_e32 v114, 0
	s_mov_b32 s15, exec_lo
	v_cmpx_ne_u16_e32 0, v3
	s_cbranch_execz .LBB296_1564
; %bb.1557:                             ;   in Loop: Header=BB296_988 Depth=1
	v_bfrev_b32_e32 v114, 1
	s_mov_b32 s18, exec_lo
	v_cmpx_ne_u16_e32 0x80, v3
	s_cbranch_execz .LBB296_1563
; %bb.1558:                             ;   in Loop: Header=BB296_988 Depth=1
	v_and_b32_sdwa v115, v3, v51 dst_sel:DWORD dst_unused:UNUSED_PAD src0_sel:WORD_0 src1_sel:DWORD
	v_mov_b32_e32 v114, 0x7c010000
	s_mov_b32 s19, exec_lo
	v_cmpx_ne_u32_e32 0x7f, v115
	s_cbranch_execz .LBB296_1562
; %bb.1559:                             ;   in Loop: Header=BB296_988 Depth=1
	v_and_b32_sdwa v2, v3, v52 dst_sel:DWORD dst_unused:UNUSED_PAD src0_sel:WORD_0 src1_sel:DWORD
	v_lshrrev_b32_e32 v114, 3, v115
	s_mov_b32 s20, exec_lo
	v_cmpx_gt_u32_e32 8, v115
; %bb.1560:                             ;   in Loop: Header=BB296_988 Depth=1
	v_ffbh_u32_e32 v2, v2
	v_min_u32_e32 v2, 32, v2
	v_subrev_nc_u32_e32 v114, 28, v2
	v_lshlrev_b64 v[115:116], v114, v[3:4]
	v_sub_nc_u32_e32 v114, 29, v2
	v_and_b32_e32 v2, 7, v115
; %bb.1561:                             ;   in Loop: Header=BB296_988 Depth=1
	s_or_b32 exec_lo, exec_lo, s20
	v_lshlrev_b32_sdwa v3, v53, v3 dst_sel:DWORD dst_unused:UNUSED_PAD src0_sel:DWORD src1_sel:WORD_0
	v_lshl_add_u32 v114, v114, 10, 0x2000
	v_lshlrev_b32_e32 v2, 23, v2
	v_and_or_b32 v3, 0x8000, v3, v114
	v_lshl_or_b32 v114, v3, 16, v2
.LBB296_1562:                           ;   in Loop: Header=BB296_988 Depth=1
	s_or_b32 exec_lo, exec_lo, s19
.LBB296_1563:                           ;   in Loop: Header=BB296_988 Depth=1
	s_or_b32 exec_lo, exec_lo, s18
.LBB296_1564:                           ;   in Loop: Header=BB296_988 Depth=1
	s_or_b32 exec_lo, exec_lo, s15
	v_lshrrev_b32_e32 v2, 16, v12
	v_cmp_ne_u16_sdwa s4, v2, v4 src0_sel:BYTE_0 src1_sel:DWORD
	s_and_saveexec_b32 s15, s4
	s_cbranch_execz .LBB296_1572
; %bb.1565:                             ;   in Loop: Header=BB296_988 Depth=1
	v_cmp_ne_u16_sdwa s4, v2, v50 src0_sel:BYTE_0 src1_sel:DWORD
	v_mov_b32_e32 v27, 0x8000
	s_and_saveexec_b32 s18, s4
	s_cbranch_execz .LBB296_1571
; %bb.1566:                             ;   in Loop: Header=BB296_988 Depth=1
	v_bfe_u32 v115, v12, 16, 7
	v_mov_b32_e32 v27, 0x7c01
	s_mov_b32 s19, exec_lo
	v_cmpx_ne_u32_e32 0x7f, v115
	s_cbranch_execz .LBB296_1570
; %bb.1567:                             ;   in Loop: Header=BB296_988 Depth=1
	v_and_b32_e32 v3, 7, v2
	v_lshrrev_b32_e32 v27, 3, v115
	s_mov_b32 s20, exec_lo
	v_cmpx_gt_u32_e32 8, v115
; %bb.1568:                             ;   in Loop: Header=BB296_988 Depth=1
	v_ffbh_u32_e32 v3, v3
	v_min_u32_e32 v3, 32, v3
	v_subrev_nc_u32_e32 v27, 28, v3
	v_lshlrev_b64 v[115:116], v27, v[2:3]
	v_sub_nc_u32_e32 v27, 29, v3
	v_and_b32_e32 v3, 7, v115
; %bb.1569:                             ;   in Loop: Header=BB296_988 Depth=1
	s_or_b32 exec_lo, exec_lo, s20
	v_lshlrev_b32_e32 v2, 8, v2
	v_lshl_add_u32 v27, v27, 10, 0x2000
	v_lshlrev_b32_e32 v3, 7, v3
	v_and_b32_e32 v2, 0x8000, v2
	v_and_b32_e32 v27, 0xfc00, v27
	v_or3_b32 v27, v2, v27, v3
.LBB296_1570:                           ;   in Loop: Header=BB296_988 Depth=1
	s_or_b32 exec_lo, exec_lo, s19
.LBB296_1571:                           ;   in Loop: Header=BB296_988 Depth=1
	s_or_b32 exec_lo, exec_lo, s18
.LBB296_1572:                           ;   in Loop: Header=BB296_988 Depth=1
	s_or_b32 exec_lo, exec_lo, s15
	v_mov_b32_e32 v2, 0
	s_mov_b32 s15, exec_lo
	v_cmpx_lt_u64_e64 s[6:7], v[11:12]
	s_cbranch_execz .LBB296_1580
; %bb.1573:                             ;   in Loop: Header=BB296_988 Depth=1
	v_lshrrev_b32_e32 v3, 24, v12
	v_bfrev_b32_e32 v2, 1
	s_mov_b32 s18, exec_lo
	v_cmpx_ne_u32_e32 0x80, v3
	s_cbranch_execz .LBB296_1579
; %bb.1574:                             ;   in Loop: Header=BB296_988 Depth=1
	v_and_b32_e32 v12, 0x7f, v3
	v_mov_b32_e32 v2, 0x7c010000
	s_mov_b32 s19, exec_lo
	v_cmpx_ne_u32_e32 0x7f, v12
	s_cbranch_execz .LBB296_1578
; %bb.1575:                             ;   in Loop: Header=BB296_988 Depth=1
	v_and_b32_e32 v2, 7, v3
	v_lshrrev_b32_e32 v11, 3, v12
	s_mov_b32 s20, exec_lo
	v_cmpx_gt_u32_e32 8, v12
; %bb.1576:                             ;   in Loop: Header=BB296_988 Depth=1
	v_ffbh_u32_e32 v2, v2
	v_min_u32_e32 v2, 32, v2
	v_subrev_nc_u32_e32 v11, 28, v2
	v_lshlrev_b64 v[115:116], v11, v[3:4]
	v_sub_nc_u32_e32 v11, 29, v2
	v_and_b32_e32 v2, 7, v115
; %bb.1577:                             ;   in Loop: Header=BB296_988 Depth=1
	s_or_b32 exec_lo, exec_lo, s20
	v_lshlrev_b32_e32 v3, 8, v3
	v_lshl_add_u32 v11, v11, 10, 0x2000
	v_lshlrev_b32_e32 v2, 23, v2
	v_and_or_b32 v3, 0x8000, v3, v11
	v_lshl_or_b32 v2, v3, 16, v2
.LBB296_1578:                           ;   in Loop: Header=BB296_988 Depth=1
	s_or_b32 exec_lo, exec_lo, s19
.LBB296_1579:                           ;   in Loop: Header=BB296_988 Depth=1
	s_or_b32 exec_lo, exec_lo, s18
.LBB296_1580:                           ;   in Loop: Header=BB296_988 Depth=1
	s_or_b32 exec_lo, exec_lo, s15
	v_or_b32_e32 v3, v19, v26
	s_waitcnt vmcnt(0) lgkmcnt(0)
	v_fma_mixlo_f16 v11, v0, v19, 0 op_sel:[0,1,0] op_sel_hi:[0,1,0]
	v_or_b32_e32 v18, v1, v18
	v_or_b32_e32 v19, v114, v29
	;; [unrolled: 1-line block ×3, first 2 shown]
	v_fma_mixlo_f16 v12, v0, v1, 0 op_sel:[0,1,0] op_sel_hi:[0,1,0]
	v_fma_mixlo_f16 v3, v0, v3, 0 op_sel_hi:[0,1,0]
	v_lshlrev_b32_e32 v1, 16, v11
	v_fma_mixlo_f16 v11, v0, v18, 0 op_sel_hi:[0,1,0]
	v_fma_mixlo_f16 v18, v0, v114, 0 op_sel:[0,1,0] op_sel_hi:[0,1,0]
	v_fma_mixlo_f16 v19, v0, v19, 0 op_sel_hi:[0,1,0]
	v_fma_mixlo_f16 v27, v0, v2, 0 op_sel:[0,1,0] op_sel_hi:[0,1,0]
	v_fma_mixlo_f16 v26, v0, v26, 0 op_sel_hi:[0,1,0]
	v_lshlrev_b32_e32 v12, 16, v12
	v_and_b32_e32 v3, 0xffff, v3
	v_and_b32_e32 v114, 0xffff, v11
	v_lshlrev_b32_e32 v2, 16, v18
	v_and_b32_e32 v19, 0xffff, v19
	v_lshlrev_b32_e32 v0, 16, v27
	v_and_b32_e32 v11, 0xffff, v26
	v_or_b32_e32 v18, v1, v3
	v_or_b32_e32 v29, v12, v114
	;; [unrolled: 1-line block ×4, first 2 shown]
	s_and_saveexec_b32 s15, vcc_lo
	s_cbranch_execz .LBB296_1582
; %bb.1581:                             ;   in Loop: Header=BB296_988 Depth=1
	v_cmp_lt_i32_e64 s4, v55, v28
	v_cndmask_b32_e64 v18, 0, v114, s4
	v_cmp_lt_i32_e64 s4, v83, v28
	v_cndmask_b32_e64 v12, 0, v12, s4
	v_cmp_lt_i32_e64 s4, v82, v28
	v_or_b32_e32 v29, v18, v12
	v_cndmask_b32_e64 v3, 0, v3, s4
	v_cmp_lt_i32_e64 s4, v81, v28
	v_cndmask_b32_e64 v1, 0, v1, s4
	v_cmp_lt_i32_e64 s4, v80, v28
	v_or_b32_e32 v18, v3, v1
	;; [unrolled: 5-line block ×3, first 2 shown]
	v_cndmask_b32_e64 v11, 0, v11, s4
	v_cmp_lt_i32_e64 s4, v31, v28
	v_cndmask_b32_e64 v0, 0, v0, s4
	v_or_b32_e32 v26, v11, v0
.LBB296_1582:                           ;   in Loop: Header=BB296_988 Depth=1
	s_or_b32 exec_lo, exec_lo, s15
	;;#ASMSTART
	v_pk_mul_f16 v0, v68, v29;

	;;#ASMEND
	;;#ASMSTART
	v_pk_mul_f16 v1, v66, v18;

	;;#ASMEND
	;; [unrolled: 4-line block ×4, first 2 shown]
	;;#ASMSTART
	v_pk_add_f16 v0, v0, v1;

	;;#ASMEND
	;;#ASMSTART
	v_pk_add_f16 v0, v0, v2;

	;;#ASMEND
	;;#ASMSTART
	v_pk_add_f16 v0, v0, v3;

	;;#ASMEND
	v_and_b32_e32 v1, 0xffff, v0
	v_lshrrev_b32_e32 v2, 16, v0
	;;#ASMSTART
	v_cvt_f32_f16 v0, v1;
	;;#ASMEND
	;;#ASMSTART
	v_cvt_f32_f16 v1, v2;
	;;#ASMEND
	flat_load_dwordx2 v[11:12], v[9:10] offset:256
	flat_load_dword v18, v[22:23]
	v_mov_b32_e32 v19, 0
	v_mov_b32_e32 v26, 0
	s_waitcnt vmcnt(1) lgkmcnt(1)
	v_cmp_ne_u16_sdwa s4, v11, v4 src0_sel:BYTE_0 src1_sel:DWORD
	s_and_saveexec_b32 s15, s4
	s_cbranch_execz .LBB296_1590
; %bb.1583:                             ;   in Loop: Header=BB296_988 Depth=1
	v_cmp_ne_u16_sdwa s4, v11, v50 src0_sel:BYTE_0 src1_sel:DWORD
	v_mov_b32_e32 v26, 0x8000
	s_and_saveexec_b32 s18, s4
	s_cbranch_execz .LBB296_1589
; %bb.1584:                             ;   in Loop: Header=BB296_988 Depth=1
	v_and_b32_e32 v27, 0x7f, v11
	v_mov_b32_e32 v26, 0x7c01
	s_mov_b32 s19, exec_lo
	v_cmpx_ne_u32_e32 0x7f, v27
	s_cbranch_execz .LBB296_1588
; %bb.1585:                             ;   in Loop: Header=BB296_988 Depth=1
	v_and_b32_e32 v2, 7, v11
	v_lshrrev_b32_e32 v3, 3, v27
	s_mov_b32 s20, exec_lo
	v_cmpx_gt_u32_e32 8, v27
; %bb.1586:                             ;   in Loop: Header=BB296_988 Depth=1
	v_ffbh_u32_e32 v2, v2
	v_min_u32_e32 v26, 32, v2
	v_subrev_nc_u32_e32 v2, 28, v26
	v_lshlrev_b64 v[2:3], v2, v[11:12]
	v_sub_nc_u32_e32 v3, 29, v26
	v_and_b32_e32 v2, 7, v2
; %bb.1587:                             ;   in Loop: Header=BB296_988 Depth=1
	s_or_b32 exec_lo, exec_lo, s20
	v_lshlrev_b32_e32 v26, 8, v11
	v_lshl_add_u32 v3, v3, 10, 0x2000
	v_lshlrev_b32_e32 v2, 7, v2
	v_and_b32_e32 v26, 0x8000, v26
	v_and_b32_e32 v3, 0xfc00, v3
	v_or3_b32 v26, v26, v3, v2
.LBB296_1588:                           ;   in Loop: Header=BB296_988 Depth=1
	s_or_b32 exec_lo, exec_lo, s19
.LBB296_1589:                           ;   in Loop: Header=BB296_988 Depth=1
	s_or_b32 exec_lo, exec_lo, s18
.LBB296_1590:                           ;   in Loop: Header=BB296_988 Depth=1
	s_or_b32 exec_lo, exec_lo, s15
	v_lshrrev_b16 v3, 8, v11
	s_mov_b32 s15, exec_lo
	v_cmpx_ne_u16_e32 0, v3
	s_cbranch_execz .LBB296_1598
; %bb.1591:                             ;   in Loop: Header=BB296_988 Depth=1
	v_bfrev_b32_e32 v19, 1
	s_mov_b32 s18, exec_lo
	v_cmpx_ne_u16_e32 0x80, v3
	s_cbranch_execz .LBB296_1597
; %bb.1592:                             ;   in Loop: Header=BB296_988 Depth=1
	v_and_b32_sdwa v27, v3, v51 dst_sel:DWORD dst_unused:UNUSED_PAD src0_sel:WORD_0 src1_sel:DWORD
	v_mov_b32_e32 v19, 0x7c010000
	s_mov_b32 s19, exec_lo
	v_cmpx_ne_u32_e32 0x7f, v27
	s_cbranch_execz .LBB296_1596
; %bb.1593:                             ;   in Loop: Header=BB296_988 Depth=1
	v_and_b32_sdwa v2, v3, v52 dst_sel:DWORD dst_unused:UNUSED_PAD src0_sel:WORD_0 src1_sel:DWORD
	v_lshrrev_b32_e32 v19, 3, v27
	s_mov_b32 s20, exec_lo
	v_cmpx_gt_u32_e32 8, v27
; %bb.1594:                             ;   in Loop: Header=BB296_988 Depth=1
	v_ffbh_u32_e32 v2, v2
	v_min_u32_e32 v2, 32, v2
	v_subrev_nc_u32_e32 v19, 28, v2
	v_lshlrev_b64 v[114:115], v19, v[3:4]
	v_sub_nc_u32_e32 v19, 29, v2
	v_and_b32_e32 v2, 7, v114
; %bb.1595:                             ;   in Loop: Header=BB296_988 Depth=1
	s_or_b32 exec_lo, exec_lo, s20
	v_lshlrev_b32_sdwa v3, v53, v3 dst_sel:DWORD dst_unused:UNUSED_PAD src0_sel:DWORD src1_sel:WORD_0
	v_lshl_add_u32 v19, v19, 10, 0x2000
	v_lshlrev_b32_e32 v2, 23, v2
	v_and_or_b32 v3, 0x8000, v3, v19
	v_lshl_or_b32 v19, v3, 16, v2
.LBB296_1596:                           ;   in Loop: Header=BB296_988 Depth=1
	s_or_b32 exec_lo, exec_lo, s19
.LBB296_1597:                           ;   in Loop: Header=BB296_988 Depth=1
	s_or_b32 exec_lo, exec_lo, s18
.LBB296_1598:                           ;   in Loop: Header=BB296_988 Depth=1
	s_or_b32 exec_lo, exec_lo, s15
	v_lshrrev_b32_e32 v2, 16, v11
	v_mov_b32_e32 v27, 0
	v_mov_b32_e32 v29, 0
	v_cmp_ne_u16_sdwa s4, v2, v4 src0_sel:BYTE_0 src1_sel:DWORD
	s_and_saveexec_b32 s15, s4
	s_cbranch_execz .LBB296_1606
; %bb.1599:                             ;   in Loop: Header=BB296_988 Depth=1
	v_cmp_ne_u16_sdwa s4, v2, v50 src0_sel:BYTE_0 src1_sel:DWORD
	v_mov_b32_e32 v29, 0x8000
	s_and_saveexec_b32 s18, s4
	s_cbranch_execz .LBB296_1605
; %bb.1600:                             ;   in Loop: Header=BB296_988 Depth=1
	v_bfe_u32 v114, v11, 16, 7
	v_mov_b32_e32 v29, 0x7c01
	s_mov_b32 s19, exec_lo
	v_cmpx_ne_u32_e32 0x7f, v114
	s_cbranch_execz .LBB296_1604
; %bb.1601:                             ;   in Loop: Header=BB296_988 Depth=1
	v_and_b32_e32 v3, 7, v2
	v_lshrrev_b32_e32 v29, 3, v114
	s_mov_b32 s20, exec_lo
	v_cmpx_gt_u32_e32 8, v114
; %bb.1602:                             ;   in Loop: Header=BB296_988 Depth=1
	v_ffbh_u32_e32 v3, v3
	v_min_u32_e32 v3, 32, v3
	v_subrev_nc_u32_e32 v29, 28, v3
	v_lshlrev_b64 v[114:115], v29, v[2:3]
	v_sub_nc_u32_e32 v29, 29, v3
	v_and_b32_e32 v3, 7, v114
; %bb.1603:                             ;   in Loop: Header=BB296_988 Depth=1
	s_or_b32 exec_lo, exec_lo, s20
	v_lshlrev_b32_e32 v2, 8, v2
	v_lshl_add_u32 v29, v29, 10, 0x2000
	v_lshlrev_b32_e32 v3, 7, v3
	v_and_b32_e32 v2, 0x8000, v2
	v_and_b32_e32 v29, 0xfc00, v29
	v_or3_b32 v29, v2, v29, v3
.LBB296_1604:                           ;   in Loop: Header=BB296_988 Depth=1
	s_or_b32 exec_lo, exec_lo, s19
.LBB296_1605:                           ;   in Loop: Header=BB296_988 Depth=1
	s_or_b32 exec_lo, exec_lo, s18
.LBB296_1606:                           ;   in Loop: Header=BB296_988 Depth=1
	s_or_b32 exec_lo, exec_lo, s15
	s_mov_b32 s15, exec_lo
	v_cmpx_lt_u32_e32 0xffffff, v11
	s_cbranch_execz .LBB296_1614
; %bb.1607:                             ;   in Loop: Header=BB296_988 Depth=1
	v_lshrrev_b32_e32 v3, 24, v11
	v_bfrev_b32_e32 v27, 1
	s_mov_b32 s18, exec_lo
	v_cmpx_ne_u32_e32 0x80, v3
	s_cbranch_execz .LBB296_1613
; %bb.1608:                             ;   in Loop: Header=BB296_988 Depth=1
	v_and_b32_e32 v114, 0x7f, v3
	v_mov_b32_e32 v27, 0x7c010000
	s_mov_b32 s19, exec_lo
	v_cmpx_ne_u32_e32 0x7f, v114
	s_cbranch_execz .LBB296_1612
; %bb.1609:                             ;   in Loop: Header=BB296_988 Depth=1
	v_and_b32_e32 v2, 7, v3
	v_lshrrev_b32_e32 v27, 3, v114
	s_mov_b32 s20, exec_lo
	v_cmpx_gt_u32_e32 8, v114
; %bb.1610:                             ;   in Loop: Header=BB296_988 Depth=1
	v_ffbh_u32_e32 v2, v2
	v_min_u32_e32 v2, 32, v2
	v_subrev_nc_u32_e32 v27, 28, v2
	v_lshlrev_b64 v[114:115], v27, v[3:4]
	v_sub_nc_u32_e32 v27, 29, v2
	v_and_b32_e32 v2, 7, v114
; %bb.1611:                             ;   in Loop: Header=BB296_988 Depth=1
	s_or_b32 exec_lo, exec_lo, s20
	v_lshlrev_b32_e32 v3, 8, v3
	v_lshl_add_u32 v27, v27, 10, 0x2000
	v_lshlrev_b32_e32 v2, 23, v2
	v_and_or_b32 v3, 0x8000, v3, v27
	v_lshl_or_b32 v27, v3, 16, v2
.LBB296_1612:                           ;   in Loop: Header=BB296_988 Depth=1
	s_or_b32 exec_lo, exec_lo, s19
.LBB296_1613:                           ;   in Loop: Header=BB296_988 Depth=1
	s_or_b32 exec_lo, exec_lo, s18
.LBB296_1614:                           ;   in Loop: Header=BB296_988 Depth=1
	s_or_b32 exec_lo, exec_lo, s15
	v_mov_b32_e32 v3, v12
	v_cmp_ne_u16_sdwa s4, v12, v4 src0_sel:BYTE_0 src1_sel:DWORD
	v_mov_b32_e32 v114, 0
	v_mov_b32_e32 v115, 0
	s_and_saveexec_b32 s15, s4
	s_cbranch_execz .LBB296_1622
; %bb.1615:                             ;   in Loop: Header=BB296_988 Depth=1
	v_cmp_ne_u16_sdwa s4, v12, v50 src0_sel:BYTE_0 src1_sel:DWORD
	v_mov_b32_e32 v115, 0x8000
	s_and_saveexec_b32 s18, s4
	s_cbranch_execz .LBB296_1621
; %bb.1616:                             ;   in Loop: Header=BB296_988 Depth=1
	v_and_b32_e32 v116, 0x7f, v12
	v_mov_b32_e32 v115, 0x7c01
	s_mov_b32 s19, exec_lo
	v_cmpx_ne_u32_e32 0x7f, v116
	s_cbranch_execz .LBB296_1620
; %bb.1617:                             ;   in Loop: Header=BB296_988 Depth=1
	v_and_b32_e32 v2, 7, v12
	v_lshrrev_b32_e32 v115, 3, v116
	s_mov_b32 s20, exec_lo
	v_cmpx_gt_u32_e32 8, v116
; %bb.1618:                             ;   in Loop: Header=BB296_988 Depth=1
	v_ffbh_u32_e32 v2, v2
	v_min_u32_e32 v2, 32, v2
	v_subrev_nc_u32_e32 v115, 28, v2
	v_lshlrev_b64 v[116:117], v115, v[3:4]
	v_sub_nc_u32_e32 v115, 29, v2
	v_and_b32_e32 v2, 7, v116
; %bb.1619:                             ;   in Loop: Header=BB296_988 Depth=1
	s_or_b32 exec_lo, exec_lo, s20
	v_lshlrev_b32_e32 v116, 8, v12
	v_lshl_add_u32 v115, v115, 10, 0x2000
	v_lshlrev_b32_e32 v2, 7, v2
	v_and_b32_e32 v116, 0x8000, v116
	v_and_b32_e32 v115, 0xfc00, v115
	v_or3_b32 v115, v116, v115, v2
.LBB296_1620:                           ;   in Loop: Header=BB296_988 Depth=1
	s_or_b32 exec_lo, exec_lo, s19
.LBB296_1621:                           ;   in Loop: Header=BB296_988 Depth=1
	s_or_b32 exec_lo, exec_lo, s18
.LBB296_1622:                           ;   in Loop: Header=BB296_988 Depth=1
	s_or_b32 exec_lo, exec_lo, s15
	v_lshrrev_b16 v3, 8, v3
	v_mov_b32_e32 v116, 0
	s_mov_b32 s15, exec_lo
	v_cmpx_ne_u16_e32 0, v3
	s_cbranch_execz .LBB296_1630
; %bb.1623:                             ;   in Loop: Header=BB296_988 Depth=1
	v_bfrev_b32_e32 v116, 1
	s_mov_b32 s18, exec_lo
	v_cmpx_ne_u16_e32 0x80, v3
	s_cbranch_execz .LBB296_1629
; %bb.1624:                             ;   in Loop: Header=BB296_988 Depth=1
	v_and_b32_sdwa v117, v3, v51 dst_sel:DWORD dst_unused:UNUSED_PAD src0_sel:WORD_0 src1_sel:DWORD
	v_mov_b32_e32 v116, 0x7c010000
	s_mov_b32 s19, exec_lo
	v_cmpx_ne_u32_e32 0x7f, v117
	s_cbranch_execz .LBB296_1628
; %bb.1625:                             ;   in Loop: Header=BB296_988 Depth=1
	v_and_b32_sdwa v2, v3, v52 dst_sel:DWORD dst_unused:UNUSED_PAD src0_sel:WORD_0 src1_sel:DWORD
	v_lshrrev_b32_e32 v116, 3, v117
	s_mov_b32 s20, exec_lo
	v_cmpx_gt_u32_e32 8, v117
; %bb.1626:                             ;   in Loop: Header=BB296_988 Depth=1
	v_ffbh_u32_e32 v2, v2
	v_min_u32_e32 v2, 32, v2
	v_subrev_nc_u32_e32 v116, 28, v2
	v_lshlrev_b64 v[117:118], v116, v[3:4]
	v_sub_nc_u32_e32 v116, 29, v2
	v_and_b32_e32 v2, 7, v117
; %bb.1627:                             ;   in Loop: Header=BB296_988 Depth=1
	s_or_b32 exec_lo, exec_lo, s20
	v_lshlrev_b32_sdwa v3, v53, v3 dst_sel:DWORD dst_unused:UNUSED_PAD src0_sel:DWORD src1_sel:WORD_0
	v_lshl_add_u32 v116, v116, 10, 0x2000
	v_lshlrev_b32_e32 v2, 23, v2
	v_and_or_b32 v3, 0x8000, v3, v116
	v_lshl_or_b32 v116, v3, 16, v2
.LBB296_1628:                           ;   in Loop: Header=BB296_988 Depth=1
	s_or_b32 exec_lo, exec_lo, s19
.LBB296_1629:                           ;   in Loop: Header=BB296_988 Depth=1
	s_or_b32 exec_lo, exec_lo, s18
.LBB296_1630:                           ;   in Loop: Header=BB296_988 Depth=1
	s_or_b32 exec_lo, exec_lo, s15
	v_lshrrev_b32_e32 v2, 16, v12
	v_cmp_ne_u16_sdwa s4, v2, v4 src0_sel:BYTE_0 src1_sel:DWORD
	s_and_saveexec_b32 s15, s4
	s_cbranch_execz .LBB296_1638
; %bb.1631:                             ;   in Loop: Header=BB296_988 Depth=1
	v_cmp_ne_u16_sdwa s4, v2, v50 src0_sel:BYTE_0 src1_sel:DWORD
	v_mov_b32_e32 v114, 0x8000
	s_and_saveexec_b32 s18, s4
	s_cbranch_execz .LBB296_1637
; %bb.1632:                             ;   in Loop: Header=BB296_988 Depth=1
	v_bfe_u32 v117, v12, 16, 7
	v_mov_b32_e32 v114, 0x7c01
	s_mov_b32 s19, exec_lo
	v_cmpx_ne_u32_e32 0x7f, v117
	s_cbranch_execz .LBB296_1636
; %bb.1633:                             ;   in Loop: Header=BB296_988 Depth=1
	v_and_b32_e32 v3, 7, v2
	v_lshrrev_b32_e32 v114, 3, v117
	s_mov_b32 s20, exec_lo
	v_cmpx_gt_u32_e32 8, v117
; %bb.1634:                             ;   in Loop: Header=BB296_988 Depth=1
	v_ffbh_u32_e32 v3, v3
	v_min_u32_e32 v3, 32, v3
	v_subrev_nc_u32_e32 v114, 28, v3
	v_lshlrev_b64 v[117:118], v114, v[2:3]
	v_sub_nc_u32_e32 v114, 29, v3
	v_and_b32_e32 v3, 7, v117
; %bb.1635:                             ;   in Loop: Header=BB296_988 Depth=1
	s_or_b32 exec_lo, exec_lo, s20
	v_lshlrev_b32_e32 v2, 8, v2
	v_lshl_add_u32 v114, v114, 10, 0x2000
	v_lshlrev_b32_e32 v3, 7, v3
	v_and_b32_e32 v2, 0x8000, v2
	v_and_b32_e32 v114, 0xfc00, v114
	v_or3_b32 v114, v2, v114, v3
.LBB296_1636:                           ;   in Loop: Header=BB296_988 Depth=1
	s_or_b32 exec_lo, exec_lo, s19
.LBB296_1637:                           ;   in Loop: Header=BB296_988 Depth=1
	s_or_b32 exec_lo, exec_lo, s18
.LBB296_1638:                           ;   in Loop: Header=BB296_988 Depth=1
	s_or_b32 exec_lo, exec_lo, s15
	v_mov_b32_e32 v2, 0
	s_mov_b32 s15, exec_lo
	v_cmpx_lt_u64_e64 s[6:7], v[11:12]
	s_cbranch_execz .LBB296_1646
; %bb.1639:                             ;   in Loop: Header=BB296_988 Depth=1
	v_lshrrev_b32_e32 v3, 24, v12
	v_bfrev_b32_e32 v2, 1
	s_mov_b32 s18, exec_lo
	v_cmpx_ne_u32_e32 0x80, v3
	s_cbranch_execz .LBB296_1645
; %bb.1640:                             ;   in Loop: Header=BB296_988 Depth=1
	v_and_b32_e32 v12, 0x7f, v3
	v_mov_b32_e32 v2, 0x7c010000
	s_mov_b32 s19, exec_lo
	v_cmpx_ne_u32_e32 0x7f, v12
	s_cbranch_execz .LBB296_1644
; %bb.1641:                             ;   in Loop: Header=BB296_988 Depth=1
	v_and_b32_e32 v2, 7, v3
	v_lshrrev_b32_e32 v11, 3, v12
	s_mov_b32 s20, exec_lo
	v_cmpx_gt_u32_e32 8, v12
; %bb.1642:                             ;   in Loop: Header=BB296_988 Depth=1
	v_ffbh_u32_e32 v2, v2
	v_min_u32_e32 v2, 32, v2
	v_subrev_nc_u32_e32 v11, 28, v2
	v_lshlrev_b64 v[117:118], v11, v[3:4]
	v_sub_nc_u32_e32 v11, 29, v2
	v_and_b32_e32 v2, 7, v117
; %bb.1643:                             ;   in Loop: Header=BB296_988 Depth=1
	s_or_b32 exec_lo, exec_lo, s20
	v_lshlrev_b32_e32 v3, 8, v3
	v_lshl_add_u32 v11, v11, 10, 0x2000
	v_lshlrev_b32_e32 v2, 23, v2
	v_and_or_b32 v3, 0x8000, v3, v11
	v_lshl_or_b32 v2, v3, 16, v2
.LBB296_1644:                           ;   in Loop: Header=BB296_988 Depth=1
	s_or_b32 exec_lo, exec_lo, s19
.LBB296_1645:                           ;   in Loop: Header=BB296_988 Depth=1
	s_or_b32 exec_lo, exec_lo, s18
.LBB296_1646:                           ;   in Loop: Header=BB296_988 Depth=1
	s_or_b32 exec_lo, exec_lo, s15
	v_or_b32_e32 v3, v27, v29
	s_waitcnt vmcnt(0) lgkmcnt(0)
	v_fma_mixlo_f16 v11, v18, v27, 0 op_sel:[0,1,0] op_sel_hi:[0,1,0]
	v_or_b32_e32 v12, v19, v26
	v_or_b32_e32 v26, v116, v115
	;; [unrolled: 1-line block ×3, first 2 shown]
	v_fma_mixlo_f16 v27, v18, v3, 0 op_sel_hi:[0,1,0]
	v_fma_mixlo_f16 v19, v18, v19, 0 op_sel:[0,1,0] op_sel_hi:[0,1,0]
	v_lshlrev_b32_e32 v3, 16, v11
	v_fma_mixlo_f16 v12, v18, v12, 0 op_sel_hi:[0,1,0]
	v_fma_mixlo_f16 v26, v18, v26, 0 op_sel_hi:[0,1,0]
	v_and_b32_e32 v11, 0xffff, v27
	v_fma_mixlo_f16 v27, v18, v116, 0 op_sel:[0,1,0] op_sel_hi:[0,1,0]
	v_fma_mixlo_f16 v2, v18, v2, 0 op_sel:[0,1,0] op_sel_hi:[0,1,0]
	v_fma_mixlo_f16 v18, v18, v29, 0 op_sel_hi:[0,1,0]
	v_lshlrev_b32_e32 v19, 16, v19
	v_and_b32_e32 v116, 0xffff, v12
	v_lshlrev_b32_e32 v12, 16, v27
	v_and_b32_e32 v27, 0xffff, v26
	;; [unrolled: 2-line block ×3, first 2 shown]
	v_or_b32_e32 v26, v3, v11
	v_or_b32_e32 v115, v19, v116
	;; [unrolled: 1-line block ×4, first 2 shown]
	s_and_saveexec_b32 s15, vcc_lo
	s_cbranch_execz .LBB296_1648
; %bb.1647:                             ;   in Loop: Header=BB296_988 Depth=1
	v_cmp_lt_i32_e64 s4, v55, v28
	v_cndmask_b32_e64 v26, 0, v116, s4
	v_cmp_lt_i32_e64 s4, v83, v28
	v_cndmask_b32_e64 v19, 0, v19, s4
	v_cmp_lt_i32_e64 s4, v82, v28
	v_or_b32_e32 v115, v26, v19
	v_cndmask_b32_e64 v11, 0, v11, s4
	v_cmp_lt_i32_e64 s4, v81, v28
	v_cndmask_b32_e64 v3, 0, v3, s4
	v_cmp_lt_i32_e64 s4, v80, v28
	v_or_b32_e32 v26, v11, v3
	;; [unrolled: 5-line block ×3, first 2 shown]
	v_cndmask_b32_e64 v18, 0, v18, s4
	v_cmp_lt_i32_e64 s4, v31, v28
	v_cndmask_b32_e64 v2, 0, v2, s4
	v_or_b32_e32 v29, v18, v2
.LBB296_1648:                           ;   in Loop: Header=BB296_988 Depth=1
	s_or_b32 exec_lo, exec_lo, s15
	;;#ASMSTART
	v_pk_mul_f16 v2, v68, v115;

	;;#ASMEND
	;;#ASMSTART
	v_pk_mul_f16 v3, v66, v26;

	;;#ASMEND
	;; [unrolled: 4-line block ×4, first 2 shown]
	;;#ASMSTART
	v_pk_add_f16 v2, v2, v3;

	;;#ASMEND
	;;#ASMSTART
	v_pk_add_f16 v2, v2, v11;

	;;#ASMEND
	;; [unrolled: 4-line block ×3, first 2 shown]
	v_and_b32_e32 v3, 0xffff, v2
	v_lshrrev_b32_e32 v2, 16, v2
	;;#ASMSTART
	v_cvt_f32_f16 v18, v3;
	;;#ASMEND
	;;#ASMSTART
	v_cvt_f32_f16 v19, v2;
	;;#ASMEND
	flat_load_dwordx2 v[11:12], v[9:10] offset:512
	flat_load_dword v26, v[22:23]
	v_mov_b32_e32 v27, 0
	v_mov_b32_e32 v29, 0
	s_waitcnt vmcnt(1) lgkmcnt(1)
	v_cmp_ne_u16_sdwa s4, v11, v4 src0_sel:BYTE_0 src1_sel:DWORD
	s_and_saveexec_b32 s15, s4
	s_cbranch_execz .LBB296_1656
; %bb.1649:                             ;   in Loop: Header=BB296_988 Depth=1
	v_cmp_ne_u16_sdwa s4, v11, v50 src0_sel:BYTE_0 src1_sel:DWORD
	v_mov_b32_e32 v29, 0x8000
	s_and_saveexec_b32 s18, s4
	s_cbranch_execz .LBB296_1655
; %bb.1650:                             ;   in Loop: Header=BB296_988 Depth=1
	v_and_b32_e32 v114, 0x7f, v11
	v_mov_b32_e32 v29, 0x7c01
	s_mov_b32 s19, exec_lo
	v_cmpx_ne_u32_e32 0x7f, v114
	s_cbranch_execz .LBB296_1654
; %bb.1651:                             ;   in Loop: Header=BB296_988 Depth=1
	v_and_b32_e32 v2, 7, v11
	v_lshrrev_b32_e32 v3, 3, v114
	s_mov_b32 s20, exec_lo
	v_cmpx_gt_u32_e32 8, v114
; %bb.1652:                             ;   in Loop: Header=BB296_988 Depth=1
	v_ffbh_u32_e32 v2, v2
	v_min_u32_e32 v29, 32, v2
	v_subrev_nc_u32_e32 v2, 28, v29
	v_lshlrev_b64 v[2:3], v2, v[11:12]
	v_sub_nc_u32_e32 v3, 29, v29
	v_and_b32_e32 v2, 7, v2
; %bb.1653:                             ;   in Loop: Header=BB296_988 Depth=1
	s_or_b32 exec_lo, exec_lo, s20
	v_lshlrev_b32_e32 v29, 8, v11
	v_lshl_add_u32 v3, v3, 10, 0x2000
	v_lshlrev_b32_e32 v2, 7, v2
	v_and_b32_e32 v29, 0x8000, v29
	v_and_b32_e32 v3, 0xfc00, v3
	v_or3_b32 v29, v29, v3, v2
.LBB296_1654:                           ;   in Loop: Header=BB296_988 Depth=1
	s_or_b32 exec_lo, exec_lo, s19
.LBB296_1655:                           ;   in Loop: Header=BB296_988 Depth=1
	s_or_b32 exec_lo, exec_lo, s18
.LBB296_1656:                           ;   in Loop: Header=BB296_988 Depth=1
	s_or_b32 exec_lo, exec_lo, s15
	v_lshrrev_b16 v3, 8, v11
	s_mov_b32 s15, exec_lo
	v_cmpx_ne_u16_e32 0, v3
	s_cbranch_execz .LBB296_1664
; %bb.1657:                             ;   in Loop: Header=BB296_988 Depth=1
	v_bfrev_b32_e32 v27, 1
	s_mov_b32 s18, exec_lo
	v_cmpx_ne_u16_e32 0x80, v3
	s_cbranch_execz .LBB296_1663
; %bb.1658:                             ;   in Loop: Header=BB296_988 Depth=1
	v_and_b32_sdwa v114, v3, v51 dst_sel:DWORD dst_unused:UNUSED_PAD src0_sel:WORD_0 src1_sel:DWORD
	v_mov_b32_e32 v27, 0x7c010000
	s_mov_b32 s19, exec_lo
	v_cmpx_ne_u32_e32 0x7f, v114
	s_cbranch_execz .LBB296_1662
; %bb.1659:                             ;   in Loop: Header=BB296_988 Depth=1
	v_and_b32_sdwa v2, v3, v52 dst_sel:DWORD dst_unused:UNUSED_PAD src0_sel:WORD_0 src1_sel:DWORD
	v_lshrrev_b32_e32 v27, 3, v114
	s_mov_b32 s20, exec_lo
	v_cmpx_gt_u32_e32 8, v114
; %bb.1660:                             ;   in Loop: Header=BB296_988 Depth=1
	v_ffbh_u32_e32 v2, v2
	v_min_u32_e32 v2, 32, v2
	v_subrev_nc_u32_e32 v27, 28, v2
	v_lshlrev_b64 v[114:115], v27, v[3:4]
	v_sub_nc_u32_e32 v27, 29, v2
	v_and_b32_e32 v2, 7, v114
; %bb.1661:                             ;   in Loop: Header=BB296_988 Depth=1
	s_or_b32 exec_lo, exec_lo, s20
	v_lshlrev_b32_sdwa v3, v53, v3 dst_sel:DWORD dst_unused:UNUSED_PAD src0_sel:DWORD src1_sel:WORD_0
	v_lshl_add_u32 v27, v27, 10, 0x2000
	v_lshlrev_b32_e32 v2, 23, v2
	v_and_or_b32 v3, 0x8000, v3, v27
	v_lshl_or_b32 v27, v3, 16, v2
.LBB296_1662:                           ;   in Loop: Header=BB296_988 Depth=1
	s_or_b32 exec_lo, exec_lo, s19
.LBB296_1663:                           ;   in Loop: Header=BB296_988 Depth=1
	s_or_b32 exec_lo, exec_lo, s18
.LBB296_1664:                           ;   in Loop: Header=BB296_988 Depth=1
	s_or_b32 exec_lo, exec_lo, s15
	v_lshrrev_b32_e32 v2, 16, v11
	v_mov_b32_e32 v114, 0
	v_mov_b32_e32 v115, 0
	v_cmp_ne_u16_sdwa s4, v2, v4 src0_sel:BYTE_0 src1_sel:DWORD
	s_and_saveexec_b32 s15, s4
	s_cbranch_execz .LBB296_1672
; %bb.1665:                             ;   in Loop: Header=BB296_988 Depth=1
	v_cmp_ne_u16_sdwa s4, v2, v50 src0_sel:BYTE_0 src1_sel:DWORD
	v_mov_b32_e32 v115, 0x8000
	s_and_saveexec_b32 s18, s4
	s_cbranch_execz .LBB296_1671
; %bb.1666:                             ;   in Loop: Header=BB296_988 Depth=1
	v_bfe_u32 v116, v11, 16, 7
	v_mov_b32_e32 v115, 0x7c01
	s_mov_b32 s19, exec_lo
	v_cmpx_ne_u32_e32 0x7f, v116
	s_cbranch_execz .LBB296_1670
; %bb.1667:                             ;   in Loop: Header=BB296_988 Depth=1
	v_and_b32_e32 v3, 7, v2
	v_lshrrev_b32_e32 v115, 3, v116
	s_mov_b32 s20, exec_lo
	v_cmpx_gt_u32_e32 8, v116
; %bb.1668:                             ;   in Loop: Header=BB296_988 Depth=1
	v_ffbh_u32_e32 v3, v3
	v_min_u32_e32 v3, 32, v3
	v_subrev_nc_u32_e32 v115, 28, v3
	v_lshlrev_b64 v[116:117], v115, v[2:3]
	v_sub_nc_u32_e32 v115, 29, v3
	v_and_b32_e32 v3, 7, v116
; %bb.1669:                             ;   in Loop: Header=BB296_988 Depth=1
	s_or_b32 exec_lo, exec_lo, s20
	v_lshlrev_b32_e32 v2, 8, v2
	v_lshl_add_u32 v115, v115, 10, 0x2000
	v_lshlrev_b32_e32 v3, 7, v3
	v_and_b32_e32 v2, 0x8000, v2
	v_and_b32_e32 v115, 0xfc00, v115
	v_or3_b32 v115, v2, v115, v3
.LBB296_1670:                           ;   in Loop: Header=BB296_988 Depth=1
	s_or_b32 exec_lo, exec_lo, s19
.LBB296_1671:                           ;   in Loop: Header=BB296_988 Depth=1
	s_or_b32 exec_lo, exec_lo, s18
.LBB296_1672:                           ;   in Loop: Header=BB296_988 Depth=1
	s_or_b32 exec_lo, exec_lo, s15
	s_mov_b32 s15, exec_lo
	v_cmpx_lt_u32_e32 0xffffff, v11
	s_cbranch_execz .LBB296_1680
; %bb.1673:                             ;   in Loop: Header=BB296_988 Depth=1
	v_lshrrev_b32_e32 v3, 24, v11
	v_bfrev_b32_e32 v114, 1
	s_mov_b32 s18, exec_lo
	v_cmpx_ne_u32_e32 0x80, v3
	s_cbranch_execz .LBB296_1679
; %bb.1674:                             ;   in Loop: Header=BB296_988 Depth=1
	v_and_b32_e32 v116, 0x7f, v3
	v_mov_b32_e32 v114, 0x7c010000
	s_mov_b32 s19, exec_lo
	v_cmpx_ne_u32_e32 0x7f, v116
	s_cbranch_execz .LBB296_1678
; %bb.1675:                             ;   in Loop: Header=BB296_988 Depth=1
	v_and_b32_e32 v2, 7, v3
	v_lshrrev_b32_e32 v114, 3, v116
	s_mov_b32 s20, exec_lo
	v_cmpx_gt_u32_e32 8, v116
; %bb.1676:                             ;   in Loop: Header=BB296_988 Depth=1
	v_ffbh_u32_e32 v2, v2
	v_min_u32_e32 v2, 32, v2
	v_subrev_nc_u32_e32 v114, 28, v2
	v_lshlrev_b64 v[116:117], v114, v[3:4]
	v_sub_nc_u32_e32 v114, 29, v2
	v_and_b32_e32 v2, 7, v116
; %bb.1677:                             ;   in Loop: Header=BB296_988 Depth=1
	s_or_b32 exec_lo, exec_lo, s20
	v_lshlrev_b32_e32 v3, 8, v3
	v_lshl_add_u32 v114, v114, 10, 0x2000
	v_lshlrev_b32_e32 v2, 23, v2
	v_and_or_b32 v3, 0x8000, v3, v114
	v_lshl_or_b32 v114, v3, 16, v2
.LBB296_1678:                           ;   in Loop: Header=BB296_988 Depth=1
	s_or_b32 exec_lo, exec_lo, s19
.LBB296_1679:                           ;   in Loop: Header=BB296_988 Depth=1
	s_or_b32 exec_lo, exec_lo, s18
.LBB296_1680:                           ;   in Loop: Header=BB296_988 Depth=1
	s_or_b32 exec_lo, exec_lo, s15
	v_mov_b32_e32 v3, v12
	v_cmp_ne_u16_sdwa s4, v12, v4 src0_sel:BYTE_0 src1_sel:DWORD
	v_mov_b32_e32 v116, 0
	v_mov_b32_e32 v117, 0
	s_and_saveexec_b32 s15, s4
	s_cbranch_execz .LBB296_1688
; %bb.1681:                             ;   in Loop: Header=BB296_988 Depth=1
	v_cmp_ne_u16_sdwa s4, v12, v50 src0_sel:BYTE_0 src1_sel:DWORD
	v_mov_b32_e32 v117, 0x8000
	s_and_saveexec_b32 s18, s4
	s_cbranch_execz .LBB296_1687
; %bb.1682:                             ;   in Loop: Header=BB296_988 Depth=1
	v_and_b32_e32 v118, 0x7f, v12
	v_mov_b32_e32 v117, 0x7c01
	s_mov_b32 s19, exec_lo
	v_cmpx_ne_u32_e32 0x7f, v118
	s_cbranch_execz .LBB296_1686
; %bb.1683:                             ;   in Loop: Header=BB296_988 Depth=1
	v_and_b32_e32 v2, 7, v12
	v_lshrrev_b32_e32 v117, 3, v118
	s_mov_b32 s20, exec_lo
	v_cmpx_gt_u32_e32 8, v118
; %bb.1684:                             ;   in Loop: Header=BB296_988 Depth=1
	v_ffbh_u32_e32 v2, v2
	v_min_u32_e32 v2, 32, v2
	v_subrev_nc_u32_e32 v117, 28, v2
	v_lshlrev_b64 v[118:119], v117, v[3:4]
	v_sub_nc_u32_e32 v117, 29, v2
	v_and_b32_e32 v2, 7, v118
; %bb.1685:                             ;   in Loop: Header=BB296_988 Depth=1
	s_or_b32 exec_lo, exec_lo, s20
	v_lshlrev_b32_e32 v118, 8, v12
	v_lshl_add_u32 v117, v117, 10, 0x2000
	v_lshlrev_b32_e32 v2, 7, v2
	v_and_b32_e32 v118, 0x8000, v118
	v_and_b32_e32 v117, 0xfc00, v117
	v_or3_b32 v117, v118, v117, v2
.LBB296_1686:                           ;   in Loop: Header=BB296_988 Depth=1
	s_or_b32 exec_lo, exec_lo, s19
.LBB296_1687:                           ;   in Loop: Header=BB296_988 Depth=1
	s_or_b32 exec_lo, exec_lo, s18
.LBB296_1688:                           ;   in Loop: Header=BB296_988 Depth=1
	s_or_b32 exec_lo, exec_lo, s15
	v_lshrrev_b16 v3, 8, v3
	v_mov_b32_e32 v118, 0
	s_mov_b32 s15, exec_lo
	v_cmpx_ne_u16_e32 0, v3
	s_cbranch_execz .LBB296_1696
; %bb.1689:                             ;   in Loop: Header=BB296_988 Depth=1
	v_bfrev_b32_e32 v118, 1
	s_mov_b32 s18, exec_lo
	v_cmpx_ne_u16_e32 0x80, v3
	s_cbranch_execz .LBB296_1695
; %bb.1690:                             ;   in Loop: Header=BB296_988 Depth=1
	v_and_b32_sdwa v119, v3, v51 dst_sel:DWORD dst_unused:UNUSED_PAD src0_sel:WORD_0 src1_sel:DWORD
	v_mov_b32_e32 v118, 0x7c010000
	s_mov_b32 s19, exec_lo
	v_cmpx_ne_u32_e32 0x7f, v119
	s_cbranch_execz .LBB296_1694
; %bb.1691:                             ;   in Loop: Header=BB296_988 Depth=1
	v_and_b32_sdwa v2, v3, v52 dst_sel:DWORD dst_unused:UNUSED_PAD src0_sel:WORD_0 src1_sel:DWORD
	v_lshrrev_b32_e32 v118, 3, v119
	s_mov_b32 s20, exec_lo
	v_cmpx_gt_u32_e32 8, v119
; %bb.1692:                             ;   in Loop: Header=BB296_988 Depth=1
	v_ffbh_u32_e32 v2, v2
	v_min_u32_e32 v2, 32, v2
	v_subrev_nc_u32_e32 v118, 28, v2
	v_lshlrev_b64 v[40:41], v118, v[3:4]
	v_sub_nc_u32_e32 v118, 29, v2
	v_and_b32_e32 v2, 7, v40
; %bb.1693:                             ;   in Loop: Header=BB296_988 Depth=1
	s_or_b32 exec_lo, exec_lo, s20
	v_lshlrev_b32_sdwa v3, v53, v3 dst_sel:DWORD dst_unused:UNUSED_PAD src0_sel:DWORD src1_sel:WORD_0
	v_lshl_add_u32 v118, v118, 10, 0x2000
	v_lshlrev_b32_e32 v2, 23, v2
	v_and_or_b32 v3, 0x8000, v3, v118
	v_lshl_or_b32 v118, v3, 16, v2
.LBB296_1694:                           ;   in Loop: Header=BB296_988 Depth=1
	s_or_b32 exec_lo, exec_lo, s19
.LBB296_1695:                           ;   in Loop: Header=BB296_988 Depth=1
	s_or_b32 exec_lo, exec_lo, s18
.LBB296_1696:                           ;   in Loop: Header=BB296_988 Depth=1
	s_or_b32 exec_lo, exec_lo, s15
	v_lshrrev_b32_e32 v2, 16, v12
	v_cmp_ne_u16_sdwa s4, v2, v4 src0_sel:BYTE_0 src1_sel:DWORD
	s_and_saveexec_b32 s15, s4
	s_cbranch_execz .LBB296_1704
; %bb.1697:                             ;   in Loop: Header=BB296_988 Depth=1
	v_cmp_ne_u16_sdwa s4, v2, v50 src0_sel:BYTE_0 src1_sel:DWORD
	v_mov_b32_e32 v116, 0x8000
	s_and_saveexec_b32 s18, s4
	s_cbranch_execz .LBB296_1703
; %bb.1698:                             ;   in Loop: Header=BB296_988 Depth=1
	v_bfe_u32 v119, v12, 16, 7
	v_mov_b32_e32 v116, 0x7c01
	s_mov_b32 s19, exec_lo
	v_cmpx_ne_u32_e32 0x7f, v119
	s_cbranch_execz .LBB296_1702
; %bb.1699:                             ;   in Loop: Header=BB296_988 Depth=1
	v_and_b32_e32 v3, 7, v2
	v_lshrrev_b32_e32 v116, 3, v119
	s_mov_b32 s20, exec_lo
	v_cmpx_gt_u32_e32 8, v119
; %bb.1700:                             ;   in Loop: Header=BB296_988 Depth=1
	v_ffbh_u32_e32 v3, v3
	v_min_u32_e32 v3, 32, v3
	v_subrev_nc_u32_e32 v116, 28, v3
	v_lshlrev_b64 v[40:41], v116, v[2:3]
	v_sub_nc_u32_e32 v116, 29, v3
	v_and_b32_e32 v3, 7, v40
; %bb.1701:                             ;   in Loop: Header=BB296_988 Depth=1
	s_or_b32 exec_lo, exec_lo, s20
	v_lshlrev_b32_e32 v2, 8, v2
	v_lshl_add_u32 v116, v116, 10, 0x2000
	v_lshlrev_b32_e32 v3, 7, v3
	v_and_b32_e32 v2, 0x8000, v2
	v_and_b32_e32 v116, 0xfc00, v116
	v_or3_b32 v116, v2, v116, v3
.LBB296_1702:                           ;   in Loop: Header=BB296_988 Depth=1
	s_or_b32 exec_lo, exec_lo, s19
.LBB296_1703:                           ;   in Loop: Header=BB296_988 Depth=1
	s_or_b32 exec_lo, exec_lo, s18
.LBB296_1704:                           ;   in Loop: Header=BB296_988 Depth=1
	s_or_b32 exec_lo, exec_lo, s15
	v_mov_b32_e32 v2, 0
	s_mov_b32 s15, exec_lo
	v_cmpx_lt_u64_e64 s[6:7], v[11:12]
	s_cbranch_execz .LBB296_1712
; %bb.1705:                             ;   in Loop: Header=BB296_988 Depth=1
	v_lshrrev_b32_e32 v3, 24, v12
	v_bfrev_b32_e32 v2, 1
	s_mov_b32 s18, exec_lo
	v_cmpx_ne_u32_e32 0x80, v3
	s_cbranch_execz .LBB296_1711
; %bb.1706:                             ;   in Loop: Header=BB296_988 Depth=1
	v_and_b32_e32 v12, 0x7f, v3
	v_mov_b32_e32 v2, 0x7c010000
	s_mov_b32 s19, exec_lo
	v_cmpx_ne_u32_e32 0x7f, v12
	s_cbranch_execz .LBB296_1710
; %bb.1707:                             ;   in Loop: Header=BB296_988 Depth=1
	v_and_b32_e32 v2, 7, v3
	v_lshrrev_b32_e32 v11, 3, v12
	s_mov_b32 s20, exec_lo
	v_cmpx_gt_u32_e32 8, v12
; %bb.1708:                             ;   in Loop: Header=BB296_988 Depth=1
	v_ffbh_u32_e32 v2, v2
	v_min_u32_e32 v2, 32, v2
	v_subrev_nc_u32_e32 v11, 28, v2
	v_lshlrev_b64 v[40:41], v11, v[3:4]
	v_sub_nc_u32_e32 v11, 29, v2
	v_and_b32_e32 v2, 7, v40
; %bb.1709:                             ;   in Loop: Header=BB296_988 Depth=1
	s_or_b32 exec_lo, exec_lo, s20
	v_lshlrev_b32_e32 v3, 8, v3
	v_lshl_add_u32 v11, v11, 10, 0x2000
	v_lshlrev_b32_e32 v2, 23, v2
	v_and_or_b32 v3, 0x8000, v3, v11
	v_lshl_or_b32 v2, v3, 16, v2
.LBB296_1710:                           ;   in Loop: Header=BB296_988 Depth=1
	s_or_b32 exec_lo, exec_lo, s19
.LBB296_1711:                           ;   in Loop: Header=BB296_988 Depth=1
	s_or_b32 exec_lo, exec_lo, s18
.LBB296_1712:                           ;   in Loop: Header=BB296_988 Depth=1
	s_or_b32 exec_lo, exec_lo, s15
	v_or_b32_e32 v3, v114, v115
	s_waitcnt vmcnt(0) lgkmcnt(0)
	v_fma_mixlo_f16 v11, v26, v114, 0 op_sel:[0,1,0] op_sel_hi:[0,1,0]
	v_or_b32_e32 v12, v27, v29
	v_or_b32_e32 v29, v118, v117
	;; [unrolled: 1-line block ×3, first 2 shown]
	v_fma_mixlo_f16 v114, v26, v3, 0 op_sel_hi:[0,1,0]
	v_fma_mixlo_f16 v27, v26, v27, 0 op_sel:[0,1,0] op_sel_hi:[0,1,0]
	v_lshlrev_b32_e32 v3, 16, v11
	v_fma_mixlo_f16 v12, v26, v12, 0 op_sel_hi:[0,1,0]
	v_fma_mixlo_f16 v29, v26, v29, 0 op_sel_hi:[0,1,0]
	v_and_b32_e32 v11, 0xffff, v114
	v_fma_mixlo_f16 v114, v26, v118, 0 op_sel:[0,1,0] op_sel_hi:[0,1,0]
	v_fma_mixlo_f16 v2, v26, v2, 0 op_sel:[0,1,0] op_sel_hi:[0,1,0]
	v_fma_mixlo_f16 v26, v26, v115, 0 op_sel_hi:[0,1,0]
	v_lshlrev_b32_e32 v27, 16, v27
	v_and_b32_e32 v118, 0xffff, v12
	v_lshlrev_b32_e32 v12, 16, v114
	v_and_b32_e32 v114, 0xffff, v29
	;; [unrolled: 2-line block ×3, first 2 shown]
	v_or_b32_e32 v29, v3, v11
	v_or_b32_e32 v117, v27, v118
	;; [unrolled: 1-line block ×4, first 2 shown]
	s_and_saveexec_b32 s15, vcc_lo
	s_cbranch_execz .LBB296_1714
; %bb.1713:                             ;   in Loop: Header=BB296_988 Depth=1
	v_cmp_lt_i32_e64 s4, v55, v28
	v_cndmask_b32_e64 v29, 0, v118, s4
	v_cmp_lt_i32_e64 s4, v83, v28
	v_cndmask_b32_e64 v27, 0, v27, s4
	v_cmp_lt_i32_e64 s4, v82, v28
	v_or_b32_e32 v117, v29, v27
	v_cndmask_b32_e64 v11, 0, v11, s4
	v_cmp_lt_i32_e64 s4, v81, v28
	v_cndmask_b32_e64 v3, 0, v3, s4
	v_cmp_lt_i32_e64 s4, v80, v28
	v_or_b32_e32 v29, v11, v3
	;; [unrolled: 5-line block ×3, first 2 shown]
	v_cndmask_b32_e64 v26, 0, v26, s4
	v_cmp_lt_i32_e64 s4, v31, v28
	v_cndmask_b32_e64 v2, 0, v2, s4
	v_or_b32_e32 v115, v26, v2
.LBB296_1714:                           ;   in Loop: Header=BB296_988 Depth=1
	s_or_b32 exec_lo, exec_lo, s15
	;;#ASMSTART
	v_pk_mul_f16 v2, v68, v117;

	;;#ASMEND
	;;#ASMSTART
	v_pk_mul_f16 v3, v66, v29;

	;;#ASMEND
	;; [unrolled: 4-line block ×4, first 2 shown]
	;;#ASMSTART
	v_pk_add_f16 v2, v2, v3;

	;;#ASMEND
	;;#ASMSTART
	v_pk_add_f16 v2, v2, v11;

	;;#ASMEND
	;; [unrolled: 4-line block ×3, first 2 shown]
	v_and_b32_e32 v3, 0xffff, v2
	v_lshrrev_b32_e32 v2, 16, v2
	;;#ASMSTART
	v_cvt_f32_f16 v26, v3;
	;;#ASMEND
	;;#ASMSTART
	v_cvt_f32_f16 v27, v2;
	;;#ASMEND
	flat_load_dwordx2 v[11:12], v[9:10] offset:768
	flat_load_dword v29, v[22:23]
	v_mov_b32_e32 v114, 0
	v_mov_b32_e32 v115, 0
	s_waitcnt vmcnt(1) lgkmcnt(1)
	v_cmp_ne_u16_sdwa s4, v11, v4 src0_sel:BYTE_0 src1_sel:DWORD
	s_and_saveexec_b32 s15, s4
	s_cbranch_execz .LBB296_1722
; %bb.1715:                             ;   in Loop: Header=BB296_988 Depth=1
	v_cmp_ne_u16_sdwa s4, v11, v50 src0_sel:BYTE_0 src1_sel:DWORD
	v_mov_b32_e32 v115, 0x8000
	s_and_saveexec_b32 s18, s4
	s_cbranch_execz .LBB296_1721
; %bb.1716:                             ;   in Loop: Header=BB296_988 Depth=1
	v_and_b32_e32 v116, 0x7f, v11
	v_mov_b32_e32 v115, 0x7c01
	s_mov_b32 s19, exec_lo
	v_cmpx_ne_u32_e32 0x7f, v116
	s_cbranch_execz .LBB296_1720
; %bb.1717:                             ;   in Loop: Header=BB296_988 Depth=1
	v_and_b32_e32 v2, 7, v11
	v_lshrrev_b32_e32 v3, 3, v116
	s_mov_b32 s20, exec_lo
	v_cmpx_gt_u32_e32 8, v116
; %bb.1718:                             ;   in Loop: Header=BB296_988 Depth=1
	v_ffbh_u32_e32 v2, v2
	v_min_u32_e32 v115, 32, v2
	v_subrev_nc_u32_e32 v2, 28, v115
	v_lshlrev_b64 v[2:3], v2, v[11:12]
	v_sub_nc_u32_e32 v3, 29, v115
	v_and_b32_e32 v2, 7, v2
; %bb.1719:                             ;   in Loop: Header=BB296_988 Depth=1
	s_or_b32 exec_lo, exec_lo, s20
	v_lshlrev_b32_e32 v115, 8, v11
	v_lshl_add_u32 v3, v3, 10, 0x2000
	v_lshlrev_b32_e32 v2, 7, v2
	v_and_b32_e32 v115, 0x8000, v115
	v_and_b32_e32 v3, 0xfc00, v3
	v_or3_b32 v115, v115, v3, v2
.LBB296_1720:                           ;   in Loop: Header=BB296_988 Depth=1
	s_or_b32 exec_lo, exec_lo, s19
.LBB296_1721:                           ;   in Loop: Header=BB296_988 Depth=1
	s_or_b32 exec_lo, exec_lo, s18
.LBB296_1722:                           ;   in Loop: Header=BB296_988 Depth=1
	s_or_b32 exec_lo, exec_lo, s15
	v_lshrrev_b16 v3, 8, v11
	s_mov_b32 s15, exec_lo
	v_cmpx_ne_u16_e32 0, v3
	s_cbranch_execz .LBB296_1730
; %bb.1723:                             ;   in Loop: Header=BB296_988 Depth=1
	v_bfrev_b32_e32 v114, 1
	s_mov_b32 s18, exec_lo
	v_cmpx_ne_u16_e32 0x80, v3
	s_cbranch_execz .LBB296_1729
; %bb.1724:                             ;   in Loop: Header=BB296_988 Depth=1
	v_and_b32_sdwa v116, v3, v51 dst_sel:DWORD dst_unused:UNUSED_PAD src0_sel:WORD_0 src1_sel:DWORD
	v_mov_b32_e32 v114, 0x7c010000
	s_mov_b32 s19, exec_lo
	v_cmpx_ne_u32_e32 0x7f, v116
	s_cbranch_execz .LBB296_1728
; %bb.1725:                             ;   in Loop: Header=BB296_988 Depth=1
	v_and_b32_sdwa v2, v3, v52 dst_sel:DWORD dst_unused:UNUSED_PAD src0_sel:WORD_0 src1_sel:DWORD
	v_lshrrev_b32_e32 v114, 3, v116
	s_mov_b32 s20, exec_lo
	v_cmpx_gt_u32_e32 8, v116
; %bb.1726:                             ;   in Loop: Header=BB296_988 Depth=1
	v_ffbh_u32_e32 v2, v2
	v_min_u32_e32 v2, 32, v2
	v_subrev_nc_u32_e32 v114, 28, v2
	v_lshlrev_b64 v[116:117], v114, v[3:4]
	v_sub_nc_u32_e32 v114, 29, v2
	v_and_b32_e32 v2, 7, v116
; %bb.1727:                             ;   in Loop: Header=BB296_988 Depth=1
	s_or_b32 exec_lo, exec_lo, s20
	v_lshlrev_b32_sdwa v3, v53, v3 dst_sel:DWORD dst_unused:UNUSED_PAD src0_sel:DWORD src1_sel:WORD_0
	v_lshl_add_u32 v114, v114, 10, 0x2000
	v_lshlrev_b32_e32 v2, 23, v2
	v_and_or_b32 v3, 0x8000, v3, v114
	v_lshl_or_b32 v114, v3, 16, v2
.LBB296_1728:                           ;   in Loop: Header=BB296_988 Depth=1
	s_or_b32 exec_lo, exec_lo, s19
.LBB296_1729:                           ;   in Loop: Header=BB296_988 Depth=1
	s_or_b32 exec_lo, exec_lo, s18
.LBB296_1730:                           ;   in Loop: Header=BB296_988 Depth=1
	s_or_b32 exec_lo, exec_lo, s15
	v_lshrrev_b32_e32 v2, 16, v11
	v_mov_b32_e32 v116, 0
	v_mov_b32_e32 v117, 0
	v_cmp_ne_u16_sdwa s4, v2, v4 src0_sel:BYTE_0 src1_sel:DWORD
	s_and_saveexec_b32 s15, s4
	s_cbranch_execz .LBB296_1738
; %bb.1731:                             ;   in Loop: Header=BB296_988 Depth=1
	v_cmp_ne_u16_sdwa s4, v2, v50 src0_sel:BYTE_0 src1_sel:DWORD
	v_mov_b32_e32 v117, 0x8000
	s_and_saveexec_b32 s18, s4
	s_cbranch_execz .LBB296_1737
; %bb.1732:                             ;   in Loop: Header=BB296_988 Depth=1
	v_bfe_u32 v118, v11, 16, 7
	v_mov_b32_e32 v117, 0x7c01
	s_mov_b32 s19, exec_lo
	v_cmpx_ne_u32_e32 0x7f, v118
	s_cbranch_execz .LBB296_1736
; %bb.1733:                             ;   in Loop: Header=BB296_988 Depth=1
	v_and_b32_e32 v3, 7, v2
	v_lshrrev_b32_e32 v117, 3, v118
	s_mov_b32 s20, exec_lo
	v_cmpx_gt_u32_e32 8, v118
; %bb.1734:                             ;   in Loop: Header=BB296_988 Depth=1
	v_ffbh_u32_e32 v3, v3
	v_min_u32_e32 v3, 32, v3
	v_subrev_nc_u32_e32 v117, 28, v3
	v_lshlrev_b64 v[118:119], v117, v[2:3]
	v_sub_nc_u32_e32 v117, 29, v3
	v_and_b32_e32 v3, 7, v118
; %bb.1735:                             ;   in Loop: Header=BB296_988 Depth=1
	s_or_b32 exec_lo, exec_lo, s20
	v_lshlrev_b32_e32 v2, 8, v2
	v_lshl_add_u32 v117, v117, 10, 0x2000
	v_lshlrev_b32_e32 v3, 7, v3
	v_and_b32_e32 v2, 0x8000, v2
	v_and_b32_e32 v117, 0xfc00, v117
	v_or3_b32 v117, v2, v117, v3
.LBB296_1736:                           ;   in Loop: Header=BB296_988 Depth=1
	s_or_b32 exec_lo, exec_lo, s19
.LBB296_1737:                           ;   in Loop: Header=BB296_988 Depth=1
	s_or_b32 exec_lo, exec_lo, s18
.LBB296_1738:                           ;   in Loop: Header=BB296_988 Depth=1
	s_or_b32 exec_lo, exec_lo, s15
	s_mov_b32 s15, exec_lo
	v_cmpx_lt_u32_e32 0xffffff, v11
	s_cbranch_execz .LBB296_1746
; %bb.1739:                             ;   in Loop: Header=BB296_988 Depth=1
	v_lshrrev_b32_e32 v3, 24, v11
	v_bfrev_b32_e32 v116, 1
	s_mov_b32 s18, exec_lo
	v_cmpx_ne_u32_e32 0x80, v3
	s_cbranch_execz .LBB296_1745
; %bb.1740:                             ;   in Loop: Header=BB296_988 Depth=1
	v_and_b32_e32 v118, 0x7f, v3
	v_mov_b32_e32 v116, 0x7c010000
	s_mov_b32 s19, exec_lo
	v_cmpx_ne_u32_e32 0x7f, v118
	s_cbranch_execz .LBB296_1744
; %bb.1741:                             ;   in Loop: Header=BB296_988 Depth=1
	v_and_b32_e32 v2, 7, v3
	v_lshrrev_b32_e32 v116, 3, v118
	s_mov_b32 s20, exec_lo
	v_cmpx_gt_u32_e32 8, v118
; %bb.1742:                             ;   in Loop: Header=BB296_988 Depth=1
	v_ffbh_u32_e32 v2, v2
	v_min_u32_e32 v2, 32, v2
	v_subrev_nc_u32_e32 v116, 28, v2
	v_lshlrev_b64 v[118:119], v116, v[3:4]
	v_sub_nc_u32_e32 v116, 29, v2
	v_and_b32_e32 v2, 7, v118
; %bb.1743:                             ;   in Loop: Header=BB296_988 Depth=1
	s_or_b32 exec_lo, exec_lo, s20
	v_lshlrev_b32_e32 v3, 8, v3
	v_lshl_add_u32 v116, v116, 10, 0x2000
	v_lshlrev_b32_e32 v2, 23, v2
	v_and_or_b32 v3, 0x8000, v3, v116
	v_lshl_or_b32 v116, v3, 16, v2
.LBB296_1744:                           ;   in Loop: Header=BB296_988 Depth=1
	s_or_b32 exec_lo, exec_lo, s19
.LBB296_1745:                           ;   in Loop: Header=BB296_988 Depth=1
	s_or_b32 exec_lo, exec_lo, s18
.LBB296_1746:                           ;   in Loop: Header=BB296_988 Depth=1
	s_or_b32 exec_lo, exec_lo, s15
	v_mov_b32_e32 v3, v12
	v_cmp_ne_u16_sdwa s4, v12, v4 src0_sel:BYTE_0 src1_sel:DWORD
	v_mov_b32_e32 v118, 0
	v_mov_b32_e32 v119, 0
	s_and_saveexec_b32 s15, s4
	s_cbranch_execz .LBB296_1754
; %bb.1747:                             ;   in Loop: Header=BB296_988 Depth=1
	v_cmp_ne_u16_sdwa s4, v12, v50 src0_sel:BYTE_0 src1_sel:DWORD
	v_mov_b32_e32 v119, 0x8000
	s_and_saveexec_b32 s18, s4
	s_cbranch_execz .LBB296_1753
; %bb.1748:                             ;   in Loop: Header=BB296_988 Depth=1
	v_and_b32_e32 v40, 0x7f, v12
	v_mov_b32_e32 v119, 0x7c01
	s_mov_b32 s19, exec_lo
	v_cmpx_ne_u32_e32 0x7f, v40
	s_cbranch_execz .LBB296_1752
; %bb.1749:                             ;   in Loop: Header=BB296_988 Depth=1
	v_and_b32_e32 v2, 7, v12
	v_lshrrev_b32_e32 v119, 3, v40
	s_mov_b32 s20, exec_lo
	v_cmpx_gt_u32_e32 8, v40
; %bb.1750:                             ;   in Loop: Header=BB296_988 Depth=1
	v_ffbh_u32_e32 v2, v2
	v_min_u32_e32 v2, 32, v2
	v_subrev_nc_u32_e32 v119, 28, v2
	v_lshlrev_b64 v[40:41], v119, v[3:4]
	v_sub_nc_u32_e32 v119, 29, v2
	v_and_b32_e32 v2, 7, v40
; %bb.1751:                             ;   in Loop: Header=BB296_988 Depth=1
	s_or_b32 exec_lo, exec_lo, s20
	v_lshlrev_b32_e32 v40, 8, v12
	v_lshl_add_u32 v119, v119, 10, 0x2000
	v_lshlrev_b32_e32 v2, 7, v2
	v_and_b32_e32 v40, 0x8000, v40
	v_and_b32_e32 v119, 0xfc00, v119
	v_or3_b32 v119, v40, v119, v2
.LBB296_1752:                           ;   in Loop: Header=BB296_988 Depth=1
	s_or_b32 exec_lo, exec_lo, s19
.LBB296_1753:                           ;   in Loop: Header=BB296_988 Depth=1
	s_or_b32 exec_lo, exec_lo, s18
.LBB296_1754:                           ;   in Loop: Header=BB296_988 Depth=1
	s_or_b32 exec_lo, exec_lo, s15
	v_lshrrev_b16 v3, 8, v3
	v_mov_b32_e32 v40, 0
	s_mov_b32 s15, exec_lo
	v_cmpx_ne_u16_e32 0, v3
	s_cbranch_execz .LBB296_1762
; %bb.1755:                             ;   in Loop: Header=BB296_988 Depth=1
	v_bfrev_b32_e32 v40, 1
	s_mov_b32 s18, exec_lo
	v_cmpx_ne_u16_e32 0x80, v3
	s_cbranch_execz .LBB296_1761
; %bb.1756:                             ;   in Loop: Header=BB296_988 Depth=1
	v_and_b32_sdwa v41, v3, v51 dst_sel:DWORD dst_unused:UNUSED_PAD src0_sel:WORD_0 src1_sel:DWORD
	v_mov_b32_e32 v40, 0x7c010000
	s_mov_b32 s19, exec_lo
	v_cmpx_ne_u32_e32 0x7f, v41
	s_cbranch_execz .LBB296_1760
; %bb.1757:                             ;   in Loop: Header=BB296_988 Depth=1
	v_and_b32_sdwa v2, v3, v52 dst_sel:DWORD dst_unused:UNUSED_PAD src0_sel:WORD_0 src1_sel:DWORD
	v_lshrrev_b32_e32 v40, 3, v41
	s_mov_b32 s20, exec_lo
	v_cmpx_gt_u32_e32 8, v41
; %bb.1758:                             ;   in Loop: Header=BB296_988 Depth=1
	v_ffbh_u32_e32 v2, v2
	v_min_u32_e32 v2, 32, v2
	v_subrev_nc_u32_e32 v40, 28, v2
	v_lshlrev_b64 v[41:42], v40, v[3:4]
	v_sub_nc_u32_e32 v40, 29, v2
	v_and_b32_e32 v2, 7, v41
; %bb.1759:                             ;   in Loop: Header=BB296_988 Depth=1
	s_or_b32 exec_lo, exec_lo, s20
	v_lshlrev_b32_sdwa v3, v53, v3 dst_sel:DWORD dst_unused:UNUSED_PAD src0_sel:DWORD src1_sel:WORD_0
	v_lshl_add_u32 v40, v40, 10, 0x2000
	v_lshlrev_b32_e32 v2, 23, v2
	v_and_or_b32 v3, 0x8000, v3, v40
	v_lshl_or_b32 v40, v3, 16, v2
.LBB296_1760:                           ;   in Loop: Header=BB296_988 Depth=1
	s_or_b32 exec_lo, exec_lo, s19
.LBB296_1761:                           ;   in Loop: Header=BB296_988 Depth=1
	s_or_b32 exec_lo, exec_lo, s18
.LBB296_1762:                           ;   in Loop: Header=BB296_988 Depth=1
	s_or_b32 exec_lo, exec_lo, s15
	v_lshrrev_b32_e32 v2, 16, v12
	v_cmp_ne_u16_sdwa s4, v2, v4 src0_sel:BYTE_0 src1_sel:DWORD
	s_and_saveexec_b32 s15, s4
	s_cbranch_execz .LBB296_1770
; %bb.1763:                             ;   in Loop: Header=BB296_988 Depth=1
	v_cmp_ne_u16_sdwa s4, v2, v50 src0_sel:BYTE_0 src1_sel:DWORD
	v_mov_b32_e32 v118, 0x8000
	s_and_saveexec_b32 s18, s4
	s_cbranch_execz .LBB296_1769
; %bb.1764:                             ;   in Loop: Header=BB296_988 Depth=1
	v_bfe_u32 v41, v12, 16, 7
	v_mov_b32_e32 v118, 0x7c01
	s_mov_b32 s19, exec_lo
	v_cmpx_ne_u32_e32 0x7f, v41
	s_cbranch_execz .LBB296_1768
; %bb.1765:                             ;   in Loop: Header=BB296_988 Depth=1
	v_and_b32_e32 v3, 7, v2
	v_lshrrev_b32_e32 v118, 3, v41
	s_mov_b32 s20, exec_lo
	v_cmpx_gt_u32_e32 8, v41
; %bb.1766:                             ;   in Loop: Header=BB296_988 Depth=1
	v_ffbh_u32_e32 v3, v3
	v_min_u32_e32 v3, 32, v3
	v_subrev_nc_u32_e32 v118, 28, v3
	v_lshlrev_b64 v[41:42], v118, v[2:3]
	v_sub_nc_u32_e32 v118, 29, v3
	v_and_b32_e32 v3, 7, v41
; %bb.1767:                             ;   in Loop: Header=BB296_988 Depth=1
	s_or_b32 exec_lo, exec_lo, s20
	v_lshlrev_b32_e32 v2, 8, v2
	v_lshl_add_u32 v118, v118, 10, 0x2000
	v_lshlrev_b32_e32 v3, 7, v3
	v_and_b32_e32 v2, 0x8000, v2
	v_and_b32_e32 v118, 0xfc00, v118
	v_or3_b32 v118, v2, v118, v3
.LBB296_1768:                           ;   in Loop: Header=BB296_988 Depth=1
	s_or_b32 exec_lo, exec_lo, s19
.LBB296_1769:                           ;   in Loop: Header=BB296_988 Depth=1
	s_or_b32 exec_lo, exec_lo, s18
.LBB296_1770:                           ;   in Loop: Header=BB296_988 Depth=1
	s_or_b32 exec_lo, exec_lo, s15
	v_mov_b32_e32 v2, 0
	s_mov_b32 s15, exec_lo
	v_cmpx_lt_u64_e64 s[6:7], v[11:12]
	s_cbranch_execz .LBB296_1778
; %bb.1771:                             ;   in Loop: Header=BB296_988 Depth=1
	v_lshrrev_b32_e32 v3, 24, v12
	v_bfrev_b32_e32 v2, 1
	s_mov_b32 s18, exec_lo
	v_cmpx_ne_u32_e32 0x80, v3
	s_cbranch_execz .LBB296_1777
; %bb.1772:                             ;   in Loop: Header=BB296_988 Depth=1
	v_and_b32_e32 v12, 0x7f, v3
	v_mov_b32_e32 v2, 0x7c010000
	s_mov_b32 s19, exec_lo
	v_cmpx_ne_u32_e32 0x7f, v12
	s_cbranch_execz .LBB296_1776
; %bb.1773:                             ;   in Loop: Header=BB296_988 Depth=1
	v_and_b32_e32 v2, 7, v3
	v_lshrrev_b32_e32 v11, 3, v12
	s_mov_b32 s20, exec_lo
	v_cmpx_gt_u32_e32 8, v12
; %bb.1774:                             ;   in Loop: Header=BB296_988 Depth=1
	v_ffbh_u32_e32 v2, v2
	v_min_u32_e32 v2, 32, v2
	v_subrev_nc_u32_e32 v11, 28, v2
	v_lshlrev_b64 v[41:42], v11, v[3:4]
	v_sub_nc_u32_e32 v11, 29, v2
	v_and_b32_e32 v2, 7, v41
; %bb.1775:                             ;   in Loop: Header=BB296_988 Depth=1
	s_or_b32 exec_lo, exec_lo, s20
	v_lshlrev_b32_e32 v3, 8, v3
	v_lshl_add_u32 v11, v11, 10, 0x2000
	v_lshlrev_b32_e32 v2, 23, v2
	v_and_or_b32 v3, 0x8000, v3, v11
	v_lshl_or_b32 v2, v3, 16, v2
.LBB296_1776:                           ;   in Loop: Header=BB296_988 Depth=1
	s_or_b32 exec_lo, exec_lo, s19
.LBB296_1777:                           ;   in Loop: Header=BB296_988 Depth=1
	s_or_b32 exec_lo, exec_lo, s18
.LBB296_1778:                           ;   in Loop: Header=BB296_988 Depth=1
	s_or_b32 exec_lo, exec_lo, s15
	v_or_b32_e32 v3, v116, v117
	s_waitcnt vmcnt(0) lgkmcnt(0)
	v_fma_mixlo_f16 v11, v29, v116, 0 op_sel:[0,1,0] op_sel_hi:[0,1,0]
	v_or_b32_e32 v12, v114, v115
	v_or_b32_e32 v115, v40, v119
	;; [unrolled: 1-line block ×3, first 2 shown]
	v_fma_mixlo_f16 v116, v29, v3, 0 op_sel_hi:[0,1,0]
	v_fma_mixlo_f16 v114, v29, v114, 0 op_sel:[0,1,0] op_sel_hi:[0,1,0]
	v_lshlrev_b32_e32 v3, 16, v11
	v_fma_mixlo_f16 v12, v29, v12, 0 op_sel_hi:[0,1,0]
	v_fma_mixlo_f16 v115, v29, v115, 0 op_sel_hi:[0,1,0]
	v_and_b32_e32 v11, 0xffff, v116
	v_fma_mixlo_f16 v116, v29, v40, 0 op_sel:[0,1,0] op_sel_hi:[0,1,0]
	v_fma_mixlo_f16 v2, v29, v2, 0 op_sel:[0,1,0] op_sel_hi:[0,1,0]
	v_fma_mixlo_f16 v29, v29, v117, 0 op_sel_hi:[0,1,0]
	v_lshlrev_b32_e32 v114, 16, v114
	v_and_b32_e32 v40, 0xffff, v12
	v_lshlrev_b32_e32 v12, 16, v116
	v_and_b32_e32 v116, 0xffff, v115
	;; [unrolled: 2-line block ×3, first 2 shown]
	v_or_b32_e32 v115, v3, v11
	v_or_b32_e32 v119, v114, v40
	;; [unrolled: 1-line block ×4, first 2 shown]
	s_and_saveexec_b32 s15, vcc_lo
	s_cbranch_execz .LBB296_1780
; %bb.1779:                             ;   in Loop: Header=BB296_988 Depth=1
	v_cmp_lt_i32_e64 s4, v55, v28
	v_cndmask_b32_e64 v115, 0, v40, s4
	v_cmp_lt_i32_e64 s4, v83, v28
	v_cndmask_b32_e64 v114, 0, v114, s4
	v_cmp_lt_i32_e64 s4, v82, v28
	v_or_b32_e32 v119, v115, v114
	v_cndmask_b32_e64 v11, 0, v11, s4
	v_cmp_lt_i32_e64 s4, v81, v28
	v_cndmask_b32_e64 v3, 0, v3, s4
	v_cmp_lt_i32_e64 s4, v80, v28
	v_or_b32_e32 v115, v11, v3
	;; [unrolled: 5-line block ×3, first 2 shown]
	v_cndmask_b32_e64 v29, 0, v29, s4
	v_cmp_lt_i32_e64 s4, v31, v28
	v_cndmask_b32_e64 v2, 0, v2, s4
	v_or_b32_e32 v117, v29, v2
.LBB296_1780:                           ;   in Loop: Header=BB296_988 Depth=1
	s_or_b32 exec_lo, exec_lo, s15
	;;#ASMSTART
	v_pk_mul_f16 v2, v68, v119;

	;;#ASMEND
	;;#ASMSTART
	v_pk_mul_f16 v3, v66, v115;

	;;#ASMEND
	;; [unrolled: 4-line block ×4, first 2 shown]
	;;#ASMSTART
	v_pk_add_f16 v2, v2, v3;

	;;#ASMEND
	;;#ASMSTART
	v_pk_add_f16 v2, v2, v11;

	;;#ASMEND
	;; [unrolled: 4-line block ×3, first 2 shown]
	v_and_b32_e32 v3, 0xffff, v2
	v_lshrrev_b32_e32 v2, 16, v2
	;;#ASMSTART
	v_cvt_f32_f16 v29, v3;
	;;#ASMEND
	;;#ASMSTART
	v_cvt_f32_f16 v114, v2;
	;;#ASMEND
	flat_load_dwordx2 v[11:12], v[9:10] offset:1024
	flat_load_dword v115, v[22:23]
	v_mov_b32_e32 v116, 0
	v_mov_b32_e32 v117, 0
	s_waitcnt vmcnt(1) lgkmcnt(1)
	v_cmp_ne_u16_sdwa s4, v11, v4 src0_sel:BYTE_0 src1_sel:DWORD
	s_and_saveexec_b32 s15, s4
	s_cbranch_execz .LBB296_1788
; %bb.1781:                             ;   in Loop: Header=BB296_988 Depth=1
	v_cmp_ne_u16_sdwa s4, v11, v50 src0_sel:BYTE_0 src1_sel:DWORD
	v_mov_b32_e32 v117, 0x8000
	s_and_saveexec_b32 s18, s4
	s_cbranch_execz .LBB296_1787
; %bb.1782:                             ;   in Loop: Header=BB296_988 Depth=1
	v_and_b32_e32 v118, 0x7f, v11
	v_mov_b32_e32 v117, 0x7c01
	s_mov_b32 s19, exec_lo
	v_cmpx_ne_u32_e32 0x7f, v118
	s_cbranch_execz .LBB296_1786
; %bb.1783:                             ;   in Loop: Header=BB296_988 Depth=1
	v_and_b32_e32 v2, 7, v11
	v_lshrrev_b32_e32 v3, 3, v118
	s_mov_b32 s20, exec_lo
	v_cmpx_gt_u32_e32 8, v118
; %bb.1784:                             ;   in Loop: Header=BB296_988 Depth=1
	v_ffbh_u32_e32 v2, v2
	v_min_u32_e32 v117, 32, v2
	v_subrev_nc_u32_e32 v2, 28, v117
	v_lshlrev_b64 v[2:3], v2, v[11:12]
	v_sub_nc_u32_e32 v3, 29, v117
	v_and_b32_e32 v2, 7, v2
; %bb.1785:                             ;   in Loop: Header=BB296_988 Depth=1
	s_or_b32 exec_lo, exec_lo, s20
	v_lshlrev_b32_e32 v117, 8, v11
	v_lshl_add_u32 v3, v3, 10, 0x2000
	v_lshlrev_b32_e32 v2, 7, v2
	v_and_b32_e32 v117, 0x8000, v117
	v_and_b32_e32 v3, 0xfc00, v3
	v_or3_b32 v117, v117, v3, v2
.LBB296_1786:                           ;   in Loop: Header=BB296_988 Depth=1
	s_or_b32 exec_lo, exec_lo, s19
.LBB296_1787:                           ;   in Loop: Header=BB296_988 Depth=1
	s_or_b32 exec_lo, exec_lo, s18
.LBB296_1788:                           ;   in Loop: Header=BB296_988 Depth=1
	s_or_b32 exec_lo, exec_lo, s15
	v_lshrrev_b16 v3, 8, v11
	s_mov_b32 s15, exec_lo
	v_cmpx_ne_u16_e32 0, v3
	s_cbranch_execz .LBB296_1796
; %bb.1789:                             ;   in Loop: Header=BB296_988 Depth=1
	v_bfrev_b32_e32 v116, 1
	s_mov_b32 s18, exec_lo
	v_cmpx_ne_u16_e32 0x80, v3
	s_cbranch_execz .LBB296_1795
; %bb.1790:                             ;   in Loop: Header=BB296_988 Depth=1
	v_and_b32_sdwa v118, v3, v51 dst_sel:DWORD dst_unused:UNUSED_PAD src0_sel:WORD_0 src1_sel:DWORD
	v_mov_b32_e32 v116, 0x7c010000
	s_mov_b32 s19, exec_lo
	v_cmpx_ne_u32_e32 0x7f, v118
	s_cbranch_execz .LBB296_1794
; %bb.1791:                             ;   in Loop: Header=BB296_988 Depth=1
	v_and_b32_sdwa v2, v3, v52 dst_sel:DWORD dst_unused:UNUSED_PAD src0_sel:WORD_0 src1_sel:DWORD
	v_lshrrev_b32_e32 v116, 3, v118
	s_mov_b32 s20, exec_lo
	v_cmpx_gt_u32_e32 8, v118
; %bb.1792:                             ;   in Loop: Header=BB296_988 Depth=1
	v_ffbh_u32_e32 v2, v2
	v_min_u32_e32 v2, 32, v2
	v_subrev_nc_u32_e32 v116, 28, v2
	v_lshlrev_b64 v[118:119], v116, v[3:4]
	v_sub_nc_u32_e32 v116, 29, v2
	v_and_b32_e32 v2, 7, v118
; %bb.1793:                             ;   in Loop: Header=BB296_988 Depth=1
	s_or_b32 exec_lo, exec_lo, s20
	v_lshlrev_b32_sdwa v3, v53, v3 dst_sel:DWORD dst_unused:UNUSED_PAD src0_sel:DWORD src1_sel:WORD_0
	v_lshl_add_u32 v116, v116, 10, 0x2000
	v_lshlrev_b32_e32 v2, 23, v2
	v_and_or_b32 v3, 0x8000, v3, v116
	v_lshl_or_b32 v116, v3, 16, v2
.LBB296_1794:                           ;   in Loop: Header=BB296_988 Depth=1
	s_or_b32 exec_lo, exec_lo, s19
.LBB296_1795:                           ;   in Loop: Header=BB296_988 Depth=1
	s_or_b32 exec_lo, exec_lo, s18
.LBB296_1796:                           ;   in Loop: Header=BB296_988 Depth=1
	s_or_b32 exec_lo, exec_lo, s15
	v_lshrrev_b32_e32 v2, 16, v11
	v_mov_b32_e32 v118, 0
	v_mov_b32_e32 v119, 0
	v_cmp_ne_u16_sdwa s4, v2, v4 src0_sel:BYTE_0 src1_sel:DWORD
	s_and_saveexec_b32 s15, s4
	s_cbranch_execz .LBB296_1804
; %bb.1797:                             ;   in Loop: Header=BB296_988 Depth=1
	v_cmp_ne_u16_sdwa s4, v2, v50 src0_sel:BYTE_0 src1_sel:DWORD
	v_mov_b32_e32 v119, 0x8000
	s_and_saveexec_b32 s18, s4
	s_cbranch_execz .LBB296_1803
; %bb.1798:                             ;   in Loop: Header=BB296_988 Depth=1
	v_bfe_u32 v40, v11, 16, 7
	v_mov_b32_e32 v119, 0x7c01
	s_mov_b32 s19, exec_lo
	v_cmpx_ne_u32_e32 0x7f, v40
	s_cbranch_execz .LBB296_1802
; %bb.1799:                             ;   in Loop: Header=BB296_988 Depth=1
	v_and_b32_e32 v3, 7, v2
	v_lshrrev_b32_e32 v119, 3, v40
	s_mov_b32 s20, exec_lo
	v_cmpx_gt_u32_e32 8, v40
; %bb.1800:                             ;   in Loop: Header=BB296_988 Depth=1
	v_ffbh_u32_e32 v3, v3
	v_min_u32_e32 v3, 32, v3
	v_subrev_nc_u32_e32 v119, 28, v3
	v_lshlrev_b64 v[40:41], v119, v[2:3]
	v_sub_nc_u32_e32 v119, 29, v3
	v_and_b32_e32 v3, 7, v40
; %bb.1801:                             ;   in Loop: Header=BB296_988 Depth=1
	s_or_b32 exec_lo, exec_lo, s20
	v_lshlrev_b32_e32 v2, 8, v2
	v_lshl_add_u32 v119, v119, 10, 0x2000
	v_lshlrev_b32_e32 v3, 7, v3
	v_and_b32_e32 v2, 0x8000, v2
	v_and_b32_e32 v119, 0xfc00, v119
	v_or3_b32 v119, v2, v119, v3
.LBB296_1802:                           ;   in Loop: Header=BB296_988 Depth=1
	s_or_b32 exec_lo, exec_lo, s19
.LBB296_1803:                           ;   in Loop: Header=BB296_988 Depth=1
	s_or_b32 exec_lo, exec_lo, s18
.LBB296_1804:                           ;   in Loop: Header=BB296_988 Depth=1
	s_or_b32 exec_lo, exec_lo, s15
	s_mov_b32 s15, exec_lo
	v_cmpx_lt_u32_e32 0xffffff, v11
	s_cbranch_execz .LBB296_1812
; %bb.1805:                             ;   in Loop: Header=BB296_988 Depth=1
	v_lshrrev_b32_e32 v3, 24, v11
	v_bfrev_b32_e32 v118, 1
	s_mov_b32 s18, exec_lo
	v_cmpx_ne_u32_e32 0x80, v3
	s_cbranch_execz .LBB296_1811
; %bb.1806:                             ;   in Loop: Header=BB296_988 Depth=1
	v_and_b32_e32 v40, 0x7f, v3
	v_mov_b32_e32 v118, 0x7c010000
	s_mov_b32 s19, exec_lo
	v_cmpx_ne_u32_e32 0x7f, v40
	s_cbranch_execz .LBB296_1810
; %bb.1807:                             ;   in Loop: Header=BB296_988 Depth=1
	v_and_b32_e32 v2, 7, v3
	v_lshrrev_b32_e32 v118, 3, v40
	s_mov_b32 s20, exec_lo
	v_cmpx_gt_u32_e32 8, v40
; %bb.1808:                             ;   in Loop: Header=BB296_988 Depth=1
	v_ffbh_u32_e32 v2, v2
	v_min_u32_e32 v2, 32, v2
	v_subrev_nc_u32_e32 v118, 28, v2
	v_lshlrev_b64 v[40:41], v118, v[3:4]
	v_sub_nc_u32_e32 v118, 29, v2
	v_and_b32_e32 v2, 7, v40
; %bb.1809:                             ;   in Loop: Header=BB296_988 Depth=1
	s_or_b32 exec_lo, exec_lo, s20
	v_lshlrev_b32_e32 v3, 8, v3
	v_lshl_add_u32 v118, v118, 10, 0x2000
	v_lshlrev_b32_e32 v2, 23, v2
	v_and_or_b32 v3, 0x8000, v3, v118
	v_lshl_or_b32 v118, v3, 16, v2
.LBB296_1810:                           ;   in Loop: Header=BB296_988 Depth=1
	s_or_b32 exec_lo, exec_lo, s19
.LBB296_1811:                           ;   in Loop: Header=BB296_988 Depth=1
	s_or_b32 exec_lo, exec_lo, s18
.LBB296_1812:                           ;   in Loop: Header=BB296_988 Depth=1
	s_or_b32 exec_lo, exec_lo, s15
	v_mov_b32_e32 v3, v12
	v_cmp_ne_u16_sdwa s4, v12, v4 src0_sel:BYTE_0 src1_sel:DWORD
	v_mov_b32_e32 v40, 0
	v_mov_b32_e32 v41, 0
	s_and_saveexec_b32 s15, s4
	s_cbranch_execz .LBB296_1820
; %bb.1813:                             ;   in Loop: Header=BB296_988 Depth=1
	v_cmp_ne_u16_sdwa s4, v12, v50 src0_sel:BYTE_0 src1_sel:DWORD
	v_mov_b32_e32 v41, 0x8000
	s_and_saveexec_b32 s18, s4
	s_cbranch_execz .LBB296_1819
; %bb.1814:                             ;   in Loop: Header=BB296_988 Depth=1
	v_and_b32_e32 v42, 0x7f, v12
	v_mov_b32_e32 v41, 0x7c01
	s_mov_b32 s19, exec_lo
	v_cmpx_ne_u32_e32 0x7f, v42
	s_cbranch_execz .LBB296_1818
; %bb.1815:                             ;   in Loop: Header=BB296_988 Depth=1
	v_and_b32_e32 v2, 7, v12
	v_lshrrev_b32_e32 v41, 3, v42
	s_mov_b32 s20, exec_lo
	v_cmpx_gt_u32_e32 8, v42
; %bb.1816:                             ;   in Loop: Header=BB296_988 Depth=1
	v_ffbh_u32_e32 v2, v2
	v_min_u32_e32 v2, 32, v2
	v_subrev_nc_u32_e32 v41, 28, v2
	v_lshlrev_b64 v[42:43], v41, v[3:4]
	v_sub_nc_u32_e32 v41, 29, v2
	v_and_b32_e32 v2, 7, v42
; %bb.1817:                             ;   in Loop: Header=BB296_988 Depth=1
	s_or_b32 exec_lo, exec_lo, s20
	v_lshlrev_b32_e32 v42, 8, v12
	v_lshl_add_u32 v41, v41, 10, 0x2000
	v_lshlrev_b32_e32 v2, 7, v2
	v_and_b32_e32 v42, 0x8000, v42
	v_and_b32_e32 v41, 0xfc00, v41
	v_or3_b32 v41, v42, v41, v2
.LBB296_1818:                           ;   in Loop: Header=BB296_988 Depth=1
	s_or_b32 exec_lo, exec_lo, s19
.LBB296_1819:                           ;   in Loop: Header=BB296_988 Depth=1
	s_or_b32 exec_lo, exec_lo, s18
.LBB296_1820:                           ;   in Loop: Header=BB296_988 Depth=1
	s_or_b32 exec_lo, exec_lo, s15
	v_lshrrev_b16 v3, 8, v3
	v_mov_b32_e32 v42, 0
	s_mov_b32 s15, exec_lo
	v_cmpx_ne_u16_e32 0, v3
	s_cbranch_execz .LBB296_1828
; %bb.1821:                             ;   in Loop: Header=BB296_988 Depth=1
	v_bfrev_b32_e32 v42, 1
	s_mov_b32 s18, exec_lo
	v_cmpx_ne_u16_e32 0x80, v3
	s_cbranch_execz .LBB296_1827
; %bb.1822:                             ;   in Loop: Header=BB296_988 Depth=1
	v_and_b32_sdwa v43, v3, v51 dst_sel:DWORD dst_unused:UNUSED_PAD src0_sel:WORD_0 src1_sel:DWORD
	v_mov_b32_e32 v42, 0x7c010000
	s_mov_b32 s19, exec_lo
	v_cmpx_ne_u32_e32 0x7f, v43
	s_cbranch_execz .LBB296_1826
; %bb.1823:                             ;   in Loop: Header=BB296_988 Depth=1
	v_and_b32_sdwa v2, v3, v52 dst_sel:DWORD dst_unused:UNUSED_PAD src0_sel:WORD_0 src1_sel:DWORD
	v_lshrrev_b32_e32 v42, 3, v43
	s_mov_b32 s20, exec_lo
	v_cmpx_gt_u32_e32 8, v43
; %bb.1824:                             ;   in Loop: Header=BB296_988 Depth=1
	v_ffbh_u32_e32 v2, v2
	v_min_u32_e32 v2, 32, v2
	v_subrev_nc_u32_e32 v42, 28, v2
	v_lshlrev_b64 v[43:44], v42, v[3:4]
	v_sub_nc_u32_e32 v42, 29, v2
	v_and_b32_e32 v2, 7, v43
; %bb.1825:                             ;   in Loop: Header=BB296_988 Depth=1
	s_or_b32 exec_lo, exec_lo, s20
	v_lshlrev_b32_sdwa v3, v53, v3 dst_sel:DWORD dst_unused:UNUSED_PAD src0_sel:DWORD src1_sel:WORD_0
	v_lshl_add_u32 v42, v42, 10, 0x2000
	v_lshlrev_b32_e32 v2, 23, v2
	v_and_or_b32 v3, 0x8000, v3, v42
	v_lshl_or_b32 v42, v3, 16, v2
.LBB296_1826:                           ;   in Loop: Header=BB296_988 Depth=1
	s_or_b32 exec_lo, exec_lo, s19
.LBB296_1827:                           ;   in Loop: Header=BB296_988 Depth=1
	s_or_b32 exec_lo, exec_lo, s18
.LBB296_1828:                           ;   in Loop: Header=BB296_988 Depth=1
	s_or_b32 exec_lo, exec_lo, s15
	v_lshrrev_b32_e32 v2, 16, v12
	v_cmp_ne_u16_sdwa s4, v2, v4 src0_sel:BYTE_0 src1_sel:DWORD
	s_and_saveexec_b32 s15, s4
	s_cbranch_execz .LBB296_1836
; %bb.1829:                             ;   in Loop: Header=BB296_988 Depth=1
	v_cmp_ne_u16_sdwa s4, v2, v50 src0_sel:BYTE_0 src1_sel:DWORD
	v_mov_b32_e32 v40, 0x8000
	s_and_saveexec_b32 s18, s4
	s_cbranch_execz .LBB296_1835
; %bb.1830:                             ;   in Loop: Header=BB296_988 Depth=1
	v_bfe_u32 v43, v12, 16, 7
	v_mov_b32_e32 v40, 0x7c01
	s_mov_b32 s19, exec_lo
	v_cmpx_ne_u32_e32 0x7f, v43
	s_cbranch_execz .LBB296_1834
; %bb.1831:                             ;   in Loop: Header=BB296_988 Depth=1
	v_and_b32_e32 v3, 7, v2
	v_lshrrev_b32_e32 v40, 3, v43
	s_mov_b32 s20, exec_lo
	v_cmpx_gt_u32_e32 8, v43
; %bb.1832:                             ;   in Loop: Header=BB296_988 Depth=1
	v_ffbh_u32_e32 v3, v3
	v_min_u32_e32 v3, 32, v3
	v_subrev_nc_u32_e32 v40, 28, v3
	v_lshlrev_b64 v[43:44], v40, v[2:3]
	v_sub_nc_u32_e32 v40, 29, v3
	v_and_b32_e32 v3, 7, v43
; %bb.1833:                             ;   in Loop: Header=BB296_988 Depth=1
	s_or_b32 exec_lo, exec_lo, s20
	v_lshlrev_b32_e32 v2, 8, v2
	v_lshl_add_u32 v40, v40, 10, 0x2000
	v_lshlrev_b32_e32 v3, 7, v3
	v_and_b32_e32 v2, 0x8000, v2
	v_and_b32_e32 v40, 0xfc00, v40
	v_or3_b32 v40, v2, v40, v3
.LBB296_1834:                           ;   in Loop: Header=BB296_988 Depth=1
	s_or_b32 exec_lo, exec_lo, s19
.LBB296_1835:                           ;   in Loop: Header=BB296_988 Depth=1
	s_or_b32 exec_lo, exec_lo, s18
.LBB296_1836:                           ;   in Loop: Header=BB296_988 Depth=1
	s_or_b32 exec_lo, exec_lo, s15
	v_mov_b32_e32 v2, 0
	s_mov_b32 s15, exec_lo
	v_cmpx_lt_u64_e64 s[6:7], v[11:12]
	s_cbranch_execz .LBB296_1844
; %bb.1837:                             ;   in Loop: Header=BB296_988 Depth=1
	v_lshrrev_b32_e32 v3, 24, v12
	v_bfrev_b32_e32 v2, 1
	s_mov_b32 s18, exec_lo
	v_cmpx_ne_u32_e32 0x80, v3
	s_cbranch_execz .LBB296_1843
; %bb.1838:                             ;   in Loop: Header=BB296_988 Depth=1
	v_and_b32_e32 v12, 0x7f, v3
	v_mov_b32_e32 v2, 0x7c010000
	s_mov_b32 s19, exec_lo
	v_cmpx_ne_u32_e32 0x7f, v12
	s_cbranch_execz .LBB296_1842
; %bb.1839:                             ;   in Loop: Header=BB296_988 Depth=1
	v_and_b32_e32 v2, 7, v3
	v_lshrrev_b32_e32 v11, 3, v12
	s_mov_b32 s20, exec_lo
	v_cmpx_gt_u32_e32 8, v12
; %bb.1840:                             ;   in Loop: Header=BB296_988 Depth=1
	v_ffbh_u32_e32 v2, v2
	v_min_u32_e32 v2, 32, v2
	v_subrev_nc_u32_e32 v11, 28, v2
	v_lshlrev_b64 v[43:44], v11, v[3:4]
	v_sub_nc_u32_e32 v11, 29, v2
	v_and_b32_e32 v2, 7, v43
; %bb.1841:                             ;   in Loop: Header=BB296_988 Depth=1
	s_or_b32 exec_lo, exec_lo, s20
	v_lshlrev_b32_e32 v3, 8, v3
	v_lshl_add_u32 v11, v11, 10, 0x2000
	v_lshlrev_b32_e32 v2, 23, v2
	v_and_or_b32 v3, 0x8000, v3, v11
	v_lshl_or_b32 v2, v3, 16, v2
.LBB296_1842:                           ;   in Loop: Header=BB296_988 Depth=1
	s_or_b32 exec_lo, exec_lo, s19
.LBB296_1843:                           ;   in Loop: Header=BB296_988 Depth=1
	s_or_b32 exec_lo, exec_lo, s18
.LBB296_1844:                           ;   in Loop: Header=BB296_988 Depth=1
	s_or_b32 exec_lo, exec_lo, s15
	v_or_b32_e32 v3, v118, v119
	s_waitcnt vmcnt(0) lgkmcnt(0)
	v_fma_mixlo_f16 v11, v115, v118, 0 op_sel:[0,1,0] op_sel_hi:[0,1,0]
	v_or_b32_e32 v12, v116, v117
	v_or_b32_e32 v117, v42, v41
	;; [unrolled: 1-line block ×3, first 2 shown]
	v_fma_mixlo_f16 v118, v115, v3, 0 op_sel_hi:[0,1,0]
	v_fma_mixlo_f16 v116, v115, v116, 0 op_sel:[0,1,0] op_sel_hi:[0,1,0]
	v_lshlrev_b32_e32 v3, 16, v11
	v_fma_mixlo_f16 v12, v115, v12, 0 op_sel_hi:[0,1,0]
	v_fma_mixlo_f16 v117, v115, v117, 0 op_sel_hi:[0,1,0]
	v_and_b32_e32 v11, 0xffff, v118
	v_fma_mixlo_f16 v118, v115, v42, 0 op_sel:[0,1,0] op_sel_hi:[0,1,0]
	v_fma_mixlo_f16 v2, v115, v2, 0 op_sel:[0,1,0] op_sel_hi:[0,1,0]
	v_fma_mixlo_f16 v115, v115, v119, 0 op_sel_hi:[0,1,0]
	v_lshlrev_b32_e32 v116, 16, v116
	v_and_b32_e32 v42, 0xffff, v12
	v_lshlrev_b32_e32 v12, 16, v118
	v_and_b32_e32 v118, 0xffff, v117
	;; [unrolled: 2-line block ×3, first 2 shown]
	v_or_b32_e32 v117, v3, v11
	v_or_b32_e32 v41, v116, v42
	;; [unrolled: 1-line block ×4, first 2 shown]
	s_and_saveexec_b32 s15, vcc_lo
	s_cbranch_execz .LBB296_1846
; %bb.1845:                             ;   in Loop: Header=BB296_988 Depth=1
	v_cmp_lt_i32_e64 s4, v55, v28
	v_cndmask_b32_e64 v117, 0, v42, s4
	v_cmp_lt_i32_e64 s4, v83, v28
	v_cndmask_b32_e64 v116, 0, v116, s4
	v_cmp_lt_i32_e64 s4, v82, v28
	v_or_b32_e32 v41, v117, v116
	v_cndmask_b32_e64 v11, 0, v11, s4
	v_cmp_lt_i32_e64 s4, v81, v28
	v_cndmask_b32_e64 v3, 0, v3, s4
	v_cmp_lt_i32_e64 s4, v80, v28
	v_or_b32_e32 v117, v11, v3
	;; [unrolled: 5-line block ×3, first 2 shown]
	v_cndmask_b32_e64 v115, 0, v115, s4
	v_cmp_lt_i32_e64 s4, v31, v28
	v_cndmask_b32_e64 v2, 0, v2, s4
	v_or_b32_e32 v119, v115, v2
.LBB296_1846:                           ;   in Loop: Header=BB296_988 Depth=1
	s_or_b32 exec_lo, exec_lo, s15
	;;#ASMSTART
	v_pk_mul_f16 v2, v68, v41;

	;;#ASMEND
	;;#ASMSTART
	v_pk_mul_f16 v3, v66, v117;

	;;#ASMEND
	;;#ASMSTART
	v_pk_mul_f16 v11, v65, v40;

	;;#ASMEND
	;;#ASMSTART
	v_pk_mul_f16 v12, v64, v119;

	;;#ASMEND
	;;#ASMSTART
	v_pk_add_f16 v2, v2, v3;

	;;#ASMEND
	;;#ASMSTART
	v_pk_add_f16 v2, v2, v11;

	;;#ASMEND
	;;#ASMSTART
	v_pk_add_f16 v2, v2, v12;

	;;#ASMEND
	v_and_b32_e32 v3, 0xffff, v2
	v_lshrrev_b32_e32 v2, 16, v2
	;;#ASMSTART
	v_cvt_f32_f16 v115, v3;
	;;#ASMEND
	;;#ASMSTART
	v_cvt_f32_f16 v116, v2;
	;;#ASMEND
	flat_load_dwordx2 v[11:12], v[9:10] offset:1280
	flat_load_dword v117, v[22:23]
	v_mov_b32_e32 v118, 0
	v_mov_b32_e32 v119, 0
	s_waitcnt vmcnt(1) lgkmcnt(1)
	v_cmp_ne_u16_sdwa s4, v11, v4 src0_sel:BYTE_0 src1_sel:DWORD
	s_and_saveexec_b32 s15, s4
	s_cbranch_execz .LBB296_1854
; %bb.1847:                             ;   in Loop: Header=BB296_988 Depth=1
	v_cmp_ne_u16_sdwa s4, v11, v50 src0_sel:BYTE_0 src1_sel:DWORD
	v_mov_b32_e32 v119, 0x8000
	s_and_saveexec_b32 s18, s4
	s_cbranch_execz .LBB296_1853
; %bb.1848:                             ;   in Loop: Header=BB296_988 Depth=1
	v_and_b32_e32 v40, 0x7f, v11
	v_mov_b32_e32 v119, 0x7c01
	s_mov_b32 s19, exec_lo
	v_cmpx_ne_u32_e32 0x7f, v40
	s_cbranch_execz .LBB296_1852
; %bb.1849:                             ;   in Loop: Header=BB296_988 Depth=1
	v_and_b32_e32 v2, 7, v11
	v_lshrrev_b32_e32 v3, 3, v40
	s_mov_b32 s20, exec_lo
	v_cmpx_gt_u32_e32 8, v40
; %bb.1850:                             ;   in Loop: Header=BB296_988 Depth=1
	v_ffbh_u32_e32 v2, v2
	v_min_u32_e32 v119, 32, v2
	v_subrev_nc_u32_e32 v2, 28, v119
	v_lshlrev_b64 v[2:3], v2, v[11:12]
	v_sub_nc_u32_e32 v3, 29, v119
	v_and_b32_e32 v2, 7, v2
; %bb.1851:                             ;   in Loop: Header=BB296_988 Depth=1
	s_or_b32 exec_lo, exec_lo, s20
	v_lshlrev_b32_e32 v119, 8, v11
	v_lshl_add_u32 v3, v3, 10, 0x2000
	v_lshlrev_b32_e32 v2, 7, v2
	v_and_b32_e32 v119, 0x8000, v119
	v_and_b32_e32 v3, 0xfc00, v3
	v_or3_b32 v119, v119, v3, v2
.LBB296_1852:                           ;   in Loop: Header=BB296_988 Depth=1
	s_or_b32 exec_lo, exec_lo, s19
.LBB296_1853:                           ;   in Loop: Header=BB296_988 Depth=1
	s_or_b32 exec_lo, exec_lo, s18
.LBB296_1854:                           ;   in Loop: Header=BB296_988 Depth=1
	s_or_b32 exec_lo, exec_lo, s15
	v_lshrrev_b16 v3, 8, v11
	s_mov_b32 s15, exec_lo
	v_cmpx_ne_u16_e32 0, v3
	s_cbranch_execz .LBB296_1862
; %bb.1855:                             ;   in Loop: Header=BB296_988 Depth=1
	v_bfrev_b32_e32 v118, 1
	s_mov_b32 s18, exec_lo
	v_cmpx_ne_u16_e32 0x80, v3
	s_cbranch_execz .LBB296_1861
; %bb.1856:                             ;   in Loop: Header=BB296_988 Depth=1
	v_and_b32_sdwa v40, v3, v51 dst_sel:DWORD dst_unused:UNUSED_PAD src0_sel:WORD_0 src1_sel:DWORD
	v_mov_b32_e32 v118, 0x7c010000
	s_mov_b32 s19, exec_lo
	v_cmpx_ne_u32_e32 0x7f, v40
	s_cbranch_execz .LBB296_1860
; %bb.1857:                             ;   in Loop: Header=BB296_988 Depth=1
	v_and_b32_sdwa v2, v3, v52 dst_sel:DWORD dst_unused:UNUSED_PAD src0_sel:WORD_0 src1_sel:DWORD
	v_lshrrev_b32_e32 v118, 3, v40
	s_mov_b32 s20, exec_lo
	v_cmpx_gt_u32_e32 8, v40
; %bb.1858:                             ;   in Loop: Header=BB296_988 Depth=1
	v_ffbh_u32_e32 v2, v2
	v_min_u32_e32 v2, 32, v2
	v_subrev_nc_u32_e32 v118, 28, v2
	v_lshlrev_b64 v[40:41], v118, v[3:4]
	v_sub_nc_u32_e32 v118, 29, v2
	v_and_b32_e32 v2, 7, v40
; %bb.1859:                             ;   in Loop: Header=BB296_988 Depth=1
	s_or_b32 exec_lo, exec_lo, s20
	v_lshlrev_b32_sdwa v3, v53, v3 dst_sel:DWORD dst_unused:UNUSED_PAD src0_sel:DWORD src1_sel:WORD_0
	v_lshl_add_u32 v118, v118, 10, 0x2000
	v_lshlrev_b32_e32 v2, 23, v2
	v_and_or_b32 v3, 0x8000, v3, v118
	v_lshl_or_b32 v118, v3, 16, v2
.LBB296_1860:                           ;   in Loop: Header=BB296_988 Depth=1
	s_or_b32 exec_lo, exec_lo, s19
.LBB296_1861:                           ;   in Loop: Header=BB296_988 Depth=1
	s_or_b32 exec_lo, exec_lo, s18
.LBB296_1862:                           ;   in Loop: Header=BB296_988 Depth=1
	s_or_b32 exec_lo, exec_lo, s15
	v_lshrrev_b32_e32 v2, 16, v11
	v_mov_b32_e32 v40, 0
	v_mov_b32_e32 v41, 0
	v_cmp_ne_u16_sdwa s4, v2, v4 src0_sel:BYTE_0 src1_sel:DWORD
	s_and_saveexec_b32 s15, s4
	s_cbranch_execz .LBB296_1870
; %bb.1863:                             ;   in Loop: Header=BB296_988 Depth=1
	v_cmp_ne_u16_sdwa s4, v2, v50 src0_sel:BYTE_0 src1_sel:DWORD
	v_mov_b32_e32 v41, 0x8000
	s_and_saveexec_b32 s18, s4
	s_cbranch_execz .LBB296_1869
; %bb.1864:                             ;   in Loop: Header=BB296_988 Depth=1
	v_bfe_u32 v42, v11, 16, 7
	v_mov_b32_e32 v41, 0x7c01
	s_mov_b32 s19, exec_lo
	v_cmpx_ne_u32_e32 0x7f, v42
	s_cbranch_execz .LBB296_1868
; %bb.1865:                             ;   in Loop: Header=BB296_988 Depth=1
	v_and_b32_e32 v3, 7, v2
	v_lshrrev_b32_e32 v41, 3, v42
	s_mov_b32 s20, exec_lo
	v_cmpx_gt_u32_e32 8, v42
; %bb.1866:                             ;   in Loop: Header=BB296_988 Depth=1
	v_ffbh_u32_e32 v3, v3
	v_min_u32_e32 v3, 32, v3
	v_subrev_nc_u32_e32 v41, 28, v3
	v_lshlrev_b64 v[42:43], v41, v[2:3]
	v_sub_nc_u32_e32 v41, 29, v3
	v_and_b32_e32 v3, 7, v42
; %bb.1867:                             ;   in Loop: Header=BB296_988 Depth=1
	s_or_b32 exec_lo, exec_lo, s20
	v_lshlrev_b32_e32 v2, 8, v2
	v_lshl_add_u32 v41, v41, 10, 0x2000
	v_lshlrev_b32_e32 v3, 7, v3
	v_and_b32_e32 v2, 0x8000, v2
	v_and_b32_e32 v41, 0xfc00, v41
	v_or3_b32 v41, v2, v41, v3
.LBB296_1868:                           ;   in Loop: Header=BB296_988 Depth=1
	s_or_b32 exec_lo, exec_lo, s19
.LBB296_1869:                           ;   in Loop: Header=BB296_988 Depth=1
	s_or_b32 exec_lo, exec_lo, s18
.LBB296_1870:                           ;   in Loop: Header=BB296_988 Depth=1
	s_or_b32 exec_lo, exec_lo, s15
	s_mov_b32 s15, exec_lo
	v_cmpx_lt_u32_e32 0xffffff, v11
	s_cbranch_execz .LBB296_1878
; %bb.1871:                             ;   in Loop: Header=BB296_988 Depth=1
	v_lshrrev_b32_e32 v3, 24, v11
	v_bfrev_b32_e32 v40, 1
	s_mov_b32 s18, exec_lo
	v_cmpx_ne_u32_e32 0x80, v3
	s_cbranch_execz .LBB296_1877
; %bb.1872:                             ;   in Loop: Header=BB296_988 Depth=1
	v_and_b32_e32 v42, 0x7f, v3
	v_mov_b32_e32 v40, 0x7c010000
	s_mov_b32 s19, exec_lo
	v_cmpx_ne_u32_e32 0x7f, v42
	s_cbranch_execz .LBB296_1876
; %bb.1873:                             ;   in Loop: Header=BB296_988 Depth=1
	v_and_b32_e32 v2, 7, v3
	v_lshrrev_b32_e32 v40, 3, v42
	s_mov_b32 s20, exec_lo
	v_cmpx_gt_u32_e32 8, v42
; %bb.1874:                             ;   in Loop: Header=BB296_988 Depth=1
	v_ffbh_u32_e32 v2, v2
	v_min_u32_e32 v2, 32, v2
	v_subrev_nc_u32_e32 v40, 28, v2
	v_lshlrev_b64 v[42:43], v40, v[3:4]
	v_sub_nc_u32_e32 v40, 29, v2
	v_and_b32_e32 v2, 7, v42
; %bb.1875:                             ;   in Loop: Header=BB296_988 Depth=1
	s_or_b32 exec_lo, exec_lo, s20
	v_lshlrev_b32_e32 v3, 8, v3
	v_lshl_add_u32 v40, v40, 10, 0x2000
	v_lshlrev_b32_e32 v2, 23, v2
	v_and_or_b32 v3, 0x8000, v3, v40
	v_lshl_or_b32 v40, v3, 16, v2
.LBB296_1876:                           ;   in Loop: Header=BB296_988 Depth=1
	s_or_b32 exec_lo, exec_lo, s19
.LBB296_1877:                           ;   in Loop: Header=BB296_988 Depth=1
	s_or_b32 exec_lo, exec_lo, s18
.LBB296_1878:                           ;   in Loop: Header=BB296_988 Depth=1
	s_or_b32 exec_lo, exec_lo, s15
	v_mov_b32_e32 v3, v12
	v_cmp_ne_u16_sdwa s4, v12, v4 src0_sel:BYTE_0 src1_sel:DWORD
	v_mov_b32_e32 v42, 0
	v_mov_b32_e32 v43, 0
	s_and_saveexec_b32 s15, s4
	s_cbranch_execz .LBB296_1886
; %bb.1879:                             ;   in Loop: Header=BB296_988 Depth=1
	v_cmp_ne_u16_sdwa s4, v12, v50 src0_sel:BYTE_0 src1_sel:DWORD
	v_mov_b32_e32 v43, 0x8000
	s_and_saveexec_b32 s18, s4
	s_cbranch_execz .LBB296_1885
; %bb.1880:                             ;   in Loop: Header=BB296_988 Depth=1
	v_and_b32_e32 v44, 0x7f, v12
	v_mov_b32_e32 v43, 0x7c01
	s_mov_b32 s19, exec_lo
	v_cmpx_ne_u32_e32 0x7f, v44
	s_cbranch_execz .LBB296_1884
; %bb.1881:                             ;   in Loop: Header=BB296_988 Depth=1
	v_and_b32_e32 v2, 7, v12
	v_lshrrev_b32_e32 v43, 3, v44
	s_mov_b32 s20, exec_lo
	v_cmpx_gt_u32_e32 8, v44
; %bb.1882:                             ;   in Loop: Header=BB296_988 Depth=1
	v_ffbh_u32_e32 v2, v2
	v_min_u32_e32 v2, 32, v2
	v_subrev_nc_u32_e32 v43, 28, v2
	v_lshlrev_b64 v[44:45], v43, v[3:4]
	v_sub_nc_u32_e32 v43, 29, v2
	v_and_b32_e32 v2, 7, v44
; %bb.1883:                             ;   in Loop: Header=BB296_988 Depth=1
	s_or_b32 exec_lo, exec_lo, s20
	v_lshlrev_b32_e32 v44, 8, v12
	v_lshl_add_u32 v43, v43, 10, 0x2000
	v_lshlrev_b32_e32 v2, 7, v2
	v_and_b32_e32 v44, 0x8000, v44
	v_and_b32_e32 v43, 0xfc00, v43
	v_or3_b32 v43, v44, v43, v2
.LBB296_1884:                           ;   in Loop: Header=BB296_988 Depth=1
	s_or_b32 exec_lo, exec_lo, s19
.LBB296_1885:                           ;   in Loop: Header=BB296_988 Depth=1
	s_or_b32 exec_lo, exec_lo, s18
.LBB296_1886:                           ;   in Loop: Header=BB296_988 Depth=1
	s_or_b32 exec_lo, exec_lo, s15
	v_lshrrev_b16 v3, 8, v3
	v_mov_b32_e32 v44, 0
	s_mov_b32 s15, exec_lo
	v_cmpx_ne_u16_e32 0, v3
	s_cbranch_execz .LBB296_1894
; %bb.1887:                             ;   in Loop: Header=BB296_988 Depth=1
	v_bfrev_b32_e32 v44, 1
	s_mov_b32 s18, exec_lo
	v_cmpx_ne_u16_e32 0x80, v3
	s_cbranch_execz .LBB296_1893
; %bb.1888:                             ;   in Loop: Header=BB296_988 Depth=1
	v_and_b32_sdwa v45, v3, v51 dst_sel:DWORD dst_unused:UNUSED_PAD src0_sel:WORD_0 src1_sel:DWORD
	v_mov_b32_e32 v44, 0x7c010000
	s_mov_b32 s19, exec_lo
	v_cmpx_ne_u32_e32 0x7f, v45
	s_cbranch_execz .LBB296_1892
; %bb.1889:                             ;   in Loop: Header=BB296_988 Depth=1
	v_and_b32_sdwa v2, v3, v52 dst_sel:DWORD dst_unused:UNUSED_PAD src0_sel:WORD_0 src1_sel:DWORD
	v_lshrrev_b32_e32 v44, 3, v45
	s_mov_b32 s20, exec_lo
	v_cmpx_gt_u32_e32 8, v45
; %bb.1890:                             ;   in Loop: Header=BB296_988 Depth=1
	v_ffbh_u32_e32 v2, v2
	v_min_u32_e32 v2, 32, v2
	v_subrev_nc_u32_e32 v44, 28, v2
	v_lshlrev_b64 v[45:46], v44, v[3:4]
	v_sub_nc_u32_e32 v44, 29, v2
	v_and_b32_e32 v2, 7, v45
; %bb.1891:                             ;   in Loop: Header=BB296_988 Depth=1
	s_or_b32 exec_lo, exec_lo, s20
	v_lshlrev_b32_sdwa v3, v53, v3 dst_sel:DWORD dst_unused:UNUSED_PAD src0_sel:DWORD src1_sel:WORD_0
	v_lshl_add_u32 v44, v44, 10, 0x2000
	v_lshlrev_b32_e32 v2, 23, v2
	v_and_or_b32 v3, 0x8000, v3, v44
	v_lshl_or_b32 v44, v3, 16, v2
.LBB296_1892:                           ;   in Loop: Header=BB296_988 Depth=1
	s_or_b32 exec_lo, exec_lo, s19
.LBB296_1893:                           ;   in Loop: Header=BB296_988 Depth=1
	s_or_b32 exec_lo, exec_lo, s18
.LBB296_1894:                           ;   in Loop: Header=BB296_988 Depth=1
	s_or_b32 exec_lo, exec_lo, s15
	v_lshrrev_b32_e32 v2, 16, v12
	v_cmp_ne_u16_sdwa s4, v2, v4 src0_sel:BYTE_0 src1_sel:DWORD
	s_and_saveexec_b32 s15, s4
	s_cbranch_execz .LBB296_1902
; %bb.1895:                             ;   in Loop: Header=BB296_988 Depth=1
	v_cmp_ne_u16_sdwa s4, v2, v50 src0_sel:BYTE_0 src1_sel:DWORD
	v_mov_b32_e32 v42, 0x8000
	s_and_saveexec_b32 s18, s4
	s_cbranch_execz .LBB296_1901
; %bb.1896:                             ;   in Loop: Header=BB296_988 Depth=1
	v_bfe_u32 v45, v12, 16, 7
	v_mov_b32_e32 v42, 0x7c01
	s_mov_b32 s19, exec_lo
	v_cmpx_ne_u32_e32 0x7f, v45
	s_cbranch_execz .LBB296_1900
; %bb.1897:                             ;   in Loop: Header=BB296_988 Depth=1
	v_and_b32_e32 v3, 7, v2
	v_lshrrev_b32_e32 v42, 3, v45
	s_mov_b32 s20, exec_lo
	v_cmpx_gt_u32_e32 8, v45
; %bb.1898:                             ;   in Loop: Header=BB296_988 Depth=1
	v_ffbh_u32_e32 v3, v3
	v_min_u32_e32 v3, 32, v3
	v_subrev_nc_u32_e32 v42, 28, v3
	v_lshlrev_b64 v[45:46], v42, v[2:3]
	v_sub_nc_u32_e32 v42, 29, v3
	v_and_b32_e32 v3, 7, v45
; %bb.1899:                             ;   in Loop: Header=BB296_988 Depth=1
	s_or_b32 exec_lo, exec_lo, s20
	v_lshlrev_b32_e32 v2, 8, v2
	v_lshl_add_u32 v42, v42, 10, 0x2000
	v_lshlrev_b32_e32 v3, 7, v3
	v_and_b32_e32 v2, 0x8000, v2
	v_and_b32_e32 v42, 0xfc00, v42
	v_or3_b32 v42, v2, v42, v3
.LBB296_1900:                           ;   in Loop: Header=BB296_988 Depth=1
	s_or_b32 exec_lo, exec_lo, s19
.LBB296_1901:                           ;   in Loop: Header=BB296_988 Depth=1
	s_or_b32 exec_lo, exec_lo, s18
.LBB296_1902:                           ;   in Loop: Header=BB296_988 Depth=1
	s_or_b32 exec_lo, exec_lo, s15
	v_mov_b32_e32 v2, 0
	s_mov_b32 s15, exec_lo
	v_cmpx_lt_u64_e64 s[6:7], v[11:12]
	s_cbranch_execz .LBB296_1910
; %bb.1903:                             ;   in Loop: Header=BB296_988 Depth=1
	v_lshrrev_b32_e32 v3, 24, v12
	v_bfrev_b32_e32 v2, 1
	s_mov_b32 s18, exec_lo
	v_cmpx_ne_u32_e32 0x80, v3
	s_cbranch_execz .LBB296_1909
; %bb.1904:                             ;   in Loop: Header=BB296_988 Depth=1
	v_and_b32_e32 v12, 0x7f, v3
	v_mov_b32_e32 v2, 0x7c010000
	s_mov_b32 s19, exec_lo
	v_cmpx_ne_u32_e32 0x7f, v12
	s_cbranch_execz .LBB296_1908
; %bb.1905:                             ;   in Loop: Header=BB296_988 Depth=1
	v_and_b32_e32 v2, 7, v3
	v_lshrrev_b32_e32 v11, 3, v12
	s_mov_b32 s20, exec_lo
	v_cmpx_gt_u32_e32 8, v12
; %bb.1906:                             ;   in Loop: Header=BB296_988 Depth=1
	v_ffbh_u32_e32 v2, v2
	v_min_u32_e32 v2, 32, v2
	v_subrev_nc_u32_e32 v11, 28, v2
	v_lshlrev_b64 v[45:46], v11, v[3:4]
	v_sub_nc_u32_e32 v11, 29, v2
	v_and_b32_e32 v2, 7, v45
; %bb.1907:                             ;   in Loop: Header=BB296_988 Depth=1
	s_or_b32 exec_lo, exec_lo, s20
	v_lshlrev_b32_e32 v3, 8, v3
	v_lshl_add_u32 v11, v11, 10, 0x2000
	v_lshlrev_b32_e32 v2, 23, v2
	v_and_or_b32 v3, 0x8000, v3, v11
	v_lshl_or_b32 v2, v3, 16, v2
.LBB296_1908:                           ;   in Loop: Header=BB296_988 Depth=1
	s_or_b32 exec_lo, exec_lo, s19
.LBB296_1909:                           ;   in Loop: Header=BB296_988 Depth=1
	s_or_b32 exec_lo, exec_lo, s18
.LBB296_1910:                           ;   in Loop: Header=BB296_988 Depth=1
	s_or_b32 exec_lo, exec_lo, s15
	v_or_b32_e32 v3, v40, v41
	s_waitcnt vmcnt(0) lgkmcnt(0)
	v_fma_mixlo_f16 v11, v117, v40, 0 op_sel:[0,1,0] op_sel_hi:[0,1,0]
	v_or_b32_e32 v12, v118, v119
	v_or_b32_e32 v119, v44, v43
	;; [unrolled: 1-line block ×3, first 2 shown]
	v_fma_mixlo_f16 v40, v117, v3, 0 op_sel_hi:[0,1,0]
	v_fma_mixlo_f16 v118, v117, v118, 0 op_sel:[0,1,0] op_sel_hi:[0,1,0]
	v_lshlrev_b32_e32 v3, 16, v11
	v_fma_mixlo_f16 v12, v117, v12, 0 op_sel_hi:[0,1,0]
	v_fma_mixlo_f16 v119, v117, v119, 0 op_sel_hi:[0,1,0]
	v_and_b32_e32 v11, 0xffff, v40
	v_fma_mixlo_f16 v40, v117, v44, 0 op_sel:[0,1,0] op_sel_hi:[0,1,0]
	v_fma_mixlo_f16 v2, v117, v2, 0 op_sel:[0,1,0] op_sel_hi:[0,1,0]
	v_fma_mixlo_f16 v117, v117, v41, 0 op_sel_hi:[0,1,0]
	v_lshlrev_b32_e32 v118, 16, v118
	v_and_b32_e32 v44, 0xffff, v12
	v_lshlrev_b32_e32 v12, 16, v40
	v_and_b32_e32 v40, 0xffff, v119
	;; [unrolled: 2-line block ×3, first 2 shown]
	v_or_b32_e32 v119, v3, v11
	v_or_b32_e32 v43, v118, v44
	;; [unrolled: 1-line block ×4, first 2 shown]
	s_and_saveexec_b32 s15, vcc_lo
	s_cbranch_execz .LBB296_1912
; %bb.1911:                             ;   in Loop: Header=BB296_988 Depth=1
	v_cmp_lt_i32_e64 s4, v55, v28
	v_cndmask_b32_e64 v119, 0, v44, s4
	v_cmp_lt_i32_e64 s4, v83, v28
	v_cndmask_b32_e64 v118, 0, v118, s4
	v_cmp_lt_i32_e64 s4, v82, v28
	v_or_b32_e32 v43, v119, v118
	v_cndmask_b32_e64 v11, 0, v11, s4
	v_cmp_lt_i32_e64 s4, v81, v28
	v_cndmask_b32_e64 v3, 0, v3, s4
	v_cmp_lt_i32_e64 s4, v80, v28
	v_or_b32_e32 v119, v11, v3
	;; [unrolled: 5-line block ×3, first 2 shown]
	v_cndmask_b32_e64 v117, 0, v117, s4
	v_cmp_lt_i32_e64 s4, v31, v28
	v_cndmask_b32_e64 v2, 0, v2, s4
	v_or_b32_e32 v41, v117, v2
.LBB296_1912:                           ;   in Loop: Header=BB296_988 Depth=1
	s_or_b32 exec_lo, exec_lo, s15
	;;#ASMSTART
	v_pk_mul_f16 v2, v68, v43;

	;;#ASMEND
	;;#ASMSTART
	v_pk_mul_f16 v3, v66, v119;

	;;#ASMEND
	;; [unrolled: 4-line block ×4, first 2 shown]
	;;#ASMSTART
	v_pk_add_f16 v2, v2, v3;

	;;#ASMEND
	;;#ASMSTART
	v_pk_add_f16 v2, v2, v11;

	;;#ASMEND
	;; [unrolled: 4-line block ×3, first 2 shown]
	v_and_b32_e32 v3, 0xffff, v2
	v_lshrrev_b32_e32 v2, 16, v2
	;;#ASMSTART
	v_cvt_f32_f16 v11, v3;
	;;#ASMEND
	;;#ASMSTART
	v_cvt_f32_f16 v12, v2;
	;;#ASMEND
	flat_load_dwordx2 v[9:10], v[9:10] offset:1536
	flat_load_dword v117, v[22:23]
	v_mov_b32_e32 v118, 0
	v_mov_b32_e32 v119, 0
	s_waitcnt vmcnt(1) lgkmcnt(1)
	v_cmp_ne_u16_sdwa s4, v9, v4 src0_sel:BYTE_0 src1_sel:DWORD
	s_and_saveexec_b32 s15, s4
	s_cbranch_execz .LBB296_1920
; %bb.1913:                             ;   in Loop: Header=BB296_988 Depth=1
	v_cmp_ne_u16_sdwa s4, v9, v50 src0_sel:BYTE_0 src1_sel:DWORD
	v_mov_b32_e32 v119, 0x8000
	s_and_saveexec_b32 s18, s4
	s_cbranch_execz .LBB296_1919
; %bb.1914:                             ;   in Loop: Header=BB296_988 Depth=1
	v_and_b32_e32 v40, 0x7f, v9
	v_mov_b32_e32 v119, 0x7c01
	s_mov_b32 s19, exec_lo
	v_cmpx_ne_u32_e32 0x7f, v40
	s_cbranch_execz .LBB296_1918
; %bb.1915:                             ;   in Loop: Header=BB296_988 Depth=1
	v_and_b32_e32 v2, 7, v9
	v_lshrrev_b32_e32 v3, 3, v40
	s_mov_b32 s20, exec_lo
	v_cmpx_gt_u32_e32 8, v40
; %bb.1916:                             ;   in Loop: Header=BB296_988 Depth=1
	v_ffbh_u32_e32 v2, v2
	v_min_u32_e32 v119, 32, v2
	v_subrev_nc_u32_e32 v2, 28, v119
	v_lshlrev_b64 v[2:3], v2, v[9:10]
	v_sub_nc_u32_e32 v3, 29, v119
	v_and_b32_e32 v2, 7, v2
; %bb.1917:                             ;   in Loop: Header=BB296_988 Depth=1
	s_or_b32 exec_lo, exec_lo, s20
	v_lshlrev_b32_e32 v119, 8, v9
	v_lshl_add_u32 v3, v3, 10, 0x2000
	v_lshlrev_b32_e32 v2, 7, v2
	v_and_b32_e32 v119, 0x8000, v119
	v_and_b32_e32 v3, 0xfc00, v3
	v_or3_b32 v119, v119, v3, v2
.LBB296_1918:                           ;   in Loop: Header=BB296_988 Depth=1
	s_or_b32 exec_lo, exec_lo, s19
.LBB296_1919:                           ;   in Loop: Header=BB296_988 Depth=1
	s_or_b32 exec_lo, exec_lo, s18
.LBB296_1920:                           ;   in Loop: Header=BB296_988 Depth=1
	s_or_b32 exec_lo, exec_lo, s15
	v_lshrrev_b16 v3, 8, v9
	s_mov_b32 s15, exec_lo
	v_cmpx_ne_u16_e32 0, v3
	s_cbranch_execz .LBB296_1928
; %bb.1921:                             ;   in Loop: Header=BB296_988 Depth=1
	v_bfrev_b32_e32 v118, 1
	s_mov_b32 s18, exec_lo
	v_cmpx_ne_u16_e32 0x80, v3
	s_cbranch_execz .LBB296_1927
; %bb.1922:                             ;   in Loop: Header=BB296_988 Depth=1
	v_and_b32_sdwa v40, v3, v51 dst_sel:DWORD dst_unused:UNUSED_PAD src0_sel:WORD_0 src1_sel:DWORD
	v_mov_b32_e32 v118, 0x7c010000
	s_mov_b32 s19, exec_lo
	v_cmpx_ne_u32_e32 0x7f, v40
	s_cbranch_execz .LBB296_1926
; %bb.1923:                             ;   in Loop: Header=BB296_988 Depth=1
	v_and_b32_sdwa v2, v3, v52 dst_sel:DWORD dst_unused:UNUSED_PAD src0_sel:WORD_0 src1_sel:DWORD
	v_lshrrev_b32_e32 v118, 3, v40
	s_mov_b32 s20, exec_lo
	v_cmpx_gt_u32_e32 8, v40
; %bb.1924:                             ;   in Loop: Header=BB296_988 Depth=1
	v_ffbh_u32_e32 v2, v2
	v_min_u32_e32 v2, 32, v2
	v_subrev_nc_u32_e32 v118, 28, v2
	v_lshlrev_b64 v[40:41], v118, v[3:4]
	v_sub_nc_u32_e32 v118, 29, v2
	v_and_b32_e32 v2, 7, v40
; %bb.1925:                             ;   in Loop: Header=BB296_988 Depth=1
	s_or_b32 exec_lo, exec_lo, s20
	v_lshlrev_b32_sdwa v3, v53, v3 dst_sel:DWORD dst_unused:UNUSED_PAD src0_sel:DWORD src1_sel:WORD_0
	v_lshl_add_u32 v118, v118, 10, 0x2000
	v_lshlrev_b32_e32 v2, 23, v2
	v_and_or_b32 v3, 0x8000, v3, v118
	v_lshl_or_b32 v118, v3, 16, v2
.LBB296_1926:                           ;   in Loop: Header=BB296_988 Depth=1
	s_or_b32 exec_lo, exec_lo, s19
.LBB296_1927:                           ;   in Loop: Header=BB296_988 Depth=1
	s_or_b32 exec_lo, exec_lo, s18
.LBB296_1928:                           ;   in Loop: Header=BB296_988 Depth=1
	s_or_b32 exec_lo, exec_lo, s15
	v_lshrrev_b32_e32 v2, 16, v9
	v_mov_b32_e32 v40, 0
	v_mov_b32_e32 v41, 0
	v_cmp_ne_u16_sdwa s4, v2, v4 src0_sel:BYTE_0 src1_sel:DWORD
	s_and_saveexec_b32 s15, s4
	s_cbranch_execz .LBB296_1936
; %bb.1929:                             ;   in Loop: Header=BB296_988 Depth=1
	v_cmp_ne_u16_sdwa s4, v2, v50 src0_sel:BYTE_0 src1_sel:DWORD
	v_mov_b32_e32 v41, 0x8000
	s_and_saveexec_b32 s18, s4
	s_cbranch_execz .LBB296_1935
; %bb.1930:                             ;   in Loop: Header=BB296_988 Depth=1
	v_bfe_u32 v42, v9, 16, 7
	v_mov_b32_e32 v41, 0x7c01
	s_mov_b32 s19, exec_lo
	v_cmpx_ne_u32_e32 0x7f, v42
	s_cbranch_execz .LBB296_1934
; %bb.1931:                             ;   in Loop: Header=BB296_988 Depth=1
	v_and_b32_e32 v3, 7, v2
	v_lshrrev_b32_e32 v41, 3, v42
	s_mov_b32 s20, exec_lo
	v_cmpx_gt_u32_e32 8, v42
; %bb.1932:                             ;   in Loop: Header=BB296_988 Depth=1
	v_ffbh_u32_e32 v3, v3
	v_min_u32_e32 v3, 32, v3
	v_subrev_nc_u32_e32 v41, 28, v3
	v_lshlrev_b64 v[42:43], v41, v[2:3]
	v_sub_nc_u32_e32 v41, 29, v3
	v_and_b32_e32 v3, 7, v42
; %bb.1933:                             ;   in Loop: Header=BB296_988 Depth=1
	s_or_b32 exec_lo, exec_lo, s20
	v_lshlrev_b32_e32 v2, 8, v2
	v_lshl_add_u32 v41, v41, 10, 0x2000
	v_lshlrev_b32_e32 v3, 7, v3
	v_and_b32_e32 v2, 0x8000, v2
	v_and_b32_e32 v41, 0xfc00, v41
	v_or3_b32 v41, v2, v41, v3
.LBB296_1934:                           ;   in Loop: Header=BB296_988 Depth=1
	s_or_b32 exec_lo, exec_lo, s19
.LBB296_1935:                           ;   in Loop: Header=BB296_988 Depth=1
	s_or_b32 exec_lo, exec_lo, s18
.LBB296_1936:                           ;   in Loop: Header=BB296_988 Depth=1
	s_or_b32 exec_lo, exec_lo, s15
	s_mov_b32 s15, exec_lo
	v_cmpx_lt_u32_e32 0xffffff, v9
	s_cbranch_execz .LBB296_1944
; %bb.1937:                             ;   in Loop: Header=BB296_988 Depth=1
	v_lshrrev_b32_e32 v3, 24, v9
	v_bfrev_b32_e32 v40, 1
	s_mov_b32 s18, exec_lo
	v_cmpx_ne_u32_e32 0x80, v3
	s_cbranch_execz .LBB296_1943
; %bb.1938:                             ;   in Loop: Header=BB296_988 Depth=1
	v_and_b32_e32 v42, 0x7f, v3
	v_mov_b32_e32 v40, 0x7c010000
	s_mov_b32 s19, exec_lo
	v_cmpx_ne_u32_e32 0x7f, v42
	s_cbranch_execz .LBB296_1942
; %bb.1939:                             ;   in Loop: Header=BB296_988 Depth=1
	v_and_b32_e32 v2, 7, v3
	v_lshrrev_b32_e32 v40, 3, v42
	s_mov_b32 s20, exec_lo
	v_cmpx_gt_u32_e32 8, v42
; %bb.1940:                             ;   in Loop: Header=BB296_988 Depth=1
	v_ffbh_u32_e32 v2, v2
	v_min_u32_e32 v2, 32, v2
	v_subrev_nc_u32_e32 v40, 28, v2
	v_lshlrev_b64 v[42:43], v40, v[3:4]
	v_sub_nc_u32_e32 v40, 29, v2
	v_and_b32_e32 v2, 7, v42
; %bb.1941:                             ;   in Loop: Header=BB296_988 Depth=1
	s_or_b32 exec_lo, exec_lo, s20
	v_lshlrev_b32_e32 v3, 8, v3
	v_lshl_add_u32 v40, v40, 10, 0x2000
	v_lshlrev_b32_e32 v2, 23, v2
	v_and_or_b32 v3, 0x8000, v3, v40
	v_lshl_or_b32 v40, v3, 16, v2
.LBB296_1942:                           ;   in Loop: Header=BB296_988 Depth=1
	s_or_b32 exec_lo, exec_lo, s19
.LBB296_1943:                           ;   in Loop: Header=BB296_988 Depth=1
	s_or_b32 exec_lo, exec_lo, s18
.LBB296_1944:                           ;   in Loop: Header=BB296_988 Depth=1
	s_or_b32 exec_lo, exec_lo, s15
	v_mov_b32_e32 v3, v10
	v_cmp_ne_u16_sdwa s4, v10, v4 src0_sel:BYTE_0 src1_sel:DWORD
	v_mov_b32_e32 v42, 0
	v_mov_b32_e32 v43, 0
	s_and_saveexec_b32 s15, s4
	s_cbranch_execz .LBB296_1952
; %bb.1945:                             ;   in Loop: Header=BB296_988 Depth=1
	v_cmp_ne_u16_sdwa s4, v10, v50 src0_sel:BYTE_0 src1_sel:DWORD
	v_mov_b32_e32 v43, 0x8000
	s_and_saveexec_b32 s18, s4
	s_cbranch_execz .LBB296_1951
; %bb.1946:                             ;   in Loop: Header=BB296_988 Depth=1
	v_and_b32_e32 v44, 0x7f, v10
	v_mov_b32_e32 v43, 0x7c01
	s_mov_b32 s19, exec_lo
	v_cmpx_ne_u32_e32 0x7f, v44
	s_cbranch_execz .LBB296_1950
; %bb.1947:                             ;   in Loop: Header=BB296_988 Depth=1
	v_and_b32_e32 v2, 7, v10
	v_lshrrev_b32_e32 v43, 3, v44
	s_mov_b32 s20, exec_lo
	v_cmpx_gt_u32_e32 8, v44
; %bb.1948:                             ;   in Loop: Header=BB296_988 Depth=1
	v_ffbh_u32_e32 v2, v2
	v_min_u32_e32 v2, 32, v2
	v_subrev_nc_u32_e32 v43, 28, v2
	v_lshlrev_b64 v[44:45], v43, v[3:4]
	v_sub_nc_u32_e32 v43, 29, v2
	v_and_b32_e32 v2, 7, v44
; %bb.1949:                             ;   in Loop: Header=BB296_988 Depth=1
	s_or_b32 exec_lo, exec_lo, s20
	v_lshlrev_b32_e32 v44, 8, v10
	v_lshl_add_u32 v43, v43, 10, 0x2000
	v_lshlrev_b32_e32 v2, 7, v2
	v_and_b32_e32 v44, 0x8000, v44
	v_and_b32_e32 v43, 0xfc00, v43
	v_or3_b32 v43, v44, v43, v2
.LBB296_1950:                           ;   in Loop: Header=BB296_988 Depth=1
	s_or_b32 exec_lo, exec_lo, s19
.LBB296_1951:                           ;   in Loop: Header=BB296_988 Depth=1
	s_or_b32 exec_lo, exec_lo, s18
.LBB296_1952:                           ;   in Loop: Header=BB296_988 Depth=1
	s_or_b32 exec_lo, exec_lo, s15
	v_lshrrev_b16 v3, 8, v3
	v_mov_b32_e32 v44, 0
	s_mov_b32 s15, exec_lo
	v_cmpx_ne_u16_e32 0, v3
	s_cbranch_execz .LBB296_1960
; %bb.1953:                             ;   in Loop: Header=BB296_988 Depth=1
	v_bfrev_b32_e32 v44, 1
	s_mov_b32 s18, exec_lo
	v_cmpx_ne_u16_e32 0x80, v3
	s_cbranch_execz .LBB296_1959
; %bb.1954:                             ;   in Loop: Header=BB296_988 Depth=1
	v_and_b32_sdwa v45, v3, v51 dst_sel:DWORD dst_unused:UNUSED_PAD src0_sel:WORD_0 src1_sel:DWORD
	v_mov_b32_e32 v44, 0x7c010000
	s_mov_b32 s19, exec_lo
	v_cmpx_ne_u32_e32 0x7f, v45
	s_cbranch_execz .LBB296_1958
; %bb.1955:                             ;   in Loop: Header=BB296_988 Depth=1
	v_and_b32_sdwa v2, v3, v52 dst_sel:DWORD dst_unused:UNUSED_PAD src0_sel:WORD_0 src1_sel:DWORD
	v_lshrrev_b32_e32 v44, 3, v45
	s_mov_b32 s20, exec_lo
	v_cmpx_gt_u32_e32 8, v45
; %bb.1956:                             ;   in Loop: Header=BB296_988 Depth=1
	v_ffbh_u32_e32 v2, v2
	v_min_u32_e32 v2, 32, v2
	v_subrev_nc_u32_e32 v44, 28, v2
	v_lshlrev_b64 v[45:46], v44, v[3:4]
	v_sub_nc_u32_e32 v44, 29, v2
	v_and_b32_e32 v2, 7, v45
; %bb.1957:                             ;   in Loop: Header=BB296_988 Depth=1
	s_or_b32 exec_lo, exec_lo, s20
	v_lshlrev_b32_sdwa v3, v53, v3 dst_sel:DWORD dst_unused:UNUSED_PAD src0_sel:DWORD src1_sel:WORD_0
	v_lshl_add_u32 v44, v44, 10, 0x2000
	v_lshlrev_b32_e32 v2, 23, v2
	v_and_or_b32 v3, 0x8000, v3, v44
	v_lshl_or_b32 v44, v3, 16, v2
.LBB296_1958:                           ;   in Loop: Header=BB296_988 Depth=1
	s_or_b32 exec_lo, exec_lo, s19
.LBB296_1959:                           ;   in Loop: Header=BB296_988 Depth=1
	s_or_b32 exec_lo, exec_lo, s18
.LBB296_1960:                           ;   in Loop: Header=BB296_988 Depth=1
	s_or_b32 exec_lo, exec_lo, s15
	v_lshrrev_b32_e32 v2, 16, v10
	v_cmp_ne_u16_sdwa s4, v2, v4 src0_sel:BYTE_0 src1_sel:DWORD
	s_and_saveexec_b32 s15, s4
	s_cbranch_execz .LBB296_1968
; %bb.1961:                             ;   in Loop: Header=BB296_988 Depth=1
	v_cmp_ne_u16_sdwa s4, v2, v50 src0_sel:BYTE_0 src1_sel:DWORD
	v_mov_b32_e32 v42, 0x8000
	s_and_saveexec_b32 s18, s4
	s_cbranch_execz .LBB296_1967
; %bb.1962:                             ;   in Loop: Header=BB296_988 Depth=1
	v_bfe_u32 v45, v10, 16, 7
	v_mov_b32_e32 v42, 0x7c01
	s_mov_b32 s19, exec_lo
	v_cmpx_ne_u32_e32 0x7f, v45
	s_cbranch_execz .LBB296_1966
; %bb.1963:                             ;   in Loop: Header=BB296_988 Depth=1
	v_and_b32_e32 v3, 7, v2
	v_lshrrev_b32_e32 v42, 3, v45
	s_mov_b32 s20, exec_lo
	v_cmpx_gt_u32_e32 8, v45
; %bb.1964:                             ;   in Loop: Header=BB296_988 Depth=1
	v_ffbh_u32_e32 v3, v3
	v_min_u32_e32 v3, 32, v3
	v_subrev_nc_u32_e32 v42, 28, v3
	v_lshlrev_b64 v[45:46], v42, v[2:3]
	v_sub_nc_u32_e32 v42, 29, v3
	v_and_b32_e32 v3, 7, v45
; %bb.1965:                             ;   in Loop: Header=BB296_988 Depth=1
	s_or_b32 exec_lo, exec_lo, s20
	v_lshlrev_b32_e32 v2, 8, v2
	v_lshl_add_u32 v42, v42, 10, 0x2000
	v_lshlrev_b32_e32 v3, 7, v3
	v_and_b32_e32 v2, 0x8000, v2
	v_and_b32_e32 v42, 0xfc00, v42
	v_or3_b32 v42, v2, v42, v3
.LBB296_1966:                           ;   in Loop: Header=BB296_988 Depth=1
	s_or_b32 exec_lo, exec_lo, s19
.LBB296_1967:                           ;   in Loop: Header=BB296_988 Depth=1
	s_or_b32 exec_lo, exec_lo, s18
.LBB296_1968:                           ;   in Loop: Header=BB296_988 Depth=1
	s_or_b32 exec_lo, exec_lo, s15
	v_mov_b32_e32 v2, 0
	s_mov_b32 s15, exec_lo
	v_cmpx_lt_u64_e64 s[6:7], v[9:10]
	s_cbranch_execz .LBB296_1976
; %bb.1969:                             ;   in Loop: Header=BB296_988 Depth=1
	v_lshrrev_b32_e32 v3, 24, v10
	v_bfrev_b32_e32 v2, 1
	s_mov_b32 s18, exec_lo
	v_cmpx_ne_u32_e32 0x80, v3
	s_cbranch_execz .LBB296_1975
; %bb.1970:                             ;   in Loop: Header=BB296_988 Depth=1
	v_and_b32_e32 v10, 0x7f, v3
	v_mov_b32_e32 v2, 0x7c010000
	s_mov_b32 s19, exec_lo
	v_cmpx_ne_u32_e32 0x7f, v10
	s_cbranch_execz .LBB296_1974
; %bb.1971:                             ;   in Loop: Header=BB296_988 Depth=1
	v_and_b32_e32 v2, 7, v3
	v_lshrrev_b32_e32 v9, 3, v10
	s_mov_b32 s20, exec_lo
	v_cmpx_gt_u32_e32 8, v10
; %bb.1972:                             ;   in Loop: Header=BB296_988 Depth=1
	v_ffbh_u32_e32 v2, v2
	v_min_u32_e32 v2, 32, v2
	v_subrev_nc_u32_e32 v9, 28, v2
	v_lshlrev_b64 v[45:46], v9, v[3:4]
	v_sub_nc_u32_e32 v9, 29, v2
	v_and_b32_e32 v2, 7, v45
; %bb.1973:                             ;   in Loop: Header=BB296_988 Depth=1
	s_or_b32 exec_lo, exec_lo, s20
	v_lshlrev_b32_e32 v3, 8, v3
	v_lshl_add_u32 v9, v9, 10, 0x2000
	v_lshlrev_b32_e32 v2, 23, v2
	v_and_or_b32 v3, 0x8000, v3, v9
	v_lshl_or_b32 v2, v3, 16, v2
.LBB296_1974:                           ;   in Loop: Header=BB296_988 Depth=1
	s_or_b32 exec_lo, exec_lo, s19
.LBB296_1975:                           ;   in Loop: Header=BB296_988 Depth=1
	s_or_b32 exec_lo, exec_lo, s18
.LBB296_1976:                           ;   in Loop: Header=BB296_988 Depth=1
	s_or_b32 exec_lo, exec_lo, s15
	v_or_b32_e32 v3, v40, v41
	s_waitcnt vmcnt(0) lgkmcnt(0)
	v_fma_mixlo_f16 v9, v117, v40, 0 op_sel:[0,1,0] op_sel_hi:[0,1,0]
	v_or_b32_e32 v10, v118, v119
	v_fma_mixlo_f16 v119, v117, v118, 0 op_sel:[0,1,0] op_sel_hi:[0,1,0]
	v_or_b32_e32 v40, v44, v43
	v_fma_mixlo_f16 v3, v117, v3, 0 op_sel_hi:[0,1,0]
	v_or_b32_e32 v41, v2, v42
	v_lshlrev_b32_e32 v118, 16, v9
	v_lshlrev_b32_e32 v42, 16, v119
	v_fma_mixlo_f16 v9, v117, v10, 0 op_sel_hi:[0,1,0]
	v_and_b32_e32 v119, 0xffff, v3
	v_fma_mixlo_f16 v3, v117, v44, 0 op_sel:[0,1,0] op_sel_hi:[0,1,0]
	v_fma_mixlo_f16 v10, v117, v40, 0 op_sel_hi:[0,1,0]
	v_fma_mixlo_f16 v2, v117, v2, 0 op_sel:[0,1,0] op_sel_hi:[0,1,0]
	v_fma_mixlo_f16 v41, v117, v41, 0 op_sel_hi:[0,1,0]
	v_and_b32_e32 v44, 0xffff, v9
	v_lshlrev_b32_e32 v40, 16, v3
	v_and_b32_e32 v43, 0xffff, v10
	v_lshlrev_b32_e32 v117, 16, v2
	v_and_b32_e32 v41, 0xffff, v41
	v_or_b32_e32 v2, v118, v119
	v_or_b32_e32 v10, v42, v44
	;; [unrolled: 1-line block ×4, first 2 shown]
	s_and_saveexec_b32 s4, vcc_lo
	s_cbranch_execz .LBB296_987
; %bb.1977:                             ;   in Loop: Header=BB296_988 Depth=1
	v_cmp_lt_i32_e32 vcc_lo, v55, v28
	v_cndmask_b32_e32 v2, 0, v44, vcc_lo
	v_cmp_lt_i32_e32 vcc_lo, v83, v28
	v_cndmask_b32_e32 v3, 0, v42, vcc_lo
	v_cmp_lt_i32_e32 vcc_lo, v82, v28
	v_or_b32_e32 v10, v2, v3
	v_cndmask_b32_e32 v9, 0, v119, vcc_lo
	v_cmp_lt_i32_e32 vcc_lo, v81, v28
	v_cndmask_b32_e32 v55, 0, v118, vcc_lo
	v_cmp_lt_i32_e32 vcc_lo, v80, v28
	v_or_b32_e32 v2, v9, v55
	;; [unrolled: 5-line block ×3, first 2 shown]
	v_cndmask_b32_e32 v70, 0, v41, vcc_lo
	v_cmp_lt_i32_e32 vcc_lo, v31, v28
	v_cndmask_b32_e32 v81, 0, v117, vcc_lo
	v_or_b32_e32 v3, v70, v81
	s_branch .LBB296_987
.LBB296_1978:
	s_or_b32 exec_lo, exec_lo, s13
	v_mov_b32_e32 v4, s16
	v_mov_b32_e32 v5, s17
.LBB296_1979:
	s_or_b32 exec_lo, exec_lo, s5
	ds_bpermute_b32 v12, v14, v20
	s_waitcnt lgkmcnt(0)
	s_barrier
	buffer_gl0_inv
	v_lshlrev_b64 v[0:1], 2, v[4:5]
	s_getpc_b64 s[4:5]
	s_add_u32 s4, s4, llvm.amdgcn.dynlds.offset.table@rel32@lo+4
	s_addc_u32 s5, s5, llvm.amdgcn.dynlds.offset.table@rel32@hi+12
	ds_bpermute_b32 v9, v14, v25
	ds_bpermute_b32 v19, v14, v17
	;; [unrolled: 1-line block ×4, first 2 shown]
	v_add_co_u32 v0, vcc_lo, s4, v0
	v_add_co_ci_u32_e64 v1, null, s5, v1, vcc_lo
	ds_bpermute_b32 v4, v14, v36
	ds_bpermute_b32 v5, v14, v35
	;; [unrolled: 1-line block ×3, first 2 shown]
	global_load_dword v18, v[0:1], off
	ds_bpermute_b32 v0, v14, v37
	ds_bpermute_b32 v1, v14, v48
	v_add_f32_e32 v20, v20, v12
	buffer_load_dword v12, off, s[0:3], s32 offset:332 ; 4-byte Folded Reload
	ds_bpermute_b32 v7, v14, v33
	ds_bpermute_b32 v8, v14, v32
	;; [unrolled: 1-line block ×4, first 2 shown]
	s_waitcnt lgkmcnt(12)
	v_add_f32_e32 v23, v25, v9
	s_waitcnt lgkmcnt(11)
	v_add_f32_e32 v25, v17, v19
	ds_bpermute_b32 v14, v14, v16
	s_waitcnt lgkmcnt(11)
	v_add_f32_e32 v2, v39, v2
	s_waitcnt lgkmcnt(10)
	v_add_f32_e32 v3, v38, v3
	ds_bpermute_b32 v31, v13, v23
	s_mov_b32 s4, exec_lo
	s_waitcnt lgkmcnt(10)
	v_add_f32_e32 v4, v36, v4
	s_waitcnt lgkmcnt(9)
	v_add_f32_e32 v5, v35, v5
	;; [unrolled: 2-line block ×3, first 2 shown]
	ds_bpermute_b32 v34, v13, v20
	s_waitcnt lgkmcnt(8)
	v_add_f32_e32 v0, v37, v0
	s_waitcnt lgkmcnt(7)
	v_add_f32_e32 v1, v48, v1
	ds_bpermute_b32 v26, v13, v4
	ds_bpermute_b32 v27, v13, v5
	s_waitcnt lgkmcnt(8)
	v_add_f32_e32 v7, v33, v7
	s_waitcnt lgkmcnt(7)
	v_add_f32_e32 v22, v32, v8
	;; [unrolled: 2-line block ×4, first 2 shown]
	ds_bpermute_b32 v8, v13, v0
	ds_bpermute_b32 v9, v13, v1
	s_waitcnt lgkmcnt(6)
	v_add_f32_e32 v16, v16, v14
	ds_bpermute_b32 v10, v13, v2
	ds_bpermute_b32 v11, v13, v3
	;; [unrolled: 1-line block ×9, first 2 shown]
	s_waitcnt lgkmcnt(10)
	v_add_f32_e32 v14, v0, v8
	s_waitcnt lgkmcnt(9)
	v_add_f32_e32 v13, v1, v9
	v_add_f32_e32 v9, v5, v27
	v_add_f32_e32 v5, v23, v31
	s_waitcnt lgkmcnt(7)
	v_add_f32_e32 v11, v3, v11
	s_waitcnt lgkmcnt(6)
	v_add_f32_e32 v8, v6, v28
	;; [unrolled: 2-line block ×7, first 2 shown]
	s_waitcnt vmcnt(0)
	v_lshrrev_b32_e32 v17, 2, v12
	v_and_b32_e32 v37, 28, v12
	buffer_load_dword v12, off, s[0:3], s32 offset:336 ; 4-byte Folded Reload
	v_add_nc_u32_e32 v16, v18, v37
	s_waitcnt vmcnt(0)
	v_mul_u32_u24_e32 v19, 0x1e0, v12
	buffer_load_dword v12, off, s[0:3], s32 offset:328 ; 4-byte Folded Reload
	s_waitcnt vmcnt(0)
	v_and_b32_e32 v38, 0x3c3, v12
	v_add_f32_e32 v12, v2, v10
	v_add_f32_e32 v10, v4, v26
	;; [unrolled: 1-line block ×4, first 2 shown]
	v_cmpx_eq_u32_e32 64, v38
	s_cbranch_execz .LBB296_1981
; %bb.1980:
	v_add_nc_u32_e32 v20, v16, v19
	v_add_nc_u32_e32 v21, 0xfffffc40, v20
	;; [unrolled: 1-line block ×6, first 2 shown]
	ds_write_b32 v21, v14
	ds_write_b32 v22, v13
	;; [unrolled: 1-line block ×5, first 2 shown]
	v_add_nc_u32_e32 v21, 0xfffffce0, v20
	v_add_nc_u32_e32 v22, 0xfffffd00, v20
	;; [unrolled: 1-line block ×5, first 2 shown]
	ds_write_b32 v21, v9
	ds_write_b32 v22, v8
	;; [unrolled: 1-line block ×5, first 2 shown]
	v_add_nc_u32_e32 v21, 0xfffffd80, v20
	v_add_nc_u32_e32 v22, 0xfffffda0, v20
	;; [unrolled: 1-line block ×5, first 2 shown]
	ds_write_b32 v21, v4
	ds_write_b32 v22, v3
	;; [unrolled: 1-line block ×5, first 2 shown]
.LBB296_1981:
	s_or_b32 exec_lo, exec_lo, s4
	v_lshlrev_b32_e32 v17, 2, v17
	v_cmp_eq_u32_e32 vcc_lo, 0, v15
	s_mov_b32 s5, exec_lo
	v_add3_u32 v15, v18, v19, v17
	buffer_load_dword v18, off, s[0:3], s32 offset:328 ; 4-byte Folded Reload
	s_waitcnt vmcnt(0) lgkmcnt(0)
	s_barrier
	buffer_gl0_inv
	v_cmpx_gt_u32_e32 64, v18
	s_cbranch_execz .LBB296_1999
; %bb.1982:
	s_and_saveexec_b32 s4, vcc_lo
	s_cbranch_execnz .LBB296_2022
; %bb.1983:
	s_or_b32 exec_lo, exec_lo, s4
	s_and_saveexec_b32 s4, vcc_lo
	s_cbranch_execnz .LBB296_2023
.LBB296_1984:
	s_or_b32 exec_lo, exec_lo, s4
	s_and_saveexec_b32 s4, vcc_lo
	s_cbranch_execnz .LBB296_2024
.LBB296_1985:
	s_or_b32 exec_lo, exec_lo, s4
	s_and_saveexec_b32 s4, vcc_lo
	s_cbranch_execnz .LBB296_2025
.LBB296_1986:
	s_or_b32 exec_lo, exec_lo, s4
	s_and_saveexec_b32 s4, vcc_lo
	s_cbranch_execnz .LBB296_2026
.LBB296_1987:
	s_or_b32 exec_lo, exec_lo, s4
	s_and_saveexec_b32 s4, vcc_lo
	s_cbranch_execnz .LBB296_2027
.LBB296_1988:
	s_or_b32 exec_lo, exec_lo, s4
	s_and_saveexec_b32 s4, vcc_lo
	s_cbranch_execnz .LBB296_2028
.LBB296_1989:
	s_or_b32 exec_lo, exec_lo, s4
	s_and_saveexec_b32 s4, vcc_lo
	s_cbranch_execnz .LBB296_2029
.LBB296_1990:
	s_or_b32 exec_lo, exec_lo, s4
	s_and_saveexec_b32 s4, vcc_lo
	s_cbranch_execnz .LBB296_2030
.LBB296_1991:
	s_or_b32 exec_lo, exec_lo, s4
	s_and_saveexec_b32 s4, vcc_lo
	s_cbranch_execnz .LBB296_2031
.LBB296_1992:
	s_or_b32 exec_lo, exec_lo, s4
	s_and_saveexec_b32 s4, vcc_lo
	s_cbranch_execnz .LBB296_2032
.LBB296_1993:
	s_or_b32 exec_lo, exec_lo, s4
	s_and_saveexec_b32 s4, vcc_lo
	s_cbranch_execnz .LBB296_2033
.LBB296_1994:
	s_or_b32 exec_lo, exec_lo, s4
	s_and_saveexec_b32 s4, vcc_lo
	s_cbranch_execnz .LBB296_2034
.LBB296_1995:
	s_or_b32 exec_lo, exec_lo, s4
	s_and_saveexec_b32 s4, vcc_lo
	s_cbranch_execnz .LBB296_2035
.LBB296_1996:
	s_or_b32 exec_lo, exec_lo, s4
	s_and_saveexec_b32 s4, vcc_lo
	s_cbranch_execz .LBB296_1998
.LBB296_1997:
	ds_read_b32 v17, v15 offset:448
	s_waitcnt lgkmcnt(0)
	v_add_f32_e32 v0, v17, v0
.LBB296_1998:
	s_or_b32 exec_lo, exec_lo, s4
.LBB296_1999:
	s_or_b32 exec_lo, exec_lo, s5
	v_and_b32_e32 v17, 0x3e3, v18
	s_mov_b32 s5, exec_lo
	s_barrier
	buffer_gl0_inv
	v_cmpx_eq_u32_e32 32, v17
	s_cbranch_execz .LBB296_2001
; %bb.2000:
	ds_write2_b32 v16, v14, v13 offset1:8
	ds_write2_b32 v16, v12, v11 offset0:16 offset1:24
	ds_write2_b32 v16, v10, v9 offset0:32 offset1:40
	ds_write2_b32 v16, v8, v7 offset0:48 offset1:56
	ds_write2_b32 v16, v6, v5 offset0:64 offset1:72
	ds_write2_b32 v16, v4, v3 offset0:80 offset1:88
	ds_write2_b32 v16, v2, v1 offset0:96 offset1:104
	ds_write_b32 v16, v0 offset:448
.LBB296_2001:
	s_or_b32 exec_lo, exec_lo, s5
	s_mov_b32 s5, exec_lo
	s_waitcnt lgkmcnt(0)
	s_barrier
	buffer_gl0_inv
	v_cmpx_gt_u32_e32 32, v18
	s_cbranch_execz .LBB296_2019
; %bb.2002:
	s_and_saveexec_b32 s4, vcc_lo
	s_cbranch_execnz .LBB296_2036
; %bb.2003:
	s_or_b32 exec_lo, exec_lo, s4
	s_and_saveexec_b32 s4, vcc_lo
	s_cbranch_execnz .LBB296_2037
.LBB296_2004:
	s_or_b32 exec_lo, exec_lo, s4
	s_and_saveexec_b32 s4, vcc_lo
	s_cbranch_execnz .LBB296_2038
.LBB296_2005:
	s_or_b32 exec_lo, exec_lo, s4
	s_and_saveexec_b32 s4, vcc_lo
	s_cbranch_execnz .LBB296_2039
.LBB296_2006:
	s_or_b32 exec_lo, exec_lo, s4
	s_and_saveexec_b32 s4, vcc_lo
	s_cbranch_execnz .LBB296_2040
.LBB296_2007:
	s_or_b32 exec_lo, exec_lo, s4
	s_and_saveexec_b32 s4, vcc_lo
	s_cbranch_execnz .LBB296_2041
.LBB296_2008:
	s_or_b32 exec_lo, exec_lo, s4
	s_and_saveexec_b32 s4, vcc_lo
	s_cbranch_execnz .LBB296_2042
.LBB296_2009:
	s_or_b32 exec_lo, exec_lo, s4
	s_and_saveexec_b32 s4, vcc_lo
	s_cbranch_execnz .LBB296_2043
.LBB296_2010:
	s_or_b32 exec_lo, exec_lo, s4
	s_and_saveexec_b32 s4, vcc_lo
	s_cbranch_execnz .LBB296_2044
.LBB296_2011:
	s_or_b32 exec_lo, exec_lo, s4
	s_and_saveexec_b32 s4, vcc_lo
	s_cbranch_execnz .LBB296_2045
.LBB296_2012:
	s_or_b32 exec_lo, exec_lo, s4
	s_and_saveexec_b32 s4, vcc_lo
	s_cbranch_execnz .LBB296_2046
.LBB296_2013:
	s_or_b32 exec_lo, exec_lo, s4
	s_and_saveexec_b32 s4, vcc_lo
	s_cbranch_execnz .LBB296_2047
.LBB296_2014:
	s_or_b32 exec_lo, exec_lo, s4
	s_and_saveexec_b32 s4, vcc_lo
	s_cbranch_execnz .LBB296_2048
.LBB296_2015:
	s_or_b32 exec_lo, exec_lo, s4
	s_and_saveexec_b32 s4, vcc_lo
	s_cbranch_execnz .LBB296_2049
.LBB296_2016:
	s_or_b32 exec_lo, exec_lo, s4
	s_and_saveexec_b32 s4, vcc_lo
	s_cbranch_execz .LBB296_2018
.LBB296_2017:
	ds_read_b32 v15, v15 offset:448
	s_waitcnt lgkmcnt(0)
	v_add_f32_e32 v0, v15, v0
.LBB296_2018:
	s_or_b32 exec_lo, exec_lo, s4
.LBB296_2019:
	s_or_b32 exec_lo, exec_lo, s5
	s_mov_b32 s4, exec_lo
	s_barrier
	buffer_gl0_inv
	v_cmpx_eq_u32_e32 0, v17
	s_cbranch_execz .LBB296_2021
; %bb.2020:
	s_clause 0x1
	buffer_load_dword v16, off, s[0:3], s32 offset:344
	buffer_load_dword v17, off, s[0:3], s32 offset:340
	s_and_b32 s5, 0xffff, s9
	s_mul_i32 s6, s14, 0x78
	s_cmp_lg_u32 s5, 0
	v_lshrrev_b32_e32 v15, 1, v18
	s_cselect_b32 s5, -1, 0
	;;#ASMSTART
	v_cvt_f16_f32 v14, v14;

	;;#ASMEND
	s_cmp_lg_u32 s5, 0
	s_addc_u32 s5, s8, 0
	s_mul_i32 s7, s5, s10
	s_mul_i32 s10, s12, s5
	;; [unrolled: 1-line block ×3, first 2 shown]
	s_ashr_i32 s11, s10, 31
	s_mulk_i32 s8, 0x78
	s_ashr_i32 s7, s6, 31
	s_ashr_i32 s9, s8, 31
	s_lshl_b64 s[6:7], s[6:7], 1
	s_lshl_b64 s[8:9], s[8:9], 1
	s_waitcnt vmcnt(1)
	v_add_co_u32 v16, vcc_lo, v16, s8
	s_waitcnt vmcnt(0)
	v_add_co_ci_u32_e64 v17, null, s9, v17, vcc_lo
	s_lshl_b64 s[8:9], s[10:11], 1
	v_add_co_u32 v16, vcc_lo, v16, s8
	v_add_co_ci_u32_e64 v17, null, s9, v17, vcc_lo
	v_add_co_u32 v16, vcc_lo, v16, s6
	v_add_co_ci_u32_e64 v17, null, s7, v17, vcc_lo
	v_add_co_u32 v15, vcc_lo, v16, v15
	v_add_co_ci_u32_e64 v16, null, 0, v17, vcc_lo
	flat_store_short v[15:16], v14
	;;#ASMSTART
	v_cvt_f16_f32 v13, v13;

	;;#ASMEND
	flat_store_short v[15:16], v13 offset:16
	;;#ASMSTART
	v_cvt_f16_f32 v12, v12;

	;;#ASMEND
	flat_store_short v[15:16], v12 offset:32
	;; [unrolled: 5-line block ×14, first 2 shown]
.LBB296_2021:
	s_or_b32 exec_lo, exec_lo, s4
	s_clause 0x2f
	buffer_load_dword v127, off, s[0:3], s32
	buffer_load_dword v126, off, s[0:3], s32 offset:4
	buffer_load_dword v125, off, s[0:3], s32 offset:8
	;; [unrolled: 1-line block ×47, first 2 shown]
	s_waitcnt vmcnt(0) lgkmcnt(0)
	s_setpc_b64 s[30:31]
.LBB296_2022:
	ds_read_b32 v17, v15
	s_waitcnt lgkmcnt(0)
	v_add_f32_e32 v14, v17, v14
	s_or_b32 exec_lo, exec_lo, s4
	s_and_saveexec_b32 s4, vcc_lo
	s_cbranch_execz .LBB296_1984
.LBB296_2023:
	ds_read_b32 v17, v15 offset:32
	s_waitcnt lgkmcnt(0)
	v_add_f32_e32 v13, v17, v13
	s_or_b32 exec_lo, exec_lo, s4
	s_and_saveexec_b32 s4, vcc_lo
	s_cbranch_execz .LBB296_1985
.LBB296_2024:
	ds_read_b32 v17, v15 offset:64
	s_waitcnt lgkmcnt(0)
	v_add_f32_e32 v12, v17, v12
	s_or_b32 exec_lo, exec_lo, s4
	s_and_saveexec_b32 s4, vcc_lo
	s_cbranch_execz .LBB296_1986
.LBB296_2025:
	ds_read_b32 v17, v15 offset:96
	s_waitcnt lgkmcnt(0)
	v_add_f32_e32 v11, v17, v11
	s_or_b32 exec_lo, exec_lo, s4
	s_and_saveexec_b32 s4, vcc_lo
	s_cbranch_execz .LBB296_1987
.LBB296_2026:
	ds_read_b32 v17, v15 offset:128
	s_waitcnt lgkmcnt(0)
	v_add_f32_e32 v10, v17, v10
	s_or_b32 exec_lo, exec_lo, s4
	s_and_saveexec_b32 s4, vcc_lo
	s_cbranch_execz .LBB296_1988
.LBB296_2027:
	ds_read_b32 v17, v15 offset:160
	s_waitcnt lgkmcnt(0)
	v_add_f32_e32 v9, v17, v9
	s_or_b32 exec_lo, exec_lo, s4
	s_and_saveexec_b32 s4, vcc_lo
	s_cbranch_execz .LBB296_1989
.LBB296_2028:
	ds_read_b32 v17, v15 offset:192
	s_waitcnt lgkmcnt(0)
	v_add_f32_e32 v8, v17, v8
	s_or_b32 exec_lo, exec_lo, s4
	s_and_saveexec_b32 s4, vcc_lo
	s_cbranch_execz .LBB296_1990
.LBB296_2029:
	ds_read_b32 v17, v15 offset:224
	s_waitcnt lgkmcnt(0)
	v_add_f32_e32 v7, v17, v7
	s_or_b32 exec_lo, exec_lo, s4
	s_and_saveexec_b32 s4, vcc_lo
	s_cbranch_execz .LBB296_1991
.LBB296_2030:
	ds_read_b32 v17, v15 offset:256
	s_waitcnt lgkmcnt(0)
	v_add_f32_e32 v6, v17, v6
	s_or_b32 exec_lo, exec_lo, s4
	s_and_saveexec_b32 s4, vcc_lo
	s_cbranch_execz .LBB296_1992
.LBB296_2031:
	ds_read_b32 v17, v15 offset:288
	s_waitcnt lgkmcnt(0)
	v_add_f32_e32 v5, v17, v5
	s_or_b32 exec_lo, exec_lo, s4
	s_and_saveexec_b32 s4, vcc_lo
	s_cbranch_execz .LBB296_1993
.LBB296_2032:
	ds_read_b32 v17, v15 offset:320
	s_waitcnt lgkmcnt(0)
	v_add_f32_e32 v4, v17, v4
	s_or_b32 exec_lo, exec_lo, s4
	s_and_saveexec_b32 s4, vcc_lo
	s_cbranch_execz .LBB296_1994
.LBB296_2033:
	ds_read_b32 v17, v15 offset:352
	s_waitcnt lgkmcnt(0)
	v_add_f32_e32 v3, v17, v3
	s_or_b32 exec_lo, exec_lo, s4
	s_and_saveexec_b32 s4, vcc_lo
	s_cbranch_execz .LBB296_1995
.LBB296_2034:
	ds_read_b32 v17, v15 offset:384
	s_waitcnt lgkmcnt(0)
	v_add_f32_e32 v2, v17, v2
	s_or_b32 exec_lo, exec_lo, s4
	s_and_saveexec_b32 s4, vcc_lo
	s_cbranch_execz .LBB296_1996
.LBB296_2035:
	ds_read_b32 v17, v15 offset:416
	s_waitcnt lgkmcnt(0)
	v_add_f32_e32 v1, v17, v1
	s_or_b32 exec_lo, exec_lo, s4
	s_and_saveexec_b32 s4, vcc_lo
	s_cbranch_execnz .LBB296_1997
	s_branch .LBB296_1998
.LBB296_2036:
	ds_read_b32 v16, v15
	s_waitcnt lgkmcnt(0)
	v_add_f32_e32 v14, v16, v14
	s_or_b32 exec_lo, exec_lo, s4
	s_and_saveexec_b32 s4, vcc_lo
	s_cbranch_execz .LBB296_2004
.LBB296_2037:
	ds_read_b32 v16, v15 offset:32
	s_waitcnt lgkmcnt(0)
	v_add_f32_e32 v13, v16, v13
	s_or_b32 exec_lo, exec_lo, s4
	s_and_saveexec_b32 s4, vcc_lo
	s_cbranch_execz .LBB296_2005
.LBB296_2038:
	ds_read_b32 v16, v15 offset:64
	s_waitcnt lgkmcnt(0)
	v_add_f32_e32 v12, v16, v12
	s_or_b32 exec_lo, exec_lo, s4
	s_and_saveexec_b32 s4, vcc_lo
	s_cbranch_execz .LBB296_2006
.LBB296_2039:
	ds_read_b32 v16, v15 offset:96
	s_waitcnt lgkmcnt(0)
	v_add_f32_e32 v11, v16, v11
	s_or_b32 exec_lo, exec_lo, s4
	s_and_saveexec_b32 s4, vcc_lo
	s_cbranch_execz .LBB296_2007
.LBB296_2040:
	ds_read_b32 v16, v15 offset:128
	s_waitcnt lgkmcnt(0)
	v_add_f32_e32 v10, v16, v10
	s_or_b32 exec_lo, exec_lo, s4
	s_and_saveexec_b32 s4, vcc_lo
	s_cbranch_execz .LBB296_2008
.LBB296_2041:
	ds_read_b32 v16, v15 offset:160
	s_waitcnt lgkmcnt(0)
	v_add_f32_e32 v9, v16, v9
	s_or_b32 exec_lo, exec_lo, s4
	s_and_saveexec_b32 s4, vcc_lo
	s_cbranch_execz .LBB296_2009
.LBB296_2042:
	ds_read_b32 v16, v15 offset:192
	s_waitcnt lgkmcnt(0)
	v_add_f32_e32 v8, v16, v8
	s_or_b32 exec_lo, exec_lo, s4
	s_and_saveexec_b32 s4, vcc_lo
	s_cbranch_execz .LBB296_2010
.LBB296_2043:
	ds_read_b32 v16, v15 offset:224
	s_waitcnt lgkmcnt(0)
	v_add_f32_e32 v7, v16, v7
	s_or_b32 exec_lo, exec_lo, s4
	s_and_saveexec_b32 s4, vcc_lo
	s_cbranch_execz .LBB296_2011
.LBB296_2044:
	ds_read_b32 v16, v15 offset:256
	s_waitcnt lgkmcnt(0)
	v_add_f32_e32 v6, v16, v6
	s_or_b32 exec_lo, exec_lo, s4
	s_and_saveexec_b32 s4, vcc_lo
	s_cbranch_execz .LBB296_2012
.LBB296_2045:
	ds_read_b32 v16, v15 offset:288
	s_waitcnt lgkmcnt(0)
	v_add_f32_e32 v5, v16, v5
	s_or_b32 exec_lo, exec_lo, s4
	s_and_saveexec_b32 s4, vcc_lo
	s_cbranch_execz .LBB296_2013
.LBB296_2046:
	ds_read_b32 v16, v15 offset:320
	s_waitcnt lgkmcnt(0)
	v_add_f32_e32 v4, v16, v4
	s_or_b32 exec_lo, exec_lo, s4
	s_and_saveexec_b32 s4, vcc_lo
	s_cbranch_execz .LBB296_2014
.LBB296_2047:
	ds_read_b32 v16, v15 offset:352
	s_waitcnt lgkmcnt(0)
	v_add_f32_e32 v3, v16, v3
	s_or_b32 exec_lo, exec_lo, s4
	s_and_saveexec_b32 s4, vcc_lo
	s_cbranch_execz .LBB296_2015
.LBB296_2048:
	ds_read_b32 v16, v15 offset:384
	s_waitcnt lgkmcnt(0)
	v_add_f32_e32 v2, v16, v2
	s_or_b32 exec_lo, exec_lo, s4
	s_and_saveexec_b32 s4, vcc_lo
	s_cbranch_execz .LBB296_2016
.LBB296_2049:
	ds_read_b32 v16, v15 offset:416
	s_waitcnt lgkmcnt(0)
	v_add_f32_e32 v1, v16, v1
	s_or_b32 exec_lo, exec_lo, s4
	s_and_saveexec_b32 s4, vcc_lo
	s_cbranch_execnz .LBB296_2017
	s_branch .LBB296_2018
.Lfunc_end296:
	.size	_ZN4vllm22paged_attention_kernelIthLi120ELi32ELi128ELNS_18Fp8KVCacheDataTypeE1ELb0ELi0EEEvPfS2_PT_PKS3_PKT0_S9_ifPKiSB_iPKfiiiSD_SD_iiiii, .Lfunc_end296-_ZN4vllm22paged_attention_kernelIthLi120ELi32ELi128ELNS_18Fp8KVCacheDataTypeE1ELb0ELi0EEEvPfS2_PT_PKS3_PKT0_S9_ifPKiSB_iPKfiiiSD_SD_iiiii
                                        ; -- End function
	.set .L_ZN4vllm22paged_attention_kernelIthLi120ELi32ELi128ELNS_18Fp8KVCacheDataTypeE1ELb0ELi0EEEvPfS2_PT_PKS3_PKT0_S9_ifPKiSB_iPKfiiiSD_SD_iiiii.num_vgpr, 128
	.set .L_ZN4vllm22paged_attention_kernelIthLi120ELi32ELi128ELNS_18Fp8KVCacheDataTypeE1ELb0ELi0EEEvPfS2_PT_PKS3_PKT0_S9_ifPKiSB_iPKfiiiSD_SD_iiiii.num_agpr, 0
	.set .L_ZN4vllm22paged_attention_kernelIthLi120ELi32ELi128ELNS_18Fp8KVCacheDataTypeE1ELb0ELi0EEEvPfS2_PT_PKS3_PKT0_S9_ifPKiSB_iPKfiiiSD_SD_iiiii.numbered_sgpr, 33
	.set .L_ZN4vllm22paged_attention_kernelIthLi120ELi32ELi128ELNS_18Fp8KVCacheDataTypeE1ELb0ELi0EEEvPfS2_PT_PKS3_PKT0_S9_ifPKiSB_iPKfiiiSD_SD_iiiii.num_named_barrier, 0
	.set .L_ZN4vllm22paged_attention_kernelIthLi120ELi32ELi128ELNS_18Fp8KVCacheDataTypeE1ELb0ELi0EEEvPfS2_PT_PKS3_PKT0_S9_ifPKiSB_iPKfiiiSD_SD_iiiii.private_seg_size, 392
	.set .L_ZN4vllm22paged_attention_kernelIthLi120ELi32ELi128ELNS_18Fp8KVCacheDataTypeE1ELb0ELi0EEEvPfS2_PT_PKS3_PKT0_S9_ifPKiSB_iPKfiiiSD_SD_iiiii.uses_vcc, 1
	.set .L_ZN4vllm22paged_attention_kernelIthLi120ELi32ELi128ELNS_18Fp8KVCacheDataTypeE1ELb0ELi0EEEvPfS2_PT_PKS3_PKT0_S9_ifPKiSB_iPKfiiiSD_SD_iiiii.uses_flat_scratch, 0
	.set .L_ZN4vllm22paged_attention_kernelIthLi120ELi32ELi128ELNS_18Fp8KVCacheDataTypeE1ELb0ELi0EEEvPfS2_PT_PKS3_PKT0_S9_ifPKiSB_iPKfiiiSD_SD_iiiii.has_dyn_sized_stack, 0
	.set .L_ZN4vllm22paged_attention_kernelIthLi120ELi32ELi128ELNS_18Fp8KVCacheDataTypeE1ELb0ELi0EEEvPfS2_PT_PKS3_PKT0_S9_ifPKiSB_iPKfiiiSD_SD_iiiii.has_recursion, 0
	.set .L_ZN4vllm22paged_attention_kernelIthLi120ELi32ELi128ELNS_18Fp8KVCacheDataTypeE1ELb0ELi0EEEvPfS2_PT_PKS3_PKT0_S9_ifPKiSB_iPKfiiiSD_SD_iiiii.has_indirect_call, 0
	.section	.AMDGPU.csdata,"",@progbits
; Function info:
; codeLenInByte = 68116
; TotalNumSgprs: 35
; NumVgprs: 128
; ScratchSize: 392
; MemoryBound: 0
	.section	.text._ZN4vllm25paged_attention_v1_kernelIthLi120ELi32ELi128ELNS_18Fp8KVCacheDataTypeE1ELb0EEEvPT_PKS2_PKT0_S8_ifPKiSA_iPKfiiiSC_SC_iiiii,"axG",@progbits,_ZN4vllm25paged_attention_v1_kernelIthLi120ELi32ELi128ELNS_18Fp8KVCacheDataTypeE1ELb0EEEvPT_PKS2_PKT0_S8_ifPKiSA_iPKfiiiSC_SC_iiiii,comdat
	.protected	_ZN4vllm25paged_attention_v1_kernelIthLi120ELi32ELi128ELNS_18Fp8KVCacheDataTypeE1ELb0EEEvPT_PKS2_PKT0_S8_ifPKiSA_iPKfiiiSC_SC_iiiii ; -- Begin function _ZN4vllm25paged_attention_v1_kernelIthLi120ELi32ELi128ELNS_18Fp8KVCacheDataTypeE1ELb0EEEvPT_PKS2_PKT0_S8_ifPKiSA_iPKfiiiSC_SC_iiiii
	.globl	_ZN4vllm25paged_attention_v1_kernelIthLi120ELi32ELi128ELNS_18Fp8KVCacheDataTypeE1ELb0EEEvPT_PKS2_PKT0_S8_ifPKiSA_iPKfiiiSC_SC_iiiii
	.p2align	8
	.type	_ZN4vllm25paged_attention_v1_kernelIthLi120ELi32ELi128ELNS_18Fp8KVCacheDataTypeE1ELb0EEEvPT_PKS2_PKT0_S8_ifPKiSA_iPKfiiiSC_SC_iiiii,@function
_ZN4vllm25paged_attention_v1_kernelIthLi120ELi32ELi128ELNS_18Fp8KVCacheDataTypeE1ELb0EEEvPT_PKS2_PKT0_S8_ifPKiSA_iPKfiiiSC_SC_iiiii: ; @_ZN4vllm25paged_attention_v1_kernelIthLi120ELi32ELi128ELNS_18Fp8KVCacheDataTypeE1ELb0EEEvPT_PKS2_PKT0_S8_ifPKiSA_iPKfiiiSC_SC_iiiii
; %bb.0:
	s_clause 0x5
	s_load_dwordx8 s[16:23], s[4:5], 0x0
	s_load_dwordx4 s[36:39], s[4:5], 0x20
	s_load_dwordx2 s[10:11], s[4:5], 0x30
	s_load_dword s13, s[4:5], 0x38
	s_load_dwordx2 s[34:35], s[4:5], 0x40
	s_load_dwordx8 s[24:31], s[4:5], 0x48
	s_add_u32 s0, s0, s9
	s_addc_u32 s1, s1, 0
	v_mov_b32_e32 v31, v0
	s_mov_b32 s14, s8
	s_add_u32 s8, s4, 0x80
	s_addc_u32 s9, s5, 0
	s_getpc_b64 s[4:5]
	s_add_u32 s4, s4, _ZN4vllm22paged_attention_kernelIthLi120ELi32ELi128ELNS_18Fp8KVCacheDataTypeE1ELb0ELi0EEEvPfS2_PT_PKS3_PKT0_S9_ifPKiSB_iPKfiiiSD_SD_iiiii@rel32@lo+4
	s_addc_u32 s5, s5, _ZN4vllm22paged_attention_kernelIthLi120ELi32ELi128ELNS_18Fp8KVCacheDataTypeE1ELb0ELi0EEEvPfS2_PT_PKS3_PKT0_S9_ifPKiSB_iPKfiiiSD_SD_iiiii@rel32@hi+12
	s_mov_b32 s12, s6
	s_mov_b32 s15, 36
	;; [unrolled: 1-line block ×3, first 2 shown]
	s_waitcnt lgkmcnt(0)
	v_mov_b32_e32 v0, s16
	v_mov_b32_e32 v1, s17
	v_mov_b32_e32 v2, s18
	v_mov_b32_e32 v3, s19
	v_mov_b32_e32 v4, s20
	v_mov_b32_e32 v5, s21
	v_mov_b32_e32 v6, s22
	v_mov_b32_e32 v7, s23
	v_mov_b32_e32 v8, s36
	v_mov_b32_e32 v9, s37
	v_mov_b32_e32 v10, s38
	v_mov_b32_e32 v11, s39
	v_mov_b32_e32 v12, s10
	v_mov_b32_e32 v13, s11
	v_mov_b32_e32 v14, s13
	v_mov_b32_e32 v15, s34
	v_mov_b32_e32 v16, s35
	v_mov_b32_e32 v17, s24
	v_mov_b32_e32 v18, s25
	v_mov_b32_e32 v19, s26
	v_mov_b32_e32 v20, s28
	v_mov_b32_e32 v21, s29
	v_mov_b32_e32 v22, s30
	v_mov_b32_e32 v23, s31
	s_mov_b32 s13, s7
	s_swappc_b64 s[30:31], s[4:5]
	s_endpgm
	.section	.rodata,"a",@progbits
	.p2align	6, 0x0
	.amdhsa_kernel _ZN4vllm25paged_attention_v1_kernelIthLi120ELi32ELi128ELNS_18Fp8KVCacheDataTypeE1ELb0EEEvPT_PKS2_PKT0_S8_ifPKiSA_iPKfiiiSC_SC_iiiii
		.amdhsa_group_segment_fixed_size 272
		.amdhsa_private_segment_fixed_size 392
		.amdhsa_kernarg_size 384
		.amdhsa_user_sgpr_count 6
		.amdhsa_user_sgpr_private_segment_buffer 1
		.amdhsa_user_sgpr_dispatch_ptr 0
		.amdhsa_user_sgpr_queue_ptr 0
		.amdhsa_user_sgpr_kernarg_segment_ptr 1
		.amdhsa_user_sgpr_dispatch_id 0
		.amdhsa_user_sgpr_flat_scratch_init 0
		.amdhsa_user_sgpr_private_segment_size 0
		.amdhsa_wavefront_size32 1
		.amdhsa_uses_dynamic_stack 0
		.amdhsa_system_sgpr_private_segment_wavefront_offset 1
		.amdhsa_system_sgpr_workgroup_id_x 1
		.amdhsa_system_sgpr_workgroup_id_y 1
		.amdhsa_system_sgpr_workgroup_id_z 1
		.amdhsa_system_sgpr_workgroup_info 0
		.amdhsa_system_vgpr_workitem_id 0
		.amdhsa_next_free_vgpr 128
		.amdhsa_next_free_sgpr 40
		.amdhsa_reserve_vcc 1
		.amdhsa_reserve_flat_scratch 0
		.amdhsa_float_round_mode_32 0
		.amdhsa_float_round_mode_16_64 0
		.amdhsa_float_denorm_mode_32 3
		.amdhsa_float_denorm_mode_16_64 3
		.amdhsa_dx10_clamp 1
		.amdhsa_ieee_mode 1
		.amdhsa_fp16_overflow 0
		.amdhsa_workgroup_processor_mode 1
		.amdhsa_memory_ordered 1
		.amdhsa_forward_progress 1
		.amdhsa_shared_vgpr_count 0
		.amdhsa_exception_fp_ieee_invalid_op 0
		.amdhsa_exception_fp_denorm_src 0
		.amdhsa_exception_fp_ieee_div_zero 0
		.amdhsa_exception_fp_ieee_overflow 0
		.amdhsa_exception_fp_ieee_underflow 0
		.amdhsa_exception_fp_ieee_inexact 0
		.amdhsa_exception_int_div_zero 0
	.end_amdhsa_kernel
	.section	.text._ZN4vllm25paged_attention_v1_kernelIthLi120ELi32ELi128ELNS_18Fp8KVCacheDataTypeE1ELb0EEEvPT_PKS2_PKT0_S8_ifPKiSA_iPKfiiiSC_SC_iiiii,"axG",@progbits,_ZN4vllm25paged_attention_v1_kernelIthLi120ELi32ELi128ELNS_18Fp8KVCacheDataTypeE1ELb0EEEvPT_PKS2_PKT0_S8_ifPKiSA_iPKfiiiSC_SC_iiiii,comdat
.Lfunc_end297:
	.size	_ZN4vllm25paged_attention_v1_kernelIthLi120ELi32ELi128ELNS_18Fp8KVCacheDataTypeE1ELb0EEEvPT_PKS2_PKT0_S8_ifPKiSA_iPKfiiiSC_SC_iiiii, .Lfunc_end297-_ZN4vllm25paged_attention_v1_kernelIthLi120ELi32ELi128ELNS_18Fp8KVCacheDataTypeE1ELb0EEEvPT_PKS2_PKT0_S8_ifPKiSA_iPKfiiiSC_SC_iiiii
                                        ; -- End function
	.set _ZN4vllm25paged_attention_v1_kernelIthLi120ELi32ELi128ELNS_18Fp8KVCacheDataTypeE1ELb0EEEvPT_PKS2_PKT0_S8_ifPKiSA_iPKfiiiSC_SC_iiiii.num_vgpr, max(32, .L_ZN4vllm22paged_attention_kernelIthLi120ELi32ELi128ELNS_18Fp8KVCacheDataTypeE1ELb0ELi0EEEvPfS2_PT_PKS3_PKT0_S9_ifPKiSB_iPKfiiiSD_SD_iiiii.num_vgpr)
	.set _ZN4vllm25paged_attention_v1_kernelIthLi120ELi32ELi128ELNS_18Fp8KVCacheDataTypeE1ELb0EEEvPT_PKS2_PKT0_S8_ifPKiSA_iPKfiiiSC_SC_iiiii.num_agpr, max(0, .L_ZN4vllm22paged_attention_kernelIthLi120ELi32ELi128ELNS_18Fp8KVCacheDataTypeE1ELb0ELi0EEEvPfS2_PT_PKS3_PKT0_S9_ifPKiSB_iPKfiiiSD_SD_iiiii.num_agpr)
	.set _ZN4vllm25paged_attention_v1_kernelIthLi120ELi32ELi128ELNS_18Fp8KVCacheDataTypeE1ELb0EEEvPT_PKS2_PKT0_S8_ifPKiSA_iPKfiiiSC_SC_iiiii.numbered_sgpr, max(40, .L_ZN4vllm22paged_attention_kernelIthLi120ELi32ELi128ELNS_18Fp8KVCacheDataTypeE1ELb0ELi0EEEvPfS2_PT_PKS3_PKT0_S9_ifPKiSB_iPKfiiiSD_SD_iiiii.numbered_sgpr)
	.set _ZN4vllm25paged_attention_v1_kernelIthLi120ELi32ELi128ELNS_18Fp8KVCacheDataTypeE1ELb0EEEvPT_PKS2_PKT0_S8_ifPKiSA_iPKfiiiSC_SC_iiiii.num_named_barrier, max(0, .L_ZN4vllm22paged_attention_kernelIthLi120ELi32ELi128ELNS_18Fp8KVCacheDataTypeE1ELb0ELi0EEEvPfS2_PT_PKS3_PKT0_S9_ifPKiSB_iPKfiiiSD_SD_iiiii.num_named_barrier)
	.set _ZN4vllm25paged_attention_v1_kernelIthLi120ELi32ELi128ELNS_18Fp8KVCacheDataTypeE1ELb0EEEvPT_PKS2_PKT0_S8_ifPKiSA_iPKfiiiSC_SC_iiiii.private_seg_size, 0+max(.L_ZN4vllm22paged_attention_kernelIthLi120ELi32ELi128ELNS_18Fp8KVCacheDataTypeE1ELb0ELi0EEEvPfS2_PT_PKS3_PKT0_S9_ifPKiSB_iPKfiiiSD_SD_iiiii.private_seg_size)
	.set _ZN4vllm25paged_attention_v1_kernelIthLi120ELi32ELi128ELNS_18Fp8KVCacheDataTypeE1ELb0EEEvPT_PKS2_PKT0_S8_ifPKiSA_iPKfiiiSC_SC_iiiii.uses_vcc, or(1, .L_ZN4vllm22paged_attention_kernelIthLi120ELi32ELi128ELNS_18Fp8KVCacheDataTypeE1ELb0ELi0EEEvPfS2_PT_PKS3_PKT0_S9_ifPKiSB_iPKfiiiSD_SD_iiiii.uses_vcc)
	.set _ZN4vllm25paged_attention_v1_kernelIthLi120ELi32ELi128ELNS_18Fp8KVCacheDataTypeE1ELb0EEEvPT_PKS2_PKT0_S8_ifPKiSA_iPKfiiiSC_SC_iiiii.uses_flat_scratch, or(0, .L_ZN4vllm22paged_attention_kernelIthLi120ELi32ELi128ELNS_18Fp8KVCacheDataTypeE1ELb0ELi0EEEvPfS2_PT_PKS3_PKT0_S9_ifPKiSB_iPKfiiiSD_SD_iiiii.uses_flat_scratch)
	.set _ZN4vllm25paged_attention_v1_kernelIthLi120ELi32ELi128ELNS_18Fp8KVCacheDataTypeE1ELb0EEEvPT_PKS2_PKT0_S8_ifPKiSA_iPKfiiiSC_SC_iiiii.has_dyn_sized_stack, or(0, .L_ZN4vllm22paged_attention_kernelIthLi120ELi32ELi128ELNS_18Fp8KVCacheDataTypeE1ELb0ELi0EEEvPfS2_PT_PKS3_PKT0_S9_ifPKiSB_iPKfiiiSD_SD_iiiii.has_dyn_sized_stack)
	.set _ZN4vllm25paged_attention_v1_kernelIthLi120ELi32ELi128ELNS_18Fp8KVCacheDataTypeE1ELb0EEEvPT_PKS2_PKT0_S8_ifPKiSA_iPKfiiiSC_SC_iiiii.has_recursion, or(0, .L_ZN4vllm22paged_attention_kernelIthLi120ELi32ELi128ELNS_18Fp8KVCacheDataTypeE1ELb0ELi0EEEvPfS2_PT_PKS3_PKT0_S9_ifPKiSB_iPKfiiiSD_SD_iiiii.has_recursion)
	.set _ZN4vllm25paged_attention_v1_kernelIthLi120ELi32ELi128ELNS_18Fp8KVCacheDataTypeE1ELb0EEEvPT_PKS2_PKT0_S8_ifPKiSA_iPKfiiiSC_SC_iiiii.has_indirect_call, or(0, .L_ZN4vllm22paged_attention_kernelIthLi120ELi32ELi128ELNS_18Fp8KVCacheDataTypeE1ELb0ELi0EEEvPfS2_PT_PKS3_PKT0_S9_ifPKiSB_iPKfiiiSD_SD_iiiii.has_indirect_call)
	.section	.AMDGPU.csdata,"",@progbits
; Kernel info:
; codeLenInByte = 224
; TotalNumSgprs: 42
; NumVgprs: 128
; ScratchSize: 392
; MemoryBound: 0
; FloatMode: 240
; IeeeMode: 1
; LDSByteSize: 272 bytes/workgroup (compile time only)
; SGPRBlocks: 0
; VGPRBlocks: 15
; NumSGPRsForWavesPerEU: 42
; NumVGPRsForWavesPerEU: 128
; Occupancy: 8
; WaveLimiterHint : 1
; COMPUTE_PGM_RSRC2:SCRATCH_EN: 1
; COMPUTE_PGM_RSRC2:USER_SGPR: 6
; COMPUTE_PGM_RSRC2:TRAP_HANDLER: 0
; COMPUTE_PGM_RSRC2:TGID_X_EN: 1
; COMPUTE_PGM_RSRC2:TGID_Y_EN: 1
; COMPUTE_PGM_RSRC2:TGID_Z_EN: 1
; COMPUTE_PGM_RSRC2:TIDIG_COMP_CNT: 0
	.text
	.p2align	2                               ; -- Begin function _ZN4vllm22paged_attention_kernelIthLi128ELi32ELi128ELNS_18Fp8KVCacheDataTypeE1ELb0ELi0EEEvPfS2_PT_PKS3_PKT0_S9_ifPKiSB_iPKfiiiSD_SD_iiiii
	.type	_ZN4vllm22paged_attention_kernelIthLi128ELi32ELi128ELNS_18Fp8KVCacheDataTypeE1ELb0ELi0EEEvPfS2_PT_PKS3_PKT0_S9_ifPKiSB_iPKfiiiSD_SD_iiiii,@function
_ZN4vllm22paged_attention_kernelIthLi128ELi32ELi128ELNS_18Fp8KVCacheDataTypeE1ELb0ELi0EEEvPfS2_PT_PKS3_PKT0_S9_ifPKiSB_iPKfiiiSD_SD_iiiii: ; @_ZN4vllm22paged_attention_kernelIthLi128ELi32ELi128ELNS_18Fp8KVCacheDataTypeE1ELb0ELi0EEEvPfS2_PT_PKS3_PKT0_S9_ifPKiSB_iPKfiiiSD_SD_iiiii
; %bb.0:
	s_waitcnt vmcnt(0) expcnt(0) lgkmcnt(0)
	buffer_store_dword v40, off, s[0:3], s32 offset:188 ; 4-byte Folded Spill
	buffer_store_dword v41, off, s[0:3], s32 offset:184 ; 4-byte Folded Spill
	;; [unrolled: 1-line block ×47, first 2 shown]
	buffer_store_dword v127, off, s[0:3], s32 ; 4-byte Folded Spill
	s_mov_b32 s10, s13
	s_ashr_i32 s11, s13, 31
	v_mov_b32_e32 v59, v0
	s_lshl_b64 s[4:5], s[10:11], 2
	v_mov_b32_e32 v58, v1
	v_add_co_u32 v0, vcc_lo, v12, s4
	v_add_co_ci_u32_e64 v1, null, s5, v13, vcc_lo
	buffer_store_dword v20, off, s[0:3], s32 offset:364 ; 4-byte Folded Spill
	buffer_store_dword v21, off, s[0:3], s32 offset:368 ; 4-byte Folded Spill
	buffer_store_dword v18, off, s[0:3], s32 offset:256 ; 4-byte Folded Spill
	buffer_store_dword v9, off, s[0:3], s32 offset:372 ; 4-byte Folded Spill
	s_clause 0x1
	s_load_dword s4, s[8:9], 0x10
	s_load_dword s5, s[8:9], 0x0
	flat_load_dword v28, v[0:1]
	v_sub_nc_u32_e32 v0, 0, v8
	v_mov_b32_e32 v26, v6
	v_mov_b32_e32 v18, v7
	s_mov_b32 s16, s15
	v_max_i32_e32 v0, v8, v0
	v_cvt_f32_u32_e32 v1, v0
	v_sub_nc_u32_e32 v6, 0, v0
	v_rcp_iflag_f32_e32 v1, v1
	s_waitcnt lgkmcnt(0)
	s_lshr_b32 s4, s4, 16
	s_cmp_lg_u32 s4, 0
	s_cselect_b32 s4, -1, 0
	s_cmp_lg_u32 s4, 0
	v_mul_f32_e32 v1, 0x4f7ffffe, v1
	s_addc_u32 s11, s5, 0
	s_mov_b32 s5, exec_lo
	s_abs_i32 s4, s11
	v_cvt_u32_f32_e32 v1, v1
	v_mul_lo_u32 v6, v6, v1
	v_mul_hi_u32 v6, v1, v6
	v_add_nc_u32_e32 v1, v1, v6
	v_mul_hi_u32 v1, s4, v1
	v_mul_lo_u32 v6, v1, v0
	v_add_nc_u32_e32 v7, 1, v1
	v_sub_nc_u32_e32 v6, s4, v6
	s_abs_i32 s4, s12
	v_sub_nc_u32_e32 v9, v6, v0
	v_cmp_ge_u32_e32 vcc_lo, v6, v0
	v_cndmask_b32_e32 v1, v1, v7, vcc_lo
	v_cndmask_b32_e32 v6, v6, v9, vcc_lo
	v_xor_b32_e32 v7, s11, v8
	v_add_nc_u32_e32 v8, 1, v1
	v_cmp_ge_u32_e32 vcc_lo, v6, v0
	v_ashrrev_i32_e32 v7, 31, v7
	v_cndmask_b32_e32 v0, v1, v8, vcc_lo
	v_xor_b32_e32 v0, v0, v7
	v_sub_nc_u32_e32 v1, v0, v7
	v_sub_nc_u32_e32 v0, 0, v1
	v_max_i32_e32 v0, v1, v0
	v_cvt_f32_u32_e32 v6, v0
	v_sub_nc_u32_e32 v7, 0, v0
	v_rcp_iflag_f32_e32 v6, v6
	v_mul_f32_e32 v6, 0x4f7ffffe, v6
	v_cvt_u32_f32_e32 v6, v6
	v_mul_lo_u32 v7, v7, v6
	v_mul_hi_u32 v7, v6, v7
	v_add_nc_u32_e32 v6, v6, v7
	v_mad_u64_u32 v[12:13], null, s4, v6, 0
	v_mov_b32_e32 v6, 0
	buffer_store_dword v6, off, s[0:3], s32 offset:356 ; 4-byte Folded Spill
	v_cmpx_ne_u64_e32 0, v[15:16]
	s_cbranch_execz .LBB298_2
; %bb.1:
	s_ashr_i32 s13, s12, 31
	s_lshl_b64 s[6:7], s[12:13], 2
	v_add_co_u32 v6, vcc_lo, v15, s6
	v_add_co_ci_u32_e64 v7, null, s7, v16, vcc_lo
	flat_load_dword v6, v[6:7]
	s_waitcnt vmcnt(0) lgkmcnt(0)
	buffer_store_dword v6, off, s[0:3], s32 offset:356 ; 4-byte Folded Spill
.LBB298_2:
	s_or_b32 exec_lo, exec_lo, s5
	v_and_b32_e32 v60, 0x3ff, v31
	v_ashrrev_i32_e32 v1, 31, v1
	s_ashr_i32 s5, s12, 31
	s_lshl_b32 s12, s12, 7
	s_mov_b32 s6, exec_lo
	v_cmpx_gt_u32_e32 16, v60
	s_cbranch_execz .LBB298_4
; %bb.3:
	v_mul_lo_u32 v6, v17, s10
	s_ashr_i32 s13, s12, 31
	v_lshlrev_b32_e32 v12, 4, v60
	s_lshl_b64 s[18:19], s[12:13], 1
	v_ashrrev_i32_e32 v7, 31, v6
	v_lshlrev_b64 v[6:7], 1, v[6:7]
	v_add_co_u32 v2, vcc_lo, v2, v6
	v_add_co_ci_u32_e64 v3, null, v3, v7, vcc_lo
	v_add_co_u32 v2, vcc_lo, v2, s18
	v_add_co_ci_u32_e64 v3, null, s19, v3, vcc_lo
	;; [unrolled: 2-line block ×3, first 2 shown]
	flat_load_dwordx4 v[6:9], v[2:3]
	s_waitcnt vmcnt(0) lgkmcnt(0)
	ds_write_b128 v12, v[6:9]
.LBB298_4:
	s_or_b32 exec_lo, exec_lo, s6
	v_mul_lo_u32 v2, v13, v0
	v_add_nc_u32_e32 v3, 1, v13
	s_waitcnt vmcnt(0)
	v_add_nc_u32_e32 v7, 31, v28
	v_xor_b32_e32 v1, s5, v1
	s_clause 0x1
	s_load_dword s13, s[8:9], 0x14
	s_load_dword s8, s[8:9], 0x8
	v_lshrrev_b32_e32 v123, 5, v60
	v_and_b32_e32 v62, 31, v60
	v_lshrrev_b32_e32 v12, 3, v60
	v_sub_nc_u32_e32 v2, s4, v2
	s_mov_b32 s9, exec_lo
	s_waitcnt lgkmcnt(0)
	s_waitcnt_vscnt null, 0x0
	v_lshlrev_b32_e32 v15, 2, v62
	s_barrier
	v_sub_nc_u32_e32 v6, v2, v0
	v_cmp_ge_u32_e32 vcc_lo, v2, v0
	buffer_gl0_inv
	v_cndmask_b32_e32 v3, v13, v3, vcc_lo
	v_cndmask_b32_e32 v2, v2, v6, vcc_lo
	v_add_nc_u32_e32 v6, 1, v3
	v_cmp_ge_u32_e32 vcc_lo, v2, v0
	v_mul_lo_u32 v0, v14, s10
	v_cndmask_b32_e32 v2, v3, v6, vcc_lo
	v_ashrrev_i32_e32 v3, 31, v7
	v_mov_b32_e32 v6, 0xff7fffff
	v_xor_b32_e32 v2, v2, v1
	v_lshrrev_b32_e32 v3, 27, v3
	v_sub_nc_u32_e32 v2, v2, v1
	v_add_nc_u32_e32 v3, v7, v3
	v_ashrrev_i32_e32 v1, 31, v0
	v_mul_lo_u32 v19, v2, v19
	v_ashrrev_i32_e32 v63, 5, v3
	v_lshlrev_b64 v[50:51], 2, v[0:1]
	v_cmp_ge_i32_e64 s4, v123, v63
	v_ashrrev_i32_e32 v27, 31, v19
	v_cmpx_lt_i32_e64 v123, v63
	s_cbranch_execz .LBB298_1032
; %bb.5:
	s_getpc_b64 s[6:7]
	s_add_u32 s6, s6, llvm.amdgcn.dynlds.offset.table@rel32@lo+4
	s_addc_u32 s7, s7, llvm.amdgcn.dynlds.offset.table@rel32@hi+12
	s_ashr_i32 s17, s16, 31
	v_and_b32_e32 v3, 0x7c, v12
	s_lshl_b64 s[18:19], s[16:17], 2
	buffer_store_dword v26, off, s[0:3], s32 offset:416 ; 4-byte Folded Spill
	buffer_store_dword v18, off, s[0:3], s32 offset:412 ; 4-byte Folded Spill
	;; [unrolled: 1-line block ×6, first 2 shown]
	s_add_u32 s6, s6, s18
	s_addc_u32 s7, s7, s19
	v_add_co_u32 v1, vcc_lo, v4, v19
	buffer_load_dword v4, off, s[0:3], s32 offset:356 ; 4-byte Folded Reload
	s_load_dword s6, s[6:7], 0x0
	buffer_store_dword v19, off, s[0:3], s32 offset:432 ; 4-byte Folded Spill
	buffer_store_dword v27, off, s[0:3], s32 offset:436 ; 4-byte Folded Spill
	buffer_store_dword v12, off, s[0:3], s32 offset:428 ; 4-byte Folded Spill
	buffer_store_dword v15, off, s[0:3], s32 offset:440 ; 4-byte Folded Spill
	buffer_store_dword v62, off, s[0:3], s32 offset:400 ; 4-byte Folded Spill
	v_add_co_u32 v3, s5, v3, v50
	buffer_store_dword v50, off, s[0:3], s32 offset:420 ; 4-byte Folded Spill
	buffer_store_dword v51, off, s[0:3], s32 offset:424 ; 4-byte Folded Spill
	v_lshlrev_b32_e32 v0, 4, v62
	v_add_co_ci_u32_e64 v2, null, v5, v27, vcc_lo
	v_mov_b32_e32 v5, 0
	v_lshl_or_b32 v25, v123, 5, v62
	v_mov_b32_e32 v37, 0x80
	s_mov_b32 s15, 0
	s_waitcnt vmcnt(0)
	v_cmp_neq_f32_e32 vcc_lo, 0, v4
	v_lshl_or_b32 v4, v123, 7, v15
	s_waitcnt lgkmcnt(0)
	v_add_nc_u32_e32 v16, s6, v4
	s_mov_b32 s6, -1
	v_add_co_ci_u32_e64 v6, null, 0, v51, s5
	v_add_co_u32 v0, s5, v1, v0
	v_add_co_ci_u32_e64 v1, null, 0, v2, s5
	v_add_co_u32 v94, s5, v10, v3
	v_add_co_ci_u32_e64 v95, null, v11, v6, s5
	v_mov_b32_e32 v6, 0xff7fffff
	s_mov_b32 s7, 0xffffff
	buffer_store_dword v0, off, s[0:3], s32 offset:376 ; 4-byte Folded Spill
	buffer_store_dword v1, off, s[0:3], s32 offset:380 ; 4-byte Folded Spill
	;; [unrolled: 1-line block ×5, first 2 shown]
	s_branch .LBB298_10
.LBB298_6:                              ;   in Loop: Header=BB298_10 Depth=1
	s_or_b32 exec_lo, exec_lo, s20
	v_lshlrev_b32_e32 v4, 8, v4
	v_lshl_add_u32 v17, v17, 10, 0x2000
	v_lshlrev_b32_e32 v16, 23, v16
	v_and_or_b32 v4, 0x8000, v4, v17
	v_lshl_or_b32 v72, v4, 16, v16
.LBB298_7:                              ;   in Loop: Header=BB298_10 Depth=1
	s_or_b32 exec_lo, exec_lo, s19
.LBB298_8:                              ;   in Loop: Header=BB298_10 Depth=1
	s_or_b32 exec_lo, exec_lo, s18
	s_clause 0x2
	buffer_load_dword v25, off, s[0:3], s32 offset:244
	buffer_load_dword v16, off, s[0:3], s32 offset:248
	;; [unrolled: 1-line block ×3, first 2 shown]
.LBB298_9:                              ;   in Loop: Header=BB298_10 Depth=1
	s_or_b32 exec_lo, exec_lo, s17
	v_or_b32_e32 v4, v89, v66
	v_or_b32_e32 v0, v8, v0
	v_fma_mixlo_f16 v17, v50, v89, 0 op_sel:[0,1,0] op_sel_hi:[0,1,0]
	s_waitcnt vmcnt(2)
	v_cmp_lt_i32_e64 s5, v25, v28
	s_waitcnt vmcnt(0)
	v_add_nc_u32_e32 v123, 4, v123
	v_fma_mixlo_f16 v4, v50, v4, 0 op_sel_hi:[0,1,0]
	v_fma_mixlo_f16 v0, v50, v0, 0 op_sel_hi:[0,1,0]
	buffer_store_dword v17, off, s[0:3], s32 offset:280 ; 4-byte Folded Spill
	v_fma_mixlo_f16 v17, v50, v55, 0 op_sel:[0,1,0] op_sel_hi:[0,1,0]
	buffer_store_dword v4, off, s[0:3], s32 offset:284 ; 4-byte Folded Spill
	v_or_b32_e32 v4, v55, v77
	buffer_store_dword v0, off, s[0:3], s32 offset:348 ; 4-byte Folded Spill
	v_or_b32_e32 v0, v7, v6
	buffer_store_dword v17, off, s[0:3], s32 offset:288 ; 4-byte Folded Spill
	v_fma_mixlo_f16 v17, v50, v111, 0 op_sel:[0,1,0] op_sel_hi:[0,1,0]
	v_fma_mixlo_f16 v4, v50, v4, 0 op_sel_hi:[0,1,0]
	v_fma_mixlo_f16 v6, v50, v75, 0 op_sel:[0,1,0] op_sel_hi:[0,1,0]
	v_fma_mixlo_f16 v55, v50, v120, 0 op_sel:[0,1,0] op_sel_hi:[0,1,0]
	buffer_store_dword v17, off, s[0:3], s32 offset:272 ; 4-byte Folded Spill
	buffer_store_dword v4, off, s[0:3], s32 offset:292 ; 4-byte Folded Spill
	v_or_b32_e32 v4, v111, v76
	v_fma_mixlo_f16 v17, v50, v110, 0 op_sel:[0,1,0] op_sel_hi:[0,1,0]
	v_and_b32_e32 v55, 0xffff, v55
	v_fma_mixlo_f16 v4, v50, v4, 0 op_sel_hi:[0,1,0]
	buffer_store_dword v17, off, s[0:3], s32 offset:312 ; 4-byte Folded Spill
	v_fma_mixlo_f16 v17, v50, v93, 0 op_sel:[0,1,0] op_sel_hi:[0,1,0]
	buffer_store_dword v4, off, s[0:3], s32 offset:276 ; 4-byte Folded Spill
	v_or_b32_e32 v4, v24, v79
	buffer_store_dword v17, off, s[0:3], s32 offset:320 ; 4-byte Folded Spill
	v_fma_mixlo_f16 v17, v50, v52, 0 op_sel:[0,1,0] op_sel_hi:[0,1,0]
	v_fma_mixlo_f16 v4, v50, v4, 0 op_sel_hi:[0,1,0]
	buffer_store_dword v17, off, s[0:3], s32 offset:304 ; 4-byte Folded Spill
	v_fma_mixlo_f16 v17, v50, v90, 0 op_sel:[0,1,0] op_sel_hi:[0,1,0]
	buffer_store_dword v4, off, s[0:3], s32 offset:268 ; 4-byte Folded Spill
	v_fma_mixlo_f16 v4, v50, v24, 0 op_sel:[0,1,0] op_sel_hi:[0,1,0]
	buffer_store_dword v4, off, s[0:3], s32 offset:264 ; 4-byte Folded Spill
	v_or_b32_e32 v4, v110, v107
	v_fma_mixlo_f16 v107, v50, v70, 0 op_sel:[0,1,0] op_sel_hi:[0,1,0]
	v_fma_mixlo_f16 v110, v50, v7, 0 op_sel:[0,1,0] op_sel_hi:[0,1,0]
	v_fma_mixlo_f16 v4, v50, v4, 0 op_sel_hi:[0,1,0]
	buffer_store_dword v4, off, s[0:3], s32 offset:316 ; 4-byte Folded Spill
	v_or_b32_e32 v4, v93, v92
	v_fma_mixlo_f16 v92, v50, v26, 0 op_sel:[0,1,0] op_sel_hi:[0,1,0]
	v_fma_mixlo_f16 v4, v50, v4, 0 op_sel_hi:[0,1,0]
	buffer_store_dword v4, off, s[0:3], s32 offset:324 ; 4-byte Folded Spill
	v_or_b32_e32 v4, v52, v109
	v_fma_mixlo_f16 v109, v50, v0, 0 op_sel_hi:[0,1,0]
	v_or_b32_e32 v0, v83, v33
	v_fma_mixlo_f16 v33, v50, v64, 0 op_sel:[0,1,0] op_sel_hi:[0,1,0]
	v_fma_mixlo_f16 v52, v50, v63, 0 op_sel:[0,1,0] op_sel_hi:[0,1,0]
	v_fma_mixlo_f16 v4, v50, v4, 0 op_sel_hi:[0,1,0]
	v_fma_mixlo_f16 v0, v50, v0, 0 op_sel_hi:[0,1,0]
	buffer_store_dword v4, off, s[0:3], s32 offset:308 ; 4-byte Folded Spill
	v_or_b32_e32 v4, v125, v36
	buffer_store_dword v0, off, s[0:3], s32 offset:340 ; 4-byte Folded Spill
	v_or_b32_e32 v0, v124, v80
	v_fma_mixlo_f16 v80, v50, v38, 0 op_sel:[0,1,0] op_sel_hi:[0,1,0]
	v_fma_mixlo_f16 v4, v50, v4, 0 op_sel_hi:[0,1,0]
	v_fma_mixlo_f16 v0, v50, v0, 0 op_sel_hi:[0,1,0]
	buffer_store_dword v4, off, s[0:3], s32 offset:300 ; 4-byte Folded Spill
	v_fma_mixlo_f16 v4, v50, v125, 0 op_sel:[0,1,0] op_sel_hi:[0,1,0]
	buffer_store_dword v0, off, s[0:3], s32 offset:332 ; 4-byte Folded Spill
	v_fma_mixlo_f16 v0, v50, v124, 0 op_sel:[0,1,0] op_sel_hi:[0,1,0]
	v_fma_mixlo_f16 v124, v50, v13, 0 op_sel:[0,1,0] op_sel_hi:[0,1,0]
	;; [unrolled: 1-line block ×3, first 2 shown]
	buffer_store_dword v4, off, s[0:3], s32 offset:296 ; 4-byte Folded Spill
	v_fma_mixlo_f16 v4, v50, v8, 0 op_sel:[0,1,0] op_sel_hi:[0,1,0]
	buffer_store_dword v0, off, s[0:3], s32 offset:328 ; 4-byte Folded Spill
	v_or_b32_e32 v0, v26, v12
	v_fma_mixlo_f16 v26, v50, v51, 0 op_sel:[0,1,0] op_sel_hi:[0,1,0]
	v_fma_mixlo_f16 v8, v50, v108, 0 op_sel:[0,1,0] op_sel_hi:[0,1,0]
	buffer_store_dword v4, off, s[0:3], s32 offset:344 ; 4-byte Folded Spill
	v_fma_mixlo_f16 v4, v50, v83, 0 op_sel:[0,1,0] op_sel_hi:[0,1,0]
	v_fma_mixlo_f16 v89, v50, v0, 0 op_sel_hi:[0,1,0]
	v_or_b32_e32 v0, v13, v3
	buffer_store_dword v4, off, s[0:3], s32 offset:336 ; 4-byte Folded Spill
	v_fma_mixlo_f16 v4, v50, v84, 0 op_sel:[0,1,0] op_sel_hi:[0,1,0]
	v_fma_mixlo_f16 v77, v50, v0, 0 op_sel_hi:[0,1,0]
	v_or_b32_e32 v0, v30, v19
	v_fma_mixlo_f16 v30, v50, v54, 0 op_sel:[0,1,0] op_sel_hi:[0,1,0]
	v_and_b32_e32 v4, 0xffff, v4
	v_fma_mixlo_f16 v0, v50, v0, 0 op_sel_hi:[0,1,0]
	buffer_store_dword v0, off, s[0:3], s32 offset:352 ; 4-byte Folded Spill
	v_or_b32_e32 v0, v70, v31
	v_fma_mixlo_f16 v93, v50, v0, 0 op_sel_hi:[0,1,0]
	v_or_b32_e32 v0, v69, v39
	v_fma_mixlo_f16 v69, v50, v69, 0 op_sel:[0,1,0] op_sel_hi:[0,1,0]
	v_fma_mixlo_f16 v70, v50, v0, 0 op_sel_hi:[0,1,0]
	v_or_b32_e32 v0, v38, v18
	v_fma_mixlo_f16 v18, v50, v2, 0 op_sel:[0,1,0] op_sel_hi:[0,1,0]
	;; [unrolled: 3-line block ×4, first 2 shown]
	v_fma_mixlo_f16 v63, v50, v32, 0 op_sel:[0,1,0] op_sel_hi:[0,1,0]
	v_fma_mixlo_f16 v39, v50, v0, 0 op_sel_hi:[0,1,0]
	v_or_b32_e32 v0, v51, v20
	v_fma_mixlo_f16 v20, v50, v9, 0 op_sel:[0,1,0] op_sel_hi:[0,1,0]
	v_fma_mixlo_f16 v24, v50, v0, 0 op_sel_hi:[0,1,0]
	v_or_b32_e32 v0, v21, v29
	;; [unrolled: 3-line block ×5, first 2 shown]
	v_and_b32_e32 v64, 0xffff, v64
	v_fma_mixlo_f16 v62, v50, v0, 0 op_sel_hi:[0,1,0]
	v_or_b32_e32 v0, v32, v96
	v_fma_mixlo_f16 v96, v50, v34, 0 op_sel:[0,1,0] op_sel_hi:[0,1,0]
	v_fma_mixlo_f16 v53, v50, v0, 0 op_sel_hi:[0,1,0]
	v_or_b32_e32 v0, v2, v11
	v_fma_mixlo_f16 v2, v50, v81, 0 op_sel:[0,1,0] op_sel_hi:[0,1,0]
	;; [unrolled: 3-line block ×3, first 2 shown]
	v_fma_mixlo_f16 v27, v50, v60, 0 op_sel:[0,1,0] op_sel_hi:[0,1,0]
	v_fma_mixlo_f16 v19, v50, v0, 0 op_sel_hi:[0,1,0]
	v_or_b32_e32 v0, v105, v61
	v_fma_mixlo_f16 v105, v50, v105, 0 op_sel:[0,1,0] op_sel_hi:[0,1,0]
	v_fma_mixlo_f16 v10, v50, v0, 0 op_sel_hi:[0,1,0]
	v_or_b32_e32 v0, v60, v91
	;; [unrolled: 3-line block ×4, first 2 shown]
	v_fma_mixlo_f16 v12, v50, v0, 0 op_sel_hi:[0,1,0]
	v_or_b32_e32 v0, v59, v35
	v_fma_mixlo_f16 v106, v50, v0, 0 op_sel_hi:[0,1,0]
	v_or_b32_e32 v0, v15, v14
	v_fma_mixlo_f16 v15, v50, v86, 0 op_sel:[0,1,0] op_sel_hi:[0,1,0]
	v_fma_mixlo_f16 v122, v50, v0, 0 op_sel_hi:[0,1,0]
	v_or_b32_e32 v0, v75, v98
	v_fma_mixlo_f16 v75, v50, v44, 0 op_sel:[0,1,0] op_sel_hi:[0,1,0]
	v_fma_mixlo_f16 v61, v50, v0, 0 op_sel_hi:[0,1,0]
	v_or_b32_e32 v0, v90, v74
	v_fma_mixlo_f16 v7, v50, v0, 0 op_sel_hi:[0,1,0]
	v_or_b32_e32 v0, v47, v45
	v_fma_mixlo_f16 v45, v50, v57, 0 op_sel:[0,1,0] op_sel_hi:[0,1,0]
	v_fma_mixlo_f16 v47, v50, v47, 0 op_sel:[0,1,0] op_sel_hi:[0,1,0]
	v_fma_mixlo_f16 v74, v50, v0, 0 op_sel_hi:[0,1,0]
	v_or_b32_e32 v0, v44, v43
	v_fma_mixlo_f16 v43, v50, v58, 0 op_sel:[0,1,0] op_sel_hi:[0,1,0]
	v_fma_mixlo_f16 v90, v50, v0, 0 op_sel_hi:[0,1,0]
	v_or_b32_e32 v0, v57, v46
	v_fma_mixlo_f16 v57, v50, v116, 0 op_sel:[0,1,0] op_sel_hi:[0,1,0]
	v_fma_mixlo_f16 v46, v50, v0, 0 op_sel_hi:[0,1,0]
	v_or_b32_e32 v0, v58, v56
	v_fma_mixlo_f16 v44, v50, v0, 0 op_sel_hi:[0,1,0]
	v_or_b32_e32 v0, v119, v117
	v_fma_mixlo_f16 v117, v50, v41, 0 op_sel:[0,1,0] op_sel_hi:[0,1,0]
	v_fma_mixlo_f16 v119, v50, v119, 0 op_sel:[0,1,0] op_sel_hi:[0,1,0]
	;; [unrolled: 12-line block ×3, first 2 shown]
	v_fma_mixlo_f16 v40, v50, v0, 0 op_sel_hi:[0,1,0]
	v_or_b32_e32 v0, v100, v99
	v_fma_mixlo_f16 v99, v50, v114, 0 op_sel:[0,1,0] op_sel_hi:[0,1,0]
	v_fma_mixlo_f16 v42, v50, v0, 0 op_sel_hi:[0,1,0]
	v_or_b32_e32 v0, v113, v102
	v_fma_mixlo_f16 v102, v50, v0, 0 op_sel_hi:[0,1,0]
	v_or_b32_e32 v0, v114, v112
	v_fma_mixlo_f16 v114, v50, v87, 0 op_sel:[0,1,0] op_sel_hi:[0,1,0]
	v_fma_mixlo_f16 v112, v50, v97, 0 op_sel:[0,1,0] op_sel_hi:[0,1,0]
	v_fma_mixlo_f16 v100, v50, v0, 0 op_sel_hi:[0,1,0]
	buffer_load_dword v0, off, s[0:3], s32 offset:232 ; 4-byte Folded Reload
	s_waitcnt vmcnt(0)
	v_or_b32_e32 v0, v87, v0
	v_fma_mixlo_f16 v87, v50, v0, 0 op_sel_hi:[0,1,0]
	buffer_load_dword v0, off, s[0:3], s32 offset:228 ; 4-byte Folded Reload
	s_waitcnt vmcnt(0)
	v_or_b32_e32 v0, v84, v0
	;; [unrolled: 4-line block ×8, first 2 shown]
	v_fma_mixlo_f16 v32, v50, v0, 0 op_sel_hi:[0,1,0]
	s_clause 0x1
	buffer_load_dword v0, off, s[0:3], s32 offset:196
	buffer_load_dword v1, off, s[0:3], s32 offset:204
	s_waitcnt vmcnt(0)
	v_or_b32_e32 v0, v1, v0
	v_fma_mixlo_f16 v120, v50, v1, 0 op_sel:[0,1,0] op_sel_hi:[0,1,0]
	buffer_load_dword v1, off, s[0:3], s32 offset:192 ; 4-byte Folded Reload
	v_fma_mixlo_f16 v121, v50, v0, 0 op_sel_hi:[0,1,0]
	s_waitcnt vmcnt(0)
	v_or_b32_e32 v0, v1, v73
	v_fma_mixlo_f16 v86, v50, v1, 0 op_sel:[0,1,0] op_sel_hi:[0,1,0]
	buffer_load_dword v1, off, s[0:3], s32 offset:356 ; 4-byte Folded Reload
	v_fma_mixlo_f16 v73, v50, v72, 0 op_sel:[0,1,0] op_sel_hi:[0,1,0]
	v_fma_mixlo_f16 v79, v50, v0, 0 op_sel_hi:[0,1,0]
	buffer_load_dword v0, off, s[0:3], s32 offset:200 ; 4-byte Folded Reload
	buffer_store_dword v2, off, s[0:3], s32 offset:200 ; 4-byte Folded Spill
	v_fma_mixlo_f16 v2, v50, v82, 0 op_sel:[0,1,0] op_sel_hi:[0,1,0]
	buffer_store_dword v2, off, s[0:3], s32 offset:196 ; 4-byte Folded Spill
	s_waitcnt vmcnt(0)
	v_or_b32_e32 v0, v88, v0
	v_fma_mixlo_f16 v88, v50, v88, 0 op_sel:[0,1,0] op_sel_hi:[0,1,0]
	v_fma_mixlo_f16 v111, v50, v0, 0 op_sel_hi:[0,1,0]
	buffer_load_dword v0, off, s[0:3], s32 offset:208 ; 4-byte Folded Reload
	s_waitcnt vmcnt(0)
	v_or_b32_e32 v0, v65, v0
	v_fma_mixlo_f16 v65, v50, v65, 0 op_sel:[0,1,0] op_sel_hi:[0,1,0]
	v_fma_mixlo_f16 v76, v50, v0, 0 op_sel_hi:[0,1,0]
	v_sub_nc_u32_e32 v0, 1, v28
	v_add_nc_u32_e32 v0, v0, v25
	v_add_nc_u32_e32 v25, 0x80, v25
	v_cvt_f32_i32_e32 v0, v0
	v_mul_f32_e32 v0, v1, v0
	v_or_b32_e32 v1, v81, v68
	v_cndmask_b32_e32 v11, 0, v0, vcc_lo
	v_fma_mixlo_f16 v81, v50, v1, 0 op_sel_hi:[0,1,0]
	v_or_b32_e32 v1, v78, v127
	v_fma_mixlo_f16 v127, v50, v78, 0 op_sel:[0,1,0] op_sel_hi:[0,1,0]
	v_fma_mixlo_f16 v68, v50, v1, 0 op_sel_hi:[0,1,0]
	v_or_b32_e32 v1, v82, v126
	v_fma_mixlo_f16 v78, v50, v1, 0 op_sel_hi:[0,1,0]
	v_or_b32_e32 v1, v72, v49
	v_fma_mixlo_f16 v1, v50, v1, 0 op_sel_hi:[0,1,0]
	buffer_store_dword v1, off, s[0:3], s32 offset:192 ; 4-byte Folded Spill
	ds_read_b128 v[0:3], v5
	s_waitcnt lgkmcnt(0)
	v_lshrrev_b32_e32 v14, 16, v0
	v_and_b32_e32 v0, 0xffff, v0
	;;#ASMSTART
	v_cvt_f32_f16 v59, v0;
	;;#ASMEND
	v_and_b32_e32 v0, 0xffff, v79
	;;#ASMSTART
	v_cvt_f32_f16 v14, v14;
	;;#ASMEND
	;;#ASMSTART
	v_cvt_f32_f16 v60, v0;
	;;#ASMEND
	v_and_b32_e32 v0, 0xffff, v86
	;;#ASMSTART
	v_cvt_f32_f16 v72, v0;
	;;#ASMEND
	v_lshrrev_b32_e32 v0, 16, v1
	v_and_b32_e32 v1, 0xffff, v1
	;;#ASMSTART
	v_cvt_f32_f16 v34, v1;
	;;#ASMEND
	;;#ASMSTART
	v_cvt_f32_f16 v126, v0;
	;;#ASMEND
	v_and_b32_e32 v0, 0xffff, v121
	;;#ASMSTART
	v_cvt_f32_f16 v35, v0;
	;;#ASMEND
	v_and_b32_e32 v0, 0xffff, v120
	;;#ASMSTART
	v_cvt_f32_f16 v98, v0;
	;;#ASMEND
	v_lshrrev_b32_e32 v0, 16, v2
	v_and_b32_e32 v1, 0xffff, v2
	;;#ASMSTART
	v_cvt_f32_f16 v121, v1;
	;;#ASMEND
	;;#ASMSTART
	v_cvt_f32_f16 v120, v0;
	;;#ASMEND
	v_and_b32_e32 v0, 0xffff, v111
	;; [unrolled: 16-line block ×3, first 2 shown]
	;;#ASMSTART
	v_cvt_f32_f16 v49, v0;
	;;#ASMEND
	v_and_b32_e32 v0, 0xffff, v65
	;;#ASMSTART
	v_cvt_f32_f16 v82, v0;
	;;#ASMEND
	ds_read_b128 v[0:3], v5 offset:16
	s_waitcnt lgkmcnt(0)
	v_lshrrev_b32_e32 v50, 16, v0
	v_and_b32_e32 v0, 0xffff, v0
	;;#ASMSTART
	v_cvt_f32_f16 v0, v0;
	;;#ASMEND
	;;#ASMSTART
	v_cvt_f32_f16 v65, v50;
	;;#ASMEND
	v_and_b32_e32 v50, 0xffff, v71
	;;#ASMSTART
	v_cvt_f32_f16 v50, v50;
	;;#ASMEND
	;;#ASMSTART
	v_cvt_f32_f16 v55, v55;
	;;#ASMEND
	v_mul_f32_e32 v55, v65, v55
	v_mul_f32_e32 v50, v0, v50
	v_and_b32_e32 v0, 0xffff, v1
	;;#ASMSTART
	v_cvt_f32_f16 v0, v0;
	;;#ASMEND
	v_fmac_f32_e32 v55, v14, v72
	v_lshrrev_b32_e32 v14, 16, v1
	;;#ASMSTART
	v_cvt_f32_f16 v1, v14;
	;;#ASMEND
	v_and_b32_e32 v14, 0xffff, v84
	;;#ASMSTART
	v_cvt_f32_f16 v14, v14;
	;;#ASMEND
	v_mul_f32_e32 v71, v0, v14
	;;#ASMSTART
	v_cvt_f32_f16 v64, v64;
	;;#ASMEND
	v_mul_f32_e32 v14, v1, v64
	v_lshrrev_b32_e32 v1, 16, v2
	v_and_b32_e32 v0, 0xffff, v2
	v_fmac_f32_e32 v71, v34, v35
	v_and_b32_e32 v2, 0xffff, v66
	v_and_b32_e32 v34, 0xffff, v67
	;;#ASMSTART
	v_cvt_f32_f16 v0, v0;
	;;#ASMEND
	;;#ASMSTART
	v_cvt_f32_f16 v1, v1;
	;;#ASMEND
	;; [unrolled: 3-line block ×4, first 2 shown]
	v_mul_f32_e32 v35, v0, v2
	v_mul_f32_e32 v34, v1, v34
	v_lshrrev_b32_e32 v1, 16, v3
	v_and_b32_e32 v0, 0xffff, v3
	v_and_b32_e32 v2, 0xffff, v32
	;; [unrolled: 1-line block ×3, first 2 shown]
	;;#ASMSTART
	v_cvt_f32_f16 v0, v0;
	;;#ASMEND
	;;#ASMSTART
	v_cvt_f32_f16 v1, v1;
	;;#ASMEND
	;; [unrolled: 3-line block ×4, first 2 shown]
	ds_read_b128 v[64:67], v5 offset:32
	v_fmac_f32_e32 v50, v59, v60
	v_fmac_f32_e32 v14, v126, v98
	v_mul_f32_e32 v32, v0, v2
	v_mul_f32_e32 v1, v1, v3
	v_and_b32_e32 v3, 0xffff, v36
	v_fmac_f32_e32 v35, v121, v111
	v_fmac_f32_e32 v34, v120, v88
	;; [unrolled: 1-line block ×4, first 2 shown]
	s_waitcnt lgkmcnt(0)
	v_lshrrev_b32_e32 v2, 16, v64
	v_and_b32_e32 v0, 0xffff, v64
	;;#ASMSTART
	v_cvt_f32_f16 v0, v0;
	;;#ASMEND
	;;#ASMSTART
	v_cvt_f32_f16 v2, v2;
	;;#ASMEND
	;;#ASMSTART
	v_cvt_f32_f16 v3, v3;
	;;#ASMEND
	;;#ASMSTART
	v_cvt_f32_f16 v4, v4;
	;;#ASMEND
	v_fmac_f32_e32 v50, v0, v3
	v_fmac_f32_e32 v55, v2, v4
	v_lshrrev_b32_e32 v2, 16, v65
	v_and_b32_e32 v0, 0xffff, v65
	v_and_b32_e32 v3, 0xffff, v87
	v_and_b32_e32 v4, 0xffff, v114
	;;#ASMSTART
	v_cvt_f32_f16 v0, v0;
	;;#ASMEND
	;;#ASMSTART
	v_cvt_f32_f16 v2, v2;
	;;#ASMEND
	;;#ASMSTART
	v_cvt_f32_f16 v3, v3;
	;;#ASMEND
	;;#ASMSTART
	v_cvt_f32_f16 v4, v4;
	;;#ASMEND
	v_fmac_f32_e32 v71, v0, v3
	v_fmac_f32_e32 v14, v2, v4
	v_lshrrev_b32_e32 v2, 16, v66
	v_and_b32_e32 v0, 0xffff, v66
	v_and_b32_e32 v3, 0xffff, v113
	;; [unrolled: 18-line block ×3, first 2 shown]
	v_and_b32_e32 v4, 0xffff, v96
	;;#ASMSTART
	v_cvt_f32_f16 v0, v0;
	;;#ASMEND
	;;#ASMSTART
	v_cvt_f32_f16 v2, v2;
	;;#ASMEND
	;; [unrolled: 3-line block ×4, first 2 shown]
	ds_read_b128 v[64:67], v5 offset:48
	v_fmac_f32_e32 v32, v0, v3
	v_fmac_f32_e32 v1, v2, v4
	v_and_b32_e32 v3, 0xffff, v42
	v_and_b32_e32 v4, 0xffff, v41
	s_waitcnt lgkmcnt(0)
	v_lshrrev_b32_e32 v2, 16, v64
	v_and_b32_e32 v0, 0xffff, v64
	;;#ASMSTART
	v_cvt_f32_f16 v0, v0;
	;;#ASMEND
	;;#ASMSTART
	v_cvt_f32_f16 v2, v2;
	;;#ASMEND
	;;#ASMSTART
	v_cvt_f32_f16 v3, v3;
	;;#ASMEND
	;;#ASMSTART
	v_cvt_f32_f16 v4, v4;
	;;#ASMEND
	v_fmac_f32_e32 v50, v0, v3
	v_fmac_f32_e32 v55, v2, v4
	v_lshrrev_b32_e32 v2, 16, v65
	v_and_b32_e32 v0, 0xffff, v65
	v_and_b32_e32 v3, 0xffff, v40
	v_and_b32_e32 v4, 0xffff, v103
	;;#ASMSTART
	v_cvt_f32_f16 v0, v0;
	;;#ASMEND
	;;#ASMSTART
	v_cvt_f32_f16 v2, v2;
	;;#ASMEND
	;;#ASMSTART
	v_cvt_f32_f16 v3, v3;
	;;#ASMEND
	;;#ASMSTART
	v_cvt_f32_f16 v4, v4;
	;;#ASMEND
	v_fmac_f32_e32 v71, v0, v3
	v_fmac_f32_e32 v14, v2, v4
	v_lshrrev_b32_e32 v2, 16, v66
	v_and_b32_e32 v0, 0xffff, v66
	v_and_b32_e32 v3, 0xffff, v102
	;; [unrolled: 18-line block ×3, first 2 shown]
	v_and_b32_e32 v4, 0xffff, v99
	;;#ASMSTART
	v_cvt_f32_f16 v0, v0;
	;;#ASMEND
	;;#ASMSTART
	v_cvt_f32_f16 v2, v2;
	;;#ASMEND
	;; [unrolled: 3-line block ×4, first 2 shown]
	ds_read_b128 v[64:67], v5 offset:64
	v_fmac_f32_e32 v32, v0, v3
	v_fmac_f32_e32 v1, v2, v4
	v_and_b32_e32 v3, 0xffff, v58
	v_and_b32_e32 v4, 0xffff, v57
	s_waitcnt lgkmcnt(0)
	v_lshrrev_b32_e32 v2, 16, v64
	v_and_b32_e32 v0, 0xffff, v64
	;;#ASMSTART
	v_cvt_f32_f16 v0, v0;
	;;#ASMEND
	;;#ASMSTART
	v_cvt_f32_f16 v2, v2;
	;;#ASMEND
	;;#ASMSTART
	v_cvt_f32_f16 v3, v3;
	;;#ASMEND
	;;#ASMSTART
	v_cvt_f32_f16 v4, v4;
	;;#ASMEND
	v_fmac_f32_e32 v50, v0, v3
	v_fmac_f32_e32 v55, v2, v4
	v_lshrrev_b32_e32 v2, 16, v65
	v_and_b32_e32 v0, 0xffff, v65
	v_and_b32_e32 v3, 0xffff, v56
	v_and_b32_e32 v4, 0xffff, v119
	;;#ASMSTART
	v_cvt_f32_f16 v0, v0;
	;;#ASMEND
	;;#ASMSTART
	v_cvt_f32_f16 v2, v2;
	;;#ASMEND
	;;#ASMSTART
	v_cvt_f32_f16 v3, v3;
	;;#ASMEND
	;;#ASMSTART
	v_cvt_f32_f16 v4, v4;
	;;#ASMEND
	v_fmac_f32_e32 v71, v0, v3
	v_fmac_f32_e32 v14, v2, v4
	v_lshrrev_b32_e32 v2, 16, v66
	v_and_b32_e32 v0, 0xffff, v66
	v_and_b32_e32 v3, 0xffff, v118
	;; [unrolled: 18-line block ×3, first 2 shown]
	v_and_b32_e32 v4, 0xffff, v115
	;;#ASMSTART
	v_cvt_f32_f16 v0, v0;
	;;#ASMEND
	;;#ASMSTART
	v_cvt_f32_f16 v2, v2;
	;;#ASMEND
	;; [unrolled: 3-line block ×4, first 2 shown]
	ds_read_b128 v[64:67], v5 offset:80
	v_fmac_f32_e32 v32, v0, v3
	v_fmac_f32_e32 v1, v2, v4
	v_and_b32_e32 v3, 0xffff, v90
	v_and_b32_e32 v4, 0xffff, v75
	s_waitcnt lgkmcnt(0)
	v_lshrrev_b32_e32 v2, 16, v64
	v_and_b32_e32 v0, 0xffff, v64
	;;#ASMSTART
	v_cvt_f32_f16 v0, v0;
	;;#ASMEND
	;;#ASMSTART
	v_cvt_f32_f16 v2, v2;
	;;#ASMEND
	;;#ASMSTART
	v_cvt_f32_f16 v3, v3;
	;;#ASMEND
	;;#ASMSTART
	v_cvt_f32_f16 v4, v4;
	;;#ASMEND
	v_fmac_f32_e32 v50, v0, v3
	v_fmac_f32_e32 v55, v2, v4
	v_lshrrev_b32_e32 v2, 16, v65
	v_and_b32_e32 v0, 0xffff, v65
	v_and_b32_e32 v3, 0xffff, v74
	v_and_b32_e32 v4, 0xffff, v47
	;;#ASMSTART
	v_cvt_f32_f16 v0, v0;
	;;#ASMEND
	;;#ASMSTART
	v_cvt_f32_f16 v2, v2;
	;;#ASMEND
	;;#ASMSTART
	v_cvt_f32_f16 v3, v3;
	;;#ASMEND
	;;#ASMSTART
	v_cvt_f32_f16 v4, v4;
	;;#ASMEND
	v_fmac_f32_e32 v71, v0, v3
	v_fmac_f32_e32 v14, v2, v4
	v_lshrrev_b32_e32 v2, 16, v66
	v_and_b32_e32 v0, 0xffff, v66
	v_and_b32_e32 v3, 0xffff, v46
	v_and_b32_e32 v4, 0xffff, v45
	;;#ASMSTART
	v_cvt_f32_f16 v0, v0;
	;;#ASMEND
	;;#ASMSTART
	v_cvt_f32_f16 v2, v2;
	;;#ASMEND
	;;#ASMSTART
	v_cvt_f32_f16 v3, v3;
	;;#ASMEND
	;;#ASMSTART
	v_cvt_f32_f16 v4, v4;
	;;#ASMEND
	v_fmac_f32_e32 v35, v0, v3
	v_fmac_f32_e32 v34, v2, v4
	v_lshrrev_b32_e32 v2, 16, v67
	v_and_b32_e32 v0, 0xffff, v67
	v_and_b32_e32 v3, 0xffff, v44
	v_and_b32_e32 v4, 0xffff, v43
	;;#ASMSTART
	v_cvt_f32_f16 v0, v0;
	;;#ASMEND
	;;#ASMSTART
	v_cvt_f32_f16 v2, v2;
	;;#ASMEND
	;; [unrolled: 3-line block ×4, first 2 shown]
	ds_read_b128 v[64:67], v5 offset:96
	v_fmac_f32_e32 v32, v0, v3
	v_fmac_f32_e32 v1, v2, v4
	v_and_b32_e32 v3, 0xffff, v122
	v_and_b32_e32 v4, 0xffff, v108
	s_waitcnt lgkmcnt(0)
	v_lshrrev_b32_e32 v2, 16, v64
	v_and_b32_e32 v0, 0xffff, v64
	;;#ASMSTART
	v_cvt_f32_f16 v0, v0;
	;;#ASMEND
	;;#ASMSTART
	v_cvt_f32_f16 v2, v2;
	;;#ASMEND
	;;#ASMSTART
	v_cvt_f32_f16 v3, v3;
	;;#ASMEND
	;;#ASMSTART
	v_cvt_f32_f16 v4, v4;
	;;#ASMEND
	v_fmac_f32_e32 v50, v0, v3
	v_fmac_f32_e32 v55, v2, v4
	v_lshrrev_b32_e32 v2, 16, v65
	v_and_b32_e32 v0, 0xffff, v65
	v_and_b32_e32 v3, 0xffff, v106
	v_and_b32_e32 v4, 0xffff, v9
	;;#ASMSTART
	v_cvt_f32_f16 v0, v0;
	;;#ASMEND
	;;#ASMSTART
	v_cvt_f32_f16 v2, v2;
	;;#ASMEND
	;;#ASMSTART
	v_cvt_f32_f16 v3, v3;
	;;#ASMEND
	;;#ASMSTART
	v_cvt_f32_f16 v4, v4;
	;;#ASMEND
	v_fmac_f32_e32 v71, v0, v3
	v_fmac_f32_e32 v14, v2, v4
	v_lshrrev_b32_e32 v2, 16, v66
	v_and_b32_e32 v0, 0xffff, v66
	v_and_b32_e32 v3, 0xffff, v61
	;; [unrolled: 18-line block ×3, first 2 shown]
	v_and_b32_e32 v4, 0xffff, v17
	;;#ASMSTART
	v_cvt_f32_f16 v0, v0;
	;;#ASMEND
	;;#ASMSTART
	v_cvt_f32_f16 v2, v2;
	;;#ASMEND
	;; [unrolled: 3-line block ×4, first 2 shown]
	ds_read_b128 v[64:67], v5 offset:112
	v_fmac_f32_e32 v32, v0, v3
	v_fmac_f32_e32 v1, v2, v4
	v_and_b32_e32 v3, 0xffff, v54
	v_and_b32_e32 v4, 0xffff, v27
	s_waitcnt lgkmcnt(0)
	v_lshrrev_b32_e32 v2, 16, v64
	v_and_b32_e32 v0, 0xffff, v64
	;;#ASMSTART
	v_cvt_f32_f16 v0, v0;
	;;#ASMEND
	;;#ASMSTART
	v_cvt_f32_f16 v2, v2;
	;;#ASMEND
	;;#ASMSTART
	v_cvt_f32_f16 v3, v3;
	;;#ASMEND
	;;#ASMSTART
	v_cvt_f32_f16 v4, v4;
	;;#ASMEND
	v_fmac_f32_e32 v50, v0, v3
	v_fmac_f32_e32 v55, v2, v4
	v_lshrrev_b32_e32 v2, 16, v65
	v_and_b32_e32 v0, 0xffff, v65
	v_and_b32_e32 v3, 0xffff, v10
	v_and_b32_e32 v4, 0xffff, v105
	;;#ASMSTART
	v_cvt_f32_f16 v0, v0;
	;;#ASMEND
	;;#ASMSTART
	v_cvt_f32_f16 v2, v2;
	;;#ASMEND
	;;#ASMSTART
	v_cvt_f32_f16 v3, v3;
	;;#ASMEND
	;;#ASMSTART
	v_cvt_f32_f16 v4, v4;
	;;#ASMEND
	v_fmac_f32_e32 v71, v0, v3
	v_fmac_f32_e32 v14, v2, v4
	v_lshrrev_b32_e32 v2, 16, v66
	v_and_b32_e32 v0, 0xffff, v66
	v_and_b32_e32 v3, 0xffff, v104
	;; [unrolled: 18-line block ×3, first 2 shown]
	v_and_b32_e32 v4, 0xffff, v91
	;;#ASMSTART
	v_cvt_f32_f16 v0, v0;
	;;#ASMEND
	;;#ASMSTART
	v_cvt_f32_f16 v2, v2;
	;;#ASMEND
	;; [unrolled: 3-line block ×4, first 2 shown]
	ds_read_b128 v[6:9], v5 offset:128
	v_fmac_f32_e32 v32, v0, v3
	v_fmac_f32_e32 v1, v2, v4
	v_and_b32_e32 v3, 0xffff, v53
	v_and_b32_e32 v4, 0xffff, v63
	s_waitcnt lgkmcnt(0)
	v_lshrrev_b32_e32 v2, 16, v6
	v_and_b32_e32 v0, 0xffff, v6
	;;#ASMSTART
	v_cvt_f32_f16 v0, v0;
	;;#ASMEND
	;;#ASMSTART
	v_cvt_f32_f16 v2, v2;
	;;#ASMEND
	;;#ASMSTART
	v_cvt_f32_f16 v3, v3;
	;;#ASMEND
	;;#ASMSTART
	v_cvt_f32_f16 v4, v4;
	;;#ASMEND
	v_fmac_f32_e32 v50, v0, v3
	v_fmac_f32_e32 v55, v2, v4
	v_lshrrev_b32_e32 v2, 16, v7
	v_and_b32_e32 v0, 0xffff, v7
	v_and_b32_e32 v3, 0xffff, v62
	v_and_b32_e32 v4, 0xffff, v85
	;;#ASMSTART
	v_cvt_f32_f16 v0, v0;
	;;#ASMEND
	;;#ASMSTART
	v_cvt_f32_f16 v2, v2;
	;;#ASMEND
	;;#ASMSTART
	v_cvt_f32_f16 v3, v3;
	;;#ASMEND
	;;#ASMSTART
	v_cvt_f32_f16 v4, v4;
	;;#ASMEND
	v_fmac_f32_e32 v71, v0, v3
	v_fmac_f32_e32 v14, v2, v4
	v_lshrrev_b32_e32 v2, 16, v8
	v_and_b32_e32 v0, 0xffff, v8
	v_and_b32_e32 v3, 0xffff, v13
	;; [unrolled: 18-line block ×3, first 2 shown]
	v_and_b32_e32 v4, 0xffff, v20
	;;#ASMSTART
	v_cvt_f32_f16 v0, v0;
	;;#ASMEND
	;;#ASMSTART
	v_cvt_f32_f16 v2, v2;
	;;#ASMEND
	;; [unrolled: 3-line block ×4, first 2 shown]
	ds_read_b128 v[6:9], v5 offset:144
	v_fmac_f32_e32 v32, v0, v3
	v_fmac_f32_e32 v1, v2, v4
	v_and_b32_e32 v3, 0xffff, v51
	v_and_b32_e32 v4, 0xffff, v21
	s_waitcnt lgkmcnt(0)
	v_lshrrev_b32_e32 v2, 16, v6
	v_and_b32_e32 v0, 0xffff, v6
	;;#ASMSTART
	v_cvt_f32_f16 v0, v0;
	;;#ASMEND
	;;#ASMSTART
	v_cvt_f32_f16 v2, v2;
	;;#ASMEND
	;;#ASMSTART
	v_cvt_f32_f16 v3, v3;
	;;#ASMEND
	;;#ASMSTART
	v_cvt_f32_f16 v4, v4;
	;;#ASMEND
	v_fmac_f32_e32 v50, v0, v3
	v_fmac_f32_e32 v55, v2, v4
	v_lshrrev_b32_e32 v2, 16, v7
	v_and_b32_e32 v0, 0xffff, v7
	v_and_b32_e32 v3, 0xffff, v24
	v_and_b32_e32 v4, 0xffff, v26
	;;#ASMSTART
	v_cvt_f32_f16 v0, v0;
	;;#ASMEND
	;;#ASMSTART
	v_cvt_f32_f16 v2, v2;
	;;#ASMEND
	;;#ASMSTART
	v_cvt_f32_f16 v3, v3;
	;;#ASMEND
	;;#ASMSTART
	v_cvt_f32_f16 v4, v4;
	;;#ASMEND
	v_fmac_f32_e32 v71, v0, v3
	v_fmac_f32_e32 v14, v2, v4
	v_lshrrev_b32_e32 v2, 16, v8
	v_and_b32_e32 v0, 0xffff, v8
	v_and_b32_e32 v3, 0xffff, v29
	;; [unrolled: 18-line block ×3, first 2 shown]
	v_and_b32_e32 v4, 0xffff, v33
	;;#ASMSTART
	v_cvt_f32_f16 v0, v0;
	;;#ASMEND
	;;#ASMSTART
	v_cvt_f32_f16 v2, v2;
	;;#ASMEND
	;; [unrolled: 3-line block ×4, first 2 shown]
	ds_read_b128 v[6:9], v5 offset:160
	v_fmac_f32_e32 v32, v0, v3
	v_fmac_f32_e32 v1, v2, v4
	v_and_b32_e32 v3, 0xffff, v83
	v_and_b32_e32 v4, 0xffff, v80
	s_waitcnt lgkmcnt(0)
	v_lshrrev_b32_e32 v2, 16, v6
	v_and_b32_e32 v0, 0xffff, v6
	;;#ASMSTART
	v_cvt_f32_f16 v0, v0;
	;;#ASMEND
	;;#ASMSTART
	v_cvt_f32_f16 v2, v2;
	;;#ASMEND
	;;#ASMSTART
	v_cvt_f32_f16 v3, v3;
	;;#ASMEND
	;;#ASMSTART
	v_cvt_f32_f16 v4, v4;
	;;#ASMEND
	v_fmac_f32_e32 v50, v0, v3
	v_fmac_f32_e32 v55, v2, v4
	v_lshrrev_b32_e32 v2, 16, v7
	v_and_b32_e32 v0, 0xffff, v7
	v_and_b32_e32 v3, 0xffff, v70
	v_and_b32_e32 v4, 0xffff, v69
	;;#ASMSTART
	v_cvt_f32_f16 v0, v0;
	;;#ASMEND
	;;#ASMSTART
	v_cvt_f32_f16 v2, v2;
	;;#ASMEND
	;;#ASMSTART
	v_cvt_f32_f16 v3, v3;
	;;#ASMEND
	;;#ASMSTART
	v_cvt_f32_f16 v4, v4;
	;;#ASMEND
	v_fmac_f32_e32 v71, v0, v3
	v_fmac_f32_e32 v14, v2, v4
	v_lshrrev_b32_e32 v2, 16, v8
	v_and_b32_e32 v0, 0xffff, v8
	v_and_b32_e32 v3, 0xffff, v38
	;; [unrolled: 18-line block ×3, first 2 shown]
	v_and_b32_e32 v4, 0xffff, v52
	;;#ASMSTART
	v_cvt_f32_f16 v0, v0;
	;;#ASMEND
	;;#ASMSTART
	v_cvt_f32_f16 v2, v2;
	;;#ASMEND
	;; [unrolled: 3-line block ×4, first 2 shown]
	ds_read_b128 v[6:9], v5 offset:176
	v_fmac_f32_e32 v32, v0, v3
	v_fmac_f32_e32 v1, v2, v4
	v_and_b32_e32 v3, 0xffff, v77
	v_and_b32_e32 v4, 0xffff, v124
	s_waitcnt lgkmcnt(0)
	v_lshrrev_b32_e32 v2, 16, v6
	v_and_b32_e32 v0, 0xffff, v6
	;;#ASMSTART
	v_cvt_f32_f16 v0, v0;
	;;#ASMEND
	;;#ASMSTART
	v_cvt_f32_f16 v2, v2;
	;;#ASMEND
	;;#ASMSTART
	v_cvt_f32_f16 v3, v3;
	;;#ASMEND
	;;#ASMSTART
	v_cvt_f32_f16 v4, v4;
	;;#ASMEND
	v_fmac_f32_e32 v50, v0, v3
	v_fmac_f32_e32 v55, v2, v4
	v_lshrrev_b32_e32 v2, 16, v7
	v_and_b32_e32 v0, 0xffff, v7
	;;#ASMSTART
	v_cvt_f32_f16 v0, v0;
	;;#ASMEND
	;;#ASMSTART
	v_cvt_f32_f16 v2, v2;
	;;#ASMEND
	v_and_b32_e32 v3, 0xffff, v89
	v_and_b32_e32 v4, 0xffff, v92
	;;#ASMSTART
	v_cvt_f32_f16 v3, v3;
	;;#ASMEND
	;;#ASMSTART
	v_cvt_f32_f16 v4, v4;
	;;#ASMEND
	v_fmac_f32_e32 v71, v0, v3
	v_fmac_f32_e32 v14, v2, v4
	v_lshrrev_b32_e32 v2, 16, v8
	v_and_b32_e32 v0, 0xffff, v8
	;;#ASMSTART
	v_cvt_f32_f16 v0, v0;
	;;#ASMEND
	;;#ASMSTART
	v_cvt_f32_f16 v2, v2;
	;;#ASMEND
	buffer_load_dword v3, off, s[0:3], s32 offset:352 ; 4-byte Folded Reload
	v_and_b32_e32 v4, 0xffff, v125
	s_waitcnt vmcnt(0)
	v_and_b32_e32 v3, 0xffff, v3
	;;#ASMSTART
	v_cvt_f32_f16 v3, v3;
	;;#ASMEND
	;;#ASMSTART
	v_cvt_f32_f16 v4, v4;
	;;#ASMEND
	v_fmac_f32_e32 v35, v0, v3
	v_fmac_f32_e32 v34, v2, v4
	v_lshrrev_b32_e32 v2, 16, v9
	v_and_b32_e32 v0, 0xffff, v9
	v_and_b32_e32 v3, 0xffff, v93
	;; [unrolled: 1-line block ×3, first 2 shown]
	;;#ASMSTART
	v_cvt_f32_f16 v0, v0;
	;;#ASMEND
	;;#ASMSTART
	v_cvt_f32_f16 v2, v2;
	;;#ASMEND
	;; [unrolled: 3-line block ×4, first 2 shown]
	ds_read_b128 v[6:9], v5 offset:192
	v_fmac_f32_e32 v32, v0, v3
	v_fmac_f32_e32 v1, v2, v4
	v_and_b32_e32 v3, 0xffff, v109
	v_and_b32_e32 v4, 0xffff, v110
	s_waitcnt lgkmcnt(0)
	v_lshrrev_b32_e32 v2, 16, v6
	v_and_b32_e32 v0, 0xffff, v6
	;;#ASMSTART
	v_cvt_f32_f16 v0, v0;
	;;#ASMEND
	;;#ASMSTART
	v_cvt_f32_f16 v2, v2;
	;;#ASMEND
	;; [unrolled: 3-line block ×4, first 2 shown]
	v_fmac_f32_e32 v50, v0, v3
	v_fmac_f32_e32 v55, v2, v4
	v_lshrrev_b32_e32 v2, 16, v7
	v_and_b32_e32 v0, 0xffff, v7
	;;#ASMSTART
	v_cvt_f32_f16 v0, v0;
	;;#ASMEND
	;;#ASMSTART
	v_cvt_f32_f16 v2, v2;
	;;#ASMEND
	buffer_load_dword v3, off, s[0:3], s32 offset:348 ; 4-byte Folded Reload
	s_waitcnt vmcnt(0)
	v_and_b32_e32 v3, 0xffff, v3
	;;#ASMSTART
	v_cvt_f32_f16 v3, v3;
	;;#ASMEND
	buffer_load_dword v4, off, s[0:3], s32 offset:344 ; 4-byte Folded Reload
	v_fmac_f32_e32 v71, v0, v3
	v_and_b32_e32 v0, 0xffff, v8
	s_waitcnt vmcnt(0)
	v_and_b32_e32 v4, 0xffff, v4
	;;#ASMSTART
	v_cvt_f32_f16 v4, v4;
	;;#ASMEND
	v_fmac_f32_e32 v14, v2, v4
	v_lshrrev_b32_e32 v2, 16, v8
	;;#ASMSTART
	v_cvt_f32_f16 v0, v0;
	;;#ASMEND
	;;#ASMSTART
	v_cvt_f32_f16 v2, v2;
	;;#ASMEND
	buffer_load_dword v3, off, s[0:3], s32 offset:340 ; 4-byte Folded Reload
	s_waitcnt vmcnt(0)
	v_and_b32_e32 v3, 0xffff, v3
	;;#ASMSTART
	v_cvt_f32_f16 v3, v3;
	;;#ASMEND
	buffer_load_dword v4, off, s[0:3], s32 offset:336 ; 4-byte Folded Reload
	v_fmac_f32_e32 v35, v0, v3
	v_and_b32_e32 v0, 0xffff, v9
	s_waitcnt vmcnt(0)
	v_and_b32_e32 v4, 0xffff, v4
	;;#ASMSTART
	v_cvt_f32_f16 v4, v4;
	;;#ASMEND
	v_fmac_f32_e32 v34, v2, v4
	v_lshrrev_b32_e32 v2, 16, v9
	;;#ASMSTART
	v_cvt_f32_f16 v0, v0;
	;;#ASMEND
	;;#ASMSTART
	v_cvt_f32_f16 v2, v2;
	;;#ASMEND
	buffer_load_dword v3, off, s[0:3], s32 offset:332 ; 4-byte Folded Reload
	s_waitcnt vmcnt(0)
	v_and_b32_e32 v3, 0xffff, v3
	;;#ASMSTART
	v_cvt_f32_f16 v3, v3;
	;;#ASMEND
	buffer_load_dword v4, off, s[0:3], s32 offset:328 ; 4-byte Folded Reload
	v_fmac_f32_e32 v32, v0, v3
	s_waitcnt vmcnt(0)
	v_and_b32_e32 v4, 0xffff, v4
	;;#ASMSTART
	v_cvt_f32_f16 v4, v4;
	;;#ASMEND
	ds_read_b128 v[6:9], v5 offset:208
	v_fmac_f32_e32 v1, v2, v4
	s_waitcnt lgkmcnt(0)
	v_lshrrev_b32_e32 v2, 16, v6
	v_and_b32_e32 v0, 0xffff, v6
	;;#ASMSTART
	v_cvt_f32_f16 v0, v0;
	;;#ASMEND
	;;#ASMSTART
	v_cvt_f32_f16 v2, v2;
	;;#ASMEND
	buffer_load_dword v3, off, s[0:3], s32 offset:324 ; 4-byte Folded Reload
	s_waitcnt vmcnt(0)
	v_and_b32_e32 v3, 0xffff, v3
	;;#ASMSTART
	v_cvt_f32_f16 v3, v3;
	;;#ASMEND
	buffer_load_dword v4, off, s[0:3], s32 offset:320 ; 4-byte Folded Reload
	v_fmac_f32_e32 v50, v0, v3
	v_and_b32_e32 v0, 0xffff, v7
	s_waitcnt vmcnt(0)
	v_and_b32_e32 v4, 0xffff, v4
	;;#ASMSTART
	v_cvt_f32_f16 v4, v4;
	;;#ASMEND
	v_fmac_f32_e32 v55, v2, v4
	v_lshrrev_b32_e32 v2, 16, v7
	;;#ASMSTART
	v_cvt_f32_f16 v0, v0;
	;;#ASMEND
	;;#ASMSTART
	v_cvt_f32_f16 v2, v2;
	;;#ASMEND
	buffer_load_dword v3, off, s[0:3], s32 offset:316 ; 4-byte Folded Reload
	s_waitcnt vmcnt(0)
	v_and_b32_e32 v3, 0xffff, v3
	;;#ASMSTART
	v_cvt_f32_f16 v3, v3;
	;;#ASMEND
	buffer_load_dword v4, off, s[0:3], s32 offset:312 ; 4-byte Folded Reload
	v_fmac_f32_e32 v71, v0, v3
	v_and_b32_e32 v0, 0xffff, v8
	s_waitcnt vmcnt(0)
	v_and_b32_e32 v4, 0xffff, v4
	;;#ASMSTART
	v_cvt_f32_f16 v4, v4;
	;;#ASMEND
	v_fmac_f32_e32 v14, v2, v4
	v_lshrrev_b32_e32 v2, 16, v8
	;; [unrolled: 22-line block ×3, first 2 shown]
	;;#ASMSTART
	v_cvt_f32_f16 v0, v0;
	;;#ASMEND
	;;#ASMSTART
	v_cvt_f32_f16 v2, v2;
	;;#ASMEND
	buffer_load_dword v3, off, s[0:3], s32 offset:300 ; 4-byte Folded Reload
	s_waitcnt vmcnt(0)
	v_and_b32_e32 v3, 0xffff, v3
	;;#ASMSTART
	v_cvt_f32_f16 v3, v3;
	;;#ASMEND
	buffer_load_dword v4, off, s[0:3], s32 offset:296 ; 4-byte Folded Reload
	v_fmac_f32_e32 v32, v0, v3
	s_waitcnt vmcnt(0)
	v_and_b32_e32 v4, 0xffff, v4
	;;#ASMSTART
	v_cvt_f32_f16 v4, v4;
	;;#ASMEND
	ds_read_b128 v[6:9], v5 offset:224
	v_fmac_f32_e32 v1, v2, v4
	s_waitcnt lgkmcnt(0)
	v_lshrrev_b32_e32 v2, 16, v6
	v_and_b32_e32 v0, 0xffff, v6
	;;#ASMSTART
	v_cvt_f32_f16 v0, v0;
	;;#ASMEND
	;;#ASMSTART
	v_cvt_f32_f16 v2, v2;
	;;#ASMEND
	buffer_load_dword v3, off, s[0:3], s32 offset:292 ; 4-byte Folded Reload
	s_waitcnt vmcnt(0)
	v_and_b32_e32 v3, 0xffff, v3
	;;#ASMSTART
	v_cvt_f32_f16 v3, v3;
	;;#ASMEND
	buffer_load_dword v4, off, s[0:3], s32 offset:288 ; 4-byte Folded Reload
	v_fmac_f32_e32 v50, v0, v3
	v_and_b32_e32 v0, 0xffff, v7
	s_waitcnt vmcnt(0)
	v_and_b32_e32 v4, 0xffff, v4
	;;#ASMSTART
	v_cvt_f32_f16 v4, v4;
	;;#ASMEND
	v_fmac_f32_e32 v55, v2, v4
	v_lshrrev_b32_e32 v2, 16, v7
	;;#ASMSTART
	v_cvt_f32_f16 v0, v0;
	;;#ASMEND
	;;#ASMSTART
	v_cvt_f32_f16 v2, v2;
	;;#ASMEND
	buffer_load_dword v3, off, s[0:3], s32 offset:284 ; 4-byte Folded Reload
	s_waitcnt vmcnt(0)
	v_and_b32_e32 v3, 0xffff, v3
	;;#ASMSTART
	v_cvt_f32_f16 v3, v3;
	;;#ASMEND
	buffer_load_dword v4, off, s[0:3], s32 offset:280 ; 4-byte Folded Reload
	v_fmac_f32_e32 v71, v0, v3
	v_and_b32_e32 v0, 0xffff, v8
	s_waitcnt vmcnt(0)
	v_and_b32_e32 v4, 0xffff, v4
	;;#ASMSTART
	v_cvt_f32_f16 v4, v4;
	;;#ASMEND
	v_fmac_f32_e32 v14, v2, v4
	v_lshrrev_b32_e32 v2, 16, v8
	;; [unrolled: 22-line block ×3, first 2 shown]
	;;#ASMSTART
	v_cvt_f32_f16 v0, v0;
	;;#ASMEND
	;;#ASMSTART
	v_cvt_f32_f16 v2, v2;
	;;#ASMEND
	buffer_load_dword v3, off, s[0:3], s32 offset:268 ; 4-byte Folded Reload
	s_waitcnt vmcnt(0)
	v_and_b32_e32 v3, 0xffff, v3
	;;#ASMSTART
	v_cvt_f32_f16 v3, v3;
	;;#ASMEND
	buffer_load_dword v4, off, s[0:3], s32 offset:264 ; 4-byte Folded Reload
	v_fmac_f32_e32 v32, v0, v3
	v_and_b32_e32 v3, 0xffff, v68
	s_waitcnt vmcnt(0)
	v_and_b32_e32 v4, 0xffff, v4
	;;#ASMSTART
	v_cvt_f32_f16 v4, v4;
	;;#ASMEND
	ds_read_b128 v[6:9], v5 offset:240
	v_fmac_f32_e32 v1, v2, v4
	v_and_b32_e32 v4, 0xffff, v127
	s_waitcnt lgkmcnt(0)
	v_lshrrev_b32_e32 v2, 16, v6
	v_and_b32_e32 v0, 0xffff, v6
	;;#ASMSTART
	v_cvt_f32_f16 v0, v0;
	;;#ASMEND
	;;#ASMSTART
	v_cvt_f32_f16 v2, v2;
	;;#ASMEND
	;; [unrolled: 3-line block ×4, first 2 shown]
	v_fmac_f32_e32 v50, v0, v3
	v_fmac_f32_e32 v55, v2, v4
	v_lshrrev_b32_e32 v2, 16, v7
	v_and_b32_e32 v0, 0xffff, v7
	v_and_b32_e32 v3, 0xffff, v81
	;;#ASMSTART
	v_cvt_f32_f16 v0, v0;
	;;#ASMEND
	;;#ASMSTART
	v_cvt_f32_f16 v2, v2;
	;;#ASMEND
	;; [unrolled: 3-line block ×3, first 2 shown]
	buffer_load_dword v4, off, s[0:3], s32 offset:200 ; 4-byte Folded Reload
	v_fmac_f32_e32 v71, v0, v3
	v_and_b32_e32 v0, 0xffff, v8
	v_and_b32_e32 v3, 0xffff, v78
	s_waitcnt vmcnt(0)
	v_and_b32_e32 v4, 0xffff, v4
	;;#ASMSTART
	v_cvt_f32_f16 v4, v4;
	;;#ASMEND
	v_fmac_f32_e32 v14, v2, v4
	v_lshrrev_b32_e32 v2, 16, v8
	;;#ASMSTART
	v_cvt_f32_f16 v0, v0;
	;;#ASMEND
	;;#ASMSTART
	v_cvt_f32_f16 v2, v2;
	;;#ASMEND
	;; [unrolled: 3-line block ×3, first 2 shown]
	buffer_load_dword v4, off, s[0:3], s32 offset:196 ; 4-byte Folded Reload
	v_fmac_f32_e32 v35, v0, v3
	v_and_b32_e32 v0, 0xffff, v9
	s_waitcnt vmcnt(0)
	v_and_b32_e32 v4, 0xffff, v4
	;;#ASMSTART
	v_cvt_f32_f16 v4, v4;
	;;#ASMEND
	v_fmac_f32_e32 v34, v2, v4
	v_lshrrev_b32_e32 v2, 16, v9
	;;#ASMSTART
	v_cvt_f32_f16 v0, v0;
	;;#ASMEND
	;;#ASMSTART
	v_cvt_f32_f16 v2, v2;
	;;#ASMEND
	buffer_load_dword v3, off, s[0:3], s32 offset:192 ; 4-byte Folded Reload
	v_and_b32_e32 v4, 0xffff, v73
	s_waitcnt vmcnt(0)
	v_and_b32_e32 v3, 0xffff, v3
	;;#ASMSTART
	v_cvt_f32_f16 v3, v3;
	;;#ASMEND
	v_fmac_f32_e32 v32, v0, v3
	v_add_f32_e32 v0, v50, v55
	;;#ASMSTART
	v_cvt_f32_f16 v4, v4;
	;;#ASMEND
	v_fmac_f32_e32 v1, v2, v4
	buffer_load_dword v6, off, s[0:3], s32 offset:260 ; 4-byte Folded Reload
	v_add_f32_e32 v0, v0, v71
	v_add_f32_e32 v0, v14, v0
	;; [unrolled: 1-line block ×6, first 2 shown]
	buffer_load_dword v1, off, s[0:3], s32 offset:372 ; 4-byte Folded Reload
	s_waitcnt vmcnt(0)
	v_fmac_f32_e32 v11, v1, v0
	v_cndmask_b32_e64 v0, 0, v11, s5
	ds_write_b32 v16, v0
	v_max_f32_e32 v0, v6, v6
	v_add_nc_u32_e32 v16, 0x200, v16
	v_max_f32_e32 v0, v0, v11
	v_cndmask_b32_e64 v6, v6, v0, s5
	buffer_load_dword v0, off, s[0:3], s32 offset:360 ; 4-byte Folded Reload
	v_add_co_u32 v94, s5, v94, 16
	v_add_co_ci_u32_e64 v95, null, 0, v95, s5
	s_waitcnt vmcnt(0)
	v_cmp_ge_i32_e64 s5, v123, v0
	s_or_b32 s15, s5, s15
	s_andn2_b32 exec_lo, exec_lo, s15
	s_cbranch_execz .LBB298_1031
.LBB298_10:                             ; =>This Inner Loop Header: Depth=1
	buffer_store_dword v123, off, s[0:3], s32 offset:252 ; 4-byte Folded Spill
	buffer_store_dword v16, off, s[0:3], s32 offset:248 ; 4-byte Folded Spill
	;; [unrolled: 1-line block ×4, first 2 shown]
	flat_load_dword v0, v[94:95]
	s_clause 0x2
	buffer_load_dword v1, off, s[0:3], s32 offset:256
	buffer_load_dword v2, off, s[0:3], s32 offset:376
	;; [unrolled: 1-line block ×3, first 2 shown]
	v_mov_b32_e32 v73, 0
	s_waitcnt vmcnt(0) lgkmcnt(0)
	v_mad_i64_i32 v[16:17], null, v0, v1, v[2:3]
	flat_load_dwordx2 v[24:25], v[16:17]
	s_clause 0x1
	buffer_load_dword v0, off, s[0:3], s32 offset:364
	buffer_load_dword v1, off, s[0:3], s32 offset:368
	s_waitcnt vmcnt(2) lgkmcnt(0)
	v_cmp_ne_u16_sdwa s5, v24, v5 src0_sel:BYTE_0 src1_sel:DWORD
	s_waitcnt vmcnt(0)
	flat_load_dword v50, v[0:1]
	s_and_saveexec_b32 s17, s5
	s_cbranch_execz .LBB298_18
; %bb.11:                               ;   in Loop: Header=BB298_10 Depth=1
	v_cmp_ne_u16_sdwa s5, v24, v37 src0_sel:BYTE_0 src1_sel:DWORD
	v_mov_b32_e32 v73, 0x8000
	s_and_saveexec_b32 s18, s5
	s_cbranch_execz .LBB298_17
; %bb.12:                               ;   in Loop: Header=BB298_10 Depth=1
	v_and_b32_e32 v2, 0x7f, v24
	v_mov_b32_e32 v73, 0x7c01
	s_mov_b32 s19, exec_lo
	v_cmpx_ne_u32_e32 0x7f, v2
	s_cbranch_execz .LBB298_16
; %bb.13:                               ;   in Loop: Header=BB298_10 Depth=1
	v_and_b32_e32 v0, 7, v24
	v_lshrrev_b32_e32 v1, 3, v2
	s_mov_b32 s20, exec_lo
	v_cmpx_gt_u32_e32 8, v2
; %bb.14:                               ;   in Loop: Header=BB298_10 Depth=1
	v_ffbh_u32_e32 v0, v0
	v_min_u32_e32 v2, 32, v0
	v_subrev_nc_u32_e32 v0, 28, v2
	v_lshlrev_b64 v[0:1], v0, v[24:25]
	v_sub_nc_u32_e32 v1, 29, v2
	v_and_b32_e32 v0, 7, v0
; %bb.15:                               ;   in Loop: Header=BB298_10 Depth=1
	s_or_b32 exec_lo, exec_lo, s20
	v_lshlrev_b32_e32 v2, 8, v24
	v_lshl_add_u32 v1, v1, 10, 0x2000
	v_lshlrev_b32_e32 v0, 7, v0
	v_and_b32_e32 v2, 0x8000, v2
	v_and_b32_e32 v1, 0xfc00, v1
	v_or3_b32 v73, v2, v1, v0
.LBB298_16:                             ;   in Loop: Header=BB298_10 Depth=1
	s_or_b32 exec_lo, exec_lo, s19
.LBB298_17:                             ;   in Loop: Header=BB298_10 Depth=1
	s_or_b32 exec_lo, exec_lo, s18
.LBB298_18:                             ;   in Loop: Header=BB298_10 Depth=1
	s_or_b32 exec_lo, exec_lo, s17
	v_mov_b32_e32 v0, 0
	v_lshrrev_b16 v4, 8, v24
	s_mov_b32 s17, exec_lo
	buffer_store_dword v0, off, s[0:3], s32 offset:196 ; 4-byte Folded Spill
	v_mov_b32_e32 v0, 0
	buffer_store_dword v0, off, s[0:3], s32 offset:192 ; 4-byte Folded Spill
	v_cmpx_ne_u16_e32 0, v4
	s_cbranch_execz .LBB298_26
; %bb.19:                               ;   in Loop: Header=BB298_10 Depth=1
	v_bfrev_b32_e32 v0, 1
	s_mov_b32 s18, exec_lo
	buffer_store_dword v0, off, s[0:3], s32 offset:192 ; 4-byte Folded Spill
	v_cmpx_ne_u16_e32 0x80, v4
	s_cbranch_execz .LBB298_25
; %bb.20:                               ;   in Loop: Header=BB298_10 Depth=1
	v_mov_b32_e32 v0, 0x7f
	s_mov_b32 s19, exec_lo
	v_and_b32_sdwa v2, v4, v0 dst_sel:DWORD dst_unused:UNUSED_PAD src0_sel:WORD_0 src1_sel:DWORD
	v_mov_b32_e32 v0, 0x7c010000
	buffer_store_dword v0, off, s[0:3], s32 offset:192 ; 4-byte Folded Spill
	v_cmpx_ne_u32_e32 0x7f, v2
	s_cbranch_execz .LBB298_24
; %bb.21:                               ;   in Loop: Header=BB298_10 Depth=1
	v_mov_b32_e32 v0, 7
	v_lshrrev_b32_e32 v1, 3, v2
	s_mov_b32 s20, exec_lo
	v_and_b32_sdwa v0, v4, v0 dst_sel:DWORD dst_unused:UNUSED_PAD src0_sel:WORD_0 src1_sel:DWORD
	v_cmpx_gt_u32_e32 8, v2
; %bb.22:                               ;   in Loop: Header=BB298_10 Depth=1
	v_ffbh_u32_e32 v0, v0
	v_min_u32_e32 v2, 32, v0
	v_subrev_nc_u32_e32 v0, 28, v2
	v_lshlrev_b64 v[0:1], v0, v[4:5]
	v_sub_nc_u32_e32 v1, 29, v2
	v_and_b32_e32 v0, 7, v0
; %bb.23:                               ;   in Loop: Header=BB298_10 Depth=1
	s_or_b32 exec_lo, exec_lo, s20
	v_mov_b32_e32 v2, 8
	v_lshl_add_u32 v1, v1, 10, 0x2000
	v_lshlrev_b32_e32 v0, 23, v0
	v_lshlrev_b32_sdwa v2, v2, v4 dst_sel:DWORD dst_unused:UNUSED_PAD src0_sel:DWORD src1_sel:WORD_0
	v_and_or_b32 v1, 0x8000, v2, v1
	v_lshl_or_b32 v0, v1, 16, v0
	buffer_store_dword v0, off, s[0:3], s32 offset:192 ; 4-byte Folded Spill
.LBB298_24:                             ;   in Loop: Header=BB298_10 Depth=1
	s_or_b32 exec_lo, exec_lo, s19
.LBB298_25:                             ;   in Loop: Header=BB298_10 Depth=1
	s_or_b32 exec_lo, exec_lo, s18
.LBB298_26:                             ;   in Loop: Header=BB298_10 Depth=1
	s_or_b32 exec_lo, exec_lo, s17
	v_lshrrev_b32_e32 v4, 16, v24
	v_cmp_ne_u16_sdwa s5, v4, v5 src0_sel:BYTE_0 src1_sel:DWORD
	s_and_saveexec_b32 s17, s5
	s_cbranch_execz .LBB298_34
; %bb.27:                               ;   in Loop: Header=BB298_10 Depth=1
	v_cmp_ne_u16_sdwa s5, v4, v37 src0_sel:BYTE_0 src1_sel:DWORD
	v_mov_b32_e32 v0, 0x8000
	buffer_store_dword v0, off, s[0:3], s32 offset:196 ; 4-byte Folded Spill
	s_and_saveexec_b32 s18, s5
	s_cbranch_execz .LBB298_33
; %bb.28:                               ;   in Loop: Header=BB298_10 Depth=1
	v_bfe_u32 v2, v24, 16, 7
	v_mov_b32_e32 v0, 0x7c01
	s_mov_b32 s19, exec_lo
	buffer_store_dword v0, off, s[0:3], s32 offset:196 ; 4-byte Folded Spill
	v_cmpx_ne_u32_e32 0x7f, v2
	s_cbranch_execz .LBB298_32
; %bb.29:                               ;   in Loop: Header=BB298_10 Depth=1
	v_and_b32_e32 v0, 7, v4
	v_lshrrev_b32_e32 v1, 3, v2
	s_mov_b32 s20, exec_lo
	v_cmpx_gt_u32_e32 8, v2
; %bb.30:                               ;   in Loop: Header=BB298_10 Depth=1
	v_ffbh_u32_e32 v0, v0
	v_min_u32_e32 v2, 32, v0
	v_subrev_nc_u32_e32 v0, 28, v2
	v_lshlrev_b64 v[0:1], v0, v[4:5]
	v_sub_nc_u32_e32 v1, 29, v2
	v_and_b32_e32 v0, 7, v0
; %bb.31:                               ;   in Loop: Header=BB298_10 Depth=1
	s_or_b32 exec_lo, exec_lo, s20
	v_lshlrev_b32_e32 v2, 8, v4
	v_lshl_add_u32 v1, v1, 10, 0x2000
	v_lshlrev_b32_e32 v0, 7, v0
	v_and_b32_e32 v2, 0x8000, v2
	v_and_b32_e32 v1, 0xfc00, v1
	v_or3_b32 v0, v2, v1, v0
	buffer_store_dword v0, off, s[0:3], s32 offset:196 ; 4-byte Folded Spill
.LBB298_32:                             ;   in Loop: Header=BB298_10 Depth=1
	s_or_b32 exec_lo, exec_lo, s19
.LBB298_33:                             ;   in Loop: Header=BB298_10 Depth=1
	s_or_b32 exec_lo, exec_lo, s18
.LBB298_34:                             ;   in Loop: Header=BB298_10 Depth=1
	s_or_b32 exec_lo, exec_lo, s17
	v_mov_b32_e32 v0, 0
	s_mov_b32 s17, exec_lo
	buffer_store_dword v0, off, s[0:3], s32 offset:200 ; 4-byte Folded Spill
	v_mov_b32_e32 v0, 0
	buffer_store_dword v0, off, s[0:3], s32 offset:204 ; 4-byte Folded Spill
	v_cmpx_lt_u32_e32 0xffffff, v24
	s_cbranch_execz .LBB298_42
; %bb.35:                               ;   in Loop: Header=BB298_10 Depth=1
	v_lshrrev_b32_e32 v4, 24, v24
	v_bfrev_b32_e32 v0, 1
	s_mov_b32 s18, exec_lo
	buffer_store_dword v0, off, s[0:3], s32 offset:204 ; 4-byte Folded Spill
	v_cmpx_ne_u32_e32 0x80, v4
	s_cbranch_execz .LBB298_41
; %bb.36:                               ;   in Loop: Header=BB298_10 Depth=1
	v_and_b32_e32 v2, 0x7f, v4
	v_mov_b32_e32 v0, 0x7c010000
	s_mov_b32 s19, exec_lo
	buffer_store_dword v0, off, s[0:3], s32 offset:204 ; 4-byte Folded Spill
	v_cmpx_ne_u32_e32 0x7f, v2
	s_cbranch_execz .LBB298_40
; %bb.37:                               ;   in Loop: Header=BB298_10 Depth=1
	v_and_b32_e32 v0, 7, v4
	v_lshrrev_b32_e32 v1, 3, v2
	s_mov_b32 s20, exec_lo
	v_cmpx_gt_u32_e32 8, v2
; %bb.38:                               ;   in Loop: Header=BB298_10 Depth=1
	v_ffbh_u32_e32 v0, v0
	v_min_u32_e32 v2, 32, v0
	v_subrev_nc_u32_e32 v0, 28, v2
	v_lshlrev_b64 v[0:1], v0, v[4:5]
	v_sub_nc_u32_e32 v1, 29, v2
	v_and_b32_e32 v0, 7, v0
; %bb.39:                               ;   in Loop: Header=BB298_10 Depth=1
	s_or_b32 exec_lo, exec_lo, s20
	v_lshlrev_b32_e32 v2, 8, v4
	v_lshl_add_u32 v1, v1, 10, 0x2000
	v_lshlrev_b32_e32 v0, 23, v0
	v_and_or_b32 v1, 0x8000, v2, v1
	v_lshl_or_b32 v0, v1, 16, v0
	buffer_store_dword v0, off, s[0:3], s32 offset:204 ; 4-byte Folded Spill
.LBB298_40:                             ;   in Loop: Header=BB298_10 Depth=1
	s_or_b32 exec_lo, exec_lo, s19
.LBB298_41:                             ;   in Loop: Header=BB298_10 Depth=1
	s_or_b32 exec_lo, exec_lo, s18
.LBB298_42:                             ;   in Loop: Header=BB298_10 Depth=1
	s_or_b32 exec_lo, exec_lo, s17
	v_mov_b32_e32 v4, v25
	v_cmp_ne_u16_sdwa s5, v25, v5 src0_sel:BYTE_0 src1_sel:DWORD
	s_and_saveexec_b32 s17, s5
	s_cbranch_execz .LBB298_50
; %bb.43:                               ;   in Loop: Header=BB298_10 Depth=1
	v_cmp_ne_u16_sdwa s5, v25, v37 src0_sel:BYTE_0 src1_sel:DWORD
	v_mov_b32_e32 v0, 0x8000
	buffer_store_dword v0, off, s[0:3], s32 offset:200 ; 4-byte Folded Spill
	s_and_saveexec_b32 s18, s5
	s_cbranch_execz .LBB298_49
; %bb.44:                               ;   in Loop: Header=BB298_10 Depth=1
	v_and_b32_e32 v2, 0x7f, v25
	v_mov_b32_e32 v0, 0x7c01
	s_mov_b32 s19, exec_lo
	buffer_store_dword v0, off, s[0:3], s32 offset:200 ; 4-byte Folded Spill
	v_cmpx_ne_u32_e32 0x7f, v2
	s_cbranch_execz .LBB298_48
; %bb.45:                               ;   in Loop: Header=BB298_10 Depth=1
	v_and_b32_e32 v0, 7, v25
	v_lshrrev_b32_e32 v1, 3, v2
	s_mov_b32 s20, exec_lo
	v_cmpx_gt_u32_e32 8, v2
; %bb.46:                               ;   in Loop: Header=BB298_10 Depth=1
	v_ffbh_u32_e32 v0, v0
	v_min_u32_e32 v2, 32, v0
	v_subrev_nc_u32_e32 v0, 28, v2
	v_lshlrev_b64 v[0:1], v0, v[4:5]
	v_sub_nc_u32_e32 v1, 29, v2
	v_and_b32_e32 v0, 7, v0
; %bb.47:                               ;   in Loop: Header=BB298_10 Depth=1
	s_or_b32 exec_lo, exec_lo, s20
	v_lshlrev_b32_e32 v2, 8, v25
	v_lshl_add_u32 v1, v1, 10, 0x2000
	v_lshlrev_b32_e32 v0, 7, v0
	v_and_b32_e32 v2, 0x8000, v2
	v_and_b32_e32 v1, 0xfc00, v1
	v_or3_b32 v0, v2, v1, v0
	buffer_store_dword v0, off, s[0:3], s32 offset:200 ; 4-byte Folded Spill
.LBB298_48:                             ;   in Loop: Header=BB298_10 Depth=1
	s_or_b32 exec_lo, exec_lo, s19
.LBB298_49:                             ;   in Loop: Header=BB298_10 Depth=1
	s_or_b32 exec_lo, exec_lo, s18
.LBB298_50:                             ;   in Loop: Header=BB298_10 Depth=1
	s_or_b32 exec_lo, exec_lo, s17
	v_lshrrev_b16 v4, 8, v4
	v_mov_b32_e32 v0, 0
	v_mov_b32_e32 v88, 0
	s_mov_b32 s17, exec_lo
	buffer_store_dword v0, off, s[0:3], s32 offset:208 ; 4-byte Folded Spill
	v_cmpx_ne_u16_e32 0, v4
	s_cbranch_execz .LBB298_58
; %bb.51:                               ;   in Loop: Header=BB298_10 Depth=1
	v_bfrev_b32_e32 v88, 1
	s_mov_b32 s18, exec_lo
	v_cmpx_ne_u16_e32 0x80, v4
	s_cbranch_execz .LBB298_57
; %bb.52:                               ;   in Loop: Header=BB298_10 Depth=1
	v_mov_b32_e32 v0, 0x7f
	v_mov_b32_e32 v88, 0x7c010000
	s_mov_b32 s19, exec_lo
	v_and_b32_sdwa v2, v4, v0 dst_sel:DWORD dst_unused:UNUSED_PAD src0_sel:WORD_0 src1_sel:DWORD
	v_cmpx_ne_u32_e32 0x7f, v2
	s_cbranch_execz .LBB298_56
; %bb.53:                               ;   in Loop: Header=BB298_10 Depth=1
	v_mov_b32_e32 v0, 7
	v_lshrrev_b32_e32 v1, 3, v2
	s_mov_b32 s20, exec_lo
	v_and_b32_sdwa v0, v4, v0 dst_sel:DWORD dst_unused:UNUSED_PAD src0_sel:WORD_0 src1_sel:DWORD
	v_cmpx_gt_u32_e32 8, v2
; %bb.54:                               ;   in Loop: Header=BB298_10 Depth=1
	v_ffbh_u32_e32 v0, v0
	v_min_u32_e32 v2, 32, v0
	v_subrev_nc_u32_e32 v0, 28, v2
	v_lshlrev_b64 v[0:1], v0, v[4:5]
	v_sub_nc_u32_e32 v1, 29, v2
	v_and_b32_e32 v0, 7, v0
; %bb.55:                               ;   in Loop: Header=BB298_10 Depth=1
	s_or_b32 exec_lo, exec_lo, s20
	v_mov_b32_e32 v2, 8
	v_lshl_add_u32 v1, v1, 10, 0x2000
	v_lshlrev_b32_e32 v0, 23, v0
	v_lshlrev_b32_sdwa v2, v2, v4 dst_sel:DWORD dst_unused:UNUSED_PAD src0_sel:DWORD src1_sel:WORD_0
	v_and_or_b32 v1, 0x8000, v2, v1
	v_lshl_or_b32 v88, v1, 16, v0
.LBB298_56:                             ;   in Loop: Header=BB298_10 Depth=1
	s_or_b32 exec_lo, exec_lo, s19
.LBB298_57:                             ;   in Loop: Header=BB298_10 Depth=1
	s_or_b32 exec_lo, exec_lo, s18
.LBB298_58:                             ;   in Loop: Header=BB298_10 Depth=1
	s_or_b32 exec_lo, exec_lo, s17
	v_lshrrev_b32_e32 v4, 16, v25
	v_cmp_ne_u16_sdwa s5, v4, v5 src0_sel:BYTE_0 src1_sel:DWORD
	s_and_saveexec_b32 s17, s5
	s_cbranch_execz .LBB298_66
; %bb.59:                               ;   in Loop: Header=BB298_10 Depth=1
	v_cmp_ne_u16_sdwa s5, v4, v37 src0_sel:BYTE_0 src1_sel:DWORD
	v_mov_b32_e32 v0, 0x8000
	buffer_store_dword v0, off, s[0:3], s32 offset:208 ; 4-byte Folded Spill
	s_and_saveexec_b32 s18, s5
	s_cbranch_execz .LBB298_65
; %bb.60:                               ;   in Loop: Header=BB298_10 Depth=1
	v_bfe_u32 v2, v25, 16, 7
	v_mov_b32_e32 v0, 0x7c01
	s_mov_b32 s19, exec_lo
	buffer_store_dword v0, off, s[0:3], s32 offset:208 ; 4-byte Folded Spill
	v_cmpx_ne_u32_e32 0x7f, v2
	s_cbranch_execz .LBB298_64
; %bb.61:                               ;   in Loop: Header=BB298_10 Depth=1
	v_and_b32_e32 v0, 7, v4
	v_lshrrev_b32_e32 v1, 3, v2
	s_mov_b32 s20, exec_lo
	v_cmpx_gt_u32_e32 8, v2
; %bb.62:                               ;   in Loop: Header=BB298_10 Depth=1
	v_ffbh_u32_e32 v0, v0
	v_min_u32_e32 v2, 32, v0
	v_subrev_nc_u32_e32 v0, 28, v2
	v_lshlrev_b64 v[0:1], v0, v[4:5]
	v_sub_nc_u32_e32 v1, 29, v2
	v_and_b32_e32 v0, 7, v0
; %bb.63:                               ;   in Loop: Header=BB298_10 Depth=1
	s_or_b32 exec_lo, exec_lo, s20
	v_lshlrev_b32_e32 v2, 8, v4
	v_lshl_add_u32 v1, v1, 10, 0x2000
	v_lshlrev_b32_e32 v0, 7, v0
	v_and_b32_e32 v2, 0x8000, v2
	v_and_b32_e32 v1, 0xfc00, v1
	v_or3_b32 v0, v2, v1, v0
	buffer_store_dword v0, off, s[0:3], s32 offset:208 ; 4-byte Folded Spill
.LBB298_64:                             ;   in Loop: Header=BB298_10 Depth=1
	s_or_b32 exec_lo, exec_lo, s19
.LBB298_65:                             ;   in Loop: Header=BB298_10 Depth=1
	s_or_b32 exec_lo, exec_lo, s18
.LBB298_66:                             ;   in Loop: Header=BB298_10 Depth=1
	s_or_b32 exec_lo, exec_lo, s17
	v_mov_b32_e32 v0, 0
	v_mov_b32_e32 v65, 0
	s_mov_b32 s17, exec_lo
	buffer_store_dword v0, off, s[0:3], s32 offset:212 ; 4-byte Folded Spill
	v_cmpx_lt_u64_e64 s[6:7], v[24:25]
	s_cbranch_execz .LBB298_74
; %bb.67:                               ;   in Loop: Header=BB298_10 Depth=1
	v_lshrrev_b32_e32 v4, 24, v25
	v_bfrev_b32_e32 v65, 1
	s_mov_b32 s18, exec_lo
	v_cmpx_ne_u32_e32 0x80, v4
	s_cbranch_execz .LBB298_73
; %bb.68:                               ;   in Loop: Header=BB298_10 Depth=1
	v_and_b32_e32 v2, 0x7f, v4
	v_mov_b32_e32 v65, 0x7c010000
	s_mov_b32 s19, exec_lo
	v_cmpx_ne_u32_e32 0x7f, v2
	s_cbranch_execz .LBB298_72
; %bb.69:                               ;   in Loop: Header=BB298_10 Depth=1
	v_and_b32_e32 v0, 7, v4
	v_lshrrev_b32_e32 v1, 3, v2
	s_mov_b32 s20, exec_lo
	v_cmpx_gt_u32_e32 8, v2
; %bb.70:                               ;   in Loop: Header=BB298_10 Depth=1
	v_ffbh_u32_e32 v0, v0
	v_min_u32_e32 v2, 32, v0
	v_subrev_nc_u32_e32 v0, 28, v2
	v_lshlrev_b64 v[0:1], v0, v[4:5]
	v_sub_nc_u32_e32 v1, 29, v2
	v_and_b32_e32 v0, 7, v0
; %bb.71:                               ;   in Loop: Header=BB298_10 Depth=1
	s_or_b32 exec_lo, exec_lo, s20
	v_lshlrev_b32_e32 v2, 8, v4
	v_lshl_add_u32 v1, v1, 10, 0x2000
	v_lshlrev_b32_e32 v0, 23, v0
	v_and_or_b32 v1, 0x8000, v2, v1
	v_lshl_or_b32 v65, v1, 16, v0
.LBB298_72:                             ;   in Loop: Header=BB298_10 Depth=1
	s_or_b32 exec_lo, exec_lo, s19
.LBB298_73:                             ;   in Loop: Header=BB298_10 Depth=1
	s_or_b32 exec_lo, exec_lo, s18
.LBB298_74:                             ;   in Loop: Header=BB298_10 Depth=1
	s_or_b32 exec_lo, exec_lo, s17
	flat_load_dwordx2 v[24:25], v[16:17] offset:8
	s_waitcnt vmcnt(0) lgkmcnt(0)
	v_cmp_ne_u16_sdwa s5, v24, v5 src0_sel:BYTE_0 src1_sel:DWORD
	s_and_saveexec_b32 s17, s5
	s_cbranch_execz .LBB298_82
; %bb.75:                               ;   in Loop: Header=BB298_10 Depth=1
	v_cmp_ne_u16_sdwa s5, v24, v37 src0_sel:BYTE_0 src1_sel:DWORD
	v_mov_b32_e32 v0, 0x8000
	buffer_store_dword v0, off, s[0:3], s32 offset:212 ; 4-byte Folded Spill
	s_and_saveexec_b32 s18, s5
	s_cbranch_execz .LBB298_81
; %bb.76:                               ;   in Loop: Header=BB298_10 Depth=1
	v_and_b32_e32 v2, 0x7f, v24
	v_mov_b32_e32 v0, 0x7c01
	s_mov_b32 s19, exec_lo
	buffer_store_dword v0, off, s[0:3], s32 offset:212 ; 4-byte Folded Spill
	v_cmpx_ne_u32_e32 0x7f, v2
	s_cbranch_execz .LBB298_80
; %bb.77:                               ;   in Loop: Header=BB298_10 Depth=1
	v_and_b32_e32 v0, 7, v24
	v_lshrrev_b32_e32 v1, 3, v2
	s_mov_b32 s20, exec_lo
	v_cmpx_gt_u32_e32 8, v2
; %bb.78:                               ;   in Loop: Header=BB298_10 Depth=1
	v_ffbh_u32_e32 v0, v0
	v_min_u32_e32 v2, 32, v0
	v_subrev_nc_u32_e32 v0, 28, v2
	v_lshlrev_b64 v[0:1], v0, v[24:25]
	v_sub_nc_u32_e32 v1, 29, v2
	v_and_b32_e32 v0, 7, v0
; %bb.79:                               ;   in Loop: Header=BB298_10 Depth=1
	s_or_b32 exec_lo, exec_lo, s20
	v_lshlrev_b32_e32 v2, 8, v24
	v_lshl_add_u32 v1, v1, 10, 0x2000
	v_lshlrev_b32_e32 v0, 7, v0
	v_and_b32_e32 v2, 0x8000, v2
	v_and_b32_e32 v1, 0xfc00, v1
	v_or3_b32 v0, v2, v1, v0
	buffer_store_dword v0, off, s[0:3], s32 offset:212 ; 4-byte Folded Spill
.LBB298_80:                             ;   in Loop: Header=BB298_10 Depth=1
	s_or_b32 exec_lo, exec_lo, s19
.LBB298_81:                             ;   in Loop: Header=BB298_10 Depth=1
	s_or_b32 exec_lo, exec_lo, s18
.LBB298_82:                             ;   in Loop: Header=BB298_10 Depth=1
	s_or_b32 exec_lo, exec_lo, s17
	v_lshrrev_b16 v4, 8, v24
	v_mov_b32_e32 v0, 0
	v_mov_b32_e32 v120, 0
	s_mov_b32 s17, exec_lo
	buffer_store_dword v0, off, s[0:3], s32 offset:216 ; 4-byte Folded Spill
	v_cmpx_ne_u16_e32 0, v4
	s_cbranch_execz .LBB298_90
; %bb.83:                               ;   in Loop: Header=BB298_10 Depth=1
	v_bfrev_b32_e32 v120, 1
	s_mov_b32 s18, exec_lo
	v_cmpx_ne_u16_e32 0x80, v4
	s_cbranch_execz .LBB298_89
; %bb.84:                               ;   in Loop: Header=BB298_10 Depth=1
	v_mov_b32_e32 v0, 0x7f
	v_mov_b32_e32 v120, 0x7c010000
	s_mov_b32 s19, exec_lo
	v_and_b32_sdwa v2, v4, v0 dst_sel:DWORD dst_unused:UNUSED_PAD src0_sel:WORD_0 src1_sel:DWORD
	v_cmpx_ne_u32_e32 0x7f, v2
	s_cbranch_execz .LBB298_88
; %bb.85:                               ;   in Loop: Header=BB298_10 Depth=1
	v_mov_b32_e32 v0, 7
	v_lshrrev_b32_e32 v1, 3, v2
	s_mov_b32 s20, exec_lo
	v_and_b32_sdwa v0, v4, v0 dst_sel:DWORD dst_unused:UNUSED_PAD src0_sel:WORD_0 src1_sel:DWORD
	v_cmpx_gt_u32_e32 8, v2
; %bb.86:                               ;   in Loop: Header=BB298_10 Depth=1
	v_ffbh_u32_e32 v0, v0
	v_min_u32_e32 v2, 32, v0
	v_subrev_nc_u32_e32 v0, 28, v2
	v_lshlrev_b64 v[0:1], v0, v[4:5]
	v_sub_nc_u32_e32 v1, 29, v2
	v_and_b32_e32 v0, 7, v0
; %bb.87:                               ;   in Loop: Header=BB298_10 Depth=1
	s_or_b32 exec_lo, exec_lo, s20
	v_mov_b32_e32 v2, 8
	v_lshl_add_u32 v1, v1, 10, 0x2000
	v_lshlrev_b32_e32 v0, 23, v0
	v_lshlrev_b32_sdwa v2, v2, v4 dst_sel:DWORD dst_unused:UNUSED_PAD src0_sel:DWORD src1_sel:WORD_0
	v_and_or_b32 v1, 0x8000, v2, v1
	v_lshl_or_b32 v120, v1, 16, v0
.LBB298_88:                             ;   in Loop: Header=BB298_10 Depth=1
	s_or_b32 exec_lo, exec_lo, s19
.LBB298_89:                             ;   in Loop: Header=BB298_10 Depth=1
	s_or_b32 exec_lo, exec_lo, s18
.LBB298_90:                             ;   in Loop: Header=BB298_10 Depth=1
	s_or_b32 exec_lo, exec_lo, s17
	v_lshrrev_b32_e32 v4, 16, v24
	v_cmp_ne_u16_sdwa s5, v4, v5 src0_sel:BYTE_0 src1_sel:DWORD
	s_and_saveexec_b32 s17, s5
	s_cbranch_execz .LBB298_98
; %bb.91:                               ;   in Loop: Header=BB298_10 Depth=1
	v_cmp_ne_u16_sdwa s5, v4, v37 src0_sel:BYTE_0 src1_sel:DWORD
	v_mov_b32_e32 v0, 0x8000
	buffer_store_dword v0, off, s[0:3], s32 offset:216 ; 4-byte Folded Spill
	s_and_saveexec_b32 s18, s5
	s_cbranch_execz .LBB298_97
; %bb.92:                               ;   in Loop: Header=BB298_10 Depth=1
	v_bfe_u32 v2, v24, 16, 7
	v_mov_b32_e32 v0, 0x7c01
	s_mov_b32 s19, exec_lo
	buffer_store_dword v0, off, s[0:3], s32 offset:216 ; 4-byte Folded Spill
	v_cmpx_ne_u32_e32 0x7f, v2
	s_cbranch_execz .LBB298_96
; %bb.93:                               ;   in Loop: Header=BB298_10 Depth=1
	v_and_b32_e32 v0, 7, v4
	v_lshrrev_b32_e32 v1, 3, v2
	s_mov_b32 s20, exec_lo
	v_cmpx_gt_u32_e32 8, v2
; %bb.94:                               ;   in Loop: Header=BB298_10 Depth=1
	v_ffbh_u32_e32 v0, v0
	v_min_u32_e32 v2, 32, v0
	v_subrev_nc_u32_e32 v0, 28, v2
	v_lshlrev_b64 v[0:1], v0, v[4:5]
	v_sub_nc_u32_e32 v1, 29, v2
	v_and_b32_e32 v0, 7, v0
; %bb.95:                               ;   in Loop: Header=BB298_10 Depth=1
	s_or_b32 exec_lo, exec_lo, s20
	v_lshlrev_b32_e32 v2, 8, v4
	v_lshl_add_u32 v1, v1, 10, 0x2000
	v_lshlrev_b32_e32 v0, 7, v0
	v_and_b32_e32 v2, 0x8000, v2
	v_and_b32_e32 v1, 0xfc00, v1
	v_or3_b32 v0, v2, v1, v0
	buffer_store_dword v0, off, s[0:3], s32 offset:216 ; 4-byte Folded Spill
.LBB298_96:                             ;   in Loop: Header=BB298_10 Depth=1
	s_or_b32 exec_lo, exec_lo, s19
.LBB298_97:                             ;   in Loop: Header=BB298_10 Depth=1
	s_or_b32 exec_lo, exec_lo, s18
.LBB298_98:                             ;   in Loop: Header=BB298_10 Depth=1
	s_or_b32 exec_lo, exec_lo, s17
	v_mov_b32_e32 v0, 0
	v_mov_b32_e32 v71, 0
	s_mov_b32 s17, exec_lo
	buffer_store_dword v0, off, s[0:3], s32 offset:220 ; 4-byte Folded Spill
	v_cmpx_lt_u32_e32 0xffffff, v24
	s_cbranch_execz .LBB298_106
; %bb.99:                               ;   in Loop: Header=BB298_10 Depth=1
	v_lshrrev_b32_e32 v4, 24, v24
	v_bfrev_b32_e32 v71, 1
	s_mov_b32 s18, exec_lo
	v_cmpx_ne_u32_e32 0x80, v4
	s_cbranch_execz .LBB298_105
; %bb.100:                              ;   in Loop: Header=BB298_10 Depth=1
	v_and_b32_e32 v2, 0x7f, v4
	v_mov_b32_e32 v71, 0x7c010000
	s_mov_b32 s19, exec_lo
	v_cmpx_ne_u32_e32 0x7f, v2
	s_cbranch_execz .LBB298_104
; %bb.101:                              ;   in Loop: Header=BB298_10 Depth=1
	v_and_b32_e32 v0, 7, v4
	v_lshrrev_b32_e32 v1, 3, v2
	s_mov_b32 s20, exec_lo
	v_cmpx_gt_u32_e32 8, v2
; %bb.102:                              ;   in Loop: Header=BB298_10 Depth=1
	v_ffbh_u32_e32 v0, v0
	v_min_u32_e32 v2, 32, v0
	v_subrev_nc_u32_e32 v0, 28, v2
	v_lshlrev_b64 v[0:1], v0, v[4:5]
	v_sub_nc_u32_e32 v1, 29, v2
	v_and_b32_e32 v0, 7, v0
; %bb.103:                              ;   in Loop: Header=BB298_10 Depth=1
	s_or_b32 exec_lo, exec_lo, s20
	v_lshlrev_b32_e32 v2, 8, v4
	v_lshl_add_u32 v1, v1, 10, 0x2000
	v_lshlrev_b32_e32 v0, 23, v0
	v_and_or_b32 v1, 0x8000, v2, v1
	v_lshl_or_b32 v71, v1, 16, v0
.LBB298_104:                            ;   in Loop: Header=BB298_10 Depth=1
	s_or_b32 exec_lo, exec_lo, s19
.LBB298_105:                            ;   in Loop: Header=BB298_10 Depth=1
	s_or_b32 exec_lo, exec_lo, s18
.LBB298_106:                            ;   in Loop: Header=BB298_10 Depth=1
	s_or_b32 exec_lo, exec_lo, s17
	v_mov_b32_e32 v4, v25
	v_cmp_ne_u16_sdwa s5, v25, v5 src0_sel:BYTE_0 src1_sel:DWORD
	s_and_saveexec_b32 s17, s5
	s_cbranch_execz .LBB298_114
; %bb.107:                              ;   in Loop: Header=BB298_10 Depth=1
	v_cmp_ne_u16_sdwa s5, v25, v37 src0_sel:BYTE_0 src1_sel:DWORD
	v_mov_b32_e32 v0, 0x8000
	buffer_store_dword v0, off, s[0:3], s32 offset:220 ; 4-byte Folded Spill
	s_and_saveexec_b32 s18, s5
	s_cbranch_execz .LBB298_113
; %bb.108:                              ;   in Loop: Header=BB298_10 Depth=1
	v_and_b32_e32 v2, 0x7f, v25
	v_mov_b32_e32 v0, 0x7c01
	s_mov_b32 s19, exec_lo
	buffer_store_dword v0, off, s[0:3], s32 offset:220 ; 4-byte Folded Spill
	v_cmpx_ne_u32_e32 0x7f, v2
	s_cbranch_execz .LBB298_112
; %bb.109:                              ;   in Loop: Header=BB298_10 Depth=1
	v_and_b32_e32 v0, 7, v25
	v_lshrrev_b32_e32 v1, 3, v2
	s_mov_b32 s20, exec_lo
	v_cmpx_gt_u32_e32 8, v2
; %bb.110:                              ;   in Loop: Header=BB298_10 Depth=1
	v_ffbh_u32_e32 v0, v0
	v_min_u32_e32 v2, 32, v0
	v_subrev_nc_u32_e32 v0, 28, v2
	v_lshlrev_b64 v[0:1], v0, v[4:5]
	v_sub_nc_u32_e32 v1, 29, v2
	v_and_b32_e32 v0, 7, v0
; %bb.111:                              ;   in Loop: Header=BB298_10 Depth=1
	s_or_b32 exec_lo, exec_lo, s20
	v_lshlrev_b32_e32 v2, 8, v25
	v_lshl_add_u32 v1, v1, 10, 0x2000
	v_lshlrev_b32_e32 v0, 7, v0
	v_and_b32_e32 v2, 0x8000, v2
	v_and_b32_e32 v1, 0xfc00, v1
	v_or3_b32 v0, v2, v1, v0
	buffer_store_dword v0, off, s[0:3], s32 offset:220 ; 4-byte Folded Spill
.LBB298_112:                            ;   in Loop: Header=BB298_10 Depth=1
	s_or_b32 exec_lo, exec_lo, s19
.LBB298_113:                            ;   in Loop: Header=BB298_10 Depth=1
	s_or_b32 exec_lo, exec_lo, s18
.LBB298_114:                            ;   in Loop: Header=BB298_10 Depth=1
	s_or_b32 exec_lo, exec_lo, s17
	v_lshrrev_b16 v4, 8, v4
	v_mov_b32_e32 v0, 0
	v_mov_b32_e32 v121, 0
	s_mov_b32 s17, exec_lo
	buffer_store_dword v0, off, s[0:3], s32 offset:224 ; 4-byte Folded Spill
	v_cmpx_ne_u16_e32 0, v4
	s_cbranch_execz .LBB298_122
; %bb.115:                              ;   in Loop: Header=BB298_10 Depth=1
	v_bfrev_b32_e32 v121, 1
	s_mov_b32 s18, exec_lo
	v_cmpx_ne_u16_e32 0x80, v4
	s_cbranch_execz .LBB298_121
; %bb.116:                              ;   in Loop: Header=BB298_10 Depth=1
	v_mov_b32_e32 v0, 0x7f
	v_mov_b32_e32 v121, 0x7c010000
	s_mov_b32 s19, exec_lo
	v_and_b32_sdwa v2, v4, v0 dst_sel:DWORD dst_unused:UNUSED_PAD src0_sel:WORD_0 src1_sel:DWORD
	v_cmpx_ne_u32_e32 0x7f, v2
	s_cbranch_execz .LBB298_120
; %bb.117:                              ;   in Loop: Header=BB298_10 Depth=1
	v_mov_b32_e32 v0, 7
	v_lshrrev_b32_e32 v1, 3, v2
	s_mov_b32 s20, exec_lo
	v_and_b32_sdwa v0, v4, v0 dst_sel:DWORD dst_unused:UNUSED_PAD src0_sel:WORD_0 src1_sel:DWORD
	v_cmpx_gt_u32_e32 8, v2
; %bb.118:                              ;   in Loop: Header=BB298_10 Depth=1
	v_ffbh_u32_e32 v0, v0
	v_min_u32_e32 v2, 32, v0
	v_subrev_nc_u32_e32 v0, 28, v2
	v_lshlrev_b64 v[0:1], v0, v[4:5]
	v_sub_nc_u32_e32 v1, 29, v2
	v_and_b32_e32 v0, 7, v0
; %bb.119:                              ;   in Loop: Header=BB298_10 Depth=1
	s_or_b32 exec_lo, exec_lo, s20
	v_mov_b32_e32 v2, 8
	v_lshl_add_u32 v1, v1, 10, 0x2000
	v_lshlrev_b32_e32 v0, 23, v0
	v_lshlrev_b32_sdwa v2, v2, v4 dst_sel:DWORD dst_unused:UNUSED_PAD src0_sel:DWORD src1_sel:WORD_0
	v_and_or_b32 v1, 0x8000, v2, v1
	v_lshl_or_b32 v121, v1, 16, v0
.LBB298_120:                            ;   in Loop: Header=BB298_10 Depth=1
	s_or_b32 exec_lo, exec_lo, s19
.LBB298_121:                            ;   in Loop: Header=BB298_10 Depth=1
	s_or_b32 exec_lo, exec_lo, s18
.LBB298_122:                            ;   in Loop: Header=BB298_10 Depth=1
	s_or_b32 exec_lo, exec_lo, s17
	v_lshrrev_b32_e32 v4, 16, v25
	v_cmp_ne_u16_sdwa s5, v4, v5 src0_sel:BYTE_0 src1_sel:DWORD
	s_and_saveexec_b32 s17, s5
	s_cbranch_execz .LBB298_130
; %bb.123:                              ;   in Loop: Header=BB298_10 Depth=1
	v_cmp_ne_u16_sdwa s5, v4, v37 src0_sel:BYTE_0 src1_sel:DWORD
	v_mov_b32_e32 v0, 0x8000
	buffer_store_dword v0, off, s[0:3], s32 offset:224 ; 4-byte Folded Spill
	s_and_saveexec_b32 s18, s5
	s_cbranch_execz .LBB298_129
; %bb.124:                              ;   in Loop: Header=BB298_10 Depth=1
	v_bfe_u32 v2, v25, 16, 7
	v_mov_b32_e32 v0, 0x7c01
	s_mov_b32 s19, exec_lo
	buffer_store_dword v0, off, s[0:3], s32 offset:224 ; 4-byte Folded Spill
	v_cmpx_ne_u32_e32 0x7f, v2
	s_cbranch_execz .LBB298_128
; %bb.125:                              ;   in Loop: Header=BB298_10 Depth=1
	v_and_b32_e32 v0, 7, v4
	v_lshrrev_b32_e32 v1, 3, v2
	s_mov_b32 s20, exec_lo
	v_cmpx_gt_u32_e32 8, v2
; %bb.126:                              ;   in Loop: Header=BB298_10 Depth=1
	v_ffbh_u32_e32 v0, v0
	v_min_u32_e32 v2, 32, v0
	v_subrev_nc_u32_e32 v0, 28, v2
	v_lshlrev_b64 v[0:1], v0, v[4:5]
	v_sub_nc_u32_e32 v1, 29, v2
	v_and_b32_e32 v0, 7, v0
; %bb.127:                              ;   in Loop: Header=BB298_10 Depth=1
	s_or_b32 exec_lo, exec_lo, s20
	v_lshlrev_b32_e32 v2, 8, v4
	v_lshl_add_u32 v1, v1, 10, 0x2000
	v_lshlrev_b32_e32 v0, 7, v0
	v_and_b32_e32 v2, 0x8000, v2
	v_and_b32_e32 v1, 0xfc00, v1
	v_or3_b32 v0, v2, v1, v0
	buffer_store_dword v0, off, s[0:3], s32 offset:224 ; 4-byte Folded Spill
.LBB298_128:                            ;   in Loop: Header=BB298_10 Depth=1
	s_or_b32 exec_lo, exec_lo, s19
.LBB298_129:                            ;   in Loop: Header=BB298_10 Depth=1
	s_or_b32 exec_lo, exec_lo, s18
.LBB298_130:                            ;   in Loop: Header=BB298_10 Depth=1
	s_or_b32 exec_lo, exec_lo, s17
	v_mov_b32_e32 v0, 0
	v_mov_b32_e32 v86, 0
	s_mov_b32 s17, exec_lo
	buffer_store_dword v0, off, s[0:3], s32 offset:228 ; 4-byte Folded Spill
	v_cmpx_lt_u64_e64 s[6:7], v[24:25]
	s_cbranch_execz .LBB298_138
; %bb.131:                              ;   in Loop: Header=BB298_10 Depth=1
	v_lshrrev_b32_e32 v4, 24, v25
	v_bfrev_b32_e32 v86, 1
	s_mov_b32 s18, exec_lo
	v_cmpx_ne_u32_e32 0x80, v4
	s_cbranch_execz .LBB298_137
; %bb.132:                              ;   in Loop: Header=BB298_10 Depth=1
	v_and_b32_e32 v2, 0x7f, v4
	v_mov_b32_e32 v86, 0x7c010000
	s_mov_b32 s19, exec_lo
	v_cmpx_ne_u32_e32 0x7f, v2
	s_cbranch_execz .LBB298_136
; %bb.133:                              ;   in Loop: Header=BB298_10 Depth=1
	v_and_b32_e32 v0, 7, v4
	v_lshrrev_b32_e32 v1, 3, v2
	s_mov_b32 s20, exec_lo
	v_cmpx_gt_u32_e32 8, v2
; %bb.134:                              ;   in Loop: Header=BB298_10 Depth=1
	v_ffbh_u32_e32 v0, v0
	v_min_u32_e32 v2, 32, v0
	v_subrev_nc_u32_e32 v0, 28, v2
	v_lshlrev_b64 v[0:1], v0, v[4:5]
	v_sub_nc_u32_e32 v1, 29, v2
	v_and_b32_e32 v0, 7, v0
; %bb.135:                              ;   in Loop: Header=BB298_10 Depth=1
	s_or_b32 exec_lo, exec_lo, s20
	v_lshlrev_b32_e32 v2, 8, v4
	v_lshl_add_u32 v1, v1, 10, 0x2000
	v_lshlrev_b32_e32 v0, 23, v0
	v_and_or_b32 v1, 0x8000, v2, v1
	v_lshl_or_b32 v86, v1, 16, v0
.LBB298_136:                            ;   in Loop: Header=BB298_10 Depth=1
	s_or_b32 exec_lo, exec_lo, s19
.LBB298_137:                            ;   in Loop: Header=BB298_10 Depth=1
	s_or_b32 exec_lo, exec_lo, s18
.LBB298_138:                            ;   in Loop: Header=BB298_10 Depth=1
	s_or_b32 exec_lo, exec_lo, s17
	flat_load_dwordx2 v[24:25], v[16:17] offset:512
	s_waitcnt vmcnt(0) lgkmcnt(0)
	v_cmp_ne_u16_sdwa s5, v24, v5 src0_sel:BYTE_0 src1_sel:DWORD
	s_and_saveexec_b32 s17, s5
	s_cbranch_execz .LBB298_146
; %bb.139:                              ;   in Loop: Header=BB298_10 Depth=1
	v_cmp_ne_u16_sdwa s5, v24, v37 src0_sel:BYTE_0 src1_sel:DWORD
	v_mov_b32_e32 v0, 0x8000
	buffer_store_dword v0, off, s[0:3], s32 offset:228 ; 4-byte Folded Spill
	s_and_saveexec_b32 s18, s5
	s_cbranch_execz .LBB298_145
; %bb.140:                              ;   in Loop: Header=BB298_10 Depth=1
	v_and_b32_e32 v2, 0x7f, v24
	v_mov_b32_e32 v0, 0x7c01
	s_mov_b32 s19, exec_lo
	buffer_store_dword v0, off, s[0:3], s32 offset:228 ; 4-byte Folded Spill
	v_cmpx_ne_u32_e32 0x7f, v2
	s_cbranch_execz .LBB298_144
; %bb.141:                              ;   in Loop: Header=BB298_10 Depth=1
	v_and_b32_e32 v0, 7, v24
	v_lshrrev_b32_e32 v1, 3, v2
	s_mov_b32 s20, exec_lo
	v_cmpx_gt_u32_e32 8, v2
; %bb.142:                              ;   in Loop: Header=BB298_10 Depth=1
	v_ffbh_u32_e32 v0, v0
	v_min_u32_e32 v2, 32, v0
	v_subrev_nc_u32_e32 v0, 28, v2
	v_lshlrev_b64 v[0:1], v0, v[24:25]
	v_sub_nc_u32_e32 v1, 29, v2
	v_and_b32_e32 v0, 7, v0
; %bb.143:                              ;   in Loop: Header=BB298_10 Depth=1
	s_or_b32 exec_lo, exec_lo, s20
	v_lshlrev_b32_e32 v2, 8, v24
	v_lshl_add_u32 v1, v1, 10, 0x2000
	v_lshlrev_b32_e32 v0, 7, v0
	v_and_b32_e32 v2, 0x8000, v2
	v_and_b32_e32 v1, 0xfc00, v1
	v_or3_b32 v0, v2, v1, v0
	buffer_store_dword v0, off, s[0:3], s32 offset:228 ; 4-byte Folded Spill
.LBB298_144:                            ;   in Loop: Header=BB298_10 Depth=1
	s_or_b32 exec_lo, exec_lo, s19
.LBB298_145:                            ;   in Loop: Header=BB298_10 Depth=1
	s_or_b32 exec_lo, exec_lo, s18
.LBB298_146:                            ;   in Loop: Header=BB298_10 Depth=1
	s_or_b32 exec_lo, exec_lo, s17
	v_lshrrev_b16 v4, 8, v24
	v_mov_b32_e32 v0, 0
	v_mov_b32_e32 v84, 0
	s_mov_b32 s17, exec_lo
	buffer_store_dword v0, off, s[0:3], s32 offset:232 ; 4-byte Folded Spill
	v_cmpx_ne_u16_e32 0, v4
	s_cbranch_execz .LBB298_154
; %bb.147:                              ;   in Loop: Header=BB298_10 Depth=1
	v_bfrev_b32_e32 v84, 1
	s_mov_b32 s18, exec_lo
	v_cmpx_ne_u16_e32 0x80, v4
	s_cbranch_execz .LBB298_153
; %bb.148:                              ;   in Loop: Header=BB298_10 Depth=1
	v_mov_b32_e32 v0, 0x7f
	v_mov_b32_e32 v84, 0x7c010000
	s_mov_b32 s19, exec_lo
	v_and_b32_sdwa v2, v4, v0 dst_sel:DWORD dst_unused:UNUSED_PAD src0_sel:WORD_0 src1_sel:DWORD
	v_cmpx_ne_u32_e32 0x7f, v2
	s_cbranch_execz .LBB298_152
; %bb.149:                              ;   in Loop: Header=BB298_10 Depth=1
	v_mov_b32_e32 v0, 7
	v_lshrrev_b32_e32 v1, 3, v2
	s_mov_b32 s20, exec_lo
	v_and_b32_sdwa v0, v4, v0 dst_sel:DWORD dst_unused:UNUSED_PAD src0_sel:WORD_0 src1_sel:DWORD
	v_cmpx_gt_u32_e32 8, v2
; %bb.150:                              ;   in Loop: Header=BB298_10 Depth=1
	v_ffbh_u32_e32 v0, v0
	v_min_u32_e32 v2, 32, v0
	v_subrev_nc_u32_e32 v0, 28, v2
	v_lshlrev_b64 v[0:1], v0, v[4:5]
	v_sub_nc_u32_e32 v1, 29, v2
	v_and_b32_e32 v0, 7, v0
; %bb.151:                              ;   in Loop: Header=BB298_10 Depth=1
	s_or_b32 exec_lo, exec_lo, s20
	v_mov_b32_e32 v2, 8
	v_lshl_add_u32 v1, v1, 10, 0x2000
	v_lshlrev_b32_e32 v0, 23, v0
	v_lshlrev_b32_sdwa v2, v2, v4 dst_sel:DWORD dst_unused:UNUSED_PAD src0_sel:DWORD src1_sel:WORD_0
	v_and_or_b32 v1, 0x8000, v2, v1
	v_lshl_or_b32 v84, v1, 16, v0
.LBB298_152:                            ;   in Loop: Header=BB298_10 Depth=1
	s_or_b32 exec_lo, exec_lo, s19
.LBB298_153:                            ;   in Loop: Header=BB298_10 Depth=1
	s_or_b32 exec_lo, exec_lo, s18
.LBB298_154:                            ;   in Loop: Header=BB298_10 Depth=1
	s_or_b32 exec_lo, exec_lo, s17
	v_lshrrev_b32_e32 v4, 16, v24
	v_cmp_ne_u16_sdwa s5, v4, v5 src0_sel:BYTE_0 src1_sel:DWORD
	s_and_saveexec_b32 s17, s5
	s_cbranch_execz .LBB298_162
; %bb.155:                              ;   in Loop: Header=BB298_10 Depth=1
	v_cmp_ne_u16_sdwa s5, v4, v37 src0_sel:BYTE_0 src1_sel:DWORD
	v_mov_b32_e32 v0, 0x8000
	buffer_store_dword v0, off, s[0:3], s32 offset:232 ; 4-byte Folded Spill
	s_and_saveexec_b32 s18, s5
	s_cbranch_execz .LBB298_161
; %bb.156:                              ;   in Loop: Header=BB298_10 Depth=1
	v_bfe_u32 v2, v24, 16, 7
	v_mov_b32_e32 v0, 0x7c01
	s_mov_b32 s19, exec_lo
	buffer_store_dword v0, off, s[0:3], s32 offset:232 ; 4-byte Folded Spill
	v_cmpx_ne_u32_e32 0x7f, v2
	s_cbranch_execz .LBB298_160
; %bb.157:                              ;   in Loop: Header=BB298_10 Depth=1
	v_and_b32_e32 v0, 7, v4
	v_lshrrev_b32_e32 v1, 3, v2
	s_mov_b32 s20, exec_lo
	v_cmpx_gt_u32_e32 8, v2
; %bb.158:                              ;   in Loop: Header=BB298_10 Depth=1
	v_ffbh_u32_e32 v0, v0
	v_min_u32_e32 v2, 32, v0
	v_subrev_nc_u32_e32 v0, 28, v2
	v_lshlrev_b64 v[0:1], v0, v[4:5]
	v_sub_nc_u32_e32 v1, 29, v2
	v_and_b32_e32 v0, 7, v0
; %bb.159:                              ;   in Loop: Header=BB298_10 Depth=1
	s_or_b32 exec_lo, exec_lo, s20
	v_lshlrev_b32_e32 v2, 8, v4
	v_lshl_add_u32 v1, v1, 10, 0x2000
	v_lshlrev_b32_e32 v0, 7, v0
	v_and_b32_e32 v2, 0x8000, v2
	v_and_b32_e32 v1, 0xfc00, v1
	v_or3_b32 v0, v2, v1, v0
	buffer_store_dword v0, off, s[0:3], s32 offset:232 ; 4-byte Folded Spill
.LBB298_160:                            ;   in Loop: Header=BB298_10 Depth=1
	s_or_b32 exec_lo, exec_lo, s19
.LBB298_161:                            ;   in Loop: Header=BB298_10 Depth=1
	s_or_b32 exec_lo, exec_lo, s18
.LBB298_162:                            ;   in Loop: Header=BB298_10 Depth=1
	s_or_b32 exec_lo, exec_lo, s17
	v_mov_b32_e32 v0, 0
	v_mov_b32_e32 v87, 0
	s_mov_b32 s17, exec_lo
	buffer_store_dword v0, off, s[0:3], s32 offset:236 ; 4-byte Folded Spill
	v_cmpx_lt_u32_e32 0xffffff, v24
	s_cbranch_execz .LBB298_170
; %bb.163:                              ;   in Loop: Header=BB298_10 Depth=1
	v_lshrrev_b32_e32 v4, 24, v24
	v_bfrev_b32_e32 v87, 1
	s_mov_b32 s18, exec_lo
	v_cmpx_ne_u32_e32 0x80, v4
	s_cbranch_execz .LBB298_169
; %bb.164:                              ;   in Loop: Header=BB298_10 Depth=1
	v_and_b32_e32 v2, 0x7f, v4
	v_mov_b32_e32 v87, 0x7c010000
	s_mov_b32 s19, exec_lo
	v_cmpx_ne_u32_e32 0x7f, v2
	s_cbranch_execz .LBB298_168
; %bb.165:                              ;   in Loop: Header=BB298_10 Depth=1
	v_and_b32_e32 v0, 7, v4
	v_lshrrev_b32_e32 v1, 3, v2
	s_mov_b32 s20, exec_lo
	v_cmpx_gt_u32_e32 8, v2
; %bb.166:                              ;   in Loop: Header=BB298_10 Depth=1
	v_ffbh_u32_e32 v0, v0
	v_min_u32_e32 v2, 32, v0
	v_subrev_nc_u32_e32 v0, 28, v2
	v_lshlrev_b64 v[0:1], v0, v[4:5]
	v_sub_nc_u32_e32 v1, 29, v2
	v_and_b32_e32 v0, 7, v0
; %bb.167:                              ;   in Loop: Header=BB298_10 Depth=1
	s_or_b32 exec_lo, exec_lo, s20
	v_lshlrev_b32_e32 v2, 8, v4
	v_lshl_add_u32 v1, v1, 10, 0x2000
	v_lshlrev_b32_e32 v0, 23, v0
	v_and_or_b32 v1, 0x8000, v2, v1
	v_lshl_or_b32 v87, v1, 16, v0
.LBB298_168:                            ;   in Loop: Header=BB298_10 Depth=1
	s_or_b32 exec_lo, exec_lo, s19
.LBB298_169:                            ;   in Loop: Header=BB298_10 Depth=1
	s_or_b32 exec_lo, exec_lo, s18
.LBB298_170:                            ;   in Loop: Header=BB298_10 Depth=1
	s_or_b32 exec_lo, exec_lo, s17
	v_mov_b32_e32 v4, v25
	v_cmp_ne_u16_sdwa s5, v25, v5 src0_sel:BYTE_0 src1_sel:DWORD
	s_and_saveexec_b32 s17, s5
	s_cbranch_execz .LBB298_178
; %bb.171:                              ;   in Loop: Header=BB298_10 Depth=1
	v_cmp_ne_u16_sdwa s5, v25, v37 src0_sel:BYTE_0 src1_sel:DWORD
	v_mov_b32_e32 v0, 0x8000
	buffer_store_dword v0, off, s[0:3], s32 offset:236 ; 4-byte Folded Spill
	s_and_saveexec_b32 s18, s5
	s_cbranch_execz .LBB298_177
; %bb.172:                              ;   in Loop: Header=BB298_10 Depth=1
	v_and_b32_e32 v2, 0x7f, v25
	v_mov_b32_e32 v0, 0x7c01
	s_mov_b32 s19, exec_lo
	buffer_store_dword v0, off, s[0:3], s32 offset:236 ; 4-byte Folded Spill
	v_cmpx_ne_u32_e32 0x7f, v2
	s_cbranch_execz .LBB298_176
; %bb.173:                              ;   in Loop: Header=BB298_10 Depth=1
	v_and_b32_e32 v0, 7, v25
	v_lshrrev_b32_e32 v1, 3, v2
	s_mov_b32 s20, exec_lo
	v_cmpx_gt_u32_e32 8, v2
; %bb.174:                              ;   in Loop: Header=BB298_10 Depth=1
	v_ffbh_u32_e32 v0, v0
	v_min_u32_e32 v2, 32, v0
	v_subrev_nc_u32_e32 v0, 28, v2
	v_lshlrev_b64 v[0:1], v0, v[4:5]
	v_sub_nc_u32_e32 v1, 29, v2
	v_and_b32_e32 v0, 7, v0
; %bb.175:                              ;   in Loop: Header=BB298_10 Depth=1
	s_or_b32 exec_lo, exec_lo, s20
	v_lshlrev_b32_e32 v2, 8, v25
	v_lshl_add_u32 v1, v1, 10, 0x2000
	v_lshlrev_b32_e32 v0, 7, v0
	v_and_b32_e32 v2, 0x8000, v2
	v_and_b32_e32 v1, 0xfc00, v1
	v_or3_b32 v0, v2, v1, v0
	buffer_store_dword v0, off, s[0:3], s32 offset:236 ; 4-byte Folded Spill
.LBB298_176:                            ;   in Loop: Header=BB298_10 Depth=1
	s_or_b32 exec_lo, exec_lo, s19
.LBB298_177:                            ;   in Loop: Header=BB298_10 Depth=1
	s_or_b32 exec_lo, exec_lo, s18
.LBB298_178:                            ;   in Loop: Header=BB298_10 Depth=1
	s_or_b32 exec_lo, exec_lo, s17
	v_lshrrev_b16 v4, 8, v4
	v_mov_b32_e32 v0, 0
	v_mov_b32_e32 v97, 0
	s_mov_b32 s17, exec_lo
	buffer_store_dword v0, off, s[0:3], s32 offset:240 ; 4-byte Folded Spill
	v_cmpx_ne_u16_e32 0, v4
	s_cbranch_execz .LBB298_186
; %bb.179:                              ;   in Loop: Header=BB298_10 Depth=1
	v_bfrev_b32_e32 v97, 1
	s_mov_b32 s18, exec_lo
	v_cmpx_ne_u16_e32 0x80, v4
	s_cbranch_execz .LBB298_185
; %bb.180:                              ;   in Loop: Header=BB298_10 Depth=1
	v_mov_b32_e32 v0, 0x7f
	v_mov_b32_e32 v97, 0x7c010000
	s_mov_b32 s19, exec_lo
	v_and_b32_sdwa v2, v4, v0 dst_sel:DWORD dst_unused:UNUSED_PAD src0_sel:WORD_0 src1_sel:DWORD
	v_cmpx_ne_u32_e32 0x7f, v2
	s_cbranch_execz .LBB298_184
; %bb.181:                              ;   in Loop: Header=BB298_10 Depth=1
	v_mov_b32_e32 v0, 7
	v_lshrrev_b32_e32 v1, 3, v2
	s_mov_b32 s20, exec_lo
	v_and_b32_sdwa v0, v4, v0 dst_sel:DWORD dst_unused:UNUSED_PAD src0_sel:WORD_0 src1_sel:DWORD
	v_cmpx_gt_u32_e32 8, v2
; %bb.182:                              ;   in Loop: Header=BB298_10 Depth=1
	v_ffbh_u32_e32 v0, v0
	v_min_u32_e32 v2, 32, v0
	v_subrev_nc_u32_e32 v0, 28, v2
	v_lshlrev_b64 v[0:1], v0, v[4:5]
	v_sub_nc_u32_e32 v1, 29, v2
	v_and_b32_e32 v0, 7, v0
; %bb.183:                              ;   in Loop: Header=BB298_10 Depth=1
	s_or_b32 exec_lo, exec_lo, s20
	v_mov_b32_e32 v2, 8
	v_lshl_add_u32 v1, v1, 10, 0x2000
	v_lshlrev_b32_e32 v0, 23, v0
	v_lshlrev_b32_sdwa v2, v2, v4 dst_sel:DWORD dst_unused:UNUSED_PAD src0_sel:DWORD src1_sel:WORD_0
	v_and_or_b32 v1, 0x8000, v2, v1
	v_lshl_or_b32 v97, v1, 16, v0
.LBB298_184:                            ;   in Loop: Header=BB298_10 Depth=1
	s_or_b32 exec_lo, exec_lo, s19
.LBB298_185:                            ;   in Loop: Header=BB298_10 Depth=1
	s_or_b32 exec_lo, exec_lo, s18
.LBB298_186:                            ;   in Loop: Header=BB298_10 Depth=1
	s_or_b32 exec_lo, exec_lo, s17
	v_lshrrev_b32_e32 v4, 16, v25
	v_cmp_ne_u16_sdwa s5, v4, v5 src0_sel:BYTE_0 src1_sel:DWORD
	s_and_saveexec_b32 s17, s5
	s_cbranch_execz .LBB298_194
; %bb.187:                              ;   in Loop: Header=BB298_10 Depth=1
	v_cmp_ne_u16_sdwa s5, v4, v37 src0_sel:BYTE_0 src1_sel:DWORD
	v_mov_b32_e32 v0, 0x8000
	buffer_store_dword v0, off, s[0:3], s32 offset:240 ; 4-byte Folded Spill
	s_and_saveexec_b32 s18, s5
	s_cbranch_execz .LBB298_193
; %bb.188:                              ;   in Loop: Header=BB298_10 Depth=1
	v_bfe_u32 v2, v25, 16, 7
	v_mov_b32_e32 v0, 0x7c01
	s_mov_b32 s19, exec_lo
	buffer_store_dword v0, off, s[0:3], s32 offset:240 ; 4-byte Folded Spill
	v_cmpx_ne_u32_e32 0x7f, v2
	s_cbranch_execz .LBB298_192
; %bb.189:                              ;   in Loop: Header=BB298_10 Depth=1
	v_and_b32_e32 v0, 7, v4
	v_lshrrev_b32_e32 v1, 3, v2
	s_mov_b32 s20, exec_lo
	v_cmpx_gt_u32_e32 8, v2
; %bb.190:                              ;   in Loop: Header=BB298_10 Depth=1
	v_ffbh_u32_e32 v0, v0
	v_min_u32_e32 v2, 32, v0
	v_subrev_nc_u32_e32 v0, 28, v2
	v_lshlrev_b64 v[0:1], v0, v[4:5]
	v_sub_nc_u32_e32 v1, 29, v2
	v_and_b32_e32 v0, 7, v0
; %bb.191:                              ;   in Loop: Header=BB298_10 Depth=1
	s_or_b32 exec_lo, exec_lo, s20
	v_lshlrev_b32_e32 v2, 8, v4
	v_lshl_add_u32 v1, v1, 10, 0x2000
	v_lshlrev_b32_e32 v0, 7, v0
	v_and_b32_e32 v2, 0x8000, v2
	v_and_b32_e32 v1, 0xfc00, v1
	v_or3_b32 v0, v2, v1, v0
	buffer_store_dword v0, off, s[0:3], s32 offset:240 ; 4-byte Folded Spill
.LBB298_192:                            ;   in Loop: Header=BB298_10 Depth=1
	s_or_b32 exec_lo, exec_lo, s19
.LBB298_193:                            ;   in Loop: Header=BB298_10 Depth=1
	s_or_b32 exec_lo, exec_lo, s18
.LBB298_194:                            ;   in Loop: Header=BB298_10 Depth=1
	s_or_b32 exec_lo, exec_lo, s17
	v_mov_b32_e32 v99, 0
	v_mov_b32_e32 v34, 0
	s_mov_b32 s17, exec_lo
	v_cmpx_lt_u64_e64 s[6:7], v[24:25]
	s_cbranch_execz .LBB298_202
; %bb.195:                              ;   in Loop: Header=BB298_10 Depth=1
	v_lshrrev_b32_e32 v4, 24, v25
	v_bfrev_b32_e32 v34, 1
	s_mov_b32 s18, exec_lo
	v_cmpx_ne_u32_e32 0x80, v4
	s_cbranch_execz .LBB298_201
; %bb.196:                              ;   in Loop: Header=BB298_10 Depth=1
	v_and_b32_e32 v2, 0x7f, v4
	v_mov_b32_e32 v34, 0x7c010000
	s_mov_b32 s19, exec_lo
	v_cmpx_ne_u32_e32 0x7f, v2
	s_cbranch_execz .LBB298_200
; %bb.197:                              ;   in Loop: Header=BB298_10 Depth=1
	v_and_b32_e32 v0, 7, v4
	v_lshrrev_b32_e32 v1, 3, v2
	s_mov_b32 s20, exec_lo
	v_cmpx_gt_u32_e32 8, v2
; %bb.198:                              ;   in Loop: Header=BB298_10 Depth=1
	v_ffbh_u32_e32 v0, v0
	v_min_u32_e32 v2, 32, v0
	v_subrev_nc_u32_e32 v0, 28, v2
	v_lshlrev_b64 v[0:1], v0, v[4:5]
	v_sub_nc_u32_e32 v1, 29, v2
	v_and_b32_e32 v0, 7, v0
; %bb.199:                              ;   in Loop: Header=BB298_10 Depth=1
	s_or_b32 exec_lo, exec_lo, s20
	v_lshlrev_b32_e32 v2, 8, v4
	v_lshl_add_u32 v1, v1, 10, 0x2000
	v_lshlrev_b32_e32 v0, 23, v0
	v_and_or_b32 v1, 0x8000, v2, v1
	v_lshl_or_b32 v34, v1, 16, v0
.LBB298_200:                            ;   in Loop: Header=BB298_10 Depth=1
	s_or_b32 exec_lo, exec_lo, s19
.LBB298_201:                            ;   in Loop: Header=BB298_10 Depth=1
	s_or_b32 exec_lo, exec_lo, s18
.LBB298_202:                            ;   in Loop: Header=BB298_10 Depth=1
	s_or_b32 exec_lo, exec_lo, s17
	flat_load_dwordx2 v[24:25], v[16:17] offset:520
	s_waitcnt vmcnt(0) lgkmcnt(0)
	v_cmp_ne_u16_sdwa s5, v24, v5 src0_sel:BYTE_0 src1_sel:DWORD
	s_and_saveexec_b32 s17, s5
	s_cbranch_execz .LBB298_210
; %bb.203:                              ;   in Loop: Header=BB298_10 Depth=1
	v_cmp_ne_u16_sdwa s5, v24, v37 src0_sel:BYTE_0 src1_sel:DWORD
	v_mov_b32_e32 v99, 0x8000
	s_and_saveexec_b32 s18, s5
	s_cbranch_execz .LBB298_209
; %bb.204:                              ;   in Loop: Header=BB298_10 Depth=1
	v_and_b32_e32 v2, 0x7f, v24
	v_mov_b32_e32 v99, 0x7c01
	s_mov_b32 s19, exec_lo
	v_cmpx_ne_u32_e32 0x7f, v2
	s_cbranch_execz .LBB298_208
; %bb.205:                              ;   in Loop: Header=BB298_10 Depth=1
	v_and_b32_e32 v0, 7, v24
	v_lshrrev_b32_e32 v1, 3, v2
	s_mov_b32 s20, exec_lo
	v_cmpx_gt_u32_e32 8, v2
; %bb.206:                              ;   in Loop: Header=BB298_10 Depth=1
	v_ffbh_u32_e32 v0, v0
	v_min_u32_e32 v2, 32, v0
	v_subrev_nc_u32_e32 v0, 28, v2
	v_lshlrev_b64 v[0:1], v0, v[24:25]
	v_sub_nc_u32_e32 v1, 29, v2
	v_and_b32_e32 v0, 7, v0
; %bb.207:                              ;   in Loop: Header=BB298_10 Depth=1
	s_or_b32 exec_lo, exec_lo, s20
	v_lshlrev_b32_e32 v2, 8, v24
	v_lshl_add_u32 v1, v1, 10, 0x2000
	v_lshlrev_b32_e32 v0, 7, v0
	v_and_b32_e32 v2, 0x8000, v2
	v_and_b32_e32 v1, 0xfc00, v1
	v_or3_b32 v99, v2, v1, v0
.LBB298_208:                            ;   in Loop: Header=BB298_10 Depth=1
	s_or_b32 exec_lo, exec_lo, s19
.LBB298_209:                            ;   in Loop: Header=BB298_10 Depth=1
	s_or_b32 exec_lo, exec_lo, s18
.LBB298_210:                            ;   in Loop: Header=BB298_10 Depth=1
	s_or_b32 exec_lo, exec_lo, s17
	v_lshrrev_b16 v4, 8, v24
	v_mov_b32_e32 v101, 0
	v_mov_b32_e32 v100, 0
	s_mov_b32 s17, exec_lo
	v_cmpx_ne_u16_e32 0, v4
	s_cbranch_execz .LBB298_218
; %bb.211:                              ;   in Loop: Header=BB298_10 Depth=1
	v_bfrev_b32_e32 v100, 1
	s_mov_b32 s18, exec_lo
	v_cmpx_ne_u16_e32 0x80, v4
	s_cbranch_execz .LBB298_217
; %bb.212:                              ;   in Loop: Header=BB298_10 Depth=1
	v_mov_b32_e32 v0, 0x7f
	v_mov_b32_e32 v100, 0x7c010000
	s_mov_b32 s19, exec_lo
	v_and_b32_sdwa v2, v4, v0 dst_sel:DWORD dst_unused:UNUSED_PAD src0_sel:WORD_0 src1_sel:DWORD
	v_cmpx_ne_u32_e32 0x7f, v2
	s_cbranch_execz .LBB298_216
; %bb.213:                              ;   in Loop: Header=BB298_10 Depth=1
	v_mov_b32_e32 v0, 7
	v_lshrrev_b32_e32 v1, 3, v2
	s_mov_b32 s20, exec_lo
	v_and_b32_sdwa v0, v4, v0 dst_sel:DWORD dst_unused:UNUSED_PAD src0_sel:WORD_0 src1_sel:DWORD
	v_cmpx_gt_u32_e32 8, v2
; %bb.214:                              ;   in Loop: Header=BB298_10 Depth=1
	v_ffbh_u32_e32 v0, v0
	v_min_u32_e32 v2, 32, v0
	v_subrev_nc_u32_e32 v0, 28, v2
	v_lshlrev_b64 v[0:1], v0, v[4:5]
	v_sub_nc_u32_e32 v1, 29, v2
	v_and_b32_e32 v0, 7, v0
; %bb.215:                              ;   in Loop: Header=BB298_10 Depth=1
	s_or_b32 exec_lo, exec_lo, s20
	v_mov_b32_e32 v2, 8
	v_lshl_add_u32 v1, v1, 10, 0x2000
	v_lshlrev_b32_e32 v0, 23, v0
	v_lshlrev_b32_sdwa v2, v2, v4 dst_sel:DWORD dst_unused:UNUSED_PAD src0_sel:DWORD src1_sel:WORD_0
	v_and_or_b32 v1, 0x8000, v2, v1
	v_lshl_or_b32 v100, v1, 16, v0
.LBB298_216:                            ;   in Loop: Header=BB298_10 Depth=1
	s_or_b32 exec_lo, exec_lo, s19
.LBB298_217:                            ;   in Loop: Header=BB298_10 Depth=1
	s_or_b32 exec_lo, exec_lo, s18
.LBB298_218:                            ;   in Loop: Header=BB298_10 Depth=1
	s_or_b32 exec_lo, exec_lo, s17
	v_lshrrev_b32_e32 v4, 16, v24
	v_cmp_ne_u16_sdwa s5, v4, v5 src0_sel:BYTE_0 src1_sel:DWORD
	s_and_saveexec_b32 s17, s5
	s_cbranch_execz .LBB298_226
; %bb.219:                              ;   in Loop: Header=BB298_10 Depth=1
	v_cmp_ne_u16_sdwa s5, v4, v37 src0_sel:BYTE_0 src1_sel:DWORD
	v_mov_b32_e32 v101, 0x8000
	s_and_saveexec_b32 s18, s5
	s_cbranch_execz .LBB298_225
; %bb.220:                              ;   in Loop: Header=BB298_10 Depth=1
	v_bfe_u32 v2, v24, 16, 7
	v_mov_b32_e32 v101, 0x7c01
	s_mov_b32 s19, exec_lo
	v_cmpx_ne_u32_e32 0x7f, v2
	s_cbranch_execz .LBB298_224
; %bb.221:                              ;   in Loop: Header=BB298_10 Depth=1
	v_and_b32_e32 v0, 7, v4
	v_lshrrev_b32_e32 v1, 3, v2
	s_mov_b32 s20, exec_lo
	v_cmpx_gt_u32_e32 8, v2
; %bb.222:                              ;   in Loop: Header=BB298_10 Depth=1
	v_ffbh_u32_e32 v0, v0
	v_min_u32_e32 v2, 32, v0
	v_subrev_nc_u32_e32 v0, 28, v2
	v_lshlrev_b64 v[0:1], v0, v[4:5]
	v_sub_nc_u32_e32 v1, 29, v2
	v_and_b32_e32 v0, 7, v0
; %bb.223:                              ;   in Loop: Header=BB298_10 Depth=1
	s_or_b32 exec_lo, exec_lo, s20
	v_lshlrev_b32_e32 v2, 8, v4
	v_lshl_add_u32 v1, v1, 10, 0x2000
	v_lshlrev_b32_e32 v0, 7, v0
	v_and_b32_e32 v2, 0x8000, v2
	v_and_b32_e32 v1, 0xfc00, v1
	v_or3_b32 v101, v2, v1, v0
.LBB298_224:                            ;   in Loop: Header=BB298_10 Depth=1
	s_or_b32 exec_lo, exec_lo, s19
.LBB298_225:                            ;   in Loop: Header=BB298_10 Depth=1
	s_or_b32 exec_lo, exec_lo, s18
.LBB298_226:                            ;   in Loop: Header=BB298_10 Depth=1
	s_or_b32 exec_lo, exec_lo, s17
	v_mov_b32_e32 v102, 0
	v_mov_b32_e32 v103, 0
	s_mov_b32 s17, exec_lo
	v_cmpx_lt_u32_e32 0xffffff, v24
	s_cbranch_execz .LBB298_234
; %bb.227:                              ;   in Loop: Header=BB298_10 Depth=1
	v_lshrrev_b32_e32 v4, 24, v24
	v_bfrev_b32_e32 v103, 1
	s_mov_b32 s18, exec_lo
	v_cmpx_ne_u32_e32 0x80, v4
	s_cbranch_execz .LBB298_233
; %bb.228:                              ;   in Loop: Header=BB298_10 Depth=1
	v_and_b32_e32 v2, 0x7f, v4
	v_mov_b32_e32 v103, 0x7c010000
	s_mov_b32 s19, exec_lo
	v_cmpx_ne_u32_e32 0x7f, v2
	s_cbranch_execz .LBB298_232
; %bb.229:                              ;   in Loop: Header=BB298_10 Depth=1
	v_and_b32_e32 v0, 7, v4
	v_lshrrev_b32_e32 v1, 3, v2
	s_mov_b32 s20, exec_lo
	v_cmpx_gt_u32_e32 8, v2
; %bb.230:                              ;   in Loop: Header=BB298_10 Depth=1
	v_ffbh_u32_e32 v0, v0
	v_min_u32_e32 v2, 32, v0
	v_subrev_nc_u32_e32 v0, 28, v2
	v_lshlrev_b64 v[0:1], v0, v[4:5]
	v_sub_nc_u32_e32 v1, 29, v2
	v_and_b32_e32 v0, 7, v0
; %bb.231:                              ;   in Loop: Header=BB298_10 Depth=1
	s_or_b32 exec_lo, exec_lo, s20
	v_lshlrev_b32_e32 v2, 8, v4
	v_lshl_add_u32 v1, v1, 10, 0x2000
	v_lshlrev_b32_e32 v0, 23, v0
	v_and_or_b32 v1, 0x8000, v2, v1
	v_lshl_or_b32 v103, v1, 16, v0
.LBB298_232:                            ;   in Loop: Header=BB298_10 Depth=1
	s_or_b32 exec_lo, exec_lo, s19
.LBB298_233:                            ;   in Loop: Header=BB298_10 Depth=1
	s_or_b32 exec_lo, exec_lo, s18
.LBB298_234:                            ;   in Loop: Header=BB298_10 Depth=1
	s_or_b32 exec_lo, exec_lo, s17
	v_mov_b32_e32 v4, v25
	v_cmp_ne_u16_sdwa s5, v25, v5 src0_sel:BYTE_0 src1_sel:DWORD
	s_and_saveexec_b32 s17, s5
	s_cbranch_execz .LBB298_242
; %bb.235:                              ;   in Loop: Header=BB298_10 Depth=1
	v_cmp_ne_u16_sdwa s5, v25, v37 src0_sel:BYTE_0 src1_sel:DWORD
	v_mov_b32_e32 v102, 0x8000
	s_and_saveexec_b32 s18, s5
	s_cbranch_execz .LBB298_241
; %bb.236:                              ;   in Loop: Header=BB298_10 Depth=1
	v_and_b32_e32 v2, 0x7f, v25
	v_mov_b32_e32 v102, 0x7c01
	s_mov_b32 s19, exec_lo
	v_cmpx_ne_u32_e32 0x7f, v2
	s_cbranch_execz .LBB298_240
; %bb.237:                              ;   in Loop: Header=BB298_10 Depth=1
	v_and_b32_e32 v0, 7, v25
	v_lshrrev_b32_e32 v1, 3, v2
	s_mov_b32 s20, exec_lo
	v_cmpx_gt_u32_e32 8, v2
; %bb.238:                              ;   in Loop: Header=BB298_10 Depth=1
	v_ffbh_u32_e32 v0, v0
	v_min_u32_e32 v2, 32, v0
	v_subrev_nc_u32_e32 v0, 28, v2
	v_lshlrev_b64 v[0:1], v0, v[4:5]
	v_sub_nc_u32_e32 v1, 29, v2
	v_and_b32_e32 v0, 7, v0
; %bb.239:                              ;   in Loop: Header=BB298_10 Depth=1
	s_or_b32 exec_lo, exec_lo, s20
	v_lshlrev_b32_e32 v2, 8, v25
	v_lshl_add_u32 v1, v1, 10, 0x2000
	v_lshlrev_b32_e32 v0, 7, v0
	v_and_b32_e32 v2, 0x8000, v2
	v_and_b32_e32 v1, 0xfc00, v1
	v_or3_b32 v102, v2, v1, v0
.LBB298_240:                            ;   in Loop: Header=BB298_10 Depth=1
	s_or_b32 exec_lo, exec_lo, s19
.LBB298_241:                            ;   in Loop: Header=BB298_10 Depth=1
	s_or_b32 exec_lo, exec_lo, s18
.LBB298_242:                            ;   in Loop: Header=BB298_10 Depth=1
	s_or_b32 exec_lo, exec_lo, s17
	v_lshrrev_b16 v4, 8, v4
	v_mov_b32_e32 v112, 0
	v_mov_b32_e32 v113, 0
	s_mov_b32 s17, exec_lo
	v_cmpx_ne_u16_e32 0, v4
	s_cbranch_execz .LBB298_250
; %bb.243:                              ;   in Loop: Header=BB298_10 Depth=1
	v_bfrev_b32_e32 v113, 1
	s_mov_b32 s18, exec_lo
	v_cmpx_ne_u16_e32 0x80, v4
	s_cbranch_execz .LBB298_249
; %bb.244:                              ;   in Loop: Header=BB298_10 Depth=1
	v_mov_b32_e32 v0, 0x7f
	v_mov_b32_e32 v113, 0x7c010000
	s_mov_b32 s19, exec_lo
	v_and_b32_sdwa v2, v4, v0 dst_sel:DWORD dst_unused:UNUSED_PAD src0_sel:WORD_0 src1_sel:DWORD
	v_cmpx_ne_u32_e32 0x7f, v2
	s_cbranch_execz .LBB298_248
; %bb.245:                              ;   in Loop: Header=BB298_10 Depth=1
	v_mov_b32_e32 v0, 7
	v_lshrrev_b32_e32 v1, 3, v2
	s_mov_b32 s20, exec_lo
	v_and_b32_sdwa v0, v4, v0 dst_sel:DWORD dst_unused:UNUSED_PAD src0_sel:WORD_0 src1_sel:DWORD
	v_cmpx_gt_u32_e32 8, v2
; %bb.246:                              ;   in Loop: Header=BB298_10 Depth=1
	v_ffbh_u32_e32 v0, v0
	v_min_u32_e32 v2, 32, v0
	v_subrev_nc_u32_e32 v0, 28, v2
	v_lshlrev_b64 v[0:1], v0, v[4:5]
	v_sub_nc_u32_e32 v1, 29, v2
	v_and_b32_e32 v0, 7, v0
; %bb.247:                              ;   in Loop: Header=BB298_10 Depth=1
	s_or_b32 exec_lo, exec_lo, s20
	v_mov_b32_e32 v2, 8
	v_lshl_add_u32 v1, v1, 10, 0x2000
	v_lshlrev_b32_e32 v0, 23, v0
	v_lshlrev_b32_sdwa v2, v2, v4 dst_sel:DWORD dst_unused:UNUSED_PAD src0_sel:DWORD src1_sel:WORD_0
	v_and_or_b32 v1, 0x8000, v2, v1
	v_lshl_or_b32 v113, v1, 16, v0
.LBB298_248:                            ;   in Loop: Header=BB298_10 Depth=1
	s_or_b32 exec_lo, exec_lo, s19
.LBB298_249:                            ;   in Loop: Header=BB298_10 Depth=1
	s_or_b32 exec_lo, exec_lo, s18
.LBB298_250:                            ;   in Loop: Header=BB298_10 Depth=1
	s_or_b32 exec_lo, exec_lo, s17
	v_lshrrev_b32_e32 v4, 16, v25
	v_cmp_ne_u16_sdwa s5, v4, v5 src0_sel:BYTE_0 src1_sel:DWORD
	s_and_saveexec_b32 s17, s5
	s_cbranch_execz .LBB298_258
; %bb.251:                              ;   in Loop: Header=BB298_10 Depth=1
	v_cmp_ne_u16_sdwa s5, v4, v37 src0_sel:BYTE_0 src1_sel:DWORD
	v_mov_b32_e32 v112, 0x8000
	s_and_saveexec_b32 s18, s5
	s_cbranch_execz .LBB298_257
; %bb.252:                              ;   in Loop: Header=BB298_10 Depth=1
	v_bfe_u32 v2, v25, 16, 7
	v_mov_b32_e32 v112, 0x7c01
	s_mov_b32 s19, exec_lo
	v_cmpx_ne_u32_e32 0x7f, v2
	s_cbranch_execz .LBB298_256
; %bb.253:                              ;   in Loop: Header=BB298_10 Depth=1
	v_and_b32_e32 v0, 7, v4
	v_lshrrev_b32_e32 v1, 3, v2
	s_mov_b32 s20, exec_lo
	v_cmpx_gt_u32_e32 8, v2
; %bb.254:                              ;   in Loop: Header=BB298_10 Depth=1
	v_ffbh_u32_e32 v0, v0
	v_min_u32_e32 v2, 32, v0
	v_subrev_nc_u32_e32 v0, 28, v2
	v_lshlrev_b64 v[0:1], v0, v[4:5]
	v_sub_nc_u32_e32 v1, 29, v2
	v_and_b32_e32 v0, 7, v0
; %bb.255:                              ;   in Loop: Header=BB298_10 Depth=1
	s_or_b32 exec_lo, exec_lo, s20
	v_lshlrev_b32_e32 v2, 8, v4
	v_lshl_add_u32 v1, v1, 10, 0x2000
	v_lshlrev_b32_e32 v0, 7, v0
	v_and_b32_e32 v2, 0x8000, v2
	v_and_b32_e32 v1, 0xfc00, v1
	v_or3_b32 v112, v2, v1, v0
.LBB298_256:                            ;   in Loop: Header=BB298_10 Depth=1
	s_or_b32 exec_lo, exec_lo, s19
.LBB298_257:                            ;   in Loop: Header=BB298_10 Depth=1
	s_or_b32 exec_lo, exec_lo, s18
.LBB298_258:                            ;   in Loop: Header=BB298_10 Depth=1
	s_or_b32 exec_lo, exec_lo, s17
	v_mov_b32_e32 v115, 0
	v_mov_b32_e32 v114, 0
	s_mov_b32 s17, exec_lo
	v_cmpx_lt_u64_e64 s[6:7], v[24:25]
	s_cbranch_execz .LBB298_266
; %bb.259:                              ;   in Loop: Header=BB298_10 Depth=1
	v_lshrrev_b32_e32 v4, 24, v25
	v_bfrev_b32_e32 v114, 1
	s_mov_b32 s18, exec_lo
	v_cmpx_ne_u32_e32 0x80, v4
	s_cbranch_execz .LBB298_265
; %bb.260:                              ;   in Loop: Header=BB298_10 Depth=1
	v_and_b32_e32 v2, 0x7f, v4
	v_mov_b32_e32 v114, 0x7c010000
	s_mov_b32 s19, exec_lo
	v_cmpx_ne_u32_e32 0x7f, v2
	s_cbranch_execz .LBB298_264
; %bb.261:                              ;   in Loop: Header=BB298_10 Depth=1
	v_and_b32_e32 v0, 7, v4
	v_lshrrev_b32_e32 v1, 3, v2
	s_mov_b32 s20, exec_lo
	v_cmpx_gt_u32_e32 8, v2
; %bb.262:                              ;   in Loop: Header=BB298_10 Depth=1
	v_ffbh_u32_e32 v0, v0
	v_min_u32_e32 v2, 32, v0
	v_subrev_nc_u32_e32 v0, 28, v2
	v_lshlrev_b64 v[0:1], v0, v[4:5]
	v_sub_nc_u32_e32 v1, 29, v2
	v_and_b32_e32 v0, 7, v0
; %bb.263:                              ;   in Loop: Header=BB298_10 Depth=1
	s_or_b32 exec_lo, exec_lo, s20
	v_lshlrev_b32_e32 v2, 8, v4
	v_lshl_add_u32 v1, v1, 10, 0x2000
	v_lshlrev_b32_e32 v0, 23, v0
	v_and_or_b32 v1, 0x8000, v2, v1
	v_lshl_or_b32 v114, v1, 16, v0
.LBB298_264:                            ;   in Loop: Header=BB298_10 Depth=1
	s_or_b32 exec_lo, exec_lo, s19
.LBB298_265:                            ;   in Loop: Header=BB298_10 Depth=1
	s_or_b32 exec_lo, exec_lo, s18
.LBB298_266:                            ;   in Loop: Header=BB298_10 Depth=1
	s_or_b32 exec_lo, exec_lo, s17
	flat_load_dwordx2 v[24:25], v[16:17] offset:1024
	s_waitcnt vmcnt(0) lgkmcnt(0)
	v_cmp_ne_u16_sdwa s5, v24, v5 src0_sel:BYTE_0 src1_sel:DWORD
	s_and_saveexec_b32 s17, s5
	s_cbranch_execz .LBB298_274
; %bb.267:                              ;   in Loop: Header=BB298_10 Depth=1
	v_cmp_ne_u16_sdwa s5, v24, v37 src0_sel:BYTE_0 src1_sel:DWORD
	v_mov_b32_e32 v115, 0x8000
	s_and_saveexec_b32 s18, s5
	s_cbranch_execz .LBB298_273
; %bb.268:                              ;   in Loop: Header=BB298_10 Depth=1
	v_and_b32_e32 v2, 0x7f, v24
	v_mov_b32_e32 v115, 0x7c01
	s_mov_b32 s19, exec_lo
	v_cmpx_ne_u32_e32 0x7f, v2
	s_cbranch_execz .LBB298_272
; %bb.269:                              ;   in Loop: Header=BB298_10 Depth=1
	v_and_b32_e32 v0, 7, v24
	v_lshrrev_b32_e32 v1, 3, v2
	s_mov_b32 s20, exec_lo
	v_cmpx_gt_u32_e32 8, v2
; %bb.270:                              ;   in Loop: Header=BB298_10 Depth=1
	v_ffbh_u32_e32 v0, v0
	v_min_u32_e32 v2, 32, v0
	v_subrev_nc_u32_e32 v0, 28, v2
	v_lshlrev_b64 v[0:1], v0, v[24:25]
	v_sub_nc_u32_e32 v1, 29, v2
	v_and_b32_e32 v0, 7, v0
; %bb.271:                              ;   in Loop: Header=BB298_10 Depth=1
	s_or_b32 exec_lo, exec_lo, s20
	v_lshlrev_b32_e32 v2, 8, v24
	v_lshl_add_u32 v1, v1, 10, 0x2000
	v_lshlrev_b32_e32 v0, 7, v0
	v_and_b32_e32 v2, 0x8000, v2
	v_and_b32_e32 v1, 0xfc00, v1
	v_or3_b32 v115, v2, v1, v0
.LBB298_272:                            ;   in Loop: Header=BB298_10 Depth=1
	s_or_b32 exec_lo, exec_lo, s19
.LBB298_273:                            ;   in Loop: Header=BB298_10 Depth=1
	s_or_b32 exec_lo, exec_lo, s18
.LBB298_274:                            ;   in Loop: Header=BB298_10 Depth=1
	s_or_b32 exec_lo, exec_lo, s17
	v_lshrrev_b16 v4, 8, v24
	v_mov_b32_e32 v117, 0
	v_mov_b32_e32 v116, 0
	s_mov_b32 s17, exec_lo
	v_cmpx_ne_u16_e32 0, v4
	s_cbranch_execz .LBB298_282
; %bb.275:                              ;   in Loop: Header=BB298_10 Depth=1
	v_bfrev_b32_e32 v116, 1
	s_mov_b32 s18, exec_lo
	v_cmpx_ne_u16_e32 0x80, v4
	s_cbranch_execz .LBB298_281
; %bb.276:                              ;   in Loop: Header=BB298_10 Depth=1
	v_mov_b32_e32 v0, 0x7f
	v_mov_b32_e32 v116, 0x7c010000
	s_mov_b32 s19, exec_lo
	v_and_b32_sdwa v2, v4, v0 dst_sel:DWORD dst_unused:UNUSED_PAD src0_sel:WORD_0 src1_sel:DWORD
	v_cmpx_ne_u32_e32 0x7f, v2
	s_cbranch_execz .LBB298_280
; %bb.277:                              ;   in Loop: Header=BB298_10 Depth=1
	v_mov_b32_e32 v0, 7
	v_lshrrev_b32_e32 v1, 3, v2
	s_mov_b32 s20, exec_lo
	v_and_b32_sdwa v0, v4, v0 dst_sel:DWORD dst_unused:UNUSED_PAD src0_sel:WORD_0 src1_sel:DWORD
	v_cmpx_gt_u32_e32 8, v2
; %bb.278:                              ;   in Loop: Header=BB298_10 Depth=1
	v_ffbh_u32_e32 v0, v0
	v_min_u32_e32 v2, 32, v0
	v_subrev_nc_u32_e32 v0, 28, v2
	v_lshlrev_b64 v[0:1], v0, v[4:5]
	v_sub_nc_u32_e32 v1, 29, v2
	v_and_b32_e32 v0, 7, v0
; %bb.279:                              ;   in Loop: Header=BB298_10 Depth=1
	s_or_b32 exec_lo, exec_lo, s20
	v_mov_b32_e32 v2, 8
	v_lshl_add_u32 v1, v1, 10, 0x2000
	v_lshlrev_b32_e32 v0, 23, v0
	v_lshlrev_b32_sdwa v2, v2, v4 dst_sel:DWORD dst_unused:UNUSED_PAD src0_sel:DWORD src1_sel:WORD_0
	v_and_or_b32 v1, 0x8000, v2, v1
	v_lshl_or_b32 v116, v1, 16, v0
.LBB298_280:                            ;   in Loop: Header=BB298_10 Depth=1
	s_or_b32 exec_lo, exec_lo, s19
.LBB298_281:                            ;   in Loop: Header=BB298_10 Depth=1
	s_or_b32 exec_lo, exec_lo, s18
.LBB298_282:                            ;   in Loop: Header=BB298_10 Depth=1
	s_or_b32 exec_lo, exec_lo, s17
	v_lshrrev_b32_e32 v4, 16, v24
	v_cmp_ne_u16_sdwa s5, v4, v5 src0_sel:BYTE_0 src1_sel:DWORD
	s_and_saveexec_b32 s17, s5
	s_cbranch_execz .LBB298_290
; %bb.283:                              ;   in Loop: Header=BB298_10 Depth=1
	v_cmp_ne_u16_sdwa s5, v4, v37 src0_sel:BYTE_0 src1_sel:DWORD
	v_mov_b32_e32 v117, 0x8000
	s_and_saveexec_b32 s18, s5
	s_cbranch_execz .LBB298_289
; %bb.284:                              ;   in Loop: Header=BB298_10 Depth=1
	v_bfe_u32 v2, v24, 16, 7
	v_mov_b32_e32 v117, 0x7c01
	s_mov_b32 s19, exec_lo
	v_cmpx_ne_u32_e32 0x7f, v2
	s_cbranch_execz .LBB298_288
; %bb.285:                              ;   in Loop: Header=BB298_10 Depth=1
	v_and_b32_e32 v0, 7, v4
	v_lshrrev_b32_e32 v1, 3, v2
	s_mov_b32 s20, exec_lo
	v_cmpx_gt_u32_e32 8, v2
; %bb.286:                              ;   in Loop: Header=BB298_10 Depth=1
	v_ffbh_u32_e32 v0, v0
	v_min_u32_e32 v2, 32, v0
	v_subrev_nc_u32_e32 v0, 28, v2
	v_lshlrev_b64 v[0:1], v0, v[4:5]
	v_sub_nc_u32_e32 v1, 29, v2
	v_and_b32_e32 v0, 7, v0
; %bb.287:                              ;   in Loop: Header=BB298_10 Depth=1
	s_or_b32 exec_lo, exec_lo, s20
	v_lshlrev_b32_e32 v2, 8, v4
	v_lshl_add_u32 v1, v1, 10, 0x2000
	v_lshlrev_b32_e32 v0, 7, v0
	v_and_b32_e32 v2, 0x8000, v2
	v_and_b32_e32 v1, 0xfc00, v1
	v_or3_b32 v117, v2, v1, v0
.LBB298_288:                            ;   in Loop: Header=BB298_10 Depth=1
	s_or_b32 exec_lo, exec_lo, s19
.LBB298_289:                            ;   in Loop: Header=BB298_10 Depth=1
	s_or_b32 exec_lo, exec_lo, s18
.LBB298_290:                            ;   in Loop: Header=BB298_10 Depth=1
	s_or_b32 exec_lo, exec_lo, s17
	v_mov_b32_e32 v118, 0
	v_mov_b32_e32 v119, 0
	s_mov_b32 s17, exec_lo
	v_cmpx_lt_u32_e32 0xffffff, v24
	s_cbranch_execz .LBB298_298
; %bb.291:                              ;   in Loop: Header=BB298_10 Depth=1
	v_lshrrev_b32_e32 v4, 24, v24
	v_bfrev_b32_e32 v119, 1
	s_mov_b32 s18, exec_lo
	v_cmpx_ne_u32_e32 0x80, v4
	s_cbranch_execz .LBB298_297
; %bb.292:                              ;   in Loop: Header=BB298_10 Depth=1
	v_and_b32_e32 v2, 0x7f, v4
	v_mov_b32_e32 v119, 0x7c010000
	s_mov_b32 s19, exec_lo
	v_cmpx_ne_u32_e32 0x7f, v2
	s_cbranch_execz .LBB298_296
; %bb.293:                              ;   in Loop: Header=BB298_10 Depth=1
	v_and_b32_e32 v0, 7, v4
	v_lshrrev_b32_e32 v1, 3, v2
	s_mov_b32 s20, exec_lo
	v_cmpx_gt_u32_e32 8, v2
; %bb.294:                              ;   in Loop: Header=BB298_10 Depth=1
	v_ffbh_u32_e32 v0, v0
	v_min_u32_e32 v2, 32, v0
	v_subrev_nc_u32_e32 v0, 28, v2
	v_lshlrev_b64 v[0:1], v0, v[4:5]
	v_sub_nc_u32_e32 v1, 29, v2
	v_and_b32_e32 v0, 7, v0
; %bb.295:                              ;   in Loop: Header=BB298_10 Depth=1
	s_or_b32 exec_lo, exec_lo, s20
	v_lshlrev_b32_e32 v2, 8, v4
	v_lshl_add_u32 v1, v1, 10, 0x2000
	v_lshlrev_b32_e32 v0, 23, v0
	v_and_or_b32 v1, 0x8000, v2, v1
	v_lshl_or_b32 v119, v1, 16, v0
.LBB298_296:                            ;   in Loop: Header=BB298_10 Depth=1
	s_or_b32 exec_lo, exec_lo, s19
.LBB298_297:                            ;   in Loop: Header=BB298_10 Depth=1
	s_or_b32 exec_lo, exec_lo, s18
.LBB298_298:                            ;   in Loop: Header=BB298_10 Depth=1
	s_or_b32 exec_lo, exec_lo, s17
	v_mov_b32_e32 v4, v25
	v_cmp_ne_u16_sdwa s5, v25, v5 src0_sel:BYTE_0 src1_sel:DWORD
	s_and_saveexec_b32 s17, s5
	s_cbranch_execz .LBB298_306
; %bb.299:                              ;   in Loop: Header=BB298_10 Depth=1
	v_cmp_ne_u16_sdwa s5, v25, v37 src0_sel:BYTE_0 src1_sel:DWORD
	v_mov_b32_e32 v118, 0x8000
	s_and_saveexec_b32 s18, s5
	s_cbranch_execz .LBB298_305
; %bb.300:                              ;   in Loop: Header=BB298_10 Depth=1
	v_and_b32_e32 v2, 0x7f, v25
	v_mov_b32_e32 v118, 0x7c01
	s_mov_b32 s19, exec_lo
	v_cmpx_ne_u32_e32 0x7f, v2
	s_cbranch_execz .LBB298_304
; %bb.301:                              ;   in Loop: Header=BB298_10 Depth=1
	v_and_b32_e32 v0, 7, v25
	v_lshrrev_b32_e32 v1, 3, v2
	s_mov_b32 s20, exec_lo
	v_cmpx_gt_u32_e32 8, v2
; %bb.302:                              ;   in Loop: Header=BB298_10 Depth=1
	v_ffbh_u32_e32 v0, v0
	v_min_u32_e32 v2, 32, v0
	v_subrev_nc_u32_e32 v0, 28, v2
	v_lshlrev_b64 v[0:1], v0, v[4:5]
	v_sub_nc_u32_e32 v1, 29, v2
	v_and_b32_e32 v0, 7, v0
; %bb.303:                              ;   in Loop: Header=BB298_10 Depth=1
	s_or_b32 exec_lo, exec_lo, s20
	v_lshlrev_b32_e32 v2, 8, v25
	v_lshl_add_u32 v1, v1, 10, 0x2000
	v_lshlrev_b32_e32 v0, 7, v0
	v_and_b32_e32 v2, 0x8000, v2
	v_and_b32_e32 v1, 0xfc00, v1
	v_or3_b32 v118, v2, v1, v0
.LBB298_304:                            ;   in Loop: Header=BB298_10 Depth=1
	s_or_b32 exec_lo, exec_lo, s19
.LBB298_305:                            ;   in Loop: Header=BB298_10 Depth=1
	s_or_b32 exec_lo, exec_lo, s18
.LBB298_306:                            ;   in Loop: Header=BB298_10 Depth=1
	s_or_b32 exec_lo, exec_lo, s17
	v_lshrrev_b16 v4, 8, v4
	v_mov_b32_e32 v40, 0
	v_mov_b32_e32 v41, 0
	s_mov_b32 s17, exec_lo
	v_cmpx_ne_u16_e32 0, v4
	s_cbranch_execz .LBB298_314
; %bb.307:                              ;   in Loop: Header=BB298_10 Depth=1
	v_bfrev_b32_e32 v41, 1
	s_mov_b32 s18, exec_lo
	v_cmpx_ne_u16_e32 0x80, v4
	s_cbranch_execz .LBB298_313
; %bb.308:                              ;   in Loop: Header=BB298_10 Depth=1
	v_mov_b32_e32 v0, 0x7f
	v_mov_b32_e32 v41, 0x7c010000
	s_mov_b32 s19, exec_lo
	v_and_b32_sdwa v2, v4, v0 dst_sel:DWORD dst_unused:UNUSED_PAD src0_sel:WORD_0 src1_sel:DWORD
	v_cmpx_ne_u32_e32 0x7f, v2
	s_cbranch_execz .LBB298_312
; %bb.309:                              ;   in Loop: Header=BB298_10 Depth=1
	v_mov_b32_e32 v0, 7
	v_lshrrev_b32_e32 v1, 3, v2
	s_mov_b32 s20, exec_lo
	v_and_b32_sdwa v0, v4, v0 dst_sel:DWORD dst_unused:UNUSED_PAD src0_sel:WORD_0 src1_sel:DWORD
	v_cmpx_gt_u32_e32 8, v2
; %bb.310:                              ;   in Loop: Header=BB298_10 Depth=1
	v_ffbh_u32_e32 v0, v0
	v_min_u32_e32 v2, 32, v0
	v_subrev_nc_u32_e32 v0, 28, v2
	v_lshlrev_b64 v[0:1], v0, v[4:5]
	v_sub_nc_u32_e32 v1, 29, v2
	v_and_b32_e32 v0, 7, v0
; %bb.311:                              ;   in Loop: Header=BB298_10 Depth=1
	s_or_b32 exec_lo, exec_lo, s20
	v_mov_b32_e32 v2, 8
	v_lshl_add_u32 v1, v1, 10, 0x2000
	v_lshlrev_b32_e32 v0, 23, v0
	v_lshlrev_b32_sdwa v2, v2, v4 dst_sel:DWORD dst_unused:UNUSED_PAD src0_sel:DWORD src1_sel:WORD_0
	v_and_or_b32 v1, 0x8000, v2, v1
	v_lshl_or_b32 v41, v1, 16, v0
.LBB298_312:                            ;   in Loop: Header=BB298_10 Depth=1
	s_or_b32 exec_lo, exec_lo, s19
.LBB298_313:                            ;   in Loop: Header=BB298_10 Depth=1
	s_or_b32 exec_lo, exec_lo, s18
.LBB298_314:                            ;   in Loop: Header=BB298_10 Depth=1
	s_or_b32 exec_lo, exec_lo, s17
	v_lshrrev_b32_e32 v4, 16, v25
	v_cmp_ne_u16_sdwa s5, v4, v5 src0_sel:BYTE_0 src1_sel:DWORD
	s_and_saveexec_b32 s17, s5
	s_cbranch_execz .LBB298_322
; %bb.315:                              ;   in Loop: Header=BB298_10 Depth=1
	v_cmp_ne_u16_sdwa s5, v4, v37 src0_sel:BYTE_0 src1_sel:DWORD
	v_mov_b32_e32 v40, 0x8000
	s_and_saveexec_b32 s18, s5
	s_cbranch_execz .LBB298_321
; %bb.316:                              ;   in Loop: Header=BB298_10 Depth=1
	v_bfe_u32 v2, v25, 16, 7
	v_mov_b32_e32 v40, 0x7c01
	s_mov_b32 s19, exec_lo
	v_cmpx_ne_u32_e32 0x7f, v2
	s_cbranch_execz .LBB298_320
; %bb.317:                              ;   in Loop: Header=BB298_10 Depth=1
	v_and_b32_e32 v0, 7, v4
	v_lshrrev_b32_e32 v1, 3, v2
	s_mov_b32 s20, exec_lo
	v_cmpx_gt_u32_e32 8, v2
; %bb.318:                              ;   in Loop: Header=BB298_10 Depth=1
	v_ffbh_u32_e32 v0, v0
	v_min_u32_e32 v2, 32, v0
	v_subrev_nc_u32_e32 v0, 28, v2
	v_lshlrev_b64 v[0:1], v0, v[4:5]
	v_sub_nc_u32_e32 v1, 29, v2
	v_and_b32_e32 v0, 7, v0
; %bb.319:                              ;   in Loop: Header=BB298_10 Depth=1
	s_or_b32 exec_lo, exec_lo, s20
	v_lshlrev_b32_e32 v2, 8, v4
	v_lshl_add_u32 v1, v1, 10, 0x2000
	v_lshlrev_b32_e32 v0, 7, v0
	v_and_b32_e32 v2, 0x8000, v2
	v_and_b32_e32 v1, 0xfc00, v1
	v_or3_b32 v40, v2, v1, v0
.LBB298_320:                            ;   in Loop: Header=BB298_10 Depth=1
	s_or_b32 exec_lo, exec_lo, s19
.LBB298_321:                            ;   in Loop: Header=BB298_10 Depth=1
	s_or_b32 exec_lo, exec_lo, s18
.LBB298_322:                            ;   in Loop: Header=BB298_10 Depth=1
	s_or_b32 exec_lo, exec_lo, s17
	v_mov_b32_e32 v43, 0
	v_mov_b32_e32 v42, 0
	s_mov_b32 s17, exec_lo
	v_cmpx_lt_u64_e64 s[6:7], v[24:25]
	s_cbranch_execz .LBB298_330
; %bb.323:                              ;   in Loop: Header=BB298_10 Depth=1
	v_lshrrev_b32_e32 v4, 24, v25
	v_bfrev_b32_e32 v42, 1
	s_mov_b32 s18, exec_lo
	v_cmpx_ne_u32_e32 0x80, v4
	s_cbranch_execz .LBB298_329
; %bb.324:                              ;   in Loop: Header=BB298_10 Depth=1
	v_and_b32_e32 v2, 0x7f, v4
	v_mov_b32_e32 v42, 0x7c010000
	s_mov_b32 s19, exec_lo
	v_cmpx_ne_u32_e32 0x7f, v2
	s_cbranch_execz .LBB298_328
; %bb.325:                              ;   in Loop: Header=BB298_10 Depth=1
	v_and_b32_e32 v0, 7, v4
	v_lshrrev_b32_e32 v1, 3, v2
	s_mov_b32 s20, exec_lo
	v_cmpx_gt_u32_e32 8, v2
; %bb.326:                              ;   in Loop: Header=BB298_10 Depth=1
	v_ffbh_u32_e32 v0, v0
	v_min_u32_e32 v2, 32, v0
	v_subrev_nc_u32_e32 v0, 28, v2
	v_lshlrev_b64 v[0:1], v0, v[4:5]
	v_sub_nc_u32_e32 v1, 29, v2
	v_and_b32_e32 v0, 7, v0
; %bb.327:                              ;   in Loop: Header=BB298_10 Depth=1
	s_or_b32 exec_lo, exec_lo, s20
	v_lshlrev_b32_e32 v2, 8, v4
	v_lshl_add_u32 v1, v1, 10, 0x2000
	v_lshlrev_b32_e32 v0, 23, v0
	v_and_or_b32 v1, 0x8000, v2, v1
	v_lshl_or_b32 v42, v1, 16, v0
.LBB298_328:                            ;   in Loop: Header=BB298_10 Depth=1
	s_or_b32 exec_lo, exec_lo, s19
.LBB298_329:                            ;   in Loop: Header=BB298_10 Depth=1
	s_or_b32 exec_lo, exec_lo, s18
.LBB298_330:                            ;   in Loop: Header=BB298_10 Depth=1
	s_or_b32 exec_lo, exec_lo, s17
	flat_load_dwordx2 v[24:25], v[16:17] offset:1032
	s_waitcnt vmcnt(0) lgkmcnt(0)
	v_cmp_ne_u16_sdwa s5, v24, v5 src0_sel:BYTE_0 src1_sel:DWORD
	s_and_saveexec_b32 s17, s5
	s_cbranch_execz .LBB298_338
; %bb.331:                              ;   in Loop: Header=BB298_10 Depth=1
	v_cmp_ne_u16_sdwa s5, v24, v37 src0_sel:BYTE_0 src1_sel:DWORD
	v_mov_b32_e32 v43, 0x8000
	s_and_saveexec_b32 s18, s5
	s_cbranch_execz .LBB298_337
; %bb.332:                              ;   in Loop: Header=BB298_10 Depth=1
	v_and_b32_e32 v2, 0x7f, v24
	v_mov_b32_e32 v43, 0x7c01
	s_mov_b32 s19, exec_lo
	v_cmpx_ne_u32_e32 0x7f, v2
	s_cbranch_execz .LBB298_336
; %bb.333:                              ;   in Loop: Header=BB298_10 Depth=1
	v_and_b32_e32 v0, 7, v24
	v_lshrrev_b32_e32 v1, 3, v2
	s_mov_b32 s20, exec_lo
	v_cmpx_gt_u32_e32 8, v2
; %bb.334:                              ;   in Loop: Header=BB298_10 Depth=1
	v_ffbh_u32_e32 v0, v0
	v_min_u32_e32 v2, 32, v0
	v_subrev_nc_u32_e32 v0, 28, v2
	v_lshlrev_b64 v[0:1], v0, v[24:25]
	v_sub_nc_u32_e32 v1, 29, v2
	v_and_b32_e32 v0, 7, v0
; %bb.335:                              ;   in Loop: Header=BB298_10 Depth=1
	s_or_b32 exec_lo, exec_lo, s20
	v_lshlrev_b32_e32 v2, 8, v24
	v_lshl_add_u32 v1, v1, 10, 0x2000
	v_lshlrev_b32_e32 v0, 7, v0
	v_and_b32_e32 v2, 0x8000, v2
	v_and_b32_e32 v1, 0xfc00, v1
	v_or3_b32 v43, v2, v1, v0
.LBB298_336:                            ;   in Loop: Header=BB298_10 Depth=1
	s_or_b32 exec_lo, exec_lo, s19
.LBB298_337:                            ;   in Loop: Header=BB298_10 Depth=1
	s_or_b32 exec_lo, exec_lo, s18
.LBB298_338:                            ;   in Loop: Header=BB298_10 Depth=1
	s_or_b32 exec_lo, exec_lo, s17
	v_lshrrev_b16 v4, 8, v24
	v_mov_b32_e32 v45, 0
	v_mov_b32_e32 v44, 0
	s_mov_b32 s17, exec_lo
	v_cmpx_ne_u16_e32 0, v4
	s_cbranch_execz .LBB298_346
; %bb.339:                              ;   in Loop: Header=BB298_10 Depth=1
	v_bfrev_b32_e32 v44, 1
	s_mov_b32 s18, exec_lo
	v_cmpx_ne_u16_e32 0x80, v4
	s_cbranch_execz .LBB298_345
; %bb.340:                              ;   in Loop: Header=BB298_10 Depth=1
	v_mov_b32_e32 v0, 0x7f
	v_mov_b32_e32 v44, 0x7c010000
	s_mov_b32 s19, exec_lo
	v_and_b32_sdwa v2, v4, v0 dst_sel:DWORD dst_unused:UNUSED_PAD src0_sel:WORD_0 src1_sel:DWORD
	v_cmpx_ne_u32_e32 0x7f, v2
	s_cbranch_execz .LBB298_344
; %bb.341:                              ;   in Loop: Header=BB298_10 Depth=1
	v_mov_b32_e32 v0, 7
	v_lshrrev_b32_e32 v1, 3, v2
	s_mov_b32 s20, exec_lo
	v_and_b32_sdwa v0, v4, v0 dst_sel:DWORD dst_unused:UNUSED_PAD src0_sel:WORD_0 src1_sel:DWORD
	v_cmpx_gt_u32_e32 8, v2
; %bb.342:                              ;   in Loop: Header=BB298_10 Depth=1
	v_ffbh_u32_e32 v0, v0
	v_min_u32_e32 v2, 32, v0
	v_subrev_nc_u32_e32 v0, 28, v2
	v_lshlrev_b64 v[0:1], v0, v[4:5]
	v_sub_nc_u32_e32 v1, 29, v2
	v_and_b32_e32 v0, 7, v0
; %bb.343:                              ;   in Loop: Header=BB298_10 Depth=1
	s_or_b32 exec_lo, exec_lo, s20
	v_mov_b32_e32 v2, 8
	v_lshl_add_u32 v1, v1, 10, 0x2000
	v_lshlrev_b32_e32 v0, 23, v0
	v_lshlrev_b32_sdwa v2, v2, v4 dst_sel:DWORD dst_unused:UNUSED_PAD src0_sel:DWORD src1_sel:WORD_0
	v_and_or_b32 v1, 0x8000, v2, v1
	v_lshl_or_b32 v44, v1, 16, v0
.LBB298_344:                            ;   in Loop: Header=BB298_10 Depth=1
	s_or_b32 exec_lo, exec_lo, s19
.LBB298_345:                            ;   in Loop: Header=BB298_10 Depth=1
	s_or_b32 exec_lo, exec_lo, s18
.LBB298_346:                            ;   in Loop: Header=BB298_10 Depth=1
	s_or_b32 exec_lo, exec_lo, s17
	v_lshrrev_b32_e32 v4, 16, v24
	v_cmp_ne_u16_sdwa s5, v4, v5 src0_sel:BYTE_0 src1_sel:DWORD
	s_and_saveexec_b32 s17, s5
	s_cbranch_execz .LBB298_354
; %bb.347:                              ;   in Loop: Header=BB298_10 Depth=1
	v_cmp_ne_u16_sdwa s5, v4, v37 src0_sel:BYTE_0 src1_sel:DWORD
	v_mov_b32_e32 v45, 0x8000
	s_and_saveexec_b32 s18, s5
	s_cbranch_execz .LBB298_353
; %bb.348:                              ;   in Loop: Header=BB298_10 Depth=1
	v_bfe_u32 v2, v24, 16, 7
	v_mov_b32_e32 v45, 0x7c01
	s_mov_b32 s19, exec_lo
	v_cmpx_ne_u32_e32 0x7f, v2
	s_cbranch_execz .LBB298_352
; %bb.349:                              ;   in Loop: Header=BB298_10 Depth=1
	v_and_b32_e32 v0, 7, v4
	v_lshrrev_b32_e32 v1, 3, v2
	s_mov_b32 s20, exec_lo
	v_cmpx_gt_u32_e32 8, v2
; %bb.350:                              ;   in Loop: Header=BB298_10 Depth=1
	v_ffbh_u32_e32 v0, v0
	v_min_u32_e32 v2, 32, v0
	v_subrev_nc_u32_e32 v0, 28, v2
	v_lshlrev_b64 v[0:1], v0, v[4:5]
	v_sub_nc_u32_e32 v1, 29, v2
	v_and_b32_e32 v0, 7, v0
; %bb.351:                              ;   in Loop: Header=BB298_10 Depth=1
	s_or_b32 exec_lo, exec_lo, s20
	v_lshlrev_b32_e32 v2, 8, v4
	v_lshl_add_u32 v1, v1, 10, 0x2000
	v_lshlrev_b32_e32 v0, 7, v0
	v_and_b32_e32 v2, 0x8000, v2
	v_and_b32_e32 v1, 0xfc00, v1
	v_or3_b32 v45, v2, v1, v0
.LBB298_352:                            ;   in Loop: Header=BB298_10 Depth=1
	s_or_b32 exec_lo, exec_lo, s19
.LBB298_353:                            ;   in Loop: Header=BB298_10 Depth=1
	s_or_b32 exec_lo, exec_lo, s18
.LBB298_354:                            ;   in Loop: Header=BB298_10 Depth=1
	s_or_b32 exec_lo, exec_lo, s17
	v_mov_b32_e32 v46, 0
	v_mov_b32_e32 v47, 0
	s_mov_b32 s17, exec_lo
	v_cmpx_lt_u32_e32 0xffffff, v24
	s_cbranch_execz .LBB298_362
; %bb.355:                              ;   in Loop: Header=BB298_10 Depth=1
	v_lshrrev_b32_e32 v4, 24, v24
	v_bfrev_b32_e32 v47, 1
	s_mov_b32 s18, exec_lo
	v_cmpx_ne_u32_e32 0x80, v4
	s_cbranch_execz .LBB298_361
; %bb.356:                              ;   in Loop: Header=BB298_10 Depth=1
	v_and_b32_e32 v2, 0x7f, v4
	v_mov_b32_e32 v47, 0x7c010000
	s_mov_b32 s19, exec_lo
	v_cmpx_ne_u32_e32 0x7f, v2
	s_cbranch_execz .LBB298_360
; %bb.357:                              ;   in Loop: Header=BB298_10 Depth=1
	v_and_b32_e32 v0, 7, v4
	v_lshrrev_b32_e32 v1, 3, v2
	s_mov_b32 s20, exec_lo
	v_cmpx_gt_u32_e32 8, v2
; %bb.358:                              ;   in Loop: Header=BB298_10 Depth=1
	v_ffbh_u32_e32 v0, v0
	v_min_u32_e32 v2, 32, v0
	v_subrev_nc_u32_e32 v0, 28, v2
	v_lshlrev_b64 v[0:1], v0, v[4:5]
	v_sub_nc_u32_e32 v1, 29, v2
	v_and_b32_e32 v0, 7, v0
; %bb.359:                              ;   in Loop: Header=BB298_10 Depth=1
	s_or_b32 exec_lo, exec_lo, s20
	v_lshlrev_b32_e32 v2, 8, v4
	v_lshl_add_u32 v1, v1, 10, 0x2000
	v_lshlrev_b32_e32 v0, 23, v0
	v_and_or_b32 v1, 0x8000, v2, v1
	v_lshl_or_b32 v47, v1, 16, v0
.LBB298_360:                            ;   in Loop: Header=BB298_10 Depth=1
	s_or_b32 exec_lo, exec_lo, s19
.LBB298_361:                            ;   in Loop: Header=BB298_10 Depth=1
	s_or_b32 exec_lo, exec_lo, s18
.LBB298_362:                            ;   in Loop: Header=BB298_10 Depth=1
	s_or_b32 exec_lo, exec_lo, s17
	v_mov_b32_e32 v4, v25
	v_cmp_ne_u16_sdwa s5, v25, v5 src0_sel:BYTE_0 src1_sel:DWORD
	s_and_saveexec_b32 s17, s5
	s_cbranch_execz .LBB298_370
; %bb.363:                              ;   in Loop: Header=BB298_10 Depth=1
	v_cmp_ne_u16_sdwa s5, v25, v37 src0_sel:BYTE_0 src1_sel:DWORD
	v_mov_b32_e32 v46, 0x8000
	s_and_saveexec_b32 s18, s5
	s_cbranch_execz .LBB298_369
; %bb.364:                              ;   in Loop: Header=BB298_10 Depth=1
	v_and_b32_e32 v2, 0x7f, v25
	v_mov_b32_e32 v46, 0x7c01
	s_mov_b32 s19, exec_lo
	v_cmpx_ne_u32_e32 0x7f, v2
	s_cbranch_execz .LBB298_368
; %bb.365:                              ;   in Loop: Header=BB298_10 Depth=1
	v_and_b32_e32 v0, 7, v25
	v_lshrrev_b32_e32 v1, 3, v2
	s_mov_b32 s20, exec_lo
	v_cmpx_gt_u32_e32 8, v2
; %bb.366:                              ;   in Loop: Header=BB298_10 Depth=1
	v_ffbh_u32_e32 v0, v0
	v_min_u32_e32 v2, 32, v0
	v_subrev_nc_u32_e32 v0, 28, v2
	v_lshlrev_b64 v[0:1], v0, v[4:5]
	v_sub_nc_u32_e32 v1, 29, v2
	v_and_b32_e32 v0, 7, v0
; %bb.367:                              ;   in Loop: Header=BB298_10 Depth=1
	s_or_b32 exec_lo, exec_lo, s20
	v_lshlrev_b32_e32 v2, 8, v25
	v_lshl_add_u32 v1, v1, 10, 0x2000
	v_lshlrev_b32_e32 v0, 7, v0
	v_and_b32_e32 v2, 0x8000, v2
	v_and_b32_e32 v1, 0xfc00, v1
	v_or3_b32 v46, v2, v1, v0
.LBB298_368:                            ;   in Loop: Header=BB298_10 Depth=1
	s_or_b32 exec_lo, exec_lo, s19
.LBB298_369:                            ;   in Loop: Header=BB298_10 Depth=1
	s_or_b32 exec_lo, exec_lo, s18
.LBB298_370:                            ;   in Loop: Header=BB298_10 Depth=1
	s_or_b32 exec_lo, exec_lo, s17
	v_lshrrev_b16 v4, 8, v4
	v_mov_b32_e32 v56, 0
	v_mov_b32_e32 v57, 0
	s_mov_b32 s17, exec_lo
	v_cmpx_ne_u16_e32 0, v4
	s_cbranch_execz .LBB298_378
; %bb.371:                              ;   in Loop: Header=BB298_10 Depth=1
	v_bfrev_b32_e32 v57, 1
	s_mov_b32 s18, exec_lo
	v_cmpx_ne_u16_e32 0x80, v4
	s_cbranch_execz .LBB298_377
; %bb.372:                              ;   in Loop: Header=BB298_10 Depth=1
	v_mov_b32_e32 v0, 0x7f
	v_mov_b32_e32 v57, 0x7c010000
	s_mov_b32 s19, exec_lo
	v_and_b32_sdwa v2, v4, v0 dst_sel:DWORD dst_unused:UNUSED_PAD src0_sel:WORD_0 src1_sel:DWORD
	v_cmpx_ne_u32_e32 0x7f, v2
	s_cbranch_execz .LBB298_376
; %bb.373:                              ;   in Loop: Header=BB298_10 Depth=1
	v_mov_b32_e32 v0, 7
	v_lshrrev_b32_e32 v1, 3, v2
	s_mov_b32 s20, exec_lo
	v_and_b32_sdwa v0, v4, v0 dst_sel:DWORD dst_unused:UNUSED_PAD src0_sel:WORD_0 src1_sel:DWORD
	v_cmpx_gt_u32_e32 8, v2
; %bb.374:                              ;   in Loop: Header=BB298_10 Depth=1
	v_ffbh_u32_e32 v0, v0
	v_min_u32_e32 v2, 32, v0
	v_subrev_nc_u32_e32 v0, 28, v2
	v_lshlrev_b64 v[0:1], v0, v[4:5]
	v_sub_nc_u32_e32 v1, 29, v2
	v_and_b32_e32 v0, 7, v0
; %bb.375:                              ;   in Loop: Header=BB298_10 Depth=1
	s_or_b32 exec_lo, exec_lo, s20
	v_mov_b32_e32 v2, 8
	v_lshl_add_u32 v1, v1, 10, 0x2000
	v_lshlrev_b32_e32 v0, 23, v0
	v_lshlrev_b32_sdwa v2, v2, v4 dst_sel:DWORD dst_unused:UNUSED_PAD src0_sel:DWORD src1_sel:WORD_0
	v_and_or_b32 v1, 0x8000, v2, v1
	v_lshl_or_b32 v57, v1, 16, v0
.LBB298_376:                            ;   in Loop: Header=BB298_10 Depth=1
	s_or_b32 exec_lo, exec_lo, s19
.LBB298_377:                            ;   in Loop: Header=BB298_10 Depth=1
	s_or_b32 exec_lo, exec_lo, s18
.LBB298_378:                            ;   in Loop: Header=BB298_10 Depth=1
	s_or_b32 exec_lo, exec_lo, s17
	v_lshrrev_b32_e32 v4, 16, v25
	v_cmp_ne_u16_sdwa s5, v4, v5 src0_sel:BYTE_0 src1_sel:DWORD
	s_and_saveexec_b32 s17, s5
	s_cbranch_execz .LBB298_386
; %bb.379:                              ;   in Loop: Header=BB298_10 Depth=1
	v_cmp_ne_u16_sdwa s5, v4, v37 src0_sel:BYTE_0 src1_sel:DWORD
	v_mov_b32_e32 v56, 0x8000
	s_and_saveexec_b32 s18, s5
	s_cbranch_execz .LBB298_385
; %bb.380:                              ;   in Loop: Header=BB298_10 Depth=1
	v_bfe_u32 v2, v25, 16, 7
	v_mov_b32_e32 v56, 0x7c01
	s_mov_b32 s19, exec_lo
	v_cmpx_ne_u32_e32 0x7f, v2
	s_cbranch_execz .LBB298_384
; %bb.381:                              ;   in Loop: Header=BB298_10 Depth=1
	v_and_b32_e32 v0, 7, v4
	v_lshrrev_b32_e32 v1, 3, v2
	s_mov_b32 s20, exec_lo
	v_cmpx_gt_u32_e32 8, v2
; %bb.382:                              ;   in Loop: Header=BB298_10 Depth=1
	v_ffbh_u32_e32 v0, v0
	v_min_u32_e32 v2, 32, v0
	v_subrev_nc_u32_e32 v0, 28, v2
	v_lshlrev_b64 v[0:1], v0, v[4:5]
	v_sub_nc_u32_e32 v1, 29, v2
	v_and_b32_e32 v0, 7, v0
; %bb.383:                              ;   in Loop: Header=BB298_10 Depth=1
	s_or_b32 exec_lo, exec_lo, s20
	v_lshlrev_b32_e32 v2, 8, v4
	v_lshl_add_u32 v1, v1, 10, 0x2000
	v_lshlrev_b32_e32 v0, 7, v0
	v_and_b32_e32 v2, 0x8000, v2
	v_and_b32_e32 v1, 0xfc00, v1
	v_or3_b32 v56, v2, v1, v0
.LBB298_384:                            ;   in Loop: Header=BB298_10 Depth=1
	s_or_b32 exec_lo, exec_lo, s19
.LBB298_385:                            ;   in Loop: Header=BB298_10 Depth=1
	s_or_b32 exec_lo, exec_lo, s18
.LBB298_386:                            ;   in Loop: Header=BB298_10 Depth=1
	s_or_b32 exec_lo, exec_lo, s17
	v_mov_b32_e32 v14, 0
	v_mov_b32_e32 v58, 0
	s_mov_b32 s17, exec_lo
	v_cmpx_lt_u64_e64 s[6:7], v[24:25]
	s_cbranch_execz .LBB298_394
; %bb.387:                              ;   in Loop: Header=BB298_10 Depth=1
	v_lshrrev_b32_e32 v4, 24, v25
	v_bfrev_b32_e32 v58, 1
	s_mov_b32 s18, exec_lo
	v_cmpx_ne_u32_e32 0x80, v4
	s_cbranch_execz .LBB298_393
; %bb.388:                              ;   in Loop: Header=BB298_10 Depth=1
	v_and_b32_e32 v2, 0x7f, v4
	v_mov_b32_e32 v58, 0x7c010000
	s_mov_b32 s19, exec_lo
	v_cmpx_ne_u32_e32 0x7f, v2
	s_cbranch_execz .LBB298_392
; %bb.389:                              ;   in Loop: Header=BB298_10 Depth=1
	v_and_b32_e32 v0, 7, v4
	v_lshrrev_b32_e32 v1, 3, v2
	s_mov_b32 s20, exec_lo
	v_cmpx_gt_u32_e32 8, v2
; %bb.390:                              ;   in Loop: Header=BB298_10 Depth=1
	v_ffbh_u32_e32 v0, v0
	v_min_u32_e32 v2, 32, v0
	v_subrev_nc_u32_e32 v0, 28, v2
	v_lshlrev_b64 v[0:1], v0, v[4:5]
	v_sub_nc_u32_e32 v1, 29, v2
	v_and_b32_e32 v0, 7, v0
; %bb.391:                              ;   in Loop: Header=BB298_10 Depth=1
	s_or_b32 exec_lo, exec_lo, s20
	v_lshlrev_b32_e32 v2, 8, v4
	v_lshl_add_u32 v1, v1, 10, 0x2000
	v_lshlrev_b32_e32 v0, 23, v0
	v_and_or_b32 v1, 0x8000, v2, v1
	v_lshl_or_b32 v58, v1, 16, v0
.LBB298_392:                            ;   in Loop: Header=BB298_10 Depth=1
	s_or_b32 exec_lo, exec_lo, s19
.LBB298_393:                            ;   in Loop: Header=BB298_10 Depth=1
	s_or_b32 exec_lo, exec_lo, s18
.LBB298_394:                            ;   in Loop: Header=BB298_10 Depth=1
	s_or_b32 exec_lo, exec_lo, s17
	flat_load_dwordx2 v[24:25], v[16:17] offset:1536
	s_waitcnt vmcnt(0) lgkmcnt(0)
	v_cmp_ne_u16_sdwa s5, v24, v5 src0_sel:BYTE_0 src1_sel:DWORD
	s_and_saveexec_b32 s17, s5
	s_cbranch_execz .LBB298_402
; %bb.395:                              ;   in Loop: Header=BB298_10 Depth=1
	v_cmp_ne_u16_sdwa s5, v24, v37 src0_sel:BYTE_0 src1_sel:DWORD
	v_mov_b32_e32 v14, 0x8000
	s_and_saveexec_b32 s18, s5
	s_cbranch_execz .LBB298_401
; %bb.396:                              ;   in Loop: Header=BB298_10 Depth=1
	v_and_b32_e32 v2, 0x7f, v24
	v_mov_b32_e32 v14, 0x7c01
	s_mov_b32 s19, exec_lo
	v_cmpx_ne_u32_e32 0x7f, v2
	s_cbranch_execz .LBB298_400
; %bb.397:                              ;   in Loop: Header=BB298_10 Depth=1
	v_and_b32_e32 v0, 7, v24
	v_lshrrev_b32_e32 v1, 3, v2
	s_mov_b32 s20, exec_lo
	v_cmpx_gt_u32_e32 8, v2
; %bb.398:                              ;   in Loop: Header=BB298_10 Depth=1
	v_ffbh_u32_e32 v0, v0
	v_min_u32_e32 v2, 32, v0
	v_subrev_nc_u32_e32 v0, 28, v2
	v_lshlrev_b64 v[0:1], v0, v[24:25]
	v_sub_nc_u32_e32 v1, 29, v2
	v_and_b32_e32 v0, 7, v0
; %bb.399:                              ;   in Loop: Header=BB298_10 Depth=1
	s_or_b32 exec_lo, exec_lo, s20
	v_lshlrev_b32_e32 v2, 8, v24
	v_lshl_add_u32 v1, v1, 10, 0x2000
	v_lshlrev_b32_e32 v0, 7, v0
	v_and_b32_e32 v2, 0x8000, v2
	v_and_b32_e32 v1, 0xfc00, v1
	v_or3_b32 v14, v2, v1, v0
.LBB298_400:                            ;   in Loop: Header=BB298_10 Depth=1
	s_or_b32 exec_lo, exec_lo, s19
.LBB298_401:                            ;   in Loop: Header=BB298_10 Depth=1
	s_or_b32 exec_lo, exec_lo, s18
.LBB298_402:                            ;   in Loop: Header=BB298_10 Depth=1
	s_or_b32 exec_lo, exec_lo, s17
	v_lshrrev_b16 v4, 8, v24
	v_mov_b32_e32 v35, 0
	v_mov_b32_e32 v15, 0
	s_mov_b32 s17, exec_lo
	v_cmpx_ne_u16_e32 0, v4
	s_cbranch_execz .LBB298_410
; %bb.403:                              ;   in Loop: Header=BB298_10 Depth=1
	v_bfrev_b32_e32 v15, 1
	s_mov_b32 s18, exec_lo
	v_cmpx_ne_u16_e32 0x80, v4
	s_cbranch_execz .LBB298_409
; %bb.404:                              ;   in Loop: Header=BB298_10 Depth=1
	v_mov_b32_e32 v0, 0x7f
	v_mov_b32_e32 v15, 0x7c010000
	s_mov_b32 s19, exec_lo
	v_and_b32_sdwa v2, v4, v0 dst_sel:DWORD dst_unused:UNUSED_PAD src0_sel:WORD_0 src1_sel:DWORD
	v_cmpx_ne_u32_e32 0x7f, v2
	s_cbranch_execz .LBB298_408
; %bb.405:                              ;   in Loop: Header=BB298_10 Depth=1
	v_mov_b32_e32 v0, 7
	v_lshrrev_b32_e32 v1, 3, v2
	s_mov_b32 s20, exec_lo
	v_and_b32_sdwa v0, v4, v0 dst_sel:DWORD dst_unused:UNUSED_PAD src0_sel:WORD_0 src1_sel:DWORD
	v_cmpx_gt_u32_e32 8, v2
; %bb.406:                              ;   in Loop: Header=BB298_10 Depth=1
	v_ffbh_u32_e32 v0, v0
	v_min_u32_e32 v2, 32, v0
	v_subrev_nc_u32_e32 v0, 28, v2
	v_lshlrev_b64 v[0:1], v0, v[4:5]
	v_sub_nc_u32_e32 v1, 29, v2
	v_and_b32_e32 v0, 7, v0
; %bb.407:                              ;   in Loop: Header=BB298_10 Depth=1
	s_or_b32 exec_lo, exec_lo, s20
	v_mov_b32_e32 v2, 8
	v_lshl_add_u32 v1, v1, 10, 0x2000
	v_lshlrev_b32_e32 v0, 23, v0
	v_lshlrev_b32_sdwa v2, v2, v4 dst_sel:DWORD dst_unused:UNUSED_PAD src0_sel:DWORD src1_sel:WORD_0
	v_and_or_b32 v1, 0x8000, v2, v1
	v_lshl_or_b32 v15, v1, 16, v0
.LBB298_408:                            ;   in Loop: Header=BB298_10 Depth=1
	s_or_b32 exec_lo, exec_lo, s19
.LBB298_409:                            ;   in Loop: Header=BB298_10 Depth=1
	s_or_b32 exec_lo, exec_lo, s18
.LBB298_410:                            ;   in Loop: Header=BB298_10 Depth=1
	s_or_b32 exec_lo, exec_lo, s17
	v_lshrrev_b32_e32 v4, 16, v24
	v_cmp_ne_u16_sdwa s5, v4, v5 src0_sel:BYTE_0 src1_sel:DWORD
	s_and_saveexec_b32 s17, s5
	s_cbranch_execz .LBB298_418
; %bb.411:                              ;   in Loop: Header=BB298_10 Depth=1
	v_cmp_ne_u16_sdwa s5, v4, v37 src0_sel:BYTE_0 src1_sel:DWORD
	v_mov_b32_e32 v35, 0x8000
	s_and_saveexec_b32 s18, s5
	s_cbranch_execz .LBB298_417
; %bb.412:                              ;   in Loop: Header=BB298_10 Depth=1
	v_bfe_u32 v2, v24, 16, 7
	v_mov_b32_e32 v35, 0x7c01
	s_mov_b32 s19, exec_lo
	v_cmpx_ne_u32_e32 0x7f, v2
	s_cbranch_execz .LBB298_416
; %bb.413:                              ;   in Loop: Header=BB298_10 Depth=1
	v_and_b32_e32 v0, 7, v4
	v_lshrrev_b32_e32 v1, 3, v2
	s_mov_b32 s20, exec_lo
	v_cmpx_gt_u32_e32 8, v2
; %bb.414:                              ;   in Loop: Header=BB298_10 Depth=1
	v_ffbh_u32_e32 v0, v0
	v_min_u32_e32 v2, 32, v0
	v_subrev_nc_u32_e32 v0, 28, v2
	v_lshlrev_b64 v[0:1], v0, v[4:5]
	v_sub_nc_u32_e32 v1, 29, v2
	v_and_b32_e32 v0, 7, v0
; %bb.415:                              ;   in Loop: Header=BB298_10 Depth=1
	s_or_b32 exec_lo, exec_lo, s20
	v_lshlrev_b32_e32 v2, 8, v4
	v_lshl_add_u32 v1, v1, 10, 0x2000
	v_lshlrev_b32_e32 v0, 7, v0
	v_and_b32_e32 v2, 0x8000, v2
	v_and_b32_e32 v1, 0xfc00, v1
	v_or3_b32 v35, v2, v1, v0
.LBB298_416:                            ;   in Loop: Header=BB298_10 Depth=1
	s_or_b32 exec_lo, exec_lo, s19
.LBB298_417:                            ;   in Loop: Header=BB298_10 Depth=1
	s_or_b32 exec_lo, exec_lo, s18
.LBB298_418:                            ;   in Loop: Header=BB298_10 Depth=1
	s_or_b32 exec_lo, exec_lo, s17
	v_mov_b32_e32 v98, 0
	v_mov_b32_e32 v59, 0
	s_mov_b32 s17, exec_lo
	v_cmpx_lt_u32_e32 0xffffff, v24
	s_cbranch_execz .LBB298_426
; %bb.419:                              ;   in Loop: Header=BB298_10 Depth=1
	v_lshrrev_b32_e32 v4, 24, v24
	v_bfrev_b32_e32 v59, 1
	s_mov_b32 s18, exec_lo
	v_cmpx_ne_u32_e32 0x80, v4
	s_cbranch_execz .LBB298_425
; %bb.420:                              ;   in Loop: Header=BB298_10 Depth=1
	v_and_b32_e32 v2, 0x7f, v4
	v_mov_b32_e32 v59, 0x7c010000
	s_mov_b32 s19, exec_lo
	v_cmpx_ne_u32_e32 0x7f, v2
	s_cbranch_execz .LBB298_424
; %bb.421:                              ;   in Loop: Header=BB298_10 Depth=1
	v_and_b32_e32 v0, 7, v4
	v_lshrrev_b32_e32 v1, 3, v2
	s_mov_b32 s20, exec_lo
	v_cmpx_gt_u32_e32 8, v2
; %bb.422:                              ;   in Loop: Header=BB298_10 Depth=1
	v_ffbh_u32_e32 v0, v0
	v_min_u32_e32 v2, 32, v0
	v_subrev_nc_u32_e32 v0, 28, v2
	v_lshlrev_b64 v[0:1], v0, v[4:5]
	v_sub_nc_u32_e32 v1, 29, v2
	v_and_b32_e32 v0, 7, v0
; %bb.423:                              ;   in Loop: Header=BB298_10 Depth=1
	s_or_b32 exec_lo, exec_lo, s20
	v_lshlrev_b32_e32 v2, 8, v4
	v_lshl_add_u32 v1, v1, 10, 0x2000
	v_lshlrev_b32_e32 v0, 23, v0
	v_and_or_b32 v1, 0x8000, v2, v1
	v_lshl_or_b32 v59, v1, 16, v0
.LBB298_424:                            ;   in Loop: Header=BB298_10 Depth=1
	s_or_b32 exec_lo, exec_lo, s19
.LBB298_425:                            ;   in Loop: Header=BB298_10 Depth=1
	s_or_b32 exec_lo, exec_lo, s18
.LBB298_426:                            ;   in Loop: Header=BB298_10 Depth=1
	s_or_b32 exec_lo, exec_lo, s17
	v_mov_b32_e32 v4, v25
	v_cmp_ne_u16_sdwa s5, v25, v5 src0_sel:BYTE_0 src1_sel:DWORD
	s_and_saveexec_b32 s17, s5
	s_cbranch_execz .LBB298_434
; %bb.427:                              ;   in Loop: Header=BB298_10 Depth=1
	v_cmp_ne_u16_sdwa s5, v25, v37 src0_sel:BYTE_0 src1_sel:DWORD
	v_mov_b32_e32 v98, 0x8000
	s_and_saveexec_b32 s18, s5
	s_cbranch_execz .LBB298_433
; %bb.428:                              ;   in Loop: Header=BB298_10 Depth=1
	v_and_b32_e32 v2, 0x7f, v25
	v_mov_b32_e32 v98, 0x7c01
	s_mov_b32 s19, exec_lo
	v_cmpx_ne_u32_e32 0x7f, v2
	s_cbranch_execz .LBB298_432
; %bb.429:                              ;   in Loop: Header=BB298_10 Depth=1
	v_and_b32_e32 v0, 7, v25
	v_lshrrev_b32_e32 v1, 3, v2
	s_mov_b32 s20, exec_lo
	v_cmpx_gt_u32_e32 8, v2
; %bb.430:                              ;   in Loop: Header=BB298_10 Depth=1
	v_ffbh_u32_e32 v0, v0
	v_min_u32_e32 v2, 32, v0
	v_subrev_nc_u32_e32 v0, 28, v2
	v_lshlrev_b64 v[0:1], v0, v[4:5]
	v_sub_nc_u32_e32 v1, 29, v2
	v_and_b32_e32 v0, 7, v0
; %bb.431:                              ;   in Loop: Header=BB298_10 Depth=1
	s_or_b32 exec_lo, exec_lo, s20
	v_lshlrev_b32_e32 v2, 8, v25
	v_lshl_add_u32 v1, v1, 10, 0x2000
	v_lshlrev_b32_e32 v0, 7, v0
	v_and_b32_e32 v2, 0x8000, v2
	v_and_b32_e32 v1, 0xfc00, v1
	v_or3_b32 v98, v2, v1, v0
.LBB298_432:                            ;   in Loop: Header=BB298_10 Depth=1
	s_or_b32 exec_lo, exec_lo, s19
.LBB298_433:                            ;   in Loop: Header=BB298_10 Depth=1
	s_or_b32 exec_lo, exec_lo, s18
.LBB298_434:                            ;   in Loop: Header=BB298_10 Depth=1
	s_or_b32 exec_lo, exec_lo, s17
	v_lshrrev_b16 v4, 8, v4
	v_mov_b32_e32 v74, 0
	v_mov_b32_e32 v75, 0
	s_mov_b32 s17, exec_lo
	v_cmpx_ne_u16_e32 0, v4
	s_cbranch_execz .LBB298_442
; %bb.435:                              ;   in Loop: Header=BB298_10 Depth=1
	v_bfrev_b32_e32 v75, 1
	s_mov_b32 s18, exec_lo
	v_cmpx_ne_u16_e32 0x80, v4
	s_cbranch_execz .LBB298_441
; %bb.436:                              ;   in Loop: Header=BB298_10 Depth=1
	v_mov_b32_e32 v0, 0x7f
	v_mov_b32_e32 v75, 0x7c010000
	s_mov_b32 s19, exec_lo
	v_and_b32_sdwa v2, v4, v0 dst_sel:DWORD dst_unused:UNUSED_PAD src0_sel:WORD_0 src1_sel:DWORD
	v_cmpx_ne_u32_e32 0x7f, v2
	s_cbranch_execz .LBB298_440
; %bb.437:                              ;   in Loop: Header=BB298_10 Depth=1
	v_mov_b32_e32 v0, 7
	v_lshrrev_b32_e32 v1, 3, v2
	s_mov_b32 s20, exec_lo
	v_and_b32_sdwa v0, v4, v0 dst_sel:DWORD dst_unused:UNUSED_PAD src0_sel:WORD_0 src1_sel:DWORD
	v_cmpx_gt_u32_e32 8, v2
; %bb.438:                              ;   in Loop: Header=BB298_10 Depth=1
	v_ffbh_u32_e32 v0, v0
	v_min_u32_e32 v2, 32, v0
	v_subrev_nc_u32_e32 v0, 28, v2
	v_lshlrev_b64 v[0:1], v0, v[4:5]
	v_sub_nc_u32_e32 v1, 29, v2
	v_and_b32_e32 v0, 7, v0
; %bb.439:                              ;   in Loop: Header=BB298_10 Depth=1
	s_or_b32 exec_lo, exec_lo, s20
	v_mov_b32_e32 v2, 8
	v_lshl_add_u32 v1, v1, 10, 0x2000
	v_lshlrev_b32_e32 v0, 23, v0
	v_lshlrev_b32_sdwa v2, v2, v4 dst_sel:DWORD dst_unused:UNUSED_PAD src0_sel:DWORD src1_sel:WORD_0
	v_and_or_b32 v1, 0x8000, v2, v1
	v_lshl_or_b32 v75, v1, 16, v0
.LBB298_440:                            ;   in Loop: Header=BB298_10 Depth=1
	s_or_b32 exec_lo, exec_lo, s19
.LBB298_441:                            ;   in Loop: Header=BB298_10 Depth=1
	s_or_b32 exec_lo, exec_lo, s18
.LBB298_442:                            ;   in Loop: Header=BB298_10 Depth=1
	s_or_b32 exec_lo, exec_lo, s17
	v_lshrrev_b32_e32 v4, 16, v25
	v_cmp_ne_u16_sdwa s5, v4, v5 src0_sel:BYTE_0 src1_sel:DWORD
	s_and_saveexec_b32 s17, s5
	s_cbranch_execz .LBB298_450
; %bb.443:                              ;   in Loop: Header=BB298_10 Depth=1
	v_cmp_ne_u16_sdwa s5, v4, v37 src0_sel:BYTE_0 src1_sel:DWORD
	v_mov_b32_e32 v74, 0x8000
	s_and_saveexec_b32 s18, s5
	s_cbranch_execz .LBB298_449
; %bb.444:                              ;   in Loop: Header=BB298_10 Depth=1
	v_bfe_u32 v2, v25, 16, 7
	v_mov_b32_e32 v74, 0x7c01
	s_mov_b32 s19, exec_lo
	v_cmpx_ne_u32_e32 0x7f, v2
	s_cbranch_execz .LBB298_448
; %bb.445:                              ;   in Loop: Header=BB298_10 Depth=1
	v_and_b32_e32 v0, 7, v4
	v_lshrrev_b32_e32 v1, 3, v2
	s_mov_b32 s20, exec_lo
	v_cmpx_gt_u32_e32 8, v2
; %bb.446:                              ;   in Loop: Header=BB298_10 Depth=1
	v_ffbh_u32_e32 v0, v0
	v_min_u32_e32 v2, 32, v0
	v_subrev_nc_u32_e32 v0, 28, v2
	v_lshlrev_b64 v[0:1], v0, v[4:5]
	v_sub_nc_u32_e32 v1, 29, v2
	v_and_b32_e32 v0, 7, v0
; %bb.447:                              ;   in Loop: Header=BB298_10 Depth=1
	s_or_b32 exec_lo, exec_lo, s20
	v_lshlrev_b32_e32 v2, 8, v4
	v_lshl_add_u32 v1, v1, 10, 0x2000
	v_lshlrev_b32_e32 v0, 7, v0
	v_and_b32_e32 v2, 0x8000, v2
	v_and_b32_e32 v1, 0xfc00, v1
	v_or3_b32 v74, v2, v1, v0
.LBB298_448:                            ;   in Loop: Header=BB298_10 Depth=1
	s_or_b32 exec_lo, exec_lo, s19
.LBB298_449:                            ;   in Loop: Header=BB298_10 Depth=1
	s_or_b32 exec_lo, exec_lo, s18
.LBB298_450:                            ;   in Loop: Header=BB298_10 Depth=1
	s_or_b32 exec_lo, exec_lo, s17
	v_mov_b32_e32 v91, 0
	v_mov_b32_e32 v90, 0
	s_mov_b32 s17, exec_lo
	v_cmpx_lt_u64_e64 s[6:7], v[24:25]
	s_cbranch_execz .LBB298_458
; %bb.451:                              ;   in Loop: Header=BB298_10 Depth=1
	v_lshrrev_b32_e32 v4, 24, v25
	v_bfrev_b32_e32 v90, 1
	s_mov_b32 s18, exec_lo
	v_cmpx_ne_u32_e32 0x80, v4
	s_cbranch_execz .LBB298_457
; %bb.452:                              ;   in Loop: Header=BB298_10 Depth=1
	v_and_b32_e32 v2, 0x7f, v4
	v_mov_b32_e32 v90, 0x7c010000
	s_mov_b32 s19, exec_lo
	v_cmpx_ne_u32_e32 0x7f, v2
	s_cbranch_execz .LBB298_456
; %bb.453:                              ;   in Loop: Header=BB298_10 Depth=1
	v_and_b32_e32 v0, 7, v4
	v_lshrrev_b32_e32 v1, 3, v2
	s_mov_b32 s20, exec_lo
	v_cmpx_gt_u32_e32 8, v2
; %bb.454:                              ;   in Loop: Header=BB298_10 Depth=1
	v_ffbh_u32_e32 v0, v0
	v_min_u32_e32 v2, 32, v0
	v_subrev_nc_u32_e32 v0, 28, v2
	v_lshlrev_b64 v[0:1], v0, v[4:5]
	v_sub_nc_u32_e32 v1, 29, v2
	v_and_b32_e32 v0, 7, v0
; %bb.455:                              ;   in Loop: Header=BB298_10 Depth=1
	s_or_b32 exec_lo, exec_lo, s20
	v_lshlrev_b32_e32 v2, 8, v4
	v_lshl_add_u32 v1, v1, 10, 0x2000
	v_lshlrev_b32_e32 v0, 23, v0
	v_and_or_b32 v1, 0x8000, v2, v1
	v_lshl_or_b32 v90, v1, 16, v0
.LBB298_456:                            ;   in Loop: Header=BB298_10 Depth=1
	s_or_b32 exec_lo, exec_lo, s19
.LBB298_457:                            ;   in Loop: Header=BB298_10 Depth=1
	s_or_b32 exec_lo, exec_lo, s18
.LBB298_458:                            ;   in Loop: Header=BB298_10 Depth=1
	s_or_b32 exec_lo, exec_lo, s17
	flat_load_dwordx2 v[24:25], v[16:17] offset:1544
	s_waitcnt vmcnt(0) lgkmcnt(0)
	v_cmp_ne_u16_sdwa s5, v24, v5 src0_sel:BYTE_0 src1_sel:DWORD
	s_and_saveexec_b32 s17, s5
	s_cbranch_execz .LBB298_466
; %bb.459:                              ;   in Loop: Header=BB298_10 Depth=1
	v_cmp_ne_u16_sdwa s5, v24, v37 src0_sel:BYTE_0 src1_sel:DWORD
	v_mov_b32_e32 v91, 0x8000
	s_and_saveexec_b32 s18, s5
	s_cbranch_execz .LBB298_465
; %bb.460:                              ;   in Loop: Header=BB298_10 Depth=1
	v_and_b32_e32 v2, 0x7f, v24
	v_mov_b32_e32 v91, 0x7c01
	s_mov_b32 s19, exec_lo
	v_cmpx_ne_u32_e32 0x7f, v2
	s_cbranch_execz .LBB298_464
; %bb.461:                              ;   in Loop: Header=BB298_10 Depth=1
	v_and_b32_e32 v0, 7, v24
	v_lshrrev_b32_e32 v1, 3, v2
	s_mov_b32 s20, exec_lo
	v_cmpx_gt_u32_e32 8, v2
; %bb.462:                              ;   in Loop: Header=BB298_10 Depth=1
	v_ffbh_u32_e32 v0, v0
	v_min_u32_e32 v2, 32, v0
	v_subrev_nc_u32_e32 v0, 28, v2
	v_lshlrev_b64 v[0:1], v0, v[24:25]
	v_sub_nc_u32_e32 v1, 29, v2
	v_and_b32_e32 v0, 7, v0
; %bb.463:                              ;   in Loop: Header=BB298_10 Depth=1
	s_or_b32 exec_lo, exec_lo, s20
	v_lshlrev_b32_e32 v2, 8, v24
	v_lshl_add_u32 v1, v1, 10, 0x2000
	v_lshlrev_b32_e32 v0, 7, v0
	v_and_b32_e32 v2, 0x8000, v2
	v_and_b32_e32 v1, 0xfc00, v1
	v_or3_b32 v91, v2, v1, v0
.LBB298_464:                            ;   in Loop: Header=BB298_10 Depth=1
	s_or_b32 exec_lo, exec_lo, s19
.LBB298_465:                            ;   in Loop: Header=BB298_10 Depth=1
	s_or_b32 exec_lo, exec_lo, s18
.LBB298_466:                            ;   in Loop: Header=BB298_10 Depth=1
	s_or_b32 exec_lo, exec_lo, s17
	v_lshrrev_b16 v4, 8, v24
	v_mov_b32_e32 v61, 0
	v_mov_b32_e32 v60, 0
	s_mov_b32 s17, exec_lo
	v_cmpx_ne_u16_e32 0, v4
	s_cbranch_execz .LBB298_474
; %bb.467:                              ;   in Loop: Header=BB298_10 Depth=1
	v_bfrev_b32_e32 v60, 1
	s_mov_b32 s18, exec_lo
	v_cmpx_ne_u16_e32 0x80, v4
	s_cbranch_execz .LBB298_473
; %bb.468:                              ;   in Loop: Header=BB298_10 Depth=1
	v_mov_b32_e32 v0, 0x7f
	v_mov_b32_e32 v60, 0x7c010000
	s_mov_b32 s19, exec_lo
	v_and_b32_sdwa v2, v4, v0 dst_sel:DWORD dst_unused:UNUSED_PAD src0_sel:WORD_0 src1_sel:DWORD
	v_cmpx_ne_u32_e32 0x7f, v2
	s_cbranch_execz .LBB298_472
; %bb.469:                              ;   in Loop: Header=BB298_10 Depth=1
	v_mov_b32_e32 v0, 7
	v_lshrrev_b32_e32 v1, 3, v2
	s_mov_b32 s20, exec_lo
	v_and_b32_sdwa v0, v4, v0 dst_sel:DWORD dst_unused:UNUSED_PAD src0_sel:WORD_0 src1_sel:DWORD
	v_cmpx_gt_u32_e32 8, v2
; %bb.470:                              ;   in Loop: Header=BB298_10 Depth=1
	v_ffbh_u32_e32 v0, v0
	v_min_u32_e32 v2, 32, v0
	v_subrev_nc_u32_e32 v0, 28, v2
	v_lshlrev_b64 v[0:1], v0, v[4:5]
	v_sub_nc_u32_e32 v1, 29, v2
	v_and_b32_e32 v0, 7, v0
; %bb.471:                              ;   in Loop: Header=BB298_10 Depth=1
	s_or_b32 exec_lo, exec_lo, s20
	v_mov_b32_e32 v2, 8
	v_lshl_add_u32 v1, v1, 10, 0x2000
	v_lshlrev_b32_e32 v0, 23, v0
	v_lshlrev_b32_sdwa v2, v2, v4 dst_sel:DWORD dst_unused:UNUSED_PAD src0_sel:DWORD src1_sel:WORD_0
	v_and_or_b32 v1, 0x8000, v2, v1
	v_lshl_or_b32 v60, v1, 16, v0
.LBB298_472:                            ;   in Loop: Header=BB298_10 Depth=1
	s_or_b32 exec_lo, exec_lo, s19
.LBB298_473:                            ;   in Loop: Header=BB298_10 Depth=1
	s_or_b32 exec_lo, exec_lo, s18
.LBB298_474:                            ;   in Loop: Header=BB298_10 Depth=1
	s_or_b32 exec_lo, exec_lo, s17
	v_lshrrev_b32_e32 v4, 16, v24
	v_cmp_ne_u16_sdwa s5, v4, v5 src0_sel:BYTE_0 src1_sel:DWORD
	s_and_saveexec_b32 s17, s5
	s_cbranch_execz .LBB298_482
; %bb.475:                              ;   in Loop: Header=BB298_10 Depth=1
	v_cmp_ne_u16_sdwa s5, v4, v37 src0_sel:BYTE_0 src1_sel:DWORD
	v_mov_b32_e32 v61, 0x8000
	s_and_saveexec_b32 s18, s5
	s_cbranch_execz .LBB298_481
; %bb.476:                              ;   in Loop: Header=BB298_10 Depth=1
	v_bfe_u32 v2, v24, 16, 7
	v_mov_b32_e32 v61, 0x7c01
	s_mov_b32 s19, exec_lo
	v_cmpx_ne_u32_e32 0x7f, v2
	s_cbranch_execz .LBB298_480
; %bb.477:                              ;   in Loop: Header=BB298_10 Depth=1
	v_and_b32_e32 v0, 7, v4
	v_lshrrev_b32_e32 v1, 3, v2
	s_mov_b32 s20, exec_lo
	v_cmpx_gt_u32_e32 8, v2
; %bb.478:                              ;   in Loop: Header=BB298_10 Depth=1
	v_ffbh_u32_e32 v0, v0
	v_min_u32_e32 v2, 32, v0
	v_subrev_nc_u32_e32 v0, 28, v2
	v_lshlrev_b64 v[0:1], v0, v[4:5]
	v_sub_nc_u32_e32 v1, 29, v2
	v_and_b32_e32 v0, 7, v0
; %bb.479:                              ;   in Loop: Header=BB298_10 Depth=1
	s_or_b32 exec_lo, exec_lo, s20
	v_lshlrev_b32_e32 v2, 8, v4
	v_lshl_add_u32 v1, v1, 10, 0x2000
	v_lshlrev_b32_e32 v0, 7, v0
	v_and_b32_e32 v2, 0x8000, v2
	v_and_b32_e32 v1, 0xfc00, v1
	v_or3_b32 v61, v2, v1, v0
.LBB298_480:                            ;   in Loop: Header=BB298_10 Depth=1
	s_or_b32 exec_lo, exec_lo, s19
.LBB298_481:                            ;   in Loop: Header=BB298_10 Depth=1
	s_or_b32 exec_lo, exec_lo, s18
.LBB298_482:                            ;   in Loop: Header=BB298_10 Depth=1
	s_or_b32 exec_lo, exec_lo, s17
	v_mov_b32_e32 v104, 0
	v_mov_b32_e32 v105, 0
	s_mov_b32 s17, exec_lo
	v_cmpx_lt_u32_e32 0xffffff, v24
	s_cbranch_execz .LBB298_490
; %bb.483:                              ;   in Loop: Header=BB298_10 Depth=1
	v_lshrrev_b32_e32 v4, 24, v24
	v_bfrev_b32_e32 v105, 1
	s_mov_b32 s18, exec_lo
	v_cmpx_ne_u32_e32 0x80, v4
	s_cbranch_execz .LBB298_489
; %bb.484:                              ;   in Loop: Header=BB298_10 Depth=1
	v_and_b32_e32 v2, 0x7f, v4
	v_mov_b32_e32 v105, 0x7c010000
	s_mov_b32 s19, exec_lo
	v_cmpx_ne_u32_e32 0x7f, v2
	s_cbranch_execz .LBB298_488
; %bb.485:                              ;   in Loop: Header=BB298_10 Depth=1
	v_and_b32_e32 v0, 7, v4
	v_lshrrev_b32_e32 v1, 3, v2
	s_mov_b32 s20, exec_lo
	v_cmpx_gt_u32_e32 8, v2
; %bb.486:                              ;   in Loop: Header=BB298_10 Depth=1
	v_ffbh_u32_e32 v0, v0
	v_min_u32_e32 v2, 32, v0
	v_subrev_nc_u32_e32 v0, 28, v2
	v_lshlrev_b64 v[0:1], v0, v[4:5]
	v_sub_nc_u32_e32 v1, 29, v2
	v_and_b32_e32 v0, 7, v0
; %bb.487:                              ;   in Loop: Header=BB298_10 Depth=1
	s_or_b32 exec_lo, exec_lo, s20
	v_lshlrev_b32_e32 v2, 8, v4
	v_lshl_add_u32 v1, v1, 10, 0x2000
	v_lshlrev_b32_e32 v0, 23, v0
	v_and_or_b32 v1, 0x8000, v2, v1
	v_lshl_or_b32 v105, v1, 16, v0
.LBB298_488:                            ;   in Loop: Header=BB298_10 Depth=1
	s_or_b32 exec_lo, exec_lo, s19
.LBB298_489:                            ;   in Loop: Header=BB298_10 Depth=1
	s_or_b32 exec_lo, exec_lo, s18
.LBB298_490:                            ;   in Loop: Header=BB298_10 Depth=1
	s_or_b32 exec_lo, exec_lo, s17
	v_mov_b32_e32 v4, v25
	v_cmp_ne_u16_sdwa s5, v25, v5 src0_sel:BYTE_0 src1_sel:DWORD
	s_and_saveexec_b32 s17, s5
	s_cbranch_execz .LBB298_498
; %bb.491:                              ;   in Loop: Header=BB298_10 Depth=1
	v_cmp_ne_u16_sdwa s5, v25, v37 src0_sel:BYTE_0 src1_sel:DWORD
	v_mov_b32_e32 v104, 0x8000
	s_and_saveexec_b32 s18, s5
	s_cbranch_execz .LBB298_497
; %bb.492:                              ;   in Loop: Header=BB298_10 Depth=1
	v_and_b32_e32 v2, 0x7f, v25
	v_mov_b32_e32 v104, 0x7c01
	s_mov_b32 s19, exec_lo
	v_cmpx_ne_u32_e32 0x7f, v2
	s_cbranch_execz .LBB298_496
; %bb.493:                              ;   in Loop: Header=BB298_10 Depth=1
	v_and_b32_e32 v0, 7, v25
	v_lshrrev_b32_e32 v1, 3, v2
	s_mov_b32 s20, exec_lo
	v_cmpx_gt_u32_e32 8, v2
; %bb.494:                              ;   in Loop: Header=BB298_10 Depth=1
	v_ffbh_u32_e32 v0, v0
	v_min_u32_e32 v2, 32, v0
	v_subrev_nc_u32_e32 v0, 28, v2
	v_lshlrev_b64 v[0:1], v0, v[4:5]
	v_sub_nc_u32_e32 v1, 29, v2
	v_and_b32_e32 v0, 7, v0
; %bb.495:                              ;   in Loop: Header=BB298_10 Depth=1
	s_or_b32 exec_lo, exec_lo, s20
	v_lshlrev_b32_e32 v2, 8, v25
	v_lshl_add_u32 v1, v1, 10, 0x2000
	v_lshlrev_b32_e32 v0, 7, v0
	v_and_b32_e32 v2, 0x8000, v2
	v_and_b32_e32 v1, 0xfc00, v1
	v_or3_b32 v104, v2, v1, v0
.LBB298_496:                            ;   in Loop: Header=BB298_10 Depth=1
	s_or_b32 exec_lo, exec_lo, s19
.LBB298_497:                            ;   in Loop: Header=BB298_10 Depth=1
	s_or_b32 exec_lo, exec_lo, s18
.LBB298_498:                            ;   in Loop: Header=BB298_10 Depth=1
	s_or_b32 exec_lo, exec_lo, s17
	v_lshrrev_b16 v4, 8, v4
	v_mov_b32_e32 v106, 0
	v_mov_b32_e32 v108, 0
	s_mov_b32 s17, exec_lo
	v_cmpx_ne_u16_e32 0, v4
	s_cbranch_execz .LBB298_506
; %bb.499:                              ;   in Loop: Header=BB298_10 Depth=1
	v_bfrev_b32_e32 v108, 1
	s_mov_b32 s18, exec_lo
	v_cmpx_ne_u16_e32 0x80, v4
	s_cbranch_execz .LBB298_505
; %bb.500:                              ;   in Loop: Header=BB298_10 Depth=1
	v_mov_b32_e32 v0, 0x7f
	v_mov_b32_e32 v108, 0x7c010000
	s_mov_b32 s19, exec_lo
	v_and_b32_sdwa v2, v4, v0 dst_sel:DWORD dst_unused:UNUSED_PAD src0_sel:WORD_0 src1_sel:DWORD
	v_cmpx_ne_u32_e32 0x7f, v2
	s_cbranch_execz .LBB298_504
; %bb.501:                              ;   in Loop: Header=BB298_10 Depth=1
	v_mov_b32_e32 v0, 7
	v_lshrrev_b32_e32 v1, 3, v2
	s_mov_b32 s20, exec_lo
	v_and_b32_sdwa v0, v4, v0 dst_sel:DWORD dst_unused:UNUSED_PAD src0_sel:WORD_0 src1_sel:DWORD
	v_cmpx_gt_u32_e32 8, v2
; %bb.502:                              ;   in Loop: Header=BB298_10 Depth=1
	v_ffbh_u32_e32 v0, v0
	v_min_u32_e32 v2, 32, v0
	v_subrev_nc_u32_e32 v0, 28, v2
	v_lshlrev_b64 v[0:1], v0, v[4:5]
	v_sub_nc_u32_e32 v1, 29, v2
	v_and_b32_e32 v0, 7, v0
; %bb.503:                              ;   in Loop: Header=BB298_10 Depth=1
	s_or_b32 exec_lo, exec_lo, s20
	v_mov_b32_e32 v2, 8
	v_lshl_add_u32 v1, v1, 10, 0x2000
	v_lshlrev_b32_e32 v0, 23, v0
	v_lshlrev_b32_sdwa v2, v2, v4 dst_sel:DWORD dst_unused:UNUSED_PAD src0_sel:DWORD src1_sel:WORD_0
	v_and_or_b32 v1, 0x8000, v2, v1
	v_lshl_or_b32 v108, v1, 16, v0
.LBB298_504:                            ;   in Loop: Header=BB298_10 Depth=1
	s_or_b32 exec_lo, exec_lo, s19
.LBB298_505:                            ;   in Loop: Header=BB298_10 Depth=1
	s_or_b32 exec_lo, exec_lo, s18
.LBB298_506:                            ;   in Loop: Header=BB298_10 Depth=1
	s_or_b32 exec_lo, exec_lo, s17
	v_lshrrev_b32_e32 v4, 16, v25
	v_cmp_ne_u16_sdwa s5, v4, v5 src0_sel:BYTE_0 src1_sel:DWORD
	s_and_saveexec_b32 s17, s5
	s_cbranch_execz .LBB298_514
; %bb.507:                              ;   in Loop: Header=BB298_10 Depth=1
	v_cmp_ne_u16_sdwa s5, v4, v37 src0_sel:BYTE_0 src1_sel:DWORD
	v_mov_b32_e32 v106, 0x8000
	s_and_saveexec_b32 s18, s5
	s_cbranch_execz .LBB298_513
; %bb.508:                              ;   in Loop: Header=BB298_10 Depth=1
	v_bfe_u32 v2, v25, 16, 7
	v_mov_b32_e32 v106, 0x7c01
	s_mov_b32 s19, exec_lo
	v_cmpx_ne_u32_e32 0x7f, v2
	s_cbranch_execz .LBB298_512
; %bb.509:                              ;   in Loop: Header=BB298_10 Depth=1
	v_and_b32_e32 v0, 7, v4
	v_lshrrev_b32_e32 v1, 3, v2
	s_mov_b32 s20, exec_lo
	v_cmpx_gt_u32_e32 8, v2
; %bb.510:                              ;   in Loop: Header=BB298_10 Depth=1
	v_ffbh_u32_e32 v0, v0
	v_min_u32_e32 v2, 32, v0
	v_subrev_nc_u32_e32 v0, 28, v2
	v_lshlrev_b64 v[0:1], v0, v[4:5]
	v_sub_nc_u32_e32 v1, 29, v2
	v_and_b32_e32 v0, 7, v0
; %bb.511:                              ;   in Loop: Header=BB298_10 Depth=1
	s_or_b32 exec_lo, exec_lo, s20
	v_lshlrev_b32_e32 v2, 8, v4
	v_lshl_add_u32 v1, v1, 10, 0x2000
	v_lshlrev_b32_e32 v0, 7, v0
	v_and_b32_e32 v2, 0x8000, v2
	v_and_b32_e32 v1, 0xfc00, v1
	v_or3_b32 v106, v2, v1, v0
.LBB298_512:                            ;   in Loop: Header=BB298_10 Depth=1
	s_or_b32 exec_lo, exec_lo, s19
.LBB298_513:                            ;   in Loop: Header=BB298_10 Depth=1
	s_or_b32 exec_lo, exec_lo, s18
.LBB298_514:                            ;   in Loop: Header=BB298_10 Depth=1
	s_or_b32 exec_lo, exec_lo, s17
	v_mov_b32_e32 v96, 0
	v_mov_b32_e32 v122, 0
	s_mov_b32 s17, exec_lo
	v_cmpx_lt_u64_e64 s[6:7], v[24:25]
	s_cbranch_execz .LBB298_522
; %bb.515:                              ;   in Loop: Header=BB298_10 Depth=1
	v_lshrrev_b32_e32 v4, 24, v25
	v_bfrev_b32_e32 v122, 1
	s_mov_b32 s18, exec_lo
	v_cmpx_ne_u32_e32 0x80, v4
	s_cbranch_execz .LBB298_521
; %bb.516:                              ;   in Loop: Header=BB298_10 Depth=1
	v_and_b32_e32 v2, 0x7f, v4
	v_mov_b32_e32 v122, 0x7c010000
	s_mov_b32 s19, exec_lo
	v_cmpx_ne_u32_e32 0x7f, v2
	s_cbranch_execz .LBB298_520
; %bb.517:                              ;   in Loop: Header=BB298_10 Depth=1
	v_and_b32_e32 v0, 7, v4
	v_lshrrev_b32_e32 v1, 3, v2
	s_mov_b32 s20, exec_lo
	v_cmpx_gt_u32_e32 8, v2
; %bb.518:                              ;   in Loop: Header=BB298_10 Depth=1
	v_ffbh_u32_e32 v0, v0
	v_min_u32_e32 v2, 32, v0
	v_subrev_nc_u32_e32 v0, 28, v2
	v_lshlrev_b64 v[0:1], v0, v[4:5]
	v_sub_nc_u32_e32 v1, 29, v2
	v_and_b32_e32 v0, 7, v0
; %bb.519:                              ;   in Loop: Header=BB298_10 Depth=1
	s_or_b32 exec_lo, exec_lo, s20
	v_lshlrev_b32_e32 v2, 8, v4
	v_lshl_add_u32 v1, v1, 10, 0x2000
	v_lshlrev_b32_e32 v0, 23, v0
	v_and_or_b32 v1, 0x8000, v2, v1
	v_lshl_or_b32 v122, v1, 16, v0
.LBB298_520:                            ;   in Loop: Header=BB298_10 Depth=1
	s_or_b32 exec_lo, exec_lo, s19
.LBB298_521:                            ;   in Loop: Header=BB298_10 Depth=1
	s_or_b32 exec_lo, exec_lo, s18
.LBB298_522:                            ;   in Loop: Header=BB298_10 Depth=1
	s_or_b32 exec_lo, exec_lo, s17
	v_add_co_u32 v16, s5, 0x800, v16
	v_add_co_ci_u32_e64 v17, null, 0, v17, s5
	flat_load_dwordx2 v[24:25], v[16:17]
	s_waitcnt vmcnt(0) lgkmcnt(0)
	v_cmp_ne_u16_sdwa s5, v24, v5 src0_sel:BYTE_0 src1_sel:DWORD
	s_and_saveexec_b32 s17, s5
	s_cbranch_execz .LBB298_530
; %bb.523:                              ;   in Loop: Header=BB298_10 Depth=1
	v_cmp_ne_u16_sdwa s5, v24, v37 src0_sel:BYTE_0 src1_sel:DWORD
	v_mov_b32_e32 v96, 0x8000
	s_and_saveexec_b32 s18, s5
	s_cbranch_execz .LBB298_529
; %bb.524:                              ;   in Loop: Header=BB298_10 Depth=1
	v_and_b32_e32 v2, 0x7f, v24
	v_mov_b32_e32 v96, 0x7c01
	s_mov_b32 s19, exec_lo
	v_cmpx_ne_u32_e32 0x7f, v2
	s_cbranch_execz .LBB298_528
; %bb.525:                              ;   in Loop: Header=BB298_10 Depth=1
	v_and_b32_e32 v0, 7, v24
	v_lshrrev_b32_e32 v1, 3, v2
	s_mov_b32 s20, exec_lo
	v_cmpx_gt_u32_e32 8, v2
; %bb.526:                              ;   in Loop: Header=BB298_10 Depth=1
	v_ffbh_u32_e32 v0, v0
	v_min_u32_e32 v2, 32, v0
	v_subrev_nc_u32_e32 v0, 28, v2
	v_lshlrev_b64 v[0:1], v0, v[24:25]
	v_sub_nc_u32_e32 v1, 29, v2
	v_and_b32_e32 v0, 7, v0
; %bb.527:                              ;   in Loop: Header=BB298_10 Depth=1
	s_or_b32 exec_lo, exec_lo, s20
	v_lshlrev_b32_e32 v2, 8, v24
	v_lshl_add_u32 v1, v1, 10, 0x2000
	v_lshlrev_b32_e32 v0, 7, v0
	v_and_b32_e32 v2, 0x8000, v2
	v_and_b32_e32 v1, 0xfc00, v1
	v_or3_b32 v96, v2, v1, v0
.LBB298_528:                            ;   in Loop: Header=BB298_10 Depth=1
	s_or_b32 exec_lo, exec_lo, s19
.LBB298_529:                            ;   in Loop: Header=BB298_10 Depth=1
	s_or_b32 exec_lo, exec_lo, s18
.LBB298_530:                            ;   in Loop: Header=BB298_10 Depth=1
	s_or_b32 exec_lo, exec_lo, s17
	v_lshrrev_b16 v4, 8, v24
	v_mov_b32_e32 v1, 0
	v_mov_b32_e32 v32, 0
	s_mov_b32 s17, exec_lo
	v_cmpx_ne_u16_e32 0, v4
	s_cbranch_execz .LBB298_538
; %bb.531:                              ;   in Loop: Header=BB298_10 Depth=1
	v_bfrev_b32_e32 v32, 1
	s_mov_b32 s18, exec_lo
	v_cmpx_ne_u16_e32 0x80, v4
	s_cbranch_execz .LBB298_537
; %bb.532:                              ;   in Loop: Header=BB298_10 Depth=1
	v_mov_b32_e32 v0, 0x7f
	v_mov_b32_e32 v32, 0x7c010000
	s_mov_b32 s19, exec_lo
	v_and_b32_sdwa v3, v4, v0 dst_sel:DWORD dst_unused:UNUSED_PAD src0_sel:WORD_0 src1_sel:DWORD
	v_cmpx_ne_u32_e32 0x7f, v3
	s_cbranch_execz .LBB298_536
; %bb.533:                              ;   in Loop: Header=BB298_10 Depth=1
	v_mov_b32_e32 v0, 7
	v_lshrrev_b32_e32 v2, 3, v3
	s_mov_b32 s20, exec_lo
	v_and_b32_sdwa v0, v4, v0 dst_sel:DWORD dst_unused:UNUSED_PAD src0_sel:WORD_0 src1_sel:DWORD
	v_cmpx_gt_u32_e32 8, v3
; %bb.534:                              ;   in Loop: Header=BB298_10 Depth=1
	v_ffbh_u32_e32 v0, v0
	v_min_u32_e32 v0, 32, v0
	v_subrev_nc_u32_e32 v2, 28, v0
	v_lshlrev_b64 v[6:7], v2, v[4:5]
	v_sub_nc_u32_e32 v2, 29, v0
	v_and_b32_e32 v0, 7, v6
; %bb.535:                              ;   in Loop: Header=BB298_10 Depth=1
	s_or_b32 exec_lo, exec_lo, s20
	v_mov_b32_e32 v3, 8
	v_lshl_add_u32 v2, v2, 10, 0x2000
	v_lshlrev_b32_e32 v0, 23, v0
	v_lshlrev_b32_sdwa v3, v3, v4 dst_sel:DWORD dst_unused:UNUSED_PAD src0_sel:DWORD src1_sel:WORD_0
	v_and_or_b32 v2, 0x8000, v3, v2
	v_lshl_or_b32 v32, v2, 16, v0
.LBB298_536:                            ;   in Loop: Header=BB298_10 Depth=1
	s_or_b32 exec_lo, exec_lo, s19
.LBB298_537:                            ;   in Loop: Header=BB298_10 Depth=1
	s_or_b32 exec_lo, exec_lo, s18
.LBB298_538:                            ;   in Loop: Header=BB298_10 Depth=1
	s_or_b32 exec_lo, exec_lo, s17
	v_lshrrev_b32_e32 v4, 16, v24
	v_cmp_ne_u16_sdwa s5, v4, v5 src0_sel:BYTE_0 src1_sel:DWORD
	s_and_saveexec_b32 s17, s5
	s_cbranch_execz .LBB298_546
; %bb.539:                              ;   in Loop: Header=BB298_10 Depth=1
	v_cmp_ne_u16_sdwa s5, v4, v37 src0_sel:BYTE_0 src1_sel:DWORD
	v_mov_b32_e32 v1, 0x8000
	s_and_saveexec_b32 s18, s5
	s_cbranch_execz .LBB298_545
; %bb.540:                              ;   in Loop: Header=BB298_10 Depth=1
	v_bfe_u32 v2, v24, 16, 7
	v_mov_b32_e32 v1, 0x7c01
	s_mov_b32 s19, exec_lo
	v_cmpx_ne_u32_e32 0x7f, v2
	s_cbranch_execz .LBB298_544
; %bb.541:                              ;   in Loop: Header=BB298_10 Depth=1
	v_and_b32_e32 v0, 7, v4
	v_lshrrev_b32_e32 v1, 3, v2
	s_mov_b32 s20, exec_lo
	v_cmpx_gt_u32_e32 8, v2
; %bb.542:                              ;   in Loop: Header=BB298_10 Depth=1
	v_ffbh_u32_e32 v0, v0
	v_min_u32_e32 v2, 32, v0
	v_subrev_nc_u32_e32 v0, 28, v2
	v_lshlrev_b64 v[0:1], v0, v[4:5]
	v_sub_nc_u32_e32 v1, 29, v2
	v_and_b32_e32 v0, 7, v0
; %bb.543:                              ;   in Loop: Header=BB298_10 Depth=1
	s_or_b32 exec_lo, exec_lo, s20
	v_lshlrev_b32_e32 v2, 8, v4
	v_lshl_add_u32 v1, v1, 10, 0x2000
	v_lshlrev_b32_e32 v0, 7, v0
	v_and_b32_e32 v2, 0x8000, v2
	v_and_b32_e32 v1, 0xfc00, v1
	v_or3_b32 v1, v2, v1, v0
.LBB298_544:                            ;   in Loop: Header=BB298_10 Depth=1
	s_or_b32 exec_lo, exec_lo, s19
.LBB298_545:                            ;   in Loop: Header=BB298_10 Depth=1
	s_or_b32 exec_lo, exec_lo, s18
.LBB298_546:                            ;   in Loop: Header=BB298_10 Depth=1
	s_or_b32 exec_lo, exec_lo, s17
	v_mov_b32_e32 v11, 0
	v_mov_b32_e32 v10, 0
	s_mov_b32 s17, exec_lo
	v_cmpx_lt_u32_e32 0xffffff, v24
	s_cbranch_execz .LBB298_554
; %bb.547:                              ;   in Loop: Header=BB298_10 Depth=1
	v_lshrrev_b32_e32 v4, 24, v24
	v_bfrev_b32_e32 v10, 1
	s_mov_b32 s18, exec_lo
	v_cmpx_ne_u32_e32 0x80, v4
	s_cbranch_execz .LBB298_553
; %bb.548:                              ;   in Loop: Header=BB298_10 Depth=1
	v_and_b32_e32 v3, 0x7f, v4
	v_mov_b32_e32 v10, 0x7c010000
	s_mov_b32 s19, exec_lo
	v_cmpx_ne_u32_e32 0x7f, v3
	s_cbranch_execz .LBB298_552
; %bb.549:                              ;   in Loop: Header=BB298_10 Depth=1
	v_and_b32_e32 v0, 7, v4
	v_lshrrev_b32_e32 v2, 3, v3
	s_mov_b32 s20, exec_lo
	v_cmpx_gt_u32_e32 8, v3
; %bb.550:                              ;   in Loop: Header=BB298_10 Depth=1
	v_ffbh_u32_e32 v0, v0
	v_min_u32_e32 v0, 32, v0
	v_subrev_nc_u32_e32 v2, 28, v0
	v_lshlrev_b64 v[6:7], v2, v[4:5]
	v_sub_nc_u32_e32 v2, 29, v0
	v_and_b32_e32 v0, 7, v6
; %bb.551:                              ;   in Loop: Header=BB298_10 Depth=1
	s_or_b32 exec_lo, exec_lo, s20
	v_lshlrev_b32_e32 v3, 8, v4
	v_lshl_add_u32 v2, v2, 10, 0x2000
	v_lshlrev_b32_e32 v0, 23, v0
	v_and_or_b32 v2, 0x8000, v3, v2
	v_lshl_or_b32 v10, v2, 16, v0
.LBB298_552:                            ;   in Loop: Header=BB298_10 Depth=1
	s_or_b32 exec_lo, exec_lo, s19
.LBB298_553:                            ;   in Loop: Header=BB298_10 Depth=1
	s_or_b32 exec_lo, exec_lo, s18
.LBB298_554:                            ;   in Loop: Header=BB298_10 Depth=1
	s_or_b32 exec_lo, exec_lo, s17
	v_mov_b32_e32 v4, v25
	v_cmp_ne_u16_sdwa s5, v25, v5 src0_sel:BYTE_0 src1_sel:DWORD
	s_and_saveexec_b32 s17, s5
	s_cbranch_execz .LBB298_562
; %bb.555:                              ;   in Loop: Header=BB298_10 Depth=1
	v_cmp_ne_u16_sdwa s5, v25, v37 src0_sel:BYTE_0 src1_sel:DWORD
	v_mov_b32_e32 v11, 0x8000
	s_and_saveexec_b32 s18, s5
	s_cbranch_execz .LBB298_561
; %bb.556:                              ;   in Loop: Header=BB298_10 Depth=1
	v_and_b32_e32 v3, 0x7f, v25
	v_mov_b32_e32 v11, 0x7c01
	s_mov_b32 s19, exec_lo
	v_cmpx_ne_u32_e32 0x7f, v3
	s_cbranch_execz .LBB298_560
; %bb.557:                              ;   in Loop: Header=BB298_10 Depth=1
	v_and_b32_e32 v0, 7, v25
	v_lshrrev_b32_e32 v2, 3, v3
	s_mov_b32 s20, exec_lo
	v_cmpx_gt_u32_e32 8, v3
; %bb.558:                              ;   in Loop: Header=BB298_10 Depth=1
	v_ffbh_u32_e32 v0, v0
	v_min_u32_e32 v0, 32, v0
	v_subrev_nc_u32_e32 v2, 28, v0
	v_lshlrev_b64 v[6:7], v2, v[4:5]
	v_sub_nc_u32_e32 v2, 29, v0
	v_and_b32_e32 v0, 7, v6
; %bb.559:                              ;   in Loop: Header=BB298_10 Depth=1
	s_or_b32 exec_lo, exec_lo, s20
	v_lshlrev_b32_e32 v3, 8, v25
	v_lshl_add_u32 v2, v2, 10, 0x2000
	v_lshlrev_b32_e32 v0, 7, v0
	v_and_b32_e32 v3, 0x8000, v3
	v_and_b32_e32 v2, 0xfc00, v2
	v_or3_b32 v11, v3, v2, v0
.LBB298_560:                            ;   in Loop: Header=BB298_10 Depth=1
	s_or_b32 exec_lo, exec_lo, s19
.LBB298_561:                            ;   in Loop: Header=BB298_10 Depth=1
	s_or_b32 exec_lo, exec_lo, s18
.LBB298_562:                            ;   in Loop: Header=BB298_10 Depth=1
	s_or_b32 exec_lo, exec_lo, s17
	v_lshrrev_b16 v4, 8, v4
	v_mov_b32_e32 v27, 0
	v_mov_b32_e32 v2, 0
	s_mov_b32 s17, exec_lo
	v_cmpx_ne_u16_e32 0, v4
	s_cbranch_execz .LBB298_570
; %bb.563:                              ;   in Loop: Header=BB298_10 Depth=1
	v_bfrev_b32_e32 v2, 1
	s_mov_b32 s18, exec_lo
	v_cmpx_ne_u16_e32 0x80, v4
	s_cbranch_execz .LBB298_569
; %bb.564:                              ;   in Loop: Header=BB298_10 Depth=1
	v_mov_b32_e32 v0, 0x7f
	v_mov_b32_e32 v2, 0x7c010000
	s_mov_b32 s19, exec_lo
	v_and_b32_sdwa v3, v4, v0 dst_sel:DWORD dst_unused:UNUSED_PAD src0_sel:WORD_0 src1_sel:DWORD
	v_cmpx_ne_u32_e32 0x7f, v3
	s_cbranch_execz .LBB298_568
; %bb.565:                              ;   in Loop: Header=BB298_10 Depth=1
	v_mov_b32_e32 v0, 7
	v_lshrrev_b32_e32 v2, 3, v3
	s_mov_b32 s20, exec_lo
	v_and_b32_sdwa v0, v4, v0 dst_sel:DWORD dst_unused:UNUSED_PAD src0_sel:WORD_0 src1_sel:DWORD
	v_cmpx_gt_u32_e32 8, v3
; %bb.566:                              ;   in Loop: Header=BB298_10 Depth=1
	v_ffbh_u32_e32 v0, v0
	v_min_u32_e32 v0, 32, v0
	v_subrev_nc_u32_e32 v2, 28, v0
	v_lshlrev_b64 v[6:7], v2, v[4:5]
	v_sub_nc_u32_e32 v2, 29, v0
	v_and_b32_e32 v0, 7, v6
; %bb.567:                              ;   in Loop: Header=BB298_10 Depth=1
	s_or_b32 exec_lo, exec_lo, s20
	v_mov_b32_e32 v3, 8
	v_lshl_add_u32 v2, v2, 10, 0x2000
	v_lshlrev_b32_e32 v0, 23, v0
	v_lshlrev_b32_sdwa v3, v3, v4 dst_sel:DWORD dst_unused:UNUSED_PAD src0_sel:DWORD src1_sel:WORD_0
	v_and_or_b32 v2, 0x8000, v3, v2
	v_lshl_or_b32 v2, v2, 16, v0
.LBB298_568:                            ;   in Loop: Header=BB298_10 Depth=1
	s_or_b32 exec_lo, exec_lo, s19
.LBB298_569:                            ;   in Loop: Header=BB298_10 Depth=1
	s_or_b32 exec_lo, exec_lo, s18
.LBB298_570:                            ;   in Loop: Header=BB298_10 Depth=1
	s_or_b32 exec_lo, exec_lo, s17
	v_lshrrev_b32_e32 v4, 16, v25
	v_cmp_ne_u16_sdwa s5, v4, v5 src0_sel:BYTE_0 src1_sel:DWORD
	s_and_saveexec_b32 s17, s5
	s_cbranch_execz .LBB298_578
; %bb.571:                              ;   in Loop: Header=BB298_10 Depth=1
	v_cmp_ne_u16_sdwa s5, v4, v37 src0_sel:BYTE_0 src1_sel:DWORD
	v_mov_b32_e32 v27, 0x8000
	s_and_saveexec_b32 s18, s5
	s_cbranch_execz .LBB298_577
; %bb.572:                              ;   in Loop: Header=BB298_10 Depth=1
	v_bfe_u32 v6, v25, 16, 7
	v_mov_b32_e32 v27, 0x7c01
	s_mov_b32 s19, exec_lo
	v_cmpx_ne_u32_e32 0x7f, v6
	s_cbranch_execz .LBB298_576
; %bb.573:                              ;   in Loop: Header=BB298_10 Depth=1
	v_and_b32_e32 v0, 7, v4
	v_lshrrev_b32_e32 v3, 3, v6
	s_mov_b32 s20, exec_lo
	v_cmpx_gt_u32_e32 8, v6
; %bb.574:                              ;   in Loop: Header=BB298_10 Depth=1
	v_ffbh_u32_e32 v0, v0
	v_min_u32_e32 v0, 32, v0
	v_subrev_nc_u32_e32 v3, 28, v0
	v_lshlrev_b64 v[6:7], v3, v[4:5]
	v_sub_nc_u32_e32 v3, 29, v0
	v_and_b32_e32 v0, 7, v6
; %bb.575:                              ;   in Loop: Header=BB298_10 Depth=1
	s_or_b32 exec_lo, exec_lo, s20
	v_lshlrev_b32_e32 v4, 8, v4
	v_lshl_add_u32 v3, v3, 10, 0x2000
	v_lshlrev_b32_e32 v0, 7, v0
	v_and_b32_e32 v4, 0x8000, v4
	v_and_b32_e32 v3, 0xfc00, v3
	v_or3_b32 v27, v4, v3, v0
.LBB298_576:                            ;   in Loop: Header=BB298_10 Depth=1
	s_or_b32 exec_lo, exec_lo, s19
.LBB298_577:                            ;   in Loop: Header=BB298_10 Depth=1
	s_or_b32 exec_lo, exec_lo, s18
.LBB298_578:                            ;   in Loop: Header=BB298_10 Depth=1
	s_or_b32 exec_lo, exec_lo, s17
	v_mov_b32_e32 v29, 0
	v_mov_b32_e32 v9, 0
	s_mov_b32 s17, exec_lo
	v_cmpx_lt_u64_e64 s[6:7], v[24:25]
	s_cbranch_execz .LBB298_586
; %bb.579:                              ;   in Loop: Header=BB298_10 Depth=1
	v_lshrrev_b32_e32 v4, 24, v25
	v_bfrev_b32_e32 v9, 1
	s_mov_b32 s18, exec_lo
	v_cmpx_ne_u32_e32 0x80, v4
	s_cbranch_execz .LBB298_585
; %bb.580:                              ;   in Loop: Header=BB298_10 Depth=1
	v_and_b32_e32 v6, 0x7f, v4
	v_mov_b32_e32 v9, 0x7c010000
	s_mov_b32 s19, exec_lo
	v_cmpx_ne_u32_e32 0x7f, v6
	s_cbranch_execz .LBB298_584
; %bb.581:                              ;   in Loop: Header=BB298_10 Depth=1
	v_and_b32_e32 v0, 7, v4
	v_lshrrev_b32_e32 v3, 3, v6
	s_mov_b32 s20, exec_lo
	v_cmpx_gt_u32_e32 8, v6
; %bb.582:                              ;   in Loop: Header=BB298_10 Depth=1
	v_ffbh_u32_e32 v0, v0
	v_min_u32_e32 v0, 32, v0
	v_subrev_nc_u32_e32 v3, 28, v0
	v_lshlrev_b64 v[6:7], v3, v[4:5]
	v_sub_nc_u32_e32 v3, 29, v0
	v_and_b32_e32 v0, 7, v6
; %bb.583:                              ;   in Loop: Header=BB298_10 Depth=1
	s_or_b32 exec_lo, exec_lo, s20
	v_lshlrev_b32_e32 v4, 8, v4
	v_lshl_add_u32 v3, v3, 10, 0x2000
	v_lshlrev_b32_e32 v0, 23, v0
	v_and_or_b32 v3, 0x8000, v4, v3
	v_lshl_or_b32 v9, v3, 16, v0
.LBB298_584:                            ;   in Loop: Header=BB298_10 Depth=1
	s_or_b32 exec_lo, exec_lo, s19
.LBB298_585:                            ;   in Loop: Header=BB298_10 Depth=1
	s_or_b32 exec_lo, exec_lo, s18
.LBB298_586:                            ;   in Loop: Header=BB298_10 Depth=1
	s_or_b32 exec_lo, exec_lo, s17
	flat_load_dwordx2 v[24:25], v[16:17] offset:8
	s_waitcnt vmcnt(0) lgkmcnt(0)
	v_cmp_ne_u16_sdwa s5, v24, v5 src0_sel:BYTE_0 src1_sel:DWORD
	s_and_saveexec_b32 s17, s5
	s_cbranch_execz .LBB298_594
; %bb.587:                              ;   in Loop: Header=BB298_10 Depth=1
	v_cmp_ne_u16_sdwa s5, v24, v37 src0_sel:BYTE_0 src1_sel:DWORD
	v_mov_b32_e32 v29, 0x8000
	s_and_saveexec_b32 s18, s5
	s_cbranch_execz .LBB298_593
; %bb.588:                              ;   in Loop: Header=BB298_10 Depth=1
	v_and_b32_e32 v4, 0x7f, v24
	v_mov_b32_e32 v29, 0x7c01
	s_mov_b32 s19, exec_lo
	v_cmpx_ne_u32_e32 0x7f, v4
	s_cbranch_execz .LBB298_592
; %bb.589:                              ;   in Loop: Header=BB298_10 Depth=1
	v_and_b32_e32 v0, 7, v24
	v_lshrrev_b32_e32 v3, 3, v4
	s_mov_b32 s20, exec_lo
	v_cmpx_gt_u32_e32 8, v4
; %bb.590:                              ;   in Loop: Header=BB298_10 Depth=1
	v_ffbh_u32_e32 v0, v0
	v_min_u32_e32 v0, 32, v0
	v_subrev_nc_u32_e32 v3, 28, v0
	v_lshlrev_b64 v[6:7], v3, v[24:25]
	v_sub_nc_u32_e32 v3, 29, v0
	v_and_b32_e32 v0, 7, v6
; %bb.591:                              ;   in Loop: Header=BB298_10 Depth=1
	s_or_b32 exec_lo, exec_lo, s20
	v_lshlrev_b32_e32 v4, 8, v24
	v_lshl_add_u32 v3, v3, 10, 0x2000
	v_lshlrev_b32_e32 v0, 7, v0
	v_and_b32_e32 v4, 0x8000, v4
	v_and_b32_e32 v3, 0xfc00, v3
	v_or3_b32 v29, v4, v3, v0
.LBB298_592:                            ;   in Loop: Header=BB298_10 Depth=1
	s_or_b32 exec_lo, exec_lo, s19
.LBB298_593:                            ;   in Loop: Header=BB298_10 Depth=1
	s_or_b32 exec_lo, exec_lo, s18
.LBB298_594:                            ;   in Loop: Header=BB298_10 Depth=1
	s_or_b32 exec_lo, exec_lo, s17
	v_lshrrev_b16 v4, 8, v24
	v_mov_b32_e32 v20, 0
	v_mov_b32_e32 v21, 0
	s_mov_b32 s17, exec_lo
	v_cmpx_ne_u16_e32 0, v4
	s_cbranch_execz .LBB298_602
; %bb.595:                              ;   in Loop: Header=BB298_10 Depth=1
	v_bfrev_b32_e32 v21, 1
	s_mov_b32 s18, exec_lo
	v_cmpx_ne_u16_e32 0x80, v4
	s_cbranch_execz .LBB298_601
; %bb.596:                              ;   in Loop: Header=BB298_10 Depth=1
	v_mov_b32_e32 v0, 0x7f
	v_mov_b32_e32 v21, 0x7c010000
	s_mov_b32 s19, exec_lo
	v_and_b32_sdwa v6, v4, v0 dst_sel:DWORD dst_unused:UNUSED_PAD src0_sel:WORD_0 src1_sel:DWORD
	v_cmpx_ne_u32_e32 0x7f, v6
	s_cbranch_execz .LBB298_600
; %bb.597:                              ;   in Loop: Header=BB298_10 Depth=1
	v_mov_b32_e32 v0, 7
	v_lshrrev_b32_e32 v3, 3, v6
	s_mov_b32 s20, exec_lo
	v_and_b32_sdwa v0, v4, v0 dst_sel:DWORD dst_unused:UNUSED_PAD src0_sel:WORD_0 src1_sel:DWORD
	v_cmpx_gt_u32_e32 8, v6
; %bb.598:                              ;   in Loop: Header=BB298_10 Depth=1
	v_ffbh_u32_e32 v0, v0
	v_min_u32_e32 v0, 32, v0
	v_subrev_nc_u32_e32 v3, 28, v0
	v_lshlrev_b64 v[6:7], v3, v[4:5]
	v_sub_nc_u32_e32 v3, 29, v0
	v_and_b32_e32 v0, 7, v6
; %bb.599:                              ;   in Loop: Header=BB298_10 Depth=1
	s_or_b32 exec_lo, exec_lo, s20
	v_mov_b32_e32 v6, 8
	v_lshl_add_u32 v3, v3, 10, 0x2000
	v_lshlrev_b32_e32 v0, 23, v0
	v_lshlrev_b32_sdwa v4, v6, v4 dst_sel:DWORD dst_unused:UNUSED_PAD src0_sel:DWORD src1_sel:WORD_0
	v_and_or_b32 v3, 0x8000, v4, v3
	v_lshl_or_b32 v21, v3, 16, v0
.LBB298_600:                            ;   in Loop: Header=BB298_10 Depth=1
	s_or_b32 exec_lo, exec_lo, s19
.LBB298_601:                            ;   in Loop: Header=BB298_10 Depth=1
	s_or_b32 exec_lo, exec_lo, s18
.LBB298_602:                            ;   in Loop: Header=BB298_10 Depth=1
	s_or_b32 exec_lo, exec_lo, s17
	v_lshrrev_b32_e32 v4, 16, v24
	v_cmp_ne_u16_sdwa s5, v4, v5 src0_sel:BYTE_0 src1_sel:DWORD
	s_and_saveexec_b32 s17, s5
	s_cbranch_execz .LBB298_610
; %bb.603:                              ;   in Loop: Header=BB298_10 Depth=1
	v_cmp_ne_u16_sdwa s5, v4, v37 src0_sel:BYTE_0 src1_sel:DWORD
	v_mov_b32_e32 v20, 0x8000
	s_and_saveexec_b32 s18, s5
	s_cbranch_execz .LBB298_609
; %bb.604:                              ;   in Loop: Header=BB298_10 Depth=1
	v_bfe_u32 v6, v24, 16, 7
	v_mov_b32_e32 v20, 0x7c01
	s_mov_b32 s19, exec_lo
	v_cmpx_ne_u32_e32 0x7f, v6
	s_cbranch_execz .LBB298_608
; %bb.605:                              ;   in Loop: Header=BB298_10 Depth=1
	v_and_b32_e32 v0, 7, v4
	v_lshrrev_b32_e32 v3, 3, v6
	s_mov_b32 s20, exec_lo
	v_cmpx_gt_u32_e32 8, v6
; %bb.606:                              ;   in Loop: Header=BB298_10 Depth=1
	v_ffbh_u32_e32 v0, v0
	v_min_u32_e32 v0, 32, v0
	v_subrev_nc_u32_e32 v3, 28, v0
	v_lshlrev_b64 v[6:7], v3, v[4:5]
	v_sub_nc_u32_e32 v3, 29, v0
	v_and_b32_e32 v0, 7, v6
; %bb.607:                              ;   in Loop: Header=BB298_10 Depth=1
	s_or_b32 exec_lo, exec_lo, s20
	v_lshlrev_b32_e32 v4, 8, v4
	v_lshl_add_u32 v3, v3, 10, 0x2000
	v_lshlrev_b32_e32 v0, 7, v0
	v_and_b32_e32 v4, 0x8000, v4
	v_and_b32_e32 v3, 0xfc00, v3
	v_or3_b32 v20, v4, v3, v0
.LBB298_608:                            ;   in Loop: Header=BB298_10 Depth=1
	s_or_b32 exec_lo, exec_lo, s19
.LBB298_609:                            ;   in Loop: Header=BB298_10 Depth=1
	s_or_b32 exec_lo, exec_lo, s18
.LBB298_610:                            ;   in Loop: Header=BB298_10 Depth=1
	s_or_b32 exec_lo, exec_lo, s17
	v_mov_b32_e32 v67, 0
	v_mov_b32_e32 v51, 0
	s_mov_b32 s17, exec_lo
	v_cmpx_lt_u32_e32 0xffffff, v24
	s_cbranch_execz .LBB298_618
; %bb.611:                              ;   in Loop: Header=BB298_10 Depth=1
	v_lshrrev_b32_e32 v4, 24, v24
	v_bfrev_b32_e32 v51, 1
	s_mov_b32 s18, exec_lo
	v_cmpx_ne_u32_e32 0x80, v4
	s_cbranch_execz .LBB298_617
; %bb.612:                              ;   in Loop: Header=BB298_10 Depth=1
	v_and_b32_e32 v6, 0x7f, v4
	v_mov_b32_e32 v51, 0x7c010000
	s_mov_b32 s19, exec_lo
	v_cmpx_ne_u32_e32 0x7f, v6
	s_cbranch_execz .LBB298_616
; %bb.613:                              ;   in Loop: Header=BB298_10 Depth=1
	v_and_b32_e32 v0, 7, v4
	v_lshrrev_b32_e32 v3, 3, v6
	s_mov_b32 s20, exec_lo
	v_cmpx_gt_u32_e32 8, v6
; %bb.614:                              ;   in Loop: Header=BB298_10 Depth=1
	v_ffbh_u32_e32 v0, v0
	v_min_u32_e32 v0, 32, v0
	v_subrev_nc_u32_e32 v3, 28, v0
	v_lshlrev_b64 v[6:7], v3, v[4:5]
	v_sub_nc_u32_e32 v3, 29, v0
	v_and_b32_e32 v0, 7, v6
; %bb.615:                              ;   in Loop: Header=BB298_10 Depth=1
	s_or_b32 exec_lo, exec_lo, s20
	v_lshlrev_b32_e32 v4, 8, v4
	v_lshl_add_u32 v3, v3, 10, 0x2000
	v_lshlrev_b32_e32 v0, 23, v0
	v_and_or_b32 v3, 0x8000, v4, v3
	v_lshl_or_b32 v51, v3, 16, v0
.LBB298_616:                            ;   in Loop: Header=BB298_10 Depth=1
	s_or_b32 exec_lo, exec_lo, s19
.LBB298_617:                            ;   in Loop: Header=BB298_10 Depth=1
	s_or_b32 exec_lo, exec_lo, s18
.LBB298_618:                            ;   in Loop: Header=BB298_10 Depth=1
	s_or_b32 exec_lo, exec_lo, s17
	v_mov_b32_e32 v4, v25
	v_cmp_ne_u16_sdwa s5, v25, v5 src0_sel:BYTE_0 src1_sel:DWORD
	s_and_saveexec_b32 s17, s5
	s_cbranch_execz .LBB298_626
; %bb.619:                              ;   in Loop: Header=BB298_10 Depth=1
	v_cmp_ne_u16_sdwa s5, v25, v37 src0_sel:BYTE_0 src1_sel:DWORD
	v_mov_b32_e32 v67, 0x8000
	s_and_saveexec_b32 s18, s5
	s_cbranch_execz .LBB298_625
; %bb.620:                              ;   in Loop: Header=BB298_10 Depth=1
	v_and_b32_e32 v6, 0x7f, v25
	v_mov_b32_e32 v67, 0x7c01
	s_mov_b32 s19, exec_lo
	v_cmpx_ne_u32_e32 0x7f, v6
	s_cbranch_execz .LBB298_624
; %bb.621:                              ;   in Loop: Header=BB298_10 Depth=1
	v_and_b32_e32 v0, 7, v25
	v_lshrrev_b32_e32 v3, 3, v6
	s_mov_b32 s20, exec_lo
	v_cmpx_gt_u32_e32 8, v6
; %bb.622:                              ;   in Loop: Header=BB298_10 Depth=1
	v_ffbh_u32_e32 v0, v0
	v_min_u32_e32 v0, 32, v0
	v_subrev_nc_u32_e32 v3, 28, v0
	v_lshlrev_b64 v[6:7], v3, v[4:5]
	v_sub_nc_u32_e32 v3, 29, v0
	v_and_b32_e32 v0, 7, v6
; %bb.623:                              ;   in Loop: Header=BB298_10 Depth=1
	s_or_b32 exec_lo, exec_lo, s20
	v_lshlrev_b32_e32 v6, 8, v25
	v_lshl_add_u32 v3, v3, 10, 0x2000
	v_lshlrev_b32_e32 v0, 7, v0
	v_and_b32_e32 v6, 0x8000, v6
	v_and_b32_e32 v3, 0xfc00, v3
	v_or3_b32 v67, v6, v3, v0
.LBB298_624:                            ;   in Loop: Header=BB298_10 Depth=1
	s_or_b32 exec_lo, exec_lo, s19
.LBB298_625:                            ;   in Loop: Header=BB298_10 Depth=1
	s_or_b32 exec_lo, exec_lo, s18
.LBB298_626:                            ;   in Loop: Header=BB298_10 Depth=1
	s_or_b32 exec_lo, exec_lo, s17
	v_lshrrev_b16 v4, 8, v4
	v_mov_b32_e32 v53, 0
	v_mov_b32_e32 v54, 0
	s_mov_b32 s17, exec_lo
	v_cmpx_ne_u16_e32 0, v4
	s_cbranch_execz .LBB298_634
; %bb.627:                              ;   in Loop: Header=BB298_10 Depth=1
	v_bfrev_b32_e32 v54, 1
	s_mov_b32 s18, exec_lo
	v_cmpx_ne_u16_e32 0x80, v4
	s_cbranch_execz .LBB298_633
; %bb.628:                              ;   in Loop: Header=BB298_10 Depth=1
	v_mov_b32_e32 v0, 0x7f
	v_mov_b32_e32 v54, 0x7c010000
	s_mov_b32 s19, exec_lo
	v_and_b32_sdwa v6, v4, v0 dst_sel:DWORD dst_unused:UNUSED_PAD src0_sel:WORD_0 src1_sel:DWORD
	v_cmpx_ne_u32_e32 0x7f, v6
	s_cbranch_execz .LBB298_632
; %bb.629:                              ;   in Loop: Header=BB298_10 Depth=1
	v_mov_b32_e32 v0, 7
	v_lshrrev_b32_e32 v3, 3, v6
	s_mov_b32 s20, exec_lo
	v_and_b32_sdwa v0, v4, v0 dst_sel:DWORD dst_unused:UNUSED_PAD src0_sel:WORD_0 src1_sel:DWORD
	v_cmpx_gt_u32_e32 8, v6
; %bb.630:                              ;   in Loop: Header=BB298_10 Depth=1
	v_ffbh_u32_e32 v0, v0
	v_min_u32_e32 v0, 32, v0
	v_subrev_nc_u32_e32 v3, 28, v0
	v_lshlrev_b64 v[6:7], v3, v[4:5]
	v_sub_nc_u32_e32 v3, 29, v0
	v_and_b32_e32 v0, 7, v6
; %bb.631:                              ;   in Loop: Header=BB298_10 Depth=1
	s_or_b32 exec_lo, exec_lo, s20
	v_mov_b32_e32 v6, 8
	v_lshl_add_u32 v3, v3, 10, 0x2000
	v_lshlrev_b32_e32 v0, 23, v0
	v_lshlrev_b32_sdwa v4, v6, v4 dst_sel:DWORD dst_unused:UNUSED_PAD src0_sel:DWORD src1_sel:WORD_0
	v_and_or_b32 v3, 0x8000, v4, v3
	v_lshl_or_b32 v54, v3, 16, v0
.LBB298_632:                            ;   in Loop: Header=BB298_10 Depth=1
	s_or_b32 exec_lo, exec_lo, s19
.LBB298_633:                            ;   in Loop: Header=BB298_10 Depth=1
	s_or_b32 exec_lo, exec_lo, s18
.LBB298_634:                            ;   in Loop: Header=BB298_10 Depth=1
	s_or_b32 exec_lo, exec_lo, s17
	v_lshrrev_b32_e32 v4, 16, v25
	v_cmp_ne_u16_sdwa s5, v4, v5 src0_sel:BYTE_0 src1_sel:DWORD
	s_and_saveexec_b32 s17, s5
	s_cbranch_execz .LBB298_642
; %bb.635:                              ;   in Loop: Header=BB298_10 Depth=1
	v_cmp_ne_u16_sdwa s5, v4, v37 src0_sel:BYTE_0 src1_sel:DWORD
	v_mov_b32_e32 v53, 0x8000
	s_and_saveexec_b32 s18, s5
	s_cbranch_execz .LBB298_641
; %bb.636:                              ;   in Loop: Header=BB298_10 Depth=1
	v_bfe_u32 v6, v25, 16, 7
	v_mov_b32_e32 v53, 0x7c01
	s_mov_b32 s19, exec_lo
	v_cmpx_ne_u32_e32 0x7f, v6
	s_cbranch_execz .LBB298_640
; %bb.637:                              ;   in Loop: Header=BB298_10 Depth=1
	v_and_b32_e32 v0, 7, v4
	v_lshrrev_b32_e32 v3, 3, v6
	s_mov_b32 s20, exec_lo
	v_cmpx_gt_u32_e32 8, v6
; %bb.638:                              ;   in Loop: Header=BB298_10 Depth=1
	v_ffbh_u32_e32 v0, v0
	v_min_u32_e32 v0, 32, v0
	v_subrev_nc_u32_e32 v3, 28, v0
	v_lshlrev_b64 v[6:7], v3, v[4:5]
	v_sub_nc_u32_e32 v3, 29, v0
	v_and_b32_e32 v0, 7, v6
; %bb.639:                              ;   in Loop: Header=BB298_10 Depth=1
	s_or_b32 exec_lo, exec_lo, s20
	v_lshlrev_b32_e32 v4, 8, v4
	v_lshl_add_u32 v3, v3, 10, 0x2000
	v_lshlrev_b32_e32 v0, 7, v0
	v_and_b32_e32 v4, 0x8000, v4
	v_and_b32_e32 v3, 0xfc00, v3
	v_or3_b32 v53, v4, v3, v0
.LBB298_640:                            ;   in Loop: Header=BB298_10 Depth=1
	s_or_b32 exec_lo, exec_lo, s19
.LBB298_641:                            ;   in Loop: Header=BB298_10 Depth=1
	s_or_b32 exec_lo, exec_lo, s18
.LBB298_642:                            ;   in Loop: Header=BB298_10 Depth=1
	s_or_b32 exec_lo, exec_lo, s17
	v_mov_b32_e32 v18, 0
	v_mov_b32_e32 v64, 0
	s_mov_b32 s17, exec_lo
	v_cmpx_lt_u64_e64 s[6:7], v[24:25]
	s_cbranch_execz .LBB298_650
; %bb.643:                              ;   in Loop: Header=BB298_10 Depth=1
	v_lshrrev_b32_e32 v4, 24, v25
	v_bfrev_b32_e32 v64, 1
	s_mov_b32 s18, exec_lo
	v_cmpx_ne_u32_e32 0x80, v4
	s_cbranch_execz .LBB298_649
; %bb.644:                              ;   in Loop: Header=BB298_10 Depth=1
	v_and_b32_e32 v6, 0x7f, v4
	v_mov_b32_e32 v64, 0x7c010000
	s_mov_b32 s19, exec_lo
	v_cmpx_ne_u32_e32 0x7f, v6
	s_cbranch_execz .LBB298_648
; %bb.645:                              ;   in Loop: Header=BB298_10 Depth=1
	v_and_b32_e32 v0, 7, v4
	v_lshrrev_b32_e32 v3, 3, v6
	s_mov_b32 s20, exec_lo
	v_cmpx_gt_u32_e32 8, v6
; %bb.646:                              ;   in Loop: Header=BB298_10 Depth=1
	v_ffbh_u32_e32 v0, v0
	v_min_u32_e32 v0, 32, v0
	v_subrev_nc_u32_e32 v3, 28, v0
	v_lshlrev_b64 v[6:7], v3, v[4:5]
	v_sub_nc_u32_e32 v3, 29, v0
	v_and_b32_e32 v0, 7, v6
; %bb.647:                              ;   in Loop: Header=BB298_10 Depth=1
	s_or_b32 exec_lo, exec_lo, s20
	v_lshlrev_b32_e32 v4, 8, v4
	v_lshl_add_u32 v3, v3, 10, 0x2000
	v_lshlrev_b32_e32 v0, 23, v0
	v_and_or_b32 v3, 0x8000, v4, v3
	v_lshl_or_b32 v64, v3, 16, v0
.LBB298_648:                            ;   in Loop: Header=BB298_10 Depth=1
	s_or_b32 exec_lo, exec_lo, s19
.LBB298_649:                            ;   in Loop: Header=BB298_10 Depth=1
	s_or_b32 exec_lo, exec_lo, s18
.LBB298_650:                            ;   in Loop: Header=BB298_10 Depth=1
	s_or_b32 exec_lo, exec_lo, s17
	flat_load_dwordx2 v[24:25], v[16:17] offset:512
	s_waitcnt vmcnt(0) lgkmcnt(0)
	v_cmp_ne_u16_sdwa s5, v24, v5 src0_sel:BYTE_0 src1_sel:DWORD
	s_and_saveexec_b32 s17, s5
	s_cbranch_execz .LBB298_658
; %bb.651:                              ;   in Loop: Header=BB298_10 Depth=1
	v_cmp_ne_u16_sdwa s5, v24, v37 src0_sel:BYTE_0 src1_sel:DWORD
	v_mov_b32_e32 v18, 0x8000
	s_and_saveexec_b32 s18, s5
	s_cbranch_execz .LBB298_657
; %bb.652:                              ;   in Loop: Header=BB298_10 Depth=1
	v_and_b32_e32 v4, 0x7f, v24
	v_mov_b32_e32 v18, 0x7c01
	s_mov_b32 s19, exec_lo
	v_cmpx_ne_u32_e32 0x7f, v4
	s_cbranch_execz .LBB298_656
; %bb.653:                              ;   in Loop: Header=BB298_10 Depth=1
	v_and_b32_e32 v0, 7, v24
	v_lshrrev_b32_e32 v3, 3, v4
	s_mov_b32 s20, exec_lo
	v_cmpx_gt_u32_e32 8, v4
; %bb.654:                              ;   in Loop: Header=BB298_10 Depth=1
	v_ffbh_u32_e32 v0, v0
	v_min_u32_e32 v0, 32, v0
	v_subrev_nc_u32_e32 v3, 28, v0
	v_lshlrev_b64 v[6:7], v3, v[24:25]
	v_sub_nc_u32_e32 v3, 29, v0
	v_and_b32_e32 v0, 7, v6
; %bb.655:                              ;   in Loop: Header=BB298_10 Depth=1
	s_or_b32 exec_lo, exec_lo, s20
	v_lshlrev_b32_e32 v4, 8, v24
	v_lshl_add_u32 v3, v3, 10, 0x2000
	v_lshlrev_b32_e32 v0, 7, v0
	v_and_b32_e32 v4, 0x8000, v4
	v_and_b32_e32 v3, 0xfc00, v3
	v_or3_b32 v18, v4, v3, v0
.LBB298_656:                            ;   in Loop: Header=BB298_10 Depth=1
	s_or_b32 exec_lo, exec_lo, s19
.LBB298_657:                            ;   in Loop: Header=BB298_10 Depth=1
	s_or_b32 exec_lo, exec_lo, s18
.LBB298_658:                            ;   in Loop: Header=BB298_10 Depth=1
	s_or_b32 exec_lo, exec_lo, s17
	v_lshrrev_b16 v4, 8, v24
	v_mov_b32_e32 v39, 0
	v_mov_b32_e32 v38, 0
	s_mov_b32 s17, exec_lo
	v_cmpx_ne_u16_e32 0, v4
	s_cbranch_execz .LBB298_666
; %bb.659:                              ;   in Loop: Header=BB298_10 Depth=1
	v_bfrev_b32_e32 v38, 1
	s_mov_b32 s18, exec_lo
	v_cmpx_ne_u16_e32 0x80, v4
	s_cbranch_execz .LBB298_665
; %bb.660:                              ;   in Loop: Header=BB298_10 Depth=1
	v_mov_b32_e32 v0, 0x7f
	v_mov_b32_e32 v38, 0x7c010000
	s_mov_b32 s19, exec_lo
	v_and_b32_sdwa v6, v4, v0 dst_sel:DWORD dst_unused:UNUSED_PAD src0_sel:WORD_0 src1_sel:DWORD
	v_cmpx_ne_u32_e32 0x7f, v6
	s_cbranch_execz .LBB298_664
; %bb.661:                              ;   in Loop: Header=BB298_10 Depth=1
	v_mov_b32_e32 v0, 7
	v_lshrrev_b32_e32 v3, 3, v6
	s_mov_b32 s20, exec_lo
	v_and_b32_sdwa v0, v4, v0 dst_sel:DWORD dst_unused:UNUSED_PAD src0_sel:WORD_0 src1_sel:DWORD
	v_cmpx_gt_u32_e32 8, v6
; %bb.662:                              ;   in Loop: Header=BB298_10 Depth=1
	v_ffbh_u32_e32 v0, v0
	v_min_u32_e32 v0, 32, v0
	v_subrev_nc_u32_e32 v3, 28, v0
	v_lshlrev_b64 v[6:7], v3, v[4:5]
	v_sub_nc_u32_e32 v3, 29, v0
	v_and_b32_e32 v0, 7, v6
; %bb.663:                              ;   in Loop: Header=BB298_10 Depth=1
	s_or_b32 exec_lo, exec_lo, s20
	v_mov_b32_e32 v6, 8
	v_lshl_add_u32 v3, v3, 10, 0x2000
	v_lshlrev_b32_e32 v0, 23, v0
	v_lshlrev_b32_sdwa v4, v6, v4 dst_sel:DWORD dst_unused:UNUSED_PAD src0_sel:DWORD src1_sel:WORD_0
	v_and_or_b32 v3, 0x8000, v4, v3
	v_lshl_or_b32 v38, v3, 16, v0
.LBB298_664:                            ;   in Loop: Header=BB298_10 Depth=1
	s_or_b32 exec_lo, exec_lo, s19
.LBB298_665:                            ;   in Loop: Header=BB298_10 Depth=1
	s_or_b32 exec_lo, exec_lo, s18
.LBB298_666:                            ;   in Loop: Header=BB298_10 Depth=1
	s_or_b32 exec_lo, exec_lo, s17
	v_lshrrev_b32_e32 v4, 16, v24
	v_cmp_ne_u16_sdwa s5, v4, v5 src0_sel:BYTE_0 src1_sel:DWORD
	s_and_saveexec_b32 s17, s5
	s_cbranch_execz .LBB298_674
; %bb.667:                              ;   in Loop: Header=BB298_10 Depth=1
	v_cmp_ne_u16_sdwa s5, v4, v37 src0_sel:BYTE_0 src1_sel:DWORD
	v_mov_b32_e32 v39, 0x8000
	s_and_saveexec_b32 s18, s5
	s_cbranch_execz .LBB298_673
; %bb.668:                              ;   in Loop: Header=BB298_10 Depth=1
	v_bfe_u32 v6, v24, 16, 7
	v_mov_b32_e32 v39, 0x7c01
	s_mov_b32 s19, exec_lo
	v_cmpx_ne_u32_e32 0x7f, v6
	s_cbranch_execz .LBB298_672
; %bb.669:                              ;   in Loop: Header=BB298_10 Depth=1
	v_and_b32_e32 v0, 7, v4
	v_lshrrev_b32_e32 v3, 3, v6
	s_mov_b32 s20, exec_lo
	v_cmpx_gt_u32_e32 8, v6
; %bb.670:                              ;   in Loop: Header=BB298_10 Depth=1
	v_ffbh_u32_e32 v0, v0
	v_min_u32_e32 v0, 32, v0
	v_subrev_nc_u32_e32 v3, 28, v0
	v_lshlrev_b64 v[6:7], v3, v[4:5]
	v_sub_nc_u32_e32 v3, 29, v0
	v_and_b32_e32 v0, 7, v6
; %bb.671:                              ;   in Loop: Header=BB298_10 Depth=1
	s_or_b32 exec_lo, exec_lo, s20
	v_lshlrev_b32_e32 v4, 8, v4
	v_lshl_add_u32 v3, v3, 10, 0x2000
	v_lshlrev_b32_e32 v0, 7, v0
	v_and_b32_e32 v4, 0x8000, v4
	v_and_b32_e32 v3, 0xfc00, v3
	v_or3_b32 v39, v4, v3, v0
.LBB298_672:                            ;   in Loop: Header=BB298_10 Depth=1
	s_or_b32 exec_lo, exec_lo, s19
.LBB298_673:                            ;   in Loop: Header=BB298_10 Depth=1
	s_or_b32 exec_lo, exec_lo, s18
.LBB298_674:                            ;   in Loop: Header=BB298_10 Depth=1
	s_or_b32 exec_lo, exec_lo, s17
	v_mov_b32_e32 v48, 0
	v_mov_b32_e32 v69, 0
	s_mov_b32 s17, exec_lo
	v_cmpx_lt_u32_e32 0xffffff, v24
	s_cbranch_execz .LBB298_682
; %bb.675:                              ;   in Loop: Header=BB298_10 Depth=1
	v_lshrrev_b32_e32 v4, 24, v24
	v_bfrev_b32_e32 v69, 1
	s_mov_b32 s18, exec_lo
	v_cmpx_ne_u32_e32 0x80, v4
	s_cbranch_execz .LBB298_681
; %bb.676:                              ;   in Loop: Header=BB298_10 Depth=1
	v_and_b32_e32 v6, 0x7f, v4
	v_mov_b32_e32 v69, 0x7c010000
	s_mov_b32 s19, exec_lo
	v_cmpx_ne_u32_e32 0x7f, v6
	s_cbranch_execz .LBB298_680
; %bb.677:                              ;   in Loop: Header=BB298_10 Depth=1
	v_and_b32_e32 v0, 7, v4
	v_lshrrev_b32_e32 v3, 3, v6
	s_mov_b32 s20, exec_lo
	v_cmpx_gt_u32_e32 8, v6
; %bb.678:                              ;   in Loop: Header=BB298_10 Depth=1
	v_ffbh_u32_e32 v0, v0
	v_min_u32_e32 v0, 32, v0
	v_subrev_nc_u32_e32 v3, 28, v0
	v_lshlrev_b64 v[6:7], v3, v[4:5]
	v_sub_nc_u32_e32 v3, 29, v0
	v_and_b32_e32 v0, 7, v6
; %bb.679:                              ;   in Loop: Header=BB298_10 Depth=1
	s_or_b32 exec_lo, exec_lo, s20
	v_lshlrev_b32_e32 v4, 8, v4
	v_lshl_add_u32 v3, v3, 10, 0x2000
	v_lshlrev_b32_e32 v0, 23, v0
	v_and_or_b32 v3, 0x8000, v4, v3
	v_lshl_or_b32 v69, v3, 16, v0
.LBB298_680:                            ;   in Loop: Header=BB298_10 Depth=1
	s_or_b32 exec_lo, exec_lo, s19
.LBB298_681:                            ;   in Loop: Header=BB298_10 Depth=1
	s_or_b32 exec_lo, exec_lo, s18
.LBB298_682:                            ;   in Loop: Header=BB298_10 Depth=1
	s_or_b32 exec_lo, exec_lo, s17
	v_mov_b32_e32 v4, v25
	v_cmp_ne_u16_sdwa s5, v25, v5 src0_sel:BYTE_0 src1_sel:DWORD
	s_and_saveexec_b32 s17, s5
	s_cbranch_execz .LBB298_690
; %bb.683:                              ;   in Loop: Header=BB298_10 Depth=1
	v_cmp_ne_u16_sdwa s5, v25, v37 src0_sel:BYTE_0 src1_sel:DWORD
	v_mov_b32_e32 v48, 0x8000
	s_and_saveexec_b32 s18, s5
	s_cbranch_execz .LBB298_689
; %bb.684:                              ;   in Loop: Header=BB298_10 Depth=1
	v_and_b32_e32 v6, 0x7f, v25
	v_mov_b32_e32 v48, 0x7c01
	s_mov_b32 s19, exec_lo
	v_cmpx_ne_u32_e32 0x7f, v6
	s_cbranch_execz .LBB298_688
; %bb.685:                              ;   in Loop: Header=BB298_10 Depth=1
	v_and_b32_e32 v0, 7, v25
	v_lshrrev_b32_e32 v3, 3, v6
	s_mov_b32 s20, exec_lo
	v_cmpx_gt_u32_e32 8, v6
; %bb.686:                              ;   in Loop: Header=BB298_10 Depth=1
	v_ffbh_u32_e32 v0, v0
	v_min_u32_e32 v0, 32, v0
	v_subrev_nc_u32_e32 v3, 28, v0
	v_lshlrev_b64 v[6:7], v3, v[4:5]
	v_sub_nc_u32_e32 v3, 29, v0
	v_and_b32_e32 v0, 7, v6
; %bb.687:                              ;   in Loop: Header=BB298_10 Depth=1
	s_or_b32 exec_lo, exec_lo, s20
	v_lshlrev_b32_e32 v6, 8, v25
	v_lshl_add_u32 v3, v3, 10, 0x2000
	v_lshlrev_b32_e32 v0, 7, v0
	v_and_b32_e32 v6, 0x8000, v6
	v_and_b32_e32 v3, 0xfc00, v3
	v_or3_b32 v48, v6, v3, v0
.LBB298_688:                            ;   in Loop: Header=BB298_10 Depth=1
	s_or_b32 exec_lo, exec_lo, s19
.LBB298_689:                            ;   in Loop: Header=BB298_10 Depth=1
	s_or_b32 exec_lo, exec_lo, s18
.LBB298_690:                            ;   in Loop: Header=BB298_10 Depth=1
	s_or_b32 exec_lo, exec_lo, s17
	v_lshrrev_b16 v4, 8, v4
	v_mov_b32_e32 v85, 0
	v_mov_b32_e32 v62, 0
	s_mov_b32 s17, exec_lo
	v_cmpx_ne_u16_e32 0, v4
	s_cbranch_execz .LBB298_698
; %bb.691:                              ;   in Loop: Header=BB298_10 Depth=1
	v_bfrev_b32_e32 v62, 1
	s_mov_b32 s18, exec_lo
	v_cmpx_ne_u16_e32 0x80, v4
	s_cbranch_execz .LBB298_697
; %bb.692:                              ;   in Loop: Header=BB298_10 Depth=1
	v_mov_b32_e32 v0, 0x7f
	v_mov_b32_e32 v62, 0x7c010000
	s_mov_b32 s19, exec_lo
	v_and_b32_sdwa v6, v4, v0 dst_sel:DWORD dst_unused:UNUSED_PAD src0_sel:WORD_0 src1_sel:DWORD
	v_cmpx_ne_u32_e32 0x7f, v6
	s_cbranch_execz .LBB298_696
; %bb.693:                              ;   in Loop: Header=BB298_10 Depth=1
	v_mov_b32_e32 v0, 7
	v_lshrrev_b32_e32 v3, 3, v6
	s_mov_b32 s20, exec_lo
	v_and_b32_sdwa v0, v4, v0 dst_sel:DWORD dst_unused:UNUSED_PAD src0_sel:WORD_0 src1_sel:DWORD
	v_cmpx_gt_u32_e32 8, v6
; %bb.694:                              ;   in Loop: Header=BB298_10 Depth=1
	v_ffbh_u32_e32 v0, v0
	v_min_u32_e32 v0, 32, v0
	v_subrev_nc_u32_e32 v3, 28, v0
	v_lshlrev_b64 v[6:7], v3, v[4:5]
	v_sub_nc_u32_e32 v3, 29, v0
	v_and_b32_e32 v0, 7, v6
; %bb.695:                              ;   in Loop: Header=BB298_10 Depth=1
	s_or_b32 exec_lo, exec_lo, s20
	v_mov_b32_e32 v6, 8
	v_lshl_add_u32 v3, v3, 10, 0x2000
	v_lshlrev_b32_e32 v0, 23, v0
	v_lshlrev_b32_sdwa v4, v6, v4 dst_sel:DWORD dst_unused:UNUSED_PAD src0_sel:DWORD src1_sel:WORD_0
	v_and_or_b32 v3, 0x8000, v4, v3
	v_lshl_or_b32 v62, v3, 16, v0
.LBB298_696:                            ;   in Loop: Header=BB298_10 Depth=1
	s_or_b32 exec_lo, exec_lo, s19
.LBB298_697:                            ;   in Loop: Header=BB298_10 Depth=1
	s_or_b32 exec_lo, exec_lo, s18
.LBB298_698:                            ;   in Loop: Header=BB298_10 Depth=1
	s_or_b32 exec_lo, exec_lo, s17
	v_lshrrev_b32_e32 v4, 16, v25
	v_cmp_ne_u16_sdwa s5, v4, v5 src0_sel:BYTE_0 src1_sel:DWORD
	s_and_saveexec_b32 s17, s5
	s_cbranch_execz .LBB298_706
; %bb.699:                              ;   in Loop: Header=BB298_10 Depth=1
	v_cmp_ne_u16_sdwa s5, v4, v37 src0_sel:BYTE_0 src1_sel:DWORD
	v_mov_b32_e32 v85, 0x8000
	s_and_saveexec_b32 s18, s5
	s_cbranch_execz .LBB298_705
; %bb.700:                              ;   in Loop: Header=BB298_10 Depth=1
	v_bfe_u32 v6, v25, 16, 7
	v_mov_b32_e32 v85, 0x7c01
	s_mov_b32 s19, exec_lo
	v_cmpx_ne_u32_e32 0x7f, v6
	s_cbranch_execz .LBB298_704
; %bb.701:                              ;   in Loop: Header=BB298_10 Depth=1
	v_and_b32_e32 v0, 7, v4
	v_lshrrev_b32_e32 v3, 3, v6
	s_mov_b32 s20, exec_lo
	v_cmpx_gt_u32_e32 8, v6
; %bb.702:                              ;   in Loop: Header=BB298_10 Depth=1
	v_ffbh_u32_e32 v0, v0
	v_min_u32_e32 v0, 32, v0
	v_subrev_nc_u32_e32 v3, 28, v0
	v_lshlrev_b64 v[6:7], v3, v[4:5]
	v_sub_nc_u32_e32 v3, 29, v0
	v_and_b32_e32 v0, 7, v6
; %bb.703:                              ;   in Loop: Header=BB298_10 Depth=1
	s_or_b32 exec_lo, exec_lo, s20
	v_lshlrev_b32_e32 v4, 8, v4
	v_lshl_add_u32 v3, v3, 10, 0x2000
	v_lshlrev_b32_e32 v0, 7, v0
	v_and_b32_e32 v4, 0x8000, v4
	v_and_b32_e32 v3, 0xfc00, v3
	v_or3_b32 v85, v4, v3, v0
.LBB298_704:                            ;   in Loop: Header=BB298_10 Depth=1
	s_or_b32 exec_lo, exec_lo, s19
.LBB298_705:                            ;   in Loop: Header=BB298_10 Depth=1
	s_or_b32 exec_lo, exec_lo, s18
.LBB298_706:                            ;   in Loop: Header=BB298_10 Depth=1
	s_or_b32 exec_lo, exec_lo, s17
	v_mov_b32_e32 v3, 0
	v_mov_b32_e32 v63, 0
	s_mov_b32 s17, exec_lo
	v_cmpx_lt_u64_e64 s[6:7], v[24:25]
	s_cbranch_execz .LBB298_714
; %bb.707:                              ;   in Loop: Header=BB298_10 Depth=1
	v_lshrrev_b32_e32 v4, 24, v25
	v_bfrev_b32_e32 v63, 1
	s_mov_b32 s18, exec_lo
	v_cmpx_ne_u32_e32 0x80, v4
	s_cbranch_execz .LBB298_713
; %bb.708:                              ;   in Loop: Header=BB298_10 Depth=1
	v_and_b32_e32 v7, 0x7f, v4
	v_mov_b32_e32 v63, 0x7c010000
	s_mov_b32 s19, exec_lo
	v_cmpx_ne_u32_e32 0x7f, v7
	s_cbranch_execz .LBB298_712
; %bb.709:                              ;   in Loop: Header=BB298_10 Depth=1
	v_and_b32_e32 v0, 7, v4
	v_lshrrev_b32_e32 v6, 3, v7
	s_mov_b32 s20, exec_lo
	v_cmpx_gt_u32_e32 8, v7
; %bb.710:                              ;   in Loop: Header=BB298_10 Depth=1
	v_ffbh_u32_e32 v0, v0
	v_min_u32_e32 v0, 32, v0
	v_subrev_nc_u32_e32 v6, 28, v0
	v_lshlrev_b64 v[7:8], v6, v[4:5]
	v_sub_nc_u32_e32 v6, 29, v0
	v_and_b32_e32 v0, 7, v7
; %bb.711:                              ;   in Loop: Header=BB298_10 Depth=1
	s_or_b32 exec_lo, exec_lo, s20
	v_lshlrev_b32_e32 v4, 8, v4
	v_lshl_add_u32 v6, v6, 10, 0x2000
	v_lshlrev_b32_e32 v0, 23, v0
	v_and_or_b32 v4, 0x8000, v4, v6
	v_lshl_or_b32 v63, v4, 16, v0
.LBB298_712:                            ;   in Loop: Header=BB298_10 Depth=1
	s_or_b32 exec_lo, exec_lo, s19
.LBB298_713:                            ;   in Loop: Header=BB298_10 Depth=1
	s_or_b32 exec_lo, exec_lo, s18
.LBB298_714:                            ;   in Loop: Header=BB298_10 Depth=1
	s_or_b32 exec_lo, exec_lo, s17
	flat_load_dwordx2 v[24:25], v[16:17] offset:520
	s_waitcnt vmcnt(0) lgkmcnt(0)
	v_cmp_ne_u16_sdwa s5, v24, v5 src0_sel:BYTE_0 src1_sel:DWORD
	s_and_saveexec_b32 s17, s5
	s_cbranch_execz .LBB298_722
; %bb.715:                              ;   in Loop: Header=BB298_10 Depth=1
	v_cmp_ne_u16_sdwa s5, v24, v37 src0_sel:BYTE_0 src1_sel:DWORD
	v_mov_b32_e32 v3, 0x8000
	s_and_saveexec_b32 s18, s5
	s_cbranch_execz .LBB298_721
; %bb.716:                              ;   in Loop: Header=BB298_10 Depth=1
	v_and_b32_e32 v4, 0x7f, v24
	v_mov_b32_e32 v3, 0x7c01
	s_mov_b32 s19, exec_lo
	v_cmpx_ne_u32_e32 0x7f, v4
	s_cbranch_execz .LBB298_720
; %bb.717:                              ;   in Loop: Header=BB298_10 Depth=1
	v_and_b32_e32 v0, 7, v24
	v_lshrrev_b32_e32 v3, 3, v4
	s_mov_b32 s20, exec_lo
	v_cmpx_gt_u32_e32 8, v4
; %bb.718:                              ;   in Loop: Header=BB298_10 Depth=1
	v_ffbh_u32_e32 v0, v0
	v_min_u32_e32 v0, 32, v0
	v_subrev_nc_u32_e32 v3, 28, v0
	v_lshlrev_b64 v[6:7], v3, v[24:25]
	v_sub_nc_u32_e32 v3, 29, v0
	v_and_b32_e32 v0, 7, v6
; %bb.719:                              ;   in Loop: Header=BB298_10 Depth=1
	s_or_b32 exec_lo, exec_lo, s20
	v_lshlrev_b32_e32 v4, 8, v24
	v_lshl_add_u32 v3, v3, 10, 0x2000
	v_lshlrev_b32_e32 v0, 7, v0
	v_and_b32_e32 v4, 0x8000, v4
	v_and_b32_e32 v3, 0xfc00, v3
	v_or3_b32 v3, v4, v3, v0
.LBB298_720:                            ;   in Loop: Header=BB298_10 Depth=1
	s_or_b32 exec_lo, exec_lo, s19
.LBB298_721:                            ;   in Loop: Header=BB298_10 Depth=1
	s_or_b32 exec_lo, exec_lo, s18
.LBB298_722:                            ;   in Loop: Header=BB298_10 Depth=1
	s_or_b32 exec_lo, exec_lo, s17
	v_lshrrev_b16 v4, 8, v24
	v_mov_b32_e32 v12, 0
	v_mov_b32_e32 v13, 0
	s_mov_b32 s17, exec_lo
	v_cmpx_ne_u16_e32 0, v4
	s_cbranch_execz .LBB298_730
; %bb.723:                              ;   in Loop: Header=BB298_10 Depth=1
	v_bfrev_b32_e32 v13, 1
	s_mov_b32 s18, exec_lo
	v_cmpx_ne_u16_e32 0x80, v4
	s_cbranch_execz .LBB298_729
; %bb.724:                              ;   in Loop: Header=BB298_10 Depth=1
	v_mov_b32_e32 v0, 0x7f
	v_mov_b32_e32 v13, 0x7c010000
	s_mov_b32 s19, exec_lo
	v_and_b32_sdwa v7, v4, v0 dst_sel:DWORD dst_unused:UNUSED_PAD src0_sel:WORD_0 src1_sel:DWORD
	v_cmpx_ne_u32_e32 0x7f, v7
	s_cbranch_execz .LBB298_728
; %bb.725:                              ;   in Loop: Header=BB298_10 Depth=1
	v_mov_b32_e32 v0, 7
	v_lshrrev_b32_e32 v6, 3, v7
	s_mov_b32 s20, exec_lo
	v_and_b32_sdwa v0, v4, v0 dst_sel:DWORD dst_unused:UNUSED_PAD src0_sel:WORD_0 src1_sel:DWORD
	v_cmpx_gt_u32_e32 8, v7
; %bb.726:                              ;   in Loop: Header=BB298_10 Depth=1
	v_ffbh_u32_e32 v0, v0
	v_min_u32_e32 v0, 32, v0
	v_subrev_nc_u32_e32 v6, 28, v0
	v_lshlrev_b64 v[7:8], v6, v[4:5]
	v_sub_nc_u32_e32 v6, 29, v0
	v_and_b32_e32 v0, 7, v7
; %bb.727:                              ;   in Loop: Header=BB298_10 Depth=1
	s_or_b32 exec_lo, exec_lo, s20
	v_mov_b32_e32 v7, 8
	v_lshl_add_u32 v6, v6, 10, 0x2000
	v_lshlrev_b32_e32 v0, 23, v0
	v_lshlrev_b32_sdwa v4, v7, v4 dst_sel:DWORD dst_unused:UNUSED_PAD src0_sel:DWORD src1_sel:WORD_0
	v_and_or_b32 v4, 0x8000, v4, v6
	v_lshl_or_b32 v13, v4, 16, v0
.LBB298_728:                            ;   in Loop: Header=BB298_10 Depth=1
	s_or_b32 exec_lo, exec_lo, s19
.LBB298_729:                            ;   in Loop: Header=BB298_10 Depth=1
	s_or_b32 exec_lo, exec_lo, s18
.LBB298_730:                            ;   in Loop: Header=BB298_10 Depth=1
	s_or_b32 exec_lo, exec_lo, s17
	v_lshrrev_b32_e32 v4, 16, v24
	v_cmp_ne_u16_sdwa s5, v4, v5 src0_sel:BYTE_0 src1_sel:DWORD
	s_and_saveexec_b32 s17, s5
	s_cbranch_execz .LBB298_738
; %bb.731:                              ;   in Loop: Header=BB298_10 Depth=1
	v_cmp_ne_u16_sdwa s5, v4, v37 src0_sel:BYTE_0 src1_sel:DWORD
	v_mov_b32_e32 v12, 0x8000
	s_and_saveexec_b32 s18, s5
	s_cbranch_execz .LBB298_737
; %bb.732:                              ;   in Loop: Header=BB298_10 Depth=1
	v_bfe_u32 v7, v24, 16, 7
	v_mov_b32_e32 v12, 0x7c01
	s_mov_b32 s19, exec_lo
	v_cmpx_ne_u32_e32 0x7f, v7
	s_cbranch_execz .LBB298_736
; %bb.733:                              ;   in Loop: Header=BB298_10 Depth=1
	v_and_b32_e32 v0, 7, v4
	v_lshrrev_b32_e32 v6, 3, v7
	s_mov_b32 s20, exec_lo
	v_cmpx_gt_u32_e32 8, v7
; %bb.734:                              ;   in Loop: Header=BB298_10 Depth=1
	v_ffbh_u32_e32 v0, v0
	v_min_u32_e32 v0, 32, v0
	v_subrev_nc_u32_e32 v6, 28, v0
	v_lshlrev_b64 v[7:8], v6, v[4:5]
	v_sub_nc_u32_e32 v6, 29, v0
	v_and_b32_e32 v0, 7, v7
; %bb.735:                              ;   in Loop: Header=BB298_10 Depth=1
	s_or_b32 exec_lo, exec_lo, s20
	v_lshlrev_b32_e32 v4, 8, v4
	v_lshl_add_u32 v6, v6, 10, 0x2000
	v_lshlrev_b32_e32 v0, 7, v0
	v_and_b32_e32 v4, 0x8000, v4
	v_and_b32_e32 v6, 0xfc00, v6
	v_or3_b32 v12, v4, v6, v0
.LBB298_736:                            ;   in Loop: Header=BB298_10 Depth=1
	s_or_b32 exec_lo, exec_lo, s19
.LBB298_737:                            ;   in Loop: Header=BB298_10 Depth=1
	s_or_b32 exec_lo, exec_lo, s18
.LBB298_738:                            ;   in Loop: Header=BB298_10 Depth=1
	s_or_b32 exec_lo, exec_lo, s17
	v_mov_b32_e32 v19, 0
	v_mov_b32_e32 v26, 0
	s_mov_b32 s17, exec_lo
	v_cmpx_lt_u32_e32 0xffffff, v24
	s_cbranch_execz .LBB298_746
; %bb.739:                              ;   in Loop: Header=BB298_10 Depth=1
	v_lshrrev_b32_e32 v4, 24, v24
	v_bfrev_b32_e32 v26, 1
	s_mov_b32 s18, exec_lo
	v_cmpx_ne_u32_e32 0x80, v4
	s_cbranch_execz .LBB298_745
; %bb.740:                              ;   in Loop: Header=BB298_10 Depth=1
	v_and_b32_e32 v7, 0x7f, v4
	v_mov_b32_e32 v26, 0x7c010000
	s_mov_b32 s19, exec_lo
	v_cmpx_ne_u32_e32 0x7f, v7
	s_cbranch_execz .LBB298_744
; %bb.741:                              ;   in Loop: Header=BB298_10 Depth=1
	v_and_b32_e32 v0, 7, v4
	v_lshrrev_b32_e32 v6, 3, v7
	s_mov_b32 s20, exec_lo
	v_cmpx_gt_u32_e32 8, v7
; %bb.742:                              ;   in Loop: Header=BB298_10 Depth=1
	v_ffbh_u32_e32 v0, v0
	v_min_u32_e32 v0, 32, v0
	v_subrev_nc_u32_e32 v6, 28, v0
	v_lshlrev_b64 v[7:8], v6, v[4:5]
	v_sub_nc_u32_e32 v6, 29, v0
	v_and_b32_e32 v0, 7, v7
; %bb.743:                              ;   in Loop: Header=BB298_10 Depth=1
	s_or_b32 exec_lo, exec_lo, s20
	v_lshlrev_b32_e32 v4, 8, v4
	v_lshl_add_u32 v6, v6, 10, 0x2000
	v_lshlrev_b32_e32 v0, 23, v0
	v_and_or_b32 v4, 0x8000, v4, v6
	v_lshl_or_b32 v26, v4, 16, v0
.LBB298_744:                            ;   in Loop: Header=BB298_10 Depth=1
	s_or_b32 exec_lo, exec_lo, s19
.LBB298_745:                            ;   in Loop: Header=BB298_10 Depth=1
	s_or_b32 exec_lo, exec_lo, s18
.LBB298_746:                            ;   in Loop: Header=BB298_10 Depth=1
	s_or_b32 exec_lo, exec_lo, s17
	v_mov_b32_e32 v4, v25
	v_cmp_ne_u16_sdwa s5, v25, v5 src0_sel:BYTE_0 src1_sel:DWORD
	s_and_saveexec_b32 s17, s5
	s_cbranch_execz .LBB298_754
; %bb.747:                              ;   in Loop: Header=BB298_10 Depth=1
	v_cmp_ne_u16_sdwa s5, v25, v37 src0_sel:BYTE_0 src1_sel:DWORD
	v_mov_b32_e32 v19, 0x8000
	s_and_saveexec_b32 s18, s5
	s_cbranch_execz .LBB298_753
; %bb.748:                              ;   in Loop: Header=BB298_10 Depth=1
	v_and_b32_e32 v7, 0x7f, v25
	v_mov_b32_e32 v19, 0x7c01
	s_mov_b32 s19, exec_lo
	v_cmpx_ne_u32_e32 0x7f, v7
	s_cbranch_execz .LBB298_752
; %bb.749:                              ;   in Loop: Header=BB298_10 Depth=1
	v_and_b32_e32 v0, 7, v25
	v_lshrrev_b32_e32 v6, 3, v7
	s_mov_b32 s20, exec_lo
	v_cmpx_gt_u32_e32 8, v7
; %bb.750:                              ;   in Loop: Header=BB298_10 Depth=1
	v_ffbh_u32_e32 v0, v0
	v_min_u32_e32 v0, 32, v0
	v_subrev_nc_u32_e32 v6, 28, v0
	v_lshlrev_b64 v[7:8], v6, v[4:5]
	v_sub_nc_u32_e32 v6, 29, v0
	v_and_b32_e32 v0, 7, v7
; %bb.751:                              ;   in Loop: Header=BB298_10 Depth=1
	s_or_b32 exec_lo, exec_lo, s20
	v_lshlrev_b32_e32 v7, 8, v25
	v_lshl_add_u32 v6, v6, 10, 0x2000
	v_lshlrev_b32_e32 v0, 7, v0
	v_and_b32_e32 v7, 0x8000, v7
	v_and_b32_e32 v6, 0xfc00, v6
	v_or3_b32 v19, v7, v6, v0
.LBB298_752:                            ;   in Loop: Header=BB298_10 Depth=1
	s_or_b32 exec_lo, exec_lo, s19
.LBB298_753:                            ;   in Loop: Header=BB298_10 Depth=1
	s_or_b32 exec_lo, exec_lo, s18
.LBB298_754:                            ;   in Loop: Header=BB298_10 Depth=1
	s_or_b32 exec_lo, exec_lo, s17
	v_lshrrev_b16 v4, 8, v4
	v_mov_b32_e32 v31, 0
	v_mov_b32_e32 v30, 0
	s_mov_b32 s17, exec_lo
	v_cmpx_ne_u16_e32 0, v4
	s_cbranch_execz .LBB298_762
; %bb.755:                              ;   in Loop: Header=BB298_10 Depth=1
	v_bfrev_b32_e32 v30, 1
	s_mov_b32 s18, exec_lo
	v_cmpx_ne_u16_e32 0x80, v4
	s_cbranch_execz .LBB298_761
; %bb.756:                              ;   in Loop: Header=BB298_10 Depth=1
	v_mov_b32_e32 v0, 0x7f
	v_mov_b32_e32 v30, 0x7c010000
	s_mov_b32 s19, exec_lo
	v_and_b32_sdwa v7, v4, v0 dst_sel:DWORD dst_unused:UNUSED_PAD src0_sel:WORD_0 src1_sel:DWORD
	v_cmpx_ne_u32_e32 0x7f, v7
	s_cbranch_execz .LBB298_760
; %bb.757:                              ;   in Loop: Header=BB298_10 Depth=1
	v_mov_b32_e32 v0, 7
	v_lshrrev_b32_e32 v6, 3, v7
	s_mov_b32 s20, exec_lo
	v_and_b32_sdwa v0, v4, v0 dst_sel:DWORD dst_unused:UNUSED_PAD src0_sel:WORD_0 src1_sel:DWORD
	v_cmpx_gt_u32_e32 8, v7
; %bb.758:                              ;   in Loop: Header=BB298_10 Depth=1
	v_ffbh_u32_e32 v0, v0
	v_min_u32_e32 v0, 32, v0
	v_subrev_nc_u32_e32 v6, 28, v0
	v_lshlrev_b64 v[7:8], v6, v[4:5]
	v_sub_nc_u32_e32 v6, 29, v0
	v_and_b32_e32 v0, 7, v7
; %bb.759:                              ;   in Loop: Header=BB298_10 Depth=1
	s_or_b32 exec_lo, exec_lo, s20
	v_mov_b32_e32 v7, 8
	v_lshl_add_u32 v6, v6, 10, 0x2000
	v_lshlrev_b32_e32 v0, 23, v0
	v_lshlrev_b32_sdwa v4, v7, v4 dst_sel:DWORD dst_unused:UNUSED_PAD src0_sel:DWORD src1_sel:WORD_0
	v_and_or_b32 v4, 0x8000, v4, v6
	v_lshl_or_b32 v30, v4, 16, v0
.LBB298_760:                            ;   in Loop: Header=BB298_10 Depth=1
	s_or_b32 exec_lo, exec_lo, s19
.LBB298_761:                            ;   in Loop: Header=BB298_10 Depth=1
	s_or_b32 exec_lo, exec_lo, s18
.LBB298_762:                            ;   in Loop: Header=BB298_10 Depth=1
	s_or_b32 exec_lo, exec_lo, s17
	v_lshrrev_b32_e32 v4, 16, v25
	v_cmp_ne_u16_sdwa s5, v4, v5 src0_sel:BYTE_0 src1_sel:DWORD
	s_and_saveexec_b32 s17, s5
	s_cbranch_execz .LBB298_770
; %bb.763:                              ;   in Loop: Header=BB298_10 Depth=1
	v_cmp_ne_u16_sdwa s5, v4, v37 src0_sel:BYTE_0 src1_sel:DWORD
	v_mov_b32_e32 v31, 0x8000
	s_and_saveexec_b32 s18, s5
	s_cbranch_execz .LBB298_769
; %bb.764:                              ;   in Loop: Header=BB298_10 Depth=1
	v_bfe_u32 v7, v25, 16, 7
	v_mov_b32_e32 v31, 0x7c01
	s_mov_b32 s19, exec_lo
	v_cmpx_ne_u32_e32 0x7f, v7
	s_cbranch_execz .LBB298_768
; %bb.765:                              ;   in Loop: Header=BB298_10 Depth=1
	v_and_b32_e32 v0, 7, v4
	v_lshrrev_b32_e32 v6, 3, v7
	s_mov_b32 s20, exec_lo
	v_cmpx_gt_u32_e32 8, v7
; %bb.766:                              ;   in Loop: Header=BB298_10 Depth=1
	v_ffbh_u32_e32 v0, v0
	v_min_u32_e32 v0, 32, v0
	v_subrev_nc_u32_e32 v6, 28, v0
	v_lshlrev_b64 v[7:8], v6, v[4:5]
	v_sub_nc_u32_e32 v6, 29, v0
	v_and_b32_e32 v0, 7, v7
; %bb.767:                              ;   in Loop: Header=BB298_10 Depth=1
	s_or_b32 exec_lo, exec_lo, s20
	v_lshlrev_b32_e32 v4, 8, v4
	v_lshl_add_u32 v6, v6, 10, 0x2000
	v_lshlrev_b32_e32 v0, 7, v0
	v_and_b32_e32 v4, 0x8000, v4
	v_and_b32_e32 v6, 0xfc00, v6
	v_or3_b32 v31, v4, v6, v0
.LBB298_768:                            ;   in Loop: Header=BB298_10 Depth=1
	s_or_b32 exec_lo, exec_lo, s19
.LBB298_769:                            ;   in Loop: Header=BB298_10 Depth=1
	s_or_b32 exec_lo, exec_lo, s18
.LBB298_770:                            ;   in Loop: Header=BB298_10 Depth=1
	s_or_b32 exec_lo, exec_lo, s17
	v_mov_b32_e32 v6, 0
	v_mov_b32_e32 v70, 0
	s_mov_b32 s17, exec_lo
	v_cmpx_lt_u64_e64 s[6:7], v[24:25]
	s_cbranch_execz .LBB298_778
; %bb.771:                              ;   in Loop: Header=BB298_10 Depth=1
	v_lshrrev_b32_e32 v4, 24, v25
	v_bfrev_b32_e32 v70, 1
	s_mov_b32 s18, exec_lo
	v_cmpx_ne_u32_e32 0x80, v4
	s_cbranch_execz .LBB298_777
; %bb.772:                              ;   in Loop: Header=BB298_10 Depth=1
	v_and_b32_e32 v8, 0x7f, v4
	v_mov_b32_e32 v70, 0x7c010000
	s_mov_b32 s19, exec_lo
	v_cmpx_ne_u32_e32 0x7f, v8
	s_cbranch_execz .LBB298_776
; %bb.773:                              ;   in Loop: Header=BB298_10 Depth=1
	v_and_b32_e32 v0, 7, v4
	v_lshrrev_b32_e32 v7, 3, v8
	s_mov_b32 s20, exec_lo
	v_cmpx_gt_u32_e32 8, v8
; %bb.774:                              ;   in Loop: Header=BB298_10 Depth=1
	v_ffbh_u32_e32 v0, v0
	v_min_u32_e32 v0, 32, v0
	v_subrev_nc_u32_e32 v7, 28, v0
	v_lshlrev_b64 v[24:25], v7, v[4:5]
	v_sub_nc_u32_e32 v7, 29, v0
	v_and_b32_e32 v0, 7, v24
; %bb.775:                              ;   in Loop: Header=BB298_10 Depth=1
	s_or_b32 exec_lo, exec_lo, s20
	v_lshlrev_b32_e32 v4, 8, v4
	v_lshl_add_u32 v7, v7, 10, 0x2000
	v_lshlrev_b32_e32 v0, 23, v0
	v_and_or_b32 v4, 0x8000, v4, v7
	v_lshl_or_b32 v70, v4, 16, v0
.LBB298_776:                            ;   in Loop: Header=BB298_10 Depth=1
	s_or_b32 exec_lo, exec_lo, s19
.LBB298_777:                            ;   in Loop: Header=BB298_10 Depth=1
	s_or_b32 exec_lo, exec_lo, s18
.LBB298_778:                            ;   in Loop: Header=BB298_10 Depth=1
	s_or_b32 exec_lo, exec_lo, s17
	flat_load_dwordx2 v[24:25], v[16:17] offset:1024
	s_waitcnt vmcnt(0) lgkmcnt(0)
	v_cmp_ne_u16_sdwa s5, v24, v5 src0_sel:BYTE_0 src1_sel:DWORD
	s_and_saveexec_b32 s17, s5
	s_cbranch_execz .LBB298_786
; %bb.779:                              ;   in Loop: Header=BB298_10 Depth=1
	v_cmp_ne_u16_sdwa s5, v24, v37 src0_sel:BYTE_0 src1_sel:DWORD
	v_mov_b32_e32 v6, 0x8000
	s_and_saveexec_b32 s18, s5
	s_cbranch_execz .LBB298_785
; %bb.780:                              ;   in Loop: Header=BB298_10 Depth=1
	v_and_b32_e32 v7, 0x7f, v24
	v_mov_b32_e32 v6, 0x7c01
	s_mov_b32 s19, exec_lo
	v_cmpx_ne_u32_e32 0x7f, v7
	s_cbranch_execz .LBB298_784
; %bb.781:                              ;   in Loop: Header=BB298_10 Depth=1
	v_and_b32_e32 v0, 7, v24
	v_lshrrev_b32_e32 v4, 3, v7
	s_mov_b32 s20, exec_lo
	v_cmpx_gt_u32_e32 8, v7
; %bb.782:                              ;   in Loop: Header=BB298_10 Depth=1
	v_ffbh_u32_e32 v0, v0
	v_min_u32_e32 v0, 32, v0
	v_subrev_nc_u32_e32 v4, 28, v0
	v_lshlrev_b64 v[6:7], v4, v[24:25]
	v_sub_nc_u32_e32 v4, 29, v0
	v_and_b32_e32 v0, 7, v6
; %bb.783:                              ;   in Loop: Header=BB298_10 Depth=1
	s_or_b32 exec_lo, exec_lo, s20
	v_lshlrev_b32_e32 v6, 8, v24
	v_lshl_add_u32 v4, v4, 10, 0x2000
	v_lshlrev_b32_e32 v0, 7, v0
	v_and_b32_e32 v6, 0x8000, v6
	v_and_b32_e32 v4, 0xfc00, v4
	v_or3_b32 v6, v6, v4, v0
.LBB298_784:                            ;   in Loop: Header=BB298_10 Depth=1
	s_or_b32 exec_lo, exec_lo, s19
.LBB298_785:                            ;   in Loop: Header=BB298_10 Depth=1
	s_or_b32 exec_lo, exec_lo, s18
.LBB298_786:                            ;   in Loop: Header=BB298_10 Depth=1
	s_or_b32 exec_lo, exec_lo, s17
	v_lshrrev_b16 v4, 8, v24
	v_mov_b32_e32 v0, 0
	v_mov_b32_e32 v7, 0
	s_mov_b32 s17, exec_lo
	v_cmpx_ne_u16_e32 0, v4
	s_cbranch_execz .LBB298_794
; %bb.787:                              ;   in Loop: Header=BB298_10 Depth=1
	v_bfrev_b32_e32 v7, 1
	s_mov_b32 s18, exec_lo
	v_cmpx_ne_u16_e32 0x80, v4
	s_cbranch_execz .LBB298_793
; %bb.788:                              ;   in Loop: Header=BB298_10 Depth=1
	v_mov_b32_e32 v7, 0x7f
	s_mov_b32 s19, exec_lo
	v_and_b32_sdwa v33, v4, v7 dst_sel:DWORD dst_unused:UNUSED_PAD src0_sel:WORD_0 src1_sel:DWORD
	v_mov_b32_e32 v7, 0x7c010000
	v_cmpx_ne_u32_e32 0x7f, v33
	s_cbranch_execz .LBB298_792
; %bb.789:                              ;   in Loop: Header=BB298_10 Depth=1
	v_mov_b32_e32 v7, 7
	v_lshrrev_b32_e32 v8, 3, v33
	s_mov_b32 s20, exec_lo
	v_and_b32_sdwa v7, v4, v7 dst_sel:DWORD dst_unused:UNUSED_PAD src0_sel:WORD_0 src1_sel:DWORD
	v_cmpx_gt_u32_e32 8, v33
; %bb.790:                              ;   in Loop: Header=BB298_10 Depth=1
	v_ffbh_u32_e32 v7, v7
	v_min_u32_e32 v33, 32, v7
	v_subrev_nc_u32_e32 v7, 28, v33
	v_lshlrev_b64 v[7:8], v7, v[4:5]
	v_sub_nc_u32_e32 v8, 29, v33
	v_and_b32_e32 v7, 7, v7
; %bb.791:                              ;   in Loop: Header=BB298_10 Depth=1
	s_or_b32 exec_lo, exec_lo, s20
	v_mov_b32_e32 v33, 8
	v_lshl_add_u32 v8, v8, 10, 0x2000
	v_lshlrev_b32_e32 v7, 23, v7
	v_lshlrev_b32_sdwa v4, v33, v4 dst_sel:DWORD dst_unused:UNUSED_PAD src0_sel:DWORD src1_sel:WORD_0
	v_and_or_b32 v4, 0x8000, v4, v8
	v_lshl_or_b32 v7, v4, 16, v7
.LBB298_792:                            ;   in Loop: Header=BB298_10 Depth=1
	s_or_b32 exec_lo, exec_lo, s19
.LBB298_793:                            ;   in Loop: Header=BB298_10 Depth=1
	s_or_b32 exec_lo, exec_lo, s18
.LBB298_794:                            ;   in Loop: Header=BB298_10 Depth=1
	s_or_b32 exec_lo, exec_lo, s17
	v_lshrrev_b32_e32 v4, 16, v24
	v_cmp_ne_u16_sdwa s5, v4, v5 src0_sel:BYTE_0 src1_sel:DWORD
	s_and_saveexec_b32 s17, s5
	s_cbranch_execz .LBB298_802
; %bb.795:                              ;   in Loop: Header=BB298_10 Depth=1
	v_cmp_ne_u16_sdwa s5, v4, v37 src0_sel:BYTE_0 src1_sel:DWORD
	v_mov_b32_e32 v0, 0x8000
	s_and_saveexec_b32 s18, s5
	s_cbranch_execz .LBB298_801
; %bb.796:                              ;   in Loop: Header=BB298_10 Depth=1
	v_bfe_u32 v33, v24, 16, 7
	v_mov_b32_e32 v0, 0x7c01
	s_mov_b32 s19, exec_lo
	v_cmpx_ne_u32_e32 0x7f, v33
	s_cbranch_execz .LBB298_800
; %bb.797:                              ;   in Loop: Header=BB298_10 Depth=1
	v_and_b32_e32 v0, 7, v4
	v_lshrrev_b32_e32 v8, 3, v33
	s_mov_b32 s20, exec_lo
	v_cmpx_gt_u32_e32 8, v33
; %bb.798:                              ;   in Loop: Header=BB298_10 Depth=1
	v_ffbh_u32_e32 v0, v0
	v_min_u32_e32 v0, 32, v0
	v_subrev_nc_u32_e32 v8, 28, v0
	v_lshlrev_b64 v[80:81], v8, v[4:5]
	v_sub_nc_u32_e32 v8, 29, v0
	v_and_b32_e32 v0, 7, v80
; %bb.799:                              ;   in Loop: Header=BB298_10 Depth=1
	s_or_b32 exec_lo, exec_lo, s20
	v_lshlrev_b32_e32 v4, 8, v4
	v_lshl_add_u32 v8, v8, 10, 0x2000
	v_lshlrev_b32_e32 v0, 7, v0
	v_and_b32_e32 v4, 0x8000, v4
	v_and_b32_e32 v8, 0xfc00, v8
	v_or3_b32 v0, v4, v8, v0
.LBB298_800:                            ;   in Loop: Header=BB298_10 Depth=1
	s_or_b32 exec_lo, exec_lo, s19
.LBB298_801:                            ;   in Loop: Header=BB298_10 Depth=1
	s_or_b32 exec_lo, exec_lo, s18
.LBB298_802:                            ;   in Loop: Header=BB298_10 Depth=1
	s_or_b32 exec_lo, exec_lo, s17
	v_mov_b32_e32 v33, 0
	v_mov_b32_e32 v8, 0
	s_mov_b32 s17, exec_lo
	v_cmpx_lt_u32_e32 0xffffff, v24
	s_cbranch_execz .LBB298_810
; %bb.803:                              ;   in Loop: Header=BB298_10 Depth=1
	v_lshrrev_b32_e32 v4, 24, v24
	v_bfrev_b32_e32 v8, 1
	s_mov_b32 s18, exec_lo
	v_cmpx_ne_u32_e32 0x80, v4
	s_cbranch_execz .LBB298_809
; %bb.804:                              ;   in Loop: Header=BB298_10 Depth=1
	v_and_b32_e32 v49, 0x7f, v4
	v_mov_b32_e32 v8, 0x7c010000
	s_mov_b32 s19, exec_lo
	v_cmpx_ne_u32_e32 0x7f, v49
	s_cbranch_execz .LBB298_808
; %bb.805:                              ;   in Loop: Header=BB298_10 Depth=1
	v_and_b32_e32 v8, 7, v4
	v_lshrrev_b32_e32 v36, 3, v49
	s_mov_b32 s20, exec_lo
	v_cmpx_gt_u32_e32 8, v49
; %bb.806:                              ;   in Loop: Header=BB298_10 Depth=1
	v_ffbh_u32_e32 v8, v8
	v_min_u32_e32 v8, 32, v8
	v_subrev_nc_u32_e32 v36, 28, v8
	v_lshlrev_b64 v[80:81], v36, v[4:5]
	v_sub_nc_u32_e32 v36, 29, v8
	v_and_b32_e32 v8, 7, v80
; %bb.807:                              ;   in Loop: Header=BB298_10 Depth=1
	s_or_b32 exec_lo, exec_lo, s20
	v_lshlrev_b32_e32 v4, 8, v4
	v_lshl_add_u32 v36, v36, 10, 0x2000
	v_lshlrev_b32_e32 v8, 23, v8
	v_and_or_b32 v4, 0x8000, v4, v36
	v_lshl_or_b32 v8, v4, 16, v8
.LBB298_808:                            ;   in Loop: Header=BB298_10 Depth=1
	s_or_b32 exec_lo, exec_lo, s19
.LBB298_809:                            ;   in Loop: Header=BB298_10 Depth=1
	s_or_b32 exec_lo, exec_lo, s18
.LBB298_810:                            ;   in Loop: Header=BB298_10 Depth=1
	s_or_b32 exec_lo, exec_lo, s17
	v_mov_b32_e32 v4, v25
	v_cmp_ne_u16_sdwa s5, v25, v5 src0_sel:BYTE_0 src1_sel:DWORD
	s_and_saveexec_b32 s17, s5
	s_cbranch_execz .LBB298_818
; %bb.811:                              ;   in Loop: Header=BB298_10 Depth=1
	v_cmp_ne_u16_sdwa s5, v25, v37 src0_sel:BYTE_0 src1_sel:DWORD
	v_mov_b32_e32 v33, 0x8000
	s_and_saveexec_b32 s18, s5
	s_cbranch_execz .LBB298_817
; %bb.812:                              ;   in Loop: Header=BB298_10 Depth=1
	v_and_b32_e32 v49, 0x7f, v25
	v_mov_b32_e32 v33, 0x7c01
	s_mov_b32 s19, exec_lo
	v_cmpx_ne_u32_e32 0x7f, v49
	s_cbranch_execz .LBB298_816
; %bb.813:                              ;   in Loop: Header=BB298_10 Depth=1
	v_and_b32_e32 v33, 7, v25
	v_lshrrev_b32_e32 v36, 3, v49
	s_mov_b32 s20, exec_lo
	v_cmpx_gt_u32_e32 8, v49
; %bb.814:                              ;   in Loop: Header=BB298_10 Depth=1
	v_ffbh_u32_e32 v33, v33
	v_min_u32_e32 v33, 32, v33
	v_subrev_nc_u32_e32 v36, 28, v33
	v_lshlrev_b64 v[80:81], v36, v[4:5]
	v_sub_nc_u32_e32 v36, 29, v33
	v_and_b32_e32 v33, 7, v80
; %bb.815:                              ;   in Loop: Header=BB298_10 Depth=1
	s_or_b32 exec_lo, exec_lo, s20
	v_lshlrev_b32_e32 v49, 8, v25
	v_lshl_add_u32 v36, v36, 10, 0x2000
	v_lshlrev_b32_e32 v33, 7, v33
	v_and_b32_e32 v49, 0x8000, v49
	v_and_b32_e32 v36, 0xfc00, v36
	v_or3_b32 v33, v49, v36, v33
.LBB298_816:                            ;   in Loop: Header=BB298_10 Depth=1
	s_or_b32 exec_lo, exec_lo, s19
.LBB298_817:                            ;   in Loop: Header=BB298_10 Depth=1
	s_or_b32 exec_lo, exec_lo, s18
.LBB298_818:                            ;   in Loop: Header=BB298_10 Depth=1
	s_or_b32 exec_lo, exec_lo, s17
	v_lshrrev_b16 v4, 8, v4
	v_mov_b32_e32 v80, 0
	v_mov_b32_e32 v83, 0
	s_mov_b32 s17, exec_lo
	v_cmpx_ne_u16_e32 0, v4
	s_cbranch_execz .LBB298_826
; %bb.819:                              ;   in Loop: Header=BB298_10 Depth=1
	v_bfrev_b32_e32 v83, 1
	s_mov_b32 s18, exec_lo
	v_cmpx_ne_u16_e32 0x80, v4
	s_cbranch_execz .LBB298_825
; %bb.820:                              ;   in Loop: Header=BB298_10 Depth=1
	v_mov_b32_e32 v36, 0x7f
	v_mov_b32_e32 v83, 0x7c010000
	s_mov_b32 s19, exec_lo
	v_and_b32_sdwa v52, v4, v36 dst_sel:DWORD dst_unused:UNUSED_PAD src0_sel:WORD_0 src1_sel:DWORD
	v_cmpx_ne_u32_e32 0x7f, v52
	s_cbranch_execz .LBB298_824
; %bb.821:                              ;   in Loop: Header=BB298_10 Depth=1
	v_mov_b32_e32 v36, 7
	v_lshrrev_b32_e32 v49, 3, v52
	s_mov_b32 s20, exec_lo
	v_and_b32_sdwa v36, v4, v36 dst_sel:DWORD dst_unused:UNUSED_PAD src0_sel:WORD_0 src1_sel:DWORD
	v_cmpx_gt_u32_e32 8, v52
; %bb.822:                              ;   in Loop: Header=BB298_10 Depth=1
	v_ffbh_u32_e32 v36, v36
	v_min_u32_e32 v36, 32, v36
	v_subrev_nc_u32_e32 v49, 28, v36
	v_lshlrev_b64 v[81:82], v49, v[4:5]
	v_sub_nc_u32_e32 v49, 29, v36
	v_and_b32_e32 v36, 7, v81
; %bb.823:                              ;   in Loop: Header=BB298_10 Depth=1
	s_or_b32 exec_lo, exec_lo, s20
	v_mov_b32_e32 v52, 8
	v_lshl_add_u32 v49, v49, 10, 0x2000
	v_lshlrev_b32_e32 v36, 23, v36
	v_lshlrev_b32_sdwa v4, v52, v4 dst_sel:DWORD dst_unused:UNUSED_PAD src0_sel:DWORD src1_sel:WORD_0
	v_and_or_b32 v4, 0x8000, v4, v49
	v_lshl_or_b32 v83, v4, 16, v36
.LBB298_824:                            ;   in Loop: Header=BB298_10 Depth=1
	s_or_b32 exec_lo, exec_lo, s19
.LBB298_825:                            ;   in Loop: Header=BB298_10 Depth=1
	s_or_b32 exec_lo, exec_lo, s18
.LBB298_826:                            ;   in Loop: Header=BB298_10 Depth=1
	s_or_b32 exec_lo, exec_lo, s17
	v_lshrrev_b32_e32 v4, 16, v25
	v_cmp_ne_u16_sdwa s5, v4, v5 src0_sel:BYTE_0 src1_sel:DWORD
	s_and_saveexec_b32 s17, s5
	s_cbranch_execz .LBB298_834
; %bb.827:                              ;   in Loop: Header=BB298_10 Depth=1
	v_cmp_ne_u16_sdwa s5, v4, v37 src0_sel:BYTE_0 src1_sel:DWORD
	v_mov_b32_e32 v80, 0x8000
	s_and_saveexec_b32 s18, s5
	s_cbranch_execz .LBB298_833
; %bb.828:                              ;   in Loop: Header=BB298_10 Depth=1
	v_bfe_u32 v52, v25, 16, 7
	v_mov_b32_e32 v80, 0x7c01
	s_mov_b32 s19, exec_lo
	v_cmpx_ne_u32_e32 0x7f, v52
	s_cbranch_execz .LBB298_832
; %bb.829:                              ;   in Loop: Header=BB298_10 Depth=1
	v_and_b32_e32 v36, 7, v4
	v_lshrrev_b32_e32 v49, 3, v52
	s_mov_b32 s20, exec_lo
	v_cmpx_gt_u32_e32 8, v52
; %bb.830:                              ;   in Loop: Header=BB298_10 Depth=1
	v_ffbh_u32_e32 v36, v36
	v_min_u32_e32 v36, 32, v36
	v_subrev_nc_u32_e32 v49, 28, v36
	v_lshlrev_b64 v[80:81], v49, v[4:5]
	v_sub_nc_u32_e32 v49, 29, v36
	v_and_b32_e32 v36, 7, v80
; %bb.831:                              ;   in Loop: Header=BB298_10 Depth=1
	s_or_b32 exec_lo, exec_lo, s20
	v_lshlrev_b32_e32 v4, 8, v4
	v_lshl_add_u32 v49, v49, 10, 0x2000
	v_lshlrev_b32_e32 v36, 7, v36
	v_and_b32_e32 v4, 0x8000, v4
	v_and_b32_e32 v49, 0xfc00, v49
	v_or3_b32 v80, v4, v49, v36
.LBB298_832:                            ;   in Loop: Header=BB298_10 Depth=1
	s_or_b32 exec_lo, exec_lo, s19
.LBB298_833:                            ;   in Loop: Header=BB298_10 Depth=1
	s_or_b32 exec_lo, exec_lo, s18
.LBB298_834:                            ;   in Loop: Header=BB298_10 Depth=1
	s_or_b32 exec_lo, exec_lo, s17
	v_mov_b32_e32 v92, 0
	v_mov_b32_e32 v124, 0
	s_mov_b32 s17, exec_lo
	v_cmpx_lt_u64_e64 s[6:7], v[24:25]
	s_cbranch_execz .LBB298_842
; %bb.835:                              ;   in Loop: Header=BB298_10 Depth=1
	v_lshrrev_b32_e32 v4, 24, v25
	v_bfrev_b32_e32 v124, 1
	s_mov_b32 s18, exec_lo
	v_cmpx_ne_u32_e32 0x80, v4
	s_cbranch_execz .LBB298_841
; %bb.836:                              ;   in Loop: Header=BB298_10 Depth=1
	v_and_b32_e32 v36, 0x7f, v4
	v_mov_b32_e32 v124, 0x7c010000
	s_mov_b32 s19, exec_lo
	v_cmpx_ne_u32_e32 0x7f, v36
	s_cbranch_execz .LBB298_840
; %bb.837:                              ;   in Loop: Header=BB298_10 Depth=1
	v_and_b32_e32 v24, 7, v4
	v_lshrrev_b32_e32 v25, 3, v36
	s_mov_b32 s20, exec_lo
	v_cmpx_gt_u32_e32 8, v36
; %bb.838:                              ;   in Loop: Header=BB298_10 Depth=1
	v_ffbh_u32_e32 v24, v24
	v_min_u32_e32 v36, 32, v24
	v_subrev_nc_u32_e32 v24, 28, v36
	v_lshlrev_b64 v[24:25], v24, v[4:5]
	v_sub_nc_u32_e32 v25, 29, v36
	v_and_b32_e32 v24, 7, v24
; %bb.839:                              ;   in Loop: Header=BB298_10 Depth=1
	s_or_b32 exec_lo, exec_lo, s20
	v_lshlrev_b32_e32 v4, 8, v4
	v_lshl_add_u32 v25, v25, 10, 0x2000
	v_lshlrev_b32_e32 v24, 23, v24
	v_and_or_b32 v4, 0x8000, v4, v25
	v_lshl_or_b32 v124, v4, 16, v24
.LBB298_840:                            ;   in Loop: Header=BB298_10 Depth=1
	s_or_b32 exec_lo, exec_lo, s19
.LBB298_841:                            ;   in Loop: Header=BB298_10 Depth=1
	s_or_b32 exec_lo, exec_lo, s18
.LBB298_842:                            ;   in Loop: Header=BB298_10 Depth=1
	s_or_b32 exec_lo, exec_lo, s17
	flat_load_dwordx2 v[24:25], v[16:17] offset:1032
	s_waitcnt vmcnt(0) lgkmcnt(0)
	v_cmp_ne_u16_sdwa s5, v24, v5 src0_sel:BYTE_0 src1_sel:DWORD
	s_and_saveexec_b32 s17, s5
	s_cbranch_execz .LBB298_850
; %bb.843:                              ;   in Loop: Header=BB298_10 Depth=1
	v_cmp_ne_u16_sdwa s5, v24, v37 src0_sel:BYTE_0 src1_sel:DWORD
	v_mov_b32_e32 v92, 0x8000
	s_and_saveexec_b32 s18, s5
	s_cbranch_execz .LBB298_849
; %bb.844:                              ;   in Loop: Header=BB298_10 Depth=1
	v_and_b32_e32 v49, 0x7f, v24
	v_mov_b32_e32 v92, 0x7c01
	s_mov_b32 s19, exec_lo
	v_cmpx_ne_u32_e32 0x7f, v49
	s_cbranch_execz .LBB298_848
; %bb.845:                              ;   in Loop: Header=BB298_10 Depth=1
	v_and_b32_e32 v4, 7, v24
	v_lshrrev_b32_e32 v36, 3, v49
	s_mov_b32 s20, exec_lo
	v_cmpx_gt_u32_e32 8, v49
; %bb.846:                              ;   in Loop: Header=BB298_10 Depth=1
	v_ffbh_u32_e32 v4, v4
	v_min_u32_e32 v4, 32, v4
	v_subrev_nc_u32_e32 v36, 28, v4
	v_lshlrev_b64 v[81:82], v36, v[24:25]
	v_sub_nc_u32_e32 v36, 29, v4
	v_and_b32_e32 v4, 7, v81
; %bb.847:                              ;   in Loop: Header=BB298_10 Depth=1
	s_or_b32 exec_lo, exec_lo, s20
	v_lshlrev_b32_e32 v49, 8, v24
	v_lshl_add_u32 v36, v36, 10, 0x2000
	v_lshlrev_b32_e32 v4, 7, v4
	v_and_b32_e32 v49, 0x8000, v49
	v_and_b32_e32 v36, 0xfc00, v36
	v_or3_b32 v92, v49, v36, v4
.LBB298_848:                            ;   in Loop: Header=BB298_10 Depth=1
	s_or_b32 exec_lo, exec_lo, s19
.LBB298_849:                            ;   in Loop: Header=BB298_10 Depth=1
	s_or_b32 exec_lo, exec_lo, s18
.LBB298_850:                            ;   in Loop: Header=BB298_10 Depth=1
	s_or_b32 exec_lo, exec_lo, s17
	v_lshrrev_b16 v4, 8, v24
	v_mov_b32_e32 v107, 0
	v_mov_b32_e32 v93, 0
	s_mov_b32 s17, exec_lo
	v_cmpx_ne_u16_e32 0, v4
	s_cbranch_execz .LBB298_858
; %bb.851:                              ;   in Loop: Header=BB298_10 Depth=1
	v_bfrev_b32_e32 v93, 1
	s_mov_b32 s18, exec_lo
	v_cmpx_ne_u16_e32 0x80, v4
	s_cbranch_execz .LBB298_857
; %bb.852:                              ;   in Loop: Header=BB298_10 Depth=1
	v_mov_b32_e32 v36, 0x7f
	v_mov_b32_e32 v93, 0x7c010000
	s_mov_b32 s19, exec_lo
	v_and_b32_sdwa v52, v4, v36 dst_sel:DWORD dst_unused:UNUSED_PAD src0_sel:WORD_0 src1_sel:DWORD
	v_cmpx_ne_u32_e32 0x7f, v52
	s_cbranch_execz .LBB298_856
; %bb.853:                              ;   in Loop: Header=BB298_10 Depth=1
	v_mov_b32_e32 v36, 7
	v_lshrrev_b32_e32 v49, 3, v52
	s_mov_b32 s20, exec_lo
	v_and_b32_sdwa v36, v4, v36 dst_sel:DWORD dst_unused:UNUSED_PAD src0_sel:WORD_0 src1_sel:DWORD
	v_cmpx_gt_u32_e32 8, v52
; %bb.854:                              ;   in Loop: Header=BB298_10 Depth=1
	v_ffbh_u32_e32 v36, v36
	v_min_u32_e32 v36, 32, v36
	v_subrev_nc_u32_e32 v49, 28, v36
	v_lshlrev_b64 v[81:82], v49, v[4:5]
	v_sub_nc_u32_e32 v49, 29, v36
	v_and_b32_e32 v36, 7, v81
; %bb.855:                              ;   in Loop: Header=BB298_10 Depth=1
	s_or_b32 exec_lo, exec_lo, s20
	v_mov_b32_e32 v52, 8
	v_lshl_add_u32 v49, v49, 10, 0x2000
	v_lshlrev_b32_e32 v36, 23, v36
	v_lshlrev_b32_sdwa v4, v52, v4 dst_sel:DWORD dst_unused:UNUSED_PAD src0_sel:DWORD src1_sel:WORD_0
	v_and_or_b32 v4, 0x8000, v4, v49
	v_lshl_or_b32 v93, v4, 16, v36
.LBB298_856:                            ;   in Loop: Header=BB298_10 Depth=1
	s_or_b32 exec_lo, exec_lo, s19
.LBB298_857:                            ;   in Loop: Header=BB298_10 Depth=1
	s_or_b32 exec_lo, exec_lo, s18
.LBB298_858:                            ;   in Loop: Header=BB298_10 Depth=1
	s_or_b32 exec_lo, exec_lo, s17
	v_lshrrev_b32_e32 v4, 16, v24
	v_cmp_ne_u16_sdwa s5, v4, v5 src0_sel:BYTE_0 src1_sel:DWORD
	s_and_saveexec_b32 s17, s5
	s_cbranch_execz .LBB298_866
; %bb.859:                              ;   in Loop: Header=BB298_10 Depth=1
	v_cmp_ne_u16_sdwa s5, v4, v37 src0_sel:BYTE_0 src1_sel:DWORD
	v_mov_b32_e32 v107, 0x8000
	s_and_saveexec_b32 s18, s5
	s_cbranch_execz .LBB298_865
; %bb.860:                              ;   in Loop: Header=BB298_10 Depth=1
	v_bfe_u32 v52, v24, 16, 7
	v_mov_b32_e32 v107, 0x7c01
	s_mov_b32 s19, exec_lo
	v_cmpx_ne_u32_e32 0x7f, v52
	s_cbranch_execz .LBB298_864
; %bb.861:                              ;   in Loop: Header=BB298_10 Depth=1
	v_and_b32_e32 v36, 7, v4
	v_lshrrev_b32_e32 v49, 3, v52
	s_mov_b32 s20, exec_lo
	v_cmpx_gt_u32_e32 8, v52
; %bb.862:                              ;   in Loop: Header=BB298_10 Depth=1
	v_ffbh_u32_e32 v36, v36
	v_min_u32_e32 v36, 32, v36
	v_subrev_nc_u32_e32 v49, 28, v36
	v_lshlrev_b64 v[81:82], v49, v[4:5]
	v_sub_nc_u32_e32 v49, 29, v36
	v_and_b32_e32 v36, 7, v81
; %bb.863:                              ;   in Loop: Header=BB298_10 Depth=1
	s_or_b32 exec_lo, exec_lo, s20
	v_lshlrev_b32_e32 v4, 8, v4
	v_lshl_add_u32 v49, v49, 10, 0x2000
	v_lshlrev_b32_e32 v36, 7, v36
	v_and_b32_e32 v4, 0x8000, v4
	v_and_b32_e32 v49, 0xfc00, v49
	v_or3_b32 v107, v4, v49, v36
.LBB298_864:                            ;   in Loop: Header=BB298_10 Depth=1
	s_or_b32 exec_lo, exec_lo, s19
.LBB298_865:                            ;   in Loop: Header=BB298_10 Depth=1
	s_or_b32 exec_lo, exec_lo, s18
.LBB298_866:                            ;   in Loop: Header=BB298_10 Depth=1
	s_or_b32 exec_lo, exec_lo, s17
	v_mov_b32_e32 v109, 0
	v_mov_b32_e32 v110, 0
	s_mov_b32 s17, exec_lo
	v_cmpx_lt_u32_e32 0xffffff, v24
	s_cbranch_execz .LBB298_874
; %bb.867:                              ;   in Loop: Header=BB298_10 Depth=1
	v_lshrrev_b32_e32 v4, 24, v24
	v_bfrev_b32_e32 v110, 1
	s_mov_b32 s18, exec_lo
	v_cmpx_ne_u32_e32 0x80, v4
	s_cbranch_execz .LBB298_873
; %bb.868:                              ;   in Loop: Header=BB298_10 Depth=1
	v_and_b32_e32 v52, 0x7f, v4
	v_mov_b32_e32 v110, 0x7c010000
	s_mov_b32 s19, exec_lo
	v_cmpx_ne_u32_e32 0x7f, v52
	s_cbranch_execz .LBB298_872
; %bb.869:                              ;   in Loop: Header=BB298_10 Depth=1
	v_and_b32_e32 v36, 7, v4
	v_lshrrev_b32_e32 v49, 3, v52
	s_mov_b32 s20, exec_lo
	v_cmpx_gt_u32_e32 8, v52
; %bb.870:                              ;   in Loop: Header=BB298_10 Depth=1
	v_ffbh_u32_e32 v36, v36
	v_min_u32_e32 v36, 32, v36
	v_subrev_nc_u32_e32 v49, 28, v36
	v_lshlrev_b64 v[81:82], v49, v[4:5]
	v_sub_nc_u32_e32 v49, 29, v36
	v_and_b32_e32 v36, 7, v81
; %bb.871:                              ;   in Loop: Header=BB298_10 Depth=1
	s_or_b32 exec_lo, exec_lo, s20
	v_lshlrev_b32_e32 v4, 8, v4
	v_lshl_add_u32 v49, v49, 10, 0x2000
	v_lshlrev_b32_e32 v36, 23, v36
	v_and_or_b32 v4, 0x8000, v4, v49
	v_lshl_or_b32 v110, v4, 16, v36
.LBB298_872:                            ;   in Loop: Header=BB298_10 Depth=1
	s_or_b32 exec_lo, exec_lo, s19
.LBB298_873:                            ;   in Loop: Header=BB298_10 Depth=1
	s_or_b32 exec_lo, exec_lo, s18
.LBB298_874:                            ;   in Loop: Header=BB298_10 Depth=1
	s_or_b32 exec_lo, exec_lo, s17
	v_mov_b32_e32 v4, v25
	v_cmp_ne_u16_sdwa s5, v25, v5 src0_sel:BYTE_0 src1_sel:DWORD
	s_and_saveexec_b32 s17, s5
	s_cbranch_execz .LBB298_882
; %bb.875:                              ;   in Loop: Header=BB298_10 Depth=1
	v_cmp_ne_u16_sdwa s5, v25, v37 src0_sel:BYTE_0 src1_sel:DWORD
	v_mov_b32_e32 v109, 0x8000
	s_and_saveexec_b32 s18, s5
	s_cbranch_execz .LBB298_881
; %bb.876:                              ;   in Loop: Header=BB298_10 Depth=1
	v_and_b32_e32 v52, 0x7f, v25
	v_mov_b32_e32 v109, 0x7c01
	s_mov_b32 s19, exec_lo
	v_cmpx_ne_u32_e32 0x7f, v52
	s_cbranch_execz .LBB298_880
; %bb.877:                              ;   in Loop: Header=BB298_10 Depth=1
	v_and_b32_e32 v36, 7, v25
	v_lshrrev_b32_e32 v49, 3, v52
	s_mov_b32 s20, exec_lo
	v_cmpx_gt_u32_e32 8, v52
; %bb.878:                              ;   in Loop: Header=BB298_10 Depth=1
	v_ffbh_u32_e32 v36, v36
	v_min_u32_e32 v36, 32, v36
	v_subrev_nc_u32_e32 v49, 28, v36
	v_lshlrev_b64 v[81:82], v49, v[4:5]
	v_sub_nc_u32_e32 v49, 29, v36
	v_and_b32_e32 v36, 7, v81
; %bb.879:                              ;   in Loop: Header=BB298_10 Depth=1
	s_or_b32 exec_lo, exec_lo, s20
	v_lshlrev_b32_e32 v52, 8, v25
	v_lshl_add_u32 v49, v49, 10, 0x2000
	v_lshlrev_b32_e32 v36, 7, v36
	v_and_b32_e32 v52, 0x8000, v52
	v_and_b32_e32 v49, 0xfc00, v49
	v_or3_b32 v109, v52, v49, v36
.LBB298_880:                            ;   in Loop: Header=BB298_10 Depth=1
	s_or_b32 exec_lo, exec_lo, s19
.LBB298_881:                            ;   in Loop: Header=BB298_10 Depth=1
	s_or_b32 exec_lo, exec_lo, s18
.LBB298_882:                            ;   in Loop: Header=BB298_10 Depth=1
	s_or_b32 exec_lo, exec_lo, s17
	v_lshrrev_b16 v4, 8, v4
	v_mov_b32_e32 v36, 0
	v_mov_b32_e32 v52, 0
	s_mov_b32 s17, exec_lo
	v_cmpx_ne_u16_e32 0, v4
	s_cbranch_execz .LBB298_890
; %bb.883:                              ;   in Loop: Header=BB298_10 Depth=1
	v_bfrev_b32_e32 v52, 1
	s_mov_b32 s18, exec_lo
	v_cmpx_ne_u16_e32 0x80, v4
	s_cbranch_execz .LBB298_889
; %bb.884:                              ;   in Loop: Header=BB298_10 Depth=1
	v_mov_b32_e32 v49, 0x7f
	v_mov_b32_e32 v52, 0x7c010000
	s_mov_b32 s19, exec_lo
	v_and_b32_sdwa v55, v4, v49 dst_sel:DWORD dst_unused:UNUSED_PAD src0_sel:WORD_0 src1_sel:DWORD
	v_cmpx_ne_u32_e32 0x7f, v55
	s_cbranch_execz .LBB298_888
; %bb.885:                              ;   in Loop: Header=BB298_10 Depth=1
	v_mov_b32_e32 v49, 7
	v_lshrrev_b32_e32 v52, 3, v55
	s_mov_b32 s20, exec_lo
	v_and_b32_sdwa v49, v4, v49 dst_sel:DWORD dst_unused:UNUSED_PAD src0_sel:WORD_0 src1_sel:DWORD
	v_cmpx_gt_u32_e32 8, v55
; %bb.886:                              ;   in Loop: Header=BB298_10 Depth=1
	v_ffbh_u32_e32 v49, v49
	v_min_u32_e32 v49, 32, v49
	v_subrev_nc_u32_e32 v52, 28, v49
	v_lshlrev_b64 v[81:82], v52, v[4:5]
	v_sub_nc_u32_e32 v52, 29, v49
	v_and_b32_e32 v49, 7, v81
; %bb.887:                              ;   in Loop: Header=BB298_10 Depth=1
	s_or_b32 exec_lo, exec_lo, s20
	v_mov_b32_e32 v55, 8
	v_lshl_add_u32 v52, v52, 10, 0x2000
	v_lshlrev_b32_e32 v49, 23, v49
	v_lshlrev_b32_sdwa v4, v55, v4 dst_sel:DWORD dst_unused:UNUSED_PAD src0_sel:DWORD src1_sel:WORD_0
	v_and_or_b32 v4, 0x8000, v4, v52
	v_lshl_or_b32 v52, v4, 16, v49
.LBB298_888:                            ;   in Loop: Header=BB298_10 Depth=1
	s_or_b32 exec_lo, exec_lo, s19
.LBB298_889:                            ;   in Loop: Header=BB298_10 Depth=1
	s_or_b32 exec_lo, exec_lo, s18
.LBB298_890:                            ;   in Loop: Header=BB298_10 Depth=1
	s_or_b32 exec_lo, exec_lo, s17
	v_lshrrev_b32_e32 v4, 16, v25
	v_cmp_ne_u16_sdwa s5, v4, v5 src0_sel:BYTE_0 src1_sel:DWORD
	s_and_saveexec_b32 s17, s5
	s_cbranch_execz .LBB298_898
; %bb.891:                              ;   in Loop: Header=BB298_10 Depth=1
	v_cmp_ne_u16_sdwa s5, v4, v37 src0_sel:BYTE_0 src1_sel:DWORD
	v_mov_b32_e32 v36, 0x8000
	s_and_saveexec_b32 s18, s5
	s_cbranch_execz .LBB298_897
; %bb.892:                              ;   in Loop: Header=BB298_10 Depth=1
	v_bfe_u32 v55, v25, 16, 7
	v_mov_b32_e32 v36, 0x7c01
	s_mov_b32 s19, exec_lo
	v_cmpx_ne_u32_e32 0x7f, v55
	s_cbranch_execz .LBB298_896
; %bb.893:                              ;   in Loop: Header=BB298_10 Depth=1
	v_and_b32_e32 v36, 7, v4
	v_lshrrev_b32_e32 v49, 3, v55
	s_mov_b32 s20, exec_lo
	v_cmpx_gt_u32_e32 8, v55
; %bb.894:                              ;   in Loop: Header=BB298_10 Depth=1
	v_ffbh_u32_e32 v36, v36
	v_min_u32_e32 v36, 32, v36
	v_subrev_nc_u32_e32 v49, 28, v36
	v_lshlrev_b64 v[81:82], v49, v[4:5]
	v_sub_nc_u32_e32 v49, 29, v36
	v_and_b32_e32 v36, 7, v81
; %bb.895:                              ;   in Loop: Header=BB298_10 Depth=1
	s_or_b32 exec_lo, exec_lo, s20
	v_lshlrev_b32_e32 v4, 8, v4
	v_lshl_add_u32 v49, v49, 10, 0x2000
	v_lshlrev_b32_e32 v36, 7, v36
	v_and_b32_e32 v4, 0x8000, v4
	v_and_b32_e32 v49, 0xfc00, v49
	v_or3_b32 v36, v4, v49, v36
.LBB298_896:                            ;   in Loop: Header=BB298_10 Depth=1
	s_or_b32 exec_lo, exec_lo, s19
.LBB298_897:                            ;   in Loop: Header=BB298_10 Depth=1
	s_or_b32 exec_lo, exec_lo, s18
.LBB298_898:                            ;   in Loop: Header=BB298_10 Depth=1
	s_or_b32 exec_lo, exec_lo, s17
	v_mov_b32_e32 v77, 0
	v_mov_b32_e32 v125, 0
	s_mov_b32 s17, exec_lo
	v_cmpx_lt_u64_e64 s[6:7], v[24:25]
	s_cbranch_execz .LBB298_906
; %bb.899:                              ;   in Loop: Header=BB298_10 Depth=1
	v_lshrrev_b32_e32 v4, 24, v25
	v_bfrev_b32_e32 v125, 1
	s_mov_b32 s18, exec_lo
	v_cmpx_ne_u32_e32 0x80, v4
	s_cbranch_execz .LBB298_905
; %bb.900:                              ;   in Loop: Header=BB298_10 Depth=1
	v_and_b32_e32 v49, 0x7f, v4
	v_mov_b32_e32 v125, 0x7c010000
	s_mov_b32 s19, exec_lo
	v_cmpx_ne_u32_e32 0x7f, v49
	s_cbranch_execz .LBB298_904
; %bb.901:                              ;   in Loop: Header=BB298_10 Depth=1
	v_and_b32_e32 v24, 7, v4
	v_lshrrev_b32_e32 v25, 3, v49
	s_mov_b32 s20, exec_lo
	v_cmpx_gt_u32_e32 8, v49
; %bb.902:                              ;   in Loop: Header=BB298_10 Depth=1
	v_ffbh_u32_e32 v24, v24
	v_min_u32_e32 v49, 32, v24
	v_subrev_nc_u32_e32 v24, 28, v49
	v_lshlrev_b64 v[24:25], v24, v[4:5]
	v_sub_nc_u32_e32 v25, 29, v49
	v_and_b32_e32 v24, 7, v24
; %bb.903:                              ;   in Loop: Header=BB298_10 Depth=1
	s_or_b32 exec_lo, exec_lo, s20
	v_lshlrev_b32_e32 v4, 8, v4
	v_lshl_add_u32 v25, v25, 10, 0x2000
	v_lshlrev_b32_e32 v24, 23, v24
	v_and_or_b32 v4, 0x8000, v4, v25
	v_lshl_or_b32 v125, v4, 16, v24
.LBB298_904:                            ;   in Loop: Header=BB298_10 Depth=1
	s_or_b32 exec_lo, exec_lo, s19
.LBB298_905:                            ;   in Loop: Header=BB298_10 Depth=1
	s_or_b32 exec_lo, exec_lo, s18
.LBB298_906:                            ;   in Loop: Header=BB298_10 Depth=1
	s_or_b32 exec_lo, exec_lo, s17
	flat_load_dwordx2 v[24:25], v[16:17] offset:1536
	s_waitcnt vmcnt(0) lgkmcnt(0)
	v_cmp_ne_u16_sdwa s5, v24, v5 src0_sel:BYTE_0 src1_sel:DWORD
	s_and_saveexec_b32 s17, s5
	s_cbranch_execz .LBB298_914
; %bb.907:                              ;   in Loop: Header=BB298_10 Depth=1
	v_cmp_ne_u16_sdwa s5, v24, v37 src0_sel:BYTE_0 src1_sel:DWORD
	v_mov_b32_e32 v77, 0x8000
	s_and_saveexec_b32 s18, s5
	s_cbranch_execz .LBB298_913
; %bb.908:                              ;   in Loop: Header=BB298_10 Depth=1
	v_and_b32_e32 v55, 0x7f, v24
	v_mov_b32_e32 v77, 0x7c01
	s_mov_b32 s19, exec_lo
	v_cmpx_ne_u32_e32 0x7f, v55
	s_cbranch_execz .LBB298_912
; %bb.909:                              ;   in Loop: Header=BB298_10 Depth=1
	v_and_b32_e32 v4, 7, v24
	v_lshrrev_b32_e32 v49, 3, v55
	s_mov_b32 s20, exec_lo
	v_cmpx_gt_u32_e32 8, v55
; %bb.910:                              ;   in Loop: Header=BB298_10 Depth=1
	v_ffbh_u32_e32 v4, v4
	v_min_u32_e32 v4, 32, v4
	v_subrev_nc_u32_e32 v49, 28, v4
	v_lshlrev_b64 v[81:82], v49, v[24:25]
	v_sub_nc_u32_e32 v49, 29, v4
	v_and_b32_e32 v4, 7, v81
; %bb.911:                              ;   in Loop: Header=BB298_10 Depth=1
	s_or_b32 exec_lo, exec_lo, s20
	v_lshlrev_b32_e32 v55, 8, v24
	v_lshl_add_u32 v49, v49, 10, 0x2000
	v_lshlrev_b32_e32 v4, 7, v4
	v_and_b32_e32 v55, 0x8000, v55
	v_and_b32_e32 v49, 0xfc00, v49
	v_or3_b32 v77, v55, v49, v4
.LBB298_912:                            ;   in Loop: Header=BB298_10 Depth=1
	s_or_b32 exec_lo, exec_lo, s19
.LBB298_913:                            ;   in Loop: Header=BB298_10 Depth=1
	s_or_b32 exec_lo, exec_lo, s18
.LBB298_914:                            ;   in Loop: Header=BB298_10 Depth=1
	s_or_b32 exec_lo, exec_lo, s17
	v_lshrrev_b16 v4, 8, v24
	v_mov_b32_e32 v66, 0
	v_mov_b32_e32 v55, 0
	s_mov_b32 s17, exec_lo
	v_cmpx_ne_u16_e32 0, v4
	s_cbranch_execz .LBB298_922
; %bb.915:                              ;   in Loop: Header=BB298_10 Depth=1
	v_bfrev_b32_e32 v55, 1
	s_mov_b32 s18, exec_lo
	v_cmpx_ne_u16_e32 0x80, v4
	s_cbranch_execz .LBB298_921
; %bb.916:                              ;   in Loop: Header=BB298_10 Depth=1
	v_mov_b32_e32 v49, 0x7f
	v_mov_b32_e32 v55, 0x7c010000
	s_mov_b32 s19, exec_lo
	v_and_b32_sdwa v68, v4, v49 dst_sel:DWORD dst_unused:UNUSED_PAD src0_sel:WORD_0 src1_sel:DWORD
	v_cmpx_ne_u32_e32 0x7f, v68
	s_cbranch_execz .LBB298_920
; %bb.917:                              ;   in Loop: Header=BB298_10 Depth=1
	v_mov_b32_e32 v49, 7
	v_lshrrev_b32_e32 v55, 3, v68
	s_mov_b32 s20, exec_lo
	v_and_b32_sdwa v49, v4, v49 dst_sel:DWORD dst_unused:UNUSED_PAD src0_sel:WORD_0 src1_sel:DWORD
	v_cmpx_gt_u32_e32 8, v68
; %bb.918:                              ;   in Loop: Header=BB298_10 Depth=1
	v_ffbh_u32_e32 v49, v49
	v_min_u32_e32 v49, 32, v49
	v_subrev_nc_u32_e32 v55, 28, v49
	v_lshlrev_b64 v[81:82], v55, v[4:5]
	v_sub_nc_u32_e32 v55, 29, v49
	v_and_b32_e32 v49, 7, v81
; %bb.919:                              ;   in Loop: Header=BB298_10 Depth=1
	s_or_b32 exec_lo, exec_lo, s20
	v_mov_b32_e32 v68, 8
	v_lshl_add_u32 v55, v55, 10, 0x2000
	v_lshlrev_b32_e32 v49, 23, v49
	v_lshlrev_b32_sdwa v4, v68, v4 dst_sel:DWORD dst_unused:UNUSED_PAD src0_sel:DWORD src1_sel:WORD_0
	v_and_or_b32 v4, 0x8000, v4, v55
	v_lshl_or_b32 v55, v4, 16, v49
.LBB298_920:                            ;   in Loop: Header=BB298_10 Depth=1
	s_or_b32 exec_lo, exec_lo, s19
.LBB298_921:                            ;   in Loop: Header=BB298_10 Depth=1
	s_or_b32 exec_lo, exec_lo, s18
.LBB298_922:                            ;   in Loop: Header=BB298_10 Depth=1
	s_or_b32 exec_lo, exec_lo, s17
	v_lshrrev_b32_e32 v4, 16, v24
	v_cmp_ne_u16_sdwa s5, v4, v5 src0_sel:BYTE_0 src1_sel:DWORD
	s_and_saveexec_b32 s17, s5
	s_cbranch_execz .LBB298_930
; %bb.923:                              ;   in Loop: Header=BB298_10 Depth=1
	v_cmp_ne_u16_sdwa s5, v4, v37 src0_sel:BYTE_0 src1_sel:DWORD
	v_mov_b32_e32 v66, 0x8000
	s_and_saveexec_b32 s18, s5
	s_cbranch_execz .LBB298_929
; %bb.924:                              ;   in Loop: Header=BB298_10 Depth=1
	v_bfe_u32 v68, v24, 16, 7
	v_mov_b32_e32 v66, 0x7c01
	s_mov_b32 s19, exec_lo
	v_cmpx_ne_u32_e32 0x7f, v68
	s_cbranch_execz .LBB298_928
; %bb.925:                              ;   in Loop: Header=BB298_10 Depth=1
	v_and_b32_e32 v49, 7, v4
	v_lshrrev_b32_e32 v66, 3, v68
	s_mov_b32 s20, exec_lo
	v_cmpx_gt_u32_e32 8, v68
; %bb.926:                              ;   in Loop: Header=BB298_10 Depth=1
	v_ffbh_u32_e32 v49, v49
	v_min_u32_e32 v49, 32, v49
	v_subrev_nc_u32_e32 v66, 28, v49
	v_lshlrev_b64 v[81:82], v66, v[4:5]
	v_sub_nc_u32_e32 v66, 29, v49
	v_and_b32_e32 v49, 7, v81
; %bb.927:                              ;   in Loop: Header=BB298_10 Depth=1
	s_or_b32 exec_lo, exec_lo, s20
	v_lshlrev_b32_e32 v4, 8, v4
	v_lshl_add_u32 v66, v66, 10, 0x2000
	v_lshlrev_b32_e32 v49, 7, v49
	v_and_b32_e32 v4, 0x8000, v4
	v_and_b32_e32 v66, 0xfc00, v66
	v_or3_b32 v66, v4, v66, v49
.LBB298_928:                            ;   in Loop: Header=BB298_10 Depth=1
	s_or_b32 exec_lo, exec_lo, s19
.LBB298_929:                            ;   in Loop: Header=BB298_10 Depth=1
	s_or_b32 exec_lo, exec_lo, s18
.LBB298_930:                            ;   in Loop: Header=BB298_10 Depth=1
	s_or_b32 exec_lo, exec_lo, s17
	v_mov_b32_e32 v76, 0
	v_mov_b32_e32 v89, 0
	s_mov_b32 s17, exec_lo
	v_cmpx_lt_u32_e32 0xffffff, v24
	s_cbranch_execz .LBB298_938
; %bb.931:                              ;   in Loop: Header=BB298_10 Depth=1
	v_lshrrev_b32_e32 v4, 24, v24
	v_bfrev_b32_e32 v89, 1
	s_mov_b32 s18, exec_lo
	v_cmpx_ne_u32_e32 0x80, v4
	s_cbranch_execz .LBB298_937
; %bb.932:                              ;   in Loop: Header=BB298_10 Depth=1
	v_and_b32_e32 v81, 0x7f, v4
	v_mov_b32_e32 v89, 0x7c010000
	s_mov_b32 s19, exec_lo
	v_cmpx_ne_u32_e32 0x7f, v81
	s_cbranch_execz .LBB298_936
; %bb.933:                              ;   in Loop: Header=BB298_10 Depth=1
	v_and_b32_e32 v49, 7, v4
	v_lshrrev_b32_e32 v68, 3, v81
	s_mov_b32 s20, exec_lo
	v_cmpx_gt_u32_e32 8, v81
; %bb.934:                              ;   in Loop: Header=BB298_10 Depth=1
	v_ffbh_u32_e32 v49, v49
	v_min_u32_e32 v49, 32, v49
	v_subrev_nc_u32_e32 v68, 28, v49
	v_lshlrev_b64 v[81:82], v68, v[4:5]
	v_sub_nc_u32_e32 v68, 29, v49
	v_and_b32_e32 v49, 7, v81
; %bb.935:                              ;   in Loop: Header=BB298_10 Depth=1
	s_or_b32 exec_lo, exec_lo, s20
	v_lshlrev_b32_e32 v4, 8, v4
	v_lshl_add_u32 v68, v68, 10, 0x2000
	v_lshlrev_b32_e32 v49, 23, v49
	v_and_or_b32 v4, 0x8000, v4, v68
	v_lshl_or_b32 v89, v4, 16, v49
.LBB298_936:                            ;   in Loop: Header=BB298_10 Depth=1
	s_or_b32 exec_lo, exec_lo, s19
.LBB298_937:                            ;   in Loop: Header=BB298_10 Depth=1
	s_or_b32 exec_lo, exec_lo, s18
.LBB298_938:                            ;   in Loop: Header=BB298_10 Depth=1
	s_or_b32 exec_lo, exec_lo, s17
	v_mov_b32_e32 v4, v25
	v_cmp_ne_u16_sdwa s5, v25, v5 src0_sel:BYTE_0 src1_sel:DWORD
	s_and_saveexec_b32 s17, s5
	s_cbranch_execz .LBB298_946
; %bb.939:                              ;   in Loop: Header=BB298_10 Depth=1
	v_cmp_ne_u16_sdwa s5, v25, v37 src0_sel:BYTE_0 src1_sel:DWORD
	v_mov_b32_e32 v76, 0x8000
	s_and_saveexec_b32 s18, s5
	s_cbranch_execz .LBB298_945
; %bb.940:                              ;   in Loop: Header=BB298_10 Depth=1
	v_and_b32_e32 v81, 0x7f, v25
	v_mov_b32_e32 v76, 0x7c01
	s_mov_b32 s19, exec_lo
	v_cmpx_ne_u32_e32 0x7f, v81
	s_cbranch_execz .LBB298_944
; %bb.941:                              ;   in Loop: Header=BB298_10 Depth=1
	v_and_b32_e32 v49, 7, v25
	v_lshrrev_b32_e32 v68, 3, v81
	s_mov_b32 s20, exec_lo
	v_cmpx_gt_u32_e32 8, v81
; %bb.942:                              ;   in Loop: Header=BB298_10 Depth=1
	v_ffbh_u32_e32 v49, v49
	v_min_u32_e32 v49, 32, v49
	v_subrev_nc_u32_e32 v68, 28, v49
	v_lshlrev_b64 v[81:82], v68, v[4:5]
	v_sub_nc_u32_e32 v68, 29, v49
	v_and_b32_e32 v49, 7, v81
; %bb.943:                              ;   in Loop: Header=BB298_10 Depth=1
	s_or_b32 exec_lo, exec_lo, s20
	v_lshlrev_b32_e32 v81, 8, v25
	v_lshl_add_u32 v68, v68, 10, 0x2000
	v_lshlrev_b32_e32 v49, 7, v49
	v_and_b32_e32 v81, 0x8000, v81
	v_and_b32_e32 v68, 0xfc00, v68
	v_or3_b32 v76, v81, v68, v49
.LBB298_944:                            ;   in Loop: Header=BB298_10 Depth=1
	s_or_b32 exec_lo, exec_lo, s19
.LBB298_945:                            ;   in Loop: Header=BB298_10 Depth=1
	s_or_b32 exec_lo, exec_lo, s18
.LBB298_946:                            ;   in Loop: Header=BB298_10 Depth=1
	s_or_b32 exec_lo, exec_lo, s17
	v_lshrrev_b16 v4, 8, v4
	v_mov_b32_e32 v79, 0
	v_mov_b32_e32 v111, 0
	s_mov_b32 s17, exec_lo
	v_cmpx_ne_u16_e32 0, v4
	s_cbranch_execz .LBB298_954
; %bb.947:                              ;   in Loop: Header=BB298_10 Depth=1
	v_bfrev_b32_e32 v111, 1
	s_mov_b32 s18, exec_lo
	v_cmpx_ne_u16_e32 0x80, v4
	s_cbranch_execz .LBB298_953
; %bb.948:                              ;   in Loop: Header=BB298_10 Depth=1
	v_mov_b32_e32 v49, 0x7f
	v_mov_b32_e32 v111, 0x7c010000
	s_mov_b32 s19, exec_lo
	v_and_b32_sdwa v81, v4, v49 dst_sel:DWORD dst_unused:UNUSED_PAD src0_sel:WORD_0 src1_sel:DWORD
	v_cmpx_ne_u32_e32 0x7f, v81
	s_cbranch_execz .LBB298_952
; %bb.949:                              ;   in Loop: Header=BB298_10 Depth=1
	v_mov_b32_e32 v49, 7
	v_lshrrev_b32_e32 v68, 3, v81
	s_mov_b32 s20, exec_lo
	v_and_b32_sdwa v49, v4, v49 dst_sel:DWORD dst_unused:UNUSED_PAD src0_sel:WORD_0 src1_sel:DWORD
	v_cmpx_gt_u32_e32 8, v81
; %bb.950:                              ;   in Loop: Header=BB298_10 Depth=1
	v_ffbh_u32_e32 v49, v49
	v_min_u32_e32 v49, 32, v49
	v_subrev_nc_u32_e32 v68, 28, v49
	v_lshlrev_b64 v[81:82], v68, v[4:5]
	v_sub_nc_u32_e32 v68, 29, v49
	v_and_b32_e32 v49, 7, v81
; %bb.951:                              ;   in Loop: Header=BB298_10 Depth=1
	s_or_b32 exec_lo, exec_lo, s20
	v_mov_b32_e32 v81, 8
	v_lshl_add_u32 v68, v68, 10, 0x2000
	v_lshlrev_b32_e32 v49, 23, v49
	v_lshlrev_b32_sdwa v4, v81, v4 dst_sel:DWORD dst_unused:UNUSED_PAD src0_sel:DWORD src1_sel:WORD_0
	v_and_or_b32 v4, 0x8000, v4, v68
	v_lshl_or_b32 v111, v4, 16, v49
.LBB298_952:                            ;   in Loop: Header=BB298_10 Depth=1
	s_or_b32 exec_lo, exec_lo, s19
.LBB298_953:                            ;   in Loop: Header=BB298_10 Depth=1
	s_or_b32 exec_lo, exec_lo, s18
.LBB298_954:                            ;   in Loop: Header=BB298_10 Depth=1
	s_or_b32 exec_lo, exec_lo, s17
	v_lshrrev_b32_e32 v4, 16, v25
	v_cmp_ne_u16_sdwa s5, v4, v5 src0_sel:BYTE_0 src1_sel:DWORD
	s_and_saveexec_b32 s17, s5
	s_cbranch_execz .LBB298_962
; %bb.955:                              ;   in Loop: Header=BB298_10 Depth=1
	v_cmp_ne_u16_sdwa s5, v4, v37 src0_sel:BYTE_0 src1_sel:DWORD
	v_mov_b32_e32 v79, 0x8000
	s_and_saveexec_b32 s18, s5
	s_cbranch_execz .LBB298_961
; %bb.956:                              ;   in Loop: Header=BB298_10 Depth=1
	v_bfe_u32 v81, v25, 16, 7
	v_mov_b32_e32 v79, 0x7c01
	s_mov_b32 s19, exec_lo
	v_cmpx_ne_u32_e32 0x7f, v81
	s_cbranch_execz .LBB298_960
; %bb.957:                              ;   in Loop: Header=BB298_10 Depth=1
	v_and_b32_e32 v49, 7, v4
	v_lshrrev_b32_e32 v68, 3, v81
	s_mov_b32 s20, exec_lo
	v_cmpx_gt_u32_e32 8, v81
; %bb.958:                              ;   in Loop: Header=BB298_10 Depth=1
	v_ffbh_u32_e32 v49, v49
	v_min_u32_e32 v49, 32, v49
	v_subrev_nc_u32_e32 v68, 28, v49
	v_lshlrev_b64 v[81:82], v68, v[4:5]
	v_sub_nc_u32_e32 v68, 29, v49
	v_and_b32_e32 v49, 7, v81
; %bb.959:                              ;   in Loop: Header=BB298_10 Depth=1
	s_or_b32 exec_lo, exec_lo, s20
	v_lshlrev_b32_e32 v4, 8, v4
	v_lshl_add_u32 v68, v68, 10, 0x2000
	v_lshlrev_b32_e32 v49, 7, v49
	v_and_b32_e32 v4, 0x8000, v4
	v_and_b32_e32 v68, 0xfc00, v68
	v_or3_b32 v79, v4, v68, v49
.LBB298_960:                            ;   in Loop: Header=BB298_10 Depth=1
	s_or_b32 exec_lo, exec_lo, s19
.LBB298_961:                            ;   in Loop: Header=BB298_10 Depth=1
	s_or_b32 exec_lo, exec_lo, s18
.LBB298_962:                            ;   in Loop: Header=BB298_10 Depth=1
	s_or_b32 exec_lo, exec_lo, s17
	v_cmp_lt_u64_e64 s5, s[6:7], v[24:25]
	v_mov_b32_e32 v127, 0
	v_mov_b32_e32 v24, 0
	s_and_saveexec_b32 s17, s5
	s_cbranch_execz .LBB298_970
; %bb.963:                              ;   in Loop: Header=BB298_10 Depth=1
	v_lshrrev_b32_e32 v4, 24, v25
	v_bfrev_b32_e32 v24, 1
	s_mov_b32 s18, exec_lo
	v_cmpx_ne_u32_e32 0x80, v4
	s_cbranch_execz .LBB298_969
; %bb.964:                              ;   in Loop: Header=BB298_10 Depth=1
	v_and_b32_e32 v49, 0x7f, v4
	v_mov_b32_e32 v24, 0x7c010000
	s_mov_b32 s19, exec_lo
	v_cmpx_ne_u32_e32 0x7f, v49
	s_cbranch_execz .LBB298_968
; %bb.965:                              ;   in Loop: Header=BB298_10 Depth=1
	v_and_b32_e32 v24, 7, v4
	v_lshrrev_b32_e32 v25, 3, v49
	s_mov_b32 s20, exec_lo
	v_cmpx_gt_u32_e32 8, v49
; %bb.966:                              ;   in Loop: Header=BB298_10 Depth=1
	v_ffbh_u32_e32 v24, v24
	v_min_u32_e32 v49, 32, v24
	v_subrev_nc_u32_e32 v24, 28, v49
	v_lshlrev_b64 v[24:25], v24, v[4:5]
	v_sub_nc_u32_e32 v25, 29, v49
	v_and_b32_e32 v24, 7, v24
; %bb.967:                              ;   in Loop: Header=BB298_10 Depth=1
	s_or_b32 exec_lo, exec_lo, s20
	v_lshlrev_b32_e32 v4, 8, v4
	v_lshl_add_u32 v25, v25, 10, 0x2000
	v_lshlrev_b32_e32 v24, 23, v24
	v_and_or_b32 v4, 0x8000, v4, v25
	v_lshl_or_b32 v24, v4, 16, v24
.LBB298_968:                            ;   in Loop: Header=BB298_10 Depth=1
	s_or_b32 exec_lo, exec_lo, s19
.LBB298_969:                            ;   in Loop: Header=BB298_10 Depth=1
	s_or_b32 exec_lo, exec_lo, s18
.LBB298_970:                            ;   in Loop: Header=BB298_10 Depth=1
	s_or_b32 exec_lo, exec_lo, s17
	flat_load_dwordx2 v[16:17], v[16:17] offset:1544
	s_waitcnt vmcnt(0) lgkmcnt(0)
	v_cmp_ne_u16_sdwa s5, v16, v5 src0_sel:BYTE_0 src1_sel:DWORD
	s_and_saveexec_b32 s17, s5
	s_cbranch_execz .LBB298_978
; %bb.971:                              ;   in Loop: Header=BB298_10 Depth=1
	v_cmp_ne_u16_sdwa s5, v16, v37 src0_sel:BYTE_0 src1_sel:DWORD
	v_mov_b32_e32 v127, 0x8000
	s_and_saveexec_b32 s18, s5
	s_cbranch_execz .LBB298_977
; %bb.972:                              ;   in Loop: Header=BB298_10 Depth=1
	v_and_b32_e32 v49, 0x7f, v16
	v_mov_b32_e32 v127, 0x7c01
	s_mov_b32 s19, exec_lo
	v_cmpx_ne_u32_e32 0x7f, v49
	s_cbranch_execz .LBB298_976
; %bb.973:                              ;   in Loop: Header=BB298_10 Depth=1
	v_and_b32_e32 v4, 7, v16
	v_lshrrev_b32_e32 v25, 3, v49
	s_mov_b32 s20, exec_lo
	v_cmpx_gt_u32_e32 8, v49
; %bb.974:                              ;   in Loop: Header=BB298_10 Depth=1
	v_ffbh_u32_e32 v4, v4
	v_min_u32_e32 v4, 32, v4
	v_subrev_nc_u32_e32 v25, 28, v4
	v_lshlrev_b64 v[81:82], v25, v[16:17]
	v_sub_nc_u32_e32 v25, 29, v4
	v_and_b32_e32 v4, 7, v81
; %bb.975:                              ;   in Loop: Header=BB298_10 Depth=1
	s_or_b32 exec_lo, exec_lo, s20
	v_lshlrev_b32_e32 v49, 8, v16
	v_lshl_add_u32 v25, v25, 10, 0x2000
	v_lshlrev_b32_e32 v4, 7, v4
	v_and_b32_e32 v49, 0x8000, v49
	v_and_b32_e32 v25, 0xfc00, v25
	v_or3_b32 v127, v49, v25, v4
.LBB298_976:                            ;   in Loop: Header=BB298_10 Depth=1
	s_or_b32 exec_lo, exec_lo, s19
.LBB298_977:                            ;   in Loop: Header=BB298_10 Depth=1
	s_or_b32 exec_lo, exec_lo, s18
.LBB298_978:                            ;   in Loop: Header=BB298_10 Depth=1
	s_or_b32 exec_lo, exec_lo, s17
	v_lshrrev_b16 v4, 8, v16
	v_mov_b32_e32 v68, 0
	v_mov_b32_e32 v78, 0
	s_mov_b32 s17, exec_lo
	v_cmpx_ne_u16_e32 0, v4
	s_cbranch_execz .LBB298_986
; %bb.979:                              ;   in Loop: Header=BB298_10 Depth=1
	v_bfrev_b32_e32 v78, 1
	s_mov_b32 s18, exec_lo
	v_cmpx_ne_u16_e32 0x80, v4
	s_cbranch_execz .LBB298_985
; %bb.980:                              ;   in Loop: Header=BB298_10 Depth=1
	v_mov_b32_e32 v25, 0x7f
	v_mov_b32_e32 v78, 0x7c010000
	s_mov_b32 s19, exec_lo
	v_and_b32_sdwa v81, v4, v25 dst_sel:DWORD dst_unused:UNUSED_PAD src0_sel:WORD_0 src1_sel:DWORD
	v_cmpx_ne_u32_e32 0x7f, v81
	s_cbranch_execz .LBB298_984
; %bb.981:                              ;   in Loop: Header=BB298_10 Depth=1
	v_mov_b32_e32 v25, 7
	v_lshrrev_b32_e32 v49, 3, v81
	s_mov_b32 s20, exec_lo
	v_and_b32_sdwa v25, v4, v25 dst_sel:DWORD dst_unused:UNUSED_PAD src0_sel:WORD_0 src1_sel:DWORD
	v_cmpx_gt_u32_e32 8, v81
; %bb.982:                              ;   in Loop: Header=BB298_10 Depth=1
	v_ffbh_u32_e32 v25, v25
	v_min_u32_e32 v25, 32, v25
	v_subrev_nc_u32_e32 v49, 28, v25
	v_lshlrev_b64 v[81:82], v49, v[4:5]
	v_sub_nc_u32_e32 v49, 29, v25
	v_and_b32_e32 v25, 7, v81
; %bb.983:                              ;   in Loop: Header=BB298_10 Depth=1
	s_or_b32 exec_lo, exec_lo, s20
	v_mov_b32_e32 v81, 8
	v_lshl_add_u32 v49, v49, 10, 0x2000
	v_lshlrev_b32_e32 v25, 23, v25
	v_lshlrev_b32_sdwa v4, v81, v4 dst_sel:DWORD dst_unused:UNUSED_PAD src0_sel:DWORD src1_sel:WORD_0
	v_and_or_b32 v4, 0x8000, v4, v49
	v_lshl_or_b32 v78, v4, 16, v25
.LBB298_984:                            ;   in Loop: Header=BB298_10 Depth=1
	s_or_b32 exec_lo, exec_lo, s19
.LBB298_985:                            ;   in Loop: Header=BB298_10 Depth=1
	s_or_b32 exec_lo, exec_lo, s18
.LBB298_986:                            ;   in Loop: Header=BB298_10 Depth=1
	s_or_b32 exec_lo, exec_lo, s17
	v_lshrrev_b32_e32 v4, 16, v16
	v_cmp_ne_u16_sdwa s5, v4, v5 src0_sel:BYTE_0 src1_sel:DWORD
	s_and_saveexec_b32 s17, s5
	s_cbranch_execz .LBB298_994
; %bb.987:                              ;   in Loop: Header=BB298_10 Depth=1
	v_cmp_ne_u16_sdwa s5, v4, v37 src0_sel:BYTE_0 src1_sel:DWORD
	v_mov_b32_e32 v68, 0x8000
	s_and_saveexec_b32 s18, s5
	s_cbranch_execz .LBB298_993
; %bb.988:                              ;   in Loop: Header=BB298_10 Depth=1
	v_bfe_u32 v81, v16, 16, 7
	v_mov_b32_e32 v68, 0x7c01
	s_mov_b32 s19, exec_lo
	v_cmpx_ne_u32_e32 0x7f, v81
	s_cbranch_execz .LBB298_992
; %bb.989:                              ;   in Loop: Header=BB298_10 Depth=1
	v_and_b32_e32 v25, 7, v4
	v_lshrrev_b32_e32 v49, 3, v81
	s_mov_b32 s20, exec_lo
	v_cmpx_gt_u32_e32 8, v81
; %bb.990:                              ;   in Loop: Header=BB298_10 Depth=1
	v_ffbh_u32_e32 v25, v25
	v_min_u32_e32 v25, 32, v25
	v_subrev_nc_u32_e32 v49, 28, v25
	v_lshlrev_b64 v[81:82], v49, v[4:5]
	v_sub_nc_u32_e32 v49, 29, v25
	v_and_b32_e32 v25, 7, v81
; %bb.991:                              ;   in Loop: Header=BB298_10 Depth=1
	s_or_b32 exec_lo, exec_lo, s20
	v_lshlrev_b32_e32 v4, 8, v4
	v_lshl_add_u32 v49, v49, 10, 0x2000
	v_lshlrev_b32_e32 v25, 7, v25
	v_and_b32_e32 v4, 0x8000, v4
	v_and_b32_e32 v49, 0xfc00, v49
	v_or3_b32 v68, v4, v49, v25
.LBB298_992:                            ;   in Loop: Header=BB298_10 Depth=1
	s_or_b32 exec_lo, exec_lo, s19
.LBB298_993:                            ;   in Loop: Header=BB298_10 Depth=1
	s_or_b32 exec_lo, exec_lo, s18
.LBB298_994:                            ;   in Loop: Header=BB298_10 Depth=1
	s_or_b32 exec_lo, exec_lo, s17
	v_mov_b32_e32 v126, 0
	v_mov_b32_e32 v81, 0
	s_mov_b32 s17, exec_lo
	v_cmpx_lt_u32_e32 0xffffff, v16
	s_cbranch_execz .LBB298_1002
; %bb.995:                              ;   in Loop: Header=BB298_10 Depth=1
	v_lshrrev_b32_e32 v4, 24, v16
	v_bfrev_b32_e32 v81, 1
	s_mov_b32 s18, exec_lo
	v_cmpx_ne_u32_e32 0x80, v4
	s_cbranch_execz .LBB298_1001
; %bb.996:                              ;   in Loop: Header=BB298_10 Depth=1
	v_and_b32_e32 v82, 0x7f, v4
	v_mov_b32_e32 v81, 0x7c010000
	s_mov_b32 s19, exec_lo
	v_cmpx_ne_u32_e32 0x7f, v82
	s_cbranch_execz .LBB298_1000
; %bb.997:                              ;   in Loop: Header=BB298_10 Depth=1
	v_and_b32_e32 v25, 7, v4
	v_lshrrev_b32_e32 v49, 3, v82
	s_mov_b32 s20, exec_lo
	v_cmpx_gt_u32_e32 8, v82
; %bb.998:                              ;   in Loop: Header=BB298_10 Depth=1
	v_ffbh_u32_e32 v25, v25
	v_min_u32_e32 v25, 32, v25
	v_subrev_nc_u32_e32 v49, 28, v25
	v_lshlrev_b64 v[81:82], v49, v[4:5]
	v_sub_nc_u32_e32 v49, 29, v25
	v_and_b32_e32 v25, 7, v81
; %bb.999:                              ;   in Loop: Header=BB298_10 Depth=1
	s_or_b32 exec_lo, exec_lo, s20
	v_lshlrev_b32_e32 v4, 8, v4
	v_lshl_add_u32 v49, v49, 10, 0x2000
	v_lshlrev_b32_e32 v25, 23, v25
	v_and_or_b32 v4, 0x8000, v4, v49
	v_lshl_or_b32 v81, v4, 16, v25
.LBB298_1000:                           ;   in Loop: Header=BB298_10 Depth=1
	s_or_b32 exec_lo, exec_lo, s19
.LBB298_1001:                           ;   in Loop: Header=BB298_10 Depth=1
	s_or_b32 exec_lo, exec_lo, s18
.LBB298_1002:                           ;   in Loop: Header=BB298_10 Depth=1
	s_or_b32 exec_lo, exec_lo, s17
	v_mov_b32_e32 v4, v17
	v_cmp_ne_u16_sdwa s5, v17, v5 src0_sel:BYTE_0 src1_sel:DWORD
	s_and_saveexec_b32 s17, s5
	s_cbranch_execz .LBB298_1010
; %bb.1003:                             ;   in Loop: Header=BB298_10 Depth=1
	v_cmp_ne_u16_sdwa s5, v17, v37 src0_sel:BYTE_0 src1_sel:DWORD
	v_mov_b32_e32 v126, 0x8000
	s_and_saveexec_b32 s18, s5
	s_cbranch_execz .LBB298_1009
; %bb.1004:                             ;   in Loop: Header=BB298_10 Depth=1
	v_and_b32_e32 v82, 0x7f, v17
	v_mov_b32_e32 v126, 0x7c01
	s_mov_b32 s19, exec_lo
	v_cmpx_ne_u32_e32 0x7f, v82
	s_cbranch_execz .LBB298_1008
; %bb.1005:                             ;   in Loop: Header=BB298_10 Depth=1
	v_and_b32_e32 v25, 7, v17
	v_lshrrev_b32_e32 v49, 3, v82
	s_mov_b32 s20, exec_lo
	v_cmpx_gt_u32_e32 8, v82
	s_cbranch_execz .LBB298_1007
; %bb.1006:                             ;   in Loop: Header=BB298_10 Depth=1
	v_ffbh_u32_e32 v25, v25
	v_mov_b32_e32 v82, v73
	v_min_u32_e32 v25, 32, v25
	v_subrev_nc_u32_e32 v49, 28, v25
	v_lshlrev_b64 v[72:73], v49, v[4:5]
	v_mov_b32_e32 v73, v82
	v_sub_nc_u32_e32 v49, 29, v25
	v_and_b32_e32 v25, 7, v72
.LBB298_1007:                           ;   in Loop: Header=BB298_10 Depth=1
	s_or_b32 exec_lo, exec_lo, s20
	v_lshlrev_b32_e32 v82, 8, v17
	v_lshl_add_u32 v49, v49, 10, 0x2000
	v_lshlrev_b32_e32 v25, 7, v25
	v_and_b32_e32 v82, 0x8000, v82
	v_and_b32_e32 v49, 0xfc00, v49
	v_or3_b32 v126, v82, v49, v25
.LBB298_1008:                           ;   in Loop: Header=BB298_10 Depth=1
	s_or_b32 exec_lo, exec_lo, s19
.LBB298_1009:                           ;   in Loop: Header=BB298_10 Depth=1
	s_or_b32 exec_lo, exec_lo, s18
.LBB298_1010:                           ;   in Loop: Header=BB298_10 Depth=1
	s_or_b32 exec_lo, exec_lo, s17
	v_lshrrev_b16 v4, 8, v4
	v_mov_b32_e32 v49, 0
	v_mov_b32_e32 v82, 0
	s_mov_b32 s17, exec_lo
	v_cmpx_ne_u16_e32 0, v4
	s_cbranch_execz .LBB298_1018
; %bb.1011:                             ;   in Loop: Header=BB298_10 Depth=1
	v_bfrev_b32_e32 v82, 1
	s_mov_b32 s18, exec_lo
	v_cmpx_ne_u16_e32 0x80, v4
	s_cbranch_execz .LBB298_1017
; %bb.1012:                             ;   in Loop: Header=BB298_10 Depth=1
	v_mov_b32_e32 v25, 0x7f
	v_mov_b32_e32 v82, 0x7c010000
	s_mov_b32 s19, exec_lo
	v_and_b32_sdwa v72, v4, v25 dst_sel:DWORD dst_unused:UNUSED_PAD src0_sel:WORD_0 src1_sel:DWORD
	v_cmpx_ne_u32_e32 0x7f, v72
	s_cbranch_execz .LBB298_1016
; %bb.1013:                             ;   in Loop: Header=BB298_10 Depth=1
	v_mov_b32_e32 v25, 7
	v_lshrrev_b32_e32 v82, 3, v72
	s_mov_b32 s20, exec_lo
	v_and_b32_sdwa v25, v4, v25 dst_sel:DWORD dst_unused:UNUSED_PAD src0_sel:WORD_0 src1_sel:DWORD
	v_cmpx_gt_u32_e32 8, v72
	s_cbranch_execz .LBB298_1015
; %bb.1014:                             ;   in Loop: Header=BB298_10 Depth=1
	v_ffbh_u32_e32 v25, v25
	v_mov_b32_e32 v123, v73
	v_min_u32_e32 v25, 32, v25
	v_subrev_nc_u32_e32 v82, 28, v25
	v_lshlrev_b64 v[72:73], v82, v[4:5]
	v_mov_b32_e32 v73, v123
	v_sub_nc_u32_e32 v82, 29, v25
	v_and_b32_e32 v25, 7, v72
.LBB298_1015:                           ;   in Loop: Header=BB298_10 Depth=1
	s_or_b32 exec_lo, exec_lo, s20
	v_mov_b32_e32 v72, 8
	v_lshl_add_u32 v82, v82, 10, 0x2000
	v_lshlrev_b32_e32 v25, 23, v25
	v_lshlrev_b32_sdwa v4, v72, v4 dst_sel:DWORD dst_unused:UNUSED_PAD src0_sel:DWORD src1_sel:WORD_0
	v_and_or_b32 v4, 0x8000, v4, v82
	v_lshl_or_b32 v82, v4, 16, v25
.LBB298_1016:                           ;   in Loop: Header=BB298_10 Depth=1
	s_or_b32 exec_lo, exec_lo, s19
.LBB298_1017:                           ;   in Loop: Header=BB298_10 Depth=1
	s_or_b32 exec_lo, exec_lo, s18
.LBB298_1018:                           ;   in Loop: Header=BB298_10 Depth=1
	s_or_b32 exec_lo, exec_lo, s17
	v_lshrrev_b32_e32 v4, 16, v17
	v_cmp_ne_u16_sdwa s5, v4, v5 src0_sel:BYTE_0 src1_sel:DWORD
	s_and_saveexec_b32 s17, s5
	s_cbranch_execz .LBB298_1026
; %bb.1019:                             ;   in Loop: Header=BB298_10 Depth=1
	v_cmp_ne_u16_sdwa s5, v4, v37 src0_sel:BYTE_0 src1_sel:DWORD
	v_mov_b32_e32 v49, 0x8000
	s_and_saveexec_b32 s18, s5
	s_cbranch_execz .LBB298_1025
; %bb.1020:                             ;   in Loop: Header=BB298_10 Depth=1
	v_bfe_u32 v72, v17, 16, 7
	v_mov_b32_e32 v49, 0x7c01
	s_mov_b32 s19, exec_lo
	v_cmpx_ne_u32_e32 0x7f, v72
	s_cbranch_execz .LBB298_1024
; %bb.1021:                             ;   in Loop: Header=BB298_10 Depth=1
	v_and_b32_e32 v25, 7, v4
	v_lshrrev_b32_e32 v49, 3, v72
	s_mov_b32 s20, exec_lo
	v_cmpx_gt_u32_e32 8, v72
	s_cbranch_execz .LBB298_1023
; %bb.1022:                             ;   in Loop: Header=BB298_10 Depth=1
	v_ffbh_u32_e32 v25, v25
	v_mov_b32_e32 v123, v73
	v_min_u32_e32 v25, 32, v25
	v_subrev_nc_u32_e32 v49, 28, v25
	v_lshlrev_b64 v[72:73], v49, v[4:5]
	v_mov_b32_e32 v73, v123
	v_sub_nc_u32_e32 v49, 29, v25
	v_and_b32_e32 v25, 7, v72
.LBB298_1023:                           ;   in Loop: Header=BB298_10 Depth=1
	s_or_b32 exec_lo, exec_lo, s20
	v_lshlrev_b32_e32 v4, 8, v4
	v_lshl_add_u32 v49, v49, 10, 0x2000
	v_lshlrev_b32_e32 v25, 7, v25
	v_and_b32_e32 v4, 0x8000, v4
	v_and_b32_e32 v49, 0xfc00, v49
	v_or3_b32 v49, v4, v49, v25
.LBB298_1024:                           ;   in Loop: Header=BB298_10 Depth=1
	s_or_b32 exec_lo, exec_lo, s19
.LBB298_1025:                           ;   in Loop: Header=BB298_10 Depth=1
	s_or_b32 exec_lo, exec_lo, s18
.LBB298_1026:                           ;   in Loop: Header=BB298_10 Depth=1
	s_or_b32 exec_lo, exec_lo, s17
	v_mov_b32_e32 v72, 0
	v_cmp_lt_u64_e64 s5, s[6:7], v[16:17]
	s_mov_b32 s17, exec_lo
	s_clause 0x2
	buffer_load_dword v25, off, s[0:3], s32 offset:244
	buffer_load_dword v16, off, s[0:3], s32 offset:248
	;; [unrolled: 1-line block ×3, first 2 shown]
	s_and_b32 s5, s17, s5
	s_mov_b32 exec_lo, s5
	s_cbranch_execz .LBB298_9
; %bb.1027:                             ;   in Loop: Header=BB298_10 Depth=1
	v_lshrrev_b32_e32 v4, 24, v17
	v_bfrev_b32_e32 v72, 1
	s_mov_b32 s18, exec_lo
	v_cmpx_ne_u32_e32 0x80, v4
	s_cbranch_execz .LBB298_8
; %bb.1028:                             ;   in Loop: Header=BB298_10 Depth=1
	s_waitcnt vmcnt(2)
	v_and_b32_e32 v25, 0x7f, v4
	v_mov_b32_e32 v72, 0x7c010000
	s_mov_b32 s19, exec_lo
	v_cmpx_ne_u32_e32 0x7f, v25
	s_cbranch_execz .LBB298_7
; %bb.1029:                             ;   in Loop: Header=BB298_10 Depth=1
	s_waitcnt vmcnt(1)
	v_and_b32_e32 v16, 7, v4
	v_lshrrev_b32_e32 v17, 3, v25
	s_mov_b32 s20, exec_lo
	v_cmpx_gt_u32_e32 8, v25
	s_cbranch_execz .LBB298_6
; %bb.1030:                             ;   in Loop: Header=BB298_10 Depth=1
	v_ffbh_u32_e32 v16, v16
	v_min_u32_e32 v25, 32, v16
	v_subrev_nc_u32_e32 v16, 28, v25
	v_lshlrev_b64 v[16:17], v16, v[4:5]
	v_sub_nc_u32_e32 v17, 29, v25
	v_and_b32_e32 v16, 7, v16
	s_branch .LBB298_6
.LBB298_1031:
	s_or_b32 exec_lo, exec_lo, s15
	s_clause 0xf
	buffer_load_dword v58, off, s[0:3], s32 offset:384
	buffer_load_dword v59, off, s[0:3], s32 offset:388
	;; [unrolled: 1-line block ×16, first 2 shown]
.LBB298_1032:
	s_or_b32 exec_lo, exec_lo, s9
	v_mbcnt_lo_u32_b32 v0, -1, 0
	v_max_f32_e32 v4, v6, v6
	s_lshr_b32 s9, s13, 16
	v_xor_b32_e32 v1, 16, v0
	v_xor_b32_e32 v3, 8, v0
	v_cmp_gt_i32_e32 vcc_lo, 32, v1
	v_cndmask_b32_e32 v1, v0, v1, vcc_lo
	v_cmp_gt_i32_e32 vcc_lo, 32, v3
	v_lshlrev_b32_e32 v1, 2, v1
	v_cndmask_b32_e32 v3, v0, v3, vcc_lo
	ds_bpermute_b32 v2, v1, v6
	s_waitcnt lgkmcnt(0)
	v_max_f32_e32 v5, v2, v2
	v_lshlrev_b32_e32 v2, 2, v3
	v_max_f32_e32 v4, v4, v5
	v_xor_b32_e32 v5, 4, v0
	ds_bpermute_b32 v3, v2, v4
	v_cmp_gt_i32_e32 vcc_lo, 32, v5
	v_cndmask_b32_e32 v5, v0, v5, vcc_lo
	s_waitcnt lgkmcnt(0)
	v_max_f32_e32 v6, v3, v3
	v_lshlrev_b32_e32 v3, 2, v5
	v_max_f32_e32 v4, v4, v6
	v_xor_b32_e32 v6, 2, v0
	ds_bpermute_b32 v5, v3, v4
	v_cmp_gt_i32_e32 vcc_lo, 32, v6
	v_cndmask_b32_e32 v6, v0, v6, vcc_lo
	v_lshlrev_b32_e32 v14, 2, v6
	v_xor_b32_e32 v6, 1, v0
	v_cmp_gt_i32_e32 vcc_lo, 32, v6
	s_waitcnt lgkmcnt(0)
	v_max_f32_e32 v5, v5, v5
	v_cndmask_b32_e32 v6, v0, v6, vcc_lo
	s_waitcnt vmcnt(11)
	v_cmp_eq_u32_e32 vcc_lo, 0, v62
	v_max_f32_e32 v4, v4, v5
	v_lshlrev_b32_e32 v13, 2, v6
	ds_bpermute_b32 v5, v14, v4
	s_waitcnt lgkmcnt(0)
	v_max_f32_e32 v5, v5, v5
	v_max_f32_e32 v0, v4, v5
	v_lshlrev_b32_e32 v4, 2, v123
	ds_bpermute_b32 v5, v13, v0
	s_and_saveexec_b32 s5, vcc_lo
	s_cbranch_execz .LBB298_1034
; %bb.1033:
	s_waitcnt lgkmcnt(0)
	v_max_f32_e32 v5, v5, v5
	v_max_f32_e32 v0, v0, v0
	v_max_f32_e32 v0, v0, v5
	ds_write_b32 v4, v0 offset:256
.LBB298_1034:
	s_or_b32 exec_lo, exec_lo, s5
	v_cmp_gt_u32_e64 s5, 4, v62
	v_mov_b32_e32 v0, 0xff7fffff
	s_waitcnt vmcnt(0) lgkmcnt(0)
	s_waitcnt_vscnt null, 0x0
	s_barrier
	buffer_gl0_inv
	s_and_saveexec_b32 s6, s5
; %bb.1035:
	ds_read_b32 v0, v15 offset:256
; %bb.1036:
	s_or_b32 exec_lo, exec_lo, s6
	s_waitcnt lgkmcnt(0)
	ds_bpermute_b32 v5, v14, v0
	v_max_f32_e32 v0, v0, v0
	v_mov_b32_e32 v6, 0
	s_waitcnt lgkmcnt(0)
	v_max_f32_e32 v5, v5, v5
	v_max_f32_e32 v0, v0, v5
	ds_bpermute_b32 v5, v13, v0
	s_waitcnt lgkmcnt(0)
	v_max_f32_e32 v5, v5, v5
	v_max_f32_e32 v0, v0, v5
	ds_bpermute_b32 v5, v6, v0
	v_lshlrev_b32_e32 v0, 5, v63
	v_min_i32_e32 v0, v0, v28
	v_cmp_lt_i32_e64 s6, v60, v0
	s_and_saveexec_b32 s13, s6
	s_cbranch_execz .LBB298_1040
; %bb.1037:
	s_getpc_b64 s[18:19]
	s_add_u32 s18, s18, llvm.amdgcn.dynlds.offset.table@rel32@lo+4
	s_addc_u32 s19, s19, llvm.amdgcn.dynlds.offset.table@rel32@hi+12
	s_ashr_i32 s17, s16, 31
	v_mov_b32_e32 v6, 0
	s_lshl_b64 s[20:21], s[16:17], 2
	v_mov_b32_e32 v8, v60
	s_add_u32 s18, s18, s20
	s_addc_u32 s19, s19, s21
	s_mov_b32 s15, 0
	s_load_dword s7, s[18:19], 0x0
	s_waitcnt lgkmcnt(0)
	v_lshl_add_u32 v7, v60, 2, s7
	.p2align	6
.LBB298_1038:                           ; =>This Inner Loop Header: Depth=1
	ds_read_b32 v9, v7
	v_add_nc_u32_e32 v8, 0x80, v8
	v_cmp_ge_i32_e64 s7, v8, v0
	s_or_b32 s15, s7, s15
	s_waitcnt lgkmcnt(0)
	v_sub_f32_e32 v9, v9, v5
	v_mul_f32_e32 v9, 0x3fb8aa3b, v9
	v_exp_f32_e32 v9, v9
	ds_write_b32 v7, v9
	v_add_f32_e32 v6, v6, v9
	v_add_nc_u32_e32 v7, 0x200, v7
	s_andn2_b32 exec_lo, exec_lo, s15
	s_cbranch_execnz .LBB298_1038
; %bb.1039:
	s_or_b32 exec_lo, exec_lo, s15
.LBB298_1040:
	s_or_b32 exec_lo, exec_lo, s13
	ds_bpermute_b32 v1, v1, v6
	s_waitcnt lgkmcnt(0)
	v_add_f32_e32 v1, v6, v1
	ds_bpermute_b32 v2, v2, v1
	s_waitcnt lgkmcnt(0)
	v_add_f32_e32 v1, v1, v2
	;; [unrolled: 3-line block ×5, first 2 shown]
	s_and_saveexec_b32 s7, vcc_lo
; %bb.1041:
	ds_write_b32 v4, v1 offset:272
; %bb.1042:
	s_or_b32 exec_lo, exec_lo, s7
	s_waitcnt lgkmcnt(0)
	s_barrier
	buffer_gl0_inv
	s_and_saveexec_b32 s7, s5
; %bb.1043:
	ds_read_b32 v1, v15 offset:272
; %bb.1044:
	s_or_b32 exec_lo, exec_lo, s7
	s_waitcnt lgkmcnt(0)
	ds_bpermute_b32 v2, v14, v1
	s_waitcnt lgkmcnt(0)
	v_add_f32_e32 v1, v1, v2
	ds_bpermute_b32 v2, v13, v1
	s_waitcnt lgkmcnt(0)
	v_add_f32_e32 v1, v1, v2
	v_mov_b32_e32 v2, 0
	ds_bpermute_b32 v1, v2, v1
	s_and_saveexec_b32 s5, s6
	s_cbranch_execz .LBB298_1047
; %bb.1045:
	s_waitcnt lgkmcnt(0)
	v_add_f32_e32 v2, 0x358637bd, v1
	s_getpc_b64 s[6:7]
	s_add_u32 s6, s6, llvm.amdgcn.dynlds.offset.table@rel32@lo+4
	s_addc_u32 s7, s7, llvm.amdgcn.dynlds.offset.table@rel32@hi+12
	s_ashr_i32 s17, s16, 31
	s_lshl_b64 s[18:19], s[16:17], 2
	v_div_scale_f32 v1, null, v2, v2, 1.0
	v_div_scale_f32 v5, vcc_lo, 1.0, v2, 1.0
	s_add_u32 s6, s6, s18
	v_rcp_f32_e32 v3, v1
	s_addc_u32 s7, s7, s19
	s_load_dword s6, s[6:7], 0x0
	v_fma_f32 v4, -v1, v3, 1.0
	v_fmac_f32_e32 v3, v4, v3
	v_mul_f32_e32 v4, v5, v3
	v_fma_f32 v6, -v1, v4, v5
	v_fmac_f32_e32 v4, v6, v3
	v_fma_f32 v1, -v1, v4, v5
	v_div_fmas_f32 v3, v1, v3, v4
	s_waitcnt lgkmcnt(0)
	v_lshl_add_u32 v1, v60, 2, s6
	s_mov_b32 s6, 0
	v_div_fixup_f32 v2, v3, v2, 1.0
	v_mov_b32_e32 v3, v60
.LBB298_1046:                           ; =>This Inner Loop Header: Depth=1
	ds_read_b32 v4, v1
	v_add_nc_u32_e32 v3, 0x80, v3
	v_cmp_ge_i32_e32 vcc_lo, v3, v0
	s_or_b32 s6, vcc_lo, s6
	s_waitcnt lgkmcnt(0)
	v_mul_f32_e32 v4, v2, v4
	ds_write_b32 v1, v4
	v_add_nc_u32_e32 v1, 0x200, v1
	s_andn2_b32 exec_lo, exec_lo, s6
	s_cbranch_execnz .LBB298_1046
.LBB298_1047:
	s_or_b32 exec_lo, exec_lo, s5
	s_waitcnt lgkmcnt(0)
	s_barrier
	buffer_gl0_inv
	s_and_saveexec_b32 s5, s4
	s_xor_b32 s4, exec_lo, s5
; %bb.1048:
	s_ashr_i32 s17, s16, 31
                                        ; implicit-def: $vgpr28
                                        ; implicit-def: $vgpr63
                                        ; implicit-def: $vgpr26
                                        ; implicit-def: $vgpr18
                                        ; implicit-def: $vgpr10
                                        ; implicit-def: $vgpr11
                                        ; implicit-def: $vgpr0
                                        ; kill: killed $vgpr0
                                        ; implicit-def: $vgpr22_vgpr23
                                        ; implicit-def: $vgpr19
                                        ; implicit-def: $vgpr27
                                        ; implicit-def: $vgpr12
                                        ; implicit-def: $vgpr50_vgpr51
; %bb.1049:
	s_or_saveexec_b32 s5, s4
	v_mov_b32_e32 v4, s16
	v_mov_b32_e32 v38, 0
	;; [unrolled: 1-line block ×3, first 2 shown]
	v_and_b32_e32 v15, 3, v60
	v_mov_b32_e32 v49, 0
	v_mov_b32_e32 v48, 0
	;; [unrolled: 1-line block ×15, first 2 shown]
	s_xor_b32 exec_lo, exec_lo, s5
	s_cbranch_execz .LBB298_2109
; %bb.1050:
	s_ashr_i32 s17, s16, 31
	s_getpc_b64 s[6:7]
	s_add_u32 s6, s6, llvm.amdgcn.dynlds.offset.table@rel32@lo+4
	s_addc_u32 s7, s7, llvm.amdgcn.dynlds.offset.table@rel32@hi+12
	s_lshl_b64 s[18:19], s[16:17], 2
	v_lshlrev_b32_e32 v0, 3, v60
	s_add_u32 s6, s6, s18
	s_addc_u32 s7, s7, s19
	v_add_co_u32 v2, vcc_lo, v26, v19
	s_load_dword s4, s[6:7], 0x0
	v_and_b32_e32 v1, 24, v0
	v_and_b32_e32 v0, 0xf8, v0
	v_add_co_ci_u32_e64 v3, null, v18, v27, vcc_lo
	v_and_b32_e32 v7, 0x7c, v12
	v_lshlrev_b32_e32 v9, 5, v123
	v_add_co_u32 v5, vcc_lo, v2, v0
	v_lshlrev_b32_e32 v0, 5, v15
	v_add_co_ci_u32_e64 v6, null, 0, v3, vcc_lo
	v_add_co_u32 v2, vcc_lo, v7, v50
	v_add_co_ci_u32_e64 v3, null, 0, v51, vcc_lo
	v_lshl_or_b32 v0, v123, 7, v0
	v_add_co_u32 v7, vcc_lo, v10, v2
	v_add_nc_u32_e32 v30, -1, v63
	v_mov_b32_e32 v4, 0
	v_add_co_ci_u32_e64 v8, null, v11, v3, vcc_lo
	v_or3_b32 v31, v9, v1, 7
	s_waitcnt lgkmcnt(0)
	v_add_nc_u32_e32 v50, s4, v0
	v_mov_b32_e32 v51, 0x80
	v_mov_b32_e32 v52, 0x7f
	;; [unrolled: 1-line block ×21, first 2 shown]
	s_mov_b32 s6, -1
	s_mov_b32 s7, 0xffffff
	s_mov_b32 s13, 0
	s_branch .LBB298_1052
.LBB298_1051:                           ;   in Loop: Header=BB298_1052 Depth=1
	s_or_b32 exec_lo, exec_lo, s4
	v_add_f32_e32 v0, v0, v1
	v_add_f32_e32 v1, v115, v116
	v_add_f32_e32 v11, v11, v12
	v_add_f32_e32 v12, v118, v119
	v_add_nc_u32_e32 v55, 4, v55
	v_add_f32_e32 v32, v32, v0
	v_add_f32_e32 v0, v113, v114
	;; [unrolled: 1-line block ×7, first 2 shown]
	;;#ASMSTART
	v_pk_mul_f16 v0, v69, v10;

	;;#ASMEND
	v_add_f32_e32 v35, v35, v1
	;;#ASMSTART
	v_pk_mul_f16 v1, v67, v2;

	;;#ASMEND
	;;#ASMSTART
	v_pk_mul_f16 v2, v66, v9;

	;;#ASMEND
	;; [unrolled: 4-line block ×3, first 2 shown]
	;;#ASMSTART
	v_pk_add_f16 v0, v0, v1;

	;;#ASMEND
	;;#ASMSTART
	v_pk_add_f16 v0, v0, v2;

	;;#ASMEND
	;; [unrolled: 4-line block ×3, first 2 shown]
	v_and_b32_e32 v3, 0xffff, v0
	v_lshrrev_b32_e32 v9, 16, v0
	;;#ASMSTART
	v_cvt_f32_f16 v3, v3;
	;;#ASMEND
	v_add_f32_e32 v29, v29, v117
	v_add_f32_e32 v26, v26, v27
	;; [unrolled: 1-line block ×10, first 2 shown]
	;;#ASMSTART
	v_cvt_f32_f16 v9, v9;
	;;#ASMEND
	v_add_f32_e32 v3, v3, v9
	v_cmp_ge_i32_e32 vcc_lo, v55, v63
	v_add_co_u32 v7, s4, v7, 16
	v_add_f32_e32 v21, v21, v29
	v_add_f32_e32 v24, v24, v26
	;; [unrolled: 1-line block ×9, first 2 shown]
	v_add_co_ci_u32_e64 v8, null, 0, v8, s4
	v_add_nc_u32_e32 v31, 0x80, v31
	v_add_nc_u32_e32 v50, 0x200, v50
	s_or_b32 s13, vcc_lo, s13
	s_andn2_b32 exec_lo, exec_lo, s13
	s_cbranch_execz .LBB298_2108
.LBB298_1052:                           ; =>This Inner Loop Header: Depth=1
	flat_load_dword v9, v[7:8]
	ds_read2_b64 v[0:3], v50 offset1:1
	ds_read2_b64 v[64:67], v50 offset0:2 offset1:3
	s_waitcnt lgkmcnt(1)
	;;#ASMSTART
	v_cvt_f16_f32 v0, v0;

	;;#ASMEND
	buffer_load_dword v10, off, s[0:3], s32 offset:256 ; 4-byte Folded Reload
	;;#ASMSTART
	v_cvt_f16_f32 v1, v1;

	;;#ASMEND
	;;#ASMSTART
	v_cvt_f16_f32 v27, v2;

	;;#ASMEND
	;;#ASMSTART
	v_cvt_f16_f32 v18, v3;

	;;#ASMEND
	s_waitcnt lgkmcnt(0)
	;;#ASMSTART
	v_cvt_f16_f32 v29, v64;

	;;#ASMEND
	;;#ASMSTART
	v_cvt_f16_f32 v19, v65;

	;;#ASMEND
	;; [unrolled: 4-line block ×4, first 2 shown]
	v_mov_b32_e32 v67, 0
	s_waitcnt vmcnt(0)
	v_mad_i64_i32 v[9:10], null, v9, v10, v[5:6]
	flat_load_dwordx2 v[11:12], v[9:10]
	flat_load_dword v66, v[22:23]
	s_waitcnt vmcnt(1) lgkmcnt(1)
	v_cmp_ne_u16_sdwa s15, v11, v4 src0_sel:BYTE_0 src1_sel:DWORD
	s_and_saveexec_b32 s4, s15
	s_cbranch_execz .LBB298_1060
; %bb.1053:                             ;   in Loop: Header=BB298_1052 Depth=1
	v_cmp_ne_u16_sdwa s18, v11, v51 src0_sel:BYTE_0 src1_sel:DWORD
	v_mov_b32_e32 v67, 0x8000
	s_and_saveexec_b32 s15, s18
	s_cbranch_execz .LBB298_1059
; %bb.1054:                             ;   in Loop: Header=BB298_1052 Depth=1
	v_and_b32_e32 v64, 0x7f, v11
	v_mov_b32_e32 v67, 0x7c01
	s_mov_b32 s18, exec_lo
	v_cmpx_ne_u32_e32 0x7f, v64
	s_cbranch_execz .LBB298_1058
; %bb.1055:                             ;   in Loop: Header=BB298_1052 Depth=1
	v_and_b32_e32 v2, 7, v11
	v_lshrrev_b32_e32 v3, 3, v64
	s_mov_b32 s19, exec_lo
	v_cmpx_gt_u32_e32 8, v64
; %bb.1056:                             ;   in Loop: Header=BB298_1052 Depth=1
	v_ffbh_u32_e32 v2, v2
	v_min_u32_e32 v64, 32, v2
	v_subrev_nc_u32_e32 v2, 28, v64
	v_lshlrev_b64 v[2:3], v2, v[11:12]
	v_sub_nc_u32_e32 v3, 29, v64
	v_and_b32_e32 v2, 7, v2
; %bb.1057:                             ;   in Loop: Header=BB298_1052 Depth=1
	s_or_b32 exec_lo, exec_lo, s19
	v_lshlrev_b32_e32 v64, 8, v11
	v_lshl_add_u32 v3, v3, 10, 0x2000
	v_lshlrev_b32_e32 v2, 7, v2
	v_and_b32_e32 v64, 0x8000, v64
	v_and_b32_e32 v3, 0xfc00, v3
	v_or3_b32 v67, v64, v3, v2
.LBB298_1058:                           ;   in Loop: Header=BB298_1052 Depth=1
	s_or_b32 exec_lo, exec_lo, s18
.LBB298_1059:                           ;   in Loop: Header=BB298_1052 Depth=1
	s_or_b32 exec_lo, exec_lo, s15
.LBB298_1060:                           ;   in Loop: Header=BB298_1052 Depth=1
	s_or_b32 exec_lo, exec_lo, s4
	v_lshrrev_b16 v3, 8, v11
	v_mov_b32_e32 v64, 0
	v_mov_b32_e32 v68, 0
	s_mov_b32 s4, exec_lo
	v_cmpx_ne_u16_e32 0, v3
	s_cbranch_execz .LBB298_1068
; %bb.1061:                             ;   in Loop: Header=BB298_1052 Depth=1
	v_bfrev_b32_e32 v68, 1
	s_mov_b32 s15, exec_lo
	v_cmpx_ne_u16_e32 0x80, v3
	s_cbranch_execz .LBB298_1067
; %bb.1062:                             ;   in Loop: Header=BB298_1052 Depth=1
	v_and_b32_sdwa v69, v3, v52 dst_sel:DWORD dst_unused:UNUSED_PAD src0_sel:WORD_0 src1_sel:DWORD
	v_mov_b32_e32 v68, 0x7c010000
	s_mov_b32 s18, exec_lo
	v_cmpx_ne_u32_e32 0x7f, v69
	s_cbranch_execz .LBB298_1066
; %bb.1063:                             ;   in Loop: Header=BB298_1052 Depth=1
	v_and_b32_sdwa v2, v3, v53 dst_sel:DWORD dst_unused:UNUSED_PAD src0_sel:WORD_0 src1_sel:DWORD
	v_lshrrev_b32_e32 v68, 3, v69
	s_mov_b32 s19, exec_lo
	v_cmpx_gt_u32_e32 8, v69
; %bb.1064:                             ;   in Loop: Header=BB298_1052 Depth=1
	v_ffbh_u32_e32 v2, v2
	v_min_u32_e32 v2, 32, v2
	v_subrev_nc_u32_e32 v68, 28, v2
	v_lshlrev_b64 v[69:70], v68, v[3:4]
	v_sub_nc_u32_e32 v68, 29, v2
	v_and_b32_e32 v2, 7, v69
; %bb.1065:                             ;   in Loop: Header=BB298_1052 Depth=1
	s_or_b32 exec_lo, exec_lo, s19
	v_lshlrev_b32_sdwa v3, v54, v3 dst_sel:DWORD dst_unused:UNUSED_PAD src0_sel:DWORD src1_sel:WORD_0
	v_lshl_add_u32 v68, v68, 10, 0x2000
	v_lshlrev_b32_e32 v2, 23, v2
	v_and_or_b32 v3, 0x8000, v3, v68
	v_lshl_or_b32 v68, v3, 16, v2
.LBB298_1066:                           ;   in Loop: Header=BB298_1052 Depth=1
	s_or_b32 exec_lo, exec_lo, s18
.LBB298_1067:                           ;   in Loop: Header=BB298_1052 Depth=1
	s_or_b32 exec_lo, exec_lo, s15
.LBB298_1068:                           ;   in Loop: Header=BB298_1052 Depth=1
	s_or_b32 exec_lo, exec_lo, s4
	v_lshrrev_b32_e32 v2, 16, v11
	v_cmp_ne_u16_sdwa s15, v2, v4 src0_sel:BYTE_0 src1_sel:DWORD
	s_and_saveexec_b32 s4, s15
	s_cbranch_execz .LBB298_1076
; %bb.1069:                             ;   in Loop: Header=BB298_1052 Depth=1
	v_cmp_ne_u16_sdwa s18, v2, v51 src0_sel:BYTE_0 src1_sel:DWORD
	v_mov_b32_e32 v64, 0x8000
	s_and_saveexec_b32 s15, s18
	s_cbranch_execz .LBB298_1075
; %bb.1070:                             ;   in Loop: Header=BB298_1052 Depth=1
	v_bfe_u32 v69, v11, 16, 7
	v_mov_b32_e32 v64, 0x7c01
	s_mov_b32 s18, exec_lo
	v_cmpx_ne_u32_e32 0x7f, v69
	s_cbranch_execz .LBB298_1074
; %bb.1071:                             ;   in Loop: Header=BB298_1052 Depth=1
	v_and_b32_e32 v3, 7, v2
	v_lshrrev_b32_e32 v64, 3, v69
	s_mov_b32 s19, exec_lo
	v_cmpx_gt_u32_e32 8, v69
; %bb.1072:                             ;   in Loop: Header=BB298_1052 Depth=1
	v_ffbh_u32_e32 v3, v3
	v_min_u32_e32 v3, 32, v3
	v_subrev_nc_u32_e32 v64, 28, v3
	v_lshlrev_b64 v[69:70], v64, v[2:3]
	v_sub_nc_u32_e32 v64, 29, v3
	v_and_b32_e32 v3, 7, v69
; %bb.1073:                             ;   in Loop: Header=BB298_1052 Depth=1
	s_or_b32 exec_lo, exec_lo, s19
	v_lshlrev_b32_e32 v2, 8, v2
	v_lshl_add_u32 v64, v64, 10, 0x2000
	v_lshlrev_b32_e32 v3, 7, v3
	v_and_b32_e32 v2, 0x8000, v2
	v_and_b32_e32 v64, 0xfc00, v64
	v_or3_b32 v64, v2, v64, v3
.LBB298_1074:                           ;   in Loop: Header=BB298_1052 Depth=1
	s_or_b32 exec_lo, exec_lo, s18
.LBB298_1075:                           ;   in Loop: Header=BB298_1052 Depth=1
	s_or_b32 exec_lo, exec_lo, s15
.LBB298_1076:                           ;   in Loop: Header=BB298_1052 Depth=1
	s_or_b32 exec_lo, exec_lo, s4
	v_mov_b32_e32 v69, 0
	v_mov_b32_e32 v70, 0
	s_mov_b32 s4, exec_lo
	v_cmpx_lt_u32_e32 0xffffff, v11
	s_cbranch_execz .LBB298_1084
; %bb.1077:                             ;   in Loop: Header=BB298_1052 Depth=1
	v_lshrrev_b32_e32 v3, 24, v11
	v_bfrev_b32_e32 v70, 1
	s_mov_b32 s15, exec_lo
	v_cmpx_ne_u32_e32 0x80, v3
	s_cbranch_execz .LBB298_1083
; %bb.1078:                             ;   in Loop: Header=BB298_1052 Depth=1
	v_and_b32_e32 v71, 0x7f, v3
	v_mov_b32_e32 v70, 0x7c010000
	s_mov_b32 s18, exec_lo
	v_cmpx_ne_u32_e32 0x7f, v71
	s_cbranch_execz .LBB298_1082
; %bb.1079:                             ;   in Loop: Header=BB298_1052 Depth=1
	v_and_b32_e32 v2, 7, v3
	v_lshrrev_b32_e32 v70, 3, v71
	s_mov_b32 s19, exec_lo
	v_cmpx_gt_u32_e32 8, v71
; %bb.1080:                             ;   in Loop: Header=BB298_1052 Depth=1
	v_ffbh_u32_e32 v2, v2
	v_min_u32_e32 v2, 32, v2
	v_subrev_nc_u32_e32 v70, 28, v2
	v_lshlrev_b64 v[80:81], v70, v[3:4]
	v_sub_nc_u32_e32 v70, 29, v2
	v_and_b32_e32 v2, 7, v80
; %bb.1081:                             ;   in Loop: Header=BB298_1052 Depth=1
	s_or_b32 exec_lo, exec_lo, s19
	v_lshlrev_b32_e32 v3, 8, v3
	v_lshl_add_u32 v70, v70, 10, 0x2000
	v_lshlrev_b32_e32 v2, 23, v2
	v_and_or_b32 v3, 0x8000, v3, v70
	v_lshl_or_b32 v70, v3, 16, v2
.LBB298_1082:                           ;   in Loop: Header=BB298_1052 Depth=1
	s_or_b32 exec_lo, exec_lo, s18
.LBB298_1083:                           ;   in Loop: Header=BB298_1052 Depth=1
	s_or_b32 exec_lo, exec_lo, s15
.LBB298_1084:                           ;   in Loop: Header=BB298_1052 Depth=1
	s_or_b32 exec_lo, exec_lo, s4
	v_mov_b32_e32 v3, v12
	v_cmp_ne_u16_sdwa s15, v12, v4 src0_sel:BYTE_0 src1_sel:DWORD
	s_and_saveexec_b32 s4, s15
	s_cbranch_execz .LBB298_1092
; %bb.1085:                             ;   in Loop: Header=BB298_1052 Depth=1
	v_cmp_ne_u16_sdwa s18, v12, v51 src0_sel:BYTE_0 src1_sel:DWORD
	v_mov_b32_e32 v69, 0x8000
	s_and_saveexec_b32 s15, s18
	s_cbranch_execz .LBB298_1091
; %bb.1086:                             ;   in Loop: Header=BB298_1052 Depth=1
	v_and_b32_e32 v71, 0x7f, v12
	v_mov_b32_e32 v69, 0x7c01
	s_mov_b32 s18, exec_lo
	v_cmpx_ne_u32_e32 0x7f, v71
	s_cbranch_execz .LBB298_1090
; %bb.1087:                             ;   in Loop: Header=BB298_1052 Depth=1
	v_and_b32_e32 v2, 7, v12
	v_lshrrev_b32_e32 v69, 3, v71
	s_mov_b32 s19, exec_lo
	v_cmpx_gt_u32_e32 8, v71
; %bb.1088:                             ;   in Loop: Header=BB298_1052 Depth=1
	v_ffbh_u32_e32 v2, v2
	v_min_u32_e32 v2, 32, v2
	v_subrev_nc_u32_e32 v69, 28, v2
	v_lshlrev_b64 v[80:81], v69, v[3:4]
	v_sub_nc_u32_e32 v69, 29, v2
	v_and_b32_e32 v2, 7, v80
; %bb.1089:                             ;   in Loop: Header=BB298_1052 Depth=1
	s_or_b32 exec_lo, exec_lo, s19
	v_lshlrev_b32_e32 v71, 8, v12
	v_lshl_add_u32 v69, v69, 10, 0x2000
	v_lshlrev_b32_e32 v2, 7, v2
	v_and_b32_e32 v71, 0x8000, v71
	v_and_b32_e32 v69, 0xfc00, v69
	v_or3_b32 v69, v71, v69, v2
.LBB298_1090:                           ;   in Loop: Header=BB298_1052 Depth=1
	s_or_b32 exec_lo, exec_lo, s18
.LBB298_1091:                           ;   in Loop: Header=BB298_1052 Depth=1
	s_or_b32 exec_lo, exec_lo, s15
.LBB298_1092:                           ;   in Loop: Header=BB298_1052 Depth=1
	s_or_b32 exec_lo, exec_lo, s4
	v_lshrrev_b16 v3, 8, v3
	v_mov_b32_e32 v80, 0
	v_mov_b32_e32 v71, 0
	s_mov_b32 s4, exec_lo
	v_cmpx_ne_u16_e32 0, v3
	s_cbranch_execz .LBB298_1100
; %bb.1093:                             ;   in Loop: Header=BB298_1052 Depth=1
	v_bfrev_b32_e32 v71, 1
	s_mov_b32 s15, exec_lo
	v_cmpx_ne_u16_e32 0x80, v3
	s_cbranch_execz .LBB298_1099
; %bb.1094:                             ;   in Loop: Header=BB298_1052 Depth=1
	v_and_b32_sdwa v81, v3, v52 dst_sel:DWORD dst_unused:UNUSED_PAD src0_sel:WORD_0 src1_sel:DWORD
	v_mov_b32_e32 v71, 0x7c010000
	s_mov_b32 s18, exec_lo
	v_cmpx_ne_u32_e32 0x7f, v81
	s_cbranch_execz .LBB298_1098
; %bb.1095:                             ;   in Loop: Header=BB298_1052 Depth=1
	v_and_b32_sdwa v2, v3, v53 dst_sel:DWORD dst_unused:UNUSED_PAD src0_sel:WORD_0 src1_sel:DWORD
	v_lshrrev_b32_e32 v71, 3, v81
	s_mov_b32 s19, exec_lo
	v_cmpx_gt_u32_e32 8, v81
; %bb.1096:                             ;   in Loop: Header=BB298_1052 Depth=1
	v_ffbh_u32_e32 v2, v2
	v_min_u32_e32 v2, 32, v2
	v_subrev_nc_u32_e32 v71, 28, v2
	v_lshlrev_b64 v[81:82], v71, v[3:4]
	v_sub_nc_u32_e32 v71, 29, v2
	v_and_b32_e32 v2, 7, v81
; %bb.1097:                             ;   in Loop: Header=BB298_1052 Depth=1
	s_or_b32 exec_lo, exec_lo, s19
	v_lshlrev_b32_sdwa v3, v54, v3 dst_sel:DWORD dst_unused:UNUSED_PAD src0_sel:DWORD src1_sel:WORD_0
	v_lshl_add_u32 v71, v71, 10, 0x2000
	v_lshlrev_b32_e32 v2, 23, v2
	v_and_or_b32 v3, 0x8000, v3, v71
	v_lshl_or_b32 v71, v3, 16, v2
.LBB298_1098:                           ;   in Loop: Header=BB298_1052 Depth=1
	s_or_b32 exec_lo, exec_lo, s18
.LBB298_1099:                           ;   in Loop: Header=BB298_1052 Depth=1
	s_or_b32 exec_lo, exec_lo, s15
.LBB298_1100:                           ;   in Loop: Header=BB298_1052 Depth=1
	s_or_b32 exec_lo, exec_lo, s4
	v_lshrrev_b32_e32 v2, 16, v12
	v_cmp_ne_u16_sdwa s15, v2, v4 src0_sel:BYTE_0 src1_sel:DWORD
	s_and_saveexec_b32 s4, s15
	s_cbranch_execz .LBB298_1108
; %bb.1101:                             ;   in Loop: Header=BB298_1052 Depth=1
	v_cmp_ne_u16_sdwa s18, v2, v51 src0_sel:BYTE_0 src1_sel:DWORD
	v_mov_b32_e32 v80, 0x8000
	s_and_saveexec_b32 s15, s18
	s_cbranch_execz .LBB298_1107
; %bb.1102:                             ;   in Loop: Header=BB298_1052 Depth=1
	v_bfe_u32 v81, v12, 16, 7
	v_mov_b32_e32 v80, 0x7c01
	s_mov_b32 s18, exec_lo
	v_cmpx_ne_u32_e32 0x7f, v81
	s_cbranch_execz .LBB298_1106
; %bb.1103:                             ;   in Loop: Header=BB298_1052 Depth=1
	v_and_b32_e32 v3, 7, v2
	v_lshrrev_b32_e32 v80, 3, v81
	s_mov_b32 s19, exec_lo
	v_cmpx_gt_u32_e32 8, v81
; %bb.1104:                             ;   in Loop: Header=BB298_1052 Depth=1
	v_ffbh_u32_e32 v3, v3
	v_min_u32_e32 v3, 32, v3
	v_subrev_nc_u32_e32 v80, 28, v3
	v_lshlrev_b64 v[81:82], v80, v[2:3]
	v_sub_nc_u32_e32 v80, 29, v3
	v_and_b32_e32 v3, 7, v81
; %bb.1105:                             ;   in Loop: Header=BB298_1052 Depth=1
	s_or_b32 exec_lo, exec_lo, s19
	v_lshlrev_b32_e32 v2, 8, v2
	v_lshl_add_u32 v80, v80, 10, 0x2000
	v_lshlrev_b32_e32 v3, 7, v3
	v_and_b32_e32 v2, 0x8000, v2
	v_and_b32_e32 v80, 0xfc00, v80
	v_or3_b32 v80, v2, v80, v3
.LBB298_1106:                           ;   in Loop: Header=BB298_1052 Depth=1
	s_or_b32 exec_lo, exec_lo, s18
.LBB298_1107:                           ;   in Loop: Header=BB298_1052 Depth=1
	s_or_b32 exec_lo, exec_lo, s15
.LBB298_1108:                           ;   in Loop: Header=BB298_1052 Depth=1
	s_or_b32 exec_lo, exec_lo, s4
	v_mov_b32_e32 v2, 0
	s_mov_b32 s4, exec_lo
	v_cmpx_lt_u64_e64 s[6:7], v[11:12]
	s_cbranch_execz .LBB298_1116
; %bb.1109:                             ;   in Loop: Header=BB298_1052 Depth=1
	v_lshrrev_b32_e32 v3, 24, v12
	v_bfrev_b32_e32 v2, 1
	s_mov_b32 s15, exec_lo
	v_cmpx_ne_u32_e32 0x80, v3
	s_cbranch_execz .LBB298_1115
; %bb.1110:                             ;   in Loop: Header=BB298_1052 Depth=1
	v_and_b32_e32 v12, 0x7f, v3
	v_mov_b32_e32 v2, 0x7c010000
	s_mov_b32 s18, exec_lo
	v_cmpx_ne_u32_e32 0x7f, v12
	s_cbranch_execz .LBB298_1114
; %bb.1111:                             ;   in Loop: Header=BB298_1052 Depth=1
	v_and_b32_e32 v2, 7, v3
	v_lshrrev_b32_e32 v11, 3, v12
	s_mov_b32 s19, exec_lo
	v_cmpx_gt_u32_e32 8, v12
; %bb.1112:                             ;   in Loop: Header=BB298_1052 Depth=1
	v_ffbh_u32_e32 v2, v2
	v_min_u32_e32 v2, 32, v2
	v_subrev_nc_u32_e32 v11, 28, v2
	v_lshlrev_b64 v[81:82], v11, v[3:4]
	v_sub_nc_u32_e32 v11, 29, v2
	v_and_b32_e32 v2, 7, v81
; %bb.1113:                             ;   in Loop: Header=BB298_1052 Depth=1
	s_or_b32 exec_lo, exec_lo, s19
	v_lshlrev_b32_e32 v3, 8, v3
	v_lshl_add_u32 v11, v11, 10, 0x2000
	v_lshlrev_b32_e32 v2, 23, v2
	v_and_or_b32 v3, 0x8000, v3, v11
	v_lshl_or_b32 v2, v3, 16, v2
.LBB298_1114:                           ;   in Loop: Header=BB298_1052 Depth=1
	s_or_b32 exec_lo, exec_lo, s18
.LBB298_1115:                           ;   in Loop: Header=BB298_1052 Depth=1
	s_or_b32 exec_lo, exec_lo, s15
.LBB298_1116:                           ;   in Loop: Header=BB298_1052 Depth=1
	s_or_b32 exec_lo, exec_lo, s4
	v_or_b32_e32 v3, v70, v64
	s_waitcnt vmcnt(0) lgkmcnt(0)
	v_fma_mixlo_f16 v11, v66, v70, 0 op_sel:[0,1,0] op_sel_hi:[0,1,0]
	v_or_b32_e32 v12, v68, v67
	v_fma_mixlo_f16 v67, v66, v68, 0 op_sel:[0,1,0] op_sel_hi:[0,1,0]
	v_or_b32_e32 v69, v71, v69
	v_fma_mixlo_f16 v68, v66, v3, 0 op_sel_hi:[0,1,0]
	v_or_b32_e32 v70, v2, v80
	v_lshlrev_b32_e32 v3, 16, v11
	v_lshlrev_b32_e32 v85, 16, v67
	v_fma_mixlo_f16 v11, v66, v12, 0 op_sel_hi:[0,1,0]
	v_and_b32_e32 v67, 0xffff, v68
	v_fma_mixlo_f16 v12, v66, v71, 0 op_sel:[0,1,0] op_sel_hi:[0,1,0]
	v_fma_mixlo_f16 v68, v66, v69, 0 op_sel_hi:[0,1,0]
	v_fma_mixlo_f16 v2, v66, v2, 0 op_sel:[0,1,0] op_sel_hi:[0,1,0]
	v_fma_mixlo_f16 v70, v66, v70, 0 op_sel_hi:[0,1,0]
	v_and_b32_e32 v87, 0xffff, v11
	v_lshlrev_b32_e32 v69, 16, v12
	v_and_b32_e32 v86, 0xffff, v68
	v_lshlrev_b32_e32 v66, 16, v2
	v_and_b32_e32 v70, 0xffff, v70
	v_add_nc_u32_e32 v64, -7, v31
	v_cmp_eq_u32_e32 vcc_lo, v30, v55
	v_or_b32_e32 v2, v3, v67
	v_or_b32_e32 v11, v85, v87
	;; [unrolled: 1-line block ×4, first 2 shown]
	v_add_nc_u32_e32 v84, -6, v31
	v_add_nc_u32_e32 v83, -5, v31
	v_add_nc_u32_e32 v82, -4, v31
	v_add_nc_u32_e32 v81, -3, v31
	v_add_nc_u32_e32 v80, -2, v31
	v_add_nc_u32_e32 v71, -1, v31
	s_and_saveexec_b32 s15, vcc_lo
	s_cbranch_execz .LBB298_1118
; %bb.1117:                             ;   in Loop: Header=BB298_1052 Depth=1
	v_cmp_lt_i32_e64 s4, v64, v28
	v_cndmask_b32_e64 v2, 0, v87, s4
	v_cmp_lt_i32_e64 s4, v84, v28
	v_cndmask_b32_e64 v11, 0, v85, s4
	v_cmp_lt_i32_e64 s4, v83, v28
	v_or_b32_e32 v11, v2, v11
	v_cndmask_b32_e64 v12, 0, v67, s4
	v_cmp_lt_i32_e64 s4, v82, v28
	v_cndmask_b32_e64 v3, 0, v3, s4
	v_cmp_lt_i32_e64 s4, v81, v28
	v_or_b32_e32 v2, v12, v3
	;; [unrolled: 5-line block ×3, first 2 shown]
	v_cndmask_b32_e64 v69, 0, v70, s4
	v_cmp_lt_i32_e64 s4, v31, v28
	v_cndmask_b32_e64 v66, 0, v66, s4
	v_or_b32_e32 v68, v69, v66
.LBB298_1118:                           ;   in Loop: Header=BB298_1052 Depth=1
	s_or_b32 exec_lo, exec_lo, s15
	v_and_b32_e32 v0, 0xffff, v0
	v_and_b32_e32 v3, 0xffff, v27
	;; [unrolled: 1-line block ×4, first 2 shown]
	v_lshl_or_b32 v69, v1, 16, v0
	;;#ASMSTART
	v_pk_mul_f16 v0, v69, v11;

	;;#ASMEND
	v_lshl_or_b32 v67, v18, 16, v3
	v_lshl_or_b32 v66, v19, 16, v27
	;; [unrolled: 1-line block ×3, first 2 shown]
	;;#ASMSTART
	v_pk_mul_f16 v1, v67, v2;

	;;#ASMEND
	;;#ASMSTART
	v_pk_mul_f16 v2, v66, v12;

	;;#ASMEND
	;; [unrolled: 4-line block ×3, first 2 shown]
	;;#ASMSTART
	v_pk_add_f16 v0, v0, v1;

	;;#ASMEND
	;;#ASMSTART
	v_pk_add_f16 v0, v0, v2;

	;;#ASMEND
	;; [unrolled: 4-line block ×3, first 2 shown]
	v_and_b32_e32 v1, 0xffff, v0
	v_lshrrev_b32_e32 v0, 16, v0
	;;#ASMSTART
	v_cvt_f32_f16 v68, v1;
	;;#ASMEND
	;;#ASMSTART
	v_cvt_f32_f16 v70, v0;
	;;#ASMEND
	flat_load_dwordx2 v[11:12], v[9:10] offset:256
	flat_load_dword v0, v[22:23]
	v_mov_b32_e32 v1, 0
	v_mov_b32_e32 v18, 0
	s_waitcnt vmcnt(1) lgkmcnt(1)
	v_cmp_ne_u16_sdwa s4, v11, v4 src0_sel:BYTE_0 src1_sel:DWORD
	s_and_saveexec_b32 s15, s4
	s_cbranch_execz .LBB298_1126
; %bb.1119:                             ;   in Loop: Header=BB298_1052 Depth=1
	v_cmp_ne_u16_sdwa s4, v11, v51 src0_sel:BYTE_0 src1_sel:DWORD
	v_mov_b32_e32 v18, 0x8000
	s_and_saveexec_b32 s18, s4
	s_cbranch_execz .LBB298_1125
; %bb.1120:                             ;   in Loop: Header=BB298_1052 Depth=1
	v_and_b32_e32 v19, 0x7f, v11
	v_mov_b32_e32 v18, 0x7c01
	s_mov_b32 s19, exec_lo
	v_cmpx_ne_u32_e32 0x7f, v19
	s_cbranch_execz .LBB298_1124
; %bb.1121:                             ;   in Loop: Header=BB298_1052 Depth=1
	v_and_b32_e32 v2, 7, v11
	v_lshrrev_b32_e32 v3, 3, v19
	s_mov_b32 s20, exec_lo
	v_cmpx_gt_u32_e32 8, v19
; %bb.1122:                             ;   in Loop: Header=BB298_1052 Depth=1
	v_ffbh_u32_e32 v2, v2
	v_min_u32_e32 v18, 32, v2
	v_subrev_nc_u32_e32 v2, 28, v18
	v_lshlrev_b64 v[2:3], v2, v[11:12]
	v_sub_nc_u32_e32 v3, 29, v18
	v_and_b32_e32 v2, 7, v2
; %bb.1123:                             ;   in Loop: Header=BB298_1052 Depth=1
	s_or_b32 exec_lo, exec_lo, s20
	v_lshlrev_b32_e32 v18, 8, v11
	v_lshl_add_u32 v3, v3, 10, 0x2000
	v_lshlrev_b32_e32 v2, 7, v2
	v_and_b32_e32 v18, 0x8000, v18
	v_and_b32_e32 v3, 0xfc00, v3
	v_or3_b32 v18, v18, v3, v2
.LBB298_1124:                           ;   in Loop: Header=BB298_1052 Depth=1
	s_or_b32 exec_lo, exec_lo, s19
.LBB298_1125:                           ;   in Loop: Header=BB298_1052 Depth=1
	s_or_b32 exec_lo, exec_lo, s18
.LBB298_1126:                           ;   in Loop: Header=BB298_1052 Depth=1
	s_or_b32 exec_lo, exec_lo, s15
	v_lshrrev_b16 v3, 8, v11
	s_mov_b32 s15, exec_lo
	v_cmpx_ne_u16_e32 0, v3
	s_cbranch_execz .LBB298_1134
; %bb.1127:                             ;   in Loop: Header=BB298_1052 Depth=1
	v_bfrev_b32_e32 v1, 1
	s_mov_b32 s18, exec_lo
	v_cmpx_ne_u16_e32 0x80, v3
	s_cbranch_execz .LBB298_1133
; %bb.1128:                             ;   in Loop: Header=BB298_1052 Depth=1
	v_and_b32_sdwa v19, v3, v52 dst_sel:DWORD dst_unused:UNUSED_PAD src0_sel:WORD_0 src1_sel:DWORD
	v_mov_b32_e32 v1, 0x7c010000
	s_mov_b32 s19, exec_lo
	v_cmpx_ne_u32_e32 0x7f, v19
	s_cbranch_execz .LBB298_1132
; %bb.1129:                             ;   in Loop: Header=BB298_1052 Depth=1
	v_and_b32_sdwa v1, v3, v53 dst_sel:DWORD dst_unused:UNUSED_PAD src0_sel:WORD_0 src1_sel:DWORD
	v_lshrrev_b32_e32 v2, 3, v19
	s_mov_b32 s20, exec_lo
	v_cmpx_gt_u32_e32 8, v19
; %bb.1130:                             ;   in Loop: Header=BB298_1052 Depth=1
	v_ffbh_u32_e32 v1, v1
	v_min_u32_e32 v19, 32, v1
	v_subrev_nc_u32_e32 v1, 28, v19
	v_lshlrev_b64 v[1:2], v1, v[3:4]
	v_sub_nc_u32_e32 v2, 29, v19
	v_and_b32_e32 v1, 7, v1
; %bb.1131:                             ;   in Loop: Header=BB298_1052 Depth=1
	s_or_b32 exec_lo, exec_lo, s20
	v_lshlrev_b32_sdwa v3, v54, v3 dst_sel:DWORD dst_unused:UNUSED_PAD src0_sel:DWORD src1_sel:WORD_0
	v_lshl_add_u32 v2, v2, 10, 0x2000
	v_lshlrev_b32_e32 v1, 23, v1
	v_and_or_b32 v2, 0x8000, v3, v2
	v_lshl_or_b32 v1, v2, 16, v1
.LBB298_1132:                           ;   in Loop: Header=BB298_1052 Depth=1
	s_or_b32 exec_lo, exec_lo, s19
.LBB298_1133:                           ;   in Loop: Header=BB298_1052 Depth=1
	s_or_b32 exec_lo, exec_lo, s18
.LBB298_1134:                           ;   in Loop: Header=BB298_1052 Depth=1
	s_or_b32 exec_lo, exec_lo, s15
	v_lshrrev_b32_e32 v2, 16, v11
	v_mov_b32_e32 v19, 0
	v_mov_b32_e32 v26, 0
	v_cmp_ne_u16_sdwa s4, v2, v4 src0_sel:BYTE_0 src1_sel:DWORD
	s_and_saveexec_b32 s15, s4
	s_cbranch_execz .LBB298_1142
; %bb.1135:                             ;   in Loop: Header=BB298_1052 Depth=1
	v_cmp_ne_u16_sdwa s4, v2, v51 src0_sel:BYTE_0 src1_sel:DWORD
	v_mov_b32_e32 v26, 0x8000
	s_and_saveexec_b32 s18, s4
	s_cbranch_execz .LBB298_1141
; %bb.1136:                             ;   in Loop: Header=BB298_1052 Depth=1
	v_bfe_u32 v27, v11, 16, 7
	v_mov_b32_e32 v26, 0x7c01
	s_mov_b32 s19, exec_lo
	v_cmpx_ne_u32_e32 0x7f, v27
	s_cbranch_execz .LBB298_1140
; %bb.1137:                             ;   in Loop: Header=BB298_1052 Depth=1
	v_and_b32_e32 v3, 7, v2
	v_lshrrev_b32_e32 v26, 3, v27
	s_mov_b32 s20, exec_lo
	v_cmpx_gt_u32_e32 8, v27
; %bb.1138:                             ;   in Loop: Header=BB298_1052 Depth=1
	v_ffbh_u32_e32 v3, v3
	v_min_u32_e32 v3, 32, v3
	v_subrev_nc_u32_e32 v26, 28, v3
	v_lshlrev_b64 v[85:86], v26, v[2:3]
	v_sub_nc_u32_e32 v26, 29, v3
	v_and_b32_e32 v3, 7, v85
; %bb.1139:                             ;   in Loop: Header=BB298_1052 Depth=1
	s_or_b32 exec_lo, exec_lo, s20
	v_lshlrev_b32_e32 v2, 8, v2
	v_lshl_add_u32 v26, v26, 10, 0x2000
	v_lshlrev_b32_e32 v3, 7, v3
	v_and_b32_e32 v2, 0x8000, v2
	v_and_b32_e32 v26, 0xfc00, v26
	v_or3_b32 v26, v2, v26, v3
.LBB298_1140:                           ;   in Loop: Header=BB298_1052 Depth=1
	s_or_b32 exec_lo, exec_lo, s19
.LBB298_1141:                           ;   in Loop: Header=BB298_1052 Depth=1
	s_or_b32 exec_lo, exec_lo, s18
.LBB298_1142:                           ;   in Loop: Header=BB298_1052 Depth=1
	s_or_b32 exec_lo, exec_lo, s15
	s_mov_b32 s15, exec_lo
	v_cmpx_lt_u32_e32 0xffffff, v11
	s_cbranch_execz .LBB298_1150
; %bb.1143:                             ;   in Loop: Header=BB298_1052 Depth=1
	v_lshrrev_b32_e32 v3, 24, v11
	v_bfrev_b32_e32 v19, 1
	s_mov_b32 s18, exec_lo
	v_cmpx_ne_u32_e32 0x80, v3
	s_cbranch_execz .LBB298_1149
; %bb.1144:                             ;   in Loop: Header=BB298_1052 Depth=1
	v_and_b32_e32 v27, 0x7f, v3
	v_mov_b32_e32 v19, 0x7c010000
	s_mov_b32 s19, exec_lo
	v_cmpx_ne_u32_e32 0x7f, v27
	s_cbranch_execz .LBB298_1148
; %bb.1145:                             ;   in Loop: Header=BB298_1052 Depth=1
	v_and_b32_e32 v2, 7, v3
	v_lshrrev_b32_e32 v19, 3, v27
	s_mov_b32 s20, exec_lo
	v_cmpx_gt_u32_e32 8, v27
; %bb.1146:                             ;   in Loop: Header=BB298_1052 Depth=1
	v_ffbh_u32_e32 v2, v2
	v_min_u32_e32 v2, 32, v2
	v_subrev_nc_u32_e32 v19, 28, v2
	v_lshlrev_b64 v[85:86], v19, v[3:4]
	v_sub_nc_u32_e32 v19, 29, v2
	v_and_b32_e32 v2, 7, v85
; %bb.1147:                             ;   in Loop: Header=BB298_1052 Depth=1
	s_or_b32 exec_lo, exec_lo, s20
	v_lshlrev_b32_e32 v3, 8, v3
	v_lshl_add_u32 v19, v19, 10, 0x2000
	v_lshlrev_b32_e32 v2, 23, v2
	v_and_or_b32 v3, 0x8000, v3, v19
	v_lshl_or_b32 v19, v3, 16, v2
.LBB298_1148:                           ;   in Loop: Header=BB298_1052 Depth=1
	s_or_b32 exec_lo, exec_lo, s19
.LBB298_1149:                           ;   in Loop: Header=BB298_1052 Depth=1
	s_or_b32 exec_lo, exec_lo, s18
.LBB298_1150:                           ;   in Loop: Header=BB298_1052 Depth=1
	s_or_b32 exec_lo, exec_lo, s15
	v_mov_b32_e32 v3, v12
	v_cmp_ne_u16_sdwa s4, v12, v4 src0_sel:BYTE_0 src1_sel:DWORD
	v_mov_b32_e32 v27, 0
	v_mov_b32_e32 v29, 0
	s_and_saveexec_b32 s15, s4
	s_cbranch_execz .LBB298_1158
; %bb.1151:                             ;   in Loop: Header=BB298_1052 Depth=1
	v_cmp_ne_u16_sdwa s4, v12, v51 src0_sel:BYTE_0 src1_sel:DWORD
	v_mov_b32_e32 v29, 0x8000
	s_and_saveexec_b32 s18, s4
	s_cbranch_execz .LBB298_1157
; %bb.1152:                             ;   in Loop: Header=BB298_1052 Depth=1
	v_and_b32_e32 v85, 0x7f, v12
	v_mov_b32_e32 v29, 0x7c01
	s_mov_b32 s19, exec_lo
	v_cmpx_ne_u32_e32 0x7f, v85
	s_cbranch_execz .LBB298_1156
; %bb.1153:                             ;   in Loop: Header=BB298_1052 Depth=1
	v_and_b32_e32 v2, 7, v12
	v_lshrrev_b32_e32 v29, 3, v85
	s_mov_b32 s20, exec_lo
	v_cmpx_gt_u32_e32 8, v85
; %bb.1154:                             ;   in Loop: Header=BB298_1052 Depth=1
	v_ffbh_u32_e32 v2, v2
	v_min_u32_e32 v2, 32, v2
	v_subrev_nc_u32_e32 v29, 28, v2
	v_lshlrev_b64 v[85:86], v29, v[3:4]
	v_sub_nc_u32_e32 v29, 29, v2
	v_and_b32_e32 v2, 7, v85
; %bb.1155:                             ;   in Loop: Header=BB298_1052 Depth=1
	s_or_b32 exec_lo, exec_lo, s20
	v_lshlrev_b32_e32 v85, 8, v12
	v_lshl_add_u32 v29, v29, 10, 0x2000
	v_lshlrev_b32_e32 v2, 7, v2
	v_and_b32_e32 v85, 0x8000, v85
	v_and_b32_e32 v29, 0xfc00, v29
	v_or3_b32 v29, v85, v29, v2
.LBB298_1156:                           ;   in Loop: Header=BB298_1052 Depth=1
	s_or_b32 exec_lo, exec_lo, s19
.LBB298_1157:                           ;   in Loop: Header=BB298_1052 Depth=1
	s_or_b32 exec_lo, exec_lo, s18
.LBB298_1158:                           ;   in Loop: Header=BB298_1052 Depth=1
	s_or_b32 exec_lo, exec_lo, s15
	v_lshrrev_b16 v3, 8, v3
	v_mov_b32_e32 v85, 0
	s_mov_b32 s15, exec_lo
	v_cmpx_ne_u16_e32 0, v3
	s_cbranch_execz .LBB298_1166
; %bb.1159:                             ;   in Loop: Header=BB298_1052 Depth=1
	v_bfrev_b32_e32 v85, 1
	s_mov_b32 s18, exec_lo
	v_cmpx_ne_u16_e32 0x80, v3
	s_cbranch_execz .LBB298_1165
; %bb.1160:                             ;   in Loop: Header=BB298_1052 Depth=1
	v_and_b32_sdwa v86, v3, v52 dst_sel:DWORD dst_unused:UNUSED_PAD src0_sel:WORD_0 src1_sel:DWORD
	v_mov_b32_e32 v85, 0x7c010000
	s_mov_b32 s19, exec_lo
	v_cmpx_ne_u32_e32 0x7f, v86
	s_cbranch_execz .LBB298_1164
; %bb.1161:                             ;   in Loop: Header=BB298_1052 Depth=1
	v_and_b32_sdwa v2, v3, v53 dst_sel:DWORD dst_unused:UNUSED_PAD src0_sel:WORD_0 src1_sel:DWORD
	v_lshrrev_b32_e32 v85, 3, v86
	s_mov_b32 s20, exec_lo
	v_cmpx_gt_u32_e32 8, v86
; %bb.1162:                             ;   in Loop: Header=BB298_1052 Depth=1
	v_ffbh_u32_e32 v2, v2
	v_min_u32_e32 v2, 32, v2
	v_subrev_nc_u32_e32 v85, 28, v2
	v_lshlrev_b64 v[86:87], v85, v[3:4]
	v_sub_nc_u32_e32 v85, 29, v2
	v_and_b32_e32 v2, 7, v86
; %bb.1163:                             ;   in Loop: Header=BB298_1052 Depth=1
	s_or_b32 exec_lo, exec_lo, s20
	v_lshlrev_b32_sdwa v3, v54, v3 dst_sel:DWORD dst_unused:UNUSED_PAD src0_sel:DWORD src1_sel:WORD_0
	v_lshl_add_u32 v85, v85, 10, 0x2000
	v_lshlrev_b32_e32 v2, 23, v2
	v_and_or_b32 v3, 0x8000, v3, v85
	v_lshl_or_b32 v85, v3, 16, v2
.LBB298_1164:                           ;   in Loop: Header=BB298_1052 Depth=1
	s_or_b32 exec_lo, exec_lo, s19
.LBB298_1165:                           ;   in Loop: Header=BB298_1052 Depth=1
	s_or_b32 exec_lo, exec_lo, s18
.LBB298_1166:                           ;   in Loop: Header=BB298_1052 Depth=1
	s_or_b32 exec_lo, exec_lo, s15
	v_lshrrev_b32_e32 v2, 16, v12
	v_cmp_ne_u16_sdwa s4, v2, v4 src0_sel:BYTE_0 src1_sel:DWORD
	s_and_saveexec_b32 s15, s4
	s_cbranch_execz .LBB298_1174
; %bb.1167:                             ;   in Loop: Header=BB298_1052 Depth=1
	v_cmp_ne_u16_sdwa s4, v2, v51 src0_sel:BYTE_0 src1_sel:DWORD
	v_mov_b32_e32 v27, 0x8000
	s_and_saveexec_b32 s18, s4
	s_cbranch_execz .LBB298_1173
; %bb.1168:                             ;   in Loop: Header=BB298_1052 Depth=1
	v_bfe_u32 v86, v12, 16, 7
	v_mov_b32_e32 v27, 0x7c01
	s_mov_b32 s19, exec_lo
	v_cmpx_ne_u32_e32 0x7f, v86
	s_cbranch_execz .LBB298_1172
; %bb.1169:                             ;   in Loop: Header=BB298_1052 Depth=1
	v_and_b32_e32 v3, 7, v2
	v_lshrrev_b32_e32 v27, 3, v86
	s_mov_b32 s20, exec_lo
	v_cmpx_gt_u32_e32 8, v86
; %bb.1170:                             ;   in Loop: Header=BB298_1052 Depth=1
	v_ffbh_u32_e32 v3, v3
	v_min_u32_e32 v3, 32, v3
	v_subrev_nc_u32_e32 v27, 28, v3
	v_lshlrev_b64 v[86:87], v27, v[2:3]
	v_sub_nc_u32_e32 v27, 29, v3
	v_and_b32_e32 v3, 7, v86
; %bb.1171:                             ;   in Loop: Header=BB298_1052 Depth=1
	s_or_b32 exec_lo, exec_lo, s20
	v_lshlrev_b32_e32 v2, 8, v2
	v_lshl_add_u32 v27, v27, 10, 0x2000
	v_lshlrev_b32_e32 v3, 7, v3
	v_and_b32_e32 v2, 0x8000, v2
	v_and_b32_e32 v27, 0xfc00, v27
	v_or3_b32 v27, v2, v27, v3
.LBB298_1172:                           ;   in Loop: Header=BB298_1052 Depth=1
	s_or_b32 exec_lo, exec_lo, s19
.LBB298_1173:                           ;   in Loop: Header=BB298_1052 Depth=1
	s_or_b32 exec_lo, exec_lo, s18
.LBB298_1174:                           ;   in Loop: Header=BB298_1052 Depth=1
	s_or_b32 exec_lo, exec_lo, s15
	v_mov_b32_e32 v2, 0
	s_mov_b32 s15, exec_lo
	v_cmpx_lt_u64_e64 s[6:7], v[11:12]
	s_cbranch_execz .LBB298_1182
; %bb.1175:                             ;   in Loop: Header=BB298_1052 Depth=1
	v_lshrrev_b32_e32 v3, 24, v12
	v_bfrev_b32_e32 v2, 1
	s_mov_b32 s18, exec_lo
	v_cmpx_ne_u32_e32 0x80, v3
	s_cbranch_execz .LBB298_1181
; %bb.1176:                             ;   in Loop: Header=BB298_1052 Depth=1
	v_and_b32_e32 v12, 0x7f, v3
	v_mov_b32_e32 v2, 0x7c010000
	s_mov_b32 s19, exec_lo
	v_cmpx_ne_u32_e32 0x7f, v12
	s_cbranch_execz .LBB298_1180
; %bb.1177:                             ;   in Loop: Header=BB298_1052 Depth=1
	v_and_b32_e32 v2, 7, v3
	v_lshrrev_b32_e32 v11, 3, v12
	s_mov_b32 s20, exec_lo
	v_cmpx_gt_u32_e32 8, v12
; %bb.1178:                             ;   in Loop: Header=BB298_1052 Depth=1
	v_ffbh_u32_e32 v2, v2
	v_min_u32_e32 v2, 32, v2
	v_subrev_nc_u32_e32 v11, 28, v2
	v_lshlrev_b64 v[86:87], v11, v[3:4]
	v_sub_nc_u32_e32 v11, 29, v2
	v_and_b32_e32 v2, 7, v86
; %bb.1179:                             ;   in Loop: Header=BB298_1052 Depth=1
	s_or_b32 exec_lo, exec_lo, s20
	v_lshlrev_b32_e32 v3, 8, v3
	v_lshl_add_u32 v11, v11, 10, 0x2000
	v_lshlrev_b32_e32 v2, 23, v2
	v_and_or_b32 v3, 0x8000, v3, v11
	v_lshl_or_b32 v2, v3, 16, v2
.LBB298_1180:                           ;   in Loop: Header=BB298_1052 Depth=1
	s_or_b32 exec_lo, exec_lo, s19
.LBB298_1181:                           ;   in Loop: Header=BB298_1052 Depth=1
	s_or_b32 exec_lo, exec_lo, s18
.LBB298_1182:                           ;   in Loop: Header=BB298_1052 Depth=1
	s_or_b32 exec_lo, exec_lo, s15
	v_or_b32_e32 v3, v19, v26
	s_waitcnt vmcnt(0) lgkmcnt(0)
	v_fma_mixlo_f16 v11, v0, v19, 0 op_sel:[0,1,0] op_sel_hi:[0,1,0]
	v_or_b32_e32 v18, v1, v18
	v_or_b32_e32 v19, v85, v29
	;; [unrolled: 1-line block ×3, first 2 shown]
	v_fma_mixlo_f16 v12, v0, v1, 0 op_sel:[0,1,0] op_sel_hi:[0,1,0]
	v_fma_mixlo_f16 v3, v0, v3, 0 op_sel_hi:[0,1,0]
	v_lshlrev_b32_e32 v1, 16, v11
	v_fma_mixlo_f16 v11, v0, v18, 0 op_sel_hi:[0,1,0]
	v_fma_mixlo_f16 v18, v0, v85, 0 op_sel:[0,1,0] op_sel_hi:[0,1,0]
	v_fma_mixlo_f16 v19, v0, v19, 0 op_sel_hi:[0,1,0]
	v_fma_mixlo_f16 v27, v0, v2, 0 op_sel:[0,1,0] op_sel_hi:[0,1,0]
	v_fma_mixlo_f16 v26, v0, v26, 0 op_sel_hi:[0,1,0]
	v_lshlrev_b32_e32 v12, 16, v12
	v_and_b32_e32 v3, 0xffff, v3
	v_and_b32_e32 v85, 0xffff, v11
	v_lshlrev_b32_e32 v2, 16, v18
	v_and_b32_e32 v19, 0xffff, v19
	v_lshlrev_b32_e32 v0, 16, v27
	v_and_b32_e32 v11, 0xffff, v26
	v_or_b32_e32 v18, v1, v3
	v_or_b32_e32 v29, v12, v85
	;; [unrolled: 1-line block ×4, first 2 shown]
	s_and_saveexec_b32 s15, vcc_lo
	s_cbranch_execz .LBB298_1184
; %bb.1183:                             ;   in Loop: Header=BB298_1052 Depth=1
	v_cmp_lt_i32_e64 s4, v64, v28
	v_cndmask_b32_e64 v18, 0, v85, s4
	v_cmp_lt_i32_e64 s4, v84, v28
	v_cndmask_b32_e64 v12, 0, v12, s4
	v_cmp_lt_i32_e64 s4, v83, v28
	v_or_b32_e32 v29, v18, v12
	v_cndmask_b32_e64 v3, 0, v3, s4
	v_cmp_lt_i32_e64 s4, v82, v28
	v_cndmask_b32_e64 v1, 0, v1, s4
	v_cmp_lt_i32_e64 s4, v81, v28
	v_or_b32_e32 v18, v3, v1
	;; [unrolled: 5-line block ×3, first 2 shown]
	v_cndmask_b32_e64 v11, 0, v11, s4
	v_cmp_lt_i32_e64 s4, v31, v28
	v_cndmask_b32_e64 v0, 0, v0, s4
	v_or_b32_e32 v26, v11, v0
.LBB298_1184:                           ;   in Loop: Header=BB298_1052 Depth=1
	s_or_b32 exec_lo, exec_lo, s15
	;;#ASMSTART
	v_pk_mul_f16 v0, v69, v29;

	;;#ASMEND
	;;#ASMSTART
	v_pk_mul_f16 v1, v67, v18;

	;;#ASMEND
	;; [unrolled: 4-line block ×4, first 2 shown]
	;;#ASMSTART
	v_pk_add_f16 v0, v0, v1;

	;;#ASMEND
	;;#ASMSTART
	v_pk_add_f16 v0, v0, v2;

	;;#ASMEND
	;; [unrolled: 4-line block ×3, first 2 shown]
	v_and_b32_e32 v1, 0xffff, v0
	v_lshrrev_b32_e32 v0, 16, v0
	;;#ASMSTART
	v_cvt_f32_f16 v85, v1;
	;;#ASMEND
	;;#ASMSTART
	v_cvt_f32_f16 v86, v0;
	;;#ASMEND
	flat_load_dwordx2 v[11:12], v[9:10] offset:512
	flat_load_dword v0, v[22:23]
	v_mov_b32_e32 v1, 0
	v_mov_b32_e32 v18, 0
	s_waitcnt vmcnt(1) lgkmcnt(1)
	v_cmp_ne_u16_sdwa s4, v11, v4 src0_sel:BYTE_0 src1_sel:DWORD
	s_and_saveexec_b32 s15, s4
	s_cbranch_execz .LBB298_1192
; %bb.1185:                             ;   in Loop: Header=BB298_1052 Depth=1
	v_cmp_ne_u16_sdwa s4, v11, v51 src0_sel:BYTE_0 src1_sel:DWORD
	v_mov_b32_e32 v18, 0x8000
	s_and_saveexec_b32 s18, s4
	s_cbranch_execz .LBB298_1191
; %bb.1186:                             ;   in Loop: Header=BB298_1052 Depth=1
	v_and_b32_e32 v19, 0x7f, v11
	v_mov_b32_e32 v18, 0x7c01
	s_mov_b32 s19, exec_lo
	v_cmpx_ne_u32_e32 0x7f, v19
	s_cbranch_execz .LBB298_1190
; %bb.1187:                             ;   in Loop: Header=BB298_1052 Depth=1
	v_and_b32_e32 v2, 7, v11
	v_lshrrev_b32_e32 v3, 3, v19
	s_mov_b32 s20, exec_lo
	v_cmpx_gt_u32_e32 8, v19
; %bb.1188:                             ;   in Loop: Header=BB298_1052 Depth=1
	v_ffbh_u32_e32 v2, v2
	v_min_u32_e32 v18, 32, v2
	v_subrev_nc_u32_e32 v2, 28, v18
	v_lshlrev_b64 v[2:3], v2, v[11:12]
	v_sub_nc_u32_e32 v3, 29, v18
	v_and_b32_e32 v2, 7, v2
; %bb.1189:                             ;   in Loop: Header=BB298_1052 Depth=1
	s_or_b32 exec_lo, exec_lo, s20
	v_lshlrev_b32_e32 v18, 8, v11
	v_lshl_add_u32 v3, v3, 10, 0x2000
	v_lshlrev_b32_e32 v2, 7, v2
	v_and_b32_e32 v18, 0x8000, v18
	v_and_b32_e32 v3, 0xfc00, v3
	v_or3_b32 v18, v18, v3, v2
.LBB298_1190:                           ;   in Loop: Header=BB298_1052 Depth=1
	s_or_b32 exec_lo, exec_lo, s19
.LBB298_1191:                           ;   in Loop: Header=BB298_1052 Depth=1
	s_or_b32 exec_lo, exec_lo, s18
.LBB298_1192:                           ;   in Loop: Header=BB298_1052 Depth=1
	s_or_b32 exec_lo, exec_lo, s15
	v_lshrrev_b16 v3, 8, v11
	s_mov_b32 s15, exec_lo
	v_cmpx_ne_u16_e32 0, v3
	s_cbranch_execz .LBB298_1200
; %bb.1193:                             ;   in Loop: Header=BB298_1052 Depth=1
	v_bfrev_b32_e32 v1, 1
	s_mov_b32 s18, exec_lo
	v_cmpx_ne_u16_e32 0x80, v3
	s_cbranch_execz .LBB298_1199
; %bb.1194:                             ;   in Loop: Header=BB298_1052 Depth=1
	v_and_b32_sdwa v19, v3, v52 dst_sel:DWORD dst_unused:UNUSED_PAD src0_sel:WORD_0 src1_sel:DWORD
	v_mov_b32_e32 v1, 0x7c010000
	s_mov_b32 s19, exec_lo
	v_cmpx_ne_u32_e32 0x7f, v19
	s_cbranch_execz .LBB298_1198
; %bb.1195:                             ;   in Loop: Header=BB298_1052 Depth=1
	v_and_b32_sdwa v1, v3, v53 dst_sel:DWORD dst_unused:UNUSED_PAD src0_sel:WORD_0 src1_sel:DWORD
	v_lshrrev_b32_e32 v2, 3, v19
	s_mov_b32 s20, exec_lo
	v_cmpx_gt_u32_e32 8, v19
; %bb.1196:                             ;   in Loop: Header=BB298_1052 Depth=1
	v_ffbh_u32_e32 v1, v1
	v_min_u32_e32 v19, 32, v1
	v_subrev_nc_u32_e32 v1, 28, v19
	v_lshlrev_b64 v[1:2], v1, v[3:4]
	v_sub_nc_u32_e32 v2, 29, v19
	v_and_b32_e32 v1, 7, v1
; %bb.1197:                             ;   in Loop: Header=BB298_1052 Depth=1
	s_or_b32 exec_lo, exec_lo, s20
	v_lshlrev_b32_sdwa v3, v54, v3 dst_sel:DWORD dst_unused:UNUSED_PAD src0_sel:DWORD src1_sel:WORD_0
	v_lshl_add_u32 v2, v2, 10, 0x2000
	v_lshlrev_b32_e32 v1, 23, v1
	v_and_or_b32 v2, 0x8000, v3, v2
	v_lshl_or_b32 v1, v2, 16, v1
.LBB298_1198:                           ;   in Loop: Header=BB298_1052 Depth=1
	s_or_b32 exec_lo, exec_lo, s19
.LBB298_1199:                           ;   in Loop: Header=BB298_1052 Depth=1
	s_or_b32 exec_lo, exec_lo, s18
.LBB298_1200:                           ;   in Loop: Header=BB298_1052 Depth=1
	s_or_b32 exec_lo, exec_lo, s15
	v_lshrrev_b32_e32 v2, 16, v11
	v_mov_b32_e32 v19, 0
	v_mov_b32_e32 v26, 0
	v_cmp_ne_u16_sdwa s4, v2, v4 src0_sel:BYTE_0 src1_sel:DWORD
	s_and_saveexec_b32 s15, s4
	s_cbranch_execz .LBB298_1208
; %bb.1201:                             ;   in Loop: Header=BB298_1052 Depth=1
	v_cmp_ne_u16_sdwa s4, v2, v51 src0_sel:BYTE_0 src1_sel:DWORD
	v_mov_b32_e32 v26, 0x8000
	s_and_saveexec_b32 s18, s4
	s_cbranch_execz .LBB298_1207
; %bb.1202:                             ;   in Loop: Header=BB298_1052 Depth=1
	v_bfe_u32 v27, v11, 16, 7
	v_mov_b32_e32 v26, 0x7c01
	s_mov_b32 s19, exec_lo
	v_cmpx_ne_u32_e32 0x7f, v27
	s_cbranch_execz .LBB298_1206
; %bb.1203:                             ;   in Loop: Header=BB298_1052 Depth=1
	v_and_b32_e32 v3, 7, v2
	v_lshrrev_b32_e32 v26, 3, v27
	s_mov_b32 s20, exec_lo
	v_cmpx_gt_u32_e32 8, v27
; %bb.1204:                             ;   in Loop: Header=BB298_1052 Depth=1
	v_ffbh_u32_e32 v3, v3
	v_min_u32_e32 v3, 32, v3
	v_subrev_nc_u32_e32 v26, 28, v3
	v_lshlrev_b64 v[96:97], v26, v[2:3]
	v_sub_nc_u32_e32 v26, 29, v3
	v_and_b32_e32 v3, 7, v96
; %bb.1205:                             ;   in Loop: Header=BB298_1052 Depth=1
	s_or_b32 exec_lo, exec_lo, s20
	v_lshlrev_b32_e32 v2, 8, v2
	v_lshl_add_u32 v26, v26, 10, 0x2000
	v_lshlrev_b32_e32 v3, 7, v3
	v_and_b32_e32 v2, 0x8000, v2
	v_and_b32_e32 v26, 0xfc00, v26
	v_or3_b32 v26, v2, v26, v3
.LBB298_1206:                           ;   in Loop: Header=BB298_1052 Depth=1
	s_or_b32 exec_lo, exec_lo, s19
.LBB298_1207:                           ;   in Loop: Header=BB298_1052 Depth=1
	s_or_b32 exec_lo, exec_lo, s18
.LBB298_1208:                           ;   in Loop: Header=BB298_1052 Depth=1
	s_or_b32 exec_lo, exec_lo, s15
	s_mov_b32 s15, exec_lo
	v_cmpx_lt_u32_e32 0xffffff, v11
	s_cbranch_execz .LBB298_1216
; %bb.1209:                             ;   in Loop: Header=BB298_1052 Depth=1
	v_lshrrev_b32_e32 v3, 24, v11
	v_bfrev_b32_e32 v19, 1
	s_mov_b32 s18, exec_lo
	v_cmpx_ne_u32_e32 0x80, v3
	s_cbranch_execz .LBB298_1215
; %bb.1210:                             ;   in Loop: Header=BB298_1052 Depth=1
	v_and_b32_e32 v27, 0x7f, v3
	v_mov_b32_e32 v19, 0x7c010000
	s_mov_b32 s19, exec_lo
	v_cmpx_ne_u32_e32 0x7f, v27
	s_cbranch_execz .LBB298_1214
; %bb.1211:                             ;   in Loop: Header=BB298_1052 Depth=1
	v_and_b32_e32 v2, 7, v3
	v_lshrrev_b32_e32 v19, 3, v27
	s_mov_b32 s20, exec_lo
	v_cmpx_gt_u32_e32 8, v27
; %bb.1212:                             ;   in Loop: Header=BB298_1052 Depth=1
	v_ffbh_u32_e32 v2, v2
	v_min_u32_e32 v2, 32, v2
	v_subrev_nc_u32_e32 v19, 28, v2
	v_lshlrev_b64 v[96:97], v19, v[3:4]
	v_sub_nc_u32_e32 v19, 29, v2
	v_and_b32_e32 v2, 7, v96
; %bb.1213:                             ;   in Loop: Header=BB298_1052 Depth=1
	s_or_b32 exec_lo, exec_lo, s20
	v_lshlrev_b32_e32 v3, 8, v3
	v_lshl_add_u32 v19, v19, 10, 0x2000
	v_lshlrev_b32_e32 v2, 23, v2
	v_and_or_b32 v3, 0x8000, v3, v19
	v_lshl_or_b32 v19, v3, 16, v2
.LBB298_1214:                           ;   in Loop: Header=BB298_1052 Depth=1
	s_or_b32 exec_lo, exec_lo, s19
.LBB298_1215:                           ;   in Loop: Header=BB298_1052 Depth=1
	s_or_b32 exec_lo, exec_lo, s18
.LBB298_1216:                           ;   in Loop: Header=BB298_1052 Depth=1
	s_or_b32 exec_lo, exec_lo, s15
	v_mov_b32_e32 v3, v12
	v_cmp_ne_u16_sdwa s4, v12, v4 src0_sel:BYTE_0 src1_sel:DWORD
	v_mov_b32_e32 v27, 0
	v_mov_b32_e32 v29, 0
	s_and_saveexec_b32 s15, s4
	s_cbranch_execz .LBB298_1224
; %bb.1217:                             ;   in Loop: Header=BB298_1052 Depth=1
	v_cmp_ne_u16_sdwa s4, v12, v51 src0_sel:BYTE_0 src1_sel:DWORD
	v_mov_b32_e32 v29, 0x8000
	s_and_saveexec_b32 s18, s4
	s_cbranch_execz .LBB298_1223
; %bb.1218:                             ;   in Loop: Header=BB298_1052 Depth=1
	v_and_b32_e32 v87, 0x7f, v12
	v_mov_b32_e32 v29, 0x7c01
	s_mov_b32 s19, exec_lo
	v_cmpx_ne_u32_e32 0x7f, v87
	s_cbranch_execz .LBB298_1222
; %bb.1219:                             ;   in Loop: Header=BB298_1052 Depth=1
	v_and_b32_e32 v2, 7, v12
	v_lshrrev_b32_e32 v29, 3, v87
	s_mov_b32 s20, exec_lo
	v_cmpx_gt_u32_e32 8, v87
; %bb.1220:                             ;   in Loop: Header=BB298_1052 Depth=1
	v_ffbh_u32_e32 v2, v2
	v_min_u32_e32 v2, 32, v2
	v_subrev_nc_u32_e32 v29, 28, v2
	v_lshlrev_b64 v[96:97], v29, v[3:4]
	v_sub_nc_u32_e32 v29, 29, v2
	v_and_b32_e32 v2, 7, v96
; %bb.1221:                             ;   in Loop: Header=BB298_1052 Depth=1
	s_or_b32 exec_lo, exec_lo, s20
	v_lshlrev_b32_e32 v87, 8, v12
	v_lshl_add_u32 v29, v29, 10, 0x2000
	v_lshlrev_b32_e32 v2, 7, v2
	v_and_b32_e32 v87, 0x8000, v87
	v_and_b32_e32 v29, 0xfc00, v29
	v_or3_b32 v29, v87, v29, v2
.LBB298_1222:                           ;   in Loop: Header=BB298_1052 Depth=1
	s_or_b32 exec_lo, exec_lo, s19
.LBB298_1223:                           ;   in Loop: Header=BB298_1052 Depth=1
	s_or_b32 exec_lo, exec_lo, s18
.LBB298_1224:                           ;   in Loop: Header=BB298_1052 Depth=1
	s_or_b32 exec_lo, exec_lo, s15
	v_lshrrev_b16 v3, 8, v3
	v_mov_b32_e32 v87, 0
	s_mov_b32 s15, exec_lo
	v_cmpx_ne_u16_e32 0, v3
	s_cbranch_execz .LBB298_1232
; %bb.1225:                             ;   in Loop: Header=BB298_1052 Depth=1
	v_bfrev_b32_e32 v87, 1
	s_mov_b32 s18, exec_lo
	v_cmpx_ne_u16_e32 0x80, v3
	s_cbranch_execz .LBB298_1231
; %bb.1226:                             ;   in Loop: Header=BB298_1052 Depth=1
	v_and_b32_sdwa v96, v3, v52 dst_sel:DWORD dst_unused:UNUSED_PAD src0_sel:WORD_0 src1_sel:DWORD
	v_mov_b32_e32 v87, 0x7c010000
	s_mov_b32 s19, exec_lo
	v_cmpx_ne_u32_e32 0x7f, v96
	s_cbranch_execz .LBB298_1230
; %bb.1227:                             ;   in Loop: Header=BB298_1052 Depth=1
	v_and_b32_sdwa v2, v3, v53 dst_sel:DWORD dst_unused:UNUSED_PAD src0_sel:WORD_0 src1_sel:DWORD
	v_lshrrev_b32_e32 v87, 3, v96
	s_mov_b32 s20, exec_lo
	v_cmpx_gt_u32_e32 8, v96
; %bb.1228:                             ;   in Loop: Header=BB298_1052 Depth=1
	v_ffbh_u32_e32 v2, v2
	v_min_u32_e32 v2, 32, v2
	v_subrev_nc_u32_e32 v87, 28, v2
	v_lshlrev_b64 v[96:97], v87, v[3:4]
	v_sub_nc_u32_e32 v87, 29, v2
	v_and_b32_e32 v2, 7, v96
; %bb.1229:                             ;   in Loop: Header=BB298_1052 Depth=1
	s_or_b32 exec_lo, exec_lo, s20
	v_lshlrev_b32_sdwa v3, v54, v3 dst_sel:DWORD dst_unused:UNUSED_PAD src0_sel:DWORD src1_sel:WORD_0
	v_lshl_add_u32 v87, v87, 10, 0x2000
	v_lshlrev_b32_e32 v2, 23, v2
	v_and_or_b32 v3, 0x8000, v3, v87
	v_lshl_or_b32 v87, v3, 16, v2
.LBB298_1230:                           ;   in Loop: Header=BB298_1052 Depth=1
	s_or_b32 exec_lo, exec_lo, s19
.LBB298_1231:                           ;   in Loop: Header=BB298_1052 Depth=1
	s_or_b32 exec_lo, exec_lo, s18
.LBB298_1232:                           ;   in Loop: Header=BB298_1052 Depth=1
	s_or_b32 exec_lo, exec_lo, s15
	v_lshrrev_b32_e32 v2, 16, v12
	v_cmp_ne_u16_sdwa s4, v2, v4 src0_sel:BYTE_0 src1_sel:DWORD
	s_and_saveexec_b32 s15, s4
	s_cbranch_execz .LBB298_1240
; %bb.1233:                             ;   in Loop: Header=BB298_1052 Depth=1
	v_cmp_ne_u16_sdwa s4, v2, v51 src0_sel:BYTE_0 src1_sel:DWORD
	v_mov_b32_e32 v27, 0x8000
	s_and_saveexec_b32 s18, s4
	s_cbranch_execz .LBB298_1239
; %bb.1234:                             ;   in Loop: Header=BB298_1052 Depth=1
	v_bfe_u32 v96, v12, 16, 7
	v_mov_b32_e32 v27, 0x7c01
	s_mov_b32 s19, exec_lo
	v_cmpx_ne_u32_e32 0x7f, v96
	s_cbranch_execz .LBB298_1238
; %bb.1235:                             ;   in Loop: Header=BB298_1052 Depth=1
	v_and_b32_e32 v3, 7, v2
	v_lshrrev_b32_e32 v27, 3, v96
	s_mov_b32 s20, exec_lo
	v_cmpx_gt_u32_e32 8, v96
; %bb.1236:                             ;   in Loop: Header=BB298_1052 Depth=1
	v_ffbh_u32_e32 v3, v3
	v_min_u32_e32 v3, 32, v3
	v_subrev_nc_u32_e32 v27, 28, v3
	v_lshlrev_b64 v[96:97], v27, v[2:3]
	v_sub_nc_u32_e32 v27, 29, v3
	v_and_b32_e32 v3, 7, v96
; %bb.1237:                             ;   in Loop: Header=BB298_1052 Depth=1
	s_or_b32 exec_lo, exec_lo, s20
	v_lshlrev_b32_e32 v2, 8, v2
	v_lshl_add_u32 v27, v27, 10, 0x2000
	v_lshlrev_b32_e32 v3, 7, v3
	v_and_b32_e32 v2, 0x8000, v2
	v_and_b32_e32 v27, 0xfc00, v27
	v_or3_b32 v27, v2, v27, v3
.LBB298_1238:                           ;   in Loop: Header=BB298_1052 Depth=1
	s_or_b32 exec_lo, exec_lo, s19
.LBB298_1239:                           ;   in Loop: Header=BB298_1052 Depth=1
	s_or_b32 exec_lo, exec_lo, s18
.LBB298_1240:                           ;   in Loop: Header=BB298_1052 Depth=1
	s_or_b32 exec_lo, exec_lo, s15
	v_mov_b32_e32 v2, 0
	s_mov_b32 s15, exec_lo
	v_cmpx_lt_u64_e64 s[6:7], v[11:12]
	s_cbranch_execz .LBB298_1248
; %bb.1241:                             ;   in Loop: Header=BB298_1052 Depth=1
	v_lshrrev_b32_e32 v3, 24, v12
	v_bfrev_b32_e32 v2, 1
	s_mov_b32 s18, exec_lo
	v_cmpx_ne_u32_e32 0x80, v3
	s_cbranch_execz .LBB298_1247
; %bb.1242:                             ;   in Loop: Header=BB298_1052 Depth=1
	v_and_b32_e32 v12, 0x7f, v3
	v_mov_b32_e32 v2, 0x7c010000
	s_mov_b32 s19, exec_lo
	v_cmpx_ne_u32_e32 0x7f, v12
	s_cbranch_execz .LBB298_1246
; %bb.1243:                             ;   in Loop: Header=BB298_1052 Depth=1
	v_and_b32_e32 v2, 7, v3
	v_lshrrev_b32_e32 v11, 3, v12
	s_mov_b32 s20, exec_lo
	v_cmpx_gt_u32_e32 8, v12
; %bb.1244:                             ;   in Loop: Header=BB298_1052 Depth=1
	v_ffbh_u32_e32 v2, v2
	v_min_u32_e32 v2, 32, v2
	v_subrev_nc_u32_e32 v11, 28, v2
	v_lshlrev_b64 v[96:97], v11, v[3:4]
	v_sub_nc_u32_e32 v11, 29, v2
	v_and_b32_e32 v2, 7, v96
; %bb.1245:                             ;   in Loop: Header=BB298_1052 Depth=1
	s_or_b32 exec_lo, exec_lo, s20
	v_lshlrev_b32_e32 v3, 8, v3
	v_lshl_add_u32 v11, v11, 10, 0x2000
	v_lshlrev_b32_e32 v2, 23, v2
	v_and_or_b32 v3, 0x8000, v3, v11
	v_lshl_or_b32 v2, v3, 16, v2
.LBB298_1246:                           ;   in Loop: Header=BB298_1052 Depth=1
	s_or_b32 exec_lo, exec_lo, s19
.LBB298_1247:                           ;   in Loop: Header=BB298_1052 Depth=1
	s_or_b32 exec_lo, exec_lo, s18
.LBB298_1248:                           ;   in Loop: Header=BB298_1052 Depth=1
	s_or_b32 exec_lo, exec_lo, s15
	v_or_b32_e32 v3, v19, v26
	s_waitcnt vmcnt(0) lgkmcnt(0)
	v_fma_mixlo_f16 v11, v0, v19, 0 op_sel:[0,1,0] op_sel_hi:[0,1,0]
	v_or_b32_e32 v18, v1, v18
	v_or_b32_e32 v19, v87, v29
	;; [unrolled: 1-line block ×3, first 2 shown]
	v_fma_mixlo_f16 v12, v0, v1, 0 op_sel:[0,1,0] op_sel_hi:[0,1,0]
	v_fma_mixlo_f16 v3, v0, v3, 0 op_sel_hi:[0,1,0]
	v_lshlrev_b32_e32 v1, 16, v11
	v_fma_mixlo_f16 v11, v0, v18, 0 op_sel_hi:[0,1,0]
	v_fma_mixlo_f16 v18, v0, v87, 0 op_sel:[0,1,0] op_sel_hi:[0,1,0]
	v_fma_mixlo_f16 v19, v0, v19, 0 op_sel_hi:[0,1,0]
	v_fma_mixlo_f16 v27, v0, v2, 0 op_sel:[0,1,0] op_sel_hi:[0,1,0]
	v_fma_mixlo_f16 v26, v0, v26, 0 op_sel_hi:[0,1,0]
	v_lshlrev_b32_e32 v12, 16, v12
	v_and_b32_e32 v3, 0xffff, v3
	v_and_b32_e32 v87, 0xffff, v11
	v_lshlrev_b32_e32 v2, 16, v18
	v_and_b32_e32 v19, 0xffff, v19
	v_lshlrev_b32_e32 v0, 16, v27
	v_and_b32_e32 v11, 0xffff, v26
	v_or_b32_e32 v18, v1, v3
	v_or_b32_e32 v29, v12, v87
	;; [unrolled: 1-line block ×4, first 2 shown]
	s_and_saveexec_b32 s15, vcc_lo
	s_cbranch_execz .LBB298_1250
; %bb.1249:                             ;   in Loop: Header=BB298_1052 Depth=1
	v_cmp_lt_i32_e64 s4, v64, v28
	v_cndmask_b32_e64 v18, 0, v87, s4
	v_cmp_lt_i32_e64 s4, v84, v28
	v_cndmask_b32_e64 v12, 0, v12, s4
	v_cmp_lt_i32_e64 s4, v83, v28
	v_or_b32_e32 v29, v18, v12
	v_cndmask_b32_e64 v3, 0, v3, s4
	v_cmp_lt_i32_e64 s4, v82, v28
	v_cndmask_b32_e64 v1, 0, v1, s4
	v_cmp_lt_i32_e64 s4, v81, v28
	v_or_b32_e32 v18, v3, v1
	;; [unrolled: 5-line block ×3, first 2 shown]
	v_cndmask_b32_e64 v11, 0, v11, s4
	v_cmp_lt_i32_e64 s4, v31, v28
	v_cndmask_b32_e64 v0, 0, v0, s4
	v_or_b32_e32 v26, v11, v0
.LBB298_1250:                           ;   in Loop: Header=BB298_1052 Depth=1
	s_or_b32 exec_lo, exec_lo, s15
	;;#ASMSTART
	v_pk_mul_f16 v0, v69, v29;

	;;#ASMEND
	;;#ASMSTART
	v_pk_mul_f16 v1, v67, v18;

	;;#ASMEND
	;; [unrolled: 4-line block ×4, first 2 shown]
	;;#ASMSTART
	v_pk_add_f16 v0, v0, v1;

	;;#ASMEND
	;;#ASMSTART
	v_pk_add_f16 v0, v0, v2;

	;;#ASMEND
	;; [unrolled: 4-line block ×3, first 2 shown]
	v_and_b32_e32 v1, 0xffff, v0
	v_lshrrev_b32_e32 v0, 16, v0
	;;#ASMSTART
	v_cvt_f32_f16 v87, v1;
	;;#ASMEND
	;;#ASMSTART
	v_cvt_f32_f16 v96, v0;
	;;#ASMEND
	flat_load_dwordx2 v[11:12], v[9:10] offset:768
	flat_load_dword v0, v[22:23]
	v_mov_b32_e32 v1, 0
	v_mov_b32_e32 v18, 0
	s_waitcnt vmcnt(1) lgkmcnt(1)
	v_cmp_ne_u16_sdwa s4, v11, v4 src0_sel:BYTE_0 src1_sel:DWORD
	s_and_saveexec_b32 s15, s4
	s_cbranch_execz .LBB298_1258
; %bb.1251:                             ;   in Loop: Header=BB298_1052 Depth=1
	v_cmp_ne_u16_sdwa s4, v11, v51 src0_sel:BYTE_0 src1_sel:DWORD
	v_mov_b32_e32 v18, 0x8000
	s_and_saveexec_b32 s18, s4
	s_cbranch_execz .LBB298_1257
; %bb.1252:                             ;   in Loop: Header=BB298_1052 Depth=1
	v_and_b32_e32 v19, 0x7f, v11
	v_mov_b32_e32 v18, 0x7c01
	s_mov_b32 s19, exec_lo
	v_cmpx_ne_u32_e32 0x7f, v19
	s_cbranch_execz .LBB298_1256
; %bb.1253:                             ;   in Loop: Header=BB298_1052 Depth=1
	v_and_b32_e32 v2, 7, v11
	v_lshrrev_b32_e32 v3, 3, v19
	s_mov_b32 s20, exec_lo
	v_cmpx_gt_u32_e32 8, v19
; %bb.1254:                             ;   in Loop: Header=BB298_1052 Depth=1
	v_ffbh_u32_e32 v2, v2
	v_min_u32_e32 v18, 32, v2
	v_subrev_nc_u32_e32 v2, 28, v18
	v_lshlrev_b64 v[2:3], v2, v[11:12]
	v_sub_nc_u32_e32 v3, 29, v18
	v_and_b32_e32 v2, 7, v2
; %bb.1255:                             ;   in Loop: Header=BB298_1052 Depth=1
	s_or_b32 exec_lo, exec_lo, s20
	v_lshlrev_b32_e32 v18, 8, v11
	v_lshl_add_u32 v3, v3, 10, 0x2000
	v_lshlrev_b32_e32 v2, 7, v2
	v_and_b32_e32 v18, 0x8000, v18
	v_and_b32_e32 v3, 0xfc00, v3
	v_or3_b32 v18, v18, v3, v2
.LBB298_1256:                           ;   in Loop: Header=BB298_1052 Depth=1
	s_or_b32 exec_lo, exec_lo, s19
.LBB298_1257:                           ;   in Loop: Header=BB298_1052 Depth=1
	s_or_b32 exec_lo, exec_lo, s18
.LBB298_1258:                           ;   in Loop: Header=BB298_1052 Depth=1
	s_or_b32 exec_lo, exec_lo, s15
	v_lshrrev_b16 v3, 8, v11
	s_mov_b32 s15, exec_lo
	v_cmpx_ne_u16_e32 0, v3
	s_cbranch_execz .LBB298_1266
; %bb.1259:                             ;   in Loop: Header=BB298_1052 Depth=1
	v_bfrev_b32_e32 v1, 1
	s_mov_b32 s18, exec_lo
	v_cmpx_ne_u16_e32 0x80, v3
	s_cbranch_execz .LBB298_1265
; %bb.1260:                             ;   in Loop: Header=BB298_1052 Depth=1
	v_and_b32_sdwa v19, v3, v52 dst_sel:DWORD dst_unused:UNUSED_PAD src0_sel:WORD_0 src1_sel:DWORD
	v_mov_b32_e32 v1, 0x7c010000
	s_mov_b32 s19, exec_lo
	v_cmpx_ne_u32_e32 0x7f, v19
	s_cbranch_execz .LBB298_1264
; %bb.1261:                             ;   in Loop: Header=BB298_1052 Depth=1
	v_and_b32_sdwa v1, v3, v53 dst_sel:DWORD dst_unused:UNUSED_PAD src0_sel:WORD_0 src1_sel:DWORD
	v_lshrrev_b32_e32 v2, 3, v19
	s_mov_b32 s20, exec_lo
	v_cmpx_gt_u32_e32 8, v19
; %bb.1262:                             ;   in Loop: Header=BB298_1052 Depth=1
	v_ffbh_u32_e32 v1, v1
	v_min_u32_e32 v19, 32, v1
	v_subrev_nc_u32_e32 v1, 28, v19
	v_lshlrev_b64 v[1:2], v1, v[3:4]
	v_sub_nc_u32_e32 v2, 29, v19
	v_and_b32_e32 v1, 7, v1
; %bb.1263:                             ;   in Loop: Header=BB298_1052 Depth=1
	s_or_b32 exec_lo, exec_lo, s20
	v_lshlrev_b32_sdwa v3, v54, v3 dst_sel:DWORD dst_unused:UNUSED_PAD src0_sel:DWORD src1_sel:WORD_0
	v_lshl_add_u32 v2, v2, 10, 0x2000
	v_lshlrev_b32_e32 v1, 23, v1
	v_and_or_b32 v2, 0x8000, v3, v2
	v_lshl_or_b32 v1, v2, 16, v1
.LBB298_1264:                           ;   in Loop: Header=BB298_1052 Depth=1
	s_or_b32 exec_lo, exec_lo, s19
.LBB298_1265:                           ;   in Loop: Header=BB298_1052 Depth=1
	s_or_b32 exec_lo, exec_lo, s18
.LBB298_1266:                           ;   in Loop: Header=BB298_1052 Depth=1
	s_or_b32 exec_lo, exec_lo, s15
	v_lshrrev_b32_e32 v2, 16, v11
	v_mov_b32_e32 v19, 0
	v_mov_b32_e32 v26, 0
	v_cmp_ne_u16_sdwa s4, v2, v4 src0_sel:BYTE_0 src1_sel:DWORD
	s_and_saveexec_b32 s15, s4
	s_cbranch_execz .LBB298_1274
; %bb.1267:                             ;   in Loop: Header=BB298_1052 Depth=1
	v_cmp_ne_u16_sdwa s4, v2, v51 src0_sel:BYTE_0 src1_sel:DWORD
	v_mov_b32_e32 v26, 0x8000
	s_and_saveexec_b32 s18, s4
	s_cbranch_execz .LBB298_1273
; %bb.1268:                             ;   in Loop: Header=BB298_1052 Depth=1
	v_bfe_u32 v27, v11, 16, 7
	v_mov_b32_e32 v26, 0x7c01
	s_mov_b32 s19, exec_lo
	v_cmpx_ne_u32_e32 0x7f, v27
	s_cbranch_execz .LBB298_1272
; %bb.1269:                             ;   in Loop: Header=BB298_1052 Depth=1
	v_and_b32_e32 v3, 7, v2
	v_lshrrev_b32_e32 v26, 3, v27
	s_mov_b32 s20, exec_lo
	v_cmpx_gt_u32_e32 8, v27
; %bb.1270:                             ;   in Loop: Header=BB298_1052 Depth=1
	v_ffbh_u32_e32 v3, v3
	v_min_u32_e32 v3, 32, v3
	v_subrev_nc_u32_e32 v26, 28, v3
	v_lshlrev_b64 v[97:98], v26, v[2:3]
	v_sub_nc_u32_e32 v26, 29, v3
	v_and_b32_e32 v3, 7, v97
; %bb.1271:                             ;   in Loop: Header=BB298_1052 Depth=1
	s_or_b32 exec_lo, exec_lo, s20
	v_lshlrev_b32_e32 v2, 8, v2
	v_lshl_add_u32 v26, v26, 10, 0x2000
	v_lshlrev_b32_e32 v3, 7, v3
	v_and_b32_e32 v2, 0x8000, v2
	v_and_b32_e32 v26, 0xfc00, v26
	v_or3_b32 v26, v2, v26, v3
.LBB298_1272:                           ;   in Loop: Header=BB298_1052 Depth=1
	s_or_b32 exec_lo, exec_lo, s19
.LBB298_1273:                           ;   in Loop: Header=BB298_1052 Depth=1
	s_or_b32 exec_lo, exec_lo, s18
.LBB298_1274:                           ;   in Loop: Header=BB298_1052 Depth=1
	s_or_b32 exec_lo, exec_lo, s15
	s_mov_b32 s15, exec_lo
	v_cmpx_lt_u32_e32 0xffffff, v11
	s_cbranch_execz .LBB298_1282
; %bb.1275:                             ;   in Loop: Header=BB298_1052 Depth=1
	v_lshrrev_b32_e32 v3, 24, v11
	v_bfrev_b32_e32 v19, 1
	s_mov_b32 s18, exec_lo
	v_cmpx_ne_u32_e32 0x80, v3
	s_cbranch_execz .LBB298_1281
; %bb.1276:                             ;   in Loop: Header=BB298_1052 Depth=1
	v_and_b32_e32 v27, 0x7f, v3
	v_mov_b32_e32 v19, 0x7c010000
	s_mov_b32 s19, exec_lo
	v_cmpx_ne_u32_e32 0x7f, v27
	s_cbranch_execz .LBB298_1280
; %bb.1277:                             ;   in Loop: Header=BB298_1052 Depth=1
	v_and_b32_e32 v2, 7, v3
	v_lshrrev_b32_e32 v19, 3, v27
	s_mov_b32 s20, exec_lo
	v_cmpx_gt_u32_e32 8, v27
; %bb.1278:                             ;   in Loop: Header=BB298_1052 Depth=1
	v_ffbh_u32_e32 v2, v2
	v_min_u32_e32 v2, 32, v2
	v_subrev_nc_u32_e32 v19, 28, v2
	v_lshlrev_b64 v[97:98], v19, v[3:4]
	v_sub_nc_u32_e32 v19, 29, v2
	v_and_b32_e32 v2, 7, v97
; %bb.1279:                             ;   in Loop: Header=BB298_1052 Depth=1
	s_or_b32 exec_lo, exec_lo, s20
	v_lshlrev_b32_e32 v3, 8, v3
	v_lshl_add_u32 v19, v19, 10, 0x2000
	v_lshlrev_b32_e32 v2, 23, v2
	v_and_or_b32 v3, 0x8000, v3, v19
	v_lshl_or_b32 v19, v3, 16, v2
.LBB298_1280:                           ;   in Loop: Header=BB298_1052 Depth=1
	s_or_b32 exec_lo, exec_lo, s19
.LBB298_1281:                           ;   in Loop: Header=BB298_1052 Depth=1
	s_or_b32 exec_lo, exec_lo, s18
.LBB298_1282:                           ;   in Loop: Header=BB298_1052 Depth=1
	s_or_b32 exec_lo, exec_lo, s15
	v_mov_b32_e32 v3, v12
	v_cmp_ne_u16_sdwa s4, v12, v4 src0_sel:BYTE_0 src1_sel:DWORD
	v_mov_b32_e32 v27, 0
	v_mov_b32_e32 v29, 0
	s_and_saveexec_b32 s15, s4
	s_cbranch_execz .LBB298_1290
; %bb.1283:                             ;   in Loop: Header=BB298_1052 Depth=1
	v_cmp_ne_u16_sdwa s4, v12, v51 src0_sel:BYTE_0 src1_sel:DWORD
	v_mov_b32_e32 v29, 0x8000
	s_and_saveexec_b32 s18, s4
	s_cbranch_execz .LBB298_1289
; %bb.1284:                             ;   in Loop: Header=BB298_1052 Depth=1
	v_and_b32_e32 v97, 0x7f, v12
	v_mov_b32_e32 v29, 0x7c01
	s_mov_b32 s19, exec_lo
	v_cmpx_ne_u32_e32 0x7f, v97
	s_cbranch_execz .LBB298_1288
; %bb.1285:                             ;   in Loop: Header=BB298_1052 Depth=1
	v_and_b32_e32 v2, 7, v12
	v_lshrrev_b32_e32 v29, 3, v97
	s_mov_b32 s20, exec_lo
	v_cmpx_gt_u32_e32 8, v97
; %bb.1286:                             ;   in Loop: Header=BB298_1052 Depth=1
	v_ffbh_u32_e32 v2, v2
	v_min_u32_e32 v2, 32, v2
	v_subrev_nc_u32_e32 v29, 28, v2
	v_lshlrev_b64 v[97:98], v29, v[3:4]
	v_sub_nc_u32_e32 v29, 29, v2
	v_and_b32_e32 v2, 7, v97
; %bb.1287:                             ;   in Loop: Header=BB298_1052 Depth=1
	s_or_b32 exec_lo, exec_lo, s20
	v_lshlrev_b32_e32 v97, 8, v12
	v_lshl_add_u32 v29, v29, 10, 0x2000
	v_lshlrev_b32_e32 v2, 7, v2
	v_and_b32_e32 v97, 0x8000, v97
	v_and_b32_e32 v29, 0xfc00, v29
	v_or3_b32 v29, v97, v29, v2
.LBB298_1288:                           ;   in Loop: Header=BB298_1052 Depth=1
	s_or_b32 exec_lo, exec_lo, s19
.LBB298_1289:                           ;   in Loop: Header=BB298_1052 Depth=1
	s_or_b32 exec_lo, exec_lo, s18
.LBB298_1290:                           ;   in Loop: Header=BB298_1052 Depth=1
	s_or_b32 exec_lo, exec_lo, s15
	v_lshrrev_b16 v3, 8, v3
	v_mov_b32_e32 v97, 0
	s_mov_b32 s15, exec_lo
	v_cmpx_ne_u16_e32 0, v3
	s_cbranch_execz .LBB298_1298
; %bb.1291:                             ;   in Loop: Header=BB298_1052 Depth=1
	v_bfrev_b32_e32 v97, 1
	s_mov_b32 s18, exec_lo
	v_cmpx_ne_u16_e32 0x80, v3
	s_cbranch_execz .LBB298_1297
; %bb.1292:                             ;   in Loop: Header=BB298_1052 Depth=1
	v_and_b32_sdwa v98, v3, v52 dst_sel:DWORD dst_unused:UNUSED_PAD src0_sel:WORD_0 src1_sel:DWORD
	v_mov_b32_e32 v97, 0x7c010000
	s_mov_b32 s19, exec_lo
	v_cmpx_ne_u32_e32 0x7f, v98
	s_cbranch_execz .LBB298_1296
; %bb.1293:                             ;   in Loop: Header=BB298_1052 Depth=1
	v_and_b32_sdwa v2, v3, v53 dst_sel:DWORD dst_unused:UNUSED_PAD src0_sel:WORD_0 src1_sel:DWORD
	v_lshrrev_b32_e32 v97, 3, v98
	s_mov_b32 s20, exec_lo
	v_cmpx_gt_u32_e32 8, v98
; %bb.1294:                             ;   in Loop: Header=BB298_1052 Depth=1
	v_ffbh_u32_e32 v2, v2
	v_min_u32_e32 v2, 32, v2
	v_subrev_nc_u32_e32 v97, 28, v2
	v_lshlrev_b64 v[98:99], v97, v[3:4]
	v_sub_nc_u32_e32 v97, 29, v2
	v_and_b32_e32 v2, 7, v98
; %bb.1295:                             ;   in Loop: Header=BB298_1052 Depth=1
	s_or_b32 exec_lo, exec_lo, s20
	v_lshlrev_b32_sdwa v3, v54, v3 dst_sel:DWORD dst_unused:UNUSED_PAD src0_sel:DWORD src1_sel:WORD_0
	v_lshl_add_u32 v97, v97, 10, 0x2000
	v_lshlrev_b32_e32 v2, 23, v2
	v_and_or_b32 v3, 0x8000, v3, v97
	v_lshl_or_b32 v97, v3, 16, v2
.LBB298_1296:                           ;   in Loop: Header=BB298_1052 Depth=1
	s_or_b32 exec_lo, exec_lo, s19
.LBB298_1297:                           ;   in Loop: Header=BB298_1052 Depth=1
	s_or_b32 exec_lo, exec_lo, s18
.LBB298_1298:                           ;   in Loop: Header=BB298_1052 Depth=1
	s_or_b32 exec_lo, exec_lo, s15
	v_lshrrev_b32_e32 v2, 16, v12
	v_cmp_ne_u16_sdwa s4, v2, v4 src0_sel:BYTE_0 src1_sel:DWORD
	s_and_saveexec_b32 s15, s4
	s_cbranch_execz .LBB298_1306
; %bb.1299:                             ;   in Loop: Header=BB298_1052 Depth=1
	v_cmp_ne_u16_sdwa s4, v2, v51 src0_sel:BYTE_0 src1_sel:DWORD
	v_mov_b32_e32 v27, 0x8000
	s_and_saveexec_b32 s18, s4
	s_cbranch_execz .LBB298_1305
; %bb.1300:                             ;   in Loop: Header=BB298_1052 Depth=1
	v_bfe_u32 v98, v12, 16, 7
	v_mov_b32_e32 v27, 0x7c01
	s_mov_b32 s19, exec_lo
	v_cmpx_ne_u32_e32 0x7f, v98
	s_cbranch_execz .LBB298_1304
; %bb.1301:                             ;   in Loop: Header=BB298_1052 Depth=1
	v_and_b32_e32 v3, 7, v2
	v_lshrrev_b32_e32 v27, 3, v98
	s_mov_b32 s20, exec_lo
	v_cmpx_gt_u32_e32 8, v98
; %bb.1302:                             ;   in Loop: Header=BB298_1052 Depth=1
	v_ffbh_u32_e32 v3, v3
	v_min_u32_e32 v3, 32, v3
	v_subrev_nc_u32_e32 v27, 28, v3
	v_lshlrev_b64 v[98:99], v27, v[2:3]
	v_sub_nc_u32_e32 v27, 29, v3
	v_and_b32_e32 v3, 7, v98
; %bb.1303:                             ;   in Loop: Header=BB298_1052 Depth=1
	s_or_b32 exec_lo, exec_lo, s20
	v_lshlrev_b32_e32 v2, 8, v2
	v_lshl_add_u32 v27, v27, 10, 0x2000
	v_lshlrev_b32_e32 v3, 7, v3
	v_and_b32_e32 v2, 0x8000, v2
	v_and_b32_e32 v27, 0xfc00, v27
	v_or3_b32 v27, v2, v27, v3
.LBB298_1304:                           ;   in Loop: Header=BB298_1052 Depth=1
	s_or_b32 exec_lo, exec_lo, s19
.LBB298_1305:                           ;   in Loop: Header=BB298_1052 Depth=1
	s_or_b32 exec_lo, exec_lo, s18
.LBB298_1306:                           ;   in Loop: Header=BB298_1052 Depth=1
	s_or_b32 exec_lo, exec_lo, s15
	v_mov_b32_e32 v2, 0
	s_mov_b32 s15, exec_lo
	v_cmpx_lt_u64_e64 s[6:7], v[11:12]
	s_cbranch_execz .LBB298_1314
; %bb.1307:                             ;   in Loop: Header=BB298_1052 Depth=1
	v_lshrrev_b32_e32 v3, 24, v12
	v_bfrev_b32_e32 v2, 1
	s_mov_b32 s18, exec_lo
	v_cmpx_ne_u32_e32 0x80, v3
	s_cbranch_execz .LBB298_1313
; %bb.1308:                             ;   in Loop: Header=BB298_1052 Depth=1
	v_and_b32_e32 v12, 0x7f, v3
	v_mov_b32_e32 v2, 0x7c010000
	s_mov_b32 s19, exec_lo
	v_cmpx_ne_u32_e32 0x7f, v12
	s_cbranch_execz .LBB298_1312
; %bb.1309:                             ;   in Loop: Header=BB298_1052 Depth=1
	v_and_b32_e32 v2, 7, v3
	v_lshrrev_b32_e32 v11, 3, v12
	s_mov_b32 s20, exec_lo
	v_cmpx_gt_u32_e32 8, v12
; %bb.1310:                             ;   in Loop: Header=BB298_1052 Depth=1
	v_ffbh_u32_e32 v2, v2
	v_min_u32_e32 v2, 32, v2
	v_subrev_nc_u32_e32 v11, 28, v2
	v_lshlrev_b64 v[98:99], v11, v[3:4]
	v_sub_nc_u32_e32 v11, 29, v2
	v_and_b32_e32 v2, 7, v98
; %bb.1311:                             ;   in Loop: Header=BB298_1052 Depth=1
	s_or_b32 exec_lo, exec_lo, s20
	v_lshlrev_b32_e32 v3, 8, v3
	v_lshl_add_u32 v11, v11, 10, 0x2000
	v_lshlrev_b32_e32 v2, 23, v2
	v_and_or_b32 v3, 0x8000, v3, v11
	v_lshl_or_b32 v2, v3, 16, v2
.LBB298_1312:                           ;   in Loop: Header=BB298_1052 Depth=1
	s_or_b32 exec_lo, exec_lo, s19
.LBB298_1313:                           ;   in Loop: Header=BB298_1052 Depth=1
	s_or_b32 exec_lo, exec_lo, s18
.LBB298_1314:                           ;   in Loop: Header=BB298_1052 Depth=1
	s_or_b32 exec_lo, exec_lo, s15
	v_or_b32_e32 v3, v19, v26
	s_waitcnt vmcnt(0) lgkmcnt(0)
	v_fma_mixlo_f16 v11, v0, v19, 0 op_sel:[0,1,0] op_sel_hi:[0,1,0]
	v_or_b32_e32 v18, v1, v18
	v_or_b32_e32 v19, v97, v29
	;; [unrolled: 1-line block ×3, first 2 shown]
	v_fma_mixlo_f16 v12, v0, v1, 0 op_sel:[0,1,0] op_sel_hi:[0,1,0]
	v_fma_mixlo_f16 v3, v0, v3, 0 op_sel_hi:[0,1,0]
	v_lshlrev_b32_e32 v1, 16, v11
	v_fma_mixlo_f16 v11, v0, v18, 0 op_sel_hi:[0,1,0]
	v_fma_mixlo_f16 v18, v0, v97, 0 op_sel:[0,1,0] op_sel_hi:[0,1,0]
	v_fma_mixlo_f16 v19, v0, v19, 0 op_sel_hi:[0,1,0]
	v_fma_mixlo_f16 v27, v0, v2, 0 op_sel:[0,1,0] op_sel_hi:[0,1,0]
	v_fma_mixlo_f16 v26, v0, v26, 0 op_sel_hi:[0,1,0]
	v_lshlrev_b32_e32 v12, 16, v12
	v_and_b32_e32 v3, 0xffff, v3
	v_and_b32_e32 v97, 0xffff, v11
	v_lshlrev_b32_e32 v2, 16, v18
	v_and_b32_e32 v19, 0xffff, v19
	v_lshlrev_b32_e32 v0, 16, v27
	v_and_b32_e32 v11, 0xffff, v26
	v_or_b32_e32 v18, v1, v3
	v_or_b32_e32 v29, v12, v97
	;; [unrolled: 1-line block ×4, first 2 shown]
	s_and_saveexec_b32 s15, vcc_lo
	s_cbranch_execz .LBB298_1316
; %bb.1315:                             ;   in Loop: Header=BB298_1052 Depth=1
	v_cmp_lt_i32_e64 s4, v64, v28
	v_cndmask_b32_e64 v18, 0, v97, s4
	v_cmp_lt_i32_e64 s4, v84, v28
	v_cndmask_b32_e64 v12, 0, v12, s4
	v_cmp_lt_i32_e64 s4, v83, v28
	v_or_b32_e32 v29, v18, v12
	v_cndmask_b32_e64 v3, 0, v3, s4
	v_cmp_lt_i32_e64 s4, v82, v28
	v_cndmask_b32_e64 v1, 0, v1, s4
	v_cmp_lt_i32_e64 s4, v81, v28
	v_or_b32_e32 v18, v3, v1
	;; [unrolled: 5-line block ×3, first 2 shown]
	v_cndmask_b32_e64 v11, 0, v11, s4
	v_cmp_lt_i32_e64 s4, v31, v28
	v_cndmask_b32_e64 v0, 0, v0, s4
	v_or_b32_e32 v26, v11, v0
.LBB298_1316:                           ;   in Loop: Header=BB298_1052 Depth=1
	s_or_b32 exec_lo, exec_lo, s15
	;;#ASMSTART
	v_pk_mul_f16 v0, v69, v29;

	;;#ASMEND
	;;#ASMSTART
	v_pk_mul_f16 v1, v67, v18;

	;;#ASMEND
	;; [unrolled: 4-line block ×4, first 2 shown]
	;;#ASMSTART
	v_pk_add_f16 v0, v0, v1;

	;;#ASMEND
	;;#ASMSTART
	v_pk_add_f16 v0, v0, v2;

	;;#ASMEND
	;; [unrolled: 4-line block ×3, first 2 shown]
	v_and_b32_e32 v1, 0xffff, v0
	v_lshrrev_b32_e32 v0, 16, v0
	;;#ASMSTART
	v_cvt_f32_f16 v97, v1;
	;;#ASMEND
	;;#ASMSTART
	v_cvt_f32_f16 v98, v0;
	;;#ASMEND
	flat_load_dwordx2 v[11:12], v[9:10] offset:1024
	flat_load_dword v0, v[22:23]
	v_mov_b32_e32 v1, 0
	v_mov_b32_e32 v18, 0
	s_waitcnt vmcnt(1) lgkmcnt(1)
	v_cmp_ne_u16_sdwa s4, v11, v4 src0_sel:BYTE_0 src1_sel:DWORD
	s_and_saveexec_b32 s15, s4
	s_cbranch_execz .LBB298_1324
; %bb.1317:                             ;   in Loop: Header=BB298_1052 Depth=1
	v_cmp_ne_u16_sdwa s4, v11, v51 src0_sel:BYTE_0 src1_sel:DWORD
	v_mov_b32_e32 v18, 0x8000
	s_and_saveexec_b32 s18, s4
	s_cbranch_execz .LBB298_1323
; %bb.1318:                             ;   in Loop: Header=BB298_1052 Depth=1
	v_and_b32_e32 v19, 0x7f, v11
	v_mov_b32_e32 v18, 0x7c01
	s_mov_b32 s19, exec_lo
	v_cmpx_ne_u32_e32 0x7f, v19
	s_cbranch_execz .LBB298_1322
; %bb.1319:                             ;   in Loop: Header=BB298_1052 Depth=1
	v_and_b32_e32 v2, 7, v11
	v_lshrrev_b32_e32 v3, 3, v19
	s_mov_b32 s20, exec_lo
	v_cmpx_gt_u32_e32 8, v19
; %bb.1320:                             ;   in Loop: Header=BB298_1052 Depth=1
	v_ffbh_u32_e32 v2, v2
	v_min_u32_e32 v18, 32, v2
	v_subrev_nc_u32_e32 v2, 28, v18
	v_lshlrev_b64 v[2:3], v2, v[11:12]
	v_sub_nc_u32_e32 v3, 29, v18
	v_and_b32_e32 v2, 7, v2
; %bb.1321:                             ;   in Loop: Header=BB298_1052 Depth=1
	s_or_b32 exec_lo, exec_lo, s20
	v_lshlrev_b32_e32 v18, 8, v11
	v_lshl_add_u32 v3, v3, 10, 0x2000
	v_lshlrev_b32_e32 v2, 7, v2
	v_and_b32_e32 v18, 0x8000, v18
	v_and_b32_e32 v3, 0xfc00, v3
	v_or3_b32 v18, v18, v3, v2
.LBB298_1322:                           ;   in Loop: Header=BB298_1052 Depth=1
	s_or_b32 exec_lo, exec_lo, s19
.LBB298_1323:                           ;   in Loop: Header=BB298_1052 Depth=1
	s_or_b32 exec_lo, exec_lo, s18
.LBB298_1324:                           ;   in Loop: Header=BB298_1052 Depth=1
	s_or_b32 exec_lo, exec_lo, s15
	v_lshrrev_b16 v3, 8, v11
	s_mov_b32 s15, exec_lo
	v_cmpx_ne_u16_e32 0, v3
	s_cbranch_execz .LBB298_1332
; %bb.1325:                             ;   in Loop: Header=BB298_1052 Depth=1
	v_bfrev_b32_e32 v1, 1
	s_mov_b32 s18, exec_lo
	v_cmpx_ne_u16_e32 0x80, v3
	s_cbranch_execz .LBB298_1331
; %bb.1326:                             ;   in Loop: Header=BB298_1052 Depth=1
	v_and_b32_sdwa v19, v3, v52 dst_sel:DWORD dst_unused:UNUSED_PAD src0_sel:WORD_0 src1_sel:DWORD
	v_mov_b32_e32 v1, 0x7c010000
	s_mov_b32 s19, exec_lo
	v_cmpx_ne_u32_e32 0x7f, v19
	s_cbranch_execz .LBB298_1330
; %bb.1327:                             ;   in Loop: Header=BB298_1052 Depth=1
	v_and_b32_sdwa v1, v3, v53 dst_sel:DWORD dst_unused:UNUSED_PAD src0_sel:WORD_0 src1_sel:DWORD
	v_lshrrev_b32_e32 v2, 3, v19
	s_mov_b32 s20, exec_lo
	v_cmpx_gt_u32_e32 8, v19
; %bb.1328:                             ;   in Loop: Header=BB298_1052 Depth=1
	v_ffbh_u32_e32 v1, v1
	v_min_u32_e32 v19, 32, v1
	v_subrev_nc_u32_e32 v1, 28, v19
	v_lshlrev_b64 v[1:2], v1, v[3:4]
	v_sub_nc_u32_e32 v2, 29, v19
	v_and_b32_e32 v1, 7, v1
; %bb.1329:                             ;   in Loop: Header=BB298_1052 Depth=1
	s_or_b32 exec_lo, exec_lo, s20
	v_lshlrev_b32_sdwa v3, v54, v3 dst_sel:DWORD dst_unused:UNUSED_PAD src0_sel:DWORD src1_sel:WORD_0
	v_lshl_add_u32 v2, v2, 10, 0x2000
	v_lshlrev_b32_e32 v1, 23, v1
	v_and_or_b32 v2, 0x8000, v3, v2
	v_lshl_or_b32 v1, v2, 16, v1
.LBB298_1330:                           ;   in Loop: Header=BB298_1052 Depth=1
	s_or_b32 exec_lo, exec_lo, s19
.LBB298_1331:                           ;   in Loop: Header=BB298_1052 Depth=1
	s_or_b32 exec_lo, exec_lo, s18
.LBB298_1332:                           ;   in Loop: Header=BB298_1052 Depth=1
	s_or_b32 exec_lo, exec_lo, s15
	v_lshrrev_b32_e32 v2, 16, v11
	v_mov_b32_e32 v19, 0
	v_mov_b32_e32 v26, 0
	v_cmp_ne_u16_sdwa s4, v2, v4 src0_sel:BYTE_0 src1_sel:DWORD
	s_and_saveexec_b32 s15, s4
	s_cbranch_execz .LBB298_1340
; %bb.1333:                             ;   in Loop: Header=BB298_1052 Depth=1
	v_cmp_ne_u16_sdwa s4, v2, v51 src0_sel:BYTE_0 src1_sel:DWORD
	v_mov_b32_e32 v26, 0x8000
	s_and_saveexec_b32 s18, s4
	s_cbranch_execz .LBB298_1339
; %bb.1334:                             ;   in Loop: Header=BB298_1052 Depth=1
	v_bfe_u32 v27, v11, 16, 7
	v_mov_b32_e32 v26, 0x7c01
	s_mov_b32 s19, exec_lo
	v_cmpx_ne_u32_e32 0x7f, v27
	s_cbranch_execz .LBB298_1338
; %bb.1335:                             ;   in Loop: Header=BB298_1052 Depth=1
	v_and_b32_e32 v3, 7, v2
	v_lshrrev_b32_e32 v26, 3, v27
	s_mov_b32 s20, exec_lo
	v_cmpx_gt_u32_e32 8, v27
; %bb.1336:                             ;   in Loop: Header=BB298_1052 Depth=1
	v_ffbh_u32_e32 v3, v3
	v_min_u32_e32 v3, 32, v3
	v_subrev_nc_u32_e32 v26, 28, v3
	v_lshlrev_b64 v[99:100], v26, v[2:3]
	v_sub_nc_u32_e32 v26, 29, v3
	v_and_b32_e32 v3, 7, v99
; %bb.1337:                             ;   in Loop: Header=BB298_1052 Depth=1
	s_or_b32 exec_lo, exec_lo, s20
	v_lshlrev_b32_e32 v2, 8, v2
	v_lshl_add_u32 v26, v26, 10, 0x2000
	v_lshlrev_b32_e32 v3, 7, v3
	v_and_b32_e32 v2, 0x8000, v2
	v_and_b32_e32 v26, 0xfc00, v26
	v_or3_b32 v26, v2, v26, v3
.LBB298_1338:                           ;   in Loop: Header=BB298_1052 Depth=1
	s_or_b32 exec_lo, exec_lo, s19
.LBB298_1339:                           ;   in Loop: Header=BB298_1052 Depth=1
	s_or_b32 exec_lo, exec_lo, s18
.LBB298_1340:                           ;   in Loop: Header=BB298_1052 Depth=1
	s_or_b32 exec_lo, exec_lo, s15
	s_mov_b32 s15, exec_lo
	v_cmpx_lt_u32_e32 0xffffff, v11
	s_cbranch_execz .LBB298_1348
; %bb.1341:                             ;   in Loop: Header=BB298_1052 Depth=1
	v_lshrrev_b32_e32 v3, 24, v11
	v_bfrev_b32_e32 v19, 1
	s_mov_b32 s18, exec_lo
	v_cmpx_ne_u32_e32 0x80, v3
	s_cbranch_execz .LBB298_1347
; %bb.1342:                             ;   in Loop: Header=BB298_1052 Depth=1
	v_and_b32_e32 v27, 0x7f, v3
	v_mov_b32_e32 v19, 0x7c010000
	s_mov_b32 s19, exec_lo
	v_cmpx_ne_u32_e32 0x7f, v27
	s_cbranch_execz .LBB298_1346
; %bb.1343:                             ;   in Loop: Header=BB298_1052 Depth=1
	v_and_b32_e32 v2, 7, v3
	v_lshrrev_b32_e32 v19, 3, v27
	s_mov_b32 s20, exec_lo
	v_cmpx_gt_u32_e32 8, v27
; %bb.1344:                             ;   in Loop: Header=BB298_1052 Depth=1
	v_ffbh_u32_e32 v2, v2
	v_min_u32_e32 v2, 32, v2
	v_subrev_nc_u32_e32 v19, 28, v2
	v_lshlrev_b64 v[99:100], v19, v[3:4]
	v_sub_nc_u32_e32 v19, 29, v2
	v_and_b32_e32 v2, 7, v99
; %bb.1345:                             ;   in Loop: Header=BB298_1052 Depth=1
	s_or_b32 exec_lo, exec_lo, s20
	v_lshlrev_b32_e32 v3, 8, v3
	v_lshl_add_u32 v19, v19, 10, 0x2000
	v_lshlrev_b32_e32 v2, 23, v2
	v_and_or_b32 v3, 0x8000, v3, v19
	v_lshl_or_b32 v19, v3, 16, v2
.LBB298_1346:                           ;   in Loop: Header=BB298_1052 Depth=1
	s_or_b32 exec_lo, exec_lo, s19
.LBB298_1347:                           ;   in Loop: Header=BB298_1052 Depth=1
	s_or_b32 exec_lo, exec_lo, s18
.LBB298_1348:                           ;   in Loop: Header=BB298_1052 Depth=1
	s_or_b32 exec_lo, exec_lo, s15
	v_mov_b32_e32 v3, v12
	v_cmp_ne_u16_sdwa s4, v12, v4 src0_sel:BYTE_0 src1_sel:DWORD
	v_mov_b32_e32 v27, 0
	v_mov_b32_e32 v29, 0
	s_and_saveexec_b32 s15, s4
	s_cbranch_execz .LBB298_1356
; %bb.1349:                             ;   in Loop: Header=BB298_1052 Depth=1
	v_cmp_ne_u16_sdwa s4, v12, v51 src0_sel:BYTE_0 src1_sel:DWORD
	v_mov_b32_e32 v29, 0x8000
	s_and_saveexec_b32 s18, s4
	s_cbranch_execz .LBB298_1355
; %bb.1350:                             ;   in Loop: Header=BB298_1052 Depth=1
	v_and_b32_e32 v99, 0x7f, v12
	v_mov_b32_e32 v29, 0x7c01
	s_mov_b32 s19, exec_lo
	v_cmpx_ne_u32_e32 0x7f, v99
	s_cbranch_execz .LBB298_1354
; %bb.1351:                             ;   in Loop: Header=BB298_1052 Depth=1
	v_and_b32_e32 v2, 7, v12
	v_lshrrev_b32_e32 v29, 3, v99
	s_mov_b32 s20, exec_lo
	v_cmpx_gt_u32_e32 8, v99
; %bb.1352:                             ;   in Loop: Header=BB298_1052 Depth=1
	v_ffbh_u32_e32 v2, v2
	v_min_u32_e32 v2, 32, v2
	v_subrev_nc_u32_e32 v29, 28, v2
	v_lshlrev_b64 v[99:100], v29, v[3:4]
	v_sub_nc_u32_e32 v29, 29, v2
	v_and_b32_e32 v2, 7, v99
; %bb.1353:                             ;   in Loop: Header=BB298_1052 Depth=1
	s_or_b32 exec_lo, exec_lo, s20
	v_lshlrev_b32_e32 v99, 8, v12
	v_lshl_add_u32 v29, v29, 10, 0x2000
	v_lshlrev_b32_e32 v2, 7, v2
	v_and_b32_e32 v99, 0x8000, v99
	v_and_b32_e32 v29, 0xfc00, v29
	v_or3_b32 v29, v99, v29, v2
.LBB298_1354:                           ;   in Loop: Header=BB298_1052 Depth=1
	s_or_b32 exec_lo, exec_lo, s19
.LBB298_1355:                           ;   in Loop: Header=BB298_1052 Depth=1
	s_or_b32 exec_lo, exec_lo, s18
.LBB298_1356:                           ;   in Loop: Header=BB298_1052 Depth=1
	s_or_b32 exec_lo, exec_lo, s15
	v_lshrrev_b16 v3, 8, v3
	v_mov_b32_e32 v99, 0
	s_mov_b32 s15, exec_lo
	v_cmpx_ne_u16_e32 0, v3
	s_cbranch_execz .LBB298_1364
; %bb.1357:                             ;   in Loop: Header=BB298_1052 Depth=1
	v_bfrev_b32_e32 v99, 1
	s_mov_b32 s18, exec_lo
	v_cmpx_ne_u16_e32 0x80, v3
	s_cbranch_execz .LBB298_1363
; %bb.1358:                             ;   in Loop: Header=BB298_1052 Depth=1
	v_and_b32_sdwa v100, v3, v52 dst_sel:DWORD dst_unused:UNUSED_PAD src0_sel:WORD_0 src1_sel:DWORD
	v_mov_b32_e32 v99, 0x7c010000
	s_mov_b32 s19, exec_lo
	v_cmpx_ne_u32_e32 0x7f, v100
	s_cbranch_execz .LBB298_1362
; %bb.1359:                             ;   in Loop: Header=BB298_1052 Depth=1
	v_and_b32_sdwa v2, v3, v53 dst_sel:DWORD dst_unused:UNUSED_PAD src0_sel:WORD_0 src1_sel:DWORD
	v_lshrrev_b32_e32 v99, 3, v100
	s_mov_b32 s20, exec_lo
	v_cmpx_gt_u32_e32 8, v100
; %bb.1360:                             ;   in Loop: Header=BB298_1052 Depth=1
	v_ffbh_u32_e32 v2, v2
	v_min_u32_e32 v2, 32, v2
	v_subrev_nc_u32_e32 v99, 28, v2
	v_lshlrev_b64 v[100:101], v99, v[3:4]
	v_sub_nc_u32_e32 v99, 29, v2
	v_and_b32_e32 v2, 7, v100
; %bb.1361:                             ;   in Loop: Header=BB298_1052 Depth=1
	s_or_b32 exec_lo, exec_lo, s20
	v_lshlrev_b32_sdwa v3, v54, v3 dst_sel:DWORD dst_unused:UNUSED_PAD src0_sel:DWORD src1_sel:WORD_0
	v_lshl_add_u32 v99, v99, 10, 0x2000
	v_lshlrev_b32_e32 v2, 23, v2
	v_and_or_b32 v3, 0x8000, v3, v99
	v_lshl_or_b32 v99, v3, 16, v2
.LBB298_1362:                           ;   in Loop: Header=BB298_1052 Depth=1
	s_or_b32 exec_lo, exec_lo, s19
.LBB298_1363:                           ;   in Loop: Header=BB298_1052 Depth=1
	s_or_b32 exec_lo, exec_lo, s18
.LBB298_1364:                           ;   in Loop: Header=BB298_1052 Depth=1
	s_or_b32 exec_lo, exec_lo, s15
	v_lshrrev_b32_e32 v2, 16, v12
	v_cmp_ne_u16_sdwa s4, v2, v4 src0_sel:BYTE_0 src1_sel:DWORD
	s_and_saveexec_b32 s15, s4
	s_cbranch_execz .LBB298_1372
; %bb.1365:                             ;   in Loop: Header=BB298_1052 Depth=1
	v_cmp_ne_u16_sdwa s4, v2, v51 src0_sel:BYTE_0 src1_sel:DWORD
	v_mov_b32_e32 v27, 0x8000
	s_and_saveexec_b32 s18, s4
	s_cbranch_execz .LBB298_1371
; %bb.1366:                             ;   in Loop: Header=BB298_1052 Depth=1
	v_bfe_u32 v100, v12, 16, 7
	v_mov_b32_e32 v27, 0x7c01
	s_mov_b32 s19, exec_lo
	v_cmpx_ne_u32_e32 0x7f, v100
	s_cbranch_execz .LBB298_1370
; %bb.1367:                             ;   in Loop: Header=BB298_1052 Depth=1
	v_and_b32_e32 v3, 7, v2
	v_lshrrev_b32_e32 v27, 3, v100
	s_mov_b32 s20, exec_lo
	v_cmpx_gt_u32_e32 8, v100
; %bb.1368:                             ;   in Loop: Header=BB298_1052 Depth=1
	v_ffbh_u32_e32 v3, v3
	v_min_u32_e32 v3, 32, v3
	v_subrev_nc_u32_e32 v27, 28, v3
	v_lshlrev_b64 v[100:101], v27, v[2:3]
	v_sub_nc_u32_e32 v27, 29, v3
	v_and_b32_e32 v3, 7, v100
; %bb.1369:                             ;   in Loop: Header=BB298_1052 Depth=1
	s_or_b32 exec_lo, exec_lo, s20
	v_lshlrev_b32_e32 v2, 8, v2
	v_lshl_add_u32 v27, v27, 10, 0x2000
	v_lshlrev_b32_e32 v3, 7, v3
	v_and_b32_e32 v2, 0x8000, v2
	v_and_b32_e32 v27, 0xfc00, v27
	v_or3_b32 v27, v2, v27, v3
.LBB298_1370:                           ;   in Loop: Header=BB298_1052 Depth=1
	s_or_b32 exec_lo, exec_lo, s19
.LBB298_1371:                           ;   in Loop: Header=BB298_1052 Depth=1
	s_or_b32 exec_lo, exec_lo, s18
.LBB298_1372:                           ;   in Loop: Header=BB298_1052 Depth=1
	s_or_b32 exec_lo, exec_lo, s15
	v_mov_b32_e32 v2, 0
	s_mov_b32 s15, exec_lo
	v_cmpx_lt_u64_e64 s[6:7], v[11:12]
	s_cbranch_execz .LBB298_1380
; %bb.1373:                             ;   in Loop: Header=BB298_1052 Depth=1
	v_lshrrev_b32_e32 v3, 24, v12
	v_bfrev_b32_e32 v2, 1
	s_mov_b32 s18, exec_lo
	v_cmpx_ne_u32_e32 0x80, v3
	s_cbranch_execz .LBB298_1379
; %bb.1374:                             ;   in Loop: Header=BB298_1052 Depth=1
	v_and_b32_e32 v12, 0x7f, v3
	v_mov_b32_e32 v2, 0x7c010000
	s_mov_b32 s19, exec_lo
	v_cmpx_ne_u32_e32 0x7f, v12
	s_cbranch_execz .LBB298_1378
; %bb.1375:                             ;   in Loop: Header=BB298_1052 Depth=1
	v_and_b32_e32 v2, 7, v3
	v_lshrrev_b32_e32 v11, 3, v12
	s_mov_b32 s20, exec_lo
	v_cmpx_gt_u32_e32 8, v12
; %bb.1376:                             ;   in Loop: Header=BB298_1052 Depth=1
	v_ffbh_u32_e32 v2, v2
	v_min_u32_e32 v2, 32, v2
	v_subrev_nc_u32_e32 v11, 28, v2
	v_lshlrev_b64 v[100:101], v11, v[3:4]
	v_sub_nc_u32_e32 v11, 29, v2
	v_and_b32_e32 v2, 7, v100
; %bb.1377:                             ;   in Loop: Header=BB298_1052 Depth=1
	s_or_b32 exec_lo, exec_lo, s20
	v_lshlrev_b32_e32 v3, 8, v3
	v_lshl_add_u32 v11, v11, 10, 0x2000
	v_lshlrev_b32_e32 v2, 23, v2
	v_and_or_b32 v3, 0x8000, v3, v11
	v_lshl_or_b32 v2, v3, 16, v2
.LBB298_1378:                           ;   in Loop: Header=BB298_1052 Depth=1
	s_or_b32 exec_lo, exec_lo, s19
.LBB298_1379:                           ;   in Loop: Header=BB298_1052 Depth=1
	s_or_b32 exec_lo, exec_lo, s18
.LBB298_1380:                           ;   in Loop: Header=BB298_1052 Depth=1
	s_or_b32 exec_lo, exec_lo, s15
	v_or_b32_e32 v3, v19, v26
	s_waitcnt vmcnt(0) lgkmcnt(0)
	v_fma_mixlo_f16 v11, v0, v19, 0 op_sel:[0,1,0] op_sel_hi:[0,1,0]
	v_or_b32_e32 v18, v1, v18
	v_or_b32_e32 v19, v99, v29
	;; [unrolled: 1-line block ×3, first 2 shown]
	v_fma_mixlo_f16 v12, v0, v1, 0 op_sel:[0,1,0] op_sel_hi:[0,1,0]
	v_fma_mixlo_f16 v3, v0, v3, 0 op_sel_hi:[0,1,0]
	v_lshlrev_b32_e32 v1, 16, v11
	v_fma_mixlo_f16 v11, v0, v18, 0 op_sel_hi:[0,1,0]
	v_fma_mixlo_f16 v18, v0, v99, 0 op_sel:[0,1,0] op_sel_hi:[0,1,0]
	v_fma_mixlo_f16 v19, v0, v19, 0 op_sel_hi:[0,1,0]
	v_fma_mixlo_f16 v27, v0, v2, 0 op_sel:[0,1,0] op_sel_hi:[0,1,0]
	v_fma_mixlo_f16 v26, v0, v26, 0 op_sel_hi:[0,1,0]
	v_lshlrev_b32_e32 v12, 16, v12
	v_and_b32_e32 v3, 0xffff, v3
	v_and_b32_e32 v99, 0xffff, v11
	v_lshlrev_b32_e32 v2, 16, v18
	v_and_b32_e32 v19, 0xffff, v19
	v_lshlrev_b32_e32 v0, 16, v27
	v_and_b32_e32 v11, 0xffff, v26
	v_or_b32_e32 v18, v1, v3
	v_or_b32_e32 v29, v12, v99
	;; [unrolled: 1-line block ×4, first 2 shown]
	s_and_saveexec_b32 s15, vcc_lo
	s_cbranch_execz .LBB298_1382
; %bb.1381:                             ;   in Loop: Header=BB298_1052 Depth=1
	v_cmp_lt_i32_e64 s4, v64, v28
	v_cndmask_b32_e64 v18, 0, v99, s4
	v_cmp_lt_i32_e64 s4, v84, v28
	v_cndmask_b32_e64 v12, 0, v12, s4
	v_cmp_lt_i32_e64 s4, v83, v28
	v_or_b32_e32 v29, v18, v12
	v_cndmask_b32_e64 v3, 0, v3, s4
	v_cmp_lt_i32_e64 s4, v82, v28
	v_cndmask_b32_e64 v1, 0, v1, s4
	v_cmp_lt_i32_e64 s4, v81, v28
	v_or_b32_e32 v18, v3, v1
	;; [unrolled: 5-line block ×3, first 2 shown]
	v_cndmask_b32_e64 v11, 0, v11, s4
	v_cmp_lt_i32_e64 s4, v31, v28
	v_cndmask_b32_e64 v0, 0, v0, s4
	v_or_b32_e32 v26, v11, v0
.LBB298_1382:                           ;   in Loop: Header=BB298_1052 Depth=1
	s_or_b32 exec_lo, exec_lo, s15
	;;#ASMSTART
	v_pk_mul_f16 v0, v69, v29;

	;;#ASMEND
	;;#ASMSTART
	v_pk_mul_f16 v1, v67, v18;

	;;#ASMEND
	;; [unrolled: 4-line block ×4, first 2 shown]
	;;#ASMSTART
	v_pk_add_f16 v0, v0, v1;

	;;#ASMEND
	;;#ASMSTART
	v_pk_add_f16 v0, v0, v2;

	;;#ASMEND
	;;#ASMSTART
	v_pk_add_f16 v0, v0, v3;

	;;#ASMEND
	v_and_b32_e32 v1, 0xffff, v0
	v_lshrrev_b32_e32 v0, 16, v0
	;;#ASMSTART
	v_cvt_f32_f16 v99, v1;
	;;#ASMEND
	;;#ASMSTART
	v_cvt_f32_f16 v100, v0;
	;;#ASMEND
	flat_load_dwordx2 v[11:12], v[9:10] offset:1280
	flat_load_dword v0, v[22:23]
	v_mov_b32_e32 v1, 0
	v_mov_b32_e32 v18, 0
	s_waitcnt vmcnt(1) lgkmcnt(1)
	v_cmp_ne_u16_sdwa s4, v11, v4 src0_sel:BYTE_0 src1_sel:DWORD
	s_and_saveexec_b32 s15, s4
	s_cbranch_execz .LBB298_1390
; %bb.1383:                             ;   in Loop: Header=BB298_1052 Depth=1
	v_cmp_ne_u16_sdwa s4, v11, v51 src0_sel:BYTE_0 src1_sel:DWORD
	v_mov_b32_e32 v18, 0x8000
	s_and_saveexec_b32 s18, s4
	s_cbranch_execz .LBB298_1389
; %bb.1384:                             ;   in Loop: Header=BB298_1052 Depth=1
	v_and_b32_e32 v19, 0x7f, v11
	v_mov_b32_e32 v18, 0x7c01
	s_mov_b32 s19, exec_lo
	v_cmpx_ne_u32_e32 0x7f, v19
	s_cbranch_execz .LBB298_1388
; %bb.1385:                             ;   in Loop: Header=BB298_1052 Depth=1
	v_and_b32_e32 v2, 7, v11
	v_lshrrev_b32_e32 v3, 3, v19
	s_mov_b32 s20, exec_lo
	v_cmpx_gt_u32_e32 8, v19
; %bb.1386:                             ;   in Loop: Header=BB298_1052 Depth=1
	v_ffbh_u32_e32 v2, v2
	v_min_u32_e32 v18, 32, v2
	v_subrev_nc_u32_e32 v2, 28, v18
	v_lshlrev_b64 v[2:3], v2, v[11:12]
	v_sub_nc_u32_e32 v3, 29, v18
	v_and_b32_e32 v2, 7, v2
; %bb.1387:                             ;   in Loop: Header=BB298_1052 Depth=1
	s_or_b32 exec_lo, exec_lo, s20
	v_lshlrev_b32_e32 v18, 8, v11
	v_lshl_add_u32 v3, v3, 10, 0x2000
	v_lshlrev_b32_e32 v2, 7, v2
	v_and_b32_e32 v18, 0x8000, v18
	v_and_b32_e32 v3, 0xfc00, v3
	v_or3_b32 v18, v18, v3, v2
.LBB298_1388:                           ;   in Loop: Header=BB298_1052 Depth=1
	s_or_b32 exec_lo, exec_lo, s19
.LBB298_1389:                           ;   in Loop: Header=BB298_1052 Depth=1
	s_or_b32 exec_lo, exec_lo, s18
.LBB298_1390:                           ;   in Loop: Header=BB298_1052 Depth=1
	s_or_b32 exec_lo, exec_lo, s15
	v_lshrrev_b16 v3, 8, v11
	s_mov_b32 s15, exec_lo
	v_cmpx_ne_u16_e32 0, v3
	s_cbranch_execz .LBB298_1398
; %bb.1391:                             ;   in Loop: Header=BB298_1052 Depth=1
	v_bfrev_b32_e32 v1, 1
	s_mov_b32 s18, exec_lo
	v_cmpx_ne_u16_e32 0x80, v3
	s_cbranch_execz .LBB298_1397
; %bb.1392:                             ;   in Loop: Header=BB298_1052 Depth=1
	v_and_b32_sdwa v19, v3, v52 dst_sel:DWORD dst_unused:UNUSED_PAD src0_sel:WORD_0 src1_sel:DWORD
	v_mov_b32_e32 v1, 0x7c010000
	s_mov_b32 s19, exec_lo
	v_cmpx_ne_u32_e32 0x7f, v19
	s_cbranch_execz .LBB298_1396
; %bb.1393:                             ;   in Loop: Header=BB298_1052 Depth=1
	v_and_b32_sdwa v1, v3, v53 dst_sel:DWORD dst_unused:UNUSED_PAD src0_sel:WORD_0 src1_sel:DWORD
	v_lshrrev_b32_e32 v2, 3, v19
	s_mov_b32 s20, exec_lo
	v_cmpx_gt_u32_e32 8, v19
; %bb.1394:                             ;   in Loop: Header=BB298_1052 Depth=1
	v_ffbh_u32_e32 v1, v1
	v_min_u32_e32 v19, 32, v1
	v_subrev_nc_u32_e32 v1, 28, v19
	v_lshlrev_b64 v[1:2], v1, v[3:4]
	v_sub_nc_u32_e32 v2, 29, v19
	v_and_b32_e32 v1, 7, v1
; %bb.1395:                             ;   in Loop: Header=BB298_1052 Depth=1
	s_or_b32 exec_lo, exec_lo, s20
	v_lshlrev_b32_sdwa v3, v54, v3 dst_sel:DWORD dst_unused:UNUSED_PAD src0_sel:DWORD src1_sel:WORD_0
	v_lshl_add_u32 v2, v2, 10, 0x2000
	v_lshlrev_b32_e32 v1, 23, v1
	v_and_or_b32 v2, 0x8000, v3, v2
	v_lshl_or_b32 v1, v2, 16, v1
.LBB298_1396:                           ;   in Loop: Header=BB298_1052 Depth=1
	s_or_b32 exec_lo, exec_lo, s19
.LBB298_1397:                           ;   in Loop: Header=BB298_1052 Depth=1
	s_or_b32 exec_lo, exec_lo, s18
.LBB298_1398:                           ;   in Loop: Header=BB298_1052 Depth=1
	s_or_b32 exec_lo, exec_lo, s15
	v_lshrrev_b32_e32 v2, 16, v11
	v_mov_b32_e32 v19, 0
	v_mov_b32_e32 v26, 0
	v_cmp_ne_u16_sdwa s4, v2, v4 src0_sel:BYTE_0 src1_sel:DWORD
	s_and_saveexec_b32 s15, s4
	s_cbranch_execz .LBB298_1406
; %bb.1399:                             ;   in Loop: Header=BB298_1052 Depth=1
	v_cmp_ne_u16_sdwa s4, v2, v51 src0_sel:BYTE_0 src1_sel:DWORD
	v_mov_b32_e32 v26, 0x8000
	s_and_saveexec_b32 s18, s4
	s_cbranch_execz .LBB298_1405
; %bb.1400:                             ;   in Loop: Header=BB298_1052 Depth=1
	v_bfe_u32 v27, v11, 16, 7
	v_mov_b32_e32 v26, 0x7c01
	s_mov_b32 s19, exec_lo
	v_cmpx_ne_u32_e32 0x7f, v27
	s_cbranch_execz .LBB298_1404
; %bb.1401:                             ;   in Loop: Header=BB298_1052 Depth=1
	v_and_b32_e32 v3, 7, v2
	v_lshrrev_b32_e32 v26, 3, v27
	s_mov_b32 s20, exec_lo
	v_cmpx_gt_u32_e32 8, v27
; %bb.1402:                             ;   in Loop: Header=BB298_1052 Depth=1
	v_ffbh_u32_e32 v3, v3
	v_min_u32_e32 v3, 32, v3
	v_subrev_nc_u32_e32 v26, 28, v3
	v_lshlrev_b64 v[101:102], v26, v[2:3]
	v_sub_nc_u32_e32 v26, 29, v3
	v_and_b32_e32 v3, 7, v101
; %bb.1403:                             ;   in Loop: Header=BB298_1052 Depth=1
	s_or_b32 exec_lo, exec_lo, s20
	v_lshlrev_b32_e32 v2, 8, v2
	v_lshl_add_u32 v26, v26, 10, 0x2000
	v_lshlrev_b32_e32 v3, 7, v3
	v_and_b32_e32 v2, 0x8000, v2
	v_and_b32_e32 v26, 0xfc00, v26
	v_or3_b32 v26, v2, v26, v3
.LBB298_1404:                           ;   in Loop: Header=BB298_1052 Depth=1
	s_or_b32 exec_lo, exec_lo, s19
.LBB298_1405:                           ;   in Loop: Header=BB298_1052 Depth=1
	s_or_b32 exec_lo, exec_lo, s18
.LBB298_1406:                           ;   in Loop: Header=BB298_1052 Depth=1
	s_or_b32 exec_lo, exec_lo, s15
	s_mov_b32 s15, exec_lo
	v_cmpx_lt_u32_e32 0xffffff, v11
	s_cbranch_execz .LBB298_1414
; %bb.1407:                             ;   in Loop: Header=BB298_1052 Depth=1
	v_lshrrev_b32_e32 v3, 24, v11
	v_bfrev_b32_e32 v19, 1
	s_mov_b32 s18, exec_lo
	v_cmpx_ne_u32_e32 0x80, v3
	s_cbranch_execz .LBB298_1413
; %bb.1408:                             ;   in Loop: Header=BB298_1052 Depth=1
	v_and_b32_e32 v27, 0x7f, v3
	v_mov_b32_e32 v19, 0x7c010000
	s_mov_b32 s19, exec_lo
	v_cmpx_ne_u32_e32 0x7f, v27
	s_cbranch_execz .LBB298_1412
; %bb.1409:                             ;   in Loop: Header=BB298_1052 Depth=1
	v_and_b32_e32 v2, 7, v3
	v_lshrrev_b32_e32 v19, 3, v27
	s_mov_b32 s20, exec_lo
	v_cmpx_gt_u32_e32 8, v27
; %bb.1410:                             ;   in Loop: Header=BB298_1052 Depth=1
	v_ffbh_u32_e32 v2, v2
	v_min_u32_e32 v2, 32, v2
	v_subrev_nc_u32_e32 v19, 28, v2
	v_lshlrev_b64 v[101:102], v19, v[3:4]
	v_sub_nc_u32_e32 v19, 29, v2
	v_and_b32_e32 v2, 7, v101
; %bb.1411:                             ;   in Loop: Header=BB298_1052 Depth=1
	s_or_b32 exec_lo, exec_lo, s20
	v_lshlrev_b32_e32 v3, 8, v3
	v_lshl_add_u32 v19, v19, 10, 0x2000
	v_lshlrev_b32_e32 v2, 23, v2
	v_and_or_b32 v3, 0x8000, v3, v19
	v_lshl_or_b32 v19, v3, 16, v2
.LBB298_1412:                           ;   in Loop: Header=BB298_1052 Depth=1
	s_or_b32 exec_lo, exec_lo, s19
.LBB298_1413:                           ;   in Loop: Header=BB298_1052 Depth=1
	s_or_b32 exec_lo, exec_lo, s18
.LBB298_1414:                           ;   in Loop: Header=BB298_1052 Depth=1
	s_or_b32 exec_lo, exec_lo, s15
	v_mov_b32_e32 v3, v12
	v_cmp_ne_u16_sdwa s4, v12, v4 src0_sel:BYTE_0 src1_sel:DWORD
	v_mov_b32_e32 v27, 0
	v_mov_b32_e32 v29, 0
	s_and_saveexec_b32 s15, s4
	s_cbranch_execz .LBB298_1422
; %bb.1415:                             ;   in Loop: Header=BB298_1052 Depth=1
	v_cmp_ne_u16_sdwa s4, v12, v51 src0_sel:BYTE_0 src1_sel:DWORD
	v_mov_b32_e32 v29, 0x8000
	s_and_saveexec_b32 s18, s4
	s_cbranch_execz .LBB298_1421
; %bb.1416:                             ;   in Loop: Header=BB298_1052 Depth=1
	v_and_b32_e32 v101, 0x7f, v12
	v_mov_b32_e32 v29, 0x7c01
	s_mov_b32 s19, exec_lo
	v_cmpx_ne_u32_e32 0x7f, v101
	s_cbranch_execz .LBB298_1420
; %bb.1417:                             ;   in Loop: Header=BB298_1052 Depth=1
	v_and_b32_e32 v2, 7, v12
	v_lshrrev_b32_e32 v29, 3, v101
	s_mov_b32 s20, exec_lo
	v_cmpx_gt_u32_e32 8, v101
; %bb.1418:                             ;   in Loop: Header=BB298_1052 Depth=1
	v_ffbh_u32_e32 v2, v2
	v_min_u32_e32 v2, 32, v2
	v_subrev_nc_u32_e32 v29, 28, v2
	v_lshlrev_b64 v[101:102], v29, v[3:4]
	v_sub_nc_u32_e32 v29, 29, v2
	v_and_b32_e32 v2, 7, v101
; %bb.1419:                             ;   in Loop: Header=BB298_1052 Depth=1
	s_or_b32 exec_lo, exec_lo, s20
	v_lshlrev_b32_e32 v101, 8, v12
	v_lshl_add_u32 v29, v29, 10, 0x2000
	v_lshlrev_b32_e32 v2, 7, v2
	v_and_b32_e32 v101, 0x8000, v101
	v_and_b32_e32 v29, 0xfc00, v29
	v_or3_b32 v29, v101, v29, v2
.LBB298_1420:                           ;   in Loop: Header=BB298_1052 Depth=1
	s_or_b32 exec_lo, exec_lo, s19
.LBB298_1421:                           ;   in Loop: Header=BB298_1052 Depth=1
	s_or_b32 exec_lo, exec_lo, s18
.LBB298_1422:                           ;   in Loop: Header=BB298_1052 Depth=1
	s_or_b32 exec_lo, exec_lo, s15
	v_lshrrev_b16 v3, 8, v3
	v_mov_b32_e32 v101, 0
	s_mov_b32 s15, exec_lo
	v_cmpx_ne_u16_e32 0, v3
	s_cbranch_execz .LBB298_1430
; %bb.1423:                             ;   in Loop: Header=BB298_1052 Depth=1
	v_bfrev_b32_e32 v101, 1
	s_mov_b32 s18, exec_lo
	v_cmpx_ne_u16_e32 0x80, v3
	s_cbranch_execz .LBB298_1429
; %bb.1424:                             ;   in Loop: Header=BB298_1052 Depth=1
	v_and_b32_sdwa v102, v3, v52 dst_sel:DWORD dst_unused:UNUSED_PAD src0_sel:WORD_0 src1_sel:DWORD
	v_mov_b32_e32 v101, 0x7c010000
	s_mov_b32 s19, exec_lo
	v_cmpx_ne_u32_e32 0x7f, v102
	s_cbranch_execz .LBB298_1428
; %bb.1425:                             ;   in Loop: Header=BB298_1052 Depth=1
	v_and_b32_sdwa v2, v3, v53 dst_sel:DWORD dst_unused:UNUSED_PAD src0_sel:WORD_0 src1_sel:DWORD
	v_lshrrev_b32_e32 v101, 3, v102
	s_mov_b32 s20, exec_lo
	v_cmpx_gt_u32_e32 8, v102
; %bb.1426:                             ;   in Loop: Header=BB298_1052 Depth=1
	v_ffbh_u32_e32 v2, v2
	v_min_u32_e32 v2, 32, v2
	v_subrev_nc_u32_e32 v101, 28, v2
	v_lshlrev_b64 v[102:103], v101, v[3:4]
	v_sub_nc_u32_e32 v101, 29, v2
	v_and_b32_e32 v2, 7, v102
; %bb.1427:                             ;   in Loop: Header=BB298_1052 Depth=1
	s_or_b32 exec_lo, exec_lo, s20
	v_lshlrev_b32_sdwa v3, v54, v3 dst_sel:DWORD dst_unused:UNUSED_PAD src0_sel:DWORD src1_sel:WORD_0
	v_lshl_add_u32 v101, v101, 10, 0x2000
	v_lshlrev_b32_e32 v2, 23, v2
	v_and_or_b32 v3, 0x8000, v3, v101
	v_lshl_or_b32 v101, v3, 16, v2
.LBB298_1428:                           ;   in Loop: Header=BB298_1052 Depth=1
	s_or_b32 exec_lo, exec_lo, s19
.LBB298_1429:                           ;   in Loop: Header=BB298_1052 Depth=1
	s_or_b32 exec_lo, exec_lo, s18
.LBB298_1430:                           ;   in Loop: Header=BB298_1052 Depth=1
	s_or_b32 exec_lo, exec_lo, s15
	v_lshrrev_b32_e32 v2, 16, v12
	v_cmp_ne_u16_sdwa s4, v2, v4 src0_sel:BYTE_0 src1_sel:DWORD
	s_and_saveexec_b32 s15, s4
	s_cbranch_execz .LBB298_1438
; %bb.1431:                             ;   in Loop: Header=BB298_1052 Depth=1
	v_cmp_ne_u16_sdwa s4, v2, v51 src0_sel:BYTE_0 src1_sel:DWORD
	v_mov_b32_e32 v27, 0x8000
	s_and_saveexec_b32 s18, s4
	s_cbranch_execz .LBB298_1437
; %bb.1432:                             ;   in Loop: Header=BB298_1052 Depth=1
	v_bfe_u32 v102, v12, 16, 7
	v_mov_b32_e32 v27, 0x7c01
	s_mov_b32 s19, exec_lo
	v_cmpx_ne_u32_e32 0x7f, v102
	s_cbranch_execz .LBB298_1436
; %bb.1433:                             ;   in Loop: Header=BB298_1052 Depth=1
	v_and_b32_e32 v3, 7, v2
	v_lshrrev_b32_e32 v27, 3, v102
	s_mov_b32 s20, exec_lo
	v_cmpx_gt_u32_e32 8, v102
; %bb.1434:                             ;   in Loop: Header=BB298_1052 Depth=1
	v_ffbh_u32_e32 v3, v3
	v_min_u32_e32 v3, 32, v3
	v_subrev_nc_u32_e32 v27, 28, v3
	v_lshlrev_b64 v[102:103], v27, v[2:3]
	v_sub_nc_u32_e32 v27, 29, v3
	v_and_b32_e32 v3, 7, v102
; %bb.1435:                             ;   in Loop: Header=BB298_1052 Depth=1
	s_or_b32 exec_lo, exec_lo, s20
	v_lshlrev_b32_e32 v2, 8, v2
	v_lshl_add_u32 v27, v27, 10, 0x2000
	v_lshlrev_b32_e32 v3, 7, v3
	v_and_b32_e32 v2, 0x8000, v2
	v_and_b32_e32 v27, 0xfc00, v27
	v_or3_b32 v27, v2, v27, v3
.LBB298_1436:                           ;   in Loop: Header=BB298_1052 Depth=1
	s_or_b32 exec_lo, exec_lo, s19
.LBB298_1437:                           ;   in Loop: Header=BB298_1052 Depth=1
	s_or_b32 exec_lo, exec_lo, s18
.LBB298_1438:                           ;   in Loop: Header=BB298_1052 Depth=1
	s_or_b32 exec_lo, exec_lo, s15
	v_mov_b32_e32 v2, 0
	s_mov_b32 s15, exec_lo
	v_cmpx_lt_u64_e64 s[6:7], v[11:12]
	s_cbranch_execz .LBB298_1446
; %bb.1439:                             ;   in Loop: Header=BB298_1052 Depth=1
	v_lshrrev_b32_e32 v3, 24, v12
	v_bfrev_b32_e32 v2, 1
	s_mov_b32 s18, exec_lo
	v_cmpx_ne_u32_e32 0x80, v3
	s_cbranch_execz .LBB298_1445
; %bb.1440:                             ;   in Loop: Header=BB298_1052 Depth=1
	v_and_b32_e32 v12, 0x7f, v3
	v_mov_b32_e32 v2, 0x7c010000
	s_mov_b32 s19, exec_lo
	v_cmpx_ne_u32_e32 0x7f, v12
	s_cbranch_execz .LBB298_1444
; %bb.1441:                             ;   in Loop: Header=BB298_1052 Depth=1
	v_and_b32_e32 v2, 7, v3
	v_lshrrev_b32_e32 v11, 3, v12
	s_mov_b32 s20, exec_lo
	v_cmpx_gt_u32_e32 8, v12
; %bb.1442:                             ;   in Loop: Header=BB298_1052 Depth=1
	v_ffbh_u32_e32 v2, v2
	v_min_u32_e32 v2, 32, v2
	v_subrev_nc_u32_e32 v11, 28, v2
	v_lshlrev_b64 v[102:103], v11, v[3:4]
	v_sub_nc_u32_e32 v11, 29, v2
	v_and_b32_e32 v2, 7, v102
; %bb.1443:                             ;   in Loop: Header=BB298_1052 Depth=1
	s_or_b32 exec_lo, exec_lo, s20
	v_lshlrev_b32_e32 v3, 8, v3
	v_lshl_add_u32 v11, v11, 10, 0x2000
	v_lshlrev_b32_e32 v2, 23, v2
	v_and_or_b32 v3, 0x8000, v3, v11
	v_lshl_or_b32 v2, v3, 16, v2
.LBB298_1444:                           ;   in Loop: Header=BB298_1052 Depth=1
	s_or_b32 exec_lo, exec_lo, s19
.LBB298_1445:                           ;   in Loop: Header=BB298_1052 Depth=1
	s_or_b32 exec_lo, exec_lo, s18
.LBB298_1446:                           ;   in Loop: Header=BB298_1052 Depth=1
	s_or_b32 exec_lo, exec_lo, s15
	v_or_b32_e32 v3, v19, v26
	s_waitcnt vmcnt(0) lgkmcnt(0)
	v_fma_mixlo_f16 v11, v0, v19, 0 op_sel:[0,1,0] op_sel_hi:[0,1,0]
	v_or_b32_e32 v18, v1, v18
	v_or_b32_e32 v19, v101, v29
	;; [unrolled: 1-line block ×3, first 2 shown]
	v_fma_mixlo_f16 v12, v0, v1, 0 op_sel:[0,1,0] op_sel_hi:[0,1,0]
	v_fma_mixlo_f16 v3, v0, v3, 0 op_sel_hi:[0,1,0]
	v_lshlrev_b32_e32 v1, 16, v11
	v_fma_mixlo_f16 v11, v0, v18, 0 op_sel_hi:[0,1,0]
	v_fma_mixlo_f16 v18, v0, v101, 0 op_sel:[0,1,0] op_sel_hi:[0,1,0]
	v_fma_mixlo_f16 v19, v0, v19, 0 op_sel_hi:[0,1,0]
	v_fma_mixlo_f16 v27, v0, v2, 0 op_sel:[0,1,0] op_sel_hi:[0,1,0]
	v_fma_mixlo_f16 v26, v0, v26, 0 op_sel_hi:[0,1,0]
	v_lshlrev_b32_e32 v12, 16, v12
	v_and_b32_e32 v3, 0xffff, v3
	v_and_b32_e32 v101, 0xffff, v11
	v_lshlrev_b32_e32 v2, 16, v18
	v_and_b32_e32 v19, 0xffff, v19
	v_lshlrev_b32_e32 v0, 16, v27
	v_and_b32_e32 v11, 0xffff, v26
	v_or_b32_e32 v18, v1, v3
	v_or_b32_e32 v29, v12, v101
	;; [unrolled: 1-line block ×4, first 2 shown]
	s_and_saveexec_b32 s15, vcc_lo
	s_cbranch_execz .LBB298_1448
; %bb.1447:                             ;   in Loop: Header=BB298_1052 Depth=1
	v_cmp_lt_i32_e64 s4, v64, v28
	v_cndmask_b32_e64 v18, 0, v101, s4
	v_cmp_lt_i32_e64 s4, v84, v28
	v_cndmask_b32_e64 v12, 0, v12, s4
	v_cmp_lt_i32_e64 s4, v83, v28
	v_or_b32_e32 v29, v18, v12
	v_cndmask_b32_e64 v3, 0, v3, s4
	v_cmp_lt_i32_e64 s4, v82, v28
	v_cndmask_b32_e64 v1, 0, v1, s4
	v_cmp_lt_i32_e64 s4, v81, v28
	v_or_b32_e32 v18, v3, v1
	;; [unrolled: 5-line block ×3, first 2 shown]
	v_cndmask_b32_e64 v11, 0, v11, s4
	v_cmp_lt_i32_e64 s4, v31, v28
	v_cndmask_b32_e64 v0, 0, v0, s4
	v_or_b32_e32 v26, v11, v0
.LBB298_1448:                           ;   in Loop: Header=BB298_1052 Depth=1
	s_or_b32 exec_lo, exec_lo, s15
	;;#ASMSTART
	v_pk_mul_f16 v0, v69, v29;

	;;#ASMEND
	;;#ASMSTART
	v_pk_mul_f16 v1, v67, v18;

	;;#ASMEND
	;; [unrolled: 4-line block ×4, first 2 shown]
	;;#ASMSTART
	v_pk_add_f16 v0, v0, v1;

	;;#ASMEND
	;;#ASMSTART
	v_pk_add_f16 v0, v0, v2;

	;;#ASMEND
	;;#ASMSTART
	v_pk_add_f16 v0, v0, v3;

	;;#ASMEND
	v_and_b32_e32 v1, 0xffff, v0
	v_lshrrev_b32_e32 v0, 16, v0
	;;#ASMSTART
	v_cvt_f32_f16 v101, v1;
	;;#ASMEND
	;;#ASMSTART
	v_cvt_f32_f16 v102, v0;
	;;#ASMEND
	flat_load_dwordx2 v[11:12], v[9:10] offset:1536
	flat_load_dword v0, v[22:23]
	v_mov_b32_e32 v1, 0
	v_mov_b32_e32 v18, 0
	s_waitcnt vmcnt(1) lgkmcnt(1)
	v_cmp_ne_u16_sdwa s4, v11, v4 src0_sel:BYTE_0 src1_sel:DWORD
	s_and_saveexec_b32 s15, s4
	s_cbranch_execz .LBB298_1456
; %bb.1449:                             ;   in Loop: Header=BB298_1052 Depth=1
	v_cmp_ne_u16_sdwa s4, v11, v51 src0_sel:BYTE_0 src1_sel:DWORD
	v_mov_b32_e32 v18, 0x8000
	s_and_saveexec_b32 s18, s4
	s_cbranch_execz .LBB298_1455
; %bb.1450:                             ;   in Loop: Header=BB298_1052 Depth=1
	v_and_b32_e32 v19, 0x7f, v11
	v_mov_b32_e32 v18, 0x7c01
	s_mov_b32 s19, exec_lo
	v_cmpx_ne_u32_e32 0x7f, v19
	s_cbranch_execz .LBB298_1454
; %bb.1451:                             ;   in Loop: Header=BB298_1052 Depth=1
	v_and_b32_e32 v2, 7, v11
	v_lshrrev_b32_e32 v3, 3, v19
	s_mov_b32 s20, exec_lo
	v_cmpx_gt_u32_e32 8, v19
; %bb.1452:                             ;   in Loop: Header=BB298_1052 Depth=1
	v_ffbh_u32_e32 v2, v2
	v_min_u32_e32 v18, 32, v2
	v_subrev_nc_u32_e32 v2, 28, v18
	v_lshlrev_b64 v[2:3], v2, v[11:12]
	v_sub_nc_u32_e32 v3, 29, v18
	v_and_b32_e32 v2, 7, v2
; %bb.1453:                             ;   in Loop: Header=BB298_1052 Depth=1
	s_or_b32 exec_lo, exec_lo, s20
	v_lshlrev_b32_e32 v18, 8, v11
	v_lshl_add_u32 v3, v3, 10, 0x2000
	v_lshlrev_b32_e32 v2, 7, v2
	v_and_b32_e32 v18, 0x8000, v18
	v_and_b32_e32 v3, 0xfc00, v3
	v_or3_b32 v18, v18, v3, v2
.LBB298_1454:                           ;   in Loop: Header=BB298_1052 Depth=1
	s_or_b32 exec_lo, exec_lo, s19
.LBB298_1455:                           ;   in Loop: Header=BB298_1052 Depth=1
	s_or_b32 exec_lo, exec_lo, s18
.LBB298_1456:                           ;   in Loop: Header=BB298_1052 Depth=1
	s_or_b32 exec_lo, exec_lo, s15
	v_lshrrev_b16 v3, 8, v11
	s_mov_b32 s15, exec_lo
	v_cmpx_ne_u16_e32 0, v3
	s_cbranch_execz .LBB298_1464
; %bb.1457:                             ;   in Loop: Header=BB298_1052 Depth=1
	v_bfrev_b32_e32 v1, 1
	s_mov_b32 s18, exec_lo
	v_cmpx_ne_u16_e32 0x80, v3
	s_cbranch_execz .LBB298_1463
; %bb.1458:                             ;   in Loop: Header=BB298_1052 Depth=1
	v_and_b32_sdwa v19, v3, v52 dst_sel:DWORD dst_unused:UNUSED_PAD src0_sel:WORD_0 src1_sel:DWORD
	v_mov_b32_e32 v1, 0x7c010000
	s_mov_b32 s19, exec_lo
	v_cmpx_ne_u32_e32 0x7f, v19
	s_cbranch_execz .LBB298_1462
; %bb.1459:                             ;   in Loop: Header=BB298_1052 Depth=1
	v_and_b32_sdwa v1, v3, v53 dst_sel:DWORD dst_unused:UNUSED_PAD src0_sel:WORD_0 src1_sel:DWORD
	v_lshrrev_b32_e32 v2, 3, v19
	s_mov_b32 s20, exec_lo
	v_cmpx_gt_u32_e32 8, v19
; %bb.1460:                             ;   in Loop: Header=BB298_1052 Depth=1
	v_ffbh_u32_e32 v1, v1
	v_min_u32_e32 v19, 32, v1
	v_subrev_nc_u32_e32 v1, 28, v19
	v_lshlrev_b64 v[1:2], v1, v[3:4]
	v_sub_nc_u32_e32 v2, 29, v19
	v_and_b32_e32 v1, 7, v1
; %bb.1461:                             ;   in Loop: Header=BB298_1052 Depth=1
	s_or_b32 exec_lo, exec_lo, s20
	v_lshlrev_b32_sdwa v3, v54, v3 dst_sel:DWORD dst_unused:UNUSED_PAD src0_sel:DWORD src1_sel:WORD_0
	v_lshl_add_u32 v2, v2, 10, 0x2000
	v_lshlrev_b32_e32 v1, 23, v1
	v_and_or_b32 v2, 0x8000, v3, v2
	v_lshl_or_b32 v1, v2, 16, v1
.LBB298_1462:                           ;   in Loop: Header=BB298_1052 Depth=1
	s_or_b32 exec_lo, exec_lo, s19
.LBB298_1463:                           ;   in Loop: Header=BB298_1052 Depth=1
	s_or_b32 exec_lo, exec_lo, s18
.LBB298_1464:                           ;   in Loop: Header=BB298_1052 Depth=1
	s_or_b32 exec_lo, exec_lo, s15
	v_lshrrev_b32_e32 v2, 16, v11
	v_mov_b32_e32 v19, 0
	v_mov_b32_e32 v26, 0
	v_cmp_ne_u16_sdwa s4, v2, v4 src0_sel:BYTE_0 src1_sel:DWORD
	s_and_saveexec_b32 s15, s4
	s_cbranch_execz .LBB298_1472
; %bb.1465:                             ;   in Loop: Header=BB298_1052 Depth=1
	v_cmp_ne_u16_sdwa s4, v2, v51 src0_sel:BYTE_0 src1_sel:DWORD
	v_mov_b32_e32 v26, 0x8000
	s_and_saveexec_b32 s18, s4
	s_cbranch_execz .LBB298_1471
; %bb.1466:                             ;   in Loop: Header=BB298_1052 Depth=1
	v_bfe_u32 v27, v11, 16, 7
	v_mov_b32_e32 v26, 0x7c01
	s_mov_b32 s19, exec_lo
	v_cmpx_ne_u32_e32 0x7f, v27
	s_cbranch_execz .LBB298_1470
; %bb.1467:                             ;   in Loop: Header=BB298_1052 Depth=1
	v_and_b32_e32 v3, 7, v2
	v_lshrrev_b32_e32 v26, 3, v27
	s_mov_b32 s20, exec_lo
	v_cmpx_gt_u32_e32 8, v27
; %bb.1468:                             ;   in Loop: Header=BB298_1052 Depth=1
	v_ffbh_u32_e32 v3, v3
	v_min_u32_e32 v3, 32, v3
	v_subrev_nc_u32_e32 v26, 28, v3
	v_lshlrev_b64 v[112:113], v26, v[2:3]
	v_sub_nc_u32_e32 v26, 29, v3
	v_and_b32_e32 v3, 7, v112
; %bb.1469:                             ;   in Loop: Header=BB298_1052 Depth=1
	s_or_b32 exec_lo, exec_lo, s20
	v_lshlrev_b32_e32 v2, 8, v2
	v_lshl_add_u32 v26, v26, 10, 0x2000
	v_lshlrev_b32_e32 v3, 7, v3
	v_and_b32_e32 v2, 0x8000, v2
	v_and_b32_e32 v26, 0xfc00, v26
	v_or3_b32 v26, v2, v26, v3
.LBB298_1470:                           ;   in Loop: Header=BB298_1052 Depth=1
	s_or_b32 exec_lo, exec_lo, s19
.LBB298_1471:                           ;   in Loop: Header=BB298_1052 Depth=1
	s_or_b32 exec_lo, exec_lo, s18
.LBB298_1472:                           ;   in Loop: Header=BB298_1052 Depth=1
	s_or_b32 exec_lo, exec_lo, s15
	s_mov_b32 s15, exec_lo
	v_cmpx_lt_u32_e32 0xffffff, v11
	s_cbranch_execz .LBB298_1480
; %bb.1473:                             ;   in Loop: Header=BB298_1052 Depth=1
	v_lshrrev_b32_e32 v3, 24, v11
	v_bfrev_b32_e32 v19, 1
	s_mov_b32 s18, exec_lo
	v_cmpx_ne_u32_e32 0x80, v3
	s_cbranch_execz .LBB298_1479
; %bb.1474:                             ;   in Loop: Header=BB298_1052 Depth=1
	v_and_b32_e32 v27, 0x7f, v3
	v_mov_b32_e32 v19, 0x7c010000
	s_mov_b32 s19, exec_lo
	v_cmpx_ne_u32_e32 0x7f, v27
	s_cbranch_execz .LBB298_1478
; %bb.1475:                             ;   in Loop: Header=BB298_1052 Depth=1
	v_and_b32_e32 v2, 7, v3
	v_lshrrev_b32_e32 v19, 3, v27
	s_mov_b32 s20, exec_lo
	v_cmpx_gt_u32_e32 8, v27
; %bb.1476:                             ;   in Loop: Header=BB298_1052 Depth=1
	v_ffbh_u32_e32 v2, v2
	v_min_u32_e32 v2, 32, v2
	v_subrev_nc_u32_e32 v19, 28, v2
	v_lshlrev_b64 v[112:113], v19, v[3:4]
	v_sub_nc_u32_e32 v19, 29, v2
	v_and_b32_e32 v2, 7, v112
; %bb.1477:                             ;   in Loop: Header=BB298_1052 Depth=1
	s_or_b32 exec_lo, exec_lo, s20
	v_lshlrev_b32_e32 v3, 8, v3
	v_lshl_add_u32 v19, v19, 10, 0x2000
	v_lshlrev_b32_e32 v2, 23, v2
	v_and_or_b32 v3, 0x8000, v3, v19
	v_lshl_or_b32 v19, v3, 16, v2
.LBB298_1478:                           ;   in Loop: Header=BB298_1052 Depth=1
	s_or_b32 exec_lo, exec_lo, s19
.LBB298_1479:                           ;   in Loop: Header=BB298_1052 Depth=1
	s_or_b32 exec_lo, exec_lo, s18
.LBB298_1480:                           ;   in Loop: Header=BB298_1052 Depth=1
	s_or_b32 exec_lo, exec_lo, s15
	v_mov_b32_e32 v3, v12
	v_cmp_ne_u16_sdwa s4, v12, v4 src0_sel:BYTE_0 src1_sel:DWORD
	v_mov_b32_e32 v27, 0
	v_mov_b32_e32 v29, 0
	s_and_saveexec_b32 s15, s4
	s_cbranch_execz .LBB298_1488
; %bb.1481:                             ;   in Loop: Header=BB298_1052 Depth=1
	v_cmp_ne_u16_sdwa s4, v12, v51 src0_sel:BYTE_0 src1_sel:DWORD
	v_mov_b32_e32 v29, 0x8000
	s_and_saveexec_b32 s18, s4
	s_cbranch_execz .LBB298_1487
; %bb.1482:                             ;   in Loop: Header=BB298_1052 Depth=1
	v_and_b32_e32 v103, 0x7f, v12
	v_mov_b32_e32 v29, 0x7c01
	s_mov_b32 s19, exec_lo
	v_cmpx_ne_u32_e32 0x7f, v103
	s_cbranch_execz .LBB298_1486
; %bb.1483:                             ;   in Loop: Header=BB298_1052 Depth=1
	v_and_b32_e32 v2, 7, v12
	v_lshrrev_b32_e32 v29, 3, v103
	s_mov_b32 s20, exec_lo
	v_cmpx_gt_u32_e32 8, v103
; %bb.1484:                             ;   in Loop: Header=BB298_1052 Depth=1
	v_ffbh_u32_e32 v2, v2
	v_min_u32_e32 v2, 32, v2
	v_subrev_nc_u32_e32 v29, 28, v2
	v_lshlrev_b64 v[112:113], v29, v[3:4]
	v_sub_nc_u32_e32 v29, 29, v2
	v_and_b32_e32 v2, 7, v112
; %bb.1485:                             ;   in Loop: Header=BB298_1052 Depth=1
	s_or_b32 exec_lo, exec_lo, s20
	v_lshlrev_b32_e32 v103, 8, v12
	v_lshl_add_u32 v29, v29, 10, 0x2000
	v_lshlrev_b32_e32 v2, 7, v2
	v_and_b32_e32 v103, 0x8000, v103
	v_and_b32_e32 v29, 0xfc00, v29
	v_or3_b32 v29, v103, v29, v2
.LBB298_1486:                           ;   in Loop: Header=BB298_1052 Depth=1
	s_or_b32 exec_lo, exec_lo, s19
.LBB298_1487:                           ;   in Loop: Header=BB298_1052 Depth=1
	s_or_b32 exec_lo, exec_lo, s18
.LBB298_1488:                           ;   in Loop: Header=BB298_1052 Depth=1
	s_or_b32 exec_lo, exec_lo, s15
	v_lshrrev_b16 v3, 8, v3
	v_mov_b32_e32 v103, 0
	s_mov_b32 s15, exec_lo
	v_cmpx_ne_u16_e32 0, v3
	s_cbranch_execz .LBB298_1496
; %bb.1489:                             ;   in Loop: Header=BB298_1052 Depth=1
	v_bfrev_b32_e32 v103, 1
	s_mov_b32 s18, exec_lo
	v_cmpx_ne_u16_e32 0x80, v3
	s_cbranch_execz .LBB298_1495
; %bb.1490:                             ;   in Loop: Header=BB298_1052 Depth=1
	v_and_b32_sdwa v112, v3, v52 dst_sel:DWORD dst_unused:UNUSED_PAD src0_sel:WORD_0 src1_sel:DWORD
	v_mov_b32_e32 v103, 0x7c010000
	s_mov_b32 s19, exec_lo
	v_cmpx_ne_u32_e32 0x7f, v112
	s_cbranch_execz .LBB298_1494
; %bb.1491:                             ;   in Loop: Header=BB298_1052 Depth=1
	v_and_b32_sdwa v2, v3, v53 dst_sel:DWORD dst_unused:UNUSED_PAD src0_sel:WORD_0 src1_sel:DWORD
	v_lshrrev_b32_e32 v103, 3, v112
	s_mov_b32 s20, exec_lo
	v_cmpx_gt_u32_e32 8, v112
; %bb.1492:                             ;   in Loop: Header=BB298_1052 Depth=1
	v_ffbh_u32_e32 v2, v2
	v_min_u32_e32 v2, 32, v2
	v_subrev_nc_u32_e32 v103, 28, v2
	v_lshlrev_b64 v[112:113], v103, v[3:4]
	v_sub_nc_u32_e32 v103, 29, v2
	v_and_b32_e32 v2, 7, v112
; %bb.1493:                             ;   in Loop: Header=BB298_1052 Depth=1
	s_or_b32 exec_lo, exec_lo, s20
	v_lshlrev_b32_sdwa v3, v54, v3 dst_sel:DWORD dst_unused:UNUSED_PAD src0_sel:DWORD src1_sel:WORD_0
	v_lshl_add_u32 v103, v103, 10, 0x2000
	v_lshlrev_b32_e32 v2, 23, v2
	v_and_or_b32 v3, 0x8000, v3, v103
	v_lshl_or_b32 v103, v3, 16, v2
.LBB298_1494:                           ;   in Loop: Header=BB298_1052 Depth=1
	s_or_b32 exec_lo, exec_lo, s19
.LBB298_1495:                           ;   in Loop: Header=BB298_1052 Depth=1
	s_or_b32 exec_lo, exec_lo, s18
.LBB298_1496:                           ;   in Loop: Header=BB298_1052 Depth=1
	s_or_b32 exec_lo, exec_lo, s15
	v_lshrrev_b32_e32 v2, 16, v12
	v_cmp_ne_u16_sdwa s4, v2, v4 src0_sel:BYTE_0 src1_sel:DWORD
	s_and_saveexec_b32 s15, s4
	s_cbranch_execz .LBB298_1504
; %bb.1497:                             ;   in Loop: Header=BB298_1052 Depth=1
	v_cmp_ne_u16_sdwa s4, v2, v51 src0_sel:BYTE_0 src1_sel:DWORD
	v_mov_b32_e32 v27, 0x8000
	s_and_saveexec_b32 s18, s4
	s_cbranch_execz .LBB298_1503
; %bb.1498:                             ;   in Loop: Header=BB298_1052 Depth=1
	v_bfe_u32 v112, v12, 16, 7
	v_mov_b32_e32 v27, 0x7c01
	s_mov_b32 s19, exec_lo
	v_cmpx_ne_u32_e32 0x7f, v112
	s_cbranch_execz .LBB298_1502
; %bb.1499:                             ;   in Loop: Header=BB298_1052 Depth=1
	v_and_b32_e32 v3, 7, v2
	v_lshrrev_b32_e32 v27, 3, v112
	s_mov_b32 s20, exec_lo
	v_cmpx_gt_u32_e32 8, v112
; %bb.1500:                             ;   in Loop: Header=BB298_1052 Depth=1
	v_ffbh_u32_e32 v3, v3
	v_min_u32_e32 v3, 32, v3
	v_subrev_nc_u32_e32 v27, 28, v3
	v_lshlrev_b64 v[112:113], v27, v[2:3]
	v_sub_nc_u32_e32 v27, 29, v3
	v_and_b32_e32 v3, 7, v112
; %bb.1501:                             ;   in Loop: Header=BB298_1052 Depth=1
	s_or_b32 exec_lo, exec_lo, s20
	v_lshlrev_b32_e32 v2, 8, v2
	v_lshl_add_u32 v27, v27, 10, 0x2000
	v_lshlrev_b32_e32 v3, 7, v3
	v_and_b32_e32 v2, 0x8000, v2
	v_and_b32_e32 v27, 0xfc00, v27
	v_or3_b32 v27, v2, v27, v3
.LBB298_1502:                           ;   in Loop: Header=BB298_1052 Depth=1
	s_or_b32 exec_lo, exec_lo, s19
.LBB298_1503:                           ;   in Loop: Header=BB298_1052 Depth=1
	s_or_b32 exec_lo, exec_lo, s18
.LBB298_1504:                           ;   in Loop: Header=BB298_1052 Depth=1
	s_or_b32 exec_lo, exec_lo, s15
	v_mov_b32_e32 v2, 0
	s_mov_b32 s15, exec_lo
	v_cmpx_lt_u64_e64 s[6:7], v[11:12]
	s_cbranch_execz .LBB298_1512
; %bb.1505:                             ;   in Loop: Header=BB298_1052 Depth=1
	v_lshrrev_b32_e32 v3, 24, v12
	v_bfrev_b32_e32 v2, 1
	s_mov_b32 s18, exec_lo
	v_cmpx_ne_u32_e32 0x80, v3
	s_cbranch_execz .LBB298_1511
; %bb.1506:                             ;   in Loop: Header=BB298_1052 Depth=1
	v_and_b32_e32 v12, 0x7f, v3
	v_mov_b32_e32 v2, 0x7c010000
	s_mov_b32 s19, exec_lo
	v_cmpx_ne_u32_e32 0x7f, v12
	s_cbranch_execz .LBB298_1510
; %bb.1507:                             ;   in Loop: Header=BB298_1052 Depth=1
	v_and_b32_e32 v2, 7, v3
	v_lshrrev_b32_e32 v11, 3, v12
	s_mov_b32 s20, exec_lo
	v_cmpx_gt_u32_e32 8, v12
; %bb.1508:                             ;   in Loop: Header=BB298_1052 Depth=1
	v_ffbh_u32_e32 v2, v2
	v_min_u32_e32 v2, 32, v2
	v_subrev_nc_u32_e32 v11, 28, v2
	v_lshlrev_b64 v[112:113], v11, v[3:4]
	v_sub_nc_u32_e32 v11, 29, v2
	v_and_b32_e32 v2, 7, v112
; %bb.1509:                             ;   in Loop: Header=BB298_1052 Depth=1
	s_or_b32 exec_lo, exec_lo, s20
	v_lshlrev_b32_e32 v3, 8, v3
	v_lshl_add_u32 v11, v11, 10, 0x2000
	v_lshlrev_b32_e32 v2, 23, v2
	v_and_or_b32 v3, 0x8000, v3, v11
	v_lshl_or_b32 v2, v3, 16, v2
.LBB298_1510:                           ;   in Loop: Header=BB298_1052 Depth=1
	s_or_b32 exec_lo, exec_lo, s19
.LBB298_1511:                           ;   in Loop: Header=BB298_1052 Depth=1
	s_or_b32 exec_lo, exec_lo, s18
.LBB298_1512:                           ;   in Loop: Header=BB298_1052 Depth=1
	s_or_b32 exec_lo, exec_lo, s15
	v_or_b32_e32 v3, v19, v26
	s_waitcnt vmcnt(0) lgkmcnt(0)
	v_fma_mixlo_f16 v11, v0, v19, 0 op_sel:[0,1,0] op_sel_hi:[0,1,0]
	v_or_b32_e32 v18, v1, v18
	v_or_b32_e32 v19, v103, v29
	;; [unrolled: 1-line block ×3, first 2 shown]
	v_fma_mixlo_f16 v12, v0, v1, 0 op_sel:[0,1,0] op_sel_hi:[0,1,0]
	v_fma_mixlo_f16 v3, v0, v3, 0 op_sel_hi:[0,1,0]
	v_lshlrev_b32_e32 v1, 16, v11
	v_fma_mixlo_f16 v11, v0, v18, 0 op_sel_hi:[0,1,0]
	v_fma_mixlo_f16 v18, v0, v103, 0 op_sel:[0,1,0] op_sel_hi:[0,1,0]
	v_fma_mixlo_f16 v19, v0, v19, 0 op_sel_hi:[0,1,0]
	v_fma_mixlo_f16 v27, v0, v2, 0 op_sel:[0,1,0] op_sel_hi:[0,1,0]
	v_fma_mixlo_f16 v26, v0, v26, 0 op_sel_hi:[0,1,0]
	v_lshlrev_b32_e32 v12, 16, v12
	v_and_b32_e32 v3, 0xffff, v3
	v_and_b32_e32 v103, 0xffff, v11
	v_lshlrev_b32_e32 v2, 16, v18
	v_and_b32_e32 v19, 0xffff, v19
	v_lshlrev_b32_e32 v0, 16, v27
	v_and_b32_e32 v11, 0xffff, v26
	v_or_b32_e32 v18, v1, v3
	v_or_b32_e32 v29, v12, v103
	;; [unrolled: 1-line block ×4, first 2 shown]
	s_and_saveexec_b32 s15, vcc_lo
	s_cbranch_execz .LBB298_1514
; %bb.1513:                             ;   in Loop: Header=BB298_1052 Depth=1
	v_cmp_lt_i32_e64 s4, v64, v28
	v_cndmask_b32_e64 v18, 0, v103, s4
	v_cmp_lt_i32_e64 s4, v84, v28
	v_cndmask_b32_e64 v12, 0, v12, s4
	v_cmp_lt_i32_e64 s4, v83, v28
	v_or_b32_e32 v29, v18, v12
	v_cndmask_b32_e64 v3, 0, v3, s4
	v_cmp_lt_i32_e64 s4, v82, v28
	v_cndmask_b32_e64 v1, 0, v1, s4
	v_cmp_lt_i32_e64 s4, v81, v28
	v_or_b32_e32 v18, v3, v1
	;; [unrolled: 5-line block ×3, first 2 shown]
	v_cndmask_b32_e64 v11, 0, v11, s4
	v_cmp_lt_i32_e64 s4, v31, v28
	v_cndmask_b32_e64 v0, 0, v0, s4
	v_or_b32_e32 v26, v11, v0
.LBB298_1514:                           ;   in Loop: Header=BB298_1052 Depth=1
	s_or_b32 exec_lo, exec_lo, s15
	;;#ASMSTART
	v_pk_mul_f16 v0, v69, v29;

	;;#ASMEND
	;;#ASMSTART
	v_pk_mul_f16 v1, v67, v18;

	;;#ASMEND
	;; [unrolled: 4-line block ×4, first 2 shown]
	;;#ASMSTART
	v_pk_add_f16 v0, v0, v1;

	;;#ASMEND
	;;#ASMSTART
	v_pk_add_f16 v0, v0, v2;

	;;#ASMEND
	;;#ASMSTART
	v_pk_add_f16 v0, v0, v3;

	;;#ASMEND
	v_and_b32_e32 v1, 0xffff, v0
	v_lshrrev_b32_e32 v0, 16, v0
	;;#ASMSTART
	v_cvt_f32_f16 v103, v1;
	;;#ASMEND
	;;#ASMSTART
	v_cvt_f32_f16 v112, v0;
	;;#ASMEND
	flat_load_dwordx2 v[11:12], v[9:10] offset:1792
	flat_load_dword v0, v[22:23]
	v_mov_b32_e32 v1, 0
	v_mov_b32_e32 v18, 0
	s_waitcnt vmcnt(1) lgkmcnt(1)
	v_cmp_ne_u16_sdwa s4, v11, v4 src0_sel:BYTE_0 src1_sel:DWORD
	s_and_saveexec_b32 s15, s4
	s_cbranch_execz .LBB298_1522
; %bb.1515:                             ;   in Loop: Header=BB298_1052 Depth=1
	v_cmp_ne_u16_sdwa s4, v11, v51 src0_sel:BYTE_0 src1_sel:DWORD
	v_mov_b32_e32 v18, 0x8000
	s_and_saveexec_b32 s18, s4
	s_cbranch_execz .LBB298_1521
; %bb.1516:                             ;   in Loop: Header=BB298_1052 Depth=1
	v_and_b32_e32 v19, 0x7f, v11
	v_mov_b32_e32 v18, 0x7c01
	s_mov_b32 s19, exec_lo
	v_cmpx_ne_u32_e32 0x7f, v19
	s_cbranch_execz .LBB298_1520
; %bb.1517:                             ;   in Loop: Header=BB298_1052 Depth=1
	v_and_b32_e32 v2, 7, v11
	v_lshrrev_b32_e32 v3, 3, v19
	s_mov_b32 s20, exec_lo
	v_cmpx_gt_u32_e32 8, v19
; %bb.1518:                             ;   in Loop: Header=BB298_1052 Depth=1
	v_ffbh_u32_e32 v2, v2
	v_min_u32_e32 v18, 32, v2
	v_subrev_nc_u32_e32 v2, 28, v18
	v_lshlrev_b64 v[2:3], v2, v[11:12]
	v_sub_nc_u32_e32 v3, 29, v18
	v_and_b32_e32 v2, 7, v2
; %bb.1519:                             ;   in Loop: Header=BB298_1052 Depth=1
	s_or_b32 exec_lo, exec_lo, s20
	v_lshlrev_b32_e32 v18, 8, v11
	v_lshl_add_u32 v3, v3, 10, 0x2000
	v_lshlrev_b32_e32 v2, 7, v2
	v_and_b32_e32 v18, 0x8000, v18
	v_and_b32_e32 v3, 0xfc00, v3
	v_or3_b32 v18, v18, v3, v2
.LBB298_1520:                           ;   in Loop: Header=BB298_1052 Depth=1
	s_or_b32 exec_lo, exec_lo, s19
.LBB298_1521:                           ;   in Loop: Header=BB298_1052 Depth=1
	s_or_b32 exec_lo, exec_lo, s18
.LBB298_1522:                           ;   in Loop: Header=BB298_1052 Depth=1
	s_or_b32 exec_lo, exec_lo, s15
	v_lshrrev_b16 v3, 8, v11
	s_mov_b32 s15, exec_lo
	v_cmpx_ne_u16_e32 0, v3
	s_cbranch_execz .LBB298_1530
; %bb.1523:                             ;   in Loop: Header=BB298_1052 Depth=1
	v_bfrev_b32_e32 v1, 1
	s_mov_b32 s18, exec_lo
	v_cmpx_ne_u16_e32 0x80, v3
	s_cbranch_execz .LBB298_1529
; %bb.1524:                             ;   in Loop: Header=BB298_1052 Depth=1
	v_and_b32_sdwa v19, v3, v52 dst_sel:DWORD dst_unused:UNUSED_PAD src0_sel:WORD_0 src1_sel:DWORD
	v_mov_b32_e32 v1, 0x7c010000
	s_mov_b32 s19, exec_lo
	v_cmpx_ne_u32_e32 0x7f, v19
	s_cbranch_execz .LBB298_1528
; %bb.1525:                             ;   in Loop: Header=BB298_1052 Depth=1
	v_and_b32_sdwa v1, v3, v53 dst_sel:DWORD dst_unused:UNUSED_PAD src0_sel:WORD_0 src1_sel:DWORD
	v_lshrrev_b32_e32 v2, 3, v19
	s_mov_b32 s20, exec_lo
	v_cmpx_gt_u32_e32 8, v19
; %bb.1526:                             ;   in Loop: Header=BB298_1052 Depth=1
	v_ffbh_u32_e32 v1, v1
	v_min_u32_e32 v19, 32, v1
	v_subrev_nc_u32_e32 v1, 28, v19
	v_lshlrev_b64 v[1:2], v1, v[3:4]
	v_sub_nc_u32_e32 v2, 29, v19
	v_and_b32_e32 v1, 7, v1
; %bb.1527:                             ;   in Loop: Header=BB298_1052 Depth=1
	s_or_b32 exec_lo, exec_lo, s20
	v_lshlrev_b32_sdwa v3, v54, v3 dst_sel:DWORD dst_unused:UNUSED_PAD src0_sel:DWORD src1_sel:WORD_0
	v_lshl_add_u32 v2, v2, 10, 0x2000
	v_lshlrev_b32_e32 v1, 23, v1
	v_and_or_b32 v2, 0x8000, v3, v2
	v_lshl_or_b32 v1, v2, 16, v1
.LBB298_1528:                           ;   in Loop: Header=BB298_1052 Depth=1
	s_or_b32 exec_lo, exec_lo, s19
.LBB298_1529:                           ;   in Loop: Header=BB298_1052 Depth=1
	s_or_b32 exec_lo, exec_lo, s18
.LBB298_1530:                           ;   in Loop: Header=BB298_1052 Depth=1
	s_or_b32 exec_lo, exec_lo, s15
	v_lshrrev_b32_e32 v2, 16, v11
	v_mov_b32_e32 v19, 0
	v_mov_b32_e32 v26, 0
	v_cmp_ne_u16_sdwa s4, v2, v4 src0_sel:BYTE_0 src1_sel:DWORD
	s_and_saveexec_b32 s15, s4
	s_cbranch_execz .LBB298_1538
; %bb.1531:                             ;   in Loop: Header=BB298_1052 Depth=1
	v_cmp_ne_u16_sdwa s4, v2, v51 src0_sel:BYTE_0 src1_sel:DWORD
	v_mov_b32_e32 v26, 0x8000
	s_and_saveexec_b32 s18, s4
	s_cbranch_execz .LBB298_1537
; %bb.1532:                             ;   in Loop: Header=BB298_1052 Depth=1
	v_bfe_u32 v27, v11, 16, 7
	v_mov_b32_e32 v26, 0x7c01
	s_mov_b32 s19, exec_lo
	v_cmpx_ne_u32_e32 0x7f, v27
	s_cbranch_execz .LBB298_1536
; %bb.1533:                             ;   in Loop: Header=BB298_1052 Depth=1
	v_and_b32_e32 v3, 7, v2
	v_lshrrev_b32_e32 v26, 3, v27
	s_mov_b32 s20, exec_lo
	v_cmpx_gt_u32_e32 8, v27
; %bb.1534:                             ;   in Loop: Header=BB298_1052 Depth=1
	v_ffbh_u32_e32 v3, v3
	v_min_u32_e32 v3, 32, v3
	v_subrev_nc_u32_e32 v26, 28, v3
	v_lshlrev_b64 v[113:114], v26, v[2:3]
	v_sub_nc_u32_e32 v26, 29, v3
	v_and_b32_e32 v3, 7, v113
; %bb.1535:                             ;   in Loop: Header=BB298_1052 Depth=1
	s_or_b32 exec_lo, exec_lo, s20
	v_lshlrev_b32_e32 v2, 8, v2
	v_lshl_add_u32 v26, v26, 10, 0x2000
	v_lshlrev_b32_e32 v3, 7, v3
	v_and_b32_e32 v2, 0x8000, v2
	v_and_b32_e32 v26, 0xfc00, v26
	v_or3_b32 v26, v2, v26, v3
.LBB298_1536:                           ;   in Loop: Header=BB298_1052 Depth=1
	s_or_b32 exec_lo, exec_lo, s19
.LBB298_1537:                           ;   in Loop: Header=BB298_1052 Depth=1
	s_or_b32 exec_lo, exec_lo, s18
.LBB298_1538:                           ;   in Loop: Header=BB298_1052 Depth=1
	s_or_b32 exec_lo, exec_lo, s15
	s_mov_b32 s15, exec_lo
	v_cmpx_lt_u32_e32 0xffffff, v11
	s_cbranch_execz .LBB298_1546
; %bb.1539:                             ;   in Loop: Header=BB298_1052 Depth=1
	v_lshrrev_b32_e32 v3, 24, v11
	v_bfrev_b32_e32 v19, 1
	s_mov_b32 s18, exec_lo
	v_cmpx_ne_u32_e32 0x80, v3
	s_cbranch_execz .LBB298_1545
; %bb.1540:                             ;   in Loop: Header=BB298_1052 Depth=1
	v_and_b32_e32 v27, 0x7f, v3
	v_mov_b32_e32 v19, 0x7c010000
	s_mov_b32 s19, exec_lo
	v_cmpx_ne_u32_e32 0x7f, v27
	s_cbranch_execz .LBB298_1544
; %bb.1541:                             ;   in Loop: Header=BB298_1052 Depth=1
	v_and_b32_e32 v2, 7, v3
	v_lshrrev_b32_e32 v19, 3, v27
	s_mov_b32 s20, exec_lo
	v_cmpx_gt_u32_e32 8, v27
; %bb.1542:                             ;   in Loop: Header=BB298_1052 Depth=1
	v_ffbh_u32_e32 v2, v2
	v_min_u32_e32 v2, 32, v2
	v_subrev_nc_u32_e32 v19, 28, v2
	v_lshlrev_b64 v[113:114], v19, v[3:4]
	v_sub_nc_u32_e32 v19, 29, v2
	v_and_b32_e32 v2, 7, v113
; %bb.1543:                             ;   in Loop: Header=BB298_1052 Depth=1
	s_or_b32 exec_lo, exec_lo, s20
	v_lshlrev_b32_e32 v3, 8, v3
	v_lshl_add_u32 v19, v19, 10, 0x2000
	v_lshlrev_b32_e32 v2, 23, v2
	v_and_or_b32 v3, 0x8000, v3, v19
	v_lshl_or_b32 v19, v3, 16, v2
.LBB298_1544:                           ;   in Loop: Header=BB298_1052 Depth=1
	s_or_b32 exec_lo, exec_lo, s19
.LBB298_1545:                           ;   in Loop: Header=BB298_1052 Depth=1
	s_or_b32 exec_lo, exec_lo, s18
.LBB298_1546:                           ;   in Loop: Header=BB298_1052 Depth=1
	s_or_b32 exec_lo, exec_lo, s15
	v_mov_b32_e32 v3, v12
	v_cmp_ne_u16_sdwa s4, v12, v4 src0_sel:BYTE_0 src1_sel:DWORD
	v_mov_b32_e32 v27, 0
	v_mov_b32_e32 v29, 0
	s_and_saveexec_b32 s15, s4
	s_cbranch_execz .LBB298_1554
; %bb.1547:                             ;   in Loop: Header=BB298_1052 Depth=1
	v_cmp_ne_u16_sdwa s4, v12, v51 src0_sel:BYTE_0 src1_sel:DWORD
	v_mov_b32_e32 v29, 0x8000
	s_and_saveexec_b32 s18, s4
	s_cbranch_execz .LBB298_1553
; %bb.1548:                             ;   in Loop: Header=BB298_1052 Depth=1
	v_and_b32_e32 v113, 0x7f, v12
	v_mov_b32_e32 v29, 0x7c01
	s_mov_b32 s19, exec_lo
	v_cmpx_ne_u32_e32 0x7f, v113
	s_cbranch_execz .LBB298_1552
; %bb.1549:                             ;   in Loop: Header=BB298_1052 Depth=1
	v_and_b32_e32 v2, 7, v12
	v_lshrrev_b32_e32 v29, 3, v113
	s_mov_b32 s20, exec_lo
	v_cmpx_gt_u32_e32 8, v113
; %bb.1550:                             ;   in Loop: Header=BB298_1052 Depth=1
	v_ffbh_u32_e32 v2, v2
	v_min_u32_e32 v2, 32, v2
	v_subrev_nc_u32_e32 v29, 28, v2
	v_lshlrev_b64 v[113:114], v29, v[3:4]
	v_sub_nc_u32_e32 v29, 29, v2
	v_and_b32_e32 v2, 7, v113
; %bb.1551:                             ;   in Loop: Header=BB298_1052 Depth=1
	s_or_b32 exec_lo, exec_lo, s20
	v_lshlrev_b32_e32 v113, 8, v12
	v_lshl_add_u32 v29, v29, 10, 0x2000
	v_lshlrev_b32_e32 v2, 7, v2
	v_and_b32_e32 v113, 0x8000, v113
	v_and_b32_e32 v29, 0xfc00, v29
	v_or3_b32 v29, v113, v29, v2
.LBB298_1552:                           ;   in Loop: Header=BB298_1052 Depth=1
	s_or_b32 exec_lo, exec_lo, s19
.LBB298_1553:                           ;   in Loop: Header=BB298_1052 Depth=1
	s_or_b32 exec_lo, exec_lo, s18
.LBB298_1554:                           ;   in Loop: Header=BB298_1052 Depth=1
	s_or_b32 exec_lo, exec_lo, s15
	v_lshrrev_b16 v3, 8, v3
	v_mov_b32_e32 v113, 0
	s_mov_b32 s15, exec_lo
	v_cmpx_ne_u16_e32 0, v3
	s_cbranch_execz .LBB298_1562
; %bb.1555:                             ;   in Loop: Header=BB298_1052 Depth=1
	v_bfrev_b32_e32 v113, 1
	s_mov_b32 s18, exec_lo
	v_cmpx_ne_u16_e32 0x80, v3
	s_cbranch_execz .LBB298_1561
; %bb.1556:                             ;   in Loop: Header=BB298_1052 Depth=1
	v_and_b32_sdwa v114, v3, v52 dst_sel:DWORD dst_unused:UNUSED_PAD src0_sel:WORD_0 src1_sel:DWORD
	v_mov_b32_e32 v113, 0x7c010000
	s_mov_b32 s19, exec_lo
	v_cmpx_ne_u32_e32 0x7f, v114
	s_cbranch_execz .LBB298_1560
; %bb.1557:                             ;   in Loop: Header=BB298_1052 Depth=1
	v_and_b32_sdwa v2, v3, v53 dst_sel:DWORD dst_unused:UNUSED_PAD src0_sel:WORD_0 src1_sel:DWORD
	v_lshrrev_b32_e32 v113, 3, v114
	s_mov_b32 s20, exec_lo
	v_cmpx_gt_u32_e32 8, v114
; %bb.1558:                             ;   in Loop: Header=BB298_1052 Depth=1
	v_ffbh_u32_e32 v2, v2
	v_min_u32_e32 v2, 32, v2
	v_subrev_nc_u32_e32 v113, 28, v2
	v_lshlrev_b64 v[114:115], v113, v[3:4]
	v_sub_nc_u32_e32 v113, 29, v2
	v_and_b32_e32 v2, 7, v114
; %bb.1559:                             ;   in Loop: Header=BB298_1052 Depth=1
	s_or_b32 exec_lo, exec_lo, s20
	v_lshlrev_b32_sdwa v3, v54, v3 dst_sel:DWORD dst_unused:UNUSED_PAD src0_sel:DWORD src1_sel:WORD_0
	v_lshl_add_u32 v113, v113, 10, 0x2000
	v_lshlrev_b32_e32 v2, 23, v2
	v_and_or_b32 v3, 0x8000, v3, v113
	v_lshl_or_b32 v113, v3, 16, v2
.LBB298_1560:                           ;   in Loop: Header=BB298_1052 Depth=1
	s_or_b32 exec_lo, exec_lo, s19
.LBB298_1561:                           ;   in Loop: Header=BB298_1052 Depth=1
	s_or_b32 exec_lo, exec_lo, s18
.LBB298_1562:                           ;   in Loop: Header=BB298_1052 Depth=1
	s_or_b32 exec_lo, exec_lo, s15
	v_lshrrev_b32_e32 v2, 16, v12
	v_cmp_ne_u16_sdwa s4, v2, v4 src0_sel:BYTE_0 src1_sel:DWORD
	s_and_saveexec_b32 s15, s4
	s_cbranch_execz .LBB298_1570
; %bb.1563:                             ;   in Loop: Header=BB298_1052 Depth=1
	v_cmp_ne_u16_sdwa s4, v2, v51 src0_sel:BYTE_0 src1_sel:DWORD
	v_mov_b32_e32 v27, 0x8000
	s_and_saveexec_b32 s18, s4
	s_cbranch_execz .LBB298_1569
; %bb.1564:                             ;   in Loop: Header=BB298_1052 Depth=1
	v_bfe_u32 v114, v12, 16, 7
	v_mov_b32_e32 v27, 0x7c01
	s_mov_b32 s19, exec_lo
	v_cmpx_ne_u32_e32 0x7f, v114
	s_cbranch_execz .LBB298_1568
; %bb.1565:                             ;   in Loop: Header=BB298_1052 Depth=1
	v_and_b32_e32 v3, 7, v2
	v_lshrrev_b32_e32 v27, 3, v114
	s_mov_b32 s20, exec_lo
	v_cmpx_gt_u32_e32 8, v114
; %bb.1566:                             ;   in Loop: Header=BB298_1052 Depth=1
	v_ffbh_u32_e32 v3, v3
	v_min_u32_e32 v3, 32, v3
	v_subrev_nc_u32_e32 v27, 28, v3
	v_lshlrev_b64 v[114:115], v27, v[2:3]
	v_sub_nc_u32_e32 v27, 29, v3
	v_and_b32_e32 v3, 7, v114
; %bb.1567:                             ;   in Loop: Header=BB298_1052 Depth=1
	s_or_b32 exec_lo, exec_lo, s20
	v_lshlrev_b32_e32 v2, 8, v2
	v_lshl_add_u32 v27, v27, 10, 0x2000
	v_lshlrev_b32_e32 v3, 7, v3
	v_and_b32_e32 v2, 0x8000, v2
	v_and_b32_e32 v27, 0xfc00, v27
	v_or3_b32 v27, v2, v27, v3
.LBB298_1568:                           ;   in Loop: Header=BB298_1052 Depth=1
	s_or_b32 exec_lo, exec_lo, s19
.LBB298_1569:                           ;   in Loop: Header=BB298_1052 Depth=1
	s_or_b32 exec_lo, exec_lo, s18
.LBB298_1570:                           ;   in Loop: Header=BB298_1052 Depth=1
	s_or_b32 exec_lo, exec_lo, s15
	v_mov_b32_e32 v2, 0
	s_mov_b32 s15, exec_lo
	v_cmpx_lt_u64_e64 s[6:7], v[11:12]
	s_cbranch_execz .LBB298_1578
; %bb.1571:                             ;   in Loop: Header=BB298_1052 Depth=1
	v_lshrrev_b32_e32 v3, 24, v12
	v_bfrev_b32_e32 v2, 1
	s_mov_b32 s18, exec_lo
	v_cmpx_ne_u32_e32 0x80, v3
	s_cbranch_execz .LBB298_1577
; %bb.1572:                             ;   in Loop: Header=BB298_1052 Depth=1
	v_and_b32_e32 v12, 0x7f, v3
	v_mov_b32_e32 v2, 0x7c010000
	s_mov_b32 s19, exec_lo
	v_cmpx_ne_u32_e32 0x7f, v12
	s_cbranch_execz .LBB298_1576
; %bb.1573:                             ;   in Loop: Header=BB298_1052 Depth=1
	v_and_b32_e32 v2, 7, v3
	v_lshrrev_b32_e32 v11, 3, v12
	s_mov_b32 s20, exec_lo
	v_cmpx_gt_u32_e32 8, v12
; %bb.1574:                             ;   in Loop: Header=BB298_1052 Depth=1
	v_ffbh_u32_e32 v2, v2
	v_min_u32_e32 v2, 32, v2
	v_subrev_nc_u32_e32 v11, 28, v2
	v_lshlrev_b64 v[114:115], v11, v[3:4]
	v_sub_nc_u32_e32 v11, 29, v2
	v_and_b32_e32 v2, 7, v114
; %bb.1575:                             ;   in Loop: Header=BB298_1052 Depth=1
	s_or_b32 exec_lo, exec_lo, s20
	v_lshlrev_b32_e32 v3, 8, v3
	v_lshl_add_u32 v11, v11, 10, 0x2000
	v_lshlrev_b32_e32 v2, 23, v2
	v_and_or_b32 v3, 0x8000, v3, v11
	v_lshl_or_b32 v2, v3, 16, v2
.LBB298_1576:                           ;   in Loop: Header=BB298_1052 Depth=1
	s_or_b32 exec_lo, exec_lo, s19
.LBB298_1577:                           ;   in Loop: Header=BB298_1052 Depth=1
	s_or_b32 exec_lo, exec_lo, s18
.LBB298_1578:                           ;   in Loop: Header=BB298_1052 Depth=1
	s_or_b32 exec_lo, exec_lo, s15
	v_or_b32_e32 v3, v19, v26
	s_waitcnt vmcnt(0) lgkmcnt(0)
	v_fma_mixlo_f16 v11, v0, v19, 0 op_sel:[0,1,0] op_sel_hi:[0,1,0]
	v_or_b32_e32 v18, v1, v18
	v_or_b32_e32 v19, v113, v29
	;; [unrolled: 1-line block ×3, first 2 shown]
	v_fma_mixlo_f16 v12, v0, v1, 0 op_sel:[0,1,0] op_sel_hi:[0,1,0]
	v_fma_mixlo_f16 v3, v0, v3, 0 op_sel_hi:[0,1,0]
	v_lshlrev_b32_e32 v1, 16, v11
	v_fma_mixlo_f16 v11, v0, v18, 0 op_sel_hi:[0,1,0]
	v_fma_mixlo_f16 v18, v0, v113, 0 op_sel:[0,1,0] op_sel_hi:[0,1,0]
	v_fma_mixlo_f16 v19, v0, v19, 0 op_sel_hi:[0,1,0]
	v_fma_mixlo_f16 v27, v0, v2, 0 op_sel:[0,1,0] op_sel_hi:[0,1,0]
	v_fma_mixlo_f16 v26, v0, v26, 0 op_sel_hi:[0,1,0]
	v_lshlrev_b32_e32 v12, 16, v12
	v_and_b32_e32 v3, 0xffff, v3
	v_and_b32_e32 v113, 0xffff, v11
	v_lshlrev_b32_e32 v2, 16, v18
	v_and_b32_e32 v19, 0xffff, v19
	v_lshlrev_b32_e32 v0, 16, v27
	v_and_b32_e32 v11, 0xffff, v26
	v_or_b32_e32 v18, v1, v3
	v_or_b32_e32 v29, v12, v113
	;; [unrolled: 1-line block ×4, first 2 shown]
	s_and_saveexec_b32 s15, vcc_lo
	s_cbranch_execz .LBB298_1580
; %bb.1579:                             ;   in Loop: Header=BB298_1052 Depth=1
	v_cmp_lt_i32_e64 s4, v64, v28
	v_cndmask_b32_e64 v18, 0, v113, s4
	v_cmp_lt_i32_e64 s4, v84, v28
	v_cndmask_b32_e64 v12, 0, v12, s4
	v_cmp_lt_i32_e64 s4, v83, v28
	v_or_b32_e32 v29, v18, v12
	v_cndmask_b32_e64 v3, 0, v3, s4
	v_cmp_lt_i32_e64 s4, v82, v28
	v_cndmask_b32_e64 v1, 0, v1, s4
	v_cmp_lt_i32_e64 s4, v81, v28
	v_or_b32_e32 v18, v3, v1
	;; [unrolled: 5-line block ×3, first 2 shown]
	v_cndmask_b32_e64 v11, 0, v11, s4
	v_cmp_lt_i32_e64 s4, v31, v28
	v_cndmask_b32_e64 v0, 0, v0, s4
	v_or_b32_e32 v26, v11, v0
.LBB298_1580:                           ;   in Loop: Header=BB298_1052 Depth=1
	s_or_b32 exec_lo, exec_lo, s15
	v_add_co_u32 v9, s4, 0x800, v9
	;;#ASMSTART
	v_pk_mul_f16 v0, v69, v29;

	;;#ASMEND
	v_add_co_ci_u32_e64 v10, null, 0, v10, s4
	;;#ASMSTART
	v_pk_mul_f16 v1, v67, v18;

	;;#ASMEND
	;;#ASMSTART
	v_pk_mul_f16 v2, v66, v27;

	;;#ASMEND
	;; [unrolled: 4-line block ×3, first 2 shown]
	;;#ASMSTART
	v_pk_add_f16 v0, v0, v1;

	;;#ASMEND
	;;#ASMSTART
	v_pk_add_f16 v0, v0, v2;

	;;#ASMEND
	;; [unrolled: 4-line block ×3, first 2 shown]
	v_lshrrev_b32_e32 v1, 16, v0
	v_and_b32_e32 v0, 0xffff, v0
	;;#ASMSTART
	v_cvt_f32_f16 v113, v0;
	;;#ASMEND
	;;#ASMSTART
	v_cvt_f32_f16 v114, v1;
	;;#ASMEND
	flat_load_dwordx2 v[11:12], v[9:10]
	flat_load_dword v0, v[22:23]
	v_mov_b32_e32 v1, 0
	v_mov_b32_e32 v18, 0
	s_waitcnt vmcnt(1) lgkmcnt(1)
	v_cmp_ne_u16_sdwa s4, v11, v4 src0_sel:BYTE_0 src1_sel:DWORD
	s_and_saveexec_b32 s15, s4
	s_cbranch_execz .LBB298_1588
; %bb.1581:                             ;   in Loop: Header=BB298_1052 Depth=1
	v_cmp_ne_u16_sdwa s4, v11, v51 src0_sel:BYTE_0 src1_sel:DWORD
	v_mov_b32_e32 v18, 0x8000
	s_and_saveexec_b32 s18, s4
	s_cbranch_execz .LBB298_1587
; %bb.1582:                             ;   in Loop: Header=BB298_1052 Depth=1
	v_and_b32_e32 v19, 0x7f, v11
	v_mov_b32_e32 v18, 0x7c01
	s_mov_b32 s19, exec_lo
	v_cmpx_ne_u32_e32 0x7f, v19
	s_cbranch_execz .LBB298_1586
; %bb.1583:                             ;   in Loop: Header=BB298_1052 Depth=1
	v_and_b32_e32 v2, 7, v11
	v_lshrrev_b32_e32 v3, 3, v19
	s_mov_b32 s20, exec_lo
	v_cmpx_gt_u32_e32 8, v19
; %bb.1584:                             ;   in Loop: Header=BB298_1052 Depth=1
	v_ffbh_u32_e32 v2, v2
	v_min_u32_e32 v18, 32, v2
	v_subrev_nc_u32_e32 v2, 28, v18
	v_lshlrev_b64 v[2:3], v2, v[11:12]
	v_sub_nc_u32_e32 v3, 29, v18
	v_and_b32_e32 v2, 7, v2
; %bb.1585:                             ;   in Loop: Header=BB298_1052 Depth=1
	s_or_b32 exec_lo, exec_lo, s20
	v_lshlrev_b32_e32 v18, 8, v11
	v_lshl_add_u32 v3, v3, 10, 0x2000
	v_lshlrev_b32_e32 v2, 7, v2
	v_and_b32_e32 v18, 0x8000, v18
	v_and_b32_e32 v3, 0xfc00, v3
	v_or3_b32 v18, v18, v3, v2
.LBB298_1586:                           ;   in Loop: Header=BB298_1052 Depth=1
	s_or_b32 exec_lo, exec_lo, s19
.LBB298_1587:                           ;   in Loop: Header=BB298_1052 Depth=1
	s_or_b32 exec_lo, exec_lo, s18
.LBB298_1588:                           ;   in Loop: Header=BB298_1052 Depth=1
	s_or_b32 exec_lo, exec_lo, s15
	v_lshrrev_b16 v3, 8, v11
	s_mov_b32 s15, exec_lo
	v_cmpx_ne_u16_e32 0, v3
	s_cbranch_execz .LBB298_1596
; %bb.1589:                             ;   in Loop: Header=BB298_1052 Depth=1
	v_bfrev_b32_e32 v1, 1
	s_mov_b32 s18, exec_lo
	v_cmpx_ne_u16_e32 0x80, v3
	s_cbranch_execz .LBB298_1595
; %bb.1590:                             ;   in Loop: Header=BB298_1052 Depth=1
	v_and_b32_sdwa v19, v3, v52 dst_sel:DWORD dst_unused:UNUSED_PAD src0_sel:WORD_0 src1_sel:DWORD
	v_mov_b32_e32 v1, 0x7c010000
	s_mov_b32 s19, exec_lo
	v_cmpx_ne_u32_e32 0x7f, v19
	s_cbranch_execz .LBB298_1594
; %bb.1591:                             ;   in Loop: Header=BB298_1052 Depth=1
	v_and_b32_sdwa v1, v3, v53 dst_sel:DWORD dst_unused:UNUSED_PAD src0_sel:WORD_0 src1_sel:DWORD
	v_lshrrev_b32_e32 v2, 3, v19
	s_mov_b32 s20, exec_lo
	v_cmpx_gt_u32_e32 8, v19
; %bb.1592:                             ;   in Loop: Header=BB298_1052 Depth=1
	v_ffbh_u32_e32 v1, v1
	v_min_u32_e32 v19, 32, v1
	v_subrev_nc_u32_e32 v1, 28, v19
	v_lshlrev_b64 v[1:2], v1, v[3:4]
	v_sub_nc_u32_e32 v2, 29, v19
	v_and_b32_e32 v1, 7, v1
; %bb.1593:                             ;   in Loop: Header=BB298_1052 Depth=1
	s_or_b32 exec_lo, exec_lo, s20
	v_lshlrev_b32_sdwa v3, v54, v3 dst_sel:DWORD dst_unused:UNUSED_PAD src0_sel:DWORD src1_sel:WORD_0
	v_lshl_add_u32 v2, v2, 10, 0x2000
	v_lshlrev_b32_e32 v1, 23, v1
	v_and_or_b32 v2, 0x8000, v3, v2
	v_lshl_or_b32 v1, v2, 16, v1
.LBB298_1594:                           ;   in Loop: Header=BB298_1052 Depth=1
	s_or_b32 exec_lo, exec_lo, s19
.LBB298_1595:                           ;   in Loop: Header=BB298_1052 Depth=1
	s_or_b32 exec_lo, exec_lo, s18
.LBB298_1596:                           ;   in Loop: Header=BB298_1052 Depth=1
	s_or_b32 exec_lo, exec_lo, s15
	v_lshrrev_b32_e32 v2, 16, v11
	v_mov_b32_e32 v19, 0
	v_mov_b32_e32 v26, 0
	v_cmp_ne_u16_sdwa s4, v2, v4 src0_sel:BYTE_0 src1_sel:DWORD
	s_and_saveexec_b32 s15, s4
	s_cbranch_execz .LBB298_1604
; %bb.1597:                             ;   in Loop: Header=BB298_1052 Depth=1
	v_cmp_ne_u16_sdwa s4, v2, v51 src0_sel:BYTE_0 src1_sel:DWORD
	v_mov_b32_e32 v26, 0x8000
	s_and_saveexec_b32 s18, s4
	s_cbranch_execz .LBB298_1603
; %bb.1598:                             ;   in Loop: Header=BB298_1052 Depth=1
	v_bfe_u32 v27, v11, 16, 7
	v_mov_b32_e32 v26, 0x7c01
	s_mov_b32 s19, exec_lo
	v_cmpx_ne_u32_e32 0x7f, v27
	s_cbranch_execz .LBB298_1602
; %bb.1599:                             ;   in Loop: Header=BB298_1052 Depth=1
	v_and_b32_e32 v3, 7, v2
	v_lshrrev_b32_e32 v26, 3, v27
	s_mov_b32 s20, exec_lo
	v_cmpx_gt_u32_e32 8, v27
; %bb.1600:                             ;   in Loop: Header=BB298_1052 Depth=1
	v_ffbh_u32_e32 v3, v3
	v_min_u32_e32 v3, 32, v3
	v_subrev_nc_u32_e32 v26, 28, v3
	v_lshlrev_b64 v[115:116], v26, v[2:3]
	v_sub_nc_u32_e32 v26, 29, v3
	v_and_b32_e32 v3, 7, v115
; %bb.1601:                             ;   in Loop: Header=BB298_1052 Depth=1
	s_or_b32 exec_lo, exec_lo, s20
	v_lshlrev_b32_e32 v2, 8, v2
	v_lshl_add_u32 v26, v26, 10, 0x2000
	v_lshlrev_b32_e32 v3, 7, v3
	v_and_b32_e32 v2, 0x8000, v2
	v_and_b32_e32 v26, 0xfc00, v26
	v_or3_b32 v26, v2, v26, v3
.LBB298_1602:                           ;   in Loop: Header=BB298_1052 Depth=1
	s_or_b32 exec_lo, exec_lo, s19
.LBB298_1603:                           ;   in Loop: Header=BB298_1052 Depth=1
	s_or_b32 exec_lo, exec_lo, s18
.LBB298_1604:                           ;   in Loop: Header=BB298_1052 Depth=1
	s_or_b32 exec_lo, exec_lo, s15
	s_mov_b32 s15, exec_lo
	v_cmpx_lt_u32_e32 0xffffff, v11
	s_cbranch_execz .LBB298_1612
; %bb.1605:                             ;   in Loop: Header=BB298_1052 Depth=1
	v_lshrrev_b32_e32 v3, 24, v11
	v_bfrev_b32_e32 v19, 1
	s_mov_b32 s18, exec_lo
	v_cmpx_ne_u32_e32 0x80, v3
	s_cbranch_execz .LBB298_1611
; %bb.1606:                             ;   in Loop: Header=BB298_1052 Depth=1
	v_and_b32_e32 v27, 0x7f, v3
	v_mov_b32_e32 v19, 0x7c010000
	s_mov_b32 s19, exec_lo
	v_cmpx_ne_u32_e32 0x7f, v27
	s_cbranch_execz .LBB298_1610
; %bb.1607:                             ;   in Loop: Header=BB298_1052 Depth=1
	v_and_b32_e32 v2, 7, v3
	v_lshrrev_b32_e32 v19, 3, v27
	s_mov_b32 s20, exec_lo
	v_cmpx_gt_u32_e32 8, v27
; %bb.1608:                             ;   in Loop: Header=BB298_1052 Depth=1
	v_ffbh_u32_e32 v2, v2
	v_min_u32_e32 v2, 32, v2
	v_subrev_nc_u32_e32 v19, 28, v2
	v_lshlrev_b64 v[115:116], v19, v[3:4]
	v_sub_nc_u32_e32 v19, 29, v2
	v_and_b32_e32 v2, 7, v115
; %bb.1609:                             ;   in Loop: Header=BB298_1052 Depth=1
	s_or_b32 exec_lo, exec_lo, s20
	v_lshlrev_b32_e32 v3, 8, v3
	v_lshl_add_u32 v19, v19, 10, 0x2000
	v_lshlrev_b32_e32 v2, 23, v2
	v_and_or_b32 v3, 0x8000, v3, v19
	v_lshl_or_b32 v19, v3, 16, v2
.LBB298_1610:                           ;   in Loop: Header=BB298_1052 Depth=1
	s_or_b32 exec_lo, exec_lo, s19
.LBB298_1611:                           ;   in Loop: Header=BB298_1052 Depth=1
	s_or_b32 exec_lo, exec_lo, s18
.LBB298_1612:                           ;   in Loop: Header=BB298_1052 Depth=1
	s_or_b32 exec_lo, exec_lo, s15
	v_mov_b32_e32 v3, v12
	v_cmp_ne_u16_sdwa s4, v12, v4 src0_sel:BYTE_0 src1_sel:DWORD
	v_mov_b32_e32 v27, 0
	v_mov_b32_e32 v29, 0
	s_and_saveexec_b32 s15, s4
	s_cbranch_execz .LBB298_1620
; %bb.1613:                             ;   in Loop: Header=BB298_1052 Depth=1
	v_cmp_ne_u16_sdwa s4, v12, v51 src0_sel:BYTE_0 src1_sel:DWORD
	v_mov_b32_e32 v29, 0x8000
	s_and_saveexec_b32 s18, s4
	s_cbranch_execz .LBB298_1619
; %bb.1614:                             ;   in Loop: Header=BB298_1052 Depth=1
	v_and_b32_e32 v115, 0x7f, v12
	v_mov_b32_e32 v29, 0x7c01
	s_mov_b32 s19, exec_lo
	v_cmpx_ne_u32_e32 0x7f, v115
	s_cbranch_execz .LBB298_1618
; %bb.1615:                             ;   in Loop: Header=BB298_1052 Depth=1
	v_and_b32_e32 v2, 7, v12
	v_lshrrev_b32_e32 v29, 3, v115
	s_mov_b32 s20, exec_lo
	v_cmpx_gt_u32_e32 8, v115
; %bb.1616:                             ;   in Loop: Header=BB298_1052 Depth=1
	v_ffbh_u32_e32 v2, v2
	v_min_u32_e32 v2, 32, v2
	v_subrev_nc_u32_e32 v29, 28, v2
	v_lshlrev_b64 v[115:116], v29, v[3:4]
	v_sub_nc_u32_e32 v29, 29, v2
	v_and_b32_e32 v2, 7, v115
; %bb.1617:                             ;   in Loop: Header=BB298_1052 Depth=1
	s_or_b32 exec_lo, exec_lo, s20
	v_lshlrev_b32_e32 v115, 8, v12
	v_lshl_add_u32 v29, v29, 10, 0x2000
	v_lshlrev_b32_e32 v2, 7, v2
	v_and_b32_e32 v115, 0x8000, v115
	v_and_b32_e32 v29, 0xfc00, v29
	v_or3_b32 v29, v115, v29, v2
.LBB298_1618:                           ;   in Loop: Header=BB298_1052 Depth=1
	s_or_b32 exec_lo, exec_lo, s19
.LBB298_1619:                           ;   in Loop: Header=BB298_1052 Depth=1
	s_or_b32 exec_lo, exec_lo, s18
.LBB298_1620:                           ;   in Loop: Header=BB298_1052 Depth=1
	s_or_b32 exec_lo, exec_lo, s15
	v_lshrrev_b16 v3, 8, v3
	v_mov_b32_e32 v115, 0
	s_mov_b32 s15, exec_lo
	v_cmpx_ne_u16_e32 0, v3
	s_cbranch_execz .LBB298_1628
; %bb.1621:                             ;   in Loop: Header=BB298_1052 Depth=1
	v_bfrev_b32_e32 v115, 1
	s_mov_b32 s18, exec_lo
	v_cmpx_ne_u16_e32 0x80, v3
	s_cbranch_execz .LBB298_1627
; %bb.1622:                             ;   in Loop: Header=BB298_1052 Depth=1
	v_and_b32_sdwa v116, v3, v52 dst_sel:DWORD dst_unused:UNUSED_PAD src0_sel:WORD_0 src1_sel:DWORD
	v_mov_b32_e32 v115, 0x7c010000
	s_mov_b32 s19, exec_lo
	v_cmpx_ne_u32_e32 0x7f, v116
	s_cbranch_execz .LBB298_1626
; %bb.1623:                             ;   in Loop: Header=BB298_1052 Depth=1
	v_and_b32_sdwa v2, v3, v53 dst_sel:DWORD dst_unused:UNUSED_PAD src0_sel:WORD_0 src1_sel:DWORD
	v_lshrrev_b32_e32 v115, 3, v116
	s_mov_b32 s20, exec_lo
	v_cmpx_gt_u32_e32 8, v116
; %bb.1624:                             ;   in Loop: Header=BB298_1052 Depth=1
	v_ffbh_u32_e32 v2, v2
	v_min_u32_e32 v2, 32, v2
	v_subrev_nc_u32_e32 v115, 28, v2
	v_lshlrev_b64 v[116:117], v115, v[3:4]
	v_sub_nc_u32_e32 v115, 29, v2
	v_and_b32_e32 v2, 7, v116
; %bb.1625:                             ;   in Loop: Header=BB298_1052 Depth=1
	s_or_b32 exec_lo, exec_lo, s20
	v_lshlrev_b32_sdwa v3, v54, v3 dst_sel:DWORD dst_unused:UNUSED_PAD src0_sel:DWORD src1_sel:WORD_0
	v_lshl_add_u32 v115, v115, 10, 0x2000
	v_lshlrev_b32_e32 v2, 23, v2
	v_and_or_b32 v3, 0x8000, v3, v115
	v_lshl_or_b32 v115, v3, 16, v2
.LBB298_1626:                           ;   in Loop: Header=BB298_1052 Depth=1
	s_or_b32 exec_lo, exec_lo, s19
.LBB298_1627:                           ;   in Loop: Header=BB298_1052 Depth=1
	s_or_b32 exec_lo, exec_lo, s18
.LBB298_1628:                           ;   in Loop: Header=BB298_1052 Depth=1
	s_or_b32 exec_lo, exec_lo, s15
	v_lshrrev_b32_e32 v2, 16, v12
	v_cmp_ne_u16_sdwa s4, v2, v4 src0_sel:BYTE_0 src1_sel:DWORD
	s_and_saveexec_b32 s15, s4
	s_cbranch_execz .LBB298_1636
; %bb.1629:                             ;   in Loop: Header=BB298_1052 Depth=1
	v_cmp_ne_u16_sdwa s4, v2, v51 src0_sel:BYTE_0 src1_sel:DWORD
	v_mov_b32_e32 v27, 0x8000
	s_and_saveexec_b32 s18, s4
	s_cbranch_execz .LBB298_1635
; %bb.1630:                             ;   in Loop: Header=BB298_1052 Depth=1
	v_bfe_u32 v116, v12, 16, 7
	v_mov_b32_e32 v27, 0x7c01
	s_mov_b32 s19, exec_lo
	v_cmpx_ne_u32_e32 0x7f, v116
	s_cbranch_execz .LBB298_1634
; %bb.1631:                             ;   in Loop: Header=BB298_1052 Depth=1
	v_and_b32_e32 v3, 7, v2
	v_lshrrev_b32_e32 v27, 3, v116
	s_mov_b32 s20, exec_lo
	v_cmpx_gt_u32_e32 8, v116
; %bb.1632:                             ;   in Loop: Header=BB298_1052 Depth=1
	v_ffbh_u32_e32 v3, v3
	v_min_u32_e32 v3, 32, v3
	v_subrev_nc_u32_e32 v27, 28, v3
	v_lshlrev_b64 v[116:117], v27, v[2:3]
	v_sub_nc_u32_e32 v27, 29, v3
	v_and_b32_e32 v3, 7, v116
; %bb.1633:                             ;   in Loop: Header=BB298_1052 Depth=1
	s_or_b32 exec_lo, exec_lo, s20
	v_lshlrev_b32_e32 v2, 8, v2
	v_lshl_add_u32 v27, v27, 10, 0x2000
	v_lshlrev_b32_e32 v3, 7, v3
	v_and_b32_e32 v2, 0x8000, v2
	v_and_b32_e32 v27, 0xfc00, v27
	v_or3_b32 v27, v2, v27, v3
.LBB298_1634:                           ;   in Loop: Header=BB298_1052 Depth=1
	s_or_b32 exec_lo, exec_lo, s19
.LBB298_1635:                           ;   in Loop: Header=BB298_1052 Depth=1
	s_or_b32 exec_lo, exec_lo, s18
.LBB298_1636:                           ;   in Loop: Header=BB298_1052 Depth=1
	s_or_b32 exec_lo, exec_lo, s15
	v_mov_b32_e32 v2, 0
	s_mov_b32 s15, exec_lo
	v_cmpx_lt_u64_e64 s[6:7], v[11:12]
	s_cbranch_execz .LBB298_1644
; %bb.1637:                             ;   in Loop: Header=BB298_1052 Depth=1
	v_lshrrev_b32_e32 v3, 24, v12
	v_bfrev_b32_e32 v2, 1
	s_mov_b32 s18, exec_lo
	v_cmpx_ne_u32_e32 0x80, v3
	s_cbranch_execz .LBB298_1643
; %bb.1638:                             ;   in Loop: Header=BB298_1052 Depth=1
	v_and_b32_e32 v12, 0x7f, v3
	v_mov_b32_e32 v2, 0x7c010000
	s_mov_b32 s19, exec_lo
	v_cmpx_ne_u32_e32 0x7f, v12
	s_cbranch_execz .LBB298_1642
; %bb.1639:                             ;   in Loop: Header=BB298_1052 Depth=1
	v_and_b32_e32 v2, 7, v3
	v_lshrrev_b32_e32 v11, 3, v12
	s_mov_b32 s20, exec_lo
	v_cmpx_gt_u32_e32 8, v12
; %bb.1640:                             ;   in Loop: Header=BB298_1052 Depth=1
	v_ffbh_u32_e32 v2, v2
	v_min_u32_e32 v2, 32, v2
	v_subrev_nc_u32_e32 v11, 28, v2
	v_lshlrev_b64 v[116:117], v11, v[3:4]
	v_sub_nc_u32_e32 v11, 29, v2
	v_and_b32_e32 v2, 7, v116
; %bb.1641:                             ;   in Loop: Header=BB298_1052 Depth=1
	s_or_b32 exec_lo, exec_lo, s20
	v_lshlrev_b32_e32 v3, 8, v3
	v_lshl_add_u32 v11, v11, 10, 0x2000
	v_lshlrev_b32_e32 v2, 23, v2
	v_and_or_b32 v3, 0x8000, v3, v11
	v_lshl_or_b32 v2, v3, 16, v2
.LBB298_1642:                           ;   in Loop: Header=BB298_1052 Depth=1
	s_or_b32 exec_lo, exec_lo, s19
.LBB298_1643:                           ;   in Loop: Header=BB298_1052 Depth=1
	s_or_b32 exec_lo, exec_lo, s18
.LBB298_1644:                           ;   in Loop: Header=BB298_1052 Depth=1
	s_or_b32 exec_lo, exec_lo, s15
	v_or_b32_e32 v3, v19, v26
	s_waitcnt vmcnt(0) lgkmcnt(0)
	v_fma_mixlo_f16 v11, v0, v19, 0 op_sel:[0,1,0] op_sel_hi:[0,1,0]
	v_or_b32_e32 v18, v1, v18
	v_or_b32_e32 v19, v115, v29
	;; [unrolled: 1-line block ×3, first 2 shown]
	v_fma_mixlo_f16 v12, v0, v1, 0 op_sel:[0,1,0] op_sel_hi:[0,1,0]
	v_fma_mixlo_f16 v3, v0, v3, 0 op_sel_hi:[0,1,0]
	v_lshlrev_b32_e32 v1, 16, v11
	v_fma_mixlo_f16 v11, v0, v18, 0 op_sel_hi:[0,1,0]
	v_fma_mixlo_f16 v18, v0, v115, 0 op_sel:[0,1,0] op_sel_hi:[0,1,0]
	v_fma_mixlo_f16 v19, v0, v19, 0 op_sel_hi:[0,1,0]
	v_fma_mixlo_f16 v27, v0, v2, 0 op_sel:[0,1,0] op_sel_hi:[0,1,0]
	v_fma_mixlo_f16 v26, v0, v26, 0 op_sel_hi:[0,1,0]
	v_lshlrev_b32_e32 v12, 16, v12
	v_and_b32_e32 v3, 0xffff, v3
	v_and_b32_e32 v115, 0xffff, v11
	v_lshlrev_b32_e32 v2, 16, v18
	v_and_b32_e32 v19, 0xffff, v19
	v_lshlrev_b32_e32 v0, 16, v27
	v_and_b32_e32 v11, 0xffff, v26
	v_or_b32_e32 v18, v1, v3
	v_or_b32_e32 v29, v12, v115
	;; [unrolled: 1-line block ×4, first 2 shown]
	s_and_saveexec_b32 s15, vcc_lo
	s_cbranch_execz .LBB298_1646
; %bb.1645:                             ;   in Loop: Header=BB298_1052 Depth=1
	v_cmp_lt_i32_e64 s4, v64, v28
	v_cndmask_b32_e64 v18, 0, v115, s4
	v_cmp_lt_i32_e64 s4, v84, v28
	v_cndmask_b32_e64 v12, 0, v12, s4
	v_cmp_lt_i32_e64 s4, v83, v28
	v_or_b32_e32 v29, v18, v12
	v_cndmask_b32_e64 v3, 0, v3, s4
	v_cmp_lt_i32_e64 s4, v82, v28
	v_cndmask_b32_e64 v1, 0, v1, s4
	v_cmp_lt_i32_e64 s4, v81, v28
	v_or_b32_e32 v18, v3, v1
	;; [unrolled: 5-line block ×3, first 2 shown]
	v_cndmask_b32_e64 v11, 0, v11, s4
	v_cmp_lt_i32_e64 s4, v31, v28
	v_cndmask_b32_e64 v0, 0, v0, s4
	v_or_b32_e32 v26, v11, v0
.LBB298_1646:                           ;   in Loop: Header=BB298_1052 Depth=1
	s_or_b32 exec_lo, exec_lo, s15
	;;#ASMSTART
	v_pk_mul_f16 v0, v69, v29;

	;;#ASMEND
	;;#ASMSTART
	v_pk_mul_f16 v1, v67, v18;

	;;#ASMEND
	;; [unrolled: 4-line block ×4, first 2 shown]
	;;#ASMSTART
	v_pk_add_f16 v0, v0, v1;

	;;#ASMEND
	;;#ASMSTART
	v_pk_add_f16 v0, v0, v2;

	;;#ASMEND
	;; [unrolled: 4-line block ×3, first 2 shown]
	v_and_b32_e32 v1, 0xffff, v0
	v_lshrrev_b32_e32 v0, 16, v0
	;;#ASMSTART
	v_cvt_f32_f16 v115, v1;
	;;#ASMEND
	;;#ASMSTART
	v_cvt_f32_f16 v116, v0;
	;;#ASMEND
	flat_load_dwordx2 v[11:12], v[9:10] offset:256
	flat_load_dword v0, v[22:23]
	v_mov_b32_e32 v1, 0
	v_mov_b32_e32 v18, 0
	s_waitcnt vmcnt(1) lgkmcnt(1)
	v_cmp_ne_u16_sdwa s4, v11, v4 src0_sel:BYTE_0 src1_sel:DWORD
	s_and_saveexec_b32 s15, s4
	s_cbranch_execz .LBB298_1654
; %bb.1647:                             ;   in Loop: Header=BB298_1052 Depth=1
	v_cmp_ne_u16_sdwa s4, v11, v51 src0_sel:BYTE_0 src1_sel:DWORD
	v_mov_b32_e32 v18, 0x8000
	s_and_saveexec_b32 s18, s4
	s_cbranch_execz .LBB298_1653
; %bb.1648:                             ;   in Loop: Header=BB298_1052 Depth=1
	v_and_b32_e32 v19, 0x7f, v11
	v_mov_b32_e32 v18, 0x7c01
	s_mov_b32 s19, exec_lo
	v_cmpx_ne_u32_e32 0x7f, v19
	s_cbranch_execz .LBB298_1652
; %bb.1649:                             ;   in Loop: Header=BB298_1052 Depth=1
	v_and_b32_e32 v2, 7, v11
	v_lshrrev_b32_e32 v3, 3, v19
	s_mov_b32 s20, exec_lo
	v_cmpx_gt_u32_e32 8, v19
; %bb.1650:                             ;   in Loop: Header=BB298_1052 Depth=1
	v_ffbh_u32_e32 v2, v2
	v_min_u32_e32 v18, 32, v2
	v_subrev_nc_u32_e32 v2, 28, v18
	v_lshlrev_b64 v[2:3], v2, v[11:12]
	v_sub_nc_u32_e32 v3, 29, v18
	v_and_b32_e32 v2, 7, v2
; %bb.1651:                             ;   in Loop: Header=BB298_1052 Depth=1
	s_or_b32 exec_lo, exec_lo, s20
	v_lshlrev_b32_e32 v18, 8, v11
	v_lshl_add_u32 v3, v3, 10, 0x2000
	v_lshlrev_b32_e32 v2, 7, v2
	v_and_b32_e32 v18, 0x8000, v18
	v_and_b32_e32 v3, 0xfc00, v3
	v_or3_b32 v18, v18, v3, v2
.LBB298_1652:                           ;   in Loop: Header=BB298_1052 Depth=1
	s_or_b32 exec_lo, exec_lo, s19
.LBB298_1653:                           ;   in Loop: Header=BB298_1052 Depth=1
	s_or_b32 exec_lo, exec_lo, s18
.LBB298_1654:                           ;   in Loop: Header=BB298_1052 Depth=1
	s_or_b32 exec_lo, exec_lo, s15
	v_lshrrev_b16 v3, 8, v11
	s_mov_b32 s15, exec_lo
	v_cmpx_ne_u16_e32 0, v3
	s_cbranch_execz .LBB298_1662
; %bb.1655:                             ;   in Loop: Header=BB298_1052 Depth=1
	v_bfrev_b32_e32 v1, 1
	s_mov_b32 s18, exec_lo
	v_cmpx_ne_u16_e32 0x80, v3
	s_cbranch_execz .LBB298_1661
; %bb.1656:                             ;   in Loop: Header=BB298_1052 Depth=1
	v_and_b32_sdwa v19, v3, v52 dst_sel:DWORD dst_unused:UNUSED_PAD src0_sel:WORD_0 src1_sel:DWORD
	v_mov_b32_e32 v1, 0x7c010000
	s_mov_b32 s19, exec_lo
	v_cmpx_ne_u32_e32 0x7f, v19
	s_cbranch_execz .LBB298_1660
; %bb.1657:                             ;   in Loop: Header=BB298_1052 Depth=1
	v_and_b32_sdwa v1, v3, v53 dst_sel:DWORD dst_unused:UNUSED_PAD src0_sel:WORD_0 src1_sel:DWORD
	v_lshrrev_b32_e32 v2, 3, v19
	s_mov_b32 s20, exec_lo
	v_cmpx_gt_u32_e32 8, v19
; %bb.1658:                             ;   in Loop: Header=BB298_1052 Depth=1
	v_ffbh_u32_e32 v1, v1
	v_min_u32_e32 v19, 32, v1
	v_subrev_nc_u32_e32 v1, 28, v19
	v_lshlrev_b64 v[1:2], v1, v[3:4]
	v_sub_nc_u32_e32 v2, 29, v19
	v_and_b32_e32 v1, 7, v1
; %bb.1659:                             ;   in Loop: Header=BB298_1052 Depth=1
	s_or_b32 exec_lo, exec_lo, s20
	v_lshlrev_b32_sdwa v3, v54, v3 dst_sel:DWORD dst_unused:UNUSED_PAD src0_sel:DWORD src1_sel:WORD_0
	v_lshl_add_u32 v2, v2, 10, 0x2000
	v_lshlrev_b32_e32 v1, 23, v1
	v_and_or_b32 v2, 0x8000, v3, v2
	v_lshl_or_b32 v1, v2, 16, v1
.LBB298_1660:                           ;   in Loop: Header=BB298_1052 Depth=1
	s_or_b32 exec_lo, exec_lo, s19
.LBB298_1661:                           ;   in Loop: Header=BB298_1052 Depth=1
	s_or_b32 exec_lo, exec_lo, s18
.LBB298_1662:                           ;   in Loop: Header=BB298_1052 Depth=1
	s_or_b32 exec_lo, exec_lo, s15
	v_lshrrev_b32_e32 v2, 16, v11
	v_mov_b32_e32 v19, 0
	v_mov_b32_e32 v26, 0
	v_cmp_ne_u16_sdwa s4, v2, v4 src0_sel:BYTE_0 src1_sel:DWORD
	s_and_saveexec_b32 s15, s4
	s_cbranch_execz .LBB298_1670
; %bb.1663:                             ;   in Loop: Header=BB298_1052 Depth=1
	v_cmp_ne_u16_sdwa s4, v2, v51 src0_sel:BYTE_0 src1_sel:DWORD
	v_mov_b32_e32 v26, 0x8000
	s_and_saveexec_b32 s18, s4
	s_cbranch_execz .LBB298_1669
; %bb.1664:                             ;   in Loop: Header=BB298_1052 Depth=1
	v_bfe_u32 v27, v11, 16, 7
	v_mov_b32_e32 v26, 0x7c01
	s_mov_b32 s19, exec_lo
	v_cmpx_ne_u32_e32 0x7f, v27
	s_cbranch_execz .LBB298_1668
; %bb.1665:                             ;   in Loop: Header=BB298_1052 Depth=1
	v_and_b32_e32 v3, 7, v2
	v_lshrrev_b32_e32 v26, 3, v27
	s_mov_b32 s20, exec_lo
	v_cmpx_gt_u32_e32 8, v27
; %bb.1666:                             ;   in Loop: Header=BB298_1052 Depth=1
	v_ffbh_u32_e32 v3, v3
	v_min_u32_e32 v3, 32, v3
	v_subrev_nc_u32_e32 v26, 28, v3
	v_lshlrev_b64 v[117:118], v26, v[2:3]
	v_sub_nc_u32_e32 v26, 29, v3
	v_and_b32_e32 v3, 7, v117
; %bb.1667:                             ;   in Loop: Header=BB298_1052 Depth=1
	s_or_b32 exec_lo, exec_lo, s20
	v_lshlrev_b32_e32 v2, 8, v2
	v_lshl_add_u32 v26, v26, 10, 0x2000
	v_lshlrev_b32_e32 v3, 7, v3
	v_and_b32_e32 v2, 0x8000, v2
	v_and_b32_e32 v26, 0xfc00, v26
	v_or3_b32 v26, v2, v26, v3
.LBB298_1668:                           ;   in Loop: Header=BB298_1052 Depth=1
	s_or_b32 exec_lo, exec_lo, s19
.LBB298_1669:                           ;   in Loop: Header=BB298_1052 Depth=1
	s_or_b32 exec_lo, exec_lo, s18
.LBB298_1670:                           ;   in Loop: Header=BB298_1052 Depth=1
	s_or_b32 exec_lo, exec_lo, s15
	s_mov_b32 s15, exec_lo
	v_cmpx_lt_u32_e32 0xffffff, v11
	s_cbranch_execz .LBB298_1678
; %bb.1671:                             ;   in Loop: Header=BB298_1052 Depth=1
	v_lshrrev_b32_e32 v3, 24, v11
	v_bfrev_b32_e32 v19, 1
	s_mov_b32 s18, exec_lo
	v_cmpx_ne_u32_e32 0x80, v3
	s_cbranch_execz .LBB298_1677
; %bb.1672:                             ;   in Loop: Header=BB298_1052 Depth=1
	v_and_b32_e32 v27, 0x7f, v3
	v_mov_b32_e32 v19, 0x7c010000
	s_mov_b32 s19, exec_lo
	v_cmpx_ne_u32_e32 0x7f, v27
	s_cbranch_execz .LBB298_1676
; %bb.1673:                             ;   in Loop: Header=BB298_1052 Depth=1
	v_and_b32_e32 v2, 7, v3
	v_lshrrev_b32_e32 v19, 3, v27
	s_mov_b32 s20, exec_lo
	v_cmpx_gt_u32_e32 8, v27
; %bb.1674:                             ;   in Loop: Header=BB298_1052 Depth=1
	v_ffbh_u32_e32 v2, v2
	v_min_u32_e32 v2, 32, v2
	v_subrev_nc_u32_e32 v19, 28, v2
	v_lshlrev_b64 v[117:118], v19, v[3:4]
	v_sub_nc_u32_e32 v19, 29, v2
	v_and_b32_e32 v2, 7, v117
; %bb.1675:                             ;   in Loop: Header=BB298_1052 Depth=1
	s_or_b32 exec_lo, exec_lo, s20
	v_lshlrev_b32_e32 v3, 8, v3
	v_lshl_add_u32 v19, v19, 10, 0x2000
	v_lshlrev_b32_e32 v2, 23, v2
	v_and_or_b32 v3, 0x8000, v3, v19
	v_lshl_or_b32 v19, v3, 16, v2
.LBB298_1676:                           ;   in Loop: Header=BB298_1052 Depth=1
	s_or_b32 exec_lo, exec_lo, s19
.LBB298_1677:                           ;   in Loop: Header=BB298_1052 Depth=1
	s_or_b32 exec_lo, exec_lo, s18
.LBB298_1678:                           ;   in Loop: Header=BB298_1052 Depth=1
	s_or_b32 exec_lo, exec_lo, s15
	v_mov_b32_e32 v3, v12
	v_cmp_ne_u16_sdwa s4, v12, v4 src0_sel:BYTE_0 src1_sel:DWORD
	v_mov_b32_e32 v27, 0
	v_mov_b32_e32 v29, 0
	s_and_saveexec_b32 s15, s4
	s_cbranch_execz .LBB298_1686
; %bb.1679:                             ;   in Loop: Header=BB298_1052 Depth=1
	v_cmp_ne_u16_sdwa s4, v12, v51 src0_sel:BYTE_0 src1_sel:DWORD
	v_mov_b32_e32 v29, 0x8000
	s_and_saveexec_b32 s18, s4
	s_cbranch_execz .LBB298_1685
; %bb.1680:                             ;   in Loop: Header=BB298_1052 Depth=1
	v_and_b32_e32 v117, 0x7f, v12
	v_mov_b32_e32 v29, 0x7c01
	s_mov_b32 s19, exec_lo
	v_cmpx_ne_u32_e32 0x7f, v117
	s_cbranch_execz .LBB298_1684
; %bb.1681:                             ;   in Loop: Header=BB298_1052 Depth=1
	v_and_b32_e32 v2, 7, v12
	v_lshrrev_b32_e32 v29, 3, v117
	s_mov_b32 s20, exec_lo
	v_cmpx_gt_u32_e32 8, v117
; %bb.1682:                             ;   in Loop: Header=BB298_1052 Depth=1
	v_ffbh_u32_e32 v2, v2
	v_min_u32_e32 v2, 32, v2
	v_subrev_nc_u32_e32 v29, 28, v2
	v_lshlrev_b64 v[117:118], v29, v[3:4]
	v_sub_nc_u32_e32 v29, 29, v2
	v_and_b32_e32 v2, 7, v117
; %bb.1683:                             ;   in Loop: Header=BB298_1052 Depth=1
	s_or_b32 exec_lo, exec_lo, s20
	v_lshlrev_b32_e32 v117, 8, v12
	v_lshl_add_u32 v29, v29, 10, 0x2000
	v_lshlrev_b32_e32 v2, 7, v2
	v_and_b32_e32 v117, 0x8000, v117
	v_and_b32_e32 v29, 0xfc00, v29
	v_or3_b32 v29, v117, v29, v2
.LBB298_1684:                           ;   in Loop: Header=BB298_1052 Depth=1
	s_or_b32 exec_lo, exec_lo, s19
.LBB298_1685:                           ;   in Loop: Header=BB298_1052 Depth=1
	s_or_b32 exec_lo, exec_lo, s18
.LBB298_1686:                           ;   in Loop: Header=BB298_1052 Depth=1
	s_or_b32 exec_lo, exec_lo, s15
	v_lshrrev_b16 v3, 8, v3
	v_mov_b32_e32 v117, 0
	s_mov_b32 s15, exec_lo
	v_cmpx_ne_u16_e32 0, v3
	s_cbranch_execz .LBB298_1694
; %bb.1687:                             ;   in Loop: Header=BB298_1052 Depth=1
	v_bfrev_b32_e32 v117, 1
	s_mov_b32 s18, exec_lo
	v_cmpx_ne_u16_e32 0x80, v3
	s_cbranch_execz .LBB298_1693
; %bb.1688:                             ;   in Loop: Header=BB298_1052 Depth=1
	v_and_b32_sdwa v118, v3, v52 dst_sel:DWORD dst_unused:UNUSED_PAD src0_sel:WORD_0 src1_sel:DWORD
	v_mov_b32_e32 v117, 0x7c010000
	s_mov_b32 s19, exec_lo
	v_cmpx_ne_u32_e32 0x7f, v118
	s_cbranch_execz .LBB298_1692
; %bb.1689:                             ;   in Loop: Header=BB298_1052 Depth=1
	v_and_b32_sdwa v2, v3, v53 dst_sel:DWORD dst_unused:UNUSED_PAD src0_sel:WORD_0 src1_sel:DWORD
	v_lshrrev_b32_e32 v117, 3, v118
	s_mov_b32 s20, exec_lo
	v_cmpx_gt_u32_e32 8, v118
; %bb.1690:                             ;   in Loop: Header=BB298_1052 Depth=1
	v_ffbh_u32_e32 v2, v2
	v_min_u32_e32 v2, 32, v2
	v_subrev_nc_u32_e32 v117, 28, v2
	v_lshlrev_b64 v[118:119], v117, v[3:4]
	v_sub_nc_u32_e32 v117, 29, v2
	v_and_b32_e32 v2, 7, v118
; %bb.1691:                             ;   in Loop: Header=BB298_1052 Depth=1
	s_or_b32 exec_lo, exec_lo, s20
	v_lshlrev_b32_sdwa v3, v54, v3 dst_sel:DWORD dst_unused:UNUSED_PAD src0_sel:DWORD src1_sel:WORD_0
	v_lshl_add_u32 v117, v117, 10, 0x2000
	v_lshlrev_b32_e32 v2, 23, v2
	v_and_or_b32 v3, 0x8000, v3, v117
	v_lshl_or_b32 v117, v3, 16, v2
.LBB298_1692:                           ;   in Loop: Header=BB298_1052 Depth=1
	s_or_b32 exec_lo, exec_lo, s19
.LBB298_1693:                           ;   in Loop: Header=BB298_1052 Depth=1
	s_or_b32 exec_lo, exec_lo, s18
.LBB298_1694:                           ;   in Loop: Header=BB298_1052 Depth=1
	s_or_b32 exec_lo, exec_lo, s15
	v_lshrrev_b32_e32 v2, 16, v12
	v_cmp_ne_u16_sdwa s4, v2, v4 src0_sel:BYTE_0 src1_sel:DWORD
	s_and_saveexec_b32 s15, s4
	s_cbranch_execz .LBB298_1702
; %bb.1695:                             ;   in Loop: Header=BB298_1052 Depth=1
	v_cmp_ne_u16_sdwa s4, v2, v51 src0_sel:BYTE_0 src1_sel:DWORD
	v_mov_b32_e32 v27, 0x8000
	s_and_saveexec_b32 s18, s4
	s_cbranch_execz .LBB298_1701
; %bb.1696:                             ;   in Loop: Header=BB298_1052 Depth=1
	v_bfe_u32 v118, v12, 16, 7
	v_mov_b32_e32 v27, 0x7c01
	s_mov_b32 s19, exec_lo
	v_cmpx_ne_u32_e32 0x7f, v118
	s_cbranch_execz .LBB298_1700
; %bb.1697:                             ;   in Loop: Header=BB298_1052 Depth=1
	v_and_b32_e32 v3, 7, v2
	v_lshrrev_b32_e32 v27, 3, v118
	s_mov_b32 s20, exec_lo
	v_cmpx_gt_u32_e32 8, v118
; %bb.1698:                             ;   in Loop: Header=BB298_1052 Depth=1
	v_ffbh_u32_e32 v3, v3
	v_min_u32_e32 v3, 32, v3
	v_subrev_nc_u32_e32 v27, 28, v3
	v_lshlrev_b64 v[118:119], v27, v[2:3]
	v_sub_nc_u32_e32 v27, 29, v3
	v_and_b32_e32 v3, 7, v118
; %bb.1699:                             ;   in Loop: Header=BB298_1052 Depth=1
	s_or_b32 exec_lo, exec_lo, s20
	v_lshlrev_b32_e32 v2, 8, v2
	v_lshl_add_u32 v27, v27, 10, 0x2000
	v_lshlrev_b32_e32 v3, 7, v3
	v_and_b32_e32 v2, 0x8000, v2
	v_and_b32_e32 v27, 0xfc00, v27
	v_or3_b32 v27, v2, v27, v3
.LBB298_1700:                           ;   in Loop: Header=BB298_1052 Depth=1
	s_or_b32 exec_lo, exec_lo, s19
.LBB298_1701:                           ;   in Loop: Header=BB298_1052 Depth=1
	s_or_b32 exec_lo, exec_lo, s18
.LBB298_1702:                           ;   in Loop: Header=BB298_1052 Depth=1
	s_or_b32 exec_lo, exec_lo, s15
	v_mov_b32_e32 v2, 0
	s_mov_b32 s15, exec_lo
	v_cmpx_lt_u64_e64 s[6:7], v[11:12]
	s_cbranch_execz .LBB298_1710
; %bb.1703:                             ;   in Loop: Header=BB298_1052 Depth=1
	v_lshrrev_b32_e32 v3, 24, v12
	v_bfrev_b32_e32 v2, 1
	s_mov_b32 s18, exec_lo
	v_cmpx_ne_u32_e32 0x80, v3
	s_cbranch_execz .LBB298_1709
; %bb.1704:                             ;   in Loop: Header=BB298_1052 Depth=1
	v_and_b32_e32 v12, 0x7f, v3
	v_mov_b32_e32 v2, 0x7c010000
	s_mov_b32 s19, exec_lo
	v_cmpx_ne_u32_e32 0x7f, v12
	s_cbranch_execz .LBB298_1708
; %bb.1705:                             ;   in Loop: Header=BB298_1052 Depth=1
	v_and_b32_e32 v2, 7, v3
	v_lshrrev_b32_e32 v11, 3, v12
	s_mov_b32 s20, exec_lo
	v_cmpx_gt_u32_e32 8, v12
; %bb.1706:                             ;   in Loop: Header=BB298_1052 Depth=1
	v_ffbh_u32_e32 v2, v2
	v_min_u32_e32 v2, 32, v2
	v_subrev_nc_u32_e32 v11, 28, v2
	v_lshlrev_b64 v[118:119], v11, v[3:4]
	v_sub_nc_u32_e32 v11, 29, v2
	v_and_b32_e32 v2, 7, v118
; %bb.1707:                             ;   in Loop: Header=BB298_1052 Depth=1
	s_or_b32 exec_lo, exec_lo, s20
	v_lshlrev_b32_e32 v3, 8, v3
	v_lshl_add_u32 v11, v11, 10, 0x2000
	v_lshlrev_b32_e32 v2, 23, v2
	v_and_or_b32 v3, 0x8000, v3, v11
	v_lshl_or_b32 v2, v3, 16, v2
.LBB298_1708:                           ;   in Loop: Header=BB298_1052 Depth=1
	s_or_b32 exec_lo, exec_lo, s19
.LBB298_1709:                           ;   in Loop: Header=BB298_1052 Depth=1
	s_or_b32 exec_lo, exec_lo, s18
.LBB298_1710:                           ;   in Loop: Header=BB298_1052 Depth=1
	s_or_b32 exec_lo, exec_lo, s15
	v_or_b32_e32 v3, v19, v26
	s_waitcnt vmcnt(0) lgkmcnt(0)
	v_fma_mixlo_f16 v11, v0, v19, 0 op_sel:[0,1,0] op_sel_hi:[0,1,0]
	v_or_b32_e32 v18, v1, v18
	v_or_b32_e32 v19, v117, v29
	;; [unrolled: 1-line block ×3, first 2 shown]
	v_fma_mixlo_f16 v12, v0, v1, 0 op_sel:[0,1,0] op_sel_hi:[0,1,0]
	v_fma_mixlo_f16 v3, v0, v3, 0 op_sel_hi:[0,1,0]
	v_lshlrev_b32_e32 v1, 16, v11
	v_fma_mixlo_f16 v11, v0, v18, 0 op_sel_hi:[0,1,0]
	v_fma_mixlo_f16 v18, v0, v117, 0 op_sel:[0,1,0] op_sel_hi:[0,1,0]
	v_fma_mixlo_f16 v19, v0, v19, 0 op_sel_hi:[0,1,0]
	v_fma_mixlo_f16 v27, v0, v2, 0 op_sel:[0,1,0] op_sel_hi:[0,1,0]
	v_fma_mixlo_f16 v26, v0, v26, 0 op_sel_hi:[0,1,0]
	v_lshlrev_b32_e32 v12, 16, v12
	v_and_b32_e32 v3, 0xffff, v3
	v_and_b32_e32 v117, 0xffff, v11
	v_lshlrev_b32_e32 v2, 16, v18
	v_and_b32_e32 v19, 0xffff, v19
	v_lshlrev_b32_e32 v0, 16, v27
	v_and_b32_e32 v11, 0xffff, v26
	v_or_b32_e32 v18, v1, v3
	v_or_b32_e32 v29, v12, v117
	;; [unrolled: 1-line block ×4, first 2 shown]
	s_and_saveexec_b32 s15, vcc_lo
	s_cbranch_execz .LBB298_1712
; %bb.1711:                             ;   in Loop: Header=BB298_1052 Depth=1
	v_cmp_lt_i32_e64 s4, v64, v28
	v_cndmask_b32_e64 v18, 0, v117, s4
	v_cmp_lt_i32_e64 s4, v84, v28
	v_cndmask_b32_e64 v12, 0, v12, s4
	v_cmp_lt_i32_e64 s4, v83, v28
	v_or_b32_e32 v29, v18, v12
	v_cndmask_b32_e64 v3, 0, v3, s4
	v_cmp_lt_i32_e64 s4, v82, v28
	v_cndmask_b32_e64 v1, 0, v1, s4
	v_cmp_lt_i32_e64 s4, v81, v28
	v_or_b32_e32 v18, v3, v1
	;; [unrolled: 5-line block ×3, first 2 shown]
	v_cndmask_b32_e64 v11, 0, v11, s4
	v_cmp_lt_i32_e64 s4, v31, v28
	v_cndmask_b32_e64 v0, 0, v0, s4
	v_or_b32_e32 v26, v11, v0
.LBB298_1712:                           ;   in Loop: Header=BB298_1052 Depth=1
	s_or_b32 exec_lo, exec_lo, s15
	;;#ASMSTART
	v_pk_mul_f16 v0, v69, v29;

	;;#ASMEND
	;;#ASMSTART
	v_pk_mul_f16 v1, v67, v18;

	;;#ASMEND
	;; [unrolled: 4-line block ×4, first 2 shown]
	;;#ASMSTART
	v_pk_add_f16 v0, v0, v1;

	;;#ASMEND
	;;#ASMSTART
	v_pk_add_f16 v0, v0, v2;

	;;#ASMEND
	;; [unrolled: 4-line block ×3, first 2 shown]
	v_and_b32_e32 v1, 0xffff, v0
	v_lshrrev_b32_e32 v2, 16, v0
	;;#ASMSTART
	v_cvt_f32_f16 v0, v1;
	;;#ASMEND
	;;#ASMSTART
	v_cvt_f32_f16 v1, v2;
	;;#ASMEND
	flat_load_dwordx2 v[11:12], v[9:10] offset:512
	flat_load_dword v18, v[22:23]
	v_mov_b32_e32 v19, 0
	v_mov_b32_e32 v26, 0
	s_waitcnt vmcnt(1) lgkmcnt(1)
	v_cmp_ne_u16_sdwa s4, v11, v4 src0_sel:BYTE_0 src1_sel:DWORD
	s_and_saveexec_b32 s15, s4
	s_cbranch_execz .LBB298_1720
; %bb.1713:                             ;   in Loop: Header=BB298_1052 Depth=1
	v_cmp_ne_u16_sdwa s4, v11, v51 src0_sel:BYTE_0 src1_sel:DWORD
	v_mov_b32_e32 v26, 0x8000
	s_and_saveexec_b32 s18, s4
	s_cbranch_execz .LBB298_1719
; %bb.1714:                             ;   in Loop: Header=BB298_1052 Depth=1
	v_and_b32_e32 v27, 0x7f, v11
	v_mov_b32_e32 v26, 0x7c01
	s_mov_b32 s19, exec_lo
	v_cmpx_ne_u32_e32 0x7f, v27
	s_cbranch_execz .LBB298_1718
; %bb.1715:                             ;   in Loop: Header=BB298_1052 Depth=1
	v_and_b32_e32 v2, 7, v11
	v_lshrrev_b32_e32 v3, 3, v27
	s_mov_b32 s20, exec_lo
	v_cmpx_gt_u32_e32 8, v27
; %bb.1716:                             ;   in Loop: Header=BB298_1052 Depth=1
	v_ffbh_u32_e32 v2, v2
	v_min_u32_e32 v26, 32, v2
	v_subrev_nc_u32_e32 v2, 28, v26
	v_lshlrev_b64 v[2:3], v2, v[11:12]
	v_sub_nc_u32_e32 v3, 29, v26
	v_and_b32_e32 v2, 7, v2
; %bb.1717:                             ;   in Loop: Header=BB298_1052 Depth=1
	s_or_b32 exec_lo, exec_lo, s20
	v_lshlrev_b32_e32 v26, 8, v11
	v_lshl_add_u32 v3, v3, 10, 0x2000
	v_lshlrev_b32_e32 v2, 7, v2
	v_and_b32_e32 v26, 0x8000, v26
	v_and_b32_e32 v3, 0xfc00, v3
	v_or3_b32 v26, v26, v3, v2
.LBB298_1718:                           ;   in Loop: Header=BB298_1052 Depth=1
	s_or_b32 exec_lo, exec_lo, s19
.LBB298_1719:                           ;   in Loop: Header=BB298_1052 Depth=1
	s_or_b32 exec_lo, exec_lo, s18
.LBB298_1720:                           ;   in Loop: Header=BB298_1052 Depth=1
	s_or_b32 exec_lo, exec_lo, s15
	v_lshrrev_b16 v3, 8, v11
	s_mov_b32 s15, exec_lo
	v_cmpx_ne_u16_e32 0, v3
	s_cbranch_execz .LBB298_1728
; %bb.1721:                             ;   in Loop: Header=BB298_1052 Depth=1
	v_bfrev_b32_e32 v19, 1
	s_mov_b32 s18, exec_lo
	v_cmpx_ne_u16_e32 0x80, v3
	s_cbranch_execz .LBB298_1727
; %bb.1722:                             ;   in Loop: Header=BB298_1052 Depth=1
	v_and_b32_sdwa v27, v3, v52 dst_sel:DWORD dst_unused:UNUSED_PAD src0_sel:WORD_0 src1_sel:DWORD
	v_mov_b32_e32 v19, 0x7c010000
	s_mov_b32 s19, exec_lo
	v_cmpx_ne_u32_e32 0x7f, v27
	s_cbranch_execz .LBB298_1726
; %bb.1723:                             ;   in Loop: Header=BB298_1052 Depth=1
	v_and_b32_sdwa v2, v3, v53 dst_sel:DWORD dst_unused:UNUSED_PAD src0_sel:WORD_0 src1_sel:DWORD
	v_lshrrev_b32_e32 v19, 3, v27
	s_mov_b32 s20, exec_lo
	v_cmpx_gt_u32_e32 8, v27
; %bb.1724:                             ;   in Loop: Header=BB298_1052 Depth=1
	v_ffbh_u32_e32 v2, v2
	v_min_u32_e32 v2, 32, v2
	v_subrev_nc_u32_e32 v19, 28, v2
	v_lshlrev_b64 v[117:118], v19, v[3:4]
	v_sub_nc_u32_e32 v19, 29, v2
	v_and_b32_e32 v2, 7, v117
; %bb.1725:                             ;   in Loop: Header=BB298_1052 Depth=1
	s_or_b32 exec_lo, exec_lo, s20
	v_lshlrev_b32_sdwa v3, v54, v3 dst_sel:DWORD dst_unused:UNUSED_PAD src0_sel:DWORD src1_sel:WORD_0
	v_lshl_add_u32 v19, v19, 10, 0x2000
	v_lshlrev_b32_e32 v2, 23, v2
	v_and_or_b32 v3, 0x8000, v3, v19
	v_lshl_or_b32 v19, v3, 16, v2
.LBB298_1726:                           ;   in Loop: Header=BB298_1052 Depth=1
	s_or_b32 exec_lo, exec_lo, s19
.LBB298_1727:                           ;   in Loop: Header=BB298_1052 Depth=1
	s_or_b32 exec_lo, exec_lo, s18
.LBB298_1728:                           ;   in Loop: Header=BB298_1052 Depth=1
	s_or_b32 exec_lo, exec_lo, s15
	v_lshrrev_b32_e32 v2, 16, v11
	v_mov_b32_e32 v27, 0
	v_mov_b32_e32 v29, 0
	v_cmp_ne_u16_sdwa s4, v2, v4 src0_sel:BYTE_0 src1_sel:DWORD
	s_and_saveexec_b32 s15, s4
	s_cbranch_execz .LBB298_1736
; %bb.1729:                             ;   in Loop: Header=BB298_1052 Depth=1
	v_cmp_ne_u16_sdwa s4, v2, v51 src0_sel:BYTE_0 src1_sel:DWORD
	v_mov_b32_e32 v29, 0x8000
	s_and_saveexec_b32 s18, s4
	s_cbranch_execz .LBB298_1735
; %bb.1730:                             ;   in Loop: Header=BB298_1052 Depth=1
	v_bfe_u32 v117, v11, 16, 7
	v_mov_b32_e32 v29, 0x7c01
	s_mov_b32 s19, exec_lo
	v_cmpx_ne_u32_e32 0x7f, v117
	s_cbranch_execz .LBB298_1734
; %bb.1731:                             ;   in Loop: Header=BB298_1052 Depth=1
	v_and_b32_e32 v3, 7, v2
	v_lshrrev_b32_e32 v29, 3, v117
	s_mov_b32 s20, exec_lo
	v_cmpx_gt_u32_e32 8, v117
; %bb.1732:                             ;   in Loop: Header=BB298_1052 Depth=1
	v_ffbh_u32_e32 v3, v3
	v_min_u32_e32 v3, 32, v3
	v_subrev_nc_u32_e32 v29, 28, v3
	v_lshlrev_b64 v[117:118], v29, v[2:3]
	v_sub_nc_u32_e32 v29, 29, v3
	v_and_b32_e32 v3, 7, v117
; %bb.1733:                             ;   in Loop: Header=BB298_1052 Depth=1
	s_or_b32 exec_lo, exec_lo, s20
	v_lshlrev_b32_e32 v2, 8, v2
	v_lshl_add_u32 v29, v29, 10, 0x2000
	v_lshlrev_b32_e32 v3, 7, v3
	v_and_b32_e32 v2, 0x8000, v2
	v_and_b32_e32 v29, 0xfc00, v29
	v_or3_b32 v29, v2, v29, v3
.LBB298_1734:                           ;   in Loop: Header=BB298_1052 Depth=1
	s_or_b32 exec_lo, exec_lo, s19
.LBB298_1735:                           ;   in Loop: Header=BB298_1052 Depth=1
	s_or_b32 exec_lo, exec_lo, s18
.LBB298_1736:                           ;   in Loop: Header=BB298_1052 Depth=1
	s_or_b32 exec_lo, exec_lo, s15
	s_mov_b32 s15, exec_lo
	v_cmpx_lt_u32_e32 0xffffff, v11
	s_cbranch_execz .LBB298_1744
; %bb.1737:                             ;   in Loop: Header=BB298_1052 Depth=1
	v_lshrrev_b32_e32 v3, 24, v11
	v_bfrev_b32_e32 v27, 1
	s_mov_b32 s18, exec_lo
	v_cmpx_ne_u32_e32 0x80, v3
	s_cbranch_execz .LBB298_1743
; %bb.1738:                             ;   in Loop: Header=BB298_1052 Depth=1
	v_and_b32_e32 v117, 0x7f, v3
	v_mov_b32_e32 v27, 0x7c010000
	s_mov_b32 s19, exec_lo
	v_cmpx_ne_u32_e32 0x7f, v117
	s_cbranch_execz .LBB298_1742
; %bb.1739:                             ;   in Loop: Header=BB298_1052 Depth=1
	v_and_b32_e32 v2, 7, v3
	v_lshrrev_b32_e32 v27, 3, v117
	s_mov_b32 s20, exec_lo
	v_cmpx_gt_u32_e32 8, v117
; %bb.1740:                             ;   in Loop: Header=BB298_1052 Depth=1
	v_ffbh_u32_e32 v2, v2
	v_min_u32_e32 v2, 32, v2
	v_subrev_nc_u32_e32 v27, 28, v2
	v_lshlrev_b64 v[117:118], v27, v[3:4]
	v_sub_nc_u32_e32 v27, 29, v2
	v_and_b32_e32 v2, 7, v117
; %bb.1741:                             ;   in Loop: Header=BB298_1052 Depth=1
	s_or_b32 exec_lo, exec_lo, s20
	v_lshlrev_b32_e32 v3, 8, v3
	v_lshl_add_u32 v27, v27, 10, 0x2000
	v_lshlrev_b32_e32 v2, 23, v2
	v_and_or_b32 v3, 0x8000, v3, v27
	v_lshl_or_b32 v27, v3, 16, v2
.LBB298_1742:                           ;   in Loop: Header=BB298_1052 Depth=1
	s_or_b32 exec_lo, exec_lo, s19
.LBB298_1743:                           ;   in Loop: Header=BB298_1052 Depth=1
	s_or_b32 exec_lo, exec_lo, s18
.LBB298_1744:                           ;   in Loop: Header=BB298_1052 Depth=1
	s_or_b32 exec_lo, exec_lo, s15
	v_mov_b32_e32 v3, v12
	v_cmp_ne_u16_sdwa s4, v12, v4 src0_sel:BYTE_0 src1_sel:DWORD
	v_mov_b32_e32 v117, 0
	v_mov_b32_e32 v118, 0
	s_and_saveexec_b32 s15, s4
	s_cbranch_execz .LBB298_1752
; %bb.1745:                             ;   in Loop: Header=BB298_1052 Depth=1
	v_cmp_ne_u16_sdwa s4, v12, v51 src0_sel:BYTE_0 src1_sel:DWORD
	v_mov_b32_e32 v118, 0x8000
	s_and_saveexec_b32 s18, s4
	s_cbranch_execz .LBB298_1751
; %bb.1746:                             ;   in Loop: Header=BB298_1052 Depth=1
	v_and_b32_e32 v119, 0x7f, v12
	v_mov_b32_e32 v118, 0x7c01
	s_mov_b32 s19, exec_lo
	v_cmpx_ne_u32_e32 0x7f, v119
	s_cbranch_execz .LBB298_1750
; %bb.1747:                             ;   in Loop: Header=BB298_1052 Depth=1
	v_and_b32_e32 v2, 7, v12
	v_lshrrev_b32_e32 v118, 3, v119
	s_mov_b32 s20, exec_lo
	v_cmpx_gt_u32_e32 8, v119
; %bb.1748:                             ;   in Loop: Header=BB298_1052 Depth=1
	v_ffbh_u32_e32 v2, v2
	v_min_u32_e32 v2, 32, v2
	v_subrev_nc_u32_e32 v118, 28, v2
	v_lshlrev_b64 v[40:41], v118, v[3:4]
	v_sub_nc_u32_e32 v118, 29, v2
	v_and_b32_e32 v2, 7, v40
; %bb.1749:                             ;   in Loop: Header=BB298_1052 Depth=1
	s_or_b32 exec_lo, exec_lo, s20
	v_lshlrev_b32_e32 v119, 8, v12
	v_lshl_add_u32 v118, v118, 10, 0x2000
	v_lshlrev_b32_e32 v2, 7, v2
	v_and_b32_e32 v119, 0x8000, v119
	v_and_b32_e32 v118, 0xfc00, v118
	v_or3_b32 v118, v119, v118, v2
.LBB298_1750:                           ;   in Loop: Header=BB298_1052 Depth=1
	s_or_b32 exec_lo, exec_lo, s19
.LBB298_1751:                           ;   in Loop: Header=BB298_1052 Depth=1
	s_or_b32 exec_lo, exec_lo, s18
.LBB298_1752:                           ;   in Loop: Header=BB298_1052 Depth=1
	s_or_b32 exec_lo, exec_lo, s15
	v_lshrrev_b16 v3, 8, v3
	v_mov_b32_e32 v119, 0
	s_mov_b32 s15, exec_lo
	v_cmpx_ne_u16_e32 0, v3
	s_cbranch_execz .LBB298_1760
; %bb.1753:                             ;   in Loop: Header=BB298_1052 Depth=1
	v_bfrev_b32_e32 v119, 1
	s_mov_b32 s18, exec_lo
	v_cmpx_ne_u16_e32 0x80, v3
	s_cbranch_execz .LBB298_1759
; %bb.1754:                             ;   in Loop: Header=BB298_1052 Depth=1
	v_and_b32_sdwa v40, v3, v52 dst_sel:DWORD dst_unused:UNUSED_PAD src0_sel:WORD_0 src1_sel:DWORD
	v_mov_b32_e32 v119, 0x7c010000
	s_mov_b32 s19, exec_lo
	v_cmpx_ne_u32_e32 0x7f, v40
	s_cbranch_execz .LBB298_1758
; %bb.1755:                             ;   in Loop: Header=BB298_1052 Depth=1
	v_and_b32_sdwa v2, v3, v53 dst_sel:DWORD dst_unused:UNUSED_PAD src0_sel:WORD_0 src1_sel:DWORD
	v_lshrrev_b32_e32 v119, 3, v40
	s_mov_b32 s20, exec_lo
	v_cmpx_gt_u32_e32 8, v40
; %bb.1756:                             ;   in Loop: Header=BB298_1052 Depth=1
	v_ffbh_u32_e32 v2, v2
	v_min_u32_e32 v2, 32, v2
	v_subrev_nc_u32_e32 v119, 28, v2
	v_lshlrev_b64 v[40:41], v119, v[3:4]
	v_sub_nc_u32_e32 v119, 29, v2
	v_and_b32_e32 v2, 7, v40
; %bb.1757:                             ;   in Loop: Header=BB298_1052 Depth=1
	s_or_b32 exec_lo, exec_lo, s20
	v_lshlrev_b32_sdwa v3, v54, v3 dst_sel:DWORD dst_unused:UNUSED_PAD src0_sel:DWORD src1_sel:WORD_0
	v_lshl_add_u32 v119, v119, 10, 0x2000
	v_lshlrev_b32_e32 v2, 23, v2
	v_and_or_b32 v3, 0x8000, v3, v119
	v_lshl_or_b32 v119, v3, 16, v2
.LBB298_1758:                           ;   in Loop: Header=BB298_1052 Depth=1
	s_or_b32 exec_lo, exec_lo, s19
.LBB298_1759:                           ;   in Loop: Header=BB298_1052 Depth=1
	s_or_b32 exec_lo, exec_lo, s18
.LBB298_1760:                           ;   in Loop: Header=BB298_1052 Depth=1
	s_or_b32 exec_lo, exec_lo, s15
	v_lshrrev_b32_e32 v2, 16, v12
	v_cmp_ne_u16_sdwa s4, v2, v4 src0_sel:BYTE_0 src1_sel:DWORD
	s_and_saveexec_b32 s15, s4
	s_cbranch_execz .LBB298_1768
; %bb.1761:                             ;   in Loop: Header=BB298_1052 Depth=1
	v_cmp_ne_u16_sdwa s4, v2, v51 src0_sel:BYTE_0 src1_sel:DWORD
	v_mov_b32_e32 v117, 0x8000
	s_and_saveexec_b32 s18, s4
	s_cbranch_execz .LBB298_1767
; %bb.1762:                             ;   in Loop: Header=BB298_1052 Depth=1
	v_bfe_u32 v40, v12, 16, 7
	v_mov_b32_e32 v117, 0x7c01
	s_mov_b32 s19, exec_lo
	v_cmpx_ne_u32_e32 0x7f, v40
	s_cbranch_execz .LBB298_1766
; %bb.1763:                             ;   in Loop: Header=BB298_1052 Depth=1
	v_and_b32_e32 v3, 7, v2
	v_lshrrev_b32_e32 v117, 3, v40
	s_mov_b32 s20, exec_lo
	v_cmpx_gt_u32_e32 8, v40
; %bb.1764:                             ;   in Loop: Header=BB298_1052 Depth=1
	v_ffbh_u32_e32 v3, v3
	v_min_u32_e32 v3, 32, v3
	v_subrev_nc_u32_e32 v117, 28, v3
	v_lshlrev_b64 v[40:41], v117, v[2:3]
	v_sub_nc_u32_e32 v117, 29, v3
	v_and_b32_e32 v3, 7, v40
; %bb.1765:                             ;   in Loop: Header=BB298_1052 Depth=1
	s_or_b32 exec_lo, exec_lo, s20
	v_lshlrev_b32_e32 v2, 8, v2
	v_lshl_add_u32 v117, v117, 10, 0x2000
	v_lshlrev_b32_e32 v3, 7, v3
	v_and_b32_e32 v2, 0x8000, v2
	v_and_b32_e32 v117, 0xfc00, v117
	v_or3_b32 v117, v2, v117, v3
.LBB298_1766:                           ;   in Loop: Header=BB298_1052 Depth=1
	s_or_b32 exec_lo, exec_lo, s19
.LBB298_1767:                           ;   in Loop: Header=BB298_1052 Depth=1
	s_or_b32 exec_lo, exec_lo, s18
.LBB298_1768:                           ;   in Loop: Header=BB298_1052 Depth=1
	s_or_b32 exec_lo, exec_lo, s15
	v_mov_b32_e32 v2, 0
	s_mov_b32 s15, exec_lo
	v_cmpx_lt_u64_e64 s[6:7], v[11:12]
	s_cbranch_execz .LBB298_1776
; %bb.1769:                             ;   in Loop: Header=BB298_1052 Depth=1
	v_lshrrev_b32_e32 v3, 24, v12
	v_bfrev_b32_e32 v2, 1
	s_mov_b32 s18, exec_lo
	v_cmpx_ne_u32_e32 0x80, v3
	s_cbranch_execz .LBB298_1775
; %bb.1770:                             ;   in Loop: Header=BB298_1052 Depth=1
	v_and_b32_e32 v12, 0x7f, v3
	v_mov_b32_e32 v2, 0x7c010000
	s_mov_b32 s19, exec_lo
	v_cmpx_ne_u32_e32 0x7f, v12
	s_cbranch_execz .LBB298_1774
; %bb.1771:                             ;   in Loop: Header=BB298_1052 Depth=1
	v_and_b32_e32 v2, 7, v3
	v_lshrrev_b32_e32 v11, 3, v12
	s_mov_b32 s20, exec_lo
	v_cmpx_gt_u32_e32 8, v12
; %bb.1772:                             ;   in Loop: Header=BB298_1052 Depth=1
	v_ffbh_u32_e32 v2, v2
	v_min_u32_e32 v2, 32, v2
	v_subrev_nc_u32_e32 v11, 28, v2
	v_lshlrev_b64 v[40:41], v11, v[3:4]
	v_sub_nc_u32_e32 v11, 29, v2
	v_and_b32_e32 v2, 7, v40
; %bb.1773:                             ;   in Loop: Header=BB298_1052 Depth=1
	s_or_b32 exec_lo, exec_lo, s20
	v_lshlrev_b32_e32 v3, 8, v3
	v_lshl_add_u32 v11, v11, 10, 0x2000
	v_lshlrev_b32_e32 v2, 23, v2
	v_and_or_b32 v3, 0x8000, v3, v11
	v_lshl_or_b32 v2, v3, 16, v2
.LBB298_1774:                           ;   in Loop: Header=BB298_1052 Depth=1
	s_or_b32 exec_lo, exec_lo, s19
.LBB298_1775:                           ;   in Loop: Header=BB298_1052 Depth=1
	s_or_b32 exec_lo, exec_lo, s18
.LBB298_1776:                           ;   in Loop: Header=BB298_1052 Depth=1
	s_or_b32 exec_lo, exec_lo, s15
	v_or_b32_e32 v3, v27, v29
	s_waitcnt vmcnt(0) lgkmcnt(0)
	v_fma_mixlo_f16 v11, v18, v27, 0 op_sel:[0,1,0] op_sel_hi:[0,1,0]
	v_or_b32_e32 v12, v19, v26
	v_or_b32_e32 v26, v119, v118
	;; [unrolled: 1-line block ×3, first 2 shown]
	v_fma_mixlo_f16 v27, v18, v3, 0 op_sel_hi:[0,1,0]
	v_fma_mixlo_f16 v19, v18, v19, 0 op_sel:[0,1,0] op_sel_hi:[0,1,0]
	v_lshlrev_b32_e32 v3, 16, v11
	v_fma_mixlo_f16 v12, v18, v12, 0 op_sel_hi:[0,1,0]
	v_fma_mixlo_f16 v26, v18, v26, 0 op_sel_hi:[0,1,0]
	v_and_b32_e32 v11, 0xffff, v27
	v_fma_mixlo_f16 v27, v18, v119, 0 op_sel:[0,1,0] op_sel_hi:[0,1,0]
	v_fma_mixlo_f16 v2, v18, v2, 0 op_sel:[0,1,0] op_sel_hi:[0,1,0]
	v_fma_mixlo_f16 v18, v18, v29, 0 op_sel_hi:[0,1,0]
	v_lshlrev_b32_e32 v19, 16, v19
	v_and_b32_e32 v119, 0xffff, v12
	v_lshlrev_b32_e32 v12, 16, v27
	v_and_b32_e32 v27, 0xffff, v26
	;; [unrolled: 2-line block ×3, first 2 shown]
	v_or_b32_e32 v26, v3, v11
	v_or_b32_e32 v118, v19, v119
	;; [unrolled: 1-line block ×4, first 2 shown]
	s_and_saveexec_b32 s15, vcc_lo
	s_cbranch_execz .LBB298_1778
; %bb.1777:                             ;   in Loop: Header=BB298_1052 Depth=1
	v_cmp_lt_i32_e64 s4, v64, v28
	v_cndmask_b32_e64 v26, 0, v119, s4
	v_cmp_lt_i32_e64 s4, v84, v28
	v_cndmask_b32_e64 v19, 0, v19, s4
	v_cmp_lt_i32_e64 s4, v83, v28
	v_or_b32_e32 v118, v26, v19
	v_cndmask_b32_e64 v11, 0, v11, s4
	v_cmp_lt_i32_e64 s4, v82, v28
	v_cndmask_b32_e64 v3, 0, v3, s4
	v_cmp_lt_i32_e64 s4, v81, v28
	v_or_b32_e32 v26, v11, v3
	;; [unrolled: 5-line block ×3, first 2 shown]
	v_cndmask_b32_e64 v18, 0, v18, s4
	v_cmp_lt_i32_e64 s4, v31, v28
	v_cndmask_b32_e64 v2, 0, v2, s4
	v_or_b32_e32 v29, v18, v2
.LBB298_1778:                           ;   in Loop: Header=BB298_1052 Depth=1
	s_or_b32 exec_lo, exec_lo, s15
	;;#ASMSTART
	v_pk_mul_f16 v2, v69, v118;

	;;#ASMEND
	;;#ASMSTART
	v_pk_mul_f16 v3, v67, v26;

	;;#ASMEND
	;;#ASMSTART
	v_pk_mul_f16 v11, v66, v117;

	;;#ASMEND
	;;#ASMSTART
	v_pk_mul_f16 v12, v65, v29;

	;;#ASMEND
	;;#ASMSTART
	v_pk_add_f16 v2, v2, v3;

	;;#ASMEND
	;;#ASMSTART
	v_pk_add_f16 v2, v2, v11;

	;;#ASMEND
	;; [unrolled: 4-line block ×3, first 2 shown]
	v_and_b32_e32 v3, 0xffff, v2
	v_lshrrev_b32_e32 v2, 16, v2
	;;#ASMSTART
	v_cvt_f32_f16 v18, v3;
	;;#ASMEND
	;;#ASMSTART
	v_cvt_f32_f16 v19, v2;
	;;#ASMEND
	flat_load_dwordx2 v[11:12], v[9:10] offset:768
	flat_load_dword v26, v[22:23]
	v_mov_b32_e32 v27, 0
	v_mov_b32_e32 v29, 0
	s_waitcnt vmcnt(1) lgkmcnt(1)
	v_cmp_ne_u16_sdwa s4, v11, v4 src0_sel:BYTE_0 src1_sel:DWORD
	s_and_saveexec_b32 s15, s4
	s_cbranch_execz .LBB298_1786
; %bb.1779:                             ;   in Loop: Header=BB298_1052 Depth=1
	v_cmp_ne_u16_sdwa s4, v11, v51 src0_sel:BYTE_0 src1_sel:DWORD
	v_mov_b32_e32 v29, 0x8000
	s_and_saveexec_b32 s18, s4
	s_cbranch_execz .LBB298_1785
; %bb.1780:                             ;   in Loop: Header=BB298_1052 Depth=1
	v_and_b32_e32 v117, 0x7f, v11
	v_mov_b32_e32 v29, 0x7c01
	s_mov_b32 s19, exec_lo
	v_cmpx_ne_u32_e32 0x7f, v117
	s_cbranch_execz .LBB298_1784
; %bb.1781:                             ;   in Loop: Header=BB298_1052 Depth=1
	v_and_b32_e32 v2, 7, v11
	v_lshrrev_b32_e32 v3, 3, v117
	s_mov_b32 s20, exec_lo
	v_cmpx_gt_u32_e32 8, v117
; %bb.1782:                             ;   in Loop: Header=BB298_1052 Depth=1
	v_ffbh_u32_e32 v2, v2
	v_min_u32_e32 v29, 32, v2
	v_subrev_nc_u32_e32 v2, 28, v29
	v_lshlrev_b64 v[2:3], v2, v[11:12]
	v_sub_nc_u32_e32 v3, 29, v29
	v_and_b32_e32 v2, 7, v2
; %bb.1783:                             ;   in Loop: Header=BB298_1052 Depth=1
	s_or_b32 exec_lo, exec_lo, s20
	v_lshlrev_b32_e32 v29, 8, v11
	v_lshl_add_u32 v3, v3, 10, 0x2000
	v_lshlrev_b32_e32 v2, 7, v2
	v_and_b32_e32 v29, 0x8000, v29
	v_and_b32_e32 v3, 0xfc00, v3
	v_or3_b32 v29, v29, v3, v2
.LBB298_1784:                           ;   in Loop: Header=BB298_1052 Depth=1
	s_or_b32 exec_lo, exec_lo, s19
.LBB298_1785:                           ;   in Loop: Header=BB298_1052 Depth=1
	s_or_b32 exec_lo, exec_lo, s18
.LBB298_1786:                           ;   in Loop: Header=BB298_1052 Depth=1
	s_or_b32 exec_lo, exec_lo, s15
	v_lshrrev_b16 v3, 8, v11
	s_mov_b32 s15, exec_lo
	v_cmpx_ne_u16_e32 0, v3
	s_cbranch_execz .LBB298_1794
; %bb.1787:                             ;   in Loop: Header=BB298_1052 Depth=1
	v_bfrev_b32_e32 v27, 1
	s_mov_b32 s18, exec_lo
	v_cmpx_ne_u16_e32 0x80, v3
	s_cbranch_execz .LBB298_1793
; %bb.1788:                             ;   in Loop: Header=BB298_1052 Depth=1
	v_and_b32_sdwa v117, v3, v52 dst_sel:DWORD dst_unused:UNUSED_PAD src0_sel:WORD_0 src1_sel:DWORD
	v_mov_b32_e32 v27, 0x7c010000
	s_mov_b32 s19, exec_lo
	v_cmpx_ne_u32_e32 0x7f, v117
	s_cbranch_execz .LBB298_1792
; %bb.1789:                             ;   in Loop: Header=BB298_1052 Depth=1
	v_and_b32_sdwa v2, v3, v53 dst_sel:DWORD dst_unused:UNUSED_PAD src0_sel:WORD_0 src1_sel:DWORD
	v_lshrrev_b32_e32 v27, 3, v117
	s_mov_b32 s20, exec_lo
	v_cmpx_gt_u32_e32 8, v117
; %bb.1790:                             ;   in Loop: Header=BB298_1052 Depth=1
	v_ffbh_u32_e32 v2, v2
	v_min_u32_e32 v2, 32, v2
	v_subrev_nc_u32_e32 v27, 28, v2
	v_lshlrev_b64 v[117:118], v27, v[3:4]
	v_sub_nc_u32_e32 v27, 29, v2
	v_and_b32_e32 v2, 7, v117
; %bb.1791:                             ;   in Loop: Header=BB298_1052 Depth=1
	s_or_b32 exec_lo, exec_lo, s20
	v_lshlrev_b32_sdwa v3, v54, v3 dst_sel:DWORD dst_unused:UNUSED_PAD src0_sel:DWORD src1_sel:WORD_0
	v_lshl_add_u32 v27, v27, 10, 0x2000
	v_lshlrev_b32_e32 v2, 23, v2
	v_and_or_b32 v3, 0x8000, v3, v27
	v_lshl_or_b32 v27, v3, 16, v2
.LBB298_1792:                           ;   in Loop: Header=BB298_1052 Depth=1
	s_or_b32 exec_lo, exec_lo, s19
.LBB298_1793:                           ;   in Loop: Header=BB298_1052 Depth=1
	s_or_b32 exec_lo, exec_lo, s18
.LBB298_1794:                           ;   in Loop: Header=BB298_1052 Depth=1
	s_or_b32 exec_lo, exec_lo, s15
	v_lshrrev_b32_e32 v2, 16, v11
	v_mov_b32_e32 v117, 0
	v_mov_b32_e32 v118, 0
	v_cmp_ne_u16_sdwa s4, v2, v4 src0_sel:BYTE_0 src1_sel:DWORD
	s_and_saveexec_b32 s15, s4
	s_cbranch_execz .LBB298_1802
; %bb.1795:                             ;   in Loop: Header=BB298_1052 Depth=1
	v_cmp_ne_u16_sdwa s4, v2, v51 src0_sel:BYTE_0 src1_sel:DWORD
	v_mov_b32_e32 v118, 0x8000
	s_and_saveexec_b32 s18, s4
	s_cbranch_execz .LBB298_1801
; %bb.1796:                             ;   in Loop: Header=BB298_1052 Depth=1
	v_bfe_u32 v119, v11, 16, 7
	v_mov_b32_e32 v118, 0x7c01
	s_mov_b32 s19, exec_lo
	v_cmpx_ne_u32_e32 0x7f, v119
	s_cbranch_execz .LBB298_1800
; %bb.1797:                             ;   in Loop: Header=BB298_1052 Depth=1
	v_and_b32_e32 v3, 7, v2
	v_lshrrev_b32_e32 v118, 3, v119
	s_mov_b32 s20, exec_lo
	v_cmpx_gt_u32_e32 8, v119
; %bb.1798:                             ;   in Loop: Header=BB298_1052 Depth=1
	v_ffbh_u32_e32 v3, v3
	v_min_u32_e32 v3, 32, v3
	v_subrev_nc_u32_e32 v118, 28, v3
	v_lshlrev_b64 v[40:41], v118, v[2:3]
	v_sub_nc_u32_e32 v118, 29, v3
	v_and_b32_e32 v3, 7, v40
; %bb.1799:                             ;   in Loop: Header=BB298_1052 Depth=1
	s_or_b32 exec_lo, exec_lo, s20
	v_lshlrev_b32_e32 v2, 8, v2
	v_lshl_add_u32 v118, v118, 10, 0x2000
	v_lshlrev_b32_e32 v3, 7, v3
	v_and_b32_e32 v2, 0x8000, v2
	v_and_b32_e32 v118, 0xfc00, v118
	v_or3_b32 v118, v2, v118, v3
.LBB298_1800:                           ;   in Loop: Header=BB298_1052 Depth=1
	s_or_b32 exec_lo, exec_lo, s19
.LBB298_1801:                           ;   in Loop: Header=BB298_1052 Depth=1
	s_or_b32 exec_lo, exec_lo, s18
.LBB298_1802:                           ;   in Loop: Header=BB298_1052 Depth=1
	s_or_b32 exec_lo, exec_lo, s15
	s_mov_b32 s15, exec_lo
	v_cmpx_lt_u32_e32 0xffffff, v11
	s_cbranch_execz .LBB298_1810
; %bb.1803:                             ;   in Loop: Header=BB298_1052 Depth=1
	v_lshrrev_b32_e32 v3, 24, v11
	v_bfrev_b32_e32 v117, 1
	s_mov_b32 s18, exec_lo
	v_cmpx_ne_u32_e32 0x80, v3
	s_cbranch_execz .LBB298_1809
; %bb.1804:                             ;   in Loop: Header=BB298_1052 Depth=1
	v_and_b32_e32 v119, 0x7f, v3
	v_mov_b32_e32 v117, 0x7c010000
	s_mov_b32 s19, exec_lo
	v_cmpx_ne_u32_e32 0x7f, v119
	s_cbranch_execz .LBB298_1808
; %bb.1805:                             ;   in Loop: Header=BB298_1052 Depth=1
	v_and_b32_e32 v2, 7, v3
	v_lshrrev_b32_e32 v117, 3, v119
	s_mov_b32 s20, exec_lo
	v_cmpx_gt_u32_e32 8, v119
; %bb.1806:                             ;   in Loop: Header=BB298_1052 Depth=1
	v_ffbh_u32_e32 v2, v2
	v_min_u32_e32 v2, 32, v2
	v_subrev_nc_u32_e32 v117, 28, v2
	v_lshlrev_b64 v[40:41], v117, v[3:4]
	v_sub_nc_u32_e32 v117, 29, v2
	v_and_b32_e32 v2, 7, v40
; %bb.1807:                             ;   in Loop: Header=BB298_1052 Depth=1
	s_or_b32 exec_lo, exec_lo, s20
	v_lshlrev_b32_e32 v3, 8, v3
	v_lshl_add_u32 v117, v117, 10, 0x2000
	v_lshlrev_b32_e32 v2, 23, v2
	v_and_or_b32 v3, 0x8000, v3, v117
	v_lshl_or_b32 v117, v3, 16, v2
.LBB298_1808:                           ;   in Loop: Header=BB298_1052 Depth=1
	s_or_b32 exec_lo, exec_lo, s19
.LBB298_1809:                           ;   in Loop: Header=BB298_1052 Depth=1
	s_or_b32 exec_lo, exec_lo, s18
.LBB298_1810:                           ;   in Loop: Header=BB298_1052 Depth=1
	s_or_b32 exec_lo, exec_lo, s15
	v_mov_b32_e32 v3, v12
	v_cmp_ne_u16_sdwa s4, v12, v4 src0_sel:BYTE_0 src1_sel:DWORD
	v_mov_b32_e32 v119, 0
	v_mov_b32_e32 v40, 0
	s_and_saveexec_b32 s15, s4
	s_cbranch_execz .LBB298_1818
; %bb.1811:                             ;   in Loop: Header=BB298_1052 Depth=1
	v_cmp_ne_u16_sdwa s4, v12, v51 src0_sel:BYTE_0 src1_sel:DWORD
	v_mov_b32_e32 v40, 0x8000
	s_and_saveexec_b32 s18, s4
	s_cbranch_execz .LBB298_1817
; %bb.1812:                             ;   in Loop: Header=BB298_1052 Depth=1
	v_and_b32_e32 v41, 0x7f, v12
	v_mov_b32_e32 v40, 0x7c01
	s_mov_b32 s19, exec_lo
	v_cmpx_ne_u32_e32 0x7f, v41
	s_cbranch_execz .LBB298_1816
; %bb.1813:                             ;   in Loop: Header=BB298_1052 Depth=1
	v_and_b32_e32 v2, 7, v12
	v_lshrrev_b32_e32 v40, 3, v41
	s_mov_b32 s20, exec_lo
	v_cmpx_gt_u32_e32 8, v41
; %bb.1814:                             ;   in Loop: Header=BB298_1052 Depth=1
	v_ffbh_u32_e32 v2, v2
	v_min_u32_e32 v2, 32, v2
	v_subrev_nc_u32_e32 v40, 28, v2
	v_lshlrev_b64 v[41:42], v40, v[3:4]
	v_sub_nc_u32_e32 v40, 29, v2
	v_and_b32_e32 v2, 7, v41
; %bb.1815:                             ;   in Loop: Header=BB298_1052 Depth=1
	s_or_b32 exec_lo, exec_lo, s20
	v_lshlrev_b32_e32 v41, 8, v12
	v_lshl_add_u32 v40, v40, 10, 0x2000
	v_lshlrev_b32_e32 v2, 7, v2
	v_and_b32_e32 v41, 0x8000, v41
	v_and_b32_e32 v40, 0xfc00, v40
	v_or3_b32 v40, v41, v40, v2
.LBB298_1816:                           ;   in Loop: Header=BB298_1052 Depth=1
	s_or_b32 exec_lo, exec_lo, s19
.LBB298_1817:                           ;   in Loop: Header=BB298_1052 Depth=1
	s_or_b32 exec_lo, exec_lo, s18
.LBB298_1818:                           ;   in Loop: Header=BB298_1052 Depth=1
	s_or_b32 exec_lo, exec_lo, s15
	v_lshrrev_b16 v3, 8, v3
	v_mov_b32_e32 v41, 0
	s_mov_b32 s15, exec_lo
	v_cmpx_ne_u16_e32 0, v3
	s_cbranch_execz .LBB298_1826
; %bb.1819:                             ;   in Loop: Header=BB298_1052 Depth=1
	v_bfrev_b32_e32 v41, 1
	s_mov_b32 s18, exec_lo
	v_cmpx_ne_u16_e32 0x80, v3
	s_cbranch_execz .LBB298_1825
; %bb.1820:                             ;   in Loop: Header=BB298_1052 Depth=1
	v_and_b32_sdwa v42, v3, v52 dst_sel:DWORD dst_unused:UNUSED_PAD src0_sel:WORD_0 src1_sel:DWORD
	v_mov_b32_e32 v41, 0x7c010000
	s_mov_b32 s19, exec_lo
	v_cmpx_ne_u32_e32 0x7f, v42
	s_cbranch_execz .LBB298_1824
; %bb.1821:                             ;   in Loop: Header=BB298_1052 Depth=1
	v_and_b32_sdwa v2, v3, v53 dst_sel:DWORD dst_unused:UNUSED_PAD src0_sel:WORD_0 src1_sel:DWORD
	v_lshrrev_b32_e32 v41, 3, v42
	s_mov_b32 s20, exec_lo
	v_cmpx_gt_u32_e32 8, v42
; %bb.1822:                             ;   in Loop: Header=BB298_1052 Depth=1
	v_ffbh_u32_e32 v2, v2
	v_min_u32_e32 v2, 32, v2
	v_subrev_nc_u32_e32 v41, 28, v2
	v_lshlrev_b64 v[42:43], v41, v[3:4]
	v_sub_nc_u32_e32 v41, 29, v2
	v_and_b32_e32 v2, 7, v42
; %bb.1823:                             ;   in Loop: Header=BB298_1052 Depth=1
	s_or_b32 exec_lo, exec_lo, s20
	v_lshlrev_b32_sdwa v3, v54, v3 dst_sel:DWORD dst_unused:UNUSED_PAD src0_sel:DWORD src1_sel:WORD_0
	v_lshl_add_u32 v41, v41, 10, 0x2000
	v_lshlrev_b32_e32 v2, 23, v2
	v_and_or_b32 v3, 0x8000, v3, v41
	v_lshl_or_b32 v41, v3, 16, v2
.LBB298_1824:                           ;   in Loop: Header=BB298_1052 Depth=1
	s_or_b32 exec_lo, exec_lo, s19
.LBB298_1825:                           ;   in Loop: Header=BB298_1052 Depth=1
	s_or_b32 exec_lo, exec_lo, s18
.LBB298_1826:                           ;   in Loop: Header=BB298_1052 Depth=1
	s_or_b32 exec_lo, exec_lo, s15
	v_lshrrev_b32_e32 v2, 16, v12
	v_cmp_ne_u16_sdwa s4, v2, v4 src0_sel:BYTE_0 src1_sel:DWORD
	s_and_saveexec_b32 s15, s4
	s_cbranch_execz .LBB298_1834
; %bb.1827:                             ;   in Loop: Header=BB298_1052 Depth=1
	v_cmp_ne_u16_sdwa s4, v2, v51 src0_sel:BYTE_0 src1_sel:DWORD
	v_mov_b32_e32 v119, 0x8000
	s_and_saveexec_b32 s18, s4
	s_cbranch_execz .LBB298_1833
; %bb.1828:                             ;   in Loop: Header=BB298_1052 Depth=1
	v_bfe_u32 v42, v12, 16, 7
	v_mov_b32_e32 v119, 0x7c01
	s_mov_b32 s19, exec_lo
	v_cmpx_ne_u32_e32 0x7f, v42
	s_cbranch_execz .LBB298_1832
; %bb.1829:                             ;   in Loop: Header=BB298_1052 Depth=1
	v_and_b32_e32 v3, 7, v2
	v_lshrrev_b32_e32 v119, 3, v42
	s_mov_b32 s20, exec_lo
	v_cmpx_gt_u32_e32 8, v42
; %bb.1830:                             ;   in Loop: Header=BB298_1052 Depth=1
	v_ffbh_u32_e32 v3, v3
	v_min_u32_e32 v3, 32, v3
	v_subrev_nc_u32_e32 v119, 28, v3
	v_lshlrev_b64 v[42:43], v119, v[2:3]
	v_sub_nc_u32_e32 v119, 29, v3
	v_and_b32_e32 v3, 7, v42
; %bb.1831:                             ;   in Loop: Header=BB298_1052 Depth=1
	s_or_b32 exec_lo, exec_lo, s20
	v_lshlrev_b32_e32 v2, 8, v2
	v_lshl_add_u32 v119, v119, 10, 0x2000
	v_lshlrev_b32_e32 v3, 7, v3
	v_and_b32_e32 v2, 0x8000, v2
	v_and_b32_e32 v119, 0xfc00, v119
	v_or3_b32 v119, v2, v119, v3
.LBB298_1832:                           ;   in Loop: Header=BB298_1052 Depth=1
	s_or_b32 exec_lo, exec_lo, s19
.LBB298_1833:                           ;   in Loop: Header=BB298_1052 Depth=1
	s_or_b32 exec_lo, exec_lo, s18
.LBB298_1834:                           ;   in Loop: Header=BB298_1052 Depth=1
	s_or_b32 exec_lo, exec_lo, s15
	v_mov_b32_e32 v2, 0
	s_mov_b32 s15, exec_lo
	v_cmpx_lt_u64_e64 s[6:7], v[11:12]
	s_cbranch_execz .LBB298_1842
; %bb.1835:                             ;   in Loop: Header=BB298_1052 Depth=1
	v_lshrrev_b32_e32 v3, 24, v12
	v_bfrev_b32_e32 v2, 1
	s_mov_b32 s18, exec_lo
	v_cmpx_ne_u32_e32 0x80, v3
	s_cbranch_execz .LBB298_1841
; %bb.1836:                             ;   in Loop: Header=BB298_1052 Depth=1
	v_and_b32_e32 v12, 0x7f, v3
	v_mov_b32_e32 v2, 0x7c010000
	s_mov_b32 s19, exec_lo
	v_cmpx_ne_u32_e32 0x7f, v12
	s_cbranch_execz .LBB298_1840
; %bb.1837:                             ;   in Loop: Header=BB298_1052 Depth=1
	v_and_b32_e32 v2, 7, v3
	v_lshrrev_b32_e32 v11, 3, v12
	s_mov_b32 s20, exec_lo
	v_cmpx_gt_u32_e32 8, v12
; %bb.1838:                             ;   in Loop: Header=BB298_1052 Depth=1
	v_ffbh_u32_e32 v2, v2
	v_min_u32_e32 v2, 32, v2
	v_subrev_nc_u32_e32 v11, 28, v2
	v_lshlrev_b64 v[42:43], v11, v[3:4]
	v_sub_nc_u32_e32 v11, 29, v2
	v_and_b32_e32 v2, 7, v42
; %bb.1839:                             ;   in Loop: Header=BB298_1052 Depth=1
	s_or_b32 exec_lo, exec_lo, s20
	v_lshlrev_b32_e32 v3, 8, v3
	v_lshl_add_u32 v11, v11, 10, 0x2000
	v_lshlrev_b32_e32 v2, 23, v2
	v_and_or_b32 v3, 0x8000, v3, v11
	v_lshl_or_b32 v2, v3, 16, v2
.LBB298_1840:                           ;   in Loop: Header=BB298_1052 Depth=1
	s_or_b32 exec_lo, exec_lo, s19
.LBB298_1841:                           ;   in Loop: Header=BB298_1052 Depth=1
	s_or_b32 exec_lo, exec_lo, s18
.LBB298_1842:                           ;   in Loop: Header=BB298_1052 Depth=1
	s_or_b32 exec_lo, exec_lo, s15
	v_or_b32_e32 v3, v117, v118
	s_waitcnt vmcnt(0) lgkmcnt(0)
	v_fma_mixlo_f16 v11, v26, v117, 0 op_sel:[0,1,0] op_sel_hi:[0,1,0]
	v_or_b32_e32 v12, v27, v29
	v_or_b32_e32 v29, v41, v40
	;; [unrolled: 1-line block ×3, first 2 shown]
	v_fma_mixlo_f16 v117, v26, v3, 0 op_sel_hi:[0,1,0]
	v_fma_mixlo_f16 v27, v26, v27, 0 op_sel:[0,1,0] op_sel_hi:[0,1,0]
	v_lshlrev_b32_e32 v3, 16, v11
	v_fma_mixlo_f16 v12, v26, v12, 0 op_sel_hi:[0,1,0]
	v_fma_mixlo_f16 v29, v26, v29, 0 op_sel_hi:[0,1,0]
	v_and_b32_e32 v11, 0xffff, v117
	v_fma_mixlo_f16 v117, v26, v41, 0 op_sel:[0,1,0] op_sel_hi:[0,1,0]
	v_fma_mixlo_f16 v2, v26, v2, 0 op_sel:[0,1,0] op_sel_hi:[0,1,0]
	v_fma_mixlo_f16 v26, v26, v118, 0 op_sel_hi:[0,1,0]
	v_lshlrev_b32_e32 v27, 16, v27
	v_and_b32_e32 v41, 0xffff, v12
	v_lshlrev_b32_e32 v12, 16, v117
	v_and_b32_e32 v117, 0xffff, v29
	;; [unrolled: 2-line block ×3, first 2 shown]
	v_or_b32_e32 v29, v3, v11
	v_or_b32_e32 v40, v27, v41
	;; [unrolled: 1-line block ×4, first 2 shown]
	s_and_saveexec_b32 s15, vcc_lo
	s_cbranch_execz .LBB298_1844
; %bb.1843:                             ;   in Loop: Header=BB298_1052 Depth=1
	v_cmp_lt_i32_e64 s4, v64, v28
	v_cndmask_b32_e64 v29, 0, v41, s4
	v_cmp_lt_i32_e64 s4, v84, v28
	v_cndmask_b32_e64 v27, 0, v27, s4
	v_cmp_lt_i32_e64 s4, v83, v28
	v_or_b32_e32 v40, v29, v27
	v_cndmask_b32_e64 v11, 0, v11, s4
	v_cmp_lt_i32_e64 s4, v82, v28
	v_cndmask_b32_e64 v3, 0, v3, s4
	v_cmp_lt_i32_e64 s4, v81, v28
	v_or_b32_e32 v29, v11, v3
	;; [unrolled: 5-line block ×3, first 2 shown]
	v_cndmask_b32_e64 v26, 0, v26, s4
	v_cmp_lt_i32_e64 s4, v31, v28
	v_cndmask_b32_e64 v2, 0, v2, s4
	v_or_b32_e32 v118, v26, v2
.LBB298_1844:                           ;   in Loop: Header=BB298_1052 Depth=1
	s_or_b32 exec_lo, exec_lo, s15
	;;#ASMSTART
	v_pk_mul_f16 v2, v69, v40;

	;;#ASMEND
	;;#ASMSTART
	v_pk_mul_f16 v3, v67, v29;

	;;#ASMEND
	;; [unrolled: 4-line block ×4, first 2 shown]
	;;#ASMSTART
	v_pk_add_f16 v2, v2, v3;

	;;#ASMEND
	;;#ASMSTART
	v_pk_add_f16 v2, v2, v11;

	;;#ASMEND
	;; [unrolled: 4-line block ×3, first 2 shown]
	v_and_b32_e32 v3, 0xffff, v2
	v_lshrrev_b32_e32 v2, 16, v2
	;;#ASMSTART
	v_cvt_f32_f16 v26, v3;
	;;#ASMEND
	;;#ASMSTART
	v_cvt_f32_f16 v27, v2;
	;;#ASMEND
	flat_load_dwordx2 v[11:12], v[9:10] offset:1024
	flat_load_dword v29, v[22:23]
	v_mov_b32_e32 v117, 0
	v_mov_b32_e32 v118, 0
	s_waitcnt vmcnt(1) lgkmcnt(1)
	v_cmp_ne_u16_sdwa s4, v11, v4 src0_sel:BYTE_0 src1_sel:DWORD
	s_and_saveexec_b32 s15, s4
	s_cbranch_execz .LBB298_1852
; %bb.1845:                             ;   in Loop: Header=BB298_1052 Depth=1
	v_cmp_ne_u16_sdwa s4, v11, v51 src0_sel:BYTE_0 src1_sel:DWORD
	v_mov_b32_e32 v118, 0x8000
	s_and_saveexec_b32 s18, s4
	s_cbranch_execz .LBB298_1851
; %bb.1846:                             ;   in Loop: Header=BB298_1052 Depth=1
	v_and_b32_e32 v119, 0x7f, v11
	v_mov_b32_e32 v118, 0x7c01
	s_mov_b32 s19, exec_lo
	v_cmpx_ne_u32_e32 0x7f, v119
	s_cbranch_execz .LBB298_1850
; %bb.1847:                             ;   in Loop: Header=BB298_1052 Depth=1
	v_and_b32_e32 v2, 7, v11
	v_lshrrev_b32_e32 v3, 3, v119
	s_mov_b32 s20, exec_lo
	v_cmpx_gt_u32_e32 8, v119
; %bb.1848:                             ;   in Loop: Header=BB298_1052 Depth=1
	v_ffbh_u32_e32 v2, v2
	v_min_u32_e32 v118, 32, v2
	v_subrev_nc_u32_e32 v2, 28, v118
	v_lshlrev_b64 v[2:3], v2, v[11:12]
	v_sub_nc_u32_e32 v3, 29, v118
	v_and_b32_e32 v2, 7, v2
; %bb.1849:                             ;   in Loop: Header=BB298_1052 Depth=1
	s_or_b32 exec_lo, exec_lo, s20
	v_lshlrev_b32_e32 v118, 8, v11
	v_lshl_add_u32 v3, v3, 10, 0x2000
	v_lshlrev_b32_e32 v2, 7, v2
	v_and_b32_e32 v118, 0x8000, v118
	v_and_b32_e32 v3, 0xfc00, v3
	v_or3_b32 v118, v118, v3, v2
.LBB298_1850:                           ;   in Loop: Header=BB298_1052 Depth=1
	s_or_b32 exec_lo, exec_lo, s19
.LBB298_1851:                           ;   in Loop: Header=BB298_1052 Depth=1
	s_or_b32 exec_lo, exec_lo, s18
.LBB298_1852:                           ;   in Loop: Header=BB298_1052 Depth=1
	s_or_b32 exec_lo, exec_lo, s15
	v_lshrrev_b16 v3, 8, v11
	s_mov_b32 s15, exec_lo
	v_cmpx_ne_u16_e32 0, v3
	s_cbranch_execz .LBB298_1860
; %bb.1853:                             ;   in Loop: Header=BB298_1052 Depth=1
	v_bfrev_b32_e32 v117, 1
	s_mov_b32 s18, exec_lo
	v_cmpx_ne_u16_e32 0x80, v3
	s_cbranch_execz .LBB298_1859
; %bb.1854:                             ;   in Loop: Header=BB298_1052 Depth=1
	v_and_b32_sdwa v119, v3, v52 dst_sel:DWORD dst_unused:UNUSED_PAD src0_sel:WORD_0 src1_sel:DWORD
	v_mov_b32_e32 v117, 0x7c010000
	s_mov_b32 s19, exec_lo
	v_cmpx_ne_u32_e32 0x7f, v119
	s_cbranch_execz .LBB298_1858
; %bb.1855:                             ;   in Loop: Header=BB298_1052 Depth=1
	v_and_b32_sdwa v2, v3, v53 dst_sel:DWORD dst_unused:UNUSED_PAD src0_sel:WORD_0 src1_sel:DWORD
	v_lshrrev_b32_e32 v117, 3, v119
	s_mov_b32 s20, exec_lo
	v_cmpx_gt_u32_e32 8, v119
; %bb.1856:                             ;   in Loop: Header=BB298_1052 Depth=1
	v_ffbh_u32_e32 v2, v2
	v_min_u32_e32 v2, 32, v2
	v_subrev_nc_u32_e32 v117, 28, v2
	v_lshlrev_b64 v[40:41], v117, v[3:4]
	v_sub_nc_u32_e32 v117, 29, v2
	v_and_b32_e32 v2, 7, v40
; %bb.1857:                             ;   in Loop: Header=BB298_1052 Depth=1
	s_or_b32 exec_lo, exec_lo, s20
	v_lshlrev_b32_sdwa v3, v54, v3 dst_sel:DWORD dst_unused:UNUSED_PAD src0_sel:DWORD src1_sel:WORD_0
	v_lshl_add_u32 v117, v117, 10, 0x2000
	v_lshlrev_b32_e32 v2, 23, v2
	v_and_or_b32 v3, 0x8000, v3, v117
	v_lshl_or_b32 v117, v3, 16, v2
.LBB298_1858:                           ;   in Loop: Header=BB298_1052 Depth=1
	s_or_b32 exec_lo, exec_lo, s19
.LBB298_1859:                           ;   in Loop: Header=BB298_1052 Depth=1
	s_or_b32 exec_lo, exec_lo, s18
.LBB298_1860:                           ;   in Loop: Header=BB298_1052 Depth=1
	s_or_b32 exec_lo, exec_lo, s15
	v_lshrrev_b32_e32 v2, 16, v11
	v_mov_b32_e32 v119, 0
	v_mov_b32_e32 v40, 0
	v_cmp_ne_u16_sdwa s4, v2, v4 src0_sel:BYTE_0 src1_sel:DWORD
	s_and_saveexec_b32 s15, s4
	s_cbranch_execz .LBB298_1868
; %bb.1861:                             ;   in Loop: Header=BB298_1052 Depth=1
	v_cmp_ne_u16_sdwa s4, v2, v51 src0_sel:BYTE_0 src1_sel:DWORD
	v_mov_b32_e32 v40, 0x8000
	s_and_saveexec_b32 s18, s4
	s_cbranch_execz .LBB298_1867
; %bb.1862:                             ;   in Loop: Header=BB298_1052 Depth=1
	v_bfe_u32 v41, v11, 16, 7
	v_mov_b32_e32 v40, 0x7c01
	s_mov_b32 s19, exec_lo
	v_cmpx_ne_u32_e32 0x7f, v41
	s_cbranch_execz .LBB298_1866
; %bb.1863:                             ;   in Loop: Header=BB298_1052 Depth=1
	v_and_b32_e32 v3, 7, v2
	v_lshrrev_b32_e32 v40, 3, v41
	s_mov_b32 s20, exec_lo
	v_cmpx_gt_u32_e32 8, v41
; %bb.1864:                             ;   in Loop: Header=BB298_1052 Depth=1
	v_ffbh_u32_e32 v3, v3
	v_min_u32_e32 v3, 32, v3
	v_subrev_nc_u32_e32 v40, 28, v3
	v_lshlrev_b64 v[41:42], v40, v[2:3]
	v_sub_nc_u32_e32 v40, 29, v3
	v_and_b32_e32 v3, 7, v41
; %bb.1865:                             ;   in Loop: Header=BB298_1052 Depth=1
	s_or_b32 exec_lo, exec_lo, s20
	v_lshlrev_b32_e32 v2, 8, v2
	v_lshl_add_u32 v40, v40, 10, 0x2000
	v_lshlrev_b32_e32 v3, 7, v3
	v_and_b32_e32 v2, 0x8000, v2
	v_and_b32_e32 v40, 0xfc00, v40
	v_or3_b32 v40, v2, v40, v3
.LBB298_1866:                           ;   in Loop: Header=BB298_1052 Depth=1
	s_or_b32 exec_lo, exec_lo, s19
.LBB298_1867:                           ;   in Loop: Header=BB298_1052 Depth=1
	s_or_b32 exec_lo, exec_lo, s18
.LBB298_1868:                           ;   in Loop: Header=BB298_1052 Depth=1
	s_or_b32 exec_lo, exec_lo, s15
	s_mov_b32 s15, exec_lo
	v_cmpx_lt_u32_e32 0xffffff, v11
	s_cbranch_execz .LBB298_1876
; %bb.1869:                             ;   in Loop: Header=BB298_1052 Depth=1
	v_lshrrev_b32_e32 v3, 24, v11
	v_bfrev_b32_e32 v119, 1
	s_mov_b32 s18, exec_lo
	v_cmpx_ne_u32_e32 0x80, v3
	s_cbranch_execz .LBB298_1875
; %bb.1870:                             ;   in Loop: Header=BB298_1052 Depth=1
	v_and_b32_e32 v41, 0x7f, v3
	v_mov_b32_e32 v119, 0x7c010000
	s_mov_b32 s19, exec_lo
	v_cmpx_ne_u32_e32 0x7f, v41
	s_cbranch_execz .LBB298_1874
; %bb.1871:                             ;   in Loop: Header=BB298_1052 Depth=1
	v_and_b32_e32 v2, 7, v3
	v_lshrrev_b32_e32 v119, 3, v41
	s_mov_b32 s20, exec_lo
	v_cmpx_gt_u32_e32 8, v41
; %bb.1872:                             ;   in Loop: Header=BB298_1052 Depth=1
	v_ffbh_u32_e32 v2, v2
	v_min_u32_e32 v2, 32, v2
	v_subrev_nc_u32_e32 v119, 28, v2
	v_lshlrev_b64 v[41:42], v119, v[3:4]
	v_sub_nc_u32_e32 v119, 29, v2
	v_and_b32_e32 v2, 7, v41
; %bb.1873:                             ;   in Loop: Header=BB298_1052 Depth=1
	s_or_b32 exec_lo, exec_lo, s20
	v_lshlrev_b32_e32 v3, 8, v3
	v_lshl_add_u32 v119, v119, 10, 0x2000
	v_lshlrev_b32_e32 v2, 23, v2
	v_and_or_b32 v3, 0x8000, v3, v119
	v_lshl_or_b32 v119, v3, 16, v2
.LBB298_1874:                           ;   in Loop: Header=BB298_1052 Depth=1
	s_or_b32 exec_lo, exec_lo, s19
.LBB298_1875:                           ;   in Loop: Header=BB298_1052 Depth=1
	s_or_b32 exec_lo, exec_lo, s18
.LBB298_1876:                           ;   in Loop: Header=BB298_1052 Depth=1
	s_or_b32 exec_lo, exec_lo, s15
	v_mov_b32_e32 v3, v12
	v_cmp_ne_u16_sdwa s4, v12, v4 src0_sel:BYTE_0 src1_sel:DWORD
	v_mov_b32_e32 v41, 0
	v_mov_b32_e32 v42, 0
	s_and_saveexec_b32 s15, s4
	s_cbranch_execz .LBB298_1884
; %bb.1877:                             ;   in Loop: Header=BB298_1052 Depth=1
	v_cmp_ne_u16_sdwa s4, v12, v51 src0_sel:BYTE_0 src1_sel:DWORD
	v_mov_b32_e32 v42, 0x8000
	s_and_saveexec_b32 s18, s4
	s_cbranch_execz .LBB298_1883
; %bb.1878:                             ;   in Loop: Header=BB298_1052 Depth=1
	v_and_b32_e32 v43, 0x7f, v12
	v_mov_b32_e32 v42, 0x7c01
	s_mov_b32 s19, exec_lo
	v_cmpx_ne_u32_e32 0x7f, v43
	s_cbranch_execz .LBB298_1882
; %bb.1879:                             ;   in Loop: Header=BB298_1052 Depth=1
	v_and_b32_e32 v2, 7, v12
	v_lshrrev_b32_e32 v42, 3, v43
	s_mov_b32 s20, exec_lo
	v_cmpx_gt_u32_e32 8, v43
; %bb.1880:                             ;   in Loop: Header=BB298_1052 Depth=1
	v_ffbh_u32_e32 v2, v2
	v_min_u32_e32 v2, 32, v2
	v_subrev_nc_u32_e32 v42, 28, v2
	v_lshlrev_b64 v[43:44], v42, v[3:4]
	v_sub_nc_u32_e32 v42, 29, v2
	v_and_b32_e32 v2, 7, v43
; %bb.1881:                             ;   in Loop: Header=BB298_1052 Depth=1
	s_or_b32 exec_lo, exec_lo, s20
	v_lshlrev_b32_e32 v43, 8, v12
	v_lshl_add_u32 v42, v42, 10, 0x2000
	v_lshlrev_b32_e32 v2, 7, v2
	v_and_b32_e32 v43, 0x8000, v43
	v_and_b32_e32 v42, 0xfc00, v42
	v_or3_b32 v42, v43, v42, v2
.LBB298_1882:                           ;   in Loop: Header=BB298_1052 Depth=1
	s_or_b32 exec_lo, exec_lo, s19
.LBB298_1883:                           ;   in Loop: Header=BB298_1052 Depth=1
	s_or_b32 exec_lo, exec_lo, s18
.LBB298_1884:                           ;   in Loop: Header=BB298_1052 Depth=1
	s_or_b32 exec_lo, exec_lo, s15
	v_lshrrev_b16 v3, 8, v3
	v_mov_b32_e32 v43, 0
	s_mov_b32 s15, exec_lo
	v_cmpx_ne_u16_e32 0, v3
	s_cbranch_execz .LBB298_1892
; %bb.1885:                             ;   in Loop: Header=BB298_1052 Depth=1
	v_bfrev_b32_e32 v43, 1
	s_mov_b32 s18, exec_lo
	v_cmpx_ne_u16_e32 0x80, v3
	s_cbranch_execz .LBB298_1891
; %bb.1886:                             ;   in Loop: Header=BB298_1052 Depth=1
	v_and_b32_sdwa v44, v3, v52 dst_sel:DWORD dst_unused:UNUSED_PAD src0_sel:WORD_0 src1_sel:DWORD
	v_mov_b32_e32 v43, 0x7c010000
	s_mov_b32 s19, exec_lo
	v_cmpx_ne_u32_e32 0x7f, v44
	s_cbranch_execz .LBB298_1890
; %bb.1887:                             ;   in Loop: Header=BB298_1052 Depth=1
	v_and_b32_sdwa v2, v3, v53 dst_sel:DWORD dst_unused:UNUSED_PAD src0_sel:WORD_0 src1_sel:DWORD
	v_lshrrev_b32_e32 v43, 3, v44
	s_mov_b32 s20, exec_lo
	v_cmpx_gt_u32_e32 8, v44
; %bb.1888:                             ;   in Loop: Header=BB298_1052 Depth=1
	v_ffbh_u32_e32 v2, v2
	v_min_u32_e32 v2, 32, v2
	v_subrev_nc_u32_e32 v43, 28, v2
	v_lshlrev_b64 v[44:45], v43, v[3:4]
	v_sub_nc_u32_e32 v43, 29, v2
	v_and_b32_e32 v2, 7, v44
; %bb.1889:                             ;   in Loop: Header=BB298_1052 Depth=1
	s_or_b32 exec_lo, exec_lo, s20
	v_lshlrev_b32_sdwa v3, v54, v3 dst_sel:DWORD dst_unused:UNUSED_PAD src0_sel:DWORD src1_sel:WORD_0
	v_lshl_add_u32 v43, v43, 10, 0x2000
	v_lshlrev_b32_e32 v2, 23, v2
	v_and_or_b32 v3, 0x8000, v3, v43
	v_lshl_or_b32 v43, v3, 16, v2
.LBB298_1890:                           ;   in Loop: Header=BB298_1052 Depth=1
	s_or_b32 exec_lo, exec_lo, s19
.LBB298_1891:                           ;   in Loop: Header=BB298_1052 Depth=1
	s_or_b32 exec_lo, exec_lo, s18
.LBB298_1892:                           ;   in Loop: Header=BB298_1052 Depth=1
	s_or_b32 exec_lo, exec_lo, s15
	v_lshrrev_b32_e32 v2, 16, v12
	v_cmp_ne_u16_sdwa s4, v2, v4 src0_sel:BYTE_0 src1_sel:DWORD
	s_and_saveexec_b32 s15, s4
	s_cbranch_execz .LBB298_1900
; %bb.1893:                             ;   in Loop: Header=BB298_1052 Depth=1
	v_cmp_ne_u16_sdwa s4, v2, v51 src0_sel:BYTE_0 src1_sel:DWORD
	v_mov_b32_e32 v41, 0x8000
	s_and_saveexec_b32 s18, s4
	s_cbranch_execz .LBB298_1899
; %bb.1894:                             ;   in Loop: Header=BB298_1052 Depth=1
	v_bfe_u32 v44, v12, 16, 7
	v_mov_b32_e32 v41, 0x7c01
	s_mov_b32 s19, exec_lo
	v_cmpx_ne_u32_e32 0x7f, v44
	s_cbranch_execz .LBB298_1898
; %bb.1895:                             ;   in Loop: Header=BB298_1052 Depth=1
	v_and_b32_e32 v3, 7, v2
	v_lshrrev_b32_e32 v41, 3, v44
	s_mov_b32 s20, exec_lo
	v_cmpx_gt_u32_e32 8, v44
; %bb.1896:                             ;   in Loop: Header=BB298_1052 Depth=1
	v_ffbh_u32_e32 v3, v3
	v_min_u32_e32 v3, 32, v3
	v_subrev_nc_u32_e32 v41, 28, v3
	v_lshlrev_b64 v[44:45], v41, v[2:3]
	v_sub_nc_u32_e32 v41, 29, v3
	v_and_b32_e32 v3, 7, v44
; %bb.1897:                             ;   in Loop: Header=BB298_1052 Depth=1
	s_or_b32 exec_lo, exec_lo, s20
	v_lshlrev_b32_e32 v2, 8, v2
	v_lshl_add_u32 v41, v41, 10, 0x2000
	v_lshlrev_b32_e32 v3, 7, v3
	v_and_b32_e32 v2, 0x8000, v2
	v_and_b32_e32 v41, 0xfc00, v41
	v_or3_b32 v41, v2, v41, v3
.LBB298_1898:                           ;   in Loop: Header=BB298_1052 Depth=1
	s_or_b32 exec_lo, exec_lo, s19
.LBB298_1899:                           ;   in Loop: Header=BB298_1052 Depth=1
	s_or_b32 exec_lo, exec_lo, s18
.LBB298_1900:                           ;   in Loop: Header=BB298_1052 Depth=1
	s_or_b32 exec_lo, exec_lo, s15
	v_mov_b32_e32 v2, 0
	s_mov_b32 s15, exec_lo
	v_cmpx_lt_u64_e64 s[6:7], v[11:12]
	s_cbranch_execz .LBB298_1908
; %bb.1901:                             ;   in Loop: Header=BB298_1052 Depth=1
	v_lshrrev_b32_e32 v3, 24, v12
	v_bfrev_b32_e32 v2, 1
	s_mov_b32 s18, exec_lo
	v_cmpx_ne_u32_e32 0x80, v3
	s_cbranch_execz .LBB298_1907
; %bb.1902:                             ;   in Loop: Header=BB298_1052 Depth=1
	v_and_b32_e32 v12, 0x7f, v3
	v_mov_b32_e32 v2, 0x7c010000
	s_mov_b32 s19, exec_lo
	v_cmpx_ne_u32_e32 0x7f, v12
	s_cbranch_execz .LBB298_1906
; %bb.1903:                             ;   in Loop: Header=BB298_1052 Depth=1
	v_and_b32_e32 v2, 7, v3
	v_lshrrev_b32_e32 v11, 3, v12
	s_mov_b32 s20, exec_lo
	v_cmpx_gt_u32_e32 8, v12
; %bb.1904:                             ;   in Loop: Header=BB298_1052 Depth=1
	v_ffbh_u32_e32 v2, v2
	v_min_u32_e32 v2, 32, v2
	v_subrev_nc_u32_e32 v11, 28, v2
	v_lshlrev_b64 v[44:45], v11, v[3:4]
	v_sub_nc_u32_e32 v11, 29, v2
	v_and_b32_e32 v2, 7, v44
; %bb.1905:                             ;   in Loop: Header=BB298_1052 Depth=1
	s_or_b32 exec_lo, exec_lo, s20
	v_lshlrev_b32_e32 v3, 8, v3
	v_lshl_add_u32 v11, v11, 10, 0x2000
	v_lshlrev_b32_e32 v2, 23, v2
	v_and_or_b32 v3, 0x8000, v3, v11
	v_lshl_or_b32 v2, v3, 16, v2
.LBB298_1906:                           ;   in Loop: Header=BB298_1052 Depth=1
	s_or_b32 exec_lo, exec_lo, s19
.LBB298_1907:                           ;   in Loop: Header=BB298_1052 Depth=1
	s_or_b32 exec_lo, exec_lo, s18
.LBB298_1908:                           ;   in Loop: Header=BB298_1052 Depth=1
	s_or_b32 exec_lo, exec_lo, s15
	v_or_b32_e32 v3, v119, v40
	s_waitcnt vmcnt(0) lgkmcnt(0)
	v_fma_mixlo_f16 v11, v29, v119, 0 op_sel:[0,1,0] op_sel_hi:[0,1,0]
	v_or_b32_e32 v12, v117, v118
	v_or_b32_e32 v118, v43, v42
	;; [unrolled: 1-line block ×3, first 2 shown]
	v_fma_mixlo_f16 v119, v29, v3, 0 op_sel_hi:[0,1,0]
	v_fma_mixlo_f16 v117, v29, v117, 0 op_sel:[0,1,0] op_sel_hi:[0,1,0]
	v_lshlrev_b32_e32 v3, 16, v11
	v_fma_mixlo_f16 v12, v29, v12, 0 op_sel_hi:[0,1,0]
	v_fma_mixlo_f16 v118, v29, v118, 0 op_sel_hi:[0,1,0]
	v_and_b32_e32 v11, 0xffff, v119
	v_fma_mixlo_f16 v119, v29, v43, 0 op_sel:[0,1,0] op_sel_hi:[0,1,0]
	v_fma_mixlo_f16 v2, v29, v2, 0 op_sel:[0,1,0] op_sel_hi:[0,1,0]
	v_fma_mixlo_f16 v29, v29, v40, 0 op_sel_hi:[0,1,0]
	v_lshlrev_b32_e32 v117, 16, v117
	v_and_b32_e32 v43, 0xffff, v12
	v_lshlrev_b32_e32 v12, 16, v119
	v_and_b32_e32 v119, 0xffff, v118
	v_lshlrev_b32_e32 v2, 16, v2
	v_and_b32_e32 v29, 0xffff, v29
	v_or_b32_e32 v118, v3, v11
	v_or_b32_e32 v42, v117, v43
	;; [unrolled: 1-line block ×4, first 2 shown]
	s_and_saveexec_b32 s15, vcc_lo
	s_cbranch_execz .LBB298_1910
; %bb.1909:                             ;   in Loop: Header=BB298_1052 Depth=1
	v_cmp_lt_i32_e64 s4, v64, v28
	v_cndmask_b32_e64 v118, 0, v43, s4
	v_cmp_lt_i32_e64 s4, v84, v28
	v_cndmask_b32_e64 v117, 0, v117, s4
	v_cmp_lt_i32_e64 s4, v83, v28
	v_or_b32_e32 v42, v118, v117
	v_cndmask_b32_e64 v11, 0, v11, s4
	v_cmp_lt_i32_e64 s4, v82, v28
	v_cndmask_b32_e64 v3, 0, v3, s4
	v_cmp_lt_i32_e64 s4, v81, v28
	v_or_b32_e32 v118, v11, v3
	;; [unrolled: 5-line block ×3, first 2 shown]
	v_cndmask_b32_e64 v29, 0, v29, s4
	v_cmp_lt_i32_e64 s4, v31, v28
	v_cndmask_b32_e64 v2, 0, v2, s4
	v_or_b32_e32 v40, v29, v2
.LBB298_1910:                           ;   in Loop: Header=BB298_1052 Depth=1
	s_or_b32 exec_lo, exec_lo, s15
	;;#ASMSTART
	v_pk_mul_f16 v2, v69, v42;

	;;#ASMEND
	;;#ASMSTART
	v_pk_mul_f16 v3, v67, v118;

	;;#ASMEND
	;; [unrolled: 4-line block ×4, first 2 shown]
	;;#ASMSTART
	v_pk_add_f16 v2, v2, v3;

	;;#ASMEND
	;;#ASMSTART
	v_pk_add_f16 v2, v2, v11;

	;;#ASMEND
	;;#ASMSTART
	v_pk_add_f16 v2, v2, v12;

	;;#ASMEND
	v_and_b32_e32 v3, 0xffff, v2
	v_lshrrev_b32_e32 v2, 16, v2
	;;#ASMSTART
	v_cvt_f32_f16 v29, v3;
	;;#ASMEND
	;;#ASMSTART
	v_cvt_f32_f16 v117, v2;
	;;#ASMEND
	flat_load_dwordx2 v[11:12], v[9:10] offset:1280
	flat_load_dword v118, v[22:23]
	v_mov_b32_e32 v119, 0
	v_mov_b32_e32 v40, 0
	s_waitcnt vmcnt(1) lgkmcnt(1)
	v_cmp_ne_u16_sdwa s4, v11, v4 src0_sel:BYTE_0 src1_sel:DWORD
	s_and_saveexec_b32 s15, s4
	s_cbranch_execz .LBB298_1918
; %bb.1911:                             ;   in Loop: Header=BB298_1052 Depth=1
	v_cmp_ne_u16_sdwa s4, v11, v51 src0_sel:BYTE_0 src1_sel:DWORD
	v_mov_b32_e32 v40, 0x8000
	s_and_saveexec_b32 s18, s4
	s_cbranch_execz .LBB298_1917
; %bb.1912:                             ;   in Loop: Header=BB298_1052 Depth=1
	v_and_b32_e32 v41, 0x7f, v11
	v_mov_b32_e32 v40, 0x7c01
	s_mov_b32 s19, exec_lo
	v_cmpx_ne_u32_e32 0x7f, v41
	s_cbranch_execz .LBB298_1916
; %bb.1913:                             ;   in Loop: Header=BB298_1052 Depth=1
	v_and_b32_e32 v2, 7, v11
	v_lshrrev_b32_e32 v3, 3, v41
	s_mov_b32 s20, exec_lo
	v_cmpx_gt_u32_e32 8, v41
; %bb.1914:                             ;   in Loop: Header=BB298_1052 Depth=1
	v_ffbh_u32_e32 v2, v2
	v_min_u32_e32 v40, 32, v2
	v_subrev_nc_u32_e32 v2, 28, v40
	v_lshlrev_b64 v[2:3], v2, v[11:12]
	v_sub_nc_u32_e32 v3, 29, v40
	v_and_b32_e32 v2, 7, v2
; %bb.1915:                             ;   in Loop: Header=BB298_1052 Depth=1
	s_or_b32 exec_lo, exec_lo, s20
	v_lshlrev_b32_e32 v40, 8, v11
	v_lshl_add_u32 v3, v3, 10, 0x2000
	v_lshlrev_b32_e32 v2, 7, v2
	v_and_b32_e32 v40, 0x8000, v40
	v_and_b32_e32 v3, 0xfc00, v3
	v_or3_b32 v40, v40, v3, v2
.LBB298_1916:                           ;   in Loop: Header=BB298_1052 Depth=1
	s_or_b32 exec_lo, exec_lo, s19
.LBB298_1917:                           ;   in Loop: Header=BB298_1052 Depth=1
	s_or_b32 exec_lo, exec_lo, s18
.LBB298_1918:                           ;   in Loop: Header=BB298_1052 Depth=1
	s_or_b32 exec_lo, exec_lo, s15
	v_lshrrev_b16 v3, 8, v11
	s_mov_b32 s15, exec_lo
	v_cmpx_ne_u16_e32 0, v3
	s_cbranch_execz .LBB298_1926
; %bb.1919:                             ;   in Loop: Header=BB298_1052 Depth=1
	v_bfrev_b32_e32 v119, 1
	s_mov_b32 s18, exec_lo
	v_cmpx_ne_u16_e32 0x80, v3
	s_cbranch_execz .LBB298_1925
; %bb.1920:                             ;   in Loop: Header=BB298_1052 Depth=1
	v_and_b32_sdwa v41, v3, v52 dst_sel:DWORD dst_unused:UNUSED_PAD src0_sel:WORD_0 src1_sel:DWORD
	v_mov_b32_e32 v119, 0x7c010000
	s_mov_b32 s19, exec_lo
	v_cmpx_ne_u32_e32 0x7f, v41
	s_cbranch_execz .LBB298_1924
; %bb.1921:                             ;   in Loop: Header=BB298_1052 Depth=1
	v_and_b32_sdwa v2, v3, v53 dst_sel:DWORD dst_unused:UNUSED_PAD src0_sel:WORD_0 src1_sel:DWORD
	v_lshrrev_b32_e32 v119, 3, v41
	s_mov_b32 s20, exec_lo
	v_cmpx_gt_u32_e32 8, v41
; %bb.1922:                             ;   in Loop: Header=BB298_1052 Depth=1
	v_ffbh_u32_e32 v2, v2
	v_min_u32_e32 v2, 32, v2
	v_subrev_nc_u32_e32 v119, 28, v2
	v_lshlrev_b64 v[41:42], v119, v[3:4]
	v_sub_nc_u32_e32 v119, 29, v2
	v_and_b32_e32 v2, 7, v41
; %bb.1923:                             ;   in Loop: Header=BB298_1052 Depth=1
	s_or_b32 exec_lo, exec_lo, s20
	v_lshlrev_b32_sdwa v3, v54, v3 dst_sel:DWORD dst_unused:UNUSED_PAD src0_sel:DWORD src1_sel:WORD_0
	v_lshl_add_u32 v119, v119, 10, 0x2000
	v_lshlrev_b32_e32 v2, 23, v2
	v_and_or_b32 v3, 0x8000, v3, v119
	v_lshl_or_b32 v119, v3, 16, v2
.LBB298_1924:                           ;   in Loop: Header=BB298_1052 Depth=1
	s_or_b32 exec_lo, exec_lo, s19
.LBB298_1925:                           ;   in Loop: Header=BB298_1052 Depth=1
	s_or_b32 exec_lo, exec_lo, s18
.LBB298_1926:                           ;   in Loop: Header=BB298_1052 Depth=1
	s_or_b32 exec_lo, exec_lo, s15
	v_lshrrev_b32_e32 v2, 16, v11
	v_mov_b32_e32 v41, 0
	v_mov_b32_e32 v42, 0
	v_cmp_ne_u16_sdwa s4, v2, v4 src0_sel:BYTE_0 src1_sel:DWORD
	s_and_saveexec_b32 s15, s4
	s_cbranch_execz .LBB298_1934
; %bb.1927:                             ;   in Loop: Header=BB298_1052 Depth=1
	v_cmp_ne_u16_sdwa s4, v2, v51 src0_sel:BYTE_0 src1_sel:DWORD
	v_mov_b32_e32 v42, 0x8000
	s_and_saveexec_b32 s18, s4
	s_cbranch_execz .LBB298_1933
; %bb.1928:                             ;   in Loop: Header=BB298_1052 Depth=1
	v_bfe_u32 v43, v11, 16, 7
	v_mov_b32_e32 v42, 0x7c01
	s_mov_b32 s19, exec_lo
	v_cmpx_ne_u32_e32 0x7f, v43
	s_cbranch_execz .LBB298_1932
; %bb.1929:                             ;   in Loop: Header=BB298_1052 Depth=1
	v_and_b32_e32 v3, 7, v2
	v_lshrrev_b32_e32 v42, 3, v43
	s_mov_b32 s20, exec_lo
	v_cmpx_gt_u32_e32 8, v43
; %bb.1930:                             ;   in Loop: Header=BB298_1052 Depth=1
	v_ffbh_u32_e32 v3, v3
	v_min_u32_e32 v3, 32, v3
	v_subrev_nc_u32_e32 v42, 28, v3
	v_lshlrev_b64 v[43:44], v42, v[2:3]
	v_sub_nc_u32_e32 v42, 29, v3
	v_and_b32_e32 v3, 7, v43
; %bb.1931:                             ;   in Loop: Header=BB298_1052 Depth=1
	s_or_b32 exec_lo, exec_lo, s20
	v_lshlrev_b32_e32 v2, 8, v2
	v_lshl_add_u32 v42, v42, 10, 0x2000
	v_lshlrev_b32_e32 v3, 7, v3
	v_and_b32_e32 v2, 0x8000, v2
	v_and_b32_e32 v42, 0xfc00, v42
	v_or3_b32 v42, v2, v42, v3
.LBB298_1932:                           ;   in Loop: Header=BB298_1052 Depth=1
	s_or_b32 exec_lo, exec_lo, s19
.LBB298_1933:                           ;   in Loop: Header=BB298_1052 Depth=1
	s_or_b32 exec_lo, exec_lo, s18
.LBB298_1934:                           ;   in Loop: Header=BB298_1052 Depth=1
	s_or_b32 exec_lo, exec_lo, s15
	s_mov_b32 s15, exec_lo
	v_cmpx_lt_u32_e32 0xffffff, v11
	s_cbranch_execz .LBB298_1942
; %bb.1935:                             ;   in Loop: Header=BB298_1052 Depth=1
	v_lshrrev_b32_e32 v3, 24, v11
	v_bfrev_b32_e32 v41, 1
	s_mov_b32 s18, exec_lo
	v_cmpx_ne_u32_e32 0x80, v3
	s_cbranch_execz .LBB298_1941
; %bb.1936:                             ;   in Loop: Header=BB298_1052 Depth=1
	v_and_b32_e32 v43, 0x7f, v3
	v_mov_b32_e32 v41, 0x7c010000
	s_mov_b32 s19, exec_lo
	v_cmpx_ne_u32_e32 0x7f, v43
	s_cbranch_execz .LBB298_1940
; %bb.1937:                             ;   in Loop: Header=BB298_1052 Depth=1
	v_and_b32_e32 v2, 7, v3
	v_lshrrev_b32_e32 v41, 3, v43
	s_mov_b32 s20, exec_lo
	v_cmpx_gt_u32_e32 8, v43
; %bb.1938:                             ;   in Loop: Header=BB298_1052 Depth=1
	v_ffbh_u32_e32 v2, v2
	v_min_u32_e32 v2, 32, v2
	v_subrev_nc_u32_e32 v41, 28, v2
	v_lshlrev_b64 v[43:44], v41, v[3:4]
	v_sub_nc_u32_e32 v41, 29, v2
	v_and_b32_e32 v2, 7, v43
; %bb.1939:                             ;   in Loop: Header=BB298_1052 Depth=1
	s_or_b32 exec_lo, exec_lo, s20
	v_lshlrev_b32_e32 v3, 8, v3
	v_lshl_add_u32 v41, v41, 10, 0x2000
	v_lshlrev_b32_e32 v2, 23, v2
	v_and_or_b32 v3, 0x8000, v3, v41
	v_lshl_or_b32 v41, v3, 16, v2
.LBB298_1940:                           ;   in Loop: Header=BB298_1052 Depth=1
	s_or_b32 exec_lo, exec_lo, s19
.LBB298_1941:                           ;   in Loop: Header=BB298_1052 Depth=1
	s_or_b32 exec_lo, exec_lo, s18
.LBB298_1942:                           ;   in Loop: Header=BB298_1052 Depth=1
	s_or_b32 exec_lo, exec_lo, s15
	v_mov_b32_e32 v3, v12
	v_cmp_ne_u16_sdwa s4, v12, v4 src0_sel:BYTE_0 src1_sel:DWORD
	v_mov_b32_e32 v43, 0
	v_mov_b32_e32 v44, 0
	s_and_saveexec_b32 s15, s4
	s_cbranch_execz .LBB298_1950
; %bb.1943:                             ;   in Loop: Header=BB298_1052 Depth=1
	v_cmp_ne_u16_sdwa s4, v12, v51 src0_sel:BYTE_0 src1_sel:DWORD
	v_mov_b32_e32 v44, 0x8000
	s_and_saveexec_b32 s18, s4
	s_cbranch_execz .LBB298_1949
; %bb.1944:                             ;   in Loop: Header=BB298_1052 Depth=1
	v_and_b32_e32 v45, 0x7f, v12
	v_mov_b32_e32 v44, 0x7c01
	s_mov_b32 s19, exec_lo
	v_cmpx_ne_u32_e32 0x7f, v45
	s_cbranch_execz .LBB298_1948
; %bb.1945:                             ;   in Loop: Header=BB298_1052 Depth=1
	v_and_b32_e32 v2, 7, v12
	v_lshrrev_b32_e32 v44, 3, v45
	s_mov_b32 s20, exec_lo
	v_cmpx_gt_u32_e32 8, v45
; %bb.1946:                             ;   in Loop: Header=BB298_1052 Depth=1
	v_ffbh_u32_e32 v2, v2
	v_min_u32_e32 v2, 32, v2
	v_subrev_nc_u32_e32 v44, 28, v2
	v_lshlrev_b64 v[45:46], v44, v[3:4]
	v_sub_nc_u32_e32 v44, 29, v2
	v_and_b32_e32 v2, 7, v45
; %bb.1947:                             ;   in Loop: Header=BB298_1052 Depth=1
	s_or_b32 exec_lo, exec_lo, s20
	v_lshlrev_b32_e32 v45, 8, v12
	v_lshl_add_u32 v44, v44, 10, 0x2000
	v_lshlrev_b32_e32 v2, 7, v2
	v_and_b32_e32 v45, 0x8000, v45
	v_and_b32_e32 v44, 0xfc00, v44
	v_or3_b32 v44, v45, v44, v2
.LBB298_1948:                           ;   in Loop: Header=BB298_1052 Depth=1
	s_or_b32 exec_lo, exec_lo, s19
.LBB298_1949:                           ;   in Loop: Header=BB298_1052 Depth=1
	s_or_b32 exec_lo, exec_lo, s18
.LBB298_1950:                           ;   in Loop: Header=BB298_1052 Depth=1
	s_or_b32 exec_lo, exec_lo, s15
	v_lshrrev_b16 v3, 8, v3
	v_mov_b32_e32 v45, 0
	s_mov_b32 s15, exec_lo
	v_cmpx_ne_u16_e32 0, v3
	s_cbranch_execz .LBB298_1958
; %bb.1951:                             ;   in Loop: Header=BB298_1052 Depth=1
	v_bfrev_b32_e32 v45, 1
	s_mov_b32 s18, exec_lo
	v_cmpx_ne_u16_e32 0x80, v3
	s_cbranch_execz .LBB298_1957
; %bb.1952:                             ;   in Loop: Header=BB298_1052 Depth=1
	v_and_b32_sdwa v46, v3, v52 dst_sel:DWORD dst_unused:UNUSED_PAD src0_sel:WORD_0 src1_sel:DWORD
	v_mov_b32_e32 v45, 0x7c010000
	s_mov_b32 s19, exec_lo
	v_cmpx_ne_u32_e32 0x7f, v46
	s_cbranch_execz .LBB298_1956
; %bb.1953:                             ;   in Loop: Header=BB298_1052 Depth=1
	v_and_b32_sdwa v2, v3, v53 dst_sel:DWORD dst_unused:UNUSED_PAD src0_sel:WORD_0 src1_sel:DWORD
	v_lshrrev_b32_e32 v45, 3, v46
	s_mov_b32 s20, exec_lo
	v_cmpx_gt_u32_e32 8, v46
; %bb.1954:                             ;   in Loop: Header=BB298_1052 Depth=1
	v_ffbh_u32_e32 v2, v2
	v_min_u32_e32 v2, 32, v2
	v_subrev_nc_u32_e32 v45, 28, v2
	v_lshlrev_b64 v[46:47], v45, v[3:4]
	v_sub_nc_u32_e32 v45, 29, v2
	v_and_b32_e32 v2, 7, v46
; %bb.1955:                             ;   in Loop: Header=BB298_1052 Depth=1
	s_or_b32 exec_lo, exec_lo, s20
	v_lshlrev_b32_sdwa v3, v54, v3 dst_sel:DWORD dst_unused:UNUSED_PAD src0_sel:DWORD src1_sel:WORD_0
	v_lshl_add_u32 v45, v45, 10, 0x2000
	v_lshlrev_b32_e32 v2, 23, v2
	v_and_or_b32 v3, 0x8000, v3, v45
	v_lshl_or_b32 v45, v3, 16, v2
.LBB298_1956:                           ;   in Loop: Header=BB298_1052 Depth=1
	s_or_b32 exec_lo, exec_lo, s19
.LBB298_1957:                           ;   in Loop: Header=BB298_1052 Depth=1
	s_or_b32 exec_lo, exec_lo, s18
.LBB298_1958:                           ;   in Loop: Header=BB298_1052 Depth=1
	s_or_b32 exec_lo, exec_lo, s15
	v_lshrrev_b32_e32 v2, 16, v12
	v_cmp_ne_u16_sdwa s4, v2, v4 src0_sel:BYTE_0 src1_sel:DWORD
	s_and_saveexec_b32 s15, s4
	s_cbranch_execz .LBB298_1966
; %bb.1959:                             ;   in Loop: Header=BB298_1052 Depth=1
	v_cmp_ne_u16_sdwa s4, v2, v51 src0_sel:BYTE_0 src1_sel:DWORD
	v_mov_b32_e32 v43, 0x8000
	s_and_saveexec_b32 s18, s4
	s_cbranch_execz .LBB298_1965
; %bb.1960:                             ;   in Loop: Header=BB298_1052 Depth=1
	v_bfe_u32 v46, v12, 16, 7
	v_mov_b32_e32 v43, 0x7c01
	s_mov_b32 s19, exec_lo
	v_cmpx_ne_u32_e32 0x7f, v46
	s_cbranch_execz .LBB298_1964
; %bb.1961:                             ;   in Loop: Header=BB298_1052 Depth=1
	v_and_b32_e32 v3, 7, v2
	v_lshrrev_b32_e32 v43, 3, v46
	s_mov_b32 s20, exec_lo
	v_cmpx_gt_u32_e32 8, v46
; %bb.1962:                             ;   in Loop: Header=BB298_1052 Depth=1
	v_ffbh_u32_e32 v3, v3
	v_min_u32_e32 v3, 32, v3
	v_subrev_nc_u32_e32 v43, 28, v3
	v_lshlrev_b64 v[46:47], v43, v[2:3]
	v_sub_nc_u32_e32 v43, 29, v3
	v_and_b32_e32 v3, 7, v46
; %bb.1963:                             ;   in Loop: Header=BB298_1052 Depth=1
	s_or_b32 exec_lo, exec_lo, s20
	v_lshlrev_b32_e32 v2, 8, v2
	v_lshl_add_u32 v43, v43, 10, 0x2000
	v_lshlrev_b32_e32 v3, 7, v3
	v_and_b32_e32 v2, 0x8000, v2
	v_and_b32_e32 v43, 0xfc00, v43
	v_or3_b32 v43, v2, v43, v3
.LBB298_1964:                           ;   in Loop: Header=BB298_1052 Depth=1
	s_or_b32 exec_lo, exec_lo, s19
.LBB298_1965:                           ;   in Loop: Header=BB298_1052 Depth=1
	s_or_b32 exec_lo, exec_lo, s18
.LBB298_1966:                           ;   in Loop: Header=BB298_1052 Depth=1
	s_or_b32 exec_lo, exec_lo, s15
	v_mov_b32_e32 v2, 0
	s_mov_b32 s15, exec_lo
	v_cmpx_lt_u64_e64 s[6:7], v[11:12]
	s_cbranch_execz .LBB298_1974
; %bb.1967:                             ;   in Loop: Header=BB298_1052 Depth=1
	v_lshrrev_b32_e32 v3, 24, v12
	v_bfrev_b32_e32 v2, 1
	s_mov_b32 s18, exec_lo
	v_cmpx_ne_u32_e32 0x80, v3
	s_cbranch_execz .LBB298_1973
; %bb.1968:                             ;   in Loop: Header=BB298_1052 Depth=1
	v_and_b32_e32 v12, 0x7f, v3
	v_mov_b32_e32 v2, 0x7c010000
	s_mov_b32 s19, exec_lo
	v_cmpx_ne_u32_e32 0x7f, v12
	s_cbranch_execz .LBB298_1972
; %bb.1969:                             ;   in Loop: Header=BB298_1052 Depth=1
	v_and_b32_e32 v2, 7, v3
	v_lshrrev_b32_e32 v11, 3, v12
	s_mov_b32 s20, exec_lo
	v_cmpx_gt_u32_e32 8, v12
; %bb.1970:                             ;   in Loop: Header=BB298_1052 Depth=1
	v_ffbh_u32_e32 v2, v2
	v_min_u32_e32 v2, 32, v2
	v_subrev_nc_u32_e32 v11, 28, v2
	v_lshlrev_b64 v[46:47], v11, v[3:4]
	v_sub_nc_u32_e32 v11, 29, v2
	v_and_b32_e32 v2, 7, v46
; %bb.1971:                             ;   in Loop: Header=BB298_1052 Depth=1
	s_or_b32 exec_lo, exec_lo, s20
	v_lshlrev_b32_e32 v3, 8, v3
	v_lshl_add_u32 v11, v11, 10, 0x2000
	v_lshlrev_b32_e32 v2, 23, v2
	v_and_or_b32 v3, 0x8000, v3, v11
	v_lshl_or_b32 v2, v3, 16, v2
.LBB298_1972:                           ;   in Loop: Header=BB298_1052 Depth=1
	s_or_b32 exec_lo, exec_lo, s19
.LBB298_1973:                           ;   in Loop: Header=BB298_1052 Depth=1
	s_or_b32 exec_lo, exec_lo, s18
.LBB298_1974:                           ;   in Loop: Header=BB298_1052 Depth=1
	s_or_b32 exec_lo, exec_lo, s15
	v_or_b32_e32 v3, v41, v42
	s_waitcnt vmcnt(0) lgkmcnt(0)
	v_fma_mixlo_f16 v11, v118, v41, 0 op_sel:[0,1,0] op_sel_hi:[0,1,0]
	v_or_b32_e32 v12, v119, v40
	v_or_b32_e32 v40, v45, v44
	;; [unrolled: 1-line block ×3, first 2 shown]
	v_fma_mixlo_f16 v41, v118, v3, 0 op_sel_hi:[0,1,0]
	v_fma_mixlo_f16 v119, v118, v119, 0 op_sel:[0,1,0] op_sel_hi:[0,1,0]
	v_lshlrev_b32_e32 v3, 16, v11
	v_fma_mixlo_f16 v12, v118, v12, 0 op_sel_hi:[0,1,0]
	v_fma_mixlo_f16 v40, v118, v40, 0 op_sel_hi:[0,1,0]
	v_and_b32_e32 v11, 0xffff, v41
	v_fma_mixlo_f16 v41, v118, v45, 0 op_sel:[0,1,0] op_sel_hi:[0,1,0]
	v_fma_mixlo_f16 v2, v118, v2, 0 op_sel:[0,1,0] op_sel_hi:[0,1,0]
	v_fma_mixlo_f16 v118, v118, v42, 0 op_sel_hi:[0,1,0]
	v_lshlrev_b32_e32 v119, 16, v119
	v_and_b32_e32 v45, 0xffff, v12
	v_lshlrev_b32_e32 v12, 16, v41
	v_and_b32_e32 v41, 0xffff, v40
	;; [unrolled: 2-line block ×3, first 2 shown]
	v_or_b32_e32 v40, v3, v11
	v_or_b32_e32 v44, v119, v45
	;; [unrolled: 1-line block ×4, first 2 shown]
	s_and_saveexec_b32 s15, vcc_lo
	s_cbranch_execz .LBB298_1976
; %bb.1975:                             ;   in Loop: Header=BB298_1052 Depth=1
	v_cmp_lt_i32_e64 s4, v64, v28
	v_cndmask_b32_e64 v40, 0, v45, s4
	v_cmp_lt_i32_e64 s4, v84, v28
	v_cndmask_b32_e64 v119, 0, v119, s4
	v_cmp_lt_i32_e64 s4, v83, v28
	v_or_b32_e32 v44, v40, v119
	v_cndmask_b32_e64 v11, 0, v11, s4
	v_cmp_lt_i32_e64 s4, v82, v28
	v_cndmask_b32_e64 v3, 0, v3, s4
	v_cmp_lt_i32_e64 s4, v81, v28
	v_or_b32_e32 v40, v11, v3
	;; [unrolled: 5-line block ×3, first 2 shown]
	v_cndmask_b32_e64 v118, 0, v118, s4
	v_cmp_lt_i32_e64 s4, v31, v28
	v_cndmask_b32_e64 v2, 0, v2, s4
	v_or_b32_e32 v42, v118, v2
.LBB298_1976:                           ;   in Loop: Header=BB298_1052 Depth=1
	s_or_b32 exec_lo, exec_lo, s15
	;;#ASMSTART
	v_pk_mul_f16 v2, v69, v44;

	;;#ASMEND
	;;#ASMSTART
	v_pk_mul_f16 v3, v67, v40;

	;;#ASMEND
	;; [unrolled: 4-line block ×4, first 2 shown]
	;;#ASMSTART
	v_pk_add_f16 v2, v2, v3;

	;;#ASMEND
	;;#ASMSTART
	v_pk_add_f16 v2, v2, v11;

	;;#ASMEND
	;; [unrolled: 4-line block ×3, first 2 shown]
	v_and_b32_e32 v3, 0xffff, v2
	v_lshrrev_b32_e32 v2, 16, v2
	;;#ASMSTART
	v_cvt_f32_f16 v118, v3;
	;;#ASMEND
	;;#ASMSTART
	v_cvt_f32_f16 v119, v2;
	;;#ASMEND
	flat_load_dwordx2 v[11:12], v[9:10] offset:1536
	flat_load_dword v40, v[22:23]
	v_mov_b32_e32 v41, 0
	v_mov_b32_e32 v42, 0
	s_waitcnt vmcnt(1) lgkmcnt(1)
	v_cmp_ne_u16_sdwa s4, v11, v4 src0_sel:BYTE_0 src1_sel:DWORD
	s_and_saveexec_b32 s15, s4
	s_cbranch_execz .LBB298_1984
; %bb.1977:                             ;   in Loop: Header=BB298_1052 Depth=1
	v_cmp_ne_u16_sdwa s4, v11, v51 src0_sel:BYTE_0 src1_sel:DWORD
	v_mov_b32_e32 v42, 0x8000
	s_and_saveexec_b32 s18, s4
	s_cbranch_execz .LBB298_1983
; %bb.1978:                             ;   in Loop: Header=BB298_1052 Depth=1
	v_and_b32_e32 v43, 0x7f, v11
	v_mov_b32_e32 v42, 0x7c01
	s_mov_b32 s19, exec_lo
	v_cmpx_ne_u32_e32 0x7f, v43
	s_cbranch_execz .LBB298_1982
; %bb.1979:                             ;   in Loop: Header=BB298_1052 Depth=1
	v_and_b32_e32 v2, 7, v11
	v_lshrrev_b32_e32 v3, 3, v43
	s_mov_b32 s20, exec_lo
	v_cmpx_gt_u32_e32 8, v43
; %bb.1980:                             ;   in Loop: Header=BB298_1052 Depth=1
	v_ffbh_u32_e32 v2, v2
	v_min_u32_e32 v42, 32, v2
	v_subrev_nc_u32_e32 v2, 28, v42
	v_lshlrev_b64 v[2:3], v2, v[11:12]
	v_sub_nc_u32_e32 v3, 29, v42
	v_and_b32_e32 v2, 7, v2
; %bb.1981:                             ;   in Loop: Header=BB298_1052 Depth=1
	s_or_b32 exec_lo, exec_lo, s20
	v_lshlrev_b32_e32 v42, 8, v11
	v_lshl_add_u32 v3, v3, 10, 0x2000
	v_lshlrev_b32_e32 v2, 7, v2
	v_and_b32_e32 v42, 0x8000, v42
	v_and_b32_e32 v3, 0xfc00, v3
	v_or3_b32 v42, v42, v3, v2
.LBB298_1982:                           ;   in Loop: Header=BB298_1052 Depth=1
	s_or_b32 exec_lo, exec_lo, s19
.LBB298_1983:                           ;   in Loop: Header=BB298_1052 Depth=1
	s_or_b32 exec_lo, exec_lo, s18
.LBB298_1984:                           ;   in Loop: Header=BB298_1052 Depth=1
	s_or_b32 exec_lo, exec_lo, s15
	v_lshrrev_b16 v3, 8, v11
	s_mov_b32 s15, exec_lo
	v_cmpx_ne_u16_e32 0, v3
	s_cbranch_execz .LBB298_1992
; %bb.1985:                             ;   in Loop: Header=BB298_1052 Depth=1
	v_bfrev_b32_e32 v41, 1
	s_mov_b32 s18, exec_lo
	v_cmpx_ne_u16_e32 0x80, v3
	s_cbranch_execz .LBB298_1991
; %bb.1986:                             ;   in Loop: Header=BB298_1052 Depth=1
	v_and_b32_sdwa v43, v3, v52 dst_sel:DWORD dst_unused:UNUSED_PAD src0_sel:WORD_0 src1_sel:DWORD
	v_mov_b32_e32 v41, 0x7c010000
	s_mov_b32 s19, exec_lo
	v_cmpx_ne_u32_e32 0x7f, v43
	s_cbranch_execz .LBB298_1990
; %bb.1987:                             ;   in Loop: Header=BB298_1052 Depth=1
	v_and_b32_sdwa v2, v3, v53 dst_sel:DWORD dst_unused:UNUSED_PAD src0_sel:WORD_0 src1_sel:DWORD
	v_lshrrev_b32_e32 v41, 3, v43
	s_mov_b32 s20, exec_lo
	v_cmpx_gt_u32_e32 8, v43
; %bb.1988:                             ;   in Loop: Header=BB298_1052 Depth=1
	v_ffbh_u32_e32 v2, v2
	v_min_u32_e32 v2, 32, v2
	v_subrev_nc_u32_e32 v41, 28, v2
	v_lshlrev_b64 v[43:44], v41, v[3:4]
	v_sub_nc_u32_e32 v41, 29, v2
	v_and_b32_e32 v2, 7, v43
; %bb.1989:                             ;   in Loop: Header=BB298_1052 Depth=1
	s_or_b32 exec_lo, exec_lo, s20
	v_lshlrev_b32_sdwa v3, v54, v3 dst_sel:DWORD dst_unused:UNUSED_PAD src0_sel:DWORD src1_sel:WORD_0
	v_lshl_add_u32 v41, v41, 10, 0x2000
	v_lshlrev_b32_e32 v2, 23, v2
	v_and_or_b32 v3, 0x8000, v3, v41
	v_lshl_or_b32 v41, v3, 16, v2
.LBB298_1990:                           ;   in Loop: Header=BB298_1052 Depth=1
	s_or_b32 exec_lo, exec_lo, s19
.LBB298_1991:                           ;   in Loop: Header=BB298_1052 Depth=1
	s_or_b32 exec_lo, exec_lo, s18
.LBB298_1992:                           ;   in Loop: Header=BB298_1052 Depth=1
	s_or_b32 exec_lo, exec_lo, s15
	v_lshrrev_b32_e32 v2, 16, v11
	v_mov_b32_e32 v43, 0
	v_mov_b32_e32 v44, 0
	v_cmp_ne_u16_sdwa s4, v2, v4 src0_sel:BYTE_0 src1_sel:DWORD
	s_and_saveexec_b32 s15, s4
	s_cbranch_execz .LBB298_2000
; %bb.1993:                             ;   in Loop: Header=BB298_1052 Depth=1
	v_cmp_ne_u16_sdwa s4, v2, v51 src0_sel:BYTE_0 src1_sel:DWORD
	v_mov_b32_e32 v44, 0x8000
	s_and_saveexec_b32 s18, s4
	s_cbranch_execz .LBB298_1999
; %bb.1994:                             ;   in Loop: Header=BB298_1052 Depth=1
	v_bfe_u32 v45, v11, 16, 7
	v_mov_b32_e32 v44, 0x7c01
	s_mov_b32 s19, exec_lo
	v_cmpx_ne_u32_e32 0x7f, v45
	s_cbranch_execz .LBB298_1998
; %bb.1995:                             ;   in Loop: Header=BB298_1052 Depth=1
	v_and_b32_e32 v3, 7, v2
	v_lshrrev_b32_e32 v44, 3, v45
	s_mov_b32 s20, exec_lo
	v_cmpx_gt_u32_e32 8, v45
; %bb.1996:                             ;   in Loop: Header=BB298_1052 Depth=1
	v_ffbh_u32_e32 v3, v3
	v_min_u32_e32 v3, 32, v3
	v_subrev_nc_u32_e32 v44, 28, v3
	v_lshlrev_b64 v[45:46], v44, v[2:3]
	v_sub_nc_u32_e32 v44, 29, v3
	v_and_b32_e32 v3, 7, v45
; %bb.1997:                             ;   in Loop: Header=BB298_1052 Depth=1
	s_or_b32 exec_lo, exec_lo, s20
	v_lshlrev_b32_e32 v2, 8, v2
	v_lshl_add_u32 v44, v44, 10, 0x2000
	v_lshlrev_b32_e32 v3, 7, v3
	v_and_b32_e32 v2, 0x8000, v2
	v_and_b32_e32 v44, 0xfc00, v44
	v_or3_b32 v44, v2, v44, v3
.LBB298_1998:                           ;   in Loop: Header=BB298_1052 Depth=1
	s_or_b32 exec_lo, exec_lo, s19
.LBB298_1999:                           ;   in Loop: Header=BB298_1052 Depth=1
	s_or_b32 exec_lo, exec_lo, s18
.LBB298_2000:                           ;   in Loop: Header=BB298_1052 Depth=1
	s_or_b32 exec_lo, exec_lo, s15
	s_mov_b32 s15, exec_lo
	v_cmpx_lt_u32_e32 0xffffff, v11
	s_cbranch_execz .LBB298_2008
; %bb.2001:                             ;   in Loop: Header=BB298_1052 Depth=1
	v_lshrrev_b32_e32 v3, 24, v11
	v_bfrev_b32_e32 v43, 1
	s_mov_b32 s18, exec_lo
	v_cmpx_ne_u32_e32 0x80, v3
	s_cbranch_execz .LBB298_2007
; %bb.2002:                             ;   in Loop: Header=BB298_1052 Depth=1
	v_and_b32_e32 v45, 0x7f, v3
	v_mov_b32_e32 v43, 0x7c010000
	s_mov_b32 s19, exec_lo
	v_cmpx_ne_u32_e32 0x7f, v45
	s_cbranch_execz .LBB298_2006
; %bb.2003:                             ;   in Loop: Header=BB298_1052 Depth=1
	v_and_b32_e32 v2, 7, v3
	v_lshrrev_b32_e32 v43, 3, v45
	s_mov_b32 s20, exec_lo
	v_cmpx_gt_u32_e32 8, v45
; %bb.2004:                             ;   in Loop: Header=BB298_1052 Depth=1
	v_ffbh_u32_e32 v2, v2
	v_min_u32_e32 v2, 32, v2
	v_subrev_nc_u32_e32 v43, 28, v2
	v_lshlrev_b64 v[45:46], v43, v[3:4]
	v_sub_nc_u32_e32 v43, 29, v2
	v_and_b32_e32 v2, 7, v45
; %bb.2005:                             ;   in Loop: Header=BB298_1052 Depth=1
	s_or_b32 exec_lo, exec_lo, s20
	v_lshlrev_b32_e32 v3, 8, v3
	v_lshl_add_u32 v43, v43, 10, 0x2000
	v_lshlrev_b32_e32 v2, 23, v2
	v_and_or_b32 v3, 0x8000, v3, v43
	v_lshl_or_b32 v43, v3, 16, v2
.LBB298_2006:                           ;   in Loop: Header=BB298_1052 Depth=1
	s_or_b32 exec_lo, exec_lo, s19
.LBB298_2007:                           ;   in Loop: Header=BB298_1052 Depth=1
	s_or_b32 exec_lo, exec_lo, s18
.LBB298_2008:                           ;   in Loop: Header=BB298_1052 Depth=1
	s_or_b32 exec_lo, exec_lo, s15
	v_mov_b32_e32 v3, v12
	v_cmp_ne_u16_sdwa s4, v12, v4 src0_sel:BYTE_0 src1_sel:DWORD
	v_mov_b32_e32 v45, 0
	v_mov_b32_e32 v46, 0
	s_and_saveexec_b32 s15, s4
	s_cbranch_execz .LBB298_2016
; %bb.2009:                             ;   in Loop: Header=BB298_1052 Depth=1
	v_cmp_ne_u16_sdwa s4, v12, v51 src0_sel:BYTE_0 src1_sel:DWORD
	v_mov_b32_e32 v46, 0x8000
	s_and_saveexec_b32 s18, s4
	s_cbranch_execz .LBB298_2015
; %bb.2010:                             ;   in Loop: Header=BB298_1052 Depth=1
	v_and_b32_e32 v47, 0x7f, v12
	v_mov_b32_e32 v46, 0x7c01
	s_mov_b32 s19, exec_lo
	v_cmpx_ne_u32_e32 0x7f, v47
	s_cbranch_execz .LBB298_2014
; %bb.2011:                             ;   in Loop: Header=BB298_1052 Depth=1
	v_and_b32_e32 v2, 7, v12
	v_lshrrev_b32_e32 v46, 3, v47
	s_mov_b32 s20, exec_lo
	v_cmpx_gt_u32_e32 8, v47
; %bb.2012:                             ;   in Loop: Header=BB298_1052 Depth=1
	v_ffbh_u32_e32 v2, v2
	v_min_u32_e32 v2, 32, v2
	v_subrev_nc_u32_e32 v46, 28, v2
	v_lshlrev_b64 v[56:57], v46, v[3:4]
	v_sub_nc_u32_e32 v46, 29, v2
	v_and_b32_e32 v2, 7, v56
; %bb.2013:                             ;   in Loop: Header=BB298_1052 Depth=1
	s_or_b32 exec_lo, exec_lo, s20
	v_lshlrev_b32_e32 v47, 8, v12
	v_lshl_add_u32 v46, v46, 10, 0x2000
	v_lshlrev_b32_e32 v2, 7, v2
	v_and_b32_e32 v47, 0x8000, v47
	v_and_b32_e32 v46, 0xfc00, v46
	v_or3_b32 v46, v47, v46, v2
.LBB298_2014:                           ;   in Loop: Header=BB298_1052 Depth=1
	s_or_b32 exec_lo, exec_lo, s19
.LBB298_2015:                           ;   in Loop: Header=BB298_1052 Depth=1
	s_or_b32 exec_lo, exec_lo, s18
.LBB298_2016:                           ;   in Loop: Header=BB298_1052 Depth=1
	s_or_b32 exec_lo, exec_lo, s15
	v_lshrrev_b16 v3, 8, v3
	v_mov_b32_e32 v47, 0
	s_mov_b32 s15, exec_lo
	v_cmpx_ne_u16_e32 0, v3
	s_cbranch_execz .LBB298_2024
; %bb.2017:                             ;   in Loop: Header=BB298_1052 Depth=1
	v_bfrev_b32_e32 v47, 1
	s_mov_b32 s18, exec_lo
	v_cmpx_ne_u16_e32 0x80, v3
	s_cbranch_execz .LBB298_2023
; %bb.2018:                             ;   in Loop: Header=BB298_1052 Depth=1
	v_and_b32_sdwa v56, v3, v52 dst_sel:DWORD dst_unused:UNUSED_PAD src0_sel:WORD_0 src1_sel:DWORD
	v_mov_b32_e32 v47, 0x7c010000
	s_mov_b32 s19, exec_lo
	v_cmpx_ne_u32_e32 0x7f, v56
	s_cbranch_execz .LBB298_2022
; %bb.2019:                             ;   in Loop: Header=BB298_1052 Depth=1
	v_and_b32_sdwa v2, v3, v53 dst_sel:DWORD dst_unused:UNUSED_PAD src0_sel:WORD_0 src1_sel:DWORD
	v_lshrrev_b32_e32 v47, 3, v56
	s_mov_b32 s20, exec_lo
	v_cmpx_gt_u32_e32 8, v56
; %bb.2020:                             ;   in Loop: Header=BB298_1052 Depth=1
	v_ffbh_u32_e32 v2, v2
	v_min_u32_e32 v2, 32, v2
	v_subrev_nc_u32_e32 v47, 28, v2
	v_lshlrev_b64 v[56:57], v47, v[3:4]
	v_sub_nc_u32_e32 v47, 29, v2
	v_and_b32_e32 v2, 7, v56
; %bb.2021:                             ;   in Loop: Header=BB298_1052 Depth=1
	s_or_b32 exec_lo, exec_lo, s20
	v_lshlrev_b32_sdwa v3, v54, v3 dst_sel:DWORD dst_unused:UNUSED_PAD src0_sel:DWORD src1_sel:WORD_0
	v_lshl_add_u32 v47, v47, 10, 0x2000
	v_lshlrev_b32_e32 v2, 23, v2
	v_and_or_b32 v3, 0x8000, v3, v47
	v_lshl_or_b32 v47, v3, 16, v2
.LBB298_2022:                           ;   in Loop: Header=BB298_1052 Depth=1
	s_or_b32 exec_lo, exec_lo, s19
.LBB298_2023:                           ;   in Loop: Header=BB298_1052 Depth=1
	s_or_b32 exec_lo, exec_lo, s18
.LBB298_2024:                           ;   in Loop: Header=BB298_1052 Depth=1
	s_or_b32 exec_lo, exec_lo, s15
	v_lshrrev_b32_e32 v2, 16, v12
	v_cmp_ne_u16_sdwa s4, v2, v4 src0_sel:BYTE_0 src1_sel:DWORD
	s_and_saveexec_b32 s15, s4
	s_cbranch_execz .LBB298_2032
; %bb.2025:                             ;   in Loop: Header=BB298_1052 Depth=1
	v_cmp_ne_u16_sdwa s4, v2, v51 src0_sel:BYTE_0 src1_sel:DWORD
	v_mov_b32_e32 v45, 0x8000
	s_and_saveexec_b32 s18, s4
	s_cbranch_execz .LBB298_2031
; %bb.2026:                             ;   in Loop: Header=BB298_1052 Depth=1
	v_bfe_u32 v56, v12, 16, 7
	v_mov_b32_e32 v45, 0x7c01
	s_mov_b32 s19, exec_lo
	v_cmpx_ne_u32_e32 0x7f, v56
	s_cbranch_execz .LBB298_2030
; %bb.2027:                             ;   in Loop: Header=BB298_1052 Depth=1
	v_and_b32_e32 v3, 7, v2
	v_lshrrev_b32_e32 v45, 3, v56
	s_mov_b32 s20, exec_lo
	v_cmpx_gt_u32_e32 8, v56
; %bb.2028:                             ;   in Loop: Header=BB298_1052 Depth=1
	v_ffbh_u32_e32 v3, v3
	v_min_u32_e32 v3, 32, v3
	v_subrev_nc_u32_e32 v45, 28, v3
	v_lshlrev_b64 v[56:57], v45, v[2:3]
	v_sub_nc_u32_e32 v45, 29, v3
	v_and_b32_e32 v3, 7, v56
; %bb.2029:                             ;   in Loop: Header=BB298_1052 Depth=1
	s_or_b32 exec_lo, exec_lo, s20
	v_lshlrev_b32_e32 v2, 8, v2
	v_lshl_add_u32 v45, v45, 10, 0x2000
	v_lshlrev_b32_e32 v3, 7, v3
	v_and_b32_e32 v2, 0x8000, v2
	v_and_b32_e32 v45, 0xfc00, v45
	v_or3_b32 v45, v2, v45, v3
.LBB298_2030:                           ;   in Loop: Header=BB298_1052 Depth=1
	s_or_b32 exec_lo, exec_lo, s19
.LBB298_2031:                           ;   in Loop: Header=BB298_1052 Depth=1
	s_or_b32 exec_lo, exec_lo, s18
.LBB298_2032:                           ;   in Loop: Header=BB298_1052 Depth=1
	s_or_b32 exec_lo, exec_lo, s15
	v_mov_b32_e32 v2, 0
	s_mov_b32 s15, exec_lo
	v_cmpx_lt_u64_e64 s[6:7], v[11:12]
	s_cbranch_execz .LBB298_2040
; %bb.2033:                             ;   in Loop: Header=BB298_1052 Depth=1
	v_lshrrev_b32_e32 v3, 24, v12
	v_bfrev_b32_e32 v2, 1
	s_mov_b32 s18, exec_lo
	v_cmpx_ne_u32_e32 0x80, v3
	s_cbranch_execz .LBB298_2039
; %bb.2034:                             ;   in Loop: Header=BB298_1052 Depth=1
	v_and_b32_e32 v12, 0x7f, v3
	v_mov_b32_e32 v2, 0x7c010000
	s_mov_b32 s19, exec_lo
	v_cmpx_ne_u32_e32 0x7f, v12
	s_cbranch_execz .LBB298_2038
; %bb.2035:                             ;   in Loop: Header=BB298_1052 Depth=1
	v_and_b32_e32 v2, 7, v3
	v_lshrrev_b32_e32 v11, 3, v12
	s_mov_b32 s20, exec_lo
	v_cmpx_gt_u32_e32 8, v12
; %bb.2036:                             ;   in Loop: Header=BB298_1052 Depth=1
	v_ffbh_u32_e32 v2, v2
	v_min_u32_e32 v2, 32, v2
	v_subrev_nc_u32_e32 v11, 28, v2
	v_lshlrev_b64 v[56:57], v11, v[3:4]
	v_sub_nc_u32_e32 v11, 29, v2
	v_and_b32_e32 v2, 7, v56
; %bb.2037:                             ;   in Loop: Header=BB298_1052 Depth=1
	s_or_b32 exec_lo, exec_lo, s20
	v_lshlrev_b32_e32 v3, 8, v3
	v_lshl_add_u32 v11, v11, 10, 0x2000
	v_lshlrev_b32_e32 v2, 23, v2
	v_and_or_b32 v3, 0x8000, v3, v11
	v_lshl_or_b32 v2, v3, 16, v2
.LBB298_2038:                           ;   in Loop: Header=BB298_1052 Depth=1
	s_or_b32 exec_lo, exec_lo, s19
.LBB298_2039:                           ;   in Loop: Header=BB298_1052 Depth=1
	s_or_b32 exec_lo, exec_lo, s18
.LBB298_2040:                           ;   in Loop: Header=BB298_1052 Depth=1
	s_or_b32 exec_lo, exec_lo, s15
	v_or_b32_e32 v3, v43, v44
	s_waitcnt vmcnt(0) lgkmcnt(0)
	v_fma_mixlo_f16 v11, v40, v43, 0 op_sel:[0,1,0] op_sel_hi:[0,1,0]
	v_or_b32_e32 v12, v41, v42
	v_or_b32_e32 v42, v47, v46
	;; [unrolled: 1-line block ×3, first 2 shown]
	v_fma_mixlo_f16 v43, v40, v3, 0 op_sel_hi:[0,1,0]
	v_fma_mixlo_f16 v41, v40, v41, 0 op_sel:[0,1,0] op_sel_hi:[0,1,0]
	v_lshlrev_b32_e32 v3, 16, v11
	v_fma_mixlo_f16 v12, v40, v12, 0 op_sel_hi:[0,1,0]
	v_fma_mixlo_f16 v42, v40, v42, 0 op_sel_hi:[0,1,0]
	v_and_b32_e32 v11, 0xffff, v43
	v_fma_mixlo_f16 v43, v40, v47, 0 op_sel:[0,1,0] op_sel_hi:[0,1,0]
	v_fma_mixlo_f16 v2, v40, v2, 0 op_sel:[0,1,0] op_sel_hi:[0,1,0]
	v_fma_mixlo_f16 v40, v40, v44, 0 op_sel_hi:[0,1,0]
	v_lshlrev_b32_e32 v41, 16, v41
	v_and_b32_e32 v47, 0xffff, v12
	v_lshlrev_b32_e32 v12, 16, v43
	v_and_b32_e32 v43, 0xffff, v42
	;; [unrolled: 2-line block ×3, first 2 shown]
	v_or_b32_e32 v42, v3, v11
	v_or_b32_e32 v46, v41, v47
	;; [unrolled: 1-line block ×4, first 2 shown]
	s_and_saveexec_b32 s15, vcc_lo
	s_cbranch_execz .LBB298_2042
; %bb.2041:                             ;   in Loop: Header=BB298_1052 Depth=1
	v_cmp_lt_i32_e64 s4, v64, v28
	v_cndmask_b32_e64 v42, 0, v47, s4
	v_cmp_lt_i32_e64 s4, v84, v28
	v_cndmask_b32_e64 v41, 0, v41, s4
	v_cmp_lt_i32_e64 s4, v83, v28
	v_or_b32_e32 v46, v42, v41
	v_cndmask_b32_e64 v11, 0, v11, s4
	v_cmp_lt_i32_e64 s4, v82, v28
	v_cndmask_b32_e64 v3, 0, v3, s4
	v_cmp_lt_i32_e64 s4, v81, v28
	v_or_b32_e32 v42, v11, v3
	;; [unrolled: 5-line block ×3, first 2 shown]
	v_cndmask_b32_e64 v40, 0, v40, s4
	v_cmp_lt_i32_e64 s4, v31, v28
	v_cndmask_b32_e64 v2, 0, v2, s4
	v_or_b32_e32 v44, v40, v2
.LBB298_2042:                           ;   in Loop: Header=BB298_1052 Depth=1
	s_or_b32 exec_lo, exec_lo, s15
	;;#ASMSTART
	v_pk_mul_f16 v2, v69, v46;

	;;#ASMEND
	;;#ASMSTART
	v_pk_mul_f16 v3, v67, v42;

	;;#ASMEND
	;; [unrolled: 4-line block ×4, first 2 shown]
	;;#ASMSTART
	v_pk_add_f16 v2, v2, v3;

	;;#ASMEND
	;;#ASMSTART
	v_pk_add_f16 v2, v2, v11;

	;;#ASMEND
	;; [unrolled: 4-line block ×3, first 2 shown]
	v_and_b32_e32 v3, 0xffff, v2
	v_lshrrev_b32_e32 v2, 16, v2
	;;#ASMSTART
	v_cvt_f32_f16 v11, v3;
	;;#ASMEND
	;;#ASMSTART
	v_cvt_f32_f16 v12, v2;
	;;#ASMEND
	flat_load_dwordx2 v[9:10], v[9:10] offset:1792
	flat_load_dword v40, v[22:23]
	v_mov_b32_e32 v41, 0
	v_mov_b32_e32 v42, 0
	s_waitcnt vmcnt(1) lgkmcnt(1)
	v_cmp_ne_u16_sdwa s4, v9, v4 src0_sel:BYTE_0 src1_sel:DWORD
	s_and_saveexec_b32 s15, s4
	s_cbranch_execz .LBB298_2050
; %bb.2043:                             ;   in Loop: Header=BB298_1052 Depth=1
	v_cmp_ne_u16_sdwa s4, v9, v51 src0_sel:BYTE_0 src1_sel:DWORD
	v_mov_b32_e32 v42, 0x8000
	s_and_saveexec_b32 s18, s4
	s_cbranch_execz .LBB298_2049
; %bb.2044:                             ;   in Loop: Header=BB298_1052 Depth=1
	v_and_b32_e32 v43, 0x7f, v9
	v_mov_b32_e32 v42, 0x7c01
	s_mov_b32 s19, exec_lo
	v_cmpx_ne_u32_e32 0x7f, v43
	s_cbranch_execz .LBB298_2048
; %bb.2045:                             ;   in Loop: Header=BB298_1052 Depth=1
	v_and_b32_e32 v2, 7, v9
	v_lshrrev_b32_e32 v3, 3, v43
	s_mov_b32 s20, exec_lo
	v_cmpx_gt_u32_e32 8, v43
; %bb.2046:                             ;   in Loop: Header=BB298_1052 Depth=1
	v_ffbh_u32_e32 v2, v2
	v_min_u32_e32 v42, 32, v2
	v_subrev_nc_u32_e32 v2, 28, v42
	v_lshlrev_b64 v[2:3], v2, v[9:10]
	v_sub_nc_u32_e32 v3, 29, v42
	v_and_b32_e32 v2, 7, v2
; %bb.2047:                             ;   in Loop: Header=BB298_1052 Depth=1
	s_or_b32 exec_lo, exec_lo, s20
	v_lshlrev_b32_e32 v42, 8, v9
	v_lshl_add_u32 v3, v3, 10, 0x2000
	v_lshlrev_b32_e32 v2, 7, v2
	v_and_b32_e32 v42, 0x8000, v42
	v_and_b32_e32 v3, 0xfc00, v3
	v_or3_b32 v42, v42, v3, v2
.LBB298_2048:                           ;   in Loop: Header=BB298_1052 Depth=1
	s_or_b32 exec_lo, exec_lo, s19
.LBB298_2049:                           ;   in Loop: Header=BB298_1052 Depth=1
	s_or_b32 exec_lo, exec_lo, s18
.LBB298_2050:                           ;   in Loop: Header=BB298_1052 Depth=1
	s_or_b32 exec_lo, exec_lo, s15
	v_lshrrev_b16 v3, 8, v9
	s_mov_b32 s15, exec_lo
	v_cmpx_ne_u16_e32 0, v3
	s_cbranch_execz .LBB298_2058
; %bb.2051:                             ;   in Loop: Header=BB298_1052 Depth=1
	v_bfrev_b32_e32 v41, 1
	s_mov_b32 s18, exec_lo
	v_cmpx_ne_u16_e32 0x80, v3
	s_cbranch_execz .LBB298_2057
; %bb.2052:                             ;   in Loop: Header=BB298_1052 Depth=1
	v_and_b32_sdwa v43, v3, v52 dst_sel:DWORD dst_unused:UNUSED_PAD src0_sel:WORD_0 src1_sel:DWORD
	v_mov_b32_e32 v41, 0x7c010000
	s_mov_b32 s19, exec_lo
	v_cmpx_ne_u32_e32 0x7f, v43
	s_cbranch_execz .LBB298_2056
; %bb.2053:                             ;   in Loop: Header=BB298_1052 Depth=1
	v_and_b32_sdwa v2, v3, v53 dst_sel:DWORD dst_unused:UNUSED_PAD src0_sel:WORD_0 src1_sel:DWORD
	v_lshrrev_b32_e32 v41, 3, v43
	s_mov_b32 s20, exec_lo
	v_cmpx_gt_u32_e32 8, v43
; %bb.2054:                             ;   in Loop: Header=BB298_1052 Depth=1
	v_ffbh_u32_e32 v2, v2
	v_min_u32_e32 v2, 32, v2
	v_subrev_nc_u32_e32 v41, 28, v2
	v_lshlrev_b64 v[43:44], v41, v[3:4]
	v_sub_nc_u32_e32 v41, 29, v2
	v_and_b32_e32 v2, 7, v43
; %bb.2055:                             ;   in Loop: Header=BB298_1052 Depth=1
	s_or_b32 exec_lo, exec_lo, s20
	v_lshlrev_b32_sdwa v3, v54, v3 dst_sel:DWORD dst_unused:UNUSED_PAD src0_sel:DWORD src1_sel:WORD_0
	v_lshl_add_u32 v41, v41, 10, 0x2000
	v_lshlrev_b32_e32 v2, 23, v2
	v_and_or_b32 v3, 0x8000, v3, v41
	v_lshl_or_b32 v41, v3, 16, v2
.LBB298_2056:                           ;   in Loop: Header=BB298_1052 Depth=1
	s_or_b32 exec_lo, exec_lo, s19
.LBB298_2057:                           ;   in Loop: Header=BB298_1052 Depth=1
	s_or_b32 exec_lo, exec_lo, s18
.LBB298_2058:                           ;   in Loop: Header=BB298_1052 Depth=1
	s_or_b32 exec_lo, exec_lo, s15
	v_lshrrev_b32_e32 v2, 16, v9
	v_mov_b32_e32 v43, 0
	v_mov_b32_e32 v44, 0
	v_cmp_ne_u16_sdwa s4, v2, v4 src0_sel:BYTE_0 src1_sel:DWORD
	s_and_saveexec_b32 s15, s4
	s_cbranch_execz .LBB298_2066
; %bb.2059:                             ;   in Loop: Header=BB298_1052 Depth=1
	v_cmp_ne_u16_sdwa s4, v2, v51 src0_sel:BYTE_0 src1_sel:DWORD
	v_mov_b32_e32 v44, 0x8000
	s_and_saveexec_b32 s18, s4
	s_cbranch_execz .LBB298_2065
; %bb.2060:                             ;   in Loop: Header=BB298_1052 Depth=1
	v_bfe_u32 v45, v9, 16, 7
	v_mov_b32_e32 v44, 0x7c01
	s_mov_b32 s19, exec_lo
	v_cmpx_ne_u32_e32 0x7f, v45
	s_cbranch_execz .LBB298_2064
; %bb.2061:                             ;   in Loop: Header=BB298_1052 Depth=1
	v_and_b32_e32 v3, 7, v2
	v_lshrrev_b32_e32 v44, 3, v45
	s_mov_b32 s20, exec_lo
	v_cmpx_gt_u32_e32 8, v45
; %bb.2062:                             ;   in Loop: Header=BB298_1052 Depth=1
	v_ffbh_u32_e32 v3, v3
	v_min_u32_e32 v3, 32, v3
	v_subrev_nc_u32_e32 v44, 28, v3
	v_lshlrev_b64 v[45:46], v44, v[2:3]
	v_sub_nc_u32_e32 v44, 29, v3
	v_and_b32_e32 v3, 7, v45
; %bb.2063:                             ;   in Loop: Header=BB298_1052 Depth=1
	s_or_b32 exec_lo, exec_lo, s20
	v_lshlrev_b32_e32 v2, 8, v2
	v_lshl_add_u32 v44, v44, 10, 0x2000
	v_lshlrev_b32_e32 v3, 7, v3
	v_and_b32_e32 v2, 0x8000, v2
	v_and_b32_e32 v44, 0xfc00, v44
	v_or3_b32 v44, v2, v44, v3
.LBB298_2064:                           ;   in Loop: Header=BB298_1052 Depth=1
	s_or_b32 exec_lo, exec_lo, s19
.LBB298_2065:                           ;   in Loop: Header=BB298_1052 Depth=1
	s_or_b32 exec_lo, exec_lo, s18
.LBB298_2066:                           ;   in Loop: Header=BB298_1052 Depth=1
	s_or_b32 exec_lo, exec_lo, s15
	s_mov_b32 s15, exec_lo
	v_cmpx_lt_u32_e32 0xffffff, v9
	s_cbranch_execz .LBB298_2074
; %bb.2067:                             ;   in Loop: Header=BB298_1052 Depth=1
	v_lshrrev_b32_e32 v3, 24, v9
	v_bfrev_b32_e32 v43, 1
	s_mov_b32 s18, exec_lo
	v_cmpx_ne_u32_e32 0x80, v3
	s_cbranch_execz .LBB298_2073
; %bb.2068:                             ;   in Loop: Header=BB298_1052 Depth=1
	v_and_b32_e32 v45, 0x7f, v3
	v_mov_b32_e32 v43, 0x7c010000
	s_mov_b32 s19, exec_lo
	v_cmpx_ne_u32_e32 0x7f, v45
	s_cbranch_execz .LBB298_2072
; %bb.2069:                             ;   in Loop: Header=BB298_1052 Depth=1
	v_and_b32_e32 v2, 7, v3
	v_lshrrev_b32_e32 v43, 3, v45
	s_mov_b32 s20, exec_lo
	v_cmpx_gt_u32_e32 8, v45
; %bb.2070:                             ;   in Loop: Header=BB298_1052 Depth=1
	v_ffbh_u32_e32 v2, v2
	v_min_u32_e32 v2, 32, v2
	v_subrev_nc_u32_e32 v43, 28, v2
	v_lshlrev_b64 v[45:46], v43, v[3:4]
	v_sub_nc_u32_e32 v43, 29, v2
	v_and_b32_e32 v2, 7, v45
; %bb.2071:                             ;   in Loop: Header=BB298_1052 Depth=1
	s_or_b32 exec_lo, exec_lo, s20
	v_lshlrev_b32_e32 v3, 8, v3
	v_lshl_add_u32 v43, v43, 10, 0x2000
	v_lshlrev_b32_e32 v2, 23, v2
	v_and_or_b32 v3, 0x8000, v3, v43
	v_lshl_or_b32 v43, v3, 16, v2
.LBB298_2072:                           ;   in Loop: Header=BB298_1052 Depth=1
	s_or_b32 exec_lo, exec_lo, s19
.LBB298_2073:                           ;   in Loop: Header=BB298_1052 Depth=1
	s_or_b32 exec_lo, exec_lo, s18
.LBB298_2074:                           ;   in Loop: Header=BB298_1052 Depth=1
	s_or_b32 exec_lo, exec_lo, s15
	v_mov_b32_e32 v3, v10
	v_cmp_ne_u16_sdwa s4, v10, v4 src0_sel:BYTE_0 src1_sel:DWORD
	v_mov_b32_e32 v45, 0
	v_mov_b32_e32 v46, 0
	s_and_saveexec_b32 s15, s4
	s_cbranch_execz .LBB298_2082
; %bb.2075:                             ;   in Loop: Header=BB298_1052 Depth=1
	v_cmp_ne_u16_sdwa s4, v10, v51 src0_sel:BYTE_0 src1_sel:DWORD
	v_mov_b32_e32 v46, 0x8000
	s_and_saveexec_b32 s18, s4
	s_cbranch_execz .LBB298_2081
; %bb.2076:                             ;   in Loop: Header=BB298_1052 Depth=1
	v_and_b32_e32 v47, 0x7f, v10
	v_mov_b32_e32 v46, 0x7c01
	s_mov_b32 s19, exec_lo
	v_cmpx_ne_u32_e32 0x7f, v47
	s_cbranch_execz .LBB298_2080
; %bb.2077:                             ;   in Loop: Header=BB298_1052 Depth=1
	v_and_b32_e32 v2, 7, v10
	v_lshrrev_b32_e32 v46, 3, v47
	s_mov_b32 s20, exec_lo
	v_cmpx_gt_u32_e32 8, v47
; %bb.2078:                             ;   in Loop: Header=BB298_1052 Depth=1
	v_ffbh_u32_e32 v2, v2
	v_min_u32_e32 v2, 32, v2
	v_subrev_nc_u32_e32 v46, 28, v2
	v_lshlrev_b64 v[56:57], v46, v[3:4]
	v_sub_nc_u32_e32 v46, 29, v2
	v_and_b32_e32 v2, 7, v56
; %bb.2079:                             ;   in Loop: Header=BB298_1052 Depth=1
	s_or_b32 exec_lo, exec_lo, s20
	v_lshlrev_b32_e32 v47, 8, v10
	v_lshl_add_u32 v46, v46, 10, 0x2000
	v_lshlrev_b32_e32 v2, 7, v2
	v_and_b32_e32 v47, 0x8000, v47
	v_and_b32_e32 v46, 0xfc00, v46
	v_or3_b32 v46, v47, v46, v2
.LBB298_2080:                           ;   in Loop: Header=BB298_1052 Depth=1
	s_or_b32 exec_lo, exec_lo, s19
.LBB298_2081:                           ;   in Loop: Header=BB298_1052 Depth=1
	s_or_b32 exec_lo, exec_lo, s18
.LBB298_2082:                           ;   in Loop: Header=BB298_1052 Depth=1
	s_or_b32 exec_lo, exec_lo, s15
	v_lshrrev_b16 v3, 8, v3
	v_mov_b32_e32 v47, 0
	s_mov_b32 s15, exec_lo
	v_cmpx_ne_u16_e32 0, v3
	s_cbranch_execz .LBB298_2090
; %bb.2083:                             ;   in Loop: Header=BB298_1052 Depth=1
	v_bfrev_b32_e32 v47, 1
	s_mov_b32 s18, exec_lo
	v_cmpx_ne_u16_e32 0x80, v3
	s_cbranch_execz .LBB298_2089
; %bb.2084:                             ;   in Loop: Header=BB298_1052 Depth=1
	v_and_b32_sdwa v56, v3, v52 dst_sel:DWORD dst_unused:UNUSED_PAD src0_sel:WORD_0 src1_sel:DWORD
	v_mov_b32_e32 v47, 0x7c010000
	s_mov_b32 s19, exec_lo
	v_cmpx_ne_u32_e32 0x7f, v56
	s_cbranch_execz .LBB298_2088
; %bb.2085:                             ;   in Loop: Header=BB298_1052 Depth=1
	v_and_b32_sdwa v2, v3, v53 dst_sel:DWORD dst_unused:UNUSED_PAD src0_sel:WORD_0 src1_sel:DWORD
	v_lshrrev_b32_e32 v47, 3, v56
	s_mov_b32 s20, exec_lo
	v_cmpx_gt_u32_e32 8, v56
; %bb.2086:                             ;   in Loop: Header=BB298_1052 Depth=1
	v_ffbh_u32_e32 v2, v2
	v_min_u32_e32 v2, 32, v2
	v_subrev_nc_u32_e32 v47, 28, v2
	v_lshlrev_b64 v[56:57], v47, v[3:4]
	v_sub_nc_u32_e32 v47, 29, v2
	v_and_b32_e32 v2, 7, v56
; %bb.2087:                             ;   in Loop: Header=BB298_1052 Depth=1
	s_or_b32 exec_lo, exec_lo, s20
	v_lshlrev_b32_sdwa v3, v54, v3 dst_sel:DWORD dst_unused:UNUSED_PAD src0_sel:DWORD src1_sel:WORD_0
	v_lshl_add_u32 v47, v47, 10, 0x2000
	v_lshlrev_b32_e32 v2, 23, v2
	v_and_or_b32 v3, 0x8000, v3, v47
	v_lshl_or_b32 v47, v3, 16, v2
.LBB298_2088:                           ;   in Loop: Header=BB298_1052 Depth=1
	s_or_b32 exec_lo, exec_lo, s19
.LBB298_2089:                           ;   in Loop: Header=BB298_1052 Depth=1
	s_or_b32 exec_lo, exec_lo, s18
.LBB298_2090:                           ;   in Loop: Header=BB298_1052 Depth=1
	s_or_b32 exec_lo, exec_lo, s15
	v_lshrrev_b32_e32 v2, 16, v10
	v_cmp_ne_u16_sdwa s4, v2, v4 src0_sel:BYTE_0 src1_sel:DWORD
	s_and_saveexec_b32 s15, s4
	s_cbranch_execz .LBB298_2098
; %bb.2091:                             ;   in Loop: Header=BB298_1052 Depth=1
	v_cmp_ne_u16_sdwa s4, v2, v51 src0_sel:BYTE_0 src1_sel:DWORD
	v_mov_b32_e32 v45, 0x8000
	s_and_saveexec_b32 s18, s4
	s_cbranch_execz .LBB298_2097
; %bb.2092:                             ;   in Loop: Header=BB298_1052 Depth=1
	v_bfe_u32 v56, v10, 16, 7
	v_mov_b32_e32 v45, 0x7c01
	s_mov_b32 s19, exec_lo
	v_cmpx_ne_u32_e32 0x7f, v56
	s_cbranch_execz .LBB298_2096
; %bb.2093:                             ;   in Loop: Header=BB298_1052 Depth=1
	v_and_b32_e32 v3, 7, v2
	v_lshrrev_b32_e32 v45, 3, v56
	s_mov_b32 s20, exec_lo
	v_cmpx_gt_u32_e32 8, v56
; %bb.2094:                             ;   in Loop: Header=BB298_1052 Depth=1
	v_ffbh_u32_e32 v3, v3
	v_min_u32_e32 v3, 32, v3
	v_subrev_nc_u32_e32 v45, 28, v3
	v_lshlrev_b64 v[56:57], v45, v[2:3]
	v_sub_nc_u32_e32 v45, 29, v3
	v_and_b32_e32 v3, 7, v56
; %bb.2095:                             ;   in Loop: Header=BB298_1052 Depth=1
	s_or_b32 exec_lo, exec_lo, s20
	v_lshlrev_b32_e32 v2, 8, v2
	v_lshl_add_u32 v45, v45, 10, 0x2000
	v_lshlrev_b32_e32 v3, 7, v3
	v_and_b32_e32 v2, 0x8000, v2
	v_and_b32_e32 v45, 0xfc00, v45
	v_or3_b32 v45, v2, v45, v3
.LBB298_2096:                           ;   in Loop: Header=BB298_1052 Depth=1
	s_or_b32 exec_lo, exec_lo, s19
.LBB298_2097:                           ;   in Loop: Header=BB298_1052 Depth=1
	s_or_b32 exec_lo, exec_lo, s18
.LBB298_2098:                           ;   in Loop: Header=BB298_1052 Depth=1
	s_or_b32 exec_lo, exec_lo, s15
	v_mov_b32_e32 v2, 0
	s_mov_b32 s15, exec_lo
	v_cmpx_lt_u64_e64 s[6:7], v[9:10]
	s_cbranch_execz .LBB298_2106
; %bb.2099:                             ;   in Loop: Header=BB298_1052 Depth=1
	v_lshrrev_b32_e32 v3, 24, v10
	v_bfrev_b32_e32 v2, 1
	s_mov_b32 s18, exec_lo
	v_cmpx_ne_u32_e32 0x80, v3
	s_cbranch_execz .LBB298_2105
; %bb.2100:                             ;   in Loop: Header=BB298_1052 Depth=1
	v_and_b32_e32 v10, 0x7f, v3
	v_mov_b32_e32 v2, 0x7c010000
	s_mov_b32 s19, exec_lo
	v_cmpx_ne_u32_e32 0x7f, v10
	s_cbranch_execz .LBB298_2104
; %bb.2101:                             ;   in Loop: Header=BB298_1052 Depth=1
	v_and_b32_e32 v2, 7, v3
	v_lshrrev_b32_e32 v9, 3, v10
	s_mov_b32 s20, exec_lo
	v_cmpx_gt_u32_e32 8, v10
; %bb.2102:                             ;   in Loop: Header=BB298_1052 Depth=1
	v_ffbh_u32_e32 v2, v2
	v_min_u32_e32 v2, 32, v2
	v_subrev_nc_u32_e32 v9, 28, v2
	v_lshlrev_b64 v[56:57], v9, v[3:4]
	v_sub_nc_u32_e32 v9, 29, v2
	v_and_b32_e32 v2, 7, v56
; %bb.2103:                             ;   in Loop: Header=BB298_1052 Depth=1
	s_or_b32 exec_lo, exec_lo, s20
	v_lshlrev_b32_e32 v3, 8, v3
	v_lshl_add_u32 v9, v9, 10, 0x2000
	v_lshlrev_b32_e32 v2, 23, v2
	v_and_or_b32 v3, 0x8000, v3, v9
	v_lshl_or_b32 v2, v3, 16, v2
.LBB298_2104:                           ;   in Loop: Header=BB298_1052 Depth=1
	s_or_b32 exec_lo, exec_lo, s19
.LBB298_2105:                           ;   in Loop: Header=BB298_1052 Depth=1
	s_or_b32 exec_lo, exec_lo, s18
.LBB298_2106:                           ;   in Loop: Header=BB298_1052 Depth=1
	s_or_b32 exec_lo, exec_lo, s15
	v_or_b32_e32 v3, v43, v44
	s_waitcnt vmcnt(0) lgkmcnt(0)
	v_fma_mixlo_f16 v9, v40, v43, 0 op_sel:[0,1,0] op_sel_hi:[0,1,0]
	v_or_b32_e32 v10, v41, v42
	v_fma_mixlo_f16 v42, v40, v41, 0 op_sel:[0,1,0] op_sel_hi:[0,1,0]
	v_or_b32_e32 v43, v47, v46
	v_fma_mixlo_f16 v3, v40, v3, 0 op_sel_hi:[0,1,0]
	v_or_b32_e32 v44, v2, v45
	v_lshlrev_b32_e32 v41, 16, v9
	v_lshlrev_b32_e32 v45, 16, v42
	v_fma_mixlo_f16 v9, v40, v10, 0 op_sel_hi:[0,1,0]
	v_and_b32_e32 v42, 0xffff, v3
	v_fma_mixlo_f16 v3, v40, v47, 0 op_sel:[0,1,0] op_sel_hi:[0,1,0]
	v_fma_mixlo_f16 v10, v40, v43, 0 op_sel_hi:[0,1,0]
	v_fma_mixlo_f16 v2, v40, v2, 0 op_sel:[0,1,0] op_sel_hi:[0,1,0]
	v_fma_mixlo_f16 v44, v40, v44, 0 op_sel_hi:[0,1,0]
	v_and_b32_e32 v47, 0xffff, v9
	v_lshlrev_b32_e32 v43, 16, v3
	v_and_b32_e32 v46, 0xffff, v10
	v_lshlrev_b32_e32 v40, 16, v2
	v_and_b32_e32 v44, 0xffff, v44
	v_or_b32_e32 v2, v41, v42
	v_or_b32_e32 v10, v45, v47
	;; [unrolled: 1-line block ×4, first 2 shown]
	s_and_saveexec_b32 s4, vcc_lo
	s_cbranch_execz .LBB298_1051
; %bb.2107:                             ;   in Loop: Header=BB298_1052 Depth=1
	v_cmp_lt_i32_e32 vcc_lo, v64, v28
	v_cndmask_b32_e32 v2, 0, v47, vcc_lo
	v_cmp_lt_i32_e32 vcc_lo, v84, v28
	v_cndmask_b32_e32 v3, 0, v45, vcc_lo
	v_cmp_lt_i32_e32 vcc_lo, v83, v28
	v_or_b32_e32 v10, v2, v3
	v_cndmask_b32_e32 v9, 0, v42, vcc_lo
	v_cmp_lt_i32_e32 vcc_lo, v82, v28
	v_cndmask_b32_e32 v64, 0, v41, vcc_lo
	v_cmp_lt_i32_e32 vcc_lo, v81, v28
	v_or_b32_e32 v2, v9, v64
	;; [unrolled: 5-line block ×3, first 2 shown]
	v_cndmask_b32_e32 v71, 0, v44, vcc_lo
	v_cmp_lt_i32_e32 vcc_lo, v31, v28
	v_cndmask_b32_e32 v82, 0, v40, vcc_lo
	v_or_b32_e32 v3, v71, v82
	s_branch .LBB298_1051
.LBB298_2108:
	s_or_b32 exec_lo, exec_lo, s13
	v_mov_b32_e32 v4, s16
	v_mov_b32_e32 v5, s17
.LBB298_2109:
	s_or_b32 exec_lo, exec_lo, s5
	v_lshlrev_b64 v[0:1], 2, v[4:5]
	s_getpc_b64 s[4:5]
	s_add_u32 s4, s4, llvm.amdgcn.dynlds.offset.table@rel32@lo+4
	s_addc_u32 s5, s5, llvm.amdgcn.dynlds.offset.table@rel32@hi+12
	s_barrier
	buffer_gl0_inv
	ds_bpermute_b32 v2, v14, v48
	v_add_co_u32 v0, vcc_lo, s4, v0
	v_add_co_ci_u32_e64 v1, null, s5, v1, vcc_lo
	ds_bpermute_b32 v3, v14, v39
	ds_bpermute_b32 v4, v14, v37
	;; [unrolled: 1-line block ×3, first 2 shown]
	global_load_dword v18, v[0:1], off
	ds_bpermute_b32 v0, v14, v38
	ds_bpermute_b32 v1, v14, v49
	;; [unrolled: 1-line block ×12, first 2 shown]
	s_waitcnt lgkmcnt(15)
	v_add_f32_e32 v2, v48, v2
	v_and_b32_e32 v48, 28, v62
	s_mov_b32 s4, exec_lo
	s_waitcnt lgkmcnt(14)
	v_add_f32_e32 v3, v39, v3
	s_waitcnt lgkmcnt(13)
	v_add_f32_e32 v4, v37, v4
	;; [unrolled: 2-line block ×15, first 2 shown]
	ds_bpermute_b32 v8, v13, v0
	ds_bpermute_b32 v9, v13, v1
	;; [unrolled: 1-line block ×16, first 2 shown]
	v_lshrrev_b32_e32 v19, 2, v62
	v_lshlrev_b32_e32 v20, 9, v123
	v_and_b32_e32 v49, 0x3c3, v60
	s_waitcnt lgkmcnt(15)
	v_add_f32_e32 v16, v0, v8
	s_waitcnt lgkmcnt(14)
	v_add_f32_e32 v14, v1, v9
	;; [unrolled: 2-line block ×16, first 2 shown]
	s_waitcnt vmcnt(0)
	v_add_nc_u32_e32 v17, v18, v48
	v_cmpx_eq_u32_e32 64, v49
	s_cbranch_execz .LBB298_2111
; %bb.2110:
	v_add_nc_u32_e32 v21, v17, v20
	v_add_nc_u32_e32 v22, 0xfffffc00, v21
	;; [unrolled: 1-line block ×7, first 2 shown]
	ds_write_b32 v22, v16
	ds_write_b32 v23, v14
	;; [unrolled: 1-line block ×6, first 2 shown]
	v_add_nc_u32_e32 v22, 0xfffffcc0, v21
	v_add_nc_u32_e32 v23, 0xfffffce0, v21
	;; [unrolled: 1-line block ×5, first 2 shown]
	ds_write_b32 v22, v9
	ds_write_b32 v23, v8
	;; [unrolled: 1-line block ×5, first 2 shown]
	v_add_nc_u32_e32 v22, 0xfffffd60, v21
	v_add_nc_u32_e32 v23, 0xfffffd80, v21
	;; [unrolled: 1-line block ×5, first 2 shown]
	ds_write_b32 v22, v4
	ds_write_b32 v23, v3
	;; [unrolled: 1-line block ×5, first 2 shown]
.LBB298_2111:
	s_or_b32 exec_lo, exec_lo, s4
	v_lshlrev_b32_e32 v19, 2, v19
	v_cmp_eq_u32_e32 vcc_lo, 0, v15
	s_mov_b32 s5, exec_lo
	s_waitcnt lgkmcnt(0)
	s_barrier
	v_add3_u32 v15, v18, v20, v19
	buffer_gl0_inv
	v_cmpx_gt_u32_e32 64, v60
	s_cbranch_execz .LBB298_2130
; %bb.2112:
	s_and_saveexec_b32 s4, vcc_lo
	s_cbranch_execnz .LBB298_2154
; %bb.2113:
	s_or_b32 exec_lo, exec_lo, s4
	s_and_saveexec_b32 s4, vcc_lo
	s_cbranch_execnz .LBB298_2155
.LBB298_2114:
	s_or_b32 exec_lo, exec_lo, s4
	s_and_saveexec_b32 s4, vcc_lo
	s_cbranch_execnz .LBB298_2156
.LBB298_2115:
	s_or_b32 exec_lo, exec_lo, s4
	s_and_saveexec_b32 s4, vcc_lo
	s_cbranch_execnz .LBB298_2157
.LBB298_2116:
	s_or_b32 exec_lo, exec_lo, s4
	s_and_saveexec_b32 s4, vcc_lo
	s_cbranch_execnz .LBB298_2158
.LBB298_2117:
	s_or_b32 exec_lo, exec_lo, s4
	s_and_saveexec_b32 s4, vcc_lo
	s_cbranch_execnz .LBB298_2159
.LBB298_2118:
	s_or_b32 exec_lo, exec_lo, s4
	s_and_saveexec_b32 s4, vcc_lo
	s_cbranch_execnz .LBB298_2160
.LBB298_2119:
	s_or_b32 exec_lo, exec_lo, s4
	s_and_saveexec_b32 s4, vcc_lo
	s_cbranch_execnz .LBB298_2161
.LBB298_2120:
	s_or_b32 exec_lo, exec_lo, s4
	s_and_saveexec_b32 s4, vcc_lo
	s_cbranch_execnz .LBB298_2162
.LBB298_2121:
	s_or_b32 exec_lo, exec_lo, s4
	s_and_saveexec_b32 s4, vcc_lo
	s_cbranch_execnz .LBB298_2163
.LBB298_2122:
	s_or_b32 exec_lo, exec_lo, s4
	s_and_saveexec_b32 s4, vcc_lo
	s_cbranch_execnz .LBB298_2164
.LBB298_2123:
	s_or_b32 exec_lo, exec_lo, s4
	s_and_saveexec_b32 s4, vcc_lo
	s_cbranch_execnz .LBB298_2165
.LBB298_2124:
	s_or_b32 exec_lo, exec_lo, s4
	s_and_saveexec_b32 s4, vcc_lo
	s_cbranch_execnz .LBB298_2166
.LBB298_2125:
	s_or_b32 exec_lo, exec_lo, s4
	s_and_saveexec_b32 s4, vcc_lo
	s_cbranch_execnz .LBB298_2167
.LBB298_2126:
	s_or_b32 exec_lo, exec_lo, s4
	s_and_saveexec_b32 s4, vcc_lo
	s_cbranch_execnz .LBB298_2168
.LBB298_2127:
	s_or_b32 exec_lo, exec_lo, s4
	s_and_saveexec_b32 s4, vcc_lo
	s_cbranch_execz .LBB298_2129
.LBB298_2128:
	ds_read_b32 v18, v15 offset:480
	s_waitcnt lgkmcnt(0)
	v_add_f32_e32 v0, v18, v0
.LBB298_2129:
	s_or_b32 exec_lo, exec_lo, s4
.LBB298_2130:
	s_or_b32 exec_lo, exec_lo, s5
	v_and_b32_e32 v18, 0x3e3, v60
	s_mov_b32 s5, exec_lo
	s_barrier
	buffer_gl0_inv
	v_cmpx_eq_u32_e32 32, v18
	s_cbranch_execz .LBB298_2132
; %bb.2131:
	ds_write2_b32 v17, v16, v14 offset1:8
	ds_write2_b32 v17, v13, v12 offset0:16 offset1:24
	ds_write2_b32 v17, v11, v10 offset0:32 offset1:40
	;; [unrolled: 1-line block ×7, first 2 shown]
.LBB298_2132:
	s_or_b32 exec_lo, exec_lo, s5
	s_mov_b32 s5, exec_lo
	s_waitcnt lgkmcnt(0)
	s_barrier
	buffer_gl0_inv
	v_cmpx_gt_u32_e32 32, v60
	s_cbranch_execz .LBB298_2151
; %bb.2133:
	s_and_saveexec_b32 s4, vcc_lo
	s_cbranch_execnz .LBB298_2169
; %bb.2134:
	s_or_b32 exec_lo, exec_lo, s4
	s_and_saveexec_b32 s4, vcc_lo
	s_cbranch_execnz .LBB298_2170
.LBB298_2135:
	s_or_b32 exec_lo, exec_lo, s4
	s_and_saveexec_b32 s4, vcc_lo
	s_cbranch_execnz .LBB298_2171
.LBB298_2136:
	s_or_b32 exec_lo, exec_lo, s4
	s_and_saveexec_b32 s4, vcc_lo
	s_cbranch_execnz .LBB298_2172
.LBB298_2137:
	s_or_b32 exec_lo, exec_lo, s4
	s_and_saveexec_b32 s4, vcc_lo
	s_cbranch_execnz .LBB298_2173
.LBB298_2138:
	s_or_b32 exec_lo, exec_lo, s4
	s_and_saveexec_b32 s4, vcc_lo
	s_cbranch_execnz .LBB298_2174
.LBB298_2139:
	s_or_b32 exec_lo, exec_lo, s4
	s_and_saveexec_b32 s4, vcc_lo
	s_cbranch_execnz .LBB298_2175
.LBB298_2140:
	s_or_b32 exec_lo, exec_lo, s4
	s_and_saveexec_b32 s4, vcc_lo
	s_cbranch_execnz .LBB298_2176
.LBB298_2141:
	s_or_b32 exec_lo, exec_lo, s4
	s_and_saveexec_b32 s4, vcc_lo
	s_cbranch_execnz .LBB298_2177
.LBB298_2142:
	s_or_b32 exec_lo, exec_lo, s4
	s_and_saveexec_b32 s4, vcc_lo
	s_cbranch_execnz .LBB298_2178
.LBB298_2143:
	s_or_b32 exec_lo, exec_lo, s4
	s_and_saveexec_b32 s4, vcc_lo
	s_cbranch_execnz .LBB298_2179
.LBB298_2144:
	s_or_b32 exec_lo, exec_lo, s4
	s_and_saveexec_b32 s4, vcc_lo
	s_cbranch_execnz .LBB298_2180
.LBB298_2145:
	s_or_b32 exec_lo, exec_lo, s4
	s_and_saveexec_b32 s4, vcc_lo
	s_cbranch_execnz .LBB298_2181
.LBB298_2146:
	s_or_b32 exec_lo, exec_lo, s4
	s_and_saveexec_b32 s4, vcc_lo
	s_cbranch_execnz .LBB298_2182
.LBB298_2147:
	s_or_b32 exec_lo, exec_lo, s4
	s_and_saveexec_b32 s4, vcc_lo
	s_cbranch_execnz .LBB298_2183
.LBB298_2148:
	s_or_b32 exec_lo, exec_lo, s4
	s_and_saveexec_b32 s4, vcc_lo
	s_cbranch_execz .LBB298_2150
.LBB298_2149:
	ds_read_b32 v15, v15 offset:480
	s_waitcnt lgkmcnt(0)
	v_add_f32_e32 v0, v15, v0
.LBB298_2150:
	s_or_b32 exec_lo, exec_lo, s4
.LBB298_2151:
	s_or_b32 exec_lo, exec_lo, s5
	s_mov_b32 s4, exec_lo
	s_barrier
	buffer_gl0_inv
	v_cmpx_eq_u32_e32 0, v18
	s_cbranch_execz .LBB298_2153
; %bb.2152:
	s_and_b32 s5, 0xffff, s9
	v_lshrrev_b32_e32 v15, 1, v60
	s_cmp_lg_u32 s5, 0
	s_cselect_b32 s5, -1, 0
	s_cmp_lg_u32 s5, 0
	s_addc_u32 s5, s8, 0
	s_lshl_b32 s6, s14, 7
	s_mul_i32 s7, s10, s5
	s_mul_i32 s8, s12, s5
	;; [unrolled: 1-line block ×3, first 2 shown]
	s_ashr_i32 s9, s8, 31
	s_lshl_b32 s10, s7, 7
	s_lshl_b64 s[8:9], s[8:9], 1
	s_ashr_i32 s11, s10, 31
	s_ashr_i32 s7, s6, 31
	s_lshl_b64 s[10:11], s[10:11], 1
	s_lshl_b64 s[6:7], s[6:7], 1
	v_add_co_u32 v17, vcc_lo, v59, s10
	v_add_co_ci_u32_e64 v18, null, s11, v58, vcc_lo
	v_add_co_u32 v17, vcc_lo, v17, s8
	v_add_co_ci_u32_e64 v18, null, s9, v18, vcc_lo
	;; [unrolled: 2-line block ×4, first 2 shown]
	;;#ASMSTART
	v_cvt_f16_f32 v15, v16;

	;;#ASMEND
	flat_store_short v[17:18], v15
	;;#ASMSTART
	v_cvt_f16_f32 v14, v14;

	;;#ASMEND
	flat_store_short v[17:18], v14 offset:16
	;;#ASMSTART
	v_cvt_f16_f32 v13, v13;

	;;#ASMEND
	flat_store_short v[17:18], v13 offset:32
	;; [unrolled: 5-line block ×15, first 2 shown]
.LBB298_2153:
	s_or_b32 exec_lo, exec_lo, s4
	s_clause 0x2f
	buffer_load_dword v127, off, s[0:3], s32
	buffer_load_dword v126, off, s[0:3], s32 offset:4
	buffer_load_dword v125, off, s[0:3], s32 offset:8
	;; [unrolled: 1-line block ×47, first 2 shown]
	s_waitcnt vmcnt(0) lgkmcnt(0)
	s_setpc_b64 s[30:31]
.LBB298_2154:
	ds_read_b32 v18, v15
	s_waitcnt lgkmcnt(0)
	v_add_f32_e32 v16, v18, v16
	s_or_b32 exec_lo, exec_lo, s4
	s_and_saveexec_b32 s4, vcc_lo
	s_cbranch_execz .LBB298_2114
.LBB298_2155:
	ds_read_b32 v18, v15 offset:32
	s_waitcnt lgkmcnt(0)
	v_add_f32_e32 v14, v18, v14
	s_or_b32 exec_lo, exec_lo, s4
	s_and_saveexec_b32 s4, vcc_lo
	s_cbranch_execz .LBB298_2115
.LBB298_2156:
	ds_read_b32 v18, v15 offset:64
	s_waitcnt lgkmcnt(0)
	v_add_f32_e32 v13, v18, v13
	s_or_b32 exec_lo, exec_lo, s4
	s_and_saveexec_b32 s4, vcc_lo
	s_cbranch_execz .LBB298_2116
.LBB298_2157:
	ds_read_b32 v18, v15 offset:96
	s_waitcnt lgkmcnt(0)
	v_add_f32_e32 v12, v18, v12
	s_or_b32 exec_lo, exec_lo, s4
	s_and_saveexec_b32 s4, vcc_lo
	s_cbranch_execz .LBB298_2117
.LBB298_2158:
	ds_read_b32 v18, v15 offset:128
	s_waitcnt lgkmcnt(0)
	v_add_f32_e32 v11, v18, v11
	s_or_b32 exec_lo, exec_lo, s4
	s_and_saveexec_b32 s4, vcc_lo
	s_cbranch_execz .LBB298_2118
.LBB298_2159:
	ds_read_b32 v18, v15 offset:160
	s_waitcnt lgkmcnt(0)
	v_add_f32_e32 v10, v18, v10
	s_or_b32 exec_lo, exec_lo, s4
	s_and_saveexec_b32 s4, vcc_lo
	s_cbranch_execz .LBB298_2119
.LBB298_2160:
	ds_read_b32 v18, v15 offset:192
	s_waitcnt lgkmcnt(0)
	v_add_f32_e32 v9, v18, v9
	s_or_b32 exec_lo, exec_lo, s4
	s_and_saveexec_b32 s4, vcc_lo
	s_cbranch_execz .LBB298_2120
.LBB298_2161:
	ds_read_b32 v18, v15 offset:224
	s_waitcnt lgkmcnt(0)
	v_add_f32_e32 v8, v18, v8
	s_or_b32 exec_lo, exec_lo, s4
	s_and_saveexec_b32 s4, vcc_lo
	s_cbranch_execz .LBB298_2121
.LBB298_2162:
	ds_read_b32 v18, v15 offset:256
	s_waitcnt lgkmcnt(0)
	v_add_f32_e32 v7, v18, v7
	s_or_b32 exec_lo, exec_lo, s4
	s_and_saveexec_b32 s4, vcc_lo
	s_cbranch_execz .LBB298_2122
.LBB298_2163:
	ds_read_b32 v18, v15 offset:288
	s_waitcnt lgkmcnt(0)
	v_add_f32_e32 v6, v18, v6
	s_or_b32 exec_lo, exec_lo, s4
	s_and_saveexec_b32 s4, vcc_lo
	s_cbranch_execz .LBB298_2123
.LBB298_2164:
	ds_read_b32 v18, v15 offset:320
	s_waitcnt lgkmcnt(0)
	v_add_f32_e32 v5, v18, v5
	s_or_b32 exec_lo, exec_lo, s4
	s_and_saveexec_b32 s4, vcc_lo
	s_cbranch_execz .LBB298_2124
.LBB298_2165:
	ds_read_b32 v18, v15 offset:352
	s_waitcnt lgkmcnt(0)
	v_add_f32_e32 v4, v18, v4
	s_or_b32 exec_lo, exec_lo, s4
	s_and_saveexec_b32 s4, vcc_lo
	s_cbranch_execz .LBB298_2125
.LBB298_2166:
	ds_read_b32 v18, v15 offset:384
	s_waitcnt lgkmcnt(0)
	v_add_f32_e32 v3, v18, v3
	s_or_b32 exec_lo, exec_lo, s4
	s_and_saveexec_b32 s4, vcc_lo
	s_cbranch_execz .LBB298_2126
.LBB298_2167:
	ds_read_b32 v18, v15 offset:416
	s_waitcnt lgkmcnt(0)
	v_add_f32_e32 v2, v18, v2
	s_or_b32 exec_lo, exec_lo, s4
	s_and_saveexec_b32 s4, vcc_lo
	s_cbranch_execz .LBB298_2127
.LBB298_2168:
	ds_read_b32 v18, v15 offset:448
	s_waitcnt lgkmcnt(0)
	v_add_f32_e32 v1, v18, v1
	s_or_b32 exec_lo, exec_lo, s4
	s_and_saveexec_b32 s4, vcc_lo
	s_cbranch_execnz .LBB298_2128
	s_branch .LBB298_2129
.LBB298_2169:
	ds_read_b32 v17, v15
	s_waitcnt lgkmcnt(0)
	v_add_f32_e32 v16, v17, v16
	s_or_b32 exec_lo, exec_lo, s4
	s_and_saveexec_b32 s4, vcc_lo
	s_cbranch_execz .LBB298_2135
.LBB298_2170:
	ds_read_b32 v17, v15 offset:32
	s_waitcnt lgkmcnt(0)
	v_add_f32_e32 v14, v17, v14
	s_or_b32 exec_lo, exec_lo, s4
	s_and_saveexec_b32 s4, vcc_lo
	s_cbranch_execz .LBB298_2136
.LBB298_2171:
	ds_read_b32 v17, v15 offset:64
	s_waitcnt lgkmcnt(0)
	v_add_f32_e32 v13, v17, v13
	s_or_b32 exec_lo, exec_lo, s4
	s_and_saveexec_b32 s4, vcc_lo
	s_cbranch_execz .LBB298_2137
.LBB298_2172:
	ds_read_b32 v17, v15 offset:96
	s_waitcnt lgkmcnt(0)
	v_add_f32_e32 v12, v17, v12
	s_or_b32 exec_lo, exec_lo, s4
	s_and_saveexec_b32 s4, vcc_lo
	s_cbranch_execz .LBB298_2138
.LBB298_2173:
	ds_read_b32 v17, v15 offset:128
	s_waitcnt lgkmcnt(0)
	v_add_f32_e32 v11, v17, v11
	s_or_b32 exec_lo, exec_lo, s4
	s_and_saveexec_b32 s4, vcc_lo
	s_cbranch_execz .LBB298_2139
.LBB298_2174:
	ds_read_b32 v17, v15 offset:160
	s_waitcnt lgkmcnt(0)
	v_add_f32_e32 v10, v17, v10
	s_or_b32 exec_lo, exec_lo, s4
	s_and_saveexec_b32 s4, vcc_lo
	s_cbranch_execz .LBB298_2140
.LBB298_2175:
	ds_read_b32 v17, v15 offset:192
	s_waitcnt lgkmcnt(0)
	v_add_f32_e32 v9, v17, v9
	s_or_b32 exec_lo, exec_lo, s4
	s_and_saveexec_b32 s4, vcc_lo
	s_cbranch_execz .LBB298_2141
.LBB298_2176:
	ds_read_b32 v17, v15 offset:224
	s_waitcnt lgkmcnt(0)
	v_add_f32_e32 v8, v17, v8
	s_or_b32 exec_lo, exec_lo, s4
	s_and_saveexec_b32 s4, vcc_lo
	s_cbranch_execz .LBB298_2142
.LBB298_2177:
	ds_read_b32 v17, v15 offset:256
	s_waitcnt lgkmcnt(0)
	v_add_f32_e32 v7, v17, v7
	s_or_b32 exec_lo, exec_lo, s4
	s_and_saveexec_b32 s4, vcc_lo
	s_cbranch_execz .LBB298_2143
.LBB298_2178:
	ds_read_b32 v17, v15 offset:288
	s_waitcnt lgkmcnt(0)
	v_add_f32_e32 v6, v17, v6
	s_or_b32 exec_lo, exec_lo, s4
	s_and_saveexec_b32 s4, vcc_lo
	s_cbranch_execz .LBB298_2144
.LBB298_2179:
	ds_read_b32 v17, v15 offset:320
	s_waitcnt lgkmcnt(0)
	v_add_f32_e32 v5, v17, v5
	s_or_b32 exec_lo, exec_lo, s4
	s_and_saveexec_b32 s4, vcc_lo
	s_cbranch_execz .LBB298_2145
.LBB298_2180:
	ds_read_b32 v17, v15 offset:352
	s_waitcnt lgkmcnt(0)
	v_add_f32_e32 v4, v17, v4
	s_or_b32 exec_lo, exec_lo, s4
	s_and_saveexec_b32 s4, vcc_lo
	s_cbranch_execz .LBB298_2146
.LBB298_2181:
	ds_read_b32 v17, v15 offset:384
	s_waitcnt lgkmcnt(0)
	v_add_f32_e32 v3, v17, v3
	s_or_b32 exec_lo, exec_lo, s4
	s_and_saveexec_b32 s4, vcc_lo
	s_cbranch_execz .LBB298_2147
.LBB298_2182:
	ds_read_b32 v17, v15 offset:416
	s_waitcnt lgkmcnt(0)
	v_add_f32_e32 v2, v17, v2
	s_or_b32 exec_lo, exec_lo, s4
	s_and_saveexec_b32 s4, vcc_lo
	s_cbranch_execz .LBB298_2148
.LBB298_2183:
	ds_read_b32 v17, v15 offset:448
	s_waitcnt lgkmcnt(0)
	v_add_f32_e32 v1, v17, v1
	s_or_b32 exec_lo, exec_lo, s4
	s_and_saveexec_b32 s4, vcc_lo
	s_cbranch_execnz .LBB298_2149
	s_branch .LBB298_2150
.Lfunc_end298:
	.size	_ZN4vllm22paged_attention_kernelIthLi128ELi32ELi128ELNS_18Fp8KVCacheDataTypeE1ELb0ELi0EEEvPfS2_PT_PKS3_PKT0_S9_ifPKiSB_iPKfiiiSD_SD_iiiii, .Lfunc_end298-_ZN4vllm22paged_attention_kernelIthLi128ELi32ELi128ELNS_18Fp8KVCacheDataTypeE1ELb0ELi0EEEvPfS2_PT_PKS3_PKT0_S9_ifPKiSB_iPKfiiiSD_SD_iiiii
                                        ; -- End function
	.set .L_ZN4vllm22paged_attention_kernelIthLi128ELi32ELi128ELNS_18Fp8KVCacheDataTypeE1ELb0ELi0EEEvPfS2_PT_PKS3_PKT0_S9_ifPKiSB_iPKfiiiSD_SD_iiiii.num_vgpr, 128
	.set .L_ZN4vllm22paged_attention_kernelIthLi128ELi32ELi128ELNS_18Fp8KVCacheDataTypeE1ELb0ELi0EEEvPfS2_PT_PKS3_PKT0_S9_ifPKiSB_iPKfiiiSD_SD_iiiii.num_agpr, 0
	.set .L_ZN4vllm22paged_attention_kernelIthLi128ELi32ELi128ELNS_18Fp8KVCacheDataTypeE1ELb0ELi0EEEvPfS2_PT_PKS3_PKT0_S9_ifPKiSB_iPKfiiiSD_SD_iiiii.numbered_sgpr, 33
	.set .L_ZN4vllm22paged_attention_kernelIthLi128ELi32ELi128ELNS_18Fp8KVCacheDataTypeE1ELb0ELi0EEEvPfS2_PT_PKS3_PKT0_S9_ifPKiSB_iPKfiiiSD_SD_iiiii.num_named_barrier, 0
	.set .L_ZN4vllm22paged_attention_kernelIthLi128ELi32ELi128ELNS_18Fp8KVCacheDataTypeE1ELb0ELi0EEEvPfS2_PT_PKS3_PKT0_S9_ifPKiSB_iPKfiiiSD_SD_iiiii.private_seg_size, 448
	.set .L_ZN4vllm22paged_attention_kernelIthLi128ELi32ELi128ELNS_18Fp8KVCacheDataTypeE1ELb0ELi0EEEvPfS2_PT_PKS3_PKT0_S9_ifPKiSB_iPKfiiiSD_SD_iiiii.uses_vcc, 1
	.set .L_ZN4vllm22paged_attention_kernelIthLi128ELi32ELi128ELNS_18Fp8KVCacheDataTypeE1ELb0ELi0EEEvPfS2_PT_PKS3_PKT0_S9_ifPKiSB_iPKfiiiSD_SD_iiiii.uses_flat_scratch, 0
	.set .L_ZN4vllm22paged_attention_kernelIthLi128ELi32ELi128ELNS_18Fp8KVCacheDataTypeE1ELb0ELi0EEEvPfS2_PT_PKS3_PKT0_S9_ifPKiSB_iPKfiiiSD_SD_iiiii.has_dyn_sized_stack, 0
	.set .L_ZN4vllm22paged_attention_kernelIthLi128ELi32ELi128ELNS_18Fp8KVCacheDataTypeE1ELb0ELi0EEEvPfS2_PT_PKS3_PKT0_S9_ifPKiSB_iPKfiiiSD_SD_iiiii.has_recursion, 0
	.set .L_ZN4vllm22paged_attention_kernelIthLi128ELi32ELi128ELNS_18Fp8KVCacheDataTypeE1ELb0ELi0EEEvPfS2_PT_PKS3_PKT0_S9_ifPKiSB_iPKfiiiSD_SD_iiiii.has_indirect_call, 0
	.section	.AMDGPU.csdata,"",@progbits
; Function info:
; codeLenInByte = 72576
; TotalNumSgprs: 35
; NumVgprs: 128
; ScratchSize: 448
; MemoryBound: 0
	.section	.text._ZN4vllm25paged_attention_v1_kernelIthLi128ELi32ELi128ELNS_18Fp8KVCacheDataTypeE1ELb0EEEvPT_PKS2_PKT0_S8_ifPKiSA_iPKfiiiSC_SC_iiiii,"axG",@progbits,_ZN4vllm25paged_attention_v1_kernelIthLi128ELi32ELi128ELNS_18Fp8KVCacheDataTypeE1ELb0EEEvPT_PKS2_PKT0_S8_ifPKiSA_iPKfiiiSC_SC_iiiii,comdat
	.protected	_ZN4vllm25paged_attention_v1_kernelIthLi128ELi32ELi128ELNS_18Fp8KVCacheDataTypeE1ELb0EEEvPT_PKS2_PKT0_S8_ifPKiSA_iPKfiiiSC_SC_iiiii ; -- Begin function _ZN4vllm25paged_attention_v1_kernelIthLi128ELi32ELi128ELNS_18Fp8KVCacheDataTypeE1ELb0EEEvPT_PKS2_PKT0_S8_ifPKiSA_iPKfiiiSC_SC_iiiii
	.globl	_ZN4vllm25paged_attention_v1_kernelIthLi128ELi32ELi128ELNS_18Fp8KVCacheDataTypeE1ELb0EEEvPT_PKS2_PKT0_S8_ifPKiSA_iPKfiiiSC_SC_iiiii
	.p2align	8
	.type	_ZN4vllm25paged_attention_v1_kernelIthLi128ELi32ELi128ELNS_18Fp8KVCacheDataTypeE1ELb0EEEvPT_PKS2_PKT0_S8_ifPKiSA_iPKfiiiSC_SC_iiiii,@function
_ZN4vllm25paged_attention_v1_kernelIthLi128ELi32ELi128ELNS_18Fp8KVCacheDataTypeE1ELb0EEEvPT_PKS2_PKT0_S8_ifPKiSA_iPKfiiiSC_SC_iiiii: ; @_ZN4vllm25paged_attention_v1_kernelIthLi128ELi32ELi128ELNS_18Fp8KVCacheDataTypeE1ELb0EEEvPT_PKS2_PKT0_S8_ifPKiSA_iPKfiiiSC_SC_iiiii
; %bb.0:
	s_clause 0x5
	s_load_dwordx8 s[16:23], s[4:5], 0x0
	s_load_dwordx4 s[36:39], s[4:5], 0x20
	s_load_dwordx2 s[10:11], s[4:5], 0x30
	s_load_dword s13, s[4:5], 0x38
	s_load_dwordx2 s[34:35], s[4:5], 0x40
	s_load_dwordx8 s[24:31], s[4:5], 0x48
	s_add_u32 s0, s0, s9
	s_addc_u32 s1, s1, 0
	v_mov_b32_e32 v31, v0
	s_mov_b32 s14, s8
	s_add_u32 s8, s4, 0x80
	s_addc_u32 s9, s5, 0
	s_getpc_b64 s[4:5]
	s_add_u32 s4, s4, _ZN4vllm22paged_attention_kernelIthLi128ELi32ELi128ELNS_18Fp8KVCacheDataTypeE1ELb0ELi0EEEvPfS2_PT_PKS3_PKT0_S9_ifPKiSB_iPKfiiiSD_SD_iiiii@rel32@lo+4
	s_addc_u32 s5, s5, _ZN4vllm22paged_attention_kernelIthLi128ELi32ELi128ELNS_18Fp8KVCacheDataTypeE1ELb0ELi0EEEvPfS2_PT_PKS3_PKT0_S9_ifPKiSB_iPKfiiiSD_SD_iiiii@rel32@hi+12
	s_mov_b32 s12, s6
	s_mov_b32 s15, 38
	s_mov_b32 s32, 0
	s_waitcnt lgkmcnt(0)
	v_mov_b32_e32 v0, s16
	v_mov_b32_e32 v1, s17
	;; [unrolled: 1-line block ×24, first 2 shown]
	s_mov_b32 s13, s7
	s_swappc_b64 s[30:31], s[4:5]
	s_endpgm
	.section	.rodata,"a",@progbits
	.p2align	6, 0x0
	.amdhsa_kernel _ZN4vllm25paged_attention_v1_kernelIthLi128ELi32ELi128ELNS_18Fp8KVCacheDataTypeE1ELb0EEEvPT_PKS2_PKT0_S8_ifPKiSA_iPKfiiiSC_SC_iiiii
		.amdhsa_group_segment_fixed_size 288
		.amdhsa_private_segment_fixed_size 448
		.amdhsa_kernarg_size 384
		.amdhsa_user_sgpr_count 6
		.amdhsa_user_sgpr_private_segment_buffer 1
		.amdhsa_user_sgpr_dispatch_ptr 0
		.amdhsa_user_sgpr_queue_ptr 0
		.amdhsa_user_sgpr_kernarg_segment_ptr 1
		.amdhsa_user_sgpr_dispatch_id 0
		.amdhsa_user_sgpr_flat_scratch_init 0
		.amdhsa_user_sgpr_private_segment_size 0
		.amdhsa_wavefront_size32 1
		.amdhsa_uses_dynamic_stack 0
		.amdhsa_system_sgpr_private_segment_wavefront_offset 1
		.amdhsa_system_sgpr_workgroup_id_x 1
		.amdhsa_system_sgpr_workgroup_id_y 1
		.amdhsa_system_sgpr_workgroup_id_z 1
		.amdhsa_system_sgpr_workgroup_info 0
		.amdhsa_system_vgpr_workitem_id 0
		.amdhsa_next_free_vgpr 128
		.amdhsa_next_free_sgpr 40
		.amdhsa_reserve_vcc 1
		.amdhsa_reserve_flat_scratch 0
		.amdhsa_float_round_mode_32 0
		.amdhsa_float_round_mode_16_64 0
		.amdhsa_float_denorm_mode_32 3
		.amdhsa_float_denorm_mode_16_64 3
		.amdhsa_dx10_clamp 1
		.amdhsa_ieee_mode 1
		.amdhsa_fp16_overflow 0
		.amdhsa_workgroup_processor_mode 1
		.amdhsa_memory_ordered 1
		.amdhsa_forward_progress 1
		.amdhsa_shared_vgpr_count 0
		.amdhsa_exception_fp_ieee_invalid_op 0
		.amdhsa_exception_fp_denorm_src 0
		.amdhsa_exception_fp_ieee_div_zero 0
		.amdhsa_exception_fp_ieee_overflow 0
		.amdhsa_exception_fp_ieee_underflow 0
		.amdhsa_exception_fp_ieee_inexact 0
		.amdhsa_exception_int_div_zero 0
	.end_amdhsa_kernel
	.section	.text._ZN4vllm25paged_attention_v1_kernelIthLi128ELi32ELi128ELNS_18Fp8KVCacheDataTypeE1ELb0EEEvPT_PKS2_PKT0_S8_ifPKiSA_iPKfiiiSC_SC_iiiii,"axG",@progbits,_ZN4vllm25paged_attention_v1_kernelIthLi128ELi32ELi128ELNS_18Fp8KVCacheDataTypeE1ELb0EEEvPT_PKS2_PKT0_S8_ifPKiSA_iPKfiiiSC_SC_iiiii,comdat
.Lfunc_end299:
	.size	_ZN4vllm25paged_attention_v1_kernelIthLi128ELi32ELi128ELNS_18Fp8KVCacheDataTypeE1ELb0EEEvPT_PKS2_PKT0_S8_ifPKiSA_iPKfiiiSC_SC_iiiii, .Lfunc_end299-_ZN4vllm25paged_attention_v1_kernelIthLi128ELi32ELi128ELNS_18Fp8KVCacheDataTypeE1ELb0EEEvPT_PKS2_PKT0_S8_ifPKiSA_iPKfiiiSC_SC_iiiii
                                        ; -- End function
	.set _ZN4vllm25paged_attention_v1_kernelIthLi128ELi32ELi128ELNS_18Fp8KVCacheDataTypeE1ELb0EEEvPT_PKS2_PKT0_S8_ifPKiSA_iPKfiiiSC_SC_iiiii.num_vgpr, max(32, .L_ZN4vllm22paged_attention_kernelIthLi128ELi32ELi128ELNS_18Fp8KVCacheDataTypeE1ELb0ELi0EEEvPfS2_PT_PKS3_PKT0_S9_ifPKiSB_iPKfiiiSD_SD_iiiii.num_vgpr)
	.set _ZN4vllm25paged_attention_v1_kernelIthLi128ELi32ELi128ELNS_18Fp8KVCacheDataTypeE1ELb0EEEvPT_PKS2_PKT0_S8_ifPKiSA_iPKfiiiSC_SC_iiiii.num_agpr, max(0, .L_ZN4vllm22paged_attention_kernelIthLi128ELi32ELi128ELNS_18Fp8KVCacheDataTypeE1ELb0ELi0EEEvPfS2_PT_PKS3_PKT0_S9_ifPKiSB_iPKfiiiSD_SD_iiiii.num_agpr)
	.set _ZN4vllm25paged_attention_v1_kernelIthLi128ELi32ELi128ELNS_18Fp8KVCacheDataTypeE1ELb0EEEvPT_PKS2_PKT0_S8_ifPKiSA_iPKfiiiSC_SC_iiiii.numbered_sgpr, max(40, .L_ZN4vllm22paged_attention_kernelIthLi128ELi32ELi128ELNS_18Fp8KVCacheDataTypeE1ELb0ELi0EEEvPfS2_PT_PKS3_PKT0_S9_ifPKiSB_iPKfiiiSD_SD_iiiii.numbered_sgpr)
	.set _ZN4vllm25paged_attention_v1_kernelIthLi128ELi32ELi128ELNS_18Fp8KVCacheDataTypeE1ELb0EEEvPT_PKS2_PKT0_S8_ifPKiSA_iPKfiiiSC_SC_iiiii.num_named_barrier, max(0, .L_ZN4vllm22paged_attention_kernelIthLi128ELi32ELi128ELNS_18Fp8KVCacheDataTypeE1ELb0ELi0EEEvPfS2_PT_PKS3_PKT0_S9_ifPKiSB_iPKfiiiSD_SD_iiiii.num_named_barrier)
	.set _ZN4vllm25paged_attention_v1_kernelIthLi128ELi32ELi128ELNS_18Fp8KVCacheDataTypeE1ELb0EEEvPT_PKS2_PKT0_S8_ifPKiSA_iPKfiiiSC_SC_iiiii.private_seg_size, 0+max(.L_ZN4vllm22paged_attention_kernelIthLi128ELi32ELi128ELNS_18Fp8KVCacheDataTypeE1ELb0ELi0EEEvPfS2_PT_PKS3_PKT0_S9_ifPKiSB_iPKfiiiSD_SD_iiiii.private_seg_size)
	.set _ZN4vllm25paged_attention_v1_kernelIthLi128ELi32ELi128ELNS_18Fp8KVCacheDataTypeE1ELb0EEEvPT_PKS2_PKT0_S8_ifPKiSA_iPKfiiiSC_SC_iiiii.uses_vcc, or(1, .L_ZN4vllm22paged_attention_kernelIthLi128ELi32ELi128ELNS_18Fp8KVCacheDataTypeE1ELb0ELi0EEEvPfS2_PT_PKS3_PKT0_S9_ifPKiSB_iPKfiiiSD_SD_iiiii.uses_vcc)
	.set _ZN4vllm25paged_attention_v1_kernelIthLi128ELi32ELi128ELNS_18Fp8KVCacheDataTypeE1ELb0EEEvPT_PKS2_PKT0_S8_ifPKiSA_iPKfiiiSC_SC_iiiii.uses_flat_scratch, or(0, .L_ZN4vllm22paged_attention_kernelIthLi128ELi32ELi128ELNS_18Fp8KVCacheDataTypeE1ELb0ELi0EEEvPfS2_PT_PKS3_PKT0_S9_ifPKiSB_iPKfiiiSD_SD_iiiii.uses_flat_scratch)
	.set _ZN4vllm25paged_attention_v1_kernelIthLi128ELi32ELi128ELNS_18Fp8KVCacheDataTypeE1ELb0EEEvPT_PKS2_PKT0_S8_ifPKiSA_iPKfiiiSC_SC_iiiii.has_dyn_sized_stack, or(0, .L_ZN4vllm22paged_attention_kernelIthLi128ELi32ELi128ELNS_18Fp8KVCacheDataTypeE1ELb0ELi0EEEvPfS2_PT_PKS3_PKT0_S9_ifPKiSB_iPKfiiiSD_SD_iiiii.has_dyn_sized_stack)
	.set _ZN4vllm25paged_attention_v1_kernelIthLi128ELi32ELi128ELNS_18Fp8KVCacheDataTypeE1ELb0EEEvPT_PKS2_PKT0_S8_ifPKiSA_iPKfiiiSC_SC_iiiii.has_recursion, or(0, .L_ZN4vllm22paged_attention_kernelIthLi128ELi32ELi128ELNS_18Fp8KVCacheDataTypeE1ELb0ELi0EEEvPfS2_PT_PKS3_PKT0_S9_ifPKiSB_iPKfiiiSD_SD_iiiii.has_recursion)
	.set _ZN4vllm25paged_attention_v1_kernelIthLi128ELi32ELi128ELNS_18Fp8KVCacheDataTypeE1ELb0EEEvPT_PKS2_PKT0_S8_ifPKiSA_iPKfiiiSC_SC_iiiii.has_indirect_call, or(0, .L_ZN4vllm22paged_attention_kernelIthLi128ELi32ELi128ELNS_18Fp8KVCacheDataTypeE1ELb0ELi0EEEvPfS2_PT_PKS3_PKT0_S9_ifPKiSB_iPKfiiiSD_SD_iiiii.has_indirect_call)
	.section	.AMDGPU.csdata,"",@progbits
; Kernel info:
; codeLenInByte = 224
; TotalNumSgprs: 42
; NumVgprs: 128
; ScratchSize: 448
; MemoryBound: 0
; FloatMode: 240
; IeeeMode: 1
; LDSByteSize: 288 bytes/workgroup (compile time only)
; SGPRBlocks: 0
; VGPRBlocks: 15
; NumSGPRsForWavesPerEU: 42
; NumVGPRsForWavesPerEU: 128
; Occupancy: 8
; WaveLimiterHint : 1
; COMPUTE_PGM_RSRC2:SCRATCH_EN: 1
; COMPUTE_PGM_RSRC2:USER_SGPR: 6
; COMPUTE_PGM_RSRC2:TRAP_HANDLER: 0
; COMPUTE_PGM_RSRC2:TGID_X_EN: 1
; COMPUTE_PGM_RSRC2:TGID_Y_EN: 1
; COMPUTE_PGM_RSRC2:TGID_Z_EN: 1
; COMPUTE_PGM_RSRC2:TIDIG_COMP_CNT: 0
	.text
	.p2align	2                               ; -- Begin function _ZN4vllm22paged_attention_kernelIthLi192ELi32ELi128ELNS_18Fp8KVCacheDataTypeE1ELb0ELi0EEEvPfS2_PT_PKS3_PKT0_S9_ifPKiSB_iPKfiiiSD_SD_iiiii
	.type	_ZN4vllm22paged_attention_kernelIthLi192ELi32ELi128ELNS_18Fp8KVCacheDataTypeE1ELb0ELi0EEEvPfS2_PT_PKS3_PKT0_S9_ifPKiSB_iPKfiiiSD_SD_iiiii,@function
_ZN4vllm22paged_attention_kernelIthLi192ELi32ELi128ELNS_18Fp8KVCacheDataTypeE1ELb0ELi0EEEvPfS2_PT_PKS3_PKT0_S9_ifPKiSB_iPKfiiiSD_SD_iiiii: ; @_ZN4vllm22paged_attention_kernelIthLi192ELi32ELi128ELNS_18Fp8KVCacheDataTypeE1ELb0ELi0EEEvPfS2_PT_PKS3_PKT0_S9_ifPKiSB_iPKfiiiSD_SD_iiiii
; %bb.0:
	s_waitcnt vmcnt(0) expcnt(0) lgkmcnt(0)
	buffer_store_dword v40, off, s[0:3], s32 offset:188 ; 4-byte Folded Spill
	buffer_store_dword v41, off, s[0:3], s32 offset:184 ; 4-byte Folded Spill
	;; [unrolled: 1-line block ×47, first 2 shown]
	buffer_store_dword v127, off, s[0:3], s32 ; 4-byte Folded Spill
	s_mov_b32 s10, s13
	s_ashr_i32 s11, s13, 31
	v_mov_b32_e32 v105, v0
	s_lshl_b64 s[4:5], s[10:11], 2
	v_mov_b32_e32 v104, v1
	v_add_co_u32 v0, vcc_lo, v12, s4
	v_add_co_ci_u32_e64 v1, null, s5, v13, vcc_lo
	buffer_store_dword v20, off, s[0:3], s32 offset:848 ; 4-byte Folded Spill
	buffer_store_dword v21, off, s[0:3], s32 offset:852 ; 4-byte Folded Spill
	;; [unrolled: 1-line block ×8, first 2 shown]
	s_clause 0x1
	s_load_dword s4, s[8:9], 0x10
	s_load_dword s5, s[8:9], 0x0
	flat_load_dword v30, v[0:1]
	v_sub_nc_u32_e32 v0, 0, v8
	v_mov_b32_e32 v107, v23
	v_mov_b32_e32 v106, v22
	s_mov_b32 s16, s15
	v_max_i32_e32 v0, v8, v0
	v_cvt_f32_u32_e32 v1, v0
	v_sub_nc_u32_e32 v6, 0, v0
	v_rcp_iflag_f32_e32 v1, v1
	s_waitcnt lgkmcnt(0)
	s_lshr_b32 s4, s4, 16
	s_cmp_lg_u32 s4, 0
	s_cselect_b32 s4, -1, 0
	s_cmp_lg_u32 s4, 0
	v_mul_f32_e32 v1, 0x4f7ffffe, v1
	s_addc_u32 s11, s5, 0
	s_mov_b32 s5, exec_lo
	s_abs_i32 s4, s11
	v_cvt_u32_f32_e32 v1, v1
	v_mul_lo_u32 v6, v6, v1
	v_mul_hi_u32 v6, v1, v6
	v_add_nc_u32_e32 v1, v1, v6
	v_mul_hi_u32 v1, s4, v1
	v_mul_lo_u32 v6, v1, v0
	v_add_nc_u32_e32 v7, 1, v1
	v_sub_nc_u32_e32 v6, s4, v6
	s_abs_i32 s4, s12
	v_sub_nc_u32_e32 v9, v6, v0
	v_cmp_ge_u32_e32 vcc_lo, v6, v0
	v_cndmask_b32_e32 v1, v1, v7, vcc_lo
	v_cndmask_b32_e32 v6, v6, v9, vcc_lo
	v_xor_b32_e32 v7, s11, v8
	v_add_nc_u32_e32 v8, 1, v1
	v_cmp_ge_u32_e32 vcc_lo, v6, v0
	v_ashrrev_i32_e32 v7, 31, v7
	v_cndmask_b32_e32 v0, v1, v8, vcc_lo
	v_xor_b32_e32 v0, v0, v7
	v_sub_nc_u32_e32 v1, v0, v7
	v_sub_nc_u32_e32 v0, 0, v1
	v_max_i32_e32 v0, v1, v0
	v_cvt_f32_u32_e32 v6, v0
	v_sub_nc_u32_e32 v7, 0, v0
	v_rcp_iflag_f32_e32 v6, v6
	v_mul_f32_e32 v6, 0x4f7ffffe, v6
	v_cvt_u32_f32_e32 v6, v6
	v_mul_lo_u32 v7, v7, v6
	v_mul_hi_u32 v7, v6, v7
	v_add_nc_u32_e32 v6, v6, v7
	v_mad_u64_u32 v[12:13], null, s4, v6, 0
	v_mov_b32_e32 v6, 0
	buffer_store_dword v6, off, s[0:3], s32 offset:840 ; 4-byte Folded Spill
	v_cmpx_ne_u64_e32 0, v[15:16]
	s_cbranch_execz .LBB300_2
; %bb.1:
	s_ashr_i32 s13, s12, 31
	s_lshl_b64 s[6:7], s[12:13], 2
	v_add_co_u32 v6, vcc_lo, v15, s6
	v_add_co_ci_u32_e64 v7, null, s7, v16, vcc_lo
	flat_load_dword v6, v[6:7]
	s_waitcnt vmcnt(0) lgkmcnt(0)
	buffer_store_dword v6, off, s[0:3], s32 offset:840 ; 4-byte Folded Spill
.LBB300_2:
	s_or_b32 exec_lo, exec_lo, s5
	v_and_b32_e32 v108, 0x3ff, v31
	v_ashrrev_i32_e32 v1, 31, v1
	s_ashr_i32 s5, s12, 31
	s_mulk_i32 s12, 0xc0
	s_mov_b32 s6, exec_lo
	v_cmpx_gt_u32_e32 24, v108
	s_cbranch_execz .LBB300_4
; %bb.3:
	v_mul_lo_u32 v6, v17, s10
	s_ashr_i32 s13, s12, 31
	v_lshlrev_b32_e32 v10, 4, v108
	s_lshl_b64 s[18:19], s[12:13], 1
	v_ashrrev_i32_e32 v7, 31, v6
	v_lshlrev_b64 v[6:7], 1, v[6:7]
	v_add_co_u32 v2, vcc_lo, v2, v6
	v_add_co_ci_u32_e64 v3, null, v3, v7, vcc_lo
	v_add_co_u32 v2, vcc_lo, v2, s18
	v_add_co_ci_u32_e64 v3, null, s19, v3, vcc_lo
	;; [unrolled: 2-line block ×3, first 2 shown]
	flat_load_dwordx4 v[6:9], v[2:3]
	s_waitcnt vmcnt(0) lgkmcnt(0)
	ds_write_b128 v10, v[6:9]
.LBB300_4:
	s_or_b32 exec_lo, exec_lo, s6
	v_mul_lo_u32 v2, v13, v0
	v_add_nc_u32_e32 v3, 1, v13
	v_xor_b32_e32 v1, s5, v1
	s_waitcnt vmcnt(0)
	v_add_nc_u32_e32 v7, 31, v30
	s_clause 0x1
	s_load_dword s13, s[8:9], 0x14
	s_load_dword s8, s[8:9], 0x8
	v_lshrrev_b32_e32 v125, 5, v108
	v_and_b32_e32 v110, 31, v108
	s_mov_b32 s9, exec_lo
	v_sub_nc_u32_e32 v2, s4, v2
	v_sub_nc_u32_e32 v6, v2, v0
	v_cmp_ge_u32_e32 vcc_lo, v2, v0
	v_cndmask_b32_e32 v3, v13, v3, vcc_lo
	v_cndmask_b32_e32 v2, v2, v6, vcc_lo
	v_add_nc_u32_e32 v6, 1, v3
	v_cmp_ge_u32_e32 vcc_lo, v2, v0
	v_mul_lo_u32 v0, v14, s10
	v_cndmask_b32_e32 v2, v3, v6, vcc_lo
	v_ashrrev_i32_e32 v3, 31, v7
	v_mov_b32_e32 v6, 0xff7fffff
	v_xor_b32_e32 v2, v2, v1
	v_lshrrev_b32_e32 v3, 27, v3
	v_sub_nc_u32_e32 v2, v2, v1
	v_ashrrev_i32_e32 v1, 31, v0
	v_add_nc_u32_e32 v3, v7, v3
	v_mul_lo_u32 v2, v2, v19
	v_lshlrev_b64 v[0:1], 2, v[0:1]
	v_ashrrev_i32_e32 v111, 5, v3
	buffer_store_dword v0, off, s[0:3], s32 offset:884 ; 4-byte Folded Spill
	buffer_store_dword v1, off, s[0:3], s32 offset:888 ; 4-byte Folded Spill
	v_ashrrev_i32_e32 v0, 31, v2
	v_cmp_ge_i32_e64 s4, v125, v111
	buffer_store_dword v2, off, s[0:3], s32 offset:876 ; 4-byte Folded Spill
	buffer_store_dword v0, off, s[0:3], s32 offset:880 ; 4-byte Folded Spill
	v_lshlrev_b32_e32 v0, 2, v110
	buffer_store_dword v0, off, s[0:3], s32 offset:892 ; 4-byte Folded Spill
	s_waitcnt lgkmcnt(0)
	s_waitcnt_vscnt null, 0x0
	s_barrier
	buffer_gl0_inv
	v_cmpx_lt_i32_e64 v125, v111
	s_cbranch_execz .LBB300_1544
; %bb.5:
	buffer_store_dword v111, off, s[0:3], s32 offset:844 ; 4-byte Folded Spill
	buffer_store_dword v105, off, s[0:3], s32 offset:908 ; 4-byte Folded Spill
	;; [unrolled: 1-line block ×3, first 2 shown]
	s_clause 0x1
	buffer_load_dword v2, off, s[0:3], s32 offset:876
	buffer_load_dword v3, off, s[0:3], s32 offset:880
	v_lshlrev_b32_e32 v0, 4, v110
	s_getpc_b64 s[6:7]
	s_add_u32 s6, s6, llvm.amdgcn.dynlds.offset.table@rel32@lo+4
	s_addc_u32 s7, s7, llvm.amdgcn.dynlds.offset.table@rel32@hi+12
	s_ashr_i32 s17, s16, 31
	buffer_store_dword v108, off, s[0:3], s32 offset:912 ; 4-byte Folded Spill
	s_lshl_b64 s[18:19], s[16:17], 2
	v_lshrrev_b32_e32 v1, 3, v108
	s_add_u32 s6, s6, s18
	s_addc_u32 s7, s7, s19
	v_lshl_or_b32 v95, v125, 5, v110
	s_load_dword s6, s[6:7], 0x0
	v_and_b32_e32 v1, 0x7c, v1
	v_mov_b32_e32 v6, 0xff7fffff
	v_mov_b32_e32 v111, 0x80
	s_mov_b32 s15, 0
	s_waitcnt vmcnt(1)
	v_add_co_u32 v2, vcc_lo, v4, v2
	s_waitcnt vmcnt(0)
	v_add_co_ci_u32_e64 v3, null, v5, v3, vcc_lo
	v_mov_b32_e32 v5, 0
	v_add_co_u32 v2, vcc_lo, v2, v0
	v_add_co_ci_u32_e64 v3, null, 0, v3, vcc_lo
	buffer_store_dword v2, off, s[0:3], s32 offset:860 ; 4-byte Folded Spill
	buffer_store_dword v3, off, s[0:3], s32 offset:864 ; 4-byte Folded Spill
	s_clause 0x2
	buffer_load_dword v0, off, s[0:3], s32 offset:840
	buffer_load_dword v2, off, s[0:3], s32 offset:884
	;; [unrolled: 1-line block ×3, first 2 shown]
	buffer_store_dword v110, off, s[0:3], s32 offset:920 ; 4-byte Folded Spill
	buffer_store_dword v125, off, s[0:3], s32 offset:916 ; 4-byte Folded Spill
	s_waitcnt vmcnt(2)
	v_cmp_neq_f32_e32 vcc_lo, 0, v0
	s_waitcnt vmcnt(1)
	v_add_co_u32 v0, s5, v1, v2
	s_waitcnt vmcnt(0)
	v_add_co_ci_u32_e64 v1, null, 0, v3, s5
	buffer_load_dword v3, off, s[0:3], s32 offset:872 ; 4-byte Folded Reload
	v_lshlrev_b32_e32 v2, 2, v110
	v_lshl_or_b32 v2, v125, 7, v2
	s_waitcnt lgkmcnt(0)
	v_add_nc_u32_e32 v33, s6, v2
	s_mov_b32 s6, -1
	s_mov_b32 s7, 0xffffff
	s_waitcnt vmcnt(0)
	v_add_co_u32 v3, s5, v3, v0
	buffer_load_dword v0, off, s[0:3], s32 offset:868 ; 4-byte Folded Reload
	s_waitcnt vmcnt(0)
	v_add_co_ci_u32_e64 v4, null, v0, v1, s5
	s_branch .LBB300_10
.LBB300_6:                              ;   in Loop: Header=BB300_10 Depth=1
	s_or_b32 exec_lo, exec_lo, s20
	v_lshlrev_b32_e32 v4, 8, v4
	v_lshl_add_u32 v14, v14, 10, 0x2000
	v_and_or_b32 v4, 0x8000, v4, v14
	v_lshlrev_b32_e32 v14, 23, v16
	v_lshl_or_b32 v16, v4, 16, v14
.LBB300_7:                              ;   in Loop: Header=BB300_10 Depth=1
	s_or_b32 exec_lo, exec_lo, s19
.LBB300_8:                              ;   in Loop: Header=BB300_10 Depth=1
	s_or_b32 exec_lo, exec_lo, s18
	s_clause 0x2
	buffer_load_dword v95, off, s[0:3], s32 offset:472
	buffer_load_dword v33, off, s[0:3], s32 offset:476
	;; [unrolled: 1-line block ×3, first 2 shown]
.LBB300_9:                              ;   in Loop: Header=BB300_10 Depth=1
	s_or_b32 exec_lo, exec_lo, s17
	v_or_b32_e32 v0, v82, v0
	v_or_b32_e32 v2, v12, v2
	;; [unrolled: 1-line block ×3, first 2 shown]
	v_fma_mixlo_f16 v14, v51, v56, 0 op_sel:[0,1,0] op_sel_hi:[0,1,0]
	s_waitcnt vmcnt(2)
	v_cmp_lt_i32_e64 s5, v95, v30
	v_fma_mixlo_f16 v0, v51, v0, 0 op_sel_hi:[0,1,0]
	v_fma_mixlo_f16 v2, v51, v2, 0 op_sel_hi:[0,1,0]
	;; [unrolled: 1-line block ×3, first 2 shown]
	buffer_store_dword v14, off, s[0:3], s32 offset:548 ; 4-byte Folded Spill
	v_fma_mixlo_f16 v14, v51, v100, 0 op_sel:[0,1,0] op_sel_hi:[0,1,0]
	buffer_store_dword v0, off, s[0:3], s32 offset:800 ; 4-byte Folded Spill
	v_or_b32_e32 v0, v26, v6
	buffer_store_dword v2, off, s[0:3], s32 offset:544 ; 4-byte Folded Spill
	v_or_b32_e32 v2, v9, v58
	;; [unrolled: 2-line block ×3, first 2 shown]
	v_fma_mixlo_f16 v0, v51, v0, 0 op_sel_hi:[0,1,0]
	buffer_store_dword v14, off, s[0:3], s32 offset:556 ; 4-byte Folded Spill
	v_fma_mixlo_f16 v2, v51, v2, 0 op_sel_hi:[0,1,0]
	s_waitcnt vmcnt(0)
	v_add_nc_u32_e32 v125, 4, v125
	v_fma_mixlo_f16 v4, v51, v4, 0 op_sel_hi:[0,1,0]
	buffer_store_dword v0, off, s[0:3], s32 offset:792 ; 4-byte Folded Spill
	v_fma_mixlo_f16 v0, v51, v26, 0 op_sel:[0,1,0] op_sel_hi:[0,1,0]
	buffer_store_dword v2, off, s[0:3], s32 offset:536 ; 4-byte Folded Spill
	v_fma_mixlo_f16 v2, v51, v9, 0 op_sel:[0,1,0] op_sel_hi:[0,1,0]
	;; [unrolled: 2-line block ×3, first 2 shown]
	buffer_store_dword v0, off, s[0:3], s32 offset:788 ; 4-byte Folded Spill
	buffer_load_dword v0, off, s[0:3], s32 offset:464 ; 4-byte Folded Reload
	buffer_store_dword v2, off, s[0:3], s32 offset:532 ; 4-byte Folded Spill
	v_or_b32_e32 v2, v31, v70
	buffer_store_dword v4, off, s[0:3], s32 offset:540 ; 4-byte Folded Spill
	v_fma_mixlo_f16 v4, v51, v31, 0 op_sel:[0,1,0] op_sel_hi:[0,1,0]
	v_fma_mixlo_f16 v9, v51, v10, 0 op_sel:[0,1,0] op_sel_hi:[0,1,0]
	;; [unrolled: 1-line block ×3, first 2 shown]
	v_fma_mixlo_f16 v2, v51, v2, 0 op_sel_hi:[0,1,0]
	buffer_store_dword v4, off, s[0:3], s32 offset:580 ; 4-byte Folded Spill
	v_fma_mixlo_f16 v4, v51, v105, 0 op_sel:[0,1,0] op_sel_hi:[0,1,0]
	v_and_b32_e32 v9, 0xffff, v9
	buffer_store_dword v2, off, s[0:3], s32 offset:584 ; 4-byte Folded Spill
	v_or_b32_e32 v2, v105, v89
	v_and_b32_e32 v12, 0xffff, v12
	buffer_store_dword v4, off, s[0:3], s32 offset:588 ; 4-byte Folded Spill
	v_fma_mixlo_f16 v4, v51, v40, 0 op_sel:[0,1,0] op_sel_hi:[0,1,0]
	v_fma_mixlo_f16 v2, v51, v2, 0 op_sel_hi:[0,1,0]
	buffer_store_dword v4, off, s[0:3], s32 offset:572 ; 4-byte Folded Spill
	v_fma_mixlo_f16 v4, v51, v54, 0 op_sel:[0,1,0] op_sel_hi:[0,1,0]
	buffer_store_dword v2, off, s[0:3], s32 offset:592 ; 4-byte Folded Spill
	v_or_b32_e32 v2, v40, v32
	buffer_store_dword v4, off, s[0:3], s32 offset:612 ; 4-byte Folded Spill
	v_fma_mixlo_f16 v4, v51, v109, 0 op_sel:[0,1,0] op_sel_hi:[0,1,0]
	v_fma_mixlo_f16 v2, v51, v2, 0 op_sel_hi:[0,1,0]
	buffer_store_dword v4, off, s[0:3], s32 offset:620 ; 4-byte Folded Spill
	buffer_store_dword v2, off, s[0:3], s32 offset:576 ; 4-byte Folded Spill
	v_or_b32_e32 v2, v110, v42
	v_fma_mixlo_f16 v4, v51, v93, 0 op_sel:[0,1,0] op_sel_hi:[0,1,0]
	v_fma_mixlo_f16 v2, v51, v2, 0 op_sel_hi:[0,1,0]
	buffer_store_dword v4, off, s[0:3], s32 offset:604 ; 4-byte Folded Spill
	v_fma_mixlo_f16 v4, v51, v112, 0 op_sel:[0,1,0] op_sel_hi:[0,1,0]
	buffer_store_dword v2, off, s[0:3], s32 offset:568 ; 4-byte Folded Spill
	v_fma_mixlo_f16 v2, v51, v110, 0 op_sel:[0,1,0] op_sel_hi:[0,1,0]
	buffer_store_dword v4, off, s[0:3], s32 offset:644 ; 4-byte Folded Spill
	v_fma_mixlo_f16 v4, v51, v99, 0 op_sel:[0,1,0] op_sel_hi:[0,1,0]
	buffer_store_dword v2, off, s[0:3], s32 offset:564 ; 4-byte Folded Spill
	v_or_b32_e32 v2, v54, v120
	buffer_store_dword v4, off, s[0:3], s32 offset:652 ; 4-byte Folded Spill
	v_fma_mixlo_f16 v4, v51, v115, 0 op_sel:[0,1,0] op_sel_hi:[0,1,0]
	v_fma_mixlo_f16 v2, v51, v2, 0 op_sel_hi:[0,1,0]
	buffer_store_dword v4, off, s[0:3], s32 offset:636 ; 4-byte Folded Spill
	v_fma_mixlo_f16 v4, v51, v96, 0 op_sel:[0,1,0] op_sel_hi:[0,1,0]
	buffer_store_dword v2, off, s[0:3], s32 offset:616 ; 4-byte Folded Spill
	v_or_b32_e32 v2, v109, v79
	v_fma_mixlo_f16 v109, v51, v74, 0 op_sel:[0,1,0] op_sel_hi:[0,1,0]
	buffer_store_dword v4, off, s[0:3], s32 offset:676 ; 4-byte Folded Spill
	v_fma_mixlo_f16 v4, v51, v44, 0 op_sel:[0,1,0] op_sel_hi:[0,1,0]
	v_fma_mixlo_f16 v2, v51, v2, 0 op_sel_hi:[0,1,0]
	buffer_store_dword v4, off, s[0:3], s32 offset:684 ; 4-byte Folded Spill
	v_fma_mixlo_f16 v4, v51, v76, 0 op_sel:[0,1,0] op_sel_hi:[0,1,0]
	buffer_store_dword v2, off, s[0:3], s32 offset:624 ; 4-byte Folded Spill
	v_or_b32_e32 v2, v93, v124
	buffer_store_dword v4, off, s[0:3], s32 offset:668 ; 4-byte Folded Spill
	v_fma_mixlo_f16 v4, v51, v48, 0 op_sel:[0,1,0] op_sel_hi:[0,1,0]
	v_fma_mixlo_f16 v2, v51, v2, 0 op_sel_hi:[0,1,0]
	buffer_store_dword v4, off, s[0:3], s32 offset:708 ; 4-byte Folded Spill
	buffer_store_dword v2, off, s[0:3], s32 offset:608 ; 4-byte Folded Spill
	v_or_b32_e32 v2, v88, v92
	v_fma_mixlo_f16 v2, v51, v2, 0 op_sel_hi:[0,1,0]
	buffer_store_dword v2, off, s[0:3], s32 offset:600 ; 4-byte Folded Spill
	v_fma_mixlo_f16 v2, v51, v88, 0 op_sel:[0,1,0] op_sel_hi:[0,1,0]
	buffer_store_dword v2, off, s[0:3], s32 offset:596 ; 4-byte Folded Spill
	v_or_b32_e32 v2, v112, v101
	v_fma_mixlo_f16 v2, v51, v2, 0 op_sel_hi:[0,1,0]
	buffer_store_dword v2, off, s[0:3], s32 offset:648 ; 4-byte Folded Spill
	v_or_b32_e32 v2, v99, v98
	v_fma_mixlo_f16 v2, v51, v2, 0 op_sel_hi:[0,1,0]
	;; [unrolled: 3-line block ×4, first 2 shown]
	buffer_store_dword v2, off, s[0:3], s32 offset:632 ; 4-byte Folded Spill
	v_fma_mixlo_f16 v2, v51, v43, 0 op_sel:[0,1,0] op_sel_hi:[0,1,0]
	buffer_store_dword v2, off, s[0:3], s32 offset:628 ; 4-byte Folded Spill
	v_or_b32_e32 v2, v96, v27
	v_fma_mixlo_f16 v2, v51, v2, 0 op_sel_hi:[0,1,0]
	buffer_store_dword v2, off, s[0:3], s32 offset:680 ; 4-byte Folded Spill
	v_or_b32_e32 v2, v44, v41
	v_fma_mixlo_f16 v44, v51, v121, 0 op_sel:[0,1,0] op_sel_hi:[0,1,0]
	v_fma_mixlo_f16 v2, v51, v2, 0 op_sel_hi:[0,1,0]
	buffer_store_dword v2, off, s[0:3], s32 offset:688 ; 4-byte Folded Spill
	v_or_b32_e32 v2, v76, v50
	v_fma_mixlo_f16 v76, v51, v118, 0 op_sel:[0,1,0] op_sel_hi:[0,1,0]
	v_fma_mixlo_f16 v2, v51, v2, 0 op_sel_hi:[0,1,0]
	buffer_store_dword v2, off, s[0:3], s32 offset:672 ; 4-byte Folded Spill
	v_or_b32_e32 v2, v35, v62
	v_fma_mixlo_f16 v2, v51, v2, 0 op_sel_hi:[0,1,0]
	buffer_store_dword v2, off, s[0:3], s32 offset:664 ; 4-byte Folded Spill
	v_fma_mixlo_f16 v2, v51, v35, 0 op_sel:[0,1,0] op_sel_hi:[0,1,0]
	buffer_store_dword v2, off, s[0:3], s32 offset:660 ; 4-byte Folded Spill
	v_or_b32_e32 v2, v48, v28
	v_fma_mixlo_f16 v2, v51, v2, 0 op_sel_hi:[0,1,0]
	buffer_store_dword v2, off, s[0:3], s32 offset:712 ; 4-byte Folded Spill
	v_or_b32_e32 v2, v19, v3
	v_fma_mixlo_f16 v3, v51, v19, 0 op_sel:[0,1,0] op_sel_hi:[0,1,0]
	v_fma_mixlo_f16 v2, v51, v2, 0 op_sel_hi:[0,1,0]
	buffer_store_dword v3, off, s[0:3], s32 offset:716 ; 4-byte Folded Spill
	v_fma_mixlo_f16 v3, v51, v119, 0 op_sel:[0,1,0] op_sel_hi:[0,1,0]
	buffer_store_dword v2, off, s[0:3], s32 offset:720 ; 4-byte Folded Spill
	v_or_b32_e32 v2, v119, v68
	buffer_store_dword v3, off, s[0:3], s32 offset:700 ; 4-byte Folded Spill
	v_fma_mixlo_f16 v3, v51, v65, 0 op_sel:[0,1,0] op_sel_hi:[0,1,0]
	v_fma_mixlo_f16 v68, v51, v94, 0 op_sel:[0,1,0] op_sel_hi:[0,1,0]
	v_fma_mixlo_f16 v2, v51, v2, 0 op_sel_hi:[0,1,0]
	buffer_store_dword v3, off, s[0:3], s32 offset:740 ; 4-byte Folded Spill
	v_fma_mixlo_f16 v3, v51, v39, 0 op_sel:[0,1,0] op_sel_hi:[0,1,0]
	buffer_store_dword v2, off, s[0:3], s32 offset:704 ; 4-byte Folded Spill
	v_or_b32_e32 v2, v37, v85
	buffer_store_dword v3, off, s[0:3], s32 offset:748 ; 4-byte Folded Spill
	v_fma_mixlo_f16 v3, v51, v47, 0 op_sel:[0,1,0] op_sel_hi:[0,1,0]
	v_fma_mixlo_f16 v2, v51, v2, 0 op_sel_hi:[0,1,0]
	buffer_store_dword v3, off, s[0:3], s32 offset:732 ; 4-byte Folded Spill
	v_fma_mixlo_f16 v3, v51, v102, 0 op_sel:[0,1,0] op_sel_hi:[0,1,0]
	buffer_store_dword v2, off, s[0:3], s32 offset:696 ; 4-byte Folded Spill
	v_fma_mixlo_f16 v2, v51, v37, 0 op_sel:[0,1,0] op_sel_hi:[0,1,0]
	;; [unrolled: 2-line block ×3, first 2 shown]
	buffer_store_dword v2, off, s[0:3], s32 offset:692 ; 4-byte Folded Spill
	v_or_b32_e32 v2, v65, v53
	v_fma_mixlo_f16 v65, v51, v22, 0 op_sel:[0,1,0] op_sel_hi:[0,1,0]
	buffer_store_dword v3, off, s[0:3], s32 offset:780 ; 4-byte Folded Spill
	v_fma_mixlo_f16 v3, v51, v116, 0 op_sel:[0,1,0] op_sel_hi:[0,1,0]
	v_fma_mixlo_f16 v2, v51, v2, 0 op_sel_hi:[0,1,0]
	buffer_store_dword v3, off, s[0:3], s32 offset:764 ; 4-byte Folded Spill
	buffer_store_dword v2, off, s[0:3], s32 offset:744 ; 4-byte Folded Spill
	v_or_b32_e32 v2, v39, v21
	v_fma_mixlo_f16 v3, v51, v80, 0 op_sel:[0,1,0] op_sel_hi:[0,1,0]
	v_fma_mixlo_f16 v2, v51, v2, 0 op_sel_hi:[0,1,0]
	buffer_store_dword v3, off, s[0:3], s32 offset:804 ; 4-byte Folded Spill
	v_fma_mixlo_f16 v3, v51, v103, 0 op_sel:[0,1,0] op_sel_hi:[0,1,0]
	buffer_store_dword v2, off, s[0:3], s32 offset:752 ; 4-byte Folded Spill
	v_or_b32_e32 v2, v47, v46
	buffer_store_dword v3, off, s[0:3], s32 offset:812 ; 4-byte Folded Spill
	v_fma_mixlo_f16 v47, v51, v59, 0 op_sel:[0,1,0] op_sel_hi:[0,1,0]
	v_fma_mixlo_f16 v2, v51, v2, 0 op_sel_hi:[0,1,0]
	buffer_store_dword v2, off, s[0:3], s32 offset:736 ; 4-byte Folded Spill
	v_or_b32_e32 v2, v8, v73
	v_fma_mixlo_f16 v2, v51, v2, 0 op_sel_hi:[0,1,0]
	buffer_store_dword v2, off, s[0:3], s32 offset:728 ; 4-byte Folded Spill
	v_fma_mixlo_f16 v2, v51, v8, 0 op_sel:[0,1,0] op_sel_hi:[0,1,0]
	buffer_store_dword v2, off, s[0:3], s32 offset:724 ; 4-byte Folded Spill
	v_or_b32_e32 v2, v102, v86
	v_fma_mixlo_f16 v2, v51, v2, 0 op_sel_hi:[0,1,0]
	buffer_store_dword v2, off, s[0:3], s32 offset:776 ; 4-byte Folded Spill
	v_or_b32_e32 v2, v64, v29
	v_fma_mixlo_f16 v29, v51, v90, 0 op_sel:[0,1,0] op_sel_hi:[0,1,0]
	v_fma_mixlo_f16 v2, v51, v2, 0 op_sel_hi:[0,1,0]
	s_waitcnt vmcnt(0)
	v_or_b32_e32 v0, v60, v0
	buffer_store_dword v2, off, s[0:3], s32 offset:784 ; 4-byte Folded Spill
	v_or_b32_e32 v2, v116, v83
	v_fma_mixlo_f16 v0, v51, v0, 0 op_sel_hi:[0,1,0]
	v_fma_mixlo_f16 v116, v51, v123, 0 op_sel:[0,1,0] op_sel_hi:[0,1,0]
	v_fma_mixlo_f16 v2, v51, v2, 0 op_sel_hi:[0,1,0]
	buffer_store_dword v0, off, s[0:3], s32 offset:828 ; 4-byte Folded Spill
	buffer_load_dword v0, off, s[0:3], s32 offset:460 ; 4-byte Folded Reload
	buffer_store_dword v2, off, s[0:3], s32 offset:768 ; 4-byte Folded Spill
	v_or_b32_e32 v2, v63, v113
	v_fma_mixlo_f16 v2, v51, v2, 0 op_sel_hi:[0,1,0]
	buffer_store_dword v2, off, s[0:3], s32 offset:760 ; 4-byte Folded Spill
	v_fma_mixlo_f16 v2, v51, v63, 0 op_sel:[0,1,0] op_sel_hi:[0,1,0]
	v_fma_mixlo_f16 v63, v51, v1, 0 op_sel:[0,1,0] op_sel_hi:[0,1,0]
	buffer_store_dword v2, off, s[0:3], s32 offset:756 ; 4-byte Folded Spill
	v_or_b32_e32 v2, v80, v38
	v_fma_mixlo_f16 v2, v51, v2, 0 op_sel_hi:[0,1,0]
	buffer_store_dword v2, off, s[0:3], s32 offset:808 ; 4-byte Folded Spill
	v_or_b32_e32 v2, v103, v72
	v_fma_mixlo_f16 v103, v51, v61, 0 op_sel:[0,1,0] op_sel_hi:[0,1,0]
	v_fma_mixlo_f16 v2, v51, v2, 0 op_sel_hi:[0,1,0]
	buffer_store_dword v2, off, s[0:3], s32 offset:816 ; 4-byte Folded Spill
	v_fma_mixlo_f16 v2, v51, v82, 0 op_sel:[0,1,0] op_sel_hi:[0,1,0]
	v_fma_mixlo_f16 v82, v51, v104, 0 op_sel:[0,1,0] op_sel_hi:[0,1,0]
	buffer_store_dword v2, off, s[0:3], s32 offset:796 ; 4-byte Folded Spill
	v_fma_mixlo_f16 v2, v51, v60, 0 op_sel:[0,1,0] op_sel_hi:[0,1,0]
	buffer_store_dword v2, off, s[0:3], s32 offset:824 ; 4-byte Folded Spill
	;; [unrolled: 2-line block ×3, first 2 shown]
	v_fma_mixlo_f16 v2, v51, v87, 0 op_sel:[0,1,0] op_sel_hi:[0,1,0]
	s_waitcnt vmcnt(0)
	v_or_b32_e32 v0, v49, v0
	v_fma_mixlo_f16 v0, v51, v0, 0 op_sel_hi:[0,1,0]
	buffer_store_dword v0, off, s[0:3], s32 offset:836 ; 4-byte Folded Spill
	buffer_load_dword v0, off, s[0:3], s32 offset:468 ; 4-byte Folded Reload
	buffer_store_dword v2, off, s[0:3], s32 offset:468 ; 4-byte Folded Spill
	v_fma_mixlo_f16 v2, v51, v78, 0 op_sel:[0,1,0] op_sel_hi:[0,1,0]
	s_waitcnt vmcnt(0)
	v_or_b32_e32 v0, v87, v0
	v_fma_mixlo_f16 v87, v51, v122, 0 op_sel:[0,1,0] op_sel_hi:[0,1,0]
	v_fma_mixlo_f16 v0, v51, v0, 0 op_sel_hi:[0,1,0]
	buffer_store_dword v0, off, s[0:3], s32 offset:820 ; 4-byte Folded Spill
	v_or_b32_e32 v0, v66, v23
	v_fma_mixlo_f16 v0, v51, v0, 0 op_sel_hi:[0,1,0]
	buffer_store_dword v0, off, s[0:3], s32 offset:464 ; 4-byte Folded Spill
	v_fma_mixlo_f16 v0, v51, v66, 0 op_sel:[0,1,0] op_sel_hi:[0,1,0]
	buffer_store_dword v0, off, s[0:3], s32 offset:460 ; 4-byte Folded Spill
	buffer_load_dword v0, off, s[0:3], s32 offset:448 ; 4-byte Folded Reload
	s_waitcnt vmcnt(0)
	v_or_b32_e32 v0, v1, v0
	v_fma_mixlo_f16 v1, v51, v108, 0 op_sel:[0,1,0] op_sel_hi:[0,1,0]
	v_fma_mixlo_f16 v62, v51, v0, 0 op_sel_hi:[0,1,0]
	buffer_load_dword v0, off, s[0:3], s32 offset:444 ; 4-byte Folded Reload
	buffer_store_dword v1, off, s[0:3], s32 offset:448 ; 4-byte Folded Spill
	s_waitcnt vmcnt(0)
	v_or_b32_e32 v0, v108, v0
	v_fma_mixlo_f16 v60, v51, v0, 0 op_sel_hi:[0,1,0]
	buffer_load_dword v0, off, s[0:3], s32 offset:452 ; 4-byte Folded Reload
	s_waitcnt vmcnt(0)
	v_or_b32_e32 v0, v118, v0
	v_fma_mixlo_f16 v73, v51, v0, 0 op_sel_hi:[0,1,0]
	buffer_load_dword v0, off, s[0:3], s32 offset:456 ; 4-byte Folded Reload
	s_waitcnt vmcnt(0)
	v_or_b32_e32 v0, v34, v0
	v_fma_mixlo_f16 v79, v51, v0, 0 op_sel_hi:[0,1,0]
	v_fma_mixlo_f16 v0, v51, v34, 0 op_sel:[0,1,0] op_sel_hi:[0,1,0]
	buffer_store_dword v0, off, s[0:3], s32 offset:444 ; 4-byte Folded Spill
	buffer_load_dword v0, off, s[0:3], s32 offset:432 ; 4-byte Folded Reload
	s_waitcnt vmcnt(0)
	v_or_b32_e32 v0, v74, v0
	v_fma_mixlo_f16 v119, v51, v0, 0 op_sel_hi:[0,1,0]
	buffer_load_dword v0, off, s[0:3], s32 offset:428 ; 4-byte Folded Reload
	s_waitcnt vmcnt(0)
	v_or_b32_e32 v0, v123, v0
	v_fma_mixlo_f16 v113, v51, v0, 0 op_sel_hi:[0,1,0]
	;; [unrolled: 4-line block ×3, first 2 shown]
	buffer_load_dword v0, off, s[0:3], s32 offset:440 ; 4-byte Folded Reload
	s_waitcnt vmcnt(0)
	v_or_b32_e32 v0, v59, v0
	v_fma_mixlo_f16 v59, v51, v91, 0 op_sel:[0,1,0] op_sel_hi:[0,1,0]
	v_fma_mixlo_f16 v46, v51, v0, 0 op_sel_hi:[0,1,0]
	buffer_load_dword v0, off, s[0:3], s32 offset:416 ; 4-byte Folded Reload
	s_waitcnt vmcnt(0)
	v_or_b32_e32 v0, v104, v0
	v_fma_mixlo_f16 v80, v51, v0, 0 op_sel_hi:[0,1,0]
	buffer_load_dword v0, off, s[0:3], s32 offset:412 ; 4-byte Folded Reload
	s_waitcnt vmcnt(0)
	v_or_b32_e32 v0, v94, v0
	;; [unrolled: 4-line block ×4, first 2 shown]
	v_fma_mixlo_f16 v102, v51, v0, 0 op_sel_hi:[0,1,0]
	s_clause 0x1
	buffer_load_dword v0, off, s[0:3], s32 offset:392
	buffer_load_dword v1, off, s[0:3], s32 offset:400
	s_waitcnt vmcnt(0)
	v_or_b32_e32 v0, v1, v0
	v_fma_mixlo_f16 v48, v51, v1, 0 op_sel:[0,1,0] op_sel_hi:[0,1,0]
	v_fma_mixlo_f16 v39, v51, v0, 0 op_sel_hi:[0,1,0]
	s_clause 0x1
	buffer_load_dword v0, off, s[0:3], s32 offset:384
	buffer_load_dword v1, off, s[0:3], s32 offset:388
	s_waitcnt vmcnt(0)
	v_or_b32_e32 v0, v1, v0
	v_fma_mixlo_f16 v34, v51, v1, 0 op_sel:[0,1,0] op_sel_hi:[0,1,0]
	;; [unrolled: 7-line block ×3, first 2 shown]
	v_fma_mixlo_f16 v49, v51, v0, 0 op_sel_hi:[0,1,0]
	buffer_load_dword v0, off, s[0:3], s32 offset:404 ; 4-byte Folded Reload
	s_waitcnt vmcnt(0)
	v_or_b32_e32 v0, v22, v0
	v_fma_mixlo_f16 v64, v51, v0, 0 op_sel_hi:[0,1,0]
	s_clause 0x1
	buffer_load_dword v0, off, s[0:3], s32 offset:364
	buffer_load_dword v1, off, s[0:3], s32 offset:372
	s_waitcnt vmcnt(0)
	v_or_b32_e32 v0, v1, v0
	v_fma_mixlo_f16 v124, v51, v1, 0 op_sel:[0,1,0] op_sel_hi:[0,1,0]
	v_fma_mixlo_f16 v0, v51, v0, 0 op_sel_hi:[0,1,0]
	buffer_store_dword v0, off, s[0:3], s32 offset:364 ; 4-byte Folded Spill
	s_clause 0x1
	buffer_load_dword v0, off, s[0:3], s32 offset:356
	buffer_load_dword v1, off, s[0:3], s32 offset:360
	s_waitcnt vmcnt(0)
	v_or_b32_e32 v0, v1, v0
	v_fma_mixlo_f16 v19, v51, v1, 0 op_sel:[0,1,0] op_sel_hi:[0,1,0]
	v_fma_mixlo_f16 v85, v51, v0, 0 op_sel_hi:[0,1,0]
	s_clause 0x1
	buffer_load_dword v0, off, s[0:3], s32 offset:368
	buffer_load_dword v1, off, s[0:3], s32 offset:380
	s_waitcnt vmcnt(0)
	v_or_b32_e32 v0, v1, v0
	v_fma_mixlo_f16 v26, v51, v1, 0 op_sel:[0,1,0] op_sel_hi:[0,1,0]
	v_fma_mixlo_f16 v21, v51, v0, 0 op_sel_hi:[0,1,0]
	;; [unrolled: 7-line block ×17, first 2 shown]
	s_clause 0x1
	buffer_load_dword v0, off, s[0:3], s32 offset:256
	buffer_load_dword v1, off, s[0:3], s32 offset:268
	v_and_b32_e32 v4, 0xffff, v4
	s_waitcnt vmcnt(0)
	v_or_b32_e32 v0, v1, v0
	v_fma_mixlo_f16 v120, v51, v1, 0 op_sel:[0,1,0] op_sel_hi:[0,1,0]
	v_fma_mixlo_f16 v121, v51, v0, 0 op_sel_hi:[0,1,0]
	s_clause 0x1
	buffer_load_dword v0, off, s[0:3], s32 offset:264
	buffer_load_dword v1, off, s[0:3], s32 offset:496
	s_waitcnt vmcnt(0)
	v_or_b32_e32 v0, v1, v0
	v_fma_mixlo_f16 v117, v51, v1, 0 op_sel:[0,1,0] op_sel_hi:[0,1,0]
	v_fma_mixlo_f16 v40, v51, v0, 0 op_sel_hi:[0,1,0]
	s_clause 0x1
	buffer_load_dword v0, off, s[0:3], s32 offset:224
	buffer_load_dword v1, off, s[0:3], s32 offset:232
	;; [unrolled: 7-line block ×6, first 2 shown]
	s_waitcnt vmcnt(0)
	v_or_b32_e32 v0, v1, v0
	v_fma_mixlo_f16 v77, v51, v1, 0 op_sel:[0,1,0] op_sel_hi:[0,1,0]
	buffer_load_dword v1, off, s[0:3], s32 offset:192 ; 4-byte Folded Reload
	v_fma_mixlo_f16 v88, v51, v0, 0 op_sel_hi:[0,1,0]
	s_waitcnt vmcnt(0)
	v_or_b32_e32 v0, v1, v126
	v_fma_mixlo_f16 v89, v51, v1, 0 op_sel:[0,1,0] op_sel_hi:[0,1,0]
	v_fma_mixlo_f16 v14, v51, v0, 0 op_sel_hi:[0,1,0]
	s_clause 0x1
	buffer_load_dword v0, off, s[0:3], s32 offset:200
	buffer_load_dword v1, off, s[0:3], s32 offset:212
	v_and_b32_e32 v14, 0xffff, v14
	s_waitcnt vmcnt(0)
	v_or_b32_e32 v0, v1, v0
	v_fma_mixlo_f16 v110, v51, v1, 0 op_sel:[0,1,0] op_sel_hi:[0,1,0]
	v_fma_mixlo_f16 v126, v51, v0, 0 op_sel_hi:[0,1,0]
	s_clause 0x1
	buffer_load_dword v0, off, s[0:3], s32 offset:208
	buffer_load_dword v1, off, s[0:3], s32 offset:488
	buffer_store_dword v2, off, s[0:3], s32 offset:196 ; 4-byte Folded Spill
	v_fma_mixlo_f16 v2, v51, v25, 0 op_sel:[0,1,0] op_sel_hi:[0,1,0]
	buffer_store_dword v2, off, s[0:3], s32 offset:204 ; 4-byte Folded Spill
	s_waitcnt vmcnt(0)
	v_or_b32_e32 v0, v1, v0
	v_fma_mixlo_f16 v94, v51, v1, 0 op_sel:[0,1,0] op_sel_hi:[0,1,0]
	buffer_load_dword v1, off, s[0:3], s32 offset:484 ; 4-byte Folded Reload
	v_fma_mixlo_f16 v32, v51, v0, 0 op_sel_hi:[0,1,0]
	v_or_b32_e32 v0, v10, v7
	v_fma_mixlo_f16 v10, v51, v0, 0 op_sel_hi:[0,1,0]
	v_or_b32_e32 v0, v15, v71
	v_fma_mixlo_f16 v71, v51, v20, 0 op_sel:[0,1,0] op_sel_hi:[0,1,0]
	v_fma_mixlo_f16 v15, v51, v15, 0 op_sel:[0,1,0] op_sel_hi:[0,1,0]
	v_and_b32_e32 v10, 0xffff, v10
	v_fma_mixlo_f16 v7, v51, v0, 0 op_sel_hi:[0,1,0]
	v_or_b32_e32 v0, v13, v57
	v_fma_mixlo_f16 v57, v51, v97, 0 op_sel:[0,1,0] op_sel_hi:[0,1,0]
	v_and_b32_e32 v15, 0xffff, v15
	v_and_b32_e32 v7, 0xffff, v7
	v_fma_mixlo_f16 v13, v51, v0, 0 op_sel_hi:[0,1,0]
	s_waitcnt vmcnt(0)
	v_or_b32_e32 v0, v1, v67
	v_fma_mixlo_f16 v67, v51, v1, 0 op_sel:[0,1,0] op_sel_hi:[0,1,0]
	buffer_load_dword v1, off, s[0:3], s32 offset:840 ; 4-byte Folded Reload
	v_fma_mixlo_f16 v38, v51, v0, 0 op_sel_hi:[0,1,0]
	v_or_b32_e32 v0, v97, v69
	v_fma_mixlo_f16 v69, v51, v16, 0 op_sel:[0,1,0] op_sel_hi:[0,1,0]
	v_fma_mixlo_f16 v97, v51, v0, 0 op_sel_hi:[0,1,0]
	v_or_b32_e32 v0, v20, v11
	v_fma_mixlo_f16 v20, v51, v0, 0 op_sel_hi:[0,1,0]
	v_or_b32_e32 v0, v90, v84
	;; [unrolled: 2-line block ×3, first 2 shown]
	v_fma_mixlo_f16 v91, v51, v81, 0 op_sel:[0,1,0] op_sel_hi:[0,1,0]
	v_fma_mixlo_f16 v100, v51, v0, 0 op_sel_hi:[0,1,0]
	v_sub_nc_u32_e32 v0, 1, v30
	v_add_nc_u32_e32 v0, v0, v95
	v_add_nc_u32_e32 v95, 0x80, v95
	v_cvt_f32_i32_e32 v0, v0
	s_waitcnt vmcnt(0)
	v_mul_f32_e32 v0, v1, v0
	v_or_b32_e32 v1, v78, v127
	v_cndmask_b32_e32 v11, 0, v0, vcc_lo
	v_fma_mixlo_f16 v1, v51, v1, 0 op_sel_hi:[0,1,0]
	buffer_store_dword v1, off, s[0:3], s32 offset:200 ; 4-byte Folded Spill
	v_or_b32_e32 v1, v25, v24
	v_fma_mixlo_f16 v1, v51, v1, 0 op_sel_hi:[0,1,0]
	buffer_store_dword v1, off, s[0:3], s32 offset:208 ; 4-byte Folded Spill
	v_or_b32_e32 v1, v81, v52
	v_fma_mixlo_f16 v1, v51, v1, 0 op_sel_hi:[0,1,0]
	buffer_store_dword v1, off, s[0:3], s32 offset:192 ; 4-byte Folded Spill
	v_or_b32_e32 v1, v16, v55
	v_fma_mixlo_f16 v90, v51, v1, 0 op_sel_hi:[0,1,0]
	ds_read_b128 v[0:3], v5
	s_waitcnt lgkmcnt(0)
	v_lshrrev_b32_e32 v16, 16, v0
	v_and_b32_e32 v0, 0xffff, v0
	;;#ASMSTART
	v_cvt_f32_f16 v127, v0;
	;;#ASMEND
	v_and_b32_e32 v0, 0xffff, v20
	;;#ASMSTART
	v_cvt_f32_f16 v78, v16;
	;;#ASMEND
	;;#ASMSTART
	v_cvt_f32_f16 v18, v0;
	;;#ASMEND
	v_and_b32_e32 v0, 0xffff, v71
	;;#ASMSTART
	v_cvt_f32_f16 v86, v0;
	;;#ASMEND
	v_lshrrev_b32_e32 v0, 16, v1
	v_and_b32_e32 v1, 0xffff, v1
	;;#ASMSTART
	v_cvt_f32_f16 v81, v1;
	;;#ASMEND
	;;#ASMSTART
	v_cvt_f32_f16 v71, v0;
	;;#ASMEND
	v_and_b32_e32 v0, 0xffff, v97
	;;#ASMSTART
	v_cvt_f32_f16 v97, v0;
	;;#ASMEND
	v_and_b32_e32 v0, 0xffff, v57
	;;#ASMSTART
	v_cvt_f32_f16 v57, v0;
	;;#ASMEND
	v_lshrrev_b32_e32 v0, 16, v2
	v_and_b32_e32 v1, 0xffff, v2
	;;#ASMSTART
	v_cvt_f32_f16 v51, v1;
	;;#ASMEND
	;;#ASMSTART
	v_cvt_f32_f16 v16, v0;
	;;#ASMEND
	v_and_b32_e32 v0, 0xffff, v84
	;; [unrolled: 16-line block ×3, first 2 shown]
	;;#ASMSTART
	v_cvt_f32_f16 v25, v0;
	;;#ASMEND
	v_and_b32_e32 v0, 0xffff, v59
	;;#ASMSTART
	v_cvt_f32_f16 v29, v0;
	;;#ASMEND
	ds_read_b128 v[0:3], v5 offset:16
	s_waitcnt lgkmcnt(0)
	v_lshrrev_b32_e32 v84, 16, v0
	v_and_b32_e32 v0, 0xffff, v0
	;;#ASMSTART
	v_cvt_f32_f16 v0, v0;
	;;#ASMEND
	;;#ASMSTART
	v_cvt_f32_f16 v84, v84;
	;;#ASMEND
	;; [unrolled: 3-line block ×4, first 2 shown]
	v_mul_f32_e32 v15, v0, v7
	v_and_b32_e32 v0, 0xffff, v1
	;;#ASMSTART
	v_cvt_f32_f16 v0, v0;
	;;#ASMEND
	v_mul_f32_e32 v7, v84, v100
	v_fmac_f32_e32 v15, v127, v18
	v_lshrrev_b32_e32 v18, 16, v1
	;;#ASMSTART
	v_cvt_f32_f16 v1, v18;
	;;#ASMEND
	;;#ASMSTART
	v_cvt_f32_f16 v10, v10;
	;;#ASMEND
	;; [unrolled: 3-line block ×3, first 2 shown]
	v_mul_f32_e32 v10, v0, v10
	v_mul_f32_e32 v9, v1, v9
	v_lshrrev_b32_e32 v1, 16, v2
	v_and_b32_e32 v0, 0xffff, v2
	v_and_b32_e32 v2, 0xffff, v13
	;;#ASMSTART
	v_cvt_f32_f16 v0, v0;
	;;#ASMEND
	;;#ASMSTART
	v_cvt_f32_f16 v1, v1;
	;;#ASMEND
	;; [unrolled: 3-line block ×3, first 2 shown]
	v_mul_f32_e32 v13, v0, v2
	;;#ASMSTART
	v_cvt_f32_f16 v12, v12;
	;;#ASMEND
	v_mul_f32_e32 v12, v1, v12
	v_lshrrev_b32_e32 v1, 16, v3
	v_and_b32_e32 v0, 0xffff, v3
	v_and_b32_e32 v2, 0xffff, v38
	;; [unrolled: 1-line block ×3, first 2 shown]
	;;#ASMSTART
	v_cvt_f32_f16 v0, v0;
	;;#ASMEND
	;;#ASMSTART
	v_cvt_f32_f16 v1, v1;
	;;#ASMEND
	;; [unrolled: 3-line block ×4, first 2 shown]
	v_fmac_f32_e32 v13, v51, v52
	v_mul_f32_e32 v67, v0, v2
	v_mul_f32_e32 v51, v1, v3
	ds_read_b128 v[0:3], v5 offset:32
	v_fmac_f32_e32 v7, v78, v86
	v_fmac_f32_e32 v10, v81, v97
	;; [unrolled: 1-line block ×4, first 2 shown]
	v_and_b32_e32 v18, 0xffff, v89
	v_fmac_f32_e32 v67, v24, v25
	v_fmac_f32_e32 v51, v20, v29
	s_waitcnt lgkmcnt(0)
	v_lshrrev_b32_e32 v16, 16, v0
	v_and_b32_e32 v0, 0xffff, v0
	;;#ASMSTART
	v_cvt_f32_f16 v0, v0;
	;;#ASMEND
	;;#ASMSTART
	v_cvt_f32_f16 v16, v16;
	;;#ASMEND
	;; [unrolled: 3-line block ×3, first 2 shown]
	v_fmac_f32_e32 v15, v0, v14
	v_lshrrev_b32_e32 v14, 16, v1
	v_and_b32_e32 v0, 0xffff, v1
	;;#ASMSTART
	v_cvt_f32_f16 v18, v18;
	;;#ASMEND
	v_fmac_f32_e32 v7, v16, v18
	;;#ASMSTART
	v_cvt_f32_f16 v0, v0;
	;;#ASMEND
	;;#ASMSTART
	v_cvt_f32_f16 v1, v14;
	;;#ASMEND
	v_and_b32_e32 v14, 0xffff, v88
	v_and_b32_e32 v16, 0xffff, v77
	;;#ASMSTART
	v_cvt_f32_f16 v14, v14;
	;;#ASMEND
	;;#ASMSTART
	v_cvt_f32_f16 v16, v16;
	;;#ASMEND
	v_fmac_f32_e32 v10, v0, v14
	v_fmac_f32_e32 v9, v1, v16
	v_lshrrev_b32_e32 v1, 16, v2
	v_and_b32_e32 v0, 0xffff, v2
	v_and_b32_e32 v2, 0xffff, v126
	;;#ASMSTART
	v_cvt_f32_f16 v0, v0;
	;;#ASMEND
	;;#ASMSTART
	v_cvt_f32_f16 v1, v1;
	;;#ASMEND
	;; [unrolled: 3-line block ×3, first 2 shown]
	v_and_b32_e32 v14, 0xffff, v110
	;;#ASMSTART
	v_cvt_f32_f16 v14, v14;
	;;#ASMEND
	v_fmac_f32_e32 v13, v0, v2
	v_fmac_f32_e32 v12, v1, v14
	v_lshrrev_b32_e32 v1, 16, v3
	v_and_b32_e32 v0, 0xffff, v3
	v_and_b32_e32 v2, 0xffff, v32
	;; [unrolled: 1-line block ×3, first 2 shown]
	;;#ASMSTART
	v_cvt_f32_f16 v0, v0;
	;;#ASMEND
	;;#ASMSTART
	v_cvt_f32_f16 v1, v1;
	;;#ASMEND
	;; [unrolled: 3-line block ×4, first 2 shown]
	v_fmac_f32_e32 v67, v0, v2
	v_fmac_f32_e32 v51, v1, v3
	ds_read_b128 v[0:3], v5 offset:48
	v_and_b32_e32 v16, 0xffff, v93
	v_and_b32_e32 v18, 0xffff, v92
	s_waitcnt lgkmcnt(0)
	v_lshrrev_b32_e32 v14, 16, v0
	v_and_b32_e32 v0, 0xffff, v0
	;;#ASMSTART
	v_cvt_f32_f16 v0, v0;
	;;#ASMEND
	;;#ASMSTART
	v_cvt_f32_f16 v14, v14;
	;;#ASMEND
	;; [unrolled: 3-line block ×4, first 2 shown]
	v_fmac_f32_e32 v15, v0, v16
	v_fmac_f32_e32 v7, v14, v18
	v_lshrrev_b32_e32 v14, 16, v1
	v_and_b32_e32 v0, 0xffff, v1
	;;#ASMSTART
	v_cvt_f32_f16 v0, v0;
	;;#ASMEND
	;;#ASMSTART
	v_cvt_f32_f16 v1, v14;
	;;#ASMEND
	v_and_b32_e32 v14, 0xffff, v54
	v_and_b32_e32 v16, 0xffff, v123
	;;#ASMSTART
	v_cvt_f32_f16 v14, v14;
	;;#ASMEND
	;;#ASMSTART
	v_cvt_f32_f16 v16, v16;
	;;#ASMEND
	v_fmac_f32_e32 v10, v0, v14
	v_fmac_f32_e32 v9, v1, v16
	v_lshrrev_b32_e32 v1, 16, v2
	v_and_b32_e32 v0, 0xffff, v2
	v_and_b32_e32 v2, 0xffff, v122
	;;#ASMSTART
	v_cvt_f32_f16 v0, v0;
	;;#ASMEND
	;;#ASMSTART
	v_cvt_f32_f16 v1, v1;
	;;#ASMEND
	;; [unrolled: 3-line block ×3, first 2 shown]
	v_and_b32_e32 v14, 0xffff, v31
	;;#ASMSTART
	v_cvt_f32_f16 v14, v14;
	;;#ASMEND
	v_fmac_f32_e32 v13, v0, v2
	v_fmac_f32_e32 v12, v1, v14
	v_lshrrev_b32_e32 v1, 16, v3
	v_and_b32_e32 v0, 0xffff, v3
	v_and_b32_e32 v2, 0xffff, v108
	;; [unrolled: 1-line block ×3, first 2 shown]
	;;#ASMSTART
	v_cvt_f32_f16 v0, v0;
	;;#ASMEND
	;;#ASMSTART
	v_cvt_f32_f16 v1, v1;
	;;#ASMEND
	;; [unrolled: 3-line block ×4, first 2 shown]
	v_fmac_f32_e32 v67, v0, v2
	v_fmac_f32_e32 v51, v1, v3
	ds_read_b128 v[0:3], v5 offset:64
	v_and_b32_e32 v16, 0xffff, v22
	s_waitcnt lgkmcnt(0)
	v_lshrrev_b32_e32 v14, 16, v0
	v_and_b32_e32 v0, 0xffff, v0
	;;#ASMSTART
	v_cvt_f32_f16 v0, v0;
	;;#ASMEND
	;;#ASMSTART
	v_cvt_f32_f16 v14, v14;
	;;#ASMEND
	;;#ASMSTART
	v_cvt_f32_f16 v16, v16;
	;;#ASMEND
	;;#ASMSTART
	v_cvt_f32_f16 v4, v4;
	;;#ASMEND
	v_fmac_f32_e32 v15, v0, v16
	v_fmac_f32_e32 v7, v14, v4
	v_lshrrev_b32_e32 v4, 16, v1
	v_and_b32_e32 v0, 0xffff, v1
	;;#ASMSTART
	v_cvt_f32_f16 v0, v0;
	;;#ASMEND
	;;#ASMSTART
	v_cvt_f32_f16 v1, v4;
	;;#ASMEND
	v_and_b32_e32 v4, 0xffff, v43
	v_and_b32_e32 v14, 0xffff, v42
	;;#ASMSTART
	v_cvt_f32_f16 v4, v4;
	;;#ASMEND
	;;#ASMSTART
	v_cvt_f32_f16 v14, v14;
	;;#ASMEND
	v_fmac_f32_e32 v10, v0, v4
	v_fmac_f32_e32 v9, v1, v14
	v_lshrrev_b32_e32 v1, 16, v2
	v_and_b32_e32 v0, 0xffff, v2
	v_and_b32_e32 v2, 0xffff, v121
	;;#ASMSTART
	v_cvt_f32_f16 v0, v0;
	;;#ASMEND
	;;#ASMSTART
	v_cvt_f32_f16 v1, v1;
	;;#ASMEND
	;; [unrolled: 3-line block ×3, first 2 shown]
	v_and_b32_e32 v4, 0xffff, v120
	;;#ASMSTART
	v_cvt_f32_f16 v4, v4;
	;;#ASMEND
	v_fmac_f32_e32 v13, v0, v2
	v_fmac_f32_e32 v12, v1, v4
	v_lshrrev_b32_e32 v1, 16, v3
	v_and_b32_e32 v0, 0xffff, v3
	v_and_b32_e32 v2, 0xffff, v40
	;; [unrolled: 1-line block ×3, first 2 shown]
	;;#ASMSTART
	v_cvt_f32_f16 v0, v0;
	;;#ASMEND
	;;#ASMSTART
	v_cvt_f32_f16 v1, v1;
	;;#ASMEND
	;; [unrolled: 3-line block ×4, first 2 shown]
	v_fmac_f32_e32 v67, v0, v2
	v_fmac_f32_e32 v51, v1, v3
	ds_read_b128 v[0:3], v5 offset:80
	v_and_b32_e32 v14, 0xffff, v115
	v_and_b32_e32 v16, 0xffff, v114
	s_waitcnt lgkmcnt(0)
	v_lshrrev_b32_e32 v4, 16, v0
	v_and_b32_e32 v0, 0xffff, v0
	;;#ASMSTART
	v_cvt_f32_f16 v0, v0;
	;;#ASMEND
	;;#ASMSTART
	v_cvt_f32_f16 v4, v4;
	;;#ASMEND
	;; [unrolled: 3-line block ×4, first 2 shown]
	v_fmac_f32_e32 v15, v0, v14
	v_fmac_f32_e32 v7, v4, v16
	v_lshrrev_b32_e32 v4, 16, v1
	v_and_b32_e32 v0, 0xffff, v1
	;;#ASMSTART
	v_cvt_f32_f16 v0, v0;
	;;#ASMEND
	;;#ASMSTART
	v_cvt_f32_f16 v1, v4;
	;;#ASMEND
	v_and_b32_e32 v4, 0xffff, v112
	v_and_b32_e32 v14, 0xffff, v36
	;;#ASMSTART
	v_cvt_f32_f16 v4, v4;
	;;#ASMEND
	;;#ASMSTART
	v_cvt_f32_f16 v14, v14;
	;;#ASMEND
	v_fmac_f32_e32 v10, v0, v4
	v_fmac_f32_e32 v9, v1, v14
	v_lshrrev_b32_e32 v1, 16, v2
	v_and_b32_e32 v0, 0xffff, v2
	v_and_b32_e32 v2, 0xffff, v45
	;;#ASMSTART
	v_cvt_f32_f16 v0, v0;
	;;#ASMEND
	;;#ASMSTART
	v_cvt_f32_f16 v1, v1;
	;;#ASMEND
	;; [unrolled: 3-line block ×3, first 2 shown]
	v_and_b32_e32 v4, 0xffff, v75
	;;#ASMSTART
	v_cvt_f32_f16 v4, v4;
	;;#ASMEND
	v_fmac_f32_e32 v13, v0, v2
	v_fmac_f32_e32 v12, v1, v4
	v_lshrrev_b32_e32 v1, 16, v3
	v_and_b32_e32 v0, 0xffff, v3
	v_and_b32_e32 v2, 0xffff, v58
	;; [unrolled: 1-line block ×3, first 2 shown]
	;;#ASMSTART
	v_cvt_f32_f16 v0, v0;
	;;#ASMEND
	;;#ASMSTART
	v_cvt_f32_f16 v1, v1;
	;;#ASMEND
	;; [unrolled: 3-line block ×4, first 2 shown]
	v_fmac_f32_e32 v67, v0, v2
	v_fmac_f32_e32 v51, v1, v3
	ds_read_b128 v[0:3], v5 offset:96
	v_and_b32_e32 v14, 0xffff, v101
	v_and_b32_e32 v16, 0xffff, v35
	s_waitcnt lgkmcnt(0)
	v_lshrrev_b32_e32 v4, 16, v0
	v_and_b32_e32 v0, 0xffff, v0
	;;#ASMSTART
	v_cvt_f32_f16 v0, v0;
	;;#ASMEND
	;;#ASMSTART
	v_cvt_f32_f16 v4, v4;
	;;#ASMEND
	;; [unrolled: 3-line block ×4, first 2 shown]
	v_fmac_f32_e32 v15, v0, v14
	v_fmac_f32_e32 v7, v4, v16
	v_lshrrev_b32_e32 v4, 16, v1
	v_and_b32_e32 v0, 0xffff, v1
	;;#ASMSTART
	v_cvt_f32_f16 v0, v0;
	;;#ASMEND
	;;#ASMSTART
	v_cvt_f32_f16 v1, v4;
	;;#ASMEND
	v_and_b32_e32 v4, 0xffff, v99
	v_and_b32_e32 v14, 0xffff, v98
	;;#ASMSTART
	v_cvt_f32_f16 v4, v4;
	;;#ASMEND
	;;#ASMSTART
	v_cvt_f32_f16 v14, v14;
	;;#ASMEND
	v_fmac_f32_e32 v10, v0, v4
	v_fmac_f32_e32 v9, v1, v14
	v_lshrrev_b32_e32 v1, 16, v2
	v_and_b32_e32 v0, 0xffff, v2
	v_and_b32_e32 v2, 0xffff, v37
	;;#ASMSTART
	v_cvt_f32_f16 v0, v0;
	;;#ASMEND
	;;#ASMSTART
	v_cvt_f32_f16 v1, v1;
	;;#ASMEND
	;;#ASMSTART
	v_cvt_f32_f16 v2, v2;
	;;#ASMEND
	v_and_b32_e32 v4, 0xffff, v74
	;;#ASMSTART
	v_cvt_f32_f16 v4, v4;
	;;#ASMEND
	v_fmac_f32_e32 v13, v0, v2
	v_fmac_f32_e32 v12, v1, v4
	v_lshrrev_b32_e32 v1, 16, v3
	v_and_b32_e32 v0, 0xffff, v3
	v_and_b32_e32 v2, 0xffff, v72
	;; [unrolled: 1-line block ×3, first 2 shown]
	;;#ASMSTART
	v_cvt_f32_f16 v0, v0;
	;;#ASMEND
	;;#ASMSTART
	v_cvt_f32_f16 v1, v1;
	;;#ASMEND
	;; [unrolled: 3-line block ×4, first 2 shown]
	v_fmac_f32_e32 v67, v0, v2
	v_fmac_f32_e32 v51, v1, v3
	ds_read_b128 v[0:3], v5 offset:112
	v_and_b32_e32 v14, 0xffff, v50
	v_and_b32_e32 v16, 0xffff, v96
	s_waitcnt lgkmcnt(0)
	v_lshrrev_b32_e32 v4, 16, v0
	v_and_b32_e32 v0, 0xffff, v0
	;;#ASMSTART
	v_cvt_f32_f16 v0, v0;
	;;#ASMEND
	;;#ASMSTART
	v_cvt_f32_f16 v4, v4;
	;;#ASMEND
	;; [unrolled: 3-line block ×4, first 2 shown]
	v_fmac_f32_e32 v15, v0, v14
	v_fmac_f32_e32 v7, v4, v16
	v_lshrrev_b32_e32 v4, 16, v1
	v_and_b32_e32 v0, 0xffff, v1
	;;#ASMSTART
	v_cvt_f32_f16 v0, v0;
	;;#ASMEND
	;;#ASMSTART
	v_cvt_f32_f16 v1, v4;
	;;#ASMEND
	v_and_b32_e32 v4, 0xffff, v6
	v_and_b32_e32 v14, 0xffff, v23
	;;#ASMSTART
	v_cvt_f32_f16 v4, v4;
	;;#ASMEND
	;;#ASMSTART
	v_cvt_f32_f16 v14, v14;
	;;#ASMEND
	v_fmac_f32_e32 v10, v0, v4
	v_fmac_f32_e32 v9, v1, v14
	v_lshrrev_b32_e32 v1, 16, v2
	v_and_b32_e32 v0, 0xffff, v2
	v_and_b32_e32 v2, 0xffff, v105
	;;#ASMSTART
	v_cvt_f32_f16 v0, v0;
	;;#ASMEND
	;;#ASMSTART
	v_cvt_f32_f16 v1, v1;
	;;#ASMEND
	;; [unrolled: 3-line block ×3, first 2 shown]
	v_and_b32_e32 v4, 0xffff, v104
	;;#ASMSTART
	v_cvt_f32_f16 v4, v4;
	;;#ASMEND
	v_fmac_f32_e32 v13, v0, v2
	v_fmac_f32_e32 v12, v1, v4
	v_lshrrev_b32_e32 v1, 16, v3
	v_and_b32_e32 v0, 0xffff, v3
	v_and_b32_e32 v2, 0xffff, v8
	;; [unrolled: 1-line block ×3, first 2 shown]
	;;#ASMSTART
	v_cvt_f32_f16 v0, v0;
	;;#ASMEND
	;;#ASMSTART
	v_cvt_f32_f16 v1, v1;
	;;#ASMEND
	;; [unrolled: 3-line block ×4, first 2 shown]
	v_fmac_f32_e32 v67, v0, v2
	v_fmac_f32_e32 v51, v1, v3
	ds_read_b128 v[0:3], v5 offset:128
	v_and_b32_e32 v6, 0xffff, v85
	v_and_b32_e32 v8, 0xffff, v19
	s_waitcnt lgkmcnt(0)
	v_lshrrev_b32_e32 v4, 16, v0
	v_and_b32_e32 v0, 0xffff, v0
	;;#ASMSTART
	v_cvt_f32_f16 v0, v0;
	;;#ASMEND
	;;#ASMSTART
	v_cvt_f32_f16 v4, v4;
	;;#ASMEND
	;; [unrolled: 3-line block ×4, first 2 shown]
	v_fmac_f32_e32 v15, v0, v6
	v_fmac_f32_e32 v7, v4, v8
	v_lshrrev_b32_e32 v4, 16, v1
	v_and_b32_e32 v0, 0xffff, v1
	;;#ASMSTART
	v_cvt_f32_f16 v0, v0;
	;;#ASMEND
	;;#ASMSTART
	v_cvt_f32_f16 v1, v4;
	;;#ASMEND
	buffer_load_dword v4, off, s[0:3], s32 offset:364 ; 4-byte Folded Reload
	v_and_b32_e32 v6, 0xffff, v124
	v_and_b32_e32 v8, 0xffff, v34
	s_waitcnt vmcnt(0)
	v_and_b32_e32 v4, 0xffff, v4
	;;#ASMSTART
	v_cvt_f32_f16 v4, v4;
	;;#ASMEND
	;;#ASMSTART
	v_cvt_f32_f16 v6, v6;
	;;#ASMEND
	v_fmac_f32_e32 v10, v0, v4
	v_fmac_f32_e32 v9, v1, v6
	v_lshrrev_b32_e32 v1, 16, v2
	v_and_b32_e32 v0, 0xffff, v2
	v_and_b32_e32 v2, 0xffff, v21
	;;#ASMSTART
	v_cvt_f32_f16 v0, v0;
	;;#ASMEND
	;;#ASMSTART
	v_cvt_f32_f16 v1, v1;
	;;#ASMEND
	;; [unrolled: 3-line block ×3, first 2 shown]
	v_and_b32_e32 v4, 0xffff, v26
	;;#ASMSTART
	v_cvt_f32_f16 v4, v4;
	;;#ASMEND
	v_fmac_f32_e32 v13, v0, v2
	v_fmac_f32_e32 v12, v1, v4
	v_lshrrev_b32_e32 v1, 16, v3
	v_and_b32_e32 v0, 0xffff, v3
	v_and_b32_e32 v2, 0xffff, v27
	v_and_b32_e32 v3, 0xffff, v28
	;;#ASMSTART
	v_cvt_f32_f16 v0, v0;
	;;#ASMEND
	;;#ASMSTART
	v_cvt_f32_f16 v1, v1;
	;;#ASMEND
	;; [unrolled: 3-line block ×4, first 2 shown]
	v_fmac_f32_e32 v67, v0, v2
	v_fmac_f32_e32 v51, v1, v3
	ds_read_b128 v[0:3], v5 offset:144
	v_and_b32_e32 v6, 0xffff, v118
	s_waitcnt lgkmcnt(0)
	v_lshrrev_b32_e32 v4, 16, v0
	v_and_b32_e32 v0, 0xffff, v0
	;;#ASMSTART
	v_cvt_f32_f16 v0, v0;
	;;#ASMEND
	;;#ASMSTART
	v_cvt_f32_f16 v4, v4;
	;;#ASMEND
	;; [unrolled: 3-line block ×4, first 2 shown]
	v_fmac_f32_e32 v15, v0, v6
	v_fmac_f32_e32 v7, v4, v8
	v_lshrrev_b32_e32 v4, 16, v1
	v_and_b32_e32 v0, 0xffff, v1
	;;#ASMSTART
	v_cvt_f32_f16 v0, v0;
	;;#ASMEND
	;;#ASMSTART
	v_cvt_f32_f16 v1, v4;
	;;#ASMEND
	v_and_b32_e32 v4, 0xffff, v39
	v_and_b32_e32 v6, 0xffff, v48
	;;#ASMSTART
	v_cvt_f32_f16 v4, v4;
	;;#ASMEND
	;;#ASMSTART
	v_cvt_f32_f16 v6, v6;
	;;#ASMEND
	v_fmac_f32_e32 v10, v0, v4
	v_fmac_f32_e32 v9, v1, v6
	v_lshrrev_b32_e32 v1, 16, v2
	v_and_b32_e32 v0, 0xffff, v2
	v_and_b32_e32 v2, 0xffff, v49
	;;#ASMSTART
	v_cvt_f32_f16 v0, v0;
	;;#ASMEND
	;;#ASMSTART
	v_cvt_f32_f16 v1, v1;
	;;#ASMEND
	;; [unrolled: 3-line block ×3, first 2 shown]
	v_and_b32_e32 v4, 0xffff, v53
	;;#ASMSTART
	v_cvt_f32_f16 v4, v4;
	;;#ASMEND
	v_fmac_f32_e32 v13, v0, v2
	v_fmac_f32_e32 v12, v1, v4
	v_lshrrev_b32_e32 v1, 16, v3
	v_and_b32_e32 v0, 0xffff, v3
	v_and_b32_e32 v2, 0xffff, v64
	;; [unrolled: 1-line block ×3, first 2 shown]
	;;#ASMSTART
	v_cvt_f32_f16 v0, v0;
	;;#ASMEND
	;;#ASMSTART
	v_cvt_f32_f16 v1, v1;
	;;#ASMEND
	;; [unrolled: 3-line block ×4, first 2 shown]
	v_fmac_f32_e32 v67, v0, v2
	v_fmac_f32_e32 v51, v1, v3
	ds_read_b128 v[0:3], v5 offset:160
	v_and_b32_e32 v6, 0xffff, v66
	v_and_b32_e32 v8, 0xffff, v68
	s_waitcnt lgkmcnt(0)
	v_lshrrev_b32_e32 v4, 16, v0
	v_and_b32_e32 v0, 0xffff, v0
	;;#ASMSTART
	v_cvt_f32_f16 v0, v0;
	;;#ASMEND
	;;#ASMSTART
	v_cvt_f32_f16 v4, v4;
	;;#ASMEND
	;;#ASMSTART
	v_cvt_f32_f16 v6, v6;
	;;#ASMEND
	;;#ASMSTART
	v_cvt_f32_f16 v8, v8;
	;;#ASMEND
	v_fmac_f32_e32 v15, v0, v6
	v_fmac_f32_e32 v7, v4, v8
	v_lshrrev_b32_e32 v4, 16, v1
	v_and_b32_e32 v0, 0xffff, v1
	;;#ASMSTART
	v_cvt_f32_f16 v0, v0;
	;;#ASMEND
	;;#ASMSTART
	v_cvt_f32_f16 v1, v4;
	;;#ASMEND
	v_and_b32_e32 v4, 0xffff, v80
	v_and_b32_e32 v6, 0xffff, v82
	;;#ASMSTART
	v_cvt_f32_f16 v4, v4;
	;;#ASMEND
	;;#ASMSTART
	v_cvt_f32_f16 v6, v6;
	;;#ASMEND
	v_fmac_f32_e32 v10, v0, v4
	v_fmac_f32_e32 v9, v1, v6
	v_lshrrev_b32_e32 v1, 16, v2
	v_and_b32_e32 v0, 0xffff, v2
	v_and_b32_e32 v2, 0xffff, v83
	;;#ASMSTART
	v_cvt_f32_f16 v0, v0;
	;;#ASMEND
	;;#ASMSTART
	v_cvt_f32_f16 v1, v1;
	;;#ASMEND
	;;#ASMSTART
	v_cvt_f32_f16 v2, v2;
	;;#ASMEND
	v_and_b32_e32 v4, 0xffff, v87
	;;#ASMSTART
	v_cvt_f32_f16 v4, v4;
	;;#ASMEND
	v_fmac_f32_e32 v13, v0, v2
	v_fmac_f32_e32 v12, v1, v4
	v_lshrrev_b32_e32 v1, 16, v3
	v_and_b32_e32 v0, 0xffff, v3
	v_and_b32_e32 v2, 0xffff, v102
	;; [unrolled: 1-line block ×3, first 2 shown]
	;;#ASMSTART
	v_cvt_f32_f16 v0, v0;
	;;#ASMEND
	;;#ASMSTART
	v_cvt_f32_f16 v1, v1;
	;;#ASMEND
	;; [unrolled: 3-line block ×4, first 2 shown]
	v_fmac_f32_e32 v67, v0, v2
	v_fmac_f32_e32 v51, v1, v3
	ds_read_b128 v[0:3], v5 offset:176
	v_and_b32_e32 v6, 0xffff, v113
	v_and_b32_e32 v8, 0xffff, v116
	s_waitcnt lgkmcnt(0)
	v_lshrrev_b32_e32 v4, 16, v0
	v_and_b32_e32 v0, 0xffff, v0
	;;#ASMSTART
	v_cvt_f32_f16 v0, v0;
	;;#ASMEND
	;;#ASMSTART
	v_cvt_f32_f16 v4, v4;
	;;#ASMEND
	;;#ASMSTART
	v_cvt_f32_f16 v6, v6;
	;;#ASMEND
	;;#ASMSTART
	v_cvt_f32_f16 v8, v8;
	;;#ASMEND
	v_fmac_f32_e32 v15, v0, v6
	v_fmac_f32_e32 v7, v4, v8
	v_lshrrev_b32_e32 v4, 16, v1
	v_and_b32_e32 v0, 0xffff, v1
	;;#ASMSTART
	v_cvt_f32_f16 v0, v0;
	;;#ASMEND
	;;#ASMSTART
	v_cvt_f32_f16 v1, v4;
	;;#ASMEND
	v_and_b32_e32 v4, 0xffff, v119
	v_and_b32_e32 v6, 0xffff, v109
	;;#ASMSTART
	v_cvt_f32_f16 v4, v4;
	;;#ASMEND
	;;#ASMSTART
	v_cvt_f32_f16 v6, v6;
	;;#ASMEND
	v_fmac_f32_e32 v10, v0, v4
	v_fmac_f32_e32 v9, v1, v6
	v_lshrrev_b32_e32 v1, 16, v2
	v_and_b32_e32 v0, 0xffff, v2
	v_and_b32_e32 v2, 0xffff, v41
	;;#ASMSTART
	v_cvt_f32_f16 v0, v0;
	;;#ASMEND
	;;#ASMSTART
	v_cvt_f32_f16 v1, v1;
	;;#ASMEND
	;;#ASMSTART
	v_cvt_f32_f16 v2, v2;
	;;#ASMEND
	v_and_b32_e32 v4, 0xffff, v44
	;;#ASMSTART
	v_cvt_f32_f16 v4, v4;
	;;#ASMEND
	v_fmac_f32_e32 v13, v0, v2
	v_fmac_f32_e32 v12, v1, v4
	v_lshrrev_b32_e32 v1, 16, v3
	v_and_b32_e32 v0, 0xffff, v3
	v_and_b32_e32 v2, 0xffff, v46
	;; [unrolled: 1-line block ×3, first 2 shown]
	;;#ASMSTART
	v_cvt_f32_f16 v0, v0;
	;;#ASMEND
	;;#ASMSTART
	v_cvt_f32_f16 v1, v1;
	;;#ASMEND
	;; [unrolled: 3-line block ×4, first 2 shown]
	v_fmac_f32_e32 v67, v0, v2
	v_fmac_f32_e32 v51, v1, v3
	ds_read_b128 v[0:3], v5 offset:192
	v_and_b32_e32 v6, 0xffff, v60
	s_waitcnt lgkmcnt(0)
	v_lshrrev_b32_e32 v4, 16, v0
	v_and_b32_e32 v0, 0xffff, v0
	;;#ASMSTART
	v_cvt_f32_f16 v0, v0;
	;;#ASMEND
	;;#ASMSTART
	v_cvt_f32_f16 v4, v4;
	;;#ASMEND
	;; [unrolled: 3-line block ×3, first 2 shown]
	buffer_load_dword v8, off, s[0:3], s32 offset:448 ; 4-byte Folded Reload
	v_fmac_f32_e32 v15, v0, v6
	v_and_b32_e32 v0, 0xffff, v1
	v_and_b32_e32 v6, 0xffff, v63
	s_waitcnt vmcnt(0)
	v_and_b32_e32 v8, 0xffff, v8
	;;#ASMSTART
	v_cvt_f32_f16 v8, v8;
	;;#ASMEND
	v_fmac_f32_e32 v7, v4, v8
	v_lshrrev_b32_e32 v4, 16, v1
	;;#ASMSTART
	v_cvt_f32_f16 v0, v0;
	;;#ASMEND
	;;#ASMSTART
	v_cvt_f32_f16 v1, v4;
	;;#ASMEND
	v_and_b32_e32 v4, 0xffff, v62
	;;#ASMSTART
	v_cvt_f32_f16 v4, v4;
	;;#ASMEND
	;;#ASMSTART
	v_cvt_f32_f16 v6, v6;
	;;#ASMEND
	v_fmac_f32_e32 v10, v0, v4
	v_fmac_f32_e32 v9, v1, v6
	v_lshrrev_b32_e32 v1, 16, v2
	v_and_b32_e32 v0, 0xffff, v2
	v_and_b32_e32 v2, 0xffff, v73
	;;#ASMSTART
	v_cvt_f32_f16 v0, v0;
	;;#ASMEND
	;;#ASMSTART
	v_cvt_f32_f16 v1, v1;
	;;#ASMEND
	;;#ASMSTART
	v_cvt_f32_f16 v2, v2;
	;;#ASMEND
	v_and_b32_e32 v4, 0xffff, v76
	;;#ASMSTART
	v_cvt_f32_f16 v4, v4;
	;;#ASMEND
	v_fmac_f32_e32 v13, v0, v2
	v_fmac_f32_e32 v12, v1, v4
	v_lshrrev_b32_e32 v1, 16, v3
	v_and_b32_e32 v0, 0xffff, v3
	v_and_b32_e32 v2, 0xffff, v79
	;;#ASMSTART
	v_cvt_f32_f16 v0, v0;
	;;#ASMEND
	;;#ASMSTART
	v_cvt_f32_f16 v1, v1;
	;;#ASMEND
	;; [unrolled: 3-line block ×3, first 2 shown]
	buffer_load_dword v3, off, s[0:3], s32 offset:444 ; 4-byte Folded Reload
	v_fmac_f32_e32 v67, v0, v2
	s_waitcnt vmcnt(0)
	v_and_b32_e32 v3, 0xffff, v3
	;;#ASMSTART
	v_cvt_f32_f16 v3, v3;
	;;#ASMEND
	v_fmac_f32_e32 v51, v1, v3
	ds_read_b128 v[0:3], v5 offset:208
	s_waitcnt lgkmcnt(0)
	v_lshrrev_b32_e32 v4, 16, v0
	v_and_b32_e32 v0, 0xffff, v0
	;;#ASMSTART
	v_cvt_f32_f16 v0, v0;
	;;#ASMEND
	;;#ASMSTART
	v_cvt_f32_f16 v4, v4;
	;;#ASMEND
	buffer_load_dword v6, off, s[0:3], s32 offset:836 ; 4-byte Folded Reload
	s_waitcnt vmcnt(0)
	v_and_b32_e32 v6, 0xffff, v6
	;;#ASMSTART
	v_cvt_f32_f16 v6, v6;
	;;#ASMEND
	buffer_load_dword v8, off, s[0:3], s32 offset:832 ; 4-byte Folded Reload
	v_fmac_f32_e32 v15, v0, v6
	v_and_b32_e32 v0, 0xffff, v1
	s_waitcnt vmcnt(0)
	v_and_b32_e32 v8, 0xffff, v8
	;;#ASMSTART
	v_cvt_f32_f16 v8, v8;
	;;#ASMEND
	v_fmac_f32_e32 v7, v4, v8
	v_lshrrev_b32_e32 v4, 16, v1
	;;#ASMSTART
	v_cvt_f32_f16 v0, v0;
	;;#ASMEND
	;;#ASMSTART
	v_cvt_f32_f16 v1, v4;
	;;#ASMEND
	buffer_load_dword v4, off, s[0:3], s32 offset:828 ; 4-byte Folded Reload
	s_waitcnt vmcnt(0)
	v_and_b32_e32 v4, 0xffff, v4
	;;#ASMSTART
	v_cvt_f32_f16 v4, v4;
	;;#ASMEND
	buffer_load_dword v6, off, s[0:3], s32 offset:824 ; 4-byte Folded Reload
	v_fmac_f32_e32 v10, v0, v4
	v_and_b32_e32 v0, 0xffff, v2
	s_waitcnt vmcnt(0)
	v_and_b32_e32 v6, 0xffff, v6
	;;#ASMSTART
	v_cvt_f32_f16 v6, v6;
	;;#ASMEND
	v_fmac_f32_e32 v9, v1, v6
	v_lshrrev_b32_e32 v1, 16, v2
	;; [unrolled: 22-line block ×3, first 2 shown]
	;;#ASMSTART
	v_cvt_f32_f16 v0, v0;
	;;#ASMEND
	;;#ASMSTART
	v_cvt_f32_f16 v1, v1;
	;;#ASMEND
	buffer_load_dword v2, off, s[0:3], s32 offset:464 ; 4-byte Folded Reload
	s_waitcnt vmcnt(0)
	v_and_b32_e32 v2, 0xffff, v2
	;;#ASMSTART
	v_cvt_f32_f16 v2, v2;
	;;#ASMEND
	buffer_load_dword v3, off, s[0:3], s32 offset:460 ; 4-byte Folded Reload
	v_fmac_f32_e32 v67, v0, v2
	s_waitcnt vmcnt(0)
	v_and_b32_e32 v3, 0xffff, v3
	;;#ASMSTART
	v_cvt_f32_f16 v3, v3;
	;;#ASMEND
	v_fmac_f32_e32 v51, v1, v3
	ds_read_b128 v[0:3], v5 offset:224
	s_waitcnt lgkmcnt(0)
	v_lshrrev_b32_e32 v4, 16, v0
	v_and_b32_e32 v0, 0xffff, v0
	;;#ASMSTART
	v_cvt_f32_f16 v0, v0;
	;;#ASMEND
	;;#ASMSTART
	v_cvt_f32_f16 v4, v4;
	;;#ASMEND
	buffer_load_dword v6, off, s[0:3], s32 offset:816 ; 4-byte Folded Reload
	s_waitcnt vmcnt(0)
	v_and_b32_e32 v6, 0xffff, v6
	;;#ASMSTART
	v_cvt_f32_f16 v6, v6;
	;;#ASMEND
	buffer_load_dword v8, off, s[0:3], s32 offset:812 ; 4-byte Folded Reload
	v_fmac_f32_e32 v15, v0, v6
	v_and_b32_e32 v0, 0xffff, v1
	s_waitcnt vmcnt(0)
	v_and_b32_e32 v8, 0xffff, v8
	;;#ASMSTART
	v_cvt_f32_f16 v8, v8;
	;;#ASMEND
	v_fmac_f32_e32 v7, v4, v8
	v_lshrrev_b32_e32 v4, 16, v1
	;;#ASMSTART
	v_cvt_f32_f16 v0, v0;
	;;#ASMEND
	;;#ASMSTART
	v_cvt_f32_f16 v1, v4;
	;;#ASMEND
	buffer_load_dword v4, off, s[0:3], s32 offset:808 ; 4-byte Folded Reload
	s_waitcnt vmcnt(0)
	v_and_b32_e32 v4, 0xffff, v4
	;;#ASMSTART
	v_cvt_f32_f16 v4, v4;
	;;#ASMEND
	buffer_load_dword v6, off, s[0:3], s32 offset:804 ; 4-byte Folded Reload
	v_fmac_f32_e32 v10, v0, v4
	v_and_b32_e32 v0, 0xffff, v2
	s_waitcnt vmcnt(0)
	v_and_b32_e32 v6, 0xffff, v6
	;;#ASMSTART
	v_cvt_f32_f16 v6, v6;
	;;#ASMEND
	v_fmac_f32_e32 v9, v1, v6
	v_lshrrev_b32_e32 v1, 16, v2
	;;#ASMSTART
	v_cvt_f32_f16 v0, v0;
	;;#ASMEND
	;;#ASMSTART
	v_cvt_f32_f16 v1, v1;
	;;#ASMEND
	buffer_load_dword v2, off, s[0:3], s32 offset:800 ; 4-byte Folded Reload
	s_waitcnt vmcnt(0)
	v_and_b32_e32 v2, 0xffff, v2
	;;#ASMSTART
	v_cvt_f32_f16 v2, v2;
	;;#ASMEND
	buffer_load_dword v4, off, s[0:3], s32 offset:796 ; 4-byte Folded Reload
	v_fmac_f32_e32 v13, v0, v2
	v_and_b32_e32 v0, 0xffff, v3
	s_waitcnt vmcnt(0)
	v_and_b32_e32 v4, 0xffff, v4
	;;#ASMSTART
	v_cvt_f32_f16 v4, v4;
	;;#ASMEND
	v_fmac_f32_e32 v12, v1, v4
	v_lshrrev_b32_e32 v1, 16, v3
	;;#ASMSTART
	v_cvt_f32_f16 v0, v0;
	;;#ASMEND
	;;#ASMSTART
	v_cvt_f32_f16 v1, v1;
	;;#ASMEND
	buffer_load_dword v2, off, s[0:3], s32 offset:792 ; 4-byte Folded Reload
	s_waitcnt vmcnt(0)
	v_and_b32_e32 v2, 0xffff, v2
	;;#ASMSTART
	v_cvt_f32_f16 v2, v2;
	;;#ASMEND
	buffer_load_dword v3, off, s[0:3], s32 offset:788 ; 4-byte Folded Reload
	v_fmac_f32_e32 v67, v0, v2
	s_waitcnt vmcnt(0)
	v_and_b32_e32 v3, 0xffff, v3
	;;#ASMSTART
	v_cvt_f32_f16 v3, v3;
	;;#ASMEND
	v_fmac_f32_e32 v51, v1, v3
	ds_read_b128 v[0:3], v5 offset:240
	s_waitcnt lgkmcnt(0)
	v_lshrrev_b32_e32 v4, 16, v0
	v_and_b32_e32 v0, 0xffff, v0
	;;#ASMSTART
	v_cvt_f32_f16 v0, v0;
	;;#ASMEND
	;;#ASMSTART
	v_cvt_f32_f16 v4, v4;
	;;#ASMEND
	buffer_load_dword v6, off, s[0:3], s32 offset:784 ; 4-byte Folded Reload
	s_waitcnt vmcnt(0)
	v_and_b32_e32 v6, 0xffff, v6
	;;#ASMSTART
	v_cvt_f32_f16 v6, v6;
	;;#ASMEND
	buffer_load_dword v8, off, s[0:3], s32 offset:780 ; 4-byte Folded Reload
	v_fmac_f32_e32 v15, v0, v6
	v_and_b32_e32 v0, 0xffff, v1
	s_waitcnt vmcnt(0)
	v_and_b32_e32 v8, 0xffff, v8
	;;#ASMSTART
	v_cvt_f32_f16 v8, v8;
	;;#ASMEND
	v_fmac_f32_e32 v7, v4, v8
	v_lshrrev_b32_e32 v4, 16, v1
	;;#ASMSTART
	v_cvt_f32_f16 v0, v0;
	;;#ASMEND
	;;#ASMSTART
	v_cvt_f32_f16 v1, v4;
	;;#ASMEND
	buffer_load_dword v4, off, s[0:3], s32 offset:776 ; 4-byte Folded Reload
	s_waitcnt vmcnt(0)
	v_and_b32_e32 v4, 0xffff, v4
	;;#ASMSTART
	v_cvt_f32_f16 v4, v4;
	;;#ASMEND
	buffer_load_dword v6, off, s[0:3], s32 offset:772 ; 4-byte Folded Reload
	v_fmac_f32_e32 v10, v0, v4
	v_and_b32_e32 v0, 0xffff, v2
	s_waitcnt vmcnt(0)
	v_and_b32_e32 v6, 0xffff, v6
	;;#ASMSTART
	v_cvt_f32_f16 v6, v6;
	;;#ASMEND
	v_fmac_f32_e32 v9, v1, v6
	v_lshrrev_b32_e32 v1, 16, v2
	;; [unrolled: 22-line block ×3, first 2 shown]
	;;#ASMSTART
	v_cvt_f32_f16 v0, v0;
	;;#ASMEND
	;;#ASMSTART
	v_cvt_f32_f16 v1, v1;
	;;#ASMEND
	buffer_load_dword v2, off, s[0:3], s32 offset:760 ; 4-byte Folded Reload
	s_waitcnt vmcnt(0)
	v_and_b32_e32 v2, 0xffff, v2
	;;#ASMSTART
	v_cvt_f32_f16 v2, v2;
	;;#ASMEND
	buffer_load_dword v3, off, s[0:3], s32 offset:756 ; 4-byte Folded Reload
	v_fmac_f32_e32 v67, v0, v2
	s_waitcnt vmcnt(0)
	v_and_b32_e32 v3, 0xffff, v3
	;;#ASMSTART
	v_cvt_f32_f16 v3, v3;
	;;#ASMEND
	v_fmac_f32_e32 v51, v1, v3
	ds_read_b128 v[0:3], v5 offset:256
	s_waitcnt lgkmcnt(0)
	v_lshrrev_b32_e32 v4, 16, v0
	v_and_b32_e32 v0, 0xffff, v0
	;;#ASMSTART
	v_cvt_f32_f16 v0, v0;
	;;#ASMEND
	;;#ASMSTART
	v_cvt_f32_f16 v4, v4;
	;;#ASMEND
	buffer_load_dword v6, off, s[0:3], s32 offset:752 ; 4-byte Folded Reload
	s_waitcnt vmcnt(0)
	v_and_b32_e32 v6, 0xffff, v6
	;;#ASMSTART
	v_cvt_f32_f16 v6, v6;
	;;#ASMEND
	buffer_load_dword v8, off, s[0:3], s32 offset:748 ; 4-byte Folded Reload
	v_fmac_f32_e32 v15, v0, v6
	v_and_b32_e32 v0, 0xffff, v1
	s_waitcnt vmcnt(0)
	v_and_b32_e32 v8, 0xffff, v8
	;;#ASMSTART
	v_cvt_f32_f16 v8, v8;
	;;#ASMEND
	v_fmac_f32_e32 v7, v4, v8
	v_lshrrev_b32_e32 v4, 16, v1
	;;#ASMSTART
	v_cvt_f32_f16 v0, v0;
	;;#ASMEND
	;;#ASMSTART
	v_cvt_f32_f16 v1, v4;
	;;#ASMEND
	buffer_load_dword v4, off, s[0:3], s32 offset:744 ; 4-byte Folded Reload
	s_waitcnt vmcnt(0)
	v_and_b32_e32 v4, 0xffff, v4
	;;#ASMSTART
	v_cvt_f32_f16 v4, v4;
	;;#ASMEND
	buffer_load_dword v6, off, s[0:3], s32 offset:740 ; 4-byte Folded Reload
	v_fmac_f32_e32 v10, v0, v4
	v_and_b32_e32 v0, 0xffff, v2
	s_waitcnt vmcnt(0)
	v_and_b32_e32 v6, 0xffff, v6
	;;#ASMSTART
	v_cvt_f32_f16 v6, v6;
	;;#ASMEND
	v_fmac_f32_e32 v9, v1, v6
	v_lshrrev_b32_e32 v1, 16, v2
	;; [unrolled: 22-line block ×3, first 2 shown]
	;;#ASMSTART
	v_cvt_f32_f16 v0, v0;
	;;#ASMEND
	;;#ASMSTART
	v_cvt_f32_f16 v1, v1;
	;;#ASMEND
	buffer_load_dword v2, off, s[0:3], s32 offset:728 ; 4-byte Folded Reload
	s_waitcnt vmcnt(0)
	v_and_b32_e32 v2, 0xffff, v2
	;;#ASMSTART
	v_cvt_f32_f16 v2, v2;
	;;#ASMEND
	buffer_load_dword v3, off, s[0:3], s32 offset:724 ; 4-byte Folded Reload
	v_fmac_f32_e32 v67, v0, v2
	s_waitcnt vmcnt(0)
	v_and_b32_e32 v3, 0xffff, v3
	;;#ASMSTART
	v_cvt_f32_f16 v3, v3;
	;;#ASMEND
	v_fmac_f32_e32 v51, v1, v3
	ds_read_b128 v[0:3], v5 offset:272
	s_waitcnt lgkmcnt(0)
	v_lshrrev_b32_e32 v4, 16, v0
	v_and_b32_e32 v0, 0xffff, v0
	;;#ASMSTART
	v_cvt_f32_f16 v0, v0;
	;;#ASMEND
	;;#ASMSTART
	v_cvt_f32_f16 v4, v4;
	;;#ASMEND
	buffer_load_dword v6, off, s[0:3], s32 offset:720 ; 4-byte Folded Reload
	s_waitcnt vmcnt(0)
	v_and_b32_e32 v6, 0xffff, v6
	;;#ASMSTART
	v_cvt_f32_f16 v6, v6;
	;;#ASMEND
	buffer_load_dword v8, off, s[0:3], s32 offset:716 ; 4-byte Folded Reload
	v_fmac_f32_e32 v15, v0, v6
	v_and_b32_e32 v0, 0xffff, v1
	s_waitcnt vmcnt(0)
	v_and_b32_e32 v8, 0xffff, v8
	;;#ASMSTART
	v_cvt_f32_f16 v8, v8;
	;;#ASMEND
	v_fmac_f32_e32 v7, v4, v8
	v_lshrrev_b32_e32 v4, 16, v1
	;;#ASMSTART
	v_cvt_f32_f16 v0, v0;
	;;#ASMEND
	;;#ASMSTART
	v_cvt_f32_f16 v1, v4;
	;;#ASMEND
	buffer_load_dword v4, off, s[0:3], s32 offset:712 ; 4-byte Folded Reload
	s_waitcnt vmcnt(0)
	v_and_b32_e32 v4, 0xffff, v4
	;;#ASMSTART
	v_cvt_f32_f16 v4, v4;
	;;#ASMEND
	buffer_load_dword v6, off, s[0:3], s32 offset:708 ; 4-byte Folded Reload
	v_fmac_f32_e32 v10, v0, v4
	v_and_b32_e32 v0, 0xffff, v2
	s_waitcnt vmcnt(0)
	v_and_b32_e32 v6, 0xffff, v6
	;;#ASMSTART
	v_cvt_f32_f16 v6, v6;
	;;#ASMEND
	v_fmac_f32_e32 v9, v1, v6
	v_lshrrev_b32_e32 v1, 16, v2
	;; [unrolled: 22-line block ×3, first 2 shown]
	;;#ASMSTART
	v_cvt_f32_f16 v0, v0;
	;;#ASMEND
	;;#ASMSTART
	v_cvt_f32_f16 v1, v1;
	;;#ASMEND
	buffer_load_dword v2, off, s[0:3], s32 offset:696 ; 4-byte Folded Reload
	s_waitcnt vmcnt(0)
	v_and_b32_e32 v2, 0xffff, v2
	;;#ASMSTART
	v_cvt_f32_f16 v2, v2;
	;;#ASMEND
	buffer_load_dword v3, off, s[0:3], s32 offset:692 ; 4-byte Folded Reload
	v_fmac_f32_e32 v67, v0, v2
	s_waitcnt vmcnt(0)
	v_and_b32_e32 v3, 0xffff, v3
	;;#ASMSTART
	v_cvt_f32_f16 v3, v3;
	;;#ASMEND
	v_fmac_f32_e32 v51, v1, v3
	ds_read_b128 v[0:3], v5 offset:288
	s_waitcnt lgkmcnt(0)
	v_lshrrev_b32_e32 v4, 16, v0
	v_and_b32_e32 v0, 0xffff, v0
	;;#ASMSTART
	v_cvt_f32_f16 v0, v0;
	;;#ASMEND
	;;#ASMSTART
	v_cvt_f32_f16 v4, v4;
	;;#ASMEND
	buffer_load_dword v6, off, s[0:3], s32 offset:688 ; 4-byte Folded Reload
	s_waitcnt vmcnt(0)
	v_and_b32_e32 v6, 0xffff, v6
	;;#ASMSTART
	v_cvt_f32_f16 v6, v6;
	;;#ASMEND
	buffer_load_dword v8, off, s[0:3], s32 offset:684 ; 4-byte Folded Reload
	v_fmac_f32_e32 v15, v0, v6
	v_and_b32_e32 v0, 0xffff, v1
	s_waitcnt vmcnt(0)
	v_and_b32_e32 v8, 0xffff, v8
	;;#ASMSTART
	v_cvt_f32_f16 v8, v8;
	;;#ASMEND
	v_fmac_f32_e32 v7, v4, v8
	v_lshrrev_b32_e32 v4, 16, v1
	;;#ASMSTART
	v_cvt_f32_f16 v0, v0;
	;;#ASMEND
	;;#ASMSTART
	v_cvt_f32_f16 v1, v4;
	;;#ASMEND
	buffer_load_dword v4, off, s[0:3], s32 offset:680 ; 4-byte Folded Reload
	s_waitcnt vmcnt(0)
	v_and_b32_e32 v4, 0xffff, v4
	;;#ASMSTART
	v_cvt_f32_f16 v4, v4;
	;;#ASMEND
	buffer_load_dword v6, off, s[0:3], s32 offset:676 ; 4-byte Folded Reload
	v_fmac_f32_e32 v10, v0, v4
	v_and_b32_e32 v0, 0xffff, v2
	s_waitcnt vmcnt(0)
	v_and_b32_e32 v6, 0xffff, v6
	;;#ASMSTART
	v_cvt_f32_f16 v6, v6;
	;;#ASMEND
	v_fmac_f32_e32 v9, v1, v6
	v_lshrrev_b32_e32 v1, 16, v2
	;; [unrolled: 22-line block ×3, first 2 shown]
	;;#ASMSTART
	v_cvt_f32_f16 v0, v0;
	;;#ASMEND
	;;#ASMSTART
	v_cvt_f32_f16 v1, v1;
	;;#ASMEND
	buffer_load_dword v2, off, s[0:3], s32 offset:664 ; 4-byte Folded Reload
	s_waitcnt vmcnt(0)
	v_and_b32_e32 v2, 0xffff, v2
	;;#ASMSTART
	v_cvt_f32_f16 v2, v2;
	;;#ASMEND
	buffer_load_dword v3, off, s[0:3], s32 offset:660 ; 4-byte Folded Reload
	v_fmac_f32_e32 v67, v0, v2
	s_waitcnt vmcnt(0)
	v_and_b32_e32 v3, 0xffff, v3
	;;#ASMSTART
	v_cvt_f32_f16 v3, v3;
	;;#ASMEND
	v_fmac_f32_e32 v51, v1, v3
	ds_read_b128 v[0:3], v5 offset:304
	s_waitcnt lgkmcnt(0)
	v_lshrrev_b32_e32 v4, 16, v0
	v_and_b32_e32 v0, 0xffff, v0
	;;#ASMSTART
	v_cvt_f32_f16 v0, v0;
	;;#ASMEND
	;;#ASMSTART
	v_cvt_f32_f16 v4, v4;
	;;#ASMEND
	buffer_load_dword v6, off, s[0:3], s32 offset:656 ; 4-byte Folded Reload
	s_waitcnt vmcnt(0)
	v_and_b32_e32 v6, 0xffff, v6
	;;#ASMSTART
	v_cvt_f32_f16 v6, v6;
	;;#ASMEND
	buffer_load_dword v8, off, s[0:3], s32 offset:652 ; 4-byte Folded Reload
	v_fmac_f32_e32 v15, v0, v6
	v_and_b32_e32 v0, 0xffff, v1
	s_waitcnt vmcnt(0)
	v_and_b32_e32 v8, 0xffff, v8
	;;#ASMSTART
	v_cvt_f32_f16 v8, v8;
	;;#ASMEND
	v_fmac_f32_e32 v7, v4, v8
	v_lshrrev_b32_e32 v4, 16, v1
	;;#ASMSTART
	v_cvt_f32_f16 v0, v0;
	;;#ASMEND
	;;#ASMSTART
	v_cvt_f32_f16 v1, v4;
	;;#ASMEND
	buffer_load_dword v4, off, s[0:3], s32 offset:648 ; 4-byte Folded Reload
	s_waitcnt vmcnt(0)
	v_and_b32_e32 v4, 0xffff, v4
	;;#ASMSTART
	v_cvt_f32_f16 v4, v4;
	;;#ASMEND
	buffer_load_dword v6, off, s[0:3], s32 offset:644 ; 4-byte Folded Reload
	v_fmac_f32_e32 v10, v0, v4
	v_and_b32_e32 v0, 0xffff, v2
	s_waitcnt vmcnt(0)
	v_and_b32_e32 v6, 0xffff, v6
	;;#ASMSTART
	v_cvt_f32_f16 v6, v6;
	;;#ASMEND
	v_fmac_f32_e32 v9, v1, v6
	v_lshrrev_b32_e32 v1, 16, v2
	;; [unrolled: 22-line block ×3, first 2 shown]
	;;#ASMSTART
	v_cvt_f32_f16 v0, v0;
	;;#ASMEND
	;;#ASMSTART
	v_cvt_f32_f16 v1, v1;
	;;#ASMEND
	buffer_load_dword v2, off, s[0:3], s32 offset:632 ; 4-byte Folded Reload
	s_waitcnt vmcnt(0)
	v_and_b32_e32 v2, 0xffff, v2
	;;#ASMSTART
	v_cvt_f32_f16 v2, v2;
	;;#ASMEND
	buffer_load_dword v3, off, s[0:3], s32 offset:628 ; 4-byte Folded Reload
	v_fmac_f32_e32 v67, v0, v2
	s_waitcnt vmcnt(0)
	v_and_b32_e32 v3, 0xffff, v3
	;;#ASMSTART
	v_cvt_f32_f16 v3, v3;
	;;#ASMEND
	v_fmac_f32_e32 v51, v1, v3
	ds_read_b128 v[0:3], v5 offset:320
	s_waitcnt lgkmcnt(0)
	v_lshrrev_b32_e32 v4, 16, v0
	v_and_b32_e32 v0, 0xffff, v0
	;;#ASMSTART
	v_cvt_f32_f16 v0, v0;
	;;#ASMEND
	;;#ASMSTART
	v_cvt_f32_f16 v4, v4;
	;;#ASMEND
	buffer_load_dword v6, off, s[0:3], s32 offset:624 ; 4-byte Folded Reload
	s_waitcnt vmcnt(0)
	v_and_b32_e32 v6, 0xffff, v6
	;;#ASMSTART
	v_cvt_f32_f16 v6, v6;
	;;#ASMEND
	buffer_load_dword v8, off, s[0:3], s32 offset:620 ; 4-byte Folded Reload
	v_fmac_f32_e32 v15, v0, v6
	v_and_b32_e32 v0, 0xffff, v1
	s_waitcnt vmcnt(0)
	v_and_b32_e32 v8, 0xffff, v8
	;;#ASMSTART
	v_cvt_f32_f16 v8, v8;
	;;#ASMEND
	v_fmac_f32_e32 v7, v4, v8
	v_lshrrev_b32_e32 v4, 16, v1
	;;#ASMSTART
	v_cvt_f32_f16 v0, v0;
	;;#ASMEND
	;;#ASMSTART
	v_cvt_f32_f16 v1, v4;
	;;#ASMEND
	buffer_load_dword v4, off, s[0:3], s32 offset:616 ; 4-byte Folded Reload
	s_waitcnt vmcnt(0)
	v_and_b32_e32 v4, 0xffff, v4
	;;#ASMSTART
	v_cvt_f32_f16 v4, v4;
	;;#ASMEND
	buffer_load_dword v6, off, s[0:3], s32 offset:612 ; 4-byte Folded Reload
	v_fmac_f32_e32 v10, v0, v4
	v_and_b32_e32 v0, 0xffff, v2
	s_waitcnt vmcnt(0)
	v_and_b32_e32 v6, 0xffff, v6
	;;#ASMSTART
	v_cvt_f32_f16 v6, v6;
	;;#ASMEND
	v_fmac_f32_e32 v9, v1, v6
	v_lshrrev_b32_e32 v1, 16, v2
	;; [unrolled: 22-line block ×3, first 2 shown]
	;;#ASMSTART
	v_cvt_f32_f16 v0, v0;
	;;#ASMEND
	;;#ASMSTART
	v_cvt_f32_f16 v1, v1;
	;;#ASMEND
	buffer_load_dword v2, off, s[0:3], s32 offset:600 ; 4-byte Folded Reload
	s_waitcnt vmcnt(0)
	v_and_b32_e32 v2, 0xffff, v2
	;;#ASMSTART
	v_cvt_f32_f16 v2, v2;
	;;#ASMEND
	buffer_load_dword v3, off, s[0:3], s32 offset:596 ; 4-byte Folded Reload
	v_fmac_f32_e32 v67, v0, v2
	s_waitcnt vmcnt(0)
	v_and_b32_e32 v3, 0xffff, v3
	;;#ASMSTART
	v_cvt_f32_f16 v3, v3;
	;;#ASMEND
	v_fmac_f32_e32 v51, v1, v3
	ds_read_b128 v[0:3], v5 offset:336
	s_waitcnt lgkmcnt(0)
	v_lshrrev_b32_e32 v4, 16, v0
	v_and_b32_e32 v0, 0xffff, v0
	;;#ASMSTART
	v_cvt_f32_f16 v0, v0;
	;;#ASMEND
	;;#ASMSTART
	v_cvt_f32_f16 v4, v4;
	;;#ASMEND
	buffer_load_dword v6, off, s[0:3], s32 offset:592 ; 4-byte Folded Reload
	s_waitcnt vmcnt(0)
	v_and_b32_e32 v6, 0xffff, v6
	;;#ASMSTART
	v_cvt_f32_f16 v6, v6;
	;;#ASMEND
	buffer_load_dword v8, off, s[0:3], s32 offset:588 ; 4-byte Folded Reload
	v_fmac_f32_e32 v15, v0, v6
	v_and_b32_e32 v0, 0xffff, v1
	s_waitcnt vmcnt(0)
	v_and_b32_e32 v8, 0xffff, v8
	;;#ASMSTART
	v_cvt_f32_f16 v8, v8;
	;;#ASMEND
	v_fmac_f32_e32 v7, v4, v8
	v_lshrrev_b32_e32 v4, 16, v1
	;;#ASMSTART
	v_cvt_f32_f16 v0, v0;
	;;#ASMEND
	;;#ASMSTART
	v_cvt_f32_f16 v1, v4;
	;;#ASMEND
	buffer_load_dword v4, off, s[0:3], s32 offset:584 ; 4-byte Folded Reload
	s_waitcnt vmcnt(0)
	v_and_b32_e32 v4, 0xffff, v4
	;;#ASMSTART
	v_cvt_f32_f16 v4, v4;
	;;#ASMEND
	buffer_load_dword v6, off, s[0:3], s32 offset:580 ; 4-byte Folded Reload
	v_fmac_f32_e32 v10, v0, v4
	v_and_b32_e32 v0, 0xffff, v2
	s_waitcnt vmcnt(0)
	v_and_b32_e32 v6, 0xffff, v6
	;;#ASMSTART
	v_cvt_f32_f16 v6, v6;
	;;#ASMEND
	v_fmac_f32_e32 v9, v1, v6
	v_lshrrev_b32_e32 v1, 16, v2
	;; [unrolled: 22-line block ×3, first 2 shown]
	;;#ASMSTART
	v_cvt_f32_f16 v0, v0;
	;;#ASMEND
	;;#ASMSTART
	v_cvt_f32_f16 v1, v1;
	;;#ASMEND
	buffer_load_dword v2, off, s[0:3], s32 offset:568 ; 4-byte Folded Reload
	s_waitcnt vmcnt(0)
	v_and_b32_e32 v2, 0xffff, v2
	;;#ASMSTART
	v_cvt_f32_f16 v2, v2;
	;;#ASMEND
	buffer_load_dword v3, off, s[0:3], s32 offset:564 ; 4-byte Folded Reload
	v_fmac_f32_e32 v67, v0, v2
	s_waitcnt vmcnt(0)
	v_and_b32_e32 v3, 0xffff, v3
	;;#ASMSTART
	v_cvt_f32_f16 v3, v3;
	;;#ASMEND
	v_fmac_f32_e32 v51, v1, v3
	ds_read_b128 v[0:3], v5 offset:352
	s_waitcnt lgkmcnt(0)
	v_lshrrev_b32_e32 v4, 16, v0
	v_and_b32_e32 v0, 0xffff, v0
	;;#ASMSTART
	v_cvt_f32_f16 v0, v0;
	;;#ASMEND
	;;#ASMSTART
	v_cvt_f32_f16 v4, v4;
	;;#ASMEND
	buffer_load_dword v6, off, s[0:3], s32 offset:560 ; 4-byte Folded Reload
	s_waitcnt vmcnt(0)
	v_and_b32_e32 v6, 0xffff, v6
	;;#ASMSTART
	v_cvt_f32_f16 v6, v6;
	;;#ASMEND
	buffer_load_dword v8, off, s[0:3], s32 offset:556 ; 4-byte Folded Reload
	v_fmac_f32_e32 v15, v0, v6
	v_and_b32_e32 v0, 0xffff, v1
	s_waitcnt vmcnt(0)
	v_and_b32_e32 v8, 0xffff, v8
	;;#ASMSTART
	v_cvt_f32_f16 v8, v8;
	;;#ASMEND
	v_fmac_f32_e32 v7, v4, v8
	v_lshrrev_b32_e32 v4, 16, v1
	;;#ASMSTART
	v_cvt_f32_f16 v0, v0;
	;;#ASMEND
	;;#ASMSTART
	v_cvt_f32_f16 v1, v4;
	;;#ASMEND
	buffer_load_dword v4, off, s[0:3], s32 offset:552 ; 4-byte Folded Reload
	s_waitcnt vmcnt(0)
	v_and_b32_e32 v4, 0xffff, v4
	;;#ASMSTART
	v_cvt_f32_f16 v4, v4;
	;;#ASMEND
	buffer_load_dword v6, off, s[0:3], s32 offset:548 ; 4-byte Folded Reload
	v_fmac_f32_e32 v10, v0, v4
	v_and_b32_e32 v0, 0xffff, v2
	s_waitcnt vmcnt(0)
	v_and_b32_e32 v6, 0xffff, v6
	;;#ASMSTART
	v_cvt_f32_f16 v6, v6;
	;;#ASMEND
	v_fmac_f32_e32 v9, v1, v6
	v_lshrrev_b32_e32 v1, 16, v2
	;; [unrolled: 22-line block ×3, first 2 shown]
	;;#ASMSTART
	v_cvt_f32_f16 v0, v0;
	;;#ASMEND
	;;#ASMSTART
	v_cvt_f32_f16 v1, v1;
	;;#ASMEND
	buffer_load_dword v2, off, s[0:3], s32 offset:536 ; 4-byte Folded Reload
	s_waitcnt vmcnt(0)
	v_and_b32_e32 v2, 0xffff, v2
	;;#ASMSTART
	v_cvt_f32_f16 v2, v2;
	;;#ASMEND
	buffer_load_dword v3, off, s[0:3], s32 offset:532 ; 4-byte Folded Reload
	v_fmac_f32_e32 v67, v0, v2
	s_waitcnt vmcnt(0)
	v_and_b32_e32 v3, 0xffff, v3
	;;#ASMSTART
	v_cvt_f32_f16 v3, v3;
	;;#ASMEND
	v_fmac_f32_e32 v51, v1, v3
	ds_read_b128 v[0:3], v5 offset:368
	s_waitcnt lgkmcnt(0)
	v_lshrrev_b32_e32 v4, 16, v0
	v_and_b32_e32 v0, 0xffff, v0
	;;#ASMSTART
	v_cvt_f32_f16 v0, v0;
	;;#ASMEND
	;;#ASMSTART
	v_cvt_f32_f16 v4, v4;
	;;#ASMEND
	buffer_load_dword v6, off, s[0:3], s32 offset:208 ; 4-byte Folded Reload
	s_waitcnt vmcnt(0)
	v_and_b32_e32 v6, 0xffff, v6
	;;#ASMSTART
	v_cvt_f32_f16 v6, v6;
	;;#ASMEND
	buffer_load_dword v8, off, s[0:3], s32 offset:204 ; 4-byte Folded Reload
	v_fmac_f32_e32 v15, v0, v6
	v_and_b32_e32 v0, 0xffff, v1
	s_waitcnt vmcnt(0)
	v_and_b32_e32 v8, 0xffff, v8
	;;#ASMSTART
	v_cvt_f32_f16 v8, v8;
	;;#ASMEND
	v_fmac_f32_e32 v7, v4, v8
	v_lshrrev_b32_e32 v4, 16, v1
	;;#ASMSTART
	v_cvt_f32_f16 v0, v0;
	;;#ASMEND
	;;#ASMSTART
	v_cvt_f32_f16 v1, v4;
	;;#ASMEND
	buffer_load_dword v4, off, s[0:3], s32 offset:200 ; 4-byte Folded Reload
	s_waitcnt vmcnt(0)
	v_and_b32_e32 v4, 0xffff, v4
	;;#ASMSTART
	v_cvt_f32_f16 v4, v4;
	;;#ASMEND
	buffer_load_dword v6, off, s[0:3], s32 offset:196 ; 4-byte Folded Reload
	v_fmac_f32_e32 v10, v0, v4
	v_and_b32_e32 v0, 0xffff, v2
	v_and_b32_e32 v4, 0xffff, v91
	s_waitcnt vmcnt(0)
	v_and_b32_e32 v6, 0xffff, v6
	;;#ASMSTART
	v_cvt_f32_f16 v6, v6;
	;;#ASMEND
	v_fmac_f32_e32 v9, v1, v6
	v_lshrrev_b32_e32 v1, 16, v2
	;;#ASMSTART
	v_cvt_f32_f16 v0, v0;
	;;#ASMEND
	;;#ASMSTART
	v_cvt_f32_f16 v1, v1;
	;;#ASMEND
	buffer_load_dword v2, off, s[0:3], s32 offset:192 ; 4-byte Folded Reload
	s_waitcnt vmcnt(0)
	v_and_b32_e32 v2, 0xffff, v2
	;;#ASMSTART
	v_cvt_f32_f16 v2, v2;
	;;#ASMEND
	;;#ASMSTART
	v_cvt_f32_f16 v4, v4;
	;;#ASMEND
	v_fmac_f32_e32 v13, v0, v2
	v_fmac_f32_e32 v12, v1, v4
	v_lshrrev_b32_e32 v1, 16, v3
	v_and_b32_e32 v0, 0xffff, v3
	;;#ASMSTART
	v_cvt_f32_f16 v0, v0;
	;;#ASMEND
	;;#ASMSTART
	v_cvt_f32_f16 v1, v1;
	;;#ASMEND
	v_and_b32_e32 v2, 0xffff, v90
	v_and_b32_e32 v3, 0xffff, v69
	;;#ASMSTART
	v_cvt_f32_f16 v2, v2;
	;;#ASMEND
	;;#ASMSTART
	v_cvt_f32_f16 v3, v3;
	;;#ASMEND
	v_fmac_f32_e32 v51, v1, v3
	s_clause 0x1
	buffer_load_dword v1, off, s[0:3], s32 offset:856
	buffer_load_dword v6, off, s[0:3], s32 offset:520
	v_fmac_f32_e32 v67, v0, v2
	v_add_f32_e32 v0, v15, v7
	v_add_f32_e32 v0, v0, v10
	;; [unrolled: 1-line block ×7, first 2 shown]
	s_waitcnt vmcnt(1)
	v_fmac_f32_e32 v11, v1, v0
	v_cndmask_b32_e64 v0, 0, v11, s5
	ds_write_b32 v33, v0
	s_waitcnt vmcnt(0)
	v_max_f32_e32 v0, v6, v6
	s_clause 0x1
	buffer_load_dword v3, off, s[0:3], s32 offset:524
	buffer_load_dword v4, off, s[0:3], s32 offset:528
	v_add_nc_u32_e32 v33, 0x200, v33
	v_max_f32_e32 v0, v0, v11
	v_cndmask_b32_e64 v6, v6, v0, s5
	buffer_load_dword v0, off, s[0:3], s32 offset:844 ; 4-byte Folded Reload
	s_waitcnt vmcnt(2)
	v_add_co_u32 v3, s5, v3, 16
	s_waitcnt vmcnt(1)
	v_add_co_ci_u32_e64 v4, null, 0, v4, s5
	s_waitcnt vmcnt(0)
	v_cmp_ge_i32_e64 s5, v125, v0
	s_or_b32 s15, s5, s15
	s_andn2_b32 exec_lo, exec_lo, s15
	s_cbranch_execz .LBB300_1543
.LBB300_10:                             ; =>This Inner Loop Header: Depth=1
	buffer_store_dword v125, off, s[0:3], s32 offset:480 ; 4-byte Folded Spill
	buffer_store_dword v33, off, s[0:3], s32 offset:476 ; 4-byte Folded Spill
	;; [unrolled: 1-line block ×6, first 2 shown]
	v_mov_b32_e32 v11, 0
	flat_load_dword v0, v[3:4]
	s_clause 0x2
	buffer_load_dword v1, off, s[0:3], s32 offset:516
	buffer_load_dword v2, off, s[0:3], s32 offset:860
	;; [unrolled: 1-line block ×3, first 2 shown]
	s_waitcnt vmcnt(0) lgkmcnt(0)
	v_mad_i64_i32 v[16:17], null, v0, v1, v[2:3]
	flat_load_dwordx2 v[24:25], v[16:17]
	s_clause 0x1
	buffer_load_dword v0, off, s[0:3], s32 offset:848
	buffer_load_dword v1, off, s[0:3], s32 offset:852
	s_waitcnt vmcnt(2) lgkmcnt(0)
	v_cmp_ne_u16_sdwa s5, v24, v5 src0_sel:BYTE_0 src1_sel:DWORD
	s_waitcnt vmcnt(0)
	flat_load_dword v51, v[0:1]
	s_and_saveexec_b32 s17, s5
	s_cbranch_execz .LBB300_18
; %bb.11:                               ;   in Loop: Header=BB300_10 Depth=1
	v_cmp_ne_u16_sdwa s5, v24, v111 src0_sel:BYTE_0 src1_sel:DWORD
	v_mov_b32_e32 v11, 0x8000
	s_and_saveexec_b32 s18, s5
	s_cbranch_execz .LBB300_17
; %bb.12:                               ;   in Loop: Header=BB300_10 Depth=1
	v_and_b32_e32 v2, 0x7f, v24
	v_mov_b32_e32 v11, 0x7c01
	s_mov_b32 s19, exec_lo
	v_cmpx_ne_u32_e32 0x7f, v2
	s_cbranch_execz .LBB300_16
; %bb.13:                               ;   in Loop: Header=BB300_10 Depth=1
	v_and_b32_e32 v0, 7, v24
	v_lshrrev_b32_e32 v1, 3, v2
	s_mov_b32 s20, exec_lo
	v_cmpx_gt_u32_e32 8, v2
; %bb.14:                               ;   in Loop: Header=BB300_10 Depth=1
	v_ffbh_u32_e32 v0, v0
	v_min_u32_e32 v2, 32, v0
	v_subrev_nc_u32_e32 v0, 28, v2
	v_lshlrev_b64 v[0:1], v0, v[24:25]
	v_sub_nc_u32_e32 v1, 29, v2
	v_and_b32_e32 v0, 7, v0
; %bb.15:                               ;   in Loop: Header=BB300_10 Depth=1
	s_or_b32 exec_lo, exec_lo, s20
	v_lshlrev_b32_e32 v2, 8, v24
	v_lshl_add_u32 v1, v1, 10, 0x2000
	v_lshlrev_b32_e32 v0, 7, v0
	v_and_b32_e32 v2, 0x8000, v2
	v_and_b32_e32 v1, 0xfc00, v1
	v_or3_b32 v11, v2, v1, v0
.LBB300_16:                             ;   in Loop: Header=BB300_10 Depth=1
	s_or_b32 exec_lo, exec_lo, s19
.LBB300_17:                             ;   in Loop: Header=BB300_10 Depth=1
	s_or_b32 exec_lo, exec_lo, s18
.LBB300_18:                             ;   in Loop: Header=BB300_10 Depth=1
	s_or_b32 exec_lo, exec_lo, s17
	v_lshrrev_b16 v4, 8, v24
	v_mov_b32_e32 v69, 0
	v_mov_b32_e32 v33, 0
	s_mov_b32 s17, exec_lo
	v_cmpx_ne_u16_e32 0, v4
	s_cbranch_execz .LBB300_26
; %bb.19:                               ;   in Loop: Header=BB300_10 Depth=1
	v_bfrev_b32_e32 v33, 1
	s_mov_b32 s18, exec_lo
	v_cmpx_ne_u16_e32 0x80, v4
	s_cbranch_execz .LBB300_25
; %bb.20:                               ;   in Loop: Header=BB300_10 Depth=1
	v_mov_b32_e32 v0, 0x7f
	v_mov_b32_e32 v33, 0x7c010000
	s_mov_b32 s19, exec_lo
	v_and_b32_sdwa v2, v4, v0 dst_sel:DWORD dst_unused:UNUSED_PAD src0_sel:WORD_0 src1_sel:DWORD
	v_cmpx_ne_u32_e32 0x7f, v2
	s_cbranch_execz .LBB300_24
; %bb.21:                               ;   in Loop: Header=BB300_10 Depth=1
	v_mov_b32_e32 v0, 7
	v_lshrrev_b32_e32 v1, 3, v2
	s_mov_b32 s20, exec_lo
	v_and_b32_sdwa v0, v4, v0 dst_sel:DWORD dst_unused:UNUSED_PAD src0_sel:WORD_0 src1_sel:DWORD
	v_cmpx_gt_u32_e32 8, v2
; %bb.22:                               ;   in Loop: Header=BB300_10 Depth=1
	v_ffbh_u32_e32 v0, v0
	v_min_u32_e32 v2, 32, v0
	v_subrev_nc_u32_e32 v0, 28, v2
	v_lshlrev_b64 v[0:1], v0, v[4:5]
	v_sub_nc_u32_e32 v1, 29, v2
	v_and_b32_e32 v0, 7, v0
; %bb.23:                               ;   in Loop: Header=BB300_10 Depth=1
	s_or_b32 exec_lo, exec_lo, s20
	v_mov_b32_e32 v2, 8
	v_lshl_add_u32 v1, v1, 10, 0x2000
	v_lshlrev_b32_e32 v0, 23, v0
	v_lshlrev_b32_sdwa v2, v2, v4 dst_sel:DWORD dst_unused:UNUSED_PAD src0_sel:DWORD src1_sel:WORD_0
	v_and_or_b32 v1, 0x8000, v2, v1
	v_lshl_or_b32 v33, v1, 16, v0
.LBB300_24:                             ;   in Loop: Header=BB300_10 Depth=1
	s_or_b32 exec_lo, exec_lo, s19
.LBB300_25:                             ;   in Loop: Header=BB300_10 Depth=1
	s_or_b32 exec_lo, exec_lo, s18
.LBB300_26:                             ;   in Loop: Header=BB300_10 Depth=1
	s_or_b32 exec_lo, exec_lo, s17
	v_lshrrev_b32_e32 v4, 16, v24
	v_cmp_ne_u16_sdwa s5, v4, v5 src0_sel:BYTE_0 src1_sel:DWORD
	s_and_saveexec_b32 s17, s5
	s_cbranch_execz .LBB300_34
; %bb.27:                               ;   in Loop: Header=BB300_10 Depth=1
	v_cmp_ne_u16_sdwa s5, v4, v111 src0_sel:BYTE_0 src1_sel:DWORD
	v_mov_b32_e32 v69, 0x8000
	s_and_saveexec_b32 s18, s5
	s_cbranch_execz .LBB300_33
; %bb.28:                               ;   in Loop: Header=BB300_10 Depth=1
	v_bfe_u32 v2, v24, 16, 7
	v_mov_b32_e32 v69, 0x7c01
	s_mov_b32 s19, exec_lo
	v_cmpx_ne_u32_e32 0x7f, v2
	s_cbranch_execz .LBB300_32
; %bb.29:                               ;   in Loop: Header=BB300_10 Depth=1
	v_and_b32_e32 v0, 7, v4
	v_lshrrev_b32_e32 v1, 3, v2
	s_mov_b32 s20, exec_lo
	v_cmpx_gt_u32_e32 8, v2
; %bb.30:                               ;   in Loop: Header=BB300_10 Depth=1
	v_ffbh_u32_e32 v0, v0
	v_min_u32_e32 v2, 32, v0
	v_subrev_nc_u32_e32 v0, 28, v2
	v_lshlrev_b64 v[0:1], v0, v[4:5]
	v_sub_nc_u32_e32 v1, 29, v2
	v_and_b32_e32 v0, 7, v0
; %bb.31:                               ;   in Loop: Header=BB300_10 Depth=1
	s_or_b32 exec_lo, exec_lo, s20
	v_lshlrev_b32_e32 v2, 8, v4
	v_lshl_add_u32 v1, v1, 10, 0x2000
	v_lshlrev_b32_e32 v0, 7, v0
	v_and_b32_e32 v2, 0x8000, v2
	v_and_b32_e32 v1, 0xfc00, v1
	v_or3_b32 v69, v2, v1, v0
.LBB300_32:                             ;   in Loop: Header=BB300_10 Depth=1
	s_or_b32 exec_lo, exec_lo, s19
.LBB300_33:                             ;   in Loop: Header=BB300_10 Depth=1
	s_or_b32 exec_lo, exec_lo, s18
.LBB300_34:                             ;   in Loop: Header=BB300_10 Depth=1
	s_or_b32 exec_lo, exec_lo, s17
	v_mov_b32_e32 v81, 0
	v_mov_b32_e32 v75, 0
	s_mov_b32 s17, exec_lo
	v_cmpx_lt_u32_e32 0xffffff, v24
	s_cbranch_execz .LBB300_42
; %bb.35:                               ;   in Loop: Header=BB300_10 Depth=1
	v_lshrrev_b32_e32 v4, 24, v24
	v_bfrev_b32_e32 v75, 1
	s_mov_b32 s18, exec_lo
	v_cmpx_ne_u32_e32 0x80, v4
	s_cbranch_execz .LBB300_41
; %bb.36:                               ;   in Loop: Header=BB300_10 Depth=1
	v_and_b32_e32 v2, 0x7f, v4
	v_mov_b32_e32 v75, 0x7c010000
	s_mov_b32 s19, exec_lo
	v_cmpx_ne_u32_e32 0x7f, v2
	s_cbranch_execz .LBB300_40
; %bb.37:                               ;   in Loop: Header=BB300_10 Depth=1
	v_and_b32_e32 v0, 7, v4
	v_lshrrev_b32_e32 v1, 3, v2
	s_mov_b32 s20, exec_lo
	v_cmpx_gt_u32_e32 8, v2
; %bb.38:                               ;   in Loop: Header=BB300_10 Depth=1
	v_ffbh_u32_e32 v0, v0
	v_min_u32_e32 v2, 32, v0
	v_subrev_nc_u32_e32 v0, 28, v2
	v_lshlrev_b64 v[0:1], v0, v[4:5]
	v_sub_nc_u32_e32 v1, 29, v2
	v_and_b32_e32 v0, 7, v0
; %bb.39:                               ;   in Loop: Header=BB300_10 Depth=1
	s_or_b32 exec_lo, exec_lo, s20
	v_lshlrev_b32_e32 v2, 8, v4
	v_lshl_add_u32 v1, v1, 10, 0x2000
	v_lshlrev_b32_e32 v0, 23, v0
	v_and_or_b32 v1, 0x8000, v2, v1
	v_lshl_or_b32 v75, v1, 16, v0
.LBB300_40:                             ;   in Loop: Header=BB300_10 Depth=1
	s_or_b32 exec_lo, exec_lo, s19
.LBB300_41:                             ;   in Loop: Header=BB300_10 Depth=1
	s_or_b32 exec_lo, exec_lo, s18
.LBB300_42:                             ;   in Loop: Header=BB300_10 Depth=1
	s_or_b32 exec_lo, exec_lo, s17
	v_mov_b32_e32 v4, v25
	v_cmp_ne_u16_sdwa s5, v25, v5 src0_sel:BYTE_0 src1_sel:DWORD
	s_and_saveexec_b32 s17, s5
	s_cbranch_execz .LBB300_50
; %bb.43:                               ;   in Loop: Header=BB300_10 Depth=1
	v_cmp_ne_u16_sdwa s5, v25, v111 src0_sel:BYTE_0 src1_sel:DWORD
	v_mov_b32_e32 v81, 0x8000
	s_and_saveexec_b32 s18, s5
	s_cbranch_execz .LBB300_49
; %bb.44:                               ;   in Loop: Header=BB300_10 Depth=1
	v_and_b32_e32 v2, 0x7f, v25
	v_mov_b32_e32 v81, 0x7c01
	s_mov_b32 s19, exec_lo
	v_cmpx_ne_u32_e32 0x7f, v2
	s_cbranch_execz .LBB300_48
; %bb.45:                               ;   in Loop: Header=BB300_10 Depth=1
	v_and_b32_e32 v0, 7, v25
	v_lshrrev_b32_e32 v1, 3, v2
	s_mov_b32 s20, exec_lo
	v_cmpx_gt_u32_e32 8, v2
; %bb.46:                               ;   in Loop: Header=BB300_10 Depth=1
	v_ffbh_u32_e32 v0, v0
	v_min_u32_e32 v2, 32, v0
	v_subrev_nc_u32_e32 v0, 28, v2
	v_lshlrev_b64 v[0:1], v0, v[4:5]
	v_sub_nc_u32_e32 v1, 29, v2
	v_and_b32_e32 v0, 7, v0
; %bb.47:                               ;   in Loop: Header=BB300_10 Depth=1
	s_or_b32 exec_lo, exec_lo, s20
	v_lshlrev_b32_e32 v2, 8, v25
	v_lshl_add_u32 v1, v1, 10, 0x2000
	v_lshlrev_b32_e32 v0, 7, v0
	v_and_b32_e32 v2, 0x8000, v2
	v_and_b32_e32 v1, 0xfc00, v1
	v_or3_b32 v81, v2, v1, v0
.LBB300_48:                             ;   in Loop: Header=BB300_10 Depth=1
	s_or_b32 exec_lo, exec_lo, s19
.LBB300_49:                             ;   in Loop: Header=BB300_10 Depth=1
	s_or_b32 exec_lo, exec_lo, s18
.LBB300_50:                             ;   in Loop: Header=BB300_10 Depth=1
	s_or_b32 exec_lo, exec_lo, s17
	v_lshrrev_b16 v4, 8, v4
	v_mov_b32_e32 v77, 0
	v_mov_b32_e32 v90, 0
	s_mov_b32 s17, exec_lo
	v_cmpx_ne_u16_e32 0, v4
	s_cbranch_execz .LBB300_58
; %bb.51:                               ;   in Loop: Header=BB300_10 Depth=1
	v_bfrev_b32_e32 v90, 1
	s_mov_b32 s18, exec_lo
	v_cmpx_ne_u16_e32 0x80, v4
	s_cbranch_execz .LBB300_57
; %bb.52:                               ;   in Loop: Header=BB300_10 Depth=1
	v_mov_b32_e32 v0, 0x7f
	v_mov_b32_e32 v90, 0x7c010000
	s_mov_b32 s19, exec_lo
	v_and_b32_sdwa v2, v4, v0 dst_sel:DWORD dst_unused:UNUSED_PAD src0_sel:WORD_0 src1_sel:DWORD
	v_cmpx_ne_u32_e32 0x7f, v2
	s_cbranch_execz .LBB300_56
; %bb.53:                               ;   in Loop: Header=BB300_10 Depth=1
	v_mov_b32_e32 v0, 7
	v_lshrrev_b32_e32 v1, 3, v2
	s_mov_b32 s20, exec_lo
	v_and_b32_sdwa v0, v4, v0 dst_sel:DWORD dst_unused:UNUSED_PAD src0_sel:WORD_0 src1_sel:DWORD
	v_cmpx_gt_u32_e32 8, v2
; %bb.54:                               ;   in Loop: Header=BB300_10 Depth=1
	v_ffbh_u32_e32 v0, v0
	v_min_u32_e32 v2, 32, v0
	v_subrev_nc_u32_e32 v0, 28, v2
	v_lshlrev_b64 v[0:1], v0, v[4:5]
	v_sub_nc_u32_e32 v1, 29, v2
	v_and_b32_e32 v0, 7, v0
; %bb.55:                               ;   in Loop: Header=BB300_10 Depth=1
	s_or_b32 exec_lo, exec_lo, s20
	v_mov_b32_e32 v2, 8
	v_lshl_add_u32 v1, v1, 10, 0x2000
	v_lshlrev_b32_e32 v0, 23, v0
	v_lshlrev_b32_sdwa v2, v2, v4 dst_sel:DWORD dst_unused:UNUSED_PAD src0_sel:DWORD src1_sel:WORD_0
	v_and_or_b32 v1, 0x8000, v2, v1
	v_lshl_or_b32 v90, v1, 16, v0
.LBB300_56:                             ;   in Loop: Header=BB300_10 Depth=1
	s_or_b32 exec_lo, exec_lo, s19
.LBB300_57:                             ;   in Loop: Header=BB300_10 Depth=1
	s_or_b32 exec_lo, exec_lo, s18
.LBB300_58:                             ;   in Loop: Header=BB300_10 Depth=1
	s_or_b32 exec_lo, exec_lo, s17
	v_lshrrev_b32_e32 v4, 16, v25
	v_cmp_ne_u16_sdwa s5, v4, v5 src0_sel:BYTE_0 src1_sel:DWORD
	s_and_saveexec_b32 s17, s5
	s_cbranch_execz .LBB300_66
; %bb.59:                               ;   in Loop: Header=BB300_10 Depth=1
	v_cmp_ne_u16_sdwa s5, v4, v111 src0_sel:BYTE_0 src1_sel:DWORD
	v_mov_b32_e32 v77, 0x8000
	s_and_saveexec_b32 s18, s5
	s_cbranch_execz .LBB300_65
; %bb.60:                               ;   in Loop: Header=BB300_10 Depth=1
	v_bfe_u32 v2, v25, 16, 7
	v_mov_b32_e32 v77, 0x7c01
	s_mov_b32 s19, exec_lo
	v_cmpx_ne_u32_e32 0x7f, v2
	s_cbranch_execz .LBB300_64
; %bb.61:                               ;   in Loop: Header=BB300_10 Depth=1
	v_and_b32_e32 v0, 7, v4
	v_lshrrev_b32_e32 v1, 3, v2
	s_mov_b32 s20, exec_lo
	v_cmpx_gt_u32_e32 8, v2
; %bb.62:                               ;   in Loop: Header=BB300_10 Depth=1
	v_ffbh_u32_e32 v0, v0
	v_min_u32_e32 v2, 32, v0
	v_subrev_nc_u32_e32 v0, 28, v2
	v_lshlrev_b64 v[0:1], v0, v[4:5]
	v_sub_nc_u32_e32 v1, 29, v2
	v_and_b32_e32 v0, 7, v0
; %bb.63:                               ;   in Loop: Header=BB300_10 Depth=1
	s_or_b32 exec_lo, exec_lo, s20
	v_lshlrev_b32_e32 v2, 8, v4
	v_lshl_add_u32 v1, v1, 10, 0x2000
	v_lshlrev_b32_e32 v0, 7, v0
	v_and_b32_e32 v2, 0x8000, v2
	v_and_b32_e32 v1, 0xfc00, v1
	v_or3_b32 v77, v2, v1, v0
.LBB300_64:                             ;   in Loop: Header=BB300_10 Depth=1
	s_or_b32 exec_lo, exec_lo, s19
.LBB300_65:                             ;   in Loop: Header=BB300_10 Depth=1
	s_or_b32 exec_lo, exec_lo, s18
.LBB300_66:                             ;   in Loop: Header=BB300_10 Depth=1
	s_or_b32 exec_lo, exec_lo, s17
	v_mov_b32_e32 v71, 0
	v_mov_b32_e32 v91, 0
	s_mov_b32 s17, exec_lo
	v_cmpx_lt_u64_e64 s[6:7], v[24:25]
	s_cbranch_execz .LBB300_74
; %bb.67:                               ;   in Loop: Header=BB300_10 Depth=1
	v_lshrrev_b32_e32 v4, 24, v25
	v_bfrev_b32_e32 v91, 1
	s_mov_b32 s18, exec_lo
	v_cmpx_ne_u32_e32 0x80, v4
	s_cbranch_execz .LBB300_73
; %bb.68:                               ;   in Loop: Header=BB300_10 Depth=1
	v_and_b32_e32 v2, 0x7f, v4
	v_mov_b32_e32 v91, 0x7c010000
	s_mov_b32 s19, exec_lo
	v_cmpx_ne_u32_e32 0x7f, v2
	s_cbranch_execz .LBB300_72
; %bb.69:                               ;   in Loop: Header=BB300_10 Depth=1
	v_and_b32_e32 v0, 7, v4
	v_lshrrev_b32_e32 v1, 3, v2
	s_mov_b32 s20, exec_lo
	v_cmpx_gt_u32_e32 8, v2
; %bb.70:                               ;   in Loop: Header=BB300_10 Depth=1
	v_ffbh_u32_e32 v0, v0
	v_min_u32_e32 v2, 32, v0
	v_subrev_nc_u32_e32 v0, 28, v2
	v_lshlrev_b64 v[0:1], v0, v[4:5]
	v_sub_nc_u32_e32 v1, 29, v2
	v_and_b32_e32 v0, 7, v0
; %bb.71:                               ;   in Loop: Header=BB300_10 Depth=1
	s_or_b32 exec_lo, exec_lo, s20
	v_lshlrev_b32_e32 v2, 8, v4
	v_lshl_add_u32 v1, v1, 10, 0x2000
	v_lshlrev_b32_e32 v0, 23, v0
	v_and_or_b32 v1, 0x8000, v2, v1
	v_lshl_or_b32 v91, v1, 16, v0
.LBB300_72:                             ;   in Loop: Header=BB300_10 Depth=1
	s_or_b32 exec_lo, exec_lo, s19
.LBB300_73:                             ;   in Loop: Header=BB300_10 Depth=1
	s_or_b32 exec_lo, exec_lo, s18
.LBB300_74:                             ;   in Loop: Header=BB300_10 Depth=1
	s_or_b32 exec_lo, exec_lo, s17
	flat_load_dwordx2 v[24:25], v[16:17] offset:8
	s_waitcnt vmcnt(0) lgkmcnt(0)
	v_cmp_ne_u16_sdwa s5, v24, v5 src0_sel:BYTE_0 src1_sel:DWORD
	s_and_saveexec_b32 s17, s5
	s_cbranch_execz .LBB300_82
; %bb.75:                               ;   in Loop: Header=BB300_10 Depth=1
	v_cmp_ne_u16_sdwa s5, v24, v111 src0_sel:BYTE_0 src1_sel:DWORD
	v_mov_b32_e32 v71, 0x8000
	s_and_saveexec_b32 s18, s5
	s_cbranch_execz .LBB300_81
; %bb.76:                               ;   in Loop: Header=BB300_10 Depth=1
	v_and_b32_e32 v2, 0x7f, v24
	v_mov_b32_e32 v71, 0x7c01
	s_mov_b32 s19, exec_lo
	v_cmpx_ne_u32_e32 0x7f, v2
	s_cbranch_execz .LBB300_80
; %bb.77:                               ;   in Loop: Header=BB300_10 Depth=1
	v_and_b32_e32 v0, 7, v24
	v_lshrrev_b32_e32 v1, 3, v2
	s_mov_b32 s20, exec_lo
	v_cmpx_gt_u32_e32 8, v2
; %bb.78:                               ;   in Loop: Header=BB300_10 Depth=1
	v_ffbh_u32_e32 v0, v0
	v_min_u32_e32 v2, 32, v0
	v_subrev_nc_u32_e32 v0, 28, v2
	v_lshlrev_b64 v[0:1], v0, v[24:25]
	v_sub_nc_u32_e32 v1, 29, v2
	v_and_b32_e32 v0, 7, v0
; %bb.79:                               ;   in Loop: Header=BB300_10 Depth=1
	s_or_b32 exec_lo, exec_lo, s20
	v_lshlrev_b32_e32 v2, 8, v24
	v_lshl_add_u32 v1, v1, 10, 0x2000
	v_lshlrev_b32_e32 v0, 7, v0
	v_and_b32_e32 v2, 0x8000, v2
	v_and_b32_e32 v1, 0xfc00, v1
	v_or3_b32 v71, v2, v1, v0
.LBB300_80:                             ;   in Loop: Header=BB300_10 Depth=1
	s_or_b32 exec_lo, exec_lo, s19
.LBB300_81:                             ;   in Loop: Header=BB300_10 Depth=1
	s_or_b32 exec_lo, exec_lo, s18
.LBB300_82:                             ;   in Loop: Header=BB300_10 Depth=1
	s_or_b32 exec_lo, exec_lo, s17
	v_lshrrev_b16 v4, 8, v24
	v_mov_b32_e32 v7, 0
	v_mov_b32_e32 v15, 0
	s_mov_b32 s17, exec_lo
	v_cmpx_ne_u16_e32 0, v4
	s_cbranch_execz .LBB300_90
; %bb.83:                               ;   in Loop: Header=BB300_10 Depth=1
	v_bfrev_b32_e32 v15, 1
	s_mov_b32 s18, exec_lo
	v_cmpx_ne_u16_e32 0x80, v4
	s_cbranch_execz .LBB300_89
; %bb.84:                               ;   in Loop: Header=BB300_10 Depth=1
	v_mov_b32_e32 v0, 0x7f
	v_mov_b32_e32 v15, 0x7c010000
	s_mov_b32 s19, exec_lo
	v_and_b32_sdwa v2, v4, v0 dst_sel:DWORD dst_unused:UNUSED_PAD src0_sel:WORD_0 src1_sel:DWORD
	v_cmpx_ne_u32_e32 0x7f, v2
	s_cbranch_execz .LBB300_88
; %bb.85:                               ;   in Loop: Header=BB300_10 Depth=1
	v_mov_b32_e32 v0, 7
	v_lshrrev_b32_e32 v1, 3, v2
	s_mov_b32 s20, exec_lo
	v_and_b32_sdwa v0, v4, v0 dst_sel:DWORD dst_unused:UNUSED_PAD src0_sel:WORD_0 src1_sel:DWORD
	v_cmpx_gt_u32_e32 8, v2
; %bb.86:                               ;   in Loop: Header=BB300_10 Depth=1
	v_ffbh_u32_e32 v0, v0
	v_min_u32_e32 v2, 32, v0
	v_subrev_nc_u32_e32 v0, 28, v2
	v_lshlrev_b64 v[0:1], v0, v[4:5]
	v_sub_nc_u32_e32 v1, 29, v2
	v_and_b32_e32 v0, 7, v0
; %bb.87:                               ;   in Loop: Header=BB300_10 Depth=1
	s_or_b32 exec_lo, exec_lo, s20
	v_mov_b32_e32 v2, 8
	v_lshl_add_u32 v1, v1, 10, 0x2000
	v_lshlrev_b32_e32 v0, 23, v0
	v_lshlrev_b32_sdwa v2, v2, v4 dst_sel:DWORD dst_unused:UNUSED_PAD src0_sel:DWORD src1_sel:WORD_0
	v_and_or_b32 v1, 0x8000, v2, v1
	v_lshl_or_b32 v15, v1, 16, v0
.LBB300_88:                             ;   in Loop: Header=BB300_10 Depth=1
	s_or_b32 exec_lo, exec_lo, s19
.LBB300_89:                             ;   in Loop: Header=BB300_10 Depth=1
	s_or_b32 exec_lo, exec_lo, s18
.LBB300_90:                             ;   in Loop: Header=BB300_10 Depth=1
	s_or_b32 exec_lo, exec_lo, s17
	v_lshrrev_b32_e32 v4, 16, v24
	v_cmp_ne_u16_sdwa s5, v4, v5 src0_sel:BYTE_0 src1_sel:DWORD
	s_and_saveexec_b32 s17, s5
	s_cbranch_execz .LBB300_98
; %bb.91:                               ;   in Loop: Header=BB300_10 Depth=1
	v_cmp_ne_u16_sdwa s5, v4, v111 src0_sel:BYTE_0 src1_sel:DWORD
	v_mov_b32_e32 v7, 0x8000
	s_and_saveexec_b32 s18, s5
	s_cbranch_execz .LBB300_97
; %bb.92:                               ;   in Loop: Header=BB300_10 Depth=1
	v_bfe_u32 v2, v24, 16, 7
	v_mov_b32_e32 v7, 0x7c01
	s_mov_b32 s19, exec_lo
	v_cmpx_ne_u32_e32 0x7f, v2
	s_cbranch_execz .LBB300_96
; %bb.93:                               ;   in Loop: Header=BB300_10 Depth=1
	v_and_b32_e32 v0, 7, v4
	v_lshrrev_b32_e32 v1, 3, v2
	s_mov_b32 s20, exec_lo
	v_cmpx_gt_u32_e32 8, v2
; %bb.94:                               ;   in Loop: Header=BB300_10 Depth=1
	v_ffbh_u32_e32 v0, v0
	v_min_u32_e32 v2, 32, v0
	v_subrev_nc_u32_e32 v0, 28, v2
	v_lshlrev_b64 v[0:1], v0, v[4:5]
	v_sub_nc_u32_e32 v1, 29, v2
	v_and_b32_e32 v0, 7, v0
; %bb.95:                               ;   in Loop: Header=BB300_10 Depth=1
	s_or_b32 exec_lo, exec_lo, s20
	v_lshlrev_b32_e32 v2, 8, v4
	v_lshl_add_u32 v1, v1, 10, 0x2000
	v_lshlrev_b32_e32 v0, 7, v0
	v_and_b32_e32 v2, 0x8000, v2
	v_and_b32_e32 v1, 0xfc00, v1
	v_or3_b32 v7, v2, v1, v0
.LBB300_96:                             ;   in Loop: Header=BB300_10 Depth=1
	s_or_b32 exec_lo, exec_lo, s19
.LBB300_97:                             ;   in Loop: Header=BB300_10 Depth=1
	s_or_b32 exec_lo, exec_lo, s18
.LBB300_98:                             ;   in Loop: Header=BB300_10 Depth=1
	s_or_b32 exec_lo, exec_lo, s17
	v_mov_b32_e32 v57, 0
	v_mov_b32_e32 v10, 0
	s_mov_b32 s17, exec_lo
	v_cmpx_lt_u32_e32 0xffffff, v24
	s_cbranch_execz .LBB300_106
; %bb.99:                               ;   in Loop: Header=BB300_10 Depth=1
	v_lshrrev_b32_e32 v4, 24, v24
	v_bfrev_b32_e32 v10, 1
	s_mov_b32 s18, exec_lo
	v_cmpx_ne_u32_e32 0x80, v4
	s_cbranch_execz .LBB300_105
; %bb.100:                              ;   in Loop: Header=BB300_10 Depth=1
	v_and_b32_e32 v2, 0x7f, v4
	v_mov_b32_e32 v10, 0x7c010000
	s_mov_b32 s19, exec_lo
	v_cmpx_ne_u32_e32 0x7f, v2
	s_cbranch_execz .LBB300_104
; %bb.101:                              ;   in Loop: Header=BB300_10 Depth=1
	v_and_b32_e32 v0, 7, v4
	v_lshrrev_b32_e32 v1, 3, v2
	s_mov_b32 s20, exec_lo
	v_cmpx_gt_u32_e32 8, v2
; %bb.102:                              ;   in Loop: Header=BB300_10 Depth=1
	v_ffbh_u32_e32 v0, v0
	v_min_u32_e32 v2, 32, v0
	v_subrev_nc_u32_e32 v0, 28, v2
	v_lshlrev_b64 v[0:1], v0, v[4:5]
	v_sub_nc_u32_e32 v1, 29, v2
	v_and_b32_e32 v0, 7, v0
; %bb.103:                              ;   in Loop: Header=BB300_10 Depth=1
	s_or_b32 exec_lo, exec_lo, s20
	v_lshlrev_b32_e32 v2, 8, v4
	v_lshl_add_u32 v1, v1, 10, 0x2000
	v_lshlrev_b32_e32 v0, 23, v0
	v_and_or_b32 v1, 0x8000, v2, v1
	v_lshl_or_b32 v10, v1, 16, v0
.LBB300_104:                            ;   in Loop: Header=BB300_10 Depth=1
	s_or_b32 exec_lo, exec_lo, s19
.LBB300_105:                            ;   in Loop: Header=BB300_10 Depth=1
	s_or_b32 exec_lo, exec_lo, s18
.LBB300_106:                            ;   in Loop: Header=BB300_10 Depth=1
	s_or_b32 exec_lo, exec_lo, s17
	v_mov_b32_e32 v4, v25
	v_cmp_ne_u16_sdwa s5, v25, v5 src0_sel:BYTE_0 src1_sel:DWORD
	s_and_saveexec_b32 s17, s5
	s_cbranch_execz .LBB300_114
; %bb.107:                              ;   in Loop: Header=BB300_10 Depth=1
	v_cmp_ne_u16_sdwa s5, v25, v111 src0_sel:BYTE_0 src1_sel:DWORD
	v_mov_b32_e32 v57, 0x8000
	s_and_saveexec_b32 s18, s5
	s_cbranch_execz .LBB300_113
; %bb.108:                              ;   in Loop: Header=BB300_10 Depth=1
	v_and_b32_e32 v2, 0x7f, v25
	v_mov_b32_e32 v57, 0x7c01
	s_mov_b32 s19, exec_lo
	v_cmpx_ne_u32_e32 0x7f, v2
	s_cbranch_execz .LBB300_112
; %bb.109:                              ;   in Loop: Header=BB300_10 Depth=1
	v_and_b32_e32 v0, 7, v25
	v_lshrrev_b32_e32 v1, 3, v2
	s_mov_b32 s20, exec_lo
	v_cmpx_gt_u32_e32 8, v2
; %bb.110:                              ;   in Loop: Header=BB300_10 Depth=1
	v_ffbh_u32_e32 v0, v0
	v_min_u32_e32 v2, 32, v0
	v_subrev_nc_u32_e32 v0, 28, v2
	v_lshlrev_b64 v[0:1], v0, v[4:5]
	v_sub_nc_u32_e32 v1, 29, v2
	v_and_b32_e32 v0, 7, v0
; %bb.111:                              ;   in Loop: Header=BB300_10 Depth=1
	s_or_b32 exec_lo, exec_lo, s20
	v_lshlrev_b32_e32 v2, 8, v25
	v_lshl_add_u32 v1, v1, 10, 0x2000
	v_lshlrev_b32_e32 v0, 7, v0
	v_and_b32_e32 v2, 0x8000, v2
	v_and_b32_e32 v1, 0xfc00, v1
	v_or3_b32 v57, v2, v1, v0
.LBB300_112:                            ;   in Loop: Header=BB300_10 Depth=1
	s_or_b32 exec_lo, exec_lo, s19
.LBB300_113:                            ;   in Loop: Header=BB300_10 Depth=1
	s_or_b32 exec_lo, exec_lo, s18
.LBB300_114:                            ;   in Loop: Header=BB300_10 Depth=1
	s_or_b32 exec_lo, exec_lo, s17
	v_lshrrev_b16 v4, 8, v4
	v_mov_b32_e32 v67, 0
	v_mov_b32_e32 v13, 0
	s_mov_b32 s17, exec_lo
	v_cmpx_ne_u16_e32 0, v4
	s_cbranch_execz .LBB300_122
; %bb.115:                              ;   in Loop: Header=BB300_10 Depth=1
	v_bfrev_b32_e32 v13, 1
	s_mov_b32 s18, exec_lo
	v_cmpx_ne_u16_e32 0x80, v4
	s_cbranch_execz .LBB300_121
; %bb.116:                              ;   in Loop: Header=BB300_10 Depth=1
	v_mov_b32_e32 v0, 0x7f
	v_mov_b32_e32 v13, 0x7c010000
	s_mov_b32 s19, exec_lo
	v_and_b32_sdwa v2, v4, v0 dst_sel:DWORD dst_unused:UNUSED_PAD src0_sel:WORD_0 src1_sel:DWORD
	v_cmpx_ne_u32_e32 0x7f, v2
	s_cbranch_execz .LBB300_120
; %bb.117:                              ;   in Loop: Header=BB300_10 Depth=1
	v_mov_b32_e32 v0, 7
	v_lshrrev_b32_e32 v1, 3, v2
	s_mov_b32 s20, exec_lo
	v_and_b32_sdwa v0, v4, v0 dst_sel:DWORD dst_unused:UNUSED_PAD src0_sel:WORD_0 src1_sel:DWORD
	v_cmpx_gt_u32_e32 8, v2
; %bb.118:                              ;   in Loop: Header=BB300_10 Depth=1
	v_ffbh_u32_e32 v0, v0
	v_min_u32_e32 v2, 32, v0
	v_subrev_nc_u32_e32 v0, 28, v2
	v_lshlrev_b64 v[0:1], v0, v[4:5]
	v_sub_nc_u32_e32 v1, 29, v2
	v_and_b32_e32 v0, 7, v0
; %bb.119:                              ;   in Loop: Header=BB300_10 Depth=1
	s_or_b32 exec_lo, exec_lo, s20
	v_mov_b32_e32 v2, 8
	v_lshl_add_u32 v1, v1, 10, 0x2000
	v_lshlrev_b32_e32 v0, 23, v0
	v_lshlrev_b32_sdwa v2, v2, v4 dst_sel:DWORD dst_unused:UNUSED_PAD src0_sel:DWORD src1_sel:WORD_0
	v_and_or_b32 v1, 0x8000, v2, v1
	v_lshl_or_b32 v13, v1, 16, v0
.LBB300_120:                            ;   in Loop: Header=BB300_10 Depth=1
	s_or_b32 exec_lo, exec_lo, s19
.LBB300_121:                            ;   in Loop: Header=BB300_10 Depth=1
	s_or_b32 exec_lo, exec_lo, s18
.LBB300_122:                            ;   in Loop: Header=BB300_10 Depth=1
	s_or_b32 exec_lo, exec_lo, s17
	v_lshrrev_b32_e32 v4, 16, v25
	v_cmp_ne_u16_sdwa s5, v4, v5 src0_sel:BYTE_0 src1_sel:DWORD
	s_and_saveexec_b32 s17, s5
	s_cbranch_execz .LBB300_130
; %bb.123:                              ;   in Loop: Header=BB300_10 Depth=1
	v_cmp_ne_u16_sdwa s5, v4, v111 src0_sel:BYTE_0 src1_sel:DWORD
	v_mov_b32_e32 v67, 0x8000
	s_and_saveexec_b32 s18, s5
	s_cbranch_execz .LBB300_129
; %bb.124:                              ;   in Loop: Header=BB300_10 Depth=1
	v_bfe_u32 v2, v25, 16, 7
	v_mov_b32_e32 v67, 0x7c01
	s_mov_b32 s19, exec_lo
	v_cmpx_ne_u32_e32 0x7f, v2
	s_cbranch_execz .LBB300_128
; %bb.125:                              ;   in Loop: Header=BB300_10 Depth=1
	v_and_b32_e32 v0, 7, v4
	v_lshrrev_b32_e32 v1, 3, v2
	s_mov_b32 s20, exec_lo
	v_cmpx_gt_u32_e32 8, v2
; %bb.126:                              ;   in Loop: Header=BB300_10 Depth=1
	v_ffbh_u32_e32 v0, v0
	v_min_u32_e32 v2, 32, v0
	v_subrev_nc_u32_e32 v0, 28, v2
	v_lshlrev_b64 v[0:1], v0, v[4:5]
	v_sub_nc_u32_e32 v1, 29, v2
	v_and_b32_e32 v0, 7, v0
; %bb.127:                              ;   in Loop: Header=BB300_10 Depth=1
	s_or_b32 exec_lo, exec_lo, s20
	v_lshlrev_b32_e32 v2, 8, v4
	v_lshl_add_u32 v1, v1, 10, 0x2000
	v_lshlrev_b32_e32 v0, 7, v0
	v_and_b32_e32 v2, 0x8000, v2
	v_and_b32_e32 v1, 0xfc00, v1
	v_or3_b32 v67, v2, v1, v0
.LBB300_128:                            ;   in Loop: Header=BB300_10 Depth=1
	s_or_b32 exec_lo, exec_lo, s19
.LBB300_129:                            ;   in Loop: Header=BB300_10 Depth=1
	s_or_b32 exec_lo, exec_lo, s18
.LBB300_130:                            ;   in Loop: Header=BB300_10 Depth=1
	s_or_b32 exec_lo, exec_lo, s17
	v_mov_b32_e32 v126, 0
	v_mov_b32_e32 v0, 0
	s_mov_b32 s17, exec_lo
	buffer_store_dword v0, off, s[0:3], s32 offset:484 ; 4-byte Folded Spill
	v_cmpx_lt_u64_e64 s[6:7], v[24:25]
	s_cbranch_execz .LBB300_138
; %bb.131:                              ;   in Loop: Header=BB300_10 Depth=1
	v_lshrrev_b32_e32 v4, 24, v25
	v_bfrev_b32_e32 v0, 1
	s_mov_b32 s18, exec_lo
	v_cmpx_ne_u32_e32 0x80, v4
	s_cbranch_execz .LBB300_137
; %bb.132:                              ;   in Loop: Header=BB300_10 Depth=1
	v_and_b32_e32 v2, 0x7f, v4
	v_mov_b32_e32 v0, 0x7c010000
	s_mov_b32 s19, exec_lo
	v_cmpx_ne_u32_e32 0x7f, v2
	s_cbranch_execz .LBB300_136
; %bb.133:                              ;   in Loop: Header=BB300_10 Depth=1
	v_and_b32_e32 v0, 7, v4
	v_lshrrev_b32_e32 v1, 3, v2
	s_mov_b32 s20, exec_lo
	v_cmpx_gt_u32_e32 8, v2
; %bb.134:                              ;   in Loop: Header=BB300_10 Depth=1
	v_ffbh_u32_e32 v0, v0
	v_min_u32_e32 v2, 32, v0
	v_subrev_nc_u32_e32 v0, 28, v2
	v_lshlrev_b64 v[0:1], v0, v[4:5]
	v_sub_nc_u32_e32 v1, 29, v2
	v_and_b32_e32 v0, 7, v0
; %bb.135:                              ;   in Loop: Header=BB300_10 Depth=1
	s_or_b32 exec_lo, exec_lo, s20
	v_lshlrev_b32_e32 v2, 8, v4
	v_lshl_add_u32 v1, v1, 10, 0x2000
	v_lshlrev_b32_e32 v0, 23, v0
	v_and_or_b32 v1, 0x8000, v2, v1
	v_lshl_or_b32 v0, v1, 16, v0
.LBB300_136:                            ;   in Loop: Header=BB300_10 Depth=1
	s_or_b32 exec_lo, exec_lo, s19
.LBB300_137:                            ;   in Loop: Header=BB300_10 Depth=1
	s_or_b32 exec_lo, exec_lo, s18
	buffer_store_dword v0, off, s[0:3], s32 offset:484 ; 4-byte Folded Spill
.LBB300_138:                            ;   in Loop: Header=BB300_10 Depth=1
	s_or_b32 exec_lo, exec_lo, s17
	flat_load_dwordx2 v[24:25], v[16:17] offset:512
	s_waitcnt vmcnt(0) lgkmcnt(0)
	v_cmp_ne_u16_sdwa s5, v24, v5 src0_sel:BYTE_0 src1_sel:DWORD
	s_and_saveexec_b32 s17, s5
	s_cbranch_execz .LBB300_146
; %bb.139:                              ;   in Loop: Header=BB300_10 Depth=1
	v_cmp_ne_u16_sdwa s5, v24, v111 src0_sel:BYTE_0 src1_sel:DWORD
	v_mov_b32_e32 v126, 0x8000
	s_and_saveexec_b32 s18, s5
	s_cbranch_execz .LBB300_145
; %bb.140:                              ;   in Loop: Header=BB300_10 Depth=1
	v_and_b32_e32 v2, 0x7f, v24
	v_mov_b32_e32 v126, 0x7c01
	s_mov_b32 s19, exec_lo
	v_cmpx_ne_u32_e32 0x7f, v2
	s_cbranch_execz .LBB300_144
; %bb.141:                              ;   in Loop: Header=BB300_10 Depth=1
	v_and_b32_e32 v0, 7, v24
	v_lshrrev_b32_e32 v1, 3, v2
	s_mov_b32 s20, exec_lo
	v_cmpx_gt_u32_e32 8, v2
; %bb.142:                              ;   in Loop: Header=BB300_10 Depth=1
	v_ffbh_u32_e32 v0, v0
	v_min_u32_e32 v2, 32, v0
	v_subrev_nc_u32_e32 v0, 28, v2
	v_lshlrev_b64 v[0:1], v0, v[24:25]
	v_sub_nc_u32_e32 v1, 29, v2
	v_and_b32_e32 v0, 7, v0
; %bb.143:                              ;   in Loop: Header=BB300_10 Depth=1
	s_or_b32 exec_lo, exec_lo, s20
	v_lshlrev_b32_e32 v2, 8, v24
	v_lshl_add_u32 v1, v1, 10, 0x2000
	v_lshlrev_b32_e32 v0, 7, v0
	v_and_b32_e32 v2, 0x8000, v2
	v_and_b32_e32 v1, 0xfc00, v1
	v_or3_b32 v126, v2, v1, v0
.LBB300_144:                            ;   in Loop: Header=BB300_10 Depth=1
	s_or_b32 exec_lo, exec_lo, s19
.LBB300_145:                            ;   in Loop: Header=BB300_10 Depth=1
	s_or_b32 exec_lo, exec_lo, s18
.LBB300_146:                            ;   in Loop: Header=BB300_10 Depth=1
	s_or_b32 exec_lo, exec_lo, s17
	v_mov_b32_e32 v0, 0
	v_lshrrev_b16 v4, 8, v24
	s_mov_b32 s17, exec_lo
	buffer_store_dword v0, off, s[0:3], s32 offset:196 ; 4-byte Folded Spill
	v_mov_b32_e32 v0, 0
	buffer_store_dword v0, off, s[0:3], s32 offset:192 ; 4-byte Folded Spill
	v_cmpx_ne_u16_e32 0, v4
	s_cbranch_execz .LBB300_154
; %bb.147:                              ;   in Loop: Header=BB300_10 Depth=1
	v_bfrev_b32_e32 v0, 1
	s_mov_b32 s18, exec_lo
	buffer_store_dword v0, off, s[0:3], s32 offset:192 ; 4-byte Folded Spill
	v_cmpx_ne_u16_e32 0x80, v4
	s_cbranch_execz .LBB300_153
; %bb.148:                              ;   in Loop: Header=BB300_10 Depth=1
	v_mov_b32_e32 v0, 0x7f
	s_mov_b32 s19, exec_lo
	v_and_b32_sdwa v2, v4, v0 dst_sel:DWORD dst_unused:UNUSED_PAD src0_sel:WORD_0 src1_sel:DWORD
	v_mov_b32_e32 v0, 0x7c010000
	buffer_store_dword v0, off, s[0:3], s32 offset:192 ; 4-byte Folded Spill
	v_cmpx_ne_u32_e32 0x7f, v2
	s_cbranch_execz .LBB300_152
; %bb.149:                              ;   in Loop: Header=BB300_10 Depth=1
	v_mov_b32_e32 v0, 7
	v_lshrrev_b32_e32 v1, 3, v2
	s_mov_b32 s20, exec_lo
	v_and_b32_sdwa v0, v4, v0 dst_sel:DWORD dst_unused:UNUSED_PAD src0_sel:WORD_0 src1_sel:DWORD
	v_cmpx_gt_u32_e32 8, v2
; %bb.150:                              ;   in Loop: Header=BB300_10 Depth=1
	v_ffbh_u32_e32 v0, v0
	v_min_u32_e32 v2, 32, v0
	v_subrev_nc_u32_e32 v0, 28, v2
	v_lshlrev_b64 v[0:1], v0, v[4:5]
	v_sub_nc_u32_e32 v1, 29, v2
	v_and_b32_e32 v0, 7, v0
; %bb.151:                              ;   in Loop: Header=BB300_10 Depth=1
	s_or_b32 exec_lo, exec_lo, s20
	v_mov_b32_e32 v2, 8
	v_lshl_add_u32 v1, v1, 10, 0x2000
	v_lshlrev_b32_e32 v0, 23, v0
	v_lshlrev_b32_sdwa v2, v2, v4 dst_sel:DWORD dst_unused:UNUSED_PAD src0_sel:DWORD src1_sel:WORD_0
	v_and_or_b32 v1, 0x8000, v2, v1
	v_lshl_or_b32 v0, v1, 16, v0
	buffer_store_dword v0, off, s[0:3], s32 offset:192 ; 4-byte Folded Spill
.LBB300_152:                            ;   in Loop: Header=BB300_10 Depth=1
	s_or_b32 exec_lo, exec_lo, s19
.LBB300_153:                            ;   in Loop: Header=BB300_10 Depth=1
	s_or_b32 exec_lo, exec_lo, s18
.LBB300_154:                            ;   in Loop: Header=BB300_10 Depth=1
	s_or_b32 exec_lo, exec_lo, s17
	v_lshrrev_b32_e32 v4, 16, v24
	v_cmp_ne_u16_sdwa s5, v4, v5 src0_sel:BYTE_0 src1_sel:DWORD
	s_and_saveexec_b32 s17, s5
	s_cbranch_execz .LBB300_162
; %bb.155:                              ;   in Loop: Header=BB300_10 Depth=1
	v_cmp_ne_u16_sdwa s5, v4, v111 src0_sel:BYTE_0 src1_sel:DWORD
	v_mov_b32_e32 v0, 0x8000
	buffer_store_dword v0, off, s[0:3], s32 offset:196 ; 4-byte Folded Spill
	s_and_saveexec_b32 s18, s5
	s_cbranch_execz .LBB300_161
; %bb.156:                              ;   in Loop: Header=BB300_10 Depth=1
	v_bfe_u32 v2, v24, 16, 7
	v_mov_b32_e32 v0, 0x7c01
	s_mov_b32 s19, exec_lo
	buffer_store_dword v0, off, s[0:3], s32 offset:196 ; 4-byte Folded Spill
	v_cmpx_ne_u32_e32 0x7f, v2
	s_cbranch_execz .LBB300_160
; %bb.157:                              ;   in Loop: Header=BB300_10 Depth=1
	v_and_b32_e32 v0, 7, v4
	v_lshrrev_b32_e32 v1, 3, v2
	s_mov_b32 s20, exec_lo
	v_cmpx_gt_u32_e32 8, v2
; %bb.158:                              ;   in Loop: Header=BB300_10 Depth=1
	v_ffbh_u32_e32 v0, v0
	v_min_u32_e32 v2, 32, v0
	v_subrev_nc_u32_e32 v0, 28, v2
	v_lshlrev_b64 v[0:1], v0, v[4:5]
	v_sub_nc_u32_e32 v1, 29, v2
	v_and_b32_e32 v0, 7, v0
; %bb.159:                              ;   in Loop: Header=BB300_10 Depth=1
	s_or_b32 exec_lo, exec_lo, s20
	v_lshlrev_b32_e32 v2, 8, v4
	v_lshl_add_u32 v1, v1, 10, 0x2000
	v_lshlrev_b32_e32 v0, 7, v0
	v_and_b32_e32 v2, 0x8000, v2
	v_and_b32_e32 v1, 0xfc00, v1
	v_or3_b32 v0, v2, v1, v0
	buffer_store_dword v0, off, s[0:3], s32 offset:196 ; 4-byte Folded Spill
.LBB300_160:                            ;   in Loop: Header=BB300_10 Depth=1
	s_or_b32 exec_lo, exec_lo, s19
.LBB300_161:                            ;   in Loop: Header=BB300_10 Depth=1
	s_or_b32 exec_lo, exec_lo, s18
.LBB300_162:                            ;   in Loop: Header=BB300_10 Depth=1
	s_or_b32 exec_lo, exec_lo, s17
	v_mov_b32_e32 v0, 0
	s_mov_b32 s17, exec_lo
	buffer_store_dword v0, off, s[0:3], s32 offset:200 ; 4-byte Folded Spill
	v_mov_b32_e32 v0, 0
	buffer_store_dword v0, off, s[0:3], s32 offset:204 ; 4-byte Folded Spill
	v_cmpx_lt_u32_e32 0xffffff, v24
	s_cbranch_execz .LBB300_170
; %bb.163:                              ;   in Loop: Header=BB300_10 Depth=1
	v_lshrrev_b32_e32 v4, 24, v24
	v_bfrev_b32_e32 v0, 1
	s_mov_b32 s18, exec_lo
	buffer_store_dword v0, off, s[0:3], s32 offset:204 ; 4-byte Folded Spill
	v_cmpx_ne_u32_e32 0x80, v4
	s_cbranch_execz .LBB300_169
; %bb.164:                              ;   in Loop: Header=BB300_10 Depth=1
	v_and_b32_e32 v2, 0x7f, v4
	v_mov_b32_e32 v0, 0x7c010000
	s_mov_b32 s19, exec_lo
	buffer_store_dword v0, off, s[0:3], s32 offset:204 ; 4-byte Folded Spill
	v_cmpx_ne_u32_e32 0x7f, v2
	s_cbranch_execz .LBB300_168
; %bb.165:                              ;   in Loop: Header=BB300_10 Depth=1
	v_and_b32_e32 v0, 7, v4
	v_lshrrev_b32_e32 v1, 3, v2
	s_mov_b32 s20, exec_lo
	v_cmpx_gt_u32_e32 8, v2
; %bb.166:                              ;   in Loop: Header=BB300_10 Depth=1
	v_ffbh_u32_e32 v0, v0
	v_min_u32_e32 v2, 32, v0
	v_subrev_nc_u32_e32 v0, 28, v2
	v_lshlrev_b64 v[0:1], v0, v[4:5]
	v_sub_nc_u32_e32 v1, 29, v2
	v_and_b32_e32 v0, 7, v0
; %bb.167:                              ;   in Loop: Header=BB300_10 Depth=1
	s_or_b32 exec_lo, exec_lo, s20
	v_lshlrev_b32_e32 v2, 8, v4
	v_lshl_add_u32 v1, v1, 10, 0x2000
	v_lshlrev_b32_e32 v0, 23, v0
	v_and_or_b32 v1, 0x8000, v2, v1
	v_lshl_or_b32 v0, v1, 16, v0
	buffer_store_dword v0, off, s[0:3], s32 offset:204 ; 4-byte Folded Spill
.LBB300_168:                            ;   in Loop: Header=BB300_10 Depth=1
	s_or_b32 exec_lo, exec_lo, s19
.LBB300_169:                            ;   in Loop: Header=BB300_10 Depth=1
	s_or_b32 exec_lo, exec_lo, s18
.LBB300_170:                            ;   in Loop: Header=BB300_10 Depth=1
	s_or_b32 exec_lo, exec_lo, s17
	v_mov_b32_e32 v4, v25
	v_cmp_ne_u16_sdwa s5, v25, v5 src0_sel:BYTE_0 src1_sel:DWORD
	s_and_saveexec_b32 s17, s5
	s_cbranch_execz .LBB300_178
; %bb.171:                              ;   in Loop: Header=BB300_10 Depth=1
	v_cmp_ne_u16_sdwa s5, v25, v111 src0_sel:BYTE_0 src1_sel:DWORD
	v_mov_b32_e32 v0, 0x8000
	buffer_store_dword v0, off, s[0:3], s32 offset:200 ; 4-byte Folded Spill
	s_and_saveexec_b32 s18, s5
	s_cbranch_execz .LBB300_177
; %bb.172:                              ;   in Loop: Header=BB300_10 Depth=1
	v_and_b32_e32 v2, 0x7f, v25
	v_mov_b32_e32 v0, 0x7c01
	s_mov_b32 s19, exec_lo
	buffer_store_dword v0, off, s[0:3], s32 offset:200 ; 4-byte Folded Spill
	v_cmpx_ne_u32_e32 0x7f, v2
	s_cbranch_execz .LBB300_176
; %bb.173:                              ;   in Loop: Header=BB300_10 Depth=1
	v_and_b32_e32 v0, 7, v25
	v_lshrrev_b32_e32 v1, 3, v2
	s_mov_b32 s20, exec_lo
	v_cmpx_gt_u32_e32 8, v2
; %bb.174:                              ;   in Loop: Header=BB300_10 Depth=1
	v_ffbh_u32_e32 v0, v0
	v_min_u32_e32 v2, 32, v0
	v_subrev_nc_u32_e32 v0, 28, v2
	v_lshlrev_b64 v[0:1], v0, v[4:5]
	v_sub_nc_u32_e32 v1, 29, v2
	v_and_b32_e32 v0, 7, v0
; %bb.175:                              ;   in Loop: Header=BB300_10 Depth=1
	s_or_b32 exec_lo, exec_lo, s20
	v_lshlrev_b32_e32 v2, 8, v25
	v_lshl_add_u32 v1, v1, 10, 0x2000
	v_lshlrev_b32_e32 v0, 7, v0
	v_and_b32_e32 v2, 0x8000, v2
	v_and_b32_e32 v1, 0xfc00, v1
	v_or3_b32 v0, v2, v1, v0
	buffer_store_dword v0, off, s[0:3], s32 offset:200 ; 4-byte Folded Spill
.LBB300_176:                            ;   in Loop: Header=BB300_10 Depth=1
	s_or_b32 exec_lo, exec_lo, s19
.LBB300_177:                            ;   in Loop: Header=BB300_10 Depth=1
	s_or_b32 exec_lo, exec_lo, s18
.LBB300_178:                            ;   in Loop: Header=BB300_10 Depth=1
	s_or_b32 exec_lo, exec_lo, s17
	v_mov_b32_e32 v0, 0
	v_lshrrev_b16 v4, 8, v4
	s_mov_b32 s17, exec_lo
	buffer_store_dword v0, off, s[0:3], s32 offset:208 ; 4-byte Folded Spill
	v_mov_b32_e32 v0, 0
	buffer_store_dword v0, off, s[0:3], s32 offset:212 ; 4-byte Folded Spill
	v_cmpx_ne_u16_e32 0, v4
	s_cbranch_execz .LBB300_186
; %bb.179:                              ;   in Loop: Header=BB300_10 Depth=1
	v_bfrev_b32_e32 v0, 1
	s_mov_b32 s18, exec_lo
	buffer_store_dword v0, off, s[0:3], s32 offset:212 ; 4-byte Folded Spill
	v_cmpx_ne_u16_e32 0x80, v4
	s_cbranch_execz .LBB300_185
; %bb.180:                              ;   in Loop: Header=BB300_10 Depth=1
	v_mov_b32_e32 v0, 0x7f
	s_mov_b32 s19, exec_lo
	v_and_b32_sdwa v2, v4, v0 dst_sel:DWORD dst_unused:UNUSED_PAD src0_sel:WORD_0 src1_sel:DWORD
	v_mov_b32_e32 v0, 0x7c010000
	buffer_store_dword v0, off, s[0:3], s32 offset:212 ; 4-byte Folded Spill
	v_cmpx_ne_u32_e32 0x7f, v2
	s_cbranch_execz .LBB300_184
; %bb.181:                              ;   in Loop: Header=BB300_10 Depth=1
	v_mov_b32_e32 v0, 7
	v_lshrrev_b32_e32 v1, 3, v2
	s_mov_b32 s20, exec_lo
	v_and_b32_sdwa v0, v4, v0 dst_sel:DWORD dst_unused:UNUSED_PAD src0_sel:WORD_0 src1_sel:DWORD
	v_cmpx_gt_u32_e32 8, v2
; %bb.182:                              ;   in Loop: Header=BB300_10 Depth=1
	v_ffbh_u32_e32 v0, v0
	v_min_u32_e32 v2, 32, v0
	v_subrev_nc_u32_e32 v0, 28, v2
	v_lshlrev_b64 v[0:1], v0, v[4:5]
	v_sub_nc_u32_e32 v1, 29, v2
	v_and_b32_e32 v0, 7, v0
; %bb.183:                              ;   in Loop: Header=BB300_10 Depth=1
	s_or_b32 exec_lo, exec_lo, s20
	v_mov_b32_e32 v2, 8
	v_lshl_add_u32 v1, v1, 10, 0x2000
	v_lshlrev_b32_e32 v0, 23, v0
	v_lshlrev_b32_sdwa v2, v2, v4 dst_sel:DWORD dst_unused:UNUSED_PAD src0_sel:DWORD src1_sel:WORD_0
	v_and_or_b32 v1, 0x8000, v2, v1
	v_lshl_or_b32 v0, v1, 16, v0
	buffer_store_dword v0, off, s[0:3], s32 offset:212 ; 4-byte Folded Spill
.LBB300_184:                            ;   in Loop: Header=BB300_10 Depth=1
	s_or_b32 exec_lo, exec_lo, s19
.LBB300_185:                            ;   in Loop: Header=BB300_10 Depth=1
	s_or_b32 exec_lo, exec_lo, s18
.LBB300_186:                            ;   in Loop: Header=BB300_10 Depth=1
	s_or_b32 exec_lo, exec_lo, s17
	v_lshrrev_b32_e32 v4, 16, v25
	v_cmp_ne_u16_sdwa s5, v4, v5 src0_sel:BYTE_0 src1_sel:DWORD
	s_and_saveexec_b32 s17, s5
	s_cbranch_execz .LBB300_194
; %bb.187:                              ;   in Loop: Header=BB300_10 Depth=1
	v_cmp_ne_u16_sdwa s5, v4, v111 src0_sel:BYTE_0 src1_sel:DWORD
	v_mov_b32_e32 v0, 0x8000
	buffer_store_dword v0, off, s[0:3], s32 offset:208 ; 4-byte Folded Spill
	s_and_saveexec_b32 s18, s5
	s_cbranch_execz .LBB300_193
; %bb.188:                              ;   in Loop: Header=BB300_10 Depth=1
	v_bfe_u32 v2, v25, 16, 7
	v_mov_b32_e32 v0, 0x7c01
	s_mov_b32 s19, exec_lo
	buffer_store_dword v0, off, s[0:3], s32 offset:208 ; 4-byte Folded Spill
	v_cmpx_ne_u32_e32 0x7f, v2
	s_cbranch_execz .LBB300_192
; %bb.189:                              ;   in Loop: Header=BB300_10 Depth=1
	v_and_b32_e32 v0, 7, v4
	v_lshrrev_b32_e32 v1, 3, v2
	s_mov_b32 s20, exec_lo
	v_cmpx_gt_u32_e32 8, v2
; %bb.190:                              ;   in Loop: Header=BB300_10 Depth=1
	v_ffbh_u32_e32 v0, v0
	v_min_u32_e32 v2, 32, v0
	v_subrev_nc_u32_e32 v0, 28, v2
	v_lshlrev_b64 v[0:1], v0, v[4:5]
	v_sub_nc_u32_e32 v1, 29, v2
	v_and_b32_e32 v0, 7, v0
; %bb.191:                              ;   in Loop: Header=BB300_10 Depth=1
	s_or_b32 exec_lo, exec_lo, s20
	v_lshlrev_b32_e32 v2, 8, v4
	v_lshl_add_u32 v1, v1, 10, 0x2000
	v_lshlrev_b32_e32 v0, 7, v0
	v_and_b32_e32 v2, 0x8000, v2
	v_and_b32_e32 v1, 0xfc00, v1
	v_or3_b32 v0, v2, v1, v0
	buffer_store_dword v0, off, s[0:3], s32 offset:208 ; 4-byte Folded Spill
.LBB300_192:                            ;   in Loop: Header=BB300_10 Depth=1
	s_or_b32 exec_lo, exec_lo, s19
.LBB300_193:                            ;   in Loop: Header=BB300_10 Depth=1
	s_or_b32 exec_lo, exec_lo, s18
.LBB300_194:                            ;   in Loop: Header=BB300_10 Depth=1
	s_or_b32 exec_lo, exec_lo, s17
	v_mov_b32_e32 v0, 0
	s_mov_b32 s17, exec_lo
	buffer_store_dword v0, off, s[0:3], s32 offset:216 ; 4-byte Folded Spill
	v_mov_b32_e32 v0, 0
	buffer_store_dword v0, off, s[0:3], s32 offset:488 ; 4-byte Folded Spill
	v_cmpx_lt_u64_e64 s[6:7], v[24:25]
	s_cbranch_execz .LBB300_202
; %bb.195:                              ;   in Loop: Header=BB300_10 Depth=1
	v_lshrrev_b32_e32 v4, 24, v25
	v_bfrev_b32_e32 v0, 1
	s_mov_b32 s18, exec_lo
	v_cmpx_ne_u32_e32 0x80, v4
	s_cbranch_execz .LBB300_201
; %bb.196:                              ;   in Loop: Header=BB300_10 Depth=1
	v_and_b32_e32 v2, 0x7f, v4
	v_mov_b32_e32 v0, 0x7c010000
	s_mov_b32 s19, exec_lo
	v_cmpx_ne_u32_e32 0x7f, v2
	s_cbranch_execz .LBB300_200
; %bb.197:                              ;   in Loop: Header=BB300_10 Depth=1
	v_and_b32_e32 v0, 7, v4
	v_lshrrev_b32_e32 v1, 3, v2
	s_mov_b32 s20, exec_lo
	v_cmpx_gt_u32_e32 8, v2
; %bb.198:                              ;   in Loop: Header=BB300_10 Depth=1
	v_ffbh_u32_e32 v0, v0
	v_min_u32_e32 v2, 32, v0
	v_subrev_nc_u32_e32 v0, 28, v2
	v_lshlrev_b64 v[0:1], v0, v[4:5]
	v_sub_nc_u32_e32 v1, 29, v2
	v_and_b32_e32 v0, 7, v0
; %bb.199:                              ;   in Loop: Header=BB300_10 Depth=1
	s_or_b32 exec_lo, exec_lo, s20
	v_lshlrev_b32_e32 v2, 8, v4
	v_lshl_add_u32 v1, v1, 10, 0x2000
	v_lshlrev_b32_e32 v0, 23, v0
	v_and_or_b32 v1, 0x8000, v2, v1
	v_lshl_or_b32 v0, v1, 16, v0
.LBB300_200:                            ;   in Loop: Header=BB300_10 Depth=1
	s_or_b32 exec_lo, exec_lo, s19
.LBB300_201:                            ;   in Loop: Header=BB300_10 Depth=1
	s_or_b32 exec_lo, exec_lo, s18
	buffer_store_dword v0, off, s[0:3], s32 offset:488 ; 4-byte Folded Spill
.LBB300_202:                            ;   in Loop: Header=BB300_10 Depth=1
	s_or_b32 exec_lo, exec_lo, s17
	flat_load_dwordx2 v[24:25], v[16:17] offset:520
	s_waitcnt vmcnt(0) lgkmcnt(0)
	v_cmp_ne_u16_sdwa s5, v24, v5 src0_sel:BYTE_0 src1_sel:DWORD
	s_and_saveexec_b32 s17, s5
	s_cbranch_execz .LBB300_210
; %bb.203:                              ;   in Loop: Header=BB300_10 Depth=1
	v_cmp_ne_u16_sdwa s5, v24, v111 src0_sel:BYTE_0 src1_sel:DWORD
	v_mov_b32_e32 v0, 0x8000
	buffer_store_dword v0, off, s[0:3], s32 offset:216 ; 4-byte Folded Spill
	s_and_saveexec_b32 s18, s5
	s_cbranch_execz .LBB300_209
; %bb.204:                              ;   in Loop: Header=BB300_10 Depth=1
	v_and_b32_e32 v2, 0x7f, v24
	v_mov_b32_e32 v0, 0x7c01
	s_mov_b32 s19, exec_lo
	buffer_store_dword v0, off, s[0:3], s32 offset:216 ; 4-byte Folded Spill
	v_cmpx_ne_u32_e32 0x7f, v2
	s_cbranch_execz .LBB300_208
; %bb.205:                              ;   in Loop: Header=BB300_10 Depth=1
	v_and_b32_e32 v0, 7, v24
	v_lshrrev_b32_e32 v1, 3, v2
	s_mov_b32 s20, exec_lo
	v_cmpx_gt_u32_e32 8, v2
; %bb.206:                              ;   in Loop: Header=BB300_10 Depth=1
	v_ffbh_u32_e32 v0, v0
	v_min_u32_e32 v2, 32, v0
	v_subrev_nc_u32_e32 v0, 28, v2
	v_lshlrev_b64 v[0:1], v0, v[24:25]
	v_sub_nc_u32_e32 v1, 29, v2
	v_and_b32_e32 v0, 7, v0
; %bb.207:                              ;   in Loop: Header=BB300_10 Depth=1
	s_or_b32 exec_lo, exec_lo, s20
	v_lshlrev_b32_e32 v2, 8, v24
	v_lshl_add_u32 v1, v1, 10, 0x2000
	v_lshlrev_b32_e32 v0, 7, v0
	v_and_b32_e32 v2, 0x8000, v2
	v_and_b32_e32 v1, 0xfc00, v1
	v_or3_b32 v0, v2, v1, v0
	buffer_store_dword v0, off, s[0:3], s32 offset:216 ; 4-byte Folded Spill
.LBB300_208:                            ;   in Loop: Header=BB300_10 Depth=1
	s_or_b32 exec_lo, exec_lo, s19
.LBB300_209:                            ;   in Loop: Header=BB300_10 Depth=1
	s_or_b32 exec_lo, exec_lo, s18
.LBB300_210:                            ;   in Loop: Header=BB300_10 Depth=1
	s_or_b32 exec_lo, exec_lo, s17
	v_mov_b32_e32 v0, 0
	v_lshrrev_b16 v4, 8, v24
	s_mov_b32 s17, exec_lo
	buffer_store_dword v0, off, s[0:3], s32 offset:224 ; 4-byte Folded Spill
	v_mov_b32_e32 v0, 0
	buffer_store_dword v0, off, s[0:3], s32 offset:220 ; 4-byte Folded Spill
	v_cmpx_ne_u16_e32 0, v4
	s_cbranch_execz .LBB300_218
; %bb.211:                              ;   in Loop: Header=BB300_10 Depth=1
	v_bfrev_b32_e32 v0, 1
	s_mov_b32 s18, exec_lo
	buffer_store_dword v0, off, s[0:3], s32 offset:220 ; 4-byte Folded Spill
	v_cmpx_ne_u16_e32 0x80, v4
	s_cbranch_execz .LBB300_217
; %bb.212:                              ;   in Loop: Header=BB300_10 Depth=1
	v_mov_b32_e32 v0, 0x7f
	s_mov_b32 s19, exec_lo
	v_and_b32_sdwa v2, v4, v0 dst_sel:DWORD dst_unused:UNUSED_PAD src0_sel:WORD_0 src1_sel:DWORD
	v_mov_b32_e32 v0, 0x7c010000
	buffer_store_dword v0, off, s[0:3], s32 offset:220 ; 4-byte Folded Spill
	v_cmpx_ne_u32_e32 0x7f, v2
	s_cbranch_execz .LBB300_216
; %bb.213:                              ;   in Loop: Header=BB300_10 Depth=1
	v_mov_b32_e32 v0, 7
	v_lshrrev_b32_e32 v1, 3, v2
	s_mov_b32 s20, exec_lo
	v_and_b32_sdwa v0, v4, v0 dst_sel:DWORD dst_unused:UNUSED_PAD src0_sel:WORD_0 src1_sel:DWORD
	v_cmpx_gt_u32_e32 8, v2
; %bb.214:                              ;   in Loop: Header=BB300_10 Depth=1
	v_ffbh_u32_e32 v0, v0
	v_min_u32_e32 v2, 32, v0
	v_subrev_nc_u32_e32 v0, 28, v2
	v_lshlrev_b64 v[0:1], v0, v[4:5]
	v_sub_nc_u32_e32 v1, 29, v2
	v_and_b32_e32 v0, 7, v0
; %bb.215:                              ;   in Loop: Header=BB300_10 Depth=1
	s_or_b32 exec_lo, exec_lo, s20
	v_mov_b32_e32 v2, 8
	v_lshl_add_u32 v1, v1, 10, 0x2000
	v_lshlrev_b32_e32 v0, 23, v0
	v_lshlrev_b32_sdwa v2, v2, v4 dst_sel:DWORD dst_unused:UNUSED_PAD src0_sel:DWORD src1_sel:WORD_0
	v_and_or_b32 v1, 0x8000, v2, v1
	v_lshl_or_b32 v0, v1, 16, v0
	buffer_store_dword v0, off, s[0:3], s32 offset:220 ; 4-byte Folded Spill
.LBB300_216:                            ;   in Loop: Header=BB300_10 Depth=1
	s_or_b32 exec_lo, exec_lo, s19
.LBB300_217:                            ;   in Loop: Header=BB300_10 Depth=1
	s_or_b32 exec_lo, exec_lo, s18
.LBB300_218:                            ;   in Loop: Header=BB300_10 Depth=1
	s_or_b32 exec_lo, exec_lo, s17
	v_lshrrev_b32_e32 v4, 16, v24
	v_cmp_ne_u16_sdwa s5, v4, v5 src0_sel:BYTE_0 src1_sel:DWORD
	s_and_saveexec_b32 s17, s5
	s_cbranch_execz .LBB300_226
; %bb.219:                              ;   in Loop: Header=BB300_10 Depth=1
	v_cmp_ne_u16_sdwa s5, v4, v111 src0_sel:BYTE_0 src1_sel:DWORD
	v_mov_b32_e32 v0, 0x8000
	buffer_store_dword v0, off, s[0:3], s32 offset:224 ; 4-byte Folded Spill
	s_and_saveexec_b32 s18, s5
	s_cbranch_execz .LBB300_225
; %bb.220:                              ;   in Loop: Header=BB300_10 Depth=1
	v_bfe_u32 v2, v24, 16, 7
	v_mov_b32_e32 v0, 0x7c01
	s_mov_b32 s19, exec_lo
	buffer_store_dword v0, off, s[0:3], s32 offset:224 ; 4-byte Folded Spill
	v_cmpx_ne_u32_e32 0x7f, v2
	s_cbranch_execz .LBB300_224
; %bb.221:                              ;   in Loop: Header=BB300_10 Depth=1
	v_and_b32_e32 v0, 7, v4
	v_lshrrev_b32_e32 v1, 3, v2
	s_mov_b32 s20, exec_lo
	v_cmpx_gt_u32_e32 8, v2
; %bb.222:                              ;   in Loop: Header=BB300_10 Depth=1
	v_ffbh_u32_e32 v0, v0
	v_min_u32_e32 v2, 32, v0
	v_subrev_nc_u32_e32 v0, 28, v2
	v_lshlrev_b64 v[0:1], v0, v[4:5]
	v_sub_nc_u32_e32 v1, 29, v2
	v_and_b32_e32 v0, 7, v0
; %bb.223:                              ;   in Loop: Header=BB300_10 Depth=1
	s_or_b32 exec_lo, exec_lo, s20
	v_lshlrev_b32_e32 v2, 8, v4
	v_lshl_add_u32 v1, v1, 10, 0x2000
	v_lshlrev_b32_e32 v0, 7, v0
	v_and_b32_e32 v2, 0x8000, v2
	v_and_b32_e32 v1, 0xfc00, v1
	v_or3_b32 v0, v2, v1, v0
	buffer_store_dword v0, off, s[0:3], s32 offset:224 ; 4-byte Folded Spill
.LBB300_224:                            ;   in Loop: Header=BB300_10 Depth=1
	s_or_b32 exec_lo, exec_lo, s19
.LBB300_225:                            ;   in Loop: Header=BB300_10 Depth=1
	s_or_b32 exec_lo, exec_lo, s18
.LBB300_226:                            ;   in Loop: Header=BB300_10 Depth=1
	s_or_b32 exec_lo, exec_lo, s17
	v_mov_b32_e32 v0, 0
	s_mov_b32 s17, exec_lo
	buffer_store_dword v0, off, s[0:3], s32 offset:228 ; 4-byte Folded Spill
	v_mov_b32_e32 v0, 0
	buffer_store_dword v0, off, s[0:3], s32 offset:232 ; 4-byte Folded Spill
	v_cmpx_lt_u32_e32 0xffffff, v24
	s_cbranch_execz .LBB300_234
; %bb.227:                              ;   in Loop: Header=BB300_10 Depth=1
	v_lshrrev_b32_e32 v4, 24, v24
	v_bfrev_b32_e32 v0, 1
	s_mov_b32 s18, exec_lo
	buffer_store_dword v0, off, s[0:3], s32 offset:232 ; 4-byte Folded Spill
	v_cmpx_ne_u32_e32 0x80, v4
	s_cbranch_execz .LBB300_233
; %bb.228:                              ;   in Loop: Header=BB300_10 Depth=1
	v_and_b32_e32 v2, 0x7f, v4
	v_mov_b32_e32 v0, 0x7c010000
	s_mov_b32 s19, exec_lo
	buffer_store_dword v0, off, s[0:3], s32 offset:232 ; 4-byte Folded Spill
	v_cmpx_ne_u32_e32 0x7f, v2
	s_cbranch_execz .LBB300_232
; %bb.229:                              ;   in Loop: Header=BB300_10 Depth=1
	v_and_b32_e32 v0, 7, v4
	v_lshrrev_b32_e32 v1, 3, v2
	s_mov_b32 s20, exec_lo
	v_cmpx_gt_u32_e32 8, v2
; %bb.230:                              ;   in Loop: Header=BB300_10 Depth=1
	v_ffbh_u32_e32 v0, v0
	v_min_u32_e32 v2, 32, v0
	v_subrev_nc_u32_e32 v0, 28, v2
	v_lshlrev_b64 v[0:1], v0, v[4:5]
	v_sub_nc_u32_e32 v1, 29, v2
	v_and_b32_e32 v0, 7, v0
; %bb.231:                              ;   in Loop: Header=BB300_10 Depth=1
	s_or_b32 exec_lo, exec_lo, s20
	v_lshlrev_b32_e32 v2, 8, v4
	v_lshl_add_u32 v1, v1, 10, 0x2000
	v_lshlrev_b32_e32 v0, 23, v0
	v_and_or_b32 v1, 0x8000, v2, v1
	v_lshl_or_b32 v0, v1, 16, v0
	buffer_store_dword v0, off, s[0:3], s32 offset:232 ; 4-byte Folded Spill
.LBB300_232:                            ;   in Loop: Header=BB300_10 Depth=1
	s_or_b32 exec_lo, exec_lo, s19
.LBB300_233:                            ;   in Loop: Header=BB300_10 Depth=1
	s_or_b32 exec_lo, exec_lo, s18
.LBB300_234:                            ;   in Loop: Header=BB300_10 Depth=1
	s_or_b32 exec_lo, exec_lo, s17
	v_mov_b32_e32 v4, v25
	v_cmp_ne_u16_sdwa s5, v25, v5 src0_sel:BYTE_0 src1_sel:DWORD
	s_and_saveexec_b32 s17, s5
	s_cbranch_execz .LBB300_242
; %bb.235:                              ;   in Loop: Header=BB300_10 Depth=1
	v_cmp_ne_u16_sdwa s5, v25, v111 src0_sel:BYTE_0 src1_sel:DWORD
	v_mov_b32_e32 v0, 0x8000
	buffer_store_dword v0, off, s[0:3], s32 offset:228 ; 4-byte Folded Spill
	s_and_saveexec_b32 s18, s5
	s_cbranch_execz .LBB300_241
; %bb.236:                              ;   in Loop: Header=BB300_10 Depth=1
	v_and_b32_e32 v2, 0x7f, v25
	v_mov_b32_e32 v0, 0x7c01
	s_mov_b32 s19, exec_lo
	buffer_store_dword v0, off, s[0:3], s32 offset:228 ; 4-byte Folded Spill
	v_cmpx_ne_u32_e32 0x7f, v2
	s_cbranch_execz .LBB300_240
; %bb.237:                              ;   in Loop: Header=BB300_10 Depth=1
	v_and_b32_e32 v0, 7, v25
	v_lshrrev_b32_e32 v1, 3, v2
	s_mov_b32 s20, exec_lo
	v_cmpx_gt_u32_e32 8, v2
; %bb.238:                              ;   in Loop: Header=BB300_10 Depth=1
	v_ffbh_u32_e32 v0, v0
	v_min_u32_e32 v2, 32, v0
	v_subrev_nc_u32_e32 v0, 28, v2
	v_lshlrev_b64 v[0:1], v0, v[4:5]
	v_sub_nc_u32_e32 v1, 29, v2
	v_and_b32_e32 v0, 7, v0
; %bb.239:                              ;   in Loop: Header=BB300_10 Depth=1
	s_or_b32 exec_lo, exec_lo, s20
	v_lshlrev_b32_e32 v2, 8, v25
	v_lshl_add_u32 v1, v1, 10, 0x2000
	v_lshlrev_b32_e32 v0, 7, v0
	v_and_b32_e32 v2, 0x8000, v2
	v_and_b32_e32 v1, 0xfc00, v1
	v_or3_b32 v0, v2, v1, v0
	buffer_store_dword v0, off, s[0:3], s32 offset:228 ; 4-byte Folded Spill
.LBB300_240:                            ;   in Loop: Header=BB300_10 Depth=1
	s_or_b32 exec_lo, exec_lo, s19
.LBB300_241:                            ;   in Loop: Header=BB300_10 Depth=1
	s_or_b32 exec_lo, exec_lo, s18
.LBB300_242:                            ;   in Loop: Header=BB300_10 Depth=1
	s_or_b32 exec_lo, exec_lo, s17
	v_mov_b32_e32 v0, 0
	v_lshrrev_b16 v4, 8, v4
	s_mov_b32 s17, exec_lo
	buffer_store_dword v0, off, s[0:3], s32 offset:236 ; 4-byte Folded Spill
	v_mov_b32_e32 v0, 0
	buffer_store_dword v0, off, s[0:3], s32 offset:240 ; 4-byte Folded Spill
	v_cmpx_ne_u16_e32 0, v4
	s_cbranch_execz .LBB300_250
; %bb.243:                              ;   in Loop: Header=BB300_10 Depth=1
	v_bfrev_b32_e32 v0, 1
	s_mov_b32 s18, exec_lo
	buffer_store_dword v0, off, s[0:3], s32 offset:240 ; 4-byte Folded Spill
	v_cmpx_ne_u16_e32 0x80, v4
	s_cbranch_execz .LBB300_249
; %bb.244:                              ;   in Loop: Header=BB300_10 Depth=1
	v_mov_b32_e32 v0, 0x7f
	s_mov_b32 s19, exec_lo
	v_and_b32_sdwa v2, v4, v0 dst_sel:DWORD dst_unused:UNUSED_PAD src0_sel:WORD_0 src1_sel:DWORD
	v_mov_b32_e32 v0, 0x7c010000
	buffer_store_dword v0, off, s[0:3], s32 offset:240 ; 4-byte Folded Spill
	v_cmpx_ne_u32_e32 0x7f, v2
	s_cbranch_execz .LBB300_248
; %bb.245:                              ;   in Loop: Header=BB300_10 Depth=1
	v_mov_b32_e32 v0, 7
	v_lshrrev_b32_e32 v1, 3, v2
	s_mov_b32 s20, exec_lo
	v_and_b32_sdwa v0, v4, v0 dst_sel:DWORD dst_unused:UNUSED_PAD src0_sel:WORD_0 src1_sel:DWORD
	v_cmpx_gt_u32_e32 8, v2
; %bb.246:                              ;   in Loop: Header=BB300_10 Depth=1
	v_ffbh_u32_e32 v0, v0
	v_min_u32_e32 v2, 32, v0
	v_subrev_nc_u32_e32 v0, 28, v2
	v_lshlrev_b64 v[0:1], v0, v[4:5]
	v_sub_nc_u32_e32 v1, 29, v2
	v_and_b32_e32 v0, 7, v0
; %bb.247:                              ;   in Loop: Header=BB300_10 Depth=1
	s_or_b32 exec_lo, exec_lo, s20
	v_mov_b32_e32 v2, 8
	v_lshl_add_u32 v1, v1, 10, 0x2000
	v_lshlrev_b32_e32 v0, 23, v0
	v_lshlrev_b32_sdwa v2, v2, v4 dst_sel:DWORD dst_unused:UNUSED_PAD src0_sel:DWORD src1_sel:WORD_0
	v_and_or_b32 v1, 0x8000, v2, v1
	v_lshl_or_b32 v0, v1, 16, v0
	buffer_store_dword v0, off, s[0:3], s32 offset:240 ; 4-byte Folded Spill
.LBB300_248:                            ;   in Loop: Header=BB300_10 Depth=1
	s_or_b32 exec_lo, exec_lo, s19
.LBB300_249:                            ;   in Loop: Header=BB300_10 Depth=1
	s_or_b32 exec_lo, exec_lo, s18
.LBB300_250:                            ;   in Loop: Header=BB300_10 Depth=1
	s_or_b32 exec_lo, exec_lo, s17
	v_lshrrev_b32_e32 v4, 16, v25
	v_cmp_ne_u16_sdwa s5, v4, v5 src0_sel:BYTE_0 src1_sel:DWORD
	s_and_saveexec_b32 s17, s5
	s_cbranch_execz .LBB300_258
; %bb.251:                              ;   in Loop: Header=BB300_10 Depth=1
	v_cmp_ne_u16_sdwa s5, v4, v111 src0_sel:BYTE_0 src1_sel:DWORD
	v_mov_b32_e32 v0, 0x8000
	buffer_store_dword v0, off, s[0:3], s32 offset:236 ; 4-byte Folded Spill
	s_and_saveexec_b32 s18, s5
	s_cbranch_execz .LBB300_257
; %bb.252:                              ;   in Loop: Header=BB300_10 Depth=1
	v_bfe_u32 v2, v25, 16, 7
	v_mov_b32_e32 v0, 0x7c01
	s_mov_b32 s19, exec_lo
	buffer_store_dword v0, off, s[0:3], s32 offset:236 ; 4-byte Folded Spill
	v_cmpx_ne_u32_e32 0x7f, v2
	s_cbranch_execz .LBB300_256
; %bb.253:                              ;   in Loop: Header=BB300_10 Depth=1
	v_and_b32_e32 v0, 7, v4
	v_lshrrev_b32_e32 v1, 3, v2
	s_mov_b32 s20, exec_lo
	v_cmpx_gt_u32_e32 8, v2
; %bb.254:                              ;   in Loop: Header=BB300_10 Depth=1
	v_ffbh_u32_e32 v0, v0
	v_min_u32_e32 v2, 32, v0
	v_subrev_nc_u32_e32 v0, 28, v2
	v_lshlrev_b64 v[0:1], v0, v[4:5]
	v_sub_nc_u32_e32 v1, 29, v2
	v_and_b32_e32 v0, 7, v0
; %bb.255:                              ;   in Loop: Header=BB300_10 Depth=1
	s_or_b32 exec_lo, exec_lo, s20
	v_lshlrev_b32_e32 v2, 8, v4
	v_lshl_add_u32 v1, v1, 10, 0x2000
	v_lshlrev_b32_e32 v0, 7, v0
	v_and_b32_e32 v2, 0x8000, v2
	v_and_b32_e32 v1, 0xfc00, v1
	v_or3_b32 v0, v2, v1, v0
	buffer_store_dword v0, off, s[0:3], s32 offset:236 ; 4-byte Folded Spill
.LBB300_256:                            ;   in Loop: Header=BB300_10 Depth=1
	s_or_b32 exec_lo, exec_lo, s19
.LBB300_257:                            ;   in Loop: Header=BB300_10 Depth=1
	s_or_b32 exec_lo, exec_lo, s18
.LBB300_258:                            ;   in Loop: Header=BB300_10 Depth=1
	s_or_b32 exec_lo, exec_lo, s17
	v_mov_b32_e32 v0, 0
	s_mov_b32 s17, exec_lo
	buffer_store_dword v0, off, s[0:3], s32 offset:244 ; 4-byte Folded Spill
	v_mov_b32_e32 v0, 0
	buffer_store_dword v0, off, s[0:3], s32 offset:492 ; 4-byte Folded Spill
	v_cmpx_lt_u64_e64 s[6:7], v[24:25]
	s_cbranch_execz .LBB300_266
; %bb.259:                              ;   in Loop: Header=BB300_10 Depth=1
	v_lshrrev_b32_e32 v4, 24, v25
	v_bfrev_b32_e32 v0, 1
	s_mov_b32 s18, exec_lo
	v_cmpx_ne_u32_e32 0x80, v4
	s_cbranch_execz .LBB300_265
; %bb.260:                              ;   in Loop: Header=BB300_10 Depth=1
	v_and_b32_e32 v2, 0x7f, v4
	v_mov_b32_e32 v0, 0x7c010000
	s_mov_b32 s19, exec_lo
	v_cmpx_ne_u32_e32 0x7f, v2
	s_cbranch_execz .LBB300_264
; %bb.261:                              ;   in Loop: Header=BB300_10 Depth=1
	v_and_b32_e32 v0, 7, v4
	v_lshrrev_b32_e32 v1, 3, v2
	s_mov_b32 s20, exec_lo
	v_cmpx_gt_u32_e32 8, v2
; %bb.262:                              ;   in Loop: Header=BB300_10 Depth=1
	v_ffbh_u32_e32 v0, v0
	v_min_u32_e32 v2, 32, v0
	v_subrev_nc_u32_e32 v0, 28, v2
	v_lshlrev_b64 v[0:1], v0, v[4:5]
	v_sub_nc_u32_e32 v1, 29, v2
	v_and_b32_e32 v0, 7, v0
; %bb.263:                              ;   in Loop: Header=BB300_10 Depth=1
	s_or_b32 exec_lo, exec_lo, s20
	v_lshlrev_b32_e32 v2, 8, v4
	v_lshl_add_u32 v1, v1, 10, 0x2000
	v_lshlrev_b32_e32 v0, 23, v0
	v_and_or_b32 v1, 0x8000, v2, v1
	v_lshl_or_b32 v0, v1, 16, v0
.LBB300_264:                            ;   in Loop: Header=BB300_10 Depth=1
	s_or_b32 exec_lo, exec_lo, s19
.LBB300_265:                            ;   in Loop: Header=BB300_10 Depth=1
	s_or_b32 exec_lo, exec_lo, s18
	buffer_store_dword v0, off, s[0:3], s32 offset:492 ; 4-byte Folded Spill
.LBB300_266:                            ;   in Loop: Header=BB300_10 Depth=1
	s_or_b32 exec_lo, exec_lo, s17
	flat_load_dwordx2 v[24:25], v[16:17] offset:1024
	s_waitcnt vmcnt(0) lgkmcnt(0)
	v_cmp_ne_u16_sdwa s5, v24, v5 src0_sel:BYTE_0 src1_sel:DWORD
	s_and_saveexec_b32 s17, s5
	s_cbranch_execz .LBB300_274
; %bb.267:                              ;   in Loop: Header=BB300_10 Depth=1
	v_cmp_ne_u16_sdwa s5, v24, v111 src0_sel:BYTE_0 src1_sel:DWORD
	v_mov_b32_e32 v0, 0x8000
	buffer_store_dword v0, off, s[0:3], s32 offset:244 ; 4-byte Folded Spill
	s_and_saveexec_b32 s18, s5
	s_cbranch_execz .LBB300_273
; %bb.268:                              ;   in Loop: Header=BB300_10 Depth=1
	v_and_b32_e32 v2, 0x7f, v24
	v_mov_b32_e32 v0, 0x7c01
	s_mov_b32 s19, exec_lo
	buffer_store_dword v0, off, s[0:3], s32 offset:244 ; 4-byte Folded Spill
	v_cmpx_ne_u32_e32 0x7f, v2
	s_cbranch_execz .LBB300_272
; %bb.269:                              ;   in Loop: Header=BB300_10 Depth=1
	v_and_b32_e32 v0, 7, v24
	v_lshrrev_b32_e32 v1, 3, v2
	s_mov_b32 s20, exec_lo
	v_cmpx_gt_u32_e32 8, v2
; %bb.270:                              ;   in Loop: Header=BB300_10 Depth=1
	v_ffbh_u32_e32 v0, v0
	v_min_u32_e32 v2, 32, v0
	v_subrev_nc_u32_e32 v0, 28, v2
	v_lshlrev_b64 v[0:1], v0, v[24:25]
	v_sub_nc_u32_e32 v1, 29, v2
	v_and_b32_e32 v0, 7, v0
; %bb.271:                              ;   in Loop: Header=BB300_10 Depth=1
	s_or_b32 exec_lo, exec_lo, s20
	v_lshlrev_b32_e32 v2, 8, v24
	v_lshl_add_u32 v1, v1, 10, 0x2000
	v_lshlrev_b32_e32 v0, 7, v0
	v_and_b32_e32 v2, 0x8000, v2
	v_and_b32_e32 v1, 0xfc00, v1
	v_or3_b32 v0, v2, v1, v0
	buffer_store_dword v0, off, s[0:3], s32 offset:244 ; 4-byte Folded Spill
.LBB300_272:                            ;   in Loop: Header=BB300_10 Depth=1
	s_or_b32 exec_lo, exec_lo, s19
.LBB300_273:                            ;   in Loop: Header=BB300_10 Depth=1
	s_or_b32 exec_lo, exec_lo, s18
.LBB300_274:                            ;   in Loop: Header=BB300_10 Depth=1
	s_or_b32 exec_lo, exec_lo, s17
	v_mov_b32_e32 v0, 0
	v_lshrrev_b16 v4, 8, v24
	s_mov_b32 s17, exec_lo
	buffer_store_dword v0, off, s[0:3], s32 offset:252 ; 4-byte Folded Spill
	v_mov_b32_e32 v0, 0
	buffer_store_dword v0, off, s[0:3], s32 offset:248 ; 4-byte Folded Spill
	v_cmpx_ne_u16_e32 0, v4
	s_cbranch_execz .LBB300_282
; %bb.275:                              ;   in Loop: Header=BB300_10 Depth=1
	v_bfrev_b32_e32 v0, 1
	s_mov_b32 s18, exec_lo
	buffer_store_dword v0, off, s[0:3], s32 offset:248 ; 4-byte Folded Spill
	v_cmpx_ne_u16_e32 0x80, v4
	s_cbranch_execz .LBB300_281
; %bb.276:                              ;   in Loop: Header=BB300_10 Depth=1
	v_mov_b32_e32 v0, 0x7f
	s_mov_b32 s19, exec_lo
	v_and_b32_sdwa v2, v4, v0 dst_sel:DWORD dst_unused:UNUSED_PAD src0_sel:WORD_0 src1_sel:DWORD
	v_mov_b32_e32 v0, 0x7c010000
	buffer_store_dword v0, off, s[0:3], s32 offset:248 ; 4-byte Folded Spill
	v_cmpx_ne_u32_e32 0x7f, v2
	s_cbranch_execz .LBB300_280
; %bb.277:                              ;   in Loop: Header=BB300_10 Depth=1
	v_mov_b32_e32 v0, 7
	v_lshrrev_b32_e32 v1, 3, v2
	s_mov_b32 s20, exec_lo
	v_and_b32_sdwa v0, v4, v0 dst_sel:DWORD dst_unused:UNUSED_PAD src0_sel:WORD_0 src1_sel:DWORD
	v_cmpx_gt_u32_e32 8, v2
; %bb.278:                              ;   in Loop: Header=BB300_10 Depth=1
	v_ffbh_u32_e32 v0, v0
	v_min_u32_e32 v2, 32, v0
	v_subrev_nc_u32_e32 v0, 28, v2
	v_lshlrev_b64 v[0:1], v0, v[4:5]
	v_sub_nc_u32_e32 v1, 29, v2
	v_and_b32_e32 v0, 7, v0
; %bb.279:                              ;   in Loop: Header=BB300_10 Depth=1
	s_or_b32 exec_lo, exec_lo, s20
	v_mov_b32_e32 v2, 8
	v_lshl_add_u32 v1, v1, 10, 0x2000
	v_lshlrev_b32_e32 v0, 23, v0
	v_lshlrev_b32_sdwa v2, v2, v4 dst_sel:DWORD dst_unused:UNUSED_PAD src0_sel:DWORD src1_sel:WORD_0
	v_and_or_b32 v1, 0x8000, v2, v1
	v_lshl_or_b32 v0, v1, 16, v0
	buffer_store_dword v0, off, s[0:3], s32 offset:248 ; 4-byte Folded Spill
.LBB300_280:                            ;   in Loop: Header=BB300_10 Depth=1
	s_or_b32 exec_lo, exec_lo, s19
.LBB300_281:                            ;   in Loop: Header=BB300_10 Depth=1
	s_or_b32 exec_lo, exec_lo, s18
.LBB300_282:                            ;   in Loop: Header=BB300_10 Depth=1
	s_or_b32 exec_lo, exec_lo, s17
	v_lshrrev_b32_e32 v4, 16, v24
	v_cmp_ne_u16_sdwa s5, v4, v5 src0_sel:BYTE_0 src1_sel:DWORD
	s_and_saveexec_b32 s17, s5
	s_cbranch_execz .LBB300_290
; %bb.283:                              ;   in Loop: Header=BB300_10 Depth=1
	v_cmp_ne_u16_sdwa s5, v4, v111 src0_sel:BYTE_0 src1_sel:DWORD
	v_mov_b32_e32 v0, 0x8000
	buffer_store_dword v0, off, s[0:3], s32 offset:252 ; 4-byte Folded Spill
	s_and_saveexec_b32 s18, s5
	s_cbranch_execz .LBB300_289
; %bb.284:                              ;   in Loop: Header=BB300_10 Depth=1
	v_bfe_u32 v2, v24, 16, 7
	v_mov_b32_e32 v0, 0x7c01
	s_mov_b32 s19, exec_lo
	buffer_store_dword v0, off, s[0:3], s32 offset:252 ; 4-byte Folded Spill
	v_cmpx_ne_u32_e32 0x7f, v2
	s_cbranch_execz .LBB300_288
; %bb.285:                              ;   in Loop: Header=BB300_10 Depth=1
	v_and_b32_e32 v0, 7, v4
	v_lshrrev_b32_e32 v1, 3, v2
	s_mov_b32 s20, exec_lo
	v_cmpx_gt_u32_e32 8, v2
; %bb.286:                              ;   in Loop: Header=BB300_10 Depth=1
	v_ffbh_u32_e32 v0, v0
	v_min_u32_e32 v2, 32, v0
	v_subrev_nc_u32_e32 v0, 28, v2
	v_lshlrev_b64 v[0:1], v0, v[4:5]
	v_sub_nc_u32_e32 v1, 29, v2
	v_and_b32_e32 v0, 7, v0
; %bb.287:                              ;   in Loop: Header=BB300_10 Depth=1
	s_or_b32 exec_lo, exec_lo, s20
	v_lshlrev_b32_e32 v2, 8, v4
	v_lshl_add_u32 v1, v1, 10, 0x2000
	v_lshlrev_b32_e32 v0, 7, v0
	v_and_b32_e32 v2, 0x8000, v2
	v_and_b32_e32 v1, 0xfc00, v1
	v_or3_b32 v0, v2, v1, v0
	buffer_store_dword v0, off, s[0:3], s32 offset:252 ; 4-byte Folded Spill
.LBB300_288:                            ;   in Loop: Header=BB300_10 Depth=1
	s_or_b32 exec_lo, exec_lo, s19
.LBB300_289:                            ;   in Loop: Header=BB300_10 Depth=1
	s_or_b32 exec_lo, exec_lo, s18
.LBB300_290:                            ;   in Loop: Header=BB300_10 Depth=1
	s_or_b32 exec_lo, exec_lo, s17
	v_mov_b32_e32 v0, 0
	s_mov_b32 s17, exec_lo
	buffer_store_dword v0, off, s[0:3], s32 offset:256 ; 4-byte Folded Spill
	v_mov_b32_e32 v0, 0
	buffer_store_dword v0, off, s[0:3], s32 offset:260 ; 4-byte Folded Spill
	v_cmpx_lt_u32_e32 0xffffff, v24
	s_cbranch_execz .LBB300_298
; %bb.291:                              ;   in Loop: Header=BB300_10 Depth=1
	v_lshrrev_b32_e32 v4, 24, v24
	v_bfrev_b32_e32 v0, 1
	s_mov_b32 s18, exec_lo
	buffer_store_dword v0, off, s[0:3], s32 offset:260 ; 4-byte Folded Spill
	v_cmpx_ne_u32_e32 0x80, v4
	s_cbranch_execz .LBB300_297
; %bb.292:                              ;   in Loop: Header=BB300_10 Depth=1
	v_and_b32_e32 v2, 0x7f, v4
	v_mov_b32_e32 v0, 0x7c010000
	s_mov_b32 s19, exec_lo
	buffer_store_dword v0, off, s[0:3], s32 offset:260 ; 4-byte Folded Spill
	v_cmpx_ne_u32_e32 0x7f, v2
	s_cbranch_execz .LBB300_296
; %bb.293:                              ;   in Loop: Header=BB300_10 Depth=1
	v_and_b32_e32 v0, 7, v4
	v_lshrrev_b32_e32 v1, 3, v2
	s_mov_b32 s20, exec_lo
	v_cmpx_gt_u32_e32 8, v2
; %bb.294:                              ;   in Loop: Header=BB300_10 Depth=1
	v_ffbh_u32_e32 v0, v0
	v_min_u32_e32 v2, 32, v0
	v_subrev_nc_u32_e32 v0, 28, v2
	v_lshlrev_b64 v[0:1], v0, v[4:5]
	v_sub_nc_u32_e32 v1, 29, v2
	v_and_b32_e32 v0, 7, v0
; %bb.295:                              ;   in Loop: Header=BB300_10 Depth=1
	s_or_b32 exec_lo, exec_lo, s20
	v_lshlrev_b32_e32 v2, 8, v4
	v_lshl_add_u32 v1, v1, 10, 0x2000
	v_lshlrev_b32_e32 v0, 23, v0
	v_and_or_b32 v1, 0x8000, v2, v1
	v_lshl_or_b32 v0, v1, 16, v0
	buffer_store_dword v0, off, s[0:3], s32 offset:260 ; 4-byte Folded Spill
.LBB300_296:                            ;   in Loop: Header=BB300_10 Depth=1
	s_or_b32 exec_lo, exec_lo, s19
.LBB300_297:                            ;   in Loop: Header=BB300_10 Depth=1
	s_or_b32 exec_lo, exec_lo, s18
.LBB300_298:                            ;   in Loop: Header=BB300_10 Depth=1
	s_or_b32 exec_lo, exec_lo, s17
	v_mov_b32_e32 v4, v25
	v_cmp_ne_u16_sdwa s5, v25, v5 src0_sel:BYTE_0 src1_sel:DWORD
	s_and_saveexec_b32 s17, s5
	s_cbranch_execz .LBB300_306
; %bb.299:                              ;   in Loop: Header=BB300_10 Depth=1
	v_cmp_ne_u16_sdwa s5, v25, v111 src0_sel:BYTE_0 src1_sel:DWORD
	v_mov_b32_e32 v0, 0x8000
	buffer_store_dword v0, off, s[0:3], s32 offset:256 ; 4-byte Folded Spill
	s_and_saveexec_b32 s18, s5
	s_cbranch_execz .LBB300_305
; %bb.300:                              ;   in Loop: Header=BB300_10 Depth=1
	v_and_b32_e32 v2, 0x7f, v25
	v_mov_b32_e32 v0, 0x7c01
	s_mov_b32 s19, exec_lo
	buffer_store_dword v0, off, s[0:3], s32 offset:256 ; 4-byte Folded Spill
	v_cmpx_ne_u32_e32 0x7f, v2
	s_cbranch_execz .LBB300_304
; %bb.301:                              ;   in Loop: Header=BB300_10 Depth=1
	v_and_b32_e32 v0, 7, v25
	v_lshrrev_b32_e32 v1, 3, v2
	s_mov_b32 s20, exec_lo
	v_cmpx_gt_u32_e32 8, v2
; %bb.302:                              ;   in Loop: Header=BB300_10 Depth=1
	v_ffbh_u32_e32 v0, v0
	v_min_u32_e32 v2, 32, v0
	v_subrev_nc_u32_e32 v0, 28, v2
	v_lshlrev_b64 v[0:1], v0, v[4:5]
	v_sub_nc_u32_e32 v1, 29, v2
	v_and_b32_e32 v0, 7, v0
; %bb.303:                              ;   in Loop: Header=BB300_10 Depth=1
	s_or_b32 exec_lo, exec_lo, s20
	v_lshlrev_b32_e32 v2, 8, v25
	v_lshl_add_u32 v1, v1, 10, 0x2000
	v_lshlrev_b32_e32 v0, 7, v0
	v_and_b32_e32 v2, 0x8000, v2
	v_and_b32_e32 v1, 0xfc00, v1
	v_or3_b32 v0, v2, v1, v0
	buffer_store_dword v0, off, s[0:3], s32 offset:256 ; 4-byte Folded Spill
.LBB300_304:                            ;   in Loop: Header=BB300_10 Depth=1
	s_or_b32 exec_lo, exec_lo, s19
.LBB300_305:                            ;   in Loop: Header=BB300_10 Depth=1
	s_or_b32 exec_lo, exec_lo, s18
.LBB300_306:                            ;   in Loop: Header=BB300_10 Depth=1
	s_or_b32 exec_lo, exec_lo, s17
	v_mov_b32_e32 v0, 0
	v_lshrrev_b16 v4, 8, v4
	s_mov_b32 s17, exec_lo
	buffer_store_dword v0, off, s[0:3], s32 offset:264 ; 4-byte Folded Spill
	v_mov_b32_e32 v0, 0
	buffer_store_dword v0, off, s[0:3], s32 offset:268 ; 4-byte Folded Spill
	v_cmpx_ne_u16_e32 0, v4
	s_cbranch_execz .LBB300_314
; %bb.307:                              ;   in Loop: Header=BB300_10 Depth=1
	v_bfrev_b32_e32 v0, 1
	s_mov_b32 s18, exec_lo
	buffer_store_dword v0, off, s[0:3], s32 offset:268 ; 4-byte Folded Spill
	v_cmpx_ne_u16_e32 0x80, v4
	s_cbranch_execz .LBB300_313
; %bb.308:                              ;   in Loop: Header=BB300_10 Depth=1
	v_mov_b32_e32 v0, 0x7f
	s_mov_b32 s19, exec_lo
	v_and_b32_sdwa v2, v4, v0 dst_sel:DWORD dst_unused:UNUSED_PAD src0_sel:WORD_0 src1_sel:DWORD
	v_mov_b32_e32 v0, 0x7c010000
	buffer_store_dword v0, off, s[0:3], s32 offset:268 ; 4-byte Folded Spill
	v_cmpx_ne_u32_e32 0x7f, v2
	s_cbranch_execz .LBB300_312
; %bb.309:                              ;   in Loop: Header=BB300_10 Depth=1
	v_mov_b32_e32 v0, 7
	v_lshrrev_b32_e32 v1, 3, v2
	s_mov_b32 s20, exec_lo
	v_and_b32_sdwa v0, v4, v0 dst_sel:DWORD dst_unused:UNUSED_PAD src0_sel:WORD_0 src1_sel:DWORD
	v_cmpx_gt_u32_e32 8, v2
; %bb.310:                              ;   in Loop: Header=BB300_10 Depth=1
	v_ffbh_u32_e32 v0, v0
	v_min_u32_e32 v2, 32, v0
	v_subrev_nc_u32_e32 v0, 28, v2
	v_lshlrev_b64 v[0:1], v0, v[4:5]
	v_sub_nc_u32_e32 v1, 29, v2
	v_and_b32_e32 v0, 7, v0
; %bb.311:                              ;   in Loop: Header=BB300_10 Depth=1
	s_or_b32 exec_lo, exec_lo, s20
	v_mov_b32_e32 v2, 8
	v_lshl_add_u32 v1, v1, 10, 0x2000
	v_lshlrev_b32_e32 v0, 23, v0
	v_lshlrev_b32_sdwa v2, v2, v4 dst_sel:DWORD dst_unused:UNUSED_PAD src0_sel:DWORD src1_sel:WORD_0
	v_and_or_b32 v1, 0x8000, v2, v1
	v_lshl_or_b32 v0, v1, 16, v0
	buffer_store_dword v0, off, s[0:3], s32 offset:268 ; 4-byte Folded Spill
.LBB300_312:                            ;   in Loop: Header=BB300_10 Depth=1
	s_or_b32 exec_lo, exec_lo, s19
.LBB300_313:                            ;   in Loop: Header=BB300_10 Depth=1
	s_or_b32 exec_lo, exec_lo, s18
.LBB300_314:                            ;   in Loop: Header=BB300_10 Depth=1
	s_or_b32 exec_lo, exec_lo, s17
	v_lshrrev_b32_e32 v4, 16, v25
	v_cmp_ne_u16_sdwa s5, v4, v5 src0_sel:BYTE_0 src1_sel:DWORD
	s_and_saveexec_b32 s17, s5
	s_cbranch_execz .LBB300_322
; %bb.315:                              ;   in Loop: Header=BB300_10 Depth=1
	v_cmp_ne_u16_sdwa s5, v4, v111 src0_sel:BYTE_0 src1_sel:DWORD
	v_mov_b32_e32 v0, 0x8000
	buffer_store_dword v0, off, s[0:3], s32 offset:264 ; 4-byte Folded Spill
	s_and_saveexec_b32 s18, s5
	s_cbranch_execz .LBB300_321
; %bb.316:                              ;   in Loop: Header=BB300_10 Depth=1
	v_bfe_u32 v2, v25, 16, 7
	v_mov_b32_e32 v0, 0x7c01
	s_mov_b32 s19, exec_lo
	buffer_store_dword v0, off, s[0:3], s32 offset:264 ; 4-byte Folded Spill
	v_cmpx_ne_u32_e32 0x7f, v2
	s_cbranch_execz .LBB300_320
; %bb.317:                              ;   in Loop: Header=BB300_10 Depth=1
	v_and_b32_e32 v0, 7, v4
	v_lshrrev_b32_e32 v1, 3, v2
	s_mov_b32 s20, exec_lo
	v_cmpx_gt_u32_e32 8, v2
; %bb.318:                              ;   in Loop: Header=BB300_10 Depth=1
	v_ffbh_u32_e32 v0, v0
	v_min_u32_e32 v2, 32, v0
	v_subrev_nc_u32_e32 v0, 28, v2
	v_lshlrev_b64 v[0:1], v0, v[4:5]
	v_sub_nc_u32_e32 v1, 29, v2
	v_and_b32_e32 v0, 7, v0
; %bb.319:                              ;   in Loop: Header=BB300_10 Depth=1
	s_or_b32 exec_lo, exec_lo, s20
	v_lshlrev_b32_e32 v2, 8, v4
	v_lshl_add_u32 v1, v1, 10, 0x2000
	v_lshlrev_b32_e32 v0, 7, v0
	v_and_b32_e32 v2, 0x8000, v2
	v_and_b32_e32 v1, 0xfc00, v1
	v_or3_b32 v0, v2, v1, v0
	buffer_store_dword v0, off, s[0:3], s32 offset:264 ; 4-byte Folded Spill
.LBB300_320:                            ;   in Loop: Header=BB300_10 Depth=1
	s_or_b32 exec_lo, exec_lo, s19
.LBB300_321:                            ;   in Loop: Header=BB300_10 Depth=1
	s_or_b32 exec_lo, exec_lo, s18
.LBB300_322:                            ;   in Loop: Header=BB300_10 Depth=1
	s_or_b32 exec_lo, exec_lo, s17
	v_mov_b32_e32 v0, 0
	s_mov_b32 s17, exec_lo
	buffer_store_dword v0, off, s[0:3], s32 offset:272 ; 4-byte Folded Spill
	v_mov_b32_e32 v0, 0
	buffer_store_dword v0, off, s[0:3], s32 offset:496 ; 4-byte Folded Spill
	v_cmpx_lt_u64_e64 s[6:7], v[24:25]
	s_cbranch_execz .LBB300_330
; %bb.323:                              ;   in Loop: Header=BB300_10 Depth=1
	v_lshrrev_b32_e32 v4, 24, v25
	v_bfrev_b32_e32 v0, 1
	s_mov_b32 s18, exec_lo
	v_cmpx_ne_u32_e32 0x80, v4
	s_cbranch_execz .LBB300_329
; %bb.324:                              ;   in Loop: Header=BB300_10 Depth=1
	v_and_b32_e32 v2, 0x7f, v4
	v_mov_b32_e32 v0, 0x7c010000
	s_mov_b32 s19, exec_lo
	v_cmpx_ne_u32_e32 0x7f, v2
	s_cbranch_execz .LBB300_328
; %bb.325:                              ;   in Loop: Header=BB300_10 Depth=1
	v_and_b32_e32 v0, 7, v4
	v_lshrrev_b32_e32 v1, 3, v2
	s_mov_b32 s20, exec_lo
	v_cmpx_gt_u32_e32 8, v2
; %bb.326:                              ;   in Loop: Header=BB300_10 Depth=1
	v_ffbh_u32_e32 v0, v0
	v_min_u32_e32 v2, 32, v0
	v_subrev_nc_u32_e32 v0, 28, v2
	v_lshlrev_b64 v[0:1], v0, v[4:5]
	v_sub_nc_u32_e32 v1, 29, v2
	v_and_b32_e32 v0, 7, v0
; %bb.327:                              ;   in Loop: Header=BB300_10 Depth=1
	s_or_b32 exec_lo, exec_lo, s20
	v_lshlrev_b32_e32 v2, 8, v4
	v_lshl_add_u32 v1, v1, 10, 0x2000
	v_lshlrev_b32_e32 v0, 23, v0
	v_and_or_b32 v1, 0x8000, v2, v1
	v_lshl_or_b32 v0, v1, 16, v0
.LBB300_328:                            ;   in Loop: Header=BB300_10 Depth=1
	s_or_b32 exec_lo, exec_lo, s19
.LBB300_329:                            ;   in Loop: Header=BB300_10 Depth=1
	s_or_b32 exec_lo, exec_lo, s18
	buffer_store_dword v0, off, s[0:3], s32 offset:496 ; 4-byte Folded Spill
.LBB300_330:                            ;   in Loop: Header=BB300_10 Depth=1
	s_or_b32 exec_lo, exec_lo, s17
	flat_load_dwordx2 v[24:25], v[16:17] offset:1032
	s_waitcnt vmcnt(0) lgkmcnt(0)
	v_cmp_ne_u16_sdwa s5, v24, v5 src0_sel:BYTE_0 src1_sel:DWORD
	s_and_saveexec_b32 s17, s5
	s_cbranch_execz .LBB300_338
; %bb.331:                              ;   in Loop: Header=BB300_10 Depth=1
	v_cmp_ne_u16_sdwa s5, v24, v111 src0_sel:BYTE_0 src1_sel:DWORD
	v_mov_b32_e32 v0, 0x8000
	buffer_store_dword v0, off, s[0:3], s32 offset:272 ; 4-byte Folded Spill
	s_and_saveexec_b32 s18, s5
	s_cbranch_execz .LBB300_337
; %bb.332:                              ;   in Loop: Header=BB300_10 Depth=1
	v_and_b32_e32 v2, 0x7f, v24
	v_mov_b32_e32 v0, 0x7c01
	s_mov_b32 s19, exec_lo
	buffer_store_dword v0, off, s[0:3], s32 offset:272 ; 4-byte Folded Spill
	v_cmpx_ne_u32_e32 0x7f, v2
	s_cbranch_execz .LBB300_336
; %bb.333:                              ;   in Loop: Header=BB300_10 Depth=1
	v_and_b32_e32 v0, 7, v24
	v_lshrrev_b32_e32 v1, 3, v2
	s_mov_b32 s20, exec_lo
	v_cmpx_gt_u32_e32 8, v2
; %bb.334:                              ;   in Loop: Header=BB300_10 Depth=1
	v_ffbh_u32_e32 v0, v0
	v_min_u32_e32 v2, 32, v0
	v_subrev_nc_u32_e32 v0, 28, v2
	v_lshlrev_b64 v[0:1], v0, v[24:25]
	v_sub_nc_u32_e32 v1, 29, v2
	v_and_b32_e32 v0, 7, v0
; %bb.335:                              ;   in Loop: Header=BB300_10 Depth=1
	s_or_b32 exec_lo, exec_lo, s20
	v_lshlrev_b32_e32 v2, 8, v24
	v_lshl_add_u32 v1, v1, 10, 0x2000
	v_lshlrev_b32_e32 v0, 7, v0
	v_and_b32_e32 v2, 0x8000, v2
	v_and_b32_e32 v1, 0xfc00, v1
	v_or3_b32 v0, v2, v1, v0
	buffer_store_dword v0, off, s[0:3], s32 offset:272 ; 4-byte Folded Spill
.LBB300_336:                            ;   in Loop: Header=BB300_10 Depth=1
	s_or_b32 exec_lo, exec_lo, s19
.LBB300_337:                            ;   in Loop: Header=BB300_10 Depth=1
	s_or_b32 exec_lo, exec_lo, s18
.LBB300_338:                            ;   in Loop: Header=BB300_10 Depth=1
	s_or_b32 exec_lo, exec_lo, s17
	v_mov_b32_e32 v0, 0
	v_lshrrev_b16 v4, 8, v24
	s_mov_b32 s17, exec_lo
	buffer_store_dword v0, off, s[0:3], s32 offset:280 ; 4-byte Folded Spill
	v_mov_b32_e32 v0, 0
	buffer_store_dword v0, off, s[0:3], s32 offset:276 ; 4-byte Folded Spill
	v_cmpx_ne_u16_e32 0, v4
	s_cbranch_execz .LBB300_346
; %bb.339:                              ;   in Loop: Header=BB300_10 Depth=1
	v_bfrev_b32_e32 v0, 1
	s_mov_b32 s18, exec_lo
	buffer_store_dword v0, off, s[0:3], s32 offset:276 ; 4-byte Folded Spill
	v_cmpx_ne_u16_e32 0x80, v4
	s_cbranch_execz .LBB300_345
; %bb.340:                              ;   in Loop: Header=BB300_10 Depth=1
	v_mov_b32_e32 v0, 0x7f
	s_mov_b32 s19, exec_lo
	v_and_b32_sdwa v2, v4, v0 dst_sel:DWORD dst_unused:UNUSED_PAD src0_sel:WORD_0 src1_sel:DWORD
	v_mov_b32_e32 v0, 0x7c010000
	buffer_store_dword v0, off, s[0:3], s32 offset:276 ; 4-byte Folded Spill
	v_cmpx_ne_u32_e32 0x7f, v2
	s_cbranch_execz .LBB300_344
; %bb.341:                              ;   in Loop: Header=BB300_10 Depth=1
	v_mov_b32_e32 v0, 7
	v_lshrrev_b32_e32 v1, 3, v2
	s_mov_b32 s20, exec_lo
	v_and_b32_sdwa v0, v4, v0 dst_sel:DWORD dst_unused:UNUSED_PAD src0_sel:WORD_0 src1_sel:DWORD
	v_cmpx_gt_u32_e32 8, v2
; %bb.342:                              ;   in Loop: Header=BB300_10 Depth=1
	v_ffbh_u32_e32 v0, v0
	v_min_u32_e32 v2, 32, v0
	v_subrev_nc_u32_e32 v0, 28, v2
	v_lshlrev_b64 v[0:1], v0, v[4:5]
	v_sub_nc_u32_e32 v1, 29, v2
	v_and_b32_e32 v0, 7, v0
; %bb.343:                              ;   in Loop: Header=BB300_10 Depth=1
	s_or_b32 exec_lo, exec_lo, s20
	v_mov_b32_e32 v2, 8
	v_lshl_add_u32 v1, v1, 10, 0x2000
	v_lshlrev_b32_e32 v0, 23, v0
	v_lshlrev_b32_sdwa v2, v2, v4 dst_sel:DWORD dst_unused:UNUSED_PAD src0_sel:DWORD src1_sel:WORD_0
	v_and_or_b32 v1, 0x8000, v2, v1
	v_lshl_or_b32 v0, v1, 16, v0
	buffer_store_dword v0, off, s[0:3], s32 offset:276 ; 4-byte Folded Spill
.LBB300_344:                            ;   in Loop: Header=BB300_10 Depth=1
	s_or_b32 exec_lo, exec_lo, s19
.LBB300_345:                            ;   in Loop: Header=BB300_10 Depth=1
	s_or_b32 exec_lo, exec_lo, s18
.LBB300_346:                            ;   in Loop: Header=BB300_10 Depth=1
	s_or_b32 exec_lo, exec_lo, s17
	v_lshrrev_b32_e32 v4, 16, v24
	v_cmp_ne_u16_sdwa s5, v4, v5 src0_sel:BYTE_0 src1_sel:DWORD
	s_and_saveexec_b32 s17, s5
	s_cbranch_execz .LBB300_354
; %bb.347:                              ;   in Loop: Header=BB300_10 Depth=1
	v_cmp_ne_u16_sdwa s5, v4, v111 src0_sel:BYTE_0 src1_sel:DWORD
	v_mov_b32_e32 v0, 0x8000
	buffer_store_dword v0, off, s[0:3], s32 offset:280 ; 4-byte Folded Spill
	s_and_saveexec_b32 s18, s5
	s_cbranch_execz .LBB300_353
; %bb.348:                              ;   in Loop: Header=BB300_10 Depth=1
	v_bfe_u32 v2, v24, 16, 7
	v_mov_b32_e32 v0, 0x7c01
	s_mov_b32 s19, exec_lo
	buffer_store_dword v0, off, s[0:3], s32 offset:280 ; 4-byte Folded Spill
	v_cmpx_ne_u32_e32 0x7f, v2
	s_cbranch_execz .LBB300_352
; %bb.349:                              ;   in Loop: Header=BB300_10 Depth=1
	v_and_b32_e32 v0, 7, v4
	v_lshrrev_b32_e32 v1, 3, v2
	s_mov_b32 s20, exec_lo
	v_cmpx_gt_u32_e32 8, v2
; %bb.350:                              ;   in Loop: Header=BB300_10 Depth=1
	v_ffbh_u32_e32 v0, v0
	v_min_u32_e32 v2, 32, v0
	v_subrev_nc_u32_e32 v0, 28, v2
	v_lshlrev_b64 v[0:1], v0, v[4:5]
	v_sub_nc_u32_e32 v1, 29, v2
	v_and_b32_e32 v0, 7, v0
; %bb.351:                              ;   in Loop: Header=BB300_10 Depth=1
	s_or_b32 exec_lo, exec_lo, s20
	v_lshlrev_b32_e32 v2, 8, v4
	v_lshl_add_u32 v1, v1, 10, 0x2000
	v_lshlrev_b32_e32 v0, 7, v0
	v_and_b32_e32 v2, 0x8000, v2
	v_and_b32_e32 v1, 0xfc00, v1
	v_or3_b32 v0, v2, v1, v0
	buffer_store_dword v0, off, s[0:3], s32 offset:280 ; 4-byte Folded Spill
.LBB300_352:                            ;   in Loop: Header=BB300_10 Depth=1
	s_or_b32 exec_lo, exec_lo, s19
.LBB300_353:                            ;   in Loop: Header=BB300_10 Depth=1
	s_or_b32 exec_lo, exec_lo, s18
.LBB300_354:                            ;   in Loop: Header=BB300_10 Depth=1
	s_or_b32 exec_lo, exec_lo, s17
	v_mov_b32_e32 v0, 0
	s_mov_b32 s17, exec_lo
	buffer_store_dword v0, off, s[0:3], s32 offset:284 ; 4-byte Folded Spill
	v_mov_b32_e32 v0, 0
	buffer_store_dword v0, off, s[0:3], s32 offset:288 ; 4-byte Folded Spill
	v_cmpx_lt_u32_e32 0xffffff, v24
	s_cbranch_execz .LBB300_362
; %bb.355:                              ;   in Loop: Header=BB300_10 Depth=1
	v_lshrrev_b32_e32 v4, 24, v24
	v_bfrev_b32_e32 v0, 1
	s_mov_b32 s18, exec_lo
	buffer_store_dword v0, off, s[0:3], s32 offset:288 ; 4-byte Folded Spill
	v_cmpx_ne_u32_e32 0x80, v4
	s_cbranch_execz .LBB300_361
; %bb.356:                              ;   in Loop: Header=BB300_10 Depth=1
	v_and_b32_e32 v2, 0x7f, v4
	v_mov_b32_e32 v0, 0x7c010000
	s_mov_b32 s19, exec_lo
	buffer_store_dword v0, off, s[0:3], s32 offset:288 ; 4-byte Folded Spill
	v_cmpx_ne_u32_e32 0x7f, v2
	s_cbranch_execz .LBB300_360
; %bb.357:                              ;   in Loop: Header=BB300_10 Depth=1
	v_and_b32_e32 v0, 7, v4
	v_lshrrev_b32_e32 v1, 3, v2
	s_mov_b32 s20, exec_lo
	v_cmpx_gt_u32_e32 8, v2
; %bb.358:                              ;   in Loop: Header=BB300_10 Depth=1
	v_ffbh_u32_e32 v0, v0
	v_min_u32_e32 v2, 32, v0
	v_subrev_nc_u32_e32 v0, 28, v2
	v_lshlrev_b64 v[0:1], v0, v[4:5]
	v_sub_nc_u32_e32 v1, 29, v2
	v_and_b32_e32 v0, 7, v0
; %bb.359:                              ;   in Loop: Header=BB300_10 Depth=1
	s_or_b32 exec_lo, exec_lo, s20
	v_lshlrev_b32_e32 v2, 8, v4
	v_lshl_add_u32 v1, v1, 10, 0x2000
	v_lshlrev_b32_e32 v0, 23, v0
	v_and_or_b32 v1, 0x8000, v2, v1
	v_lshl_or_b32 v0, v1, 16, v0
	buffer_store_dword v0, off, s[0:3], s32 offset:288 ; 4-byte Folded Spill
.LBB300_360:                            ;   in Loop: Header=BB300_10 Depth=1
	s_or_b32 exec_lo, exec_lo, s19
.LBB300_361:                            ;   in Loop: Header=BB300_10 Depth=1
	s_or_b32 exec_lo, exec_lo, s18
.LBB300_362:                            ;   in Loop: Header=BB300_10 Depth=1
	s_or_b32 exec_lo, exec_lo, s17
	v_mov_b32_e32 v4, v25
	v_cmp_ne_u16_sdwa s5, v25, v5 src0_sel:BYTE_0 src1_sel:DWORD
	s_and_saveexec_b32 s17, s5
	s_cbranch_execz .LBB300_370
; %bb.363:                              ;   in Loop: Header=BB300_10 Depth=1
	v_cmp_ne_u16_sdwa s5, v25, v111 src0_sel:BYTE_0 src1_sel:DWORD
	v_mov_b32_e32 v0, 0x8000
	buffer_store_dword v0, off, s[0:3], s32 offset:284 ; 4-byte Folded Spill
	s_and_saveexec_b32 s18, s5
	s_cbranch_execz .LBB300_369
; %bb.364:                              ;   in Loop: Header=BB300_10 Depth=1
	v_and_b32_e32 v2, 0x7f, v25
	v_mov_b32_e32 v0, 0x7c01
	s_mov_b32 s19, exec_lo
	buffer_store_dword v0, off, s[0:3], s32 offset:284 ; 4-byte Folded Spill
	v_cmpx_ne_u32_e32 0x7f, v2
	s_cbranch_execz .LBB300_368
; %bb.365:                              ;   in Loop: Header=BB300_10 Depth=1
	v_and_b32_e32 v0, 7, v25
	v_lshrrev_b32_e32 v1, 3, v2
	s_mov_b32 s20, exec_lo
	v_cmpx_gt_u32_e32 8, v2
; %bb.366:                              ;   in Loop: Header=BB300_10 Depth=1
	v_ffbh_u32_e32 v0, v0
	v_min_u32_e32 v2, 32, v0
	v_subrev_nc_u32_e32 v0, 28, v2
	v_lshlrev_b64 v[0:1], v0, v[4:5]
	v_sub_nc_u32_e32 v1, 29, v2
	v_and_b32_e32 v0, 7, v0
; %bb.367:                              ;   in Loop: Header=BB300_10 Depth=1
	s_or_b32 exec_lo, exec_lo, s20
	v_lshlrev_b32_e32 v2, 8, v25
	v_lshl_add_u32 v1, v1, 10, 0x2000
	v_lshlrev_b32_e32 v0, 7, v0
	v_and_b32_e32 v2, 0x8000, v2
	v_and_b32_e32 v1, 0xfc00, v1
	v_or3_b32 v0, v2, v1, v0
	buffer_store_dword v0, off, s[0:3], s32 offset:284 ; 4-byte Folded Spill
.LBB300_368:                            ;   in Loop: Header=BB300_10 Depth=1
	s_or_b32 exec_lo, exec_lo, s19
.LBB300_369:                            ;   in Loop: Header=BB300_10 Depth=1
	s_or_b32 exec_lo, exec_lo, s18
.LBB300_370:                            ;   in Loop: Header=BB300_10 Depth=1
	s_or_b32 exec_lo, exec_lo, s17
	v_mov_b32_e32 v0, 0
	v_lshrrev_b16 v4, 8, v4
	s_mov_b32 s17, exec_lo
	buffer_store_dword v0, off, s[0:3], s32 offset:292 ; 4-byte Folded Spill
	v_mov_b32_e32 v0, 0
	buffer_store_dword v0, off, s[0:3], s32 offset:296 ; 4-byte Folded Spill
	v_cmpx_ne_u16_e32 0, v4
	s_cbranch_execz .LBB300_378
; %bb.371:                              ;   in Loop: Header=BB300_10 Depth=1
	v_bfrev_b32_e32 v0, 1
	s_mov_b32 s18, exec_lo
	buffer_store_dword v0, off, s[0:3], s32 offset:296 ; 4-byte Folded Spill
	v_cmpx_ne_u16_e32 0x80, v4
	s_cbranch_execz .LBB300_377
; %bb.372:                              ;   in Loop: Header=BB300_10 Depth=1
	v_mov_b32_e32 v0, 0x7f
	s_mov_b32 s19, exec_lo
	v_and_b32_sdwa v2, v4, v0 dst_sel:DWORD dst_unused:UNUSED_PAD src0_sel:WORD_0 src1_sel:DWORD
	v_mov_b32_e32 v0, 0x7c010000
	buffer_store_dword v0, off, s[0:3], s32 offset:296 ; 4-byte Folded Spill
	v_cmpx_ne_u32_e32 0x7f, v2
	s_cbranch_execz .LBB300_376
; %bb.373:                              ;   in Loop: Header=BB300_10 Depth=1
	v_mov_b32_e32 v0, 7
	v_lshrrev_b32_e32 v1, 3, v2
	s_mov_b32 s20, exec_lo
	v_and_b32_sdwa v0, v4, v0 dst_sel:DWORD dst_unused:UNUSED_PAD src0_sel:WORD_0 src1_sel:DWORD
	v_cmpx_gt_u32_e32 8, v2
; %bb.374:                              ;   in Loop: Header=BB300_10 Depth=1
	v_ffbh_u32_e32 v0, v0
	v_min_u32_e32 v2, 32, v0
	v_subrev_nc_u32_e32 v0, 28, v2
	v_lshlrev_b64 v[0:1], v0, v[4:5]
	v_sub_nc_u32_e32 v1, 29, v2
	v_and_b32_e32 v0, 7, v0
; %bb.375:                              ;   in Loop: Header=BB300_10 Depth=1
	s_or_b32 exec_lo, exec_lo, s20
	v_mov_b32_e32 v2, 8
	v_lshl_add_u32 v1, v1, 10, 0x2000
	v_lshlrev_b32_e32 v0, 23, v0
	v_lshlrev_b32_sdwa v2, v2, v4 dst_sel:DWORD dst_unused:UNUSED_PAD src0_sel:DWORD src1_sel:WORD_0
	v_and_or_b32 v1, 0x8000, v2, v1
	v_lshl_or_b32 v0, v1, 16, v0
	buffer_store_dword v0, off, s[0:3], s32 offset:296 ; 4-byte Folded Spill
.LBB300_376:                            ;   in Loop: Header=BB300_10 Depth=1
	s_or_b32 exec_lo, exec_lo, s19
.LBB300_377:                            ;   in Loop: Header=BB300_10 Depth=1
	s_or_b32 exec_lo, exec_lo, s18
.LBB300_378:                            ;   in Loop: Header=BB300_10 Depth=1
	s_or_b32 exec_lo, exec_lo, s17
	v_lshrrev_b32_e32 v4, 16, v25
	v_cmp_ne_u16_sdwa s5, v4, v5 src0_sel:BYTE_0 src1_sel:DWORD
	s_and_saveexec_b32 s17, s5
	s_cbranch_execz .LBB300_386
; %bb.379:                              ;   in Loop: Header=BB300_10 Depth=1
	v_cmp_ne_u16_sdwa s5, v4, v111 src0_sel:BYTE_0 src1_sel:DWORD
	v_mov_b32_e32 v0, 0x8000
	buffer_store_dword v0, off, s[0:3], s32 offset:292 ; 4-byte Folded Spill
	s_and_saveexec_b32 s18, s5
	s_cbranch_execz .LBB300_385
; %bb.380:                              ;   in Loop: Header=BB300_10 Depth=1
	v_bfe_u32 v2, v25, 16, 7
	v_mov_b32_e32 v0, 0x7c01
	s_mov_b32 s19, exec_lo
	buffer_store_dword v0, off, s[0:3], s32 offset:292 ; 4-byte Folded Spill
	v_cmpx_ne_u32_e32 0x7f, v2
	s_cbranch_execz .LBB300_384
; %bb.381:                              ;   in Loop: Header=BB300_10 Depth=1
	v_and_b32_e32 v0, 7, v4
	v_lshrrev_b32_e32 v1, 3, v2
	s_mov_b32 s20, exec_lo
	v_cmpx_gt_u32_e32 8, v2
; %bb.382:                              ;   in Loop: Header=BB300_10 Depth=1
	v_ffbh_u32_e32 v0, v0
	v_min_u32_e32 v2, 32, v0
	v_subrev_nc_u32_e32 v0, 28, v2
	v_lshlrev_b64 v[0:1], v0, v[4:5]
	v_sub_nc_u32_e32 v1, 29, v2
	v_and_b32_e32 v0, 7, v0
; %bb.383:                              ;   in Loop: Header=BB300_10 Depth=1
	s_or_b32 exec_lo, exec_lo, s20
	v_lshlrev_b32_e32 v2, 8, v4
	v_lshl_add_u32 v1, v1, 10, 0x2000
	v_lshlrev_b32_e32 v0, 7, v0
	v_and_b32_e32 v2, 0x8000, v2
	v_and_b32_e32 v1, 0xfc00, v1
	v_or3_b32 v0, v2, v1, v0
	buffer_store_dword v0, off, s[0:3], s32 offset:292 ; 4-byte Folded Spill
.LBB300_384:                            ;   in Loop: Header=BB300_10 Depth=1
	s_or_b32 exec_lo, exec_lo, s19
.LBB300_385:                            ;   in Loop: Header=BB300_10 Depth=1
	s_or_b32 exec_lo, exec_lo, s18
.LBB300_386:                            ;   in Loop: Header=BB300_10 Depth=1
	s_or_b32 exec_lo, exec_lo, s17
	v_mov_b32_e32 v0, 0
	s_mov_b32 s17, exec_lo
	buffer_store_dword v0, off, s[0:3], s32 offset:300 ; 4-byte Folded Spill
	v_mov_b32_e32 v0, 0
	buffer_store_dword v0, off, s[0:3], s32 offset:500 ; 4-byte Folded Spill
	v_cmpx_lt_u64_e64 s[6:7], v[24:25]
	s_cbranch_execz .LBB300_394
; %bb.387:                              ;   in Loop: Header=BB300_10 Depth=1
	v_lshrrev_b32_e32 v4, 24, v25
	v_bfrev_b32_e32 v0, 1
	s_mov_b32 s18, exec_lo
	v_cmpx_ne_u32_e32 0x80, v4
	s_cbranch_execz .LBB300_393
; %bb.388:                              ;   in Loop: Header=BB300_10 Depth=1
	v_and_b32_e32 v2, 0x7f, v4
	v_mov_b32_e32 v0, 0x7c010000
	s_mov_b32 s19, exec_lo
	v_cmpx_ne_u32_e32 0x7f, v2
	s_cbranch_execz .LBB300_392
; %bb.389:                              ;   in Loop: Header=BB300_10 Depth=1
	v_and_b32_e32 v0, 7, v4
	v_lshrrev_b32_e32 v1, 3, v2
	s_mov_b32 s20, exec_lo
	v_cmpx_gt_u32_e32 8, v2
; %bb.390:                              ;   in Loop: Header=BB300_10 Depth=1
	v_ffbh_u32_e32 v0, v0
	v_min_u32_e32 v2, 32, v0
	v_subrev_nc_u32_e32 v0, 28, v2
	v_lshlrev_b64 v[0:1], v0, v[4:5]
	v_sub_nc_u32_e32 v1, 29, v2
	v_and_b32_e32 v0, 7, v0
; %bb.391:                              ;   in Loop: Header=BB300_10 Depth=1
	s_or_b32 exec_lo, exec_lo, s20
	v_lshlrev_b32_e32 v2, 8, v4
	v_lshl_add_u32 v1, v1, 10, 0x2000
	v_lshlrev_b32_e32 v0, 23, v0
	v_and_or_b32 v1, 0x8000, v2, v1
	v_lshl_or_b32 v0, v1, 16, v0
.LBB300_392:                            ;   in Loop: Header=BB300_10 Depth=1
	s_or_b32 exec_lo, exec_lo, s19
.LBB300_393:                            ;   in Loop: Header=BB300_10 Depth=1
	s_or_b32 exec_lo, exec_lo, s18
	buffer_store_dword v0, off, s[0:3], s32 offset:500 ; 4-byte Folded Spill
.LBB300_394:                            ;   in Loop: Header=BB300_10 Depth=1
	s_or_b32 exec_lo, exec_lo, s17
	flat_load_dwordx2 v[24:25], v[16:17] offset:1536
	s_waitcnt vmcnt(0) lgkmcnt(0)
	v_cmp_ne_u16_sdwa s5, v24, v5 src0_sel:BYTE_0 src1_sel:DWORD
	s_and_saveexec_b32 s17, s5
	s_cbranch_execz .LBB300_402
; %bb.395:                              ;   in Loop: Header=BB300_10 Depth=1
	v_cmp_ne_u16_sdwa s5, v24, v111 src0_sel:BYTE_0 src1_sel:DWORD
	v_mov_b32_e32 v0, 0x8000
	buffer_store_dword v0, off, s[0:3], s32 offset:300 ; 4-byte Folded Spill
	s_and_saveexec_b32 s18, s5
	s_cbranch_execz .LBB300_401
; %bb.396:                              ;   in Loop: Header=BB300_10 Depth=1
	v_and_b32_e32 v2, 0x7f, v24
	v_mov_b32_e32 v0, 0x7c01
	s_mov_b32 s19, exec_lo
	buffer_store_dword v0, off, s[0:3], s32 offset:300 ; 4-byte Folded Spill
	v_cmpx_ne_u32_e32 0x7f, v2
	s_cbranch_execz .LBB300_400
; %bb.397:                              ;   in Loop: Header=BB300_10 Depth=1
	v_and_b32_e32 v0, 7, v24
	v_lshrrev_b32_e32 v1, 3, v2
	s_mov_b32 s20, exec_lo
	v_cmpx_gt_u32_e32 8, v2
; %bb.398:                              ;   in Loop: Header=BB300_10 Depth=1
	v_ffbh_u32_e32 v0, v0
	v_min_u32_e32 v2, 32, v0
	v_subrev_nc_u32_e32 v0, 28, v2
	v_lshlrev_b64 v[0:1], v0, v[24:25]
	v_sub_nc_u32_e32 v1, 29, v2
	v_and_b32_e32 v0, 7, v0
; %bb.399:                              ;   in Loop: Header=BB300_10 Depth=1
	s_or_b32 exec_lo, exec_lo, s20
	v_lshlrev_b32_e32 v2, 8, v24
	v_lshl_add_u32 v1, v1, 10, 0x2000
	v_lshlrev_b32_e32 v0, 7, v0
	v_and_b32_e32 v2, 0x8000, v2
	v_and_b32_e32 v1, 0xfc00, v1
	v_or3_b32 v0, v2, v1, v0
	buffer_store_dword v0, off, s[0:3], s32 offset:300 ; 4-byte Folded Spill
.LBB300_400:                            ;   in Loop: Header=BB300_10 Depth=1
	s_or_b32 exec_lo, exec_lo, s19
.LBB300_401:                            ;   in Loop: Header=BB300_10 Depth=1
	s_or_b32 exec_lo, exec_lo, s18
.LBB300_402:                            ;   in Loop: Header=BB300_10 Depth=1
	s_or_b32 exec_lo, exec_lo, s17
	v_mov_b32_e32 v0, 0
	v_lshrrev_b16 v4, 8, v24
	s_mov_b32 s17, exec_lo
	buffer_store_dword v0, off, s[0:3], s32 offset:308 ; 4-byte Folded Spill
	v_mov_b32_e32 v0, 0
	buffer_store_dword v0, off, s[0:3], s32 offset:304 ; 4-byte Folded Spill
	v_cmpx_ne_u16_e32 0, v4
	s_cbranch_execz .LBB300_410
; %bb.403:                              ;   in Loop: Header=BB300_10 Depth=1
	v_bfrev_b32_e32 v0, 1
	s_mov_b32 s18, exec_lo
	buffer_store_dword v0, off, s[0:3], s32 offset:304 ; 4-byte Folded Spill
	v_cmpx_ne_u16_e32 0x80, v4
	s_cbranch_execz .LBB300_409
; %bb.404:                              ;   in Loop: Header=BB300_10 Depth=1
	v_mov_b32_e32 v0, 0x7f
	s_mov_b32 s19, exec_lo
	v_and_b32_sdwa v2, v4, v0 dst_sel:DWORD dst_unused:UNUSED_PAD src0_sel:WORD_0 src1_sel:DWORD
	v_mov_b32_e32 v0, 0x7c010000
	buffer_store_dword v0, off, s[0:3], s32 offset:304 ; 4-byte Folded Spill
	v_cmpx_ne_u32_e32 0x7f, v2
	s_cbranch_execz .LBB300_408
; %bb.405:                              ;   in Loop: Header=BB300_10 Depth=1
	v_mov_b32_e32 v0, 7
	v_lshrrev_b32_e32 v1, 3, v2
	s_mov_b32 s20, exec_lo
	v_and_b32_sdwa v0, v4, v0 dst_sel:DWORD dst_unused:UNUSED_PAD src0_sel:WORD_0 src1_sel:DWORD
	v_cmpx_gt_u32_e32 8, v2
; %bb.406:                              ;   in Loop: Header=BB300_10 Depth=1
	v_ffbh_u32_e32 v0, v0
	v_min_u32_e32 v2, 32, v0
	v_subrev_nc_u32_e32 v0, 28, v2
	v_lshlrev_b64 v[0:1], v0, v[4:5]
	v_sub_nc_u32_e32 v1, 29, v2
	v_and_b32_e32 v0, 7, v0
; %bb.407:                              ;   in Loop: Header=BB300_10 Depth=1
	s_or_b32 exec_lo, exec_lo, s20
	v_mov_b32_e32 v2, 8
	v_lshl_add_u32 v1, v1, 10, 0x2000
	v_lshlrev_b32_e32 v0, 23, v0
	v_lshlrev_b32_sdwa v2, v2, v4 dst_sel:DWORD dst_unused:UNUSED_PAD src0_sel:DWORD src1_sel:WORD_0
	v_and_or_b32 v1, 0x8000, v2, v1
	v_lshl_or_b32 v0, v1, 16, v0
	buffer_store_dword v0, off, s[0:3], s32 offset:304 ; 4-byte Folded Spill
.LBB300_408:                            ;   in Loop: Header=BB300_10 Depth=1
	s_or_b32 exec_lo, exec_lo, s19
.LBB300_409:                            ;   in Loop: Header=BB300_10 Depth=1
	s_or_b32 exec_lo, exec_lo, s18
.LBB300_410:                            ;   in Loop: Header=BB300_10 Depth=1
	s_or_b32 exec_lo, exec_lo, s17
	v_lshrrev_b32_e32 v4, 16, v24
	v_cmp_ne_u16_sdwa s5, v4, v5 src0_sel:BYTE_0 src1_sel:DWORD
	s_and_saveexec_b32 s17, s5
	s_cbranch_execz .LBB300_418
; %bb.411:                              ;   in Loop: Header=BB300_10 Depth=1
	v_cmp_ne_u16_sdwa s5, v4, v111 src0_sel:BYTE_0 src1_sel:DWORD
	v_mov_b32_e32 v0, 0x8000
	buffer_store_dword v0, off, s[0:3], s32 offset:308 ; 4-byte Folded Spill
	s_and_saveexec_b32 s18, s5
	s_cbranch_execz .LBB300_417
; %bb.412:                              ;   in Loop: Header=BB300_10 Depth=1
	v_bfe_u32 v2, v24, 16, 7
	v_mov_b32_e32 v0, 0x7c01
	s_mov_b32 s19, exec_lo
	buffer_store_dword v0, off, s[0:3], s32 offset:308 ; 4-byte Folded Spill
	v_cmpx_ne_u32_e32 0x7f, v2
	s_cbranch_execz .LBB300_416
; %bb.413:                              ;   in Loop: Header=BB300_10 Depth=1
	v_and_b32_e32 v0, 7, v4
	v_lshrrev_b32_e32 v1, 3, v2
	s_mov_b32 s20, exec_lo
	v_cmpx_gt_u32_e32 8, v2
; %bb.414:                              ;   in Loop: Header=BB300_10 Depth=1
	v_ffbh_u32_e32 v0, v0
	v_min_u32_e32 v2, 32, v0
	v_subrev_nc_u32_e32 v0, 28, v2
	v_lshlrev_b64 v[0:1], v0, v[4:5]
	v_sub_nc_u32_e32 v1, 29, v2
	v_and_b32_e32 v0, 7, v0
; %bb.415:                              ;   in Loop: Header=BB300_10 Depth=1
	s_or_b32 exec_lo, exec_lo, s20
	v_lshlrev_b32_e32 v2, 8, v4
	v_lshl_add_u32 v1, v1, 10, 0x2000
	v_lshlrev_b32_e32 v0, 7, v0
	v_and_b32_e32 v2, 0x8000, v2
	v_and_b32_e32 v1, 0xfc00, v1
	v_or3_b32 v0, v2, v1, v0
	buffer_store_dword v0, off, s[0:3], s32 offset:308 ; 4-byte Folded Spill
.LBB300_416:                            ;   in Loop: Header=BB300_10 Depth=1
	s_or_b32 exec_lo, exec_lo, s19
.LBB300_417:                            ;   in Loop: Header=BB300_10 Depth=1
	s_or_b32 exec_lo, exec_lo, s18
.LBB300_418:                            ;   in Loop: Header=BB300_10 Depth=1
	s_or_b32 exec_lo, exec_lo, s17
	v_mov_b32_e32 v0, 0
	s_mov_b32 s17, exec_lo
	buffer_store_dword v0, off, s[0:3], s32 offset:312 ; 4-byte Folded Spill
	v_mov_b32_e32 v0, 0
	buffer_store_dword v0, off, s[0:3], s32 offset:316 ; 4-byte Folded Spill
	v_cmpx_lt_u32_e32 0xffffff, v24
	s_cbranch_execz .LBB300_426
; %bb.419:                              ;   in Loop: Header=BB300_10 Depth=1
	v_lshrrev_b32_e32 v4, 24, v24
	v_bfrev_b32_e32 v0, 1
	s_mov_b32 s18, exec_lo
	buffer_store_dword v0, off, s[0:3], s32 offset:316 ; 4-byte Folded Spill
	v_cmpx_ne_u32_e32 0x80, v4
	s_cbranch_execz .LBB300_425
; %bb.420:                              ;   in Loop: Header=BB300_10 Depth=1
	v_and_b32_e32 v2, 0x7f, v4
	v_mov_b32_e32 v0, 0x7c010000
	s_mov_b32 s19, exec_lo
	buffer_store_dword v0, off, s[0:3], s32 offset:316 ; 4-byte Folded Spill
	v_cmpx_ne_u32_e32 0x7f, v2
	s_cbranch_execz .LBB300_424
; %bb.421:                              ;   in Loop: Header=BB300_10 Depth=1
	v_and_b32_e32 v0, 7, v4
	v_lshrrev_b32_e32 v1, 3, v2
	s_mov_b32 s20, exec_lo
	v_cmpx_gt_u32_e32 8, v2
; %bb.422:                              ;   in Loop: Header=BB300_10 Depth=1
	v_ffbh_u32_e32 v0, v0
	v_min_u32_e32 v2, 32, v0
	v_subrev_nc_u32_e32 v0, 28, v2
	v_lshlrev_b64 v[0:1], v0, v[4:5]
	v_sub_nc_u32_e32 v1, 29, v2
	v_and_b32_e32 v0, 7, v0
; %bb.423:                              ;   in Loop: Header=BB300_10 Depth=1
	s_or_b32 exec_lo, exec_lo, s20
	v_lshlrev_b32_e32 v2, 8, v4
	v_lshl_add_u32 v1, v1, 10, 0x2000
	v_lshlrev_b32_e32 v0, 23, v0
	v_and_or_b32 v1, 0x8000, v2, v1
	v_lshl_or_b32 v0, v1, 16, v0
	buffer_store_dword v0, off, s[0:3], s32 offset:316 ; 4-byte Folded Spill
.LBB300_424:                            ;   in Loop: Header=BB300_10 Depth=1
	s_or_b32 exec_lo, exec_lo, s19
.LBB300_425:                            ;   in Loop: Header=BB300_10 Depth=1
	s_or_b32 exec_lo, exec_lo, s18
.LBB300_426:                            ;   in Loop: Header=BB300_10 Depth=1
	s_or_b32 exec_lo, exec_lo, s17
	v_mov_b32_e32 v4, v25
	v_cmp_ne_u16_sdwa s5, v25, v5 src0_sel:BYTE_0 src1_sel:DWORD
	s_and_saveexec_b32 s17, s5
	s_cbranch_execz .LBB300_434
; %bb.427:                              ;   in Loop: Header=BB300_10 Depth=1
	v_cmp_ne_u16_sdwa s5, v25, v111 src0_sel:BYTE_0 src1_sel:DWORD
	v_mov_b32_e32 v0, 0x8000
	buffer_store_dword v0, off, s[0:3], s32 offset:312 ; 4-byte Folded Spill
	s_and_saveexec_b32 s18, s5
	s_cbranch_execz .LBB300_433
; %bb.428:                              ;   in Loop: Header=BB300_10 Depth=1
	v_and_b32_e32 v2, 0x7f, v25
	v_mov_b32_e32 v0, 0x7c01
	s_mov_b32 s19, exec_lo
	buffer_store_dword v0, off, s[0:3], s32 offset:312 ; 4-byte Folded Spill
	v_cmpx_ne_u32_e32 0x7f, v2
	s_cbranch_execz .LBB300_432
; %bb.429:                              ;   in Loop: Header=BB300_10 Depth=1
	v_and_b32_e32 v0, 7, v25
	v_lshrrev_b32_e32 v1, 3, v2
	s_mov_b32 s20, exec_lo
	v_cmpx_gt_u32_e32 8, v2
; %bb.430:                              ;   in Loop: Header=BB300_10 Depth=1
	v_ffbh_u32_e32 v0, v0
	v_min_u32_e32 v2, 32, v0
	v_subrev_nc_u32_e32 v0, 28, v2
	v_lshlrev_b64 v[0:1], v0, v[4:5]
	v_sub_nc_u32_e32 v1, 29, v2
	v_and_b32_e32 v0, 7, v0
; %bb.431:                              ;   in Loop: Header=BB300_10 Depth=1
	s_or_b32 exec_lo, exec_lo, s20
	v_lshlrev_b32_e32 v2, 8, v25
	v_lshl_add_u32 v1, v1, 10, 0x2000
	v_lshlrev_b32_e32 v0, 7, v0
	v_and_b32_e32 v2, 0x8000, v2
	v_and_b32_e32 v1, 0xfc00, v1
	v_or3_b32 v0, v2, v1, v0
	buffer_store_dword v0, off, s[0:3], s32 offset:312 ; 4-byte Folded Spill
.LBB300_432:                            ;   in Loop: Header=BB300_10 Depth=1
	s_or_b32 exec_lo, exec_lo, s19
.LBB300_433:                            ;   in Loop: Header=BB300_10 Depth=1
	s_or_b32 exec_lo, exec_lo, s18
.LBB300_434:                            ;   in Loop: Header=BB300_10 Depth=1
	s_or_b32 exec_lo, exec_lo, s17
	v_mov_b32_e32 v0, 0
	v_lshrrev_b16 v4, 8, v4
	s_mov_b32 s17, exec_lo
	buffer_store_dword v0, off, s[0:3], s32 offset:320 ; 4-byte Folded Spill
	v_mov_b32_e32 v0, 0
	buffer_store_dword v0, off, s[0:3], s32 offset:324 ; 4-byte Folded Spill
	v_cmpx_ne_u16_e32 0, v4
	s_cbranch_execz .LBB300_442
; %bb.435:                              ;   in Loop: Header=BB300_10 Depth=1
	v_bfrev_b32_e32 v0, 1
	s_mov_b32 s18, exec_lo
	buffer_store_dword v0, off, s[0:3], s32 offset:324 ; 4-byte Folded Spill
	v_cmpx_ne_u16_e32 0x80, v4
	s_cbranch_execz .LBB300_441
; %bb.436:                              ;   in Loop: Header=BB300_10 Depth=1
	v_mov_b32_e32 v0, 0x7f
	s_mov_b32 s19, exec_lo
	v_and_b32_sdwa v2, v4, v0 dst_sel:DWORD dst_unused:UNUSED_PAD src0_sel:WORD_0 src1_sel:DWORD
	v_mov_b32_e32 v0, 0x7c010000
	buffer_store_dword v0, off, s[0:3], s32 offset:324 ; 4-byte Folded Spill
	v_cmpx_ne_u32_e32 0x7f, v2
	s_cbranch_execz .LBB300_440
; %bb.437:                              ;   in Loop: Header=BB300_10 Depth=1
	v_mov_b32_e32 v0, 7
	v_lshrrev_b32_e32 v1, 3, v2
	s_mov_b32 s20, exec_lo
	v_and_b32_sdwa v0, v4, v0 dst_sel:DWORD dst_unused:UNUSED_PAD src0_sel:WORD_0 src1_sel:DWORD
	v_cmpx_gt_u32_e32 8, v2
; %bb.438:                              ;   in Loop: Header=BB300_10 Depth=1
	v_ffbh_u32_e32 v0, v0
	v_min_u32_e32 v2, 32, v0
	v_subrev_nc_u32_e32 v0, 28, v2
	v_lshlrev_b64 v[0:1], v0, v[4:5]
	v_sub_nc_u32_e32 v1, 29, v2
	v_and_b32_e32 v0, 7, v0
; %bb.439:                              ;   in Loop: Header=BB300_10 Depth=1
	s_or_b32 exec_lo, exec_lo, s20
	v_mov_b32_e32 v2, 8
	v_lshl_add_u32 v1, v1, 10, 0x2000
	v_lshlrev_b32_e32 v0, 23, v0
	v_lshlrev_b32_sdwa v2, v2, v4 dst_sel:DWORD dst_unused:UNUSED_PAD src0_sel:DWORD src1_sel:WORD_0
	v_and_or_b32 v1, 0x8000, v2, v1
	v_lshl_or_b32 v0, v1, 16, v0
	buffer_store_dword v0, off, s[0:3], s32 offset:324 ; 4-byte Folded Spill
.LBB300_440:                            ;   in Loop: Header=BB300_10 Depth=1
	s_or_b32 exec_lo, exec_lo, s19
.LBB300_441:                            ;   in Loop: Header=BB300_10 Depth=1
	s_or_b32 exec_lo, exec_lo, s18
.LBB300_442:                            ;   in Loop: Header=BB300_10 Depth=1
	s_or_b32 exec_lo, exec_lo, s17
	v_lshrrev_b32_e32 v4, 16, v25
	v_cmp_ne_u16_sdwa s5, v4, v5 src0_sel:BYTE_0 src1_sel:DWORD
	s_and_saveexec_b32 s17, s5
	s_cbranch_execz .LBB300_450
; %bb.443:                              ;   in Loop: Header=BB300_10 Depth=1
	v_cmp_ne_u16_sdwa s5, v4, v111 src0_sel:BYTE_0 src1_sel:DWORD
	v_mov_b32_e32 v0, 0x8000
	buffer_store_dword v0, off, s[0:3], s32 offset:320 ; 4-byte Folded Spill
	s_and_saveexec_b32 s18, s5
	s_cbranch_execz .LBB300_449
; %bb.444:                              ;   in Loop: Header=BB300_10 Depth=1
	v_bfe_u32 v2, v25, 16, 7
	v_mov_b32_e32 v0, 0x7c01
	s_mov_b32 s19, exec_lo
	buffer_store_dword v0, off, s[0:3], s32 offset:320 ; 4-byte Folded Spill
	v_cmpx_ne_u32_e32 0x7f, v2
	s_cbranch_execz .LBB300_448
; %bb.445:                              ;   in Loop: Header=BB300_10 Depth=1
	v_and_b32_e32 v0, 7, v4
	v_lshrrev_b32_e32 v1, 3, v2
	s_mov_b32 s20, exec_lo
	v_cmpx_gt_u32_e32 8, v2
; %bb.446:                              ;   in Loop: Header=BB300_10 Depth=1
	v_ffbh_u32_e32 v0, v0
	v_min_u32_e32 v2, 32, v0
	v_subrev_nc_u32_e32 v0, 28, v2
	v_lshlrev_b64 v[0:1], v0, v[4:5]
	v_sub_nc_u32_e32 v1, 29, v2
	v_and_b32_e32 v0, 7, v0
; %bb.447:                              ;   in Loop: Header=BB300_10 Depth=1
	s_or_b32 exec_lo, exec_lo, s20
	v_lshlrev_b32_e32 v2, 8, v4
	v_lshl_add_u32 v1, v1, 10, 0x2000
	v_lshlrev_b32_e32 v0, 7, v0
	v_and_b32_e32 v2, 0x8000, v2
	v_and_b32_e32 v1, 0xfc00, v1
	v_or3_b32 v0, v2, v1, v0
	buffer_store_dword v0, off, s[0:3], s32 offset:320 ; 4-byte Folded Spill
.LBB300_448:                            ;   in Loop: Header=BB300_10 Depth=1
	s_or_b32 exec_lo, exec_lo, s19
.LBB300_449:                            ;   in Loop: Header=BB300_10 Depth=1
	s_or_b32 exec_lo, exec_lo, s18
.LBB300_450:                            ;   in Loop: Header=BB300_10 Depth=1
	s_or_b32 exec_lo, exec_lo, s17
	v_mov_b32_e32 v0, 0
	s_mov_b32 s17, exec_lo
	buffer_store_dword v0, off, s[0:3], s32 offset:328 ; 4-byte Folded Spill
	v_mov_b32_e32 v0, 0
	buffer_store_dword v0, off, s[0:3], s32 offset:504 ; 4-byte Folded Spill
	v_cmpx_lt_u64_e64 s[6:7], v[24:25]
	s_cbranch_execz .LBB300_458
; %bb.451:                              ;   in Loop: Header=BB300_10 Depth=1
	v_lshrrev_b32_e32 v4, 24, v25
	v_bfrev_b32_e32 v0, 1
	s_mov_b32 s18, exec_lo
	v_cmpx_ne_u32_e32 0x80, v4
	s_cbranch_execz .LBB300_457
; %bb.452:                              ;   in Loop: Header=BB300_10 Depth=1
	v_and_b32_e32 v2, 0x7f, v4
	v_mov_b32_e32 v0, 0x7c010000
	s_mov_b32 s19, exec_lo
	v_cmpx_ne_u32_e32 0x7f, v2
	s_cbranch_execz .LBB300_456
; %bb.453:                              ;   in Loop: Header=BB300_10 Depth=1
	v_and_b32_e32 v0, 7, v4
	v_lshrrev_b32_e32 v1, 3, v2
	s_mov_b32 s20, exec_lo
	v_cmpx_gt_u32_e32 8, v2
; %bb.454:                              ;   in Loop: Header=BB300_10 Depth=1
	v_ffbh_u32_e32 v0, v0
	v_min_u32_e32 v2, 32, v0
	v_subrev_nc_u32_e32 v0, 28, v2
	v_lshlrev_b64 v[0:1], v0, v[4:5]
	v_sub_nc_u32_e32 v1, 29, v2
	v_and_b32_e32 v0, 7, v0
; %bb.455:                              ;   in Loop: Header=BB300_10 Depth=1
	s_or_b32 exec_lo, exec_lo, s20
	v_lshlrev_b32_e32 v2, 8, v4
	v_lshl_add_u32 v1, v1, 10, 0x2000
	v_lshlrev_b32_e32 v0, 23, v0
	v_and_or_b32 v1, 0x8000, v2, v1
	v_lshl_or_b32 v0, v1, 16, v0
.LBB300_456:                            ;   in Loop: Header=BB300_10 Depth=1
	s_or_b32 exec_lo, exec_lo, s19
.LBB300_457:                            ;   in Loop: Header=BB300_10 Depth=1
	s_or_b32 exec_lo, exec_lo, s18
	buffer_store_dword v0, off, s[0:3], s32 offset:504 ; 4-byte Folded Spill
.LBB300_458:                            ;   in Loop: Header=BB300_10 Depth=1
	s_or_b32 exec_lo, exec_lo, s17
	flat_load_dwordx2 v[24:25], v[16:17] offset:1544
	s_waitcnt vmcnt(0) lgkmcnt(0)
	v_cmp_ne_u16_sdwa s5, v24, v5 src0_sel:BYTE_0 src1_sel:DWORD
	s_and_saveexec_b32 s17, s5
	s_cbranch_execz .LBB300_466
; %bb.459:                              ;   in Loop: Header=BB300_10 Depth=1
	v_cmp_ne_u16_sdwa s5, v24, v111 src0_sel:BYTE_0 src1_sel:DWORD
	v_mov_b32_e32 v0, 0x8000
	buffer_store_dword v0, off, s[0:3], s32 offset:328 ; 4-byte Folded Spill
	s_and_saveexec_b32 s18, s5
	s_cbranch_execz .LBB300_465
; %bb.460:                              ;   in Loop: Header=BB300_10 Depth=1
	v_and_b32_e32 v2, 0x7f, v24
	v_mov_b32_e32 v0, 0x7c01
	s_mov_b32 s19, exec_lo
	buffer_store_dword v0, off, s[0:3], s32 offset:328 ; 4-byte Folded Spill
	v_cmpx_ne_u32_e32 0x7f, v2
	s_cbranch_execz .LBB300_464
; %bb.461:                              ;   in Loop: Header=BB300_10 Depth=1
	v_and_b32_e32 v0, 7, v24
	v_lshrrev_b32_e32 v1, 3, v2
	s_mov_b32 s20, exec_lo
	v_cmpx_gt_u32_e32 8, v2
; %bb.462:                              ;   in Loop: Header=BB300_10 Depth=1
	v_ffbh_u32_e32 v0, v0
	v_min_u32_e32 v2, 32, v0
	v_subrev_nc_u32_e32 v0, 28, v2
	v_lshlrev_b64 v[0:1], v0, v[24:25]
	v_sub_nc_u32_e32 v1, 29, v2
	v_and_b32_e32 v0, 7, v0
; %bb.463:                              ;   in Loop: Header=BB300_10 Depth=1
	s_or_b32 exec_lo, exec_lo, s20
	v_lshlrev_b32_e32 v2, 8, v24
	v_lshl_add_u32 v1, v1, 10, 0x2000
	v_lshlrev_b32_e32 v0, 7, v0
	v_and_b32_e32 v2, 0x8000, v2
	v_and_b32_e32 v1, 0xfc00, v1
	v_or3_b32 v0, v2, v1, v0
	buffer_store_dword v0, off, s[0:3], s32 offset:328 ; 4-byte Folded Spill
.LBB300_464:                            ;   in Loop: Header=BB300_10 Depth=1
	s_or_b32 exec_lo, exec_lo, s19
.LBB300_465:                            ;   in Loop: Header=BB300_10 Depth=1
	s_or_b32 exec_lo, exec_lo, s18
.LBB300_466:                            ;   in Loop: Header=BB300_10 Depth=1
	s_or_b32 exec_lo, exec_lo, s17
	v_mov_b32_e32 v0, 0
	v_lshrrev_b16 v4, 8, v24
	s_mov_b32 s17, exec_lo
	buffer_store_dword v0, off, s[0:3], s32 offset:336 ; 4-byte Folded Spill
	v_mov_b32_e32 v0, 0
	buffer_store_dword v0, off, s[0:3], s32 offset:332 ; 4-byte Folded Spill
	v_cmpx_ne_u16_e32 0, v4
	s_cbranch_execz .LBB300_474
; %bb.467:                              ;   in Loop: Header=BB300_10 Depth=1
	v_bfrev_b32_e32 v0, 1
	s_mov_b32 s18, exec_lo
	buffer_store_dword v0, off, s[0:3], s32 offset:332 ; 4-byte Folded Spill
	v_cmpx_ne_u16_e32 0x80, v4
	s_cbranch_execz .LBB300_473
; %bb.468:                              ;   in Loop: Header=BB300_10 Depth=1
	v_mov_b32_e32 v0, 0x7f
	s_mov_b32 s19, exec_lo
	v_and_b32_sdwa v2, v4, v0 dst_sel:DWORD dst_unused:UNUSED_PAD src0_sel:WORD_0 src1_sel:DWORD
	v_mov_b32_e32 v0, 0x7c010000
	buffer_store_dword v0, off, s[0:3], s32 offset:332 ; 4-byte Folded Spill
	v_cmpx_ne_u32_e32 0x7f, v2
	s_cbranch_execz .LBB300_472
; %bb.469:                              ;   in Loop: Header=BB300_10 Depth=1
	v_mov_b32_e32 v0, 7
	v_lshrrev_b32_e32 v1, 3, v2
	s_mov_b32 s20, exec_lo
	v_and_b32_sdwa v0, v4, v0 dst_sel:DWORD dst_unused:UNUSED_PAD src0_sel:WORD_0 src1_sel:DWORD
	v_cmpx_gt_u32_e32 8, v2
; %bb.470:                              ;   in Loop: Header=BB300_10 Depth=1
	v_ffbh_u32_e32 v0, v0
	v_min_u32_e32 v2, 32, v0
	v_subrev_nc_u32_e32 v0, 28, v2
	v_lshlrev_b64 v[0:1], v0, v[4:5]
	v_sub_nc_u32_e32 v1, 29, v2
	v_and_b32_e32 v0, 7, v0
; %bb.471:                              ;   in Loop: Header=BB300_10 Depth=1
	s_or_b32 exec_lo, exec_lo, s20
	v_mov_b32_e32 v2, 8
	v_lshl_add_u32 v1, v1, 10, 0x2000
	v_lshlrev_b32_e32 v0, 23, v0
	v_lshlrev_b32_sdwa v2, v2, v4 dst_sel:DWORD dst_unused:UNUSED_PAD src0_sel:DWORD src1_sel:WORD_0
	v_and_or_b32 v1, 0x8000, v2, v1
	v_lshl_or_b32 v0, v1, 16, v0
	buffer_store_dword v0, off, s[0:3], s32 offset:332 ; 4-byte Folded Spill
.LBB300_472:                            ;   in Loop: Header=BB300_10 Depth=1
	s_or_b32 exec_lo, exec_lo, s19
.LBB300_473:                            ;   in Loop: Header=BB300_10 Depth=1
	s_or_b32 exec_lo, exec_lo, s18
.LBB300_474:                            ;   in Loop: Header=BB300_10 Depth=1
	s_or_b32 exec_lo, exec_lo, s17
	v_lshrrev_b32_e32 v4, 16, v24
	v_cmp_ne_u16_sdwa s5, v4, v5 src0_sel:BYTE_0 src1_sel:DWORD
	s_and_saveexec_b32 s17, s5
	s_cbranch_execz .LBB300_482
; %bb.475:                              ;   in Loop: Header=BB300_10 Depth=1
	v_cmp_ne_u16_sdwa s5, v4, v111 src0_sel:BYTE_0 src1_sel:DWORD
	v_mov_b32_e32 v0, 0x8000
	buffer_store_dword v0, off, s[0:3], s32 offset:336 ; 4-byte Folded Spill
	s_and_saveexec_b32 s18, s5
	s_cbranch_execz .LBB300_481
; %bb.476:                              ;   in Loop: Header=BB300_10 Depth=1
	v_bfe_u32 v2, v24, 16, 7
	v_mov_b32_e32 v0, 0x7c01
	s_mov_b32 s19, exec_lo
	buffer_store_dword v0, off, s[0:3], s32 offset:336 ; 4-byte Folded Spill
	v_cmpx_ne_u32_e32 0x7f, v2
	s_cbranch_execz .LBB300_480
; %bb.477:                              ;   in Loop: Header=BB300_10 Depth=1
	v_and_b32_e32 v0, 7, v4
	v_lshrrev_b32_e32 v1, 3, v2
	s_mov_b32 s20, exec_lo
	v_cmpx_gt_u32_e32 8, v2
; %bb.478:                              ;   in Loop: Header=BB300_10 Depth=1
	v_ffbh_u32_e32 v0, v0
	v_min_u32_e32 v2, 32, v0
	v_subrev_nc_u32_e32 v0, 28, v2
	v_lshlrev_b64 v[0:1], v0, v[4:5]
	v_sub_nc_u32_e32 v1, 29, v2
	v_and_b32_e32 v0, 7, v0
; %bb.479:                              ;   in Loop: Header=BB300_10 Depth=1
	s_or_b32 exec_lo, exec_lo, s20
	v_lshlrev_b32_e32 v2, 8, v4
	v_lshl_add_u32 v1, v1, 10, 0x2000
	v_lshlrev_b32_e32 v0, 7, v0
	v_and_b32_e32 v2, 0x8000, v2
	v_and_b32_e32 v1, 0xfc00, v1
	v_or3_b32 v0, v2, v1, v0
	buffer_store_dword v0, off, s[0:3], s32 offset:336 ; 4-byte Folded Spill
.LBB300_480:                            ;   in Loop: Header=BB300_10 Depth=1
	s_or_b32 exec_lo, exec_lo, s19
.LBB300_481:                            ;   in Loop: Header=BB300_10 Depth=1
	s_or_b32 exec_lo, exec_lo, s18
.LBB300_482:                            ;   in Loop: Header=BB300_10 Depth=1
	s_or_b32 exec_lo, exec_lo, s17
	v_mov_b32_e32 v0, 0
	s_mov_b32 s17, exec_lo
	buffer_store_dword v0, off, s[0:3], s32 offset:340 ; 4-byte Folded Spill
	v_mov_b32_e32 v0, 0
	buffer_store_dword v0, off, s[0:3], s32 offset:344 ; 4-byte Folded Spill
	v_cmpx_lt_u32_e32 0xffffff, v24
	s_cbranch_execz .LBB300_490
; %bb.483:                              ;   in Loop: Header=BB300_10 Depth=1
	v_lshrrev_b32_e32 v4, 24, v24
	v_bfrev_b32_e32 v0, 1
	s_mov_b32 s18, exec_lo
	buffer_store_dword v0, off, s[0:3], s32 offset:344 ; 4-byte Folded Spill
	v_cmpx_ne_u32_e32 0x80, v4
	s_cbranch_execz .LBB300_489
; %bb.484:                              ;   in Loop: Header=BB300_10 Depth=1
	v_and_b32_e32 v2, 0x7f, v4
	v_mov_b32_e32 v0, 0x7c010000
	s_mov_b32 s19, exec_lo
	buffer_store_dword v0, off, s[0:3], s32 offset:344 ; 4-byte Folded Spill
	v_cmpx_ne_u32_e32 0x7f, v2
	s_cbranch_execz .LBB300_488
; %bb.485:                              ;   in Loop: Header=BB300_10 Depth=1
	v_and_b32_e32 v0, 7, v4
	v_lshrrev_b32_e32 v1, 3, v2
	s_mov_b32 s20, exec_lo
	v_cmpx_gt_u32_e32 8, v2
; %bb.486:                              ;   in Loop: Header=BB300_10 Depth=1
	v_ffbh_u32_e32 v0, v0
	v_min_u32_e32 v2, 32, v0
	v_subrev_nc_u32_e32 v0, 28, v2
	v_lshlrev_b64 v[0:1], v0, v[4:5]
	v_sub_nc_u32_e32 v1, 29, v2
	v_and_b32_e32 v0, 7, v0
; %bb.487:                              ;   in Loop: Header=BB300_10 Depth=1
	s_or_b32 exec_lo, exec_lo, s20
	v_lshlrev_b32_e32 v2, 8, v4
	v_lshl_add_u32 v1, v1, 10, 0x2000
	v_lshlrev_b32_e32 v0, 23, v0
	v_and_or_b32 v1, 0x8000, v2, v1
	v_lshl_or_b32 v0, v1, 16, v0
	buffer_store_dword v0, off, s[0:3], s32 offset:344 ; 4-byte Folded Spill
.LBB300_488:                            ;   in Loop: Header=BB300_10 Depth=1
	s_or_b32 exec_lo, exec_lo, s19
.LBB300_489:                            ;   in Loop: Header=BB300_10 Depth=1
	s_or_b32 exec_lo, exec_lo, s18
.LBB300_490:                            ;   in Loop: Header=BB300_10 Depth=1
	s_or_b32 exec_lo, exec_lo, s17
	v_mov_b32_e32 v4, v25
	v_cmp_ne_u16_sdwa s5, v25, v5 src0_sel:BYTE_0 src1_sel:DWORD
	s_and_saveexec_b32 s17, s5
	s_cbranch_execz .LBB300_498
; %bb.491:                              ;   in Loop: Header=BB300_10 Depth=1
	v_cmp_ne_u16_sdwa s5, v25, v111 src0_sel:BYTE_0 src1_sel:DWORD
	v_mov_b32_e32 v0, 0x8000
	buffer_store_dword v0, off, s[0:3], s32 offset:340 ; 4-byte Folded Spill
	s_and_saveexec_b32 s18, s5
	s_cbranch_execz .LBB300_497
; %bb.492:                              ;   in Loop: Header=BB300_10 Depth=1
	v_and_b32_e32 v2, 0x7f, v25
	v_mov_b32_e32 v0, 0x7c01
	s_mov_b32 s19, exec_lo
	buffer_store_dword v0, off, s[0:3], s32 offset:340 ; 4-byte Folded Spill
	v_cmpx_ne_u32_e32 0x7f, v2
	s_cbranch_execz .LBB300_496
; %bb.493:                              ;   in Loop: Header=BB300_10 Depth=1
	v_and_b32_e32 v0, 7, v25
	v_lshrrev_b32_e32 v1, 3, v2
	s_mov_b32 s20, exec_lo
	v_cmpx_gt_u32_e32 8, v2
; %bb.494:                              ;   in Loop: Header=BB300_10 Depth=1
	v_ffbh_u32_e32 v0, v0
	v_min_u32_e32 v2, 32, v0
	v_subrev_nc_u32_e32 v0, 28, v2
	v_lshlrev_b64 v[0:1], v0, v[4:5]
	v_sub_nc_u32_e32 v1, 29, v2
	v_and_b32_e32 v0, 7, v0
; %bb.495:                              ;   in Loop: Header=BB300_10 Depth=1
	s_or_b32 exec_lo, exec_lo, s20
	v_lshlrev_b32_e32 v2, 8, v25
	v_lshl_add_u32 v1, v1, 10, 0x2000
	v_lshlrev_b32_e32 v0, 7, v0
	v_and_b32_e32 v2, 0x8000, v2
	v_and_b32_e32 v1, 0xfc00, v1
	v_or3_b32 v0, v2, v1, v0
	buffer_store_dword v0, off, s[0:3], s32 offset:340 ; 4-byte Folded Spill
.LBB300_496:                            ;   in Loop: Header=BB300_10 Depth=1
	s_or_b32 exec_lo, exec_lo, s19
.LBB300_497:                            ;   in Loop: Header=BB300_10 Depth=1
	s_or_b32 exec_lo, exec_lo, s18
.LBB300_498:                            ;   in Loop: Header=BB300_10 Depth=1
	s_or_b32 exec_lo, exec_lo, s17
	v_mov_b32_e32 v0, 0
	v_lshrrev_b16 v4, 8, v4
	s_mov_b32 s17, exec_lo
	buffer_store_dword v0, off, s[0:3], s32 offset:348 ; 4-byte Folded Spill
	v_mov_b32_e32 v0, 0
	buffer_store_dword v0, off, s[0:3], s32 offset:352 ; 4-byte Folded Spill
	v_cmpx_ne_u16_e32 0, v4
	s_cbranch_execz .LBB300_506
; %bb.499:                              ;   in Loop: Header=BB300_10 Depth=1
	v_bfrev_b32_e32 v0, 1
	s_mov_b32 s18, exec_lo
	buffer_store_dword v0, off, s[0:3], s32 offset:352 ; 4-byte Folded Spill
	v_cmpx_ne_u16_e32 0x80, v4
	s_cbranch_execz .LBB300_505
; %bb.500:                              ;   in Loop: Header=BB300_10 Depth=1
	v_mov_b32_e32 v0, 0x7f
	s_mov_b32 s19, exec_lo
	v_and_b32_sdwa v2, v4, v0 dst_sel:DWORD dst_unused:UNUSED_PAD src0_sel:WORD_0 src1_sel:DWORD
	v_mov_b32_e32 v0, 0x7c010000
	buffer_store_dword v0, off, s[0:3], s32 offset:352 ; 4-byte Folded Spill
	v_cmpx_ne_u32_e32 0x7f, v2
	s_cbranch_execz .LBB300_504
; %bb.501:                              ;   in Loop: Header=BB300_10 Depth=1
	v_mov_b32_e32 v0, 7
	v_lshrrev_b32_e32 v1, 3, v2
	s_mov_b32 s20, exec_lo
	v_and_b32_sdwa v0, v4, v0 dst_sel:DWORD dst_unused:UNUSED_PAD src0_sel:WORD_0 src1_sel:DWORD
	v_cmpx_gt_u32_e32 8, v2
; %bb.502:                              ;   in Loop: Header=BB300_10 Depth=1
	v_ffbh_u32_e32 v0, v0
	v_min_u32_e32 v2, 32, v0
	v_subrev_nc_u32_e32 v0, 28, v2
	v_lshlrev_b64 v[0:1], v0, v[4:5]
	v_sub_nc_u32_e32 v1, 29, v2
	v_and_b32_e32 v0, 7, v0
; %bb.503:                              ;   in Loop: Header=BB300_10 Depth=1
	s_or_b32 exec_lo, exec_lo, s20
	v_mov_b32_e32 v2, 8
	v_lshl_add_u32 v1, v1, 10, 0x2000
	v_lshlrev_b32_e32 v0, 23, v0
	v_lshlrev_b32_sdwa v2, v2, v4 dst_sel:DWORD dst_unused:UNUSED_PAD src0_sel:DWORD src1_sel:WORD_0
	v_and_or_b32 v1, 0x8000, v2, v1
	v_lshl_or_b32 v0, v1, 16, v0
	buffer_store_dword v0, off, s[0:3], s32 offset:352 ; 4-byte Folded Spill
.LBB300_504:                            ;   in Loop: Header=BB300_10 Depth=1
	s_or_b32 exec_lo, exec_lo, s19
.LBB300_505:                            ;   in Loop: Header=BB300_10 Depth=1
	s_or_b32 exec_lo, exec_lo, s18
.LBB300_506:                            ;   in Loop: Header=BB300_10 Depth=1
	s_or_b32 exec_lo, exec_lo, s17
	v_lshrrev_b32_e32 v4, 16, v25
	v_cmp_ne_u16_sdwa s5, v4, v5 src0_sel:BYTE_0 src1_sel:DWORD
	s_and_saveexec_b32 s17, s5
	s_cbranch_execz .LBB300_514
; %bb.507:                              ;   in Loop: Header=BB300_10 Depth=1
	v_cmp_ne_u16_sdwa s5, v4, v111 src0_sel:BYTE_0 src1_sel:DWORD
	v_mov_b32_e32 v0, 0x8000
	buffer_store_dword v0, off, s[0:3], s32 offset:348 ; 4-byte Folded Spill
	s_and_saveexec_b32 s18, s5
	s_cbranch_execz .LBB300_513
; %bb.508:                              ;   in Loop: Header=BB300_10 Depth=1
	v_bfe_u32 v2, v25, 16, 7
	v_mov_b32_e32 v0, 0x7c01
	s_mov_b32 s19, exec_lo
	buffer_store_dword v0, off, s[0:3], s32 offset:348 ; 4-byte Folded Spill
	v_cmpx_ne_u32_e32 0x7f, v2
	s_cbranch_execz .LBB300_512
; %bb.509:                              ;   in Loop: Header=BB300_10 Depth=1
	v_and_b32_e32 v0, 7, v4
	v_lshrrev_b32_e32 v1, 3, v2
	s_mov_b32 s20, exec_lo
	v_cmpx_gt_u32_e32 8, v2
; %bb.510:                              ;   in Loop: Header=BB300_10 Depth=1
	v_ffbh_u32_e32 v0, v0
	v_min_u32_e32 v2, 32, v0
	v_subrev_nc_u32_e32 v0, 28, v2
	v_lshlrev_b64 v[0:1], v0, v[4:5]
	v_sub_nc_u32_e32 v1, 29, v2
	v_and_b32_e32 v0, 7, v0
; %bb.511:                              ;   in Loop: Header=BB300_10 Depth=1
	s_or_b32 exec_lo, exec_lo, s20
	v_lshlrev_b32_e32 v2, 8, v4
	v_lshl_add_u32 v1, v1, 10, 0x2000
	v_lshlrev_b32_e32 v0, 7, v0
	v_and_b32_e32 v2, 0x8000, v2
	v_and_b32_e32 v1, 0xfc00, v1
	v_or3_b32 v0, v2, v1, v0
	buffer_store_dword v0, off, s[0:3], s32 offset:348 ; 4-byte Folded Spill
.LBB300_512:                            ;   in Loop: Header=BB300_10 Depth=1
	s_or_b32 exec_lo, exec_lo, s19
.LBB300_513:                            ;   in Loop: Header=BB300_10 Depth=1
	s_or_b32 exec_lo, exec_lo, s18
.LBB300_514:                            ;   in Loop: Header=BB300_10 Depth=1
	s_or_b32 exec_lo, exec_lo, s17
	v_mov_b32_e32 v0, 0
	s_mov_b32 s17, exec_lo
	buffer_store_dword v0, off, s[0:3], s32 offset:356 ; 4-byte Folded Spill
	v_mov_b32_e32 v0, 0
	buffer_store_dword v0, off, s[0:3], s32 offset:508 ; 4-byte Folded Spill
	v_cmpx_lt_u64_e64 s[6:7], v[24:25]
	s_cbranch_execz .LBB300_522
; %bb.515:                              ;   in Loop: Header=BB300_10 Depth=1
	v_lshrrev_b32_e32 v4, 24, v25
	v_bfrev_b32_e32 v0, 1
	s_mov_b32 s18, exec_lo
	v_cmpx_ne_u32_e32 0x80, v4
	s_cbranch_execz .LBB300_521
; %bb.516:                              ;   in Loop: Header=BB300_10 Depth=1
	v_and_b32_e32 v2, 0x7f, v4
	v_mov_b32_e32 v0, 0x7c010000
	s_mov_b32 s19, exec_lo
	v_cmpx_ne_u32_e32 0x7f, v2
	s_cbranch_execz .LBB300_520
; %bb.517:                              ;   in Loop: Header=BB300_10 Depth=1
	v_and_b32_e32 v0, 7, v4
	v_lshrrev_b32_e32 v1, 3, v2
	s_mov_b32 s20, exec_lo
	v_cmpx_gt_u32_e32 8, v2
; %bb.518:                              ;   in Loop: Header=BB300_10 Depth=1
	v_ffbh_u32_e32 v0, v0
	v_min_u32_e32 v2, 32, v0
	v_subrev_nc_u32_e32 v0, 28, v2
	v_lshlrev_b64 v[0:1], v0, v[4:5]
	v_sub_nc_u32_e32 v1, 29, v2
	v_and_b32_e32 v0, 7, v0
; %bb.519:                              ;   in Loop: Header=BB300_10 Depth=1
	s_or_b32 exec_lo, exec_lo, s20
	v_lshlrev_b32_e32 v2, 8, v4
	v_lshl_add_u32 v1, v1, 10, 0x2000
	v_lshlrev_b32_e32 v0, 23, v0
	v_and_or_b32 v1, 0x8000, v2, v1
	v_lshl_or_b32 v0, v1, 16, v0
.LBB300_520:                            ;   in Loop: Header=BB300_10 Depth=1
	s_or_b32 exec_lo, exec_lo, s19
.LBB300_521:                            ;   in Loop: Header=BB300_10 Depth=1
	s_or_b32 exec_lo, exec_lo, s18
	buffer_store_dword v0, off, s[0:3], s32 offset:508 ; 4-byte Folded Spill
.LBB300_522:                            ;   in Loop: Header=BB300_10 Depth=1
	s_or_b32 exec_lo, exec_lo, s17
	v_add_co_u32 v24, s5, 0x800, v16
	v_add_co_ci_u32_e64 v25, null, 0, v17, s5
	flat_load_dwordx2 v[26:27], v[24:25]
	s_waitcnt vmcnt(0) lgkmcnt(0)
	v_cmp_ne_u16_sdwa s5, v26, v5 src0_sel:BYTE_0 src1_sel:DWORD
	s_and_saveexec_b32 s17, s5
	s_cbranch_execz .LBB300_530
; %bb.523:                              ;   in Loop: Header=BB300_10 Depth=1
	v_cmp_ne_u16_sdwa s5, v26, v111 src0_sel:BYTE_0 src1_sel:DWORD
	v_mov_b32_e32 v0, 0x8000
	buffer_store_dword v0, off, s[0:3], s32 offset:356 ; 4-byte Folded Spill
	s_and_saveexec_b32 s18, s5
	s_cbranch_execz .LBB300_529
; %bb.524:                              ;   in Loop: Header=BB300_10 Depth=1
	v_and_b32_e32 v2, 0x7f, v26
	v_mov_b32_e32 v0, 0x7c01
	s_mov_b32 s19, exec_lo
	buffer_store_dword v0, off, s[0:3], s32 offset:356 ; 4-byte Folded Spill
	v_cmpx_ne_u32_e32 0x7f, v2
	s_cbranch_execz .LBB300_528
; %bb.525:                              ;   in Loop: Header=BB300_10 Depth=1
	v_and_b32_e32 v0, 7, v26
	v_lshrrev_b32_e32 v1, 3, v2
	s_mov_b32 s20, exec_lo
	v_cmpx_gt_u32_e32 8, v2
; %bb.526:                              ;   in Loop: Header=BB300_10 Depth=1
	v_ffbh_u32_e32 v0, v0
	v_min_u32_e32 v2, 32, v0
	v_subrev_nc_u32_e32 v0, 28, v2
	v_lshlrev_b64 v[0:1], v0, v[26:27]
	v_sub_nc_u32_e32 v1, 29, v2
	v_and_b32_e32 v0, 7, v0
; %bb.527:                              ;   in Loop: Header=BB300_10 Depth=1
	s_or_b32 exec_lo, exec_lo, s20
	v_lshlrev_b32_e32 v2, 8, v26
	v_lshl_add_u32 v1, v1, 10, 0x2000
	v_lshlrev_b32_e32 v0, 7, v0
	v_and_b32_e32 v2, 0x8000, v2
	v_and_b32_e32 v1, 0xfc00, v1
	v_or3_b32 v0, v2, v1, v0
	buffer_store_dword v0, off, s[0:3], s32 offset:356 ; 4-byte Folded Spill
.LBB300_528:                            ;   in Loop: Header=BB300_10 Depth=1
	s_or_b32 exec_lo, exec_lo, s19
.LBB300_529:                            ;   in Loop: Header=BB300_10 Depth=1
	s_or_b32 exec_lo, exec_lo, s18
.LBB300_530:                            ;   in Loop: Header=BB300_10 Depth=1
	s_or_b32 exec_lo, exec_lo, s17
	v_mov_b32_e32 v0, 0
	v_lshrrev_b16 v4, 8, v26
	s_mov_b32 s17, exec_lo
	buffer_store_dword v0, off, s[0:3], s32 offset:364 ; 4-byte Folded Spill
	v_mov_b32_e32 v0, 0
	buffer_store_dword v0, off, s[0:3], s32 offset:360 ; 4-byte Folded Spill
	v_cmpx_ne_u16_e32 0, v4
	s_cbranch_execz .LBB300_538
; %bb.531:                              ;   in Loop: Header=BB300_10 Depth=1
	v_bfrev_b32_e32 v0, 1
	s_mov_b32 s18, exec_lo
	buffer_store_dword v0, off, s[0:3], s32 offset:360 ; 4-byte Folded Spill
	v_cmpx_ne_u16_e32 0x80, v4
	s_cbranch_execz .LBB300_537
; %bb.532:                              ;   in Loop: Header=BB300_10 Depth=1
	v_mov_b32_e32 v0, 0x7f
	s_mov_b32 s19, exec_lo
	v_and_b32_sdwa v2, v4, v0 dst_sel:DWORD dst_unused:UNUSED_PAD src0_sel:WORD_0 src1_sel:DWORD
	v_mov_b32_e32 v0, 0x7c010000
	buffer_store_dword v0, off, s[0:3], s32 offset:360 ; 4-byte Folded Spill
	v_cmpx_ne_u32_e32 0x7f, v2
	s_cbranch_execz .LBB300_536
; %bb.533:                              ;   in Loop: Header=BB300_10 Depth=1
	v_mov_b32_e32 v0, 7
	v_lshrrev_b32_e32 v1, 3, v2
	s_mov_b32 s20, exec_lo
	v_and_b32_sdwa v0, v4, v0 dst_sel:DWORD dst_unused:UNUSED_PAD src0_sel:WORD_0 src1_sel:DWORD
	v_cmpx_gt_u32_e32 8, v2
; %bb.534:                              ;   in Loop: Header=BB300_10 Depth=1
	v_ffbh_u32_e32 v0, v0
	v_min_u32_e32 v2, 32, v0
	v_subrev_nc_u32_e32 v0, 28, v2
	v_lshlrev_b64 v[0:1], v0, v[4:5]
	v_sub_nc_u32_e32 v1, 29, v2
	v_and_b32_e32 v0, 7, v0
; %bb.535:                              ;   in Loop: Header=BB300_10 Depth=1
	s_or_b32 exec_lo, exec_lo, s20
	v_mov_b32_e32 v2, 8
	v_lshl_add_u32 v1, v1, 10, 0x2000
	v_lshlrev_b32_e32 v0, 23, v0
	v_lshlrev_b32_sdwa v2, v2, v4 dst_sel:DWORD dst_unused:UNUSED_PAD src0_sel:DWORD src1_sel:WORD_0
	v_and_or_b32 v1, 0x8000, v2, v1
	v_lshl_or_b32 v0, v1, 16, v0
	buffer_store_dword v0, off, s[0:3], s32 offset:360 ; 4-byte Folded Spill
.LBB300_536:                            ;   in Loop: Header=BB300_10 Depth=1
	s_or_b32 exec_lo, exec_lo, s19
.LBB300_537:                            ;   in Loop: Header=BB300_10 Depth=1
	s_or_b32 exec_lo, exec_lo, s18
.LBB300_538:                            ;   in Loop: Header=BB300_10 Depth=1
	s_or_b32 exec_lo, exec_lo, s17
	v_lshrrev_b32_e32 v4, 16, v26
	v_cmp_ne_u16_sdwa s5, v4, v5 src0_sel:BYTE_0 src1_sel:DWORD
	s_and_saveexec_b32 s17, s5
	s_cbranch_execz .LBB300_546
; %bb.539:                              ;   in Loop: Header=BB300_10 Depth=1
	v_cmp_ne_u16_sdwa s5, v4, v111 src0_sel:BYTE_0 src1_sel:DWORD
	v_mov_b32_e32 v0, 0x8000
	buffer_store_dword v0, off, s[0:3], s32 offset:364 ; 4-byte Folded Spill
	s_and_saveexec_b32 s18, s5
	s_cbranch_execz .LBB300_545
; %bb.540:                              ;   in Loop: Header=BB300_10 Depth=1
	v_bfe_u32 v2, v26, 16, 7
	v_mov_b32_e32 v0, 0x7c01
	s_mov_b32 s19, exec_lo
	buffer_store_dword v0, off, s[0:3], s32 offset:364 ; 4-byte Folded Spill
	v_cmpx_ne_u32_e32 0x7f, v2
	s_cbranch_execz .LBB300_544
; %bb.541:                              ;   in Loop: Header=BB300_10 Depth=1
	v_and_b32_e32 v0, 7, v4
	v_lshrrev_b32_e32 v1, 3, v2
	s_mov_b32 s20, exec_lo
	v_cmpx_gt_u32_e32 8, v2
; %bb.542:                              ;   in Loop: Header=BB300_10 Depth=1
	v_ffbh_u32_e32 v0, v0
	v_min_u32_e32 v2, 32, v0
	v_subrev_nc_u32_e32 v0, 28, v2
	v_lshlrev_b64 v[0:1], v0, v[4:5]
	v_sub_nc_u32_e32 v1, 29, v2
	v_and_b32_e32 v0, 7, v0
; %bb.543:                              ;   in Loop: Header=BB300_10 Depth=1
	s_or_b32 exec_lo, exec_lo, s20
	v_lshlrev_b32_e32 v2, 8, v4
	v_lshl_add_u32 v1, v1, 10, 0x2000
	v_lshlrev_b32_e32 v0, 7, v0
	v_and_b32_e32 v2, 0x8000, v2
	v_and_b32_e32 v1, 0xfc00, v1
	v_or3_b32 v0, v2, v1, v0
	buffer_store_dword v0, off, s[0:3], s32 offset:364 ; 4-byte Folded Spill
.LBB300_544:                            ;   in Loop: Header=BB300_10 Depth=1
	s_or_b32 exec_lo, exec_lo, s19
.LBB300_545:                            ;   in Loop: Header=BB300_10 Depth=1
	s_or_b32 exec_lo, exec_lo, s18
.LBB300_546:                            ;   in Loop: Header=BB300_10 Depth=1
	s_or_b32 exec_lo, exec_lo, s17
	v_mov_b32_e32 v0, 0
	s_mov_b32 s17, exec_lo
	buffer_store_dword v0, off, s[0:3], s32 offset:368 ; 4-byte Folded Spill
	v_mov_b32_e32 v0, 0
	buffer_store_dword v0, off, s[0:3], s32 offset:372 ; 4-byte Folded Spill
	v_cmpx_lt_u32_e32 0xffffff, v26
	s_cbranch_execz .LBB300_554
; %bb.547:                              ;   in Loop: Header=BB300_10 Depth=1
	v_lshrrev_b32_e32 v4, 24, v26
	v_bfrev_b32_e32 v0, 1
	s_mov_b32 s18, exec_lo
	buffer_store_dword v0, off, s[0:3], s32 offset:372 ; 4-byte Folded Spill
	v_cmpx_ne_u32_e32 0x80, v4
	s_cbranch_execz .LBB300_553
; %bb.548:                              ;   in Loop: Header=BB300_10 Depth=1
	v_and_b32_e32 v2, 0x7f, v4
	v_mov_b32_e32 v0, 0x7c010000
	s_mov_b32 s19, exec_lo
	buffer_store_dword v0, off, s[0:3], s32 offset:372 ; 4-byte Folded Spill
	v_cmpx_ne_u32_e32 0x7f, v2
	s_cbranch_execz .LBB300_552
; %bb.549:                              ;   in Loop: Header=BB300_10 Depth=1
	v_and_b32_e32 v0, 7, v4
	v_lshrrev_b32_e32 v1, 3, v2
	s_mov_b32 s20, exec_lo
	v_cmpx_gt_u32_e32 8, v2
; %bb.550:                              ;   in Loop: Header=BB300_10 Depth=1
	v_ffbh_u32_e32 v0, v0
	v_min_u32_e32 v2, 32, v0
	v_subrev_nc_u32_e32 v0, 28, v2
	v_lshlrev_b64 v[0:1], v0, v[4:5]
	v_sub_nc_u32_e32 v1, 29, v2
	v_and_b32_e32 v0, 7, v0
; %bb.551:                              ;   in Loop: Header=BB300_10 Depth=1
	s_or_b32 exec_lo, exec_lo, s20
	v_lshlrev_b32_e32 v2, 8, v4
	v_lshl_add_u32 v1, v1, 10, 0x2000
	v_lshlrev_b32_e32 v0, 23, v0
	v_and_or_b32 v1, 0x8000, v2, v1
	v_lshl_or_b32 v0, v1, 16, v0
	buffer_store_dword v0, off, s[0:3], s32 offset:372 ; 4-byte Folded Spill
.LBB300_552:                            ;   in Loop: Header=BB300_10 Depth=1
	s_or_b32 exec_lo, exec_lo, s19
.LBB300_553:                            ;   in Loop: Header=BB300_10 Depth=1
	s_or_b32 exec_lo, exec_lo, s18
.LBB300_554:                            ;   in Loop: Header=BB300_10 Depth=1
	s_or_b32 exec_lo, exec_lo, s17
	v_mov_b32_e32 v4, v27
	v_cmp_ne_u16_sdwa s5, v27, v5 src0_sel:BYTE_0 src1_sel:DWORD
	s_and_saveexec_b32 s17, s5
	s_cbranch_execz .LBB300_562
; %bb.555:                              ;   in Loop: Header=BB300_10 Depth=1
	v_cmp_ne_u16_sdwa s5, v27, v111 src0_sel:BYTE_0 src1_sel:DWORD
	v_mov_b32_e32 v0, 0x8000
	buffer_store_dword v0, off, s[0:3], s32 offset:368 ; 4-byte Folded Spill
	s_and_saveexec_b32 s18, s5
	s_cbranch_execz .LBB300_561
; %bb.556:                              ;   in Loop: Header=BB300_10 Depth=1
	v_and_b32_e32 v2, 0x7f, v27
	v_mov_b32_e32 v0, 0x7c01
	s_mov_b32 s19, exec_lo
	buffer_store_dword v0, off, s[0:3], s32 offset:368 ; 4-byte Folded Spill
	v_cmpx_ne_u32_e32 0x7f, v2
	s_cbranch_execz .LBB300_560
; %bb.557:                              ;   in Loop: Header=BB300_10 Depth=1
	v_and_b32_e32 v0, 7, v27
	v_lshrrev_b32_e32 v1, 3, v2
	s_mov_b32 s20, exec_lo
	v_cmpx_gt_u32_e32 8, v2
; %bb.558:                              ;   in Loop: Header=BB300_10 Depth=1
	v_ffbh_u32_e32 v0, v0
	v_min_u32_e32 v2, 32, v0
	v_subrev_nc_u32_e32 v0, 28, v2
	v_lshlrev_b64 v[0:1], v0, v[4:5]
	v_sub_nc_u32_e32 v1, 29, v2
	v_and_b32_e32 v0, 7, v0
; %bb.559:                              ;   in Loop: Header=BB300_10 Depth=1
	s_or_b32 exec_lo, exec_lo, s20
	v_lshlrev_b32_e32 v2, 8, v27
	v_lshl_add_u32 v1, v1, 10, 0x2000
	v_lshlrev_b32_e32 v0, 7, v0
	v_and_b32_e32 v2, 0x8000, v2
	v_and_b32_e32 v1, 0xfc00, v1
	v_or3_b32 v0, v2, v1, v0
	buffer_store_dword v0, off, s[0:3], s32 offset:368 ; 4-byte Folded Spill
.LBB300_560:                            ;   in Loop: Header=BB300_10 Depth=1
	s_or_b32 exec_lo, exec_lo, s19
.LBB300_561:                            ;   in Loop: Header=BB300_10 Depth=1
	s_or_b32 exec_lo, exec_lo, s18
.LBB300_562:                            ;   in Loop: Header=BB300_10 Depth=1
	s_or_b32 exec_lo, exec_lo, s17
	v_mov_b32_e32 v0, 0
	v_lshrrev_b16 v4, 8, v4
	s_mov_b32 s17, exec_lo
	buffer_store_dword v0, off, s[0:3], s32 offset:376 ; 4-byte Folded Spill
	v_mov_b32_e32 v0, 0
	buffer_store_dword v0, off, s[0:3], s32 offset:380 ; 4-byte Folded Spill
	v_cmpx_ne_u16_e32 0, v4
	s_cbranch_execz .LBB300_570
; %bb.563:                              ;   in Loop: Header=BB300_10 Depth=1
	v_bfrev_b32_e32 v0, 1
	s_mov_b32 s18, exec_lo
	buffer_store_dword v0, off, s[0:3], s32 offset:380 ; 4-byte Folded Spill
	v_cmpx_ne_u16_e32 0x80, v4
	s_cbranch_execz .LBB300_569
; %bb.564:                              ;   in Loop: Header=BB300_10 Depth=1
	v_mov_b32_e32 v0, 0x7f
	s_mov_b32 s19, exec_lo
	v_and_b32_sdwa v2, v4, v0 dst_sel:DWORD dst_unused:UNUSED_PAD src0_sel:WORD_0 src1_sel:DWORD
	v_mov_b32_e32 v0, 0x7c010000
	buffer_store_dword v0, off, s[0:3], s32 offset:380 ; 4-byte Folded Spill
	v_cmpx_ne_u32_e32 0x7f, v2
	s_cbranch_execz .LBB300_568
; %bb.565:                              ;   in Loop: Header=BB300_10 Depth=1
	v_mov_b32_e32 v0, 7
	v_lshrrev_b32_e32 v1, 3, v2
	s_mov_b32 s20, exec_lo
	v_and_b32_sdwa v0, v4, v0 dst_sel:DWORD dst_unused:UNUSED_PAD src0_sel:WORD_0 src1_sel:DWORD
	v_cmpx_gt_u32_e32 8, v2
; %bb.566:                              ;   in Loop: Header=BB300_10 Depth=1
	v_ffbh_u32_e32 v0, v0
	v_min_u32_e32 v2, 32, v0
	v_subrev_nc_u32_e32 v0, 28, v2
	v_lshlrev_b64 v[0:1], v0, v[4:5]
	v_sub_nc_u32_e32 v1, 29, v2
	v_and_b32_e32 v0, 7, v0
; %bb.567:                              ;   in Loop: Header=BB300_10 Depth=1
	s_or_b32 exec_lo, exec_lo, s20
	v_mov_b32_e32 v2, 8
	v_lshl_add_u32 v1, v1, 10, 0x2000
	v_lshlrev_b32_e32 v0, 23, v0
	v_lshlrev_b32_sdwa v2, v2, v4 dst_sel:DWORD dst_unused:UNUSED_PAD src0_sel:DWORD src1_sel:WORD_0
	v_and_or_b32 v1, 0x8000, v2, v1
	v_lshl_or_b32 v0, v1, 16, v0
	buffer_store_dword v0, off, s[0:3], s32 offset:380 ; 4-byte Folded Spill
.LBB300_568:                            ;   in Loop: Header=BB300_10 Depth=1
	s_or_b32 exec_lo, exec_lo, s19
.LBB300_569:                            ;   in Loop: Header=BB300_10 Depth=1
	s_or_b32 exec_lo, exec_lo, s18
.LBB300_570:                            ;   in Loop: Header=BB300_10 Depth=1
	s_or_b32 exec_lo, exec_lo, s17
	v_lshrrev_b32_e32 v4, 16, v27
	v_cmp_ne_u16_sdwa s5, v4, v5 src0_sel:BYTE_0 src1_sel:DWORD
	s_and_saveexec_b32 s17, s5
	s_cbranch_execz .LBB300_578
; %bb.571:                              ;   in Loop: Header=BB300_10 Depth=1
	v_cmp_ne_u16_sdwa s5, v4, v111 src0_sel:BYTE_0 src1_sel:DWORD
	v_mov_b32_e32 v0, 0x8000
	buffer_store_dword v0, off, s[0:3], s32 offset:376 ; 4-byte Folded Spill
	s_and_saveexec_b32 s18, s5
	s_cbranch_execz .LBB300_577
; %bb.572:                              ;   in Loop: Header=BB300_10 Depth=1
	v_bfe_u32 v2, v27, 16, 7
	v_mov_b32_e32 v0, 0x7c01
	s_mov_b32 s19, exec_lo
	buffer_store_dword v0, off, s[0:3], s32 offset:376 ; 4-byte Folded Spill
	v_cmpx_ne_u32_e32 0x7f, v2
	s_cbranch_execz .LBB300_576
; %bb.573:                              ;   in Loop: Header=BB300_10 Depth=1
	v_and_b32_e32 v0, 7, v4
	v_lshrrev_b32_e32 v1, 3, v2
	s_mov_b32 s20, exec_lo
	v_cmpx_gt_u32_e32 8, v2
; %bb.574:                              ;   in Loop: Header=BB300_10 Depth=1
	v_ffbh_u32_e32 v0, v0
	v_min_u32_e32 v2, 32, v0
	v_subrev_nc_u32_e32 v0, 28, v2
	v_lshlrev_b64 v[0:1], v0, v[4:5]
	v_sub_nc_u32_e32 v1, 29, v2
	v_and_b32_e32 v0, 7, v0
; %bb.575:                              ;   in Loop: Header=BB300_10 Depth=1
	s_or_b32 exec_lo, exec_lo, s20
	v_lshlrev_b32_e32 v2, 8, v4
	v_lshl_add_u32 v1, v1, 10, 0x2000
	v_lshlrev_b32_e32 v0, 7, v0
	v_and_b32_e32 v2, 0x8000, v2
	v_and_b32_e32 v1, 0xfc00, v1
	v_or3_b32 v0, v2, v1, v0
	buffer_store_dword v0, off, s[0:3], s32 offset:376 ; 4-byte Folded Spill
.LBB300_576:                            ;   in Loop: Header=BB300_10 Depth=1
	s_or_b32 exec_lo, exec_lo, s19
.LBB300_577:                            ;   in Loop: Header=BB300_10 Depth=1
	s_or_b32 exec_lo, exec_lo, s18
.LBB300_578:                            ;   in Loop: Header=BB300_10 Depth=1
	s_or_b32 exec_lo, exec_lo, s17
	v_mov_b32_e32 v0, 0
	s_mov_b32 s17, exec_lo
	buffer_store_dword v0, off, s[0:3], s32 offset:384 ; 4-byte Folded Spill
	v_mov_b32_e32 v0, 0
	buffer_store_dword v0, off, s[0:3], s32 offset:512 ; 4-byte Folded Spill
	v_cmpx_lt_u64_e64 s[6:7], v[26:27]
	s_cbranch_execz .LBB300_586
; %bb.579:                              ;   in Loop: Header=BB300_10 Depth=1
	v_lshrrev_b32_e32 v4, 24, v27
	v_bfrev_b32_e32 v0, 1
	s_mov_b32 s18, exec_lo
	v_cmpx_ne_u32_e32 0x80, v4
	s_cbranch_execz .LBB300_585
; %bb.580:                              ;   in Loop: Header=BB300_10 Depth=1
	v_and_b32_e32 v2, 0x7f, v4
	v_mov_b32_e32 v0, 0x7c010000
	s_mov_b32 s19, exec_lo
	v_cmpx_ne_u32_e32 0x7f, v2
	s_cbranch_execz .LBB300_584
; %bb.581:                              ;   in Loop: Header=BB300_10 Depth=1
	v_and_b32_e32 v0, 7, v4
	v_lshrrev_b32_e32 v1, 3, v2
	s_mov_b32 s20, exec_lo
	v_cmpx_gt_u32_e32 8, v2
; %bb.582:                              ;   in Loop: Header=BB300_10 Depth=1
	v_ffbh_u32_e32 v0, v0
	v_min_u32_e32 v2, 32, v0
	v_subrev_nc_u32_e32 v0, 28, v2
	v_lshlrev_b64 v[0:1], v0, v[4:5]
	v_sub_nc_u32_e32 v1, 29, v2
	v_and_b32_e32 v0, 7, v0
; %bb.583:                              ;   in Loop: Header=BB300_10 Depth=1
	s_or_b32 exec_lo, exec_lo, s20
	v_lshlrev_b32_e32 v2, 8, v4
	v_lshl_add_u32 v1, v1, 10, 0x2000
	v_lshlrev_b32_e32 v0, 23, v0
	v_and_or_b32 v1, 0x8000, v2, v1
	v_lshl_or_b32 v0, v1, 16, v0
.LBB300_584:                            ;   in Loop: Header=BB300_10 Depth=1
	s_or_b32 exec_lo, exec_lo, s19
.LBB300_585:                            ;   in Loop: Header=BB300_10 Depth=1
	s_or_b32 exec_lo, exec_lo, s18
	buffer_store_dword v0, off, s[0:3], s32 offset:512 ; 4-byte Folded Spill
.LBB300_586:                            ;   in Loop: Header=BB300_10 Depth=1
	s_or_b32 exec_lo, exec_lo, s17
	flat_load_dwordx2 v[26:27], v[24:25] offset:8
	s_waitcnt vmcnt(0) lgkmcnt(0)
	v_cmp_ne_u16_sdwa s5, v26, v5 src0_sel:BYTE_0 src1_sel:DWORD
	s_and_saveexec_b32 s17, s5
	s_cbranch_execz .LBB300_594
; %bb.587:                              ;   in Loop: Header=BB300_10 Depth=1
	v_cmp_ne_u16_sdwa s5, v26, v111 src0_sel:BYTE_0 src1_sel:DWORD
	v_mov_b32_e32 v0, 0x8000
	buffer_store_dword v0, off, s[0:3], s32 offset:384 ; 4-byte Folded Spill
	s_and_saveexec_b32 s18, s5
	s_cbranch_execz .LBB300_593
; %bb.588:                              ;   in Loop: Header=BB300_10 Depth=1
	v_and_b32_e32 v2, 0x7f, v26
	v_mov_b32_e32 v0, 0x7c01
	s_mov_b32 s19, exec_lo
	buffer_store_dword v0, off, s[0:3], s32 offset:384 ; 4-byte Folded Spill
	v_cmpx_ne_u32_e32 0x7f, v2
	s_cbranch_execz .LBB300_592
; %bb.589:                              ;   in Loop: Header=BB300_10 Depth=1
	v_and_b32_e32 v0, 7, v26
	v_lshrrev_b32_e32 v1, 3, v2
	s_mov_b32 s20, exec_lo
	v_cmpx_gt_u32_e32 8, v2
; %bb.590:                              ;   in Loop: Header=BB300_10 Depth=1
	v_ffbh_u32_e32 v0, v0
	v_min_u32_e32 v2, 32, v0
	v_subrev_nc_u32_e32 v0, 28, v2
	v_lshlrev_b64 v[0:1], v0, v[26:27]
	v_sub_nc_u32_e32 v1, 29, v2
	v_and_b32_e32 v0, 7, v0
; %bb.591:                              ;   in Loop: Header=BB300_10 Depth=1
	s_or_b32 exec_lo, exec_lo, s20
	v_lshlrev_b32_e32 v2, 8, v26
	v_lshl_add_u32 v1, v1, 10, 0x2000
	v_lshlrev_b32_e32 v0, 7, v0
	v_and_b32_e32 v2, 0x8000, v2
	v_and_b32_e32 v1, 0xfc00, v1
	v_or3_b32 v0, v2, v1, v0
	buffer_store_dword v0, off, s[0:3], s32 offset:384 ; 4-byte Folded Spill
.LBB300_592:                            ;   in Loop: Header=BB300_10 Depth=1
	s_or_b32 exec_lo, exec_lo, s19
.LBB300_593:                            ;   in Loop: Header=BB300_10 Depth=1
	s_or_b32 exec_lo, exec_lo, s18
.LBB300_594:                            ;   in Loop: Header=BB300_10 Depth=1
	s_or_b32 exec_lo, exec_lo, s17
	v_mov_b32_e32 v0, 0
	v_lshrrev_b16 v4, 8, v26
	s_mov_b32 s17, exec_lo
	buffer_store_dword v0, off, s[0:3], s32 offset:392 ; 4-byte Folded Spill
	v_mov_b32_e32 v0, 0
	buffer_store_dword v0, off, s[0:3], s32 offset:388 ; 4-byte Folded Spill
	v_cmpx_ne_u16_e32 0, v4
	s_cbranch_execz .LBB300_602
; %bb.595:                              ;   in Loop: Header=BB300_10 Depth=1
	v_bfrev_b32_e32 v0, 1
	s_mov_b32 s18, exec_lo
	buffer_store_dword v0, off, s[0:3], s32 offset:388 ; 4-byte Folded Spill
	v_cmpx_ne_u16_e32 0x80, v4
	s_cbranch_execz .LBB300_601
; %bb.596:                              ;   in Loop: Header=BB300_10 Depth=1
	v_mov_b32_e32 v0, 0x7f
	s_mov_b32 s19, exec_lo
	v_and_b32_sdwa v2, v4, v0 dst_sel:DWORD dst_unused:UNUSED_PAD src0_sel:WORD_0 src1_sel:DWORD
	v_mov_b32_e32 v0, 0x7c010000
	buffer_store_dword v0, off, s[0:3], s32 offset:388 ; 4-byte Folded Spill
	v_cmpx_ne_u32_e32 0x7f, v2
	s_cbranch_execz .LBB300_600
; %bb.597:                              ;   in Loop: Header=BB300_10 Depth=1
	v_mov_b32_e32 v0, 7
	v_lshrrev_b32_e32 v1, 3, v2
	s_mov_b32 s20, exec_lo
	v_and_b32_sdwa v0, v4, v0 dst_sel:DWORD dst_unused:UNUSED_PAD src0_sel:WORD_0 src1_sel:DWORD
	v_cmpx_gt_u32_e32 8, v2
; %bb.598:                              ;   in Loop: Header=BB300_10 Depth=1
	v_ffbh_u32_e32 v0, v0
	v_min_u32_e32 v2, 32, v0
	v_subrev_nc_u32_e32 v0, 28, v2
	v_lshlrev_b64 v[0:1], v0, v[4:5]
	v_sub_nc_u32_e32 v1, 29, v2
	v_and_b32_e32 v0, 7, v0
; %bb.599:                              ;   in Loop: Header=BB300_10 Depth=1
	s_or_b32 exec_lo, exec_lo, s20
	v_mov_b32_e32 v2, 8
	v_lshl_add_u32 v1, v1, 10, 0x2000
	v_lshlrev_b32_e32 v0, 23, v0
	v_lshlrev_b32_sdwa v2, v2, v4 dst_sel:DWORD dst_unused:UNUSED_PAD src0_sel:DWORD src1_sel:WORD_0
	v_and_or_b32 v1, 0x8000, v2, v1
	v_lshl_or_b32 v0, v1, 16, v0
	buffer_store_dword v0, off, s[0:3], s32 offset:388 ; 4-byte Folded Spill
.LBB300_600:                            ;   in Loop: Header=BB300_10 Depth=1
	s_or_b32 exec_lo, exec_lo, s19
.LBB300_601:                            ;   in Loop: Header=BB300_10 Depth=1
	s_or_b32 exec_lo, exec_lo, s18
.LBB300_602:                            ;   in Loop: Header=BB300_10 Depth=1
	s_or_b32 exec_lo, exec_lo, s17
	v_lshrrev_b32_e32 v4, 16, v26
	v_cmp_ne_u16_sdwa s5, v4, v5 src0_sel:BYTE_0 src1_sel:DWORD
	s_and_saveexec_b32 s17, s5
	s_cbranch_execz .LBB300_610
; %bb.603:                              ;   in Loop: Header=BB300_10 Depth=1
	v_cmp_ne_u16_sdwa s5, v4, v111 src0_sel:BYTE_0 src1_sel:DWORD
	v_mov_b32_e32 v0, 0x8000
	buffer_store_dword v0, off, s[0:3], s32 offset:392 ; 4-byte Folded Spill
	s_and_saveexec_b32 s18, s5
	s_cbranch_execz .LBB300_609
; %bb.604:                              ;   in Loop: Header=BB300_10 Depth=1
	v_bfe_u32 v2, v26, 16, 7
	v_mov_b32_e32 v0, 0x7c01
	s_mov_b32 s19, exec_lo
	buffer_store_dword v0, off, s[0:3], s32 offset:392 ; 4-byte Folded Spill
	v_cmpx_ne_u32_e32 0x7f, v2
	s_cbranch_execz .LBB300_608
; %bb.605:                              ;   in Loop: Header=BB300_10 Depth=1
	v_and_b32_e32 v0, 7, v4
	v_lshrrev_b32_e32 v1, 3, v2
	s_mov_b32 s20, exec_lo
	v_cmpx_gt_u32_e32 8, v2
; %bb.606:                              ;   in Loop: Header=BB300_10 Depth=1
	v_ffbh_u32_e32 v0, v0
	v_min_u32_e32 v2, 32, v0
	v_subrev_nc_u32_e32 v0, 28, v2
	v_lshlrev_b64 v[0:1], v0, v[4:5]
	v_sub_nc_u32_e32 v1, 29, v2
	v_and_b32_e32 v0, 7, v0
; %bb.607:                              ;   in Loop: Header=BB300_10 Depth=1
	s_or_b32 exec_lo, exec_lo, s20
	v_lshlrev_b32_e32 v2, 8, v4
	v_lshl_add_u32 v1, v1, 10, 0x2000
	v_lshlrev_b32_e32 v0, 7, v0
	v_and_b32_e32 v2, 0x8000, v2
	v_and_b32_e32 v1, 0xfc00, v1
	v_or3_b32 v0, v2, v1, v0
	buffer_store_dword v0, off, s[0:3], s32 offset:392 ; 4-byte Folded Spill
.LBB300_608:                            ;   in Loop: Header=BB300_10 Depth=1
	s_or_b32 exec_lo, exec_lo, s19
.LBB300_609:                            ;   in Loop: Header=BB300_10 Depth=1
	s_or_b32 exec_lo, exec_lo, s18
.LBB300_610:                            ;   in Loop: Header=BB300_10 Depth=1
	s_or_b32 exec_lo, exec_lo, s17
	v_mov_b32_e32 v0, 0
	s_mov_b32 s17, exec_lo
	buffer_store_dword v0, off, s[0:3], s32 offset:396 ; 4-byte Folded Spill
	v_mov_b32_e32 v0, 0
	buffer_store_dword v0, off, s[0:3], s32 offset:400 ; 4-byte Folded Spill
	v_cmpx_lt_u32_e32 0xffffff, v26
	s_cbranch_execz .LBB300_618
; %bb.611:                              ;   in Loop: Header=BB300_10 Depth=1
	v_lshrrev_b32_e32 v4, 24, v26
	v_bfrev_b32_e32 v0, 1
	s_mov_b32 s18, exec_lo
	buffer_store_dword v0, off, s[0:3], s32 offset:400 ; 4-byte Folded Spill
	v_cmpx_ne_u32_e32 0x80, v4
	s_cbranch_execz .LBB300_617
; %bb.612:                              ;   in Loop: Header=BB300_10 Depth=1
	v_and_b32_e32 v2, 0x7f, v4
	v_mov_b32_e32 v0, 0x7c010000
	s_mov_b32 s19, exec_lo
	buffer_store_dword v0, off, s[0:3], s32 offset:400 ; 4-byte Folded Spill
	v_cmpx_ne_u32_e32 0x7f, v2
	s_cbranch_execz .LBB300_616
; %bb.613:                              ;   in Loop: Header=BB300_10 Depth=1
	v_and_b32_e32 v0, 7, v4
	v_lshrrev_b32_e32 v1, 3, v2
	s_mov_b32 s20, exec_lo
	v_cmpx_gt_u32_e32 8, v2
; %bb.614:                              ;   in Loop: Header=BB300_10 Depth=1
	v_ffbh_u32_e32 v0, v0
	v_min_u32_e32 v2, 32, v0
	v_subrev_nc_u32_e32 v0, 28, v2
	v_lshlrev_b64 v[0:1], v0, v[4:5]
	v_sub_nc_u32_e32 v1, 29, v2
	v_and_b32_e32 v0, 7, v0
; %bb.615:                              ;   in Loop: Header=BB300_10 Depth=1
	s_or_b32 exec_lo, exec_lo, s20
	v_lshlrev_b32_e32 v2, 8, v4
	v_lshl_add_u32 v1, v1, 10, 0x2000
	v_lshlrev_b32_e32 v0, 23, v0
	v_and_or_b32 v1, 0x8000, v2, v1
	v_lshl_or_b32 v0, v1, 16, v0
	buffer_store_dword v0, off, s[0:3], s32 offset:400 ; 4-byte Folded Spill
.LBB300_616:                            ;   in Loop: Header=BB300_10 Depth=1
	s_or_b32 exec_lo, exec_lo, s19
.LBB300_617:                            ;   in Loop: Header=BB300_10 Depth=1
	s_or_b32 exec_lo, exec_lo, s18
.LBB300_618:                            ;   in Loop: Header=BB300_10 Depth=1
	s_or_b32 exec_lo, exec_lo, s17
	v_mov_b32_e32 v4, v27
	v_cmp_ne_u16_sdwa s5, v27, v5 src0_sel:BYTE_0 src1_sel:DWORD
	s_and_saveexec_b32 s17, s5
	s_cbranch_execz .LBB300_626
; %bb.619:                              ;   in Loop: Header=BB300_10 Depth=1
	v_cmp_ne_u16_sdwa s5, v27, v111 src0_sel:BYTE_0 src1_sel:DWORD
	v_mov_b32_e32 v0, 0x8000
	buffer_store_dword v0, off, s[0:3], s32 offset:396 ; 4-byte Folded Spill
	s_and_saveexec_b32 s18, s5
	s_cbranch_execz .LBB300_625
; %bb.620:                              ;   in Loop: Header=BB300_10 Depth=1
	v_and_b32_e32 v2, 0x7f, v27
	v_mov_b32_e32 v0, 0x7c01
	s_mov_b32 s19, exec_lo
	buffer_store_dword v0, off, s[0:3], s32 offset:396 ; 4-byte Folded Spill
	v_cmpx_ne_u32_e32 0x7f, v2
	s_cbranch_execz .LBB300_624
; %bb.621:                              ;   in Loop: Header=BB300_10 Depth=1
	v_and_b32_e32 v0, 7, v27
	v_lshrrev_b32_e32 v1, 3, v2
	s_mov_b32 s20, exec_lo
	v_cmpx_gt_u32_e32 8, v2
; %bb.622:                              ;   in Loop: Header=BB300_10 Depth=1
	v_ffbh_u32_e32 v0, v0
	v_min_u32_e32 v2, 32, v0
	v_subrev_nc_u32_e32 v0, 28, v2
	v_lshlrev_b64 v[0:1], v0, v[4:5]
	v_sub_nc_u32_e32 v1, 29, v2
	v_and_b32_e32 v0, 7, v0
; %bb.623:                              ;   in Loop: Header=BB300_10 Depth=1
	s_or_b32 exec_lo, exec_lo, s20
	v_lshlrev_b32_e32 v2, 8, v27
	v_lshl_add_u32 v1, v1, 10, 0x2000
	v_lshlrev_b32_e32 v0, 7, v0
	v_and_b32_e32 v2, 0x8000, v2
	v_and_b32_e32 v1, 0xfc00, v1
	v_or3_b32 v0, v2, v1, v0
	buffer_store_dword v0, off, s[0:3], s32 offset:396 ; 4-byte Folded Spill
.LBB300_624:                            ;   in Loop: Header=BB300_10 Depth=1
	s_or_b32 exec_lo, exec_lo, s19
.LBB300_625:                            ;   in Loop: Header=BB300_10 Depth=1
	s_or_b32 exec_lo, exec_lo, s18
.LBB300_626:                            ;   in Loop: Header=BB300_10 Depth=1
	s_or_b32 exec_lo, exec_lo, s17
	v_mov_b32_e32 v0, 0
	v_lshrrev_b16 v4, 8, v4
	s_mov_b32 s17, exec_lo
	buffer_store_dword v0, off, s[0:3], s32 offset:404 ; 4-byte Folded Spill
	v_mov_b32_e32 v0, 0
	buffer_store_dword v0, off, s[0:3], s32 offset:408 ; 4-byte Folded Spill
	v_cmpx_ne_u16_e32 0, v4
	s_cbranch_execz .LBB300_634
; %bb.627:                              ;   in Loop: Header=BB300_10 Depth=1
	v_bfrev_b32_e32 v0, 1
	s_mov_b32 s18, exec_lo
	buffer_store_dword v0, off, s[0:3], s32 offset:408 ; 4-byte Folded Spill
	v_cmpx_ne_u16_e32 0x80, v4
	s_cbranch_execz .LBB300_633
; %bb.628:                              ;   in Loop: Header=BB300_10 Depth=1
	v_mov_b32_e32 v0, 0x7f
	s_mov_b32 s19, exec_lo
	v_and_b32_sdwa v2, v4, v0 dst_sel:DWORD dst_unused:UNUSED_PAD src0_sel:WORD_0 src1_sel:DWORD
	v_mov_b32_e32 v0, 0x7c010000
	buffer_store_dword v0, off, s[0:3], s32 offset:408 ; 4-byte Folded Spill
	v_cmpx_ne_u32_e32 0x7f, v2
	s_cbranch_execz .LBB300_632
; %bb.629:                              ;   in Loop: Header=BB300_10 Depth=1
	v_mov_b32_e32 v0, 7
	v_lshrrev_b32_e32 v1, 3, v2
	s_mov_b32 s20, exec_lo
	v_and_b32_sdwa v0, v4, v0 dst_sel:DWORD dst_unused:UNUSED_PAD src0_sel:WORD_0 src1_sel:DWORD
	v_cmpx_gt_u32_e32 8, v2
; %bb.630:                              ;   in Loop: Header=BB300_10 Depth=1
	v_ffbh_u32_e32 v0, v0
	v_min_u32_e32 v2, 32, v0
	v_subrev_nc_u32_e32 v0, 28, v2
	v_lshlrev_b64 v[0:1], v0, v[4:5]
	v_sub_nc_u32_e32 v1, 29, v2
	v_and_b32_e32 v0, 7, v0
; %bb.631:                              ;   in Loop: Header=BB300_10 Depth=1
	s_or_b32 exec_lo, exec_lo, s20
	v_mov_b32_e32 v2, 8
	v_lshl_add_u32 v1, v1, 10, 0x2000
	v_lshlrev_b32_e32 v0, 23, v0
	v_lshlrev_b32_sdwa v2, v2, v4 dst_sel:DWORD dst_unused:UNUSED_PAD src0_sel:DWORD src1_sel:WORD_0
	v_and_or_b32 v1, 0x8000, v2, v1
	v_lshl_or_b32 v0, v1, 16, v0
	buffer_store_dword v0, off, s[0:3], s32 offset:408 ; 4-byte Folded Spill
.LBB300_632:                            ;   in Loop: Header=BB300_10 Depth=1
	s_or_b32 exec_lo, exec_lo, s19
.LBB300_633:                            ;   in Loop: Header=BB300_10 Depth=1
	s_or_b32 exec_lo, exec_lo, s18
.LBB300_634:                            ;   in Loop: Header=BB300_10 Depth=1
	s_or_b32 exec_lo, exec_lo, s17
	v_lshrrev_b32_e32 v4, 16, v27
	v_cmp_ne_u16_sdwa s5, v4, v5 src0_sel:BYTE_0 src1_sel:DWORD
	s_and_saveexec_b32 s17, s5
	s_cbranch_execz .LBB300_642
; %bb.635:                              ;   in Loop: Header=BB300_10 Depth=1
	v_cmp_ne_u16_sdwa s5, v4, v111 src0_sel:BYTE_0 src1_sel:DWORD
	v_mov_b32_e32 v0, 0x8000
	buffer_store_dword v0, off, s[0:3], s32 offset:404 ; 4-byte Folded Spill
	s_and_saveexec_b32 s18, s5
	s_cbranch_execz .LBB300_641
; %bb.636:                              ;   in Loop: Header=BB300_10 Depth=1
	v_bfe_u32 v2, v27, 16, 7
	v_mov_b32_e32 v0, 0x7c01
	s_mov_b32 s19, exec_lo
	buffer_store_dword v0, off, s[0:3], s32 offset:404 ; 4-byte Folded Spill
	v_cmpx_ne_u32_e32 0x7f, v2
	s_cbranch_execz .LBB300_640
; %bb.637:                              ;   in Loop: Header=BB300_10 Depth=1
	v_and_b32_e32 v0, 7, v4
	v_lshrrev_b32_e32 v1, 3, v2
	s_mov_b32 s20, exec_lo
	v_cmpx_gt_u32_e32 8, v2
; %bb.638:                              ;   in Loop: Header=BB300_10 Depth=1
	v_ffbh_u32_e32 v0, v0
	v_min_u32_e32 v2, 32, v0
	v_subrev_nc_u32_e32 v0, 28, v2
	v_lshlrev_b64 v[0:1], v0, v[4:5]
	v_sub_nc_u32_e32 v1, 29, v2
	v_and_b32_e32 v0, 7, v0
; %bb.639:                              ;   in Loop: Header=BB300_10 Depth=1
	s_or_b32 exec_lo, exec_lo, s20
	v_lshlrev_b32_e32 v2, 8, v4
	v_lshl_add_u32 v1, v1, 10, 0x2000
	v_lshlrev_b32_e32 v0, 7, v0
	v_and_b32_e32 v2, 0x8000, v2
	v_and_b32_e32 v1, 0xfc00, v1
	v_or3_b32 v0, v2, v1, v0
	buffer_store_dword v0, off, s[0:3], s32 offset:404 ; 4-byte Folded Spill
.LBB300_640:                            ;   in Loop: Header=BB300_10 Depth=1
	s_or_b32 exec_lo, exec_lo, s19
.LBB300_641:                            ;   in Loop: Header=BB300_10 Depth=1
	s_or_b32 exec_lo, exec_lo, s18
.LBB300_642:                            ;   in Loop: Header=BB300_10 Depth=1
	s_or_b32 exec_lo, exec_lo, s17
	v_mov_b32_e32 v0, 0
	v_mov_b32_e32 v22, 0
	s_mov_b32 s17, exec_lo
	buffer_store_dword v0, off, s[0:3], s32 offset:412 ; 4-byte Folded Spill
	v_cmpx_lt_u64_e64 s[6:7], v[26:27]
	s_cbranch_execz .LBB300_650
; %bb.643:                              ;   in Loop: Header=BB300_10 Depth=1
	v_lshrrev_b32_e32 v4, 24, v27
	v_bfrev_b32_e32 v22, 1
	s_mov_b32 s18, exec_lo
	v_cmpx_ne_u32_e32 0x80, v4
	s_cbranch_execz .LBB300_649
; %bb.644:                              ;   in Loop: Header=BB300_10 Depth=1
	v_and_b32_e32 v2, 0x7f, v4
	v_mov_b32_e32 v22, 0x7c010000
	s_mov_b32 s19, exec_lo
	v_cmpx_ne_u32_e32 0x7f, v2
	s_cbranch_execz .LBB300_648
; %bb.645:                              ;   in Loop: Header=BB300_10 Depth=1
	v_and_b32_e32 v0, 7, v4
	v_lshrrev_b32_e32 v1, 3, v2
	s_mov_b32 s20, exec_lo
	v_cmpx_gt_u32_e32 8, v2
; %bb.646:                              ;   in Loop: Header=BB300_10 Depth=1
	v_ffbh_u32_e32 v0, v0
	v_min_u32_e32 v2, 32, v0
	v_subrev_nc_u32_e32 v0, 28, v2
	v_lshlrev_b64 v[0:1], v0, v[4:5]
	v_sub_nc_u32_e32 v1, 29, v2
	v_and_b32_e32 v0, 7, v0
; %bb.647:                              ;   in Loop: Header=BB300_10 Depth=1
	s_or_b32 exec_lo, exec_lo, s20
	v_lshlrev_b32_e32 v2, 8, v4
	v_lshl_add_u32 v1, v1, 10, 0x2000
	v_lshlrev_b32_e32 v0, 23, v0
	v_and_or_b32 v1, 0x8000, v2, v1
	v_lshl_or_b32 v22, v1, 16, v0
.LBB300_648:                            ;   in Loop: Header=BB300_10 Depth=1
	s_or_b32 exec_lo, exec_lo, s19
.LBB300_649:                            ;   in Loop: Header=BB300_10 Depth=1
	s_or_b32 exec_lo, exec_lo, s18
.LBB300_650:                            ;   in Loop: Header=BB300_10 Depth=1
	s_or_b32 exec_lo, exec_lo, s17
	flat_load_dwordx2 v[26:27], v[24:25] offset:512
	s_waitcnt vmcnt(0) lgkmcnt(0)
	v_cmp_ne_u16_sdwa s5, v26, v5 src0_sel:BYTE_0 src1_sel:DWORD
	s_and_saveexec_b32 s17, s5
	s_cbranch_execz .LBB300_658
; %bb.651:                              ;   in Loop: Header=BB300_10 Depth=1
	v_cmp_ne_u16_sdwa s5, v26, v111 src0_sel:BYTE_0 src1_sel:DWORD
	v_mov_b32_e32 v0, 0x8000
	buffer_store_dword v0, off, s[0:3], s32 offset:412 ; 4-byte Folded Spill
	s_and_saveexec_b32 s18, s5
	s_cbranch_execz .LBB300_657
; %bb.652:                              ;   in Loop: Header=BB300_10 Depth=1
	v_and_b32_e32 v2, 0x7f, v26
	v_mov_b32_e32 v0, 0x7c01
	s_mov_b32 s19, exec_lo
	buffer_store_dword v0, off, s[0:3], s32 offset:412 ; 4-byte Folded Spill
	v_cmpx_ne_u32_e32 0x7f, v2
	s_cbranch_execz .LBB300_656
; %bb.653:                              ;   in Loop: Header=BB300_10 Depth=1
	v_and_b32_e32 v0, 7, v26
	v_lshrrev_b32_e32 v1, 3, v2
	s_mov_b32 s20, exec_lo
	v_cmpx_gt_u32_e32 8, v2
; %bb.654:                              ;   in Loop: Header=BB300_10 Depth=1
	v_ffbh_u32_e32 v0, v0
	v_min_u32_e32 v2, 32, v0
	v_subrev_nc_u32_e32 v0, 28, v2
	v_lshlrev_b64 v[0:1], v0, v[26:27]
	v_sub_nc_u32_e32 v1, 29, v2
	v_and_b32_e32 v0, 7, v0
; %bb.655:                              ;   in Loop: Header=BB300_10 Depth=1
	s_or_b32 exec_lo, exec_lo, s20
	v_lshlrev_b32_e32 v2, 8, v26
	v_lshl_add_u32 v1, v1, 10, 0x2000
	v_lshlrev_b32_e32 v0, 7, v0
	v_and_b32_e32 v2, 0x8000, v2
	v_and_b32_e32 v1, 0xfc00, v1
	v_or3_b32 v0, v2, v1, v0
	buffer_store_dword v0, off, s[0:3], s32 offset:412 ; 4-byte Folded Spill
.LBB300_656:                            ;   in Loop: Header=BB300_10 Depth=1
	s_or_b32 exec_lo, exec_lo, s19
.LBB300_657:                            ;   in Loop: Header=BB300_10 Depth=1
	s_or_b32 exec_lo, exec_lo, s18
.LBB300_658:                            ;   in Loop: Header=BB300_10 Depth=1
	s_or_b32 exec_lo, exec_lo, s17
	v_lshrrev_b16 v4, 8, v26
	v_mov_b32_e32 v0, 0
	v_mov_b32_e32 v94, 0
	s_mov_b32 s17, exec_lo
	buffer_store_dword v0, off, s[0:3], s32 offset:416 ; 4-byte Folded Spill
	v_cmpx_ne_u16_e32 0, v4
	s_cbranch_execz .LBB300_666
; %bb.659:                              ;   in Loop: Header=BB300_10 Depth=1
	v_bfrev_b32_e32 v94, 1
	s_mov_b32 s18, exec_lo
	v_cmpx_ne_u16_e32 0x80, v4
	s_cbranch_execz .LBB300_665
; %bb.660:                              ;   in Loop: Header=BB300_10 Depth=1
	v_mov_b32_e32 v0, 0x7f
	v_mov_b32_e32 v94, 0x7c010000
	s_mov_b32 s19, exec_lo
	v_and_b32_sdwa v2, v4, v0 dst_sel:DWORD dst_unused:UNUSED_PAD src0_sel:WORD_0 src1_sel:DWORD
	v_cmpx_ne_u32_e32 0x7f, v2
	s_cbranch_execz .LBB300_664
; %bb.661:                              ;   in Loop: Header=BB300_10 Depth=1
	v_mov_b32_e32 v0, 7
	v_lshrrev_b32_e32 v1, 3, v2
	s_mov_b32 s20, exec_lo
	v_and_b32_sdwa v0, v4, v0 dst_sel:DWORD dst_unused:UNUSED_PAD src0_sel:WORD_0 src1_sel:DWORD
	v_cmpx_gt_u32_e32 8, v2
; %bb.662:                              ;   in Loop: Header=BB300_10 Depth=1
	v_ffbh_u32_e32 v0, v0
	v_min_u32_e32 v2, 32, v0
	v_subrev_nc_u32_e32 v0, 28, v2
	v_lshlrev_b64 v[0:1], v0, v[4:5]
	v_sub_nc_u32_e32 v1, 29, v2
	v_and_b32_e32 v0, 7, v0
; %bb.663:                              ;   in Loop: Header=BB300_10 Depth=1
	s_or_b32 exec_lo, exec_lo, s20
	v_mov_b32_e32 v2, 8
	v_lshl_add_u32 v1, v1, 10, 0x2000
	v_lshlrev_b32_e32 v0, 23, v0
	v_lshlrev_b32_sdwa v2, v2, v4 dst_sel:DWORD dst_unused:UNUSED_PAD src0_sel:DWORD src1_sel:WORD_0
	v_and_or_b32 v1, 0x8000, v2, v1
	v_lshl_or_b32 v94, v1, 16, v0
.LBB300_664:                            ;   in Loop: Header=BB300_10 Depth=1
	s_or_b32 exec_lo, exec_lo, s19
.LBB300_665:                            ;   in Loop: Header=BB300_10 Depth=1
	s_or_b32 exec_lo, exec_lo, s18
.LBB300_666:                            ;   in Loop: Header=BB300_10 Depth=1
	s_or_b32 exec_lo, exec_lo, s17
	v_lshrrev_b32_e32 v4, 16, v26
	v_cmp_ne_u16_sdwa s5, v4, v5 src0_sel:BYTE_0 src1_sel:DWORD
	s_and_saveexec_b32 s17, s5
	s_cbranch_execz .LBB300_674
; %bb.667:                              ;   in Loop: Header=BB300_10 Depth=1
	v_cmp_ne_u16_sdwa s5, v4, v111 src0_sel:BYTE_0 src1_sel:DWORD
	v_mov_b32_e32 v0, 0x8000
	buffer_store_dword v0, off, s[0:3], s32 offset:416 ; 4-byte Folded Spill
	s_and_saveexec_b32 s18, s5
	s_cbranch_execz .LBB300_673
; %bb.668:                              ;   in Loop: Header=BB300_10 Depth=1
	v_bfe_u32 v2, v26, 16, 7
	v_mov_b32_e32 v0, 0x7c01
	s_mov_b32 s19, exec_lo
	buffer_store_dword v0, off, s[0:3], s32 offset:416 ; 4-byte Folded Spill
	v_cmpx_ne_u32_e32 0x7f, v2
	s_cbranch_execz .LBB300_672
; %bb.669:                              ;   in Loop: Header=BB300_10 Depth=1
	v_and_b32_e32 v0, 7, v4
	v_lshrrev_b32_e32 v1, 3, v2
	s_mov_b32 s20, exec_lo
	v_cmpx_gt_u32_e32 8, v2
; %bb.670:                              ;   in Loop: Header=BB300_10 Depth=1
	v_ffbh_u32_e32 v0, v0
	v_min_u32_e32 v2, 32, v0
	v_subrev_nc_u32_e32 v0, 28, v2
	v_lshlrev_b64 v[0:1], v0, v[4:5]
	v_sub_nc_u32_e32 v1, 29, v2
	v_and_b32_e32 v0, 7, v0
; %bb.671:                              ;   in Loop: Header=BB300_10 Depth=1
	s_or_b32 exec_lo, exec_lo, s20
	v_lshlrev_b32_e32 v2, 8, v4
	v_lshl_add_u32 v1, v1, 10, 0x2000
	v_lshlrev_b32_e32 v0, 7, v0
	v_and_b32_e32 v2, 0x8000, v2
	v_and_b32_e32 v1, 0xfc00, v1
	v_or3_b32 v0, v2, v1, v0
	buffer_store_dword v0, off, s[0:3], s32 offset:416 ; 4-byte Folded Spill
.LBB300_672:                            ;   in Loop: Header=BB300_10 Depth=1
	s_or_b32 exec_lo, exec_lo, s19
.LBB300_673:                            ;   in Loop: Header=BB300_10 Depth=1
	s_or_b32 exec_lo, exec_lo, s18
.LBB300_674:                            ;   in Loop: Header=BB300_10 Depth=1
	s_or_b32 exec_lo, exec_lo, s17
	v_mov_b32_e32 v0, 0
	v_mov_b32_e32 v104, 0
	s_mov_b32 s17, exec_lo
	buffer_store_dword v0, off, s[0:3], s32 offset:420 ; 4-byte Folded Spill
	v_cmpx_lt_u32_e32 0xffffff, v26
	s_cbranch_execz .LBB300_682
; %bb.675:                              ;   in Loop: Header=BB300_10 Depth=1
	v_lshrrev_b32_e32 v4, 24, v26
	v_bfrev_b32_e32 v104, 1
	s_mov_b32 s18, exec_lo
	v_cmpx_ne_u32_e32 0x80, v4
	s_cbranch_execz .LBB300_681
; %bb.676:                              ;   in Loop: Header=BB300_10 Depth=1
	v_and_b32_e32 v2, 0x7f, v4
	v_mov_b32_e32 v104, 0x7c010000
	s_mov_b32 s19, exec_lo
	v_cmpx_ne_u32_e32 0x7f, v2
	s_cbranch_execz .LBB300_680
; %bb.677:                              ;   in Loop: Header=BB300_10 Depth=1
	v_and_b32_e32 v0, 7, v4
	v_lshrrev_b32_e32 v1, 3, v2
	s_mov_b32 s20, exec_lo
	v_cmpx_gt_u32_e32 8, v2
; %bb.678:                              ;   in Loop: Header=BB300_10 Depth=1
	v_ffbh_u32_e32 v0, v0
	v_min_u32_e32 v2, 32, v0
	v_subrev_nc_u32_e32 v0, 28, v2
	v_lshlrev_b64 v[0:1], v0, v[4:5]
	v_sub_nc_u32_e32 v1, 29, v2
	v_and_b32_e32 v0, 7, v0
; %bb.679:                              ;   in Loop: Header=BB300_10 Depth=1
	s_or_b32 exec_lo, exec_lo, s20
	v_lshlrev_b32_e32 v2, 8, v4
	v_lshl_add_u32 v1, v1, 10, 0x2000
	v_lshlrev_b32_e32 v0, 23, v0
	v_and_or_b32 v1, 0x8000, v2, v1
	v_lshl_or_b32 v104, v1, 16, v0
.LBB300_680:                            ;   in Loop: Header=BB300_10 Depth=1
	s_or_b32 exec_lo, exec_lo, s19
.LBB300_681:                            ;   in Loop: Header=BB300_10 Depth=1
	s_or_b32 exec_lo, exec_lo, s18
.LBB300_682:                            ;   in Loop: Header=BB300_10 Depth=1
	s_or_b32 exec_lo, exec_lo, s17
	v_mov_b32_e32 v4, v27
	v_cmp_ne_u16_sdwa s5, v27, v5 src0_sel:BYTE_0 src1_sel:DWORD
	s_and_saveexec_b32 s17, s5
	s_cbranch_execz .LBB300_690
; %bb.683:                              ;   in Loop: Header=BB300_10 Depth=1
	v_cmp_ne_u16_sdwa s5, v27, v111 src0_sel:BYTE_0 src1_sel:DWORD
	v_mov_b32_e32 v0, 0x8000
	buffer_store_dword v0, off, s[0:3], s32 offset:420 ; 4-byte Folded Spill
	s_and_saveexec_b32 s18, s5
	s_cbranch_execz .LBB300_689
; %bb.684:                              ;   in Loop: Header=BB300_10 Depth=1
	v_and_b32_e32 v2, 0x7f, v27
	v_mov_b32_e32 v0, 0x7c01
	s_mov_b32 s19, exec_lo
	buffer_store_dword v0, off, s[0:3], s32 offset:420 ; 4-byte Folded Spill
	v_cmpx_ne_u32_e32 0x7f, v2
	s_cbranch_execz .LBB300_688
; %bb.685:                              ;   in Loop: Header=BB300_10 Depth=1
	v_and_b32_e32 v0, 7, v27
	v_lshrrev_b32_e32 v1, 3, v2
	s_mov_b32 s20, exec_lo
	v_cmpx_gt_u32_e32 8, v2
; %bb.686:                              ;   in Loop: Header=BB300_10 Depth=1
	v_ffbh_u32_e32 v0, v0
	v_min_u32_e32 v2, 32, v0
	v_subrev_nc_u32_e32 v0, 28, v2
	v_lshlrev_b64 v[0:1], v0, v[4:5]
	v_sub_nc_u32_e32 v1, 29, v2
	v_and_b32_e32 v0, 7, v0
; %bb.687:                              ;   in Loop: Header=BB300_10 Depth=1
	s_or_b32 exec_lo, exec_lo, s20
	v_lshlrev_b32_e32 v2, 8, v27
	v_lshl_add_u32 v1, v1, 10, 0x2000
	v_lshlrev_b32_e32 v0, 7, v0
	v_and_b32_e32 v2, 0x8000, v2
	v_and_b32_e32 v1, 0xfc00, v1
	v_or3_b32 v0, v2, v1, v0
	buffer_store_dword v0, off, s[0:3], s32 offset:420 ; 4-byte Folded Spill
.LBB300_688:                            ;   in Loop: Header=BB300_10 Depth=1
	s_or_b32 exec_lo, exec_lo, s19
.LBB300_689:                            ;   in Loop: Header=BB300_10 Depth=1
	s_or_b32 exec_lo, exec_lo, s18
.LBB300_690:                            ;   in Loop: Header=BB300_10 Depth=1
	s_or_b32 exec_lo, exec_lo, s17
	v_lshrrev_b16 v4, 8, v4
	v_mov_b32_e32 v0, 0
	v_mov_b32_e32 v122, 0
	s_mov_b32 s17, exec_lo
	buffer_store_dword v0, off, s[0:3], s32 offset:424 ; 4-byte Folded Spill
	v_cmpx_ne_u16_e32 0, v4
	s_cbranch_execz .LBB300_698
; %bb.691:                              ;   in Loop: Header=BB300_10 Depth=1
	v_bfrev_b32_e32 v122, 1
	s_mov_b32 s18, exec_lo
	v_cmpx_ne_u16_e32 0x80, v4
	s_cbranch_execz .LBB300_697
; %bb.692:                              ;   in Loop: Header=BB300_10 Depth=1
	v_mov_b32_e32 v0, 0x7f
	v_mov_b32_e32 v122, 0x7c010000
	s_mov_b32 s19, exec_lo
	v_and_b32_sdwa v2, v4, v0 dst_sel:DWORD dst_unused:UNUSED_PAD src0_sel:WORD_0 src1_sel:DWORD
	v_cmpx_ne_u32_e32 0x7f, v2
	s_cbranch_execz .LBB300_696
; %bb.693:                              ;   in Loop: Header=BB300_10 Depth=1
	v_mov_b32_e32 v0, 7
	v_lshrrev_b32_e32 v1, 3, v2
	s_mov_b32 s20, exec_lo
	v_and_b32_sdwa v0, v4, v0 dst_sel:DWORD dst_unused:UNUSED_PAD src0_sel:WORD_0 src1_sel:DWORD
	v_cmpx_gt_u32_e32 8, v2
; %bb.694:                              ;   in Loop: Header=BB300_10 Depth=1
	v_ffbh_u32_e32 v0, v0
	v_min_u32_e32 v2, 32, v0
	v_subrev_nc_u32_e32 v0, 28, v2
	v_lshlrev_b64 v[0:1], v0, v[4:5]
	v_sub_nc_u32_e32 v1, 29, v2
	v_and_b32_e32 v0, 7, v0
; %bb.695:                              ;   in Loop: Header=BB300_10 Depth=1
	s_or_b32 exec_lo, exec_lo, s20
	v_mov_b32_e32 v2, 8
	v_lshl_add_u32 v1, v1, 10, 0x2000
	v_lshlrev_b32_e32 v0, 23, v0
	v_lshlrev_b32_sdwa v2, v2, v4 dst_sel:DWORD dst_unused:UNUSED_PAD src0_sel:DWORD src1_sel:WORD_0
	v_and_or_b32 v1, 0x8000, v2, v1
	v_lshl_or_b32 v122, v1, 16, v0
.LBB300_696:                            ;   in Loop: Header=BB300_10 Depth=1
	s_or_b32 exec_lo, exec_lo, s19
.LBB300_697:                            ;   in Loop: Header=BB300_10 Depth=1
	s_or_b32 exec_lo, exec_lo, s18
.LBB300_698:                            ;   in Loop: Header=BB300_10 Depth=1
	s_or_b32 exec_lo, exec_lo, s17
	v_lshrrev_b32_e32 v4, 16, v27
	v_cmp_ne_u16_sdwa s5, v4, v5 src0_sel:BYTE_0 src1_sel:DWORD
	s_and_saveexec_b32 s17, s5
	s_cbranch_execz .LBB300_706
; %bb.699:                              ;   in Loop: Header=BB300_10 Depth=1
	v_cmp_ne_u16_sdwa s5, v4, v111 src0_sel:BYTE_0 src1_sel:DWORD
	v_mov_b32_e32 v0, 0x8000
	buffer_store_dword v0, off, s[0:3], s32 offset:424 ; 4-byte Folded Spill
	s_and_saveexec_b32 s18, s5
	s_cbranch_execz .LBB300_705
; %bb.700:                              ;   in Loop: Header=BB300_10 Depth=1
	v_bfe_u32 v2, v27, 16, 7
	v_mov_b32_e32 v0, 0x7c01
	s_mov_b32 s19, exec_lo
	buffer_store_dword v0, off, s[0:3], s32 offset:424 ; 4-byte Folded Spill
	v_cmpx_ne_u32_e32 0x7f, v2
	s_cbranch_execz .LBB300_704
; %bb.701:                              ;   in Loop: Header=BB300_10 Depth=1
	v_and_b32_e32 v0, 7, v4
	v_lshrrev_b32_e32 v1, 3, v2
	s_mov_b32 s20, exec_lo
	v_cmpx_gt_u32_e32 8, v2
; %bb.702:                              ;   in Loop: Header=BB300_10 Depth=1
	v_ffbh_u32_e32 v0, v0
	v_min_u32_e32 v2, 32, v0
	v_subrev_nc_u32_e32 v0, 28, v2
	v_lshlrev_b64 v[0:1], v0, v[4:5]
	v_sub_nc_u32_e32 v1, 29, v2
	v_and_b32_e32 v0, 7, v0
; %bb.703:                              ;   in Loop: Header=BB300_10 Depth=1
	s_or_b32 exec_lo, exec_lo, s20
	v_lshlrev_b32_e32 v2, 8, v4
	v_lshl_add_u32 v1, v1, 10, 0x2000
	v_lshlrev_b32_e32 v0, 7, v0
	v_and_b32_e32 v2, 0x8000, v2
	v_and_b32_e32 v1, 0xfc00, v1
	v_or3_b32 v0, v2, v1, v0
	buffer_store_dword v0, off, s[0:3], s32 offset:424 ; 4-byte Folded Spill
.LBB300_704:                            ;   in Loop: Header=BB300_10 Depth=1
	s_or_b32 exec_lo, exec_lo, s19
.LBB300_705:                            ;   in Loop: Header=BB300_10 Depth=1
	s_or_b32 exec_lo, exec_lo, s18
.LBB300_706:                            ;   in Loop: Header=BB300_10 Depth=1
	s_or_b32 exec_lo, exec_lo, s17
	v_mov_b32_e32 v0, 0
	v_mov_b32_e32 v61, 0
	s_mov_b32 s17, exec_lo
	buffer_store_dword v0, off, s[0:3], s32 offset:428 ; 4-byte Folded Spill
	v_cmpx_lt_u64_e64 s[6:7], v[26:27]
	s_cbranch_execz .LBB300_714
; %bb.707:                              ;   in Loop: Header=BB300_10 Depth=1
	v_lshrrev_b32_e32 v4, 24, v27
	v_bfrev_b32_e32 v61, 1
	s_mov_b32 s18, exec_lo
	v_cmpx_ne_u32_e32 0x80, v4
	s_cbranch_execz .LBB300_713
; %bb.708:                              ;   in Loop: Header=BB300_10 Depth=1
	v_and_b32_e32 v2, 0x7f, v4
	v_mov_b32_e32 v61, 0x7c010000
	s_mov_b32 s19, exec_lo
	v_cmpx_ne_u32_e32 0x7f, v2
	s_cbranch_execz .LBB300_712
; %bb.709:                              ;   in Loop: Header=BB300_10 Depth=1
	v_and_b32_e32 v0, 7, v4
	v_lshrrev_b32_e32 v1, 3, v2
	s_mov_b32 s20, exec_lo
	v_cmpx_gt_u32_e32 8, v2
; %bb.710:                              ;   in Loop: Header=BB300_10 Depth=1
	v_ffbh_u32_e32 v0, v0
	v_min_u32_e32 v2, 32, v0
	v_subrev_nc_u32_e32 v0, 28, v2
	v_lshlrev_b64 v[0:1], v0, v[4:5]
	v_sub_nc_u32_e32 v1, 29, v2
	v_and_b32_e32 v0, 7, v0
; %bb.711:                              ;   in Loop: Header=BB300_10 Depth=1
	s_or_b32 exec_lo, exec_lo, s20
	v_lshlrev_b32_e32 v2, 8, v4
	v_lshl_add_u32 v1, v1, 10, 0x2000
	v_lshlrev_b32_e32 v0, 23, v0
	v_and_or_b32 v1, 0x8000, v2, v1
	v_lshl_or_b32 v61, v1, 16, v0
.LBB300_712:                            ;   in Loop: Header=BB300_10 Depth=1
	s_or_b32 exec_lo, exec_lo, s19
.LBB300_713:                            ;   in Loop: Header=BB300_10 Depth=1
	s_or_b32 exec_lo, exec_lo, s18
.LBB300_714:                            ;   in Loop: Header=BB300_10 Depth=1
	s_or_b32 exec_lo, exec_lo, s17
	flat_load_dwordx2 v[26:27], v[24:25] offset:520
	s_waitcnt vmcnt(0) lgkmcnt(0)
	v_cmp_ne_u16_sdwa s5, v26, v5 src0_sel:BYTE_0 src1_sel:DWORD
	s_and_saveexec_b32 s17, s5
	s_cbranch_execz .LBB300_722
; %bb.715:                              ;   in Loop: Header=BB300_10 Depth=1
	v_cmp_ne_u16_sdwa s5, v26, v111 src0_sel:BYTE_0 src1_sel:DWORD
	v_mov_b32_e32 v0, 0x8000
	buffer_store_dword v0, off, s[0:3], s32 offset:428 ; 4-byte Folded Spill
	s_and_saveexec_b32 s18, s5
	s_cbranch_execz .LBB300_721
; %bb.716:                              ;   in Loop: Header=BB300_10 Depth=1
	v_and_b32_e32 v2, 0x7f, v26
	v_mov_b32_e32 v0, 0x7c01
	s_mov_b32 s19, exec_lo
	buffer_store_dword v0, off, s[0:3], s32 offset:428 ; 4-byte Folded Spill
	v_cmpx_ne_u32_e32 0x7f, v2
	s_cbranch_execz .LBB300_720
; %bb.717:                              ;   in Loop: Header=BB300_10 Depth=1
	v_and_b32_e32 v0, 7, v26
	v_lshrrev_b32_e32 v1, 3, v2
	s_mov_b32 s20, exec_lo
	v_cmpx_gt_u32_e32 8, v2
; %bb.718:                              ;   in Loop: Header=BB300_10 Depth=1
	v_ffbh_u32_e32 v0, v0
	v_min_u32_e32 v2, 32, v0
	v_subrev_nc_u32_e32 v0, 28, v2
	v_lshlrev_b64 v[0:1], v0, v[26:27]
	v_sub_nc_u32_e32 v1, 29, v2
	v_and_b32_e32 v0, 7, v0
; %bb.719:                              ;   in Loop: Header=BB300_10 Depth=1
	s_or_b32 exec_lo, exec_lo, s20
	v_lshlrev_b32_e32 v2, 8, v26
	v_lshl_add_u32 v1, v1, 10, 0x2000
	v_lshlrev_b32_e32 v0, 7, v0
	v_and_b32_e32 v2, 0x8000, v2
	v_and_b32_e32 v1, 0xfc00, v1
	v_or3_b32 v0, v2, v1, v0
	buffer_store_dword v0, off, s[0:3], s32 offset:428 ; 4-byte Folded Spill
.LBB300_720:                            ;   in Loop: Header=BB300_10 Depth=1
	s_or_b32 exec_lo, exec_lo, s19
.LBB300_721:                            ;   in Loop: Header=BB300_10 Depth=1
	s_or_b32 exec_lo, exec_lo, s18
.LBB300_722:                            ;   in Loop: Header=BB300_10 Depth=1
	s_or_b32 exec_lo, exec_lo, s17
	v_lshrrev_b16 v4, 8, v26
	v_mov_b32_e32 v0, 0
	v_mov_b32_e32 v123, 0
	s_mov_b32 s17, exec_lo
	buffer_store_dword v0, off, s[0:3], s32 offset:432 ; 4-byte Folded Spill
	v_cmpx_ne_u16_e32 0, v4
	s_cbranch_execz .LBB300_730
; %bb.723:                              ;   in Loop: Header=BB300_10 Depth=1
	v_bfrev_b32_e32 v123, 1
	s_mov_b32 s18, exec_lo
	v_cmpx_ne_u16_e32 0x80, v4
	s_cbranch_execz .LBB300_729
; %bb.724:                              ;   in Loop: Header=BB300_10 Depth=1
	v_mov_b32_e32 v0, 0x7f
	v_mov_b32_e32 v123, 0x7c010000
	s_mov_b32 s19, exec_lo
	v_and_b32_sdwa v2, v4, v0 dst_sel:DWORD dst_unused:UNUSED_PAD src0_sel:WORD_0 src1_sel:DWORD
	v_cmpx_ne_u32_e32 0x7f, v2
	s_cbranch_execz .LBB300_728
; %bb.725:                              ;   in Loop: Header=BB300_10 Depth=1
	v_mov_b32_e32 v0, 7
	v_lshrrev_b32_e32 v1, 3, v2
	s_mov_b32 s20, exec_lo
	v_and_b32_sdwa v0, v4, v0 dst_sel:DWORD dst_unused:UNUSED_PAD src0_sel:WORD_0 src1_sel:DWORD
	v_cmpx_gt_u32_e32 8, v2
; %bb.726:                              ;   in Loop: Header=BB300_10 Depth=1
	v_ffbh_u32_e32 v0, v0
	v_min_u32_e32 v2, 32, v0
	v_subrev_nc_u32_e32 v0, 28, v2
	v_lshlrev_b64 v[0:1], v0, v[4:5]
	v_sub_nc_u32_e32 v1, 29, v2
	v_and_b32_e32 v0, 7, v0
; %bb.727:                              ;   in Loop: Header=BB300_10 Depth=1
	s_or_b32 exec_lo, exec_lo, s20
	v_mov_b32_e32 v2, 8
	v_lshl_add_u32 v1, v1, 10, 0x2000
	v_lshlrev_b32_e32 v0, 23, v0
	v_lshlrev_b32_sdwa v2, v2, v4 dst_sel:DWORD dst_unused:UNUSED_PAD src0_sel:DWORD src1_sel:WORD_0
	v_and_or_b32 v1, 0x8000, v2, v1
	v_lshl_or_b32 v123, v1, 16, v0
.LBB300_728:                            ;   in Loop: Header=BB300_10 Depth=1
	s_or_b32 exec_lo, exec_lo, s19
.LBB300_729:                            ;   in Loop: Header=BB300_10 Depth=1
	s_or_b32 exec_lo, exec_lo, s18
.LBB300_730:                            ;   in Loop: Header=BB300_10 Depth=1
	s_or_b32 exec_lo, exec_lo, s17
	v_lshrrev_b32_e32 v4, 16, v26
	v_cmp_ne_u16_sdwa s5, v4, v5 src0_sel:BYTE_0 src1_sel:DWORD
	s_and_saveexec_b32 s17, s5
	s_cbranch_execz .LBB300_738
; %bb.731:                              ;   in Loop: Header=BB300_10 Depth=1
	v_cmp_ne_u16_sdwa s5, v4, v111 src0_sel:BYTE_0 src1_sel:DWORD
	v_mov_b32_e32 v0, 0x8000
	buffer_store_dword v0, off, s[0:3], s32 offset:432 ; 4-byte Folded Spill
	s_and_saveexec_b32 s18, s5
	s_cbranch_execz .LBB300_737
; %bb.732:                              ;   in Loop: Header=BB300_10 Depth=1
	v_bfe_u32 v2, v26, 16, 7
	v_mov_b32_e32 v0, 0x7c01
	s_mov_b32 s19, exec_lo
	buffer_store_dword v0, off, s[0:3], s32 offset:432 ; 4-byte Folded Spill
	v_cmpx_ne_u32_e32 0x7f, v2
	s_cbranch_execz .LBB300_736
; %bb.733:                              ;   in Loop: Header=BB300_10 Depth=1
	v_and_b32_e32 v0, 7, v4
	v_lshrrev_b32_e32 v1, 3, v2
	s_mov_b32 s20, exec_lo
	v_cmpx_gt_u32_e32 8, v2
; %bb.734:                              ;   in Loop: Header=BB300_10 Depth=1
	v_ffbh_u32_e32 v0, v0
	v_min_u32_e32 v2, 32, v0
	v_subrev_nc_u32_e32 v0, 28, v2
	v_lshlrev_b64 v[0:1], v0, v[4:5]
	v_sub_nc_u32_e32 v1, 29, v2
	v_and_b32_e32 v0, 7, v0
; %bb.735:                              ;   in Loop: Header=BB300_10 Depth=1
	s_or_b32 exec_lo, exec_lo, s20
	v_lshlrev_b32_e32 v2, 8, v4
	v_lshl_add_u32 v1, v1, 10, 0x2000
	v_lshlrev_b32_e32 v0, 7, v0
	v_and_b32_e32 v2, 0x8000, v2
	v_and_b32_e32 v1, 0xfc00, v1
	v_or3_b32 v0, v2, v1, v0
	buffer_store_dword v0, off, s[0:3], s32 offset:432 ; 4-byte Folded Spill
.LBB300_736:                            ;   in Loop: Header=BB300_10 Depth=1
	s_or_b32 exec_lo, exec_lo, s19
.LBB300_737:                            ;   in Loop: Header=BB300_10 Depth=1
	s_or_b32 exec_lo, exec_lo, s18
.LBB300_738:                            ;   in Loop: Header=BB300_10 Depth=1
	s_or_b32 exec_lo, exec_lo, s17
	v_mov_b32_e32 v0, 0
	v_mov_b32_e32 v74, 0
	s_mov_b32 s17, exec_lo
	buffer_store_dword v0, off, s[0:3], s32 offset:436 ; 4-byte Folded Spill
	v_cmpx_lt_u32_e32 0xffffff, v26
	s_cbranch_execz .LBB300_746
; %bb.739:                              ;   in Loop: Header=BB300_10 Depth=1
	v_lshrrev_b32_e32 v4, 24, v26
	v_bfrev_b32_e32 v74, 1
	s_mov_b32 s18, exec_lo
	v_cmpx_ne_u32_e32 0x80, v4
	s_cbranch_execz .LBB300_745
; %bb.740:                              ;   in Loop: Header=BB300_10 Depth=1
	v_and_b32_e32 v2, 0x7f, v4
	v_mov_b32_e32 v74, 0x7c010000
	s_mov_b32 s19, exec_lo
	v_cmpx_ne_u32_e32 0x7f, v2
	s_cbranch_execz .LBB300_744
; %bb.741:                              ;   in Loop: Header=BB300_10 Depth=1
	v_and_b32_e32 v0, 7, v4
	v_lshrrev_b32_e32 v1, 3, v2
	s_mov_b32 s20, exec_lo
	v_cmpx_gt_u32_e32 8, v2
; %bb.742:                              ;   in Loop: Header=BB300_10 Depth=1
	v_ffbh_u32_e32 v0, v0
	v_min_u32_e32 v2, 32, v0
	v_subrev_nc_u32_e32 v0, 28, v2
	v_lshlrev_b64 v[0:1], v0, v[4:5]
	v_sub_nc_u32_e32 v1, 29, v2
	v_and_b32_e32 v0, 7, v0
; %bb.743:                              ;   in Loop: Header=BB300_10 Depth=1
	s_or_b32 exec_lo, exec_lo, s20
	v_lshlrev_b32_e32 v2, 8, v4
	v_lshl_add_u32 v1, v1, 10, 0x2000
	v_lshlrev_b32_e32 v0, 23, v0
	v_and_or_b32 v1, 0x8000, v2, v1
	v_lshl_or_b32 v74, v1, 16, v0
.LBB300_744:                            ;   in Loop: Header=BB300_10 Depth=1
	s_or_b32 exec_lo, exec_lo, s19
.LBB300_745:                            ;   in Loop: Header=BB300_10 Depth=1
	s_or_b32 exec_lo, exec_lo, s18
.LBB300_746:                            ;   in Loop: Header=BB300_10 Depth=1
	s_or_b32 exec_lo, exec_lo, s17
	v_mov_b32_e32 v4, v27
	v_cmp_ne_u16_sdwa s5, v27, v5 src0_sel:BYTE_0 src1_sel:DWORD
	s_and_saveexec_b32 s17, s5
	s_cbranch_execz .LBB300_754
; %bb.747:                              ;   in Loop: Header=BB300_10 Depth=1
	v_cmp_ne_u16_sdwa s5, v27, v111 src0_sel:BYTE_0 src1_sel:DWORD
	v_mov_b32_e32 v0, 0x8000
	buffer_store_dword v0, off, s[0:3], s32 offset:436 ; 4-byte Folded Spill
	s_and_saveexec_b32 s18, s5
	s_cbranch_execz .LBB300_753
; %bb.748:                              ;   in Loop: Header=BB300_10 Depth=1
	v_and_b32_e32 v2, 0x7f, v27
	v_mov_b32_e32 v0, 0x7c01
	s_mov_b32 s19, exec_lo
	buffer_store_dword v0, off, s[0:3], s32 offset:436 ; 4-byte Folded Spill
	v_cmpx_ne_u32_e32 0x7f, v2
	s_cbranch_execz .LBB300_752
; %bb.749:                              ;   in Loop: Header=BB300_10 Depth=1
	v_and_b32_e32 v0, 7, v27
	v_lshrrev_b32_e32 v1, 3, v2
	s_mov_b32 s20, exec_lo
	v_cmpx_gt_u32_e32 8, v2
; %bb.750:                              ;   in Loop: Header=BB300_10 Depth=1
	v_ffbh_u32_e32 v0, v0
	v_min_u32_e32 v2, 32, v0
	v_subrev_nc_u32_e32 v0, 28, v2
	v_lshlrev_b64 v[0:1], v0, v[4:5]
	v_sub_nc_u32_e32 v1, 29, v2
	v_and_b32_e32 v0, 7, v0
; %bb.751:                              ;   in Loop: Header=BB300_10 Depth=1
	s_or_b32 exec_lo, exec_lo, s20
	v_lshlrev_b32_e32 v2, 8, v27
	v_lshl_add_u32 v1, v1, 10, 0x2000
	v_lshlrev_b32_e32 v0, 7, v0
	v_and_b32_e32 v2, 0x8000, v2
	v_and_b32_e32 v1, 0xfc00, v1
	v_or3_b32 v0, v2, v1, v0
	buffer_store_dword v0, off, s[0:3], s32 offset:436 ; 4-byte Folded Spill
.LBB300_752:                            ;   in Loop: Header=BB300_10 Depth=1
	s_or_b32 exec_lo, exec_lo, s19
.LBB300_753:                            ;   in Loop: Header=BB300_10 Depth=1
	s_or_b32 exec_lo, exec_lo, s18
.LBB300_754:                            ;   in Loop: Header=BB300_10 Depth=1
	s_or_b32 exec_lo, exec_lo, s17
	v_lshrrev_b16 v4, 8, v4
	v_mov_b32_e32 v0, 0
	v_mov_b32_e32 v121, 0
	s_mov_b32 s17, exec_lo
	buffer_store_dword v0, off, s[0:3], s32 offset:440 ; 4-byte Folded Spill
	v_cmpx_ne_u16_e32 0, v4
	s_cbranch_execz .LBB300_762
; %bb.755:                              ;   in Loop: Header=BB300_10 Depth=1
	v_bfrev_b32_e32 v121, 1
	s_mov_b32 s18, exec_lo
	v_cmpx_ne_u16_e32 0x80, v4
	s_cbranch_execz .LBB300_761
; %bb.756:                              ;   in Loop: Header=BB300_10 Depth=1
	v_mov_b32_e32 v0, 0x7f
	v_mov_b32_e32 v121, 0x7c010000
	s_mov_b32 s19, exec_lo
	v_and_b32_sdwa v2, v4, v0 dst_sel:DWORD dst_unused:UNUSED_PAD src0_sel:WORD_0 src1_sel:DWORD
	v_cmpx_ne_u32_e32 0x7f, v2
	s_cbranch_execz .LBB300_760
; %bb.757:                              ;   in Loop: Header=BB300_10 Depth=1
	v_mov_b32_e32 v0, 7
	v_lshrrev_b32_e32 v1, 3, v2
	s_mov_b32 s20, exec_lo
	v_and_b32_sdwa v0, v4, v0 dst_sel:DWORD dst_unused:UNUSED_PAD src0_sel:WORD_0 src1_sel:DWORD
	v_cmpx_gt_u32_e32 8, v2
; %bb.758:                              ;   in Loop: Header=BB300_10 Depth=1
	v_ffbh_u32_e32 v0, v0
	v_min_u32_e32 v2, 32, v0
	v_subrev_nc_u32_e32 v0, 28, v2
	v_lshlrev_b64 v[0:1], v0, v[4:5]
	v_sub_nc_u32_e32 v1, 29, v2
	v_and_b32_e32 v0, 7, v0
; %bb.759:                              ;   in Loop: Header=BB300_10 Depth=1
	s_or_b32 exec_lo, exec_lo, s20
	v_mov_b32_e32 v2, 8
	v_lshl_add_u32 v1, v1, 10, 0x2000
	v_lshlrev_b32_e32 v0, 23, v0
	v_lshlrev_b32_sdwa v2, v2, v4 dst_sel:DWORD dst_unused:UNUSED_PAD src0_sel:DWORD src1_sel:WORD_0
	v_and_or_b32 v1, 0x8000, v2, v1
	v_lshl_or_b32 v121, v1, 16, v0
.LBB300_760:                            ;   in Loop: Header=BB300_10 Depth=1
	s_or_b32 exec_lo, exec_lo, s19
.LBB300_761:                            ;   in Loop: Header=BB300_10 Depth=1
	s_or_b32 exec_lo, exec_lo, s18
.LBB300_762:                            ;   in Loop: Header=BB300_10 Depth=1
	s_or_b32 exec_lo, exec_lo, s17
	v_lshrrev_b32_e32 v4, 16, v27
	v_cmp_ne_u16_sdwa s5, v4, v5 src0_sel:BYTE_0 src1_sel:DWORD
	s_and_saveexec_b32 s17, s5
	s_cbranch_execz .LBB300_770
; %bb.763:                              ;   in Loop: Header=BB300_10 Depth=1
	v_cmp_ne_u16_sdwa s5, v4, v111 src0_sel:BYTE_0 src1_sel:DWORD
	v_mov_b32_e32 v0, 0x8000
	buffer_store_dword v0, off, s[0:3], s32 offset:440 ; 4-byte Folded Spill
	s_and_saveexec_b32 s18, s5
	s_cbranch_execz .LBB300_769
; %bb.764:                              ;   in Loop: Header=BB300_10 Depth=1
	v_bfe_u32 v2, v27, 16, 7
	v_mov_b32_e32 v0, 0x7c01
	s_mov_b32 s19, exec_lo
	buffer_store_dword v0, off, s[0:3], s32 offset:440 ; 4-byte Folded Spill
	v_cmpx_ne_u32_e32 0x7f, v2
	s_cbranch_execz .LBB300_768
; %bb.765:                              ;   in Loop: Header=BB300_10 Depth=1
	v_and_b32_e32 v0, 7, v4
	v_lshrrev_b32_e32 v1, 3, v2
	s_mov_b32 s20, exec_lo
	v_cmpx_gt_u32_e32 8, v2
; %bb.766:                              ;   in Loop: Header=BB300_10 Depth=1
	v_ffbh_u32_e32 v0, v0
	v_min_u32_e32 v2, 32, v0
	v_subrev_nc_u32_e32 v0, 28, v2
	v_lshlrev_b64 v[0:1], v0, v[4:5]
	v_sub_nc_u32_e32 v1, 29, v2
	v_and_b32_e32 v0, 7, v0
; %bb.767:                              ;   in Loop: Header=BB300_10 Depth=1
	s_or_b32 exec_lo, exec_lo, s20
	v_lshlrev_b32_e32 v2, 8, v4
	v_lshl_add_u32 v1, v1, 10, 0x2000
	v_lshlrev_b32_e32 v0, 7, v0
	v_and_b32_e32 v2, 0x8000, v2
	v_and_b32_e32 v1, 0xfc00, v1
	v_or3_b32 v0, v2, v1, v0
	buffer_store_dword v0, off, s[0:3], s32 offset:440 ; 4-byte Folded Spill
.LBB300_768:                            ;   in Loop: Header=BB300_10 Depth=1
	s_or_b32 exec_lo, exec_lo, s19
.LBB300_769:                            ;   in Loop: Header=BB300_10 Depth=1
	s_or_b32 exec_lo, exec_lo, s18
.LBB300_770:                            ;   in Loop: Header=BB300_10 Depth=1
	s_or_b32 exec_lo, exec_lo, s17
	v_mov_b32_e32 v0, 0
	v_mov_b32_e32 v59, 0
	s_mov_b32 s17, exec_lo
	buffer_store_dword v0, off, s[0:3], s32 offset:444 ; 4-byte Folded Spill
	v_cmpx_lt_u64_e64 s[6:7], v[26:27]
	s_cbranch_execz .LBB300_778
; %bb.771:                              ;   in Loop: Header=BB300_10 Depth=1
	v_lshrrev_b32_e32 v4, 24, v27
	v_bfrev_b32_e32 v59, 1
	s_mov_b32 s18, exec_lo
	v_cmpx_ne_u32_e32 0x80, v4
	s_cbranch_execz .LBB300_777
; %bb.772:                              ;   in Loop: Header=BB300_10 Depth=1
	v_and_b32_e32 v2, 0x7f, v4
	v_mov_b32_e32 v59, 0x7c010000
	s_mov_b32 s19, exec_lo
	v_cmpx_ne_u32_e32 0x7f, v2
	s_cbranch_execz .LBB300_776
; %bb.773:                              ;   in Loop: Header=BB300_10 Depth=1
	v_and_b32_e32 v0, 7, v4
	v_lshrrev_b32_e32 v1, 3, v2
	s_mov_b32 s20, exec_lo
	v_cmpx_gt_u32_e32 8, v2
; %bb.774:                              ;   in Loop: Header=BB300_10 Depth=1
	v_ffbh_u32_e32 v0, v0
	v_min_u32_e32 v2, 32, v0
	v_subrev_nc_u32_e32 v0, 28, v2
	v_lshlrev_b64 v[0:1], v0, v[4:5]
	v_sub_nc_u32_e32 v1, 29, v2
	v_and_b32_e32 v0, 7, v0
; %bb.775:                              ;   in Loop: Header=BB300_10 Depth=1
	s_or_b32 exec_lo, exec_lo, s20
	v_lshlrev_b32_e32 v2, 8, v4
	v_lshl_add_u32 v1, v1, 10, 0x2000
	v_lshlrev_b32_e32 v0, 23, v0
	v_and_or_b32 v1, 0x8000, v2, v1
	v_lshl_or_b32 v59, v1, 16, v0
.LBB300_776:                            ;   in Loop: Header=BB300_10 Depth=1
	s_or_b32 exec_lo, exec_lo, s19
.LBB300_777:                            ;   in Loop: Header=BB300_10 Depth=1
	s_or_b32 exec_lo, exec_lo, s18
.LBB300_778:                            ;   in Loop: Header=BB300_10 Depth=1
	s_or_b32 exec_lo, exec_lo, s17
	flat_load_dwordx2 v[26:27], v[24:25] offset:1024
	s_waitcnt vmcnt(0) lgkmcnt(0)
	v_cmp_ne_u16_sdwa s5, v26, v5 src0_sel:BYTE_0 src1_sel:DWORD
	s_and_saveexec_b32 s17, s5
	s_cbranch_execz .LBB300_786
; %bb.779:                              ;   in Loop: Header=BB300_10 Depth=1
	v_cmp_ne_u16_sdwa s5, v26, v111 src0_sel:BYTE_0 src1_sel:DWORD
	v_mov_b32_e32 v0, 0x8000
	buffer_store_dword v0, off, s[0:3], s32 offset:444 ; 4-byte Folded Spill
	s_and_saveexec_b32 s18, s5
	s_cbranch_execz .LBB300_785
; %bb.780:                              ;   in Loop: Header=BB300_10 Depth=1
	v_and_b32_e32 v2, 0x7f, v26
	v_mov_b32_e32 v0, 0x7c01
	s_mov_b32 s19, exec_lo
	buffer_store_dword v0, off, s[0:3], s32 offset:444 ; 4-byte Folded Spill
	v_cmpx_ne_u32_e32 0x7f, v2
	s_cbranch_execz .LBB300_784
; %bb.781:                              ;   in Loop: Header=BB300_10 Depth=1
	v_and_b32_e32 v0, 7, v26
	v_lshrrev_b32_e32 v1, 3, v2
	s_mov_b32 s20, exec_lo
	v_cmpx_gt_u32_e32 8, v2
; %bb.782:                              ;   in Loop: Header=BB300_10 Depth=1
	v_ffbh_u32_e32 v0, v0
	v_min_u32_e32 v2, 32, v0
	v_subrev_nc_u32_e32 v0, 28, v2
	v_lshlrev_b64 v[0:1], v0, v[26:27]
	v_sub_nc_u32_e32 v1, 29, v2
	v_and_b32_e32 v0, 7, v0
; %bb.783:                              ;   in Loop: Header=BB300_10 Depth=1
	s_or_b32 exec_lo, exec_lo, s20
	v_lshlrev_b32_e32 v2, 8, v26
	v_lshl_add_u32 v1, v1, 10, 0x2000
	v_lshlrev_b32_e32 v0, 7, v0
	v_and_b32_e32 v2, 0x8000, v2
	v_and_b32_e32 v1, 0xfc00, v1
	v_or3_b32 v0, v2, v1, v0
	buffer_store_dword v0, off, s[0:3], s32 offset:444 ; 4-byte Folded Spill
.LBB300_784:                            ;   in Loop: Header=BB300_10 Depth=1
	s_or_b32 exec_lo, exec_lo, s19
.LBB300_785:                            ;   in Loop: Header=BB300_10 Depth=1
	s_or_b32 exec_lo, exec_lo, s18
.LBB300_786:                            ;   in Loop: Header=BB300_10 Depth=1
	s_or_b32 exec_lo, exec_lo, s17
	v_lshrrev_b16 v4, 8, v26
	v_mov_b32_e32 v0, 0
	v_mov_b32_e32 v108, 0
	s_mov_b32 s17, exec_lo
	buffer_store_dword v0, off, s[0:3], s32 offset:448 ; 4-byte Folded Spill
	v_cmpx_ne_u16_e32 0, v4
	s_cbranch_execz .LBB300_794
; %bb.787:                              ;   in Loop: Header=BB300_10 Depth=1
	v_bfrev_b32_e32 v108, 1
	s_mov_b32 s18, exec_lo
	v_cmpx_ne_u16_e32 0x80, v4
	s_cbranch_execz .LBB300_793
; %bb.788:                              ;   in Loop: Header=BB300_10 Depth=1
	v_mov_b32_e32 v0, 0x7f
	v_mov_b32_e32 v108, 0x7c010000
	s_mov_b32 s19, exec_lo
	v_and_b32_sdwa v2, v4, v0 dst_sel:DWORD dst_unused:UNUSED_PAD src0_sel:WORD_0 src1_sel:DWORD
	v_cmpx_ne_u32_e32 0x7f, v2
	s_cbranch_execz .LBB300_792
; %bb.789:                              ;   in Loop: Header=BB300_10 Depth=1
	v_mov_b32_e32 v0, 7
	v_lshrrev_b32_e32 v1, 3, v2
	s_mov_b32 s20, exec_lo
	v_and_b32_sdwa v0, v4, v0 dst_sel:DWORD dst_unused:UNUSED_PAD src0_sel:WORD_0 src1_sel:DWORD
	v_cmpx_gt_u32_e32 8, v2
; %bb.790:                              ;   in Loop: Header=BB300_10 Depth=1
	v_ffbh_u32_e32 v0, v0
	v_min_u32_e32 v2, 32, v0
	v_subrev_nc_u32_e32 v0, 28, v2
	v_lshlrev_b64 v[0:1], v0, v[4:5]
	v_sub_nc_u32_e32 v1, 29, v2
	v_and_b32_e32 v0, 7, v0
; %bb.791:                              ;   in Loop: Header=BB300_10 Depth=1
	s_or_b32 exec_lo, exec_lo, s20
	v_mov_b32_e32 v2, 8
	v_lshl_add_u32 v1, v1, 10, 0x2000
	v_lshlrev_b32_e32 v0, 23, v0
	v_lshlrev_b32_sdwa v2, v2, v4 dst_sel:DWORD dst_unused:UNUSED_PAD src0_sel:DWORD src1_sel:WORD_0
	v_and_or_b32 v1, 0x8000, v2, v1
	v_lshl_or_b32 v108, v1, 16, v0
.LBB300_792:                            ;   in Loop: Header=BB300_10 Depth=1
	s_or_b32 exec_lo, exec_lo, s19
.LBB300_793:                            ;   in Loop: Header=BB300_10 Depth=1
	s_or_b32 exec_lo, exec_lo, s18
.LBB300_794:                            ;   in Loop: Header=BB300_10 Depth=1
	s_or_b32 exec_lo, exec_lo, s17
	v_lshrrev_b32_e32 v4, 16, v26
	v_cmp_ne_u16_sdwa s5, v4, v5 src0_sel:BYTE_0 src1_sel:DWORD
	s_and_saveexec_b32 s17, s5
	s_cbranch_execz .LBB300_802
; %bb.795:                              ;   in Loop: Header=BB300_10 Depth=1
	v_cmp_ne_u16_sdwa s5, v4, v111 src0_sel:BYTE_0 src1_sel:DWORD
	v_mov_b32_e32 v0, 0x8000
	buffer_store_dword v0, off, s[0:3], s32 offset:448 ; 4-byte Folded Spill
	s_and_saveexec_b32 s18, s5
	s_cbranch_execz .LBB300_801
; %bb.796:                              ;   in Loop: Header=BB300_10 Depth=1
	v_bfe_u32 v2, v26, 16, 7
	v_mov_b32_e32 v0, 0x7c01
	s_mov_b32 s19, exec_lo
	buffer_store_dword v0, off, s[0:3], s32 offset:448 ; 4-byte Folded Spill
	v_cmpx_ne_u32_e32 0x7f, v2
	s_cbranch_execz .LBB300_800
; %bb.797:                              ;   in Loop: Header=BB300_10 Depth=1
	v_and_b32_e32 v0, 7, v4
	v_lshrrev_b32_e32 v1, 3, v2
	s_mov_b32 s20, exec_lo
	v_cmpx_gt_u32_e32 8, v2
; %bb.798:                              ;   in Loop: Header=BB300_10 Depth=1
	v_ffbh_u32_e32 v0, v0
	v_min_u32_e32 v2, 32, v0
	v_subrev_nc_u32_e32 v0, 28, v2
	v_lshlrev_b64 v[0:1], v0, v[4:5]
	v_sub_nc_u32_e32 v1, 29, v2
	v_and_b32_e32 v0, 7, v0
; %bb.799:                              ;   in Loop: Header=BB300_10 Depth=1
	s_or_b32 exec_lo, exec_lo, s20
	v_lshlrev_b32_e32 v2, 8, v4
	v_lshl_add_u32 v1, v1, 10, 0x2000
	v_lshlrev_b32_e32 v0, 7, v0
	v_and_b32_e32 v2, 0x8000, v2
	v_and_b32_e32 v1, 0xfc00, v1
	v_or3_b32 v0, v2, v1, v0
	buffer_store_dword v0, off, s[0:3], s32 offset:448 ; 4-byte Folded Spill
.LBB300_800:                            ;   in Loop: Header=BB300_10 Depth=1
	s_or_b32 exec_lo, exec_lo, s19
.LBB300_801:                            ;   in Loop: Header=BB300_10 Depth=1
	s_or_b32 exec_lo, exec_lo, s18
.LBB300_802:                            ;   in Loop: Header=BB300_10 Depth=1
	s_or_b32 exec_lo, exec_lo, s17
	v_mov_b32_e32 v0, 0
	v_mov_b32_e32 v1, 0
	s_mov_b32 s17, exec_lo
	buffer_store_dword v0, off, s[0:3], s32 offset:452 ; 4-byte Folded Spill
	v_cmpx_lt_u32_e32 0xffffff, v26
	s_cbranch_execz .LBB300_810
; %bb.803:                              ;   in Loop: Header=BB300_10 Depth=1
	v_lshrrev_b32_e32 v4, 24, v26
	v_bfrev_b32_e32 v1, 1
	s_mov_b32 s18, exec_lo
	v_cmpx_ne_u32_e32 0x80, v4
	s_cbranch_execz .LBB300_809
; %bb.804:                              ;   in Loop: Header=BB300_10 Depth=1
	v_and_b32_e32 v2, 0x7f, v4
	v_mov_b32_e32 v1, 0x7c010000
	s_mov_b32 s19, exec_lo
	v_cmpx_ne_u32_e32 0x7f, v2
	s_cbranch_execz .LBB300_808
; %bb.805:                              ;   in Loop: Header=BB300_10 Depth=1
	v_and_b32_e32 v0, 7, v4
	v_lshrrev_b32_e32 v1, 3, v2
	s_mov_b32 s20, exec_lo
	v_cmpx_gt_u32_e32 8, v2
; %bb.806:                              ;   in Loop: Header=BB300_10 Depth=1
	v_ffbh_u32_e32 v0, v0
	v_min_u32_e32 v2, 32, v0
	v_subrev_nc_u32_e32 v0, 28, v2
	v_lshlrev_b64 v[0:1], v0, v[4:5]
	v_sub_nc_u32_e32 v1, 29, v2
	v_and_b32_e32 v0, 7, v0
; %bb.807:                              ;   in Loop: Header=BB300_10 Depth=1
	s_or_b32 exec_lo, exec_lo, s20
	v_lshlrev_b32_e32 v2, 8, v4
	v_lshl_add_u32 v1, v1, 10, 0x2000
	v_lshlrev_b32_e32 v0, 23, v0
	v_and_or_b32 v1, 0x8000, v2, v1
	v_lshl_or_b32 v1, v1, 16, v0
.LBB300_808:                            ;   in Loop: Header=BB300_10 Depth=1
	s_or_b32 exec_lo, exec_lo, s19
.LBB300_809:                            ;   in Loop: Header=BB300_10 Depth=1
	s_or_b32 exec_lo, exec_lo, s18
.LBB300_810:                            ;   in Loop: Header=BB300_10 Depth=1
	s_or_b32 exec_lo, exec_lo, s17
	v_mov_b32_e32 v4, v27
	v_cmp_ne_u16_sdwa s5, v27, v5 src0_sel:BYTE_0 src1_sel:DWORD
	s_and_saveexec_b32 s17, s5
	s_cbranch_execz .LBB300_818
; %bb.811:                              ;   in Loop: Header=BB300_10 Depth=1
	v_cmp_ne_u16_sdwa s5, v27, v111 src0_sel:BYTE_0 src1_sel:DWORD
	v_mov_b32_e32 v0, 0x8000
	buffer_store_dword v0, off, s[0:3], s32 offset:452 ; 4-byte Folded Spill
	s_and_saveexec_b32 s18, s5
	s_cbranch_execz .LBB300_817
; %bb.812:                              ;   in Loop: Header=BB300_10 Depth=1
	v_and_b32_e32 v3, 0x7f, v27
	v_mov_b32_e32 v0, 0x7c01
	s_mov_b32 s19, exec_lo
	buffer_store_dword v0, off, s[0:3], s32 offset:452 ; 4-byte Folded Spill
	v_cmpx_ne_u32_e32 0x7f, v3
	s_cbranch_execz .LBB300_816
; %bb.813:                              ;   in Loop: Header=BB300_10 Depth=1
	v_and_b32_e32 v0, 7, v27
	v_lshrrev_b32_e32 v2, 3, v3
	s_mov_b32 s20, exec_lo
	v_cmpx_gt_u32_e32 8, v3
; %bb.814:                              ;   in Loop: Header=BB300_10 Depth=1
	v_ffbh_u32_e32 v0, v0
	v_min_u32_e32 v0, 32, v0
	v_subrev_nc_u32_e32 v2, 28, v0
	v_lshlrev_b64 v[8:9], v2, v[4:5]
	v_sub_nc_u32_e32 v2, 29, v0
	v_and_b32_e32 v0, 7, v8
; %bb.815:                              ;   in Loop: Header=BB300_10 Depth=1
	s_or_b32 exec_lo, exec_lo, s20
	v_lshlrev_b32_e32 v3, 8, v27
	v_lshl_add_u32 v2, v2, 10, 0x2000
	v_lshlrev_b32_e32 v0, 7, v0
	v_and_b32_e32 v3, 0x8000, v3
	v_and_b32_e32 v2, 0xfc00, v2
	v_or3_b32 v0, v3, v2, v0
	buffer_store_dword v0, off, s[0:3], s32 offset:452 ; 4-byte Folded Spill
.LBB300_816:                            ;   in Loop: Header=BB300_10 Depth=1
	s_or_b32 exec_lo, exec_lo, s19
.LBB300_817:                            ;   in Loop: Header=BB300_10 Depth=1
	s_or_b32 exec_lo, exec_lo, s18
.LBB300_818:                            ;   in Loop: Header=BB300_10 Depth=1
	s_or_b32 exec_lo, exec_lo, s17
	v_lshrrev_b16 v4, 8, v4
	v_mov_b32_e32 v0, 0
	v_mov_b32_e32 v118, 0
	s_mov_b32 s17, exec_lo
	buffer_store_dword v0, off, s[0:3], s32 offset:456 ; 4-byte Folded Spill
	v_cmpx_ne_u16_e32 0, v4
	s_cbranch_execz .LBB300_826
; %bb.819:                              ;   in Loop: Header=BB300_10 Depth=1
	v_bfrev_b32_e32 v118, 1
	s_mov_b32 s18, exec_lo
	v_cmpx_ne_u16_e32 0x80, v4
	s_cbranch_execz .LBB300_825
; %bb.820:                              ;   in Loop: Header=BB300_10 Depth=1
	v_mov_b32_e32 v0, 0x7f
	v_mov_b32_e32 v118, 0x7c010000
	s_mov_b32 s19, exec_lo
	v_and_b32_sdwa v3, v4, v0 dst_sel:DWORD dst_unused:UNUSED_PAD src0_sel:WORD_0 src1_sel:DWORD
	v_cmpx_ne_u32_e32 0x7f, v3
	s_cbranch_execz .LBB300_824
; %bb.821:                              ;   in Loop: Header=BB300_10 Depth=1
	v_mov_b32_e32 v0, 7
	v_lshrrev_b32_e32 v2, 3, v3
	s_mov_b32 s20, exec_lo
	v_and_b32_sdwa v0, v4, v0 dst_sel:DWORD dst_unused:UNUSED_PAD src0_sel:WORD_0 src1_sel:DWORD
	v_cmpx_gt_u32_e32 8, v3
; %bb.822:                              ;   in Loop: Header=BB300_10 Depth=1
	v_ffbh_u32_e32 v0, v0
	v_min_u32_e32 v0, 32, v0
	v_subrev_nc_u32_e32 v2, 28, v0
	v_lshlrev_b64 v[8:9], v2, v[4:5]
	v_sub_nc_u32_e32 v2, 29, v0
	v_and_b32_e32 v0, 7, v8
; %bb.823:                              ;   in Loop: Header=BB300_10 Depth=1
	s_or_b32 exec_lo, exec_lo, s20
	v_mov_b32_e32 v3, 8
	v_lshl_add_u32 v2, v2, 10, 0x2000
	v_lshlrev_b32_e32 v0, 23, v0
	v_lshlrev_b32_sdwa v3, v3, v4 dst_sel:DWORD dst_unused:UNUSED_PAD src0_sel:DWORD src1_sel:WORD_0
	v_and_or_b32 v2, 0x8000, v3, v2
	v_lshl_or_b32 v118, v2, 16, v0
.LBB300_824:                            ;   in Loop: Header=BB300_10 Depth=1
	s_or_b32 exec_lo, exec_lo, s19
.LBB300_825:                            ;   in Loop: Header=BB300_10 Depth=1
	s_or_b32 exec_lo, exec_lo, s18
.LBB300_826:                            ;   in Loop: Header=BB300_10 Depth=1
	s_or_b32 exec_lo, exec_lo, s17
	v_lshrrev_b32_e32 v4, 16, v27
	v_cmp_ne_u16_sdwa s5, v4, v5 src0_sel:BYTE_0 src1_sel:DWORD
	s_and_saveexec_b32 s17, s5
	s_cbranch_execz .LBB300_834
; %bb.827:                              ;   in Loop: Header=BB300_10 Depth=1
	v_cmp_ne_u16_sdwa s5, v4, v111 src0_sel:BYTE_0 src1_sel:DWORD
	v_mov_b32_e32 v0, 0x8000
	buffer_store_dword v0, off, s[0:3], s32 offset:456 ; 4-byte Folded Spill
	s_and_saveexec_b32 s18, s5
	s_cbranch_execz .LBB300_833
; %bb.828:                              ;   in Loop: Header=BB300_10 Depth=1
	v_bfe_u32 v3, v27, 16, 7
	v_mov_b32_e32 v0, 0x7c01
	s_mov_b32 s19, exec_lo
	buffer_store_dword v0, off, s[0:3], s32 offset:456 ; 4-byte Folded Spill
	v_cmpx_ne_u32_e32 0x7f, v3
	s_cbranch_execz .LBB300_832
; %bb.829:                              ;   in Loop: Header=BB300_10 Depth=1
	v_and_b32_e32 v0, 7, v4
	v_lshrrev_b32_e32 v2, 3, v3
	s_mov_b32 s20, exec_lo
	v_cmpx_gt_u32_e32 8, v3
; %bb.830:                              ;   in Loop: Header=BB300_10 Depth=1
	v_ffbh_u32_e32 v0, v0
	v_min_u32_e32 v0, 32, v0
	v_subrev_nc_u32_e32 v2, 28, v0
	v_lshlrev_b64 v[8:9], v2, v[4:5]
	v_sub_nc_u32_e32 v2, 29, v0
	v_and_b32_e32 v0, 7, v8
; %bb.831:                              ;   in Loop: Header=BB300_10 Depth=1
	s_or_b32 exec_lo, exec_lo, s20
	v_lshlrev_b32_e32 v3, 8, v4
	v_lshl_add_u32 v2, v2, 10, 0x2000
	v_lshlrev_b32_e32 v0, 7, v0
	v_and_b32_e32 v3, 0x8000, v3
	v_and_b32_e32 v2, 0xfc00, v2
	v_or3_b32 v0, v3, v2, v0
	buffer_store_dword v0, off, s[0:3], s32 offset:456 ; 4-byte Folded Spill
.LBB300_832:                            ;   in Loop: Header=BB300_10 Depth=1
	s_or_b32 exec_lo, exec_lo, s19
.LBB300_833:                            ;   in Loop: Header=BB300_10 Depth=1
	s_or_b32 exec_lo, exec_lo, s18
.LBB300_834:                            ;   in Loop: Header=BB300_10 Depth=1
	s_or_b32 exec_lo, exec_lo, s17
	v_mov_b32_e32 v0, 0
	v_mov_b32_e32 v34, 0
	s_mov_b32 s17, exec_lo
	buffer_store_dword v0, off, s[0:3], s32 offset:460 ; 4-byte Folded Spill
	v_cmpx_lt_u64_e64 s[6:7], v[26:27]
	s_cbranch_execz .LBB300_842
; %bb.835:                              ;   in Loop: Header=BB300_10 Depth=1
	v_lshrrev_b32_e32 v4, 24, v27
	v_bfrev_b32_e32 v34, 1
	s_mov_b32 s18, exec_lo
	v_cmpx_ne_u32_e32 0x80, v4
	s_cbranch_execz .LBB300_841
; %bb.836:                              ;   in Loop: Header=BB300_10 Depth=1
	v_and_b32_e32 v3, 0x7f, v4
	v_mov_b32_e32 v34, 0x7c010000
	s_mov_b32 s19, exec_lo
	v_cmpx_ne_u32_e32 0x7f, v3
	s_cbranch_execz .LBB300_840
; %bb.837:                              ;   in Loop: Header=BB300_10 Depth=1
	v_and_b32_e32 v0, 7, v4
	v_lshrrev_b32_e32 v2, 3, v3
	s_mov_b32 s20, exec_lo
	v_cmpx_gt_u32_e32 8, v3
; %bb.838:                              ;   in Loop: Header=BB300_10 Depth=1
	v_ffbh_u32_e32 v0, v0
	v_min_u32_e32 v0, 32, v0
	v_subrev_nc_u32_e32 v2, 28, v0
	v_lshlrev_b64 v[8:9], v2, v[4:5]
	v_sub_nc_u32_e32 v2, 29, v0
	v_and_b32_e32 v0, 7, v8
; %bb.839:                              ;   in Loop: Header=BB300_10 Depth=1
	s_or_b32 exec_lo, exec_lo, s20
	v_lshlrev_b32_e32 v3, 8, v4
	v_lshl_add_u32 v2, v2, 10, 0x2000
	v_lshlrev_b32_e32 v0, 23, v0
	v_and_or_b32 v2, 0x8000, v3, v2
	v_lshl_or_b32 v34, v2, 16, v0
.LBB300_840:                            ;   in Loop: Header=BB300_10 Depth=1
	s_or_b32 exec_lo, exec_lo, s19
.LBB300_841:                            ;   in Loop: Header=BB300_10 Depth=1
	s_or_b32 exec_lo, exec_lo, s18
.LBB300_842:                            ;   in Loop: Header=BB300_10 Depth=1
	s_or_b32 exec_lo, exec_lo, s17
	flat_load_dwordx2 v[26:27], v[24:25] offset:1032
	s_waitcnt vmcnt(0) lgkmcnt(0)
	v_cmp_ne_u16_sdwa s5, v26, v5 src0_sel:BYTE_0 src1_sel:DWORD
	s_and_saveexec_b32 s17, s5
	s_cbranch_execz .LBB300_850
; %bb.843:                              ;   in Loop: Header=BB300_10 Depth=1
	v_cmp_ne_u16_sdwa s5, v26, v111 src0_sel:BYTE_0 src1_sel:DWORD
	v_mov_b32_e32 v0, 0x8000
	buffer_store_dword v0, off, s[0:3], s32 offset:460 ; 4-byte Folded Spill
	s_and_saveexec_b32 s18, s5
	s_cbranch_execz .LBB300_849
; %bb.844:                              ;   in Loop: Header=BB300_10 Depth=1
	v_and_b32_e32 v3, 0x7f, v26
	v_mov_b32_e32 v0, 0x7c01
	s_mov_b32 s19, exec_lo
	buffer_store_dword v0, off, s[0:3], s32 offset:460 ; 4-byte Folded Spill
	v_cmpx_ne_u32_e32 0x7f, v3
	s_cbranch_execz .LBB300_848
; %bb.845:                              ;   in Loop: Header=BB300_10 Depth=1
	v_and_b32_e32 v0, 7, v26
	v_lshrrev_b32_e32 v2, 3, v3
	s_mov_b32 s20, exec_lo
	v_cmpx_gt_u32_e32 8, v3
; %bb.846:                              ;   in Loop: Header=BB300_10 Depth=1
	v_ffbh_u32_e32 v0, v0
	v_min_u32_e32 v0, 32, v0
	v_subrev_nc_u32_e32 v2, 28, v0
	v_lshlrev_b64 v[3:4], v2, v[26:27]
	v_sub_nc_u32_e32 v2, 29, v0
	v_and_b32_e32 v0, 7, v3
; %bb.847:                              ;   in Loop: Header=BB300_10 Depth=1
	s_or_b32 exec_lo, exec_lo, s20
	v_lshlrev_b32_e32 v3, 8, v26
	v_lshl_add_u32 v2, v2, 10, 0x2000
	v_lshlrev_b32_e32 v0, 7, v0
	v_and_b32_e32 v3, 0x8000, v3
	v_and_b32_e32 v2, 0xfc00, v2
	v_or3_b32 v0, v3, v2, v0
	buffer_store_dword v0, off, s[0:3], s32 offset:460 ; 4-byte Folded Spill
.LBB300_848:                            ;   in Loop: Header=BB300_10 Depth=1
	s_or_b32 exec_lo, exec_lo, s19
.LBB300_849:                            ;   in Loop: Header=BB300_10 Depth=1
	s_or_b32 exec_lo, exec_lo, s18
.LBB300_850:                            ;   in Loop: Header=BB300_10 Depth=1
	s_or_b32 exec_lo, exec_lo, s17
	v_lshrrev_b16 v4, 8, v26
	v_mov_b32_e32 v0, 0
	v_mov_b32_e32 v49, 0
	s_mov_b32 s17, exec_lo
	buffer_store_dword v0, off, s[0:3], s32 offset:464 ; 4-byte Folded Spill
	v_cmpx_ne_u16_e32 0, v4
	s_cbranch_execz .LBB300_858
; %bb.851:                              ;   in Loop: Header=BB300_10 Depth=1
	v_bfrev_b32_e32 v49, 1
	s_mov_b32 s18, exec_lo
	v_cmpx_ne_u16_e32 0x80, v4
	s_cbranch_execz .LBB300_857
; %bb.852:                              ;   in Loop: Header=BB300_10 Depth=1
	v_mov_b32_e32 v0, 0x7f
	v_mov_b32_e32 v49, 0x7c010000
	s_mov_b32 s19, exec_lo
	v_and_b32_sdwa v3, v4, v0 dst_sel:DWORD dst_unused:UNUSED_PAD src0_sel:WORD_0 src1_sel:DWORD
	v_cmpx_ne_u32_e32 0x7f, v3
	s_cbranch_execz .LBB300_856
; %bb.853:                              ;   in Loop: Header=BB300_10 Depth=1
	v_mov_b32_e32 v0, 7
	v_lshrrev_b32_e32 v2, 3, v3
	s_mov_b32 s20, exec_lo
	v_and_b32_sdwa v0, v4, v0 dst_sel:DWORD dst_unused:UNUSED_PAD src0_sel:WORD_0 src1_sel:DWORD
	v_cmpx_gt_u32_e32 8, v3
; %bb.854:                              ;   in Loop: Header=BB300_10 Depth=1
	v_ffbh_u32_e32 v0, v0
	v_min_u32_e32 v0, 32, v0
	v_subrev_nc_u32_e32 v2, 28, v0
	v_lshlrev_b64 v[8:9], v2, v[4:5]
	v_sub_nc_u32_e32 v2, 29, v0
	v_and_b32_e32 v0, 7, v8
; %bb.855:                              ;   in Loop: Header=BB300_10 Depth=1
	s_or_b32 exec_lo, exec_lo, s20
	v_mov_b32_e32 v3, 8
	v_lshl_add_u32 v2, v2, 10, 0x2000
	v_lshlrev_b32_e32 v0, 23, v0
	v_lshlrev_b32_sdwa v3, v3, v4 dst_sel:DWORD dst_unused:UNUSED_PAD src0_sel:DWORD src1_sel:WORD_0
	v_and_or_b32 v2, 0x8000, v3, v2
	v_lshl_or_b32 v49, v2, 16, v0
.LBB300_856:                            ;   in Loop: Header=BB300_10 Depth=1
	s_or_b32 exec_lo, exec_lo, s19
.LBB300_857:                            ;   in Loop: Header=BB300_10 Depth=1
	s_or_b32 exec_lo, exec_lo, s18
.LBB300_858:                            ;   in Loop: Header=BB300_10 Depth=1
	s_or_b32 exec_lo, exec_lo, s17
	v_lshrrev_b32_e32 v4, 16, v26
	v_cmp_ne_u16_sdwa s5, v4, v5 src0_sel:BYTE_0 src1_sel:DWORD
	s_and_saveexec_b32 s17, s5
	s_cbranch_execz .LBB300_866
; %bb.859:                              ;   in Loop: Header=BB300_10 Depth=1
	v_cmp_ne_u16_sdwa s5, v4, v111 src0_sel:BYTE_0 src1_sel:DWORD
	v_mov_b32_e32 v0, 0x8000
	buffer_store_dword v0, off, s[0:3], s32 offset:464 ; 4-byte Folded Spill
	s_and_saveexec_b32 s18, s5
	s_cbranch_execz .LBB300_865
; %bb.860:                              ;   in Loop: Header=BB300_10 Depth=1
	v_bfe_u32 v3, v26, 16, 7
	v_mov_b32_e32 v0, 0x7c01
	s_mov_b32 s19, exec_lo
	buffer_store_dword v0, off, s[0:3], s32 offset:464 ; 4-byte Folded Spill
	v_cmpx_ne_u32_e32 0x7f, v3
	s_cbranch_execz .LBB300_864
; %bb.861:                              ;   in Loop: Header=BB300_10 Depth=1
	v_and_b32_e32 v0, 7, v4
	v_lshrrev_b32_e32 v2, 3, v3
	s_mov_b32 s20, exec_lo
	v_cmpx_gt_u32_e32 8, v3
; %bb.862:                              ;   in Loop: Header=BB300_10 Depth=1
	v_ffbh_u32_e32 v0, v0
	v_min_u32_e32 v0, 32, v0
	v_subrev_nc_u32_e32 v2, 28, v0
	v_lshlrev_b64 v[8:9], v2, v[4:5]
	v_sub_nc_u32_e32 v2, 29, v0
	v_and_b32_e32 v0, 7, v8
; %bb.863:                              ;   in Loop: Header=BB300_10 Depth=1
	s_or_b32 exec_lo, exec_lo, s20
	v_lshlrev_b32_e32 v3, 8, v4
	v_lshl_add_u32 v2, v2, 10, 0x2000
	v_lshlrev_b32_e32 v0, 7, v0
	v_and_b32_e32 v3, 0x8000, v3
	v_and_b32_e32 v2, 0xfc00, v2
	v_or3_b32 v0, v3, v2, v0
	buffer_store_dword v0, off, s[0:3], s32 offset:464 ; 4-byte Folded Spill
.LBB300_864:                            ;   in Loop: Header=BB300_10 Depth=1
	s_or_b32 exec_lo, exec_lo, s19
.LBB300_865:                            ;   in Loop: Header=BB300_10 Depth=1
	s_or_b32 exec_lo, exec_lo, s18
.LBB300_866:                            ;   in Loop: Header=BB300_10 Depth=1
	s_or_b32 exec_lo, exec_lo, s17
	v_mov_b32_e32 v0, 0
	v_mov_b32_e32 v60, 0
	s_mov_b32 s17, exec_lo
	buffer_store_dword v0, off, s[0:3], s32 offset:468 ; 4-byte Folded Spill
	v_cmpx_lt_u32_e32 0xffffff, v26
	s_cbranch_execz .LBB300_874
; %bb.867:                              ;   in Loop: Header=BB300_10 Depth=1
	v_lshrrev_b32_e32 v4, 24, v26
	v_bfrev_b32_e32 v60, 1
	s_mov_b32 s18, exec_lo
	v_cmpx_ne_u32_e32 0x80, v4
	s_cbranch_execz .LBB300_873
; %bb.868:                              ;   in Loop: Header=BB300_10 Depth=1
	v_and_b32_e32 v3, 0x7f, v4
	v_mov_b32_e32 v60, 0x7c010000
	s_mov_b32 s19, exec_lo
	v_cmpx_ne_u32_e32 0x7f, v3
	s_cbranch_execz .LBB300_872
; %bb.869:                              ;   in Loop: Header=BB300_10 Depth=1
	v_and_b32_e32 v0, 7, v4
	v_lshrrev_b32_e32 v2, 3, v3
	s_mov_b32 s20, exec_lo
	v_cmpx_gt_u32_e32 8, v3
; %bb.870:                              ;   in Loop: Header=BB300_10 Depth=1
	v_ffbh_u32_e32 v0, v0
	v_min_u32_e32 v0, 32, v0
	v_subrev_nc_u32_e32 v2, 28, v0
	v_lshlrev_b64 v[8:9], v2, v[4:5]
	v_sub_nc_u32_e32 v2, 29, v0
	v_and_b32_e32 v0, 7, v8
; %bb.871:                              ;   in Loop: Header=BB300_10 Depth=1
	s_or_b32 exec_lo, exec_lo, s20
	v_lshlrev_b32_e32 v3, 8, v4
	v_lshl_add_u32 v2, v2, 10, 0x2000
	v_lshlrev_b32_e32 v0, 23, v0
	v_and_or_b32 v2, 0x8000, v3, v2
	v_lshl_or_b32 v60, v2, 16, v0
.LBB300_872:                            ;   in Loop: Header=BB300_10 Depth=1
	s_or_b32 exec_lo, exec_lo, s19
.LBB300_873:                            ;   in Loop: Header=BB300_10 Depth=1
	s_or_b32 exec_lo, exec_lo, s18
.LBB300_874:                            ;   in Loop: Header=BB300_10 Depth=1
	s_or_b32 exec_lo, exec_lo, s17
	v_mov_b32_e32 v4, v27
	v_cmp_ne_u16_sdwa s5, v27, v5 src0_sel:BYTE_0 src1_sel:DWORD
	s_and_saveexec_b32 s17, s5
	s_cbranch_execz .LBB300_882
; %bb.875:                              ;   in Loop: Header=BB300_10 Depth=1
	v_cmp_ne_u16_sdwa s5, v27, v111 src0_sel:BYTE_0 src1_sel:DWORD
	v_mov_b32_e32 v0, 0x8000
	buffer_store_dword v0, off, s[0:3], s32 offset:468 ; 4-byte Folded Spill
	s_and_saveexec_b32 s18, s5
	s_cbranch_execz .LBB300_881
; %bb.876:                              ;   in Loop: Header=BB300_10 Depth=1
	v_and_b32_e32 v3, 0x7f, v27
	v_mov_b32_e32 v0, 0x7c01
	s_mov_b32 s19, exec_lo
	buffer_store_dword v0, off, s[0:3], s32 offset:468 ; 4-byte Folded Spill
	v_cmpx_ne_u32_e32 0x7f, v3
	s_cbranch_execz .LBB300_880
; %bb.877:                              ;   in Loop: Header=BB300_10 Depth=1
	v_and_b32_e32 v0, 7, v27
	v_lshrrev_b32_e32 v2, 3, v3
	s_mov_b32 s20, exec_lo
	v_cmpx_gt_u32_e32 8, v3
; %bb.878:                              ;   in Loop: Header=BB300_10 Depth=1
	v_ffbh_u32_e32 v0, v0
	v_min_u32_e32 v0, 32, v0
	v_subrev_nc_u32_e32 v2, 28, v0
	v_lshlrev_b64 v[8:9], v2, v[4:5]
	v_sub_nc_u32_e32 v2, 29, v0
	v_and_b32_e32 v0, 7, v8
; %bb.879:                              ;   in Loop: Header=BB300_10 Depth=1
	s_or_b32 exec_lo, exec_lo, s20
	v_lshlrev_b32_e32 v3, 8, v27
	v_lshl_add_u32 v2, v2, 10, 0x2000
	v_lshlrev_b32_e32 v0, 7, v0
	v_and_b32_e32 v3, 0x8000, v3
	v_and_b32_e32 v2, 0xfc00, v2
	v_or3_b32 v0, v3, v2, v0
	buffer_store_dword v0, off, s[0:3], s32 offset:468 ; 4-byte Folded Spill
.LBB300_880:                            ;   in Loop: Header=BB300_10 Depth=1
	s_or_b32 exec_lo, exec_lo, s19
.LBB300_881:                            ;   in Loop: Header=BB300_10 Depth=1
	s_or_b32 exec_lo, exec_lo, s18
.LBB300_882:                            ;   in Loop: Header=BB300_10 Depth=1
	s_or_b32 exec_lo, exec_lo, s17
	v_lshrrev_b16 v4, 8, v4
	v_mov_b32_e32 v23, 0
	v_mov_b32_e32 v87, 0
	s_mov_b32 s17, exec_lo
	v_cmpx_ne_u16_e32 0, v4
	s_cbranch_execz .LBB300_890
; %bb.883:                              ;   in Loop: Header=BB300_10 Depth=1
	v_bfrev_b32_e32 v87, 1
	s_mov_b32 s18, exec_lo
	v_cmpx_ne_u16_e32 0x80, v4
	s_cbranch_execz .LBB300_889
; %bb.884:                              ;   in Loop: Header=BB300_10 Depth=1
	v_mov_b32_e32 v0, 0x7f
	v_mov_b32_e32 v87, 0x7c010000
	s_mov_b32 s19, exec_lo
	v_and_b32_sdwa v3, v4, v0 dst_sel:DWORD dst_unused:UNUSED_PAD src0_sel:WORD_0 src1_sel:DWORD
	v_cmpx_ne_u32_e32 0x7f, v3
	s_cbranch_execz .LBB300_888
; %bb.885:                              ;   in Loop: Header=BB300_10 Depth=1
	v_mov_b32_e32 v0, 7
	v_lshrrev_b32_e32 v2, 3, v3
	s_mov_b32 s20, exec_lo
	v_and_b32_sdwa v0, v4, v0 dst_sel:DWORD dst_unused:UNUSED_PAD src0_sel:WORD_0 src1_sel:DWORD
	v_cmpx_gt_u32_e32 8, v3
; %bb.886:                              ;   in Loop: Header=BB300_10 Depth=1
	v_ffbh_u32_e32 v0, v0
	v_min_u32_e32 v0, 32, v0
	v_subrev_nc_u32_e32 v2, 28, v0
	v_lshlrev_b64 v[8:9], v2, v[4:5]
	v_sub_nc_u32_e32 v2, 29, v0
	v_and_b32_e32 v0, 7, v8
; %bb.887:                              ;   in Loop: Header=BB300_10 Depth=1
	s_or_b32 exec_lo, exec_lo, s20
	v_mov_b32_e32 v3, 8
	v_lshl_add_u32 v2, v2, 10, 0x2000
	v_lshlrev_b32_e32 v0, 23, v0
	v_lshlrev_b32_sdwa v3, v3, v4 dst_sel:DWORD dst_unused:UNUSED_PAD src0_sel:DWORD src1_sel:WORD_0
	v_and_or_b32 v2, 0x8000, v3, v2
	v_lshl_or_b32 v87, v2, 16, v0
.LBB300_888:                            ;   in Loop: Header=BB300_10 Depth=1
	s_or_b32 exec_lo, exec_lo, s19
.LBB300_889:                            ;   in Loop: Header=BB300_10 Depth=1
	s_or_b32 exec_lo, exec_lo, s18
.LBB300_890:                            ;   in Loop: Header=BB300_10 Depth=1
	s_or_b32 exec_lo, exec_lo, s17
	v_lshrrev_b32_e32 v4, 16, v27
	v_cmp_ne_u16_sdwa s5, v4, v5 src0_sel:BYTE_0 src1_sel:DWORD
	s_and_saveexec_b32 s17, s5
	s_cbranch_execz .LBB300_898
; %bb.891:                              ;   in Loop: Header=BB300_10 Depth=1
	v_cmp_ne_u16_sdwa s5, v4, v111 src0_sel:BYTE_0 src1_sel:DWORD
	v_mov_b32_e32 v23, 0x8000
	s_and_saveexec_b32 s18, s5
	s_cbranch_execz .LBB300_897
; %bb.892:                              ;   in Loop: Header=BB300_10 Depth=1
	v_bfe_u32 v3, v27, 16, 7
	v_mov_b32_e32 v23, 0x7c01
	s_mov_b32 s19, exec_lo
	v_cmpx_ne_u32_e32 0x7f, v3
	s_cbranch_execz .LBB300_896
; %bb.893:                              ;   in Loop: Header=BB300_10 Depth=1
	v_and_b32_e32 v0, 7, v4
	v_lshrrev_b32_e32 v2, 3, v3
	s_mov_b32 s20, exec_lo
	v_cmpx_gt_u32_e32 8, v3
; %bb.894:                              ;   in Loop: Header=BB300_10 Depth=1
	v_ffbh_u32_e32 v0, v0
	v_min_u32_e32 v0, 32, v0
	v_subrev_nc_u32_e32 v2, 28, v0
	v_lshlrev_b64 v[8:9], v2, v[4:5]
	v_sub_nc_u32_e32 v2, 29, v0
	v_and_b32_e32 v0, 7, v8
; %bb.895:                              ;   in Loop: Header=BB300_10 Depth=1
	s_or_b32 exec_lo, exec_lo, s20
	v_lshlrev_b32_e32 v3, 8, v4
	v_lshl_add_u32 v2, v2, 10, 0x2000
	v_lshlrev_b32_e32 v0, 7, v0
	v_and_b32_e32 v3, 0x8000, v3
	v_and_b32_e32 v2, 0xfc00, v2
	v_or3_b32 v23, v3, v2, v0
.LBB300_896:                            ;   in Loop: Header=BB300_10 Depth=1
	s_or_b32 exec_lo, exec_lo, s19
.LBB300_897:                            ;   in Loop: Header=BB300_10 Depth=1
	s_or_b32 exec_lo, exec_lo, s18
.LBB300_898:                            ;   in Loop: Header=BB300_10 Depth=1
	s_or_b32 exec_lo, exec_lo, s17
	v_mov_b32_e32 v72, 0
	v_mov_b32_e32 v66, 0
	s_mov_b32 s17, exec_lo
	v_cmpx_lt_u64_e64 s[6:7], v[26:27]
	s_cbranch_execz .LBB300_906
; %bb.899:                              ;   in Loop: Header=BB300_10 Depth=1
	v_lshrrev_b32_e32 v4, 24, v27
	v_bfrev_b32_e32 v66, 1
	s_mov_b32 s18, exec_lo
	v_cmpx_ne_u32_e32 0x80, v4
	s_cbranch_execz .LBB300_905
; %bb.900:                              ;   in Loop: Header=BB300_10 Depth=1
	v_and_b32_e32 v3, 0x7f, v4
	v_mov_b32_e32 v66, 0x7c010000
	s_mov_b32 s19, exec_lo
	v_cmpx_ne_u32_e32 0x7f, v3
	s_cbranch_execz .LBB300_904
; %bb.901:                              ;   in Loop: Header=BB300_10 Depth=1
	v_and_b32_e32 v0, 7, v4
	v_lshrrev_b32_e32 v2, 3, v3
	s_mov_b32 s20, exec_lo
	v_cmpx_gt_u32_e32 8, v3
; %bb.902:                              ;   in Loop: Header=BB300_10 Depth=1
	v_ffbh_u32_e32 v0, v0
	v_min_u32_e32 v0, 32, v0
	v_subrev_nc_u32_e32 v2, 28, v0
	v_lshlrev_b64 v[8:9], v2, v[4:5]
	v_sub_nc_u32_e32 v2, 29, v0
	v_and_b32_e32 v0, 7, v8
; %bb.903:                              ;   in Loop: Header=BB300_10 Depth=1
	s_or_b32 exec_lo, exec_lo, s20
	v_lshlrev_b32_e32 v3, 8, v4
	v_lshl_add_u32 v2, v2, 10, 0x2000
	v_lshlrev_b32_e32 v0, 23, v0
	v_and_or_b32 v2, 0x8000, v3, v2
	v_lshl_or_b32 v66, v2, 16, v0
.LBB300_904:                            ;   in Loop: Header=BB300_10 Depth=1
	s_or_b32 exec_lo, exec_lo, s19
.LBB300_905:                            ;   in Loop: Header=BB300_10 Depth=1
	s_or_b32 exec_lo, exec_lo, s18
.LBB300_906:                            ;   in Loop: Header=BB300_10 Depth=1
	s_or_b32 exec_lo, exec_lo, s17
	flat_load_dwordx2 v[26:27], v[24:25] offset:1536
	s_waitcnt vmcnt(0) lgkmcnt(0)
	v_cmp_ne_u16_sdwa s5, v26, v5 src0_sel:BYTE_0 src1_sel:DWORD
	s_and_saveexec_b32 s17, s5
	s_cbranch_execz .LBB300_914
; %bb.907:                              ;   in Loop: Header=BB300_10 Depth=1
	v_cmp_ne_u16_sdwa s5, v26, v111 src0_sel:BYTE_0 src1_sel:DWORD
	v_mov_b32_e32 v72, 0x8000
	s_and_saveexec_b32 s18, s5
	s_cbranch_execz .LBB300_913
; %bb.908:                              ;   in Loop: Header=BB300_10 Depth=1
	v_and_b32_e32 v3, 0x7f, v26
	v_mov_b32_e32 v72, 0x7c01
	s_mov_b32 s19, exec_lo
	v_cmpx_ne_u32_e32 0x7f, v3
	s_cbranch_execz .LBB300_912
; %bb.909:                              ;   in Loop: Header=BB300_10 Depth=1
	v_and_b32_e32 v0, 7, v26
	v_lshrrev_b32_e32 v2, 3, v3
	s_mov_b32 s20, exec_lo
	v_cmpx_gt_u32_e32 8, v3
; %bb.910:                              ;   in Loop: Header=BB300_10 Depth=1
	v_ffbh_u32_e32 v0, v0
	v_min_u32_e32 v0, 32, v0
	v_subrev_nc_u32_e32 v2, 28, v0
	v_lshlrev_b64 v[3:4], v2, v[26:27]
	v_sub_nc_u32_e32 v2, 29, v0
	v_and_b32_e32 v0, 7, v3
; %bb.911:                              ;   in Loop: Header=BB300_10 Depth=1
	s_or_b32 exec_lo, exec_lo, s20
	v_lshlrev_b32_e32 v3, 8, v26
	v_lshl_add_u32 v2, v2, 10, 0x2000
	v_lshlrev_b32_e32 v0, 7, v0
	v_and_b32_e32 v3, 0x8000, v3
	v_and_b32_e32 v2, 0xfc00, v2
	v_or3_b32 v72, v3, v2, v0
.LBB300_912:                            ;   in Loop: Header=BB300_10 Depth=1
	s_or_b32 exec_lo, exec_lo, s19
.LBB300_913:                            ;   in Loop: Header=BB300_10 Depth=1
	s_or_b32 exec_lo, exec_lo, s18
.LBB300_914:                            ;   in Loop: Header=BB300_10 Depth=1
	s_or_b32 exec_lo, exec_lo, s17
	v_lshrrev_b16 v4, 8, v26
	v_mov_b32_e32 v38, 0
	v_mov_b32_e32 v103, 0
	s_mov_b32 s17, exec_lo
	v_cmpx_ne_u16_e32 0, v4
	s_cbranch_execz .LBB300_922
; %bb.915:                              ;   in Loop: Header=BB300_10 Depth=1
	v_bfrev_b32_e32 v103, 1
	s_mov_b32 s18, exec_lo
	v_cmpx_ne_u16_e32 0x80, v4
	s_cbranch_execz .LBB300_921
; %bb.916:                              ;   in Loop: Header=BB300_10 Depth=1
	v_mov_b32_e32 v0, 0x7f
	v_mov_b32_e32 v103, 0x7c010000
	s_mov_b32 s19, exec_lo
	v_and_b32_sdwa v3, v4, v0 dst_sel:DWORD dst_unused:UNUSED_PAD src0_sel:WORD_0 src1_sel:DWORD
	v_cmpx_ne_u32_e32 0x7f, v3
	s_cbranch_execz .LBB300_920
; %bb.917:                              ;   in Loop: Header=BB300_10 Depth=1
	v_mov_b32_e32 v0, 7
	v_lshrrev_b32_e32 v2, 3, v3
	s_mov_b32 s20, exec_lo
	v_and_b32_sdwa v0, v4, v0 dst_sel:DWORD dst_unused:UNUSED_PAD src0_sel:WORD_0 src1_sel:DWORD
	v_cmpx_gt_u32_e32 8, v3
; %bb.918:                              ;   in Loop: Header=BB300_10 Depth=1
	v_ffbh_u32_e32 v0, v0
	v_min_u32_e32 v0, 32, v0
	v_subrev_nc_u32_e32 v2, 28, v0
	v_lshlrev_b64 v[8:9], v2, v[4:5]
	v_sub_nc_u32_e32 v2, 29, v0
	v_and_b32_e32 v0, 7, v8
; %bb.919:                              ;   in Loop: Header=BB300_10 Depth=1
	s_or_b32 exec_lo, exec_lo, s20
	v_mov_b32_e32 v3, 8
	v_lshl_add_u32 v2, v2, 10, 0x2000
	v_lshlrev_b32_e32 v0, 23, v0
	v_lshlrev_b32_sdwa v3, v3, v4 dst_sel:DWORD dst_unused:UNUSED_PAD src0_sel:DWORD src1_sel:WORD_0
	v_and_or_b32 v2, 0x8000, v3, v2
	v_lshl_or_b32 v103, v2, 16, v0
.LBB300_920:                            ;   in Loop: Header=BB300_10 Depth=1
	s_or_b32 exec_lo, exec_lo, s19
.LBB300_921:                            ;   in Loop: Header=BB300_10 Depth=1
	s_or_b32 exec_lo, exec_lo, s18
.LBB300_922:                            ;   in Loop: Header=BB300_10 Depth=1
	s_or_b32 exec_lo, exec_lo, s17
	v_lshrrev_b32_e32 v4, 16, v26
	v_cmp_ne_u16_sdwa s5, v4, v5 src0_sel:BYTE_0 src1_sel:DWORD
	s_and_saveexec_b32 s17, s5
	s_cbranch_execz .LBB300_930
; %bb.923:                              ;   in Loop: Header=BB300_10 Depth=1
	v_cmp_ne_u16_sdwa s5, v4, v111 src0_sel:BYTE_0 src1_sel:DWORD
	v_mov_b32_e32 v38, 0x8000
	s_and_saveexec_b32 s18, s5
	s_cbranch_execz .LBB300_929
; %bb.924:                              ;   in Loop: Header=BB300_10 Depth=1
	v_bfe_u32 v3, v26, 16, 7
	v_mov_b32_e32 v38, 0x7c01
	s_mov_b32 s19, exec_lo
	v_cmpx_ne_u32_e32 0x7f, v3
	s_cbranch_execz .LBB300_928
; %bb.925:                              ;   in Loop: Header=BB300_10 Depth=1
	v_and_b32_e32 v0, 7, v4
	v_lshrrev_b32_e32 v2, 3, v3
	s_mov_b32 s20, exec_lo
	v_cmpx_gt_u32_e32 8, v3
; %bb.926:                              ;   in Loop: Header=BB300_10 Depth=1
	v_ffbh_u32_e32 v0, v0
	v_min_u32_e32 v0, 32, v0
	v_subrev_nc_u32_e32 v2, 28, v0
	v_lshlrev_b64 v[8:9], v2, v[4:5]
	v_sub_nc_u32_e32 v2, 29, v0
	v_and_b32_e32 v0, 7, v8
; %bb.927:                              ;   in Loop: Header=BB300_10 Depth=1
	s_or_b32 exec_lo, exec_lo, s20
	v_lshlrev_b32_e32 v3, 8, v4
	v_lshl_add_u32 v2, v2, 10, 0x2000
	v_lshlrev_b32_e32 v0, 7, v0
	v_and_b32_e32 v3, 0x8000, v3
	v_and_b32_e32 v2, 0xfc00, v2
	v_or3_b32 v38, v3, v2, v0
.LBB300_928:                            ;   in Loop: Header=BB300_10 Depth=1
	s_or_b32 exec_lo, exec_lo, s19
.LBB300_929:                            ;   in Loop: Header=BB300_10 Depth=1
	s_or_b32 exec_lo, exec_lo, s18
.LBB300_930:                            ;   in Loop: Header=BB300_10 Depth=1
	s_or_b32 exec_lo, exec_lo, s17
	v_mov_b32_e32 v0, 0
	v_mov_b32_e32 v80, 0
	s_mov_b32 s17, exec_lo
	v_cmpx_lt_u32_e32 0xffffff, v26
	s_cbranch_execz .LBB300_938
; %bb.931:                              ;   in Loop: Header=BB300_10 Depth=1
	v_lshrrev_b32_e32 v4, 24, v26
	v_bfrev_b32_e32 v80, 1
	s_mov_b32 s18, exec_lo
	v_cmpx_ne_u32_e32 0x80, v4
	s_cbranch_execz .LBB300_937
; %bb.932:                              ;   in Loop: Header=BB300_10 Depth=1
	v_and_b32_e32 v6, 0x7f, v4
	v_mov_b32_e32 v80, 0x7c010000
	s_mov_b32 s19, exec_lo
	v_cmpx_ne_u32_e32 0x7f, v6
	s_cbranch_execz .LBB300_936
; %bb.933:                              ;   in Loop: Header=BB300_10 Depth=1
	v_and_b32_e32 v2, 7, v4
	v_lshrrev_b32_e32 v3, 3, v6
	s_mov_b32 s20, exec_lo
	v_cmpx_gt_u32_e32 8, v6
; %bb.934:                              ;   in Loop: Header=BB300_10 Depth=1
	v_ffbh_u32_e32 v2, v2
	v_min_u32_e32 v6, 32, v2
	v_subrev_nc_u32_e32 v2, 28, v6
	v_lshlrev_b64 v[2:3], v2, v[4:5]
	v_sub_nc_u32_e32 v3, 29, v6
	v_and_b32_e32 v2, 7, v2
; %bb.935:                              ;   in Loop: Header=BB300_10 Depth=1
	s_or_b32 exec_lo, exec_lo, s20
	v_lshlrev_b32_e32 v4, 8, v4
	v_lshl_add_u32 v3, v3, 10, 0x2000
	v_lshlrev_b32_e32 v2, 23, v2
	v_and_or_b32 v3, 0x8000, v4, v3
	v_lshl_or_b32 v80, v3, 16, v2
.LBB300_936:                            ;   in Loop: Header=BB300_10 Depth=1
	s_or_b32 exec_lo, exec_lo, s19
.LBB300_937:                            ;   in Loop: Header=BB300_10 Depth=1
	s_or_b32 exec_lo, exec_lo, s18
.LBB300_938:                            ;   in Loop: Header=BB300_10 Depth=1
	s_or_b32 exec_lo, exec_lo, s17
	v_mov_b32_e32 v4, v27
	v_cmp_ne_u16_sdwa s5, v27, v5 src0_sel:BYTE_0 src1_sel:DWORD
	s_and_saveexec_b32 s17, s5
	s_cbranch_execz .LBB300_946
; %bb.939:                              ;   in Loop: Header=BB300_10 Depth=1
	v_cmp_ne_u16_sdwa s5, v27, v111 src0_sel:BYTE_0 src1_sel:DWORD
	v_mov_b32_e32 v0, 0x8000
	s_and_saveexec_b32 s18, s5
	s_cbranch_execz .LBB300_945
; %bb.940:                              ;   in Loop: Header=BB300_10 Depth=1
	v_and_b32_e32 v3, 0x7f, v27
	v_mov_b32_e32 v0, 0x7c01
	s_mov_b32 s19, exec_lo
	v_cmpx_ne_u32_e32 0x7f, v3
	s_cbranch_execz .LBB300_944
; %bb.941:                              ;   in Loop: Header=BB300_10 Depth=1
	v_and_b32_e32 v0, 7, v27
	v_lshrrev_b32_e32 v2, 3, v3
	s_mov_b32 s20, exec_lo
	v_cmpx_gt_u32_e32 8, v3
; %bb.942:                              ;   in Loop: Header=BB300_10 Depth=1
	v_ffbh_u32_e32 v0, v0
	v_min_u32_e32 v0, 32, v0
	v_subrev_nc_u32_e32 v2, 28, v0
	v_lshlrev_b64 v[8:9], v2, v[4:5]
	v_sub_nc_u32_e32 v2, 29, v0
	v_and_b32_e32 v0, 7, v8
; %bb.943:                              ;   in Loop: Header=BB300_10 Depth=1
	s_or_b32 exec_lo, exec_lo, s20
	v_lshlrev_b32_e32 v3, 8, v27
	v_lshl_add_u32 v2, v2, 10, 0x2000
	v_lshlrev_b32_e32 v0, 7, v0
	v_and_b32_e32 v3, 0x8000, v3
	v_and_b32_e32 v2, 0xfc00, v2
	v_or3_b32 v0, v3, v2, v0
.LBB300_944:                            ;   in Loop: Header=BB300_10 Depth=1
	s_or_b32 exec_lo, exec_lo, s19
.LBB300_945:                            ;   in Loop: Header=BB300_10 Depth=1
	s_or_b32 exec_lo, exec_lo, s18
.LBB300_946:                            ;   in Loop: Header=BB300_10 Depth=1
	s_or_b32 exec_lo, exec_lo, s17
	v_lshrrev_b16 v4, 8, v4
	v_mov_b32_e32 v6, 0
	v_mov_b32_e32 v82, 0
	s_mov_b32 s17, exec_lo
	v_cmpx_ne_u16_e32 0, v4
	s_cbranch_execz .LBB300_954
; %bb.947:                              ;   in Loop: Header=BB300_10 Depth=1
	v_bfrev_b32_e32 v82, 1
	s_mov_b32 s18, exec_lo
	v_cmpx_ne_u16_e32 0x80, v4
	s_cbranch_execz .LBB300_953
; %bb.948:                              ;   in Loop: Header=BB300_10 Depth=1
	v_mov_b32_e32 v2, 0x7f
	v_mov_b32_e32 v82, 0x7c010000
	s_mov_b32 s19, exec_lo
	v_and_b32_sdwa v8, v4, v2 dst_sel:DWORD dst_unused:UNUSED_PAD src0_sel:WORD_0 src1_sel:DWORD
	v_cmpx_ne_u32_e32 0x7f, v8
	s_cbranch_execz .LBB300_952
; %bb.949:                              ;   in Loop: Header=BB300_10 Depth=1
	v_mov_b32_e32 v2, 7
	v_lshrrev_b32_e32 v3, 3, v8
	s_mov_b32 s20, exec_lo
	v_and_b32_sdwa v2, v4, v2 dst_sel:DWORD dst_unused:UNUSED_PAD src0_sel:WORD_0 src1_sel:DWORD
	v_cmpx_gt_u32_e32 8, v8
; %bb.950:                              ;   in Loop: Header=BB300_10 Depth=1
	v_ffbh_u32_e32 v2, v2
	v_min_u32_e32 v8, 32, v2
	v_subrev_nc_u32_e32 v2, 28, v8
	v_lshlrev_b64 v[2:3], v2, v[4:5]
	v_sub_nc_u32_e32 v3, 29, v8
	v_and_b32_e32 v2, 7, v2
; %bb.951:                              ;   in Loop: Header=BB300_10 Depth=1
	s_or_b32 exec_lo, exec_lo, s20
	v_mov_b32_e32 v8, 8
	v_lshl_add_u32 v3, v3, 10, 0x2000
	v_lshlrev_b32_e32 v2, 23, v2
	v_lshlrev_b32_sdwa v4, v8, v4 dst_sel:DWORD dst_unused:UNUSED_PAD src0_sel:DWORD src1_sel:WORD_0
	v_and_or_b32 v3, 0x8000, v4, v3
	v_lshl_or_b32 v82, v3, 16, v2
.LBB300_952:                            ;   in Loop: Header=BB300_10 Depth=1
	s_or_b32 exec_lo, exec_lo, s19
.LBB300_953:                            ;   in Loop: Header=BB300_10 Depth=1
	s_or_b32 exec_lo, exec_lo, s18
.LBB300_954:                            ;   in Loop: Header=BB300_10 Depth=1
	s_or_b32 exec_lo, exec_lo, s17
	v_lshrrev_b32_e32 v4, 16, v27
	v_cmp_ne_u16_sdwa s5, v4, v5 src0_sel:BYTE_0 src1_sel:DWORD
	s_and_saveexec_b32 s17, s5
	s_cbranch_execz .LBB300_962
; %bb.955:                              ;   in Loop: Header=BB300_10 Depth=1
	v_cmp_ne_u16_sdwa s5, v4, v111 src0_sel:BYTE_0 src1_sel:DWORD
	v_mov_b32_e32 v6, 0x8000
	s_and_saveexec_b32 s18, s5
	s_cbranch_execz .LBB300_961
; %bb.956:                              ;   in Loop: Header=BB300_10 Depth=1
	v_bfe_u32 v8, v27, 16, 7
	v_mov_b32_e32 v6, 0x7c01
	s_mov_b32 s19, exec_lo
	v_cmpx_ne_u32_e32 0x7f, v8
	s_cbranch_execz .LBB300_960
; %bb.957:                              ;   in Loop: Header=BB300_10 Depth=1
	v_and_b32_e32 v2, 7, v4
	v_lshrrev_b32_e32 v3, 3, v8
	s_mov_b32 s20, exec_lo
	v_cmpx_gt_u32_e32 8, v8
; %bb.958:                              ;   in Loop: Header=BB300_10 Depth=1
	v_ffbh_u32_e32 v2, v2
	v_min_u32_e32 v6, 32, v2
	v_subrev_nc_u32_e32 v2, 28, v6
	v_lshlrev_b64 v[2:3], v2, v[4:5]
	v_sub_nc_u32_e32 v3, 29, v6
	v_and_b32_e32 v2, 7, v2
; %bb.959:                              ;   in Loop: Header=BB300_10 Depth=1
	s_or_b32 exec_lo, exec_lo, s20
	v_lshlrev_b32_e32 v4, 8, v4
	v_lshl_add_u32 v3, v3, 10, 0x2000
	v_lshlrev_b32_e32 v2, 7, v2
	v_and_b32_e32 v4, 0x8000, v4
	v_and_b32_e32 v3, 0xfc00, v3
	v_or3_b32 v6, v4, v3, v2
.LBB300_960:                            ;   in Loop: Header=BB300_10 Depth=1
	s_or_b32 exec_lo, exec_lo, s19
.LBB300_961:                            ;   in Loop: Header=BB300_10 Depth=1
	s_or_b32 exec_lo, exec_lo, s18
.LBB300_962:                            ;   in Loop: Header=BB300_10 Depth=1
	s_or_b32 exec_lo, exec_lo, s17
	v_cmp_lt_u64_e64 s5, s[6:7], v[26:27]
	v_mov_b32_e32 v29, 0
	v_mov_b32_e32 v26, 0
	s_and_saveexec_b32 s17, s5
	s_cbranch_execz .LBB300_970
; %bb.963:                              ;   in Loop: Header=BB300_10 Depth=1
	v_lshrrev_b32_e32 v4, 24, v27
	v_bfrev_b32_e32 v26, 1
	s_mov_b32 s18, exec_lo
	v_cmpx_ne_u32_e32 0x80, v4
	s_cbranch_execz .LBB300_969
; %bb.964:                              ;   in Loop: Header=BB300_10 Depth=1
	v_and_b32_e32 v8, 0x7f, v4
	v_mov_b32_e32 v26, 0x7c010000
	s_mov_b32 s19, exec_lo
	v_cmpx_ne_u32_e32 0x7f, v8
	s_cbranch_execz .LBB300_968
; %bb.965:                              ;   in Loop: Header=BB300_10 Depth=1
	v_and_b32_e32 v2, 7, v4
	v_lshrrev_b32_e32 v3, 3, v8
	s_mov_b32 s20, exec_lo
	v_cmpx_gt_u32_e32 8, v8
; %bb.966:                              ;   in Loop: Header=BB300_10 Depth=1
	v_ffbh_u32_e32 v2, v2
	v_min_u32_e32 v8, 32, v2
	v_subrev_nc_u32_e32 v2, 28, v8
	v_lshlrev_b64 v[2:3], v2, v[4:5]
	v_sub_nc_u32_e32 v3, 29, v8
	v_and_b32_e32 v2, 7, v2
; %bb.967:                              ;   in Loop: Header=BB300_10 Depth=1
	s_or_b32 exec_lo, exec_lo, s20
	v_lshlrev_b32_e32 v4, 8, v4
	v_lshl_add_u32 v3, v3, 10, 0x2000
	v_lshlrev_b32_e32 v2, 23, v2
	v_and_or_b32 v3, 0x8000, v4, v3
	v_lshl_or_b32 v26, v3, 16, v2
.LBB300_968:                            ;   in Loop: Header=BB300_10 Depth=1
	s_or_b32 exec_lo, exec_lo, s19
.LBB300_969:                            ;   in Loop: Header=BB300_10 Depth=1
	s_or_b32 exec_lo, exec_lo, s18
.LBB300_970:                            ;   in Loop: Header=BB300_10 Depth=1
	s_or_b32 exec_lo, exec_lo, s17
	flat_load_dwordx2 v[24:25], v[24:25] offset:1544
	s_waitcnt vmcnt(0) lgkmcnt(0)
	v_cmp_ne_u16_sdwa s5, v24, v5 src0_sel:BYTE_0 src1_sel:DWORD
	s_and_saveexec_b32 s17, s5
	s_cbranch_execz .LBB300_978
; %bb.971:                              ;   in Loop: Header=BB300_10 Depth=1
	v_cmp_ne_u16_sdwa s5, v24, v111 src0_sel:BYTE_0 src1_sel:DWORD
	v_mov_b32_e32 v29, 0x8000
	s_and_saveexec_b32 s18, s5
	s_cbranch_execz .LBB300_977
; %bb.972:                              ;   in Loop: Header=BB300_10 Depth=1
	v_and_b32_e32 v4, 0x7f, v24
	v_mov_b32_e32 v29, 0x7c01
	s_mov_b32 s19, exec_lo
	v_cmpx_ne_u32_e32 0x7f, v4
	s_cbranch_execz .LBB300_976
; %bb.973:                              ;   in Loop: Header=BB300_10 Depth=1
	v_and_b32_e32 v2, 7, v24
	v_lshrrev_b32_e32 v3, 3, v4
	s_mov_b32 s20, exec_lo
	v_cmpx_gt_u32_e32 8, v4
; %bb.974:                              ;   in Loop: Header=BB300_10 Depth=1
	v_ffbh_u32_e32 v2, v2
	v_min_u32_e32 v4, 32, v2
	v_subrev_nc_u32_e32 v2, 28, v4
	v_lshlrev_b64 v[2:3], v2, v[24:25]
	v_sub_nc_u32_e32 v3, 29, v4
	v_and_b32_e32 v2, 7, v2
; %bb.975:                              ;   in Loop: Header=BB300_10 Depth=1
	s_or_b32 exec_lo, exec_lo, s20
	v_lshlrev_b32_e32 v4, 8, v24
	v_lshl_add_u32 v3, v3, 10, 0x2000
	v_lshlrev_b32_e32 v2, 7, v2
	v_and_b32_e32 v4, 0x8000, v4
	v_and_b32_e32 v3, 0xfc00, v3
	v_or3_b32 v29, v4, v3, v2
.LBB300_976:                            ;   in Loop: Header=BB300_10 Depth=1
	s_or_b32 exec_lo, exec_lo, s19
.LBB300_977:                            ;   in Loop: Header=BB300_10 Depth=1
	s_or_b32 exec_lo, exec_lo, s18
.LBB300_978:                            ;   in Loop: Header=BB300_10 Depth=1
	s_or_b32 exec_lo, exec_lo, s17
	v_lshrrev_b16 v4, 8, v24
	v_mov_b32_e32 v86, 0
	v_mov_b32_e32 v64, 0
	s_mov_b32 s17, exec_lo
	v_cmpx_ne_u16_e32 0, v4
	s_cbranch_execz .LBB300_986
; %bb.979:                              ;   in Loop: Header=BB300_10 Depth=1
	v_bfrev_b32_e32 v64, 1
	s_mov_b32 s18, exec_lo
	v_cmpx_ne_u16_e32 0x80, v4
	s_cbranch_execz .LBB300_985
; %bb.980:                              ;   in Loop: Header=BB300_10 Depth=1
	v_mov_b32_e32 v2, 0x7f
	v_mov_b32_e32 v64, 0x7c010000
	s_mov_b32 s19, exec_lo
	v_and_b32_sdwa v8, v4, v2 dst_sel:DWORD dst_unused:UNUSED_PAD src0_sel:WORD_0 src1_sel:DWORD
	v_cmpx_ne_u32_e32 0x7f, v8
	s_cbranch_execz .LBB300_984
; %bb.981:                              ;   in Loop: Header=BB300_10 Depth=1
	v_mov_b32_e32 v2, 7
	v_lshrrev_b32_e32 v3, 3, v8
	s_mov_b32 s20, exec_lo
	v_and_b32_sdwa v2, v4, v2 dst_sel:DWORD dst_unused:UNUSED_PAD src0_sel:WORD_0 src1_sel:DWORD
	v_cmpx_gt_u32_e32 8, v8
; %bb.982:                              ;   in Loop: Header=BB300_10 Depth=1
	v_ffbh_u32_e32 v2, v2
	v_min_u32_e32 v8, 32, v2
	v_subrev_nc_u32_e32 v2, 28, v8
	v_lshlrev_b64 v[2:3], v2, v[4:5]
	v_sub_nc_u32_e32 v3, 29, v8
	v_and_b32_e32 v2, 7, v2
; %bb.983:                              ;   in Loop: Header=BB300_10 Depth=1
	s_or_b32 exec_lo, exec_lo, s20
	v_mov_b32_e32 v8, 8
	v_lshl_add_u32 v3, v3, 10, 0x2000
	v_lshlrev_b32_e32 v2, 23, v2
	v_lshlrev_b32_sdwa v4, v8, v4 dst_sel:DWORD dst_unused:UNUSED_PAD src0_sel:DWORD src1_sel:WORD_0
	v_and_or_b32 v3, 0x8000, v4, v3
	v_lshl_or_b32 v64, v3, 16, v2
.LBB300_984:                            ;   in Loop: Header=BB300_10 Depth=1
	s_or_b32 exec_lo, exec_lo, s19
.LBB300_985:                            ;   in Loop: Header=BB300_10 Depth=1
	s_or_b32 exec_lo, exec_lo, s18
.LBB300_986:                            ;   in Loop: Header=BB300_10 Depth=1
	s_or_b32 exec_lo, exec_lo, s17
	v_lshrrev_b32_e32 v4, 16, v24
	v_cmp_ne_u16_sdwa s5, v4, v5 src0_sel:BYTE_0 src1_sel:DWORD
	s_and_saveexec_b32 s17, s5
	s_cbranch_execz .LBB300_994
; %bb.987:                              ;   in Loop: Header=BB300_10 Depth=1
	v_cmp_ne_u16_sdwa s5, v4, v111 src0_sel:BYTE_0 src1_sel:DWORD
	v_mov_b32_e32 v86, 0x8000
	s_and_saveexec_b32 s18, s5
	s_cbranch_execz .LBB300_993
; %bb.988:                              ;   in Loop: Header=BB300_10 Depth=1
	v_bfe_u32 v8, v24, 16, 7
	v_mov_b32_e32 v86, 0x7c01
	s_mov_b32 s19, exec_lo
	v_cmpx_ne_u32_e32 0x7f, v8
	s_cbranch_execz .LBB300_992
; %bb.989:                              ;   in Loop: Header=BB300_10 Depth=1
	v_and_b32_e32 v2, 7, v4
	v_lshrrev_b32_e32 v3, 3, v8
	s_mov_b32 s20, exec_lo
	v_cmpx_gt_u32_e32 8, v8
; %bb.990:                              ;   in Loop: Header=BB300_10 Depth=1
	v_ffbh_u32_e32 v2, v2
	v_min_u32_e32 v8, 32, v2
	v_subrev_nc_u32_e32 v2, 28, v8
	v_lshlrev_b64 v[2:3], v2, v[4:5]
	v_sub_nc_u32_e32 v3, 29, v8
	v_and_b32_e32 v2, 7, v2
; %bb.991:                              ;   in Loop: Header=BB300_10 Depth=1
	s_or_b32 exec_lo, exec_lo, s20
	v_lshlrev_b32_e32 v4, 8, v4
	v_lshl_add_u32 v3, v3, 10, 0x2000
	v_lshlrev_b32_e32 v2, 7, v2
	v_and_b32_e32 v4, 0x8000, v4
	v_and_b32_e32 v3, 0xfc00, v3
	v_or3_b32 v86, v4, v3, v2
.LBB300_992:                            ;   in Loop: Header=BB300_10 Depth=1
	s_or_b32 exec_lo, exec_lo, s19
.LBB300_993:                            ;   in Loop: Header=BB300_10 Depth=1
	s_or_b32 exec_lo, exec_lo, s18
.LBB300_994:                            ;   in Loop: Header=BB300_10 Depth=1
	s_or_b32 exec_lo, exec_lo, s17
	v_mov_b32_e32 v83, 0
	v_mov_b32_e32 v102, 0
	s_mov_b32 s17, exec_lo
	v_cmpx_lt_u32_e32 0xffffff, v24
	s_cbranch_execz .LBB300_1002
; %bb.995:                              ;   in Loop: Header=BB300_10 Depth=1
	v_lshrrev_b32_e32 v4, 24, v24
	v_bfrev_b32_e32 v102, 1
	s_mov_b32 s18, exec_lo
	v_cmpx_ne_u32_e32 0x80, v4
	s_cbranch_execz .LBB300_1001
; %bb.996:                              ;   in Loop: Header=BB300_10 Depth=1
	v_and_b32_e32 v8, 0x7f, v4
	v_mov_b32_e32 v102, 0x7c010000
	s_mov_b32 s19, exec_lo
	v_cmpx_ne_u32_e32 0x7f, v8
	s_cbranch_execz .LBB300_1000
; %bb.997:                              ;   in Loop: Header=BB300_10 Depth=1
	v_and_b32_e32 v2, 7, v4
	v_lshrrev_b32_e32 v3, 3, v8
	s_mov_b32 s20, exec_lo
	v_cmpx_gt_u32_e32 8, v8
; %bb.998:                              ;   in Loop: Header=BB300_10 Depth=1
	v_ffbh_u32_e32 v2, v2
	v_min_u32_e32 v8, 32, v2
	v_subrev_nc_u32_e32 v2, 28, v8
	v_lshlrev_b64 v[2:3], v2, v[4:5]
	v_sub_nc_u32_e32 v3, 29, v8
	v_and_b32_e32 v2, 7, v2
; %bb.999:                              ;   in Loop: Header=BB300_10 Depth=1
	s_or_b32 exec_lo, exec_lo, s20
	v_lshlrev_b32_e32 v4, 8, v4
	v_lshl_add_u32 v3, v3, 10, 0x2000
	v_lshlrev_b32_e32 v2, 23, v2
	v_and_or_b32 v3, 0x8000, v4, v3
	v_lshl_or_b32 v102, v3, 16, v2
.LBB300_1000:                           ;   in Loop: Header=BB300_10 Depth=1
	s_or_b32 exec_lo, exec_lo, s19
.LBB300_1001:                           ;   in Loop: Header=BB300_10 Depth=1
	s_or_b32 exec_lo, exec_lo, s18
.LBB300_1002:                           ;   in Loop: Header=BB300_10 Depth=1
	s_or_b32 exec_lo, exec_lo, s17
	v_mov_b32_e32 v4, v25
	v_cmp_ne_u16_sdwa s5, v25, v5 src0_sel:BYTE_0 src1_sel:DWORD
	s_and_saveexec_b32 s17, s5
	s_cbranch_execz .LBB300_1010
; %bb.1003:                             ;   in Loop: Header=BB300_10 Depth=1
	v_cmp_ne_u16_sdwa s5, v25, v111 src0_sel:BYTE_0 src1_sel:DWORD
	v_mov_b32_e32 v83, 0x8000
	s_and_saveexec_b32 s18, s5
	s_cbranch_execz .LBB300_1009
; %bb.1004:                             ;   in Loop: Header=BB300_10 Depth=1
	v_and_b32_e32 v8, 0x7f, v25
	v_mov_b32_e32 v83, 0x7c01
	s_mov_b32 s19, exec_lo
	v_cmpx_ne_u32_e32 0x7f, v8
	s_cbranch_execz .LBB300_1008
; %bb.1005:                             ;   in Loop: Header=BB300_10 Depth=1
	v_and_b32_e32 v2, 7, v25
	v_lshrrev_b32_e32 v3, 3, v8
	s_mov_b32 s20, exec_lo
	v_cmpx_gt_u32_e32 8, v8
; %bb.1006:                             ;   in Loop: Header=BB300_10 Depth=1
	v_ffbh_u32_e32 v2, v2
	v_min_u32_e32 v8, 32, v2
	v_subrev_nc_u32_e32 v2, 28, v8
	v_lshlrev_b64 v[2:3], v2, v[4:5]
	v_sub_nc_u32_e32 v3, 29, v8
	v_and_b32_e32 v2, 7, v2
; %bb.1007:                             ;   in Loop: Header=BB300_10 Depth=1
	s_or_b32 exec_lo, exec_lo, s20
	v_lshlrev_b32_e32 v8, 8, v25
	v_lshl_add_u32 v3, v3, 10, 0x2000
	v_lshlrev_b32_e32 v2, 7, v2
	v_and_b32_e32 v8, 0x8000, v8
	v_and_b32_e32 v3, 0xfc00, v3
	v_or3_b32 v83, v8, v3, v2
.LBB300_1008:                           ;   in Loop: Header=BB300_10 Depth=1
	s_or_b32 exec_lo, exec_lo, s19
.LBB300_1009:                           ;   in Loop: Header=BB300_10 Depth=1
	s_or_b32 exec_lo, exec_lo, s18
.LBB300_1010:                           ;   in Loop: Header=BB300_10 Depth=1
	s_or_b32 exec_lo, exec_lo, s17
	v_lshrrev_b16 v4, 8, v4
	v_mov_b32_e32 v113, 0
	v_mov_b32_e32 v116, 0
	s_mov_b32 s17, exec_lo
	v_cmpx_ne_u16_e32 0, v4
	s_cbranch_execz .LBB300_1018
; %bb.1011:                             ;   in Loop: Header=BB300_10 Depth=1
	v_bfrev_b32_e32 v116, 1
	s_mov_b32 s18, exec_lo
	v_cmpx_ne_u16_e32 0x80, v4
	s_cbranch_execz .LBB300_1017
; %bb.1012:                             ;   in Loop: Header=BB300_10 Depth=1
	v_mov_b32_e32 v2, 0x7f
	v_mov_b32_e32 v116, 0x7c010000
	s_mov_b32 s19, exec_lo
	v_and_b32_sdwa v8, v4, v2 dst_sel:DWORD dst_unused:UNUSED_PAD src0_sel:WORD_0 src1_sel:DWORD
	v_cmpx_ne_u32_e32 0x7f, v8
	s_cbranch_execz .LBB300_1016
; %bb.1013:                             ;   in Loop: Header=BB300_10 Depth=1
	v_mov_b32_e32 v2, 7
	v_lshrrev_b32_e32 v3, 3, v8
	s_mov_b32 s20, exec_lo
	v_and_b32_sdwa v2, v4, v2 dst_sel:DWORD dst_unused:UNUSED_PAD src0_sel:WORD_0 src1_sel:DWORD
	v_cmpx_gt_u32_e32 8, v8
; %bb.1014:                             ;   in Loop: Header=BB300_10 Depth=1
	v_ffbh_u32_e32 v2, v2
	v_min_u32_e32 v8, 32, v2
	v_subrev_nc_u32_e32 v2, 28, v8
	v_lshlrev_b64 v[2:3], v2, v[4:5]
	v_sub_nc_u32_e32 v3, 29, v8
	v_and_b32_e32 v2, 7, v2
; %bb.1015:                             ;   in Loop: Header=BB300_10 Depth=1
	s_or_b32 exec_lo, exec_lo, s20
	v_mov_b32_e32 v8, 8
	v_lshl_add_u32 v3, v3, 10, 0x2000
	v_lshlrev_b32_e32 v2, 23, v2
	v_lshlrev_b32_sdwa v4, v8, v4 dst_sel:DWORD dst_unused:UNUSED_PAD src0_sel:DWORD src1_sel:WORD_0
	v_and_or_b32 v3, 0x8000, v4, v3
	v_lshl_or_b32 v116, v3, 16, v2
.LBB300_1016:                           ;   in Loop: Header=BB300_10 Depth=1
	s_or_b32 exec_lo, exec_lo, s19
.LBB300_1017:                           ;   in Loop: Header=BB300_10 Depth=1
	s_or_b32 exec_lo, exec_lo, s18
.LBB300_1018:                           ;   in Loop: Header=BB300_10 Depth=1
	s_or_b32 exec_lo, exec_lo, s17
	v_lshrrev_b32_e32 v4, 16, v25
	v_cmp_ne_u16_sdwa s5, v4, v5 src0_sel:BYTE_0 src1_sel:DWORD
	s_and_saveexec_b32 s17, s5
	s_cbranch_execz .LBB300_1026
; %bb.1019:                             ;   in Loop: Header=BB300_10 Depth=1
	v_cmp_ne_u16_sdwa s5, v4, v111 src0_sel:BYTE_0 src1_sel:DWORD
	v_mov_b32_e32 v113, 0x8000
	s_and_saveexec_b32 s18, s5
	s_cbranch_execz .LBB300_1025
; %bb.1020:                             ;   in Loop: Header=BB300_10 Depth=1
	v_bfe_u32 v8, v25, 16, 7
	v_mov_b32_e32 v113, 0x7c01
	s_mov_b32 s19, exec_lo
	v_cmpx_ne_u32_e32 0x7f, v8
	s_cbranch_execz .LBB300_1024
; %bb.1021:                             ;   in Loop: Header=BB300_10 Depth=1
	v_and_b32_e32 v2, 7, v4
	v_lshrrev_b32_e32 v3, 3, v8
	s_mov_b32 s20, exec_lo
	v_cmpx_gt_u32_e32 8, v8
; %bb.1022:                             ;   in Loop: Header=BB300_10 Depth=1
	v_ffbh_u32_e32 v2, v2
	v_min_u32_e32 v8, 32, v2
	v_subrev_nc_u32_e32 v2, 28, v8
	v_lshlrev_b64 v[2:3], v2, v[4:5]
	v_sub_nc_u32_e32 v3, 29, v8
	v_and_b32_e32 v2, 7, v2
; %bb.1023:                             ;   in Loop: Header=BB300_10 Depth=1
	s_or_b32 exec_lo, exec_lo, s20
	v_lshlrev_b32_e32 v4, 8, v4
	v_lshl_add_u32 v3, v3, 10, 0x2000
	v_lshlrev_b32_e32 v2, 7, v2
	v_and_b32_e32 v4, 0x8000, v4
	v_and_b32_e32 v3, 0xfc00, v3
	v_or3_b32 v113, v4, v3, v2
.LBB300_1024:                           ;   in Loop: Header=BB300_10 Depth=1
	s_or_b32 exec_lo, exec_lo, s19
.LBB300_1025:                           ;   in Loop: Header=BB300_10 Depth=1
	s_or_b32 exec_lo, exec_lo, s18
.LBB300_1026:                           ;   in Loop: Header=BB300_10 Depth=1
	s_or_b32 exec_lo, exec_lo, s17
	v_mov_b32_e32 v21, 0
	v_mov_b32_e32 v63, 0
	s_mov_b32 s17, exec_lo
	v_cmpx_lt_u64_e64 s[6:7], v[24:25]
	s_cbranch_execz .LBB300_1034
; %bb.1027:                             ;   in Loop: Header=BB300_10 Depth=1
	v_lshrrev_b32_e32 v4, 24, v25
	v_bfrev_b32_e32 v63, 1
	s_mov_b32 s18, exec_lo
	v_cmpx_ne_u32_e32 0x80, v4
	s_cbranch_execz .LBB300_1033
; %bb.1028:                             ;   in Loop: Header=BB300_10 Depth=1
	v_and_b32_e32 v8, 0x7f, v4
	v_mov_b32_e32 v63, 0x7c010000
	s_mov_b32 s19, exec_lo
	v_cmpx_ne_u32_e32 0x7f, v8
	s_cbranch_execz .LBB300_1032
; %bb.1029:                             ;   in Loop: Header=BB300_10 Depth=1
	v_and_b32_e32 v2, 7, v4
	v_lshrrev_b32_e32 v3, 3, v8
	s_mov_b32 s20, exec_lo
	v_cmpx_gt_u32_e32 8, v8
; %bb.1030:                             ;   in Loop: Header=BB300_10 Depth=1
	v_ffbh_u32_e32 v2, v2
	v_min_u32_e32 v8, 32, v2
	v_subrev_nc_u32_e32 v2, 28, v8
	v_lshlrev_b64 v[2:3], v2, v[4:5]
	v_sub_nc_u32_e32 v3, 29, v8
	v_and_b32_e32 v2, 7, v2
; %bb.1031:                             ;   in Loop: Header=BB300_10 Depth=1
	s_or_b32 exec_lo, exec_lo, s20
	v_lshlrev_b32_e32 v4, 8, v4
	v_lshl_add_u32 v3, v3, 10, 0x2000
	v_lshlrev_b32_e32 v2, 23, v2
	v_and_or_b32 v3, 0x8000, v4, v3
	v_lshl_or_b32 v63, v3, 16, v2
.LBB300_1032:                           ;   in Loop: Header=BB300_10 Depth=1
	s_or_b32 exec_lo, exec_lo, s19
.LBB300_1033:                           ;   in Loop: Header=BB300_10 Depth=1
	s_or_b32 exec_lo, exec_lo, s18
.LBB300_1034:                           ;   in Loop: Header=BB300_10 Depth=1
	s_or_b32 exec_lo, exec_lo, s17
	v_add_co_u32 v16, s5, 0x1000, v16
	v_add_co_ci_u32_e64 v17, null, 0, v17, s5
	flat_load_dwordx2 v[24:25], v[16:17]
	s_waitcnt vmcnt(0) lgkmcnt(0)
	v_cmp_ne_u16_sdwa s5, v24, v5 src0_sel:BYTE_0 src1_sel:DWORD
	s_and_saveexec_b32 s17, s5
	s_cbranch_execz .LBB300_1042
; %bb.1035:                             ;   in Loop: Header=BB300_10 Depth=1
	v_cmp_ne_u16_sdwa s5, v24, v111 src0_sel:BYTE_0 src1_sel:DWORD
	v_mov_b32_e32 v21, 0x8000
	s_and_saveexec_b32 s18, s5
	s_cbranch_execz .LBB300_1041
; %bb.1036:                             ;   in Loop: Header=BB300_10 Depth=1
	v_and_b32_e32 v4, 0x7f, v24
	v_mov_b32_e32 v21, 0x7c01
	s_mov_b32 s19, exec_lo
	v_cmpx_ne_u32_e32 0x7f, v4
	s_cbranch_execz .LBB300_1040
; %bb.1037:                             ;   in Loop: Header=BB300_10 Depth=1
	v_and_b32_e32 v2, 7, v24
	v_lshrrev_b32_e32 v3, 3, v4
	s_mov_b32 s20, exec_lo
	v_cmpx_gt_u32_e32 8, v4
; %bb.1038:                             ;   in Loop: Header=BB300_10 Depth=1
	v_ffbh_u32_e32 v2, v2
	v_min_u32_e32 v4, 32, v2
	v_subrev_nc_u32_e32 v2, 28, v4
	v_lshlrev_b64 v[2:3], v2, v[24:25]
	v_sub_nc_u32_e32 v3, 29, v4
	v_and_b32_e32 v2, 7, v2
; %bb.1039:                             ;   in Loop: Header=BB300_10 Depth=1
	s_or_b32 exec_lo, exec_lo, s20
	v_lshlrev_b32_e32 v4, 8, v24
	v_lshl_add_u32 v3, v3, 10, 0x2000
	v_lshlrev_b32_e32 v2, 7, v2
	v_and_b32_e32 v4, 0x8000, v4
	v_and_b32_e32 v3, 0xfc00, v3
	v_or3_b32 v21, v4, v3, v2
.LBB300_1040:                           ;   in Loop: Header=BB300_10 Depth=1
	s_or_b32 exec_lo, exec_lo, s19
.LBB300_1041:                           ;   in Loop: Header=BB300_10 Depth=1
	s_or_b32 exec_lo, exec_lo, s18
.LBB300_1042:                           ;   in Loop: Header=BB300_10 Depth=1
	s_or_b32 exec_lo, exec_lo, s17
	v_lshrrev_b16 v4, 8, v24
	v_mov_b32_e32 v53, 0
	v_mov_b32_e32 v39, 0
	s_mov_b32 s17, exec_lo
	v_cmpx_ne_u16_e32 0, v4
	s_cbranch_execz .LBB300_1050
; %bb.1043:                             ;   in Loop: Header=BB300_10 Depth=1
	v_bfrev_b32_e32 v39, 1
	s_mov_b32 s18, exec_lo
	v_cmpx_ne_u16_e32 0x80, v4
	s_cbranch_execz .LBB300_1049
; %bb.1044:                             ;   in Loop: Header=BB300_10 Depth=1
	v_mov_b32_e32 v2, 0x7f
	v_mov_b32_e32 v39, 0x7c010000
	s_mov_b32 s19, exec_lo
	v_and_b32_sdwa v8, v4, v2 dst_sel:DWORD dst_unused:UNUSED_PAD src0_sel:WORD_0 src1_sel:DWORD
	v_cmpx_ne_u32_e32 0x7f, v8
	s_cbranch_execz .LBB300_1048
; %bb.1045:                             ;   in Loop: Header=BB300_10 Depth=1
	v_mov_b32_e32 v2, 7
	v_lshrrev_b32_e32 v3, 3, v8
	s_mov_b32 s20, exec_lo
	v_and_b32_sdwa v2, v4, v2 dst_sel:DWORD dst_unused:UNUSED_PAD src0_sel:WORD_0 src1_sel:DWORD
	v_cmpx_gt_u32_e32 8, v8
; %bb.1046:                             ;   in Loop: Header=BB300_10 Depth=1
	v_ffbh_u32_e32 v2, v2
	v_min_u32_e32 v8, 32, v2
	v_subrev_nc_u32_e32 v2, 28, v8
	v_lshlrev_b64 v[2:3], v2, v[4:5]
	v_sub_nc_u32_e32 v3, 29, v8
	v_and_b32_e32 v2, 7, v2
; %bb.1047:                             ;   in Loop: Header=BB300_10 Depth=1
	s_or_b32 exec_lo, exec_lo, s20
	v_mov_b32_e32 v8, 8
	v_lshl_add_u32 v3, v3, 10, 0x2000
	v_lshlrev_b32_e32 v2, 23, v2
	v_lshlrev_b32_sdwa v4, v8, v4 dst_sel:DWORD dst_unused:UNUSED_PAD src0_sel:DWORD src1_sel:WORD_0
	v_and_or_b32 v3, 0x8000, v4, v3
	v_lshl_or_b32 v39, v3, 16, v2
.LBB300_1048:                           ;   in Loop: Header=BB300_10 Depth=1
	s_or_b32 exec_lo, exec_lo, s19
.LBB300_1049:                           ;   in Loop: Header=BB300_10 Depth=1
	s_or_b32 exec_lo, exec_lo, s18
.LBB300_1050:                           ;   in Loop: Header=BB300_10 Depth=1
	s_or_b32 exec_lo, exec_lo, s17
	v_lshrrev_b32_e32 v4, 16, v24
	v_cmp_ne_u16_sdwa s5, v4, v5 src0_sel:BYTE_0 src1_sel:DWORD
	s_and_saveexec_b32 s17, s5
	s_cbranch_execz .LBB300_1058
; %bb.1051:                             ;   in Loop: Header=BB300_10 Depth=1
	v_cmp_ne_u16_sdwa s5, v4, v111 src0_sel:BYTE_0 src1_sel:DWORD
	v_mov_b32_e32 v53, 0x8000
	s_and_saveexec_b32 s18, s5
	s_cbranch_execz .LBB300_1057
; %bb.1052:                             ;   in Loop: Header=BB300_10 Depth=1
	v_bfe_u32 v8, v24, 16, 7
	v_mov_b32_e32 v53, 0x7c01
	s_mov_b32 s19, exec_lo
	v_cmpx_ne_u32_e32 0x7f, v8
	s_cbranch_execz .LBB300_1056
; %bb.1053:                             ;   in Loop: Header=BB300_10 Depth=1
	v_and_b32_e32 v2, 7, v4
	v_lshrrev_b32_e32 v3, 3, v8
	s_mov_b32 s20, exec_lo
	v_cmpx_gt_u32_e32 8, v8
; %bb.1054:                             ;   in Loop: Header=BB300_10 Depth=1
	v_ffbh_u32_e32 v2, v2
	v_min_u32_e32 v8, 32, v2
	v_subrev_nc_u32_e32 v2, 28, v8
	v_lshlrev_b64 v[2:3], v2, v[4:5]
	v_sub_nc_u32_e32 v3, 29, v8
	v_and_b32_e32 v2, 7, v2
; %bb.1055:                             ;   in Loop: Header=BB300_10 Depth=1
	s_or_b32 exec_lo, exec_lo, s20
	v_lshlrev_b32_e32 v4, 8, v4
	v_lshl_add_u32 v3, v3, 10, 0x2000
	v_lshlrev_b32_e32 v2, 7, v2
	v_and_b32_e32 v4, 0x8000, v4
	v_and_b32_e32 v3, 0xfc00, v3
	v_or3_b32 v53, v4, v3, v2
.LBB300_1056:                           ;   in Loop: Header=BB300_10 Depth=1
	s_or_b32 exec_lo, exec_lo, s19
.LBB300_1057:                           ;   in Loop: Header=BB300_10 Depth=1
	s_or_b32 exec_lo, exec_lo, s18
.LBB300_1058:                           ;   in Loop: Header=BB300_10 Depth=1
	s_or_b32 exec_lo, exec_lo, s17
	v_mov_b32_e32 v46, 0
	v_mov_b32_e32 v65, 0
	s_mov_b32 s17, exec_lo
	v_cmpx_lt_u32_e32 0xffffff, v24
	s_cbranch_execz .LBB300_1066
; %bb.1059:                             ;   in Loop: Header=BB300_10 Depth=1
	v_lshrrev_b32_e32 v4, 24, v24
	v_bfrev_b32_e32 v65, 1
	s_mov_b32 s18, exec_lo
	v_cmpx_ne_u32_e32 0x80, v4
	s_cbranch_execz .LBB300_1065
; %bb.1060:                             ;   in Loop: Header=BB300_10 Depth=1
	v_and_b32_e32 v8, 0x7f, v4
	v_mov_b32_e32 v65, 0x7c010000
	s_mov_b32 s19, exec_lo
	v_cmpx_ne_u32_e32 0x7f, v8
	s_cbranch_execz .LBB300_1064
; %bb.1061:                             ;   in Loop: Header=BB300_10 Depth=1
	v_and_b32_e32 v2, 7, v4
	v_lshrrev_b32_e32 v3, 3, v8
	s_mov_b32 s20, exec_lo
	v_cmpx_gt_u32_e32 8, v8
; %bb.1062:                             ;   in Loop: Header=BB300_10 Depth=1
	v_ffbh_u32_e32 v2, v2
	v_min_u32_e32 v8, 32, v2
	v_subrev_nc_u32_e32 v2, 28, v8
	v_lshlrev_b64 v[2:3], v2, v[4:5]
	v_sub_nc_u32_e32 v3, 29, v8
	v_and_b32_e32 v2, 7, v2
; %bb.1063:                             ;   in Loop: Header=BB300_10 Depth=1
	s_or_b32 exec_lo, exec_lo, s20
	v_lshlrev_b32_e32 v4, 8, v4
	v_lshl_add_u32 v3, v3, 10, 0x2000
	v_lshlrev_b32_e32 v2, 23, v2
	v_and_or_b32 v3, 0x8000, v4, v3
	v_lshl_or_b32 v65, v3, 16, v2
.LBB300_1064:                           ;   in Loop: Header=BB300_10 Depth=1
	s_or_b32 exec_lo, exec_lo, s19
.LBB300_1065:                           ;   in Loop: Header=BB300_10 Depth=1
	s_or_b32 exec_lo, exec_lo, s18
.LBB300_1066:                           ;   in Loop: Header=BB300_10 Depth=1
	s_or_b32 exec_lo, exec_lo, s17
	v_mov_b32_e32 v4, v25
	v_cmp_ne_u16_sdwa s5, v25, v5 src0_sel:BYTE_0 src1_sel:DWORD
	s_and_saveexec_b32 s17, s5
	s_cbranch_execz .LBB300_1074
; %bb.1067:                             ;   in Loop: Header=BB300_10 Depth=1
	v_cmp_ne_u16_sdwa s5, v25, v111 src0_sel:BYTE_0 src1_sel:DWORD
	v_mov_b32_e32 v46, 0x8000
	s_and_saveexec_b32 s18, s5
	s_cbranch_execz .LBB300_1073
; %bb.1068:                             ;   in Loop: Header=BB300_10 Depth=1
	v_and_b32_e32 v8, 0x7f, v25
	v_mov_b32_e32 v46, 0x7c01
	s_mov_b32 s19, exec_lo
	v_cmpx_ne_u32_e32 0x7f, v8
	s_cbranch_execz .LBB300_1072
; %bb.1069:                             ;   in Loop: Header=BB300_10 Depth=1
	v_and_b32_e32 v2, 7, v25
	v_lshrrev_b32_e32 v3, 3, v8
	s_mov_b32 s20, exec_lo
	v_cmpx_gt_u32_e32 8, v8
; %bb.1070:                             ;   in Loop: Header=BB300_10 Depth=1
	v_ffbh_u32_e32 v2, v2
	v_min_u32_e32 v8, 32, v2
	v_subrev_nc_u32_e32 v2, 28, v8
	v_lshlrev_b64 v[2:3], v2, v[4:5]
	v_sub_nc_u32_e32 v3, 29, v8
	v_and_b32_e32 v2, 7, v2
; %bb.1071:                             ;   in Loop: Header=BB300_10 Depth=1
	s_or_b32 exec_lo, exec_lo, s20
	v_lshlrev_b32_e32 v8, 8, v25
	v_lshl_add_u32 v3, v3, 10, 0x2000
	v_lshlrev_b32_e32 v2, 7, v2
	v_and_b32_e32 v8, 0x8000, v8
	v_and_b32_e32 v3, 0xfc00, v3
	v_or3_b32 v46, v8, v3, v2
.LBB300_1072:                           ;   in Loop: Header=BB300_10 Depth=1
	s_or_b32 exec_lo, exec_lo, s19
.LBB300_1073:                           ;   in Loop: Header=BB300_10 Depth=1
	s_or_b32 exec_lo, exec_lo, s18
.LBB300_1074:                           ;   in Loop: Header=BB300_10 Depth=1
	s_or_b32 exec_lo, exec_lo, s17
	v_lshrrev_b16 v4, 8, v4
	v_mov_b32_e32 v73, 0
	v_mov_b32_e32 v47, 0
	s_mov_b32 s17, exec_lo
	v_cmpx_ne_u16_e32 0, v4
	s_cbranch_execz .LBB300_1082
; %bb.1075:                             ;   in Loop: Header=BB300_10 Depth=1
	v_bfrev_b32_e32 v47, 1
	s_mov_b32 s18, exec_lo
	v_cmpx_ne_u16_e32 0x80, v4
	s_cbranch_execz .LBB300_1081
; %bb.1076:                             ;   in Loop: Header=BB300_10 Depth=1
	v_mov_b32_e32 v2, 0x7f
	v_mov_b32_e32 v47, 0x7c010000
	s_mov_b32 s19, exec_lo
	v_and_b32_sdwa v8, v4, v2 dst_sel:DWORD dst_unused:UNUSED_PAD src0_sel:WORD_0 src1_sel:DWORD
	v_cmpx_ne_u32_e32 0x7f, v8
	s_cbranch_execz .LBB300_1080
; %bb.1077:                             ;   in Loop: Header=BB300_10 Depth=1
	v_mov_b32_e32 v2, 7
	v_lshrrev_b32_e32 v3, 3, v8
	s_mov_b32 s20, exec_lo
	v_and_b32_sdwa v2, v4, v2 dst_sel:DWORD dst_unused:UNUSED_PAD src0_sel:WORD_0 src1_sel:DWORD
	v_cmpx_gt_u32_e32 8, v8
; %bb.1078:                             ;   in Loop: Header=BB300_10 Depth=1
	v_ffbh_u32_e32 v2, v2
	v_min_u32_e32 v8, 32, v2
	v_subrev_nc_u32_e32 v2, 28, v8
	v_lshlrev_b64 v[2:3], v2, v[4:5]
	v_sub_nc_u32_e32 v3, 29, v8
	v_and_b32_e32 v2, 7, v2
; %bb.1079:                             ;   in Loop: Header=BB300_10 Depth=1
	s_or_b32 exec_lo, exec_lo, s20
	v_mov_b32_e32 v8, 8
	v_lshl_add_u32 v3, v3, 10, 0x2000
	v_lshlrev_b32_e32 v2, 23, v2
	v_lshlrev_b32_sdwa v4, v8, v4 dst_sel:DWORD dst_unused:UNUSED_PAD src0_sel:DWORD src1_sel:WORD_0
	v_and_or_b32 v3, 0x8000, v4, v3
	v_lshl_or_b32 v47, v3, 16, v2
.LBB300_1080:                           ;   in Loop: Header=BB300_10 Depth=1
	s_or_b32 exec_lo, exec_lo, s19
.LBB300_1081:                           ;   in Loop: Header=BB300_10 Depth=1
	s_or_b32 exec_lo, exec_lo, s18
.LBB300_1082:                           ;   in Loop: Header=BB300_10 Depth=1
	s_or_b32 exec_lo, exec_lo, s17
	v_lshrrev_b32_e32 v4, 16, v25
	v_cmp_ne_u16_sdwa s5, v4, v5 src0_sel:BYTE_0 src1_sel:DWORD
	s_and_saveexec_b32 s17, s5
	s_cbranch_execz .LBB300_1090
; %bb.1083:                             ;   in Loop: Header=BB300_10 Depth=1
	v_cmp_ne_u16_sdwa s5, v4, v111 src0_sel:BYTE_0 src1_sel:DWORD
	v_mov_b32_e32 v73, 0x8000
	s_and_saveexec_b32 s18, s5
	s_cbranch_execz .LBB300_1089
; %bb.1084:                             ;   in Loop: Header=BB300_10 Depth=1
	v_bfe_u32 v8, v25, 16, 7
	v_mov_b32_e32 v73, 0x7c01
	s_mov_b32 s19, exec_lo
	v_cmpx_ne_u32_e32 0x7f, v8
	s_cbranch_execz .LBB300_1088
; %bb.1085:                             ;   in Loop: Header=BB300_10 Depth=1
	v_and_b32_e32 v2, 7, v4
	v_lshrrev_b32_e32 v3, 3, v8
	s_mov_b32 s20, exec_lo
	v_cmpx_gt_u32_e32 8, v8
; %bb.1086:                             ;   in Loop: Header=BB300_10 Depth=1
	v_ffbh_u32_e32 v2, v2
	v_min_u32_e32 v8, 32, v2
	v_subrev_nc_u32_e32 v2, 28, v8
	v_lshlrev_b64 v[2:3], v2, v[4:5]
	v_sub_nc_u32_e32 v3, 29, v8
	v_and_b32_e32 v2, 7, v2
; %bb.1087:                             ;   in Loop: Header=BB300_10 Depth=1
	s_or_b32 exec_lo, exec_lo, s20
	v_lshlrev_b32_e32 v4, 8, v4
	v_lshl_add_u32 v3, v3, 10, 0x2000
	v_lshlrev_b32_e32 v2, 7, v2
	v_and_b32_e32 v4, 0x8000, v4
	v_and_b32_e32 v3, 0xfc00, v3
	v_or3_b32 v73, v4, v3, v2
.LBB300_1088:                           ;   in Loop: Header=BB300_10 Depth=1
	s_or_b32 exec_lo, exec_lo, s19
.LBB300_1089:                           ;   in Loop: Header=BB300_10 Depth=1
	s_or_b32 exec_lo, exec_lo, s18
.LBB300_1090:                           ;   in Loop: Header=BB300_10 Depth=1
	s_or_b32 exec_lo, exec_lo, s17
	v_mov_b32_e32 v3, 0
	v_mov_b32_e32 v8, 0
	s_mov_b32 s17, exec_lo
	v_cmpx_lt_u64_e64 s[6:7], v[24:25]
	s_cbranch_execz .LBB300_1098
; %bb.1091:                             ;   in Loop: Header=BB300_10 Depth=1
	v_lshrrev_b32_e32 v4, 24, v25
	v_bfrev_b32_e32 v8, 1
	s_mov_b32 s18, exec_lo
	v_cmpx_ne_u32_e32 0x80, v4
	s_cbranch_execz .LBB300_1097
; %bb.1092:                             ;   in Loop: Header=BB300_10 Depth=1
	v_and_b32_e32 v9, 0x7f, v4
	v_mov_b32_e32 v8, 0x7c010000
	s_mov_b32 s19, exec_lo
	v_cmpx_ne_u32_e32 0x7f, v9
	s_cbranch_execz .LBB300_1096
; %bb.1093:                             ;   in Loop: Header=BB300_10 Depth=1
	v_and_b32_e32 v2, 7, v4
	v_lshrrev_b32_e32 v8, 3, v9
	s_mov_b32 s20, exec_lo
	v_cmpx_gt_u32_e32 8, v9
; %bb.1094:                             ;   in Loop: Header=BB300_10 Depth=1
	v_ffbh_u32_e32 v2, v2
	v_min_u32_e32 v2, 32, v2
	v_subrev_nc_u32_e32 v8, 28, v2
	v_lshlrev_b64 v[24:25], v8, v[4:5]
	v_sub_nc_u32_e32 v8, 29, v2
	v_and_b32_e32 v2, 7, v24
; %bb.1095:                             ;   in Loop: Header=BB300_10 Depth=1
	s_or_b32 exec_lo, exec_lo, s20
	v_lshlrev_b32_e32 v4, 8, v4
	v_lshl_add_u32 v8, v8, 10, 0x2000
	v_lshlrev_b32_e32 v2, 23, v2
	v_and_or_b32 v4, 0x8000, v4, v8
	v_lshl_or_b32 v8, v4, 16, v2
.LBB300_1096:                           ;   in Loop: Header=BB300_10 Depth=1
	s_or_b32 exec_lo, exec_lo, s19
.LBB300_1097:                           ;   in Loop: Header=BB300_10 Depth=1
	s_or_b32 exec_lo, exec_lo, s18
.LBB300_1098:                           ;   in Loop: Header=BB300_10 Depth=1
	s_or_b32 exec_lo, exec_lo, s17
	flat_load_dwordx2 v[24:25], v[16:17] offset:8
	s_waitcnt vmcnt(0) lgkmcnt(0)
	v_cmp_ne_u16_sdwa s5, v24, v5 src0_sel:BYTE_0 src1_sel:DWORD
	s_and_saveexec_b32 s17, s5
	s_cbranch_execz .LBB300_1106
; %bb.1099:                             ;   in Loop: Header=BB300_10 Depth=1
	v_cmp_ne_u16_sdwa s5, v24, v111 src0_sel:BYTE_0 src1_sel:DWORD
	v_mov_b32_e32 v3, 0x8000
	s_and_saveexec_b32 s18, s5
	s_cbranch_execz .LBB300_1105
; %bb.1100:                             ;   in Loop: Header=BB300_10 Depth=1
	v_and_b32_e32 v4, 0x7f, v24
	v_mov_b32_e32 v3, 0x7c01
	s_mov_b32 s19, exec_lo
	v_cmpx_ne_u32_e32 0x7f, v4
	s_cbranch_execz .LBB300_1104
; %bb.1101:                             ;   in Loop: Header=BB300_10 Depth=1
	v_and_b32_e32 v2, 7, v24
	v_lshrrev_b32_e32 v3, 3, v4
	s_mov_b32 s20, exec_lo
	v_cmpx_gt_u32_e32 8, v4
; %bb.1102:                             ;   in Loop: Header=BB300_10 Depth=1
	v_ffbh_u32_e32 v2, v2
	v_min_u32_e32 v4, 32, v2
	v_subrev_nc_u32_e32 v2, 28, v4
	v_lshlrev_b64 v[2:3], v2, v[24:25]
	v_sub_nc_u32_e32 v3, 29, v4
	v_and_b32_e32 v2, 7, v2
; %bb.1103:                             ;   in Loop: Header=BB300_10 Depth=1
	s_or_b32 exec_lo, exec_lo, s20
	v_lshlrev_b32_e32 v4, 8, v24
	v_lshl_add_u32 v3, v3, 10, 0x2000
	v_lshlrev_b32_e32 v2, 7, v2
	v_and_b32_e32 v4, 0x8000, v4
	v_and_b32_e32 v3, 0xfc00, v3
	v_or3_b32 v3, v4, v3, v2
.LBB300_1104:                           ;   in Loop: Header=BB300_10 Depth=1
	s_or_b32 exec_lo, exec_lo, s19
.LBB300_1105:                           ;   in Loop: Header=BB300_10 Depth=1
	s_or_b32 exec_lo, exec_lo, s18
.LBB300_1106:                           ;   in Loop: Header=BB300_10 Depth=1
	s_or_b32 exec_lo, exec_lo, s17
	v_lshrrev_b16 v4, 8, v24
	v_mov_b32_e32 v28, 0
	v_mov_b32_e32 v19, 0
	s_mov_b32 s17, exec_lo
	v_cmpx_ne_u16_e32 0, v4
	s_cbranch_execz .LBB300_1114
; %bb.1107:                             ;   in Loop: Header=BB300_10 Depth=1
	v_bfrev_b32_e32 v19, 1
	s_mov_b32 s18, exec_lo
	v_cmpx_ne_u16_e32 0x80, v4
	s_cbranch_execz .LBB300_1113
; %bb.1108:                             ;   in Loop: Header=BB300_10 Depth=1
	v_mov_b32_e32 v2, 0x7f
	v_mov_b32_e32 v19, 0x7c010000
	s_mov_b32 s19, exec_lo
	v_and_b32_sdwa v12, v4, v2 dst_sel:DWORD dst_unused:UNUSED_PAD src0_sel:WORD_0 src1_sel:DWORD
	v_cmpx_ne_u32_e32 0x7f, v12
	s_cbranch_execz .LBB300_1112
; %bb.1109:                             ;   in Loop: Header=BB300_10 Depth=1
	v_mov_b32_e32 v2, 7
	v_lshrrev_b32_e32 v9, 3, v12
	s_mov_b32 s20, exec_lo
	v_and_b32_sdwa v2, v4, v2 dst_sel:DWORD dst_unused:UNUSED_PAD src0_sel:WORD_0 src1_sel:DWORD
	v_cmpx_gt_u32_e32 8, v12
; %bb.1110:                             ;   in Loop: Header=BB300_10 Depth=1
	v_ffbh_u32_e32 v2, v2
	v_min_u32_e32 v2, 32, v2
	v_subrev_nc_u32_e32 v9, 28, v2
	v_lshlrev_b64 v[31:32], v9, v[4:5]
	v_sub_nc_u32_e32 v9, 29, v2
	v_and_b32_e32 v2, 7, v31
; %bb.1111:                             ;   in Loop: Header=BB300_10 Depth=1
	s_or_b32 exec_lo, exec_lo, s20
	v_mov_b32_e32 v12, 8
	v_lshl_add_u32 v9, v9, 10, 0x2000
	v_lshlrev_b32_e32 v2, 23, v2
	v_lshlrev_b32_sdwa v4, v12, v4 dst_sel:DWORD dst_unused:UNUSED_PAD src0_sel:DWORD src1_sel:WORD_0
	v_and_or_b32 v4, 0x8000, v4, v9
	v_lshl_or_b32 v19, v4, 16, v2
.LBB300_1112:                           ;   in Loop: Header=BB300_10 Depth=1
	s_or_b32 exec_lo, exec_lo, s19
.LBB300_1113:                           ;   in Loop: Header=BB300_10 Depth=1
	s_or_b32 exec_lo, exec_lo, s18
.LBB300_1114:                           ;   in Loop: Header=BB300_10 Depth=1
	s_or_b32 exec_lo, exec_lo, s17
	v_lshrrev_b32_e32 v4, 16, v24
	v_cmp_ne_u16_sdwa s5, v4, v5 src0_sel:BYTE_0 src1_sel:DWORD
	s_and_saveexec_b32 s17, s5
	s_cbranch_execz .LBB300_1122
; %bb.1115:                             ;   in Loop: Header=BB300_10 Depth=1
	v_cmp_ne_u16_sdwa s5, v4, v111 src0_sel:BYTE_0 src1_sel:DWORD
	v_mov_b32_e32 v28, 0x8000
	s_and_saveexec_b32 s18, s5
	s_cbranch_execz .LBB300_1121
; %bb.1116:                             ;   in Loop: Header=BB300_10 Depth=1
	v_bfe_u32 v12, v24, 16, 7
	v_mov_b32_e32 v28, 0x7c01
	s_mov_b32 s19, exec_lo
	v_cmpx_ne_u32_e32 0x7f, v12
	s_cbranch_execz .LBB300_1120
; %bb.1117:                             ;   in Loop: Header=BB300_10 Depth=1
	v_and_b32_e32 v2, 7, v4
	v_lshrrev_b32_e32 v9, 3, v12
	s_mov_b32 s20, exec_lo
	v_cmpx_gt_u32_e32 8, v12
; %bb.1118:                             ;   in Loop: Header=BB300_10 Depth=1
	v_ffbh_u32_e32 v2, v2
	v_min_u32_e32 v2, 32, v2
	v_subrev_nc_u32_e32 v9, 28, v2
	v_lshlrev_b64 v[27:28], v9, v[4:5]
	v_sub_nc_u32_e32 v9, 29, v2
	v_and_b32_e32 v2, 7, v27
; %bb.1119:                             ;   in Loop: Header=BB300_10 Depth=1
	s_or_b32 exec_lo, exec_lo, s20
	v_lshlrev_b32_e32 v4, 8, v4
	v_lshl_add_u32 v9, v9, 10, 0x2000
	v_lshlrev_b32_e32 v2, 7, v2
	v_and_b32_e32 v4, 0x8000, v4
	v_and_b32_e32 v9, 0xfc00, v9
	v_or3_b32 v28, v4, v9, v2
.LBB300_1120:                           ;   in Loop: Header=BB300_10 Depth=1
	s_or_b32 exec_lo, exec_lo, s19
.LBB300_1121:                           ;   in Loop: Header=BB300_10 Depth=1
	s_or_b32 exec_lo, exec_lo, s18
.LBB300_1122:                           ;   in Loop: Header=BB300_10 Depth=1
	s_or_b32 exec_lo, exec_lo, s17
	v_mov_b32_e32 v68, 0
	v_mov_b32_e32 v48, 0
	s_mov_b32 s17, exec_lo
	v_cmpx_lt_u32_e32 0xffffff, v24
	s_cbranch_execz .LBB300_1130
; %bb.1123:                             ;   in Loop: Header=BB300_10 Depth=1
	v_lshrrev_b32_e32 v4, 24, v24
	v_bfrev_b32_e32 v48, 1
	s_mov_b32 s18, exec_lo
	v_cmpx_ne_u32_e32 0x80, v4
	s_cbranch_execz .LBB300_1129
; %bb.1124:                             ;   in Loop: Header=BB300_10 Depth=1
	v_and_b32_e32 v12, 0x7f, v4
	v_mov_b32_e32 v48, 0x7c010000
	s_mov_b32 s19, exec_lo
	v_cmpx_ne_u32_e32 0x7f, v12
	s_cbranch_execz .LBB300_1128
; %bb.1125:                             ;   in Loop: Header=BB300_10 Depth=1
	v_and_b32_e32 v2, 7, v4
	v_lshrrev_b32_e32 v9, 3, v12
	s_mov_b32 s20, exec_lo
	v_cmpx_gt_u32_e32 8, v12
; %bb.1126:                             ;   in Loop: Header=BB300_10 Depth=1
	v_ffbh_u32_e32 v2, v2
	v_min_u32_e32 v2, 32, v2
	v_subrev_nc_u32_e32 v9, 28, v2
	v_lshlrev_b64 v[31:32], v9, v[4:5]
	v_sub_nc_u32_e32 v9, 29, v2
	v_and_b32_e32 v2, 7, v31
; %bb.1127:                             ;   in Loop: Header=BB300_10 Depth=1
	s_or_b32 exec_lo, exec_lo, s20
	v_lshlrev_b32_e32 v4, 8, v4
	v_lshl_add_u32 v9, v9, 10, 0x2000
	v_lshlrev_b32_e32 v2, 23, v2
	v_and_or_b32 v4, 0x8000, v4, v9
	v_lshl_or_b32 v48, v4, 16, v2
.LBB300_1128:                           ;   in Loop: Header=BB300_10 Depth=1
	s_or_b32 exec_lo, exec_lo, s19
.LBB300_1129:                           ;   in Loop: Header=BB300_10 Depth=1
	s_or_b32 exec_lo, exec_lo, s18
.LBB300_1130:                           ;   in Loop: Header=BB300_10 Depth=1
	s_or_b32 exec_lo, exec_lo, s17
	v_mov_b32_e32 v4, v25
	v_cmp_ne_u16_sdwa s5, v25, v5 src0_sel:BYTE_0 src1_sel:DWORD
	s_and_saveexec_b32 s17, s5
	s_cbranch_execz .LBB300_1138
; %bb.1131:                             ;   in Loop: Header=BB300_10 Depth=1
	v_cmp_ne_u16_sdwa s5, v25, v111 src0_sel:BYTE_0 src1_sel:DWORD
	v_mov_b32_e32 v68, 0x8000
	s_and_saveexec_b32 s18, s5
	s_cbranch_execz .LBB300_1137
; %bb.1132:                             ;   in Loop: Header=BB300_10 Depth=1
	v_and_b32_e32 v12, 0x7f, v25
	v_mov_b32_e32 v68, 0x7c01
	s_mov_b32 s19, exec_lo
	v_cmpx_ne_u32_e32 0x7f, v12
	s_cbranch_execz .LBB300_1136
; %bb.1133:                             ;   in Loop: Header=BB300_10 Depth=1
	v_and_b32_e32 v2, 7, v25
	v_lshrrev_b32_e32 v9, 3, v12
	s_mov_b32 s20, exec_lo
	v_cmpx_gt_u32_e32 8, v12
; %bb.1134:                             ;   in Loop: Header=BB300_10 Depth=1
	v_ffbh_u32_e32 v2, v2
	v_min_u32_e32 v2, 32, v2
	v_subrev_nc_u32_e32 v9, 28, v2
	v_lshlrev_b64 v[31:32], v9, v[4:5]
	v_sub_nc_u32_e32 v9, 29, v2
	v_and_b32_e32 v2, 7, v31
; %bb.1135:                             ;   in Loop: Header=BB300_10 Depth=1
	s_or_b32 exec_lo, exec_lo, s20
	v_lshlrev_b32_e32 v12, 8, v25
	v_lshl_add_u32 v9, v9, 10, 0x2000
	v_lshlrev_b32_e32 v2, 7, v2
	v_and_b32_e32 v12, 0x8000, v12
	v_and_b32_e32 v9, 0xfc00, v9
	v_or3_b32 v68, v12, v9, v2
.LBB300_1136:                           ;   in Loop: Header=BB300_10 Depth=1
	s_or_b32 exec_lo, exec_lo, s19
.LBB300_1137:                           ;   in Loop: Header=BB300_10 Depth=1
	s_or_b32 exec_lo, exec_lo, s18
.LBB300_1138:                           ;   in Loop: Header=BB300_10 Depth=1
	s_or_b32 exec_lo, exec_lo, s17
	v_lshrrev_b16 v4, 8, v4
	v_mov_b32_e32 v85, 0
	v_mov_b32_e32 v119, 0
	s_mov_b32 s17, exec_lo
	v_cmpx_ne_u16_e32 0, v4
	s_cbranch_execz .LBB300_1146
; %bb.1139:                             ;   in Loop: Header=BB300_10 Depth=1
	v_bfrev_b32_e32 v119, 1
	s_mov_b32 s18, exec_lo
	v_cmpx_ne_u16_e32 0x80, v4
	s_cbranch_execz .LBB300_1145
; %bb.1140:                             ;   in Loop: Header=BB300_10 Depth=1
	v_mov_b32_e32 v2, 0x7f
	v_mov_b32_e32 v119, 0x7c010000
	s_mov_b32 s19, exec_lo
	v_and_b32_sdwa v12, v4, v2 dst_sel:DWORD dst_unused:UNUSED_PAD src0_sel:WORD_0 src1_sel:DWORD
	v_cmpx_ne_u32_e32 0x7f, v12
	s_cbranch_execz .LBB300_1144
; %bb.1141:                             ;   in Loop: Header=BB300_10 Depth=1
	v_mov_b32_e32 v2, 7
	v_lshrrev_b32_e32 v9, 3, v12
	s_mov_b32 s20, exec_lo
	v_and_b32_sdwa v2, v4, v2 dst_sel:DWORD dst_unused:UNUSED_PAD src0_sel:WORD_0 src1_sel:DWORD
	v_cmpx_gt_u32_e32 8, v12
; %bb.1142:                             ;   in Loop: Header=BB300_10 Depth=1
	v_ffbh_u32_e32 v2, v2
	v_min_u32_e32 v2, 32, v2
	v_subrev_nc_u32_e32 v9, 28, v2
	v_lshlrev_b64 v[31:32], v9, v[4:5]
	v_sub_nc_u32_e32 v9, 29, v2
	v_and_b32_e32 v2, 7, v31
; %bb.1143:                             ;   in Loop: Header=BB300_10 Depth=1
	s_or_b32 exec_lo, exec_lo, s20
	v_mov_b32_e32 v12, 8
	v_lshl_add_u32 v9, v9, 10, 0x2000
	v_lshlrev_b32_e32 v2, 23, v2
	v_lshlrev_b32_sdwa v4, v12, v4 dst_sel:DWORD dst_unused:UNUSED_PAD src0_sel:DWORD src1_sel:WORD_0
	v_and_or_b32 v4, 0x8000, v4, v9
	v_lshl_or_b32 v119, v4, 16, v2
.LBB300_1144:                           ;   in Loop: Header=BB300_10 Depth=1
	s_or_b32 exec_lo, exec_lo, s19
.LBB300_1145:                           ;   in Loop: Header=BB300_10 Depth=1
	s_or_b32 exec_lo, exec_lo, s18
.LBB300_1146:                           ;   in Loop: Header=BB300_10 Depth=1
	s_or_b32 exec_lo, exec_lo, s17
	v_lshrrev_b32_e32 v4, 16, v25
	v_cmp_ne_u16_sdwa s5, v4, v5 src0_sel:BYTE_0 src1_sel:DWORD
	s_and_saveexec_b32 s17, s5
	s_cbranch_execz .LBB300_1154
; %bb.1147:                             ;   in Loop: Header=BB300_10 Depth=1
	v_cmp_ne_u16_sdwa s5, v4, v111 src0_sel:BYTE_0 src1_sel:DWORD
	v_mov_b32_e32 v85, 0x8000
	s_and_saveexec_b32 s18, s5
	s_cbranch_execz .LBB300_1153
; %bb.1148:                             ;   in Loop: Header=BB300_10 Depth=1
	v_bfe_u32 v12, v25, 16, 7
	v_mov_b32_e32 v85, 0x7c01
	s_mov_b32 s19, exec_lo
	v_cmpx_ne_u32_e32 0x7f, v12
	s_cbranch_execz .LBB300_1152
; %bb.1149:                             ;   in Loop: Header=BB300_10 Depth=1
	v_and_b32_e32 v2, 7, v4
	v_lshrrev_b32_e32 v9, 3, v12
	s_mov_b32 s20, exec_lo
	v_cmpx_gt_u32_e32 8, v12
; %bb.1150:                             ;   in Loop: Header=BB300_10 Depth=1
	v_ffbh_u32_e32 v2, v2
	v_min_u32_e32 v2, 32, v2
	v_subrev_nc_u32_e32 v9, 28, v2
	v_lshlrev_b64 v[31:32], v9, v[4:5]
	v_sub_nc_u32_e32 v9, 29, v2
	v_and_b32_e32 v2, 7, v31
; %bb.1151:                             ;   in Loop: Header=BB300_10 Depth=1
	s_or_b32 exec_lo, exec_lo, s20
	v_lshlrev_b32_e32 v4, 8, v4
	v_lshl_add_u32 v9, v9, 10, 0x2000
	v_lshlrev_b32_e32 v2, 7, v2
	v_and_b32_e32 v4, 0x8000, v4
	v_and_b32_e32 v9, 0xfc00, v9
	v_or3_b32 v85, v4, v9, v2
.LBB300_1152:                           ;   in Loop: Header=BB300_10 Depth=1
	s_or_b32 exec_lo, exec_lo, s19
.LBB300_1153:                           ;   in Loop: Header=BB300_10 Depth=1
	s_or_b32 exec_lo, exec_lo, s18
.LBB300_1154:                           ;   in Loop: Header=BB300_10 Depth=1
	s_or_b32 exec_lo, exec_lo, s17
	v_mov_b32_e32 v41, 0
	v_mov_b32_e32 v37, 0
	s_mov_b32 s17, exec_lo
	v_cmpx_lt_u64_e64 s[6:7], v[24:25]
	s_cbranch_execz .LBB300_1162
; %bb.1155:                             ;   in Loop: Header=BB300_10 Depth=1
	v_lshrrev_b32_e32 v4, 24, v25
	v_bfrev_b32_e32 v37, 1
	s_mov_b32 s18, exec_lo
	v_cmpx_ne_u32_e32 0x80, v4
	s_cbranch_execz .LBB300_1161
; %bb.1156:                             ;   in Loop: Header=BB300_10 Depth=1
	v_and_b32_e32 v12, 0x7f, v4
	v_mov_b32_e32 v37, 0x7c010000
	s_mov_b32 s19, exec_lo
	v_cmpx_ne_u32_e32 0x7f, v12
	s_cbranch_execz .LBB300_1160
; %bb.1157:                             ;   in Loop: Header=BB300_10 Depth=1
	v_and_b32_e32 v2, 7, v4
	v_lshrrev_b32_e32 v9, 3, v12
	s_mov_b32 s20, exec_lo
	v_cmpx_gt_u32_e32 8, v12
; %bb.1158:                             ;   in Loop: Header=BB300_10 Depth=1
	v_ffbh_u32_e32 v2, v2
	v_min_u32_e32 v2, 32, v2
	v_subrev_nc_u32_e32 v9, 28, v2
	v_lshlrev_b64 v[24:25], v9, v[4:5]
	v_sub_nc_u32_e32 v9, 29, v2
	v_and_b32_e32 v2, 7, v24
; %bb.1159:                             ;   in Loop: Header=BB300_10 Depth=1
	s_or_b32 exec_lo, exec_lo, s20
	v_lshlrev_b32_e32 v4, 8, v4
	v_lshl_add_u32 v9, v9, 10, 0x2000
	v_lshlrev_b32_e32 v2, 23, v2
	v_and_or_b32 v4, 0x8000, v4, v9
	v_lshl_or_b32 v37, v4, 16, v2
.LBB300_1160:                           ;   in Loop: Header=BB300_10 Depth=1
	s_or_b32 exec_lo, exec_lo, s19
.LBB300_1161:                           ;   in Loop: Header=BB300_10 Depth=1
	s_or_b32 exec_lo, exec_lo, s18
.LBB300_1162:                           ;   in Loop: Header=BB300_10 Depth=1
	s_or_b32 exec_lo, exec_lo, s17
	flat_load_dwordx2 v[24:25], v[16:17] offset:512
	s_waitcnt vmcnt(0) lgkmcnt(0)
	v_cmp_ne_u16_sdwa s5, v24, v5 src0_sel:BYTE_0 src1_sel:DWORD
	s_and_saveexec_b32 s17, s5
	s_cbranch_execz .LBB300_1170
; %bb.1163:                             ;   in Loop: Header=BB300_10 Depth=1
	v_cmp_ne_u16_sdwa s5, v24, v111 src0_sel:BYTE_0 src1_sel:DWORD
	v_mov_b32_e32 v41, 0x8000
	s_and_saveexec_b32 s18, s5
	s_cbranch_execz .LBB300_1169
; %bb.1164:                             ;   in Loop: Header=BB300_10 Depth=1
	v_and_b32_e32 v9, 0x7f, v24
	v_mov_b32_e32 v41, 0x7c01
	s_mov_b32 s19, exec_lo
	v_cmpx_ne_u32_e32 0x7f, v9
	s_cbranch_execz .LBB300_1168
; %bb.1165:                             ;   in Loop: Header=BB300_10 Depth=1
	v_and_b32_e32 v2, 7, v24
	v_lshrrev_b32_e32 v4, 3, v9
	s_mov_b32 s20, exec_lo
	v_cmpx_gt_u32_e32 8, v9
; %bb.1166:                             ;   in Loop: Header=BB300_10 Depth=1
	v_ffbh_u32_e32 v2, v2
	v_min_u32_e32 v2, 32, v2
	v_subrev_nc_u32_e32 v4, 28, v2
	v_lshlrev_b64 v[31:32], v4, v[24:25]
	v_sub_nc_u32_e32 v4, 29, v2
	v_and_b32_e32 v2, 7, v31
; %bb.1167:                             ;   in Loop: Header=BB300_10 Depth=1
	s_or_b32 exec_lo, exec_lo, s20
	v_lshlrev_b32_e32 v9, 8, v24
	v_lshl_add_u32 v4, v4, 10, 0x2000
	v_lshlrev_b32_e32 v2, 7, v2
	v_and_b32_e32 v9, 0x8000, v9
	v_and_b32_e32 v4, 0xfc00, v4
	v_or3_b32 v41, v9, v4, v2
.LBB300_1168:                           ;   in Loop: Header=BB300_10 Depth=1
	s_or_b32 exec_lo, exec_lo, s19
.LBB300_1169:                           ;   in Loop: Header=BB300_10 Depth=1
	s_or_b32 exec_lo, exec_lo, s18
.LBB300_1170:                           ;   in Loop: Header=BB300_10 Depth=1
	s_or_b32 exec_lo, exec_lo, s17
	v_lshrrev_b16 v4, 8, v24
	v_mov_b32_e32 v27, 0
	v_mov_b32_e32 v44, 0
	s_mov_b32 s17, exec_lo
	v_cmpx_ne_u16_e32 0, v4
	s_cbranch_execz .LBB300_1178
; %bb.1171:                             ;   in Loop: Header=BB300_10 Depth=1
	v_bfrev_b32_e32 v44, 1
	s_mov_b32 s18, exec_lo
	v_cmpx_ne_u16_e32 0x80, v4
	s_cbranch_execz .LBB300_1177
; %bb.1172:                             ;   in Loop: Header=BB300_10 Depth=1
	v_mov_b32_e32 v2, 0x7f
	v_mov_b32_e32 v44, 0x7c010000
	s_mov_b32 s19, exec_lo
	v_and_b32_sdwa v12, v4, v2 dst_sel:DWORD dst_unused:UNUSED_PAD src0_sel:WORD_0 src1_sel:DWORD
	v_cmpx_ne_u32_e32 0x7f, v12
	s_cbranch_execz .LBB300_1176
; %bb.1173:                             ;   in Loop: Header=BB300_10 Depth=1
	v_mov_b32_e32 v2, 7
	v_lshrrev_b32_e32 v9, 3, v12
	s_mov_b32 s20, exec_lo
	v_and_b32_sdwa v2, v4, v2 dst_sel:DWORD dst_unused:UNUSED_PAD src0_sel:WORD_0 src1_sel:DWORD
	v_cmpx_gt_u32_e32 8, v12
; %bb.1174:                             ;   in Loop: Header=BB300_10 Depth=1
	v_ffbh_u32_e32 v2, v2
	v_min_u32_e32 v2, 32, v2
	v_subrev_nc_u32_e32 v9, 28, v2
	v_lshlrev_b64 v[31:32], v9, v[4:5]
	v_sub_nc_u32_e32 v9, 29, v2
	v_and_b32_e32 v2, 7, v31
; %bb.1175:                             ;   in Loop: Header=BB300_10 Depth=1
	s_or_b32 exec_lo, exec_lo, s20
	v_mov_b32_e32 v12, 8
	v_lshl_add_u32 v9, v9, 10, 0x2000
	v_lshlrev_b32_e32 v2, 23, v2
	v_lshlrev_b32_sdwa v4, v12, v4 dst_sel:DWORD dst_unused:UNUSED_PAD src0_sel:DWORD src1_sel:WORD_0
	v_and_or_b32 v4, 0x8000, v4, v9
	v_lshl_or_b32 v44, v4, 16, v2
.LBB300_1176:                           ;   in Loop: Header=BB300_10 Depth=1
	s_or_b32 exec_lo, exec_lo, s19
.LBB300_1177:                           ;   in Loop: Header=BB300_10 Depth=1
	s_or_b32 exec_lo, exec_lo, s18
.LBB300_1178:                           ;   in Loop: Header=BB300_10 Depth=1
	s_or_b32 exec_lo, exec_lo, s17
	v_lshrrev_b32_e32 v4, 16, v24
	v_cmp_ne_u16_sdwa s5, v4, v5 src0_sel:BYTE_0 src1_sel:DWORD
	s_and_saveexec_b32 s17, s5
	s_cbranch_execz .LBB300_1186
; %bb.1179:                             ;   in Loop: Header=BB300_10 Depth=1
	v_cmp_ne_u16_sdwa s5, v4, v111 src0_sel:BYTE_0 src1_sel:DWORD
	v_mov_b32_e32 v27, 0x8000
	s_and_saveexec_b32 s18, s5
	s_cbranch_execz .LBB300_1185
; %bb.1180:                             ;   in Loop: Header=BB300_10 Depth=1
	v_bfe_u32 v12, v24, 16, 7
	v_mov_b32_e32 v27, 0x7c01
	s_mov_b32 s19, exec_lo
	v_cmpx_ne_u32_e32 0x7f, v12
	s_cbranch_execz .LBB300_1184
; %bb.1181:                             ;   in Loop: Header=BB300_10 Depth=1
	v_and_b32_e32 v2, 7, v4
	v_lshrrev_b32_e32 v9, 3, v12
	s_mov_b32 s20, exec_lo
	v_cmpx_gt_u32_e32 8, v12
; %bb.1182:                             ;   in Loop: Header=BB300_10 Depth=1
	v_ffbh_u32_e32 v2, v2
	v_min_u32_e32 v2, 32, v2
	v_subrev_nc_u32_e32 v9, 28, v2
	v_lshlrev_b64 v[31:32], v9, v[4:5]
	v_sub_nc_u32_e32 v9, 29, v2
	v_and_b32_e32 v2, 7, v31
; %bb.1183:                             ;   in Loop: Header=BB300_10 Depth=1
	s_or_b32 exec_lo, exec_lo, s20
	v_lshlrev_b32_e32 v4, 8, v4
	v_lshl_add_u32 v9, v9, 10, 0x2000
	v_lshlrev_b32_e32 v2, 7, v2
	v_and_b32_e32 v4, 0x8000, v4
	v_and_b32_e32 v9, 0xfc00, v9
	v_or3_b32 v27, v4, v9, v2
.LBB300_1184:                           ;   in Loop: Header=BB300_10 Depth=1
	s_or_b32 exec_lo, exec_lo, s19
.LBB300_1185:                           ;   in Loop: Header=BB300_10 Depth=1
	s_or_b32 exec_lo, exec_lo, s18
.LBB300_1186:                           ;   in Loop: Header=BB300_10 Depth=1
	s_or_b32 exec_lo, exec_lo, s17
	v_mov_b32_e32 v50, 0
	v_mov_b32_e32 v96, 0
	s_mov_b32 s17, exec_lo
	v_cmpx_lt_u32_e32 0xffffff, v24
	s_cbranch_execz .LBB300_1194
; %bb.1187:                             ;   in Loop: Header=BB300_10 Depth=1
	v_lshrrev_b32_e32 v4, 24, v24
	v_bfrev_b32_e32 v96, 1
	s_mov_b32 s18, exec_lo
	v_cmpx_ne_u32_e32 0x80, v4
	s_cbranch_execz .LBB300_1193
; %bb.1188:                             ;   in Loop: Header=BB300_10 Depth=1
	v_and_b32_e32 v12, 0x7f, v4
	v_mov_b32_e32 v96, 0x7c010000
	s_mov_b32 s19, exec_lo
	v_cmpx_ne_u32_e32 0x7f, v12
	s_cbranch_execz .LBB300_1192
; %bb.1189:                             ;   in Loop: Header=BB300_10 Depth=1
	v_and_b32_e32 v2, 7, v4
	v_lshrrev_b32_e32 v9, 3, v12
	s_mov_b32 s20, exec_lo
	v_cmpx_gt_u32_e32 8, v12
; %bb.1190:                             ;   in Loop: Header=BB300_10 Depth=1
	v_ffbh_u32_e32 v2, v2
	v_min_u32_e32 v2, 32, v2
	v_subrev_nc_u32_e32 v9, 28, v2
	v_lshlrev_b64 v[31:32], v9, v[4:5]
	v_sub_nc_u32_e32 v9, 29, v2
	v_and_b32_e32 v2, 7, v31
; %bb.1191:                             ;   in Loop: Header=BB300_10 Depth=1
	s_or_b32 exec_lo, exec_lo, s20
	v_lshlrev_b32_e32 v4, 8, v4
	v_lshl_add_u32 v9, v9, 10, 0x2000
	v_lshlrev_b32_e32 v2, 23, v2
	v_and_or_b32 v4, 0x8000, v4, v9
	v_lshl_or_b32 v96, v4, 16, v2
.LBB300_1192:                           ;   in Loop: Header=BB300_10 Depth=1
	s_or_b32 exec_lo, exec_lo, s19
.LBB300_1193:                           ;   in Loop: Header=BB300_10 Depth=1
	s_or_b32 exec_lo, exec_lo, s18
.LBB300_1194:                           ;   in Loop: Header=BB300_10 Depth=1
	s_or_b32 exec_lo, exec_lo, s17
	v_mov_b32_e32 v4, v25
	v_cmp_ne_u16_sdwa s5, v25, v5 src0_sel:BYTE_0 src1_sel:DWORD
	s_and_saveexec_b32 s17, s5
	s_cbranch_execz .LBB300_1202
; %bb.1195:                             ;   in Loop: Header=BB300_10 Depth=1
	v_cmp_ne_u16_sdwa s5, v25, v111 src0_sel:BYTE_0 src1_sel:DWORD
	v_mov_b32_e32 v50, 0x8000
	s_and_saveexec_b32 s18, s5
	s_cbranch_execz .LBB300_1201
; %bb.1196:                             ;   in Loop: Header=BB300_10 Depth=1
	v_and_b32_e32 v12, 0x7f, v25
	v_mov_b32_e32 v50, 0x7c01
	s_mov_b32 s19, exec_lo
	v_cmpx_ne_u32_e32 0x7f, v12
	s_cbranch_execz .LBB300_1200
; %bb.1197:                             ;   in Loop: Header=BB300_10 Depth=1
	v_and_b32_e32 v2, 7, v25
	v_lshrrev_b32_e32 v9, 3, v12
	s_mov_b32 s20, exec_lo
	v_cmpx_gt_u32_e32 8, v12
; %bb.1198:                             ;   in Loop: Header=BB300_10 Depth=1
	v_ffbh_u32_e32 v2, v2
	v_min_u32_e32 v2, 32, v2
	v_subrev_nc_u32_e32 v9, 28, v2
	v_lshlrev_b64 v[31:32], v9, v[4:5]
	v_sub_nc_u32_e32 v9, 29, v2
	v_and_b32_e32 v2, 7, v31
; %bb.1199:                             ;   in Loop: Header=BB300_10 Depth=1
	s_or_b32 exec_lo, exec_lo, s20
	v_lshlrev_b32_e32 v12, 8, v25
	v_lshl_add_u32 v9, v9, 10, 0x2000
	v_lshlrev_b32_e32 v2, 7, v2
	v_and_b32_e32 v12, 0x8000, v12
	v_and_b32_e32 v9, 0xfc00, v9
	v_or3_b32 v50, v12, v9, v2
.LBB300_1200:                           ;   in Loop: Header=BB300_10 Depth=1
	s_or_b32 exec_lo, exec_lo, s19
.LBB300_1201:                           ;   in Loop: Header=BB300_10 Depth=1
	s_or_b32 exec_lo, exec_lo, s18
.LBB300_1202:                           ;   in Loop: Header=BB300_10 Depth=1
	s_or_b32 exec_lo, exec_lo, s17
	v_lshrrev_b16 v4, 8, v4
	v_mov_b32_e32 v62, 0
	v_mov_b32_e32 v76, 0
	s_mov_b32 s17, exec_lo
	v_cmpx_ne_u16_e32 0, v4
	s_cbranch_execz .LBB300_1210
; %bb.1203:                             ;   in Loop: Header=BB300_10 Depth=1
	v_bfrev_b32_e32 v76, 1
	s_mov_b32 s18, exec_lo
	v_cmpx_ne_u16_e32 0x80, v4
	s_cbranch_execz .LBB300_1209
; %bb.1204:                             ;   in Loop: Header=BB300_10 Depth=1
	v_mov_b32_e32 v2, 0x7f
	v_mov_b32_e32 v76, 0x7c010000
	s_mov_b32 s19, exec_lo
	v_and_b32_sdwa v12, v4, v2 dst_sel:DWORD dst_unused:UNUSED_PAD src0_sel:WORD_0 src1_sel:DWORD
	v_cmpx_ne_u32_e32 0x7f, v12
	s_cbranch_execz .LBB300_1208
; %bb.1205:                             ;   in Loop: Header=BB300_10 Depth=1
	v_mov_b32_e32 v2, 7
	v_lshrrev_b32_e32 v9, 3, v12
	s_mov_b32 s20, exec_lo
	v_and_b32_sdwa v2, v4, v2 dst_sel:DWORD dst_unused:UNUSED_PAD src0_sel:WORD_0 src1_sel:DWORD
	v_cmpx_gt_u32_e32 8, v12
; %bb.1206:                             ;   in Loop: Header=BB300_10 Depth=1
	v_ffbh_u32_e32 v2, v2
	v_min_u32_e32 v2, 32, v2
	v_subrev_nc_u32_e32 v9, 28, v2
	v_lshlrev_b64 v[31:32], v9, v[4:5]
	v_sub_nc_u32_e32 v9, 29, v2
	v_and_b32_e32 v2, 7, v31
; %bb.1207:                             ;   in Loop: Header=BB300_10 Depth=1
	s_or_b32 exec_lo, exec_lo, s20
	v_mov_b32_e32 v12, 8
	v_lshl_add_u32 v9, v9, 10, 0x2000
	v_lshlrev_b32_e32 v2, 23, v2
	v_lshlrev_b32_sdwa v4, v12, v4 dst_sel:DWORD dst_unused:UNUSED_PAD src0_sel:DWORD src1_sel:WORD_0
	v_and_or_b32 v4, 0x8000, v4, v9
	v_lshl_or_b32 v76, v4, 16, v2
.LBB300_1208:                           ;   in Loop: Header=BB300_10 Depth=1
	s_or_b32 exec_lo, exec_lo, s19
.LBB300_1209:                           ;   in Loop: Header=BB300_10 Depth=1
	s_or_b32 exec_lo, exec_lo, s18
.LBB300_1210:                           ;   in Loop: Header=BB300_10 Depth=1
	s_or_b32 exec_lo, exec_lo, s17
	v_lshrrev_b32_e32 v4, 16, v25
	v_cmp_ne_u16_sdwa s5, v4, v5 src0_sel:BYTE_0 src1_sel:DWORD
	s_and_saveexec_b32 s17, s5
	s_cbranch_execz .LBB300_1218
; %bb.1211:                             ;   in Loop: Header=BB300_10 Depth=1
	v_cmp_ne_u16_sdwa s5, v4, v111 src0_sel:BYTE_0 src1_sel:DWORD
	v_mov_b32_e32 v62, 0x8000
	s_and_saveexec_b32 s18, s5
	s_cbranch_execz .LBB300_1217
; %bb.1212:                             ;   in Loop: Header=BB300_10 Depth=1
	v_bfe_u32 v12, v25, 16, 7
	v_mov_b32_e32 v62, 0x7c01
	s_mov_b32 s19, exec_lo
	v_cmpx_ne_u32_e32 0x7f, v12
	s_cbranch_execz .LBB300_1216
; %bb.1213:                             ;   in Loop: Header=BB300_10 Depth=1
	v_and_b32_e32 v2, 7, v4
	v_lshrrev_b32_e32 v9, 3, v12
	s_mov_b32 s20, exec_lo
	v_cmpx_gt_u32_e32 8, v12
; %bb.1214:                             ;   in Loop: Header=BB300_10 Depth=1
	v_ffbh_u32_e32 v2, v2
	v_min_u32_e32 v2, 32, v2
	v_subrev_nc_u32_e32 v9, 28, v2
	v_lshlrev_b64 v[31:32], v9, v[4:5]
	v_sub_nc_u32_e32 v9, 29, v2
	v_and_b32_e32 v2, 7, v31
; %bb.1215:                             ;   in Loop: Header=BB300_10 Depth=1
	s_or_b32 exec_lo, exec_lo, s20
	v_lshlrev_b32_e32 v4, 8, v4
	v_lshl_add_u32 v9, v9, 10, 0x2000
	v_lshlrev_b32_e32 v2, 7, v2
	v_and_b32_e32 v4, 0x8000, v4
	v_and_b32_e32 v9, 0xfc00, v9
	v_or3_b32 v62, v4, v9, v2
.LBB300_1216:                           ;   in Loop: Header=BB300_10 Depth=1
	s_or_b32 exec_lo, exec_lo, s19
.LBB300_1217:                           ;   in Loop: Header=BB300_10 Depth=1
	s_or_b32 exec_lo, exec_lo, s18
.LBB300_1218:                           ;   in Loop: Header=BB300_10 Depth=1
	s_or_b32 exec_lo, exec_lo, s17
	v_mov_b32_e32 v98, 0
	v_mov_b32_e32 v35, 0
	s_mov_b32 s17, exec_lo
	v_cmpx_lt_u64_e64 s[6:7], v[24:25]
	s_cbranch_execz .LBB300_1226
; %bb.1219:                             ;   in Loop: Header=BB300_10 Depth=1
	v_lshrrev_b32_e32 v4, 24, v25
	v_bfrev_b32_e32 v35, 1
	s_mov_b32 s18, exec_lo
	v_cmpx_ne_u32_e32 0x80, v4
	s_cbranch_execz .LBB300_1225
; %bb.1220:                             ;   in Loop: Header=BB300_10 Depth=1
	v_and_b32_e32 v12, 0x7f, v4
	v_mov_b32_e32 v35, 0x7c010000
	s_mov_b32 s19, exec_lo
	v_cmpx_ne_u32_e32 0x7f, v12
	s_cbranch_execz .LBB300_1224
; %bb.1221:                             ;   in Loop: Header=BB300_10 Depth=1
	v_and_b32_e32 v2, 7, v4
	v_lshrrev_b32_e32 v9, 3, v12
	s_mov_b32 s20, exec_lo
	v_cmpx_gt_u32_e32 8, v12
; %bb.1222:                             ;   in Loop: Header=BB300_10 Depth=1
	v_ffbh_u32_e32 v2, v2
	v_min_u32_e32 v2, 32, v2
	v_subrev_nc_u32_e32 v9, 28, v2
	v_lshlrev_b64 v[24:25], v9, v[4:5]
	v_sub_nc_u32_e32 v9, 29, v2
	v_and_b32_e32 v2, 7, v24
; %bb.1223:                             ;   in Loop: Header=BB300_10 Depth=1
	s_or_b32 exec_lo, exec_lo, s20
	v_lshlrev_b32_e32 v4, 8, v4
	v_lshl_add_u32 v9, v9, 10, 0x2000
	v_lshlrev_b32_e32 v2, 23, v2
	v_and_or_b32 v4, 0x8000, v4, v9
	v_lshl_or_b32 v35, v4, 16, v2
.LBB300_1224:                           ;   in Loop: Header=BB300_10 Depth=1
	s_or_b32 exec_lo, exec_lo, s19
.LBB300_1225:                           ;   in Loop: Header=BB300_10 Depth=1
	s_or_b32 exec_lo, exec_lo, s18
.LBB300_1226:                           ;   in Loop: Header=BB300_10 Depth=1
	s_or_b32 exec_lo, exec_lo, s17
	flat_load_dwordx2 v[24:25], v[16:17] offset:520
	s_waitcnt vmcnt(0) lgkmcnt(0)
	v_cmp_ne_u16_sdwa s5, v24, v5 src0_sel:BYTE_0 src1_sel:DWORD
	s_and_saveexec_b32 s17, s5
	s_cbranch_execz .LBB300_1234
; %bb.1227:                             ;   in Loop: Header=BB300_10 Depth=1
	v_cmp_ne_u16_sdwa s5, v24, v111 src0_sel:BYTE_0 src1_sel:DWORD
	v_mov_b32_e32 v98, 0x8000
	s_and_saveexec_b32 s18, s5
	s_cbranch_execz .LBB300_1233
; %bb.1228:                             ;   in Loop: Header=BB300_10 Depth=1
	v_and_b32_e32 v9, 0x7f, v24
	v_mov_b32_e32 v98, 0x7c01
	s_mov_b32 s19, exec_lo
	v_cmpx_ne_u32_e32 0x7f, v9
	s_cbranch_execz .LBB300_1232
; %bb.1229:                             ;   in Loop: Header=BB300_10 Depth=1
	v_and_b32_e32 v2, 7, v24
	v_lshrrev_b32_e32 v4, 3, v9
	s_mov_b32 s20, exec_lo
	v_cmpx_gt_u32_e32 8, v9
; %bb.1230:                             ;   in Loop: Header=BB300_10 Depth=1
	v_ffbh_u32_e32 v2, v2
	v_min_u32_e32 v2, 32, v2
	v_subrev_nc_u32_e32 v4, 28, v2
	v_lshlrev_b64 v[31:32], v4, v[24:25]
	v_sub_nc_u32_e32 v4, 29, v2
	v_and_b32_e32 v2, 7, v31
; %bb.1231:                             ;   in Loop: Header=BB300_10 Depth=1
	s_or_b32 exec_lo, exec_lo, s20
	v_lshlrev_b32_e32 v9, 8, v24
	v_lshl_add_u32 v4, v4, 10, 0x2000
	v_lshlrev_b32_e32 v2, 7, v2
	v_and_b32_e32 v9, 0x8000, v9
	v_and_b32_e32 v4, 0xfc00, v4
	v_or3_b32 v98, v9, v4, v2
.LBB300_1232:                           ;   in Loop: Header=BB300_10 Depth=1
	s_or_b32 exec_lo, exec_lo, s19
.LBB300_1233:                           ;   in Loop: Header=BB300_10 Depth=1
	s_or_b32 exec_lo, exec_lo, s18
.LBB300_1234:                           ;   in Loop: Header=BB300_10 Depth=1
	s_or_b32 exec_lo, exec_lo, s17
	v_lshrrev_b16 v4, 8, v24
	v_mov_b32_e32 v101, 0
	v_mov_b32_e32 v99, 0
	s_mov_b32 s17, exec_lo
	v_cmpx_ne_u16_e32 0, v4
	s_cbranch_execz .LBB300_1242
; %bb.1235:                             ;   in Loop: Header=BB300_10 Depth=1
	v_bfrev_b32_e32 v99, 1
	s_mov_b32 s18, exec_lo
	v_cmpx_ne_u16_e32 0x80, v4
	s_cbranch_execz .LBB300_1241
; %bb.1236:                             ;   in Loop: Header=BB300_10 Depth=1
	v_mov_b32_e32 v2, 0x7f
	v_mov_b32_e32 v99, 0x7c010000
	s_mov_b32 s19, exec_lo
	v_and_b32_sdwa v12, v4, v2 dst_sel:DWORD dst_unused:UNUSED_PAD src0_sel:WORD_0 src1_sel:DWORD
	v_cmpx_ne_u32_e32 0x7f, v12
	s_cbranch_execz .LBB300_1240
; %bb.1237:                             ;   in Loop: Header=BB300_10 Depth=1
	v_mov_b32_e32 v2, 7
	v_lshrrev_b32_e32 v9, 3, v12
	s_mov_b32 s20, exec_lo
	v_and_b32_sdwa v2, v4, v2 dst_sel:DWORD dst_unused:UNUSED_PAD src0_sel:WORD_0 src1_sel:DWORD
	v_cmpx_gt_u32_e32 8, v12
; %bb.1238:                             ;   in Loop: Header=BB300_10 Depth=1
	v_ffbh_u32_e32 v2, v2
	v_min_u32_e32 v2, 32, v2
	v_subrev_nc_u32_e32 v9, 28, v2
	v_lshlrev_b64 v[31:32], v9, v[4:5]
	v_sub_nc_u32_e32 v9, 29, v2
	v_and_b32_e32 v2, 7, v31
; %bb.1239:                             ;   in Loop: Header=BB300_10 Depth=1
	s_or_b32 exec_lo, exec_lo, s20
	v_mov_b32_e32 v12, 8
	v_lshl_add_u32 v9, v9, 10, 0x2000
	v_lshlrev_b32_e32 v2, 23, v2
	v_lshlrev_b32_sdwa v4, v12, v4 dst_sel:DWORD dst_unused:UNUSED_PAD src0_sel:DWORD src1_sel:WORD_0
	v_and_or_b32 v4, 0x8000, v4, v9
	v_lshl_or_b32 v99, v4, 16, v2
.LBB300_1240:                           ;   in Loop: Header=BB300_10 Depth=1
	s_or_b32 exec_lo, exec_lo, s19
.LBB300_1241:                           ;   in Loop: Header=BB300_10 Depth=1
	s_or_b32 exec_lo, exec_lo, s18
.LBB300_1242:                           ;   in Loop: Header=BB300_10 Depth=1
	s_or_b32 exec_lo, exec_lo, s17
	v_lshrrev_b32_e32 v4, 16, v24
	v_cmp_ne_u16_sdwa s5, v4, v5 src0_sel:BYTE_0 src1_sel:DWORD
	s_and_saveexec_b32 s17, s5
	s_cbranch_execz .LBB300_1250
; %bb.1243:                             ;   in Loop: Header=BB300_10 Depth=1
	v_cmp_ne_u16_sdwa s5, v4, v111 src0_sel:BYTE_0 src1_sel:DWORD
	v_mov_b32_e32 v101, 0x8000
	s_and_saveexec_b32 s18, s5
	s_cbranch_execz .LBB300_1249
; %bb.1244:                             ;   in Loop: Header=BB300_10 Depth=1
	v_bfe_u32 v12, v24, 16, 7
	v_mov_b32_e32 v101, 0x7c01
	s_mov_b32 s19, exec_lo
	v_cmpx_ne_u32_e32 0x7f, v12
	s_cbranch_execz .LBB300_1248
; %bb.1245:                             ;   in Loop: Header=BB300_10 Depth=1
	v_and_b32_e32 v2, 7, v4
	v_lshrrev_b32_e32 v9, 3, v12
	s_mov_b32 s20, exec_lo
	v_cmpx_gt_u32_e32 8, v12
; %bb.1246:                             ;   in Loop: Header=BB300_10 Depth=1
	v_ffbh_u32_e32 v2, v2
	v_min_u32_e32 v2, 32, v2
	v_subrev_nc_u32_e32 v9, 28, v2
	v_lshlrev_b64 v[31:32], v9, v[4:5]
	v_sub_nc_u32_e32 v9, 29, v2
	v_and_b32_e32 v2, 7, v31
; %bb.1247:                             ;   in Loop: Header=BB300_10 Depth=1
	s_or_b32 exec_lo, exec_lo, s20
	v_lshlrev_b32_e32 v4, 8, v4
	v_lshl_add_u32 v9, v9, 10, 0x2000
	v_lshlrev_b32_e32 v2, 7, v2
	v_and_b32_e32 v4, 0x8000, v4
	v_and_b32_e32 v9, 0xfc00, v9
	v_or3_b32 v101, v4, v9, v2
.LBB300_1248:                           ;   in Loop: Header=BB300_10 Depth=1
	s_or_b32 exec_lo, exec_lo, s19
.LBB300_1249:                           ;   in Loop: Header=BB300_10 Depth=1
	s_or_b32 exec_lo, exec_lo, s18
.LBB300_1250:                           ;   in Loop: Header=BB300_10 Depth=1
	s_or_b32 exec_lo, exec_lo, s17
	v_mov_b32_e32 v36, 0
	v_mov_b32_e32 v112, 0
	s_mov_b32 s17, exec_lo
	v_cmpx_lt_u32_e32 0xffffff, v24
	s_cbranch_execz .LBB300_1258
; %bb.1251:                             ;   in Loop: Header=BB300_10 Depth=1
	v_lshrrev_b32_e32 v4, 24, v24
	v_bfrev_b32_e32 v112, 1
	s_mov_b32 s18, exec_lo
	v_cmpx_ne_u32_e32 0x80, v4
	s_cbranch_execz .LBB300_1257
; %bb.1252:                             ;   in Loop: Header=BB300_10 Depth=1
	v_and_b32_e32 v12, 0x7f, v4
	v_mov_b32_e32 v112, 0x7c010000
	s_mov_b32 s19, exec_lo
	v_cmpx_ne_u32_e32 0x7f, v12
	s_cbranch_execz .LBB300_1256
; %bb.1253:                             ;   in Loop: Header=BB300_10 Depth=1
	v_and_b32_e32 v2, 7, v4
	v_lshrrev_b32_e32 v9, 3, v12
	s_mov_b32 s20, exec_lo
	v_cmpx_gt_u32_e32 8, v12
; %bb.1254:                             ;   in Loop: Header=BB300_10 Depth=1
	v_ffbh_u32_e32 v2, v2
	v_min_u32_e32 v2, 32, v2
	v_subrev_nc_u32_e32 v9, 28, v2
	v_lshlrev_b64 v[31:32], v9, v[4:5]
	v_sub_nc_u32_e32 v9, 29, v2
	v_and_b32_e32 v2, 7, v31
; %bb.1255:                             ;   in Loop: Header=BB300_10 Depth=1
	s_or_b32 exec_lo, exec_lo, s20
	v_lshlrev_b32_e32 v4, 8, v4
	v_lshl_add_u32 v9, v9, 10, 0x2000
	v_lshlrev_b32_e32 v2, 23, v2
	v_and_or_b32 v4, 0x8000, v4, v9
	v_lshl_or_b32 v112, v4, 16, v2
.LBB300_1256:                           ;   in Loop: Header=BB300_10 Depth=1
	s_or_b32 exec_lo, exec_lo, s19
.LBB300_1257:                           ;   in Loop: Header=BB300_10 Depth=1
	s_or_b32 exec_lo, exec_lo, s18
.LBB300_1258:                           ;   in Loop: Header=BB300_10 Depth=1
	s_or_b32 exec_lo, exec_lo, s17
	v_mov_b32_e32 v4, v25
	v_cmp_ne_u16_sdwa s5, v25, v5 src0_sel:BYTE_0 src1_sel:DWORD
	s_and_saveexec_b32 s17, s5
	s_cbranch_execz .LBB300_1266
; %bb.1259:                             ;   in Loop: Header=BB300_10 Depth=1
	v_cmp_ne_u16_sdwa s5, v25, v111 src0_sel:BYTE_0 src1_sel:DWORD
	v_mov_b32_e32 v36, 0x8000
	s_and_saveexec_b32 s18, s5
	s_cbranch_execz .LBB300_1265
; %bb.1260:                             ;   in Loop: Header=BB300_10 Depth=1
	v_and_b32_e32 v12, 0x7f, v25
	v_mov_b32_e32 v36, 0x7c01
	s_mov_b32 s19, exec_lo
	v_cmpx_ne_u32_e32 0x7f, v12
	s_cbranch_execz .LBB300_1264
; %bb.1261:                             ;   in Loop: Header=BB300_10 Depth=1
	v_and_b32_e32 v2, 7, v25
	v_lshrrev_b32_e32 v9, 3, v12
	s_mov_b32 s20, exec_lo
	v_cmpx_gt_u32_e32 8, v12
; %bb.1262:                             ;   in Loop: Header=BB300_10 Depth=1
	v_ffbh_u32_e32 v2, v2
	v_min_u32_e32 v2, 32, v2
	v_subrev_nc_u32_e32 v9, 28, v2
	v_lshlrev_b64 v[31:32], v9, v[4:5]
	v_sub_nc_u32_e32 v9, 29, v2
	v_and_b32_e32 v2, 7, v31
; %bb.1263:                             ;   in Loop: Header=BB300_10 Depth=1
	s_or_b32 exec_lo, exec_lo, s20
	v_lshlrev_b32_e32 v12, 8, v25
	v_lshl_add_u32 v9, v9, 10, 0x2000
	v_lshlrev_b32_e32 v2, 7, v2
	v_and_b32_e32 v12, 0x8000, v12
	v_and_b32_e32 v9, 0xfc00, v9
	v_or3_b32 v36, v12, v9, v2
.LBB300_1264:                           ;   in Loop: Header=BB300_10 Depth=1
	s_or_b32 exec_lo, exec_lo, s19
.LBB300_1265:                           ;   in Loop: Header=BB300_10 Depth=1
	s_or_b32 exec_lo, exec_lo, s18
.LBB300_1266:                           ;   in Loop: Header=BB300_10 Depth=1
	s_or_b32 exec_lo, exec_lo, s17
	v_lshrrev_b16 v4, 8, v4
	v_mov_b32_e32 v114, 0
	v_mov_b32_e32 v115, 0
	s_mov_b32 s17, exec_lo
	v_cmpx_ne_u16_e32 0, v4
	s_cbranch_execz .LBB300_1274
; %bb.1267:                             ;   in Loop: Header=BB300_10 Depth=1
	v_bfrev_b32_e32 v115, 1
	s_mov_b32 s18, exec_lo
	v_cmpx_ne_u16_e32 0x80, v4
	s_cbranch_execz .LBB300_1273
; %bb.1268:                             ;   in Loop: Header=BB300_10 Depth=1
	v_mov_b32_e32 v2, 0x7f
	v_mov_b32_e32 v115, 0x7c010000
	s_mov_b32 s19, exec_lo
	v_and_b32_sdwa v12, v4, v2 dst_sel:DWORD dst_unused:UNUSED_PAD src0_sel:WORD_0 src1_sel:DWORD
	v_cmpx_ne_u32_e32 0x7f, v12
	s_cbranch_execz .LBB300_1272
; %bb.1269:                             ;   in Loop: Header=BB300_10 Depth=1
	v_mov_b32_e32 v2, 7
	v_lshrrev_b32_e32 v9, 3, v12
	s_mov_b32 s20, exec_lo
	v_and_b32_sdwa v2, v4, v2 dst_sel:DWORD dst_unused:UNUSED_PAD src0_sel:WORD_0 src1_sel:DWORD
	v_cmpx_gt_u32_e32 8, v12
; %bb.1270:                             ;   in Loop: Header=BB300_10 Depth=1
	v_ffbh_u32_e32 v2, v2
	v_min_u32_e32 v2, 32, v2
	v_subrev_nc_u32_e32 v9, 28, v2
	v_lshlrev_b64 v[31:32], v9, v[4:5]
	v_sub_nc_u32_e32 v9, 29, v2
	v_and_b32_e32 v2, 7, v31
; %bb.1271:                             ;   in Loop: Header=BB300_10 Depth=1
	s_or_b32 exec_lo, exec_lo, s20
	v_mov_b32_e32 v12, 8
	v_lshl_add_u32 v9, v9, 10, 0x2000
	v_lshlrev_b32_e32 v2, 23, v2
	v_lshlrev_b32_sdwa v4, v12, v4 dst_sel:DWORD dst_unused:UNUSED_PAD src0_sel:DWORD src1_sel:WORD_0
	v_and_or_b32 v4, 0x8000, v4, v9
	v_lshl_or_b32 v115, v4, 16, v2
.LBB300_1272:                           ;   in Loop: Header=BB300_10 Depth=1
	s_or_b32 exec_lo, exec_lo, s19
.LBB300_1273:                           ;   in Loop: Header=BB300_10 Depth=1
	s_or_b32 exec_lo, exec_lo, s18
.LBB300_1274:                           ;   in Loop: Header=BB300_10 Depth=1
	s_or_b32 exec_lo, exec_lo, s17
	v_lshrrev_b32_e32 v4, 16, v25
	v_cmp_ne_u16_sdwa s5, v4, v5 src0_sel:BYTE_0 src1_sel:DWORD
	s_and_saveexec_b32 s17, s5
	s_cbranch_execz .LBB300_1282
; %bb.1275:                             ;   in Loop: Header=BB300_10 Depth=1
	v_cmp_ne_u16_sdwa s5, v4, v111 src0_sel:BYTE_0 src1_sel:DWORD
	v_mov_b32_e32 v114, 0x8000
	s_and_saveexec_b32 s18, s5
	s_cbranch_execz .LBB300_1281
; %bb.1276:                             ;   in Loop: Header=BB300_10 Depth=1
	v_bfe_u32 v12, v25, 16, 7
	v_mov_b32_e32 v114, 0x7c01
	s_mov_b32 s19, exec_lo
	v_cmpx_ne_u32_e32 0x7f, v12
	s_cbranch_execz .LBB300_1280
; %bb.1277:                             ;   in Loop: Header=BB300_10 Depth=1
	v_and_b32_e32 v2, 7, v4
	v_lshrrev_b32_e32 v9, 3, v12
	s_mov_b32 s20, exec_lo
	v_cmpx_gt_u32_e32 8, v12
; %bb.1278:                             ;   in Loop: Header=BB300_10 Depth=1
	v_ffbh_u32_e32 v2, v2
	v_min_u32_e32 v2, 32, v2
	v_subrev_nc_u32_e32 v9, 28, v2
	v_lshlrev_b64 v[31:32], v9, v[4:5]
	v_sub_nc_u32_e32 v9, 29, v2
	v_and_b32_e32 v2, 7, v31
; %bb.1279:                             ;   in Loop: Header=BB300_10 Depth=1
	s_or_b32 exec_lo, exec_lo, s20
	v_lshlrev_b32_e32 v4, 8, v4
	v_lshl_add_u32 v9, v9, 10, 0x2000
	v_lshlrev_b32_e32 v2, 7, v2
	v_and_b32_e32 v4, 0x8000, v4
	v_and_b32_e32 v9, 0xfc00, v9
	v_or3_b32 v114, v4, v9, v2
.LBB300_1280:                           ;   in Loop: Header=BB300_10 Depth=1
	s_or_b32 exec_lo, exec_lo, s19
.LBB300_1281:                           ;   in Loop: Header=BB300_10 Depth=1
	s_or_b32 exec_lo, exec_lo, s18
.LBB300_1282:                           ;   in Loop: Header=BB300_10 Depth=1
	s_or_b32 exec_lo, exec_lo, s17
	v_mov_b32_e32 v79, 0
	v_mov_b32_e32 v43, 0
	s_mov_b32 s17, exec_lo
	v_cmpx_lt_u64_e64 s[6:7], v[24:25]
	s_cbranch_execz .LBB300_1290
; %bb.1283:                             ;   in Loop: Header=BB300_10 Depth=1
	v_lshrrev_b32_e32 v4, 24, v25
	v_bfrev_b32_e32 v43, 1
	s_mov_b32 s18, exec_lo
	v_cmpx_ne_u32_e32 0x80, v4
	s_cbranch_execz .LBB300_1289
; %bb.1284:                             ;   in Loop: Header=BB300_10 Depth=1
	v_and_b32_e32 v12, 0x7f, v4
	v_mov_b32_e32 v43, 0x7c010000
	s_mov_b32 s19, exec_lo
	v_cmpx_ne_u32_e32 0x7f, v12
	s_cbranch_execz .LBB300_1288
; %bb.1285:                             ;   in Loop: Header=BB300_10 Depth=1
	v_and_b32_e32 v2, 7, v4
	v_lshrrev_b32_e32 v9, 3, v12
	s_mov_b32 s20, exec_lo
	v_cmpx_gt_u32_e32 8, v12
; %bb.1286:                             ;   in Loop: Header=BB300_10 Depth=1
	v_ffbh_u32_e32 v2, v2
	v_min_u32_e32 v2, 32, v2
	v_subrev_nc_u32_e32 v9, 28, v2
	v_lshlrev_b64 v[24:25], v9, v[4:5]
	v_sub_nc_u32_e32 v9, 29, v2
	v_and_b32_e32 v2, 7, v24
; %bb.1287:                             ;   in Loop: Header=BB300_10 Depth=1
	s_or_b32 exec_lo, exec_lo, s20
	v_lshlrev_b32_e32 v4, 8, v4
	v_lshl_add_u32 v9, v9, 10, 0x2000
	v_lshlrev_b32_e32 v2, 23, v2
	v_and_or_b32 v4, 0x8000, v4, v9
	v_lshl_or_b32 v43, v4, 16, v2
.LBB300_1288:                           ;   in Loop: Header=BB300_10 Depth=1
	s_or_b32 exec_lo, exec_lo, s19
.LBB300_1289:                           ;   in Loop: Header=BB300_10 Depth=1
	s_or_b32 exec_lo, exec_lo, s18
.LBB300_1290:                           ;   in Loop: Header=BB300_10 Depth=1
	s_or_b32 exec_lo, exec_lo, s17
	flat_load_dwordx2 v[24:25], v[16:17] offset:1024
	s_waitcnt vmcnt(0) lgkmcnt(0)
	v_cmp_ne_u16_sdwa s5, v24, v5 src0_sel:BYTE_0 src1_sel:DWORD
	s_and_saveexec_b32 s17, s5
	s_cbranch_execz .LBB300_1298
; %bb.1291:                             ;   in Loop: Header=BB300_10 Depth=1
	v_cmp_ne_u16_sdwa s5, v24, v111 src0_sel:BYTE_0 src1_sel:DWORD
	v_mov_b32_e32 v79, 0x8000
	s_and_saveexec_b32 s18, s5
	s_cbranch_execz .LBB300_1297
; %bb.1292:                             ;   in Loop: Header=BB300_10 Depth=1
	v_and_b32_e32 v9, 0x7f, v24
	v_mov_b32_e32 v79, 0x7c01
	s_mov_b32 s19, exec_lo
	v_cmpx_ne_u32_e32 0x7f, v9
	s_cbranch_execz .LBB300_1296
; %bb.1293:                             ;   in Loop: Header=BB300_10 Depth=1
	v_and_b32_e32 v2, 7, v24
	v_lshrrev_b32_e32 v4, 3, v9
	s_mov_b32 s20, exec_lo
	v_cmpx_gt_u32_e32 8, v9
; %bb.1294:                             ;   in Loop: Header=BB300_10 Depth=1
	v_ffbh_u32_e32 v2, v2
	v_min_u32_e32 v2, 32, v2
	v_subrev_nc_u32_e32 v4, 28, v2
	v_lshlrev_b64 v[31:32], v4, v[24:25]
	v_sub_nc_u32_e32 v4, 29, v2
	v_and_b32_e32 v2, 7, v31
; %bb.1295:                             ;   in Loop: Header=BB300_10 Depth=1
	s_or_b32 exec_lo, exec_lo, s20
	v_lshlrev_b32_e32 v9, 8, v24
	v_lshl_add_u32 v4, v4, 10, 0x2000
	v_lshlrev_b32_e32 v2, 7, v2
	v_and_b32_e32 v9, 0x8000, v9
	v_and_b32_e32 v4, 0xfc00, v4
	v_or3_b32 v79, v9, v4, v2
.LBB300_1296:                           ;   in Loop: Header=BB300_10 Depth=1
	s_or_b32 exec_lo, exec_lo, s19
.LBB300_1297:                           ;   in Loop: Header=BB300_10 Depth=1
	s_or_b32 exec_lo, exec_lo, s18
.LBB300_1298:                           ;   in Loop: Header=BB300_10 Depth=1
	s_or_b32 exec_lo, exec_lo, s17
	v_lshrrev_b16 v4, 8, v24
	v_mov_b32_e32 v120, 0
	v_mov_b32_e32 v109, 0
	s_mov_b32 s17, exec_lo
	v_cmpx_ne_u16_e32 0, v4
	s_cbranch_execz .LBB300_1306
; %bb.1299:                             ;   in Loop: Header=BB300_10 Depth=1
	v_bfrev_b32_e32 v109, 1
	s_mov_b32 s18, exec_lo
	v_cmpx_ne_u16_e32 0x80, v4
	s_cbranch_execz .LBB300_1305
; %bb.1300:                             ;   in Loop: Header=BB300_10 Depth=1
	v_mov_b32_e32 v2, 0x7f
	v_mov_b32_e32 v109, 0x7c010000
	s_mov_b32 s19, exec_lo
	v_and_b32_sdwa v12, v4, v2 dst_sel:DWORD dst_unused:UNUSED_PAD src0_sel:WORD_0 src1_sel:DWORD
	v_cmpx_ne_u32_e32 0x7f, v12
	s_cbranch_execz .LBB300_1304
; %bb.1301:                             ;   in Loop: Header=BB300_10 Depth=1
	v_mov_b32_e32 v2, 7
	v_lshrrev_b32_e32 v9, 3, v12
	s_mov_b32 s20, exec_lo
	v_and_b32_sdwa v2, v4, v2 dst_sel:DWORD dst_unused:UNUSED_PAD src0_sel:WORD_0 src1_sel:DWORD
	v_cmpx_gt_u32_e32 8, v12
; %bb.1302:                             ;   in Loop: Header=BB300_10 Depth=1
	v_ffbh_u32_e32 v2, v2
	v_min_u32_e32 v2, 32, v2
	v_subrev_nc_u32_e32 v9, 28, v2
	v_lshlrev_b64 v[31:32], v9, v[4:5]
	v_sub_nc_u32_e32 v9, 29, v2
	v_and_b32_e32 v2, 7, v31
; %bb.1303:                             ;   in Loop: Header=BB300_10 Depth=1
	s_or_b32 exec_lo, exec_lo, s20
	v_mov_b32_e32 v12, 8
	v_lshl_add_u32 v9, v9, 10, 0x2000
	v_lshlrev_b32_e32 v2, 23, v2
	v_lshlrev_b32_sdwa v4, v12, v4 dst_sel:DWORD dst_unused:UNUSED_PAD src0_sel:DWORD src1_sel:WORD_0
	v_and_or_b32 v4, 0x8000, v4, v9
	v_lshl_or_b32 v109, v4, 16, v2
.LBB300_1304:                           ;   in Loop: Header=BB300_10 Depth=1
	s_or_b32 exec_lo, exec_lo, s19
.LBB300_1305:                           ;   in Loop: Header=BB300_10 Depth=1
	s_or_b32 exec_lo, exec_lo, s18
.LBB300_1306:                           ;   in Loop: Header=BB300_10 Depth=1
	s_or_b32 exec_lo, exec_lo, s17
	v_lshrrev_b32_e32 v4, 16, v24
	v_cmp_ne_u16_sdwa s5, v4, v5 src0_sel:BYTE_0 src1_sel:DWORD
	s_and_saveexec_b32 s17, s5
	s_cbranch_execz .LBB300_1314
; %bb.1307:                             ;   in Loop: Header=BB300_10 Depth=1
	v_cmp_ne_u16_sdwa s5, v4, v111 src0_sel:BYTE_0 src1_sel:DWORD
	v_mov_b32_e32 v120, 0x8000
	s_and_saveexec_b32 s18, s5
	s_cbranch_execz .LBB300_1313
; %bb.1308:                             ;   in Loop: Header=BB300_10 Depth=1
	v_bfe_u32 v12, v24, 16, 7
	v_mov_b32_e32 v120, 0x7c01
	s_mov_b32 s19, exec_lo
	v_cmpx_ne_u32_e32 0x7f, v12
	s_cbranch_execz .LBB300_1312
; %bb.1309:                             ;   in Loop: Header=BB300_10 Depth=1
	v_and_b32_e32 v2, 7, v4
	v_lshrrev_b32_e32 v9, 3, v12
	s_mov_b32 s20, exec_lo
	v_cmpx_gt_u32_e32 8, v12
; %bb.1310:                             ;   in Loop: Header=BB300_10 Depth=1
	v_ffbh_u32_e32 v2, v2
	v_min_u32_e32 v2, 32, v2
	v_subrev_nc_u32_e32 v9, 28, v2
	v_lshlrev_b64 v[31:32], v9, v[4:5]
	v_sub_nc_u32_e32 v9, 29, v2
	v_and_b32_e32 v2, 7, v31
; %bb.1311:                             ;   in Loop: Header=BB300_10 Depth=1
	s_or_b32 exec_lo, exec_lo, s20
	v_lshlrev_b32_e32 v4, 8, v4
	v_lshl_add_u32 v9, v9, 10, 0x2000
	v_lshlrev_b32_e32 v2, 7, v2
	v_and_b32_e32 v4, 0x8000, v4
	v_and_b32_e32 v9, 0xfc00, v9
	v_or3_b32 v120, v4, v9, v2
.LBB300_1312:                           ;   in Loop: Header=BB300_10 Depth=1
	s_or_b32 exec_lo, exec_lo, s19
.LBB300_1313:                           ;   in Loop: Header=BB300_10 Depth=1
	s_or_b32 exec_lo, exec_lo, s18
.LBB300_1314:                           ;   in Loop: Header=BB300_10 Depth=1
	s_or_b32 exec_lo, exec_lo, s17
	v_mov_b32_e32 v124, 0
	v_mov_b32_e32 v54, 0
	s_mov_b32 s17, exec_lo
	v_cmpx_lt_u32_e32 0xffffff, v24
	s_cbranch_execz .LBB300_1322
; %bb.1315:                             ;   in Loop: Header=BB300_10 Depth=1
	v_lshrrev_b32_e32 v4, 24, v24
	v_bfrev_b32_e32 v54, 1
	s_mov_b32 s18, exec_lo
	v_cmpx_ne_u32_e32 0x80, v4
	s_cbranch_execz .LBB300_1321
; %bb.1316:                             ;   in Loop: Header=BB300_10 Depth=1
	v_and_b32_e32 v12, 0x7f, v4
	v_mov_b32_e32 v54, 0x7c010000
	s_mov_b32 s19, exec_lo
	v_cmpx_ne_u32_e32 0x7f, v12
	s_cbranch_execz .LBB300_1320
; %bb.1317:                             ;   in Loop: Header=BB300_10 Depth=1
	v_and_b32_e32 v2, 7, v4
	v_lshrrev_b32_e32 v9, 3, v12
	s_mov_b32 s20, exec_lo
	v_cmpx_gt_u32_e32 8, v12
; %bb.1318:                             ;   in Loop: Header=BB300_10 Depth=1
	v_ffbh_u32_e32 v2, v2
	v_min_u32_e32 v2, 32, v2
	v_subrev_nc_u32_e32 v9, 28, v2
	v_lshlrev_b64 v[31:32], v9, v[4:5]
	v_sub_nc_u32_e32 v9, 29, v2
	v_and_b32_e32 v2, 7, v31
; %bb.1319:                             ;   in Loop: Header=BB300_10 Depth=1
	s_or_b32 exec_lo, exec_lo, s20
	v_lshlrev_b32_e32 v4, 8, v4
	v_lshl_add_u32 v9, v9, 10, 0x2000
	v_lshlrev_b32_e32 v2, 23, v2
	v_and_or_b32 v4, 0x8000, v4, v9
	v_lshl_or_b32 v54, v4, 16, v2
.LBB300_1320:                           ;   in Loop: Header=BB300_10 Depth=1
	s_or_b32 exec_lo, exec_lo, s19
.LBB300_1321:                           ;   in Loop: Header=BB300_10 Depth=1
	s_or_b32 exec_lo, exec_lo, s18
.LBB300_1322:                           ;   in Loop: Header=BB300_10 Depth=1
	s_or_b32 exec_lo, exec_lo, s17
	v_mov_b32_e32 v4, v25
	v_cmp_ne_u16_sdwa s5, v25, v5 src0_sel:BYTE_0 src1_sel:DWORD
	s_and_saveexec_b32 s17, s5
	s_cbranch_execz .LBB300_1330
; %bb.1323:                             ;   in Loop: Header=BB300_10 Depth=1
	v_cmp_ne_u16_sdwa s5, v25, v111 src0_sel:BYTE_0 src1_sel:DWORD
	v_mov_b32_e32 v124, 0x8000
	s_and_saveexec_b32 s18, s5
	s_cbranch_execz .LBB300_1329
; %bb.1324:                             ;   in Loop: Header=BB300_10 Depth=1
	v_and_b32_e32 v12, 0x7f, v25
	v_mov_b32_e32 v124, 0x7c01
	s_mov_b32 s19, exec_lo
	v_cmpx_ne_u32_e32 0x7f, v12
	s_cbranch_execz .LBB300_1328
; %bb.1325:                             ;   in Loop: Header=BB300_10 Depth=1
	v_and_b32_e32 v2, 7, v25
	v_lshrrev_b32_e32 v9, 3, v12
	s_mov_b32 s20, exec_lo
	v_cmpx_gt_u32_e32 8, v12
; %bb.1326:                             ;   in Loop: Header=BB300_10 Depth=1
	v_ffbh_u32_e32 v2, v2
	v_min_u32_e32 v2, 32, v2
	v_subrev_nc_u32_e32 v9, 28, v2
	v_lshlrev_b64 v[31:32], v9, v[4:5]
	v_sub_nc_u32_e32 v9, 29, v2
	v_and_b32_e32 v2, 7, v31
; %bb.1327:                             ;   in Loop: Header=BB300_10 Depth=1
	s_or_b32 exec_lo, exec_lo, s20
	v_lshlrev_b32_e32 v12, 8, v25
	v_lshl_add_u32 v9, v9, 10, 0x2000
	v_lshlrev_b32_e32 v2, 7, v2
	v_and_b32_e32 v12, 0x8000, v12
	v_and_b32_e32 v9, 0xfc00, v9
	v_or3_b32 v124, v12, v9, v2
.LBB300_1328:                           ;   in Loop: Header=BB300_10 Depth=1
	s_or_b32 exec_lo, exec_lo, s19
.LBB300_1329:                           ;   in Loop: Header=BB300_10 Depth=1
	s_or_b32 exec_lo, exec_lo, s18
.LBB300_1330:                           ;   in Loop: Header=BB300_10 Depth=1
	s_or_b32 exec_lo, exec_lo, s17
	v_lshrrev_b16 v4, 8, v4
	v_mov_b32_e32 v92, 0
	v_mov_b32_e32 v93, 0
	s_mov_b32 s17, exec_lo
	v_cmpx_ne_u16_e32 0, v4
	s_cbranch_execz .LBB300_1338
; %bb.1331:                             ;   in Loop: Header=BB300_10 Depth=1
	v_bfrev_b32_e32 v93, 1
	s_mov_b32 s18, exec_lo
	v_cmpx_ne_u16_e32 0x80, v4
	s_cbranch_execz .LBB300_1337
; %bb.1332:                             ;   in Loop: Header=BB300_10 Depth=1
	v_mov_b32_e32 v2, 0x7f
	v_mov_b32_e32 v93, 0x7c010000
	s_mov_b32 s19, exec_lo
	v_and_b32_sdwa v12, v4, v2 dst_sel:DWORD dst_unused:UNUSED_PAD src0_sel:WORD_0 src1_sel:DWORD
	v_cmpx_ne_u32_e32 0x7f, v12
	s_cbranch_execz .LBB300_1336
; %bb.1333:                             ;   in Loop: Header=BB300_10 Depth=1
	v_mov_b32_e32 v2, 7
	v_lshrrev_b32_e32 v9, 3, v12
	s_mov_b32 s20, exec_lo
	v_and_b32_sdwa v2, v4, v2 dst_sel:DWORD dst_unused:UNUSED_PAD src0_sel:WORD_0 src1_sel:DWORD
	v_cmpx_gt_u32_e32 8, v12
; %bb.1334:                             ;   in Loop: Header=BB300_10 Depth=1
	v_ffbh_u32_e32 v2, v2
	v_min_u32_e32 v2, 32, v2
	v_subrev_nc_u32_e32 v9, 28, v2
	v_lshlrev_b64 v[31:32], v9, v[4:5]
	v_sub_nc_u32_e32 v9, 29, v2
	v_and_b32_e32 v2, 7, v31
; %bb.1335:                             ;   in Loop: Header=BB300_10 Depth=1
	s_or_b32 exec_lo, exec_lo, s20
	v_mov_b32_e32 v12, 8
	v_lshl_add_u32 v9, v9, 10, 0x2000
	v_lshlrev_b32_e32 v2, 23, v2
	v_lshlrev_b32_sdwa v4, v12, v4 dst_sel:DWORD dst_unused:UNUSED_PAD src0_sel:DWORD src1_sel:WORD_0
	v_and_or_b32 v4, 0x8000, v4, v9
	v_lshl_or_b32 v93, v4, 16, v2
.LBB300_1336:                           ;   in Loop: Header=BB300_10 Depth=1
	s_or_b32 exec_lo, exec_lo, s19
.LBB300_1337:                           ;   in Loop: Header=BB300_10 Depth=1
	s_or_b32 exec_lo, exec_lo, s18
.LBB300_1338:                           ;   in Loop: Header=BB300_10 Depth=1
	s_or_b32 exec_lo, exec_lo, s17
	v_lshrrev_b32_e32 v4, 16, v25
	v_cmp_ne_u16_sdwa s5, v4, v5 src0_sel:BYTE_0 src1_sel:DWORD
	s_and_saveexec_b32 s17, s5
	s_cbranch_execz .LBB300_1346
; %bb.1339:                             ;   in Loop: Header=BB300_10 Depth=1
	v_cmp_ne_u16_sdwa s5, v4, v111 src0_sel:BYTE_0 src1_sel:DWORD
	v_mov_b32_e32 v92, 0x8000
	s_and_saveexec_b32 s18, s5
	s_cbranch_execz .LBB300_1345
; %bb.1340:                             ;   in Loop: Header=BB300_10 Depth=1
	v_bfe_u32 v12, v25, 16, 7
	v_mov_b32_e32 v92, 0x7c01
	s_mov_b32 s19, exec_lo
	v_cmpx_ne_u32_e32 0x7f, v12
	s_cbranch_execz .LBB300_1344
; %bb.1341:                             ;   in Loop: Header=BB300_10 Depth=1
	v_and_b32_e32 v2, 7, v4
	v_lshrrev_b32_e32 v9, 3, v12
	s_mov_b32 s20, exec_lo
	v_cmpx_gt_u32_e32 8, v12
; %bb.1342:                             ;   in Loop: Header=BB300_10 Depth=1
	v_ffbh_u32_e32 v2, v2
	v_min_u32_e32 v2, 32, v2
	v_subrev_nc_u32_e32 v9, 28, v2
	v_lshlrev_b64 v[31:32], v9, v[4:5]
	v_sub_nc_u32_e32 v9, 29, v2
	v_and_b32_e32 v2, 7, v31
; %bb.1343:                             ;   in Loop: Header=BB300_10 Depth=1
	s_or_b32 exec_lo, exec_lo, s20
	v_lshlrev_b32_e32 v4, 8, v4
	v_lshl_add_u32 v9, v9, 10, 0x2000
	v_lshlrev_b32_e32 v2, 7, v2
	v_and_b32_e32 v4, 0x8000, v4
	v_and_b32_e32 v9, 0xfc00, v9
	v_or3_b32 v92, v4, v9, v2
.LBB300_1344:                           ;   in Loop: Header=BB300_10 Depth=1
	s_or_b32 exec_lo, exec_lo, s19
.LBB300_1345:                           ;   in Loop: Header=BB300_10 Depth=1
	s_or_b32 exec_lo, exec_lo, s18
.LBB300_1346:                           ;   in Loop: Header=BB300_10 Depth=1
	s_or_b32 exec_lo, exec_lo, s17
	v_mov_b32_e32 v89, 0
	v_mov_b32_e32 v88, 0
	s_mov_b32 s17, exec_lo
	v_cmpx_lt_u64_e64 s[6:7], v[24:25]
	s_cbranch_execz .LBB300_1354
; %bb.1347:                             ;   in Loop: Header=BB300_10 Depth=1
	v_lshrrev_b32_e32 v4, 24, v25
	v_bfrev_b32_e32 v88, 1
	s_mov_b32 s18, exec_lo
	v_cmpx_ne_u32_e32 0x80, v4
	s_cbranch_execz .LBB300_1353
; %bb.1348:                             ;   in Loop: Header=BB300_10 Depth=1
	v_and_b32_e32 v12, 0x7f, v4
	v_mov_b32_e32 v88, 0x7c010000
	s_mov_b32 s19, exec_lo
	v_cmpx_ne_u32_e32 0x7f, v12
	s_cbranch_execz .LBB300_1352
; %bb.1349:                             ;   in Loop: Header=BB300_10 Depth=1
	v_and_b32_e32 v2, 7, v4
	v_lshrrev_b32_e32 v9, 3, v12
	s_mov_b32 s20, exec_lo
	v_cmpx_gt_u32_e32 8, v12
; %bb.1350:                             ;   in Loop: Header=BB300_10 Depth=1
	v_ffbh_u32_e32 v2, v2
	v_min_u32_e32 v2, 32, v2
	v_subrev_nc_u32_e32 v9, 28, v2
	v_lshlrev_b64 v[24:25], v9, v[4:5]
	v_sub_nc_u32_e32 v9, 29, v2
	v_and_b32_e32 v2, 7, v24
; %bb.1351:                             ;   in Loop: Header=BB300_10 Depth=1
	s_or_b32 exec_lo, exec_lo, s20
	v_lshlrev_b32_e32 v4, 8, v4
	v_lshl_add_u32 v9, v9, 10, 0x2000
	v_lshlrev_b32_e32 v2, 23, v2
	v_and_or_b32 v4, 0x8000, v4, v9
	v_lshl_or_b32 v88, v4, 16, v2
.LBB300_1352:                           ;   in Loop: Header=BB300_10 Depth=1
	s_or_b32 exec_lo, exec_lo, s19
.LBB300_1353:                           ;   in Loop: Header=BB300_10 Depth=1
	s_or_b32 exec_lo, exec_lo, s18
.LBB300_1354:                           ;   in Loop: Header=BB300_10 Depth=1
	s_or_b32 exec_lo, exec_lo, s17
	flat_load_dwordx2 v[24:25], v[16:17] offset:1032
	s_waitcnt vmcnt(0) lgkmcnt(0)
	v_cmp_ne_u16_sdwa s5, v24, v5 src0_sel:BYTE_0 src1_sel:DWORD
	s_and_saveexec_b32 s17, s5
	s_cbranch_execz .LBB300_1362
; %bb.1355:                             ;   in Loop: Header=BB300_10 Depth=1
	v_cmp_ne_u16_sdwa s5, v24, v111 src0_sel:BYTE_0 src1_sel:DWORD
	v_mov_b32_e32 v89, 0x8000
	s_and_saveexec_b32 s18, s5
	s_cbranch_execz .LBB300_1361
; %bb.1356:                             ;   in Loop: Header=BB300_10 Depth=1
	v_and_b32_e32 v9, 0x7f, v24
	v_mov_b32_e32 v89, 0x7c01
	s_mov_b32 s19, exec_lo
	v_cmpx_ne_u32_e32 0x7f, v9
	s_cbranch_execz .LBB300_1360
; %bb.1357:                             ;   in Loop: Header=BB300_10 Depth=1
	v_and_b32_e32 v2, 7, v24
	v_lshrrev_b32_e32 v4, 3, v9
	s_mov_b32 s20, exec_lo
	v_cmpx_gt_u32_e32 8, v9
; %bb.1358:                             ;   in Loop: Header=BB300_10 Depth=1
	v_ffbh_u32_e32 v2, v2
	v_min_u32_e32 v2, 32, v2
	v_subrev_nc_u32_e32 v4, 28, v2
	v_lshlrev_b64 v[31:32], v4, v[24:25]
	v_sub_nc_u32_e32 v4, 29, v2
	v_and_b32_e32 v2, 7, v31
; %bb.1359:                             ;   in Loop: Header=BB300_10 Depth=1
	s_or_b32 exec_lo, exec_lo, s20
	v_lshlrev_b32_e32 v9, 8, v24
	v_lshl_add_u32 v4, v4, 10, 0x2000
	v_lshlrev_b32_e32 v2, 7, v2
	v_and_b32_e32 v9, 0x8000, v9
	v_and_b32_e32 v4, 0xfc00, v4
	v_or3_b32 v89, v9, v4, v2
.LBB300_1360:                           ;   in Loop: Header=BB300_10 Depth=1
	s_or_b32 exec_lo, exec_lo, s19
.LBB300_1361:                           ;   in Loop: Header=BB300_10 Depth=1
	s_or_b32 exec_lo, exec_lo, s18
.LBB300_1362:                           ;   in Loop: Header=BB300_10 Depth=1
	s_or_b32 exec_lo, exec_lo, s17
	v_lshrrev_b16 v4, 8, v24
	v_mov_b32_e32 v70, 0
	v_mov_b32_e32 v105, 0
	s_mov_b32 s17, exec_lo
	v_cmpx_ne_u16_e32 0, v4
	s_cbranch_execz .LBB300_1370
; %bb.1363:                             ;   in Loop: Header=BB300_10 Depth=1
	v_bfrev_b32_e32 v105, 1
	s_mov_b32 s18, exec_lo
	v_cmpx_ne_u16_e32 0x80, v4
	s_cbranch_execz .LBB300_1369
; %bb.1364:                             ;   in Loop: Header=BB300_10 Depth=1
	v_mov_b32_e32 v2, 0x7f
	v_mov_b32_e32 v105, 0x7c010000
	s_mov_b32 s19, exec_lo
	v_and_b32_sdwa v12, v4, v2 dst_sel:DWORD dst_unused:UNUSED_PAD src0_sel:WORD_0 src1_sel:DWORD
	v_cmpx_ne_u32_e32 0x7f, v12
	s_cbranch_execz .LBB300_1368
; %bb.1365:                             ;   in Loop: Header=BB300_10 Depth=1
	v_mov_b32_e32 v2, 7
	v_lshrrev_b32_e32 v9, 3, v12
	s_mov_b32 s20, exec_lo
	v_and_b32_sdwa v2, v4, v2 dst_sel:DWORD dst_unused:UNUSED_PAD src0_sel:WORD_0 src1_sel:DWORD
	v_cmpx_gt_u32_e32 8, v12
; %bb.1366:                             ;   in Loop: Header=BB300_10 Depth=1
	v_ffbh_u32_e32 v2, v2
	v_min_u32_e32 v2, 32, v2
	v_subrev_nc_u32_e32 v9, 28, v2
	v_lshlrev_b64 v[31:32], v9, v[4:5]
	v_sub_nc_u32_e32 v9, 29, v2
	v_and_b32_e32 v2, 7, v31
; %bb.1367:                             ;   in Loop: Header=BB300_10 Depth=1
	s_or_b32 exec_lo, exec_lo, s20
	v_mov_b32_e32 v12, 8
	v_lshl_add_u32 v9, v9, 10, 0x2000
	v_lshlrev_b32_e32 v2, 23, v2
	v_lshlrev_b32_sdwa v4, v12, v4 dst_sel:DWORD dst_unused:UNUSED_PAD src0_sel:DWORD src1_sel:WORD_0
	v_and_or_b32 v4, 0x8000, v4, v9
	v_lshl_or_b32 v105, v4, 16, v2
.LBB300_1368:                           ;   in Loop: Header=BB300_10 Depth=1
	s_or_b32 exec_lo, exec_lo, s19
.LBB300_1369:                           ;   in Loop: Header=BB300_10 Depth=1
	s_or_b32 exec_lo, exec_lo, s18
.LBB300_1370:                           ;   in Loop: Header=BB300_10 Depth=1
	s_or_b32 exec_lo, exec_lo, s17
	v_lshrrev_b32_e32 v4, 16, v24
	v_cmp_ne_u16_sdwa s5, v4, v5 src0_sel:BYTE_0 src1_sel:DWORD
	s_and_saveexec_b32 s17, s5
	s_cbranch_execz .LBB300_1378
; %bb.1371:                             ;   in Loop: Header=BB300_10 Depth=1
	v_cmp_ne_u16_sdwa s5, v4, v111 src0_sel:BYTE_0 src1_sel:DWORD
	v_mov_b32_e32 v70, 0x8000
	s_and_saveexec_b32 s18, s5
	s_cbranch_execz .LBB300_1377
; %bb.1372:                             ;   in Loop: Header=BB300_10 Depth=1
	v_bfe_u32 v12, v24, 16, 7
	v_mov_b32_e32 v70, 0x7c01
	s_mov_b32 s19, exec_lo
	v_cmpx_ne_u32_e32 0x7f, v12
	s_cbranch_execz .LBB300_1376
; %bb.1373:                             ;   in Loop: Header=BB300_10 Depth=1
	v_and_b32_e32 v2, 7, v4
	v_lshrrev_b32_e32 v9, 3, v12
	s_mov_b32 s20, exec_lo
	v_cmpx_gt_u32_e32 8, v12
; %bb.1374:                             ;   in Loop: Header=BB300_10 Depth=1
	v_ffbh_u32_e32 v2, v2
	v_min_u32_e32 v2, 32, v2
	v_subrev_nc_u32_e32 v9, 28, v2
	v_lshlrev_b64 v[31:32], v9, v[4:5]
	v_sub_nc_u32_e32 v9, 29, v2
	v_and_b32_e32 v2, 7, v31
; %bb.1375:                             ;   in Loop: Header=BB300_10 Depth=1
	s_or_b32 exec_lo, exec_lo, s20
	v_lshlrev_b32_e32 v4, 8, v4
	v_lshl_add_u32 v9, v9, 10, 0x2000
	v_lshlrev_b32_e32 v2, 7, v2
	v_and_b32_e32 v4, 0x8000, v4
	v_and_b32_e32 v9, 0xfc00, v9
	v_or3_b32 v70, v4, v9, v2
.LBB300_1376:                           ;   in Loop: Header=BB300_10 Depth=1
	s_or_b32 exec_lo, exec_lo, s19
.LBB300_1377:                           ;   in Loop: Header=BB300_10 Depth=1
	s_or_b32 exec_lo, exec_lo, s18
.LBB300_1378:                           ;   in Loop: Header=BB300_10 Depth=1
	s_or_b32 exec_lo, exec_lo, s17
	v_mov_b32_e32 v32, 0
	v_mov_b32_e32 v31, 0
	s_mov_b32 s17, exec_lo
	v_cmpx_lt_u32_e32 0xffffff, v24
	s_cbranch_execz .LBB300_1386
; %bb.1379:                             ;   in Loop: Header=BB300_10 Depth=1
	v_lshrrev_b32_e32 v4, 24, v24
	v_bfrev_b32_e32 v31, 1
	s_mov_b32 s18, exec_lo
	v_cmpx_ne_u32_e32 0x80, v4
	s_cbranch_execz .LBB300_1385
; %bb.1380:                             ;   in Loop: Header=BB300_10 Depth=1
	v_and_b32_e32 v12, 0x7f, v4
	v_mov_b32_e32 v31, 0x7c010000
	s_mov_b32 s19, exec_lo
	v_cmpx_ne_u32_e32 0x7f, v12
	s_cbranch_execz .LBB300_1384
; %bb.1381:                             ;   in Loop: Header=BB300_10 Depth=1
	v_and_b32_e32 v2, 7, v4
	v_lshrrev_b32_e32 v9, 3, v12
	s_mov_b32 s20, exec_lo
	v_cmpx_gt_u32_e32 8, v12
; %bb.1382:                             ;   in Loop: Header=BB300_10 Depth=1
	v_ffbh_u32_e32 v2, v2
	v_min_u32_e32 v2, 32, v2
	v_subrev_nc_u32_e32 v9, 28, v2
	v_lshlrev_b64 v[55:56], v9, v[4:5]
	v_sub_nc_u32_e32 v9, 29, v2
	v_and_b32_e32 v2, 7, v55
; %bb.1383:                             ;   in Loop: Header=BB300_10 Depth=1
	s_or_b32 exec_lo, exec_lo, s20
	v_lshlrev_b32_e32 v4, 8, v4
	v_lshl_add_u32 v9, v9, 10, 0x2000
	v_lshlrev_b32_e32 v2, 23, v2
	v_and_or_b32 v4, 0x8000, v4, v9
	v_lshl_or_b32 v31, v4, 16, v2
.LBB300_1384:                           ;   in Loop: Header=BB300_10 Depth=1
	s_or_b32 exec_lo, exec_lo, s19
.LBB300_1385:                           ;   in Loop: Header=BB300_10 Depth=1
	s_or_b32 exec_lo, exec_lo, s18
.LBB300_1386:                           ;   in Loop: Header=BB300_10 Depth=1
	s_or_b32 exec_lo, exec_lo, s17
	v_mov_b32_e32 v4, v25
	v_cmp_ne_u16_sdwa s5, v25, v5 src0_sel:BYTE_0 src1_sel:DWORD
	s_and_saveexec_b32 s17, s5
	s_cbranch_execz .LBB300_1394
; %bb.1387:                             ;   in Loop: Header=BB300_10 Depth=1
	v_cmp_ne_u16_sdwa s5, v25, v111 src0_sel:BYTE_0 src1_sel:DWORD
	v_mov_b32_e32 v32, 0x8000
	s_and_saveexec_b32 s18, s5
	s_cbranch_execz .LBB300_1393
; %bb.1388:                             ;   in Loop: Header=BB300_10 Depth=1
	v_and_b32_e32 v12, 0x7f, v25
	v_mov_b32_e32 v32, 0x7c01
	s_mov_b32 s19, exec_lo
	v_cmpx_ne_u32_e32 0x7f, v12
	s_cbranch_execz .LBB300_1392
; %bb.1389:                             ;   in Loop: Header=BB300_10 Depth=1
	v_and_b32_e32 v2, 7, v25
	v_lshrrev_b32_e32 v9, 3, v12
	s_mov_b32 s20, exec_lo
	v_cmpx_gt_u32_e32 8, v12
; %bb.1390:                             ;   in Loop: Header=BB300_10 Depth=1
	v_ffbh_u32_e32 v2, v2
	v_min_u32_e32 v2, 32, v2
	v_subrev_nc_u32_e32 v9, 28, v2
	v_lshlrev_b64 v[55:56], v9, v[4:5]
	v_sub_nc_u32_e32 v9, 29, v2
	v_and_b32_e32 v2, 7, v55
; %bb.1391:                             ;   in Loop: Header=BB300_10 Depth=1
	s_or_b32 exec_lo, exec_lo, s20
	v_lshlrev_b32_e32 v12, 8, v25
	v_lshl_add_u32 v9, v9, 10, 0x2000
	v_lshlrev_b32_e32 v2, 7, v2
	v_and_b32_e32 v12, 0x8000, v12
	v_and_b32_e32 v9, 0xfc00, v9
	v_or3_b32 v32, v12, v9, v2
.LBB300_1392:                           ;   in Loop: Header=BB300_10 Depth=1
	s_or_b32 exec_lo, exec_lo, s19
.LBB300_1393:                           ;   in Loop: Header=BB300_10 Depth=1
	s_or_b32 exec_lo, exec_lo, s18
.LBB300_1394:                           ;   in Loop: Header=BB300_10 Depth=1
	s_or_b32 exec_lo, exec_lo, s17
	v_lshrrev_b16 v4, 8, v4
	v_mov_b32_e32 v42, 0
	v_mov_b32_e32 v40, 0
	s_mov_b32 s17, exec_lo
	v_cmpx_ne_u16_e32 0, v4
	s_cbranch_execz .LBB300_1402
; %bb.1395:                             ;   in Loop: Header=BB300_10 Depth=1
	v_bfrev_b32_e32 v40, 1
	s_mov_b32 s18, exec_lo
	v_cmpx_ne_u16_e32 0x80, v4
	s_cbranch_execz .LBB300_1401
; %bb.1396:                             ;   in Loop: Header=BB300_10 Depth=1
	v_mov_b32_e32 v2, 0x7f
	v_mov_b32_e32 v40, 0x7c010000
	s_mov_b32 s19, exec_lo
	v_and_b32_sdwa v12, v4, v2 dst_sel:DWORD dst_unused:UNUSED_PAD src0_sel:WORD_0 src1_sel:DWORD
	v_cmpx_ne_u32_e32 0x7f, v12
	s_cbranch_execz .LBB300_1400
; %bb.1397:                             ;   in Loop: Header=BB300_10 Depth=1
	v_mov_b32_e32 v2, 7
	v_lshrrev_b32_e32 v9, 3, v12
	s_mov_b32 s20, exec_lo
	v_and_b32_sdwa v2, v4, v2 dst_sel:DWORD dst_unused:UNUSED_PAD src0_sel:WORD_0 src1_sel:DWORD
	v_cmpx_gt_u32_e32 8, v12
; %bb.1398:                             ;   in Loop: Header=BB300_10 Depth=1
	v_ffbh_u32_e32 v2, v2
	v_min_u32_e32 v2, 32, v2
	v_subrev_nc_u32_e32 v9, 28, v2
	v_lshlrev_b64 v[55:56], v9, v[4:5]
	v_sub_nc_u32_e32 v9, 29, v2
	v_and_b32_e32 v2, 7, v55
; %bb.1399:                             ;   in Loop: Header=BB300_10 Depth=1
	s_or_b32 exec_lo, exec_lo, s20
	v_mov_b32_e32 v12, 8
	v_lshl_add_u32 v9, v9, 10, 0x2000
	v_lshlrev_b32_e32 v2, 23, v2
	v_lshlrev_b32_sdwa v4, v12, v4 dst_sel:DWORD dst_unused:UNUSED_PAD src0_sel:DWORD src1_sel:WORD_0
	v_and_or_b32 v4, 0x8000, v4, v9
	v_lshl_or_b32 v40, v4, 16, v2
.LBB300_1400:                           ;   in Loop: Header=BB300_10 Depth=1
	s_or_b32 exec_lo, exec_lo, s19
.LBB300_1401:                           ;   in Loop: Header=BB300_10 Depth=1
	s_or_b32 exec_lo, exec_lo, s18
.LBB300_1402:                           ;   in Loop: Header=BB300_10 Depth=1
	s_or_b32 exec_lo, exec_lo, s17
	v_lshrrev_b32_e32 v4, 16, v25
	v_cmp_ne_u16_sdwa s5, v4, v5 src0_sel:BYTE_0 src1_sel:DWORD
	s_and_saveexec_b32 s17, s5
	s_cbranch_execz .LBB300_1410
; %bb.1403:                             ;   in Loop: Header=BB300_10 Depth=1
	v_cmp_ne_u16_sdwa s5, v4, v111 src0_sel:BYTE_0 src1_sel:DWORD
	v_mov_b32_e32 v42, 0x8000
	s_and_saveexec_b32 s18, s5
	s_cbranch_execz .LBB300_1409
; %bb.1404:                             ;   in Loop: Header=BB300_10 Depth=1
	v_bfe_u32 v12, v25, 16, 7
	v_mov_b32_e32 v42, 0x7c01
	s_mov_b32 s19, exec_lo
	v_cmpx_ne_u32_e32 0x7f, v12
	s_cbranch_execz .LBB300_1408
; %bb.1405:                             ;   in Loop: Header=BB300_10 Depth=1
	v_and_b32_e32 v2, 7, v4
	v_lshrrev_b32_e32 v9, 3, v12
	s_mov_b32 s20, exec_lo
	v_cmpx_gt_u32_e32 8, v12
; %bb.1406:                             ;   in Loop: Header=BB300_10 Depth=1
	v_ffbh_u32_e32 v2, v2
	v_min_u32_e32 v2, 32, v2
	v_subrev_nc_u32_e32 v9, 28, v2
	v_lshlrev_b64 v[55:56], v9, v[4:5]
	v_sub_nc_u32_e32 v9, 29, v2
	v_and_b32_e32 v2, 7, v55
; %bb.1407:                             ;   in Loop: Header=BB300_10 Depth=1
	s_or_b32 exec_lo, exec_lo, s20
	v_lshlrev_b32_e32 v4, 8, v4
	v_lshl_add_u32 v9, v9, 10, 0x2000
	v_lshlrev_b32_e32 v2, 7, v2
	v_and_b32_e32 v4, 0x8000, v4
	v_and_b32_e32 v9, 0xfc00, v9
	v_or3_b32 v42, v4, v9, v2
.LBB300_1408:                           ;   in Loop: Header=BB300_10 Depth=1
	s_or_b32 exec_lo, exec_lo, s19
.LBB300_1409:                           ;   in Loop: Header=BB300_10 Depth=1
	s_or_b32 exec_lo, exec_lo, s18
.LBB300_1410:                           ;   in Loop: Header=BB300_10 Depth=1
	s_or_b32 exec_lo, exec_lo, s17
	v_mov_b32_e32 v117, 0
	v_mov_b32_e32 v110, 0
	s_mov_b32 s17, exec_lo
	v_cmpx_lt_u64_e64 s[6:7], v[24:25]
	s_cbranch_execz .LBB300_1418
; %bb.1411:                             ;   in Loop: Header=BB300_10 Depth=1
	v_lshrrev_b32_e32 v4, 24, v25
	v_bfrev_b32_e32 v110, 1
	s_mov_b32 s18, exec_lo
	v_cmpx_ne_u32_e32 0x80, v4
	s_cbranch_execz .LBB300_1417
; %bb.1412:                             ;   in Loop: Header=BB300_10 Depth=1
	v_and_b32_e32 v12, 0x7f, v4
	v_mov_b32_e32 v110, 0x7c010000
	s_mov_b32 s19, exec_lo
	v_cmpx_ne_u32_e32 0x7f, v12
	s_cbranch_execz .LBB300_1416
; %bb.1413:                             ;   in Loop: Header=BB300_10 Depth=1
	v_and_b32_e32 v2, 7, v4
	v_lshrrev_b32_e32 v9, 3, v12
	s_mov_b32 s20, exec_lo
	v_cmpx_gt_u32_e32 8, v12
; %bb.1414:                             ;   in Loop: Header=BB300_10 Depth=1
	v_ffbh_u32_e32 v2, v2
	v_min_u32_e32 v2, 32, v2
	v_subrev_nc_u32_e32 v9, 28, v2
	v_lshlrev_b64 v[24:25], v9, v[4:5]
	v_sub_nc_u32_e32 v9, 29, v2
	v_and_b32_e32 v2, 7, v24
; %bb.1415:                             ;   in Loop: Header=BB300_10 Depth=1
	s_or_b32 exec_lo, exec_lo, s20
	v_lshlrev_b32_e32 v4, 8, v4
	v_lshl_add_u32 v9, v9, 10, 0x2000
	v_lshlrev_b32_e32 v2, 23, v2
	v_and_or_b32 v4, 0x8000, v4, v9
	v_lshl_or_b32 v110, v4, 16, v2
.LBB300_1416:                           ;   in Loop: Header=BB300_10 Depth=1
	s_or_b32 exec_lo, exec_lo, s19
.LBB300_1417:                           ;   in Loop: Header=BB300_10 Depth=1
	s_or_b32 exec_lo, exec_lo, s18
.LBB300_1418:                           ;   in Loop: Header=BB300_10 Depth=1
	s_or_b32 exec_lo, exec_lo, s17
	flat_load_dwordx2 v[24:25], v[16:17] offset:1536
	s_waitcnt vmcnt(0) lgkmcnt(0)
	v_cmp_ne_u16_sdwa s5, v24, v5 src0_sel:BYTE_0 src1_sel:DWORD
	s_and_saveexec_b32 s17, s5
	s_cbranch_execz .LBB300_1426
; %bb.1419:                             ;   in Loop: Header=BB300_10 Depth=1
	v_cmp_ne_u16_sdwa s5, v24, v111 src0_sel:BYTE_0 src1_sel:DWORD
	v_mov_b32_e32 v117, 0x8000
	s_and_saveexec_b32 s18, s5
	s_cbranch_execz .LBB300_1425
; %bb.1420:                             ;   in Loop: Header=BB300_10 Depth=1
	v_and_b32_e32 v9, 0x7f, v24
	v_mov_b32_e32 v117, 0x7c01
	s_mov_b32 s19, exec_lo
	v_cmpx_ne_u32_e32 0x7f, v9
	s_cbranch_execz .LBB300_1424
; %bb.1421:                             ;   in Loop: Header=BB300_10 Depth=1
	v_and_b32_e32 v2, 7, v24
	v_lshrrev_b32_e32 v4, 3, v9
	s_mov_b32 s20, exec_lo
	v_cmpx_gt_u32_e32 8, v9
; %bb.1422:                             ;   in Loop: Header=BB300_10 Depth=1
	v_ffbh_u32_e32 v2, v2
	v_min_u32_e32 v2, 32, v2
	v_subrev_nc_u32_e32 v4, 28, v2
	v_lshlrev_b64 v[55:56], v4, v[24:25]
	v_sub_nc_u32_e32 v4, 29, v2
	v_and_b32_e32 v2, 7, v55
; %bb.1423:                             ;   in Loop: Header=BB300_10 Depth=1
	s_or_b32 exec_lo, exec_lo, s20
	v_lshlrev_b32_e32 v9, 8, v24
	v_lshl_add_u32 v4, v4, 10, 0x2000
	v_lshlrev_b32_e32 v2, 7, v2
	v_and_b32_e32 v9, 0x8000, v9
	v_and_b32_e32 v4, 0xfc00, v4
	v_or3_b32 v117, v9, v4, v2
.LBB300_1424:                           ;   in Loop: Header=BB300_10 Depth=1
	s_or_b32 exec_lo, exec_lo, s19
.LBB300_1425:                           ;   in Loop: Header=BB300_10 Depth=1
	s_or_b32 exec_lo, exec_lo, s18
.LBB300_1426:                           ;   in Loop: Header=BB300_10 Depth=1
	s_or_b32 exec_lo, exec_lo, s17
	v_lshrrev_b16 v4, 8, v24
	v_mov_b32_e32 v45, 0
	v_mov_b32_e32 v100, 0
	s_mov_b32 s17, exec_lo
	v_cmpx_ne_u16_e32 0, v4
	s_cbranch_execz .LBB300_1434
; %bb.1427:                             ;   in Loop: Header=BB300_10 Depth=1
	v_bfrev_b32_e32 v100, 1
	s_mov_b32 s18, exec_lo
	v_cmpx_ne_u16_e32 0x80, v4
	s_cbranch_execz .LBB300_1433
; %bb.1428:                             ;   in Loop: Header=BB300_10 Depth=1
	v_mov_b32_e32 v2, 0x7f
	v_mov_b32_e32 v100, 0x7c010000
	s_mov_b32 s19, exec_lo
	v_and_b32_sdwa v12, v4, v2 dst_sel:DWORD dst_unused:UNUSED_PAD src0_sel:WORD_0 src1_sel:DWORD
	v_cmpx_ne_u32_e32 0x7f, v12
	s_cbranch_execz .LBB300_1432
; %bb.1429:                             ;   in Loop: Header=BB300_10 Depth=1
	v_mov_b32_e32 v2, 7
	v_lshrrev_b32_e32 v9, 3, v12
	s_mov_b32 s20, exec_lo
	v_and_b32_sdwa v2, v4, v2 dst_sel:DWORD dst_unused:UNUSED_PAD src0_sel:WORD_0 src1_sel:DWORD
	v_cmpx_gt_u32_e32 8, v12
; %bb.1430:                             ;   in Loop: Header=BB300_10 Depth=1
	v_ffbh_u32_e32 v2, v2
	v_min_u32_e32 v2, 32, v2
	v_subrev_nc_u32_e32 v9, 28, v2
	v_lshlrev_b64 v[55:56], v9, v[4:5]
	v_sub_nc_u32_e32 v9, 29, v2
	v_and_b32_e32 v2, 7, v55
; %bb.1431:                             ;   in Loop: Header=BB300_10 Depth=1
	s_or_b32 exec_lo, exec_lo, s20
	v_mov_b32_e32 v12, 8
	v_lshl_add_u32 v9, v9, 10, 0x2000
	v_lshlrev_b32_e32 v2, 23, v2
	v_lshlrev_b32_sdwa v4, v12, v4 dst_sel:DWORD dst_unused:UNUSED_PAD src0_sel:DWORD src1_sel:WORD_0
	v_and_or_b32 v4, 0x8000, v4, v9
	v_lshl_or_b32 v100, v4, 16, v2
.LBB300_1432:                           ;   in Loop: Header=BB300_10 Depth=1
	s_or_b32 exec_lo, exec_lo, s19
.LBB300_1433:                           ;   in Loop: Header=BB300_10 Depth=1
	s_or_b32 exec_lo, exec_lo, s18
.LBB300_1434:                           ;   in Loop: Header=BB300_10 Depth=1
	s_or_b32 exec_lo, exec_lo, s17
	v_lshrrev_b32_e32 v4, 16, v24
	v_cmp_ne_u16_sdwa s5, v4, v5 src0_sel:BYTE_0 src1_sel:DWORD
	s_and_saveexec_b32 s17, s5
	s_cbranch_execz .LBB300_1442
; %bb.1435:                             ;   in Loop: Header=BB300_10 Depth=1
	v_cmp_ne_u16_sdwa s5, v4, v111 src0_sel:BYTE_0 src1_sel:DWORD
	v_mov_b32_e32 v45, 0x8000
	s_and_saveexec_b32 s18, s5
	s_cbranch_execz .LBB300_1441
; %bb.1436:                             ;   in Loop: Header=BB300_10 Depth=1
	v_bfe_u32 v12, v24, 16, 7
	v_mov_b32_e32 v45, 0x7c01
	s_mov_b32 s19, exec_lo
	v_cmpx_ne_u32_e32 0x7f, v12
	s_cbranch_execz .LBB300_1440
; %bb.1437:                             ;   in Loop: Header=BB300_10 Depth=1
	v_and_b32_e32 v2, 7, v4
	v_lshrrev_b32_e32 v9, 3, v12
	s_mov_b32 s20, exec_lo
	v_cmpx_gt_u32_e32 8, v12
; %bb.1438:                             ;   in Loop: Header=BB300_10 Depth=1
	v_ffbh_u32_e32 v2, v2
	v_min_u32_e32 v2, 32, v2
	v_subrev_nc_u32_e32 v9, 28, v2
	v_lshlrev_b64 v[55:56], v9, v[4:5]
	v_sub_nc_u32_e32 v9, 29, v2
	v_and_b32_e32 v2, 7, v55
; %bb.1439:                             ;   in Loop: Header=BB300_10 Depth=1
	s_or_b32 exec_lo, exec_lo, s20
	v_lshlrev_b32_e32 v4, 8, v4
	v_lshl_add_u32 v9, v9, 10, 0x2000
	v_lshlrev_b32_e32 v2, 7, v2
	v_and_b32_e32 v4, 0x8000, v4
	v_and_b32_e32 v9, 0xfc00, v9
	v_or3_b32 v45, v4, v9, v2
.LBB300_1440:                           ;   in Loop: Header=BB300_10 Depth=1
	s_or_b32 exec_lo, exec_lo, s19
.LBB300_1441:                           ;   in Loop: Header=BB300_10 Depth=1
	s_or_b32 exec_lo, exec_lo, s18
.LBB300_1442:                           ;   in Loop: Header=BB300_10 Depth=1
	s_or_b32 exec_lo, exec_lo, s17
	v_mov_b32_e32 v2, 0
	v_mov_b32_e32 v56, 0
	s_mov_b32 s17, exec_lo
	v_cmpx_lt_u32_e32 0xffffff, v24
	s_cbranch_execz .LBB300_1450
; %bb.1443:                             ;   in Loop: Header=BB300_10 Depth=1
	v_lshrrev_b32_e32 v4, 24, v24
	v_bfrev_b32_e32 v56, 1
	s_mov_b32 s18, exec_lo
	v_cmpx_ne_u32_e32 0x80, v4
	s_cbranch_execz .LBB300_1449
; %bb.1444:                             ;   in Loop: Header=BB300_10 Depth=1
	v_and_b32_e32 v14, 0x7f, v4
	v_mov_b32_e32 v56, 0x7c010000
	s_mov_b32 s19, exec_lo
	v_cmpx_ne_u32_e32 0x7f, v14
	s_cbranch_execz .LBB300_1448
; %bb.1445:                             ;   in Loop: Header=BB300_10 Depth=1
	v_and_b32_e32 v9, 7, v4
	v_lshrrev_b32_e32 v12, 3, v14
	s_mov_b32 s20, exec_lo
	v_cmpx_gt_u32_e32 8, v14
; %bb.1446:                             ;   in Loop: Header=BB300_10 Depth=1
	v_ffbh_u32_e32 v9, v9
	v_min_u32_e32 v9, 32, v9
	v_subrev_nc_u32_e32 v12, 28, v9
	v_lshlrev_b64 v[55:56], v12, v[4:5]
	v_sub_nc_u32_e32 v12, 29, v9
	v_and_b32_e32 v9, 7, v55
; %bb.1447:                             ;   in Loop: Header=BB300_10 Depth=1
	s_or_b32 exec_lo, exec_lo, s20
	v_lshlrev_b32_e32 v4, 8, v4
	v_lshl_add_u32 v12, v12, 10, 0x2000
	v_lshlrev_b32_e32 v9, 23, v9
	v_and_or_b32 v4, 0x8000, v4, v12
	v_lshl_or_b32 v56, v4, 16, v9
.LBB300_1448:                           ;   in Loop: Header=BB300_10 Depth=1
	s_or_b32 exec_lo, exec_lo, s19
.LBB300_1449:                           ;   in Loop: Header=BB300_10 Depth=1
	s_or_b32 exec_lo, exec_lo, s18
.LBB300_1450:                           ;   in Loop: Header=BB300_10 Depth=1
	s_or_b32 exec_lo, exec_lo, s17
	v_mov_b32_e32 v4, v25
	v_cmp_ne_u16_sdwa s5, v25, v5 src0_sel:BYTE_0 src1_sel:DWORD
	s_and_saveexec_b32 s17, s5
	s_cbranch_execz .LBB300_1458
; %bb.1451:                             ;   in Loop: Header=BB300_10 Depth=1
	v_cmp_ne_u16_sdwa s5, v25, v111 src0_sel:BYTE_0 src1_sel:DWORD
	v_mov_b32_e32 v2, 0x8000
	s_and_saveexec_b32 s18, s5
	s_cbranch_execz .LBB300_1457
; %bb.1452:                             ;   in Loop: Header=BB300_10 Depth=1
	v_and_b32_e32 v12, 0x7f, v25
	v_mov_b32_e32 v2, 0x7c01
	s_mov_b32 s19, exec_lo
	v_cmpx_ne_u32_e32 0x7f, v12
	s_cbranch_execz .LBB300_1456
; %bb.1453:                             ;   in Loop: Header=BB300_10 Depth=1
	v_and_b32_e32 v2, 7, v25
	v_lshrrev_b32_e32 v9, 3, v12
	s_mov_b32 s20, exec_lo
	v_cmpx_gt_u32_e32 8, v12
	s_cbranch_execz .LBB300_1455
; %bb.1454:                             ;   in Loop: Header=BB300_10 Depth=1
	v_ffbh_u32_e32 v2, v2
	v_mov_b32_e32 v12, v126
	v_min_u32_e32 v2, 32, v2
	v_subrev_nc_u32_e32 v9, 28, v2
	v_lshlrev_b64 v[126:127], v9, v[4:5]
	v_sub_nc_u32_e32 v9, 29, v2
	v_and_b32_e32 v2, 7, v126
	v_mov_b32_e32 v126, v12
.LBB300_1455:                           ;   in Loop: Header=BB300_10 Depth=1
	s_or_b32 exec_lo, exec_lo, s20
	v_lshlrev_b32_e32 v12, 8, v25
	v_lshl_add_u32 v9, v9, 10, 0x2000
	v_lshlrev_b32_e32 v2, 7, v2
	v_and_b32_e32 v12, 0x8000, v12
	v_and_b32_e32 v9, 0xfc00, v9
	v_or3_b32 v2, v12, v9, v2
.LBB300_1456:                           ;   in Loop: Header=BB300_10 Depth=1
	s_or_b32 exec_lo, exec_lo, s19
.LBB300_1457:                           ;   in Loop: Header=BB300_10 Depth=1
	s_or_b32 exec_lo, exec_lo, s18
.LBB300_1458:                           ;   in Loop: Header=BB300_10 Depth=1
	s_or_b32 exec_lo, exec_lo, s17
	v_lshrrev_b16 v4, 8, v4
	v_mov_b32_e32 v58, 0
	v_mov_b32_e32 v12, 0
	s_mov_b32 s17, exec_lo
	v_cmpx_ne_u16_e32 0, v4
	s_cbranch_execz .LBB300_1466
; %bb.1459:                             ;   in Loop: Header=BB300_10 Depth=1
	v_bfrev_b32_e32 v12, 1
	s_mov_b32 s18, exec_lo
	v_cmpx_ne_u16_e32 0x80, v4
	s_cbranch_execz .LBB300_1465
; %bb.1460:                             ;   in Loop: Header=BB300_10 Depth=1
	v_mov_b32_e32 v9, 0x7f
	v_mov_b32_e32 v12, 0x7c010000
	s_mov_b32 s19, exec_lo
	v_and_b32_sdwa v14, v4, v9 dst_sel:DWORD dst_unused:UNUSED_PAD src0_sel:WORD_0 src1_sel:DWORD
	v_cmpx_ne_u32_e32 0x7f, v14
	s_cbranch_execz .LBB300_1464
; %bb.1461:                             ;   in Loop: Header=BB300_10 Depth=1
	v_mov_b32_e32 v9, 7
	v_lshrrev_b32_e32 v12, 3, v14
	s_mov_b32 s20, exec_lo
	v_and_b32_sdwa v9, v4, v9 dst_sel:DWORD dst_unused:UNUSED_PAD src0_sel:WORD_0 src1_sel:DWORD
	v_cmpx_gt_u32_e32 8, v14
	s_cbranch_execz .LBB300_1463
; %bb.1462:                             ;   in Loop: Header=BB300_10 Depth=1
	v_ffbh_u32_e32 v9, v9
	v_mov_b32_e32 v14, v126
	v_min_u32_e32 v9, 32, v9
	v_subrev_nc_u32_e32 v12, 28, v9
	v_lshlrev_b64 v[126:127], v12, v[4:5]
	v_sub_nc_u32_e32 v12, 29, v9
	v_and_b32_e32 v9, 7, v126
	v_mov_b32_e32 v126, v14
.LBB300_1463:                           ;   in Loop: Header=BB300_10 Depth=1
	s_or_b32 exec_lo, exec_lo, s20
	v_mov_b32_e32 v14, 8
	v_lshl_add_u32 v12, v12, 10, 0x2000
	v_lshlrev_b32_e32 v9, 23, v9
	v_lshlrev_b32_sdwa v4, v14, v4 dst_sel:DWORD dst_unused:UNUSED_PAD src0_sel:DWORD src1_sel:WORD_0
	v_and_or_b32 v4, 0x8000, v4, v12
	v_lshl_or_b32 v12, v4, 16, v9
.LBB300_1464:                           ;   in Loop: Header=BB300_10 Depth=1
	s_or_b32 exec_lo, exec_lo, s19
.LBB300_1465:                           ;   in Loop: Header=BB300_10 Depth=1
	s_or_b32 exec_lo, exec_lo, s18
.LBB300_1466:                           ;   in Loop: Header=BB300_10 Depth=1
	s_or_b32 exec_lo, exec_lo, s17
	v_lshrrev_b32_e32 v4, 16, v25
	v_cmp_ne_u16_sdwa s5, v4, v5 src0_sel:BYTE_0 src1_sel:DWORD
	s_and_saveexec_b32 s17, s5
	s_cbranch_execz .LBB300_1474
; %bb.1467:                             ;   in Loop: Header=BB300_10 Depth=1
	v_cmp_ne_u16_sdwa s5, v4, v111 src0_sel:BYTE_0 src1_sel:DWORD
	v_mov_b32_e32 v58, 0x8000
	s_and_saveexec_b32 s18, s5
	s_cbranch_execz .LBB300_1473
; %bb.1468:                             ;   in Loop: Header=BB300_10 Depth=1
	v_bfe_u32 v14, v25, 16, 7
	v_mov_b32_e32 v58, 0x7c01
	s_mov_b32 s19, exec_lo
	v_cmpx_ne_u32_e32 0x7f, v14
	s_cbranch_execz .LBB300_1472
; %bb.1469:                             ;   in Loop: Header=BB300_10 Depth=1
	v_and_b32_e32 v9, 7, v4
	v_lshrrev_b32_e32 v52, 3, v14
	s_mov_b32 s20, exec_lo
	v_cmpx_gt_u32_e32 8, v14
	s_cbranch_execz .LBB300_1471
; %bb.1470:                             ;   in Loop: Header=BB300_10 Depth=1
	v_ffbh_u32_e32 v9, v9
	v_mov_b32_e32 v18, v126
	v_min_u32_e32 v9, 32, v9
	v_subrev_nc_u32_e32 v14, 28, v9
	v_sub_nc_u32_e32 v52, 29, v9
	v_lshlrev_b64 v[126:127], v14, v[4:5]
	v_and_b32_e32 v9, 7, v126
	v_mov_b32_e32 v126, v18
.LBB300_1471:                           ;   in Loop: Header=BB300_10 Depth=1
	s_or_b32 exec_lo, exec_lo, s20
	v_lshlrev_b32_e32 v4, 8, v4
	v_lshl_add_u32 v14, v52, 10, 0x2000
	v_lshlrev_b32_e32 v9, 7, v9
	v_and_b32_e32 v4, 0x8000, v4
	v_and_b32_e32 v14, 0xfc00, v14
	v_or3_b32 v58, v4, v14, v9
.LBB300_1472:                           ;   in Loop: Header=BB300_10 Depth=1
	s_or_b32 exec_lo, exec_lo, s19
.LBB300_1473:                           ;   in Loop: Header=BB300_10 Depth=1
	s_or_b32 exec_lo, exec_lo, s18
.LBB300_1474:                           ;   in Loop: Header=BB300_10 Depth=1
	s_or_b32 exec_lo, exec_lo, s17
	v_cmp_lt_u64_e64 s5, s[6:7], v[24:25]
	v_mov_b32_e32 v24, 0
	v_mov_b32_e32 v9, 0
	s_and_saveexec_b32 s17, s5
	s_cbranch_execz .LBB300_1482
; %bb.1475:                             ;   in Loop: Header=BB300_10 Depth=1
	v_lshrrev_b32_e32 v4, 24, v25
	v_bfrev_b32_e32 v9, 1
	s_mov_b32 s18, exec_lo
	v_cmpx_ne_u32_e32 0x80, v4
	s_cbranch_execz .LBB300_1481
; %bb.1476:                             ;   in Loop: Header=BB300_10 Depth=1
	v_and_b32_e32 v25, 0x7f, v4
	v_mov_b32_e32 v9, 0x7c010000
	s_mov_b32 s19, exec_lo
	v_cmpx_ne_u32_e32 0x7f, v25
	s_cbranch_execz .LBB300_1480
; %bb.1477:                             ;   in Loop: Header=BB300_10 Depth=1
	v_and_b32_e32 v9, 7, v4
	v_lshrrev_b32_e32 v14, 3, v25
	s_mov_b32 s20, exec_lo
	v_cmpx_gt_u32_e32 8, v25
	s_cbranch_execz .LBB300_1479
; %bb.1478:                             ;   in Loop: Header=BB300_10 Depth=1
	v_ffbh_u32_e32 v9, v9
	v_mov_b32_e32 v18, v126
	v_min_u32_e32 v9, 32, v9
	v_subrev_nc_u32_e32 v14, 28, v9
	v_lshlrev_b64 v[126:127], v14, v[4:5]
	v_sub_nc_u32_e32 v14, 29, v9
	v_and_b32_e32 v9, 7, v126
	v_mov_b32_e32 v126, v18
.LBB300_1479:                           ;   in Loop: Header=BB300_10 Depth=1
	s_or_b32 exec_lo, exec_lo, s20
	v_lshlrev_b32_e32 v4, 8, v4
	v_lshl_add_u32 v14, v14, 10, 0x2000
	v_lshlrev_b32_e32 v9, 23, v9
	v_and_or_b32 v4, 0x8000, v4, v14
	v_lshl_or_b32 v9, v4, 16, v9
.LBB300_1480:                           ;   in Loop: Header=BB300_10 Depth=1
	s_or_b32 exec_lo, exec_lo, s19
.LBB300_1481:                           ;   in Loop: Header=BB300_10 Depth=1
	s_or_b32 exec_lo, exec_lo, s18
.LBB300_1482:                           ;   in Loop: Header=BB300_10 Depth=1
	s_or_b32 exec_lo, exec_lo, s17
	flat_load_dwordx2 v[16:17], v[16:17] offset:1544
	s_waitcnt vmcnt(0) lgkmcnt(0)
	v_cmp_ne_u16_sdwa s5, v16, v5 src0_sel:BYTE_0 src1_sel:DWORD
	s_and_saveexec_b32 s17, s5
	s_cbranch_execz .LBB300_1490
; %bb.1483:                             ;   in Loop: Header=BB300_10 Depth=1
	v_cmp_ne_u16_sdwa s5, v16, v111 src0_sel:BYTE_0 src1_sel:DWORD
	v_mov_b32_e32 v24, 0x8000
	s_and_saveexec_b32 s18, s5
	s_cbranch_execz .LBB300_1489
; %bb.1484:                             ;   in Loop: Header=BB300_10 Depth=1
	v_and_b32_e32 v14, 0x7f, v16
	v_mov_b32_e32 v24, 0x7c01
	s_mov_b32 s19, exec_lo
	v_cmpx_ne_u32_e32 0x7f, v14
	s_cbranch_execz .LBB300_1488
; %bb.1485:                             ;   in Loop: Header=BB300_10 Depth=1
	v_and_b32_e32 v4, 7, v16
	v_lshrrev_b32_e32 v24, 3, v14
	s_mov_b32 s20, exec_lo
	v_cmpx_gt_u32_e32 8, v14
	s_cbranch_execz .LBB300_1487
; %bb.1486:                             ;   in Loop: Header=BB300_10 Depth=1
	v_ffbh_u32_e32 v4, v4
	v_mov_b32_e32 v18, v126
	v_min_u32_e32 v4, 32, v4
	v_subrev_nc_u32_e32 v14, 28, v4
	v_sub_nc_u32_e32 v24, 29, v4
	v_lshlrev_b64 v[126:127], v14, v[16:17]
	v_and_b32_e32 v4, 7, v126
	v_mov_b32_e32 v126, v18
.LBB300_1487:                           ;   in Loop: Header=BB300_10 Depth=1
	s_or_b32 exec_lo, exec_lo, s20
	v_lshlrev_b32_e32 v14, 8, v16
	v_lshl_add_u32 v24, v24, 10, 0x2000
	v_lshlrev_b32_e32 v4, 7, v4
	v_and_b32_e32 v14, 0x8000, v14
	v_and_b32_e32 v24, 0xfc00, v24
	v_or3_b32 v24, v14, v24, v4
.LBB300_1488:                           ;   in Loop: Header=BB300_10 Depth=1
	s_or_b32 exec_lo, exec_lo, s19
.LBB300_1489:                           ;   in Loop: Header=BB300_10 Depth=1
	s_or_b32 exec_lo, exec_lo, s18
.LBB300_1490:                           ;   in Loop: Header=BB300_10 Depth=1
	s_or_b32 exec_lo, exec_lo, s17
	v_lshrrev_b16 v4, 8, v16
	v_mov_b32_e32 v127, 0
	v_mov_b32_e32 v25, 0
	v_cmp_ne_u16_e64 s5, 0, v4
	s_mov_b32 s17, exec_lo
	v_mov_b32_e32 v20, v33
	v_mov_b32_e32 v84, v81
	;; [unrolled: 1-line block ×4, first 2 shown]
	s_and_b32 s5, s17, s5
	s_mov_b32 exec_lo, s5
	s_cbranch_execz .LBB300_1498
; %bb.1491:                             ;   in Loop: Header=BB300_10 Depth=1
	v_bfrev_b32_e32 v25, 1
	s_mov_b32 s18, exec_lo
	v_cmpx_ne_u16_e32 0x80, v4
	s_cbranch_execz .LBB300_1497
; %bb.1492:                             ;   in Loop: Header=BB300_10 Depth=1
	v_mov_b32_e32 v14, 0x7f
	v_mov_b32_e32 v25, 0x7c010000
	s_mov_b32 s19, exec_lo
	v_and_b32_sdwa v52, v4, v14 dst_sel:DWORD dst_unused:UNUSED_PAD src0_sel:WORD_0 src1_sel:DWORD
	v_cmpx_ne_u32_e32 0x7f, v52
	s_cbranch_execz .LBB300_1496
; %bb.1493:                             ;   in Loop: Header=BB300_10 Depth=1
	v_mov_b32_e32 v14, 7
	s_mov_b32 s20, exec_lo
	v_and_b32_sdwa v25, v4, v14 dst_sel:DWORD dst_unused:UNUSED_PAD src0_sel:WORD_0 src1_sel:DWORD
	v_lshrrev_b32_e32 v14, 3, v52
	v_cmpx_gt_u32_e32 8, v52
; %bb.1494:                             ;   in Loop: Header=BB300_10 Depth=1
	v_ffbh_u32_e32 v14, v25
	v_min_u32_e32 v14, 32, v14
	v_subrev_nc_u32_e32 v25, 28, v14
	v_sub_nc_u32_e32 v14, 29, v14
	v_lshlrev_b64 v[77:78], v25, v[4:5]
	v_and_b32_e32 v25, 7, v77
; %bb.1495:                             ;   in Loop: Header=BB300_10 Depth=1
	s_or_b32 exec_lo, exec_lo, s20
	v_mov_b32_e32 v33, 8
	v_lshl_add_u32 v14, v14, 10, 0x2000
	v_lshlrev_b32_sdwa v4, v33, v4 dst_sel:DWORD dst_unused:UNUSED_PAD src0_sel:DWORD src1_sel:WORD_0
	v_and_or_b32 v4, 0x8000, v4, v14
	v_lshlrev_b32_e32 v14, 23, v25
	v_lshl_or_b32 v25, v4, 16, v14
.LBB300_1496:                           ;   in Loop: Header=BB300_10 Depth=1
	s_or_b32 exec_lo, exec_lo, s19
.LBB300_1497:                           ;   in Loop: Header=BB300_10 Depth=1
	s_or_b32 exec_lo, exec_lo, s18
.LBB300_1498:                           ;   in Loop: Header=BB300_10 Depth=1
	s_or_b32 exec_lo, exec_lo, s17
	v_lshrrev_b32_e32 v4, 16, v16
	v_cmp_ne_u16_sdwa s5, v4, v5 src0_sel:BYTE_0 src1_sel:DWORD
	s_and_saveexec_b32 s17, s5
	s_cbranch_execz .LBB300_1506
; %bb.1499:                             ;   in Loop: Header=BB300_10 Depth=1
	v_cmp_ne_u16_sdwa s5, v4, v111 src0_sel:BYTE_0 src1_sel:DWORD
	v_mov_b32_e32 v127, 0x8000
	s_and_saveexec_b32 s18, s5
	s_cbranch_execz .LBB300_1505
; %bb.1500:                             ;   in Loop: Header=BB300_10 Depth=1
	v_bfe_u32 v14, v16, 16, 7
	v_mov_b32_e32 v127, 0x7c01
	s_mov_b32 s19, exec_lo
	v_cmpx_ne_u32_e32 0x7f, v14
	s_cbranch_execz .LBB300_1504
; %bb.1501:                             ;   in Loop: Header=BB300_10 Depth=1
	v_and_b32_e32 v52, 7, v4
	v_lshrrev_b32_e32 v55, 3, v14
	s_mov_b32 s20, exec_lo
	v_cmpx_gt_u32_e32 8, v14
; %bb.1502:                             ;   in Loop: Header=BB300_10 Depth=1
	v_ffbh_u32_e32 v14, v52
	v_min_u32_e32 v14, 32, v14
	v_subrev_nc_u32_e32 v52, 28, v14
	v_sub_nc_u32_e32 v55, 29, v14
	v_lshlrev_b64 v[77:78], v52, v[4:5]
	v_and_b32_e32 v52, 7, v77
; %bb.1503:                             ;   in Loop: Header=BB300_10 Depth=1
	s_or_b32 exec_lo, exec_lo, s20
	v_lshlrev_b32_e32 v4, 8, v4
	v_lshl_add_u32 v14, v55, 10, 0x2000
	v_lshlrev_b32_e32 v52, 7, v52
	v_and_b32_e32 v4, 0x8000, v4
	v_and_b32_e32 v14, 0xfc00, v14
	v_or3_b32 v127, v4, v14, v52
.LBB300_1504:                           ;   in Loop: Header=BB300_10 Depth=1
	s_or_b32 exec_lo, exec_lo, s19
.LBB300_1505:                           ;   in Loop: Header=BB300_10 Depth=1
	s_or_b32 exec_lo, exec_lo, s18
.LBB300_1506:                           ;   in Loop: Header=BB300_10 Depth=1
	s_or_b32 exec_lo, exec_lo, s17
	v_mov_b32_e32 v52, 0
	v_mov_b32_e32 v78, 0
	s_mov_b32 s17, exec_lo
	v_cmpx_lt_u32_e32 0xffffff, v16
	s_cbranch_execz .LBB300_1514
; %bb.1507:                             ;   in Loop: Header=BB300_10 Depth=1
	v_lshrrev_b32_e32 v4, 24, v16
	v_bfrev_b32_e32 v78, 1
	s_mov_b32 s18, exec_lo
	v_cmpx_ne_u32_e32 0x80, v4
	s_cbranch_execz .LBB300_1513
; %bb.1508:                             ;   in Loop: Header=BB300_10 Depth=1
	v_and_b32_e32 v81, 0x7f, v4
	v_mov_b32_e32 v78, 0x7c010000
	s_mov_b32 s19, exec_lo
	v_cmpx_ne_u32_e32 0x7f, v81
	s_cbranch_execz .LBB300_1512
; %bb.1509:                             ;   in Loop: Header=BB300_10 Depth=1
	v_and_b32_e32 v55, 7, v4
	v_lshrrev_b32_e32 v14, 3, v81
	s_mov_b32 s20, exec_lo
	v_cmpx_gt_u32_e32 8, v81
; %bb.1510:                             ;   in Loop: Header=BB300_10 Depth=1
	v_ffbh_u32_e32 v14, v55
	v_min_u32_e32 v14, 32, v14
	v_subrev_nc_u32_e32 v55, 28, v14
	v_sub_nc_u32_e32 v14, 29, v14
	v_lshlrev_b64 v[77:78], v55, v[4:5]
	v_and_b32_e32 v55, 7, v77
; %bb.1511:                             ;   in Loop: Header=BB300_10 Depth=1
	s_or_b32 exec_lo, exec_lo, s20
	v_lshlrev_b32_e32 v4, 8, v4
	v_lshl_add_u32 v14, v14, 10, 0x2000
	v_and_or_b32 v4, 0x8000, v4, v14
	v_lshlrev_b32_e32 v14, 23, v55
	v_lshl_or_b32 v78, v4, 16, v14
.LBB300_1512:                           ;   in Loop: Header=BB300_10 Depth=1
	s_or_b32 exec_lo, exec_lo, s19
.LBB300_1513:                           ;   in Loop: Header=BB300_10 Depth=1
	s_or_b32 exec_lo, exec_lo, s18
.LBB300_1514:                           ;   in Loop: Header=BB300_10 Depth=1
	s_or_b32 exec_lo, exec_lo, s17
	v_mov_b32_e32 v4, v17
	v_cmp_ne_u16_sdwa s5, v17, v5 src0_sel:BYTE_0 src1_sel:DWORD
	s_and_saveexec_b32 s17, s5
	s_cbranch_execz .LBB300_1522
; %bb.1515:                             ;   in Loop: Header=BB300_10 Depth=1
	v_cmp_ne_u16_sdwa s5, v17, v111 src0_sel:BYTE_0 src1_sel:DWORD
	v_mov_b32_e32 v52, 0x8000
	s_and_saveexec_b32 s18, s5
	s_cbranch_execz .LBB300_1521
; %bb.1516:                             ;   in Loop: Header=BB300_10 Depth=1
	v_and_b32_e32 v14, 0x7f, v17
	v_mov_b32_e32 v52, 0x7c01
	s_mov_b32 s19, exec_lo
	v_cmpx_ne_u32_e32 0x7f, v14
	s_cbranch_execz .LBB300_1520
; %bb.1517:                             ;   in Loop: Header=BB300_10 Depth=1
	v_and_b32_e32 v52, 7, v17
	v_lshrrev_b32_e32 v55, 3, v14
	s_mov_b32 s20, exec_lo
	v_cmpx_gt_u32_e32 8, v14
	s_cbranch_execz .LBB300_1519
; %bb.1518:                             ;   in Loop: Header=BB300_10 Depth=1
	v_ffbh_u32_e32 v14, v52
	v_mov_b32_e32 v33, v90
	v_mov_b32_e32 v55, v91
	v_min_u32_e32 v14, 32, v14
	v_subrev_nc_u32_e32 v52, 28, v14
	v_lshlrev_b64 v[90:91], v52, v[4:5]
	v_mov_b32_e32 v91, v55
	v_sub_nc_u32_e32 v55, 29, v14
	v_and_b32_e32 v52, 7, v90
	v_mov_b32_e32 v90, v33
.LBB300_1519:                           ;   in Loop: Header=BB300_10 Depth=1
	s_or_b32 exec_lo, exec_lo, s20
	v_lshlrev_b32_e32 v14, 8, v17
	v_lshl_add_u32 v55, v55, 10, 0x2000
	v_lshlrev_b32_e32 v52, 7, v52
	v_and_b32_e32 v14, 0x8000, v14
	v_and_b32_e32 v55, 0xfc00, v55
	v_or3_b32 v52, v14, v55, v52
.LBB300_1520:                           ;   in Loop: Header=BB300_10 Depth=1
	s_or_b32 exec_lo, exec_lo, s19
.LBB300_1521:                           ;   in Loop: Header=BB300_10 Depth=1
	s_or_b32 exec_lo, exec_lo, s18
.LBB300_1522:                           ;   in Loop: Header=BB300_10 Depth=1
	s_or_b32 exec_lo, exec_lo, s17
	v_lshrrev_b16 v4, 8, v4
	v_mov_b32_e32 v55, 0
	v_mov_b32_e32 v81, 0
	s_mov_b32 s17, exec_lo
	v_cmpx_ne_u16_e32 0, v4
	s_cbranch_execz .LBB300_1530
; %bb.1523:                             ;   in Loop: Header=BB300_10 Depth=1
	v_bfrev_b32_e32 v81, 1
	s_mov_b32 s18, exec_lo
	v_cmpx_ne_u16_e32 0x80, v4
	s_cbranch_execz .LBB300_1529
; %bb.1524:                             ;   in Loop: Header=BB300_10 Depth=1
	v_mov_b32_e32 v14, 0x7f
	v_mov_b32_e32 v81, 0x7c010000
	s_mov_b32 s19, exec_lo
	v_and_b32_sdwa v75, v4, v14 dst_sel:DWORD dst_unused:UNUSED_PAD src0_sel:WORD_0 src1_sel:DWORD
	v_cmpx_ne_u32_e32 0x7f, v75
	s_cbranch_execz .LBB300_1528
; %bb.1525:                             ;   in Loop: Header=BB300_10 Depth=1
	v_mov_b32_e32 v14, 7
	s_mov_b32 s20, exec_lo
	v_and_b32_sdwa v81, v4, v14 dst_sel:DWORD dst_unused:UNUSED_PAD src0_sel:WORD_0 src1_sel:DWORD
	v_lshrrev_b32_e32 v14, 3, v75
	v_cmpx_gt_u32_e32 8, v75
	s_cbranch_execz .LBB300_1527
; %bb.1526:                             ;   in Loop: Header=BB300_10 Depth=1
	v_ffbh_u32_e32 v14, v81
	v_mov_b32_e32 v33, v90
	v_mov_b32_e32 v75, v91
	v_min_u32_e32 v14, 32, v14
	v_subrev_nc_u32_e32 v81, 28, v14
	v_sub_nc_u32_e32 v14, 29, v14
	v_lshlrev_b64 v[90:91], v81, v[4:5]
	v_mov_b32_e32 v91, v75
	v_and_b32_e32 v81, 7, v90
	v_mov_b32_e32 v90, v33
.LBB300_1527:                           ;   in Loop: Header=BB300_10 Depth=1
	s_or_b32 exec_lo, exec_lo, s20
	v_mov_b32_e32 v33, 8
	v_lshl_add_u32 v14, v14, 10, 0x2000
	v_lshlrev_b32_sdwa v4, v33, v4 dst_sel:DWORD dst_unused:UNUSED_PAD src0_sel:DWORD src1_sel:WORD_0
	v_and_or_b32 v4, 0x8000, v4, v14
	v_lshlrev_b32_e32 v14, 23, v81
	v_lshl_or_b32 v81, v4, 16, v14
.LBB300_1528:                           ;   in Loop: Header=BB300_10 Depth=1
	s_or_b32 exec_lo, exec_lo, s19
.LBB300_1529:                           ;   in Loop: Header=BB300_10 Depth=1
	s_or_b32 exec_lo, exec_lo, s18
.LBB300_1530:                           ;   in Loop: Header=BB300_10 Depth=1
	s_or_b32 exec_lo, exec_lo, s17
	v_lshrrev_b32_e32 v4, 16, v17
	v_cmp_ne_u16_sdwa s5, v4, v5 src0_sel:BYTE_0 src1_sel:DWORD
	s_and_saveexec_b32 s17, s5
	s_cbranch_execz .LBB300_1538
; %bb.1531:                             ;   in Loop: Header=BB300_10 Depth=1
	v_cmp_ne_u16_sdwa s5, v4, v111 src0_sel:BYTE_0 src1_sel:DWORD
	v_mov_b32_e32 v55, 0x8000
	s_and_saveexec_b32 s18, s5
	s_cbranch_execz .LBB300_1537
; %bb.1532:                             ;   in Loop: Header=BB300_10 Depth=1
	v_bfe_u32 v75, v17, 16, 7
	v_mov_b32_e32 v55, 0x7c01
	s_mov_b32 s19, exec_lo
	v_cmpx_ne_u32_e32 0x7f, v75
	s_cbranch_execz .LBB300_1536
; %bb.1533:                             ;   in Loop: Header=BB300_10 Depth=1
	v_and_b32_e32 v55, 7, v4
	v_lshrrev_b32_e32 v14, 3, v75
	s_mov_b32 s20, exec_lo
	v_cmpx_gt_u32_e32 8, v75
	s_cbranch_execz .LBB300_1535
; %bb.1534:                             ;   in Loop: Header=BB300_10 Depth=1
	v_ffbh_u32_e32 v14, v55
	v_mov_b32_e32 v33, v90
	v_mov_b32_e32 v75, v91
	v_min_u32_e32 v14, 32, v14
	v_subrev_nc_u32_e32 v55, 28, v14
	v_sub_nc_u32_e32 v14, 29, v14
	v_lshlrev_b64 v[90:91], v55, v[4:5]
	v_mov_b32_e32 v91, v75
	v_and_b32_e32 v55, 7, v90
	v_mov_b32_e32 v90, v33
.LBB300_1535:                           ;   in Loop: Header=BB300_10 Depth=1
	s_or_b32 exec_lo, exec_lo, s20
	v_lshlrev_b32_e32 v4, 8, v4
	v_lshl_add_u32 v14, v14, 10, 0x2000
	v_lshlrev_b32_e32 v55, 7, v55
	v_and_b32_e32 v4, 0x8000, v4
	v_and_b32_e32 v14, 0xfc00, v14
	v_or3_b32 v55, v4, v14, v55
.LBB300_1536:                           ;   in Loop: Header=BB300_10 Depth=1
	s_or_b32 exec_lo, exec_lo, s19
.LBB300_1537:                           ;   in Loop: Header=BB300_10 Depth=1
	s_or_b32 exec_lo, exec_lo, s18
.LBB300_1538:                           ;   in Loop: Header=BB300_10 Depth=1
	s_or_b32 exec_lo, exec_lo, s17
	v_cmp_lt_u64_e64 s5, s[6:7], v[16:17]
	v_mov_b32_e32 v16, 0
	s_mov_b32 s17, exec_lo
	s_clause 0x2
	buffer_load_dword v95, off, s[0:3], s32 offset:472
	buffer_load_dword v33, off, s[0:3], s32 offset:476
	;; [unrolled: 1-line block ×3, first 2 shown]
	s_and_b32 s5, s17, s5
	s_mov_b32 exec_lo, s5
	s_cbranch_execz .LBB300_9
; %bb.1539:                             ;   in Loop: Header=BB300_10 Depth=1
	v_lshrrev_b32_e32 v4, 24, v17
	v_bfrev_b32_e32 v16, 1
	s_mov_b32 s18, exec_lo
	v_cmpx_ne_u32_e32 0x80, v4
	s_cbranch_execz .LBB300_8
; %bb.1540:                             ;   in Loop: Header=BB300_10 Depth=1
	v_and_b32_e32 v17, 0x7f, v4
	v_mov_b32_e32 v16, 0x7c010000
	s_mov_b32 s19, exec_lo
	v_cmpx_ne_u32_e32 0x7f, v17
	s_cbranch_execz .LBB300_7
; %bb.1541:                             ;   in Loop: Header=BB300_10 Depth=1
	v_and_b32_e32 v16, 7, v4
	v_lshrrev_b32_e32 v14, 3, v17
	s_mov_b32 s20, exec_lo
	v_cmpx_gt_u32_e32 8, v17
	s_cbranch_execz .LBB300_6
; %bb.1542:                             ;   in Loop: Header=BB300_10 Depth=1
	v_ffbh_u32_e32 v14, v16
	v_min_u32_e32 v14, 32, v14
	v_subrev_nc_u32_e32 v16, 28, v14
	v_sub_nc_u32_e32 v14, 29, v14
	v_lshlrev_b64 v[16:17], v16, v[4:5]
	v_and_b32_e32 v16, 7, v16
	s_branch .LBB300_6
.LBB300_1543:
	s_or_b32 exec_lo, exec_lo, s15
	s_clause 0x5
	buffer_load_dword v104, off, s[0:3], s32 offset:904
	buffer_load_dword v105, off, s[0:3], s32 offset:908
	;; [unrolled: 1-line block ×6, first 2 shown]
.LBB300_1544:
	s_or_b32 exec_lo, exec_lo, s9
	v_mbcnt_lo_u32_b32 v0, -1, 0
	v_max_f32_e32 v4, v6, v6
	s_lshr_b32 s9, s13, 16
	v_xor_b32_e32 v1, 16, v0
	v_xor_b32_e32 v3, 8, v0
	v_cmp_gt_i32_e32 vcc_lo, 32, v1
	v_cndmask_b32_e32 v1, v0, v1, vcc_lo
	v_cmp_gt_i32_e32 vcc_lo, 32, v3
	v_lshlrev_b32_e32 v1, 2, v1
	v_cndmask_b32_e32 v3, v0, v3, vcc_lo
	ds_bpermute_b32 v2, v1, v6
	s_waitcnt lgkmcnt(0)
	v_max_f32_e32 v5, v2, v2
	v_lshlrev_b32_e32 v2, 2, v3
	v_max_f32_e32 v4, v4, v5
	v_xor_b32_e32 v5, 4, v0
	ds_bpermute_b32 v3, v2, v4
	v_cmp_gt_i32_e32 vcc_lo, 32, v5
	v_cndmask_b32_e32 v5, v0, v5, vcc_lo
	s_waitcnt lgkmcnt(0)
	v_max_f32_e32 v6, v3, v3
	v_lshlrev_b32_e32 v3, 2, v5
	v_max_f32_e32 v4, v4, v6
	v_xor_b32_e32 v6, 2, v0
	ds_bpermute_b32 v5, v3, v4
	v_cmp_gt_i32_e32 vcc_lo, 32, v6
	v_cndmask_b32_e32 v6, v0, v6, vcc_lo
	v_lshlrev_b32_e32 v14, 2, v6
	v_xor_b32_e32 v6, 1, v0
	v_cmp_gt_i32_e32 vcc_lo, 32, v6
	s_waitcnt lgkmcnt(0)
	v_max_f32_e32 v5, v5, v5
	v_cndmask_b32_e32 v6, v0, v6, vcc_lo
	s_waitcnt vmcnt(1)
	v_cmp_eq_u32_e32 vcc_lo, 0, v110
	v_max_f32_e32 v4, v4, v5
	v_lshlrev_b32_e32 v13, 2, v6
	ds_bpermute_b32 v5, v14, v4
	s_waitcnt lgkmcnt(0)
	v_max_f32_e32 v5, v5, v5
	v_max_f32_e32 v0, v4, v5
	v_lshlrev_b32_e32 v4, 2, v125
	ds_bpermute_b32 v5, v13, v0
	s_and_saveexec_b32 s5, vcc_lo
	s_cbranch_execz .LBB300_1546
; %bb.1545:
	s_waitcnt lgkmcnt(0)
	v_max_f32_e32 v5, v5, v5
	v_max_f32_e32 v0, v0, v0
	;; [unrolled: 1-line block ×3, first 2 shown]
	ds_write_b32 v4, v0 offset:384
.LBB300_1546:
	s_or_b32 exec_lo, exec_lo, s5
	v_cmp_gt_u32_e64 s5, 4, v110
	v_mov_b32_e32 v0, 0xff7fffff
	s_waitcnt vmcnt(0) lgkmcnt(0)
	s_waitcnt_vscnt null, 0x0
	s_barrier
	buffer_gl0_inv
	s_and_saveexec_b32 s6, s5
	s_cbranch_execz .LBB300_1548
; %bb.1547:
	buffer_load_dword v0, off, s[0:3], s32 offset:892 ; 4-byte Folded Reload
	s_waitcnt vmcnt(0)
	ds_read_b32 v0, v0 offset:384
.LBB300_1548:
	s_or_b32 exec_lo, exec_lo, s6
	s_waitcnt lgkmcnt(0)
	ds_bpermute_b32 v5, v14, v0
	v_max_f32_e32 v0, v0, v0
	v_mov_b32_e32 v6, 0
	s_waitcnt lgkmcnt(0)
	v_max_f32_e32 v5, v5, v5
	v_max_f32_e32 v0, v0, v5
	ds_bpermute_b32 v5, v13, v0
	s_waitcnt lgkmcnt(0)
	v_max_f32_e32 v5, v5, v5
	v_max_f32_e32 v0, v0, v5
	ds_bpermute_b32 v5, v6, v0
	v_lshlrev_b32_e32 v0, 5, v111
	v_min_i32_e32 v0, v0, v30
	v_cmp_lt_i32_e64 s6, v108, v0
	s_and_saveexec_b32 s13, s6
	s_cbranch_execz .LBB300_1552
; %bb.1549:
	s_getpc_b64 s[18:19]
	s_add_u32 s18, s18, llvm.amdgcn.dynlds.offset.table@rel32@lo+4
	s_addc_u32 s19, s19, llvm.amdgcn.dynlds.offset.table@rel32@hi+12
	s_ashr_i32 s17, s16, 31
	v_mov_b32_e32 v6, 0
	s_lshl_b64 s[20:21], s[16:17], 2
	v_mov_b32_e32 v8, v108
	s_add_u32 s18, s18, s20
	s_addc_u32 s19, s19, s21
	s_mov_b32 s15, 0
	s_load_dword s7, s[18:19], 0x0
	s_waitcnt lgkmcnt(0)
	v_lshl_add_u32 v7, v108, 2, s7
	.p2align	6
.LBB300_1550:                           ; =>This Inner Loop Header: Depth=1
	ds_read_b32 v9, v7
	v_add_nc_u32_e32 v8, 0x80, v8
	v_cmp_ge_i32_e64 s7, v8, v0
	s_or_b32 s15, s7, s15
	s_waitcnt lgkmcnt(0)
	v_sub_f32_e32 v9, v9, v5
	v_mul_f32_e32 v9, 0x3fb8aa3b, v9
	v_exp_f32_e32 v9, v9
	ds_write_b32 v7, v9
	v_add_f32_e32 v6, v6, v9
	v_add_nc_u32_e32 v7, 0x200, v7
	s_andn2_b32 exec_lo, exec_lo, s15
	s_cbranch_execnz .LBB300_1550
; %bb.1551:
	s_or_b32 exec_lo, exec_lo, s15
.LBB300_1552:
	s_or_b32 exec_lo, exec_lo, s13
	ds_bpermute_b32 v1, v1, v6
	s_waitcnt lgkmcnt(0)
	v_add_f32_e32 v1, v6, v1
	ds_bpermute_b32 v2, v2, v1
	s_waitcnt lgkmcnt(0)
	v_add_f32_e32 v1, v1, v2
	ds_bpermute_b32 v2, v3, v1
	s_waitcnt lgkmcnt(0)
	v_add_f32_e32 v1, v1, v2
	ds_bpermute_b32 v2, v14, v1
	s_waitcnt lgkmcnt(0)
	v_add_f32_e32 v1, v1, v2
	ds_bpermute_b32 v2, v13, v1
	s_waitcnt lgkmcnt(0)
	v_add_f32_e32 v1, v1, v2
	s_and_saveexec_b32 s7, vcc_lo
; %bb.1553:
	ds_write_b32 v4, v1 offset:400
; %bb.1554:
	s_or_b32 exec_lo, exec_lo, s7
	s_waitcnt lgkmcnt(0)
	s_barrier
	buffer_gl0_inv
	s_and_saveexec_b32 s7, s5
	s_cbranch_execz .LBB300_1556
; %bb.1555:
	buffer_load_dword v1, off, s[0:3], s32 offset:892 ; 4-byte Folded Reload
	s_waitcnt vmcnt(0)
	ds_read_b32 v1, v1 offset:400
.LBB300_1556:
	s_or_b32 exec_lo, exec_lo, s7
	s_waitcnt lgkmcnt(0)
	ds_bpermute_b32 v2, v14, v1
	s_waitcnt lgkmcnt(0)
	v_add_f32_e32 v1, v1, v2
	ds_bpermute_b32 v2, v13, v1
	s_waitcnt lgkmcnt(0)
	v_add_f32_e32 v1, v1, v2
	v_mov_b32_e32 v2, 0
	ds_bpermute_b32 v1, v2, v1
	s_and_saveexec_b32 s5, s6
	s_cbranch_execz .LBB300_1559
; %bb.1557:
	s_waitcnt lgkmcnt(0)
	v_add_f32_e32 v2, 0x358637bd, v1
	s_getpc_b64 s[6:7]
	s_add_u32 s6, s6, llvm.amdgcn.dynlds.offset.table@rel32@lo+4
	s_addc_u32 s7, s7, llvm.amdgcn.dynlds.offset.table@rel32@hi+12
	s_ashr_i32 s17, s16, 31
	s_lshl_b64 s[18:19], s[16:17], 2
	v_div_scale_f32 v1, null, v2, v2, 1.0
	v_div_scale_f32 v5, vcc_lo, 1.0, v2, 1.0
	s_add_u32 s6, s6, s18
	v_rcp_f32_e32 v3, v1
	s_addc_u32 s7, s7, s19
	s_load_dword s6, s[6:7], 0x0
	v_fma_f32 v4, -v1, v3, 1.0
	v_fmac_f32_e32 v3, v4, v3
	v_mul_f32_e32 v4, v5, v3
	v_fma_f32 v6, -v1, v4, v5
	v_fmac_f32_e32 v4, v6, v3
	v_fma_f32 v1, -v1, v4, v5
	v_div_fmas_f32 v3, v1, v3, v4
	s_waitcnt lgkmcnt(0)
	v_lshl_add_u32 v1, v108, 2, s6
	s_mov_b32 s6, 0
	v_div_fixup_f32 v2, v3, v2, 1.0
	v_mov_b32_e32 v3, v108
.LBB300_1558:                           ; =>This Inner Loop Header: Depth=1
	ds_read_b32 v4, v1
	v_add_nc_u32_e32 v3, 0x80, v3
	v_cmp_ge_i32_e32 vcc_lo, v3, v0
	s_or_b32 s6, vcc_lo, s6
	s_waitcnt lgkmcnt(0)
	v_mul_f32_e32 v4, v2, v4
	ds_write_b32 v1, v4
	v_add_nc_u32_e32 v1, 0x200, v1
	s_andn2_b32 exec_lo, exec_lo, s6
	s_cbranch_execnz .LBB300_1558
.LBB300_1559:
	s_or_b32 exec_lo, exec_lo, s5
	s_waitcnt lgkmcnt(0)
	s_barrier
	buffer_gl0_inv
	s_and_saveexec_b32 s5, s4
	s_xor_b32 s4, exec_lo, s5
; %bb.1560:
                                        ; implicit-def: $vgpr0
                                        ; kill: killed $vgpr0
	s_ashr_i32 s17, s16, 31
                                        ; implicit-def: $vgpr0
                                        ; kill: killed $vgpr0
                                        ; implicit-def: $vgpr30
                                        ; implicit-def: $vgpr111
                                        ; implicit-def: $vgpr106_vgpr107
                                        ; implicit-def: $vgpr0
                                        ; kill: killed $vgpr0
                                        ; implicit-def: $vgpr0
                                        ; kill: killed $vgpr0
	;; [unrolled: 2-line block ×5, first 2 shown]
                                        ; implicit-def: $vgpr0_vgpr1
                                        ; kill: killed $vgpr0_vgpr1
; %bb.1561:
	s_or_saveexec_b32 s5, s4
	v_mov_b32_e32 v4, s16
	v_mov_b32_e32 v53, 0
	;; [unrolled: 1-line block ×26, first 2 shown]
	s_xor_b32 exec_lo, exec_lo, s5
	s_cbranch_execz .LBB300_3149
; %bb.1562:
	s_clause 0x2
	buffer_load_dword v1, off, s[0:3], s32 offset:872
	buffer_load_dword v2, off, s[0:3], s32 offset:884
	;; [unrolled: 1-line block ×3, first 2 shown]
	s_getpc_b64 s[6:7]
	s_add_u32 s6, s6, llvm.amdgcn.dynlds.offset.table@rel32@lo+4
	s_addc_u32 s7, s7, llvm.amdgcn.dynlds.offset.table@rel32@hi+12
	s_ashr_i32 s17, s16, 31
	v_lshlrev_b32_e32 v0, 3, v108
	s_lshl_b64 s[18:19], s[16:17], 2
	v_add_nc_u32_e32 v32, -1, v111
	s_add_u32 s6, s6, s18
	s_addc_u32 s7, s7, s19
	v_and_b32_e32 v66, 24, v0
	v_and_b32_e32 v0, 0xf8, v0
	v_mov_b32_e32 v67, 0x80
	v_mov_b32_e32 v68, 0x7f
	;; [unrolled: 1-line block ×29, first 2 shown]
	s_mov_b32 s15, 0
	s_waitcnt vmcnt(1)
	v_add_co_u32 v64, vcc_lo, v1, v2
	buffer_load_dword v1, off, s[0:3], s32 offset:868 ; 4-byte Folded Reload
	s_waitcnt vmcnt(0)
	v_add_co_ci_u32_e64 v65, null, v1, v3, vcc_lo
	s_clause 0x1
	buffer_load_dword v1, off, s[0:3], s32 offset:900
	buffer_load_dword v2, off, s[0:3], s32 offset:876
	s_waitcnt vmcnt(0)
	v_add_co_u32 v1, vcc_lo, v1, v2
	s_clause 0x1
	buffer_load_dword v2, off, s[0:3], s32 offset:896
	buffer_load_dword v3, off, s[0:3], s32 offset:880
	s_load_dword s13, s[6:7], 0x0
	s_mov_b32 s6, -1
	s_mov_b32 s7, 0xffffff
	s_waitcnt vmcnt(0)
	v_add_co_ci_u32_e64 v2, null, v2, v3, vcc_lo
	v_add_co_u32 v4, vcc_lo, v1, v0
	v_mov_b32_e32 v3, 0
	v_add_co_ci_u32_e64 v5, null, 0, v2, vcc_lo
	s_branch .LBB300_1564
.LBB300_1563:                           ;   in Loop: Header=BB300_1564 Depth=1
	s_or_b32 exec_lo, exec_lo, s4
	v_add_f32_e32 v9, v9, v10
	v_add_f32_e32 v10, v76, v77
	;; [unrolled: 1-line block ×21, first 2 shown]
	;;#ASMSTART
	v_pk_mul_f16 v1, v83, v78;

	;;#ASMEND
	;;#ASMSTART
	v_pk_mul_f16 v2, v82, v2;

	;;#ASMEND
	;; [unrolled: 4-line block ×4, first 2 shown]
	;;#ASMSTART
	v_pk_add_f16 v1, v1, v2;

	;;#ASMEND
	;;#ASMSTART
	v_pk_add_f16 v1, v1, v8;

	;;#ASMEND
	;; [unrolled: 4-line block ×3, first 2 shown]
	v_and_b32_e32 v7, 0xffff, v1
	v_add_nc_u32_e32 v6, 4, v6
	v_lshrrev_b32_e32 v8, 16, v1
	;;#ASMSTART
	v_cvt_f32_f16 v7, v7;
	;;#ASMEND
	v_add_f32_e32 v23, v72, v73
	v_add_f32_e32 v71, v62, v63
	;; [unrolled: 1-line block ×15, first 2 shown]
	;;#ASMSTART
	v_cvt_f32_f16 v8, v8;
	;;#ASMEND
	v_add_f32_e32 v7, v7, v8
	v_cmp_ge_i32_e32 vcc_lo, v6, v111
	v_add_f32_e32 v21, v21, v23
	v_add_f32_e32 v24, v24, v71
	;; [unrolled: 1-line block ×11, first 2 shown]
	s_or_b32 s15, vcc_lo, s15
	s_andn2_b32 exec_lo, exec_lo, s15
	s_cbranch_execz .LBB300_3148
.LBB300_1564:                           ; =>This Inner Loop Header: Depth=1
	v_mov_b32_e32 v7, v3
	v_lshl_or_b32 v71, v6, 5, v66
	v_lshlrev_b64 v[0:1], 2, v[6:7]
	v_add_co_u32 v0, vcc_lo, v64, v0
	v_add_co_ci_u32_e64 v1, null, v65, v1, vcc_lo
	flat_load_dword v1, v[0:1]
	s_waitcnt lgkmcnt(0)
	v_lshl_add_u32 v0, v71, 2, s13
	ds_read2_b64 v[8:11], v0 offset1:1
	ds_read2_b64 v[80:83], v0 offset0:2 offset1:3
	s_waitcnt lgkmcnt(1)
	;;#ASMSTART
	v_cvt_f16_f32 v0, v8;

	;;#ASMEND
	buffer_load_dword v2, off, s[0:3], s32 offset:516 ; 4-byte Folded Reload
	s_waitcnt vmcnt(0)
	v_mad_i64_i32 v[7:8], null, v1, v2, v[4:5]
	;;#ASMSTART
	v_cvt_f16_f32 v1, v9;

	;;#ASMEND
	;;#ASMSTART
	v_cvt_f16_f32 v19, v10;

	;;#ASMEND
	;;#ASMSTART
	v_cvt_f16_f32 v11, v11;

	;;#ASMEND
	s_waitcnt lgkmcnt(0)
	;;#ASMSTART
	v_cvt_f16_f32 v28, v80;

	;;#ASMEND
	;;#ASMSTART
	v_cvt_f16_f32 v12, v81;

	;;#ASMEND
	;;#ASMSTART
	v_cvt_f16_f32 v29, v82;

	;;#ASMEND
	;;#ASMSTART
	v_cvt_f16_f32 v18, v83;

	;;#ASMEND
	flat_load_dwordx2 v[9:10], v[7:8]
	flat_load_dword v31, v[106:107]
	v_mov_b32_e32 v80, 0
	s_waitcnt vmcnt(1) lgkmcnt(1)
	v_cmp_ne_u16_sdwa s18, v9, v3 src0_sel:BYTE_0 src1_sel:DWORD
	s_and_saveexec_b32 s4, s18
	s_cbranch_execz .LBB300_1572
; %bb.1565:                             ;   in Loop: Header=BB300_1564 Depth=1
	v_cmp_ne_u16_sdwa s19, v9, v67 src0_sel:BYTE_0 src1_sel:DWORD
	v_mov_b32_e32 v80, 0x8000
	s_and_saveexec_b32 s18, s19
	s_cbranch_execz .LBB300_1571
; %bb.1566:                             ;   in Loop: Header=BB300_1564 Depth=1
	v_and_b32_e32 v81, 0x7f, v9
	v_mov_b32_e32 v80, 0x7c01
	s_mov_b32 s19, exec_lo
	v_cmpx_ne_u32_e32 0x7f, v81
	s_cbranch_execz .LBB300_1570
; %bb.1567:                             ;   in Loop: Header=BB300_1564 Depth=1
	v_and_b32_e32 v2, 7, v9
	v_lshrrev_b32_e32 v80, 3, v81
	s_mov_b32 s20, exec_lo
	v_cmpx_gt_u32_e32 8, v81
; %bb.1568:                             ;   in Loop: Header=BB300_1564 Depth=1
	v_ffbh_u32_e32 v2, v2
	v_min_u32_e32 v2, 32, v2
	v_subrev_nc_u32_e32 v22, 28, v2
	v_sub_nc_u32_e32 v80, 29, v2
	v_lshlrev_b64 v[22:23], v22, v[9:10]
	v_and_b32_e32 v2, 7, v22
; %bb.1569:                             ;   in Loop: Header=BB300_1564 Depth=1
	s_or_b32 exec_lo, exec_lo, s20
	v_lshlrev_b32_e32 v22, 8, v9
	v_lshl_add_u32 v23, v80, 10, 0x2000
	v_lshlrev_b32_e32 v2, 7, v2
	v_and_b32_e32 v22, 0x8000, v22
	v_and_b32_e32 v23, 0xfc00, v23
	v_or3_b32 v80, v22, v23, v2
.LBB300_1570:                           ;   in Loop: Header=BB300_1564 Depth=1
	s_or_b32 exec_lo, exec_lo, s19
.LBB300_1571:                           ;   in Loop: Header=BB300_1564 Depth=1
	s_or_b32 exec_lo, exec_lo, s18
.LBB300_1572:                           ;   in Loop: Header=BB300_1564 Depth=1
	s_or_b32 exec_lo, exec_lo, s4
	v_lshrrev_b16 v2, 8, v9
	v_mov_b32_e32 v82, 0
	v_mov_b32_e32 v81, 0
	s_mov_b32 s4, exec_lo
	v_cmpx_ne_u16_e32 0, v2
	s_cbranch_execz .LBB300_1580
; %bb.1573:                             ;   in Loop: Header=BB300_1564 Depth=1
	v_bfrev_b32_e32 v81, 1
	s_mov_b32 s18, exec_lo
	v_cmpx_ne_u16_e32 0x80, v2
	s_cbranch_execz .LBB300_1579
; %bb.1574:                             ;   in Loop: Header=BB300_1564 Depth=1
	v_and_b32_sdwa v84, v2, v68 dst_sel:DWORD dst_unused:UNUSED_PAD src0_sel:WORD_0 src1_sel:DWORD
	v_mov_b32_e32 v81, 0x7c010000
	s_mov_b32 s19, exec_lo
	v_cmpx_ne_u32_e32 0x7f, v84
	s_cbranch_execz .LBB300_1578
; %bb.1575:                             ;   in Loop: Header=BB300_1564 Depth=1
	v_and_b32_sdwa v81, v2, v69 dst_sel:DWORD dst_unused:UNUSED_PAD src0_sel:WORD_0 src1_sel:DWORD
	v_lshrrev_b32_e32 v83, 3, v84
	s_mov_b32 s20, exec_lo
	v_cmpx_gt_u32_e32 8, v84
; %bb.1576:                             ;   in Loop: Header=BB300_1564 Depth=1
	v_ffbh_u32_e32 v22, v81
	v_min_u32_e32 v81, 32, v22
	v_subrev_nc_u32_e32 v22, 28, v81
	v_sub_nc_u32_e32 v83, 29, v81
	v_lshlrev_b64 v[22:23], v22, v[2:3]
	v_and_b32_e32 v81, 7, v22
; %bb.1577:                             ;   in Loop: Header=BB300_1564 Depth=1
	s_or_b32 exec_lo, exec_lo, s20
	v_lshlrev_b32_sdwa v2, v70, v2 dst_sel:DWORD dst_unused:UNUSED_PAD src0_sel:DWORD src1_sel:WORD_0
	v_lshl_add_u32 v22, v83, 10, 0x2000
	v_and_or_b32 v2, 0x8000, v2, v22
	v_lshlrev_b32_e32 v22, 23, v81
	v_lshl_or_b32 v81, v2, 16, v22
.LBB300_1578:                           ;   in Loop: Header=BB300_1564 Depth=1
	s_or_b32 exec_lo, exec_lo, s19
.LBB300_1579:                           ;   in Loop: Header=BB300_1564 Depth=1
	s_or_b32 exec_lo, exec_lo, s18
.LBB300_1580:                           ;   in Loop: Header=BB300_1564 Depth=1
	s_or_b32 exec_lo, exec_lo, s4
	v_lshrrev_b32_e32 v2, 16, v9
	v_cmp_ne_u16_sdwa s18, v2, v3 src0_sel:BYTE_0 src1_sel:DWORD
	s_and_saveexec_b32 s4, s18
	s_cbranch_execz .LBB300_1588
; %bb.1581:                             ;   in Loop: Header=BB300_1564 Depth=1
	v_cmp_ne_u16_sdwa s19, v2, v67 src0_sel:BYTE_0 src1_sel:DWORD
	v_mov_b32_e32 v82, 0x8000
	s_and_saveexec_b32 s18, s19
	s_cbranch_execz .LBB300_1587
; %bb.1582:                             ;   in Loop: Header=BB300_1564 Depth=1
	v_bfe_u32 v84, v9, 16, 7
	v_mov_b32_e32 v82, 0x7c01
	s_mov_b32 s19, exec_lo
	v_cmpx_ne_u32_e32 0x7f, v84
	s_cbranch_execz .LBB300_1586
; %bb.1583:                             ;   in Loop: Header=BB300_1564 Depth=1
	v_and_b32_e32 v82, 7, v2
	v_lshrrev_b32_e32 v83, 3, v84
	s_mov_b32 s20, exec_lo
	v_cmpx_gt_u32_e32 8, v84
; %bb.1584:                             ;   in Loop: Header=BB300_1564 Depth=1
	v_ffbh_u32_e32 v22, v82
	v_min_u32_e32 v82, 32, v22
	v_subrev_nc_u32_e32 v22, 28, v82
	v_sub_nc_u32_e32 v83, 29, v82
	v_lshlrev_b64 v[22:23], v22, v[2:3]
	v_and_b32_e32 v82, 7, v22
; %bb.1585:                             ;   in Loop: Header=BB300_1564 Depth=1
	s_or_b32 exec_lo, exec_lo, s20
	v_lshlrev_b32_e32 v2, 8, v2
	v_lshl_add_u32 v22, v83, 10, 0x2000
	v_lshlrev_b32_e32 v23, 7, v82
	v_and_b32_e32 v2, 0x8000, v2
	v_and_b32_e32 v22, 0xfc00, v22
	v_or3_b32 v82, v2, v22, v23
.LBB300_1586:                           ;   in Loop: Header=BB300_1564 Depth=1
	s_or_b32 exec_lo, exec_lo, s19
.LBB300_1587:                           ;   in Loop: Header=BB300_1564 Depth=1
	s_or_b32 exec_lo, exec_lo, s18
.LBB300_1588:                           ;   in Loop: Header=BB300_1564 Depth=1
	s_or_b32 exec_lo, exec_lo, s4
	v_mov_b32_e32 v83, 0
	v_mov_b32_e32 v84, 0
	s_mov_b32 s4, exec_lo
	v_cmpx_lt_u32_e32 0xffffff, v9
	s_cbranch_execz .LBB300_1596
; %bb.1589:                             ;   in Loop: Header=BB300_1564 Depth=1
	v_lshrrev_b32_e32 v2, 24, v9
	v_bfrev_b32_e32 v84, 1
	s_mov_b32 s18, exec_lo
	v_cmpx_ne_u32_e32 0x80, v2
	s_cbranch_execz .LBB300_1595
; %bb.1590:                             ;   in Loop: Header=BB300_1564 Depth=1
	v_and_b32_e32 v86, 0x7f, v2
	v_mov_b32_e32 v84, 0x7c010000
	s_mov_b32 s19, exec_lo
	v_cmpx_ne_u32_e32 0x7f, v86
	s_cbranch_execz .LBB300_1594
; %bb.1591:                             ;   in Loop: Header=BB300_1564 Depth=1
	v_and_b32_e32 v84, 7, v2
	v_lshrrev_b32_e32 v85, 3, v86
	s_mov_b32 s20, exec_lo
	v_cmpx_gt_u32_e32 8, v86
; %bb.1592:                             ;   in Loop: Header=BB300_1564 Depth=1
	v_ffbh_u32_e32 v22, v84
	v_min_u32_e32 v84, 32, v22
	v_subrev_nc_u32_e32 v22, 28, v84
	v_sub_nc_u32_e32 v85, 29, v84
	v_lshlrev_b64 v[22:23], v22, v[2:3]
	v_and_b32_e32 v84, 7, v22
; %bb.1593:                             ;   in Loop: Header=BB300_1564 Depth=1
	s_or_b32 exec_lo, exec_lo, s20
	v_lshlrev_b32_e32 v2, 8, v2
	v_lshl_add_u32 v22, v85, 10, 0x2000
	v_and_or_b32 v2, 0x8000, v2, v22
	v_lshlrev_b32_e32 v22, 23, v84
	v_lshl_or_b32 v84, v2, 16, v22
.LBB300_1594:                           ;   in Loop: Header=BB300_1564 Depth=1
	s_or_b32 exec_lo, exec_lo, s19
.LBB300_1595:                           ;   in Loop: Header=BB300_1564 Depth=1
	s_or_b32 exec_lo, exec_lo, s18
.LBB300_1596:                           ;   in Loop: Header=BB300_1564 Depth=1
	s_or_b32 exec_lo, exec_lo, s4
	v_mov_b32_e32 v2, v10
	v_cmp_ne_u16_sdwa s18, v10, v3 src0_sel:BYTE_0 src1_sel:DWORD
	s_and_saveexec_b32 s4, s18
	s_cbranch_execz .LBB300_1604
; %bb.1597:                             ;   in Loop: Header=BB300_1564 Depth=1
	v_cmp_ne_u16_sdwa s19, v10, v67 src0_sel:BYTE_0 src1_sel:DWORD
	v_mov_b32_e32 v83, 0x8000
	s_and_saveexec_b32 s18, s19
	s_cbranch_execz .LBB300_1603
; %bb.1598:                             ;   in Loop: Header=BB300_1564 Depth=1
	v_and_b32_e32 v86, 0x7f, v10
	v_mov_b32_e32 v83, 0x7c01
	s_mov_b32 s19, exec_lo
	v_cmpx_ne_u32_e32 0x7f, v86
	s_cbranch_execz .LBB300_1602
; %bb.1599:                             ;   in Loop: Header=BB300_1564 Depth=1
	v_and_b32_e32 v83, 7, v10
	v_lshrrev_b32_e32 v85, 3, v86
	s_mov_b32 s20, exec_lo
	v_cmpx_gt_u32_e32 8, v86
; %bb.1600:                             ;   in Loop: Header=BB300_1564 Depth=1
	v_ffbh_u32_e32 v22, v83
	v_min_u32_e32 v83, 32, v22
	v_subrev_nc_u32_e32 v22, 28, v83
	v_sub_nc_u32_e32 v85, 29, v83
	v_lshlrev_b64 v[22:23], v22, v[2:3]
	v_and_b32_e32 v83, 7, v22
; %bb.1601:                             ;   in Loop: Header=BB300_1564 Depth=1
	s_or_b32 exec_lo, exec_lo, s20
	v_lshlrev_b32_e32 v22, 8, v10
	v_lshl_add_u32 v23, v85, 10, 0x2000
	v_lshlrev_b32_e32 v83, 7, v83
	v_and_b32_e32 v22, 0x8000, v22
	v_and_b32_e32 v23, 0xfc00, v23
	v_or3_b32 v83, v22, v23, v83
.LBB300_1602:                           ;   in Loop: Header=BB300_1564 Depth=1
	s_or_b32 exec_lo, exec_lo, s19
.LBB300_1603:                           ;   in Loop: Header=BB300_1564 Depth=1
	s_or_b32 exec_lo, exec_lo, s18
.LBB300_1604:                           ;   in Loop: Header=BB300_1564 Depth=1
	s_or_b32 exec_lo, exec_lo, s4
	v_lshrrev_b16 v2, 8, v2
	v_mov_b32_e32 v86, 0
	v_mov_b32_e32 v85, 0
	s_mov_b32 s4, exec_lo
	v_cmpx_ne_u16_e32 0, v2
	s_cbranch_execz .LBB300_1612
; %bb.1605:                             ;   in Loop: Header=BB300_1564 Depth=1
	v_bfrev_b32_e32 v85, 1
	s_mov_b32 s18, exec_lo
	v_cmpx_ne_u16_e32 0x80, v2
	s_cbranch_execz .LBB300_1611
; %bb.1606:                             ;   in Loop: Header=BB300_1564 Depth=1
	v_and_b32_sdwa v96, v2, v68 dst_sel:DWORD dst_unused:UNUSED_PAD src0_sel:WORD_0 src1_sel:DWORD
	v_mov_b32_e32 v85, 0x7c010000
	s_mov_b32 s19, exec_lo
	v_cmpx_ne_u32_e32 0x7f, v96
	s_cbranch_execz .LBB300_1610
; %bb.1607:                             ;   in Loop: Header=BB300_1564 Depth=1
	v_and_b32_sdwa v85, v2, v69 dst_sel:DWORD dst_unused:UNUSED_PAD src0_sel:WORD_0 src1_sel:DWORD
	v_lshrrev_b32_e32 v87, 3, v96
	s_mov_b32 s20, exec_lo
	v_cmpx_gt_u32_e32 8, v96
; %bb.1608:                             ;   in Loop: Header=BB300_1564 Depth=1
	v_ffbh_u32_e32 v22, v85
	v_min_u32_e32 v85, 32, v22
	v_subrev_nc_u32_e32 v22, 28, v85
	v_sub_nc_u32_e32 v87, 29, v85
	v_lshlrev_b64 v[22:23], v22, v[2:3]
	v_and_b32_e32 v85, 7, v22
; %bb.1609:                             ;   in Loop: Header=BB300_1564 Depth=1
	s_or_b32 exec_lo, exec_lo, s20
	v_lshlrev_b32_sdwa v2, v70, v2 dst_sel:DWORD dst_unused:UNUSED_PAD src0_sel:DWORD src1_sel:WORD_0
	v_lshl_add_u32 v22, v87, 10, 0x2000
	v_and_or_b32 v2, 0x8000, v2, v22
	v_lshlrev_b32_e32 v22, 23, v85
	v_lshl_or_b32 v85, v2, 16, v22
.LBB300_1610:                           ;   in Loop: Header=BB300_1564 Depth=1
	s_or_b32 exec_lo, exec_lo, s19
.LBB300_1611:                           ;   in Loop: Header=BB300_1564 Depth=1
	s_or_b32 exec_lo, exec_lo, s18
.LBB300_1612:                           ;   in Loop: Header=BB300_1564 Depth=1
	s_or_b32 exec_lo, exec_lo, s4
	v_lshrrev_b32_e32 v2, 16, v10
	v_cmp_ne_u16_sdwa s18, v2, v3 src0_sel:BYTE_0 src1_sel:DWORD
	s_and_saveexec_b32 s4, s18
	s_cbranch_execz .LBB300_1620
; %bb.1613:                             ;   in Loop: Header=BB300_1564 Depth=1
	v_cmp_ne_u16_sdwa s19, v2, v67 src0_sel:BYTE_0 src1_sel:DWORD
	v_mov_b32_e32 v86, 0x8000
	s_and_saveexec_b32 s18, s19
	s_cbranch_execz .LBB300_1619
; %bb.1614:                             ;   in Loop: Header=BB300_1564 Depth=1
	v_bfe_u32 v96, v10, 16, 7
	v_mov_b32_e32 v86, 0x7c01
	s_mov_b32 s19, exec_lo
	v_cmpx_ne_u32_e32 0x7f, v96
	s_cbranch_execz .LBB300_1618
; %bb.1615:                             ;   in Loop: Header=BB300_1564 Depth=1
	v_and_b32_e32 v86, 7, v2
	v_lshrrev_b32_e32 v87, 3, v96
	s_mov_b32 s20, exec_lo
	v_cmpx_gt_u32_e32 8, v96
; %bb.1616:                             ;   in Loop: Header=BB300_1564 Depth=1
	v_ffbh_u32_e32 v22, v86
	v_min_u32_e32 v86, 32, v22
	v_subrev_nc_u32_e32 v22, 28, v86
	v_sub_nc_u32_e32 v87, 29, v86
	v_lshlrev_b64 v[22:23], v22, v[2:3]
	v_and_b32_e32 v86, 7, v22
; %bb.1617:                             ;   in Loop: Header=BB300_1564 Depth=1
	s_or_b32 exec_lo, exec_lo, s20
	v_lshlrev_b32_e32 v2, 8, v2
	v_lshl_add_u32 v22, v87, 10, 0x2000
	v_lshlrev_b32_e32 v23, 7, v86
	v_and_b32_e32 v2, 0x8000, v2
	v_and_b32_e32 v22, 0xfc00, v22
	v_or3_b32 v86, v2, v22, v23
.LBB300_1618:                           ;   in Loop: Header=BB300_1564 Depth=1
	s_or_b32 exec_lo, exec_lo, s19
.LBB300_1619:                           ;   in Loop: Header=BB300_1564 Depth=1
	s_or_b32 exec_lo, exec_lo, s18
.LBB300_1620:                           ;   in Loop: Header=BB300_1564 Depth=1
	s_or_b32 exec_lo, exec_lo, s4
	v_cmp_lt_u64_e32 vcc_lo, s[6:7], v[9:10]
	v_mov_b32_e32 v9, 0
	s_and_saveexec_b32 s4, vcc_lo
	s_cbranch_execz .LBB300_1628
; %bb.1621:                             ;   in Loop: Header=BB300_1564 Depth=1
	v_lshrrev_b32_e32 v2, 24, v10
	v_bfrev_b32_e32 v9, 1
	s_mov_b32 s18, exec_lo
	v_cmpx_ne_u32_e32 0x80, v2
	s_cbranch_execz .LBB300_1627
; %bb.1622:                             ;   in Loop: Header=BB300_1564 Depth=1
	v_and_b32_e32 v87, 0x7f, v2
	v_mov_b32_e32 v9, 0x7c010000
	s_mov_b32 s19, exec_lo
	v_cmpx_ne_u32_e32 0x7f, v87
	s_cbranch_execz .LBB300_1626
; %bb.1623:                             ;   in Loop: Header=BB300_1564 Depth=1
	v_and_b32_e32 v9, 7, v2
	v_lshrrev_b32_e32 v10, 3, v87
	s_mov_b32 s20, exec_lo
	v_cmpx_gt_u32_e32 8, v87
; %bb.1624:                             ;   in Loop: Header=BB300_1564 Depth=1
	v_ffbh_u32_e32 v9, v9
	v_min_u32_e32 v22, 32, v9
	v_subrev_nc_u32_e32 v9, 28, v22
	v_lshlrev_b64 v[9:10], v9, v[2:3]
	v_sub_nc_u32_e32 v10, 29, v22
	v_and_b32_e32 v9, 7, v9
; %bb.1625:                             ;   in Loop: Header=BB300_1564 Depth=1
	s_or_b32 exec_lo, exec_lo, s20
	v_lshlrev_b32_e32 v2, 8, v2
	v_lshl_add_u32 v10, v10, 10, 0x2000
	v_lshlrev_b32_e32 v9, 23, v9
	v_and_or_b32 v2, 0x8000, v2, v10
	v_lshl_or_b32 v9, v2, 16, v9
.LBB300_1626:                           ;   in Loop: Header=BB300_1564 Depth=1
	s_or_b32 exec_lo, exec_lo, s19
.LBB300_1627:                           ;   in Loop: Header=BB300_1564 Depth=1
	s_or_b32 exec_lo, exec_lo, s18
.LBB300_1628:                           ;   in Loop: Header=BB300_1564 Depth=1
	s_or_b32 exec_lo, exec_lo, s4
	v_or_b32_e32 v2, v84, v82
	v_or_b32_e32 v22, v81, v80
	s_waitcnt vmcnt(0) lgkmcnt(0)
	v_fma_mixlo_f16 v23, v31, v81, 0 op_sel:[0,1,0] op_sel_hi:[0,1,0]
	v_or_b32_e32 v80, v85, v83
	v_or_b32_e32 v82, v9, v86
	v_fma_mixlo_f16 v2, v31, v2, 0 op_sel_hi:[0,1,0]
	v_fma_mixlo_f16 v10, v31, v84, 0 op_sel:[0,1,0] op_sel_hi:[0,1,0]
	v_lshlrev_b32_e32 v101, 16, v23
	v_fma_mixlo_f16 v22, v31, v22, 0 op_sel_hi:[0,1,0]
	v_fma_mixlo_f16 v23, v31, v80, 0 op_sel_hi:[0,1,0]
	v_and_b32_e32 v81, 0xffff, v2
	v_fma_mixlo_f16 v2, v31, v85, 0 op_sel:[0,1,0] op_sel_hi:[0,1,0]
	v_fma_mixlo_f16 v9, v31, v9, 0 op_sel:[0,1,0] op_sel_hi:[0,1,0]
	v_fma_mixlo_f16 v31, v31, v82, 0 op_sel_hi:[0,1,0]
	v_lshlrev_b32_e32 v10, 16, v10
	v_and_b32_e32 v102, 0xffff, v22
	v_lshlrev_b32_e32 v82, 16, v2
	v_and_b32_e32 v85, 0xffff, v23
	v_lshlrev_b32_e32 v80, 16, v9
	v_and_b32_e32 v83, 0xffff, v31
	v_cmp_eq_u32_e32 vcc_lo, v6, v32
	v_or_b32_e32 v2, v10, v81
	v_or_b32_e32 v9, v101, v102
	v_or_b32_e32 v31, v82, v85
	v_or_b32_e32 v84, v80, v83
	v_or_b32_e32 v100, 1, v71
	v_or_b32_e32 v99, 2, v71
	v_or_b32_e32 v98, 3, v71
	v_or_b32_e32 v97, 4, v71
	v_or_b32_e32 v96, 5, v71
	v_or_b32_e32 v87, 6, v71
	v_or_b32_e32 v86, 7, v71
	s_and_saveexec_b32 s18, vcc_lo
	s_cbranch_execz .LBB300_1630
; %bb.1629:                             ;   in Loop: Header=BB300_1564 Depth=1
	v_cmp_lt_i32_e64 s4, v71, v30
	v_cndmask_b32_e64 v2, 0, v102, s4
	v_cmp_lt_i32_e64 s4, v100, v30
	v_cndmask_b32_e64 v9, 0, v101, s4
	v_cmp_lt_i32_e64 s4, v99, v30
	v_or_b32_e32 v9, v2, v9
	v_cndmask_b32_e64 v22, 0, v81, s4
	v_cmp_lt_i32_e64 s4, v98, v30
	v_cndmask_b32_e64 v10, 0, v10, s4
	v_cmp_lt_i32_e64 s4, v97, v30
	v_or_b32_e32 v2, v22, v10
	;; [unrolled: 5-line block ×3, first 2 shown]
	v_cndmask_b32_e64 v81, 0, v83, s4
	v_cmp_lt_i32_e64 s4, v86, v30
	v_cndmask_b32_e64 v80, 0, v80, s4
	v_or_b32_e32 v84, v81, v80
.LBB300_1630:                           ;   in Loop: Header=BB300_1564 Depth=1
	s_or_b32 exec_lo, exec_lo, s18
	v_and_b32_e32 v0, 0xffff, v0
	v_and_b32_e32 v10, 0xffff, v19
	;; [unrolled: 1-line block ×4, first 2 shown]
	v_lshl_or_b32 v83, v1, 16, v0
	;;#ASMSTART
	v_pk_mul_f16 v0, v83, v9;

	;;#ASMEND
	v_lshl_or_b32 v82, v11, 16, v10
	v_lshl_or_b32 v81, v12, 16, v19
	;; [unrolled: 1-line block ×3, first 2 shown]
	;;#ASMSTART
	v_pk_mul_f16 v1, v82, v2;

	;;#ASMEND
	;;#ASMSTART
	v_pk_mul_f16 v2, v81, v31;

	;;#ASMEND
	;; [unrolled: 4-line block ×3, first 2 shown]
	;;#ASMSTART
	v_pk_add_f16 v0, v0, v1;

	;;#ASMEND
	;;#ASMSTART
	v_pk_add_f16 v0, v0, v2;

	;;#ASMEND
	;; [unrolled: 4-line block ×3, first 2 shown]
	v_and_b32_e32 v1, 0xffff, v0
	v_lshrrev_b32_e32 v0, 16, v0
	;;#ASMSTART
	v_cvt_f32_f16 v84, v1;
	;;#ASMEND
	;;#ASMSTART
	v_cvt_f32_f16 v85, v0;
	;;#ASMEND
	flat_load_dwordx2 v[9:10], v[7:8] offset:256
	flat_load_dword v0, v[106:107]
	v_mov_b32_e32 v1, 0
	v_mov_b32_e32 v11, 0
	s_waitcnt vmcnt(1) lgkmcnt(1)
	v_cmp_ne_u16_sdwa s4, v9, v3 src0_sel:BYTE_0 src1_sel:DWORD
	s_and_saveexec_b32 s18, s4
	s_cbranch_execz .LBB300_1638
; %bb.1631:                             ;   in Loop: Header=BB300_1564 Depth=1
	v_cmp_ne_u16_sdwa s4, v9, v67 src0_sel:BYTE_0 src1_sel:DWORD
	v_mov_b32_e32 v11, 0x8000
	s_and_saveexec_b32 s19, s4
	s_cbranch_execz .LBB300_1637
; %bb.1632:                             ;   in Loop: Header=BB300_1564 Depth=1
	v_and_b32_e32 v12, 0x7f, v9
	v_mov_b32_e32 v11, 0x7c01
	s_mov_b32 s20, exec_lo
	v_cmpx_ne_u32_e32 0x7f, v12
	s_cbranch_execz .LBB300_1636
; %bb.1633:                             ;   in Loop: Header=BB300_1564 Depth=1
	v_and_b32_e32 v2, 7, v9
	v_lshrrev_b32_e32 v11, 3, v12
	s_mov_b32 s21, exec_lo
	v_cmpx_gt_u32_e32 8, v12
; %bb.1634:                             ;   in Loop: Header=BB300_1564 Depth=1
	v_ffbh_u32_e32 v2, v2
	v_min_u32_e32 v2, 32, v2
	v_subrev_nc_u32_e32 v11, 28, v2
	v_lshlrev_b64 v[18:19], v11, v[9:10]
	v_sub_nc_u32_e32 v11, 29, v2
	v_and_b32_e32 v2, 7, v18
; %bb.1635:                             ;   in Loop: Header=BB300_1564 Depth=1
	s_or_b32 exec_lo, exec_lo, s21
	v_lshlrev_b32_e32 v12, 8, v9
	v_lshl_add_u32 v11, v11, 10, 0x2000
	v_lshlrev_b32_e32 v2, 7, v2
	v_and_b32_e32 v12, 0x8000, v12
	v_and_b32_e32 v11, 0xfc00, v11
	v_or3_b32 v11, v12, v11, v2
.LBB300_1636:                           ;   in Loop: Header=BB300_1564 Depth=1
	s_or_b32 exec_lo, exec_lo, s20
.LBB300_1637:                           ;   in Loop: Header=BB300_1564 Depth=1
	s_or_b32 exec_lo, exec_lo, s19
.LBB300_1638:                           ;   in Loop: Header=BB300_1564 Depth=1
	s_or_b32 exec_lo, exec_lo, s18
	v_lshrrev_b16 v2, 8, v9
	s_mov_b32 s18, exec_lo
	v_cmpx_ne_u16_e32 0, v2
	s_cbranch_execz .LBB300_1646
; %bb.1639:                             ;   in Loop: Header=BB300_1564 Depth=1
	v_bfrev_b32_e32 v1, 1
	s_mov_b32 s19, exec_lo
	v_cmpx_ne_u16_e32 0x80, v2
	s_cbranch_execz .LBB300_1645
; %bb.1640:                             ;   in Loop: Header=BB300_1564 Depth=1
	v_and_b32_sdwa v18, v2, v68 dst_sel:DWORD dst_unused:UNUSED_PAD src0_sel:WORD_0 src1_sel:DWORD
	v_mov_b32_e32 v1, 0x7c010000
	s_mov_b32 s20, exec_lo
	v_cmpx_ne_u32_e32 0x7f, v18
	s_cbranch_execz .LBB300_1644
; %bb.1641:                             ;   in Loop: Header=BB300_1564 Depth=1
	v_and_b32_sdwa v1, v2, v69 dst_sel:DWORD dst_unused:UNUSED_PAD src0_sel:WORD_0 src1_sel:DWORD
	v_lshrrev_b32_e32 v12, 3, v18
	s_mov_b32 s21, exec_lo
	v_cmpx_gt_u32_e32 8, v18
; %bb.1642:                             ;   in Loop: Header=BB300_1564 Depth=1
	v_ffbh_u32_e32 v1, v1
	v_min_u32_e32 v1, 32, v1
	v_subrev_nc_u32_e32 v12, 28, v1
	v_lshlrev_b64 v[18:19], v12, v[2:3]
	v_sub_nc_u32_e32 v12, 29, v1
	v_and_b32_e32 v1, 7, v18
; %bb.1643:                             ;   in Loop: Header=BB300_1564 Depth=1
	s_or_b32 exec_lo, exec_lo, s21
	v_lshlrev_b32_sdwa v2, v70, v2 dst_sel:DWORD dst_unused:UNUSED_PAD src0_sel:DWORD src1_sel:WORD_0
	v_lshl_add_u32 v12, v12, 10, 0x2000
	v_lshlrev_b32_e32 v1, 23, v1
	v_and_or_b32 v2, 0x8000, v2, v12
	v_lshl_or_b32 v1, v2, 16, v1
.LBB300_1644:                           ;   in Loop: Header=BB300_1564 Depth=1
	s_or_b32 exec_lo, exec_lo, s20
.LBB300_1645:                           ;   in Loop: Header=BB300_1564 Depth=1
	s_or_b32 exec_lo, exec_lo, s19
.LBB300_1646:                           ;   in Loop: Header=BB300_1564 Depth=1
	s_or_b32 exec_lo, exec_lo, s18
	v_lshrrev_b32_e32 v2, 16, v9
	v_mov_b32_e32 v12, 0
	v_mov_b32_e32 v18, 0
	v_cmp_ne_u16_sdwa s4, v2, v3 src0_sel:BYTE_0 src1_sel:DWORD
	s_and_saveexec_b32 s18, s4
	s_cbranch_execz .LBB300_1654
; %bb.1647:                             ;   in Loop: Header=BB300_1564 Depth=1
	v_cmp_ne_u16_sdwa s4, v2, v67 src0_sel:BYTE_0 src1_sel:DWORD
	v_mov_b32_e32 v18, 0x8000
	s_and_saveexec_b32 s19, s4
	s_cbranch_execz .LBB300_1653
; %bb.1648:                             ;   in Loop: Header=BB300_1564 Depth=1
	v_bfe_u32 v28, v9, 16, 7
	v_mov_b32_e32 v18, 0x7c01
	s_mov_b32 s20, exec_lo
	v_cmpx_ne_u32_e32 0x7f, v28
	s_cbranch_execz .LBB300_1652
; %bb.1649:                             ;   in Loop: Header=BB300_1564 Depth=1
	v_and_b32_e32 v18, 7, v2
	v_lshrrev_b32_e32 v19, 3, v28
	s_mov_b32 s21, exec_lo
	v_cmpx_gt_u32_e32 8, v28
; %bb.1650:                             ;   in Loop: Header=BB300_1564 Depth=1
	v_ffbh_u32_e32 v18, v18
	v_min_u32_e32 v22, 32, v18
	v_subrev_nc_u32_e32 v18, 28, v22
	v_lshlrev_b64 v[18:19], v18, v[2:3]
	v_sub_nc_u32_e32 v19, 29, v22
	v_and_b32_e32 v18, 7, v18
; %bb.1651:                             ;   in Loop: Header=BB300_1564 Depth=1
	s_or_b32 exec_lo, exec_lo, s21
	v_lshlrev_b32_e32 v2, 8, v2
	v_lshl_add_u32 v19, v19, 10, 0x2000
	v_lshlrev_b32_e32 v18, 7, v18
	v_and_b32_e32 v2, 0x8000, v2
	v_and_b32_e32 v19, 0xfc00, v19
	v_or3_b32 v18, v2, v19, v18
.LBB300_1652:                           ;   in Loop: Header=BB300_1564 Depth=1
	s_or_b32 exec_lo, exec_lo, s20
.LBB300_1653:                           ;   in Loop: Header=BB300_1564 Depth=1
	s_or_b32 exec_lo, exec_lo, s19
.LBB300_1654:                           ;   in Loop: Header=BB300_1564 Depth=1
	s_or_b32 exec_lo, exec_lo, s18
	s_mov_b32 s18, exec_lo
	v_cmpx_lt_u32_e32 0xffffff, v9
	s_cbranch_execz .LBB300_1662
; %bb.1655:                             ;   in Loop: Header=BB300_1564 Depth=1
	v_lshrrev_b32_e32 v2, 24, v9
	v_bfrev_b32_e32 v12, 1
	s_mov_b32 s19, exec_lo
	v_cmpx_ne_u32_e32 0x80, v2
	s_cbranch_execz .LBB300_1661
; %bb.1656:                             ;   in Loop: Header=BB300_1564 Depth=1
	v_and_b32_e32 v28, 0x7f, v2
	v_mov_b32_e32 v12, 0x7c010000
	s_mov_b32 s20, exec_lo
	v_cmpx_ne_u32_e32 0x7f, v28
	s_cbranch_execz .LBB300_1660
; %bb.1657:                             ;   in Loop: Header=BB300_1564 Depth=1
	v_and_b32_e32 v12, 7, v2
	v_lshrrev_b32_e32 v19, 3, v28
	s_mov_b32 s21, exec_lo
	v_cmpx_gt_u32_e32 8, v28
; %bb.1658:                             ;   in Loop: Header=BB300_1564 Depth=1
	v_ffbh_u32_e32 v12, v12
	v_min_u32_e32 v12, 32, v12
	v_subrev_nc_u32_e32 v19, 28, v12
	v_lshlrev_b64 v[22:23], v19, v[2:3]
	v_sub_nc_u32_e32 v19, 29, v12
	v_and_b32_e32 v12, 7, v22
; %bb.1659:                             ;   in Loop: Header=BB300_1564 Depth=1
	s_or_b32 exec_lo, exec_lo, s21
	v_lshlrev_b32_e32 v2, 8, v2
	v_lshl_add_u32 v19, v19, 10, 0x2000
	v_lshlrev_b32_e32 v12, 23, v12
	v_and_or_b32 v2, 0x8000, v2, v19
	v_lshl_or_b32 v12, v2, 16, v12
.LBB300_1660:                           ;   in Loop: Header=BB300_1564 Depth=1
	s_or_b32 exec_lo, exec_lo, s20
.LBB300_1661:                           ;   in Loop: Header=BB300_1564 Depth=1
	s_or_b32 exec_lo, exec_lo, s19
.LBB300_1662:                           ;   in Loop: Header=BB300_1564 Depth=1
	s_or_b32 exec_lo, exec_lo, s18
	v_mov_b32_e32 v2, v10
	v_cmp_ne_u16_sdwa s4, v10, v3 src0_sel:BYTE_0 src1_sel:DWORD
	v_mov_b32_e32 v19, 0
	v_mov_b32_e32 v28, 0
	s_and_saveexec_b32 s18, s4
	s_cbranch_execz .LBB300_1670
; %bb.1663:                             ;   in Loop: Header=BB300_1564 Depth=1
	v_cmp_ne_u16_sdwa s4, v10, v67 src0_sel:BYTE_0 src1_sel:DWORD
	v_mov_b32_e32 v28, 0x8000
	s_and_saveexec_b32 s19, s4
	s_cbranch_execz .LBB300_1669
; %bb.1664:                             ;   in Loop: Header=BB300_1564 Depth=1
	v_and_b32_e32 v31, 0x7f, v10
	v_mov_b32_e32 v28, 0x7c01
	s_mov_b32 s20, exec_lo
	v_cmpx_ne_u32_e32 0x7f, v31
	s_cbranch_execz .LBB300_1668
; %bb.1665:                             ;   in Loop: Header=BB300_1564 Depth=1
	v_and_b32_e32 v28, 7, v10
	v_lshrrev_b32_e32 v29, 3, v31
	s_mov_b32 s21, exec_lo
	v_cmpx_gt_u32_e32 8, v31
; %bb.1666:                             ;   in Loop: Header=BB300_1564 Depth=1
	v_ffbh_u32_e32 v22, v28
	v_min_u32_e32 v28, 32, v22
	v_subrev_nc_u32_e32 v22, 28, v28
	v_sub_nc_u32_e32 v29, 29, v28
	v_lshlrev_b64 v[22:23], v22, v[2:3]
	v_and_b32_e32 v28, 7, v22
; %bb.1667:                             ;   in Loop: Header=BB300_1564 Depth=1
	s_or_b32 exec_lo, exec_lo, s21
	v_lshlrev_b32_e32 v22, 8, v10
	v_lshl_add_u32 v23, v29, 10, 0x2000
	v_lshlrev_b32_e32 v28, 7, v28
	v_and_b32_e32 v22, 0x8000, v22
	v_and_b32_e32 v23, 0xfc00, v23
	v_or3_b32 v28, v22, v23, v28
.LBB300_1668:                           ;   in Loop: Header=BB300_1564 Depth=1
	s_or_b32 exec_lo, exec_lo, s20
.LBB300_1669:                           ;   in Loop: Header=BB300_1564 Depth=1
	s_or_b32 exec_lo, exec_lo, s19
.LBB300_1670:                           ;   in Loop: Header=BB300_1564 Depth=1
	s_or_b32 exec_lo, exec_lo, s18
	v_lshrrev_b16 v2, 8, v2
	v_mov_b32_e32 v29, 0
	s_mov_b32 s18, exec_lo
	v_cmpx_ne_u16_e32 0, v2
	s_cbranch_execz .LBB300_1678
; %bb.1671:                             ;   in Loop: Header=BB300_1564 Depth=1
	v_bfrev_b32_e32 v29, 1
	s_mov_b32 s19, exec_lo
	v_cmpx_ne_u16_e32 0x80, v2
	s_cbranch_execz .LBB300_1677
; %bb.1672:                             ;   in Loop: Header=BB300_1564 Depth=1
	v_and_b32_sdwa v101, v2, v68 dst_sel:DWORD dst_unused:UNUSED_PAD src0_sel:WORD_0 src1_sel:DWORD
	v_mov_b32_e32 v29, 0x7c010000
	s_mov_b32 s20, exec_lo
	v_cmpx_ne_u32_e32 0x7f, v101
	s_cbranch_execz .LBB300_1676
; %bb.1673:                             ;   in Loop: Header=BB300_1564 Depth=1
	v_and_b32_sdwa v29, v2, v69 dst_sel:DWORD dst_unused:UNUSED_PAD src0_sel:WORD_0 src1_sel:DWORD
	v_lshrrev_b32_e32 v31, 3, v101
	s_mov_b32 s21, exec_lo
	v_cmpx_gt_u32_e32 8, v101
; %bb.1674:                             ;   in Loop: Header=BB300_1564 Depth=1
	v_ffbh_u32_e32 v22, v29
	v_min_u32_e32 v29, 32, v22
	v_subrev_nc_u32_e32 v22, 28, v29
	v_sub_nc_u32_e32 v31, 29, v29
	v_lshlrev_b64 v[22:23], v22, v[2:3]
	v_and_b32_e32 v29, 7, v22
; %bb.1675:                             ;   in Loop: Header=BB300_1564 Depth=1
	s_or_b32 exec_lo, exec_lo, s21
	v_lshlrev_b32_sdwa v2, v70, v2 dst_sel:DWORD dst_unused:UNUSED_PAD src0_sel:DWORD src1_sel:WORD_0
	v_lshl_add_u32 v22, v31, 10, 0x2000
	v_and_or_b32 v2, 0x8000, v2, v22
	v_lshlrev_b32_e32 v22, 23, v29
	v_lshl_or_b32 v29, v2, 16, v22
.LBB300_1676:                           ;   in Loop: Header=BB300_1564 Depth=1
	s_or_b32 exec_lo, exec_lo, s20
.LBB300_1677:                           ;   in Loop: Header=BB300_1564 Depth=1
	s_or_b32 exec_lo, exec_lo, s19
.LBB300_1678:                           ;   in Loop: Header=BB300_1564 Depth=1
	s_or_b32 exec_lo, exec_lo, s18
	v_lshrrev_b32_e32 v2, 16, v10
	v_cmp_ne_u16_sdwa s4, v2, v3 src0_sel:BYTE_0 src1_sel:DWORD
	s_and_saveexec_b32 s18, s4
	s_cbranch_execz .LBB300_1686
; %bb.1679:                             ;   in Loop: Header=BB300_1564 Depth=1
	v_cmp_ne_u16_sdwa s4, v2, v67 src0_sel:BYTE_0 src1_sel:DWORD
	v_mov_b32_e32 v19, 0x8000
	s_and_saveexec_b32 s19, s4
	s_cbranch_execz .LBB300_1685
; %bb.1680:                             ;   in Loop: Header=BB300_1564 Depth=1
	v_bfe_u32 v101, v10, 16, 7
	v_mov_b32_e32 v19, 0x7c01
	s_mov_b32 s20, exec_lo
	v_cmpx_ne_u32_e32 0x7f, v101
	s_cbranch_execz .LBB300_1684
; %bb.1681:                             ;   in Loop: Header=BB300_1564 Depth=1
	v_and_b32_e32 v19, 7, v2
	v_lshrrev_b32_e32 v31, 3, v101
	s_mov_b32 s21, exec_lo
	v_cmpx_gt_u32_e32 8, v101
; %bb.1682:                             ;   in Loop: Header=BB300_1564 Depth=1
	v_ffbh_u32_e32 v19, v19
	v_min_u32_e32 v19, 32, v19
	v_subrev_nc_u32_e32 v22, 28, v19
	v_sub_nc_u32_e32 v31, 29, v19
	v_lshlrev_b64 v[22:23], v22, v[2:3]
	v_and_b32_e32 v19, 7, v22
; %bb.1683:                             ;   in Loop: Header=BB300_1564 Depth=1
	s_or_b32 exec_lo, exec_lo, s21
	v_lshlrev_b32_e32 v2, 8, v2
	v_lshl_add_u32 v22, v31, 10, 0x2000
	v_lshlrev_b32_e32 v19, 7, v19
	v_and_b32_e32 v2, 0x8000, v2
	v_and_b32_e32 v22, 0xfc00, v22
	v_or3_b32 v19, v2, v22, v19
.LBB300_1684:                           ;   in Loop: Header=BB300_1564 Depth=1
	s_or_b32 exec_lo, exec_lo, s20
.LBB300_1685:                           ;   in Loop: Header=BB300_1564 Depth=1
	s_or_b32 exec_lo, exec_lo, s19
.LBB300_1686:                           ;   in Loop: Header=BB300_1564 Depth=1
	s_or_b32 exec_lo, exec_lo, s18
	v_cmp_lt_u64_e64 s4, s[6:7], v[9:10]
	v_mov_b32_e32 v9, 0
	s_and_saveexec_b32 s18, s4
	s_cbranch_execz .LBB300_1694
; %bb.1687:                             ;   in Loop: Header=BB300_1564 Depth=1
	v_lshrrev_b32_e32 v2, 24, v10
	v_bfrev_b32_e32 v9, 1
	s_mov_b32 s19, exec_lo
	v_cmpx_ne_u32_e32 0x80, v2
	s_cbranch_execz .LBB300_1693
; %bb.1688:                             ;   in Loop: Header=BB300_1564 Depth=1
	v_and_b32_e32 v31, 0x7f, v2
	v_mov_b32_e32 v9, 0x7c010000
	s_mov_b32 s20, exec_lo
	v_cmpx_ne_u32_e32 0x7f, v31
	s_cbranch_execz .LBB300_1692
; %bb.1689:                             ;   in Loop: Header=BB300_1564 Depth=1
	v_and_b32_e32 v9, 7, v2
	v_lshrrev_b32_e32 v10, 3, v31
	s_mov_b32 s21, exec_lo
	v_cmpx_gt_u32_e32 8, v31
; %bb.1690:                             ;   in Loop: Header=BB300_1564 Depth=1
	v_ffbh_u32_e32 v9, v9
	v_min_u32_e32 v22, 32, v9
	v_subrev_nc_u32_e32 v9, 28, v22
	v_lshlrev_b64 v[9:10], v9, v[2:3]
	v_sub_nc_u32_e32 v10, 29, v22
	v_and_b32_e32 v9, 7, v9
; %bb.1691:                             ;   in Loop: Header=BB300_1564 Depth=1
	s_or_b32 exec_lo, exec_lo, s21
	v_lshlrev_b32_e32 v2, 8, v2
	v_lshl_add_u32 v10, v10, 10, 0x2000
	v_lshlrev_b32_e32 v9, 23, v9
	v_and_or_b32 v2, 0x8000, v2, v10
	v_lshl_or_b32 v9, v2, 16, v9
.LBB300_1692:                           ;   in Loop: Header=BB300_1564 Depth=1
	s_or_b32 exec_lo, exec_lo, s20
.LBB300_1693:                           ;   in Loop: Header=BB300_1564 Depth=1
	s_or_b32 exec_lo, exec_lo, s19
.LBB300_1694:                           ;   in Loop: Header=BB300_1564 Depth=1
	s_or_b32 exec_lo, exec_lo, s18
	v_or_b32_e32 v2, v12, v18
	s_waitcnt vmcnt(0) lgkmcnt(0)
	v_fma_mixlo_f16 v10, v0, v12, 0 op_sel:[0,1,0] op_sel_hi:[0,1,0]
	v_or_b32_e32 v12, v1, v11
	v_or_b32_e32 v18, v29, v28
	;; [unrolled: 1-line block ×3, first 2 shown]
	v_fma_mixlo_f16 v11, v0, v1, 0 op_sel:[0,1,0] op_sel_hi:[0,1,0]
	v_fma_mixlo_f16 v2, v0, v2, 0 op_sel_hi:[0,1,0]
	v_lshlrev_b32_e32 v1, 16, v10
	v_fma_mixlo_f16 v10, v0, v12, 0 op_sel_hi:[0,1,0]
	v_fma_mixlo_f16 v12, v0, v29, 0 op_sel:[0,1,0] op_sel_hi:[0,1,0]
	v_fma_mixlo_f16 v18, v0, v18, 0 op_sel_hi:[0,1,0]
	v_fma_mixlo_f16 v22, v0, v9, 0 op_sel:[0,1,0] op_sel_hi:[0,1,0]
	v_fma_mixlo_f16 v19, v0, v19, 0 op_sel_hi:[0,1,0]
	v_lshlrev_b32_e32 v11, 16, v11
	v_and_b32_e32 v2, 0xffff, v2
	v_and_b32_e32 v31, 0xffff, v10
	v_lshlrev_b32_e32 v9, 16, v12
	v_and_b32_e32 v18, 0xffff, v18
	v_lshlrev_b32_e32 v0, 16, v22
	v_and_b32_e32 v10, 0xffff, v19
	v_or_b32_e32 v12, v1, v2
	v_or_b32_e32 v29, v11, v31
	;; [unrolled: 1-line block ×4, first 2 shown]
	s_and_saveexec_b32 s18, vcc_lo
	s_cbranch_execz .LBB300_1696
; %bb.1695:                             ;   in Loop: Header=BB300_1564 Depth=1
	v_cmp_lt_i32_e64 s4, v71, v30
	v_cndmask_b32_e64 v12, 0, v31, s4
	v_cmp_lt_i32_e64 s4, v100, v30
	v_cndmask_b32_e64 v11, 0, v11, s4
	v_cmp_lt_i32_e64 s4, v99, v30
	v_or_b32_e32 v29, v12, v11
	v_cndmask_b32_e64 v2, 0, v2, s4
	v_cmp_lt_i32_e64 s4, v98, v30
	v_cndmask_b32_e64 v1, 0, v1, s4
	v_cmp_lt_i32_e64 s4, v97, v30
	v_or_b32_e32 v12, v2, v1
	;; [unrolled: 5-line block ×3, first 2 shown]
	v_cndmask_b32_e64 v10, 0, v10, s4
	v_cmp_lt_i32_e64 s4, v86, v30
	v_cndmask_b32_e64 v0, 0, v0, s4
	v_or_b32_e32 v19, v10, v0
.LBB300_1696:                           ;   in Loop: Header=BB300_1564 Depth=1
	s_or_b32 exec_lo, exec_lo, s18
	;;#ASMSTART
	v_pk_mul_f16 v0, v83, v29;

	;;#ASMEND
	;;#ASMSTART
	v_pk_mul_f16 v1, v82, v12;

	;;#ASMEND
	;;#ASMSTART
	v_pk_mul_f16 v2, v81, v28;

	;;#ASMEND
	;;#ASMSTART
	v_pk_mul_f16 v9, v80, v19;

	;;#ASMEND
	;;#ASMSTART
	v_pk_add_f16 v0, v0, v1;

	;;#ASMEND
	;;#ASMSTART
	v_pk_add_f16 v0, v0, v2;

	;;#ASMEND
	;; [unrolled: 4-line block ×3, first 2 shown]
	v_and_b32_e32 v1, 0xffff, v0
	v_lshrrev_b32_e32 v0, 16, v0
	;;#ASMSTART
	v_cvt_f32_f16 v101, v1;
	;;#ASMEND
	;;#ASMSTART
	v_cvt_f32_f16 v102, v0;
	;;#ASMEND
	flat_load_dwordx2 v[9:10], v[7:8] offset:512
	flat_load_dword v0, v[106:107]
	v_mov_b32_e32 v1, 0
	v_mov_b32_e32 v11, 0
	s_waitcnt vmcnt(1) lgkmcnt(1)
	v_cmp_ne_u16_sdwa s4, v9, v3 src0_sel:BYTE_0 src1_sel:DWORD
	s_and_saveexec_b32 s18, s4
	s_cbranch_execz .LBB300_1704
; %bb.1697:                             ;   in Loop: Header=BB300_1564 Depth=1
	v_cmp_ne_u16_sdwa s4, v9, v67 src0_sel:BYTE_0 src1_sel:DWORD
	v_mov_b32_e32 v11, 0x8000
	s_and_saveexec_b32 s19, s4
	s_cbranch_execz .LBB300_1703
; %bb.1698:                             ;   in Loop: Header=BB300_1564 Depth=1
	v_and_b32_e32 v12, 0x7f, v9
	v_mov_b32_e32 v11, 0x7c01
	s_mov_b32 s20, exec_lo
	v_cmpx_ne_u32_e32 0x7f, v12
	s_cbranch_execz .LBB300_1702
; %bb.1699:                             ;   in Loop: Header=BB300_1564 Depth=1
	v_and_b32_e32 v2, 7, v9
	v_lshrrev_b32_e32 v11, 3, v12
	s_mov_b32 s21, exec_lo
	v_cmpx_gt_u32_e32 8, v12
; %bb.1700:                             ;   in Loop: Header=BB300_1564 Depth=1
	v_ffbh_u32_e32 v2, v2
	v_min_u32_e32 v2, 32, v2
	v_subrev_nc_u32_e32 v11, 28, v2
	v_lshlrev_b64 v[18:19], v11, v[9:10]
	v_sub_nc_u32_e32 v11, 29, v2
	v_and_b32_e32 v2, 7, v18
; %bb.1701:                             ;   in Loop: Header=BB300_1564 Depth=1
	s_or_b32 exec_lo, exec_lo, s21
	v_lshlrev_b32_e32 v12, 8, v9
	v_lshl_add_u32 v11, v11, 10, 0x2000
	v_lshlrev_b32_e32 v2, 7, v2
	v_and_b32_e32 v12, 0x8000, v12
	v_and_b32_e32 v11, 0xfc00, v11
	v_or3_b32 v11, v12, v11, v2
.LBB300_1702:                           ;   in Loop: Header=BB300_1564 Depth=1
	s_or_b32 exec_lo, exec_lo, s20
.LBB300_1703:                           ;   in Loop: Header=BB300_1564 Depth=1
	s_or_b32 exec_lo, exec_lo, s19
.LBB300_1704:                           ;   in Loop: Header=BB300_1564 Depth=1
	s_or_b32 exec_lo, exec_lo, s18
	v_lshrrev_b16 v2, 8, v9
	s_mov_b32 s18, exec_lo
	v_cmpx_ne_u16_e32 0, v2
	s_cbranch_execz .LBB300_1712
; %bb.1705:                             ;   in Loop: Header=BB300_1564 Depth=1
	v_bfrev_b32_e32 v1, 1
	s_mov_b32 s19, exec_lo
	v_cmpx_ne_u16_e32 0x80, v2
	s_cbranch_execz .LBB300_1711
; %bb.1706:                             ;   in Loop: Header=BB300_1564 Depth=1
	v_and_b32_sdwa v18, v2, v68 dst_sel:DWORD dst_unused:UNUSED_PAD src0_sel:WORD_0 src1_sel:DWORD
	v_mov_b32_e32 v1, 0x7c010000
	s_mov_b32 s20, exec_lo
	v_cmpx_ne_u32_e32 0x7f, v18
	s_cbranch_execz .LBB300_1710
; %bb.1707:                             ;   in Loop: Header=BB300_1564 Depth=1
	v_and_b32_sdwa v1, v2, v69 dst_sel:DWORD dst_unused:UNUSED_PAD src0_sel:WORD_0 src1_sel:DWORD
	v_lshrrev_b32_e32 v12, 3, v18
	s_mov_b32 s21, exec_lo
	v_cmpx_gt_u32_e32 8, v18
; %bb.1708:                             ;   in Loop: Header=BB300_1564 Depth=1
	v_ffbh_u32_e32 v1, v1
	v_min_u32_e32 v1, 32, v1
	v_subrev_nc_u32_e32 v12, 28, v1
	v_lshlrev_b64 v[18:19], v12, v[2:3]
	v_sub_nc_u32_e32 v12, 29, v1
	v_and_b32_e32 v1, 7, v18
; %bb.1709:                             ;   in Loop: Header=BB300_1564 Depth=1
	s_or_b32 exec_lo, exec_lo, s21
	v_lshlrev_b32_sdwa v2, v70, v2 dst_sel:DWORD dst_unused:UNUSED_PAD src0_sel:DWORD src1_sel:WORD_0
	v_lshl_add_u32 v12, v12, 10, 0x2000
	v_lshlrev_b32_e32 v1, 23, v1
	v_and_or_b32 v2, 0x8000, v2, v12
	v_lshl_or_b32 v1, v2, 16, v1
.LBB300_1710:                           ;   in Loop: Header=BB300_1564 Depth=1
	s_or_b32 exec_lo, exec_lo, s20
.LBB300_1711:                           ;   in Loop: Header=BB300_1564 Depth=1
	s_or_b32 exec_lo, exec_lo, s19
.LBB300_1712:                           ;   in Loop: Header=BB300_1564 Depth=1
	s_or_b32 exec_lo, exec_lo, s18
	v_lshrrev_b32_e32 v2, 16, v9
	v_mov_b32_e32 v12, 0
	v_mov_b32_e32 v18, 0
	v_cmp_ne_u16_sdwa s4, v2, v3 src0_sel:BYTE_0 src1_sel:DWORD
	s_and_saveexec_b32 s18, s4
	s_cbranch_execz .LBB300_1720
; %bb.1713:                             ;   in Loop: Header=BB300_1564 Depth=1
	v_cmp_ne_u16_sdwa s4, v2, v67 src0_sel:BYTE_0 src1_sel:DWORD
	v_mov_b32_e32 v18, 0x8000
	s_and_saveexec_b32 s19, s4
	s_cbranch_execz .LBB300_1719
; %bb.1714:                             ;   in Loop: Header=BB300_1564 Depth=1
	v_bfe_u32 v28, v9, 16, 7
	v_mov_b32_e32 v18, 0x7c01
	s_mov_b32 s20, exec_lo
	v_cmpx_ne_u32_e32 0x7f, v28
	s_cbranch_execz .LBB300_1718
; %bb.1715:                             ;   in Loop: Header=BB300_1564 Depth=1
	v_and_b32_e32 v18, 7, v2
	v_lshrrev_b32_e32 v19, 3, v28
	s_mov_b32 s21, exec_lo
	v_cmpx_gt_u32_e32 8, v28
; %bb.1716:                             ;   in Loop: Header=BB300_1564 Depth=1
	v_ffbh_u32_e32 v18, v18
	v_min_u32_e32 v22, 32, v18
	v_subrev_nc_u32_e32 v18, 28, v22
	v_lshlrev_b64 v[18:19], v18, v[2:3]
	v_sub_nc_u32_e32 v19, 29, v22
	v_and_b32_e32 v18, 7, v18
; %bb.1717:                             ;   in Loop: Header=BB300_1564 Depth=1
	s_or_b32 exec_lo, exec_lo, s21
	v_lshlrev_b32_e32 v2, 8, v2
	v_lshl_add_u32 v19, v19, 10, 0x2000
	v_lshlrev_b32_e32 v18, 7, v18
	v_and_b32_e32 v2, 0x8000, v2
	v_and_b32_e32 v19, 0xfc00, v19
	v_or3_b32 v18, v2, v19, v18
.LBB300_1718:                           ;   in Loop: Header=BB300_1564 Depth=1
	s_or_b32 exec_lo, exec_lo, s20
.LBB300_1719:                           ;   in Loop: Header=BB300_1564 Depth=1
	s_or_b32 exec_lo, exec_lo, s19
.LBB300_1720:                           ;   in Loop: Header=BB300_1564 Depth=1
	s_or_b32 exec_lo, exec_lo, s18
	s_mov_b32 s18, exec_lo
	v_cmpx_lt_u32_e32 0xffffff, v9
	s_cbranch_execz .LBB300_1728
; %bb.1721:                             ;   in Loop: Header=BB300_1564 Depth=1
	v_lshrrev_b32_e32 v2, 24, v9
	v_bfrev_b32_e32 v12, 1
	s_mov_b32 s19, exec_lo
	v_cmpx_ne_u32_e32 0x80, v2
	s_cbranch_execz .LBB300_1727
; %bb.1722:                             ;   in Loop: Header=BB300_1564 Depth=1
	v_and_b32_e32 v28, 0x7f, v2
	v_mov_b32_e32 v12, 0x7c010000
	s_mov_b32 s20, exec_lo
	v_cmpx_ne_u32_e32 0x7f, v28
	s_cbranch_execz .LBB300_1726
; %bb.1723:                             ;   in Loop: Header=BB300_1564 Depth=1
	v_and_b32_e32 v12, 7, v2
	v_lshrrev_b32_e32 v19, 3, v28
	s_mov_b32 s21, exec_lo
	v_cmpx_gt_u32_e32 8, v28
; %bb.1724:                             ;   in Loop: Header=BB300_1564 Depth=1
	v_ffbh_u32_e32 v12, v12
	v_min_u32_e32 v12, 32, v12
	v_subrev_nc_u32_e32 v19, 28, v12
	v_lshlrev_b64 v[22:23], v19, v[2:3]
	v_sub_nc_u32_e32 v19, 29, v12
	v_and_b32_e32 v12, 7, v22
; %bb.1725:                             ;   in Loop: Header=BB300_1564 Depth=1
	s_or_b32 exec_lo, exec_lo, s21
	v_lshlrev_b32_e32 v2, 8, v2
	v_lshl_add_u32 v19, v19, 10, 0x2000
	v_lshlrev_b32_e32 v12, 23, v12
	v_and_or_b32 v2, 0x8000, v2, v19
	v_lshl_or_b32 v12, v2, 16, v12
.LBB300_1726:                           ;   in Loop: Header=BB300_1564 Depth=1
	s_or_b32 exec_lo, exec_lo, s20
.LBB300_1727:                           ;   in Loop: Header=BB300_1564 Depth=1
	s_or_b32 exec_lo, exec_lo, s19
.LBB300_1728:                           ;   in Loop: Header=BB300_1564 Depth=1
	s_or_b32 exec_lo, exec_lo, s18
	v_mov_b32_e32 v2, v10
	v_cmp_ne_u16_sdwa s4, v10, v3 src0_sel:BYTE_0 src1_sel:DWORD
	v_mov_b32_e32 v19, 0
	v_mov_b32_e32 v28, 0
	s_and_saveexec_b32 s18, s4
	s_cbranch_execz .LBB300_1736
; %bb.1729:                             ;   in Loop: Header=BB300_1564 Depth=1
	v_cmp_ne_u16_sdwa s4, v10, v67 src0_sel:BYTE_0 src1_sel:DWORD
	v_mov_b32_e32 v28, 0x8000
	s_and_saveexec_b32 s19, s4
	s_cbranch_execz .LBB300_1735
; %bb.1730:                             ;   in Loop: Header=BB300_1564 Depth=1
	v_and_b32_e32 v31, 0x7f, v10
	v_mov_b32_e32 v28, 0x7c01
	s_mov_b32 s20, exec_lo
	v_cmpx_ne_u32_e32 0x7f, v31
	s_cbranch_execz .LBB300_1734
; %bb.1731:                             ;   in Loop: Header=BB300_1564 Depth=1
	v_and_b32_e32 v28, 7, v10
	v_lshrrev_b32_e32 v29, 3, v31
	s_mov_b32 s21, exec_lo
	v_cmpx_gt_u32_e32 8, v31
; %bb.1732:                             ;   in Loop: Header=BB300_1564 Depth=1
	v_ffbh_u32_e32 v22, v28
	v_min_u32_e32 v28, 32, v22
	v_subrev_nc_u32_e32 v22, 28, v28
	v_sub_nc_u32_e32 v29, 29, v28
	v_lshlrev_b64 v[22:23], v22, v[2:3]
	v_and_b32_e32 v28, 7, v22
; %bb.1733:                             ;   in Loop: Header=BB300_1564 Depth=1
	s_or_b32 exec_lo, exec_lo, s21
	v_lshlrev_b32_e32 v22, 8, v10
	v_lshl_add_u32 v23, v29, 10, 0x2000
	v_lshlrev_b32_e32 v28, 7, v28
	v_and_b32_e32 v22, 0x8000, v22
	v_and_b32_e32 v23, 0xfc00, v23
	v_or3_b32 v28, v22, v23, v28
.LBB300_1734:                           ;   in Loop: Header=BB300_1564 Depth=1
	s_or_b32 exec_lo, exec_lo, s20
.LBB300_1735:                           ;   in Loop: Header=BB300_1564 Depth=1
	s_or_b32 exec_lo, exec_lo, s19
.LBB300_1736:                           ;   in Loop: Header=BB300_1564 Depth=1
	s_or_b32 exec_lo, exec_lo, s18
	v_lshrrev_b16 v2, 8, v2
	v_mov_b32_e32 v29, 0
	s_mov_b32 s18, exec_lo
	v_cmpx_ne_u16_e32 0, v2
	s_cbranch_execz .LBB300_1744
; %bb.1737:                             ;   in Loop: Header=BB300_1564 Depth=1
	v_bfrev_b32_e32 v29, 1
	s_mov_b32 s19, exec_lo
	v_cmpx_ne_u16_e32 0x80, v2
	s_cbranch_execz .LBB300_1743
; %bb.1738:                             ;   in Loop: Header=BB300_1564 Depth=1
	v_and_b32_sdwa v103, v2, v68 dst_sel:DWORD dst_unused:UNUSED_PAD src0_sel:WORD_0 src1_sel:DWORD
	v_mov_b32_e32 v29, 0x7c010000
	s_mov_b32 s20, exec_lo
	v_cmpx_ne_u32_e32 0x7f, v103
	s_cbranch_execz .LBB300_1742
; %bb.1739:                             ;   in Loop: Header=BB300_1564 Depth=1
	v_and_b32_sdwa v29, v2, v69 dst_sel:DWORD dst_unused:UNUSED_PAD src0_sel:WORD_0 src1_sel:DWORD
	v_lshrrev_b32_e32 v31, 3, v103
	s_mov_b32 s21, exec_lo
	v_cmpx_gt_u32_e32 8, v103
; %bb.1740:                             ;   in Loop: Header=BB300_1564 Depth=1
	v_ffbh_u32_e32 v22, v29
	v_min_u32_e32 v29, 32, v22
	v_subrev_nc_u32_e32 v22, 28, v29
	v_sub_nc_u32_e32 v31, 29, v29
	v_lshlrev_b64 v[22:23], v22, v[2:3]
	v_and_b32_e32 v29, 7, v22
; %bb.1741:                             ;   in Loop: Header=BB300_1564 Depth=1
	s_or_b32 exec_lo, exec_lo, s21
	v_lshlrev_b32_sdwa v2, v70, v2 dst_sel:DWORD dst_unused:UNUSED_PAD src0_sel:DWORD src1_sel:WORD_0
	v_lshl_add_u32 v22, v31, 10, 0x2000
	v_and_or_b32 v2, 0x8000, v2, v22
	v_lshlrev_b32_e32 v22, 23, v29
	v_lshl_or_b32 v29, v2, 16, v22
.LBB300_1742:                           ;   in Loop: Header=BB300_1564 Depth=1
	s_or_b32 exec_lo, exec_lo, s20
.LBB300_1743:                           ;   in Loop: Header=BB300_1564 Depth=1
	s_or_b32 exec_lo, exec_lo, s19
.LBB300_1744:                           ;   in Loop: Header=BB300_1564 Depth=1
	s_or_b32 exec_lo, exec_lo, s18
	v_lshrrev_b32_e32 v2, 16, v10
	v_cmp_ne_u16_sdwa s4, v2, v3 src0_sel:BYTE_0 src1_sel:DWORD
	s_and_saveexec_b32 s18, s4
	s_cbranch_execz .LBB300_1752
; %bb.1745:                             ;   in Loop: Header=BB300_1564 Depth=1
	v_cmp_ne_u16_sdwa s4, v2, v67 src0_sel:BYTE_0 src1_sel:DWORD
	v_mov_b32_e32 v19, 0x8000
	s_and_saveexec_b32 s19, s4
	s_cbranch_execz .LBB300_1751
; %bb.1746:                             ;   in Loop: Header=BB300_1564 Depth=1
	v_bfe_u32 v103, v10, 16, 7
	v_mov_b32_e32 v19, 0x7c01
	s_mov_b32 s20, exec_lo
	v_cmpx_ne_u32_e32 0x7f, v103
	s_cbranch_execz .LBB300_1750
; %bb.1747:                             ;   in Loop: Header=BB300_1564 Depth=1
	v_and_b32_e32 v19, 7, v2
	v_lshrrev_b32_e32 v31, 3, v103
	s_mov_b32 s21, exec_lo
	v_cmpx_gt_u32_e32 8, v103
; %bb.1748:                             ;   in Loop: Header=BB300_1564 Depth=1
	v_ffbh_u32_e32 v19, v19
	v_min_u32_e32 v19, 32, v19
	v_subrev_nc_u32_e32 v22, 28, v19
	v_sub_nc_u32_e32 v31, 29, v19
	v_lshlrev_b64 v[22:23], v22, v[2:3]
	v_and_b32_e32 v19, 7, v22
; %bb.1749:                             ;   in Loop: Header=BB300_1564 Depth=1
	s_or_b32 exec_lo, exec_lo, s21
	v_lshlrev_b32_e32 v2, 8, v2
	v_lshl_add_u32 v22, v31, 10, 0x2000
	v_lshlrev_b32_e32 v19, 7, v19
	v_and_b32_e32 v2, 0x8000, v2
	v_and_b32_e32 v22, 0xfc00, v22
	v_or3_b32 v19, v2, v22, v19
.LBB300_1750:                           ;   in Loop: Header=BB300_1564 Depth=1
	s_or_b32 exec_lo, exec_lo, s20
.LBB300_1751:                           ;   in Loop: Header=BB300_1564 Depth=1
	s_or_b32 exec_lo, exec_lo, s19
.LBB300_1752:                           ;   in Loop: Header=BB300_1564 Depth=1
	s_or_b32 exec_lo, exec_lo, s18
	v_cmp_lt_u64_e64 s4, s[6:7], v[9:10]
	v_mov_b32_e32 v9, 0
	s_and_saveexec_b32 s18, s4
	s_cbranch_execz .LBB300_1760
; %bb.1753:                             ;   in Loop: Header=BB300_1564 Depth=1
	v_lshrrev_b32_e32 v2, 24, v10
	v_bfrev_b32_e32 v9, 1
	s_mov_b32 s19, exec_lo
	v_cmpx_ne_u32_e32 0x80, v2
	s_cbranch_execz .LBB300_1759
; %bb.1754:                             ;   in Loop: Header=BB300_1564 Depth=1
	v_and_b32_e32 v31, 0x7f, v2
	v_mov_b32_e32 v9, 0x7c010000
	s_mov_b32 s20, exec_lo
	v_cmpx_ne_u32_e32 0x7f, v31
	s_cbranch_execz .LBB300_1758
; %bb.1755:                             ;   in Loop: Header=BB300_1564 Depth=1
	v_and_b32_e32 v9, 7, v2
	v_lshrrev_b32_e32 v10, 3, v31
	s_mov_b32 s21, exec_lo
	v_cmpx_gt_u32_e32 8, v31
; %bb.1756:                             ;   in Loop: Header=BB300_1564 Depth=1
	v_ffbh_u32_e32 v9, v9
	v_min_u32_e32 v22, 32, v9
	v_subrev_nc_u32_e32 v9, 28, v22
	v_lshlrev_b64 v[9:10], v9, v[2:3]
	v_sub_nc_u32_e32 v10, 29, v22
	v_and_b32_e32 v9, 7, v9
; %bb.1757:                             ;   in Loop: Header=BB300_1564 Depth=1
	s_or_b32 exec_lo, exec_lo, s21
	v_lshlrev_b32_e32 v2, 8, v2
	v_lshl_add_u32 v10, v10, 10, 0x2000
	v_lshlrev_b32_e32 v9, 23, v9
	v_and_or_b32 v2, 0x8000, v2, v10
	v_lshl_or_b32 v9, v2, 16, v9
.LBB300_1758:                           ;   in Loop: Header=BB300_1564 Depth=1
	s_or_b32 exec_lo, exec_lo, s20
.LBB300_1759:                           ;   in Loop: Header=BB300_1564 Depth=1
	s_or_b32 exec_lo, exec_lo, s19
.LBB300_1760:                           ;   in Loop: Header=BB300_1564 Depth=1
	s_or_b32 exec_lo, exec_lo, s18
	v_or_b32_e32 v2, v12, v18
	s_waitcnt vmcnt(0) lgkmcnt(0)
	v_fma_mixlo_f16 v10, v0, v12, 0 op_sel:[0,1,0] op_sel_hi:[0,1,0]
	v_or_b32_e32 v12, v1, v11
	v_or_b32_e32 v18, v29, v28
	;; [unrolled: 1-line block ×3, first 2 shown]
	v_fma_mixlo_f16 v11, v0, v1, 0 op_sel:[0,1,0] op_sel_hi:[0,1,0]
	v_fma_mixlo_f16 v2, v0, v2, 0 op_sel_hi:[0,1,0]
	v_lshlrev_b32_e32 v1, 16, v10
	v_fma_mixlo_f16 v10, v0, v12, 0 op_sel_hi:[0,1,0]
	v_fma_mixlo_f16 v12, v0, v29, 0 op_sel:[0,1,0] op_sel_hi:[0,1,0]
	v_fma_mixlo_f16 v18, v0, v18, 0 op_sel_hi:[0,1,0]
	v_fma_mixlo_f16 v22, v0, v9, 0 op_sel:[0,1,0] op_sel_hi:[0,1,0]
	v_fma_mixlo_f16 v19, v0, v19, 0 op_sel_hi:[0,1,0]
	v_lshlrev_b32_e32 v11, 16, v11
	v_and_b32_e32 v2, 0xffff, v2
	v_and_b32_e32 v31, 0xffff, v10
	v_lshlrev_b32_e32 v9, 16, v12
	v_and_b32_e32 v18, 0xffff, v18
	v_lshlrev_b32_e32 v0, 16, v22
	v_and_b32_e32 v10, 0xffff, v19
	v_or_b32_e32 v12, v1, v2
	v_or_b32_e32 v29, v11, v31
	;; [unrolled: 1-line block ×4, first 2 shown]
	s_and_saveexec_b32 s18, vcc_lo
	s_cbranch_execz .LBB300_1762
; %bb.1761:                             ;   in Loop: Header=BB300_1564 Depth=1
	v_cmp_lt_i32_e64 s4, v71, v30
	v_cndmask_b32_e64 v12, 0, v31, s4
	v_cmp_lt_i32_e64 s4, v100, v30
	v_cndmask_b32_e64 v11, 0, v11, s4
	v_cmp_lt_i32_e64 s4, v99, v30
	v_or_b32_e32 v29, v12, v11
	v_cndmask_b32_e64 v2, 0, v2, s4
	v_cmp_lt_i32_e64 s4, v98, v30
	v_cndmask_b32_e64 v1, 0, v1, s4
	v_cmp_lt_i32_e64 s4, v97, v30
	v_or_b32_e32 v12, v2, v1
	;; [unrolled: 5-line block ×3, first 2 shown]
	v_cndmask_b32_e64 v10, 0, v10, s4
	v_cmp_lt_i32_e64 s4, v86, v30
	v_cndmask_b32_e64 v0, 0, v0, s4
	v_or_b32_e32 v19, v10, v0
.LBB300_1762:                           ;   in Loop: Header=BB300_1564 Depth=1
	s_or_b32 exec_lo, exec_lo, s18
	;;#ASMSTART
	v_pk_mul_f16 v0, v83, v29;

	;;#ASMEND
	;;#ASMSTART
	v_pk_mul_f16 v1, v82, v12;

	;;#ASMEND
	;; [unrolled: 4-line block ×4, first 2 shown]
	;;#ASMSTART
	v_pk_add_f16 v0, v0, v1;

	;;#ASMEND
	;;#ASMSTART
	v_pk_add_f16 v0, v0, v2;

	;;#ASMEND
	;; [unrolled: 4-line block ×3, first 2 shown]
	v_and_b32_e32 v1, 0xffff, v0
	v_lshrrev_b32_e32 v0, 16, v0
	;;#ASMSTART
	v_cvt_f32_f16 v103, v1;
	;;#ASMEND
	;;#ASMSTART
	v_cvt_f32_f16 v112, v0;
	;;#ASMEND
	flat_load_dwordx2 v[9:10], v[7:8] offset:768
	flat_load_dword v0, v[106:107]
	v_mov_b32_e32 v1, 0
	v_mov_b32_e32 v11, 0
	s_waitcnt vmcnt(1) lgkmcnt(1)
	v_cmp_ne_u16_sdwa s4, v9, v3 src0_sel:BYTE_0 src1_sel:DWORD
	s_and_saveexec_b32 s18, s4
	s_cbranch_execz .LBB300_1770
; %bb.1763:                             ;   in Loop: Header=BB300_1564 Depth=1
	v_cmp_ne_u16_sdwa s4, v9, v67 src0_sel:BYTE_0 src1_sel:DWORD
	v_mov_b32_e32 v11, 0x8000
	s_and_saveexec_b32 s19, s4
	s_cbranch_execz .LBB300_1769
; %bb.1764:                             ;   in Loop: Header=BB300_1564 Depth=1
	v_and_b32_e32 v12, 0x7f, v9
	v_mov_b32_e32 v11, 0x7c01
	s_mov_b32 s20, exec_lo
	v_cmpx_ne_u32_e32 0x7f, v12
	s_cbranch_execz .LBB300_1768
; %bb.1765:                             ;   in Loop: Header=BB300_1564 Depth=1
	v_and_b32_e32 v2, 7, v9
	v_lshrrev_b32_e32 v11, 3, v12
	s_mov_b32 s21, exec_lo
	v_cmpx_gt_u32_e32 8, v12
; %bb.1766:                             ;   in Loop: Header=BB300_1564 Depth=1
	v_ffbh_u32_e32 v2, v2
	v_min_u32_e32 v2, 32, v2
	v_subrev_nc_u32_e32 v11, 28, v2
	v_lshlrev_b64 v[18:19], v11, v[9:10]
	v_sub_nc_u32_e32 v11, 29, v2
	v_and_b32_e32 v2, 7, v18
; %bb.1767:                             ;   in Loop: Header=BB300_1564 Depth=1
	s_or_b32 exec_lo, exec_lo, s21
	v_lshlrev_b32_e32 v12, 8, v9
	v_lshl_add_u32 v11, v11, 10, 0x2000
	v_lshlrev_b32_e32 v2, 7, v2
	v_and_b32_e32 v12, 0x8000, v12
	v_and_b32_e32 v11, 0xfc00, v11
	v_or3_b32 v11, v12, v11, v2
.LBB300_1768:                           ;   in Loop: Header=BB300_1564 Depth=1
	s_or_b32 exec_lo, exec_lo, s20
.LBB300_1769:                           ;   in Loop: Header=BB300_1564 Depth=1
	s_or_b32 exec_lo, exec_lo, s19
.LBB300_1770:                           ;   in Loop: Header=BB300_1564 Depth=1
	s_or_b32 exec_lo, exec_lo, s18
	v_lshrrev_b16 v2, 8, v9
	s_mov_b32 s18, exec_lo
	v_cmpx_ne_u16_e32 0, v2
	s_cbranch_execz .LBB300_1778
; %bb.1771:                             ;   in Loop: Header=BB300_1564 Depth=1
	v_bfrev_b32_e32 v1, 1
	s_mov_b32 s19, exec_lo
	v_cmpx_ne_u16_e32 0x80, v2
	s_cbranch_execz .LBB300_1777
; %bb.1772:                             ;   in Loop: Header=BB300_1564 Depth=1
	v_and_b32_sdwa v18, v2, v68 dst_sel:DWORD dst_unused:UNUSED_PAD src0_sel:WORD_0 src1_sel:DWORD
	v_mov_b32_e32 v1, 0x7c010000
	s_mov_b32 s20, exec_lo
	v_cmpx_ne_u32_e32 0x7f, v18
	s_cbranch_execz .LBB300_1776
; %bb.1773:                             ;   in Loop: Header=BB300_1564 Depth=1
	v_and_b32_sdwa v1, v2, v69 dst_sel:DWORD dst_unused:UNUSED_PAD src0_sel:WORD_0 src1_sel:DWORD
	v_lshrrev_b32_e32 v12, 3, v18
	s_mov_b32 s21, exec_lo
	v_cmpx_gt_u32_e32 8, v18
; %bb.1774:                             ;   in Loop: Header=BB300_1564 Depth=1
	v_ffbh_u32_e32 v1, v1
	v_min_u32_e32 v1, 32, v1
	v_subrev_nc_u32_e32 v12, 28, v1
	v_lshlrev_b64 v[18:19], v12, v[2:3]
	v_sub_nc_u32_e32 v12, 29, v1
	v_and_b32_e32 v1, 7, v18
; %bb.1775:                             ;   in Loop: Header=BB300_1564 Depth=1
	s_or_b32 exec_lo, exec_lo, s21
	v_lshlrev_b32_sdwa v2, v70, v2 dst_sel:DWORD dst_unused:UNUSED_PAD src0_sel:DWORD src1_sel:WORD_0
	v_lshl_add_u32 v12, v12, 10, 0x2000
	v_lshlrev_b32_e32 v1, 23, v1
	v_and_or_b32 v2, 0x8000, v2, v12
	v_lshl_or_b32 v1, v2, 16, v1
.LBB300_1776:                           ;   in Loop: Header=BB300_1564 Depth=1
	s_or_b32 exec_lo, exec_lo, s20
.LBB300_1777:                           ;   in Loop: Header=BB300_1564 Depth=1
	s_or_b32 exec_lo, exec_lo, s19
.LBB300_1778:                           ;   in Loop: Header=BB300_1564 Depth=1
	s_or_b32 exec_lo, exec_lo, s18
	v_lshrrev_b32_e32 v2, 16, v9
	v_mov_b32_e32 v12, 0
	v_mov_b32_e32 v18, 0
	v_cmp_ne_u16_sdwa s4, v2, v3 src0_sel:BYTE_0 src1_sel:DWORD
	s_and_saveexec_b32 s18, s4
	s_cbranch_execz .LBB300_1786
; %bb.1779:                             ;   in Loop: Header=BB300_1564 Depth=1
	v_cmp_ne_u16_sdwa s4, v2, v67 src0_sel:BYTE_0 src1_sel:DWORD
	v_mov_b32_e32 v18, 0x8000
	s_and_saveexec_b32 s19, s4
	s_cbranch_execz .LBB300_1785
; %bb.1780:                             ;   in Loop: Header=BB300_1564 Depth=1
	v_bfe_u32 v28, v9, 16, 7
	v_mov_b32_e32 v18, 0x7c01
	s_mov_b32 s20, exec_lo
	v_cmpx_ne_u32_e32 0x7f, v28
	s_cbranch_execz .LBB300_1784
; %bb.1781:                             ;   in Loop: Header=BB300_1564 Depth=1
	v_and_b32_e32 v18, 7, v2
	v_lshrrev_b32_e32 v19, 3, v28
	s_mov_b32 s21, exec_lo
	v_cmpx_gt_u32_e32 8, v28
; %bb.1782:                             ;   in Loop: Header=BB300_1564 Depth=1
	v_ffbh_u32_e32 v18, v18
	v_min_u32_e32 v22, 32, v18
	v_subrev_nc_u32_e32 v18, 28, v22
	v_lshlrev_b64 v[18:19], v18, v[2:3]
	v_sub_nc_u32_e32 v19, 29, v22
	v_and_b32_e32 v18, 7, v18
; %bb.1783:                             ;   in Loop: Header=BB300_1564 Depth=1
	s_or_b32 exec_lo, exec_lo, s21
	v_lshlrev_b32_e32 v2, 8, v2
	v_lshl_add_u32 v19, v19, 10, 0x2000
	v_lshlrev_b32_e32 v18, 7, v18
	v_and_b32_e32 v2, 0x8000, v2
	v_and_b32_e32 v19, 0xfc00, v19
	v_or3_b32 v18, v2, v19, v18
.LBB300_1784:                           ;   in Loop: Header=BB300_1564 Depth=1
	s_or_b32 exec_lo, exec_lo, s20
.LBB300_1785:                           ;   in Loop: Header=BB300_1564 Depth=1
	s_or_b32 exec_lo, exec_lo, s19
.LBB300_1786:                           ;   in Loop: Header=BB300_1564 Depth=1
	s_or_b32 exec_lo, exec_lo, s18
	s_mov_b32 s18, exec_lo
	v_cmpx_lt_u32_e32 0xffffff, v9
	s_cbranch_execz .LBB300_1794
; %bb.1787:                             ;   in Loop: Header=BB300_1564 Depth=1
	v_lshrrev_b32_e32 v2, 24, v9
	v_bfrev_b32_e32 v12, 1
	s_mov_b32 s19, exec_lo
	v_cmpx_ne_u32_e32 0x80, v2
	s_cbranch_execz .LBB300_1793
; %bb.1788:                             ;   in Loop: Header=BB300_1564 Depth=1
	v_and_b32_e32 v28, 0x7f, v2
	v_mov_b32_e32 v12, 0x7c010000
	s_mov_b32 s20, exec_lo
	v_cmpx_ne_u32_e32 0x7f, v28
	s_cbranch_execz .LBB300_1792
; %bb.1789:                             ;   in Loop: Header=BB300_1564 Depth=1
	v_and_b32_e32 v12, 7, v2
	v_lshrrev_b32_e32 v19, 3, v28
	s_mov_b32 s21, exec_lo
	v_cmpx_gt_u32_e32 8, v28
; %bb.1790:                             ;   in Loop: Header=BB300_1564 Depth=1
	v_ffbh_u32_e32 v12, v12
	v_min_u32_e32 v12, 32, v12
	v_subrev_nc_u32_e32 v19, 28, v12
	v_lshlrev_b64 v[22:23], v19, v[2:3]
	v_sub_nc_u32_e32 v19, 29, v12
	v_and_b32_e32 v12, 7, v22
; %bb.1791:                             ;   in Loop: Header=BB300_1564 Depth=1
	s_or_b32 exec_lo, exec_lo, s21
	v_lshlrev_b32_e32 v2, 8, v2
	v_lshl_add_u32 v19, v19, 10, 0x2000
	v_lshlrev_b32_e32 v12, 23, v12
	v_and_or_b32 v2, 0x8000, v2, v19
	v_lshl_or_b32 v12, v2, 16, v12
.LBB300_1792:                           ;   in Loop: Header=BB300_1564 Depth=1
	s_or_b32 exec_lo, exec_lo, s20
.LBB300_1793:                           ;   in Loop: Header=BB300_1564 Depth=1
	s_or_b32 exec_lo, exec_lo, s19
.LBB300_1794:                           ;   in Loop: Header=BB300_1564 Depth=1
	s_or_b32 exec_lo, exec_lo, s18
	v_mov_b32_e32 v2, v10
	v_cmp_ne_u16_sdwa s4, v10, v3 src0_sel:BYTE_0 src1_sel:DWORD
	v_mov_b32_e32 v19, 0
	v_mov_b32_e32 v28, 0
	s_and_saveexec_b32 s18, s4
	s_cbranch_execz .LBB300_1802
; %bb.1795:                             ;   in Loop: Header=BB300_1564 Depth=1
	v_cmp_ne_u16_sdwa s4, v10, v67 src0_sel:BYTE_0 src1_sel:DWORD
	v_mov_b32_e32 v28, 0x8000
	s_and_saveexec_b32 s19, s4
	s_cbranch_execz .LBB300_1801
; %bb.1796:                             ;   in Loop: Header=BB300_1564 Depth=1
	v_and_b32_e32 v31, 0x7f, v10
	v_mov_b32_e32 v28, 0x7c01
	s_mov_b32 s20, exec_lo
	v_cmpx_ne_u32_e32 0x7f, v31
	s_cbranch_execz .LBB300_1800
; %bb.1797:                             ;   in Loop: Header=BB300_1564 Depth=1
	v_and_b32_e32 v28, 7, v10
	v_lshrrev_b32_e32 v29, 3, v31
	s_mov_b32 s21, exec_lo
	v_cmpx_gt_u32_e32 8, v31
; %bb.1798:                             ;   in Loop: Header=BB300_1564 Depth=1
	v_ffbh_u32_e32 v22, v28
	v_min_u32_e32 v28, 32, v22
	v_subrev_nc_u32_e32 v22, 28, v28
	v_sub_nc_u32_e32 v29, 29, v28
	v_lshlrev_b64 v[22:23], v22, v[2:3]
	v_and_b32_e32 v28, 7, v22
; %bb.1799:                             ;   in Loop: Header=BB300_1564 Depth=1
	s_or_b32 exec_lo, exec_lo, s21
	v_lshlrev_b32_e32 v22, 8, v10
	v_lshl_add_u32 v23, v29, 10, 0x2000
	v_lshlrev_b32_e32 v28, 7, v28
	v_and_b32_e32 v22, 0x8000, v22
	v_and_b32_e32 v23, 0xfc00, v23
	v_or3_b32 v28, v22, v23, v28
.LBB300_1800:                           ;   in Loop: Header=BB300_1564 Depth=1
	s_or_b32 exec_lo, exec_lo, s20
.LBB300_1801:                           ;   in Loop: Header=BB300_1564 Depth=1
	s_or_b32 exec_lo, exec_lo, s19
.LBB300_1802:                           ;   in Loop: Header=BB300_1564 Depth=1
	s_or_b32 exec_lo, exec_lo, s18
	v_lshrrev_b16 v2, 8, v2
	v_mov_b32_e32 v29, 0
	s_mov_b32 s18, exec_lo
	v_cmpx_ne_u16_e32 0, v2
	s_cbranch_execz .LBB300_1810
; %bb.1803:                             ;   in Loop: Header=BB300_1564 Depth=1
	v_bfrev_b32_e32 v29, 1
	s_mov_b32 s19, exec_lo
	v_cmpx_ne_u16_e32 0x80, v2
	s_cbranch_execz .LBB300_1809
; %bb.1804:                             ;   in Loop: Header=BB300_1564 Depth=1
	v_and_b32_sdwa v113, v2, v68 dst_sel:DWORD dst_unused:UNUSED_PAD src0_sel:WORD_0 src1_sel:DWORD
	v_mov_b32_e32 v29, 0x7c010000
	s_mov_b32 s20, exec_lo
	v_cmpx_ne_u32_e32 0x7f, v113
	s_cbranch_execz .LBB300_1808
; %bb.1805:                             ;   in Loop: Header=BB300_1564 Depth=1
	v_and_b32_sdwa v29, v2, v69 dst_sel:DWORD dst_unused:UNUSED_PAD src0_sel:WORD_0 src1_sel:DWORD
	v_lshrrev_b32_e32 v31, 3, v113
	s_mov_b32 s21, exec_lo
	v_cmpx_gt_u32_e32 8, v113
; %bb.1806:                             ;   in Loop: Header=BB300_1564 Depth=1
	v_ffbh_u32_e32 v22, v29
	v_min_u32_e32 v29, 32, v22
	v_subrev_nc_u32_e32 v22, 28, v29
	v_sub_nc_u32_e32 v31, 29, v29
	v_lshlrev_b64 v[22:23], v22, v[2:3]
	v_and_b32_e32 v29, 7, v22
; %bb.1807:                             ;   in Loop: Header=BB300_1564 Depth=1
	s_or_b32 exec_lo, exec_lo, s21
	v_lshlrev_b32_sdwa v2, v70, v2 dst_sel:DWORD dst_unused:UNUSED_PAD src0_sel:DWORD src1_sel:WORD_0
	v_lshl_add_u32 v22, v31, 10, 0x2000
	v_and_or_b32 v2, 0x8000, v2, v22
	v_lshlrev_b32_e32 v22, 23, v29
	v_lshl_or_b32 v29, v2, 16, v22
.LBB300_1808:                           ;   in Loop: Header=BB300_1564 Depth=1
	s_or_b32 exec_lo, exec_lo, s20
.LBB300_1809:                           ;   in Loop: Header=BB300_1564 Depth=1
	s_or_b32 exec_lo, exec_lo, s19
.LBB300_1810:                           ;   in Loop: Header=BB300_1564 Depth=1
	s_or_b32 exec_lo, exec_lo, s18
	v_lshrrev_b32_e32 v2, 16, v10
	v_cmp_ne_u16_sdwa s4, v2, v3 src0_sel:BYTE_0 src1_sel:DWORD
	s_and_saveexec_b32 s18, s4
	s_cbranch_execz .LBB300_1818
; %bb.1811:                             ;   in Loop: Header=BB300_1564 Depth=1
	v_cmp_ne_u16_sdwa s4, v2, v67 src0_sel:BYTE_0 src1_sel:DWORD
	v_mov_b32_e32 v19, 0x8000
	s_and_saveexec_b32 s19, s4
	s_cbranch_execz .LBB300_1817
; %bb.1812:                             ;   in Loop: Header=BB300_1564 Depth=1
	v_bfe_u32 v113, v10, 16, 7
	v_mov_b32_e32 v19, 0x7c01
	s_mov_b32 s20, exec_lo
	v_cmpx_ne_u32_e32 0x7f, v113
	s_cbranch_execz .LBB300_1816
; %bb.1813:                             ;   in Loop: Header=BB300_1564 Depth=1
	v_and_b32_e32 v19, 7, v2
	v_lshrrev_b32_e32 v31, 3, v113
	s_mov_b32 s21, exec_lo
	v_cmpx_gt_u32_e32 8, v113
; %bb.1814:                             ;   in Loop: Header=BB300_1564 Depth=1
	v_ffbh_u32_e32 v19, v19
	v_min_u32_e32 v19, 32, v19
	v_subrev_nc_u32_e32 v22, 28, v19
	v_sub_nc_u32_e32 v31, 29, v19
	v_lshlrev_b64 v[22:23], v22, v[2:3]
	v_and_b32_e32 v19, 7, v22
; %bb.1815:                             ;   in Loop: Header=BB300_1564 Depth=1
	s_or_b32 exec_lo, exec_lo, s21
	v_lshlrev_b32_e32 v2, 8, v2
	v_lshl_add_u32 v22, v31, 10, 0x2000
	v_lshlrev_b32_e32 v19, 7, v19
	v_and_b32_e32 v2, 0x8000, v2
	v_and_b32_e32 v22, 0xfc00, v22
	v_or3_b32 v19, v2, v22, v19
.LBB300_1816:                           ;   in Loop: Header=BB300_1564 Depth=1
	s_or_b32 exec_lo, exec_lo, s20
.LBB300_1817:                           ;   in Loop: Header=BB300_1564 Depth=1
	s_or_b32 exec_lo, exec_lo, s19
.LBB300_1818:                           ;   in Loop: Header=BB300_1564 Depth=1
	s_or_b32 exec_lo, exec_lo, s18
	v_cmp_lt_u64_e64 s4, s[6:7], v[9:10]
	v_mov_b32_e32 v9, 0
	s_and_saveexec_b32 s18, s4
	s_cbranch_execz .LBB300_1826
; %bb.1819:                             ;   in Loop: Header=BB300_1564 Depth=1
	v_lshrrev_b32_e32 v2, 24, v10
	v_bfrev_b32_e32 v9, 1
	s_mov_b32 s19, exec_lo
	v_cmpx_ne_u32_e32 0x80, v2
	s_cbranch_execz .LBB300_1825
; %bb.1820:                             ;   in Loop: Header=BB300_1564 Depth=1
	v_and_b32_e32 v31, 0x7f, v2
	v_mov_b32_e32 v9, 0x7c010000
	s_mov_b32 s20, exec_lo
	v_cmpx_ne_u32_e32 0x7f, v31
	s_cbranch_execz .LBB300_1824
; %bb.1821:                             ;   in Loop: Header=BB300_1564 Depth=1
	v_and_b32_e32 v9, 7, v2
	v_lshrrev_b32_e32 v10, 3, v31
	s_mov_b32 s21, exec_lo
	v_cmpx_gt_u32_e32 8, v31
; %bb.1822:                             ;   in Loop: Header=BB300_1564 Depth=1
	v_ffbh_u32_e32 v9, v9
	v_min_u32_e32 v22, 32, v9
	v_subrev_nc_u32_e32 v9, 28, v22
	v_lshlrev_b64 v[9:10], v9, v[2:3]
	v_sub_nc_u32_e32 v10, 29, v22
	v_and_b32_e32 v9, 7, v9
; %bb.1823:                             ;   in Loop: Header=BB300_1564 Depth=1
	s_or_b32 exec_lo, exec_lo, s21
	v_lshlrev_b32_e32 v2, 8, v2
	v_lshl_add_u32 v10, v10, 10, 0x2000
	v_lshlrev_b32_e32 v9, 23, v9
	v_and_or_b32 v2, 0x8000, v2, v10
	v_lshl_or_b32 v9, v2, 16, v9
.LBB300_1824:                           ;   in Loop: Header=BB300_1564 Depth=1
	s_or_b32 exec_lo, exec_lo, s20
.LBB300_1825:                           ;   in Loop: Header=BB300_1564 Depth=1
	s_or_b32 exec_lo, exec_lo, s19
.LBB300_1826:                           ;   in Loop: Header=BB300_1564 Depth=1
	s_or_b32 exec_lo, exec_lo, s18
	v_or_b32_e32 v2, v12, v18
	s_waitcnt vmcnt(0) lgkmcnt(0)
	v_fma_mixlo_f16 v10, v0, v12, 0 op_sel:[0,1,0] op_sel_hi:[0,1,0]
	v_or_b32_e32 v12, v1, v11
	v_or_b32_e32 v18, v29, v28
	;; [unrolled: 1-line block ×3, first 2 shown]
	v_fma_mixlo_f16 v11, v0, v1, 0 op_sel:[0,1,0] op_sel_hi:[0,1,0]
	v_fma_mixlo_f16 v2, v0, v2, 0 op_sel_hi:[0,1,0]
	v_lshlrev_b32_e32 v1, 16, v10
	v_fma_mixlo_f16 v10, v0, v12, 0 op_sel_hi:[0,1,0]
	v_fma_mixlo_f16 v12, v0, v29, 0 op_sel:[0,1,0] op_sel_hi:[0,1,0]
	v_fma_mixlo_f16 v18, v0, v18, 0 op_sel_hi:[0,1,0]
	v_fma_mixlo_f16 v22, v0, v9, 0 op_sel:[0,1,0] op_sel_hi:[0,1,0]
	v_fma_mixlo_f16 v19, v0, v19, 0 op_sel_hi:[0,1,0]
	v_lshlrev_b32_e32 v11, 16, v11
	v_and_b32_e32 v2, 0xffff, v2
	v_and_b32_e32 v31, 0xffff, v10
	v_lshlrev_b32_e32 v9, 16, v12
	v_and_b32_e32 v18, 0xffff, v18
	v_lshlrev_b32_e32 v0, 16, v22
	v_and_b32_e32 v10, 0xffff, v19
	v_or_b32_e32 v12, v1, v2
	v_or_b32_e32 v29, v11, v31
	v_or_b32_e32 v28, v9, v18
	v_or_b32_e32 v19, v0, v10
	s_and_saveexec_b32 s18, vcc_lo
	s_cbranch_execz .LBB300_1828
; %bb.1827:                             ;   in Loop: Header=BB300_1564 Depth=1
	v_cmp_lt_i32_e64 s4, v71, v30
	v_cndmask_b32_e64 v12, 0, v31, s4
	v_cmp_lt_i32_e64 s4, v100, v30
	v_cndmask_b32_e64 v11, 0, v11, s4
	v_cmp_lt_i32_e64 s4, v99, v30
	v_or_b32_e32 v29, v12, v11
	v_cndmask_b32_e64 v2, 0, v2, s4
	v_cmp_lt_i32_e64 s4, v98, v30
	v_cndmask_b32_e64 v1, 0, v1, s4
	v_cmp_lt_i32_e64 s4, v97, v30
	v_or_b32_e32 v12, v2, v1
	;; [unrolled: 5-line block ×3, first 2 shown]
	v_cndmask_b32_e64 v10, 0, v10, s4
	v_cmp_lt_i32_e64 s4, v86, v30
	v_cndmask_b32_e64 v0, 0, v0, s4
	v_or_b32_e32 v19, v10, v0
.LBB300_1828:                           ;   in Loop: Header=BB300_1564 Depth=1
	s_or_b32 exec_lo, exec_lo, s18
	;;#ASMSTART
	v_pk_mul_f16 v0, v83, v29;

	;;#ASMEND
	;;#ASMSTART
	v_pk_mul_f16 v1, v82, v12;

	;;#ASMEND
	;; [unrolled: 4-line block ×4, first 2 shown]
	;;#ASMSTART
	v_pk_add_f16 v0, v0, v1;

	;;#ASMEND
	;;#ASMSTART
	v_pk_add_f16 v0, v0, v2;

	;;#ASMEND
	;;#ASMSTART
	v_pk_add_f16 v0, v0, v9;

	;;#ASMEND
	v_and_b32_e32 v1, 0xffff, v0
	v_lshrrev_b32_e32 v0, 16, v0
	;;#ASMSTART
	v_cvt_f32_f16 v113, v1;
	;;#ASMEND
	;;#ASMSTART
	v_cvt_f32_f16 v114, v0;
	;;#ASMEND
	flat_load_dwordx2 v[9:10], v[7:8] offset:1024
	flat_load_dword v0, v[106:107]
	v_mov_b32_e32 v1, 0
	v_mov_b32_e32 v11, 0
	s_waitcnt vmcnt(1) lgkmcnt(1)
	v_cmp_ne_u16_sdwa s4, v9, v3 src0_sel:BYTE_0 src1_sel:DWORD
	s_and_saveexec_b32 s18, s4
	s_cbranch_execz .LBB300_1836
; %bb.1829:                             ;   in Loop: Header=BB300_1564 Depth=1
	v_cmp_ne_u16_sdwa s4, v9, v67 src0_sel:BYTE_0 src1_sel:DWORD
	v_mov_b32_e32 v11, 0x8000
	s_and_saveexec_b32 s19, s4
	s_cbranch_execz .LBB300_1835
; %bb.1830:                             ;   in Loop: Header=BB300_1564 Depth=1
	v_and_b32_e32 v12, 0x7f, v9
	v_mov_b32_e32 v11, 0x7c01
	s_mov_b32 s20, exec_lo
	v_cmpx_ne_u32_e32 0x7f, v12
	s_cbranch_execz .LBB300_1834
; %bb.1831:                             ;   in Loop: Header=BB300_1564 Depth=1
	v_and_b32_e32 v2, 7, v9
	v_lshrrev_b32_e32 v11, 3, v12
	s_mov_b32 s21, exec_lo
	v_cmpx_gt_u32_e32 8, v12
; %bb.1832:                             ;   in Loop: Header=BB300_1564 Depth=1
	v_ffbh_u32_e32 v2, v2
	v_min_u32_e32 v2, 32, v2
	v_subrev_nc_u32_e32 v11, 28, v2
	v_lshlrev_b64 v[18:19], v11, v[9:10]
	v_sub_nc_u32_e32 v11, 29, v2
	v_and_b32_e32 v2, 7, v18
; %bb.1833:                             ;   in Loop: Header=BB300_1564 Depth=1
	s_or_b32 exec_lo, exec_lo, s21
	v_lshlrev_b32_e32 v12, 8, v9
	v_lshl_add_u32 v11, v11, 10, 0x2000
	v_lshlrev_b32_e32 v2, 7, v2
	v_and_b32_e32 v12, 0x8000, v12
	v_and_b32_e32 v11, 0xfc00, v11
	v_or3_b32 v11, v12, v11, v2
.LBB300_1834:                           ;   in Loop: Header=BB300_1564 Depth=1
	s_or_b32 exec_lo, exec_lo, s20
.LBB300_1835:                           ;   in Loop: Header=BB300_1564 Depth=1
	s_or_b32 exec_lo, exec_lo, s19
.LBB300_1836:                           ;   in Loop: Header=BB300_1564 Depth=1
	s_or_b32 exec_lo, exec_lo, s18
	v_lshrrev_b16 v2, 8, v9
	s_mov_b32 s18, exec_lo
	v_cmpx_ne_u16_e32 0, v2
	s_cbranch_execz .LBB300_1844
; %bb.1837:                             ;   in Loop: Header=BB300_1564 Depth=1
	v_bfrev_b32_e32 v1, 1
	s_mov_b32 s19, exec_lo
	v_cmpx_ne_u16_e32 0x80, v2
	s_cbranch_execz .LBB300_1843
; %bb.1838:                             ;   in Loop: Header=BB300_1564 Depth=1
	v_and_b32_sdwa v18, v2, v68 dst_sel:DWORD dst_unused:UNUSED_PAD src0_sel:WORD_0 src1_sel:DWORD
	v_mov_b32_e32 v1, 0x7c010000
	s_mov_b32 s20, exec_lo
	v_cmpx_ne_u32_e32 0x7f, v18
	s_cbranch_execz .LBB300_1842
; %bb.1839:                             ;   in Loop: Header=BB300_1564 Depth=1
	v_and_b32_sdwa v1, v2, v69 dst_sel:DWORD dst_unused:UNUSED_PAD src0_sel:WORD_0 src1_sel:DWORD
	v_lshrrev_b32_e32 v12, 3, v18
	s_mov_b32 s21, exec_lo
	v_cmpx_gt_u32_e32 8, v18
; %bb.1840:                             ;   in Loop: Header=BB300_1564 Depth=1
	v_ffbh_u32_e32 v1, v1
	v_min_u32_e32 v1, 32, v1
	v_subrev_nc_u32_e32 v12, 28, v1
	v_lshlrev_b64 v[18:19], v12, v[2:3]
	v_sub_nc_u32_e32 v12, 29, v1
	v_and_b32_e32 v1, 7, v18
; %bb.1841:                             ;   in Loop: Header=BB300_1564 Depth=1
	s_or_b32 exec_lo, exec_lo, s21
	v_lshlrev_b32_sdwa v2, v70, v2 dst_sel:DWORD dst_unused:UNUSED_PAD src0_sel:DWORD src1_sel:WORD_0
	v_lshl_add_u32 v12, v12, 10, 0x2000
	v_lshlrev_b32_e32 v1, 23, v1
	v_and_or_b32 v2, 0x8000, v2, v12
	v_lshl_or_b32 v1, v2, 16, v1
.LBB300_1842:                           ;   in Loop: Header=BB300_1564 Depth=1
	s_or_b32 exec_lo, exec_lo, s20
.LBB300_1843:                           ;   in Loop: Header=BB300_1564 Depth=1
	s_or_b32 exec_lo, exec_lo, s19
.LBB300_1844:                           ;   in Loop: Header=BB300_1564 Depth=1
	s_or_b32 exec_lo, exec_lo, s18
	v_lshrrev_b32_e32 v2, 16, v9
	v_mov_b32_e32 v12, 0
	v_mov_b32_e32 v18, 0
	v_cmp_ne_u16_sdwa s4, v2, v3 src0_sel:BYTE_0 src1_sel:DWORD
	s_and_saveexec_b32 s18, s4
	s_cbranch_execz .LBB300_1852
; %bb.1845:                             ;   in Loop: Header=BB300_1564 Depth=1
	v_cmp_ne_u16_sdwa s4, v2, v67 src0_sel:BYTE_0 src1_sel:DWORD
	v_mov_b32_e32 v18, 0x8000
	s_and_saveexec_b32 s19, s4
	s_cbranch_execz .LBB300_1851
; %bb.1846:                             ;   in Loop: Header=BB300_1564 Depth=1
	v_bfe_u32 v28, v9, 16, 7
	v_mov_b32_e32 v18, 0x7c01
	s_mov_b32 s20, exec_lo
	v_cmpx_ne_u32_e32 0x7f, v28
	s_cbranch_execz .LBB300_1850
; %bb.1847:                             ;   in Loop: Header=BB300_1564 Depth=1
	v_and_b32_e32 v18, 7, v2
	v_lshrrev_b32_e32 v19, 3, v28
	s_mov_b32 s21, exec_lo
	v_cmpx_gt_u32_e32 8, v28
; %bb.1848:                             ;   in Loop: Header=BB300_1564 Depth=1
	v_ffbh_u32_e32 v18, v18
	v_min_u32_e32 v22, 32, v18
	v_subrev_nc_u32_e32 v18, 28, v22
	v_lshlrev_b64 v[18:19], v18, v[2:3]
	v_sub_nc_u32_e32 v19, 29, v22
	v_and_b32_e32 v18, 7, v18
; %bb.1849:                             ;   in Loop: Header=BB300_1564 Depth=1
	s_or_b32 exec_lo, exec_lo, s21
	v_lshlrev_b32_e32 v2, 8, v2
	v_lshl_add_u32 v19, v19, 10, 0x2000
	v_lshlrev_b32_e32 v18, 7, v18
	v_and_b32_e32 v2, 0x8000, v2
	v_and_b32_e32 v19, 0xfc00, v19
	v_or3_b32 v18, v2, v19, v18
.LBB300_1850:                           ;   in Loop: Header=BB300_1564 Depth=1
	s_or_b32 exec_lo, exec_lo, s20
.LBB300_1851:                           ;   in Loop: Header=BB300_1564 Depth=1
	s_or_b32 exec_lo, exec_lo, s19
.LBB300_1852:                           ;   in Loop: Header=BB300_1564 Depth=1
	s_or_b32 exec_lo, exec_lo, s18
	s_mov_b32 s18, exec_lo
	v_cmpx_lt_u32_e32 0xffffff, v9
	s_cbranch_execz .LBB300_1860
; %bb.1853:                             ;   in Loop: Header=BB300_1564 Depth=1
	v_lshrrev_b32_e32 v2, 24, v9
	v_bfrev_b32_e32 v12, 1
	s_mov_b32 s19, exec_lo
	v_cmpx_ne_u32_e32 0x80, v2
	s_cbranch_execz .LBB300_1859
; %bb.1854:                             ;   in Loop: Header=BB300_1564 Depth=1
	v_and_b32_e32 v28, 0x7f, v2
	v_mov_b32_e32 v12, 0x7c010000
	s_mov_b32 s20, exec_lo
	v_cmpx_ne_u32_e32 0x7f, v28
	s_cbranch_execz .LBB300_1858
; %bb.1855:                             ;   in Loop: Header=BB300_1564 Depth=1
	v_and_b32_e32 v12, 7, v2
	v_lshrrev_b32_e32 v19, 3, v28
	s_mov_b32 s21, exec_lo
	v_cmpx_gt_u32_e32 8, v28
; %bb.1856:                             ;   in Loop: Header=BB300_1564 Depth=1
	v_ffbh_u32_e32 v12, v12
	v_min_u32_e32 v12, 32, v12
	v_subrev_nc_u32_e32 v19, 28, v12
	v_lshlrev_b64 v[22:23], v19, v[2:3]
	v_sub_nc_u32_e32 v19, 29, v12
	v_and_b32_e32 v12, 7, v22
; %bb.1857:                             ;   in Loop: Header=BB300_1564 Depth=1
	s_or_b32 exec_lo, exec_lo, s21
	v_lshlrev_b32_e32 v2, 8, v2
	v_lshl_add_u32 v19, v19, 10, 0x2000
	v_lshlrev_b32_e32 v12, 23, v12
	v_and_or_b32 v2, 0x8000, v2, v19
	v_lshl_or_b32 v12, v2, 16, v12
.LBB300_1858:                           ;   in Loop: Header=BB300_1564 Depth=1
	s_or_b32 exec_lo, exec_lo, s20
.LBB300_1859:                           ;   in Loop: Header=BB300_1564 Depth=1
	s_or_b32 exec_lo, exec_lo, s19
.LBB300_1860:                           ;   in Loop: Header=BB300_1564 Depth=1
	s_or_b32 exec_lo, exec_lo, s18
	v_mov_b32_e32 v2, v10
	v_cmp_ne_u16_sdwa s4, v10, v3 src0_sel:BYTE_0 src1_sel:DWORD
	v_mov_b32_e32 v19, 0
	v_mov_b32_e32 v28, 0
	s_and_saveexec_b32 s18, s4
	s_cbranch_execz .LBB300_1868
; %bb.1861:                             ;   in Loop: Header=BB300_1564 Depth=1
	v_cmp_ne_u16_sdwa s4, v10, v67 src0_sel:BYTE_0 src1_sel:DWORD
	v_mov_b32_e32 v28, 0x8000
	s_and_saveexec_b32 s19, s4
	s_cbranch_execz .LBB300_1867
; %bb.1862:                             ;   in Loop: Header=BB300_1564 Depth=1
	v_and_b32_e32 v31, 0x7f, v10
	v_mov_b32_e32 v28, 0x7c01
	s_mov_b32 s20, exec_lo
	v_cmpx_ne_u32_e32 0x7f, v31
	s_cbranch_execz .LBB300_1866
; %bb.1863:                             ;   in Loop: Header=BB300_1564 Depth=1
	v_and_b32_e32 v28, 7, v10
	v_lshrrev_b32_e32 v29, 3, v31
	s_mov_b32 s21, exec_lo
	v_cmpx_gt_u32_e32 8, v31
; %bb.1864:                             ;   in Loop: Header=BB300_1564 Depth=1
	v_ffbh_u32_e32 v22, v28
	v_min_u32_e32 v28, 32, v22
	v_subrev_nc_u32_e32 v22, 28, v28
	v_sub_nc_u32_e32 v29, 29, v28
	v_lshlrev_b64 v[22:23], v22, v[2:3]
	v_and_b32_e32 v28, 7, v22
; %bb.1865:                             ;   in Loop: Header=BB300_1564 Depth=1
	s_or_b32 exec_lo, exec_lo, s21
	v_lshlrev_b32_e32 v22, 8, v10
	v_lshl_add_u32 v23, v29, 10, 0x2000
	v_lshlrev_b32_e32 v28, 7, v28
	v_and_b32_e32 v22, 0x8000, v22
	v_and_b32_e32 v23, 0xfc00, v23
	v_or3_b32 v28, v22, v23, v28
.LBB300_1866:                           ;   in Loop: Header=BB300_1564 Depth=1
	s_or_b32 exec_lo, exec_lo, s20
.LBB300_1867:                           ;   in Loop: Header=BB300_1564 Depth=1
	s_or_b32 exec_lo, exec_lo, s19
.LBB300_1868:                           ;   in Loop: Header=BB300_1564 Depth=1
	s_or_b32 exec_lo, exec_lo, s18
	v_lshrrev_b16 v2, 8, v2
	v_mov_b32_e32 v29, 0
	s_mov_b32 s18, exec_lo
	v_cmpx_ne_u16_e32 0, v2
	s_cbranch_execz .LBB300_1876
; %bb.1869:                             ;   in Loop: Header=BB300_1564 Depth=1
	v_bfrev_b32_e32 v29, 1
	s_mov_b32 s19, exec_lo
	v_cmpx_ne_u16_e32 0x80, v2
	s_cbranch_execz .LBB300_1875
; %bb.1870:                             ;   in Loop: Header=BB300_1564 Depth=1
	v_and_b32_sdwa v115, v2, v68 dst_sel:DWORD dst_unused:UNUSED_PAD src0_sel:WORD_0 src1_sel:DWORD
	v_mov_b32_e32 v29, 0x7c010000
	s_mov_b32 s20, exec_lo
	v_cmpx_ne_u32_e32 0x7f, v115
	s_cbranch_execz .LBB300_1874
; %bb.1871:                             ;   in Loop: Header=BB300_1564 Depth=1
	v_and_b32_sdwa v29, v2, v69 dst_sel:DWORD dst_unused:UNUSED_PAD src0_sel:WORD_0 src1_sel:DWORD
	v_lshrrev_b32_e32 v31, 3, v115
	s_mov_b32 s21, exec_lo
	v_cmpx_gt_u32_e32 8, v115
; %bb.1872:                             ;   in Loop: Header=BB300_1564 Depth=1
	v_ffbh_u32_e32 v22, v29
	v_min_u32_e32 v29, 32, v22
	v_subrev_nc_u32_e32 v22, 28, v29
	v_sub_nc_u32_e32 v31, 29, v29
	v_lshlrev_b64 v[22:23], v22, v[2:3]
	v_and_b32_e32 v29, 7, v22
; %bb.1873:                             ;   in Loop: Header=BB300_1564 Depth=1
	s_or_b32 exec_lo, exec_lo, s21
	v_lshlrev_b32_sdwa v2, v70, v2 dst_sel:DWORD dst_unused:UNUSED_PAD src0_sel:DWORD src1_sel:WORD_0
	v_lshl_add_u32 v22, v31, 10, 0x2000
	v_and_or_b32 v2, 0x8000, v2, v22
	v_lshlrev_b32_e32 v22, 23, v29
	v_lshl_or_b32 v29, v2, 16, v22
.LBB300_1874:                           ;   in Loop: Header=BB300_1564 Depth=1
	s_or_b32 exec_lo, exec_lo, s20
.LBB300_1875:                           ;   in Loop: Header=BB300_1564 Depth=1
	s_or_b32 exec_lo, exec_lo, s19
.LBB300_1876:                           ;   in Loop: Header=BB300_1564 Depth=1
	s_or_b32 exec_lo, exec_lo, s18
	v_lshrrev_b32_e32 v2, 16, v10
	v_cmp_ne_u16_sdwa s4, v2, v3 src0_sel:BYTE_0 src1_sel:DWORD
	s_and_saveexec_b32 s18, s4
	s_cbranch_execz .LBB300_1884
; %bb.1877:                             ;   in Loop: Header=BB300_1564 Depth=1
	v_cmp_ne_u16_sdwa s4, v2, v67 src0_sel:BYTE_0 src1_sel:DWORD
	v_mov_b32_e32 v19, 0x8000
	s_and_saveexec_b32 s19, s4
	s_cbranch_execz .LBB300_1883
; %bb.1878:                             ;   in Loop: Header=BB300_1564 Depth=1
	v_bfe_u32 v115, v10, 16, 7
	v_mov_b32_e32 v19, 0x7c01
	s_mov_b32 s20, exec_lo
	v_cmpx_ne_u32_e32 0x7f, v115
	s_cbranch_execz .LBB300_1882
; %bb.1879:                             ;   in Loop: Header=BB300_1564 Depth=1
	v_and_b32_e32 v19, 7, v2
	v_lshrrev_b32_e32 v31, 3, v115
	s_mov_b32 s21, exec_lo
	v_cmpx_gt_u32_e32 8, v115
; %bb.1880:                             ;   in Loop: Header=BB300_1564 Depth=1
	v_ffbh_u32_e32 v19, v19
	v_min_u32_e32 v19, 32, v19
	v_subrev_nc_u32_e32 v22, 28, v19
	v_sub_nc_u32_e32 v31, 29, v19
	v_lshlrev_b64 v[22:23], v22, v[2:3]
	v_and_b32_e32 v19, 7, v22
; %bb.1881:                             ;   in Loop: Header=BB300_1564 Depth=1
	s_or_b32 exec_lo, exec_lo, s21
	v_lshlrev_b32_e32 v2, 8, v2
	v_lshl_add_u32 v22, v31, 10, 0x2000
	v_lshlrev_b32_e32 v19, 7, v19
	v_and_b32_e32 v2, 0x8000, v2
	v_and_b32_e32 v22, 0xfc00, v22
	v_or3_b32 v19, v2, v22, v19
.LBB300_1882:                           ;   in Loop: Header=BB300_1564 Depth=1
	s_or_b32 exec_lo, exec_lo, s20
.LBB300_1883:                           ;   in Loop: Header=BB300_1564 Depth=1
	s_or_b32 exec_lo, exec_lo, s19
.LBB300_1884:                           ;   in Loop: Header=BB300_1564 Depth=1
	s_or_b32 exec_lo, exec_lo, s18
	v_cmp_lt_u64_e64 s4, s[6:7], v[9:10]
	v_mov_b32_e32 v9, 0
	s_and_saveexec_b32 s18, s4
	s_cbranch_execz .LBB300_1892
; %bb.1885:                             ;   in Loop: Header=BB300_1564 Depth=1
	v_lshrrev_b32_e32 v2, 24, v10
	v_bfrev_b32_e32 v9, 1
	s_mov_b32 s19, exec_lo
	v_cmpx_ne_u32_e32 0x80, v2
	s_cbranch_execz .LBB300_1891
; %bb.1886:                             ;   in Loop: Header=BB300_1564 Depth=1
	v_and_b32_e32 v31, 0x7f, v2
	v_mov_b32_e32 v9, 0x7c010000
	s_mov_b32 s20, exec_lo
	v_cmpx_ne_u32_e32 0x7f, v31
	s_cbranch_execz .LBB300_1890
; %bb.1887:                             ;   in Loop: Header=BB300_1564 Depth=1
	v_and_b32_e32 v9, 7, v2
	v_lshrrev_b32_e32 v10, 3, v31
	s_mov_b32 s21, exec_lo
	v_cmpx_gt_u32_e32 8, v31
; %bb.1888:                             ;   in Loop: Header=BB300_1564 Depth=1
	v_ffbh_u32_e32 v9, v9
	v_min_u32_e32 v22, 32, v9
	v_subrev_nc_u32_e32 v9, 28, v22
	v_lshlrev_b64 v[9:10], v9, v[2:3]
	v_sub_nc_u32_e32 v10, 29, v22
	v_and_b32_e32 v9, 7, v9
; %bb.1889:                             ;   in Loop: Header=BB300_1564 Depth=1
	s_or_b32 exec_lo, exec_lo, s21
	v_lshlrev_b32_e32 v2, 8, v2
	v_lshl_add_u32 v10, v10, 10, 0x2000
	v_lshlrev_b32_e32 v9, 23, v9
	v_and_or_b32 v2, 0x8000, v2, v10
	v_lshl_or_b32 v9, v2, 16, v9
.LBB300_1890:                           ;   in Loop: Header=BB300_1564 Depth=1
	s_or_b32 exec_lo, exec_lo, s20
.LBB300_1891:                           ;   in Loop: Header=BB300_1564 Depth=1
	s_or_b32 exec_lo, exec_lo, s19
.LBB300_1892:                           ;   in Loop: Header=BB300_1564 Depth=1
	s_or_b32 exec_lo, exec_lo, s18
	v_or_b32_e32 v2, v12, v18
	s_waitcnt vmcnt(0) lgkmcnt(0)
	v_fma_mixlo_f16 v10, v0, v12, 0 op_sel:[0,1,0] op_sel_hi:[0,1,0]
	v_or_b32_e32 v12, v1, v11
	v_or_b32_e32 v18, v29, v28
	;; [unrolled: 1-line block ×3, first 2 shown]
	v_fma_mixlo_f16 v11, v0, v1, 0 op_sel:[0,1,0] op_sel_hi:[0,1,0]
	v_fma_mixlo_f16 v2, v0, v2, 0 op_sel_hi:[0,1,0]
	v_lshlrev_b32_e32 v1, 16, v10
	v_fma_mixlo_f16 v10, v0, v12, 0 op_sel_hi:[0,1,0]
	v_fma_mixlo_f16 v12, v0, v29, 0 op_sel:[0,1,0] op_sel_hi:[0,1,0]
	v_fma_mixlo_f16 v18, v0, v18, 0 op_sel_hi:[0,1,0]
	v_fma_mixlo_f16 v22, v0, v9, 0 op_sel:[0,1,0] op_sel_hi:[0,1,0]
	v_fma_mixlo_f16 v19, v0, v19, 0 op_sel_hi:[0,1,0]
	v_lshlrev_b32_e32 v11, 16, v11
	v_and_b32_e32 v2, 0xffff, v2
	v_and_b32_e32 v31, 0xffff, v10
	v_lshlrev_b32_e32 v9, 16, v12
	v_and_b32_e32 v18, 0xffff, v18
	v_lshlrev_b32_e32 v0, 16, v22
	v_and_b32_e32 v10, 0xffff, v19
	v_or_b32_e32 v12, v1, v2
	v_or_b32_e32 v29, v11, v31
	;; [unrolled: 1-line block ×4, first 2 shown]
	s_and_saveexec_b32 s18, vcc_lo
	s_cbranch_execz .LBB300_1894
; %bb.1893:                             ;   in Loop: Header=BB300_1564 Depth=1
	v_cmp_lt_i32_e64 s4, v71, v30
	v_cndmask_b32_e64 v12, 0, v31, s4
	v_cmp_lt_i32_e64 s4, v100, v30
	v_cndmask_b32_e64 v11, 0, v11, s4
	v_cmp_lt_i32_e64 s4, v99, v30
	v_or_b32_e32 v29, v12, v11
	v_cndmask_b32_e64 v2, 0, v2, s4
	v_cmp_lt_i32_e64 s4, v98, v30
	v_cndmask_b32_e64 v1, 0, v1, s4
	v_cmp_lt_i32_e64 s4, v97, v30
	v_or_b32_e32 v12, v2, v1
	;; [unrolled: 5-line block ×3, first 2 shown]
	v_cndmask_b32_e64 v10, 0, v10, s4
	v_cmp_lt_i32_e64 s4, v86, v30
	v_cndmask_b32_e64 v0, 0, v0, s4
	v_or_b32_e32 v19, v10, v0
.LBB300_1894:                           ;   in Loop: Header=BB300_1564 Depth=1
	s_or_b32 exec_lo, exec_lo, s18
	;;#ASMSTART
	v_pk_mul_f16 v0, v83, v29;

	;;#ASMEND
	;;#ASMSTART
	v_pk_mul_f16 v1, v82, v12;

	;;#ASMEND
	;; [unrolled: 4-line block ×4, first 2 shown]
	;;#ASMSTART
	v_pk_add_f16 v0, v0, v1;

	;;#ASMEND
	;;#ASMSTART
	v_pk_add_f16 v0, v0, v2;

	;;#ASMEND
	;; [unrolled: 4-line block ×3, first 2 shown]
	v_and_b32_e32 v1, 0xffff, v0
	v_lshrrev_b32_e32 v0, 16, v0
	;;#ASMSTART
	v_cvt_f32_f16 v115, v1;
	;;#ASMEND
	;;#ASMSTART
	v_cvt_f32_f16 v116, v0;
	;;#ASMEND
	flat_load_dwordx2 v[9:10], v[7:8] offset:1280
	flat_load_dword v0, v[106:107]
	v_mov_b32_e32 v1, 0
	v_mov_b32_e32 v11, 0
	s_waitcnt vmcnt(1) lgkmcnt(1)
	v_cmp_ne_u16_sdwa s4, v9, v3 src0_sel:BYTE_0 src1_sel:DWORD
	s_and_saveexec_b32 s18, s4
	s_cbranch_execz .LBB300_1902
; %bb.1895:                             ;   in Loop: Header=BB300_1564 Depth=1
	v_cmp_ne_u16_sdwa s4, v9, v67 src0_sel:BYTE_0 src1_sel:DWORD
	v_mov_b32_e32 v11, 0x8000
	s_and_saveexec_b32 s19, s4
	s_cbranch_execz .LBB300_1901
; %bb.1896:                             ;   in Loop: Header=BB300_1564 Depth=1
	v_and_b32_e32 v12, 0x7f, v9
	v_mov_b32_e32 v11, 0x7c01
	s_mov_b32 s20, exec_lo
	v_cmpx_ne_u32_e32 0x7f, v12
	s_cbranch_execz .LBB300_1900
; %bb.1897:                             ;   in Loop: Header=BB300_1564 Depth=1
	v_and_b32_e32 v2, 7, v9
	v_lshrrev_b32_e32 v11, 3, v12
	s_mov_b32 s21, exec_lo
	v_cmpx_gt_u32_e32 8, v12
; %bb.1898:                             ;   in Loop: Header=BB300_1564 Depth=1
	v_ffbh_u32_e32 v2, v2
	v_min_u32_e32 v2, 32, v2
	v_subrev_nc_u32_e32 v11, 28, v2
	v_lshlrev_b64 v[18:19], v11, v[9:10]
	v_sub_nc_u32_e32 v11, 29, v2
	v_and_b32_e32 v2, 7, v18
; %bb.1899:                             ;   in Loop: Header=BB300_1564 Depth=1
	s_or_b32 exec_lo, exec_lo, s21
	v_lshlrev_b32_e32 v12, 8, v9
	v_lshl_add_u32 v11, v11, 10, 0x2000
	v_lshlrev_b32_e32 v2, 7, v2
	v_and_b32_e32 v12, 0x8000, v12
	v_and_b32_e32 v11, 0xfc00, v11
	v_or3_b32 v11, v12, v11, v2
.LBB300_1900:                           ;   in Loop: Header=BB300_1564 Depth=1
	s_or_b32 exec_lo, exec_lo, s20
.LBB300_1901:                           ;   in Loop: Header=BB300_1564 Depth=1
	s_or_b32 exec_lo, exec_lo, s19
.LBB300_1902:                           ;   in Loop: Header=BB300_1564 Depth=1
	s_or_b32 exec_lo, exec_lo, s18
	v_lshrrev_b16 v2, 8, v9
	s_mov_b32 s18, exec_lo
	v_cmpx_ne_u16_e32 0, v2
	s_cbranch_execz .LBB300_1910
; %bb.1903:                             ;   in Loop: Header=BB300_1564 Depth=1
	v_bfrev_b32_e32 v1, 1
	s_mov_b32 s19, exec_lo
	v_cmpx_ne_u16_e32 0x80, v2
	s_cbranch_execz .LBB300_1909
; %bb.1904:                             ;   in Loop: Header=BB300_1564 Depth=1
	v_and_b32_sdwa v18, v2, v68 dst_sel:DWORD dst_unused:UNUSED_PAD src0_sel:WORD_0 src1_sel:DWORD
	v_mov_b32_e32 v1, 0x7c010000
	s_mov_b32 s20, exec_lo
	v_cmpx_ne_u32_e32 0x7f, v18
	s_cbranch_execz .LBB300_1908
; %bb.1905:                             ;   in Loop: Header=BB300_1564 Depth=1
	v_and_b32_sdwa v1, v2, v69 dst_sel:DWORD dst_unused:UNUSED_PAD src0_sel:WORD_0 src1_sel:DWORD
	v_lshrrev_b32_e32 v12, 3, v18
	s_mov_b32 s21, exec_lo
	v_cmpx_gt_u32_e32 8, v18
; %bb.1906:                             ;   in Loop: Header=BB300_1564 Depth=1
	v_ffbh_u32_e32 v1, v1
	v_min_u32_e32 v1, 32, v1
	v_subrev_nc_u32_e32 v12, 28, v1
	v_lshlrev_b64 v[18:19], v12, v[2:3]
	v_sub_nc_u32_e32 v12, 29, v1
	v_and_b32_e32 v1, 7, v18
; %bb.1907:                             ;   in Loop: Header=BB300_1564 Depth=1
	s_or_b32 exec_lo, exec_lo, s21
	v_lshlrev_b32_sdwa v2, v70, v2 dst_sel:DWORD dst_unused:UNUSED_PAD src0_sel:DWORD src1_sel:WORD_0
	v_lshl_add_u32 v12, v12, 10, 0x2000
	v_lshlrev_b32_e32 v1, 23, v1
	v_and_or_b32 v2, 0x8000, v2, v12
	v_lshl_or_b32 v1, v2, 16, v1
.LBB300_1908:                           ;   in Loop: Header=BB300_1564 Depth=1
	s_or_b32 exec_lo, exec_lo, s20
.LBB300_1909:                           ;   in Loop: Header=BB300_1564 Depth=1
	s_or_b32 exec_lo, exec_lo, s19
.LBB300_1910:                           ;   in Loop: Header=BB300_1564 Depth=1
	s_or_b32 exec_lo, exec_lo, s18
	v_lshrrev_b32_e32 v2, 16, v9
	v_mov_b32_e32 v12, 0
	v_mov_b32_e32 v18, 0
	v_cmp_ne_u16_sdwa s4, v2, v3 src0_sel:BYTE_0 src1_sel:DWORD
	s_and_saveexec_b32 s18, s4
	s_cbranch_execz .LBB300_1918
; %bb.1911:                             ;   in Loop: Header=BB300_1564 Depth=1
	v_cmp_ne_u16_sdwa s4, v2, v67 src0_sel:BYTE_0 src1_sel:DWORD
	v_mov_b32_e32 v18, 0x8000
	s_and_saveexec_b32 s19, s4
	s_cbranch_execz .LBB300_1917
; %bb.1912:                             ;   in Loop: Header=BB300_1564 Depth=1
	v_bfe_u32 v28, v9, 16, 7
	v_mov_b32_e32 v18, 0x7c01
	s_mov_b32 s20, exec_lo
	v_cmpx_ne_u32_e32 0x7f, v28
	s_cbranch_execz .LBB300_1916
; %bb.1913:                             ;   in Loop: Header=BB300_1564 Depth=1
	v_and_b32_e32 v18, 7, v2
	v_lshrrev_b32_e32 v19, 3, v28
	s_mov_b32 s21, exec_lo
	v_cmpx_gt_u32_e32 8, v28
; %bb.1914:                             ;   in Loop: Header=BB300_1564 Depth=1
	v_ffbh_u32_e32 v18, v18
	v_min_u32_e32 v22, 32, v18
	v_subrev_nc_u32_e32 v18, 28, v22
	v_lshlrev_b64 v[18:19], v18, v[2:3]
	v_sub_nc_u32_e32 v19, 29, v22
	v_and_b32_e32 v18, 7, v18
; %bb.1915:                             ;   in Loop: Header=BB300_1564 Depth=1
	s_or_b32 exec_lo, exec_lo, s21
	v_lshlrev_b32_e32 v2, 8, v2
	v_lshl_add_u32 v19, v19, 10, 0x2000
	v_lshlrev_b32_e32 v18, 7, v18
	v_and_b32_e32 v2, 0x8000, v2
	v_and_b32_e32 v19, 0xfc00, v19
	v_or3_b32 v18, v2, v19, v18
.LBB300_1916:                           ;   in Loop: Header=BB300_1564 Depth=1
	s_or_b32 exec_lo, exec_lo, s20
.LBB300_1917:                           ;   in Loop: Header=BB300_1564 Depth=1
	s_or_b32 exec_lo, exec_lo, s19
.LBB300_1918:                           ;   in Loop: Header=BB300_1564 Depth=1
	s_or_b32 exec_lo, exec_lo, s18
	s_mov_b32 s18, exec_lo
	v_cmpx_lt_u32_e32 0xffffff, v9
	s_cbranch_execz .LBB300_1926
; %bb.1919:                             ;   in Loop: Header=BB300_1564 Depth=1
	v_lshrrev_b32_e32 v2, 24, v9
	v_bfrev_b32_e32 v12, 1
	s_mov_b32 s19, exec_lo
	v_cmpx_ne_u32_e32 0x80, v2
	s_cbranch_execz .LBB300_1925
; %bb.1920:                             ;   in Loop: Header=BB300_1564 Depth=1
	v_and_b32_e32 v28, 0x7f, v2
	v_mov_b32_e32 v12, 0x7c010000
	s_mov_b32 s20, exec_lo
	v_cmpx_ne_u32_e32 0x7f, v28
	s_cbranch_execz .LBB300_1924
; %bb.1921:                             ;   in Loop: Header=BB300_1564 Depth=1
	v_and_b32_e32 v12, 7, v2
	v_lshrrev_b32_e32 v19, 3, v28
	s_mov_b32 s21, exec_lo
	v_cmpx_gt_u32_e32 8, v28
; %bb.1922:                             ;   in Loop: Header=BB300_1564 Depth=1
	v_ffbh_u32_e32 v12, v12
	v_min_u32_e32 v12, 32, v12
	v_subrev_nc_u32_e32 v19, 28, v12
	v_lshlrev_b64 v[22:23], v19, v[2:3]
	v_sub_nc_u32_e32 v19, 29, v12
	v_and_b32_e32 v12, 7, v22
; %bb.1923:                             ;   in Loop: Header=BB300_1564 Depth=1
	s_or_b32 exec_lo, exec_lo, s21
	v_lshlrev_b32_e32 v2, 8, v2
	v_lshl_add_u32 v19, v19, 10, 0x2000
	v_lshlrev_b32_e32 v12, 23, v12
	v_and_or_b32 v2, 0x8000, v2, v19
	v_lshl_or_b32 v12, v2, 16, v12
.LBB300_1924:                           ;   in Loop: Header=BB300_1564 Depth=1
	s_or_b32 exec_lo, exec_lo, s20
.LBB300_1925:                           ;   in Loop: Header=BB300_1564 Depth=1
	s_or_b32 exec_lo, exec_lo, s19
.LBB300_1926:                           ;   in Loop: Header=BB300_1564 Depth=1
	s_or_b32 exec_lo, exec_lo, s18
	v_mov_b32_e32 v2, v10
	v_cmp_ne_u16_sdwa s4, v10, v3 src0_sel:BYTE_0 src1_sel:DWORD
	v_mov_b32_e32 v19, 0
	v_mov_b32_e32 v28, 0
	s_and_saveexec_b32 s18, s4
	s_cbranch_execz .LBB300_1934
; %bb.1927:                             ;   in Loop: Header=BB300_1564 Depth=1
	v_cmp_ne_u16_sdwa s4, v10, v67 src0_sel:BYTE_0 src1_sel:DWORD
	v_mov_b32_e32 v28, 0x8000
	s_and_saveexec_b32 s19, s4
	s_cbranch_execz .LBB300_1933
; %bb.1928:                             ;   in Loop: Header=BB300_1564 Depth=1
	v_and_b32_e32 v31, 0x7f, v10
	v_mov_b32_e32 v28, 0x7c01
	s_mov_b32 s20, exec_lo
	v_cmpx_ne_u32_e32 0x7f, v31
	s_cbranch_execz .LBB300_1932
; %bb.1929:                             ;   in Loop: Header=BB300_1564 Depth=1
	v_and_b32_e32 v28, 7, v10
	v_lshrrev_b32_e32 v29, 3, v31
	s_mov_b32 s21, exec_lo
	v_cmpx_gt_u32_e32 8, v31
; %bb.1930:                             ;   in Loop: Header=BB300_1564 Depth=1
	v_ffbh_u32_e32 v22, v28
	v_min_u32_e32 v28, 32, v22
	v_subrev_nc_u32_e32 v22, 28, v28
	v_sub_nc_u32_e32 v29, 29, v28
	v_lshlrev_b64 v[22:23], v22, v[2:3]
	v_and_b32_e32 v28, 7, v22
; %bb.1931:                             ;   in Loop: Header=BB300_1564 Depth=1
	s_or_b32 exec_lo, exec_lo, s21
	v_lshlrev_b32_e32 v22, 8, v10
	v_lshl_add_u32 v23, v29, 10, 0x2000
	v_lshlrev_b32_e32 v28, 7, v28
	v_and_b32_e32 v22, 0x8000, v22
	v_and_b32_e32 v23, 0xfc00, v23
	v_or3_b32 v28, v22, v23, v28
.LBB300_1932:                           ;   in Loop: Header=BB300_1564 Depth=1
	s_or_b32 exec_lo, exec_lo, s20
.LBB300_1933:                           ;   in Loop: Header=BB300_1564 Depth=1
	s_or_b32 exec_lo, exec_lo, s19
.LBB300_1934:                           ;   in Loop: Header=BB300_1564 Depth=1
	s_or_b32 exec_lo, exec_lo, s18
	v_lshrrev_b16 v2, 8, v2
	v_mov_b32_e32 v29, 0
	s_mov_b32 s18, exec_lo
	v_cmpx_ne_u16_e32 0, v2
	s_cbranch_execz .LBB300_1942
; %bb.1935:                             ;   in Loop: Header=BB300_1564 Depth=1
	v_bfrev_b32_e32 v29, 1
	s_mov_b32 s19, exec_lo
	v_cmpx_ne_u16_e32 0x80, v2
	s_cbranch_execz .LBB300_1941
; %bb.1936:                             ;   in Loop: Header=BB300_1564 Depth=1
	v_and_b32_sdwa v117, v2, v68 dst_sel:DWORD dst_unused:UNUSED_PAD src0_sel:WORD_0 src1_sel:DWORD
	v_mov_b32_e32 v29, 0x7c010000
	s_mov_b32 s20, exec_lo
	v_cmpx_ne_u32_e32 0x7f, v117
	s_cbranch_execz .LBB300_1940
; %bb.1937:                             ;   in Loop: Header=BB300_1564 Depth=1
	v_and_b32_sdwa v29, v2, v69 dst_sel:DWORD dst_unused:UNUSED_PAD src0_sel:WORD_0 src1_sel:DWORD
	v_lshrrev_b32_e32 v31, 3, v117
	s_mov_b32 s21, exec_lo
	v_cmpx_gt_u32_e32 8, v117
; %bb.1938:                             ;   in Loop: Header=BB300_1564 Depth=1
	v_ffbh_u32_e32 v22, v29
	v_min_u32_e32 v29, 32, v22
	v_subrev_nc_u32_e32 v22, 28, v29
	v_sub_nc_u32_e32 v31, 29, v29
	v_lshlrev_b64 v[22:23], v22, v[2:3]
	v_and_b32_e32 v29, 7, v22
; %bb.1939:                             ;   in Loop: Header=BB300_1564 Depth=1
	s_or_b32 exec_lo, exec_lo, s21
	v_lshlrev_b32_sdwa v2, v70, v2 dst_sel:DWORD dst_unused:UNUSED_PAD src0_sel:DWORD src1_sel:WORD_0
	v_lshl_add_u32 v22, v31, 10, 0x2000
	v_and_or_b32 v2, 0x8000, v2, v22
	v_lshlrev_b32_e32 v22, 23, v29
	v_lshl_or_b32 v29, v2, 16, v22
.LBB300_1940:                           ;   in Loop: Header=BB300_1564 Depth=1
	s_or_b32 exec_lo, exec_lo, s20
.LBB300_1941:                           ;   in Loop: Header=BB300_1564 Depth=1
	s_or_b32 exec_lo, exec_lo, s19
.LBB300_1942:                           ;   in Loop: Header=BB300_1564 Depth=1
	s_or_b32 exec_lo, exec_lo, s18
	v_lshrrev_b32_e32 v2, 16, v10
	v_cmp_ne_u16_sdwa s4, v2, v3 src0_sel:BYTE_0 src1_sel:DWORD
	s_and_saveexec_b32 s18, s4
	s_cbranch_execz .LBB300_1950
; %bb.1943:                             ;   in Loop: Header=BB300_1564 Depth=1
	v_cmp_ne_u16_sdwa s4, v2, v67 src0_sel:BYTE_0 src1_sel:DWORD
	v_mov_b32_e32 v19, 0x8000
	s_and_saveexec_b32 s19, s4
	s_cbranch_execz .LBB300_1949
; %bb.1944:                             ;   in Loop: Header=BB300_1564 Depth=1
	v_bfe_u32 v117, v10, 16, 7
	v_mov_b32_e32 v19, 0x7c01
	s_mov_b32 s20, exec_lo
	v_cmpx_ne_u32_e32 0x7f, v117
	s_cbranch_execz .LBB300_1948
; %bb.1945:                             ;   in Loop: Header=BB300_1564 Depth=1
	v_and_b32_e32 v19, 7, v2
	v_lshrrev_b32_e32 v31, 3, v117
	s_mov_b32 s21, exec_lo
	v_cmpx_gt_u32_e32 8, v117
; %bb.1946:                             ;   in Loop: Header=BB300_1564 Depth=1
	v_ffbh_u32_e32 v19, v19
	v_min_u32_e32 v19, 32, v19
	v_subrev_nc_u32_e32 v22, 28, v19
	v_sub_nc_u32_e32 v31, 29, v19
	v_lshlrev_b64 v[22:23], v22, v[2:3]
	v_and_b32_e32 v19, 7, v22
; %bb.1947:                             ;   in Loop: Header=BB300_1564 Depth=1
	s_or_b32 exec_lo, exec_lo, s21
	v_lshlrev_b32_e32 v2, 8, v2
	v_lshl_add_u32 v22, v31, 10, 0x2000
	v_lshlrev_b32_e32 v19, 7, v19
	v_and_b32_e32 v2, 0x8000, v2
	v_and_b32_e32 v22, 0xfc00, v22
	v_or3_b32 v19, v2, v22, v19
.LBB300_1948:                           ;   in Loop: Header=BB300_1564 Depth=1
	s_or_b32 exec_lo, exec_lo, s20
.LBB300_1949:                           ;   in Loop: Header=BB300_1564 Depth=1
	s_or_b32 exec_lo, exec_lo, s19
.LBB300_1950:                           ;   in Loop: Header=BB300_1564 Depth=1
	s_or_b32 exec_lo, exec_lo, s18
	v_cmp_lt_u64_e64 s4, s[6:7], v[9:10]
	v_mov_b32_e32 v9, 0
	s_and_saveexec_b32 s18, s4
	s_cbranch_execz .LBB300_1958
; %bb.1951:                             ;   in Loop: Header=BB300_1564 Depth=1
	v_lshrrev_b32_e32 v2, 24, v10
	v_bfrev_b32_e32 v9, 1
	s_mov_b32 s19, exec_lo
	v_cmpx_ne_u32_e32 0x80, v2
	s_cbranch_execz .LBB300_1957
; %bb.1952:                             ;   in Loop: Header=BB300_1564 Depth=1
	v_and_b32_e32 v31, 0x7f, v2
	v_mov_b32_e32 v9, 0x7c010000
	s_mov_b32 s20, exec_lo
	v_cmpx_ne_u32_e32 0x7f, v31
	s_cbranch_execz .LBB300_1956
; %bb.1953:                             ;   in Loop: Header=BB300_1564 Depth=1
	v_and_b32_e32 v9, 7, v2
	v_lshrrev_b32_e32 v10, 3, v31
	s_mov_b32 s21, exec_lo
	v_cmpx_gt_u32_e32 8, v31
; %bb.1954:                             ;   in Loop: Header=BB300_1564 Depth=1
	v_ffbh_u32_e32 v9, v9
	v_min_u32_e32 v22, 32, v9
	v_subrev_nc_u32_e32 v9, 28, v22
	v_lshlrev_b64 v[9:10], v9, v[2:3]
	v_sub_nc_u32_e32 v10, 29, v22
	v_and_b32_e32 v9, 7, v9
; %bb.1955:                             ;   in Loop: Header=BB300_1564 Depth=1
	s_or_b32 exec_lo, exec_lo, s21
	v_lshlrev_b32_e32 v2, 8, v2
	v_lshl_add_u32 v10, v10, 10, 0x2000
	v_lshlrev_b32_e32 v9, 23, v9
	v_and_or_b32 v2, 0x8000, v2, v10
	v_lshl_or_b32 v9, v2, 16, v9
.LBB300_1956:                           ;   in Loop: Header=BB300_1564 Depth=1
	s_or_b32 exec_lo, exec_lo, s20
.LBB300_1957:                           ;   in Loop: Header=BB300_1564 Depth=1
	s_or_b32 exec_lo, exec_lo, s19
.LBB300_1958:                           ;   in Loop: Header=BB300_1564 Depth=1
	s_or_b32 exec_lo, exec_lo, s18
	v_or_b32_e32 v2, v12, v18
	s_waitcnt vmcnt(0) lgkmcnt(0)
	v_fma_mixlo_f16 v10, v0, v12, 0 op_sel:[0,1,0] op_sel_hi:[0,1,0]
	v_or_b32_e32 v12, v1, v11
	v_or_b32_e32 v18, v29, v28
	;; [unrolled: 1-line block ×3, first 2 shown]
	v_fma_mixlo_f16 v11, v0, v1, 0 op_sel:[0,1,0] op_sel_hi:[0,1,0]
	v_fma_mixlo_f16 v2, v0, v2, 0 op_sel_hi:[0,1,0]
	v_lshlrev_b32_e32 v1, 16, v10
	v_fma_mixlo_f16 v10, v0, v12, 0 op_sel_hi:[0,1,0]
	v_fma_mixlo_f16 v12, v0, v29, 0 op_sel:[0,1,0] op_sel_hi:[0,1,0]
	v_fma_mixlo_f16 v18, v0, v18, 0 op_sel_hi:[0,1,0]
	v_fma_mixlo_f16 v22, v0, v9, 0 op_sel:[0,1,0] op_sel_hi:[0,1,0]
	v_fma_mixlo_f16 v19, v0, v19, 0 op_sel_hi:[0,1,0]
	v_lshlrev_b32_e32 v11, 16, v11
	v_and_b32_e32 v2, 0xffff, v2
	v_and_b32_e32 v31, 0xffff, v10
	v_lshlrev_b32_e32 v9, 16, v12
	v_and_b32_e32 v18, 0xffff, v18
	v_lshlrev_b32_e32 v0, 16, v22
	v_and_b32_e32 v10, 0xffff, v19
	v_or_b32_e32 v12, v1, v2
	v_or_b32_e32 v29, v11, v31
	v_or_b32_e32 v28, v9, v18
	v_or_b32_e32 v19, v0, v10
	s_and_saveexec_b32 s18, vcc_lo
	s_cbranch_execz .LBB300_1960
; %bb.1959:                             ;   in Loop: Header=BB300_1564 Depth=1
	v_cmp_lt_i32_e64 s4, v71, v30
	v_cndmask_b32_e64 v12, 0, v31, s4
	v_cmp_lt_i32_e64 s4, v100, v30
	v_cndmask_b32_e64 v11, 0, v11, s4
	v_cmp_lt_i32_e64 s4, v99, v30
	v_or_b32_e32 v29, v12, v11
	v_cndmask_b32_e64 v2, 0, v2, s4
	v_cmp_lt_i32_e64 s4, v98, v30
	v_cndmask_b32_e64 v1, 0, v1, s4
	v_cmp_lt_i32_e64 s4, v97, v30
	v_or_b32_e32 v12, v2, v1
	;; [unrolled: 5-line block ×3, first 2 shown]
	v_cndmask_b32_e64 v10, 0, v10, s4
	v_cmp_lt_i32_e64 s4, v86, v30
	v_cndmask_b32_e64 v0, 0, v0, s4
	v_or_b32_e32 v19, v10, v0
.LBB300_1960:                           ;   in Loop: Header=BB300_1564 Depth=1
	s_or_b32 exec_lo, exec_lo, s18
	;;#ASMSTART
	v_pk_mul_f16 v0, v83, v29;

	;;#ASMEND
	;;#ASMSTART
	v_pk_mul_f16 v1, v82, v12;

	;;#ASMEND
	;; [unrolled: 4-line block ×4, first 2 shown]
	;;#ASMSTART
	v_pk_add_f16 v0, v0, v1;

	;;#ASMEND
	;;#ASMSTART
	v_pk_add_f16 v0, v0, v2;

	;;#ASMEND
	;; [unrolled: 4-line block ×3, first 2 shown]
	v_and_b32_e32 v1, 0xffff, v0
	v_lshrrev_b32_e32 v0, 16, v0
	;;#ASMSTART
	v_cvt_f32_f16 v117, v1;
	;;#ASMEND
	;;#ASMSTART
	v_cvt_f32_f16 v118, v0;
	;;#ASMEND
	flat_load_dwordx2 v[9:10], v[7:8] offset:1536
	flat_load_dword v0, v[106:107]
	v_mov_b32_e32 v1, 0
	v_mov_b32_e32 v11, 0
	s_waitcnt vmcnt(1) lgkmcnt(1)
	v_cmp_ne_u16_sdwa s4, v9, v3 src0_sel:BYTE_0 src1_sel:DWORD
	s_and_saveexec_b32 s18, s4
	s_cbranch_execz .LBB300_1968
; %bb.1961:                             ;   in Loop: Header=BB300_1564 Depth=1
	v_cmp_ne_u16_sdwa s4, v9, v67 src0_sel:BYTE_0 src1_sel:DWORD
	v_mov_b32_e32 v11, 0x8000
	s_and_saveexec_b32 s19, s4
	s_cbranch_execz .LBB300_1967
; %bb.1962:                             ;   in Loop: Header=BB300_1564 Depth=1
	v_and_b32_e32 v12, 0x7f, v9
	v_mov_b32_e32 v11, 0x7c01
	s_mov_b32 s20, exec_lo
	v_cmpx_ne_u32_e32 0x7f, v12
	s_cbranch_execz .LBB300_1966
; %bb.1963:                             ;   in Loop: Header=BB300_1564 Depth=1
	v_and_b32_e32 v2, 7, v9
	v_lshrrev_b32_e32 v11, 3, v12
	s_mov_b32 s21, exec_lo
	v_cmpx_gt_u32_e32 8, v12
; %bb.1964:                             ;   in Loop: Header=BB300_1564 Depth=1
	v_ffbh_u32_e32 v2, v2
	v_min_u32_e32 v2, 32, v2
	v_subrev_nc_u32_e32 v11, 28, v2
	v_lshlrev_b64 v[18:19], v11, v[9:10]
	v_sub_nc_u32_e32 v11, 29, v2
	v_and_b32_e32 v2, 7, v18
; %bb.1965:                             ;   in Loop: Header=BB300_1564 Depth=1
	s_or_b32 exec_lo, exec_lo, s21
	v_lshlrev_b32_e32 v12, 8, v9
	v_lshl_add_u32 v11, v11, 10, 0x2000
	v_lshlrev_b32_e32 v2, 7, v2
	v_and_b32_e32 v12, 0x8000, v12
	v_and_b32_e32 v11, 0xfc00, v11
	v_or3_b32 v11, v12, v11, v2
.LBB300_1966:                           ;   in Loop: Header=BB300_1564 Depth=1
	s_or_b32 exec_lo, exec_lo, s20
.LBB300_1967:                           ;   in Loop: Header=BB300_1564 Depth=1
	s_or_b32 exec_lo, exec_lo, s19
.LBB300_1968:                           ;   in Loop: Header=BB300_1564 Depth=1
	s_or_b32 exec_lo, exec_lo, s18
	v_lshrrev_b16 v2, 8, v9
	s_mov_b32 s18, exec_lo
	v_cmpx_ne_u16_e32 0, v2
	s_cbranch_execz .LBB300_1976
; %bb.1969:                             ;   in Loop: Header=BB300_1564 Depth=1
	v_bfrev_b32_e32 v1, 1
	s_mov_b32 s19, exec_lo
	v_cmpx_ne_u16_e32 0x80, v2
	s_cbranch_execz .LBB300_1975
; %bb.1970:                             ;   in Loop: Header=BB300_1564 Depth=1
	v_and_b32_sdwa v18, v2, v68 dst_sel:DWORD dst_unused:UNUSED_PAD src0_sel:WORD_0 src1_sel:DWORD
	v_mov_b32_e32 v1, 0x7c010000
	s_mov_b32 s20, exec_lo
	v_cmpx_ne_u32_e32 0x7f, v18
	s_cbranch_execz .LBB300_1974
; %bb.1971:                             ;   in Loop: Header=BB300_1564 Depth=1
	v_and_b32_sdwa v1, v2, v69 dst_sel:DWORD dst_unused:UNUSED_PAD src0_sel:WORD_0 src1_sel:DWORD
	v_lshrrev_b32_e32 v12, 3, v18
	s_mov_b32 s21, exec_lo
	v_cmpx_gt_u32_e32 8, v18
; %bb.1972:                             ;   in Loop: Header=BB300_1564 Depth=1
	v_ffbh_u32_e32 v1, v1
	v_min_u32_e32 v1, 32, v1
	v_subrev_nc_u32_e32 v12, 28, v1
	v_lshlrev_b64 v[18:19], v12, v[2:3]
	v_sub_nc_u32_e32 v12, 29, v1
	v_and_b32_e32 v1, 7, v18
; %bb.1973:                             ;   in Loop: Header=BB300_1564 Depth=1
	s_or_b32 exec_lo, exec_lo, s21
	v_lshlrev_b32_sdwa v2, v70, v2 dst_sel:DWORD dst_unused:UNUSED_PAD src0_sel:DWORD src1_sel:WORD_0
	v_lshl_add_u32 v12, v12, 10, 0x2000
	v_lshlrev_b32_e32 v1, 23, v1
	v_and_or_b32 v2, 0x8000, v2, v12
	v_lshl_or_b32 v1, v2, 16, v1
.LBB300_1974:                           ;   in Loop: Header=BB300_1564 Depth=1
	s_or_b32 exec_lo, exec_lo, s20
.LBB300_1975:                           ;   in Loop: Header=BB300_1564 Depth=1
	s_or_b32 exec_lo, exec_lo, s19
.LBB300_1976:                           ;   in Loop: Header=BB300_1564 Depth=1
	s_or_b32 exec_lo, exec_lo, s18
	v_lshrrev_b32_e32 v2, 16, v9
	v_mov_b32_e32 v12, 0
	v_mov_b32_e32 v18, 0
	v_cmp_ne_u16_sdwa s4, v2, v3 src0_sel:BYTE_0 src1_sel:DWORD
	s_and_saveexec_b32 s18, s4
	s_cbranch_execz .LBB300_1984
; %bb.1977:                             ;   in Loop: Header=BB300_1564 Depth=1
	v_cmp_ne_u16_sdwa s4, v2, v67 src0_sel:BYTE_0 src1_sel:DWORD
	v_mov_b32_e32 v18, 0x8000
	s_and_saveexec_b32 s19, s4
	s_cbranch_execz .LBB300_1983
; %bb.1978:                             ;   in Loop: Header=BB300_1564 Depth=1
	v_bfe_u32 v28, v9, 16, 7
	v_mov_b32_e32 v18, 0x7c01
	s_mov_b32 s20, exec_lo
	v_cmpx_ne_u32_e32 0x7f, v28
	s_cbranch_execz .LBB300_1982
; %bb.1979:                             ;   in Loop: Header=BB300_1564 Depth=1
	v_and_b32_e32 v18, 7, v2
	v_lshrrev_b32_e32 v19, 3, v28
	s_mov_b32 s21, exec_lo
	v_cmpx_gt_u32_e32 8, v28
; %bb.1980:                             ;   in Loop: Header=BB300_1564 Depth=1
	v_ffbh_u32_e32 v18, v18
	v_min_u32_e32 v22, 32, v18
	v_subrev_nc_u32_e32 v18, 28, v22
	v_lshlrev_b64 v[18:19], v18, v[2:3]
	v_sub_nc_u32_e32 v19, 29, v22
	v_and_b32_e32 v18, 7, v18
; %bb.1981:                             ;   in Loop: Header=BB300_1564 Depth=1
	s_or_b32 exec_lo, exec_lo, s21
	v_lshlrev_b32_e32 v2, 8, v2
	v_lshl_add_u32 v19, v19, 10, 0x2000
	v_lshlrev_b32_e32 v18, 7, v18
	v_and_b32_e32 v2, 0x8000, v2
	v_and_b32_e32 v19, 0xfc00, v19
	v_or3_b32 v18, v2, v19, v18
.LBB300_1982:                           ;   in Loop: Header=BB300_1564 Depth=1
	s_or_b32 exec_lo, exec_lo, s20
.LBB300_1983:                           ;   in Loop: Header=BB300_1564 Depth=1
	s_or_b32 exec_lo, exec_lo, s19
.LBB300_1984:                           ;   in Loop: Header=BB300_1564 Depth=1
	s_or_b32 exec_lo, exec_lo, s18
	s_mov_b32 s18, exec_lo
	v_cmpx_lt_u32_e32 0xffffff, v9
	s_cbranch_execz .LBB300_1992
; %bb.1985:                             ;   in Loop: Header=BB300_1564 Depth=1
	v_lshrrev_b32_e32 v2, 24, v9
	v_bfrev_b32_e32 v12, 1
	s_mov_b32 s19, exec_lo
	v_cmpx_ne_u32_e32 0x80, v2
	s_cbranch_execz .LBB300_1991
; %bb.1986:                             ;   in Loop: Header=BB300_1564 Depth=1
	v_and_b32_e32 v28, 0x7f, v2
	v_mov_b32_e32 v12, 0x7c010000
	s_mov_b32 s20, exec_lo
	v_cmpx_ne_u32_e32 0x7f, v28
	s_cbranch_execz .LBB300_1990
; %bb.1987:                             ;   in Loop: Header=BB300_1564 Depth=1
	v_and_b32_e32 v12, 7, v2
	v_lshrrev_b32_e32 v19, 3, v28
	s_mov_b32 s21, exec_lo
	v_cmpx_gt_u32_e32 8, v28
; %bb.1988:                             ;   in Loop: Header=BB300_1564 Depth=1
	v_ffbh_u32_e32 v12, v12
	v_min_u32_e32 v12, 32, v12
	v_subrev_nc_u32_e32 v19, 28, v12
	v_lshlrev_b64 v[22:23], v19, v[2:3]
	v_sub_nc_u32_e32 v19, 29, v12
	v_and_b32_e32 v12, 7, v22
; %bb.1989:                             ;   in Loop: Header=BB300_1564 Depth=1
	s_or_b32 exec_lo, exec_lo, s21
	v_lshlrev_b32_e32 v2, 8, v2
	v_lshl_add_u32 v19, v19, 10, 0x2000
	v_lshlrev_b32_e32 v12, 23, v12
	v_and_or_b32 v2, 0x8000, v2, v19
	v_lshl_or_b32 v12, v2, 16, v12
.LBB300_1990:                           ;   in Loop: Header=BB300_1564 Depth=1
	s_or_b32 exec_lo, exec_lo, s20
.LBB300_1991:                           ;   in Loop: Header=BB300_1564 Depth=1
	s_or_b32 exec_lo, exec_lo, s19
.LBB300_1992:                           ;   in Loop: Header=BB300_1564 Depth=1
	s_or_b32 exec_lo, exec_lo, s18
	v_mov_b32_e32 v2, v10
	v_cmp_ne_u16_sdwa s4, v10, v3 src0_sel:BYTE_0 src1_sel:DWORD
	v_mov_b32_e32 v19, 0
	v_mov_b32_e32 v28, 0
	s_and_saveexec_b32 s18, s4
	s_cbranch_execz .LBB300_2000
; %bb.1993:                             ;   in Loop: Header=BB300_1564 Depth=1
	v_cmp_ne_u16_sdwa s4, v10, v67 src0_sel:BYTE_0 src1_sel:DWORD
	v_mov_b32_e32 v28, 0x8000
	s_and_saveexec_b32 s19, s4
	s_cbranch_execz .LBB300_1999
; %bb.1994:                             ;   in Loop: Header=BB300_1564 Depth=1
	v_and_b32_e32 v31, 0x7f, v10
	v_mov_b32_e32 v28, 0x7c01
	s_mov_b32 s20, exec_lo
	v_cmpx_ne_u32_e32 0x7f, v31
	s_cbranch_execz .LBB300_1998
; %bb.1995:                             ;   in Loop: Header=BB300_1564 Depth=1
	v_and_b32_e32 v28, 7, v10
	v_lshrrev_b32_e32 v29, 3, v31
	s_mov_b32 s21, exec_lo
	v_cmpx_gt_u32_e32 8, v31
; %bb.1996:                             ;   in Loop: Header=BB300_1564 Depth=1
	v_ffbh_u32_e32 v22, v28
	v_min_u32_e32 v28, 32, v22
	v_subrev_nc_u32_e32 v22, 28, v28
	v_sub_nc_u32_e32 v29, 29, v28
	v_lshlrev_b64 v[22:23], v22, v[2:3]
	v_and_b32_e32 v28, 7, v22
; %bb.1997:                             ;   in Loop: Header=BB300_1564 Depth=1
	s_or_b32 exec_lo, exec_lo, s21
	v_lshlrev_b32_e32 v22, 8, v10
	v_lshl_add_u32 v23, v29, 10, 0x2000
	v_lshlrev_b32_e32 v28, 7, v28
	v_and_b32_e32 v22, 0x8000, v22
	v_and_b32_e32 v23, 0xfc00, v23
	v_or3_b32 v28, v22, v23, v28
.LBB300_1998:                           ;   in Loop: Header=BB300_1564 Depth=1
	s_or_b32 exec_lo, exec_lo, s20
.LBB300_1999:                           ;   in Loop: Header=BB300_1564 Depth=1
	s_or_b32 exec_lo, exec_lo, s19
.LBB300_2000:                           ;   in Loop: Header=BB300_1564 Depth=1
	s_or_b32 exec_lo, exec_lo, s18
	v_lshrrev_b16 v2, 8, v2
	v_mov_b32_e32 v29, 0
	s_mov_b32 s18, exec_lo
	v_cmpx_ne_u16_e32 0, v2
	s_cbranch_execz .LBB300_2008
; %bb.2001:                             ;   in Loop: Header=BB300_1564 Depth=1
	v_bfrev_b32_e32 v29, 1
	s_mov_b32 s19, exec_lo
	v_cmpx_ne_u16_e32 0x80, v2
	s_cbranch_execz .LBB300_2007
; %bb.2002:                             ;   in Loop: Header=BB300_1564 Depth=1
	v_and_b32_sdwa v119, v2, v68 dst_sel:DWORD dst_unused:UNUSED_PAD src0_sel:WORD_0 src1_sel:DWORD
	v_mov_b32_e32 v29, 0x7c010000
	s_mov_b32 s20, exec_lo
	v_cmpx_ne_u32_e32 0x7f, v119
	s_cbranch_execz .LBB300_2006
; %bb.2003:                             ;   in Loop: Header=BB300_1564 Depth=1
	v_and_b32_sdwa v29, v2, v69 dst_sel:DWORD dst_unused:UNUSED_PAD src0_sel:WORD_0 src1_sel:DWORD
	v_lshrrev_b32_e32 v31, 3, v119
	s_mov_b32 s21, exec_lo
	v_cmpx_gt_u32_e32 8, v119
; %bb.2004:                             ;   in Loop: Header=BB300_1564 Depth=1
	v_ffbh_u32_e32 v22, v29
	v_min_u32_e32 v29, 32, v22
	v_subrev_nc_u32_e32 v22, 28, v29
	v_sub_nc_u32_e32 v31, 29, v29
	v_lshlrev_b64 v[22:23], v22, v[2:3]
	v_and_b32_e32 v29, 7, v22
; %bb.2005:                             ;   in Loop: Header=BB300_1564 Depth=1
	s_or_b32 exec_lo, exec_lo, s21
	v_lshlrev_b32_sdwa v2, v70, v2 dst_sel:DWORD dst_unused:UNUSED_PAD src0_sel:DWORD src1_sel:WORD_0
	v_lshl_add_u32 v22, v31, 10, 0x2000
	v_and_or_b32 v2, 0x8000, v2, v22
	v_lshlrev_b32_e32 v22, 23, v29
	v_lshl_or_b32 v29, v2, 16, v22
.LBB300_2006:                           ;   in Loop: Header=BB300_1564 Depth=1
	s_or_b32 exec_lo, exec_lo, s20
.LBB300_2007:                           ;   in Loop: Header=BB300_1564 Depth=1
	s_or_b32 exec_lo, exec_lo, s19
.LBB300_2008:                           ;   in Loop: Header=BB300_1564 Depth=1
	s_or_b32 exec_lo, exec_lo, s18
	v_lshrrev_b32_e32 v2, 16, v10
	v_cmp_ne_u16_sdwa s4, v2, v3 src0_sel:BYTE_0 src1_sel:DWORD
	s_and_saveexec_b32 s18, s4
	s_cbranch_execz .LBB300_2016
; %bb.2009:                             ;   in Loop: Header=BB300_1564 Depth=1
	v_cmp_ne_u16_sdwa s4, v2, v67 src0_sel:BYTE_0 src1_sel:DWORD
	v_mov_b32_e32 v19, 0x8000
	s_and_saveexec_b32 s19, s4
	s_cbranch_execz .LBB300_2015
; %bb.2010:                             ;   in Loop: Header=BB300_1564 Depth=1
	v_bfe_u32 v119, v10, 16, 7
	v_mov_b32_e32 v19, 0x7c01
	s_mov_b32 s20, exec_lo
	v_cmpx_ne_u32_e32 0x7f, v119
	s_cbranch_execz .LBB300_2014
; %bb.2011:                             ;   in Loop: Header=BB300_1564 Depth=1
	v_and_b32_e32 v19, 7, v2
	v_lshrrev_b32_e32 v31, 3, v119
	s_mov_b32 s21, exec_lo
	v_cmpx_gt_u32_e32 8, v119
; %bb.2012:                             ;   in Loop: Header=BB300_1564 Depth=1
	v_ffbh_u32_e32 v19, v19
	v_min_u32_e32 v19, 32, v19
	v_subrev_nc_u32_e32 v22, 28, v19
	v_sub_nc_u32_e32 v31, 29, v19
	v_lshlrev_b64 v[22:23], v22, v[2:3]
	v_and_b32_e32 v19, 7, v22
; %bb.2013:                             ;   in Loop: Header=BB300_1564 Depth=1
	s_or_b32 exec_lo, exec_lo, s21
	v_lshlrev_b32_e32 v2, 8, v2
	v_lshl_add_u32 v22, v31, 10, 0x2000
	v_lshlrev_b32_e32 v19, 7, v19
	v_and_b32_e32 v2, 0x8000, v2
	v_and_b32_e32 v22, 0xfc00, v22
	v_or3_b32 v19, v2, v22, v19
.LBB300_2014:                           ;   in Loop: Header=BB300_1564 Depth=1
	s_or_b32 exec_lo, exec_lo, s20
.LBB300_2015:                           ;   in Loop: Header=BB300_1564 Depth=1
	s_or_b32 exec_lo, exec_lo, s19
.LBB300_2016:                           ;   in Loop: Header=BB300_1564 Depth=1
	s_or_b32 exec_lo, exec_lo, s18
	v_cmp_lt_u64_e64 s4, s[6:7], v[9:10]
	v_mov_b32_e32 v9, 0
	s_and_saveexec_b32 s18, s4
	s_cbranch_execz .LBB300_2024
; %bb.2017:                             ;   in Loop: Header=BB300_1564 Depth=1
	v_lshrrev_b32_e32 v2, 24, v10
	v_bfrev_b32_e32 v9, 1
	s_mov_b32 s19, exec_lo
	v_cmpx_ne_u32_e32 0x80, v2
	s_cbranch_execz .LBB300_2023
; %bb.2018:                             ;   in Loop: Header=BB300_1564 Depth=1
	v_and_b32_e32 v31, 0x7f, v2
	v_mov_b32_e32 v9, 0x7c010000
	s_mov_b32 s20, exec_lo
	v_cmpx_ne_u32_e32 0x7f, v31
	s_cbranch_execz .LBB300_2022
; %bb.2019:                             ;   in Loop: Header=BB300_1564 Depth=1
	v_and_b32_e32 v9, 7, v2
	v_lshrrev_b32_e32 v10, 3, v31
	s_mov_b32 s21, exec_lo
	v_cmpx_gt_u32_e32 8, v31
; %bb.2020:                             ;   in Loop: Header=BB300_1564 Depth=1
	v_ffbh_u32_e32 v9, v9
	v_min_u32_e32 v22, 32, v9
	v_subrev_nc_u32_e32 v9, 28, v22
	v_lshlrev_b64 v[9:10], v9, v[2:3]
	v_sub_nc_u32_e32 v10, 29, v22
	v_and_b32_e32 v9, 7, v9
; %bb.2021:                             ;   in Loop: Header=BB300_1564 Depth=1
	s_or_b32 exec_lo, exec_lo, s21
	v_lshlrev_b32_e32 v2, 8, v2
	v_lshl_add_u32 v10, v10, 10, 0x2000
	v_lshlrev_b32_e32 v9, 23, v9
	v_and_or_b32 v2, 0x8000, v2, v10
	v_lshl_or_b32 v9, v2, 16, v9
.LBB300_2022:                           ;   in Loop: Header=BB300_1564 Depth=1
	s_or_b32 exec_lo, exec_lo, s20
.LBB300_2023:                           ;   in Loop: Header=BB300_1564 Depth=1
	s_or_b32 exec_lo, exec_lo, s19
.LBB300_2024:                           ;   in Loop: Header=BB300_1564 Depth=1
	s_or_b32 exec_lo, exec_lo, s18
	v_or_b32_e32 v2, v12, v18
	s_waitcnt vmcnt(0) lgkmcnt(0)
	v_fma_mixlo_f16 v10, v0, v12, 0 op_sel:[0,1,0] op_sel_hi:[0,1,0]
	v_or_b32_e32 v12, v1, v11
	v_or_b32_e32 v18, v29, v28
	v_or_b32_e32 v19, v9, v19
	v_fma_mixlo_f16 v11, v0, v1, 0 op_sel:[0,1,0] op_sel_hi:[0,1,0]
	v_fma_mixlo_f16 v2, v0, v2, 0 op_sel_hi:[0,1,0]
	v_lshlrev_b32_e32 v1, 16, v10
	v_fma_mixlo_f16 v10, v0, v12, 0 op_sel_hi:[0,1,0]
	v_fma_mixlo_f16 v12, v0, v29, 0 op_sel:[0,1,0] op_sel_hi:[0,1,0]
	v_fma_mixlo_f16 v18, v0, v18, 0 op_sel_hi:[0,1,0]
	v_fma_mixlo_f16 v22, v0, v9, 0 op_sel:[0,1,0] op_sel_hi:[0,1,0]
	v_fma_mixlo_f16 v19, v0, v19, 0 op_sel_hi:[0,1,0]
	v_lshlrev_b32_e32 v11, 16, v11
	v_and_b32_e32 v2, 0xffff, v2
	v_and_b32_e32 v31, 0xffff, v10
	v_lshlrev_b32_e32 v9, 16, v12
	v_and_b32_e32 v18, 0xffff, v18
	v_lshlrev_b32_e32 v0, 16, v22
	v_and_b32_e32 v10, 0xffff, v19
	v_or_b32_e32 v12, v1, v2
	v_or_b32_e32 v29, v11, v31
	;; [unrolled: 1-line block ×4, first 2 shown]
	s_and_saveexec_b32 s18, vcc_lo
	s_cbranch_execz .LBB300_2026
; %bb.2025:                             ;   in Loop: Header=BB300_1564 Depth=1
	v_cmp_lt_i32_e64 s4, v71, v30
	v_cndmask_b32_e64 v12, 0, v31, s4
	v_cmp_lt_i32_e64 s4, v100, v30
	v_cndmask_b32_e64 v11, 0, v11, s4
	v_cmp_lt_i32_e64 s4, v99, v30
	v_or_b32_e32 v29, v12, v11
	v_cndmask_b32_e64 v2, 0, v2, s4
	v_cmp_lt_i32_e64 s4, v98, v30
	v_cndmask_b32_e64 v1, 0, v1, s4
	v_cmp_lt_i32_e64 s4, v97, v30
	v_or_b32_e32 v12, v2, v1
	;; [unrolled: 5-line block ×3, first 2 shown]
	v_cndmask_b32_e64 v10, 0, v10, s4
	v_cmp_lt_i32_e64 s4, v86, v30
	v_cndmask_b32_e64 v0, 0, v0, s4
	v_or_b32_e32 v19, v10, v0
.LBB300_2026:                           ;   in Loop: Header=BB300_1564 Depth=1
	s_or_b32 exec_lo, exec_lo, s18
	;;#ASMSTART
	v_pk_mul_f16 v0, v83, v29;

	;;#ASMEND
	;;#ASMSTART
	v_pk_mul_f16 v1, v82, v12;

	;;#ASMEND
	;; [unrolled: 4-line block ×4, first 2 shown]
	;;#ASMSTART
	v_pk_add_f16 v0, v0, v1;

	;;#ASMEND
	;;#ASMSTART
	v_pk_add_f16 v0, v0, v2;

	;;#ASMEND
	;; [unrolled: 4-line block ×3, first 2 shown]
	v_and_b32_e32 v1, 0xffff, v0
	v_lshrrev_b32_e32 v0, 16, v0
	;;#ASMSTART
	v_cvt_f32_f16 v119, v1;
	;;#ASMEND
	;;#ASMSTART
	v_cvt_f32_f16 v40, v0;
	;;#ASMEND
	flat_load_dwordx2 v[9:10], v[7:8] offset:1792
	flat_load_dword v0, v[106:107]
	v_mov_b32_e32 v1, 0
	v_mov_b32_e32 v11, 0
	s_waitcnt vmcnt(1) lgkmcnt(1)
	v_cmp_ne_u16_sdwa s4, v9, v3 src0_sel:BYTE_0 src1_sel:DWORD
	s_and_saveexec_b32 s18, s4
	s_cbranch_execz .LBB300_2034
; %bb.2027:                             ;   in Loop: Header=BB300_1564 Depth=1
	v_cmp_ne_u16_sdwa s4, v9, v67 src0_sel:BYTE_0 src1_sel:DWORD
	v_mov_b32_e32 v11, 0x8000
	s_and_saveexec_b32 s19, s4
	s_cbranch_execz .LBB300_2033
; %bb.2028:                             ;   in Loop: Header=BB300_1564 Depth=1
	v_and_b32_e32 v12, 0x7f, v9
	v_mov_b32_e32 v11, 0x7c01
	s_mov_b32 s20, exec_lo
	v_cmpx_ne_u32_e32 0x7f, v12
	s_cbranch_execz .LBB300_2032
; %bb.2029:                             ;   in Loop: Header=BB300_1564 Depth=1
	v_and_b32_e32 v2, 7, v9
	v_lshrrev_b32_e32 v11, 3, v12
	s_mov_b32 s21, exec_lo
	v_cmpx_gt_u32_e32 8, v12
; %bb.2030:                             ;   in Loop: Header=BB300_1564 Depth=1
	v_ffbh_u32_e32 v2, v2
	v_min_u32_e32 v2, 32, v2
	v_subrev_nc_u32_e32 v11, 28, v2
	v_lshlrev_b64 v[18:19], v11, v[9:10]
	v_sub_nc_u32_e32 v11, 29, v2
	v_and_b32_e32 v2, 7, v18
; %bb.2031:                             ;   in Loop: Header=BB300_1564 Depth=1
	s_or_b32 exec_lo, exec_lo, s21
	v_lshlrev_b32_e32 v12, 8, v9
	v_lshl_add_u32 v11, v11, 10, 0x2000
	v_lshlrev_b32_e32 v2, 7, v2
	v_and_b32_e32 v12, 0x8000, v12
	v_and_b32_e32 v11, 0xfc00, v11
	v_or3_b32 v11, v12, v11, v2
.LBB300_2032:                           ;   in Loop: Header=BB300_1564 Depth=1
	s_or_b32 exec_lo, exec_lo, s20
.LBB300_2033:                           ;   in Loop: Header=BB300_1564 Depth=1
	s_or_b32 exec_lo, exec_lo, s19
.LBB300_2034:                           ;   in Loop: Header=BB300_1564 Depth=1
	s_or_b32 exec_lo, exec_lo, s18
	v_lshrrev_b16 v2, 8, v9
	s_mov_b32 s18, exec_lo
	v_cmpx_ne_u16_e32 0, v2
	s_cbranch_execz .LBB300_2042
; %bb.2035:                             ;   in Loop: Header=BB300_1564 Depth=1
	v_bfrev_b32_e32 v1, 1
	s_mov_b32 s19, exec_lo
	v_cmpx_ne_u16_e32 0x80, v2
	s_cbranch_execz .LBB300_2041
; %bb.2036:                             ;   in Loop: Header=BB300_1564 Depth=1
	v_and_b32_sdwa v18, v2, v68 dst_sel:DWORD dst_unused:UNUSED_PAD src0_sel:WORD_0 src1_sel:DWORD
	v_mov_b32_e32 v1, 0x7c010000
	s_mov_b32 s20, exec_lo
	v_cmpx_ne_u32_e32 0x7f, v18
	s_cbranch_execz .LBB300_2040
; %bb.2037:                             ;   in Loop: Header=BB300_1564 Depth=1
	v_and_b32_sdwa v1, v2, v69 dst_sel:DWORD dst_unused:UNUSED_PAD src0_sel:WORD_0 src1_sel:DWORD
	v_lshrrev_b32_e32 v12, 3, v18
	s_mov_b32 s21, exec_lo
	v_cmpx_gt_u32_e32 8, v18
; %bb.2038:                             ;   in Loop: Header=BB300_1564 Depth=1
	v_ffbh_u32_e32 v1, v1
	v_min_u32_e32 v1, 32, v1
	v_subrev_nc_u32_e32 v12, 28, v1
	v_lshlrev_b64 v[18:19], v12, v[2:3]
	v_sub_nc_u32_e32 v12, 29, v1
	v_and_b32_e32 v1, 7, v18
; %bb.2039:                             ;   in Loop: Header=BB300_1564 Depth=1
	s_or_b32 exec_lo, exec_lo, s21
	v_lshlrev_b32_sdwa v2, v70, v2 dst_sel:DWORD dst_unused:UNUSED_PAD src0_sel:DWORD src1_sel:WORD_0
	v_lshl_add_u32 v12, v12, 10, 0x2000
	v_lshlrev_b32_e32 v1, 23, v1
	v_and_or_b32 v2, 0x8000, v2, v12
	v_lshl_or_b32 v1, v2, 16, v1
.LBB300_2040:                           ;   in Loop: Header=BB300_1564 Depth=1
	s_or_b32 exec_lo, exec_lo, s20
.LBB300_2041:                           ;   in Loop: Header=BB300_1564 Depth=1
	s_or_b32 exec_lo, exec_lo, s19
.LBB300_2042:                           ;   in Loop: Header=BB300_1564 Depth=1
	s_or_b32 exec_lo, exec_lo, s18
	v_lshrrev_b32_e32 v2, 16, v9
	v_mov_b32_e32 v12, 0
	v_mov_b32_e32 v18, 0
	v_cmp_ne_u16_sdwa s4, v2, v3 src0_sel:BYTE_0 src1_sel:DWORD
	s_and_saveexec_b32 s18, s4
	s_cbranch_execz .LBB300_2050
; %bb.2043:                             ;   in Loop: Header=BB300_1564 Depth=1
	v_cmp_ne_u16_sdwa s4, v2, v67 src0_sel:BYTE_0 src1_sel:DWORD
	v_mov_b32_e32 v18, 0x8000
	s_and_saveexec_b32 s19, s4
	s_cbranch_execz .LBB300_2049
; %bb.2044:                             ;   in Loop: Header=BB300_1564 Depth=1
	v_bfe_u32 v28, v9, 16, 7
	v_mov_b32_e32 v18, 0x7c01
	s_mov_b32 s20, exec_lo
	v_cmpx_ne_u32_e32 0x7f, v28
	s_cbranch_execz .LBB300_2048
; %bb.2045:                             ;   in Loop: Header=BB300_1564 Depth=1
	v_and_b32_e32 v18, 7, v2
	v_lshrrev_b32_e32 v19, 3, v28
	s_mov_b32 s21, exec_lo
	v_cmpx_gt_u32_e32 8, v28
; %bb.2046:                             ;   in Loop: Header=BB300_1564 Depth=1
	v_ffbh_u32_e32 v18, v18
	v_min_u32_e32 v22, 32, v18
	v_subrev_nc_u32_e32 v18, 28, v22
	v_lshlrev_b64 v[18:19], v18, v[2:3]
	v_sub_nc_u32_e32 v19, 29, v22
	v_and_b32_e32 v18, 7, v18
; %bb.2047:                             ;   in Loop: Header=BB300_1564 Depth=1
	s_or_b32 exec_lo, exec_lo, s21
	v_lshlrev_b32_e32 v2, 8, v2
	v_lshl_add_u32 v19, v19, 10, 0x2000
	v_lshlrev_b32_e32 v18, 7, v18
	v_and_b32_e32 v2, 0x8000, v2
	v_and_b32_e32 v19, 0xfc00, v19
	v_or3_b32 v18, v2, v19, v18
.LBB300_2048:                           ;   in Loop: Header=BB300_1564 Depth=1
	s_or_b32 exec_lo, exec_lo, s20
.LBB300_2049:                           ;   in Loop: Header=BB300_1564 Depth=1
	s_or_b32 exec_lo, exec_lo, s19
.LBB300_2050:                           ;   in Loop: Header=BB300_1564 Depth=1
	s_or_b32 exec_lo, exec_lo, s18
	s_mov_b32 s18, exec_lo
	v_cmpx_lt_u32_e32 0xffffff, v9
	s_cbranch_execz .LBB300_2058
; %bb.2051:                             ;   in Loop: Header=BB300_1564 Depth=1
	v_lshrrev_b32_e32 v2, 24, v9
	v_bfrev_b32_e32 v12, 1
	s_mov_b32 s19, exec_lo
	v_cmpx_ne_u32_e32 0x80, v2
	s_cbranch_execz .LBB300_2057
; %bb.2052:                             ;   in Loop: Header=BB300_1564 Depth=1
	v_and_b32_e32 v28, 0x7f, v2
	v_mov_b32_e32 v12, 0x7c010000
	s_mov_b32 s20, exec_lo
	v_cmpx_ne_u32_e32 0x7f, v28
	s_cbranch_execz .LBB300_2056
; %bb.2053:                             ;   in Loop: Header=BB300_1564 Depth=1
	v_and_b32_e32 v12, 7, v2
	v_lshrrev_b32_e32 v19, 3, v28
	s_mov_b32 s21, exec_lo
	v_cmpx_gt_u32_e32 8, v28
; %bb.2054:                             ;   in Loop: Header=BB300_1564 Depth=1
	v_ffbh_u32_e32 v12, v12
	v_min_u32_e32 v12, 32, v12
	v_subrev_nc_u32_e32 v19, 28, v12
	v_lshlrev_b64 v[22:23], v19, v[2:3]
	v_sub_nc_u32_e32 v19, 29, v12
	v_and_b32_e32 v12, 7, v22
; %bb.2055:                             ;   in Loop: Header=BB300_1564 Depth=1
	s_or_b32 exec_lo, exec_lo, s21
	v_lshlrev_b32_e32 v2, 8, v2
	v_lshl_add_u32 v19, v19, 10, 0x2000
	v_lshlrev_b32_e32 v12, 23, v12
	v_and_or_b32 v2, 0x8000, v2, v19
	v_lshl_or_b32 v12, v2, 16, v12
.LBB300_2056:                           ;   in Loop: Header=BB300_1564 Depth=1
	s_or_b32 exec_lo, exec_lo, s20
.LBB300_2057:                           ;   in Loop: Header=BB300_1564 Depth=1
	s_or_b32 exec_lo, exec_lo, s19
.LBB300_2058:                           ;   in Loop: Header=BB300_1564 Depth=1
	s_or_b32 exec_lo, exec_lo, s18
	v_mov_b32_e32 v2, v10
	v_cmp_ne_u16_sdwa s4, v10, v3 src0_sel:BYTE_0 src1_sel:DWORD
	v_mov_b32_e32 v19, 0
	v_mov_b32_e32 v28, 0
	s_and_saveexec_b32 s18, s4
	s_cbranch_execz .LBB300_2066
; %bb.2059:                             ;   in Loop: Header=BB300_1564 Depth=1
	v_cmp_ne_u16_sdwa s4, v10, v67 src0_sel:BYTE_0 src1_sel:DWORD
	v_mov_b32_e32 v28, 0x8000
	s_and_saveexec_b32 s19, s4
	s_cbranch_execz .LBB300_2065
; %bb.2060:                             ;   in Loop: Header=BB300_1564 Depth=1
	v_and_b32_e32 v31, 0x7f, v10
	v_mov_b32_e32 v28, 0x7c01
	s_mov_b32 s20, exec_lo
	v_cmpx_ne_u32_e32 0x7f, v31
	s_cbranch_execz .LBB300_2064
; %bb.2061:                             ;   in Loop: Header=BB300_1564 Depth=1
	v_and_b32_e32 v28, 7, v10
	v_lshrrev_b32_e32 v29, 3, v31
	s_mov_b32 s21, exec_lo
	v_cmpx_gt_u32_e32 8, v31
; %bb.2062:                             ;   in Loop: Header=BB300_1564 Depth=1
	v_ffbh_u32_e32 v22, v28
	v_min_u32_e32 v28, 32, v22
	v_subrev_nc_u32_e32 v22, 28, v28
	v_sub_nc_u32_e32 v29, 29, v28
	v_lshlrev_b64 v[22:23], v22, v[2:3]
	v_and_b32_e32 v28, 7, v22
; %bb.2063:                             ;   in Loop: Header=BB300_1564 Depth=1
	s_or_b32 exec_lo, exec_lo, s21
	v_lshlrev_b32_e32 v22, 8, v10
	v_lshl_add_u32 v23, v29, 10, 0x2000
	v_lshlrev_b32_e32 v28, 7, v28
	v_and_b32_e32 v22, 0x8000, v22
	v_and_b32_e32 v23, 0xfc00, v23
	v_or3_b32 v28, v22, v23, v28
.LBB300_2064:                           ;   in Loop: Header=BB300_1564 Depth=1
	s_or_b32 exec_lo, exec_lo, s20
.LBB300_2065:                           ;   in Loop: Header=BB300_1564 Depth=1
	s_or_b32 exec_lo, exec_lo, s19
.LBB300_2066:                           ;   in Loop: Header=BB300_1564 Depth=1
	s_or_b32 exec_lo, exec_lo, s18
	v_lshrrev_b16 v2, 8, v2
	v_mov_b32_e32 v29, 0
	s_mov_b32 s18, exec_lo
	v_cmpx_ne_u16_e32 0, v2
	s_cbranch_execz .LBB300_2074
; %bb.2067:                             ;   in Loop: Header=BB300_1564 Depth=1
	v_bfrev_b32_e32 v29, 1
	s_mov_b32 s19, exec_lo
	v_cmpx_ne_u16_e32 0x80, v2
	s_cbranch_execz .LBB300_2073
; %bb.2068:                             ;   in Loop: Header=BB300_1564 Depth=1
	v_and_b32_sdwa v41, v2, v68 dst_sel:DWORD dst_unused:UNUSED_PAD src0_sel:WORD_0 src1_sel:DWORD
	v_mov_b32_e32 v29, 0x7c010000
	s_mov_b32 s20, exec_lo
	v_cmpx_ne_u32_e32 0x7f, v41
	s_cbranch_execz .LBB300_2072
; %bb.2069:                             ;   in Loop: Header=BB300_1564 Depth=1
	v_and_b32_sdwa v29, v2, v69 dst_sel:DWORD dst_unused:UNUSED_PAD src0_sel:WORD_0 src1_sel:DWORD
	v_lshrrev_b32_e32 v31, 3, v41
	s_mov_b32 s21, exec_lo
	v_cmpx_gt_u32_e32 8, v41
; %bb.2070:                             ;   in Loop: Header=BB300_1564 Depth=1
	v_ffbh_u32_e32 v22, v29
	v_min_u32_e32 v29, 32, v22
	v_subrev_nc_u32_e32 v22, 28, v29
	v_sub_nc_u32_e32 v31, 29, v29
	v_lshlrev_b64 v[22:23], v22, v[2:3]
	v_and_b32_e32 v29, 7, v22
; %bb.2071:                             ;   in Loop: Header=BB300_1564 Depth=1
	s_or_b32 exec_lo, exec_lo, s21
	v_lshlrev_b32_sdwa v2, v70, v2 dst_sel:DWORD dst_unused:UNUSED_PAD src0_sel:DWORD src1_sel:WORD_0
	v_lshl_add_u32 v22, v31, 10, 0x2000
	v_and_or_b32 v2, 0x8000, v2, v22
	v_lshlrev_b32_e32 v22, 23, v29
	v_lshl_or_b32 v29, v2, 16, v22
.LBB300_2072:                           ;   in Loop: Header=BB300_1564 Depth=1
	s_or_b32 exec_lo, exec_lo, s20
.LBB300_2073:                           ;   in Loop: Header=BB300_1564 Depth=1
	s_or_b32 exec_lo, exec_lo, s19
.LBB300_2074:                           ;   in Loop: Header=BB300_1564 Depth=1
	s_or_b32 exec_lo, exec_lo, s18
	v_lshrrev_b32_e32 v2, 16, v10
	v_cmp_ne_u16_sdwa s4, v2, v3 src0_sel:BYTE_0 src1_sel:DWORD
	s_and_saveexec_b32 s18, s4
	s_cbranch_execz .LBB300_2082
; %bb.2075:                             ;   in Loop: Header=BB300_1564 Depth=1
	v_cmp_ne_u16_sdwa s4, v2, v67 src0_sel:BYTE_0 src1_sel:DWORD
	v_mov_b32_e32 v19, 0x8000
	s_and_saveexec_b32 s19, s4
	s_cbranch_execz .LBB300_2081
; %bb.2076:                             ;   in Loop: Header=BB300_1564 Depth=1
	v_bfe_u32 v41, v10, 16, 7
	v_mov_b32_e32 v19, 0x7c01
	s_mov_b32 s20, exec_lo
	v_cmpx_ne_u32_e32 0x7f, v41
	s_cbranch_execz .LBB300_2080
; %bb.2077:                             ;   in Loop: Header=BB300_1564 Depth=1
	v_and_b32_e32 v19, 7, v2
	v_lshrrev_b32_e32 v31, 3, v41
	s_mov_b32 s21, exec_lo
	v_cmpx_gt_u32_e32 8, v41
; %bb.2078:                             ;   in Loop: Header=BB300_1564 Depth=1
	v_ffbh_u32_e32 v19, v19
	v_min_u32_e32 v19, 32, v19
	v_subrev_nc_u32_e32 v22, 28, v19
	v_sub_nc_u32_e32 v31, 29, v19
	v_lshlrev_b64 v[22:23], v22, v[2:3]
	v_and_b32_e32 v19, 7, v22
; %bb.2079:                             ;   in Loop: Header=BB300_1564 Depth=1
	s_or_b32 exec_lo, exec_lo, s21
	v_lshlrev_b32_e32 v2, 8, v2
	v_lshl_add_u32 v22, v31, 10, 0x2000
	v_lshlrev_b32_e32 v19, 7, v19
	v_and_b32_e32 v2, 0x8000, v2
	v_and_b32_e32 v22, 0xfc00, v22
	v_or3_b32 v19, v2, v22, v19
.LBB300_2080:                           ;   in Loop: Header=BB300_1564 Depth=1
	s_or_b32 exec_lo, exec_lo, s20
.LBB300_2081:                           ;   in Loop: Header=BB300_1564 Depth=1
	s_or_b32 exec_lo, exec_lo, s19
.LBB300_2082:                           ;   in Loop: Header=BB300_1564 Depth=1
	s_or_b32 exec_lo, exec_lo, s18
	v_cmp_lt_u64_e64 s4, s[6:7], v[9:10]
	v_mov_b32_e32 v9, 0
	s_and_saveexec_b32 s18, s4
	s_cbranch_execz .LBB300_2090
; %bb.2083:                             ;   in Loop: Header=BB300_1564 Depth=1
	v_lshrrev_b32_e32 v2, 24, v10
	v_bfrev_b32_e32 v9, 1
	s_mov_b32 s19, exec_lo
	v_cmpx_ne_u32_e32 0x80, v2
	s_cbranch_execz .LBB300_2089
; %bb.2084:                             ;   in Loop: Header=BB300_1564 Depth=1
	v_and_b32_e32 v31, 0x7f, v2
	v_mov_b32_e32 v9, 0x7c010000
	s_mov_b32 s20, exec_lo
	v_cmpx_ne_u32_e32 0x7f, v31
	s_cbranch_execz .LBB300_2088
; %bb.2085:                             ;   in Loop: Header=BB300_1564 Depth=1
	v_and_b32_e32 v9, 7, v2
	v_lshrrev_b32_e32 v10, 3, v31
	s_mov_b32 s21, exec_lo
	v_cmpx_gt_u32_e32 8, v31
; %bb.2086:                             ;   in Loop: Header=BB300_1564 Depth=1
	v_ffbh_u32_e32 v9, v9
	v_min_u32_e32 v22, 32, v9
	v_subrev_nc_u32_e32 v9, 28, v22
	v_lshlrev_b64 v[9:10], v9, v[2:3]
	v_sub_nc_u32_e32 v10, 29, v22
	v_and_b32_e32 v9, 7, v9
; %bb.2087:                             ;   in Loop: Header=BB300_1564 Depth=1
	s_or_b32 exec_lo, exec_lo, s21
	v_lshlrev_b32_e32 v2, 8, v2
	v_lshl_add_u32 v10, v10, 10, 0x2000
	v_lshlrev_b32_e32 v9, 23, v9
	v_and_or_b32 v2, 0x8000, v2, v10
	v_lshl_or_b32 v9, v2, 16, v9
.LBB300_2088:                           ;   in Loop: Header=BB300_1564 Depth=1
	s_or_b32 exec_lo, exec_lo, s20
.LBB300_2089:                           ;   in Loop: Header=BB300_1564 Depth=1
	s_or_b32 exec_lo, exec_lo, s19
.LBB300_2090:                           ;   in Loop: Header=BB300_1564 Depth=1
	s_or_b32 exec_lo, exec_lo, s18
	v_or_b32_e32 v2, v12, v18
	s_waitcnt vmcnt(0) lgkmcnt(0)
	v_fma_mixlo_f16 v10, v0, v12, 0 op_sel:[0,1,0] op_sel_hi:[0,1,0]
	v_or_b32_e32 v12, v1, v11
	v_or_b32_e32 v18, v29, v28
	;; [unrolled: 1-line block ×3, first 2 shown]
	v_fma_mixlo_f16 v11, v0, v1, 0 op_sel:[0,1,0] op_sel_hi:[0,1,0]
	v_fma_mixlo_f16 v2, v0, v2, 0 op_sel_hi:[0,1,0]
	v_lshlrev_b32_e32 v1, 16, v10
	v_fma_mixlo_f16 v10, v0, v12, 0 op_sel_hi:[0,1,0]
	v_fma_mixlo_f16 v12, v0, v29, 0 op_sel:[0,1,0] op_sel_hi:[0,1,0]
	v_fma_mixlo_f16 v18, v0, v18, 0 op_sel_hi:[0,1,0]
	v_fma_mixlo_f16 v22, v0, v9, 0 op_sel:[0,1,0] op_sel_hi:[0,1,0]
	v_fma_mixlo_f16 v19, v0, v19, 0 op_sel_hi:[0,1,0]
	v_lshlrev_b32_e32 v11, 16, v11
	v_and_b32_e32 v2, 0xffff, v2
	v_and_b32_e32 v31, 0xffff, v10
	v_lshlrev_b32_e32 v9, 16, v12
	v_and_b32_e32 v18, 0xffff, v18
	v_lshlrev_b32_e32 v0, 16, v22
	v_and_b32_e32 v10, 0xffff, v19
	v_or_b32_e32 v12, v1, v2
	v_or_b32_e32 v29, v11, v31
	;; [unrolled: 1-line block ×4, first 2 shown]
	s_and_saveexec_b32 s18, vcc_lo
	s_cbranch_execz .LBB300_2092
; %bb.2091:                             ;   in Loop: Header=BB300_1564 Depth=1
	v_cmp_lt_i32_e64 s4, v71, v30
	v_cndmask_b32_e64 v12, 0, v31, s4
	v_cmp_lt_i32_e64 s4, v100, v30
	v_cndmask_b32_e64 v11, 0, v11, s4
	v_cmp_lt_i32_e64 s4, v99, v30
	v_or_b32_e32 v29, v12, v11
	v_cndmask_b32_e64 v2, 0, v2, s4
	v_cmp_lt_i32_e64 s4, v98, v30
	v_cndmask_b32_e64 v1, 0, v1, s4
	v_cmp_lt_i32_e64 s4, v97, v30
	v_or_b32_e32 v12, v2, v1
	;; [unrolled: 5-line block ×3, first 2 shown]
	v_cndmask_b32_e64 v10, 0, v10, s4
	v_cmp_lt_i32_e64 s4, v86, v30
	v_cndmask_b32_e64 v0, 0, v0, s4
	v_or_b32_e32 v19, v10, v0
.LBB300_2092:                           ;   in Loop: Header=BB300_1564 Depth=1
	s_or_b32 exec_lo, exec_lo, s18
	;;#ASMSTART
	v_pk_mul_f16 v0, v83, v29;

	;;#ASMEND
	;;#ASMSTART
	v_pk_mul_f16 v1, v82, v12;

	;;#ASMEND
	;;#ASMSTART
	v_pk_mul_f16 v2, v81, v28;

	;;#ASMEND
	;;#ASMSTART
	v_pk_mul_f16 v9, v80, v19;

	;;#ASMEND
	;;#ASMSTART
	v_pk_add_f16 v0, v0, v1;

	;;#ASMEND
	;;#ASMSTART
	v_pk_add_f16 v0, v0, v2;

	;;#ASMEND
	;; [unrolled: 4-line block ×3, first 2 shown]
	v_add_co_u32 v9, s4, 0x800, v7
	v_add_co_ci_u32_e64 v10, null, 0, v8, s4
	v_lshrrev_b32_e32 v1, 16, v0
	v_and_b32_e32 v0, 0xffff, v0
	;;#ASMSTART
	v_cvt_f32_f16 v41, v0;
	;;#ASMEND
	;;#ASMSTART
	v_cvt_f32_f16 v42, v1;
	;;#ASMEND
	flat_load_dwordx2 v[11:12], v[9:10]
	flat_load_dword v0, v[106:107]
	v_mov_b32_e32 v1, 0
	v_mov_b32_e32 v18, 0
	s_waitcnt vmcnt(1) lgkmcnt(1)
	v_cmp_ne_u16_sdwa s4, v11, v3 src0_sel:BYTE_0 src1_sel:DWORD
	s_and_saveexec_b32 s18, s4
	s_cbranch_execz .LBB300_2100
; %bb.2093:                             ;   in Loop: Header=BB300_1564 Depth=1
	v_cmp_ne_u16_sdwa s4, v11, v67 src0_sel:BYTE_0 src1_sel:DWORD
	v_mov_b32_e32 v18, 0x8000
	s_and_saveexec_b32 s19, s4
	s_cbranch_execz .LBB300_2099
; %bb.2094:                             ;   in Loop: Header=BB300_1564 Depth=1
	v_and_b32_e32 v19, 0x7f, v11
	v_mov_b32_e32 v18, 0x7c01
	s_mov_b32 s20, exec_lo
	v_cmpx_ne_u32_e32 0x7f, v19
	s_cbranch_execz .LBB300_2098
; %bb.2095:                             ;   in Loop: Header=BB300_1564 Depth=1
	v_and_b32_e32 v2, 7, v11
	v_lshrrev_b32_e32 v18, 3, v19
	s_mov_b32 s21, exec_lo
	v_cmpx_gt_u32_e32 8, v19
; %bb.2096:                             ;   in Loop: Header=BB300_1564 Depth=1
	v_ffbh_u32_e32 v2, v2
	v_min_u32_e32 v2, 32, v2
	v_subrev_nc_u32_e32 v18, 28, v2
	v_lshlrev_b64 v[22:23], v18, v[11:12]
	v_sub_nc_u32_e32 v18, 29, v2
	v_and_b32_e32 v2, 7, v22
; %bb.2097:                             ;   in Loop: Header=BB300_1564 Depth=1
	s_or_b32 exec_lo, exec_lo, s21
	v_lshlrev_b32_e32 v19, 8, v11
	v_lshl_add_u32 v18, v18, 10, 0x2000
	v_lshlrev_b32_e32 v2, 7, v2
	v_and_b32_e32 v19, 0x8000, v19
	v_and_b32_e32 v18, 0xfc00, v18
	v_or3_b32 v18, v19, v18, v2
.LBB300_2098:                           ;   in Loop: Header=BB300_1564 Depth=1
	s_or_b32 exec_lo, exec_lo, s20
.LBB300_2099:                           ;   in Loop: Header=BB300_1564 Depth=1
	s_or_b32 exec_lo, exec_lo, s19
.LBB300_2100:                           ;   in Loop: Header=BB300_1564 Depth=1
	s_or_b32 exec_lo, exec_lo, s18
	v_lshrrev_b16 v2, 8, v11
	s_mov_b32 s18, exec_lo
	v_cmpx_ne_u16_e32 0, v2
	s_cbranch_execz .LBB300_2108
; %bb.2101:                             ;   in Loop: Header=BB300_1564 Depth=1
	v_bfrev_b32_e32 v1, 1
	s_mov_b32 s19, exec_lo
	v_cmpx_ne_u16_e32 0x80, v2
	s_cbranch_execz .LBB300_2107
; %bb.2102:                             ;   in Loop: Header=BB300_1564 Depth=1
	v_and_b32_sdwa v28, v2, v68 dst_sel:DWORD dst_unused:UNUSED_PAD src0_sel:WORD_0 src1_sel:DWORD
	v_mov_b32_e32 v1, 0x7c010000
	s_mov_b32 s20, exec_lo
	v_cmpx_ne_u32_e32 0x7f, v28
	s_cbranch_execz .LBB300_2106
; %bb.2103:                             ;   in Loop: Header=BB300_1564 Depth=1
	v_and_b32_sdwa v1, v2, v69 dst_sel:DWORD dst_unused:UNUSED_PAD src0_sel:WORD_0 src1_sel:DWORD
	v_lshrrev_b32_e32 v19, 3, v28
	s_mov_b32 s21, exec_lo
	v_cmpx_gt_u32_e32 8, v28
; %bb.2104:                             ;   in Loop: Header=BB300_1564 Depth=1
	v_ffbh_u32_e32 v1, v1
	v_min_u32_e32 v1, 32, v1
	v_subrev_nc_u32_e32 v19, 28, v1
	v_lshlrev_b64 v[22:23], v19, v[2:3]
	v_sub_nc_u32_e32 v19, 29, v1
	v_and_b32_e32 v1, 7, v22
; %bb.2105:                             ;   in Loop: Header=BB300_1564 Depth=1
	s_or_b32 exec_lo, exec_lo, s21
	v_lshlrev_b32_sdwa v2, v70, v2 dst_sel:DWORD dst_unused:UNUSED_PAD src0_sel:DWORD src1_sel:WORD_0
	v_lshl_add_u32 v19, v19, 10, 0x2000
	v_lshlrev_b32_e32 v1, 23, v1
	v_and_or_b32 v2, 0x8000, v2, v19
	v_lshl_or_b32 v1, v2, 16, v1
.LBB300_2106:                           ;   in Loop: Header=BB300_1564 Depth=1
	s_or_b32 exec_lo, exec_lo, s20
.LBB300_2107:                           ;   in Loop: Header=BB300_1564 Depth=1
	s_or_b32 exec_lo, exec_lo, s19
.LBB300_2108:                           ;   in Loop: Header=BB300_1564 Depth=1
	s_or_b32 exec_lo, exec_lo, s18
	v_lshrrev_b32_e32 v2, 16, v11
	v_mov_b32_e32 v19, 0
	v_mov_b32_e32 v28, 0
	v_cmp_ne_u16_sdwa s4, v2, v3 src0_sel:BYTE_0 src1_sel:DWORD
	s_and_saveexec_b32 s18, s4
	s_cbranch_execz .LBB300_2116
; %bb.2109:                             ;   in Loop: Header=BB300_1564 Depth=1
	v_cmp_ne_u16_sdwa s4, v2, v67 src0_sel:BYTE_0 src1_sel:DWORD
	v_mov_b32_e32 v28, 0x8000
	s_and_saveexec_b32 s19, s4
	s_cbranch_execz .LBB300_2115
; %bb.2110:                             ;   in Loop: Header=BB300_1564 Depth=1
	v_bfe_u32 v31, v11, 16, 7
	v_mov_b32_e32 v28, 0x7c01
	s_mov_b32 s20, exec_lo
	v_cmpx_ne_u32_e32 0x7f, v31
	s_cbranch_execz .LBB300_2114
; %bb.2111:                             ;   in Loop: Header=BB300_1564 Depth=1
	v_and_b32_e32 v28, 7, v2
	v_lshrrev_b32_e32 v29, 3, v31
	s_mov_b32 s21, exec_lo
	v_cmpx_gt_u32_e32 8, v31
; %bb.2112:                             ;   in Loop: Header=BB300_1564 Depth=1
	v_ffbh_u32_e32 v22, v28
	v_min_u32_e32 v28, 32, v22
	v_subrev_nc_u32_e32 v22, 28, v28
	v_sub_nc_u32_e32 v29, 29, v28
	v_lshlrev_b64 v[22:23], v22, v[2:3]
	v_and_b32_e32 v28, 7, v22
; %bb.2113:                             ;   in Loop: Header=BB300_1564 Depth=1
	s_or_b32 exec_lo, exec_lo, s21
	v_lshlrev_b32_e32 v2, 8, v2
	v_lshl_add_u32 v22, v29, 10, 0x2000
	v_lshlrev_b32_e32 v23, 7, v28
	v_and_b32_e32 v2, 0x8000, v2
	v_and_b32_e32 v22, 0xfc00, v22
	v_or3_b32 v28, v2, v22, v23
.LBB300_2114:                           ;   in Loop: Header=BB300_1564 Depth=1
	s_or_b32 exec_lo, exec_lo, s20
.LBB300_2115:                           ;   in Loop: Header=BB300_1564 Depth=1
	s_or_b32 exec_lo, exec_lo, s19
.LBB300_2116:                           ;   in Loop: Header=BB300_1564 Depth=1
	s_or_b32 exec_lo, exec_lo, s18
	s_mov_b32 s18, exec_lo
	v_cmpx_lt_u32_e32 0xffffff, v11
	s_cbranch_execz .LBB300_2124
; %bb.2117:                             ;   in Loop: Header=BB300_1564 Depth=1
	v_lshrrev_b32_e32 v2, 24, v11
	v_bfrev_b32_e32 v19, 1
	s_mov_b32 s19, exec_lo
	v_cmpx_ne_u32_e32 0x80, v2
	s_cbranch_execz .LBB300_2123
; %bb.2118:                             ;   in Loop: Header=BB300_1564 Depth=1
	v_and_b32_e32 v31, 0x7f, v2
	v_mov_b32_e32 v19, 0x7c010000
	s_mov_b32 s20, exec_lo
	v_cmpx_ne_u32_e32 0x7f, v31
	s_cbranch_execz .LBB300_2122
; %bb.2119:                             ;   in Loop: Header=BB300_1564 Depth=1
	v_and_b32_e32 v19, 7, v2
	v_lshrrev_b32_e32 v29, 3, v31
	s_mov_b32 s21, exec_lo
	v_cmpx_gt_u32_e32 8, v31
; %bb.2120:                             ;   in Loop: Header=BB300_1564 Depth=1
	v_ffbh_u32_e32 v19, v19
	v_min_u32_e32 v19, 32, v19
	v_subrev_nc_u32_e32 v22, 28, v19
	v_sub_nc_u32_e32 v29, 29, v19
	v_lshlrev_b64 v[22:23], v22, v[2:3]
	v_and_b32_e32 v19, 7, v22
; %bb.2121:                             ;   in Loop: Header=BB300_1564 Depth=1
	s_or_b32 exec_lo, exec_lo, s21
	v_lshlrev_b32_e32 v2, 8, v2
	v_lshl_add_u32 v22, v29, 10, 0x2000
	v_lshlrev_b32_e32 v19, 23, v19
	v_and_or_b32 v2, 0x8000, v2, v22
	v_lshl_or_b32 v19, v2, 16, v19
.LBB300_2122:                           ;   in Loop: Header=BB300_1564 Depth=1
	s_or_b32 exec_lo, exec_lo, s20
.LBB300_2123:                           ;   in Loop: Header=BB300_1564 Depth=1
	s_or_b32 exec_lo, exec_lo, s19
.LBB300_2124:                           ;   in Loop: Header=BB300_1564 Depth=1
	s_or_b32 exec_lo, exec_lo, s18
	v_mov_b32_e32 v2, v12
	v_cmp_ne_u16_sdwa s4, v12, v3 src0_sel:BYTE_0 src1_sel:DWORD
	v_mov_b32_e32 v29, 0
	v_mov_b32_e32 v31, 0
	s_and_saveexec_b32 s18, s4
	s_cbranch_execz .LBB300_2132
; %bb.2125:                             ;   in Loop: Header=BB300_1564 Depth=1
	v_cmp_ne_u16_sdwa s4, v12, v67 src0_sel:BYTE_0 src1_sel:DWORD
	v_mov_b32_e32 v31, 0x8000
	s_and_saveexec_b32 s19, s4
	s_cbranch_execz .LBB300_2131
; %bb.2126:                             ;   in Loop: Header=BB300_1564 Depth=1
	v_and_b32_e32 v44, 0x7f, v12
	v_mov_b32_e32 v31, 0x7c01
	s_mov_b32 s20, exec_lo
	v_cmpx_ne_u32_e32 0x7f, v44
	s_cbranch_execz .LBB300_2130
; %bb.2127:                             ;   in Loop: Header=BB300_1564 Depth=1
	v_and_b32_e32 v31, 7, v12
	v_lshrrev_b32_e32 v43, 3, v44
	s_mov_b32 s21, exec_lo
	v_cmpx_gt_u32_e32 8, v44
; %bb.2128:                             ;   in Loop: Header=BB300_1564 Depth=1
	v_ffbh_u32_e32 v22, v31
	v_min_u32_e32 v31, 32, v22
	v_subrev_nc_u32_e32 v22, 28, v31
	v_sub_nc_u32_e32 v43, 29, v31
	v_lshlrev_b64 v[22:23], v22, v[2:3]
	v_and_b32_e32 v31, 7, v22
; %bb.2129:                             ;   in Loop: Header=BB300_1564 Depth=1
	s_or_b32 exec_lo, exec_lo, s21
	v_lshlrev_b32_e32 v22, 8, v12
	v_lshl_add_u32 v23, v43, 10, 0x2000
	v_lshlrev_b32_e32 v31, 7, v31
	v_and_b32_e32 v22, 0x8000, v22
	v_and_b32_e32 v23, 0xfc00, v23
	v_or3_b32 v31, v22, v23, v31
.LBB300_2130:                           ;   in Loop: Header=BB300_1564 Depth=1
	s_or_b32 exec_lo, exec_lo, s20
.LBB300_2131:                           ;   in Loop: Header=BB300_1564 Depth=1
	s_or_b32 exec_lo, exec_lo, s19
.LBB300_2132:                           ;   in Loop: Header=BB300_1564 Depth=1
	s_or_b32 exec_lo, exec_lo, s18
	v_lshrrev_b16 v2, 8, v2
	v_mov_b32_e32 v43, 0
	s_mov_b32 s18, exec_lo
	v_cmpx_ne_u16_e32 0, v2
	s_cbranch_execz .LBB300_2140
; %bb.2133:                             ;   in Loop: Header=BB300_1564 Depth=1
	v_bfrev_b32_e32 v43, 1
	s_mov_b32 s19, exec_lo
	v_cmpx_ne_u16_e32 0x80, v2
	s_cbranch_execz .LBB300_2139
; %bb.2134:                             ;   in Loop: Header=BB300_1564 Depth=1
	v_and_b32_sdwa v45, v2, v68 dst_sel:DWORD dst_unused:UNUSED_PAD src0_sel:WORD_0 src1_sel:DWORD
	v_mov_b32_e32 v43, 0x7c010000
	s_mov_b32 s20, exec_lo
	v_cmpx_ne_u32_e32 0x7f, v45
	s_cbranch_execz .LBB300_2138
; %bb.2135:                             ;   in Loop: Header=BB300_1564 Depth=1
	v_and_b32_sdwa v43, v2, v69 dst_sel:DWORD dst_unused:UNUSED_PAD src0_sel:WORD_0 src1_sel:DWORD
	v_lshrrev_b32_e32 v44, 3, v45
	s_mov_b32 s21, exec_lo
	v_cmpx_gt_u32_e32 8, v45
; %bb.2136:                             ;   in Loop: Header=BB300_1564 Depth=1
	v_ffbh_u32_e32 v22, v43
	v_min_u32_e32 v43, 32, v22
	v_subrev_nc_u32_e32 v22, 28, v43
	v_sub_nc_u32_e32 v44, 29, v43
	v_lshlrev_b64 v[22:23], v22, v[2:3]
	v_and_b32_e32 v43, 7, v22
; %bb.2137:                             ;   in Loop: Header=BB300_1564 Depth=1
	s_or_b32 exec_lo, exec_lo, s21
	v_lshlrev_b32_sdwa v2, v70, v2 dst_sel:DWORD dst_unused:UNUSED_PAD src0_sel:DWORD src1_sel:WORD_0
	v_lshl_add_u32 v22, v44, 10, 0x2000
	v_and_or_b32 v2, 0x8000, v2, v22
	v_lshlrev_b32_e32 v22, 23, v43
	v_lshl_or_b32 v43, v2, 16, v22
.LBB300_2138:                           ;   in Loop: Header=BB300_1564 Depth=1
	s_or_b32 exec_lo, exec_lo, s20
.LBB300_2139:                           ;   in Loop: Header=BB300_1564 Depth=1
	s_or_b32 exec_lo, exec_lo, s19
.LBB300_2140:                           ;   in Loop: Header=BB300_1564 Depth=1
	s_or_b32 exec_lo, exec_lo, s18
	v_lshrrev_b32_e32 v2, 16, v12
	v_cmp_ne_u16_sdwa s4, v2, v3 src0_sel:BYTE_0 src1_sel:DWORD
	s_and_saveexec_b32 s18, s4
	s_cbranch_execz .LBB300_2148
; %bb.2141:                             ;   in Loop: Header=BB300_1564 Depth=1
	v_cmp_ne_u16_sdwa s4, v2, v67 src0_sel:BYTE_0 src1_sel:DWORD
	v_mov_b32_e32 v29, 0x8000
	s_and_saveexec_b32 s19, s4
	s_cbranch_execz .LBB300_2147
; %bb.2142:                             ;   in Loop: Header=BB300_1564 Depth=1
	v_bfe_u32 v45, v12, 16, 7
	v_mov_b32_e32 v29, 0x7c01
	s_mov_b32 s20, exec_lo
	v_cmpx_ne_u32_e32 0x7f, v45
	s_cbranch_execz .LBB300_2146
; %bb.2143:                             ;   in Loop: Header=BB300_1564 Depth=1
	v_and_b32_e32 v29, 7, v2
	v_lshrrev_b32_e32 v44, 3, v45
	s_mov_b32 s21, exec_lo
	v_cmpx_gt_u32_e32 8, v45
; %bb.2144:                             ;   in Loop: Header=BB300_1564 Depth=1
	v_ffbh_u32_e32 v22, v29
	v_min_u32_e32 v29, 32, v22
	v_subrev_nc_u32_e32 v22, 28, v29
	v_sub_nc_u32_e32 v44, 29, v29
	v_lshlrev_b64 v[22:23], v22, v[2:3]
	v_and_b32_e32 v29, 7, v22
; %bb.2145:                             ;   in Loop: Header=BB300_1564 Depth=1
	s_or_b32 exec_lo, exec_lo, s21
	v_lshlrev_b32_e32 v2, 8, v2
	v_lshl_add_u32 v22, v44, 10, 0x2000
	v_lshlrev_b32_e32 v23, 7, v29
	v_and_b32_e32 v2, 0x8000, v2
	v_and_b32_e32 v22, 0xfc00, v22
	v_or3_b32 v29, v2, v22, v23
.LBB300_2146:                           ;   in Loop: Header=BB300_1564 Depth=1
	s_or_b32 exec_lo, exec_lo, s20
.LBB300_2147:                           ;   in Loop: Header=BB300_1564 Depth=1
	s_or_b32 exec_lo, exec_lo, s19
.LBB300_2148:                           ;   in Loop: Header=BB300_1564 Depth=1
	s_or_b32 exec_lo, exec_lo, s18
	v_cmp_lt_u64_e64 s4, s[6:7], v[11:12]
	v_mov_b32_e32 v11, 0
	s_and_saveexec_b32 s18, s4
	s_cbranch_execz .LBB300_2156
; %bb.2149:                             ;   in Loop: Header=BB300_1564 Depth=1
	v_lshrrev_b32_e32 v2, 24, v12
	v_bfrev_b32_e32 v11, 1
	s_mov_b32 s19, exec_lo
	v_cmpx_ne_u32_e32 0x80, v2
	s_cbranch_execz .LBB300_2155
; %bb.2150:                             ;   in Loop: Header=BB300_1564 Depth=1
	v_and_b32_e32 v44, 0x7f, v2
	v_mov_b32_e32 v11, 0x7c010000
	s_mov_b32 s20, exec_lo
	v_cmpx_ne_u32_e32 0x7f, v44
	s_cbranch_execz .LBB300_2154
; %bb.2151:                             ;   in Loop: Header=BB300_1564 Depth=1
	v_and_b32_e32 v11, 7, v2
	v_lshrrev_b32_e32 v12, 3, v44
	s_mov_b32 s21, exec_lo
	v_cmpx_gt_u32_e32 8, v44
; %bb.2152:                             ;   in Loop: Header=BB300_1564 Depth=1
	v_ffbh_u32_e32 v11, v11
	v_min_u32_e32 v22, 32, v11
	v_subrev_nc_u32_e32 v11, 28, v22
	v_lshlrev_b64 v[11:12], v11, v[2:3]
	v_sub_nc_u32_e32 v12, 29, v22
	v_and_b32_e32 v11, 7, v11
; %bb.2153:                             ;   in Loop: Header=BB300_1564 Depth=1
	s_or_b32 exec_lo, exec_lo, s21
	v_lshlrev_b32_e32 v2, 8, v2
	v_lshl_add_u32 v12, v12, 10, 0x2000
	v_lshlrev_b32_e32 v11, 23, v11
	v_and_or_b32 v2, 0x8000, v2, v12
	v_lshl_or_b32 v11, v2, 16, v11
.LBB300_2154:                           ;   in Loop: Header=BB300_1564 Depth=1
	s_or_b32 exec_lo, exec_lo, s20
.LBB300_2155:                           ;   in Loop: Header=BB300_1564 Depth=1
	s_or_b32 exec_lo, exec_lo, s19
.LBB300_2156:                           ;   in Loop: Header=BB300_1564 Depth=1
	s_or_b32 exec_lo, exec_lo, s18
	v_or_b32_e32 v2, v19, v28
	s_waitcnt vmcnt(0) lgkmcnt(0)
	v_fma_mixlo_f16 v12, v0, v19, 0 op_sel:[0,1,0] op_sel_hi:[0,1,0]
	v_or_b32_e32 v19, v1, v18
	v_or_b32_e32 v22, v43, v31
	;; [unrolled: 1-line block ×3, first 2 shown]
	v_fma_mixlo_f16 v18, v0, v1, 0 op_sel:[0,1,0] op_sel_hi:[0,1,0]
	v_fma_mixlo_f16 v2, v0, v2, 0 op_sel_hi:[0,1,0]
	v_lshlrev_b32_e32 v1, 16, v12
	v_fma_mixlo_f16 v12, v0, v19, 0 op_sel_hi:[0,1,0]
	v_fma_mixlo_f16 v19, v0, v43, 0 op_sel:[0,1,0] op_sel_hi:[0,1,0]
	v_fma_mixlo_f16 v22, v0, v22, 0 op_sel_hi:[0,1,0]
	v_fma_mixlo_f16 v29, v0, v11, 0 op_sel:[0,1,0] op_sel_hi:[0,1,0]
	v_fma_mixlo_f16 v23, v0, v23, 0 op_sel_hi:[0,1,0]
	v_lshlrev_b32_e32 v18, 16, v18
	v_and_b32_e32 v2, 0xffff, v2
	v_and_b32_e32 v44, 0xffff, v12
	v_lshlrev_b32_e32 v11, 16, v19
	v_and_b32_e32 v28, 0xffff, v22
	v_lshlrev_b32_e32 v0, 16, v29
	v_and_b32_e32 v12, 0xffff, v23
	v_or_b32_e32 v19, v1, v2
	v_or_b32_e32 v43, v18, v44
	;; [unrolled: 1-line block ×4, first 2 shown]
	s_and_saveexec_b32 s18, vcc_lo
	s_cbranch_execz .LBB300_2158
; %bb.2157:                             ;   in Loop: Header=BB300_1564 Depth=1
	v_cmp_lt_i32_e64 s4, v71, v30
	v_cndmask_b32_e64 v19, 0, v44, s4
	v_cmp_lt_i32_e64 s4, v100, v30
	v_cndmask_b32_e64 v18, 0, v18, s4
	v_cmp_lt_i32_e64 s4, v99, v30
	v_or_b32_e32 v43, v19, v18
	v_cndmask_b32_e64 v2, 0, v2, s4
	v_cmp_lt_i32_e64 s4, v98, v30
	v_cndmask_b32_e64 v1, 0, v1, s4
	v_cmp_lt_i32_e64 s4, v97, v30
	v_or_b32_e32 v19, v2, v1
	;; [unrolled: 5-line block ×3, first 2 shown]
	v_cndmask_b32_e64 v12, 0, v12, s4
	v_cmp_lt_i32_e64 s4, v86, v30
	v_cndmask_b32_e64 v0, 0, v0, s4
	v_or_b32_e32 v29, v12, v0
.LBB300_2158:                           ;   in Loop: Header=BB300_1564 Depth=1
	s_or_b32 exec_lo, exec_lo, s18
	;;#ASMSTART
	v_pk_mul_f16 v0, v83, v43;

	;;#ASMEND
	;;#ASMSTART
	v_pk_mul_f16 v1, v82, v19;

	;;#ASMEND
	;; [unrolled: 4-line block ×4, first 2 shown]
	;;#ASMSTART
	v_pk_add_f16 v0, v0, v1;

	;;#ASMEND
	;;#ASMSTART
	v_pk_add_f16 v0, v0, v2;

	;;#ASMEND
	;; [unrolled: 4-line block ×3, first 2 shown]
	v_and_b32_e32 v1, 0xffff, v0
	v_lshrrev_b32_e32 v0, 16, v0
	;;#ASMSTART
	v_cvt_f32_f16 v43, v1;
	;;#ASMEND
	;;#ASMSTART
	v_cvt_f32_f16 v44, v0;
	;;#ASMEND
	flat_load_dwordx2 v[11:12], v[9:10] offset:256
	flat_load_dword v0, v[106:107]
	v_mov_b32_e32 v1, 0
	v_mov_b32_e32 v18, 0
	s_waitcnt vmcnt(1) lgkmcnt(1)
	v_cmp_ne_u16_sdwa s4, v11, v3 src0_sel:BYTE_0 src1_sel:DWORD
	s_and_saveexec_b32 s18, s4
	s_cbranch_execz .LBB300_2166
; %bb.2159:                             ;   in Loop: Header=BB300_1564 Depth=1
	v_cmp_ne_u16_sdwa s4, v11, v67 src0_sel:BYTE_0 src1_sel:DWORD
	v_mov_b32_e32 v18, 0x8000
	s_and_saveexec_b32 s19, s4
	s_cbranch_execz .LBB300_2165
; %bb.2160:                             ;   in Loop: Header=BB300_1564 Depth=1
	v_and_b32_e32 v19, 0x7f, v11
	v_mov_b32_e32 v18, 0x7c01
	s_mov_b32 s20, exec_lo
	v_cmpx_ne_u32_e32 0x7f, v19
	s_cbranch_execz .LBB300_2164
; %bb.2161:                             ;   in Loop: Header=BB300_1564 Depth=1
	v_and_b32_e32 v2, 7, v11
	v_lshrrev_b32_e32 v18, 3, v19
	s_mov_b32 s21, exec_lo
	v_cmpx_gt_u32_e32 8, v19
; %bb.2162:                             ;   in Loop: Header=BB300_1564 Depth=1
	v_ffbh_u32_e32 v2, v2
	v_min_u32_e32 v2, 32, v2
	v_subrev_nc_u32_e32 v18, 28, v2
	v_lshlrev_b64 v[22:23], v18, v[11:12]
	v_sub_nc_u32_e32 v18, 29, v2
	v_and_b32_e32 v2, 7, v22
; %bb.2163:                             ;   in Loop: Header=BB300_1564 Depth=1
	s_or_b32 exec_lo, exec_lo, s21
	v_lshlrev_b32_e32 v19, 8, v11
	v_lshl_add_u32 v18, v18, 10, 0x2000
	v_lshlrev_b32_e32 v2, 7, v2
	v_and_b32_e32 v19, 0x8000, v19
	v_and_b32_e32 v18, 0xfc00, v18
	v_or3_b32 v18, v19, v18, v2
.LBB300_2164:                           ;   in Loop: Header=BB300_1564 Depth=1
	s_or_b32 exec_lo, exec_lo, s20
.LBB300_2165:                           ;   in Loop: Header=BB300_1564 Depth=1
	s_or_b32 exec_lo, exec_lo, s19
.LBB300_2166:                           ;   in Loop: Header=BB300_1564 Depth=1
	s_or_b32 exec_lo, exec_lo, s18
	v_lshrrev_b16 v2, 8, v11
	s_mov_b32 s18, exec_lo
	v_cmpx_ne_u16_e32 0, v2
	s_cbranch_execz .LBB300_2174
; %bb.2167:                             ;   in Loop: Header=BB300_1564 Depth=1
	v_bfrev_b32_e32 v1, 1
	s_mov_b32 s19, exec_lo
	v_cmpx_ne_u16_e32 0x80, v2
	s_cbranch_execz .LBB300_2173
; %bb.2168:                             ;   in Loop: Header=BB300_1564 Depth=1
	v_and_b32_sdwa v28, v2, v68 dst_sel:DWORD dst_unused:UNUSED_PAD src0_sel:WORD_0 src1_sel:DWORD
	v_mov_b32_e32 v1, 0x7c010000
	s_mov_b32 s20, exec_lo
	v_cmpx_ne_u32_e32 0x7f, v28
	s_cbranch_execz .LBB300_2172
; %bb.2169:                             ;   in Loop: Header=BB300_1564 Depth=1
	v_and_b32_sdwa v1, v2, v69 dst_sel:DWORD dst_unused:UNUSED_PAD src0_sel:WORD_0 src1_sel:DWORD
	v_lshrrev_b32_e32 v19, 3, v28
	s_mov_b32 s21, exec_lo
	v_cmpx_gt_u32_e32 8, v28
; %bb.2170:                             ;   in Loop: Header=BB300_1564 Depth=1
	v_ffbh_u32_e32 v1, v1
	v_min_u32_e32 v1, 32, v1
	v_subrev_nc_u32_e32 v19, 28, v1
	v_lshlrev_b64 v[22:23], v19, v[2:3]
	v_sub_nc_u32_e32 v19, 29, v1
	v_and_b32_e32 v1, 7, v22
; %bb.2171:                             ;   in Loop: Header=BB300_1564 Depth=1
	s_or_b32 exec_lo, exec_lo, s21
	v_lshlrev_b32_sdwa v2, v70, v2 dst_sel:DWORD dst_unused:UNUSED_PAD src0_sel:DWORD src1_sel:WORD_0
	v_lshl_add_u32 v19, v19, 10, 0x2000
	v_lshlrev_b32_e32 v1, 23, v1
	v_and_or_b32 v2, 0x8000, v2, v19
	v_lshl_or_b32 v1, v2, 16, v1
.LBB300_2172:                           ;   in Loop: Header=BB300_1564 Depth=1
	s_or_b32 exec_lo, exec_lo, s20
.LBB300_2173:                           ;   in Loop: Header=BB300_1564 Depth=1
	s_or_b32 exec_lo, exec_lo, s19
.LBB300_2174:                           ;   in Loop: Header=BB300_1564 Depth=1
	s_or_b32 exec_lo, exec_lo, s18
	v_lshrrev_b32_e32 v2, 16, v11
	v_mov_b32_e32 v19, 0
	v_mov_b32_e32 v28, 0
	v_cmp_ne_u16_sdwa s4, v2, v3 src0_sel:BYTE_0 src1_sel:DWORD
	s_and_saveexec_b32 s18, s4
	s_cbranch_execz .LBB300_2182
; %bb.2175:                             ;   in Loop: Header=BB300_1564 Depth=1
	v_cmp_ne_u16_sdwa s4, v2, v67 src0_sel:BYTE_0 src1_sel:DWORD
	v_mov_b32_e32 v28, 0x8000
	s_and_saveexec_b32 s19, s4
	s_cbranch_execz .LBB300_2181
; %bb.2176:                             ;   in Loop: Header=BB300_1564 Depth=1
	v_bfe_u32 v31, v11, 16, 7
	v_mov_b32_e32 v28, 0x7c01
	s_mov_b32 s20, exec_lo
	v_cmpx_ne_u32_e32 0x7f, v31
	s_cbranch_execz .LBB300_2180
; %bb.2177:                             ;   in Loop: Header=BB300_1564 Depth=1
	v_and_b32_e32 v28, 7, v2
	v_lshrrev_b32_e32 v29, 3, v31
	s_mov_b32 s21, exec_lo
	v_cmpx_gt_u32_e32 8, v31
; %bb.2178:                             ;   in Loop: Header=BB300_1564 Depth=1
	v_ffbh_u32_e32 v22, v28
	v_min_u32_e32 v28, 32, v22
	v_subrev_nc_u32_e32 v22, 28, v28
	v_sub_nc_u32_e32 v29, 29, v28
	v_lshlrev_b64 v[22:23], v22, v[2:3]
	v_and_b32_e32 v28, 7, v22
; %bb.2179:                             ;   in Loop: Header=BB300_1564 Depth=1
	s_or_b32 exec_lo, exec_lo, s21
	v_lshlrev_b32_e32 v2, 8, v2
	v_lshl_add_u32 v22, v29, 10, 0x2000
	v_lshlrev_b32_e32 v23, 7, v28
	v_and_b32_e32 v2, 0x8000, v2
	v_and_b32_e32 v22, 0xfc00, v22
	v_or3_b32 v28, v2, v22, v23
.LBB300_2180:                           ;   in Loop: Header=BB300_1564 Depth=1
	s_or_b32 exec_lo, exec_lo, s20
.LBB300_2181:                           ;   in Loop: Header=BB300_1564 Depth=1
	s_or_b32 exec_lo, exec_lo, s19
.LBB300_2182:                           ;   in Loop: Header=BB300_1564 Depth=1
	s_or_b32 exec_lo, exec_lo, s18
	s_mov_b32 s18, exec_lo
	v_cmpx_lt_u32_e32 0xffffff, v11
	s_cbranch_execz .LBB300_2190
; %bb.2183:                             ;   in Loop: Header=BB300_1564 Depth=1
	v_lshrrev_b32_e32 v2, 24, v11
	v_bfrev_b32_e32 v19, 1
	s_mov_b32 s19, exec_lo
	v_cmpx_ne_u32_e32 0x80, v2
	s_cbranch_execz .LBB300_2189
; %bb.2184:                             ;   in Loop: Header=BB300_1564 Depth=1
	v_and_b32_e32 v31, 0x7f, v2
	v_mov_b32_e32 v19, 0x7c010000
	s_mov_b32 s20, exec_lo
	v_cmpx_ne_u32_e32 0x7f, v31
	s_cbranch_execz .LBB300_2188
; %bb.2185:                             ;   in Loop: Header=BB300_1564 Depth=1
	v_and_b32_e32 v19, 7, v2
	v_lshrrev_b32_e32 v29, 3, v31
	s_mov_b32 s21, exec_lo
	v_cmpx_gt_u32_e32 8, v31
; %bb.2186:                             ;   in Loop: Header=BB300_1564 Depth=1
	v_ffbh_u32_e32 v19, v19
	v_min_u32_e32 v19, 32, v19
	v_subrev_nc_u32_e32 v22, 28, v19
	v_sub_nc_u32_e32 v29, 29, v19
	v_lshlrev_b64 v[22:23], v22, v[2:3]
	v_and_b32_e32 v19, 7, v22
; %bb.2187:                             ;   in Loop: Header=BB300_1564 Depth=1
	s_or_b32 exec_lo, exec_lo, s21
	v_lshlrev_b32_e32 v2, 8, v2
	v_lshl_add_u32 v22, v29, 10, 0x2000
	v_lshlrev_b32_e32 v19, 23, v19
	v_and_or_b32 v2, 0x8000, v2, v22
	v_lshl_or_b32 v19, v2, 16, v19
.LBB300_2188:                           ;   in Loop: Header=BB300_1564 Depth=1
	s_or_b32 exec_lo, exec_lo, s20
.LBB300_2189:                           ;   in Loop: Header=BB300_1564 Depth=1
	s_or_b32 exec_lo, exec_lo, s19
.LBB300_2190:                           ;   in Loop: Header=BB300_1564 Depth=1
	s_or_b32 exec_lo, exec_lo, s18
	v_mov_b32_e32 v2, v12
	v_cmp_ne_u16_sdwa s4, v12, v3 src0_sel:BYTE_0 src1_sel:DWORD
	v_mov_b32_e32 v29, 0
	v_mov_b32_e32 v31, 0
	s_and_saveexec_b32 s18, s4
	s_cbranch_execz .LBB300_2198
; %bb.2191:                             ;   in Loop: Header=BB300_1564 Depth=1
	v_cmp_ne_u16_sdwa s4, v12, v67 src0_sel:BYTE_0 src1_sel:DWORD
	v_mov_b32_e32 v31, 0x8000
	s_and_saveexec_b32 s19, s4
	s_cbranch_execz .LBB300_2197
; %bb.2192:                             ;   in Loop: Header=BB300_1564 Depth=1
	v_and_b32_e32 v46, 0x7f, v12
	v_mov_b32_e32 v31, 0x7c01
	s_mov_b32 s20, exec_lo
	v_cmpx_ne_u32_e32 0x7f, v46
	s_cbranch_execz .LBB300_2196
; %bb.2193:                             ;   in Loop: Header=BB300_1564 Depth=1
	v_and_b32_e32 v31, 7, v12
	v_lshrrev_b32_e32 v45, 3, v46
	s_mov_b32 s21, exec_lo
	v_cmpx_gt_u32_e32 8, v46
; %bb.2194:                             ;   in Loop: Header=BB300_1564 Depth=1
	v_ffbh_u32_e32 v22, v31
	v_min_u32_e32 v31, 32, v22
	v_subrev_nc_u32_e32 v22, 28, v31
	v_sub_nc_u32_e32 v45, 29, v31
	v_lshlrev_b64 v[22:23], v22, v[2:3]
	v_and_b32_e32 v31, 7, v22
; %bb.2195:                             ;   in Loop: Header=BB300_1564 Depth=1
	s_or_b32 exec_lo, exec_lo, s21
	v_lshlrev_b32_e32 v22, 8, v12
	v_lshl_add_u32 v23, v45, 10, 0x2000
	v_lshlrev_b32_e32 v31, 7, v31
	v_and_b32_e32 v22, 0x8000, v22
	v_and_b32_e32 v23, 0xfc00, v23
	v_or3_b32 v31, v22, v23, v31
.LBB300_2196:                           ;   in Loop: Header=BB300_1564 Depth=1
	s_or_b32 exec_lo, exec_lo, s20
.LBB300_2197:                           ;   in Loop: Header=BB300_1564 Depth=1
	s_or_b32 exec_lo, exec_lo, s19
.LBB300_2198:                           ;   in Loop: Header=BB300_1564 Depth=1
	s_or_b32 exec_lo, exec_lo, s18
	v_lshrrev_b16 v2, 8, v2
	v_mov_b32_e32 v45, 0
	s_mov_b32 s18, exec_lo
	v_cmpx_ne_u16_e32 0, v2
	s_cbranch_execz .LBB300_2206
; %bb.2199:                             ;   in Loop: Header=BB300_1564 Depth=1
	v_bfrev_b32_e32 v45, 1
	s_mov_b32 s19, exec_lo
	v_cmpx_ne_u16_e32 0x80, v2
	s_cbranch_execz .LBB300_2205
; %bb.2200:                             ;   in Loop: Header=BB300_1564 Depth=1
	v_and_b32_sdwa v47, v2, v68 dst_sel:DWORD dst_unused:UNUSED_PAD src0_sel:WORD_0 src1_sel:DWORD
	v_mov_b32_e32 v45, 0x7c010000
	s_mov_b32 s20, exec_lo
	v_cmpx_ne_u32_e32 0x7f, v47
	s_cbranch_execz .LBB300_2204
; %bb.2201:                             ;   in Loop: Header=BB300_1564 Depth=1
	v_and_b32_sdwa v45, v2, v69 dst_sel:DWORD dst_unused:UNUSED_PAD src0_sel:WORD_0 src1_sel:DWORD
	v_lshrrev_b32_e32 v46, 3, v47
	s_mov_b32 s21, exec_lo
	v_cmpx_gt_u32_e32 8, v47
; %bb.2202:                             ;   in Loop: Header=BB300_1564 Depth=1
	v_ffbh_u32_e32 v22, v45
	v_min_u32_e32 v45, 32, v22
	v_subrev_nc_u32_e32 v22, 28, v45
	v_sub_nc_u32_e32 v46, 29, v45
	v_lshlrev_b64 v[22:23], v22, v[2:3]
	v_and_b32_e32 v45, 7, v22
; %bb.2203:                             ;   in Loop: Header=BB300_1564 Depth=1
	s_or_b32 exec_lo, exec_lo, s21
	v_lshlrev_b32_sdwa v2, v70, v2 dst_sel:DWORD dst_unused:UNUSED_PAD src0_sel:DWORD src1_sel:WORD_0
	v_lshl_add_u32 v22, v46, 10, 0x2000
	v_and_or_b32 v2, 0x8000, v2, v22
	v_lshlrev_b32_e32 v22, 23, v45
	v_lshl_or_b32 v45, v2, 16, v22
.LBB300_2204:                           ;   in Loop: Header=BB300_1564 Depth=1
	s_or_b32 exec_lo, exec_lo, s20
.LBB300_2205:                           ;   in Loop: Header=BB300_1564 Depth=1
	s_or_b32 exec_lo, exec_lo, s19
.LBB300_2206:                           ;   in Loop: Header=BB300_1564 Depth=1
	s_or_b32 exec_lo, exec_lo, s18
	v_lshrrev_b32_e32 v2, 16, v12
	v_cmp_ne_u16_sdwa s4, v2, v3 src0_sel:BYTE_0 src1_sel:DWORD
	s_and_saveexec_b32 s18, s4
	s_cbranch_execz .LBB300_2214
; %bb.2207:                             ;   in Loop: Header=BB300_1564 Depth=1
	v_cmp_ne_u16_sdwa s4, v2, v67 src0_sel:BYTE_0 src1_sel:DWORD
	v_mov_b32_e32 v29, 0x8000
	s_and_saveexec_b32 s19, s4
	s_cbranch_execz .LBB300_2213
; %bb.2208:                             ;   in Loop: Header=BB300_1564 Depth=1
	v_bfe_u32 v47, v12, 16, 7
	v_mov_b32_e32 v29, 0x7c01
	s_mov_b32 s20, exec_lo
	v_cmpx_ne_u32_e32 0x7f, v47
	s_cbranch_execz .LBB300_2212
; %bb.2209:                             ;   in Loop: Header=BB300_1564 Depth=1
	v_and_b32_e32 v29, 7, v2
	v_lshrrev_b32_e32 v46, 3, v47
	s_mov_b32 s21, exec_lo
	v_cmpx_gt_u32_e32 8, v47
; %bb.2210:                             ;   in Loop: Header=BB300_1564 Depth=1
	v_ffbh_u32_e32 v22, v29
	v_min_u32_e32 v29, 32, v22
	v_subrev_nc_u32_e32 v22, 28, v29
	v_sub_nc_u32_e32 v46, 29, v29
	v_lshlrev_b64 v[22:23], v22, v[2:3]
	v_and_b32_e32 v29, 7, v22
; %bb.2211:                             ;   in Loop: Header=BB300_1564 Depth=1
	s_or_b32 exec_lo, exec_lo, s21
	v_lshlrev_b32_e32 v2, 8, v2
	v_lshl_add_u32 v22, v46, 10, 0x2000
	v_lshlrev_b32_e32 v23, 7, v29
	v_and_b32_e32 v2, 0x8000, v2
	v_and_b32_e32 v22, 0xfc00, v22
	v_or3_b32 v29, v2, v22, v23
.LBB300_2212:                           ;   in Loop: Header=BB300_1564 Depth=1
	s_or_b32 exec_lo, exec_lo, s20
.LBB300_2213:                           ;   in Loop: Header=BB300_1564 Depth=1
	s_or_b32 exec_lo, exec_lo, s19
.LBB300_2214:                           ;   in Loop: Header=BB300_1564 Depth=1
	s_or_b32 exec_lo, exec_lo, s18
	v_cmp_lt_u64_e64 s4, s[6:7], v[11:12]
	v_mov_b32_e32 v11, 0
	s_and_saveexec_b32 s18, s4
	s_cbranch_execz .LBB300_2222
; %bb.2215:                             ;   in Loop: Header=BB300_1564 Depth=1
	v_lshrrev_b32_e32 v2, 24, v12
	v_bfrev_b32_e32 v11, 1
	s_mov_b32 s19, exec_lo
	v_cmpx_ne_u32_e32 0x80, v2
	s_cbranch_execz .LBB300_2221
; %bb.2216:                             ;   in Loop: Header=BB300_1564 Depth=1
	v_and_b32_e32 v46, 0x7f, v2
	v_mov_b32_e32 v11, 0x7c010000
	s_mov_b32 s20, exec_lo
	v_cmpx_ne_u32_e32 0x7f, v46
	s_cbranch_execz .LBB300_2220
; %bb.2217:                             ;   in Loop: Header=BB300_1564 Depth=1
	v_and_b32_e32 v11, 7, v2
	v_lshrrev_b32_e32 v12, 3, v46
	s_mov_b32 s21, exec_lo
	v_cmpx_gt_u32_e32 8, v46
; %bb.2218:                             ;   in Loop: Header=BB300_1564 Depth=1
	v_ffbh_u32_e32 v11, v11
	v_min_u32_e32 v22, 32, v11
	v_subrev_nc_u32_e32 v11, 28, v22
	v_lshlrev_b64 v[11:12], v11, v[2:3]
	v_sub_nc_u32_e32 v12, 29, v22
	v_and_b32_e32 v11, 7, v11
; %bb.2219:                             ;   in Loop: Header=BB300_1564 Depth=1
	s_or_b32 exec_lo, exec_lo, s21
	v_lshlrev_b32_e32 v2, 8, v2
	v_lshl_add_u32 v12, v12, 10, 0x2000
	v_lshlrev_b32_e32 v11, 23, v11
	v_and_or_b32 v2, 0x8000, v2, v12
	v_lshl_or_b32 v11, v2, 16, v11
.LBB300_2220:                           ;   in Loop: Header=BB300_1564 Depth=1
	s_or_b32 exec_lo, exec_lo, s20
.LBB300_2221:                           ;   in Loop: Header=BB300_1564 Depth=1
	s_or_b32 exec_lo, exec_lo, s19
.LBB300_2222:                           ;   in Loop: Header=BB300_1564 Depth=1
	s_or_b32 exec_lo, exec_lo, s18
	v_or_b32_e32 v2, v19, v28
	s_waitcnt vmcnt(0) lgkmcnt(0)
	v_fma_mixlo_f16 v12, v0, v19, 0 op_sel:[0,1,0] op_sel_hi:[0,1,0]
	v_or_b32_e32 v19, v1, v18
	v_or_b32_e32 v22, v45, v31
	;; [unrolled: 1-line block ×3, first 2 shown]
	v_fma_mixlo_f16 v18, v0, v1, 0 op_sel:[0,1,0] op_sel_hi:[0,1,0]
	v_fma_mixlo_f16 v2, v0, v2, 0 op_sel_hi:[0,1,0]
	v_lshlrev_b32_e32 v1, 16, v12
	v_fma_mixlo_f16 v12, v0, v19, 0 op_sel_hi:[0,1,0]
	v_fma_mixlo_f16 v19, v0, v45, 0 op_sel:[0,1,0] op_sel_hi:[0,1,0]
	v_fma_mixlo_f16 v22, v0, v22, 0 op_sel_hi:[0,1,0]
	v_fma_mixlo_f16 v29, v0, v11, 0 op_sel:[0,1,0] op_sel_hi:[0,1,0]
	v_fma_mixlo_f16 v23, v0, v23, 0 op_sel_hi:[0,1,0]
	v_lshlrev_b32_e32 v18, 16, v18
	v_and_b32_e32 v2, 0xffff, v2
	v_and_b32_e32 v46, 0xffff, v12
	v_lshlrev_b32_e32 v11, 16, v19
	v_and_b32_e32 v28, 0xffff, v22
	v_lshlrev_b32_e32 v0, 16, v29
	v_and_b32_e32 v12, 0xffff, v23
	v_or_b32_e32 v19, v1, v2
	v_or_b32_e32 v45, v18, v46
	;; [unrolled: 1-line block ×4, first 2 shown]
	s_and_saveexec_b32 s18, vcc_lo
	s_cbranch_execz .LBB300_2224
; %bb.2223:                             ;   in Loop: Header=BB300_1564 Depth=1
	v_cmp_lt_i32_e64 s4, v71, v30
	v_cndmask_b32_e64 v19, 0, v46, s4
	v_cmp_lt_i32_e64 s4, v100, v30
	v_cndmask_b32_e64 v18, 0, v18, s4
	v_cmp_lt_i32_e64 s4, v99, v30
	v_or_b32_e32 v45, v19, v18
	v_cndmask_b32_e64 v2, 0, v2, s4
	v_cmp_lt_i32_e64 s4, v98, v30
	v_cndmask_b32_e64 v1, 0, v1, s4
	v_cmp_lt_i32_e64 s4, v97, v30
	v_or_b32_e32 v19, v2, v1
	;; [unrolled: 5-line block ×3, first 2 shown]
	v_cndmask_b32_e64 v12, 0, v12, s4
	v_cmp_lt_i32_e64 s4, v86, v30
	v_cndmask_b32_e64 v0, 0, v0, s4
	v_or_b32_e32 v29, v12, v0
.LBB300_2224:                           ;   in Loop: Header=BB300_1564 Depth=1
	s_or_b32 exec_lo, exec_lo, s18
	;;#ASMSTART
	v_pk_mul_f16 v0, v83, v45;

	;;#ASMEND
	;;#ASMSTART
	v_pk_mul_f16 v1, v82, v19;

	;;#ASMEND
	;; [unrolled: 4-line block ×4, first 2 shown]
	;;#ASMSTART
	v_pk_add_f16 v0, v0, v1;

	;;#ASMEND
	;;#ASMSTART
	v_pk_add_f16 v0, v0, v2;

	;;#ASMEND
	;; [unrolled: 4-line block ×3, first 2 shown]
	v_and_b32_e32 v1, 0xffff, v0
	v_lshrrev_b32_e32 v0, 16, v0
	;;#ASMSTART
	v_cvt_f32_f16 v45, v1;
	;;#ASMEND
	;;#ASMSTART
	v_cvt_f32_f16 v46, v0;
	;;#ASMEND
	flat_load_dwordx2 v[11:12], v[9:10] offset:512
	flat_load_dword v0, v[106:107]
	v_mov_b32_e32 v1, 0
	v_mov_b32_e32 v18, 0
	s_waitcnt vmcnt(1) lgkmcnt(1)
	v_cmp_ne_u16_sdwa s4, v11, v3 src0_sel:BYTE_0 src1_sel:DWORD
	s_and_saveexec_b32 s18, s4
	s_cbranch_execz .LBB300_2232
; %bb.2225:                             ;   in Loop: Header=BB300_1564 Depth=1
	v_cmp_ne_u16_sdwa s4, v11, v67 src0_sel:BYTE_0 src1_sel:DWORD
	v_mov_b32_e32 v18, 0x8000
	s_and_saveexec_b32 s19, s4
	s_cbranch_execz .LBB300_2231
; %bb.2226:                             ;   in Loop: Header=BB300_1564 Depth=1
	v_and_b32_e32 v19, 0x7f, v11
	v_mov_b32_e32 v18, 0x7c01
	s_mov_b32 s20, exec_lo
	v_cmpx_ne_u32_e32 0x7f, v19
	s_cbranch_execz .LBB300_2230
; %bb.2227:                             ;   in Loop: Header=BB300_1564 Depth=1
	v_and_b32_e32 v2, 7, v11
	v_lshrrev_b32_e32 v18, 3, v19
	s_mov_b32 s21, exec_lo
	v_cmpx_gt_u32_e32 8, v19
; %bb.2228:                             ;   in Loop: Header=BB300_1564 Depth=1
	v_ffbh_u32_e32 v2, v2
	v_min_u32_e32 v2, 32, v2
	v_subrev_nc_u32_e32 v18, 28, v2
	v_lshlrev_b64 v[22:23], v18, v[11:12]
	v_sub_nc_u32_e32 v18, 29, v2
	v_and_b32_e32 v2, 7, v22
; %bb.2229:                             ;   in Loop: Header=BB300_1564 Depth=1
	s_or_b32 exec_lo, exec_lo, s21
	v_lshlrev_b32_e32 v19, 8, v11
	v_lshl_add_u32 v18, v18, 10, 0x2000
	v_lshlrev_b32_e32 v2, 7, v2
	v_and_b32_e32 v19, 0x8000, v19
	v_and_b32_e32 v18, 0xfc00, v18
	v_or3_b32 v18, v19, v18, v2
.LBB300_2230:                           ;   in Loop: Header=BB300_1564 Depth=1
	s_or_b32 exec_lo, exec_lo, s20
.LBB300_2231:                           ;   in Loop: Header=BB300_1564 Depth=1
	s_or_b32 exec_lo, exec_lo, s19
.LBB300_2232:                           ;   in Loop: Header=BB300_1564 Depth=1
	s_or_b32 exec_lo, exec_lo, s18
	v_lshrrev_b16 v2, 8, v11
	s_mov_b32 s18, exec_lo
	v_cmpx_ne_u16_e32 0, v2
	s_cbranch_execz .LBB300_2240
; %bb.2233:                             ;   in Loop: Header=BB300_1564 Depth=1
	v_bfrev_b32_e32 v1, 1
	s_mov_b32 s19, exec_lo
	v_cmpx_ne_u16_e32 0x80, v2
	s_cbranch_execz .LBB300_2239
; %bb.2234:                             ;   in Loop: Header=BB300_1564 Depth=1
	v_and_b32_sdwa v28, v2, v68 dst_sel:DWORD dst_unused:UNUSED_PAD src0_sel:WORD_0 src1_sel:DWORD
	v_mov_b32_e32 v1, 0x7c010000
	s_mov_b32 s20, exec_lo
	v_cmpx_ne_u32_e32 0x7f, v28
	s_cbranch_execz .LBB300_2238
; %bb.2235:                             ;   in Loop: Header=BB300_1564 Depth=1
	v_and_b32_sdwa v1, v2, v69 dst_sel:DWORD dst_unused:UNUSED_PAD src0_sel:WORD_0 src1_sel:DWORD
	v_lshrrev_b32_e32 v19, 3, v28
	s_mov_b32 s21, exec_lo
	v_cmpx_gt_u32_e32 8, v28
; %bb.2236:                             ;   in Loop: Header=BB300_1564 Depth=1
	v_ffbh_u32_e32 v1, v1
	v_min_u32_e32 v1, 32, v1
	v_subrev_nc_u32_e32 v19, 28, v1
	v_lshlrev_b64 v[22:23], v19, v[2:3]
	v_sub_nc_u32_e32 v19, 29, v1
	v_and_b32_e32 v1, 7, v22
; %bb.2237:                             ;   in Loop: Header=BB300_1564 Depth=1
	s_or_b32 exec_lo, exec_lo, s21
	v_lshlrev_b32_sdwa v2, v70, v2 dst_sel:DWORD dst_unused:UNUSED_PAD src0_sel:DWORD src1_sel:WORD_0
	v_lshl_add_u32 v19, v19, 10, 0x2000
	v_lshlrev_b32_e32 v1, 23, v1
	v_and_or_b32 v2, 0x8000, v2, v19
	v_lshl_or_b32 v1, v2, 16, v1
.LBB300_2238:                           ;   in Loop: Header=BB300_1564 Depth=1
	s_or_b32 exec_lo, exec_lo, s20
.LBB300_2239:                           ;   in Loop: Header=BB300_1564 Depth=1
	s_or_b32 exec_lo, exec_lo, s19
.LBB300_2240:                           ;   in Loop: Header=BB300_1564 Depth=1
	s_or_b32 exec_lo, exec_lo, s18
	v_lshrrev_b32_e32 v2, 16, v11
	v_mov_b32_e32 v19, 0
	v_mov_b32_e32 v28, 0
	v_cmp_ne_u16_sdwa s4, v2, v3 src0_sel:BYTE_0 src1_sel:DWORD
	s_and_saveexec_b32 s18, s4
	s_cbranch_execz .LBB300_2248
; %bb.2241:                             ;   in Loop: Header=BB300_1564 Depth=1
	v_cmp_ne_u16_sdwa s4, v2, v67 src0_sel:BYTE_0 src1_sel:DWORD
	v_mov_b32_e32 v28, 0x8000
	s_and_saveexec_b32 s19, s4
	s_cbranch_execz .LBB300_2247
; %bb.2242:                             ;   in Loop: Header=BB300_1564 Depth=1
	v_bfe_u32 v31, v11, 16, 7
	v_mov_b32_e32 v28, 0x7c01
	s_mov_b32 s20, exec_lo
	v_cmpx_ne_u32_e32 0x7f, v31
	s_cbranch_execz .LBB300_2246
; %bb.2243:                             ;   in Loop: Header=BB300_1564 Depth=1
	v_and_b32_e32 v28, 7, v2
	v_lshrrev_b32_e32 v29, 3, v31
	s_mov_b32 s21, exec_lo
	v_cmpx_gt_u32_e32 8, v31
; %bb.2244:                             ;   in Loop: Header=BB300_1564 Depth=1
	v_ffbh_u32_e32 v22, v28
	v_min_u32_e32 v28, 32, v22
	v_subrev_nc_u32_e32 v22, 28, v28
	v_sub_nc_u32_e32 v29, 29, v28
	v_lshlrev_b64 v[22:23], v22, v[2:3]
	v_and_b32_e32 v28, 7, v22
; %bb.2245:                             ;   in Loop: Header=BB300_1564 Depth=1
	s_or_b32 exec_lo, exec_lo, s21
	v_lshlrev_b32_e32 v2, 8, v2
	v_lshl_add_u32 v22, v29, 10, 0x2000
	v_lshlrev_b32_e32 v23, 7, v28
	v_and_b32_e32 v2, 0x8000, v2
	v_and_b32_e32 v22, 0xfc00, v22
	v_or3_b32 v28, v2, v22, v23
.LBB300_2246:                           ;   in Loop: Header=BB300_1564 Depth=1
	s_or_b32 exec_lo, exec_lo, s20
.LBB300_2247:                           ;   in Loop: Header=BB300_1564 Depth=1
	s_or_b32 exec_lo, exec_lo, s19
.LBB300_2248:                           ;   in Loop: Header=BB300_1564 Depth=1
	s_or_b32 exec_lo, exec_lo, s18
	s_mov_b32 s18, exec_lo
	v_cmpx_lt_u32_e32 0xffffff, v11
	s_cbranch_execz .LBB300_2256
; %bb.2249:                             ;   in Loop: Header=BB300_1564 Depth=1
	v_lshrrev_b32_e32 v2, 24, v11
	v_bfrev_b32_e32 v19, 1
	s_mov_b32 s19, exec_lo
	v_cmpx_ne_u32_e32 0x80, v2
	s_cbranch_execz .LBB300_2255
; %bb.2250:                             ;   in Loop: Header=BB300_1564 Depth=1
	v_and_b32_e32 v31, 0x7f, v2
	v_mov_b32_e32 v19, 0x7c010000
	s_mov_b32 s20, exec_lo
	v_cmpx_ne_u32_e32 0x7f, v31
	s_cbranch_execz .LBB300_2254
; %bb.2251:                             ;   in Loop: Header=BB300_1564 Depth=1
	v_and_b32_e32 v19, 7, v2
	v_lshrrev_b32_e32 v29, 3, v31
	s_mov_b32 s21, exec_lo
	v_cmpx_gt_u32_e32 8, v31
; %bb.2252:                             ;   in Loop: Header=BB300_1564 Depth=1
	v_ffbh_u32_e32 v19, v19
	v_min_u32_e32 v19, 32, v19
	v_subrev_nc_u32_e32 v22, 28, v19
	v_sub_nc_u32_e32 v29, 29, v19
	v_lshlrev_b64 v[22:23], v22, v[2:3]
	v_and_b32_e32 v19, 7, v22
; %bb.2253:                             ;   in Loop: Header=BB300_1564 Depth=1
	s_or_b32 exec_lo, exec_lo, s21
	v_lshlrev_b32_e32 v2, 8, v2
	v_lshl_add_u32 v22, v29, 10, 0x2000
	v_lshlrev_b32_e32 v19, 23, v19
	v_and_or_b32 v2, 0x8000, v2, v22
	v_lshl_or_b32 v19, v2, 16, v19
.LBB300_2254:                           ;   in Loop: Header=BB300_1564 Depth=1
	s_or_b32 exec_lo, exec_lo, s20
.LBB300_2255:                           ;   in Loop: Header=BB300_1564 Depth=1
	s_or_b32 exec_lo, exec_lo, s19
.LBB300_2256:                           ;   in Loop: Header=BB300_1564 Depth=1
	s_or_b32 exec_lo, exec_lo, s18
	v_mov_b32_e32 v2, v12
	v_cmp_ne_u16_sdwa s4, v12, v3 src0_sel:BYTE_0 src1_sel:DWORD
	v_mov_b32_e32 v29, 0
	v_mov_b32_e32 v31, 0
	s_and_saveexec_b32 s18, s4
	s_cbranch_execz .LBB300_2264
; %bb.2257:                             ;   in Loop: Header=BB300_1564 Depth=1
	v_cmp_ne_u16_sdwa s4, v12, v67 src0_sel:BYTE_0 src1_sel:DWORD
	v_mov_b32_e32 v31, 0x8000
	s_and_saveexec_b32 s19, s4
	s_cbranch_execz .LBB300_2263
; %bb.2258:                             ;   in Loop: Header=BB300_1564 Depth=1
	v_and_b32_e32 v56, 0x7f, v12
	v_mov_b32_e32 v31, 0x7c01
	s_mov_b32 s20, exec_lo
	v_cmpx_ne_u32_e32 0x7f, v56
	s_cbranch_execz .LBB300_2262
; %bb.2259:                             ;   in Loop: Header=BB300_1564 Depth=1
	v_and_b32_e32 v31, 7, v12
	v_lshrrev_b32_e32 v47, 3, v56
	s_mov_b32 s21, exec_lo
	v_cmpx_gt_u32_e32 8, v56
; %bb.2260:                             ;   in Loop: Header=BB300_1564 Depth=1
	v_ffbh_u32_e32 v22, v31
	v_min_u32_e32 v31, 32, v22
	v_subrev_nc_u32_e32 v22, 28, v31
	v_sub_nc_u32_e32 v47, 29, v31
	v_lshlrev_b64 v[22:23], v22, v[2:3]
	v_and_b32_e32 v31, 7, v22
; %bb.2261:                             ;   in Loop: Header=BB300_1564 Depth=1
	s_or_b32 exec_lo, exec_lo, s21
	v_lshlrev_b32_e32 v22, 8, v12
	v_lshl_add_u32 v23, v47, 10, 0x2000
	v_lshlrev_b32_e32 v31, 7, v31
	v_and_b32_e32 v22, 0x8000, v22
	v_and_b32_e32 v23, 0xfc00, v23
	v_or3_b32 v31, v22, v23, v31
.LBB300_2262:                           ;   in Loop: Header=BB300_1564 Depth=1
	s_or_b32 exec_lo, exec_lo, s20
.LBB300_2263:                           ;   in Loop: Header=BB300_1564 Depth=1
	s_or_b32 exec_lo, exec_lo, s19
.LBB300_2264:                           ;   in Loop: Header=BB300_1564 Depth=1
	s_or_b32 exec_lo, exec_lo, s18
	v_lshrrev_b16 v2, 8, v2
	v_mov_b32_e32 v47, 0
	s_mov_b32 s18, exec_lo
	v_cmpx_ne_u16_e32 0, v2
	s_cbranch_execz .LBB300_2272
; %bb.2265:                             ;   in Loop: Header=BB300_1564 Depth=1
	v_bfrev_b32_e32 v47, 1
	s_mov_b32 s19, exec_lo
	v_cmpx_ne_u16_e32 0x80, v2
	s_cbranch_execz .LBB300_2271
; %bb.2266:                             ;   in Loop: Header=BB300_1564 Depth=1
	v_and_b32_sdwa v57, v2, v68 dst_sel:DWORD dst_unused:UNUSED_PAD src0_sel:WORD_0 src1_sel:DWORD
	v_mov_b32_e32 v47, 0x7c010000
	s_mov_b32 s20, exec_lo
	v_cmpx_ne_u32_e32 0x7f, v57
	s_cbranch_execz .LBB300_2270
; %bb.2267:                             ;   in Loop: Header=BB300_1564 Depth=1
	v_and_b32_sdwa v47, v2, v69 dst_sel:DWORD dst_unused:UNUSED_PAD src0_sel:WORD_0 src1_sel:DWORD
	v_lshrrev_b32_e32 v56, 3, v57
	s_mov_b32 s21, exec_lo
	v_cmpx_gt_u32_e32 8, v57
; %bb.2268:                             ;   in Loop: Header=BB300_1564 Depth=1
	v_ffbh_u32_e32 v22, v47
	v_min_u32_e32 v47, 32, v22
	v_subrev_nc_u32_e32 v22, 28, v47
	v_sub_nc_u32_e32 v56, 29, v47
	v_lshlrev_b64 v[22:23], v22, v[2:3]
	v_and_b32_e32 v47, 7, v22
; %bb.2269:                             ;   in Loop: Header=BB300_1564 Depth=1
	s_or_b32 exec_lo, exec_lo, s21
	v_lshlrev_b32_sdwa v2, v70, v2 dst_sel:DWORD dst_unused:UNUSED_PAD src0_sel:DWORD src1_sel:WORD_0
	v_lshl_add_u32 v22, v56, 10, 0x2000
	v_and_or_b32 v2, 0x8000, v2, v22
	v_lshlrev_b32_e32 v22, 23, v47
	v_lshl_or_b32 v47, v2, 16, v22
.LBB300_2270:                           ;   in Loop: Header=BB300_1564 Depth=1
	s_or_b32 exec_lo, exec_lo, s20
.LBB300_2271:                           ;   in Loop: Header=BB300_1564 Depth=1
	s_or_b32 exec_lo, exec_lo, s19
.LBB300_2272:                           ;   in Loop: Header=BB300_1564 Depth=1
	s_or_b32 exec_lo, exec_lo, s18
	v_lshrrev_b32_e32 v2, 16, v12
	v_cmp_ne_u16_sdwa s4, v2, v3 src0_sel:BYTE_0 src1_sel:DWORD
	s_and_saveexec_b32 s18, s4
	s_cbranch_execz .LBB300_2280
; %bb.2273:                             ;   in Loop: Header=BB300_1564 Depth=1
	v_cmp_ne_u16_sdwa s4, v2, v67 src0_sel:BYTE_0 src1_sel:DWORD
	v_mov_b32_e32 v29, 0x8000
	s_and_saveexec_b32 s19, s4
	s_cbranch_execz .LBB300_2279
; %bb.2274:                             ;   in Loop: Header=BB300_1564 Depth=1
	v_bfe_u32 v57, v12, 16, 7
	v_mov_b32_e32 v29, 0x7c01
	s_mov_b32 s20, exec_lo
	v_cmpx_ne_u32_e32 0x7f, v57
	s_cbranch_execz .LBB300_2278
; %bb.2275:                             ;   in Loop: Header=BB300_1564 Depth=1
	v_and_b32_e32 v29, 7, v2
	v_lshrrev_b32_e32 v56, 3, v57
	s_mov_b32 s21, exec_lo
	v_cmpx_gt_u32_e32 8, v57
; %bb.2276:                             ;   in Loop: Header=BB300_1564 Depth=1
	v_ffbh_u32_e32 v22, v29
	v_min_u32_e32 v29, 32, v22
	v_subrev_nc_u32_e32 v22, 28, v29
	v_sub_nc_u32_e32 v56, 29, v29
	v_lshlrev_b64 v[22:23], v22, v[2:3]
	v_and_b32_e32 v29, 7, v22
; %bb.2277:                             ;   in Loop: Header=BB300_1564 Depth=1
	s_or_b32 exec_lo, exec_lo, s21
	v_lshlrev_b32_e32 v2, 8, v2
	v_lshl_add_u32 v22, v56, 10, 0x2000
	v_lshlrev_b32_e32 v23, 7, v29
	v_and_b32_e32 v2, 0x8000, v2
	v_and_b32_e32 v22, 0xfc00, v22
	v_or3_b32 v29, v2, v22, v23
.LBB300_2278:                           ;   in Loop: Header=BB300_1564 Depth=1
	s_or_b32 exec_lo, exec_lo, s20
.LBB300_2279:                           ;   in Loop: Header=BB300_1564 Depth=1
	s_or_b32 exec_lo, exec_lo, s19
.LBB300_2280:                           ;   in Loop: Header=BB300_1564 Depth=1
	s_or_b32 exec_lo, exec_lo, s18
	v_cmp_lt_u64_e64 s4, s[6:7], v[11:12]
	v_mov_b32_e32 v11, 0
	s_and_saveexec_b32 s18, s4
	s_cbranch_execz .LBB300_2288
; %bb.2281:                             ;   in Loop: Header=BB300_1564 Depth=1
	v_lshrrev_b32_e32 v2, 24, v12
	v_bfrev_b32_e32 v11, 1
	s_mov_b32 s19, exec_lo
	v_cmpx_ne_u32_e32 0x80, v2
	s_cbranch_execz .LBB300_2287
; %bb.2282:                             ;   in Loop: Header=BB300_1564 Depth=1
	v_and_b32_e32 v56, 0x7f, v2
	v_mov_b32_e32 v11, 0x7c010000
	s_mov_b32 s20, exec_lo
	v_cmpx_ne_u32_e32 0x7f, v56
	s_cbranch_execz .LBB300_2286
; %bb.2283:                             ;   in Loop: Header=BB300_1564 Depth=1
	v_and_b32_e32 v11, 7, v2
	v_lshrrev_b32_e32 v12, 3, v56
	s_mov_b32 s21, exec_lo
	v_cmpx_gt_u32_e32 8, v56
; %bb.2284:                             ;   in Loop: Header=BB300_1564 Depth=1
	v_ffbh_u32_e32 v11, v11
	v_min_u32_e32 v22, 32, v11
	v_subrev_nc_u32_e32 v11, 28, v22
	v_lshlrev_b64 v[11:12], v11, v[2:3]
	v_sub_nc_u32_e32 v12, 29, v22
	v_and_b32_e32 v11, 7, v11
; %bb.2285:                             ;   in Loop: Header=BB300_1564 Depth=1
	s_or_b32 exec_lo, exec_lo, s21
	v_lshlrev_b32_e32 v2, 8, v2
	v_lshl_add_u32 v12, v12, 10, 0x2000
	v_lshlrev_b32_e32 v11, 23, v11
	v_and_or_b32 v2, 0x8000, v2, v12
	v_lshl_or_b32 v11, v2, 16, v11
.LBB300_2286:                           ;   in Loop: Header=BB300_1564 Depth=1
	s_or_b32 exec_lo, exec_lo, s20
.LBB300_2287:                           ;   in Loop: Header=BB300_1564 Depth=1
	s_or_b32 exec_lo, exec_lo, s19
.LBB300_2288:                           ;   in Loop: Header=BB300_1564 Depth=1
	s_or_b32 exec_lo, exec_lo, s18
	v_or_b32_e32 v2, v19, v28
	s_waitcnt vmcnt(0) lgkmcnt(0)
	v_fma_mixlo_f16 v12, v0, v19, 0 op_sel:[0,1,0] op_sel_hi:[0,1,0]
	v_or_b32_e32 v19, v1, v18
	v_or_b32_e32 v22, v47, v31
	;; [unrolled: 1-line block ×3, first 2 shown]
	v_fma_mixlo_f16 v18, v0, v1, 0 op_sel:[0,1,0] op_sel_hi:[0,1,0]
	v_fma_mixlo_f16 v2, v0, v2, 0 op_sel_hi:[0,1,0]
	v_lshlrev_b32_e32 v1, 16, v12
	v_fma_mixlo_f16 v12, v0, v19, 0 op_sel_hi:[0,1,0]
	v_fma_mixlo_f16 v19, v0, v47, 0 op_sel:[0,1,0] op_sel_hi:[0,1,0]
	v_fma_mixlo_f16 v22, v0, v22, 0 op_sel_hi:[0,1,0]
	v_fma_mixlo_f16 v29, v0, v11, 0 op_sel:[0,1,0] op_sel_hi:[0,1,0]
	v_fma_mixlo_f16 v23, v0, v23, 0 op_sel_hi:[0,1,0]
	v_lshlrev_b32_e32 v18, 16, v18
	v_and_b32_e32 v2, 0xffff, v2
	v_and_b32_e32 v56, 0xffff, v12
	v_lshlrev_b32_e32 v11, 16, v19
	v_and_b32_e32 v28, 0xffff, v22
	v_lshlrev_b32_e32 v0, 16, v29
	v_and_b32_e32 v12, 0xffff, v23
	v_or_b32_e32 v19, v1, v2
	v_or_b32_e32 v47, v18, v56
	;; [unrolled: 1-line block ×4, first 2 shown]
	s_and_saveexec_b32 s18, vcc_lo
	s_cbranch_execz .LBB300_2290
; %bb.2289:                             ;   in Loop: Header=BB300_1564 Depth=1
	v_cmp_lt_i32_e64 s4, v71, v30
	v_cndmask_b32_e64 v19, 0, v56, s4
	v_cmp_lt_i32_e64 s4, v100, v30
	v_cndmask_b32_e64 v18, 0, v18, s4
	v_cmp_lt_i32_e64 s4, v99, v30
	v_or_b32_e32 v47, v19, v18
	v_cndmask_b32_e64 v2, 0, v2, s4
	v_cmp_lt_i32_e64 s4, v98, v30
	v_cndmask_b32_e64 v1, 0, v1, s4
	v_cmp_lt_i32_e64 s4, v97, v30
	v_or_b32_e32 v19, v2, v1
	;; [unrolled: 5-line block ×3, first 2 shown]
	v_cndmask_b32_e64 v12, 0, v12, s4
	v_cmp_lt_i32_e64 s4, v86, v30
	v_cndmask_b32_e64 v0, 0, v0, s4
	v_or_b32_e32 v29, v12, v0
.LBB300_2290:                           ;   in Loop: Header=BB300_1564 Depth=1
	s_or_b32 exec_lo, exec_lo, s18
	;;#ASMSTART
	v_pk_mul_f16 v0, v83, v47;

	;;#ASMEND
	;;#ASMSTART
	v_pk_mul_f16 v1, v82, v19;

	;;#ASMEND
	;; [unrolled: 4-line block ×4, first 2 shown]
	;;#ASMSTART
	v_pk_add_f16 v0, v0, v1;

	;;#ASMEND
	;;#ASMSTART
	v_pk_add_f16 v0, v0, v2;

	;;#ASMEND
	;; [unrolled: 4-line block ×3, first 2 shown]
	v_and_b32_e32 v1, 0xffff, v0
	v_lshrrev_b32_e32 v0, 16, v0
	;;#ASMSTART
	v_cvt_f32_f16 v47, v1;
	;;#ASMEND
	;;#ASMSTART
	v_cvt_f32_f16 v56, v0;
	;;#ASMEND
	flat_load_dwordx2 v[11:12], v[9:10] offset:768
	flat_load_dword v0, v[106:107]
	v_mov_b32_e32 v1, 0
	v_mov_b32_e32 v18, 0
	s_waitcnt vmcnt(1) lgkmcnt(1)
	v_cmp_ne_u16_sdwa s4, v11, v3 src0_sel:BYTE_0 src1_sel:DWORD
	s_and_saveexec_b32 s18, s4
	s_cbranch_execz .LBB300_2298
; %bb.2291:                             ;   in Loop: Header=BB300_1564 Depth=1
	v_cmp_ne_u16_sdwa s4, v11, v67 src0_sel:BYTE_0 src1_sel:DWORD
	v_mov_b32_e32 v18, 0x8000
	s_and_saveexec_b32 s19, s4
	s_cbranch_execz .LBB300_2297
; %bb.2292:                             ;   in Loop: Header=BB300_1564 Depth=1
	v_and_b32_e32 v19, 0x7f, v11
	v_mov_b32_e32 v18, 0x7c01
	s_mov_b32 s20, exec_lo
	v_cmpx_ne_u32_e32 0x7f, v19
	s_cbranch_execz .LBB300_2296
; %bb.2293:                             ;   in Loop: Header=BB300_1564 Depth=1
	v_and_b32_e32 v2, 7, v11
	v_lshrrev_b32_e32 v18, 3, v19
	s_mov_b32 s21, exec_lo
	v_cmpx_gt_u32_e32 8, v19
; %bb.2294:                             ;   in Loop: Header=BB300_1564 Depth=1
	v_ffbh_u32_e32 v2, v2
	v_min_u32_e32 v2, 32, v2
	v_subrev_nc_u32_e32 v18, 28, v2
	v_lshlrev_b64 v[22:23], v18, v[11:12]
	v_sub_nc_u32_e32 v18, 29, v2
	v_and_b32_e32 v2, 7, v22
; %bb.2295:                             ;   in Loop: Header=BB300_1564 Depth=1
	s_or_b32 exec_lo, exec_lo, s21
	v_lshlrev_b32_e32 v19, 8, v11
	v_lshl_add_u32 v18, v18, 10, 0x2000
	v_lshlrev_b32_e32 v2, 7, v2
	v_and_b32_e32 v19, 0x8000, v19
	v_and_b32_e32 v18, 0xfc00, v18
	v_or3_b32 v18, v19, v18, v2
.LBB300_2296:                           ;   in Loop: Header=BB300_1564 Depth=1
	s_or_b32 exec_lo, exec_lo, s20
.LBB300_2297:                           ;   in Loop: Header=BB300_1564 Depth=1
	s_or_b32 exec_lo, exec_lo, s19
.LBB300_2298:                           ;   in Loop: Header=BB300_1564 Depth=1
	s_or_b32 exec_lo, exec_lo, s18
	v_lshrrev_b16 v2, 8, v11
	s_mov_b32 s18, exec_lo
	v_cmpx_ne_u16_e32 0, v2
	s_cbranch_execz .LBB300_2306
; %bb.2299:                             ;   in Loop: Header=BB300_1564 Depth=1
	v_bfrev_b32_e32 v1, 1
	s_mov_b32 s19, exec_lo
	v_cmpx_ne_u16_e32 0x80, v2
	s_cbranch_execz .LBB300_2305
; %bb.2300:                             ;   in Loop: Header=BB300_1564 Depth=1
	v_and_b32_sdwa v28, v2, v68 dst_sel:DWORD dst_unused:UNUSED_PAD src0_sel:WORD_0 src1_sel:DWORD
	v_mov_b32_e32 v1, 0x7c010000
	s_mov_b32 s20, exec_lo
	v_cmpx_ne_u32_e32 0x7f, v28
	s_cbranch_execz .LBB300_2304
; %bb.2301:                             ;   in Loop: Header=BB300_1564 Depth=1
	v_and_b32_sdwa v1, v2, v69 dst_sel:DWORD dst_unused:UNUSED_PAD src0_sel:WORD_0 src1_sel:DWORD
	v_lshrrev_b32_e32 v19, 3, v28
	s_mov_b32 s21, exec_lo
	v_cmpx_gt_u32_e32 8, v28
; %bb.2302:                             ;   in Loop: Header=BB300_1564 Depth=1
	v_ffbh_u32_e32 v1, v1
	v_min_u32_e32 v1, 32, v1
	v_subrev_nc_u32_e32 v19, 28, v1
	v_lshlrev_b64 v[22:23], v19, v[2:3]
	v_sub_nc_u32_e32 v19, 29, v1
	v_and_b32_e32 v1, 7, v22
; %bb.2303:                             ;   in Loop: Header=BB300_1564 Depth=1
	s_or_b32 exec_lo, exec_lo, s21
	v_lshlrev_b32_sdwa v2, v70, v2 dst_sel:DWORD dst_unused:UNUSED_PAD src0_sel:DWORD src1_sel:WORD_0
	v_lshl_add_u32 v19, v19, 10, 0x2000
	v_lshlrev_b32_e32 v1, 23, v1
	v_and_or_b32 v2, 0x8000, v2, v19
	v_lshl_or_b32 v1, v2, 16, v1
.LBB300_2304:                           ;   in Loop: Header=BB300_1564 Depth=1
	s_or_b32 exec_lo, exec_lo, s20
.LBB300_2305:                           ;   in Loop: Header=BB300_1564 Depth=1
	s_or_b32 exec_lo, exec_lo, s19
.LBB300_2306:                           ;   in Loop: Header=BB300_1564 Depth=1
	s_or_b32 exec_lo, exec_lo, s18
	v_lshrrev_b32_e32 v2, 16, v11
	v_mov_b32_e32 v19, 0
	v_mov_b32_e32 v28, 0
	v_cmp_ne_u16_sdwa s4, v2, v3 src0_sel:BYTE_0 src1_sel:DWORD
	s_and_saveexec_b32 s18, s4
	s_cbranch_execz .LBB300_2314
; %bb.2307:                             ;   in Loop: Header=BB300_1564 Depth=1
	v_cmp_ne_u16_sdwa s4, v2, v67 src0_sel:BYTE_0 src1_sel:DWORD
	v_mov_b32_e32 v28, 0x8000
	s_and_saveexec_b32 s19, s4
	s_cbranch_execz .LBB300_2313
; %bb.2308:                             ;   in Loop: Header=BB300_1564 Depth=1
	v_bfe_u32 v31, v11, 16, 7
	v_mov_b32_e32 v28, 0x7c01
	s_mov_b32 s20, exec_lo
	v_cmpx_ne_u32_e32 0x7f, v31
	s_cbranch_execz .LBB300_2312
; %bb.2309:                             ;   in Loop: Header=BB300_1564 Depth=1
	v_and_b32_e32 v28, 7, v2
	v_lshrrev_b32_e32 v29, 3, v31
	s_mov_b32 s21, exec_lo
	v_cmpx_gt_u32_e32 8, v31
; %bb.2310:                             ;   in Loop: Header=BB300_1564 Depth=1
	v_ffbh_u32_e32 v22, v28
	v_min_u32_e32 v28, 32, v22
	v_subrev_nc_u32_e32 v22, 28, v28
	v_sub_nc_u32_e32 v29, 29, v28
	v_lshlrev_b64 v[22:23], v22, v[2:3]
	v_and_b32_e32 v28, 7, v22
; %bb.2311:                             ;   in Loop: Header=BB300_1564 Depth=1
	s_or_b32 exec_lo, exec_lo, s21
	v_lshlrev_b32_e32 v2, 8, v2
	v_lshl_add_u32 v22, v29, 10, 0x2000
	v_lshlrev_b32_e32 v23, 7, v28
	v_and_b32_e32 v2, 0x8000, v2
	v_and_b32_e32 v22, 0xfc00, v22
	v_or3_b32 v28, v2, v22, v23
.LBB300_2312:                           ;   in Loop: Header=BB300_1564 Depth=1
	s_or_b32 exec_lo, exec_lo, s20
.LBB300_2313:                           ;   in Loop: Header=BB300_1564 Depth=1
	s_or_b32 exec_lo, exec_lo, s19
.LBB300_2314:                           ;   in Loop: Header=BB300_1564 Depth=1
	s_or_b32 exec_lo, exec_lo, s18
	s_mov_b32 s18, exec_lo
	v_cmpx_lt_u32_e32 0xffffff, v11
	s_cbranch_execz .LBB300_2322
; %bb.2315:                             ;   in Loop: Header=BB300_1564 Depth=1
	v_lshrrev_b32_e32 v2, 24, v11
	v_bfrev_b32_e32 v19, 1
	s_mov_b32 s19, exec_lo
	v_cmpx_ne_u32_e32 0x80, v2
	s_cbranch_execz .LBB300_2321
; %bb.2316:                             ;   in Loop: Header=BB300_1564 Depth=1
	v_and_b32_e32 v31, 0x7f, v2
	v_mov_b32_e32 v19, 0x7c010000
	s_mov_b32 s20, exec_lo
	v_cmpx_ne_u32_e32 0x7f, v31
	s_cbranch_execz .LBB300_2320
; %bb.2317:                             ;   in Loop: Header=BB300_1564 Depth=1
	v_and_b32_e32 v19, 7, v2
	v_lshrrev_b32_e32 v29, 3, v31
	s_mov_b32 s21, exec_lo
	v_cmpx_gt_u32_e32 8, v31
; %bb.2318:                             ;   in Loop: Header=BB300_1564 Depth=1
	v_ffbh_u32_e32 v19, v19
	v_min_u32_e32 v19, 32, v19
	v_subrev_nc_u32_e32 v22, 28, v19
	v_sub_nc_u32_e32 v29, 29, v19
	v_lshlrev_b64 v[22:23], v22, v[2:3]
	v_and_b32_e32 v19, 7, v22
; %bb.2319:                             ;   in Loop: Header=BB300_1564 Depth=1
	s_or_b32 exec_lo, exec_lo, s21
	v_lshlrev_b32_e32 v2, 8, v2
	v_lshl_add_u32 v22, v29, 10, 0x2000
	v_lshlrev_b32_e32 v19, 23, v19
	v_and_or_b32 v2, 0x8000, v2, v22
	v_lshl_or_b32 v19, v2, 16, v19
.LBB300_2320:                           ;   in Loop: Header=BB300_1564 Depth=1
	s_or_b32 exec_lo, exec_lo, s20
.LBB300_2321:                           ;   in Loop: Header=BB300_1564 Depth=1
	s_or_b32 exec_lo, exec_lo, s19
.LBB300_2322:                           ;   in Loop: Header=BB300_1564 Depth=1
	s_or_b32 exec_lo, exec_lo, s18
	v_mov_b32_e32 v2, v12
	v_cmp_ne_u16_sdwa s4, v12, v3 src0_sel:BYTE_0 src1_sel:DWORD
	v_mov_b32_e32 v29, 0
	v_mov_b32_e32 v31, 0
	s_and_saveexec_b32 s18, s4
	s_cbranch_execz .LBB300_2330
; %bb.2323:                             ;   in Loop: Header=BB300_1564 Depth=1
	v_cmp_ne_u16_sdwa s4, v12, v67 src0_sel:BYTE_0 src1_sel:DWORD
	v_mov_b32_e32 v31, 0x8000
	s_and_saveexec_b32 s19, s4
	s_cbranch_execz .LBB300_2329
; %bb.2324:                             ;   in Loop: Header=BB300_1564 Depth=1
	v_and_b32_e32 v58, 0x7f, v12
	v_mov_b32_e32 v31, 0x7c01
	s_mov_b32 s20, exec_lo
	v_cmpx_ne_u32_e32 0x7f, v58
	s_cbranch_execz .LBB300_2328
; %bb.2325:                             ;   in Loop: Header=BB300_1564 Depth=1
	v_and_b32_e32 v31, 7, v12
	v_lshrrev_b32_e32 v57, 3, v58
	s_mov_b32 s21, exec_lo
	v_cmpx_gt_u32_e32 8, v58
; %bb.2326:                             ;   in Loop: Header=BB300_1564 Depth=1
	v_ffbh_u32_e32 v22, v31
	v_min_u32_e32 v31, 32, v22
	v_subrev_nc_u32_e32 v22, 28, v31
	v_sub_nc_u32_e32 v57, 29, v31
	v_lshlrev_b64 v[22:23], v22, v[2:3]
	v_and_b32_e32 v31, 7, v22
; %bb.2327:                             ;   in Loop: Header=BB300_1564 Depth=1
	s_or_b32 exec_lo, exec_lo, s21
	v_lshlrev_b32_e32 v22, 8, v12
	v_lshl_add_u32 v23, v57, 10, 0x2000
	v_lshlrev_b32_e32 v31, 7, v31
	v_and_b32_e32 v22, 0x8000, v22
	v_and_b32_e32 v23, 0xfc00, v23
	v_or3_b32 v31, v22, v23, v31
.LBB300_2328:                           ;   in Loop: Header=BB300_1564 Depth=1
	s_or_b32 exec_lo, exec_lo, s20
.LBB300_2329:                           ;   in Loop: Header=BB300_1564 Depth=1
	s_or_b32 exec_lo, exec_lo, s19
.LBB300_2330:                           ;   in Loop: Header=BB300_1564 Depth=1
	s_or_b32 exec_lo, exec_lo, s18
	v_lshrrev_b16 v2, 8, v2
	v_mov_b32_e32 v57, 0
	s_mov_b32 s18, exec_lo
	v_cmpx_ne_u16_e32 0, v2
	s_cbranch_execz .LBB300_2338
; %bb.2331:                             ;   in Loop: Header=BB300_1564 Depth=1
	v_bfrev_b32_e32 v57, 1
	s_mov_b32 s19, exec_lo
	v_cmpx_ne_u16_e32 0x80, v2
	s_cbranch_execz .LBB300_2337
; %bb.2332:                             ;   in Loop: Header=BB300_1564 Depth=1
	v_and_b32_sdwa v59, v2, v68 dst_sel:DWORD dst_unused:UNUSED_PAD src0_sel:WORD_0 src1_sel:DWORD
	v_mov_b32_e32 v57, 0x7c010000
	s_mov_b32 s20, exec_lo
	v_cmpx_ne_u32_e32 0x7f, v59
	s_cbranch_execz .LBB300_2336
; %bb.2333:                             ;   in Loop: Header=BB300_1564 Depth=1
	v_and_b32_sdwa v57, v2, v69 dst_sel:DWORD dst_unused:UNUSED_PAD src0_sel:WORD_0 src1_sel:DWORD
	v_lshrrev_b32_e32 v58, 3, v59
	s_mov_b32 s21, exec_lo
	v_cmpx_gt_u32_e32 8, v59
; %bb.2334:                             ;   in Loop: Header=BB300_1564 Depth=1
	v_ffbh_u32_e32 v22, v57
	v_min_u32_e32 v57, 32, v22
	v_subrev_nc_u32_e32 v22, 28, v57
	v_sub_nc_u32_e32 v58, 29, v57
	v_lshlrev_b64 v[22:23], v22, v[2:3]
	v_and_b32_e32 v57, 7, v22
; %bb.2335:                             ;   in Loop: Header=BB300_1564 Depth=1
	s_or_b32 exec_lo, exec_lo, s21
	v_lshlrev_b32_sdwa v2, v70, v2 dst_sel:DWORD dst_unused:UNUSED_PAD src0_sel:DWORD src1_sel:WORD_0
	v_lshl_add_u32 v22, v58, 10, 0x2000
	v_and_or_b32 v2, 0x8000, v2, v22
	v_lshlrev_b32_e32 v22, 23, v57
	v_lshl_or_b32 v57, v2, 16, v22
.LBB300_2336:                           ;   in Loop: Header=BB300_1564 Depth=1
	s_or_b32 exec_lo, exec_lo, s20
.LBB300_2337:                           ;   in Loop: Header=BB300_1564 Depth=1
	s_or_b32 exec_lo, exec_lo, s19
.LBB300_2338:                           ;   in Loop: Header=BB300_1564 Depth=1
	s_or_b32 exec_lo, exec_lo, s18
	v_lshrrev_b32_e32 v2, 16, v12
	v_cmp_ne_u16_sdwa s4, v2, v3 src0_sel:BYTE_0 src1_sel:DWORD
	s_and_saveexec_b32 s18, s4
	s_cbranch_execz .LBB300_2346
; %bb.2339:                             ;   in Loop: Header=BB300_1564 Depth=1
	v_cmp_ne_u16_sdwa s4, v2, v67 src0_sel:BYTE_0 src1_sel:DWORD
	v_mov_b32_e32 v29, 0x8000
	s_and_saveexec_b32 s19, s4
	s_cbranch_execz .LBB300_2345
; %bb.2340:                             ;   in Loop: Header=BB300_1564 Depth=1
	v_bfe_u32 v59, v12, 16, 7
	v_mov_b32_e32 v29, 0x7c01
	s_mov_b32 s20, exec_lo
	v_cmpx_ne_u32_e32 0x7f, v59
	s_cbranch_execz .LBB300_2344
; %bb.2341:                             ;   in Loop: Header=BB300_1564 Depth=1
	v_and_b32_e32 v29, 7, v2
	v_lshrrev_b32_e32 v58, 3, v59
	s_mov_b32 s21, exec_lo
	v_cmpx_gt_u32_e32 8, v59
; %bb.2342:                             ;   in Loop: Header=BB300_1564 Depth=1
	v_ffbh_u32_e32 v22, v29
	v_min_u32_e32 v29, 32, v22
	v_subrev_nc_u32_e32 v22, 28, v29
	v_sub_nc_u32_e32 v58, 29, v29
	v_lshlrev_b64 v[22:23], v22, v[2:3]
	v_and_b32_e32 v29, 7, v22
; %bb.2343:                             ;   in Loop: Header=BB300_1564 Depth=1
	s_or_b32 exec_lo, exec_lo, s21
	v_lshlrev_b32_e32 v2, 8, v2
	v_lshl_add_u32 v22, v58, 10, 0x2000
	v_lshlrev_b32_e32 v23, 7, v29
	v_and_b32_e32 v2, 0x8000, v2
	v_and_b32_e32 v22, 0xfc00, v22
	v_or3_b32 v29, v2, v22, v23
.LBB300_2344:                           ;   in Loop: Header=BB300_1564 Depth=1
	s_or_b32 exec_lo, exec_lo, s20
.LBB300_2345:                           ;   in Loop: Header=BB300_1564 Depth=1
	s_or_b32 exec_lo, exec_lo, s19
.LBB300_2346:                           ;   in Loop: Header=BB300_1564 Depth=1
	s_or_b32 exec_lo, exec_lo, s18
	v_cmp_lt_u64_e64 s4, s[6:7], v[11:12]
	v_mov_b32_e32 v11, 0
	s_and_saveexec_b32 s18, s4
	s_cbranch_execz .LBB300_2354
; %bb.2347:                             ;   in Loop: Header=BB300_1564 Depth=1
	v_lshrrev_b32_e32 v2, 24, v12
	v_bfrev_b32_e32 v11, 1
	s_mov_b32 s19, exec_lo
	v_cmpx_ne_u32_e32 0x80, v2
	s_cbranch_execz .LBB300_2353
; %bb.2348:                             ;   in Loop: Header=BB300_1564 Depth=1
	v_and_b32_e32 v58, 0x7f, v2
	v_mov_b32_e32 v11, 0x7c010000
	s_mov_b32 s20, exec_lo
	v_cmpx_ne_u32_e32 0x7f, v58
	s_cbranch_execz .LBB300_2352
; %bb.2349:                             ;   in Loop: Header=BB300_1564 Depth=1
	v_and_b32_e32 v11, 7, v2
	v_lshrrev_b32_e32 v12, 3, v58
	s_mov_b32 s21, exec_lo
	v_cmpx_gt_u32_e32 8, v58
; %bb.2350:                             ;   in Loop: Header=BB300_1564 Depth=1
	v_ffbh_u32_e32 v11, v11
	v_min_u32_e32 v22, 32, v11
	v_subrev_nc_u32_e32 v11, 28, v22
	v_lshlrev_b64 v[11:12], v11, v[2:3]
	v_sub_nc_u32_e32 v12, 29, v22
	v_and_b32_e32 v11, 7, v11
; %bb.2351:                             ;   in Loop: Header=BB300_1564 Depth=1
	s_or_b32 exec_lo, exec_lo, s21
	v_lshlrev_b32_e32 v2, 8, v2
	v_lshl_add_u32 v12, v12, 10, 0x2000
	v_lshlrev_b32_e32 v11, 23, v11
	v_and_or_b32 v2, 0x8000, v2, v12
	v_lshl_or_b32 v11, v2, 16, v11
.LBB300_2352:                           ;   in Loop: Header=BB300_1564 Depth=1
	s_or_b32 exec_lo, exec_lo, s20
.LBB300_2353:                           ;   in Loop: Header=BB300_1564 Depth=1
	s_or_b32 exec_lo, exec_lo, s19
.LBB300_2354:                           ;   in Loop: Header=BB300_1564 Depth=1
	s_or_b32 exec_lo, exec_lo, s18
	v_or_b32_e32 v2, v19, v28
	s_waitcnt vmcnt(0) lgkmcnt(0)
	v_fma_mixlo_f16 v12, v0, v19, 0 op_sel:[0,1,0] op_sel_hi:[0,1,0]
	v_or_b32_e32 v19, v1, v18
	v_or_b32_e32 v22, v57, v31
	;; [unrolled: 1-line block ×3, first 2 shown]
	v_fma_mixlo_f16 v18, v0, v1, 0 op_sel:[0,1,0] op_sel_hi:[0,1,0]
	v_fma_mixlo_f16 v2, v0, v2, 0 op_sel_hi:[0,1,0]
	v_lshlrev_b32_e32 v1, 16, v12
	v_fma_mixlo_f16 v12, v0, v19, 0 op_sel_hi:[0,1,0]
	v_fma_mixlo_f16 v19, v0, v57, 0 op_sel:[0,1,0] op_sel_hi:[0,1,0]
	v_fma_mixlo_f16 v22, v0, v22, 0 op_sel_hi:[0,1,0]
	v_fma_mixlo_f16 v29, v0, v11, 0 op_sel:[0,1,0] op_sel_hi:[0,1,0]
	v_fma_mixlo_f16 v23, v0, v23, 0 op_sel_hi:[0,1,0]
	v_lshlrev_b32_e32 v18, 16, v18
	v_and_b32_e32 v2, 0xffff, v2
	v_and_b32_e32 v58, 0xffff, v12
	v_lshlrev_b32_e32 v11, 16, v19
	v_and_b32_e32 v28, 0xffff, v22
	v_lshlrev_b32_e32 v0, 16, v29
	v_and_b32_e32 v12, 0xffff, v23
	v_or_b32_e32 v19, v1, v2
	v_or_b32_e32 v57, v18, v58
	;; [unrolled: 1-line block ×4, first 2 shown]
	s_and_saveexec_b32 s18, vcc_lo
	s_cbranch_execz .LBB300_2356
; %bb.2355:                             ;   in Loop: Header=BB300_1564 Depth=1
	v_cmp_lt_i32_e64 s4, v71, v30
	v_cndmask_b32_e64 v19, 0, v58, s4
	v_cmp_lt_i32_e64 s4, v100, v30
	v_cndmask_b32_e64 v18, 0, v18, s4
	v_cmp_lt_i32_e64 s4, v99, v30
	v_or_b32_e32 v57, v19, v18
	v_cndmask_b32_e64 v2, 0, v2, s4
	v_cmp_lt_i32_e64 s4, v98, v30
	v_cndmask_b32_e64 v1, 0, v1, s4
	v_cmp_lt_i32_e64 s4, v97, v30
	v_or_b32_e32 v19, v2, v1
	;; [unrolled: 5-line block ×3, first 2 shown]
	v_cndmask_b32_e64 v12, 0, v12, s4
	v_cmp_lt_i32_e64 s4, v86, v30
	v_cndmask_b32_e64 v0, 0, v0, s4
	v_or_b32_e32 v29, v12, v0
.LBB300_2356:                           ;   in Loop: Header=BB300_1564 Depth=1
	s_or_b32 exec_lo, exec_lo, s18
	;;#ASMSTART
	v_pk_mul_f16 v0, v83, v57;

	;;#ASMEND
	;;#ASMSTART
	v_pk_mul_f16 v1, v82, v19;

	;;#ASMEND
	;;#ASMSTART
	v_pk_mul_f16 v2, v81, v31;

	;;#ASMEND
	;;#ASMSTART
	v_pk_mul_f16 v11, v80, v29;

	;;#ASMEND
	;;#ASMSTART
	v_pk_add_f16 v0, v0, v1;

	;;#ASMEND
	;;#ASMSTART
	v_pk_add_f16 v0, v0, v2;

	;;#ASMEND
	;; [unrolled: 4-line block ×3, first 2 shown]
	v_and_b32_e32 v1, 0xffff, v0
	v_lshrrev_b32_e32 v2, 16, v0
	;;#ASMSTART
	v_cvt_f32_f16 v0, v1;
	;;#ASMEND
	;;#ASMSTART
	v_cvt_f32_f16 v1, v2;
	;;#ASMEND
	flat_load_dwordx2 v[11:12], v[9:10] offset:1024
	flat_load_dword v18, v[106:107]
	v_mov_b32_e32 v19, 0
	v_mov_b32_e32 v28, 0
	s_waitcnt vmcnt(1) lgkmcnt(1)
	v_cmp_ne_u16_sdwa s4, v11, v3 src0_sel:BYTE_0 src1_sel:DWORD
	s_and_saveexec_b32 s18, s4
	s_cbranch_execz .LBB300_2364
; %bb.2357:                             ;   in Loop: Header=BB300_1564 Depth=1
	v_cmp_ne_u16_sdwa s4, v11, v67 src0_sel:BYTE_0 src1_sel:DWORD
	v_mov_b32_e32 v28, 0x8000
	s_and_saveexec_b32 s19, s4
	s_cbranch_execz .LBB300_2363
; %bb.2358:                             ;   in Loop: Header=BB300_1564 Depth=1
	v_and_b32_e32 v29, 0x7f, v11
	v_mov_b32_e32 v28, 0x7c01
	s_mov_b32 s20, exec_lo
	v_cmpx_ne_u32_e32 0x7f, v29
	s_cbranch_execz .LBB300_2362
; %bb.2359:                             ;   in Loop: Header=BB300_1564 Depth=1
	v_and_b32_e32 v2, 7, v11
	v_lshrrev_b32_e32 v28, 3, v29
	s_mov_b32 s21, exec_lo
	v_cmpx_gt_u32_e32 8, v29
; %bb.2360:                             ;   in Loop: Header=BB300_1564 Depth=1
	v_ffbh_u32_e32 v2, v2
	v_min_u32_e32 v2, 32, v2
	v_subrev_nc_u32_e32 v22, 28, v2
	v_sub_nc_u32_e32 v28, 29, v2
	v_lshlrev_b64 v[22:23], v22, v[11:12]
	v_and_b32_e32 v2, 7, v22
; %bb.2361:                             ;   in Loop: Header=BB300_1564 Depth=1
	s_or_b32 exec_lo, exec_lo, s21
	v_lshlrev_b32_e32 v22, 8, v11
	v_lshl_add_u32 v23, v28, 10, 0x2000
	v_lshlrev_b32_e32 v2, 7, v2
	v_and_b32_e32 v22, 0x8000, v22
	v_and_b32_e32 v23, 0xfc00, v23
	v_or3_b32 v28, v22, v23, v2
.LBB300_2362:                           ;   in Loop: Header=BB300_1564 Depth=1
	s_or_b32 exec_lo, exec_lo, s20
.LBB300_2363:                           ;   in Loop: Header=BB300_1564 Depth=1
	s_or_b32 exec_lo, exec_lo, s19
.LBB300_2364:                           ;   in Loop: Header=BB300_1564 Depth=1
	s_or_b32 exec_lo, exec_lo, s18
	v_lshrrev_b16 v2, 8, v11
	s_mov_b32 s18, exec_lo
	v_cmpx_ne_u16_e32 0, v2
	s_cbranch_execz .LBB300_2372
; %bb.2365:                             ;   in Loop: Header=BB300_1564 Depth=1
	v_bfrev_b32_e32 v19, 1
	s_mov_b32 s19, exec_lo
	v_cmpx_ne_u16_e32 0x80, v2
	s_cbranch_execz .LBB300_2371
; %bb.2366:                             ;   in Loop: Header=BB300_1564 Depth=1
	v_and_b32_sdwa v31, v2, v68 dst_sel:DWORD dst_unused:UNUSED_PAD src0_sel:WORD_0 src1_sel:DWORD
	v_mov_b32_e32 v19, 0x7c010000
	s_mov_b32 s20, exec_lo
	v_cmpx_ne_u32_e32 0x7f, v31
	s_cbranch_execz .LBB300_2370
; %bb.2367:                             ;   in Loop: Header=BB300_1564 Depth=1
	v_and_b32_sdwa v19, v2, v69 dst_sel:DWORD dst_unused:UNUSED_PAD src0_sel:WORD_0 src1_sel:DWORD
	v_lshrrev_b32_e32 v29, 3, v31
	s_mov_b32 s21, exec_lo
	v_cmpx_gt_u32_e32 8, v31
; %bb.2368:                             ;   in Loop: Header=BB300_1564 Depth=1
	v_ffbh_u32_e32 v19, v19
	v_min_u32_e32 v19, 32, v19
	v_subrev_nc_u32_e32 v22, 28, v19
	v_sub_nc_u32_e32 v29, 29, v19
	v_lshlrev_b64 v[22:23], v22, v[2:3]
	v_and_b32_e32 v19, 7, v22
; %bb.2369:                             ;   in Loop: Header=BB300_1564 Depth=1
	s_or_b32 exec_lo, exec_lo, s21
	v_lshlrev_b32_sdwa v2, v70, v2 dst_sel:DWORD dst_unused:UNUSED_PAD src0_sel:DWORD src1_sel:WORD_0
	v_lshl_add_u32 v22, v29, 10, 0x2000
	v_lshlrev_b32_e32 v19, 23, v19
	v_and_or_b32 v2, 0x8000, v2, v22
	v_lshl_or_b32 v19, v2, 16, v19
.LBB300_2370:                           ;   in Loop: Header=BB300_1564 Depth=1
	s_or_b32 exec_lo, exec_lo, s20
.LBB300_2371:                           ;   in Loop: Header=BB300_1564 Depth=1
	s_or_b32 exec_lo, exec_lo, s19
.LBB300_2372:                           ;   in Loop: Header=BB300_1564 Depth=1
	s_or_b32 exec_lo, exec_lo, s18
	v_lshrrev_b32_e32 v2, 16, v11
	v_mov_b32_e32 v29, 0
	v_mov_b32_e32 v31, 0
	v_cmp_ne_u16_sdwa s4, v2, v3 src0_sel:BYTE_0 src1_sel:DWORD
	s_and_saveexec_b32 s18, s4
	s_cbranch_execz .LBB300_2380
; %bb.2373:                             ;   in Loop: Header=BB300_1564 Depth=1
	v_cmp_ne_u16_sdwa s4, v2, v67 src0_sel:BYTE_0 src1_sel:DWORD
	v_mov_b32_e32 v31, 0x8000
	s_and_saveexec_b32 s19, s4
	s_cbranch_execz .LBB300_2379
; %bb.2374:                             ;   in Loop: Header=BB300_1564 Depth=1
	v_bfe_u32 v58, v11, 16, 7
	v_mov_b32_e32 v31, 0x7c01
	s_mov_b32 s20, exec_lo
	v_cmpx_ne_u32_e32 0x7f, v58
	s_cbranch_execz .LBB300_2378
; %bb.2375:                             ;   in Loop: Header=BB300_1564 Depth=1
	v_and_b32_e32 v31, 7, v2
	v_lshrrev_b32_e32 v57, 3, v58
	s_mov_b32 s21, exec_lo
	v_cmpx_gt_u32_e32 8, v58
; %bb.2376:                             ;   in Loop: Header=BB300_1564 Depth=1
	v_ffbh_u32_e32 v22, v31
	v_min_u32_e32 v31, 32, v22
	v_subrev_nc_u32_e32 v22, 28, v31
	v_sub_nc_u32_e32 v57, 29, v31
	v_lshlrev_b64 v[22:23], v22, v[2:3]
	v_and_b32_e32 v31, 7, v22
; %bb.2377:                             ;   in Loop: Header=BB300_1564 Depth=1
	s_or_b32 exec_lo, exec_lo, s21
	v_lshlrev_b32_e32 v2, 8, v2
	v_lshl_add_u32 v22, v57, 10, 0x2000
	v_lshlrev_b32_e32 v23, 7, v31
	v_and_b32_e32 v2, 0x8000, v2
	v_and_b32_e32 v22, 0xfc00, v22
	v_or3_b32 v31, v2, v22, v23
.LBB300_2378:                           ;   in Loop: Header=BB300_1564 Depth=1
	s_or_b32 exec_lo, exec_lo, s20
.LBB300_2379:                           ;   in Loop: Header=BB300_1564 Depth=1
	s_or_b32 exec_lo, exec_lo, s19
.LBB300_2380:                           ;   in Loop: Header=BB300_1564 Depth=1
	s_or_b32 exec_lo, exec_lo, s18
	s_mov_b32 s18, exec_lo
	v_cmpx_lt_u32_e32 0xffffff, v11
	s_cbranch_execz .LBB300_2388
; %bb.2381:                             ;   in Loop: Header=BB300_1564 Depth=1
	v_lshrrev_b32_e32 v2, 24, v11
	v_bfrev_b32_e32 v29, 1
	s_mov_b32 s19, exec_lo
	v_cmpx_ne_u32_e32 0x80, v2
	s_cbranch_execz .LBB300_2387
; %bb.2382:                             ;   in Loop: Header=BB300_1564 Depth=1
	v_and_b32_e32 v58, 0x7f, v2
	v_mov_b32_e32 v29, 0x7c010000
	s_mov_b32 s20, exec_lo
	v_cmpx_ne_u32_e32 0x7f, v58
	s_cbranch_execz .LBB300_2386
; %bb.2383:                             ;   in Loop: Header=BB300_1564 Depth=1
	v_and_b32_e32 v29, 7, v2
	v_lshrrev_b32_e32 v57, 3, v58
	s_mov_b32 s21, exec_lo
	v_cmpx_gt_u32_e32 8, v58
; %bb.2384:                             ;   in Loop: Header=BB300_1564 Depth=1
	v_ffbh_u32_e32 v22, v29
	v_min_u32_e32 v29, 32, v22
	v_subrev_nc_u32_e32 v22, 28, v29
	v_sub_nc_u32_e32 v57, 29, v29
	v_lshlrev_b64 v[22:23], v22, v[2:3]
	v_and_b32_e32 v29, 7, v22
; %bb.2385:                             ;   in Loop: Header=BB300_1564 Depth=1
	s_or_b32 exec_lo, exec_lo, s21
	v_lshlrev_b32_e32 v2, 8, v2
	v_lshl_add_u32 v22, v57, 10, 0x2000
	v_and_or_b32 v2, 0x8000, v2, v22
	v_lshlrev_b32_e32 v22, 23, v29
	v_lshl_or_b32 v29, v2, 16, v22
.LBB300_2386:                           ;   in Loop: Header=BB300_1564 Depth=1
	s_or_b32 exec_lo, exec_lo, s20
.LBB300_2387:                           ;   in Loop: Header=BB300_1564 Depth=1
	s_or_b32 exec_lo, exec_lo, s19
.LBB300_2388:                           ;   in Loop: Header=BB300_1564 Depth=1
	s_or_b32 exec_lo, exec_lo, s18
	v_mov_b32_e32 v2, v12
	v_cmp_ne_u16_sdwa s4, v12, v3 src0_sel:BYTE_0 src1_sel:DWORD
	v_mov_b32_e32 v57, 0
	v_mov_b32_e32 v58, 0
	s_and_saveexec_b32 s18, s4
	s_cbranch_execz .LBB300_2396
; %bb.2389:                             ;   in Loop: Header=BB300_1564 Depth=1
	v_cmp_ne_u16_sdwa s4, v12, v67 src0_sel:BYTE_0 src1_sel:DWORD
	v_mov_b32_e32 v58, 0x8000
	s_and_saveexec_b32 s19, s4
	s_cbranch_execz .LBB300_2395
; %bb.2390:                             ;   in Loop: Header=BB300_1564 Depth=1
	v_and_b32_e32 v60, 0x7f, v12
	v_mov_b32_e32 v58, 0x7c01
	s_mov_b32 s20, exec_lo
	v_cmpx_ne_u32_e32 0x7f, v60
	s_cbranch_execz .LBB300_2394
; %bb.2391:                             ;   in Loop: Header=BB300_1564 Depth=1
	v_and_b32_e32 v58, 7, v12
	v_lshrrev_b32_e32 v59, 3, v60
	s_mov_b32 s21, exec_lo
	v_cmpx_gt_u32_e32 8, v60
; %bb.2392:                             ;   in Loop: Header=BB300_1564 Depth=1
	v_ffbh_u32_e32 v22, v58
	v_min_u32_e32 v58, 32, v22
	v_subrev_nc_u32_e32 v22, 28, v58
	v_sub_nc_u32_e32 v59, 29, v58
	v_lshlrev_b64 v[22:23], v22, v[2:3]
	v_and_b32_e32 v58, 7, v22
; %bb.2393:                             ;   in Loop: Header=BB300_1564 Depth=1
	s_or_b32 exec_lo, exec_lo, s21
	v_lshlrev_b32_e32 v22, 8, v12
	v_lshl_add_u32 v23, v59, 10, 0x2000
	v_lshlrev_b32_e32 v58, 7, v58
	v_and_b32_e32 v22, 0x8000, v22
	v_and_b32_e32 v23, 0xfc00, v23
	v_or3_b32 v58, v22, v23, v58
.LBB300_2394:                           ;   in Loop: Header=BB300_1564 Depth=1
	s_or_b32 exec_lo, exec_lo, s20
.LBB300_2395:                           ;   in Loop: Header=BB300_1564 Depth=1
	s_or_b32 exec_lo, exec_lo, s19
.LBB300_2396:                           ;   in Loop: Header=BB300_1564 Depth=1
	s_or_b32 exec_lo, exec_lo, s18
	v_lshrrev_b16 v2, 8, v2
	v_mov_b32_e32 v59, 0
	s_mov_b32 s18, exec_lo
	v_cmpx_ne_u16_e32 0, v2
	s_cbranch_execz .LBB300_2404
; %bb.2397:                             ;   in Loop: Header=BB300_1564 Depth=1
	v_bfrev_b32_e32 v59, 1
	s_mov_b32 s19, exec_lo
	v_cmpx_ne_u16_e32 0x80, v2
	s_cbranch_execz .LBB300_2403
; %bb.2398:                             ;   in Loop: Header=BB300_1564 Depth=1
	v_and_b32_sdwa v61, v2, v68 dst_sel:DWORD dst_unused:UNUSED_PAD src0_sel:WORD_0 src1_sel:DWORD
	v_mov_b32_e32 v59, 0x7c010000
	s_mov_b32 s20, exec_lo
	v_cmpx_ne_u32_e32 0x7f, v61
	s_cbranch_execz .LBB300_2402
; %bb.2399:                             ;   in Loop: Header=BB300_1564 Depth=1
	v_and_b32_sdwa v59, v2, v69 dst_sel:DWORD dst_unused:UNUSED_PAD src0_sel:WORD_0 src1_sel:DWORD
	v_lshrrev_b32_e32 v60, 3, v61
	s_mov_b32 s21, exec_lo
	v_cmpx_gt_u32_e32 8, v61
; %bb.2400:                             ;   in Loop: Header=BB300_1564 Depth=1
	v_ffbh_u32_e32 v22, v59
	v_min_u32_e32 v59, 32, v22
	v_subrev_nc_u32_e32 v22, 28, v59
	v_sub_nc_u32_e32 v60, 29, v59
	v_lshlrev_b64 v[22:23], v22, v[2:3]
	v_and_b32_e32 v59, 7, v22
; %bb.2401:                             ;   in Loop: Header=BB300_1564 Depth=1
	s_or_b32 exec_lo, exec_lo, s21
	v_lshlrev_b32_sdwa v2, v70, v2 dst_sel:DWORD dst_unused:UNUSED_PAD src0_sel:DWORD src1_sel:WORD_0
	v_lshl_add_u32 v22, v60, 10, 0x2000
	v_and_or_b32 v2, 0x8000, v2, v22
	v_lshlrev_b32_e32 v22, 23, v59
	v_lshl_or_b32 v59, v2, 16, v22
.LBB300_2402:                           ;   in Loop: Header=BB300_1564 Depth=1
	s_or_b32 exec_lo, exec_lo, s20
.LBB300_2403:                           ;   in Loop: Header=BB300_1564 Depth=1
	s_or_b32 exec_lo, exec_lo, s19
.LBB300_2404:                           ;   in Loop: Header=BB300_1564 Depth=1
	s_or_b32 exec_lo, exec_lo, s18
	v_lshrrev_b32_e32 v2, 16, v12
	v_cmp_ne_u16_sdwa s4, v2, v3 src0_sel:BYTE_0 src1_sel:DWORD
	s_and_saveexec_b32 s18, s4
	s_cbranch_execz .LBB300_2412
; %bb.2405:                             ;   in Loop: Header=BB300_1564 Depth=1
	v_cmp_ne_u16_sdwa s4, v2, v67 src0_sel:BYTE_0 src1_sel:DWORD
	v_mov_b32_e32 v57, 0x8000
	s_and_saveexec_b32 s19, s4
	s_cbranch_execz .LBB300_2411
; %bb.2406:                             ;   in Loop: Header=BB300_1564 Depth=1
	v_bfe_u32 v61, v12, 16, 7
	v_mov_b32_e32 v57, 0x7c01
	s_mov_b32 s20, exec_lo
	v_cmpx_ne_u32_e32 0x7f, v61
	s_cbranch_execz .LBB300_2410
; %bb.2407:                             ;   in Loop: Header=BB300_1564 Depth=1
	v_and_b32_e32 v57, 7, v2
	v_lshrrev_b32_e32 v60, 3, v61
	s_mov_b32 s21, exec_lo
	v_cmpx_gt_u32_e32 8, v61
; %bb.2408:                             ;   in Loop: Header=BB300_1564 Depth=1
	v_ffbh_u32_e32 v22, v57
	v_min_u32_e32 v57, 32, v22
	v_subrev_nc_u32_e32 v22, 28, v57
	v_sub_nc_u32_e32 v60, 29, v57
	v_lshlrev_b64 v[22:23], v22, v[2:3]
	v_and_b32_e32 v57, 7, v22
; %bb.2409:                             ;   in Loop: Header=BB300_1564 Depth=1
	s_or_b32 exec_lo, exec_lo, s21
	v_lshlrev_b32_e32 v2, 8, v2
	v_lshl_add_u32 v22, v60, 10, 0x2000
	v_lshlrev_b32_e32 v23, 7, v57
	v_and_b32_e32 v2, 0x8000, v2
	v_and_b32_e32 v22, 0xfc00, v22
	v_or3_b32 v57, v2, v22, v23
.LBB300_2410:                           ;   in Loop: Header=BB300_1564 Depth=1
	s_or_b32 exec_lo, exec_lo, s20
.LBB300_2411:                           ;   in Loop: Header=BB300_1564 Depth=1
	s_or_b32 exec_lo, exec_lo, s19
.LBB300_2412:                           ;   in Loop: Header=BB300_1564 Depth=1
	s_or_b32 exec_lo, exec_lo, s18
	v_cmp_lt_u64_e64 s4, s[6:7], v[11:12]
	v_mov_b32_e32 v11, 0
	s_and_saveexec_b32 s18, s4
	s_cbranch_execz .LBB300_2420
; %bb.2413:                             ;   in Loop: Header=BB300_1564 Depth=1
	v_lshrrev_b32_e32 v2, 24, v12
	v_bfrev_b32_e32 v11, 1
	s_mov_b32 s19, exec_lo
	v_cmpx_ne_u32_e32 0x80, v2
	s_cbranch_execz .LBB300_2419
; %bb.2414:                             ;   in Loop: Header=BB300_1564 Depth=1
	v_and_b32_e32 v60, 0x7f, v2
	v_mov_b32_e32 v11, 0x7c010000
	s_mov_b32 s20, exec_lo
	v_cmpx_ne_u32_e32 0x7f, v60
	s_cbranch_execz .LBB300_2418
; %bb.2415:                             ;   in Loop: Header=BB300_1564 Depth=1
	v_and_b32_e32 v11, 7, v2
	v_lshrrev_b32_e32 v12, 3, v60
	s_mov_b32 s21, exec_lo
	v_cmpx_gt_u32_e32 8, v60
; %bb.2416:                             ;   in Loop: Header=BB300_1564 Depth=1
	v_ffbh_u32_e32 v11, v11
	v_min_u32_e32 v22, 32, v11
	v_subrev_nc_u32_e32 v11, 28, v22
	v_lshlrev_b64 v[11:12], v11, v[2:3]
	v_sub_nc_u32_e32 v12, 29, v22
	v_and_b32_e32 v11, 7, v11
; %bb.2417:                             ;   in Loop: Header=BB300_1564 Depth=1
	s_or_b32 exec_lo, exec_lo, s21
	v_lshlrev_b32_e32 v2, 8, v2
	v_lshl_add_u32 v12, v12, 10, 0x2000
	v_lshlrev_b32_e32 v11, 23, v11
	v_and_or_b32 v2, 0x8000, v2, v12
	v_lshl_or_b32 v11, v2, 16, v11
.LBB300_2418:                           ;   in Loop: Header=BB300_1564 Depth=1
	s_or_b32 exec_lo, exec_lo, s20
.LBB300_2419:                           ;   in Loop: Header=BB300_1564 Depth=1
	s_or_b32 exec_lo, exec_lo, s19
.LBB300_2420:                           ;   in Loop: Header=BB300_1564 Depth=1
	s_or_b32 exec_lo, exec_lo, s18
	v_or_b32_e32 v2, v29, v31
	s_waitcnt vmcnt(0) lgkmcnt(0)
	v_fma_mixlo_f16 v12, v18, v29, 0 op_sel:[0,1,0] op_sel_hi:[0,1,0]
	v_or_b32_e32 v22, v19, v28
	v_fma_mixlo_f16 v19, v18, v19, 0 op_sel:[0,1,0] op_sel_hi:[0,1,0]
	v_or_b32_e32 v23, v59, v58
	v_fma_mixlo_f16 v29, v18, v2, 0 op_sel_hi:[0,1,0]
	v_or_b32_e32 v31, v11, v57
	v_lshlrev_b32_e32 v2, 16, v12
	v_lshlrev_b32_e32 v28, 16, v19
	v_fma_mixlo_f16 v19, v18, v22, 0 op_sel_hi:[0,1,0]
	v_and_b32_e32 v12, 0xffff, v29
	v_fma_mixlo_f16 v22, v18, v59, 0 op_sel:[0,1,0] op_sel_hi:[0,1,0]
	v_fma_mixlo_f16 v23, v18, v23, 0 op_sel_hi:[0,1,0]
	v_fma_mixlo_f16 v11, v18, v11, 0 op_sel:[0,1,0] op_sel_hi:[0,1,0]
	v_fma_mixlo_f16 v29, v18, v31, 0 op_sel_hi:[0,1,0]
	v_and_b32_e32 v60, 0xffff, v19
	v_lshlrev_b32_e32 v18, 16, v22
	v_and_b32_e32 v31, 0xffff, v23
	v_lshlrev_b32_e32 v11, 16, v11
	v_and_b32_e32 v19, 0xffff, v29
	v_or_b32_e32 v29, v2, v12
	v_or_b32_e32 v59, v28, v60
	v_or_b32_e32 v58, v18, v31
	v_or_b32_e32 v57, v11, v19
	s_and_saveexec_b32 s18, vcc_lo
	s_cbranch_execz .LBB300_2422
; %bb.2421:                             ;   in Loop: Header=BB300_1564 Depth=1
	v_cmp_lt_i32_e64 s4, v71, v30
	v_cndmask_b32_e64 v22, 0, v60, s4
	v_cmp_lt_i32_e64 s4, v100, v30
	v_cndmask_b32_e64 v23, 0, v28, s4
	v_cmp_lt_i32_e64 s4, v99, v30
	v_or_b32_e32 v59, v22, v23
	v_cndmask_b32_e64 v12, 0, v12, s4
	v_cmp_lt_i32_e64 s4, v98, v30
	v_cndmask_b32_e64 v2, 0, v2, s4
	v_cmp_lt_i32_e64 s4, v97, v30
	v_or_b32_e32 v29, v12, v2
	;; [unrolled: 5-line block ×3, first 2 shown]
	v_cndmask_b32_e64 v19, 0, v19, s4
	v_cmp_lt_i32_e64 s4, v86, v30
	v_cndmask_b32_e64 v11, 0, v11, s4
	v_or_b32_e32 v57, v19, v11
.LBB300_2422:                           ;   in Loop: Header=BB300_1564 Depth=1
	s_or_b32 exec_lo, exec_lo, s18
	;;#ASMSTART
	v_pk_mul_f16 v2, v83, v59;

	;;#ASMEND
	;;#ASMSTART
	v_pk_mul_f16 v11, v82, v29;

	;;#ASMEND
	;; [unrolled: 4-line block ×4, first 2 shown]
	;;#ASMSTART
	v_pk_add_f16 v2, v2, v11;

	;;#ASMEND
	;;#ASMSTART
	v_pk_add_f16 v2, v2, v12;

	;;#ASMEND
	;; [unrolled: 4-line block ×3, first 2 shown]
	v_and_b32_e32 v11, 0xffff, v2
	v_lshrrev_b32_e32 v2, 16, v2
	;;#ASMSTART
	v_cvt_f32_f16 v18, v11;
	;;#ASMEND
	;;#ASMSTART
	v_cvt_f32_f16 v19, v2;
	;;#ASMEND
	flat_load_dwordx2 v[11:12], v[9:10] offset:1280
	flat_load_dword v28, v[106:107]
	v_mov_b32_e32 v29, 0
	v_mov_b32_e32 v31, 0
	s_waitcnt vmcnt(1) lgkmcnt(1)
	v_cmp_ne_u16_sdwa s4, v11, v3 src0_sel:BYTE_0 src1_sel:DWORD
	s_and_saveexec_b32 s18, s4
	s_cbranch_execz .LBB300_2430
; %bb.2423:                             ;   in Loop: Header=BB300_1564 Depth=1
	v_cmp_ne_u16_sdwa s4, v11, v67 src0_sel:BYTE_0 src1_sel:DWORD
	v_mov_b32_e32 v31, 0x8000
	s_and_saveexec_b32 s19, s4
	s_cbranch_execz .LBB300_2429
; %bb.2424:                             ;   in Loop: Header=BB300_1564 Depth=1
	v_and_b32_e32 v57, 0x7f, v11
	v_mov_b32_e32 v31, 0x7c01
	s_mov_b32 s20, exec_lo
	v_cmpx_ne_u32_e32 0x7f, v57
	s_cbranch_execz .LBB300_2428
; %bb.2425:                             ;   in Loop: Header=BB300_1564 Depth=1
	v_and_b32_e32 v2, 7, v11
	v_lshrrev_b32_e32 v31, 3, v57
	s_mov_b32 s21, exec_lo
	v_cmpx_gt_u32_e32 8, v57
; %bb.2426:                             ;   in Loop: Header=BB300_1564 Depth=1
	v_ffbh_u32_e32 v2, v2
	v_min_u32_e32 v2, 32, v2
	v_subrev_nc_u32_e32 v22, 28, v2
	v_sub_nc_u32_e32 v31, 29, v2
	v_lshlrev_b64 v[22:23], v22, v[11:12]
	v_and_b32_e32 v2, 7, v22
; %bb.2427:                             ;   in Loop: Header=BB300_1564 Depth=1
	s_or_b32 exec_lo, exec_lo, s21
	v_lshlrev_b32_e32 v22, 8, v11
	v_lshl_add_u32 v23, v31, 10, 0x2000
	v_lshlrev_b32_e32 v2, 7, v2
	v_and_b32_e32 v22, 0x8000, v22
	v_and_b32_e32 v23, 0xfc00, v23
	v_or3_b32 v31, v22, v23, v2
.LBB300_2428:                           ;   in Loop: Header=BB300_1564 Depth=1
	s_or_b32 exec_lo, exec_lo, s20
.LBB300_2429:                           ;   in Loop: Header=BB300_1564 Depth=1
	s_or_b32 exec_lo, exec_lo, s19
.LBB300_2430:                           ;   in Loop: Header=BB300_1564 Depth=1
	s_or_b32 exec_lo, exec_lo, s18
	v_lshrrev_b16 v2, 8, v11
	s_mov_b32 s18, exec_lo
	v_cmpx_ne_u16_e32 0, v2
	s_cbranch_execz .LBB300_2438
; %bb.2431:                             ;   in Loop: Header=BB300_1564 Depth=1
	v_bfrev_b32_e32 v29, 1
	s_mov_b32 s19, exec_lo
	v_cmpx_ne_u16_e32 0x80, v2
	s_cbranch_execz .LBB300_2437
; %bb.2432:                             ;   in Loop: Header=BB300_1564 Depth=1
	v_and_b32_sdwa v58, v2, v68 dst_sel:DWORD dst_unused:UNUSED_PAD src0_sel:WORD_0 src1_sel:DWORD
	v_mov_b32_e32 v29, 0x7c010000
	s_mov_b32 s20, exec_lo
	v_cmpx_ne_u32_e32 0x7f, v58
	s_cbranch_execz .LBB300_2436
; %bb.2433:                             ;   in Loop: Header=BB300_1564 Depth=1
	v_and_b32_sdwa v29, v2, v69 dst_sel:DWORD dst_unused:UNUSED_PAD src0_sel:WORD_0 src1_sel:DWORD
	v_lshrrev_b32_e32 v57, 3, v58
	s_mov_b32 s21, exec_lo
	v_cmpx_gt_u32_e32 8, v58
; %bb.2434:                             ;   in Loop: Header=BB300_1564 Depth=1
	v_ffbh_u32_e32 v22, v29
	v_min_u32_e32 v29, 32, v22
	v_subrev_nc_u32_e32 v22, 28, v29
	v_sub_nc_u32_e32 v57, 29, v29
	v_lshlrev_b64 v[22:23], v22, v[2:3]
	v_and_b32_e32 v29, 7, v22
; %bb.2435:                             ;   in Loop: Header=BB300_1564 Depth=1
	s_or_b32 exec_lo, exec_lo, s21
	v_lshlrev_b32_sdwa v2, v70, v2 dst_sel:DWORD dst_unused:UNUSED_PAD src0_sel:DWORD src1_sel:WORD_0
	v_lshl_add_u32 v22, v57, 10, 0x2000
	v_and_or_b32 v2, 0x8000, v2, v22
	v_lshlrev_b32_e32 v22, 23, v29
	v_lshl_or_b32 v29, v2, 16, v22
.LBB300_2436:                           ;   in Loop: Header=BB300_1564 Depth=1
	s_or_b32 exec_lo, exec_lo, s20
.LBB300_2437:                           ;   in Loop: Header=BB300_1564 Depth=1
	s_or_b32 exec_lo, exec_lo, s19
.LBB300_2438:                           ;   in Loop: Header=BB300_1564 Depth=1
	s_or_b32 exec_lo, exec_lo, s18
	v_lshrrev_b32_e32 v2, 16, v11
	v_mov_b32_e32 v57, 0
	v_mov_b32_e32 v58, 0
	v_cmp_ne_u16_sdwa s4, v2, v3 src0_sel:BYTE_0 src1_sel:DWORD
	s_and_saveexec_b32 s18, s4
	s_cbranch_execz .LBB300_2446
; %bb.2439:                             ;   in Loop: Header=BB300_1564 Depth=1
	v_cmp_ne_u16_sdwa s4, v2, v67 src0_sel:BYTE_0 src1_sel:DWORD
	v_mov_b32_e32 v58, 0x8000
	s_and_saveexec_b32 s19, s4
	s_cbranch_execz .LBB300_2445
; %bb.2440:                             ;   in Loop: Header=BB300_1564 Depth=1
	v_bfe_u32 v60, v11, 16, 7
	v_mov_b32_e32 v58, 0x7c01
	s_mov_b32 s20, exec_lo
	v_cmpx_ne_u32_e32 0x7f, v60
	s_cbranch_execz .LBB300_2444
; %bb.2441:                             ;   in Loop: Header=BB300_1564 Depth=1
	v_and_b32_e32 v58, 7, v2
	v_lshrrev_b32_e32 v59, 3, v60
	s_mov_b32 s21, exec_lo
	v_cmpx_gt_u32_e32 8, v60
; %bb.2442:                             ;   in Loop: Header=BB300_1564 Depth=1
	v_ffbh_u32_e32 v22, v58
	v_min_u32_e32 v58, 32, v22
	v_subrev_nc_u32_e32 v22, 28, v58
	v_sub_nc_u32_e32 v59, 29, v58
	v_lshlrev_b64 v[22:23], v22, v[2:3]
	v_and_b32_e32 v58, 7, v22
; %bb.2443:                             ;   in Loop: Header=BB300_1564 Depth=1
	s_or_b32 exec_lo, exec_lo, s21
	v_lshlrev_b32_e32 v2, 8, v2
	v_lshl_add_u32 v22, v59, 10, 0x2000
	v_lshlrev_b32_e32 v23, 7, v58
	v_and_b32_e32 v2, 0x8000, v2
	v_and_b32_e32 v22, 0xfc00, v22
	v_or3_b32 v58, v2, v22, v23
.LBB300_2444:                           ;   in Loop: Header=BB300_1564 Depth=1
	s_or_b32 exec_lo, exec_lo, s20
.LBB300_2445:                           ;   in Loop: Header=BB300_1564 Depth=1
	s_or_b32 exec_lo, exec_lo, s19
.LBB300_2446:                           ;   in Loop: Header=BB300_1564 Depth=1
	s_or_b32 exec_lo, exec_lo, s18
	s_mov_b32 s18, exec_lo
	v_cmpx_lt_u32_e32 0xffffff, v11
	s_cbranch_execz .LBB300_2454
; %bb.2447:                             ;   in Loop: Header=BB300_1564 Depth=1
	v_lshrrev_b32_e32 v2, 24, v11
	v_bfrev_b32_e32 v57, 1
	s_mov_b32 s19, exec_lo
	v_cmpx_ne_u32_e32 0x80, v2
	s_cbranch_execz .LBB300_2453
; %bb.2448:                             ;   in Loop: Header=BB300_1564 Depth=1
	v_and_b32_e32 v60, 0x7f, v2
	v_mov_b32_e32 v57, 0x7c010000
	s_mov_b32 s20, exec_lo
	v_cmpx_ne_u32_e32 0x7f, v60
	s_cbranch_execz .LBB300_2452
; %bb.2449:                             ;   in Loop: Header=BB300_1564 Depth=1
	v_and_b32_e32 v57, 7, v2
	v_lshrrev_b32_e32 v59, 3, v60
	s_mov_b32 s21, exec_lo
	v_cmpx_gt_u32_e32 8, v60
; %bb.2450:                             ;   in Loop: Header=BB300_1564 Depth=1
	v_ffbh_u32_e32 v22, v57
	v_min_u32_e32 v57, 32, v22
	v_subrev_nc_u32_e32 v22, 28, v57
	v_sub_nc_u32_e32 v59, 29, v57
	v_lshlrev_b64 v[22:23], v22, v[2:3]
	v_and_b32_e32 v57, 7, v22
; %bb.2451:                             ;   in Loop: Header=BB300_1564 Depth=1
	s_or_b32 exec_lo, exec_lo, s21
	v_lshlrev_b32_e32 v2, 8, v2
	v_lshl_add_u32 v22, v59, 10, 0x2000
	v_and_or_b32 v2, 0x8000, v2, v22
	v_lshlrev_b32_e32 v22, 23, v57
	v_lshl_or_b32 v57, v2, 16, v22
.LBB300_2452:                           ;   in Loop: Header=BB300_1564 Depth=1
	s_or_b32 exec_lo, exec_lo, s20
.LBB300_2453:                           ;   in Loop: Header=BB300_1564 Depth=1
	s_or_b32 exec_lo, exec_lo, s19
.LBB300_2454:                           ;   in Loop: Header=BB300_1564 Depth=1
	s_or_b32 exec_lo, exec_lo, s18
	v_mov_b32_e32 v2, v12
	v_cmp_ne_u16_sdwa s4, v12, v3 src0_sel:BYTE_0 src1_sel:DWORD
	v_mov_b32_e32 v59, 0
	v_mov_b32_e32 v60, 0
	s_and_saveexec_b32 s18, s4
	s_cbranch_execz .LBB300_2462
; %bb.2455:                             ;   in Loop: Header=BB300_1564 Depth=1
	v_cmp_ne_u16_sdwa s4, v12, v67 src0_sel:BYTE_0 src1_sel:DWORD
	v_mov_b32_e32 v60, 0x8000
	s_and_saveexec_b32 s19, s4
	s_cbranch_execz .LBB300_2461
; %bb.2456:                             ;   in Loop: Header=BB300_1564 Depth=1
	v_and_b32_e32 v62, 0x7f, v12
	v_mov_b32_e32 v60, 0x7c01
	s_mov_b32 s20, exec_lo
	v_cmpx_ne_u32_e32 0x7f, v62
	s_cbranch_execz .LBB300_2460
; %bb.2457:                             ;   in Loop: Header=BB300_1564 Depth=1
	v_and_b32_e32 v60, 7, v12
	v_lshrrev_b32_e32 v61, 3, v62
	s_mov_b32 s21, exec_lo
	v_cmpx_gt_u32_e32 8, v62
; %bb.2458:                             ;   in Loop: Header=BB300_1564 Depth=1
	v_ffbh_u32_e32 v22, v60
	v_min_u32_e32 v60, 32, v22
	v_subrev_nc_u32_e32 v22, 28, v60
	v_sub_nc_u32_e32 v61, 29, v60
	v_lshlrev_b64 v[22:23], v22, v[2:3]
	v_and_b32_e32 v60, 7, v22
; %bb.2459:                             ;   in Loop: Header=BB300_1564 Depth=1
	s_or_b32 exec_lo, exec_lo, s21
	v_lshlrev_b32_e32 v22, 8, v12
	v_lshl_add_u32 v23, v61, 10, 0x2000
	v_lshlrev_b32_e32 v60, 7, v60
	v_and_b32_e32 v22, 0x8000, v22
	v_and_b32_e32 v23, 0xfc00, v23
	v_or3_b32 v60, v22, v23, v60
.LBB300_2460:                           ;   in Loop: Header=BB300_1564 Depth=1
	s_or_b32 exec_lo, exec_lo, s20
.LBB300_2461:                           ;   in Loop: Header=BB300_1564 Depth=1
	s_or_b32 exec_lo, exec_lo, s19
.LBB300_2462:                           ;   in Loop: Header=BB300_1564 Depth=1
	s_or_b32 exec_lo, exec_lo, s18
	v_lshrrev_b16 v2, 8, v2
	v_mov_b32_e32 v61, 0
	s_mov_b32 s18, exec_lo
	v_cmpx_ne_u16_e32 0, v2
	s_cbranch_execz .LBB300_2470
; %bb.2463:                             ;   in Loop: Header=BB300_1564 Depth=1
	v_bfrev_b32_e32 v61, 1
	s_mov_b32 s19, exec_lo
	v_cmpx_ne_u16_e32 0x80, v2
	s_cbranch_execz .LBB300_2469
; %bb.2464:                             ;   in Loop: Header=BB300_1564 Depth=1
	v_and_b32_sdwa v63, v2, v68 dst_sel:DWORD dst_unused:UNUSED_PAD src0_sel:WORD_0 src1_sel:DWORD
	v_mov_b32_e32 v61, 0x7c010000
	s_mov_b32 s20, exec_lo
	v_cmpx_ne_u32_e32 0x7f, v63
	s_cbranch_execz .LBB300_2468
; %bb.2465:                             ;   in Loop: Header=BB300_1564 Depth=1
	v_and_b32_sdwa v61, v2, v69 dst_sel:DWORD dst_unused:UNUSED_PAD src0_sel:WORD_0 src1_sel:DWORD
	v_lshrrev_b32_e32 v62, 3, v63
	s_mov_b32 s21, exec_lo
	v_cmpx_gt_u32_e32 8, v63
; %bb.2466:                             ;   in Loop: Header=BB300_1564 Depth=1
	v_ffbh_u32_e32 v22, v61
	v_min_u32_e32 v61, 32, v22
	v_subrev_nc_u32_e32 v22, 28, v61
	v_sub_nc_u32_e32 v62, 29, v61
	v_lshlrev_b64 v[22:23], v22, v[2:3]
	v_and_b32_e32 v61, 7, v22
; %bb.2467:                             ;   in Loop: Header=BB300_1564 Depth=1
	s_or_b32 exec_lo, exec_lo, s21
	v_lshlrev_b32_sdwa v2, v70, v2 dst_sel:DWORD dst_unused:UNUSED_PAD src0_sel:DWORD src1_sel:WORD_0
	v_lshl_add_u32 v22, v62, 10, 0x2000
	v_and_or_b32 v2, 0x8000, v2, v22
	v_lshlrev_b32_e32 v22, 23, v61
	v_lshl_or_b32 v61, v2, 16, v22
.LBB300_2468:                           ;   in Loop: Header=BB300_1564 Depth=1
	s_or_b32 exec_lo, exec_lo, s20
.LBB300_2469:                           ;   in Loop: Header=BB300_1564 Depth=1
	s_or_b32 exec_lo, exec_lo, s19
.LBB300_2470:                           ;   in Loop: Header=BB300_1564 Depth=1
	s_or_b32 exec_lo, exec_lo, s18
	v_lshrrev_b32_e32 v2, 16, v12
	v_cmp_ne_u16_sdwa s4, v2, v3 src0_sel:BYTE_0 src1_sel:DWORD
	s_and_saveexec_b32 s18, s4
	s_cbranch_execz .LBB300_2478
; %bb.2471:                             ;   in Loop: Header=BB300_1564 Depth=1
	v_cmp_ne_u16_sdwa s4, v2, v67 src0_sel:BYTE_0 src1_sel:DWORD
	v_mov_b32_e32 v59, 0x8000
	s_and_saveexec_b32 s19, s4
	s_cbranch_execz .LBB300_2477
; %bb.2472:                             ;   in Loop: Header=BB300_1564 Depth=1
	v_bfe_u32 v63, v12, 16, 7
	v_mov_b32_e32 v59, 0x7c01
	s_mov_b32 s20, exec_lo
	v_cmpx_ne_u32_e32 0x7f, v63
	s_cbranch_execz .LBB300_2476
; %bb.2473:                             ;   in Loop: Header=BB300_1564 Depth=1
	v_and_b32_e32 v59, 7, v2
	v_lshrrev_b32_e32 v62, 3, v63
	s_mov_b32 s21, exec_lo
	v_cmpx_gt_u32_e32 8, v63
; %bb.2474:                             ;   in Loop: Header=BB300_1564 Depth=1
	v_ffbh_u32_e32 v22, v59
	v_min_u32_e32 v59, 32, v22
	v_subrev_nc_u32_e32 v22, 28, v59
	v_sub_nc_u32_e32 v62, 29, v59
	v_lshlrev_b64 v[22:23], v22, v[2:3]
	v_and_b32_e32 v59, 7, v22
; %bb.2475:                             ;   in Loop: Header=BB300_1564 Depth=1
	s_or_b32 exec_lo, exec_lo, s21
	v_lshlrev_b32_e32 v2, 8, v2
	v_lshl_add_u32 v22, v62, 10, 0x2000
	v_lshlrev_b32_e32 v23, 7, v59
	v_and_b32_e32 v2, 0x8000, v2
	v_and_b32_e32 v22, 0xfc00, v22
	v_or3_b32 v59, v2, v22, v23
.LBB300_2476:                           ;   in Loop: Header=BB300_1564 Depth=1
	s_or_b32 exec_lo, exec_lo, s20
.LBB300_2477:                           ;   in Loop: Header=BB300_1564 Depth=1
	s_or_b32 exec_lo, exec_lo, s19
.LBB300_2478:                           ;   in Loop: Header=BB300_1564 Depth=1
	s_or_b32 exec_lo, exec_lo, s18
	v_cmp_lt_u64_e64 s4, s[6:7], v[11:12]
	v_mov_b32_e32 v11, 0
	s_and_saveexec_b32 s18, s4
	s_cbranch_execz .LBB300_2486
; %bb.2479:                             ;   in Loop: Header=BB300_1564 Depth=1
	v_lshrrev_b32_e32 v2, 24, v12
	v_bfrev_b32_e32 v11, 1
	s_mov_b32 s19, exec_lo
	v_cmpx_ne_u32_e32 0x80, v2
	s_cbranch_execz .LBB300_2485
; %bb.2480:                             ;   in Loop: Header=BB300_1564 Depth=1
	v_and_b32_e32 v62, 0x7f, v2
	v_mov_b32_e32 v11, 0x7c010000
	s_mov_b32 s20, exec_lo
	v_cmpx_ne_u32_e32 0x7f, v62
	s_cbranch_execz .LBB300_2484
; %bb.2481:                             ;   in Loop: Header=BB300_1564 Depth=1
	v_and_b32_e32 v11, 7, v2
	v_lshrrev_b32_e32 v12, 3, v62
	s_mov_b32 s21, exec_lo
	v_cmpx_gt_u32_e32 8, v62
; %bb.2482:                             ;   in Loop: Header=BB300_1564 Depth=1
	v_ffbh_u32_e32 v11, v11
	v_min_u32_e32 v22, 32, v11
	v_subrev_nc_u32_e32 v11, 28, v22
	v_lshlrev_b64 v[11:12], v11, v[2:3]
	v_sub_nc_u32_e32 v12, 29, v22
	v_and_b32_e32 v11, 7, v11
; %bb.2483:                             ;   in Loop: Header=BB300_1564 Depth=1
	s_or_b32 exec_lo, exec_lo, s21
	v_lshlrev_b32_e32 v2, 8, v2
	v_lshl_add_u32 v12, v12, 10, 0x2000
	v_lshlrev_b32_e32 v11, 23, v11
	v_and_or_b32 v2, 0x8000, v2, v12
	v_lshl_or_b32 v11, v2, 16, v11
.LBB300_2484:                           ;   in Loop: Header=BB300_1564 Depth=1
	s_or_b32 exec_lo, exec_lo, s20
.LBB300_2485:                           ;   in Loop: Header=BB300_1564 Depth=1
	s_or_b32 exec_lo, exec_lo, s19
.LBB300_2486:                           ;   in Loop: Header=BB300_1564 Depth=1
	s_or_b32 exec_lo, exec_lo, s18
	v_or_b32_e32 v2, v57, v58
	s_waitcnt vmcnt(0) lgkmcnt(0)
	v_fma_mixlo_f16 v12, v28, v57, 0 op_sel:[0,1,0] op_sel_hi:[0,1,0]
	v_or_b32_e32 v22, v29, v31
	v_fma_mixlo_f16 v23, v28, v29, 0 op_sel:[0,1,0] op_sel_hi:[0,1,0]
	v_or_b32_e32 v29, v61, v60
	v_fma_mixlo_f16 v57, v28, v2, 0 op_sel_hi:[0,1,0]
	v_or_b32_e32 v58, v11, v59
	v_lshlrev_b32_e32 v2, 16, v12
	v_lshlrev_b32_e32 v31, 16, v23
	v_fma_mixlo_f16 v22, v28, v22, 0 op_sel_hi:[0,1,0]
	v_and_b32_e32 v12, 0xffff, v57
	v_fma_mixlo_f16 v23, v28, v61, 0 op_sel:[0,1,0] op_sel_hi:[0,1,0]
	v_fma_mixlo_f16 v29, v28, v29, 0 op_sel_hi:[0,1,0]
	v_fma_mixlo_f16 v11, v28, v11, 0 op_sel:[0,1,0] op_sel_hi:[0,1,0]
	v_fma_mixlo_f16 v57, v28, v58, 0 op_sel_hi:[0,1,0]
	v_and_b32_e32 v62, 0xffff, v22
	v_lshlrev_b32_e32 v28, 16, v23
	v_and_b32_e32 v58, 0xffff, v29
	v_lshlrev_b32_e32 v11, 16, v11
	v_and_b32_e32 v29, 0xffff, v57
	v_or_b32_e32 v57, v2, v12
	v_or_b32_e32 v61, v31, v62
	;; [unrolled: 1-line block ×4, first 2 shown]
	s_and_saveexec_b32 s18, vcc_lo
	s_cbranch_execz .LBB300_2488
; %bb.2487:                             ;   in Loop: Header=BB300_1564 Depth=1
	v_cmp_lt_i32_e64 s4, v71, v30
	v_cndmask_b32_e64 v22, 0, v62, s4
	v_cmp_lt_i32_e64 s4, v100, v30
	v_cndmask_b32_e64 v23, 0, v31, s4
	v_cmp_lt_i32_e64 s4, v99, v30
	v_or_b32_e32 v61, v22, v23
	v_cndmask_b32_e64 v12, 0, v12, s4
	v_cmp_lt_i32_e64 s4, v98, v30
	v_cndmask_b32_e64 v2, 0, v2, s4
	v_cmp_lt_i32_e64 s4, v97, v30
	v_or_b32_e32 v57, v12, v2
	;; [unrolled: 5-line block ×3, first 2 shown]
	v_cndmask_b32_e64 v29, 0, v29, s4
	v_cmp_lt_i32_e64 s4, v86, v30
	v_cndmask_b32_e64 v11, 0, v11, s4
	v_or_b32_e32 v59, v29, v11
.LBB300_2488:                           ;   in Loop: Header=BB300_1564 Depth=1
	s_or_b32 exec_lo, exec_lo, s18
	;;#ASMSTART
	v_pk_mul_f16 v2, v83, v61;

	;;#ASMEND
	;;#ASMSTART
	v_pk_mul_f16 v11, v82, v57;

	;;#ASMEND
	;; [unrolled: 4-line block ×4, first 2 shown]
	;;#ASMSTART
	v_pk_add_f16 v2, v2, v11;

	;;#ASMEND
	;;#ASMSTART
	v_pk_add_f16 v2, v2, v12;

	;;#ASMEND
	;; [unrolled: 4-line block ×3, first 2 shown]
	v_and_b32_e32 v11, 0xffff, v2
	v_lshrrev_b32_e32 v2, 16, v2
	;;#ASMSTART
	v_cvt_f32_f16 v28, v11;
	;;#ASMEND
	;;#ASMSTART
	v_cvt_f32_f16 v29, v2;
	;;#ASMEND
	flat_load_dwordx2 v[11:12], v[9:10] offset:1536
	flat_load_dword v31, v[106:107]
	v_mov_b32_e32 v57, 0
	v_mov_b32_e32 v58, 0
	s_waitcnt vmcnt(1) lgkmcnt(1)
	v_cmp_ne_u16_sdwa s4, v11, v3 src0_sel:BYTE_0 src1_sel:DWORD
	s_and_saveexec_b32 s18, s4
	s_cbranch_execz .LBB300_2496
; %bb.2489:                             ;   in Loop: Header=BB300_1564 Depth=1
	v_cmp_ne_u16_sdwa s4, v11, v67 src0_sel:BYTE_0 src1_sel:DWORD
	v_mov_b32_e32 v58, 0x8000
	s_and_saveexec_b32 s19, s4
	s_cbranch_execz .LBB300_2495
; %bb.2490:                             ;   in Loop: Header=BB300_1564 Depth=1
	v_and_b32_e32 v59, 0x7f, v11
	v_mov_b32_e32 v58, 0x7c01
	s_mov_b32 s20, exec_lo
	v_cmpx_ne_u32_e32 0x7f, v59
	s_cbranch_execz .LBB300_2494
; %bb.2491:                             ;   in Loop: Header=BB300_1564 Depth=1
	v_and_b32_e32 v2, 7, v11
	v_lshrrev_b32_e32 v58, 3, v59
	s_mov_b32 s21, exec_lo
	v_cmpx_gt_u32_e32 8, v59
; %bb.2492:                             ;   in Loop: Header=BB300_1564 Depth=1
	v_ffbh_u32_e32 v2, v2
	v_min_u32_e32 v2, 32, v2
	v_subrev_nc_u32_e32 v22, 28, v2
	v_sub_nc_u32_e32 v58, 29, v2
	v_lshlrev_b64 v[22:23], v22, v[11:12]
	v_and_b32_e32 v2, 7, v22
; %bb.2493:                             ;   in Loop: Header=BB300_1564 Depth=1
	s_or_b32 exec_lo, exec_lo, s21
	v_lshlrev_b32_e32 v22, 8, v11
	v_lshl_add_u32 v23, v58, 10, 0x2000
	v_lshlrev_b32_e32 v2, 7, v2
	v_and_b32_e32 v22, 0x8000, v22
	v_and_b32_e32 v23, 0xfc00, v23
	v_or3_b32 v58, v22, v23, v2
.LBB300_2494:                           ;   in Loop: Header=BB300_1564 Depth=1
	s_or_b32 exec_lo, exec_lo, s20
.LBB300_2495:                           ;   in Loop: Header=BB300_1564 Depth=1
	s_or_b32 exec_lo, exec_lo, s19
.LBB300_2496:                           ;   in Loop: Header=BB300_1564 Depth=1
	s_or_b32 exec_lo, exec_lo, s18
	v_lshrrev_b16 v2, 8, v11
	s_mov_b32 s18, exec_lo
	v_cmpx_ne_u16_e32 0, v2
	s_cbranch_execz .LBB300_2504
; %bb.2497:                             ;   in Loop: Header=BB300_1564 Depth=1
	v_bfrev_b32_e32 v57, 1
	s_mov_b32 s19, exec_lo
	v_cmpx_ne_u16_e32 0x80, v2
	s_cbranch_execz .LBB300_2503
; %bb.2498:                             ;   in Loop: Header=BB300_1564 Depth=1
	v_and_b32_sdwa v60, v2, v68 dst_sel:DWORD dst_unused:UNUSED_PAD src0_sel:WORD_0 src1_sel:DWORD
	v_mov_b32_e32 v57, 0x7c010000
	s_mov_b32 s20, exec_lo
	v_cmpx_ne_u32_e32 0x7f, v60
	s_cbranch_execz .LBB300_2502
; %bb.2499:                             ;   in Loop: Header=BB300_1564 Depth=1
	v_and_b32_sdwa v57, v2, v69 dst_sel:DWORD dst_unused:UNUSED_PAD src0_sel:WORD_0 src1_sel:DWORD
	v_lshrrev_b32_e32 v59, 3, v60
	s_mov_b32 s21, exec_lo
	v_cmpx_gt_u32_e32 8, v60
; %bb.2500:                             ;   in Loop: Header=BB300_1564 Depth=1
	v_ffbh_u32_e32 v22, v57
	v_min_u32_e32 v57, 32, v22
	v_subrev_nc_u32_e32 v22, 28, v57
	v_sub_nc_u32_e32 v59, 29, v57
	v_lshlrev_b64 v[22:23], v22, v[2:3]
	v_and_b32_e32 v57, 7, v22
; %bb.2501:                             ;   in Loop: Header=BB300_1564 Depth=1
	s_or_b32 exec_lo, exec_lo, s21
	v_lshlrev_b32_sdwa v2, v70, v2 dst_sel:DWORD dst_unused:UNUSED_PAD src0_sel:DWORD src1_sel:WORD_0
	v_lshl_add_u32 v22, v59, 10, 0x2000
	v_and_or_b32 v2, 0x8000, v2, v22
	v_lshlrev_b32_e32 v22, 23, v57
	v_lshl_or_b32 v57, v2, 16, v22
.LBB300_2502:                           ;   in Loop: Header=BB300_1564 Depth=1
	s_or_b32 exec_lo, exec_lo, s20
.LBB300_2503:                           ;   in Loop: Header=BB300_1564 Depth=1
	s_or_b32 exec_lo, exec_lo, s19
.LBB300_2504:                           ;   in Loop: Header=BB300_1564 Depth=1
	s_or_b32 exec_lo, exec_lo, s18
	v_lshrrev_b32_e32 v2, 16, v11
	v_mov_b32_e32 v59, 0
	v_mov_b32_e32 v60, 0
	v_cmp_ne_u16_sdwa s4, v2, v3 src0_sel:BYTE_0 src1_sel:DWORD
	s_and_saveexec_b32 s18, s4
	s_cbranch_execz .LBB300_2512
; %bb.2505:                             ;   in Loop: Header=BB300_1564 Depth=1
	v_cmp_ne_u16_sdwa s4, v2, v67 src0_sel:BYTE_0 src1_sel:DWORD
	v_mov_b32_e32 v60, 0x8000
	s_and_saveexec_b32 s19, s4
	s_cbranch_execz .LBB300_2511
; %bb.2506:                             ;   in Loop: Header=BB300_1564 Depth=1
	v_bfe_u32 v62, v11, 16, 7
	v_mov_b32_e32 v60, 0x7c01
	s_mov_b32 s20, exec_lo
	v_cmpx_ne_u32_e32 0x7f, v62
	s_cbranch_execz .LBB300_2510
; %bb.2507:                             ;   in Loop: Header=BB300_1564 Depth=1
	v_and_b32_e32 v60, 7, v2
	v_lshrrev_b32_e32 v61, 3, v62
	s_mov_b32 s21, exec_lo
	v_cmpx_gt_u32_e32 8, v62
; %bb.2508:                             ;   in Loop: Header=BB300_1564 Depth=1
	v_ffbh_u32_e32 v22, v60
	v_min_u32_e32 v60, 32, v22
	v_subrev_nc_u32_e32 v22, 28, v60
	v_sub_nc_u32_e32 v61, 29, v60
	v_lshlrev_b64 v[22:23], v22, v[2:3]
	v_and_b32_e32 v60, 7, v22
; %bb.2509:                             ;   in Loop: Header=BB300_1564 Depth=1
	s_or_b32 exec_lo, exec_lo, s21
	v_lshlrev_b32_e32 v2, 8, v2
	v_lshl_add_u32 v22, v61, 10, 0x2000
	v_lshlrev_b32_e32 v23, 7, v60
	v_and_b32_e32 v2, 0x8000, v2
	v_and_b32_e32 v22, 0xfc00, v22
	v_or3_b32 v60, v2, v22, v23
.LBB300_2510:                           ;   in Loop: Header=BB300_1564 Depth=1
	s_or_b32 exec_lo, exec_lo, s20
.LBB300_2511:                           ;   in Loop: Header=BB300_1564 Depth=1
	s_or_b32 exec_lo, exec_lo, s19
.LBB300_2512:                           ;   in Loop: Header=BB300_1564 Depth=1
	s_or_b32 exec_lo, exec_lo, s18
	s_mov_b32 s18, exec_lo
	v_cmpx_lt_u32_e32 0xffffff, v11
	s_cbranch_execz .LBB300_2520
; %bb.2513:                             ;   in Loop: Header=BB300_1564 Depth=1
	v_lshrrev_b32_e32 v2, 24, v11
	v_bfrev_b32_e32 v59, 1
	s_mov_b32 s19, exec_lo
	v_cmpx_ne_u32_e32 0x80, v2
	s_cbranch_execz .LBB300_2519
; %bb.2514:                             ;   in Loop: Header=BB300_1564 Depth=1
	v_and_b32_e32 v62, 0x7f, v2
	v_mov_b32_e32 v59, 0x7c010000
	s_mov_b32 s20, exec_lo
	v_cmpx_ne_u32_e32 0x7f, v62
	s_cbranch_execz .LBB300_2518
; %bb.2515:                             ;   in Loop: Header=BB300_1564 Depth=1
	v_and_b32_e32 v59, 7, v2
	v_lshrrev_b32_e32 v61, 3, v62
	s_mov_b32 s21, exec_lo
	v_cmpx_gt_u32_e32 8, v62
; %bb.2516:                             ;   in Loop: Header=BB300_1564 Depth=1
	v_ffbh_u32_e32 v22, v59
	v_min_u32_e32 v59, 32, v22
	v_subrev_nc_u32_e32 v22, 28, v59
	v_sub_nc_u32_e32 v61, 29, v59
	v_lshlrev_b64 v[22:23], v22, v[2:3]
	v_and_b32_e32 v59, 7, v22
; %bb.2517:                             ;   in Loop: Header=BB300_1564 Depth=1
	s_or_b32 exec_lo, exec_lo, s21
	v_lshlrev_b32_e32 v2, 8, v2
	v_lshl_add_u32 v22, v61, 10, 0x2000
	v_and_or_b32 v2, 0x8000, v2, v22
	v_lshlrev_b32_e32 v22, 23, v59
	v_lshl_or_b32 v59, v2, 16, v22
.LBB300_2518:                           ;   in Loop: Header=BB300_1564 Depth=1
	s_or_b32 exec_lo, exec_lo, s20
.LBB300_2519:                           ;   in Loop: Header=BB300_1564 Depth=1
	s_or_b32 exec_lo, exec_lo, s19
.LBB300_2520:                           ;   in Loop: Header=BB300_1564 Depth=1
	s_or_b32 exec_lo, exec_lo, s18
	v_mov_b32_e32 v2, v12
	v_cmp_ne_u16_sdwa s4, v12, v3 src0_sel:BYTE_0 src1_sel:DWORD
	v_mov_b32_e32 v61, 0
	v_mov_b32_e32 v62, 0
	s_and_saveexec_b32 s18, s4
	s_cbranch_execz .LBB300_2528
; %bb.2521:                             ;   in Loop: Header=BB300_1564 Depth=1
	v_cmp_ne_u16_sdwa s4, v12, v67 src0_sel:BYTE_0 src1_sel:DWORD
	v_mov_b32_e32 v62, 0x8000
	s_and_saveexec_b32 s19, s4
	s_cbranch_execz .LBB300_2527
; %bb.2522:                             ;   in Loop: Header=BB300_1564 Depth=1
	v_and_b32_e32 v72, 0x7f, v12
	v_mov_b32_e32 v62, 0x7c01
	s_mov_b32 s20, exec_lo
	v_cmpx_ne_u32_e32 0x7f, v72
	s_cbranch_execz .LBB300_2526
; %bb.2523:                             ;   in Loop: Header=BB300_1564 Depth=1
	v_and_b32_e32 v62, 7, v12
	v_lshrrev_b32_e32 v63, 3, v72
	s_mov_b32 s21, exec_lo
	v_cmpx_gt_u32_e32 8, v72
; %bb.2524:                             ;   in Loop: Header=BB300_1564 Depth=1
	v_ffbh_u32_e32 v22, v62
	v_min_u32_e32 v62, 32, v22
	v_subrev_nc_u32_e32 v22, 28, v62
	v_sub_nc_u32_e32 v63, 29, v62
	v_lshlrev_b64 v[22:23], v22, v[2:3]
	v_and_b32_e32 v62, 7, v22
; %bb.2525:                             ;   in Loop: Header=BB300_1564 Depth=1
	s_or_b32 exec_lo, exec_lo, s21
	v_lshlrev_b32_e32 v22, 8, v12
	v_lshl_add_u32 v23, v63, 10, 0x2000
	v_lshlrev_b32_e32 v62, 7, v62
	v_and_b32_e32 v22, 0x8000, v22
	v_and_b32_e32 v23, 0xfc00, v23
	v_or3_b32 v62, v22, v23, v62
.LBB300_2526:                           ;   in Loop: Header=BB300_1564 Depth=1
	s_or_b32 exec_lo, exec_lo, s20
.LBB300_2527:                           ;   in Loop: Header=BB300_1564 Depth=1
	s_or_b32 exec_lo, exec_lo, s19
.LBB300_2528:                           ;   in Loop: Header=BB300_1564 Depth=1
	s_or_b32 exec_lo, exec_lo, s18
	v_lshrrev_b16 v2, 8, v2
	v_mov_b32_e32 v63, 0
	s_mov_b32 s18, exec_lo
	v_cmpx_ne_u16_e32 0, v2
	s_cbranch_execz .LBB300_2536
; %bb.2529:                             ;   in Loop: Header=BB300_1564 Depth=1
	v_bfrev_b32_e32 v63, 1
	s_mov_b32 s19, exec_lo
	v_cmpx_ne_u16_e32 0x80, v2
	s_cbranch_execz .LBB300_2535
; %bb.2530:                             ;   in Loop: Header=BB300_1564 Depth=1
	v_and_b32_sdwa v73, v2, v68 dst_sel:DWORD dst_unused:UNUSED_PAD src0_sel:WORD_0 src1_sel:DWORD
	v_mov_b32_e32 v63, 0x7c010000
	s_mov_b32 s20, exec_lo
	v_cmpx_ne_u32_e32 0x7f, v73
	s_cbranch_execz .LBB300_2534
; %bb.2531:                             ;   in Loop: Header=BB300_1564 Depth=1
	v_and_b32_sdwa v63, v2, v69 dst_sel:DWORD dst_unused:UNUSED_PAD src0_sel:WORD_0 src1_sel:DWORD
	v_lshrrev_b32_e32 v72, 3, v73
	s_mov_b32 s21, exec_lo
	v_cmpx_gt_u32_e32 8, v73
; %bb.2532:                             ;   in Loop: Header=BB300_1564 Depth=1
	v_ffbh_u32_e32 v22, v63
	v_min_u32_e32 v63, 32, v22
	v_subrev_nc_u32_e32 v22, 28, v63
	v_sub_nc_u32_e32 v72, 29, v63
	v_lshlrev_b64 v[22:23], v22, v[2:3]
	v_and_b32_e32 v63, 7, v22
; %bb.2533:                             ;   in Loop: Header=BB300_1564 Depth=1
	s_or_b32 exec_lo, exec_lo, s21
	v_lshlrev_b32_sdwa v2, v70, v2 dst_sel:DWORD dst_unused:UNUSED_PAD src0_sel:DWORD src1_sel:WORD_0
	v_lshl_add_u32 v22, v72, 10, 0x2000
	v_and_or_b32 v2, 0x8000, v2, v22
	v_lshlrev_b32_e32 v22, 23, v63
	v_lshl_or_b32 v63, v2, 16, v22
.LBB300_2534:                           ;   in Loop: Header=BB300_1564 Depth=1
	s_or_b32 exec_lo, exec_lo, s20
.LBB300_2535:                           ;   in Loop: Header=BB300_1564 Depth=1
	s_or_b32 exec_lo, exec_lo, s19
.LBB300_2536:                           ;   in Loop: Header=BB300_1564 Depth=1
	s_or_b32 exec_lo, exec_lo, s18
	v_lshrrev_b32_e32 v2, 16, v12
	v_cmp_ne_u16_sdwa s4, v2, v3 src0_sel:BYTE_0 src1_sel:DWORD
	s_and_saveexec_b32 s18, s4
	s_cbranch_execz .LBB300_2544
; %bb.2537:                             ;   in Loop: Header=BB300_1564 Depth=1
	v_cmp_ne_u16_sdwa s4, v2, v67 src0_sel:BYTE_0 src1_sel:DWORD
	v_mov_b32_e32 v61, 0x8000
	s_and_saveexec_b32 s19, s4
	s_cbranch_execz .LBB300_2543
; %bb.2538:                             ;   in Loop: Header=BB300_1564 Depth=1
	v_bfe_u32 v73, v12, 16, 7
	v_mov_b32_e32 v61, 0x7c01
	s_mov_b32 s20, exec_lo
	v_cmpx_ne_u32_e32 0x7f, v73
	s_cbranch_execz .LBB300_2542
; %bb.2539:                             ;   in Loop: Header=BB300_1564 Depth=1
	v_and_b32_e32 v61, 7, v2
	v_lshrrev_b32_e32 v72, 3, v73
	s_mov_b32 s21, exec_lo
	v_cmpx_gt_u32_e32 8, v73
; %bb.2540:                             ;   in Loop: Header=BB300_1564 Depth=1
	v_ffbh_u32_e32 v22, v61
	v_min_u32_e32 v61, 32, v22
	v_subrev_nc_u32_e32 v22, 28, v61
	v_sub_nc_u32_e32 v72, 29, v61
	v_lshlrev_b64 v[22:23], v22, v[2:3]
	v_and_b32_e32 v61, 7, v22
; %bb.2541:                             ;   in Loop: Header=BB300_1564 Depth=1
	s_or_b32 exec_lo, exec_lo, s21
	v_lshlrev_b32_e32 v2, 8, v2
	v_lshl_add_u32 v22, v72, 10, 0x2000
	v_lshlrev_b32_e32 v23, 7, v61
	v_and_b32_e32 v2, 0x8000, v2
	v_and_b32_e32 v22, 0xfc00, v22
	v_or3_b32 v61, v2, v22, v23
.LBB300_2542:                           ;   in Loop: Header=BB300_1564 Depth=1
	s_or_b32 exec_lo, exec_lo, s20
.LBB300_2543:                           ;   in Loop: Header=BB300_1564 Depth=1
	s_or_b32 exec_lo, exec_lo, s19
.LBB300_2544:                           ;   in Loop: Header=BB300_1564 Depth=1
	s_or_b32 exec_lo, exec_lo, s18
	v_cmp_lt_u64_e64 s4, s[6:7], v[11:12]
	v_mov_b32_e32 v11, 0
	s_and_saveexec_b32 s18, s4
	s_cbranch_execz .LBB300_2552
; %bb.2545:                             ;   in Loop: Header=BB300_1564 Depth=1
	v_lshrrev_b32_e32 v2, 24, v12
	v_bfrev_b32_e32 v11, 1
	s_mov_b32 s19, exec_lo
	v_cmpx_ne_u32_e32 0x80, v2
	s_cbranch_execz .LBB300_2551
; %bb.2546:                             ;   in Loop: Header=BB300_1564 Depth=1
	v_and_b32_e32 v72, 0x7f, v2
	v_mov_b32_e32 v11, 0x7c010000
	s_mov_b32 s20, exec_lo
	v_cmpx_ne_u32_e32 0x7f, v72
	s_cbranch_execz .LBB300_2550
; %bb.2547:                             ;   in Loop: Header=BB300_1564 Depth=1
	v_and_b32_e32 v11, 7, v2
	v_lshrrev_b32_e32 v12, 3, v72
	s_mov_b32 s21, exec_lo
	v_cmpx_gt_u32_e32 8, v72
; %bb.2548:                             ;   in Loop: Header=BB300_1564 Depth=1
	v_ffbh_u32_e32 v11, v11
	v_min_u32_e32 v22, 32, v11
	v_subrev_nc_u32_e32 v11, 28, v22
	v_lshlrev_b64 v[11:12], v11, v[2:3]
	v_sub_nc_u32_e32 v12, 29, v22
	v_and_b32_e32 v11, 7, v11
; %bb.2549:                             ;   in Loop: Header=BB300_1564 Depth=1
	s_or_b32 exec_lo, exec_lo, s21
	v_lshlrev_b32_e32 v2, 8, v2
	v_lshl_add_u32 v12, v12, 10, 0x2000
	v_lshlrev_b32_e32 v11, 23, v11
	v_and_or_b32 v2, 0x8000, v2, v12
	v_lshl_or_b32 v11, v2, 16, v11
.LBB300_2550:                           ;   in Loop: Header=BB300_1564 Depth=1
	s_or_b32 exec_lo, exec_lo, s20
.LBB300_2551:                           ;   in Loop: Header=BB300_1564 Depth=1
	s_or_b32 exec_lo, exec_lo, s19
.LBB300_2552:                           ;   in Loop: Header=BB300_1564 Depth=1
	s_or_b32 exec_lo, exec_lo, s18
	v_or_b32_e32 v2, v59, v60
	s_waitcnt vmcnt(0) lgkmcnt(0)
	v_fma_mixlo_f16 v12, v31, v59, 0 op_sel:[0,1,0] op_sel_hi:[0,1,0]
	v_or_b32_e32 v22, v57, v58
	v_fma_mixlo_f16 v23, v31, v57, 0 op_sel:[0,1,0] op_sel_hi:[0,1,0]
	v_or_b32_e32 v57, v63, v62
	v_fma_mixlo_f16 v59, v31, v2, 0 op_sel_hi:[0,1,0]
	v_or_b32_e32 v60, v11, v61
	v_lshlrev_b32_e32 v2, 16, v12
	v_lshlrev_b32_e32 v58, 16, v23
	v_fma_mixlo_f16 v22, v31, v22, 0 op_sel_hi:[0,1,0]
	v_and_b32_e32 v12, 0xffff, v59
	v_fma_mixlo_f16 v23, v31, v63, 0 op_sel:[0,1,0] op_sel_hi:[0,1,0]
	v_fma_mixlo_f16 v57, v31, v57, 0 op_sel_hi:[0,1,0]
	v_fma_mixlo_f16 v11, v31, v11, 0 op_sel:[0,1,0] op_sel_hi:[0,1,0]
	v_fma_mixlo_f16 v59, v31, v60, 0 op_sel_hi:[0,1,0]
	v_and_b32_e32 v72, 0xffff, v22
	v_lshlrev_b32_e32 v31, 16, v23
	v_and_b32_e32 v60, 0xffff, v57
	v_lshlrev_b32_e32 v11, 16, v11
	v_and_b32_e32 v57, 0xffff, v59
	v_or_b32_e32 v59, v2, v12
	v_or_b32_e32 v63, v58, v72
	;; [unrolled: 1-line block ×4, first 2 shown]
	s_and_saveexec_b32 s18, vcc_lo
	s_cbranch_execz .LBB300_2554
; %bb.2553:                             ;   in Loop: Header=BB300_1564 Depth=1
	v_cmp_lt_i32_e64 s4, v71, v30
	v_cndmask_b32_e64 v22, 0, v72, s4
	v_cmp_lt_i32_e64 s4, v100, v30
	v_cndmask_b32_e64 v23, 0, v58, s4
	v_cmp_lt_i32_e64 s4, v99, v30
	v_or_b32_e32 v63, v22, v23
	v_cndmask_b32_e64 v12, 0, v12, s4
	v_cmp_lt_i32_e64 s4, v98, v30
	v_cndmask_b32_e64 v2, 0, v2, s4
	v_cmp_lt_i32_e64 s4, v97, v30
	v_or_b32_e32 v59, v12, v2
	v_cndmask_b32_e64 v58, 0, v60, s4
	v_cmp_lt_i32_e64 s4, v96, v30
	v_cndmask_b32_e64 v31, 0, v31, s4
	v_cmp_lt_i32_e64 s4, v87, v30
	v_or_b32_e32 v62, v58, v31
	v_cndmask_b32_e64 v57, 0, v57, s4
	v_cmp_lt_i32_e64 s4, v86, v30
	v_cndmask_b32_e64 v11, 0, v11, s4
	v_or_b32_e32 v61, v57, v11
.LBB300_2554:                           ;   in Loop: Header=BB300_1564 Depth=1
	s_or_b32 exec_lo, exec_lo, s18
	;;#ASMSTART
	v_pk_mul_f16 v2, v83, v63;

	;;#ASMEND
	;;#ASMSTART
	v_pk_mul_f16 v11, v82, v59;

	;;#ASMEND
	;; [unrolled: 4-line block ×4, first 2 shown]
	;;#ASMSTART
	v_pk_add_f16 v2, v2, v11;

	;;#ASMEND
	;;#ASMSTART
	v_pk_add_f16 v2, v2, v12;

	;;#ASMEND
	;; [unrolled: 4-line block ×3, first 2 shown]
	v_and_b32_e32 v11, 0xffff, v2
	v_lshrrev_b32_e32 v2, 16, v2
	;;#ASMSTART
	v_cvt_f32_f16 v11, v11;
	;;#ASMEND
	;;#ASMSTART
	v_cvt_f32_f16 v12, v2;
	;;#ASMEND
	flat_load_dwordx2 v[9:10], v[9:10] offset:1792
	flat_load_dword v31, v[106:107]
	v_mov_b32_e32 v57, 0
	v_mov_b32_e32 v58, 0
	s_waitcnt vmcnt(1) lgkmcnt(1)
	v_cmp_ne_u16_sdwa s4, v9, v3 src0_sel:BYTE_0 src1_sel:DWORD
	s_and_saveexec_b32 s18, s4
	s_cbranch_execz .LBB300_2562
; %bb.2555:                             ;   in Loop: Header=BB300_1564 Depth=1
	v_cmp_ne_u16_sdwa s4, v9, v67 src0_sel:BYTE_0 src1_sel:DWORD
	v_mov_b32_e32 v58, 0x8000
	s_and_saveexec_b32 s19, s4
	s_cbranch_execz .LBB300_2561
; %bb.2556:                             ;   in Loop: Header=BB300_1564 Depth=1
	v_and_b32_e32 v59, 0x7f, v9
	v_mov_b32_e32 v58, 0x7c01
	s_mov_b32 s20, exec_lo
	v_cmpx_ne_u32_e32 0x7f, v59
	s_cbranch_execz .LBB300_2560
; %bb.2557:                             ;   in Loop: Header=BB300_1564 Depth=1
	v_and_b32_e32 v2, 7, v9
	v_lshrrev_b32_e32 v58, 3, v59
	s_mov_b32 s21, exec_lo
	v_cmpx_gt_u32_e32 8, v59
; %bb.2558:                             ;   in Loop: Header=BB300_1564 Depth=1
	v_ffbh_u32_e32 v2, v2
	v_min_u32_e32 v2, 32, v2
	v_subrev_nc_u32_e32 v22, 28, v2
	v_sub_nc_u32_e32 v58, 29, v2
	v_lshlrev_b64 v[22:23], v22, v[9:10]
	v_and_b32_e32 v2, 7, v22
; %bb.2559:                             ;   in Loop: Header=BB300_1564 Depth=1
	s_or_b32 exec_lo, exec_lo, s21
	v_lshlrev_b32_e32 v22, 8, v9
	v_lshl_add_u32 v23, v58, 10, 0x2000
	v_lshlrev_b32_e32 v2, 7, v2
	v_and_b32_e32 v22, 0x8000, v22
	v_and_b32_e32 v23, 0xfc00, v23
	v_or3_b32 v58, v22, v23, v2
.LBB300_2560:                           ;   in Loop: Header=BB300_1564 Depth=1
	s_or_b32 exec_lo, exec_lo, s20
.LBB300_2561:                           ;   in Loop: Header=BB300_1564 Depth=1
	s_or_b32 exec_lo, exec_lo, s19
.LBB300_2562:                           ;   in Loop: Header=BB300_1564 Depth=1
	s_or_b32 exec_lo, exec_lo, s18
	v_lshrrev_b16 v2, 8, v9
	s_mov_b32 s18, exec_lo
	v_cmpx_ne_u16_e32 0, v2
	s_cbranch_execz .LBB300_2570
; %bb.2563:                             ;   in Loop: Header=BB300_1564 Depth=1
	v_bfrev_b32_e32 v57, 1
	s_mov_b32 s19, exec_lo
	v_cmpx_ne_u16_e32 0x80, v2
	s_cbranch_execz .LBB300_2569
; %bb.2564:                             ;   in Loop: Header=BB300_1564 Depth=1
	v_and_b32_sdwa v60, v2, v68 dst_sel:DWORD dst_unused:UNUSED_PAD src0_sel:WORD_0 src1_sel:DWORD
	v_mov_b32_e32 v57, 0x7c010000
	s_mov_b32 s20, exec_lo
	v_cmpx_ne_u32_e32 0x7f, v60
	s_cbranch_execz .LBB300_2568
; %bb.2565:                             ;   in Loop: Header=BB300_1564 Depth=1
	v_and_b32_sdwa v57, v2, v69 dst_sel:DWORD dst_unused:UNUSED_PAD src0_sel:WORD_0 src1_sel:DWORD
	v_lshrrev_b32_e32 v59, 3, v60
	s_mov_b32 s21, exec_lo
	v_cmpx_gt_u32_e32 8, v60
; %bb.2566:                             ;   in Loop: Header=BB300_1564 Depth=1
	v_ffbh_u32_e32 v22, v57
	v_min_u32_e32 v57, 32, v22
	v_subrev_nc_u32_e32 v22, 28, v57
	v_sub_nc_u32_e32 v59, 29, v57
	v_lshlrev_b64 v[22:23], v22, v[2:3]
	v_and_b32_e32 v57, 7, v22
; %bb.2567:                             ;   in Loop: Header=BB300_1564 Depth=1
	s_or_b32 exec_lo, exec_lo, s21
	v_lshlrev_b32_sdwa v2, v70, v2 dst_sel:DWORD dst_unused:UNUSED_PAD src0_sel:DWORD src1_sel:WORD_0
	v_lshl_add_u32 v22, v59, 10, 0x2000
	v_and_or_b32 v2, 0x8000, v2, v22
	v_lshlrev_b32_e32 v22, 23, v57
	v_lshl_or_b32 v57, v2, 16, v22
.LBB300_2568:                           ;   in Loop: Header=BB300_1564 Depth=1
	s_or_b32 exec_lo, exec_lo, s20
.LBB300_2569:                           ;   in Loop: Header=BB300_1564 Depth=1
	s_or_b32 exec_lo, exec_lo, s19
.LBB300_2570:                           ;   in Loop: Header=BB300_1564 Depth=1
	s_or_b32 exec_lo, exec_lo, s18
	v_lshrrev_b32_e32 v2, 16, v9
	v_mov_b32_e32 v59, 0
	v_mov_b32_e32 v60, 0
	v_cmp_ne_u16_sdwa s4, v2, v3 src0_sel:BYTE_0 src1_sel:DWORD
	s_and_saveexec_b32 s18, s4
	s_cbranch_execz .LBB300_2578
; %bb.2571:                             ;   in Loop: Header=BB300_1564 Depth=1
	v_cmp_ne_u16_sdwa s4, v2, v67 src0_sel:BYTE_0 src1_sel:DWORD
	v_mov_b32_e32 v60, 0x8000
	s_and_saveexec_b32 s19, s4
	s_cbranch_execz .LBB300_2577
; %bb.2572:                             ;   in Loop: Header=BB300_1564 Depth=1
	v_bfe_u32 v62, v9, 16, 7
	v_mov_b32_e32 v60, 0x7c01
	s_mov_b32 s20, exec_lo
	v_cmpx_ne_u32_e32 0x7f, v62
	s_cbranch_execz .LBB300_2576
; %bb.2573:                             ;   in Loop: Header=BB300_1564 Depth=1
	v_and_b32_e32 v60, 7, v2
	v_lshrrev_b32_e32 v61, 3, v62
	s_mov_b32 s21, exec_lo
	v_cmpx_gt_u32_e32 8, v62
; %bb.2574:                             ;   in Loop: Header=BB300_1564 Depth=1
	v_ffbh_u32_e32 v22, v60
	v_min_u32_e32 v60, 32, v22
	v_subrev_nc_u32_e32 v22, 28, v60
	v_sub_nc_u32_e32 v61, 29, v60
	v_lshlrev_b64 v[22:23], v22, v[2:3]
	v_and_b32_e32 v60, 7, v22
; %bb.2575:                             ;   in Loop: Header=BB300_1564 Depth=1
	s_or_b32 exec_lo, exec_lo, s21
	v_lshlrev_b32_e32 v2, 8, v2
	v_lshl_add_u32 v22, v61, 10, 0x2000
	v_lshlrev_b32_e32 v23, 7, v60
	v_and_b32_e32 v2, 0x8000, v2
	v_and_b32_e32 v22, 0xfc00, v22
	v_or3_b32 v60, v2, v22, v23
.LBB300_2576:                           ;   in Loop: Header=BB300_1564 Depth=1
	s_or_b32 exec_lo, exec_lo, s20
.LBB300_2577:                           ;   in Loop: Header=BB300_1564 Depth=1
	s_or_b32 exec_lo, exec_lo, s19
.LBB300_2578:                           ;   in Loop: Header=BB300_1564 Depth=1
	s_or_b32 exec_lo, exec_lo, s18
	s_mov_b32 s18, exec_lo
	v_cmpx_lt_u32_e32 0xffffff, v9
	s_cbranch_execz .LBB300_2586
; %bb.2579:                             ;   in Loop: Header=BB300_1564 Depth=1
	v_lshrrev_b32_e32 v2, 24, v9
	v_bfrev_b32_e32 v59, 1
	s_mov_b32 s19, exec_lo
	v_cmpx_ne_u32_e32 0x80, v2
	s_cbranch_execz .LBB300_2585
; %bb.2580:                             ;   in Loop: Header=BB300_1564 Depth=1
	v_and_b32_e32 v62, 0x7f, v2
	v_mov_b32_e32 v59, 0x7c010000
	s_mov_b32 s20, exec_lo
	v_cmpx_ne_u32_e32 0x7f, v62
	s_cbranch_execz .LBB300_2584
; %bb.2581:                             ;   in Loop: Header=BB300_1564 Depth=1
	v_and_b32_e32 v59, 7, v2
	v_lshrrev_b32_e32 v61, 3, v62
	s_mov_b32 s21, exec_lo
	v_cmpx_gt_u32_e32 8, v62
; %bb.2582:                             ;   in Loop: Header=BB300_1564 Depth=1
	v_ffbh_u32_e32 v22, v59
	v_min_u32_e32 v59, 32, v22
	v_subrev_nc_u32_e32 v22, 28, v59
	v_sub_nc_u32_e32 v61, 29, v59
	v_lshlrev_b64 v[22:23], v22, v[2:3]
	v_and_b32_e32 v59, 7, v22
; %bb.2583:                             ;   in Loop: Header=BB300_1564 Depth=1
	s_or_b32 exec_lo, exec_lo, s21
	v_lshlrev_b32_e32 v2, 8, v2
	v_lshl_add_u32 v22, v61, 10, 0x2000
	v_and_or_b32 v2, 0x8000, v2, v22
	v_lshlrev_b32_e32 v22, 23, v59
	v_lshl_or_b32 v59, v2, 16, v22
.LBB300_2584:                           ;   in Loop: Header=BB300_1564 Depth=1
	s_or_b32 exec_lo, exec_lo, s20
.LBB300_2585:                           ;   in Loop: Header=BB300_1564 Depth=1
	s_or_b32 exec_lo, exec_lo, s19
.LBB300_2586:                           ;   in Loop: Header=BB300_1564 Depth=1
	s_or_b32 exec_lo, exec_lo, s18
	v_mov_b32_e32 v2, v10
	v_cmp_ne_u16_sdwa s4, v10, v3 src0_sel:BYTE_0 src1_sel:DWORD
	v_mov_b32_e32 v61, 0
	v_mov_b32_e32 v62, 0
	s_and_saveexec_b32 s18, s4
	s_cbranch_execz .LBB300_2594
; %bb.2587:                             ;   in Loop: Header=BB300_1564 Depth=1
	v_cmp_ne_u16_sdwa s4, v10, v67 src0_sel:BYTE_0 src1_sel:DWORD
	v_mov_b32_e32 v62, 0x8000
	s_and_saveexec_b32 s19, s4
	s_cbranch_execz .LBB300_2593
; %bb.2588:                             ;   in Loop: Header=BB300_1564 Depth=1
	v_and_b32_e32 v72, 0x7f, v10
	v_mov_b32_e32 v62, 0x7c01
	s_mov_b32 s20, exec_lo
	v_cmpx_ne_u32_e32 0x7f, v72
	s_cbranch_execz .LBB300_2592
; %bb.2589:                             ;   in Loop: Header=BB300_1564 Depth=1
	v_and_b32_e32 v62, 7, v10
	v_lshrrev_b32_e32 v63, 3, v72
	s_mov_b32 s21, exec_lo
	v_cmpx_gt_u32_e32 8, v72
; %bb.2590:                             ;   in Loop: Header=BB300_1564 Depth=1
	v_ffbh_u32_e32 v22, v62
	v_min_u32_e32 v62, 32, v22
	v_subrev_nc_u32_e32 v22, 28, v62
	v_sub_nc_u32_e32 v63, 29, v62
	v_lshlrev_b64 v[22:23], v22, v[2:3]
	v_and_b32_e32 v62, 7, v22
; %bb.2591:                             ;   in Loop: Header=BB300_1564 Depth=1
	s_or_b32 exec_lo, exec_lo, s21
	v_lshlrev_b32_e32 v22, 8, v10
	v_lshl_add_u32 v23, v63, 10, 0x2000
	v_lshlrev_b32_e32 v62, 7, v62
	v_and_b32_e32 v22, 0x8000, v22
	v_and_b32_e32 v23, 0xfc00, v23
	v_or3_b32 v62, v22, v23, v62
.LBB300_2592:                           ;   in Loop: Header=BB300_1564 Depth=1
	s_or_b32 exec_lo, exec_lo, s20
.LBB300_2593:                           ;   in Loop: Header=BB300_1564 Depth=1
	s_or_b32 exec_lo, exec_lo, s19
.LBB300_2594:                           ;   in Loop: Header=BB300_1564 Depth=1
	s_or_b32 exec_lo, exec_lo, s18
	v_lshrrev_b16 v2, 8, v2
	v_mov_b32_e32 v63, 0
	s_mov_b32 s18, exec_lo
	v_cmpx_ne_u16_e32 0, v2
	s_cbranch_execz .LBB300_2602
; %bb.2595:                             ;   in Loop: Header=BB300_1564 Depth=1
	v_bfrev_b32_e32 v63, 1
	s_mov_b32 s19, exec_lo
	v_cmpx_ne_u16_e32 0x80, v2
	s_cbranch_execz .LBB300_2601
; %bb.2596:                             ;   in Loop: Header=BB300_1564 Depth=1
	v_and_b32_sdwa v73, v2, v68 dst_sel:DWORD dst_unused:UNUSED_PAD src0_sel:WORD_0 src1_sel:DWORD
	v_mov_b32_e32 v63, 0x7c010000
	s_mov_b32 s20, exec_lo
	v_cmpx_ne_u32_e32 0x7f, v73
	s_cbranch_execz .LBB300_2600
; %bb.2597:                             ;   in Loop: Header=BB300_1564 Depth=1
	v_and_b32_sdwa v63, v2, v69 dst_sel:DWORD dst_unused:UNUSED_PAD src0_sel:WORD_0 src1_sel:DWORD
	v_lshrrev_b32_e32 v72, 3, v73
	s_mov_b32 s21, exec_lo
	v_cmpx_gt_u32_e32 8, v73
; %bb.2598:                             ;   in Loop: Header=BB300_1564 Depth=1
	v_ffbh_u32_e32 v22, v63
	v_min_u32_e32 v63, 32, v22
	v_subrev_nc_u32_e32 v22, 28, v63
	v_sub_nc_u32_e32 v72, 29, v63
	v_lshlrev_b64 v[22:23], v22, v[2:3]
	v_and_b32_e32 v63, 7, v22
; %bb.2599:                             ;   in Loop: Header=BB300_1564 Depth=1
	s_or_b32 exec_lo, exec_lo, s21
	v_lshlrev_b32_sdwa v2, v70, v2 dst_sel:DWORD dst_unused:UNUSED_PAD src0_sel:DWORD src1_sel:WORD_0
	v_lshl_add_u32 v22, v72, 10, 0x2000
	v_and_or_b32 v2, 0x8000, v2, v22
	v_lshlrev_b32_e32 v22, 23, v63
	v_lshl_or_b32 v63, v2, 16, v22
.LBB300_2600:                           ;   in Loop: Header=BB300_1564 Depth=1
	s_or_b32 exec_lo, exec_lo, s20
.LBB300_2601:                           ;   in Loop: Header=BB300_1564 Depth=1
	s_or_b32 exec_lo, exec_lo, s19
.LBB300_2602:                           ;   in Loop: Header=BB300_1564 Depth=1
	s_or_b32 exec_lo, exec_lo, s18
	v_lshrrev_b32_e32 v2, 16, v10
	v_cmp_ne_u16_sdwa s4, v2, v3 src0_sel:BYTE_0 src1_sel:DWORD
	s_and_saveexec_b32 s18, s4
	s_cbranch_execz .LBB300_2610
; %bb.2603:                             ;   in Loop: Header=BB300_1564 Depth=1
	v_cmp_ne_u16_sdwa s4, v2, v67 src0_sel:BYTE_0 src1_sel:DWORD
	v_mov_b32_e32 v61, 0x8000
	s_and_saveexec_b32 s19, s4
	s_cbranch_execz .LBB300_2609
; %bb.2604:                             ;   in Loop: Header=BB300_1564 Depth=1
	v_bfe_u32 v73, v10, 16, 7
	v_mov_b32_e32 v61, 0x7c01
	s_mov_b32 s20, exec_lo
	v_cmpx_ne_u32_e32 0x7f, v73
	s_cbranch_execz .LBB300_2608
; %bb.2605:                             ;   in Loop: Header=BB300_1564 Depth=1
	v_and_b32_e32 v61, 7, v2
	v_lshrrev_b32_e32 v72, 3, v73
	s_mov_b32 s21, exec_lo
	v_cmpx_gt_u32_e32 8, v73
; %bb.2606:                             ;   in Loop: Header=BB300_1564 Depth=1
	v_ffbh_u32_e32 v22, v61
	v_min_u32_e32 v61, 32, v22
	v_subrev_nc_u32_e32 v22, 28, v61
	v_sub_nc_u32_e32 v72, 29, v61
	v_lshlrev_b64 v[22:23], v22, v[2:3]
	v_and_b32_e32 v61, 7, v22
; %bb.2607:                             ;   in Loop: Header=BB300_1564 Depth=1
	s_or_b32 exec_lo, exec_lo, s21
	v_lshlrev_b32_e32 v2, 8, v2
	v_lshl_add_u32 v22, v72, 10, 0x2000
	v_lshlrev_b32_e32 v23, 7, v61
	v_and_b32_e32 v2, 0x8000, v2
	v_and_b32_e32 v22, 0xfc00, v22
	v_or3_b32 v61, v2, v22, v23
.LBB300_2608:                           ;   in Loop: Header=BB300_1564 Depth=1
	s_or_b32 exec_lo, exec_lo, s20
.LBB300_2609:                           ;   in Loop: Header=BB300_1564 Depth=1
	s_or_b32 exec_lo, exec_lo, s19
.LBB300_2610:                           ;   in Loop: Header=BB300_1564 Depth=1
	s_or_b32 exec_lo, exec_lo, s18
	v_cmp_lt_u64_e64 s4, s[6:7], v[9:10]
	v_mov_b32_e32 v9, 0
	s_and_saveexec_b32 s18, s4
	s_cbranch_execz .LBB300_2618
; %bb.2611:                             ;   in Loop: Header=BB300_1564 Depth=1
	v_lshrrev_b32_e32 v2, 24, v10
	v_bfrev_b32_e32 v9, 1
	s_mov_b32 s19, exec_lo
	v_cmpx_ne_u32_e32 0x80, v2
	s_cbranch_execz .LBB300_2617
; %bb.2612:                             ;   in Loop: Header=BB300_1564 Depth=1
	v_and_b32_e32 v72, 0x7f, v2
	v_mov_b32_e32 v9, 0x7c010000
	s_mov_b32 s20, exec_lo
	v_cmpx_ne_u32_e32 0x7f, v72
	s_cbranch_execz .LBB300_2616
; %bb.2613:                             ;   in Loop: Header=BB300_1564 Depth=1
	v_and_b32_e32 v9, 7, v2
	v_lshrrev_b32_e32 v10, 3, v72
	s_mov_b32 s21, exec_lo
	v_cmpx_gt_u32_e32 8, v72
; %bb.2614:                             ;   in Loop: Header=BB300_1564 Depth=1
	v_ffbh_u32_e32 v9, v9
	v_min_u32_e32 v22, 32, v9
	v_subrev_nc_u32_e32 v9, 28, v22
	v_lshlrev_b64 v[9:10], v9, v[2:3]
	v_sub_nc_u32_e32 v10, 29, v22
	v_and_b32_e32 v9, 7, v9
; %bb.2615:                             ;   in Loop: Header=BB300_1564 Depth=1
	s_or_b32 exec_lo, exec_lo, s21
	v_lshlrev_b32_e32 v2, 8, v2
	v_lshl_add_u32 v10, v10, 10, 0x2000
	v_lshlrev_b32_e32 v9, 23, v9
	v_and_or_b32 v2, 0x8000, v2, v10
	v_lshl_or_b32 v9, v2, 16, v9
.LBB300_2616:                           ;   in Loop: Header=BB300_1564 Depth=1
	s_or_b32 exec_lo, exec_lo, s20
.LBB300_2617:                           ;   in Loop: Header=BB300_1564 Depth=1
	s_or_b32 exec_lo, exec_lo, s19
.LBB300_2618:                           ;   in Loop: Header=BB300_1564 Depth=1
	s_or_b32 exec_lo, exec_lo, s18
	v_or_b32_e32 v2, v59, v60
	s_waitcnt vmcnt(0) lgkmcnt(0)
	v_fma_mixlo_f16 v10, v31, v59, 0 op_sel:[0,1,0] op_sel_hi:[0,1,0]
	v_or_b32_e32 v22, v57, v58
	v_fma_mixlo_f16 v23, v31, v57, 0 op_sel:[0,1,0] op_sel_hi:[0,1,0]
	v_or_b32_e32 v57, v63, v62
	v_fma_mixlo_f16 v59, v31, v2, 0 op_sel_hi:[0,1,0]
	v_or_b32_e32 v60, v9, v61
	v_lshlrev_b32_e32 v2, 16, v10
	v_lshlrev_b32_e32 v58, 16, v23
	v_fma_mixlo_f16 v22, v31, v22, 0 op_sel_hi:[0,1,0]
	v_and_b32_e32 v10, 0xffff, v59
	v_fma_mixlo_f16 v23, v31, v63, 0 op_sel:[0,1,0] op_sel_hi:[0,1,0]
	v_fma_mixlo_f16 v57, v31, v57, 0 op_sel_hi:[0,1,0]
	v_fma_mixlo_f16 v9, v31, v9, 0 op_sel:[0,1,0] op_sel_hi:[0,1,0]
	v_fma_mixlo_f16 v59, v31, v60, 0 op_sel_hi:[0,1,0]
	v_and_b32_e32 v72, 0xffff, v22
	v_lshlrev_b32_e32 v31, 16, v23
	v_and_b32_e32 v60, 0xffff, v57
	v_lshlrev_b32_e32 v9, 16, v9
	v_and_b32_e32 v57, 0xffff, v59
	v_or_b32_e32 v59, v2, v10
	v_or_b32_e32 v63, v58, v72
	;; [unrolled: 1-line block ×4, first 2 shown]
	s_and_saveexec_b32 s18, vcc_lo
	s_cbranch_execz .LBB300_2620
; %bb.2619:                             ;   in Loop: Header=BB300_1564 Depth=1
	v_cmp_lt_i32_e64 s4, v71, v30
	v_cndmask_b32_e64 v22, 0, v72, s4
	v_cmp_lt_i32_e64 s4, v100, v30
	v_cndmask_b32_e64 v23, 0, v58, s4
	v_cmp_lt_i32_e64 s4, v99, v30
	v_or_b32_e32 v63, v22, v23
	v_cndmask_b32_e64 v10, 0, v10, s4
	v_cmp_lt_i32_e64 s4, v98, v30
	v_cndmask_b32_e64 v2, 0, v2, s4
	v_cmp_lt_i32_e64 s4, v97, v30
	v_or_b32_e32 v59, v10, v2
	;; [unrolled: 5-line block ×3, first 2 shown]
	v_cndmask_b32_e64 v57, 0, v57, s4
	v_cmp_lt_i32_e64 s4, v86, v30
	v_cndmask_b32_e64 v9, 0, v9, s4
	v_or_b32_e32 v61, v57, v9
.LBB300_2620:                           ;   in Loop: Header=BB300_1564 Depth=1
	s_or_b32 exec_lo, exec_lo, s18
	v_add_co_u32 v7, s4, 0x1000, v7
	v_add_co_ci_u32_e64 v8, null, 0, v8, s4
	;;#ASMSTART
	v_pk_mul_f16 v2, v83, v63;

	;;#ASMEND
	;;#ASMSTART
	v_pk_mul_f16 v9, v82, v59;

	;;#ASMEND
	;; [unrolled: 4-line block ×4, first 2 shown]
	;;#ASMSTART
	v_pk_add_f16 v2, v2, v9;

	;;#ASMEND
	;;#ASMSTART
	v_pk_add_f16 v2, v2, v10;

	;;#ASMEND
	;; [unrolled: 4-line block ×3, first 2 shown]
	v_lshrrev_b32_e32 v9, 16, v2
	v_and_b32_e32 v2, 0xffff, v2
	;;#ASMSTART
	v_cvt_f32_f16 v31, v2;
	;;#ASMEND
	;;#ASMSTART
	v_cvt_f32_f16 v57, v9;
	;;#ASMEND
	flat_load_dwordx2 v[9:10], v[7:8]
	flat_load_dword v58, v[106:107]
	v_mov_b32_e32 v59, 0
	v_mov_b32_e32 v60, 0
	s_waitcnt vmcnt(1) lgkmcnt(1)
	v_cmp_ne_u16_sdwa s4, v9, v3 src0_sel:BYTE_0 src1_sel:DWORD
	s_and_saveexec_b32 s18, s4
	s_cbranch_execz .LBB300_2628
; %bb.2621:                             ;   in Loop: Header=BB300_1564 Depth=1
	v_cmp_ne_u16_sdwa s4, v9, v67 src0_sel:BYTE_0 src1_sel:DWORD
	v_mov_b32_e32 v60, 0x8000
	s_and_saveexec_b32 s19, s4
	s_cbranch_execz .LBB300_2627
; %bb.2622:                             ;   in Loop: Header=BB300_1564 Depth=1
	v_and_b32_e32 v61, 0x7f, v9
	v_mov_b32_e32 v60, 0x7c01
	s_mov_b32 s20, exec_lo
	v_cmpx_ne_u32_e32 0x7f, v61
	s_cbranch_execz .LBB300_2626
; %bb.2623:                             ;   in Loop: Header=BB300_1564 Depth=1
	v_and_b32_e32 v2, 7, v9
	v_lshrrev_b32_e32 v60, 3, v61
	s_mov_b32 s21, exec_lo
	v_cmpx_gt_u32_e32 8, v61
; %bb.2624:                             ;   in Loop: Header=BB300_1564 Depth=1
	v_ffbh_u32_e32 v2, v2
	v_min_u32_e32 v2, 32, v2
	v_subrev_nc_u32_e32 v22, 28, v2
	v_sub_nc_u32_e32 v60, 29, v2
	v_lshlrev_b64 v[22:23], v22, v[9:10]
	v_and_b32_e32 v2, 7, v22
; %bb.2625:                             ;   in Loop: Header=BB300_1564 Depth=1
	s_or_b32 exec_lo, exec_lo, s21
	v_lshlrev_b32_e32 v22, 8, v9
	v_lshl_add_u32 v23, v60, 10, 0x2000
	v_lshlrev_b32_e32 v2, 7, v2
	v_and_b32_e32 v22, 0x8000, v22
	v_and_b32_e32 v23, 0xfc00, v23
	v_or3_b32 v60, v22, v23, v2
.LBB300_2626:                           ;   in Loop: Header=BB300_1564 Depth=1
	s_or_b32 exec_lo, exec_lo, s20
.LBB300_2627:                           ;   in Loop: Header=BB300_1564 Depth=1
	s_or_b32 exec_lo, exec_lo, s19
.LBB300_2628:                           ;   in Loop: Header=BB300_1564 Depth=1
	s_or_b32 exec_lo, exec_lo, s18
	v_lshrrev_b16 v2, 8, v9
	s_mov_b32 s18, exec_lo
	v_cmpx_ne_u16_e32 0, v2
	s_cbranch_execz .LBB300_2636
; %bb.2629:                             ;   in Loop: Header=BB300_1564 Depth=1
	v_bfrev_b32_e32 v59, 1
	s_mov_b32 s19, exec_lo
	v_cmpx_ne_u16_e32 0x80, v2
	s_cbranch_execz .LBB300_2635
; %bb.2630:                             ;   in Loop: Header=BB300_1564 Depth=1
	v_and_b32_sdwa v62, v2, v68 dst_sel:DWORD dst_unused:UNUSED_PAD src0_sel:WORD_0 src1_sel:DWORD
	v_mov_b32_e32 v59, 0x7c010000
	s_mov_b32 s20, exec_lo
	v_cmpx_ne_u32_e32 0x7f, v62
	s_cbranch_execz .LBB300_2634
; %bb.2631:                             ;   in Loop: Header=BB300_1564 Depth=1
	v_and_b32_sdwa v59, v2, v69 dst_sel:DWORD dst_unused:UNUSED_PAD src0_sel:WORD_0 src1_sel:DWORD
	v_lshrrev_b32_e32 v61, 3, v62
	s_mov_b32 s21, exec_lo
	v_cmpx_gt_u32_e32 8, v62
; %bb.2632:                             ;   in Loop: Header=BB300_1564 Depth=1
	v_ffbh_u32_e32 v22, v59
	v_min_u32_e32 v59, 32, v22
	v_subrev_nc_u32_e32 v22, 28, v59
	v_sub_nc_u32_e32 v61, 29, v59
	v_lshlrev_b64 v[22:23], v22, v[2:3]
	v_and_b32_e32 v59, 7, v22
; %bb.2633:                             ;   in Loop: Header=BB300_1564 Depth=1
	s_or_b32 exec_lo, exec_lo, s21
	v_lshlrev_b32_sdwa v2, v70, v2 dst_sel:DWORD dst_unused:UNUSED_PAD src0_sel:DWORD src1_sel:WORD_0
	v_lshl_add_u32 v22, v61, 10, 0x2000
	v_and_or_b32 v2, 0x8000, v2, v22
	v_lshlrev_b32_e32 v22, 23, v59
	v_lshl_or_b32 v59, v2, 16, v22
.LBB300_2634:                           ;   in Loop: Header=BB300_1564 Depth=1
	s_or_b32 exec_lo, exec_lo, s20
.LBB300_2635:                           ;   in Loop: Header=BB300_1564 Depth=1
	s_or_b32 exec_lo, exec_lo, s19
.LBB300_2636:                           ;   in Loop: Header=BB300_1564 Depth=1
	s_or_b32 exec_lo, exec_lo, s18
	v_lshrrev_b32_e32 v2, 16, v9
	v_mov_b32_e32 v61, 0
	v_mov_b32_e32 v62, 0
	v_cmp_ne_u16_sdwa s4, v2, v3 src0_sel:BYTE_0 src1_sel:DWORD
	s_and_saveexec_b32 s18, s4
	s_cbranch_execz .LBB300_2644
; %bb.2637:                             ;   in Loop: Header=BB300_1564 Depth=1
	v_cmp_ne_u16_sdwa s4, v2, v67 src0_sel:BYTE_0 src1_sel:DWORD
	v_mov_b32_e32 v62, 0x8000
	s_and_saveexec_b32 s19, s4
	s_cbranch_execz .LBB300_2643
; %bb.2638:                             ;   in Loop: Header=BB300_1564 Depth=1
	v_bfe_u32 v72, v9, 16, 7
	v_mov_b32_e32 v62, 0x7c01
	s_mov_b32 s20, exec_lo
	v_cmpx_ne_u32_e32 0x7f, v72
	s_cbranch_execz .LBB300_2642
; %bb.2639:                             ;   in Loop: Header=BB300_1564 Depth=1
	v_and_b32_e32 v62, 7, v2
	v_lshrrev_b32_e32 v63, 3, v72
	s_mov_b32 s21, exec_lo
	v_cmpx_gt_u32_e32 8, v72
; %bb.2640:                             ;   in Loop: Header=BB300_1564 Depth=1
	v_ffbh_u32_e32 v22, v62
	v_min_u32_e32 v62, 32, v22
	v_subrev_nc_u32_e32 v22, 28, v62
	v_sub_nc_u32_e32 v63, 29, v62
	v_lshlrev_b64 v[22:23], v22, v[2:3]
	v_and_b32_e32 v62, 7, v22
; %bb.2641:                             ;   in Loop: Header=BB300_1564 Depth=1
	s_or_b32 exec_lo, exec_lo, s21
	v_lshlrev_b32_e32 v2, 8, v2
	v_lshl_add_u32 v22, v63, 10, 0x2000
	v_lshlrev_b32_e32 v23, 7, v62
	v_and_b32_e32 v2, 0x8000, v2
	v_and_b32_e32 v22, 0xfc00, v22
	v_or3_b32 v62, v2, v22, v23
.LBB300_2642:                           ;   in Loop: Header=BB300_1564 Depth=1
	s_or_b32 exec_lo, exec_lo, s20
.LBB300_2643:                           ;   in Loop: Header=BB300_1564 Depth=1
	s_or_b32 exec_lo, exec_lo, s19
.LBB300_2644:                           ;   in Loop: Header=BB300_1564 Depth=1
	s_or_b32 exec_lo, exec_lo, s18
	s_mov_b32 s18, exec_lo
	v_cmpx_lt_u32_e32 0xffffff, v9
	s_cbranch_execz .LBB300_2652
; %bb.2645:                             ;   in Loop: Header=BB300_1564 Depth=1
	v_lshrrev_b32_e32 v2, 24, v9
	v_bfrev_b32_e32 v61, 1
	s_mov_b32 s19, exec_lo
	v_cmpx_ne_u32_e32 0x80, v2
	s_cbranch_execz .LBB300_2651
; %bb.2646:                             ;   in Loop: Header=BB300_1564 Depth=1
	v_and_b32_e32 v72, 0x7f, v2
	v_mov_b32_e32 v61, 0x7c010000
	s_mov_b32 s20, exec_lo
	v_cmpx_ne_u32_e32 0x7f, v72
	s_cbranch_execz .LBB300_2650
; %bb.2647:                             ;   in Loop: Header=BB300_1564 Depth=1
	v_and_b32_e32 v61, 7, v2
	v_lshrrev_b32_e32 v63, 3, v72
	s_mov_b32 s21, exec_lo
	v_cmpx_gt_u32_e32 8, v72
; %bb.2648:                             ;   in Loop: Header=BB300_1564 Depth=1
	v_ffbh_u32_e32 v22, v61
	v_min_u32_e32 v61, 32, v22
	v_subrev_nc_u32_e32 v22, 28, v61
	v_sub_nc_u32_e32 v63, 29, v61
	v_lshlrev_b64 v[22:23], v22, v[2:3]
	v_and_b32_e32 v61, 7, v22
; %bb.2649:                             ;   in Loop: Header=BB300_1564 Depth=1
	s_or_b32 exec_lo, exec_lo, s21
	v_lshlrev_b32_e32 v2, 8, v2
	v_lshl_add_u32 v22, v63, 10, 0x2000
	v_and_or_b32 v2, 0x8000, v2, v22
	v_lshlrev_b32_e32 v22, 23, v61
	v_lshl_or_b32 v61, v2, 16, v22
.LBB300_2650:                           ;   in Loop: Header=BB300_1564 Depth=1
	s_or_b32 exec_lo, exec_lo, s20
.LBB300_2651:                           ;   in Loop: Header=BB300_1564 Depth=1
	s_or_b32 exec_lo, exec_lo, s19
.LBB300_2652:                           ;   in Loop: Header=BB300_1564 Depth=1
	s_or_b32 exec_lo, exec_lo, s18
	v_mov_b32_e32 v2, v10
	v_cmp_ne_u16_sdwa s4, v10, v3 src0_sel:BYTE_0 src1_sel:DWORD
	v_mov_b32_e32 v63, 0
	v_mov_b32_e32 v72, 0
	s_and_saveexec_b32 s18, s4
	s_cbranch_execz .LBB300_2660
; %bb.2653:                             ;   in Loop: Header=BB300_1564 Depth=1
	v_cmp_ne_u16_sdwa s4, v10, v67 src0_sel:BYTE_0 src1_sel:DWORD
	v_mov_b32_e32 v72, 0x8000
	s_and_saveexec_b32 s19, s4
	s_cbranch_execz .LBB300_2659
; %bb.2654:                             ;   in Loop: Header=BB300_1564 Depth=1
	v_and_b32_e32 v74, 0x7f, v10
	v_mov_b32_e32 v72, 0x7c01
	s_mov_b32 s20, exec_lo
	v_cmpx_ne_u32_e32 0x7f, v74
	s_cbranch_execz .LBB300_2658
; %bb.2655:                             ;   in Loop: Header=BB300_1564 Depth=1
	v_and_b32_e32 v72, 7, v10
	v_lshrrev_b32_e32 v73, 3, v74
	s_mov_b32 s21, exec_lo
	v_cmpx_gt_u32_e32 8, v74
; %bb.2656:                             ;   in Loop: Header=BB300_1564 Depth=1
	v_ffbh_u32_e32 v22, v72
	v_min_u32_e32 v72, 32, v22
	v_subrev_nc_u32_e32 v22, 28, v72
	v_sub_nc_u32_e32 v73, 29, v72
	v_lshlrev_b64 v[22:23], v22, v[2:3]
	v_and_b32_e32 v72, 7, v22
; %bb.2657:                             ;   in Loop: Header=BB300_1564 Depth=1
	s_or_b32 exec_lo, exec_lo, s21
	v_lshlrev_b32_e32 v22, 8, v10
	v_lshl_add_u32 v23, v73, 10, 0x2000
	v_lshlrev_b32_e32 v72, 7, v72
	v_and_b32_e32 v22, 0x8000, v22
	v_and_b32_e32 v23, 0xfc00, v23
	v_or3_b32 v72, v22, v23, v72
.LBB300_2658:                           ;   in Loop: Header=BB300_1564 Depth=1
	s_or_b32 exec_lo, exec_lo, s20
.LBB300_2659:                           ;   in Loop: Header=BB300_1564 Depth=1
	s_or_b32 exec_lo, exec_lo, s19
.LBB300_2660:                           ;   in Loop: Header=BB300_1564 Depth=1
	s_or_b32 exec_lo, exec_lo, s18
	v_lshrrev_b16 v2, 8, v2
	v_mov_b32_e32 v73, 0
	s_mov_b32 s18, exec_lo
	v_cmpx_ne_u16_e32 0, v2
	s_cbranch_execz .LBB300_2668
; %bb.2661:                             ;   in Loop: Header=BB300_1564 Depth=1
	v_bfrev_b32_e32 v73, 1
	s_mov_b32 s19, exec_lo
	v_cmpx_ne_u16_e32 0x80, v2
	s_cbranch_execz .LBB300_2667
; %bb.2662:                             ;   in Loop: Header=BB300_1564 Depth=1
	v_and_b32_sdwa v75, v2, v68 dst_sel:DWORD dst_unused:UNUSED_PAD src0_sel:WORD_0 src1_sel:DWORD
	v_mov_b32_e32 v73, 0x7c010000
	s_mov_b32 s20, exec_lo
	v_cmpx_ne_u32_e32 0x7f, v75
	s_cbranch_execz .LBB300_2666
; %bb.2663:                             ;   in Loop: Header=BB300_1564 Depth=1
	v_and_b32_sdwa v73, v2, v69 dst_sel:DWORD dst_unused:UNUSED_PAD src0_sel:WORD_0 src1_sel:DWORD
	v_lshrrev_b32_e32 v74, 3, v75
	s_mov_b32 s21, exec_lo
	v_cmpx_gt_u32_e32 8, v75
; %bb.2664:                             ;   in Loop: Header=BB300_1564 Depth=1
	v_ffbh_u32_e32 v22, v73
	v_min_u32_e32 v73, 32, v22
	v_subrev_nc_u32_e32 v22, 28, v73
	v_sub_nc_u32_e32 v74, 29, v73
	v_lshlrev_b64 v[22:23], v22, v[2:3]
	v_and_b32_e32 v73, 7, v22
; %bb.2665:                             ;   in Loop: Header=BB300_1564 Depth=1
	s_or_b32 exec_lo, exec_lo, s21
	v_lshlrev_b32_sdwa v2, v70, v2 dst_sel:DWORD dst_unused:UNUSED_PAD src0_sel:DWORD src1_sel:WORD_0
	v_lshl_add_u32 v22, v74, 10, 0x2000
	v_and_or_b32 v2, 0x8000, v2, v22
	v_lshlrev_b32_e32 v22, 23, v73
	v_lshl_or_b32 v73, v2, 16, v22
.LBB300_2666:                           ;   in Loop: Header=BB300_1564 Depth=1
	s_or_b32 exec_lo, exec_lo, s20
.LBB300_2667:                           ;   in Loop: Header=BB300_1564 Depth=1
	s_or_b32 exec_lo, exec_lo, s19
.LBB300_2668:                           ;   in Loop: Header=BB300_1564 Depth=1
	s_or_b32 exec_lo, exec_lo, s18
	v_lshrrev_b32_e32 v2, 16, v10
	v_cmp_ne_u16_sdwa s4, v2, v3 src0_sel:BYTE_0 src1_sel:DWORD
	s_and_saveexec_b32 s18, s4
	s_cbranch_execz .LBB300_2676
; %bb.2669:                             ;   in Loop: Header=BB300_1564 Depth=1
	v_cmp_ne_u16_sdwa s4, v2, v67 src0_sel:BYTE_0 src1_sel:DWORD
	v_mov_b32_e32 v63, 0x8000
	s_and_saveexec_b32 s19, s4
	s_cbranch_execz .LBB300_2675
; %bb.2670:                             ;   in Loop: Header=BB300_1564 Depth=1
	v_bfe_u32 v75, v10, 16, 7
	v_mov_b32_e32 v63, 0x7c01
	s_mov_b32 s20, exec_lo
	v_cmpx_ne_u32_e32 0x7f, v75
	s_cbranch_execz .LBB300_2674
; %bb.2671:                             ;   in Loop: Header=BB300_1564 Depth=1
	v_and_b32_e32 v63, 7, v2
	v_lshrrev_b32_e32 v74, 3, v75
	s_mov_b32 s21, exec_lo
	v_cmpx_gt_u32_e32 8, v75
; %bb.2672:                             ;   in Loop: Header=BB300_1564 Depth=1
	v_ffbh_u32_e32 v22, v63
	v_min_u32_e32 v63, 32, v22
	v_subrev_nc_u32_e32 v22, 28, v63
	v_sub_nc_u32_e32 v74, 29, v63
	v_lshlrev_b64 v[22:23], v22, v[2:3]
	v_and_b32_e32 v63, 7, v22
; %bb.2673:                             ;   in Loop: Header=BB300_1564 Depth=1
	s_or_b32 exec_lo, exec_lo, s21
	v_lshlrev_b32_e32 v2, 8, v2
	v_lshl_add_u32 v22, v74, 10, 0x2000
	v_lshlrev_b32_e32 v23, 7, v63
	v_and_b32_e32 v2, 0x8000, v2
	v_and_b32_e32 v22, 0xfc00, v22
	v_or3_b32 v63, v2, v22, v23
.LBB300_2674:                           ;   in Loop: Header=BB300_1564 Depth=1
	s_or_b32 exec_lo, exec_lo, s20
.LBB300_2675:                           ;   in Loop: Header=BB300_1564 Depth=1
	s_or_b32 exec_lo, exec_lo, s19
.LBB300_2676:                           ;   in Loop: Header=BB300_1564 Depth=1
	s_or_b32 exec_lo, exec_lo, s18
	v_cmp_lt_u64_e64 s4, s[6:7], v[9:10]
	v_mov_b32_e32 v9, 0
	s_and_saveexec_b32 s18, s4
	s_cbranch_execz .LBB300_2684
; %bb.2677:                             ;   in Loop: Header=BB300_1564 Depth=1
	v_lshrrev_b32_e32 v2, 24, v10
	v_bfrev_b32_e32 v9, 1
	s_mov_b32 s19, exec_lo
	v_cmpx_ne_u32_e32 0x80, v2
	s_cbranch_execz .LBB300_2683
; %bb.2678:                             ;   in Loop: Header=BB300_1564 Depth=1
	v_and_b32_e32 v74, 0x7f, v2
	v_mov_b32_e32 v9, 0x7c010000
	s_mov_b32 s20, exec_lo
	v_cmpx_ne_u32_e32 0x7f, v74
	s_cbranch_execz .LBB300_2682
; %bb.2679:                             ;   in Loop: Header=BB300_1564 Depth=1
	v_and_b32_e32 v9, 7, v2
	v_lshrrev_b32_e32 v10, 3, v74
	s_mov_b32 s21, exec_lo
	v_cmpx_gt_u32_e32 8, v74
; %bb.2680:                             ;   in Loop: Header=BB300_1564 Depth=1
	v_ffbh_u32_e32 v9, v9
	v_min_u32_e32 v22, 32, v9
	v_subrev_nc_u32_e32 v9, 28, v22
	v_lshlrev_b64 v[9:10], v9, v[2:3]
	v_sub_nc_u32_e32 v10, 29, v22
	v_and_b32_e32 v9, 7, v9
; %bb.2681:                             ;   in Loop: Header=BB300_1564 Depth=1
	s_or_b32 exec_lo, exec_lo, s21
	v_lshlrev_b32_e32 v2, 8, v2
	v_lshl_add_u32 v10, v10, 10, 0x2000
	v_lshlrev_b32_e32 v9, 23, v9
	v_and_or_b32 v2, 0x8000, v2, v10
	v_lshl_or_b32 v9, v2, 16, v9
.LBB300_2682:                           ;   in Loop: Header=BB300_1564 Depth=1
	s_or_b32 exec_lo, exec_lo, s20
.LBB300_2683:                           ;   in Loop: Header=BB300_1564 Depth=1
	s_or_b32 exec_lo, exec_lo, s19
.LBB300_2684:                           ;   in Loop: Header=BB300_1564 Depth=1
	s_or_b32 exec_lo, exec_lo, s18
	v_or_b32_e32 v2, v61, v62
	s_waitcnt vmcnt(0) lgkmcnt(0)
	v_fma_mixlo_f16 v10, v58, v61, 0 op_sel:[0,1,0] op_sel_hi:[0,1,0]
	v_or_b32_e32 v22, v59, v60
	v_fma_mixlo_f16 v23, v58, v59, 0 op_sel:[0,1,0] op_sel_hi:[0,1,0]
	v_or_b32_e32 v59, v73, v72
	v_fma_mixlo_f16 v61, v58, v2, 0 op_sel_hi:[0,1,0]
	v_or_b32_e32 v62, v9, v63
	v_lshlrev_b32_e32 v2, 16, v10
	v_lshlrev_b32_e32 v60, 16, v23
	v_fma_mixlo_f16 v22, v58, v22, 0 op_sel_hi:[0,1,0]
	v_and_b32_e32 v10, 0xffff, v61
	v_fma_mixlo_f16 v23, v58, v73, 0 op_sel:[0,1,0] op_sel_hi:[0,1,0]
	v_fma_mixlo_f16 v59, v58, v59, 0 op_sel_hi:[0,1,0]
	v_fma_mixlo_f16 v9, v58, v9, 0 op_sel:[0,1,0] op_sel_hi:[0,1,0]
	v_fma_mixlo_f16 v61, v58, v62, 0 op_sel_hi:[0,1,0]
	v_and_b32_e32 v74, 0xffff, v22
	v_lshlrev_b32_e32 v58, 16, v23
	v_and_b32_e32 v62, 0xffff, v59
	v_lshlrev_b32_e32 v9, 16, v9
	v_and_b32_e32 v59, 0xffff, v61
	v_or_b32_e32 v61, v2, v10
	v_or_b32_e32 v73, v60, v74
	;; [unrolled: 1-line block ×4, first 2 shown]
	s_and_saveexec_b32 s18, vcc_lo
	s_cbranch_execz .LBB300_2686
; %bb.2685:                             ;   in Loop: Header=BB300_1564 Depth=1
	v_cmp_lt_i32_e64 s4, v71, v30
	v_cndmask_b32_e64 v22, 0, v74, s4
	v_cmp_lt_i32_e64 s4, v100, v30
	v_cndmask_b32_e64 v23, 0, v60, s4
	v_cmp_lt_i32_e64 s4, v99, v30
	v_or_b32_e32 v73, v22, v23
	v_cndmask_b32_e64 v10, 0, v10, s4
	v_cmp_lt_i32_e64 s4, v98, v30
	v_cndmask_b32_e64 v2, 0, v2, s4
	v_cmp_lt_i32_e64 s4, v97, v30
	v_or_b32_e32 v61, v10, v2
	;; [unrolled: 5-line block ×3, first 2 shown]
	v_cndmask_b32_e64 v59, 0, v59, s4
	v_cmp_lt_i32_e64 s4, v86, v30
	v_cndmask_b32_e64 v9, 0, v9, s4
	v_or_b32_e32 v63, v59, v9
.LBB300_2686:                           ;   in Loop: Header=BB300_1564 Depth=1
	s_or_b32 exec_lo, exec_lo, s18
	;;#ASMSTART
	v_pk_mul_f16 v2, v83, v73;

	;;#ASMEND
	;;#ASMSTART
	v_pk_mul_f16 v9, v82, v61;

	;;#ASMEND
	;; [unrolled: 4-line block ×4, first 2 shown]
	;;#ASMSTART
	v_pk_add_f16 v2, v2, v9;

	;;#ASMEND
	;;#ASMSTART
	v_pk_add_f16 v2, v2, v10;

	;;#ASMEND
	;; [unrolled: 4-line block ×3, first 2 shown]
	v_and_b32_e32 v9, 0xffff, v2
	v_lshrrev_b32_e32 v2, 16, v2
	;;#ASMSTART
	v_cvt_f32_f16 v58, v9;
	;;#ASMEND
	;;#ASMSTART
	v_cvt_f32_f16 v59, v2;
	;;#ASMEND
	flat_load_dwordx2 v[9:10], v[7:8] offset:256
	flat_load_dword v60, v[106:107]
	v_mov_b32_e32 v61, 0
	v_mov_b32_e32 v62, 0
	s_waitcnt vmcnt(1) lgkmcnt(1)
	v_cmp_ne_u16_sdwa s4, v9, v3 src0_sel:BYTE_0 src1_sel:DWORD
	s_and_saveexec_b32 s18, s4
	s_cbranch_execz .LBB300_2694
; %bb.2687:                             ;   in Loop: Header=BB300_1564 Depth=1
	v_cmp_ne_u16_sdwa s4, v9, v67 src0_sel:BYTE_0 src1_sel:DWORD
	v_mov_b32_e32 v62, 0x8000
	s_and_saveexec_b32 s19, s4
	s_cbranch_execz .LBB300_2693
; %bb.2688:                             ;   in Loop: Header=BB300_1564 Depth=1
	v_and_b32_e32 v63, 0x7f, v9
	v_mov_b32_e32 v62, 0x7c01
	s_mov_b32 s20, exec_lo
	v_cmpx_ne_u32_e32 0x7f, v63
	s_cbranch_execz .LBB300_2692
; %bb.2689:                             ;   in Loop: Header=BB300_1564 Depth=1
	v_and_b32_e32 v2, 7, v9
	v_lshrrev_b32_e32 v62, 3, v63
	s_mov_b32 s21, exec_lo
	v_cmpx_gt_u32_e32 8, v63
; %bb.2690:                             ;   in Loop: Header=BB300_1564 Depth=1
	v_ffbh_u32_e32 v2, v2
	v_min_u32_e32 v2, 32, v2
	v_subrev_nc_u32_e32 v22, 28, v2
	v_sub_nc_u32_e32 v62, 29, v2
	v_lshlrev_b64 v[22:23], v22, v[9:10]
	v_and_b32_e32 v2, 7, v22
; %bb.2691:                             ;   in Loop: Header=BB300_1564 Depth=1
	s_or_b32 exec_lo, exec_lo, s21
	v_lshlrev_b32_e32 v22, 8, v9
	v_lshl_add_u32 v23, v62, 10, 0x2000
	v_lshlrev_b32_e32 v2, 7, v2
	v_and_b32_e32 v22, 0x8000, v22
	v_and_b32_e32 v23, 0xfc00, v23
	v_or3_b32 v62, v22, v23, v2
.LBB300_2692:                           ;   in Loop: Header=BB300_1564 Depth=1
	s_or_b32 exec_lo, exec_lo, s20
.LBB300_2693:                           ;   in Loop: Header=BB300_1564 Depth=1
	s_or_b32 exec_lo, exec_lo, s19
.LBB300_2694:                           ;   in Loop: Header=BB300_1564 Depth=1
	s_or_b32 exec_lo, exec_lo, s18
	v_lshrrev_b16 v2, 8, v9
	s_mov_b32 s18, exec_lo
	v_cmpx_ne_u16_e32 0, v2
	s_cbranch_execz .LBB300_2702
; %bb.2695:                             ;   in Loop: Header=BB300_1564 Depth=1
	v_bfrev_b32_e32 v61, 1
	s_mov_b32 s19, exec_lo
	v_cmpx_ne_u16_e32 0x80, v2
	s_cbranch_execz .LBB300_2701
; %bb.2696:                             ;   in Loop: Header=BB300_1564 Depth=1
	v_and_b32_sdwa v72, v2, v68 dst_sel:DWORD dst_unused:UNUSED_PAD src0_sel:WORD_0 src1_sel:DWORD
	v_mov_b32_e32 v61, 0x7c010000
	s_mov_b32 s20, exec_lo
	v_cmpx_ne_u32_e32 0x7f, v72
	s_cbranch_execz .LBB300_2700
; %bb.2697:                             ;   in Loop: Header=BB300_1564 Depth=1
	v_and_b32_sdwa v61, v2, v69 dst_sel:DWORD dst_unused:UNUSED_PAD src0_sel:WORD_0 src1_sel:DWORD
	v_lshrrev_b32_e32 v63, 3, v72
	s_mov_b32 s21, exec_lo
	v_cmpx_gt_u32_e32 8, v72
; %bb.2698:                             ;   in Loop: Header=BB300_1564 Depth=1
	v_ffbh_u32_e32 v22, v61
	v_min_u32_e32 v61, 32, v22
	v_subrev_nc_u32_e32 v22, 28, v61
	v_sub_nc_u32_e32 v63, 29, v61
	v_lshlrev_b64 v[22:23], v22, v[2:3]
	v_and_b32_e32 v61, 7, v22
; %bb.2699:                             ;   in Loop: Header=BB300_1564 Depth=1
	s_or_b32 exec_lo, exec_lo, s21
	v_lshlrev_b32_sdwa v2, v70, v2 dst_sel:DWORD dst_unused:UNUSED_PAD src0_sel:DWORD src1_sel:WORD_0
	v_lshl_add_u32 v22, v63, 10, 0x2000
	v_and_or_b32 v2, 0x8000, v2, v22
	v_lshlrev_b32_e32 v22, 23, v61
	v_lshl_or_b32 v61, v2, 16, v22
.LBB300_2700:                           ;   in Loop: Header=BB300_1564 Depth=1
	s_or_b32 exec_lo, exec_lo, s20
.LBB300_2701:                           ;   in Loop: Header=BB300_1564 Depth=1
	s_or_b32 exec_lo, exec_lo, s19
.LBB300_2702:                           ;   in Loop: Header=BB300_1564 Depth=1
	s_or_b32 exec_lo, exec_lo, s18
	v_lshrrev_b32_e32 v2, 16, v9
	v_mov_b32_e32 v63, 0
	v_mov_b32_e32 v72, 0
	v_cmp_ne_u16_sdwa s4, v2, v3 src0_sel:BYTE_0 src1_sel:DWORD
	s_and_saveexec_b32 s18, s4
	s_cbranch_execz .LBB300_2710
; %bb.2703:                             ;   in Loop: Header=BB300_1564 Depth=1
	v_cmp_ne_u16_sdwa s4, v2, v67 src0_sel:BYTE_0 src1_sel:DWORD
	v_mov_b32_e32 v72, 0x8000
	s_and_saveexec_b32 s19, s4
	s_cbranch_execz .LBB300_2709
; %bb.2704:                             ;   in Loop: Header=BB300_1564 Depth=1
	v_bfe_u32 v74, v9, 16, 7
	v_mov_b32_e32 v72, 0x7c01
	s_mov_b32 s20, exec_lo
	v_cmpx_ne_u32_e32 0x7f, v74
	s_cbranch_execz .LBB300_2708
; %bb.2705:                             ;   in Loop: Header=BB300_1564 Depth=1
	v_and_b32_e32 v72, 7, v2
	v_lshrrev_b32_e32 v73, 3, v74
	s_mov_b32 s21, exec_lo
	v_cmpx_gt_u32_e32 8, v74
; %bb.2706:                             ;   in Loop: Header=BB300_1564 Depth=1
	v_ffbh_u32_e32 v22, v72
	v_min_u32_e32 v72, 32, v22
	v_subrev_nc_u32_e32 v22, 28, v72
	v_sub_nc_u32_e32 v73, 29, v72
	v_lshlrev_b64 v[22:23], v22, v[2:3]
	v_and_b32_e32 v72, 7, v22
; %bb.2707:                             ;   in Loop: Header=BB300_1564 Depth=1
	s_or_b32 exec_lo, exec_lo, s21
	v_lshlrev_b32_e32 v2, 8, v2
	v_lshl_add_u32 v22, v73, 10, 0x2000
	v_lshlrev_b32_e32 v23, 7, v72
	v_and_b32_e32 v2, 0x8000, v2
	v_and_b32_e32 v22, 0xfc00, v22
	v_or3_b32 v72, v2, v22, v23
.LBB300_2708:                           ;   in Loop: Header=BB300_1564 Depth=1
	s_or_b32 exec_lo, exec_lo, s20
.LBB300_2709:                           ;   in Loop: Header=BB300_1564 Depth=1
	s_or_b32 exec_lo, exec_lo, s19
.LBB300_2710:                           ;   in Loop: Header=BB300_1564 Depth=1
	s_or_b32 exec_lo, exec_lo, s18
	s_mov_b32 s18, exec_lo
	v_cmpx_lt_u32_e32 0xffffff, v9
	s_cbranch_execz .LBB300_2718
; %bb.2711:                             ;   in Loop: Header=BB300_1564 Depth=1
	v_lshrrev_b32_e32 v2, 24, v9
	v_bfrev_b32_e32 v63, 1
	s_mov_b32 s19, exec_lo
	v_cmpx_ne_u32_e32 0x80, v2
	s_cbranch_execz .LBB300_2717
; %bb.2712:                             ;   in Loop: Header=BB300_1564 Depth=1
	v_and_b32_e32 v74, 0x7f, v2
	v_mov_b32_e32 v63, 0x7c010000
	s_mov_b32 s20, exec_lo
	v_cmpx_ne_u32_e32 0x7f, v74
	s_cbranch_execz .LBB300_2716
; %bb.2713:                             ;   in Loop: Header=BB300_1564 Depth=1
	v_and_b32_e32 v63, 7, v2
	v_lshrrev_b32_e32 v73, 3, v74
	s_mov_b32 s21, exec_lo
	v_cmpx_gt_u32_e32 8, v74
; %bb.2714:                             ;   in Loop: Header=BB300_1564 Depth=1
	v_ffbh_u32_e32 v22, v63
	v_min_u32_e32 v63, 32, v22
	v_subrev_nc_u32_e32 v22, 28, v63
	v_sub_nc_u32_e32 v73, 29, v63
	v_lshlrev_b64 v[22:23], v22, v[2:3]
	v_and_b32_e32 v63, 7, v22
; %bb.2715:                             ;   in Loop: Header=BB300_1564 Depth=1
	s_or_b32 exec_lo, exec_lo, s21
	v_lshlrev_b32_e32 v2, 8, v2
	v_lshl_add_u32 v22, v73, 10, 0x2000
	v_and_or_b32 v2, 0x8000, v2, v22
	v_lshlrev_b32_e32 v22, 23, v63
	v_lshl_or_b32 v63, v2, 16, v22
.LBB300_2716:                           ;   in Loop: Header=BB300_1564 Depth=1
	s_or_b32 exec_lo, exec_lo, s20
.LBB300_2717:                           ;   in Loop: Header=BB300_1564 Depth=1
	s_or_b32 exec_lo, exec_lo, s19
.LBB300_2718:                           ;   in Loop: Header=BB300_1564 Depth=1
	s_or_b32 exec_lo, exec_lo, s18
	v_mov_b32_e32 v2, v10
	v_cmp_ne_u16_sdwa s4, v10, v3 src0_sel:BYTE_0 src1_sel:DWORD
	v_mov_b32_e32 v73, 0
	v_mov_b32_e32 v74, 0
	s_and_saveexec_b32 s18, s4
	s_cbranch_execz .LBB300_2726
; %bb.2719:                             ;   in Loop: Header=BB300_1564 Depth=1
	v_cmp_ne_u16_sdwa s4, v10, v67 src0_sel:BYTE_0 src1_sel:DWORD
	v_mov_b32_e32 v74, 0x8000
	s_and_saveexec_b32 s19, s4
	s_cbranch_execz .LBB300_2725
; %bb.2720:                             ;   in Loop: Header=BB300_1564 Depth=1
	v_and_b32_e32 v76, 0x7f, v10
	v_mov_b32_e32 v74, 0x7c01
	s_mov_b32 s20, exec_lo
	v_cmpx_ne_u32_e32 0x7f, v76
	s_cbranch_execz .LBB300_2724
; %bb.2721:                             ;   in Loop: Header=BB300_1564 Depth=1
	v_and_b32_e32 v74, 7, v10
	v_lshrrev_b32_e32 v75, 3, v76
	s_mov_b32 s21, exec_lo
	v_cmpx_gt_u32_e32 8, v76
; %bb.2722:                             ;   in Loop: Header=BB300_1564 Depth=1
	v_ffbh_u32_e32 v22, v74
	v_min_u32_e32 v74, 32, v22
	v_subrev_nc_u32_e32 v22, 28, v74
	v_sub_nc_u32_e32 v75, 29, v74
	v_lshlrev_b64 v[22:23], v22, v[2:3]
	v_and_b32_e32 v74, 7, v22
; %bb.2723:                             ;   in Loop: Header=BB300_1564 Depth=1
	s_or_b32 exec_lo, exec_lo, s21
	v_lshlrev_b32_e32 v22, 8, v10
	v_lshl_add_u32 v23, v75, 10, 0x2000
	v_lshlrev_b32_e32 v74, 7, v74
	v_and_b32_e32 v22, 0x8000, v22
	v_and_b32_e32 v23, 0xfc00, v23
	v_or3_b32 v74, v22, v23, v74
.LBB300_2724:                           ;   in Loop: Header=BB300_1564 Depth=1
	s_or_b32 exec_lo, exec_lo, s20
.LBB300_2725:                           ;   in Loop: Header=BB300_1564 Depth=1
	s_or_b32 exec_lo, exec_lo, s19
.LBB300_2726:                           ;   in Loop: Header=BB300_1564 Depth=1
	s_or_b32 exec_lo, exec_lo, s18
	v_lshrrev_b16 v2, 8, v2
	v_mov_b32_e32 v75, 0
	s_mov_b32 s18, exec_lo
	v_cmpx_ne_u16_e32 0, v2
	s_cbranch_execz .LBB300_2734
; %bb.2727:                             ;   in Loop: Header=BB300_1564 Depth=1
	v_bfrev_b32_e32 v75, 1
	s_mov_b32 s19, exec_lo
	v_cmpx_ne_u16_e32 0x80, v2
	s_cbranch_execz .LBB300_2733
; %bb.2728:                             ;   in Loop: Header=BB300_1564 Depth=1
	v_and_b32_sdwa v77, v2, v68 dst_sel:DWORD dst_unused:UNUSED_PAD src0_sel:WORD_0 src1_sel:DWORD
	v_mov_b32_e32 v75, 0x7c010000
	s_mov_b32 s20, exec_lo
	v_cmpx_ne_u32_e32 0x7f, v77
	s_cbranch_execz .LBB300_2732
; %bb.2729:                             ;   in Loop: Header=BB300_1564 Depth=1
	v_and_b32_sdwa v75, v2, v69 dst_sel:DWORD dst_unused:UNUSED_PAD src0_sel:WORD_0 src1_sel:DWORD
	v_lshrrev_b32_e32 v76, 3, v77
	s_mov_b32 s21, exec_lo
	v_cmpx_gt_u32_e32 8, v77
; %bb.2730:                             ;   in Loop: Header=BB300_1564 Depth=1
	v_ffbh_u32_e32 v22, v75
	v_min_u32_e32 v75, 32, v22
	v_subrev_nc_u32_e32 v22, 28, v75
	v_sub_nc_u32_e32 v76, 29, v75
	v_lshlrev_b64 v[22:23], v22, v[2:3]
	v_and_b32_e32 v75, 7, v22
; %bb.2731:                             ;   in Loop: Header=BB300_1564 Depth=1
	s_or_b32 exec_lo, exec_lo, s21
	v_lshlrev_b32_sdwa v2, v70, v2 dst_sel:DWORD dst_unused:UNUSED_PAD src0_sel:DWORD src1_sel:WORD_0
	v_lshl_add_u32 v22, v76, 10, 0x2000
	v_and_or_b32 v2, 0x8000, v2, v22
	v_lshlrev_b32_e32 v22, 23, v75
	v_lshl_or_b32 v75, v2, 16, v22
.LBB300_2732:                           ;   in Loop: Header=BB300_1564 Depth=1
	s_or_b32 exec_lo, exec_lo, s20
.LBB300_2733:                           ;   in Loop: Header=BB300_1564 Depth=1
	s_or_b32 exec_lo, exec_lo, s19
.LBB300_2734:                           ;   in Loop: Header=BB300_1564 Depth=1
	s_or_b32 exec_lo, exec_lo, s18
	v_lshrrev_b32_e32 v2, 16, v10
	v_cmp_ne_u16_sdwa s4, v2, v3 src0_sel:BYTE_0 src1_sel:DWORD
	s_and_saveexec_b32 s18, s4
	s_cbranch_execz .LBB300_2742
; %bb.2735:                             ;   in Loop: Header=BB300_1564 Depth=1
	v_cmp_ne_u16_sdwa s4, v2, v67 src0_sel:BYTE_0 src1_sel:DWORD
	v_mov_b32_e32 v73, 0x8000
	s_and_saveexec_b32 s19, s4
	s_cbranch_execz .LBB300_2741
; %bb.2736:                             ;   in Loop: Header=BB300_1564 Depth=1
	v_bfe_u32 v77, v10, 16, 7
	v_mov_b32_e32 v73, 0x7c01
	s_mov_b32 s20, exec_lo
	v_cmpx_ne_u32_e32 0x7f, v77
	s_cbranch_execz .LBB300_2740
; %bb.2737:                             ;   in Loop: Header=BB300_1564 Depth=1
	v_and_b32_e32 v73, 7, v2
	v_lshrrev_b32_e32 v76, 3, v77
	s_mov_b32 s21, exec_lo
	v_cmpx_gt_u32_e32 8, v77
; %bb.2738:                             ;   in Loop: Header=BB300_1564 Depth=1
	v_ffbh_u32_e32 v22, v73
	v_min_u32_e32 v73, 32, v22
	v_subrev_nc_u32_e32 v22, 28, v73
	v_sub_nc_u32_e32 v76, 29, v73
	v_lshlrev_b64 v[22:23], v22, v[2:3]
	v_and_b32_e32 v73, 7, v22
; %bb.2739:                             ;   in Loop: Header=BB300_1564 Depth=1
	s_or_b32 exec_lo, exec_lo, s21
	v_lshlrev_b32_e32 v2, 8, v2
	v_lshl_add_u32 v22, v76, 10, 0x2000
	v_lshlrev_b32_e32 v23, 7, v73
	v_and_b32_e32 v2, 0x8000, v2
	v_and_b32_e32 v22, 0xfc00, v22
	v_or3_b32 v73, v2, v22, v23
.LBB300_2740:                           ;   in Loop: Header=BB300_1564 Depth=1
	s_or_b32 exec_lo, exec_lo, s20
.LBB300_2741:                           ;   in Loop: Header=BB300_1564 Depth=1
	s_or_b32 exec_lo, exec_lo, s19
.LBB300_2742:                           ;   in Loop: Header=BB300_1564 Depth=1
	s_or_b32 exec_lo, exec_lo, s18
	v_cmp_lt_u64_e64 s4, s[6:7], v[9:10]
	v_mov_b32_e32 v9, 0
	s_and_saveexec_b32 s18, s4
	s_cbranch_execz .LBB300_2750
; %bb.2743:                             ;   in Loop: Header=BB300_1564 Depth=1
	v_lshrrev_b32_e32 v2, 24, v10
	v_bfrev_b32_e32 v9, 1
	s_mov_b32 s19, exec_lo
	v_cmpx_ne_u32_e32 0x80, v2
	s_cbranch_execz .LBB300_2749
; %bb.2744:                             ;   in Loop: Header=BB300_1564 Depth=1
	v_and_b32_e32 v76, 0x7f, v2
	v_mov_b32_e32 v9, 0x7c010000
	s_mov_b32 s20, exec_lo
	v_cmpx_ne_u32_e32 0x7f, v76
	s_cbranch_execz .LBB300_2748
; %bb.2745:                             ;   in Loop: Header=BB300_1564 Depth=1
	v_and_b32_e32 v9, 7, v2
	v_lshrrev_b32_e32 v10, 3, v76
	s_mov_b32 s21, exec_lo
	v_cmpx_gt_u32_e32 8, v76
; %bb.2746:                             ;   in Loop: Header=BB300_1564 Depth=1
	v_ffbh_u32_e32 v9, v9
	v_min_u32_e32 v22, 32, v9
	v_subrev_nc_u32_e32 v9, 28, v22
	v_lshlrev_b64 v[9:10], v9, v[2:3]
	v_sub_nc_u32_e32 v10, 29, v22
	v_and_b32_e32 v9, 7, v9
; %bb.2747:                             ;   in Loop: Header=BB300_1564 Depth=1
	s_or_b32 exec_lo, exec_lo, s21
	v_lshlrev_b32_e32 v2, 8, v2
	v_lshl_add_u32 v10, v10, 10, 0x2000
	v_lshlrev_b32_e32 v9, 23, v9
	v_and_or_b32 v2, 0x8000, v2, v10
	v_lshl_or_b32 v9, v2, 16, v9
.LBB300_2748:                           ;   in Loop: Header=BB300_1564 Depth=1
	s_or_b32 exec_lo, exec_lo, s20
.LBB300_2749:                           ;   in Loop: Header=BB300_1564 Depth=1
	s_or_b32 exec_lo, exec_lo, s19
.LBB300_2750:                           ;   in Loop: Header=BB300_1564 Depth=1
	s_or_b32 exec_lo, exec_lo, s18
	v_or_b32_e32 v2, v63, v72
	s_waitcnt vmcnt(0) lgkmcnt(0)
	v_fma_mixlo_f16 v10, v60, v63, 0 op_sel:[0,1,0] op_sel_hi:[0,1,0]
	v_or_b32_e32 v22, v61, v62
	v_fma_mixlo_f16 v23, v60, v61, 0 op_sel:[0,1,0] op_sel_hi:[0,1,0]
	v_or_b32_e32 v61, v75, v74
	v_fma_mixlo_f16 v63, v60, v2, 0 op_sel_hi:[0,1,0]
	v_or_b32_e32 v72, v9, v73
	v_lshlrev_b32_e32 v2, 16, v10
	v_lshlrev_b32_e32 v62, 16, v23
	v_fma_mixlo_f16 v22, v60, v22, 0 op_sel_hi:[0,1,0]
	v_and_b32_e32 v10, 0xffff, v63
	v_fma_mixlo_f16 v23, v60, v75, 0 op_sel:[0,1,0] op_sel_hi:[0,1,0]
	v_fma_mixlo_f16 v61, v60, v61, 0 op_sel_hi:[0,1,0]
	v_fma_mixlo_f16 v9, v60, v9, 0 op_sel:[0,1,0] op_sel_hi:[0,1,0]
	v_fma_mixlo_f16 v63, v60, v72, 0 op_sel_hi:[0,1,0]
	v_and_b32_e32 v76, 0xffff, v22
	v_lshlrev_b32_e32 v60, 16, v23
	v_and_b32_e32 v72, 0xffff, v61
	v_lshlrev_b32_e32 v9, 16, v9
	v_and_b32_e32 v61, 0xffff, v63
	v_or_b32_e32 v63, v2, v10
	v_or_b32_e32 v75, v62, v76
	v_or_b32_e32 v74, v60, v72
	v_or_b32_e32 v73, v9, v61
	s_and_saveexec_b32 s18, vcc_lo
	s_cbranch_execz .LBB300_2752
; %bb.2751:                             ;   in Loop: Header=BB300_1564 Depth=1
	v_cmp_lt_i32_e64 s4, v71, v30
	v_cndmask_b32_e64 v22, 0, v76, s4
	v_cmp_lt_i32_e64 s4, v100, v30
	v_cndmask_b32_e64 v23, 0, v62, s4
	v_cmp_lt_i32_e64 s4, v99, v30
	v_or_b32_e32 v75, v22, v23
	v_cndmask_b32_e64 v10, 0, v10, s4
	v_cmp_lt_i32_e64 s4, v98, v30
	v_cndmask_b32_e64 v2, 0, v2, s4
	v_cmp_lt_i32_e64 s4, v97, v30
	v_or_b32_e32 v63, v10, v2
	;; [unrolled: 5-line block ×3, first 2 shown]
	v_cndmask_b32_e64 v61, 0, v61, s4
	v_cmp_lt_i32_e64 s4, v86, v30
	v_cndmask_b32_e64 v9, 0, v9, s4
	v_or_b32_e32 v73, v61, v9
.LBB300_2752:                           ;   in Loop: Header=BB300_1564 Depth=1
	s_or_b32 exec_lo, exec_lo, s18
	;;#ASMSTART
	v_pk_mul_f16 v2, v83, v75;

	;;#ASMEND
	;;#ASMSTART
	v_pk_mul_f16 v9, v82, v63;

	;;#ASMEND
	;; [unrolled: 4-line block ×4, first 2 shown]
	;;#ASMSTART
	v_pk_add_f16 v2, v2, v9;

	;;#ASMEND
	;;#ASMSTART
	v_pk_add_f16 v2, v2, v10;

	;;#ASMEND
	;; [unrolled: 4-line block ×3, first 2 shown]
	v_and_b32_e32 v9, 0xffff, v2
	v_lshrrev_b32_e32 v2, 16, v2
	;;#ASMSTART
	v_cvt_f32_f16 v60, v9;
	;;#ASMEND
	;;#ASMSTART
	v_cvt_f32_f16 v61, v2;
	;;#ASMEND
	flat_load_dwordx2 v[9:10], v[7:8] offset:512
	flat_load_dword v62, v[106:107]
	v_mov_b32_e32 v63, 0
	v_mov_b32_e32 v72, 0
	s_waitcnt vmcnt(1) lgkmcnt(1)
	v_cmp_ne_u16_sdwa s4, v9, v3 src0_sel:BYTE_0 src1_sel:DWORD
	s_and_saveexec_b32 s18, s4
	s_cbranch_execz .LBB300_2760
; %bb.2753:                             ;   in Loop: Header=BB300_1564 Depth=1
	v_cmp_ne_u16_sdwa s4, v9, v67 src0_sel:BYTE_0 src1_sel:DWORD
	v_mov_b32_e32 v72, 0x8000
	s_and_saveexec_b32 s19, s4
	s_cbranch_execz .LBB300_2759
; %bb.2754:                             ;   in Loop: Header=BB300_1564 Depth=1
	v_and_b32_e32 v73, 0x7f, v9
	v_mov_b32_e32 v72, 0x7c01
	s_mov_b32 s20, exec_lo
	v_cmpx_ne_u32_e32 0x7f, v73
	s_cbranch_execz .LBB300_2758
; %bb.2755:                             ;   in Loop: Header=BB300_1564 Depth=1
	v_and_b32_e32 v2, 7, v9
	v_lshrrev_b32_e32 v72, 3, v73
	s_mov_b32 s21, exec_lo
	v_cmpx_gt_u32_e32 8, v73
; %bb.2756:                             ;   in Loop: Header=BB300_1564 Depth=1
	v_ffbh_u32_e32 v2, v2
	v_min_u32_e32 v2, 32, v2
	v_subrev_nc_u32_e32 v22, 28, v2
	v_sub_nc_u32_e32 v72, 29, v2
	v_lshlrev_b64 v[22:23], v22, v[9:10]
	v_and_b32_e32 v2, 7, v22
; %bb.2757:                             ;   in Loop: Header=BB300_1564 Depth=1
	s_or_b32 exec_lo, exec_lo, s21
	v_lshlrev_b32_e32 v22, 8, v9
	v_lshl_add_u32 v23, v72, 10, 0x2000
	v_lshlrev_b32_e32 v2, 7, v2
	v_and_b32_e32 v22, 0x8000, v22
	v_and_b32_e32 v23, 0xfc00, v23
	v_or3_b32 v72, v22, v23, v2
.LBB300_2758:                           ;   in Loop: Header=BB300_1564 Depth=1
	s_or_b32 exec_lo, exec_lo, s20
.LBB300_2759:                           ;   in Loop: Header=BB300_1564 Depth=1
	s_or_b32 exec_lo, exec_lo, s19
.LBB300_2760:                           ;   in Loop: Header=BB300_1564 Depth=1
	s_or_b32 exec_lo, exec_lo, s18
	v_lshrrev_b16 v2, 8, v9
	s_mov_b32 s18, exec_lo
	v_cmpx_ne_u16_e32 0, v2
	s_cbranch_execz .LBB300_2768
; %bb.2761:                             ;   in Loop: Header=BB300_1564 Depth=1
	v_bfrev_b32_e32 v63, 1
	s_mov_b32 s19, exec_lo
	v_cmpx_ne_u16_e32 0x80, v2
	s_cbranch_execz .LBB300_2767
; %bb.2762:                             ;   in Loop: Header=BB300_1564 Depth=1
	v_and_b32_sdwa v74, v2, v68 dst_sel:DWORD dst_unused:UNUSED_PAD src0_sel:WORD_0 src1_sel:DWORD
	v_mov_b32_e32 v63, 0x7c010000
	s_mov_b32 s20, exec_lo
	v_cmpx_ne_u32_e32 0x7f, v74
	s_cbranch_execz .LBB300_2766
; %bb.2763:                             ;   in Loop: Header=BB300_1564 Depth=1
	v_and_b32_sdwa v63, v2, v69 dst_sel:DWORD dst_unused:UNUSED_PAD src0_sel:WORD_0 src1_sel:DWORD
	v_lshrrev_b32_e32 v73, 3, v74
	s_mov_b32 s21, exec_lo
	v_cmpx_gt_u32_e32 8, v74
; %bb.2764:                             ;   in Loop: Header=BB300_1564 Depth=1
	v_ffbh_u32_e32 v22, v63
	v_min_u32_e32 v63, 32, v22
	v_subrev_nc_u32_e32 v22, 28, v63
	v_sub_nc_u32_e32 v73, 29, v63
	v_lshlrev_b64 v[22:23], v22, v[2:3]
	v_and_b32_e32 v63, 7, v22
; %bb.2765:                             ;   in Loop: Header=BB300_1564 Depth=1
	s_or_b32 exec_lo, exec_lo, s21
	v_lshlrev_b32_sdwa v2, v70, v2 dst_sel:DWORD dst_unused:UNUSED_PAD src0_sel:DWORD src1_sel:WORD_0
	v_lshl_add_u32 v22, v73, 10, 0x2000
	v_and_or_b32 v2, 0x8000, v2, v22
	v_lshlrev_b32_e32 v22, 23, v63
	v_lshl_or_b32 v63, v2, 16, v22
.LBB300_2766:                           ;   in Loop: Header=BB300_1564 Depth=1
	s_or_b32 exec_lo, exec_lo, s20
.LBB300_2767:                           ;   in Loop: Header=BB300_1564 Depth=1
	s_or_b32 exec_lo, exec_lo, s19
.LBB300_2768:                           ;   in Loop: Header=BB300_1564 Depth=1
	s_or_b32 exec_lo, exec_lo, s18
	v_lshrrev_b32_e32 v2, 16, v9
	v_mov_b32_e32 v73, 0
	v_mov_b32_e32 v74, 0
	v_cmp_ne_u16_sdwa s4, v2, v3 src0_sel:BYTE_0 src1_sel:DWORD
	s_and_saveexec_b32 s18, s4
	s_cbranch_execz .LBB300_2776
; %bb.2769:                             ;   in Loop: Header=BB300_1564 Depth=1
	v_cmp_ne_u16_sdwa s4, v2, v67 src0_sel:BYTE_0 src1_sel:DWORD
	v_mov_b32_e32 v74, 0x8000
	s_and_saveexec_b32 s19, s4
	s_cbranch_execz .LBB300_2775
; %bb.2770:                             ;   in Loop: Header=BB300_1564 Depth=1
	v_bfe_u32 v76, v9, 16, 7
	v_mov_b32_e32 v74, 0x7c01
	s_mov_b32 s20, exec_lo
	v_cmpx_ne_u32_e32 0x7f, v76
	s_cbranch_execz .LBB300_2774
; %bb.2771:                             ;   in Loop: Header=BB300_1564 Depth=1
	v_and_b32_e32 v74, 7, v2
	v_lshrrev_b32_e32 v75, 3, v76
	s_mov_b32 s21, exec_lo
	v_cmpx_gt_u32_e32 8, v76
; %bb.2772:                             ;   in Loop: Header=BB300_1564 Depth=1
	v_ffbh_u32_e32 v22, v74
	v_min_u32_e32 v74, 32, v22
	v_subrev_nc_u32_e32 v22, 28, v74
	v_sub_nc_u32_e32 v75, 29, v74
	v_lshlrev_b64 v[22:23], v22, v[2:3]
	v_and_b32_e32 v74, 7, v22
; %bb.2773:                             ;   in Loop: Header=BB300_1564 Depth=1
	s_or_b32 exec_lo, exec_lo, s21
	v_lshlrev_b32_e32 v2, 8, v2
	v_lshl_add_u32 v22, v75, 10, 0x2000
	v_lshlrev_b32_e32 v23, 7, v74
	v_and_b32_e32 v2, 0x8000, v2
	v_and_b32_e32 v22, 0xfc00, v22
	v_or3_b32 v74, v2, v22, v23
.LBB300_2774:                           ;   in Loop: Header=BB300_1564 Depth=1
	s_or_b32 exec_lo, exec_lo, s20
.LBB300_2775:                           ;   in Loop: Header=BB300_1564 Depth=1
	s_or_b32 exec_lo, exec_lo, s19
.LBB300_2776:                           ;   in Loop: Header=BB300_1564 Depth=1
	s_or_b32 exec_lo, exec_lo, s18
	s_mov_b32 s18, exec_lo
	v_cmpx_lt_u32_e32 0xffffff, v9
	s_cbranch_execz .LBB300_2784
; %bb.2777:                             ;   in Loop: Header=BB300_1564 Depth=1
	v_lshrrev_b32_e32 v2, 24, v9
	v_bfrev_b32_e32 v73, 1
	s_mov_b32 s19, exec_lo
	v_cmpx_ne_u32_e32 0x80, v2
	s_cbranch_execz .LBB300_2783
; %bb.2778:                             ;   in Loop: Header=BB300_1564 Depth=1
	v_and_b32_e32 v76, 0x7f, v2
	v_mov_b32_e32 v73, 0x7c010000
	s_mov_b32 s20, exec_lo
	v_cmpx_ne_u32_e32 0x7f, v76
	s_cbranch_execz .LBB300_2782
; %bb.2779:                             ;   in Loop: Header=BB300_1564 Depth=1
	v_and_b32_e32 v73, 7, v2
	v_lshrrev_b32_e32 v75, 3, v76
	s_mov_b32 s21, exec_lo
	v_cmpx_gt_u32_e32 8, v76
; %bb.2780:                             ;   in Loop: Header=BB300_1564 Depth=1
	v_ffbh_u32_e32 v22, v73
	v_min_u32_e32 v73, 32, v22
	v_subrev_nc_u32_e32 v22, 28, v73
	v_sub_nc_u32_e32 v75, 29, v73
	v_lshlrev_b64 v[22:23], v22, v[2:3]
	v_and_b32_e32 v73, 7, v22
; %bb.2781:                             ;   in Loop: Header=BB300_1564 Depth=1
	s_or_b32 exec_lo, exec_lo, s21
	v_lshlrev_b32_e32 v2, 8, v2
	v_lshl_add_u32 v22, v75, 10, 0x2000
	v_and_or_b32 v2, 0x8000, v2, v22
	v_lshlrev_b32_e32 v22, 23, v73
	v_lshl_or_b32 v73, v2, 16, v22
.LBB300_2782:                           ;   in Loop: Header=BB300_1564 Depth=1
	s_or_b32 exec_lo, exec_lo, s20
.LBB300_2783:                           ;   in Loop: Header=BB300_1564 Depth=1
	s_or_b32 exec_lo, exec_lo, s19
.LBB300_2784:                           ;   in Loop: Header=BB300_1564 Depth=1
	s_or_b32 exec_lo, exec_lo, s18
	v_mov_b32_e32 v2, v10
	v_cmp_ne_u16_sdwa s4, v10, v3 src0_sel:BYTE_0 src1_sel:DWORD
	v_mov_b32_e32 v75, 0
	v_mov_b32_e32 v76, 0
	s_and_saveexec_b32 s18, s4
	s_cbranch_execz .LBB300_2792
; %bb.2785:                             ;   in Loop: Header=BB300_1564 Depth=1
	v_cmp_ne_u16_sdwa s4, v10, v67 src0_sel:BYTE_0 src1_sel:DWORD
	v_mov_b32_e32 v76, 0x8000
	s_and_saveexec_b32 s19, s4
	s_cbranch_execz .LBB300_2791
; %bb.2786:                             ;   in Loop: Header=BB300_1564 Depth=1
	v_and_b32_e32 v78, 0x7f, v10
	v_mov_b32_e32 v76, 0x7c01
	s_mov_b32 s20, exec_lo
	v_cmpx_ne_u32_e32 0x7f, v78
	s_cbranch_execz .LBB300_2790
; %bb.2787:                             ;   in Loop: Header=BB300_1564 Depth=1
	v_and_b32_e32 v76, 7, v10
	v_lshrrev_b32_e32 v77, 3, v78
	s_mov_b32 s21, exec_lo
	v_cmpx_gt_u32_e32 8, v78
; %bb.2788:                             ;   in Loop: Header=BB300_1564 Depth=1
	v_ffbh_u32_e32 v22, v76
	v_min_u32_e32 v76, 32, v22
	v_subrev_nc_u32_e32 v22, 28, v76
	v_sub_nc_u32_e32 v77, 29, v76
	v_lshlrev_b64 v[22:23], v22, v[2:3]
	v_and_b32_e32 v76, 7, v22
; %bb.2789:                             ;   in Loop: Header=BB300_1564 Depth=1
	s_or_b32 exec_lo, exec_lo, s21
	v_lshlrev_b32_e32 v22, 8, v10
	v_lshl_add_u32 v23, v77, 10, 0x2000
	v_lshlrev_b32_e32 v76, 7, v76
	v_and_b32_e32 v22, 0x8000, v22
	v_and_b32_e32 v23, 0xfc00, v23
	v_or3_b32 v76, v22, v23, v76
.LBB300_2790:                           ;   in Loop: Header=BB300_1564 Depth=1
	s_or_b32 exec_lo, exec_lo, s20
.LBB300_2791:                           ;   in Loop: Header=BB300_1564 Depth=1
	s_or_b32 exec_lo, exec_lo, s19
.LBB300_2792:                           ;   in Loop: Header=BB300_1564 Depth=1
	s_or_b32 exec_lo, exec_lo, s18
	v_lshrrev_b16 v2, 8, v2
	v_mov_b32_e32 v77, 0
	s_mov_b32 s18, exec_lo
	v_cmpx_ne_u16_e32 0, v2
	s_cbranch_execz .LBB300_2800
; %bb.2793:                             ;   in Loop: Header=BB300_1564 Depth=1
	v_bfrev_b32_e32 v77, 1
	s_mov_b32 s19, exec_lo
	v_cmpx_ne_u16_e32 0x80, v2
	s_cbranch_execz .LBB300_2799
; %bb.2794:                             ;   in Loop: Header=BB300_1564 Depth=1
	v_and_b32_sdwa v79, v2, v68 dst_sel:DWORD dst_unused:UNUSED_PAD src0_sel:WORD_0 src1_sel:DWORD
	v_mov_b32_e32 v77, 0x7c010000
	s_mov_b32 s20, exec_lo
	v_cmpx_ne_u32_e32 0x7f, v79
	s_cbranch_execz .LBB300_2798
; %bb.2795:                             ;   in Loop: Header=BB300_1564 Depth=1
	v_and_b32_sdwa v77, v2, v69 dst_sel:DWORD dst_unused:UNUSED_PAD src0_sel:WORD_0 src1_sel:DWORD
	v_lshrrev_b32_e32 v78, 3, v79
	s_mov_b32 s21, exec_lo
	v_cmpx_gt_u32_e32 8, v79
; %bb.2796:                             ;   in Loop: Header=BB300_1564 Depth=1
	v_ffbh_u32_e32 v22, v77
	v_min_u32_e32 v77, 32, v22
	v_subrev_nc_u32_e32 v22, 28, v77
	v_sub_nc_u32_e32 v78, 29, v77
	v_lshlrev_b64 v[22:23], v22, v[2:3]
	v_and_b32_e32 v77, 7, v22
; %bb.2797:                             ;   in Loop: Header=BB300_1564 Depth=1
	s_or_b32 exec_lo, exec_lo, s21
	v_lshlrev_b32_sdwa v2, v70, v2 dst_sel:DWORD dst_unused:UNUSED_PAD src0_sel:DWORD src1_sel:WORD_0
	v_lshl_add_u32 v22, v78, 10, 0x2000
	v_and_or_b32 v2, 0x8000, v2, v22
	v_lshlrev_b32_e32 v22, 23, v77
	v_lshl_or_b32 v77, v2, 16, v22
.LBB300_2798:                           ;   in Loop: Header=BB300_1564 Depth=1
	s_or_b32 exec_lo, exec_lo, s20
.LBB300_2799:                           ;   in Loop: Header=BB300_1564 Depth=1
	s_or_b32 exec_lo, exec_lo, s19
.LBB300_2800:                           ;   in Loop: Header=BB300_1564 Depth=1
	s_or_b32 exec_lo, exec_lo, s18
	v_lshrrev_b32_e32 v2, 16, v10
	v_cmp_ne_u16_sdwa s4, v2, v3 src0_sel:BYTE_0 src1_sel:DWORD
	s_and_saveexec_b32 s18, s4
	s_cbranch_execz .LBB300_2808
; %bb.2801:                             ;   in Loop: Header=BB300_1564 Depth=1
	v_cmp_ne_u16_sdwa s4, v2, v67 src0_sel:BYTE_0 src1_sel:DWORD
	v_mov_b32_e32 v75, 0x8000
	s_and_saveexec_b32 s19, s4
	s_cbranch_execz .LBB300_2807
; %bb.2802:                             ;   in Loop: Header=BB300_1564 Depth=1
	v_bfe_u32 v79, v10, 16, 7
	v_mov_b32_e32 v75, 0x7c01
	s_mov_b32 s20, exec_lo
	v_cmpx_ne_u32_e32 0x7f, v79
	s_cbranch_execz .LBB300_2806
; %bb.2803:                             ;   in Loop: Header=BB300_1564 Depth=1
	v_and_b32_e32 v75, 7, v2
	v_lshrrev_b32_e32 v78, 3, v79
	s_mov_b32 s21, exec_lo
	v_cmpx_gt_u32_e32 8, v79
; %bb.2804:                             ;   in Loop: Header=BB300_1564 Depth=1
	v_ffbh_u32_e32 v22, v75
	v_min_u32_e32 v75, 32, v22
	v_subrev_nc_u32_e32 v22, 28, v75
	v_sub_nc_u32_e32 v78, 29, v75
	v_lshlrev_b64 v[22:23], v22, v[2:3]
	v_and_b32_e32 v75, 7, v22
; %bb.2805:                             ;   in Loop: Header=BB300_1564 Depth=1
	s_or_b32 exec_lo, exec_lo, s21
	v_lshlrev_b32_e32 v2, 8, v2
	v_lshl_add_u32 v22, v78, 10, 0x2000
	v_lshlrev_b32_e32 v23, 7, v75
	v_and_b32_e32 v2, 0x8000, v2
	v_and_b32_e32 v22, 0xfc00, v22
	v_or3_b32 v75, v2, v22, v23
.LBB300_2806:                           ;   in Loop: Header=BB300_1564 Depth=1
	s_or_b32 exec_lo, exec_lo, s20
.LBB300_2807:                           ;   in Loop: Header=BB300_1564 Depth=1
	s_or_b32 exec_lo, exec_lo, s19
.LBB300_2808:                           ;   in Loop: Header=BB300_1564 Depth=1
	s_or_b32 exec_lo, exec_lo, s18
	v_cmp_lt_u64_e64 s4, s[6:7], v[9:10]
	v_mov_b32_e32 v9, 0
	s_and_saveexec_b32 s18, s4
	s_cbranch_execz .LBB300_2816
; %bb.2809:                             ;   in Loop: Header=BB300_1564 Depth=1
	v_lshrrev_b32_e32 v2, 24, v10
	v_bfrev_b32_e32 v9, 1
	s_mov_b32 s19, exec_lo
	v_cmpx_ne_u32_e32 0x80, v2
	s_cbranch_execz .LBB300_2815
; %bb.2810:                             ;   in Loop: Header=BB300_1564 Depth=1
	v_and_b32_e32 v78, 0x7f, v2
	v_mov_b32_e32 v9, 0x7c010000
	s_mov_b32 s20, exec_lo
	v_cmpx_ne_u32_e32 0x7f, v78
	s_cbranch_execz .LBB300_2814
; %bb.2811:                             ;   in Loop: Header=BB300_1564 Depth=1
	v_and_b32_e32 v9, 7, v2
	v_lshrrev_b32_e32 v10, 3, v78
	s_mov_b32 s21, exec_lo
	v_cmpx_gt_u32_e32 8, v78
; %bb.2812:                             ;   in Loop: Header=BB300_1564 Depth=1
	v_ffbh_u32_e32 v9, v9
	v_min_u32_e32 v22, 32, v9
	v_subrev_nc_u32_e32 v9, 28, v22
	v_lshlrev_b64 v[9:10], v9, v[2:3]
	v_sub_nc_u32_e32 v10, 29, v22
	v_and_b32_e32 v9, 7, v9
; %bb.2813:                             ;   in Loop: Header=BB300_1564 Depth=1
	s_or_b32 exec_lo, exec_lo, s21
	v_lshlrev_b32_e32 v2, 8, v2
	v_lshl_add_u32 v10, v10, 10, 0x2000
	v_lshlrev_b32_e32 v9, 23, v9
	v_and_or_b32 v2, 0x8000, v2, v10
	v_lshl_or_b32 v9, v2, 16, v9
.LBB300_2814:                           ;   in Loop: Header=BB300_1564 Depth=1
	s_or_b32 exec_lo, exec_lo, s20
.LBB300_2815:                           ;   in Loop: Header=BB300_1564 Depth=1
	s_or_b32 exec_lo, exec_lo, s19
.LBB300_2816:                           ;   in Loop: Header=BB300_1564 Depth=1
	s_or_b32 exec_lo, exec_lo, s18
	v_or_b32_e32 v2, v73, v74
	s_waitcnt vmcnt(0) lgkmcnt(0)
	v_fma_mixlo_f16 v10, v62, v73, 0 op_sel:[0,1,0] op_sel_hi:[0,1,0]
	v_or_b32_e32 v22, v63, v72
	v_fma_mixlo_f16 v23, v62, v63, 0 op_sel:[0,1,0] op_sel_hi:[0,1,0]
	v_or_b32_e32 v63, v77, v76
	v_fma_mixlo_f16 v73, v62, v2, 0 op_sel_hi:[0,1,0]
	v_or_b32_e32 v74, v9, v75
	v_lshlrev_b32_e32 v2, 16, v10
	v_lshlrev_b32_e32 v72, 16, v23
	v_fma_mixlo_f16 v22, v62, v22, 0 op_sel_hi:[0,1,0]
	v_and_b32_e32 v10, 0xffff, v73
	v_fma_mixlo_f16 v23, v62, v77, 0 op_sel:[0,1,0] op_sel_hi:[0,1,0]
	v_fma_mixlo_f16 v63, v62, v63, 0 op_sel_hi:[0,1,0]
	v_fma_mixlo_f16 v9, v62, v9, 0 op_sel:[0,1,0] op_sel_hi:[0,1,0]
	v_fma_mixlo_f16 v73, v62, v74, 0 op_sel_hi:[0,1,0]
	v_and_b32_e32 v78, 0xffff, v22
	v_lshlrev_b32_e32 v62, 16, v23
	v_and_b32_e32 v74, 0xffff, v63
	v_lshlrev_b32_e32 v9, 16, v9
	v_and_b32_e32 v63, 0xffff, v73
	v_or_b32_e32 v73, v2, v10
	v_or_b32_e32 v77, v72, v78
	;; [unrolled: 1-line block ×4, first 2 shown]
	s_and_saveexec_b32 s18, vcc_lo
	s_cbranch_execz .LBB300_2818
; %bb.2817:                             ;   in Loop: Header=BB300_1564 Depth=1
	v_cmp_lt_i32_e64 s4, v71, v30
	v_cndmask_b32_e64 v22, 0, v78, s4
	v_cmp_lt_i32_e64 s4, v100, v30
	v_cndmask_b32_e64 v23, 0, v72, s4
	v_cmp_lt_i32_e64 s4, v99, v30
	v_or_b32_e32 v77, v22, v23
	v_cndmask_b32_e64 v10, 0, v10, s4
	v_cmp_lt_i32_e64 s4, v98, v30
	v_cndmask_b32_e64 v2, 0, v2, s4
	v_cmp_lt_i32_e64 s4, v97, v30
	v_or_b32_e32 v73, v10, v2
	;; [unrolled: 5-line block ×3, first 2 shown]
	v_cndmask_b32_e64 v63, 0, v63, s4
	v_cmp_lt_i32_e64 s4, v86, v30
	v_cndmask_b32_e64 v9, 0, v9, s4
	v_or_b32_e32 v75, v63, v9
.LBB300_2818:                           ;   in Loop: Header=BB300_1564 Depth=1
	s_or_b32 exec_lo, exec_lo, s18
	;;#ASMSTART
	v_pk_mul_f16 v2, v83, v77;

	;;#ASMEND
	;;#ASMSTART
	v_pk_mul_f16 v9, v82, v73;

	;;#ASMEND
	;; [unrolled: 4-line block ×4, first 2 shown]
	;;#ASMSTART
	v_pk_add_f16 v2, v2, v9;

	;;#ASMEND
	;;#ASMSTART
	v_pk_add_f16 v2, v2, v10;

	;;#ASMEND
	;; [unrolled: 4-line block ×3, first 2 shown]
	v_and_b32_e32 v9, 0xffff, v2
	v_lshrrev_b32_e32 v2, 16, v2
	;;#ASMSTART
	v_cvt_f32_f16 v62, v9;
	;;#ASMEND
	;;#ASMSTART
	v_cvt_f32_f16 v63, v2;
	;;#ASMEND
	flat_load_dwordx2 v[9:10], v[7:8] offset:768
	flat_load_dword v72, v[106:107]
	v_mov_b32_e32 v73, 0
	v_mov_b32_e32 v74, 0
	s_waitcnt vmcnt(1) lgkmcnt(1)
	v_cmp_ne_u16_sdwa s4, v9, v3 src0_sel:BYTE_0 src1_sel:DWORD
	s_and_saveexec_b32 s18, s4
	s_cbranch_execz .LBB300_2826
; %bb.2819:                             ;   in Loop: Header=BB300_1564 Depth=1
	v_cmp_ne_u16_sdwa s4, v9, v67 src0_sel:BYTE_0 src1_sel:DWORD
	v_mov_b32_e32 v74, 0x8000
	s_and_saveexec_b32 s19, s4
	s_cbranch_execz .LBB300_2825
; %bb.2820:                             ;   in Loop: Header=BB300_1564 Depth=1
	v_and_b32_e32 v75, 0x7f, v9
	v_mov_b32_e32 v74, 0x7c01
	s_mov_b32 s20, exec_lo
	v_cmpx_ne_u32_e32 0x7f, v75
	s_cbranch_execz .LBB300_2824
; %bb.2821:                             ;   in Loop: Header=BB300_1564 Depth=1
	v_and_b32_e32 v2, 7, v9
	v_lshrrev_b32_e32 v74, 3, v75
	s_mov_b32 s21, exec_lo
	v_cmpx_gt_u32_e32 8, v75
; %bb.2822:                             ;   in Loop: Header=BB300_1564 Depth=1
	v_ffbh_u32_e32 v2, v2
	v_min_u32_e32 v2, 32, v2
	v_subrev_nc_u32_e32 v22, 28, v2
	v_sub_nc_u32_e32 v74, 29, v2
	v_lshlrev_b64 v[22:23], v22, v[9:10]
	v_and_b32_e32 v2, 7, v22
; %bb.2823:                             ;   in Loop: Header=BB300_1564 Depth=1
	s_or_b32 exec_lo, exec_lo, s21
	v_lshlrev_b32_e32 v22, 8, v9
	v_lshl_add_u32 v23, v74, 10, 0x2000
	v_lshlrev_b32_e32 v2, 7, v2
	v_and_b32_e32 v22, 0x8000, v22
	v_and_b32_e32 v23, 0xfc00, v23
	v_or3_b32 v74, v22, v23, v2
.LBB300_2824:                           ;   in Loop: Header=BB300_1564 Depth=1
	s_or_b32 exec_lo, exec_lo, s20
.LBB300_2825:                           ;   in Loop: Header=BB300_1564 Depth=1
	s_or_b32 exec_lo, exec_lo, s19
.LBB300_2826:                           ;   in Loop: Header=BB300_1564 Depth=1
	s_or_b32 exec_lo, exec_lo, s18
	v_lshrrev_b16 v2, 8, v9
	s_mov_b32 s18, exec_lo
	v_cmpx_ne_u16_e32 0, v2
	s_cbranch_execz .LBB300_2834
; %bb.2827:                             ;   in Loop: Header=BB300_1564 Depth=1
	v_bfrev_b32_e32 v73, 1
	s_mov_b32 s19, exec_lo
	v_cmpx_ne_u16_e32 0x80, v2
	s_cbranch_execz .LBB300_2833
; %bb.2828:                             ;   in Loop: Header=BB300_1564 Depth=1
	v_and_b32_sdwa v76, v2, v68 dst_sel:DWORD dst_unused:UNUSED_PAD src0_sel:WORD_0 src1_sel:DWORD
	v_mov_b32_e32 v73, 0x7c010000
	s_mov_b32 s20, exec_lo
	v_cmpx_ne_u32_e32 0x7f, v76
	s_cbranch_execz .LBB300_2832
; %bb.2829:                             ;   in Loop: Header=BB300_1564 Depth=1
	v_and_b32_sdwa v73, v2, v69 dst_sel:DWORD dst_unused:UNUSED_PAD src0_sel:WORD_0 src1_sel:DWORD
	v_lshrrev_b32_e32 v75, 3, v76
	s_mov_b32 s21, exec_lo
	v_cmpx_gt_u32_e32 8, v76
; %bb.2830:                             ;   in Loop: Header=BB300_1564 Depth=1
	v_ffbh_u32_e32 v22, v73
	v_min_u32_e32 v73, 32, v22
	v_subrev_nc_u32_e32 v22, 28, v73
	v_sub_nc_u32_e32 v75, 29, v73
	v_lshlrev_b64 v[22:23], v22, v[2:3]
	v_and_b32_e32 v73, 7, v22
; %bb.2831:                             ;   in Loop: Header=BB300_1564 Depth=1
	s_or_b32 exec_lo, exec_lo, s21
	v_lshlrev_b32_sdwa v2, v70, v2 dst_sel:DWORD dst_unused:UNUSED_PAD src0_sel:DWORD src1_sel:WORD_0
	v_lshl_add_u32 v22, v75, 10, 0x2000
	v_and_or_b32 v2, 0x8000, v2, v22
	v_lshlrev_b32_e32 v22, 23, v73
	v_lshl_or_b32 v73, v2, 16, v22
.LBB300_2832:                           ;   in Loop: Header=BB300_1564 Depth=1
	s_or_b32 exec_lo, exec_lo, s20
.LBB300_2833:                           ;   in Loop: Header=BB300_1564 Depth=1
	s_or_b32 exec_lo, exec_lo, s19
.LBB300_2834:                           ;   in Loop: Header=BB300_1564 Depth=1
	s_or_b32 exec_lo, exec_lo, s18
	v_lshrrev_b32_e32 v2, 16, v9
	v_mov_b32_e32 v75, 0
	v_mov_b32_e32 v76, 0
	v_cmp_ne_u16_sdwa s4, v2, v3 src0_sel:BYTE_0 src1_sel:DWORD
	s_and_saveexec_b32 s18, s4
	s_cbranch_execz .LBB300_2842
; %bb.2835:                             ;   in Loop: Header=BB300_1564 Depth=1
	v_cmp_ne_u16_sdwa s4, v2, v67 src0_sel:BYTE_0 src1_sel:DWORD
	v_mov_b32_e32 v76, 0x8000
	s_and_saveexec_b32 s19, s4
	s_cbranch_execz .LBB300_2841
; %bb.2836:                             ;   in Loop: Header=BB300_1564 Depth=1
	v_bfe_u32 v78, v9, 16, 7
	v_mov_b32_e32 v76, 0x7c01
	s_mov_b32 s20, exec_lo
	v_cmpx_ne_u32_e32 0x7f, v78
	s_cbranch_execz .LBB300_2840
; %bb.2837:                             ;   in Loop: Header=BB300_1564 Depth=1
	v_and_b32_e32 v76, 7, v2
	v_lshrrev_b32_e32 v77, 3, v78
	s_mov_b32 s21, exec_lo
	v_cmpx_gt_u32_e32 8, v78
; %bb.2838:                             ;   in Loop: Header=BB300_1564 Depth=1
	v_ffbh_u32_e32 v22, v76
	v_min_u32_e32 v76, 32, v22
	v_subrev_nc_u32_e32 v22, 28, v76
	v_sub_nc_u32_e32 v77, 29, v76
	v_lshlrev_b64 v[22:23], v22, v[2:3]
	v_and_b32_e32 v76, 7, v22
; %bb.2839:                             ;   in Loop: Header=BB300_1564 Depth=1
	s_or_b32 exec_lo, exec_lo, s21
	v_lshlrev_b32_e32 v2, 8, v2
	v_lshl_add_u32 v22, v77, 10, 0x2000
	v_lshlrev_b32_e32 v23, 7, v76
	v_and_b32_e32 v2, 0x8000, v2
	v_and_b32_e32 v22, 0xfc00, v22
	v_or3_b32 v76, v2, v22, v23
.LBB300_2840:                           ;   in Loop: Header=BB300_1564 Depth=1
	s_or_b32 exec_lo, exec_lo, s20
.LBB300_2841:                           ;   in Loop: Header=BB300_1564 Depth=1
	s_or_b32 exec_lo, exec_lo, s19
.LBB300_2842:                           ;   in Loop: Header=BB300_1564 Depth=1
	s_or_b32 exec_lo, exec_lo, s18
	s_mov_b32 s18, exec_lo
	v_cmpx_lt_u32_e32 0xffffff, v9
	s_cbranch_execz .LBB300_2850
; %bb.2843:                             ;   in Loop: Header=BB300_1564 Depth=1
	v_lshrrev_b32_e32 v2, 24, v9
	v_bfrev_b32_e32 v75, 1
	s_mov_b32 s19, exec_lo
	v_cmpx_ne_u32_e32 0x80, v2
	s_cbranch_execz .LBB300_2849
; %bb.2844:                             ;   in Loop: Header=BB300_1564 Depth=1
	v_and_b32_e32 v78, 0x7f, v2
	v_mov_b32_e32 v75, 0x7c010000
	s_mov_b32 s20, exec_lo
	v_cmpx_ne_u32_e32 0x7f, v78
	s_cbranch_execz .LBB300_2848
; %bb.2845:                             ;   in Loop: Header=BB300_1564 Depth=1
	v_and_b32_e32 v75, 7, v2
	v_lshrrev_b32_e32 v77, 3, v78
	s_mov_b32 s21, exec_lo
	v_cmpx_gt_u32_e32 8, v78
; %bb.2846:                             ;   in Loop: Header=BB300_1564 Depth=1
	v_ffbh_u32_e32 v22, v75
	v_min_u32_e32 v75, 32, v22
	v_subrev_nc_u32_e32 v22, 28, v75
	v_sub_nc_u32_e32 v77, 29, v75
	v_lshlrev_b64 v[22:23], v22, v[2:3]
	v_and_b32_e32 v75, 7, v22
; %bb.2847:                             ;   in Loop: Header=BB300_1564 Depth=1
	s_or_b32 exec_lo, exec_lo, s21
	v_lshlrev_b32_e32 v2, 8, v2
	v_lshl_add_u32 v22, v77, 10, 0x2000
	v_and_or_b32 v2, 0x8000, v2, v22
	v_lshlrev_b32_e32 v22, 23, v75
	v_lshl_or_b32 v75, v2, 16, v22
.LBB300_2848:                           ;   in Loop: Header=BB300_1564 Depth=1
	s_or_b32 exec_lo, exec_lo, s20
.LBB300_2849:                           ;   in Loop: Header=BB300_1564 Depth=1
	s_or_b32 exec_lo, exec_lo, s19
.LBB300_2850:                           ;   in Loop: Header=BB300_1564 Depth=1
	s_or_b32 exec_lo, exec_lo, s18
	v_mov_b32_e32 v2, v10
	v_cmp_ne_u16_sdwa s4, v10, v3 src0_sel:BYTE_0 src1_sel:DWORD
	v_mov_b32_e32 v77, 0
	v_mov_b32_e32 v78, 0
	s_and_saveexec_b32 s18, s4
	s_cbranch_execz .LBB300_2858
; %bb.2851:                             ;   in Loop: Header=BB300_1564 Depth=1
	v_cmp_ne_u16_sdwa s4, v10, v67 src0_sel:BYTE_0 src1_sel:DWORD
	v_mov_b32_e32 v78, 0x8000
	s_and_saveexec_b32 s19, s4
	s_cbranch_execz .LBB300_2857
; %bb.2852:                             ;   in Loop: Header=BB300_1564 Depth=1
	v_and_b32_e32 v88, 0x7f, v10
	v_mov_b32_e32 v78, 0x7c01
	s_mov_b32 s20, exec_lo
	v_cmpx_ne_u32_e32 0x7f, v88
	s_cbranch_execz .LBB300_2856
; %bb.2853:                             ;   in Loop: Header=BB300_1564 Depth=1
	v_and_b32_e32 v78, 7, v10
	v_lshrrev_b32_e32 v79, 3, v88
	s_mov_b32 s21, exec_lo
	v_cmpx_gt_u32_e32 8, v88
; %bb.2854:                             ;   in Loop: Header=BB300_1564 Depth=1
	v_ffbh_u32_e32 v22, v78
	v_min_u32_e32 v78, 32, v22
	v_subrev_nc_u32_e32 v22, 28, v78
	v_sub_nc_u32_e32 v79, 29, v78
	v_lshlrev_b64 v[22:23], v22, v[2:3]
	v_and_b32_e32 v78, 7, v22
; %bb.2855:                             ;   in Loop: Header=BB300_1564 Depth=1
	s_or_b32 exec_lo, exec_lo, s21
	v_lshlrev_b32_e32 v22, 8, v10
	v_lshl_add_u32 v23, v79, 10, 0x2000
	v_lshlrev_b32_e32 v78, 7, v78
	v_and_b32_e32 v22, 0x8000, v22
	v_and_b32_e32 v23, 0xfc00, v23
	v_or3_b32 v78, v22, v23, v78
.LBB300_2856:                           ;   in Loop: Header=BB300_1564 Depth=1
	s_or_b32 exec_lo, exec_lo, s20
.LBB300_2857:                           ;   in Loop: Header=BB300_1564 Depth=1
	s_or_b32 exec_lo, exec_lo, s19
.LBB300_2858:                           ;   in Loop: Header=BB300_1564 Depth=1
	s_or_b32 exec_lo, exec_lo, s18
	v_lshrrev_b16 v2, 8, v2
	v_mov_b32_e32 v79, 0
	s_mov_b32 s18, exec_lo
	v_cmpx_ne_u16_e32 0, v2
	s_cbranch_execz .LBB300_2866
; %bb.2859:                             ;   in Loop: Header=BB300_1564 Depth=1
	v_bfrev_b32_e32 v79, 1
	s_mov_b32 s19, exec_lo
	v_cmpx_ne_u16_e32 0x80, v2
	s_cbranch_execz .LBB300_2865
; %bb.2860:                             ;   in Loop: Header=BB300_1564 Depth=1
	v_and_b32_sdwa v89, v2, v68 dst_sel:DWORD dst_unused:UNUSED_PAD src0_sel:WORD_0 src1_sel:DWORD
	v_mov_b32_e32 v79, 0x7c010000
	s_mov_b32 s20, exec_lo
	v_cmpx_ne_u32_e32 0x7f, v89
	s_cbranch_execz .LBB300_2864
; %bb.2861:                             ;   in Loop: Header=BB300_1564 Depth=1
	v_and_b32_sdwa v79, v2, v69 dst_sel:DWORD dst_unused:UNUSED_PAD src0_sel:WORD_0 src1_sel:DWORD
	v_lshrrev_b32_e32 v88, 3, v89
	s_mov_b32 s21, exec_lo
	v_cmpx_gt_u32_e32 8, v89
; %bb.2862:                             ;   in Loop: Header=BB300_1564 Depth=1
	v_ffbh_u32_e32 v22, v79
	v_min_u32_e32 v79, 32, v22
	v_subrev_nc_u32_e32 v22, 28, v79
	v_sub_nc_u32_e32 v88, 29, v79
	v_lshlrev_b64 v[22:23], v22, v[2:3]
	v_and_b32_e32 v79, 7, v22
; %bb.2863:                             ;   in Loop: Header=BB300_1564 Depth=1
	s_or_b32 exec_lo, exec_lo, s21
	v_lshlrev_b32_sdwa v2, v70, v2 dst_sel:DWORD dst_unused:UNUSED_PAD src0_sel:DWORD src1_sel:WORD_0
	v_lshl_add_u32 v22, v88, 10, 0x2000
	v_and_or_b32 v2, 0x8000, v2, v22
	v_lshlrev_b32_e32 v22, 23, v79
	v_lshl_or_b32 v79, v2, 16, v22
.LBB300_2864:                           ;   in Loop: Header=BB300_1564 Depth=1
	s_or_b32 exec_lo, exec_lo, s20
.LBB300_2865:                           ;   in Loop: Header=BB300_1564 Depth=1
	s_or_b32 exec_lo, exec_lo, s19
.LBB300_2866:                           ;   in Loop: Header=BB300_1564 Depth=1
	s_or_b32 exec_lo, exec_lo, s18
	v_lshrrev_b32_e32 v2, 16, v10
	v_cmp_ne_u16_sdwa s4, v2, v3 src0_sel:BYTE_0 src1_sel:DWORD
	s_and_saveexec_b32 s18, s4
	s_cbranch_execz .LBB300_2874
; %bb.2867:                             ;   in Loop: Header=BB300_1564 Depth=1
	v_cmp_ne_u16_sdwa s4, v2, v67 src0_sel:BYTE_0 src1_sel:DWORD
	v_mov_b32_e32 v77, 0x8000
	s_and_saveexec_b32 s19, s4
	s_cbranch_execz .LBB300_2873
; %bb.2868:                             ;   in Loop: Header=BB300_1564 Depth=1
	v_bfe_u32 v89, v10, 16, 7
	v_mov_b32_e32 v77, 0x7c01
	s_mov_b32 s20, exec_lo
	v_cmpx_ne_u32_e32 0x7f, v89
	s_cbranch_execz .LBB300_2872
; %bb.2869:                             ;   in Loop: Header=BB300_1564 Depth=1
	v_and_b32_e32 v77, 7, v2
	v_lshrrev_b32_e32 v88, 3, v89
	s_mov_b32 s21, exec_lo
	v_cmpx_gt_u32_e32 8, v89
; %bb.2870:                             ;   in Loop: Header=BB300_1564 Depth=1
	v_ffbh_u32_e32 v22, v77
	v_min_u32_e32 v77, 32, v22
	v_subrev_nc_u32_e32 v22, 28, v77
	v_sub_nc_u32_e32 v88, 29, v77
	v_lshlrev_b64 v[22:23], v22, v[2:3]
	v_and_b32_e32 v77, 7, v22
; %bb.2871:                             ;   in Loop: Header=BB300_1564 Depth=1
	s_or_b32 exec_lo, exec_lo, s21
	v_lshlrev_b32_e32 v2, 8, v2
	v_lshl_add_u32 v22, v88, 10, 0x2000
	v_lshlrev_b32_e32 v23, 7, v77
	v_and_b32_e32 v2, 0x8000, v2
	v_and_b32_e32 v22, 0xfc00, v22
	v_or3_b32 v77, v2, v22, v23
.LBB300_2872:                           ;   in Loop: Header=BB300_1564 Depth=1
	s_or_b32 exec_lo, exec_lo, s20
.LBB300_2873:                           ;   in Loop: Header=BB300_1564 Depth=1
	s_or_b32 exec_lo, exec_lo, s19
.LBB300_2874:                           ;   in Loop: Header=BB300_1564 Depth=1
	s_or_b32 exec_lo, exec_lo, s18
	v_cmp_lt_u64_e64 s4, s[6:7], v[9:10]
	v_mov_b32_e32 v9, 0
	s_and_saveexec_b32 s18, s4
	s_cbranch_execz .LBB300_2882
; %bb.2875:                             ;   in Loop: Header=BB300_1564 Depth=1
	v_lshrrev_b32_e32 v2, 24, v10
	v_bfrev_b32_e32 v9, 1
	s_mov_b32 s19, exec_lo
	v_cmpx_ne_u32_e32 0x80, v2
	s_cbranch_execz .LBB300_2881
; %bb.2876:                             ;   in Loop: Header=BB300_1564 Depth=1
	v_and_b32_e32 v88, 0x7f, v2
	v_mov_b32_e32 v9, 0x7c010000
	s_mov_b32 s20, exec_lo
	v_cmpx_ne_u32_e32 0x7f, v88
	s_cbranch_execz .LBB300_2880
; %bb.2877:                             ;   in Loop: Header=BB300_1564 Depth=1
	v_and_b32_e32 v9, 7, v2
	v_lshrrev_b32_e32 v10, 3, v88
	s_mov_b32 s21, exec_lo
	v_cmpx_gt_u32_e32 8, v88
; %bb.2878:                             ;   in Loop: Header=BB300_1564 Depth=1
	v_ffbh_u32_e32 v9, v9
	v_min_u32_e32 v22, 32, v9
	v_subrev_nc_u32_e32 v9, 28, v22
	v_lshlrev_b64 v[9:10], v9, v[2:3]
	v_sub_nc_u32_e32 v10, 29, v22
	v_and_b32_e32 v9, 7, v9
; %bb.2879:                             ;   in Loop: Header=BB300_1564 Depth=1
	s_or_b32 exec_lo, exec_lo, s21
	v_lshlrev_b32_e32 v2, 8, v2
	v_lshl_add_u32 v10, v10, 10, 0x2000
	v_lshlrev_b32_e32 v9, 23, v9
	v_and_or_b32 v2, 0x8000, v2, v10
	v_lshl_or_b32 v9, v2, 16, v9
.LBB300_2880:                           ;   in Loop: Header=BB300_1564 Depth=1
	s_or_b32 exec_lo, exec_lo, s20
.LBB300_2881:                           ;   in Loop: Header=BB300_1564 Depth=1
	s_or_b32 exec_lo, exec_lo, s19
.LBB300_2882:                           ;   in Loop: Header=BB300_1564 Depth=1
	s_or_b32 exec_lo, exec_lo, s18
	v_or_b32_e32 v2, v75, v76
	s_waitcnt vmcnt(0) lgkmcnt(0)
	v_fma_mixlo_f16 v10, v72, v75, 0 op_sel:[0,1,0] op_sel_hi:[0,1,0]
	v_or_b32_e32 v22, v73, v74
	v_fma_mixlo_f16 v23, v72, v73, 0 op_sel:[0,1,0] op_sel_hi:[0,1,0]
	v_or_b32_e32 v73, v79, v78
	v_fma_mixlo_f16 v75, v72, v2, 0 op_sel_hi:[0,1,0]
	v_or_b32_e32 v76, v9, v77
	v_lshlrev_b32_e32 v2, 16, v10
	v_lshlrev_b32_e32 v74, 16, v23
	v_fma_mixlo_f16 v22, v72, v22, 0 op_sel_hi:[0,1,0]
	v_and_b32_e32 v10, 0xffff, v75
	v_fma_mixlo_f16 v23, v72, v79, 0 op_sel:[0,1,0] op_sel_hi:[0,1,0]
	v_fma_mixlo_f16 v73, v72, v73, 0 op_sel_hi:[0,1,0]
	v_fma_mixlo_f16 v9, v72, v9, 0 op_sel:[0,1,0] op_sel_hi:[0,1,0]
	v_fma_mixlo_f16 v75, v72, v76, 0 op_sel_hi:[0,1,0]
	v_and_b32_e32 v88, 0xffff, v22
	v_lshlrev_b32_e32 v72, 16, v23
	v_and_b32_e32 v76, 0xffff, v73
	v_lshlrev_b32_e32 v9, 16, v9
	v_and_b32_e32 v73, 0xffff, v75
	v_or_b32_e32 v75, v2, v10
	v_or_b32_e32 v79, v74, v88
	;; [unrolled: 1-line block ×4, first 2 shown]
	s_and_saveexec_b32 s18, vcc_lo
	s_cbranch_execz .LBB300_2884
; %bb.2883:                             ;   in Loop: Header=BB300_1564 Depth=1
	v_cmp_lt_i32_e64 s4, v71, v30
	v_cndmask_b32_e64 v22, 0, v88, s4
	v_cmp_lt_i32_e64 s4, v100, v30
	v_cndmask_b32_e64 v23, 0, v74, s4
	v_cmp_lt_i32_e64 s4, v99, v30
	v_or_b32_e32 v79, v22, v23
	v_cndmask_b32_e64 v10, 0, v10, s4
	v_cmp_lt_i32_e64 s4, v98, v30
	v_cndmask_b32_e64 v2, 0, v2, s4
	v_cmp_lt_i32_e64 s4, v97, v30
	v_or_b32_e32 v75, v10, v2
	;; [unrolled: 5-line block ×3, first 2 shown]
	v_cndmask_b32_e64 v73, 0, v73, s4
	v_cmp_lt_i32_e64 s4, v86, v30
	v_cndmask_b32_e64 v9, 0, v9, s4
	v_or_b32_e32 v77, v73, v9
.LBB300_2884:                           ;   in Loop: Header=BB300_1564 Depth=1
	s_or_b32 exec_lo, exec_lo, s18
	;;#ASMSTART
	v_pk_mul_f16 v2, v83, v79;

	;;#ASMEND
	;;#ASMSTART
	v_pk_mul_f16 v9, v82, v75;

	;;#ASMEND
	;; [unrolled: 4-line block ×4, first 2 shown]
	;;#ASMSTART
	v_pk_add_f16 v2, v2, v9;

	;;#ASMEND
	;;#ASMSTART
	v_pk_add_f16 v2, v2, v10;

	;;#ASMEND
	;; [unrolled: 4-line block ×3, first 2 shown]
	v_and_b32_e32 v9, 0xffff, v2
	v_lshrrev_b32_e32 v2, 16, v2
	;;#ASMSTART
	v_cvt_f32_f16 v72, v9;
	;;#ASMEND
	;;#ASMSTART
	v_cvt_f32_f16 v73, v2;
	;;#ASMEND
	flat_load_dwordx2 v[9:10], v[7:8] offset:1024
	flat_load_dword v74, v[106:107]
	v_mov_b32_e32 v75, 0
	v_mov_b32_e32 v76, 0
	s_waitcnt vmcnt(1) lgkmcnt(1)
	v_cmp_ne_u16_sdwa s4, v9, v3 src0_sel:BYTE_0 src1_sel:DWORD
	s_and_saveexec_b32 s18, s4
	s_cbranch_execz .LBB300_2892
; %bb.2885:                             ;   in Loop: Header=BB300_1564 Depth=1
	v_cmp_ne_u16_sdwa s4, v9, v67 src0_sel:BYTE_0 src1_sel:DWORD
	v_mov_b32_e32 v76, 0x8000
	s_and_saveexec_b32 s19, s4
	s_cbranch_execz .LBB300_2891
; %bb.2886:                             ;   in Loop: Header=BB300_1564 Depth=1
	v_and_b32_e32 v77, 0x7f, v9
	v_mov_b32_e32 v76, 0x7c01
	s_mov_b32 s20, exec_lo
	v_cmpx_ne_u32_e32 0x7f, v77
	s_cbranch_execz .LBB300_2890
; %bb.2887:                             ;   in Loop: Header=BB300_1564 Depth=1
	v_and_b32_e32 v2, 7, v9
	v_lshrrev_b32_e32 v76, 3, v77
	s_mov_b32 s21, exec_lo
	v_cmpx_gt_u32_e32 8, v77
; %bb.2888:                             ;   in Loop: Header=BB300_1564 Depth=1
	v_ffbh_u32_e32 v2, v2
	v_min_u32_e32 v2, 32, v2
	v_subrev_nc_u32_e32 v22, 28, v2
	v_sub_nc_u32_e32 v76, 29, v2
	v_lshlrev_b64 v[22:23], v22, v[9:10]
	v_and_b32_e32 v2, 7, v22
; %bb.2889:                             ;   in Loop: Header=BB300_1564 Depth=1
	s_or_b32 exec_lo, exec_lo, s21
	v_lshlrev_b32_e32 v22, 8, v9
	v_lshl_add_u32 v23, v76, 10, 0x2000
	v_lshlrev_b32_e32 v2, 7, v2
	v_and_b32_e32 v22, 0x8000, v22
	v_and_b32_e32 v23, 0xfc00, v23
	v_or3_b32 v76, v22, v23, v2
.LBB300_2890:                           ;   in Loop: Header=BB300_1564 Depth=1
	s_or_b32 exec_lo, exec_lo, s20
.LBB300_2891:                           ;   in Loop: Header=BB300_1564 Depth=1
	s_or_b32 exec_lo, exec_lo, s19
.LBB300_2892:                           ;   in Loop: Header=BB300_1564 Depth=1
	s_or_b32 exec_lo, exec_lo, s18
	v_lshrrev_b16 v2, 8, v9
	s_mov_b32 s18, exec_lo
	v_cmpx_ne_u16_e32 0, v2
	s_cbranch_execz .LBB300_2900
; %bb.2893:                             ;   in Loop: Header=BB300_1564 Depth=1
	v_bfrev_b32_e32 v75, 1
	s_mov_b32 s19, exec_lo
	v_cmpx_ne_u16_e32 0x80, v2
	s_cbranch_execz .LBB300_2899
; %bb.2894:                             ;   in Loop: Header=BB300_1564 Depth=1
	v_and_b32_sdwa v78, v2, v68 dst_sel:DWORD dst_unused:UNUSED_PAD src0_sel:WORD_0 src1_sel:DWORD
	v_mov_b32_e32 v75, 0x7c010000
	s_mov_b32 s20, exec_lo
	v_cmpx_ne_u32_e32 0x7f, v78
	s_cbranch_execz .LBB300_2898
; %bb.2895:                             ;   in Loop: Header=BB300_1564 Depth=1
	v_and_b32_sdwa v75, v2, v69 dst_sel:DWORD dst_unused:UNUSED_PAD src0_sel:WORD_0 src1_sel:DWORD
	v_lshrrev_b32_e32 v77, 3, v78
	s_mov_b32 s21, exec_lo
	v_cmpx_gt_u32_e32 8, v78
; %bb.2896:                             ;   in Loop: Header=BB300_1564 Depth=1
	v_ffbh_u32_e32 v22, v75
	v_min_u32_e32 v75, 32, v22
	v_subrev_nc_u32_e32 v22, 28, v75
	v_sub_nc_u32_e32 v77, 29, v75
	v_lshlrev_b64 v[22:23], v22, v[2:3]
	v_and_b32_e32 v75, 7, v22
; %bb.2897:                             ;   in Loop: Header=BB300_1564 Depth=1
	s_or_b32 exec_lo, exec_lo, s21
	v_lshlrev_b32_sdwa v2, v70, v2 dst_sel:DWORD dst_unused:UNUSED_PAD src0_sel:DWORD src1_sel:WORD_0
	v_lshl_add_u32 v22, v77, 10, 0x2000
	v_and_or_b32 v2, 0x8000, v2, v22
	v_lshlrev_b32_e32 v22, 23, v75
	v_lshl_or_b32 v75, v2, 16, v22
.LBB300_2898:                           ;   in Loop: Header=BB300_1564 Depth=1
	s_or_b32 exec_lo, exec_lo, s20
.LBB300_2899:                           ;   in Loop: Header=BB300_1564 Depth=1
	s_or_b32 exec_lo, exec_lo, s19
.LBB300_2900:                           ;   in Loop: Header=BB300_1564 Depth=1
	s_or_b32 exec_lo, exec_lo, s18
	v_lshrrev_b32_e32 v2, 16, v9
	v_mov_b32_e32 v77, 0
	v_mov_b32_e32 v78, 0
	v_cmp_ne_u16_sdwa s4, v2, v3 src0_sel:BYTE_0 src1_sel:DWORD
	s_and_saveexec_b32 s18, s4
	s_cbranch_execz .LBB300_2908
; %bb.2901:                             ;   in Loop: Header=BB300_1564 Depth=1
	v_cmp_ne_u16_sdwa s4, v2, v67 src0_sel:BYTE_0 src1_sel:DWORD
	v_mov_b32_e32 v78, 0x8000
	s_and_saveexec_b32 s19, s4
	s_cbranch_execz .LBB300_2907
; %bb.2902:                             ;   in Loop: Header=BB300_1564 Depth=1
	v_bfe_u32 v88, v9, 16, 7
	v_mov_b32_e32 v78, 0x7c01
	s_mov_b32 s20, exec_lo
	v_cmpx_ne_u32_e32 0x7f, v88
	s_cbranch_execz .LBB300_2906
; %bb.2903:                             ;   in Loop: Header=BB300_1564 Depth=1
	v_and_b32_e32 v78, 7, v2
	v_lshrrev_b32_e32 v79, 3, v88
	s_mov_b32 s21, exec_lo
	v_cmpx_gt_u32_e32 8, v88
; %bb.2904:                             ;   in Loop: Header=BB300_1564 Depth=1
	v_ffbh_u32_e32 v22, v78
	v_min_u32_e32 v78, 32, v22
	v_subrev_nc_u32_e32 v22, 28, v78
	v_sub_nc_u32_e32 v79, 29, v78
	v_lshlrev_b64 v[22:23], v22, v[2:3]
	v_and_b32_e32 v78, 7, v22
; %bb.2905:                             ;   in Loop: Header=BB300_1564 Depth=1
	s_or_b32 exec_lo, exec_lo, s21
	v_lshlrev_b32_e32 v2, 8, v2
	v_lshl_add_u32 v22, v79, 10, 0x2000
	v_lshlrev_b32_e32 v23, 7, v78
	v_and_b32_e32 v2, 0x8000, v2
	v_and_b32_e32 v22, 0xfc00, v22
	v_or3_b32 v78, v2, v22, v23
.LBB300_2906:                           ;   in Loop: Header=BB300_1564 Depth=1
	s_or_b32 exec_lo, exec_lo, s20
.LBB300_2907:                           ;   in Loop: Header=BB300_1564 Depth=1
	s_or_b32 exec_lo, exec_lo, s19
.LBB300_2908:                           ;   in Loop: Header=BB300_1564 Depth=1
	s_or_b32 exec_lo, exec_lo, s18
	s_mov_b32 s18, exec_lo
	v_cmpx_lt_u32_e32 0xffffff, v9
	s_cbranch_execz .LBB300_2916
; %bb.2909:                             ;   in Loop: Header=BB300_1564 Depth=1
	v_lshrrev_b32_e32 v2, 24, v9
	v_bfrev_b32_e32 v77, 1
	s_mov_b32 s19, exec_lo
	v_cmpx_ne_u32_e32 0x80, v2
	s_cbranch_execz .LBB300_2915
; %bb.2910:                             ;   in Loop: Header=BB300_1564 Depth=1
	v_and_b32_e32 v88, 0x7f, v2
	v_mov_b32_e32 v77, 0x7c010000
	s_mov_b32 s20, exec_lo
	v_cmpx_ne_u32_e32 0x7f, v88
	s_cbranch_execz .LBB300_2914
; %bb.2911:                             ;   in Loop: Header=BB300_1564 Depth=1
	v_and_b32_e32 v77, 7, v2
	v_lshrrev_b32_e32 v79, 3, v88
	s_mov_b32 s21, exec_lo
	v_cmpx_gt_u32_e32 8, v88
; %bb.2912:                             ;   in Loop: Header=BB300_1564 Depth=1
	v_ffbh_u32_e32 v22, v77
	v_min_u32_e32 v77, 32, v22
	v_subrev_nc_u32_e32 v22, 28, v77
	v_sub_nc_u32_e32 v79, 29, v77
	v_lshlrev_b64 v[22:23], v22, v[2:3]
	v_and_b32_e32 v77, 7, v22
; %bb.2913:                             ;   in Loop: Header=BB300_1564 Depth=1
	s_or_b32 exec_lo, exec_lo, s21
	v_lshlrev_b32_e32 v2, 8, v2
	v_lshl_add_u32 v22, v79, 10, 0x2000
	v_and_or_b32 v2, 0x8000, v2, v22
	v_lshlrev_b32_e32 v22, 23, v77
	v_lshl_or_b32 v77, v2, 16, v22
.LBB300_2914:                           ;   in Loop: Header=BB300_1564 Depth=1
	s_or_b32 exec_lo, exec_lo, s20
.LBB300_2915:                           ;   in Loop: Header=BB300_1564 Depth=1
	s_or_b32 exec_lo, exec_lo, s19
.LBB300_2916:                           ;   in Loop: Header=BB300_1564 Depth=1
	s_or_b32 exec_lo, exec_lo, s18
	v_mov_b32_e32 v2, v10
	v_cmp_ne_u16_sdwa s4, v10, v3 src0_sel:BYTE_0 src1_sel:DWORD
	v_mov_b32_e32 v79, 0
	v_mov_b32_e32 v88, 0
	s_and_saveexec_b32 s18, s4
	s_cbranch_execz .LBB300_2924
; %bb.2917:                             ;   in Loop: Header=BB300_1564 Depth=1
	v_cmp_ne_u16_sdwa s4, v10, v67 src0_sel:BYTE_0 src1_sel:DWORD
	v_mov_b32_e32 v88, 0x8000
	s_and_saveexec_b32 s19, s4
	s_cbranch_execz .LBB300_2923
; %bb.2918:                             ;   in Loop: Header=BB300_1564 Depth=1
	v_and_b32_e32 v90, 0x7f, v10
	v_mov_b32_e32 v88, 0x7c01
	s_mov_b32 s20, exec_lo
	v_cmpx_ne_u32_e32 0x7f, v90
	s_cbranch_execz .LBB300_2922
; %bb.2919:                             ;   in Loop: Header=BB300_1564 Depth=1
	v_and_b32_e32 v88, 7, v10
	v_lshrrev_b32_e32 v89, 3, v90
	s_mov_b32 s21, exec_lo
	v_cmpx_gt_u32_e32 8, v90
; %bb.2920:                             ;   in Loop: Header=BB300_1564 Depth=1
	v_ffbh_u32_e32 v22, v88
	v_min_u32_e32 v88, 32, v22
	v_subrev_nc_u32_e32 v22, 28, v88
	v_sub_nc_u32_e32 v89, 29, v88
	v_lshlrev_b64 v[22:23], v22, v[2:3]
	v_and_b32_e32 v88, 7, v22
; %bb.2921:                             ;   in Loop: Header=BB300_1564 Depth=1
	s_or_b32 exec_lo, exec_lo, s21
	v_lshlrev_b32_e32 v22, 8, v10
	v_lshl_add_u32 v23, v89, 10, 0x2000
	v_lshlrev_b32_e32 v88, 7, v88
	v_and_b32_e32 v22, 0x8000, v22
	v_and_b32_e32 v23, 0xfc00, v23
	v_or3_b32 v88, v22, v23, v88
.LBB300_2922:                           ;   in Loop: Header=BB300_1564 Depth=1
	s_or_b32 exec_lo, exec_lo, s20
.LBB300_2923:                           ;   in Loop: Header=BB300_1564 Depth=1
	s_or_b32 exec_lo, exec_lo, s19
.LBB300_2924:                           ;   in Loop: Header=BB300_1564 Depth=1
	s_or_b32 exec_lo, exec_lo, s18
	v_lshrrev_b16 v2, 8, v2
	v_mov_b32_e32 v89, 0
	s_mov_b32 s18, exec_lo
	v_cmpx_ne_u16_e32 0, v2
	s_cbranch_execz .LBB300_2932
; %bb.2925:                             ;   in Loop: Header=BB300_1564 Depth=1
	v_bfrev_b32_e32 v89, 1
	s_mov_b32 s19, exec_lo
	v_cmpx_ne_u16_e32 0x80, v2
	s_cbranch_execz .LBB300_2931
; %bb.2926:                             ;   in Loop: Header=BB300_1564 Depth=1
	v_and_b32_sdwa v91, v2, v68 dst_sel:DWORD dst_unused:UNUSED_PAD src0_sel:WORD_0 src1_sel:DWORD
	v_mov_b32_e32 v89, 0x7c010000
	s_mov_b32 s20, exec_lo
	v_cmpx_ne_u32_e32 0x7f, v91
	s_cbranch_execz .LBB300_2930
; %bb.2927:                             ;   in Loop: Header=BB300_1564 Depth=1
	v_and_b32_sdwa v89, v2, v69 dst_sel:DWORD dst_unused:UNUSED_PAD src0_sel:WORD_0 src1_sel:DWORD
	v_lshrrev_b32_e32 v90, 3, v91
	s_mov_b32 s21, exec_lo
	v_cmpx_gt_u32_e32 8, v91
; %bb.2928:                             ;   in Loop: Header=BB300_1564 Depth=1
	v_ffbh_u32_e32 v22, v89
	v_min_u32_e32 v89, 32, v22
	v_subrev_nc_u32_e32 v22, 28, v89
	v_sub_nc_u32_e32 v90, 29, v89
	v_lshlrev_b64 v[22:23], v22, v[2:3]
	v_and_b32_e32 v89, 7, v22
; %bb.2929:                             ;   in Loop: Header=BB300_1564 Depth=1
	s_or_b32 exec_lo, exec_lo, s21
	v_lshlrev_b32_sdwa v2, v70, v2 dst_sel:DWORD dst_unused:UNUSED_PAD src0_sel:DWORD src1_sel:WORD_0
	v_lshl_add_u32 v22, v90, 10, 0x2000
	v_and_or_b32 v2, 0x8000, v2, v22
	v_lshlrev_b32_e32 v22, 23, v89
	v_lshl_or_b32 v89, v2, 16, v22
.LBB300_2930:                           ;   in Loop: Header=BB300_1564 Depth=1
	s_or_b32 exec_lo, exec_lo, s20
.LBB300_2931:                           ;   in Loop: Header=BB300_1564 Depth=1
	s_or_b32 exec_lo, exec_lo, s19
.LBB300_2932:                           ;   in Loop: Header=BB300_1564 Depth=1
	s_or_b32 exec_lo, exec_lo, s18
	v_lshrrev_b32_e32 v2, 16, v10
	v_cmp_ne_u16_sdwa s4, v2, v3 src0_sel:BYTE_0 src1_sel:DWORD
	s_and_saveexec_b32 s18, s4
	s_cbranch_execz .LBB300_2940
; %bb.2933:                             ;   in Loop: Header=BB300_1564 Depth=1
	v_cmp_ne_u16_sdwa s4, v2, v67 src0_sel:BYTE_0 src1_sel:DWORD
	v_mov_b32_e32 v79, 0x8000
	s_and_saveexec_b32 s19, s4
	s_cbranch_execz .LBB300_2939
; %bb.2934:                             ;   in Loop: Header=BB300_1564 Depth=1
	v_bfe_u32 v91, v10, 16, 7
	v_mov_b32_e32 v79, 0x7c01
	s_mov_b32 s20, exec_lo
	v_cmpx_ne_u32_e32 0x7f, v91
	s_cbranch_execz .LBB300_2938
; %bb.2935:                             ;   in Loop: Header=BB300_1564 Depth=1
	v_and_b32_e32 v79, 7, v2
	v_lshrrev_b32_e32 v90, 3, v91
	s_mov_b32 s21, exec_lo
	v_cmpx_gt_u32_e32 8, v91
; %bb.2936:                             ;   in Loop: Header=BB300_1564 Depth=1
	v_ffbh_u32_e32 v22, v79
	v_min_u32_e32 v79, 32, v22
	v_subrev_nc_u32_e32 v22, 28, v79
	v_sub_nc_u32_e32 v90, 29, v79
	v_lshlrev_b64 v[22:23], v22, v[2:3]
	v_and_b32_e32 v79, 7, v22
; %bb.2937:                             ;   in Loop: Header=BB300_1564 Depth=1
	s_or_b32 exec_lo, exec_lo, s21
	v_lshlrev_b32_e32 v2, 8, v2
	v_lshl_add_u32 v22, v90, 10, 0x2000
	v_lshlrev_b32_e32 v23, 7, v79
	v_and_b32_e32 v2, 0x8000, v2
	v_and_b32_e32 v22, 0xfc00, v22
	v_or3_b32 v79, v2, v22, v23
.LBB300_2938:                           ;   in Loop: Header=BB300_1564 Depth=1
	s_or_b32 exec_lo, exec_lo, s20
.LBB300_2939:                           ;   in Loop: Header=BB300_1564 Depth=1
	s_or_b32 exec_lo, exec_lo, s19
.LBB300_2940:                           ;   in Loop: Header=BB300_1564 Depth=1
	s_or_b32 exec_lo, exec_lo, s18
	v_cmp_lt_u64_e64 s4, s[6:7], v[9:10]
	v_mov_b32_e32 v9, 0
	s_and_saveexec_b32 s18, s4
	s_cbranch_execz .LBB300_2948
; %bb.2941:                             ;   in Loop: Header=BB300_1564 Depth=1
	v_lshrrev_b32_e32 v2, 24, v10
	v_bfrev_b32_e32 v9, 1
	s_mov_b32 s19, exec_lo
	v_cmpx_ne_u32_e32 0x80, v2
	s_cbranch_execz .LBB300_2947
; %bb.2942:                             ;   in Loop: Header=BB300_1564 Depth=1
	v_and_b32_e32 v90, 0x7f, v2
	v_mov_b32_e32 v9, 0x7c010000
	s_mov_b32 s20, exec_lo
	v_cmpx_ne_u32_e32 0x7f, v90
	s_cbranch_execz .LBB300_2946
; %bb.2943:                             ;   in Loop: Header=BB300_1564 Depth=1
	v_and_b32_e32 v9, 7, v2
	v_lshrrev_b32_e32 v10, 3, v90
	s_mov_b32 s21, exec_lo
	v_cmpx_gt_u32_e32 8, v90
; %bb.2944:                             ;   in Loop: Header=BB300_1564 Depth=1
	v_ffbh_u32_e32 v9, v9
	v_min_u32_e32 v22, 32, v9
	v_subrev_nc_u32_e32 v9, 28, v22
	v_lshlrev_b64 v[9:10], v9, v[2:3]
	v_sub_nc_u32_e32 v10, 29, v22
	v_and_b32_e32 v9, 7, v9
; %bb.2945:                             ;   in Loop: Header=BB300_1564 Depth=1
	s_or_b32 exec_lo, exec_lo, s21
	v_lshlrev_b32_e32 v2, 8, v2
	v_lshl_add_u32 v10, v10, 10, 0x2000
	v_lshlrev_b32_e32 v9, 23, v9
	v_and_or_b32 v2, 0x8000, v2, v10
	v_lshl_or_b32 v9, v2, 16, v9
.LBB300_2946:                           ;   in Loop: Header=BB300_1564 Depth=1
	s_or_b32 exec_lo, exec_lo, s20
.LBB300_2947:                           ;   in Loop: Header=BB300_1564 Depth=1
	s_or_b32 exec_lo, exec_lo, s19
.LBB300_2948:                           ;   in Loop: Header=BB300_1564 Depth=1
	s_or_b32 exec_lo, exec_lo, s18
	v_or_b32_e32 v2, v77, v78
	s_waitcnt vmcnt(0) lgkmcnt(0)
	v_fma_mixlo_f16 v10, v74, v77, 0 op_sel:[0,1,0] op_sel_hi:[0,1,0]
	v_or_b32_e32 v22, v75, v76
	v_fma_mixlo_f16 v23, v74, v75, 0 op_sel:[0,1,0] op_sel_hi:[0,1,0]
	v_or_b32_e32 v75, v89, v88
	v_fma_mixlo_f16 v77, v74, v2, 0 op_sel_hi:[0,1,0]
	v_or_b32_e32 v78, v9, v79
	v_lshlrev_b32_e32 v2, 16, v10
	v_lshlrev_b32_e32 v76, 16, v23
	v_fma_mixlo_f16 v22, v74, v22, 0 op_sel_hi:[0,1,0]
	v_and_b32_e32 v10, 0xffff, v77
	v_fma_mixlo_f16 v23, v74, v89, 0 op_sel:[0,1,0] op_sel_hi:[0,1,0]
	v_fma_mixlo_f16 v75, v74, v75, 0 op_sel_hi:[0,1,0]
	v_fma_mixlo_f16 v9, v74, v9, 0 op_sel:[0,1,0] op_sel_hi:[0,1,0]
	v_fma_mixlo_f16 v77, v74, v78, 0 op_sel_hi:[0,1,0]
	v_and_b32_e32 v90, 0xffff, v22
	v_lshlrev_b32_e32 v74, 16, v23
	v_and_b32_e32 v78, 0xffff, v75
	v_lshlrev_b32_e32 v9, 16, v9
	v_and_b32_e32 v75, 0xffff, v77
	v_or_b32_e32 v77, v2, v10
	v_or_b32_e32 v89, v76, v90
	;; [unrolled: 1-line block ×4, first 2 shown]
	s_and_saveexec_b32 s18, vcc_lo
	s_cbranch_execz .LBB300_2950
; %bb.2949:                             ;   in Loop: Header=BB300_1564 Depth=1
	v_cmp_lt_i32_e64 s4, v71, v30
	v_cndmask_b32_e64 v22, 0, v90, s4
	v_cmp_lt_i32_e64 s4, v100, v30
	v_cndmask_b32_e64 v23, 0, v76, s4
	v_cmp_lt_i32_e64 s4, v99, v30
	v_or_b32_e32 v89, v22, v23
	v_cndmask_b32_e64 v10, 0, v10, s4
	v_cmp_lt_i32_e64 s4, v98, v30
	v_cndmask_b32_e64 v2, 0, v2, s4
	v_cmp_lt_i32_e64 s4, v97, v30
	v_or_b32_e32 v77, v10, v2
	;; [unrolled: 5-line block ×3, first 2 shown]
	v_cndmask_b32_e64 v75, 0, v75, s4
	v_cmp_lt_i32_e64 s4, v86, v30
	v_cndmask_b32_e64 v9, 0, v9, s4
	v_or_b32_e32 v79, v75, v9
.LBB300_2950:                           ;   in Loop: Header=BB300_1564 Depth=1
	s_or_b32 exec_lo, exec_lo, s18
	;;#ASMSTART
	v_pk_mul_f16 v2, v83, v89;

	;;#ASMEND
	;;#ASMSTART
	v_pk_mul_f16 v9, v82, v77;

	;;#ASMEND
	;; [unrolled: 4-line block ×4, first 2 shown]
	;;#ASMSTART
	v_pk_add_f16 v2, v2, v9;

	;;#ASMEND
	;;#ASMSTART
	v_pk_add_f16 v2, v2, v10;

	;;#ASMEND
	;;#ASMSTART
	v_pk_add_f16 v2, v2, v22;

	;;#ASMEND
	v_and_b32_e32 v9, 0xffff, v2
	v_lshrrev_b32_e32 v2, 16, v2
	;;#ASMSTART
	v_cvt_f32_f16 v74, v9;
	;;#ASMEND
	;;#ASMSTART
	v_cvt_f32_f16 v75, v2;
	;;#ASMEND
	flat_load_dwordx2 v[9:10], v[7:8] offset:1280
	flat_load_dword v76, v[106:107]
	v_mov_b32_e32 v77, 0
	v_mov_b32_e32 v78, 0
	s_waitcnt vmcnt(1) lgkmcnt(1)
	v_cmp_ne_u16_sdwa s4, v9, v3 src0_sel:BYTE_0 src1_sel:DWORD
	s_and_saveexec_b32 s18, s4
	s_cbranch_execz .LBB300_2958
; %bb.2951:                             ;   in Loop: Header=BB300_1564 Depth=1
	v_cmp_ne_u16_sdwa s4, v9, v67 src0_sel:BYTE_0 src1_sel:DWORD
	v_mov_b32_e32 v78, 0x8000
	s_and_saveexec_b32 s19, s4
	s_cbranch_execz .LBB300_2957
; %bb.2952:                             ;   in Loop: Header=BB300_1564 Depth=1
	v_and_b32_e32 v79, 0x7f, v9
	v_mov_b32_e32 v78, 0x7c01
	s_mov_b32 s20, exec_lo
	v_cmpx_ne_u32_e32 0x7f, v79
	s_cbranch_execz .LBB300_2956
; %bb.2953:                             ;   in Loop: Header=BB300_1564 Depth=1
	v_and_b32_e32 v2, 7, v9
	v_lshrrev_b32_e32 v78, 3, v79
	s_mov_b32 s21, exec_lo
	v_cmpx_gt_u32_e32 8, v79
; %bb.2954:                             ;   in Loop: Header=BB300_1564 Depth=1
	v_ffbh_u32_e32 v2, v2
	v_min_u32_e32 v2, 32, v2
	v_subrev_nc_u32_e32 v22, 28, v2
	v_sub_nc_u32_e32 v78, 29, v2
	v_lshlrev_b64 v[22:23], v22, v[9:10]
	v_and_b32_e32 v2, 7, v22
; %bb.2955:                             ;   in Loop: Header=BB300_1564 Depth=1
	s_or_b32 exec_lo, exec_lo, s21
	v_lshlrev_b32_e32 v22, 8, v9
	v_lshl_add_u32 v23, v78, 10, 0x2000
	v_lshlrev_b32_e32 v2, 7, v2
	v_and_b32_e32 v22, 0x8000, v22
	v_and_b32_e32 v23, 0xfc00, v23
	v_or3_b32 v78, v22, v23, v2
.LBB300_2956:                           ;   in Loop: Header=BB300_1564 Depth=1
	s_or_b32 exec_lo, exec_lo, s20
.LBB300_2957:                           ;   in Loop: Header=BB300_1564 Depth=1
	s_or_b32 exec_lo, exec_lo, s19
.LBB300_2958:                           ;   in Loop: Header=BB300_1564 Depth=1
	s_or_b32 exec_lo, exec_lo, s18
	v_lshrrev_b16 v2, 8, v9
	s_mov_b32 s18, exec_lo
	v_cmpx_ne_u16_e32 0, v2
	s_cbranch_execz .LBB300_2966
; %bb.2959:                             ;   in Loop: Header=BB300_1564 Depth=1
	v_bfrev_b32_e32 v77, 1
	s_mov_b32 s19, exec_lo
	v_cmpx_ne_u16_e32 0x80, v2
	s_cbranch_execz .LBB300_2965
; %bb.2960:                             ;   in Loop: Header=BB300_1564 Depth=1
	v_and_b32_sdwa v88, v2, v68 dst_sel:DWORD dst_unused:UNUSED_PAD src0_sel:WORD_0 src1_sel:DWORD
	v_mov_b32_e32 v77, 0x7c010000
	s_mov_b32 s20, exec_lo
	v_cmpx_ne_u32_e32 0x7f, v88
	s_cbranch_execz .LBB300_2964
; %bb.2961:                             ;   in Loop: Header=BB300_1564 Depth=1
	v_and_b32_sdwa v77, v2, v69 dst_sel:DWORD dst_unused:UNUSED_PAD src0_sel:WORD_0 src1_sel:DWORD
	v_lshrrev_b32_e32 v79, 3, v88
	s_mov_b32 s21, exec_lo
	v_cmpx_gt_u32_e32 8, v88
; %bb.2962:                             ;   in Loop: Header=BB300_1564 Depth=1
	v_ffbh_u32_e32 v22, v77
	v_min_u32_e32 v77, 32, v22
	v_subrev_nc_u32_e32 v22, 28, v77
	v_sub_nc_u32_e32 v79, 29, v77
	v_lshlrev_b64 v[22:23], v22, v[2:3]
	v_and_b32_e32 v77, 7, v22
; %bb.2963:                             ;   in Loop: Header=BB300_1564 Depth=1
	s_or_b32 exec_lo, exec_lo, s21
	v_lshlrev_b32_sdwa v2, v70, v2 dst_sel:DWORD dst_unused:UNUSED_PAD src0_sel:DWORD src1_sel:WORD_0
	v_lshl_add_u32 v22, v79, 10, 0x2000
	v_and_or_b32 v2, 0x8000, v2, v22
	v_lshlrev_b32_e32 v22, 23, v77
	v_lshl_or_b32 v77, v2, 16, v22
.LBB300_2964:                           ;   in Loop: Header=BB300_1564 Depth=1
	s_or_b32 exec_lo, exec_lo, s20
.LBB300_2965:                           ;   in Loop: Header=BB300_1564 Depth=1
	s_or_b32 exec_lo, exec_lo, s19
.LBB300_2966:                           ;   in Loop: Header=BB300_1564 Depth=1
	s_or_b32 exec_lo, exec_lo, s18
	v_lshrrev_b32_e32 v2, 16, v9
	v_mov_b32_e32 v79, 0
	v_mov_b32_e32 v88, 0
	v_cmp_ne_u16_sdwa s4, v2, v3 src0_sel:BYTE_0 src1_sel:DWORD
	s_and_saveexec_b32 s18, s4
	s_cbranch_execz .LBB300_2974
; %bb.2967:                             ;   in Loop: Header=BB300_1564 Depth=1
	v_cmp_ne_u16_sdwa s4, v2, v67 src0_sel:BYTE_0 src1_sel:DWORD
	v_mov_b32_e32 v88, 0x8000
	s_and_saveexec_b32 s19, s4
	s_cbranch_execz .LBB300_2973
; %bb.2968:                             ;   in Loop: Header=BB300_1564 Depth=1
	v_bfe_u32 v90, v9, 16, 7
	v_mov_b32_e32 v88, 0x7c01
	s_mov_b32 s20, exec_lo
	v_cmpx_ne_u32_e32 0x7f, v90
	s_cbranch_execz .LBB300_2972
; %bb.2969:                             ;   in Loop: Header=BB300_1564 Depth=1
	v_and_b32_e32 v88, 7, v2
	v_lshrrev_b32_e32 v89, 3, v90
	s_mov_b32 s21, exec_lo
	v_cmpx_gt_u32_e32 8, v90
; %bb.2970:                             ;   in Loop: Header=BB300_1564 Depth=1
	v_ffbh_u32_e32 v22, v88
	v_min_u32_e32 v88, 32, v22
	v_subrev_nc_u32_e32 v22, 28, v88
	v_sub_nc_u32_e32 v89, 29, v88
	v_lshlrev_b64 v[22:23], v22, v[2:3]
	v_and_b32_e32 v88, 7, v22
; %bb.2971:                             ;   in Loop: Header=BB300_1564 Depth=1
	s_or_b32 exec_lo, exec_lo, s21
	v_lshlrev_b32_e32 v2, 8, v2
	v_lshl_add_u32 v22, v89, 10, 0x2000
	v_lshlrev_b32_e32 v23, 7, v88
	v_and_b32_e32 v2, 0x8000, v2
	v_and_b32_e32 v22, 0xfc00, v22
	v_or3_b32 v88, v2, v22, v23
.LBB300_2972:                           ;   in Loop: Header=BB300_1564 Depth=1
	s_or_b32 exec_lo, exec_lo, s20
.LBB300_2973:                           ;   in Loop: Header=BB300_1564 Depth=1
	s_or_b32 exec_lo, exec_lo, s19
.LBB300_2974:                           ;   in Loop: Header=BB300_1564 Depth=1
	s_or_b32 exec_lo, exec_lo, s18
	s_mov_b32 s18, exec_lo
	v_cmpx_lt_u32_e32 0xffffff, v9
	s_cbranch_execz .LBB300_2982
; %bb.2975:                             ;   in Loop: Header=BB300_1564 Depth=1
	v_lshrrev_b32_e32 v2, 24, v9
	v_bfrev_b32_e32 v79, 1
	s_mov_b32 s19, exec_lo
	v_cmpx_ne_u32_e32 0x80, v2
	s_cbranch_execz .LBB300_2981
; %bb.2976:                             ;   in Loop: Header=BB300_1564 Depth=1
	v_and_b32_e32 v90, 0x7f, v2
	v_mov_b32_e32 v79, 0x7c010000
	s_mov_b32 s20, exec_lo
	v_cmpx_ne_u32_e32 0x7f, v90
	s_cbranch_execz .LBB300_2980
; %bb.2977:                             ;   in Loop: Header=BB300_1564 Depth=1
	v_and_b32_e32 v79, 7, v2
	v_lshrrev_b32_e32 v89, 3, v90
	s_mov_b32 s21, exec_lo
	v_cmpx_gt_u32_e32 8, v90
; %bb.2978:                             ;   in Loop: Header=BB300_1564 Depth=1
	v_ffbh_u32_e32 v22, v79
	v_min_u32_e32 v79, 32, v22
	v_subrev_nc_u32_e32 v22, 28, v79
	v_sub_nc_u32_e32 v89, 29, v79
	v_lshlrev_b64 v[22:23], v22, v[2:3]
	v_and_b32_e32 v79, 7, v22
; %bb.2979:                             ;   in Loop: Header=BB300_1564 Depth=1
	s_or_b32 exec_lo, exec_lo, s21
	v_lshlrev_b32_e32 v2, 8, v2
	v_lshl_add_u32 v22, v89, 10, 0x2000
	v_and_or_b32 v2, 0x8000, v2, v22
	v_lshlrev_b32_e32 v22, 23, v79
	v_lshl_or_b32 v79, v2, 16, v22
.LBB300_2980:                           ;   in Loop: Header=BB300_1564 Depth=1
	s_or_b32 exec_lo, exec_lo, s20
.LBB300_2981:                           ;   in Loop: Header=BB300_1564 Depth=1
	s_or_b32 exec_lo, exec_lo, s19
.LBB300_2982:                           ;   in Loop: Header=BB300_1564 Depth=1
	s_or_b32 exec_lo, exec_lo, s18
	v_mov_b32_e32 v2, v10
	v_cmp_ne_u16_sdwa s4, v10, v3 src0_sel:BYTE_0 src1_sel:DWORD
	v_mov_b32_e32 v89, 0
	v_mov_b32_e32 v90, 0
	s_and_saveexec_b32 s18, s4
	s_cbranch_execz .LBB300_2990
; %bb.2983:                             ;   in Loop: Header=BB300_1564 Depth=1
	v_cmp_ne_u16_sdwa s4, v10, v67 src0_sel:BYTE_0 src1_sel:DWORD
	v_mov_b32_e32 v90, 0x8000
	s_and_saveexec_b32 s19, s4
	s_cbranch_execz .LBB300_2989
; %bb.2984:                             ;   in Loop: Header=BB300_1564 Depth=1
	v_and_b32_e32 v92, 0x7f, v10
	v_mov_b32_e32 v90, 0x7c01
	s_mov_b32 s20, exec_lo
	v_cmpx_ne_u32_e32 0x7f, v92
	s_cbranch_execz .LBB300_2988
; %bb.2985:                             ;   in Loop: Header=BB300_1564 Depth=1
	v_and_b32_e32 v90, 7, v10
	v_lshrrev_b32_e32 v91, 3, v92
	s_mov_b32 s21, exec_lo
	v_cmpx_gt_u32_e32 8, v92
; %bb.2986:                             ;   in Loop: Header=BB300_1564 Depth=1
	v_ffbh_u32_e32 v22, v90
	v_min_u32_e32 v90, 32, v22
	v_subrev_nc_u32_e32 v22, 28, v90
	v_sub_nc_u32_e32 v91, 29, v90
	v_lshlrev_b64 v[22:23], v22, v[2:3]
	v_and_b32_e32 v90, 7, v22
; %bb.2987:                             ;   in Loop: Header=BB300_1564 Depth=1
	s_or_b32 exec_lo, exec_lo, s21
	v_lshlrev_b32_e32 v22, 8, v10
	v_lshl_add_u32 v23, v91, 10, 0x2000
	v_lshlrev_b32_e32 v90, 7, v90
	v_and_b32_e32 v22, 0x8000, v22
	v_and_b32_e32 v23, 0xfc00, v23
	v_or3_b32 v90, v22, v23, v90
.LBB300_2988:                           ;   in Loop: Header=BB300_1564 Depth=1
	s_or_b32 exec_lo, exec_lo, s20
.LBB300_2989:                           ;   in Loop: Header=BB300_1564 Depth=1
	s_or_b32 exec_lo, exec_lo, s19
.LBB300_2990:                           ;   in Loop: Header=BB300_1564 Depth=1
	s_or_b32 exec_lo, exec_lo, s18
	v_lshrrev_b16 v2, 8, v2
	v_mov_b32_e32 v91, 0
	s_mov_b32 s18, exec_lo
	v_cmpx_ne_u16_e32 0, v2
	s_cbranch_execz .LBB300_2998
; %bb.2991:                             ;   in Loop: Header=BB300_1564 Depth=1
	v_bfrev_b32_e32 v91, 1
	s_mov_b32 s19, exec_lo
	v_cmpx_ne_u16_e32 0x80, v2
	s_cbranch_execz .LBB300_2997
; %bb.2992:                             ;   in Loop: Header=BB300_1564 Depth=1
	v_and_b32_sdwa v93, v2, v68 dst_sel:DWORD dst_unused:UNUSED_PAD src0_sel:WORD_0 src1_sel:DWORD
	v_mov_b32_e32 v91, 0x7c010000
	s_mov_b32 s20, exec_lo
	v_cmpx_ne_u32_e32 0x7f, v93
	s_cbranch_execz .LBB300_2996
; %bb.2993:                             ;   in Loop: Header=BB300_1564 Depth=1
	v_and_b32_sdwa v91, v2, v69 dst_sel:DWORD dst_unused:UNUSED_PAD src0_sel:WORD_0 src1_sel:DWORD
	v_lshrrev_b32_e32 v92, 3, v93
	s_mov_b32 s21, exec_lo
	v_cmpx_gt_u32_e32 8, v93
; %bb.2994:                             ;   in Loop: Header=BB300_1564 Depth=1
	v_ffbh_u32_e32 v22, v91
	v_min_u32_e32 v91, 32, v22
	v_subrev_nc_u32_e32 v22, 28, v91
	v_sub_nc_u32_e32 v92, 29, v91
	v_lshlrev_b64 v[22:23], v22, v[2:3]
	v_and_b32_e32 v91, 7, v22
; %bb.2995:                             ;   in Loop: Header=BB300_1564 Depth=1
	s_or_b32 exec_lo, exec_lo, s21
	v_lshlrev_b32_sdwa v2, v70, v2 dst_sel:DWORD dst_unused:UNUSED_PAD src0_sel:DWORD src1_sel:WORD_0
	v_lshl_add_u32 v22, v92, 10, 0x2000
	v_and_or_b32 v2, 0x8000, v2, v22
	v_lshlrev_b32_e32 v22, 23, v91
	v_lshl_or_b32 v91, v2, 16, v22
.LBB300_2996:                           ;   in Loop: Header=BB300_1564 Depth=1
	s_or_b32 exec_lo, exec_lo, s20
.LBB300_2997:                           ;   in Loop: Header=BB300_1564 Depth=1
	s_or_b32 exec_lo, exec_lo, s19
.LBB300_2998:                           ;   in Loop: Header=BB300_1564 Depth=1
	s_or_b32 exec_lo, exec_lo, s18
	v_lshrrev_b32_e32 v2, 16, v10
	v_cmp_ne_u16_sdwa s4, v2, v3 src0_sel:BYTE_0 src1_sel:DWORD
	s_and_saveexec_b32 s18, s4
	s_cbranch_execz .LBB300_3006
; %bb.2999:                             ;   in Loop: Header=BB300_1564 Depth=1
	v_cmp_ne_u16_sdwa s4, v2, v67 src0_sel:BYTE_0 src1_sel:DWORD
	v_mov_b32_e32 v89, 0x8000
	s_and_saveexec_b32 s19, s4
	s_cbranch_execz .LBB300_3005
; %bb.3000:                             ;   in Loop: Header=BB300_1564 Depth=1
	v_bfe_u32 v93, v10, 16, 7
	v_mov_b32_e32 v89, 0x7c01
	s_mov_b32 s20, exec_lo
	v_cmpx_ne_u32_e32 0x7f, v93
	s_cbranch_execz .LBB300_3004
; %bb.3001:                             ;   in Loop: Header=BB300_1564 Depth=1
	v_and_b32_e32 v89, 7, v2
	v_lshrrev_b32_e32 v92, 3, v93
	s_mov_b32 s21, exec_lo
	v_cmpx_gt_u32_e32 8, v93
; %bb.3002:                             ;   in Loop: Header=BB300_1564 Depth=1
	v_ffbh_u32_e32 v22, v89
	v_min_u32_e32 v89, 32, v22
	v_subrev_nc_u32_e32 v22, 28, v89
	v_sub_nc_u32_e32 v92, 29, v89
	v_lshlrev_b64 v[22:23], v22, v[2:3]
	v_and_b32_e32 v89, 7, v22
; %bb.3003:                             ;   in Loop: Header=BB300_1564 Depth=1
	s_or_b32 exec_lo, exec_lo, s21
	v_lshlrev_b32_e32 v2, 8, v2
	v_lshl_add_u32 v22, v92, 10, 0x2000
	v_lshlrev_b32_e32 v23, 7, v89
	v_and_b32_e32 v2, 0x8000, v2
	v_and_b32_e32 v22, 0xfc00, v22
	v_or3_b32 v89, v2, v22, v23
.LBB300_3004:                           ;   in Loop: Header=BB300_1564 Depth=1
	s_or_b32 exec_lo, exec_lo, s20
.LBB300_3005:                           ;   in Loop: Header=BB300_1564 Depth=1
	s_or_b32 exec_lo, exec_lo, s19
.LBB300_3006:                           ;   in Loop: Header=BB300_1564 Depth=1
	s_or_b32 exec_lo, exec_lo, s18
	v_cmp_lt_u64_e64 s4, s[6:7], v[9:10]
	v_mov_b32_e32 v9, 0
	s_and_saveexec_b32 s18, s4
	s_cbranch_execz .LBB300_3014
; %bb.3007:                             ;   in Loop: Header=BB300_1564 Depth=1
	v_lshrrev_b32_e32 v2, 24, v10
	v_bfrev_b32_e32 v9, 1
	s_mov_b32 s19, exec_lo
	v_cmpx_ne_u32_e32 0x80, v2
	s_cbranch_execz .LBB300_3013
; %bb.3008:                             ;   in Loop: Header=BB300_1564 Depth=1
	v_and_b32_e32 v92, 0x7f, v2
	v_mov_b32_e32 v9, 0x7c010000
	s_mov_b32 s20, exec_lo
	v_cmpx_ne_u32_e32 0x7f, v92
	s_cbranch_execz .LBB300_3012
; %bb.3009:                             ;   in Loop: Header=BB300_1564 Depth=1
	v_and_b32_e32 v9, 7, v2
	v_lshrrev_b32_e32 v10, 3, v92
	s_mov_b32 s21, exec_lo
	v_cmpx_gt_u32_e32 8, v92
; %bb.3010:                             ;   in Loop: Header=BB300_1564 Depth=1
	v_ffbh_u32_e32 v9, v9
	v_min_u32_e32 v22, 32, v9
	v_subrev_nc_u32_e32 v9, 28, v22
	v_lshlrev_b64 v[9:10], v9, v[2:3]
	v_sub_nc_u32_e32 v10, 29, v22
	v_and_b32_e32 v9, 7, v9
; %bb.3011:                             ;   in Loop: Header=BB300_1564 Depth=1
	s_or_b32 exec_lo, exec_lo, s21
	v_lshlrev_b32_e32 v2, 8, v2
	v_lshl_add_u32 v10, v10, 10, 0x2000
	v_lshlrev_b32_e32 v9, 23, v9
	v_and_or_b32 v2, 0x8000, v2, v10
	v_lshl_or_b32 v9, v2, 16, v9
.LBB300_3012:                           ;   in Loop: Header=BB300_1564 Depth=1
	s_or_b32 exec_lo, exec_lo, s20
.LBB300_3013:                           ;   in Loop: Header=BB300_1564 Depth=1
	s_or_b32 exec_lo, exec_lo, s19
.LBB300_3014:                           ;   in Loop: Header=BB300_1564 Depth=1
	s_or_b32 exec_lo, exec_lo, s18
	v_or_b32_e32 v2, v79, v88
	s_waitcnt vmcnt(0) lgkmcnt(0)
	v_fma_mixlo_f16 v10, v76, v79, 0 op_sel:[0,1,0] op_sel_hi:[0,1,0]
	v_or_b32_e32 v22, v77, v78
	v_fma_mixlo_f16 v23, v76, v77, 0 op_sel:[0,1,0] op_sel_hi:[0,1,0]
	v_or_b32_e32 v77, v91, v90
	v_fma_mixlo_f16 v79, v76, v2, 0 op_sel_hi:[0,1,0]
	v_or_b32_e32 v88, v9, v89
	v_lshlrev_b32_e32 v2, 16, v10
	v_lshlrev_b32_e32 v78, 16, v23
	v_fma_mixlo_f16 v22, v76, v22, 0 op_sel_hi:[0,1,0]
	v_and_b32_e32 v10, 0xffff, v79
	v_fma_mixlo_f16 v23, v76, v91, 0 op_sel:[0,1,0] op_sel_hi:[0,1,0]
	v_fma_mixlo_f16 v77, v76, v77, 0 op_sel_hi:[0,1,0]
	v_fma_mixlo_f16 v9, v76, v9, 0 op_sel:[0,1,0] op_sel_hi:[0,1,0]
	v_fma_mixlo_f16 v79, v76, v88, 0 op_sel_hi:[0,1,0]
	v_and_b32_e32 v92, 0xffff, v22
	v_lshlrev_b32_e32 v76, 16, v23
	v_and_b32_e32 v88, 0xffff, v77
	v_lshlrev_b32_e32 v9, 16, v9
	v_and_b32_e32 v77, 0xffff, v79
	v_or_b32_e32 v79, v2, v10
	v_or_b32_e32 v91, v78, v92
	;; [unrolled: 1-line block ×4, first 2 shown]
	s_and_saveexec_b32 s18, vcc_lo
	s_cbranch_execz .LBB300_3016
; %bb.3015:                             ;   in Loop: Header=BB300_1564 Depth=1
	v_cmp_lt_i32_e64 s4, v71, v30
	v_cndmask_b32_e64 v22, 0, v92, s4
	v_cmp_lt_i32_e64 s4, v100, v30
	v_cndmask_b32_e64 v23, 0, v78, s4
	v_cmp_lt_i32_e64 s4, v99, v30
	v_or_b32_e32 v91, v22, v23
	v_cndmask_b32_e64 v10, 0, v10, s4
	v_cmp_lt_i32_e64 s4, v98, v30
	v_cndmask_b32_e64 v2, 0, v2, s4
	v_cmp_lt_i32_e64 s4, v97, v30
	v_or_b32_e32 v79, v10, v2
	;; [unrolled: 5-line block ×3, first 2 shown]
	v_cndmask_b32_e64 v77, 0, v77, s4
	v_cmp_lt_i32_e64 s4, v86, v30
	v_cndmask_b32_e64 v9, 0, v9, s4
	v_or_b32_e32 v89, v77, v9
.LBB300_3016:                           ;   in Loop: Header=BB300_1564 Depth=1
	s_or_b32 exec_lo, exec_lo, s18
	;;#ASMSTART
	v_pk_mul_f16 v2, v83, v91;

	;;#ASMEND
	;;#ASMSTART
	v_pk_mul_f16 v9, v82, v79;

	;;#ASMEND
	;; [unrolled: 4-line block ×4, first 2 shown]
	;;#ASMSTART
	v_pk_add_f16 v2, v2, v9;

	;;#ASMEND
	;;#ASMSTART
	v_pk_add_f16 v2, v2, v10;

	;;#ASMEND
	;; [unrolled: 4-line block ×3, first 2 shown]
	v_and_b32_e32 v9, 0xffff, v2
	v_lshrrev_b32_e32 v2, 16, v2
	;;#ASMSTART
	v_cvt_f32_f16 v76, v9;
	;;#ASMEND
	;;#ASMSTART
	v_cvt_f32_f16 v77, v2;
	;;#ASMEND
	flat_load_dwordx2 v[9:10], v[7:8] offset:1536
	flat_load_dword v78, v[106:107]
	v_mov_b32_e32 v79, 0
	v_mov_b32_e32 v88, 0
	s_waitcnt vmcnt(1) lgkmcnt(1)
	v_cmp_ne_u16_sdwa s4, v9, v3 src0_sel:BYTE_0 src1_sel:DWORD
	s_and_saveexec_b32 s18, s4
	s_cbranch_execz .LBB300_3024
; %bb.3017:                             ;   in Loop: Header=BB300_1564 Depth=1
	v_cmp_ne_u16_sdwa s4, v9, v67 src0_sel:BYTE_0 src1_sel:DWORD
	v_mov_b32_e32 v88, 0x8000
	s_and_saveexec_b32 s19, s4
	s_cbranch_execz .LBB300_3023
; %bb.3018:                             ;   in Loop: Header=BB300_1564 Depth=1
	v_and_b32_e32 v89, 0x7f, v9
	v_mov_b32_e32 v88, 0x7c01
	s_mov_b32 s20, exec_lo
	v_cmpx_ne_u32_e32 0x7f, v89
	s_cbranch_execz .LBB300_3022
; %bb.3019:                             ;   in Loop: Header=BB300_1564 Depth=1
	v_and_b32_e32 v2, 7, v9
	v_lshrrev_b32_e32 v88, 3, v89
	s_mov_b32 s21, exec_lo
	v_cmpx_gt_u32_e32 8, v89
; %bb.3020:                             ;   in Loop: Header=BB300_1564 Depth=1
	v_ffbh_u32_e32 v2, v2
	v_min_u32_e32 v2, 32, v2
	v_subrev_nc_u32_e32 v22, 28, v2
	v_sub_nc_u32_e32 v88, 29, v2
	v_lshlrev_b64 v[22:23], v22, v[9:10]
	v_and_b32_e32 v2, 7, v22
; %bb.3021:                             ;   in Loop: Header=BB300_1564 Depth=1
	s_or_b32 exec_lo, exec_lo, s21
	v_lshlrev_b32_e32 v22, 8, v9
	v_lshl_add_u32 v23, v88, 10, 0x2000
	v_lshlrev_b32_e32 v2, 7, v2
	v_and_b32_e32 v22, 0x8000, v22
	v_and_b32_e32 v23, 0xfc00, v23
	v_or3_b32 v88, v22, v23, v2
.LBB300_3022:                           ;   in Loop: Header=BB300_1564 Depth=1
	s_or_b32 exec_lo, exec_lo, s20
.LBB300_3023:                           ;   in Loop: Header=BB300_1564 Depth=1
	s_or_b32 exec_lo, exec_lo, s19
.LBB300_3024:                           ;   in Loop: Header=BB300_1564 Depth=1
	s_or_b32 exec_lo, exec_lo, s18
	v_lshrrev_b16 v2, 8, v9
	s_mov_b32 s18, exec_lo
	v_cmpx_ne_u16_e32 0, v2
	s_cbranch_execz .LBB300_3032
; %bb.3025:                             ;   in Loop: Header=BB300_1564 Depth=1
	v_bfrev_b32_e32 v79, 1
	s_mov_b32 s19, exec_lo
	v_cmpx_ne_u16_e32 0x80, v2
	s_cbranch_execz .LBB300_3031
; %bb.3026:                             ;   in Loop: Header=BB300_1564 Depth=1
	v_and_b32_sdwa v90, v2, v68 dst_sel:DWORD dst_unused:UNUSED_PAD src0_sel:WORD_0 src1_sel:DWORD
	v_mov_b32_e32 v79, 0x7c010000
	s_mov_b32 s20, exec_lo
	v_cmpx_ne_u32_e32 0x7f, v90
	s_cbranch_execz .LBB300_3030
; %bb.3027:                             ;   in Loop: Header=BB300_1564 Depth=1
	v_and_b32_sdwa v79, v2, v69 dst_sel:DWORD dst_unused:UNUSED_PAD src0_sel:WORD_0 src1_sel:DWORD
	v_lshrrev_b32_e32 v89, 3, v90
	s_mov_b32 s21, exec_lo
	v_cmpx_gt_u32_e32 8, v90
; %bb.3028:                             ;   in Loop: Header=BB300_1564 Depth=1
	v_ffbh_u32_e32 v22, v79
	v_min_u32_e32 v79, 32, v22
	v_subrev_nc_u32_e32 v22, 28, v79
	v_sub_nc_u32_e32 v89, 29, v79
	v_lshlrev_b64 v[22:23], v22, v[2:3]
	v_and_b32_e32 v79, 7, v22
; %bb.3029:                             ;   in Loop: Header=BB300_1564 Depth=1
	s_or_b32 exec_lo, exec_lo, s21
	v_lshlrev_b32_sdwa v2, v70, v2 dst_sel:DWORD dst_unused:UNUSED_PAD src0_sel:DWORD src1_sel:WORD_0
	v_lshl_add_u32 v22, v89, 10, 0x2000
	v_and_or_b32 v2, 0x8000, v2, v22
	v_lshlrev_b32_e32 v22, 23, v79
	v_lshl_or_b32 v79, v2, 16, v22
.LBB300_3030:                           ;   in Loop: Header=BB300_1564 Depth=1
	s_or_b32 exec_lo, exec_lo, s20
.LBB300_3031:                           ;   in Loop: Header=BB300_1564 Depth=1
	s_or_b32 exec_lo, exec_lo, s19
.LBB300_3032:                           ;   in Loop: Header=BB300_1564 Depth=1
	s_or_b32 exec_lo, exec_lo, s18
	v_lshrrev_b32_e32 v2, 16, v9
	v_mov_b32_e32 v89, 0
	v_mov_b32_e32 v90, 0
	v_cmp_ne_u16_sdwa s4, v2, v3 src0_sel:BYTE_0 src1_sel:DWORD
	s_and_saveexec_b32 s18, s4
	s_cbranch_execz .LBB300_3040
; %bb.3033:                             ;   in Loop: Header=BB300_1564 Depth=1
	v_cmp_ne_u16_sdwa s4, v2, v67 src0_sel:BYTE_0 src1_sel:DWORD
	v_mov_b32_e32 v90, 0x8000
	s_and_saveexec_b32 s19, s4
	s_cbranch_execz .LBB300_3039
; %bb.3034:                             ;   in Loop: Header=BB300_1564 Depth=1
	v_bfe_u32 v92, v9, 16, 7
	v_mov_b32_e32 v90, 0x7c01
	s_mov_b32 s20, exec_lo
	v_cmpx_ne_u32_e32 0x7f, v92
	s_cbranch_execz .LBB300_3038
; %bb.3035:                             ;   in Loop: Header=BB300_1564 Depth=1
	v_and_b32_e32 v90, 7, v2
	v_lshrrev_b32_e32 v91, 3, v92
	s_mov_b32 s21, exec_lo
	v_cmpx_gt_u32_e32 8, v92
; %bb.3036:                             ;   in Loop: Header=BB300_1564 Depth=1
	v_ffbh_u32_e32 v22, v90
	v_min_u32_e32 v90, 32, v22
	v_subrev_nc_u32_e32 v22, 28, v90
	v_sub_nc_u32_e32 v91, 29, v90
	v_lshlrev_b64 v[22:23], v22, v[2:3]
	v_and_b32_e32 v90, 7, v22
; %bb.3037:                             ;   in Loop: Header=BB300_1564 Depth=1
	s_or_b32 exec_lo, exec_lo, s21
	v_lshlrev_b32_e32 v2, 8, v2
	v_lshl_add_u32 v22, v91, 10, 0x2000
	v_lshlrev_b32_e32 v23, 7, v90
	v_and_b32_e32 v2, 0x8000, v2
	v_and_b32_e32 v22, 0xfc00, v22
	v_or3_b32 v90, v2, v22, v23
.LBB300_3038:                           ;   in Loop: Header=BB300_1564 Depth=1
	s_or_b32 exec_lo, exec_lo, s20
.LBB300_3039:                           ;   in Loop: Header=BB300_1564 Depth=1
	s_or_b32 exec_lo, exec_lo, s19
.LBB300_3040:                           ;   in Loop: Header=BB300_1564 Depth=1
	s_or_b32 exec_lo, exec_lo, s18
	s_mov_b32 s18, exec_lo
	v_cmpx_lt_u32_e32 0xffffff, v9
	s_cbranch_execz .LBB300_3048
; %bb.3041:                             ;   in Loop: Header=BB300_1564 Depth=1
	v_lshrrev_b32_e32 v2, 24, v9
	v_bfrev_b32_e32 v89, 1
	s_mov_b32 s19, exec_lo
	v_cmpx_ne_u32_e32 0x80, v2
	s_cbranch_execz .LBB300_3047
; %bb.3042:                             ;   in Loop: Header=BB300_1564 Depth=1
	v_and_b32_e32 v92, 0x7f, v2
	v_mov_b32_e32 v89, 0x7c010000
	s_mov_b32 s20, exec_lo
	v_cmpx_ne_u32_e32 0x7f, v92
	s_cbranch_execz .LBB300_3046
; %bb.3043:                             ;   in Loop: Header=BB300_1564 Depth=1
	v_and_b32_e32 v89, 7, v2
	v_lshrrev_b32_e32 v91, 3, v92
	s_mov_b32 s21, exec_lo
	v_cmpx_gt_u32_e32 8, v92
; %bb.3044:                             ;   in Loop: Header=BB300_1564 Depth=1
	v_ffbh_u32_e32 v22, v89
	v_min_u32_e32 v89, 32, v22
	v_subrev_nc_u32_e32 v22, 28, v89
	v_sub_nc_u32_e32 v91, 29, v89
	v_lshlrev_b64 v[22:23], v22, v[2:3]
	v_and_b32_e32 v89, 7, v22
; %bb.3045:                             ;   in Loop: Header=BB300_1564 Depth=1
	s_or_b32 exec_lo, exec_lo, s21
	v_lshlrev_b32_e32 v2, 8, v2
	v_lshl_add_u32 v22, v91, 10, 0x2000
	v_and_or_b32 v2, 0x8000, v2, v22
	v_lshlrev_b32_e32 v22, 23, v89
	v_lshl_or_b32 v89, v2, 16, v22
.LBB300_3046:                           ;   in Loop: Header=BB300_1564 Depth=1
	s_or_b32 exec_lo, exec_lo, s20
.LBB300_3047:                           ;   in Loop: Header=BB300_1564 Depth=1
	s_or_b32 exec_lo, exec_lo, s19
.LBB300_3048:                           ;   in Loop: Header=BB300_1564 Depth=1
	s_or_b32 exec_lo, exec_lo, s18
	v_mov_b32_e32 v2, v10
	v_cmp_ne_u16_sdwa s4, v10, v3 src0_sel:BYTE_0 src1_sel:DWORD
	v_mov_b32_e32 v91, 0
	v_mov_b32_e32 v92, 0
	s_and_saveexec_b32 s18, s4
	s_cbranch_execz .LBB300_3056
; %bb.3049:                             ;   in Loop: Header=BB300_1564 Depth=1
	v_cmp_ne_u16_sdwa s4, v10, v67 src0_sel:BYTE_0 src1_sel:DWORD
	v_mov_b32_e32 v92, 0x8000
	s_and_saveexec_b32 s19, s4
	s_cbranch_execz .LBB300_3055
; %bb.3050:                             ;   in Loop: Header=BB300_1564 Depth=1
	v_and_b32_e32 v94, 0x7f, v10
	v_mov_b32_e32 v92, 0x7c01
	s_mov_b32 s20, exec_lo
	v_cmpx_ne_u32_e32 0x7f, v94
	s_cbranch_execz .LBB300_3054
; %bb.3051:                             ;   in Loop: Header=BB300_1564 Depth=1
	v_and_b32_e32 v92, 7, v10
	v_lshrrev_b32_e32 v93, 3, v94
	s_mov_b32 s21, exec_lo
	v_cmpx_gt_u32_e32 8, v94
; %bb.3052:                             ;   in Loop: Header=BB300_1564 Depth=1
	v_ffbh_u32_e32 v22, v92
	v_min_u32_e32 v92, 32, v22
	v_subrev_nc_u32_e32 v22, 28, v92
	v_sub_nc_u32_e32 v93, 29, v92
	v_lshlrev_b64 v[22:23], v22, v[2:3]
	v_and_b32_e32 v92, 7, v22
; %bb.3053:                             ;   in Loop: Header=BB300_1564 Depth=1
	s_or_b32 exec_lo, exec_lo, s21
	v_lshlrev_b32_e32 v22, 8, v10
	v_lshl_add_u32 v23, v93, 10, 0x2000
	v_lshlrev_b32_e32 v92, 7, v92
	v_and_b32_e32 v22, 0x8000, v22
	v_and_b32_e32 v23, 0xfc00, v23
	v_or3_b32 v92, v22, v23, v92
.LBB300_3054:                           ;   in Loop: Header=BB300_1564 Depth=1
	s_or_b32 exec_lo, exec_lo, s20
.LBB300_3055:                           ;   in Loop: Header=BB300_1564 Depth=1
	s_or_b32 exec_lo, exec_lo, s19
.LBB300_3056:                           ;   in Loop: Header=BB300_1564 Depth=1
	s_or_b32 exec_lo, exec_lo, s18
	v_lshrrev_b16 v2, 8, v2
	v_mov_b32_e32 v93, 0
	s_mov_b32 s18, exec_lo
	v_cmpx_ne_u16_e32 0, v2
	s_cbranch_execz .LBB300_3064
; %bb.3057:                             ;   in Loop: Header=BB300_1564 Depth=1
	v_bfrev_b32_e32 v93, 1
	s_mov_b32 s19, exec_lo
	v_cmpx_ne_u16_e32 0x80, v2
	s_cbranch_execz .LBB300_3063
; %bb.3058:                             ;   in Loop: Header=BB300_1564 Depth=1
	v_and_b32_sdwa v95, v2, v68 dst_sel:DWORD dst_unused:UNUSED_PAD src0_sel:WORD_0 src1_sel:DWORD
	v_mov_b32_e32 v93, 0x7c010000
	s_mov_b32 s20, exec_lo
	v_cmpx_ne_u32_e32 0x7f, v95
	s_cbranch_execz .LBB300_3062
; %bb.3059:                             ;   in Loop: Header=BB300_1564 Depth=1
	v_and_b32_sdwa v93, v2, v69 dst_sel:DWORD dst_unused:UNUSED_PAD src0_sel:WORD_0 src1_sel:DWORD
	v_lshrrev_b32_e32 v94, 3, v95
	s_mov_b32 s21, exec_lo
	v_cmpx_gt_u32_e32 8, v95
; %bb.3060:                             ;   in Loop: Header=BB300_1564 Depth=1
	v_ffbh_u32_e32 v22, v93
	v_min_u32_e32 v93, 32, v22
	v_subrev_nc_u32_e32 v22, 28, v93
	v_sub_nc_u32_e32 v94, 29, v93
	v_lshlrev_b64 v[22:23], v22, v[2:3]
	v_and_b32_e32 v93, 7, v22
; %bb.3061:                             ;   in Loop: Header=BB300_1564 Depth=1
	s_or_b32 exec_lo, exec_lo, s21
	v_lshlrev_b32_sdwa v2, v70, v2 dst_sel:DWORD dst_unused:UNUSED_PAD src0_sel:DWORD src1_sel:WORD_0
	v_lshl_add_u32 v22, v94, 10, 0x2000
	v_and_or_b32 v2, 0x8000, v2, v22
	v_lshlrev_b32_e32 v22, 23, v93
	v_lshl_or_b32 v93, v2, 16, v22
.LBB300_3062:                           ;   in Loop: Header=BB300_1564 Depth=1
	s_or_b32 exec_lo, exec_lo, s20
.LBB300_3063:                           ;   in Loop: Header=BB300_1564 Depth=1
	s_or_b32 exec_lo, exec_lo, s19
.LBB300_3064:                           ;   in Loop: Header=BB300_1564 Depth=1
	s_or_b32 exec_lo, exec_lo, s18
	v_lshrrev_b32_e32 v2, 16, v10
	v_cmp_ne_u16_sdwa s4, v2, v3 src0_sel:BYTE_0 src1_sel:DWORD
	s_and_saveexec_b32 s18, s4
	s_cbranch_execz .LBB300_3072
; %bb.3065:                             ;   in Loop: Header=BB300_1564 Depth=1
	v_cmp_ne_u16_sdwa s4, v2, v67 src0_sel:BYTE_0 src1_sel:DWORD
	v_mov_b32_e32 v91, 0x8000
	s_and_saveexec_b32 s19, s4
	s_cbranch_execz .LBB300_3071
; %bb.3066:                             ;   in Loop: Header=BB300_1564 Depth=1
	v_bfe_u32 v95, v10, 16, 7
	v_mov_b32_e32 v91, 0x7c01
	s_mov_b32 s20, exec_lo
	v_cmpx_ne_u32_e32 0x7f, v95
	s_cbranch_execz .LBB300_3070
; %bb.3067:                             ;   in Loop: Header=BB300_1564 Depth=1
	v_and_b32_e32 v91, 7, v2
	v_lshrrev_b32_e32 v94, 3, v95
	s_mov_b32 s21, exec_lo
	v_cmpx_gt_u32_e32 8, v95
; %bb.3068:                             ;   in Loop: Header=BB300_1564 Depth=1
	v_ffbh_u32_e32 v22, v91
	v_min_u32_e32 v91, 32, v22
	v_subrev_nc_u32_e32 v22, 28, v91
	v_sub_nc_u32_e32 v94, 29, v91
	v_lshlrev_b64 v[22:23], v22, v[2:3]
	v_and_b32_e32 v91, 7, v22
; %bb.3069:                             ;   in Loop: Header=BB300_1564 Depth=1
	s_or_b32 exec_lo, exec_lo, s21
	v_lshlrev_b32_e32 v2, 8, v2
	v_lshl_add_u32 v22, v94, 10, 0x2000
	v_lshlrev_b32_e32 v23, 7, v91
	v_and_b32_e32 v2, 0x8000, v2
	v_and_b32_e32 v22, 0xfc00, v22
	v_or3_b32 v91, v2, v22, v23
.LBB300_3070:                           ;   in Loop: Header=BB300_1564 Depth=1
	s_or_b32 exec_lo, exec_lo, s20
.LBB300_3071:                           ;   in Loop: Header=BB300_1564 Depth=1
	s_or_b32 exec_lo, exec_lo, s19
.LBB300_3072:                           ;   in Loop: Header=BB300_1564 Depth=1
	s_or_b32 exec_lo, exec_lo, s18
	v_cmp_lt_u64_e64 s4, s[6:7], v[9:10]
	v_mov_b32_e32 v9, 0
	s_and_saveexec_b32 s18, s4
	s_cbranch_execz .LBB300_3080
; %bb.3073:                             ;   in Loop: Header=BB300_1564 Depth=1
	v_lshrrev_b32_e32 v2, 24, v10
	v_bfrev_b32_e32 v9, 1
	s_mov_b32 s19, exec_lo
	v_cmpx_ne_u32_e32 0x80, v2
	s_cbranch_execz .LBB300_3079
; %bb.3074:                             ;   in Loop: Header=BB300_1564 Depth=1
	v_and_b32_e32 v94, 0x7f, v2
	v_mov_b32_e32 v9, 0x7c010000
	s_mov_b32 s20, exec_lo
	v_cmpx_ne_u32_e32 0x7f, v94
	s_cbranch_execz .LBB300_3078
; %bb.3075:                             ;   in Loop: Header=BB300_1564 Depth=1
	v_and_b32_e32 v9, 7, v2
	v_lshrrev_b32_e32 v10, 3, v94
	s_mov_b32 s21, exec_lo
	v_cmpx_gt_u32_e32 8, v94
; %bb.3076:                             ;   in Loop: Header=BB300_1564 Depth=1
	v_ffbh_u32_e32 v9, v9
	v_min_u32_e32 v22, 32, v9
	v_subrev_nc_u32_e32 v9, 28, v22
	v_lshlrev_b64 v[9:10], v9, v[2:3]
	v_sub_nc_u32_e32 v10, 29, v22
	v_and_b32_e32 v9, 7, v9
; %bb.3077:                             ;   in Loop: Header=BB300_1564 Depth=1
	s_or_b32 exec_lo, exec_lo, s21
	v_lshlrev_b32_e32 v2, 8, v2
	v_lshl_add_u32 v10, v10, 10, 0x2000
	v_lshlrev_b32_e32 v9, 23, v9
	v_and_or_b32 v2, 0x8000, v2, v10
	v_lshl_or_b32 v9, v2, 16, v9
.LBB300_3078:                           ;   in Loop: Header=BB300_1564 Depth=1
	s_or_b32 exec_lo, exec_lo, s20
.LBB300_3079:                           ;   in Loop: Header=BB300_1564 Depth=1
	s_or_b32 exec_lo, exec_lo, s19
.LBB300_3080:                           ;   in Loop: Header=BB300_1564 Depth=1
	s_or_b32 exec_lo, exec_lo, s18
	v_or_b32_e32 v2, v89, v90
	s_waitcnt vmcnt(0) lgkmcnt(0)
	v_fma_mixlo_f16 v10, v78, v89, 0 op_sel:[0,1,0] op_sel_hi:[0,1,0]
	v_or_b32_e32 v22, v79, v88
	v_fma_mixlo_f16 v23, v78, v79, 0 op_sel:[0,1,0] op_sel_hi:[0,1,0]
	v_or_b32_e32 v79, v93, v92
	v_fma_mixlo_f16 v89, v78, v2, 0 op_sel_hi:[0,1,0]
	v_or_b32_e32 v90, v9, v91
	v_lshlrev_b32_e32 v2, 16, v10
	v_lshlrev_b32_e32 v88, 16, v23
	v_fma_mixlo_f16 v22, v78, v22, 0 op_sel_hi:[0,1,0]
	v_and_b32_e32 v10, 0xffff, v89
	v_fma_mixlo_f16 v23, v78, v93, 0 op_sel:[0,1,0] op_sel_hi:[0,1,0]
	v_fma_mixlo_f16 v79, v78, v79, 0 op_sel_hi:[0,1,0]
	v_fma_mixlo_f16 v9, v78, v9, 0 op_sel:[0,1,0] op_sel_hi:[0,1,0]
	v_fma_mixlo_f16 v89, v78, v90, 0 op_sel_hi:[0,1,0]
	v_and_b32_e32 v94, 0xffff, v22
	v_lshlrev_b32_e32 v78, 16, v23
	v_and_b32_e32 v90, 0xffff, v79
	v_lshlrev_b32_e32 v9, 16, v9
	v_and_b32_e32 v79, 0xffff, v89
	v_or_b32_e32 v89, v2, v10
	v_or_b32_e32 v93, v88, v94
	;; [unrolled: 1-line block ×4, first 2 shown]
	s_and_saveexec_b32 s18, vcc_lo
	s_cbranch_execz .LBB300_3082
; %bb.3081:                             ;   in Loop: Header=BB300_1564 Depth=1
	v_cmp_lt_i32_e64 s4, v71, v30
	v_cndmask_b32_e64 v22, 0, v94, s4
	v_cmp_lt_i32_e64 s4, v100, v30
	v_cndmask_b32_e64 v23, 0, v88, s4
	v_cmp_lt_i32_e64 s4, v99, v30
	v_or_b32_e32 v93, v22, v23
	v_cndmask_b32_e64 v10, 0, v10, s4
	v_cmp_lt_i32_e64 s4, v98, v30
	v_cndmask_b32_e64 v2, 0, v2, s4
	v_cmp_lt_i32_e64 s4, v97, v30
	v_or_b32_e32 v89, v10, v2
	;; [unrolled: 5-line block ×3, first 2 shown]
	v_cndmask_b32_e64 v79, 0, v79, s4
	v_cmp_lt_i32_e64 s4, v86, v30
	v_cndmask_b32_e64 v9, 0, v9, s4
	v_or_b32_e32 v91, v79, v9
.LBB300_3082:                           ;   in Loop: Header=BB300_1564 Depth=1
	s_or_b32 exec_lo, exec_lo, s18
	;;#ASMSTART
	v_pk_mul_f16 v2, v83, v93;

	;;#ASMEND
	;;#ASMSTART
	v_pk_mul_f16 v9, v82, v89;

	;;#ASMEND
	;; [unrolled: 4-line block ×4, first 2 shown]
	;;#ASMSTART
	v_pk_add_f16 v2, v2, v9;

	;;#ASMEND
	;;#ASMSTART
	v_pk_add_f16 v2, v2, v10;

	;;#ASMEND
	;; [unrolled: 4-line block ×3, first 2 shown]
	v_and_b32_e32 v9, 0xffff, v2
	v_lshrrev_b32_e32 v2, 16, v2
	;;#ASMSTART
	v_cvt_f32_f16 v9, v9;
	;;#ASMEND
	;;#ASMSTART
	v_cvt_f32_f16 v10, v2;
	;;#ASMEND
	flat_load_dwordx2 v[7:8], v[7:8] offset:1792
	flat_load_dword v78, v[106:107]
	v_mov_b32_e32 v79, 0
	v_mov_b32_e32 v88, 0
	s_waitcnt vmcnt(1) lgkmcnt(1)
	v_cmp_ne_u16_sdwa s4, v7, v3 src0_sel:BYTE_0 src1_sel:DWORD
	s_and_saveexec_b32 s18, s4
	s_cbranch_execz .LBB300_3090
; %bb.3083:                             ;   in Loop: Header=BB300_1564 Depth=1
	v_cmp_ne_u16_sdwa s4, v7, v67 src0_sel:BYTE_0 src1_sel:DWORD
	v_mov_b32_e32 v88, 0x8000
	s_and_saveexec_b32 s19, s4
	s_cbranch_execz .LBB300_3089
; %bb.3084:                             ;   in Loop: Header=BB300_1564 Depth=1
	v_and_b32_e32 v89, 0x7f, v7
	v_mov_b32_e32 v88, 0x7c01
	s_mov_b32 s20, exec_lo
	v_cmpx_ne_u32_e32 0x7f, v89
	s_cbranch_execz .LBB300_3088
; %bb.3085:                             ;   in Loop: Header=BB300_1564 Depth=1
	v_and_b32_e32 v2, 7, v7
	v_lshrrev_b32_e32 v88, 3, v89
	s_mov_b32 s21, exec_lo
	v_cmpx_gt_u32_e32 8, v89
; %bb.3086:                             ;   in Loop: Header=BB300_1564 Depth=1
	v_ffbh_u32_e32 v2, v2
	v_min_u32_e32 v2, 32, v2
	v_subrev_nc_u32_e32 v22, 28, v2
	v_sub_nc_u32_e32 v88, 29, v2
	v_lshlrev_b64 v[22:23], v22, v[7:8]
	v_and_b32_e32 v2, 7, v22
; %bb.3087:                             ;   in Loop: Header=BB300_1564 Depth=1
	s_or_b32 exec_lo, exec_lo, s21
	v_lshlrev_b32_e32 v22, 8, v7
	v_lshl_add_u32 v23, v88, 10, 0x2000
	v_lshlrev_b32_e32 v2, 7, v2
	v_and_b32_e32 v22, 0x8000, v22
	v_and_b32_e32 v23, 0xfc00, v23
	v_or3_b32 v88, v22, v23, v2
.LBB300_3088:                           ;   in Loop: Header=BB300_1564 Depth=1
	s_or_b32 exec_lo, exec_lo, s20
.LBB300_3089:                           ;   in Loop: Header=BB300_1564 Depth=1
	s_or_b32 exec_lo, exec_lo, s19
.LBB300_3090:                           ;   in Loop: Header=BB300_1564 Depth=1
	s_or_b32 exec_lo, exec_lo, s18
	v_lshrrev_b16 v2, 8, v7
	s_mov_b32 s18, exec_lo
	v_cmpx_ne_u16_e32 0, v2
	s_cbranch_execz .LBB300_3098
; %bb.3091:                             ;   in Loop: Header=BB300_1564 Depth=1
	v_bfrev_b32_e32 v79, 1
	s_mov_b32 s19, exec_lo
	v_cmpx_ne_u16_e32 0x80, v2
	s_cbranch_execz .LBB300_3097
; %bb.3092:                             ;   in Loop: Header=BB300_1564 Depth=1
	v_and_b32_sdwa v90, v2, v68 dst_sel:DWORD dst_unused:UNUSED_PAD src0_sel:WORD_0 src1_sel:DWORD
	v_mov_b32_e32 v79, 0x7c010000
	s_mov_b32 s20, exec_lo
	v_cmpx_ne_u32_e32 0x7f, v90
	s_cbranch_execz .LBB300_3096
; %bb.3093:                             ;   in Loop: Header=BB300_1564 Depth=1
	v_and_b32_sdwa v79, v2, v69 dst_sel:DWORD dst_unused:UNUSED_PAD src0_sel:WORD_0 src1_sel:DWORD
	v_lshrrev_b32_e32 v89, 3, v90
	s_mov_b32 s21, exec_lo
	v_cmpx_gt_u32_e32 8, v90
; %bb.3094:                             ;   in Loop: Header=BB300_1564 Depth=1
	v_ffbh_u32_e32 v22, v79
	v_min_u32_e32 v79, 32, v22
	v_subrev_nc_u32_e32 v22, 28, v79
	v_sub_nc_u32_e32 v89, 29, v79
	v_lshlrev_b64 v[22:23], v22, v[2:3]
	v_and_b32_e32 v79, 7, v22
; %bb.3095:                             ;   in Loop: Header=BB300_1564 Depth=1
	s_or_b32 exec_lo, exec_lo, s21
	v_lshlrev_b32_sdwa v2, v70, v2 dst_sel:DWORD dst_unused:UNUSED_PAD src0_sel:DWORD src1_sel:WORD_0
	v_lshl_add_u32 v22, v89, 10, 0x2000
	v_and_or_b32 v2, 0x8000, v2, v22
	v_lshlrev_b32_e32 v22, 23, v79
	v_lshl_or_b32 v79, v2, 16, v22
.LBB300_3096:                           ;   in Loop: Header=BB300_1564 Depth=1
	s_or_b32 exec_lo, exec_lo, s20
.LBB300_3097:                           ;   in Loop: Header=BB300_1564 Depth=1
	s_or_b32 exec_lo, exec_lo, s19
.LBB300_3098:                           ;   in Loop: Header=BB300_1564 Depth=1
	s_or_b32 exec_lo, exec_lo, s18
	v_lshrrev_b32_e32 v2, 16, v7
	v_mov_b32_e32 v89, 0
	v_mov_b32_e32 v90, 0
	v_cmp_ne_u16_sdwa s4, v2, v3 src0_sel:BYTE_0 src1_sel:DWORD
	s_and_saveexec_b32 s18, s4
	s_cbranch_execz .LBB300_3106
; %bb.3099:                             ;   in Loop: Header=BB300_1564 Depth=1
	v_cmp_ne_u16_sdwa s4, v2, v67 src0_sel:BYTE_0 src1_sel:DWORD
	v_mov_b32_e32 v90, 0x8000
	s_and_saveexec_b32 s19, s4
	s_cbranch_execz .LBB300_3105
; %bb.3100:                             ;   in Loop: Header=BB300_1564 Depth=1
	v_bfe_u32 v92, v7, 16, 7
	v_mov_b32_e32 v90, 0x7c01
	s_mov_b32 s20, exec_lo
	v_cmpx_ne_u32_e32 0x7f, v92
	s_cbranch_execz .LBB300_3104
; %bb.3101:                             ;   in Loop: Header=BB300_1564 Depth=1
	v_and_b32_e32 v90, 7, v2
	v_lshrrev_b32_e32 v91, 3, v92
	s_mov_b32 s21, exec_lo
	v_cmpx_gt_u32_e32 8, v92
; %bb.3102:                             ;   in Loop: Header=BB300_1564 Depth=1
	v_ffbh_u32_e32 v22, v90
	v_min_u32_e32 v90, 32, v22
	v_subrev_nc_u32_e32 v22, 28, v90
	v_sub_nc_u32_e32 v91, 29, v90
	v_lshlrev_b64 v[22:23], v22, v[2:3]
	v_and_b32_e32 v90, 7, v22
; %bb.3103:                             ;   in Loop: Header=BB300_1564 Depth=1
	s_or_b32 exec_lo, exec_lo, s21
	v_lshlrev_b32_e32 v2, 8, v2
	v_lshl_add_u32 v22, v91, 10, 0x2000
	v_lshlrev_b32_e32 v23, 7, v90
	v_and_b32_e32 v2, 0x8000, v2
	v_and_b32_e32 v22, 0xfc00, v22
	v_or3_b32 v90, v2, v22, v23
.LBB300_3104:                           ;   in Loop: Header=BB300_1564 Depth=1
	s_or_b32 exec_lo, exec_lo, s20
.LBB300_3105:                           ;   in Loop: Header=BB300_1564 Depth=1
	s_or_b32 exec_lo, exec_lo, s19
.LBB300_3106:                           ;   in Loop: Header=BB300_1564 Depth=1
	s_or_b32 exec_lo, exec_lo, s18
	s_mov_b32 s18, exec_lo
	v_cmpx_lt_u32_e32 0xffffff, v7
	s_cbranch_execz .LBB300_3114
; %bb.3107:                             ;   in Loop: Header=BB300_1564 Depth=1
	v_lshrrev_b32_e32 v2, 24, v7
	v_bfrev_b32_e32 v89, 1
	s_mov_b32 s19, exec_lo
	v_cmpx_ne_u32_e32 0x80, v2
	s_cbranch_execz .LBB300_3113
; %bb.3108:                             ;   in Loop: Header=BB300_1564 Depth=1
	v_and_b32_e32 v92, 0x7f, v2
	v_mov_b32_e32 v89, 0x7c010000
	s_mov_b32 s20, exec_lo
	v_cmpx_ne_u32_e32 0x7f, v92
	s_cbranch_execz .LBB300_3112
; %bb.3109:                             ;   in Loop: Header=BB300_1564 Depth=1
	v_and_b32_e32 v89, 7, v2
	v_lshrrev_b32_e32 v91, 3, v92
	s_mov_b32 s21, exec_lo
	v_cmpx_gt_u32_e32 8, v92
; %bb.3110:                             ;   in Loop: Header=BB300_1564 Depth=1
	v_ffbh_u32_e32 v22, v89
	v_min_u32_e32 v89, 32, v22
	v_subrev_nc_u32_e32 v22, 28, v89
	v_sub_nc_u32_e32 v91, 29, v89
	v_lshlrev_b64 v[22:23], v22, v[2:3]
	v_and_b32_e32 v89, 7, v22
; %bb.3111:                             ;   in Loop: Header=BB300_1564 Depth=1
	s_or_b32 exec_lo, exec_lo, s21
	v_lshlrev_b32_e32 v2, 8, v2
	v_lshl_add_u32 v22, v91, 10, 0x2000
	v_and_or_b32 v2, 0x8000, v2, v22
	v_lshlrev_b32_e32 v22, 23, v89
	v_lshl_or_b32 v89, v2, 16, v22
.LBB300_3112:                           ;   in Loop: Header=BB300_1564 Depth=1
	s_or_b32 exec_lo, exec_lo, s20
.LBB300_3113:                           ;   in Loop: Header=BB300_1564 Depth=1
	s_or_b32 exec_lo, exec_lo, s19
.LBB300_3114:                           ;   in Loop: Header=BB300_1564 Depth=1
	s_or_b32 exec_lo, exec_lo, s18
	v_mov_b32_e32 v2, v8
	v_cmp_ne_u16_sdwa s4, v8, v3 src0_sel:BYTE_0 src1_sel:DWORD
	v_mov_b32_e32 v91, 0
	v_mov_b32_e32 v92, 0
	s_and_saveexec_b32 s18, s4
	s_cbranch_execz .LBB300_3122
; %bb.3115:                             ;   in Loop: Header=BB300_1564 Depth=1
	v_cmp_ne_u16_sdwa s4, v8, v67 src0_sel:BYTE_0 src1_sel:DWORD
	v_mov_b32_e32 v92, 0x8000
	s_and_saveexec_b32 s19, s4
	s_cbranch_execz .LBB300_3121
; %bb.3116:                             ;   in Loop: Header=BB300_1564 Depth=1
	v_and_b32_e32 v94, 0x7f, v8
	v_mov_b32_e32 v92, 0x7c01
	s_mov_b32 s20, exec_lo
	v_cmpx_ne_u32_e32 0x7f, v94
	s_cbranch_execz .LBB300_3120
; %bb.3117:                             ;   in Loop: Header=BB300_1564 Depth=1
	v_and_b32_e32 v92, 7, v8
	v_lshrrev_b32_e32 v93, 3, v94
	s_mov_b32 s21, exec_lo
	v_cmpx_gt_u32_e32 8, v94
; %bb.3118:                             ;   in Loop: Header=BB300_1564 Depth=1
	v_ffbh_u32_e32 v22, v92
	v_min_u32_e32 v92, 32, v22
	v_subrev_nc_u32_e32 v22, 28, v92
	v_sub_nc_u32_e32 v93, 29, v92
	v_lshlrev_b64 v[22:23], v22, v[2:3]
	v_and_b32_e32 v92, 7, v22
; %bb.3119:                             ;   in Loop: Header=BB300_1564 Depth=1
	s_or_b32 exec_lo, exec_lo, s21
	v_lshlrev_b32_e32 v22, 8, v8
	v_lshl_add_u32 v23, v93, 10, 0x2000
	v_lshlrev_b32_e32 v92, 7, v92
	v_and_b32_e32 v22, 0x8000, v22
	v_and_b32_e32 v23, 0xfc00, v23
	v_or3_b32 v92, v22, v23, v92
.LBB300_3120:                           ;   in Loop: Header=BB300_1564 Depth=1
	s_or_b32 exec_lo, exec_lo, s20
.LBB300_3121:                           ;   in Loop: Header=BB300_1564 Depth=1
	s_or_b32 exec_lo, exec_lo, s19
.LBB300_3122:                           ;   in Loop: Header=BB300_1564 Depth=1
	s_or_b32 exec_lo, exec_lo, s18
	v_lshrrev_b16 v2, 8, v2
	v_mov_b32_e32 v93, 0
	s_mov_b32 s18, exec_lo
	v_cmpx_ne_u16_e32 0, v2
	s_cbranch_execz .LBB300_3130
; %bb.3123:                             ;   in Loop: Header=BB300_1564 Depth=1
	v_bfrev_b32_e32 v93, 1
	s_mov_b32 s19, exec_lo
	v_cmpx_ne_u16_e32 0x80, v2
	s_cbranch_execz .LBB300_3129
; %bb.3124:                             ;   in Loop: Header=BB300_1564 Depth=1
	v_and_b32_sdwa v95, v2, v68 dst_sel:DWORD dst_unused:UNUSED_PAD src0_sel:WORD_0 src1_sel:DWORD
	v_mov_b32_e32 v93, 0x7c010000
	s_mov_b32 s20, exec_lo
	v_cmpx_ne_u32_e32 0x7f, v95
	s_cbranch_execz .LBB300_3128
; %bb.3125:                             ;   in Loop: Header=BB300_1564 Depth=1
	v_and_b32_sdwa v93, v2, v69 dst_sel:DWORD dst_unused:UNUSED_PAD src0_sel:WORD_0 src1_sel:DWORD
	v_lshrrev_b32_e32 v94, 3, v95
	s_mov_b32 s21, exec_lo
	v_cmpx_gt_u32_e32 8, v95
; %bb.3126:                             ;   in Loop: Header=BB300_1564 Depth=1
	v_ffbh_u32_e32 v22, v93
	v_min_u32_e32 v93, 32, v22
	v_subrev_nc_u32_e32 v22, 28, v93
	v_sub_nc_u32_e32 v94, 29, v93
	v_lshlrev_b64 v[22:23], v22, v[2:3]
	v_and_b32_e32 v93, 7, v22
; %bb.3127:                             ;   in Loop: Header=BB300_1564 Depth=1
	s_or_b32 exec_lo, exec_lo, s21
	v_lshlrev_b32_sdwa v2, v70, v2 dst_sel:DWORD dst_unused:UNUSED_PAD src0_sel:DWORD src1_sel:WORD_0
	v_lshl_add_u32 v22, v94, 10, 0x2000
	v_and_or_b32 v2, 0x8000, v2, v22
	v_lshlrev_b32_e32 v22, 23, v93
	v_lshl_or_b32 v93, v2, 16, v22
.LBB300_3128:                           ;   in Loop: Header=BB300_1564 Depth=1
	s_or_b32 exec_lo, exec_lo, s20
.LBB300_3129:                           ;   in Loop: Header=BB300_1564 Depth=1
	s_or_b32 exec_lo, exec_lo, s19
.LBB300_3130:                           ;   in Loop: Header=BB300_1564 Depth=1
	s_or_b32 exec_lo, exec_lo, s18
	v_lshrrev_b32_e32 v2, 16, v8
	v_cmp_ne_u16_sdwa s4, v2, v3 src0_sel:BYTE_0 src1_sel:DWORD
	s_and_saveexec_b32 s18, s4
	s_cbranch_execz .LBB300_3138
; %bb.3131:                             ;   in Loop: Header=BB300_1564 Depth=1
	v_cmp_ne_u16_sdwa s4, v2, v67 src0_sel:BYTE_0 src1_sel:DWORD
	v_mov_b32_e32 v91, 0x8000
	s_and_saveexec_b32 s19, s4
	s_cbranch_execz .LBB300_3137
; %bb.3132:                             ;   in Loop: Header=BB300_1564 Depth=1
	v_bfe_u32 v95, v8, 16, 7
	v_mov_b32_e32 v91, 0x7c01
	s_mov_b32 s20, exec_lo
	v_cmpx_ne_u32_e32 0x7f, v95
	s_cbranch_execz .LBB300_3136
; %bb.3133:                             ;   in Loop: Header=BB300_1564 Depth=1
	v_and_b32_e32 v91, 7, v2
	v_lshrrev_b32_e32 v94, 3, v95
	s_mov_b32 s21, exec_lo
	v_cmpx_gt_u32_e32 8, v95
; %bb.3134:                             ;   in Loop: Header=BB300_1564 Depth=1
	v_ffbh_u32_e32 v22, v91
	v_min_u32_e32 v91, 32, v22
	v_subrev_nc_u32_e32 v22, 28, v91
	v_sub_nc_u32_e32 v94, 29, v91
	v_lshlrev_b64 v[22:23], v22, v[2:3]
	v_and_b32_e32 v91, 7, v22
; %bb.3135:                             ;   in Loop: Header=BB300_1564 Depth=1
	s_or_b32 exec_lo, exec_lo, s21
	v_lshlrev_b32_e32 v2, 8, v2
	v_lshl_add_u32 v22, v94, 10, 0x2000
	v_lshlrev_b32_e32 v23, 7, v91
	v_and_b32_e32 v2, 0x8000, v2
	v_and_b32_e32 v22, 0xfc00, v22
	v_or3_b32 v91, v2, v22, v23
.LBB300_3136:                           ;   in Loop: Header=BB300_1564 Depth=1
	s_or_b32 exec_lo, exec_lo, s20
.LBB300_3137:                           ;   in Loop: Header=BB300_1564 Depth=1
	s_or_b32 exec_lo, exec_lo, s19
.LBB300_3138:                           ;   in Loop: Header=BB300_1564 Depth=1
	s_or_b32 exec_lo, exec_lo, s18
	v_cmp_lt_u64_e64 s4, s[6:7], v[7:8]
	v_mov_b32_e32 v7, 0
	s_and_saveexec_b32 s18, s4
	s_cbranch_execz .LBB300_3146
; %bb.3139:                             ;   in Loop: Header=BB300_1564 Depth=1
	v_lshrrev_b32_e32 v2, 24, v8
	v_bfrev_b32_e32 v7, 1
	s_mov_b32 s19, exec_lo
	v_cmpx_ne_u32_e32 0x80, v2
	s_cbranch_execz .LBB300_3145
; %bb.3140:                             ;   in Loop: Header=BB300_1564 Depth=1
	v_and_b32_e32 v94, 0x7f, v2
	v_mov_b32_e32 v7, 0x7c010000
	s_mov_b32 s20, exec_lo
	v_cmpx_ne_u32_e32 0x7f, v94
	s_cbranch_execz .LBB300_3144
; %bb.3141:                             ;   in Loop: Header=BB300_1564 Depth=1
	v_and_b32_e32 v7, 7, v2
	v_lshrrev_b32_e32 v8, 3, v94
	s_mov_b32 s21, exec_lo
	v_cmpx_gt_u32_e32 8, v94
; %bb.3142:                             ;   in Loop: Header=BB300_1564 Depth=1
	v_ffbh_u32_e32 v7, v7
	v_min_u32_e32 v22, 32, v7
	v_subrev_nc_u32_e32 v7, 28, v22
	v_lshlrev_b64 v[7:8], v7, v[2:3]
	v_sub_nc_u32_e32 v8, 29, v22
	v_and_b32_e32 v7, 7, v7
; %bb.3143:                             ;   in Loop: Header=BB300_1564 Depth=1
	s_or_b32 exec_lo, exec_lo, s21
	v_lshlrev_b32_e32 v2, 8, v2
	v_lshl_add_u32 v8, v8, 10, 0x2000
	v_lshlrev_b32_e32 v7, 23, v7
	v_and_or_b32 v2, 0x8000, v2, v8
	v_lshl_or_b32 v7, v2, 16, v7
.LBB300_3144:                           ;   in Loop: Header=BB300_1564 Depth=1
	s_or_b32 exec_lo, exec_lo, s20
.LBB300_3145:                           ;   in Loop: Header=BB300_1564 Depth=1
	s_or_b32 exec_lo, exec_lo, s19
.LBB300_3146:                           ;   in Loop: Header=BB300_1564 Depth=1
	s_or_b32 exec_lo, exec_lo, s18
	v_or_b32_e32 v2, v89, v90
	s_waitcnt vmcnt(0) lgkmcnt(0)
	v_fma_mixlo_f16 v8, v78, v89, 0 op_sel:[0,1,0] op_sel_hi:[0,1,0]
	v_or_b32_e32 v22, v79, v88
	v_fma_mixlo_f16 v23, v78, v79, 0 op_sel:[0,1,0] op_sel_hi:[0,1,0]
	v_or_b32_e32 v88, v93, v92
	v_fma_mixlo_f16 v2, v78, v2, 0 op_sel_hi:[0,1,0]
	v_or_b32_e32 v90, v7, v91
	v_lshlrev_b32_e32 v79, 16, v8
	v_lshlrev_b32_e32 v92, 16, v23
	v_fma_mixlo_f16 v8, v78, v22, 0 op_sel_hi:[0,1,0]
	v_and_b32_e32 v89, 0xffff, v2
	v_fma_mixlo_f16 v2, v78, v93, 0 op_sel:[0,1,0] op_sel_hi:[0,1,0]
	v_fma_mixlo_f16 v22, v78, v88, 0 op_sel_hi:[0,1,0]
	v_fma_mixlo_f16 v7, v78, v7, 0 op_sel:[0,1,0] op_sel_hi:[0,1,0]
	v_fma_mixlo_f16 v23, v78, v90, 0 op_sel_hi:[0,1,0]
	v_and_b32_e32 v94, 0xffff, v8
	v_lshlrev_b32_e32 v90, 16, v2
	v_and_b32_e32 v93, 0xffff, v22
	v_lshlrev_b32_e32 v88, 16, v7
	v_and_b32_e32 v91, 0xffff, v23
	v_or_b32_e32 v2, v79, v89
	v_or_b32_e32 v78, v92, v94
	;; [unrolled: 1-line block ×4, first 2 shown]
	s_and_saveexec_b32 s4, vcc_lo
	s_cbranch_execz .LBB300_1563
; %bb.3147:                             ;   in Loop: Header=BB300_1564 Depth=1
	v_cmp_lt_i32_e32 vcc_lo, v71, v30
	v_cndmask_b32_e32 v2, 0, v94, vcc_lo
	v_cmp_lt_i32_e32 vcc_lo, v100, v30
	v_cndmask_b32_e32 v7, 0, v92, vcc_lo
	v_cmp_lt_i32_e32 vcc_lo, v99, v30
	v_or_b32_e32 v78, v2, v7
	v_cndmask_b32_e32 v8, 0, v89, vcc_lo
	v_cmp_lt_i32_e32 vcc_lo, v98, v30
	v_cndmask_b32_e32 v22, 0, v79, vcc_lo
	v_cmp_lt_i32_e32 vcc_lo, v97, v30
	v_or_b32_e32 v2, v8, v22
	;; [unrolled: 5-line block ×3, first 2 shown]
	v_cndmask_b32_e32 v87, 0, v91, vcc_lo
	v_cmp_lt_i32_e32 vcc_lo, v86, v30
	v_cndmask_b32_e32 v86, 0, v88, vcc_lo
	v_or_b32_e32 v7, v87, v86
	s_branch .LBB300_1563
.LBB300_3148:
	s_or_b32 exec_lo, exec_lo, s15
	v_mov_b32_e32 v4, s16
	v_mov_b32_e32 v5, s17
.LBB300_3149:
	s_or_b32 exec_lo, exec_lo, s5
	v_lshlrev_b64 v[0:1], 2, v[4:5]
	s_getpc_b64 s[4:5]
	s_add_u32 s4, s4, llvm.amdgcn.dynlds.offset.table@rel32@lo+4
	s_addc_u32 s5, s5, llvm.amdgcn.dynlds.offset.table@rel32@hi+12
	s_barrier
	buffer_gl0_inv
	ds_bpermute_b32 v2, v14, v54
	v_add_co_u32 v0, vcc_lo, s4, v0
	v_add_co_ci_u32_e64 v1, null, s5, v1, vcc_lo
	ds_bpermute_b32 v3, v14, v52
	ds_bpermute_b32 v4, v14, v51
	;; [unrolled: 1-line block ×3, first 2 shown]
	global_load_dword v28, v[0:1], off
	ds_bpermute_b32 v0, v14, v53
	ds_bpermute_b32 v1, v14, v55
	;; [unrolled: 1-line block ×20, first 2 shown]
	s_waitcnt lgkmcnt(19)
	v_add_f32_e32 v0, v53, v0
	s_waitcnt lgkmcnt(18)
	v_add_f32_e32 v1, v55, v1
	v_add_f32_e32 v2, v54, v2
	;; [unrolled: 1-line block ×5, first 2 shown]
	s_waitcnt lgkmcnt(17)
	v_add_f32_e32 v6, v49, v6
	s_waitcnt lgkmcnt(16)
	v_add_f32_e32 v7, v48, v7
	;; [unrolled: 2-line block ×18, first 2 shown]
	ds_bpermute_b32 v12, v13, v0
	ds_bpermute_b32 v14, v13, v1
	;; [unrolled: 1-line block ×24, first 2 shown]
	v_and_b32_e32 v68, 28, v110
	v_lshrrev_b32_e32 v29, 2, v110
	v_mul_u32_u24_e32 v30, 0x300, v125
	v_and_b32_e32 v69, 0x3c3, v108
	s_waitcnt lgkmcnt(23)
	v_add_f32_e32 v23, v0, v12
	s_waitcnt lgkmcnt(22)
	v_add_f32_e32 v22, v1, v14
	;; [unrolled: 2-line block ×24, first 2 shown]
	s_mov_b32 s4, exec_lo
	s_waitcnt vmcnt(0)
	v_add_nc_u32_e32 v25, v28, v68
	v_cmpx_eq_u32_e32 64, v69
	s_cbranch_execz .LBB300_3151
; %bb.3150:
	v_add_nc_u32_e32 v24, v25, v30
	v_add_nc_u32_e32 v26, 0xfffffa00, v24
	;; [unrolled: 1-line block ×7, first 2 shown]
	ds_write_b32 v26, v23
	ds_write_b32 v27, v22
	;; [unrolled: 1-line block ×4, first 2 shown]
	v_add_nc_u32_e32 v26, 0xfffffac0, v24
	v_add_nc_u32_e32 v27, 0xfffffae0, v24
	v_add_nc_u32_e32 v31, 0xfffffb00, v24
	ds_write_b32 v33, v19
	ds_write_b32 v34, v18
	ds_write_b32 v26, v17
	ds_write_b32 v27, v16
	ds_write_b32 v31, v15
	v_add_nc_u32_e32 v26, 0xfffffb20, v24
	v_add_nc_u32_e32 v27, 0xfffffb40, v24
	v_add_nc_u32_e32 v31, 0xfffffb60, v24
	v_add_nc_u32_e32 v32, 0xfffffb80, v24
	v_add_nc_u32_e32 v33, 0xfffffba0, v24
	ds_write_b32 v26, v14
	ds_write_b32 v27, v13
	ds_write_b32 v31, v12
	ds_write_b32 v32, v11
	ds_write_b32 v33, v10
	v_add_nc_u32_e32 v26, 0xfffffbc0, v24
	v_add_nc_u32_e32 v27, 0xfffffbe0, v24
	;; [unrolled: 10-line block ×3, first 2 shown]
	v_add_nc_u32_e32 v31, 0xfffffca0, v24
	v_add_nc_u32_e32 v32, 0xfffffcc0, v24
	;; [unrolled: 1-line block ×3, first 2 shown]
	ds_write_b32 v26, v4
	ds_write_b32 v27, v3
	;; [unrolled: 1-line block ×5, first 2 shown]
.LBB300_3151:
	s_or_b32 exec_lo, exec_lo, s4
	v_and_b32_e32 v24, 3, v108
	v_lshlrev_b32_e32 v26, 2, v29
	s_mov_b32 s5, exec_lo
	s_waitcnt lgkmcnt(0)
	s_barrier
	v_cmp_eq_u32_e32 vcc_lo, 0, v24
	v_add3_u32 v24, v28, v30, v26
	buffer_gl0_inv
	v_cmpx_gt_u32_e32 64, v108
	s_cbranch_execz .LBB300_3178
; %bb.3152:
	s_and_saveexec_b32 s4, vcc_lo
	s_cbranch_execnz .LBB300_3210
; %bb.3153:
	s_or_b32 exec_lo, exec_lo, s4
	s_and_saveexec_b32 s4, vcc_lo
	s_cbranch_execnz .LBB300_3211
.LBB300_3154:
	s_or_b32 exec_lo, exec_lo, s4
	s_and_saveexec_b32 s4, vcc_lo
	s_cbranch_execnz .LBB300_3212
.LBB300_3155:
	s_or_b32 exec_lo, exec_lo, s4
	s_and_saveexec_b32 s4, vcc_lo
	s_cbranch_execnz .LBB300_3213
.LBB300_3156:
	s_or_b32 exec_lo, exec_lo, s4
	s_and_saveexec_b32 s4, vcc_lo
	s_cbranch_execnz .LBB300_3214
.LBB300_3157:
	s_or_b32 exec_lo, exec_lo, s4
	s_and_saveexec_b32 s4, vcc_lo
	s_cbranch_execnz .LBB300_3215
.LBB300_3158:
	s_or_b32 exec_lo, exec_lo, s4
	s_and_saveexec_b32 s4, vcc_lo
	s_cbranch_execnz .LBB300_3216
.LBB300_3159:
	s_or_b32 exec_lo, exec_lo, s4
	s_and_saveexec_b32 s4, vcc_lo
	s_cbranch_execnz .LBB300_3217
.LBB300_3160:
	s_or_b32 exec_lo, exec_lo, s4
	s_and_saveexec_b32 s4, vcc_lo
	s_cbranch_execnz .LBB300_3218
.LBB300_3161:
	s_or_b32 exec_lo, exec_lo, s4
	s_and_saveexec_b32 s4, vcc_lo
	s_cbranch_execnz .LBB300_3219
.LBB300_3162:
	s_or_b32 exec_lo, exec_lo, s4
	s_and_saveexec_b32 s4, vcc_lo
	s_cbranch_execnz .LBB300_3220
.LBB300_3163:
	s_or_b32 exec_lo, exec_lo, s4
	s_and_saveexec_b32 s4, vcc_lo
	s_cbranch_execnz .LBB300_3221
.LBB300_3164:
	s_or_b32 exec_lo, exec_lo, s4
	s_and_saveexec_b32 s4, vcc_lo
	s_cbranch_execnz .LBB300_3222
.LBB300_3165:
	s_or_b32 exec_lo, exec_lo, s4
	s_and_saveexec_b32 s4, vcc_lo
	s_cbranch_execnz .LBB300_3223
.LBB300_3166:
	s_or_b32 exec_lo, exec_lo, s4
	s_and_saveexec_b32 s4, vcc_lo
	s_cbranch_execnz .LBB300_3224
.LBB300_3167:
	s_or_b32 exec_lo, exec_lo, s4
	s_and_saveexec_b32 s4, vcc_lo
	s_cbranch_execnz .LBB300_3225
.LBB300_3168:
	s_or_b32 exec_lo, exec_lo, s4
	s_and_saveexec_b32 s4, vcc_lo
	s_cbranch_execnz .LBB300_3226
.LBB300_3169:
	s_or_b32 exec_lo, exec_lo, s4
	s_and_saveexec_b32 s4, vcc_lo
	s_cbranch_execnz .LBB300_3227
.LBB300_3170:
	s_or_b32 exec_lo, exec_lo, s4
	s_and_saveexec_b32 s4, vcc_lo
	s_cbranch_execnz .LBB300_3228
.LBB300_3171:
	s_or_b32 exec_lo, exec_lo, s4
	s_and_saveexec_b32 s4, vcc_lo
	s_cbranch_execnz .LBB300_3229
.LBB300_3172:
	s_or_b32 exec_lo, exec_lo, s4
	s_and_saveexec_b32 s4, vcc_lo
	s_cbranch_execnz .LBB300_3230
.LBB300_3173:
	s_or_b32 exec_lo, exec_lo, s4
	s_and_saveexec_b32 s4, vcc_lo
	s_cbranch_execnz .LBB300_3231
.LBB300_3174:
	s_or_b32 exec_lo, exec_lo, s4
	s_and_saveexec_b32 s4, vcc_lo
	s_cbranch_execnz .LBB300_3232
.LBB300_3175:
	s_or_b32 exec_lo, exec_lo, s4
	s_and_saveexec_b32 s4, vcc_lo
	s_cbranch_execz .LBB300_3177
.LBB300_3176:
	ds_read_b32 v26, v24 offset:736
	s_waitcnt lgkmcnt(0)
	v_add_f32_e32 v0, v26, v0
.LBB300_3177:
	s_or_b32 exec_lo, exec_lo, s4
.LBB300_3178:
	s_or_b32 exec_lo, exec_lo, s5
	v_and_b32_e32 v26, 0x3e3, v108
	s_mov_b32 s5, exec_lo
	s_barrier
	buffer_gl0_inv
	v_cmpx_eq_u32_e32 32, v26
	s_cbranch_execz .LBB300_3180
; %bb.3179:
	ds_write2_b32 v25, v23, v22 offset1:8
	ds_write2_b32 v25, v21, v20 offset0:16 offset1:24
	ds_write2_b32 v25, v19, v18 offset0:32 offset1:40
	ds_write2_b32 v25, v17, v16 offset0:48 offset1:56
	ds_write2_b32 v25, v15, v14 offset0:64 offset1:72
	ds_write2_b32 v25, v13, v12 offset0:80 offset1:88
	ds_write2_b32 v25, v11, v10 offset0:96 offset1:104
	ds_write2_b32 v25, v9, v8 offset0:112 offset1:120
	ds_write2_b32 v25, v7, v6 offset0:128 offset1:136
	ds_write2_b32 v25, v5, v4 offset0:144 offset1:152
	ds_write2_b32 v25, v3, v2 offset0:160 offset1:168
	ds_write2_b32 v25, v1, v0 offset0:176 offset1:184
.LBB300_3180:
	s_or_b32 exec_lo, exec_lo, s5
	s_mov_b32 s5, exec_lo
	s_waitcnt lgkmcnt(0)
	s_barrier
	buffer_gl0_inv
	v_cmpx_gt_u32_e32 32, v108
	s_cbranch_execz .LBB300_3207
; %bb.3181:
	s_and_saveexec_b32 s4, vcc_lo
	s_cbranch_execnz .LBB300_3233
; %bb.3182:
	s_or_b32 exec_lo, exec_lo, s4
	s_and_saveexec_b32 s4, vcc_lo
	s_cbranch_execnz .LBB300_3234
.LBB300_3183:
	s_or_b32 exec_lo, exec_lo, s4
	s_and_saveexec_b32 s4, vcc_lo
	s_cbranch_execnz .LBB300_3235
.LBB300_3184:
	s_or_b32 exec_lo, exec_lo, s4
	s_and_saveexec_b32 s4, vcc_lo
	s_cbranch_execnz .LBB300_3236
.LBB300_3185:
	s_or_b32 exec_lo, exec_lo, s4
	s_and_saveexec_b32 s4, vcc_lo
	s_cbranch_execnz .LBB300_3237
.LBB300_3186:
	s_or_b32 exec_lo, exec_lo, s4
	s_and_saveexec_b32 s4, vcc_lo
	s_cbranch_execnz .LBB300_3238
.LBB300_3187:
	s_or_b32 exec_lo, exec_lo, s4
	s_and_saveexec_b32 s4, vcc_lo
	s_cbranch_execnz .LBB300_3239
.LBB300_3188:
	s_or_b32 exec_lo, exec_lo, s4
	s_and_saveexec_b32 s4, vcc_lo
	s_cbranch_execnz .LBB300_3240
.LBB300_3189:
	s_or_b32 exec_lo, exec_lo, s4
	s_and_saveexec_b32 s4, vcc_lo
	s_cbranch_execnz .LBB300_3241
.LBB300_3190:
	s_or_b32 exec_lo, exec_lo, s4
	s_and_saveexec_b32 s4, vcc_lo
	s_cbranch_execnz .LBB300_3242
.LBB300_3191:
	s_or_b32 exec_lo, exec_lo, s4
	s_and_saveexec_b32 s4, vcc_lo
	s_cbranch_execnz .LBB300_3243
.LBB300_3192:
	s_or_b32 exec_lo, exec_lo, s4
	s_and_saveexec_b32 s4, vcc_lo
	s_cbranch_execnz .LBB300_3244
.LBB300_3193:
	s_or_b32 exec_lo, exec_lo, s4
	s_and_saveexec_b32 s4, vcc_lo
	s_cbranch_execnz .LBB300_3245
.LBB300_3194:
	s_or_b32 exec_lo, exec_lo, s4
	s_and_saveexec_b32 s4, vcc_lo
	s_cbranch_execnz .LBB300_3246
.LBB300_3195:
	s_or_b32 exec_lo, exec_lo, s4
	s_and_saveexec_b32 s4, vcc_lo
	s_cbranch_execnz .LBB300_3247
.LBB300_3196:
	s_or_b32 exec_lo, exec_lo, s4
	s_and_saveexec_b32 s4, vcc_lo
	s_cbranch_execnz .LBB300_3248
.LBB300_3197:
	s_or_b32 exec_lo, exec_lo, s4
	s_and_saveexec_b32 s4, vcc_lo
	s_cbranch_execnz .LBB300_3249
.LBB300_3198:
	s_or_b32 exec_lo, exec_lo, s4
	s_and_saveexec_b32 s4, vcc_lo
	s_cbranch_execnz .LBB300_3250
.LBB300_3199:
	s_or_b32 exec_lo, exec_lo, s4
	s_and_saveexec_b32 s4, vcc_lo
	s_cbranch_execnz .LBB300_3251
.LBB300_3200:
	s_or_b32 exec_lo, exec_lo, s4
	s_and_saveexec_b32 s4, vcc_lo
	s_cbranch_execnz .LBB300_3252
.LBB300_3201:
	s_or_b32 exec_lo, exec_lo, s4
	s_and_saveexec_b32 s4, vcc_lo
	s_cbranch_execnz .LBB300_3253
.LBB300_3202:
	s_or_b32 exec_lo, exec_lo, s4
	s_and_saveexec_b32 s4, vcc_lo
	s_cbranch_execnz .LBB300_3254
.LBB300_3203:
	s_or_b32 exec_lo, exec_lo, s4
	s_and_saveexec_b32 s4, vcc_lo
	s_cbranch_execnz .LBB300_3255
.LBB300_3204:
	s_or_b32 exec_lo, exec_lo, s4
	s_and_saveexec_b32 s4, vcc_lo
	s_cbranch_execz .LBB300_3206
.LBB300_3205:
	ds_read_b32 v24, v24 offset:736
	s_waitcnt lgkmcnt(0)
	v_add_f32_e32 v0, v24, v0
.LBB300_3206:
	s_or_b32 exec_lo, exec_lo, s4
.LBB300_3207:
	s_or_b32 exec_lo, exec_lo, s5
	s_mov_b32 s4, exec_lo
	s_barrier
	buffer_gl0_inv
	v_cmpx_eq_u32_e32 0, v26
	s_cbranch_execz .LBB300_3209
; %bb.3208:
	s_and_b32 s5, 0xffff, s9
	s_mul_i32 s6, s14, 0xc0
	s_cmp_lg_u32 s5, 0
	v_lshrrev_b32_e32 v24, 1, v108
	s_cselect_b32 s5, -1, 0
	;;#ASMSTART
	v_cvt_f16_f32 v23, v23;

	;;#ASMEND
	s_cmp_lg_u32 s5, 0
	s_addc_u32 s5, s8, 0
	s_mul_i32 s7, s5, s10
	s_mul_i32 s10, s12, s5
	;; [unrolled: 1-line block ×3, first 2 shown]
	s_ashr_i32 s11, s10, 31
	s_mulk_i32 s8, 0xc0
	s_ashr_i32 s7, s6, 31
	s_ashr_i32 s9, s8, 31
	s_lshl_b64 s[6:7], s[6:7], 1
	s_lshl_b64 s[8:9], s[8:9], 1
	v_add_co_u32 v25, vcc_lo, v105, s8
	v_add_co_ci_u32_e64 v26, null, s9, v104, vcc_lo
	s_lshl_b64 s[8:9], s[10:11], 1
	v_add_co_u32 v25, vcc_lo, v25, s8
	v_add_co_ci_u32_e64 v26, null, s9, v26, vcc_lo
	v_add_co_u32 v25, vcc_lo, v25, s6
	v_add_co_ci_u32_e64 v26, null, s7, v26, vcc_lo
	;; [unrolled: 2-line block ×3, first 2 shown]
	flat_store_short v[24:25], v23
	;;#ASMSTART
	v_cvt_f16_f32 v22, v22;

	;;#ASMEND
	flat_store_short v[24:25], v22 offset:16
	;;#ASMSTART
	v_cvt_f16_f32 v21, v21;

	;;#ASMEND
	flat_store_short v[24:25], v21 offset:32
	;; [unrolled: 5-line block ×23, first 2 shown]
.LBB300_3209:
	s_or_b32 exec_lo, exec_lo, s4
	s_clause 0x2f
	buffer_load_dword v127, off, s[0:3], s32
	buffer_load_dword v126, off, s[0:3], s32 offset:4
	buffer_load_dword v125, off, s[0:3], s32 offset:8
	;; [unrolled: 1-line block ×47, first 2 shown]
	s_waitcnt vmcnt(0) lgkmcnt(0)
	s_setpc_b64 s[30:31]
.LBB300_3210:
	ds_read_b32 v26, v24
	s_waitcnt lgkmcnt(0)
	v_add_f32_e32 v23, v26, v23
	s_or_b32 exec_lo, exec_lo, s4
	s_and_saveexec_b32 s4, vcc_lo
	s_cbranch_execz .LBB300_3154
.LBB300_3211:
	ds_read_b32 v26, v24 offset:32
	s_waitcnt lgkmcnt(0)
	v_add_f32_e32 v22, v26, v22
	s_or_b32 exec_lo, exec_lo, s4
	s_and_saveexec_b32 s4, vcc_lo
	s_cbranch_execz .LBB300_3155
.LBB300_3212:
	ds_read_b32 v26, v24 offset:64
	s_waitcnt lgkmcnt(0)
	v_add_f32_e32 v21, v26, v21
	s_or_b32 exec_lo, exec_lo, s4
	s_and_saveexec_b32 s4, vcc_lo
	s_cbranch_execz .LBB300_3156
.LBB300_3213:
	ds_read_b32 v26, v24 offset:96
	s_waitcnt lgkmcnt(0)
	v_add_f32_e32 v20, v26, v20
	s_or_b32 exec_lo, exec_lo, s4
	s_and_saveexec_b32 s4, vcc_lo
	s_cbranch_execz .LBB300_3157
.LBB300_3214:
	ds_read_b32 v26, v24 offset:128
	s_waitcnt lgkmcnt(0)
	v_add_f32_e32 v19, v26, v19
	s_or_b32 exec_lo, exec_lo, s4
	s_and_saveexec_b32 s4, vcc_lo
	s_cbranch_execz .LBB300_3158
.LBB300_3215:
	ds_read_b32 v26, v24 offset:160
	s_waitcnt lgkmcnt(0)
	v_add_f32_e32 v18, v26, v18
	s_or_b32 exec_lo, exec_lo, s4
	s_and_saveexec_b32 s4, vcc_lo
	s_cbranch_execz .LBB300_3159
.LBB300_3216:
	ds_read_b32 v26, v24 offset:192
	s_waitcnt lgkmcnt(0)
	v_add_f32_e32 v17, v26, v17
	s_or_b32 exec_lo, exec_lo, s4
	s_and_saveexec_b32 s4, vcc_lo
	s_cbranch_execz .LBB300_3160
.LBB300_3217:
	ds_read_b32 v26, v24 offset:224
	s_waitcnt lgkmcnt(0)
	v_add_f32_e32 v16, v26, v16
	s_or_b32 exec_lo, exec_lo, s4
	s_and_saveexec_b32 s4, vcc_lo
	s_cbranch_execz .LBB300_3161
.LBB300_3218:
	ds_read_b32 v26, v24 offset:256
	s_waitcnt lgkmcnt(0)
	v_add_f32_e32 v15, v26, v15
	s_or_b32 exec_lo, exec_lo, s4
	s_and_saveexec_b32 s4, vcc_lo
	s_cbranch_execz .LBB300_3162
.LBB300_3219:
	ds_read_b32 v26, v24 offset:288
	s_waitcnt lgkmcnt(0)
	v_add_f32_e32 v14, v26, v14
	s_or_b32 exec_lo, exec_lo, s4
	s_and_saveexec_b32 s4, vcc_lo
	s_cbranch_execz .LBB300_3163
.LBB300_3220:
	ds_read_b32 v26, v24 offset:320
	s_waitcnt lgkmcnt(0)
	v_add_f32_e32 v13, v26, v13
	s_or_b32 exec_lo, exec_lo, s4
	s_and_saveexec_b32 s4, vcc_lo
	s_cbranch_execz .LBB300_3164
.LBB300_3221:
	ds_read_b32 v26, v24 offset:352
	s_waitcnt lgkmcnt(0)
	v_add_f32_e32 v12, v26, v12
	s_or_b32 exec_lo, exec_lo, s4
	s_and_saveexec_b32 s4, vcc_lo
	s_cbranch_execz .LBB300_3165
.LBB300_3222:
	ds_read_b32 v26, v24 offset:384
	s_waitcnt lgkmcnt(0)
	v_add_f32_e32 v11, v26, v11
	s_or_b32 exec_lo, exec_lo, s4
	s_and_saveexec_b32 s4, vcc_lo
	s_cbranch_execz .LBB300_3166
.LBB300_3223:
	ds_read_b32 v26, v24 offset:416
	s_waitcnt lgkmcnt(0)
	v_add_f32_e32 v10, v26, v10
	s_or_b32 exec_lo, exec_lo, s4
	s_and_saveexec_b32 s4, vcc_lo
	s_cbranch_execz .LBB300_3167
.LBB300_3224:
	ds_read_b32 v26, v24 offset:448
	s_waitcnt lgkmcnt(0)
	v_add_f32_e32 v9, v26, v9
	s_or_b32 exec_lo, exec_lo, s4
	s_and_saveexec_b32 s4, vcc_lo
	s_cbranch_execz .LBB300_3168
.LBB300_3225:
	ds_read_b32 v26, v24 offset:480
	s_waitcnt lgkmcnt(0)
	v_add_f32_e32 v8, v26, v8
	s_or_b32 exec_lo, exec_lo, s4
	s_and_saveexec_b32 s4, vcc_lo
	s_cbranch_execz .LBB300_3169
.LBB300_3226:
	ds_read_b32 v26, v24 offset:512
	s_waitcnt lgkmcnt(0)
	v_add_f32_e32 v7, v26, v7
	s_or_b32 exec_lo, exec_lo, s4
	s_and_saveexec_b32 s4, vcc_lo
	s_cbranch_execz .LBB300_3170
.LBB300_3227:
	ds_read_b32 v26, v24 offset:544
	s_waitcnt lgkmcnt(0)
	v_add_f32_e32 v6, v26, v6
	s_or_b32 exec_lo, exec_lo, s4
	s_and_saveexec_b32 s4, vcc_lo
	s_cbranch_execz .LBB300_3171
.LBB300_3228:
	ds_read_b32 v26, v24 offset:576
	s_waitcnt lgkmcnt(0)
	v_add_f32_e32 v5, v26, v5
	s_or_b32 exec_lo, exec_lo, s4
	s_and_saveexec_b32 s4, vcc_lo
	s_cbranch_execz .LBB300_3172
.LBB300_3229:
	ds_read_b32 v26, v24 offset:608
	s_waitcnt lgkmcnt(0)
	v_add_f32_e32 v4, v26, v4
	s_or_b32 exec_lo, exec_lo, s4
	s_and_saveexec_b32 s4, vcc_lo
	s_cbranch_execz .LBB300_3173
.LBB300_3230:
	ds_read_b32 v26, v24 offset:640
	s_waitcnt lgkmcnt(0)
	v_add_f32_e32 v3, v26, v3
	s_or_b32 exec_lo, exec_lo, s4
	s_and_saveexec_b32 s4, vcc_lo
	s_cbranch_execz .LBB300_3174
.LBB300_3231:
	ds_read_b32 v26, v24 offset:672
	s_waitcnt lgkmcnt(0)
	v_add_f32_e32 v2, v26, v2
	s_or_b32 exec_lo, exec_lo, s4
	s_and_saveexec_b32 s4, vcc_lo
	s_cbranch_execz .LBB300_3175
.LBB300_3232:
	ds_read_b32 v26, v24 offset:704
	s_waitcnt lgkmcnt(0)
	v_add_f32_e32 v1, v26, v1
	s_or_b32 exec_lo, exec_lo, s4
	s_and_saveexec_b32 s4, vcc_lo
	s_cbranch_execnz .LBB300_3176
	s_branch .LBB300_3177
.LBB300_3233:
	ds_read_b32 v25, v24
	s_waitcnt lgkmcnt(0)
	v_add_f32_e32 v23, v25, v23
	s_or_b32 exec_lo, exec_lo, s4
	s_and_saveexec_b32 s4, vcc_lo
	s_cbranch_execz .LBB300_3183
.LBB300_3234:
	ds_read_b32 v25, v24 offset:32
	s_waitcnt lgkmcnt(0)
	v_add_f32_e32 v22, v25, v22
	s_or_b32 exec_lo, exec_lo, s4
	s_and_saveexec_b32 s4, vcc_lo
	s_cbranch_execz .LBB300_3184
.LBB300_3235:
	ds_read_b32 v25, v24 offset:64
	s_waitcnt lgkmcnt(0)
	v_add_f32_e32 v21, v25, v21
	s_or_b32 exec_lo, exec_lo, s4
	s_and_saveexec_b32 s4, vcc_lo
	s_cbranch_execz .LBB300_3185
.LBB300_3236:
	ds_read_b32 v25, v24 offset:96
	s_waitcnt lgkmcnt(0)
	v_add_f32_e32 v20, v25, v20
	s_or_b32 exec_lo, exec_lo, s4
	s_and_saveexec_b32 s4, vcc_lo
	s_cbranch_execz .LBB300_3186
.LBB300_3237:
	ds_read_b32 v25, v24 offset:128
	s_waitcnt lgkmcnt(0)
	v_add_f32_e32 v19, v25, v19
	s_or_b32 exec_lo, exec_lo, s4
	s_and_saveexec_b32 s4, vcc_lo
	s_cbranch_execz .LBB300_3187
.LBB300_3238:
	ds_read_b32 v25, v24 offset:160
	s_waitcnt lgkmcnt(0)
	v_add_f32_e32 v18, v25, v18
	s_or_b32 exec_lo, exec_lo, s4
	s_and_saveexec_b32 s4, vcc_lo
	s_cbranch_execz .LBB300_3188
.LBB300_3239:
	ds_read_b32 v25, v24 offset:192
	s_waitcnt lgkmcnt(0)
	v_add_f32_e32 v17, v25, v17
	s_or_b32 exec_lo, exec_lo, s4
	s_and_saveexec_b32 s4, vcc_lo
	s_cbranch_execz .LBB300_3189
.LBB300_3240:
	ds_read_b32 v25, v24 offset:224
	s_waitcnt lgkmcnt(0)
	v_add_f32_e32 v16, v25, v16
	s_or_b32 exec_lo, exec_lo, s4
	s_and_saveexec_b32 s4, vcc_lo
	s_cbranch_execz .LBB300_3190
.LBB300_3241:
	ds_read_b32 v25, v24 offset:256
	s_waitcnt lgkmcnt(0)
	v_add_f32_e32 v15, v25, v15
	s_or_b32 exec_lo, exec_lo, s4
	s_and_saveexec_b32 s4, vcc_lo
	s_cbranch_execz .LBB300_3191
.LBB300_3242:
	ds_read_b32 v25, v24 offset:288
	s_waitcnt lgkmcnt(0)
	v_add_f32_e32 v14, v25, v14
	s_or_b32 exec_lo, exec_lo, s4
	s_and_saveexec_b32 s4, vcc_lo
	s_cbranch_execz .LBB300_3192
.LBB300_3243:
	ds_read_b32 v25, v24 offset:320
	s_waitcnt lgkmcnt(0)
	v_add_f32_e32 v13, v25, v13
	s_or_b32 exec_lo, exec_lo, s4
	s_and_saveexec_b32 s4, vcc_lo
	s_cbranch_execz .LBB300_3193
.LBB300_3244:
	ds_read_b32 v25, v24 offset:352
	s_waitcnt lgkmcnt(0)
	v_add_f32_e32 v12, v25, v12
	s_or_b32 exec_lo, exec_lo, s4
	s_and_saveexec_b32 s4, vcc_lo
	s_cbranch_execz .LBB300_3194
.LBB300_3245:
	ds_read_b32 v25, v24 offset:384
	s_waitcnt lgkmcnt(0)
	v_add_f32_e32 v11, v25, v11
	s_or_b32 exec_lo, exec_lo, s4
	s_and_saveexec_b32 s4, vcc_lo
	s_cbranch_execz .LBB300_3195
.LBB300_3246:
	ds_read_b32 v25, v24 offset:416
	s_waitcnt lgkmcnt(0)
	v_add_f32_e32 v10, v25, v10
	s_or_b32 exec_lo, exec_lo, s4
	s_and_saveexec_b32 s4, vcc_lo
	s_cbranch_execz .LBB300_3196
.LBB300_3247:
	ds_read_b32 v25, v24 offset:448
	s_waitcnt lgkmcnt(0)
	v_add_f32_e32 v9, v25, v9
	s_or_b32 exec_lo, exec_lo, s4
	s_and_saveexec_b32 s4, vcc_lo
	s_cbranch_execz .LBB300_3197
.LBB300_3248:
	ds_read_b32 v25, v24 offset:480
	s_waitcnt lgkmcnt(0)
	v_add_f32_e32 v8, v25, v8
	s_or_b32 exec_lo, exec_lo, s4
	s_and_saveexec_b32 s4, vcc_lo
	s_cbranch_execz .LBB300_3198
.LBB300_3249:
	ds_read_b32 v25, v24 offset:512
	s_waitcnt lgkmcnt(0)
	v_add_f32_e32 v7, v25, v7
	s_or_b32 exec_lo, exec_lo, s4
	s_and_saveexec_b32 s4, vcc_lo
	s_cbranch_execz .LBB300_3199
.LBB300_3250:
	ds_read_b32 v25, v24 offset:544
	s_waitcnt lgkmcnt(0)
	v_add_f32_e32 v6, v25, v6
	s_or_b32 exec_lo, exec_lo, s4
	s_and_saveexec_b32 s4, vcc_lo
	s_cbranch_execz .LBB300_3200
.LBB300_3251:
	ds_read_b32 v25, v24 offset:576
	s_waitcnt lgkmcnt(0)
	v_add_f32_e32 v5, v25, v5
	s_or_b32 exec_lo, exec_lo, s4
	s_and_saveexec_b32 s4, vcc_lo
	s_cbranch_execz .LBB300_3201
.LBB300_3252:
	ds_read_b32 v25, v24 offset:608
	s_waitcnt lgkmcnt(0)
	v_add_f32_e32 v4, v25, v4
	s_or_b32 exec_lo, exec_lo, s4
	s_and_saveexec_b32 s4, vcc_lo
	s_cbranch_execz .LBB300_3202
.LBB300_3253:
	ds_read_b32 v25, v24 offset:640
	s_waitcnt lgkmcnt(0)
	v_add_f32_e32 v3, v25, v3
	s_or_b32 exec_lo, exec_lo, s4
	s_and_saveexec_b32 s4, vcc_lo
	s_cbranch_execz .LBB300_3203
.LBB300_3254:
	ds_read_b32 v25, v24 offset:672
	s_waitcnt lgkmcnt(0)
	v_add_f32_e32 v2, v25, v2
	s_or_b32 exec_lo, exec_lo, s4
	s_and_saveexec_b32 s4, vcc_lo
	s_cbranch_execz .LBB300_3204
.LBB300_3255:
	ds_read_b32 v25, v24 offset:704
	s_waitcnt lgkmcnt(0)
	v_add_f32_e32 v1, v25, v1
	s_or_b32 exec_lo, exec_lo, s4
	s_and_saveexec_b32 s4, vcc_lo
	s_cbranch_execnz .LBB300_3205
	s_branch .LBB300_3206
.Lfunc_end300:
	.size	_ZN4vllm22paged_attention_kernelIthLi192ELi32ELi128ELNS_18Fp8KVCacheDataTypeE1ELb0ELi0EEEvPfS2_PT_PKS3_PKT0_S9_ifPKiSB_iPKfiiiSD_SD_iiiii, .Lfunc_end300-_ZN4vllm22paged_attention_kernelIthLi192ELi32ELi128ELNS_18Fp8KVCacheDataTypeE1ELb0ELi0EEEvPfS2_PT_PKS3_PKT0_S9_ifPKiSB_iPKfiiiSD_SD_iiiii
                                        ; -- End function
	.set .L_ZN4vllm22paged_attention_kernelIthLi192ELi32ELi128ELNS_18Fp8KVCacheDataTypeE1ELb0ELi0EEEvPfS2_PT_PKS3_PKT0_S9_ifPKiSB_iPKfiiiSD_SD_iiiii.num_vgpr, 128
	.set .L_ZN4vllm22paged_attention_kernelIthLi192ELi32ELi128ELNS_18Fp8KVCacheDataTypeE1ELb0ELi0EEEvPfS2_PT_PKS3_PKT0_S9_ifPKiSB_iPKfiiiSD_SD_iiiii.num_agpr, 0
	.set .L_ZN4vllm22paged_attention_kernelIthLi192ELi32ELi128ELNS_18Fp8KVCacheDataTypeE1ELb0ELi0EEEvPfS2_PT_PKS3_PKT0_S9_ifPKiSB_iPKfiiiSD_SD_iiiii.numbered_sgpr, 33
	.set .L_ZN4vllm22paged_attention_kernelIthLi192ELi32ELi128ELNS_18Fp8KVCacheDataTypeE1ELb0ELi0EEEvPfS2_PT_PKS3_PKT0_S9_ifPKiSB_iPKfiiiSD_SD_iiiii.num_named_barrier, 0
	.set .L_ZN4vllm22paged_attention_kernelIthLi192ELi32ELi128ELNS_18Fp8KVCacheDataTypeE1ELb0ELi0EEEvPfS2_PT_PKS3_PKT0_S9_ifPKiSB_iPKfiiiSD_SD_iiiii.private_seg_size, 928
	.set .L_ZN4vllm22paged_attention_kernelIthLi192ELi32ELi128ELNS_18Fp8KVCacheDataTypeE1ELb0ELi0EEEvPfS2_PT_PKS3_PKT0_S9_ifPKiSB_iPKfiiiSD_SD_iiiii.uses_vcc, 1
	.set .L_ZN4vllm22paged_attention_kernelIthLi192ELi32ELi128ELNS_18Fp8KVCacheDataTypeE1ELb0ELi0EEEvPfS2_PT_PKS3_PKT0_S9_ifPKiSB_iPKfiiiSD_SD_iiiii.uses_flat_scratch, 0
	.set .L_ZN4vllm22paged_attention_kernelIthLi192ELi32ELi128ELNS_18Fp8KVCacheDataTypeE1ELb0ELi0EEEvPfS2_PT_PKS3_PKT0_S9_ifPKiSB_iPKfiiiSD_SD_iiiii.has_dyn_sized_stack, 0
	.set .L_ZN4vllm22paged_attention_kernelIthLi192ELi32ELi128ELNS_18Fp8KVCacheDataTypeE1ELb0ELi0EEEvPfS2_PT_PKS3_PKT0_S9_ifPKiSB_iPKfiiiSD_SD_iiiii.has_recursion, 0
	.set .L_ZN4vllm22paged_attention_kernelIthLi192ELi32ELi128ELNS_18Fp8KVCacheDataTypeE1ELb0ELi0EEEvPfS2_PT_PKS3_PKT0_S9_ifPKiSB_iPKfiiiSD_SD_iiiii.has_indirect_call, 0
	.section	.AMDGPU.csdata,"",@progbits
; Function info:
; codeLenInByte = 110412
; TotalNumSgprs: 35
; NumVgprs: 128
; ScratchSize: 928
; MemoryBound: 0
	.section	.text._ZN4vllm25paged_attention_v1_kernelIthLi192ELi32ELi128ELNS_18Fp8KVCacheDataTypeE1ELb0EEEvPT_PKS2_PKT0_S8_ifPKiSA_iPKfiiiSC_SC_iiiii,"axG",@progbits,_ZN4vllm25paged_attention_v1_kernelIthLi192ELi32ELi128ELNS_18Fp8KVCacheDataTypeE1ELb0EEEvPT_PKS2_PKT0_S8_ifPKiSA_iPKfiiiSC_SC_iiiii,comdat
	.protected	_ZN4vllm25paged_attention_v1_kernelIthLi192ELi32ELi128ELNS_18Fp8KVCacheDataTypeE1ELb0EEEvPT_PKS2_PKT0_S8_ifPKiSA_iPKfiiiSC_SC_iiiii ; -- Begin function _ZN4vllm25paged_attention_v1_kernelIthLi192ELi32ELi128ELNS_18Fp8KVCacheDataTypeE1ELb0EEEvPT_PKS2_PKT0_S8_ifPKiSA_iPKfiiiSC_SC_iiiii
	.globl	_ZN4vllm25paged_attention_v1_kernelIthLi192ELi32ELi128ELNS_18Fp8KVCacheDataTypeE1ELb0EEEvPT_PKS2_PKT0_S8_ifPKiSA_iPKfiiiSC_SC_iiiii
	.p2align	8
	.type	_ZN4vllm25paged_attention_v1_kernelIthLi192ELi32ELi128ELNS_18Fp8KVCacheDataTypeE1ELb0EEEvPT_PKS2_PKT0_S8_ifPKiSA_iPKfiiiSC_SC_iiiii,@function
_ZN4vllm25paged_attention_v1_kernelIthLi192ELi32ELi128ELNS_18Fp8KVCacheDataTypeE1ELb0EEEvPT_PKS2_PKT0_S8_ifPKiSA_iPKfiiiSC_SC_iiiii: ; @_ZN4vllm25paged_attention_v1_kernelIthLi192ELi32ELi128ELNS_18Fp8KVCacheDataTypeE1ELb0EEEvPT_PKS2_PKT0_S8_ifPKiSA_iPKfiiiSC_SC_iiiii
; %bb.0:
	s_clause 0x5
	s_load_dwordx8 s[16:23], s[4:5], 0x0
	s_load_dwordx4 s[36:39], s[4:5], 0x20
	s_load_dwordx2 s[10:11], s[4:5], 0x30
	s_load_dword s13, s[4:5], 0x38
	s_load_dwordx2 s[34:35], s[4:5], 0x40
	s_load_dwordx8 s[24:31], s[4:5], 0x48
	s_add_u32 s0, s0, s9
	s_addc_u32 s1, s1, 0
	v_mov_b32_e32 v31, v0
	s_mov_b32 s14, s8
	s_add_u32 s8, s4, 0x80
	s_addc_u32 s9, s5, 0
	s_getpc_b64 s[4:5]
	s_add_u32 s4, s4, _ZN4vllm22paged_attention_kernelIthLi192ELi32ELi128ELNS_18Fp8KVCacheDataTypeE1ELb0ELi0EEEvPfS2_PT_PKS3_PKT0_S9_ifPKiSB_iPKfiiiSD_SD_iiiii@rel32@lo+4
	s_addc_u32 s5, s5, _ZN4vllm22paged_attention_kernelIthLi192ELi32ELi128ELNS_18Fp8KVCacheDataTypeE1ELb0ELi0EEEvPfS2_PT_PKS3_PKT0_S9_ifPKiSB_iPKfiiiSD_SD_iiiii@rel32@hi+12
	s_mov_b32 s12, s6
	s_mov_b32 s15, 42
	;; [unrolled: 1-line block ×3, first 2 shown]
	s_waitcnt lgkmcnt(0)
	v_mov_b32_e32 v0, s16
	v_mov_b32_e32 v1, s17
	;; [unrolled: 1-line block ×24, first 2 shown]
	s_mov_b32 s13, s7
	s_swappc_b64 s[30:31], s[4:5]
	s_endpgm
	.section	.rodata,"a",@progbits
	.p2align	6, 0x0
	.amdhsa_kernel _ZN4vllm25paged_attention_v1_kernelIthLi192ELi32ELi128ELNS_18Fp8KVCacheDataTypeE1ELb0EEEvPT_PKS2_PKT0_S8_ifPKiSA_iPKfiiiSC_SC_iiiii
		.amdhsa_group_segment_fixed_size 416
		.amdhsa_private_segment_fixed_size 928
		.amdhsa_kernarg_size 384
		.amdhsa_user_sgpr_count 6
		.amdhsa_user_sgpr_private_segment_buffer 1
		.amdhsa_user_sgpr_dispatch_ptr 0
		.amdhsa_user_sgpr_queue_ptr 0
		.amdhsa_user_sgpr_kernarg_segment_ptr 1
		.amdhsa_user_sgpr_dispatch_id 0
		.amdhsa_user_sgpr_flat_scratch_init 0
		.amdhsa_user_sgpr_private_segment_size 0
		.amdhsa_wavefront_size32 1
		.amdhsa_uses_dynamic_stack 0
		.amdhsa_system_sgpr_private_segment_wavefront_offset 1
		.amdhsa_system_sgpr_workgroup_id_x 1
		.amdhsa_system_sgpr_workgroup_id_y 1
		.amdhsa_system_sgpr_workgroup_id_z 1
		.amdhsa_system_sgpr_workgroup_info 0
		.amdhsa_system_vgpr_workitem_id 0
		.amdhsa_next_free_vgpr 128
		.amdhsa_next_free_sgpr 40
		.amdhsa_reserve_vcc 1
		.amdhsa_reserve_flat_scratch 0
		.amdhsa_float_round_mode_32 0
		.amdhsa_float_round_mode_16_64 0
		.amdhsa_float_denorm_mode_32 3
		.amdhsa_float_denorm_mode_16_64 3
		.amdhsa_dx10_clamp 1
		.amdhsa_ieee_mode 1
		.amdhsa_fp16_overflow 0
		.amdhsa_workgroup_processor_mode 1
		.amdhsa_memory_ordered 1
		.amdhsa_forward_progress 1
		.amdhsa_shared_vgpr_count 0
		.amdhsa_exception_fp_ieee_invalid_op 0
		.amdhsa_exception_fp_denorm_src 0
		.amdhsa_exception_fp_ieee_div_zero 0
		.amdhsa_exception_fp_ieee_overflow 0
		.amdhsa_exception_fp_ieee_underflow 0
		.amdhsa_exception_fp_ieee_inexact 0
		.amdhsa_exception_int_div_zero 0
	.end_amdhsa_kernel
	.section	.text._ZN4vllm25paged_attention_v1_kernelIthLi192ELi32ELi128ELNS_18Fp8KVCacheDataTypeE1ELb0EEEvPT_PKS2_PKT0_S8_ifPKiSA_iPKfiiiSC_SC_iiiii,"axG",@progbits,_ZN4vllm25paged_attention_v1_kernelIthLi192ELi32ELi128ELNS_18Fp8KVCacheDataTypeE1ELb0EEEvPT_PKS2_PKT0_S8_ifPKiSA_iPKfiiiSC_SC_iiiii,comdat
.Lfunc_end301:
	.size	_ZN4vllm25paged_attention_v1_kernelIthLi192ELi32ELi128ELNS_18Fp8KVCacheDataTypeE1ELb0EEEvPT_PKS2_PKT0_S8_ifPKiSA_iPKfiiiSC_SC_iiiii, .Lfunc_end301-_ZN4vllm25paged_attention_v1_kernelIthLi192ELi32ELi128ELNS_18Fp8KVCacheDataTypeE1ELb0EEEvPT_PKS2_PKT0_S8_ifPKiSA_iPKfiiiSC_SC_iiiii
                                        ; -- End function
	.set _ZN4vllm25paged_attention_v1_kernelIthLi192ELi32ELi128ELNS_18Fp8KVCacheDataTypeE1ELb0EEEvPT_PKS2_PKT0_S8_ifPKiSA_iPKfiiiSC_SC_iiiii.num_vgpr, max(32, .L_ZN4vllm22paged_attention_kernelIthLi192ELi32ELi128ELNS_18Fp8KVCacheDataTypeE1ELb0ELi0EEEvPfS2_PT_PKS3_PKT0_S9_ifPKiSB_iPKfiiiSD_SD_iiiii.num_vgpr)
	.set _ZN4vllm25paged_attention_v1_kernelIthLi192ELi32ELi128ELNS_18Fp8KVCacheDataTypeE1ELb0EEEvPT_PKS2_PKT0_S8_ifPKiSA_iPKfiiiSC_SC_iiiii.num_agpr, max(0, .L_ZN4vllm22paged_attention_kernelIthLi192ELi32ELi128ELNS_18Fp8KVCacheDataTypeE1ELb0ELi0EEEvPfS2_PT_PKS3_PKT0_S9_ifPKiSB_iPKfiiiSD_SD_iiiii.num_agpr)
	.set _ZN4vllm25paged_attention_v1_kernelIthLi192ELi32ELi128ELNS_18Fp8KVCacheDataTypeE1ELb0EEEvPT_PKS2_PKT0_S8_ifPKiSA_iPKfiiiSC_SC_iiiii.numbered_sgpr, max(40, .L_ZN4vllm22paged_attention_kernelIthLi192ELi32ELi128ELNS_18Fp8KVCacheDataTypeE1ELb0ELi0EEEvPfS2_PT_PKS3_PKT0_S9_ifPKiSB_iPKfiiiSD_SD_iiiii.numbered_sgpr)
	.set _ZN4vllm25paged_attention_v1_kernelIthLi192ELi32ELi128ELNS_18Fp8KVCacheDataTypeE1ELb0EEEvPT_PKS2_PKT0_S8_ifPKiSA_iPKfiiiSC_SC_iiiii.num_named_barrier, max(0, .L_ZN4vllm22paged_attention_kernelIthLi192ELi32ELi128ELNS_18Fp8KVCacheDataTypeE1ELb0ELi0EEEvPfS2_PT_PKS3_PKT0_S9_ifPKiSB_iPKfiiiSD_SD_iiiii.num_named_barrier)
	.set _ZN4vllm25paged_attention_v1_kernelIthLi192ELi32ELi128ELNS_18Fp8KVCacheDataTypeE1ELb0EEEvPT_PKS2_PKT0_S8_ifPKiSA_iPKfiiiSC_SC_iiiii.private_seg_size, 0+max(.L_ZN4vllm22paged_attention_kernelIthLi192ELi32ELi128ELNS_18Fp8KVCacheDataTypeE1ELb0ELi0EEEvPfS2_PT_PKS3_PKT0_S9_ifPKiSB_iPKfiiiSD_SD_iiiii.private_seg_size)
	.set _ZN4vllm25paged_attention_v1_kernelIthLi192ELi32ELi128ELNS_18Fp8KVCacheDataTypeE1ELb0EEEvPT_PKS2_PKT0_S8_ifPKiSA_iPKfiiiSC_SC_iiiii.uses_vcc, or(1, .L_ZN4vllm22paged_attention_kernelIthLi192ELi32ELi128ELNS_18Fp8KVCacheDataTypeE1ELb0ELi0EEEvPfS2_PT_PKS3_PKT0_S9_ifPKiSB_iPKfiiiSD_SD_iiiii.uses_vcc)
	.set _ZN4vllm25paged_attention_v1_kernelIthLi192ELi32ELi128ELNS_18Fp8KVCacheDataTypeE1ELb0EEEvPT_PKS2_PKT0_S8_ifPKiSA_iPKfiiiSC_SC_iiiii.uses_flat_scratch, or(0, .L_ZN4vllm22paged_attention_kernelIthLi192ELi32ELi128ELNS_18Fp8KVCacheDataTypeE1ELb0ELi0EEEvPfS2_PT_PKS3_PKT0_S9_ifPKiSB_iPKfiiiSD_SD_iiiii.uses_flat_scratch)
	.set _ZN4vllm25paged_attention_v1_kernelIthLi192ELi32ELi128ELNS_18Fp8KVCacheDataTypeE1ELb0EEEvPT_PKS2_PKT0_S8_ifPKiSA_iPKfiiiSC_SC_iiiii.has_dyn_sized_stack, or(0, .L_ZN4vllm22paged_attention_kernelIthLi192ELi32ELi128ELNS_18Fp8KVCacheDataTypeE1ELb0ELi0EEEvPfS2_PT_PKS3_PKT0_S9_ifPKiSB_iPKfiiiSD_SD_iiiii.has_dyn_sized_stack)
	.set _ZN4vllm25paged_attention_v1_kernelIthLi192ELi32ELi128ELNS_18Fp8KVCacheDataTypeE1ELb0EEEvPT_PKS2_PKT0_S8_ifPKiSA_iPKfiiiSC_SC_iiiii.has_recursion, or(0, .L_ZN4vllm22paged_attention_kernelIthLi192ELi32ELi128ELNS_18Fp8KVCacheDataTypeE1ELb0ELi0EEEvPfS2_PT_PKS3_PKT0_S9_ifPKiSB_iPKfiiiSD_SD_iiiii.has_recursion)
	.set _ZN4vllm25paged_attention_v1_kernelIthLi192ELi32ELi128ELNS_18Fp8KVCacheDataTypeE1ELb0EEEvPT_PKS2_PKT0_S8_ifPKiSA_iPKfiiiSC_SC_iiiii.has_indirect_call, or(0, .L_ZN4vllm22paged_attention_kernelIthLi192ELi32ELi128ELNS_18Fp8KVCacheDataTypeE1ELb0ELi0EEEvPfS2_PT_PKS3_PKT0_S9_ifPKiSB_iPKfiiiSD_SD_iiiii.has_indirect_call)
	.section	.AMDGPU.csdata,"",@progbits
; Kernel info:
; codeLenInByte = 224
; TotalNumSgprs: 42
; NumVgprs: 128
; ScratchSize: 928
; MemoryBound: 0
; FloatMode: 240
; IeeeMode: 1
; LDSByteSize: 416 bytes/workgroup (compile time only)
; SGPRBlocks: 0
; VGPRBlocks: 15
; NumSGPRsForWavesPerEU: 42
; NumVGPRsForWavesPerEU: 128
; Occupancy: 8
; WaveLimiterHint : 1
; COMPUTE_PGM_RSRC2:SCRATCH_EN: 1
; COMPUTE_PGM_RSRC2:USER_SGPR: 6
; COMPUTE_PGM_RSRC2:TRAP_HANDLER: 0
; COMPUTE_PGM_RSRC2:TGID_X_EN: 1
; COMPUTE_PGM_RSRC2:TGID_Y_EN: 1
; COMPUTE_PGM_RSRC2:TGID_Z_EN: 1
; COMPUTE_PGM_RSRC2:TIDIG_COMP_CNT: 0
	.text
	.p2align	2                               ; -- Begin function _ZN4vllm22paged_attention_kernelIthLi256ELi32ELi128ELNS_18Fp8KVCacheDataTypeE1ELb0ELi0EEEvPfS2_PT_PKS3_PKT0_S9_ifPKiSB_iPKfiiiSD_SD_iiiii
	.type	_ZN4vllm22paged_attention_kernelIthLi256ELi32ELi128ELNS_18Fp8KVCacheDataTypeE1ELb0ELi0EEEvPfS2_PT_PKS3_PKT0_S9_ifPKiSB_iPKfiiiSD_SD_iiiii,@function
_ZN4vllm22paged_attention_kernelIthLi256ELi32ELi128ELNS_18Fp8KVCacheDataTypeE1ELb0ELi0EEEvPfS2_PT_PKS3_PKT0_S9_ifPKiSB_iPKfiiiSD_SD_iiiii: ; @_ZN4vllm22paged_attention_kernelIthLi256ELi32ELi128ELNS_18Fp8KVCacheDataTypeE1ELb0ELi0EEEvPfS2_PT_PKS3_PKT0_S9_ifPKiSB_iPKfiiiSD_SD_iiiii
; %bb.0:
	s_waitcnt vmcnt(0) expcnt(0) lgkmcnt(0)
	buffer_store_dword v40, off, s[0:3], s32 offset:188 ; 4-byte Folded Spill
	buffer_store_dword v41, off, s[0:3], s32 offset:184 ; 4-byte Folded Spill
	;; [unrolled: 1-line block ×47, first 2 shown]
	buffer_store_dword v127, off, s[0:3], s32 ; 4-byte Folded Spill
	s_mov_b32 s16, s13
	s_ashr_i32 s17, s13, 31
	buffer_store_dword v22, off, s[0:3], s32 offset:192 ; 4-byte Folded Spill
	buffer_store_dword v23, off, s[0:3], s32 offset:196 ; 4-byte Folded Spill
	;; [unrolled: 1-line block ×6, first 2 shown]
	s_lshl_b64 s[4:5], s[16:17], 2
	buffer_store_dword v1, off, s[0:3], s32 offset:1272 ; 4-byte Folded Spill
	buffer_store_dword v0, off, s[0:3], s32 offset:1276 ; 4-byte Folded Spill
	v_add_co_u32 v0, vcc_lo, v12, s4
	v_add_co_ci_u32_e64 v1, null, s5, v13, vcc_lo
	s_clause 0x1
	s_load_dword s4, s[8:9], 0x10
	s_load_dword s5, s[8:9], 0x0
	v_mov_b32_e32 v28, v6
	flat_load_dword v0, v[0:1]
	s_mov_b32 s20, s15
	v_mov_b32_e32 v18, v7
	s_waitcnt lgkmcnt(0)
	s_lshr_b32 s4, s4, 16
	s_cmp_lg_u32 s4, 0
	s_cselect_b32 s4, -1, 0
	s_cmp_lg_u32 s4, 0
	s_addc_u32 s15, s5, 0
	s_mov_b32 s5, exec_lo
	s_abs_i32 s4, s15
	s_waitcnt vmcnt(0)
	buffer_store_dword v0, off, s[0:3], s32 offset:776 ; 4-byte Folded Spill
	v_sub_nc_u32_e32 v0, 0, v8
	v_max_i32_e32 v0, v8, v0
	v_cvt_f32_u32_e32 v1, v0
	v_sub_nc_u32_e32 v6, 0, v0
	v_rcp_iflag_f32_e32 v1, v1
	v_mul_f32_e32 v1, 0x4f7ffffe, v1
	v_cvt_u32_f32_e32 v1, v1
	v_mul_lo_u32 v6, v6, v1
	v_mul_hi_u32 v6, v1, v6
	v_add_nc_u32_e32 v1, v1, v6
	v_mul_hi_u32 v1, s4, v1
	v_mul_lo_u32 v6, v1, v0
	v_add_nc_u32_e32 v7, 1, v1
	v_sub_nc_u32_e32 v6, s4, v6
	s_abs_i32 s4, s12
	v_sub_nc_u32_e32 v9, v6, v0
	v_cmp_ge_u32_e32 vcc_lo, v6, v0
	v_cndmask_b32_e32 v1, v1, v7, vcc_lo
	v_cndmask_b32_e32 v6, v6, v9, vcc_lo
	v_xor_b32_e32 v7, s15, v8
	v_add_nc_u32_e32 v8, 1, v1
	v_cmp_ge_u32_e32 vcc_lo, v6, v0
	v_ashrrev_i32_e32 v7, 31, v7
	v_cndmask_b32_e32 v0, v1, v8, vcc_lo
	v_xor_b32_e32 v0, v0, v7
	v_sub_nc_u32_e32 v1, v0, v7
	v_sub_nc_u32_e32 v0, 0, v1
	v_max_i32_e32 v0, v1, v0
	v_cvt_f32_u32_e32 v6, v0
	v_sub_nc_u32_e32 v7, 0, v0
	v_rcp_iflag_f32_e32 v6, v6
	v_mul_f32_e32 v6, 0x4f7ffffe, v6
	v_cvt_u32_f32_e32 v6, v6
	v_mul_lo_u32 v7, v7, v6
	v_mul_hi_u32 v7, v6, v7
	v_add_nc_u32_e32 v6, v6, v7
	v_mad_u64_u32 v[12:13], null, s4, v6, 0
	v_mov_b32_e32 v6, 0
	buffer_store_dword v6, off, s[0:3], s32 offset:1236 ; 4-byte Folded Spill
	v_cmpx_ne_u64_e32 0, v[15:16]
	s_cbranch_execz .LBB302_2
; %bb.1:
	s_ashr_i32 s13, s12, 31
	s_lshl_b64 s[6:7], s[12:13], 2
	v_add_co_u32 v6, vcc_lo, v15, s6
	v_add_co_ci_u32_e64 v7, null, s7, v16, vcc_lo
	flat_load_dword v6, v[6:7]
	s_waitcnt vmcnt(0) lgkmcnt(0)
	buffer_store_dword v6, off, s[0:3], s32 offset:1236 ; 4-byte Folded Spill
.LBB302_2:
	s_or_b32 exec_lo, exec_lo, s5
	v_and_b32_e32 v12, 0x3ff, v31
	v_ashrrev_i32_e32 v1, 31, v1
	s_ashr_i32 s5, s12, 31
	s_lshl_b32 s18, s12, 8
	s_mov_b32 s6, exec_lo
	v_cmpx_gt_u32_e32 32, v12
	s_cbranch_execz .LBB302_4
; %bb.3:
	v_mul_lo_u32 v6, v17, s16
	s_ashr_i32 s19, s18, 31
	v_lshlrev_b32_e32 v15, 4, v12
	s_lshl_b64 s[10:11], s[18:19], 1
	v_ashrrev_i32_e32 v7, 31, v6
	v_lshlrev_b64 v[6:7], 1, v[6:7]
	v_add_co_u32 v2, vcc_lo, v2, v6
	v_add_co_ci_u32_e64 v3, null, v3, v7, vcc_lo
	v_add_co_u32 v2, vcc_lo, v2, s10
	v_add_co_ci_u32_e64 v3, null, s11, v3, vcc_lo
	;; [unrolled: 2-line block ×3, first 2 shown]
	flat_load_dwordx4 v[6:9], v[2:3]
	s_waitcnt vmcnt(0) lgkmcnt(0)
	ds_write_b128 v15, v[6:9]
.LBB302_4:
	s_or_b32 exec_lo, exec_lo, s6
	buffer_load_dword v7, off, s[0:3], s32 offset:776 ; 4-byte Folded Reload
	v_mul_lo_u32 v2, v13, v0
	v_add_nc_u32_e32 v3, 1, v13
	v_xor_b32_e32 v1, s5, v1
	s_clause 0x1
	s_load_dword s10, s[8:9], 0x14
	s_load_dword s13, s[8:9], 0x8
	buffer_store_dword v12, off, s[0:3], s32 offset:1260 ; 4-byte Folded Spill
	v_mov_b32_e32 v8, 0xff7fffff
	s_mov_b32 s8, exec_lo
	v_sub_nc_u32_e32 v2, s4, v2
	v_sub_nc_u32_e32 v6, v2, v0
	v_cmp_ge_u32_e32 vcc_lo, v2, v0
	v_cndmask_b32_e32 v3, v13, v3, vcc_lo
	v_cndmask_b32_e32 v2, v2, v6, vcc_lo
	v_add_nc_u32_e32 v6, 1, v3
	v_cmp_ge_u32_e32 vcc_lo, v2, v0
	v_mul_lo_u32 v0, v14, s16
	v_lshrrev_b32_e32 v14, 3, v12
	v_cndmask_b32_e32 v2, v3, v6, vcc_lo
	v_lshrrev_b32_e32 v6, 5, v12
	v_xor_b32_e32 v2, v2, v1
	v_sub_nc_u32_e32 v2, v2, v1
	v_ashrrev_i32_e32 v1, 31, v0
	v_mul_lo_u32 v15, v2, v19
	v_and_b32_e32 v2, 31, v12
	v_lshlrev_b64 v[12:13], 2, v[0:1]
	v_lshlrev_b32_e32 v20, 2, v2
	v_ashrrev_i32_e32 v19, 31, v15
	s_waitcnt vmcnt(0)
	v_add_nc_u32_e32 v7, 31, v7
	v_ashrrev_i32_e32 v3, 31, v7
	v_lshrrev_b32_e32 v3, 27, v3
	v_add_nc_u32_e32 v3, v7, v3
	v_ashrrev_i32_e32 v3, 5, v3
	buffer_store_dword v6, off, s[0:3], s32 offset:1268 ; 4-byte Folded Spill
	buffer_store_dword v3, off, s[0:3], s32 offset:204 ; 4-byte Folded Spill
	v_cmp_ge_i32_e64 s4, v6, v3
	buffer_store_dword v2, off, s[0:3], s32 offset:1264 ; 4-byte Folded Spill
	s_waitcnt lgkmcnt(0)
	s_waitcnt_vscnt null, 0x0
	s_barrier
	buffer_gl0_inv
	v_cmpx_lt_i32_e64 v6, v3
	s_cbranch_execz .LBB302_2056
; %bb.5:
	s_getpc_b64 s[6:7]
	s_add_u32 s6, s6, llvm.amdgcn.dynlds.offset.table@rel32@lo+4
	s_addc_u32 s7, s7, llvm.amdgcn.dynlds.offset.table@rel32@hi+12
	buffer_store_dword v28, off, s[0:3], s32 offset:1292 ; 4-byte Folded Spill
	buffer_store_dword v18, off, s[0:3], s32 offset:1288 ; 4-byte Folded Spill
	s_ashr_i32 s21, s20, 31
	s_clause 0x1
	buffer_load_dword v6, off, s[0:3], s32 offset:1264
	buffer_load_dword v7, off, s[0:3], s32 offset:1268
	s_lshl_b64 s[22:23], s[20:21], 2
	v_and_b32_e32 v3, 0x7c, v14
	s_add_u32 s6, s6, s22
	s_addc_u32 s7, s7, s23
	buffer_store_dword v15, off, s[0:3], s32 offset:1308 ; 4-byte Folded Spill
	s_load_dword s6, s[6:7], 0x0
	v_add_co_u32 v1, vcc_lo, v4, v15
	buffer_store_dword v19, off, s[0:3], s32 offset:1312 ; 4-byte Folded Spill
	buffer_store_dword v14, off, s[0:3], s32 offset:1304 ; 4-byte Folded Spill
	buffer_load_dword v4, off, s[0:3], s32 offset:1236 ; 4-byte Folded Reload
	buffer_store_dword v20, off, s[0:3], s32 offset:1316 ; 4-byte Folded Spill
	v_add_co_u32 v3, s5, v3, v12
	buffer_store_dword v12, off, s[0:3], s32 offset:1296 ; 4-byte Folded Spill
	buffer_store_dword v13, off, s[0:3], s32 offset:1300 ; 4-byte Folded Spill
	v_add_co_ci_u32_e64 v2, null, v5, v19, vcc_lo
	v_mov_b32_e32 v5, 0
	v_mov_b32_e32 v8, 0xff7fffff
	;; [unrolled: 1-line block ×3, first 2 shown]
	s_mov_b32 s9, 0
	s_waitcnt vmcnt(2)
	v_lshlrev_b32_e32 v0, 4, v6
	s_waitcnt vmcnt(1)
	v_lshl_or_b32 v79, v7, 5, v6
	s_waitcnt vmcnt(0)
	v_cmp_neq_f32_e32 vcc_lo, 0, v4
	v_lshl_or_b32 v4, v7, 7, v20
	v_add_co_ci_u32_e64 v6, null, 0, v13, s5
	v_add_co_u32 v0, s5, v1, v0
	v_add_co_ci_u32_e64 v1, null, 0, v2, s5
	buffer_store_dword v0, off, s[0:3], s32 offset:1252 ; 4-byte Folded Spill
	buffer_store_dword v1, off, s[0:3], s32 offset:1256 ; 4-byte Folded Spill
	;; [unrolled: 1-line block ×3, first 2 shown]
	v_add_co_u32 v1, s5, v10, v3
	v_add_co_ci_u32_e64 v2, null, v11, v6, s5
	s_waitcnt lgkmcnt(0)
	v_add_nc_u32_e32 v88, s6, v4
	s_mov_b32 s6, -1
	s_mov_b32 s7, 0xffffff
	buffer_store_dword v11, off, s[0:3], s32 offset:1280 ; 4-byte Folded Spill
	s_branch .LBB302_10
.LBB302_6:                              ;   in Loop: Header=BB302_10 Depth=1
	s_or_b32 exec_lo, exec_lo, s19
	v_lshlrev_b32_e32 v4, 8, v4
	v_lshl_add_u32 v17, v17, 10, 0x2000
	v_lshlrev_b32_e32 v16, 23, v16
	v_and_or_b32 v4, 0x8000, v4, v17
	v_lshl_or_b32 v122, v4, 16, v16
.LBB302_7:                              ;   in Loop: Header=BB302_10 Depth=1
	s_or_b32 exec_lo, exec_lo, s17
.LBB302_8:                              ;   in Loop: Header=BB302_10 Depth=1
	s_or_b32 exec_lo, exec_lo, s12
	s_clause 0x1
	buffer_load_dword v88, off, s[0:3], s32 offset:720
	buffer_load_dword v4, off, s[0:3], s32 offset:200
.LBB302_9:                              ;   in Loop: Header=BB302_10 Depth=1
	s_or_b32 exec_lo, exec_lo, s11
	v_or_b32_e32 v1, v109, v1
	s_waitcnt vmcnt(0)
	v_or_b32_e32 v4, v101, v105
	v_fma_mixlo_f16 v16, v52, v101, 0 op_sel:[0,1,0] op_sel_hi:[0,1,0]
	v_fma_mixlo_f16 v1, v52, v1, 0 op_sel_hi:[0,1,0]
	v_fma_mixlo_f16 v4, v52, v4, 0 op_sel_hi:[0,1,0]
	buffer_store_dword v16, off, s[0:3], s32 offset:812 ; 4-byte Folded Spill
	v_fma_mixlo_f16 v16, v52, v55, 0 op_sel:[0,1,0] op_sel_hi:[0,1,0]
	buffer_store_dword v1, off, s[0:3], s32 offset:848 ; 4-byte Folded Spill
	v_or_b32_e32 v1, v117, v2
	buffer_store_dword v4, off, s[0:3], s32 offset:816 ; 4-byte Folded Spill
	v_or_b32_e32 v4, v55, v82
	v_fma_mixlo_f16 v2, v52, v117, 0 op_sel:[0,1,0] op_sel_hi:[0,1,0]
	buffer_store_dword v16, off, s[0:3], s32 offset:820 ; 4-byte Folded Spill
	v_fma_mixlo_f16 v1, v52, v1, 0 op_sel_hi:[0,1,0]
	v_fma_mixlo_f16 v16, v52, v54, 0 op_sel:[0,1,0] op_sel_hi:[0,1,0]
	v_fma_mixlo_f16 v4, v52, v4, 0 op_sel_hi:[0,1,0]
	buffer_store_dword v2, off, s[0:3], s32 offset:852 ; 4-byte Folded Spill
	v_fma_mixlo_f16 v2, v52, v85, 0 op_sel:[0,1,0] op_sel_hi:[0,1,0]
	buffer_store_dword v1, off, s[0:3], s32 offset:856 ; 4-byte Folded Spill
	v_or_b32_e32 v1, v85, v103
	buffer_store_dword v4, off, s[0:3], s32 offset:824 ; 4-byte Folded Spill
	v_or_b32_e32 v4, v54, v36
	buffer_store_dword v16, off, s[0:3], s32 offset:804 ; 4-byte Folded Spill
	buffer_store_dword v2, off, s[0:3], s32 offset:836 ; 4-byte Folded Spill
	v_fma_mixlo_f16 v1, v52, v1, 0 op_sel_hi:[0,1,0]
	v_fma_mixlo_f16 v4, v52, v4, 0 op_sel_hi:[0,1,0]
	buffer_store_dword v1, off, s[0:3], s32 offset:840 ; 4-byte Folded Spill
	v_or_b32_e32 v1, v0, v67
	v_fma_mixlo_f16 v0, v52, v0, 0 op_sel:[0,1,0] op_sel_hi:[0,1,0]
	buffer_store_dword v4, off, s[0:3], s32 offset:808 ; 4-byte Folded Spill
	v_or_b32_e32 v4, v24, v30
	v_fma_mixlo_f16 v1, v52, v1, 0 op_sel_hi:[0,1,0]
	buffer_store_dword v0, off, s[0:3], s32 offset:828 ; 4-byte Folded Spill
	v_or_b32_e32 v0, v86, v33
	v_fma_mixlo_f16 v4, v52, v4, 0 op_sel_hi:[0,1,0]
	buffer_store_dword v1, off, s[0:3], s32 offset:832 ; 4-byte Folded Spill
	v_fma_mixlo_f16 v1, v52, v86, 0 op_sel:[0,1,0] op_sel_hi:[0,1,0]
	v_fma_mixlo_f16 v0, v52, v0, 0 op_sel_hi:[0,1,0]
	buffer_store_dword v4, off, s[0:3], s32 offset:800 ; 4-byte Folded Spill
	v_fma_mixlo_f16 v4, v52, v24, 0 op_sel:[0,1,0] op_sel_hi:[0,1,0]
	buffer_store_dword v1, off, s[0:3], s32 offset:876 ; 4-byte Folded Spill
	buffer_store_dword v0, off, s[0:3], s32 offset:880 ; 4-byte Folded Spill
	v_or_b32_e32 v0, v53, v125
	v_fma_mixlo_f16 v1, v52, v53, 0 op_sel:[0,1,0] op_sel_hi:[0,1,0]
	buffer_store_dword v4, off, s[0:3], s32 offset:796 ; 4-byte Folded Spill
	v_fma_mixlo_f16 v4, v52, v109, 0 op_sel:[0,1,0] op_sel_hi:[0,1,0]
	v_fma_mixlo_f16 v0, v52, v0, 0 op_sel_hi:[0,1,0]
	buffer_store_dword v1, off, s[0:3], s32 offset:884 ; 4-byte Folded Spill
	v_fma_mixlo_f16 v1, v52, v91, 0 op_sel:[0,1,0] op_sel_hi:[0,1,0]
	buffer_store_dword v4, off, s[0:3], s32 offset:844 ; 4-byte Folded Spill
	buffer_store_dword v0, off, s[0:3], s32 offset:888 ; 4-byte Folded Spill
	v_or_b32_e32 v0, v91, v8
	buffer_store_dword v1, off, s[0:3], s32 offset:868 ; 4-byte Folded Spill
	v_fma_mixlo_f16 v1, v52, v83, 0 op_sel:[0,1,0] op_sel_hi:[0,1,0]
	v_fma_mixlo_f16 v0, v52, v0, 0 op_sel_hi:[0,1,0]
	buffer_store_dword v1, off, s[0:3], s32 offset:908 ; 4-byte Folded Spill
	v_fma_mixlo_f16 v1, v52, v121, 0 op_sel:[0,1,0] op_sel_hi:[0,1,0]
	buffer_store_dword v0, off, s[0:3], s32 offset:872 ; 4-byte Folded Spill
	v_or_b32_e32 v0, v114, v7
	buffer_store_dword v1, off, s[0:3], s32 offset:916 ; 4-byte Folded Spill
	v_fma_mixlo_f16 v1, v52, v80, 0 op_sel:[0,1,0] op_sel_hi:[0,1,0]
	v_fma_mixlo_f16 v0, v52, v0, 0 op_sel_hi:[0,1,0]
	buffer_store_dword v1, off, s[0:3], s32 offset:900 ; 4-byte Folded Spill
	v_fma_mixlo_f16 v1, v52, v96, 0 op_sel:[0,1,0] op_sel_hi:[0,1,0]
	buffer_store_dword v0, off, s[0:3], s32 offset:864 ; 4-byte Folded Spill
	v_fma_mixlo_f16 v0, v52, v114, 0 op_sel:[0,1,0] op_sel_hi:[0,1,0]
	buffer_store_dword v1, off, s[0:3], s32 offset:940 ; 4-byte Folded Spill
	v_fma_mixlo_f16 v1, v52, v98, 0 op_sel:[0,1,0] op_sel_hi:[0,1,0]
	buffer_store_dword v0, off, s[0:3], s32 offset:860 ; 4-byte Folded Spill
	v_or_b32_e32 v0, v83, v124
	buffer_store_dword v1, off, s[0:3], s32 offset:948 ; 4-byte Folded Spill
	v_fma_mixlo_f16 v1, v52, v20, 0 op_sel:[0,1,0] op_sel_hi:[0,1,0]
	v_fma_mixlo_f16 v0, v52, v0, 0 op_sel_hi:[0,1,0]
	buffer_store_dword v1, off, s[0:3], s32 offset:932 ; 4-byte Folded Spill
	buffer_store_dword v0, off, s[0:3], s32 offset:912 ; 4-byte Folded Spill
	v_or_b32_e32 v0, v121, v42
	v_fma_mixlo_f16 v1, v52, v18, 0 op_sel:[0,1,0] op_sel_hi:[0,1,0]
	v_fma_mixlo_f16 v0, v52, v0, 0 op_sel_hi:[0,1,0]
	buffer_store_dword v1, off, s[0:3], s32 offset:972 ; 4-byte Folded Spill
	v_fma_mixlo_f16 v1, v52, v119, 0 op_sel:[0,1,0] op_sel_hi:[0,1,0]
	buffer_store_dword v0, off, s[0:3], s32 offset:920 ; 4-byte Folded Spill
	v_or_b32_e32 v0, v80, v123
	buffer_store_dword v1, off, s[0:3], s32 offset:980 ; 4-byte Folded Spill
	v_fma_mixlo_f16 v1, v52, v107, 0 op_sel:[0,1,0] op_sel_hi:[0,1,0]
	v_fma_mixlo_f16 v0, v52, v0, 0 op_sel_hi:[0,1,0]
	buffer_store_dword v1, off, s[0:3], s32 offset:964 ; 4-byte Folded Spill
	v_fma_mixlo_f16 v1, v52, v78, 0 op_sel:[0,1,0] op_sel_hi:[0,1,0]
	buffer_store_dword v0, off, s[0:3], s32 offset:904 ; 4-byte Folded Spill
	v_or_b32_e32 v0, v74, v45
	buffer_store_dword v1, off, s[0:3], s32 offset:1004 ; 4-byte Folded Spill
	v_fma_mixlo_f16 v1, v52, v37, 0 op_sel:[0,1,0] op_sel_hi:[0,1,0]
	v_fma_mixlo_f16 v0, v52, v0, 0 op_sel_hi:[0,1,0]
	buffer_store_dword v1, off, s[0:3], s32 offset:1012 ; 4-byte Folded Spill
	v_fma_mixlo_f16 v1, v52, v14, 0 op_sel:[0,1,0] op_sel_hi:[0,1,0]
	buffer_store_dword v0, off, s[0:3], s32 offset:896 ; 4-byte Folded Spill
	v_fma_mixlo_f16 v0, v52, v74, 0 op_sel:[0,1,0] op_sel_hi:[0,1,0]
	buffer_store_dword v1, off, s[0:3], s32 offset:996 ; 4-byte Folded Spill
	v_fma_mixlo_f16 v1, v52, v60, 0 op_sel:[0,1,0] op_sel_hi:[0,1,0]
	buffer_store_dword v0, off, s[0:3], s32 offset:892 ; 4-byte Folded Spill
	v_or_b32_e32 v0, v96, v92
	buffer_store_dword v1, off, s[0:3], s32 offset:1036 ; 4-byte Folded Spill
	v_fma_mixlo_f16 v1, v52, v27, 0 op_sel:[0,1,0] op_sel_hi:[0,1,0]
	v_fma_mixlo_f16 v0, v52, v0, 0 op_sel_hi:[0,1,0]
	buffer_store_dword v1, off, s[0:3], s32 offset:1044 ; 4-byte Folded Spill
	buffer_store_dword v0, off, s[0:3], s32 offset:944 ; 4-byte Folded Spill
	v_or_b32_e32 v0, v98, v10
	v_fma_mixlo_f16 v1, v52, v75, 0 op_sel:[0,1,0] op_sel_hi:[0,1,0]
	v_fma_mixlo_f16 v0, v52, v0, 0 op_sel_hi:[0,1,0]
	buffer_store_dword v1, off, s[0:3], s32 offset:1028 ; 4-byte Folded Spill
	v_fma_mixlo_f16 v1, v52, v32, 0 op_sel:[0,1,0] op_sel_hi:[0,1,0]
	;; [unrolled: 30-line block ×3, first 2 shown]
	buffer_store_dword v0, off, s[0:3], s32 offset:984 ; 4-byte Folded Spill
	v_or_b32_e32 v0, v107, v108
	buffer_store_dword v1, off, s[0:3], s32 offset:1124 ; 4-byte Folded Spill
	v_fma_mixlo_f16 v1, v52, v46, 0 op_sel:[0,1,0] op_sel_hi:[0,1,0]
	v_fma_mixlo_f16 v0, v52, v0, 0 op_sel_hi:[0,1,0]
	buffer_store_dword v1, off, s[0:3], s32 offset:1152 ; 4-byte Folded Spill
	v_fma_mixlo_f16 v1, v52, v127, 0 op_sel:[0,1,0] op_sel_hi:[0,1,0]
	buffer_store_dword v0, off, s[0:3], s32 offset:968 ; 4-byte Folded Spill
	v_or_b32_e32 v0, v9, v94
	buffer_store_dword v1, off, s[0:3], s32 offset:1160 ; 4-byte Folded Spill
	v_fma_mixlo_f16 v1, v52, v97, 0 op_sel:[0,1,0] op_sel_hi:[0,1,0]
	v_fma_mixlo_f16 v0, v52, v0, 0 op_sel_hi:[0,1,0]
	buffer_store_dword v0, off, s[0:3], s32 offset:960 ; 4-byte Folded Spill
	v_fma_mixlo_f16 v0, v52, v9, 0 op_sel:[0,1,0] op_sel_hi:[0,1,0]
	buffer_store_dword v0, off, s[0:3], s32 offset:956 ; 4-byte Folded Spill
	v_or_b32_e32 v0, v78, v48
	v_fma_mixlo_f16 v0, v52, v0, 0 op_sel_hi:[0,1,0]
	buffer_store_dword v0, off, s[0:3], s32 offset:1008 ; 4-byte Folded Spill
	v_or_b32_e32 v0, v37, v51
	v_fma_mixlo_f16 v0, v52, v0, 0 op_sel_hi:[0,1,0]
	buffer_store_dword v0, off, s[0:3], s32 offset:1016 ; 4-byte Folded Spill
	v_or_b32_e32 v0, v14, v76
	v_fma_mixlo_f16 v0, v52, v0, 0 op_sel_hi:[0,1,0]
	buffer_store_dword v0, off, s[0:3], s32 offset:1000 ; 4-byte Folded Spill
	v_or_b32_e32 v0, v15, v87
	v_fma_mixlo_f16 v0, v52, v0, 0 op_sel_hi:[0,1,0]
	buffer_store_dword v0, off, s[0:3], s32 offset:992 ; 4-byte Folded Spill
	v_fma_mixlo_f16 v0, v52, v15, 0 op_sel:[0,1,0] op_sel_hi:[0,1,0]
	buffer_store_dword v0, off, s[0:3], s32 offset:988 ; 4-byte Folded Spill
	v_or_b32_e32 v0, v60, v41
	v_fma_mixlo_f16 v0, v52, v0, 0 op_sel_hi:[0,1,0]
	buffer_store_dword v0, off, s[0:3], s32 offset:1040 ; 4-byte Folded Spill
	v_or_b32_e32 v0, v27, v66
	v_fma_mixlo_f16 v0, v52, v0, 0 op_sel_hi:[0,1,0]
	buffer_store_dword v0, off, s[0:3], s32 offset:1048 ; 4-byte Folded Spill
	v_or_b32_e32 v0, v75, v59
	v_fma_mixlo_f16 v0, v52, v0, 0 op_sel_hi:[0,1,0]
	buffer_store_dword v0, off, s[0:3], s32 offset:1032 ; 4-byte Folded Spill
	v_or_b32_e32 v0, v62, v73
	;; [unrolled: 14-line block ×5, first 2 shown]
	v_fma_mixlo_f16 v0, v52, v0, 0 op_sel_hi:[0,1,0]
	buffer_store_dword v0, off, s[0:3], s32 offset:1120 ; 4-byte Folded Spill
	v_fma_mixlo_f16 v0, v52, v61, 0 op_sel:[0,1,0] op_sel_hi:[0,1,0]
	buffer_store_dword v0, off, s[0:3], s32 offset:1116 ; 4-byte Folded Spill
	buffer_load_dword v0, off, s[0:3], s32 offset:708 ; 4-byte Folded Reload
	s_waitcnt vmcnt(0)
	v_or_b32_e32 v0, v46, v0
	v_fma_mixlo_f16 v0, v52, v0, 0 op_sel_hi:[0,1,0]
	buffer_store_dword v0, off, s[0:3], s32 offset:1156 ; 4-byte Folded Spill
	buffer_load_dword v0, off, s[0:3], s32 offset:704 ; 4-byte Folded Reload
	s_waitcnt vmcnt(0)
	v_or_b32_e32 v0, v127, v0
	v_fma_mixlo_f16 v0, v52, v0, 0 op_sel_hi:[0,1,0]
	buffer_store_dword v0, off, s[0:3], s32 offset:1164 ; 4-byte Folded Spill
	buffer_load_dword v0, off, s[0:3], s32 offset:712 ; 4-byte Folded Reload
	buffer_store_dword v1, off, s[0:3], s32 offset:712 ; 4-byte Folded Spill
	v_fma_mixlo_f16 v1, v52, v38, 0 op_sel:[0,1,0] op_sel_hi:[0,1,0]
	buffer_store_dword v1, off, s[0:3], s32 offset:1168 ; 4-byte Folded Spill
	v_fma_mixlo_f16 v1, v52, v77, 0 op_sel:[0,1,0] op_sel_hi:[0,1,0]
	buffer_store_dword v1, off, s[0:3], s32 offset:1176 ; 4-byte Folded Spill
	v_fma_mixlo_f16 v1, v52, v56, 0 op_sel:[0,1,0] op_sel_hi:[0,1,0]
	s_waitcnt vmcnt(0)
	v_or_b32_e32 v0, v97, v0
	v_fma_mixlo_f16 v0, v52, v0, 0 op_sel_hi:[0,1,0]
	buffer_store_dword v0, off, s[0:3], s32 offset:1148 ; 4-byte Folded Spill
	buffer_load_dword v0, off, s[0:3], s32 offset:716 ; 4-byte Folded Reload
	s_waitcnt vmcnt(0)
	v_or_b32_e32 v0, v57, v0
	v_fma_mixlo_f16 v0, v52, v0, 0 op_sel_hi:[0,1,0]
	buffer_store_dword v0, off, s[0:3], s32 offset:708 ; 4-byte Folded Spill
	v_fma_mixlo_f16 v0, v52, v57, 0 op_sel:[0,1,0] op_sel_hi:[0,1,0]
	buffer_store_dword v0, off, s[0:3], s32 offset:704 ; 4-byte Folded Spill
	buffer_load_dword v0, off, s[0:3], s32 offset:692 ; 4-byte Folded Reload
	s_waitcnt vmcnt(0)
	v_or_b32_e32 v0, v38, v0
	v_fma_mixlo_f16 v0, v52, v0, 0 op_sel_hi:[0,1,0]
	buffer_store_dword v0, off, s[0:3], s32 offset:1172 ; 4-byte Folded Spill
	buffer_load_dword v0, off, s[0:3], s32 offset:688 ; 4-byte Folded Reload
	s_waitcnt vmcnt(0)
	v_or_b32_e32 v0, v77, v0
	v_fma_mixlo_f16 v0, v52, v0, 0 op_sel_hi:[0,1,0]
	buffer_store_dword v0, off, s[0:3], s32 offset:1180 ; 4-byte Folded Spill
	buffer_load_dword v0, off, s[0:3], s32 offset:696 ; 4-byte Folded Reload
	buffer_store_dword v1, off, s[0:3], s32 offset:696 ; 4-byte Folded Spill
	v_fma_mixlo_f16 v1, v52, v71, 0 op_sel:[0,1,0] op_sel_hi:[0,1,0]
	buffer_store_dword v1, off, s[0:3], s32 offset:1184 ; 4-byte Folded Spill
	v_fma_mixlo_f16 v1, v52, v110, 0 op_sel:[0,1,0] op_sel_hi:[0,1,0]
	buffer_store_dword v1, off, s[0:3], s32 offset:1192 ; 4-byte Folded Spill
	v_fma_mixlo_f16 v1, v52, v34, 0 op_sel:[0,1,0] op_sel_hi:[0,1,0]
	s_waitcnt vmcnt(0)
	v_or_b32_e32 v0, v56, v0
	v_fma_mixlo_f16 v0, v52, v0, 0 op_sel_hi:[0,1,0]
	buffer_store_dword v0, off, s[0:3], s32 offset:716 ; 4-byte Folded Spill
	buffer_load_dword v0, off, s[0:3], s32 offset:700 ; 4-byte Folded Reload
	s_waitcnt vmcnt(0)
	v_or_b32_e32 v0, v19, v0
	;; [unrolled: 28-line block ×3, first 2 shown]
	v_fma_mixlo_f16 v0, v52, v0, 0 op_sel_hi:[0,1,0]
	buffer_store_dword v0, off, s[0:3], s32 offset:676 ; 4-byte Folded Spill
	v_fma_mixlo_f16 v0, v52, v126, 0 op_sel:[0,1,0] op_sel_hi:[0,1,0]
	buffer_store_dword v0, off, s[0:3], s32 offset:672 ; 4-byte Folded Spill
	buffer_load_dword v0, off, s[0:3], s32 offset:660 ; 4-byte Folded Reload
	s_waitcnt vmcnt(0)
	v_or_b32_e32 v0, v115, v0
	v_fma_mixlo_f16 v0, v52, v0, 0 op_sel_hi:[0,1,0]
	buffer_store_dword v0, off, s[0:3], s32 offset:1204 ; 4-byte Folded Spill
	buffer_load_dword v0, off, s[0:3], s32 offset:656 ; 4-byte Folded Reload
	s_waitcnt vmcnt(0)
	v_or_b32_e32 v0, v116, v0
	v_fma_mixlo_f16 v0, v52, v0, 0 op_sel_hi:[0,1,0]
	buffer_store_dword v0, off, s[0:3], s32 offset:1212 ; 4-byte Folded Spill
	buffer_load_dword v0, off, s[0:3], s32 offset:664 ; 4-byte Folded Reload
	buffer_store_dword v1, off, s[0:3], s32 offset:664 ; 4-byte Folded Spill
	v_fma_mixlo_f16 v1, v52, v39, 0 op_sel:[0,1,0] op_sel_hi:[0,1,0]
	s_waitcnt vmcnt(0)
	v_or_b32_e32 v0, v118, v0
	v_fma_mixlo_f16 v0, v52, v0, 0 op_sel_hi:[0,1,0]
	buffer_store_dword v0, off, s[0:3], s32 offset:684 ; 4-byte Folded Spill
	buffer_load_dword v0, off, s[0:3], s32 offset:668 ; 4-byte Folded Reload
	buffer_store_dword v1, off, s[0:3], s32 offset:668 ; 4-byte Folded Spill
	s_waitcnt vmcnt(0)
	v_or_b32_e32 v0, v23, v0
	v_fma_mixlo_f16 v0, v52, v0, 0 op_sel_hi:[0,1,0]
	buffer_store_dword v0, off, s[0:3], s32 offset:660 ; 4-byte Folded Spill
	v_fma_mixlo_f16 v0, v52, v23, 0 op_sel:[0,1,0] op_sel_hi:[0,1,0]
	buffer_store_dword v0, off, s[0:3], s32 offset:656 ; 4-byte Folded Spill
	buffer_load_dword v0, off, s[0:3], s32 offset:644 ; 4-byte Folded Reload
	s_waitcnt vmcnt(0)
	v_or_b32_e32 v0, v39, v0
	v_fma_mixlo_f16 v0, v52, v0, 0 op_sel_hi:[0,1,0]
	buffer_store_dword v0, off, s[0:3], s32 offset:1216 ; 4-byte Folded Spill
	s_clause 0x1
	buffer_load_dword v0, off, s[0:3], s32 offset:636
	buffer_load_dword v1, off, s[0:3], s32 offset:640
	s_waitcnt vmcnt(0)
	v_or_b32_e32 v0, v1, v0
	v_fma_mixlo_f16 v1, v52, v1, 0 op_sel:[0,1,0] op_sel_hi:[0,1,0]
	v_fma_mixlo_f16 v0, v52, v0, 0 op_sel_hi:[0,1,0]
	buffer_store_dword v1, off, s[0:3], s32 offset:1220 ; 4-byte Folded Spill
	v_fma_mixlo_f16 v1, v52, v64, 0 op_sel:[0,1,0] op_sel_hi:[0,1,0]
	buffer_store_dword v0, off, s[0:3], s32 offset:1224 ; 4-byte Folded Spill
	buffer_load_dword v0, off, s[0:3], s32 offset:648 ; 4-byte Folded Reload
	buffer_store_dword v1, off, s[0:3], s32 offset:644 ; 4-byte Folded Spill
	s_waitcnt vmcnt(0)
	v_or_b32_e32 v0, v64, v0
	v_fma_mixlo_f16 v0, v52, v0, 0 op_sel_hi:[0,1,0]
	buffer_store_dword v0, off, s[0:3], s32 offset:648 ; 4-byte Folded Spill
	buffer_load_dword v0, off, s[0:3], s32 offset:652 ; 4-byte Folded Reload
	s_waitcnt vmcnt(0)
	v_or_b32_e32 v0, v50, v0
	v_fma_mixlo_f16 v0, v52, v0, 0 op_sel_hi:[0,1,0]
	buffer_store_dword v0, off, s[0:3], s32 offset:640 ; 4-byte Folded Spill
	v_fma_mixlo_f16 v0, v52, v50, 0 op_sel:[0,1,0] op_sel_hi:[0,1,0]
	buffer_store_dword v0, off, s[0:3], s32 offset:636 ; 4-byte Folded Spill
	s_clause 0x1
	buffer_load_dword v0, off, s[0:3], s32 offset:616
	buffer_load_dword v1, off, s[0:3], s32 offset:624
	s_waitcnt vmcnt(0)
	v_or_b32_e32 v0, v1, v0
	v_fma_mixlo_f16 v1, v52, v1, 0 op_sel:[0,1,0] op_sel_hi:[0,1,0]
	v_fma_mixlo_f16 v0, v52, v0, 0 op_sel_hi:[0,1,0]
	buffer_store_dword v1, off, s[0:3], s32 offset:624 ; 4-byte Folded Spill
	buffer_store_dword v0, off, s[0:3], s32 offset:652 ; 4-byte Folded Spill
	s_clause 0x1
	buffer_load_dword v0, off, s[0:3], s32 offset:608
	buffer_load_dword v1, off, s[0:3], s32 offset:612
	s_waitcnt vmcnt(0)
	v_or_b32_e32 v0, v1, v0
	v_fma_mixlo_f16 v1, v52, v1, 0 op_sel:[0,1,0] op_sel_hi:[0,1,0]
	v_fma_mixlo_f16 v0, v52, v0, 0 op_sel_hi:[0,1,0]
	buffer_store_dword v1, off, s[0:3], s32 offset:1228 ; 4-byte Folded Spill
	;; [unrolled: 9-line block ×3, first 2 shown]
	buffer_store_dword v0, off, s[0:3], s32 offset:620 ; 4-byte Folded Spill
	s_clause 0x1
	buffer_load_dword v0, off, s[0:3], s32 offset:628
	buffer_load_dword v1, off, s[0:3], s32 offset:772
	s_waitcnt vmcnt(0)
	v_or_b32_e32 v0, v1, v0
	v_fma_mixlo_f16 v0, v52, v0, 0 op_sel_hi:[0,1,0]
	buffer_store_dword v0, off, s[0:3], s32 offset:612 ; 4-byte Folded Spill
	v_fma_mixlo_f16 v0, v52, v1, 0 op_sel:[0,1,0] op_sel_hi:[0,1,0]
	buffer_store_dword v0, off, s[0:3], s32 offset:608 ; 4-byte Folded Spill
	s_clause 0x1
	buffer_load_dword v0, off, s[0:3], s32 offset:588
	buffer_load_dword v1, off, s[0:3], s32 offset:596
	s_waitcnt vmcnt(0)
	v_or_b32_e32 v0, v1, v0
	v_fma_mixlo_f16 v120, v52, v1, 0 op_sel:[0,1,0] op_sel_hi:[0,1,0]
	v_fma_mixlo_f16 v111, v52, v0, 0 op_sel_hi:[0,1,0]
	s_clause 0x1
	buffer_load_dword v0, off, s[0:3], s32 offset:580
	buffer_load_dword v1, off, s[0:3], s32 offset:584
	s_waitcnt vmcnt(0)
	v_or_b32_e32 v0, v1, v0
	v_fma_mixlo_f16 v108, v52, v1, 0 op_sel:[0,1,0] op_sel_hi:[0,1,0]
	v_fma_mixlo_f16 v90, v52, v0, 0 op_sel_hi:[0,1,0]
	;; [unrolled: 7-line block ×3, first 2 shown]
	buffer_store_dword v1, off, s[0:3], s32 offset:588 ; 4-byte Folded Spill
	buffer_store_dword v0, off, s[0:3], s32 offset:592 ; 4-byte Folded Spill
	s_clause 0x1
	buffer_load_dword v0, off, s[0:3], s32 offset:600
	buffer_load_dword v1, off, s[0:3], s32 offset:768
	s_waitcnt vmcnt(0)
	v_or_b32_e32 v0, v1, v0
	v_fma_mixlo_f16 v0, v52, v0, 0 op_sel_hi:[0,1,0]
	buffer_store_dword v0, off, s[0:3], s32 offset:584 ; 4-byte Folded Spill
	v_fma_mixlo_f16 v0, v52, v1, 0 op_sel:[0,1,0] op_sel_hi:[0,1,0]
	buffer_store_dword v0, off, s[0:3], s32 offset:580 ; 4-byte Folded Spill
	s_clause 0x1
	buffer_load_dword v0, off, s[0:3], s32 offset:560
	buffer_load_dword v1, off, s[0:3], s32 offset:568
	s_waitcnt vmcnt(0)
	v_or_b32_e32 v0, v1, v0
	v_fma_mixlo_f16 v47, v52, v1, 0 op_sel:[0,1,0] op_sel_hi:[0,1,0]
	v_fma_mixlo_f16 v45, v52, v0, 0 op_sel_hi:[0,1,0]
	s_clause 0x1
	buffer_load_dword v0, off, s[0:3], s32 offset:552
	buffer_load_dword v1, off, s[0:3], s32 offset:556
	s_waitcnt vmcnt(0)
	v_or_b32_e32 v0, v1, v0
	v_fma_mixlo_f16 v44, v52, v1, 0 op_sel:[0,1,0] op_sel_hi:[0,1,0]
	v_fma_mixlo_f16 v43, v52, v0, 0 op_sel_hi:[0,1,0]
	;; [unrolled: 7-line block ×7, first 2 shown]
	buffer_store_dword v1, off, s[0:3], s32 offset:524 ; 4-byte Folded Spill
	s_clause 0x1
	buffer_load_dword v0, off, s[0:3], s32 offset:544
	buffer_load_dword v1, off, s[0:3], s32 offset:760
	s_waitcnt vmcnt(0)
	v_or_b32_e32 v0, v1, v0
	v_fma_mixlo_f16 v42, v52, v1, 0 op_sel:[0,1,0] op_sel_hi:[0,1,0]
	v_fma_mixlo_f16 v119, v52, v0, 0 op_sel_hi:[0,1,0]
	s_clause 0x1
	buffer_load_dword v0, off, s[0:3], s32 offset:504
	buffer_load_dword v1, off, s[0:3], s32 offset:512
	s_waitcnt vmcnt(0)
	v_or_b32_e32 v0, v1, v0
	v_fma_mixlo_f16 v100, v52, v1, 0 op_sel:[0,1,0] op_sel_hi:[0,1,0]
	v_fma_mixlo_f16 v98, v52, v0, 0 op_sel_hi:[0,1,0]
	;; [unrolled: 7-line block ×38, first 2 shown]
	s_clause 0x1
	buffer_load_dword v0, off, s[0:3], s32 offset:236
	buffer_load_dword v1, off, s[0:3], s32 offset:240
	v_and_b32_e32 v13, 0xffff, v13
	s_waitcnt vmcnt(0)
	v_or_b32_e32 v0, v1, v0
	v_fma_mixlo_f16 v12, v52, v1, 0 op_sel:[0,1,0] op_sel_hi:[0,1,0]
	v_fma_mixlo_f16 v40, v52, v0, 0 op_sel_hi:[0,1,0]
	s_clause 0x1
	buffer_load_dword v0, off, s[0:3], s32 offset:248
	buffer_load_dword v1, off, s[0:3], s32 offset:260
	v_and_b32_e32 v12, 0xffff, v12
	s_waitcnt vmcnt(0)
	v_or_b32_e32 v0, v1, v0
	v_fma_mixlo_f16 v19, v52, v1, 0 op_sel:[0,1,0] op_sel_hi:[0,1,0]
	v_fma_mixlo_f16 v20, v52, v0, 0 op_sel_hi:[0,1,0]
	s_clause 0x1
	buffer_load_dword v0, off, s[0:3], s32 offset:256
	buffer_load_dword v1, off, s[0:3], s32 offset:728
	s_waitcnt vmcnt(0)
	v_or_b32_e32 v0, v1, v0
	v_fma_mixlo_f16 v21, v52, v1, 0 op_sel:[0,1,0] op_sel_hi:[0,1,0]
	v_fma_mixlo_f16 v56, v52, v0, 0 op_sel_hi:[0,1,0]
	s_clause 0x1
	buffer_load_dword v0, off, s[0:3], s32 offset:216
	buffer_load_dword v1, off, s[0:3], s32 offset:224
	;; [unrolled: 7-line block ×5, first 2 shown]
	buffer_load_dword v2, off, s[0:3], s32 offset:1236
	s_waitcnt vmcnt(1)
	v_or_b32_e32 v0, v1, v0
	v_fma_mixlo_f16 v34, v52, v1, 0 op_sel:[0,1,0] op_sel_hi:[0,1,0]
	buffer_load_dword v1, off, s[0:3], s32 offset:776 ; 4-byte Folded Reload
	v_fma_mixlo_f16 v50, v52, v0, 0 op_sel_hi:[0,1,0]
	s_waitcnt vmcnt(0)
	v_sub_nc_u32_e32 v0, 1, v1
	v_cmp_lt_i32_e64 s5, v79, v1
	v_or_b32_e32 v1, v95, v28
	v_add_nc_u32_e32 v0, v0, v79
	v_add_nc_u32_e32 v79, 0x80, v79
	v_fma_mixlo_f16 v1, v52, v1, 0 op_sel_hi:[0,1,0]
	v_cvt_f32_i32_e32 v0, v0
	buffer_store_dword v1, off, s[0:3], s32 offset:224 ; 4-byte Folded Spill
	v_or_b32_e32 v1, v58, v11
	v_mul_f32_e32 v0, v2, v0
	v_fma_mixlo_f16 v2, v52, v95, 0 op_sel:[0,1,0] op_sel_hi:[0,1,0]
	v_fma_mixlo_f16 v1, v52, v1, 0 op_sel_hi:[0,1,0]
	buffer_store_dword v2, off, s[0:3], s32 offset:220 ; 4-byte Folded Spill
	v_fma_mixlo_f16 v2, v52, v58, 0 op_sel:[0,1,0] op_sel_hi:[0,1,0]
	buffer_store_dword v1, off, s[0:3], s32 offset:232 ; 4-byte Folded Spill
	v_or_b32_e32 v1, v63, v106
	v_cndmask_b32_e32 v58, 0, v0, vcc_lo
	buffer_store_dword v2, off, s[0:3], s32 offset:228 ; 4-byte Folded Spill
	v_fma_mixlo_f16 v2, v52, v63, 0 op_sel:[0,1,0] op_sel_hi:[0,1,0]
	v_fma_mixlo_f16 v1, v52, v1, 0 op_sel_hi:[0,1,0]
	buffer_store_dword v2, off, s[0:3], s32 offset:212 ; 4-byte Folded Spill
	buffer_store_dword v1, off, s[0:3], s32 offset:216 ; 4-byte Folded Spill
	v_or_b32_e32 v1, v122, v93
	v_fma_mixlo_f16 v1, v52, v1, 0 op_sel_hi:[0,1,0]
	v_fma_mixlo_f16 v52, v52, v122, 0 op_sel:[0,1,0] op_sel_hi:[0,1,0]
	buffer_store_dword v1, off, s[0:3], s32 offset:208 ; 4-byte Folded Spill
	ds_read_b128 v[0:3], v5
	s_waitcnt lgkmcnt(0)
	v_lshrrev_b32_e32 v11, 16, v0
	v_and_b32_e32 v0, 0xffff, v0
	;;#ASMSTART
	v_cvt_f32_f16 v7, v0;
	;;#ASMEND
	v_and_b32_e32 v0, 0xffff, v84
	;;#ASMSTART
	v_cvt_f32_f16 v39, v11;
	;;#ASMEND
	;;#ASMSTART
	v_cvt_f32_f16 v84, v0;
	;;#ASMEND
	v_and_b32_e32 v0, 0xffff, v71
	;;#ASMSTART
	v_cvt_f32_f16 v118, v0;
	;;#ASMEND
	v_lshrrev_b32_e32 v0, 16, v1
	v_and_b32_e32 v1, 0xffff, v1
	;;#ASMSTART
	v_cvt_f32_f16 v72, v1;
	;;#ASMEND
	;;#ASMSTART
	v_cvt_f32_f16 v71, v0;
	;;#ASMEND
	v_and_b32_e32 v0, 0xffff, v4
	;;#ASMSTART
	v_cvt_f32_f16 v4, v0;
	;;#ASMEND
	v_and_b32_e32 v0, 0xffff, v110
	;;#ASMSTART
	v_cvt_f32_f16 v110, v0;
	;;#ASMEND
	v_lshrrev_b32_e32 v0, 16, v2
	v_and_b32_e32 v1, 0xffff, v2
	;;#ASMSTART
	v_cvt_f32_f16 v95, v1;
	;;#ASMEND
	;;#ASMSTART
	v_cvt_f32_f16 v28, v0;
	;;#ASMEND
	v_and_b32_e32 v0, 0xffff, v104
	;; [unrolled: 16-line block ×3, first 2 shown]
	;;#ASMSTART
	v_cvt_f32_f16 v50, v0;
	;;#ASMEND
	v_and_b32_e32 v0, 0xffff, v34
	;;#ASMSTART
	v_cvt_f32_f16 v34, v0;
	;;#ASMEND
	ds_read_b128 v[0:3], v5 offset:16
	v_and_b32_e32 v11, 0xffff, v40
	s_waitcnt lgkmcnt(0)
	v_lshrrev_b32_e32 v6, 16, v0
	v_and_b32_e32 v0, 0xffff, v0
	;;#ASMSTART
	v_cvt_f32_f16 v0, v0;
	;;#ASMEND
	;;#ASMSTART
	v_cvt_f32_f16 v6, v6;
	;;#ASMEND
	;; [unrolled: 3-line block ×4, first 2 shown]
	v_mul_f32_e32 v11, v0, v11
	v_mul_f32_e32 v12, v6, v12
	v_lshrrev_b32_e32 v6, 16, v1
	v_and_b32_e32 v0, 0xffff, v1
	;;#ASMSTART
	v_cvt_f32_f16 v0, v0;
	;;#ASMEND
	;;#ASMSTART
	v_cvt_f32_f16 v1, v6;
	;;#ASMEND
	v_and_b32_e32 v6, 0xffff, v18
	;;#ASMSTART
	v_cvt_f32_f16 v6, v6;
	;;#ASMEND
	v_mul_f32_e32 v18, v0, v6
	;;#ASMSTART
	v_cvt_f32_f16 v13, v13;
	;;#ASMEND
	v_mul_f32_e32 v13, v1, v13
	v_lshrrev_b32_e32 v1, 16, v2
	v_and_b32_e32 v0, 0xffff, v2
	v_fmac_f32_e32 v18, v72, v4
	v_and_b32_e32 v2, 0xffff, v20
	v_and_b32_e32 v4, 0xffff, v19
	;;#ASMSTART
	v_cvt_f32_f16 v0, v0;
	;;#ASMEND
	;;#ASMSTART
	v_cvt_f32_f16 v1, v1;
	;;#ASMEND
	;; [unrolled: 3-line block ×4, first 2 shown]
	v_mul_f32_e32 v19, v1, v4
	v_mul_f32_e32 v20, v0, v2
	v_lshrrev_b32_e32 v1, 16, v3
	v_and_b32_e32 v0, 0xffff, v3
	v_and_b32_e32 v2, 0xffff, v56
	v_and_b32_e32 v3, 0xffff, v21
	;;#ASMSTART
	v_cvt_f32_f16 v0, v0;
	;;#ASMEND
	;;#ASMSTART
	v_cvt_f32_f16 v1, v1;
	;;#ASMEND
	;; [unrolled: 3-line block ×4, first 2 shown]
	v_fmac_f32_e32 v19, v28, v122
	v_mul_f32_e32 v28, v0, v2
	v_mul_f32_e32 v21, v1, v3
	ds_read_b128 v[0:3], v5 offset:32
	v_fmac_f32_e32 v11, v7, v84
	v_fmac_f32_e32 v12, v39, v118
	;; [unrolled: 1-line block ×5, first 2 shown]
	v_and_b32_e32 v6, 0xffff, v65
	v_and_b32_e32 v34, 0xffff, v64
	v_fmac_f32_e32 v28, v93, v50
	v_and_b32_e32 v7, 0xffff, v9
	s_waitcnt lgkmcnt(0)
	v_lshrrev_b32_e32 v4, 16, v0
	v_and_b32_e32 v0, 0xffff, v0
	;;#ASMSTART
	v_cvt_f32_f16 v0, v0;
	;;#ASMEND
	;;#ASMSTART
	v_cvt_f32_f16 v4, v4;
	;;#ASMEND
	;; [unrolled: 3-line block ×4, first 2 shown]
	v_fmac_f32_e32 v11, v0, v6
	v_fmac_f32_e32 v12, v4, v34
	v_lshrrev_b32_e32 v4, 16, v1
	v_and_b32_e32 v0, 0xffff, v1
	;;#ASMSTART
	v_cvt_f32_f16 v0, v0;
	;;#ASMEND
	;;#ASMSTART
	v_cvt_f32_f16 v1, v4;
	;;#ASMEND
	v_and_b32_e32 v4, 0xffff, v117
	v_and_b32_e32 v6, 0xffff, v46
	;;#ASMSTART
	v_cvt_f32_f16 v4, v4;
	;;#ASMEND
	;;#ASMSTART
	v_cvt_f32_f16 v6, v6;
	;;#ASMEND
	v_fmac_f32_e32 v18, v0, v4
	v_fmac_f32_e32 v13, v1, v6
	v_lshrrev_b32_e32 v1, 16, v2
	v_and_b32_e32 v0, 0xffff, v2
	v_and_b32_e32 v2, 0xffff, v116
	;;#ASMSTART
	v_cvt_f32_f16 v0, v0;
	;;#ASMEND
	;;#ASMSTART
	v_cvt_f32_f16 v1, v1;
	;;#ASMEND
	;;#ASMSTART
	v_cvt_f32_f16 v2, v2;
	;;#ASMEND
	v_and_b32_e32 v4, 0xffff, v37
	;;#ASMSTART
	v_cvt_f32_f16 v4, v4;
	;;#ASMEND
	v_fmac_f32_e32 v20, v0, v2
	v_fmac_f32_e32 v19, v1, v4
	v_lshrrev_b32_e32 v1, 16, v3
	v_and_b32_e32 v0, 0xffff, v3
	v_and_b32_e32 v2, 0xffff, v115
	;; [unrolled: 1-line block ×3, first 2 shown]
	;;#ASMSTART
	v_cvt_f32_f16 v0, v0;
	;;#ASMEND
	;;#ASMSTART
	v_cvt_f32_f16 v1, v1;
	;;#ASMEND
	;; [unrolled: 3-line block ×4, first 2 shown]
	v_fmac_f32_e32 v28, v0, v2
	v_fmac_f32_e32 v21, v1, v3
	ds_read_b128 v[0:3], v5 offset:48
	v_and_b32_e32 v6, 0xffff, v55
	v_and_b32_e32 v34, 0xffff, v54
	s_waitcnt lgkmcnt(0)
	v_lshrrev_b32_e32 v4, 16, v0
	v_and_b32_e32 v0, 0xffff, v0
	;;#ASMSTART
	v_cvt_f32_f16 v0, v0;
	;;#ASMEND
	;;#ASMSTART
	v_cvt_f32_f16 v4, v4;
	;;#ASMEND
	;; [unrolled: 3-line block ×4, first 2 shown]
	v_fmac_f32_e32 v11, v0, v6
	v_fmac_f32_e32 v12, v4, v34
	v_lshrrev_b32_e32 v4, 16, v1
	v_and_b32_e32 v0, 0xffff, v1
	;;#ASMSTART
	v_cvt_f32_f16 v0, v0;
	;;#ASMEND
	;;#ASMSTART
	v_cvt_f32_f16 v1, v4;
	;;#ASMEND
	v_and_b32_e32 v4, 0xffff, v103
	v_and_b32_e32 v6, 0xffff, v109
	;;#ASMSTART
	v_cvt_f32_f16 v4, v4;
	;;#ASMEND
	;;#ASMSTART
	v_cvt_f32_f16 v6, v6;
	;;#ASMEND
	v_fmac_f32_e32 v18, v0, v4
	v_fmac_f32_e32 v13, v1, v6
	v_lshrrev_b32_e32 v1, 16, v2
	v_and_b32_e32 v0, 0xffff, v2
	v_and_b32_e32 v2, 0xffff, v114
	;;#ASMSTART
	v_cvt_f32_f16 v0, v0;
	;;#ASMEND
	;;#ASMSTART
	v_cvt_f32_f16 v1, v1;
	;;#ASMEND
	;; [unrolled: 3-line block ×3, first 2 shown]
	v_and_b32_e32 v4, 0xffff, v67
	;;#ASMSTART
	v_cvt_f32_f16 v4, v4;
	;;#ASMEND
	v_fmac_f32_e32 v20, v0, v2
	v_fmac_f32_e32 v19, v1, v4
	v_lshrrev_b32_e32 v1, 16, v3
	v_and_b32_e32 v0, 0xffff, v3
	v_and_b32_e32 v2, 0xffff, v53
	v_and_b32_e32 v3, 0xffff, v80
	;;#ASMSTART
	v_cvt_f32_f16 v0, v0;
	;;#ASMEND
	;;#ASMSTART
	v_cvt_f32_f16 v1, v1;
	;;#ASMEND
	;; [unrolled: 3-line block ×4, first 2 shown]
	v_fmac_f32_e32 v28, v0, v2
	v_fmac_f32_e32 v21, v1, v3
	ds_read_b128 v[0:3], v5 offset:64
	v_and_b32_e32 v6, 0xffff, v8
	s_waitcnt lgkmcnt(0)
	v_lshrrev_b32_e32 v4, 16, v0
	v_and_b32_e32 v0, 0xffff, v0
	;;#ASMSTART
	v_cvt_f32_f16 v0, v0;
	;;#ASMEND
	;;#ASMSTART
	v_cvt_f32_f16 v4, v4;
	;;#ASMEND
	;; [unrolled: 3-line block ×4, first 2 shown]
	v_fmac_f32_e32 v11, v0, v6
	v_fmac_f32_e32 v12, v4, v7
	v_lshrrev_b32_e32 v4, 16, v1
	v_and_b32_e32 v0, 0xffff, v1
	;;#ASMSTART
	v_cvt_f32_f16 v0, v0;
	;;#ASMEND
	;;#ASMSTART
	v_cvt_f32_f16 v1, v4;
	;;#ASMEND
	v_and_b32_e32 v4, 0xffff, v10
	v_and_b32_e32 v6, 0xffff, v14
	;;#ASMSTART
	v_cvt_f32_f16 v4, v4;
	;;#ASMEND
	;;#ASMSTART
	v_cvt_f32_f16 v6, v6;
	;;#ASMEND
	v_fmac_f32_e32 v18, v0, v4
	v_fmac_f32_e32 v13, v1, v6
	v_lshrrev_b32_e32 v1, 16, v2
	v_and_b32_e32 v0, 0xffff, v2
	v_and_b32_e32 v2, 0xffff, v15
	;;#ASMSTART
	v_cvt_f32_f16 v0, v0;
	;;#ASMEND
	;;#ASMSTART
	v_cvt_f32_f16 v1, v1;
	;;#ASMEND
	;; [unrolled: 3-line block ×3, first 2 shown]
	v_and_b32_e32 v4, 0xffff, v16
	;;#ASMSTART
	v_cvt_f32_f16 v4, v4;
	;;#ASMEND
	v_fmac_f32_e32 v20, v0, v2
	v_fmac_f32_e32 v19, v1, v4
	v_lshrrev_b32_e32 v1, 16, v3
	v_and_b32_e32 v0, 0xffff, v3
	v_and_b32_e32 v2, 0xffff, v17
	v_and_b32_e32 v3, 0xffff, v22
	;;#ASMSTART
	v_cvt_f32_f16 v0, v0;
	;;#ASMEND
	;;#ASMSTART
	v_cvt_f32_f16 v1, v1;
	;;#ASMEND
	;; [unrolled: 3-line block ×4, first 2 shown]
	v_fmac_f32_e32 v28, v0, v2
	v_fmac_f32_e32 v21, v1, v3
	ds_read_b128 v[0:3], v5 offset:80
	v_and_b32_e32 v6, 0xffff, v23
	v_and_b32_e32 v7, 0xffff, v24
	s_waitcnt lgkmcnt(0)
	v_lshrrev_b32_e32 v4, 16, v0
	v_and_b32_e32 v0, 0xffff, v0
	;;#ASMSTART
	v_cvt_f32_f16 v0, v0;
	;;#ASMEND
	;;#ASMSTART
	v_cvt_f32_f16 v4, v4;
	;;#ASMEND
	;; [unrolled: 3-line block ×4, first 2 shown]
	v_fmac_f32_e32 v11, v0, v6
	v_fmac_f32_e32 v12, v4, v7
	v_lshrrev_b32_e32 v4, 16, v1
	v_and_b32_e32 v0, 0xffff, v1
	;;#ASMSTART
	v_cvt_f32_f16 v0, v0;
	;;#ASMEND
	;;#ASMSTART
	v_cvt_f32_f16 v1, v4;
	;;#ASMEND
	v_and_b32_e32 v4, 0xffff, v25
	v_and_b32_e32 v6, 0xffff, v26
	;;#ASMSTART
	v_cvt_f32_f16 v4, v4;
	;;#ASMEND
	;;#ASMSTART
	v_cvt_f32_f16 v6, v6;
	;;#ASMEND
	v_fmac_f32_e32 v18, v0, v4
	v_fmac_f32_e32 v13, v1, v6
	v_lshrrev_b32_e32 v1, 16, v2
	v_and_b32_e32 v0, 0xffff, v2
	v_and_b32_e32 v2, 0xffff, v27
	;;#ASMSTART
	v_cvt_f32_f16 v0, v0;
	;;#ASMEND
	;;#ASMSTART
	v_cvt_f32_f16 v1, v1;
	;;#ASMEND
	;; [unrolled: 3-line block ×3, first 2 shown]
	v_and_b32_e32 v4, 0xffff, v29
	;;#ASMSTART
	v_cvt_f32_f16 v4, v4;
	;;#ASMEND
	v_fmac_f32_e32 v20, v0, v2
	v_fmac_f32_e32 v19, v1, v4
	v_lshrrev_b32_e32 v1, 16, v3
	v_and_b32_e32 v0, 0xffff, v3
	v_and_b32_e32 v2, 0xffff, v30
	;; [unrolled: 1-line block ×3, first 2 shown]
	;;#ASMSTART
	v_cvt_f32_f16 v0, v0;
	;;#ASMEND
	;;#ASMSTART
	v_cvt_f32_f16 v1, v1;
	;;#ASMEND
	;; [unrolled: 3-line block ×4, first 2 shown]
	v_fmac_f32_e32 v28, v0, v2
	v_fmac_f32_e32 v21, v1, v3
	ds_read_b128 v[0:3], v5 offset:96
	v_and_b32_e32 v6, 0xffff, v32
	v_and_b32_e32 v7, 0xffff, v33
	s_waitcnt lgkmcnt(0)
	v_lshrrev_b32_e32 v4, 16, v0
	v_and_b32_e32 v0, 0xffff, v0
	;;#ASMSTART
	v_cvt_f32_f16 v0, v0;
	;;#ASMEND
	;;#ASMSTART
	v_cvt_f32_f16 v4, v4;
	;;#ASMEND
	;; [unrolled: 3-line block ×4, first 2 shown]
	v_fmac_f32_e32 v11, v0, v6
	v_fmac_f32_e32 v12, v4, v7
	v_lshrrev_b32_e32 v4, 16, v1
	v_and_b32_e32 v0, 0xffff, v1
	;;#ASMSTART
	v_cvt_f32_f16 v0, v0;
	;;#ASMEND
	;;#ASMSTART
	v_cvt_f32_f16 v1, v4;
	;;#ASMEND
	v_and_b32_e32 v4, 0xffff, v35
	v_and_b32_e32 v6, 0xffff, v36
	;;#ASMSTART
	v_cvt_f32_f16 v4, v4;
	;;#ASMEND
	;;#ASMSTART
	v_cvt_f32_f16 v6, v6;
	;;#ASMEND
	v_fmac_f32_e32 v18, v0, v4
	v_fmac_f32_e32 v13, v1, v6
	v_lshrrev_b32_e32 v1, 16, v2
	v_and_b32_e32 v0, 0xffff, v2
	v_and_b32_e32 v2, 0xffff, v38
	;;#ASMSTART
	v_cvt_f32_f16 v0, v0;
	;;#ASMEND
	;;#ASMSTART
	v_cvt_f32_f16 v1, v1;
	;;#ASMEND
	;; [unrolled: 3-line block ×3, first 2 shown]
	v_and_b32_e32 v4, 0xffff, v48
	;;#ASMSTART
	v_cvt_f32_f16 v4, v4;
	;;#ASMEND
	v_fmac_f32_e32 v20, v0, v2
	v_fmac_f32_e32 v19, v1, v4
	v_lshrrev_b32_e32 v1, 16, v3
	v_and_b32_e32 v0, 0xffff, v3
	v_and_b32_e32 v2, 0xffff, v49
	;; [unrolled: 1-line block ×3, first 2 shown]
	;;#ASMSTART
	v_cvt_f32_f16 v0, v0;
	;;#ASMEND
	;;#ASMSTART
	v_cvt_f32_f16 v1, v1;
	;;#ASMEND
	;; [unrolled: 3-line block ×4, first 2 shown]
	v_fmac_f32_e32 v28, v0, v2
	v_fmac_f32_e32 v21, v1, v3
	ds_read_b128 v[0:3], v5 offset:112
	v_and_b32_e32 v6, 0xffff, v41
	v_and_b32_e32 v7, 0xffff, v125
	s_waitcnt lgkmcnt(0)
	v_lshrrev_b32_e32 v4, 16, v0
	v_and_b32_e32 v0, 0xffff, v0
	;;#ASMSTART
	v_cvt_f32_f16 v0, v0;
	;;#ASMEND
	;;#ASMSTART
	v_cvt_f32_f16 v4, v4;
	;;#ASMEND
	;; [unrolled: 3-line block ×4, first 2 shown]
	v_fmac_f32_e32 v11, v0, v6
	v_fmac_f32_e32 v12, v4, v7
	v_lshrrev_b32_e32 v4, 16, v1
	v_and_b32_e32 v0, 0xffff, v1
	;;#ASMSTART
	v_cvt_f32_f16 v0, v0;
	;;#ASMEND
	;;#ASMSTART
	v_cvt_f32_f16 v1, v4;
	;;#ASMEND
	v_and_b32_e32 v4, 0xffff, v82
	v_and_b32_e32 v6, 0xffff, v66
	;;#ASMSTART
	v_cvt_f32_f16 v4, v4;
	;;#ASMEND
	;;#ASMSTART
	v_cvt_f32_f16 v6, v6;
	;;#ASMEND
	v_fmac_f32_e32 v18, v0, v4
	v_fmac_f32_e32 v13, v1, v6
	v_lshrrev_b32_e32 v1, 16, v2
	v_and_b32_e32 v0, 0xffff, v2
	v_and_b32_e32 v2, 0xffff, v68
	;;#ASMSTART
	v_cvt_f32_f16 v0, v0;
	;;#ASMEND
	;;#ASMSTART
	v_cvt_f32_f16 v1, v1;
	;;#ASMEND
	;;#ASMSTART
	v_cvt_f32_f16 v2, v2;
	;;#ASMEND
	v_and_b32_e32 v4, 0xffff, v124
	;;#ASMSTART
	v_cvt_f32_f16 v4, v4;
	;;#ASMEND
	v_fmac_f32_e32 v20, v0, v2
	v_fmac_f32_e32 v19, v1, v4
	v_lshrrev_b32_e32 v1, 16, v3
	v_and_b32_e32 v0, 0xffff, v3
	v_and_b32_e32 v2, 0xffff, v83
	;; [unrolled: 1-line block ×3, first 2 shown]
	;;#ASMSTART
	v_cvt_f32_f16 v0, v0;
	;;#ASMEND
	;;#ASMSTART
	v_cvt_f32_f16 v1, v1;
	;;#ASMEND
	;; [unrolled: 3-line block ×4, first 2 shown]
	v_fmac_f32_e32 v28, v0, v2
	v_fmac_f32_e32 v21, v1, v3
	ds_read_b128 v[0:3], v5 offset:128
	v_and_b32_e32 v6, 0xffff, v85
	v_and_b32_e32 v7, 0xffff, v70
	s_waitcnt lgkmcnt(0)
	v_lshrrev_b32_e32 v4, 16, v0
	v_and_b32_e32 v0, 0xffff, v0
	;;#ASMSTART
	v_cvt_f32_f16 v0, v0;
	;;#ASMEND
	;;#ASMSTART
	v_cvt_f32_f16 v4, v4;
	;;#ASMEND
	;; [unrolled: 3-line block ×4, first 2 shown]
	v_fmac_f32_e32 v11, v0, v6
	v_fmac_f32_e32 v12, v4, v7
	v_lshrrev_b32_e32 v4, 16, v1
	v_and_b32_e32 v0, 0xffff, v1
	;;#ASMSTART
	v_cvt_f32_f16 v0, v0;
	;;#ASMEND
	;;#ASMSTART
	v_cvt_f32_f16 v1, v4;
	;;#ASMEND
	v_and_b32_e32 v4, 0xffff, v96
	v_and_b32_e32 v6, 0xffff, v105
	;;#ASMSTART
	v_cvt_f32_f16 v4, v4;
	;;#ASMEND
	;;#ASMSTART
	v_cvt_f32_f16 v6, v6;
	;;#ASMEND
	v_fmac_f32_e32 v18, v0, v4
	v_fmac_f32_e32 v13, v1, v6
	v_lshrrev_b32_e32 v1, 16, v2
	v_and_b32_e32 v0, 0xffff, v2
	v_and_b32_e32 v2, 0xffff, v92
	;;#ASMSTART
	v_cvt_f32_f16 v0, v0;
	;;#ASMEND
	;;#ASMSTART
	v_cvt_f32_f16 v1, v1;
	;;#ASMEND
	;; [unrolled: 3-line block ×3, first 2 shown]
	v_and_b32_e32 v4, 0xffff, v59
	;;#ASMSTART
	v_cvt_f32_f16 v4, v4;
	;;#ASMEND
	v_fmac_f32_e32 v20, v0, v2
	v_fmac_f32_e32 v19, v1, v4
	v_lshrrev_b32_e32 v1, 16, v3
	v_and_b32_e32 v0, 0xffff, v3
	v_and_b32_e32 v2, 0xffff, v94
	v_and_b32_e32 v3, 0xffff, v107
	;;#ASMSTART
	v_cvt_f32_f16 v0, v0;
	;;#ASMEND
	;;#ASMSTART
	v_cvt_f32_f16 v1, v1;
	;;#ASMEND
	;; [unrolled: 3-line block ×4, first 2 shown]
	v_fmac_f32_e32 v28, v0, v2
	v_fmac_f32_e32 v21, v1, v3
	ds_read_b128 v[0:3], v5 offset:144
	v_and_b32_e32 v6, 0xffff, v91
	v_and_b32_e32 v7, 0xffff, v81
	s_waitcnt lgkmcnt(0)
	v_lshrrev_b32_e32 v4, 16, v0
	v_and_b32_e32 v0, 0xffff, v0
	;;#ASMSTART
	v_cvt_f32_f16 v0, v0;
	;;#ASMEND
	;;#ASMSTART
	v_cvt_f32_f16 v4, v4;
	;;#ASMEND
	;; [unrolled: 3-line block ×4, first 2 shown]
	v_fmac_f32_e32 v11, v0, v6
	v_fmac_f32_e32 v12, v4, v7
	v_lshrrev_b32_e32 v4, 16, v1
	v_and_b32_e32 v0, 0xffff, v1
	;;#ASMSTART
	v_cvt_f32_f16 v0, v0;
	;;#ASMEND
	;;#ASMSTART
	v_cvt_f32_f16 v1, v4;
	;;#ASMEND
	v_and_b32_e32 v4, 0xffff, v86
	v_and_b32_e32 v6, 0xffff, v89
	;;#ASMSTART
	v_cvt_f32_f16 v4, v4;
	;;#ASMEND
	;;#ASMSTART
	v_cvt_f32_f16 v6, v6;
	;;#ASMEND
	v_fmac_f32_e32 v18, v0, v4
	v_fmac_f32_e32 v13, v1, v6
	v_lshrrev_b32_e32 v1, 16, v2
	v_and_b32_e32 v0, 0xffff, v2
	v_and_b32_e32 v2, 0xffff, v87
	;;#ASMSTART
	v_cvt_f32_f16 v0, v0;
	;;#ASMEND
	;;#ASMSTART
	v_cvt_f32_f16 v1, v1;
	;;#ASMEND
	;; [unrolled: 3-line block ×3, first 2 shown]
	v_and_b32_e32 v4, 0xffff, v123
	;;#ASMSTART
	v_cvt_f32_f16 v4, v4;
	;;#ASMEND
	v_fmac_f32_e32 v20, v0, v2
	v_fmac_f32_e32 v19, v1, v4
	v_lshrrev_b32_e32 v1, 16, v3
	v_and_b32_e32 v0, 0xffff, v3
	v_and_b32_e32 v2, 0xffff, v121
	;; [unrolled: 1-line block ×3, first 2 shown]
	;;#ASMSTART
	v_cvt_f32_f16 v0, v0;
	;;#ASMEND
	;;#ASMSTART
	v_cvt_f32_f16 v1, v1;
	;;#ASMEND
	;; [unrolled: 3-line block ×4, first 2 shown]
	v_fmac_f32_e32 v28, v0, v2
	v_fmac_f32_e32 v21, v1, v3
	ds_read_b128 v[0:3], v5 offset:160
	v_and_b32_e32 v6, 0xffff, v78
	v_and_b32_e32 v7, 0xffff, v76
	s_waitcnt lgkmcnt(0)
	v_lshrrev_b32_e32 v4, 16, v0
	v_and_b32_e32 v0, 0xffff, v0
	;;#ASMSTART
	v_cvt_f32_f16 v0, v0;
	;;#ASMEND
	;;#ASMSTART
	v_cvt_f32_f16 v4, v4;
	;;#ASMEND
	;; [unrolled: 3-line block ×4, first 2 shown]
	v_fmac_f32_e32 v11, v0, v6
	v_fmac_f32_e32 v12, v4, v7
	v_lshrrev_b32_e32 v4, 16, v1
	v_and_b32_e32 v0, 0xffff, v1
	;;#ASMSTART
	v_cvt_f32_f16 v0, v0;
	;;#ASMEND
	;;#ASMSTART
	v_cvt_f32_f16 v1, v4;
	;;#ASMEND
	v_and_b32_e32 v4, 0xffff, v98
	v_and_b32_e32 v6, 0xffff, v100
	;;#ASMSTART
	v_cvt_f32_f16 v4, v4;
	;;#ASMEND
	;;#ASMSTART
	v_cvt_f32_f16 v6, v6;
	;;#ASMEND
	v_fmac_f32_e32 v18, v0, v4
	v_fmac_f32_e32 v13, v1, v6
	v_lshrrev_b32_e32 v1, 16, v2
	v_and_b32_e32 v0, 0xffff, v2
	v_and_b32_e32 v2, 0xffff, v101
	;;#ASMSTART
	v_cvt_f32_f16 v0, v0;
	;;#ASMEND
	;;#ASMSTART
	v_cvt_f32_f16 v1, v1;
	;;#ASMEND
	;; [unrolled: 3-line block ×3, first 2 shown]
	v_and_b32_e32 v4, 0xffff, v60
	;;#ASMSTART
	v_cvt_f32_f16 v4, v4;
	;;#ASMEND
	v_fmac_f32_e32 v20, v0, v2
	v_fmac_f32_e32 v19, v1, v4
	v_lshrrev_b32_e32 v1, 16, v3
	v_and_b32_e32 v0, 0xffff, v3
	v_and_b32_e32 v2, 0xffff, v102
	;; [unrolled: 1-line block ×3, first 2 shown]
	;;#ASMSTART
	v_cvt_f32_f16 v0, v0;
	;;#ASMEND
	;;#ASMSTART
	v_cvt_f32_f16 v1, v1;
	;;#ASMEND
	;; [unrolled: 3-line block ×4, first 2 shown]
	v_fmac_f32_e32 v28, v0, v2
	v_fmac_f32_e32 v21, v1, v3
	ds_read_b128 v[0:3], v5 offset:176
	v_and_b32_e32 v6, 0xffff, v75
	v_and_b32_e32 v7, 0xffff, v73
	s_waitcnt lgkmcnt(0)
	v_lshrrev_b32_e32 v4, 16, v0
	v_and_b32_e32 v0, 0xffff, v0
	;;#ASMSTART
	v_cvt_f32_f16 v0, v0;
	;;#ASMEND
	;;#ASMSTART
	v_cvt_f32_f16 v4, v4;
	;;#ASMEND
	;; [unrolled: 3-line block ×4, first 2 shown]
	v_fmac_f32_e32 v11, v0, v6
	v_fmac_f32_e32 v12, v4, v7
	v_lshrrev_b32_e32 v4, 16, v1
	v_and_b32_e32 v0, 0xffff, v1
	;;#ASMSTART
	v_cvt_f32_f16 v0, v0;
	;;#ASMEND
	;;#ASMSTART
	v_cvt_f32_f16 v1, v4;
	;;#ASMEND
	v_and_b32_e32 v4, 0xffff, v62
	v_and_b32_e32 v6, 0xffff, v127
	;;#ASMSTART
	v_cvt_f32_f16 v4, v4;
	;;#ASMEND
	;;#ASMSTART
	v_cvt_f32_f16 v6, v6;
	;;#ASMEND
	v_fmac_f32_e32 v18, v0, v4
	v_fmac_f32_e32 v13, v1, v6
	v_lshrrev_b32_e32 v1, 16, v2
	v_and_b32_e32 v0, 0xffff, v2
	v_and_b32_e32 v2, 0xffff, v113
	;;#ASMSTART
	v_cvt_f32_f16 v0, v0;
	;;#ASMEND
	;;#ASMSTART
	v_cvt_f32_f16 v1, v1;
	;;#ASMEND
	;; [unrolled: 3-line block ×3, first 2 shown]
	buffer_load_dword v4, off, s[0:3], s32 offset:524 ; 4-byte Folded Reload
	v_fmac_f32_e32 v20, v0, v2
	v_and_b32_e32 v0, 0xffff, v3
	v_and_b32_e32 v2, 0xffff, v119
	v_and_b32_e32 v6, 0xffff, v43
	v_and_b32_e32 v7, 0xffff, v44
	s_waitcnt vmcnt(0)
	v_and_b32_e32 v4, 0xffff, v4
	;;#ASMSTART
	v_cvt_f32_f16 v4, v4;
	;;#ASMEND
	v_fmac_f32_e32 v19, v1, v4
	v_lshrrev_b32_e32 v1, 16, v3
	v_and_b32_e32 v3, 0xffff, v42
	;;#ASMSTART
	v_cvt_f32_f16 v0, v0;
	;;#ASMEND
	;;#ASMSTART
	v_cvt_f32_f16 v1, v1;
	;;#ASMEND
	;; [unrolled: 3-line block ×4, first 2 shown]
	v_fmac_f32_e32 v28, v0, v2
	v_fmac_f32_e32 v21, v1, v3
	ds_read_b128 v[0:3], v5 offset:192
	s_waitcnt lgkmcnt(0)
	v_lshrrev_b32_e32 v4, 16, v0
	v_and_b32_e32 v0, 0xffff, v0
	;;#ASMSTART
	v_cvt_f32_f16 v0, v0;
	;;#ASMEND
	;;#ASMSTART
	v_cvt_f32_f16 v4, v4;
	;;#ASMEND
	;; [unrolled: 3-line block ×4, first 2 shown]
	v_fmac_f32_e32 v11, v0, v6
	v_fmac_f32_e32 v12, v4, v7
	v_lshrrev_b32_e32 v4, 16, v1
	v_and_b32_e32 v0, 0xffff, v1
	;;#ASMSTART
	v_cvt_f32_f16 v0, v0;
	;;#ASMEND
	;;#ASMSTART
	v_cvt_f32_f16 v1, v4;
	;;#ASMEND
	v_and_b32_e32 v4, 0xffff, v45
	v_and_b32_e32 v6, 0xffff, v47
	;;#ASMSTART
	v_cvt_f32_f16 v4, v4;
	;;#ASMEND
	;;#ASMSTART
	v_cvt_f32_f16 v6, v6;
	;;#ASMEND
	v_fmac_f32_e32 v18, v0, v4
	v_fmac_f32_e32 v13, v1, v6
	v_lshrrev_b32_e32 v1, 16, v2
	v_and_b32_e32 v0, 0xffff, v2
	v_and_b32_e32 v2, 0xffff, v57
	;;#ASMSTART
	v_cvt_f32_f16 v0, v0;
	;;#ASMEND
	;;#ASMSTART
	v_cvt_f32_f16 v1, v1;
	;;#ASMEND
	;; [unrolled: 3-line block ×3, first 2 shown]
	v_and_b32_e32 v4, 0xffff, v61
	;;#ASMSTART
	v_cvt_f32_f16 v4, v4;
	;;#ASMEND
	v_fmac_f32_e32 v20, v0, v2
	v_fmac_f32_e32 v19, v1, v4
	v_lshrrev_b32_e32 v1, 16, v3
	v_and_b32_e32 v0, 0xffff, v3
	v_and_b32_e32 v2, 0xffff, v74
	;; [unrolled: 1-line block ×3, first 2 shown]
	;;#ASMSTART
	v_cvt_f32_f16 v0, v0;
	;;#ASMEND
	;;#ASMSTART
	v_cvt_f32_f16 v1, v1;
	;;#ASMEND
	;;#ASMSTART
	v_cvt_f32_f16 v2, v2;
	;;#ASMEND
	;;#ASMSTART
	v_cvt_f32_f16 v3, v3;
	;;#ASMEND
	v_fmac_f32_e32 v28, v0, v2
	v_fmac_f32_e32 v21, v1, v3
	ds_read_b128 v[0:3], v5 offset:208
	v_and_b32_e32 v6, 0xffff, v90
	v_and_b32_e32 v7, 0xffff, v108
	s_waitcnt lgkmcnt(0)
	v_lshrrev_b32_e32 v4, 16, v0
	v_and_b32_e32 v0, 0xffff, v0
	;;#ASMSTART
	v_cvt_f32_f16 v0, v0;
	;;#ASMEND
	;;#ASMSTART
	v_cvt_f32_f16 v4, v4;
	;;#ASMEND
	;; [unrolled: 3-line block ×4, first 2 shown]
	v_fmac_f32_e32 v11, v0, v6
	v_fmac_f32_e32 v12, v4, v7
	v_lshrrev_b32_e32 v4, 16, v1
	v_and_b32_e32 v0, 0xffff, v1
	;;#ASMSTART
	v_cvt_f32_f16 v0, v0;
	;;#ASMEND
	;;#ASMSTART
	v_cvt_f32_f16 v1, v4;
	;;#ASMEND
	v_and_b32_e32 v4, 0xffff, v111
	v_and_b32_e32 v6, 0xffff, v120
	;;#ASMSTART
	v_cvt_f32_f16 v4, v4;
	;;#ASMEND
	;;#ASMSTART
	v_cvt_f32_f16 v6, v6;
	;;#ASMEND
	v_fmac_f32_e32 v18, v0, v4
	v_fmac_f32_e32 v13, v1, v6
	v_lshrrev_b32_e32 v1, 16, v2
	v_and_b32_e32 v0, 0xffff, v2
	;;#ASMSTART
	v_cvt_f32_f16 v0, v0;
	;;#ASMEND
	;;#ASMSTART
	v_cvt_f32_f16 v1, v1;
	;;#ASMEND
	buffer_load_dword v2, off, s[0:3], s32 offset:592 ; 4-byte Folded Reload
	s_waitcnt vmcnt(0)
	v_and_b32_e32 v2, 0xffff, v2
	;;#ASMSTART
	v_cvt_f32_f16 v2, v2;
	;;#ASMEND
	buffer_load_dword v4, off, s[0:3], s32 offset:588 ; 4-byte Folded Reload
	v_fmac_f32_e32 v20, v0, v2
	v_and_b32_e32 v0, 0xffff, v3
	s_waitcnt vmcnt(0)
	v_and_b32_e32 v4, 0xffff, v4
	;;#ASMSTART
	v_cvt_f32_f16 v4, v4;
	;;#ASMEND
	v_fmac_f32_e32 v19, v1, v4
	v_lshrrev_b32_e32 v1, 16, v3
	;;#ASMSTART
	v_cvt_f32_f16 v0, v0;
	;;#ASMEND
	;;#ASMSTART
	v_cvt_f32_f16 v1, v1;
	;;#ASMEND
	buffer_load_dword v2, off, s[0:3], s32 offset:584 ; 4-byte Folded Reload
	s_waitcnt vmcnt(0)
	v_and_b32_e32 v2, 0xffff, v2
	;;#ASMSTART
	v_cvt_f32_f16 v2, v2;
	;;#ASMEND
	buffer_load_dword v3, off, s[0:3], s32 offset:580 ; 4-byte Folded Reload
	v_fmac_f32_e32 v28, v0, v2
	s_waitcnt vmcnt(0)
	v_and_b32_e32 v3, 0xffff, v3
	;;#ASMSTART
	v_cvt_f32_f16 v3, v3;
	;;#ASMEND
	v_fmac_f32_e32 v21, v1, v3
	ds_read_b128 v[0:3], v5 offset:224
	s_waitcnt lgkmcnt(0)
	v_lshrrev_b32_e32 v4, 16, v0
	v_and_b32_e32 v0, 0xffff, v0
	;;#ASMSTART
	v_cvt_f32_f16 v0, v0;
	;;#ASMEND
	;;#ASMSTART
	v_cvt_f32_f16 v4, v4;
	;;#ASMEND
	buffer_load_dword v6, off, s[0:3], s32 offset:1232 ; 4-byte Folded Reload
	s_waitcnt vmcnt(0)
	v_and_b32_e32 v6, 0xffff, v6
	;;#ASMSTART
	v_cvt_f32_f16 v6, v6;
	;;#ASMEND
	buffer_load_dword v7, off, s[0:3], s32 offset:1228 ; 4-byte Folded Reload
	v_fmac_f32_e32 v11, v0, v6
	v_and_b32_e32 v0, 0xffff, v1
	s_waitcnt vmcnt(0)
	v_and_b32_e32 v7, 0xffff, v7
	;;#ASMSTART
	v_cvt_f32_f16 v7, v7;
	;;#ASMEND
	v_fmac_f32_e32 v12, v4, v7
	v_lshrrev_b32_e32 v4, 16, v1
	;;#ASMSTART
	v_cvt_f32_f16 v0, v0;
	;;#ASMEND
	;;#ASMSTART
	v_cvt_f32_f16 v1, v4;
	;;#ASMEND
	buffer_load_dword v4, off, s[0:3], s32 offset:652 ; 4-byte Folded Reload
	s_waitcnt vmcnt(0)
	v_and_b32_e32 v4, 0xffff, v4
	;;#ASMSTART
	v_cvt_f32_f16 v4, v4;
	;;#ASMEND
	buffer_load_dword v6, off, s[0:3], s32 offset:624 ; 4-byte Folded Reload
	v_fmac_f32_e32 v18, v0, v4
	v_and_b32_e32 v0, 0xffff, v2
	s_waitcnt vmcnt(0)
	v_and_b32_e32 v6, 0xffff, v6
	;;#ASMSTART
	v_cvt_f32_f16 v6, v6;
	;;#ASMEND
	v_fmac_f32_e32 v13, v1, v6
	v_lshrrev_b32_e32 v1, 16, v2
	;; [unrolled: 22-line block ×3, first 2 shown]
	;;#ASMSTART
	v_cvt_f32_f16 v0, v0;
	;;#ASMEND
	;;#ASMSTART
	v_cvt_f32_f16 v1, v1;
	;;#ASMEND
	buffer_load_dword v2, off, s[0:3], s32 offset:612 ; 4-byte Folded Reload
	s_waitcnt vmcnt(0)
	v_and_b32_e32 v2, 0xffff, v2
	;;#ASMSTART
	v_cvt_f32_f16 v2, v2;
	;;#ASMEND
	buffer_load_dword v3, off, s[0:3], s32 offset:608 ; 4-byte Folded Reload
	v_fmac_f32_e32 v28, v0, v2
	s_waitcnt vmcnt(0)
	v_and_b32_e32 v3, 0xffff, v3
	;;#ASMSTART
	v_cvt_f32_f16 v3, v3;
	;;#ASMEND
	v_fmac_f32_e32 v21, v1, v3
	ds_read_b128 v[0:3], v5 offset:240
	s_waitcnt lgkmcnt(0)
	v_lshrrev_b32_e32 v4, 16, v0
	v_and_b32_e32 v0, 0xffff, v0
	;;#ASMSTART
	v_cvt_f32_f16 v0, v0;
	;;#ASMEND
	;;#ASMSTART
	v_cvt_f32_f16 v4, v4;
	;;#ASMEND
	buffer_load_dword v6, off, s[0:3], s32 offset:1224 ; 4-byte Folded Reload
	s_waitcnt vmcnt(0)
	v_and_b32_e32 v6, 0xffff, v6
	;;#ASMSTART
	v_cvt_f32_f16 v6, v6;
	;;#ASMEND
	buffer_load_dword v7, off, s[0:3], s32 offset:1220 ; 4-byte Folded Reload
	v_fmac_f32_e32 v11, v0, v6
	v_and_b32_e32 v0, 0xffff, v1
	s_waitcnt vmcnt(0)
	v_and_b32_e32 v7, 0xffff, v7
	;;#ASMSTART
	v_cvt_f32_f16 v7, v7;
	;;#ASMEND
	v_fmac_f32_e32 v12, v4, v7
	v_lshrrev_b32_e32 v4, 16, v1
	;;#ASMSTART
	v_cvt_f32_f16 v0, v0;
	;;#ASMEND
	;;#ASMSTART
	v_cvt_f32_f16 v1, v4;
	;;#ASMEND
	buffer_load_dword v4, off, s[0:3], s32 offset:1216 ; 4-byte Folded Reload
	s_waitcnt vmcnt(0)
	v_and_b32_e32 v4, 0xffff, v4
	;;#ASMSTART
	v_cvt_f32_f16 v4, v4;
	;;#ASMEND
	buffer_load_dword v6, off, s[0:3], s32 offset:668 ; 4-byte Folded Reload
	v_fmac_f32_e32 v18, v0, v4
	v_and_b32_e32 v0, 0xffff, v2
	s_waitcnt vmcnt(0)
	v_and_b32_e32 v6, 0xffff, v6
	;;#ASMSTART
	v_cvt_f32_f16 v6, v6;
	;;#ASMEND
	v_fmac_f32_e32 v13, v1, v6
	v_lshrrev_b32_e32 v1, 16, v2
	;; [unrolled: 22-line block ×3, first 2 shown]
	;;#ASMSTART
	v_cvt_f32_f16 v0, v0;
	;;#ASMEND
	;;#ASMSTART
	v_cvt_f32_f16 v1, v1;
	;;#ASMEND
	buffer_load_dword v2, off, s[0:3], s32 offset:640 ; 4-byte Folded Reload
	s_waitcnt vmcnt(0)
	v_and_b32_e32 v2, 0xffff, v2
	;;#ASMSTART
	v_cvt_f32_f16 v2, v2;
	;;#ASMEND
	buffer_load_dword v3, off, s[0:3], s32 offset:636 ; 4-byte Folded Reload
	v_fmac_f32_e32 v28, v0, v2
	s_waitcnt vmcnt(0)
	v_and_b32_e32 v3, 0xffff, v3
	;;#ASMSTART
	v_cvt_f32_f16 v3, v3;
	;;#ASMEND
	v_fmac_f32_e32 v21, v1, v3
	ds_read_b128 v[0:3], v5 offset:256
	s_waitcnt lgkmcnt(0)
	v_lshrrev_b32_e32 v4, 16, v0
	v_and_b32_e32 v0, 0xffff, v0
	;;#ASMSTART
	v_cvt_f32_f16 v0, v0;
	;;#ASMEND
	;;#ASMSTART
	v_cvt_f32_f16 v4, v4;
	;;#ASMEND
	buffer_load_dword v6, off, s[0:3], s32 offset:1212 ; 4-byte Folded Reload
	s_waitcnt vmcnt(0)
	v_and_b32_e32 v6, 0xffff, v6
	;;#ASMSTART
	v_cvt_f32_f16 v6, v6;
	;;#ASMEND
	buffer_load_dword v7, off, s[0:3], s32 offset:1208 ; 4-byte Folded Reload
	v_fmac_f32_e32 v11, v0, v6
	v_and_b32_e32 v0, 0xffff, v1
	s_waitcnt vmcnt(0)
	v_and_b32_e32 v7, 0xffff, v7
	;;#ASMSTART
	v_cvt_f32_f16 v7, v7;
	;;#ASMEND
	v_fmac_f32_e32 v12, v4, v7
	v_lshrrev_b32_e32 v4, 16, v1
	;;#ASMSTART
	v_cvt_f32_f16 v0, v0;
	;;#ASMEND
	;;#ASMSTART
	v_cvt_f32_f16 v1, v4;
	;;#ASMEND
	buffer_load_dword v4, off, s[0:3], s32 offset:1204 ; 4-byte Folded Reload
	s_waitcnt vmcnt(0)
	v_and_b32_e32 v4, 0xffff, v4
	;;#ASMSTART
	v_cvt_f32_f16 v4, v4;
	;;#ASMEND
	buffer_load_dword v6, off, s[0:3], s32 offset:1200 ; 4-byte Folded Reload
	v_fmac_f32_e32 v18, v0, v4
	v_and_b32_e32 v0, 0xffff, v2
	s_waitcnt vmcnt(0)
	v_and_b32_e32 v6, 0xffff, v6
	;;#ASMSTART
	v_cvt_f32_f16 v6, v6;
	;;#ASMEND
	v_fmac_f32_e32 v13, v1, v6
	v_lshrrev_b32_e32 v1, 16, v2
	;; [unrolled: 22-line block ×3, first 2 shown]
	;;#ASMSTART
	v_cvt_f32_f16 v0, v0;
	;;#ASMEND
	;;#ASMSTART
	v_cvt_f32_f16 v1, v1;
	;;#ASMEND
	buffer_load_dword v2, off, s[0:3], s32 offset:660 ; 4-byte Folded Reload
	s_waitcnt vmcnt(0)
	v_and_b32_e32 v2, 0xffff, v2
	;;#ASMSTART
	v_cvt_f32_f16 v2, v2;
	;;#ASMEND
	buffer_load_dword v3, off, s[0:3], s32 offset:656 ; 4-byte Folded Reload
	v_fmac_f32_e32 v28, v0, v2
	s_waitcnt vmcnt(0)
	v_and_b32_e32 v3, 0xffff, v3
	;;#ASMSTART
	v_cvt_f32_f16 v3, v3;
	;;#ASMEND
	v_fmac_f32_e32 v21, v1, v3
	ds_read_b128 v[0:3], v5 offset:272
	s_waitcnt lgkmcnt(0)
	v_lshrrev_b32_e32 v4, 16, v0
	v_and_b32_e32 v0, 0xffff, v0
	;;#ASMSTART
	v_cvt_f32_f16 v0, v0;
	;;#ASMEND
	;;#ASMSTART
	v_cvt_f32_f16 v4, v4;
	;;#ASMEND
	buffer_load_dword v6, off, s[0:3], s32 offset:1196 ; 4-byte Folded Reload
	s_waitcnt vmcnt(0)
	v_and_b32_e32 v6, 0xffff, v6
	;;#ASMSTART
	v_cvt_f32_f16 v6, v6;
	;;#ASMEND
	buffer_load_dword v7, off, s[0:3], s32 offset:1192 ; 4-byte Folded Reload
	v_fmac_f32_e32 v11, v0, v6
	v_and_b32_e32 v0, 0xffff, v1
	s_waitcnt vmcnt(0)
	v_and_b32_e32 v7, 0xffff, v7
	;;#ASMSTART
	v_cvt_f32_f16 v7, v7;
	;;#ASMEND
	v_fmac_f32_e32 v12, v4, v7
	v_lshrrev_b32_e32 v4, 16, v1
	;;#ASMSTART
	v_cvt_f32_f16 v0, v0;
	;;#ASMEND
	;;#ASMSTART
	v_cvt_f32_f16 v1, v4;
	;;#ASMEND
	buffer_load_dword v4, off, s[0:3], s32 offset:1188 ; 4-byte Folded Reload
	s_waitcnt vmcnt(0)
	v_and_b32_e32 v4, 0xffff, v4
	;;#ASMSTART
	v_cvt_f32_f16 v4, v4;
	;;#ASMEND
	buffer_load_dword v6, off, s[0:3], s32 offset:1184 ; 4-byte Folded Reload
	v_fmac_f32_e32 v18, v0, v4
	v_and_b32_e32 v0, 0xffff, v2
	s_waitcnt vmcnt(0)
	v_and_b32_e32 v6, 0xffff, v6
	;;#ASMSTART
	v_cvt_f32_f16 v6, v6;
	;;#ASMEND
	v_fmac_f32_e32 v13, v1, v6
	v_lshrrev_b32_e32 v1, 16, v2
	;; [unrolled: 22-line block ×3, first 2 shown]
	;;#ASMSTART
	v_cvt_f32_f16 v0, v0;
	;;#ASMEND
	;;#ASMSTART
	v_cvt_f32_f16 v1, v1;
	;;#ASMEND
	buffer_load_dword v2, off, s[0:3], s32 offset:676 ; 4-byte Folded Reload
	s_waitcnt vmcnt(0)
	v_and_b32_e32 v2, 0xffff, v2
	;;#ASMSTART
	v_cvt_f32_f16 v2, v2;
	;;#ASMEND
	buffer_load_dword v3, off, s[0:3], s32 offset:672 ; 4-byte Folded Reload
	v_fmac_f32_e32 v28, v0, v2
	s_waitcnt vmcnt(0)
	v_and_b32_e32 v3, 0xffff, v3
	;;#ASMSTART
	v_cvt_f32_f16 v3, v3;
	;;#ASMEND
	v_fmac_f32_e32 v21, v1, v3
	ds_read_b128 v[0:3], v5 offset:288
	s_waitcnt lgkmcnt(0)
	v_lshrrev_b32_e32 v4, 16, v0
	v_and_b32_e32 v0, 0xffff, v0
	;;#ASMSTART
	v_cvt_f32_f16 v0, v0;
	;;#ASMEND
	;;#ASMSTART
	v_cvt_f32_f16 v4, v4;
	;;#ASMEND
	buffer_load_dword v6, off, s[0:3], s32 offset:1180 ; 4-byte Folded Reload
	s_waitcnt vmcnt(0)
	v_and_b32_e32 v6, 0xffff, v6
	;;#ASMSTART
	v_cvt_f32_f16 v6, v6;
	;;#ASMEND
	buffer_load_dword v7, off, s[0:3], s32 offset:1176 ; 4-byte Folded Reload
	v_fmac_f32_e32 v11, v0, v6
	v_and_b32_e32 v0, 0xffff, v1
	s_waitcnt vmcnt(0)
	v_and_b32_e32 v7, 0xffff, v7
	;;#ASMSTART
	v_cvt_f32_f16 v7, v7;
	;;#ASMEND
	v_fmac_f32_e32 v12, v4, v7
	v_lshrrev_b32_e32 v4, 16, v1
	;;#ASMSTART
	v_cvt_f32_f16 v0, v0;
	;;#ASMEND
	;;#ASMSTART
	v_cvt_f32_f16 v1, v4;
	;;#ASMEND
	buffer_load_dword v4, off, s[0:3], s32 offset:1172 ; 4-byte Folded Reload
	s_waitcnt vmcnt(0)
	v_and_b32_e32 v4, 0xffff, v4
	;;#ASMSTART
	v_cvt_f32_f16 v4, v4;
	;;#ASMEND
	buffer_load_dword v6, off, s[0:3], s32 offset:1168 ; 4-byte Folded Reload
	v_fmac_f32_e32 v18, v0, v4
	v_and_b32_e32 v0, 0xffff, v2
	s_waitcnt vmcnt(0)
	v_and_b32_e32 v6, 0xffff, v6
	;;#ASMSTART
	v_cvt_f32_f16 v6, v6;
	;;#ASMEND
	v_fmac_f32_e32 v13, v1, v6
	v_lshrrev_b32_e32 v1, 16, v2
	;; [unrolled: 22-line block ×3, first 2 shown]
	;;#ASMSTART
	v_cvt_f32_f16 v0, v0;
	;;#ASMEND
	;;#ASMSTART
	v_cvt_f32_f16 v1, v1;
	;;#ASMEND
	buffer_load_dword v2, off, s[0:3], s32 offset:692 ; 4-byte Folded Reload
	s_waitcnt vmcnt(0)
	v_and_b32_e32 v2, 0xffff, v2
	;;#ASMSTART
	v_cvt_f32_f16 v2, v2;
	;;#ASMEND
	buffer_load_dword v3, off, s[0:3], s32 offset:688 ; 4-byte Folded Reload
	v_fmac_f32_e32 v28, v0, v2
	s_waitcnt vmcnt(0)
	v_and_b32_e32 v3, 0xffff, v3
	;;#ASMSTART
	v_cvt_f32_f16 v3, v3;
	;;#ASMEND
	v_fmac_f32_e32 v21, v1, v3
	ds_read_b128 v[0:3], v5 offset:304
	s_waitcnt lgkmcnt(0)
	v_lshrrev_b32_e32 v4, 16, v0
	v_and_b32_e32 v0, 0xffff, v0
	;;#ASMSTART
	v_cvt_f32_f16 v0, v0;
	;;#ASMEND
	;;#ASMSTART
	v_cvt_f32_f16 v4, v4;
	;;#ASMEND
	buffer_load_dword v6, off, s[0:3], s32 offset:1164 ; 4-byte Folded Reload
	s_waitcnt vmcnt(0)
	v_and_b32_e32 v6, 0xffff, v6
	;;#ASMSTART
	v_cvt_f32_f16 v6, v6;
	;;#ASMEND
	buffer_load_dword v7, off, s[0:3], s32 offset:1160 ; 4-byte Folded Reload
	v_fmac_f32_e32 v11, v0, v6
	v_and_b32_e32 v0, 0xffff, v1
	s_waitcnt vmcnt(0)
	v_and_b32_e32 v7, 0xffff, v7
	;;#ASMSTART
	v_cvt_f32_f16 v7, v7;
	;;#ASMEND
	v_fmac_f32_e32 v12, v4, v7
	v_lshrrev_b32_e32 v4, 16, v1
	;;#ASMSTART
	v_cvt_f32_f16 v0, v0;
	;;#ASMEND
	;;#ASMSTART
	v_cvt_f32_f16 v1, v4;
	;;#ASMEND
	buffer_load_dword v4, off, s[0:3], s32 offset:1156 ; 4-byte Folded Reload
	s_waitcnt vmcnt(0)
	v_and_b32_e32 v4, 0xffff, v4
	;;#ASMSTART
	v_cvt_f32_f16 v4, v4;
	;;#ASMEND
	buffer_load_dword v6, off, s[0:3], s32 offset:1152 ; 4-byte Folded Reload
	v_fmac_f32_e32 v18, v0, v4
	v_and_b32_e32 v0, 0xffff, v2
	s_waitcnt vmcnt(0)
	v_and_b32_e32 v6, 0xffff, v6
	;;#ASMSTART
	v_cvt_f32_f16 v6, v6;
	;;#ASMEND
	v_fmac_f32_e32 v13, v1, v6
	v_lshrrev_b32_e32 v1, 16, v2
	;; [unrolled: 22-line block ×3, first 2 shown]
	;;#ASMSTART
	v_cvt_f32_f16 v0, v0;
	;;#ASMEND
	;;#ASMSTART
	v_cvt_f32_f16 v1, v1;
	;;#ASMEND
	buffer_load_dword v2, off, s[0:3], s32 offset:708 ; 4-byte Folded Reload
	s_waitcnt vmcnt(0)
	v_and_b32_e32 v2, 0xffff, v2
	;;#ASMSTART
	v_cvt_f32_f16 v2, v2;
	;;#ASMEND
	buffer_load_dword v3, off, s[0:3], s32 offset:704 ; 4-byte Folded Reload
	v_fmac_f32_e32 v28, v0, v2
	s_waitcnt vmcnt(0)
	v_and_b32_e32 v3, 0xffff, v3
	;;#ASMSTART
	v_cvt_f32_f16 v3, v3;
	;;#ASMEND
	v_fmac_f32_e32 v21, v1, v3
	ds_read_b128 v[0:3], v5 offset:320
	s_waitcnt lgkmcnt(0)
	v_lshrrev_b32_e32 v4, 16, v0
	v_and_b32_e32 v0, 0xffff, v0
	;;#ASMSTART
	v_cvt_f32_f16 v0, v0;
	;;#ASMEND
	;;#ASMSTART
	v_cvt_f32_f16 v4, v4;
	;;#ASMEND
	buffer_load_dword v6, off, s[0:3], s32 offset:1144 ; 4-byte Folded Reload
	s_waitcnt vmcnt(0)
	v_and_b32_e32 v6, 0xffff, v6
	;;#ASMSTART
	v_cvt_f32_f16 v6, v6;
	;;#ASMEND
	buffer_load_dword v7, off, s[0:3], s32 offset:1140 ; 4-byte Folded Reload
	v_fmac_f32_e32 v11, v0, v6
	v_and_b32_e32 v0, 0xffff, v1
	s_waitcnt vmcnt(0)
	v_and_b32_e32 v7, 0xffff, v7
	;;#ASMSTART
	v_cvt_f32_f16 v7, v7;
	;;#ASMEND
	v_fmac_f32_e32 v12, v4, v7
	v_lshrrev_b32_e32 v4, 16, v1
	;;#ASMSTART
	v_cvt_f32_f16 v0, v0;
	;;#ASMEND
	;;#ASMSTART
	v_cvt_f32_f16 v1, v4;
	;;#ASMEND
	buffer_load_dword v4, off, s[0:3], s32 offset:1136 ; 4-byte Folded Reload
	s_waitcnt vmcnt(0)
	v_and_b32_e32 v4, 0xffff, v4
	;;#ASMSTART
	v_cvt_f32_f16 v4, v4;
	;;#ASMEND
	buffer_load_dword v6, off, s[0:3], s32 offset:1132 ; 4-byte Folded Reload
	v_fmac_f32_e32 v18, v0, v4
	v_and_b32_e32 v0, 0xffff, v2
	s_waitcnt vmcnt(0)
	v_and_b32_e32 v6, 0xffff, v6
	;;#ASMSTART
	v_cvt_f32_f16 v6, v6;
	;;#ASMEND
	v_fmac_f32_e32 v13, v1, v6
	v_lshrrev_b32_e32 v1, 16, v2
	;;#ASMSTART
	v_cvt_f32_f16 v0, v0;
	;;#ASMEND
	;;#ASMSTART
	v_cvt_f32_f16 v1, v1;
	;;#ASMEND
	buffer_load_dword v2, off, s[0:3], s32 offset:1128 ; 4-byte Folded Reload
	s_waitcnt vmcnt(0)
	v_and_b32_e32 v2, 0xffff, v2
	;;#ASMSTART
	v_cvt_f32_f16 v2, v2;
	;;#ASMEND
	buffer_load_dword v4, off, s[0:3], s32 offset:1124 ; 4-byte Folded Reload
	v_fmac_f32_e32 v20, v0, v2
	v_and_b32_e32 v0, 0xffff, v3
	s_waitcnt vmcnt(0)
	v_and_b32_e32 v4, 0xffff, v4
	;;#ASMSTART
	v_cvt_f32_f16 v4, v4;
	;;#ASMEND
	v_fmac_f32_e32 v19, v1, v4
	v_lshrrev_b32_e32 v1, 16, v3
	;;#ASMSTART
	v_cvt_f32_f16 v0, v0;
	;;#ASMEND
	;;#ASMSTART
	v_cvt_f32_f16 v1, v1;
	;;#ASMEND
	buffer_load_dword v2, off, s[0:3], s32 offset:1120 ; 4-byte Folded Reload
	s_waitcnt vmcnt(0)
	v_and_b32_e32 v2, 0xffff, v2
	;;#ASMSTART
	v_cvt_f32_f16 v2, v2;
	;;#ASMEND
	buffer_load_dword v3, off, s[0:3], s32 offset:1116 ; 4-byte Folded Reload
	v_fmac_f32_e32 v28, v0, v2
	s_waitcnt vmcnt(0)
	v_and_b32_e32 v3, 0xffff, v3
	;;#ASMSTART
	v_cvt_f32_f16 v3, v3;
	;;#ASMEND
	v_fmac_f32_e32 v21, v1, v3
	ds_read_b128 v[0:3], v5 offset:336
	s_waitcnt lgkmcnt(0)
	v_lshrrev_b32_e32 v4, 16, v0
	v_and_b32_e32 v0, 0xffff, v0
	;;#ASMSTART
	v_cvt_f32_f16 v0, v0;
	;;#ASMEND
	;;#ASMSTART
	v_cvt_f32_f16 v4, v4;
	;;#ASMEND
	buffer_load_dword v6, off, s[0:3], s32 offset:1112 ; 4-byte Folded Reload
	s_waitcnt vmcnt(0)
	v_and_b32_e32 v6, 0xffff, v6
	;;#ASMSTART
	v_cvt_f32_f16 v6, v6;
	;;#ASMEND
	buffer_load_dword v7, off, s[0:3], s32 offset:1108 ; 4-byte Folded Reload
	v_fmac_f32_e32 v11, v0, v6
	v_and_b32_e32 v0, 0xffff, v1
	s_waitcnt vmcnt(0)
	v_and_b32_e32 v7, 0xffff, v7
	;;#ASMSTART
	v_cvt_f32_f16 v7, v7;
	;;#ASMEND
	v_fmac_f32_e32 v12, v4, v7
	v_lshrrev_b32_e32 v4, 16, v1
	;;#ASMSTART
	v_cvt_f32_f16 v0, v0;
	;;#ASMEND
	;;#ASMSTART
	v_cvt_f32_f16 v1, v4;
	;;#ASMEND
	buffer_load_dword v4, off, s[0:3], s32 offset:1104 ; 4-byte Folded Reload
	s_waitcnt vmcnt(0)
	v_and_b32_e32 v4, 0xffff, v4
	;;#ASMSTART
	v_cvt_f32_f16 v4, v4;
	;;#ASMEND
	buffer_load_dword v6, off, s[0:3], s32 offset:1100 ; 4-byte Folded Reload
	v_fmac_f32_e32 v18, v0, v4
	v_and_b32_e32 v0, 0xffff, v2
	s_waitcnt vmcnt(0)
	v_and_b32_e32 v6, 0xffff, v6
	;;#ASMSTART
	v_cvt_f32_f16 v6, v6;
	;;#ASMEND
	v_fmac_f32_e32 v13, v1, v6
	v_lshrrev_b32_e32 v1, 16, v2
	;; [unrolled: 22-line block ×3, first 2 shown]
	;;#ASMSTART
	v_cvt_f32_f16 v0, v0;
	;;#ASMEND
	;;#ASMSTART
	v_cvt_f32_f16 v1, v1;
	;;#ASMEND
	buffer_load_dword v2, off, s[0:3], s32 offset:1088 ; 4-byte Folded Reload
	s_waitcnt vmcnt(0)
	v_and_b32_e32 v2, 0xffff, v2
	;;#ASMSTART
	v_cvt_f32_f16 v2, v2;
	;;#ASMEND
	buffer_load_dword v3, off, s[0:3], s32 offset:1084 ; 4-byte Folded Reload
	v_fmac_f32_e32 v28, v0, v2
	s_waitcnt vmcnt(0)
	v_and_b32_e32 v3, 0xffff, v3
	;;#ASMSTART
	v_cvt_f32_f16 v3, v3;
	;;#ASMEND
	v_fmac_f32_e32 v21, v1, v3
	ds_read_b128 v[0:3], v5 offset:352
	s_waitcnt lgkmcnt(0)
	v_lshrrev_b32_e32 v4, 16, v0
	v_and_b32_e32 v0, 0xffff, v0
	;;#ASMSTART
	v_cvt_f32_f16 v0, v0;
	;;#ASMEND
	;;#ASMSTART
	v_cvt_f32_f16 v4, v4;
	;;#ASMEND
	buffer_load_dword v6, off, s[0:3], s32 offset:1080 ; 4-byte Folded Reload
	s_waitcnt vmcnt(0)
	v_and_b32_e32 v6, 0xffff, v6
	;;#ASMSTART
	v_cvt_f32_f16 v6, v6;
	;;#ASMEND
	buffer_load_dword v7, off, s[0:3], s32 offset:1076 ; 4-byte Folded Reload
	v_fmac_f32_e32 v11, v0, v6
	v_and_b32_e32 v0, 0xffff, v1
	s_waitcnt vmcnt(0)
	v_and_b32_e32 v7, 0xffff, v7
	;;#ASMSTART
	v_cvt_f32_f16 v7, v7;
	;;#ASMEND
	v_fmac_f32_e32 v12, v4, v7
	v_lshrrev_b32_e32 v4, 16, v1
	;;#ASMSTART
	v_cvt_f32_f16 v0, v0;
	;;#ASMEND
	;;#ASMSTART
	v_cvt_f32_f16 v1, v4;
	;;#ASMEND
	buffer_load_dword v4, off, s[0:3], s32 offset:1072 ; 4-byte Folded Reload
	s_waitcnt vmcnt(0)
	v_and_b32_e32 v4, 0xffff, v4
	;;#ASMSTART
	v_cvt_f32_f16 v4, v4;
	;;#ASMEND
	buffer_load_dword v6, off, s[0:3], s32 offset:1068 ; 4-byte Folded Reload
	v_fmac_f32_e32 v18, v0, v4
	v_and_b32_e32 v0, 0xffff, v2
	s_waitcnt vmcnt(0)
	v_and_b32_e32 v6, 0xffff, v6
	;;#ASMSTART
	v_cvt_f32_f16 v6, v6;
	;;#ASMEND
	v_fmac_f32_e32 v13, v1, v6
	v_lshrrev_b32_e32 v1, 16, v2
	;; [unrolled: 22-line block ×3, first 2 shown]
	;;#ASMSTART
	v_cvt_f32_f16 v0, v0;
	;;#ASMEND
	;;#ASMSTART
	v_cvt_f32_f16 v1, v1;
	;;#ASMEND
	buffer_load_dword v2, off, s[0:3], s32 offset:1056 ; 4-byte Folded Reload
	s_waitcnt vmcnt(0)
	v_and_b32_e32 v2, 0xffff, v2
	;;#ASMSTART
	v_cvt_f32_f16 v2, v2;
	;;#ASMEND
	buffer_load_dword v3, off, s[0:3], s32 offset:1052 ; 4-byte Folded Reload
	v_fmac_f32_e32 v28, v0, v2
	s_waitcnt vmcnt(0)
	v_and_b32_e32 v3, 0xffff, v3
	;;#ASMSTART
	v_cvt_f32_f16 v3, v3;
	;;#ASMEND
	v_fmac_f32_e32 v21, v1, v3
	ds_read_b128 v[0:3], v5 offset:368
	s_waitcnt lgkmcnt(0)
	v_lshrrev_b32_e32 v4, 16, v0
	v_and_b32_e32 v0, 0xffff, v0
	;;#ASMSTART
	v_cvt_f32_f16 v0, v0;
	;;#ASMEND
	;;#ASMSTART
	v_cvt_f32_f16 v4, v4;
	;;#ASMEND
	buffer_load_dword v6, off, s[0:3], s32 offset:1048 ; 4-byte Folded Reload
	s_waitcnt vmcnt(0)
	v_and_b32_e32 v6, 0xffff, v6
	;;#ASMSTART
	v_cvt_f32_f16 v6, v6;
	;;#ASMEND
	buffer_load_dword v7, off, s[0:3], s32 offset:1044 ; 4-byte Folded Reload
	v_fmac_f32_e32 v11, v0, v6
	v_and_b32_e32 v0, 0xffff, v1
	s_waitcnt vmcnt(0)
	v_and_b32_e32 v7, 0xffff, v7
	;;#ASMSTART
	v_cvt_f32_f16 v7, v7;
	;;#ASMEND
	v_fmac_f32_e32 v12, v4, v7
	v_lshrrev_b32_e32 v4, 16, v1
	;;#ASMSTART
	v_cvt_f32_f16 v0, v0;
	;;#ASMEND
	;;#ASMSTART
	v_cvt_f32_f16 v1, v4;
	;;#ASMEND
	buffer_load_dword v4, off, s[0:3], s32 offset:1040 ; 4-byte Folded Reload
	s_waitcnt vmcnt(0)
	v_and_b32_e32 v4, 0xffff, v4
	;;#ASMSTART
	v_cvt_f32_f16 v4, v4;
	;;#ASMEND
	buffer_load_dword v6, off, s[0:3], s32 offset:1036 ; 4-byte Folded Reload
	v_fmac_f32_e32 v18, v0, v4
	v_and_b32_e32 v0, 0xffff, v2
	s_waitcnt vmcnt(0)
	v_and_b32_e32 v6, 0xffff, v6
	;;#ASMSTART
	v_cvt_f32_f16 v6, v6;
	;;#ASMEND
	v_fmac_f32_e32 v13, v1, v6
	v_lshrrev_b32_e32 v1, 16, v2
	;; [unrolled: 22-line block ×3, first 2 shown]
	;;#ASMSTART
	v_cvt_f32_f16 v0, v0;
	;;#ASMEND
	;;#ASMSTART
	v_cvt_f32_f16 v1, v1;
	;;#ASMEND
	buffer_load_dword v2, off, s[0:3], s32 offset:1024 ; 4-byte Folded Reload
	s_waitcnt vmcnt(0)
	v_and_b32_e32 v2, 0xffff, v2
	;;#ASMSTART
	v_cvt_f32_f16 v2, v2;
	;;#ASMEND
	buffer_load_dword v3, off, s[0:3], s32 offset:1020 ; 4-byte Folded Reload
	v_fmac_f32_e32 v28, v0, v2
	s_waitcnt vmcnt(0)
	v_and_b32_e32 v3, 0xffff, v3
	;;#ASMSTART
	v_cvt_f32_f16 v3, v3;
	;;#ASMEND
	v_fmac_f32_e32 v21, v1, v3
	ds_read_b128 v[0:3], v5 offset:384
	s_waitcnt lgkmcnt(0)
	v_lshrrev_b32_e32 v4, 16, v0
	v_and_b32_e32 v0, 0xffff, v0
	;;#ASMSTART
	v_cvt_f32_f16 v0, v0;
	;;#ASMEND
	;;#ASMSTART
	v_cvt_f32_f16 v4, v4;
	;;#ASMEND
	buffer_load_dword v6, off, s[0:3], s32 offset:1016 ; 4-byte Folded Reload
	s_waitcnt vmcnt(0)
	v_and_b32_e32 v6, 0xffff, v6
	;;#ASMSTART
	v_cvt_f32_f16 v6, v6;
	;;#ASMEND
	buffer_load_dword v7, off, s[0:3], s32 offset:1012 ; 4-byte Folded Reload
	v_fmac_f32_e32 v11, v0, v6
	v_and_b32_e32 v0, 0xffff, v1
	s_waitcnt vmcnt(0)
	v_and_b32_e32 v7, 0xffff, v7
	;;#ASMSTART
	v_cvt_f32_f16 v7, v7;
	;;#ASMEND
	v_fmac_f32_e32 v12, v4, v7
	v_lshrrev_b32_e32 v4, 16, v1
	;;#ASMSTART
	v_cvt_f32_f16 v0, v0;
	;;#ASMEND
	;;#ASMSTART
	v_cvt_f32_f16 v1, v4;
	;;#ASMEND
	buffer_load_dword v4, off, s[0:3], s32 offset:1008 ; 4-byte Folded Reload
	s_waitcnt vmcnt(0)
	v_and_b32_e32 v4, 0xffff, v4
	;;#ASMSTART
	v_cvt_f32_f16 v4, v4;
	;;#ASMEND
	buffer_load_dword v6, off, s[0:3], s32 offset:1004 ; 4-byte Folded Reload
	v_fmac_f32_e32 v18, v0, v4
	v_and_b32_e32 v0, 0xffff, v2
	s_waitcnt vmcnt(0)
	v_and_b32_e32 v6, 0xffff, v6
	;;#ASMSTART
	v_cvt_f32_f16 v6, v6;
	;;#ASMEND
	v_fmac_f32_e32 v13, v1, v6
	v_lshrrev_b32_e32 v1, 16, v2
	;; [unrolled: 22-line block ×3, first 2 shown]
	;;#ASMSTART
	v_cvt_f32_f16 v0, v0;
	;;#ASMEND
	;;#ASMSTART
	v_cvt_f32_f16 v1, v1;
	;;#ASMEND
	buffer_load_dword v2, off, s[0:3], s32 offset:992 ; 4-byte Folded Reload
	s_waitcnt vmcnt(0)
	v_and_b32_e32 v2, 0xffff, v2
	;;#ASMSTART
	v_cvt_f32_f16 v2, v2;
	;;#ASMEND
	buffer_load_dword v3, off, s[0:3], s32 offset:988 ; 4-byte Folded Reload
	v_fmac_f32_e32 v28, v0, v2
	s_waitcnt vmcnt(0)
	v_and_b32_e32 v3, 0xffff, v3
	;;#ASMSTART
	v_cvt_f32_f16 v3, v3;
	;;#ASMEND
	v_fmac_f32_e32 v21, v1, v3
	ds_read_b128 v[0:3], v5 offset:400
	s_waitcnt lgkmcnt(0)
	v_lshrrev_b32_e32 v4, 16, v0
	v_and_b32_e32 v0, 0xffff, v0
	;;#ASMSTART
	v_cvt_f32_f16 v0, v0;
	;;#ASMEND
	;;#ASMSTART
	v_cvt_f32_f16 v4, v4;
	;;#ASMEND
	buffer_load_dword v6, off, s[0:3], s32 offset:984 ; 4-byte Folded Reload
	s_waitcnt vmcnt(0)
	v_and_b32_e32 v6, 0xffff, v6
	;;#ASMSTART
	v_cvt_f32_f16 v6, v6;
	;;#ASMEND
	buffer_load_dword v7, off, s[0:3], s32 offset:980 ; 4-byte Folded Reload
	v_fmac_f32_e32 v11, v0, v6
	v_and_b32_e32 v0, 0xffff, v1
	s_waitcnt vmcnt(0)
	v_and_b32_e32 v7, 0xffff, v7
	;;#ASMSTART
	v_cvt_f32_f16 v7, v7;
	;;#ASMEND
	v_fmac_f32_e32 v12, v4, v7
	v_lshrrev_b32_e32 v4, 16, v1
	;;#ASMSTART
	v_cvt_f32_f16 v0, v0;
	;;#ASMEND
	;;#ASMSTART
	v_cvt_f32_f16 v1, v4;
	;;#ASMEND
	buffer_load_dword v4, off, s[0:3], s32 offset:976 ; 4-byte Folded Reload
	s_waitcnt vmcnt(0)
	v_and_b32_e32 v4, 0xffff, v4
	;;#ASMSTART
	v_cvt_f32_f16 v4, v4;
	;;#ASMEND
	buffer_load_dword v6, off, s[0:3], s32 offset:972 ; 4-byte Folded Reload
	v_fmac_f32_e32 v18, v0, v4
	v_and_b32_e32 v0, 0xffff, v2
	s_waitcnt vmcnt(0)
	v_and_b32_e32 v6, 0xffff, v6
	;;#ASMSTART
	v_cvt_f32_f16 v6, v6;
	;;#ASMEND
	v_fmac_f32_e32 v13, v1, v6
	v_lshrrev_b32_e32 v1, 16, v2
	;;#ASMSTART
	v_cvt_f32_f16 v0, v0;
	;;#ASMEND
	;;#ASMSTART
	v_cvt_f32_f16 v1, v1;
	;;#ASMEND
	buffer_load_dword v2, off, s[0:3], s32 offset:968 ; 4-byte Folded Reload
	s_waitcnt vmcnt(0)
	v_and_b32_e32 v2, 0xffff, v2
	;;#ASMSTART
	v_cvt_f32_f16 v2, v2;
	;;#ASMEND
	buffer_load_dword v4, off, s[0:3], s32 offset:964 ; 4-byte Folded Reload
	v_fmac_f32_e32 v20, v0, v2
	v_and_b32_e32 v0, 0xffff, v3
	s_waitcnt vmcnt(0)
	v_and_b32_e32 v4, 0xffff, v4
	;;#ASMSTART
	v_cvt_f32_f16 v4, v4;
	;;#ASMEND
	v_fmac_f32_e32 v19, v1, v4
	v_lshrrev_b32_e32 v1, 16, v3
	;;#ASMSTART
	v_cvt_f32_f16 v0, v0;
	;;#ASMEND
	;;#ASMSTART
	v_cvt_f32_f16 v1, v1;
	;;#ASMEND
	buffer_load_dword v2, off, s[0:3], s32 offset:960 ; 4-byte Folded Reload
	s_waitcnt vmcnt(0)
	v_and_b32_e32 v2, 0xffff, v2
	;;#ASMSTART
	v_cvt_f32_f16 v2, v2;
	;;#ASMEND
	buffer_load_dword v3, off, s[0:3], s32 offset:956 ; 4-byte Folded Reload
	v_fmac_f32_e32 v28, v0, v2
	s_waitcnt vmcnt(0)
	v_and_b32_e32 v3, 0xffff, v3
	;;#ASMSTART
	v_cvt_f32_f16 v3, v3;
	;;#ASMEND
	v_fmac_f32_e32 v21, v1, v3
	ds_read_b128 v[0:3], v5 offset:416
	s_waitcnt lgkmcnt(0)
	v_lshrrev_b32_e32 v4, 16, v0
	v_and_b32_e32 v0, 0xffff, v0
	;;#ASMSTART
	v_cvt_f32_f16 v0, v0;
	;;#ASMEND
	;;#ASMSTART
	v_cvt_f32_f16 v4, v4;
	;;#ASMEND
	buffer_load_dword v6, off, s[0:3], s32 offset:952 ; 4-byte Folded Reload
	s_waitcnt vmcnt(0)
	v_and_b32_e32 v6, 0xffff, v6
	;;#ASMSTART
	v_cvt_f32_f16 v6, v6;
	;;#ASMEND
	buffer_load_dword v7, off, s[0:3], s32 offset:948 ; 4-byte Folded Reload
	v_fmac_f32_e32 v11, v0, v6
	v_and_b32_e32 v0, 0xffff, v1
	s_waitcnt vmcnt(0)
	v_and_b32_e32 v7, 0xffff, v7
	;;#ASMSTART
	v_cvt_f32_f16 v7, v7;
	;;#ASMEND
	v_fmac_f32_e32 v12, v4, v7
	v_lshrrev_b32_e32 v4, 16, v1
	;;#ASMSTART
	v_cvt_f32_f16 v0, v0;
	;;#ASMEND
	;;#ASMSTART
	v_cvt_f32_f16 v1, v4;
	;;#ASMEND
	buffer_load_dword v4, off, s[0:3], s32 offset:944 ; 4-byte Folded Reload
	s_waitcnt vmcnt(0)
	v_and_b32_e32 v4, 0xffff, v4
	;;#ASMSTART
	v_cvt_f32_f16 v4, v4;
	;;#ASMEND
	buffer_load_dword v6, off, s[0:3], s32 offset:940 ; 4-byte Folded Reload
	v_fmac_f32_e32 v18, v0, v4
	v_and_b32_e32 v0, 0xffff, v2
	s_waitcnt vmcnt(0)
	v_and_b32_e32 v6, 0xffff, v6
	;;#ASMSTART
	v_cvt_f32_f16 v6, v6;
	;;#ASMEND
	v_fmac_f32_e32 v13, v1, v6
	v_lshrrev_b32_e32 v1, 16, v2
	;; [unrolled: 22-line block ×3, first 2 shown]
	;;#ASMSTART
	v_cvt_f32_f16 v0, v0;
	;;#ASMEND
	;;#ASMSTART
	v_cvt_f32_f16 v1, v1;
	;;#ASMEND
	buffer_load_dword v2, off, s[0:3], s32 offset:928 ; 4-byte Folded Reload
	s_waitcnt vmcnt(0)
	v_and_b32_e32 v2, 0xffff, v2
	;;#ASMSTART
	v_cvt_f32_f16 v2, v2;
	;;#ASMEND
	buffer_load_dword v3, off, s[0:3], s32 offset:924 ; 4-byte Folded Reload
	v_fmac_f32_e32 v28, v0, v2
	s_waitcnt vmcnt(0)
	v_and_b32_e32 v3, 0xffff, v3
	;;#ASMSTART
	v_cvt_f32_f16 v3, v3;
	;;#ASMEND
	v_fmac_f32_e32 v21, v1, v3
	ds_read_b128 v[0:3], v5 offset:432
	s_waitcnt lgkmcnt(0)
	v_lshrrev_b32_e32 v4, 16, v0
	v_and_b32_e32 v0, 0xffff, v0
	;;#ASMSTART
	v_cvt_f32_f16 v0, v0;
	;;#ASMEND
	;;#ASMSTART
	v_cvt_f32_f16 v4, v4;
	;;#ASMEND
	buffer_load_dword v6, off, s[0:3], s32 offset:920 ; 4-byte Folded Reload
	s_waitcnt vmcnt(0)
	v_and_b32_e32 v6, 0xffff, v6
	;;#ASMSTART
	v_cvt_f32_f16 v6, v6;
	;;#ASMEND
	buffer_load_dword v7, off, s[0:3], s32 offset:916 ; 4-byte Folded Reload
	v_fmac_f32_e32 v11, v0, v6
	v_and_b32_e32 v0, 0xffff, v1
	s_waitcnt vmcnt(0)
	v_and_b32_e32 v7, 0xffff, v7
	;;#ASMSTART
	v_cvt_f32_f16 v7, v7;
	;;#ASMEND
	v_fmac_f32_e32 v12, v4, v7
	v_lshrrev_b32_e32 v4, 16, v1
	;;#ASMSTART
	v_cvt_f32_f16 v0, v0;
	;;#ASMEND
	;;#ASMSTART
	v_cvt_f32_f16 v1, v4;
	;;#ASMEND
	buffer_load_dword v4, off, s[0:3], s32 offset:912 ; 4-byte Folded Reload
	s_waitcnt vmcnt(0)
	v_and_b32_e32 v4, 0xffff, v4
	;;#ASMSTART
	v_cvt_f32_f16 v4, v4;
	;;#ASMEND
	buffer_load_dword v6, off, s[0:3], s32 offset:908 ; 4-byte Folded Reload
	v_fmac_f32_e32 v18, v0, v4
	v_and_b32_e32 v0, 0xffff, v2
	s_waitcnt vmcnt(0)
	v_and_b32_e32 v6, 0xffff, v6
	;;#ASMSTART
	v_cvt_f32_f16 v6, v6;
	;;#ASMEND
	v_fmac_f32_e32 v13, v1, v6
	v_lshrrev_b32_e32 v1, 16, v2
	;; [unrolled: 22-line block ×3, first 2 shown]
	;;#ASMSTART
	v_cvt_f32_f16 v0, v0;
	;;#ASMEND
	;;#ASMSTART
	v_cvt_f32_f16 v1, v1;
	;;#ASMEND
	buffer_load_dword v2, off, s[0:3], s32 offset:896 ; 4-byte Folded Reload
	s_waitcnt vmcnt(0)
	v_and_b32_e32 v2, 0xffff, v2
	;;#ASMSTART
	v_cvt_f32_f16 v2, v2;
	;;#ASMEND
	buffer_load_dword v3, off, s[0:3], s32 offset:892 ; 4-byte Folded Reload
	v_fmac_f32_e32 v28, v0, v2
	s_waitcnt vmcnt(0)
	v_and_b32_e32 v3, 0xffff, v3
	;;#ASMSTART
	v_cvt_f32_f16 v3, v3;
	;;#ASMEND
	v_fmac_f32_e32 v21, v1, v3
	ds_read_b128 v[0:3], v5 offset:448
	s_waitcnt lgkmcnt(0)
	v_lshrrev_b32_e32 v4, 16, v0
	v_and_b32_e32 v0, 0xffff, v0
	;;#ASMSTART
	v_cvt_f32_f16 v0, v0;
	;;#ASMEND
	;;#ASMSTART
	v_cvt_f32_f16 v4, v4;
	;;#ASMEND
	buffer_load_dword v6, off, s[0:3], s32 offset:888 ; 4-byte Folded Reload
	s_waitcnt vmcnt(0)
	v_and_b32_e32 v6, 0xffff, v6
	;;#ASMSTART
	v_cvt_f32_f16 v6, v6;
	;;#ASMEND
	buffer_load_dword v7, off, s[0:3], s32 offset:884 ; 4-byte Folded Reload
	v_fmac_f32_e32 v11, v0, v6
	v_and_b32_e32 v0, 0xffff, v1
	s_waitcnt vmcnt(0)
	v_and_b32_e32 v7, 0xffff, v7
	;;#ASMSTART
	v_cvt_f32_f16 v7, v7;
	;;#ASMEND
	v_fmac_f32_e32 v12, v4, v7
	v_lshrrev_b32_e32 v4, 16, v1
	;;#ASMSTART
	v_cvt_f32_f16 v0, v0;
	;;#ASMEND
	;;#ASMSTART
	v_cvt_f32_f16 v1, v4;
	;;#ASMEND
	buffer_load_dword v4, off, s[0:3], s32 offset:880 ; 4-byte Folded Reload
	s_waitcnt vmcnt(0)
	v_and_b32_e32 v4, 0xffff, v4
	;;#ASMSTART
	v_cvt_f32_f16 v4, v4;
	;;#ASMEND
	buffer_load_dword v6, off, s[0:3], s32 offset:876 ; 4-byte Folded Reload
	v_fmac_f32_e32 v18, v0, v4
	v_and_b32_e32 v0, 0xffff, v2
	s_waitcnt vmcnt(0)
	v_and_b32_e32 v6, 0xffff, v6
	;;#ASMSTART
	v_cvt_f32_f16 v6, v6;
	;;#ASMEND
	v_fmac_f32_e32 v13, v1, v6
	v_lshrrev_b32_e32 v1, 16, v2
	;;#ASMSTART
	v_cvt_f32_f16 v0, v0;
	;;#ASMEND
	;;#ASMSTART
	v_cvt_f32_f16 v1, v1;
	;;#ASMEND
	buffer_load_dword v2, off, s[0:3], s32 offset:872 ; 4-byte Folded Reload
	s_waitcnt vmcnt(0)
	v_and_b32_e32 v2, 0xffff, v2
	;;#ASMSTART
	v_cvt_f32_f16 v2, v2;
	;;#ASMEND
	buffer_load_dword v4, off, s[0:3], s32 offset:868 ; 4-byte Folded Reload
	v_fmac_f32_e32 v20, v0, v2
	v_and_b32_e32 v0, 0xffff, v3
	s_waitcnt vmcnt(0)
	v_and_b32_e32 v4, 0xffff, v4
	;;#ASMSTART
	v_cvt_f32_f16 v4, v4;
	;;#ASMEND
	v_fmac_f32_e32 v19, v1, v4
	v_lshrrev_b32_e32 v1, 16, v3
	;;#ASMSTART
	v_cvt_f32_f16 v0, v0;
	;;#ASMEND
	;;#ASMSTART
	v_cvt_f32_f16 v1, v1;
	;;#ASMEND
	buffer_load_dword v2, off, s[0:3], s32 offset:864 ; 4-byte Folded Reload
	s_waitcnt vmcnt(0)
	v_and_b32_e32 v2, 0xffff, v2
	;;#ASMSTART
	v_cvt_f32_f16 v2, v2;
	;;#ASMEND
	buffer_load_dword v3, off, s[0:3], s32 offset:860 ; 4-byte Folded Reload
	v_fmac_f32_e32 v28, v0, v2
	s_waitcnt vmcnt(0)
	v_and_b32_e32 v3, 0xffff, v3
	;;#ASMSTART
	v_cvt_f32_f16 v3, v3;
	;;#ASMEND
	v_fmac_f32_e32 v21, v1, v3
	ds_read_b128 v[0:3], v5 offset:464
	s_waitcnt lgkmcnt(0)
	v_lshrrev_b32_e32 v4, 16, v0
	v_and_b32_e32 v0, 0xffff, v0
	;;#ASMSTART
	v_cvt_f32_f16 v0, v0;
	;;#ASMEND
	;;#ASMSTART
	v_cvt_f32_f16 v4, v4;
	;;#ASMEND
	buffer_load_dword v6, off, s[0:3], s32 offset:856 ; 4-byte Folded Reload
	s_waitcnt vmcnt(0)
	v_and_b32_e32 v6, 0xffff, v6
	;;#ASMSTART
	v_cvt_f32_f16 v6, v6;
	;;#ASMEND
	buffer_load_dword v7, off, s[0:3], s32 offset:852 ; 4-byte Folded Reload
	v_fmac_f32_e32 v11, v0, v6
	v_and_b32_e32 v0, 0xffff, v1
	s_waitcnt vmcnt(0)
	v_and_b32_e32 v7, 0xffff, v7
	;;#ASMSTART
	v_cvt_f32_f16 v7, v7;
	;;#ASMEND
	v_fmac_f32_e32 v12, v4, v7
	v_lshrrev_b32_e32 v4, 16, v1
	;;#ASMSTART
	v_cvt_f32_f16 v0, v0;
	;;#ASMEND
	;;#ASMSTART
	v_cvt_f32_f16 v1, v4;
	;;#ASMEND
	buffer_load_dword v4, off, s[0:3], s32 offset:848 ; 4-byte Folded Reload
	s_waitcnt vmcnt(0)
	v_and_b32_e32 v4, 0xffff, v4
	;;#ASMSTART
	v_cvt_f32_f16 v4, v4;
	;;#ASMEND
	buffer_load_dword v6, off, s[0:3], s32 offset:844 ; 4-byte Folded Reload
	v_fmac_f32_e32 v18, v0, v4
	v_and_b32_e32 v0, 0xffff, v2
	s_waitcnt vmcnt(0)
	v_and_b32_e32 v6, 0xffff, v6
	;;#ASMSTART
	v_cvt_f32_f16 v6, v6;
	;;#ASMEND
	v_fmac_f32_e32 v13, v1, v6
	v_lshrrev_b32_e32 v1, 16, v2
	;; [unrolled: 22-line block ×3, first 2 shown]
	;;#ASMSTART
	v_cvt_f32_f16 v0, v0;
	;;#ASMEND
	;;#ASMSTART
	v_cvt_f32_f16 v1, v1;
	;;#ASMEND
	buffer_load_dword v2, off, s[0:3], s32 offset:832 ; 4-byte Folded Reload
	s_waitcnt vmcnt(0)
	v_and_b32_e32 v2, 0xffff, v2
	;;#ASMSTART
	v_cvt_f32_f16 v2, v2;
	;;#ASMEND
	buffer_load_dword v3, off, s[0:3], s32 offset:828 ; 4-byte Folded Reload
	v_fmac_f32_e32 v28, v0, v2
	s_waitcnt vmcnt(0)
	v_and_b32_e32 v3, 0xffff, v3
	;;#ASMSTART
	v_cvt_f32_f16 v3, v3;
	;;#ASMEND
	v_fmac_f32_e32 v21, v1, v3
	ds_read_b128 v[0:3], v5 offset:480
	s_waitcnt lgkmcnt(0)
	v_lshrrev_b32_e32 v4, 16, v0
	v_and_b32_e32 v0, 0xffff, v0
	;;#ASMSTART
	v_cvt_f32_f16 v0, v0;
	;;#ASMEND
	;;#ASMSTART
	v_cvt_f32_f16 v4, v4;
	;;#ASMEND
	buffer_load_dword v6, off, s[0:3], s32 offset:824 ; 4-byte Folded Reload
	s_waitcnt vmcnt(0)
	v_and_b32_e32 v6, 0xffff, v6
	;;#ASMSTART
	v_cvt_f32_f16 v6, v6;
	;;#ASMEND
	buffer_load_dword v7, off, s[0:3], s32 offset:820 ; 4-byte Folded Reload
	v_fmac_f32_e32 v11, v0, v6
	v_and_b32_e32 v0, 0xffff, v1
	s_waitcnt vmcnt(0)
	v_and_b32_e32 v7, 0xffff, v7
	;;#ASMSTART
	v_cvt_f32_f16 v7, v7;
	;;#ASMEND
	v_fmac_f32_e32 v12, v4, v7
	v_lshrrev_b32_e32 v4, 16, v1
	;;#ASMSTART
	v_cvt_f32_f16 v0, v0;
	;;#ASMEND
	;;#ASMSTART
	v_cvt_f32_f16 v1, v4;
	;;#ASMEND
	buffer_load_dword v4, off, s[0:3], s32 offset:816 ; 4-byte Folded Reload
	s_waitcnt vmcnt(0)
	v_and_b32_e32 v4, 0xffff, v4
	;;#ASMSTART
	v_cvt_f32_f16 v4, v4;
	;;#ASMEND
	buffer_load_dword v6, off, s[0:3], s32 offset:812 ; 4-byte Folded Reload
	v_fmac_f32_e32 v18, v0, v4
	v_and_b32_e32 v0, 0xffff, v2
	s_waitcnt vmcnt(0)
	v_and_b32_e32 v6, 0xffff, v6
	;;#ASMSTART
	v_cvt_f32_f16 v6, v6;
	;;#ASMEND
	v_fmac_f32_e32 v13, v1, v6
	v_lshrrev_b32_e32 v1, 16, v2
	;; [unrolled: 22-line block ×3, first 2 shown]
	;;#ASMSTART
	v_cvt_f32_f16 v0, v0;
	;;#ASMEND
	;;#ASMSTART
	v_cvt_f32_f16 v1, v1;
	;;#ASMEND
	buffer_load_dword v2, off, s[0:3], s32 offset:800 ; 4-byte Folded Reload
	s_waitcnt vmcnt(0)
	v_and_b32_e32 v2, 0xffff, v2
	;;#ASMSTART
	v_cvt_f32_f16 v2, v2;
	;;#ASMEND
	buffer_load_dword v3, off, s[0:3], s32 offset:796 ; 4-byte Folded Reload
	v_fmac_f32_e32 v28, v0, v2
	s_waitcnt vmcnt(0)
	v_and_b32_e32 v3, 0xffff, v3
	;;#ASMSTART
	v_cvt_f32_f16 v3, v3;
	;;#ASMEND
	v_fmac_f32_e32 v21, v1, v3
	ds_read_b128 v[0:3], v5 offset:496
	s_waitcnt lgkmcnt(0)
	v_lshrrev_b32_e32 v4, 16, v0
	v_and_b32_e32 v0, 0xffff, v0
	;;#ASMSTART
	v_cvt_f32_f16 v0, v0;
	;;#ASMEND
	;;#ASMSTART
	v_cvt_f32_f16 v4, v4;
	;;#ASMEND
	buffer_load_dword v6, off, s[0:3], s32 offset:232 ; 4-byte Folded Reload
	s_waitcnt vmcnt(0)
	v_and_b32_e32 v6, 0xffff, v6
	;;#ASMSTART
	v_cvt_f32_f16 v6, v6;
	;;#ASMEND
	buffer_load_dword v7, off, s[0:3], s32 offset:228 ; 4-byte Folded Reload
	v_fmac_f32_e32 v11, v0, v6
	v_and_b32_e32 v0, 0xffff, v1
	s_waitcnt vmcnt(0)
	v_and_b32_e32 v7, 0xffff, v7
	;;#ASMSTART
	v_cvt_f32_f16 v7, v7;
	;;#ASMEND
	v_fmac_f32_e32 v12, v4, v7
	v_lshrrev_b32_e32 v4, 16, v1
	;;#ASMSTART
	v_cvt_f32_f16 v0, v0;
	;;#ASMEND
	;;#ASMSTART
	v_cvt_f32_f16 v1, v4;
	;;#ASMEND
	buffer_load_dword v4, off, s[0:3], s32 offset:224 ; 4-byte Folded Reload
	s_waitcnt vmcnt(0)
	v_and_b32_e32 v4, 0xffff, v4
	;;#ASMSTART
	v_cvt_f32_f16 v4, v4;
	;;#ASMEND
	buffer_load_dword v6, off, s[0:3], s32 offset:220 ; 4-byte Folded Reload
	v_fmac_f32_e32 v18, v0, v4
	v_and_b32_e32 v0, 0xffff, v2
	s_waitcnt vmcnt(0)
	v_and_b32_e32 v6, 0xffff, v6
	;;#ASMSTART
	v_cvt_f32_f16 v6, v6;
	;;#ASMEND
	v_fmac_f32_e32 v13, v1, v6
	v_lshrrev_b32_e32 v1, 16, v2
	;; [unrolled: 22-line block ×3, first 2 shown]
	;;#ASMSTART
	v_cvt_f32_f16 v0, v0;
	;;#ASMEND
	;;#ASMSTART
	v_cvt_f32_f16 v1, v1;
	;;#ASMEND
	buffer_load_dword v2, off, s[0:3], s32 offset:208 ; 4-byte Folded Reload
	v_and_b32_e32 v3, 0xffff, v52
	s_waitcnt vmcnt(0)
	v_and_b32_e32 v2, 0xffff, v2
	;;#ASMSTART
	v_cvt_f32_f16 v2, v2;
	;;#ASMEND
	;;#ASMSTART
	v_cvt_f32_f16 v3, v3;
	;;#ASMEND
	v_fmac_f32_e32 v21, v1, v3
	s_clause 0x2
	buffer_load_dword v1, off, s[0:3], s32 offset:1248
	buffer_load_dword v8, off, s[0:3], s32 offset:784
	;; [unrolled: 1-line block ×3, first 2 shown]
	v_fmac_f32_e32 v28, v0, v2
	v_add_f32_e32 v0, v11, v12
	v_add_f32_e32 v0, v0, v18
	;; [unrolled: 1-line block ×7, first 2 shown]
	s_waitcnt vmcnt(2)
	v_fmac_f32_e32 v58, v1, v0
	s_waitcnt vmcnt(0)
	v_add_nc_u32_e32 v7, 4, v7
	v_cndmask_b32_e64 v0, 0, v58, s5
	ds_write_b32 v88, v0
	v_max_f32_e32 v0, v8, v8
	s_clause 0x1
	buffer_load_dword v1, off, s[0:3], s32 offset:788
	buffer_load_dword v2, off, s[0:3], s32 offset:792
	v_add_nc_u32_e32 v88, 0x200, v88
	v_max_f32_e32 v0, v0, v58
	v_cndmask_b32_e64 v8, v8, v0, s5
	buffer_load_dword v0, off, s[0:3], s32 offset:204 ; 4-byte Folded Reload
	s_waitcnt vmcnt(2)
	v_add_co_u32 v1, s5, v1, 16
	s_waitcnt vmcnt(1)
	v_add_co_ci_u32_e64 v2, null, 0, v2, s5
	s_waitcnt vmcnt(0)
	v_cmp_ge_i32_e64 s5, v7, v0
	s_or_b32 s9, s5, s9
	s_andn2_b32 exec_lo, exec_lo, s9
	s_cbranch_execz .LBB302_2055
.LBB302_10:                             ; =>This Inner Loop Header: Depth=1
	buffer_store_dword v7, off, s[0:3], s32 offset:200 ; 4-byte Folded Spill
	buffer_store_dword v88, off, s[0:3], s32 offset:720 ; 4-byte Folded Spill
	buffer_store_dword v8, off, s[0:3], s32 offset:784 ; 4-byte Folded Spill
	buffer_store_dword v1, off, s[0:3], s32 offset:788 ; 4-byte Folded Spill
	buffer_store_dword v2, off, s[0:3], s32 offset:792 ; 4-byte Folded Spill
	flat_load_dword v0, v[1:2]
	s_clause 0x2
	buffer_load_dword v1, off, s[0:3], s32 offset:780
	buffer_load_dword v2, off, s[0:3], s32 offset:1252
	;; [unrolled: 1-line block ×3, first 2 shown]
	s_waitcnt vmcnt(0) lgkmcnt(0)
	v_mad_i64_i32 v[16:17], null, v0, v1, v[2:3]
	flat_load_dwordx2 v[24:25], v[16:17]
	s_clause 0x1
	buffer_load_dword v0, off, s[0:3], s32 offset:1240
	buffer_load_dword v1, off, s[0:3], s32 offset:1244
	s_waitcnt vmcnt(2) lgkmcnt(0)
	v_cmp_ne_u16_sdwa s5, v24, v5 src0_sel:BYTE_0 src1_sel:DWORD
	s_waitcnt vmcnt(0)
	flat_load_dword v52, v[0:1]
	v_mov_b32_e32 v0, 0
	buffer_store_dword v0, off, s[0:3], s32 offset:208 ; 4-byte Folded Spill
	s_and_saveexec_b32 s11, s5
	s_cbranch_execz .LBB302_18
; %bb.11:                               ;   in Loop: Header=BB302_10 Depth=1
	v_cmp_ne_u16_sdwa s5, v24, v99 src0_sel:BYTE_0 src1_sel:DWORD
	v_mov_b32_e32 v0, 0x8000
	buffer_store_dword v0, off, s[0:3], s32 offset:208 ; 4-byte Folded Spill
	s_and_saveexec_b32 s12, s5
	s_cbranch_execz .LBB302_17
; %bb.12:                               ;   in Loop: Header=BB302_10 Depth=1
	v_and_b32_e32 v2, 0x7f, v24
	v_mov_b32_e32 v0, 0x7c01
	s_mov_b32 s17, exec_lo
	buffer_store_dword v0, off, s[0:3], s32 offset:208 ; 4-byte Folded Spill
	v_cmpx_ne_u32_e32 0x7f, v2
	s_cbranch_execz .LBB302_16
; %bb.13:                               ;   in Loop: Header=BB302_10 Depth=1
	v_and_b32_e32 v0, 7, v24
	v_lshrrev_b32_e32 v1, 3, v2
	s_mov_b32 s19, exec_lo
	v_cmpx_gt_u32_e32 8, v2
; %bb.14:                               ;   in Loop: Header=BB302_10 Depth=1
	v_ffbh_u32_e32 v0, v0
	v_min_u32_e32 v2, 32, v0
	v_subrev_nc_u32_e32 v0, 28, v2
	v_lshlrev_b64 v[0:1], v0, v[24:25]
	v_sub_nc_u32_e32 v1, 29, v2
	v_and_b32_e32 v0, 7, v0
; %bb.15:                               ;   in Loop: Header=BB302_10 Depth=1
	s_or_b32 exec_lo, exec_lo, s19
	v_lshlrev_b32_e32 v2, 8, v24
	v_lshl_add_u32 v1, v1, 10, 0x2000
	v_lshlrev_b32_e32 v0, 7, v0
	v_and_b32_e32 v2, 0x8000, v2
	v_and_b32_e32 v1, 0xfc00, v1
	v_or3_b32 v0, v2, v1, v0
	buffer_store_dword v0, off, s[0:3], s32 offset:208 ; 4-byte Folded Spill
.LBB302_16:                             ;   in Loop: Header=BB302_10 Depth=1
	s_or_b32 exec_lo, exec_lo, s17
.LBB302_17:                             ;   in Loop: Header=BB302_10 Depth=1
	s_or_b32 exec_lo, exec_lo, s12
.LBB302_18:                             ;   in Loop: Header=BB302_10 Depth=1
	s_or_b32 exec_lo, exec_lo, s11
	v_mov_b32_e32 v0, 0
	v_lshrrev_b16 v4, 8, v24
	s_mov_b32 s11, exec_lo
	buffer_store_dword v0, off, s[0:3], s32 offset:216 ; 4-byte Folded Spill
	v_mov_b32_e32 v0, 0
	buffer_store_dword v0, off, s[0:3], s32 offset:212 ; 4-byte Folded Spill
	v_cmpx_ne_u16_e32 0, v4
	s_cbranch_execz .LBB302_26
; %bb.19:                               ;   in Loop: Header=BB302_10 Depth=1
	v_bfrev_b32_e32 v0, 1
	s_mov_b32 s12, exec_lo
	buffer_store_dword v0, off, s[0:3], s32 offset:212 ; 4-byte Folded Spill
	v_cmpx_ne_u16_e32 0x80, v4
	s_cbranch_execz .LBB302_25
; %bb.20:                               ;   in Loop: Header=BB302_10 Depth=1
	v_mov_b32_e32 v0, 0x7f
	s_mov_b32 s17, exec_lo
	v_and_b32_sdwa v2, v4, v0 dst_sel:DWORD dst_unused:UNUSED_PAD src0_sel:WORD_0 src1_sel:DWORD
	v_mov_b32_e32 v0, 0x7c010000
	buffer_store_dword v0, off, s[0:3], s32 offset:212 ; 4-byte Folded Spill
	v_cmpx_ne_u32_e32 0x7f, v2
	s_cbranch_execz .LBB302_24
; %bb.21:                               ;   in Loop: Header=BB302_10 Depth=1
	v_mov_b32_e32 v0, 7
	v_lshrrev_b32_e32 v1, 3, v2
	s_mov_b32 s19, exec_lo
	v_and_b32_sdwa v0, v4, v0 dst_sel:DWORD dst_unused:UNUSED_PAD src0_sel:WORD_0 src1_sel:DWORD
	v_cmpx_gt_u32_e32 8, v2
; %bb.22:                               ;   in Loop: Header=BB302_10 Depth=1
	v_ffbh_u32_e32 v0, v0
	v_min_u32_e32 v2, 32, v0
	v_subrev_nc_u32_e32 v0, 28, v2
	v_lshlrev_b64 v[0:1], v0, v[4:5]
	v_sub_nc_u32_e32 v1, 29, v2
	v_and_b32_e32 v0, 7, v0
; %bb.23:                               ;   in Loop: Header=BB302_10 Depth=1
	s_or_b32 exec_lo, exec_lo, s19
	v_mov_b32_e32 v2, 8
	v_lshl_add_u32 v1, v1, 10, 0x2000
	v_lshlrev_b32_e32 v0, 23, v0
	v_lshlrev_b32_sdwa v2, v2, v4 dst_sel:DWORD dst_unused:UNUSED_PAD src0_sel:DWORD src1_sel:WORD_0
	v_and_or_b32 v1, 0x8000, v2, v1
	v_lshl_or_b32 v0, v1, 16, v0
	buffer_store_dword v0, off, s[0:3], s32 offset:212 ; 4-byte Folded Spill
.LBB302_24:                             ;   in Loop: Header=BB302_10 Depth=1
	s_or_b32 exec_lo, exec_lo, s17
.LBB302_25:                             ;   in Loop: Header=BB302_10 Depth=1
	s_or_b32 exec_lo, exec_lo, s12
.LBB302_26:                             ;   in Loop: Header=BB302_10 Depth=1
	s_or_b32 exec_lo, exec_lo, s11
	v_lshrrev_b32_e32 v4, 16, v24
	v_cmp_ne_u16_sdwa s5, v4, v5 src0_sel:BYTE_0 src1_sel:DWORD
	s_and_saveexec_b32 s11, s5
	s_cbranch_execz .LBB302_34
; %bb.27:                               ;   in Loop: Header=BB302_10 Depth=1
	v_cmp_ne_u16_sdwa s5, v4, v99 src0_sel:BYTE_0 src1_sel:DWORD
	v_mov_b32_e32 v0, 0x8000
	buffer_store_dword v0, off, s[0:3], s32 offset:216 ; 4-byte Folded Spill
	s_and_saveexec_b32 s12, s5
	s_cbranch_execz .LBB302_33
; %bb.28:                               ;   in Loop: Header=BB302_10 Depth=1
	v_bfe_u32 v2, v24, 16, 7
	v_mov_b32_e32 v0, 0x7c01
	s_mov_b32 s17, exec_lo
	buffer_store_dword v0, off, s[0:3], s32 offset:216 ; 4-byte Folded Spill
	v_cmpx_ne_u32_e32 0x7f, v2
	s_cbranch_execz .LBB302_32
; %bb.29:                               ;   in Loop: Header=BB302_10 Depth=1
	v_and_b32_e32 v0, 7, v4
	v_lshrrev_b32_e32 v1, 3, v2
	s_mov_b32 s19, exec_lo
	v_cmpx_gt_u32_e32 8, v2
; %bb.30:                               ;   in Loop: Header=BB302_10 Depth=1
	v_ffbh_u32_e32 v0, v0
	v_min_u32_e32 v2, 32, v0
	v_subrev_nc_u32_e32 v0, 28, v2
	v_lshlrev_b64 v[0:1], v0, v[4:5]
	v_sub_nc_u32_e32 v1, 29, v2
	v_and_b32_e32 v0, 7, v0
; %bb.31:                               ;   in Loop: Header=BB302_10 Depth=1
	s_or_b32 exec_lo, exec_lo, s19
	v_lshlrev_b32_e32 v2, 8, v4
	v_lshl_add_u32 v1, v1, 10, 0x2000
	v_lshlrev_b32_e32 v0, 7, v0
	v_and_b32_e32 v2, 0x8000, v2
	v_and_b32_e32 v1, 0xfc00, v1
	v_or3_b32 v0, v2, v1, v0
	buffer_store_dword v0, off, s[0:3], s32 offset:216 ; 4-byte Folded Spill
.LBB302_32:                             ;   in Loop: Header=BB302_10 Depth=1
	s_or_b32 exec_lo, exec_lo, s17
.LBB302_33:                             ;   in Loop: Header=BB302_10 Depth=1
	s_or_b32 exec_lo, exec_lo, s12
.LBB302_34:                             ;   in Loop: Header=BB302_10 Depth=1
	s_or_b32 exec_lo, exec_lo, s11
	v_mov_b32_e32 v0, 0
	s_mov_b32 s11, exec_lo
	buffer_store_dword v0, off, s[0:3], s32 offset:220 ; 4-byte Folded Spill
	v_mov_b32_e32 v0, 0
	buffer_store_dword v0, off, s[0:3], s32 offset:224 ; 4-byte Folded Spill
	v_cmpx_lt_u32_e32 0xffffff, v24
	s_cbranch_execz .LBB302_42
; %bb.35:                               ;   in Loop: Header=BB302_10 Depth=1
	v_lshrrev_b32_e32 v4, 24, v24
	v_bfrev_b32_e32 v0, 1
	s_mov_b32 s12, exec_lo
	buffer_store_dword v0, off, s[0:3], s32 offset:224 ; 4-byte Folded Spill
	v_cmpx_ne_u32_e32 0x80, v4
	s_cbranch_execz .LBB302_41
; %bb.36:                               ;   in Loop: Header=BB302_10 Depth=1
	v_and_b32_e32 v2, 0x7f, v4
	v_mov_b32_e32 v0, 0x7c010000
	s_mov_b32 s17, exec_lo
	buffer_store_dword v0, off, s[0:3], s32 offset:224 ; 4-byte Folded Spill
	v_cmpx_ne_u32_e32 0x7f, v2
	s_cbranch_execz .LBB302_40
; %bb.37:                               ;   in Loop: Header=BB302_10 Depth=1
	v_and_b32_e32 v0, 7, v4
	v_lshrrev_b32_e32 v1, 3, v2
	s_mov_b32 s19, exec_lo
	v_cmpx_gt_u32_e32 8, v2
; %bb.38:                               ;   in Loop: Header=BB302_10 Depth=1
	v_ffbh_u32_e32 v0, v0
	v_min_u32_e32 v2, 32, v0
	v_subrev_nc_u32_e32 v0, 28, v2
	v_lshlrev_b64 v[0:1], v0, v[4:5]
	v_sub_nc_u32_e32 v1, 29, v2
	v_and_b32_e32 v0, 7, v0
; %bb.39:                               ;   in Loop: Header=BB302_10 Depth=1
	s_or_b32 exec_lo, exec_lo, s19
	v_lshlrev_b32_e32 v2, 8, v4
	v_lshl_add_u32 v1, v1, 10, 0x2000
	v_lshlrev_b32_e32 v0, 23, v0
	v_and_or_b32 v1, 0x8000, v2, v1
	v_lshl_or_b32 v0, v1, 16, v0
	buffer_store_dword v0, off, s[0:3], s32 offset:224 ; 4-byte Folded Spill
.LBB302_40:                             ;   in Loop: Header=BB302_10 Depth=1
	s_or_b32 exec_lo, exec_lo, s17
.LBB302_41:                             ;   in Loop: Header=BB302_10 Depth=1
	s_or_b32 exec_lo, exec_lo, s12
.LBB302_42:                             ;   in Loop: Header=BB302_10 Depth=1
	s_or_b32 exec_lo, exec_lo, s11
	v_mov_b32_e32 v4, v25
	v_cmp_ne_u16_sdwa s5, v25, v5 src0_sel:BYTE_0 src1_sel:DWORD
	s_and_saveexec_b32 s11, s5
	s_cbranch_execz .LBB302_50
; %bb.43:                               ;   in Loop: Header=BB302_10 Depth=1
	v_cmp_ne_u16_sdwa s5, v25, v99 src0_sel:BYTE_0 src1_sel:DWORD
	v_mov_b32_e32 v0, 0x8000
	buffer_store_dword v0, off, s[0:3], s32 offset:220 ; 4-byte Folded Spill
	s_and_saveexec_b32 s12, s5
	s_cbranch_execz .LBB302_49
; %bb.44:                               ;   in Loop: Header=BB302_10 Depth=1
	v_and_b32_e32 v2, 0x7f, v25
	v_mov_b32_e32 v0, 0x7c01
	s_mov_b32 s17, exec_lo
	buffer_store_dword v0, off, s[0:3], s32 offset:220 ; 4-byte Folded Spill
	v_cmpx_ne_u32_e32 0x7f, v2
	s_cbranch_execz .LBB302_48
; %bb.45:                               ;   in Loop: Header=BB302_10 Depth=1
	v_and_b32_e32 v0, 7, v25
	v_lshrrev_b32_e32 v1, 3, v2
	s_mov_b32 s19, exec_lo
	v_cmpx_gt_u32_e32 8, v2
; %bb.46:                               ;   in Loop: Header=BB302_10 Depth=1
	v_ffbh_u32_e32 v0, v0
	v_min_u32_e32 v2, 32, v0
	v_subrev_nc_u32_e32 v0, 28, v2
	v_lshlrev_b64 v[0:1], v0, v[4:5]
	v_sub_nc_u32_e32 v1, 29, v2
	v_and_b32_e32 v0, 7, v0
; %bb.47:                               ;   in Loop: Header=BB302_10 Depth=1
	s_or_b32 exec_lo, exec_lo, s19
	v_lshlrev_b32_e32 v2, 8, v25
	v_lshl_add_u32 v1, v1, 10, 0x2000
	v_lshlrev_b32_e32 v0, 7, v0
	v_and_b32_e32 v2, 0x8000, v2
	v_and_b32_e32 v1, 0xfc00, v1
	v_or3_b32 v0, v2, v1, v0
	buffer_store_dword v0, off, s[0:3], s32 offset:220 ; 4-byte Folded Spill
.LBB302_48:                             ;   in Loop: Header=BB302_10 Depth=1
	s_or_b32 exec_lo, exec_lo, s17
.LBB302_49:                             ;   in Loop: Header=BB302_10 Depth=1
	s_or_b32 exec_lo, exec_lo, s12
.LBB302_50:                             ;   in Loop: Header=BB302_10 Depth=1
	s_or_b32 exec_lo, exec_lo, s11
	v_mov_b32_e32 v0, 0
	v_lshrrev_b16 v4, 8, v4
	s_mov_b32 s11, exec_lo
	buffer_store_dword v0, off, s[0:3], s32 offset:228 ; 4-byte Folded Spill
	v_mov_b32_e32 v0, 0
	buffer_store_dword v0, off, s[0:3], s32 offset:232 ; 4-byte Folded Spill
	v_cmpx_ne_u16_e32 0, v4
	s_cbranch_execz .LBB302_58
; %bb.51:                               ;   in Loop: Header=BB302_10 Depth=1
	v_bfrev_b32_e32 v0, 1
	s_mov_b32 s12, exec_lo
	buffer_store_dword v0, off, s[0:3], s32 offset:232 ; 4-byte Folded Spill
	v_cmpx_ne_u16_e32 0x80, v4
	s_cbranch_execz .LBB302_57
; %bb.52:                               ;   in Loop: Header=BB302_10 Depth=1
	v_mov_b32_e32 v0, 0x7f
	s_mov_b32 s17, exec_lo
	v_and_b32_sdwa v2, v4, v0 dst_sel:DWORD dst_unused:UNUSED_PAD src0_sel:WORD_0 src1_sel:DWORD
	v_mov_b32_e32 v0, 0x7c010000
	buffer_store_dword v0, off, s[0:3], s32 offset:232 ; 4-byte Folded Spill
	v_cmpx_ne_u32_e32 0x7f, v2
	s_cbranch_execz .LBB302_56
; %bb.53:                               ;   in Loop: Header=BB302_10 Depth=1
	v_mov_b32_e32 v0, 7
	v_lshrrev_b32_e32 v1, 3, v2
	s_mov_b32 s19, exec_lo
	v_and_b32_sdwa v0, v4, v0 dst_sel:DWORD dst_unused:UNUSED_PAD src0_sel:WORD_0 src1_sel:DWORD
	v_cmpx_gt_u32_e32 8, v2
; %bb.54:                               ;   in Loop: Header=BB302_10 Depth=1
	v_ffbh_u32_e32 v0, v0
	v_min_u32_e32 v2, 32, v0
	v_subrev_nc_u32_e32 v0, 28, v2
	v_lshlrev_b64 v[0:1], v0, v[4:5]
	v_sub_nc_u32_e32 v1, 29, v2
	v_and_b32_e32 v0, 7, v0
; %bb.55:                               ;   in Loop: Header=BB302_10 Depth=1
	s_or_b32 exec_lo, exec_lo, s19
	v_mov_b32_e32 v2, 8
	v_lshl_add_u32 v1, v1, 10, 0x2000
	v_lshlrev_b32_e32 v0, 23, v0
	v_lshlrev_b32_sdwa v2, v2, v4 dst_sel:DWORD dst_unused:UNUSED_PAD src0_sel:DWORD src1_sel:WORD_0
	v_and_or_b32 v1, 0x8000, v2, v1
	v_lshl_or_b32 v0, v1, 16, v0
	buffer_store_dword v0, off, s[0:3], s32 offset:232 ; 4-byte Folded Spill
.LBB302_56:                             ;   in Loop: Header=BB302_10 Depth=1
	s_or_b32 exec_lo, exec_lo, s17
.LBB302_57:                             ;   in Loop: Header=BB302_10 Depth=1
	s_or_b32 exec_lo, exec_lo, s12
.LBB302_58:                             ;   in Loop: Header=BB302_10 Depth=1
	s_or_b32 exec_lo, exec_lo, s11
	v_lshrrev_b32_e32 v4, 16, v25
	v_cmp_ne_u16_sdwa s5, v4, v5 src0_sel:BYTE_0 src1_sel:DWORD
	s_and_saveexec_b32 s11, s5
	s_cbranch_execz .LBB302_66
; %bb.59:                               ;   in Loop: Header=BB302_10 Depth=1
	v_cmp_ne_u16_sdwa s5, v4, v99 src0_sel:BYTE_0 src1_sel:DWORD
	v_mov_b32_e32 v0, 0x8000
	buffer_store_dword v0, off, s[0:3], s32 offset:228 ; 4-byte Folded Spill
	s_and_saveexec_b32 s12, s5
	s_cbranch_execz .LBB302_65
; %bb.60:                               ;   in Loop: Header=BB302_10 Depth=1
	v_bfe_u32 v2, v25, 16, 7
	v_mov_b32_e32 v0, 0x7c01
	s_mov_b32 s17, exec_lo
	buffer_store_dword v0, off, s[0:3], s32 offset:228 ; 4-byte Folded Spill
	v_cmpx_ne_u32_e32 0x7f, v2
	s_cbranch_execz .LBB302_64
; %bb.61:                               ;   in Loop: Header=BB302_10 Depth=1
	v_and_b32_e32 v0, 7, v4
	v_lshrrev_b32_e32 v1, 3, v2
	s_mov_b32 s19, exec_lo
	v_cmpx_gt_u32_e32 8, v2
; %bb.62:                               ;   in Loop: Header=BB302_10 Depth=1
	v_ffbh_u32_e32 v0, v0
	v_min_u32_e32 v2, 32, v0
	v_subrev_nc_u32_e32 v0, 28, v2
	v_lshlrev_b64 v[0:1], v0, v[4:5]
	v_sub_nc_u32_e32 v1, 29, v2
	v_and_b32_e32 v0, 7, v0
; %bb.63:                               ;   in Loop: Header=BB302_10 Depth=1
	s_or_b32 exec_lo, exec_lo, s19
	v_lshlrev_b32_e32 v2, 8, v4
	v_lshl_add_u32 v1, v1, 10, 0x2000
	v_lshlrev_b32_e32 v0, 7, v0
	v_and_b32_e32 v2, 0x8000, v2
	v_and_b32_e32 v1, 0xfc00, v1
	v_or3_b32 v0, v2, v1, v0
	buffer_store_dword v0, off, s[0:3], s32 offset:228 ; 4-byte Folded Spill
.LBB302_64:                             ;   in Loop: Header=BB302_10 Depth=1
	s_or_b32 exec_lo, exec_lo, s17
.LBB302_65:                             ;   in Loop: Header=BB302_10 Depth=1
	s_or_b32 exec_lo, exec_lo, s12
.LBB302_66:                             ;   in Loop: Header=BB302_10 Depth=1
	s_or_b32 exec_lo, exec_lo, s11
	v_mov_b32_e32 v0, 0
	s_mov_b32 s11, exec_lo
	buffer_store_dword v0, off, s[0:3], s32 offset:236 ; 4-byte Folded Spill
	v_mov_b32_e32 v0, 0
	buffer_store_dword v0, off, s[0:3], s32 offset:724 ; 4-byte Folded Spill
	v_cmpx_lt_u64_e64 s[6:7], v[24:25]
	s_cbranch_execz .LBB302_74
; %bb.67:                               ;   in Loop: Header=BB302_10 Depth=1
	v_lshrrev_b32_e32 v4, 24, v25
	v_bfrev_b32_e32 v0, 1
	s_mov_b32 s12, exec_lo
	v_cmpx_ne_u32_e32 0x80, v4
	s_cbranch_execz .LBB302_73
; %bb.68:                               ;   in Loop: Header=BB302_10 Depth=1
	v_and_b32_e32 v2, 0x7f, v4
	v_mov_b32_e32 v0, 0x7c010000
	s_mov_b32 s17, exec_lo
	v_cmpx_ne_u32_e32 0x7f, v2
	s_cbranch_execz .LBB302_72
; %bb.69:                               ;   in Loop: Header=BB302_10 Depth=1
	v_and_b32_e32 v0, 7, v4
	v_lshrrev_b32_e32 v1, 3, v2
	s_mov_b32 s19, exec_lo
	v_cmpx_gt_u32_e32 8, v2
; %bb.70:                               ;   in Loop: Header=BB302_10 Depth=1
	v_ffbh_u32_e32 v0, v0
	v_min_u32_e32 v2, 32, v0
	v_subrev_nc_u32_e32 v0, 28, v2
	v_lshlrev_b64 v[0:1], v0, v[4:5]
	v_sub_nc_u32_e32 v1, 29, v2
	v_and_b32_e32 v0, 7, v0
; %bb.71:                               ;   in Loop: Header=BB302_10 Depth=1
	s_or_b32 exec_lo, exec_lo, s19
	v_lshlrev_b32_e32 v2, 8, v4
	v_lshl_add_u32 v1, v1, 10, 0x2000
	v_lshlrev_b32_e32 v0, 23, v0
	v_and_or_b32 v1, 0x8000, v2, v1
	v_lshl_or_b32 v0, v1, 16, v0
.LBB302_72:                             ;   in Loop: Header=BB302_10 Depth=1
	s_or_b32 exec_lo, exec_lo, s17
.LBB302_73:                             ;   in Loop: Header=BB302_10 Depth=1
	s_or_b32 exec_lo, exec_lo, s12
	buffer_store_dword v0, off, s[0:3], s32 offset:724 ; 4-byte Folded Spill
.LBB302_74:                             ;   in Loop: Header=BB302_10 Depth=1
	s_or_b32 exec_lo, exec_lo, s11
	flat_load_dwordx2 v[24:25], v[16:17] offset:8
	s_waitcnt vmcnt(0) lgkmcnt(0)
	v_cmp_ne_u16_sdwa s5, v24, v5 src0_sel:BYTE_0 src1_sel:DWORD
	s_and_saveexec_b32 s11, s5
	s_cbranch_execz .LBB302_82
; %bb.75:                               ;   in Loop: Header=BB302_10 Depth=1
	v_cmp_ne_u16_sdwa s5, v24, v99 src0_sel:BYTE_0 src1_sel:DWORD
	v_mov_b32_e32 v0, 0x8000
	buffer_store_dword v0, off, s[0:3], s32 offset:236 ; 4-byte Folded Spill
	s_and_saveexec_b32 s12, s5
	s_cbranch_execz .LBB302_81
; %bb.76:                               ;   in Loop: Header=BB302_10 Depth=1
	v_and_b32_e32 v2, 0x7f, v24
	v_mov_b32_e32 v0, 0x7c01
	s_mov_b32 s17, exec_lo
	buffer_store_dword v0, off, s[0:3], s32 offset:236 ; 4-byte Folded Spill
	v_cmpx_ne_u32_e32 0x7f, v2
	s_cbranch_execz .LBB302_80
; %bb.77:                               ;   in Loop: Header=BB302_10 Depth=1
	v_and_b32_e32 v0, 7, v24
	v_lshrrev_b32_e32 v1, 3, v2
	s_mov_b32 s19, exec_lo
	v_cmpx_gt_u32_e32 8, v2
; %bb.78:                               ;   in Loop: Header=BB302_10 Depth=1
	v_ffbh_u32_e32 v0, v0
	v_min_u32_e32 v2, 32, v0
	v_subrev_nc_u32_e32 v0, 28, v2
	v_lshlrev_b64 v[0:1], v0, v[24:25]
	v_sub_nc_u32_e32 v1, 29, v2
	v_and_b32_e32 v0, 7, v0
; %bb.79:                               ;   in Loop: Header=BB302_10 Depth=1
	s_or_b32 exec_lo, exec_lo, s19
	v_lshlrev_b32_e32 v2, 8, v24
	v_lshl_add_u32 v1, v1, 10, 0x2000
	v_lshlrev_b32_e32 v0, 7, v0
	v_and_b32_e32 v2, 0x8000, v2
	v_and_b32_e32 v1, 0xfc00, v1
	v_or3_b32 v0, v2, v1, v0
	buffer_store_dword v0, off, s[0:3], s32 offset:236 ; 4-byte Folded Spill
.LBB302_80:                             ;   in Loop: Header=BB302_10 Depth=1
	s_or_b32 exec_lo, exec_lo, s17
.LBB302_81:                             ;   in Loop: Header=BB302_10 Depth=1
	s_or_b32 exec_lo, exec_lo, s12
.LBB302_82:                             ;   in Loop: Header=BB302_10 Depth=1
	s_or_b32 exec_lo, exec_lo, s11
	v_mov_b32_e32 v0, 0
	v_lshrrev_b16 v4, 8, v24
	s_mov_b32 s11, exec_lo
	buffer_store_dword v0, off, s[0:3], s32 offset:244 ; 4-byte Folded Spill
	v_mov_b32_e32 v0, 0
	buffer_store_dword v0, off, s[0:3], s32 offset:240 ; 4-byte Folded Spill
	v_cmpx_ne_u16_e32 0, v4
	s_cbranch_execz .LBB302_90
; %bb.83:                               ;   in Loop: Header=BB302_10 Depth=1
	v_bfrev_b32_e32 v0, 1
	s_mov_b32 s12, exec_lo
	buffer_store_dword v0, off, s[0:3], s32 offset:240 ; 4-byte Folded Spill
	v_cmpx_ne_u16_e32 0x80, v4
	s_cbranch_execz .LBB302_89
; %bb.84:                               ;   in Loop: Header=BB302_10 Depth=1
	v_mov_b32_e32 v0, 0x7f
	s_mov_b32 s17, exec_lo
	v_and_b32_sdwa v2, v4, v0 dst_sel:DWORD dst_unused:UNUSED_PAD src0_sel:WORD_0 src1_sel:DWORD
	v_mov_b32_e32 v0, 0x7c010000
	buffer_store_dword v0, off, s[0:3], s32 offset:240 ; 4-byte Folded Spill
	v_cmpx_ne_u32_e32 0x7f, v2
	s_cbranch_execz .LBB302_88
; %bb.85:                               ;   in Loop: Header=BB302_10 Depth=1
	v_mov_b32_e32 v0, 7
	v_lshrrev_b32_e32 v1, 3, v2
	s_mov_b32 s19, exec_lo
	v_and_b32_sdwa v0, v4, v0 dst_sel:DWORD dst_unused:UNUSED_PAD src0_sel:WORD_0 src1_sel:DWORD
	v_cmpx_gt_u32_e32 8, v2
; %bb.86:                               ;   in Loop: Header=BB302_10 Depth=1
	v_ffbh_u32_e32 v0, v0
	v_min_u32_e32 v2, 32, v0
	v_subrev_nc_u32_e32 v0, 28, v2
	v_lshlrev_b64 v[0:1], v0, v[4:5]
	v_sub_nc_u32_e32 v1, 29, v2
	v_and_b32_e32 v0, 7, v0
; %bb.87:                               ;   in Loop: Header=BB302_10 Depth=1
	s_or_b32 exec_lo, exec_lo, s19
	v_mov_b32_e32 v2, 8
	v_lshl_add_u32 v1, v1, 10, 0x2000
	v_lshlrev_b32_e32 v0, 23, v0
	v_lshlrev_b32_sdwa v2, v2, v4 dst_sel:DWORD dst_unused:UNUSED_PAD src0_sel:DWORD src1_sel:WORD_0
	v_and_or_b32 v1, 0x8000, v2, v1
	v_lshl_or_b32 v0, v1, 16, v0
	buffer_store_dword v0, off, s[0:3], s32 offset:240 ; 4-byte Folded Spill
.LBB302_88:                             ;   in Loop: Header=BB302_10 Depth=1
	s_or_b32 exec_lo, exec_lo, s17
.LBB302_89:                             ;   in Loop: Header=BB302_10 Depth=1
	s_or_b32 exec_lo, exec_lo, s12
.LBB302_90:                             ;   in Loop: Header=BB302_10 Depth=1
	s_or_b32 exec_lo, exec_lo, s11
	v_lshrrev_b32_e32 v4, 16, v24
	v_cmp_ne_u16_sdwa s5, v4, v5 src0_sel:BYTE_0 src1_sel:DWORD
	s_and_saveexec_b32 s11, s5
	s_cbranch_execz .LBB302_98
; %bb.91:                               ;   in Loop: Header=BB302_10 Depth=1
	v_cmp_ne_u16_sdwa s5, v4, v99 src0_sel:BYTE_0 src1_sel:DWORD
	v_mov_b32_e32 v0, 0x8000
	buffer_store_dword v0, off, s[0:3], s32 offset:244 ; 4-byte Folded Spill
	s_and_saveexec_b32 s12, s5
	s_cbranch_execz .LBB302_97
; %bb.92:                               ;   in Loop: Header=BB302_10 Depth=1
	v_bfe_u32 v2, v24, 16, 7
	v_mov_b32_e32 v0, 0x7c01
	s_mov_b32 s17, exec_lo
	buffer_store_dword v0, off, s[0:3], s32 offset:244 ; 4-byte Folded Spill
	v_cmpx_ne_u32_e32 0x7f, v2
	s_cbranch_execz .LBB302_96
; %bb.93:                               ;   in Loop: Header=BB302_10 Depth=1
	v_and_b32_e32 v0, 7, v4
	v_lshrrev_b32_e32 v1, 3, v2
	s_mov_b32 s19, exec_lo
	v_cmpx_gt_u32_e32 8, v2
; %bb.94:                               ;   in Loop: Header=BB302_10 Depth=1
	v_ffbh_u32_e32 v0, v0
	v_min_u32_e32 v2, 32, v0
	v_subrev_nc_u32_e32 v0, 28, v2
	v_lshlrev_b64 v[0:1], v0, v[4:5]
	v_sub_nc_u32_e32 v1, 29, v2
	v_and_b32_e32 v0, 7, v0
; %bb.95:                               ;   in Loop: Header=BB302_10 Depth=1
	s_or_b32 exec_lo, exec_lo, s19
	v_lshlrev_b32_e32 v2, 8, v4
	v_lshl_add_u32 v1, v1, 10, 0x2000
	v_lshlrev_b32_e32 v0, 7, v0
	v_and_b32_e32 v2, 0x8000, v2
	v_and_b32_e32 v1, 0xfc00, v1
	v_or3_b32 v0, v2, v1, v0
	buffer_store_dword v0, off, s[0:3], s32 offset:244 ; 4-byte Folded Spill
.LBB302_96:                             ;   in Loop: Header=BB302_10 Depth=1
	s_or_b32 exec_lo, exec_lo, s17
.LBB302_97:                             ;   in Loop: Header=BB302_10 Depth=1
	s_or_b32 exec_lo, exec_lo, s12
.LBB302_98:                             ;   in Loop: Header=BB302_10 Depth=1
	s_or_b32 exec_lo, exec_lo, s11
	v_mov_b32_e32 v0, 0
	s_mov_b32 s11, exec_lo
	buffer_store_dword v0, off, s[0:3], s32 offset:248 ; 4-byte Folded Spill
	v_mov_b32_e32 v0, 0
	buffer_store_dword v0, off, s[0:3], s32 offset:252 ; 4-byte Folded Spill
	v_cmpx_lt_u32_e32 0xffffff, v24
	s_cbranch_execz .LBB302_106
; %bb.99:                               ;   in Loop: Header=BB302_10 Depth=1
	v_lshrrev_b32_e32 v4, 24, v24
	v_bfrev_b32_e32 v0, 1
	s_mov_b32 s12, exec_lo
	buffer_store_dword v0, off, s[0:3], s32 offset:252 ; 4-byte Folded Spill
	v_cmpx_ne_u32_e32 0x80, v4
	s_cbranch_execz .LBB302_105
; %bb.100:                              ;   in Loop: Header=BB302_10 Depth=1
	v_and_b32_e32 v2, 0x7f, v4
	v_mov_b32_e32 v0, 0x7c010000
	s_mov_b32 s17, exec_lo
	buffer_store_dword v0, off, s[0:3], s32 offset:252 ; 4-byte Folded Spill
	v_cmpx_ne_u32_e32 0x7f, v2
	s_cbranch_execz .LBB302_104
; %bb.101:                              ;   in Loop: Header=BB302_10 Depth=1
	v_and_b32_e32 v0, 7, v4
	v_lshrrev_b32_e32 v1, 3, v2
	s_mov_b32 s19, exec_lo
	v_cmpx_gt_u32_e32 8, v2
; %bb.102:                              ;   in Loop: Header=BB302_10 Depth=1
	v_ffbh_u32_e32 v0, v0
	v_min_u32_e32 v2, 32, v0
	v_subrev_nc_u32_e32 v0, 28, v2
	v_lshlrev_b64 v[0:1], v0, v[4:5]
	v_sub_nc_u32_e32 v1, 29, v2
	v_and_b32_e32 v0, 7, v0
; %bb.103:                              ;   in Loop: Header=BB302_10 Depth=1
	s_or_b32 exec_lo, exec_lo, s19
	v_lshlrev_b32_e32 v2, 8, v4
	v_lshl_add_u32 v1, v1, 10, 0x2000
	v_lshlrev_b32_e32 v0, 23, v0
	v_and_or_b32 v1, 0x8000, v2, v1
	v_lshl_or_b32 v0, v1, 16, v0
	buffer_store_dword v0, off, s[0:3], s32 offset:252 ; 4-byte Folded Spill
.LBB302_104:                            ;   in Loop: Header=BB302_10 Depth=1
	s_or_b32 exec_lo, exec_lo, s17
.LBB302_105:                            ;   in Loop: Header=BB302_10 Depth=1
	s_or_b32 exec_lo, exec_lo, s12
.LBB302_106:                            ;   in Loop: Header=BB302_10 Depth=1
	s_or_b32 exec_lo, exec_lo, s11
	v_mov_b32_e32 v4, v25
	v_cmp_ne_u16_sdwa s5, v25, v5 src0_sel:BYTE_0 src1_sel:DWORD
	s_and_saveexec_b32 s11, s5
	s_cbranch_execz .LBB302_114
; %bb.107:                              ;   in Loop: Header=BB302_10 Depth=1
	v_cmp_ne_u16_sdwa s5, v25, v99 src0_sel:BYTE_0 src1_sel:DWORD
	v_mov_b32_e32 v0, 0x8000
	buffer_store_dword v0, off, s[0:3], s32 offset:248 ; 4-byte Folded Spill
	s_and_saveexec_b32 s12, s5
	s_cbranch_execz .LBB302_113
; %bb.108:                              ;   in Loop: Header=BB302_10 Depth=1
	v_and_b32_e32 v2, 0x7f, v25
	v_mov_b32_e32 v0, 0x7c01
	s_mov_b32 s17, exec_lo
	buffer_store_dword v0, off, s[0:3], s32 offset:248 ; 4-byte Folded Spill
	v_cmpx_ne_u32_e32 0x7f, v2
	s_cbranch_execz .LBB302_112
; %bb.109:                              ;   in Loop: Header=BB302_10 Depth=1
	v_and_b32_e32 v0, 7, v25
	v_lshrrev_b32_e32 v1, 3, v2
	s_mov_b32 s19, exec_lo
	v_cmpx_gt_u32_e32 8, v2
; %bb.110:                              ;   in Loop: Header=BB302_10 Depth=1
	v_ffbh_u32_e32 v0, v0
	v_min_u32_e32 v2, 32, v0
	v_subrev_nc_u32_e32 v0, 28, v2
	v_lshlrev_b64 v[0:1], v0, v[4:5]
	v_sub_nc_u32_e32 v1, 29, v2
	v_and_b32_e32 v0, 7, v0
; %bb.111:                              ;   in Loop: Header=BB302_10 Depth=1
	s_or_b32 exec_lo, exec_lo, s19
	v_lshlrev_b32_e32 v2, 8, v25
	v_lshl_add_u32 v1, v1, 10, 0x2000
	v_lshlrev_b32_e32 v0, 7, v0
	v_and_b32_e32 v2, 0x8000, v2
	v_and_b32_e32 v1, 0xfc00, v1
	v_or3_b32 v0, v2, v1, v0
	buffer_store_dword v0, off, s[0:3], s32 offset:248 ; 4-byte Folded Spill
.LBB302_112:                            ;   in Loop: Header=BB302_10 Depth=1
	s_or_b32 exec_lo, exec_lo, s17
.LBB302_113:                            ;   in Loop: Header=BB302_10 Depth=1
	s_or_b32 exec_lo, exec_lo, s12
.LBB302_114:                            ;   in Loop: Header=BB302_10 Depth=1
	s_or_b32 exec_lo, exec_lo, s11
	v_mov_b32_e32 v0, 0
	v_lshrrev_b16 v4, 8, v4
	s_mov_b32 s11, exec_lo
	buffer_store_dword v0, off, s[0:3], s32 offset:256 ; 4-byte Folded Spill
	v_mov_b32_e32 v0, 0
	buffer_store_dword v0, off, s[0:3], s32 offset:260 ; 4-byte Folded Spill
	v_cmpx_ne_u16_e32 0, v4
	s_cbranch_execz .LBB302_122
; %bb.115:                              ;   in Loop: Header=BB302_10 Depth=1
	v_bfrev_b32_e32 v0, 1
	s_mov_b32 s12, exec_lo
	buffer_store_dword v0, off, s[0:3], s32 offset:260 ; 4-byte Folded Spill
	v_cmpx_ne_u16_e32 0x80, v4
	s_cbranch_execz .LBB302_121
; %bb.116:                              ;   in Loop: Header=BB302_10 Depth=1
	v_mov_b32_e32 v0, 0x7f
	s_mov_b32 s17, exec_lo
	v_and_b32_sdwa v2, v4, v0 dst_sel:DWORD dst_unused:UNUSED_PAD src0_sel:WORD_0 src1_sel:DWORD
	v_mov_b32_e32 v0, 0x7c010000
	buffer_store_dword v0, off, s[0:3], s32 offset:260 ; 4-byte Folded Spill
	v_cmpx_ne_u32_e32 0x7f, v2
	s_cbranch_execz .LBB302_120
; %bb.117:                              ;   in Loop: Header=BB302_10 Depth=1
	v_mov_b32_e32 v0, 7
	v_lshrrev_b32_e32 v1, 3, v2
	s_mov_b32 s19, exec_lo
	v_and_b32_sdwa v0, v4, v0 dst_sel:DWORD dst_unused:UNUSED_PAD src0_sel:WORD_0 src1_sel:DWORD
	v_cmpx_gt_u32_e32 8, v2
; %bb.118:                              ;   in Loop: Header=BB302_10 Depth=1
	v_ffbh_u32_e32 v0, v0
	v_min_u32_e32 v2, 32, v0
	v_subrev_nc_u32_e32 v0, 28, v2
	v_lshlrev_b64 v[0:1], v0, v[4:5]
	v_sub_nc_u32_e32 v1, 29, v2
	v_and_b32_e32 v0, 7, v0
; %bb.119:                              ;   in Loop: Header=BB302_10 Depth=1
	s_or_b32 exec_lo, exec_lo, s19
	v_mov_b32_e32 v2, 8
	v_lshl_add_u32 v1, v1, 10, 0x2000
	v_lshlrev_b32_e32 v0, 23, v0
	v_lshlrev_b32_sdwa v2, v2, v4 dst_sel:DWORD dst_unused:UNUSED_PAD src0_sel:DWORD src1_sel:WORD_0
	v_and_or_b32 v1, 0x8000, v2, v1
	v_lshl_or_b32 v0, v1, 16, v0
	buffer_store_dword v0, off, s[0:3], s32 offset:260 ; 4-byte Folded Spill
.LBB302_120:                            ;   in Loop: Header=BB302_10 Depth=1
	s_or_b32 exec_lo, exec_lo, s17
.LBB302_121:                            ;   in Loop: Header=BB302_10 Depth=1
	s_or_b32 exec_lo, exec_lo, s12
.LBB302_122:                            ;   in Loop: Header=BB302_10 Depth=1
	s_or_b32 exec_lo, exec_lo, s11
	v_lshrrev_b32_e32 v4, 16, v25
	v_cmp_ne_u16_sdwa s5, v4, v5 src0_sel:BYTE_0 src1_sel:DWORD
	s_and_saveexec_b32 s11, s5
	s_cbranch_execz .LBB302_130
; %bb.123:                              ;   in Loop: Header=BB302_10 Depth=1
	v_cmp_ne_u16_sdwa s5, v4, v99 src0_sel:BYTE_0 src1_sel:DWORD
	v_mov_b32_e32 v0, 0x8000
	buffer_store_dword v0, off, s[0:3], s32 offset:256 ; 4-byte Folded Spill
	s_and_saveexec_b32 s12, s5
	s_cbranch_execz .LBB302_129
; %bb.124:                              ;   in Loop: Header=BB302_10 Depth=1
	v_bfe_u32 v2, v25, 16, 7
	v_mov_b32_e32 v0, 0x7c01
	s_mov_b32 s17, exec_lo
	buffer_store_dword v0, off, s[0:3], s32 offset:256 ; 4-byte Folded Spill
	v_cmpx_ne_u32_e32 0x7f, v2
	s_cbranch_execz .LBB302_128
; %bb.125:                              ;   in Loop: Header=BB302_10 Depth=1
	v_and_b32_e32 v0, 7, v4
	v_lshrrev_b32_e32 v1, 3, v2
	s_mov_b32 s19, exec_lo
	v_cmpx_gt_u32_e32 8, v2
; %bb.126:                              ;   in Loop: Header=BB302_10 Depth=1
	v_ffbh_u32_e32 v0, v0
	v_min_u32_e32 v2, 32, v0
	v_subrev_nc_u32_e32 v0, 28, v2
	v_lshlrev_b64 v[0:1], v0, v[4:5]
	v_sub_nc_u32_e32 v1, 29, v2
	v_and_b32_e32 v0, 7, v0
; %bb.127:                              ;   in Loop: Header=BB302_10 Depth=1
	s_or_b32 exec_lo, exec_lo, s19
	v_lshlrev_b32_e32 v2, 8, v4
	v_lshl_add_u32 v1, v1, 10, 0x2000
	v_lshlrev_b32_e32 v0, 7, v0
	v_and_b32_e32 v2, 0x8000, v2
	v_and_b32_e32 v1, 0xfc00, v1
	v_or3_b32 v0, v2, v1, v0
	buffer_store_dword v0, off, s[0:3], s32 offset:256 ; 4-byte Folded Spill
.LBB302_128:                            ;   in Loop: Header=BB302_10 Depth=1
	s_or_b32 exec_lo, exec_lo, s17
.LBB302_129:                            ;   in Loop: Header=BB302_10 Depth=1
	s_or_b32 exec_lo, exec_lo, s12
.LBB302_130:                            ;   in Loop: Header=BB302_10 Depth=1
	s_or_b32 exec_lo, exec_lo, s11
	v_mov_b32_e32 v0, 0
	s_mov_b32 s11, exec_lo
	buffer_store_dword v0, off, s[0:3], s32 offset:264 ; 4-byte Folded Spill
	v_mov_b32_e32 v0, 0
	buffer_store_dword v0, off, s[0:3], s32 offset:728 ; 4-byte Folded Spill
	v_cmpx_lt_u64_e64 s[6:7], v[24:25]
	s_cbranch_execz .LBB302_138
; %bb.131:                              ;   in Loop: Header=BB302_10 Depth=1
	v_lshrrev_b32_e32 v4, 24, v25
	v_bfrev_b32_e32 v0, 1
	s_mov_b32 s12, exec_lo
	v_cmpx_ne_u32_e32 0x80, v4
	s_cbranch_execz .LBB302_137
; %bb.132:                              ;   in Loop: Header=BB302_10 Depth=1
	v_and_b32_e32 v2, 0x7f, v4
	v_mov_b32_e32 v0, 0x7c010000
	s_mov_b32 s17, exec_lo
	v_cmpx_ne_u32_e32 0x7f, v2
	s_cbranch_execz .LBB302_136
; %bb.133:                              ;   in Loop: Header=BB302_10 Depth=1
	v_and_b32_e32 v0, 7, v4
	v_lshrrev_b32_e32 v1, 3, v2
	s_mov_b32 s19, exec_lo
	v_cmpx_gt_u32_e32 8, v2
; %bb.134:                              ;   in Loop: Header=BB302_10 Depth=1
	v_ffbh_u32_e32 v0, v0
	v_min_u32_e32 v2, 32, v0
	v_subrev_nc_u32_e32 v0, 28, v2
	v_lshlrev_b64 v[0:1], v0, v[4:5]
	v_sub_nc_u32_e32 v1, 29, v2
	v_and_b32_e32 v0, 7, v0
; %bb.135:                              ;   in Loop: Header=BB302_10 Depth=1
	s_or_b32 exec_lo, exec_lo, s19
	v_lshlrev_b32_e32 v2, 8, v4
	v_lshl_add_u32 v1, v1, 10, 0x2000
	v_lshlrev_b32_e32 v0, 23, v0
	v_and_or_b32 v1, 0x8000, v2, v1
	v_lshl_or_b32 v0, v1, 16, v0
.LBB302_136:                            ;   in Loop: Header=BB302_10 Depth=1
	s_or_b32 exec_lo, exec_lo, s17
.LBB302_137:                            ;   in Loop: Header=BB302_10 Depth=1
	s_or_b32 exec_lo, exec_lo, s12
	buffer_store_dword v0, off, s[0:3], s32 offset:728 ; 4-byte Folded Spill
.LBB302_138:                            ;   in Loop: Header=BB302_10 Depth=1
	s_or_b32 exec_lo, exec_lo, s11
	flat_load_dwordx2 v[24:25], v[16:17] offset:512
	s_waitcnt vmcnt(0) lgkmcnt(0)
	v_cmp_ne_u16_sdwa s5, v24, v5 src0_sel:BYTE_0 src1_sel:DWORD
	s_and_saveexec_b32 s11, s5
	s_cbranch_execz .LBB302_146
; %bb.139:                              ;   in Loop: Header=BB302_10 Depth=1
	v_cmp_ne_u16_sdwa s5, v24, v99 src0_sel:BYTE_0 src1_sel:DWORD
	v_mov_b32_e32 v0, 0x8000
	buffer_store_dword v0, off, s[0:3], s32 offset:264 ; 4-byte Folded Spill
	s_and_saveexec_b32 s12, s5
	s_cbranch_execz .LBB302_145
; %bb.140:                              ;   in Loop: Header=BB302_10 Depth=1
	v_and_b32_e32 v2, 0x7f, v24
	v_mov_b32_e32 v0, 0x7c01
	s_mov_b32 s17, exec_lo
	buffer_store_dword v0, off, s[0:3], s32 offset:264 ; 4-byte Folded Spill
	v_cmpx_ne_u32_e32 0x7f, v2
	s_cbranch_execz .LBB302_144
; %bb.141:                              ;   in Loop: Header=BB302_10 Depth=1
	v_and_b32_e32 v0, 7, v24
	v_lshrrev_b32_e32 v1, 3, v2
	s_mov_b32 s19, exec_lo
	v_cmpx_gt_u32_e32 8, v2
; %bb.142:                              ;   in Loop: Header=BB302_10 Depth=1
	v_ffbh_u32_e32 v0, v0
	v_min_u32_e32 v2, 32, v0
	v_subrev_nc_u32_e32 v0, 28, v2
	v_lshlrev_b64 v[0:1], v0, v[24:25]
	v_sub_nc_u32_e32 v1, 29, v2
	v_and_b32_e32 v0, 7, v0
; %bb.143:                              ;   in Loop: Header=BB302_10 Depth=1
	s_or_b32 exec_lo, exec_lo, s19
	v_lshlrev_b32_e32 v2, 8, v24
	v_lshl_add_u32 v1, v1, 10, 0x2000
	v_lshlrev_b32_e32 v0, 7, v0
	v_and_b32_e32 v2, 0x8000, v2
	v_and_b32_e32 v1, 0xfc00, v1
	v_or3_b32 v0, v2, v1, v0
	buffer_store_dword v0, off, s[0:3], s32 offset:264 ; 4-byte Folded Spill
.LBB302_144:                            ;   in Loop: Header=BB302_10 Depth=1
	s_or_b32 exec_lo, exec_lo, s17
.LBB302_145:                            ;   in Loop: Header=BB302_10 Depth=1
	s_or_b32 exec_lo, exec_lo, s12
.LBB302_146:                            ;   in Loop: Header=BB302_10 Depth=1
	s_or_b32 exec_lo, exec_lo, s11
	v_mov_b32_e32 v0, 0
	v_lshrrev_b16 v4, 8, v24
	s_mov_b32 s11, exec_lo
	buffer_store_dword v0, off, s[0:3], s32 offset:272 ; 4-byte Folded Spill
	v_mov_b32_e32 v0, 0
	buffer_store_dword v0, off, s[0:3], s32 offset:268 ; 4-byte Folded Spill
	v_cmpx_ne_u16_e32 0, v4
	s_cbranch_execz .LBB302_154
; %bb.147:                              ;   in Loop: Header=BB302_10 Depth=1
	v_bfrev_b32_e32 v0, 1
	s_mov_b32 s12, exec_lo
	buffer_store_dword v0, off, s[0:3], s32 offset:268 ; 4-byte Folded Spill
	v_cmpx_ne_u16_e32 0x80, v4
	s_cbranch_execz .LBB302_153
; %bb.148:                              ;   in Loop: Header=BB302_10 Depth=1
	v_mov_b32_e32 v0, 0x7f
	s_mov_b32 s17, exec_lo
	v_and_b32_sdwa v2, v4, v0 dst_sel:DWORD dst_unused:UNUSED_PAD src0_sel:WORD_0 src1_sel:DWORD
	v_mov_b32_e32 v0, 0x7c010000
	buffer_store_dword v0, off, s[0:3], s32 offset:268 ; 4-byte Folded Spill
	v_cmpx_ne_u32_e32 0x7f, v2
	s_cbranch_execz .LBB302_152
; %bb.149:                              ;   in Loop: Header=BB302_10 Depth=1
	v_mov_b32_e32 v0, 7
	v_lshrrev_b32_e32 v1, 3, v2
	s_mov_b32 s19, exec_lo
	v_and_b32_sdwa v0, v4, v0 dst_sel:DWORD dst_unused:UNUSED_PAD src0_sel:WORD_0 src1_sel:DWORD
	v_cmpx_gt_u32_e32 8, v2
; %bb.150:                              ;   in Loop: Header=BB302_10 Depth=1
	v_ffbh_u32_e32 v0, v0
	v_min_u32_e32 v2, 32, v0
	v_subrev_nc_u32_e32 v0, 28, v2
	v_lshlrev_b64 v[0:1], v0, v[4:5]
	v_sub_nc_u32_e32 v1, 29, v2
	v_and_b32_e32 v0, 7, v0
; %bb.151:                              ;   in Loop: Header=BB302_10 Depth=1
	s_or_b32 exec_lo, exec_lo, s19
	v_mov_b32_e32 v2, 8
	v_lshl_add_u32 v1, v1, 10, 0x2000
	v_lshlrev_b32_e32 v0, 23, v0
	v_lshlrev_b32_sdwa v2, v2, v4 dst_sel:DWORD dst_unused:UNUSED_PAD src0_sel:DWORD src1_sel:WORD_0
	v_and_or_b32 v1, 0x8000, v2, v1
	v_lshl_or_b32 v0, v1, 16, v0
	buffer_store_dword v0, off, s[0:3], s32 offset:268 ; 4-byte Folded Spill
.LBB302_152:                            ;   in Loop: Header=BB302_10 Depth=1
	s_or_b32 exec_lo, exec_lo, s17
.LBB302_153:                            ;   in Loop: Header=BB302_10 Depth=1
	s_or_b32 exec_lo, exec_lo, s12
.LBB302_154:                            ;   in Loop: Header=BB302_10 Depth=1
	s_or_b32 exec_lo, exec_lo, s11
	v_lshrrev_b32_e32 v4, 16, v24
	v_cmp_ne_u16_sdwa s5, v4, v5 src0_sel:BYTE_0 src1_sel:DWORD
	s_and_saveexec_b32 s11, s5
	s_cbranch_execz .LBB302_162
; %bb.155:                              ;   in Loop: Header=BB302_10 Depth=1
	v_cmp_ne_u16_sdwa s5, v4, v99 src0_sel:BYTE_0 src1_sel:DWORD
	v_mov_b32_e32 v0, 0x8000
	buffer_store_dword v0, off, s[0:3], s32 offset:272 ; 4-byte Folded Spill
	s_and_saveexec_b32 s12, s5
	s_cbranch_execz .LBB302_161
; %bb.156:                              ;   in Loop: Header=BB302_10 Depth=1
	v_bfe_u32 v2, v24, 16, 7
	v_mov_b32_e32 v0, 0x7c01
	s_mov_b32 s17, exec_lo
	buffer_store_dword v0, off, s[0:3], s32 offset:272 ; 4-byte Folded Spill
	v_cmpx_ne_u32_e32 0x7f, v2
	s_cbranch_execz .LBB302_160
; %bb.157:                              ;   in Loop: Header=BB302_10 Depth=1
	v_and_b32_e32 v0, 7, v4
	v_lshrrev_b32_e32 v1, 3, v2
	s_mov_b32 s19, exec_lo
	v_cmpx_gt_u32_e32 8, v2
; %bb.158:                              ;   in Loop: Header=BB302_10 Depth=1
	v_ffbh_u32_e32 v0, v0
	v_min_u32_e32 v2, 32, v0
	v_subrev_nc_u32_e32 v0, 28, v2
	v_lshlrev_b64 v[0:1], v0, v[4:5]
	v_sub_nc_u32_e32 v1, 29, v2
	v_and_b32_e32 v0, 7, v0
; %bb.159:                              ;   in Loop: Header=BB302_10 Depth=1
	s_or_b32 exec_lo, exec_lo, s19
	v_lshlrev_b32_e32 v2, 8, v4
	v_lshl_add_u32 v1, v1, 10, 0x2000
	v_lshlrev_b32_e32 v0, 7, v0
	v_and_b32_e32 v2, 0x8000, v2
	v_and_b32_e32 v1, 0xfc00, v1
	v_or3_b32 v0, v2, v1, v0
	buffer_store_dword v0, off, s[0:3], s32 offset:272 ; 4-byte Folded Spill
.LBB302_160:                            ;   in Loop: Header=BB302_10 Depth=1
	s_or_b32 exec_lo, exec_lo, s17
.LBB302_161:                            ;   in Loop: Header=BB302_10 Depth=1
	s_or_b32 exec_lo, exec_lo, s12
.LBB302_162:                            ;   in Loop: Header=BB302_10 Depth=1
	s_or_b32 exec_lo, exec_lo, s11
	v_mov_b32_e32 v0, 0
	s_mov_b32 s11, exec_lo
	buffer_store_dword v0, off, s[0:3], s32 offset:276 ; 4-byte Folded Spill
	v_mov_b32_e32 v0, 0
	buffer_store_dword v0, off, s[0:3], s32 offset:280 ; 4-byte Folded Spill
	v_cmpx_lt_u32_e32 0xffffff, v24
	s_cbranch_execz .LBB302_170
; %bb.163:                              ;   in Loop: Header=BB302_10 Depth=1
	v_lshrrev_b32_e32 v4, 24, v24
	v_bfrev_b32_e32 v0, 1
	s_mov_b32 s12, exec_lo
	buffer_store_dword v0, off, s[0:3], s32 offset:280 ; 4-byte Folded Spill
	v_cmpx_ne_u32_e32 0x80, v4
	s_cbranch_execz .LBB302_169
; %bb.164:                              ;   in Loop: Header=BB302_10 Depth=1
	v_and_b32_e32 v2, 0x7f, v4
	v_mov_b32_e32 v0, 0x7c010000
	s_mov_b32 s17, exec_lo
	buffer_store_dword v0, off, s[0:3], s32 offset:280 ; 4-byte Folded Spill
	v_cmpx_ne_u32_e32 0x7f, v2
	s_cbranch_execz .LBB302_168
; %bb.165:                              ;   in Loop: Header=BB302_10 Depth=1
	v_and_b32_e32 v0, 7, v4
	v_lshrrev_b32_e32 v1, 3, v2
	s_mov_b32 s19, exec_lo
	v_cmpx_gt_u32_e32 8, v2
; %bb.166:                              ;   in Loop: Header=BB302_10 Depth=1
	v_ffbh_u32_e32 v0, v0
	v_min_u32_e32 v2, 32, v0
	v_subrev_nc_u32_e32 v0, 28, v2
	v_lshlrev_b64 v[0:1], v0, v[4:5]
	v_sub_nc_u32_e32 v1, 29, v2
	v_and_b32_e32 v0, 7, v0
; %bb.167:                              ;   in Loop: Header=BB302_10 Depth=1
	s_or_b32 exec_lo, exec_lo, s19
	v_lshlrev_b32_e32 v2, 8, v4
	v_lshl_add_u32 v1, v1, 10, 0x2000
	v_lshlrev_b32_e32 v0, 23, v0
	v_and_or_b32 v1, 0x8000, v2, v1
	v_lshl_or_b32 v0, v1, 16, v0
	buffer_store_dword v0, off, s[0:3], s32 offset:280 ; 4-byte Folded Spill
.LBB302_168:                            ;   in Loop: Header=BB302_10 Depth=1
	s_or_b32 exec_lo, exec_lo, s17
.LBB302_169:                            ;   in Loop: Header=BB302_10 Depth=1
	s_or_b32 exec_lo, exec_lo, s12
.LBB302_170:                            ;   in Loop: Header=BB302_10 Depth=1
	s_or_b32 exec_lo, exec_lo, s11
	v_mov_b32_e32 v4, v25
	v_cmp_ne_u16_sdwa s5, v25, v5 src0_sel:BYTE_0 src1_sel:DWORD
	s_and_saveexec_b32 s11, s5
	s_cbranch_execz .LBB302_178
; %bb.171:                              ;   in Loop: Header=BB302_10 Depth=1
	v_cmp_ne_u16_sdwa s5, v25, v99 src0_sel:BYTE_0 src1_sel:DWORD
	v_mov_b32_e32 v0, 0x8000
	buffer_store_dword v0, off, s[0:3], s32 offset:276 ; 4-byte Folded Spill
	s_and_saveexec_b32 s12, s5
	s_cbranch_execz .LBB302_177
; %bb.172:                              ;   in Loop: Header=BB302_10 Depth=1
	v_and_b32_e32 v2, 0x7f, v25
	v_mov_b32_e32 v0, 0x7c01
	s_mov_b32 s17, exec_lo
	buffer_store_dword v0, off, s[0:3], s32 offset:276 ; 4-byte Folded Spill
	v_cmpx_ne_u32_e32 0x7f, v2
	s_cbranch_execz .LBB302_176
; %bb.173:                              ;   in Loop: Header=BB302_10 Depth=1
	v_and_b32_e32 v0, 7, v25
	v_lshrrev_b32_e32 v1, 3, v2
	s_mov_b32 s19, exec_lo
	v_cmpx_gt_u32_e32 8, v2
; %bb.174:                              ;   in Loop: Header=BB302_10 Depth=1
	v_ffbh_u32_e32 v0, v0
	v_min_u32_e32 v2, 32, v0
	v_subrev_nc_u32_e32 v0, 28, v2
	v_lshlrev_b64 v[0:1], v0, v[4:5]
	v_sub_nc_u32_e32 v1, 29, v2
	v_and_b32_e32 v0, 7, v0
; %bb.175:                              ;   in Loop: Header=BB302_10 Depth=1
	s_or_b32 exec_lo, exec_lo, s19
	v_lshlrev_b32_e32 v2, 8, v25
	v_lshl_add_u32 v1, v1, 10, 0x2000
	v_lshlrev_b32_e32 v0, 7, v0
	v_and_b32_e32 v2, 0x8000, v2
	v_and_b32_e32 v1, 0xfc00, v1
	v_or3_b32 v0, v2, v1, v0
	buffer_store_dword v0, off, s[0:3], s32 offset:276 ; 4-byte Folded Spill
.LBB302_176:                            ;   in Loop: Header=BB302_10 Depth=1
	s_or_b32 exec_lo, exec_lo, s17
.LBB302_177:                            ;   in Loop: Header=BB302_10 Depth=1
	s_or_b32 exec_lo, exec_lo, s12
.LBB302_178:                            ;   in Loop: Header=BB302_10 Depth=1
	s_or_b32 exec_lo, exec_lo, s11
	v_mov_b32_e32 v0, 0
	v_lshrrev_b16 v4, 8, v4
	s_mov_b32 s11, exec_lo
	buffer_store_dword v0, off, s[0:3], s32 offset:284 ; 4-byte Folded Spill
	v_mov_b32_e32 v0, 0
	buffer_store_dword v0, off, s[0:3], s32 offset:288 ; 4-byte Folded Spill
	v_cmpx_ne_u16_e32 0, v4
	s_cbranch_execz .LBB302_186
; %bb.179:                              ;   in Loop: Header=BB302_10 Depth=1
	v_bfrev_b32_e32 v0, 1
	s_mov_b32 s12, exec_lo
	buffer_store_dword v0, off, s[0:3], s32 offset:288 ; 4-byte Folded Spill
	v_cmpx_ne_u16_e32 0x80, v4
	s_cbranch_execz .LBB302_185
; %bb.180:                              ;   in Loop: Header=BB302_10 Depth=1
	v_mov_b32_e32 v0, 0x7f
	s_mov_b32 s17, exec_lo
	v_and_b32_sdwa v2, v4, v0 dst_sel:DWORD dst_unused:UNUSED_PAD src0_sel:WORD_0 src1_sel:DWORD
	v_mov_b32_e32 v0, 0x7c010000
	buffer_store_dword v0, off, s[0:3], s32 offset:288 ; 4-byte Folded Spill
	v_cmpx_ne_u32_e32 0x7f, v2
	s_cbranch_execz .LBB302_184
; %bb.181:                              ;   in Loop: Header=BB302_10 Depth=1
	v_mov_b32_e32 v0, 7
	v_lshrrev_b32_e32 v1, 3, v2
	s_mov_b32 s19, exec_lo
	v_and_b32_sdwa v0, v4, v0 dst_sel:DWORD dst_unused:UNUSED_PAD src0_sel:WORD_0 src1_sel:DWORD
	v_cmpx_gt_u32_e32 8, v2
; %bb.182:                              ;   in Loop: Header=BB302_10 Depth=1
	v_ffbh_u32_e32 v0, v0
	v_min_u32_e32 v2, 32, v0
	v_subrev_nc_u32_e32 v0, 28, v2
	v_lshlrev_b64 v[0:1], v0, v[4:5]
	v_sub_nc_u32_e32 v1, 29, v2
	v_and_b32_e32 v0, 7, v0
; %bb.183:                              ;   in Loop: Header=BB302_10 Depth=1
	s_or_b32 exec_lo, exec_lo, s19
	v_mov_b32_e32 v2, 8
	v_lshl_add_u32 v1, v1, 10, 0x2000
	v_lshlrev_b32_e32 v0, 23, v0
	v_lshlrev_b32_sdwa v2, v2, v4 dst_sel:DWORD dst_unused:UNUSED_PAD src0_sel:DWORD src1_sel:WORD_0
	v_and_or_b32 v1, 0x8000, v2, v1
	v_lshl_or_b32 v0, v1, 16, v0
	buffer_store_dword v0, off, s[0:3], s32 offset:288 ; 4-byte Folded Spill
.LBB302_184:                            ;   in Loop: Header=BB302_10 Depth=1
	s_or_b32 exec_lo, exec_lo, s17
.LBB302_185:                            ;   in Loop: Header=BB302_10 Depth=1
	s_or_b32 exec_lo, exec_lo, s12
.LBB302_186:                            ;   in Loop: Header=BB302_10 Depth=1
	s_or_b32 exec_lo, exec_lo, s11
	v_lshrrev_b32_e32 v4, 16, v25
	v_cmp_ne_u16_sdwa s5, v4, v5 src0_sel:BYTE_0 src1_sel:DWORD
	s_and_saveexec_b32 s11, s5
	s_cbranch_execz .LBB302_194
; %bb.187:                              ;   in Loop: Header=BB302_10 Depth=1
	v_cmp_ne_u16_sdwa s5, v4, v99 src0_sel:BYTE_0 src1_sel:DWORD
	v_mov_b32_e32 v0, 0x8000
	buffer_store_dword v0, off, s[0:3], s32 offset:284 ; 4-byte Folded Spill
	s_and_saveexec_b32 s12, s5
	s_cbranch_execz .LBB302_193
; %bb.188:                              ;   in Loop: Header=BB302_10 Depth=1
	v_bfe_u32 v2, v25, 16, 7
	v_mov_b32_e32 v0, 0x7c01
	s_mov_b32 s17, exec_lo
	buffer_store_dword v0, off, s[0:3], s32 offset:284 ; 4-byte Folded Spill
	v_cmpx_ne_u32_e32 0x7f, v2
	s_cbranch_execz .LBB302_192
; %bb.189:                              ;   in Loop: Header=BB302_10 Depth=1
	v_and_b32_e32 v0, 7, v4
	v_lshrrev_b32_e32 v1, 3, v2
	s_mov_b32 s19, exec_lo
	v_cmpx_gt_u32_e32 8, v2
; %bb.190:                              ;   in Loop: Header=BB302_10 Depth=1
	v_ffbh_u32_e32 v0, v0
	v_min_u32_e32 v2, 32, v0
	v_subrev_nc_u32_e32 v0, 28, v2
	v_lshlrev_b64 v[0:1], v0, v[4:5]
	v_sub_nc_u32_e32 v1, 29, v2
	v_and_b32_e32 v0, 7, v0
; %bb.191:                              ;   in Loop: Header=BB302_10 Depth=1
	s_or_b32 exec_lo, exec_lo, s19
	v_lshlrev_b32_e32 v2, 8, v4
	v_lshl_add_u32 v1, v1, 10, 0x2000
	v_lshlrev_b32_e32 v0, 7, v0
	v_and_b32_e32 v2, 0x8000, v2
	v_and_b32_e32 v1, 0xfc00, v1
	v_or3_b32 v0, v2, v1, v0
	buffer_store_dword v0, off, s[0:3], s32 offset:284 ; 4-byte Folded Spill
.LBB302_192:                            ;   in Loop: Header=BB302_10 Depth=1
	s_or_b32 exec_lo, exec_lo, s17
.LBB302_193:                            ;   in Loop: Header=BB302_10 Depth=1
	s_or_b32 exec_lo, exec_lo, s12
.LBB302_194:                            ;   in Loop: Header=BB302_10 Depth=1
	s_or_b32 exec_lo, exec_lo, s11
	v_mov_b32_e32 v0, 0
	s_mov_b32 s11, exec_lo
	buffer_store_dword v0, off, s[0:3], s32 offset:292 ; 4-byte Folded Spill
	v_mov_b32_e32 v0, 0
	buffer_store_dword v0, off, s[0:3], s32 offset:732 ; 4-byte Folded Spill
	v_cmpx_lt_u64_e64 s[6:7], v[24:25]
	s_cbranch_execz .LBB302_202
; %bb.195:                              ;   in Loop: Header=BB302_10 Depth=1
	v_lshrrev_b32_e32 v4, 24, v25
	v_bfrev_b32_e32 v0, 1
	s_mov_b32 s12, exec_lo
	v_cmpx_ne_u32_e32 0x80, v4
	s_cbranch_execz .LBB302_201
; %bb.196:                              ;   in Loop: Header=BB302_10 Depth=1
	v_and_b32_e32 v2, 0x7f, v4
	v_mov_b32_e32 v0, 0x7c010000
	s_mov_b32 s17, exec_lo
	v_cmpx_ne_u32_e32 0x7f, v2
	s_cbranch_execz .LBB302_200
; %bb.197:                              ;   in Loop: Header=BB302_10 Depth=1
	v_and_b32_e32 v0, 7, v4
	v_lshrrev_b32_e32 v1, 3, v2
	s_mov_b32 s19, exec_lo
	v_cmpx_gt_u32_e32 8, v2
; %bb.198:                              ;   in Loop: Header=BB302_10 Depth=1
	v_ffbh_u32_e32 v0, v0
	v_min_u32_e32 v2, 32, v0
	v_subrev_nc_u32_e32 v0, 28, v2
	v_lshlrev_b64 v[0:1], v0, v[4:5]
	v_sub_nc_u32_e32 v1, 29, v2
	v_and_b32_e32 v0, 7, v0
; %bb.199:                              ;   in Loop: Header=BB302_10 Depth=1
	s_or_b32 exec_lo, exec_lo, s19
	v_lshlrev_b32_e32 v2, 8, v4
	v_lshl_add_u32 v1, v1, 10, 0x2000
	v_lshlrev_b32_e32 v0, 23, v0
	v_and_or_b32 v1, 0x8000, v2, v1
	v_lshl_or_b32 v0, v1, 16, v0
.LBB302_200:                            ;   in Loop: Header=BB302_10 Depth=1
	s_or_b32 exec_lo, exec_lo, s17
.LBB302_201:                            ;   in Loop: Header=BB302_10 Depth=1
	s_or_b32 exec_lo, exec_lo, s12
	buffer_store_dword v0, off, s[0:3], s32 offset:732 ; 4-byte Folded Spill
.LBB302_202:                            ;   in Loop: Header=BB302_10 Depth=1
	s_or_b32 exec_lo, exec_lo, s11
	flat_load_dwordx2 v[24:25], v[16:17] offset:520
	s_waitcnt vmcnt(0) lgkmcnt(0)
	v_cmp_ne_u16_sdwa s5, v24, v5 src0_sel:BYTE_0 src1_sel:DWORD
	s_and_saveexec_b32 s11, s5
	s_cbranch_execz .LBB302_210
; %bb.203:                              ;   in Loop: Header=BB302_10 Depth=1
	v_cmp_ne_u16_sdwa s5, v24, v99 src0_sel:BYTE_0 src1_sel:DWORD
	v_mov_b32_e32 v0, 0x8000
	buffer_store_dword v0, off, s[0:3], s32 offset:292 ; 4-byte Folded Spill
	s_and_saveexec_b32 s12, s5
	s_cbranch_execz .LBB302_209
; %bb.204:                              ;   in Loop: Header=BB302_10 Depth=1
	v_and_b32_e32 v2, 0x7f, v24
	v_mov_b32_e32 v0, 0x7c01
	s_mov_b32 s17, exec_lo
	buffer_store_dword v0, off, s[0:3], s32 offset:292 ; 4-byte Folded Spill
	v_cmpx_ne_u32_e32 0x7f, v2
	s_cbranch_execz .LBB302_208
; %bb.205:                              ;   in Loop: Header=BB302_10 Depth=1
	v_and_b32_e32 v0, 7, v24
	v_lshrrev_b32_e32 v1, 3, v2
	s_mov_b32 s19, exec_lo
	v_cmpx_gt_u32_e32 8, v2
; %bb.206:                              ;   in Loop: Header=BB302_10 Depth=1
	v_ffbh_u32_e32 v0, v0
	v_min_u32_e32 v2, 32, v0
	v_subrev_nc_u32_e32 v0, 28, v2
	v_lshlrev_b64 v[0:1], v0, v[24:25]
	v_sub_nc_u32_e32 v1, 29, v2
	v_and_b32_e32 v0, 7, v0
; %bb.207:                              ;   in Loop: Header=BB302_10 Depth=1
	s_or_b32 exec_lo, exec_lo, s19
	v_lshlrev_b32_e32 v2, 8, v24
	v_lshl_add_u32 v1, v1, 10, 0x2000
	v_lshlrev_b32_e32 v0, 7, v0
	v_and_b32_e32 v2, 0x8000, v2
	v_and_b32_e32 v1, 0xfc00, v1
	v_or3_b32 v0, v2, v1, v0
	buffer_store_dword v0, off, s[0:3], s32 offset:292 ; 4-byte Folded Spill
.LBB302_208:                            ;   in Loop: Header=BB302_10 Depth=1
	s_or_b32 exec_lo, exec_lo, s17
.LBB302_209:                            ;   in Loop: Header=BB302_10 Depth=1
	s_or_b32 exec_lo, exec_lo, s12
.LBB302_210:                            ;   in Loop: Header=BB302_10 Depth=1
	s_or_b32 exec_lo, exec_lo, s11
	v_mov_b32_e32 v0, 0
	v_lshrrev_b16 v4, 8, v24
	s_mov_b32 s11, exec_lo
	buffer_store_dword v0, off, s[0:3], s32 offset:300 ; 4-byte Folded Spill
	v_mov_b32_e32 v0, 0
	buffer_store_dword v0, off, s[0:3], s32 offset:296 ; 4-byte Folded Spill
	v_cmpx_ne_u16_e32 0, v4
	s_cbranch_execz .LBB302_218
; %bb.211:                              ;   in Loop: Header=BB302_10 Depth=1
	v_bfrev_b32_e32 v0, 1
	s_mov_b32 s12, exec_lo
	buffer_store_dword v0, off, s[0:3], s32 offset:296 ; 4-byte Folded Spill
	v_cmpx_ne_u16_e32 0x80, v4
	s_cbranch_execz .LBB302_217
; %bb.212:                              ;   in Loop: Header=BB302_10 Depth=1
	v_mov_b32_e32 v0, 0x7f
	s_mov_b32 s17, exec_lo
	v_and_b32_sdwa v2, v4, v0 dst_sel:DWORD dst_unused:UNUSED_PAD src0_sel:WORD_0 src1_sel:DWORD
	v_mov_b32_e32 v0, 0x7c010000
	buffer_store_dword v0, off, s[0:3], s32 offset:296 ; 4-byte Folded Spill
	v_cmpx_ne_u32_e32 0x7f, v2
	s_cbranch_execz .LBB302_216
; %bb.213:                              ;   in Loop: Header=BB302_10 Depth=1
	v_mov_b32_e32 v0, 7
	v_lshrrev_b32_e32 v1, 3, v2
	s_mov_b32 s19, exec_lo
	v_and_b32_sdwa v0, v4, v0 dst_sel:DWORD dst_unused:UNUSED_PAD src0_sel:WORD_0 src1_sel:DWORD
	v_cmpx_gt_u32_e32 8, v2
; %bb.214:                              ;   in Loop: Header=BB302_10 Depth=1
	v_ffbh_u32_e32 v0, v0
	v_min_u32_e32 v2, 32, v0
	v_subrev_nc_u32_e32 v0, 28, v2
	v_lshlrev_b64 v[0:1], v0, v[4:5]
	v_sub_nc_u32_e32 v1, 29, v2
	v_and_b32_e32 v0, 7, v0
; %bb.215:                              ;   in Loop: Header=BB302_10 Depth=1
	s_or_b32 exec_lo, exec_lo, s19
	v_mov_b32_e32 v2, 8
	v_lshl_add_u32 v1, v1, 10, 0x2000
	v_lshlrev_b32_e32 v0, 23, v0
	v_lshlrev_b32_sdwa v2, v2, v4 dst_sel:DWORD dst_unused:UNUSED_PAD src0_sel:DWORD src1_sel:WORD_0
	v_and_or_b32 v1, 0x8000, v2, v1
	v_lshl_or_b32 v0, v1, 16, v0
	buffer_store_dword v0, off, s[0:3], s32 offset:296 ; 4-byte Folded Spill
.LBB302_216:                            ;   in Loop: Header=BB302_10 Depth=1
	s_or_b32 exec_lo, exec_lo, s17
.LBB302_217:                            ;   in Loop: Header=BB302_10 Depth=1
	s_or_b32 exec_lo, exec_lo, s12
.LBB302_218:                            ;   in Loop: Header=BB302_10 Depth=1
	s_or_b32 exec_lo, exec_lo, s11
	v_lshrrev_b32_e32 v4, 16, v24
	v_cmp_ne_u16_sdwa s5, v4, v5 src0_sel:BYTE_0 src1_sel:DWORD
	s_and_saveexec_b32 s11, s5
	s_cbranch_execz .LBB302_226
; %bb.219:                              ;   in Loop: Header=BB302_10 Depth=1
	v_cmp_ne_u16_sdwa s5, v4, v99 src0_sel:BYTE_0 src1_sel:DWORD
	v_mov_b32_e32 v0, 0x8000
	buffer_store_dword v0, off, s[0:3], s32 offset:300 ; 4-byte Folded Spill
	s_and_saveexec_b32 s12, s5
	s_cbranch_execz .LBB302_225
; %bb.220:                              ;   in Loop: Header=BB302_10 Depth=1
	v_bfe_u32 v2, v24, 16, 7
	v_mov_b32_e32 v0, 0x7c01
	s_mov_b32 s17, exec_lo
	buffer_store_dword v0, off, s[0:3], s32 offset:300 ; 4-byte Folded Spill
	v_cmpx_ne_u32_e32 0x7f, v2
	s_cbranch_execz .LBB302_224
; %bb.221:                              ;   in Loop: Header=BB302_10 Depth=1
	v_and_b32_e32 v0, 7, v4
	v_lshrrev_b32_e32 v1, 3, v2
	s_mov_b32 s19, exec_lo
	v_cmpx_gt_u32_e32 8, v2
; %bb.222:                              ;   in Loop: Header=BB302_10 Depth=1
	v_ffbh_u32_e32 v0, v0
	v_min_u32_e32 v2, 32, v0
	v_subrev_nc_u32_e32 v0, 28, v2
	v_lshlrev_b64 v[0:1], v0, v[4:5]
	v_sub_nc_u32_e32 v1, 29, v2
	v_and_b32_e32 v0, 7, v0
; %bb.223:                              ;   in Loop: Header=BB302_10 Depth=1
	s_or_b32 exec_lo, exec_lo, s19
	v_lshlrev_b32_e32 v2, 8, v4
	v_lshl_add_u32 v1, v1, 10, 0x2000
	v_lshlrev_b32_e32 v0, 7, v0
	v_and_b32_e32 v2, 0x8000, v2
	v_and_b32_e32 v1, 0xfc00, v1
	v_or3_b32 v0, v2, v1, v0
	buffer_store_dword v0, off, s[0:3], s32 offset:300 ; 4-byte Folded Spill
.LBB302_224:                            ;   in Loop: Header=BB302_10 Depth=1
	s_or_b32 exec_lo, exec_lo, s17
.LBB302_225:                            ;   in Loop: Header=BB302_10 Depth=1
	s_or_b32 exec_lo, exec_lo, s12
.LBB302_226:                            ;   in Loop: Header=BB302_10 Depth=1
	s_or_b32 exec_lo, exec_lo, s11
	v_mov_b32_e32 v0, 0
	s_mov_b32 s11, exec_lo
	buffer_store_dword v0, off, s[0:3], s32 offset:304 ; 4-byte Folded Spill
	v_mov_b32_e32 v0, 0
	buffer_store_dword v0, off, s[0:3], s32 offset:308 ; 4-byte Folded Spill
	v_cmpx_lt_u32_e32 0xffffff, v24
	s_cbranch_execz .LBB302_234
; %bb.227:                              ;   in Loop: Header=BB302_10 Depth=1
	v_lshrrev_b32_e32 v4, 24, v24
	v_bfrev_b32_e32 v0, 1
	s_mov_b32 s12, exec_lo
	buffer_store_dword v0, off, s[0:3], s32 offset:308 ; 4-byte Folded Spill
	v_cmpx_ne_u32_e32 0x80, v4
	s_cbranch_execz .LBB302_233
; %bb.228:                              ;   in Loop: Header=BB302_10 Depth=1
	v_and_b32_e32 v2, 0x7f, v4
	v_mov_b32_e32 v0, 0x7c010000
	s_mov_b32 s17, exec_lo
	buffer_store_dword v0, off, s[0:3], s32 offset:308 ; 4-byte Folded Spill
	v_cmpx_ne_u32_e32 0x7f, v2
	s_cbranch_execz .LBB302_232
; %bb.229:                              ;   in Loop: Header=BB302_10 Depth=1
	v_and_b32_e32 v0, 7, v4
	v_lshrrev_b32_e32 v1, 3, v2
	s_mov_b32 s19, exec_lo
	v_cmpx_gt_u32_e32 8, v2
; %bb.230:                              ;   in Loop: Header=BB302_10 Depth=1
	v_ffbh_u32_e32 v0, v0
	v_min_u32_e32 v2, 32, v0
	v_subrev_nc_u32_e32 v0, 28, v2
	v_lshlrev_b64 v[0:1], v0, v[4:5]
	v_sub_nc_u32_e32 v1, 29, v2
	v_and_b32_e32 v0, 7, v0
; %bb.231:                              ;   in Loop: Header=BB302_10 Depth=1
	s_or_b32 exec_lo, exec_lo, s19
	v_lshlrev_b32_e32 v2, 8, v4
	v_lshl_add_u32 v1, v1, 10, 0x2000
	v_lshlrev_b32_e32 v0, 23, v0
	v_and_or_b32 v1, 0x8000, v2, v1
	v_lshl_or_b32 v0, v1, 16, v0
	buffer_store_dword v0, off, s[0:3], s32 offset:308 ; 4-byte Folded Spill
.LBB302_232:                            ;   in Loop: Header=BB302_10 Depth=1
	s_or_b32 exec_lo, exec_lo, s17
.LBB302_233:                            ;   in Loop: Header=BB302_10 Depth=1
	s_or_b32 exec_lo, exec_lo, s12
.LBB302_234:                            ;   in Loop: Header=BB302_10 Depth=1
	s_or_b32 exec_lo, exec_lo, s11
	v_mov_b32_e32 v4, v25
	v_cmp_ne_u16_sdwa s5, v25, v5 src0_sel:BYTE_0 src1_sel:DWORD
	s_and_saveexec_b32 s11, s5
	s_cbranch_execz .LBB302_242
; %bb.235:                              ;   in Loop: Header=BB302_10 Depth=1
	v_cmp_ne_u16_sdwa s5, v25, v99 src0_sel:BYTE_0 src1_sel:DWORD
	v_mov_b32_e32 v0, 0x8000
	buffer_store_dword v0, off, s[0:3], s32 offset:304 ; 4-byte Folded Spill
	s_and_saveexec_b32 s12, s5
	s_cbranch_execz .LBB302_241
; %bb.236:                              ;   in Loop: Header=BB302_10 Depth=1
	v_and_b32_e32 v2, 0x7f, v25
	v_mov_b32_e32 v0, 0x7c01
	s_mov_b32 s17, exec_lo
	buffer_store_dword v0, off, s[0:3], s32 offset:304 ; 4-byte Folded Spill
	v_cmpx_ne_u32_e32 0x7f, v2
	s_cbranch_execz .LBB302_240
; %bb.237:                              ;   in Loop: Header=BB302_10 Depth=1
	v_and_b32_e32 v0, 7, v25
	v_lshrrev_b32_e32 v1, 3, v2
	s_mov_b32 s19, exec_lo
	v_cmpx_gt_u32_e32 8, v2
; %bb.238:                              ;   in Loop: Header=BB302_10 Depth=1
	v_ffbh_u32_e32 v0, v0
	v_min_u32_e32 v2, 32, v0
	v_subrev_nc_u32_e32 v0, 28, v2
	v_lshlrev_b64 v[0:1], v0, v[4:5]
	v_sub_nc_u32_e32 v1, 29, v2
	v_and_b32_e32 v0, 7, v0
; %bb.239:                              ;   in Loop: Header=BB302_10 Depth=1
	s_or_b32 exec_lo, exec_lo, s19
	v_lshlrev_b32_e32 v2, 8, v25
	v_lshl_add_u32 v1, v1, 10, 0x2000
	v_lshlrev_b32_e32 v0, 7, v0
	v_and_b32_e32 v2, 0x8000, v2
	v_and_b32_e32 v1, 0xfc00, v1
	v_or3_b32 v0, v2, v1, v0
	buffer_store_dword v0, off, s[0:3], s32 offset:304 ; 4-byte Folded Spill
.LBB302_240:                            ;   in Loop: Header=BB302_10 Depth=1
	s_or_b32 exec_lo, exec_lo, s17
.LBB302_241:                            ;   in Loop: Header=BB302_10 Depth=1
	s_or_b32 exec_lo, exec_lo, s12
.LBB302_242:                            ;   in Loop: Header=BB302_10 Depth=1
	s_or_b32 exec_lo, exec_lo, s11
	v_mov_b32_e32 v0, 0
	v_lshrrev_b16 v4, 8, v4
	s_mov_b32 s11, exec_lo
	buffer_store_dword v0, off, s[0:3], s32 offset:312 ; 4-byte Folded Spill
	v_mov_b32_e32 v0, 0
	buffer_store_dword v0, off, s[0:3], s32 offset:316 ; 4-byte Folded Spill
	v_cmpx_ne_u16_e32 0, v4
	s_cbranch_execz .LBB302_250
; %bb.243:                              ;   in Loop: Header=BB302_10 Depth=1
	v_bfrev_b32_e32 v0, 1
	s_mov_b32 s12, exec_lo
	buffer_store_dword v0, off, s[0:3], s32 offset:316 ; 4-byte Folded Spill
	v_cmpx_ne_u16_e32 0x80, v4
	s_cbranch_execz .LBB302_249
; %bb.244:                              ;   in Loop: Header=BB302_10 Depth=1
	v_mov_b32_e32 v0, 0x7f
	s_mov_b32 s17, exec_lo
	v_and_b32_sdwa v2, v4, v0 dst_sel:DWORD dst_unused:UNUSED_PAD src0_sel:WORD_0 src1_sel:DWORD
	v_mov_b32_e32 v0, 0x7c010000
	buffer_store_dword v0, off, s[0:3], s32 offset:316 ; 4-byte Folded Spill
	v_cmpx_ne_u32_e32 0x7f, v2
	s_cbranch_execz .LBB302_248
; %bb.245:                              ;   in Loop: Header=BB302_10 Depth=1
	v_mov_b32_e32 v0, 7
	v_lshrrev_b32_e32 v1, 3, v2
	s_mov_b32 s19, exec_lo
	v_and_b32_sdwa v0, v4, v0 dst_sel:DWORD dst_unused:UNUSED_PAD src0_sel:WORD_0 src1_sel:DWORD
	v_cmpx_gt_u32_e32 8, v2
; %bb.246:                              ;   in Loop: Header=BB302_10 Depth=1
	v_ffbh_u32_e32 v0, v0
	v_min_u32_e32 v2, 32, v0
	v_subrev_nc_u32_e32 v0, 28, v2
	v_lshlrev_b64 v[0:1], v0, v[4:5]
	v_sub_nc_u32_e32 v1, 29, v2
	v_and_b32_e32 v0, 7, v0
; %bb.247:                              ;   in Loop: Header=BB302_10 Depth=1
	s_or_b32 exec_lo, exec_lo, s19
	v_mov_b32_e32 v2, 8
	v_lshl_add_u32 v1, v1, 10, 0x2000
	v_lshlrev_b32_e32 v0, 23, v0
	v_lshlrev_b32_sdwa v2, v2, v4 dst_sel:DWORD dst_unused:UNUSED_PAD src0_sel:DWORD src1_sel:WORD_0
	v_and_or_b32 v1, 0x8000, v2, v1
	v_lshl_or_b32 v0, v1, 16, v0
	buffer_store_dword v0, off, s[0:3], s32 offset:316 ; 4-byte Folded Spill
.LBB302_248:                            ;   in Loop: Header=BB302_10 Depth=1
	s_or_b32 exec_lo, exec_lo, s17
.LBB302_249:                            ;   in Loop: Header=BB302_10 Depth=1
	s_or_b32 exec_lo, exec_lo, s12
.LBB302_250:                            ;   in Loop: Header=BB302_10 Depth=1
	s_or_b32 exec_lo, exec_lo, s11
	v_lshrrev_b32_e32 v4, 16, v25
	v_cmp_ne_u16_sdwa s5, v4, v5 src0_sel:BYTE_0 src1_sel:DWORD
	s_and_saveexec_b32 s11, s5
	s_cbranch_execz .LBB302_258
; %bb.251:                              ;   in Loop: Header=BB302_10 Depth=1
	v_cmp_ne_u16_sdwa s5, v4, v99 src0_sel:BYTE_0 src1_sel:DWORD
	v_mov_b32_e32 v0, 0x8000
	buffer_store_dword v0, off, s[0:3], s32 offset:312 ; 4-byte Folded Spill
	s_and_saveexec_b32 s12, s5
	s_cbranch_execz .LBB302_257
; %bb.252:                              ;   in Loop: Header=BB302_10 Depth=1
	v_bfe_u32 v2, v25, 16, 7
	v_mov_b32_e32 v0, 0x7c01
	s_mov_b32 s17, exec_lo
	buffer_store_dword v0, off, s[0:3], s32 offset:312 ; 4-byte Folded Spill
	v_cmpx_ne_u32_e32 0x7f, v2
	s_cbranch_execz .LBB302_256
; %bb.253:                              ;   in Loop: Header=BB302_10 Depth=1
	v_and_b32_e32 v0, 7, v4
	v_lshrrev_b32_e32 v1, 3, v2
	s_mov_b32 s19, exec_lo
	v_cmpx_gt_u32_e32 8, v2
; %bb.254:                              ;   in Loop: Header=BB302_10 Depth=1
	v_ffbh_u32_e32 v0, v0
	v_min_u32_e32 v2, 32, v0
	v_subrev_nc_u32_e32 v0, 28, v2
	v_lshlrev_b64 v[0:1], v0, v[4:5]
	v_sub_nc_u32_e32 v1, 29, v2
	v_and_b32_e32 v0, 7, v0
; %bb.255:                              ;   in Loop: Header=BB302_10 Depth=1
	s_or_b32 exec_lo, exec_lo, s19
	v_lshlrev_b32_e32 v2, 8, v4
	v_lshl_add_u32 v1, v1, 10, 0x2000
	v_lshlrev_b32_e32 v0, 7, v0
	v_and_b32_e32 v2, 0x8000, v2
	v_and_b32_e32 v1, 0xfc00, v1
	v_or3_b32 v0, v2, v1, v0
	buffer_store_dword v0, off, s[0:3], s32 offset:312 ; 4-byte Folded Spill
.LBB302_256:                            ;   in Loop: Header=BB302_10 Depth=1
	s_or_b32 exec_lo, exec_lo, s17
.LBB302_257:                            ;   in Loop: Header=BB302_10 Depth=1
	s_or_b32 exec_lo, exec_lo, s12
.LBB302_258:                            ;   in Loop: Header=BB302_10 Depth=1
	s_or_b32 exec_lo, exec_lo, s11
	v_mov_b32_e32 v0, 0
	s_mov_b32 s11, exec_lo
	buffer_store_dword v0, off, s[0:3], s32 offset:320 ; 4-byte Folded Spill
	v_mov_b32_e32 v0, 0
	buffer_store_dword v0, off, s[0:3], s32 offset:736 ; 4-byte Folded Spill
	v_cmpx_lt_u64_e64 s[6:7], v[24:25]
	s_cbranch_execz .LBB302_266
; %bb.259:                              ;   in Loop: Header=BB302_10 Depth=1
	v_lshrrev_b32_e32 v4, 24, v25
	v_bfrev_b32_e32 v0, 1
	s_mov_b32 s12, exec_lo
	v_cmpx_ne_u32_e32 0x80, v4
	s_cbranch_execz .LBB302_265
; %bb.260:                              ;   in Loop: Header=BB302_10 Depth=1
	v_and_b32_e32 v2, 0x7f, v4
	v_mov_b32_e32 v0, 0x7c010000
	s_mov_b32 s17, exec_lo
	v_cmpx_ne_u32_e32 0x7f, v2
	s_cbranch_execz .LBB302_264
; %bb.261:                              ;   in Loop: Header=BB302_10 Depth=1
	v_and_b32_e32 v0, 7, v4
	v_lshrrev_b32_e32 v1, 3, v2
	s_mov_b32 s19, exec_lo
	v_cmpx_gt_u32_e32 8, v2
; %bb.262:                              ;   in Loop: Header=BB302_10 Depth=1
	v_ffbh_u32_e32 v0, v0
	v_min_u32_e32 v2, 32, v0
	v_subrev_nc_u32_e32 v0, 28, v2
	v_lshlrev_b64 v[0:1], v0, v[4:5]
	v_sub_nc_u32_e32 v1, 29, v2
	v_and_b32_e32 v0, 7, v0
; %bb.263:                              ;   in Loop: Header=BB302_10 Depth=1
	s_or_b32 exec_lo, exec_lo, s19
	v_lshlrev_b32_e32 v2, 8, v4
	v_lshl_add_u32 v1, v1, 10, 0x2000
	v_lshlrev_b32_e32 v0, 23, v0
	v_and_or_b32 v1, 0x8000, v2, v1
	v_lshl_or_b32 v0, v1, 16, v0
.LBB302_264:                            ;   in Loop: Header=BB302_10 Depth=1
	s_or_b32 exec_lo, exec_lo, s17
.LBB302_265:                            ;   in Loop: Header=BB302_10 Depth=1
	s_or_b32 exec_lo, exec_lo, s12
	buffer_store_dword v0, off, s[0:3], s32 offset:736 ; 4-byte Folded Spill
.LBB302_266:                            ;   in Loop: Header=BB302_10 Depth=1
	s_or_b32 exec_lo, exec_lo, s11
	flat_load_dwordx2 v[24:25], v[16:17] offset:1024
	s_waitcnt vmcnt(0) lgkmcnt(0)
	v_cmp_ne_u16_sdwa s5, v24, v5 src0_sel:BYTE_0 src1_sel:DWORD
	s_and_saveexec_b32 s11, s5
	s_cbranch_execz .LBB302_274
; %bb.267:                              ;   in Loop: Header=BB302_10 Depth=1
	v_cmp_ne_u16_sdwa s5, v24, v99 src0_sel:BYTE_0 src1_sel:DWORD
	v_mov_b32_e32 v0, 0x8000
	buffer_store_dword v0, off, s[0:3], s32 offset:320 ; 4-byte Folded Spill
	s_and_saveexec_b32 s12, s5
	s_cbranch_execz .LBB302_273
; %bb.268:                              ;   in Loop: Header=BB302_10 Depth=1
	v_and_b32_e32 v2, 0x7f, v24
	v_mov_b32_e32 v0, 0x7c01
	s_mov_b32 s17, exec_lo
	buffer_store_dword v0, off, s[0:3], s32 offset:320 ; 4-byte Folded Spill
	v_cmpx_ne_u32_e32 0x7f, v2
	s_cbranch_execz .LBB302_272
; %bb.269:                              ;   in Loop: Header=BB302_10 Depth=1
	v_and_b32_e32 v0, 7, v24
	v_lshrrev_b32_e32 v1, 3, v2
	s_mov_b32 s19, exec_lo
	v_cmpx_gt_u32_e32 8, v2
; %bb.270:                              ;   in Loop: Header=BB302_10 Depth=1
	v_ffbh_u32_e32 v0, v0
	v_min_u32_e32 v2, 32, v0
	v_subrev_nc_u32_e32 v0, 28, v2
	v_lshlrev_b64 v[0:1], v0, v[24:25]
	v_sub_nc_u32_e32 v1, 29, v2
	v_and_b32_e32 v0, 7, v0
; %bb.271:                              ;   in Loop: Header=BB302_10 Depth=1
	s_or_b32 exec_lo, exec_lo, s19
	v_lshlrev_b32_e32 v2, 8, v24
	v_lshl_add_u32 v1, v1, 10, 0x2000
	v_lshlrev_b32_e32 v0, 7, v0
	v_and_b32_e32 v2, 0x8000, v2
	v_and_b32_e32 v1, 0xfc00, v1
	v_or3_b32 v0, v2, v1, v0
	buffer_store_dword v0, off, s[0:3], s32 offset:320 ; 4-byte Folded Spill
.LBB302_272:                            ;   in Loop: Header=BB302_10 Depth=1
	s_or_b32 exec_lo, exec_lo, s17
.LBB302_273:                            ;   in Loop: Header=BB302_10 Depth=1
	s_or_b32 exec_lo, exec_lo, s12
.LBB302_274:                            ;   in Loop: Header=BB302_10 Depth=1
	s_or_b32 exec_lo, exec_lo, s11
	v_mov_b32_e32 v0, 0
	v_lshrrev_b16 v4, 8, v24
	s_mov_b32 s11, exec_lo
	buffer_store_dword v0, off, s[0:3], s32 offset:328 ; 4-byte Folded Spill
	v_mov_b32_e32 v0, 0
	buffer_store_dword v0, off, s[0:3], s32 offset:324 ; 4-byte Folded Spill
	v_cmpx_ne_u16_e32 0, v4
	s_cbranch_execz .LBB302_282
; %bb.275:                              ;   in Loop: Header=BB302_10 Depth=1
	v_bfrev_b32_e32 v0, 1
	s_mov_b32 s12, exec_lo
	buffer_store_dword v0, off, s[0:3], s32 offset:324 ; 4-byte Folded Spill
	v_cmpx_ne_u16_e32 0x80, v4
	s_cbranch_execz .LBB302_281
; %bb.276:                              ;   in Loop: Header=BB302_10 Depth=1
	v_mov_b32_e32 v0, 0x7f
	s_mov_b32 s17, exec_lo
	v_and_b32_sdwa v2, v4, v0 dst_sel:DWORD dst_unused:UNUSED_PAD src0_sel:WORD_0 src1_sel:DWORD
	v_mov_b32_e32 v0, 0x7c010000
	buffer_store_dword v0, off, s[0:3], s32 offset:324 ; 4-byte Folded Spill
	v_cmpx_ne_u32_e32 0x7f, v2
	s_cbranch_execz .LBB302_280
; %bb.277:                              ;   in Loop: Header=BB302_10 Depth=1
	v_mov_b32_e32 v0, 7
	v_lshrrev_b32_e32 v1, 3, v2
	s_mov_b32 s19, exec_lo
	v_and_b32_sdwa v0, v4, v0 dst_sel:DWORD dst_unused:UNUSED_PAD src0_sel:WORD_0 src1_sel:DWORD
	v_cmpx_gt_u32_e32 8, v2
; %bb.278:                              ;   in Loop: Header=BB302_10 Depth=1
	v_ffbh_u32_e32 v0, v0
	v_min_u32_e32 v2, 32, v0
	v_subrev_nc_u32_e32 v0, 28, v2
	v_lshlrev_b64 v[0:1], v0, v[4:5]
	v_sub_nc_u32_e32 v1, 29, v2
	v_and_b32_e32 v0, 7, v0
; %bb.279:                              ;   in Loop: Header=BB302_10 Depth=1
	s_or_b32 exec_lo, exec_lo, s19
	v_mov_b32_e32 v2, 8
	v_lshl_add_u32 v1, v1, 10, 0x2000
	v_lshlrev_b32_e32 v0, 23, v0
	v_lshlrev_b32_sdwa v2, v2, v4 dst_sel:DWORD dst_unused:UNUSED_PAD src0_sel:DWORD src1_sel:WORD_0
	v_and_or_b32 v1, 0x8000, v2, v1
	v_lshl_or_b32 v0, v1, 16, v0
	buffer_store_dword v0, off, s[0:3], s32 offset:324 ; 4-byte Folded Spill
.LBB302_280:                            ;   in Loop: Header=BB302_10 Depth=1
	s_or_b32 exec_lo, exec_lo, s17
.LBB302_281:                            ;   in Loop: Header=BB302_10 Depth=1
	s_or_b32 exec_lo, exec_lo, s12
.LBB302_282:                            ;   in Loop: Header=BB302_10 Depth=1
	s_or_b32 exec_lo, exec_lo, s11
	v_lshrrev_b32_e32 v4, 16, v24
	v_cmp_ne_u16_sdwa s5, v4, v5 src0_sel:BYTE_0 src1_sel:DWORD
	s_and_saveexec_b32 s11, s5
	s_cbranch_execz .LBB302_290
; %bb.283:                              ;   in Loop: Header=BB302_10 Depth=1
	v_cmp_ne_u16_sdwa s5, v4, v99 src0_sel:BYTE_0 src1_sel:DWORD
	v_mov_b32_e32 v0, 0x8000
	buffer_store_dword v0, off, s[0:3], s32 offset:328 ; 4-byte Folded Spill
	s_and_saveexec_b32 s12, s5
	s_cbranch_execz .LBB302_289
; %bb.284:                              ;   in Loop: Header=BB302_10 Depth=1
	v_bfe_u32 v2, v24, 16, 7
	v_mov_b32_e32 v0, 0x7c01
	s_mov_b32 s17, exec_lo
	buffer_store_dword v0, off, s[0:3], s32 offset:328 ; 4-byte Folded Spill
	v_cmpx_ne_u32_e32 0x7f, v2
	s_cbranch_execz .LBB302_288
; %bb.285:                              ;   in Loop: Header=BB302_10 Depth=1
	v_and_b32_e32 v0, 7, v4
	v_lshrrev_b32_e32 v1, 3, v2
	s_mov_b32 s19, exec_lo
	v_cmpx_gt_u32_e32 8, v2
; %bb.286:                              ;   in Loop: Header=BB302_10 Depth=1
	v_ffbh_u32_e32 v0, v0
	v_min_u32_e32 v2, 32, v0
	v_subrev_nc_u32_e32 v0, 28, v2
	v_lshlrev_b64 v[0:1], v0, v[4:5]
	v_sub_nc_u32_e32 v1, 29, v2
	v_and_b32_e32 v0, 7, v0
; %bb.287:                              ;   in Loop: Header=BB302_10 Depth=1
	s_or_b32 exec_lo, exec_lo, s19
	v_lshlrev_b32_e32 v2, 8, v4
	v_lshl_add_u32 v1, v1, 10, 0x2000
	v_lshlrev_b32_e32 v0, 7, v0
	v_and_b32_e32 v2, 0x8000, v2
	v_and_b32_e32 v1, 0xfc00, v1
	v_or3_b32 v0, v2, v1, v0
	buffer_store_dword v0, off, s[0:3], s32 offset:328 ; 4-byte Folded Spill
.LBB302_288:                            ;   in Loop: Header=BB302_10 Depth=1
	s_or_b32 exec_lo, exec_lo, s17
.LBB302_289:                            ;   in Loop: Header=BB302_10 Depth=1
	s_or_b32 exec_lo, exec_lo, s12
.LBB302_290:                            ;   in Loop: Header=BB302_10 Depth=1
	s_or_b32 exec_lo, exec_lo, s11
	v_mov_b32_e32 v0, 0
	s_mov_b32 s11, exec_lo
	buffer_store_dword v0, off, s[0:3], s32 offset:332 ; 4-byte Folded Spill
	v_mov_b32_e32 v0, 0
	buffer_store_dword v0, off, s[0:3], s32 offset:336 ; 4-byte Folded Spill
	v_cmpx_lt_u32_e32 0xffffff, v24
	s_cbranch_execz .LBB302_298
; %bb.291:                              ;   in Loop: Header=BB302_10 Depth=1
	v_lshrrev_b32_e32 v4, 24, v24
	v_bfrev_b32_e32 v0, 1
	s_mov_b32 s12, exec_lo
	buffer_store_dword v0, off, s[0:3], s32 offset:336 ; 4-byte Folded Spill
	v_cmpx_ne_u32_e32 0x80, v4
	s_cbranch_execz .LBB302_297
; %bb.292:                              ;   in Loop: Header=BB302_10 Depth=1
	v_and_b32_e32 v2, 0x7f, v4
	v_mov_b32_e32 v0, 0x7c010000
	s_mov_b32 s17, exec_lo
	buffer_store_dword v0, off, s[0:3], s32 offset:336 ; 4-byte Folded Spill
	v_cmpx_ne_u32_e32 0x7f, v2
	s_cbranch_execz .LBB302_296
; %bb.293:                              ;   in Loop: Header=BB302_10 Depth=1
	v_and_b32_e32 v0, 7, v4
	v_lshrrev_b32_e32 v1, 3, v2
	s_mov_b32 s19, exec_lo
	v_cmpx_gt_u32_e32 8, v2
; %bb.294:                              ;   in Loop: Header=BB302_10 Depth=1
	v_ffbh_u32_e32 v0, v0
	v_min_u32_e32 v2, 32, v0
	v_subrev_nc_u32_e32 v0, 28, v2
	v_lshlrev_b64 v[0:1], v0, v[4:5]
	v_sub_nc_u32_e32 v1, 29, v2
	v_and_b32_e32 v0, 7, v0
; %bb.295:                              ;   in Loop: Header=BB302_10 Depth=1
	s_or_b32 exec_lo, exec_lo, s19
	v_lshlrev_b32_e32 v2, 8, v4
	v_lshl_add_u32 v1, v1, 10, 0x2000
	v_lshlrev_b32_e32 v0, 23, v0
	v_and_or_b32 v1, 0x8000, v2, v1
	v_lshl_or_b32 v0, v1, 16, v0
	buffer_store_dword v0, off, s[0:3], s32 offset:336 ; 4-byte Folded Spill
.LBB302_296:                            ;   in Loop: Header=BB302_10 Depth=1
	s_or_b32 exec_lo, exec_lo, s17
.LBB302_297:                            ;   in Loop: Header=BB302_10 Depth=1
	s_or_b32 exec_lo, exec_lo, s12
.LBB302_298:                            ;   in Loop: Header=BB302_10 Depth=1
	s_or_b32 exec_lo, exec_lo, s11
	v_mov_b32_e32 v4, v25
	v_cmp_ne_u16_sdwa s5, v25, v5 src0_sel:BYTE_0 src1_sel:DWORD
	s_and_saveexec_b32 s11, s5
	s_cbranch_execz .LBB302_306
; %bb.299:                              ;   in Loop: Header=BB302_10 Depth=1
	v_cmp_ne_u16_sdwa s5, v25, v99 src0_sel:BYTE_0 src1_sel:DWORD
	v_mov_b32_e32 v0, 0x8000
	buffer_store_dword v0, off, s[0:3], s32 offset:332 ; 4-byte Folded Spill
	s_and_saveexec_b32 s12, s5
	s_cbranch_execz .LBB302_305
; %bb.300:                              ;   in Loop: Header=BB302_10 Depth=1
	v_and_b32_e32 v2, 0x7f, v25
	v_mov_b32_e32 v0, 0x7c01
	s_mov_b32 s17, exec_lo
	buffer_store_dword v0, off, s[0:3], s32 offset:332 ; 4-byte Folded Spill
	v_cmpx_ne_u32_e32 0x7f, v2
	s_cbranch_execz .LBB302_304
; %bb.301:                              ;   in Loop: Header=BB302_10 Depth=1
	v_and_b32_e32 v0, 7, v25
	v_lshrrev_b32_e32 v1, 3, v2
	s_mov_b32 s19, exec_lo
	v_cmpx_gt_u32_e32 8, v2
; %bb.302:                              ;   in Loop: Header=BB302_10 Depth=1
	v_ffbh_u32_e32 v0, v0
	v_min_u32_e32 v2, 32, v0
	v_subrev_nc_u32_e32 v0, 28, v2
	v_lshlrev_b64 v[0:1], v0, v[4:5]
	v_sub_nc_u32_e32 v1, 29, v2
	v_and_b32_e32 v0, 7, v0
; %bb.303:                              ;   in Loop: Header=BB302_10 Depth=1
	s_or_b32 exec_lo, exec_lo, s19
	v_lshlrev_b32_e32 v2, 8, v25
	v_lshl_add_u32 v1, v1, 10, 0x2000
	v_lshlrev_b32_e32 v0, 7, v0
	v_and_b32_e32 v2, 0x8000, v2
	v_and_b32_e32 v1, 0xfc00, v1
	v_or3_b32 v0, v2, v1, v0
	buffer_store_dword v0, off, s[0:3], s32 offset:332 ; 4-byte Folded Spill
.LBB302_304:                            ;   in Loop: Header=BB302_10 Depth=1
	s_or_b32 exec_lo, exec_lo, s17
.LBB302_305:                            ;   in Loop: Header=BB302_10 Depth=1
	s_or_b32 exec_lo, exec_lo, s12
.LBB302_306:                            ;   in Loop: Header=BB302_10 Depth=1
	s_or_b32 exec_lo, exec_lo, s11
	v_mov_b32_e32 v0, 0
	v_lshrrev_b16 v4, 8, v4
	s_mov_b32 s11, exec_lo
	buffer_store_dword v0, off, s[0:3], s32 offset:340 ; 4-byte Folded Spill
	v_mov_b32_e32 v0, 0
	buffer_store_dword v0, off, s[0:3], s32 offset:344 ; 4-byte Folded Spill
	v_cmpx_ne_u16_e32 0, v4
	s_cbranch_execz .LBB302_314
; %bb.307:                              ;   in Loop: Header=BB302_10 Depth=1
	v_bfrev_b32_e32 v0, 1
	s_mov_b32 s12, exec_lo
	buffer_store_dword v0, off, s[0:3], s32 offset:344 ; 4-byte Folded Spill
	v_cmpx_ne_u16_e32 0x80, v4
	s_cbranch_execz .LBB302_313
; %bb.308:                              ;   in Loop: Header=BB302_10 Depth=1
	v_mov_b32_e32 v0, 0x7f
	s_mov_b32 s17, exec_lo
	v_and_b32_sdwa v2, v4, v0 dst_sel:DWORD dst_unused:UNUSED_PAD src0_sel:WORD_0 src1_sel:DWORD
	v_mov_b32_e32 v0, 0x7c010000
	buffer_store_dword v0, off, s[0:3], s32 offset:344 ; 4-byte Folded Spill
	v_cmpx_ne_u32_e32 0x7f, v2
	s_cbranch_execz .LBB302_312
; %bb.309:                              ;   in Loop: Header=BB302_10 Depth=1
	v_mov_b32_e32 v0, 7
	v_lshrrev_b32_e32 v1, 3, v2
	s_mov_b32 s19, exec_lo
	v_and_b32_sdwa v0, v4, v0 dst_sel:DWORD dst_unused:UNUSED_PAD src0_sel:WORD_0 src1_sel:DWORD
	v_cmpx_gt_u32_e32 8, v2
; %bb.310:                              ;   in Loop: Header=BB302_10 Depth=1
	v_ffbh_u32_e32 v0, v0
	v_min_u32_e32 v2, 32, v0
	v_subrev_nc_u32_e32 v0, 28, v2
	v_lshlrev_b64 v[0:1], v0, v[4:5]
	v_sub_nc_u32_e32 v1, 29, v2
	v_and_b32_e32 v0, 7, v0
; %bb.311:                              ;   in Loop: Header=BB302_10 Depth=1
	s_or_b32 exec_lo, exec_lo, s19
	v_mov_b32_e32 v2, 8
	v_lshl_add_u32 v1, v1, 10, 0x2000
	v_lshlrev_b32_e32 v0, 23, v0
	v_lshlrev_b32_sdwa v2, v2, v4 dst_sel:DWORD dst_unused:UNUSED_PAD src0_sel:DWORD src1_sel:WORD_0
	v_and_or_b32 v1, 0x8000, v2, v1
	v_lshl_or_b32 v0, v1, 16, v0
	buffer_store_dword v0, off, s[0:3], s32 offset:344 ; 4-byte Folded Spill
.LBB302_312:                            ;   in Loop: Header=BB302_10 Depth=1
	s_or_b32 exec_lo, exec_lo, s17
.LBB302_313:                            ;   in Loop: Header=BB302_10 Depth=1
	s_or_b32 exec_lo, exec_lo, s12
.LBB302_314:                            ;   in Loop: Header=BB302_10 Depth=1
	s_or_b32 exec_lo, exec_lo, s11
	v_lshrrev_b32_e32 v4, 16, v25
	v_cmp_ne_u16_sdwa s5, v4, v5 src0_sel:BYTE_0 src1_sel:DWORD
	s_and_saveexec_b32 s11, s5
	s_cbranch_execz .LBB302_322
; %bb.315:                              ;   in Loop: Header=BB302_10 Depth=1
	v_cmp_ne_u16_sdwa s5, v4, v99 src0_sel:BYTE_0 src1_sel:DWORD
	v_mov_b32_e32 v0, 0x8000
	buffer_store_dword v0, off, s[0:3], s32 offset:340 ; 4-byte Folded Spill
	s_and_saveexec_b32 s12, s5
	s_cbranch_execz .LBB302_321
; %bb.316:                              ;   in Loop: Header=BB302_10 Depth=1
	v_bfe_u32 v2, v25, 16, 7
	v_mov_b32_e32 v0, 0x7c01
	s_mov_b32 s17, exec_lo
	buffer_store_dword v0, off, s[0:3], s32 offset:340 ; 4-byte Folded Spill
	v_cmpx_ne_u32_e32 0x7f, v2
	s_cbranch_execz .LBB302_320
; %bb.317:                              ;   in Loop: Header=BB302_10 Depth=1
	v_and_b32_e32 v0, 7, v4
	v_lshrrev_b32_e32 v1, 3, v2
	s_mov_b32 s19, exec_lo
	v_cmpx_gt_u32_e32 8, v2
; %bb.318:                              ;   in Loop: Header=BB302_10 Depth=1
	v_ffbh_u32_e32 v0, v0
	v_min_u32_e32 v2, 32, v0
	v_subrev_nc_u32_e32 v0, 28, v2
	v_lshlrev_b64 v[0:1], v0, v[4:5]
	v_sub_nc_u32_e32 v1, 29, v2
	v_and_b32_e32 v0, 7, v0
; %bb.319:                              ;   in Loop: Header=BB302_10 Depth=1
	s_or_b32 exec_lo, exec_lo, s19
	v_lshlrev_b32_e32 v2, 8, v4
	v_lshl_add_u32 v1, v1, 10, 0x2000
	v_lshlrev_b32_e32 v0, 7, v0
	v_and_b32_e32 v2, 0x8000, v2
	v_and_b32_e32 v1, 0xfc00, v1
	v_or3_b32 v0, v2, v1, v0
	buffer_store_dword v0, off, s[0:3], s32 offset:340 ; 4-byte Folded Spill
.LBB302_320:                            ;   in Loop: Header=BB302_10 Depth=1
	s_or_b32 exec_lo, exec_lo, s17
.LBB302_321:                            ;   in Loop: Header=BB302_10 Depth=1
	s_or_b32 exec_lo, exec_lo, s12
.LBB302_322:                            ;   in Loop: Header=BB302_10 Depth=1
	s_or_b32 exec_lo, exec_lo, s11
	v_mov_b32_e32 v0, 0
	s_mov_b32 s11, exec_lo
	buffer_store_dword v0, off, s[0:3], s32 offset:348 ; 4-byte Folded Spill
	v_mov_b32_e32 v0, 0
	buffer_store_dword v0, off, s[0:3], s32 offset:740 ; 4-byte Folded Spill
	v_cmpx_lt_u64_e64 s[6:7], v[24:25]
	s_cbranch_execz .LBB302_330
; %bb.323:                              ;   in Loop: Header=BB302_10 Depth=1
	v_lshrrev_b32_e32 v4, 24, v25
	v_bfrev_b32_e32 v0, 1
	s_mov_b32 s12, exec_lo
	v_cmpx_ne_u32_e32 0x80, v4
	s_cbranch_execz .LBB302_329
; %bb.324:                              ;   in Loop: Header=BB302_10 Depth=1
	v_and_b32_e32 v2, 0x7f, v4
	v_mov_b32_e32 v0, 0x7c010000
	s_mov_b32 s17, exec_lo
	v_cmpx_ne_u32_e32 0x7f, v2
	s_cbranch_execz .LBB302_328
; %bb.325:                              ;   in Loop: Header=BB302_10 Depth=1
	v_and_b32_e32 v0, 7, v4
	v_lshrrev_b32_e32 v1, 3, v2
	s_mov_b32 s19, exec_lo
	v_cmpx_gt_u32_e32 8, v2
; %bb.326:                              ;   in Loop: Header=BB302_10 Depth=1
	v_ffbh_u32_e32 v0, v0
	v_min_u32_e32 v2, 32, v0
	v_subrev_nc_u32_e32 v0, 28, v2
	v_lshlrev_b64 v[0:1], v0, v[4:5]
	v_sub_nc_u32_e32 v1, 29, v2
	v_and_b32_e32 v0, 7, v0
; %bb.327:                              ;   in Loop: Header=BB302_10 Depth=1
	s_or_b32 exec_lo, exec_lo, s19
	v_lshlrev_b32_e32 v2, 8, v4
	v_lshl_add_u32 v1, v1, 10, 0x2000
	v_lshlrev_b32_e32 v0, 23, v0
	v_and_or_b32 v1, 0x8000, v2, v1
	v_lshl_or_b32 v0, v1, 16, v0
.LBB302_328:                            ;   in Loop: Header=BB302_10 Depth=1
	s_or_b32 exec_lo, exec_lo, s17
.LBB302_329:                            ;   in Loop: Header=BB302_10 Depth=1
	s_or_b32 exec_lo, exec_lo, s12
	buffer_store_dword v0, off, s[0:3], s32 offset:740 ; 4-byte Folded Spill
.LBB302_330:                            ;   in Loop: Header=BB302_10 Depth=1
	s_or_b32 exec_lo, exec_lo, s11
	flat_load_dwordx2 v[24:25], v[16:17] offset:1032
	s_waitcnt vmcnt(0) lgkmcnt(0)
	v_cmp_ne_u16_sdwa s5, v24, v5 src0_sel:BYTE_0 src1_sel:DWORD
	s_and_saveexec_b32 s11, s5
	s_cbranch_execz .LBB302_338
; %bb.331:                              ;   in Loop: Header=BB302_10 Depth=1
	v_cmp_ne_u16_sdwa s5, v24, v99 src0_sel:BYTE_0 src1_sel:DWORD
	v_mov_b32_e32 v0, 0x8000
	buffer_store_dword v0, off, s[0:3], s32 offset:348 ; 4-byte Folded Spill
	s_and_saveexec_b32 s12, s5
	s_cbranch_execz .LBB302_337
; %bb.332:                              ;   in Loop: Header=BB302_10 Depth=1
	v_and_b32_e32 v2, 0x7f, v24
	v_mov_b32_e32 v0, 0x7c01
	s_mov_b32 s17, exec_lo
	buffer_store_dword v0, off, s[0:3], s32 offset:348 ; 4-byte Folded Spill
	v_cmpx_ne_u32_e32 0x7f, v2
	s_cbranch_execz .LBB302_336
; %bb.333:                              ;   in Loop: Header=BB302_10 Depth=1
	v_and_b32_e32 v0, 7, v24
	v_lshrrev_b32_e32 v1, 3, v2
	s_mov_b32 s19, exec_lo
	v_cmpx_gt_u32_e32 8, v2
; %bb.334:                              ;   in Loop: Header=BB302_10 Depth=1
	v_ffbh_u32_e32 v0, v0
	v_min_u32_e32 v2, 32, v0
	v_subrev_nc_u32_e32 v0, 28, v2
	v_lshlrev_b64 v[0:1], v0, v[24:25]
	v_sub_nc_u32_e32 v1, 29, v2
	v_and_b32_e32 v0, 7, v0
; %bb.335:                              ;   in Loop: Header=BB302_10 Depth=1
	s_or_b32 exec_lo, exec_lo, s19
	v_lshlrev_b32_e32 v2, 8, v24
	v_lshl_add_u32 v1, v1, 10, 0x2000
	v_lshlrev_b32_e32 v0, 7, v0
	v_and_b32_e32 v2, 0x8000, v2
	v_and_b32_e32 v1, 0xfc00, v1
	v_or3_b32 v0, v2, v1, v0
	buffer_store_dword v0, off, s[0:3], s32 offset:348 ; 4-byte Folded Spill
.LBB302_336:                            ;   in Loop: Header=BB302_10 Depth=1
	s_or_b32 exec_lo, exec_lo, s17
.LBB302_337:                            ;   in Loop: Header=BB302_10 Depth=1
	s_or_b32 exec_lo, exec_lo, s12
.LBB302_338:                            ;   in Loop: Header=BB302_10 Depth=1
	s_or_b32 exec_lo, exec_lo, s11
	v_mov_b32_e32 v0, 0
	v_lshrrev_b16 v4, 8, v24
	s_mov_b32 s11, exec_lo
	buffer_store_dword v0, off, s[0:3], s32 offset:356 ; 4-byte Folded Spill
	v_mov_b32_e32 v0, 0
	buffer_store_dword v0, off, s[0:3], s32 offset:352 ; 4-byte Folded Spill
	v_cmpx_ne_u16_e32 0, v4
	s_cbranch_execz .LBB302_346
; %bb.339:                              ;   in Loop: Header=BB302_10 Depth=1
	v_bfrev_b32_e32 v0, 1
	s_mov_b32 s12, exec_lo
	buffer_store_dword v0, off, s[0:3], s32 offset:352 ; 4-byte Folded Spill
	v_cmpx_ne_u16_e32 0x80, v4
	s_cbranch_execz .LBB302_345
; %bb.340:                              ;   in Loop: Header=BB302_10 Depth=1
	v_mov_b32_e32 v0, 0x7f
	s_mov_b32 s17, exec_lo
	v_and_b32_sdwa v2, v4, v0 dst_sel:DWORD dst_unused:UNUSED_PAD src0_sel:WORD_0 src1_sel:DWORD
	v_mov_b32_e32 v0, 0x7c010000
	buffer_store_dword v0, off, s[0:3], s32 offset:352 ; 4-byte Folded Spill
	v_cmpx_ne_u32_e32 0x7f, v2
	s_cbranch_execz .LBB302_344
; %bb.341:                              ;   in Loop: Header=BB302_10 Depth=1
	v_mov_b32_e32 v0, 7
	v_lshrrev_b32_e32 v1, 3, v2
	s_mov_b32 s19, exec_lo
	v_and_b32_sdwa v0, v4, v0 dst_sel:DWORD dst_unused:UNUSED_PAD src0_sel:WORD_0 src1_sel:DWORD
	v_cmpx_gt_u32_e32 8, v2
; %bb.342:                              ;   in Loop: Header=BB302_10 Depth=1
	v_ffbh_u32_e32 v0, v0
	v_min_u32_e32 v2, 32, v0
	v_subrev_nc_u32_e32 v0, 28, v2
	v_lshlrev_b64 v[0:1], v0, v[4:5]
	v_sub_nc_u32_e32 v1, 29, v2
	v_and_b32_e32 v0, 7, v0
; %bb.343:                              ;   in Loop: Header=BB302_10 Depth=1
	s_or_b32 exec_lo, exec_lo, s19
	v_mov_b32_e32 v2, 8
	v_lshl_add_u32 v1, v1, 10, 0x2000
	v_lshlrev_b32_e32 v0, 23, v0
	v_lshlrev_b32_sdwa v2, v2, v4 dst_sel:DWORD dst_unused:UNUSED_PAD src0_sel:DWORD src1_sel:WORD_0
	v_and_or_b32 v1, 0x8000, v2, v1
	v_lshl_or_b32 v0, v1, 16, v0
	buffer_store_dword v0, off, s[0:3], s32 offset:352 ; 4-byte Folded Spill
.LBB302_344:                            ;   in Loop: Header=BB302_10 Depth=1
	s_or_b32 exec_lo, exec_lo, s17
.LBB302_345:                            ;   in Loop: Header=BB302_10 Depth=1
	s_or_b32 exec_lo, exec_lo, s12
.LBB302_346:                            ;   in Loop: Header=BB302_10 Depth=1
	s_or_b32 exec_lo, exec_lo, s11
	v_lshrrev_b32_e32 v4, 16, v24
	v_cmp_ne_u16_sdwa s5, v4, v5 src0_sel:BYTE_0 src1_sel:DWORD
	s_and_saveexec_b32 s11, s5
	s_cbranch_execz .LBB302_354
; %bb.347:                              ;   in Loop: Header=BB302_10 Depth=1
	v_cmp_ne_u16_sdwa s5, v4, v99 src0_sel:BYTE_0 src1_sel:DWORD
	v_mov_b32_e32 v0, 0x8000
	buffer_store_dword v0, off, s[0:3], s32 offset:356 ; 4-byte Folded Spill
	s_and_saveexec_b32 s12, s5
	s_cbranch_execz .LBB302_353
; %bb.348:                              ;   in Loop: Header=BB302_10 Depth=1
	v_bfe_u32 v2, v24, 16, 7
	v_mov_b32_e32 v0, 0x7c01
	s_mov_b32 s17, exec_lo
	buffer_store_dword v0, off, s[0:3], s32 offset:356 ; 4-byte Folded Spill
	v_cmpx_ne_u32_e32 0x7f, v2
	s_cbranch_execz .LBB302_352
; %bb.349:                              ;   in Loop: Header=BB302_10 Depth=1
	v_and_b32_e32 v0, 7, v4
	v_lshrrev_b32_e32 v1, 3, v2
	s_mov_b32 s19, exec_lo
	v_cmpx_gt_u32_e32 8, v2
; %bb.350:                              ;   in Loop: Header=BB302_10 Depth=1
	v_ffbh_u32_e32 v0, v0
	v_min_u32_e32 v2, 32, v0
	v_subrev_nc_u32_e32 v0, 28, v2
	v_lshlrev_b64 v[0:1], v0, v[4:5]
	v_sub_nc_u32_e32 v1, 29, v2
	v_and_b32_e32 v0, 7, v0
; %bb.351:                              ;   in Loop: Header=BB302_10 Depth=1
	s_or_b32 exec_lo, exec_lo, s19
	v_lshlrev_b32_e32 v2, 8, v4
	v_lshl_add_u32 v1, v1, 10, 0x2000
	v_lshlrev_b32_e32 v0, 7, v0
	v_and_b32_e32 v2, 0x8000, v2
	v_and_b32_e32 v1, 0xfc00, v1
	v_or3_b32 v0, v2, v1, v0
	buffer_store_dword v0, off, s[0:3], s32 offset:356 ; 4-byte Folded Spill
.LBB302_352:                            ;   in Loop: Header=BB302_10 Depth=1
	s_or_b32 exec_lo, exec_lo, s17
.LBB302_353:                            ;   in Loop: Header=BB302_10 Depth=1
	s_or_b32 exec_lo, exec_lo, s12
.LBB302_354:                            ;   in Loop: Header=BB302_10 Depth=1
	s_or_b32 exec_lo, exec_lo, s11
	v_mov_b32_e32 v0, 0
	s_mov_b32 s11, exec_lo
	buffer_store_dword v0, off, s[0:3], s32 offset:360 ; 4-byte Folded Spill
	v_mov_b32_e32 v0, 0
	buffer_store_dword v0, off, s[0:3], s32 offset:364 ; 4-byte Folded Spill
	v_cmpx_lt_u32_e32 0xffffff, v24
	s_cbranch_execz .LBB302_362
; %bb.355:                              ;   in Loop: Header=BB302_10 Depth=1
	v_lshrrev_b32_e32 v4, 24, v24
	v_bfrev_b32_e32 v0, 1
	s_mov_b32 s12, exec_lo
	buffer_store_dword v0, off, s[0:3], s32 offset:364 ; 4-byte Folded Spill
	v_cmpx_ne_u32_e32 0x80, v4
	s_cbranch_execz .LBB302_361
; %bb.356:                              ;   in Loop: Header=BB302_10 Depth=1
	v_and_b32_e32 v2, 0x7f, v4
	v_mov_b32_e32 v0, 0x7c010000
	s_mov_b32 s17, exec_lo
	buffer_store_dword v0, off, s[0:3], s32 offset:364 ; 4-byte Folded Spill
	v_cmpx_ne_u32_e32 0x7f, v2
	s_cbranch_execz .LBB302_360
; %bb.357:                              ;   in Loop: Header=BB302_10 Depth=1
	v_and_b32_e32 v0, 7, v4
	v_lshrrev_b32_e32 v1, 3, v2
	s_mov_b32 s19, exec_lo
	v_cmpx_gt_u32_e32 8, v2
; %bb.358:                              ;   in Loop: Header=BB302_10 Depth=1
	v_ffbh_u32_e32 v0, v0
	v_min_u32_e32 v2, 32, v0
	v_subrev_nc_u32_e32 v0, 28, v2
	v_lshlrev_b64 v[0:1], v0, v[4:5]
	v_sub_nc_u32_e32 v1, 29, v2
	v_and_b32_e32 v0, 7, v0
; %bb.359:                              ;   in Loop: Header=BB302_10 Depth=1
	s_or_b32 exec_lo, exec_lo, s19
	v_lshlrev_b32_e32 v2, 8, v4
	v_lshl_add_u32 v1, v1, 10, 0x2000
	v_lshlrev_b32_e32 v0, 23, v0
	v_and_or_b32 v1, 0x8000, v2, v1
	v_lshl_or_b32 v0, v1, 16, v0
	buffer_store_dword v0, off, s[0:3], s32 offset:364 ; 4-byte Folded Spill
.LBB302_360:                            ;   in Loop: Header=BB302_10 Depth=1
	s_or_b32 exec_lo, exec_lo, s17
.LBB302_361:                            ;   in Loop: Header=BB302_10 Depth=1
	s_or_b32 exec_lo, exec_lo, s12
.LBB302_362:                            ;   in Loop: Header=BB302_10 Depth=1
	s_or_b32 exec_lo, exec_lo, s11
	v_mov_b32_e32 v4, v25
	v_cmp_ne_u16_sdwa s5, v25, v5 src0_sel:BYTE_0 src1_sel:DWORD
	s_and_saveexec_b32 s11, s5
	s_cbranch_execz .LBB302_370
; %bb.363:                              ;   in Loop: Header=BB302_10 Depth=1
	v_cmp_ne_u16_sdwa s5, v25, v99 src0_sel:BYTE_0 src1_sel:DWORD
	v_mov_b32_e32 v0, 0x8000
	buffer_store_dword v0, off, s[0:3], s32 offset:360 ; 4-byte Folded Spill
	s_and_saveexec_b32 s12, s5
	s_cbranch_execz .LBB302_369
; %bb.364:                              ;   in Loop: Header=BB302_10 Depth=1
	v_and_b32_e32 v2, 0x7f, v25
	v_mov_b32_e32 v0, 0x7c01
	s_mov_b32 s17, exec_lo
	buffer_store_dword v0, off, s[0:3], s32 offset:360 ; 4-byte Folded Spill
	v_cmpx_ne_u32_e32 0x7f, v2
	s_cbranch_execz .LBB302_368
; %bb.365:                              ;   in Loop: Header=BB302_10 Depth=1
	v_and_b32_e32 v0, 7, v25
	v_lshrrev_b32_e32 v1, 3, v2
	s_mov_b32 s19, exec_lo
	v_cmpx_gt_u32_e32 8, v2
; %bb.366:                              ;   in Loop: Header=BB302_10 Depth=1
	v_ffbh_u32_e32 v0, v0
	v_min_u32_e32 v2, 32, v0
	v_subrev_nc_u32_e32 v0, 28, v2
	v_lshlrev_b64 v[0:1], v0, v[4:5]
	v_sub_nc_u32_e32 v1, 29, v2
	v_and_b32_e32 v0, 7, v0
; %bb.367:                              ;   in Loop: Header=BB302_10 Depth=1
	s_or_b32 exec_lo, exec_lo, s19
	v_lshlrev_b32_e32 v2, 8, v25
	v_lshl_add_u32 v1, v1, 10, 0x2000
	v_lshlrev_b32_e32 v0, 7, v0
	v_and_b32_e32 v2, 0x8000, v2
	v_and_b32_e32 v1, 0xfc00, v1
	v_or3_b32 v0, v2, v1, v0
	buffer_store_dword v0, off, s[0:3], s32 offset:360 ; 4-byte Folded Spill
.LBB302_368:                            ;   in Loop: Header=BB302_10 Depth=1
	s_or_b32 exec_lo, exec_lo, s17
.LBB302_369:                            ;   in Loop: Header=BB302_10 Depth=1
	s_or_b32 exec_lo, exec_lo, s12
.LBB302_370:                            ;   in Loop: Header=BB302_10 Depth=1
	s_or_b32 exec_lo, exec_lo, s11
	v_mov_b32_e32 v0, 0
	v_lshrrev_b16 v4, 8, v4
	s_mov_b32 s11, exec_lo
	buffer_store_dword v0, off, s[0:3], s32 offset:368 ; 4-byte Folded Spill
	v_mov_b32_e32 v0, 0
	buffer_store_dword v0, off, s[0:3], s32 offset:372 ; 4-byte Folded Spill
	v_cmpx_ne_u16_e32 0, v4
	s_cbranch_execz .LBB302_378
; %bb.371:                              ;   in Loop: Header=BB302_10 Depth=1
	v_bfrev_b32_e32 v0, 1
	s_mov_b32 s12, exec_lo
	buffer_store_dword v0, off, s[0:3], s32 offset:372 ; 4-byte Folded Spill
	v_cmpx_ne_u16_e32 0x80, v4
	s_cbranch_execz .LBB302_377
; %bb.372:                              ;   in Loop: Header=BB302_10 Depth=1
	v_mov_b32_e32 v0, 0x7f
	s_mov_b32 s17, exec_lo
	v_and_b32_sdwa v2, v4, v0 dst_sel:DWORD dst_unused:UNUSED_PAD src0_sel:WORD_0 src1_sel:DWORD
	v_mov_b32_e32 v0, 0x7c010000
	buffer_store_dword v0, off, s[0:3], s32 offset:372 ; 4-byte Folded Spill
	v_cmpx_ne_u32_e32 0x7f, v2
	s_cbranch_execz .LBB302_376
; %bb.373:                              ;   in Loop: Header=BB302_10 Depth=1
	v_mov_b32_e32 v0, 7
	v_lshrrev_b32_e32 v1, 3, v2
	s_mov_b32 s19, exec_lo
	v_and_b32_sdwa v0, v4, v0 dst_sel:DWORD dst_unused:UNUSED_PAD src0_sel:WORD_0 src1_sel:DWORD
	v_cmpx_gt_u32_e32 8, v2
; %bb.374:                              ;   in Loop: Header=BB302_10 Depth=1
	v_ffbh_u32_e32 v0, v0
	v_min_u32_e32 v2, 32, v0
	v_subrev_nc_u32_e32 v0, 28, v2
	v_lshlrev_b64 v[0:1], v0, v[4:5]
	v_sub_nc_u32_e32 v1, 29, v2
	v_and_b32_e32 v0, 7, v0
; %bb.375:                              ;   in Loop: Header=BB302_10 Depth=1
	s_or_b32 exec_lo, exec_lo, s19
	v_mov_b32_e32 v2, 8
	v_lshl_add_u32 v1, v1, 10, 0x2000
	v_lshlrev_b32_e32 v0, 23, v0
	v_lshlrev_b32_sdwa v2, v2, v4 dst_sel:DWORD dst_unused:UNUSED_PAD src0_sel:DWORD src1_sel:WORD_0
	v_and_or_b32 v1, 0x8000, v2, v1
	v_lshl_or_b32 v0, v1, 16, v0
	buffer_store_dword v0, off, s[0:3], s32 offset:372 ; 4-byte Folded Spill
.LBB302_376:                            ;   in Loop: Header=BB302_10 Depth=1
	s_or_b32 exec_lo, exec_lo, s17
.LBB302_377:                            ;   in Loop: Header=BB302_10 Depth=1
	s_or_b32 exec_lo, exec_lo, s12
.LBB302_378:                            ;   in Loop: Header=BB302_10 Depth=1
	s_or_b32 exec_lo, exec_lo, s11
	v_lshrrev_b32_e32 v4, 16, v25
	v_cmp_ne_u16_sdwa s5, v4, v5 src0_sel:BYTE_0 src1_sel:DWORD
	s_and_saveexec_b32 s11, s5
	s_cbranch_execz .LBB302_386
; %bb.379:                              ;   in Loop: Header=BB302_10 Depth=1
	v_cmp_ne_u16_sdwa s5, v4, v99 src0_sel:BYTE_0 src1_sel:DWORD
	v_mov_b32_e32 v0, 0x8000
	buffer_store_dword v0, off, s[0:3], s32 offset:368 ; 4-byte Folded Spill
	s_and_saveexec_b32 s12, s5
	s_cbranch_execz .LBB302_385
; %bb.380:                              ;   in Loop: Header=BB302_10 Depth=1
	v_bfe_u32 v2, v25, 16, 7
	v_mov_b32_e32 v0, 0x7c01
	s_mov_b32 s17, exec_lo
	buffer_store_dword v0, off, s[0:3], s32 offset:368 ; 4-byte Folded Spill
	v_cmpx_ne_u32_e32 0x7f, v2
	s_cbranch_execz .LBB302_384
; %bb.381:                              ;   in Loop: Header=BB302_10 Depth=1
	v_and_b32_e32 v0, 7, v4
	v_lshrrev_b32_e32 v1, 3, v2
	s_mov_b32 s19, exec_lo
	v_cmpx_gt_u32_e32 8, v2
; %bb.382:                              ;   in Loop: Header=BB302_10 Depth=1
	v_ffbh_u32_e32 v0, v0
	v_min_u32_e32 v2, 32, v0
	v_subrev_nc_u32_e32 v0, 28, v2
	v_lshlrev_b64 v[0:1], v0, v[4:5]
	v_sub_nc_u32_e32 v1, 29, v2
	v_and_b32_e32 v0, 7, v0
; %bb.383:                              ;   in Loop: Header=BB302_10 Depth=1
	s_or_b32 exec_lo, exec_lo, s19
	v_lshlrev_b32_e32 v2, 8, v4
	v_lshl_add_u32 v1, v1, 10, 0x2000
	v_lshlrev_b32_e32 v0, 7, v0
	v_and_b32_e32 v2, 0x8000, v2
	v_and_b32_e32 v1, 0xfc00, v1
	v_or3_b32 v0, v2, v1, v0
	buffer_store_dword v0, off, s[0:3], s32 offset:368 ; 4-byte Folded Spill
.LBB302_384:                            ;   in Loop: Header=BB302_10 Depth=1
	s_or_b32 exec_lo, exec_lo, s17
.LBB302_385:                            ;   in Loop: Header=BB302_10 Depth=1
	s_or_b32 exec_lo, exec_lo, s12
.LBB302_386:                            ;   in Loop: Header=BB302_10 Depth=1
	s_or_b32 exec_lo, exec_lo, s11
	v_mov_b32_e32 v0, 0
	s_mov_b32 s11, exec_lo
	buffer_store_dword v0, off, s[0:3], s32 offset:376 ; 4-byte Folded Spill
	v_mov_b32_e32 v0, 0
	buffer_store_dword v0, off, s[0:3], s32 offset:744 ; 4-byte Folded Spill
	v_cmpx_lt_u64_e64 s[6:7], v[24:25]
	s_cbranch_execz .LBB302_394
; %bb.387:                              ;   in Loop: Header=BB302_10 Depth=1
	v_lshrrev_b32_e32 v4, 24, v25
	v_bfrev_b32_e32 v0, 1
	s_mov_b32 s12, exec_lo
	v_cmpx_ne_u32_e32 0x80, v4
	s_cbranch_execz .LBB302_393
; %bb.388:                              ;   in Loop: Header=BB302_10 Depth=1
	v_and_b32_e32 v2, 0x7f, v4
	v_mov_b32_e32 v0, 0x7c010000
	s_mov_b32 s17, exec_lo
	v_cmpx_ne_u32_e32 0x7f, v2
	s_cbranch_execz .LBB302_392
; %bb.389:                              ;   in Loop: Header=BB302_10 Depth=1
	v_and_b32_e32 v0, 7, v4
	v_lshrrev_b32_e32 v1, 3, v2
	s_mov_b32 s19, exec_lo
	v_cmpx_gt_u32_e32 8, v2
; %bb.390:                              ;   in Loop: Header=BB302_10 Depth=1
	v_ffbh_u32_e32 v0, v0
	v_min_u32_e32 v2, 32, v0
	v_subrev_nc_u32_e32 v0, 28, v2
	v_lshlrev_b64 v[0:1], v0, v[4:5]
	v_sub_nc_u32_e32 v1, 29, v2
	v_and_b32_e32 v0, 7, v0
; %bb.391:                              ;   in Loop: Header=BB302_10 Depth=1
	s_or_b32 exec_lo, exec_lo, s19
	v_lshlrev_b32_e32 v2, 8, v4
	v_lshl_add_u32 v1, v1, 10, 0x2000
	v_lshlrev_b32_e32 v0, 23, v0
	v_and_or_b32 v1, 0x8000, v2, v1
	v_lshl_or_b32 v0, v1, 16, v0
.LBB302_392:                            ;   in Loop: Header=BB302_10 Depth=1
	s_or_b32 exec_lo, exec_lo, s17
.LBB302_393:                            ;   in Loop: Header=BB302_10 Depth=1
	s_or_b32 exec_lo, exec_lo, s12
	buffer_store_dword v0, off, s[0:3], s32 offset:744 ; 4-byte Folded Spill
.LBB302_394:                            ;   in Loop: Header=BB302_10 Depth=1
	s_or_b32 exec_lo, exec_lo, s11
	flat_load_dwordx2 v[24:25], v[16:17] offset:1536
	s_waitcnt vmcnt(0) lgkmcnt(0)
	v_cmp_ne_u16_sdwa s5, v24, v5 src0_sel:BYTE_0 src1_sel:DWORD
	s_and_saveexec_b32 s11, s5
	s_cbranch_execz .LBB302_402
; %bb.395:                              ;   in Loop: Header=BB302_10 Depth=1
	v_cmp_ne_u16_sdwa s5, v24, v99 src0_sel:BYTE_0 src1_sel:DWORD
	v_mov_b32_e32 v0, 0x8000
	buffer_store_dword v0, off, s[0:3], s32 offset:376 ; 4-byte Folded Spill
	s_and_saveexec_b32 s12, s5
	s_cbranch_execz .LBB302_401
; %bb.396:                              ;   in Loop: Header=BB302_10 Depth=1
	v_and_b32_e32 v2, 0x7f, v24
	v_mov_b32_e32 v0, 0x7c01
	s_mov_b32 s17, exec_lo
	buffer_store_dword v0, off, s[0:3], s32 offset:376 ; 4-byte Folded Spill
	v_cmpx_ne_u32_e32 0x7f, v2
	s_cbranch_execz .LBB302_400
; %bb.397:                              ;   in Loop: Header=BB302_10 Depth=1
	v_and_b32_e32 v0, 7, v24
	v_lshrrev_b32_e32 v1, 3, v2
	s_mov_b32 s19, exec_lo
	v_cmpx_gt_u32_e32 8, v2
; %bb.398:                              ;   in Loop: Header=BB302_10 Depth=1
	v_ffbh_u32_e32 v0, v0
	v_min_u32_e32 v2, 32, v0
	v_subrev_nc_u32_e32 v0, 28, v2
	v_lshlrev_b64 v[0:1], v0, v[24:25]
	v_sub_nc_u32_e32 v1, 29, v2
	v_and_b32_e32 v0, 7, v0
; %bb.399:                              ;   in Loop: Header=BB302_10 Depth=1
	s_or_b32 exec_lo, exec_lo, s19
	v_lshlrev_b32_e32 v2, 8, v24
	v_lshl_add_u32 v1, v1, 10, 0x2000
	v_lshlrev_b32_e32 v0, 7, v0
	v_and_b32_e32 v2, 0x8000, v2
	v_and_b32_e32 v1, 0xfc00, v1
	v_or3_b32 v0, v2, v1, v0
	buffer_store_dword v0, off, s[0:3], s32 offset:376 ; 4-byte Folded Spill
.LBB302_400:                            ;   in Loop: Header=BB302_10 Depth=1
	s_or_b32 exec_lo, exec_lo, s17
.LBB302_401:                            ;   in Loop: Header=BB302_10 Depth=1
	s_or_b32 exec_lo, exec_lo, s12
.LBB302_402:                            ;   in Loop: Header=BB302_10 Depth=1
	s_or_b32 exec_lo, exec_lo, s11
	v_mov_b32_e32 v0, 0
	v_lshrrev_b16 v4, 8, v24
	s_mov_b32 s11, exec_lo
	buffer_store_dword v0, off, s[0:3], s32 offset:384 ; 4-byte Folded Spill
	v_mov_b32_e32 v0, 0
	buffer_store_dword v0, off, s[0:3], s32 offset:380 ; 4-byte Folded Spill
	v_cmpx_ne_u16_e32 0, v4
	s_cbranch_execz .LBB302_410
; %bb.403:                              ;   in Loop: Header=BB302_10 Depth=1
	v_bfrev_b32_e32 v0, 1
	s_mov_b32 s12, exec_lo
	buffer_store_dword v0, off, s[0:3], s32 offset:380 ; 4-byte Folded Spill
	v_cmpx_ne_u16_e32 0x80, v4
	s_cbranch_execz .LBB302_409
; %bb.404:                              ;   in Loop: Header=BB302_10 Depth=1
	v_mov_b32_e32 v0, 0x7f
	s_mov_b32 s17, exec_lo
	v_and_b32_sdwa v2, v4, v0 dst_sel:DWORD dst_unused:UNUSED_PAD src0_sel:WORD_0 src1_sel:DWORD
	v_mov_b32_e32 v0, 0x7c010000
	buffer_store_dword v0, off, s[0:3], s32 offset:380 ; 4-byte Folded Spill
	v_cmpx_ne_u32_e32 0x7f, v2
	s_cbranch_execz .LBB302_408
; %bb.405:                              ;   in Loop: Header=BB302_10 Depth=1
	v_mov_b32_e32 v0, 7
	v_lshrrev_b32_e32 v1, 3, v2
	s_mov_b32 s19, exec_lo
	v_and_b32_sdwa v0, v4, v0 dst_sel:DWORD dst_unused:UNUSED_PAD src0_sel:WORD_0 src1_sel:DWORD
	v_cmpx_gt_u32_e32 8, v2
; %bb.406:                              ;   in Loop: Header=BB302_10 Depth=1
	v_ffbh_u32_e32 v0, v0
	v_min_u32_e32 v2, 32, v0
	v_subrev_nc_u32_e32 v0, 28, v2
	v_lshlrev_b64 v[0:1], v0, v[4:5]
	v_sub_nc_u32_e32 v1, 29, v2
	v_and_b32_e32 v0, 7, v0
; %bb.407:                              ;   in Loop: Header=BB302_10 Depth=1
	s_or_b32 exec_lo, exec_lo, s19
	v_mov_b32_e32 v2, 8
	v_lshl_add_u32 v1, v1, 10, 0x2000
	v_lshlrev_b32_e32 v0, 23, v0
	v_lshlrev_b32_sdwa v2, v2, v4 dst_sel:DWORD dst_unused:UNUSED_PAD src0_sel:DWORD src1_sel:WORD_0
	v_and_or_b32 v1, 0x8000, v2, v1
	v_lshl_or_b32 v0, v1, 16, v0
	buffer_store_dword v0, off, s[0:3], s32 offset:380 ; 4-byte Folded Spill
.LBB302_408:                            ;   in Loop: Header=BB302_10 Depth=1
	s_or_b32 exec_lo, exec_lo, s17
.LBB302_409:                            ;   in Loop: Header=BB302_10 Depth=1
	s_or_b32 exec_lo, exec_lo, s12
.LBB302_410:                            ;   in Loop: Header=BB302_10 Depth=1
	s_or_b32 exec_lo, exec_lo, s11
	v_lshrrev_b32_e32 v4, 16, v24
	v_cmp_ne_u16_sdwa s5, v4, v5 src0_sel:BYTE_0 src1_sel:DWORD
	s_and_saveexec_b32 s11, s5
	s_cbranch_execz .LBB302_418
; %bb.411:                              ;   in Loop: Header=BB302_10 Depth=1
	v_cmp_ne_u16_sdwa s5, v4, v99 src0_sel:BYTE_0 src1_sel:DWORD
	v_mov_b32_e32 v0, 0x8000
	buffer_store_dword v0, off, s[0:3], s32 offset:384 ; 4-byte Folded Spill
	s_and_saveexec_b32 s12, s5
	s_cbranch_execz .LBB302_417
; %bb.412:                              ;   in Loop: Header=BB302_10 Depth=1
	v_bfe_u32 v2, v24, 16, 7
	v_mov_b32_e32 v0, 0x7c01
	s_mov_b32 s17, exec_lo
	buffer_store_dword v0, off, s[0:3], s32 offset:384 ; 4-byte Folded Spill
	v_cmpx_ne_u32_e32 0x7f, v2
	s_cbranch_execz .LBB302_416
; %bb.413:                              ;   in Loop: Header=BB302_10 Depth=1
	v_and_b32_e32 v0, 7, v4
	v_lshrrev_b32_e32 v1, 3, v2
	s_mov_b32 s19, exec_lo
	v_cmpx_gt_u32_e32 8, v2
; %bb.414:                              ;   in Loop: Header=BB302_10 Depth=1
	v_ffbh_u32_e32 v0, v0
	v_min_u32_e32 v2, 32, v0
	v_subrev_nc_u32_e32 v0, 28, v2
	v_lshlrev_b64 v[0:1], v0, v[4:5]
	v_sub_nc_u32_e32 v1, 29, v2
	v_and_b32_e32 v0, 7, v0
; %bb.415:                              ;   in Loop: Header=BB302_10 Depth=1
	s_or_b32 exec_lo, exec_lo, s19
	v_lshlrev_b32_e32 v2, 8, v4
	v_lshl_add_u32 v1, v1, 10, 0x2000
	v_lshlrev_b32_e32 v0, 7, v0
	v_and_b32_e32 v2, 0x8000, v2
	v_and_b32_e32 v1, 0xfc00, v1
	v_or3_b32 v0, v2, v1, v0
	buffer_store_dword v0, off, s[0:3], s32 offset:384 ; 4-byte Folded Spill
.LBB302_416:                            ;   in Loop: Header=BB302_10 Depth=1
	s_or_b32 exec_lo, exec_lo, s17
.LBB302_417:                            ;   in Loop: Header=BB302_10 Depth=1
	s_or_b32 exec_lo, exec_lo, s12
.LBB302_418:                            ;   in Loop: Header=BB302_10 Depth=1
	s_or_b32 exec_lo, exec_lo, s11
	v_mov_b32_e32 v0, 0
	s_mov_b32 s11, exec_lo
	buffer_store_dword v0, off, s[0:3], s32 offset:388 ; 4-byte Folded Spill
	v_mov_b32_e32 v0, 0
	buffer_store_dword v0, off, s[0:3], s32 offset:392 ; 4-byte Folded Spill
	v_cmpx_lt_u32_e32 0xffffff, v24
	s_cbranch_execz .LBB302_426
; %bb.419:                              ;   in Loop: Header=BB302_10 Depth=1
	v_lshrrev_b32_e32 v4, 24, v24
	v_bfrev_b32_e32 v0, 1
	s_mov_b32 s12, exec_lo
	buffer_store_dword v0, off, s[0:3], s32 offset:392 ; 4-byte Folded Spill
	v_cmpx_ne_u32_e32 0x80, v4
	s_cbranch_execz .LBB302_425
; %bb.420:                              ;   in Loop: Header=BB302_10 Depth=1
	v_and_b32_e32 v2, 0x7f, v4
	v_mov_b32_e32 v0, 0x7c010000
	s_mov_b32 s17, exec_lo
	buffer_store_dword v0, off, s[0:3], s32 offset:392 ; 4-byte Folded Spill
	v_cmpx_ne_u32_e32 0x7f, v2
	s_cbranch_execz .LBB302_424
; %bb.421:                              ;   in Loop: Header=BB302_10 Depth=1
	v_and_b32_e32 v0, 7, v4
	v_lshrrev_b32_e32 v1, 3, v2
	s_mov_b32 s19, exec_lo
	v_cmpx_gt_u32_e32 8, v2
; %bb.422:                              ;   in Loop: Header=BB302_10 Depth=1
	v_ffbh_u32_e32 v0, v0
	v_min_u32_e32 v2, 32, v0
	v_subrev_nc_u32_e32 v0, 28, v2
	v_lshlrev_b64 v[0:1], v0, v[4:5]
	v_sub_nc_u32_e32 v1, 29, v2
	v_and_b32_e32 v0, 7, v0
; %bb.423:                              ;   in Loop: Header=BB302_10 Depth=1
	s_or_b32 exec_lo, exec_lo, s19
	v_lshlrev_b32_e32 v2, 8, v4
	v_lshl_add_u32 v1, v1, 10, 0x2000
	v_lshlrev_b32_e32 v0, 23, v0
	v_and_or_b32 v1, 0x8000, v2, v1
	v_lshl_or_b32 v0, v1, 16, v0
	buffer_store_dword v0, off, s[0:3], s32 offset:392 ; 4-byte Folded Spill
.LBB302_424:                            ;   in Loop: Header=BB302_10 Depth=1
	s_or_b32 exec_lo, exec_lo, s17
.LBB302_425:                            ;   in Loop: Header=BB302_10 Depth=1
	s_or_b32 exec_lo, exec_lo, s12
.LBB302_426:                            ;   in Loop: Header=BB302_10 Depth=1
	s_or_b32 exec_lo, exec_lo, s11
	v_mov_b32_e32 v4, v25
	v_cmp_ne_u16_sdwa s5, v25, v5 src0_sel:BYTE_0 src1_sel:DWORD
	s_and_saveexec_b32 s11, s5
	s_cbranch_execz .LBB302_434
; %bb.427:                              ;   in Loop: Header=BB302_10 Depth=1
	v_cmp_ne_u16_sdwa s5, v25, v99 src0_sel:BYTE_0 src1_sel:DWORD
	v_mov_b32_e32 v0, 0x8000
	buffer_store_dword v0, off, s[0:3], s32 offset:388 ; 4-byte Folded Spill
	s_and_saveexec_b32 s12, s5
	s_cbranch_execz .LBB302_433
; %bb.428:                              ;   in Loop: Header=BB302_10 Depth=1
	v_and_b32_e32 v2, 0x7f, v25
	v_mov_b32_e32 v0, 0x7c01
	s_mov_b32 s17, exec_lo
	buffer_store_dword v0, off, s[0:3], s32 offset:388 ; 4-byte Folded Spill
	v_cmpx_ne_u32_e32 0x7f, v2
	s_cbranch_execz .LBB302_432
; %bb.429:                              ;   in Loop: Header=BB302_10 Depth=1
	v_and_b32_e32 v0, 7, v25
	v_lshrrev_b32_e32 v1, 3, v2
	s_mov_b32 s19, exec_lo
	v_cmpx_gt_u32_e32 8, v2
; %bb.430:                              ;   in Loop: Header=BB302_10 Depth=1
	v_ffbh_u32_e32 v0, v0
	v_min_u32_e32 v2, 32, v0
	v_subrev_nc_u32_e32 v0, 28, v2
	v_lshlrev_b64 v[0:1], v0, v[4:5]
	v_sub_nc_u32_e32 v1, 29, v2
	v_and_b32_e32 v0, 7, v0
; %bb.431:                              ;   in Loop: Header=BB302_10 Depth=1
	s_or_b32 exec_lo, exec_lo, s19
	v_lshlrev_b32_e32 v2, 8, v25
	v_lshl_add_u32 v1, v1, 10, 0x2000
	v_lshlrev_b32_e32 v0, 7, v0
	v_and_b32_e32 v2, 0x8000, v2
	v_and_b32_e32 v1, 0xfc00, v1
	v_or3_b32 v0, v2, v1, v0
	buffer_store_dword v0, off, s[0:3], s32 offset:388 ; 4-byte Folded Spill
.LBB302_432:                            ;   in Loop: Header=BB302_10 Depth=1
	s_or_b32 exec_lo, exec_lo, s17
.LBB302_433:                            ;   in Loop: Header=BB302_10 Depth=1
	s_or_b32 exec_lo, exec_lo, s12
.LBB302_434:                            ;   in Loop: Header=BB302_10 Depth=1
	s_or_b32 exec_lo, exec_lo, s11
	v_mov_b32_e32 v0, 0
	v_lshrrev_b16 v4, 8, v4
	s_mov_b32 s11, exec_lo
	buffer_store_dword v0, off, s[0:3], s32 offset:396 ; 4-byte Folded Spill
	v_mov_b32_e32 v0, 0
	buffer_store_dword v0, off, s[0:3], s32 offset:400 ; 4-byte Folded Spill
	v_cmpx_ne_u16_e32 0, v4
	s_cbranch_execz .LBB302_442
; %bb.435:                              ;   in Loop: Header=BB302_10 Depth=1
	v_bfrev_b32_e32 v0, 1
	s_mov_b32 s12, exec_lo
	buffer_store_dword v0, off, s[0:3], s32 offset:400 ; 4-byte Folded Spill
	v_cmpx_ne_u16_e32 0x80, v4
	s_cbranch_execz .LBB302_441
; %bb.436:                              ;   in Loop: Header=BB302_10 Depth=1
	v_mov_b32_e32 v0, 0x7f
	s_mov_b32 s17, exec_lo
	v_and_b32_sdwa v2, v4, v0 dst_sel:DWORD dst_unused:UNUSED_PAD src0_sel:WORD_0 src1_sel:DWORD
	v_mov_b32_e32 v0, 0x7c010000
	buffer_store_dword v0, off, s[0:3], s32 offset:400 ; 4-byte Folded Spill
	v_cmpx_ne_u32_e32 0x7f, v2
	s_cbranch_execz .LBB302_440
; %bb.437:                              ;   in Loop: Header=BB302_10 Depth=1
	v_mov_b32_e32 v0, 7
	v_lshrrev_b32_e32 v1, 3, v2
	s_mov_b32 s19, exec_lo
	v_and_b32_sdwa v0, v4, v0 dst_sel:DWORD dst_unused:UNUSED_PAD src0_sel:WORD_0 src1_sel:DWORD
	v_cmpx_gt_u32_e32 8, v2
; %bb.438:                              ;   in Loop: Header=BB302_10 Depth=1
	v_ffbh_u32_e32 v0, v0
	v_min_u32_e32 v2, 32, v0
	v_subrev_nc_u32_e32 v0, 28, v2
	v_lshlrev_b64 v[0:1], v0, v[4:5]
	v_sub_nc_u32_e32 v1, 29, v2
	v_and_b32_e32 v0, 7, v0
; %bb.439:                              ;   in Loop: Header=BB302_10 Depth=1
	s_or_b32 exec_lo, exec_lo, s19
	v_mov_b32_e32 v2, 8
	v_lshl_add_u32 v1, v1, 10, 0x2000
	v_lshlrev_b32_e32 v0, 23, v0
	v_lshlrev_b32_sdwa v2, v2, v4 dst_sel:DWORD dst_unused:UNUSED_PAD src0_sel:DWORD src1_sel:WORD_0
	v_and_or_b32 v1, 0x8000, v2, v1
	v_lshl_or_b32 v0, v1, 16, v0
	buffer_store_dword v0, off, s[0:3], s32 offset:400 ; 4-byte Folded Spill
.LBB302_440:                            ;   in Loop: Header=BB302_10 Depth=1
	s_or_b32 exec_lo, exec_lo, s17
.LBB302_441:                            ;   in Loop: Header=BB302_10 Depth=1
	s_or_b32 exec_lo, exec_lo, s12
.LBB302_442:                            ;   in Loop: Header=BB302_10 Depth=1
	s_or_b32 exec_lo, exec_lo, s11
	v_lshrrev_b32_e32 v4, 16, v25
	v_cmp_ne_u16_sdwa s5, v4, v5 src0_sel:BYTE_0 src1_sel:DWORD
	s_and_saveexec_b32 s11, s5
	s_cbranch_execz .LBB302_450
; %bb.443:                              ;   in Loop: Header=BB302_10 Depth=1
	v_cmp_ne_u16_sdwa s5, v4, v99 src0_sel:BYTE_0 src1_sel:DWORD
	v_mov_b32_e32 v0, 0x8000
	buffer_store_dword v0, off, s[0:3], s32 offset:396 ; 4-byte Folded Spill
	s_and_saveexec_b32 s12, s5
	s_cbranch_execz .LBB302_449
; %bb.444:                              ;   in Loop: Header=BB302_10 Depth=1
	v_bfe_u32 v2, v25, 16, 7
	v_mov_b32_e32 v0, 0x7c01
	s_mov_b32 s17, exec_lo
	buffer_store_dword v0, off, s[0:3], s32 offset:396 ; 4-byte Folded Spill
	v_cmpx_ne_u32_e32 0x7f, v2
	s_cbranch_execz .LBB302_448
; %bb.445:                              ;   in Loop: Header=BB302_10 Depth=1
	v_and_b32_e32 v0, 7, v4
	v_lshrrev_b32_e32 v1, 3, v2
	s_mov_b32 s19, exec_lo
	v_cmpx_gt_u32_e32 8, v2
; %bb.446:                              ;   in Loop: Header=BB302_10 Depth=1
	v_ffbh_u32_e32 v0, v0
	v_min_u32_e32 v2, 32, v0
	v_subrev_nc_u32_e32 v0, 28, v2
	v_lshlrev_b64 v[0:1], v0, v[4:5]
	v_sub_nc_u32_e32 v1, 29, v2
	v_and_b32_e32 v0, 7, v0
; %bb.447:                              ;   in Loop: Header=BB302_10 Depth=1
	s_or_b32 exec_lo, exec_lo, s19
	v_lshlrev_b32_e32 v2, 8, v4
	v_lshl_add_u32 v1, v1, 10, 0x2000
	v_lshlrev_b32_e32 v0, 7, v0
	v_and_b32_e32 v2, 0x8000, v2
	v_and_b32_e32 v1, 0xfc00, v1
	v_or3_b32 v0, v2, v1, v0
	buffer_store_dword v0, off, s[0:3], s32 offset:396 ; 4-byte Folded Spill
.LBB302_448:                            ;   in Loop: Header=BB302_10 Depth=1
	s_or_b32 exec_lo, exec_lo, s17
.LBB302_449:                            ;   in Loop: Header=BB302_10 Depth=1
	s_or_b32 exec_lo, exec_lo, s12
.LBB302_450:                            ;   in Loop: Header=BB302_10 Depth=1
	s_or_b32 exec_lo, exec_lo, s11
	v_mov_b32_e32 v0, 0
	s_mov_b32 s11, exec_lo
	buffer_store_dword v0, off, s[0:3], s32 offset:408 ; 4-byte Folded Spill
	v_mov_b32_e32 v0, 0
	buffer_store_dword v0, off, s[0:3], s32 offset:404 ; 4-byte Folded Spill
	v_cmpx_lt_u64_e64 s[6:7], v[24:25]
	s_cbranch_execz .LBB302_458
; %bb.451:                              ;   in Loop: Header=BB302_10 Depth=1
	v_lshrrev_b32_e32 v4, 24, v25
	v_bfrev_b32_e32 v0, 1
	s_mov_b32 s12, exec_lo
	buffer_store_dword v0, off, s[0:3], s32 offset:404 ; 4-byte Folded Spill
	v_cmpx_ne_u32_e32 0x80, v4
	s_cbranch_execz .LBB302_457
; %bb.452:                              ;   in Loop: Header=BB302_10 Depth=1
	v_and_b32_e32 v2, 0x7f, v4
	v_mov_b32_e32 v0, 0x7c010000
	s_mov_b32 s17, exec_lo
	buffer_store_dword v0, off, s[0:3], s32 offset:404 ; 4-byte Folded Spill
	v_cmpx_ne_u32_e32 0x7f, v2
	s_cbranch_execz .LBB302_456
; %bb.453:                              ;   in Loop: Header=BB302_10 Depth=1
	v_and_b32_e32 v0, 7, v4
	v_lshrrev_b32_e32 v1, 3, v2
	s_mov_b32 s19, exec_lo
	v_cmpx_gt_u32_e32 8, v2
; %bb.454:                              ;   in Loop: Header=BB302_10 Depth=1
	v_ffbh_u32_e32 v0, v0
	v_min_u32_e32 v2, 32, v0
	v_subrev_nc_u32_e32 v0, 28, v2
	v_lshlrev_b64 v[0:1], v0, v[4:5]
	v_sub_nc_u32_e32 v1, 29, v2
	v_and_b32_e32 v0, 7, v0
; %bb.455:                              ;   in Loop: Header=BB302_10 Depth=1
	s_or_b32 exec_lo, exec_lo, s19
	v_lshlrev_b32_e32 v2, 8, v4
	v_lshl_add_u32 v1, v1, 10, 0x2000
	v_lshlrev_b32_e32 v0, 23, v0
	v_and_or_b32 v1, 0x8000, v2, v1
	v_lshl_or_b32 v0, v1, 16, v0
	buffer_store_dword v0, off, s[0:3], s32 offset:404 ; 4-byte Folded Spill
.LBB302_456:                            ;   in Loop: Header=BB302_10 Depth=1
	s_or_b32 exec_lo, exec_lo, s17
.LBB302_457:                            ;   in Loop: Header=BB302_10 Depth=1
	s_or_b32 exec_lo, exec_lo, s12
.LBB302_458:                            ;   in Loop: Header=BB302_10 Depth=1
	s_or_b32 exec_lo, exec_lo, s11
	flat_load_dwordx2 v[24:25], v[16:17] offset:1544
	s_waitcnt vmcnt(0) lgkmcnt(0)
	v_cmp_ne_u16_sdwa s5, v24, v5 src0_sel:BYTE_0 src1_sel:DWORD
	s_and_saveexec_b32 s11, s5
	s_cbranch_execz .LBB302_466
; %bb.459:                              ;   in Loop: Header=BB302_10 Depth=1
	v_cmp_ne_u16_sdwa s5, v24, v99 src0_sel:BYTE_0 src1_sel:DWORD
	v_mov_b32_e32 v0, 0x8000
	buffer_store_dword v0, off, s[0:3], s32 offset:408 ; 4-byte Folded Spill
	s_and_saveexec_b32 s12, s5
	s_cbranch_execz .LBB302_465
; %bb.460:                              ;   in Loop: Header=BB302_10 Depth=1
	v_and_b32_e32 v2, 0x7f, v24
	v_mov_b32_e32 v0, 0x7c01
	s_mov_b32 s17, exec_lo
	buffer_store_dword v0, off, s[0:3], s32 offset:408 ; 4-byte Folded Spill
	v_cmpx_ne_u32_e32 0x7f, v2
	s_cbranch_execz .LBB302_464
; %bb.461:                              ;   in Loop: Header=BB302_10 Depth=1
	v_and_b32_e32 v0, 7, v24
	v_lshrrev_b32_e32 v1, 3, v2
	s_mov_b32 s19, exec_lo
	v_cmpx_gt_u32_e32 8, v2
; %bb.462:                              ;   in Loop: Header=BB302_10 Depth=1
	v_ffbh_u32_e32 v0, v0
	v_min_u32_e32 v2, 32, v0
	v_subrev_nc_u32_e32 v0, 28, v2
	v_lshlrev_b64 v[0:1], v0, v[24:25]
	v_sub_nc_u32_e32 v1, 29, v2
	v_and_b32_e32 v0, 7, v0
; %bb.463:                              ;   in Loop: Header=BB302_10 Depth=1
	s_or_b32 exec_lo, exec_lo, s19
	v_lshlrev_b32_e32 v2, 8, v24
	v_lshl_add_u32 v1, v1, 10, 0x2000
	v_lshlrev_b32_e32 v0, 7, v0
	v_and_b32_e32 v2, 0x8000, v2
	v_and_b32_e32 v1, 0xfc00, v1
	v_or3_b32 v0, v2, v1, v0
	buffer_store_dword v0, off, s[0:3], s32 offset:408 ; 4-byte Folded Spill
.LBB302_464:                            ;   in Loop: Header=BB302_10 Depth=1
	s_or_b32 exec_lo, exec_lo, s17
.LBB302_465:                            ;   in Loop: Header=BB302_10 Depth=1
	s_or_b32 exec_lo, exec_lo, s12
.LBB302_466:                            ;   in Loop: Header=BB302_10 Depth=1
	s_or_b32 exec_lo, exec_lo, s11
	v_mov_b32_e32 v0, 0
	v_lshrrev_b16 v4, 8, v24
	s_mov_b32 s11, exec_lo
	buffer_store_dword v0, off, s[0:3], s32 offset:416 ; 4-byte Folded Spill
	v_mov_b32_e32 v0, 0
	buffer_store_dword v0, off, s[0:3], s32 offset:412 ; 4-byte Folded Spill
	v_cmpx_ne_u16_e32 0, v4
	s_cbranch_execz .LBB302_474
; %bb.467:                              ;   in Loop: Header=BB302_10 Depth=1
	v_bfrev_b32_e32 v0, 1
	s_mov_b32 s12, exec_lo
	buffer_store_dword v0, off, s[0:3], s32 offset:412 ; 4-byte Folded Spill
	v_cmpx_ne_u16_e32 0x80, v4
	s_cbranch_execz .LBB302_473
; %bb.468:                              ;   in Loop: Header=BB302_10 Depth=1
	v_mov_b32_e32 v0, 0x7f
	s_mov_b32 s17, exec_lo
	v_and_b32_sdwa v2, v4, v0 dst_sel:DWORD dst_unused:UNUSED_PAD src0_sel:WORD_0 src1_sel:DWORD
	v_mov_b32_e32 v0, 0x7c010000
	buffer_store_dword v0, off, s[0:3], s32 offset:412 ; 4-byte Folded Spill
	v_cmpx_ne_u32_e32 0x7f, v2
	s_cbranch_execz .LBB302_472
; %bb.469:                              ;   in Loop: Header=BB302_10 Depth=1
	v_mov_b32_e32 v0, 7
	v_lshrrev_b32_e32 v1, 3, v2
	s_mov_b32 s19, exec_lo
	v_and_b32_sdwa v0, v4, v0 dst_sel:DWORD dst_unused:UNUSED_PAD src0_sel:WORD_0 src1_sel:DWORD
	v_cmpx_gt_u32_e32 8, v2
; %bb.470:                              ;   in Loop: Header=BB302_10 Depth=1
	v_ffbh_u32_e32 v0, v0
	v_min_u32_e32 v2, 32, v0
	v_subrev_nc_u32_e32 v0, 28, v2
	v_lshlrev_b64 v[0:1], v0, v[4:5]
	v_sub_nc_u32_e32 v1, 29, v2
	v_and_b32_e32 v0, 7, v0
; %bb.471:                              ;   in Loop: Header=BB302_10 Depth=1
	s_or_b32 exec_lo, exec_lo, s19
	v_mov_b32_e32 v2, 8
	v_lshl_add_u32 v1, v1, 10, 0x2000
	v_lshlrev_b32_e32 v0, 23, v0
	v_lshlrev_b32_sdwa v2, v2, v4 dst_sel:DWORD dst_unused:UNUSED_PAD src0_sel:DWORD src1_sel:WORD_0
	v_and_or_b32 v1, 0x8000, v2, v1
	v_lshl_or_b32 v0, v1, 16, v0
	buffer_store_dword v0, off, s[0:3], s32 offset:412 ; 4-byte Folded Spill
.LBB302_472:                            ;   in Loop: Header=BB302_10 Depth=1
	s_or_b32 exec_lo, exec_lo, s17
.LBB302_473:                            ;   in Loop: Header=BB302_10 Depth=1
	s_or_b32 exec_lo, exec_lo, s12
.LBB302_474:                            ;   in Loop: Header=BB302_10 Depth=1
	s_or_b32 exec_lo, exec_lo, s11
	v_lshrrev_b32_e32 v4, 16, v24
	v_cmp_ne_u16_sdwa s5, v4, v5 src0_sel:BYTE_0 src1_sel:DWORD
	s_and_saveexec_b32 s11, s5
	s_cbranch_execz .LBB302_482
; %bb.475:                              ;   in Loop: Header=BB302_10 Depth=1
	v_cmp_ne_u16_sdwa s5, v4, v99 src0_sel:BYTE_0 src1_sel:DWORD
	v_mov_b32_e32 v0, 0x8000
	buffer_store_dword v0, off, s[0:3], s32 offset:416 ; 4-byte Folded Spill
	s_and_saveexec_b32 s12, s5
	s_cbranch_execz .LBB302_481
; %bb.476:                              ;   in Loop: Header=BB302_10 Depth=1
	v_bfe_u32 v2, v24, 16, 7
	v_mov_b32_e32 v0, 0x7c01
	s_mov_b32 s17, exec_lo
	buffer_store_dword v0, off, s[0:3], s32 offset:416 ; 4-byte Folded Spill
	v_cmpx_ne_u32_e32 0x7f, v2
	s_cbranch_execz .LBB302_480
; %bb.477:                              ;   in Loop: Header=BB302_10 Depth=1
	v_and_b32_e32 v0, 7, v4
	v_lshrrev_b32_e32 v1, 3, v2
	s_mov_b32 s19, exec_lo
	v_cmpx_gt_u32_e32 8, v2
; %bb.478:                              ;   in Loop: Header=BB302_10 Depth=1
	v_ffbh_u32_e32 v0, v0
	v_min_u32_e32 v2, 32, v0
	v_subrev_nc_u32_e32 v0, 28, v2
	v_lshlrev_b64 v[0:1], v0, v[4:5]
	v_sub_nc_u32_e32 v1, 29, v2
	v_and_b32_e32 v0, 7, v0
; %bb.479:                              ;   in Loop: Header=BB302_10 Depth=1
	s_or_b32 exec_lo, exec_lo, s19
	v_lshlrev_b32_e32 v2, 8, v4
	v_lshl_add_u32 v1, v1, 10, 0x2000
	v_lshlrev_b32_e32 v0, 7, v0
	v_and_b32_e32 v2, 0x8000, v2
	v_and_b32_e32 v1, 0xfc00, v1
	v_or3_b32 v0, v2, v1, v0
	buffer_store_dword v0, off, s[0:3], s32 offset:416 ; 4-byte Folded Spill
.LBB302_480:                            ;   in Loop: Header=BB302_10 Depth=1
	s_or_b32 exec_lo, exec_lo, s17
.LBB302_481:                            ;   in Loop: Header=BB302_10 Depth=1
	s_or_b32 exec_lo, exec_lo, s12
.LBB302_482:                            ;   in Loop: Header=BB302_10 Depth=1
	s_or_b32 exec_lo, exec_lo, s11
	v_mov_b32_e32 v0, 0
	s_mov_b32 s11, exec_lo
	buffer_store_dword v0, off, s[0:3], s32 offset:420 ; 4-byte Folded Spill
	v_mov_b32_e32 v0, 0
	buffer_store_dword v0, off, s[0:3], s32 offset:424 ; 4-byte Folded Spill
	v_cmpx_lt_u32_e32 0xffffff, v24
	s_cbranch_execz .LBB302_490
; %bb.483:                              ;   in Loop: Header=BB302_10 Depth=1
	v_lshrrev_b32_e32 v4, 24, v24
	v_bfrev_b32_e32 v0, 1
	s_mov_b32 s12, exec_lo
	buffer_store_dword v0, off, s[0:3], s32 offset:424 ; 4-byte Folded Spill
	v_cmpx_ne_u32_e32 0x80, v4
	s_cbranch_execz .LBB302_489
; %bb.484:                              ;   in Loop: Header=BB302_10 Depth=1
	v_and_b32_e32 v2, 0x7f, v4
	v_mov_b32_e32 v0, 0x7c010000
	s_mov_b32 s17, exec_lo
	buffer_store_dword v0, off, s[0:3], s32 offset:424 ; 4-byte Folded Spill
	v_cmpx_ne_u32_e32 0x7f, v2
	s_cbranch_execz .LBB302_488
; %bb.485:                              ;   in Loop: Header=BB302_10 Depth=1
	v_and_b32_e32 v0, 7, v4
	v_lshrrev_b32_e32 v1, 3, v2
	s_mov_b32 s19, exec_lo
	v_cmpx_gt_u32_e32 8, v2
; %bb.486:                              ;   in Loop: Header=BB302_10 Depth=1
	v_ffbh_u32_e32 v0, v0
	v_min_u32_e32 v2, 32, v0
	v_subrev_nc_u32_e32 v0, 28, v2
	v_lshlrev_b64 v[0:1], v0, v[4:5]
	v_sub_nc_u32_e32 v1, 29, v2
	v_and_b32_e32 v0, 7, v0
; %bb.487:                              ;   in Loop: Header=BB302_10 Depth=1
	s_or_b32 exec_lo, exec_lo, s19
	v_lshlrev_b32_e32 v2, 8, v4
	v_lshl_add_u32 v1, v1, 10, 0x2000
	v_lshlrev_b32_e32 v0, 23, v0
	v_and_or_b32 v1, 0x8000, v2, v1
	v_lshl_or_b32 v0, v1, 16, v0
	buffer_store_dword v0, off, s[0:3], s32 offset:424 ; 4-byte Folded Spill
.LBB302_488:                            ;   in Loop: Header=BB302_10 Depth=1
	s_or_b32 exec_lo, exec_lo, s17
.LBB302_489:                            ;   in Loop: Header=BB302_10 Depth=1
	s_or_b32 exec_lo, exec_lo, s12
.LBB302_490:                            ;   in Loop: Header=BB302_10 Depth=1
	s_or_b32 exec_lo, exec_lo, s11
	v_mov_b32_e32 v4, v25
	v_cmp_ne_u16_sdwa s5, v25, v5 src0_sel:BYTE_0 src1_sel:DWORD
	s_and_saveexec_b32 s11, s5
	s_cbranch_execz .LBB302_498
; %bb.491:                              ;   in Loop: Header=BB302_10 Depth=1
	v_cmp_ne_u16_sdwa s5, v25, v99 src0_sel:BYTE_0 src1_sel:DWORD
	v_mov_b32_e32 v0, 0x8000
	buffer_store_dword v0, off, s[0:3], s32 offset:420 ; 4-byte Folded Spill
	s_and_saveexec_b32 s12, s5
	s_cbranch_execz .LBB302_497
; %bb.492:                              ;   in Loop: Header=BB302_10 Depth=1
	v_and_b32_e32 v2, 0x7f, v25
	v_mov_b32_e32 v0, 0x7c01
	s_mov_b32 s17, exec_lo
	buffer_store_dword v0, off, s[0:3], s32 offset:420 ; 4-byte Folded Spill
	v_cmpx_ne_u32_e32 0x7f, v2
	s_cbranch_execz .LBB302_496
; %bb.493:                              ;   in Loop: Header=BB302_10 Depth=1
	v_and_b32_e32 v0, 7, v25
	v_lshrrev_b32_e32 v1, 3, v2
	s_mov_b32 s19, exec_lo
	v_cmpx_gt_u32_e32 8, v2
; %bb.494:                              ;   in Loop: Header=BB302_10 Depth=1
	v_ffbh_u32_e32 v0, v0
	v_min_u32_e32 v2, 32, v0
	v_subrev_nc_u32_e32 v0, 28, v2
	v_lshlrev_b64 v[0:1], v0, v[4:5]
	v_sub_nc_u32_e32 v1, 29, v2
	v_and_b32_e32 v0, 7, v0
; %bb.495:                              ;   in Loop: Header=BB302_10 Depth=1
	s_or_b32 exec_lo, exec_lo, s19
	v_lshlrev_b32_e32 v2, 8, v25
	v_lshl_add_u32 v1, v1, 10, 0x2000
	v_lshlrev_b32_e32 v0, 7, v0
	v_and_b32_e32 v2, 0x8000, v2
	v_and_b32_e32 v1, 0xfc00, v1
	v_or3_b32 v0, v2, v1, v0
	buffer_store_dword v0, off, s[0:3], s32 offset:420 ; 4-byte Folded Spill
.LBB302_496:                            ;   in Loop: Header=BB302_10 Depth=1
	s_or_b32 exec_lo, exec_lo, s17
.LBB302_497:                            ;   in Loop: Header=BB302_10 Depth=1
	s_or_b32 exec_lo, exec_lo, s12
.LBB302_498:                            ;   in Loop: Header=BB302_10 Depth=1
	s_or_b32 exec_lo, exec_lo, s11
	v_mov_b32_e32 v0, 0
	v_lshrrev_b16 v4, 8, v4
	s_mov_b32 s11, exec_lo
	buffer_store_dword v0, off, s[0:3], s32 offset:428 ; 4-byte Folded Spill
	v_mov_b32_e32 v0, 0
	buffer_store_dword v0, off, s[0:3], s32 offset:432 ; 4-byte Folded Spill
	v_cmpx_ne_u16_e32 0, v4
	s_cbranch_execz .LBB302_506
; %bb.499:                              ;   in Loop: Header=BB302_10 Depth=1
	v_bfrev_b32_e32 v0, 1
	s_mov_b32 s12, exec_lo
	buffer_store_dword v0, off, s[0:3], s32 offset:432 ; 4-byte Folded Spill
	v_cmpx_ne_u16_e32 0x80, v4
	s_cbranch_execz .LBB302_505
; %bb.500:                              ;   in Loop: Header=BB302_10 Depth=1
	v_mov_b32_e32 v0, 0x7f
	s_mov_b32 s17, exec_lo
	v_and_b32_sdwa v2, v4, v0 dst_sel:DWORD dst_unused:UNUSED_PAD src0_sel:WORD_0 src1_sel:DWORD
	v_mov_b32_e32 v0, 0x7c010000
	buffer_store_dword v0, off, s[0:3], s32 offset:432 ; 4-byte Folded Spill
	v_cmpx_ne_u32_e32 0x7f, v2
	s_cbranch_execz .LBB302_504
; %bb.501:                              ;   in Loop: Header=BB302_10 Depth=1
	v_mov_b32_e32 v0, 7
	v_lshrrev_b32_e32 v1, 3, v2
	s_mov_b32 s19, exec_lo
	v_and_b32_sdwa v0, v4, v0 dst_sel:DWORD dst_unused:UNUSED_PAD src0_sel:WORD_0 src1_sel:DWORD
	v_cmpx_gt_u32_e32 8, v2
; %bb.502:                              ;   in Loop: Header=BB302_10 Depth=1
	v_ffbh_u32_e32 v0, v0
	v_min_u32_e32 v2, 32, v0
	v_subrev_nc_u32_e32 v0, 28, v2
	v_lshlrev_b64 v[0:1], v0, v[4:5]
	v_sub_nc_u32_e32 v1, 29, v2
	v_and_b32_e32 v0, 7, v0
; %bb.503:                              ;   in Loop: Header=BB302_10 Depth=1
	s_or_b32 exec_lo, exec_lo, s19
	v_mov_b32_e32 v2, 8
	v_lshl_add_u32 v1, v1, 10, 0x2000
	v_lshlrev_b32_e32 v0, 23, v0
	v_lshlrev_b32_sdwa v2, v2, v4 dst_sel:DWORD dst_unused:UNUSED_PAD src0_sel:DWORD src1_sel:WORD_0
	v_and_or_b32 v1, 0x8000, v2, v1
	v_lshl_or_b32 v0, v1, 16, v0
	buffer_store_dword v0, off, s[0:3], s32 offset:432 ; 4-byte Folded Spill
.LBB302_504:                            ;   in Loop: Header=BB302_10 Depth=1
	s_or_b32 exec_lo, exec_lo, s17
.LBB302_505:                            ;   in Loop: Header=BB302_10 Depth=1
	s_or_b32 exec_lo, exec_lo, s12
.LBB302_506:                            ;   in Loop: Header=BB302_10 Depth=1
	s_or_b32 exec_lo, exec_lo, s11
	v_lshrrev_b32_e32 v4, 16, v25
	v_cmp_ne_u16_sdwa s5, v4, v5 src0_sel:BYTE_0 src1_sel:DWORD
	s_and_saveexec_b32 s11, s5
	s_cbranch_execz .LBB302_514
; %bb.507:                              ;   in Loop: Header=BB302_10 Depth=1
	v_cmp_ne_u16_sdwa s5, v4, v99 src0_sel:BYTE_0 src1_sel:DWORD
	v_mov_b32_e32 v0, 0x8000
	buffer_store_dword v0, off, s[0:3], s32 offset:428 ; 4-byte Folded Spill
	s_and_saveexec_b32 s12, s5
	s_cbranch_execz .LBB302_513
; %bb.508:                              ;   in Loop: Header=BB302_10 Depth=1
	v_bfe_u32 v2, v25, 16, 7
	v_mov_b32_e32 v0, 0x7c01
	s_mov_b32 s17, exec_lo
	buffer_store_dword v0, off, s[0:3], s32 offset:428 ; 4-byte Folded Spill
	v_cmpx_ne_u32_e32 0x7f, v2
	s_cbranch_execz .LBB302_512
; %bb.509:                              ;   in Loop: Header=BB302_10 Depth=1
	v_and_b32_e32 v0, 7, v4
	v_lshrrev_b32_e32 v1, 3, v2
	s_mov_b32 s19, exec_lo
	v_cmpx_gt_u32_e32 8, v2
; %bb.510:                              ;   in Loop: Header=BB302_10 Depth=1
	v_ffbh_u32_e32 v0, v0
	v_min_u32_e32 v2, 32, v0
	v_subrev_nc_u32_e32 v0, 28, v2
	v_lshlrev_b64 v[0:1], v0, v[4:5]
	v_sub_nc_u32_e32 v1, 29, v2
	v_and_b32_e32 v0, 7, v0
; %bb.511:                              ;   in Loop: Header=BB302_10 Depth=1
	s_or_b32 exec_lo, exec_lo, s19
	v_lshlrev_b32_e32 v2, 8, v4
	v_lshl_add_u32 v1, v1, 10, 0x2000
	v_lshlrev_b32_e32 v0, 7, v0
	v_and_b32_e32 v2, 0x8000, v2
	v_and_b32_e32 v1, 0xfc00, v1
	v_or3_b32 v0, v2, v1, v0
	buffer_store_dword v0, off, s[0:3], s32 offset:428 ; 4-byte Folded Spill
.LBB302_512:                            ;   in Loop: Header=BB302_10 Depth=1
	s_or_b32 exec_lo, exec_lo, s17
.LBB302_513:                            ;   in Loop: Header=BB302_10 Depth=1
	s_or_b32 exec_lo, exec_lo, s12
.LBB302_514:                            ;   in Loop: Header=BB302_10 Depth=1
	s_or_b32 exec_lo, exec_lo, s11
	v_mov_b32_e32 v0, 0
	s_mov_b32 s11, exec_lo
	buffer_store_dword v0, off, s[0:3], s32 offset:440 ; 4-byte Folded Spill
	v_mov_b32_e32 v0, 0
	buffer_store_dword v0, off, s[0:3], s32 offset:436 ; 4-byte Folded Spill
	v_cmpx_lt_u64_e64 s[6:7], v[24:25]
	s_cbranch_execz .LBB302_522
; %bb.515:                              ;   in Loop: Header=BB302_10 Depth=1
	v_lshrrev_b32_e32 v4, 24, v25
	v_bfrev_b32_e32 v0, 1
	s_mov_b32 s12, exec_lo
	buffer_store_dword v0, off, s[0:3], s32 offset:436 ; 4-byte Folded Spill
	v_cmpx_ne_u32_e32 0x80, v4
	s_cbranch_execz .LBB302_521
; %bb.516:                              ;   in Loop: Header=BB302_10 Depth=1
	v_and_b32_e32 v2, 0x7f, v4
	v_mov_b32_e32 v0, 0x7c010000
	s_mov_b32 s17, exec_lo
	buffer_store_dword v0, off, s[0:3], s32 offset:436 ; 4-byte Folded Spill
	v_cmpx_ne_u32_e32 0x7f, v2
	s_cbranch_execz .LBB302_520
; %bb.517:                              ;   in Loop: Header=BB302_10 Depth=1
	v_and_b32_e32 v0, 7, v4
	v_lshrrev_b32_e32 v1, 3, v2
	s_mov_b32 s19, exec_lo
	v_cmpx_gt_u32_e32 8, v2
; %bb.518:                              ;   in Loop: Header=BB302_10 Depth=1
	v_ffbh_u32_e32 v0, v0
	v_min_u32_e32 v2, 32, v0
	v_subrev_nc_u32_e32 v0, 28, v2
	v_lshlrev_b64 v[0:1], v0, v[4:5]
	v_sub_nc_u32_e32 v1, 29, v2
	v_and_b32_e32 v0, 7, v0
; %bb.519:                              ;   in Loop: Header=BB302_10 Depth=1
	s_or_b32 exec_lo, exec_lo, s19
	v_lshlrev_b32_e32 v2, 8, v4
	v_lshl_add_u32 v1, v1, 10, 0x2000
	v_lshlrev_b32_e32 v0, 23, v0
	v_and_or_b32 v1, 0x8000, v2, v1
	v_lshl_or_b32 v0, v1, 16, v0
	buffer_store_dword v0, off, s[0:3], s32 offset:436 ; 4-byte Folded Spill
.LBB302_520:                            ;   in Loop: Header=BB302_10 Depth=1
	s_or_b32 exec_lo, exec_lo, s17
.LBB302_521:                            ;   in Loop: Header=BB302_10 Depth=1
	s_or_b32 exec_lo, exec_lo, s12
.LBB302_522:                            ;   in Loop: Header=BB302_10 Depth=1
	s_or_b32 exec_lo, exec_lo, s11
	v_add_co_u32 v24, s5, 0x800, v16
	v_add_co_ci_u32_e64 v25, null, 0, v17, s5
	flat_load_dwordx2 v[26:27], v[24:25]
	s_waitcnt vmcnt(0) lgkmcnt(0)
	v_cmp_ne_u16_sdwa s5, v26, v5 src0_sel:BYTE_0 src1_sel:DWORD
	s_and_saveexec_b32 s11, s5
	s_cbranch_execz .LBB302_530
; %bb.523:                              ;   in Loop: Header=BB302_10 Depth=1
	v_cmp_ne_u16_sdwa s5, v26, v99 src0_sel:BYTE_0 src1_sel:DWORD
	v_mov_b32_e32 v0, 0x8000
	buffer_store_dword v0, off, s[0:3], s32 offset:440 ; 4-byte Folded Spill
	s_and_saveexec_b32 s12, s5
	s_cbranch_execz .LBB302_529
; %bb.524:                              ;   in Loop: Header=BB302_10 Depth=1
	v_and_b32_e32 v2, 0x7f, v26
	v_mov_b32_e32 v0, 0x7c01
	s_mov_b32 s17, exec_lo
	buffer_store_dword v0, off, s[0:3], s32 offset:440 ; 4-byte Folded Spill
	v_cmpx_ne_u32_e32 0x7f, v2
	s_cbranch_execz .LBB302_528
; %bb.525:                              ;   in Loop: Header=BB302_10 Depth=1
	v_and_b32_e32 v0, 7, v26
	v_lshrrev_b32_e32 v1, 3, v2
	s_mov_b32 s19, exec_lo
	v_cmpx_gt_u32_e32 8, v2
; %bb.526:                              ;   in Loop: Header=BB302_10 Depth=1
	v_ffbh_u32_e32 v0, v0
	v_min_u32_e32 v2, 32, v0
	v_subrev_nc_u32_e32 v0, 28, v2
	v_lshlrev_b64 v[0:1], v0, v[26:27]
	v_sub_nc_u32_e32 v1, 29, v2
	v_and_b32_e32 v0, 7, v0
; %bb.527:                              ;   in Loop: Header=BB302_10 Depth=1
	s_or_b32 exec_lo, exec_lo, s19
	v_lshlrev_b32_e32 v2, 8, v26
	v_lshl_add_u32 v1, v1, 10, 0x2000
	v_lshlrev_b32_e32 v0, 7, v0
	v_and_b32_e32 v2, 0x8000, v2
	v_and_b32_e32 v1, 0xfc00, v1
	v_or3_b32 v0, v2, v1, v0
	buffer_store_dword v0, off, s[0:3], s32 offset:440 ; 4-byte Folded Spill
.LBB302_528:                            ;   in Loop: Header=BB302_10 Depth=1
	s_or_b32 exec_lo, exec_lo, s17
.LBB302_529:                            ;   in Loop: Header=BB302_10 Depth=1
	s_or_b32 exec_lo, exec_lo, s12
.LBB302_530:                            ;   in Loop: Header=BB302_10 Depth=1
	s_or_b32 exec_lo, exec_lo, s11
	v_mov_b32_e32 v0, 0
	v_lshrrev_b16 v4, 8, v26
	s_mov_b32 s11, exec_lo
	buffer_store_dword v0, off, s[0:3], s32 offset:448 ; 4-byte Folded Spill
	v_mov_b32_e32 v0, 0
	buffer_store_dword v0, off, s[0:3], s32 offset:444 ; 4-byte Folded Spill
	v_cmpx_ne_u16_e32 0, v4
	s_cbranch_execz .LBB302_538
; %bb.531:                              ;   in Loop: Header=BB302_10 Depth=1
	v_bfrev_b32_e32 v0, 1
	s_mov_b32 s12, exec_lo
	buffer_store_dword v0, off, s[0:3], s32 offset:444 ; 4-byte Folded Spill
	v_cmpx_ne_u16_e32 0x80, v4
	s_cbranch_execz .LBB302_537
; %bb.532:                              ;   in Loop: Header=BB302_10 Depth=1
	v_mov_b32_e32 v0, 0x7f
	s_mov_b32 s17, exec_lo
	v_and_b32_sdwa v2, v4, v0 dst_sel:DWORD dst_unused:UNUSED_PAD src0_sel:WORD_0 src1_sel:DWORD
	v_mov_b32_e32 v0, 0x7c010000
	buffer_store_dword v0, off, s[0:3], s32 offset:444 ; 4-byte Folded Spill
	v_cmpx_ne_u32_e32 0x7f, v2
	s_cbranch_execz .LBB302_536
; %bb.533:                              ;   in Loop: Header=BB302_10 Depth=1
	v_mov_b32_e32 v0, 7
	v_lshrrev_b32_e32 v1, 3, v2
	s_mov_b32 s19, exec_lo
	v_and_b32_sdwa v0, v4, v0 dst_sel:DWORD dst_unused:UNUSED_PAD src0_sel:WORD_0 src1_sel:DWORD
	v_cmpx_gt_u32_e32 8, v2
; %bb.534:                              ;   in Loop: Header=BB302_10 Depth=1
	v_ffbh_u32_e32 v0, v0
	v_min_u32_e32 v2, 32, v0
	v_subrev_nc_u32_e32 v0, 28, v2
	v_lshlrev_b64 v[0:1], v0, v[4:5]
	v_sub_nc_u32_e32 v1, 29, v2
	v_and_b32_e32 v0, 7, v0
; %bb.535:                              ;   in Loop: Header=BB302_10 Depth=1
	s_or_b32 exec_lo, exec_lo, s19
	v_mov_b32_e32 v2, 8
	v_lshl_add_u32 v1, v1, 10, 0x2000
	v_lshlrev_b32_e32 v0, 23, v0
	v_lshlrev_b32_sdwa v2, v2, v4 dst_sel:DWORD dst_unused:UNUSED_PAD src0_sel:DWORD src1_sel:WORD_0
	v_and_or_b32 v1, 0x8000, v2, v1
	v_lshl_or_b32 v0, v1, 16, v0
	buffer_store_dword v0, off, s[0:3], s32 offset:444 ; 4-byte Folded Spill
.LBB302_536:                            ;   in Loop: Header=BB302_10 Depth=1
	s_or_b32 exec_lo, exec_lo, s17
.LBB302_537:                            ;   in Loop: Header=BB302_10 Depth=1
	s_or_b32 exec_lo, exec_lo, s12
.LBB302_538:                            ;   in Loop: Header=BB302_10 Depth=1
	s_or_b32 exec_lo, exec_lo, s11
	v_lshrrev_b32_e32 v4, 16, v26
	v_cmp_ne_u16_sdwa s5, v4, v5 src0_sel:BYTE_0 src1_sel:DWORD
	s_and_saveexec_b32 s11, s5
	s_cbranch_execz .LBB302_546
; %bb.539:                              ;   in Loop: Header=BB302_10 Depth=1
	v_cmp_ne_u16_sdwa s5, v4, v99 src0_sel:BYTE_0 src1_sel:DWORD
	v_mov_b32_e32 v0, 0x8000
	buffer_store_dword v0, off, s[0:3], s32 offset:448 ; 4-byte Folded Spill
	s_and_saveexec_b32 s12, s5
	s_cbranch_execz .LBB302_545
; %bb.540:                              ;   in Loop: Header=BB302_10 Depth=1
	v_bfe_u32 v2, v26, 16, 7
	v_mov_b32_e32 v0, 0x7c01
	s_mov_b32 s17, exec_lo
	buffer_store_dword v0, off, s[0:3], s32 offset:448 ; 4-byte Folded Spill
	v_cmpx_ne_u32_e32 0x7f, v2
	s_cbranch_execz .LBB302_544
; %bb.541:                              ;   in Loop: Header=BB302_10 Depth=1
	v_and_b32_e32 v0, 7, v4
	v_lshrrev_b32_e32 v1, 3, v2
	s_mov_b32 s19, exec_lo
	v_cmpx_gt_u32_e32 8, v2
; %bb.542:                              ;   in Loop: Header=BB302_10 Depth=1
	v_ffbh_u32_e32 v0, v0
	v_min_u32_e32 v2, 32, v0
	v_subrev_nc_u32_e32 v0, 28, v2
	v_lshlrev_b64 v[0:1], v0, v[4:5]
	v_sub_nc_u32_e32 v1, 29, v2
	v_and_b32_e32 v0, 7, v0
; %bb.543:                              ;   in Loop: Header=BB302_10 Depth=1
	s_or_b32 exec_lo, exec_lo, s19
	v_lshlrev_b32_e32 v2, 8, v4
	v_lshl_add_u32 v1, v1, 10, 0x2000
	v_lshlrev_b32_e32 v0, 7, v0
	v_and_b32_e32 v2, 0x8000, v2
	v_and_b32_e32 v1, 0xfc00, v1
	v_or3_b32 v0, v2, v1, v0
	buffer_store_dword v0, off, s[0:3], s32 offset:448 ; 4-byte Folded Spill
.LBB302_544:                            ;   in Loop: Header=BB302_10 Depth=1
	s_or_b32 exec_lo, exec_lo, s17
.LBB302_545:                            ;   in Loop: Header=BB302_10 Depth=1
	s_or_b32 exec_lo, exec_lo, s12
.LBB302_546:                            ;   in Loop: Header=BB302_10 Depth=1
	s_or_b32 exec_lo, exec_lo, s11
	v_mov_b32_e32 v0, 0
	s_mov_b32 s11, exec_lo
	buffer_store_dword v0, off, s[0:3], s32 offset:452 ; 4-byte Folded Spill
	v_mov_b32_e32 v0, 0
	buffer_store_dword v0, off, s[0:3], s32 offset:456 ; 4-byte Folded Spill
	v_cmpx_lt_u32_e32 0xffffff, v26
	s_cbranch_execz .LBB302_554
; %bb.547:                              ;   in Loop: Header=BB302_10 Depth=1
	v_lshrrev_b32_e32 v4, 24, v26
	v_bfrev_b32_e32 v0, 1
	s_mov_b32 s12, exec_lo
	buffer_store_dword v0, off, s[0:3], s32 offset:456 ; 4-byte Folded Spill
	v_cmpx_ne_u32_e32 0x80, v4
	s_cbranch_execz .LBB302_553
; %bb.548:                              ;   in Loop: Header=BB302_10 Depth=1
	v_and_b32_e32 v2, 0x7f, v4
	v_mov_b32_e32 v0, 0x7c010000
	s_mov_b32 s17, exec_lo
	buffer_store_dword v0, off, s[0:3], s32 offset:456 ; 4-byte Folded Spill
	v_cmpx_ne_u32_e32 0x7f, v2
	s_cbranch_execz .LBB302_552
; %bb.549:                              ;   in Loop: Header=BB302_10 Depth=1
	v_and_b32_e32 v0, 7, v4
	v_lshrrev_b32_e32 v1, 3, v2
	s_mov_b32 s19, exec_lo
	v_cmpx_gt_u32_e32 8, v2
; %bb.550:                              ;   in Loop: Header=BB302_10 Depth=1
	v_ffbh_u32_e32 v0, v0
	v_min_u32_e32 v2, 32, v0
	v_subrev_nc_u32_e32 v0, 28, v2
	v_lshlrev_b64 v[0:1], v0, v[4:5]
	v_sub_nc_u32_e32 v1, 29, v2
	v_and_b32_e32 v0, 7, v0
; %bb.551:                              ;   in Loop: Header=BB302_10 Depth=1
	s_or_b32 exec_lo, exec_lo, s19
	v_lshlrev_b32_e32 v2, 8, v4
	v_lshl_add_u32 v1, v1, 10, 0x2000
	v_lshlrev_b32_e32 v0, 23, v0
	v_and_or_b32 v1, 0x8000, v2, v1
	v_lshl_or_b32 v0, v1, 16, v0
	buffer_store_dword v0, off, s[0:3], s32 offset:456 ; 4-byte Folded Spill
.LBB302_552:                            ;   in Loop: Header=BB302_10 Depth=1
	s_or_b32 exec_lo, exec_lo, s17
.LBB302_553:                            ;   in Loop: Header=BB302_10 Depth=1
	s_or_b32 exec_lo, exec_lo, s12
.LBB302_554:                            ;   in Loop: Header=BB302_10 Depth=1
	s_or_b32 exec_lo, exec_lo, s11
	v_mov_b32_e32 v4, v27
	v_cmp_ne_u16_sdwa s5, v27, v5 src0_sel:BYTE_0 src1_sel:DWORD
	s_and_saveexec_b32 s11, s5
	s_cbranch_execz .LBB302_562
; %bb.555:                              ;   in Loop: Header=BB302_10 Depth=1
	v_cmp_ne_u16_sdwa s5, v27, v99 src0_sel:BYTE_0 src1_sel:DWORD
	v_mov_b32_e32 v0, 0x8000
	buffer_store_dword v0, off, s[0:3], s32 offset:452 ; 4-byte Folded Spill
	s_and_saveexec_b32 s12, s5
	s_cbranch_execz .LBB302_561
; %bb.556:                              ;   in Loop: Header=BB302_10 Depth=1
	v_and_b32_e32 v2, 0x7f, v27
	v_mov_b32_e32 v0, 0x7c01
	s_mov_b32 s17, exec_lo
	buffer_store_dword v0, off, s[0:3], s32 offset:452 ; 4-byte Folded Spill
	v_cmpx_ne_u32_e32 0x7f, v2
	s_cbranch_execz .LBB302_560
; %bb.557:                              ;   in Loop: Header=BB302_10 Depth=1
	v_and_b32_e32 v0, 7, v27
	v_lshrrev_b32_e32 v1, 3, v2
	s_mov_b32 s19, exec_lo
	v_cmpx_gt_u32_e32 8, v2
; %bb.558:                              ;   in Loop: Header=BB302_10 Depth=1
	v_ffbh_u32_e32 v0, v0
	v_min_u32_e32 v2, 32, v0
	v_subrev_nc_u32_e32 v0, 28, v2
	v_lshlrev_b64 v[0:1], v0, v[4:5]
	v_sub_nc_u32_e32 v1, 29, v2
	v_and_b32_e32 v0, 7, v0
; %bb.559:                              ;   in Loop: Header=BB302_10 Depth=1
	s_or_b32 exec_lo, exec_lo, s19
	v_lshlrev_b32_e32 v2, 8, v27
	v_lshl_add_u32 v1, v1, 10, 0x2000
	v_lshlrev_b32_e32 v0, 7, v0
	v_and_b32_e32 v2, 0x8000, v2
	v_and_b32_e32 v1, 0xfc00, v1
	v_or3_b32 v0, v2, v1, v0
	buffer_store_dword v0, off, s[0:3], s32 offset:452 ; 4-byte Folded Spill
.LBB302_560:                            ;   in Loop: Header=BB302_10 Depth=1
	s_or_b32 exec_lo, exec_lo, s17
.LBB302_561:                            ;   in Loop: Header=BB302_10 Depth=1
	s_or_b32 exec_lo, exec_lo, s12
.LBB302_562:                            ;   in Loop: Header=BB302_10 Depth=1
	s_or_b32 exec_lo, exec_lo, s11
	v_mov_b32_e32 v0, 0
	v_lshrrev_b16 v4, 8, v4
	s_mov_b32 s11, exec_lo
	buffer_store_dword v0, off, s[0:3], s32 offset:460 ; 4-byte Folded Spill
	v_mov_b32_e32 v0, 0
	buffer_store_dword v0, off, s[0:3], s32 offset:464 ; 4-byte Folded Spill
	v_cmpx_ne_u16_e32 0, v4
	s_cbranch_execz .LBB302_570
; %bb.563:                              ;   in Loop: Header=BB302_10 Depth=1
	v_bfrev_b32_e32 v0, 1
	s_mov_b32 s12, exec_lo
	buffer_store_dword v0, off, s[0:3], s32 offset:464 ; 4-byte Folded Spill
	v_cmpx_ne_u16_e32 0x80, v4
	s_cbranch_execz .LBB302_569
; %bb.564:                              ;   in Loop: Header=BB302_10 Depth=1
	v_mov_b32_e32 v0, 0x7f
	s_mov_b32 s17, exec_lo
	v_and_b32_sdwa v2, v4, v0 dst_sel:DWORD dst_unused:UNUSED_PAD src0_sel:WORD_0 src1_sel:DWORD
	v_mov_b32_e32 v0, 0x7c010000
	buffer_store_dword v0, off, s[0:3], s32 offset:464 ; 4-byte Folded Spill
	v_cmpx_ne_u32_e32 0x7f, v2
	s_cbranch_execz .LBB302_568
; %bb.565:                              ;   in Loop: Header=BB302_10 Depth=1
	v_mov_b32_e32 v0, 7
	v_lshrrev_b32_e32 v1, 3, v2
	s_mov_b32 s19, exec_lo
	v_and_b32_sdwa v0, v4, v0 dst_sel:DWORD dst_unused:UNUSED_PAD src0_sel:WORD_0 src1_sel:DWORD
	v_cmpx_gt_u32_e32 8, v2
; %bb.566:                              ;   in Loop: Header=BB302_10 Depth=1
	v_ffbh_u32_e32 v0, v0
	v_min_u32_e32 v2, 32, v0
	v_subrev_nc_u32_e32 v0, 28, v2
	v_lshlrev_b64 v[0:1], v0, v[4:5]
	v_sub_nc_u32_e32 v1, 29, v2
	v_and_b32_e32 v0, 7, v0
; %bb.567:                              ;   in Loop: Header=BB302_10 Depth=1
	s_or_b32 exec_lo, exec_lo, s19
	v_mov_b32_e32 v2, 8
	v_lshl_add_u32 v1, v1, 10, 0x2000
	v_lshlrev_b32_e32 v0, 23, v0
	v_lshlrev_b32_sdwa v2, v2, v4 dst_sel:DWORD dst_unused:UNUSED_PAD src0_sel:DWORD src1_sel:WORD_0
	v_and_or_b32 v1, 0x8000, v2, v1
	v_lshl_or_b32 v0, v1, 16, v0
	buffer_store_dword v0, off, s[0:3], s32 offset:464 ; 4-byte Folded Spill
.LBB302_568:                            ;   in Loop: Header=BB302_10 Depth=1
	s_or_b32 exec_lo, exec_lo, s17
.LBB302_569:                            ;   in Loop: Header=BB302_10 Depth=1
	s_or_b32 exec_lo, exec_lo, s12
.LBB302_570:                            ;   in Loop: Header=BB302_10 Depth=1
	s_or_b32 exec_lo, exec_lo, s11
	v_lshrrev_b32_e32 v4, 16, v27
	v_cmp_ne_u16_sdwa s5, v4, v5 src0_sel:BYTE_0 src1_sel:DWORD
	s_and_saveexec_b32 s11, s5
	s_cbranch_execz .LBB302_578
; %bb.571:                              ;   in Loop: Header=BB302_10 Depth=1
	v_cmp_ne_u16_sdwa s5, v4, v99 src0_sel:BYTE_0 src1_sel:DWORD
	v_mov_b32_e32 v0, 0x8000
	buffer_store_dword v0, off, s[0:3], s32 offset:460 ; 4-byte Folded Spill
	s_and_saveexec_b32 s12, s5
	s_cbranch_execz .LBB302_577
; %bb.572:                              ;   in Loop: Header=BB302_10 Depth=1
	v_bfe_u32 v2, v27, 16, 7
	v_mov_b32_e32 v0, 0x7c01
	s_mov_b32 s17, exec_lo
	buffer_store_dword v0, off, s[0:3], s32 offset:460 ; 4-byte Folded Spill
	v_cmpx_ne_u32_e32 0x7f, v2
	s_cbranch_execz .LBB302_576
; %bb.573:                              ;   in Loop: Header=BB302_10 Depth=1
	v_and_b32_e32 v0, 7, v4
	v_lshrrev_b32_e32 v1, 3, v2
	s_mov_b32 s19, exec_lo
	v_cmpx_gt_u32_e32 8, v2
; %bb.574:                              ;   in Loop: Header=BB302_10 Depth=1
	v_ffbh_u32_e32 v0, v0
	v_min_u32_e32 v2, 32, v0
	v_subrev_nc_u32_e32 v0, 28, v2
	v_lshlrev_b64 v[0:1], v0, v[4:5]
	v_sub_nc_u32_e32 v1, 29, v2
	v_and_b32_e32 v0, 7, v0
; %bb.575:                              ;   in Loop: Header=BB302_10 Depth=1
	s_or_b32 exec_lo, exec_lo, s19
	v_lshlrev_b32_e32 v2, 8, v4
	v_lshl_add_u32 v1, v1, 10, 0x2000
	v_lshlrev_b32_e32 v0, 7, v0
	v_and_b32_e32 v2, 0x8000, v2
	v_and_b32_e32 v1, 0xfc00, v1
	v_or3_b32 v0, v2, v1, v0
	buffer_store_dword v0, off, s[0:3], s32 offset:460 ; 4-byte Folded Spill
.LBB302_576:                            ;   in Loop: Header=BB302_10 Depth=1
	s_or_b32 exec_lo, exec_lo, s17
.LBB302_577:                            ;   in Loop: Header=BB302_10 Depth=1
	s_or_b32 exec_lo, exec_lo, s12
.LBB302_578:                            ;   in Loop: Header=BB302_10 Depth=1
	s_or_b32 exec_lo, exec_lo, s11
	v_mov_b32_e32 v0, 0
	s_mov_b32 s11, exec_lo
	buffer_store_dword v0, off, s[0:3], s32 offset:468 ; 4-byte Folded Spill
	v_mov_b32_e32 v0, 0
	buffer_store_dword v0, off, s[0:3], s32 offset:748 ; 4-byte Folded Spill
	v_cmpx_lt_u64_e64 s[6:7], v[26:27]
	s_cbranch_execz .LBB302_586
; %bb.579:                              ;   in Loop: Header=BB302_10 Depth=1
	v_lshrrev_b32_e32 v4, 24, v27
	v_bfrev_b32_e32 v0, 1
	s_mov_b32 s12, exec_lo
	v_cmpx_ne_u32_e32 0x80, v4
	s_cbranch_execz .LBB302_585
; %bb.580:                              ;   in Loop: Header=BB302_10 Depth=1
	v_and_b32_e32 v2, 0x7f, v4
	v_mov_b32_e32 v0, 0x7c010000
	s_mov_b32 s17, exec_lo
	v_cmpx_ne_u32_e32 0x7f, v2
	s_cbranch_execz .LBB302_584
; %bb.581:                              ;   in Loop: Header=BB302_10 Depth=1
	v_and_b32_e32 v0, 7, v4
	v_lshrrev_b32_e32 v1, 3, v2
	s_mov_b32 s19, exec_lo
	v_cmpx_gt_u32_e32 8, v2
; %bb.582:                              ;   in Loop: Header=BB302_10 Depth=1
	v_ffbh_u32_e32 v0, v0
	v_min_u32_e32 v2, 32, v0
	v_subrev_nc_u32_e32 v0, 28, v2
	v_lshlrev_b64 v[0:1], v0, v[4:5]
	v_sub_nc_u32_e32 v1, 29, v2
	v_and_b32_e32 v0, 7, v0
; %bb.583:                              ;   in Loop: Header=BB302_10 Depth=1
	s_or_b32 exec_lo, exec_lo, s19
	v_lshlrev_b32_e32 v2, 8, v4
	v_lshl_add_u32 v1, v1, 10, 0x2000
	v_lshlrev_b32_e32 v0, 23, v0
	v_and_or_b32 v1, 0x8000, v2, v1
	v_lshl_or_b32 v0, v1, 16, v0
.LBB302_584:                            ;   in Loop: Header=BB302_10 Depth=1
	s_or_b32 exec_lo, exec_lo, s17
.LBB302_585:                            ;   in Loop: Header=BB302_10 Depth=1
	s_or_b32 exec_lo, exec_lo, s12
	buffer_store_dword v0, off, s[0:3], s32 offset:748 ; 4-byte Folded Spill
.LBB302_586:                            ;   in Loop: Header=BB302_10 Depth=1
	s_or_b32 exec_lo, exec_lo, s11
	flat_load_dwordx2 v[26:27], v[24:25] offset:8
	s_waitcnt vmcnt(0) lgkmcnt(0)
	v_cmp_ne_u16_sdwa s5, v26, v5 src0_sel:BYTE_0 src1_sel:DWORD
	s_and_saveexec_b32 s11, s5
	s_cbranch_execz .LBB302_594
; %bb.587:                              ;   in Loop: Header=BB302_10 Depth=1
	v_cmp_ne_u16_sdwa s5, v26, v99 src0_sel:BYTE_0 src1_sel:DWORD
	v_mov_b32_e32 v0, 0x8000
	buffer_store_dword v0, off, s[0:3], s32 offset:468 ; 4-byte Folded Spill
	s_and_saveexec_b32 s12, s5
	s_cbranch_execz .LBB302_593
; %bb.588:                              ;   in Loop: Header=BB302_10 Depth=1
	v_and_b32_e32 v2, 0x7f, v26
	v_mov_b32_e32 v0, 0x7c01
	s_mov_b32 s17, exec_lo
	buffer_store_dword v0, off, s[0:3], s32 offset:468 ; 4-byte Folded Spill
	v_cmpx_ne_u32_e32 0x7f, v2
	s_cbranch_execz .LBB302_592
; %bb.589:                              ;   in Loop: Header=BB302_10 Depth=1
	v_and_b32_e32 v0, 7, v26
	v_lshrrev_b32_e32 v1, 3, v2
	s_mov_b32 s19, exec_lo
	v_cmpx_gt_u32_e32 8, v2
; %bb.590:                              ;   in Loop: Header=BB302_10 Depth=1
	v_ffbh_u32_e32 v0, v0
	v_min_u32_e32 v2, 32, v0
	v_subrev_nc_u32_e32 v0, 28, v2
	v_lshlrev_b64 v[0:1], v0, v[26:27]
	v_sub_nc_u32_e32 v1, 29, v2
	v_and_b32_e32 v0, 7, v0
; %bb.591:                              ;   in Loop: Header=BB302_10 Depth=1
	s_or_b32 exec_lo, exec_lo, s19
	v_lshlrev_b32_e32 v2, 8, v26
	v_lshl_add_u32 v1, v1, 10, 0x2000
	v_lshlrev_b32_e32 v0, 7, v0
	v_and_b32_e32 v2, 0x8000, v2
	v_and_b32_e32 v1, 0xfc00, v1
	v_or3_b32 v0, v2, v1, v0
	buffer_store_dword v0, off, s[0:3], s32 offset:468 ; 4-byte Folded Spill
.LBB302_592:                            ;   in Loop: Header=BB302_10 Depth=1
	s_or_b32 exec_lo, exec_lo, s17
.LBB302_593:                            ;   in Loop: Header=BB302_10 Depth=1
	s_or_b32 exec_lo, exec_lo, s12
.LBB302_594:                            ;   in Loop: Header=BB302_10 Depth=1
	s_or_b32 exec_lo, exec_lo, s11
	v_mov_b32_e32 v0, 0
	v_lshrrev_b16 v4, 8, v26
	s_mov_b32 s11, exec_lo
	buffer_store_dword v0, off, s[0:3], s32 offset:476 ; 4-byte Folded Spill
	v_mov_b32_e32 v0, 0
	buffer_store_dword v0, off, s[0:3], s32 offset:472 ; 4-byte Folded Spill
	v_cmpx_ne_u16_e32 0, v4
	s_cbranch_execz .LBB302_602
; %bb.595:                              ;   in Loop: Header=BB302_10 Depth=1
	v_bfrev_b32_e32 v0, 1
	s_mov_b32 s12, exec_lo
	buffer_store_dword v0, off, s[0:3], s32 offset:472 ; 4-byte Folded Spill
	v_cmpx_ne_u16_e32 0x80, v4
	s_cbranch_execz .LBB302_601
; %bb.596:                              ;   in Loop: Header=BB302_10 Depth=1
	v_mov_b32_e32 v0, 0x7f
	s_mov_b32 s17, exec_lo
	v_and_b32_sdwa v2, v4, v0 dst_sel:DWORD dst_unused:UNUSED_PAD src0_sel:WORD_0 src1_sel:DWORD
	v_mov_b32_e32 v0, 0x7c010000
	buffer_store_dword v0, off, s[0:3], s32 offset:472 ; 4-byte Folded Spill
	v_cmpx_ne_u32_e32 0x7f, v2
	s_cbranch_execz .LBB302_600
; %bb.597:                              ;   in Loop: Header=BB302_10 Depth=1
	v_mov_b32_e32 v0, 7
	v_lshrrev_b32_e32 v1, 3, v2
	s_mov_b32 s19, exec_lo
	v_and_b32_sdwa v0, v4, v0 dst_sel:DWORD dst_unused:UNUSED_PAD src0_sel:WORD_0 src1_sel:DWORD
	v_cmpx_gt_u32_e32 8, v2
; %bb.598:                              ;   in Loop: Header=BB302_10 Depth=1
	v_ffbh_u32_e32 v0, v0
	v_min_u32_e32 v2, 32, v0
	v_subrev_nc_u32_e32 v0, 28, v2
	v_lshlrev_b64 v[0:1], v0, v[4:5]
	v_sub_nc_u32_e32 v1, 29, v2
	v_and_b32_e32 v0, 7, v0
; %bb.599:                              ;   in Loop: Header=BB302_10 Depth=1
	s_or_b32 exec_lo, exec_lo, s19
	v_mov_b32_e32 v2, 8
	v_lshl_add_u32 v1, v1, 10, 0x2000
	v_lshlrev_b32_e32 v0, 23, v0
	v_lshlrev_b32_sdwa v2, v2, v4 dst_sel:DWORD dst_unused:UNUSED_PAD src0_sel:DWORD src1_sel:WORD_0
	v_and_or_b32 v1, 0x8000, v2, v1
	v_lshl_or_b32 v0, v1, 16, v0
	buffer_store_dword v0, off, s[0:3], s32 offset:472 ; 4-byte Folded Spill
.LBB302_600:                            ;   in Loop: Header=BB302_10 Depth=1
	s_or_b32 exec_lo, exec_lo, s17
.LBB302_601:                            ;   in Loop: Header=BB302_10 Depth=1
	s_or_b32 exec_lo, exec_lo, s12
.LBB302_602:                            ;   in Loop: Header=BB302_10 Depth=1
	s_or_b32 exec_lo, exec_lo, s11
	v_lshrrev_b32_e32 v4, 16, v26
	v_cmp_ne_u16_sdwa s5, v4, v5 src0_sel:BYTE_0 src1_sel:DWORD
	s_and_saveexec_b32 s11, s5
	s_cbranch_execz .LBB302_610
; %bb.603:                              ;   in Loop: Header=BB302_10 Depth=1
	v_cmp_ne_u16_sdwa s5, v4, v99 src0_sel:BYTE_0 src1_sel:DWORD
	v_mov_b32_e32 v0, 0x8000
	buffer_store_dword v0, off, s[0:3], s32 offset:476 ; 4-byte Folded Spill
	s_and_saveexec_b32 s12, s5
	s_cbranch_execz .LBB302_609
; %bb.604:                              ;   in Loop: Header=BB302_10 Depth=1
	v_bfe_u32 v2, v26, 16, 7
	v_mov_b32_e32 v0, 0x7c01
	s_mov_b32 s17, exec_lo
	buffer_store_dword v0, off, s[0:3], s32 offset:476 ; 4-byte Folded Spill
	v_cmpx_ne_u32_e32 0x7f, v2
	s_cbranch_execz .LBB302_608
; %bb.605:                              ;   in Loop: Header=BB302_10 Depth=1
	v_and_b32_e32 v0, 7, v4
	v_lshrrev_b32_e32 v1, 3, v2
	s_mov_b32 s19, exec_lo
	v_cmpx_gt_u32_e32 8, v2
; %bb.606:                              ;   in Loop: Header=BB302_10 Depth=1
	v_ffbh_u32_e32 v0, v0
	v_min_u32_e32 v2, 32, v0
	v_subrev_nc_u32_e32 v0, 28, v2
	v_lshlrev_b64 v[0:1], v0, v[4:5]
	v_sub_nc_u32_e32 v1, 29, v2
	v_and_b32_e32 v0, 7, v0
; %bb.607:                              ;   in Loop: Header=BB302_10 Depth=1
	s_or_b32 exec_lo, exec_lo, s19
	v_lshlrev_b32_e32 v2, 8, v4
	v_lshl_add_u32 v1, v1, 10, 0x2000
	v_lshlrev_b32_e32 v0, 7, v0
	v_and_b32_e32 v2, 0x8000, v2
	v_and_b32_e32 v1, 0xfc00, v1
	v_or3_b32 v0, v2, v1, v0
	buffer_store_dword v0, off, s[0:3], s32 offset:476 ; 4-byte Folded Spill
.LBB302_608:                            ;   in Loop: Header=BB302_10 Depth=1
	s_or_b32 exec_lo, exec_lo, s17
.LBB302_609:                            ;   in Loop: Header=BB302_10 Depth=1
	s_or_b32 exec_lo, exec_lo, s12
.LBB302_610:                            ;   in Loop: Header=BB302_10 Depth=1
	s_or_b32 exec_lo, exec_lo, s11
	v_mov_b32_e32 v0, 0
	s_mov_b32 s11, exec_lo
	buffer_store_dword v0, off, s[0:3], s32 offset:480 ; 4-byte Folded Spill
	v_mov_b32_e32 v0, 0
	buffer_store_dword v0, off, s[0:3], s32 offset:484 ; 4-byte Folded Spill
	v_cmpx_lt_u32_e32 0xffffff, v26
	s_cbranch_execz .LBB302_618
; %bb.611:                              ;   in Loop: Header=BB302_10 Depth=1
	v_lshrrev_b32_e32 v4, 24, v26
	v_bfrev_b32_e32 v0, 1
	s_mov_b32 s12, exec_lo
	buffer_store_dword v0, off, s[0:3], s32 offset:484 ; 4-byte Folded Spill
	v_cmpx_ne_u32_e32 0x80, v4
	s_cbranch_execz .LBB302_617
; %bb.612:                              ;   in Loop: Header=BB302_10 Depth=1
	v_and_b32_e32 v2, 0x7f, v4
	v_mov_b32_e32 v0, 0x7c010000
	s_mov_b32 s17, exec_lo
	buffer_store_dword v0, off, s[0:3], s32 offset:484 ; 4-byte Folded Spill
	v_cmpx_ne_u32_e32 0x7f, v2
	s_cbranch_execz .LBB302_616
; %bb.613:                              ;   in Loop: Header=BB302_10 Depth=1
	v_and_b32_e32 v0, 7, v4
	v_lshrrev_b32_e32 v1, 3, v2
	s_mov_b32 s19, exec_lo
	v_cmpx_gt_u32_e32 8, v2
; %bb.614:                              ;   in Loop: Header=BB302_10 Depth=1
	v_ffbh_u32_e32 v0, v0
	v_min_u32_e32 v2, 32, v0
	v_subrev_nc_u32_e32 v0, 28, v2
	v_lshlrev_b64 v[0:1], v0, v[4:5]
	v_sub_nc_u32_e32 v1, 29, v2
	v_and_b32_e32 v0, 7, v0
; %bb.615:                              ;   in Loop: Header=BB302_10 Depth=1
	s_or_b32 exec_lo, exec_lo, s19
	v_lshlrev_b32_e32 v2, 8, v4
	v_lshl_add_u32 v1, v1, 10, 0x2000
	v_lshlrev_b32_e32 v0, 23, v0
	v_and_or_b32 v1, 0x8000, v2, v1
	v_lshl_or_b32 v0, v1, 16, v0
	buffer_store_dword v0, off, s[0:3], s32 offset:484 ; 4-byte Folded Spill
.LBB302_616:                            ;   in Loop: Header=BB302_10 Depth=1
	s_or_b32 exec_lo, exec_lo, s17
.LBB302_617:                            ;   in Loop: Header=BB302_10 Depth=1
	s_or_b32 exec_lo, exec_lo, s12
.LBB302_618:                            ;   in Loop: Header=BB302_10 Depth=1
	s_or_b32 exec_lo, exec_lo, s11
	v_mov_b32_e32 v4, v27
	v_cmp_ne_u16_sdwa s5, v27, v5 src0_sel:BYTE_0 src1_sel:DWORD
	s_and_saveexec_b32 s11, s5
	s_cbranch_execz .LBB302_626
; %bb.619:                              ;   in Loop: Header=BB302_10 Depth=1
	v_cmp_ne_u16_sdwa s5, v27, v99 src0_sel:BYTE_0 src1_sel:DWORD
	v_mov_b32_e32 v0, 0x8000
	buffer_store_dword v0, off, s[0:3], s32 offset:480 ; 4-byte Folded Spill
	s_and_saveexec_b32 s12, s5
	s_cbranch_execz .LBB302_625
; %bb.620:                              ;   in Loop: Header=BB302_10 Depth=1
	v_and_b32_e32 v2, 0x7f, v27
	v_mov_b32_e32 v0, 0x7c01
	s_mov_b32 s17, exec_lo
	buffer_store_dword v0, off, s[0:3], s32 offset:480 ; 4-byte Folded Spill
	v_cmpx_ne_u32_e32 0x7f, v2
	s_cbranch_execz .LBB302_624
; %bb.621:                              ;   in Loop: Header=BB302_10 Depth=1
	v_and_b32_e32 v0, 7, v27
	v_lshrrev_b32_e32 v1, 3, v2
	s_mov_b32 s19, exec_lo
	v_cmpx_gt_u32_e32 8, v2
; %bb.622:                              ;   in Loop: Header=BB302_10 Depth=1
	v_ffbh_u32_e32 v0, v0
	v_min_u32_e32 v2, 32, v0
	v_subrev_nc_u32_e32 v0, 28, v2
	v_lshlrev_b64 v[0:1], v0, v[4:5]
	v_sub_nc_u32_e32 v1, 29, v2
	v_and_b32_e32 v0, 7, v0
; %bb.623:                              ;   in Loop: Header=BB302_10 Depth=1
	s_or_b32 exec_lo, exec_lo, s19
	v_lshlrev_b32_e32 v2, 8, v27
	v_lshl_add_u32 v1, v1, 10, 0x2000
	v_lshlrev_b32_e32 v0, 7, v0
	v_and_b32_e32 v2, 0x8000, v2
	v_and_b32_e32 v1, 0xfc00, v1
	v_or3_b32 v0, v2, v1, v0
	buffer_store_dword v0, off, s[0:3], s32 offset:480 ; 4-byte Folded Spill
.LBB302_624:                            ;   in Loop: Header=BB302_10 Depth=1
	s_or_b32 exec_lo, exec_lo, s17
.LBB302_625:                            ;   in Loop: Header=BB302_10 Depth=1
	s_or_b32 exec_lo, exec_lo, s12
.LBB302_626:                            ;   in Loop: Header=BB302_10 Depth=1
	s_or_b32 exec_lo, exec_lo, s11
	v_mov_b32_e32 v0, 0
	v_lshrrev_b16 v4, 8, v4
	s_mov_b32 s11, exec_lo
	buffer_store_dword v0, off, s[0:3], s32 offset:488 ; 4-byte Folded Spill
	v_mov_b32_e32 v0, 0
	buffer_store_dword v0, off, s[0:3], s32 offset:492 ; 4-byte Folded Spill
	v_cmpx_ne_u16_e32 0, v4
	s_cbranch_execz .LBB302_634
; %bb.627:                              ;   in Loop: Header=BB302_10 Depth=1
	v_bfrev_b32_e32 v0, 1
	s_mov_b32 s12, exec_lo
	buffer_store_dword v0, off, s[0:3], s32 offset:492 ; 4-byte Folded Spill
	v_cmpx_ne_u16_e32 0x80, v4
	s_cbranch_execz .LBB302_633
; %bb.628:                              ;   in Loop: Header=BB302_10 Depth=1
	v_mov_b32_e32 v0, 0x7f
	s_mov_b32 s17, exec_lo
	v_and_b32_sdwa v2, v4, v0 dst_sel:DWORD dst_unused:UNUSED_PAD src0_sel:WORD_0 src1_sel:DWORD
	v_mov_b32_e32 v0, 0x7c010000
	buffer_store_dword v0, off, s[0:3], s32 offset:492 ; 4-byte Folded Spill
	v_cmpx_ne_u32_e32 0x7f, v2
	s_cbranch_execz .LBB302_632
; %bb.629:                              ;   in Loop: Header=BB302_10 Depth=1
	v_mov_b32_e32 v0, 7
	v_lshrrev_b32_e32 v1, 3, v2
	s_mov_b32 s19, exec_lo
	v_and_b32_sdwa v0, v4, v0 dst_sel:DWORD dst_unused:UNUSED_PAD src0_sel:WORD_0 src1_sel:DWORD
	v_cmpx_gt_u32_e32 8, v2
; %bb.630:                              ;   in Loop: Header=BB302_10 Depth=1
	v_ffbh_u32_e32 v0, v0
	v_min_u32_e32 v2, 32, v0
	v_subrev_nc_u32_e32 v0, 28, v2
	v_lshlrev_b64 v[0:1], v0, v[4:5]
	v_sub_nc_u32_e32 v1, 29, v2
	v_and_b32_e32 v0, 7, v0
; %bb.631:                              ;   in Loop: Header=BB302_10 Depth=1
	s_or_b32 exec_lo, exec_lo, s19
	v_mov_b32_e32 v2, 8
	v_lshl_add_u32 v1, v1, 10, 0x2000
	v_lshlrev_b32_e32 v0, 23, v0
	v_lshlrev_b32_sdwa v2, v2, v4 dst_sel:DWORD dst_unused:UNUSED_PAD src0_sel:DWORD src1_sel:WORD_0
	v_and_or_b32 v1, 0x8000, v2, v1
	v_lshl_or_b32 v0, v1, 16, v0
	buffer_store_dword v0, off, s[0:3], s32 offset:492 ; 4-byte Folded Spill
.LBB302_632:                            ;   in Loop: Header=BB302_10 Depth=1
	s_or_b32 exec_lo, exec_lo, s17
.LBB302_633:                            ;   in Loop: Header=BB302_10 Depth=1
	s_or_b32 exec_lo, exec_lo, s12
.LBB302_634:                            ;   in Loop: Header=BB302_10 Depth=1
	s_or_b32 exec_lo, exec_lo, s11
	v_lshrrev_b32_e32 v4, 16, v27
	v_cmp_ne_u16_sdwa s5, v4, v5 src0_sel:BYTE_0 src1_sel:DWORD
	s_and_saveexec_b32 s11, s5
	s_cbranch_execz .LBB302_642
; %bb.635:                              ;   in Loop: Header=BB302_10 Depth=1
	v_cmp_ne_u16_sdwa s5, v4, v99 src0_sel:BYTE_0 src1_sel:DWORD
	v_mov_b32_e32 v0, 0x8000
	buffer_store_dword v0, off, s[0:3], s32 offset:488 ; 4-byte Folded Spill
	s_and_saveexec_b32 s12, s5
	s_cbranch_execz .LBB302_641
; %bb.636:                              ;   in Loop: Header=BB302_10 Depth=1
	v_bfe_u32 v2, v27, 16, 7
	v_mov_b32_e32 v0, 0x7c01
	s_mov_b32 s17, exec_lo
	buffer_store_dword v0, off, s[0:3], s32 offset:488 ; 4-byte Folded Spill
	v_cmpx_ne_u32_e32 0x7f, v2
	s_cbranch_execz .LBB302_640
; %bb.637:                              ;   in Loop: Header=BB302_10 Depth=1
	v_and_b32_e32 v0, 7, v4
	v_lshrrev_b32_e32 v1, 3, v2
	s_mov_b32 s19, exec_lo
	v_cmpx_gt_u32_e32 8, v2
; %bb.638:                              ;   in Loop: Header=BB302_10 Depth=1
	v_ffbh_u32_e32 v0, v0
	v_min_u32_e32 v2, 32, v0
	v_subrev_nc_u32_e32 v0, 28, v2
	v_lshlrev_b64 v[0:1], v0, v[4:5]
	v_sub_nc_u32_e32 v1, 29, v2
	v_and_b32_e32 v0, 7, v0
; %bb.639:                              ;   in Loop: Header=BB302_10 Depth=1
	s_or_b32 exec_lo, exec_lo, s19
	v_lshlrev_b32_e32 v2, 8, v4
	v_lshl_add_u32 v1, v1, 10, 0x2000
	v_lshlrev_b32_e32 v0, 7, v0
	v_and_b32_e32 v2, 0x8000, v2
	v_and_b32_e32 v1, 0xfc00, v1
	v_or3_b32 v0, v2, v1, v0
	buffer_store_dword v0, off, s[0:3], s32 offset:488 ; 4-byte Folded Spill
.LBB302_640:                            ;   in Loop: Header=BB302_10 Depth=1
	s_or_b32 exec_lo, exec_lo, s17
.LBB302_641:                            ;   in Loop: Header=BB302_10 Depth=1
	s_or_b32 exec_lo, exec_lo, s12
.LBB302_642:                            ;   in Loop: Header=BB302_10 Depth=1
	s_or_b32 exec_lo, exec_lo, s11
	v_mov_b32_e32 v0, 0
	s_mov_b32 s11, exec_lo
	buffer_store_dword v0, off, s[0:3], s32 offset:496 ; 4-byte Folded Spill
	v_mov_b32_e32 v0, 0
	buffer_store_dword v0, off, s[0:3], s32 offset:752 ; 4-byte Folded Spill
	v_cmpx_lt_u64_e64 s[6:7], v[26:27]
	s_cbranch_execz .LBB302_650
; %bb.643:                              ;   in Loop: Header=BB302_10 Depth=1
	v_lshrrev_b32_e32 v4, 24, v27
	v_bfrev_b32_e32 v0, 1
	s_mov_b32 s12, exec_lo
	v_cmpx_ne_u32_e32 0x80, v4
	s_cbranch_execz .LBB302_649
; %bb.644:                              ;   in Loop: Header=BB302_10 Depth=1
	v_and_b32_e32 v2, 0x7f, v4
	v_mov_b32_e32 v0, 0x7c010000
	s_mov_b32 s17, exec_lo
	v_cmpx_ne_u32_e32 0x7f, v2
	s_cbranch_execz .LBB302_648
; %bb.645:                              ;   in Loop: Header=BB302_10 Depth=1
	v_and_b32_e32 v0, 7, v4
	v_lshrrev_b32_e32 v1, 3, v2
	s_mov_b32 s19, exec_lo
	v_cmpx_gt_u32_e32 8, v2
; %bb.646:                              ;   in Loop: Header=BB302_10 Depth=1
	v_ffbh_u32_e32 v0, v0
	v_min_u32_e32 v2, 32, v0
	v_subrev_nc_u32_e32 v0, 28, v2
	v_lshlrev_b64 v[0:1], v0, v[4:5]
	v_sub_nc_u32_e32 v1, 29, v2
	v_and_b32_e32 v0, 7, v0
; %bb.647:                              ;   in Loop: Header=BB302_10 Depth=1
	s_or_b32 exec_lo, exec_lo, s19
	v_lshlrev_b32_e32 v2, 8, v4
	v_lshl_add_u32 v1, v1, 10, 0x2000
	v_lshlrev_b32_e32 v0, 23, v0
	v_and_or_b32 v1, 0x8000, v2, v1
	v_lshl_or_b32 v0, v1, 16, v0
.LBB302_648:                            ;   in Loop: Header=BB302_10 Depth=1
	s_or_b32 exec_lo, exec_lo, s17
.LBB302_649:                            ;   in Loop: Header=BB302_10 Depth=1
	s_or_b32 exec_lo, exec_lo, s12
	buffer_store_dword v0, off, s[0:3], s32 offset:752 ; 4-byte Folded Spill
.LBB302_650:                            ;   in Loop: Header=BB302_10 Depth=1
	s_or_b32 exec_lo, exec_lo, s11
	flat_load_dwordx2 v[26:27], v[24:25] offset:512
	s_waitcnt vmcnt(0) lgkmcnt(0)
	v_cmp_ne_u16_sdwa s5, v26, v5 src0_sel:BYTE_0 src1_sel:DWORD
	s_and_saveexec_b32 s11, s5
	s_cbranch_execz .LBB302_658
; %bb.651:                              ;   in Loop: Header=BB302_10 Depth=1
	v_cmp_ne_u16_sdwa s5, v26, v99 src0_sel:BYTE_0 src1_sel:DWORD
	v_mov_b32_e32 v0, 0x8000
	buffer_store_dword v0, off, s[0:3], s32 offset:496 ; 4-byte Folded Spill
	s_and_saveexec_b32 s12, s5
	s_cbranch_execz .LBB302_657
; %bb.652:                              ;   in Loop: Header=BB302_10 Depth=1
	v_and_b32_e32 v2, 0x7f, v26
	v_mov_b32_e32 v0, 0x7c01
	s_mov_b32 s17, exec_lo
	buffer_store_dword v0, off, s[0:3], s32 offset:496 ; 4-byte Folded Spill
	v_cmpx_ne_u32_e32 0x7f, v2
	s_cbranch_execz .LBB302_656
; %bb.653:                              ;   in Loop: Header=BB302_10 Depth=1
	v_and_b32_e32 v0, 7, v26
	v_lshrrev_b32_e32 v1, 3, v2
	s_mov_b32 s19, exec_lo
	v_cmpx_gt_u32_e32 8, v2
; %bb.654:                              ;   in Loop: Header=BB302_10 Depth=1
	v_ffbh_u32_e32 v0, v0
	v_min_u32_e32 v2, 32, v0
	v_subrev_nc_u32_e32 v0, 28, v2
	v_lshlrev_b64 v[0:1], v0, v[26:27]
	v_sub_nc_u32_e32 v1, 29, v2
	v_and_b32_e32 v0, 7, v0
; %bb.655:                              ;   in Loop: Header=BB302_10 Depth=1
	s_or_b32 exec_lo, exec_lo, s19
	v_lshlrev_b32_e32 v2, 8, v26
	v_lshl_add_u32 v1, v1, 10, 0x2000
	v_lshlrev_b32_e32 v0, 7, v0
	v_and_b32_e32 v2, 0x8000, v2
	v_and_b32_e32 v1, 0xfc00, v1
	v_or3_b32 v0, v2, v1, v0
	buffer_store_dword v0, off, s[0:3], s32 offset:496 ; 4-byte Folded Spill
.LBB302_656:                            ;   in Loop: Header=BB302_10 Depth=1
	s_or_b32 exec_lo, exec_lo, s17
.LBB302_657:                            ;   in Loop: Header=BB302_10 Depth=1
	s_or_b32 exec_lo, exec_lo, s12
.LBB302_658:                            ;   in Loop: Header=BB302_10 Depth=1
	s_or_b32 exec_lo, exec_lo, s11
	v_mov_b32_e32 v0, 0
	v_lshrrev_b16 v4, 8, v26
	s_mov_b32 s11, exec_lo
	buffer_store_dword v0, off, s[0:3], s32 offset:504 ; 4-byte Folded Spill
	v_mov_b32_e32 v0, 0
	buffer_store_dword v0, off, s[0:3], s32 offset:500 ; 4-byte Folded Spill
	v_cmpx_ne_u16_e32 0, v4
	s_cbranch_execz .LBB302_666
; %bb.659:                              ;   in Loop: Header=BB302_10 Depth=1
	v_bfrev_b32_e32 v0, 1
	s_mov_b32 s12, exec_lo
	buffer_store_dword v0, off, s[0:3], s32 offset:500 ; 4-byte Folded Spill
	v_cmpx_ne_u16_e32 0x80, v4
	s_cbranch_execz .LBB302_665
; %bb.660:                              ;   in Loop: Header=BB302_10 Depth=1
	v_mov_b32_e32 v0, 0x7f
	s_mov_b32 s17, exec_lo
	v_and_b32_sdwa v2, v4, v0 dst_sel:DWORD dst_unused:UNUSED_PAD src0_sel:WORD_0 src1_sel:DWORD
	v_mov_b32_e32 v0, 0x7c010000
	buffer_store_dword v0, off, s[0:3], s32 offset:500 ; 4-byte Folded Spill
	v_cmpx_ne_u32_e32 0x7f, v2
	s_cbranch_execz .LBB302_664
; %bb.661:                              ;   in Loop: Header=BB302_10 Depth=1
	v_mov_b32_e32 v0, 7
	v_lshrrev_b32_e32 v1, 3, v2
	s_mov_b32 s19, exec_lo
	v_and_b32_sdwa v0, v4, v0 dst_sel:DWORD dst_unused:UNUSED_PAD src0_sel:WORD_0 src1_sel:DWORD
	v_cmpx_gt_u32_e32 8, v2
; %bb.662:                              ;   in Loop: Header=BB302_10 Depth=1
	v_ffbh_u32_e32 v0, v0
	v_min_u32_e32 v2, 32, v0
	v_subrev_nc_u32_e32 v0, 28, v2
	v_lshlrev_b64 v[0:1], v0, v[4:5]
	v_sub_nc_u32_e32 v1, 29, v2
	v_and_b32_e32 v0, 7, v0
; %bb.663:                              ;   in Loop: Header=BB302_10 Depth=1
	s_or_b32 exec_lo, exec_lo, s19
	v_mov_b32_e32 v2, 8
	v_lshl_add_u32 v1, v1, 10, 0x2000
	v_lshlrev_b32_e32 v0, 23, v0
	v_lshlrev_b32_sdwa v2, v2, v4 dst_sel:DWORD dst_unused:UNUSED_PAD src0_sel:DWORD src1_sel:WORD_0
	v_and_or_b32 v1, 0x8000, v2, v1
	v_lshl_or_b32 v0, v1, 16, v0
	buffer_store_dword v0, off, s[0:3], s32 offset:500 ; 4-byte Folded Spill
.LBB302_664:                            ;   in Loop: Header=BB302_10 Depth=1
	s_or_b32 exec_lo, exec_lo, s17
.LBB302_665:                            ;   in Loop: Header=BB302_10 Depth=1
	s_or_b32 exec_lo, exec_lo, s12
.LBB302_666:                            ;   in Loop: Header=BB302_10 Depth=1
	s_or_b32 exec_lo, exec_lo, s11
	v_lshrrev_b32_e32 v4, 16, v26
	v_cmp_ne_u16_sdwa s5, v4, v5 src0_sel:BYTE_0 src1_sel:DWORD
	s_and_saveexec_b32 s11, s5
	s_cbranch_execz .LBB302_674
; %bb.667:                              ;   in Loop: Header=BB302_10 Depth=1
	v_cmp_ne_u16_sdwa s5, v4, v99 src0_sel:BYTE_0 src1_sel:DWORD
	v_mov_b32_e32 v0, 0x8000
	buffer_store_dword v0, off, s[0:3], s32 offset:504 ; 4-byte Folded Spill
	s_and_saveexec_b32 s12, s5
	s_cbranch_execz .LBB302_673
; %bb.668:                              ;   in Loop: Header=BB302_10 Depth=1
	v_bfe_u32 v2, v26, 16, 7
	v_mov_b32_e32 v0, 0x7c01
	s_mov_b32 s17, exec_lo
	buffer_store_dword v0, off, s[0:3], s32 offset:504 ; 4-byte Folded Spill
	v_cmpx_ne_u32_e32 0x7f, v2
	s_cbranch_execz .LBB302_672
; %bb.669:                              ;   in Loop: Header=BB302_10 Depth=1
	v_and_b32_e32 v0, 7, v4
	v_lshrrev_b32_e32 v1, 3, v2
	s_mov_b32 s19, exec_lo
	v_cmpx_gt_u32_e32 8, v2
; %bb.670:                              ;   in Loop: Header=BB302_10 Depth=1
	v_ffbh_u32_e32 v0, v0
	v_min_u32_e32 v2, 32, v0
	v_subrev_nc_u32_e32 v0, 28, v2
	v_lshlrev_b64 v[0:1], v0, v[4:5]
	v_sub_nc_u32_e32 v1, 29, v2
	v_and_b32_e32 v0, 7, v0
; %bb.671:                              ;   in Loop: Header=BB302_10 Depth=1
	s_or_b32 exec_lo, exec_lo, s19
	v_lshlrev_b32_e32 v2, 8, v4
	v_lshl_add_u32 v1, v1, 10, 0x2000
	v_lshlrev_b32_e32 v0, 7, v0
	v_and_b32_e32 v2, 0x8000, v2
	v_and_b32_e32 v1, 0xfc00, v1
	v_or3_b32 v0, v2, v1, v0
	buffer_store_dword v0, off, s[0:3], s32 offset:504 ; 4-byte Folded Spill
.LBB302_672:                            ;   in Loop: Header=BB302_10 Depth=1
	s_or_b32 exec_lo, exec_lo, s17
.LBB302_673:                            ;   in Loop: Header=BB302_10 Depth=1
	s_or_b32 exec_lo, exec_lo, s12
.LBB302_674:                            ;   in Loop: Header=BB302_10 Depth=1
	s_or_b32 exec_lo, exec_lo, s11
	v_mov_b32_e32 v0, 0
	s_mov_b32 s11, exec_lo
	buffer_store_dword v0, off, s[0:3], s32 offset:508 ; 4-byte Folded Spill
	v_mov_b32_e32 v0, 0
	buffer_store_dword v0, off, s[0:3], s32 offset:512 ; 4-byte Folded Spill
	v_cmpx_lt_u32_e32 0xffffff, v26
	s_cbranch_execz .LBB302_682
; %bb.675:                              ;   in Loop: Header=BB302_10 Depth=1
	v_lshrrev_b32_e32 v4, 24, v26
	v_bfrev_b32_e32 v0, 1
	s_mov_b32 s12, exec_lo
	buffer_store_dword v0, off, s[0:3], s32 offset:512 ; 4-byte Folded Spill
	v_cmpx_ne_u32_e32 0x80, v4
	s_cbranch_execz .LBB302_681
; %bb.676:                              ;   in Loop: Header=BB302_10 Depth=1
	v_and_b32_e32 v2, 0x7f, v4
	v_mov_b32_e32 v0, 0x7c010000
	s_mov_b32 s17, exec_lo
	buffer_store_dword v0, off, s[0:3], s32 offset:512 ; 4-byte Folded Spill
	v_cmpx_ne_u32_e32 0x7f, v2
	s_cbranch_execz .LBB302_680
; %bb.677:                              ;   in Loop: Header=BB302_10 Depth=1
	v_and_b32_e32 v0, 7, v4
	v_lshrrev_b32_e32 v1, 3, v2
	s_mov_b32 s19, exec_lo
	v_cmpx_gt_u32_e32 8, v2
; %bb.678:                              ;   in Loop: Header=BB302_10 Depth=1
	v_ffbh_u32_e32 v0, v0
	v_min_u32_e32 v2, 32, v0
	v_subrev_nc_u32_e32 v0, 28, v2
	v_lshlrev_b64 v[0:1], v0, v[4:5]
	v_sub_nc_u32_e32 v1, 29, v2
	v_and_b32_e32 v0, 7, v0
; %bb.679:                              ;   in Loop: Header=BB302_10 Depth=1
	s_or_b32 exec_lo, exec_lo, s19
	v_lshlrev_b32_e32 v2, 8, v4
	v_lshl_add_u32 v1, v1, 10, 0x2000
	v_lshlrev_b32_e32 v0, 23, v0
	v_and_or_b32 v1, 0x8000, v2, v1
	v_lshl_or_b32 v0, v1, 16, v0
	buffer_store_dword v0, off, s[0:3], s32 offset:512 ; 4-byte Folded Spill
.LBB302_680:                            ;   in Loop: Header=BB302_10 Depth=1
	s_or_b32 exec_lo, exec_lo, s17
.LBB302_681:                            ;   in Loop: Header=BB302_10 Depth=1
	s_or_b32 exec_lo, exec_lo, s12
.LBB302_682:                            ;   in Loop: Header=BB302_10 Depth=1
	s_or_b32 exec_lo, exec_lo, s11
	v_mov_b32_e32 v4, v27
	v_cmp_ne_u16_sdwa s5, v27, v5 src0_sel:BYTE_0 src1_sel:DWORD
	s_and_saveexec_b32 s11, s5
	s_cbranch_execz .LBB302_690
; %bb.683:                              ;   in Loop: Header=BB302_10 Depth=1
	v_cmp_ne_u16_sdwa s5, v27, v99 src0_sel:BYTE_0 src1_sel:DWORD
	v_mov_b32_e32 v0, 0x8000
	buffer_store_dword v0, off, s[0:3], s32 offset:508 ; 4-byte Folded Spill
	s_and_saveexec_b32 s12, s5
	s_cbranch_execz .LBB302_689
; %bb.684:                              ;   in Loop: Header=BB302_10 Depth=1
	v_and_b32_e32 v2, 0x7f, v27
	v_mov_b32_e32 v0, 0x7c01
	s_mov_b32 s17, exec_lo
	buffer_store_dword v0, off, s[0:3], s32 offset:508 ; 4-byte Folded Spill
	v_cmpx_ne_u32_e32 0x7f, v2
	s_cbranch_execz .LBB302_688
; %bb.685:                              ;   in Loop: Header=BB302_10 Depth=1
	v_and_b32_e32 v0, 7, v27
	v_lshrrev_b32_e32 v1, 3, v2
	s_mov_b32 s19, exec_lo
	v_cmpx_gt_u32_e32 8, v2
; %bb.686:                              ;   in Loop: Header=BB302_10 Depth=1
	v_ffbh_u32_e32 v0, v0
	v_min_u32_e32 v2, 32, v0
	v_subrev_nc_u32_e32 v0, 28, v2
	v_lshlrev_b64 v[0:1], v0, v[4:5]
	v_sub_nc_u32_e32 v1, 29, v2
	v_and_b32_e32 v0, 7, v0
; %bb.687:                              ;   in Loop: Header=BB302_10 Depth=1
	s_or_b32 exec_lo, exec_lo, s19
	v_lshlrev_b32_e32 v2, 8, v27
	v_lshl_add_u32 v1, v1, 10, 0x2000
	v_lshlrev_b32_e32 v0, 7, v0
	v_and_b32_e32 v2, 0x8000, v2
	v_and_b32_e32 v1, 0xfc00, v1
	v_or3_b32 v0, v2, v1, v0
	buffer_store_dword v0, off, s[0:3], s32 offset:508 ; 4-byte Folded Spill
.LBB302_688:                            ;   in Loop: Header=BB302_10 Depth=1
	s_or_b32 exec_lo, exec_lo, s17
.LBB302_689:                            ;   in Loop: Header=BB302_10 Depth=1
	s_or_b32 exec_lo, exec_lo, s12
.LBB302_690:                            ;   in Loop: Header=BB302_10 Depth=1
	s_or_b32 exec_lo, exec_lo, s11
	v_mov_b32_e32 v0, 0
	v_lshrrev_b16 v4, 8, v4
	s_mov_b32 s11, exec_lo
	buffer_store_dword v0, off, s[0:3], s32 offset:516 ; 4-byte Folded Spill
	v_mov_b32_e32 v0, 0
	buffer_store_dword v0, off, s[0:3], s32 offset:520 ; 4-byte Folded Spill
	v_cmpx_ne_u16_e32 0, v4
	s_cbranch_execz .LBB302_698
; %bb.691:                              ;   in Loop: Header=BB302_10 Depth=1
	v_bfrev_b32_e32 v0, 1
	s_mov_b32 s12, exec_lo
	buffer_store_dword v0, off, s[0:3], s32 offset:520 ; 4-byte Folded Spill
	v_cmpx_ne_u16_e32 0x80, v4
	s_cbranch_execz .LBB302_697
; %bb.692:                              ;   in Loop: Header=BB302_10 Depth=1
	v_mov_b32_e32 v0, 0x7f
	s_mov_b32 s17, exec_lo
	v_and_b32_sdwa v2, v4, v0 dst_sel:DWORD dst_unused:UNUSED_PAD src0_sel:WORD_0 src1_sel:DWORD
	v_mov_b32_e32 v0, 0x7c010000
	buffer_store_dword v0, off, s[0:3], s32 offset:520 ; 4-byte Folded Spill
	v_cmpx_ne_u32_e32 0x7f, v2
	s_cbranch_execz .LBB302_696
; %bb.693:                              ;   in Loop: Header=BB302_10 Depth=1
	v_mov_b32_e32 v0, 7
	v_lshrrev_b32_e32 v1, 3, v2
	s_mov_b32 s19, exec_lo
	v_and_b32_sdwa v0, v4, v0 dst_sel:DWORD dst_unused:UNUSED_PAD src0_sel:WORD_0 src1_sel:DWORD
	v_cmpx_gt_u32_e32 8, v2
; %bb.694:                              ;   in Loop: Header=BB302_10 Depth=1
	v_ffbh_u32_e32 v0, v0
	v_min_u32_e32 v2, 32, v0
	v_subrev_nc_u32_e32 v0, 28, v2
	v_lshlrev_b64 v[0:1], v0, v[4:5]
	v_sub_nc_u32_e32 v1, 29, v2
	v_and_b32_e32 v0, 7, v0
; %bb.695:                              ;   in Loop: Header=BB302_10 Depth=1
	s_or_b32 exec_lo, exec_lo, s19
	v_mov_b32_e32 v2, 8
	v_lshl_add_u32 v1, v1, 10, 0x2000
	v_lshlrev_b32_e32 v0, 23, v0
	v_lshlrev_b32_sdwa v2, v2, v4 dst_sel:DWORD dst_unused:UNUSED_PAD src0_sel:DWORD src1_sel:WORD_0
	v_and_or_b32 v1, 0x8000, v2, v1
	v_lshl_or_b32 v0, v1, 16, v0
	buffer_store_dword v0, off, s[0:3], s32 offset:520 ; 4-byte Folded Spill
.LBB302_696:                            ;   in Loop: Header=BB302_10 Depth=1
	s_or_b32 exec_lo, exec_lo, s17
.LBB302_697:                            ;   in Loop: Header=BB302_10 Depth=1
	s_or_b32 exec_lo, exec_lo, s12
.LBB302_698:                            ;   in Loop: Header=BB302_10 Depth=1
	s_or_b32 exec_lo, exec_lo, s11
	v_lshrrev_b32_e32 v4, 16, v27
	v_cmp_ne_u16_sdwa s5, v4, v5 src0_sel:BYTE_0 src1_sel:DWORD
	s_and_saveexec_b32 s11, s5
	s_cbranch_execz .LBB302_706
; %bb.699:                              ;   in Loop: Header=BB302_10 Depth=1
	v_cmp_ne_u16_sdwa s5, v4, v99 src0_sel:BYTE_0 src1_sel:DWORD
	v_mov_b32_e32 v0, 0x8000
	buffer_store_dword v0, off, s[0:3], s32 offset:516 ; 4-byte Folded Spill
	s_and_saveexec_b32 s12, s5
	s_cbranch_execz .LBB302_705
; %bb.700:                              ;   in Loop: Header=BB302_10 Depth=1
	v_bfe_u32 v2, v27, 16, 7
	v_mov_b32_e32 v0, 0x7c01
	s_mov_b32 s17, exec_lo
	buffer_store_dword v0, off, s[0:3], s32 offset:516 ; 4-byte Folded Spill
	v_cmpx_ne_u32_e32 0x7f, v2
	s_cbranch_execz .LBB302_704
; %bb.701:                              ;   in Loop: Header=BB302_10 Depth=1
	v_and_b32_e32 v0, 7, v4
	v_lshrrev_b32_e32 v1, 3, v2
	s_mov_b32 s19, exec_lo
	v_cmpx_gt_u32_e32 8, v2
; %bb.702:                              ;   in Loop: Header=BB302_10 Depth=1
	v_ffbh_u32_e32 v0, v0
	v_min_u32_e32 v2, 32, v0
	v_subrev_nc_u32_e32 v0, 28, v2
	v_lshlrev_b64 v[0:1], v0, v[4:5]
	v_sub_nc_u32_e32 v1, 29, v2
	v_and_b32_e32 v0, 7, v0
; %bb.703:                              ;   in Loop: Header=BB302_10 Depth=1
	s_or_b32 exec_lo, exec_lo, s19
	v_lshlrev_b32_e32 v2, 8, v4
	v_lshl_add_u32 v1, v1, 10, 0x2000
	v_lshlrev_b32_e32 v0, 7, v0
	v_and_b32_e32 v2, 0x8000, v2
	v_and_b32_e32 v1, 0xfc00, v1
	v_or3_b32 v0, v2, v1, v0
	buffer_store_dword v0, off, s[0:3], s32 offset:516 ; 4-byte Folded Spill
.LBB302_704:                            ;   in Loop: Header=BB302_10 Depth=1
	s_or_b32 exec_lo, exec_lo, s17
.LBB302_705:                            ;   in Loop: Header=BB302_10 Depth=1
	s_or_b32 exec_lo, exec_lo, s12
.LBB302_706:                            ;   in Loop: Header=BB302_10 Depth=1
	s_or_b32 exec_lo, exec_lo, s11
	v_mov_b32_e32 v0, 0
	s_mov_b32 s11, exec_lo
	buffer_store_dword v0, off, s[0:3], s32 offset:524 ; 4-byte Folded Spill
	v_mov_b32_e32 v0, 0
	buffer_store_dword v0, off, s[0:3], s32 offset:756 ; 4-byte Folded Spill
	v_cmpx_lt_u64_e64 s[6:7], v[26:27]
	s_cbranch_execz .LBB302_714
; %bb.707:                              ;   in Loop: Header=BB302_10 Depth=1
	v_lshrrev_b32_e32 v4, 24, v27
	v_bfrev_b32_e32 v0, 1
	s_mov_b32 s12, exec_lo
	v_cmpx_ne_u32_e32 0x80, v4
	s_cbranch_execz .LBB302_713
; %bb.708:                              ;   in Loop: Header=BB302_10 Depth=1
	v_and_b32_e32 v2, 0x7f, v4
	v_mov_b32_e32 v0, 0x7c010000
	s_mov_b32 s17, exec_lo
	v_cmpx_ne_u32_e32 0x7f, v2
	s_cbranch_execz .LBB302_712
; %bb.709:                              ;   in Loop: Header=BB302_10 Depth=1
	v_and_b32_e32 v0, 7, v4
	v_lshrrev_b32_e32 v1, 3, v2
	s_mov_b32 s19, exec_lo
	v_cmpx_gt_u32_e32 8, v2
; %bb.710:                              ;   in Loop: Header=BB302_10 Depth=1
	v_ffbh_u32_e32 v0, v0
	v_min_u32_e32 v2, 32, v0
	v_subrev_nc_u32_e32 v0, 28, v2
	v_lshlrev_b64 v[0:1], v0, v[4:5]
	v_sub_nc_u32_e32 v1, 29, v2
	v_and_b32_e32 v0, 7, v0
; %bb.711:                              ;   in Loop: Header=BB302_10 Depth=1
	s_or_b32 exec_lo, exec_lo, s19
	v_lshlrev_b32_e32 v2, 8, v4
	v_lshl_add_u32 v1, v1, 10, 0x2000
	v_lshlrev_b32_e32 v0, 23, v0
	v_and_or_b32 v1, 0x8000, v2, v1
	v_lshl_or_b32 v0, v1, 16, v0
.LBB302_712:                            ;   in Loop: Header=BB302_10 Depth=1
	s_or_b32 exec_lo, exec_lo, s17
.LBB302_713:                            ;   in Loop: Header=BB302_10 Depth=1
	s_or_b32 exec_lo, exec_lo, s12
	buffer_store_dword v0, off, s[0:3], s32 offset:756 ; 4-byte Folded Spill
.LBB302_714:                            ;   in Loop: Header=BB302_10 Depth=1
	s_or_b32 exec_lo, exec_lo, s11
	flat_load_dwordx2 v[26:27], v[24:25] offset:520
	s_waitcnt vmcnt(0) lgkmcnt(0)
	v_cmp_ne_u16_sdwa s5, v26, v5 src0_sel:BYTE_0 src1_sel:DWORD
	s_and_saveexec_b32 s11, s5
	s_cbranch_execz .LBB302_722
; %bb.715:                              ;   in Loop: Header=BB302_10 Depth=1
	v_cmp_ne_u16_sdwa s5, v26, v99 src0_sel:BYTE_0 src1_sel:DWORD
	v_mov_b32_e32 v0, 0x8000
	buffer_store_dword v0, off, s[0:3], s32 offset:524 ; 4-byte Folded Spill
	s_and_saveexec_b32 s12, s5
	s_cbranch_execz .LBB302_721
; %bb.716:                              ;   in Loop: Header=BB302_10 Depth=1
	v_and_b32_e32 v2, 0x7f, v26
	v_mov_b32_e32 v0, 0x7c01
	s_mov_b32 s17, exec_lo
	buffer_store_dword v0, off, s[0:3], s32 offset:524 ; 4-byte Folded Spill
	v_cmpx_ne_u32_e32 0x7f, v2
	s_cbranch_execz .LBB302_720
; %bb.717:                              ;   in Loop: Header=BB302_10 Depth=1
	v_and_b32_e32 v0, 7, v26
	v_lshrrev_b32_e32 v1, 3, v2
	s_mov_b32 s19, exec_lo
	v_cmpx_gt_u32_e32 8, v2
; %bb.718:                              ;   in Loop: Header=BB302_10 Depth=1
	v_ffbh_u32_e32 v0, v0
	v_min_u32_e32 v2, 32, v0
	v_subrev_nc_u32_e32 v0, 28, v2
	v_lshlrev_b64 v[0:1], v0, v[26:27]
	v_sub_nc_u32_e32 v1, 29, v2
	v_and_b32_e32 v0, 7, v0
; %bb.719:                              ;   in Loop: Header=BB302_10 Depth=1
	s_or_b32 exec_lo, exec_lo, s19
	v_lshlrev_b32_e32 v2, 8, v26
	v_lshl_add_u32 v1, v1, 10, 0x2000
	v_lshlrev_b32_e32 v0, 7, v0
	v_and_b32_e32 v2, 0x8000, v2
	v_and_b32_e32 v1, 0xfc00, v1
	v_or3_b32 v0, v2, v1, v0
	buffer_store_dword v0, off, s[0:3], s32 offset:524 ; 4-byte Folded Spill
.LBB302_720:                            ;   in Loop: Header=BB302_10 Depth=1
	s_or_b32 exec_lo, exec_lo, s17
.LBB302_721:                            ;   in Loop: Header=BB302_10 Depth=1
	s_or_b32 exec_lo, exec_lo, s12
.LBB302_722:                            ;   in Loop: Header=BB302_10 Depth=1
	s_or_b32 exec_lo, exec_lo, s11
	v_mov_b32_e32 v0, 0
	v_lshrrev_b16 v4, 8, v26
	s_mov_b32 s11, exec_lo
	buffer_store_dword v0, off, s[0:3], s32 offset:532 ; 4-byte Folded Spill
	v_mov_b32_e32 v0, 0
	buffer_store_dword v0, off, s[0:3], s32 offset:528 ; 4-byte Folded Spill
	v_cmpx_ne_u16_e32 0, v4
	s_cbranch_execz .LBB302_730
; %bb.723:                              ;   in Loop: Header=BB302_10 Depth=1
	v_bfrev_b32_e32 v0, 1
	s_mov_b32 s12, exec_lo
	buffer_store_dword v0, off, s[0:3], s32 offset:528 ; 4-byte Folded Spill
	v_cmpx_ne_u16_e32 0x80, v4
	s_cbranch_execz .LBB302_729
; %bb.724:                              ;   in Loop: Header=BB302_10 Depth=1
	v_mov_b32_e32 v0, 0x7f
	s_mov_b32 s17, exec_lo
	v_and_b32_sdwa v2, v4, v0 dst_sel:DWORD dst_unused:UNUSED_PAD src0_sel:WORD_0 src1_sel:DWORD
	v_mov_b32_e32 v0, 0x7c010000
	buffer_store_dword v0, off, s[0:3], s32 offset:528 ; 4-byte Folded Spill
	v_cmpx_ne_u32_e32 0x7f, v2
	s_cbranch_execz .LBB302_728
; %bb.725:                              ;   in Loop: Header=BB302_10 Depth=1
	v_mov_b32_e32 v0, 7
	v_lshrrev_b32_e32 v1, 3, v2
	s_mov_b32 s19, exec_lo
	v_and_b32_sdwa v0, v4, v0 dst_sel:DWORD dst_unused:UNUSED_PAD src0_sel:WORD_0 src1_sel:DWORD
	v_cmpx_gt_u32_e32 8, v2
; %bb.726:                              ;   in Loop: Header=BB302_10 Depth=1
	v_ffbh_u32_e32 v0, v0
	v_min_u32_e32 v2, 32, v0
	v_subrev_nc_u32_e32 v0, 28, v2
	v_lshlrev_b64 v[0:1], v0, v[4:5]
	v_sub_nc_u32_e32 v1, 29, v2
	v_and_b32_e32 v0, 7, v0
; %bb.727:                              ;   in Loop: Header=BB302_10 Depth=1
	s_or_b32 exec_lo, exec_lo, s19
	v_mov_b32_e32 v2, 8
	v_lshl_add_u32 v1, v1, 10, 0x2000
	v_lshlrev_b32_e32 v0, 23, v0
	v_lshlrev_b32_sdwa v2, v2, v4 dst_sel:DWORD dst_unused:UNUSED_PAD src0_sel:DWORD src1_sel:WORD_0
	v_and_or_b32 v1, 0x8000, v2, v1
	v_lshl_or_b32 v0, v1, 16, v0
	buffer_store_dword v0, off, s[0:3], s32 offset:528 ; 4-byte Folded Spill
.LBB302_728:                            ;   in Loop: Header=BB302_10 Depth=1
	s_or_b32 exec_lo, exec_lo, s17
.LBB302_729:                            ;   in Loop: Header=BB302_10 Depth=1
	s_or_b32 exec_lo, exec_lo, s12
.LBB302_730:                            ;   in Loop: Header=BB302_10 Depth=1
	s_or_b32 exec_lo, exec_lo, s11
	v_lshrrev_b32_e32 v4, 16, v26
	v_cmp_ne_u16_sdwa s5, v4, v5 src0_sel:BYTE_0 src1_sel:DWORD
	s_and_saveexec_b32 s11, s5
	s_cbranch_execz .LBB302_738
; %bb.731:                              ;   in Loop: Header=BB302_10 Depth=1
	v_cmp_ne_u16_sdwa s5, v4, v99 src0_sel:BYTE_0 src1_sel:DWORD
	v_mov_b32_e32 v0, 0x8000
	buffer_store_dword v0, off, s[0:3], s32 offset:532 ; 4-byte Folded Spill
	s_and_saveexec_b32 s12, s5
	s_cbranch_execz .LBB302_737
; %bb.732:                              ;   in Loop: Header=BB302_10 Depth=1
	v_bfe_u32 v2, v26, 16, 7
	v_mov_b32_e32 v0, 0x7c01
	s_mov_b32 s17, exec_lo
	buffer_store_dword v0, off, s[0:3], s32 offset:532 ; 4-byte Folded Spill
	v_cmpx_ne_u32_e32 0x7f, v2
	s_cbranch_execz .LBB302_736
; %bb.733:                              ;   in Loop: Header=BB302_10 Depth=1
	v_and_b32_e32 v0, 7, v4
	v_lshrrev_b32_e32 v1, 3, v2
	s_mov_b32 s19, exec_lo
	v_cmpx_gt_u32_e32 8, v2
; %bb.734:                              ;   in Loop: Header=BB302_10 Depth=1
	v_ffbh_u32_e32 v0, v0
	v_min_u32_e32 v2, 32, v0
	v_subrev_nc_u32_e32 v0, 28, v2
	v_lshlrev_b64 v[0:1], v0, v[4:5]
	v_sub_nc_u32_e32 v1, 29, v2
	v_and_b32_e32 v0, 7, v0
; %bb.735:                              ;   in Loop: Header=BB302_10 Depth=1
	s_or_b32 exec_lo, exec_lo, s19
	v_lshlrev_b32_e32 v2, 8, v4
	v_lshl_add_u32 v1, v1, 10, 0x2000
	v_lshlrev_b32_e32 v0, 7, v0
	v_and_b32_e32 v2, 0x8000, v2
	v_and_b32_e32 v1, 0xfc00, v1
	v_or3_b32 v0, v2, v1, v0
	buffer_store_dword v0, off, s[0:3], s32 offset:532 ; 4-byte Folded Spill
.LBB302_736:                            ;   in Loop: Header=BB302_10 Depth=1
	s_or_b32 exec_lo, exec_lo, s17
.LBB302_737:                            ;   in Loop: Header=BB302_10 Depth=1
	s_or_b32 exec_lo, exec_lo, s12
.LBB302_738:                            ;   in Loop: Header=BB302_10 Depth=1
	s_or_b32 exec_lo, exec_lo, s11
	v_mov_b32_e32 v0, 0
	s_mov_b32 s11, exec_lo
	buffer_store_dword v0, off, s[0:3], s32 offset:536 ; 4-byte Folded Spill
	v_mov_b32_e32 v0, 0
	buffer_store_dword v0, off, s[0:3], s32 offset:540 ; 4-byte Folded Spill
	v_cmpx_lt_u32_e32 0xffffff, v26
	s_cbranch_execz .LBB302_746
; %bb.739:                              ;   in Loop: Header=BB302_10 Depth=1
	v_lshrrev_b32_e32 v4, 24, v26
	v_bfrev_b32_e32 v0, 1
	s_mov_b32 s12, exec_lo
	buffer_store_dword v0, off, s[0:3], s32 offset:540 ; 4-byte Folded Spill
	v_cmpx_ne_u32_e32 0x80, v4
	s_cbranch_execz .LBB302_745
; %bb.740:                              ;   in Loop: Header=BB302_10 Depth=1
	v_and_b32_e32 v2, 0x7f, v4
	v_mov_b32_e32 v0, 0x7c010000
	s_mov_b32 s17, exec_lo
	buffer_store_dword v0, off, s[0:3], s32 offset:540 ; 4-byte Folded Spill
	v_cmpx_ne_u32_e32 0x7f, v2
	s_cbranch_execz .LBB302_744
; %bb.741:                              ;   in Loop: Header=BB302_10 Depth=1
	v_and_b32_e32 v0, 7, v4
	v_lshrrev_b32_e32 v1, 3, v2
	s_mov_b32 s19, exec_lo
	v_cmpx_gt_u32_e32 8, v2
; %bb.742:                              ;   in Loop: Header=BB302_10 Depth=1
	v_ffbh_u32_e32 v0, v0
	v_min_u32_e32 v2, 32, v0
	v_subrev_nc_u32_e32 v0, 28, v2
	v_lshlrev_b64 v[0:1], v0, v[4:5]
	v_sub_nc_u32_e32 v1, 29, v2
	v_and_b32_e32 v0, 7, v0
; %bb.743:                              ;   in Loop: Header=BB302_10 Depth=1
	s_or_b32 exec_lo, exec_lo, s19
	v_lshlrev_b32_e32 v2, 8, v4
	v_lshl_add_u32 v1, v1, 10, 0x2000
	v_lshlrev_b32_e32 v0, 23, v0
	v_and_or_b32 v1, 0x8000, v2, v1
	v_lshl_or_b32 v0, v1, 16, v0
	buffer_store_dword v0, off, s[0:3], s32 offset:540 ; 4-byte Folded Spill
.LBB302_744:                            ;   in Loop: Header=BB302_10 Depth=1
	s_or_b32 exec_lo, exec_lo, s17
.LBB302_745:                            ;   in Loop: Header=BB302_10 Depth=1
	s_or_b32 exec_lo, exec_lo, s12
.LBB302_746:                            ;   in Loop: Header=BB302_10 Depth=1
	s_or_b32 exec_lo, exec_lo, s11
	v_mov_b32_e32 v4, v27
	v_cmp_ne_u16_sdwa s5, v27, v5 src0_sel:BYTE_0 src1_sel:DWORD
	s_and_saveexec_b32 s11, s5
	s_cbranch_execz .LBB302_754
; %bb.747:                              ;   in Loop: Header=BB302_10 Depth=1
	v_cmp_ne_u16_sdwa s5, v27, v99 src0_sel:BYTE_0 src1_sel:DWORD
	v_mov_b32_e32 v0, 0x8000
	buffer_store_dword v0, off, s[0:3], s32 offset:536 ; 4-byte Folded Spill
	s_and_saveexec_b32 s12, s5
	s_cbranch_execz .LBB302_753
; %bb.748:                              ;   in Loop: Header=BB302_10 Depth=1
	v_and_b32_e32 v2, 0x7f, v27
	v_mov_b32_e32 v0, 0x7c01
	s_mov_b32 s17, exec_lo
	buffer_store_dword v0, off, s[0:3], s32 offset:536 ; 4-byte Folded Spill
	v_cmpx_ne_u32_e32 0x7f, v2
	s_cbranch_execz .LBB302_752
; %bb.749:                              ;   in Loop: Header=BB302_10 Depth=1
	v_and_b32_e32 v0, 7, v27
	v_lshrrev_b32_e32 v1, 3, v2
	s_mov_b32 s19, exec_lo
	v_cmpx_gt_u32_e32 8, v2
; %bb.750:                              ;   in Loop: Header=BB302_10 Depth=1
	v_ffbh_u32_e32 v0, v0
	v_min_u32_e32 v2, 32, v0
	v_subrev_nc_u32_e32 v0, 28, v2
	v_lshlrev_b64 v[0:1], v0, v[4:5]
	v_sub_nc_u32_e32 v1, 29, v2
	v_and_b32_e32 v0, 7, v0
; %bb.751:                              ;   in Loop: Header=BB302_10 Depth=1
	s_or_b32 exec_lo, exec_lo, s19
	v_lshlrev_b32_e32 v2, 8, v27
	v_lshl_add_u32 v1, v1, 10, 0x2000
	v_lshlrev_b32_e32 v0, 7, v0
	v_and_b32_e32 v2, 0x8000, v2
	v_and_b32_e32 v1, 0xfc00, v1
	v_or3_b32 v0, v2, v1, v0
	buffer_store_dword v0, off, s[0:3], s32 offset:536 ; 4-byte Folded Spill
.LBB302_752:                            ;   in Loop: Header=BB302_10 Depth=1
	s_or_b32 exec_lo, exec_lo, s17
.LBB302_753:                            ;   in Loop: Header=BB302_10 Depth=1
	s_or_b32 exec_lo, exec_lo, s12
.LBB302_754:                            ;   in Loop: Header=BB302_10 Depth=1
	s_or_b32 exec_lo, exec_lo, s11
	v_mov_b32_e32 v0, 0
	v_lshrrev_b16 v4, 8, v4
	s_mov_b32 s11, exec_lo
	buffer_store_dword v0, off, s[0:3], s32 offset:544 ; 4-byte Folded Spill
	v_mov_b32_e32 v0, 0
	buffer_store_dword v0, off, s[0:3], s32 offset:548 ; 4-byte Folded Spill
	v_cmpx_ne_u16_e32 0, v4
	s_cbranch_execz .LBB302_762
; %bb.755:                              ;   in Loop: Header=BB302_10 Depth=1
	v_bfrev_b32_e32 v0, 1
	s_mov_b32 s12, exec_lo
	buffer_store_dword v0, off, s[0:3], s32 offset:548 ; 4-byte Folded Spill
	v_cmpx_ne_u16_e32 0x80, v4
	s_cbranch_execz .LBB302_761
; %bb.756:                              ;   in Loop: Header=BB302_10 Depth=1
	v_mov_b32_e32 v0, 0x7f
	s_mov_b32 s17, exec_lo
	v_and_b32_sdwa v2, v4, v0 dst_sel:DWORD dst_unused:UNUSED_PAD src0_sel:WORD_0 src1_sel:DWORD
	v_mov_b32_e32 v0, 0x7c010000
	buffer_store_dword v0, off, s[0:3], s32 offset:548 ; 4-byte Folded Spill
	v_cmpx_ne_u32_e32 0x7f, v2
	s_cbranch_execz .LBB302_760
; %bb.757:                              ;   in Loop: Header=BB302_10 Depth=1
	v_mov_b32_e32 v0, 7
	v_lshrrev_b32_e32 v1, 3, v2
	s_mov_b32 s19, exec_lo
	v_and_b32_sdwa v0, v4, v0 dst_sel:DWORD dst_unused:UNUSED_PAD src0_sel:WORD_0 src1_sel:DWORD
	v_cmpx_gt_u32_e32 8, v2
; %bb.758:                              ;   in Loop: Header=BB302_10 Depth=1
	v_ffbh_u32_e32 v0, v0
	v_min_u32_e32 v2, 32, v0
	v_subrev_nc_u32_e32 v0, 28, v2
	v_lshlrev_b64 v[0:1], v0, v[4:5]
	v_sub_nc_u32_e32 v1, 29, v2
	v_and_b32_e32 v0, 7, v0
; %bb.759:                              ;   in Loop: Header=BB302_10 Depth=1
	s_or_b32 exec_lo, exec_lo, s19
	v_mov_b32_e32 v2, 8
	v_lshl_add_u32 v1, v1, 10, 0x2000
	v_lshlrev_b32_e32 v0, 23, v0
	v_lshlrev_b32_sdwa v2, v2, v4 dst_sel:DWORD dst_unused:UNUSED_PAD src0_sel:DWORD src1_sel:WORD_0
	v_and_or_b32 v1, 0x8000, v2, v1
	v_lshl_or_b32 v0, v1, 16, v0
	buffer_store_dword v0, off, s[0:3], s32 offset:548 ; 4-byte Folded Spill
.LBB302_760:                            ;   in Loop: Header=BB302_10 Depth=1
	s_or_b32 exec_lo, exec_lo, s17
.LBB302_761:                            ;   in Loop: Header=BB302_10 Depth=1
	s_or_b32 exec_lo, exec_lo, s12
.LBB302_762:                            ;   in Loop: Header=BB302_10 Depth=1
	s_or_b32 exec_lo, exec_lo, s11
	v_lshrrev_b32_e32 v4, 16, v27
	v_cmp_ne_u16_sdwa s5, v4, v5 src0_sel:BYTE_0 src1_sel:DWORD
	s_and_saveexec_b32 s11, s5
	s_cbranch_execz .LBB302_770
; %bb.763:                              ;   in Loop: Header=BB302_10 Depth=1
	v_cmp_ne_u16_sdwa s5, v4, v99 src0_sel:BYTE_0 src1_sel:DWORD
	v_mov_b32_e32 v0, 0x8000
	buffer_store_dword v0, off, s[0:3], s32 offset:544 ; 4-byte Folded Spill
	s_and_saveexec_b32 s12, s5
	s_cbranch_execz .LBB302_769
; %bb.764:                              ;   in Loop: Header=BB302_10 Depth=1
	v_bfe_u32 v2, v27, 16, 7
	v_mov_b32_e32 v0, 0x7c01
	s_mov_b32 s17, exec_lo
	buffer_store_dword v0, off, s[0:3], s32 offset:544 ; 4-byte Folded Spill
	v_cmpx_ne_u32_e32 0x7f, v2
	s_cbranch_execz .LBB302_768
; %bb.765:                              ;   in Loop: Header=BB302_10 Depth=1
	v_and_b32_e32 v0, 7, v4
	v_lshrrev_b32_e32 v1, 3, v2
	s_mov_b32 s19, exec_lo
	v_cmpx_gt_u32_e32 8, v2
; %bb.766:                              ;   in Loop: Header=BB302_10 Depth=1
	v_ffbh_u32_e32 v0, v0
	v_min_u32_e32 v2, 32, v0
	v_subrev_nc_u32_e32 v0, 28, v2
	v_lshlrev_b64 v[0:1], v0, v[4:5]
	v_sub_nc_u32_e32 v1, 29, v2
	v_and_b32_e32 v0, 7, v0
; %bb.767:                              ;   in Loop: Header=BB302_10 Depth=1
	s_or_b32 exec_lo, exec_lo, s19
	v_lshlrev_b32_e32 v2, 8, v4
	v_lshl_add_u32 v1, v1, 10, 0x2000
	v_lshlrev_b32_e32 v0, 7, v0
	v_and_b32_e32 v2, 0x8000, v2
	v_and_b32_e32 v1, 0xfc00, v1
	v_or3_b32 v0, v2, v1, v0
	buffer_store_dword v0, off, s[0:3], s32 offset:544 ; 4-byte Folded Spill
.LBB302_768:                            ;   in Loop: Header=BB302_10 Depth=1
	s_or_b32 exec_lo, exec_lo, s17
.LBB302_769:                            ;   in Loop: Header=BB302_10 Depth=1
	s_or_b32 exec_lo, exec_lo, s12
.LBB302_770:                            ;   in Loop: Header=BB302_10 Depth=1
	s_or_b32 exec_lo, exec_lo, s11
	v_mov_b32_e32 v0, 0
	s_mov_b32 s11, exec_lo
	buffer_store_dword v0, off, s[0:3], s32 offset:552 ; 4-byte Folded Spill
	v_mov_b32_e32 v0, 0
	buffer_store_dword v0, off, s[0:3], s32 offset:760 ; 4-byte Folded Spill
	v_cmpx_lt_u64_e64 s[6:7], v[26:27]
	s_cbranch_execz .LBB302_778
; %bb.771:                              ;   in Loop: Header=BB302_10 Depth=1
	v_lshrrev_b32_e32 v4, 24, v27
	v_bfrev_b32_e32 v0, 1
	s_mov_b32 s12, exec_lo
	v_cmpx_ne_u32_e32 0x80, v4
	s_cbranch_execz .LBB302_777
; %bb.772:                              ;   in Loop: Header=BB302_10 Depth=1
	v_and_b32_e32 v2, 0x7f, v4
	v_mov_b32_e32 v0, 0x7c010000
	s_mov_b32 s17, exec_lo
	v_cmpx_ne_u32_e32 0x7f, v2
	s_cbranch_execz .LBB302_776
; %bb.773:                              ;   in Loop: Header=BB302_10 Depth=1
	v_and_b32_e32 v0, 7, v4
	v_lshrrev_b32_e32 v1, 3, v2
	s_mov_b32 s19, exec_lo
	v_cmpx_gt_u32_e32 8, v2
; %bb.774:                              ;   in Loop: Header=BB302_10 Depth=1
	v_ffbh_u32_e32 v0, v0
	v_min_u32_e32 v2, 32, v0
	v_subrev_nc_u32_e32 v0, 28, v2
	v_lshlrev_b64 v[0:1], v0, v[4:5]
	v_sub_nc_u32_e32 v1, 29, v2
	v_and_b32_e32 v0, 7, v0
; %bb.775:                              ;   in Loop: Header=BB302_10 Depth=1
	s_or_b32 exec_lo, exec_lo, s19
	v_lshlrev_b32_e32 v2, 8, v4
	v_lshl_add_u32 v1, v1, 10, 0x2000
	v_lshlrev_b32_e32 v0, 23, v0
	v_and_or_b32 v1, 0x8000, v2, v1
	v_lshl_or_b32 v0, v1, 16, v0
.LBB302_776:                            ;   in Loop: Header=BB302_10 Depth=1
	s_or_b32 exec_lo, exec_lo, s17
.LBB302_777:                            ;   in Loop: Header=BB302_10 Depth=1
	s_or_b32 exec_lo, exec_lo, s12
	buffer_store_dword v0, off, s[0:3], s32 offset:760 ; 4-byte Folded Spill
.LBB302_778:                            ;   in Loop: Header=BB302_10 Depth=1
	s_or_b32 exec_lo, exec_lo, s11
	flat_load_dwordx2 v[26:27], v[24:25] offset:1024
	s_waitcnt vmcnt(0) lgkmcnt(0)
	v_cmp_ne_u16_sdwa s5, v26, v5 src0_sel:BYTE_0 src1_sel:DWORD
	s_and_saveexec_b32 s11, s5
	s_cbranch_execz .LBB302_786
; %bb.779:                              ;   in Loop: Header=BB302_10 Depth=1
	v_cmp_ne_u16_sdwa s5, v26, v99 src0_sel:BYTE_0 src1_sel:DWORD
	v_mov_b32_e32 v0, 0x8000
	buffer_store_dword v0, off, s[0:3], s32 offset:552 ; 4-byte Folded Spill
	s_and_saveexec_b32 s12, s5
	s_cbranch_execz .LBB302_785
; %bb.780:                              ;   in Loop: Header=BB302_10 Depth=1
	v_and_b32_e32 v2, 0x7f, v26
	v_mov_b32_e32 v0, 0x7c01
	s_mov_b32 s17, exec_lo
	buffer_store_dword v0, off, s[0:3], s32 offset:552 ; 4-byte Folded Spill
	v_cmpx_ne_u32_e32 0x7f, v2
	s_cbranch_execz .LBB302_784
; %bb.781:                              ;   in Loop: Header=BB302_10 Depth=1
	v_and_b32_e32 v0, 7, v26
	v_lshrrev_b32_e32 v1, 3, v2
	s_mov_b32 s19, exec_lo
	v_cmpx_gt_u32_e32 8, v2
; %bb.782:                              ;   in Loop: Header=BB302_10 Depth=1
	v_ffbh_u32_e32 v0, v0
	v_min_u32_e32 v2, 32, v0
	v_subrev_nc_u32_e32 v0, 28, v2
	v_lshlrev_b64 v[0:1], v0, v[26:27]
	v_sub_nc_u32_e32 v1, 29, v2
	v_and_b32_e32 v0, 7, v0
; %bb.783:                              ;   in Loop: Header=BB302_10 Depth=1
	s_or_b32 exec_lo, exec_lo, s19
	v_lshlrev_b32_e32 v2, 8, v26
	v_lshl_add_u32 v1, v1, 10, 0x2000
	v_lshlrev_b32_e32 v0, 7, v0
	v_and_b32_e32 v2, 0x8000, v2
	v_and_b32_e32 v1, 0xfc00, v1
	v_or3_b32 v0, v2, v1, v0
	buffer_store_dword v0, off, s[0:3], s32 offset:552 ; 4-byte Folded Spill
.LBB302_784:                            ;   in Loop: Header=BB302_10 Depth=1
	s_or_b32 exec_lo, exec_lo, s17
.LBB302_785:                            ;   in Loop: Header=BB302_10 Depth=1
	s_or_b32 exec_lo, exec_lo, s12
.LBB302_786:                            ;   in Loop: Header=BB302_10 Depth=1
	s_or_b32 exec_lo, exec_lo, s11
	v_mov_b32_e32 v0, 0
	v_lshrrev_b16 v4, 8, v26
	s_mov_b32 s11, exec_lo
	buffer_store_dword v0, off, s[0:3], s32 offset:560 ; 4-byte Folded Spill
	v_mov_b32_e32 v0, 0
	buffer_store_dword v0, off, s[0:3], s32 offset:556 ; 4-byte Folded Spill
	v_cmpx_ne_u16_e32 0, v4
	s_cbranch_execz .LBB302_794
; %bb.787:                              ;   in Loop: Header=BB302_10 Depth=1
	v_bfrev_b32_e32 v0, 1
	s_mov_b32 s12, exec_lo
	buffer_store_dword v0, off, s[0:3], s32 offset:556 ; 4-byte Folded Spill
	v_cmpx_ne_u16_e32 0x80, v4
	s_cbranch_execz .LBB302_793
; %bb.788:                              ;   in Loop: Header=BB302_10 Depth=1
	v_mov_b32_e32 v0, 0x7f
	s_mov_b32 s17, exec_lo
	v_and_b32_sdwa v2, v4, v0 dst_sel:DWORD dst_unused:UNUSED_PAD src0_sel:WORD_0 src1_sel:DWORD
	v_mov_b32_e32 v0, 0x7c010000
	buffer_store_dword v0, off, s[0:3], s32 offset:556 ; 4-byte Folded Spill
	v_cmpx_ne_u32_e32 0x7f, v2
	s_cbranch_execz .LBB302_792
; %bb.789:                              ;   in Loop: Header=BB302_10 Depth=1
	v_mov_b32_e32 v0, 7
	v_lshrrev_b32_e32 v1, 3, v2
	s_mov_b32 s19, exec_lo
	v_and_b32_sdwa v0, v4, v0 dst_sel:DWORD dst_unused:UNUSED_PAD src0_sel:WORD_0 src1_sel:DWORD
	v_cmpx_gt_u32_e32 8, v2
; %bb.790:                              ;   in Loop: Header=BB302_10 Depth=1
	v_ffbh_u32_e32 v0, v0
	v_min_u32_e32 v2, 32, v0
	v_subrev_nc_u32_e32 v0, 28, v2
	v_lshlrev_b64 v[0:1], v0, v[4:5]
	v_sub_nc_u32_e32 v1, 29, v2
	v_and_b32_e32 v0, 7, v0
; %bb.791:                              ;   in Loop: Header=BB302_10 Depth=1
	s_or_b32 exec_lo, exec_lo, s19
	v_mov_b32_e32 v2, 8
	v_lshl_add_u32 v1, v1, 10, 0x2000
	v_lshlrev_b32_e32 v0, 23, v0
	v_lshlrev_b32_sdwa v2, v2, v4 dst_sel:DWORD dst_unused:UNUSED_PAD src0_sel:DWORD src1_sel:WORD_0
	v_and_or_b32 v1, 0x8000, v2, v1
	v_lshl_or_b32 v0, v1, 16, v0
	buffer_store_dword v0, off, s[0:3], s32 offset:556 ; 4-byte Folded Spill
.LBB302_792:                            ;   in Loop: Header=BB302_10 Depth=1
	s_or_b32 exec_lo, exec_lo, s17
.LBB302_793:                            ;   in Loop: Header=BB302_10 Depth=1
	s_or_b32 exec_lo, exec_lo, s12
.LBB302_794:                            ;   in Loop: Header=BB302_10 Depth=1
	s_or_b32 exec_lo, exec_lo, s11
	v_lshrrev_b32_e32 v4, 16, v26
	v_cmp_ne_u16_sdwa s5, v4, v5 src0_sel:BYTE_0 src1_sel:DWORD
	s_and_saveexec_b32 s11, s5
	s_cbranch_execz .LBB302_802
; %bb.795:                              ;   in Loop: Header=BB302_10 Depth=1
	v_cmp_ne_u16_sdwa s5, v4, v99 src0_sel:BYTE_0 src1_sel:DWORD
	v_mov_b32_e32 v0, 0x8000
	buffer_store_dword v0, off, s[0:3], s32 offset:560 ; 4-byte Folded Spill
	s_and_saveexec_b32 s12, s5
	s_cbranch_execz .LBB302_801
; %bb.796:                              ;   in Loop: Header=BB302_10 Depth=1
	v_bfe_u32 v2, v26, 16, 7
	v_mov_b32_e32 v0, 0x7c01
	s_mov_b32 s17, exec_lo
	buffer_store_dword v0, off, s[0:3], s32 offset:560 ; 4-byte Folded Spill
	v_cmpx_ne_u32_e32 0x7f, v2
	s_cbranch_execz .LBB302_800
; %bb.797:                              ;   in Loop: Header=BB302_10 Depth=1
	v_and_b32_e32 v0, 7, v4
	v_lshrrev_b32_e32 v1, 3, v2
	s_mov_b32 s19, exec_lo
	v_cmpx_gt_u32_e32 8, v2
; %bb.798:                              ;   in Loop: Header=BB302_10 Depth=1
	v_ffbh_u32_e32 v0, v0
	v_min_u32_e32 v2, 32, v0
	v_subrev_nc_u32_e32 v0, 28, v2
	v_lshlrev_b64 v[0:1], v0, v[4:5]
	v_sub_nc_u32_e32 v1, 29, v2
	v_and_b32_e32 v0, 7, v0
; %bb.799:                              ;   in Loop: Header=BB302_10 Depth=1
	s_or_b32 exec_lo, exec_lo, s19
	v_lshlrev_b32_e32 v2, 8, v4
	v_lshl_add_u32 v1, v1, 10, 0x2000
	v_lshlrev_b32_e32 v0, 7, v0
	v_and_b32_e32 v2, 0x8000, v2
	v_and_b32_e32 v1, 0xfc00, v1
	v_or3_b32 v0, v2, v1, v0
	buffer_store_dword v0, off, s[0:3], s32 offset:560 ; 4-byte Folded Spill
.LBB302_800:                            ;   in Loop: Header=BB302_10 Depth=1
	s_or_b32 exec_lo, exec_lo, s17
.LBB302_801:                            ;   in Loop: Header=BB302_10 Depth=1
	s_or_b32 exec_lo, exec_lo, s12
.LBB302_802:                            ;   in Loop: Header=BB302_10 Depth=1
	s_or_b32 exec_lo, exec_lo, s11
	v_mov_b32_e32 v0, 0
	s_mov_b32 s11, exec_lo
	buffer_store_dword v0, off, s[0:3], s32 offset:564 ; 4-byte Folded Spill
	v_mov_b32_e32 v0, 0
	buffer_store_dword v0, off, s[0:3], s32 offset:568 ; 4-byte Folded Spill
	v_cmpx_lt_u32_e32 0xffffff, v26
	s_cbranch_execz .LBB302_810
; %bb.803:                              ;   in Loop: Header=BB302_10 Depth=1
	v_lshrrev_b32_e32 v4, 24, v26
	v_bfrev_b32_e32 v0, 1
	s_mov_b32 s12, exec_lo
	buffer_store_dword v0, off, s[0:3], s32 offset:568 ; 4-byte Folded Spill
	v_cmpx_ne_u32_e32 0x80, v4
	s_cbranch_execz .LBB302_809
; %bb.804:                              ;   in Loop: Header=BB302_10 Depth=1
	v_and_b32_e32 v2, 0x7f, v4
	v_mov_b32_e32 v0, 0x7c010000
	s_mov_b32 s17, exec_lo
	buffer_store_dword v0, off, s[0:3], s32 offset:568 ; 4-byte Folded Spill
	v_cmpx_ne_u32_e32 0x7f, v2
	s_cbranch_execz .LBB302_808
; %bb.805:                              ;   in Loop: Header=BB302_10 Depth=1
	v_and_b32_e32 v0, 7, v4
	v_lshrrev_b32_e32 v1, 3, v2
	s_mov_b32 s19, exec_lo
	v_cmpx_gt_u32_e32 8, v2
; %bb.806:                              ;   in Loop: Header=BB302_10 Depth=1
	v_ffbh_u32_e32 v0, v0
	v_min_u32_e32 v2, 32, v0
	v_subrev_nc_u32_e32 v0, 28, v2
	v_lshlrev_b64 v[0:1], v0, v[4:5]
	v_sub_nc_u32_e32 v1, 29, v2
	v_and_b32_e32 v0, 7, v0
; %bb.807:                              ;   in Loop: Header=BB302_10 Depth=1
	s_or_b32 exec_lo, exec_lo, s19
	v_lshlrev_b32_e32 v2, 8, v4
	v_lshl_add_u32 v1, v1, 10, 0x2000
	v_lshlrev_b32_e32 v0, 23, v0
	v_and_or_b32 v1, 0x8000, v2, v1
	v_lshl_or_b32 v0, v1, 16, v0
	buffer_store_dword v0, off, s[0:3], s32 offset:568 ; 4-byte Folded Spill
.LBB302_808:                            ;   in Loop: Header=BB302_10 Depth=1
	s_or_b32 exec_lo, exec_lo, s17
.LBB302_809:                            ;   in Loop: Header=BB302_10 Depth=1
	s_or_b32 exec_lo, exec_lo, s12
.LBB302_810:                            ;   in Loop: Header=BB302_10 Depth=1
	s_or_b32 exec_lo, exec_lo, s11
	v_mov_b32_e32 v4, v27
	v_cmp_ne_u16_sdwa s5, v27, v5 src0_sel:BYTE_0 src1_sel:DWORD
	s_and_saveexec_b32 s11, s5
	s_cbranch_execz .LBB302_818
; %bb.811:                              ;   in Loop: Header=BB302_10 Depth=1
	v_cmp_ne_u16_sdwa s5, v27, v99 src0_sel:BYTE_0 src1_sel:DWORD
	v_mov_b32_e32 v0, 0x8000
	buffer_store_dword v0, off, s[0:3], s32 offset:564 ; 4-byte Folded Spill
	s_and_saveexec_b32 s12, s5
	s_cbranch_execz .LBB302_817
; %bb.812:                              ;   in Loop: Header=BB302_10 Depth=1
	v_and_b32_e32 v2, 0x7f, v27
	v_mov_b32_e32 v0, 0x7c01
	s_mov_b32 s17, exec_lo
	buffer_store_dword v0, off, s[0:3], s32 offset:564 ; 4-byte Folded Spill
	v_cmpx_ne_u32_e32 0x7f, v2
	s_cbranch_execz .LBB302_816
; %bb.813:                              ;   in Loop: Header=BB302_10 Depth=1
	v_and_b32_e32 v0, 7, v27
	v_lshrrev_b32_e32 v1, 3, v2
	s_mov_b32 s19, exec_lo
	v_cmpx_gt_u32_e32 8, v2
; %bb.814:                              ;   in Loop: Header=BB302_10 Depth=1
	v_ffbh_u32_e32 v0, v0
	v_min_u32_e32 v2, 32, v0
	v_subrev_nc_u32_e32 v0, 28, v2
	v_lshlrev_b64 v[0:1], v0, v[4:5]
	v_sub_nc_u32_e32 v1, 29, v2
	v_and_b32_e32 v0, 7, v0
; %bb.815:                              ;   in Loop: Header=BB302_10 Depth=1
	s_or_b32 exec_lo, exec_lo, s19
	v_lshlrev_b32_e32 v2, 8, v27
	v_lshl_add_u32 v1, v1, 10, 0x2000
	v_lshlrev_b32_e32 v0, 7, v0
	v_and_b32_e32 v2, 0x8000, v2
	v_and_b32_e32 v1, 0xfc00, v1
	v_or3_b32 v0, v2, v1, v0
	buffer_store_dword v0, off, s[0:3], s32 offset:564 ; 4-byte Folded Spill
.LBB302_816:                            ;   in Loop: Header=BB302_10 Depth=1
	s_or_b32 exec_lo, exec_lo, s17
.LBB302_817:                            ;   in Loop: Header=BB302_10 Depth=1
	s_or_b32 exec_lo, exec_lo, s12
.LBB302_818:                            ;   in Loop: Header=BB302_10 Depth=1
	s_or_b32 exec_lo, exec_lo, s11
	v_mov_b32_e32 v0, 0
	v_lshrrev_b16 v4, 8, v4
	s_mov_b32 s11, exec_lo
	buffer_store_dword v0, off, s[0:3], s32 offset:572 ; 4-byte Folded Spill
	v_mov_b32_e32 v0, 0
	buffer_store_dword v0, off, s[0:3], s32 offset:576 ; 4-byte Folded Spill
	v_cmpx_ne_u16_e32 0, v4
	s_cbranch_execz .LBB302_826
; %bb.819:                              ;   in Loop: Header=BB302_10 Depth=1
	v_bfrev_b32_e32 v0, 1
	s_mov_b32 s12, exec_lo
	buffer_store_dword v0, off, s[0:3], s32 offset:576 ; 4-byte Folded Spill
	v_cmpx_ne_u16_e32 0x80, v4
	s_cbranch_execz .LBB302_825
; %bb.820:                              ;   in Loop: Header=BB302_10 Depth=1
	v_mov_b32_e32 v0, 0x7f
	s_mov_b32 s17, exec_lo
	v_and_b32_sdwa v2, v4, v0 dst_sel:DWORD dst_unused:UNUSED_PAD src0_sel:WORD_0 src1_sel:DWORD
	v_mov_b32_e32 v0, 0x7c010000
	buffer_store_dword v0, off, s[0:3], s32 offset:576 ; 4-byte Folded Spill
	v_cmpx_ne_u32_e32 0x7f, v2
	s_cbranch_execz .LBB302_824
; %bb.821:                              ;   in Loop: Header=BB302_10 Depth=1
	v_mov_b32_e32 v0, 7
	v_lshrrev_b32_e32 v1, 3, v2
	s_mov_b32 s19, exec_lo
	v_and_b32_sdwa v0, v4, v0 dst_sel:DWORD dst_unused:UNUSED_PAD src0_sel:WORD_0 src1_sel:DWORD
	v_cmpx_gt_u32_e32 8, v2
; %bb.822:                              ;   in Loop: Header=BB302_10 Depth=1
	v_ffbh_u32_e32 v0, v0
	v_min_u32_e32 v2, 32, v0
	v_subrev_nc_u32_e32 v0, 28, v2
	v_lshlrev_b64 v[0:1], v0, v[4:5]
	v_sub_nc_u32_e32 v1, 29, v2
	v_and_b32_e32 v0, 7, v0
; %bb.823:                              ;   in Loop: Header=BB302_10 Depth=1
	s_or_b32 exec_lo, exec_lo, s19
	v_mov_b32_e32 v2, 8
	v_lshl_add_u32 v1, v1, 10, 0x2000
	v_lshlrev_b32_e32 v0, 23, v0
	v_lshlrev_b32_sdwa v2, v2, v4 dst_sel:DWORD dst_unused:UNUSED_PAD src0_sel:DWORD src1_sel:WORD_0
	v_and_or_b32 v1, 0x8000, v2, v1
	v_lshl_or_b32 v0, v1, 16, v0
	buffer_store_dword v0, off, s[0:3], s32 offset:576 ; 4-byte Folded Spill
.LBB302_824:                            ;   in Loop: Header=BB302_10 Depth=1
	s_or_b32 exec_lo, exec_lo, s17
.LBB302_825:                            ;   in Loop: Header=BB302_10 Depth=1
	s_or_b32 exec_lo, exec_lo, s12
.LBB302_826:                            ;   in Loop: Header=BB302_10 Depth=1
	s_or_b32 exec_lo, exec_lo, s11
	v_lshrrev_b32_e32 v4, 16, v27
	v_cmp_ne_u16_sdwa s5, v4, v5 src0_sel:BYTE_0 src1_sel:DWORD
	s_and_saveexec_b32 s11, s5
	s_cbranch_execz .LBB302_834
; %bb.827:                              ;   in Loop: Header=BB302_10 Depth=1
	v_cmp_ne_u16_sdwa s5, v4, v99 src0_sel:BYTE_0 src1_sel:DWORD
	v_mov_b32_e32 v0, 0x8000
	buffer_store_dword v0, off, s[0:3], s32 offset:572 ; 4-byte Folded Spill
	s_and_saveexec_b32 s12, s5
	s_cbranch_execz .LBB302_833
; %bb.828:                              ;   in Loop: Header=BB302_10 Depth=1
	v_bfe_u32 v2, v27, 16, 7
	v_mov_b32_e32 v0, 0x7c01
	s_mov_b32 s17, exec_lo
	buffer_store_dword v0, off, s[0:3], s32 offset:572 ; 4-byte Folded Spill
	v_cmpx_ne_u32_e32 0x7f, v2
	s_cbranch_execz .LBB302_832
; %bb.829:                              ;   in Loop: Header=BB302_10 Depth=1
	v_and_b32_e32 v0, 7, v4
	v_lshrrev_b32_e32 v1, 3, v2
	s_mov_b32 s19, exec_lo
	v_cmpx_gt_u32_e32 8, v2
; %bb.830:                              ;   in Loop: Header=BB302_10 Depth=1
	v_ffbh_u32_e32 v0, v0
	v_min_u32_e32 v2, 32, v0
	v_subrev_nc_u32_e32 v0, 28, v2
	v_lshlrev_b64 v[0:1], v0, v[4:5]
	v_sub_nc_u32_e32 v1, 29, v2
	v_and_b32_e32 v0, 7, v0
; %bb.831:                              ;   in Loop: Header=BB302_10 Depth=1
	s_or_b32 exec_lo, exec_lo, s19
	v_lshlrev_b32_e32 v2, 8, v4
	v_lshl_add_u32 v1, v1, 10, 0x2000
	v_lshlrev_b32_e32 v0, 7, v0
	v_and_b32_e32 v2, 0x8000, v2
	v_and_b32_e32 v1, 0xfc00, v1
	v_or3_b32 v0, v2, v1, v0
	buffer_store_dword v0, off, s[0:3], s32 offset:572 ; 4-byte Folded Spill
.LBB302_832:                            ;   in Loop: Header=BB302_10 Depth=1
	s_or_b32 exec_lo, exec_lo, s17
.LBB302_833:                            ;   in Loop: Header=BB302_10 Depth=1
	s_or_b32 exec_lo, exec_lo, s12
.LBB302_834:                            ;   in Loop: Header=BB302_10 Depth=1
	s_or_b32 exec_lo, exec_lo, s11
	v_mov_b32_e32 v0, 0
	s_mov_b32 s11, exec_lo
	buffer_store_dword v0, off, s[0:3], s32 offset:580 ; 4-byte Folded Spill
	v_mov_b32_e32 v0, 0
	buffer_store_dword v0, off, s[0:3], s32 offset:764 ; 4-byte Folded Spill
	v_cmpx_lt_u64_e64 s[6:7], v[26:27]
	s_cbranch_execz .LBB302_842
; %bb.835:                              ;   in Loop: Header=BB302_10 Depth=1
	v_lshrrev_b32_e32 v4, 24, v27
	v_bfrev_b32_e32 v0, 1
	s_mov_b32 s12, exec_lo
	v_cmpx_ne_u32_e32 0x80, v4
	s_cbranch_execz .LBB302_841
; %bb.836:                              ;   in Loop: Header=BB302_10 Depth=1
	v_and_b32_e32 v2, 0x7f, v4
	v_mov_b32_e32 v0, 0x7c010000
	s_mov_b32 s17, exec_lo
	v_cmpx_ne_u32_e32 0x7f, v2
	s_cbranch_execz .LBB302_840
; %bb.837:                              ;   in Loop: Header=BB302_10 Depth=1
	v_and_b32_e32 v0, 7, v4
	v_lshrrev_b32_e32 v1, 3, v2
	s_mov_b32 s19, exec_lo
	v_cmpx_gt_u32_e32 8, v2
; %bb.838:                              ;   in Loop: Header=BB302_10 Depth=1
	v_ffbh_u32_e32 v0, v0
	v_min_u32_e32 v2, 32, v0
	v_subrev_nc_u32_e32 v0, 28, v2
	v_lshlrev_b64 v[0:1], v0, v[4:5]
	v_sub_nc_u32_e32 v1, 29, v2
	v_and_b32_e32 v0, 7, v0
; %bb.839:                              ;   in Loop: Header=BB302_10 Depth=1
	s_or_b32 exec_lo, exec_lo, s19
	v_lshlrev_b32_e32 v2, 8, v4
	v_lshl_add_u32 v1, v1, 10, 0x2000
	v_lshlrev_b32_e32 v0, 23, v0
	v_and_or_b32 v1, 0x8000, v2, v1
	v_lshl_or_b32 v0, v1, 16, v0
.LBB302_840:                            ;   in Loop: Header=BB302_10 Depth=1
	s_or_b32 exec_lo, exec_lo, s17
.LBB302_841:                            ;   in Loop: Header=BB302_10 Depth=1
	s_or_b32 exec_lo, exec_lo, s12
	buffer_store_dword v0, off, s[0:3], s32 offset:764 ; 4-byte Folded Spill
.LBB302_842:                            ;   in Loop: Header=BB302_10 Depth=1
	s_or_b32 exec_lo, exec_lo, s11
	flat_load_dwordx2 v[26:27], v[24:25] offset:1032
	s_waitcnt vmcnt(0) lgkmcnt(0)
	v_cmp_ne_u16_sdwa s5, v26, v5 src0_sel:BYTE_0 src1_sel:DWORD
	s_and_saveexec_b32 s11, s5
	s_cbranch_execz .LBB302_850
; %bb.843:                              ;   in Loop: Header=BB302_10 Depth=1
	v_cmp_ne_u16_sdwa s5, v26, v99 src0_sel:BYTE_0 src1_sel:DWORD
	v_mov_b32_e32 v0, 0x8000
	buffer_store_dword v0, off, s[0:3], s32 offset:580 ; 4-byte Folded Spill
	s_and_saveexec_b32 s12, s5
	s_cbranch_execz .LBB302_849
; %bb.844:                              ;   in Loop: Header=BB302_10 Depth=1
	v_and_b32_e32 v2, 0x7f, v26
	v_mov_b32_e32 v0, 0x7c01
	s_mov_b32 s17, exec_lo
	buffer_store_dword v0, off, s[0:3], s32 offset:580 ; 4-byte Folded Spill
	v_cmpx_ne_u32_e32 0x7f, v2
	s_cbranch_execz .LBB302_848
; %bb.845:                              ;   in Loop: Header=BB302_10 Depth=1
	v_and_b32_e32 v0, 7, v26
	v_lshrrev_b32_e32 v1, 3, v2
	s_mov_b32 s19, exec_lo
	v_cmpx_gt_u32_e32 8, v2
; %bb.846:                              ;   in Loop: Header=BB302_10 Depth=1
	v_ffbh_u32_e32 v0, v0
	v_min_u32_e32 v2, 32, v0
	v_subrev_nc_u32_e32 v0, 28, v2
	v_lshlrev_b64 v[0:1], v0, v[26:27]
	v_sub_nc_u32_e32 v1, 29, v2
	v_and_b32_e32 v0, 7, v0
; %bb.847:                              ;   in Loop: Header=BB302_10 Depth=1
	s_or_b32 exec_lo, exec_lo, s19
	v_lshlrev_b32_e32 v2, 8, v26
	v_lshl_add_u32 v1, v1, 10, 0x2000
	v_lshlrev_b32_e32 v0, 7, v0
	v_and_b32_e32 v2, 0x8000, v2
	v_and_b32_e32 v1, 0xfc00, v1
	v_or3_b32 v0, v2, v1, v0
	buffer_store_dword v0, off, s[0:3], s32 offset:580 ; 4-byte Folded Spill
.LBB302_848:                            ;   in Loop: Header=BB302_10 Depth=1
	s_or_b32 exec_lo, exec_lo, s17
.LBB302_849:                            ;   in Loop: Header=BB302_10 Depth=1
	s_or_b32 exec_lo, exec_lo, s12
.LBB302_850:                            ;   in Loop: Header=BB302_10 Depth=1
	s_or_b32 exec_lo, exec_lo, s11
	v_mov_b32_e32 v0, 0
	v_lshrrev_b16 v4, 8, v26
	s_mov_b32 s11, exec_lo
	buffer_store_dword v0, off, s[0:3], s32 offset:588 ; 4-byte Folded Spill
	v_mov_b32_e32 v0, 0
	buffer_store_dword v0, off, s[0:3], s32 offset:584 ; 4-byte Folded Spill
	v_cmpx_ne_u16_e32 0, v4
	s_cbranch_execz .LBB302_858
; %bb.851:                              ;   in Loop: Header=BB302_10 Depth=1
	v_bfrev_b32_e32 v0, 1
	s_mov_b32 s12, exec_lo
	buffer_store_dword v0, off, s[0:3], s32 offset:584 ; 4-byte Folded Spill
	v_cmpx_ne_u16_e32 0x80, v4
	s_cbranch_execz .LBB302_857
; %bb.852:                              ;   in Loop: Header=BB302_10 Depth=1
	v_mov_b32_e32 v0, 0x7f
	s_mov_b32 s17, exec_lo
	v_and_b32_sdwa v2, v4, v0 dst_sel:DWORD dst_unused:UNUSED_PAD src0_sel:WORD_0 src1_sel:DWORD
	v_mov_b32_e32 v0, 0x7c010000
	buffer_store_dword v0, off, s[0:3], s32 offset:584 ; 4-byte Folded Spill
	v_cmpx_ne_u32_e32 0x7f, v2
	s_cbranch_execz .LBB302_856
; %bb.853:                              ;   in Loop: Header=BB302_10 Depth=1
	v_mov_b32_e32 v0, 7
	v_lshrrev_b32_e32 v1, 3, v2
	s_mov_b32 s19, exec_lo
	v_and_b32_sdwa v0, v4, v0 dst_sel:DWORD dst_unused:UNUSED_PAD src0_sel:WORD_0 src1_sel:DWORD
	v_cmpx_gt_u32_e32 8, v2
; %bb.854:                              ;   in Loop: Header=BB302_10 Depth=1
	v_ffbh_u32_e32 v0, v0
	v_min_u32_e32 v2, 32, v0
	v_subrev_nc_u32_e32 v0, 28, v2
	v_lshlrev_b64 v[0:1], v0, v[4:5]
	v_sub_nc_u32_e32 v1, 29, v2
	v_and_b32_e32 v0, 7, v0
; %bb.855:                              ;   in Loop: Header=BB302_10 Depth=1
	s_or_b32 exec_lo, exec_lo, s19
	v_mov_b32_e32 v2, 8
	v_lshl_add_u32 v1, v1, 10, 0x2000
	v_lshlrev_b32_e32 v0, 23, v0
	v_lshlrev_b32_sdwa v2, v2, v4 dst_sel:DWORD dst_unused:UNUSED_PAD src0_sel:DWORD src1_sel:WORD_0
	v_and_or_b32 v1, 0x8000, v2, v1
	v_lshl_or_b32 v0, v1, 16, v0
	buffer_store_dword v0, off, s[0:3], s32 offset:584 ; 4-byte Folded Spill
.LBB302_856:                            ;   in Loop: Header=BB302_10 Depth=1
	s_or_b32 exec_lo, exec_lo, s17
.LBB302_857:                            ;   in Loop: Header=BB302_10 Depth=1
	s_or_b32 exec_lo, exec_lo, s12
.LBB302_858:                            ;   in Loop: Header=BB302_10 Depth=1
	s_or_b32 exec_lo, exec_lo, s11
	v_lshrrev_b32_e32 v4, 16, v26
	v_cmp_ne_u16_sdwa s5, v4, v5 src0_sel:BYTE_0 src1_sel:DWORD
	s_and_saveexec_b32 s11, s5
	s_cbranch_execz .LBB302_866
; %bb.859:                              ;   in Loop: Header=BB302_10 Depth=1
	v_cmp_ne_u16_sdwa s5, v4, v99 src0_sel:BYTE_0 src1_sel:DWORD
	v_mov_b32_e32 v0, 0x8000
	buffer_store_dword v0, off, s[0:3], s32 offset:588 ; 4-byte Folded Spill
	s_and_saveexec_b32 s12, s5
	s_cbranch_execz .LBB302_865
; %bb.860:                              ;   in Loop: Header=BB302_10 Depth=1
	v_bfe_u32 v2, v26, 16, 7
	v_mov_b32_e32 v0, 0x7c01
	s_mov_b32 s17, exec_lo
	buffer_store_dword v0, off, s[0:3], s32 offset:588 ; 4-byte Folded Spill
	v_cmpx_ne_u32_e32 0x7f, v2
	s_cbranch_execz .LBB302_864
; %bb.861:                              ;   in Loop: Header=BB302_10 Depth=1
	v_and_b32_e32 v0, 7, v4
	v_lshrrev_b32_e32 v1, 3, v2
	s_mov_b32 s19, exec_lo
	v_cmpx_gt_u32_e32 8, v2
; %bb.862:                              ;   in Loop: Header=BB302_10 Depth=1
	v_ffbh_u32_e32 v0, v0
	v_min_u32_e32 v2, 32, v0
	v_subrev_nc_u32_e32 v0, 28, v2
	v_lshlrev_b64 v[0:1], v0, v[4:5]
	v_sub_nc_u32_e32 v1, 29, v2
	v_and_b32_e32 v0, 7, v0
; %bb.863:                              ;   in Loop: Header=BB302_10 Depth=1
	s_or_b32 exec_lo, exec_lo, s19
	v_lshlrev_b32_e32 v2, 8, v4
	v_lshl_add_u32 v1, v1, 10, 0x2000
	v_lshlrev_b32_e32 v0, 7, v0
	v_and_b32_e32 v2, 0x8000, v2
	v_and_b32_e32 v1, 0xfc00, v1
	v_or3_b32 v0, v2, v1, v0
	buffer_store_dword v0, off, s[0:3], s32 offset:588 ; 4-byte Folded Spill
.LBB302_864:                            ;   in Loop: Header=BB302_10 Depth=1
	s_or_b32 exec_lo, exec_lo, s17
.LBB302_865:                            ;   in Loop: Header=BB302_10 Depth=1
	s_or_b32 exec_lo, exec_lo, s12
.LBB302_866:                            ;   in Loop: Header=BB302_10 Depth=1
	s_or_b32 exec_lo, exec_lo, s11
	v_mov_b32_e32 v0, 0
	s_mov_b32 s11, exec_lo
	buffer_store_dword v0, off, s[0:3], s32 offset:592 ; 4-byte Folded Spill
	v_mov_b32_e32 v0, 0
	buffer_store_dword v0, off, s[0:3], s32 offset:596 ; 4-byte Folded Spill
	v_cmpx_lt_u32_e32 0xffffff, v26
	s_cbranch_execz .LBB302_874
; %bb.867:                              ;   in Loop: Header=BB302_10 Depth=1
	v_lshrrev_b32_e32 v4, 24, v26
	v_bfrev_b32_e32 v0, 1
	s_mov_b32 s12, exec_lo
	buffer_store_dword v0, off, s[0:3], s32 offset:596 ; 4-byte Folded Spill
	v_cmpx_ne_u32_e32 0x80, v4
	s_cbranch_execz .LBB302_873
; %bb.868:                              ;   in Loop: Header=BB302_10 Depth=1
	v_and_b32_e32 v2, 0x7f, v4
	v_mov_b32_e32 v0, 0x7c010000
	s_mov_b32 s17, exec_lo
	buffer_store_dword v0, off, s[0:3], s32 offset:596 ; 4-byte Folded Spill
	v_cmpx_ne_u32_e32 0x7f, v2
	s_cbranch_execz .LBB302_872
; %bb.869:                              ;   in Loop: Header=BB302_10 Depth=1
	v_and_b32_e32 v0, 7, v4
	v_lshrrev_b32_e32 v1, 3, v2
	s_mov_b32 s19, exec_lo
	v_cmpx_gt_u32_e32 8, v2
; %bb.870:                              ;   in Loop: Header=BB302_10 Depth=1
	v_ffbh_u32_e32 v0, v0
	v_min_u32_e32 v2, 32, v0
	v_subrev_nc_u32_e32 v0, 28, v2
	v_lshlrev_b64 v[0:1], v0, v[4:5]
	v_sub_nc_u32_e32 v1, 29, v2
	v_and_b32_e32 v0, 7, v0
; %bb.871:                              ;   in Loop: Header=BB302_10 Depth=1
	s_or_b32 exec_lo, exec_lo, s19
	v_lshlrev_b32_e32 v2, 8, v4
	v_lshl_add_u32 v1, v1, 10, 0x2000
	v_lshlrev_b32_e32 v0, 23, v0
	v_and_or_b32 v1, 0x8000, v2, v1
	v_lshl_or_b32 v0, v1, 16, v0
	buffer_store_dword v0, off, s[0:3], s32 offset:596 ; 4-byte Folded Spill
.LBB302_872:                            ;   in Loop: Header=BB302_10 Depth=1
	s_or_b32 exec_lo, exec_lo, s17
.LBB302_873:                            ;   in Loop: Header=BB302_10 Depth=1
	s_or_b32 exec_lo, exec_lo, s12
.LBB302_874:                            ;   in Loop: Header=BB302_10 Depth=1
	s_or_b32 exec_lo, exec_lo, s11
	v_mov_b32_e32 v4, v27
	v_cmp_ne_u16_sdwa s5, v27, v5 src0_sel:BYTE_0 src1_sel:DWORD
	s_and_saveexec_b32 s11, s5
	s_cbranch_execz .LBB302_882
; %bb.875:                              ;   in Loop: Header=BB302_10 Depth=1
	v_cmp_ne_u16_sdwa s5, v27, v99 src0_sel:BYTE_0 src1_sel:DWORD
	v_mov_b32_e32 v0, 0x8000
	buffer_store_dword v0, off, s[0:3], s32 offset:592 ; 4-byte Folded Spill
	s_and_saveexec_b32 s12, s5
	s_cbranch_execz .LBB302_881
; %bb.876:                              ;   in Loop: Header=BB302_10 Depth=1
	v_and_b32_e32 v2, 0x7f, v27
	v_mov_b32_e32 v0, 0x7c01
	s_mov_b32 s17, exec_lo
	buffer_store_dword v0, off, s[0:3], s32 offset:592 ; 4-byte Folded Spill
	v_cmpx_ne_u32_e32 0x7f, v2
	s_cbranch_execz .LBB302_880
; %bb.877:                              ;   in Loop: Header=BB302_10 Depth=1
	v_and_b32_e32 v0, 7, v27
	v_lshrrev_b32_e32 v1, 3, v2
	s_mov_b32 s19, exec_lo
	v_cmpx_gt_u32_e32 8, v2
; %bb.878:                              ;   in Loop: Header=BB302_10 Depth=1
	v_ffbh_u32_e32 v0, v0
	v_min_u32_e32 v2, 32, v0
	v_subrev_nc_u32_e32 v0, 28, v2
	v_lshlrev_b64 v[0:1], v0, v[4:5]
	v_sub_nc_u32_e32 v1, 29, v2
	v_and_b32_e32 v0, 7, v0
; %bb.879:                              ;   in Loop: Header=BB302_10 Depth=1
	s_or_b32 exec_lo, exec_lo, s19
	v_lshlrev_b32_e32 v2, 8, v27
	v_lshl_add_u32 v1, v1, 10, 0x2000
	v_lshlrev_b32_e32 v0, 7, v0
	v_and_b32_e32 v2, 0x8000, v2
	v_and_b32_e32 v1, 0xfc00, v1
	v_or3_b32 v0, v2, v1, v0
	buffer_store_dword v0, off, s[0:3], s32 offset:592 ; 4-byte Folded Spill
.LBB302_880:                            ;   in Loop: Header=BB302_10 Depth=1
	s_or_b32 exec_lo, exec_lo, s17
.LBB302_881:                            ;   in Loop: Header=BB302_10 Depth=1
	s_or_b32 exec_lo, exec_lo, s12
.LBB302_882:                            ;   in Loop: Header=BB302_10 Depth=1
	s_or_b32 exec_lo, exec_lo, s11
	v_mov_b32_e32 v0, 0
	v_lshrrev_b16 v4, 8, v4
	s_mov_b32 s11, exec_lo
	buffer_store_dword v0, off, s[0:3], s32 offset:600 ; 4-byte Folded Spill
	v_mov_b32_e32 v0, 0
	buffer_store_dword v0, off, s[0:3], s32 offset:604 ; 4-byte Folded Spill
	v_cmpx_ne_u16_e32 0, v4
	s_cbranch_execz .LBB302_890
; %bb.883:                              ;   in Loop: Header=BB302_10 Depth=1
	v_bfrev_b32_e32 v0, 1
	s_mov_b32 s12, exec_lo
	buffer_store_dword v0, off, s[0:3], s32 offset:604 ; 4-byte Folded Spill
	v_cmpx_ne_u16_e32 0x80, v4
	s_cbranch_execz .LBB302_889
; %bb.884:                              ;   in Loop: Header=BB302_10 Depth=1
	v_mov_b32_e32 v0, 0x7f
	s_mov_b32 s17, exec_lo
	v_and_b32_sdwa v2, v4, v0 dst_sel:DWORD dst_unused:UNUSED_PAD src0_sel:WORD_0 src1_sel:DWORD
	v_mov_b32_e32 v0, 0x7c010000
	buffer_store_dword v0, off, s[0:3], s32 offset:604 ; 4-byte Folded Spill
	v_cmpx_ne_u32_e32 0x7f, v2
	s_cbranch_execz .LBB302_888
; %bb.885:                              ;   in Loop: Header=BB302_10 Depth=1
	v_mov_b32_e32 v0, 7
	v_lshrrev_b32_e32 v1, 3, v2
	s_mov_b32 s19, exec_lo
	v_and_b32_sdwa v0, v4, v0 dst_sel:DWORD dst_unused:UNUSED_PAD src0_sel:WORD_0 src1_sel:DWORD
	v_cmpx_gt_u32_e32 8, v2
; %bb.886:                              ;   in Loop: Header=BB302_10 Depth=1
	v_ffbh_u32_e32 v0, v0
	v_min_u32_e32 v2, 32, v0
	v_subrev_nc_u32_e32 v0, 28, v2
	v_lshlrev_b64 v[0:1], v0, v[4:5]
	v_sub_nc_u32_e32 v1, 29, v2
	v_and_b32_e32 v0, 7, v0
; %bb.887:                              ;   in Loop: Header=BB302_10 Depth=1
	s_or_b32 exec_lo, exec_lo, s19
	v_mov_b32_e32 v2, 8
	v_lshl_add_u32 v1, v1, 10, 0x2000
	v_lshlrev_b32_e32 v0, 23, v0
	v_lshlrev_b32_sdwa v2, v2, v4 dst_sel:DWORD dst_unused:UNUSED_PAD src0_sel:DWORD src1_sel:WORD_0
	v_and_or_b32 v1, 0x8000, v2, v1
	v_lshl_or_b32 v0, v1, 16, v0
	buffer_store_dword v0, off, s[0:3], s32 offset:604 ; 4-byte Folded Spill
.LBB302_888:                            ;   in Loop: Header=BB302_10 Depth=1
	s_or_b32 exec_lo, exec_lo, s17
.LBB302_889:                            ;   in Loop: Header=BB302_10 Depth=1
	s_or_b32 exec_lo, exec_lo, s12
.LBB302_890:                            ;   in Loop: Header=BB302_10 Depth=1
	s_or_b32 exec_lo, exec_lo, s11
	v_lshrrev_b32_e32 v4, 16, v27
	v_cmp_ne_u16_sdwa s5, v4, v5 src0_sel:BYTE_0 src1_sel:DWORD
	s_and_saveexec_b32 s11, s5
	s_cbranch_execz .LBB302_898
; %bb.891:                              ;   in Loop: Header=BB302_10 Depth=1
	v_cmp_ne_u16_sdwa s5, v4, v99 src0_sel:BYTE_0 src1_sel:DWORD
	v_mov_b32_e32 v0, 0x8000
	buffer_store_dword v0, off, s[0:3], s32 offset:600 ; 4-byte Folded Spill
	s_and_saveexec_b32 s12, s5
	s_cbranch_execz .LBB302_897
; %bb.892:                              ;   in Loop: Header=BB302_10 Depth=1
	v_bfe_u32 v2, v27, 16, 7
	v_mov_b32_e32 v0, 0x7c01
	s_mov_b32 s17, exec_lo
	buffer_store_dword v0, off, s[0:3], s32 offset:600 ; 4-byte Folded Spill
	v_cmpx_ne_u32_e32 0x7f, v2
	s_cbranch_execz .LBB302_896
; %bb.893:                              ;   in Loop: Header=BB302_10 Depth=1
	v_and_b32_e32 v0, 7, v4
	v_lshrrev_b32_e32 v1, 3, v2
	s_mov_b32 s19, exec_lo
	v_cmpx_gt_u32_e32 8, v2
; %bb.894:                              ;   in Loop: Header=BB302_10 Depth=1
	v_ffbh_u32_e32 v0, v0
	v_min_u32_e32 v2, 32, v0
	v_subrev_nc_u32_e32 v0, 28, v2
	v_lshlrev_b64 v[0:1], v0, v[4:5]
	v_sub_nc_u32_e32 v1, 29, v2
	v_and_b32_e32 v0, 7, v0
; %bb.895:                              ;   in Loop: Header=BB302_10 Depth=1
	s_or_b32 exec_lo, exec_lo, s19
	v_lshlrev_b32_e32 v2, 8, v4
	v_lshl_add_u32 v1, v1, 10, 0x2000
	v_lshlrev_b32_e32 v0, 7, v0
	v_and_b32_e32 v2, 0x8000, v2
	v_and_b32_e32 v1, 0xfc00, v1
	v_or3_b32 v0, v2, v1, v0
	buffer_store_dword v0, off, s[0:3], s32 offset:600 ; 4-byte Folded Spill
.LBB302_896:                            ;   in Loop: Header=BB302_10 Depth=1
	s_or_b32 exec_lo, exec_lo, s17
.LBB302_897:                            ;   in Loop: Header=BB302_10 Depth=1
	s_or_b32 exec_lo, exec_lo, s12
.LBB302_898:                            ;   in Loop: Header=BB302_10 Depth=1
	s_or_b32 exec_lo, exec_lo, s11
	v_mov_b32_e32 v0, 0
	s_mov_b32 s11, exec_lo
	buffer_store_dword v0, off, s[0:3], s32 offset:608 ; 4-byte Folded Spill
	v_mov_b32_e32 v0, 0
	buffer_store_dword v0, off, s[0:3], s32 offset:768 ; 4-byte Folded Spill
	v_cmpx_lt_u64_e64 s[6:7], v[26:27]
	s_cbranch_execz .LBB302_906
; %bb.899:                              ;   in Loop: Header=BB302_10 Depth=1
	v_lshrrev_b32_e32 v4, 24, v27
	v_bfrev_b32_e32 v0, 1
	s_mov_b32 s12, exec_lo
	v_cmpx_ne_u32_e32 0x80, v4
	s_cbranch_execz .LBB302_905
; %bb.900:                              ;   in Loop: Header=BB302_10 Depth=1
	v_and_b32_e32 v2, 0x7f, v4
	v_mov_b32_e32 v0, 0x7c010000
	s_mov_b32 s17, exec_lo
	v_cmpx_ne_u32_e32 0x7f, v2
	s_cbranch_execz .LBB302_904
; %bb.901:                              ;   in Loop: Header=BB302_10 Depth=1
	v_and_b32_e32 v0, 7, v4
	v_lshrrev_b32_e32 v1, 3, v2
	s_mov_b32 s19, exec_lo
	v_cmpx_gt_u32_e32 8, v2
; %bb.902:                              ;   in Loop: Header=BB302_10 Depth=1
	v_ffbh_u32_e32 v0, v0
	v_min_u32_e32 v2, 32, v0
	v_subrev_nc_u32_e32 v0, 28, v2
	v_lshlrev_b64 v[0:1], v0, v[4:5]
	v_sub_nc_u32_e32 v1, 29, v2
	v_and_b32_e32 v0, 7, v0
; %bb.903:                              ;   in Loop: Header=BB302_10 Depth=1
	s_or_b32 exec_lo, exec_lo, s19
	v_lshlrev_b32_e32 v2, 8, v4
	v_lshl_add_u32 v1, v1, 10, 0x2000
	v_lshlrev_b32_e32 v0, 23, v0
	v_and_or_b32 v1, 0x8000, v2, v1
	v_lshl_or_b32 v0, v1, 16, v0
.LBB302_904:                            ;   in Loop: Header=BB302_10 Depth=1
	s_or_b32 exec_lo, exec_lo, s17
.LBB302_905:                            ;   in Loop: Header=BB302_10 Depth=1
	s_or_b32 exec_lo, exec_lo, s12
	buffer_store_dword v0, off, s[0:3], s32 offset:768 ; 4-byte Folded Spill
.LBB302_906:                            ;   in Loop: Header=BB302_10 Depth=1
	s_or_b32 exec_lo, exec_lo, s11
	flat_load_dwordx2 v[26:27], v[24:25] offset:1536
	s_waitcnt vmcnt(0) lgkmcnt(0)
	v_cmp_ne_u16_sdwa s5, v26, v5 src0_sel:BYTE_0 src1_sel:DWORD
	s_and_saveexec_b32 s11, s5
	s_cbranch_execz .LBB302_914
; %bb.907:                              ;   in Loop: Header=BB302_10 Depth=1
	v_cmp_ne_u16_sdwa s5, v26, v99 src0_sel:BYTE_0 src1_sel:DWORD
	v_mov_b32_e32 v0, 0x8000
	buffer_store_dword v0, off, s[0:3], s32 offset:608 ; 4-byte Folded Spill
	s_and_saveexec_b32 s12, s5
	s_cbranch_execz .LBB302_913
; %bb.908:                              ;   in Loop: Header=BB302_10 Depth=1
	v_and_b32_e32 v2, 0x7f, v26
	v_mov_b32_e32 v0, 0x7c01
	s_mov_b32 s17, exec_lo
	buffer_store_dword v0, off, s[0:3], s32 offset:608 ; 4-byte Folded Spill
	v_cmpx_ne_u32_e32 0x7f, v2
	s_cbranch_execz .LBB302_912
; %bb.909:                              ;   in Loop: Header=BB302_10 Depth=1
	v_and_b32_e32 v0, 7, v26
	v_lshrrev_b32_e32 v1, 3, v2
	s_mov_b32 s19, exec_lo
	v_cmpx_gt_u32_e32 8, v2
; %bb.910:                              ;   in Loop: Header=BB302_10 Depth=1
	v_ffbh_u32_e32 v0, v0
	v_min_u32_e32 v2, 32, v0
	v_subrev_nc_u32_e32 v0, 28, v2
	v_lshlrev_b64 v[0:1], v0, v[26:27]
	v_sub_nc_u32_e32 v1, 29, v2
	v_and_b32_e32 v0, 7, v0
; %bb.911:                              ;   in Loop: Header=BB302_10 Depth=1
	s_or_b32 exec_lo, exec_lo, s19
	v_lshlrev_b32_e32 v2, 8, v26
	v_lshl_add_u32 v1, v1, 10, 0x2000
	v_lshlrev_b32_e32 v0, 7, v0
	v_and_b32_e32 v2, 0x8000, v2
	v_and_b32_e32 v1, 0xfc00, v1
	v_or3_b32 v0, v2, v1, v0
	buffer_store_dword v0, off, s[0:3], s32 offset:608 ; 4-byte Folded Spill
.LBB302_912:                            ;   in Loop: Header=BB302_10 Depth=1
	s_or_b32 exec_lo, exec_lo, s17
.LBB302_913:                            ;   in Loop: Header=BB302_10 Depth=1
	s_or_b32 exec_lo, exec_lo, s12
.LBB302_914:                            ;   in Loop: Header=BB302_10 Depth=1
	s_or_b32 exec_lo, exec_lo, s11
	v_mov_b32_e32 v0, 0
	v_lshrrev_b16 v4, 8, v26
	s_mov_b32 s11, exec_lo
	buffer_store_dword v0, off, s[0:3], s32 offset:616 ; 4-byte Folded Spill
	v_mov_b32_e32 v0, 0
	buffer_store_dword v0, off, s[0:3], s32 offset:612 ; 4-byte Folded Spill
	v_cmpx_ne_u16_e32 0, v4
	s_cbranch_execz .LBB302_922
; %bb.915:                              ;   in Loop: Header=BB302_10 Depth=1
	v_bfrev_b32_e32 v0, 1
	s_mov_b32 s12, exec_lo
	buffer_store_dword v0, off, s[0:3], s32 offset:612 ; 4-byte Folded Spill
	v_cmpx_ne_u16_e32 0x80, v4
	s_cbranch_execz .LBB302_921
; %bb.916:                              ;   in Loop: Header=BB302_10 Depth=1
	v_mov_b32_e32 v0, 0x7f
	s_mov_b32 s17, exec_lo
	v_and_b32_sdwa v2, v4, v0 dst_sel:DWORD dst_unused:UNUSED_PAD src0_sel:WORD_0 src1_sel:DWORD
	v_mov_b32_e32 v0, 0x7c010000
	buffer_store_dword v0, off, s[0:3], s32 offset:612 ; 4-byte Folded Spill
	v_cmpx_ne_u32_e32 0x7f, v2
	s_cbranch_execz .LBB302_920
; %bb.917:                              ;   in Loop: Header=BB302_10 Depth=1
	v_mov_b32_e32 v0, 7
	v_lshrrev_b32_e32 v1, 3, v2
	s_mov_b32 s19, exec_lo
	v_and_b32_sdwa v0, v4, v0 dst_sel:DWORD dst_unused:UNUSED_PAD src0_sel:WORD_0 src1_sel:DWORD
	v_cmpx_gt_u32_e32 8, v2
; %bb.918:                              ;   in Loop: Header=BB302_10 Depth=1
	v_ffbh_u32_e32 v0, v0
	v_min_u32_e32 v2, 32, v0
	v_subrev_nc_u32_e32 v0, 28, v2
	v_lshlrev_b64 v[0:1], v0, v[4:5]
	v_sub_nc_u32_e32 v1, 29, v2
	v_and_b32_e32 v0, 7, v0
; %bb.919:                              ;   in Loop: Header=BB302_10 Depth=1
	s_or_b32 exec_lo, exec_lo, s19
	v_mov_b32_e32 v2, 8
	v_lshl_add_u32 v1, v1, 10, 0x2000
	v_lshlrev_b32_e32 v0, 23, v0
	v_lshlrev_b32_sdwa v2, v2, v4 dst_sel:DWORD dst_unused:UNUSED_PAD src0_sel:DWORD src1_sel:WORD_0
	v_and_or_b32 v1, 0x8000, v2, v1
	v_lshl_or_b32 v0, v1, 16, v0
	buffer_store_dword v0, off, s[0:3], s32 offset:612 ; 4-byte Folded Spill
.LBB302_920:                            ;   in Loop: Header=BB302_10 Depth=1
	s_or_b32 exec_lo, exec_lo, s17
.LBB302_921:                            ;   in Loop: Header=BB302_10 Depth=1
	s_or_b32 exec_lo, exec_lo, s12
.LBB302_922:                            ;   in Loop: Header=BB302_10 Depth=1
	s_or_b32 exec_lo, exec_lo, s11
	v_lshrrev_b32_e32 v4, 16, v26
	v_cmp_ne_u16_sdwa s5, v4, v5 src0_sel:BYTE_0 src1_sel:DWORD
	s_and_saveexec_b32 s11, s5
	s_cbranch_execz .LBB302_930
; %bb.923:                              ;   in Loop: Header=BB302_10 Depth=1
	v_cmp_ne_u16_sdwa s5, v4, v99 src0_sel:BYTE_0 src1_sel:DWORD
	v_mov_b32_e32 v0, 0x8000
	buffer_store_dword v0, off, s[0:3], s32 offset:616 ; 4-byte Folded Spill
	s_and_saveexec_b32 s12, s5
	s_cbranch_execz .LBB302_929
; %bb.924:                              ;   in Loop: Header=BB302_10 Depth=1
	v_bfe_u32 v2, v26, 16, 7
	v_mov_b32_e32 v0, 0x7c01
	s_mov_b32 s17, exec_lo
	buffer_store_dword v0, off, s[0:3], s32 offset:616 ; 4-byte Folded Spill
	v_cmpx_ne_u32_e32 0x7f, v2
	s_cbranch_execz .LBB302_928
; %bb.925:                              ;   in Loop: Header=BB302_10 Depth=1
	v_and_b32_e32 v0, 7, v4
	v_lshrrev_b32_e32 v1, 3, v2
	s_mov_b32 s19, exec_lo
	v_cmpx_gt_u32_e32 8, v2
; %bb.926:                              ;   in Loop: Header=BB302_10 Depth=1
	v_ffbh_u32_e32 v0, v0
	v_min_u32_e32 v2, 32, v0
	v_subrev_nc_u32_e32 v0, 28, v2
	v_lshlrev_b64 v[0:1], v0, v[4:5]
	v_sub_nc_u32_e32 v1, 29, v2
	v_and_b32_e32 v0, 7, v0
; %bb.927:                              ;   in Loop: Header=BB302_10 Depth=1
	s_or_b32 exec_lo, exec_lo, s19
	v_lshlrev_b32_e32 v2, 8, v4
	v_lshl_add_u32 v1, v1, 10, 0x2000
	v_lshlrev_b32_e32 v0, 7, v0
	v_and_b32_e32 v2, 0x8000, v2
	v_and_b32_e32 v1, 0xfc00, v1
	v_or3_b32 v0, v2, v1, v0
	buffer_store_dword v0, off, s[0:3], s32 offset:616 ; 4-byte Folded Spill
.LBB302_928:                            ;   in Loop: Header=BB302_10 Depth=1
	s_or_b32 exec_lo, exec_lo, s17
.LBB302_929:                            ;   in Loop: Header=BB302_10 Depth=1
	s_or_b32 exec_lo, exec_lo, s12
.LBB302_930:                            ;   in Loop: Header=BB302_10 Depth=1
	s_or_b32 exec_lo, exec_lo, s11
	v_mov_b32_e32 v0, 0
	s_mov_b32 s11, exec_lo
	buffer_store_dword v0, off, s[0:3], s32 offset:620 ; 4-byte Folded Spill
	v_mov_b32_e32 v0, 0
	buffer_store_dword v0, off, s[0:3], s32 offset:624 ; 4-byte Folded Spill
	v_cmpx_lt_u32_e32 0xffffff, v26
	s_cbranch_execz .LBB302_938
; %bb.931:                              ;   in Loop: Header=BB302_10 Depth=1
	v_lshrrev_b32_e32 v4, 24, v26
	v_bfrev_b32_e32 v0, 1
	s_mov_b32 s12, exec_lo
	buffer_store_dword v0, off, s[0:3], s32 offset:624 ; 4-byte Folded Spill
	v_cmpx_ne_u32_e32 0x80, v4
	s_cbranch_execz .LBB302_937
; %bb.932:                              ;   in Loop: Header=BB302_10 Depth=1
	v_and_b32_e32 v2, 0x7f, v4
	v_mov_b32_e32 v0, 0x7c010000
	s_mov_b32 s17, exec_lo
	buffer_store_dword v0, off, s[0:3], s32 offset:624 ; 4-byte Folded Spill
	v_cmpx_ne_u32_e32 0x7f, v2
	s_cbranch_execz .LBB302_936
; %bb.933:                              ;   in Loop: Header=BB302_10 Depth=1
	v_and_b32_e32 v0, 7, v4
	v_lshrrev_b32_e32 v1, 3, v2
	s_mov_b32 s19, exec_lo
	v_cmpx_gt_u32_e32 8, v2
; %bb.934:                              ;   in Loop: Header=BB302_10 Depth=1
	v_ffbh_u32_e32 v0, v0
	v_min_u32_e32 v2, 32, v0
	v_subrev_nc_u32_e32 v0, 28, v2
	v_lshlrev_b64 v[0:1], v0, v[4:5]
	v_sub_nc_u32_e32 v1, 29, v2
	v_and_b32_e32 v0, 7, v0
; %bb.935:                              ;   in Loop: Header=BB302_10 Depth=1
	s_or_b32 exec_lo, exec_lo, s19
	v_lshlrev_b32_e32 v2, 8, v4
	v_lshl_add_u32 v1, v1, 10, 0x2000
	v_lshlrev_b32_e32 v0, 23, v0
	v_and_or_b32 v1, 0x8000, v2, v1
	v_lshl_or_b32 v0, v1, 16, v0
	buffer_store_dword v0, off, s[0:3], s32 offset:624 ; 4-byte Folded Spill
.LBB302_936:                            ;   in Loop: Header=BB302_10 Depth=1
	s_or_b32 exec_lo, exec_lo, s17
.LBB302_937:                            ;   in Loop: Header=BB302_10 Depth=1
	s_or_b32 exec_lo, exec_lo, s12
.LBB302_938:                            ;   in Loop: Header=BB302_10 Depth=1
	s_or_b32 exec_lo, exec_lo, s11
	v_mov_b32_e32 v4, v27
	v_cmp_ne_u16_sdwa s5, v27, v5 src0_sel:BYTE_0 src1_sel:DWORD
	s_and_saveexec_b32 s11, s5
	s_cbranch_execz .LBB302_946
; %bb.939:                              ;   in Loop: Header=BB302_10 Depth=1
	v_cmp_ne_u16_sdwa s5, v27, v99 src0_sel:BYTE_0 src1_sel:DWORD
	v_mov_b32_e32 v0, 0x8000
	buffer_store_dword v0, off, s[0:3], s32 offset:620 ; 4-byte Folded Spill
	s_and_saveexec_b32 s12, s5
	s_cbranch_execz .LBB302_945
; %bb.940:                              ;   in Loop: Header=BB302_10 Depth=1
	v_and_b32_e32 v2, 0x7f, v27
	v_mov_b32_e32 v0, 0x7c01
	s_mov_b32 s17, exec_lo
	buffer_store_dword v0, off, s[0:3], s32 offset:620 ; 4-byte Folded Spill
	v_cmpx_ne_u32_e32 0x7f, v2
	s_cbranch_execz .LBB302_944
; %bb.941:                              ;   in Loop: Header=BB302_10 Depth=1
	v_and_b32_e32 v0, 7, v27
	v_lshrrev_b32_e32 v1, 3, v2
	s_mov_b32 s19, exec_lo
	v_cmpx_gt_u32_e32 8, v2
; %bb.942:                              ;   in Loop: Header=BB302_10 Depth=1
	v_ffbh_u32_e32 v0, v0
	v_min_u32_e32 v2, 32, v0
	v_subrev_nc_u32_e32 v0, 28, v2
	v_lshlrev_b64 v[0:1], v0, v[4:5]
	v_sub_nc_u32_e32 v1, 29, v2
	v_and_b32_e32 v0, 7, v0
; %bb.943:                              ;   in Loop: Header=BB302_10 Depth=1
	s_or_b32 exec_lo, exec_lo, s19
	v_lshlrev_b32_e32 v2, 8, v27
	v_lshl_add_u32 v1, v1, 10, 0x2000
	v_lshlrev_b32_e32 v0, 7, v0
	v_and_b32_e32 v2, 0x8000, v2
	v_and_b32_e32 v1, 0xfc00, v1
	v_or3_b32 v0, v2, v1, v0
	buffer_store_dword v0, off, s[0:3], s32 offset:620 ; 4-byte Folded Spill
.LBB302_944:                            ;   in Loop: Header=BB302_10 Depth=1
	s_or_b32 exec_lo, exec_lo, s17
.LBB302_945:                            ;   in Loop: Header=BB302_10 Depth=1
	s_or_b32 exec_lo, exec_lo, s12
.LBB302_946:                            ;   in Loop: Header=BB302_10 Depth=1
	s_or_b32 exec_lo, exec_lo, s11
	v_mov_b32_e32 v0, 0
	v_lshrrev_b16 v4, 8, v4
	s_mov_b32 s11, exec_lo
	buffer_store_dword v0, off, s[0:3], s32 offset:628 ; 4-byte Folded Spill
	v_mov_b32_e32 v0, 0
	buffer_store_dword v0, off, s[0:3], s32 offset:632 ; 4-byte Folded Spill
	v_cmpx_ne_u16_e32 0, v4
	s_cbranch_execz .LBB302_954
; %bb.947:                              ;   in Loop: Header=BB302_10 Depth=1
	v_bfrev_b32_e32 v0, 1
	s_mov_b32 s12, exec_lo
	buffer_store_dword v0, off, s[0:3], s32 offset:632 ; 4-byte Folded Spill
	v_cmpx_ne_u16_e32 0x80, v4
	s_cbranch_execz .LBB302_953
; %bb.948:                              ;   in Loop: Header=BB302_10 Depth=1
	v_mov_b32_e32 v0, 0x7f
	s_mov_b32 s17, exec_lo
	v_and_b32_sdwa v2, v4, v0 dst_sel:DWORD dst_unused:UNUSED_PAD src0_sel:WORD_0 src1_sel:DWORD
	v_mov_b32_e32 v0, 0x7c010000
	buffer_store_dword v0, off, s[0:3], s32 offset:632 ; 4-byte Folded Spill
	v_cmpx_ne_u32_e32 0x7f, v2
	s_cbranch_execz .LBB302_952
; %bb.949:                              ;   in Loop: Header=BB302_10 Depth=1
	v_mov_b32_e32 v0, 7
	v_lshrrev_b32_e32 v1, 3, v2
	s_mov_b32 s19, exec_lo
	v_and_b32_sdwa v0, v4, v0 dst_sel:DWORD dst_unused:UNUSED_PAD src0_sel:WORD_0 src1_sel:DWORD
	v_cmpx_gt_u32_e32 8, v2
; %bb.950:                              ;   in Loop: Header=BB302_10 Depth=1
	v_ffbh_u32_e32 v0, v0
	v_min_u32_e32 v2, 32, v0
	v_subrev_nc_u32_e32 v0, 28, v2
	v_lshlrev_b64 v[0:1], v0, v[4:5]
	v_sub_nc_u32_e32 v1, 29, v2
	v_and_b32_e32 v0, 7, v0
; %bb.951:                              ;   in Loop: Header=BB302_10 Depth=1
	s_or_b32 exec_lo, exec_lo, s19
	v_mov_b32_e32 v2, 8
	v_lshl_add_u32 v1, v1, 10, 0x2000
	v_lshlrev_b32_e32 v0, 23, v0
	v_lshlrev_b32_sdwa v2, v2, v4 dst_sel:DWORD dst_unused:UNUSED_PAD src0_sel:DWORD src1_sel:WORD_0
	v_and_or_b32 v1, 0x8000, v2, v1
	v_lshl_or_b32 v0, v1, 16, v0
	buffer_store_dword v0, off, s[0:3], s32 offset:632 ; 4-byte Folded Spill
.LBB302_952:                            ;   in Loop: Header=BB302_10 Depth=1
	s_or_b32 exec_lo, exec_lo, s17
.LBB302_953:                            ;   in Loop: Header=BB302_10 Depth=1
	s_or_b32 exec_lo, exec_lo, s12
.LBB302_954:                            ;   in Loop: Header=BB302_10 Depth=1
	s_or_b32 exec_lo, exec_lo, s11
	v_lshrrev_b32_e32 v4, 16, v27
	v_cmp_ne_u16_sdwa s5, v4, v5 src0_sel:BYTE_0 src1_sel:DWORD
	s_and_saveexec_b32 s11, s5
	s_cbranch_execz .LBB302_962
; %bb.955:                              ;   in Loop: Header=BB302_10 Depth=1
	v_cmp_ne_u16_sdwa s5, v4, v99 src0_sel:BYTE_0 src1_sel:DWORD
	v_mov_b32_e32 v0, 0x8000
	buffer_store_dword v0, off, s[0:3], s32 offset:628 ; 4-byte Folded Spill
	s_and_saveexec_b32 s12, s5
	s_cbranch_execz .LBB302_961
; %bb.956:                              ;   in Loop: Header=BB302_10 Depth=1
	v_bfe_u32 v2, v27, 16, 7
	v_mov_b32_e32 v0, 0x7c01
	s_mov_b32 s17, exec_lo
	buffer_store_dword v0, off, s[0:3], s32 offset:628 ; 4-byte Folded Spill
	v_cmpx_ne_u32_e32 0x7f, v2
	s_cbranch_execz .LBB302_960
; %bb.957:                              ;   in Loop: Header=BB302_10 Depth=1
	v_and_b32_e32 v0, 7, v4
	v_lshrrev_b32_e32 v1, 3, v2
	s_mov_b32 s19, exec_lo
	v_cmpx_gt_u32_e32 8, v2
; %bb.958:                              ;   in Loop: Header=BB302_10 Depth=1
	v_ffbh_u32_e32 v0, v0
	v_min_u32_e32 v2, 32, v0
	v_subrev_nc_u32_e32 v0, 28, v2
	v_lshlrev_b64 v[0:1], v0, v[4:5]
	v_sub_nc_u32_e32 v1, 29, v2
	v_and_b32_e32 v0, 7, v0
; %bb.959:                              ;   in Loop: Header=BB302_10 Depth=1
	s_or_b32 exec_lo, exec_lo, s19
	v_lshlrev_b32_e32 v2, 8, v4
	v_lshl_add_u32 v1, v1, 10, 0x2000
	v_lshlrev_b32_e32 v0, 7, v0
	v_and_b32_e32 v2, 0x8000, v2
	v_and_b32_e32 v1, 0xfc00, v1
	v_or3_b32 v0, v2, v1, v0
	buffer_store_dword v0, off, s[0:3], s32 offset:628 ; 4-byte Folded Spill
.LBB302_960:                            ;   in Loop: Header=BB302_10 Depth=1
	s_or_b32 exec_lo, exec_lo, s17
.LBB302_961:                            ;   in Loop: Header=BB302_10 Depth=1
	s_or_b32 exec_lo, exec_lo, s12
.LBB302_962:                            ;   in Loop: Header=BB302_10 Depth=1
	s_or_b32 exec_lo, exec_lo, s11
	v_mov_b32_e32 v0, 0
	s_mov_b32 s11, exec_lo
	buffer_store_dword v0, off, s[0:3], s32 offset:636 ; 4-byte Folded Spill
	v_mov_b32_e32 v0, 0
	buffer_store_dword v0, off, s[0:3], s32 offset:772 ; 4-byte Folded Spill
	v_cmpx_lt_u64_e64 s[6:7], v[26:27]
	s_cbranch_execz .LBB302_970
; %bb.963:                              ;   in Loop: Header=BB302_10 Depth=1
	v_lshrrev_b32_e32 v4, 24, v27
	v_bfrev_b32_e32 v0, 1
	s_mov_b32 s12, exec_lo
	v_cmpx_ne_u32_e32 0x80, v4
	s_cbranch_execz .LBB302_969
; %bb.964:                              ;   in Loop: Header=BB302_10 Depth=1
	v_and_b32_e32 v2, 0x7f, v4
	v_mov_b32_e32 v0, 0x7c010000
	s_mov_b32 s17, exec_lo
	v_cmpx_ne_u32_e32 0x7f, v2
	s_cbranch_execz .LBB302_968
; %bb.965:                              ;   in Loop: Header=BB302_10 Depth=1
	v_and_b32_e32 v0, 7, v4
	v_lshrrev_b32_e32 v1, 3, v2
	s_mov_b32 s19, exec_lo
	v_cmpx_gt_u32_e32 8, v2
; %bb.966:                              ;   in Loop: Header=BB302_10 Depth=1
	v_ffbh_u32_e32 v0, v0
	v_min_u32_e32 v2, 32, v0
	v_subrev_nc_u32_e32 v0, 28, v2
	v_lshlrev_b64 v[0:1], v0, v[4:5]
	v_sub_nc_u32_e32 v1, 29, v2
	v_and_b32_e32 v0, 7, v0
; %bb.967:                              ;   in Loop: Header=BB302_10 Depth=1
	s_or_b32 exec_lo, exec_lo, s19
	v_lshlrev_b32_e32 v2, 8, v4
	v_lshl_add_u32 v1, v1, 10, 0x2000
	v_lshlrev_b32_e32 v0, 23, v0
	v_and_or_b32 v1, 0x8000, v2, v1
	v_lshl_or_b32 v0, v1, 16, v0
.LBB302_968:                            ;   in Loop: Header=BB302_10 Depth=1
	s_or_b32 exec_lo, exec_lo, s17
.LBB302_969:                            ;   in Loop: Header=BB302_10 Depth=1
	s_or_b32 exec_lo, exec_lo, s12
	buffer_store_dword v0, off, s[0:3], s32 offset:772 ; 4-byte Folded Spill
.LBB302_970:                            ;   in Loop: Header=BB302_10 Depth=1
	s_or_b32 exec_lo, exec_lo, s11
	flat_load_dwordx2 v[24:25], v[24:25] offset:1544
	s_waitcnt vmcnt(0) lgkmcnt(0)
	v_cmp_ne_u16_sdwa s5, v24, v5 src0_sel:BYTE_0 src1_sel:DWORD
	s_and_saveexec_b32 s11, s5
	s_cbranch_execz .LBB302_978
; %bb.971:                              ;   in Loop: Header=BB302_10 Depth=1
	v_cmp_ne_u16_sdwa s5, v24, v99 src0_sel:BYTE_0 src1_sel:DWORD
	v_mov_b32_e32 v0, 0x8000
	buffer_store_dword v0, off, s[0:3], s32 offset:636 ; 4-byte Folded Spill
	s_and_saveexec_b32 s12, s5
	s_cbranch_execz .LBB302_977
; %bb.972:                              ;   in Loop: Header=BB302_10 Depth=1
	v_and_b32_e32 v2, 0x7f, v24
	v_mov_b32_e32 v0, 0x7c01
	s_mov_b32 s17, exec_lo
	buffer_store_dword v0, off, s[0:3], s32 offset:636 ; 4-byte Folded Spill
	v_cmpx_ne_u32_e32 0x7f, v2
	s_cbranch_execz .LBB302_976
; %bb.973:                              ;   in Loop: Header=BB302_10 Depth=1
	v_and_b32_e32 v0, 7, v24
	v_lshrrev_b32_e32 v1, 3, v2
	s_mov_b32 s19, exec_lo
	v_cmpx_gt_u32_e32 8, v2
; %bb.974:                              ;   in Loop: Header=BB302_10 Depth=1
	v_ffbh_u32_e32 v0, v0
	v_min_u32_e32 v2, 32, v0
	v_subrev_nc_u32_e32 v0, 28, v2
	v_lshlrev_b64 v[0:1], v0, v[24:25]
	v_sub_nc_u32_e32 v1, 29, v2
	v_and_b32_e32 v0, 7, v0
; %bb.975:                              ;   in Loop: Header=BB302_10 Depth=1
	s_or_b32 exec_lo, exec_lo, s19
	v_lshlrev_b32_e32 v2, 8, v24
	v_lshl_add_u32 v1, v1, 10, 0x2000
	v_lshlrev_b32_e32 v0, 7, v0
	v_and_b32_e32 v2, 0x8000, v2
	v_and_b32_e32 v1, 0xfc00, v1
	v_or3_b32 v0, v2, v1, v0
	buffer_store_dword v0, off, s[0:3], s32 offset:636 ; 4-byte Folded Spill
.LBB302_976:                            ;   in Loop: Header=BB302_10 Depth=1
	s_or_b32 exec_lo, exec_lo, s17
.LBB302_977:                            ;   in Loop: Header=BB302_10 Depth=1
	s_or_b32 exec_lo, exec_lo, s12
.LBB302_978:                            ;   in Loop: Header=BB302_10 Depth=1
	s_or_b32 exec_lo, exec_lo, s11
	v_mov_b32_e32 v0, 0
	v_lshrrev_b16 v4, 8, v24
	s_mov_b32 s11, exec_lo
	buffer_store_dword v0, off, s[0:3], s32 offset:644 ; 4-byte Folded Spill
	v_mov_b32_e32 v0, 0
	buffer_store_dword v0, off, s[0:3], s32 offset:640 ; 4-byte Folded Spill
	v_cmpx_ne_u16_e32 0, v4
	s_cbranch_execz .LBB302_986
; %bb.979:                              ;   in Loop: Header=BB302_10 Depth=1
	v_bfrev_b32_e32 v0, 1
	s_mov_b32 s12, exec_lo
	buffer_store_dword v0, off, s[0:3], s32 offset:640 ; 4-byte Folded Spill
	v_cmpx_ne_u16_e32 0x80, v4
	s_cbranch_execz .LBB302_985
; %bb.980:                              ;   in Loop: Header=BB302_10 Depth=1
	v_mov_b32_e32 v0, 0x7f
	s_mov_b32 s17, exec_lo
	v_and_b32_sdwa v2, v4, v0 dst_sel:DWORD dst_unused:UNUSED_PAD src0_sel:WORD_0 src1_sel:DWORD
	v_mov_b32_e32 v0, 0x7c010000
	buffer_store_dword v0, off, s[0:3], s32 offset:640 ; 4-byte Folded Spill
	v_cmpx_ne_u32_e32 0x7f, v2
	s_cbranch_execz .LBB302_984
; %bb.981:                              ;   in Loop: Header=BB302_10 Depth=1
	v_mov_b32_e32 v0, 7
	v_lshrrev_b32_e32 v1, 3, v2
	s_mov_b32 s19, exec_lo
	v_and_b32_sdwa v0, v4, v0 dst_sel:DWORD dst_unused:UNUSED_PAD src0_sel:WORD_0 src1_sel:DWORD
	v_cmpx_gt_u32_e32 8, v2
; %bb.982:                              ;   in Loop: Header=BB302_10 Depth=1
	v_ffbh_u32_e32 v0, v0
	v_min_u32_e32 v2, 32, v0
	v_subrev_nc_u32_e32 v0, 28, v2
	v_lshlrev_b64 v[0:1], v0, v[4:5]
	v_sub_nc_u32_e32 v1, 29, v2
	v_and_b32_e32 v0, 7, v0
; %bb.983:                              ;   in Loop: Header=BB302_10 Depth=1
	s_or_b32 exec_lo, exec_lo, s19
	v_mov_b32_e32 v2, 8
	v_lshl_add_u32 v1, v1, 10, 0x2000
	v_lshlrev_b32_e32 v0, 23, v0
	v_lshlrev_b32_sdwa v2, v2, v4 dst_sel:DWORD dst_unused:UNUSED_PAD src0_sel:DWORD src1_sel:WORD_0
	v_and_or_b32 v1, 0x8000, v2, v1
	v_lshl_or_b32 v0, v1, 16, v0
	buffer_store_dword v0, off, s[0:3], s32 offset:640 ; 4-byte Folded Spill
.LBB302_984:                            ;   in Loop: Header=BB302_10 Depth=1
	s_or_b32 exec_lo, exec_lo, s17
.LBB302_985:                            ;   in Loop: Header=BB302_10 Depth=1
	s_or_b32 exec_lo, exec_lo, s12
.LBB302_986:                            ;   in Loop: Header=BB302_10 Depth=1
	s_or_b32 exec_lo, exec_lo, s11
	v_lshrrev_b32_e32 v4, 16, v24
	v_cmp_ne_u16_sdwa s5, v4, v5 src0_sel:BYTE_0 src1_sel:DWORD
	s_and_saveexec_b32 s11, s5
	s_cbranch_execz .LBB302_994
; %bb.987:                              ;   in Loop: Header=BB302_10 Depth=1
	v_cmp_ne_u16_sdwa s5, v4, v99 src0_sel:BYTE_0 src1_sel:DWORD
	v_mov_b32_e32 v0, 0x8000
	buffer_store_dword v0, off, s[0:3], s32 offset:644 ; 4-byte Folded Spill
	s_and_saveexec_b32 s12, s5
	s_cbranch_execz .LBB302_993
; %bb.988:                              ;   in Loop: Header=BB302_10 Depth=1
	v_bfe_u32 v2, v24, 16, 7
	v_mov_b32_e32 v0, 0x7c01
	s_mov_b32 s17, exec_lo
	buffer_store_dword v0, off, s[0:3], s32 offset:644 ; 4-byte Folded Spill
	v_cmpx_ne_u32_e32 0x7f, v2
	s_cbranch_execz .LBB302_992
; %bb.989:                              ;   in Loop: Header=BB302_10 Depth=1
	v_and_b32_e32 v0, 7, v4
	v_lshrrev_b32_e32 v1, 3, v2
	s_mov_b32 s19, exec_lo
	v_cmpx_gt_u32_e32 8, v2
; %bb.990:                              ;   in Loop: Header=BB302_10 Depth=1
	v_ffbh_u32_e32 v0, v0
	v_min_u32_e32 v2, 32, v0
	v_subrev_nc_u32_e32 v0, 28, v2
	v_lshlrev_b64 v[0:1], v0, v[4:5]
	v_sub_nc_u32_e32 v1, 29, v2
	v_and_b32_e32 v0, 7, v0
; %bb.991:                              ;   in Loop: Header=BB302_10 Depth=1
	s_or_b32 exec_lo, exec_lo, s19
	v_lshlrev_b32_e32 v2, 8, v4
	v_lshl_add_u32 v1, v1, 10, 0x2000
	v_lshlrev_b32_e32 v0, 7, v0
	v_and_b32_e32 v2, 0x8000, v2
	v_and_b32_e32 v1, 0xfc00, v1
	v_or3_b32 v0, v2, v1, v0
	buffer_store_dword v0, off, s[0:3], s32 offset:644 ; 4-byte Folded Spill
.LBB302_992:                            ;   in Loop: Header=BB302_10 Depth=1
	s_or_b32 exec_lo, exec_lo, s17
.LBB302_993:                            ;   in Loop: Header=BB302_10 Depth=1
	s_or_b32 exec_lo, exec_lo, s12
.LBB302_994:                            ;   in Loop: Header=BB302_10 Depth=1
	s_or_b32 exec_lo, exec_lo, s11
	v_mov_b32_e32 v0, 0
	v_mov_b32_e32 v39, 0
	s_mov_b32 s11, exec_lo
	buffer_store_dword v0, off, s[0:3], s32 offset:648 ; 4-byte Folded Spill
	v_cmpx_lt_u32_e32 0xffffff, v24
	s_cbranch_execz .LBB302_1002
; %bb.995:                              ;   in Loop: Header=BB302_10 Depth=1
	v_lshrrev_b32_e32 v4, 24, v24
	v_bfrev_b32_e32 v39, 1
	s_mov_b32 s12, exec_lo
	v_cmpx_ne_u32_e32 0x80, v4
	s_cbranch_execz .LBB302_1001
; %bb.996:                              ;   in Loop: Header=BB302_10 Depth=1
	v_and_b32_e32 v2, 0x7f, v4
	v_mov_b32_e32 v39, 0x7c010000
	s_mov_b32 s17, exec_lo
	v_cmpx_ne_u32_e32 0x7f, v2
	s_cbranch_execz .LBB302_1000
; %bb.997:                              ;   in Loop: Header=BB302_10 Depth=1
	v_and_b32_e32 v0, 7, v4
	v_lshrrev_b32_e32 v1, 3, v2
	s_mov_b32 s19, exec_lo
	v_cmpx_gt_u32_e32 8, v2
; %bb.998:                              ;   in Loop: Header=BB302_10 Depth=1
	v_ffbh_u32_e32 v0, v0
	v_min_u32_e32 v2, 32, v0
	v_subrev_nc_u32_e32 v0, 28, v2
	v_lshlrev_b64 v[0:1], v0, v[4:5]
	v_sub_nc_u32_e32 v1, 29, v2
	v_and_b32_e32 v0, 7, v0
; %bb.999:                              ;   in Loop: Header=BB302_10 Depth=1
	s_or_b32 exec_lo, exec_lo, s19
	v_lshlrev_b32_e32 v2, 8, v4
	v_lshl_add_u32 v1, v1, 10, 0x2000
	v_lshlrev_b32_e32 v0, 23, v0
	v_and_or_b32 v1, 0x8000, v2, v1
	v_lshl_or_b32 v39, v1, 16, v0
.LBB302_1000:                           ;   in Loop: Header=BB302_10 Depth=1
	s_or_b32 exec_lo, exec_lo, s17
.LBB302_1001:                           ;   in Loop: Header=BB302_10 Depth=1
	s_or_b32 exec_lo, exec_lo, s12
.LBB302_1002:                           ;   in Loop: Header=BB302_10 Depth=1
	s_or_b32 exec_lo, exec_lo, s11
	v_mov_b32_e32 v4, v25
	v_cmp_ne_u16_sdwa s5, v25, v5 src0_sel:BYTE_0 src1_sel:DWORD
	s_and_saveexec_b32 s11, s5
	s_cbranch_execz .LBB302_1010
; %bb.1003:                             ;   in Loop: Header=BB302_10 Depth=1
	v_cmp_ne_u16_sdwa s5, v25, v99 src0_sel:BYTE_0 src1_sel:DWORD
	v_mov_b32_e32 v0, 0x8000
	buffer_store_dword v0, off, s[0:3], s32 offset:648 ; 4-byte Folded Spill
	s_and_saveexec_b32 s12, s5
	s_cbranch_execz .LBB302_1009
; %bb.1004:                             ;   in Loop: Header=BB302_10 Depth=1
	v_and_b32_e32 v2, 0x7f, v25
	v_mov_b32_e32 v0, 0x7c01
	s_mov_b32 s17, exec_lo
	buffer_store_dword v0, off, s[0:3], s32 offset:648 ; 4-byte Folded Spill
	v_cmpx_ne_u32_e32 0x7f, v2
	s_cbranch_execz .LBB302_1008
; %bb.1005:                             ;   in Loop: Header=BB302_10 Depth=1
	v_and_b32_e32 v0, 7, v25
	v_lshrrev_b32_e32 v1, 3, v2
	s_mov_b32 s19, exec_lo
	v_cmpx_gt_u32_e32 8, v2
; %bb.1006:                             ;   in Loop: Header=BB302_10 Depth=1
	v_ffbh_u32_e32 v0, v0
	v_min_u32_e32 v2, 32, v0
	v_subrev_nc_u32_e32 v0, 28, v2
	v_lshlrev_b64 v[0:1], v0, v[4:5]
	v_sub_nc_u32_e32 v1, 29, v2
	v_and_b32_e32 v0, 7, v0
; %bb.1007:                             ;   in Loop: Header=BB302_10 Depth=1
	s_or_b32 exec_lo, exec_lo, s19
	v_lshlrev_b32_e32 v2, 8, v25
	v_lshl_add_u32 v1, v1, 10, 0x2000
	v_lshlrev_b32_e32 v0, 7, v0
	v_and_b32_e32 v2, 0x8000, v2
	v_and_b32_e32 v1, 0xfc00, v1
	v_or3_b32 v0, v2, v1, v0
	buffer_store_dword v0, off, s[0:3], s32 offset:648 ; 4-byte Folded Spill
.LBB302_1008:                           ;   in Loop: Header=BB302_10 Depth=1
	s_or_b32 exec_lo, exec_lo, s17
.LBB302_1009:                           ;   in Loop: Header=BB302_10 Depth=1
	s_or_b32 exec_lo, exec_lo, s12
.LBB302_1010:                           ;   in Loop: Header=BB302_10 Depth=1
	s_or_b32 exec_lo, exec_lo, s11
	v_lshrrev_b16 v4, 8, v4
	v_mov_b32_e32 v0, 0
	v_mov_b32_e32 v64, 0
	s_mov_b32 s11, exec_lo
	buffer_store_dword v0, off, s[0:3], s32 offset:652 ; 4-byte Folded Spill
	v_cmpx_ne_u16_e32 0, v4
	s_cbranch_execz .LBB302_1018
; %bb.1011:                             ;   in Loop: Header=BB302_10 Depth=1
	v_bfrev_b32_e32 v64, 1
	s_mov_b32 s12, exec_lo
	v_cmpx_ne_u16_e32 0x80, v4
	s_cbranch_execz .LBB302_1017
; %bb.1012:                             ;   in Loop: Header=BB302_10 Depth=1
	v_mov_b32_e32 v0, 0x7f
	v_mov_b32_e32 v64, 0x7c010000
	s_mov_b32 s17, exec_lo
	v_and_b32_sdwa v2, v4, v0 dst_sel:DWORD dst_unused:UNUSED_PAD src0_sel:WORD_0 src1_sel:DWORD
	v_cmpx_ne_u32_e32 0x7f, v2
	s_cbranch_execz .LBB302_1016
; %bb.1013:                             ;   in Loop: Header=BB302_10 Depth=1
	v_mov_b32_e32 v0, 7
	v_lshrrev_b32_e32 v1, 3, v2
	s_mov_b32 s19, exec_lo
	v_and_b32_sdwa v0, v4, v0 dst_sel:DWORD dst_unused:UNUSED_PAD src0_sel:WORD_0 src1_sel:DWORD
	v_cmpx_gt_u32_e32 8, v2
; %bb.1014:                             ;   in Loop: Header=BB302_10 Depth=1
	v_ffbh_u32_e32 v0, v0
	v_min_u32_e32 v2, 32, v0
	v_subrev_nc_u32_e32 v0, 28, v2
	v_lshlrev_b64 v[0:1], v0, v[4:5]
	v_sub_nc_u32_e32 v1, 29, v2
	v_and_b32_e32 v0, 7, v0
; %bb.1015:                             ;   in Loop: Header=BB302_10 Depth=1
	s_or_b32 exec_lo, exec_lo, s19
	v_mov_b32_e32 v2, 8
	v_lshl_add_u32 v1, v1, 10, 0x2000
	v_lshlrev_b32_e32 v0, 23, v0
	v_lshlrev_b32_sdwa v2, v2, v4 dst_sel:DWORD dst_unused:UNUSED_PAD src0_sel:DWORD src1_sel:WORD_0
	v_and_or_b32 v1, 0x8000, v2, v1
	v_lshl_or_b32 v64, v1, 16, v0
.LBB302_1016:                           ;   in Loop: Header=BB302_10 Depth=1
	s_or_b32 exec_lo, exec_lo, s17
.LBB302_1017:                           ;   in Loop: Header=BB302_10 Depth=1
	s_or_b32 exec_lo, exec_lo, s12
.LBB302_1018:                           ;   in Loop: Header=BB302_10 Depth=1
	s_or_b32 exec_lo, exec_lo, s11
	v_lshrrev_b32_e32 v4, 16, v25
	v_cmp_ne_u16_sdwa s5, v4, v5 src0_sel:BYTE_0 src1_sel:DWORD
	s_and_saveexec_b32 s11, s5
	s_cbranch_execz .LBB302_1026
; %bb.1019:                             ;   in Loop: Header=BB302_10 Depth=1
	v_cmp_ne_u16_sdwa s5, v4, v99 src0_sel:BYTE_0 src1_sel:DWORD
	v_mov_b32_e32 v0, 0x8000
	buffer_store_dword v0, off, s[0:3], s32 offset:652 ; 4-byte Folded Spill
	s_and_saveexec_b32 s12, s5
	s_cbranch_execz .LBB302_1025
; %bb.1020:                             ;   in Loop: Header=BB302_10 Depth=1
	v_bfe_u32 v2, v25, 16, 7
	v_mov_b32_e32 v0, 0x7c01
	s_mov_b32 s17, exec_lo
	buffer_store_dword v0, off, s[0:3], s32 offset:652 ; 4-byte Folded Spill
	v_cmpx_ne_u32_e32 0x7f, v2
	s_cbranch_execz .LBB302_1024
; %bb.1021:                             ;   in Loop: Header=BB302_10 Depth=1
	v_and_b32_e32 v0, 7, v4
	v_lshrrev_b32_e32 v1, 3, v2
	s_mov_b32 s19, exec_lo
	v_cmpx_gt_u32_e32 8, v2
; %bb.1022:                             ;   in Loop: Header=BB302_10 Depth=1
	v_ffbh_u32_e32 v0, v0
	v_min_u32_e32 v2, 32, v0
	v_subrev_nc_u32_e32 v0, 28, v2
	v_lshlrev_b64 v[0:1], v0, v[4:5]
	v_sub_nc_u32_e32 v1, 29, v2
	v_and_b32_e32 v0, 7, v0
; %bb.1023:                             ;   in Loop: Header=BB302_10 Depth=1
	s_or_b32 exec_lo, exec_lo, s19
	v_lshlrev_b32_e32 v2, 8, v4
	v_lshl_add_u32 v1, v1, 10, 0x2000
	v_lshlrev_b32_e32 v0, 7, v0
	v_and_b32_e32 v2, 0x8000, v2
	v_and_b32_e32 v1, 0xfc00, v1
	v_or3_b32 v0, v2, v1, v0
	buffer_store_dword v0, off, s[0:3], s32 offset:652 ; 4-byte Folded Spill
.LBB302_1024:                           ;   in Loop: Header=BB302_10 Depth=1
	s_or_b32 exec_lo, exec_lo, s17
.LBB302_1025:                           ;   in Loop: Header=BB302_10 Depth=1
	s_or_b32 exec_lo, exec_lo, s12
.LBB302_1026:                           ;   in Loop: Header=BB302_10 Depth=1
	s_or_b32 exec_lo, exec_lo, s11
	v_mov_b32_e32 v0, 0
	v_mov_b32_e32 v50, 0
	s_mov_b32 s11, exec_lo
	buffer_store_dword v0, off, s[0:3], s32 offset:656 ; 4-byte Folded Spill
	v_cmpx_lt_u64_e64 s[6:7], v[24:25]
	s_cbranch_execz .LBB302_1034
; %bb.1027:                             ;   in Loop: Header=BB302_10 Depth=1
	v_lshrrev_b32_e32 v4, 24, v25
	v_bfrev_b32_e32 v50, 1
	s_mov_b32 s12, exec_lo
	v_cmpx_ne_u32_e32 0x80, v4
	s_cbranch_execz .LBB302_1033
; %bb.1028:                             ;   in Loop: Header=BB302_10 Depth=1
	v_and_b32_e32 v2, 0x7f, v4
	v_mov_b32_e32 v50, 0x7c010000
	s_mov_b32 s17, exec_lo
	v_cmpx_ne_u32_e32 0x7f, v2
	s_cbranch_execz .LBB302_1032
; %bb.1029:                             ;   in Loop: Header=BB302_10 Depth=1
	v_and_b32_e32 v0, 7, v4
	v_lshrrev_b32_e32 v1, 3, v2
	s_mov_b32 s19, exec_lo
	v_cmpx_gt_u32_e32 8, v2
; %bb.1030:                             ;   in Loop: Header=BB302_10 Depth=1
	v_ffbh_u32_e32 v0, v0
	v_min_u32_e32 v2, 32, v0
	v_subrev_nc_u32_e32 v0, 28, v2
	v_lshlrev_b64 v[0:1], v0, v[4:5]
	v_sub_nc_u32_e32 v1, 29, v2
	v_and_b32_e32 v0, 7, v0
; %bb.1031:                             ;   in Loop: Header=BB302_10 Depth=1
	s_or_b32 exec_lo, exec_lo, s19
	v_lshlrev_b32_e32 v2, 8, v4
	v_lshl_add_u32 v1, v1, 10, 0x2000
	v_lshlrev_b32_e32 v0, 23, v0
	v_and_or_b32 v1, 0x8000, v2, v1
	v_lshl_or_b32 v50, v1, 16, v0
.LBB302_1032:                           ;   in Loop: Header=BB302_10 Depth=1
	s_or_b32 exec_lo, exec_lo, s17
.LBB302_1033:                           ;   in Loop: Header=BB302_10 Depth=1
	s_or_b32 exec_lo, exec_lo, s12
.LBB302_1034:                           ;   in Loop: Header=BB302_10 Depth=1
	s_or_b32 exec_lo, exec_lo, s11
	v_add_co_u32 v24, s5, 0x1000, v16
	v_add_co_ci_u32_e64 v25, null, 0, v17, s5
	flat_load_dwordx2 v[26:27], v[24:25]
	s_waitcnt vmcnt(0) lgkmcnt(0)
	v_cmp_ne_u16_sdwa s5, v26, v5 src0_sel:BYTE_0 src1_sel:DWORD
	s_and_saveexec_b32 s11, s5
	s_cbranch_execz .LBB302_1042
; %bb.1035:                             ;   in Loop: Header=BB302_10 Depth=1
	v_cmp_ne_u16_sdwa s5, v26, v99 src0_sel:BYTE_0 src1_sel:DWORD
	v_mov_b32_e32 v0, 0x8000
	buffer_store_dword v0, off, s[0:3], s32 offset:656 ; 4-byte Folded Spill
	s_and_saveexec_b32 s12, s5
	s_cbranch_execz .LBB302_1041
; %bb.1036:                             ;   in Loop: Header=BB302_10 Depth=1
	v_and_b32_e32 v2, 0x7f, v26
	v_mov_b32_e32 v0, 0x7c01
	s_mov_b32 s17, exec_lo
	buffer_store_dword v0, off, s[0:3], s32 offset:656 ; 4-byte Folded Spill
	v_cmpx_ne_u32_e32 0x7f, v2
	s_cbranch_execz .LBB302_1040
; %bb.1037:                             ;   in Loop: Header=BB302_10 Depth=1
	v_and_b32_e32 v0, 7, v26
	v_lshrrev_b32_e32 v1, 3, v2
	s_mov_b32 s19, exec_lo
	v_cmpx_gt_u32_e32 8, v2
; %bb.1038:                             ;   in Loop: Header=BB302_10 Depth=1
	v_ffbh_u32_e32 v0, v0
	v_min_u32_e32 v2, 32, v0
	v_subrev_nc_u32_e32 v0, 28, v2
	v_lshlrev_b64 v[0:1], v0, v[26:27]
	v_sub_nc_u32_e32 v1, 29, v2
	v_and_b32_e32 v0, 7, v0
; %bb.1039:                             ;   in Loop: Header=BB302_10 Depth=1
	s_or_b32 exec_lo, exec_lo, s19
	v_lshlrev_b32_e32 v2, 8, v26
	v_lshl_add_u32 v1, v1, 10, 0x2000
	v_lshlrev_b32_e32 v0, 7, v0
	v_and_b32_e32 v2, 0x8000, v2
	v_and_b32_e32 v1, 0xfc00, v1
	v_or3_b32 v0, v2, v1, v0
	buffer_store_dword v0, off, s[0:3], s32 offset:656 ; 4-byte Folded Spill
.LBB302_1040:                           ;   in Loop: Header=BB302_10 Depth=1
	s_or_b32 exec_lo, exec_lo, s17
.LBB302_1041:                           ;   in Loop: Header=BB302_10 Depth=1
	s_or_b32 exec_lo, exec_lo, s12
.LBB302_1042:                           ;   in Loop: Header=BB302_10 Depth=1
	s_or_b32 exec_lo, exec_lo, s11
	v_lshrrev_b16 v4, 8, v26
	v_mov_b32_e32 v0, 0
	v_mov_b32_e32 v116, 0
	s_mov_b32 s11, exec_lo
	buffer_store_dword v0, off, s[0:3], s32 offset:660 ; 4-byte Folded Spill
	v_cmpx_ne_u16_e32 0, v4
	s_cbranch_execz .LBB302_1050
; %bb.1043:                             ;   in Loop: Header=BB302_10 Depth=1
	v_bfrev_b32_e32 v116, 1
	s_mov_b32 s12, exec_lo
	v_cmpx_ne_u16_e32 0x80, v4
	s_cbranch_execz .LBB302_1049
; %bb.1044:                             ;   in Loop: Header=BB302_10 Depth=1
	v_mov_b32_e32 v0, 0x7f
	v_mov_b32_e32 v116, 0x7c010000
	s_mov_b32 s17, exec_lo
	v_and_b32_sdwa v2, v4, v0 dst_sel:DWORD dst_unused:UNUSED_PAD src0_sel:WORD_0 src1_sel:DWORD
	v_cmpx_ne_u32_e32 0x7f, v2
	s_cbranch_execz .LBB302_1048
; %bb.1045:                             ;   in Loop: Header=BB302_10 Depth=1
	v_mov_b32_e32 v0, 7
	v_lshrrev_b32_e32 v1, 3, v2
	s_mov_b32 s19, exec_lo
	v_and_b32_sdwa v0, v4, v0 dst_sel:DWORD dst_unused:UNUSED_PAD src0_sel:WORD_0 src1_sel:DWORD
	v_cmpx_gt_u32_e32 8, v2
; %bb.1046:                             ;   in Loop: Header=BB302_10 Depth=1
	v_ffbh_u32_e32 v0, v0
	v_min_u32_e32 v2, 32, v0
	v_subrev_nc_u32_e32 v0, 28, v2
	v_lshlrev_b64 v[0:1], v0, v[4:5]
	v_sub_nc_u32_e32 v1, 29, v2
	v_and_b32_e32 v0, 7, v0
; %bb.1047:                             ;   in Loop: Header=BB302_10 Depth=1
	s_or_b32 exec_lo, exec_lo, s19
	v_mov_b32_e32 v2, 8
	v_lshl_add_u32 v1, v1, 10, 0x2000
	v_lshlrev_b32_e32 v0, 23, v0
	v_lshlrev_b32_sdwa v2, v2, v4 dst_sel:DWORD dst_unused:UNUSED_PAD src0_sel:DWORD src1_sel:WORD_0
	v_and_or_b32 v1, 0x8000, v2, v1
	v_lshl_or_b32 v116, v1, 16, v0
.LBB302_1048:                           ;   in Loop: Header=BB302_10 Depth=1
	s_or_b32 exec_lo, exec_lo, s17
.LBB302_1049:                           ;   in Loop: Header=BB302_10 Depth=1
	s_or_b32 exec_lo, exec_lo, s12
.LBB302_1050:                           ;   in Loop: Header=BB302_10 Depth=1
	s_or_b32 exec_lo, exec_lo, s11
	v_lshrrev_b32_e32 v4, 16, v26
	v_cmp_ne_u16_sdwa s5, v4, v5 src0_sel:BYTE_0 src1_sel:DWORD
	s_and_saveexec_b32 s11, s5
	s_cbranch_execz .LBB302_1058
; %bb.1051:                             ;   in Loop: Header=BB302_10 Depth=1
	v_cmp_ne_u16_sdwa s5, v4, v99 src0_sel:BYTE_0 src1_sel:DWORD
	v_mov_b32_e32 v0, 0x8000
	buffer_store_dword v0, off, s[0:3], s32 offset:660 ; 4-byte Folded Spill
	s_and_saveexec_b32 s12, s5
	s_cbranch_execz .LBB302_1057
; %bb.1052:                             ;   in Loop: Header=BB302_10 Depth=1
	v_bfe_u32 v2, v26, 16, 7
	v_mov_b32_e32 v0, 0x7c01
	s_mov_b32 s17, exec_lo
	buffer_store_dword v0, off, s[0:3], s32 offset:660 ; 4-byte Folded Spill
	v_cmpx_ne_u32_e32 0x7f, v2
	s_cbranch_execz .LBB302_1056
; %bb.1053:                             ;   in Loop: Header=BB302_10 Depth=1
	v_and_b32_e32 v0, 7, v4
	v_lshrrev_b32_e32 v1, 3, v2
	s_mov_b32 s19, exec_lo
	v_cmpx_gt_u32_e32 8, v2
; %bb.1054:                             ;   in Loop: Header=BB302_10 Depth=1
	v_ffbh_u32_e32 v0, v0
	v_min_u32_e32 v2, 32, v0
	v_subrev_nc_u32_e32 v0, 28, v2
	v_lshlrev_b64 v[0:1], v0, v[4:5]
	v_sub_nc_u32_e32 v1, 29, v2
	v_and_b32_e32 v0, 7, v0
; %bb.1055:                             ;   in Loop: Header=BB302_10 Depth=1
	s_or_b32 exec_lo, exec_lo, s19
	v_lshlrev_b32_e32 v2, 8, v4
	v_lshl_add_u32 v1, v1, 10, 0x2000
	v_lshlrev_b32_e32 v0, 7, v0
	v_and_b32_e32 v2, 0x8000, v2
	v_and_b32_e32 v1, 0xfc00, v1
	v_or3_b32 v0, v2, v1, v0
	buffer_store_dword v0, off, s[0:3], s32 offset:660 ; 4-byte Folded Spill
.LBB302_1056:                           ;   in Loop: Header=BB302_10 Depth=1
	s_or_b32 exec_lo, exec_lo, s17
.LBB302_1057:                           ;   in Loop: Header=BB302_10 Depth=1
	s_or_b32 exec_lo, exec_lo, s12
.LBB302_1058:                           ;   in Loop: Header=BB302_10 Depth=1
	s_or_b32 exec_lo, exec_lo, s11
	v_mov_b32_e32 v0, 0
	v_mov_b32_e32 v115, 0
	s_mov_b32 s11, exec_lo
	buffer_store_dword v0, off, s[0:3], s32 offset:664 ; 4-byte Folded Spill
	v_cmpx_lt_u32_e32 0xffffff, v26
	s_cbranch_execz .LBB302_1066
; %bb.1059:                             ;   in Loop: Header=BB302_10 Depth=1
	v_lshrrev_b32_e32 v4, 24, v26
	v_bfrev_b32_e32 v115, 1
	s_mov_b32 s12, exec_lo
	v_cmpx_ne_u32_e32 0x80, v4
	s_cbranch_execz .LBB302_1065
; %bb.1060:                             ;   in Loop: Header=BB302_10 Depth=1
	v_and_b32_e32 v2, 0x7f, v4
	v_mov_b32_e32 v115, 0x7c010000
	s_mov_b32 s17, exec_lo
	v_cmpx_ne_u32_e32 0x7f, v2
	s_cbranch_execz .LBB302_1064
; %bb.1061:                             ;   in Loop: Header=BB302_10 Depth=1
	v_and_b32_e32 v0, 7, v4
	v_lshrrev_b32_e32 v1, 3, v2
	s_mov_b32 s19, exec_lo
	v_cmpx_gt_u32_e32 8, v2
; %bb.1062:                             ;   in Loop: Header=BB302_10 Depth=1
	v_ffbh_u32_e32 v0, v0
	v_min_u32_e32 v2, 32, v0
	v_subrev_nc_u32_e32 v0, 28, v2
	v_lshlrev_b64 v[0:1], v0, v[4:5]
	v_sub_nc_u32_e32 v1, 29, v2
	v_and_b32_e32 v0, 7, v0
; %bb.1063:                             ;   in Loop: Header=BB302_10 Depth=1
	s_or_b32 exec_lo, exec_lo, s19
	v_lshlrev_b32_e32 v2, 8, v4
	v_lshl_add_u32 v1, v1, 10, 0x2000
	v_lshlrev_b32_e32 v0, 23, v0
	v_and_or_b32 v1, 0x8000, v2, v1
	v_lshl_or_b32 v115, v1, 16, v0
.LBB302_1064:                           ;   in Loop: Header=BB302_10 Depth=1
	s_or_b32 exec_lo, exec_lo, s17
.LBB302_1065:                           ;   in Loop: Header=BB302_10 Depth=1
	s_or_b32 exec_lo, exec_lo, s12
.LBB302_1066:                           ;   in Loop: Header=BB302_10 Depth=1
	s_or_b32 exec_lo, exec_lo, s11
	v_mov_b32_e32 v4, v27
	v_cmp_ne_u16_sdwa s5, v27, v5 src0_sel:BYTE_0 src1_sel:DWORD
	s_and_saveexec_b32 s11, s5
	s_cbranch_execz .LBB302_1074
; %bb.1067:                             ;   in Loop: Header=BB302_10 Depth=1
	v_cmp_ne_u16_sdwa s5, v27, v99 src0_sel:BYTE_0 src1_sel:DWORD
	v_mov_b32_e32 v0, 0x8000
	buffer_store_dword v0, off, s[0:3], s32 offset:664 ; 4-byte Folded Spill
	s_and_saveexec_b32 s12, s5
	s_cbranch_execz .LBB302_1073
; %bb.1068:                             ;   in Loop: Header=BB302_10 Depth=1
	v_and_b32_e32 v2, 0x7f, v27
	v_mov_b32_e32 v0, 0x7c01
	s_mov_b32 s17, exec_lo
	buffer_store_dword v0, off, s[0:3], s32 offset:664 ; 4-byte Folded Spill
	v_cmpx_ne_u32_e32 0x7f, v2
	s_cbranch_execz .LBB302_1072
; %bb.1069:                             ;   in Loop: Header=BB302_10 Depth=1
	v_and_b32_e32 v0, 7, v27
	v_lshrrev_b32_e32 v1, 3, v2
	s_mov_b32 s19, exec_lo
	v_cmpx_gt_u32_e32 8, v2
; %bb.1070:                             ;   in Loop: Header=BB302_10 Depth=1
	v_ffbh_u32_e32 v0, v0
	v_min_u32_e32 v2, 32, v0
	v_subrev_nc_u32_e32 v0, 28, v2
	v_lshlrev_b64 v[0:1], v0, v[4:5]
	v_sub_nc_u32_e32 v1, 29, v2
	v_and_b32_e32 v0, 7, v0
; %bb.1071:                             ;   in Loop: Header=BB302_10 Depth=1
	s_or_b32 exec_lo, exec_lo, s19
	v_lshlrev_b32_e32 v2, 8, v27
	v_lshl_add_u32 v1, v1, 10, 0x2000
	v_lshlrev_b32_e32 v0, 7, v0
	v_and_b32_e32 v2, 0x8000, v2
	v_and_b32_e32 v1, 0xfc00, v1
	v_or3_b32 v0, v2, v1, v0
	buffer_store_dword v0, off, s[0:3], s32 offset:664 ; 4-byte Folded Spill
.LBB302_1072:                           ;   in Loop: Header=BB302_10 Depth=1
	s_or_b32 exec_lo, exec_lo, s17
.LBB302_1073:                           ;   in Loop: Header=BB302_10 Depth=1
	s_or_b32 exec_lo, exec_lo, s12
.LBB302_1074:                           ;   in Loop: Header=BB302_10 Depth=1
	s_or_b32 exec_lo, exec_lo, s11
	v_lshrrev_b16 v4, 8, v4
	v_mov_b32_e32 v0, 0
	v_mov_b32_e32 v118, 0
	s_mov_b32 s11, exec_lo
	buffer_store_dword v0, off, s[0:3], s32 offset:668 ; 4-byte Folded Spill
	v_cmpx_ne_u16_e32 0, v4
	s_cbranch_execz .LBB302_1082
; %bb.1075:                             ;   in Loop: Header=BB302_10 Depth=1
	v_bfrev_b32_e32 v118, 1
	s_mov_b32 s12, exec_lo
	v_cmpx_ne_u16_e32 0x80, v4
	s_cbranch_execz .LBB302_1081
; %bb.1076:                             ;   in Loop: Header=BB302_10 Depth=1
	v_mov_b32_e32 v0, 0x7f
	v_mov_b32_e32 v118, 0x7c010000
	s_mov_b32 s17, exec_lo
	v_and_b32_sdwa v2, v4, v0 dst_sel:DWORD dst_unused:UNUSED_PAD src0_sel:WORD_0 src1_sel:DWORD
	v_cmpx_ne_u32_e32 0x7f, v2
	s_cbranch_execz .LBB302_1080
; %bb.1077:                             ;   in Loop: Header=BB302_10 Depth=1
	v_mov_b32_e32 v0, 7
	v_lshrrev_b32_e32 v1, 3, v2
	s_mov_b32 s19, exec_lo
	v_and_b32_sdwa v0, v4, v0 dst_sel:DWORD dst_unused:UNUSED_PAD src0_sel:WORD_0 src1_sel:DWORD
	v_cmpx_gt_u32_e32 8, v2
; %bb.1078:                             ;   in Loop: Header=BB302_10 Depth=1
	v_ffbh_u32_e32 v0, v0
	v_min_u32_e32 v2, 32, v0
	v_subrev_nc_u32_e32 v0, 28, v2
	v_lshlrev_b64 v[0:1], v0, v[4:5]
	v_sub_nc_u32_e32 v1, 29, v2
	v_and_b32_e32 v0, 7, v0
; %bb.1079:                             ;   in Loop: Header=BB302_10 Depth=1
	s_or_b32 exec_lo, exec_lo, s19
	v_mov_b32_e32 v2, 8
	v_lshl_add_u32 v1, v1, 10, 0x2000
	v_lshlrev_b32_e32 v0, 23, v0
	v_lshlrev_b32_sdwa v2, v2, v4 dst_sel:DWORD dst_unused:UNUSED_PAD src0_sel:DWORD src1_sel:WORD_0
	v_and_or_b32 v1, 0x8000, v2, v1
	v_lshl_or_b32 v118, v1, 16, v0
.LBB302_1080:                           ;   in Loop: Header=BB302_10 Depth=1
	s_or_b32 exec_lo, exec_lo, s17
.LBB302_1081:                           ;   in Loop: Header=BB302_10 Depth=1
	s_or_b32 exec_lo, exec_lo, s12
.LBB302_1082:                           ;   in Loop: Header=BB302_10 Depth=1
	s_or_b32 exec_lo, exec_lo, s11
	v_lshrrev_b32_e32 v4, 16, v27
	v_cmp_ne_u16_sdwa s5, v4, v5 src0_sel:BYTE_0 src1_sel:DWORD
	s_and_saveexec_b32 s11, s5
	s_cbranch_execz .LBB302_1090
; %bb.1083:                             ;   in Loop: Header=BB302_10 Depth=1
	v_cmp_ne_u16_sdwa s5, v4, v99 src0_sel:BYTE_0 src1_sel:DWORD
	v_mov_b32_e32 v0, 0x8000
	buffer_store_dword v0, off, s[0:3], s32 offset:668 ; 4-byte Folded Spill
	s_and_saveexec_b32 s12, s5
	s_cbranch_execz .LBB302_1089
; %bb.1084:                             ;   in Loop: Header=BB302_10 Depth=1
	v_bfe_u32 v2, v27, 16, 7
	v_mov_b32_e32 v0, 0x7c01
	s_mov_b32 s17, exec_lo
	buffer_store_dword v0, off, s[0:3], s32 offset:668 ; 4-byte Folded Spill
	v_cmpx_ne_u32_e32 0x7f, v2
	s_cbranch_execz .LBB302_1088
; %bb.1085:                             ;   in Loop: Header=BB302_10 Depth=1
	v_and_b32_e32 v0, 7, v4
	v_lshrrev_b32_e32 v1, 3, v2
	s_mov_b32 s19, exec_lo
	v_cmpx_gt_u32_e32 8, v2
; %bb.1086:                             ;   in Loop: Header=BB302_10 Depth=1
	v_ffbh_u32_e32 v0, v0
	v_min_u32_e32 v2, 32, v0
	v_subrev_nc_u32_e32 v0, 28, v2
	v_lshlrev_b64 v[0:1], v0, v[4:5]
	v_sub_nc_u32_e32 v1, 29, v2
	v_and_b32_e32 v0, 7, v0
; %bb.1087:                             ;   in Loop: Header=BB302_10 Depth=1
	s_or_b32 exec_lo, exec_lo, s19
	v_lshlrev_b32_e32 v2, 8, v4
	v_lshl_add_u32 v1, v1, 10, 0x2000
	v_lshlrev_b32_e32 v0, 7, v0
	v_and_b32_e32 v2, 0x8000, v2
	v_and_b32_e32 v1, 0xfc00, v1
	v_or3_b32 v0, v2, v1, v0
	buffer_store_dword v0, off, s[0:3], s32 offset:668 ; 4-byte Folded Spill
.LBB302_1088:                           ;   in Loop: Header=BB302_10 Depth=1
	s_or_b32 exec_lo, exec_lo, s17
.LBB302_1089:                           ;   in Loop: Header=BB302_10 Depth=1
	s_or_b32 exec_lo, exec_lo, s12
.LBB302_1090:                           ;   in Loop: Header=BB302_10 Depth=1
	s_or_b32 exec_lo, exec_lo, s11
	v_mov_b32_e32 v0, 0
	v_mov_b32_e32 v23, 0
	s_mov_b32 s11, exec_lo
	buffer_store_dword v0, off, s[0:3], s32 offset:672 ; 4-byte Folded Spill
	v_cmpx_lt_u64_e64 s[6:7], v[26:27]
	s_cbranch_execz .LBB302_1098
; %bb.1091:                             ;   in Loop: Header=BB302_10 Depth=1
	v_lshrrev_b32_e32 v4, 24, v27
	v_bfrev_b32_e32 v23, 1
	s_mov_b32 s12, exec_lo
	v_cmpx_ne_u32_e32 0x80, v4
	s_cbranch_execz .LBB302_1097
; %bb.1092:                             ;   in Loop: Header=BB302_10 Depth=1
	v_and_b32_e32 v2, 0x7f, v4
	v_mov_b32_e32 v23, 0x7c010000
	s_mov_b32 s17, exec_lo
	v_cmpx_ne_u32_e32 0x7f, v2
	s_cbranch_execz .LBB302_1096
; %bb.1093:                             ;   in Loop: Header=BB302_10 Depth=1
	v_and_b32_e32 v0, 7, v4
	v_lshrrev_b32_e32 v1, 3, v2
	s_mov_b32 s19, exec_lo
	v_cmpx_gt_u32_e32 8, v2
; %bb.1094:                             ;   in Loop: Header=BB302_10 Depth=1
	v_ffbh_u32_e32 v0, v0
	v_min_u32_e32 v2, 32, v0
	v_subrev_nc_u32_e32 v0, 28, v2
	v_lshlrev_b64 v[0:1], v0, v[4:5]
	v_sub_nc_u32_e32 v1, 29, v2
	v_and_b32_e32 v0, 7, v0
; %bb.1095:                             ;   in Loop: Header=BB302_10 Depth=1
	s_or_b32 exec_lo, exec_lo, s19
	v_lshlrev_b32_e32 v2, 8, v4
	v_lshl_add_u32 v1, v1, 10, 0x2000
	v_lshlrev_b32_e32 v0, 23, v0
	v_and_or_b32 v1, 0x8000, v2, v1
	v_lshl_or_b32 v23, v1, 16, v0
.LBB302_1096:                           ;   in Loop: Header=BB302_10 Depth=1
	s_or_b32 exec_lo, exec_lo, s17
.LBB302_1097:                           ;   in Loop: Header=BB302_10 Depth=1
	s_or_b32 exec_lo, exec_lo, s12
.LBB302_1098:                           ;   in Loop: Header=BB302_10 Depth=1
	s_or_b32 exec_lo, exec_lo, s11
	flat_load_dwordx2 v[26:27], v[24:25] offset:8
	s_waitcnt vmcnt(0) lgkmcnt(0)
	v_cmp_ne_u16_sdwa s5, v26, v5 src0_sel:BYTE_0 src1_sel:DWORD
	s_and_saveexec_b32 s11, s5
	s_cbranch_execz .LBB302_1106
; %bb.1099:                             ;   in Loop: Header=BB302_10 Depth=1
	v_cmp_ne_u16_sdwa s5, v26, v99 src0_sel:BYTE_0 src1_sel:DWORD
	v_mov_b32_e32 v0, 0x8000
	buffer_store_dword v0, off, s[0:3], s32 offset:672 ; 4-byte Folded Spill
	s_and_saveexec_b32 s12, s5
	s_cbranch_execz .LBB302_1105
; %bb.1100:                             ;   in Loop: Header=BB302_10 Depth=1
	v_and_b32_e32 v2, 0x7f, v26
	v_mov_b32_e32 v0, 0x7c01
	s_mov_b32 s17, exec_lo
	buffer_store_dword v0, off, s[0:3], s32 offset:672 ; 4-byte Folded Spill
	v_cmpx_ne_u32_e32 0x7f, v2
	s_cbranch_execz .LBB302_1104
; %bb.1101:                             ;   in Loop: Header=BB302_10 Depth=1
	v_and_b32_e32 v0, 7, v26
	v_lshrrev_b32_e32 v1, 3, v2
	s_mov_b32 s19, exec_lo
	v_cmpx_gt_u32_e32 8, v2
; %bb.1102:                             ;   in Loop: Header=BB302_10 Depth=1
	v_ffbh_u32_e32 v0, v0
	v_min_u32_e32 v2, 32, v0
	v_subrev_nc_u32_e32 v0, 28, v2
	v_lshlrev_b64 v[0:1], v0, v[26:27]
	v_sub_nc_u32_e32 v1, 29, v2
	v_and_b32_e32 v0, 7, v0
; %bb.1103:                             ;   in Loop: Header=BB302_10 Depth=1
	s_or_b32 exec_lo, exec_lo, s19
	v_lshlrev_b32_e32 v2, 8, v26
	v_lshl_add_u32 v1, v1, 10, 0x2000
	v_lshlrev_b32_e32 v0, 7, v0
	v_and_b32_e32 v2, 0x8000, v2
	v_and_b32_e32 v1, 0xfc00, v1
	v_or3_b32 v0, v2, v1, v0
	buffer_store_dword v0, off, s[0:3], s32 offset:672 ; 4-byte Folded Spill
.LBB302_1104:                           ;   in Loop: Header=BB302_10 Depth=1
	s_or_b32 exec_lo, exec_lo, s17
.LBB302_1105:                           ;   in Loop: Header=BB302_10 Depth=1
	s_or_b32 exec_lo, exec_lo, s12
.LBB302_1106:                           ;   in Loop: Header=BB302_10 Depth=1
	s_or_b32 exec_lo, exec_lo, s11
	v_lshrrev_b16 v4, 8, v26
	v_mov_b32_e32 v0, 0
	v_mov_b32_e32 v110, 0
	s_mov_b32 s11, exec_lo
	buffer_store_dword v0, off, s[0:3], s32 offset:676 ; 4-byte Folded Spill
	v_cmpx_ne_u16_e32 0, v4
	s_cbranch_execz .LBB302_1114
; %bb.1107:                             ;   in Loop: Header=BB302_10 Depth=1
	v_bfrev_b32_e32 v110, 1
	s_mov_b32 s12, exec_lo
	v_cmpx_ne_u16_e32 0x80, v4
	s_cbranch_execz .LBB302_1113
; %bb.1108:                             ;   in Loop: Header=BB302_10 Depth=1
	v_mov_b32_e32 v0, 0x7f
	v_mov_b32_e32 v110, 0x7c010000
	s_mov_b32 s17, exec_lo
	v_and_b32_sdwa v2, v4, v0 dst_sel:DWORD dst_unused:UNUSED_PAD src0_sel:WORD_0 src1_sel:DWORD
	v_cmpx_ne_u32_e32 0x7f, v2
	s_cbranch_execz .LBB302_1112
; %bb.1109:                             ;   in Loop: Header=BB302_10 Depth=1
	v_mov_b32_e32 v0, 7
	v_lshrrev_b32_e32 v1, 3, v2
	s_mov_b32 s19, exec_lo
	v_and_b32_sdwa v0, v4, v0 dst_sel:DWORD dst_unused:UNUSED_PAD src0_sel:WORD_0 src1_sel:DWORD
	v_cmpx_gt_u32_e32 8, v2
; %bb.1110:                             ;   in Loop: Header=BB302_10 Depth=1
	v_ffbh_u32_e32 v0, v0
	v_min_u32_e32 v2, 32, v0
	v_subrev_nc_u32_e32 v0, 28, v2
	v_lshlrev_b64 v[0:1], v0, v[4:5]
	v_sub_nc_u32_e32 v1, 29, v2
	v_and_b32_e32 v0, 7, v0
; %bb.1111:                             ;   in Loop: Header=BB302_10 Depth=1
	s_or_b32 exec_lo, exec_lo, s19
	v_mov_b32_e32 v2, 8
	v_lshl_add_u32 v1, v1, 10, 0x2000
	v_lshlrev_b32_e32 v0, 23, v0
	v_lshlrev_b32_sdwa v2, v2, v4 dst_sel:DWORD dst_unused:UNUSED_PAD src0_sel:DWORD src1_sel:WORD_0
	v_and_or_b32 v1, 0x8000, v2, v1
	v_lshl_or_b32 v110, v1, 16, v0
.LBB302_1112:                           ;   in Loop: Header=BB302_10 Depth=1
	s_or_b32 exec_lo, exec_lo, s17
.LBB302_1113:                           ;   in Loop: Header=BB302_10 Depth=1
	s_or_b32 exec_lo, exec_lo, s12
.LBB302_1114:                           ;   in Loop: Header=BB302_10 Depth=1
	s_or_b32 exec_lo, exec_lo, s11
	v_lshrrev_b32_e32 v4, 16, v26
	v_cmp_ne_u16_sdwa s5, v4, v5 src0_sel:BYTE_0 src1_sel:DWORD
	s_and_saveexec_b32 s11, s5
	s_cbranch_execz .LBB302_1122
; %bb.1115:                             ;   in Loop: Header=BB302_10 Depth=1
	v_cmp_ne_u16_sdwa s5, v4, v99 src0_sel:BYTE_0 src1_sel:DWORD
	v_mov_b32_e32 v0, 0x8000
	buffer_store_dword v0, off, s[0:3], s32 offset:676 ; 4-byte Folded Spill
	s_and_saveexec_b32 s12, s5
	s_cbranch_execz .LBB302_1121
; %bb.1116:                             ;   in Loop: Header=BB302_10 Depth=1
	v_bfe_u32 v2, v26, 16, 7
	v_mov_b32_e32 v0, 0x7c01
	s_mov_b32 s17, exec_lo
	buffer_store_dword v0, off, s[0:3], s32 offset:676 ; 4-byte Folded Spill
	v_cmpx_ne_u32_e32 0x7f, v2
	s_cbranch_execz .LBB302_1120
; %bb.1117:                             ;   in Loop: Header=BB302_10 Depth=1
	v_and_b32_e32 v0, 7, v4
	v_lshrrev_b32_e32 v1, 3, v2
	s_mov_b32 s19, exec_lo
	v_cmpx_gt_u32_e32 8, v2
; %bb.1118:                             ;   in Loop: Header=BB302_10 Depth=1
	v_ffbh_u32_e32 v0, v0
	v_min_u32_e32 v2, 32, v0
	v_subrev_nc_u32_e32 v0, 28, v2
	v_lshlrev_b64 v[0:1], v0, v[4:5]
	v_sub_nc_u32_e32 v1, 29, v2
	v_and_b32_e32 v0, 7, v0
; %bb.1119:                             ;   in Loop: Header=BB302_10 Depth=1
	s_or_b32 exec_lo, exec_lo, s19
	v_lshlrev_b32_e32 v2, 8, v4
	v_lshl_add_u32 v1, v1, 10, 0x2000
	v_lshlrev_b32_e32 v0, 7, v0
	v_and_b32_e32 v2, 0x8000, v2
	v_and_b32_e32 v1, 0xfc00, v1
	v_or3_b32 v0, v2, v1, v0
	buffer_store_dword v0, off, s[0:3], s32 offset:676 ; 4-byte Folded Spill
.LBB302_1120:                           ;   in Loop: Header=BB302_10 Depth=1
	s_or_b32 exec_lo, exec_lo, s17
.LBB302_1121:                           ;   in Loop: Header=BB302_10 Depth=1
	s_or_b32 exec_lo, exec_lo, s12
.LBB302_1122:                           ;   in Loop: Header=BB302_10 Depth=1
	s_or_b32 exec_lo, exec_lo, s11
	v_mov_b32_e32 v0, 0
	v_mov_b32_e32 v71, 0
	s_mov_b32 s11, exec_lo
	buffer_store_dword v0, off, s[0:3], s32 offset:680 ; 4-byte Folded Spill
	v_cmpx_lt_u32_e32 0xffffff, v26
	s_cbranch_execz .LBB302_1130
; %bb.1123:                             ;   in Loop: Header=BB302_10 Depth=1
	v_lshrrev_b32_e32 v4, 24, v26
	v_bfrev_b32_e32 v71, 1
	s_mov_b32 s12, exec_lo
	v_cmpx_ne_u32_e32 0x80, v4
	s_cbranch_execz .LBB302_1129
; %bb.1124:                             ;   in Loop: Header=BB302_10 Depth=1
	v_and_b32_e32 v2, 0x7f, v4
	v_mov_b32_e32 v71, 0x7c010000
	s_mov_b32 s17, exec_lo
	v_cmpx_ne_u32_e32 0x7f, v2
	s_cbranch_execz .LBB302_1128
; %bb.1125:                             ;   in Loop: Header=BB302_10 Depth=1
	v_and_b32_e32 v0, 7, v4
	v_lshrrev_b32_e32 v1, 3, v2
	s_mov_b32 s19, exec_lo
	v_cmpx_gt_u32_e32 8, v2
; %bb.1126:                             ;   in Loop: Header=BB302_10 Depth=1
	v_ffbh_u32_e32 v0, v0
	v_min_u32_e32 v2, 32, v0
	v_subrev_nc_u32_e32 v0, 28, v2
	v_lshlrev_b64 v[0:1], v0, v[4:5]
	v_sub_nc_u32_e32 v1, 29, v2
	v_and_b32_e32 v0, 7, v0
; %bb.1127:                             ;   in Loop: Header=BB302_10 Depth=1
	s_or_b32 exec_lo, exec_lo, s19
	v_lshlrev_b32_e32 v2, 8, v4
	v_lshl_add_u32 v1, v1, 10, 0x2000
	v_lshlrev_b32_e32 v0, 23, v0
	v_and_or_b32 v1, 0x8000, v2, v1
	v_lshl_or_b32 v71, v1, 16, v0
.LBB302_1128:                           ;   in Loop: Header=BB302_10 Depth=1
	s_or_b32 exec_lo, exec_lo, s17
.LBB302_1129:                           ;   in Loop: Header=BB302_10 Depth=1
	s_or_b32 exec_lo, exec_lo, s12
.LBB302_1130:                           ;   in Loop: Header=BB302_10 Depth=1
	s_or_b32 exec_lo, exec_lo, s11
	v_mov_b32_e32 v4, v27
	v_cmp_ne_u16_sdwa s5, v27, v5 src0_sel:BYTE_0 src1_sel:DWORD
	s_and_saveexec_b32 s11, s5
	s_cbranch_execz .LBB302_1138
; %bb.1131:                             ;   in Loop: Header=BB302_10 Depth=1
	v_cmp_ne_u16_sdwa s5, v27, v99 src0_sel:BYTE_0 src1_sel:DWORD
	v_mov_b32_e32 v0, 0x8000
	buffer_store_dword v0, off, s[0:3], s32 offset:680 ; 4-byte Folded Spill
	s_and_saveexec_b32 s12, s5
	s_cbranch_execz .LBB302_1137
; %bb.1132:                             ;   in Loop: Header=BB302_10 Depth=1
	v_and_b32_e32 v2, 0x7f, v27
	v_mov_b32_e32 v0, 0x7c01
	s_mov_b32 s17, exec_lo
	buffer_store_dword v0, off, s[0:3], s32 offset:680 ; 4-byte Folded Spill
	v_cmpx_ne_u32_e32 0x7f, v2
	s_cbranch_execz .LBB302_1136
; %bb.1133:                             ;   in Loop: Header=BB302_10 Depth=1
	v_and_b32_e32 v0, 7, v27
	v_lshrrev_b32_e32 v1, 3, v2
	s_mov_b32 s19, exec_lo
	v_cmpx_gt_u32_e32 8, v2
; %bb.1134:                             ;   in Loop: Header=BB302_10 Depth=1
	v_ffbh_u32_e32 v0, v0
	v_min_u32_e32 v2, 32, v0
	v_subrev_nc_u32_e32 v0, 28, v2
	v_lshlrev_b64 v[0:1], v0, v[4:5]
	v_sub_nc_u32_e32 v1, 29, v2
	v_and_b32_e32 v0, 7, v0
; %bb.1135:                             ;   in Loop: Header=BB302_10 Depth=1
	s_or_b32 exec_lo, exec_lo, s19
	v_lshlrev_b32_e32 v2, 8, v27
	v_lshl_add_u32 v1, v1, 10, 0x2000
	v_lshlrev_b32_e32 v0, 7, v0
	v_and_b32_e32 v2, 0x8000, v2
	v_and_b32_e32 v1, 0xfc00, v1
	v_or3_b32 v0, v2, v1, v0
	buffer_store_dword v0, off, s[0:3], s32 offset:680 ; 4-byte Folded Spill
.LBB302_1136:                           ;   in Loop: Header=BB302_10 Depth=1
	s_or_b32 exec_lo, exec_lo, s17
.LBB302_1137:                           ;   in Loop: Header=BB302_10 Depth=1
	s_or_b32 exec_lo, exec_lo, s12
.LBB302_1138:                           ;   in Loop: Header=BB302_10 Depth=1
	s_or_b32 exec_lo, exec_lo, s11
	v_lshrrev_b16 v4, 8, v4
	v_mov_b32_e32 v0, 0
	v_mov_b32_e32 v34, 0
	s_mov_b32 s11, exec_lo
	buffer_store_dword v0, off, s[0:3], s32 offset:684 ; 4-byte Folded Spill
	v_cmpx_ne_u16_e32 0, v4
	s_cbranch_execz .LBB302_1146
; %bb.1139:                             ;   in Loop: Header=BB302_10 Depth=1
	v_bfrev_b32_e32 v34, 1
	s_mov_b32 s12, exec_lo
	v_cmpx_ne_u16_e32 0x80, v4
	s_cbranch_execz .LBB302_1145
; %bb.1140:                             ;   in Loop: Header=BB302_10 Depth=1
	v_mov_b32_e32 v0, 0x7f
	v_mov_b32_e32 v34, 0x7c010000
	s_mov_b32 s17, exec_lo
	v_and_b32_sdwa v2, v4, v0 dst_sel:DWORD dst_unused:UNUSED_PAD src0_sel:WORD_0 src1_sel:DWORD
	v_cmpx_ne_u32_e32 0x7f, v2
	s_cbranch_execz .LBB302_1144
; %bb.1141:                             ;   in Loop: Header=BB302_10 Depth=1
	v_mov_b32_e32 v0, 7
	v_lshrrev_b32_e32 v1, 3, v2
	s_mov_b32 s19, exec_lo
	v_and_b32_sdwa v0, v4, v0 dst_sel:DWORD dst_unused:UNUSED_PAD src0_sel:WORD_0 src1_sel:DWORD
	v_cmpx_gt_u32_e32 8, v2
; %bb.1142:                             ;   in Loop: Header=BB302_10 Depth=1
	v_ffbh_u32_e32 v0, v0
	v_min_u32_e32 v2, 32, v0
	v_subrev_nc_u32_e32 v0, 28, v2
	v_lshlrev_b64 v[0:1], v0, v[4:5]
	v_sub_nc_u32_e32 v1, 29, v2
	v_and_b32_e32 v0, 7, v0
; %bb.1143:                             ;   in Loop: Header=BB302_10 Depth=1
	s_or_b32 exec_lo, exec_lo, s19
	v_mov_b32_e32 v2, 8
	v_lshl_add_u32 v1, v1, 10, 0x2000
	v_lshlrev_b32_e32 v0, 23, v0
	v_lshlrev_b32_sdwa v2, v2, v4 dst_sel:DWORD dst_unused:UNUSED_PAD src0_sel:DWORD src1_sel:WORD_0
	v_and_or_b32 v1, 0x8000, v2, v1
	v_lshl_or_b32 v34, v1, 16, v0
.LBB302_1144:                           ;   in Loop: Header=BB302_10 Depth=1
	s_or_b32 exec_lo, exec_lo, s17
.LBB302_1145:                           ;   in Loop: Header=BB302_10 Depth=1
	s_or_b32 exec_lo, exec_lo, s12
.LBB302_1146:                           ;   in Loop: Header=BB302_10 Depth=1
	s_or_b32 exec_lo, exec_lo, s11
	v_lshrrev_b32_e32 v4, 16, v27
	v_cmp_ne_u16_sdwa s5, v4, v5 src0_sel:BYTE_0 src1_sel:DWORD
	s_and_saveexec_b32 s11, s5
	s_cbranch_execz .LBB302_1154
; %bb.1147:                             ;   in Loop: Header=BB302_10 Depth=1
	v_cmp_ne_u16_sdwa s5, v4, v99 src0_sel:BYTE_0 src1_sel:DWORD
	v_mov_b32_e32 v0, 0x8000
	buffer_store_dword v0, off, s[0:3], s32 offset:684 ; 4-byte Folded Spill
	s_and_saveexec_b32 s12, s5
	s_cbranch_execz .LBB302_1153
; %bb.1148:                             ;   in Loop: Header=BB302_10 Depth=1
	v_bfe_u32 v2, v27, 16, 7
	v_mov_b32_e32 v0, 0x7c01
	s_mov_b32 s17, exec_lo
	buffer_store_dword v0, off, s[0:3], s32 offset:684 ; 4-byte Folded Spill
	v_cmpx_ne_u32_e32 0x7f, v2
	s_cbranch_execz .LBB302_1152
; %bb.1149:                             ;   in Loop: Header=BB302_10 Depth=1
	v_and_b32_e32 v0, 7, v4
	v_lshrrev_b32_e32 v1, 3, v2
	s_mov_b32 s19, exec_lo
	v_cmpx_gt_u32_e32 8, v2
; %bb.1150:                             ;   in Loop: Header=BB302_10 Depth=1
	v_ffbh_u32_e32 v0, v0
	v_min_u32_e32 v2, 32, v0
	v_subrev_nc_u32_e32 v0, 28, v2
	v_lshlrev_b64 v[0:1], v0, v[4:5]
	v_sub_nc_u32_e32 v1, 29, v2
	v_and_b32_e32 v0, 7, v0
; %bb.1151:                             ;   in Loop: Header=BB302_10 Depth=1
	s_or_b32 exec_lo, exec_lo, s19
	v_lshlrev_b32_e32 v2, 8, v4
	v_lshl_add_u32 v1, v1, 10, 0x2000
	v_lshlrev_b32_e32 v0, 7, v0
	v_and_b32_e32 v2, 0x8000, v2
	v_and_b32_e32 v1, 0xfc00, v1
	v_or3_b32 v0, v2, v1, v0
	buffer_store_dword v0, off, s[0:3], s32 offset:684 ; 4-byte Folded Spill
.LBB302_1152:                           ;   in Loop: Header=BB302_10 Depth=1
	s_or_b32 exec_lo, exec_lo, s17
.LBB302_1153:                           ;   in Loop: Header=BB302_10 Depth=1
	s_or_b32 exec_lo, exec_lo, s12
.LBB302_1154:                           ;   in Loop: Header=BB302_10 Depth=1
	s_or_b32 exec_lo, exec_lo, s11
	v_mov_b32_e32 v0, 0
	v_mov_b32_e32 v126, 0
	s_mov_b32 s11, exec_lo
	buffer_store_dword v0, off, s[0:3], s32 offset:688 ; 4-byte Folded Spill
	v_cmpx_lt_u64_e64 s[6:7], v[26:27]
	s_cbranch_execz .LBB302_1162
; %bb.1155:                             ;   in Loop: Header=BB302_10 Depth=1
	v_lshrrev_b32_e32 v4, 24, v27
	v_bfrev_b32_e32 v126, 1
	s_mov_b32 s12, exec_lo
	v_cmpx_ne_u32_e32 0x80, v4
	s_cbranch_execz .LBB302_1161
; %bb.1156:                             ;   in Loop: Header=BB302_10 Depth=1
	v_and_b32_e32 v2, 0x7f, v4
	v_mov_b32_e32 v126, 0x7c010000
	s_mov_b32 s17, exec_lo
	v_cmpx_ne_u32_e32 0x7f, v2
	s_cbranch_execz .LBB302_1160
; %bb.1157:                             ;   in Loop: Header=BB302_10 Depth=1
	v_and_b32_e32 v0, 7, v4
	v_lshrrev_b32_e32 v1, 3, v2
	s_mov_b32 s19, exec_lo
	v_cmpx_gt_u32_e32 8, v2
; %bb.1158:                             ;   in Loop: Header=BB302_10 Depth=1
	v_ffbh_u32_e32 v0, v0
	v_min_u32_e32 v2, 32, v0
	v_subrev_nc_u32_e32 v0, 28, v2
	v_lshlrev_b64 v[0:1], v0, v[4:5]
	v_sub_nc_u32_e32 v1, 29, v2
	v_and_b32_e32 v0, 7, v0
; %bb.1159:                             ;   in Loop: Header=BB302_10 Depth=1
	s_or_b32 exec_lo, exec_lo, s19
	v_lshlrev_b32_e32 v2, 8, v4
	v_lshl_add_u32 v1, v1, 10, 0x2000
	v_lshlrev_b32_e32 v0, 23, v0
	v_and_or_b32 v1, 0x8000, v2, v1
	v_lshl_or_b32 v126, v1, 16, v0
.LBB302_1160:                           ;   in Loop: Header=BB302_10 Depth=1
	s_or_b32 exec_lo, exec_lo, s17
.LBB302_1161:                           ;   in Loop: Header=BB302_10 Depth=1
	s_or_b32 exec_lo, exec_lo, s12
.LBB302_1162:                           ;   in Loop: Header=BB302_10 Depth=1
	s_or_b32 exec_lo, exec_lo, s11
	flat_load_dwordx2 v[26:27], v[24:25] offset:512
	s_waitcnt vmcnt(0) lgkmcnt(0)
	v_cmp_ne_u16_sdwa s5, v26, v5 src0_sel:BYTE_0 src1_sel:DWORD
	s_and_saveexec_b32 s11, s5
	s_cbranch_execz .LBB302_1170
; %bb.1163:                             ;   in Loop: Header=BB302_10 Depth=1
	v_cmp_ne_u16_sdwa s5, v26, v99 src0_sel:BYTE_0 src1_sel:DWORD
	v_mov_b32_e32 v0, 0x8000
	buffer_store_dword v0, off, s[0:3], s32 offset:688 ; 4-byte Folded Spill
	s_and_saveexec_b32 s12, s5
	s_cbranch_execz .LBB302_1169
; %bb.1164:                             ;   in Loop: Header=BB302_10 Depth=1
	v_and_b32_e32 v2, 0x7f, v26
	v_mov_b32_e32 v0, 0x7c01
	s_mov_b32 s17, exec_lo
	buffer_store_dword v0, off, s[0:3], s32 offset:688 ; 4-byte Folded Spill
	v_cmpx_ne_u32_e32 0x7f, v2
	s_cbranch_execz .LBB302_1168
; %bb.1165:                             ;   in Loop: Header=BB302_10 Depth=1
	v_and_b32_e32 v0, 7, v26
	v_lshrrev_b32_e32 v1, 3, v2
	s_mov_b32 s19, exec_lo
	v_cmpx_gt_u32_e32 8, v2
; %bb.1166:                             ;   in Loop: Header=BB302_10 Depth=1
	v_ffbh_u32_e32 v0, v0
	v_min_u32_e32 v2, 32, v0
	v_subrev_nc_u32_e32 v0, 28, v2
	v_lshlrev_b64 v[0:1], v0, v[26:27]
	v_sub_nc_u32_e32 v1, 29, v2
	v_and_b32_e32 v0, 7, v0
; %bb.1167:                             ;   in Loop: Header=BB302_10 Depth=1
	s_or_b32 exec_lo, exec_lo, s19
	v_lshlrev_b32_e32 v2, 8, v26
	v_lshl_add_u32 v1, v1, 10, 0x2000
	v_lshlrev_b32_e32 v0, 7, v0
	v_and_b32_e32 v2, 0x8000, v2
	v_and_b32_e32 v1, 0xfc00, v1
	v_or3_b32 v0, v2, v1, v0
	buffer_store_dword v0, off, s[0:3], s32 offset:688 ; 4-byte Folded Spill
.LBB302_1168:                           ;   in Loop: Header=BB302_10 Depth=1
	s_or_b32 exec_lo, exec_lo, s17
.LBB302_1169:                           ;   in Loop: Header=BB302_10 Depth=1
	s_or_b32 exec_lo, exec_lo, s12
.LBB302_1170:                           ;   in Loop: Header=BB302_10 Depth=1
	s_or_b32 exec_lo, exec_lo, s11
	v_lshrrev_b16 v4, 8, v26
	v_mov_b32_e32 v0, 0
	v_mov_b32_e32 v77, 0
	s_mov_b32 s11, exec_lo
	buffer_store_dword v0, off, s[0:3], s32 offset:692 ; 4-byte Folded Spill
	v_cmpx_ne_u16_e32 0, v4
	s_cbranch_execz .LBB302_1178
; %bb.1171:                             ;   in Loop: Header=BB302_10 Depth=1
	v_bfrev_b32_e32 v77, 1
	s_mov_b32 s12, exec_lo
	v_cmpx_ne_u16_e32 0x80, v4
	s_cbranch_execz .LBB302_1177
; %bb.1172:                             ;   in Loop: Header=BB302_10 Depth=1
	v_mov_b32_e32 v0, 0x7f
	v_mov_b32_e32 v77, 0x7c010000
	s_mov_b32 s17, exec_lo
	v_and_b32_sdwa v2, v4, v0 dst_sel:DWORD dst_unused:UNUSED_PAD src0_sel:WORD_0 src1_sel:DWORD
	v_cmpx_ne_u32_e32 0x7f, v2
	s_cbranch_execz .LBB302_1176
; %bb.1173:                             ;   in Loop: Header=BB302_10 Depth=1
	v_mov_b32_e32 v0, 7
	v_lshrrev_b32_e32 v1, 3, v2
	s_mov_b32 s19, exec_lo
	v_and_b32_sdwa v0, v4, v0 dst_sel:DWORD dst_unused:UNUSED_PAD src0_sel:WORD_0 src1_sel:DWORD
	v_cmpx_gt_u32_e32 8, v2
; %bb.1174:                             ;   in Loop: Header=BB302_10 Depth=1
	v_ffbh_u32_e32 v0, v0
	v_min_u32_e32 v2, 32, v0
	v_subrev_nc_u32_e32 v0, 28, v2
	v_lshlrev_b64 v[0:1], v0, v[4:5]
	v_sub_nc_u32_e32 v1, 29, v2
	v_and_b32_e32 v0, 7, v0
; %bb.1175:                             ;   in Loop: Header=BB302_10 Depth=1
	s_or_b32 exec_lo, exec_lo, s19
	v_mov_b32_e32 v2, 8
	v_lshl_add_u32 v1, v1, 10, 0x2000
	v_lshlrev_b32_e32 v0, 23, v0
	v_lshlrev_b32_sdwa v2, v2, v4 dst_sel:DWORD dst_unused:UNUSED_PAD src0_sel:DWORD src1_sel:WORD_0
	v_and_or_b32 v1, 0x8000, v2, v1
	v_lshl_or_b32 v77, v1, 16, v0
.LBB302_1176:                           ;   in Loop: Header=BB302_10 Depth=1
	s_or_b32 exec_lo, exec_lo, s17
.LBB302_1177:                           ;   in Loop: Header=BB302_10 Depth=1
	s_or_b32 exec_lo, exec_lo, s12
.LBB302_1178:                           ;   in Loop: Header=BB302_10 Depth=1
	s_or_b32 exec_lo, exec_lo, s11
	v_lshrrev_b32_e32 v4, 16, v26
	v_cmp_ne_u16_sdwa s5, v4, v5 src0_sel:BYTE_0 src1_sel:DWORD
	s_and_saveexec_b32 s11, s5
	s_cbranch_execz .LBB302_1186
; %bb.1179:                             ;   in Loop: Header=BB302_10 Depth=1
	v_cmp_ne_u16_sdwa s5, v4, v99 src0_sel:BYTE_0 src1_sel:DWORD
	v_mov_b32_e32 v0, 0x8000
	buffer_store_dword v0, off, s[0:3], s32 offset:692 ; 4-byte Folded Spill
	s_and_saveexec_b32 s12, s5
	s_cbranch_execz .LBB302_1185
; %bb.1180:                             ;   in Loop: Header=BB302_10 Depth=1
	v_bfe_u32 v2, v26, 16, 7
	v_mov_b32_e32 v0, 0x7c01
	s_mov_b32 s17, exec_lo
	buffer_store_dword v0, off, s[0:3], s32 offset:692 ; 4-byte Folded Spill
	v_cmpx_ne_u32_e32 0x7f, v2
	s_cbranch_execz .LBB302_1184
; %bb.1181:                             ;   in Loop: Header=BB302_10 Depth=1
	v_and_b32_e32 v0, 7, v4
	v_lshrrev_b32_e32 v1, 3, v2
	s_mov_b32 s19, exec_lo
	v_cmpx_gt_u32_e32 8, v2
; %bb.1182:                             ;   in Loop: Header=BB302_10 Depth=1
	v_ffbh_u32_e32 v0, v0
	v_min_u32_e32 v2, 32, v0
	v_subrev_nc_u32_e32 v0, 28, v2
	v_lshlrev_b64 v[0:1], v0, v[4:5]
	v_sub_nc_u32_e32 v1, 29, v2
	v_and_b32_e32 v0, 7, v0
; %bb.1183:                             ;   in Loop: Header=BB302_10 Depth=1
	s_or_b32 exec_lo, exec_lo, s19
	v_lshlrev_b32_e32 v2, 8, v4
	v_lshl_add_u32 v1, v1, 10, 0x2000
	v_lshlrev_b32_e32 v0, 7, v0
	v_and_b32_e32 v2, 0x8000, v2
	v_and_b32_e32 v1, 0xfc00, v1
	v_or3_b32 v0, v2, v1, v0
	buffer_store_dword v0, off, s[0:3], s32 offset:692 ; 4-byte Folded Spill
.LBB302_1184:                           ;   in Loop: Header=BB302_10 Depth=1
	s_or_b32 exec_lo, exec_lo, s17
.LBB302_1185:                           ;   in Loop: Header=BB302_10 Depth=1
	s_or_b32 exec_lo, exec_lo, s12
.LBB302_1186:                           ;   in Loop: Header=BB302_10 Depth=1
	s_or_b32 exec_lo, exec_lo, s11
	v_mov_b32_e32 v0, 0
	v_mov_b32_e32 v38, 0
	s_mov_b32 s11, exec_lo
	buffer_store_dword v0, off, s[0:3], s32 offset:696 ; 4-byte Folded Spill
	v_cmpx_lt_u32_e32 0xffffff, v26
	s_cbranch_execz .LBB302_1194
; %bb.1187:                             ;   in Loop: Header=BB302_10 Depth=1
	v_lshrrev_b32_e32 v4, 24, v26
	v_bfrev_b32_e32 v38, 1
	s_mov_b32 s12, exec_lo
	v_cmpx_ne_u32_e32 0x80, v4
	s_cbranch_execz .LBB302_1193
; %bb.1188:                             ;   in Loop: Header=BB302_10 Depth=1
	v_and_b32_e32 v2, 0x7f, v4
	v_mov_b32_e32 v38, 0x7c010000
	s_mov_b32 s17, exec_lo
	v_cmpx_ne_u32_e32 0x7f, v2
	s_cbranch_execz .LBB302_1192
; %bb.1189:                             ;   in Loop: Header=BB302_10 Depth=1
	v_and_b32_e32 v0, 7, v4
	v_lshrrev_b32_e32 v1, 3, v2
	s_mov_b32 s19, exec_lo
	v_cmpx_gt_u32_e32 8, v2
; %bb.1190:                             ;   in Loop: Header=BB302_10 Depth=1
	v_ffbh_u32_e32 v0, v0
	v_min_u32_e32 v2, 32, v0
	v_subrev_nc_u32_e32 v0, 28, v2
	v_lshlrev_b64 v[0:1], v0, v[4:5]
	v_sub_nc_u32_e32 v1, 29, v2
	v_and_b32_e32 v0, 7, v0
; %bb.1191:                             ;   in Loop: Header=BB302_10 Depth=1
	s_or_b32 exec_lo, exec_lo, s19
	v_lshlrev_b32_e32 v2, 8, v4
	v_lshl_add_u32 v1, v1, 10, 0x2000
	v_lshlrev_b32_e32 v0, 23, v0
	v_and_or_b32 v1, 0x8000, v2, v1
	v_lshl_or_b32 v38, v1, 16, v0
.LBB302_1192:                           ;   in Loop: Header=BB302_10 Depth=1
	s_or_b32 exec_lo, exec_lo, s17
.LBB302_1193:                           ;   in Loop: Header=BB302_10 Depth=1
	s_or_b32 exec_lo, exec_lo, s12
.LBB302_1194:                           ;   in Loop: Header=BB302_10 Depth=1
	s_or_b32 exec_lo, exec_lo, s11
	v_mov_b32_e32 v4, v27
	v_cmp_ne_u16_sdwa s5, v27, v5 src0_sel:BYTE_0 src1_sel:DWORD
	s_and_saveexec_b32 s11, s5
	s_cbranch_execz .LBB302_1202
; %bb.1195:                             ;   in Loop: Header=BB302_10 Depth=1
	v_cmp_ne_u16_sdwa s5, v27, v99 src0_sel:BYTE_0 src1_sel:DWORD
	v_mov_b32_e32 v0, 0x8000
	buffer_store_dword v0, off, s[0:3], s32 offset:696 ; 4-byte Folded Spill
	s_and_saveexec_b32 s12, s5
	s_cbranch_execz .LBB302_1201
; %bb.1196:                             ;   in Loop: Header=BB302_10 Depth=1
	v_and_b32_e32 v2, 0x7f, v27
	v_mov_b32_e32 v0, 0x7c01
	s_mov_b32 s17, exec_lo
	buffer_store_dword v0, off, s[0:3], s32 offset:696 ; 4-byte Folded Spill
	v_cmpx_ne_u32_e32 0x7f, v2
	s_cbranch_execz .LBB302_1200
; %bb.1197:                             ;   in Loop: Header=BB302_10 Depth=1
	v_and_b32_e32 v0, 7, v27
	v_lshrrev_b32_e32 v1, 3, v2
	s_mov_b32 s19, exec_lo
	v_cmpx_gt_u32_e32 8, v2
; %bb.1198:                             ;   in Loop: Header=BB302_10 Depth=1
	v_ffbh_u32_e32 v0, v0
	v_min_u32_e32 v2, 32, v0
	v_subrev_nc_u32_e32 v0, 28, v2
	v_lshlrev_b64 v[0:1], v0, v[4:5]
	v_sub_nc_u32_e32 v1, 29, v2
	v_and_b32_e32 v0, 7, v0
; %bb.1199:                             ;   in Loop: Header=BB302_10 Depth=1
	s_or_b32 exec_lo, exec_lo, s19
	v_lshlrev_b32_e32 v2, 8, v27
	v_lshl_add_u32 v1, v1, 10, 0x2000
	v_lshlrev_b32_e32 v0, 7, v0
	v_and_b32_e32 v2, 0x8000, v2
	v_and_b32_e32 v1, 0xfc00, v1
	v_or3_b32 v0, v2, v1, v0
	buffer_store_dword v0, off, s[0:3], s32 offset:696 ; 4-byte Folded Spill
.LBB302_1200:                           ;   in Loop: Header=BB302_10 Depth=1
	s_or_b32 exec_lo, exec_lo, s17
.LBB302_1201:                           ;   in Loop: Header=BB302_10 Depth=1
	s_or_b32 exec_lo, exec_lo, s12
.LBB302_1202:                           ;   in Loop: Header=BB302_10 Depth=1
	s_or_b32 exec_lo, exec_lo, s11
	v_lshrrev_b16 v4, 8, v4
	v_mov_b32_e32 v0, 0
	v_mov_b32_e32 v56, 0
	s_mov_b32 s11, exec_lo
	buffer_store_dword v0, off, s[0:3], s32 offset:700 ; 4-byte Folded Spill
	v_cmpx_ne_u16_e32 0, v4
	s_cbranch_execz .LBB302_1210
; %bb.1203:                             ;   in Loop: Header=BB302_10 Depth=1
	v_bfrev_b32_e32 v56, 1
	s_mov_b32 s12, exec_lo
	v_cmpx_ne_u16_e32 0x80, v4
	s_cbranch_execz .LBB302_1209
; %bb.1204:                             ;   in Loop: Header=BB302_10 Depth=1
	v_mov_b32_e32 v0, 0x7f
	v_mov_b32_e32 v56, 0x7c010000
	s_mov_b32 s17, exec_lo
	v_and_b32_sdwa v2, v4, v0 dst_sel:DWORD dst_unused:UNUSED_PAD src0_sel:WORD_0 src1_sel:DWORD
	v_cmpx_ne_u32_e32 0x7f, v2
	s_cbranch_execz .LBB302_1208
; %bb.1205:                             ;   in Loop: Header=BB302_10 Depth=1
	v_mov_b32_e32 v0, 7
	v_lshrrev_b32_e32 v1, 3, v2
	s_mov_b32 s19, exec_lo
	v_and_b32_sdwa v0, v4, v0 dst_sel:DWORD dst_unused:UNUSED_PAD src0_sel:WORD_0 src1_sel:DWORD
	v_cmpx_gt_u32_e32 8, v2
; %bb.1206:                             ;   in Loop: Header=BB302_10 Depth=1
	v_ffbh_u32_e32 v0, v0
	v_min_u32_e32 v2, 32, v0
	v_subrev_nc_u32_e32 v0, 28, v2
	v_lshlrev_b64 v[0:1], v0, v[4:5]
	v_sub_nc_u32_e32 v1, 29, v2
	v_and_b32_e32 v0, 7, v0
; %bb.1207:                             ;   in Loop: Header=BB302_10 Depth=1
	s_or_b32 exec_lo, exec_lo, s19
	v_mov_b32_e32 v2, 8
	v_lshl_add_u32 v1, v1, 10, 0x2000
	v_lshlrev_b32_e32 v0, 23, v0
	v_lshlrev_b32_sdwa v2, v2, v4 dst_sel:DWORD dst_unused:UNUSED_PAD src0_sel:DWORD src1_sel:WORD_0
	v_and_or_b32 v1, 0x8000, v2, v1
	v_lshl_or_b32 v56, v1, 16, v0
.LBB302_1208:                           ;   in Loop: Header=BB302_10 Depth=1
	s_or_b32 exec_lo, exec_lo, s17
.LBB302_1209:                           ;   in Loop: Header=BB302_10 Depth=1
	s_or_b32 exec_lo, exec_lo, s12
.LBB302_1210:                           ;   in Loop: Header=BB302_10 Depth=1
	s_or_b32 exec_lo, exec_lo, s11
	v_lshrrev_b32_e32 v4, 16, v27
	v_cmp_ne_u16_sdwa s5, v4, v5 src0_sel:BYTE_0 src1_sel:DWORD
	s_and_saveexec_b32 s11, s5
	s_cbranch_execz .LBB302_1218
; %bb.1211:                             ;   in Loop: Header=BB302_10 Depth=1
	v_cmp_ne_u16_sdwa s5, v4, v99 src0_sel:BYTE_0 src1_sel:DWORD
	v_mov_b32_e32 v0, 0x8000
	buffer_store_dword v0, off, s[0:3], s32 offset:700 ; 4-byte Folded Spill
	s_and_saveexec_b32 s12, s5
	s_cbranch_execz .LBB302_1217
; %bb.1212:                             ;   in Loop: Header=BB302_10 Depth=1
	v_bfe_u32 v2, v27, 16, 7
	v_mov_b32_e32 v0, 0x7c01
	s_mov_b32 s17, exec_lo
	buffer_store_dword v0, off, s[0:3], s32 offset:700 ; 4-byte Folded Spill
	v_cmpx_ne_u32_e32 0x7f, v2
	s_cbranch_execz .LBB302_1216
; %bb.1213:                             ;   in Loop: Header=BB302_10 Depth=1
	v_and_b32_e32 v0, 7, v4
	v_lshrrev_b32_e32 v1, 3, v2
	s_mov_b32 s19, exec_lo
	v_cmpx_gt_u32_e32 8, v2
; %bb.1214:                             ;   in Loop: Header=BB302_10 Depth=1
	v_ffbh_u32_e32 v0, v0
	v_min_u32_e32 v2, 32, v0
	v_subrev_nc_u32_e32 v0, 28, v2
	v_lshlrev_b64 v[0:1], v0, v[4:5]
	v_sub_nc_u32_e32 v1, 29, v2
	v_and_b32_e32 v0, 7, v0
; %bb.1215:                             ;   in Loop: Header=BB302_10 Depth=1
	s_or_b32 exec_lo, exec_lo, s19
	v_lshlrev_b32_e32 v2, 8, v4
	v_lshl_add_u32 v1, v1, 10, 0x2000
	v_lshlrev_b32_e32 v0, 7, v0
	v_and_b32_e32 v2, 0x8000, v2
	v_and_b32_e32 v1, 0xfc00, v1
	v_or3_b32 v0, v2, v1, v0
	buffer_store_dword v0, off, s[0:3], s32 offset:700 ; 4-byte Folded Spill
.LBB302_1216:                           ;   in Loop: Header=BB302_10 Depth=1
	s_or_b32 exec_lo, exec_lo, s17
.LBB302_1217:                           ;   in Loop: Header=BB302_10 Depth=1
	s_or_b32 exec_lo, exec_lo, s12
.LBB302_1218:                           ;   in Loop: Header=BB302_10 Depth=1
	s_or_b32 exec_lo, exec_lo, s11
	v_mov_b32_e32 v0, 0
	v_mov_b32_e32 v19, 0
	s_mov_b32 s11, exec_lo
	buffer_store_dword v0, off, s[0:3], s32 offset:704 ; 4-byte Folded Spill
	v_cmpx_lt_u64_e64 s[6:7], v[26:27]
	s_cbranch_execz .LBB302_1226
; %bb.1219:                             ;   in Loop: Header=BB302_10 Depth=1
	v_lshrrev_b32_e32 v4, 24, v27
	v_bfrev_b32_e32 v19, 1
	s_mov_b32 s12, exec_lo
	v_cmpx_ne_u32_e32 0x80, v4
	s_cbranch_execz .LBB302_1225
; %bb.1220:                             ;   in Loop: Header=BB302_10 Depth=1
	v_and_b32_e32 v2, 0x7f, v4
	v_mov_b32_e32 v19, 0x7c010000
	s_mov_b32 s17, exec_lo
	v_cmpx_ne_u32_e32 0x7f, v2
	s_cbranch_execz .LBB302_1224
; %bb.1221:                             ;   in Loop: Header=BB302_10 Depth=1
	v_and_b32_e32 v0, 7, v4
	v_lshrrev_b32_e32 v1, 3, v2
	s_mov_b32 s19, exec_lo
	v_cmpx_gt_u32_e32 8, v2
; %bb.1222:                             ;   in Loop: Header=BB302_10 Depth=1
	v_ffbh_u32_e32 v0, v0
	v_min_u32_e32 v2, 32, v0
	v_subrev_nc_u32_e32 v0, 28, v2
	v_lshlrev_b64 v[0:1], v0, v[4:5]
	v_sub_nc_u32_e32 v1, 29, v2
	v_and_b32_e32 v0, 7, v0
; %bb.1223:                             ;   in Loop: Header=BB302_10 Depth=1
	s_or_b32 exec_lo, exec_lo, s19
	v_lshlrev_b32_e32 v2, 8, v4
	v_lshl_add_u32 v1, v1, 10, 0x2000
	v_lshlrev_b32_e32 v0, 23, v0
	v_and_or_b32 v1, 0x8000, v2, v1
	v_lshl_or_b32 v19, v1, 16, v0
.LBB302_1224:                           ;   in Loop: Header=BB302_10 Depth=1
	s_or_b32 exec_lo, exec_lo, s17
.LBB302_1225:                           ;   in Loop: Header=BB302_10 Depth=1
	s_or_b32 exec_lo, exec_lo, s12
.LBB302_1226:                           ;   in Loop: Header=BB302_10 Depth=1
	s_or_b32 exec_lo, exec_lo, s11
	flat_load_dwordx2 v[26:27], v[24:25] offset:520
	s_waitcnt vmcnt(0) lgkmcnt(0)
	v_cmp_ne_u16_sdwa s5, v26, v5 src0_sel:BYTE_0 src1_sel:DWORD
	s_and_saveexec_b32 s11, s5
	s_cbranch_execz .LBB302_1234
; %bb.1227:                             ;   in Loop: Header=BB302_10 Depth=1
	v_cmp_ne_u16_sdwa s5, v26, v99 src0_sel:BYTE_0 src1_sel:DWORD
	v_mov_b32_e32 v0, 0x8000
	buffer_store_dword v0, off, s[0:3], s32 offset:704 ; 4-byte Folded Spill
	s_and_saveexec_b32 s12, s5
	s_cbranch_execz .LBB302_1233
; %bb.1228:                             ;   in Loop: Header=BB302_10 Depth=1
	v_and_b32_e32 v2, 0x7f, v26
	v_mov_b32_e32 v0, 0x7c01
	s_mov_b32 s17, exec_lo
	buffer_store_dword v0, off, s[0:3], s32 offset:704 ; 4-byte Folded Spill
	v_cmpx_ne_u32_e32 0x7f, v2
	s_cbranch_execz .LBB302_1232
; %bb.1229:                             ;   in Loop: Header=BB302_10 Depth=1
	v_and_b32_e32 v0, 7, v26
	v_lshrrev_b32_e32 v1, 3, v2
	s_mov_b32 s19, exec_lo
	v_cmpx_gt_u32_e32 8, v2
; %bb.1230:                             ;   in Loop: Header=BB302_10 Depth=1
	v_ffbh_u32_e32 v0, v0
	v_min_u32_e32 v2, 32, v0
	v_subrev_nc_u32_e32 v0, 28, v2
	v_lshlrev_b64 v[0:1], v0, v[26:27]
	v_sub_nc_u32_e32 v1, 29, v2
	v_and_b32_e32 v0, 7, v0
; %bb.1231:                             ;   in Loop: Header=BB302_10 Depth=1
	s_or_b32 exec_lo, exec_lo, s19
	v_lshlrev_b32_e32 v2, 8, v26
	v_lshl_add_u32 v1, v1, 10, 0x2000
	v_lshlrev_b32_e32 v0, 7, v0
	v_and_b32_e32 v2, 0x8000, v2
	v_and_b32_e32 v1, 0xfc00, v1
	v_or3_b32 v0, v2, v1, v0
	buffer_store_dword v0, off, s[0:3], s32 offset:704 ; 4-byte Folded Spill
.LBB302_1232:                           ;   in Loop: Header=BB302_10 Depth=1
	s_or_b32 exec_lo, exec_lo, s17
.LBB302_1233:                           ;   in Loop: Header=BB302_10 Depth=1
	s_or_b32 exec_lo, exec_lo, s12
.LBB302_1234:                           ;   in Loop: Header=BB302_10 Depth=1
	s_or_b32 exec_lo, exec_lo, s11
	v_lshrrev_b16 v4, 8, v26
	v_mov_b32_e32 v0, 0
	v_mov_b32_e32 v127, 0
	s_mov_b32 s11, exec_lo
	buffer_store_dword v0, off, s[0:3], s32 offset:708 ; 4-byte Folded Spill
	v_cmpx_ne_u16_e32 0, v4
	s_cbranch_execz .LBB302_1242
; %bb.1235:                             ;   in Loop: Header=BB302_10 Depth=1
	v_bfrev_b32_e32 v127, 1
	s_mov_b32 s12, exec_lo
	v_cmpx_ne_u16_e32 0x80, v4
	s_cbranch_execz .LBB302_1241
; %bb.1236:                             ;   in Loop: Header=BB302_10 Depth=1
	v_mov_b32_e32 v0, 0x7f
	v_mov_b32_e32 v127, 0x7c010000
	s_mov_b32 s17, exec_lo
	v_and_b32_sdwa v2, v4, v0 dst_sel:DWORD dst_unused:UNUSED_PAD src0_sel:WORD_0 src1_sel:DWORD
	v_cmpx_ne_u32_e32 0x7f, v2
	s_cbranch_execz .LBB302_1240
; %bb.1237:                             ;   in Loop: Header=BB302_10 Depth=1
	v_mov_b32_e32 v0, 7
	v_lshrrev_b32_e32 v1, 3, v2
	s_mov_b32 s19, exec_lo
	v_and_b32_sdwa v0, v4, v0 dst_sel:DWORD dst_unused:UNUSED_PAD src0_sel:WORD_0 src1_sel:DWORD
	v_cmpx_gt_u32_e32 8, v2
; %bb.1238:                             ;   in Loop: Header=BB302_10 Depth=1
	v_ffbh_u32_e32 v0, v0
	v_min_u32_e32 v2, 32, v0
	v_subrev_nc_u32_e32 v0, 28, v2
	v_lshlrev_b64 v[0:1], v0, v[4:5]
	v_sub_nc_u32_e32 v1, 29, v2
	v_and_b32_e32 v0, 7, v0
; %bb.1239:                             ;   in Loop: Header=BB302_10 Depth=1
	s_or_b32 exec_lo, exec_lo, s19
	v_mov_b32_e32 v2, 8
	v_lshl_add_u32 v1, v1, 10, 0x2000
	v_lshlrev_b32_e32 v0, 23, v0
	v_lshlrev_b32_sdwa v2, v2, v4 dst_sel:DWORD dst_unused:UNUSED_PAD src0_sel:DWORD src1_sel:WORD_0
	v_and_or_b32 v1, 0x8000, v2, v1
	v_lshl_or_b32 v127, v1, 16, v0
.LBB302_1240:                           ;   in Loop: Header=BB302_10 Depth=1
	s_or_b32 exec_lo, exec_lo, s17
.LBB302_1241:                           ;   in Loop: Header=BB302_10 Depth=1
	s_or_b32 exec_lo, exec_lo, s12
.LBB302_1242:                           ;   in Loop: Header=BB302_10 Depth=1
	s_or_b32 exec_lo, exec_lo, s11
	v_lshrrev_b32_e32 v4, 16, v26
	v_cmp_ne_u16_sdwa s5, v4, v5 src0_sel:BYTE_0 src1_sel:DWORD
	s_and_saveexec_b32 s11, s5
	s_cbranch_execz .LBB302_1250
; %bb.1243:                             ;   in Loop: Header=BB302_10 Depth=1
	v_cmp_ne_u16_sdwa s5, v4, v99 src0_sel:BYTE_0 src1_sel:DWORD
	v_mov_b32_e32 v0, 0x8000
	buffer_store_dword v0, off, s[0:3], s32 offset:708 ; 4-byte Folded Spill
	s_and_saveexec_b32 s12, s5
	s_cbranch_execz .LBB302_1249
; %bb.1244:                             ;   in Loop: Header=BB302_10 Depth=1
	v_bfe_u32 v2, v26, 16, 7
	v_mov_b32_e32 v0, 0x7c01
	s_mov_b32 s17, exec_lo
	buffer_store_dword v0, off, s[0:3], s32 offset:708 ; 4-byte Folded Spill
	v_cmpx_ne_u32_e32 0x7f, v2
	s_cbranch_execz .LBB302_1248
; %bb.1245:                             ;   in Loop: Header=BB302_10 Depth=1
	v_and_b32_e32 v0, 7, v4
	v_lshrrev_b32_e32 v1, 3, v2
	s_mov_b32 s19, exec_lo
	v_cmpx_gt_u32_e32 8, v2
; %bb.1246:                             ;   in Loop: Header=BB302_10 Depth=1
	v_ffbh_u32_e32 v0, v0
	v_min_u32_e32 v2, 32, v0
	v_subrev_nc_u32_e32 v0, 28, v2
	v_lshlrev_b64 v[0:1], v0, v[4:5]
	v_sub_nc_u32_e32 v1, 29, v2
	v_and_b32_e32 v0, 7, v0
; %bb.1247:                             ;   in Loop: Header=BB302_10 Depth=1
	s_or_b32 exec_lo, exec_lo, s19
	v_lshlrev_b32_e32 v2, 8, v4
	v_lshl_add_u32 v1, v1, 10, 0x2000
	v_lshlrev_b32_e32 v0, 7, v0
	v_and_b32_e32 v2, 0x8000, v2
	v_and_b32_e32 v1, 0xfc00, v1
	v_or3_b32 v0, v2, v1, v0
	buffer_store_dword v0, off, s[0:3], s32 offset:708 ; 4-byte Folded Spill
.LBB302_1248:                           ;   in Loop: Header=BB302_10 Depth=1
	s_or_b32 exec_lo, exec_lo, s17
.LBB302_1249:                           ;   in Loop: Header=BB302_10 Depth=1
	s_or_b32 exec_lo, exec_lo, s12
.LBB302_1250:                           ;   in Loop: Header=BB302_10 Depth=1
	s_or_b32 exec_lo, exec_lo, s11
	v_mov_b32_e32 v0, 0
	v_mov_b32_e32 v46, 0
	s_mov_b32 s11, exec_lo
	buffer_store_dword v0, off, s[0:3], s32 offset:712 ; 4-byte Folded Spill
	v_cmpx_lt_u32_e32 0xffffff, v26
	s_cbranch_execz .LBB302_1258
; %bb.1251:                             ;   in Loop: Header=BB302_10 Depth=1
	v_lshrrev_b32_e32 v4, 24, v26
	v_bfrev_b32_e32 v46, 1
	s_mov_b32 s12, exec_lo
	v_cmpx_ne_u32_e32 0x80, v4
	s_cbranch_execz .LBB302_1257
; %bb.1252:                             ;   in Loop: Header=BB302_10 Depth=1
	v_and_b32_e32 v2, 0x7f, v4
	v_mov_b32_e32 v46, 0x7c010000
	s_mov_b32 s17, exec_lo
	v_cmpx_ne_u32_e32 0x7f, v2
	s_cbranch_execz .LBB302_1256
; %bb.1253:                             ;   in Loop: Header=BB302_10 Depth=1
	v_and_b32_e32 v0, 7, v4
	v_lshrrev_b32_e32 v1, 3, v2
	s_mov_b32 s19, exec_lo
	v_cmpx_gt_u32_e32 8, v2
; %bb.1254:                             ;   in Loop: Header=BB302_10 Depth=1
	v_ffbh_u32_e32 v0, v0
	v_min_u32_e32 v2, 32, v0
	v_subrev_nc_u32_e32 v0, 28, v2
	v_lshlrev_b64 v[0:1], v0, v[4:5]
	v_sub_nc_u32_e32 v1, 29, v2
	v_and_b32_e32 v0, 7, v0
; %bb.1255:                             ;   in Loop: Header=BB302_10 Depth=1
	s_or_b32 exec_lo, exec_lo, s19
	v_lshlrev_b32_e32 v2, 8, v4
	v_lshl_add_u32 v1, v1, 10, 0x2000
	v_lshlrev_b32_e32 v0, 23, v0
	v_and_or_b32 v1, 0x8000, v2, v1
	v_lshl_or_b32 v46, v1, 16, v0
.LBB302_1256:                           ;   in Loop: Header=BB302_10 Depth=1
	s_or_b32 exec_lo, exec_lo, s17
.LBB302_1257:                           ;   in Loop: Header=BB302_10 Depth=1
	s_or_b32 exec_lo, exec_lo, s12
.LBB302_1258:                           ;   in Loop: Header=BB302_10 Depth=1
	s_or_b32 exec_lo, exec_lo, s11
	v_mov_b32_e32 v4, v27
	v_cmp_ne_u16_sdwa s5, v27, v5 src0_sel:BYTE_0 src1_sel:DWORD
	s_and_saveexec_b32 s11, s5
	s_cbranch_execz .LBB302_1266
; %bb.1259:                             ;   in Loop: Header=BB302_10 Depth=1
	v_cmp_ne_u16_sdwa s5, v27, v99 src0_sel:BYTE_0 src1_sel:DWORD
	v_mov_b32_e32 v0, 0x8000
	buffer_store_dword v0, off, s[0:3], s32 offset:712 ; 4-byte Folded Spill
	s_and_saveexec_b32 s12, s5
	s_cbranch_execz .LBB302_1265
; %bb.1260:                             ;   in Loop: Header=BB302_10 Depth=1
	v_and_b32_e32 v2, 0x7f, v27
	v_mov_b32_e32 v0, 0x7c01
	s_mov_b32 s17, exec_lo
	buffer_store_dword v0, off, s[0:3], s32 offset:712 ; 4-byte Folded Spill
	v_cmpx_ne_u32_e32 0x7f, v2
	s_cbranch_execz .LBB302_1264
; %bb.1261:                             ;   in Loop: Header=BB302_10 Depth=1
	v_and_b32_e32 v0, 7, v27
	v_lshrrev_b32_e32 v1, 3, v2
	s_mov_b32 s19, exec_lo
	v_cmpx_gt_u32_e32 8, v2
; %bb.1262:                             ;   in Loop: Header=BB302_10 Depth=1
	v_ffbh_u32_e32 v0, v0
	v_min_u32_e32 v2, 32, v0
	v_subrev_nc_u32_e32 v0, 28, v2
	v_lshlrev_b64 v[0:1], v0, v[4:5]
	v_sub_nc_u32_e32 v1, 29, v2
	v_and_b32_e32 v0, 7, v0
; %bb.1263:                             ;   in Loop: Header=BB302_10 Depth=1
	s_or_b32 exec_lo, exec_lo, s19
	v_lshlrev_b32_e32 v2, 8, v27
	v_lshl_add_u32 v1, v1, 10, 0x2000
	v_lshlrev_b32_e32 v0, 7, v0
	v_and_b32_e32 v2, 0x8000, v2
	v_and_b32_e32 v1, 0xfc00, v1
	v_or3_b32 v0, v2, v1, v0
	buffer_store_dword v0, off, s[0:3], s32 offset:712 ; 4-byte Folded Spill
.LBB302_1264:                           ;   in Loop: Header=BB302_10 Depth=1
	s_or_b32 exec_lo, exec_lo, s17
.LBB302_1265:                           ;   in Loop: Header=BB302_10 Depth=1
	s_or_b32 exec_lo, exec_lo, s12
.LBB302_1266:                           ;   in Loop: Header=BB302_10 Depth=1
	s_or_b32 exec_lo, exec_lo, s11
	v_lshrrev_b16 v4, 8, v4
	v_mov_b32_e32 v0, 0
	v_mov_b32_e32 v97, 0
	s_mov_b32 s11, exec_lo
	buffer_store_dword v0, off, s[0:3], s32 offset:716 ; 4-byte Folded Spill
	v_cmpx_ne_u16_e32 0, v4
	s_cbranch_execz .LBB302_1274
; %bb.1267:                             ;   in Loop: Header=BB302_10 Depth=1
	v_bfrev_b32_e32 v97, 1
	s_mov_b32 s12, exec_lo
	v_cmpx_ne_u16_e32 0x80, v4
	s_cbranch_execz .LBB302_1273
; %bb.1268:                             ;   in Loop: Header=BB302_10 Depth=1
	v_mov_b32_e32 v0, 0x7f
	v_mov_b32_e32 v97, 0x7c010000
	s_mov_b32 s17, exec_lo
	v_and_b32_sdwa v2, v4, v0 dst_sel:DWORD dst_unused:UNUSED_PAD src0_sel:WORD_0 src1_sel:DWORD
	v_cmpx_ne_u32_e32 0x7f, v2
	s_cbranch_execz .LBB302_1272
; %bb.1269:                             ;   in Loop: Header=BB302_10 Depth=1
	v_mov_b32_e32 v0, 7
	v_lshrrev_b32_e32 v1, 3, v2
	s_mov_b32 s19, exec_lo
	v_and_b32_sdwa v0, v4, v0 dst_sel:DWORD dst_unused:UNUSED_PAD src0_sel:WORD_0 src1_sel:DWORD
	v_cmpx_gt_u32_e32 8, v2
; %bb.1270:                             ;   in Loop: Header=BB302_10 Depth=1
	v_ffbh_u32_e32 v0, v0
	v_min_u32_e32 v2, 32, v0
	v_subrev_nc_u32_e32 v0, 28, v2
	v_lshlrev_b64 v[0:1], v0, v[4:5]
	v_sub_nc_u32_e32 v1, 29, v2
	v_and_b32_e32 v0, 7, v0
; %bb.1271:                             ;   in Loop: Header=BB302_10 Depth=1
	s_or_b32 exec_lo, exec_lo, s19
	v_mov_b32_e32 v2, 8
	v_lshl_add_u32 v1, v1, 10, 0x2000
	v_lshlrev_b32_e32 v0, 23, v0
	v_lshlrev_b32_sdwa v2, v2, v4 dst_sel:DWORD dst_unused:UNUSED_PAD src0_sel:DWORD src1_sel:WORD_0
	v_and_or_b32 v1, 0x8000, v2, v1
	v_lshl_or_b32 v97, v1, 16, v0
.LBB302_1272:                           ;   in Loop: Header=BB302_10 Depth=1
	s_or_b32 exec_lo, exec_lo, s17
.LBB302_1273:                           ;   in Loop: Header=BB302_10 Depth=1
	s_or_b32 exec_lo, exec_lo, s12
.LBB302_1274:                           ;   in Loop: Header=BB302_10 Depth=1
	s_or_b32 exec_lo, exec_lo, s11
	v_lshrrev_b32_e32 v4, 16, v27
	v_cmp_ne_u16_sdwa s5, v4, v5 src0_sel:BYTE_0 src1_sel:DWORD
	s_and_saveexec_b32 s11, s5
	s_cbranch_execz .LBB302_1282
; %bb.1275:                             ;   in Loop: Header=BB302_10 Depth=1
	v_cmp_ne_u16_sdwa s5, v4, v99 src0_sel:BYTE_0 src1_sel:DWORD
	v_mov_b32_e32 v0, 0x8000
	buffer_store_dword v0, off, s[0:3], s32 offset:716 ; 4-byte Folded Spill
	s_and_saveexec_b32 s12, s5
	s_cbranch_execz .LBB302_1281
; %bb.1276:                             ;   in Loop: Header=BB302_10 Depth=1
	v_bfe_u32 v2, v27, 16, 7
	v_mov_b32_e32 v0, 0x7c01
	s_mov_b32 s17, exec_lo
	buffer_store_dword v0, off, s[0:3], s32 offset:716 ; 4-byte Folded Spill
	v_cmpx_ne_u32_e32 0x7f, v2
	s_cbranch_execz .LBB302_1280
; %bb.1277:                             ;   in Loop: Header=BB302_10 Depth=1
	v_and_b32_e32 v0, 7, v4
	v_lshrrev_b32_e32 v1, 3, v2
	s_mov_b32 s19, exec_lo
	v_cmpx_gt_u32_e32 8, v2
; %bb.1278:                             ;   in Loop: Header=BB302_10 Depth=1
	v_ffbh_u32_e32 v0, v0
	v_min_u32_e32 v2, 32, v0
	v_subrev_nc_u32_e32 v0, 28, v2
	v_lshlrev_b64 v[0:1], v0, v[4:5]
	v_sub_nc_u32_e32 v1, 29, v2
	v_and_b32_e32 v0, 7, v0
; %bb.1279:                             ;   in Loop: Header=BB302_10 Depth=1
	s_or_b32 exec_lo, exec_lo, s19
	v_lshlrev_b32_e32 v2, 8, v4
	v_lshl_add_u32 v1, v1, 10, 0x2000
	v_lshlrev_b32_e32 v0, 7, v0
	v_and_b32_e32 v2, 0x8000, v2
	v_and_b32_e32 v1, 0xfc00, v1
	v_or3_b32 v0, v2, v1, v0
	buffer_store_dword v0, off, s[0:3], s32 offset:716 ; 4-byte Folded Spill
.LBB302_1280:                           ;   in Loop: Header=BB302_10 Depth=1
	s_or_b32 exec_lo, exec_lo, s17
.LBB302_1281:                           ;   in Loop: Header=BB302_10 Depth=1
	s_or_b32 exec_lo, exec_lo, s12
.LBB302_1282:                           ;   in Loop: Header=BB302_10 Depth=1
	s_or_b32 exec_lo, exec_lo, s11
	v_mov_b32_e32 v29, 0
	v_mov_b32_e32 v57, 0
	s_mov_b32 s11, exec_lo
	v_cmpx_lt_u64_e64 s[6:7], v[26:27]
	s_cbranch_execz .LBB302_1290
; %bb.1283:                             ;   in Loop: Header=BB302_10 Depth=1
	v_lshrrev_b32_e32 v4, 24, v27
	v_bfrev_b32_e32 v57, 1
	s_mov_b32 s12, exec_lo
	v_cmpx_ne_u32_e32 0x80, v4
	s_cbranch_execz .LBB302_1289
; %bb.1284:                             ;   in Loop: Header=BB302_10 Depth=1
	v_and_b32_e32 v2, 0x7f, v4
	v_mov_b32_e32 v57, 0x7c010000
	s_mov_b32 s17, exec_lo
	v_cmpx_ne_u32_e32 0x7f, v2
	s_cbranch_execz .LBB302_1288
; %bb.1285:                             ;   in Loop: Header=BB302_10 Depth=1
	v_and_b32_e32 v0, 7, v4
	v_lshrrev_b32_e32 v1, 3, v2
	s_mov_b32 s19, exec_lo
	v_cmpx_gt_u32_e32 8, v2
; %bb.1286:                             ;   in Loop: Header=BB302_10 Depth=1
	v_ffbh_u32_e32 v0, v0
	v_min_u32_e32 v2, 32, v0
	v_subrev_nc_u32_e32 v0, 28, v2
	v_lshlrev_b64 v[0:1], v0, v[4:5]
	v_sub_nc_u32_e32 v1, 29, v2
	v_and_b32_e32 v0, 7, v0
; %bb.1287:                             ;   in Loop: Header=BB302_10 Depth=1
	s_or_b32 exec_lo, exec_lo, s19
	v_lshlrev_b32_e32 v2, 8, v4
	v_lshl_add_u32 v1, v1, 10, 0x2000
	v_lshlrev_b32_e32 v0, 23, v0
	v_and_or_b32 v1, 0x8000, v2, v1
	v_lshl_or_b32 v57, v1, 16, v0
.LBB302_1288:                           ;   in Loop: Header=BB302_10 Depth=1
	s_or_b32 exec_lo, exec_lo, s17
.LBB302_1289:                           ;   in Loop: Header=BB302_10 Depth=1
	s_or_b32 exec_lo, exec_lo, s12
.LBB302_1290:                           ;   in Loop: Header=BB302_10 Depth=1
	s_or_b32 exec_lo, exec_lo, s11
	flat_load_dwordx2 v[26:27], v[24:25] offset:1024
	s_waitcnt vmcnt(0) lgkmcnt(0)
	v_cmp_ne_u16_sdwa s5, v26, v5 src0_sel:BYTE_0 src1_sel:DWORD
	s_and_saveexec_b32 s11, s5
	s_cbranch_execz .LBB302_1298
; %bb.1291:                             ;   in Loop: Header=BB302_10 Depth=1
	v_cmp_ne_u16_sdwa s5, v26, v99 src0_sel:BYTE_0 src1_sel:DWORD
	v_mov_b32_e32 v29, 0x8000
	s_and_saveexec_b32 s12, s5
	s_cbranch_execz .LBB302_1297
; %bb.1292:                             ;   in Loop: Header=BB302_10 Depth=1
	v_and_b32_e32 v2, 0x7f, v26
	v_mov_b32_e32 v29, 0x7c01
	s_mov_b32 s17, exec_lo
	v_cmpx_ne_u32_e32 0x7f, v2
	s_cbranch_execz .LBB302_1296
; %bb.1293:                             ;   in Loop: Header=BB302_10 Depth=1
	v_and_b32_e32 v0, 7, v26
	v_lshrrev_b32_e32 v1, 3, v2
	s_mov_b32 s19, exec_lo
	v_cmpx_gt_u32_e32 8, v2
; %bb.1294:                             ;   in Loop: Header=BB302_10 Depth=1
	v_ffbh_u32_e32 v0, v0
	v_min_u32_e32 v2, 32, v0
	v_subrev_nc_u32_e32 v0, 28, v2
	v_lshlrev_b64 v[0:1], v0, v[26:27]
	v_sub_nc_u32_e32 v1, 29, v2
	v_and_b32_e32 v0, 7, v0
; %bb.1295:                             ;   in Loop: Header=BB302_10 Depth=1
	s_or_b32 exec_lo, exec_lo, s19
	v_lshlrev_b32_e32 v2, 8, v26
	v_lshl_add_u32 v1, v1, 10, 0x2000
	v_lshlrev_b32_e32 v0, 7, v0
	v_and_b32_e32 v2, 0x8000, v2
	v_and_b32_e32 v1, 0xfc00, v1
	v_or3_b32 v29, v2, v1, v0
.LBB302_1296:                           ;   in Loop: Header=BB302_10 Depth=1
	s_or_b32 exec_lo, exec_lo, s17
.LBB302_1297:                           ;   in Loop: Header=BB302_10 Depth=1
	s_or_b32 exec_lo, exec_lo, s12
.LBB302_1298:                           ;   in Loop: Header=BB302_10 Depth=1
	s_or_b32 exec_lo, exec_lo, s11
	v_lshrrev_b16 v4, 8, v26
	v_mov_b32_e32 v6, 0
	v_mov_b32_e32 v35, 0
	s_mov_b32 s11, exec_lo
	v_cmpx_ne_u16_e32 0, v4
	s_cbranch_execz .LBB302_1306
; %bb.1299:                             ;   in Loop: Header=BB302_10 Depth=1
	v_bfrev_b32_e32 v35, 1
	s_mov_b32 s12, exec_lo
	v_cmpx_ne_u16_e32 0x80, v4
	s_cbranch_execz .LBB302_1305
; %bb.1300:                             ;   in Loop: Header=BB302_10 Depth=1
	v_mov_b32_e32 v0, 0x7f
	v_mov_b32_e32 v35, 0x7c010000
	s_mov_b32 s17, exec_lo
	v_and_b32_sdwa v2, v4, v0 dst_sel:DWORD dst_unused:UNUSED_PAD src0_sel:WORD_0 src1_sel:DWORD
	v_cmpx_ne_u32_e32 0x7f, v2
	s_cbranch_execz .LBB302_1304
; %bb.1301:                             ;   in Loop: Header=BB302_10 Depth=1
	v_mov_b32_e32 v0, 7
	v_lshrrev_b32_e32 v1, 3, v2
	s_mov_b32 s19, exec_lo
	v_and_b32_sdwa v0, v4, v0 dst_sel:DWORD dst_unused:UNUSED_PAD src0_sel:WORD_0 src1_sel:DWORD
	v_cmpx_gt_u32_e32 8, v2
; %bb.1302:                             ;   in Loop: Header=BB302_10 Depth=1
	v_ffbh_u32_e32 v0, v0
	v_min_u32_e32 v2, 32, v0
	v_subrev_nc_u32_e32 v0, 28, v2
	v_lshlrev_b64 v[0:1], v0, v[4:5]
	v_sub_nc_u32_e32 v1, 29, v2
	v_and_b32_e32 v0, 7, v0
; %bb.1303:                             ;   in Loop: Header=BB302_10 Depth=1
	s_or_b32 exec_lo, exec_lo, s19
	v_mov_b32_e32 v2, 8
	v_lshl_add_u32 v1, v1, 10, 0x2000
	v_lshlrev_b32_e32 v0, 23, v0
	v_lshlrev_b32_sdwa v2, v2, v4 dst_sel:DWORD dst_unused:UNUSED_PAD src0_sel:DWORD src1_sel:WORD_0
	v_and_or_b32 v1, 0x8000, v2, v1
	v_lshl_or_b32 v35, v1, 16, v0
.LBB302_1304:                           ;   in Loop: Header=BB302_10 Depth=1
	s_or_b32 exec_lo, exec_lo, s17
.LBB302_1305:                           ;   in Loop: Header=BB302_10 Depth=1
	s_or_b32 exec_lo, exec_lo, s12
.LBB302_1306:                           ;   in Loop: Header=BB302_10 Depth=1
	s_or_b32 exec_lo, exec_lo, s11
	v_lshrrev_b32_e32 v4, 16, v26
	v_cmp_ne_u16_sdwa s5, v4, v5 src0_sel:BYTE_0 src1_sel:DWORD
	s_and_saveexec_b32 s11, s5
	s_cbranch_execz .LBB302_1314
; %bb.1307:                             ;   in Loop: Header=BB302_10 Depth=1
	v_cmp_ne_u16_sdwa s5, v4, v99 src0_sel:BYTE_0 src1_sel:DWORD
	v_mov_b32_e32 v6, 0x8000
	s_and_saveexec_b32 s12, s5
	s_cbranch_execz .LBB302_1313
; %bb.1308:                             ;   in Loop: Header=BB302_10 Depth=1
	v_bfe_u32 v2, v26, 16, 7
	v_mov_b32_e32 v6, 0x7c01
	s_mov_b32 s17, exec_lo
	v_cmpx_ne_u32_e32 0x7f, v2
	s_cbranch_execz .LBB302_1312
; %bb.1309:                             ;   in Loop: Header=BB302_10 Depth=1
	v_and_b32_e32 v0, 7, v4
	v_lshrrev_b32_e32 v1, 3, v2
	s_mov_b32 s19, exec_lo
	v_cmpx_gt_u32_e32 8, v2
; %bb.1310:                             ;   in Loop: Header=BB302_10 Depth=1
	v_ffbh_u32_e32 v0, v0
	v_min_u32_e32 v2, 32, v0
	v_subrev_nc_u32_e32 v0, 28, v2
	v_lshlrev_b64 v[0:1], v0, v[4:5]
	v_sub_nc_u32_e32 v1, 29, v2
	v_and_b32_e32 v0, 7, v0
; %bb.1311:                             ;   in Loop: Header=BB302_10 Depth=1
	s_or_b32 exec_lo, exec_lo, s19
	v_lshlrev_b32_e32 v2, 8, v4
	v_lshl_add_u32 v1, v1, 10, 0x2000
	v_lshlrev_b32_e32 v0, 7, v0
	v_and_b32_e32 v2, 0x8000, v2
	v_and_b32_e32 v1, 0xfc00, v1
	v_or3_b32 v6, v2, v1, v0
.LBB302_1312:                           ;   in Loop: Header=BB302_10 Depth=1
	s_or_b32 exec_lo, exec_lo, s17
.LBB302_1313:                           ;   in Loop: Header=BB302_10 Depth=1
	s_or_b32 exec_lo, exec_lo, s12
.LBB302_1314:                           ;   in Loop: Header=BB302_10 Depth=1
	s_or_b32 exec_lo, exec_lo, s11
	v_mov_b32_e32 v84, 0
	v_mov_b32_e32 v81, 0
	s_mov_b32 s11, exec_lo
	v_cmpx_lt_u32_e32 0xffffff, v26
	s_cbranch_execz .LBB302_1322
; %bb.1315:                             ;   in Loop: Header=BB302_10 Depth=1
	v_lshrrev_b32_e32 v4, 24, v26
	v_bfrev_b32_e32 v81, 1
	s_mov_b32 s12, exec_lo
	v_cmpx_ne_u32_e32 0x80, v4
	s_cbranch_execz .LBB302_1321
; %bb.1316:                             ;   in Loop: Header=BB302_10 Depth=1
	v_and_b32_e32 v2, 0x7f, v4
	v_mov_b32_e32 v81, 0x7c010000
	s_mov_b32 s17, exec_lo
	v_cmpx_ne_u32_e32 0x7f, v2
	s_cbranch_execz .LBB302_1320
; %bb.1317:                             ;   in Loop: Header=BB302_10 Depth=1
	v_and_b32_e32 v0, 7, v4
	v_lshrrev_b32_e32 v1, 3, v2
	s_mov_b32 s19, exec_lo
	v_cmpx_gt_u32_e32 8, v2
; %bb.1318:                             ;   in Loop: Header=BB302_10 Depth=1
	v_ffbh_u32_e32 v0, v0
	v_min_u32_e32 v2, 32, v0
	v_subrev_nc_u32_e32 v0, 28, v2
	v_lshlrev_b64 v[0:1], v0, v[4:5]
	v_sub_nc_u32_e32 v1, 29, v2
	v_and_b32_e32 v0, 7, v0
; %bb.1319:                             ;   in Loop: Header=BB302_10 Depth=1
	s_or_b32 exec_lo, exec_lo, s19
	v_lshlrev_b32_e32 v2, 8, v4
	v_lshl_add_u32 v1, v1, 10, 0x2000
	v_lshlrev_b32_e32 v0, 23, v0
	v_and_or_b32 v1, 0x8000, v2, v1
	v_lshl_or_b32 v81, v1, 16, v0
.LBB302_1320:                           ;   in Loop: Header=BB302_10 Depth=1
	s_or_b32 exec_lo, exec_lo, s17
.LBB302_1321:                           ;   in Loop: Header=BB302_10 Depth=1
	s_or_b32 exec_lo, exec_lo, s12
.LBB302_1322:                           ;   in Loop: Header=BB302_10 Depth=1
	s_or_b32 exec_lo, exec_lo, s11
	v_mov_b32_e32 v4, v27
	v_cmp_ne_u16_sdwa s5, v27, v5 src0_sel:BYTE_0 src1_sel:DWORD
	s_and_saveexec_b32 s11, s5
	s_cbranch_execz .LBB302_1330
; %bb.1323:                             ;   in Loop: Header=BB302_10 Depth=1
	v_cmp_ne_u16_sdwa s5, v27, v99 src0_sel:BYTE_0 src1_sel:DWORD
	v_mov_b32_e32 v84, 0x8000
	s_and_saveexec_b32 s12, s5
	s_cbranch_execz .LBB302_1329
; %bb.1324:                             ;   in Loop: Header=BB302_10 Depth=1
	v_and_b32_e32 v2, 0x7f, v27
	v_mov_b32_e32 v84, 0x7c01
	s_mov_b32 s17, exec_lo
	v_cmpx_ne_u32_e32 0x7f, v2
	s_cbranch_execz .LBB302_1328
; %bb.1325:                             ;   in Loop: Header=BB302_10 Depth=1
	v_and_b32_e32 v0, 7, v27
	v_lshrrev_b32_e32 v1, 3, v2
	s_mov_b32 s19, exec_lo
	v_cmpx_gt_u32_e32 8, v2
; %bb.1326:                             ;   in Loop: Header=BB302_10 Depth=1
	v_ffbh_u32_e32 v0, v0
	v_min_u32_e32 v2, 32, v0
	v_subrev_nc_u32_e32 v0, 28, v2
	v_lshlrev_b64 v[0:1], v0, v[4:5]
	v_sub_nc_u32_e32 v1, 29, v2
	v_and_b32_e32 v0, 7, v0
; %bb.1327:                             ;   in Loop: Header=BB302_10 Depth=1
	s_or_b32 exec_lo, exec_lo, s19
	v_lshlrev_b32_e32 v2, 8, v27
	v_lshl_add_u32 v1, v1, 10, 0x2000
	v_lshlrev_b32_e32 v0, 7, v0
	v_and_b32_e32 v2, 0x8000, v2
	v_and_b32_e32 v1, 0xfc00, v1
	v_or3_b32 v84, v2, v1, v0
.LBB302_1328:                           ;   in Loop: Header=BB302_10 Depth=1
	s_or_b32 exec_lo, exec_lo, s17
.LBB302_1329:                           ;   in Loop: Header=BB302_10 Depth=1
	s_or_b32 exec_lo, exec_lo, s12
.LBB302_1330:                           ;   in Loop: Header=BB302_10 Depth=1
	s_or_b32 exec_lo, exec_lo, s11
	v_lshrrev_b16 v4, 8, v4
	v_mov_b32_e32 v3, 0
	v_mov_b32_e32 v113, 0
	s_mov_b32 s11, exec_lo
	v_cmpx_ne_u16_e32 0, v4
	s_cbranch_execz .LBB302_1338
; %bb.1331:                             ;   in Loop: Header=BB302_10 Depth=1
	v_bfrev_b32_e32 v113, 1
	s_mov_b32 s12, exec_lo
	v_cmpx_ne_u16_e32 0x80, v4
	s_cbranch_execz .LBB302_1337
; %bb.1332:                             ;   in Loop: Header=BB302_10 Depth=1
	v_mov_b32_e32 v0, 0x7f
	v_mov_b32_e32 v113, 0x7c010000
	s_mov_b32 s17, exec_lo
	v_and_b32_sdwa v2, v4, v0 dst_sel:DWORD dst_unused:UNUSED_PAD src0_sel:WORD_0 src1_sel:DWORD
	v_cmpx_ne_u32_e32 0x7f, v2
	s_cbranch_execz .LBB302_1336
; %bb.1333:                             ;   in Loop: Header=BB302_10 Depth=1
	v_mov_b32_e32 v0, 7
	v_lshrrev_b32_e32 v1, 3, v2
	s_mov_b32 s19, exec_lo
	v_and_b32_sdwa v0, v4, v0 dst_sel:DWORD dst_unused:UNUSED_PAD src0_sel:WORD_0 src1_sel:DWORD
	v_cmpx_gt_u32_e32 8, v2
; %bb.1334:                             ;   in Loop: Header=BB302_10 Depth=1
	v_ffbh_u32_e32 v0, v0
	v_min_u32_e32 v2, 32, v0
	v_subrev_nc_u32_e32 v0, 28, v2
	v_lshlrev_b64 v[0:1], v0, v[4:5]
	v_sub_nc_u32_e32 v1, 29, v2
	v_and_b32_e32 v0, 7, v0
; %bb.1335:                             ;   in Loop: Header=BB302_10 Depth=1
	s_or_b32 exec_lo, exec_lo, s19
	v_mov_b32_e32 v2, 8
	v_lshl_add_u32 v1, v1, 10, 0x2000
	v_lshlrev_b32_e32 v0, 23, v0
	v_lshlrev_b32_sdwa v2, v2, v4 dst_sel:DWORD dst_unused:UNUSED_PAD src0_sel:DWORD src1_sel:WORD_0
	v_and_or_b32 v1, 0x8000, v2, v1
	v_lshl_or_b32 v113, v1, 16, v0
.LBB302_1336:                           ;   in Loop: Header=BB302_10 Depth=1
	s_or_b32 exec_lo, exec_lo, s17
.LBB302_1337:                           ;   in Loop: Header=BB302_10 Depth=1
	s_or_b32 exec_lo, exec_lo, s12
.LBB302_1338:                           ;   in Loop: Header=BB302_10 Depth=1
	s_or_b32 exec_lo, exec_lo, s11
	v_lshrrev_b32_e32 v4, 16, v27
	v_cmp_ne_u16_sdwa s5, v4, v5 src0_sel:BYTE_0 src1_sel:DWORD
	s_and_saveexec_b32 s11, s5
	s_cbranch_execz .LBB302_1346
; %bb.1339:                             ;   in Loop: Header=BB302_10 Depth=1
	v_cmp_ne_u16_sdwa s5, v4, v99 src0_sel:BYTE_0 src1_sel:DWORD
	v_mov_b32_e32 v3, 0x8000
	s_and_saveexec_b32 s12, s5
	s_cbranch_execz .LBB302_1345
; %bb.1340:                             ;   in Loop: Header=BB302_10 Depth=1
	v_bfe_u32 v2, v27, 16, 7
	v_mov_b32_e32 v3, 0x7c01
	s_mov_b32 s17, exec_lo
	v_cmpx_ne_u32_e32 0x7f, v2
	s_cbranch_execz .LBB302_1344
; %bb.1341:                             ;   in Loop: Header=BB302_10 Depth=1
	v_and_b32_e32 v0, 7, v4
	v_lshrrev_b32_e32 v1, 3, v2
	s_mov_b32 s19, exec_lo
	v_cmpx_gt_u32_e32 8, v2
; %bb.1342:                             ;   in Loop: Header=BB302_10 Depth=1
	v_ffbh_u32_e32 v0, v0
	v_min_u32_e32 v2, 32, v0
	v_subrev_nc_u32_e32 v0, 28, v2
	v_lshlrev_b64 v[0:1], v0, v[4:5]
	v_sub_nc_u32_e32 v1, 29, v2
	v_and_b32_e32 v0, 7, v0
; %bb.1343:                             ;   in Loop: Header=BB302_10 Depth=1
	s_or_b32 exec_lo, exec_lo, s19
	v_lshlrev_b32_e32 v2, 8, v4
	v_lshl_add_u32 v1, v1, 10, 0x2000
	v_lshlrev_b32_e32 v0, 7, v0
	v_and_b32_e32 v2, 0x8000, v2
	v_and_b32_e32 v1, 0xfc00, v1
	v_or3_b32 v3, v2, v1, v0
.LBB302_1344:                           ;   in Loop: Header=BB302_10 Depth=1
	s_or_b32 exec_lo, exec_lo, s17
.LBB302_1345:                           ;   in Loop: Header=BB302_10 Depth=1
	s_or_b32 exec_lo, exec_lo, s12
.LBB302_1346:                           ;   in Loop: Header=BB302_10 Depth=1
	s_or_b32 exec_lo, exec_lo, s11
	v_mov_b32_e32 v104, 0
	v_mov_b32_e32 v61, 0
	s_mov_b32 s11, exec_lo
	v_cmpx_lt_u64_e64 s[6:7], v[26:27]
	s_cbranch_execz .LBB302_1354
; %bb.1347:                             ;   in Loop: Header=BB302_10 Depth=1
	v_lshrrev_b32_e32 v4, 24, v27
	v_bfrev_b32_e32 v61, 1
	s_mov_b32 s12, exec_lo
	v_cmpx_ne_u32_e32 0x80, v4
	s_cbranch_execz .LBB302_1353
; %bb.1348:                             ;   in Loop: Header=BB302_10 Depth=1
	v_and_b32_e32 v2, 0x7f, v4
	v_mov_b32_e32 v61, 0x7c010000
	s_mov_b32 s17, exec_lo
	v_cmpx_ne_u32_e32 0x7f, v2
	s_cbranch_execz .LBB302_1352
; %bb.1349:                             ;   in Loop: Header=BB302_10 Depth=1
	v_and_b32_e32 v0, 7, v4
	v_lshrrev_b32_e32 v1, 3, v2
	s_mov_b32 s19, exec_lo
	v_cmpx_gt_u32_e32 8, v2
; %bb.1350:                             ;   in Loop: Header=BB302_10 Depth=1
	v_ffbh_u32_e32 v0, v0
	v_min_u32_e32 v2, 32, v0
	v_subrev_nc_u32_e32 v0, 28, v2
	v_lshlrev_b64 v[0:1], v0, v[4:5]
	v_sub_nc_u32_e32 v1, 29, v2
	v_and_b32_e32 v0, 7, v0
; %bb.1351:                             ;   in Loop: Header=BB302_10 Depth=1
	s_or_b32 exec_lo, exec_lo, s19
	v_lshlrev_b32_e32 v2, 8, v4
	v_lshl_add_u32 v1, v1, 10, 0x2000
	v_lshlrev_b32_e32 v0, 23, v0
	v_and_or_b32 v1, 0x8000, v2, v1
	v_lshl_or_b32 v61, v1, 16, v0
.LBB302_1352:                           ;   in Loop: Header=BB302_10 Depth=1
	s_or_b32 exec_lo, exec_lo, s17
.LBB302_1353:                           ;   in Loop: Header=BB302_10 Depth=1
	s_or_b32 exec_lo, exec_lo, s12
.LBB302_1354:                           ;   in Loop: Header=BB302_10 Depth=1
	s_or_b32 exec_lo, exec_lo, s11
	flat_load_dwordx2 v[26:27], v[24:25] offset:1032
	s_waitcnt vmcnt(0) lgkmcnt(0)
	v_cmp_ne_u16_sdwa s5, v26, v5 src0_sel:BYTE_0 src1_sel:DWORD
	s_and_saveexec_b32 s11, s5
	s_cbranch_execz .LBB302_1362
; %bb.1355:                             ;   in Loop: Header=BB302_10 Depth=1
	v_cmp_ne_u16_sdwa s5, v26, v99 src0_sel:BYTE_0 src1_sel:DWORD
	v_mov_b32_e32 v104, 0x8000
	s_and_saveexec_b32 s12, s5
	s_cbranch_execz .LBB302_1361
; %bb.1356:                             ;   in Loop: Header=BB302_10 Depth=1
	v_and_b32_e32 v2, 0x7f, v26
	v_mov_b32_e32 v104, 0x7c01
	s_mov_b32 s17, exec_lo
	v_cmpx_ne_u32_e32 0x7f, v2
	s_cbranch_execz .LBB302_1360
; %bb.1357:                             ;   in Loop: Header=BB302_10 Depth=1
	v_and_b32_e32 v0, 7, v26
	v_lshrrev_b32_e32 v1, 3, v2
	s_mov_b32 s19, exec_lo
	v_cmpx_gt_u32_e32 8, v2
; %bb.1358:                             ;   in Loop: Header=BB302_10 Depth=1
	v_ffbh_u32_e32 v0, v0
	v_min_u32_e32 v2, 32, v0
	v_subrev_nc_u32_e32 v0, 28, v2
	v_lshlrev_b64 v[0:1], v0, v[26:27]
	v_sub_nc_u32_e32 v1, 29, v2
	v_and_b32_e32 v0, 7, v0
; %bb.1359:                             ;   in Loop: Header=BB302_10 Depth=1
	s_or_b32 exec_lo, exec_lo, s19
	v_lshlrev_b32_e32 v2, 8, v26
	v_lshl_add_u32 v1, v1, 10, 0x2000
	v_lshlrev_b32_e32 v0, 7, v0
	v_and_b32_e32 v2, 0x8000, v2
	v_and_b32_e32 v1, 0xfc00, v1
	v_or3_b32 v104, v2, v1, v0
.LBB302_1360:                           ;   in Loop: Header=BB302_10 Depth=1
	s_or_b32 exec_lo, exec_lo, s17
.LBB302_1361:                           ;   in Loop: Header=BB302_10 Depth=1
	s_or_b32 exec_lo, exec_lo, s12
.LBB302_1362:                           ;   in Loop: Header=BB302_10 Depth=1
	s_or_b32 exec_lo, exec_lo, s11
	v_lshrrev_b16 v4, 8, v26
	v_mov_b32_e32 v40, 0
	v_mov_b32_e32 v100, 0
	s_mov_b32 s11, exec_lo
	v_cmpx_ne_u16_e32 0, v4
	s_cbranch_execz .LBB302_1370
; %bb.1363:                             ;   in Loop: Header=BB302_10 Depth=1
	v_bfrev_b32_e32 v100, 1
	s_mov_b32 s12, exec_lo
	v_cmpx_ne_u16_e32 0x80, v4
	s_cbranch_execz .LBB302_1369
; %bb.1364:                             ;   in Loop: Header=BB302_10 Depth=1
	v_mov_b32_e32 v0, 0x7f
	v_mov_b32_e32 v100, 0x7c010000
	s_mov_b32 s17, exec_lo
	v_and_b32_sdwa v2, v4, v0 dst_sel:DWORD dst_unused:UNUSED_PAD src0_sel:WORD_0 src1_sel:DWORD
	v_cmpx_ne_u32_e32 0x7f, v2
	s_cbranch_execz .LBB302_1368
; %bb.1365:                             ;   in Loop: Header=BB302_10 Depth=1
	v_mov_b32_e32 v0, 7
	v_lshrrev_b32_e32 v1, 3, v2
	s_mov_b32 s19, exec_lo
	v_and_b32_sdwa v0, v4, v0 dst_sel:DWORD dst_unused:UNUSED_PAD src0_sel:WORD_0 src1_sel:DWORD
	v_cmpx_gt_u32_e32 8, v2
; %bb.1366:                             ;   in Loop: Header=BB302_10 Depth=1
	v_ffbh_u32_e32 v0, v0
	v_min_u32_e32 v2, 32, v0
	v_subrev_nc_u32_e32 v0, 28, v2
	v_lshlrev_b64 v[0:1], v0, v[4:5]
	v_sub_nc_u32_e32 v1, 29, v2
	v_and_b32_e32 v0, 7, v0
; %bb.1367:                             ;   in Loop: Header=BB302_10 Depth=1
	s_or_b32 exec_lo, exec_lo, s19
	v_mov_b32_e32 v2, 8
	v_lshl_add_u32 v1, v1, 10, 0x2000
	v_lshlrev_b32_e32 v0, 23, v0
	v_lshlrev_b32_sdwa v2, v2, v4 dst_sel:DWORD dst_unused:UNUSED_PAD src0_sel:DWORD src1_sel:WORD_0
	v_and_or_b32 v1, 0x8000, v2, v1
	v_lshl_or_b32 v100, v1, 16, v0
.LBB302_1368:                           ;   in Loop: Header=BB302_10 Depth=1
	s_or_b32 exec_lo, exec_lo, s17
.LBB302_1369:                           ;   in Loop: Header=BB302_10 Depth=1
	s_or_b32 exec_lo, exec_lo, s12
.LBB302_1370:                           ;   in Loop: Header=BB302_10 Depth=1
	s_or_b32 exec_lo, exec_lo, s11
	v_lshrrev_b32_e32 v4, 16, v26
	v_cmp_ne_u16_sdwa s5, v4, v5 src0_sel:BYTE_0 src1_sel:DWORD
	s_and_saveexec_b32 s11, s5
	s_cbranch_execz .LBB302_1378
; %bb.1371:                             ;   in Loop: Header=BB302_10 Depth=1
	v_cmp_ne_u16_sdwa s5, v4, v99 src0_sel:BYTE_0 src1_sel:DWORD
	v_mov_b32_e32 v40, 0x8000
	s_and_saveexec_b32 s12, s5
	s_cbranch_execz .LBB302_1377
; %bb.1372:                             ;   in Loop: Header=BB302_10 Depth=1
	v_bfe_u32 v2, v26, 16, 7
	v_mov_b32_e32 v40, 0x7c01
	s_mov_b32 s17, exec_lo
	v_cmpx_ne_u32_e32 0x7f, v2
	s_cbranch_execz .LBB302_1376
; %bb.1373:                             ;   in Loop: Header=BB302_10 Depth=1
	v_and_b32_e32 v0, 7, v4
	v_lshrrev_b32_e32 v1, 3, v2
	s_mov_b32 s19, exec_lo
	v_cmpx_gt_u32_e32 8, v2
; %bb.1374:                             ;   in Loop: Header=BB302_10 Depth=1
	v_ffbh_u32_e32 v0, v0
	v_min_u32_e32 v2, 32, v0
	v_subrev_nc_u32_e32 v0, 28, v2
	v_lshlrev_b64 v[0:1], v0, v[4:5]
	v_sub_nc_u32_e32 v1, 29, v2
	v_and_b32_e32 v0, 7, v0
; %bb.1375:                             ;   in Loop: Header=BB302_10 Depth=1
	s_or_b32 exec_lo, exec_lo, s19
	v_lshlrev_b32_e32 v2, 8, v4
	v_lshl_add_u32 v1, v1, 10, 0x2000
	v_lshlrev_b32_e32 v0, 7, v0
	v_and_b32_e32 v2, 0x8000, v2
	v_and_b32_e32 v1, 0xfc00, v1
	v_or3_b32 v40, v2, v1, v0
.LBB302_1376:                           ;   in Loop: Header=BB302_10 Depth=1
	s_or_b32 exec_lo, exec_lo, s17
.LBB302_1377:                           ;   in Loop: Header=BB302_10 Depth=1
	s_or_b32 exec_lo, exec_lo, s12
.LBB302_1378:                           ;   in Loop: Header=BB302_10 Depth=1
	s_or_b32 exec_lo, exec_lo, s11
	v_mov_b32_e32 v68, 0
	v_mov_b32_e32 v70, 0
	s_mov_b32 s11, exec_lo
	v_cmpx_lt_u32_e32 0xffffff, v26
	s_cbranch_execz .LBB302_1386
; %bb.1379:                             ;   in Loop: Header=BB302_10 Depth=1
	v_lshrrev_b32_e32 v4, 24, v26
	v_bfrev_b32_e32 v70, 1
	s_mov_b32 s12, exec_lo
	v_cmpx_ne_u32_e32 0x80, v4
	s_cbranch_execz .LBB302_1385
; %bb.1380:                             ;   in Loop: Header=BB302_10 Depth=1
	v_and_b32_e32 v2, 0x7f, v4
	v_mov_b32_e32 v70, 0x7c010000
	s_mov_b32 s17, exec_lo
	v_cmpx_ne_u32_e32 0x7f, v2
	s_cbranch_execz .LBB302_1384
; %bb.1381:                             ;   in Loop: Header=BB302_10 Depth=1
	v_and_b32_e32 v0, 7, v4
	v_lshrrev_b32_e32 v1, 3, v2
	s_mov_b32 s19, exec_lo
	v_cmpx_gt_u32_e32 8, v2
; %bb.1382:                             ;   in Loop: Header=BB302_10 Depth=1
	v_ffbh_u32_e32 v0, v0
	v_min_u32_e32 v2, 32, v0
	v_subrev_nc_u32_e32 v0, 28, v2
	v_lshlrev_b64 v[0:1], v0, v[4:5]
	v_sub_nc_u32_e32 v1, 29, v2
	v_and_b32_e32 v0, 7, v0
; %bb.1383:                             ;   in Loop: Header=BB302_10 Depth=1
	s_or_b32 exec_lo, exec_lo, s19
	v_lshlrev_b32_e32 v2, 8, v4
	v_lshl_add_u32 v1, v1, 10, 0x2000
	v_lshlrev_b32_e32 v0, 23, v0
	v_and_or_b32 v1, 0x8000, v2, v1
	v_lshl_or_b32 v70, v1, 16, v0
.LBB302_1384:                           ;   in Loop: Header=BB302_10 Depth=1
	s_or_b32 exec_lo, exec_lo, s17
.LBB302_1385:                           ;   in Loop: Header=BB302_10 Depth=1
	s_or_b32 exec_lo, exec_lo, s12
.LBB302_1386:                           ;   in Loop: Header=BB302_10 Depth=1
	s_or_b32 exec_lo, exec_lo, s11
	v_mov_b32_e32 v4, v27
	v_cmp_ne_u16_sdwa s5, v27, v5 src0_sel:BYTE_0 src1_sel:DWORD
	s_and_saveexec_b32 s11, s5
	s_cbranch_execz .LBB302_1394
; %bb.1387:                             ;   in Loop: Header=BB302_10 Depth=1
	v_cmp_ne_u16_sdwa s5, v27, v99 src0_sel:BYTE_0 src1_sel:DWORD
	v_mov_b32_e32 v68, 0x8000
	s_and_saveexec_b32 s12, s5
	s_cbranch_execz .LBB302_1393
; %bb.1388:                             ;   in Loop: Header=BB302_10 Depth=1
	v_and_b32_e32 v2, 0x7f, v27
	v_mov_b32_e32 v68, 0x7c01
	s_mov_b32 s17, exec_lo
	v_cmpx_ne_u32_e32 0x7f, v2
	s_cbranch_execz .LBB302_1392
; %bb.1389:                             ;   in Loop: Header=BB302_10 Depth=1
	v_and_b32_e32 v0, 7, v27
	v_lshrrev_b32_e32 v1, 3, v2
	s_mov_b32 s19, exec_lo
	v_cmpx_gt_u32_e32 8, v2
; %bb.1390:                             ;   in Loop: Header=BB302_10 Depth=1
	v_ffbh_u32_e32 v0, v0
	v_min_u32_e32 v2, 32, v0
	v_subrev_nc_u32_e32 v0, 28, v2
	v_lshlrev_b64 v[0:1], v0, v[4:5]
	v_sub_nc_u32_e32 v1, 29, v2
	v_and_b32_e32 v0, 7, v0
; %bb.1391:                             ;   in Loop: Header=BB302_10 Depth=1
	s_or_b32 exec_lo, exec_lo, s19
	v_lshlrev_b32_e32 v2, 8, v27
	v_lshl_add_u32 v1, v1, 10, 0x2000
	v_lshlrev_b32_e32 v0, 7, v0
	v_and_b32_e32 v2, 0x8000, v2
	v_and_b32_e32 v1, 0xfc00, v1
	v_or3_b32 v68, v2, v1, v0
.LBB302_1392:                           ;   in Loop: Header=BB302_10 Depth=1
	s_or_b32 exec_lo, exec_lo, s17
.LBB302_1393:                           ;   in Loop: Header=BB302_10 Depth=1
	s_or_b32 exec_lo, exec_lo, s12
.LBB302_1394:                           ;   in Loop: Header=BB302_10 Depth=1
	s_or_b32 exec_lo, exec_lo, s11
	v_lshrrev_b16 v4, 8, v4
	v_mov_b32_e32 v43, 0
	v_mov_b32_e32 v90, 0
	s_mov_b32 s11, exec_lo
	v_cmpx_ne_u16_e32 0, v4
	s_cbranch_execz .LBB302_1402
; %bb.1395:                             ;   in Loop: Header=BB302_10 Depth=1
	v_bfrev_b32_e32 v90, 1
	s_mov_b32 s12, exec_lo
	v_cmpx_ne_u16_e32 0x80, v4
	s_cbranch_execz .LBB302_1401
; %bb.1396:                             ;   in Loop: Header=BB302_10 Depth=1
	v_mov_b32_e32 v0, 0x7f
	v_mov_b32_e32 v90, 0x7c010000
	s_mov_b32 s17, exec_lo
	v_and_b32_sdwa v2, v4, v0 dst_sel:DWORD dst_unused:UNUSED_PAD src0_sel:WORD_0 src1_sel:DWORD
	v_cmpx_ne_u32_e32 0x7f, v2
	s_cbranch_execz .LBB302_1400
; %bb.1397:                             ;   in Loop: Header=BB302_10 Depth=1
	v_mov_b32_e32 v0, 7
	v_lshrrev_b32_e32 v1, 3, v2
	s_mov_b32 s19, exec_lo
	v_and_b32_sdwa v0, v4, v0 dst_sel:DWORD dst_unused:UNUSED_PAD src0_sel:WORD_0 src1_sel:DWORD
	v_cmpx_gt_u32_e32 8, v2
; %bb.1398:                             ;   in Loop: Header=BB302_10 Depth=1
	v_ffbh_u32_e32 v0, v0
	v_min_u32_e32 v2, 32, v0
	v_subrev_nc_u32_e32 v0, 28, v2
	v_lshlrev_b64 v[0:1], v0, v[4:5]
	v_sub_nc_u32_e32 v1, 29, v2
	v_and_b32_e32 v0, 7, v0
; %bb.1399:                             ;   in Loop: Header=BB302_10 Depth=1
	s_or_b32 exec_lo, exec_lo, s19
	v_mov_b32_e32 v2, 8
	v_lshl_add_u32 v1, v1, 10, 0x2000
	v_lshlrev_b32_e32 v0, 23, v0
	v_lshlrev_b32_sdwa v2, v2, v4 dst_sel:DWORD dst_unused:UNUSED_PAD src0_sel:DWORD src1_sel:WORD_0
	v_and_or_b32 v1, 0x8000, v2, v1
	v_lshl_or_b32 v90, v1, 16, v0
.LBB302_1400:                           ;   in Loop: Header=BB302_10 Depth=1
	s_or_b32 exec_lo, exec_lo, s17
.LBB302_1401:                           ;   in Loop: Header=BB302_10 Depth=1
	s_or_b32 exec_lo, exec_lo, s12
.LBB302_1402:                           ;   in Loop: Header=BB302_10 Depth=1
	s_or_b32 exec_lo, exec_lo, s11
	v_lshrrev_b32_e32 v4, 16, v27
	v_cmp_ne_u16_sdwa s5, v4, v5 src0_sel:BYTE_0 src1_sel:DWORD
	s_and_saveexec_b32 s11, s5
	s_cbranch_execz .LBB302_1410
; %bb.1403:                             ;   in Loop: Header=BB302_10 Depth=1
	v_cmp_ne_u16_sdwa s5, v4, v99 src0_sel:BYTE_0 src1_sel:DWORD
	v_mov_b32_e32 v43, 0x8000
	s_and_saveexec_b32 s12, s5
	s_cbranch_execz .LBB302_1409
; %bb.1404:                             ;   in Loop: Header=BB302_10 Depth=1
	v_bfe_u32 v2, v27, 16, 7
	v_mov_b32_e32 v43, 0x7c01
	s_mov_b32 s17, exec_lo
	v_cmpx_ne_u32_e32 0x7f, v2
	s_cbranch_execz .LBB302_1408
; %bb.1405:                             ;   in Loop: Header=BB302_10 Depth=1
	v_and_b32_e32 v0, 7, v4
	v_lshrrev_b32_e32 v1, 3, v2
	s_mov_b32 s19, exec_lo
	v_cmpx_gt_u32_e32 8, v2
; %bb.1406:                             ;   in Loop: Header=BB302_10 Depth=1
	v_ffbh_u32_e32 v0, v0
	v_min_u32_e32 v2, 32, v0
	v_subrev_nc_u32_e32 v0, 28, v2
	v_lshlrev_b64 v[0:1], v0, v[4:5]
	v_sub_nc_u32_e32 v1, 29, v2
	v_and_b32_e32 v0, 7, v0
; %bb.1407:                             ;   in Loop: Header=BB302_10 Depth=1
	s_or_b32 exec_lo, exec_lo, s19
	v_lshlrev_b32_e32 v2, 8, v4
	v_lshl_add_u32 v1, v1, 10, 0x2000
	v_lshlrev_b32_e32 v0, 7, v0
	v_and_b32_e32 v2, 0x8000, v2
	v_and_b32_e32 v1, 0xfc00, v1
	v_or3_b32 v43, v2, v1, v0
.LBB302_1408:                           ;   in Loop: Header=BB302_10 Depth=1
	s_or_b32 exec_lo, exec_lo, s17
.LBB302_1409:                           ;   in Loop: Header=BB302_10 Depth=1
	s_or_b32 exec_lo, exec_lo, s12
.LBB302_1410:                           ;   in Loop: Header=BB302_10 Depth=1
	s_or_b32 exec_lo, exec_lo, s11
	v_mov_b32_e32 v102, 0
	v_mov_b32_e32 v111, 0
	s_mov_b32 s11, exec_lo
	v_cmpx_lt_u64_e64 s[6:7], v[26:27]
	s_cbranch_execz .LBB302_1418
; %bb.1411:                             ;   in Loop: Header=BB302_10 Depth=1
	v_lshrrev_b32_e32 v4, 24, v27
	v_bfrev_b32_e32 v111, 1
	s_mov_b32 s12, exec_lo
	v_cmpx_ne_u32_e32 0x80, v4
	s_cbranch_execz .LBB302_1417
; %bb.1412:                             ;   in Loop: Header=BB302_10 Depth=1
	v_and_b32_e32 v2, 0x7f, v4
	v_mov_b32_e32 v111, 0x7c010000
	s_mov_b32 s17, exec_lo
	v_cmpx_ne_u32_e32 0x7f, v2
	s_cbranch_execz .LBB302_1416
; %bb.1413:                             ;   in Loop: Header=BB302_10 Depth=1
	v_and_b32_e32 v0, 7, v4
	v_lshrrev_b32_e32 v1, 3, v2
	s_mov_b32 s19, exec_lo
	v_cmpx_gt_u32_e32 8, v2
; %bb.1414:                             ;   in Loop: Header=BB302_10 Depth=1
	v_ffbh_u32_e32 v0, v0
	v_min_u32_e32 v2, 32, v0
	v_subrev_nc_u32_e32 v0, 28, v2
	v_lshlrev_b64 v[0:1], v0, v[4:5]
	v_sub_nc_u32_e32 v1, 29, v2
	v_and_b32_e32 v0, 7, v0
; %bb.1415:                             ;   in Loop: Header=BB302_10 Depth=1
	s_or_b32 exec_lo, exec_lo, s19
	v_lshlrev_b32_e32 v2, 8, v4
	v_lshl_add_u32 v1, v1, 10, 0x2000
	v_lshlrev_b32_e32 v0, 23, v0
	v_and_or_b32 v1, 0x8000, v2, v1
	v_lshl_or_b32 v111, v1, 16, v0
.LBB302_1416:                           ;   in Loop: Header=BB302_10 Depth=1
	s_or_b32 exec_lo, exec_lo, s17
.LBB302_1417:                           ;   in Loop: Header=BB302_10 Depth=1
	s_or_b32 exec_lo, exec_lo, s12
.LBB302_1418:                           ;   in Loop: Header=BB302_10 Depth=1
	s_or_b32 exec_lo, exec_lo, s11
	flat_load_dwordx2 v[26:27], v[24:25] offset:1536
	s_waitcnt vmcnt(0) lgkmcnt(0)
	v_cmp_ne_u16_sdwa s5, v26, v5 src0_sel:BYTE_0 src1_sel:DWORD
	s_and_saveexec_b32 s11, s5
	s_cbranch_execz .LBB302_1426
; %bb.1419:                             ;   in Loop: Header=BB302_10 Depth=1
	v_cmp_ne_u16_sdwa s5, v26, v99 src0_sel:BYTE_0 src1_sel:DWORD
	v_mov_b32_e32 v102, 0x8000
	s_and_saveexec_b32 s12, s5
	s_cbranch_execz .LBB302_1425
; %bb.1420:                             ;   in Loop: Header=BB302_10 Depth=1
	v_and_b32_e32 v2, 0x7f, v26
	v_mov_b32_e32 v102, 0x7c01
	s_mov_b32 s17, exec_lo
	v_cmpx_ne_u32_e32 0x7f, v2
	s_cbranch_execz .LBB302_1424
; %bb.1421:                             ;   in Loop: Header=BB302_10 Depth=1
	v_and_b32_e32 v0, 7, v26
	v_lshrrev_b32_e32 v1, 3, v2
	s_mov_b32 s19, exec_lo
	v_cmpx_gt_u32_e32 8, v2
; %bb.1422:                             ;   in Loop: Header=BB302_10 Depth=1
	v_ffbh_u32_e32 v0, v0
	v_min_u32_e32 v2, 32, v0
	v_subrev_nc_u32_e32 v0, 28, v2
	v_lshlrev_b64 v[0:1], v0, v[26:27]
	v_sub_nc_u32_e32 v1, 29, v2
	v_and_b32_e32 v0, 7, v0
; %bb.1423:                             ;   in Loop: Header=BB302_10 Depth=1
	s_or_b32 exec_lo, exec_lo, s19
	v_lshlrev_b32_e32 v2, 8, v26
	v_lshl_add_u32 v1, v1, 10, 0x2000
	v_lshlrev_b32_e32 v0, 7, v0
	v_and_b32_e32 v2, 0x8000, v2
	v_and_b32_e32 v1, 0xfc00, v1
	v_or3_b32 v102, v2, v1, v0
.LBB302_1424:                           ;   in Loop: Header=BB302_10 Depth=1
	s_or_b32 exec_lo, exec_lo, s17
.LBB302_1425:                           ;   in Loop: Header=BB302_10 Depth=1
	s_or_b32 exec_lo, exec_lo, s12
.LBB302_1426:                           ;   in Loop: Header=BB302_10 Depth=1
	s_or_b32 exec_lo, exec_lo, s11
	v_lshrrev_b16 v4, 8, v26
	v_mov_b32_e32 v120, 0
	v_mov_b32_e32 v44, 0
	s_mov_b32 s11, exec_lo
	v_cmpx_ne_u16_e32 0, v4
	s_cbranch_execz .LBB302_1434
; %bb.1427:                             ;   in Loop: Header=BB302_10 Depth=1
	v_bfrev_b32_e32 v44, 1
	s_mov_b32 s12, exec_lo
	v_cmpx_ne_u16_e32 0x80, v4
	s_cbranch_execz .LBB302_1433
; %bb.1428:                             ;   in Loop: Header=BB302_10 Depth=1
	v_mov_b32_e32 v0, 0x7f
	v_mov_b32_e32 v44, 0x7c010000
	s_mov_b32 s17, exec_lo
	v_and_b32_sdwa v2, v4, v0 dst_sel:DWORD dst_unused:UNUSED_PAD src0_sel:WORD_0 src1_sel:DWORD
	v_cmpx_ne_u32_e32 0x7f, v2
	s_cbranch_execz .LBB302_1432
; %bb.1429:                             ;   in Loop: Header=BB302_10 Depth=1
	v_mov_b32_e32 v0, 7
	v_lshrrev_b32_e32 v1, 3, v2
	s_mov_b32 s19, exec_lo
	v_and_b32_sdwa v0, v4, v0 dst_sel:DWORD dst_unused:UNUSED_PAD src0_sel:WORD_0 src1_sel:DWORD
	v_cmpx_gt_u32_e32 8, v2
; %bb.1430:                             ;   in Loop: Header=BB302_10 Depth=1
	v_ffbh_u32_e32 v0, v0
	v_min_u32_e32 v2, 32, v0
	v_subrev_nc_u32_e32 v0, 28, v2
	v_lshlrev_b64 v[0:1], v0, v[4:5]
	v_sub_nc_u32_e32 v1, 29, v2
	v_and_b32_e32 v0, 7, v0
; %bb.1431:                             ;   in Loop: Header=BB302_10 Depth=1
	s_or_b32 exec_lo, exec_lo, s19
	v_mov_b32_e32 v2, 8
	v_lshl_add_u32 v1, v1, 10, 0x2000
	v_lshlrev_b32_e32 v0, 23, v0
	v_lshlrev_b32_sdwa v2, v2, v4 dst_sel:DWORD dst_unused:UNUSED_PAD src0_sel:DWORD src1_sel:WORD_0
	v_and_or_b32 v1, 0x8000, v2, v1
	v_lshl_or_b32 v44, v1, 16, v0
.LBB302_1432:                           ;   in Loop: Header=BB302_10 Depth=1
	s_or_b32 exec_lo, exec_lo, s17
.LBB302_1433:                           ;   in Loop: Header=BB302_10 Depth=1
	s_or_b32 exec_lo, exec_lo, s12
.LBB302_1434:                           ;   in Loop: Header=BB302_10 Depth=1
	s_or_b32 exec_lo, exec_lo, s11
	v_lshrrev_b32_e32 v4, 16, v26
	v_cmp_ne_u16_sdwa s5, v4, v5 src0_sel:BYTE_0 src1_sel:DWORD
	s_and_saveexec_b32 s11, s5
	s_cbranch_execz .LBB302_1442
; %bb.1435:                             ;   in Loop: Header=BB302_10 Depth=1
	v_cmp_ne_u16_sdwa s5, v4, v99 src0_sel:BYTE_0 src1_sel:DWORD
	v_mov_b32_e32 v120, 0x8000
	s_and_saveexec_b32 s12, s5
	s_cbranch_execz .LBB302_1441
; %bb.1436:                             ;   in Loop: Header=BB302_10 Depth=1
	v_bfe_u32 v2, v26, 16, 7
	v_mov_b32_e32 v120, 0x7c01
	s_mov_b32 s17, exec_lo
	v_cmpx_ne_u32_e32 0x7f, v2
	s_cbranch_execz .LBB302_1440
; %bb.1437:                             ;   in Loop: Header=BB302_10 Depth=1
	v_and_b32_e32 v0, 7, v4
	v_lshrrev_b32_e32 v1, 3, v2
	s_mov_b32 s19, exec_lo
	v_cmpx_gt_u32_e32 8, v2
; %bb.1438:                             ;   in Loop: Header=BB302_10 Depth=1
	v_ffbh_u32_e32 v0, v0
	v_min_u32_e32 v2, 32, v0
	v_subrev_nc_u32_e32 v0, 28, v2
	v_lshlrev_b64 v[0:1], v0, v[4:5]
	v_sub_nc_u32_e32 v1, 29, v2
	v_and_b32_e32 v0, 7, v0
; %bb.1439:                             ;   in Loop: Header=BB302_10 Depth=1
	s_or_b32 exec_lo, exec_lo, s19
	v_lshlrev_b32_e32 v2, 8, v4
	v_lshl_add_u32 v1, v1, 10, 0x2000
	v_lshlrev_b32_e32 v0, 7, v0
	v_and_b32_e32 v2, 0x8000, v2
	v_and_b32_e32 v1, 0xfc00, v1
	v_or3_b32 v120, v2, v1, v0
.LBB302_1440:                           ;   in Loop: Header=BB302_10 Depth=1
	s_or_b32 exec_lo, exec_lo, s17
.LBB302_1441:                           ;   in Loop: Header=BB302_10 Depth=1
	s_or_b32 exec_lo, exec_lo, s12
.LBB302_1442:                           ;   in Loop: Header=BB302_10 Depth=1
	s_or_b32 exec_lo, exec_lo, s11
	v_mov_b32_e32 v65, 0
	v_mov_b32_e32 v32, 0
	s_mov_b32 s11, exec_lo
	v_cmpx_lt_u32_e32 0xffffff, v26
	s_cbranch_execz .LBB302_1450
; %bb.1443:                             ;   in Loop: Header=BB302_10 Depth=1
	v_lshrrev_b32_e32 v4, 24, v26
	v_bfrev_b32_e32 v32, 1
	s_mov_b32 s12, exec_lo
	v_cmpx_ne_u32_e32 0x80, v4
	s_cbranch_execz .LBB302_1449
; %bb.1444:                             ;   in Loop: Header=BB302_10 Depth=1
	v_and_b32_e32 v2, 0x7f, v4
	v_mov_b32_e32 v32, 0x7c010000
	s_mov_b32 s17, exec_lo
	v_cmpx_ne_u32_e32 0x7f, v2
	s_cbranch_execz .LBB302_1448
; %bb.1445:                             ;   in Loop: Header=BB302_10 Depth=1
	v_and_b32_e32 v0, 7, v4
	v_lshrrev_b32_e32 v1, 3, v2
	s_mov_b32 s19, exec_lo
	v_cmpx_gt_u32_e32 8, v2
; %bb.1446:                             ;   in Loop: Header=BB302_10 Depth=1
	v_ffbh_u32_e32 v0, v0
	v_min_u32_e32 v2, 32, v0
	v_subrev_nc_u32_e32 v0, 28, v2
	v_lshlrev_b64 v[0:1], v0, v[4:5]
	v_sub_nc_u32_e32 v1, 29, v2
	v_and_b32_e32 v0, 7, v0
; %bb.1447:                             ;   in Loop: Header=BB302_10 Depth=1
	s_or_b32 exec_lo, exec_lo, s19
	v_lshlrev_b32_e32 v2, 8, v4
	v_lshl_add_u32 v1, v1, 10, 0x2000
	v_lshlrev_b32_e32 v0, 23, v0
	v_and_or_b32 v1, 0x8000, v2, v1
	v_lshl_or_b32 v32, v1, 16, v0
.LBB302_1448:                           ;   in Loop: Header=BB302_10 Depth=1
	s_or_b32 exec_lo, exec_lo, s17
.LBB302_1449:                           ;   in Loop: Header=BB302_10 Depth=1
	s_or_b32 exec_lo, exec_lo, s12
.LBB302_1450:                           ;   in Loop: Header=BB302_10 Depth=1
	s_or_b32 exec_lo, exec_lo, s11
	v_mov_b32_e32 v4, v27
	v_cmp_ne_u16_sdwa s5, v27, v5 src0_sel:BYTE_0 src1_sel:DWORD
	s_and_saveexec_b32 s11, s5
	s_cbranch_execz .LBB302_1458
; %bb.1451:                             ;   in Loop: Header=BB302_10 Depth=1
	v_cmp_ne_u16_sdwa s5, v27, v99 src0_sel:BYTE_0 src1_sel:DWORD
	v_mov_b32_e32 v65, 0x8000
	s_and_saveexec_b32 s12, s5
	s_cbranch_execz .LBB302_1457
; %bb.1452:                             ;   in Loop: Header=BB302_10 Depth=1
	v_and_b32_e32 v2, 0x7f, v27
	v_mov_b32_e32 v65, 0x7c01
	s_mov_b32 s17, exec_lo
	v_cmpx_ne_u32_e32 0x7f, v2
	s_cbranch_execz .LBB302_1456
; %bb.1453:                             ;   in Loop: Header=BB302_10 Depth=1
	v_and_b32_e32 v0, 7, v27
	v_lshrrev_b32_e32 v1, 3, v2
	s_mov_b32 s19, exec_lo
	v_cmpx_gt_u32_e32 8, v2
; %bb.1454:                             ;   in Loop: Header=BB302_10 Depth=1
	v_ffbh_u32_e32 v0, v0
	v_min_u32_e32 v2, 32, v0
	v_subrev_nc_u32_e32 v0, 28, v2
	v_lshlrev_b64 v[0:1], v0, v[4:5]
	v_sub_nc_u32_e32 v1, 29, v2
	v_and_b32_e32 v0, 7, v0
; %bb.1455:                             ;   in Loop: Header=BB302_10 Depth=1
	s_or_b32 exec_lo, exec_lo, s19
	v_lshlrev_b32_e32 v2, 8, v27
	v_lshl_add_u32 v1, v1, 10, 0x2000
	v_lshlrev_b32_e32 v0, 7, v0
	v_and_b32_e32 v2, 0x8000, v2
	v_and_b32_e32 v1, 0xfc00, v1
	v_or3_b32 v65, v2, v1, v0
.LBB302_1456:                           ;   in Loop: Header=BB302_10 Depth=1
	s_or_b32 exec_lo, exec_lo, s17
.LBB302_1457:                           ;   in Loop: Header=BB302_10 Depth=1
	s_or_b32 exec_lo, exec_lo, s12
.LBB302_1458:                           ;   in Loop: Header=BB302_10 Depth=1
	s_or_b32 exec_lo, exec_lo, s11
	v_lshrrev_b16 v4, 8, v4
	v_mov_b32_e32 v47, 0
	v_mov_b32_e32 v12, 0
	s_mov_b32 s11, exec_lo
	v_cmpx_ne_u16_e32 0, v4
	s_cbranch_execz .LBB302_1466
; %bb.1459:                             ;   in Loop: Header=BB302_10 Depth=1
	v_bfrev_b32_e32 v12, 1
	s_mov_b32 s12, exec_lo
	v_cmpx_ne_u16_e32 0x80, v4
	s_cbranch_execz .LBB302_1465
; %bb.1460:                             ;   in Loop: Header=BB302_10 Depth=1
	v_mov_b32_e32 v0, 0x7f
	v_mov_b32_e32 v12, 0x7c010000
	s_mov_b32 s17, exec_lo
	v_and_b32_sdwa v2, v4, v0 dst_sel:DWORD dst_unused:UNUSED_PAD src0_sel:WORD_0 src1_sel:DWORD
	v_cmpx_ne_u32_e32 0x7f, v2
	s_cbranch_execz .LBB302_1464
; %bb.1461:                             ;   in Loop: Header=BB302_10 Depth=1
	v_mov_b32_e32 v0, 7
	v_lshrrev_b32_e32 v1, 3, v2
	s_mov_b32 s19, exec_lo
	v_and_b32_sdwa v0, v4, v0 dst_sel:DWORD dst_unused:UNUSED_PAD src0_sel:WORD_0 src1_sel:DWORD
	v_cmpx_gt_u32_e32 8, v2
; %bb.1462:                             ;   in Loop: Header=BB302_10 Depth=1
	v_ffbh_u32_e32 v0, v0
	v_min_u32_e32 v2, 32, v0
	v_subrev_nc_u32_e32 v0, 28, v2
	v_lshlrev_b64 v[0:1], v0, v[4:5]
	v_sub_nc_u32_e32 v1, 29, v2
	v_and_b32_e32 v0, 7, v0
; %bb.1463:                             ;   in Loop: Header=BB302_10 Depth=1
	s_or_b32 exec_lo, exec_lo, s19
	v_mov_b32_e32 v2, 8
	v_lshl_add_u32 v1, v1, 10, 0x2000
	v_lshlrev_b32_e32 v0, 23, v0
	v_lshlrev_b32_sdwa v2, v2, v4 dst_sel:DWORD dst_unused:UNUSED_PAD src0_sel:DWORD src1_sel:WORD_0
	v_and_or_b32 v1, 0x8000, v2, v1
	v_lshl_or_b32 v12, v1, 16, v0
.LBB302_1464:                           ;   in Loop: Header=BB302_10 Depth=1
	s_or_b32 exec_lo, exec_lo, s17
.LBB302_1465:                           ;   in Loop: Header=BB302_10 Depth=1
	s_or_b32 exec_lo, exec_lo, s12
.LBB302_1466:                           ;   in Loop: Header=BB302_10 Depth=1
	s_or_b32 exec_lo, exec_lo, s11
	v_lshrrev_b32_e32 v4, 16, v27
	v_cmp_ne_u16_sdwa s5, v4, v5 src0_sel:BYTE_0 src1_sel:DWORD
	s_and_saveexec_b32 s11, s5
	s_cbranch_execz .LBB302_1474
; %bb.1467:                             ;   in Loop: Header=BB302_10 Depth=1
	v_cmp_ne_u16_sdwa s5, v4, v99 src0_sel:BYTE_0 src1_sel:DWORD
	v_mov_b32_e32 v47, 0x8000
	s_and_saveexec_b32 s12, s5
	s_cbranch_execz .LBB302_1473
; %bb.1468:                             ;   in Loop: Header=BB302_10 Depth=1
	v_bfe_u32 v2, v27, 16, 7
	v_mov_b32_e32 v47, 0x7c01
	s_mov_b32 s17, exec_lo
	v_cmpx_ne_u32_e32 0x7f, v2
	s_cbranch_execz .LBB302_1472
; %bb.1469:                             ;   in Loop: Header=BB302_10 Depth=1
	v_and_b32_e32 v0, 7, v4
	v_lshrrev_b32_e32 v1, 3, v2
	s_mov_b32 s19, exec_lo
	v_cmpx_gt_u32_e32 8, v2
; %bb.1470:                             ;   in Loop: Header=BB302_10 Depth=1
	v_ffbh_u32_e32 v0, v0
	v_min_u32_e32 v2, 32, v0
	v_subrev_nc_u32_e32 v0, 28, v2
	v_lshlrev_b64 v[0:1], v0, v[4:5]
	v_sub_nc_u32_e32 v1, 29, v2
	v_and_b32_e32 v0, 7, v0
; %bb.1471:                             ;   in Loop: Header=BB302_10 Depth=1
	s_or_b32 exec_lo, exec_lo, s19
	v_lshlrev_b32_e32 v2, 8, v4
	v_lshl_add_u32 v1, v1, 10, 0x2000
	v_lshlrev_b32_e32 v0, 7, v0
	v_and_b32_e32 v2, 0x8000, v2
	v_and_b32_e32 v1, 0xfc00, v1
	v_or3_b32 v47, v2, v1, v0
.LBB302_1472:                           ;   in Loop: Header=BB302_10 Depth=1
	s_or_b32 exec_lo, exec_lo, s17
.LBB302_1473:                           ;   in Loop: Header=BB302_10 Depth=1
	s_or_b32 exec_lo, exec_lo, s12
.LBB302_1474:                           ;   in Loop: Header=BB302_10 Depth=1
	s_or_b32 exec_lo, exec_lo, s11
	v_cmp_lt_u64_e64 s5, s[6:7], v[26:27]
	v_mov_b32_e32 v66, 0
	v_mov_b32_e32 v26, 0
	s_and_saveexec_b32 s11, s5
	s_cbranch_execz .LBB302_1482
; %bb.1475:                             ;   in Loop: Header=BB302_10 Depth=1
	v_lshrrev_b32_e32 v4, 24, v27
	v_bfrev_b32_e32 v26, 1
	s_mov_b32 s12, exec_lo
	v_cmpx_ne_u32_e32 0x80, v4
	s_cbranch_execz .LBB302_1481
; %bb.1476:                             ;   in Loop: Header=BB302_10 Depth=1
	v_and_b32_e32 v2, 0x7f, v4
	v_mov_b32_e32 v26, 0x7c010000
	s_mov_b32 s17, exec_lo
	v_cmpx_ne_u32_e32 0x7f, v2
	s_cbranch_execz .LBB302_1480
; %bb.1477:                             ;   in Loop: Header=BB302_10 Depth=1
	v_and_b32_e32 v0, 7, v4
	v_lshrrev_b32_e32 v1, 3, v2
	s_mov_b32 s19, exec_lo
	v_cmpx_gt_u32_e32 8, v2
; %bb.1478:                             ;   in Loop: Header=BB302_10 Depth=1
	v_ffbh_u32_e32 v0, v0
	v_min_u32_e32 v2, 32, v0
	v_subrev_nc_u32_e32 v0, 28, v2
	v_lshlrev_b64 v[0:1], v0, v[4:5]
	v_sub_nc_u32_e32 v1, 29, v2
	v_and_b32_e32 v0, 7, v0
; %bb.1479:                             ;   in Loop: Header=BB302_10 Depth=1
	s_or_b32 exec_lo, exec_lo, s19
	v_lshlrev_b32_e32 v2, 8, v4
	v_lshl_add_u32 v1, v1, 10, 0x2000
	v_lshlrev_b32_e32 v0, 23, v0
	v_and_or_b32 v1, 0x8000, v2, v1
	v_lshl_or_b32 v26, v1, 16, v0
.LBB302_1480:                           ;   in Loop: Header=BB302_10 Depth=1
	s_or_b32 exec_lo, exec_lo, s17
.LBB302_1481:                           ;   in Loop: Header=BB302_10 Depth=1
	s_or_b32 exec_lo, exec_lo, s12
.LBB302_1482:                           ;   in Loop: Header=BB302_10 Depth=1
	s_or_b32 exec_lo, exec_lo, s11
	flat_load_dwordx2 v[24:25], v[24:25] offset:1544
	s_waitcnt vmcnt(0) lgkmcnt(0)
	v_cmp_ne_u16_sdwa s5, v24, v5 src0_sel:BYTE_0 src1_sel:DWORD
	s_and_saveexec_b32 s11, s5
	s_cbranch_execz .LBB302_1490
; %bb.1483:                             ;   in Loop: Header=BB302_10 Depth=1
	v_cmp_ne_u16_sdwa s5, v24, v99 src0_sel:BYTE_0 src1_sel:DWORD
	v_mov_b32_e32 v66, 0x8000
	s_and_saveexec_b32 s12, s5
	s_cbranch_execz .LBB302_1489
; %bb.1484:                             ;   in Loop: Header=BB302_10 Depth=1
	v_and_b32_e32 v2, 0x7f, v24
	v_mov_b32_e32 v66, 0x7c01
	s_mov_b32 s17, exec_lo
	v_cmpx_ne_u32_e32 0x7f, v2
	s_cbranch_execz .LBB302_1488
; %bb.1485:                             ;   in Loop: Header=BB302_10 Depth=1
	v_and_b32_e32 v0, 7, v24
	v_lshrrev_b32_e32 v1, 3, v2
	s_mov_b32 s19, exec_lo
	v_cmpx_gt_u32_e32 8, v2
; %bb.1486:                             ;   in Loop: Header=BB302_10 Depth=1
	v_ffbh_u32_e32 v0, v0
	v_min_u32_e32 v2, 32, v0
	v_subrev_nc_u32_e32 v0, 28, v2
	v_lshlrev_b64 v[0:1], v0, v[24:25]
	v_sub_nc_u32_e32 v1, 29, v2
	v_and_b32_e32 v0, 7, v0
; %bb.1487:                             ;   in Loop: Header=BB302_10 Depth=1
	s_or_b32 exec_lo, exec_lo, s19
	v_lshlrev_b32_e32 v2, 8, v24
	v_lshl_add_u32 v1, v1, 10, 0x2000
	v_lshlrev_b32_e32 v0, 7, v0
	v_and_b32_e32 v2, 0x8000, v2
	v_and_b32_e32 v1, 0xfc00, v1
	v_or3_b32 v66, v2, v1, v0
.LBB302_1488:                           ;   in Loop: Header=BB302_10 Depth=1
	s_or_b32 exec_lo, exec_lo, s17
.LBB302_1489:                           ;   in Loop: Header=BB302_10 Depth=1
	s_or_b32 exec_lo, exec_lo, s12
.LBB302_1490:                           ;   in Loop: Header=BB302_10 Depth=1
	s_or_b32 exec_lo, exec_lo, s11
	v_lshrrev_b16 v4, 8, v24
	v_mov_b32_e32 v41, 0
	v_mov_b32_e32 v27, 0
	s_mov_b32 s11, exec_lo
	v_cmpx_ne_u16_e32 0, v4
	s_cbranch_execz .LBB302_1498
; %bb.1491:                             ;   in Loop: Header=BB302_10 Depth=1
	v_bfrev_b32_e32 v27, 1
	s_mov_b32 s12, exec_lo
	v_cmpx_ne_u16_e32 0x80, v4
	s_cbranch_execz .LBB302_1497
; %bb.1492:                             ;   in Loop: Header=BB302_10 Depth=1
	v_mov_b32_e32 v0, 0x7f
	v_mov_b32_e32 v27, 0x7c010000
	s_mov_b32 s17, exec_lo
	v_and_b32_sdwa v2, v4, v0 dst_sel:DWORD dst_unused:UNUSED_PAD src0_sel:WORD_0 src1_sel:DWORD
	v_cmpx_ne_u32_e32 0x7f, v2
	s_cbranch_execz .LBB302_1496
; %bb.1493:                             ;   in Loop: Header=BB302_10 Depth=1
	v_mov_b32_e32 v0, 7
	v_lshrrev_b32_e32 v1, 3, v2
	s_mov_b32 s19, exec_lo
	v_and_b32_sdwa v0, v4, v0 dst_sel:DWORD dst_unused:UNUSED_PAD src0_sel:WORD_0 src1_sel:DWORD
	v_cmpx_gt_u32_e32 8, v2
; %bb.1494:                             ;   in Loop: Header=BB302_10 Depth=1
	v_ffbh_u32_e32 v0, v0
	v_min_u32_e32 v2, 32, v0
	v_subrev_nc_u32_e32 v0, 28, v2
	v_lshlrev_b64 v[0:1], v0, v[4:5]
	v_sub_nc_u32_e32 v1, 29, v2
	v_and_b32_e32 v0, 7, v0
; %bb.1495:                             ;   in Loop: Header=BB302_10 Depth=1
	s_or_b32 exec_lo, exec_lo, s19
	v_mov_b32_e32 v2, 8
	v_lshl_add_u32 v1, v1, 10, 0x2000
	v_lshlrev_b32_e32 v0, 23, v0
	v_lshlrev_b32_sdwa v2, v2, v4 dst_sel:DWORD dst_unused:UNUSED_PAD src0_sel:DWORD src1_sel:WORD_0
	v_and_or_b32 v1, 0x8000, v2, v1
	v_lshl_or_b32 v27, v1, 16, v0
.LBB302_1496:                           ;   in Loop: Header=BB302_10 Depth=1
	s_or_b32 exec_lo, exec_lo, s17
.LBB302_1497:                           ;   in Loop: Header=BB302_10 Depth=1
	s_or_b32 exec_lo, exec_lo, s12
.LBB302_1498:                           ;   in Loop: Header=BB302_10 Depth=1
	s_or_b32 exec_lo, exec_lo, s11
	v_lshrrev_b32_e32 v4, 16, v24
	v_cmp_ne_u16_sdwa s5, v4, v5 src0_sel:BYTE_0 src1_sel:DWORD
	s_and_saveexec_b32 s11, s5
	s_cbranch_execz .LBB302_1506
; %bb.1499:                             ;   in Loop: Header=BB302_10 Depth=1
	v_cmp_ne_u16_sdwa s5, v4, v99 src0_sel:BYTE_0 src1_sel:DWORD
	v_mov_b32_e32 v41, 0x8000
	s_and_saveexec_b32 s12, s5
	s_cbranch_execz .LBB302_1505
; %bb.1500:                             ;   in Loop: Header=BB302_10 Depth=1
	v_bfe_u32 v2, v24, 16, 7
	v_mov_b32_e32 v41, 0x7c01
	s_mov_b32 s17, exec_lo
	v_cmpx_ne_u32_e32 0x7f, v2
	s_cbranch_execz .LBB302_1504
; %bb.1501:                             ;   in Loop: Header=BB302_10 Depth=1
	v_and_b32_e32 v0, 7, v4
	v_lshrrev_b32_e32 v1, 3, v2
	s_mov_b32 s19, exec_lo
	v_cmpx_gt_u32_e32 8, v2
; %bb.1502:                             ;   in Loop: Header=BB302_10 Depth=1
	v_ffbh_u32_e32 v0, v0
	v_min_u32_e32 v2, 32, v0
	v_subrev_nc_u32_e32 v0, 28, v2
	v_lshlrev_b64 v[0:1], v0, v[4:5]
	v_sub_nc_u32_e32 v1, 29, v2
	v_and_b32_e32 v0, 7, v0
; %bb.1503:                             ;   in Loop: Header=BB302_10 Depth=1
	s_or_b32 exec_lo, exec_lo, s19
	v_lshlrev_b32_e32 v2, 8, v4
	v_lshl_add_u32 v1, v1, 10, 0x2000
	v_lshlrev_b32_e32 v0, 7, v0
	v_and_b32_e32 v2, 0x8000, v2
	v_and_b32_e32 v1, 0xfc00, v1
	v_or3_b32 v41, v2, v1, v0
.LBB302_1504:                           ;   in Loop: Header=BB302_10 Depth=1
	s_or_b32 exec_lo, exec_lo, s17
.LBB302_1505:                           ;   in Loop: Header=BB302_10 Depth=1
	s_or_b32 exec_lo, exec_lo, s12
.LBB302_1506:                           ;   in Loop: Header=BB302_10 Depth=1
	s_or_b32 exec_lo, exec_lo, s11
	v_mov_b32_e32 v59, 0
	v_mov_b32_e32 v60, 0
	s_mov_b32 s11, exec_lo
	v_cmpx_lt_u32_e32 0xffffff, v24
	s_cbranch_execz .LBB302_1514
; %bb.1507:                             ;   in Loop: Header=BB302_10 Depth=1
	v_lshrrev_b32_e32 v4, 24, v24
	v_bfrev_b32_e32 v60, 1
	s_mov_b32 s12, exec_lo
	v_cmpx_ne_u32_e32 0x80, v4
	s_cbranch_execz .LBB302_1513
; %bb.1508:                             ;   in Loop: Header=BB302_10 Depth=1
	v_and_b32_e32 v2, 0x7f, v4
	v_mov_b32_e32 v60, 0x7c010000
	s_mov_b32 s17, exec_lo
	v_cmpx_ne_u32_e32 0x7f, v2
	s_cbranch_execz .LBB302_1512
; %bb.1509:                             ;   in Loop: Header=BB302_10 Depth=1
	v_and_b32_e32 v0, 7, v4
	v_lshrrev_b32_e32 v1, 3, v2
	s_mov_b32 s19, exec_lo
	v_cmpx_gt_u32_e32 8, v2
; %bb.1510:                             ;   in Loop: Header=BB302_10 Depth=1
	v_ffbh_u32_e32 v0, v0
	v_min_u32_e32 v2, 32, v0
	v_subrev_nc_u32_e32 v0, 28, v2
	v_lshlrev_b64 v[0:1], v0, v[4:5]
	v_sub_nc_u32_e32 v1, 29, v2
	v_and_b32_e32 v0, 7, v0
; %bb.1511:                             ;   in Loop: Header=BB302_10 Depth=1
	s_or_b32 exec_lo, exec_lo, s19
	v_lshlrev_b32_e32 v2, 8, v4
	v_lshl_add_u32 v1, v1, 10, 0x2000
	v_lshlrev_b32_e32 v0, 23, v0
	v_and_or_b32 v1, 0x8000, v2, v1
	v_lshl_or_b32 v60, v1, 16, v0
.LBB302_1512:                           ;   in Loop: Header=BB302_10 Depth=1
	s_or_b32 exec_lo, exec_lo, s17
.LBB302_1513:                           ;   in Loop: Header=BB302_10 Depth=1
	s_or_b32 exec_lo, exec_lo, s12
.LBB302_1514:                           ;   in Loop: Header=BB302_10 Depth=1
	s_or_b32 exec_lo, exec_lo, s11
	v_mov_b32_e32 v4, v25
	v_cmp_ne_u16_sdwa s5, v25, v5 src0_sel:BYTE_0 src1_sel:DWORD
	s_and_saveexec_b32 s11, s5
	s_cbranch_execz .LBB302_1522
; %bb.1515:                             ;   in Loop: Header=BB302_10 Depth=1
	v_cmp_ne_u16_sdwa s5, v25, v99 src0_sel:BYTE_0 src1_sel:DWORD
	v_mov_b32_e32 v59, 0x8000
	s_and_saveexec_b32 s12, s5
	s_cbranch_execz .LBB302_1521
; %bb.1516:                             ;   in Loop: Header=BB302_10 Depth=1
	v_and_b32_e32 v2, 0x7f, v25
	v_mov_b32_e32 v59, 0x7c01
	s_mov_b32 s17, exec_lo
	v_cmpx_ne_u32_e32 0x7f, v2
	s_cbranch_execz .LBB302_1520
; %bb.1517:                             ;   in Loop: Header=BB302_10 Depth=1
	v_and_b32_e32 v0, 7, v25
	v_lshrrev_b32_e32 v1, 3, v2
	s_mov_b32 s19, exec_lo
	v_cmpx_gt_u32_e32 8, v2
; %bb.1518:                             ;   in Loop: Header=BB302_10 Depth=1
	v_ffbh_u32_e32 v0, v0
	v_min_u32_e32 v2, 32, v0
	v_subrev_nc_u32_e32 v0, 28, v2
	v_lshlrev_b64 v[0:1], v0, v[4:5]
	v_sub_nc_u32_e32 v1, 29, v2
	v_and_b32_e32 v0, 7, v0
; %bb.1519:                             ;   in Loop: Header=BB302_10 Depth=1
	s_or_b32 exec_lo, exec_lo, s19
	v_lshlrev_b32_e32 v2, 8, v25
	v_lshl_add_u32 v1, v1, 10, 0x2000
	v_lshlrev_b32_e32 v0, 7, v0
	v_and_b32_e32 v2, 0x8000, v2
	v_and_b32_e32 v1, 0xfc00, v1
	v_or3_b32 v59, v2, v1, v0
.LBB302_1520:                           ;   in Loop: Header=BB302_10 Depth=1
	s_or_b32 exec_lo, exec_lo, s17
.LBB302_1521:                           ;   in Loop: Header=BB302_10 Depth=1
	s_or_b32 exec_lo, exec_lo, s12
.LBB302_1522:                           ;   in Loop: Header=BB302_10 Depth=1
	s_or_b32 exec_lo, exec_lo, s11
	v_lshrrev_b16 v4, 8, v4
	v_mov_b32_e32 v73, 0
	v_mov_b32_e32 v75, 0
	s_mov_b32 s11, exec_lo
	v_cmpx_ne_u16_e32 0, v4
	s_cbranch_execz .LBB302_1530
; %bb.1523:                             ;   in Loop: Header=BB302_10 Depth=1
	v_bfrev_b32_e32 v75, 1
	s_mov_b32 s12, exec_lo
	v_cmpx_ne_u16_e32 0x80, v4
	s_cbranch_execz .LBB302_1529
; %bb.1524:                             ;   in Loop: Header=BB302_10 Depth=1
	v_mov_b32_e32 v0, 0x7f
	v_mov_b32_e32 v75, 0x7c010000
	s_mov_b32 s17, exec_lo
	v_and_b32_sdwa v2, v4, v0 dst_sel:DWORD dst_unused:UNUSED_PAD src0_sel:WORD_0 src1_sel:DWORD
	v_cmpx_ne_u32_e32 0x7f, v2
	s_cbranch_execz .LBB302_1528
; %bb.1525:                             ;   in Loop: Header=BB302_10 Depth=1
	v_mov_b32_e32 v0, 7
	v_lshrrev_b32_e32 v1, 3, v2
	s_mov_b32 s19, exec_lo
	v_and_b32_sdwa v0, v4, v0 dst_sel:DWORD dst_unused:UNUSED_PAD src0_sel:WORD_0 src1_sel:DWORD
	v_cmpx_gt_u32_e32 8, v2
; %bb.1526:                             ;   in Loop: Header=BB302_10 Depth=1
	v_ffbh_u32_e32 v0, v0
	v_min_u32_e32 v2, 32, v0
	v_subrev_nc_u32_e32 v0, 28, v2
	v_lshlrev_b64 v[0:1], v0, v[4:5]
	v_sub_nc_u32_e32 v1, 29, v2
	v_and_b32_e32 v0, 7, v0
; %bb.1527:                             ;   in Loop: Header=BB302_10 Depth=1
	s_or_b32 exec_lo, exec_lo, s19
	v_mov_b32_e32 v2, 8
	v_lshl_add_u32 v1, v1, 10, 0x2000
	v_lshlrev_b32_e32 v0, 23, v0
	v_lshlrev_b32_sdwa v2, v2, v4 dst_sel:DWORD dst_unused:UNUSED_PAD src0_sel:DWORD src1_sel:WORD_0
	v_and_or_b32 v1, 0x8000, v2, v1
	v_lshl_or_b32 v75, v1, 16, v0
.LBB302_1528:                           ;   in Loop: Header=BB302_10 Depth=1
	s_or_b32 exec_lo, exec_lo, s17
.LBB302_1529:                           ;   in Loop: Header=BB302_10 Depth=1
	s_or_b32 exec_lo, exec_lo, s12
.LBB302_1530:                           ;   in Loop: Header=BB302_10 Depth=1
	s_or_b32 exec_lo, exec_lo, s11
	v_lshrrev_b32_e32 v4, 16, v25
	v_cmp_ne_u16_sdwa s5, v4, v5 src0_sel:BYTE_0 src1_sel:DWORD
	s_and_saveexec_b32 s11, s5
	s_cbranch_execz .LBB302_1538
; %bb.1531:                             ;   in Loop: Header=BB302_10 Depth=1
	v_cmp_ne_u16_sdwa s5, v4, v99 src0_sel:BYTE_0 src1_sel:DWORD
	v_mov_b32_e32 v73, 0x8000
	s_and_saveexec_b32 s12, s5
	s_cbranch_execz .LBB302_1537
; %bb.1532:                             ;   in Loop: Header=BB302_10 Depth=1
	v_bfe_u32 v2, v25, 16, 7
	v_mov_b32_e32 v73, 0x7c01
	s_mov_b32 s17, exec_lo
	v_cmpx_ne_u32_e32 0x7f, v2
	s_cbranch_execz .LBB302_1536
; %bb.1533:                             ;   in Loop: Header=BB302_10 Depth=1
	v_and_b32_e32 v0, 7, v4
	v_lshrrev_b32_e32 v1, 3, v2
	s_mov_b32 s19, exec_lo
	v_cmpx_gt_u32_e32 8, v2
; %bb.1534:                             ;   in Loop: Header=BB302_10 Depth=1
	v_ffbh_u32_e32 v0, v0
	v_min_u32_e32 v2, 32, v0
	v_subrev_nc_u32_e32 v0, 28, v2
	v_lshlrev_b64 v[0:1], v0, v[4:5]
	v_sub_nc_u32_e32 v1, 29, v2
	v_and_b32_e32 v0, 7, v0
; %bb.1535:                             ;   in Loop: Header=BB302_10 Depth=1
	s_or_b32 exec_lo, exec_lo, s19
	v_lshlrev_b32_e32 v2, 8, v4
	v_lshl_add_u32 v1, v1, 10, 0x2000
	v_lshlrev_b32_e32 v0, 7, v0
	v_and_b32_e32 v2, 0x8000, v2
	v_and_b32_e32 v1, 0xfc00, v1
	v_or3_b32 v73, v2, v1, v0
.LBB302_1536:                           ;   in Loop: Header=BB302_10 Depth=1
	s_or_b32 exec_lo, exec_lo, s17
.LBB302_1537:                           ;   in Loop: Header=BB302_10 Depth=1
	s_or_b32 exec_lo, exec_lo, s12
.LBB302_1538:                           ;   in Loop: Header=BB302_10 Depth=1
	s_or_b32 exec_lo, exec_lo, s11
	v_mov_b32_e32 v51, 0
	v_mov_b32_e32 v62, 0
	s_mov_b32 s11, exec_lo
	v_cmpx_lt_u64_e64 s[6:7], v[24:25]
	s_cbranch_execz .LBB302_1546
; %bb.1539:                             ;   in Loop: Header=BB302_10 Depth=1
	v_lshrrev_b32_e32 v4, 24, v25
	v_bfrev_b32_e32 v62, 1
	s_mov_b32 s12, exec_lo
	v_cmpx_ne_u32_e32 0x80, v4
	s_cbranch_execz .LBB302_1545
; %bb.1540:                             ;   in Loop: Header=BB302_10 Depth=1
	v_and_b32_e32 v2, 0x7f, v4
	v_mov_b32_e32 v62, 0x7c010000
	s_mov_b32 s17, exec_lo
	v_cmpx_ne_u32_e32 0x7f, v2
	s_cbranch_execz .LBB302_1544
; %bb.1541:                             ;   in Loop: Header=BB302_10 Depth=1
	v_and_b32_e32 v0, 7, v4
	v_lshrrev_b32_e32 v1, 3, v2
	s_mov_b32 s19, exec_lo
	v_cmpx_gt_u32_e32 8, v2
; %bb.1542:                             ;   in Loop: Header=BB302_10 Depth=1
	v_ffbh_u32_e32 v0, v0
	v_min_u32_e32 v2, 32, v0
	v_subrev_nc_u32_e32 v0, 28, v2
	v_lshlrev_b64 v[0:1], v0, v[4:5]
	v_sub_nc_u32_e32 v1, 29, v2
	v_and_b32_e32 v0, 7, v0
; %bb.1543:                             ;   in Loop: Header=BB302_10 Depth=1
	s_or_b32 exec_lo, exec_lo, s19
	v_lshlrev_b32_e32 v2, 8, v4
	v_lshl_add_u32 v1, v1, 10, 0x2000
	v_lshlrev_b32_e32 v0, 23, v0
	v_and_or_b32 v1, 0x8000, v2, v1
	v_lshl_or_b32 v62, v1, 16, v0
.LBB302_1544:                           ;   in Loop: Header=BB302_10 Depth=1
	s_or_b32 exec_lo, exec_lo, s17
.LBB302_1545:                           ;   in Loop: Header=BB302_10 Depth=1
	s_or_b32 exec_lo, exec_lo, s12
.LBB302_1546:                           ;   in Loop: Header=BB302_10 Depth=1
	s_or_b32 exec_lo, exec_lo, s11
	v_add_co_u32 v16, s5, 0x1800, v16
	v_add_co_ci_u32_e64 v17, null, 0, v17, s5
	flat_load_dwordx2 v[24:25], v[16:17]
	s_waitcnt vmcnt(0) lgkmcnt(0)
	v_cmp_ne_u16_sdwa s5, v24, v5 src0_sel:BYTE_0 src1_sel:DWORD
	s_and_saveexec_b32 s11, s5
	s_cbranch_execz .LBB302_1554
; %bb.1547:                             ;   in Loop: Header=BB302_10 Depth=1
	v_cmp_ne_u16_sdwa s5, v24, v99 src0_sel:BYTE_0 src1_sel:DWORD
	v_mov_b32_e32 v51, 0x8000
	s_and_saveexec_b32 s12, s5
	s_cbranch_execz .LBB302_1553
; %bb.1548:                             ;   in Loop: Header=BB302_10 Depth=1
	v_and_b32_e32 v2, 0x7f, v24
	v_mov_b32_e32 v51, 0x7c01
	s_mov_b32 s17, exec_lo
	v_cmpx_ne_u32_e32 0x7f, v2
	s_cbranch_execz .LBB302_1552
; %bb.1549:                             ;   in Loop: Header=BB302_10 Depth=1
	v_and_b32_e32 v0, 7, v24
	v_lshrrev_b32_e32 v1, 3, v2
	s_mov_b32 s19, exec_lo
	v_cmpx_gt_u32_e32 8, v2
; %bb.1550:                             ;   in Loop: Header=BB302_10 Depth=1
	v_ffbh_u32_e32 v0, v0
	v_min_u32_e32 v2, 32, v0
	v_subrev_nc_u32_e32 v0, 28, v2
	v_lshlrev_b64 v[0:1], v0, v[24:25]
	v_sub_nc_u32_e32 v1, 29, v2
	v_and_b32_e32 v0, 7, v0
; %bb.1551:                             ;   in Loop: Header=BB302_10 Depth=1
	s_or_b32 exec_lo, exec_lo, s19
	v_lshlrev_b32_e32 v2, 8, v24
	v_lshl_add_u32 v1, v1, 10, 0x2000
	v_lshlrev_b32_e32 v0, 7, v0
	v_and_b32_e32 v2, 0x8000, v2
	v_and_b32_e32 v1, 0xfc00, v1
	v_or3_b32 v51, v2, v1, v0
.LBB302_1552:                           ;   in Loop: Header=BB302_10 Depth=1
	s_or_b32 exec_lo, exec_lo, s17
.LBB302_1553:                           ;   in Loop: Header=BB302_10 Depth=1
	s_or_b32 exec_lo, exec_lo, s12
.LBB302_1554:                           ;   in Loop: Header=BB302_10 Depth=1
	s_or_b32 exec_lo, exec_lo, s11
	v_lshrrev_b16 v4, 8, v24
	v_mov_b32_e32 v48, 0
	v_mov_b32_e32 v37, 0
	s_mov_b32 s11, exec_lo
	v_cmpx_ne_u16_e32 0, v4
	s_cbranch_execz .LBB302_1562
; %bb.1555:                             ;   in Loop: Header=BB302_10 Depth=1
	v_bfrev_b32_e32 v37, 1
	s_mov_b32 s12, exec_lo
	v_cmpx_ne_u16_e32 0x80, v4
	s_cbranch_execz .LBB302_1561
; %bb.1556:                             ;   in Loop: Header=BB302_10 Depth=1
	v_mov_b32_e32 v0, 0x7f
	v_mov_b32_e32 v37, 0x7c010000
	s_mov_b32 s17, exec_lo
	v_and_b32_sdwa v2, v4, v0 dst_sel:DWORD dst_unused:UNUSED_PAD src0_sel:WORD_0 src1_sel:DWORD
	v_cmpx_ne_u32_e32 0x7f, v2
	s_cbranch_execz .LBB302_1560
; %bb.1557:                             ;   in Loop: Header=BB302_10 Depth=1
	v_mov_b32_e32 v0, 7
	v_lshrrev_b32_e32 v1, 3, v2
	s_mov_b32 s19, exec_lo
	v_and_b32_sdwa v0, v4, v0 dst_sel:DWORD dst_unused:UNUSED_PAD src0_sel:WORD_0 src1_sel:DWORD
	v_cmpx_gt_u32_e32 8, v2
; %bb.1558:                             ;   in Loop: Header=BB302_10 Depth=1
	v_ffbh_u32_e32 v0, v0
	v_min_u32_e32 v2, 32, v0
	v_subrev_nc_u32_e32 v0, 28, v2
	v_lshlrev_b64 v[0:1], v0, v[4:5]
	v_sub_nc_u32_e32 v1, 29, v2
	v_and_b32_e32 v0, 7, v0
; %bb.1559:                             ;   in Loop: Header=BB302_10 Depth=1
	s_or_b32 exec_lo, exec_lo, s19
	v_mov_b32_e32 v2, 8
	v_lshl_add_u32 v1, v1, 10, 0x2000
	v_lshlrev_b32_e32 v0, 23, v0
	v_lshlrev_b32_sdwa v2, v2, v4 dst_sel:DWORD dst_unused:UNUSED_PAD src0_sel:DWORD src1_sel:WORD_0
	v_and_or_b32 v1, 0x8000, v2, v1
	v_lshl_or_b32 v37, v1, 16, v0
.LBB302_1560:                           ;   in Loop: Header=BB302_10 Depth=1
	s_or_b32 exec_lo, exec_lo, s17
.LBB302_1561:                           ;   in Loop: Header=BB302_10 Depth=1
	s_or_b32 exec_lo, exec_lo, s12
.LBB302_1562:                           ;   in Loop: Header=BB302_10 Depth=1
	s_or_b32 exec_lo, exec_lo, s11
	v_lshrrev_b32_e32 v4, 16, v24
	v_cmp_ne_u16_sdwa s5, v4, v5 src0_sel:BYTE_0 src1_sel:DWORD
	s_and_saveexec_b32 s11, s5
	s_cbranch_execz .LBB302_1570
; %bb.1563:                             ;   in Loop: Header=BB302_10 Depth=1
	v_cmp_ne_u16_sdwa s5, v4, v99 src0_sel:BYTE_0 src1_sel:DWORD
	v_mov_b32_e32 v48, 0x8000
	s_and_saveexec_b32 s12, s5
	s_cbranch_execz .LBB302_1569
; %bb.1564:                             ;   in Loop: Header=BB302_10 Depth=1
	v_bfe_u32 v2, v24, 16, 7
	v_mov_b32_e32 v48, 0x7c01
	s_mov_b32 s17, exec_lo
	v_cmpx_ne_u32_e32 0x7f, v2
	s_cbranch_execz .LBB302_1568
; %bb.1565:                             ;   in Loop: Header=BB302_10 Depth=1
	v_and_b32_e32 v0, 7, v4
	v_lshrrev_b32_e32 v1, 3, v2
	s_mov_b32 s19, exec_lo
	v_cmpx_gt_u32_e32 8, v2
; %bb.1566:                             ;   in Loop: Header=BB302_10 Depth=1
	v_ffbh_u32_e32 v0, v0
	v_min_u32_e32 v2, 32, v0
	v_subrev_nc_u32_e32 v0, 28, v2
	v_lshlrev_b64 v[0:1], v0, v[4:5]
	v_sub_nc_u32_e32 v1, 29, v2
	v_and_b32_e32 v0, 7, v0
; %bb.1567:                             ;   in Loop: Header=BB302_10 Depth=1
	s_or_b32 exec_lo, exec_lo, s19
	v_lshlrev_b32_e32 v2, 8, v4
	v_lshl_add_u32 v1, v1, 10, 0x2000
	v_lshlrev_b32_e32 v0, 7, v0
	v_and_b32_e32 v2, 0x8000, v2
	v_and_b32_e32 v1, 0xfc00, v1
	v_or3_b32 v48, v2, v1, v0
.LBB302_1568:                           ;   in Loop: Header=BB302_10 Depth=1
	s_or_b32 exec_lo, exec_lo, s17
.LBB302_1569:                           ;   in Loop: Header=BB302_10 Depth=1
	s_or_b32 exec_lo, exec_lo, s12
.LBB302_1570:                           ;   in Loop: Header=BB302_10 Depth=1
	s_or_b32 exec_lo, exec_lo, s11
	v_mov_b32_e32 v76, 0
	v_mov_b32_e32 v78, 0
	s_mov_b32 s11, exec_lo
	v_cmpx_lt_u32_e32 0xffffff, v24
	s_cbranch_execz .LBB302_1578
; %bb.1571:                             ;   in Loop: Header=BB302_10 Depth=1
	v_lshrrev_b32_e32 v4, 24, v24
	v_bfrev_b32_e32 v78, 1
	s_mov_b32 s12, exec_lo
	v_cmpx_ne_u32_e32 0x80, v4
	s_cbranch_execz .LBB302_1577
; %bb.1572:                             ;   in Loop: Header=BB302_10 Depth=1
	v_and_b32_e32 v2, 0x7f, v4
	v_mov_b32_e32 v78, 0x7c010000
	s_mov_b32 s17, exec_lo
	v_cmpx_ne_u32_e32 0x7f, v2
	s_cbranch_execz .LBB302_1576
; %bb.1573:                             ;   in Loop: Header=BB302_10 Depth=1
	v_and_b32_e32 v0, 7, v4
	v_lshrrev_b32_e32 v1, 3, v2
	s_mov_b32 s19, exec_lo
	v_cmpx_gt_u32_e32 8, v2
; %bb.1574:                             ;   in Loop: Header=BB302_10 Depth=1
	v_ffbh_u32_e32 v0, v0
	v_min_u32_e32 v2, 32, v0
	v_subrev_nc_u32_e32 v0, 28, v2
	v_lshlrev_b64 v[0:1], v0, v[4:5]
	v_sub_nc_u32_e32 v1, 29, v2
	v_and_b32_e32 v0, 7, v0
; %bb.1575:                             ;   in Loop: Header=BB302_10 Depth=1
	s_or_b32 exec_lo, exec_lo, s19
	v_lshlrev_b32_e32 v2, 8, v4
	v_lshl_add_u32 v1, v1, 10, 0x2000
	v_lshlrev_b32_e32 v0, 23, v0
	v_and_or_b32 v1, 0x8000, v2, v1
	v_lshl_or_b32 v78, v1, 16, v0
.LBB302_1576:                           ;   in Loop: Header=BB302_10 Depth=1
	s_or_b32 exec_lo, exec_lo, s17
.LBB302_1577:                           ;   in Loop: Header=BB302_10 Depth=1
	s_or_b32 exec_lo, exec_lo, s12
.LBB302_1578:                           ;   in Loop: Header=BB302_10 Depth=1
	s_or_b32 exec_lo, exec_lo, s11
	v_mov_b32_e32 v4, v25
	v_cmp_ne_u16_sdwa s5, v25, v5 src0_sel:BYTE_0 src1_sel:DWORD
	s_and_saveexec_b32 s11, s5
	s_cbranch_execz .LBB302_1586
; %bb.1579:                             ;   in Loop: Header=BB302_10 Depth=1
	v_cmp_ne_u16_sdwa s5, v25, v99 src0_sel:BYTE_0 src1_sel:DWORD
	v_mov_b32_e32 v76, 0x8000
	s_and_saveexec_b32 s12, s5
	s_cbranch_execz .LBB302_1585
; %bb.1580:                             ;   in Loop: Header=BB302_10 Depth=1
	v_and_b32_e32 v2, 0x7f, v25
	v_mov_b32_e32 v76, 0x7c01
	s_mov_b32 s17, exec_lo
	v_cmpx_ne_u32_e32 0x7f, v2
	s_cbranch_execz .LBB302_1584
; %bb.1581:                             ;   in Loop: Header=BB302_10 Depth=1
	v_and_b32_e32 v0, 7, v25
	v_lshrrev_b32_e32 v1, 3, v2
	s_mov_b32 s19, exec_lo
	v_cmpx_gt_u32_e32 8, v2
; %bb.1582:                             ;   in Loop: Header=BB302_10 Depth=1
	v_ffbh_u32_e32 v0, v0
	v_min_u32_e32 v2, 32, v0
	v_subrev_nc_u32_e32 v0, 28, v2
	v_lshlrev_b64 v[0:1], v0, v[4:5]
	v_sub_nc_u32_e32 v1, 29, v2
	v_and_b32_e32 v0, 7, v0
; %bb.1583:                             ;   in Loop: Header=BB302_10 Depth=1
	s_or_b32 exec_lo, exec_lo, s19
	v_lshlrev_b32_e32 v2, 8, v25
	v_lshl_add_u32 v1, v1, 10, 0x2000
	v_lshlrev_b32_e32 v0, 7, v0
	v_and_b32_e32 v2, 0x8000, v2
	v_and_b32_e32 v1, 0xfc00, v1
	v_or3_b32 v76, v2, v1, v0
.LBB302_1584:                           ;   in Loop: Header=BB302_10 Depth=1
	s_or_b32 exec_lo, exec_lo, s17
.LBB302_1585:                           ;   in Loop: Header=BB302_10 Depth=1
	s_or_b32 exec_lo, exec_lo, s12
.LBB302_1586:                           ;   in Loop: Header=BB302_10 Depth=1
	s_or_b32 exec_lo, exec_lo, s11
	v_lshrrev_b16 v4, 8, v4
	v_mov_b32_e32 v87, 0
	v_mov_b32_e32 v14, 0
	s_mov_b32 s11, exec_lo
	v_cmpx_ne_u16_e32 0, v4
	s_cbranch_execz .LBB302_1594
; %bb.1587:                             ;   in Loop: Header=BB302_10 Depth=1
	v_bfrev_b32_e32 v14, 1
	s_mov_b32 s12, exec_lo
	v_cmpx_ne_u16_e32 0x80, v4
	s_cbranch_execz .LBB302_1593
; %bb.1588:                             ;   in Loop: Header=BB302_10 Depth=1
	v_mov_b32_e32 v0, 0x7f
	v_mov_b32_e32 v14, 0x7c010000
	s_mov_b32 s17, exec_lo
	v_and_b32_sdwa v2, v4, v0 dst_sel:DWORD dst_unused:UNUSED_PAD src0_sel:WORD_0 src1_sel:DWORD
	v_cmpx_ne_u32_e32 0x7f, v2
	s_cbranch_execz .LBB302_1592
; %bb.1589:                             ;   in Loop: Header=BB302_10 Depth=1
	v_mov_b32_e32 v0, 7
	v_lshrrev_b32_e32 v1, 3, v2
	s_mov_b32 s19, exec_lo
	v_and_b32_sdwa v0, v4, v0 dst_sel:DWORD dst_unused:UNUSED_PAD src0_sel:WORD_0 src1_sel:DWORD
	v_cmpx_gt_u32_e32 8, v2
; %bb.1590:                             ;   in Loop: Header=BB302_10 Depth=1
	v_ffbh_u32_e32 v0, v0
	v_min_u32_e32 v2, 32, v0
	v_subrev_nc_u32_e32 v0, 28, v2
	v_lshlrev_b64 v[0:1], v0, v[4:5]
	v_sub_nc_u32_e32 v1, 29, v2
	v_and_b32_e32 v0, 7, v0
; %bb.1591:                             ;   in Loop: Header=BB302_10 Depth=1
	s_or_b32 exec_lo, exec_lo, s19
	v_mov_b32_e32 v2, 8
	v_lshl_add_u32 v1, v1, 10, 0x2000
	v_lshlrev_b32_e32 v0, 23, v0
	v_lshlrev_b32_sdwa v2, v2, v4 dst_sel:DWORD dst_unused:UNUSED_PAD src0_sel:DWORD src1_sel:WORD_0
	v_and_or_b32 v1, 0x8000, v2, v1
	v_lshl_or_b32 v14, v1, 16, v0
.LBB302_1592:                           ;   in Loop: Header=BB302_10 Depth=1
	s_or_b32 exec_lo, exec_lo, s17
.LBB302_1593:                           ;   in Loop: Header=BB302_10 Depth=1
	s_or_b32 exec_lo, exec_lo, s12
.LBB302_1594:                           ;   in Loop: Header=BB302_10 Depth=1
	s_or_b32 exec_lo, exec_lo, s11
	v_lshrrev_b32_e32 v4, 16, v25
	v_cmp_ne_u16_sdwa s5, v4, v5 src0_sel:BYTE_0 src1_sel:DWORD
	s_and_saveexec_b32 s11, s5
	s_cbranch_execz .LBB302_1602
; %bb.1595:                             ;   in Loop: Header=BB302_10 Depth=1
	v_cmp_ne_u16_sdwa s5, v4, v99 src0_sel:BYTE_0 src1_sel:DWORD
	v_mov_b32_e32 v87, 0x8000
	s_and_saveexec_b32 s12, s5
	s_cbranch_execz .LBB302_1601
; %bb.1596:                             ;   in Loop: Header=BB302_10 Depth=1
	v_bfe_u32 v2, v25, 16, 7
	v_mov_b32_e32 v87, 0x7c01
	s_mov_b32 s17, exec_lo
	v_cmpx_ne_u32_e32 0x7f, v2
	s_cbranch_execz .LBB302_1600
; %bb.1597:                             ;   in Loop: Header=BB302_10 Depth=1
	v_and_b32_e32 v0, 7, v4
	v_lshrrev_b32_e32 v1, 3, v2
	s_mov_b32 s19, exec_lo
	v_cmpx_gt_u32_e32 8, v2
; %bb.1598:                             ;   in Loop: Header=BB302_10 Depth=1
	v_ffbh_u32_e32 v0, v0
	v_min_u32_e32 v2, 32, v0
	v_subrev_nc_u32_e32 v0, 28, v2
	v_lshlrev_b64 v[0:1], v0, v[4:5]
	v_sub_nc_u32_e32 v1, 29, v2
	v_and_b32_e32 v0, 7, v0
; %bb.1599:                             ;   in Loop: Header=BB302_10 Depth=1
	s_or_b32 exec_lo, exec_lo, s19
	v_lshlrev_b32_e32 v2, 8, v4
	v_lshl_add_u32 v1, v1, 10, 0x2000
	v_lshlrev_b32_e32 v0, 7, v0
	v_and_b32_e32 v2, 0x8000, v2
	v_and_b32_e32 v1, 0xfc00, v1
	v_or3_b32 v87, v2, v1, v0
.LBB302_1600:                           ;   in Loop: Header=BB302_10 Depth=1
	s_or_b32 exec_lo, exec_lo, s17
.LBB302_1601:                           ;   in Loop: Header=BB302_10 Depth=1
	s_or_b32 exec_lo, exec_lo, s12
.LBB302_1602:                           ;   in Loop: Header=BB302_10 Depth=1
	s_or_b32 exec_lo, exec_lo, s11
	v_mov_b32_e32 v89, 0
	v_mov_b32_e32 v15, 0
	s_mov_b32 s11, exec_lo
	v_cmpx_lt_u64_e64 s[6:7], v[24:25]
	s_cbranch_execz .LBB302_1610
; %bb.1603:                             ;   in Loop: Header=BB302_10 Depth=1
	v_lshrrev_b32_e32 v4, 24, v25
	v_bfrev_b32_e32 v15, 1
	s_mov_b32 s12, exec_lo
	v_cmpx_ne_u32_e32 0x80, v4
	s_cbranch_execz .LBB302_1609
; %bb.1604:                             ;   in Loop: Header=BB302_10 Depth=1
	v_and_b32_e32 v2, 0x7f, v4
	v_mov_b32_e32 v15, 0x7c010000
	s_mov_b32 s17, exec_lo
	v_cmpx_ne_u32_e32 0x7f, v2
	s_cbranch_execz .LBB302_1608
; %bb.1605:                             ;   in Loop: Header=BB302_10 Depth=1
	v_and_b32_e32 v0, 7, v4
	v_lshrrev_b32_e32 v1, 3, v2
	s_mov_b32 s19, exec_lo
	v_cmpx_gt_u32_e32 8, v2
; %bb.1606:                             ;   in Loop: Header=BB302_10 Depth=1
	v_ffbh_u32_e32 v0, v0
	v_min_u32_e32 v2, 32, v0
	v_subrev_nc_u32_e32 v0, 28, v2
	v_lshlrev_b64 v[0:1], v0, v[4:5]
	v_sub_nc_u32_e32 v1, 29, v2
	v_and_b32_e32 v0, 7, v0
; %bb.1607:                             ;   in Loop: Header=BB302_10 Depth=1
	s_or_b32 exec_lo, exec_lo, s19
	v_lshlrev_b32_e32 v2, 8, v4
	v_lshl_add_u32 v1, v1, 10, 0x2000
	v_lshlrev_b32_e32 v0, 23, v0
	v_and_or_b32 v1, 0x8000, v2, v1
	v_lshl_or_b32 v15, v1, 16, v0
.LBB302_1608:                           ;   in Loop: Header=BB302_10 Depth=1
	s_or_b32 exec_lo, exec_lo, s17
.LBB302_1609:                           ;   in Loop: Header=BB302_10 Depth=1
	s_or_b32 exec_lo, exec_lo, s12
.LBB302_1610:                           ;   in Loop: Header=BB302_10 Depth=1
	s_or_b32 exec_lo, exec_lo, s11
	flat_load_dwordx2 v[24:25], v[16:17] offset:8
	s_waitcnt vmcnt(0) lgkmcnt(0)
	v_cmp_ne_u16_sdwa s5, v24, v5 src0_sel:BYTE_0 src1_sel:DWORD
	s_and_saveexec_b32 s11, s5
	s_cbranch_execz .LBB302_1618
; %bb.1611:                             ;   in Loop: Header=BB302_10 Depth=1
	v_cmp_ne_u16_sdwa s5, v24, v99 src0_sel:BYTE_0 src1_sel:DWORD
	v_mov_b32_e32 v89, 0x8000
	s_and_saveexec_b32 s12, s5
	s_cbranch_execz .LBB302_1617
; %bb.1612:                             ;   in Loop: Header=BB302_10 Depth=1
	v_and_b32_e32 v2, 0x7f, v24
	v_mov_b32_e32 v89, 0x7c01
	s_mov_b32 s17, exec_lo
	v_cmpx_ne_u32_e32 0x7f, v2
	s_cbranch_execz .LBB302_1616
; %bb.1613:                             ;   in Loop: Header=BB302_10 Depth=1
	v_and_b32_e32 v0, 7, v24
	v_lshrrev_b32_e32 v1, 3, v2
	s_mov_b32 s19, exec_lo
	v_cmpx_gt_u32_e32 8, v2
; %bb.1614:                             ;   in Loop: Header=BB302_10 Depth=1
	v_ffbh_u32_e32 v0, v0
	v_min_u32_e32 v2, 32, v0
	v_subrev_nc_u32_e32 v0, 28, v2
	v_lshlrev_b64 v[0:1], v0, v[24:25]
	v_sub_nc_u32_e32 v1, 29, v2
	v_and_b32_e32 v0, 7, v0
; %bb.1615:                             ;   in Loop: Header=BB302_10 Depth=1
	s_or_b32 exec_lo, exec_lo, s19
	v_lshlrev_b32_e32 v2, 8, v24
	v_lshl_add_u32 v1, v1, 10, 0x2000
	v_lshlrev_b32_e32 v0, 7, v0
	v_and_b32_e32 v2, 0x8000, v2
	v_and_b32_e32 v1, 0xfc00, v1
	v_or3_b32 v89, v2, v1, v0
.LBB302_1616:                           ;   in Loop: Header=BB302_10 Depth=1
	s_or_b32 exec_lo, exec_lo, s17
.LBB302_1617:                           ;   in Loop: Header=BB302_10 Depth=1
	s_or_b32 exec_lo, exec_lo, s12
.LBB302_1618:                           ;   in Loop: Header=BB302_10 Depth=1
	s_or_b32 exec_lo, exec_lo, s11
	v_lshrrev_b16 v4, 8, v24
	v_mov_b32_e32 v69, 0
	v_mov_b32_e32 v119, 0
	s_mov_b32 s11, exec_lo
	v_cmpx_ne_u16_e32 0, v4
	s_cbranch_execz .LBB302_1626
; %bb.1619:                             ;   in Loop: Header=BB302_10 Depth=1
	v_bfrev_b32_e32 v119, 1
	s_mov_b32 s12, exec_lo
	v_cmpx_ne_u16_e32 0x80, v4
	s_cbranch_execz .LBB302_1625
; %bb.1620:                             ;   in Loop: Header=BB302_10 Depth=1
	v_mov_b32_e32 v0, 0x7f
	v_mov_b32_e32 v119, 0x7c010000
	s_mov_b32 s17, exec_lo
	v_and_b32_sdwa v2, v4, v0 dst_sel:DWORD dst_unused:UNUSED_PAD src0_sel:WORD_0 src1_sel:DWORD
	v_cmpx_ne_u32_e32 0x7f, v2
	s_cbranch_execz .LBB302_1624
; %bb.1621:                             ;   in Loop: Header=BB302_10 Depth=1
	v_mov_b32_e32 v0, 7
	v_lshrrev_b32_e32 v1, 3, v2
	s_mov_b32 s19, exec_lo
	v_and_b32_sdwa v0, v4, v0 dst_sel:DWORD dst_unused:UNUSED_PAD src0_sel:WORD_0 src1_sel:DWORD
	v_cmpx_gt_u32_e32 8, v2
; %bb.1622:                             ;   in Loop: Header=BB302_10 Depth=1
	v_ffbh_u32_e32 v0, v0
	v_min_u32_e32 v2, 32, v0
	v_subrev_nc_u32_e32 v0, 28, v2
	v_lshlrev_b64 v[0:1], v0, v[4:5]
	v_sub_nc_u32_e32 v1, 29, v2
	v_and_b32_e32 v0, 7, v0
; %bb.1623:                             ;   in Loop: Header=BB302_10 Depth=1
	s_or_b32 exec_lo, exec_lo, s19
	v_mov_b32_e32 v2, 8
	v_lshl_add_u32 v1, v1, 10, 0x2000
	v_lshlrev_b32_e32 v0, 23, v0
	v_lshlrev_b32_sdwa v2, v2, v4 dst_sel:DWORD dst_unused:UNUSED_PAD src0_sel:DWORD src1_sel:WORD_0
	v_and_or_b32 v1, 0x8000, v2, v1
	v_lshl_or_b32 v119, v1, 16, v0
.LBB302_1624:                           ;   in Loop: Header=BB302_10 Depth=1
	s_or_b32 exec_lo, exec_lo, s17
.LBB302_1625:                           ;   in Loop: Header=BB302_10 Depth=1
	s_or_b32 exec_lo, exec_lo, s12
.LBB302_1626:                           ;   in Loop: Header=BB302_10 Depth=1
	s_or_b32 exec_lo, exec_lo, s11
	v_lshrrev_b32_e32 v4, 16, v24
	v_cmp_ne_u16_sdwa s5, v4, v5 src0_sel:BYTE_0 src1_sel:DWORD
	s_and_saveexec_b32 s11, s5
	s_cbranch_execz .LBB302_1634
; %bb.1627:                             ;   in Loop: Header=BB302_10 Depth=1
	v_cmp_ne_u16_sdwa s5, v4, v99 src0_sel:BYTE_0 src1_sel:DWORD
	v_mov_b32_e32 v69, 0x8000
	s_and_saveexec_b32 s12, s5
	s_cbranch_execz .LBB302_1633
; %bb.1628:                             ;   in Loop: Header=BB302_10 Depth=1
	v_bfe_u32 v2, v24, 16, 7
	v_mov_b32_e32 v69, 0x7c01
	s_mov_b32 s17, exec_lo
	v_cmpx_ne_u32_e32 0x7f, v2
	s_cbranch_execz .LBB302_1632
; %bb.1629:                             ;   in Loop: Header=BB302_10 Depth=1
	v_and_b32_e32 v0, 7, v4
	v_lshrrev_b32_e32 v1, 3, v2
	s_mov_b32 s19, exec_lo
	v_cmpx_gt_u32_e32 8, v2
; %bb.1630:                             ;   in Loop: Header=BB302_10 Depth=1
	v_ffbh_u32_e32 v0, v0
	v_min_u32_e32 v2, 32, v0
	v_subrev_nc_u32_e32 v0, 28, v2
	v_lshlrev_b64 v[0:1], v0, v[4:5]
	v_sub_nc_u32_e32 v1, 29, v2
	v_and_b32_e32 v0, 7, v0
; %bb.1631:                             ;   in Loop: Header=BB302_10 Depth=1
	s_or_b32 exec_lo, exec_lo, s19
	v_lshlrev_b32_e32 v2, 8, v4
	v_lshl_add_u32 v1, v1, 10, 0x2000
	v_lshlrev_b32_e32 v0, 7, v0
	v_and_b32_e32 v2, 0x8000, v2
	v_and_b32_e32 v1, 0xfc00, v1
	v_or3_b32 v69, v2, v1, v0
.LBB302_1632:                           ;   in Loop: Header=BB302_10 Depth=1
	s_or_b32 exec_lo, exec_lo, s17
.LBB302_1633:                           ;   in Loop: Header=BB302_10 Depth=1
	s_or_b32 exec_lo, exec_lo, s12
.LBB302_1634:                           ;   in Loop: Header=BB302_10 Depth=1
	s_or_b32 exec_lo, exec_lo, s11
	v_mov_b32_e32 v108, 0
	v_mov_b32_e32 v18, 0
	s_mov_b32 s11, exec_lo
	v_cmpx_lt_u32_e32 0xffffff, v24
	s_cbranch_execz .LBB302_1642
; %bb.1635:                             ;   in Loop: Header=BB302_10 Depth=1
	v_lshrrev_b32_e32 v4, 24, v24
	v_bfrev_b32_e32 v18, 1
	s_mov_b32 s12, exec_lo
	v_cmpx_ne_u32_e32 0x80, v4
	s_cbranch_execz .LBB302_1641
; %bb.1636:                             ;   in Loop: Header=BB302_10 Depth=1
	v_and_b32_e32 v2, 0x7f, v4
	v_mov_b32_e32 v18, 0x7c010000
	s_mov_b32 s17, exec_lo
	v_cmpx_ne_u32_e32 0x7f, v2
	s_cbranch_execz .LBB302_1640
; %bb.1637:                             ;   in Loop: Header=BB302_10 Depth=1
	v_and_b32_e32 v0, 7, v4
	v_lshrrev_b32_e32 v1, 3, v2
	s_mov_b32 s19, exec_lo
	v_cmpx_gt_u32_e32 8, v2
; %bb.1638:                             ;   in Loop: Header=BB302_10 Depth=1
	v_ffbh_u32_e32 v0, v0
	v_min_u32_e32 v2, 32, v0
	v_subrev_nc_u32_e32 v0, 28, v2
	v_lshlrev_b64 v[0:1], v0, v[4:5]
	v_sub_nc_u32_e32 v1, 29, v2
	v_and_b32_e32 v0, 7, v0
; %bb.1639:                             ;   in Loop: Header=BB302_10 Depth=1
	s_or_b32 exec_lo, exec_lo, s19
	v_lshlrev_b32_e32 v2, 8, v4
	v_lshl_add_u32 v1, v1, 10, 0x2000
	v_lshlrev_b32_e32 v0, 23, v0
	v_and_or_b32 v1, 0x8000, v2, v1
	v_lshl_or_b32 v18, v1, 16, v0
.LBB302_1640:                           ;   in Loop: Header=BB302_10 Depth=1
	s_or_b32 exec_lo, exec_lo, s17
.LBB302_1641:                           ;   in Loop: Header=BB302_10 Depth=1
	s_or_b32 exec_lo, exec_lo, s12
.LBB302_1642:                           ;   in Loop: Header=BB302_10 Depth=1
	s_or_b32 exec_lo, exec_lo, s11
	v_mov_b32_e32 v4, v25
	v_cmp_ne_u16_sdwa s5, v25, v5 src0_sel:BYTE_0 src1_sel:DWORD
	s_and_saveexec_b32 s11, s5
	s_cbranch_execz .LBB302_1650
; %bb.1643:                             ;   in Loop: Header=BB302_10 Depth=1
	v_cmp_ne_u16_sdwa s5, v25, v99 src0_sel:BYTE_0 src1_sel:DWORD
	v_mov_b32_e32 v108, 0x8000
	s_and_saveexec_b32 s12, s5
	s_cbranch_execz .LBB302_1649
; %bb.1644:                             ;   in Loop: Header=BB302_10 Depth=1
	v_and_b32_e32 v2, 0x7f, v25
	v_mov_b32_e32 v108, 0x7c01
	s_mov_b32 s17, exec_lo
	v_cmpx_ne_u32_e32 0x7f, v2
	s_cbranch_execz .LBB302_1648
; %bb.1645:                             ;   in Loop: Header=BB302_10 Depth=1
	v_and_b32_e32 v0, 7, v25
	v_lshrrev_b32_e32 v1, 3, v2
	s_mov_b32 s19, exec_lo
	v_cmpx_gt_u32_e32 8, v2
; %bb.1646:                             ;   in Loop: Header=BB302_10 Depth=1
	v_ffbh_u32_e32 v0, v0
	v_min_u32_e32 v2, 32, v0
	v_subrev_nc_u32_e32 v0, 28, v2
	v_lshlrev_b64 v[0:1], v0, v[4:5]
	v_sub_nc_u32_e32 v1, 29, v2
	v_and_b32_e32 v0, 7, v0
; %bb.1647:                             ;   in Loop: Header=BB302_10 Depth=1
	s_or_b32 exec_lo, exec_lo, s19
	v_lshlrev_b32_e32 v2, 8, v25
	v_lshl_add_u32 v1, v1, 10, 0x2000
	v_lshlrev_b32_e32 v0, 7, v0
	v_and_b32_e32 v2, 0x8000, v2
	v_and_b32_e32 v1, 0xfc00, v1
	v_or3_b32 v108, v2, v1, v0
.LBB302_1648:                           ;   in Loop: Header=BB302_10 Depth=1
	s_or_b32 exec_lo, exec_lo, s17
.LBB302_1649:                           ;   in Loop: Header=BB302_10 Depth=1
	s_or_b32 exec_lo, exec_lo, s12
.LBB302_1650:                           ;   in Loop: Header=BB302_10 Depth=1
	s_or_b32 exec_lo, exec_lo, s11
	v_lshrrev_b16 v4, 8, v4
	v_mov_b32_e32 v94, 0
	v_mov_b32_e32 v107, 0
	s_mov_b32 s11, exec_lo
	v_cmpx_ne_u16_e32 0, v4
	s_cbranch_execz .LBB302_1658
; %bb.1651:                             ;   in Loop: Header=BB302_10 Depth=1
	v_bfrev_b32_e32 v107, 1
	s_mov_b32 s12, exec_lo
	v_cmpx_ne_u16_e32 0x80, v4
	s_cbranch_execz .LBB302_1657
; %bb.1652:                             ;   in Loop: Header=BB302_10 Depth=1
	v_mov_b32_e32 v0, 0x7f
	v_mov_b32_e32 v107, 0x7c010000
	s_mov_b32 s17, exec_lo
	v_and_b32_sdwa v2, v4, v0 dst_sel:DWORD dst_unused:UNUSED_PAD src0_sel:WORD_0 src1_sel:DWORD
	v_cmpx_ne_u32_e32 0x7f, v2
	s_cbranch_execz .LBB302_1656
; %bb.1653:                             ;   in Loop: Header=BB302_10 Depth=1
	v_mov_b32_e32 v0, 7
	v_lshrrev_b32_e32 v1, 3, v2
	s_mov_b32 s19, exec_lo
	v_and_b32_sdwa v0, v4, v0 dst_sel:DWORD dst_unused:UNUSED_PAD src0_sel:WORD_0 src1_sel:DWORD
	v_cmpx_gt_u32_e32 8, v2
; %bb.1654:                             ;   in Loop: Header=BB302_10 Depth=1
	v_ffbh_u32_e32 v0, v0
	v_min_u32_e32 v2, 32, v0
	v_subrev_nc_u32_e32 v0, 28, v2
	v_lshlrev_b64 v[0:1], v0, v[4:5]
	v_sub_nc_u32_e32 v1, 29, v2
	v_and_b32_e32 v0, 7, v0
; %bb.1655:                             ;   in Loop: Header=BB302_10 Depth=1
	s_or_b32 exec_lo, exec_lo, s19
	v_mov_b32_e32 v2, 8
	v_lshl_add_u32 v1, v1, 10, 0x2000
	v_lshlrev_b32_e32 v0, 23, v0
	v_lshlrev_b32_sdwa v2, v2, v4 dst_sel:DWORD dst_unused:UNUSED_PAD src0_sel:DWORD src1_sel:WORD_0
	v_and_or_b32 v1, 0x8000, v2, v1
	v_lshl_or_b32 v107, v1, 16, v0
.LBB302_1656:                           ;   in Loop: Header=BB302_10 Depth=1
	s_or_b32 exec_lo, exec_lo, s17
.LBB302_1657:                           ;   in Loop: Header=BB302_10 Depth=1
	s_or_b32 exec_lo, exec_lo, s12
.LBB302_1658:                           ;   in Loop: Header=BB302_10 Depth=1
	s_or_b32 exec_lo, exec_lo, s11
	v_lshrrev_b32_e32 v4, 16, v25
	v_cmp_ne_u16_sdwa s5, v4, v5 src0_sel:BYTE_0 src1_sel:DWORD
	s_and_saveexec_b32 s11, s5
	s_cbranch_execz .LBB302_1666
; %bb.1659:                             ;   in Loop: Header=BB302_10 Depth=1
	v_cmp_ne_u16_sdwa s5, v4, v99 src0_sel:BYTE_0 src1_sel:DWORD
	v_mov_b32_e32 v94, 0x8000
	s_and_saveexec_b32 s12, s5
	s_cbranch_execz .LBB302_1665
; %bb.1660:                             ;   in Loop: Header=BB302_10 Depth=1
	v_bfe_u32 v2, v25, 16, 7
	v_mov_b32_e32 v94, 0x7c01
	s_mov_b32 s17, exec_lo
	v_cmpx_ne_u32_e32 0x7f, v2
	s_cbranch_execz .LBB302_1664
; %bb.1661:                             ;   in Loop: Header=BB302_10 Depth=1
	v_and_b32_e32 v0, 7, v4
	v_lshrrev_b32_e32 v1, 3, v2
	s_mov_b32 s19, exec_lo
	v_cmpx_gt_u32_e32 8, v2
; %bb.1662:                             ;   in Loop: Header=BB302_10 Depth=1
	v_ffbh_u32_e32 v0, v0
	v_min_u32_e32 v2, 32, v0
	v_subrev_nc_u32_e32 v0, 28, v2
	v_lshlrev_b64 v[0:1], v0, v[4:5]
	v_sub_nc_u32_e32 v1, 29, v2
	v_and_b32_e32 v0, 7, v0
; %bb.1663:                             ;   in Loop: Header=BB302_10 Depth=1
	s_or_b32 exec_lo, exec_lo, s19
	v_lshlrev_b32_e32 v2, 8, v4
	v_lshl_add_u32 v1, v1, 10, 0x2000
	v_lshlrev_b32_e32 v0, 7, v0
	v_and_b32_e32 v2, 0x8000, v2
	v_and_b32_e32 v1, 0xfc00, v1
	v_or3_b32 v94, v2, v1, v0
.LBB302_1664:                           ;   in Loop: Header=BB302_10 Depth=1
	s_or_b32 exec_lo, exec_lo, s17
.LBB302_1665:                           ;   in Loop: Header=BB302_10 Depth=1
	s_or_b32 exec_lo, exec_lo, s12
.LBB302_1666:                           ;   in Loop: Header=BB302_10 Depth=1
	s_or_b32 exec_lo, exec_lo, s11
	v_mov_b32_e32 v10, 0
	v_mov_b32_e32 v9, 0
	s_mov_b32 s11, exec_lo
	v_cmpx_lt_u64_e64 s[6:7], v[24:25]
	s_cbranch_execz .LBB302_1674
; %bb.1667:                             ;   in Loop: Header=BB302_10 Depth=1
	v_lshrrev_b32_e32 v4, 24, v25
	v_bfrev_b32_e32 v9, 1
	s_mov_b32 s12, exec_lo
	v_cmpx_ne_u32_e32 0x80, v4
	s_cbranch_execz .LBB302_1673
; %bb.1668:                             ;   in Loop: Header=BB302_10 Depth=1
	v_and_b32_e32 v2, 0x7f, v4
	v_mov_b32_e32 v9, 0x7c010000
	s_mov_b32 s17, exec_lo
	v_cmpx_ne_u32_e32 0x7f, v2
	s_cbranch_execz .LBB302_1672
; %bb.1669:                             ;   in Loop: Header=BB302_10 Depth=1
	v_and_b32_e32 v0, 7, v4
	v_lshrrev_b32_e32 v1, 3, v2
	s_mov_b32 s19, exec_lo
	v_cmpx_gt_u32_e32 8, v2
; %bb.1670:                             ;   in Loop: Header=BB302_10 Depth=1
	v_ffbh_u32_e32 v0, v0
	v_min_u32_e32 v2, 32, v0
	v_subrev_nc_u32_e32 v0, 28, v2
	v_lshlrev_b64 v[0:1], v0, v[4:5]
	v_sub_nc_u32_e32 v1, 29, v2
	v_and_b32_e32 v0, 7, v0
; %bb.1671:                             ;   in Loop: Header=BB302_10 Depth=1
	s_or_b32 exec_lo, exec_lo, s19
	v_lshlrev_b32_e32 v2, 8, v4
	v_lshl_add_u32 v1, v1, 10, 0x2000
	v_lshlrev_b32_e32 v0, 23, v0
	v_and_or_b32 v1, 0x8000, v2, v1
	v_lshl_or_b32 v9, v1, 16, v0
.LBB302_1672:                           ;   in Loop: Header=BB302_10 Depth=1
	s_or_b32 exec_lo, exec_lo, s17
.LBB302_1673:                           ;   in Loop: Header=BB302_10 Depth=1
	s_or_b32 exec_lo, exec_lo, s12
.LBB302_1674:                           ;   in Loop: Header=BB302_10 Depth=1
	s_or_b32 exec_lo, exec_lo, s11
	flat_load_dwordx2 v[24:25], v[16:17] offset:512
	s_waitcnt vmcnt(0) lgkmcnt(0)
	v_cmp_ne_u16_sdwa s5, v24, v5 src0_sel:BYTE_0 src1_sel:DWORD
	s_and_saveexec_b32 s11, s5
	s_cbranch_execz .LBB302_1682
; %bb.1675:                             ;   in Loop: Header=BB302_10 Depth=1
	v_cmp_ne_u16_sdwa s5, v24, v99 src0_sel:BYTE_0 src1_sel:DWORD
	v_mov_b32_e32 v10, 0x8000
	s_and_saveexec_b32 s12, s5
	s_cbranch_execz .LBB302_1681
; %bb.1676:                             ;   in Loop: Header=BB302_10 Depth=1
	v_and_b32_e32 v2, 0x7f, v24
	v_mov_b32_e32 v10, 0x7c01
	s_mov_b32 s17, exec_lo
	v_cmpx_ne_u32_e32 0x7f, v2
	s_cbranch_execz .LBB302_1680
; %bb.1677:                             ;   in Loop: Header=BB302_10 Depth=1
	v_and_b32_e32 v0, 7, v24
	v_lshrrev_b32_e32 v1, 3, v2
	s_mov_b32 s19, exec_lo
	v_cmpx_gt_u32_e32 8, v2
; %bb.1678:                             ;   in Loop: Header=BB302_10 Depth=1
	v_ffbh_u32_e32 v0, v0
	v_min_u32_e32 v2, 32, v0
	v_subrev_nc_u32_e32 v0, 28, v2
	v_lshlrev_b64 v[0:1], v0, v[24:25]
	v_sub_nc_u32_e32 v1, 29, v2
	v_and_b32_e32 v0, 7, v0
; %bb.1679:                             ;   in Loop: Header=BB302_10 Depth=1
	s_or_b32 exec_lo, exec_lo, s19
	v_lshlrev_b32_e32 v2, 8, v24
	v_lshl_add_u32 v1, v1, 10, 0x2000
	v_lshlrev_b32_e32 v0, 7, v0
	v_and_b32_e32 v2, 0x8000, v2
	v_and_b32_e32 v1, 0xfc00, v1
	v_or3_b32 v10, v2, v1, v0
.LBB302_1680:                           ;   in Loop: Header=BB302_10 Depth=1
	s_or_b32 exec_lo, exec_lo, s17
.LBB302_1681:                           ;   in Loop: Header=BB302_10 Depth=1
	s_or_b32 exec_lo, exec_lo, s12
.LBB302_1682:                           ;   in Loop: Header=BB302_10 Depth=1
	s_or_b32 exec_lo, exec_lo, s11
	v_lshrrev_b16 v4, 8, v24
	v_mov_b32_e32 v92, 0
	v_mov_b32_e32 v98, 0
	s_mov_b32 s11, exec_lo
	v_cmpx_ne_u16_e32 0, v4
	s_cbranch_execz .LBB302_1690
; %bb.1683:                             ;   in Loop: Header=BB302_10 Depth=1
	v_bfrev_b32_e32 v98, 1
	s_mov_b32 s12, exec_lo
	v_cmpx_ne_u16_e32 0x80, v4
	s_cbranch_execz .LBB302_1689
; %bb.1684:                             ;   in Loop: Header=BB302_10 Depth=1
	v_mov_b32_e32 v0, 0x7f
	v_mov_b32_e32 v98, 0x7c010000
	s_mov_b32 s17, exec_lo
	v_and_b32_sdwa v2, v4, v0 dst_sel:DWORD dst_unused:UNUSED_PAD src0_sel:WORD_0 src1_sel:DWORD
	v_cmpx_ne_u32_e32 0x7f, v2
	s_cbranch_execz .LBB302_1688
; %bb.1685:                             ;   in Loop: Header=BB302_10 Depth=1
	v_mov_b32_e32 v0, 7
	v_lshrrev_b32_e32 v1, 3, v2
	s_mov_b32 s19, exec_lo
	v_and_b32_sdwa v0, v4, v0 dst_sel:DWORD dst_unused:UNUSED_PAD src0_sel:WORD_0 src1_sel:DWORD
	v_cmpx_gt_u32_e32 8, v2
; %bb.1686:                             ;   in Loop: Header=BB302_10 Depth=1
	v_ffbh_u32_e32 v0, v0
	v_min_u32_e32 v2, 32, v0
	v_subrev_nc_u32_e32 v0, 28, v2
	v_lshlrev_b64 v[0:1], v0, v[4:5]
	v_sub_nc_u32_e32 v1, 29, v2
	v_and_b32_e32 v0, 7, v0
; %bb.1687:                             ;   in Loop: Header=BB302_10 Depth=1
	s_or_b32 exec_lo, exec_lo, s19
	v_mov_b32_e32 v2, 8
	v_lshl_add_u32 v1, v1, 10, 0x2000
	v_lshlrev_b32_e32 v0, 23, v0
	v_lshlrev_b32_sdwa v2, v2, v4 dst_sel:DWORD dst_unused:UNUSED_PAD src0_sel:DWORD src1_sel:WORD_0
	v_and_or_b32 v1, 0x8000, v2, v1
	v_lshl_or_b32 v98, v1, 16, v0
.LBB302_1688:                           ;   in Loop: Header=BB302_10 Depth=1
	s_or_b32 exec_lo, exec_lo, s17
.LBB302_1689:                           ;   in Loop: Header=BB302_10 Depth=1
	s_or_b32 exec_lo, exec_lo, s12
.LBB302_1690:                           ;   in Loop: Header=BB302_10 Depth=1
	s_or_b32 exec_lo, exec_lo, s11
	v_lshrrev_b32_e32 v4, 16, v24
	v_cmp_ne_u16_sdwa s5, v4, v5 src0_sel:BYTE_0 src1_sel:DWORD
	s_and_saveexec_b32 s11, s5
	s_cbranch_execz .LBB302_1698
; %bb.1691:                             ;   in Loop: Header=BB302_10 Depth=1
	v_cmp_ne_u16_sdwa s5, v4, v99 src0_sel:BYTE_0 src1_sel:DWORD
	v_mov_b32_e32 v92, 0x8000
	s_and_saveexec_b32 s12, s5
	s_cbranch_execz .LBB302_1697
; %bb.1692:                             ;   in Loop: Header=BB302_10 Depth=1
	v_bfe_u32 v2, v24, 16, 7
	v_mov_b32_e32 v92, 0x7c01
	s_mov_b32 s17, exec_lo
	v_cmpx_ne_u32_e32 0x7f, v2
	s_cbranch_execz .LBB302_1696
; %bb.1693:                             ;   in Loop: Header=BB302_10 Depth=1
	v_and_b32_e32 v0, 7, v4
	v_lshrrev_b32_e32 v1, 3, v2
	s_mov_b32 s19, exec_lo
	v_cmpx_gt_u32_e32 8, v2
; %bb.1694:                             ;   in Loop: Header=BB302_10 Depth=1
	v_ffbh_u32_e32 v0, v0
	v_min_u32_e32 v2, 32, v0
	v_subrev_nc_u32_e32 v0, 28, v2
	v_lshlrev_b64 v[0:1], v0, v[4:5]
	v_sub_nc_u32_e32 v1, 29, v2
	v_and_b32_e32 v0, 7, v0
; %bb.1695:                             ;   in Loop: Header=BB302_10 Depth=1
	s_or_b32 exec_lo, exec_lo, s19
	v_lshlrev_b32_e32 v2, 8, v4
	v_lshl_add_u32 v1, v1, 10, 0x2000
	v_lshlrev_b32_e32 v0, 7, v0
	v_and_b32_e32 v2, 0x8000, v2
	v_and_b32_e32 v1, 0xfc00, v1
	v_or3_b32 v92, v2, v1, v0
.LBB302_1696:                           ;   in Loop: Header=BB302_10 Depth=1
	s_or_b32 exec_lo, exec_lo, s17
.LBB302_1697:                           ;   in Loop: Header=BB302_10 Depth=1
	s_or_b32 exec_lo, exec_lo, s12
.LBB302_1698:                           ;   in Loop: Header=BB302_10 Depth=1
	s_or_b32 exec_lo, exec_lo, s11
	v_mov_b32_e32 v112, 0
	v_mov_b32_e32 v96, 0
	s_mov_b32 s11, exec_lo
	v_cmpx_lt_u32_e32 0xffffff, v24
	s_cbranch_execz .LBB302_1706
; %bb.1699:                             ;   in Loop: Header=BB302_10 Depth=1
	v_lshrrev_b32_e32 v4, 24, v24
	v_bfrev_b32_e32 v96, 1
	s_mov_b32 s12, exec_lo
	v_cmpx_ne_u32_e32 0x80, v4
	s_cbranch_execz .LBB302_1705
; %bb.1700:                             ;   in Loop: Header=BB302_10 Depth=1
	v_and_b32_e32 v2, 0x7f, v4
	v_mov_b32_e32 v96, 0x7c010000
	s_mov_b32 s17, exec_lo
	v_cmpx_ne_u32_e32 0x7f, v2
	s_cbranch_execz .LBB302_1704
; %bb.1701:                             ;   in Loop: Header=BB302_10 Depth=1
	v_and_b32_e32 v0, 7, v4
	v_lshrrev_b32_e32 v1, 3, v2
	s_mov_b32 s19, exec_lo
	v_cmpx_gt_u32_e32 8, v2
; %bb.1702:                             ;   in Loop: Header=BB302_10 Depth=1
	v_ffbh_u32_e32 v0, v0
	v_min_u32_e32 v2, 32, v0
	v_subrev_nc_u32_e32 v0, 28, v2
	v_lshlrev_b64 v[0:1], v0, v[4:5]
	v_sub_nc_u32_e32 v1, 29, v2
	v_and_b32_e32 v0, 7, v0
; %bb.1703:                             ;   in Loop: Header=BB302_10 Depth=1
	s_or_b32 exec_lo, exec_lo, s19
	v_lshlrev_b32_e32 v2, 8, v4
	v_lshl_add_u32 v1, v1, 10, 0x2000
	v_lshlrev_b32_e32 v0, 23, v0
	v_and_or_b32 v1, 0x8000, v2, v1
	v_lshl_or_b32 v96, v1, 16, v0
.LBB302_1704:                           ;   in Loop: Header=BB302_10 Depth=1
	s_or_b32 exec_lo, exec_lo, s17
.LBB302_1705:                           ;   in Loop: Header=BB302_10 Depth=1
	s_or_b32 exec_lo, exec_lo, s12
.LBB302_1706:                           ;   in Loop: Header=BB302_10 Depth=1
	s_or_b32 exec_lo, exec_lo, s11
	v_mov_b32_e32 v4, v25
	v_cmp_ne_u16_sdwa s5, v25, v5 src0_sel:BYTE_0 src1_sel:DWORD
	s_and_saveexec_b32 s11, s5
	s_cbranch_execz .LBB302_1714
; %bb.1707:                             ;   in Loop: Header=BB302_10 Depth=1
	v_cmp_ne_u16_sdwa s5, v25, v99 src0_sel:BYTE_0 src1_sel:DWORD
	v_mov_b32_e32 v112, 0x8000
	s_and_saveexec_b32 s12, s5
	s_cbranch_execz .LBB302_1713
; %bb.1708:                             ;   in Loop: Header=BB302_10 Depth=1
	v_and_b32_e32 v2, 0x7f, v25
	v_mov_b32_e32 v112, 0x7c01
	s_mov_b32 s17, exec_lo
	v_cmpx_ne_u32_e32 0x7f, v2
	s_cbranch_execz .LBB302_1712
; %bb.1709:                             ;   in Loop: Header=BB302_10 Depth=1
	v_and_b32_e32 v0, 7, v25
	v_lshrrev_b32_e32 v1, 3, v2
	s_mov_b32 s19, exec_lo
	v_cmpx_gt_u32_e32 8, v2
; %bb.1710:                             ;   in Loop: Header=BB302_10 Depth=1
	v_ffbh_u32_e32 v0, v0
	v_min_u32_e32 v2, 32, v0
	v_subrev_nc_u32_e32 v0, 28, v2
	v_lshlrev_b64 v[0:1], v0, v[4:5]
	v_sub_nc_u32_e32 v1, 29, v2
	v_and_b32_e32 v0, 7, v0
; %bb.1711:                             ;   in Loop: Header=BB302_10 Depth=1
	s_or_b32 exec_lo, exec_lo, s19
	v_lshlrev_b32_e32 v2, 8, v25
	v_lshl_add_u32 v1, v1, 10, 0x2000
	v_lshlrev_b32_e32 v0, 7, v0
	v_and_b32_e32 v2, 0x8000, v2
	v_and_b32_e32 v1, 0xfc00, v1
	v_or3_b32 v112, v2, v1, v0
.LBB302_1712:                           ;   in Loop: Header=BB302_10 Depth=1
	s_or_b32 exec_lo, exec_lo, s17
.LBB302_1713:                           ;   in Loop: Header=BB302_10 Depth=1
	s_or_b32 exec_lo, exec_lo, s12
.LBB302_1714:                           ;   in Loop: Header=BB302_10 Depth=1
	s_or_b32 exec_lo, exec_lo, s11
	v_lshrrev_b16 v4, 8, v4
	v_mov_b32_e32 v13, 0
	v_mov_b32_e32 v20, 0
	s_mov_b32 s11, exec_lo
	v_cmpx_ne_u16_e32 0, v4
	s_cbranch_execz .LBB302_1722
; %bb.1715:                             ;   in Loop: Header=BB302_10 Depth=1
	v_bfrev_b32_e32 v20, 1
	s_mov_b32 s12, exec_lo
	v_cmpx_ne_u16_e32 0x80, v4
	s_cbranch_execz .LBB302_1721
; %bb.1716:                             ;   in Loop: Header=BB302_10 Depth=1
	v_mov_b32_e32 v0, 0x7f
	v_mov_b32_e32 v20, 0x7c010000
	s_mov_b32 s17, exec_lo
	v_and_b32_sdwa v2, v4, v0 dst_sel:DWORD dst_unused:UNUSED_PAD src0_sel:WORD_0 src1_sel:DWORD
	v_cmpx_ne_u32_e32 0x7f, v2
	s_cbranch_execz .LBB302_1720
; %bb.1717:                             ;   in Loop: Header=BB302_10 Depth=1
	v_mov_b32_e32 v0, 7
	v_lshrrev_b32_e32 v1, 3, v2
	s_mov_b32 s19, exec_lo
	v_and_b32_sdwa v0, v4, v0 dst_sel:DWORD dst_unused:UNUSED_PAD src0_sel:WORD_0 src1_sel:DWORD
	v_cmpx_gt_u32_e32 8, v2
; %bb.1718:                             ;   in Loop: Header=BB302_10 Depth=1
	v_ffbh_u32_e32 v0, v0
	v_min_u32_e32 v2, 32, v0
	v_subrev_nc_u32_e32 v0, 28, v2
	v_lshlrev_b64 v[0:1], v0, v[4:5]
	v_sub_nc_u32_e32 v1, 29, v2
	v_and_b32_e32 v0, 7, v0
; %bb.1719:                             ;   in Loop: Header=BB302_10 Depth=1
	s_or_b32 exec_lo, exec_lo, s19
	v_mov_b32_e32 v2, 8
	v_lshl_add_u32 v1, v1, 10, 0x2000
	v_lshlrev_b32_e32 v0, 23, v0
	v_lshlrev_b32_sdwa v2, v2, v4 dst_sel:DWORD dst_unused:UNUSED_PAD src0_sel:DWORD src1_sel:WORD_0
	v_and_or_b32 v1, 0x8000, v2, v1
	v_lshl_or_b32 v20, v1, 16, v0
.LBB302_1720:                           ;   in Loop: Header=BB302_10 Depth=1
	s_or_b32 exec_lo, exec_lo, s17
.LBB302_1721:                           ;   in Loop: Header=BB302_10 Depth=1
	s_or_b32 exec_lo, exec_lo, s12
.LBB302_1722:                           ;   in Loop: Header=BB302_10 Depth=1
	s_or_b32 exec_lo, exec_lo, s11
	v_lshrrev_b32_e32 v4, 16, v25
	v_cmp_ne_u16_sdwa s5, v4, v5 src0_sel:BYTE_0 src1_sel:DWORD
	s_and_saveexec_b32 s11, s5
	s_cbranch_execz .LBB302_1730
; %bb.1723:                             ;   in Loop: Header=BB302_10 Depth=1
	v_cmp_ne_u16_sdwa s5, v4, v99 src0_sel:BYTE_0 src1_sel:DWORD
	v_mov_b32_e32 v13, 0x8000
	s_and_saveexec_b32 s12, s5
	s_cbranch_execz .LBB302_1729
; %bb.1724:                             ;   in Loop: Header=BB302_10 Depth=1
	v_bfe_u32 v2, v25, 16, 7
	v_mov_b32_e32 v13, 0x7c01
	s_mov_b32 s17, exec_lo
	v_cmpx_ne_u32_e32 0x7f, v2
	s_cbranch_execz .LBB302_1728
; %bb.1725:                             ;   in Loop: Header=BB302_10 Depth=1
	v_and_b32_e32 v0, 7, v4
	v_lshrrev_b32_e32 v1, 3, v2
	s_mov_b32 s19, exec_lo
	v_cmpx_gt_u32_e32 8, v2
; %bb.1726:                             ;   in Loop: Header=BB302_10 Depth=1
	v_ffbh_u32_e32 v0, v0
	v_min_u32_e32 v2, 32, v0
	v_subrev_nc_u32_e32 v0, 28, v2
	v_lshlrev_b64 v[0:1], v0, v[4:5]
	v_sub_nc_u32_e32 v1, 29, v2
	v_and_b32_e32 v0, 7, v0
; %bb.1727:                             ;   in Loop: Header=BB302_10 Depth=1
	s_or_b32 exec_lo, exec_lo, s19
	v_lshlrev_b32_e32 v2, 8, v4
	v_lshl_add_u32 v1, v1, 10, 0x2000
	v_lshlrev_b32_e32 v0, 7, v0
	v_and_b32_e32 v2, 0x8000, v2
	v_and_b32_e32 v1, 0xfc00, v1
	v_or3_b32 v13, v2, v1, v0
.LBB302_1728:                           ;   in Loop: Header=BB302_10 Depth=1
	s_or_b32 exec_lo, exec_lo, s17
.LBB302_1729:                           ;   in Loop: Header=BB302_10 Depth=1
	s_or_b32 exec_lo, exec_lo, s12
.LBB302_1730:                           ;   in Loop: Header=BB302_10 Depth=1
	s_or_b32 exec_lo, exec_lo, s11
	v_mov_b32_e32 v42, 0
	v_mov_b32_e32 v49, 0
	s_mov_b32 s11, exec_lo
	v_cmpx_lt_u64_e64 s[6:7], v[24:25]
	s_cbranch_execz .LBB302_1738
; %bb.1731:                             ;   in Loop: Header=BB302_10 Depth=1
	v_lshrrev_b32_e32 v4, 24, v25
	v_bfrev_b32_e32 v49, 1
	s_mov_b32 s12, exec_lo
	v_cmpx_ne_u32_e32 0x80, v4
	s_cbranch_execz .LBB302_1737
; %bb.1732:                             ;   in Loop: Header=BB302_10 Depth=1
	v_and_b32_e32 v2, 0x7f, v4
	v_mov_b32_e32 v49, 0x7c010000
	s_mov_b32 s17, exec_lo
	v_cmpx_ne_u32_e32 0x7f, v2
	s_cbranch_execz .LBB302_1736
; %bb.1733:                             ;   in Loop: Header=BB302_10 Depth=1
	v_and_b32_e32 v0, 7, v4
	v_lshrrev_b32_e32 v1, 3, v2
	s_mov_b32 s19, exec_lo
	v_cmpx_gt_u32_e32 8, v2
; %bb.1734:                             ;   in Loop: Header=BB302_10 Depth=1
	v_ffbh_u32_e32 v0, v0
	v_min_u32_e32 v2, 32, v0
	v_subrev_nc_u32_e32 v0, 28, v2
	v_lshlrev_b64 v[0:1], v0, v[4:5]
	v_sub_nc_u32_e32 v1, 29, v2
	v_and_b32_e32 v0, 7, v0
; %bb.1735:                             ;   in Loop: Header=BB302_10 Depth=1
	s_or_b32 exec_lo, exec_lo, s19
	v_lshlrev_b32_e32 v2, 8, v4
	v_lshl_add_u32 v1, v1, 10, 0x2000
	v_lshlrev_b32_e32 v0, 23, v0
	v_and_or_b32 v1, 0x8000, v2, v1
	v_lshl_or_b32 v49, v1, 16, v0
.LBB302_1736:                           ;   in Loop: Header=BB302_10 Depth=1
	s_or_b32 exec_lo, exec_lo, s17
.LBB302_1737:                           ;   in Loop: Header=BB302_10 Depth=1
	s_or_b32 exec_lo, exec_lo, s12
.LBB302_1738:                           ;   in Loop: Header=BB302_10 Depth=1
	s_or_b32 exec_lo, exec_lo, s11
	flat_load_dwordx2 v[24:25], v[16:17] offset:520
	s_waitcnt vmcnt(0) lgkmcnt(0)
	v_cmp_ne_u16_sdwa s5, v24, v5 src0_sel:BYTE_0 src1_sel:DWORD
	s_and_saveexec_b32 s11, s5
	s_cbranch_execz .LBB302_1746
; %bb.1739:                             ;   in Loop: Header=BB302_10 Depth=1
	v_cmp_ne_u16_sdwa s5, v24, v99 src0_sel:BYTE_0 src1_sel:DWORD
	v_mov_b32_e32 v42, 0x8000
	s_and_saveexec_b32 s12, s5
	s_cbranch_execz .LBB302_1745
; %bb.1740:                             ;   in Loop: Header=BB302_10 Depth=1
	v_and_b32_e32 v2, 0x7f, v24
	v_mov_b32_e32 v42, 0x7c01
	s_mov_b32 s17, exec_lo
	v_cmpx_ne_u32_e32 0x7f, v2
	s_cbranch_execz .LBB302_1744
; %bb.1741:                             ;   in Loop: Header=BB302_10 Depth=1
	v_and_b32_e32 v0, 7, v24
	v_lshrrev_b32_e32 v1, 3, v2
	s_mov_b32 s19, exec_lo
	v_cmpx_gt_u32_e32 8, v2
; %bb.1742:                             ;   in Loop: Header=BB302_10 Depth=1
	v_ffbh_u32_e32 v0, v0
	v_min_u32_e32 v2, 32, v0
	v_subrev_nc_u32_e32 v0, 28, v2
	v_lshlrev_b64 v[0:1], v0, v[24:25]
	v_sub_nc_u32_e32 v1, 29, v2
	v_and_b32_e32 v0, 7, v0
; %bb.1743:                             ;   in Loop: Header=BB302_10 Depth=1
	s_or_b32 exec_lo, exec_lo, s19
	v_lshlrev_b32_e32 v2, 8, v24
	v_lshl_add_u32 v1, v1, 10, 0x2000
	v_lshlrev_b32_e32 v0, 7, v0
	v_and_b32_e32 v2, 0x8000, v2
	v_and_b32_e32 v1, 0xfc00, v1
	v_or3_b32 v42, v2, v1, v0
.LBB302_1744:                           ;   in Loop: Header=BB302_10 Depth=1
	s_or_b32 exec_lo, exec_lo, s17
.LBB302_1745:                           ;   in Loop: Header=BB302_10 Depth=1
	s_or_b32 exec_lo, exec_lo, s12
.LBB302_1746:                           ;   in Loop: Header=BB302_10 Depth=1
	s_or_b32 exec_lo, exec_lo, s11
	v_lshrrev_b16 v4, 8, v24
	v_mov_b32_e32 v124, 0
	v_mov_b32_e32 v121, 0
	s_mov_b32 s11, exec_lo
	v_cmpx_ne_u16_e32 0, v4
	s_cbranch_execz .LBB302_1754
; %bb.1747:                             ;   in Loop: Header=BB302_10 Depth=1
	v_bfrev_b32_e32 v121, 1
	s_mov_b32 s12, exec_lo
	v_cmpx_ne_u16_e32 0x80, v4
	s_cbranch_execz .LBB302_1753
; %bb.1748:                             ;   in Loop: Header=BB302_10 Depth=1
	v_mov_b32_e32 v0, 0x7f
	v_mov_b32_e32 v121, 0x7c010000
	s_mov_b32 s17, exec_lo
	v_and_b32_sdwa v2, v4, v0 dst_sel:DWORD dst_unused:UNUSED_PAD src0_sel:WORD_0 src1_sel:DWORD
	v_cmpx_ne_u32_e32 0x7f, v2
	s_cbranch_execz .LBB302_1752
; %bb.1749:                             ;   in Loop: Header=BB302_10 Depth=1
	v_mov_b32_e32 v0, 7
	v_lshrrev_b32_e32 v1, 3, v2
	s_mov_b32 s19, exec_lo
	v_and_b32_sdwa v0, v4, v0 dst_sel:DWORD dst_unused:UNUSED_PAD src0_sel:WORD_0 src1_sel:DWORD
	v_cmpx_gt_u32_e32 8, v2
; %bb.1750:                             ;   in Loop: Header=BB302_10 Depth=1
	v_ffbh_u32_e32 v0, v0
	v_min_u32_e32 v2, 32, v0
	v_subrev_nc_u32_e32 v0, 28, v2
	v_lshlrev_b64 v[0:1], v0, v[4:5]
	v_sub_nc_u32_e32 v1, 29, v2
	v_and_b32_e32 v0, 7, v0
; %bb.1751:                             ;   in Loop: Header=BB302_10 Depth=1
	s_or_b32 exec_lo, exec_lo, s19
	v_mov_b32_e32 v2, 8
	v_lshl_add_u32 v1, v1, 10, 0x2000
	v_lshlrev_b32_e32 v0, 23, v0
	v_lshlrev_b32_sdwa v2, v2, v4 dst_sel:DWORD dst_unused:UNUSED_PAD src0_sel:DWORD src1_sel:WORD_0
	v_and_or_b32 v1, 0x8000, v2, v1
	v_lshl_or_b32 v121, v1, 16, v0
.LBB302_1752:                           ;   in Loop: Header=BB302_10 Depth=1
	s_or_b32 exec_lo, exec_lo, s17
.LBB302_1753:                           ;   in Loop: Header=BB302_10 Depth=1
	s_or_b32 exec_lo, exec_lo, s12
.LBB302_1754:                           ;   in Loop: Header=BB302_10 Depth=1
	s_or_b32 exec_lo, exec_lo, s11
	v_lshrrev_b32_e32 v4, 16, v24
	v_cmp_ne_u16_sdwa s5, v4, v5 src0_sel:BYTE_0 src1_sel:DWORD
	s_and_saveexec_b32 s11, s5
	s_cbranch_execz .LBB302_1762
; %bb.1755:                             ;   in Loop: Header=BB302_10 Depth=1
	v_cmp_ne_u16_sdwa s5, v4, v99 src0_sel:BYTE_0 src1_sel:DWORD
	v_mov_b32_e32 v124, 0x8000
	s_and_saveexec_b32 s12, s5
	s_cbranch_execz .LBB302_1761
; %bb.1756:                             ;   in Loop: Header=BB302_10 Depth=1
	v_bfe_u32 v2, v24, 16, 7
	v_mov_b32_e32 v124, 0x7c01
	s_mov_b32 s17, exec_lo
	v_cmpx_ne_u32_e32 0x7f, v2
	s_cbranch_execz .LBB302_1760
; %bb.1757:                             ;   in Loop: Header=BB302_10 Depth=1
	v_and_b32_e32 v0, 7, v4
	v_lshrrev_b32_e32 v1, 3, v2
	s_mov_b32 s19, exec_lo
	v_cmpx_gt_u32_e32 8, v2
; %bb.1758:                             ;   in Loop: Header=BB302_10 Depth=1
	v_ffbh_u32_e32 v0, v0
	v_min_u32_e32 v2, 32, v0
	v_subrev_nc_u32_e32 v0, 28, v2
	v_lshlrev_b64 v[0:1], v0, v[4:5]
	v_sub_nc_u32_e32 v1, 29, v2
	v_and_b32_e32 v0, 7, v0
; %bb.1759:                             ;   in Loop: Header=BB302_10 Depth=1
	s_or_b32 exec_lo, exec_lo, s19
	v_lshlrev_b32_e32 v2, 8, v4
	v_lshl_add_u32 v1, v1, 10, 0x2000
	v_lshlrev_b32_e32 v0, 7, v0
	v_and_b32_e32 v2, 0x8000, v2
	v_and_b32_e32 v1, 0xfc00, v1
	v_or3_b32 v124, v2, v1, v0
.LBB302_1760:                           ;   in Loop: Header=BB302_10 Depth=1
	s_or_b32 exec_lo, exec_lo, s17
.LBB302_1761:                           ;   in Loop: Header=BB302_10 Depth=1
	s_or_b32 exec_lo, exec_lo, s12
.LBB302_1762:                           ;   in Loop: Header=BB302_10 Depth=1
	s_or_b32 exec_lo, exec_lo, s11
	v_mov_b32_e32 v123, 0
	v_mov_b32_e32 v83, 0
	s_mov_b32 s11, exec_lo
	v_cmpx_lt_u32_e32 0xffffff, v24
	s_cbranch_execz .LBB302_1770
; %bb.1763:                             ;   in Loop: Header=BB302_10 Depth=1
	v_lshrrev_b32_e32 v4, 24, v24
	v_bfrev_b32_e32 v83, 1
	s_mov_b32 s12, exec_lo
	v_cmpx_ne_u32_e32 0x80, v4
	s_cbranch_execz .LBB302_1769
; %bb.1764:                             ;   in Loop: Header=BB302_10 Depth=1
	v_and_b32_e32 v2, 0x7f, v4
	v_mov_b32_e32 v83, 0x7c010000
	s_mov_b32 s17, exec_lo
	v_cmpx_ne_u32_e32 0x7f, v2
	s_cbranch_execz .LBB302_1768
; %bb.1765:                             ;   in Loop: Header=BB302_10 Depth=1
	v_and_b32_e32 v0, 7, v4
	v_lshrrev_b32_e32 v1, 3, v2
	s_mov_b32 s19, exec_lo
	v_cmpx_gt_u32_e32 8, v2
; %bb.1766:                             ;   in Loop: Header=BB302_10 Depth=1
	v_ffbh_u32_e32 v0, v0
	v_min_u32_e32 v2, 32, v0
	v_subrev_nc_u32_e32 v0, 28, v2
	v_lshlrev_b64 v[0:1], v0, v[4:5]
	v_sub_nc_u32_e32 v1, 29, v2
	v_and_b32_e32 v0, 7, v0
; %bb.1767:                             ;   in Loop: Header=BB302_10 Depth=1
	s_or_b32 exec_lo, exec_lo, s19
	v_lshlrev_b32_e32 v2, 8, v4
	v_lshl_add_u32 v1, v1, 10, 0x2000
	v_lshlrev_b32_e32 v0, 23, v0
	v_and_or_b32 v1, 0x8000, v2, v1
	v_lshl_or_b32 v83, v1, 16, v0
.LBB302_1768:                           ;   in Loop: Header=BB302_10 Depth=1
	s_or_b32 exec_lo, exec_lo, s17
.LBB302_1769:                           ;   in Loop: Header=BB302_10 Depth=1
	s_or_b32 exec_lo, exec_lo, s12
.LBB302_1770:                           ;   in Loop: Header=BB302_10 Depth=1
	s_or_b32 exec_lo, exec_lo, s11
	v_mov_b32_e32 v4, v25
	v_cmp_ne_u16_sdwa s5, v25, v5 src0_sel:BYTE_0 src1_sel:DWORD
	s_and_saveexec_b32 s11, s5
	s_cbranch_execz .LBB302_1778
; %bb.1771:                             ;   in Loop: Header=BB302_10 Depth=1
	v_cmp_ne_u16_sdwa s5, v25, v99 src0_sel:BYTE_0 src1_sel:DWORD
	v_mov_b32_e32 v123, 0x8000
	s_and_saveexec_b32 s12, s5
	s_cbranch_execz .LBB302_1777
; %bb.1772:                             ;   in Loop: Header=BB302_10 Depth=1
	v_and_b32_e32 v2, 0x7f, v25
	v_mov_b32_e32 v123, 0x7c01
	s_mov_b32 s17, exec_lo
	v_cmpx_ne_u32_e32 0x7f, v2
	s_cbranch_execz .LBB302_1776
; %bb.1773:                             ;   in Loop: Header=BB302_10 Depth=1
	v_and_b32_e32 v0, 7, v25
	v_lshrrev_b32_e32 v1, 3, v2
	s_mov_b32 s19, exec_lo
	v_cmpx_gt_u32_e32 8, v2
; %bb.1774:                             ;   in Loop: Header=BB302_10 Depth=1
	v_ffbh_u32_e32 v0, v0
	v_min_u32_e32 v2, 32, v0
	v_subrev_nc_u32_e32 v0, 28, v2
	v_lshlrev_b64 v[0:1], v0, v[4:5]
	v_sub_nc_u32_e32 v1, 29, v2
	v_and_b32_e32 v0, 7, v0
; %bb.1775:                             ;   in Loop: Header=BB302_10 Depth=1
	s_or_b32 exec_lo, exec_lo, s19
	v_lshlrev_b32_e32 v2, 8, v25
	v_lshl_add_u32 v1, v1, 10, 0x2000
	v_lshlrev_b32_e32 v0, 7, v0
	v_and_b32_e32 v2, 0x8000, v2
	v_and_b32_e32 v1, 0xfc00, v1
	v_or3_b32 v123, v2, v1, v0
.LBB302_1776:                           ;   in Loop: Header=BB302_10 Depth=1
	s_or_b32 exec_lo, exec_lo, s17
.LBB302_1777:                           ;   in Loop: Header=BB302_10 Depth=1
	s_or_b32 exec_lo, exec_lo, s12
.LBB302_1778:                           ;   in Loop: Header=BB302_10 Depth=1
	s_or_b32 exec_lo, exec_lo, s11
	v_lshrrev_b16 v4, 8, v4
	v_mov_b32_e32 v45, 0
	v_mov_b32_e32 v80, 0
	s_mov_b32 s11, exec_lo
	v_cmpx_ne_u16_e32 0, v4
	s_cbranch_execz .LBB302_1786
; %bb.1779:                             ;   in Loop: Header=BB302_10 Depth=1
	v_bfrev_b32_e32 v80, 1
	s_mov_b32 s12, exec_lo
	v_cmpx_ne_u16_e32 0x80, v4
	s_cbranch_execz .LBB302_1785
; %bb.1780:                             ;   in Loop: Header=BB302_10 Depth=1
	v_mov_b32_e32 v0, 0x7f
	v_mov_b32_e32 v80, 0x7c010000
	s_mov_b32 s17, exec_lo
	v_and_b32_sdwa v2, v4, v0 dst_sel:DWORD dst_unused:UNUSED_PAD src0_sel:WORD_0 src1_sel:DWORD
	v_cmpx_ne_u32_e32 0x7f, v2
	s_cbranch_execz .LBB302_1784
; %bb.1781:                             ;   in Loop: Header=BB302_10 Depth=1
	v_mov_b32_e32 v0, 7
	v_lshrrev_b32_e32 v1, 3, v2
	s_mov_b32 s19, exec_lo
	v_and_b32_sdwa v0, v4, v0 dst_sel:DWORD dst_unused:UNUSED_PAD src0_sel:WORD_0 src1_sel:DWORD
	v_cmpx_gt_u32_e32 8, v2
; %bb.1782:                             ;   in Loop: Header=BB302_10 Depth=1
	v_ffbh_u32_e32 v0, v0
	v_min_u32_e32 v2, 32, v0
	v_subrev_nc_u32_e32 v0, 28, v2
	v_lshlrev_b64 v[0:1], v0, v[4:5]
	v_sub_nc_u32_e32 v1, 29, v2
	v_and_b32_e32 v0, 7, v0
; %bb.1783:                             ;   in Loop: Header=BB302_10 Depth=1
	s_or_b32 exec_lo, exec_lo, s19
	v_mov_b32_e32 v2, 8
	v_lshl_add_u32 v1, v1, 10, 0x2000
	v_lshlrev_b32_e32 v0, 23, v0
	v_lshlrev_b32_sdwa v2, v2, v4 dst_sel:DWORD dst_unused:UNUSED_PAD src0_sel:DWORD src1_sel:WORD_0
	v_and_or_b32 v1, 0x8000, v2, v1
	v_lshl_or_b32 v80, v1, 16, v0
.LBB302_1784:                           ;   in Loop: Header=BB302_10 Depth=1
	s_or_b32 exec_lo, exec_lo, s17
.LBB302_1785:                           ;   in Loop: Header=BB302_10 Depth=1
	s_or_b32 exec_lo, exec_lo, s12
.LBB302_1786:                           ;   in Loop: Header=BB302_10 Depth=1
	s_or_b32 exec_lo, exec_lo, s11
	v_lshrrev_b32_e32 v4, 16, v25
	v_cmp_ne_u16_sdwa s5, v4, v5 src0_sel:BYTE_0 src1_sel:DWORD
	s_and_saveexec_b32 s11, s5
	s_cbranch_execz .LBB302_1794
; %bb.1787:                             ;   in Loop: Header=BB302_10 Depth=1
	v_cmp_ne_u16_sdwa s5, v4, v99 src0_sel:BYTE_0 src1_sel:DWORD
	v_mov_b32_e32 v45, 0x8000
	s_and_saveexec_b32 s12, s5
	s_cbranch_execz .LBB302_1793
; %bb.1788:                             ;   in Loop: Header=BB302_10 Depth=1
	v_bfe_u32 v2, v25, 16, 7
	v_mov_b32_e32 v45, 0x7c01
	s_mov_b32 s17, exec_lo
	v_cmpx_ne_u32_e32 0x7f, v2
	s_cbranch_execz .LBB302_1792
; %bb.1789:                             ;   in Loop: Header=BB302_10 Depth=1
	v_and_b32_e32 v0, 7, v4
	v_lshrrev_b32_e32 v1, 3, v2
	s_mov_b32 s19, exec_lo
	v_cmpx_gt_u32_e32 8, v2
; %bb.1790:                             ;   in Loop: Header=BB302_10 Depth=1
	v_ffbh_u32_e32 v0, v0
	v_min_u32_e32 v2, 32, v0
	v_subrev_nc_u32_e32 v0, 28, v2
	v_lshlrev_b64 v[0:1], v0, v[4:5]
	v_sub_nc_u32_e32 v1, 29, v2
	v_and_b32_e32 v0, 7, v0
; %bb.1791:                             ;   in Loop: Header=BB302_10 Depth=1
	s_or_b32 exec_lo, exec_lo, s19
	v_lshlrev_b32_e32 v2, 8, v4
	v_lshl_add_u32 v1, v1, 10, 0x2000
	v_lshlrev_b32_e32 v0, 7, v0
	v_and_b32_e32 v2, 0x8000, v2
	v_and_b32_e32 v1, 0xfc00, v1
	v_or3_b32 v45, v2, v1, v0
.LBB302_1792:                           ;   in Loop: Header=BB302_10 Depth=1
	s_or_b32 exec_lo, exec_lo, s17
.LBB302_1793:                           ;   in Loop: Header=BB302_10 Depth=1
	s_or_b32 exec_lo, exec_lo, s12
.LBB302_1794:                           ;   in Loop: Header=BB302_10 Depth=1
	s_or_b32 exec_lo, exec_lo, s11
	v_mov_b32_e32 v125, 0
	v_mov_b32_e32 v74, 0
	s_mov_b32 s11, exec_lo
	v_cmpx_lt_u64_e64 s[6:7], v[24:25]
	s_cbranch_execz .LBB302_1802
; %bb.1795:                             ;   in Loop: Header=BB302_10 Depth=1
	v_lshrrev_b32_e32 v4, 24, v25
	v_bfrev_b32_e32 v74, 1
	s_mov_b32 s12, exec_lo
	v_cmpx_ne_u32_e32 0x80, v4
	s_cbranch_execz .LBB302_1801
; %bb.1796:                             ;   in Loop: Header=BB302_10 Depth=1
	v_and_b32_e32 v2, 0x7f, v4
	v_mov_b32_e32 v74, 0x7c010000
	s_mov_b32 s17, exec_lo
	v_cmpx_ne_u32_e32 0x7f, v2
	s_cbranch_execz .LBB302_1800
; %bb.1797:                             ;   in Loop: Header=BB302_10 Depth=1
	v_and_b32_e32 v0, 7, v4
	v_lshrrev_b32_e32 v1, 3, v2
	s_mov_b32 s19, exec_lo
	v_cmpx_gt_u32_e32 8, v2
; %bb.1798:                             ;   in Loop: Header=BB302_10 Depth=1
	v_ffbh_u32_e32 v0, v0
	v_min_u32_e32 v2, 32, v0
	v_subrev_nc_u32_e32 v0, 28, v2
	v_lshlrev_b64 v[0:1], v0, v[4:5]
	v_sub_nc_u32_e32 v1, 29, v2
	v_and_b32_e32 v0, 7, v0
; %bb.1799:                             ;   in Loop: Header=BB302_10 Depth=1
	s_or_b32 exec_lo, exec_lo, s19
	v_lshlrev_b32_e32 v2, 8, v4
	v_lshl_add_u32 v1, v1, 10, 0x2000
	v_lshlrev_b32_e32 v0, 23, v0
	v_and_or_b32 v1, 0x8000, v2, v1
	v_lshl_or_b32 v74, v1, 16, v0
.LBB302_1800:                           ;   in Loop: Header=BB302_10 Depth=1
	s_or_b32 exec_lo, exec_lo, s17
.LBB302_1801:                           ;   in Loop: Header=BB302_10 Depth=1
	s_or_b32 exec_lo, exec_lo, s12
.LBB302_1802:                           ;   in Loop: Header=BB302_10 Depth=1
	s_or_b32 exec_lo, exec_lo, s11
	flat_load_dwordx2 v[24:25], v[16:17] offset:1024
	s_waitcnt vmcnt(0) lgkmcnt(0)
	v_cmp_ne_u16_sdwa s5, v24, v5 src0_sel:BYTE_0 src1_sel:DWORD
	s_and_saveexec_b32 s11, s5
	s_cbranch_execz .LBB302_1810
; %bb.1803:                             ;   in Loop: Header=BB302_10 Depth=1
	v_cmp_ne_u16_sdwa s5, v24, v99 src0_sel:BYTE_0 src1_sel:DWORD
	v_mov_b32_e32 v125, 0x8000
	s_and_saveexec_b32 s12, s5
	s_cbranch_execz .LBB302_1809
; %bb.1804:                             ;   in Loop: Header=BB302_10 Depth=1
	v_and_b32_e32 v2, 0x7f, v24
	v_mov_b32_e32 v125, 0x7c01
	s_mov_b32 s17, exec_lo
	v_cmpx_ne_u32_e32 0x7f, v2
	s_cbranch_execz .LBB302_1808
; %bb.1805:                             ;   in Loop: Header=BB302_10 Depth=1
	v_and_b32_e32 v0, 7, v24
	v_lshrrev_b32_e32 v1, 3, v2
	s_mov_b32 s19, exec_lo
	v_cmpx_gt_u32_e32 8, v2
; %bb.1806:                             ;   in Loop: Header=BB302_10 Depth=1
	v_ffbh_u32_e32 v0, v0
	v_min_u32_e32 v2, 32, v0
	v_subrev_nc_u32_e32 v0, 28, v2
	v_lshlrev_b64 v[0:1], v0, v[24:25]
	v_sub_nc_u32_e32 v1, 29, v2
	v_and_b32_e32 v0, 7, v0
; %bb.1807:                             ;   in Loop: Header=BB302_10 Depth=1
	s_or_b32 exec_lo, exec_lo, s19
	v_lshlrev_b32_e32 v2, 8, v24
	v_lshl_add_u32 v1, v1, 10, 0x2000
	v_lshlrev_b32_e32 v0, 7, v0
	v_and_b32_e32 v2, 0x8000, v2
	v_and_b32_e32 v1, 0xfc00, v1
	v_or3_b32 v125, v2, v1, v0
.LBB302_1808:                           ;   in Loop: Header=BB302_10 Depth=1
	s_or_b32 exec_lo, exec_lo, s17
.LBB302_1809:                           ;   in Loop: Header=BB302_10 Depth=1
	s_or_b32 exec_lo, exec_lo, s12
.LBB302_1810:                           ;   in Loop: Header=BB302_10 Depth=1
	s_or_b32 exec_lo, exec_lo, s11
	v_lshrrev_b16 v4, 8, v24
	v_mov_b32_e32 v33, 0
	v_mov_b32_e32 v53, 0
	s_mov_b32 s11, exec_lo
	v_cmpx_ne_u16_e32 0, v4
	s_cbranch_execz .LBB302_1818
; %bb.1811:                             ;   in Loop: Header=BB302_10 Depth=1
	v_bfrev_b32_e32 v53, 1
	s_mov_b32 s12, exec_lo
	v_cmpx_ne_u16_e32 0x80, v4
	s_cbranch_execz .LBB302_1817
; %bb.1812:                             ;   in Loop: Header=BB302_10 Depth=1
	v_mov_b32_e32 v0, 0x7f
	v_mov_b32_e32 v53, 0x7c010000
	s_mov_b32 s17, exec_lo
	v_and_b32_sdwa v2, v4, v0 dst_sel:DWORD dst_unused:UNUSED_PAD src0_sel:WORD_0 src1_sel:DWORD
	v_cmpx_ne_u32_e32 0x7f, v2
	s_cbranch_execz .LBB302_1816
; %bb.1813:                             ;   in Loop: Header=BB302_10 Depth=1
	v_mov_b32_e32 v0, 7
	v_lshrrev_b32_e32 v1, 3, v2
	s_mov_b32 s19, exec_lo
	v_and_b32_sdwa v0, v4, v0 dst_sel:DWORD dst_unused:UNUSED_PAD src0_sel:WORD_0 src1_sel:DWORD
	v_cmpx_gt_u32_e32 8, v2
; %bb.1814:                             ;   in Loop: Header=BB302_10 Depth=1
	v_ffbh_u32_e32 v0, v0
	v_min_u32_e32 v2, 32, v0
	v_subrev_nc_u32_e32 v0, 28, v2
	v_lshlrev_b64 v[0:1], v0, v[4:5]
	v_sub_nc_u32_e32 v1, 29, v2
	v_and_b32_e32 v0, 7, v0
; %bb.1815:                             ;   in Loop: Header=BB302_10 Depth=1
	s_or_b32 exec_lo, exec_lo, s19
	v_mov_b32_e32 v2, 8
	v_lshl_add_u32 v1, v1, 10, 0x2000
	v_lshlrev_b32_e32 v0, 23, v0
	v_lshlrev_b32_sdwa v2, v2, v4 dst_sel:DWORD dst_unused:UNUSED_PAD src0_sel:DWORD src1_sel:WORD_0
	v_and_or_b32 v1, 0x8000, v2, v1
	v_lshl_or_b32 v53, v1, 16, v0
.LBB302_1816:                           ;   in Loop: Header=BB302_10 Depth=1
	s_or_b32 exec_lo, exec_lo, s17
.LBB302_1817:                           ;   in Loop: Header=BB302_10 Depth=1
	s_or_b32 exec_lo, exec_lo, s12
.LBB302_1818:                           ;   in Loop: Header=BB302_10 Depth=1
	s_or_b32 exec_lo, exec_lo, s11
	v_lshrrev_b32_e32 v4, 16, v24
	v_cmp_ne_u16_sdwa s5, v4, v5 src0_sel:BYTE_0 src1_sel:DWORD
	s_and_saveexec_b32 s11, s5
	s_cbranch_execz .LBB302_1826
; %bb.1819:                             ;   in Loop: Header=BB302_10 Depth=1
	v_cmp_ne_u16_sdwa s5, v4, v99 src0_sel:BYTE_0 src1_sel:DWORD
	v_mov_b32_e32 v33, 0x8000
	s_and_saveexec_b32 s12, s5
	s_cbranch_execz .LBB302_1825
; %bb.1820:                             ;   in Loop: Header=BB302_10 Depth=1
	v_bfe_u32 v2, v24, 16, 7
	v_mov_b32_e32 v33, 0x7c01
	s_mov_b32 s17, exec_lo
	v_cmpx_ne_u32_e32 0x7f, v2
	s_cbranch_execz .LBB302_1824
; %bb.1821:                             ;   in Loop: Header=BB302_10 Depth=1
	v_and_b32_e32 v0, 7, v4
	v_lshrrev_b32_e32 v1, 3, v2
	s_mov_b32 s19, exec_lo
	v_cmpx_gt_u32_e32 8, v2
; %bb.1822:                             ;   in Loop: Header=BB302_10 Depth=1
	v_ffbh_u32_e32 v0, v0
	v_min_u32_e32 v2, 32, v0
	v_subrev_nc_u32_e32 v0, 28, v2
	v_lshlrev_b64 v[0:1], v0, v[4:5]
	v_sub_nc_u32_e32 v1, 29, v2
	v_and_b32_e32 v0, 7, v0
; %bb.1823:                             ;   in Loop: Header=BB302_10 Depth=1
	s_or_b32 exec_lo, exec_lo, s19
	v_lshlrev_b32_e32 v2, 8, v4
	v_lshl_add_u32 v1, v1, 10, 0x2000
	v_lshlrev_b32_e32 v0, 7, v0
	v_and_b32_e32 v2, 0x8000, v2
	v_and_b32_e32 v1, 0xfc00, v1
	v_or3_b32 v33, v2, v1, v0
.LBB302_1824:                           ;   in Loop: Header=BB302_10 Depth=1
	s_or_b32 exec_lo, exec_lo, s17
.LBB302_1825:                           ;   in Loop: Header=BB302_10 Depth=1
	s_or_b32 exec_lo, exec_lo, s12
.LBB302_1826:                           ;   in Loop: Header=BB302_10 Depth=1
	s_or_b32 exec_lo, exec_lo, s11
	v_mov_b32_e32 v8, 0
	v_mov_b32_e32 v86, 0
	s_mov_b32 s11, exec_lo
	v_cmpx_lt_u32_e32 0xffffff, v24
	s_cbranch_execz .LBB302_1834
; %bb.1827:                             ;   in Loop: Header=BB302_10 Depth=1
	v_lshrrev_b32_e32 v4, 24, v24
	v_bfrev_b32_e32 v86, 1
	s_mov_b32 s12, exec_lo
	v_cmpx_ne_u32_e32 0x80, v4
	s_cbranch_execz .LBB302_1833
; %bb.1828:                             ;   in Loop: Header=BB302_10 Depth=1
	v_and_b32_e32 v2, 0x7f, v4
	v_mov_b32_e32 v86, 0x7c010000
	s_mov_b32 s17, exec_lo
	v_cmpx_ne_u32_e32 0x7f, v2
	s_cbranch_execz .LBB302_1832
; %bb.1829:                             ;   in Loop: Header=BB302_10 Depth=1
	v_and_b32_e32 v0, 7, v4
	v_lshrrev_b32_e32 v1, 3, v2
	s_mov_b32 s19, exec_lo
	v_cmpx_gt_u32_e32 8, v2
; %bb.1830:                             ;   in Loop: Header=BB302_10 Depth=1
	v_ffbh_u32_e32 v0, v0
	v_min_u32_e32 v2, 32, v0
	v_subrev_nc_u32_e32 v0, 28, v2
	v_lshlrev_b64 v[0:1], v0, v[4:5]
	v_sub_nc_u32_e32 v1, 29, v2
	v_and_b32_e32 v0, 7, v0
; %bb.1831:                             ;   in Loop: Header=BB302_10 Depth=1
	s_or_b32 exec_lo, exec_lo, s19
	v_lshlrev_b32_e32 v2, 8, v4
	v_lshl_add_u32 v1, v1, 10, 0x2000
	v_lshlrev_b32_e32 v0, 23, v0
	v_and_or_b32 v1, 0x8000, v2, v1
	v_lshl_or_b32 v86, v1, 16, v0
.LBB302_1832:                           ;   in Loop: Header=BB302_10 Depth=1
	s_or_b32 exec_lo, exec_lo, s17
.LBB302_1833:                           ;   in Loop: Header=BB302_10 Depth=1
	s_or_b32 exec_lo, exec_lo, s12
.LBB302_1834:                           ;   in Loop: Header=BB302_10 Depth=1
	s_or_b32 exec_lo, exec_lo, s11
	v_mov_b32_e32 v4, v25
	v_cmp_ne_u16_sdwa s5, v25, v5 src0_sel:BYTE_0 src1_sel:DWORD
	s_and_saveexec_b32 s11, s5
	s_cbranch_execz .LBB302_1842
; %bb.1835:                             ;   in Loop: Header=BB302_10 Depth=1
	v_cmp_ne_u16_sdwa s5, v25, v99 src0_sel:BYTE_0 src1_sel:DWORD
	v_mov_b32_e32 v8, 0x8000
	s_and_saveexec_b32 s12, s5
	s_cbranch_execz .LBB302_1841
; %bb.1836:                             ;   in Loop: Header=BB302_10 Depth=1
	v_and_b32_e32 v2, 0x7f, v25
	v_mov_b32_e32 v8, 0x7c01
	s_mov_b32 s17, exec_lo
	v_cmpx_ne_u32_e32 0x7f, v2
	s_cbranch_execz .LBB302_1840
; %bb.1837:                             ;   in Loop: Header=BB302_10 Depth=1
	v_and_b32_e32 v0, 7, v25
	v_lshrrev_b32_e32 v1, 3, v2
	s_mov_b32 s19, exec_lo
	v_cmpx_gt_u32_e32 8, v2
; %bb.1838:                             ;   in Loop: Header=BB302_10 Depth=1
	v_ffbh_u32_e32 v0, v0
	v_min_u32_e32 v2, 32, v0
	v_subrev_nc_u32_e32 v0, 28, v2
	v_lshlrev_b64 v[0:1], v0, v[4:5]
	v_sub_nc_u32_e32 v1, 29, v2
	v_and_b32_e32 v0, 7, v0
; %bb.1839:                             ;   in Loop: Header=BB302_10 Depth=1
	s_or_b32 exec_lo, exec_lo, s19
	v_lshlrev_b32_e32 v2, 8, v25
	v_lshl_add_u32 v1, v1, 10, 0x2000
	v_lshlrev_b32_e32 v0, 7, v0
	v_and_b32_e32 v2, 0x8000, v2
	v_and_b32_e32 v1, 0xfc00, v1
	v_or3_b32 v8, v2, v1, v0
.LBB302_1840:                           ;   in Loop: Header=BB302_10 Depth=1
	s_or_b32 exec_lo, exec_lo, s17
.LBB302_1841:                           ;   in Loop: Header=BB302_10 Depth=1
	s_or_b32 exec_lo, exec_lo, s12
.LBB302_1842:                           ;   in Loop: Header=BB302_10 Depth=1
	s_or_b32 exec_lo, exec_lo, s11
	v_lshrrev_b16 v4, 8, v4
	v_mov_b32_e32 v7, 0
	v_mov_b32_e32 v91, 0
	s_mov_b32 s11, exec_lo
	v_cmpx_ne_u16_e32 0, v4
	s_cbranch_execz .LBB302_1850
; %bb.1843:                             ;   in Loop: Header=BB302_10 Depth=1
	v_bfrev_b32_e32 v91, 1
	s_mov_b32 s12, exec_lo
	v_cmpx_ne_u16_e32 0x80, v4
	s_cbranch_execz .LBB302_1849
; %bb.1844:                             ;   in Loop: Header=BB302_10 Depth=1
	v_mov_b32_e32 v0, 0x7f
	v_mov_b32_e32 v91, 0x7c010000
	s_mov_b32 s17, exec_lo
	v_and_b32_sdwa v2, v4, v0 dst_sel:DWORD dst_unused:UNUSED_PAD src0_sel:WORD_0 src1_sel:DWORD
	v_cmpx_ne_u32_e32 0x7f, v2
	s_cbranch_execz .LBB302_1848
; %bb.1845:                             ;   in Loop: Header=BB302_10 Depth=1
	v_mov_b32_e32 v0, 7
	v_lshrrev_b32_e32 v1, 3, v2
	s_mov_b32 s19, exec_lo
	v_and_b32_sdwa v0, v4, v0 dst_sel:DWORD dst_unused:UNUSED_PAD src0_sel:WORD_0 src1_sel:DWORD
	v_cmpx_gt_u32_e32 8, v2
; %bb.1846:                             ;   in Loop: Header=BB302_10 Depth=1
	v_ffbh_u32_e32 v0, v0
	v_min_u32_e32 v2, 32, v0
	v_subrev_nc_u32_e32 v0, 28, v2
	v_lshlrev_b64 v[0:1], v0, v[4:5]
	v_sub_nc_u32_e32 v1, 29, v2
	v_and_b32_e32 v0, 7, v0
; %bb.1847:                             ;   in Loop: Header=BB302_10 Depth=1
	s_or_b32 exec_lo, exec_lo, s19
	v_mov_b32_e32 v2, 8
	v_lshl_add_u32 v1, v1, 10, 0x2000
	v_lshlrev_b32_e32 v0, 23, v0
	v_lshlrev_b32_sdwa v2, v2, v4 dst_sel:DWORD dst_unused:UNUSED_PAD src0_sel:DWORD src1_sel:WORD_0
	v_and_or_b32 v1, 0x8000, v2, v1
	v_lshl_or_b32 v91, v1, 16, v0
.LBB302_1848:                           ;   in Loop: Header=BB302_10 Depth=1
	s_or_b32 exec_lo, exec_lo, s17
.LBB302_1849:                           ;   in Loop: Header=BB302_10 Depth=1
	s_or_b32 exec_lo, exec_lo, s12
.LBB302_1850:                           ;   in Loop: Header=BB302_10 Depth=1
	s_or_b32 exec_lo, exec_lo, s11
	v_lshrrev_b32_e32 v4, 16, v25
	v_cmp_ne_u16_sdwa s5, v4, v5 src0_sel:BYTE_0 src1_sel:DWORD
	s_and_saveexec_b32 s11, s5
	s_cbranch_execz .LBB302_1858
; %bb.1851:                             ;   in Loop: Header=BB302_10 Depth=1
	v_cmp_ne_u16_sdwa s5, v4, v99 src0_sel:BYTE_0 src1_sel:DWORD
	v_mov_b32_e32 v7, 0x8000
	s_and_saveexec_b32 s12, s5
	s_cbranch_execz .LBB302_1857
; %bb.1852:                             ;   in Loop: Header=BB302_10 Depth=1
	v_bfe_u32 v2, v25, 16, 7
	v_mov_b32_e32 v7, 0x7c01
	s_mov_b32 s17, exec_lo
	v_cmpx_ne_u32_e32 0x7f, v2
	s_cbranch_execz .LBB302_1856
; %bb.1853:                             ;   in Loop: Header=BB302_10 Depth=1
	v_and_b32_e32 v0, 7, v4
	v_lshrrev_b32_e32 v1, 3, v2
	s_mov_b32 s19, exec_lo
	v_cmpx_gt_u32_e32 8, v2
; %bb.1854:                             ;   in Loop: Header=BB302_10 Depth=1
	v_ffbh_u32_e32 v0, v0
	v_min_u32_e32 v2, 32, v0
	v_subrev_nc_u32_e32 v0, 28, v2
	v_lshlrev_b64 v[0:1], v0, v[4:5]
	v_sub_nc_u32_e32 v1, 29, v2
	v_and_b32_e32 v0, 7, v0
; %bb.1855:                             ;   in Loop: Header=BB302_10 Depth=1
	s_or_b32 exec_lo, exec_lo, s19
	v_lshlrev_b32_e32 v2, 8, v4
	v_lshl_add_u32 v1, v1, 10, 0x2000
	v_lshlrev_b32_e32 v0, 7, v0
	v_and_b32_e32 v2, 0x8000, v2
	v_and_b32_e32 v1, 0xfc00, v1
	v_or3_b32 v7, v2, v1, v0
.LBB302_1856:                           ;   in Loop: Header=BB302_10 Depth=1
	s_or_b32 exec_lo, exec_lo, s17
.LBB302_1857:                           ;   in Loop: Header=BB302_10 Depth=1
	s_or_b32 exec_lo, exec_lo, s12
.LBB302_1858:                           ;   in Loop: Header=BB302_10 Depth=1
	s_or_b32 exec_lo, exec_lo, s11
	v_mov_b32_e32 v2, 0
	v_mov_b32_e32 v114, 0
	s_mov_b32 s11, exec_lo
	v_cmpx_lt_u64_e64 s[6:7], v[24:25]
	s_cbranch_execz .LBB302_1866
; %bb.1859:                             ;   in Loop: Header=BB302_10 Depth=1
	v_lshrrev_b32_e32 v4, 24, v25
	v_bfrev_b32_e32 v114, 1
	s_mov_b32 s12, exec_lo
	v_cmpx_ne_u32_e32 0x80, v4
	s_cbranch_execz .LBB302_1865
; %bb.1860:                             ;   in Loop: Header=BB302_10 Depth=1
	v_and_b32_e32 v11, 0x7f, v4
	v_mov_b32_e32 v114, 0x7c010000
	s_mov_b32 s17, exec_lo
	v_cmpx_ne_u32_e32 0x7f, v11
	s_cbranch_execz .LBB302_1864
; %bb.1861:                             ;   in Loop: Header=BB302_10 Depth=1
	v_and_b32_e32 v0, 7, v4
	v_lshrrev_b32_e32 v1, 3, v11
	s_mov_b32 s19, exec_lo
	v_cmpx_gt_u32_e32 8, v11
; %bb.1862:                             ;   in Loop: Header=BB302_10 Depth=1
	v_ffbh_u32_e32 v0, v0
	v_min_u32_e32 v11, 32, v0
	v_subrev_nc_u32_e32 v0, 28, v11
	v_lshlrev_b64 v[0:1], v0, v[4:5]
	v_sub_nc_u32_e32 v1, 29, v11
	v_and_b32_e32 v0, 7, v0
; %bb.1863:                             ;   in Loop: Header=BB302_10 Depth=1
	s_or_b32 exec_lo, exec_lo, s19
	v_lshlrev_b32_e32 v4, 8, v4
	v_lshl_add_u32 v1, v1, 10, 0x2000
	v_lshlrev_b32_e32 v0, 23, v0
	v_and_or_b32 v1, 0x8000, v4, v1
	v_lshl_or_b32 v114, v1, 16, v0
.LBB302_1864:                           ;   in Loop: Header=BB302_10 Depth=1
	s_or_b32 exec_lo, exec_lo, s17
.LBB302_1865:                           ;   in Loop: Header=BB302_10 Depth=1
	s_or_b32 exec_lo, exec_lo, s12
.LBB302_1866:                           ;   in Loop: Header=BB302_10 Depth=1
	s_or_b32 exec_lo, exec_lo, s11
	flat_load_dwordx2 v[24:25], v[16:17] offset:1032
	s_waitcnt vmcnt(0) lgkmcnt(0)
	v_cmp_ne_u16_sdwa s5, v24, v5 src0_sel:BYTE_0 src1_sel:DWORD
	s_and_saveexec_b32 s11, s5
	s_cbranch_execz .LBB302_1874
; %bb.1867:                             ;   in Loop: Header=BB302_10 Depth=1
	v_cmp_ne_u16_sdwa s5, v24, v99 src0_sel:BYTE_0 src1_sel:DWORD
	v_mov_b32_e32 v2, 0x8000
	s_and_saveexec_b32 s12, s5
	s_cbranch_execz .LBB302_1873
; %bb.1868:                             ;   in Loop: Header=BB302_10 Depth=1
	v_and_b32_e32 v4, 0x7f, v24
	v_mov_b32_e32 v2, 0x7c01
	s_mov_b32 s17, exec_lo
	v_cmpx_ne_u32_e32 0x7f, v4
	s_cbranch_execz .LBB302_1872
; %bb.1869:                             ;   in Loop: Header=BB302_10 Depth=1
	v_and_b32_e32 v0, 7, v24
	v_lshrrev_b32_e32 v1, 3, v4
	s_mov_b32 s19, exec_lo
	v_cmpx_gt_u32_e32 8, v4
; %bb.1870:                             ;   in Loop: Header=BB302_10 Depth=1
	v_ffbh_u32_e32 v0, v0
	v_min_u32_e32 v2, 32, v0
	v_subrev_nc_u32_e32 v0, 28, v2
	v_lshlrev_b64 v[0:1], v0, v[24:25]
	v_sub_nc_u32_e32 v1, 29, v2
	v_and_b32_e32 v0, 7, v0
; %bb.1871:                             ;   in Loop: Header=BB302_10 Depth=1
	s_or_b32 exec_lo, exec_lo, s19
	v_lshlrev_b32_e32 v2, 8, v24
	v_lshl_add_u32 v1, v1, 10, 0x2000
	v_lshlrev_b32_e32 v0, 7, v0
	v_and_b32_e32 v2, 0x8000, v2
	v_and_b32_e32 v1, 0xfc00, v1
	v_or3_b32 v2, v2, v1, v0
.LBB302_1872:                           ;   in Loop: Header=BB302_10 Depth=1
	s_or_b32 exec_lo, exec_lo, s17
.LBB302_1873:                           ;   in Loop: Header=BB302_10 Depth=1
	s_or_b32 exec_lo, exec_lo, s12
.LBB302_1874:                           ;   in Loop: Header=BB302_10 Depth=1
	s_or_b32 exec_lo, exec_lo, s11
	v_lshrrev_b16 v4, 8, v24
	v_mov_b32_e32 v1, 0
	v_mov_b32_e32 v117, 0
	s_mov_b32 s11, exec_lo
	v_cmpx_ne_u16_e32 0, v4
	s_cbranch_execz .LBB302_1882
; %bb.1875:                             ;   in Loop: Header=BB302_10 Depth=1
	v_bfrev_b32_e32 v117, 1
	s_mov_b32 s12, exec_lo
	v_cmpx_ne_u16_e32 0x80, v4
	s_cbranch_execz .LBB302_1881
; %bb.1876:                             ;   in Loop: Header=BB302_10 Depth=1
	v_mov_b32_e32 v0, 0x7f
	v_mov_b32_e32 v117, 0x7c010000
	s_mov_b32 s17, exec_lo
	v_and_b32_sdwa v28, v4, v0 dst_sel:DWORD dst_unused:UNUSED_PAD src0_sel:WORD_0 src1_sel:DWORD
	v_cmpx_ne_u32_e32 0x7f, v28
	s_cbranch_execz .LBB302_1880
; %bb.1877:                             ;   in Loop: Header=BB302_10 Depth=1
	v_mov_b32_e32 v0, 7
	v_lshrrev_b32_e32 v11, 3, v28
	s_mov_b32 s19, exec_lo
	v_and_b32_sdwa v0, v4, v0 dst_sel:DWORD dst_unused:UNUSED_PAD src0_sel:WORD_0 src1_sel:DWORD
	v_cmpx_gt_u32_e32 8, v28
; %bb.1878:                             ;   in Loop: Header=BB302_10 Depth=1
	v_ffbh_u32_e32 v0, v0
	v_min_u32_e32 v0, 32, v0
	v_subrev_nc_u32_e32 v11, 28, v0
	v_lshlrev_b64 v[54:55], v11, v[4:5]
	v_sub_nc_u32_e32 v11, 29, v0
	v_and_b32_e32 v0, 7, v54
; %bb.1879:                             ;   in Loop: Header=BB302_10 Depth=1
	s_or_b32 exec_lo, exec_lo, s19
	v_mov_b32_e32 v21, 8
	v_lshl_add_u32 v11, v11, 10, 0x2000
	v_lshlrev_b32_e32 v0, 23, v0
	v_lshlrev_b32_sdwa v4, v21, v4 dst_sel:DWORD dst_unused:UNUSED_PAD src0_sel:DWORD src1_sel:WORD_0
	v_and_or_b32 v4, 0x8000, v4, v11
	v_lshl_or_b32 v117, v4, 16, v0
.LBB302_1880:                           ;   in Loop: Header=BB302_10 Depth=1
	s_or_b32 exec_lo, exec_lo, s17
.LBB302_1881:                           ;   in Loop: Header=BB302_10 Depth=1
	s_or_b32 exec_lo, exec_lo, s12
.LBB302_1882:                           ;   in Loop: Header=BB302_10 Depth=1
	s_or_b32 exec_lo, exec_lo, s11
	v_lshrrev_b32_e32 v4, 16, v24
	v_cmp_ne_u16_sdwa s5, v4, v5 src0_sel:BYTE_0 src1_sel:DWORD
	s_and_saveexec_b32 s11, s5
	s_cbranch_execz .LBB302_1890
; %bb.1883:                             ;   in Loop: Header=BB302_10 Depth=1
	v_cmp_ne_u16_sdwa s5, v4, v99 src0_sel:BYTE_0 src1_sel:DWORD
	v_mov_b32_e32 v1, 0x8000
	s_and_saveexec_b32 s12, s5
	s_cbranch_execz .LBB302_1889
; %bb.1884:                             ;   in Loop: Header=BB302_10 Depth=1
	v_bfe_u32 v11, v24, 16, 7
	v_mov_b32_e32 v1, 0x7c01
	s_mov_b32 s17, exec_lo
	v_cmpx_ne_u32_e32 0x7f, v11
	s_cbranch_execz .LBB302_1888
; %bb.1885:                             ;   in Loop: Header=BB302_10 Depth=1
	v_and_b32_e32 v0, 7, v4
	v_lshrrev_b32_e32 v1, 3, v11
	s_mov_b32 s19, exec_lo
	v_cmpx_gt_u32_e32 8, v11
; %bb.1886:                             ;   in Loop: Header=BB302_10 Depth=1
	v_ffbh_u32_e32 v0, v0
	v_min_u32_e32 v11, 32, v0
	v_subrev_nc_u32_e32 v0, 28, v11
	v_lshlrev_b64 v[0:1], v0, v[4:5]
	v_sub_nc_u32_e32 v1, 29, v11
	v_and_b32_e32 v0, 7, v0
; %bb.1887:                             ;   in Loop: Header=BB302_10 Depth=1
	s_or_b32 exec_lo, exec_lo, s19
	v_lshlrev_b32_e32 v4, 8, v4
	v_lshl_add_u32 v1, v1, 10, 0x2000
	v_lshlrev_b32_e32 v0, 7, v0
	v_and_b32_e32 v4, 0x8000, v4
	v_and_b32_e32 v1, 0xfc00, v1
	v_or3_b32 v1, v4, v1, v0
.LBB302_1888:                           ;   in Loop: Header=BB302_10 Depth=1
	s_or_b32 exec_lo, exec_lo, s17
.LBB302_1889:                           ;   in Loop: Header=BB302_10 Depth=1
	s_or_b32 exec_lo, exec_lo, s12
.LBB302_1890:                           ;   in Loop: Header=BB302_10 Depth=1
	s_or_b32 exec_lo, exec_lo, s11
	v_mov_b32_e32 v103, 0
	v_mov_b32_e32 v109, 0
	s_mov_b32 s11, exec_lo
	v_cmpx_lt_u32_e32 0xffffff, v24
	s_cbranch_execz .LBB302_1898
; %bb.1891:                             ;   in Loop: Header=BB302_10 Depth=1
	v_lshrrev_b32_e32 v4, 24, v24
	v_bfrev_b32_e32 v109, 1
	s_mov_b32 s12, exec_lo
	v_cmpx_ne_u32_e32 0x80, v4
	s_cbranch_execz .LBB302_1897
; %bb.1892:                             ;   in Loop: Header=BB302_10 Depth=1
	v_and_b32_e32 v28, 0x7f, v4
	v_mov_b32_e32 v109, 0x7c010000
	s_mov_b32 s17, exec_lo
	v_cmpx_ne_u32_e32 0x7f, v28
	s_cbranch_execz .LBB302_1896
; %bb.1893:                             ;   in Loop: Header=BB302_10 Depth=1
	v_and_b32_e32 v0, 7, v4
	v_lshrrev_b32_e32 v11, 3, v28
	s_mov_b32 s19, exec_lo
	v_cmpx_gt_u32_e32 8, v28
; %bb.1894:                             ;   in Loop: Header=BB302_10 Depth=1
	v_ffbh_u32_e32 v0, v0
	v_min_u32_e32 v0, 32, v0
	v_subrev_nc_u32_e32 v11, 28, v0
	v_lshlrev_b64 v[54:55], v11, v[4:5]
	v_sub_nc_u32_e32 v11, 29, v0
	v_and_b32_e32 v0, 7, v54
; %bb.1895:                             ;   in Loop: Header=BB302_10 Depth=1
	s_or_b32 exec_lo, exec_lo, s19
	v_lshlrev_b32_e32 v4, 8, v4
	v_lshl_add_u32 v11, v11, 10, 0x2000
	v_lshlrev_b32_e32 v0, 23, v0
	v_and_or_b32 v4, 0x8000, v4, v11
	v_lshl_or_b32 v109, v4, 16, v0
.LBB302_1896:                           ;   in Loop: Header=BB302_10 Depth=1
	s_or_b32 exec_lo, exec_lo, s17
.LBB302_1897:                           ;   in Loop: Header=BB302_10 Depth=1
	s_or_b32 exec_lo, exec_lo, s12
.LBB302_1898:                           ;   in Loop: Header=BB302_10 Depth=1
	s_or_b32 exec_lo, exec_lo, s11
	v_mov_b32_e32 v4, v25
	v_cmp_ne_u16_sdwa s5, v25, v5 src0_sel:BYTE_0 src1_sel:DWORD
	s_and_saveexec_b32 s11, s5
	s_cbranch_execz .LBB302_1906
; %bb.1899:                             ;   in Loop: Header=BB302_10 Depth=1
	v_cmp_ne_u16_sdwa s5, v25, v99 src0_sel:BYTE_0 src1_sel:DWORD
	v_mov_b32_e32 v103, 0x8000
	s_and_saveexec_b32 s12, s5
	s_cbranch_execz .LBB302_1905
; %bb.1900:                             ;   in Loop: Header=BB302_10 Depth=1
	v_and_b32_e32 v28, 0x7f, v25
	v_mov_b32_e32 v103, 0x7c01
	s_mov_b32 s17, exec_lo
	v_cmpx_ne_u32_e32 0x7f, v28
	s_cbranch_execz .LBB302_1904
; %bb.1901:                             ;   in Loop: Header=BB302_10 Depth=1
	v_and_b32_e32 v0, 7, v25
	v_lshrrev_b32_e32 v11, 3, v28
	s_mov_b32 s19, exec_lo
	v_cmpx_gt_u32_e32 8, v28
; %bb.1902:                             ;   in Loop: Header=BB302_10 Depth=1
	v_ffbh_u32_e32 v0, v0
	v_min_u32_e32 v0, 32, v0
	v_subrev_nc_u32_e32 v11, 28, v0
	v_lshlrev_b64 v[54:55], v11, v[4:5]
	v_sub_nc_u32_e32 v11, 29, v0
	v_and_b32_e32 v0, 7, v54
; %bb.1903:                             ;   in Loop: Header=BB302_10 Depth=1
	s_or_b32 exec_lo, exec_lo, s19
	v_lshlrev_b32_e32 v21, 8, v25
	v_lshl_add_u32 v11, v11, 10, 0x2000
	v_lshlrev_b32_e32 v0, 7, v0
	v_and_b32_e32 v21, 0x8000, v21
	v_and_b32_e32 v11, 0xfc00, v11
	v_or3_b32 v103, v21, v11, v0
.LBB302_1904:                           ;   in Loop: Header=BB302_10 Depth=1
	s_or_b32 exec_lo, exec_lo, s17
.LBB302_1905:                           ;   in Loop: Header=BB302_10 Depth=1
	s_or_b32 exec_lo, exec_lo, s12
.LBB302_1906:                           ;   in Loop: Header=BB302_10 Depth=1
	s_or_b32 exec_lo, exec_lo, s11
	v_lshrrev_b16 v4, 8, v4
	v_mov_b32_e32 v67, 0
	v_mov_b32_e32 v85, 0
	s_mov_b32 s11, exec_lo
	v_cmpx_ne_u16_e32 0, v4
	s_cbranch_execz .LBB302_1914
; %bb.1907:                             ;   in Loop: Header=BB302_10 Depth=1
	v_bfrev_b32_e32 v85, 1
	s_mov_b32 s12, exec_lo
	v_cmpx_ne_u16_e32 0x80, v4
	s_cbranch_execz .LBB302_1913
; %bb.1908:                             ;   in Loop: Header=BB302_10 Depth=1
	v_mov_b32_e32 v0, 0x7f
	v_mov_b32_e32 v85, 0x7c010000
	s_mov_b32 s17, exec_lo
	v_and_b32_sdwa v28, v4, v0 dst_sel:DWORD dst_unused:UNUSED_PAD src0_sel:WORD_0 src1_sel:DWORD
	v_cmpx_ne_u32_e32 0x7f, v28
	s_cbranch_execz .LBB302_1912
; %bb.1909:                             ;   in Loop: Header=BB302_10 Depth=1
	v_mov_b32_e32 v0, 7
	v_lshrrev_b32_e32 v11, 3, v28
	s_mov_b32 s19, exec_lo
	v_and_b32_sdwa v0, v4, v0 dst_sel:DWORD dst_unused:UNUSED_PAD src0_sel:WORD_0 src1_sel:DWORD
	v_cmpx_gt_u32_e32 8, v28
; %bb.1910:                             ;   in Loop: Header=BB302_10 Depth=1
	v_ffbh_u32_e32 v0, v0
	v_min_u32_e32 v0, 32, v0
	v_subrev_nc_u32_e32 v11, 28, v0
	v_lshlrev_b64 v[54:55], v11, v[4:5]
	v_sub_nc_u32_e32 v11, 29, v0
	v_and_b32_e32 v0, 7, v54
; %bb.1911:                             ;   in Loop: Header=BB302_10 Depth=1
	s_or_b32 exec_lo, exec_lo, s19
	v_mov_b32_e32 v21, 8
	v_lshl_add_u32 v11, v11, 10, 0x2000
	v_lshlrev_b32_e32 v0, 23, v0
	v_lshlrev_b32_sdwa v4, v21, v4 dst_sel:DWORD dst_unused:UNUSED_PAD src0_sel:DWORD src1_sel:WORD_0
	v_and_or_b32 v4, 0x8000, v4, v11
	v_lshl_or_b32 v85, v4, 16, v0
.LBB302_1912:                           ;   in Loop: Header=BB302_10 Depth=1
	s_or_b32 exec_lo, exec_lo, s17
.LBB302_1913:                           ;   in Loop: Header=BB302_10 Depth=1
	s_or_b32 exec_lo, exec_lo, s12
.LBB302_1914:                           ;   in Loop: Header=BB302_10 Depth=1
	s_or_b32 exec_lo, exec_lo, s11
	v_lshrrev_b32_e32 v4, 16, v25
	v_cmp_ne_u16_sdwa s5, v4, v5 src0_sel:BYTE_0 src1_sel:DWORD
	s_and_saveexec_b32 s11, s5
	s_cbranch_execz .LBB302_1922
; %bb.1915:                             ;   in Loop: Header=BB302_10 Depth=1
	v_cmp_ne_u16_sdwa s5, v4, v99 src0_sel:BYTE_0 src1_sel:DWORD
	v_mov_b32_e32 v67, 0x8000
	s_and_saveexec_b32 s12, s5
	s_cbranch_execz .LBB302_1921
; %bb.1916:                             ;   in Loop: Header=BB302_10 Depth=1
	v_bfe_u32 v28, v25, 16, 7
	v_mov_b32_e32 v67, 0x7c01
	s_mov_b32 s17, exec_lo
	v_cmpx_ne_u32_e32 0x7f, v28
	s_cbranch_execz .LBB302_1920
; %bb.1917:                             ;   in Loop: Header=BB302_10 Depth=1
	v_and_b32_e32 v0, 7, v4
	v_lshrrev_b32_e32 v11, 3, v28
	s_mov_b32 s19, exec_lo
	v_cmpx_gt_u32_e32 8, v28
; %bb.1918:                             ;   in Loop: Header=BB302_10 Depth=1
	v_ffbh_u32_e32 v0, v0
	v_min_u32_e32 v0, 32, v0
	v_subrev_nc_u32_e32 v11, 28, v0
	v_lshlrev_b64 v[54:55], v11, v[4:5]
	v_sub_nc_u32_e32 v11, 29, v0
	v_and_b32_e32 v0, 7, v54
; %bb.1919:                             ;   in Loop: Header=BB302_10 Depth=1
	s_or_b32 exec_lo, exec_lo, s19
	v_lshlrev_b32_e32 v4, 8, v4
	v_lshl_add_u32 v11, v11, 10, 0x2000
	v_lshlrev_b32_e32 v0, 7, v0
	v_and_b32_e32 v4, 0x8000, v4
	v_and_b32_e32 v11, 0xfc00, v11
	v_or3_b32 v67, v4, v11, v0
.LBB302_1920:                           ;   in Loop: Header=BB302_10 Depth=1
	s_or_b32 exec_lo, exec_lo, s17
.LBB302_1921:                           ;   in Loop: Header=BB302_10 Depth=1
	s_or_b32 exec_lo, exec_lo, s12
.LBB302_1922:                           ;   in Loop: Header=BB302_10 Depth=1
	s_or_b32 exec_lo, exec_lo, s11
	v_mov_b32_e32 v82, 0
	v_mov_b32_e32 v0, 0
	s_mov_b32 s11, exec_lo
	v_cmpx_lt_u64_e64 s[6:7], v[24:25]
	s_cbranch_execz .LBB302_1930
; %bb.1923:                             ;   in Loop: Header=BB302_10 Depth=1
	v_lshrrev_b32_e32 v4, 24, v25
	v_bfrev_b32_e32 v0, 1
	s_mov_b32 s12, exec_lo
	v_cmpx_ne_u32_e32 0x80, v4
	s_cbranch_execz .LBB302_1929
; %bb.1924:                             ;   in Loop: Header=BB302_10 Depth=1
	v_and_b32_e32 v24, 0x7f, v4
	v_mov_b32_e32 v0, 0x7c010000
	s_mov_b32 s17, exec_lo
	v_cmpx_ne_u32_e32 0x7f, v24
	s_cbranch_execz .LBB302_1928
; %bb.1925:                             ;   in Loop: Header=BB302_10 Depth=1
	v_and_b32_e32 v0, 7, v4
	v_lshrrev_b32_e32 v11, 3, v24
	s_mov_b32 s19, exec_lo
	v_cmpx_gt_u32_e32 8, v24
; %bb.1926:                             ;   in Loop: Header=BB302_10 Depth=1
	v_ffbh_u32_e32 v0, v0
	v_min_u32_e32 v0, 32, v0
	v_subrev_nc_u32_e32 v11, 28, v0
	v_lshlrev_b64 v[24:25], v11, v[4:5]
	v_sub_nc_u32_e32 v11, 29, v0
	v_and_b32_e32 v0, 7, v24
; %bb.1927:                             ;   in Loop: Header=BB302_10 Depth=1
	s_or_b32 exec_lo, exec_lo, s19
	v_lshlrev_b32_e32 v4, 8, v4
	v_lshl_add_u32 v11, v11, 10, 0x2000
	v_lshlrev_b32_e32 v0, 23, v0
	v_and_or_b32 v4, 0x8000, v4, v11
	v_lshl_or_b32 v0, v4, 16, v0
.LBB302_1928:                           ;   in Loop: Header=BB302_10 Depth=1
	s_or_b32 exec_lo, exec_lo, s17
.LBB302_1929:                           ;   in Loop: Header=BB302_10 Depth=1
	s_or_b32 exec_lo, exec_lo, s12
.LBB302_1930:                           ;   in Loop: Header=BB302_10 Depth=1
	s_or_b32 exec_lo, exec_lo, s11
	flat_load_dwordx2 v[24:25], v[16:17] offset:1536
	s_waitcnt vmcnt(0) lgkmcnt(0)
	v_cmp_ne_u16_sdwa s5, v24, v5 src0_sel:BYTE_0 src1_sel:DWORD
	s_and_saveexec_b32 s11, s5
	s_cbranch_execz .LBB302_1938
; %bb.1931:                             ;   in Loop: Header=BB302_10 Depth=1
	v_cmp_ne_u16_sdwa s5, v24, v99 src0_sel:BYTE_0 src1_sel:DWORD
	v_mov_b32_e32 v82, 0x8000
	s_and_saveexec_b32 s12, s5
	s_cbranch_execz .LBB302_1937
; %bb.1932:                             ;   in Loop: Header=BB302_10 Depth=1
	v_and_b32_e32 v28, 0x7f, v24
	v_mov_b32_e32 v82, 0x7c01
	s_mov_b32 s17, exec_lo
	v_cmpx_ne_u32_e32 0x7f, v28
	s_cbranch_execz .LBB302_1936
; %bb.1933:                             ;   in Loop: Header=BB302_10 Depth=1
	v_and_b32_e32 v4, 7, v24
	v_lshrrev_b32_e32 v11, 3, v28
	s_mov_b32 s19, exec_lo
	v_cmpx_gt_u32_e32 8, v28
; %bb.1934:                             ;   in Loop: Header=BB302_10 Depth=1
	v_ffbh_u32_e32 v4, v4
	v_min_u32_e32 v4, 32, v4
	v_subrev_nc_u32_e32 v11, 28, v4
	v_lshlrev_b64 v[54:55], v11, v[24:25]
	v_sub_nc_u32_e32 v11, 29, v4
	v_and_b32_e32 v4, 7, v54
; %bb.1935:                             ;   in Loop: Header=BB302_10 Depth=1
	s_or_b32 exec_lo, exec_lo, s19
	v_lshlrev_b32_e32 v21, 8, v24
	v_lshl_add_u32 v11, v11, 10, 0x2000
	v_lshlrev_b32_e32 v4, 7, v4
	v_and_b32_e32 v21, 0x8000, v21
	v_and_b32_e32 v11, 0xfc00, v11
	v_or3_b32 v82, v21, v11, v4
.LBB302_1936:                           ;   in Loop: Header=BB302_10 Depth=1
	s_or_b32 exec_lo, exec_lo, s17
.LBB302_1937:                           ;   in Loop: Header=BB302_10 Depth=1
	s_or_b32 exec_lo, exec_lo, s12
.LBB302_1938:                           ;   in Loop: Header=BB302_10 Depth=1
	s_or_b32 exec_lo, exec_lo, s11
	v_lshrrev_b16 v4, 8, v24
	v_mov_b32_e32 v105, 0
	v_mov_b32_e32 v55, 0
	s_mov_b32 s11, exec_lo
	v_cmpx_ne_u16_e32 0, v4
	s_cbranch_execz .LBB302_1946
; %bb.1939:                             ;   in Loop: Header=BB302_10 Depth=1
	v_bfrev_b32_e32 v55, 1
	s_mov_b32 s12, exec_lo
	v_cmpx_ne_u16_e32 0x80, v4
	s_cbranch_execz .LBB302_1945
; %bb.1940:                             ;   in Loop: Header=BB302_10 Depth=1
	v_mov_b32_e32 v11, 0x7f
	v_mov_b32_e32 v55, 0x7c010000
	s_mov_b32 s17, exec_lo
	v_and_b32_sdwa v30, v4, v11 dst_sel:DWORD dst_unused:UNUSED_PAD src0_sel:WORD_0 src1_sel:DWORD
	v_cmpx_ne_u32_e32 0x7f, v30
	s_cbranch_execz .LBB302_1944
; %bb.1941:                             ;   in Loop: Header=BB302_10 Depth=1
	v_mov_b32_e32 v11, 7
	v_lshrrev_b32_e32 v28, 3, v30
	s_mov_b32 s19, exec_lo
	v_and_b32_sdwa v11, v4, v11 dst_sel:DWORD dst_unused:UNUSED_PAD src0_sel:WORD_0 src1_sel:DWORD
	v_cmpx_gt_u32_e32 8, v30
; %bb.1942:                             ;   in Loop: Header=BB302_10 Depth=1
	v_ffbh_u32_e32 v11, v11
	v_min_u32_e32 v11, 32, v11
	v_subrev_nc_u32_e32 v21, 28, v11
	v_sub_nc_u32_e32 v28, 29, v11
	v_lshlrev_b64 v[54:55], v21, v[4:5]
	v_and_b32_e32 v11, 7, v54
; %bb.1943:                             ;   in Loop: Header=BB302_10 Depth=1
	s_or_b32 exec_lo, exec_lo, s19
	v_mov_b32_e32 v21, 8
	v_lshlrev_b32_e32 v11, 23, v11
	v_lshlrev_b32_sdwa v4, v21, v4 dst_sel:DWORD dst_unused:UNUSED_PAD src0_sel:DWORD src1_sel:WORD_0
	v_lshl_add_u32 v21, v28, 10, 0x2000
	v_and_or_b32 v4, 0x8000, v4, v21
	v_lshl_or_b32 v55, v4, 16, v11
.LBB302_1944:                           ;   in Loop: Header=BB302_10 Depth=1
	s_or_b32 exec_lo, exec_lo, s17
.LBB302_1945:                           ;   in Loop: Header=BB302_10 Depth=1
	s_or_b32 exec_lo, exec_lo, s12
.LBB302_1946:                           ;   in Loop: Header=BB302_10 Depth=1
	s_or_b32 exec_lo, exec_lo, s11
	v_lshrrev_b32_e32 v4, 16, v24
	v_cmp_ne_u16_sdwa s5, v4, v5 src0_sel:BYTE_0 src1_sel:DWORD
	s_and_saveexec_b32 s11, s5
	s_cbranch_execz .LBB302_1954
; %bb.1947:                             ;   in Loop: Header=BB302_10 Depth=1
	v_cmp_ne_u16_sdwa s5, v4, v99 src0_sel:BYTE_0 src1_sel:DWORD
	v_mov_b32_e32 v105, 0x8000
	s_and_saveexec_b32 s12, s5
	s_cbranch_execz .LBB302_1953
; %bb.1948:                             ;   in Loop: Header=BB302_10 Depth=1
	v_bfe_u32 v30, v24, 16, 7
	v_mov_b32_e32 v105, 0x7c01
	s_mov_b32 s17, exec_lo
	v_cmpx_ne_u32_e32 0x7f, v30
	s_cbranch_execz .LBB302_1952
; %bb.1949:                             ;   in Loop: Header=BB302_10 Depth=1
	v_and_b32_e32 v11, 7, v4
	v_lshrrev_b32_e32 v28, 3, v30
	s_mov_b32 s19, exec_lo
	v_cmpx_gt_u32_e32 8, v30
; %bb.1950:                             ;   in Loop: Header=BB302_10 Depth=1
	v_ffbh_u32_e32 v11, v11
	v_min_u32_e32 v11, 32, v11
	v_subrev_nc_u32_e32 v21, 28, v11
	v_sub_nc_u32_e32 v28, 29, v11
	v_lshlrev_b64 v[105:106], v21, v[4:5]
	v_and_b32_e32 v11, 7, v105
; %bb.1951:                             ;   in Loop: Header=BB302_10 Depth=1
	s_or_b32 exec_lo, exec_lo, s19
	v_lshlrev_b32_e32 v4, 8, v4
	v_lshl_add_u32 v21, v28, 10, 0x2000
	v_lshlrev_b32_e32 v11, 7, v11
	v_and_b32_e32 v4, 0x8000, v4
	v_and_b32_e32 v21, 0xfc00, v21
	v_or3_b32 v105, v4, v21, v11
.LBB302_1952:                           ;   in Loop: Header=BB302_10 Depth=1
	s_or_b32 exec_lo, exec_lo, s17
.LBB302_1953:                           ;   in Loop: Header=BB302_10 Depth=1
	s_or_b32 exec_lo, exec_lo, s12
.LBB302_1954:                           ;   in Loop: Header=BB302_10 Depth=1
	s_or_b32 exec_lo, exec_lo, s11
	v_mov_b32_e32 v36, 0
	v_mov_b32_e32 v101, 0
	s_mov_b32 s11, exec_lo
	v_cmpx_lt_u32_e32 0xffffff, v24
	s_cbranch_execz .LBB302_1962
; %bb.1955:                             ;   in Loop: Header=BB302_10 Depth=1
	v_lshrrev_b32_e32 v4, 24, v24
	v_bfrev_b32_e32 v101, 1
	s_mov_b32 s12, exec_lo
	v_cmpx_ne_u32_e32 0x80, v4
	s_cbranch_execz .LBB302_1961
; %bb.1956:                             ;   in Loop: Header=BB302_10 Depth=1
	v_and_b32_e32 v30, 0x7f, v4
	v_mov_b32_e32 v101, 0x7c010000
	s_mov_b32 s17, exec_lo
	v_cmpx_ne_u32_e32 0x7f, v30
	s_cbranch_execz .LBB302_1960
; %bb.1957:                             ;   in Loop: Header=BB302_10 Depth=1
	v_and_b32_e32 v11, 7, v4
	v_lshrrev_b32_e32 v28, 3, v30
	s_mov_b32 s19, exec_lo
	v_cmpx_gt_u32_e32 8, v30
; %bb.1958:                             ;   in Loop: Header=BB302_10 Depth=1
	v_ffbh_u32_e32 v11, v11
	v_min_u32_e32 v11, 32, v11
	v_subrev_nc_u32_e32 v21, 28, v11
	v_sub_nc_u32_e32 v28, 29, v11
	v_lshlrev_b64 v[30:31], v21, v[4:5]
	v_and_b32_e32 v11, 7, v30
; %bb.1959:                             ;   in Loop: Header=BB302_10 Depth=1
	s_or_b32 exec_lo, exec_lo, s19
	v_lshlrev_b32_e32 v4, 8, v4
	v_lshl_add_u32 v21, v28, 10, 0x2000
	v_lshlrev_b32_e32 v11, 23, v11
	v_and_or_b32 v4, 0x8000, v4, v21
	v_lshl_or_b32 v101, v4, 16, v11
.LBB302_1960:                           ;   in Loop: Header=BB302_10 Depth=1
	s_or_b32 exec_lo, exec_lo, s17
.LBB302_1961:                           ;   in Loop: Header=BB302_10 Depth=1
	s_or_b32 exec_lo, exec_lo, s12
.LBB302_1962:                           ;   in Loop: Header=BB302_10 Depth=1
	s_or_b32 exec_lo, exec_lo, s11
	v_mov_b32_e32 v4, v25
	v_cmp_ne_u16_sdwa s5, v25, v5 src0_sel:BYTE_0 src1_sel:DWORD
	s_and_saveexec_b32 s11, s5
	s_cbranch_execz .LBB302_1970
; %bb.1963:                             ;   in Loop: Header=BB302_10 Depth=1
	v_cmp_ne_u16_sdwa s5, v25, v99 src0_sel:BYTE_0 src1_sel:DWORD
	v_mov_b32_e32 v36, 0x8000
	s_and_saveexec_b32 s12, s5
	s_cbranch_execz .LBB302_1969
; %bb.1964:                             ;   in Loop: Header=BB302_10 Depth=1
	v_and_b32_e32 v30, 0x7f, v25
	v_mov_b32_e32 v36, 0x7c01
	s_mov_b32 s17, exec_lo
	v_cmpx_ne_u32_e32 0x7f, v30
	s_cbranch_execz .LBB302_1968
; %bb.1965:                             ;   in Loop: Header=BB302_10 Depth=1
	v_and_b32_e32 v11, 7, v25
	v_lshrrev_b32_e32 v28, 3, v30
	s_mov_b32 s19, exec_lo
	v_cmpx_gt_u32_e32 8, v30
; %bb.1966:                             ;   in Loop: Header=BB302_10 Depth=1
	v_ffbh_u32_e32 v11, v11
	v_min_u32_e32 v11, 32, v11
	v_subrev_nc_u32_e32 v21, 28, v11
	v_sub_nc_u32_e32 v28, 29, v11
	v_lshlrev_b64 v[30:31], v21, v[4:5]
	v_and_b32_e32 v11, 7, v30
; %bb.1967:                             ;   in Loop: Header=BB302_10 Depth=1
	s_or_b32 exec_lo, exec_lo, s19
	v_lshlrev_b32_e32 v21, 8, v25
	v_lshl_add_u32 v22, v28, 10, 0x2000
	v_lshlrev_b32_e32 v11, 7, v11
	v_and_b32_e32 v21, 0x8000, v21
	v_and_b32_e32 v22, 0xfc00, v22
	v_or3_b32 v36, v21, v22, v11
.LBB302_1968:                           ;   in Loop: Header=BB302_10 Depth=1
	s_or_b32 exec_lo, exec_lo, s17
.LBB302_1969:                           ;   in Loop: Header=BB302_10 Depth=1
	s_or_b32 exec_lo, exec_lo, s12
.LBB302_1970:                           ;   in Loop: Header=BB302_10 Depth=1
	s_or_b32 exec_lo, exec_lo, s11
	v_lshrrev_b16 v4, 8, v4
	v_mov_b32_e32 v30, 0
	v_mov_b32_e32 v54, 0
	s_mov_b32 s11, exec_lo
	v_cmpx_ne_u16_e32 0, v4
	s_cbranch_execz .LBB302_1978
; %bb.1971:                             ;   in Loop: Header=BB302_10 Depth=1
	v_bfrev_b32_e32 v54, 1
	s_mov_b32 s12, exec_lo
	v_cmpx_ne_u16_e32 0x80, v4
	s_cbranch_execz .LBB302_1977
; %bb.1972:                             ;   in Loop: Header=BB302_10 Depth=1
	v_mov_b32_e32 v11, 0x7f
	v_mov_b32_e32 v54, 0x7c010000
	s_mov_b32 s17, exec_lo
	v_and_b32_sdwa v58, v4, v11 dst_sel:DWORD dst_unused:UNUSED_PAD src0_sel:WORD_0 src1_sel:DWORD
	v_cmpx_ne_u32_e32 0x7f, v58
	s_cbranch_execz .LBB302_1976
; %bb.1973:                             ;   in Loop: Header=BB302_10 Depth=1
	v_mov_b32_e32 v11, 7
	v_lshrrev_b32_e32 v28, 3, v58
	s_mov_b32 s19, exec_lo
	v_and_b32_sdwa v11, v4, v11 dst_sel:DWORD dst_unused:UNUSED_PAD src0_sel:WORD_0 src1_sel:DWORD
	v_cmpx_gt_u32_e32 8, v58
; %bb.1974:                             ;   in Loop: Header=BB302_10 Depth=1
	v_ffbh_u32_e32 v11, v11
	v_min_u32_e32 v11, 32, v11
	v_subrev_nc_u32_e32 v21, 28, v11
	v_sub_nc_u32_e32 v28, 29, v11
	v_lshlrev_b64 v[21:22], v21, v[4:5]
	v_and_b32_e32 v11, 7, v21
; %bb.1975:                             ;   in Loop: Header=BB302_10 Depth=1
	s_or_b32 exec_lo, exec_lo, s19
	v_mov_b32_e32 v21, 8
	v_lshlrev_b32_e32 v11, 23, v11
	v_lshlrev_b32_sdwa v4, v21, v4 dst_sel:DWORD dst_unused:UNUSED_PAD src0_sel:DWORD src1_sel:WORD_0
	v_lshl_add_u32 v21, v28, 10, 0x2000
	v_and_or_b32 v4, 0x8000, v4, v21
	v_lshl_or_b32 v54, v4, 16, v11
.LBB302_1976:                           ;   in Loop: Header=BB302_10 Depth=1
	s_or_b32 exec_lo, exec_lo, s17
.LBB302_1977:                           ;   in Loop: Header=BB302_10 Depth=1
	s_or_b32 exec_lo, exec_lo, s12
.LBB302_1978:                           ;   in Loop: Header=BB302_10 Depth=1
	s_or_b32 exec_lo, exec_lo, s11
	v_lshrrev_b32_e32 v4, 16, v25
	v_cmp_ne_u16_sdwa s5, v4, v5 src0_sel:BYTE_0 src1_sel:DWORD
	s_and_saveexec_b32 s11, s5
	s_cbranch_execz .LBB302_1986
; %bb.1979:                             ;   in Loop: Header=BB302_10 Depth=1
	v_cmp_ne_u16_sdwa s5, v4, v99 src0_sel:BYTE_0 src1_sel:DWORD
	v_mov_b32_e32 v30, 0x8000
	s_and_saveexec_b32 s12, s5
	s_cbranch_execz .LBB302_1985
; %bb.1980:                             ;   in Loop: Header=BB302_10 Depth=1
	v_bfe_u32 v58, v25, 16, 7
	v_mov_b32_e32 v30, 0x7c01
	s_mov_b32 s17, exec_lo
	v_cmpx_ne_u32_e32 0x7f, v58
	s_cbranch_execz .LBB302_1984
; %bb.1981:                             ;   in Loop: Header=BB302_10 Depth=1
	v_and_b32_e32 v11, 7, v4
	v_lshrrev_b32_e32 v28, 3, v58
	s_mov_b32 s19, exec_lo
	v_cmpx_gt_u32_e32 8, v58
; %bb.1982:                             ;   in Loop: Header=BB302_10 Depth=1
	v_ffbh_u32_e32 v11, v11
	v_min_u32_e32 v11, 32, v11
	v_subrev_nc_u32_e32 v21, 28, v11
	v_sub_nc_u32_e32 v28, 29, v11
	v_lshlrev_b64 v[21:22], v21, v[4:5]
	v_and_b32_e32 v11, 7, v21
; %bb.1983:                             ;   in Loop: Header=BB302_10 Depth=1
	s_or_b32 exec_lo, exec_lo, s19
	v_lshlrev_b32_e32 v4, 8, v4
	v_lshl_add_u32 v21, v28, 10, 0x2000
	v_lshlrev_b32_e32 v11, 7, v11
	v_and_b32_e32 v4, 0x8000, v4
	v_and_b32_e32 v21, 0xfc00, v21
	v_or3_b32 v30, v4, v21, v11
.LBB302_1984:                           ;   in Loop: Header=BB302_10 Depth=1
	s_or_b32 exec_lo, exec_lo, s17
.LBB302_1985:                           ;   in Loop: Header=BB302_10 Depth=1
	s_or_b32 exec_lo, exec_lo, s12
.LBB302_1986:                           ;   in Loop: Header=BB302_10 Depth=1
	s_or_b32 exec_lo, exec_lo, s11
	v_cmp_lt_u64_e64 s5, s[6:7], v[24:25]
	v_mov_b32_e32 v11, 0
	v_mov_b32_e32 v24, 0
	s_and_saveexec_b32 s11, s5
	s_cbranch_execz .LBB302_1994
; %bb.1987:                             ;   in Loop: Header=BB302_10 Depth=1
	v_lshrrev_b32_e32 v4, 24, v25
	v_bfrev_b32_e32 v24, 1
	s_mov_b32 s12, exec_lo
	v_cmpx_ne_u32_e32 0x80, v4
	s_cbranch_execz .LBB302_1993
; %bb.1988:                             ;   in Loop: Header=BB302_10 Depth=1
	v_and_b32_e32 v28, 0x7f, v4
	v_mov_b32_e32 v24, 0x7c010000
	s_mov_b32 s17, exec_lo
	v_cmpx_ne_u32_e32 0x7f, v28
	s_cbranch_execz .LBB302_1992
; %bb.1989:                             ;   in Loop: Header=BB302_10 Depth=1
	v_and_b32_e32 v24, 7, v4
	v_lshrrev_b32_e32 v25, 3, v28
	s_mov_b32 s19, exec_lo
	v_cmpx_gt_u32_e32 8, v28
; %bb.1990:                             ;   in Loop: Header=BB302_10 Depth=1
	v_ffbh_u32_e32 v21, v24
	v_min_u32_e32 v24, 32, v21
	v_subrev_nc_u32_e32 v21, 28, v24
	v_sub_nc_u32_e32 v25, 29, v24
	v_lshlrev_b64 v[21:22], v21, v[4:5]
	v_and_b32_e32 v24, 7, v21
; %bb.1991:                             ;   in Loop: Header=BB302_10 Depth=1
	s_or_b32 exec_lo, exec_lo, s19
	v_lshlrev_b32_e32 v4, 8, v4
	v_lshl_add_u32 v21, v25, 10, 0x2000
	v_and_or_b32 v4, 0x8000, v4, v21
	v_lshlrev_b32_e32 v21, 23, v24
	v_lshl_or_b32 v24, v4, 16, v21
.LBB302_1992:                           ;   in Loop: Header=BB302_10 Depth=1
	s_or_b32 exec_lo, exec_lo, s17
.LBB302_1993:                           ;   in Loop: Header=BB302_10 Depth=1
	s_or_b32 exec_lo, exec_lo, s12
.LBB302_1994:                           ;   in Loop: Header=BB302_10 Depth=1
	s_or_b32 exec_lo, exec_lo, s11
	flat_load_dwordx2 v[16:17], v[16:17] offset:1544
	s_waitcnt vmcnt(0) lgkmcnt(0)
	v_cmp_ne_u16_sdwa s5, v16, v5 src0_sel:BYTE_0 src1_sel:DWORD
	s_and_saveexec_b32 s11, s5
	s_cbranch_execz .LBB302_2002
; %bb.1995:                             ;   in Loop: Header=BB302_10 Depth=1
	v_cmp_ne_u16_sdwa s5, v16, v99 src0_sel:BYTE_0 src1_sel:DWORD
	v_mov_b32_e32 v11, 0x8000
	s_and_saveexec_b32 s12, s5
	s_cbranch_execz .LBB302_2001
; %bb.1996:                             ;   in Loop: Header=BB302_10 Depth=1
	v_and_b32_e32 v25, 0x7f, v16
	v_mov_b32_e32 v11, 0x7c01
	s_mov_b32 s17, exec_lo
	v_cmpx_ne_u32_e32 0x7f, v25
	s_cbranch_execz .LBB302_2000
; %bb.1997:                             ;   in Loop: Header=BB302_10 Depth=1
	v_and_b32_e32 v4, 7, v16
	v_lshrrev_b32_e32 v11, 3, v25
	s_mov_b32 s19, exec_lo
	v_cmpx_gt_u32_e32 8, v25
; %bb.1998:                             ;   in Loop: Header=BB302_10 Depth=1
	v_ffbh_u32_e32 v4, v4
	v_min_u32_e32 v4, 32, v4
	v_subrev_nc_u32_e32 v11, 28, v4
	v_lshlrev_b64 v[21:22], v11, v[16:17]
	v_sub_nc_u32_e32 v11, 29, v4
	v_and_b32_e32 v4, 7, v21
; %bb.1999:                             ;   in Loop: Header=BB302_10 Depth=1
	s_or_b32 exec_lo, exec_lo, s19
	v_lshlrev_b32_e32 v21, 8, v16
	v_lshl_add_u32 v11, v11, 10, 0x2000
	v_lshlrev_b32_e32 v4, 7, v4
	v_and_b32_e32 v21, 0x8000, v21
	v_and_b32_e32 v11, 0xfc00, v11
	v_or3_b32 v11, v21, v11, v4
.LBB302_2000:                           ;   in Loop: Header=BB302_10 Depth=1
	s_or_b32 exec_lo, exec_lo, s17
.LBB302_2001:                           ;   in Loop: Header=BB302_10 Depth=1
	s_or_b32 exec_lo, exec_lo, s12
.LBB302_2002:                           ;   in Loop: Header=BB302_10 Depth=1
	s_or_b32 exec_lo, exec_lo, s11
	v_lshrrev_b16 v4, 8, v16
	v_mov_b32_e32 v28, 0
	v_mov_b32_e32 v58, 0
	s_mov_b32 s11, exec_lo
	v_cmpx_ne_u16_e32 0, v4
	s_cbranch_execz .LBB302_2010
; %bb.2003:                             ;   in Loop: Header=BB302_10 Depth=1
	v_bfrev_b32_e32 v58, 1
	s_mov_b32 s12, exec_lo
	v_cmpx_ne_u16_e32 0x80, v4
	s_cbranch_execz .LBB302_2009
; %bb.2004:                             ;   in Loop: Header=BB302_10 Depth=1
	v_mov_b32_e32 v21, 0x7f
	v_mov_b32_e32 v58, 0x7c010000
	s_mov_b32 s17, exec_lo
	v_and_b32_sdwa v63, v4, v21 dst_sel:DWORD dst_unused:UNUSED_PAD src0_sel:WORD_0 src1_sel:DWORD
	v_cmpx_ne_u32_e32 0x7f, v63
	s_cbranch_execz .LBB302_2008
; %bb.2005:                             ;   in Loop: Header=BB302_10 Depth=1
	v_mov_b32_e32 v21, 7
	v_lshrrev_b32_e32 v58, 3, v63
	s_mov_b32 s19, exec_lo
	v_and_b32_sdwa v25, v4, v21 dst_sel:DWORD dst_unused:UNUSED_PAD src0_sel:WORD_0 src1_sel:DWORD
	v_cmpx_gt_u32_e32 8, v63
; %bb.2006:                             ;   in Loop: Header=BB302_10 Depth=1
	v_ffbh_u32_e32 v21, v25
	v_min_u32_e32 v25, 32, v21
	v_subrev_nc_u32_e32 v21, 28, v25
	v_sub_nc_u32_e32 v58, 29, v25
	v_lshlrev_b64 v[21:22], v21, v[4:5]
	v_and_b32_e32 v25, 7, v21
; %bb.2007:                             ;   in Loop: Header=BB302_10 Depth=1
	s_or_b32 exec_lo, exec_lo, s19
	v_mov_b32_e32 v21, 8
	v_lshlrev_b32_sdwa v4, v21, v4 dst_sel:DWORD dst_unused:UNUSED_PAD src0_sel:DWORD src1_sel:WORD_0
	v_lshl_add_u32 v21, v58, 10, 0x2000
	v_and_or_b32 v4, 0x8000, v4, v21
	v_lshlrev_b32_e32 v21, 23, v25
	v_lshl_or_b32 v58, v4, 16, v21
.LBB302_2008:                           ;   in Loop: Header=BB302_10 Depth=1
	s_or_b32 exec_lo, exec_lo, s17
.LBB302_2009:                           ;   in Loop: Header=BB302_10 Depth=1
	s_or_b32 exec_lo, exec_lo, s12
.LBB302_2010:                           ;   in Loop: Header=BB302_10 Depth=1
	s_or_b32 exec_lo, exec_lo, s11
	v_lshrrev_b32_e32 v4, 16, v16
	v_cmp_ne_u16_sdwa s5, v4, v5 src0_sel:BYTE_0 src1_sel:DWORD
	s_and_saveexec_b32 s11, s5
	s_cbranch_execz .LBB302_2018
; %bb.2011:                             ;   in Loop: Header=BB302_10 Depth=1
	v_cmp_ne_u16_sdwa s5, v4, v99 src0_sel:BYTE_0 src1_sel:DWORD
	v_mov_b32_e32 v28, 0x8000
	s_and_saveexec_b32 s12, s5
	s_cbranch_execz .LBB302_2017
; %bb.2012:                             ;   in Loop: Header=BB302_10 Depth=1
	v_bfe_u32 v63, v16, 16, 7
	v_mov_b32_e32 v28, 0x7c01
	s_mov_b32 s17, exec_lo
	v_cmpx_ne_u32_e32 0x7f, v63
	s_cbranch_execz .LBB302_2016
; %bb.2013:                             ;   in Loop: Header=BB302_10 Depth=1
	v_and_b32_e32 v25, 7, v4
	v_lshrrev_b32_e32 v28, 3, v63
	s_mov_b32 s19, exec_lo
	v_cmpx_gt_u32_e32 8, v63
; %bb.2014:                             ;   in Loop: Header=BB302_10 Depth=1
	v_ffbh_u32_e32 v21, v25
	v_min_u32_e32 v25, 32, v21
	v_subrev_nc_u32_e32 v21, 28, v25
	v_sub_nc_u32_e32 v28, 29, v25
	v_lshlrev_b64 v[21:22], v21, v[4:5]
	v_and_b32_e32 v25, 7, v21
; %bb.2015:                             ;   in Loop: Header=BB302_10 Depth=1
	s_or_b32 exec_lo, exec_lo, s19
	v_lshlrev_b32_e32 v4, 8, v4
	v_lshl_add_u32 v21, v28, 10, 0x2000
	v_lshlrev_b32_e32 v22, 7, v25
	v_and_b32_e32 v4, 0x8000, v4
	v_and_b32_e32 v21, 0xfc00, v21
	v_or3_b32 v28, v4, v21, v22
.LBB302_2016:                           ;   in Loop: Header=BB302_10 Depth=1
	s_or_b32 exec_lo, exec_lo, s17
.LBB302_2017:                           ;   in Loop: Header=BB302_10 Depth=1
	s_or_b32 exec_lo, exec_lo, s12
.LBB302_2018:                           ;   in Loop: Header=BB302_10 Depth=1
	s_or_b32 exec_lo, exec_lo, s11
	v_mov_b32_e32 v106, 0
	v_mov_b32_e32 v95, 0
	s_mov_b32 s11, exec_lo
	v_cmpx_lt_u32_e32 0xffffff, v16
	s_cbranch_execz .LBB302_2026
; %bb.2019:                             ;   in Loop: Header=BB302_10 Depth=1
	v_lshrrev_b32_e32 v4, 24, v16
	v_bfrev_b32_e32 v95, 1
	s_mov_b32 s12, exec_lo
	v_cmpx_ne_u32_e32 0x80, v4
	s_cbranch_execz .LBB302_2025
; %bb.2020:                             ;   in Loop: Header=BB302_10 Depth=1
	v_and_b32_e32 v72, 0x7f, v4
	v_mov_b32_e32 v95, 0x7c010000
	s_mov_b32 s17, exec_lo
	v_cmpx_ne_u32_e32 0x7f, v72
	s_cbranch_execz .LBB302_2024
; %bb.2021:                             ;   in Loop: Header=BB302_10 Depth=1
	v_and_b32_e32 v25, 7, v4
	v_lshrrev_b32_e32 v63, 3, v72
	s_mov_b32 s19, exec_lo
	v_cmpx_gt_u32_e32 8, v72
; %bb.2022:                             ;   in Loop: Header=BB302_10 Depth=1
	v_ffbh_u32_e32 v21, v25
	v_min_u32_e32 v25, 32, v21
	v_subrev_nc_u32_e32 v21, 28, v25
	v_sub_nc_u32_e32 v63, 29, v25
	v_lshlrev_b64 v[21:22], v21, v[4:5]
	v_and_b32_e32 v25, 7, v21
; %bb.2023:                             ;   in Loop: Header=BB302_10 Depth=1
	s_or_b32 exec_lo, exec_lo, s19
	v_lshlrev_b32_e32 v4, 8, v4
	v_lshl_add_u32 v21, v63, 10, 0x2000
	v_and_or_b32 v4, 0x8000, v4, v21
	v_lshlrev_b32_e32 v21, 23, v25
	v_lshl_or_b32 v95, v4, 16, v21
.LBB302_2024:                           ;   in Loop: Header=BB302_10 Depth=1
	s_or_b32 exec_lo, exec_lo, s17
.LBB302_2025:                           ;   in Loop: Header=BB302_10 Depth=1
	s_or_b32 exec_lo, exec_lo, s12
.LBB302_2026:                           ;   in Loop: Header=BB302_10 Depth=1
	s_or_b32 exec_lo, exec_lo, s11
	v_mov_b32_e32 v4, v17
	v_cmp_ne_u16_sdwa s5, v17, v5 src0_sel:BYTE_0 src1_sel:DWORD
	s_and_saveexec_b32 s11, s5
	s_cbranch_execz .LBB302_2034
; %bb.2027:                             ;   in Loop: Header=BB302_10 Depth=1
	v_cmp_ne_u16_sdwa s5, v17, v99 src0_sel:BYTE_0 src1_sel:DWORD
	v_mov_b32_e32 v106, 0x8000
	s_and_saveexec_b32 s12, s5
	s_cbranch_execz .LBB302_2033
; %bb.2028:                             ;   in Loop: Header=BB302_10 Depth=1
	v_and_b32_e32 v72, 0x7f, v17
	v_mov_b32_e32 v106, 0x7c01
	s_mov_b32 s17, exec_lo
	v_cmpx_ne_u32_e32 0x7f, v72
	s_cbranch_execz .LBB302_2032
; %bb.2029:                             ;   in Loop: Header=BB302_10 Depth=1
	v_and_b32_e32 v25, 7, v17
	v_lshrrev_b32_e32 v63, 3, v72
	s_mov_b32 s19, exec_lo
	v_cmpx_gt_u32_e32 8, v72
; %bb.2030:                             ;   in Loop: Header=BB302_10 Depth=1
	v_ffbh_u32_e32 v21, v25
	v_min_u32_e32 v25, 32, v21
	v_subrev_nc_u32_e32 v21, 28, v25
	v_sub_nc_u32_e32 v63, 29, v25
	v_lshlrev_b64 v[21:22], v21, v[4:5]
	v_and_b32_e32 v25, 7, v21
; %bb.2031:                             ;   in Loop: Header=BB302_10 Depth=1
	s_or_b32 exec_lo, exec_lo, s19
	v_lshlrev_b32_e32 v21, 8, v17
	v_lshl_add_u32 v22, v63, 10, 0x2000
	v_lshlrev_b32_e32 v25, 7, v25
	v_and_b32_e32 v21, 0x8000, v21
	v_and_b32_e32 v22, 0xfc00, v22
	v_or3_b32 v106, v21, v22, v25
.LBB302_2032:                           ;   in Loop: Header=BB302_10 Depth=1
	s_or_b32 exec_lo, exec_lo, s17
.LBB302_2033:                           ;   in Loop: Header=BB302_10 Depth=1
	s_or_b32 exec_lo, exec_lo, s12
.LBB302_2034:                           ;   in Loop: Header=BB302_10 Depth=1
	s_or_b32 exec_lo, exec_lo, s11
	v_lshrrev_b16 v4, 8, v4
	v_mov_b32_e32 v93, 0
	v_mov_b32_e32 v63, 0
	s_mov_b32 s11, exec_lo
	v_cmpx_ne_u16_e32 0, v4
	s_cbranch_execz .LBB302_2042
; %bb.2035:                             ;   in Loop: Header=BB302_10 Depth=1
	v_bfrev_b32_e32 v63, 1
	s_mov_b32 s12, exec_lo
	v_cmpx_ne_u16_e32 0x80, v4
	s_cbranch_execz .LBB302_2041
; %bb.2036:                             ;   in Loop: Header=BB302_10 Depth=1
	v_mov_b32_e32 v21, 0x7f
	v_mov_b32_e32 v63, 0x7c010000
	s_mov_b32 s17, exec_lo
	v_and_b32_sdwa v72, v4, v21 dst_sel:DWORD dst_unused:UNUSED_PAD src0_sel:WORD_0 src1_sel:DWORD
	v_cmpx_ne_u32_e32 0x7f, v72
	s_cbranch_execz .LBB302_2040
; %bb.2037:                             ;   in Loop: Header=BB302_10 Depth=1
	v_mov_b32_e32 v21, 7
	v_lshrrev_b32_e32 v63, 3, v72
	s_mov_b32 s19, exec_lo
	v_and_b32_sdwa v25, v4, v21 dst_sel:DWORD dst_unused:UNUSED_PAD src0_sel:WORD_0 src1_sel:DWORD
	v_cmpx_gt_u32_e32 8, v72
; %bb.2038:                             ;   in Loop: Header=BB302_10 Depth=1
	v_ffbh_u32_e32 v21, v25
	v_min_u32_e32 v25, 32, v21
	v_subrev_nc_u32_e32 v21, 28, v25
	v_sub_nc_u32_e32 v63, 29, v25
	v_lshlrev_b64 v[21:22], v21, v[4:5]
	v_and_b32_e32 v25, 7, v21
; %bb.2039:                             ;   in Loop: Header=BB302_10 Depth=1
	s_or_b32 exec_lo, exec_lo, s19
	v_mov_b32_e32 v21, 8
	v_lshlrev_b32_sdwa v4, v21, v4 dst_sel:DWORD dst_unused:UNUSED_PAD src0_sel:DWORD src1_sel:WORD_0
	v_lshl_add_u32 v21, v63, 10, 0x2000
	v_and_or_b32 v4, 0x8000, v4, v21
	v_lshlrev_b32_e32 v21, 23, v25
	v_lshl_or_b32 v63, v4, 16, v21
.LBB302_2040:                           ;   in Loop: Header=BB302_10 Depth=1
	s_or_b32 exec_lo, exec_lo, s17
.LBB302_2041:                           ;   in Loop: Header=BB302_10 Depth=1
	s_or_b32 exec_lo, exec_lo, s12
.LBB302_2042:                           ;   in Loop: Header=BB302_10 Depth=1
	s_or_b32 exec_lo, exec_lo, s11
	v_lshrrev_b32_e32 v4, 16, v17
	v_cmp_ne_u16_sdwa s5, v4, v5 src0_sel:BYTE_0 src1_sel:DWORD
	s_and_saveexec_b32 s11, s5
	s_cbranch_execz .LBB302_2050
; %bb.2043:                             ;   in Loop: Header=BB302_10 Depth=1
	v_cmp_ne_u16_sdwa s5, v4, v99 src0_sel:BYTE_0 src1_sel:DWORD
	v_mov_b32_e32 v93, 0x8000
	s_and_saveexec_b32 s12, s5
	s_cbranch_execz .LBB302_2049
; %bb.2044:                             ;   in Loop: Header=BB302_10 Depth=1
	v_mov_b32_e32 v31, v79
	v_bfe_u32 v79, v17, 16, 7
	v_mov_b32_e32 v93, 0x7c01
	s_mov_b32 s17, exec_lo
	v_cmpx_ne_u32_e32 0x7f, v79
	s_cbranch_execz .LBB302_2048
; %bb.2045:                             ;   in Loop: Header=BB302_10 Depth=1
	v_and_b32_e32 v25, 7, v4
	v_lshrrev_b32_e32 v72, 3, v79
	s_mov_b32 s19, exec_lo
	v_cmpx_gt_u32_e32 8, v79
; %bb.2046:                             ;   in Loop: Header=BB302_10 Depth=1
	v_ffbh_u32_e32 v21, v25
	v_min_u32_e32 v25, 32, v21
	v_subrev_nc_u32_e32 v21, 28, v25
	v_sub_nc_u32_e32 v72, 29, v25
	v_lshlrev_b64 v[21:22], v21, v[4:5]
	v_and_b32_e32 v25, 7, v21
; %bb.2047:                             ;   in Loop: Header=BB302_10 Depth=1
	s_or_b32 exec_lo, exec_lo, s19
	v_lshlrev_b32_e32 v4, 8, v4
	v_lshl_add_u32 v21, v72, 10, 0x2000
	v_lshlrev_b32_e32 v22, 7, v25
	v_and_b32_e32 v4, 0x8000, v4
	v_and_b32_e32 v21, 0xfc00, v21
	v_or3_b32 v93, v4, v21, v22
.LBB302_2048:                           ;   in Loop: Header=BB302_10 Depth=1
	s_or_b32 exec_lo, exec_lo, s17
	v_mov_b32_e32 v79, v31
.LBB302_2049:                           ;   in Loop: Header=BB302_10 Depth=1
	s_or_b32 exec_lo, exec_lo, s12
.LBB302_2050:                           ;   in Loop: Header=BB302_10 Depth=1
	s_or_b32 exec_lo, exec_lo, s11
	v_mov_b32_e32 v122, 0
	v_cmp_lt_u64_e64 s5, s[6:7], v[16:17]
	s_mov_b32 s11, exec_lo
	s_clause 0x1
	buffer_load_dword v88, off, s[0:3], s32 offset:720
	buffer_load_dword v4, off, s[0:3], s32 offset:200
	s_and_b32 s5, s11, s5
	s_mov_b32 exec_lo, s5
	s_cbranch_execz .LBB302_9
; %bb.2051:                             ;   in Loop: Header=BB302_10 Depth=1
	s_waitcnt vmcnt(0)
	v_lshrrev_b32_e32 v4, 24, v17
	v_bfrev_b32_e32 v122, 1
	s_mov_b32 s12, exec_lo
	v_cmpx_ne_u32_e32 0x80, v4
	s_cbranch_execz .LBB302_8
; %bb.2052:                             ;   in Loop: Header=BB302_10 Depth=1
	v_and_b32_e32 v25, 0x7f, v4
	v_mov_b32_e32 v122, 0x7c010000
	s_mov_b32 s17, exec_lo
	v_cmpx_ne_u32_e32 0x7f, v25
	s_cbranch_execz .LBB302_7
; %bb.2053:                             ;   in Loop: Header=BB302_10 Depth=1
	v_and_b32_e32 v16, 7, v4
	v_lshrrev_b32_e32 v17, 3, v25
	s_mov_b32 s19, exec_lo
	v_cmpx_gt_u32_e32 8, v25
	s_cbranch_execz .LBB302_6
; %bb.2054:                             ;   in Loop: Header=BB302_10 Depth=1
	v_ffbh_u32_e32 v16, v16
	v_min_u32_e32 v21, 32, v16
	v_subrev_nc_u32_e32 v16, 28, v21
	v_lshlrev_b64 v[16:17], v16, v[4:5]
	v_sub_nc_u32_e32 v17, 29, v21
	v_and_b32_e32 v16, 7, v16
	s_branch .LBB302_6
.LBB302_2055:
	s_or_b32 exec_lo, exec_lo, s9
	s_clause 0x9
	buffer_load_dword v11, off, s[0:3], s32 offset:1280
	buffer_load_dword v10, off, s[0:3], s32 offset:1284
	;; [unrolled: 1-line block ×10, first 2 shown]
.LBB302_2056:
	s_or_b32 exec_lo, exec_lo, s8
	v_mbcnt_lo_u32_b32 v0, -1, 0
	v_max_f32_e32 v4, v8, v8
	s_lshr_b32 s17, s10, 16
	v_xor_b32_e32 v1, 16, v0
	v_xor_b32_e32 v3, 8, v0
	v_cmp_gt_i32_e32 vcc_lo, 32, v1
	v_cndmask_b32_e32 v1, v0, v1, vcc_lo
	v_cmp_gt_i32_e32 vcc_lo, 32, v3
	v_lshlrev_b32_e32 v1, 2, v1
	v_cndmask_b32_e32 v3, v0, v3, vcc_lo
	ds_bpermute_b32 v2, v1, v8
	s_waitcnt lgkmcnt(0)
	v_max_f32_e32 v5, v2, v2
	v_lshlrev_b32_e32 v2, 2, v3
	v_max_f32_e32 v4, v4, v5
	v_xor_b32_e32 v5, 4, v0
	ds_bpermute_b32 v3, v2, v4
	v_cmp_gt_i32_e32 vcc_lo, 32, v5
	v_cndmask_b32_e32 v5, v0, v5, vcc_lo
	s_waitcnt lgkmcnt(0)
	v_max_f32_e32 v6, v3, v3
	v_lshlrev_b32_e32 v3, 2, v5
	v_max_f32_e32 v4, v4, v6
	v_xor_b32_e32 v6, 2, v0
	ds_bpermute_b32 v5, v3, v4
	v_cmp_gt_i32_e32 vcc_lo, 32, v6
	v_cndmask_b32_e32 v6, v0, v6, vcc_lo
	v_lshlrev_b32_e32 v17, 2, v6
	v_xor_b32_e32 v6, 1, v0
	v_cmp_gt_i32_e32 vcc_lo, 32, v6
	s_waitcnt lgkmcnt(0)
	v_max_f32_e32 v5, v5, v5
	v_cndmask_b32_e32 v6, v0, v6, vcc_lo
	v_max_f32_e32 v4, v4, v5
	v_lshlrev_b32_e32 v16, 2, v6
	ds_bpermute_b32 v5, v17, v4
	s_waitcnt lgkmcnt(0)
	v_max_f32_e32 v5, v5, v5
	v_max_f32_e32 v0, v4, v5
	buffer_load_dword v4, off, s[0:3], s32 offset:1264 ; 4-byte Folded Reload
	ds_bpermute_b32 v5, v16, v0
	s_waitcnt vmcnt(0)
	v_cmp_eq_u32_e32 vcc_lo, 0, v4
	buffer_load_dword v4, off, s[0:3], s32 offset:1268 ; 4-byte Folded Reload
	s_waitcnt vmcnt(0)
	v_lshlrev_b32_e32 v4, 2, v4
	s_and_saveexec_b32 s5, vcc_lo
	s_cbranch_execz .LBB302_2058
; %bb.2057:
	s_waitcnt lgkmcnt(0)
	v_max_f32_e32 v5, v5, v5
	v_max_f32_e32 v0, v0, v0
	;; [unrolled: 1-line block ×3, first 2 shown]
	ds_write_b32 v4, v0 offset:512
.LBB302_2058:
	s_or_b32 exec_lo, exec_lo, s5
	buffer_load_dword v0, off, s[0:3], s32 offset:1264 ; 4-byte Folded Reload
	s_waitcnt vmcnt(0) lgkmcnt(0)
	s_waitcnt_vscnt null, 0x0
	s_barrier
	buffer_gl0_inv
	v_cmp_gt_u32_e64 s5, 4, v0
	v_mov_b32_e32 v0, 0xff7fffff
	s_and_saveexec_b32 s6, s5
; %bb.2059:
	ds_read_b32 v0, v20 offset:512
; %bb.2060:
	s_or_b32 exec_lo, exec_lo, s6
	s_waitcnt lgkmcnt(0)
	ds_bpermute_b32 v5, v17, v0
	v_max_f32_e32 v0, v0, v0
	v_mov_b32_e32 v6, 0
	buffer_load_dword v7, off, s[0:3], s32 offset:776 ; 4-byte Folded Reload
	s_waitcnt lgkmcnt(0)
	v_max_f32_e32 v5, v5, v5
	v_max_f32_e32 v0, v0, v5
	ds_bpermute_b32 v5, v16, v0
	s_waitcnt lgkmcnt(0)
	v_max_f32_e32 v5, v5, v5
	v_max_f32_e32 v0, v0, v5
	ds_bpermute_b32 v5, v6, v0
	buffer_load_dword v0, off, s[0:3], s32 offset:204 ; 4-byte Folded Reload
	s_waitcnt vmcnt(0)
	v_lshlrev_b32_e32 v0, 5, v0
	v_min_i32_e32 v0, v0, v7
	buffer_load_dword v7, off, s[0:3], s32 offset:1260 ; 4-byte Folded Reload
	s_waitcnt vmcnt(0)
	v_cmp_lt_i32_e64 s6, v7, v0
	s_and_saveexec_b32 s8, s6
	s_cbranch_execz .LBB302_2064
; %bb.2061:
	buffer_load_dword v8, off, s[0:3], s32 offset:1260 ; 4-byte Folded Reload
	s_getpc_b64 s[10:11]
	s_add_u32 s10, s10, llvm.amdgcn.dynlds.offset.table@rel32@lo+4
	s_addc_u32 s11, s11, llvm.amdgcn.dynlds.offset.table@rel32@hi+12
	s_ashr_i32 s21, s20, 31
	v_mov_b32_e32 v6, 0
	s_lshl_b64 s[22:23], s[20:21], 2
	s_mov_b32 s9, 0
	s_add_u32 s10, s10, s22
	s_addc_u32 s11, s11, s23
	s_load_dword s7, s[10:11], 0x0
	s_waitcnt vmcnt(0) lgkmcnt(0)
	v_lshl_add_u32 v7, v8, 2, s7
	.p2align	6
.LBB302_2062:                           ; =>This Inner Loop Header: Depth=1
	ds_read_b32 v9, v7
	v_add_nc_u32_e32 v8, 0x80, v8
	v_cmp_ge_i32_e64 s7, v8, v0
	s_or_b32 s9, s7, s9
	s_waitcnt lgkmcnt(0)
	v_sub_f32_e32 v9, v9, v5
	v_mul_f32_e32 v9, 0x3fb8aa3b, v9
	v_exp_f32_e32 v9, v9
	ds_write_b32 v7, v9
	v_add_f32_e32 v6, v6, v9
	v_add_nc_u32_e32 v7, 0x200, v7
	s_andn2_b32 exec_lo, exec_lo, s9
	s_cbranch_execnz .LBB302_2062
; %bb.2063:
	s_or_b32 exec_lo, exec_lo, s9
.LBB302_2064:
	s_or_b32 exec_lo, exec_lo, s8
	ds_bpermute_b32 v1, v1, v6
	s_waitcnt lgkmcnt(0)
	v_add_f32_e32 v1, v6, v1
	ds_bpermute_b32 v2, v2, v1
	s_waitcnt lgkmcnt(0)
	v_add_f32_e32 v1, v1, v2
	;; [unrolled: 3-line block ×5, first 2 shown]
	s_and_saveexec_b32 s7, vcc_lo
; %bb.2065:
	ds_write_b32 v4, v1 offset:528
; %bb.2066:
	s_or_b32 exec_lo, exec_lo, s7
	s_waitcnt lgkmcnt(0)
	s_barrier
	buffer_gl0_inv
	s_and_saveexec_b32 s7, s5
; %bb.2067:
	ds_read_b32 v1, v20 offset:528
; %bb.2068:
	s_or_b32 exec_lo, exec_lo, s7
	s_waitcnt lgkmcnt(0)
	ds_bpermute_b32 v2, v17, v1
	s_waitcnt lgkmcnt(0)
	v_add_f32_e32 v1, v1, v2
	ds_bpermute_b32 v2, v16, v1
	s_waitcnt lgkmcnt(0)
	v_add_f32_e32 v1, v1, v2
	v_mov_b32_e32 v2, 0
	ds_bpermute_b32 v1, v2, v1
	s_and_saveexec_b32 s5, s6
	s_cbranch_execz .LBB302_2071
; %bb.2069:
	s_waitcnt lgkmcnt(0)
	v_add_f32_e32 v2, 0x358637bd, v1
	s_getpc_b64 s[6:7]
	s_add_u32 s6, s6, llvm.amdgcn.dynlds.offset.table@rel32@lo+4
	s_addc_u32 s7, s7, llvm.amdgcn.dynlds.offset.table@rel32@hi+12
	s_ashr_i32 s21, s20, 31
	s_lshl_b64 s[8:9], s[20:21], 2
	v_div_scale_f32 v1, null, v2, v2, 1.0
	v_div_scale_f32 v5, vcc_lo, 1.0, v2, 1.0
	s_add_u32 s6, s6, s8
	v_rcp_f32_e32 v3, v1
	s_addc_u32 s7, s7, s9
	s_load_dword s6, s[6:7], 0x0
	v_fma_f32 v4, -v1, v3, 1.0
	v_fmac_f32_e32 v3, v4, v3
	v_mul_f32_e32 v4, v5, v3
	v_fma_f32 v6, -v1, v4, v5
	v_fmac_f32_e32 v4, v6, v3
	v_fma_f32 v1, -v1, v4, v5
	v_div_fmas_f32 v3, v1, v3, v4
	buffer_load_dword v4, off, s[0:3], s32 offset:1260 ; 4-byte Folded Reload
	v_div_fixup_f32 v2, v3, v2, 1.0
	s_waitcnt vmcnt(0) lgkmcnt(0)
	v_lshl_add_u32 v1, v4, 2, s6
	v_mov_b32_e32 v3, v4
	s_mov_b32 s6, 0
.LBB302_2070:                           ; =>This Inner Loop Header: Depth=1
	ds_read_b32 v4, v1
	v_add_nc_u32_e32 v3, 0x80, v3
	v_cmp_ge_i32_e32 vcc_lo, v3, v0
	s_or_b32 s6, vcc_lo, s6
	s_waitcnt lgkmcnt(0)
	v_mul_f32_e32 v4, v2, v4
	ds_write_b32 v1, v4
	v_add_nc_u32_e32 v1, 0x200, v1
	s_andn2_b32 exec_lo, exec_lo, s6
	s_cbranch_execnz .LBB302_2070
.LBB302_2071:
	s_or_b32 exec_lo, exec_lo, s5
	s_waitcnt lgkmcnt(0)
	s_barrier
	buffer_gl0_inv
	s_mov_b32 s5, exec_lo
	buffer_load_dword v1, off, s[0:3], s32 offset:1260 ; 4-byte Folded Reload
	s_and_b32 s6, s5, s4
	s_xor_b32 s4, s6, s5
	s_mov_b32 exec_lo, s6
; %bb.2072:
	s_ashr_i32 s21, s20, 31
                                        ; implicit-def: $vgpr0
                                        ; kill: killed $vgpr0
                                        ; implicit-def: $vgpr0
                                        ; kill: killed $vgpr0
                                        ; implicit-def: $vgpr28
                                        ; implicit-def: $vgpr18
                                        ; implicit-def: $vgpr10
                                        ; implicit-def: $vgpr11
                                        ; implicit-def: $vgpr0
                                        ; kill: killed $vgpr0
                                        ; implicit-def: $vgpr2_vgpr3
                                        ; kill: killed $vgpr2_vgpr3
                                        ; implicit-def: $vgpr15
                                        ; implicit-def: $vgpr19
                                        ; implicit-def: $vgpr14
                                        ; implicit-def: $vgpr12_vgpr13
; %bb.2073:
	s_or_saveexec_b32 s19, s4
	v_mov_b32_e32 v4, s20
	v_mov_b32_e32 v81, 0
	;; [unrolled: 1-line block ×34, first 2 shown]
	s_xor_b32 exec_lo, exec_lo, s19
	s_cbranch_execz .LBB302_4189
; %bb.2074:
	buffer_load_dword v98, off, s[0:3], s32 offset:1268 ; 4-byte Folded Reload
	s_getpc_b64 s[4:5]
	s_add_u32 s4, s4, llvm.amdgcn.dynlds.offset.table@rel32@lo+4
	s_addc_u32 s5, s5, llvm.amdgcn.dynlds.offset.table@rel32@hi+12
	s_ashr_i32 s21, s20, 31
	s_waitcnt vmcnt(1)
	v_lshlrev_b32_e32 v0, 3, v1
	s_lshl_b64 s[6:7], s[20:21], 2
	v_and_b32_e32 v1, 3, v1
	s_add_u32 s4, s4, s6
	s_addc_u32 s5, s5, s7
	v_and_b32_e32 v2, 0x7c, v14
	s_load_dword s4, s[4:5], 0x0
	v_and_b32_e32 v6, 24, v0
	v_and_b32_e32 v32, 0xf8, v0
	v_or_b32_e32 v33, 0x1f00, v0
	v_lshlrev_b32_e32 v0, 5, v1
	v_add_co_u32 v4, vcc_lo, v28, v15
	v_add_co_ci_u32_e64 v5, null, v18, v19, vcc_lo
	v_add_co_u32 v1, vcc_lo, v2, v12
	v_add_co_ci_u32_e64 v3, null, 0, v13, vcc_lo
	v_mov_b32_e32 v7, 0
	v_add_co_u32 v2, vcc_lo, v10, v1
	v_add_co_ci_u32_e64 v3, null, v11, v3, vcc_lo
	v_mov_b32_e32 v86, 0x80
	v_mov_b32_e32 v87, 0x7f
	;; [unrolled: 1-line block ×36, first 2 shown]
	s_mov_b32 s22, -1
	s_mov_b32 s23, 0xffffff
	s_mov_b32 s24, 0
	s_waitcnt vmcnt(0)
	v_lshl_or_b32 v0, v98, 7, v0
	v_lshl_or_b32 v84, v98, 5, v6
	s_waitcnt lgkmcnt(0)
	v_add_nc_u32_e32 v85, s4, v0
	s_branch .LBB302_2076
.LBB302_2075:                           ;   in Loop: Header=BB302_2076 Depth=1
	s_or_b32 exec_lo, exec_lo, s12
	v_add_f32_e32 v0, v0, v1
	v_add_f32_e32 v10, v10, v11
	v_add_nc_u32_e32 v98, 4, v98
	v_add_co_u32 v2, vcc_lo, v2, 16
	v_add_f32_e32 v23, v23, v0
	v_add_f32_e32 v0, v63, v51
	v_add_f32_e32 v21, v21, v10
	v_add_f32_e32 v10, v12, v13
	v_add_co_ci_u32_e64 v3, null, 0, v3, vcc_lo
	v_add_f32_e32 v103, v103, v0
	v_add_f32_e32 v0, v61, v62
	;; [unrolled: 1-line block ×4, first 2 shown]
	v_add_nc_u32_e32 v84, 0x80, v84
	v_add_nc_u32_e32 v85, 0x200, v85
	v_add_f32_e32 v117, v117, v0
	v_add_f32_e32 v0, v59, v60
	;; [unrolled: 1-line block ×45, first 2 shown]
	;;#ASMSTART
	v_pk_mul_f16 v0, v102, v111;

	;;#ASMEND
	;;#ASMSTART
	v_pk_mul_f16 v1, v101, v6;

	;;#ASMEND
	;;#ASMSTART
	v_pk_mul_f16 v6, v100, v9;

	;;#ASMEND
	;;#ASMSTART
	v_pk_mul_f16 v8, v99, v8;

	;;#ASMEND
	;;#ASMSTART
	v_pk_add_f16 v0, v0, v1;

	;;#ASMEND
	;;#ASMSTART
	v_pk_add_f16 v0, v0, v6;

	;;#ASMEND
	;; [unrolled: 4-line block ×3, first 2 shown]
	v_lshrrev_b32_e32 v1, 16, v0
	v_and_b32_e32 v0, 0xffff, v0
	;;#ASMSTART
	v_cvt_f32_f16 v0, v0;
	;;#ASMEND
	;;#ASMSTART
	v_cvt_f32_f16 v1, v1;
	;;#ASMEND
	v_add_f32_e32 v0, v0, v1
	v_add_f32_e32 v34, v34, v10
	v_add_f32_e32 v10, v31, v73
	v_add_f32_e32 v20, v20, v0
	buffer_load_dword v0, off, s[0:3], s32 offset:204 ; 4-byte Folded Reload
	v_add_f32_e32 v35, v35, v10
	v_add_f32_e32 v10, v18, v29
	;; [unrolled: 1-line block ×5, first 2 shown]
	s_waitcnt vmcnt(0)
	v_cmp_ge_i32_e32 vcc_lo, v98, v0
	s_or_b32 s24, vcc_lo, s24
	s_andn2_b32 exec_lo, exec_lo, s24
	s_cbranch_execz .LBB302_4188
.LBB302_2076:                           ; =>This Inner Loop Header: Depth=1
	flat_load_dword v0, v[2:3]
	ds_read2_b64 v[10:13], v85 offset1:1
	ds_read2_b64 v[28:31], v85 offset0:2 offset1:3
	buffer_load_dword v1, off, s[0:3], s32 offset:780 ; 4-byte Folded Reload
	s_waitcnt lgkmcnt(1)
	;;#ASMSTART
	v_cvt_f16_f32 v18, v10;

	;;#ASMEND
	s_waitcnt vmcnt(0)
	v_mad_i64_i32 v[8:9], null, v0, v1, v[4:5]
	;;#ASMSTART
	v_cvt_f16_f32 v0, v11;

	;;#ASMEND
	;;#ASMSTART
	v_cvt_f16_f32 v19, v12;

	;;#ASMEND
	;; [unrolled: 4-line block ×3, first 2 shown]
	s_waitcnt lgkmcnt(0)
	;;#ASMSTART
	v_cvt_f16_f32 v28, v28;

	;;#ASMEND
	;;#ASMSTART
	v_cvt_f16_f32 v14, v29;

	;;#ASMEND
	;;#ASMSTART
	v_cvt_f16_f32 v29, v30;

	;;#ASMEND
	v_add_co_u32 v10, vcc_lo, v8, v32
	v_add_co_ci_u32_e64 v11, null, 0, v9, vcc_lo
	;;#ASMSTART
	v_cvt_f16_f32 v15, v31;

	;;#ASMEND
	flat_load_dwordx2 v[12:13], v[10:11]
	s_clause 0x1
	buffer_load_dword v30, off, s[0:3], s32 offset:192
	buffer_load_dword v31, off, s[0:3], s32 offset:196
	s_waitcnt vmcnt(2) lgkmcnt(0)
	v_cmp_ne_u16_sdwa s5, v12, v7 src0_sel:BYTE_0 src1_sel:DWORD
	s_waitcnt vmcnt(0)
	flat_load_dword v30, v[30:31]
	v_mov_b32_e32 v31, 0
	s_and_saveexec_b32 s4, s5
	s_cbranch_execz .LBB302_2084
; %bb.2077:                             ;   in Loop: Header=BB302_2076 Depth=1
	v_cmp_ne_u16_sdwa s6, v12, v86 src0_sel:BYTE_0 src1_sel:DWORD
	v_mov_b32_e32 v31, 0x8000
	s_and_saveexec_b32 s5, s6
	s_cbranch_execz .LBB302_2083
; %bb.2078:                             ;   in Loop: Header=BB302_2076 Depth=1
	v_and_b32_e32 v51, 0x7f, v12
	v_mov_b32_e32 v31, 0x7c01
	s_mov_b32 s6, exec_lo
	v_cmpx_ne_u32_e32 0x7f, v51
	s_cbranch_execz .LBB302_2082
; %bb.2079:                             ;   in Loop: Header=BB302_2076 Depth=1
	v_and_b32_e32 v6, 7, v12
	v_lshrrev_b32_e32 v31, 3, v51
	s_mov_b32 s7, exec_lo
	v_cmpx_gt_u32_e32 8, v51
; %bb.2080:                             ;   in Loop: Header=BB302_2076 Depth=1
	v_ffbh_u32_e32 v6, v6
	v_min_u32_e32 v6, 32, v6
	v_subrev_nc_u32_e32 v31, 28, v6
	v_lshlrev_b64 v[54:55], v31, v[12:13]
	v_sub_nc_u32_e32 v31, 29, v6
	v_and_b32_e32 v6, 7, v54
; %bb.2081:                             ;   in Loop: Header=BB302_2076 Depth=1
	s_or_b32 exec_lo, exec_lo, s7
	v_lshlrev_b32_e32 v51, 8, v12
	v_lshl_add_u32 v31, v31, 10, 0x2000
	v_lshlrev_b32_e32 v6, 7, v6
	v_and_b32_e32 v51, 0x8000, v51
	v_and_b32_e32 v31, 0xfc00, v31
	v_or3_b32 v31, v51, v31, v6
.LBB302_2082:                           ;   in Loop: Header=BB302_2076 Depth=1
	s_or_b32 exec_lo, exec_lo, s6
.LBB302_2083:                           ;   in Loop: Header=BB302_2076 Depth=1
	s_or_b32 exec_lo, exec_lo, s5
.LBB302_2084:                           ;   in Loop: Header=BB302_2076 Depth=1
	s_or_b32 exec_lo, exec_lo, s4
	v_lshrrev_b16 v6, 8, v12
	v_mov_b32_e32 v55, 0
	v_mov_b32_e32 v54, 0
	s_mov_b32 s4, exec_lo
	v_cmpx_ne_u16_e32 0, v6
	s_cbranch_execz .LBB302_2092
; %bb.2085:                             ;   in Loop: Header=BB302_2076 Depth=1
	v_bfrev_b32_e32 v54, 1
	s_mov_b32 s5, exec_lo
	v_cmpx_ne_u16_e32 0x80, v6
	s_cbranch_execz .LBB302_2091
; %bb.2086:                             ;   in Loop: Header=BB302_2076 Depth=1
	v_and_b32_sdwa v65, v6, v87 dst_sel:DWORD dst_unused:UNUSED_PAD src0_sel:WORD_0 src1_sel:DWORD
	v_mov_b32_e32 v54, 0x7c010000
	s_mov_b32 s6, exec_lo
	v_cmpx_ne_u32_e32 0x7f, v65
	s_cbranch_execz .LBB302_2090
; %bb.2087:                             ;   in Loop: Header=BB302_2076 Depth=1
	v_and_b32_sdwa v51, v6, v96 dst_sel:DWORD dst_unused:UNUSED_PAD src0_sel:WORD_0 src1_sel:DWORD
	v_lshrrev_b32_e32 v54, 3, v65
	s_mov_b32 s7, exec_lo
	v_cmpx_gt_u32_e32 8, v65
; %bb.2088:                             ;   in Loop: Header=BB302_2076 Depth=1
	v_ffbh_u32_e32 v51, v51
	v_min_u32_e32 v51, 32, v51
	v_subrev_nc_u32_e32 v54, 28, v51
	v_lshlrev_b64 v[65:66], v54, v[6:7]
	v_sub_nc_u32_e32 v54, 29, v51
	v_and_b32_e32 v51, 7, v65
; %bb.2089:                             ;   in Loop: Header=BB302_2076 Depth=1
	s_or_b32 exec_lo, exec_lo, s7
	v_lshlrev_b32_sdwa v6, v97, v6 dst_sel:DWORD dst_unused:UNUSED_PAD src0_sel:DWORD src1_sel:WORD_0
	v_lshl_add_u32 v54, v54, 10, 0x2000
	v_lshlrev_b32_e32 v51, 23, v51
	v_and_or_b32 v6, 0x8000, v6, v54
	v_lshl_or_b32 v54, v6, 16, v51
.LBB302_2090:                           ;   in Loop: Header=BB302_2076 Depth=1
	s_or_b32 exec_lo, exec_lo, s6
.LBB302_2091:                           ;   in Loop: Header=BB302_2076 Depth=1
	s_or_b32 exec_lo, exec_lo, s5
.LBB302_2092:                           ;   in Loop: Header=BB302_2076 Depth=1
	s_or_b32 exec_lo, exec_lo, s4
	v_lshrrev_b32_e32 v6, 16, v12
	v_cmp_ne_u16_sdwa s5, v6, v7 src0_sel:BYTE_0 src1_sel:DWORD
	s_and_saveexec_b32 s4, s5
	s_cbranch_execz .LBB302_2100
; %bb.2093:                             ;   in Loop: Header=BB302_2076 Depth=1
	v_cmp_ne_u16_sdwa s6, v6, v86 src0_sel:BYTE_0 src1_sel:DWORD
	v_mov_b32_e32 v55, 0x8000
	s_and_saveexec_b32 s5, s6
	s_cbranch_execz .LBB302_2099
; %bb.2094:                             ;   in Loop: Header=BB302_2076 Depth=1
	v_bfe_u32 v65, v12, 16, 7
	v_mov_b32_e32 v55, 0x7c01
	s_mov_b32 s6, exec_lo
	v_cmpx_ne_u32_e32 0x7f, v65
	s_cbranch_execz .LBB302_2098
; %bb.2095:                             ;   in Loop: Header=BB302_2076 Depth=1
	v_and_b32_e32 v51, 7, v6
	v_lshrrev_b32_e32 v55, 3, v65
	s_mov_b32 s7, exec_lo
	v_cmpx_gt_u32_e32 8, v65
; %bb.2096:                             ;   in Loop: Header=BB302_2076 Depth=1
	v_ffbh_u32_e32 v51, v51
	v_min_u32_e32 v51, 32, v51
	v_subrev_nc_u32_e32 v55, 28, v51
	v_lshlrev_b64 v[65:66], v55, v[6:7]
	v_sub_nc_u32_e32 v55, 29, v51
	v_and_b32_e32 v51, 7, v65
; %bb.2097:                             ;   in Loop: Header=BB302_2076 Depth=1
	s_or_b32 exec_lo, exec_lo, s7
	v_lshlrev_b32_e32 v6, 8, v6
	v_lshl_add_u32 v55, v55, 10, 0x2000
	v_lshlrev_b32_e32 v51, 7, v51
	v_and_b32_e32 v6, 0x8000, v6
	v_and_b32_e32 v55, 0xfc00, v55
	v_or3_b32 v55, v6, v55, v51
.LBB302_2098:                           ;   in Loop: Header=BB302_2076 Depth=1
	s_or_b32 exec_lo, exec_lo, s6
.LBB302_2099:                           ;   in Loop: Header=BB302_2076 Depth=1
	s_or_b32 exec_lo, exec_lo, s5
.LBB302_2100:                           ;   in Loop: Header=BB302_2076 Depth=1
	s_or_b32 exec_lo, exec_lo, s4
	v_mov_b32_e32 v65, 0
	v_mov_b32_e32 v51, 0
	s_mov_b32 s4, exec_lo
	v_cmpx_lt_u32_e32 0xffffff, v12
	s_cbranch_execz .LBB302_2108
; %bb.2101:                             ;   in Loop: Header=BB302_2076 Depth=1
	v_lshrrev_b32_e32 v6, 24, v12
	v_bfrev_b32_e32 v51, 1
	s_mov_b32 s5, exec_lo
	v_cmpx_ne_u32_e32 0x80, v6
	s_cbranch_execz .LBB302_2107
; %bb.2102:                             ;   in Loop: Header=BB302_2076 Depth=1
	v_and_b32_e32 v67, 0x7f, v6
	v_mov_b32_e32 v51, 0x7c010000
	s_mov_b32 s6, exec_lo
	v_cmpx_ne_u32_e32 0x7f, v67
	s_cbranch_execz .LBB302_2106
; %bb.2103:                             ;   in Loop: Header=BB302_2076 Depth=1
	v_and_b32_e32 v51, 7, v6
	v_lshrrev_b32_e32 v66, 3, v67
	s_mov_b32 s7, exec_lo
	v_cmpx_gt_u32_e32 8, v67
; %bb.2104:                             ;   in Loop: Header=BB302_2076 Depth=1
	v_ffbh_u32_e32 v51, v51
	v_min_u32_e32 v51, 32, v51
	v_subrev_nc_u32_e32 v66, 28, v51
	v_lshlrev_b64 v[67:68], v66, v[6:7]
	v_sub_nc_u32_e32 v66, 29, v51
	v_and_b32_e32 v51, 7, v67
; %bb.2105:                             ;   in Loop: Header=BB302_2076 Depth=1
	s_or_b32 exec_lo, exec_lo, s7
	v_lshlrev_b32_e32 v6, 8, v6
	v_lshl_add_u32 v66, v66, 10, 0x2000
	v_lshlrev_b32_e32 v51, 23, v51
	v_and_or_b32 v6, 0x8000, v6, v66
	v_lshl_or_b32 v51, v6, 16, v51
.LBB302_2106:                           ;   in Loop: Header=BB302_2076 Depth=1
	s_or_b32 exec_lo, exec_lo, s6
.LBB302_2107:                           ;   in Loop: Header=BB302_2076 Depth=1
	s_or_b32 exec_lo, exec_lo, s5
.LBB302_2108:                           ;   in Loop: Header=BB302_2076 Depth=1
	s_or_b32 exec_lo, exec_lo, s4
	v_mov_b32_e32 v6, v13
	v_cmp_ne_u16_sdwa s5, v13, v7 src0_sel:BYTE_0 src1_sel:DWORD
	s_and_saveexec_b32 s4, s5
	s_cbranch_execz .LBB302_2116
; %bb.2109:                             ;   in Loop: Header=BB302_2076 Depth=1
	v_cmp_ne_u16_sdwa s6, v13, v86 src0_sel:BYTE_0 src1_sel:DWORD
	v_mov_b32_e32 v65, 0x8000
	s_and_saveexec_b32 s5, s6
	s_cbranch_execz .LBB302_2115
; %bb.2110:                             ;   in Loop: Header=BB302_2076 Depth=1
	v_and_b32_e32 v67, 0x7f, v13
	v_mov_b32_e32 v65, 0x7c01
	s_mov_b32 s6, exec_lo
	v_cmpx_ne_u32_e32 0x7f, v67
	s_cbranch_execz .LBB302_2114
; %bb.2111:                             ;   in Loop: Header=BB302_2076 Depth=1
	v_and_b32_e32 v65, 7, v13
	v_lshrrev_b32_e32 v66, 3, v67
	s_mov_b32 s7, exec_lo
	v_cmpx_gt_u32_e32 8, v67
; %bb.2112:                             ;   in Loop: Header=BB302_2076 Depth=1
	v_ffbh_u32_e32 v65, v65
	v_min_u32_e32 v67, 32, v65
	v_subrev_nc_u32_e32 v65, 28, v67
	v_lshlrev_b64 v[65:66], v65, v[6:7]
	v_sub_nc_u32_e32 v66, 29, v67
	v_and_b32_e32 v65, 7, v65
; %bb.2113:                             ;   in Loop: Header=BB302_2076 Depth=1
	s_or_b32 exec_lo, exec_lo, s7
	v_lshlrev_b32_e32 v67, 8, v13
	v_lshl_add_u32 v66, v66, 10, 0x2000
	v_lshlrev_b32_e32 v65, 7, v65
	v_and_b32_e32 v67, 0x8000, v67
	v_and_b32_e32 v66, 0xfc00, v66
	v_or3_b32 v65, v67, v66, v65
.LBB302_2114:                           ;   in Loop: Header=BB302_2076 Depth=1
	s_or_b32 exec_lo, exec_lo, s6
.LBB302_2115:                           ;   in Loop: Header=BB302_2076 Depth=1
	s_or_b32 exec_lo, exec_lo, s5
.LBB302_2116:                           ;   in Loop: Header=BB302_2076 Depth=1
	s_or_b32 exec_lo, exec_lo, s4
	v_lshrrev_b16 v6, 8, v6
	v_mov_b32_e32 v67, 0
	v_mov_b32_e32 v66, 0
	s_mov_b32 s4, exec_lo
	v_cmpx_ne_u16_e32 0, v6
	s_cbranch_execz .LBB302_2124
; %bb.2117:                             ;   in Loop: Header=BB302_2076 Depth=1
	v_bfrev_b32_e32 v66, 1
	s_mov_b32 s5, exec_lo
	v_cmpx_ne_u16_e32 0x80, v6
	s_cbranch_execz .LBB302_2123
; %bb.2118:                             ;   in Loop: Header=BB302_2076 Depth=1
	v_and_b32_sdwa v71, v6, v87 dst_sel:DWORD dst_unused:UNUSED_PAD src0_sel:WORD_0 src1_sel:DWORD
	v_mov_b32_e32 v66, 0x7c010000
	s_mov_b32 s6, exec_lo
	v_cmpx_ne_u32_e32 0x7f, v71
	s_cbranch_execz .LBB302_2122
; %bb.2119:                             ;   in Loop: Header=BB302_2076 Depth=1
	v_and_b32_sdwa v66, v6, v96 dst_sel:DWORD dst_unused:UNUSED_PAD src0_sel:WORD_0 src1_sel:DWORD
	v_lshrrev_b32_e32 v68, 3, v71
	s_mov_b32 s7, exec_lo
	v_cmpx_gt_u32_e32 8, v71
; %bb.2120:                             ;   in Loop: Header=BB302_2076 Depth=1
	v_ffbh_u32_e32 v66, v66
	v_min_u32_e32 v66, 32, v66
	v_subrev_nc_u32_e32 v68, 28, v66
	v_lshlrev_b64 v[99:100], v68, v[6:7]
	v_sub_nc_u32_e32 v68, 29, v66
	v_and_b32_e32 v66, 7, v99
; %bb.2121:                             ;   in Loop: Header=BB302_2076 Depth=1
	s_or_b32 exec_lo, exec_lo, s7
	v_lshlrev_b32_sdwa v6, v97, v6 dst_sel:DWORD dst_unused:UNUSED_PAD src0_sel:DWORD src1_sel:WORD_0
	v_lshl_add_u32 v68, v68, 10, 0x2000
	v_lshlrev_b32_e32 v66, 23, v66
	v_and_or_b32 v6, 0x8000, v6, v68
	v_lshl_or_b32 v66, v6, 16, v66
.LBB302_2122:                           ;   in Loop: Header=BB302_2076 Depth=1
	s_or_b32 exec_lo, exec_lo, s6
.LBB302_2123:                           ;   in Loop: Header=BB302_2076 Depth=1
	s_or_b32 exec_lo, exec_lo, s5
.LBB302_2124:                           ;   in Loop: Header=BB302_2076 Depth=1
	s_or_b32 exec_lo, exec_lo, s4
	v_lshrrev_b32_e32 v6, 16, v13
	v_cmp_ne_u16_sdwa s5, v6, v7 src0_sel:BYTE_0 src1_sel:DWORD
	s_and_saveexec_b32 s4, s5
	s_cbranch_execz .LBB302_2132
; %bb.2125:                             ;   in Loop: Header=BB302_2076 Depth=1
	v_cmp_ne_u16_sdwa s6, v6, v86 src0_sel:BYTE_0 src1_sel:DWORD
	v_mov_b32_e32 v67, 0x8000
	s_and_saveexec_b32 s5, s6
	s_cbranch_execz .LBB302_2131
; %bb.2126:                             ;   in Loop: Header=BB302_2076 Depth=1
	v_bfe_u32 v71, v13, 16, 7
	v_mov_b32_e32 v67, 0x7c01
	s_mov_b32 s6, exec_lo
	v_cmpx_ne_u32_e32 0x7f, v71
	s_cbranch_execz .LBB302_2130
; %bb.2127:                             ;   in Loop: Header=BB302_2076 Depth=1
	v_and_b32_e32 v67, 7, v6
	v_lshrrev_b32_e32 v68, 3, v71
	s_mov_b32 s7, exec_lo
	v_cmpx_gt_u32_e32 8, v71
; %bb.2128:                             ;   in Loop: Header=BB302_2076 Depth=1
	v_ffbh_u32_e32 v67, v67
	v_min_u32_e32 v71, 32, v67
	v_subrev_nc_u32_e32 v67, 28, v71
	v_lshlrev_b64 v[67:68], v67, v[6:7]
	v_sub_nc_u32_e32 v68, 29, v71
	v_and_b32_e32 v67, 7, v67
; %bb.2129:                             ;   in Loop: Header=BB302_2076 Depth=1
	s_or_b32 exec_lo, exec_lo, s7
	v_lshlrev_b32_e32 v6, 8, v6
	v_lshl_add_u32 v68, v68, 10, 0x2000
	v_lshlrev_b32_e32 v67, 7, v67
	v_and_b32_e32 v6, 0x8000, v6
	v_and_b32_e32 v68, 0xfc00, v68
	v_or3_b32 v67, v6, v68, v67
.LBB302_2130:                           ;   in Loop: Header=BB302_2076 Depth=1
	s_or_b32 exec_lo, exec_lo, s6
.LBB302_2131:                           ;   in Loop: Header=BB302_2076 Depth=1
	s_or_b32 exec_lo, exec_lo, s5
.LBB302_2132:                           ;   in Loop: Header=BB302_2076 Depth=1
	s_or_b32 exec_lo, exec_lo, s4
	v_cmp_lt_u64_e32 vcc_lo, s[22:23], v[12:13]
	v_mov_b32_e32 v12, 0
	s_and_saveexec_b32 s4, vcc_lo
	s_cbranch_execz .LBB302_2140
; %bb.2133:                             ;   in Loop: Header=BB302_2076 Depth=1
	v_lshrrev_b32_e32 v6, 24, v13
	v_bfrev_b32_e32 v12, 1
	s_mov_b32 s5, exec_lo
	v_cmpx_ne_u32_e32 0x80, v6
	s_cbranch_execz .LBB302_2139
; %bb.2134:                             ;   in Loop: Header=BB302_2076 Depth=1
	v_and_b32_e32 v68, 0x7f, v6
	v_mov_b32_e32 v12, 0x7c010000
	s_mov_b32 s6, exec_lo
	v_cmpx_ne_u32_e32 0x7f, v68
	s_cbranch_execz .LBB302_2138
; %bb.2135:                             ;   in Loop: Header=BB302_2076 Depth=1
	v_and_b32_e32 v12, 7, v6
	v_lshrrev_b32_e32 v13, 3, v68
	s_mov_b32 s7, exec_lo
	v_cmpx_gt_u32_e32 8, v68
; %bb.2136:                             ;   in Loop: Header=BB302_2076 Depth=1
	v_ffbh_u32_e32 v12, v12
	v_min_u32_e32 v68, 32, v12
	v_subrev_nc_u32_e32 v12, 28, v68
	v_lshlrev_b64 v[12:13], v12, v[6:7]
	v_sub_nc_u32_e32 v13, 29, v68
	v_and_b32_e32 v12, 7, v12
; %bb.2137:                             ;   in Loop: Header=BB302_2076 Depth=1
	s_or_b32 exec_lo, exec_lo, s7
	v_lshlrev_b32_e32 v6, 8, v6
	v_lshl_add_u32 v13, v13, 10, 0x2000
	v_lshlrev_b32_e32 v12, 23, v12
	v_and_or_b32 v6, 0x8000, v6, v13
	v_lshl_or_b32 v12, v6, 16, v12
.LBB302_2138:                           ;   in Loop: Header=BB302_2076 Depth=1
	s_or_b32 exec_lo, exec_lo, s6
.LBB302_2139:                           ;   in Loop: Header=BB302_2076 Depth=1
	s_or_b32 exec_lo, exec_lo, s5
.LBB302_2140:                           ;   in Loop: Header=BB302_2076 Depth=1
	s_or_b32 exec_lo, exec_lo, s4
	s_clause 0x1
	buffer_load_dword v6, off, s[0:3], s32 offset:204
	buffer_load_dword v99, off, s[0:3], s32 offset:776
	v_add_nc_u32_e32 v13, 1, v84
	v_or_b32_e32 v55, v51, v55
	v_add_nc_u32_e32 v68, 2, v84
	v_or_b32_e32 v31, v54, v31
	v_or_b32_e32 v65, v66, v65
	s_waitcnt vmcnt(2) lgkmcnt(0)
	v_fma_mixlo_f16 v66, v30, v66, 0 op_sel:[0,1,0] op_sel_hi:[0,1,0]
	v_add_nc_u32_e32 v71, 3, v84
	v_fma_mixlo_f16 v31, v30, v31, 0 op_sel_hi:[0,1,0]
	s_waitcnt vmcnt(1)
	v_add_nc_u32_e32 v6, -1, v6
	s_waitcnt vmcnt(0)
	v_cmp_lt_i32_e64 s5, v13, v99
	v_add_nc_u32_e32 v13, 5, v84
	v_cmp_lt_i32_e64 s4, v68, v99
	v_add_nc_u32_e32 v68, 6, v84
	v_cmp_eq_u32_e64 s7, v6, v98
	v_add_nc_u32_e32 v6, 4, v84
	v_cmp_lt_i32_e64 s9, v13, v99
	v_fma_mixlo_f16 v13, v30, v55, 0 op_sel_hi:[0,1,0]
	v_fma_mixlo_f16 v55, v30, v54, 0 op_sel:[0,1,0] op_sel_hi:[0,1,0]
	v_cmp_lt_i32_e64 s10, v68, v99
	v_cmp_lt_i32_e64 s8, v6, v99
	v_fma_mixlo_f16 v6, v30, v51, 0 op_sel:[0,1,0] op_sel_hi:[0,1,0]
	v_add_nc_u32_e32 v51, 7, v84
	v_lshlrev_b32_e32 v54, 16, v55
	v_or_b32_e32 v55, v12, v67
	v_fma_mixlo_f16 v67, v30, v65, 0 op_sel_hi:[0,1,0]
	v_fma_mixlo_f16 v12, v30, v12, 0 op_sel:[0,1,0] op_sel_hi:[0,1,0]
	v_lshlrev_b32_e32 v6, 16, v6
	v_and_b32_e32 v13, 0xffff, v13
	v_fma_mixlo_f16 v30, v30, v55, 0 op_sel_hi:[0,1,0]
	v_and_b32_e32 v68, 0xffff, v31
	v_lshlrev_b32_e32 v65, 16, v66
	v_and_b32_e32 v67, 0xffff, v67
	v_lshlrev_b32_e32 v55, 16, v12
	v_and_b32_e32 v66, 0xffff, v30
	v_cmp_lt_i32_e64 s6, v71, v99
	v_cmp_lt_i32_e64 s11, v51, v99
	v_or_b32_e32 v12, v6, v13
	v_or_b32_e32 v30, v54, v68
	;; [unrolled: 1-line block ×4, first 2 shown]
	v_cmp_lt_i32_e32 vcc_lo, v84, v99
	s_and_saveexec_b32 s12, s7
	s_cbranch_execz .LBB302_2142
; %bb.2141:                             ;   in Loop: Header=BB302_2076 Depth=1
	v_cndmask_b32_e32 v12, 0, v68, vcc_lo
	v_cndmask_b32_e64 v30, 0, v54, s5
	v_cndmask_b32_e64 v13, 0, v13, s4
	;; [unrolled: 1-line block ×7, first 2 shown]
	v_or_b32_e32 v30, v12, v30
	v_or_b32_e32 v12, v13, v6
	;; [unrolled: 1-line block ×4, first 2 shown]
.LBB302_2142:                           ;   in Loop: Header=BB302_2076 Depth=1
	s_or_b32 exec_lo, exec_lo, s12
	v_and_b32_e32 v6, 0xffff, v18
	v_and_b32_e32 v13, 0xffff, v19
	;; [unrolled: 1-line block ×4, first 2 shown]
	v_lshl_or_b32 v102, v0, 16, v6
	;;#ASMSTART
	v_pk_mul_f16 v0, v102, v30;

	;;#ASMEND
	v_lshl_or_b32 v101, v1, 16, v13
	v_lshl_or_b32 v100, v14, 16, v18
	;; [unrolled: 1-line block ×3, first 2 shown]
	;;#ASMSTART
	v_pk_mul_f16 v1, v101, v12;

	;;#ASMEND
	;;#ASMSTART
	v_pk_mul_f16 v6, v100, v31;

	;;#ASMEND
	;; [unrolled: 4-line block ×3, first 2 shown]
	;;#ASMSTART
	v_pk_add_f16 v0, v0, v1;

	;;#ASMEND
	;;#ASMSTART
	v_pk_add_f16 v0, v0, v6;

	;;#ASMEND
	;; [unrolled: 4-line block ×3, first 2 shown]
	v_and_b32_e32 v1, 0xffff, v0
	v_lshrrev_b32_e32 v0, 16, v0
	;;#ASMSTART
	v_cvt_f32_f16 v114, v1;
	;;#ASMEND
	;;#ASMSTART
	v_cvt_f32_f16 v112, v0;
	;;#ASMEND
	flat_load_dwordx2 v[12:13], v[10:11] offset:256
	s_clause 0x1
	buffer_load_dword v0, off, s[0:3], s32 offset:192
	buffer_load_dword v1, off, s[0:3], s32 offset:196
	v_mov_b32_e32 v14, 0
	s_waitcnt vmcnt(2) lgkmcnt(0)
	v_cmp_ne_u16_sdwa s12, v12, v7 src0_sel:BYTE_0 src1_sel:DWORD
	s_waitcnt vmcnt(0)
	flat_load_dword v0, v[0:1]
	v_mov_b32_e32 v1, 0
	s_and_saveexec_b32 s25, s12
	s_cbranch_execz .LBB302_2150
; %bb.2143:                             ;   in Loop: Header=BB302_2076 Depth=1
	v_cmp_ne_u16_sdwa s12, v12, v86 src0_sel:BYTE_0 src1_sel:DWORD
	v_mov_b32_e32 v14, 0x8000
	s_and_saveexec_b32 s26, s12
	s_cbranch_execz .LBB302_2149
; %bb.2144:                             ;   in Loop: Header=BB302_2076 Depth=1
	v_and_b32_e32 v15, 0x7f, v12
	v_mov_b32_e32 v14, 0x7c01
	s_mov_b32 s27, exec_lo
	v_cmpx_ne_u32_e32 0x7f, v15
	s_cbranch_execz .LBB302_2148
; %bb.2145:                             ;   in Loop: Header=BB302_2076 Depth=1
	v_and_b32_e32 v6, 7, v12
	v_lshrrev_b32_e32 v14, 3, v15
	s_mov_b32 s28, exec_lo
	v_cmpx_gt_u32_e32 8, v15
; %bb.2146:                             ;   in Loop: Header=BB302_2076 Depth=1
	v_ffbh_u32_e32 v6, v6
	v_min_u32_e32 v6, 32, v6
	v_subrev_nc_u32_e32 v14, 28, v6
	v_lshlrev_b64 v[18:19], v14, v[12:13]
	v_sub_nc_u32_e32 v14, 29, v6
	v_and_b32_e32 v6, 7, v18
; %bb.2147:                             ;   in Loop: Header=BB302_2076 Depth=1
	s_or_b32 exec_lo, exec_lo, s28
	v_lshlrev_b32_e32 v15, 8, v12
	v_lshl_add_u32 v14, v14, 10, 0x2000
	v_lshlrev_b32_e32 v6, 7, v6
	v_and_b32_e32 v15, 0x8000, v15
	v_and_b32_e32 v14, 0xfc00, v14
	v_or3_b32 v14, v15, v14, v6
.LBB302_2148:                           ;   in Loop: Header=BB302_2076 Depth=1
	s_or_b32 exec_lo, exec_lo, s27
.LBB302_2149:                           ;   in Loop: Header=BB302_2076 Depth=1
	s_or_b32 exec_lo, exec_lo, s26
.LBB302_2150:                           ;   in Loop: Header=BB302_2076 Depth=1
	s_or_b32 exec_lo, exec_lo, s25
	v_lshrrev_b16 v6, 8, v12
	s_mov_b32 s25, exec_lo
	v_cmpx_ne_u16_e32 0, v6
	s_cbranch_execz .LBB302_2158
; %bb.2151:                             ;   in Loop: Header=BB302_2076 Depth=1
	v_bfrev_b32_e32 v1, 1
	s_mov_b32 s26, exec_lo
	v_cmpx_ne_u16_e32 0x80, v6
	s_cbranch_execz .LBB302_2157
; %bb.2152:                             ;   in Loop: Header=BB302_2076 Depth=1
	v_and_b32_sdwa v18, v6, v87 dst_sel:DWORD dst_unused:UNUSED_PAD src0_sel:WORD_0 src1_sel:DWORD
	v_mov_b32_e32 v1, 0x7c010000
	s_mov_b32 s27, exec_lo
	v_cmpx_ne_u32_e32 0x7f, v18
	s_cbranch_execz .LBB302_2156
; %bb.2153:                             ;   in Loop: Header=BB302_2076 Depth=1
	v_and_b32_sdwa v1, v6, v96 dst_sel:DWORD dst_unused:UNUSED_PAD src0_sel:WORD_0 src1_sel:DWORD
	v_lshrrev_b32_e32 v15, 3, v18
	s_mov_b32 s28, exec_lo
	v_cmpx_gt_u32_e32 8, v18
; %bb.2154:                             ;   in Loop: Header=BB302_2076 Depth=1
	v_ffbh_u32_e32 v1, v1
	v_min_u32_e32 v1, 32, v1
	v_subrev_nc_u32_e32 v15, 28, v1
	v_lshlrev_b64 v[18:19], v15, v[6:7]
	v_sub_nc_u32_e32 v15, 29, v1
	v_and_b32_e32 v1, 7, v18
; %bb.2155:                             ;   in Loop: Header=BB302_2076 Depth=1
	s_or_b32 exec_lo, exec_lo, s28
	v_lshlrev_b32_sdwa v6, v97, v6 dst_sel:DWORD dst_unused:UNUSED_PAD src0_sel:DWORD src1_sel:WORD_0
	v_lshl_add_u32 v15, v15, 10, 0x2000
	v_lshlrev_b32_e32 v1, 23, v1
	v_and_or_b32 v6, 0x8000, v6, v15
	v_lshl_or_b32 v1, v6, 16, v1
.LBB302_2156:                           ;   in Loop: Header=BB302_2076 Depth=1
	s_or_b32 exec_lo, exec_lo, s27
.LBB302_2157:                           ;   in Loop: Header=BB302_2076 Depth=1
	s_or_b32 exec_lo, exec_lo, s26
.LBB302_2158:                           ;   in Loop: Header=BB302_2076 Depth=1
	s_or_b32 exec_lo, exec_lo, s25
	v_lshrrev_b32_e32 v6, 16, v12
	v_mov_b32_e32 v15, 0
	v_mov_b32_e32 v18, 0
	v_cmp_ne_u16_sdwa s12, v6, v7 src0_sel:BYTE_0 src1_sel:DWORD
	s_and_saveexec_b32 s25, s12
	s_cbranch_execz .LBB302_2166
; %bb.2159:                             ;   in Loop: Header=BB302_2076 Depth=1
	v_cmp_ne_u16_sdwa s12, v6, v86 src0_sel:BYTE_0 src1_sel:DWORD
	v_mov_b32_e32 v18, 0x8000
	s_and_saveexec_b32 s26, s12
	s_cbranch_execz .LBB302_2165
; %bb.2160:                             ;   in Loop: Header=BB302_2076 Depth=1
	v_bfe_u32 v28, v12, 16, 7
	v_mov_b32_e32 v18, 0x7c01
	s_mov_b32 s27, exec_lo
	v_cmpx_ne_u32_e32 0x7f, v28
	s_cbranch_execz .LBB302_2164
; %bb.2161:                             ;   in Loop: Header=BB302_2076 Depth=1
	v_and_b32_e32 v18, 7, v6
	v_lshrrev_b32_e32 v19, 3, v28
	s_mov_b32 s28, exec_lo
	v_cmpx_gt_u32_e32 8, v28
; %bb.2162:                             ;   in Loop: Header=BB302_2076 Depth=1
	v_ffbh_u32_e32 v18, v18
	v_min_u32_e32 v28, 32, v18
	v_subrev_nc_u32_e32 v18, 28, v28
	v_lshlrev_b64 v[18:19], v18, v[6:7]
	v_sub_nc_u32_e32 v19, 29, v28
	v_and_b32_e32 v18, 7, v18
; %bb.2163:                             ;   in Loop: Header=BB302_2076 Depth=1
	s_or_b32 exec_lo, exec_lo, s28
	v_lshlrev_b32_e32 v6, 8, v6
	v_lshl_add_u32 v19, v19, 10, 0x2000
	v_lshlrev_b32_e32 v18, 7, v18
	v_and_b32_e32 v6, 0x8000, v6
	v_and_b32_e32 v19, 0xfc00, v19
	v_or3_b32 v18, v6, v19, v18
.LBB302_2164:                           ;   in Loop: Header=BB302_2076 Depth=1
	s_or_b32 exec_lo, exec_lo, s27
.LBB302_2165:                           ;   in Loop: Header=BB302_2076 Depth=1
	s_or_b32 exec_lo, exec_lo, s26
.LBB302_2166:                           ;   in Loop: Header=BB302_2076 Depth=1
	s_or_b32 exec_lo, exec_lo, s25
	s_mov_b32 s25, exec_lo
	v_cmpx_lt_u32_e32 0xffffff, v12
	s_cbranch_execz .LBB302_2174
; %bb.2167:                             ;   in Loop: Header=BB302_2076 Depth=1
	v_lshrrev_b32_e32 v6, 24, v12
	v_bfrev_b32_e32 v15, 1
	s_mov_b32 s26, exec_lo
	v_cmpx_ne_u32_e32 0x80, v6
	s_cbranch_execz .LBB302_2173
; %bb.2168:                             ;   in Loop: Header=BB302_2076 Depth=1
	v_and_b32_e32 v28, 0x7f, v6
	v_mov_b32_e32 v15, 0x7c010000
	s_mov_b32 s27, exec_lo
	v_cmpx_ne_u32_e32 0x7f, v28
	s_cbranch_execz .LBB302_2172
; %bb.2169:                             ;   in Loop: Header=BB302_2076 Depth=1
	v_and_b32_e32 v15, 7, v6
	v_lshrrev_b32_e32 v19, 3, v28
	s_mov_b32 s28, exec_lo
	v_cmpx_gt_u32_e32 8, v28
; %bb.2170:                             ;   in Loop: Header=BB302_2076 Depth=1
	v_ffbh_u32_e32 v15, v15
	v_min_u32_e32 v15, 32, v15
	v_subrev_nc_u32_e32 v19, 28, v15
	v_lshlrev_b64 v[28:29], v19, v[6:7]
	v_sub_nc_u32_e32 v19, 29, v15
	v_and_b32_e32 v15, 7, v28
; %bb.2171:                             ;   in Loop: Header=BB302_2076 Depth=1
	s_or_b32 exec_lo, exec_lo, s28
	v_lshlrev_b32_e32 v6, 8, v6
	v_lshl_add_u32 v19, v19, 10, 0x2000
	v_lshlrev_b32_e32 v15, 23, v15
	v_and_or_b32 v6, 0x8000, v6, v19
	v_lshl_or_b32 v15, v6, 16, v15
.LBB302_2172:                           ;   in Loop: Header=BB302_2076 Depth=1
	s_or_b32 exec_lo, exec_lo, s27
.LBB302_2173:                           ;   in Loop: Header=BB302_2076 Depth=1
	s_or_b32 exec_lo, exec_lo, s26
.LBB302_2174:                           ;   in Loop: Header=BB302_2076 Depth=1
	s_or_b32 exec_lo, exec_lo, s25
	v_mov_b32_e32 v6, v13
	v_cmp_ne_u16_sdwa s12, v13, v7 src0_sel:BYTE_0 src1_sel:DWORD
	v_mov_b32_e32 v19, 0
	v_mov_b32_e32 v28, 0
	s_and_saveexec_b32 s25, s12
	s_cbranch_execz .LBB302_2182
; %bb.2175:                             ;   in Loop: Header=BB302_2076 Depth=1
	v_cmp_ne_u16_sdwa s12, v13, v86 src0_sel:BYTE_0 src1_sel:DWORD
	v_mov_b32_e32 v28, 0x8000
	s_and_saveexec_b32 s26, s12
	s_cbranch_execz .LBB302_2181
; %bb.2176:                             ;   in Loop: Header=BB302_2076 Depth=1
	v_and_b32_e32 v30, 0x7f, v13
	v_mov_b32_e32 v28, 0x7c01
	s_mov_b32 s27, exec_lo
	v_cmpx_ne_u32_e32 0x7f, v30
	s_cbranch_execz .LBB302_2180
; %bb.2177:                             ;   in Loop: Header=BB302_2076 Depth=1
	v_and_b32_e32 v28, 7, v13
	v_lshrrev_b32_e32 v29, 3, v30
	s_mov_b32 s28, exec_lo
	v_cmpx_gt_u32_e32 8, v30
; %bb.2178:                             ;   in Loop: Header=BB302_2076 Depth=1
	v_ffbh_u32_e32 v28, v28
	v_min_u32_e32 v30, 32, v28
	v_subrev_nc_u32_e32 v28, 28, v30
	v_lshlrev_b64 v[28:29], v28, v[6:7]
	v_sub_nc_u32_e32 v29, 29, v30
	v_and_b32_e32 v28, 7, v28
; %bb.2179:                             ;   in Loop: Header=BB302_2076 Depth=1
	s_or_b32 exec_lo, exec_lo, s28
	v_lshlrev_b32_e32 v30, 8, v13
	v_lshl_add_u32 v29, v29, 10, 0x2000
	v_lshlrev_b32_e32 v28, 7, v28
	v_and_b32_e32 v30, 0x8000, v30
	v_and_b32_e32 v29, 0xfc00, v29
	v_or3_b32 v28, v30, v29, v28
.LBB302_2180:                           ;   in Loop: Header=BB302_2076 Depth=1
	s_or_b32 exec_lo, exec_lo, s27
.LBB302_2181:                           ;   in Loop: Header=BB302_2076 Depth=1
	s_or_b32 exec_lo, exec_lo, s26
.LBB302_2182:                           ;   in Loop: Header=BB302_2076 Depth=1
	s_or_b32 exec_lo, exec_lo, s25
	v_lshrrev_b16 v6, 8, v6
	v_mov_b32_e32 v29, 0
	s_mov_b32 s25, exec_lo
	v_cmpx_ne_u16_e32 0, v6
	s_cbranch_execz .LBB302_2190
; %bb.2183:                             ;   in Loop: Header=BB302_2076 Depth=1
	v_bfrev_b32_e32 v29, 1
	s_mov_b32 s26, exec_lo
	v_cmpx_ne_u16_e32 0x80, v6
	s_cbranch_execz .LBB302_2189
; %bb.2184:                             ;   in Loop: Header=BB302_2076 Depth=1
	v_and_b32_sdwa v31, v6, v87 dst_sel:DWORD dst_unused:UNUSED_PAD src0_sel:WORD_0 src1_sel:DWORD
	v_mov_b32_e32 v29, 0x7c010000
	s_mov_b32 s27, exec_lo
	v_cmpx_ne_u32_e32 0x7f, v31
	s_cbranch_execz .LBB302_2188
; %bb.2185:                             ;   in Loop: Header=BB302_2076 Depth=1
	v_and_b32_sdwa v29, v6, v96 dst_sel:DWORD dst_unused:UNUSED_PAD src0_sel:WORD_0 src1_sel:DWORD
	v_lshrrev_b32_e32 v30, 3, v31
	s_mov_b32 s28, exec_lo
	v_cmpx_gt_u32_e32 8, v31
; %bb.2186:                             ;   in Loop: Header=BB302_2076 Depth=1
	v_ffbh_u32_e32 v29, v29
	v_min_u32_e32 v31, 32, v29
	v_subrev_nc_u32_e32 v29, 28, v31
	v_lshlrev_b64 v[29:30], v29, v[6:7]
	v_sub_nc_u32_e32 v30, 29, v31
	v_and_b32_e32 v29, 7, v29
; %bb.2187:                             ;   in Loop: Header=BB302_2076 Depth=1
	s_or_b32 exec_lo, exec_lo, s28
	v_lshlrev_b32_sdwa v6, v97, v6 dst_sel:DWORD dst_unused:UNUSED_PAD src0_sel:DWORD src1_sel:WORD_0
	v_lshl_add_u32 v30, v30, 10, 0x2000
	v_lshlrev_b32_e32 v29, 23, v29
	v_and_or_b32 v6, 0x8000, v6, v30
	v_lshl_or_b32 v29, v6, 16, v29
.LBB302_2188:                           ;   in Loop: Header=BB302_2076 Depth=1
	s_or_b32 exec_lo, exec_lo, s27
.LBB302_2189:                           ;   in Loop: Header=BB302_2076 Depth=1
	s_or_b32 exec_lo, exec_lo, s26
.LBB302_2190:                           ;   in Loop: Header=BB302_2076 Depth=1
	s_or_b32 exec_lo, exec_lo, s25
	v_lshrrev_b32_e32 v6, 16, v13
	v_cmp_ne_u16_sdwa s12, v6, v7 src0_sel:BYTE_0 src1_sel:DWORD
	s_and_saveexec_b32 s25, s12
	s_cbranch_execz .LBB302_2198
; %bb.2191:                             ;   in Loop: Header=BB302_2076 Depth=1
	v_cmp_ne_u16_sdwa s12, v6, v86 src0_sel:BYTE_0 src1_sel:DWORD
	v_mov_b32_e32 v19, 0x8000
	s_and_saveexec_b32 s26, s12
	s_cbranch_execz .LBB302_2197
; %bb.2192:                             ;   in Loop: Header=BB302_2076 Depth=1
	v_bfe_u32 v31, v13, 16, 7
	v_mov_b32_e32 v19, 0x7c01
	s_mov_b32 s27, exec_lo
	v_cmpx_ne_u32_e32 0x7f, v31
	s_cbranch_execz .LBB302_2196
; %bb.2193:                             ;   in Loop: Header=BB302_2076 Depth=1
	v_and_b32_e32 v19, 7, v6
	v_lshrrev_b32_e32 v30, 3, v31
	s_mov_b32 s28, exec_lo
	v_cmpx_gt_u32_e32 8, v31
; %bb.2194:                             ;   in Loop: Header=BB302_2076 Depth=1
	v_ffbh_u32_e32 v19, v19
	v_min_u32_e32 v19, 32, v19
	v_subrev_nc_u32_e32 v30, 28, v19
	v_lshlrev_b64 v[54:55], v30, v[6:7]
	v_sub_nc_u32_e32 v30, 29, v19
	v_and_b32_e32 v19, 7, v54
; %bb.2195:                             ;   in Loop: Header=BB302_2076 Depth=1
	s_or_b32 exec_lo, exec_lo, s28
	v_lshlrev_b32_e32 v6, 8, v6
	v_lshl_add_u32 v30, v30, 10, 0x2000
	v_lshlrev_b32_e32 v19, 7, v19
	v_and_b32_e32 v6, 0x8000, v6
	v_and_b32_e32 v30, 0xfc00, v30
	v_or3_b32 v19, v6, v30, v19
.LBB302_2196:                           ;   in Loop: Header=BB302_2076 Depth=1
	s_or_b32 exec_lo, exec_lo, s27
.LBB302_2197:                           ;   in Loop: Header=BB302_2076 Depth=1
	s_or_b32 exec_lo, exec_lo, s26
.LBB302_2198:                           ;   in Loop: Header=BB302_2076 Depth=1
	s_or_b32 exec_lo, exec_lo, s25
	v_cmp_lt_u64_e64 s12, s[22:23], v[12:13]
	v_mov_b32_e32 v12, 0
	s_and_saveexec_b32 s25, s12
	s_cbranch_execz .LBB302_2206
; %bb.2199:                             ;   in Loop: Header=BB302_2076 Depth=1
	v_lshrrev_b32_e32 v6, 24, v13
	v_bfrev_b32_e32 v12, 1
	s_mov_b32 s26, exec_lo
	v_cmpx_ne_u32_e32 0x80, v6
	s_cbranch_execz .LBB302_2205
; %bb.2200:                             ;   in Loop: Header=BB302_2076 Depth=1
	v_and_b32_e32 v30, 0x7f, v6
	v_mov_b32_e32 v12, 0x7c010000
	s_mov_b32 s27, exec_lo
	v_cmpx_ne_u32_e32 0x7f, v30
	s_cbranch_execz .LBB302_2204
; %bb.2201:                             ;   in Loop: Header=BB302_2076 Depth=1
	v_and_b32_e32 v12, 7, v6
	v_lshrrev_b32_e32 v13, 3, v30
	s_mov_b32 s28, exec_lo
	v_cmpx_gt_u32_e32 8, v30
; %bb.2202:                             ;   in Loop: Header=BB302_2076 Depth=1
	v_ffbh_u32_e32 v12, v12
	v_min_u32_e32 v30, 32, v12
	v_subrev_nc_u32_e32 v12, 28, v30
	v_lshlrev_b64 v[12:13], v12, v[6:7]
	v_sub_nc_u32_e32 v13, 29, v30
	v_and_b32_e32 v12, 7, v12
; %bb.2203:                             ;   in Loop: Header=BB302_2076 Depth=1
	s_or_b32 exec_lo, exec_lo, s28
	v_lshlrev_b32_e32 v6, 8, v6
	v_lshl_add_u32 v13, v13, 10, 0x2000
	v_lshlrev_b32_e32 v12, 23, v12
	v_and_or_b32 v6, 0x8000, v6, v13
	v_lshl_or_b32 v12, v6, 16, v12
.LBB302_2204:                           ;   in Loop: Header=BB302_2076 Depth=1
	s_or_b32 exec_lo, exec_lo, s27
.LBB302_2205:                           ;   in Loop: Header=BB302_2076 Depth=1
	s_or_b32 exec_lo, exec_lo, s26
.LBB302_2206:                           ;   in Loop: Header=BB302_2076 Depth=1
	s_or_b32 exec_lo, exec_lo, s25
	v_or_b32_e32 v6, v15, v18
	s_waitcnt vmcnt(0) lgkmcnt(0)
	v_fma_mixlo_f16 v13, v0, v15, 0 op_sel:[0,1,0] op_sel_hi:[0,1,0]
	v_or_b32_e32 v14, v1, v14
	v_fma_mixlo_f16 v15, v0, v1, 0 op_sel:[0,1,0] op_sel_hi:[0,1,0]
	v_or_b32_e32 v18, v29, v28
	v_or_b32_e32 v19, v12, v19
	v_fma_mixlo_f16 v6, v0, v6, 0 op_sel_hi:[0,1,0]
	v_lshlrev_b32_e32 v1, 16, v13
	v_lshlrev_b32_e32 v13, 16, v15
	v_fma_mixlo_f16 v14, v0, v14, 0 op_sel_hi:[0,1,0]
	v_fma_mixlo_f16 v15, v0, v29, 0 op_sel:[0,1,0] op_sel_hi:[0,1,0]
	v_fma_mixlo_f16 v18, v0, v18, 0 op_sel_hi:[0,1,0]
	v_fma_mixlo_f16 v12, v0, v12, 0 op_sel:[0,1,0] op_sel_hi:[0,1,0]
	v_fma_mixlo_f16 v0, v0, v19, 0 op_sel_hi:[0,1,0]
	v_and_b32_e32 v6, 0xffff, v6
	v_and_b32_e32 v30, 0xffff, v14
	v_lshlrev_b32_e32 v19, 16, v15
	v_and_b32_e32 v29, 0xffff, v18
	v_lshlrev_b32_e32 v18, 16, v12
	v_and_b32_e32 v28, 0xffff, v0
	v_or_b32_e32 v0, v1, v6
	v_or_b32_e32 v15, v13, v30
	;; [unrolled: 1-line block ×4, first 2 shown]
	s_and_saveexec_b32 s12, s7
	s_cbranch_execz .LBB302_2208
; %bb.2207:                             ;   in Loop: Header=BB302_2076 Depth=1
	v_cndmask_b32_e32 v0, 0, v30, vcc_lo
	v_cndmask_b32_e64 v12, 0, v13, s5
	v_cndmask_b32_e64 v6, 0, v6, s4
	v_cndmask_b32_e64 v1, 0, v1, s6
	v_cndmask_b32_e64 v13, 0, v29, s8
	v_cndmask_b32_e64 v14, 0, v19, s9
	v_cndmask_b32_e64 v19, 0, v28, s10
	v_cndmask_b32_e64 v18, 0, v18, s11
	v_or_b32_e32 v15, v0, v12
	v_or_b32_e32 v0, v6, v1
	v_or_b32_e32 v14, v13, v14
	v_or_b32_e32 v12, v19, v18
.LBB302_2208:                           ;   in Loop: Header=BB302_2076 Depth=1
	s_or_b32 exec_lo, exec_lo, s12
	;;#ASMSTART
	v_pk_mul_f16 v1, v102, v15;

	;;#ASMEND
	;;#ASMSTART
	v_pk_mul_f16 v0, v101, v0;

	;;#ASMEND
	;; [unrolled: 4-line block ×4, first 2 shown]
	;;#ASMSTART
	v_pk_add_f16 v0, v1, v0;

	;;#ASMEND
	;;#ASMSTART
	v_pk_add_f16 v0, v0, v6;

	;;#ASMEND
	;; [unrolled: 4-line block ×3, first 2 shown]
	v_and_b32_e32 v1, 0xffff, v0
	v_lshrrev_b32_e32 v0, 16, v0
	;;#ASMSTART
	v_cvt_f32_f16 v113, v1;
	;;#ASMEND
	;;#ASMSTART
	v_cvt_f32_f16 v67, v0;
	;;#ASMEND
	flat_load_dwordx2 v[12:13], v[10:11] offset:512
	s_clause 0x1
	buffer_load_dword v0, off, s[0:3], s32 offset:192
	buffer_load_dword v1, off, s[0:3], s32 offset:196
	v_mov_b32_e32 v14, 0
	s_waitcnt vmcnt(2) lgkmcnt(0)
	v_cmp_ne_u16_sdwa s12, v12, v7 src0_sel:BYTE_0 src1_sel:DWORD
	s_waitcnt vmcnt(0)
	flat_load_dword v0, v[0:1]
	v_mov_b32_e32 v1, 0
	s_and_saveexec_b32 s25, s12
	s_cbranch_execz .LBB302_2216
; %bb.2209:                             ;   in Loop: Header=BB302_2076 Depth=1
	v_cmp_ne_u16_sdwa s12, v12, v86 src0_sel:BYTE_0 src1_sel:DWORD
	v_mov_b32_e32 v14, 0x8000
	s_and_saveexec_b32 s26, s12
	s_cbranch_execz .LBB302_2215
; %bb.2210:                             ;   in Loop: Header=BB302_2076 Depth=1
	v_and_b32_e32 v15, 0x7f, v12
	v_mov_b32_e32 v14, 0x7c01
	s_mov_b32 s27, exec_lo
	v_cmpx_ne_u32_e32 0x7f, v15
	s_cbranch_execz .LBB302_2214
; %bb.2211:                             ;   in Loop: Header=BB302_2076 Depth=1
	v_and_b32_e32 v6, 7, v12
	v_lshrrev_b32_e32 v14, 3, v15
	s_mov_b32 s28, exec_lo
	v_cmpx_gt_u32_e32 8, v15
; %bb.2212:                             ;   in Loop: Header=BB302_2076 Depth=1
	v_ffbh_u32_e32 v6, v6
	v_min_u32_e32 v6, 32, v6
	v_subrev_nc_u32_e32 v14, 28, v6
	v_lshlrev_b64 v[18:19], v14, v[12:13]
	v_sub_nc_u32_e32 v14, 29, v6
	v_and_b32_e32 v6, 7, v18
; %bb.2213:                             ;   in Loop: Header=BB302_2076 Depth=1
	s_or_b32 exec_lo, exec_lo, s28
	v_lshlrev_b32_e32 v15, 8, v12
	v_lshl_add_u32 v14, v14, 10, 0x2000
	v_lshlrev_b32_e32 v6, 7, v6
	v_and_b32_e32 v15, 0x8000, v15
	v_and_b32_e32 v14, 0xfc00, v14
	v_or3_b32 v14, v15, v14, v6
.LBB302_2214:                           ;   in Loop: Header=BB302_2076 Depth=1
	s_or_b32 exec_lo, exec_lo, s27
.LBB302_2215:                           ;   in Loop: Header=BB302_2076 Depth=1
	s_or_b32 exec_lo, exec_lo, s26
.LBB302_2216:                           ;   in Loop: Header=BB302_2076 Depth=1
	s_or_b32 exec_lo, exec_lo, s25
	v_lshrrev_b16 v6, 8, v12
	s_mov_b32 s25, exec_lo
	v_cmpx_ne_u16_e32 0, v6
	s_cbranch_execz .LBB302_2224
; %bb.2217:                             ;   in Loop: Header=BB302_2076 Depth=1
	v_bfrev_b32_e32 v1, 1
	s_mov_b32 s26, exec_lo
	v_cmpx_ne_u16_e32 0x80, v6
	s_cbranch_execz .LBB302_2223
; %bb.2218:                             ;   in Loop: Header=BB302_2076 Depth=1
	v_and_b32_sdwa v18, v6, v87 dst_sel:DWORD dst_unused:UNUSED_PAD src0_sel:WORD_0 src1_sel:DWORD
	v_mov_b32_e32 v1, 0x7c010000
	s_mov_b32 s27, exec_lo
	v_cmpx_ne_u32_e32 0x7f, v18
	s_cbranch_execz .LBB302_2222
; %bb.2219:                             ;   in Loop: Header=BB302_2076 Depth=1
	v_and_b32_sdwa v1, v6, v96 dst_sel:DWORD dst_unused:UNUSED_PAD src0_sel:WORD_0 src1_sel:DWORD
	v_lshrrev_b32_e32 v15, 3, v18
	s_mov_b32 s28, exec_lo
	v_cmpx_gt_u32_e32 8, v18
; %bb.2220:                             ;   in Loop: Header=BB302_2076 Depth=1
	v_ffbh_u32_e32 v1, v1
	v_min_u32_e32 v1, 32, v1
	v_subrev_nc_u32_e32 v15, 28, v1
	v_lshlrev_b64 v[18:19], v15, v[6:7]
	v_sub_nc_u32_e32 v15, 29, v1
	v_and_b32_e32 v1, 7, v18
; %bb.2221:                             ;   in Loop: Header=BB302_2076 Depth=1
	s_or_b32 exec_lo, exec_lo, s28
	v_lshlrev_b32_sdwa v6, v97, v6 dst_sel:DWORD dst_unused:UNUSED_PAD src0_sel:DWORD src1_sel:WORD_0
	v_lshl_add_u32 v15, v15, 10, 0x2000
	v_lshlrev_b32_e32 v1, 23, v1
	v_and_or_b32 v6, 0x8000, v6, v15
	v_lshl_or_b32 v1, v6, 16, v1
.LBB302_2222:                           ;   in Loop: Header=BB302_2076 Depth=1
	s_or_b32 exec_lo, exec_lo, s27
.LBB302_2223:                           ;   in Loop: Header=BB302_2076 Depth=1
	s_or_b32 exec_lo, exec_lo, s26
.LBB302_2224:                           ;   in Loop: Header=BB302_2076 Depth=1
	s_or_b32 exec_lo, exec_lo, s25
	v_lshrrev_b32_e32 v6, 16, v12
	v_mov_b32_e32 v15, 0
	v_mov_b32_e32 v18, 0
	v_cmp_ne_u16_sdwa s12, v6, v7 src0_sel:BYTE_0 src1_sel:DWORD
	s_and_saveexec_b32 s25, s12
	s_cbranch_execz .LBB302_2232
; %bb.2225:                             ;   in Loop: Header=BB302_2076 Depth=1
	v_cmp_ne_u16_sdwa s12, v6, v86 src0_sel:BYTE_0 src1_sel:DWORD
	v_mov_b32_e32 v18, 0x8000
	s_and_saveexec_b32 s26, s12
	s_cbranch_execz .LBB302_2231
; %bb.2226:                             ;   in Loop: Header=BB302_2076 Depth=1
	v_bfe_u32 v28, v12, 16, 7
	v_mov_b32_e32 v18, 0x7c01
	s_mov_b32 s27, exec_lo
	v_cmpx_ne_u32_e32 0x7f, v28
	s_cbranch_execz .LBB302_2230
; %bb.2227:                             ;   in Loop: Header=BB302_2076 Depth=1
	v_and_b32_e32 v18, 7, v6
	v_lshrrev_b32_e32 v19, 3, v28
	s_mov_b32 s28, exec_lo
	v_cmpx_gt_u32_e32 8, v28
; %bb.2228:                             ;   in Loop: Header=BB302_2076 Depth=1
	v_ffbh_u32_e32 v18, v18
	v_min_u32_e32 v28, 32, v18
	v_subrev_nc_u32_e32 v18, 28, v28
	v_lshlrev_b64 v[18:19], v18, v[6:7]
	v_sub_nc_u32_e32 v19, 29, v28
	v_and_b32_e32 v18, 7, v18
; %bb.2229:                             ;   in Loop: Header=BB302_2076 Depth=1
	s_or_b32 exec_lo, exec_lo, s28
	v_lshlrev_b32_e32 v6, 8, v6
	v_lshl_add_u32 v19, v19, 10, 0x2000
	v_lshlrev_b32_e32 v18, 7, v18
	v_and_b32_e32 v6, 0x8000, v6
	v_and_b32_e32 v19, 0xfc00, v19
	v_or3_b32 v18, v6, v19, v18
.LBB302_2230:                           ;   in Loop: Header=BB302_2076 Depth=1
	s_or_b32 exec_lo, exec_lo, s27
.LBB302_2231:                           ;   in Loop: Header=BB302_2076 Depth=1
	s_or_b32 exec_lo, exec_lo, s26
.LBB302_2232:                           ;   in Loop: Header=BB302_2076 Depth=1
	s_or_b32 exec_lo, exec_lo, s25
	s_mov_b32 s25, exec_lo
	v_cmpx_lt_u32_e32 0xffffff, v12
	s_cbranch_execz .LBB302_2240
; %bb.2233:                             ;   in Loop: Header=BB302_2076 Depth=1
	v_lshrrev_b32_e32 v6, 24, v12
	v_bfrev_b32_e32 v15, 1
	s_mov_b32 s26, exec_lo
	v_cmpx_ne_u32_e32 0x80, v6
	s_cbranch_execz .LBB302_2239
; %bb.2234:                             ;   in Loop: Header=BB302_2076 Depth=1
	v_and_b32_e32 v28, 0x7f, v6
	v_mov_b32_e32 v15, 0x7c010000
	s_mov_b32 s27, exec_lo
	v_cmpx_ne_u32_e32 0x7f, v28
	s_cbranch_execz .LBB302_2238
; %bb.2235:                             ;   in Loop: Header=BB302_2076 Depth=1
	v_and_b32_e32 v15, 7, v6
	v_lshrrev_b32_e32 v19, 3, v28
	s_mov_b32 s28, exec_lo
	v_cmpx_gt_u32_e32 8, v28
; %bb.2236:                             ;   in Loop: Header=BB302_2076 Depth=1
	v_ffbh_u32_e32 v15, v15
	v_min_u32_e32 v15, 32, v15
	v_subrev_nc_u32_e32 v19, 28, v15
	v_lshlrev_b64 v[28:29], v19, v[6:7]
	v_sub_nc_u32_e32 v19, 29, v15
	v_and_b32_e32 v15, 7, v28
; %bb.2237:                             ;   in Loop: Header=BB302_2076 Depth=1
	s_or_b32 exec_lo, exec_lo, s28
	v_lshlrev_b32_e32 v6, 8, v6
	v_lshl_add_u32 v19, v19, 10, 0x2000
	v_lshlrev_b32_e32 v15, 23, v15
	v_and_or_b32 v6, 0x8000, v6, v19
	v_lshl_or_b32 v15, v6, 16, v15
.LBB302_2238:                           ;   in Loop: Header=BB302_2076 Depth=1
	s_or_b32 exec_lo, exec_lo, s27
.LBB302_2239:                           ;   in Loop: Header=BB302_2076 Depth=1
	s_or_b32 exec_lo, exec_lo, s26
.LBB302_2240:                           ;   in Loop: Header=BB302_2076 Depth=1
	s_or_b32 exec_lo, exec_lo, s25
	v_mov_b32_e32 v6, v13
	v_cmp_ne_u16_sdwa s12, v13, v7 src0_sel:BYTE_0 src1_sel:DWORD
	v_mov_b32_e32 v19, 0
	v_mov_b32_e32 v28, 0
	s_and_saveexec_b32 s25, s12
	s_cbranch_execz .LBB302_2248
; %bb.2241:                             ;   in Loop: Header=BB302_2076 Depth=1
	v_cmp_ne_u16_sdwa s12, v13, v86 src0_sel:BYTE_0 src1_sel:DWORD
	v_mov_b32_e32 v28, 0x8000
	s_and_saveexec_b32 s26, s12
	s_cbranch_execz .LBB302_2247
; %bb.2242:                             ;   in Loop: Header=BB302_2076 Depth=1
	v_and_b32_e32 v30, 0x7f, v13
	v_mov_b32_e32 v28, 0x7c01
	s_mov_b32 s27, exec_lo
	v_cmpx_ne_u32_e32 0x7f, v30
	s_cbranch_execz .LBB302_2246
; %bb.2243:                             ;   in Loop: Header=BB302_2076 Depth=1
	v_and_b32_e32 v28, 7, v13
	v_lshrrev_b32_e32 v29, 3, v30
	s_mov_b32 s28, exec_lo
	v_cmpx_gt_u32_e32 8, v30
; %bb.2244:                             ;   in Loop: Header=BB302_2076 Depth=1
	v_ffbh_u32_e32 v28, v28
	v_min_u32_e32 v30, 32, v28
	v_subrev_nc_u32_e32 v28, 28, v30
	v_lshlrev_b64 v[28:29], v28, v[6:7]
	v_sub_nc_u32_e32 v29, 29, v30
	v_and_b32_e32 v28, 7, v28
; %bb.2245:                             ;   in Loop: Header=BB302_2076 Depth=1
	s_or_b32 exec_lo, exec_lo, s28
	v_lshlrev_b32_e32 v30, 8, v13
	v_lshl_add_u32 v29, v29, 10, 0x2000
	v_lshlrev_b32_e32 v28, 7, v28
	v_and_b32_e32 v30, 0x8000, v30
	v_and_b32_e32 v29, 0xfc00, v29
	v_or3_b32 v28, v30, v29, v28
.LBB302_2246:                           ;   in Loop: Header=BB302_2076 Depth=1
	s_or_b32 exec_lo, exec_lo, s27
.LBB302_2247:                           ;   in Loop: Header=BB302_2076 Depth=1
	s_or_b32 exec_lo, exec_lo, s26
.LBB302_2248:                           ;   in Loop: Header=BB302_2076 Depth=1
	s_or_b32 exec_lo, exec_lo, s25
	v_lshrrev_b16 v6, 8, v6
	v_mov_b32_e32 v29, 0
	s_mov_b32 s25, exec_lo
	v_cmpx_ne_u16_e32 0, v6
	s_cbranch_execz .LBB302_2256
; %bb.2249:                             ;   in Loop: Header=BB302_2076 Depth=1
	v_bfrev_b32_e32 v29, 1
	s_mov_b32 s26, exec_lo
	v_cmpx_ne_u16_e32 0x80, v6
	s_cbranch_execz .LBB302_2255
; %bb.2250:                             ;   in Loop: Header=BB302_2076 Depth=1
	v_and_b32_sdwa v31, v6, v87 dst_sel:DWORD dst_unused:UNUSED_PAD src0_sel:WORD_0 src1_sel:DWORD
	v_mov_b32_e32 v29, 0x7c010000
	s_mov_b32 s27, exec_lo
	v_cmpx_ne_u32_e32 0x7f, v31
	s_cbranch_execz .LBB302_2254
; %bb.2251:                             ;   in Loop: Header=BB302_2076 Depth=1
	v_and_b32_sdwa v29, v6, v96 dst_sel:DWORD dst_unused:UNUSED_PAD src0_sel:WORD_0 src1_sel:DWORD
	v_lshrrev_b32_e32 v30, 3, v31
	s_mov_b32 s28, exec_lo
	v_cmpx_gt_u32_e32 8, v31
; %bb.2252:                             ;   in Loop: Header=BB302_2076 Depth=1
	v_ffbh_u32_e32 v29, v29
	v_min_u32_e32 v31, 32, v29
	v_subrev_nc_u32_e32 v29, 28, v31
	v_lshlrev_b64 v[29:30], v29, v[6:7]
	v_sub_nc_u32_e32 v30, 29, v31
	v_and_b32_e32 v29, 7, v29
; %bb.2253:                             ;   in Loop: Header=BB302_2076 Depth=1
	s_or_b32 exec_lo, exec_lo, s28
	v_lshlrev_b32_sdwa v6, v97, v6 dst_sel:DWORD dst_unused:UNUSED_PAD src0_sel:DWORD src1_sel:WORD_0
	v_lshl_add_u32 v30, v30, 10, 0x2000
	v_lshlrev_b32_e32 v29, 23, v29
	v_and_or_b32 v6, 0x8000, v6, v30
	v_lshl_or_b32 v29, v6, 16, v29
.LBB302_2254:                           ;   in Loop: Header=BB302_2076 Depth=1
	s_or_b32 exec_lo, exec_lo, s27
.LBB302_2255:                           ;   in Loop: Header=BB302_2076 Depth=1
	s_or_b32 exec_lo, exec_lo, s26
.LBB302_2256:                           ;   in Loop: Header=BB302_2076 Depth=1
	s_or_b32 exec_lo, exec_lo, s25
	v_lshrrev_b32_e32 v6, 16, v13
	v_cmp_ne_u16_sdwa s12, v6, v7 src0_sel:BYTE_0 src1_sel:DWORD
	s_and_saveexec_b32 s25, s12
	s_cbranch_execz .LBB302_2264
; %bb.2257:                             ;   in Loop: Header=BB302_2076 Depth=1
	v_cmp_ne_u16_sdwa s12, v6, v86 src0_sel:BYTE_0 src1_sel:DWORD
	v_mov_b32_e32 v19, 0x8000
	s_and_saveexec_b32 s26, s12
	s_cbranch_execz .LBB302_2263
; %bb.2258:                             ;   in Loop: Header=BB302_2076 Depth=1
	v_bfe_u32 v31, v13, 16, 7
	v_mov_b32_e32 v19, 0x7c01
	s_mov_b32 s27, exec_lo
	v_cmpx_ne_u32_e32 0x7f, v31
	s_cbranch_execz .LBB302_2262
; %bb.2259:                             ;   in Loop: Header=BB302_2076 Depth=1
	v_and_b32_e32 v19, 7, v6
	v_lshrrev_b32_e32 v30, 3, v31
	s_mov_b32 s28, exec_lo
	v_cmpx_gt_u32_e32 8, v31
; %bb.2260:                             ;   in Loop: Header=BB302_2076 Depth=1
	v_ffbh_u32_e32 v19, v19
	v_min_u32_e32 v19, 32, v19
	v_subrev_nc_u32_e32 v30, 28, v19
	v_lshlrev_b64 v[54:55], v30, v[6:7]
	v_sub_nc_u32_e32 v30, 29, v19
	v_and_b32_e32 v19, 7, v54
; %bb.2261:                             ;   in Loop: Header=BB302_2076 Depth=1
	s_or_b32 exec_lo, exec_lo, s28
	v_lshlrev_b32_e32 v6, 8, v6
	v_lshl_add_u32 v30, v30, 10, 0x2000
	v_lshlrev_b32_e32 v19, 7, v19
	v_and_b32_e32 v6, 0x8000, v6
	v_and_b32_e32 v30, 0xfc00, v30
	v_or3_b32 v19, v6, v30, v19
.LBB302_2262:                           ;   in Loop: Header=BB302_2076 Depth=1
	s_or_b32 exec_lo, exec_lo, s27
.LBB302_2263:                           ;   in Loop: Header=BB302_2076 Depth=1
	s_or_b32 exec_lo, exec_lo, s26
.LBB302_2264:                           ;   in Loop: Header=BB302_2076 Depth=1
	s_or_b32 exec_lo, exec_lo, s25
	v_cmp_lt_u64_e64 s12, s[22:23], v[12:13]
	v_mov_b32_e32 v12, 0
	s_and_saveexec_b32 s25, s12
	s_cbranch_execz .LBB302_2272
; %bb.2265:                             ;   in Loop: Header=BB302_2076 Depth=1
	v_lshrrev_b32_e32 v6, 24, v13
	v_bfrev_b32_e32 v12, 1
	s_mov_b32 s26, exec_lo
	v_cmpx_ne_u32_e32 0x80, v6
	s_cbranch_execz .LBB302_2271
; %bb.2266:                             ;   in Loop: Header=BB302_2076 Depth=1
	v_and_b32_e32 v30, 0x7f, v6
	v_mov_b32_e32 v12, 0x7c010000
	s_mov_b32 s27, exec_lo
	v_cmpx_ne_u32_e32 0x7f, v30
	s_cbranch_execz .LBB302_2270
; %bb.2267:                             ;   in Loop: Header=BB302_2076 Depth=1
	v_and_b32_e32 v12, 7, v6
	v_lshrrev_b32_e32 v13, 3, v30
	s_mov_b32 s28, exec_lo
	v_cmpx_gt_u32_e32 8, v30
; %bb.2268:                             ;   in Loop: Header=BB302_2076 Depth=1
	v_ffbh_u32_e32 v12, v12
	v_min_u32_e32 v30, 32, v12
	v_subrev_nc_u32_e32 v12, 28, v30
	v_lshlrev_b64 v[12:13], v12, v[6:7]
	v_sub_nc_u32_e32 v13, 29, v30
	v_and_b32_e32 v12, 7, v12
; %bb.2269:                             ;   in Loop: Header=BB302_2076 Depth=1
	s_or_b32 exec_lo, exec_lo, s28
	v_lshlrev_b32_e32 v6, 8, v6
	v_lshl_add_u32 v13, v13, 10, 0x2000
	v_lshlrev_b32_e32 v12, 23, v12
	v_and_or_b32 v6, 0x8000, v6, v13
	v_lshl_or_b32 v12, v6, 16, v12
.LBB302_2270:                           ;   in Loop: Header=BB302_2076 Depth=1
	s_or_b32 exec_lo, exec_lo, s27
.LBB302_2271:                           ;   in Loop: Header=BB302_2076 Depth=1
	s_or_b32 exec_lo, exec_lo, s26
.LBB302_2272:                           ;   in Loop: Header=BB302_2076 Depth=1
	s_or_b32 exec_lo, exec_lo, s25
	v_or_b32_e32 v6, v15, v18
	s_waitcnt vmcnt(0) lgkmcnt(0)
	v_fma_mixlo_f16 v13, v0, v15, 0 op_sel:[0,1,0] op_sel_hi:[0,1,0]
	v_or_b32_e32 v14, v1, v14
	v_fma_mixlo_f16 v15, v0, v1, 0 op_sel:[0,1,0] op_sel_hi:[0,1,0]
	v_or_b32_e32 v18, v29, v28
	v_or_b32_e32 v19, v12, v19
	v_fma_mixlo_f16 v6, v0, v6, 0 op_sel_hi:[0,1,0]
	v_lshlrev_b32_e32 v1, 16, v13
	v_lshlrev_b32_e32 v13, 16, v15
	v_fma_mixlo_f16 v14, v0, v14, 0 op_sel_hi:[0,1,0]
	v_fma_mixlo_f16 v15, v0, v29, 0 op_sel:[0,1,0] op_sel_hi:[0,1,0]
	v_fma_mixlo_f16 v18, v0, v18, 0 op_sel_hi:[0,1,0]
	v_fma_mixlo_f16 v12, v0, v12, 0 op_sel:[0,1,0] op_sel_hi:[0,1,0]
	v_fma_mixlo_f16 v0, v0, v19, 0 op_sel_hi:[0,1,0]
	v_and_b32_e32 v6, 0xffff, v6
	v_and_b32_e32 v30, 0xffff, v14
	v_lshlrev_b32_e32 v19, 16, v15
	v_and_b32_e32 v29, 0xffff, v18
	v_lshlrev_b32_e32 v18, 16, v12
	v_and_b32_e32 v28, 0xffff, v0
	v_or_b32_e32 v0, v1, v6
	v_or_b32_e32 v15, v13, v30
	;; [unrolled: 1-line block ×4, first 2 shown]
	s_and_saveexec_b32 s12, s7
	s_cbranch_execz .LBB302_2274
; %bb.2273:                             ;   in Loop: Header=BB302_2076 Depth=1
	v_cndmask_b32_e32 v0, 0, v30, vcc_lo
	v_cndmask_b32_e64 v12, 0, v13, s5
	v_cndmask_b32_e64 v6, 0, v6, s4
	;; [unrolled: 1-line block ×7, first 2 shown]
	v_or_b32_e32 v15, v0, v12
	v_or_b32_e32 v0, v6, v1
	;; [unrolled: 1-line block ×4, first 2 shown]
.LBB302_2274:                           ;   in Loop: Header=BB302_2076 Depth=1
	s_or_b32 exec_lo, exec_lo, s12
	;;#ASMSTART
	v_pk_mul_f16 v1, v102, v15;

	;;#ASMEND
	;;#ASMSTART
	v_pk_mul_f16 v0, v101, v0;

	;;#ASMEND
	;; [unrolled: 4-line block ×4, first 2 shown]
	;;#ASMSTART
	v_pk_add_f16 v0, v1, v0;

	;;#ASMEND
	;;#ASMSTART
	v_pk_add_f16 v0, v0, v6;

	;;#ASMEND
	;; [unrolled: 4-line block ×3, first 2 shown]
	v_and_b32_e32 v1, 0xffff, v0
	v_lshrrev_b32_e32 v0, 16, v0
	;;#ASMSTART
	v_cvt_f32_f16 v68, v1;
	;;#ASMEND
	;;#ASMSTART
	v_cvt_f32_f16 v55, v0;
	;;#ASMEND
	flat_load_dwordx2 v[12:13], v[10:11] offset:768
	s_clause 0x1
	buffer_load_dword v0, off, s[0:3], s32 offset:192
	buffer_load_dword v1, off, s[0:3], s32 offset:196
	v_mov_b32_e32 v14, 0
	s_waitcnt vmcnt(2) lgkmcnt(0)
	v_cmp_ne_u16_sdwa s12, v12, v7 src0_sel:BYTE_0 src1_sel:DWORD
	s_waitcnt vmcnt(0)
	flat_load_dword v0, v[0:1]
	v_mov_b32_e32 v1, 0
	s_and_saveexec_b32 s25, s12
	s_cbranch_execz .LBB302_2282
; %bb.2275:                             ;   in Loop: Header=BB302_2076 Depth=1
	v_cmp_ne_u16_sdwa s12, v12, v86 src0_sel:BYTE_0 src1_sel:DWORD
	v_mov_b32_e32 v14, 0x8000
	s_and_saveexec_b32 s26, s12
	s_cbranch_execz .LBB302_2281
; %bb.2276:                             ;   in Loop: Header=BB302_2076 Depth=1
	v_and_b32_e32 v15, 0x7f, v12
	v_mov_b32_e32 v14, 0x7c01
	s_mov_b32 s27, exec_lo
	v_cmpx_ne_u32_e32 0x7f, v15
	s_cbranch_execz .LBB302_2280
; %bb.2277:                             ;   in Loop: Header=BB302_2076 Depth=1
	v_and_b32_e32 v6, 7, v12
	v_lshrrev_b32_e32 v14, 3, v15
	s_mov_b32 s28, exec_lo
	v_cmpx_gt_u32_e32 8, v15
; %bb.2278:                             ;   in Loop: Header=BB302_2076 Depth=1
	v_ffbh_u32_e32 v6, v6
	v_min_u32_e32 v6, 32, v6
	v_subrev_nc_u32_e32 v14, 28, v6
	v_lshlrev_b64 v[18:19], v14, v[12:13]
	v_sub_nc_u32_e32 v14, 29, v6
	v_and_b32_e32 v6, 7, v18
; %bb.2279:                             ;   in Loop: Header=BB302_2076 Depth=1
	s_or_b32 exec_lo, exec_lo, s28
	v_lshlrev_b32_e32 v15, 8, v12
	v_lshl_add_u32 v14, v14, 10, 0x2000
	v_lshlrev_b32_e32 v6, 7, v6
	v_and_b32_e32 v15, 0x8000, v15
	v_and_b32_e32 v14, 0xfc00, v14
	v_or3_b32 v14, v15, v14, v6
.LBB302_2280:                           ;   in Loop: Header=BB302_2076 Depth=1
	s_or_b32 exec_lo, exec_lo, s27
.LBB302_2281:                           ;   in Loop: Header=BB302_2076 Depth=1
	s_or_b32 exec_lo, exec_lo, s26
.LBB302_2282:                           ;   in Loop: Header=BB302_2076 Depth=1
	s_or_b32 exec_lo, exec_lo, s25
	v_lshrrev_b16 v6, 8, v12
	s_mov_b32 s25, exec_lo
	v_cmpx_ne_u16_e32 0, v6
	s_cbranch_execz .LBB302_2290
; %bb.2283:                             ;   in Loop: Header=BB302_2076 Depth=1
	v_bfrev_b32_e32 v1, 1
	s_mov_b32 s26, exec_lo
	v_cmpx_ne_u16_e32 0x80, v6
	s_cbranch_execz .LBB302_2289
; %bb.2284:                             ;   in Loop: Header=BB302_2076 Depth=1
	v_and_b32_sdwa v18, v6, v87 dst_sel:DWORD dst_unused:UNUSED_PAD src0_sel:WORD_0 src1_sel:DWORD
	v_mov_b32_e32 v1, 0x7c010000
	s_mov_b32 s27, exec_lo
	v_cmpx_ne_u32_e32 0x7f, v18
	s_cbranch_execz .LBB302_2288
; %bb.2285:                             ;   in Loop: Header=BB302_2076 Depth=1
	v_and_b32_sdwa v1, v6, v96 dst_sel:DWORD dst_unused:UNUSED_PAD src0_sel:WORD_0 src1_sel:DWORD
	v_lshrrev_b32_e32 v15, 3, v18
	s_mov_b32 s28, exec_lo
	v_cmpx_gt_u32_e32 8, v18
; %bb.2286:                             ;   in Loop: Header=BB302_2076 Depth=1
	v_ffbh_u32_e32 v1, v1
	v_min_u32_e32 v1, 32, v1
	v_subrev_nc_u32_e32 v15, 28, v1
	v_lshlrev_b64 v[18:19], v15, v[6:7]
	v_sub_nc_u32_e32 v15, 29, v1
	v_and_b32_e32 v1, 7, v18
; %bb.2287:                             ;   in Loop: Header=BB302_2076 Depth=1
	s_or_b32 exec_lo, exec_lo, s28
	v_lshlrev_b32_sdwa v6, v97, v6 dst_sel:DWORD dst_unused:UNUSED_PAD src0_sel:DWORD src1_sel:WORD_0
	v_lshl_add_u32 v15, v15, 10, 0x2000
	v_lshlrev_b32_e32 v1, 23, v1
	v_and_or_b32 v6, 0x8000, v6, v15
	v_lshl_or_b32 v1, v6, 16, v1
.LBB302_2288:                           ;   in Loop: Header=BB302_2076 Depth=1
	s_or_b32 exec_lo, exec_lo, s27
.LBB302_2289:                           ;   in Loop: Header=BB302_2076 Depth=1
	s_or_b32 exec_lo, exec_lo, s26
.LBB302_2290:                           ;   in Loop: Header=BB302_2076 Depth=1
	s_or_b32 exec_lo, exec_lo, s25
	v_lshrrev_b32_e32 v6, 16, v12
	v_mov_b32_e32 v15, 0
	v_mov_b32_e32 v18, 0
	v_cmp_ne_u16_sdwa s12, v6, v7 src0_sel:BYTE_0 src1_sel:DWORD
	s_and_saveexec_b32 s25, s12
	s_cbranch_execz .LBB302_2298
; %bb.2291:                             ;   in Loop: Header=BB302_2076 Depth=1
	v_cmp_ne_u16_sdwa s12, v6, v86 src0_sel:BYTE_0 src1_sel:DWORD
	v_mov_b32_e32 v18, 0x8000
	s_and_saveexec_b32 s26, s12
	s_cbranch_execz .LBB302_2297
; %bb.2292:                             ;   in Loop: Header=BB302_2076 Depth=1
	v_bfe_u32 v28, v12, 16, 7
	v_mov_b32_e32 v18, 0x7c01
	s_mov_b32 s27, exec_lo
	v_cmpx_ne_u32_e32 0x7f, v28
	s_cbranch_execz .LBB302_2296
; %bb.2293:                             ;   in Loop: Header=BB302_2076 Depth=1
	v_and_b32_e32 v18, 7, v6
	v_lshrrev_b32_e32 v19, 3, v28
	s_mov_b32 s28, exec_lo
	v_cmpx_gt_u32_e32 8, v28
; %bb.2294:                             ;   in Loop: Header=BB302_2076 Depth=1
	v_ffbh_u32_e32 v18, v18
	v_min_u32_e32 v28, 32, v18
	v_subrev_nc_u32_e32 v18, 28, v28
	v_lshlrev_b64 v[18:19], v18, v[6:7]
	v_sub_nc_u32_e32 v19, 29, v28
	v_and_b32_e32 v18, 7, v18
; %bb.2295:                             ;   in Loop: Header=BB302_2076 Depth=1
	s_or_b32 exec_lo, exec_lo, s28
	v_lshlrev_b32_e32 v6, 8, v6
	v_lshl_add_u32 v19, v19, 10, 0x2000
	v_lshlrev_b32_e32 v18, 7, v18
	v_and_b32_e32 v6, 0x8000, v6
	v_and_b32_e32 v19, 0xfc00, v19
	v_or3_b32 v18, v6, v19, v18
.LBB302_2296:                           ;   in Loop: Header=BB302_2076 Depth=1
	s_or_b32 exec_lo, exec_lo, s27
.LBB302_2297:                           ;   in Loop: Header=BB302_2076 Depth=1
	s_or_b32 exec_lo, exec_lo, s26
.LBB302_2298:                           ;   in Loop: Header=BB302_2076 Depth=1
	s_or_b32 exec_lo, exec_lo, s25
	s_mov_b32 s25, exec_lo
	v_cmpx_lt_u32_e32 0xffffff, v12
	s_cbranch_execz .LBB302_2306
; %bb.2299:                             ;   in Loop: Header=BB302_2076 Depth=1
	v_lshrrev_b32_e32 v6, 24, v12
	v_bfrev_b32_e32 v15, 1
	s_mov_b32 s26, exec_lo
	v_cmpx_ne_u32_e32 0x80, v6
	s_cbranch_execz .LBB302_2305
; %bb.2300:                             ;   in Loop: Header=BB302_2076 Depth=1
	v_and_b32_e32 v28, 0x7f, v6
	v_mov_b32_e32 v15, 0x7c010000
	s_mov_b32 s27, exec_lo
	v_cmpx_ne_u32_e32 0x7f, v28
	s_cbranch_execz .LBB302_2304
; %bb.2301:                             ;   in Loop: Header=BB302_2076 Depth=1
	v_and_b32_e32 v15, 7, v6
	v_lshrrev_b32_e32 v19, 3, v28
	s_mov_b32 s28, exec_lo
	v_cmpx_gt_u32_e32 8, v28
; %bb.2302:                             ;   in Loop: Header=BB302_2076 Depth=1
	v_ffbh_u32_e32 v15, v15
	v_min_u32_e32 v15, 32, v15
	v_subrev_nc_u32_e32 v19, 28, v15
	v_lshlrev_b64 v[28:29], v19, v[6:7]
	v_sub_nc_u32_e32 v19, 29, v15
	v_and_b32_e32 v15, 7, v28
; %bb.2303:                             ;   in Loop: Header=BB302_2076 Depth=1
	s_or_b32 exec_lo, exec_lo, s28
	v_lshlrev_b32_e32 v6, 8, v6
	v_lshl_add_u32 v19, v19, 10, 0x2000
	v_lshlrev_b32_e32 v15, 23, v15
	v_and_or_b32 v6, 0x8000, v6, v19
	v_lshl_or_b32 v15, v6, 16, v15
.LBB302_2304:                           ;   in Loop: Header=BB302_2076 Depth=1
	s_or_b32 exec_lo, exec_lo, s27
.LBB302_2305:                           ;   in Loop: Header=BB302_2076 Depth=1
	s_or_b32 exec_lo, exec_lo, s26
.LBB302_2306:                           ;   in Loop: Header=BB302_2076 Depth=1
	s_or_b32 exec_lo, exec_lo, s25
	v_mov_b32_e32 v6, v13
	v_cmp_ne_u16_sdwa s12, v13, v7 src0_sel:BYTE_0 src1_sel:DWORD
	v_mov_b32_e32 v19, 0
	v_mov_b32_e32 v28, 0
	s_and_saveexec_b32 s25, s12
	s_cbranch_execz .LBB302_2314
; %bb.2307:                             ;   in Loop: Header=BB302_2076 Depth=1
	v_cmp_ne_u16_sdwa s12, v13, v86 src0_sel:BYTE_0 src1_sel:DWORD
	v_mov_b32_e32 v28, 0x8000
	s_and_saveexec_b32 s26, s12
	s_cbranch_execz .LBB302_2313
; %bb.2308:                             ;   in Loop: Header=BB302_2076 Depth=1
	v_and_b32_e32 v30, 0x7f, v13
	v_mov_b32_e32 v28, 0x7c01
	s_mov_b32 s27, exec_lo
	v_cmpx_ne_u32_e32 0x7f, v30
	s_cbranch_execz .LBB302_2312
; %bb.2309:                             ;   in Loop: Header=BB302_2076 Depth=1
	v_and_b32_e32 v28, 7, v13
	v_lshrrev_b32_e32 v29, 3, v30
	s_mov_b32 s28, exec_lo
	v_cmpx_gt_u32_e32 8, v30
; %bb.2310:                             ;   in Loop: Header=BB302_2076 Depth=1
	v_ffbh_u32_e32 v28, v28
	v_min_u32_e32 v30, 32, v28
	v_subrev_nc_u32_e32 v28, 28, v30
	v_lshlrev_b64 v[28:29], v28, v[6:7]
	v_sub_nc_u32_e32 v29, 29, v30
	v_and_b32_e32 v28, 7, v28
; %bb.2311:                             ;   in Loop: Header=BB302_2076 Depth=1
	s_or_b32 exec_lo, exec_lo, s28
	v_lshlrev_b32_e32 v30, 8, v13
	v_lshl_add_u32 v29, v29, 10, 0x2000
	v_lshlrev_b32_e32 v28, 7, v28
	v_and_b32_e32 v30, 0x8000, v30
	v_and_b32_e32 v29, 0xfc00, v29
	v_or3_b32 v28, v30, v29, v28
.LBB302_2312:                           ;   in Loop: Header=BB302_2076 Depth=1
	s_or_b32 exec_lo, exec_lo, s27
.LBB302_2313:                           ;   in Loop: Header=BB302_2076 Depth=1
	s_or_b32 exec_lo, exec_lo, s26
.LBB302_2314:                           ;   in Loop: Header=BB302_2076 Depth=1
	s_or_b32 exec_lo, exec_lo, s25
	v_lshrrev_b16 v6, 8, v6
	v_mov_b32_e32 v29, 0
	s_mov_b32 s25, exec_lo
	v_cmpx_ne_u16_e32 0, v6
	s_cbranch_execz .LBB302_2322
; %bb.2315:                             ;   in Loop: Header=BB302_2076 Depth=1
	v_bfrev_b32_e32 v29, 1
	s_mov_b32 s26, exec_lo
	v_cmpx_ne_u16_e32 0x80, v6
	s_cbranch_execz .LBB302_2321
; %bb.2316:                             ;   in Loop: Header=BB302_2076 Depth=1
	v_and_b32_sdwa v31, v6, v87 dst_sel:DWORD dst_unused:UNUSED_PAD src0_sel:WORD_0 src1_sel:DWORD
	v_mov_b32_e32 v29, 0x7c010000
	s_mov_b32 s27, exec_lo
	v_cmpx_ne_u32_e32 0x7f, v31
	s_cbranch_execz .LBB302_2320
; %bb.2317:                             ;   in Loop: Header=BB302_2076 Depth=1
	v_and_b32_sdwa v29, v6, v96 dst_sel:DWORD dst_unused:UNUSED_PAD src0_sel:WORD_0 src1_sel:DWORD
	v_lshrrev_b32_e32 v30, 3, v31
	s_mov_b32 s28, exec_lo
	v_cmpx_gt_u32_e32 8, v31
; %bb.2318:                             ;   in Loop: Header=BB302_2076 Depth=1
	v_ffbh_u32_e32 v29, v29
	v_min_u32_e32 v31, 32, v29
	v_subrev_nc_u32_e32 v29, 28, v31
	v_lshlrev_b64 v[29:30], v29, v[6:7]
	v_sub_nc_u32_e32 v30, 29, v31
	v_and_b32_e32 v29, 7, v29
; %bb.2319:                             ;   in Loop: Header=BB302_2076 Depth=1
	s_or_b32 exec_lo, exec_lo, s28
	v_lshlrev_b32_sdwa v6, v97, v6 dst_sel:DWORD dst_unused:UNUSED_PAD src0_sel:DWORD src1_sel:WORD_0
	v_lshl_add_u32 v30, v30, 10, 0x2000
	v_lshlrev_b32_e32 v29, 23, v29
	v_and_or_b32 v6, 0x8000, v6, v30
	v_lshl_or_b32 v29, v6, 16, v29
.LBB302_2320:                           ;   in Loop: Header=BB302_2076 Depth=1
	s_or_b32 exec_lo, exec_lo, s27
.LBB302_2321:                           ;   in Loop: Header=BB302_2076 Depth=1
	s_or_b32 exec_lo, exec_lo, s26
.LBB302_2322:                           ;   in Loop: Header=BB302_2076 Depth=1
	s_or_b32 exec_lo, exec_lo, s25
	v_lshrrev_b32_e32 v6, 16, v13
	v_cmp_ne_u16_sdwa s12, v6, v7 src0_sel:BYTE_0 src1_sel:DWORD
	s_and_saveexec_b32 s25, s12
	s_cbranch_execz .LBB302_2330
; %bb.2323:                             ;   in Loop: Header=BB302_2076 Depth=1
	v_cmp_ne_u16_sdwa s12, v6, v86 src0_sel:BYTE_0 src1_sel:DWORD
	v_mov_b32_e32 v19, 0x8000
	s_and_saveexec_b32 s26, s12
	s_cbranch_execz .LBB302_2329
; %bb.2324:                             ;   in Loop: Header=BB302_2076 Depth=1
	v_bfe_u32 v31, v13, 16, 7
	v_mov_b32_e32 v19, 0x7c01
	s_mov_b32 s27, exec_lo
	v_cmpx_ne_u32_e32 0x7f, v31
	s_cbranch_execz .LBB302_2328
; %bb.2325:                             ;   in Loop: Header=BB302_2076 Depth=1
	v_and_b32_e32 v19, 7, v6
	v_lshrrev_b32_e32 v30, 3, v31
	s_mov_b32 s28, exec_lo
	v_cmpx_gt_u32_e32 8, v31
; %bb.2326:                             ;   in Loop: Header=BB302_2076 Depth=1
	v_ffbh_u32_e32 v19, v19
	v_min_u32_e32 v19, 32, v19
	v_subrev_nc_u32_e32 v30, 28, v19
	v_lshlrev_b64 v[65:66], v30, v[6:7]
	v_sub_nc_u32_e32 v30, 29, v19
	v_and_b32_e32 v19, 7, v65
; %bb.2327:                             ;   in Loop: Header=BB302_2076 Depth=1
	s_or_b32 exec_lo, exec_lo, s28
	v_lshlrev_b32_e32 v6, 8, v6
	v_lshl_add_u32 v30, v30, 10, 0x2000
	v_lshlrev_b32_e32 v19, 7, v19
	v_and_b32_e32 v6, 0x8000, v6
	v_and_b32_e32 v30, 0xfc00, v30
	v_or3_b32 v19, v6, v30, v19
.LBB302_2328:                           ;   in Loop: Header=BB302_2076 Depth=1
	s_or_b32 exec_lo, exec_lo, s27
.LBB302_2329:                           ;   in Loop: Header=BB302_2076 Depth=1
	s_or_b32 exec_lo, exec_lo, s26
.LBB302_2330:                           ;   in Loop: Header=BB302_2076 Depth=1
	s_or_b32 exec_lo, exec_lo, s25
	v_cmp_lt_u64_e64 s12, s[22:23], v[12:13]
	v_mov_b32_e32 v12, 0
	s_and_saveexec_b32 s25, s12
	s_cbranch_execz .LBB302_2338
; %bb.2331:                             ;   in Loop: Header=BB302_2076 Depth=1
	v_lshrrev_b32_e32 v6, 24, v13
	v_bfrev_b32_e32 v12, 1
	s_mov_b32 s26, exec_lo
	v_cmpx_ne_u32_e32 0x80, v6
	s_cbranch_execz .LBB302_2337
; %bb.2332:                             ;   in Loop: Header=BB302_2076 Depth=1
	v_and_b32_e32 v30, 0x7f, v6
	v_mov_b32_e32 v12, 0x7c010000
	s_mov_b32 s27, exec_lo
	v_cmpx_ne_u32_e32 0x7f, v30
	s_cbranch_execz .LBB302_2336
; %bb.2333:                             ;   in Loop: Header=BB302_2076 Depth=1
	v_and_b32_e32 v12, 7, v6
	v_lshrrev_b32_e32 v13, 3, v30
	s_mov_b32 s28, exec_lo
	v_cmpx_gt_u32_e32 8, v30
; %bb.2334:                             ;   in Loop: Header=BB302_2076 Depth=1
	v_ffbh_u32_e32 v12, v12
	v_min_u32_e32 v30, 32, v12
	v_subrev_nc_u32_e32 v12, 28, v30
	v_lshlrev_b64 v[12:13], v12, v[6:7]
	v_sub_nc_u32_e32 v13, 29, v30
	v_and_b32_e32 v12, 7, v12
; %bb.2335:                             ;   in Loop: Header=BB302_2076 Depth=1
	s_or_b32 exec_lo, exec_lo, s28
	v_lshlrev_b32_e32 v6, 8, v6
	v_lshl_add_u32 v13, v13, 10, 0x2000
	v_lshlrev_b32_e32 v12, 23, v12
	v_and_or_b32 v6, 0x8000, v6, v13
	v_lshl_or_b32 v12, v6, 16, v12
.LBB302_2336:                           ;   in Loop: Header=BB302_2076 Depth=1
	s_or_b32 exec_lo, exec_lo, s27
.LBB302_2337:                           ;   in Loop: Header=BB302_2076 Depth=1
	s_or_b32 exec_lo, exec_lo, s26
.LBB302_2338:                           ;   in Loop: Header=BB302_2076 Depth=1
	s_or_b32 exec_lo, exec_lo, s25
	v_or_b32_e32 v6, v15, v18
	s_waitcnt vmcnt(0) lgkmcnt(0)
	v_fma_mixlo_f16 v13, v0, v15, 0 op_sel:[0,1,0] op_sel_hi:[0,1,0]
	v_or_b32_e32 v14, v1, v14
	v_fma_mixlo_f16 v15, v0, v1, 0 op_sel:[0,1,0] op_sel_hi:[0,1,0]
	v_or_b32_e32 v18, v29, v28
	v_or_b32_e32 v19, v12, v19
	v_fma_mixlo_f16 v6, v0, v6, 0 op_sel_hi:[0,1,0]
	v_lshlrev_b32_e32 v1, 16, v13
	v_lshlrev_b32_e32 v13, 16, v15
	v_fma_mixlo_f16 v14, v0, v14, 0 op_sel_hi:[0,1,0]
	v_fma_mixlo_f16 v15, v0, v29, 0 op_sel:[0,1,0] op_sel_hi:[0,1,0]
	v_fma_mixlo_f16 v18, v0, v18, 0 op_sel_hi:[0,1,0]
	v_fma_mixlo_f16 v12, v0, v12, 0 op_sel:[0,1,0] op_sel_hi:[0,1,0]
	v_fma_mixlo_f16 v0, v0, v19, 0 op_sel_hi:[0,1,0]
	v_and_b32_e32 v6, 0xffff, v6
	v_and_b32_e32 v30, 0xffff, v14
	v_lshlrev_b32_e32 v19, 16, v15
	v_and_b32_e32 v29, 0xffff, v18
	v_lshlrev_b32_e32 v18, 16, v12
	v_and_b32_e32 v28, 0xffff, v0
	v_or_b32_e32 v0, v1, v6
	v_or_b32_e32 v15, v13, v30
	;; [unrolled: 1-line block ×4, first 2 shown]
	s_and_saveexec_b32 s12, s7
	s_cbranch_execz .LBB302_2340
; %bb.2339:                             ;   in Loop: Header=BB302_2076 Depth=1
	v_cndmask_b32_e32 v0, 0, v30, vcc_lo
	v_cndmask_b32_e64 v12, 0, v13, s5
	v_cndmask_b32_e64 v6, 0, v6, s4
	;; [unrolled: 1-line block ×7, first 2 shown]
	v_or_b32_e32 v15, v0, v12
	v_or_b32_e32 v0, v6, v1
	;; [unrolled: 1-line block ×4, first 2 shown]
.LBB302_2340:                           ;   in Loop: Header=BB302_2076 Depth=1
	s_or_b32 exec_lo, exec_lo, s12
	;;#ASMSTART
	v_pk_mul_f16 v1, v102, v15;

	;;#ASMEND
	;;#ASMSTART
	v_pk_mul_f16 v0, v101, v0;

	;;#ASMEND
	;; [unrolled: 4-line block ×4, first 2 shown]
	;;#ASMSTART
	v_pk_add_f16 v0, v1, v0;

	;;#ASMEND
	;;#ASMSTART
	v_pk_add_f16 v0, v0, v6;

	;;#ASMEND
	;; [unrolled: 4-line block ×3, first 2 shown]
	v_and_b32_e32 v1, 0xffff, v0
	v_lshrrev_b32_e32 v0, 16, v0
	;;#ASMSTART
	v_cvt_f32_f16 v115, v1;
	;;#ASMEND
	;;#ASMSTART
	v_cvt_f32_f16 v46, v0;
	;;#ASMEND
	flat_load_dwordx2 v[12:13], v[10:11] offset:1024
	s_clause 0x1
	buffer_load_dword v0, off, s[0:3], s32 offset:192
	buffer_load_dword v1, off, s[0:3], s32 offset:196
	v_mov_b32_e32 v14, 0
	s_waitcnt vmcnt(2) lgkmcnt(0)
	v_cmp_ne_u16_sdwa s12, v12, v7 src0_sel:BYTE_0 src1_sel:DWORD
	s_waitcnt vmcnt(0)
	flat_load_dword v0, v[0:1]
	v_mov_b32_e32 v1, 0
	s_and_saveexec_b32 s25, s12
	s_cbranch_execz .LBB302_2348
; %bb.2341:                             ;   in Loop: Header=BB302_2076 Depth=1
	v_cmp_ne_u16_sdwa s12, v12, v86 src0_sel:BYTE_0 src1_sel:DWORD
	v_mov_b32_e32 v14, 0x8000
	s_and_saveexec_b32 s26, s12
	s_cbranch_execz .LBB302_2347
; %bb.2342:                             ;   in Loop: Header=BB302_2076 Depth=1
	v_and_b32_e32 v15, 0x7f, v12
	v_mov_b32_e32 v14, 0x7c01
	s_mov_b32 s27, exec_lo
	v_cmpx_ne_u32_e32 0x7f, v15
	s_cbranch_execz .LBB302_2346
; %bb.2343:                             ;   in Loop: Header=BB302_2076 Depth=1
	v_and_b32_e32 v6, 7, v12
	v_lshrrev_b32_e32 v14, 3, v15
	s_mov_b32 s28, exec_lo
	v_cmpx_gt_u32_e32 8, v15
; %bb.2344:                             ;   in Loop: Header=BB302_2076 Depth=1
	v_ffbh_u32_e32 v6, v6
	v_min_u32_e32 v6, 32, v6
	v_subrev_nc_u32_e32 v14, 28, v6
	v_lshlrev_b64 v[18:19], v14, v[12:13]
	v_sub_nc_u32_e32 v14, 29, v6
	v_and_b32_e32 v6, 7, v18
; %bb.2345:                             ;   in Loop: Header=BB302_2076 Depth=1
	s_or_b32 exec_lo, exec_lo, s28
	v_lshlrev_b32_e32 v15, 8, v12
	v_lshl_add_u32 v14, v14, 10, 0x2000
	v_lshlrev_b32_e32 v6, 7, v6
	v_and_b32_e32 v15, 0x8000, v15
	v_and_b32_e32 v14, 0xfc00, v14
	v_or3_b32 v14, v15, v14, v6
.LBB302_2346:                           ;   in Loop: Header=BB302_2076 Depth=1
	s_or_b32 exec_lo, exec_lo, s27
.LBB302_2347:                           ;   in Loop: Header=BB302_2076 Depth=1
	s_or_b32 exec_lo, exec_lo, s26
.LBB302_2348:                           ;   in Loop: Header=BB302_2076 Depth=1
	s_or_b32 exec_lo, exec_lo, s25
	v_lshrrev_b16 v6, 8, v12
	s_mov_b32 s25, exec_lo
	v_cmpx_ne_u16_e32 0, v6
	s_cbranch_execz .LBB302_2356
; %bb.2349:                             ;   in Loop: Header=BB302_2076 Depth=1
	v_bfrev_b32_e32 v1, 1
	s_mov_b32 s26, exec_lo
	v_cmpx_ne_u16_e32 0x80, v6
	s_cbranch_execz .LBB302_2355
; %bb.2350:                             ;   in Loop: Header=BB302_2076 Depth=1
	v_and_b32_sdwa v18, v6, v87 dst_sel:DWORD dst_unused:UNUSED_PAD src0_sel:WORD_0 src1_sel:DWORD
	v_mov_b32_e32 v1, 0x7c010000
	s_mov_b32 s27, exec_lo
	v_cmpx_ne_u32_e32 0x7f, v18
	s_cbranch_execz .LBB302_2354
; %bb.2351:                             ;   in Loop: Header=BB302_2076 Depth=1
	v_and_b32_sdwa v1, v6, v96 dst_sel:DWORD dst_unused:UNUSED_PAD src0_sel:WORD_0 src1_sel:DWORD
	v_lshrrev_b32_e32 v15, 3, v18
	s_mov_b32 s28, exec_lo
	v_cmpx_gt_u32_e32 8, v18
; %bb.2352:                             ;   in Loop: Header=BB302_2076 Depth=1
	v_ffbh_u32_e32 v1, v1
	v_min_u32_e32 v1, 32, v1
	v_subrev_nc_u32_e32 v15, 28, v1
	v_lshlrev_b64 v[18:19], v15, v[6:7]
	v_sub_nc_u32_e32 v15, 29, v1
	v_and_b32_e32 v1, 7, v18
; %bb.2353:                             ;   in Loop: Header=BB302_2076 Depth=1
	s_or_b32 exec_lo, exec_lo, s28
	v_lshlrev_b32_sdwa v6, v97, v6 dst_sel:DWORD dst_unused:UNUSED_PAD src0_sel:DWORD src1_sel:WORD_0
	v_lshl_add_u32 v15, v15, 10, 0x2000
	v_lshlrev_b32_e32 v1, 23, v1
	v_and_or_b32 v6, 0x8000, v6, v15
	v_lshl_or_b32 v1, v6, 16, v1
.LBB302_2354:                           ;   in Loop: Header=BB302_2076 Depth=1
	s_or_b32 exec_lo, exec_lo, s27
.LBB302_2355:                           ;   in Loop: Header=BB302_2076 Depth=1
	s_or_b32 exec_lo, exec_lo, s26
.LBB302_2356:                           ;   in Loop: Header=BB302_2076 Depth=1
	s_or_b32 exec_lo, exec_lo, s25
	v_lshrrev_b32_e32 v6, 16, v12
	v_mov_b32_e32 v15, 0
	v_mov_b32_e32 v18, 0
	v_cmp_ne_u16_sdwa s12, v6, v7 src0_sel:BYTE_0 src1_sel:DWORD
	s_and_saveexec_b32 s25, s12
	s_cbranch_execz .LBB302_2364
; %bb.2357:                             ;   in Loop: Header=BB302_2076 Depth=1
	v_cmp_ne_u16_sdwa s12, v6, v86 src0_sel:BYTE_0 src1_sel:DWORD
	v_mov_b32_e32 v18, 0x8000
	s_and_saveexec_b32 s26, s12
	s_cbranch_execz .LBB302_2363
; %bb.2358:                             ;   in Loop: Header=BB302_2076 Depth=1
	v_bfe_u32 v28, v12, 16, 7
	v_mov_b32_e32 v18, 0x7c01
	s_mov_b32 s27, exec_lo
	v_cmpx_ne_u32_e32 0x7f, v28
	s_cbranch_execz .LBB302_2362
; %bb.2359:                             ;   in Loop: Header=BB302_2076 Depth=1
	v_and_b32_e32 v18, 7, v6
	v_lshrrev_b32_e32 v19, 3, v28
	s_mov_b32 s28, exec_lo
	v_cmpx_gt_u32_e32 8, v28
; %bb.2360:                             ;   in Loop: Header=BB302_2076 Depth=1
	v_ffbh_u32_e32 v18, v18
	v_min_u32_e32 v28, 32, v18
	v_subrev_nc_u32_e32 v18, 28, v28
	v_lshlrev_b64 v[18:19], v18, v[6:7]
	v_sub_nc_u32_e32 v19, 29, v28
	v_and_b32_e32 v18, 7, v18
; %bb.2361:                             ;   in Loop: Header=BB302_2076 Depth=1
	s_or_b32 exec_lo, exec_lo, s28
	v_lshlrev_b32_e32 v6, 8, v6
	v_lshl_add_u32 v19, v19, 10, 0x2000
	v_lshlrev_b32_e32 v18, 7, v18
	v_and_b32_e32 v6, 0x8000, v6
	v_and_b32_e32 v19, 0xfc00, v19
	v_or3_b32 v18, v6, v19, v18
.LBB302_2362:                           ;   in Loop: Header=BB302_2076 Depth=1
	s_or_b32 exec_lo, exec_lo, s27
.LBB302_2363:                           ;   in Loop: Header=BB302_2076 Depth=1
	s_or_b32 exec_lo, exec_lo, s26
.LBB302_2364:                           ;   in Loop: Header=BB302_2076 Depth=1
	s_or_b32 exec_lo, exec_lo, s25
	s_mov_b32 s25, exec_lo
	v_cmpx_lt_u32_e32 0xffffff, v12
	s_cbranch_execz .LBB302_2372
; %bb.2365:                             ;   in Loop: Header=BB302_2076 Depth=1
	v_lshrrev_b32_e32 v6, 24, v12
	v_bfrev_b32_e32 v15, 1
	s_mov_b32 s26, exec_lo
	v_cmpx_ne_u32_e32 0x80, v6
	s_cbranch_execz .LBB302_2371
; %bb.2366:                             ;   in Loop: Header=BB302_2076 Depth=1
	v_and_b32_e32 v28, 0x7f, v6
	v_mov_b32_e32 v15, 0x7c010000
	s_mov_b32 s27, exec_lo
	v_cmpx_ne_u32_e32 0x7f, v28
	s_cbranch_execz .LBB302_2370
; %bb.2367:                             ;   in Loop: Header=BB302_2076 Depth=1
	v_and_b32_e32 v15, 7, v6
	v_lshrrev_b32_e32 v19, 3, v28
	s_mov_b32 s28, exec_lo
	v_cmpx_gt_u32_e32 8, v28
; %bb.2368:                             ;   in Loop: Header=BB302_2076 Depth=1
	v_ffbh_u32_e32 v15, v15
	v_min_u32_e32 v15, 32, v15
	v_subrev_nc_u32_e32 v19, 28, v15
	v_lshlrev_b64 v[28:29], v19, v[6:7]
	v_sub_nc_u32_e32 v19, 29, v15
	v_and_b32_e32 v15, 7, v28
; %bb.2369:                             ;   in Loop: Header=BB302_2076 Depth=1
	s_or_b32 exec_lo, exec_lo, s28
	v_lshlrev_b32_e32 v6, 8, v6
	v_lshl_add_u32 v19, v19, 10, 0x2000
	v_lshlrev_b32_e32 v15, 23, v15
	v_and_or_b32 v6, 0x8000, v6, v19
	v_lshl_or_b32 v15, v6, 16, v15
.LBB302_2370:                           ;   in Loop: Header=BB302_2076 Depth=1
	s_or_b32 exec_lo, exec_lo, s27
.LBB302_2371:                           ;   in Loop: Header=BB302_2076 Depth=1
	s_or_b32 exec_lo, exec_lo, s26
.LBB302_2372:                           ;   in Loop: Header=BB302_2076 Depth=1
	s_or_b32 exec_lo, exec_lo, s25
	v_mov_b32_e32 v6, v13
	v_cmp_ne_u16_sdwa s12, v13, v7 src0_sel:BYTE_0 src1_sel:DWORD
	v_mov_b32_e32 v19, 0
	v_mov_b32_e32 v28, 0
	s_and_saveexec_b32 s25, s12
	s_cbranch_execz .LBB302_2380
; %bb.2373:                             ;   in Loop: Header=BB302_2076 Depth=1
	v_cmp_ne_u16_sdwa s12, v13, v86 src0_sel:BYTE_0 src1_sel:DWORD
	v_mov_b32_e32 v28, 0x8000
	s_and_saveexec_b32 s26, s12
	s_cbranch_execz .LBB302_2379
; %bb.2374:                             ;   in Loop: Header=BB302_2076 Depth=1
	v_and_b32_e32 v30, 0x7f, v13
	v_mov_b32_e32 v28, 0x7c01
	s_mov_b32 s27, exec_lo
	v_cmpx_ne_u32_e32 0x7f, v30
	s_cbranch_execz .LBB302_2378
; %bb.2375:                             ;   in Loop: Header=BB302_2076 Depth=1
	v_and_b32_e32 v28, 7, v13
	v_lshrrev_b32_e32 v29, 3, v30
	s_mov_b32 s28, exec_lo
	v_cmpx_gt_u32_e32 8, v30
; %bb.2376:                             ;   in Loop: Header=BB302_2076 Depth=1
	v_ffbh_u32_e32 v28, v28
	v_min_u32_e32 v30, 32, v28
	v_subrev_nc_u32_e32 v28, 28, v30
	v_lshlrev_b64 v[28:29], v28, v[6:7]
	v_sub_nc_u32_e32 v29, 29, v30
	v_and_b32_e32 v28, 7, v28
; %bb.2377:                             ;   in Loop: Header=BB302_2076 Depth=1
	s_or_b32 exec_lo, exec_lo, s28
	v_lshlrev_b32_e32 v30, 8, v13
	v_lshl_add_u32 v29, v29, 10, 0x2000
	v_lshlrev_b32_e32 v28, 7, v28
	v_and_b32_e32 v30, 0x8000, v30
	v_and_b32_e32 v29, 0xfc00, v29
	v_or3_b32 v28, v30, v29, v28
.LBB302_2378:                           ;   in Loop: Header=BB302_2076 Depth=1
	s_or_b32 exec_lo, exec_lo, s27
.LBB302_2379:                           ;   in Loop: Header=BB302_2076 Depth=1
	s_or_b32 exec_lo, exec_lo, s26
.LBB302_2380:                           ;   in Loop: Header=BB302_2076 Depth=1
	s_or_b32 exec_lo, exec_lo, s25
	v_lshrrev_b16 v6, 8, v6
	v_mov_b32_e32 v29, 0
	s_mov_b32 s25, exec_lo
	v_cmpx_ne_u16_e32 0, v6
	s_cbranch_execz .LBB302_2388
; %bb.2381:                             ;   in Loop: Header=BB302_2076 Depth=1
	v_bfrev_b32_e32 v29, 1
	s_mov_b32 s26, exec_lo
	v_cmpx_ne_u16_e32 0x80, v6
	s_cbranch_execz .LBB302_2387
; %bb.2382:                             ;   in Loop: Header=BB302_2076 Depth=1
	v_and_b32_sdwa v31, v6, v87 dst_sel:DWORD dst_unused:UNUSED_PAD src0_sel:WORD_0 src1_sel:DWORD
	v_mov_b32_e32 v29, 0x7c010000
	s_mov_b32 s27, exec_lo
	v_cmpx_ne_u32_e32 0x7f, v31
	s_cbranch_execz .LBB302_2386
; %bb.2383:                             ;   in Loop: Header=BB302_2076 Depth=1
	v_and_b32_sdwa v29, v6, v96 dst_sel:DWORD dst_unused:UNUSED_PAD src0_sel:WORD_0 src1_sel:DWORD
	v_lshrrev_b32_e32 v30, 3, v31
	s_mov_b32 s28, exec_lo
	v_cmpx_gt_u32_e32 8, v31
; %bb.2384:                             ;   in Loop: Header=BB302_2076 Depth=1
	v_ffbh_u32_e32 v29, v29
	v_min_u32_e32 v31, 32, v29
	v_subrev_nc_u32_e32 v29, 28, v31
	v_lshlrev_b64 v[29:30], v29, v[6:7]
	v_sub_nc_u32_e32 v30, 29, v31
	v_and_b32_e32 v29, 7, v29
; %bb.2385:                             ;   in Loop: Header=BB302_2076 Depth=1
	s_or_b32 exec_lo, exec_lo, s28
	v_lshlrev_b32_sdwa v6, v97, v6 dst_sel:DWORD dst_unused:UNUSED_PAD src0_sel:DWORD src1_sel:WORD_0
	v_lshl_add_u32 v30, v30, 10, 0x2000
	v_lshlrev_b32_e32 v29, 23, v29
	v_and_or_b32 v6, 0x8000, v6, v30
	v_lshl_or_b32 v29, v6, 16, v29
.LBB302_2386:                           ;   in Loop: Header=BB302_2076 Depth=1
	s_or_b32 exec_lo, exec_lo, s27
.LBB302_2387:                           ;   in Loop: Header=BB302_2076 Depth=1
	s_or_b32 exec_lo, exec_lo, s26
.LBB302_2388:                           ;   in Loop: Header=BB302_2076 Depth=1
	s_or_b32 exec_lo, exec_lo, s25
	v_lshrrev_b32_e32 v6, 16, v13
	v_cmp_ne_u16_sdwa s12, v6, v7 src0_sel:BYTE_0 src1_sel:DWORD
	s_and_saveexec_b32 s25, s12
	s_cbranch_execz .LBB302_2396
; %bb.2389:                             ;   in Loop: Header=BB302_2076 Depth=1
	v_cmp_ne_u16_sdwa s12, v6, v86 src0_sel:BYTE_0 src1_sel:DWORD
	v_mov_b32_e32 v19, 0x8000
	s_and_saveexec_b32 s26, s12
	s_cbranch_execz .LBB302_2395
; %bb.2390:                             ;   in Loop: Header=BB302_2076 Depth=1
	v_bfe_u32 v31, v13, 16, 7
	v_mov_b32_e32 v19, 0x7c01
	s_mov_b32 s27, exec_lo
	v_cmpx_ne_u32_e32 0x7f, v31
	s_cbranch_execz .LBB302_2394
; %bb.2391:                             ;   in Loop: Header=BB302_2076 Depth=1
	v_and_b32_e32 v19, 7, v6
	v_lshrrev_b32_e32 v30, 3, v31
	s_mov_b32 s28, exec_lo
	v_cmpx_gt_u32_e32 8, v31
; %bb.2392:                             ;   in Loop: Header=BB302_2076 Depth=1
	v_ffbh_u32_e32 v19, v19
	v_min_u32_e32 v19, 32, v19
	v_subrev_nc_u32_e32 v30, 28, v19
	v_lshlrev_b64 v[65:66], v30, v[6:7]
	v_sub_nc_u32_e32 v30, 29, v19
	v_and_b32_e32 v19, 7, v65
; %bb.2393:                             ;   in Loop: Header=BB302_2076 Depth=1
	s_or_b32 exec_lo, exec_lo, s28
	v_lshlrev_b32_e32 v6, 8, v6
	v_lshl_add_u32 v30, v30, 10, 0x2000
	v_lshlrev_b32_e32 v19, 7, v19
	v_and_b32_e32 v6, 0x8000, v6
	v_and_b32_e32 v30, 0xfc00, v30
	v_or3_b32 v19, v6, v30, v19
.LBB302_2394:                           ;   in Loop: Header=BB302_2076 Depth=1
	s_or_b32 exec_lo, exec_lo, s27
.LBB302_2395:                           ;   in Loop: Header=BB302_2076 Depth=1
	s_or_b32 exec_lo, exec_lo, s26
.LBB302_2396:                           ;   in Loop: Header=BB302_2076 Depth=1
	s_or_b32 exec_lo, exec_lo, s25
	v_cmp_lt_u64_e64 s12, s[22:23], v[12:13]
	v_mov_b32_e32 v12, 0
	s_and_saveexec_b32 s25, s12
	s_cbranch_execz .LBB302_2404
; %bb.2397:                             ;   in Loop: Header=BB302_2076 Depth=1
	v_lshrrev_b32_e32 v6, 24, v13
	v_bfrev_b32_e32 v12, 1
	s_mov_b32 s26, exec_lo
	v_cmpx_ne_u32_e32 0x80, v6
	s_cbranch_execz .LBB302_2403
; %bb.2398:                             ;   in Loop: Header=BB302_2076 Depth=1
	v_and_b32_e32 v30, 0x7f, v6
	v_mov_b32_e32 v12, 0x7c010000
	s_mov_b32 s27, exec_lo
	v_cmpx_ne_u32_e32 0x7f, v30
	s_cbranch_execz .LBB302_2402
; %bb.2399:                             ;   in Loop: Header=BB302_2076 Depth=1
	v_and_b32_e32 v12, 7, v6
	v_lshrrev_b32_e32 v13, 3, v30
	s_mov_b32 s28, exec_lo
	v_cmpx_gt_u32_e32 8, v30
; %bb.2400:                             ;   in Loop: Header=BB302_2076 Depth=1
	v_ffbh_u32_e32 v12, v12
	v_min_u32_e32 v30, 32, v12
	v_subrev_nc_u32_e32 v12, 28, v30
	v_lshlrev_b64 v[12:13], v12, v[6:7]
	v_sub_nc_u32_e32 v13, 29, v30
	v_and_b32_e32 v12, 7, v12
; %bb.2401:                             ;   in Loop: Header=BB302_2076 Depth=1
	s_or_b32 exec_lo, exec_lo, s28
	v_lshlrev_b32_e32 v6, 8, v6
	v_lshl_add_u32 v13, v13, 10, 0x2000
	v_lshlrev_b32_e32 v12, 23, v12
	v_and_or_b32 v6, 0x8000, v6, v13
	v_lshl_or_b32 v12, v6, 16, v12
.LBB302_2402:                           ;   in Loop: Header=BB302_2076 Depth=1
	s_or_b32 exec_lo, exec_lo, s27
.LBB302_2403:                           ;   in Loop: Header=BB302_2076 Depth=1
	s_or_b32 exec_lo, exec_lo, s26
.LBB302_2404:                           ;   in Loop: Header=BB302_2076 Depth=1
	s_or_b32 exec_lo, exec_lo, s25
	v_or_b32_e32 v6, v15, v18
	s_waitcnt vmcnt(0) lgkmcnt(0)
	v_fma_mixlo_f16 v13, v0, v15, 0 op_sel:[0,1,0] op_sel_hi:[0,1,0]
	v_or_b32_e32 v14, v1, v14
	v_fma_mixlo_f16 v15, v0, v1, 0 op_sel:[0,1,0] op_sel_hi:[0,1,0]
	v_or_b32_e32 v18, v29, v28
	v_or_b32_e32 v19, v12, v19
	v_fma_mixlo_f16 v6, v0, v6, 0 op_sel_hi:[0,1,0]
	v_lshlrev_b32_e32 v1, 16, v13
	v_lshlrev_b32_e32 v13, 16, v15
	v_fma_mixlo_f16 v14, v0, v14, 0 op_sel_hi:[0,1,0]
	v_fma_mixlo_f16 v15, v0, v29, 0 op_sel:[0,1,0] op_sel_hi:[0,1,0]
	v_fma_mixlo_f16 v18, v0, v18, 0 op_sel_hi:[0,1,0]
	v_fma_mixlo_f16 v12, v0, v12, 0 op_sel:[0,1,0] op_sel_hi:[0,1,0]
	v_fma_mixlo_f16 v0, v0, v19, 0 op_sel_hi:[0,1,0]
	v_and_b32_e32 v6, 0xffff, v6
	v_and_b32_e32 v30, 0xffff, v14
	v_lshlrev_b32_e32 v19, 16, v15
	v_and_b32_e32 v29, 0xffff, v18
	v_lshlrev_b32_e32 v18, 16, v12
	v_and_b32_e32 v28, 0xffff, v0
	v_or_b32_e32 v0, v1, v6
	v_or_b32_e32 v15, v13, v30
	;; [unrolled: 1-line block ×4, first 2 shown]
	s_and_saveexec_b32 s12, s7
	s_cbranch_execz .LBB302_2406
; %bb.2405:                             ;   in Loop: Header=BB302_2076 Depth=1
	v_cndmask_b32_e32 v0, 0, v30, vcc_lo
	v_cndmask_b32_e64 v12, 0, v13, s5
	v_cndmask_b32_e64 v6, 0, v6, s4
	;; [unrolled: 1-line block ×7, first 2 shown]
	v_or_b32_e32 v15, v0, v12
	v_or_b32_e32 v0, v6, v1
	;; [unrolled: 1-line block ×4, first 2 shown]
.LBB302_2406:                           ;   in Loop: Header=BB302_2076 Depth=1
	s_or_b32 exec_lo, exec_lo, s12
	;;#ASMSTART
	v_pk_mul_f16 v1, v102, v15;

	;;#ASMEND
	;;#ASMSTART
	v_pk_mul_f16 v0, v101, v0;

	;;#ASMEND
	;; [unrolled: 4-line block ×4, first 2 shown]
	;;#ASMSTART
	v_pk_add_f16 v0, v1, v0;

	;;#ASMEND
	;;#ASMSTART
	v_pk_add_f16 v0, v0, v6;

	;;#ASMEND
	;; [unrolled: 4-line block ×3, first 2 shown]
	v_and_b32_e32 v1, 0xffff, v0
	v_lshrrev_b32_e32 v0, 16, v0
	;;#ASMSTART
	v_cvt_f32_f16 v119, v1;
	;;#ASMEND
	;;#ASMSTART
	v_cvt_f32_f16 v56, v0;
	;;#ASMEND
	flat_load_dwordx2 v[12:13], v[10:11] offset:1280
	s_clause 0x1
	buffer_load_dword v0, off, s[0:3], s32 offset:192
	buffer_load_dword v1, off, s[0:3], s32 offset:196
	v_mov_b32_e32 v14, 0
	s_waitcnt vmcnt(2) lgkmcnt(0)
	v_cmp_ne_u16_sdwa s12, v12, v7 src0_sel:BYTE_0 src1_sel:DWORD
	s_waitcnt vmcnt(0)
	flat_load_dword v0, v[0:1]
	v_mov_b32_e32 v1, 0
	s_and_saveexec_b32 s25, s12
	s_cbranch_execz .LBB302_2414
; %bb.2407:                             ;   in Loop: Header=BB302_2076 Depth=1
	v_cmp_ne_u16_sdwa s12, v12, v86 src0_sel:BYTE_0 src1_sel:DWORD
	v_mov_b32_e32 v14, 0x8000
	s_and_saveexec_b32 s26, s12
	s_cbranch_execz .LBB302_2413
; %bb.2408:                             ;   in Loop: Header=BB302_2076 Depth=1
	v_and_b32_e32 v15, 0x7f, v12
	v_mov_b32_e32 v14, 0x7c01
	s_mov_b32 s27, exec_lo
	v_cmpx_ne_u32_e32 0x7f, v15
	s_cbranch_execz .LBB302_2412
; %bb.2409:                             ;   in Loop: Header=BB302_2076 Depth=1
	v_and_b32_e32 v6, 7, v12
	v_lshrrev_b32_e32 v14, 3, v15
	s_mov_b32 s28, exec_lo
	v_cmpx_gt_u32_e32 8, v15
; %bb.2410:                             ;   in Loop: Header=BB302_2076 Depth=1
	v_ffbh_u32_e32 v6, v6
	v_min_u32_e32 v6, 32, v6
	v_subrev_nc_u32_e32 v14, 28, v6
	v_lshlrev_b64 v[18:19], v14, v[12:13]
	v_sub_nc_u32_e32 v14, 29, v6
	v_and_b32_e32 v6, 7, v18
; %bb.2411:                             ;   in Loop: Header=BB302_2076 Depth=1
	s_or_b32 exec_lo, exec_lo, s28
	v_lshlrev_b32_e32 v15, 8, v12
	v_lshl_add_u32 v14, v14, 10, 0x2000
	v_lshlrev_b32_e32 v6, 7, v6
	v_and_b32_e32 v15, 0x8000, v15
	v_and_b32_e32 v14, 0xfc00, v14
	v_or3_b32 v14, v15, v14, v6
.LBB302_2412:                           ;   in Loop: Header=BB302_2076 Depth=1
	s_or_b32 exec_lo, exec_lo, s27
.LBB302_2413:                           ;   in Loop: Header=BB302_2076 Depth=1
	s_or_b32 exec_lo, exec_lo, s26
.LBB302_2414:                           ;   in Loop: Header=BB302_2076 Depth=1
	s_or_b32 exec_lo, exec_lo, s25
	v_lshrrev_b16 v6, 8, v12
	s_mov_b32 s25, exec_lo
	v_cmpx_ne_u16_e32 0, v6
	s_cbranch_execz .LBB302_2422
; %bb.2415:                             ;   in Loop: Header=BB302_2076 Depth=1
	v_bfrev_b32_e32 v1, 1
	s_mov_b32 s26, exec_lo
	v_cmpx_ne_u16_e32 0x80, v6
	s_cbranch_execz .LBB302_2421
; %bb.2416:                             ;   in Loop: Header=BB302_2076 Depth=1
	v_and_b32_sdwa v18, v6, v87 dst_sel:DWORD dst_unused:UNUSED_PAD src0_sel:WORD_0 src1_sel:DWORD
	v_mov_b32_e32 v1, 0x7c010000
	s_mov_b32 s27, exec_lo
	v_cmpx_ne_u32_e32 0x7f, v18
	s_cbranch_execz .LBB302_2420
; %bb.2417:                             ;   in Loop: Header=BB302_2076 Depth=1
	v_and_b32_sdwa v1, v6, v96 dst_sel:DWORD dst_unused:UNUSED_PAD src0_sel:WORD_0 src1_sel:DWORD
	v_lshrrev_b32_e32 v15, 3, v18
	s_mov_b32 s28, exec_lo
	v_cmpx_gt_u32_e32 8, v18
; %bb.2418:                             ;   in Loop: Header=BB302_2076 Depth=1
	v_ffbh_u32_e32 v1, v1
	v_min_u32_e32 v1, 32, v1
	v_subrev_nc_u32_e32 v15, 28, v1
	v_lshlrev_b64 v[18:19], v15, v[6:7]
	v_sub_nc_u32_e32 v15, 29, v1
	v_and_b32_e32 v1, 7, v18
; %bb.2419:                             ;   in Loop: Header=BB302_2076 Depth=1
	s_or_b32 exec_lo, exec_lo, s28
	v_lshlrev_b32_sdwa v6, v97, v6 dst_sel:DWORD dst_unused:UNUSED_PAD src0_sel:DWORD src1_sel:WORD_0
	v_lshl_add_u32 v15, v15, 10, 0x2000
	v_lshlrev_b32_e32 v1, 23, v1
	v_and_or_b32 v6, 0x8000, v6, v15
	v_lshl_or_b32 v1, v6, 16, v1
.LBB302_2420:                           ;   in Loop: Header=BB302_2076 Depth=1
	s_or_b32 exec_lo, exec_lo, s27
.LBB302_2421:                           ;   in Loop: Header=BB302_2076 Depth=1
	s_or_b32 exec_lo, exec_lo, s26
.LBB302_2422:                           ;   in Loop: Header=BB302_2076 Depth=1
	s_or_b32 exec_lo, exec_lo, s25
	v_lshrrev_b32_e32 v6, 16, v12
	v_mov_b32_e32 v15, 0
	v_mov_b32_e32 v18, 0
	v_cmp_ne_u16_sdwa s12, v6, v7 src0_sel:BYTE_0 src1_sel:DWORD
	s_and_saveexec_b32 s25, s12
	s_cbranch_execz .LBB302_2430
; %bb.2423:                             ;   in Loop: Header=BB302_2076 Depth=1
	v_cmp_ne_u16_sdwa s12, v6, v86 src0_sel:BYTE_0 src1_sel:DWORD
	v_mov_b32_e32 v18, 0x8000
	s_and_saveexec_b32 s26, s12
	s_cbranch_execz .LBB302_2429
; %bb.2424:                             ;   in Loop: Header=BB302_2076 Depth=1
	v_bfe_u32 v28, v12, 16, 7
	v_mov_b32_e32 v18, 0x7c01
	s_mov_b32 s27, exec_lo
	v_cmpx_ne_u32_e32 0x7f, v28
	s_cbranch_execz .LBB302_2428
; %bb.2425:                             ;   in Loop: Header=BB302_2076 Depth=1
	v_and_b32_e32 v18, 7, v6
	v_lshrrev_b32_e32 v19, 3, v28
	s_mov_b32 s28, exec_lo
	v_cmpx_gt_u32_e32 8, v28
; %bb.2426:                             ;   in Loop: Header=BB302_2076 Depth=1
	v_ffbh_u32_e32 v18, v18
	v_min_u32_e32 v28, 32, v18
	v_subrev_nc_u32_e32 v18, 28, v28
	v_lshlrev_b64 v[18:19], v18, v[6:7]
	v_sub_nc_u32_e32 v19, 29, v28
	v_and_b32_e32 v18, 7, v18
; %bb.2427:                             ;   in Loop: Header=BB302_2076 Depth=1
	s_or_b32 exec_lo, exec_lo, s28
	v_lshlrev_b32_e32 v6, 8, v6
	v_lshl_add_u32 v19, v19, 10, 0x2000
	v_lshlrev_b32_e32 v18, 7, v18
	v_and_b32_e32 v6, 0x8000, v6
	v_and_b32_e32 v19, 0xfc00, v19
	v_or3_b32 v18, v6, v19, v18
.LBB302_2428:                           ;   in Loop: Header=BB302_2076 Depth=1
	s_or_b32 exec_lo, exec_lo, s27
.LBB302_2429:                           ;   in Loop: Header=BB302_2076 Depth=1
	s_or_b32 exec_lo, exec_lo, s26
.LBB302_2430:                           ;   in Loop: Header=BB302_2076 Depth=1
	s_or_b32 exec_lo, exec_lo, s25
	s_mov_b32 s25, exec_lo
	v_cmpx_lt_u32_e32 0xffffff, v12
	s_cbranch_execz .LBB302_2438
; %bb.2431:                             ;   in Loop: Header=BB302_2076 Depth=1
	v_lshrrev_b32_e32 v6, 24, v12
	v_bfrev_b32_e32 v15, 1
	s_mov_b32 s26, exec_lo
	v_cmpx_ne_u32_e32 0x80, v6
	s_cbranch_execz .LBB302_2437
; %bb.2432:                             ;   in Loop: Header=BB302_2076 Depth=1
	v_and_b32_e32 v28, 0x7f, v6
	v_mov_b32_e32 v15, 0x7c010000
	s_mov_b32 s27, exec_lo
	v_cmpx_ne_u32_e32 0x7f, v28
	s_cbranch_execz .LBB302_2436
; %bb.2433:                             ;   in Loop: Header=BB302_2076 Depth=1
	v_and_b32_e32 v15, 7, v6
	v_lshrrev_b32_e32 v19, 3, v28
	s_mov_b32 s28, exec_lo
	v_cmpx_gt_u32_e32 8, v28
; %bb.2434:                             ;   in Loop: Header=BB302_2076 Depth=1
	v_ffbh_u32_e32 v15, v15
	v_min_u32_e32 v15, 32, v15
	v_subrev_nc_u32_e32 v19, 28, v15
	v_lshlrev_b64 v[28:29], v19, v[6:7]
	v_sub_nc_u32_e32 v19, 29, v15
	v_and_b32_e32 v15, 7, v28
; %bb.2435:                             ;   in Loop: Header=BB302_2076 Depth=1
	s_or_b32 exec_lo, exec_lo, s28
	v_lshlrev_b32_e32 v6, 8, v6
	v_lshl_add_u32 v19, v19, 10, 0x2000
	v_lshlrev_b32_e32 v15, 23, v15
	v_and_or_b32 v6, 0x8000, v6, v19
	v_lshl_or_b32 v15, v6, 16, v15
.LBB302_2436:                           ;   in Loop: Header=BB302_2076 Depth=1
	s_or_b32 exec_lo, exec_lo, s27
.LBB302_2437:                           ;   in Loop: Header=BB302_2076 Depth=1
	s_or_b32 exec_lo, exec_lo, s26
.LBB302_2438:                           ;   in Loop: Header=BB302_2076 Depth=1
	s_or_b32 exec_lo, exec_lo, s25
	v_mov_b32_e32 v6, v13
	v_cmp_ne_u16_sdwa s12, v13, v7 src0_sel:BYTE_0 src1_sel:DWORD
	v_mov_b32_e32 v19, 0
	v_mov_b32_e32 v28, 0
	s_and_saveexec_b32 s25, s12
	s_cbranch_execz .LBB302_2446
; %bb.2439:                             ;   in Loop: Header=BB302_2076 Depth=1
	v_cmp_ne_u16_sdwa s12, v13, v86 src0_sel:BYTE_0 src1_sel:DWORD
	v_mov_b32_e32 v28, 0x8000
	s_and_saveexec_b32 s26, s12
	s_cbranch_execz .LBB302_2445
; %bb.2440:                             ;   in Loop: Header=BB302_2076 Depth=1
	v_and_b32_e32 v30, 0x7f, v13
	v_mov_b32_e32 v28, 0x7c01
	s_mov_b32 s27, exec_lo
	v_cmpx_ne_u32_e32 0x7f, v30
	s_cbranch_execz .LBB302_2444
; %bb.2441:                             ;   in Loop: Header=BB302_2076 Depth=1
	v_and_b32_e32 v28, 7, v13
	v_lshrrev_b32_e32 v29, 3, v30
	s_mov_b32 s28, exec_lo
	v_cmpx_gt_u32_e32 8, v30
; %bb.2442:                             ;   in Loop: Header=BB302_2076 Depth=1
	v_ffbh_u32_e32 v28, v28
	v_min_u32_e32 v30, 32, v28
	v_subrev_nc_u32_e32 v28, 28, v30
	v_lshlrev_b64 v[28:29], v28, v[6:7]
	v_sub_nc_u32_e32 v29, 29, v30
	v_and_b32_e32 v28, 7, v28
; %bb.2443:                             ;   in Loop: Header=BB302_2076 Depth=1
	s_or_b32 exec_lo, exec_lo, s28
	v_lshlrev_b32_e32 v30, 8, v13
	v_lshl_add_u32 v29, v29, 10, 0x2000
	v_lshlrev_b32_e32 v28, 7, v28
	v_and_b32_e32 v30, 0x8000, v30
	v_and_b32_e32 v29, 0xfc00, v29
	v_or3_b32 v28, v30, v29, v28
.LBB302_2444:                           ;   in Loop: Header=BB302_2076 Depth=1
	s_or_b32 exec_lo, exec_lo, s27
.LBB302_2445:                           ;   in Loop: Header=BB302_2076 Depth=1
	s_or_b32 exec_lo, exec_lo, s26
.LBB302_2446:                           ;   in Loop: Header=BB302_2076 Depth=1
	s_or_b32 exec_lo, exec_lo, s25
	v_lshrrev_b16 v6, 8, v6
	v_mov_b32_e32 v29, 0
	s_mov_b32 s25, exec_lo
	v_cmpx_ne_u16_e32 0, v6
	s_cbranch_execz .LBB302_2454
; %bb.2447:                             ;   in Loop: Header=BB302_2076 Depth=1
	v_bfrev_b32_e32 v29, 1
	s_mov_b32 s26, exec_lo
	v_cmpx_ne_u16_e32 0x80, v6
	s_cbranch_execz .LBB302_2453
; %bb.2448:                             ;   in Loop: Header=BB302_2076 Depth=1
	v_and_b32_sdwa v31, v6, v87 dst_sel:DWORD dst_unused:UNUSED_PAD src0_sel:WORD_0 src1_sel:DWORD
	v_mov_b32_e32 v29, 0x7c010000
	s_mov_b32 s27, exec_lo
	v_cmpx_ne_u32_e32 0x7f, v31
	s_cbranch_execz .LBB302_2452
; %bb.2449:                             ;   in Loop: Header=BB302_2076 Depth=1
	v_and_b32_sdwa v29, v6, v96 dst_sel:DWORD dst_unused:UNUSED_PAD src0_sel:WORD_0 src1_sel:DWORD
	v_lshrrev_b32_e32 v30, 3, v31
	s_mov_b32 s28, exec_lo
	v_cmpx_gt_u32_e32 8, v31
; %bb.2450:                             ;   in Loop: Header=BB302_2076 Depth=1
	v_ffbh_u32_e32 v29, v29
	v_min_u32_e32 v31, 32, v29
	v_subrev_nc_u32_e32 v29, 28, v31
	v_lshlrev_b64 v[29:30], v29, v[6:7]
	v_sub_nc_u32_e32 v30, 29, v31
	v_and_b32_e32 v29, 7, v29
; %bb.2451:                             ;   in Loop: Header=BB302_2076 Depth=1
	s_or_b32 exec_lo, exec_lo, s28
	v_lshlrev_b32_sdwa v6, v97, v6 dst_sel:DWORD dst_unused:UNUSED_PAD src0_sel:DWORD src1_sel:WORD_0
	v_lshl_add_u32 v30, v30, 10, 0x2000
	v_lshlrev_b32_e32 v29, 23, v29
	v_and_or_b32 v6, 0x8000, v6, v30
	v_lshl_or_b32 v29, v6, 16, v29
.LBB302_2452:                           ;   in Loop: Header=BB302_2076 Depth=1
	s_or_b32 exec_lo, exec_lo, s27
.LBB302_2453:                           ;   in Loop: Header=BB302_2076 Depth=1
	s_or_b32 exec_lo, exec_lo, s26
.LBB302_2454:                           ;   in Loop: Header=BB302_2076 Depth=1
	s_or_b32 exec_lo, exec_lo, s25
	v_lshrrev_b32_e32 v6, 16, v13
	v_cmp_ne_u16_sdwa s12, v6, v7 src0_sel:BYTE_0 src1_sel:DWORD
	s_and_saveexec_b32 s25, s12
	s_cbranch_execz .LBB302_2462
; %bb.2455:                             ;   in Loop: Header=BB302_2076 Depth=1
	v_cmp_ne_u16_sdwa s12, v6, v86 src0_sel:BYTE_0 src1_sel:DWORD
	v_mov_b32_e32 v19, 0x8000
	s_and_saveexec_b32 s26, s12
	s_cbranch_execz .LBB302_2461
; %bb.2456:                             ;   in Loop: Header=BB302_2076 Depth=1
	v_bfe_u32 v31, v13, 16, 7
	v_mov_b32_e32 v19, 0x7c01
	s_mov_b32 s27, exec_lo
	v_cmpx_ne_u32_e32 0x7f, v31
	s_cbranch_execz .LBB302_2460
; %bb.2457:                             ;   in Loop: Header=BB302_2076 Depth=1
	v_and_b32_e32 v19, 7, v6
	v_lshrrev_b32_e32 v30, 3, v31
	s_mov_b32 s28, exec_lo
	v_cmpx_gt_u32_e32 8, v31
; %bb.2458:                             ;   in Loop: Header=BB302_2076 Depth=1
	v_ffbh_u32_e32 v19, v19
	v_min_u32_e32 v19, 32, v19
	v_subrev_nc_u32_e32 v30, 28, v19
	v_lshlrev_b64 v[65:66], v30, v[6:7]
	v_sub_nc_u32_e32 v30, 29, v19
	v_and_b32_e32 v19, 7, v65
; %bb.2459:                             ;   in Loop: Header=BB302_2076 Depth=1
	s_or_b32 exec_lo, exec_lo, s28
	v_lshlrev_b32_e32 v6, 8, v6
	v_lshl_add_u32 v30, v30, 10, 0x2000
	v_lshlrev_b32_e32 v19, 7, v19
	v_and_b32_e32 v6, 0x8000, v6
	v_and_b32_e32 v30, 0xfc00, v30
	v_or3_b32 v19, v6, v30, v19
.LBB302_2460:                           ;   in Loop: Header=BB302_2076 Depth=1
	s_or_b32 exec_lo, exec_lo, s27
.LBB302_2461:                           ;   in Loop: Header=BB302_2076 Depth=1
	s_or_b32 exec_lo, exec_lo, s26
.LBB302_2462:                           ;   in Loop: Header=BB302_2076 Depth=1
	s_or_b32 exec_lo, exec_lo, s25
	v_cmp_lt_u64_e64 s12, s[22:23], v[12:13]
	v_mov_b32_e32 v12, 0
	s_and_saveexec_b32 s25, s12
	s_cbranch_execz .LBB302_2470
; %bb.2463:                             ;   in Loop: Header=BB302_2076 Depth=1
	v_lshrrev_b32_e32 v6, 24, v13
	v_bfrev_b32_e32 v12, 1
	s_mov_b32 s26, exec_lo
	v_cmpx_ne_u32_e32 0x80, v6
	s_cbranch_execz .LBB302_2469
; %bb.2464:                             ;   in Loop: Header=BB302_2076 Depth=1
	v_and_b32_e32 v30, 0x7f, v6
	v_mov_b32_e32 v12, 0x7c010000
	s_mov_b32 s27, exec_lo
	v_cmpx_ne_u32_e32 0x7f, v30
	s_cbranch_execz .LBB302_2468
; %bb.2465:                             ;   in Loop: Header=BB302_2076 Depth=1
	v_and_b32_e32 v12, 7, v6
	v_lshrrev_b32_e32 v13, 3, v30
	s_mov_b32 s28, exec_lo
	v_cmpx_gt_u32_e32 8, v30
; %bb.2466:                             ;   in Loop: Header=BB302_2076 Depth=1
	v_ffbh_u32_e32 v12, v12
	v_min_u32_e32 v30, 32, v12
	v_subrev_nc_u32_e32 v12, 28, v30
	v_lshlrev_b64 v[12:13], v12, v[6:7]
	v_sub_nc_u32_e32 v13, 29, v30
	v_and_b32_e32 v12, 7, v12
; %bb.2467:                             ;   in Loop: Header=BB302_2076 Depth=1
	s_or_b32 exec_lo, exec_lo, s28
	v_lshlrev_b32_e32 v6, 8, v6
	v_lshl_add_u32 v13, v13, 10, 0x2000
	v_lshlrev_b32_e32 v12, 23, v12
	v_and_or_b32 v6, 0x8000, v6, v13
	v_lshl_or_b32 v12, v6, 16, v12
.LBB302_2468:                           ;   in Loop: Header=BB302_2076 Depth=1
	s_or_b32 exec_lo, exec_lo, s27
.LBB302_2469:                           ;   in Loop: Header=BB302_2076 Depth=1
	s_or_b32 exec_lo, exec_lo, s26
.LBB302_2470:                           ;   in Loop: Header=BB302_2076 Depth=1
	s_or_b32 exec_lo, exec_lo, s25
	v_or_b32_e32 v6, v15, v18
	s_waitcnt vmcnt(0) lgkmcnt(0)
	v_fma_mixlo_f16 v13, v0, v15, 0 op_sel:[0,1,0] op_sel_hi:[0,1,0]
	v_or_b32_e32 v14, v1, v14
	v_fma_mixlo_f16 v15, v0, v1, 0 op_sel:[0,1,0] op_sel_hi:[0,1,0]
	v_or_b32_e32 v18, v29, v28
	v_or_b32_e32 v19, v12, v19
	v_fma_mixlo_f16 v6, v0, v6, 0 op_sel_hi:[0,1,0]
	v_lshlrev_b32_e32 v1, 16, v13
	v_lshlrev_b32_e32 v13, 16, v15
	v_fma_mixlo_f16 v14, v0, v14, 0 op_sel_hi:[0,1,0]
	v_fma_mixlo_f16 v15, v0, v29, 0 op_sel:[0,1,0] op_sel_hi:[0,1,0]
	v_fma_mixlo_f16 v18, v0, v18, 0 op_sel_hi:[0,1,0]
	v_fma_mixlo_f16 v12, v0, v12, 0 op_sel:[0,1,0] op_sel_hi:[0,1,0]
	v_fma_mixlo_f16 v0, v0, v19, 0 op_sel_hi:[0,1,0]
	v_and_b32_e32 v6, 0xffff, v6
	v_and_b32_e32 v30, 0xffff, v14
	v_lshlrev_b32_e32 v19, 16, v15
	v_and_b32_e32 v29, 0xffff, v18
	v_lshlrev_b32_e32 v18, 16, v12
	v_and_b32_e32 v28, 0xffff, v0
	v_or_b32_e32 v0, v1, v6
	v_or_b32_e32 v15, v13, v30
	;; [unrolled: 1-line block ×4, first 2 shown]
	s_and_saveexec_b32 s12, s7
	s_cbranch_execz .LBB302_2472
; %bb.2471:                             ;   in Loop: Header=BB302_2076 Depth=1
	v_cndmask_b32_e32 v0, 0, v30, vcc_lo
	v_cndmask_b32_e64 v12, 0, v13, s5
	v_cndmask_b32_e64 v6, 0, v6, s4
	;; [unrolled: 1-line block ×7, first 2 shown]
	v_or_b32_e32 v15, v0, v12
	v_or_b32_e32 v0, v6, v1
	;; [unrolled: 1-line block ×4, first 2 shown]
.LBB302_2472:                           ;   in Loop: Header=BB302_2076 Depth=1
	s_or_b32 exec_lo, exec_lo, s12
	;;#ASMSTART
	v_pk_mul_f16 v1, v102, v15;

	;;#ASMEND
	;;#ASMSTART
	v_pk_mul_f16 v0, v101, v0;

	;;#ASMEND
	;; [unrolled: 4-line block ×4, first 2 shown]
	;;#ASMSTART
	v_pk_add_f16 v0, v1, v0;

	;;#ASMEND
	;;#ASMSTART
	v_pk_add_f16 v0, v0, v6;

	;;#ASMEND
	;; [unrolled: 4-line block ×3, first 2 shown]
	v_and_b32_e32 v1, 0xffff, v0
	v_lshrrev_b32_e32 v0, 16, v0
	;;#ASMSTART
	v_cvt_f32_f16 v57, v1;
	;;#ASMEND
	;;#ASMSTART
	v_cvt_f32_f16 v42, v0;
	;;#ASMEND
	flat_load_dwordx2 v[12:13], v[10:11] offset:1536
	s_clause 0x1
	buffer_load_dword v0, off, s[0:3], s32 offset:192
	buffer_load_dword v1, off, s[0:3], s32 offset:196
	v_mov_b32_e32 v14, 0
	s_waitcnt vmcnt(2) lgkmcnt(0)
	v_cmp_ne_u16_sdwa s12, v12, v7 src0_sel:BYTE_0 src1_sel:DWORD
	s_waitcnt vmcnt(0)
	flat_load_dword v0, v[0:1]
	v_mov_b32_e32 v1, 0
	s_and_saveexec_b32 s25, s12
	s_cbranch_execz .LBB302_2480
; %bb.2473:                             ;   in Loop: Header=BB302_2076 Depth=1
	v_cmp_ne_u16_sdwa s12, v12, v86 src0_sel:BYTE_0 src1_sel:DWORD
	v_mov_b32_e32 v14, 0x8000
	s_and_saveexec_b32 s26, s12
	s_cbranch_execz .LBB302_2479
; %bb.2474:                             ;   in Loop: Header=BB302_2076 Depth=1
	v_and_b32_e32 v15, 0x7f, v12
	v_mov_b32_e32 v14, 0x7c01
	s_mov_b32 s27, exec_lo
	v_cmpx_ne_u32_e32 0x7f, v15
	s_cbranch_execz .LBB302_2478
; %bb.2475:                             ;   in Loop: Header=BB302_2076 Depth=1
	v_and_b32_e32 v6, 7, v12
	v_lshrrev_b32_e32 v14, 3, v15
	s_mov_b32 s28, exec_lo
	v_cmpx_gt_u32_e32 8, v15
; %bb.2476:                             ;   in Loop: Header=BB302_2076 Depth=1
	v_ffbh_u32_e32 v6, v6
	v_min_u32_e32 v6, 32, v6
	v_subrev_nc_u32_e32 v14, 28, v6
	v_lshlrev_b64 v[18:19], v14, v[12:13]
	v_sub_nc_u32_e32 v14, 29, v6
	v_and_b32_e32 v6, 7, v18
; %bb.2477:                             ;   in Loop: Header=BB302_2076 Depth=1
	s_or_b32 exec_lo, exec_lo, s28
	v_lshlrev_b32_e32 v15, 8, v12
	v_lshl_add_u32 v14, v14, 10, 0x2000
	v_lshlrev_b32_e32 v6, 7, v6
	v_and_b32_e32 v15, 0x8000, v15
	v_and_b32_e32 v14, 0xfc00, v14
	v_or3_b32 v14, v15, v14, v6
.LBB302_2478:                           ;   in Loop: Header=BB302_2076 Depth=1
	s_or_b32 exec_lo, exec_lo, s27
.LBB302_2479:                           ;   in Loop: Header=BB302_2076 Depth=1
	s_or_b32 exec_lo, exec_lo, s26
.LBB302_2480:                           ;   in Loop: Header=BB302_2076 Depth=1
	s_or_b32 exec_lo, exec_lo, s25
	v_lshrrev_b16 v6, 8, v12
	s_mov_b32 s25, exec_lo
	v_cmpx_ne_u16_e32 0, v6
	s_cbranch_execz .LBB302_2488
; %bb.2481:                             ;   in Loop: Header=BB302_2076 Depth=1
	v_bfrev_b32_e32 v1, 1
	s_mov_b32 s26, exec_lo
	v_cmpx_ne_u16_e32 0x80, v6
	s_cbranch_execz .LBB302_2487
; %bb.2482:                             ;   in Loop: Header=BB302_2076 Depth=1
	v_and_b32_sdwa v18, v6, v87 dst_sel:DWORD dst_unused:UNUSED_PAD src0_sel:WORD_0 src1_sel:DWORD
	v_mov_b32_e32 v1, 0x7c010000
	s_mov_b32 s27, exec_lo
	v_cmpx_ne_u32_e32 0x7f, v18
	s_cbranch_execz .LBB302_2486
; %bb.2483:                             ;   in Loop: Header=BB302_2076 Depth=1
	v_and_b32_sdwa v1, v6, v96 dst_sel:DWORD dst_unused:UNUSED_PAD src0_sel:WORD_0 src1_sel:DWORD
	v_lshrrev_b32_e32 v15, 3, v18
	s_mov_b32 s28, exec_lo
	v_cmpx_gt_u32_e32 8, v18
; %bb.2484:                             ;   in Loop: Header=BB302_2076 Depth=1
	v_ffbh_u32_e32 v1, v1
	v_min_u32_e32 v1, 32, v1
	v_subrev_nc_u32_e32 v15, 28, v1
	v_lshlrev_b64 v[18:19], v15, v[6:7]
	v_sub_nc_u32_e32 v15, 29, v1
	v_and_b32_e32 v1, 7, v18
; %bb.2485:                             ;   in Loop: Header=BB302_2076 Depth=1
	s_or_b32 exec_lo, exec_lo, s28
	v_lshlrev_b32_sdwa v6, v97, v6 dst_sel:DWORD dst_unused:UNUSED_PAD src0_sel:DWORD src1_sel:WORD_0
	v_lshl_add_u32 v15, v15, 10, 0x2000
	v_lshlrev_b32_e32 v1, 23, v1
	v_and_or_b32 v6, 0x8000, v6, v15
	v_lshl_or_b32 v1, v6, 16, v1
.LBB302_2486:                           ;   in Loop: Header=BB302_2076 Depth=1
	s_or_b32 exec_lo, exec_lo, s27
.LBB302_2487:                           ;   in Loop: Header=BB302_2076 Depth=1
	s_or_b32 exec_lo, exec_lo, s26
.LBB302_2488:                           ;   in Loop: Header=BB302_2076 Depth=1
	s_or_b32 exec_lo, exec_lo, s25
	v_lshrrev_b32_e32 v6, 16, v12
	v_mov_b32_e32 v15, 0
	v_mov_b32_e32 v18, 0
	v_cmp_ne_u16_sdwa s12, v6, v7 src0_sel:BYTE_0 src1_sel:DWORD
	s_and_saveexec_b32 s25, s12
	s_cbranch_execz .LBB302_2496
; %bb.2489:                             ;   in Loop: Header=BB302_2076 Depth=1
	v_cmp_ne_u16_sdwa s12, v6, v86 src0_sel:BYTE_0 src1_sel:DWORD
	v_mov_b32_e32 v18, 0x8000
	s_and_saveexec_b32 s26, s12
	s_cbranch_execz .LBB302_2495
; %bb.2490:                             ;   in Loop: Header=BB302_2076 Depth=1
	v_bfe_u32 v28, v12, 16, 7
	v_mov_b32_e32 v18, 0x7c01
	s_mov_b32 s27, exec_lo
	v_cmpx_ne_u32_e32 0x7f, v28
	s_cbranch_execz .LBB302_2494
; %bb.2491:                             ;   in Loop: Header=BB302_2076 Depth=1
	v_and_b32_e32 v18, 7, v6
	v_lshrrev_b32_e32 v19, 3, v28
	s_mov_b32 s28, exec_lo
	v_cmpx_gt_u32_e32 8, v28
; %bb.2492:                             ;   in Loop: Header=BB302_2076 Depth=1
	v_ffbh_u32_e32 v18, v18
	v_min_u32_e32 v28, 32, v18
	v_subrev_nc_u32_e32 v18, 28, v28
	v_lshlrev_b64 v[18:19], v18, v[6:7]
	v_sub_nc_u32_e32 v19, 29, v28
	v_and_b32_e32 v18, 7, v18
; %bb.2493:                             ;   in Loop: Header=BB302_2076 Depth=1
	s_or_b32 exec_lo, exec_lo, s28
	v_lshlrev_b32_e32 v6, 8, v6
	v_lshl_add_u32 v19, v19, 10, 0x2000
	v_lshlrev_b32_e32 v18, 7, v18
	v_and_b32_e32 v6, 0x8000, v6
	v_and_b32_e32 v19, 0xfc00, v19
	v_or3_b32 v18, v6, v19, v18
.LBB302_2494:                           ;   in Loop: Header=BB302_2076 Depth=1
	s_or_b32 exec_lo, exec_lo, s27
.LBB302_2495:                           ;   in Loop: Header=BB302_2076 Depth=1
	s_or_b32 exec_lo, exec_lo, s26
.LBB302_2496:                           ;   in Loop: Header=BB302_2076 Depth=1
	s_or_b32 exec_lo, exec_lo, s25
	s_mov_b32 s25, exec_lo
	v_cmpx_lt_u32_e32 0xffffff, v12
	s_cbranch_execz .LBB302_2504
; %bb.2497:                             ;   in Loop: Header=BB302_2076 Depth=1
	v_lshrrev_b32_e32 v6, 24, v12
	v_bfrev_b32_e32 v15, 1
	s_mov_b32 s26, exec_lo
	v_cmpx_ne_u32_e32 0x80, v6
	s_cbranch_execz .LBB302_2503
; %bb.2498:                             ;   in Loop: Header=BB302_2076 Depth=1
	v_and_b32_e32 v28, 0x7f, v6
	v_mov_b32_e32 v15, 0x7c010000
	s_mov_b32 s27, exec_lo
	v_cmpx_ne_u32_e32 0x7f, v28
	s_cbranch_execz .LBB302_2502
; %bb.2499:                             ;   in Loop: Header=BB302_2076 Depth=1
	v_and_b32_e32 v15, 7, v6
	v_lshrrev_b32_e32 v19, 3, v28
	s_mov_b32 s28, exec_lo
	v_cmpx_gt_u32_e32 8, v28
; %bb.2500:                             ;   in Loop: Header=BB302_2076 Depth=1
	v_ffbh_u32_e32 v15, v15
	v_min_u32_e32 v15, 32, v15
	v_subrev_nc_u32_e32 v19, 28, v15
	v_lshlrev_b64 v[28:29], v19, v[6:7]
	v_sub_nc_u32_e32 v19, 29, v15
	v_and_b32_e32 v15, 7, v28
; %bb.2501:                             ;   in Loop: Header=BB302_2076 Depth=1
	s_or_b32 exec_lo, exec_lo, s28
	v_lshlrev_b32_e32 v6, 8, v6
	v_lshl_add_u32 v19, v19, 10, 0x2000
	v_lshlrev_b32_e32 v15, 23, v15
	v_and_or_b32 v6, 0x8000, v6, v19
	v_lshl_or_b32 v15, v6, 16, v15
.LBB302_2502:                           ;   in Loop: Header=BB302_2076 Depth=1
	s_or_b32 exec_lo, exec_lo, s27
.LBB302_2503:                           ;   in Loop: Header=BB302_2076 Depth=1
	s_or_b32 exec_lo, exec_lo, s26
.LBB302_2504:                           ;   in Loop: Header=BB302_2076 Depth=1
	s_or_b32 exec_lo, exec_lo, s25
	v_mov_b32_e32 v6, v13
	v_cmp_ne_u16_sdwa s12, v13, v7 src0_sel:BYTE_0 src1_sel:DWORD
	v_mov_b32_e32 v19, 0
	v_mov_b32_e32 v28, 0
	s_and_saveexec_b32 s25, s12
	s_cbranch_execz .LBB302_2512
; %bb.2505:                             ;   in Loop: Header=BB302_2076 Depth=1
	v_cmp_ne_u16_sdwa s12, v13, v86 src0_sel:BYTE_0 src1_sel:DWORD
	v_mov_b32_e32 v28, 0x8000
	s_and_saveexec_b32 s26, s12
	s_cbranch_execz .LBB302_2511
; %bb.2506:                             ;   in Loop: Header=BB302_2076 Depth=1
	v_and_b32_e32 v30, 0x7f, v13
	v_mov_b32_e32 v28, 0x7c01
	s_mov_b32 s27, exec_lo
	v_cmpx_ne_u32_e32 0x7f, v30
	s_cbranch_execz .LBB302_2510
; %bb.2507:                             ;   in Loop: Header=BB302_2076 Depth=1
	v_and_b32_e32 v28, 7, v13
	v_lshrrev_b32_e32 v29, 3, v30
	s_mov_b32 s28, exec_lo
	v_cmpx_gt_u32_e32 8, v30
; %bb.2508:                             ;   in Loop: Header=BB302_2076 Depth=1
	v_ffbh_u32_e32 v28, v28
	v_min_u32_e32 v30, 32, v28
	v_subrev_nc_u32_e32 v28, 28, v30
	v_lshlrev_b64 v[28:29], v28, v[6:7]
	v_sub_nc_u32_e32 v29, 29, v30
	v_and_b32_e32 v28, 7, v28
; %bb.2509:                             ;   in Loop: Header=BB302_2076 Depth=1
	s_or_b32 exec_lo, exec_lo, s28
	v_lshlrev_b32_e32 v30, 8, v13
	v_lshl_add_u32 v29, v29, 10, 0x2000
	v_lshlrev_b32_e32 v28, 7, v28
	v_and_b32_e32 v30, 0x8000, v30
	v_and_b32_e32 v29, 0xfc00, v29
	v_or3_b32 v28, v30, v29, v28
.LBB302_2510:                           ;   in Loop: Header=BB302_2076 Depth=1
	s_or_b32 exec_lo, exec_lo, s27
.LBB302_2511:                           ;   in Loop: Header=BB302_2076 Depth=1
	s_or_b32 exec_lo, exec_lo, s26
.LBB302_2512:                           ;   in Loop: Header=BB302_2076 Depth=1
	s_or_b32 exec_lo, exec_lo, s25
	v_lshrrev_b16 v6, 8, v6
	v_mov_b32_e32 v29, 0
	s_mov_b32 s25, exec_lo
	v_cmpx_ne_u16_e32 0, v6
	s_cbranch_execz .LBB302_2520
; %bb.2513:                             ;   in Loop: Header=BB302_2076 Depth=1
	v_bfrev_b32_e32 v29, 1
	s_mov_b32 s26, exec_lo
	v_cmpx_ne_u16_e32 0x80, v6
	s_cbranch_execz .LBB302_2519
; %bb.2514:                             ;   in Loop: Header=BB302_2076 Depth=1
	v_and_b32_sdwa v31, v6, v87 dst_sel:DWORD dst_unused:UNUSED_PAD src0_sel:WORD_0 src1_sel:DWORD
	v_mov_b32_e32 v29, 0x7c010000
	s_mov_b32 s27, exec_lo
	v_cmpx_ne_u32_e32 0x7f, v31
	s_cbranch_execz .LBB302_2518
; %bb.2515:                             ;   in Loop: Header=BB302_2076 Depth=1
	v_and_b32_sdwa v29, v6, v96 dst_sel:DWORD dst_unused:UNUSED_PAD src0_sel:WORD_0 src1_sel:DWORD
	v_lshrrev_b32_e32 v30, 3, v31
	s_mov_b32 s28, exec_lo
	v_cmpx_gt_u32_e32 8, v31
; %bb.2516:                             ;   in Loop: Header=BB302_2076 Depth=1
	v_ffbh_u32_e32 v29, v29
	v_min_u32_e32 v31, 32, v29
	v_subrev_nc_u32_e32 v29, 28, v31
	v_lshlrev_b64 v[29:30], v29, v[6:7]
	v_sub_nc_u32_e32 v30, 29, v31
	v_and_b32_e32 v29, 7, v29
; %bb.2517:                             ;   in Loop: Header=BB302_2076 Depth=1
	s_or_b32 exec_lo, exec_lo, s28
	v_lshlrev_b32_sdwa v6, v97, v6 dst_sel:DWORD dst_unused:UNUSED_PAD src0_sel:DWORD src1_sel:WORD_0
	v_lshl_add_u32 v30, v30, 10, 0x2000
	v_lshlrev_b32_e32 v29, 23, v29
	v_and_or_b32 v6, 0x8000, v6, v30
	v_lshl_or_b32 v29, v6, 16, v29
.LBB302_2518:                           ;   in Loop: Header=BB302_2076 Depth=1
	s_or_b32 exec_lo, exec_lo, s27
.LBB302_2519:                           ;   in Loop: Header=BB302_2076 Depth=1
	s_or_b32 exec_lo, exec_lo, s26
.LBB302_2520:                           ;   in Loop: Header=BB302_2076 Depth=1
	s_or_b32 exec_lo, exec_lo, s25
	v_lshrrev_b32_e32 v6, 16, v13
	v_cmp_ne_u16_sdwa s12, v6, v7 src0_sel:BYTE_0 src1_sel:DWORD
	s_and_saveexec_b32 s25, s12
	s_cbranch_execz .LBB302_2528
; %bb.2521:                             ;   in Loop: Header=BB302_2076 Depth=1
	v_cmp_ne_u16_sdwa s12, v6, v86 src0_sel:BYTE_0 src1_sel:DWORD
	v_mov_b32_e32 v19, 0x8000
	s_and_saveexec_b32 s26, s12
	s_cbranch_execz .LBB302_2527
; %bb.2522:                             ;   in Loop: Header=BB302_2076 Depth=1
	v_bfe_u32 v31, v13, 16, 7
	v_mov_b32_e32 v19, 0x7c01
	s_mov_b32 s27, exec_lo
	v_cmpx_ne_u32_e32 0x7f, v31
	s_cbranch_execz .LBB302_2526
; %bb.2523:                             ;   in Loop: Header=BB302_2076 Depth=1
	v_and_b32_e32 v19, 7, v6
	v_lshrrev_b32_e32 v30, 3, v31
	s_mov_b32 s28, exec_lo
	v_cmpx_gt_u32_e32 8, v31
; %bb.2524:                             ;   in Loop: Header=BB302_2076 Depth=1
	v_ffbh_u32_e32 v19, v19
	v_min_u32_e32 v19, 32, v19
	v_subrev_nc_u32_e32 v30, 28, v19
	v_lshlrev_b64 v[65:66], v30, v[6:7]
	v_sub_nc_u32_e32 v30, 29, v19
	v_and_b32_e32 v19, 7, v65
; %bb.2525:                             ;   in Loop: Header=BB302_2076 Depth=1
	s_or_b32 exec_lo, exec_lo, s28
	v_lshlrev_b32_e32 v6, 8, v6
	v_lshl_add_u32 v30, v30, 10, 0x2000
	v_lshlrev_b32_e32 v19, 7, v19
	v_and_b32_e32 v6, 0x8000, v6
	v_and_b32_e32 v30, 0xfc00, v30
	v_or3_b32 v19, v6, v30, v19
.LBB302_2526:                           ;   in Loop: Header=BB302_2076 Depth=1
	s_or_b32 exec_lo, exec_lo, s27
.LBB302_2527:                           ;   in Loop: Header=BB302_2076 Depth=1
	s_or_b32 exec_lo, exec_lo, s26
.LBB302_2528:                           ;   in Loop: Header=BB302_2076 Depth=1
	s_or_b32 exec_lo, exec_lo, s25
	v_cmp_lt_u64_e64 s12, s[22:23], v[12:13]
	v_mov_b32_e32 v12, 0
	s_and_saveexec_b32 s25, s12
	s_cbranch_execz .LBB302_2536
; %bb.2529:                             ;   in Loop: Header=BB302_2076 Depth=1
	v_lshrrev_b32_e32 v6, 24, v13
	v_bfrev_b32_e32 v12, 1
	s_mov_b32 s26, exec_lo
	v_cmpx_ne_u32_e32 0x80, v6
	s_cbranch_execz .LBB302_2535
; %bb.2530:                             ;   in Loop: Header=BB302_2076 Depth=1
	v_and_b32_e32 v30, 0x7f, v6
	v_mov_b32_e32 v12, 0x7c010000
	s_mov_b32 s27, exec_lo
	v_cmpx_ne_u32_e32 0x7f, v30
	s_cbranch_execz .LBB302_2534
; %bb.2531:                             ;   in Loop: Header=BB302_2076 Depth=1
	v_and_b32_e32 v12, 7, v6
	v_lshrrev_b32_e32 v13, 3, v30
	s_mov_b32 s28, exec_lo
	v_cmpx_gt_u32_e32 8, v30
; %bb.2532:                             ;   in Loop: Header=BB302_2076 Depth=1
	v_ffbh_u32_e32 v12, v12
	v_min_u32_e32 v30, 32, v12
	v_subrev_nc_u32_e32 v12, 28, v30
	v_lshlrev_b64 v[12:13], v12, v[6:7]
	v_sub_nc_u32_e32 v13, 29, v30
	v_and_b32_e32 v12, 7, v12
; %bb.2533:                             ;   in Loop: Header=BB302_2076 Depth=1
	s_or_b32 exec_lo, exec_lo, s28
	v_lshlrev_b32_e32 v6, 8, v6
	v_lshl_add_u32 v13, v13, 10, 0x2000
	v_lshlrev_b32_e32 v12, 23, v12
	v_and_or_b32 v6, 0x8000, v6, v13
	v_lshl_or_b32 v12, v6, 16, v12
.LBB302_2534:                           ;   in Loop: Header=BB302_2076 Depth=1
	s_or_b32 exec_lo, exec_lo, s27
.LBB302_2535:                           ;   in Loop: Header=BB302_2076 Depth=1
	s_or_b32 exec_lo, exec_lo, s26
.LBB302_2536:                           ;   in Loop: Header=BB302_2076 Depth=1
	s_or_b32 exec_lo, exec_lo, s25
	v_or_b32_e32 v6, v15, v18
	s_waitcnt vmcnt(0) lgkmcnt(0)
	v_fma_mixlo_f16 v13, v0, v15, 0 op_sel:[0,1,0] op_sel_hi:[0,1,0]
	v_or_b32_e32 v14, v1, v14
	v_fma_mixlo_f16 v15, v0, v1, 0 op_sel:[0,1,0] op_sel_hi:[0,1,0]
	v_or_b32_e32 v18, v29, v28
	v_or_b32_e32 v19, v12, v19
	v_fma_mixlo_f16 v6, v0, v6, 0 op_sel_hi:[0,1,0]
	v_lshlrev_b32_e32 v1, 16, v13
	v_lshlrev_b32_e32 v13, 16, v15
	v_fma_mixlo_f16 v14, v0, v14, 0 op_sel_hi:[0,1,0]
	v_fma_mixlo_f16 v15, v0, v29, 0 op_sel:[0,1,0] op_sel_hi:[0,1,0]
	v_fma_mixlo_f16 v18, v0, v18, 0 op_sel_hi:[0,1,0]
	v_fma_mixlo_f16 v12, v0, v12, 0 op_sel:[0,1,0] op_sel_hi:[0,1,0]
	v_fma_mixlo_f16 v0, v0, v19, 0 op_sel_hi:[0,1,0]
	v_and_b32_e32 v6, 0xffff, v6
	v_and_b32_e32 v30, 0xffff, v14
	v_lshlrev_b32_e32 v19, 16, v15
	v_and_b32_e32 v29, 0xffff, v18
	v_lshlrev_b32_e32 v18, 16, v12
	v_and_b32_e32 v28, 0xffff, v0
	v_or_b32_e32 v0, v1, v6
	v_or_b32_e32 v15, v13, v30
	;; [unrolled: 1-line block ×4, first 2 shown]
	s_and_saveexec_b32 s12, s7
	s_cbranch_execz .LBB302_2538
; %bb.2537:                             ;   in Loop: Header=BB302_2076 Depth=1
	v_cndmask_b32_e32 v0, 0, v30, vcc_lo
	v_cndmask_b32_e64 v12, 0, v13, s5
	v_cndmask_b32_e64 v6, 0, v6, s4
	v_cndmask_b32_e64 v1, 0, v1, s6
	v_cndmask_b32_e64 v13, 0, v29, s8
	v_cndmask_b32_e64 v14, 0, v19, s9
	v_cndmask_b32_e64 v19, 0, v28, s10
	v_cndmask_b32_e64 v18, 0, v18, s11
	v_or_b32_e32 v15, v0, v12
	v_or_b32_e32 v0, v6, v1
	;; [unrolled: 1-line block ×4, first 2 shown]
.LBB302_2538:                           ;   in Loop: Header=BB302_2076 Depth=1
	s_or_b32 exec_lo, exec_lo, s12
	;;#ASMSTART
	v_pk_mul_f16 v1, v102, v15;

	;;#ASMEND
	;;#ASMSTART
	v_pk_mul_f16 v0, v101, v0;

	;;#ASMEND
	;; [unrolled: 4-line block ×4, first 2 shown]
	;;#ASMSTART
	v_pk_add_f16 v0, v1, v0;

	;;#ASMEND
	;;#ASMSTART
	v_pk_add_f16 v0, v0, v6;

	;;#ASMEND
	;; [unrolled: 4-line block ×3, first 2 shown]
	v_and_b32_e32 v1, 0xffff, v0
	v_lshrrev_b32_e32 v0, 16, v0
	;;#ASMSTART
	v_cvt_f32_f16 v43, v1;
	;;#ASMEND
	;;#ASMSTART
	v_cvt_f32_f16 v44, v0;
	;;#ASMEND
	flat_load_dwordx2 v[12:13], v[10:11] offset:1792
	s_clause 0x1
	buffer_load_dword v0, off, s[0:3], s32 offset:192
	buffer_load_dword v1, off, s[0:3], s32 offset:196
	v_mov_b32_e32 v14, 0
	s_waitcnt vmcnt(2) lgkmcnt(0)
	v_cmp_ne_u16_sdwa s12, v12, v7 src0_sel:BYTE_0 src1_sel:DWORD
	s_waitcnt vmcnt(0)
	flat_load_dword v0, v[0:1]
	v_mov_b32_e32 v1, 0
	s_and_saveexec_b32 s25, s12
	s_cbranch_execz .LBB302_2546
; %bb.2539:                             ;   in Loop: Header=BB302_2076 Depth=1
	v_cmp_ne_u16_sdwa s12, v12, v86 src0_sel:BYTE_0 src1_sel:DWORD
	v_mov_b32_e32 v14, 0x8000
	s_and_saveexec_b32 s26, s12
	s_cbranch_execz .LBB302_2545
; %bb.2540:                             ;   in Loop: Header=BB302_2076 Depth=1
	v_and_b32_e32 v15, 0x7f, v12
	v_mov_b32_e32 v14, 0x7c01
	s_mov_b32 s27, exec_lo
	v_cmpx_ne_u32_e32 0x7f, v15
	s_cbranch_execz .LBB302_2544
; %bb.2541:                             ;   in Loop: Header=BB302_2076 Depth=1
	v_and_b32_e32 v6, 7, v12
	v_lshrrev_b32_e32 v14, 3, v15
	s_mov_b32 s28, exec_lo
	v_cmpx_gt_u32_e32 8, v15
; %bb.2542:                             ;   in Loop: Header=BB302_2076 Depth=1
	v_ffbh_u32_e32 v6, v6
	v_min_u32_e32 v6, 32, v6
	v_subrev_nc_u32_e32 v14, 28, v6
	v_lshlrev_b64 v[18:19], v14, v[12:13]
	v_sub_nc_u32_e32 v14, 29, v6
	v_and_b32_e32 v6, 7, v18
; %bb.2543:                             ;   in Loop: Header=BB302_2076 Depth=1
	s_or_b32 exec_lo, exec_lo, s28
	v_lshlrev_b32_e32 v15, 8, v12
	v_lshl_add_u32 v14, v14, 10, 0x2000
	v_lshlrev_b32_e32 v6, 7, v6
	v_and_b32_e32 v15, 0x8000, v15
	v_and_b32_e32 v14, 0xfc00, v14
	v_or3_b32 v14, v15, v14, v6
.LBB302_2544:                           ;   in Loop: Header=BB302_2076 Depth=1
	s_or_b32 exec_lo, exec_lo, s27
.LBB302_2545:                           ;   in Loop: Header=BB302_2076 Depth=1
	s_or_b32 exec_lo, exec_lo, s26
.LBB302_2546:                           ;   in Loop: Header=BB302_2076 Depth=1
	s_or_b32 exec_lo, exec_lo, s25
	v_lshrrev_b16 v6, 8, v12
	s_mov_b32 s25, exec_lo
	v_cmpx_ne_u16_e32 0, v6
	s_cbranch_execz .LBB302_2554
; %bb.2547:                             ;   in Loop: Header=BB302_2076 Depth=1
	v_bfrev_b32_e32 v1, 1
	s_mov_b32 s26, exec_lo
	v_cmpx_ne_u16_e32 0x80, v6
	s_cbranch_execz .LBB302_2553
; %bb.2548:                             ;   in Loop: Header=BB302_2076 Depth=1
	v_and_b32_sdwa v18, v6, v87 dst_sel:DWORD dst_unused:UNUSED_PAD src0_sel:WORD_0 src1_sel:DWORD
	v_mov_b32_e32 v1, 0x7c010000
	s_mov_b32 s27, exec_lo
	v_cmpx_ne_u32_e32 0x7f, v18
	s_cbranch_execz .LBB302_2552
; %bb.2549:                             ;   in Loop: Header=BB302_2076 Depth=1
	v_and_b32_sdwa v1, v6, v96 dst_sel:DWORD dst_unused:UNUSED_PAD src0_sel:WORD_0 src1_sel:DWORD
	v_lshrrev_b32_e32 v15, 3, v18
	s_mov_b32 s28, exec_lo
	v_cmpx_gt_u32_e32 8, v18
; %bb.2550:                             ;   in Loop: Header=BB302_2076 Depth=1
	v_ffbh_u32_e32 v1, v1
	v_min_u32_e32 v1, 32, v1
	v_subrev_nc_u32_e32 v15, 28, v1
	v_lshlrev_b64 v[18:19], v15, v[6:7]
	v_sub_nc_u32_e32 v15, 29, v1
	v_and_b32_e32 v1, 7, v18
; %bb.2551:                             ;   in Loop: Header=BB302_2076 Depth=1
	s_or_b32 exec_lo, exec_lo, s28
	v_lshlrev_b32_sdwa v6, v97, v6 dst_sel:DWORD dst_unused:UNUSED_PAD src0_sel:DWORD src1_sel:WORD_0
	v_lshl_add_u32 v15, v15, 10, 0x2000
	v_lshlrev_b32_e32 v1, 23, v1
	v_and_or_b32 v6, 0x8000, v6, v15
	v_lshl_or_b32 v1, v6, 16, v1
.LBB302_2552:                           ;   in Loop: Header=BB302_2076 Depth=1
	s_or_b32 exec_lo, exec_lo, s27
.LBB302_2553:                           ;   in Loop: Header=BB302_2076 Depth=1
	s_or_b32 exec_lo, exec_lo, s26
.LBB302_2554:                           ;   in Loop: Header=BB302_2076 Depth=1
	s_or_b32 exec_lo, exec_lo, s25
	v_lshrrev_b32_e32 v6, 16, v12
	v_mov_b32_e32 v15, 0
	v_mov_b32_e32 v18, 0
	v_cmp_ne_u16_sdwa s12, v6, v7 src0_sel:BYTE_0 src1_sel:DWORD
	s_and_saveexec_b32 s25, s12
	s_cbranch_execz .LBB302_2562
; %bb.2555:                             ;   in Loop: Header=BB302_2076 Depth=1
	v_cmp_ne_u16_sdwa s12, v6, v86 src0_sel:BYTE_0 src1_sel:DWORD
	v_mov_b32_e32 v18, 0x8000
	s_and_saveexec_b32 s26, s12
	s_cbranch_execz .LBB302_2561
; %bb.2556:                             ;   in Loop: Header=BB302_2076 Depth=1
	v_bfe_u32 v28, v12, 16, 7
	v_mov_b32_e32 v18, 0x7c01
	s_mov_b32 s27, exec_lo
	v_cmpx_ne_u32_e32 0x7f, v28
	s_cbranch_execz .LBB302_2560
; %bb.2557:                             ;   in Loop: Header=BB302_2076 Depth=1
	v_and_b32_e32 v18, 7, v6
	v_lshrrev_b32_e32 v19, 3, v28
	s_mov_b32 s28, exec_lo
	v_cmpx_gt_u32_e32 8, v28
; %bb.2558:                             ;   in Loop: Header=BB302_2076 Depth=1
	v_ffbh_u32_e32 v18, v18
	v_min_u32_e32 v28, 32, v18
	v_subrev_nc_u32_e32 v18, 28, v28
	v_lshlrev_b64 v[18:19], v18, v[6:7]
	v_sub_nc_u32_e32 v19, 29, v28
	v_and_b32_e32 v18, 7, v18
; %bb.2559:                             ;   in Loop: Header=BB302_2076 Depth=1
	s_or_b32 exec_lo, exec_lo, s28
	v_lshlrev_b32_e32 v6, 8, v6
	v_lshl_add_u32 v19, v19, 10, 0x2000
	v_lshlrev_b32_e32 v18, 7, v18
	v_and_b32_e32 v6, 0x8000, v6
	v_and_b32_e32 v19, 0xfc00, v19
	v_or3_b32 v18, v6, v19, v18
.LBB302_2560:                           ;   in Loop: Header=BB302_2076 Depth=1
	s_or_b32 exec_lo, exec_lo, s27
.LBB302_2561:                           ;   in Loop: Header=BB302_2076 Depth=1
	s_or_b32 exec_lo, exec_lo, s26
.LBB302_2562:                           ;   in Loop: Header=BB302_2076 Depth=1
	s_or_b32 exec_lo, exec_lo, s25
	s_mov_b32 s25, exec_lo
	v_cmpx_lt_u32_e32 0xffffff, v12
	s_cbranch_execz .LBB302_2570
; %bb.2563:                             ;   in Loop: Header=BB302_2076 Depth=1
	v_lshrrev_b32_e32 v6, 24, v12
	v_bfrev_b32_e32 v15, 1
	s_mov_b32 s26, exec_lo
	v_cmpx_ne_u32_e32 0x80, v6
	s_cbranch_execz .LBB302_2569
; %bb.2564:                             ;   in Loop: Header=BB302_2076 Depth=1
	v_and_b32_e32 v28, 0x7f, v6
	v_mov_b32_e32 v15, 0x7c010000
	s_mov_b32 s27, exec_lo
	v_cmpx_ne_u32_e32 0x7f, v28
	s_cbranch_execz .LBB302_2568
; %bb.2565:                             ;   in Loop: Header=BB302_2076 Depth=1
	v_and_b32_e32 v15, 7, v6
	v_lshrrev_b32_e32 v19, 3, v28
	s_mov_b32 s28, exec_lo
	v_cmpx_gt_u32_e32 8, v28
; %bb.2566:                             ;   in Loop: Header=BB302_2076 Depth=1
	v_ffbh_u32_e32 v15, v15
	v_min_u32_e32 v15, 32, v15
	v_subrev_nc_u32_e32 v19, 28, v15
	v_lshlrev_b64 v[28:29], v19, v[6:7]
	v_sub_nc_u32_e32 v19, 29, v15
	v_and_b32_e32 v15, 7, v28
; %bb.2567:                             ;   in Loop: Header=BB302_2076 Depth=1
	s_or_b32 exec_lo, exec_lo, s28
	v_lshlrev_b32_e32 v6, 8, v6
	v_lshl_add_u32 v19, v19, 10, 0x2000
	v_lshlrev_b32_e32 v15, 23, v15
	v_and_or_b32 v6, 0x8000, v6, v19
	v_lshl_or_b32 v15, v6, 16, v15
.LBB302_2568:                           ;   in Loop: Header=BB302_2076 Depth=1
	s_or_b32 exec_lo, exec_lo, s27
.LBB302_2569:                           ;   in Loop: Header=BB302_2076 Depth=1
	s_or_b32 exec_lo, exec_lo, s26
.LBB302_2570:                           ;   in Loop: Header=BB302_2076 Depth=1
	s_or_b32 exec_lo, exec_lo, s25
	v_mov_b32_e32 v6, v13
	v_cmp_ne_u16_sdwa s12, v13, v7 src0_sel:BYTE_0 src1_sel:DWORD
	v_mov_b32_e32 v19, 0
	v_mov_b32_e32 v28, 0
	s_and_saveexec_b32 s25, s12
	s_cbranch_execz .LBB302_2578
; %bb.2571:                             ;   in Loop: Header=BB302_2076 Depth=1
	v_cmp_ne_u16_sdwa s12, v13, v86 src0_sel:BYTE_0 src1_sel:DWORD
	v_mov_b32_e32 v28, 0x8000
	s_and_saveexec_b32 s26, s12
	s_cbranch_execz .LBB302_2577
; %bb.2572:                             ;   in Loop: Header=BB302_2076 Depth=1
	v_and_b32_e32 v30, 0x7f, v13
	v_mov_b32_e32 v28, 0x7c01
	s_mov_b32 s27, exec_lo
	v_cmpx_ne_u32_e32 0x7f, v30
	s_cbranch_execz .LBB302_2576
; %bb.2573:                             ;   in Loop: Header=BB302_2076 Depth=1
	v_and_b32_e32 v28, 7, v13
	v_lshrrev_b32_e32 v29, 3, v30
	s_mov_b32 s28, exec_lo
	v_cmpx_gt_u32_e32 8, v30
; %bb.2574:                             ;   in Loop: Header=BB302_2076 Depth=1
	v_ffbh_u32_e32 v28, v28
	v_min_u32_e32 v30, 32, v28
	v_subrev_nc_u32_e32 v28, 28, v30
	v_lshlrev_b64 v[28:29], v28, v[6:7]
	v_sub_nc_u32_e32 v29, 29, v30
	v_and_b32_e32 v28, 7, v28
; %bb.2575:                             ;   in Loop: Header=BB302_2076 Depth=1
	s_or_b32 exec_lo, exec_lo, s28
	v_lshlrev_b32_e32 v30, 8, v13
	v_lshl_add_u32 v29, v29, 10, 0x2000
	v_lshlrev_b32_e32 v28, 7, v28
	v_and_b32_e32 v30, 0x8000, v30
	v_and_b32_e32 v29, 0xfc00, v29
	v_or3_b32 v28, v30, v29, v28
.LBB302_2576:                           ;   in Loop: Header=BB302_2076 Depth=1
	s_or_b32 exec_lo, exec_lo, s27
.LBB302_2577:                           ;   in Loop: Header=BB302_2076 Depth=1
	s_or_b32 exec_lo, exec_lo, s26
.LBB302_2578:                           ;   in Loop: Header=BB302_2076 Depth=1
	s_or_b32 exec_lo, exec_lo, s25
	v_lshrrev_b16 v6, 8, v6
	v_mov_b32_e32 v29, 0
	s_mov_b32 s25, exec_lo
	v_cmpx_ne_u16_e32 0, v6
	s_cbranch_execz .LBB302_2586
; %bb.2579:                             ;   in Loop: Header=BB302_2076 Depth=1
	v_bfrev_b32_e32 v29, 1
	s_mov_b32 s26, exec_lo
	v_cmpx_ne_u16_e32 0x80, v6
	s_cbranch_execz .LBB302_2585
; %bb.2580:                             ;   in Loop: Header=BB302_2076 Depth=1
	v_and_b32_sdwa v31, v6, v87 dst_sel:DWORD dst_unused:UNUSED_PAD src0_sel:WORD_0 src1_sel:DWORD
	v_mov_b32_e32 v29, 0x7c010000
	s_mov_b32 s27, exec_lo
	v_cmpx_ne_u32_e32 0x7f, v31
	s_cbranch_execz .LBB302_2584
; %bb.2581:                             ;   in Loop: Header=BB302_2076 Depth=1
	v_and_b32_sdwa v29, v6, v96 dst_sel:DWORD dst_unused:UNUSED_PAD src0_sel:WORD_0 src1_sel:DWORD
	v_lshrrev_b32_e32 v30, 3, v31
	s_mov_b32 s28, exec_lo
	v_cmpx_gt_u32_e32 8, v31
; %bb.2582:                             ;   in Loop: Header=BB302_2076 Depth=1
	v_ffbh_u32_e32 v29, v29
	v_min_u32_e32 v31, 32, v29
	v_subrev_nc_u32_e32 v29, 28, v31
	v_lshlrev_b64 v[29:30], v29, v[6:7]
	v_sub_nc_u32_e32 v30, 29, v31
	v_and_b32_e32 v29, 7, v29
; %bb.2583:                             ;   in Loop: Header=BB302_2076 Depth=1
	s_or_b32 exec_lo, exec_lo, s28
	v_lshlrev_b32_sdwa v6, v97, v6 dst_sel:DWORD dst_unused:UNUSED_PAD src0_sel:DWORD src1_sel:WORD_0
	v_lshl_add_u32 v30, v30, 10, 0x2000
	v_lshlrev_b32_e32 v29, 23, v29
	v_and_or_b32 v6, 0x8000, v6, v30
	v_lshl_or_b32 v29, v6, 16, v29
.LBB302_2584:                           ;   in Loop: Header=BB302_2076 Depth=1
	s_or_b32 exec_lo, exec_lo, s27
.LBB302_2585:                           ;   in Loop: Header=BB302_2076 Depth=1
	s_or_b32 exec_lo, exec_lo, s26
.LBB302_2586:                           ;   in Loop: Header=BB302_2076 Depth=1
	s_or_b32 exec_lo, exec_lo, s25
	v_lshrrev_b32_e32 v6, 16, v13
	v_cmp_ne_u16_sdwa s12, v6, v7 src0_sel:BYTE_0 src1_sel:DWORD
	s_and_saveexec_b32 s25, s12
	s_cbranch_execz .LBB302_2594
; %bb.2587:                             ;   in Loop: Header=BB302_2076 Depth=1
	v_cmp_ne_u16_sdwa s12, v6, v86 src0_sel:BYTE_0 src1_sel:DWORD
	v_mov_b32_e32 v19, 0x8000
	s_and_saveexec_b32 s26, s12
	s_cbranch_execz .LBB302_2593
; %bb.2588:                             ;   in Loop: Header=BB302_2076 Depth=1
	v_bfe_u32 v31, v13, 16, 7
	v_mov_b32_e32 v19, 0x7c01
	s_mov_b32 s27, exec_lo
	v_cmpx_ne_u32_e32 0x7f, v31
	s_cbranch_execz .LBB302_2592
; %bb.2589:                             ;   in Loop: Header=BB302_2076 Depth=1
	v_and_b32_e32 v19, 7, v6
	v_lshrrev_b32_e32 v30, 3, v31
	s_mov_b32 s28, exec_lo
	v_cmpx_gt_u32_e32 8, v31
; %bb.2590:                             ;   in Loop: Header=BB302_2076 Depth=1
	v_ffbh_u32_e32 v19, v19
	v_min_u32_e32 v19, 32, v19
	v_subrev_nc_u32_e32 v30, 28, v19
	v_lshlrev_b64 v[65:66], v30, v[6:7]
	v_sub_nc_u32_e32 v30, 29, v19
	v_and_b32_e32 v19, 7, v65
; %bb.2591:                             ;   in Loop: Header=BB302_2076 Depth=1
	s_or_b32 exec_lo, exec_lo, s28
	v_lshlrev_b32_e32 v6, 8, v6
	v_lshl_add_u32 v30, v30, 10, 0x2000
	v_lshlrev_b32_e32 v19, 7, v19
	v_and_b32_e32 v6, 0x8000, v6
	v_and_b32_e32 v30, 0xfc00, v30
	v_or3_b32 v19, v6, v30, v19
.LBB302_2592:                           ;   in Loop: Header=BB302_2076 Depth=1
	s_or_b32 exec_lo, exec_lo, s27
.LBB302_2593:                           ;   in Loop: Header=BB302_2076 Depth=1
	s_or_b32 exec_lo, exec_lo, s26
.LBB302_2594:                           ;   in Loop: Header=BB302_2076 Depth=1
	s_or_b32 exec_lo, exec_lo, s25
	v_cmp_lt_u64_e64 s12, s[22:23], v[12:13]
	v_mov_b32_e32 v12, 0
	s_and_saveexec_b32 s25, s12
	s_cbranch_execz .LBB302_2602
; %bb.2595:                             ;   in Loop: Header=BB302_2076 Depth=1
	v_lshrrev_b32_e32 v6, 24, v13
	v_bfrev_b32_e32 v12, 1
	s_mov_b32 s26, exec_lo
	v_cmpx_ne_u32_e32 0x80, v6
	s_cbranch_execz .LBB302_2601
; %bb.2596:                             ;   in Loop: Header=BB302_2076 Depth=1
	v_and_b32_e32 v30, 0x7f, v6
	v_mov_b32_e32 v12, 0x7c010000
	s_mov_b32 s27, exec_lo
	v_cmpx_ne_u32_e32 0x7f, v30
	s_cbranch_execz .LBB302_2600
; %bb.2597:                             ;   in Loop: Header=BB302_2076 Depth=1
	v_and_b32_e32 v12, 7, v6
	v_lshrrev_b32_e32 v13, 3, v30
	s_mov_b32 s28, exec_lo
	v_cmpx_gt_u32_e32 8, v30
; %bb.2598:                             ;   in Loop: Header=BB302_2076 Depth=1
	v_ffbh_u32_e32 v12, v12
	v_min_u32_e32 v30, 32, v12
	v_subrev_nc_u32_e32 v12, 28, v30
	v_lshlrev_b64 v[12:13], v12, v[6:7]
	v_sub_nc_u32_e32 v13, 29, v30
	v_and_b32_e32 v12, 7, v12
; %bb.2599:                             ;   in Loop: Header=BB302_2076 Depth=1
	s_or_b32 exec_lo, exec_lo, s28
	v_lshlrev_b32_e32 v6, 8, v6
	v_lshl_add_u32 v13, v13, 10, 0x2000
	v_lshlrev_b32_e32 v12, 23, v12
	v_and_or_b32 v6, 0x8000, v6, v13
	v_lshl_or_b32 v12, v6, 16, v12
.LBB302_2600:                           ;   in Loop: Header=BB302_2076 Depth=1
	s_or_b32 exec_lo, exec_lo, s27
.LBB302_2601:                           ;   in Loop: Header=BB302_2076 Depth=1
	s_or_b32 exec_lo, exec_lo, s26
.LBB302_2602:                           ;   in Loop: Header=BB302_2076 Depth=1
	s_or_b32 exec_lo, exec_lo, s25
	v_or_b32_e32 v6, v15, v18
	s_waitcnt vmcnt(0) lgkmcnt(0)
	v_fma_mixlo_f16 v13, v0, v15, 0 op_sel:[0,1,0] op_sel_hi:[0,1,0]
	v_or_b32_e32 v14, v1, v14
	v_fma_mixlo_f16 v15, v0, v1, 0 op_sel:[0,1,0] op_sel_hi:[0,1,0]
	v_or_b32_e32 v18, v29, v28
	v_or_b32_e32 v19, v12, v19
	v_fma_mixlo_f16 v6, v0, v6, 0 op_sel_hi:[0,1,0]
	v_lshlrev_b32_e32 v1, 16, v13
	v_lshlrev_b32_e32 v13, 16, v15
	v_fma_mixlo_f16 v14, v0, v14, 0 op_sel_hi:[0,1,0]
	v_fma_mixlo_f16 v15, v0, v29, 0 op_sel:[0,1,0] op_sel_hi:[0,1,0]
	v_fma_mixlo_f16 v18, v0, v18, 0 op_sel_hi:[0,1,0]
	v_fma_mixlo_f16 v12, v0, v12, 0 op_sel:[0,1,0] op_sel_hi:[0,1,0]
	v_fma_mixlo_f16 v0, v0, v19, 0 op_sel_hi:[0,1,0]
	v_and_b32_e32 v6, 0xffff, v6
	v_and_b32_e32 v30, 0xffff, v14
	v_lshlrev_b32_e32 v19, 16, v15
	v_and_b32_e32 v29, 0xffff, v18
	v_lshlrev_b32_e32 v18, 16, v12
	v_and_b32_e32 v28, 0xffff, v0
	v_or_b32_e32 v0, v1, v6
	v_or_b32_e32 v15, v13, v30
	v_or_b32_e32 v14, v19, v29
	v_or_b32_e32 v12, v18, v28
	s_and_saveexec_b32 s12, s7
	s_cbranch_execz .LBB302_2604
; %bb.2603:                             ;   in Loop: Header=BB302_2076 Depth=1
	v_cndmask_b32_e32 v0, 0, v30, vcc_lo
	v_cndmask_b32_e64 v12, 0, v13, s5
	v_cndmask_b32_e64 v6, 0, v6, s4
	;; [unrolled: 1-line block ×7, first 2 shown]
	v_or_b32_e32 v15, v0, v12
	v_or_b32_e32 v0, v6, v1
	v_or_b32_e32 v14, v13, v14
	v_or_b32_e32 v12, v19, v18
.LBB302_2604:                           ;   in Loop: Header=BB302_2076 Depth=1
	s_or_b32 exec_lo, exec_lo, s12
	;;#ASMSTART
	v_pk_mul_f16 v1, v102, v15;

	;;#ASMEND
	;;#ASMSTART
	v_pk_mul_f16 v0, v101, v0;

	;;#ASMEND
	;; [unrolled: 4-line block ×4, first 2 shown]
	;;#ASMSTART
	v_pk_add_f16 v0, v1, v0;

	;;#ASMEND
	;;#ASMSTART
	v_pk_add_f16 v0, v0, v6;

	;;#ASMEND
	;; [unrolled: 4-line block ×3, first 2 shown]
	v_add_co_u32 v12, s12, 0x800, v10
	v_add_co_ci_u32_e64 v13, null, 0, v11, s12
	v_lshrrev_b32_e32 v1, 16, v0
	v_and_b32_e32 v0, 0xffff, v0
	;;#ASMSTART
	v_cvt_f32_f16 v45, v0;
	;;#ASMEND
	;;#ASMSTART
	v_cvt_f32_f16 v116, v1;
	;;#ASMEND
	flat_load_dwordx2 v[14:15], v[12:13]
	s_clause 0x1
	buffer_load_dword v0, off, s[0:3], s32 offset:192
	buffer_load_dword v1, off, s[0:3], s32 offset:196
	v_mov_b32_e32 v18, 0
	s_waitcnt vmcnt(2) lgkmcnt(0)
	v_cmp_ne_u16_sdwa s12, v14, v7 src0_sel:BYTE_0 src1_sel:DWORD
	s_waitcnt vmcnt(0)
	flat_load_dword v0, v[0:1]
	v_mov_b32_e32 v1, 0
	s_and_saveexec_b32 s25, s12
	s_cbranch_execz .LBB302_2612
; %bb.2605:                             ;   in Loop: Header=BB302_2076 Depth=1
	v_cmp_ne_u16_sdwa s12, v14, v86 src0_sel:BYTE_0 src1_sel:DWORD
	v_mov_b32_e32 v18, 0x8000
	s_and_saveexec_b32 s26, s12
	s_cbranch_execz .LBB302_2611
; %bb.2606:                             ;   in Loop: Header=BB302_2076 Depth=1
	v_and_b32_e32 v19, 0x7f, v14
	v_mov_b32_e32 v18, 0x7c01
	s_mov_b32 s27, exec_lo
	v_cmpx_ne_u32_e32 0x7f, v19
	s_cbranch_execz .LBB302_2610
; %bb.2607:                             ;   in Loop: Header=BB302_2076 Depth=1
	v_and_b32_e32 v6, 7, v14
	v_lshrrev_b32_e32 v18, 3, v19
	s_mov_b32 s28, exec_lo
	v_cmpx_gt_u32_e32 8, v19
; %bb.2608:                             ;   in Loop: Header=BB302_2076 Depth=1
	v_ffbh_u32_e32 v6, v6
	v_min_u32_e32 v6, 32, v6
	v_subrev_nc_u32_e32 v18, 28, v6
	v_lshlrev_b64 v[28:29], v18, v[14:15]
	v_sub_nc_u32_e32 v18, 29, v6
	v_and_b32_e32 v6, 7, v28
; %bb.2609:                             ;   in Loop: Header=BB302_2076 Depth=1
	s_or_b32 exec_lo, exec_lo, s28
	v_lshlrev_b32_e32 v19, 8, v14
	v_lshl_add_u32 v18, v18, 10, 0x2000
	v_lshlrev_b32_e32 v6, 7, v6
	v_and_b32_e32 v19, 0x8000, v19
	v_and_b32_e32 v18, 0xfc00, v18
	v_or3_b32 v18, v19, v18, v6
.LBB302_2610:                           ;   in Loop: Header=BB302_2076 Depth=1
	s_or_b32 exec_lo, exec_lo, s27
.LBB302_2611:                           ;   in Loop: Header=BB302_2076 Depth=1
	s_or_b32 exec_lo, exec_lo, s26
.LBB302_2612:                           ;   in Loop: Header=BB302_2076 Depth=1
	s_or_b32 exec_lo, exec_lo, s25
	v_lshrrev_b16 v6, 8, v14
	s_mov_b32 s25, exec_lo
	v_cmpx_ne_u16_e32 0, v6
	s_cbranch_execz .LBB302_2620
; %bb.2613:                             ;   in Loop: Header=BB302_2076 Depth=1
	v_bfrev_b32_e32 v1, 1
	s_mov_b32 s26, exec_lo
	v_cmpx_ne_u16_e32 0x80, v6
	s_cbranch_execz .LBB302_2619
; %bb.2614:                             ;   in Loop: Header=BB302_2076 Depth=1
	v_and_b32_sdwa v28, v6, v87 dst_sel:DWORD dst_unused:UNUSED_PAD src0_sel:WORD_0 src1_sel:DWORD
	v_mov_b32_e32 v1, 0x7c010000
	s_mov_b32 s27, exec_lo
	v_cmpx_ne_u32_e32 0x7f, v28
	s_cbranch_execz .LBB302_2618
; %bb.2615:                             ;   in Loop: Header=BB302_2076 Depth=1
	v_and_b32_sdwa v1, v6, v96 dst_sel:DWORD dst_unused:UNUSED_PAD src0_sel:WORD_0 src1_sel:DWORD
	v_lshrrev_b32_e32 v19, 3, v28
	s_mov_b32 s28, exec_lo
	v_cmpx_gt_u32_e32 8, v28
; %bb.2616:                             ;   in Loop: Header=BB302_2076 Depth=1
	v_ffbh_u32_e32 v1, v1
	v_min_u32_e32 v1, 32, v1
	v_subrev_nc_u32_e32 v19, 28, v1
	v_lshlrev_b64 v[28:29], v19, v[6:7]
	v_sub_nc_u32_e32 v19, 29, v1
	v_and_b32_e32 v1, 7, v28
; %bb.2617:                             ;   in Loop: Header=BB302_2076 Depth=1
	s_or_b32 exec_lo, exec_lo, s28
	v_lshlrev_b32_sdwa v6, v97, v6 dst_sel:DWORD dst_unused:UNUSED_PAD src0_sel:DWORD src1_sel:WORD_0
	v_lshl_add_u32 v19, v19, 10, 0x2000
	v_lshlrev_b32_e32 v1, 23, v1
	v_and_or_b32 v6, 0x8000, v6, v19
	v_lshl_or_b32 v1, v6, 16, v1
.LBB302_2618:                           ;   in Loop: Header=BB302_2076 Depth=1
	s_or_b32 exec_lo, exec_lo, s27
.LBB302_2619:                           ;   in Loop: Header=BB302_2076 Depth=1
	s_or_b32 exec_lo, exec_lo, s26
.LBB302_2620:                           ;   in Loop: Header=BB302_2076 Depth=1
	s_or_b32 exec_lo, exec_lo, s25
	v_lshrrev_b32_e32 v6, 16, v14
	v_mov_b32_e32 v19, 0
	v_mov_b32_e32 v28, 0
	v_cmp_ne_u16_sdwa s12, v6, v7 src0_sel:BYTE_0 src1_sel:DWORD
	s_and_saveexec_b32 s25, s12
	s_cbranch_execz .LBB302_2628
; %bb.2621:                             ;   in Loop: Header=BB302_2076 Depth=1
	v_cmp_ne_u16_sdwa s12, v6, v86 src0_sel:BYTE_0 src1_sel:DWORD
	v_mov_b32_e32 v28, 0x8000
	s_and_saveexec_b32 s26, s12
	s_cbranch_execz .LBB302_2627
; %bb.2622:                             ;   in Loop: Header=BB302_2076 Depth=1
	v_bfe_u32 v30, v14, 16, 7
	v_mov_b32_e32 v28, 0x7c01
	s_mov_b32 s27, exec_lo
	v_cmpx_ne_u32_e32 0x7f, v30
	s_cbranch_execz .LBB302_2626
; %bb.2623:                             ;   in Loop: Header=BB302_2076 Depth=1
	v_and_b32_e32 v28, 7, v6
	v_lshrrev_b32_e32 v29, 3, v30
	s_mov_b32 s28, exec_lo
	v_cmpx_gt_u32_e32 8, v30
; %bb.2624:                             ;   in Loop: Header=BB302_2076 Depth=1
	v_ffbh_u32_e32 v28, v28
	v_min_u32_e32 v30, 32, v28
	v_subrev_nc_u32_e32 v28, 28, v30
	v_lshlrev_b64 v[28:29], v28, v[6:7]
	v_sub_nc_u32_e32 v29, 29, v30
	v_and_b32_e32 v28, 7, v28
; %bb.2625:                             ;   in Loop: Header=BB302_2076 Depth=1
	s_or_b32 exec_lo, exec_lo, s28
	v_lshlrev_b32_e32 v6, 8, v6
	v_lshl_add_u32 v29, v29, 10, 0x2000
	v_lshlrev_b32_e32 v28, 7, v28
	v_and_b32_e32 v6, 0x8000, v6
	v_and_b32_e32 v29, 0xfc00, v29
	v_or3_b32 v28, v6, v29, v28
.LBB302_2626:                           ;   in Loop: Header=BB302_2076 Depth=1
	s_or_b32 exec_lo, exec_lo, s27
.LBB302_2627:                           ;   in Loop: Header=BB302_2076 Depth=1
	s_or_b32 exec_lo, exec_lo, s26
.LBB302_2628:                           ;   in Loop: Header=BB302_2076 Depth=1
	s_or_b32 exec_lo, exec_lo, s25
	s_mov_b32 s25, exec_lo
	v_cmpx_lt_u32_e32 0xffffff, v14
	s_cbranch_execz .LBB302_2636
; %bb.2629:                             ;   in Loop: Header=BB302_2076 Depth=1
	v_lshrrev_b32_e32 v6, 24, v14
	v_bfrev_b32_e32 v19, 1
	s_mov_b32 s26, exec_lo
	v_cmpx_ne_u32_e32 0x80, v6
	s_cbranch_execz .LBB302_2635
; %bb.2630:                             ;   in Loop: Header=BB302_2076 Depth=1
	v_and_b32_e32 v30, 0x7f, v6
	v_mov_b32_e32 v19, 0x7c010000
	s_mov_b32 s27, exec_lo
	v_cmpx_ne_u32_e32 0x7f, v30
	s_cbranch_execz .LBB302_2634
; %bb.2631:                             ;   in Loop: Header=BB302_2076 Depth=1
	v_and_b32_e32 v19, 7, v6
	v_lshrrev_b32_e32 v29, 3, v30
	s_mov_b32 s28, exec_lo
	v_cmpx_gt_u32_e32 8, v30
; %bb.2632:                             ;   in Loop: Header=BB302_2076 Depth=1
	v_ffbh_u32_e32 v19, v19
	v_min_u32_e32 v19, 32, v19
	v_subrev_nc_u32_e32 v29, 28, v19
	v_lshlrev_b64 v[30:31], v29, v[6:7]
	v_sub_nc_u32_e32 v29, 29, v19
	v_and_b32_e32 v19, 7, v30
; %bb.2633:                             ;   in Loop: Header=BB302_2076 Depth=1
	s_or_b32 exec_lo, exec_lo, s28
	v_lshlrev_b32_e32 v6, 8, v6
	v_lshl_add_u32 v29, v29, 10, 0x2000
	v_lshlrev_b32_e32 v19, 23, v19
	v_and_or_b32 v6, 0x8000, v6, v29
	v_lshl_or_b32 v19, v6, 16, v19
.LBB302_2634:                           ;   in Loop: Header=BB302_2076 Depth=1
	s_or_b32 exec_lo, exec_lo, s27
.LBB302_2635:                           ;   in Loop: Header=BB302_2076 Depth=1
	s_or_b32 exec_lo, exec_lo, s26
.LBB302_2636:                           ;   in Loop: Header=BB302_2076 Depth=1
	s_or_b32 exec_lo, exec_lo, s25
	v_mov_b32_e32 v6, v15
	v_cmp_ne_u16_sdwa s12, v15, v7 src0_sel:BYTE_0 src1_sel:DWORD
	v_mov_b32_e32 v29, 0
	v_mov_b32_e32 v30, 0
	s_and_saveexec_b32 s25, s12
	s_cbranch_execz .LBB302_2644
; %bb.2637:                             ;   in Loop: Header=BB302_2076 Depth=1
	v_cmp_ne_u16_sdwa s12, v15, v86 src0_sel:BYTE_0 src1_sel:DWORD
	v_mov_b32_e32 v30, 0x8000
	s_and_saveexec_b32 s26, s12
	s_cbranch_execz .LBB302_2643
; %bb.2638:                             ;   in Loop: Header=BB302_2076 Depth=1
	v_and_b32_e32 v51, 0x7f, v15
	v_mov_b32_e32 v30, 0x7c01
	s_mov_b32 s27, exec_lo
	v_cmpx_ne_u32_e32 0x7f, v51
	s_cbranch_execz .LBB302_2642
; %bb.2639:                             ;   in Loop: Header=BB302_2076 Depth=1
	v_and_b32_e32 v30, 7, v15
	v_lshrrev_b32_e32 v31, 3, v51
	s_mov_b32 s28, exec_lo
	v_cmpx_gt_u32_e32 8, v51
; %bb.2640:                             ;   in Loop: Header=BB302_2076 Depth=1
	v_ffbh_u32_e32 v30, v30
	v_min_u32_e32 v51, 32, v30
	v_subrev_nc_u32_e32 v30, 28, v51
	v_lshlrev_b64 v[30:31], v30, v[6:7]
	v_sub_nc_u32_e32 v31, 29, v51
	v_and_b32_e32 v30, 7, v30
; %bb.2641:                             ;   in Loop: Header=BB302_2076 Depth=1
	s_or_b32 exec_lo, exec_lo, s28
	v_lshlrev_b32_e32 v51, 8, v15
	v_lshl_add_u32 v31, v31, 10, 0x2000
	v_lshlrev_b32_e32 v30, 7, v30
	v_and_b32_e32 v51, 0x8000, v51
	v_and_b32_e32 v31, 0xfc00, v31
	v_or3_b32 v30, v51, v31, v30
.LBB302_2642:                           ;   in Loop: Header=BB302_2076 Depth=1
	s_or_b32 exec_lo, exec_lo, s27
.LBB302_2643:                           ;   in Loop: Header=BB302_2076 Depth=1
	s_or_b32 exec_lo, exec_lo, s26
.LBB302_2644:                           ;   in Loop: Header=BB302_2076 Depth=1
	s_or_b32 exec_lo, exec_lo, s25
	v_lshrrev_b16 v6, 8, v6
	v_mov_b32_e32 v31, 0
	s_mov_b32 s25, exec_lo
	v_cmpx_ne_u16_e32 0, v6
	s_cbranch_execz .LBB302_2652
; %bb.2645:                             ;   in Loop: Header=BB302_2076 Depth=1
	v_bfrev_b32_e32 v31, 1
	s_mov_b32 s26, exec_lo
	v_cmpx_ne_u16_e32 0x80, v6
	s_cbranch_execz .LBB302_2651
; %bb.2646:                             ;   in Loop: Header=BB302_2076 Depth=1
	v_and_b32_sdwa v54, v6, v87 dst_sel:DWORD dst_unused:UNUSED_PAD src0_sel:WORD_0 src1_sel:DWORD
	v_mov_b32_e32 v31, 0x7c010000
	s_mov_b32 s27, exec_lo
	v_cmpx_ne_u32_e32 0x7f, v54
	s_cbranch_execz .LBB302_2650
; %bb.2647:                             ;   in Loop: Header=BB302_2076 Depth=1
	v_and_b32_sdwa v31, v6, v96 dst_sel:DWORD dst_unused:UNUSED_PAD src0_sel:WORD_0 src1_sel:DWORD
	v_lshrrev_b32_e32 v51, 3, v54
	s_mov_b32 s28, exec_lo
	v_cmpx_gt_u32_e32 8, v54
; %bb.2648:                             ;   in Loop: Header=BB302_2076 Depth=1
	v_ffbh_u32_e32 v31, v31
	v_min_u32_e32 v31, 32, v31
	v_subrev_nc_u32_e32 v51, 28, v31
	v_lshlrev_b64 v[65:66], v51, v[6:7]
	v_sub_nc_u32_e32 v51, 29, v31
	v_and_b32_e32 v31, 7, v65
; %bb.2649:                             ;   in Loop: Header=BB302_2076 Depth=1
	s_or_b32 exec_lo, exec_lo, s28
	v_lshlrev_b32_sdwa v6, v97, v6 dst_sel:DWORD dst_unused:UNUSED_PAD src0_sel:DWORD src1_sel:WORD_0
	v_lshl_add_u32 v51, v51, 10, 0x2000
	v_lshlrev_b32_e32 v31, 23, v31
	v_and_or_b32 v6, 0x8000, v6, v51
	v_lshl_or_b32 v31, v6, 16, v31
.LBB302_2650:                           ;   in Loop: Header=BB302_2076 Depth=1
	s_or_b32 exec_lo, exec_lo, s27
.LBB302_2651:                           ;   in Loop: Header=BB302_2076 Depth=1
	s_or_b32 exec_lo, exec_lo, s26
.LBB302_2652:                           ;   in Loop: Header=BB302_2076 Depth=1
	s_or_b32 exec_lo, exec_lo, s25
	v_lshrrev_b32_e32 v6, 16, v15
	v_cmp_ne_u16_sdwa s12, v6, v7 src0_sel:BYTE_0 src1_sel:DWORD
	s_and_saveexec_b32 s25, s12
	s_cbranch_execz .LBB302_2660
; %bb.2653:                             ;   in Loop: Header=BB302_2076 Depth=1
	v_cmp_ne_u16_sdwa s12, v6, v86 src0_sel:BYTE_0 src1_sel:DWORD
	v_mov_b32_e32 v29, 0x8000
	s_and_saveexec_b32 s26, s12
	s_cbranch_execz .LBB302_2659
; %bb.2654:                             ;   in Loop: Header=BB302_2076 Depth=1
	v_bfe_u32 v54, v15, 16, 7
	v_mov_b32_e32 v29, 0x7c01
	s_mov_b32 s27, exec_lo
	v_cmpx_ne_u32_e32 0x7f, v54
	s_cbranch_execz .LBB302_2658
; %bb.2655:                             ;   in Loop: Header=BB302_2076 Depth=1
	v_and_b32_e32 v29, 7, v6
	v_lshrrev_b32_e32 v51, 3, v54
	s_mov_b32 s28, exec_lo
	v_cmpx_gt_u32_e32 8, v54
; %bb.2656:                             ;   in Loop: Header=BB302_2076 Depth=1
	v_ffbh_u32_e32 v29, v29
	v_min_u32_e32 v29, 32, v29
	v_subrev_nc_u32_e32 v51, 28, v29
	v_lshlrev_b64 v[65:66], v51, v[6:7]
	v_sub_nc_u32_e32 v51, 29, v29
	v_and_b32_e32 v29, 7, v65
; %bb.2657:                             ;   in Loop: Header=BB302_2076 Depth=1
	s_or_b32 exec_lo, exec_lo, s28
	v_lshlrev_b32_e32 v6, 8, v6
	v_lshl_add_u32 v51, v51, 10, 0x2000
	v_lshlrev_b32_e32 v29, 7, v29
	v_and_b32_e32 v6, 0x8000, v6
	v_and_b32_e32 v51, 0xfc00, v51
	v_or3_b32 v29, v6, v51, v29
.LBB302_2658:                           ;   in Loop: Header=BB302_2076 Depth=1
	s_or_b32 exec_lo, exec_lo, s27
.LBB302_2659:                           ;   in Loop: Header=BB302_2076 Depth=1
	s_or_b32 exec_lo, exec_lo, s26
.LBB302_2660:                           ;   in Loop: Header=BB302_2076 Depth=1
	s_or_b32 exec_lo, exec_lo, s25
	v_cmp_lt_u64_e64 s12, s[22:23], v[14:15]
	v_mov_b32_e32 v14, 0
	s_and_saveexec_b32 s25, s12
	s_cbranch_execz .LBB302_2668
; %bb.2661:                             ;   in Loop: Header=BB302_2076 Depth=1
	v_lshrrev_b32_e32 v6, 24, v15
	v_bfrev_b32_e32 v14, 1
	s_mov_b32 s26, exec_lo
	v_cmpx_ne_u32_e32 0x80, v6
	s_cbranch_execz .LBB302_2667
; %bb.2662:                             ;   in Loop: Header=BB302_2076 Depth=1
	v_and_b32_e32 v51, 0x7f, v6
	v_mov_b32_e32 v14, 0x7c010000
	s_mov_b32 s27, exec_lo
	v_cmpx_ne_u32_e32 0x7f, v51
	s_cbranch_execz .LBB302_2666
; %bb.2663:                             ;   in Loop: Header=BB302_2076 Depth=1
	v_and_b32_e32 v14, 7, v6
	v_lshrrev_b32_e32 v15, 3, v51
	s_mov_b32 s28, exec_lo
	v_cmpx_gt_u32_e32 8, v51
; %bb.2664:                             ;   in Loop: Header=BB302_2076 Depth=1
	v_ffbh_u32_e32 v14, v14
	v_min_u32_e32 v51, 32, v14
	v_subrev_nc_u32_e32 v14, 28, v51
	v_lshlrev_b64 v[14:15], v14, v[6:7]
	v_sub_nc_u32_e32 v15, 29, v51
	v_and_b32_e32 v14, 7, v14
; %bb.2665:                             ;   in Loop: Header=BB302_2076 Depth=1
	s_or_b32 exec_lo, exec_lo, s28
	v_lshlrev_b32_e32 v6, 8, v6
	v_lshl_add_u32 v15, v15, 10, 0x2000
	v_lshlrev_b32_e32 v14, 23, v14
	v_and_or_b32 v6, 0x8000, v6, v15
	v_lshl_or_b32 v14, v6, 16, v14
.LBB302_2666:                           ;   in Loop: Header=BB302_2076 Depth=1
	s_or_b32 exec_lo, exec_lo, s27
.LBB302_2667:                           ;   in Loop: Header=BB302_2076 Depth=1
	s_or_b32 exec_lo, exec_lo, s26
.LBB302_2668:                           ;   in Loop: Header=BB302_2076 Depth=1
	s_or_b32 exec_lo, exec_lo, s25
	v_or_b32_e32 v6, v19, v28
	s_waitcnt vmcnt(0) lgkmcnt(0)
	v_fma_mixlo_f16 v15, v0, v19, 0 op_sel:[0,1,0] op_sel_hi:[0,1,0]
	v_or_b32_e32 v18, v1, v18
	v_fma_mixlo_f16 v19, v0, v1, 0 op_sel:[0,1,0] op_sel_hi:[0,1,0]
	v_or_b32_e32 v28, v31, v30
	v_or_b32_e32 v29, v14, v29
	v_fma_mixlo_f16 v6, v0, v6, 0 op_sel_hi:[0,1,0]
	v_lshlrev_b32_e32 v1, 16, v15
	v_lshlrev_b32_e32 v15, 16, v19
	v_fma_mixlo_f16 v18, v0, v18, 0 op_sel_hi:[0,1,0]
	v_fma_mixlo_f16 v19, v0, v31, 0 op_sel:[0,1,0] op_sel_hi:[0,1,0]
	v_fma_mixlo_f16 v28, v0, v28, 0 op_sel_hi:[0,1,0]
	v_fma_mixlo_f16 v14, v0, v14, 0 op_sel:[0,1,0] op_sel_hi:[0,1,0]
	v_fma_mixlo_f16 v0, v0, v29, 0 op_sel_hi:[0,1,0]
	v_and_b32_e32 v6, 0xffff, v6
	v_and_b32_e32 v51, 0xffff, v18
	v_lshlrev_b32_e32 v29, 16, v19
	v_and_b32_e32 v31, 0xffff, v28
	v_lshlrev_b32_e32 v28, 16, v14
	v_and_b32_e32 v30, 0xffff, v0
	v_or_b32_e32 v0, v1, v6
	v_or_b32_e32 v19, v15, v51
	;; [unrolled: 1-line block ×4, first 2 shown]
	s_and_saveexec_b32 s12, s7
	s_cbranch_execz .LBB302_2670
; %bb.2669:                             ;   in Loop: Header=BB302_2076 Depth=1
	v_cndmask_b32_e32 v0, 0, v51, vcc_lo
	v_cndmask_b32_e64 v14, 0, v15, s5
	v_cndmask_b32_e64 v6, 0, v6, s4
	;; [unrolled: 1-line block ×7, first 2 shown]
	v_or_b32_e32 v19, v0, v14
	v_or_b32_e32 v0, v6, v1
	;; [unrolled: 1-line block ×4, first 2 shown]
.LBB302_2670:                           ;   in Loop: Header=BB302_2076 Depth=1
	s_or_b32 exec_lo, exec_lo, s12
	;;#ASMSTART
	v_pk_mul_f16 v1, v102, v19;

	;;#ASMEND
	;;#ASMSTART
	v_pk_mul_f16 v0, v101, v0;

	;;#ASMEND
	;; [unrolled: 4-line block ×4, first 2 shown]
	;;#ASMSTART
	v_pk_add_f16 v0, v1, v0;

	;;#ASMEND
	;;#ASMSTART
	v_pk_add_f16 v0, v0, v6;

	;;#ASMEND
	;; [unrolled: 4-line block ×3, first 2 shown]
	v_and_b32_e32 v1, 0xffff, v0
	v_lshrrev_b32_e32 v0, 16, v0
	;;#ASMSTART
	v_cvt_f32_f16 v47, v1;
	;;#ASMEND
	;;#ASMSTART
	v_cvt_f32_f16 v54, v0;
	;;#ASMEND
	flat_load_dwordx2 v[14:15], v[12:13] offset:256
	s_clause 0x1
	buffer_load_dword v0, off, s[0:3], s32 offset:192
	buffer_load_dword v1, off, s[0:3], s32 offset:196
	v_mov_b32_e32 v18, 0
	s_waitcnt vmcnt(2) lgkmcnt(0)
	v_cmp_ne_u16_sdwa s12, v14, v7 src0_sel:BYTE_0 src1_sel:DWORD
	s_waitcnt vmcnt(0)
	flat_load_dword v0, v[0:1]
	v_mov_b32_e32 v1, 0
	s_and_saveexec_b32 s25, s12
	s_cbranch_execz .LBB302_2678
; %bb.2671:                             ;   in Loop: Header=BB302_2076 Depth=1
	v_cmp_ne_u16_sdwa s12, v14, v86 src0_sel:BYTE_0 src1_sel:DWORD
	v_mov_b32_e32 v18, 0x8000
	s_and_saveexec_b32 s26, s12
	s_cbranch_execz .LBB302_2677
; %bb.2672:                             ;   in Loop: Header=BB302_2076 Depth=1
	v_and_b32_e32 v19, 0x7f, v14
	v_mov_b32_e32 v18, 0x7c01
	s_mov_b32 s27, exec_lo
	v_cmpx_ne_u32_e32 0x7f, v19
	s_cbranch_execz .LBB302_2676
; %bb.2673:                             ;   in Loop: Header=BB302_2076 Depth=1
	v_and_b32_e32 v6, 7, v14
	v_lshrrev_b32_e32 v18, 3, v19
	s_mov_b32 s28, exec_lo
	v_cmpx_gt_u32_e32 8, v19
; %bb.2674:                             ;   in Loop: Header=BB302_2076 Depth=1
	v_ffbh_u32_e32 v6, v6
	v_min_u32_e32 v6, 32, v6
	v_subrev_nc_u32_e32 v18, 28, v6
	v_lshlrev_b64 v[28:29], v18, v[14:15]
	v_sub_nc_u32_e32 v18, 29, v6
	v_and_b32_e32 v6, 7, v28
; %bb.2675:                             ;   in Loop: Header=BB302_2076 Depth=1
	s_or_b32 exec_lo, exec_lo, s28
	v_lshlrev_b32_e32 v19, 8, v14
	v_lshl_add_u32 v18, v18, 10, 0x2000
	v_lshlrev_b32_e32 v6, 7, v6
	v_and_b32_e32 v19, 0x8000, v19
	v_and_b32_e32 v18, 0xfc00, v18
	v_or3_b32 v18, v19, v18, v6
.LBB302_2676:                           ;   in Loop: Header=BB302_2076 Depth=1
	s_or_b32 exec_lo, exec_lo, s27
.LBB302_2677:                           ;   in Loop: Header=BB302_2076 Depth=1
	s_or_b32 exec_lo, exec_lo, s26
.LBB302_2678:                           ;   in Loop: Header=BB302_2076 Depth=1
	s_or_b32 exec_lo, exec_lo, s25
	v_lshrrev_b16 v6, 8, v14
	s_mov_b32 s25, exec_lo
	v_cmpx_ne_u16_e32 0, v6
	s_cbranch_execz .LBB302_2686
; %bb.2679:                             ;   in Loop: Header=BB302_2076 Depth=1
	v_bfrev_b32_e32 v1, 1
	s_mov_b32 s26, exec_lo
	v_cmpx_ne_u16_e32 0x80, v6
	s_cbranch_execz .LBB302_2685
; %bb.2680:                             ;   in Loop: Header=BB302_2076 Depth=1
	v_and_b32_sdwa v28, v6, v87 dst_sel:DWORD dst_unused:UNUSED_PAD src0_sel:WORD_0 src1_sel:DWORD
	v_mov_b32_e32 v1, 0x7c010000
	s_mov_b32 s27, exec_lo
	v_cmpx_ne_u32_e32 0x7f, v28
	s_cbranch_execz .LBB302_2684
; %bb.2681:                             ;   in Loop: Header=BB302_2076 Depth=1
	v_and_b32_sdwa v1, v6, v96 dst_sel:DWORD dst_unused:UNUSED_PAD src0_sel:WORD_0 src1_sel:DWORD
	v_lshrrev_b32_e32 v19, 3, v28
	s_mov_b32 s28, exec_lo
	v_cmpx_gt_u32_e32 8, v28
; %bb.2682:                             ;   in Loop: Header=BB302_2076 Depth=1
	v_ffbh_u32_e32 v1, v1
	v_min_u32_e32 v1, 32, v1
	v_subrev_nc_u32_e32 v19, 28, v1
	v_lshlrev_b64 v[28:29], v19, v[6:7]
	v_sub_nc_u32_e32 v19, 29, v1
	v_and_b32_e32 v1, 7, v28
; %bb.2683:                             ;   in Loop: Header=BB302_2076 Depth=1
	s_or_b32 exec_lo, exec_lo, s28
	v_lshlrev_b32_sdwa v6, v97, v6 dst_sel:DWORD dst_unused:UNUSED_PAD src0_sel:DWORD src1_sel:WORD_0
	v_lshl_add_u32 v19, v19, 10, 0x2000
	v_lshlrev_b32_e32 v1, 23, v1
	v_and_or_b32 v6, 0x8000, v6, v19
	v_lshl_or_b32 v1, v6, 16, v1
.LBB302_2684:                           ;   in Loop: Header=BB302_2076 Depth=1
	s_or_b32 exec_lo, exec_lo, s27
.LBB302_2685:                           ;   in Loop: Header=BB302_2076 Depth=1
	s_or_b32 exec_lo, exec_lo, s26
.LBB302_2686:                           ;   in Loop: Header=BB302_2076 Depth=1
	s_or_b32 exec_lo, exec_lo, s25
	v_lshrrev_b32_e32 v6, 16, v14
	v_mov_b32_e32 v19, 0
	v_mov_b32_e32 v28, 0
	v_cmp_ne_u16_sdwa s12, v6, v7 src0_sel:BYTE_0 src1_sel:DWORD
	s_and_saveexec_b32 s25, s12
	s_cbranch_execz .LBB302_2694
; %bb.2687:                             ;   in Loop: Header=BB302_2076 Depth=1
	v_cmp_ne_u16_sdwa s12, v6, v86 src0_sel:BYTE_0 src1_sel:DWORD
	v_mov_b32_e32 v28, 0x8000
	s_and_saveexec_b32 s26, s12
	s_cbranch_execz .LBB302_2693
; %bb.2688:                             ;   in Loop: Header=BB302_2076 Depth=1
	v_bfe_u32 v30, v14, 16, 7
	v_mov_b32_e32 v28, 0x7c01
	s_mov_b32 s27, exec_lo
	v_cmpx_ne_u32_e32 0x7f, v30
	s_cbranch_execz .LBB302_2692
; %bb.2689:                             ;   in Loop: Header=BB302_2076 Depth=1
	v_and_b32_e32 v28, 7, v6
	v_lshrrev_b32_e32 v29, 3, v30
	s_mov_b32 s28, exec_lo
	v_cmpx_gt_u32_e32 8, v30
; %bb.2690:                             ;   in Loop: Header=BB302_2076 Depth=1
	v_ffbh_u32_e32 v28, v28
	v_min_u32_e32 v30, 32, v28
	v_subrev_nc_u32_e32 v28, 28, v30
	v_lshlrev_b64 v[28:29], v28, v[6:7]
	v_sub_nc_u32_e32 v29, 29, v30
	v_and_b32_e32 v28, 7, v28
; %bb.2691:                             ;   in Loop: Header=BB302_2076 Depth=1
	s_or_b32 exec_lo, exec_lo, s28
	v_lshlrev_b32_e32 v6, 8, v6
	v_lshl_add_u32 v29, v29, 10, 0x2000
	v_lshlrev_b32_e32 v28, 7, v28
	v_and_b32_e32 v6, 0x8000, v6
	v_and_b32_e32 v29, 0xfc00, v29
	v_or3_b32 v28, v6, v29, v28
.LBB302_2692:                           ;   in Loop: Header=BB302_2076 Depth=1
	s_or_b32 exec_lo, exec_lo, s27
.LBB302_2693:                           ;   in Loop: Header=BB302_2076 Depth=1
	s_or_b32 exec_lo, exec_lo, s26
.LBB302_2694:                           ;   in Loop: Header=BB302_2076 Depth=1
	s_or_b32 exec_lo, exec_lo, s25
	s_mov_b32 s25, exec_lo
	v_cmpx_lt_u32_e32 0xffffff, v14
	s_cbranch_execz .LBB302_2702
; %bb.2695:                             ;   in Loop: Header=BB302_2076 Depth=1
	v_lshrrev_b32_e32 v6, 24, v14
	v_bfrev_b32_e32 v19, 1
	s_mov_b32 s26, exec_lo
	v_cmpx_ne_u32_e32 0x80, v6
	s_cbranch_execz .LBB302_2701
; %bb.2696:                             ;   in Loop: Header=BB302_2076 Depth=1
	v_and_b32_e32 v30, 0x7f, v6
	v_mov_b32_e32 v19, 0x7c010000
	s_mov_b32 s27, exec_lo
	v_cmpx_ne_u32_e32 0x7f, v30
	s_cbranch_execz .LBB302_2700
; %bb.2697:                             ;   in Loop: Header=BB302_2076 Depth=1
	v_and_b32_e32 v19, 7, v6
	v_lshrrev_b32_e32 v29, 3, v30
	s_mov_b32 s28, exec_lo
	v_cmpx_gt_u32_e32 8, v30
; %bb.2698:                             ;   in Loop: Header=BB302_2076 Depth=1
	v_ffbh_u32_e32 v19, v19
	v_min_u32_e32 v19, 32, v19
	v_subrev_nc_u32_e32 v29, 28, v19
	v_lshlrev_b64 v[30:31], v29, v[6:7]
	v_sub_nc_u32_e32 v29, 29, v19
	v_and_b32_e32 v19, 7, v30
; %bb.2699:                             ;   in Loop: Header=BB302_2076 Depth=1
	s_or_b32 exec_lo, exec_lo, s28
	v_lshlrev_b32_e32 v6, 8, v6
	v_lshl_add_u32 v29, v29, 10, 0x2000
	v_lshlrev_b32_e32 v19, 23, v19
	v_and_or_b32 v6, 0x8000, v6, v29
	v_lshl_or_b32 v19, v6, 16, v19
.LBB302_2700:                           ;   in Loop: Header=BB302_2076 Depth=1
	s_or_b32 exec_lo, exec_lo, s27
.LBB302_2701:                           ;   in Loop: Header=BB302_2076 Depth=1
	s_or_b32 exec_lo, exec_lo, s26
.LBB302_2702:                           ;   in Loop: Header=BB302_2076 Depth=1
	s_or_b32 exec_lo, exec_lo, s25
	v_mov_b32_e32 v6, v15
	v_cmp_ne_u16_sdwa s12, v15, v7 src0_sel:BYTE_0 src1_sel:DWORD
	v_mov_b32_e32 v29, 0
	v_mov_b32_e32 v30, 0
	s_and_saveexec_b32 s25, s12
	s_cbranch_execz .LBB302_2710
; %bb.2703:                             ;   in Loop: Header=BB302_2076 Depth=1
	v_cmp_ne_u16_sdwa s12, v15, v86 src0_sel:BYTE_0 src1_sel:DWORD
	v_mov_b32_e32 v30, 0x8000
	s_and_saveexec_b32 s26, s12
	s_cbranch_execz .LBB302_2709
; %bb.2704:                             ;   in Loop: Header=BB302_2076 Depth=1
	v_and_b32_e32 v51, 0x7f, v15
	v_mov_b32_e32 v30, 0x7c01
	s_mov_b32 s27, exec_lo
	v_cmpx_ne_u32_e32 0x7f, v51
	s_cbranch_execz .LBB302_2708
; %bb.2705:                             ;   in Loop: Header=BB302_2076 Depth=1
	v_and_b32_e32 v30, 7, v15
	v_lshrrev_b32_e32 v31, 3, v51
	s_mov_b32 s28, exec_lo
	v_cmpx_gt_u32_e32 8, v51
; %bb.2706:                             ;   in Loop: Header=BB302_2076 Depth=1
	v_ffbh_u32_e32 v30, v30
	v_min_u32_e32 v51, 32, v30
	v_subrev_nc_u32_e32 v30, 28, v51
	v_lshlrev_b64 v[30:31], v30, v[6:7]
	v_sub_nc_u32_e32 v31, 29, v51
	v_and_b32_e32 v30, 7, v30
; %bb.2707:                             ;   in Loop: Header=BB302_2076 Depth=1
	s_or_b32 exec_lo, exec_lo, s28
	v_lshlrev_b32_e32 v51, 8, v15
	v_lshl_add_u32 v31, v31, 10, 0x2000
	v_lshlrev_b32_e32 v30, 7, v30
	v_and_b32_e32 v51, 0x8000, v51
	v_and_b32_e32 v31, 0xfc00, v31
	v_or3_b32 v30, v51, v31, v30
.LBB302_2708:                           ;   in Loop: Header=BB302_2076 Depth=1
	s_or_b32 exec_lo, exec_lo, s27
.LBB302_2709:                           ;   in Loop: Header=BB302_2076 Depth=1
	s_or_b32 exec_lo, exec_lo, s26
.LBB302_2710:                           ;   in Loop: Header=BB302_2076 Depth=1
	s_or_b32 exec_lo, exec_lo, s25
	v_lshrrev_b16 v6, 8, v6
	v_mov_b32_e32 v31, 0
	s_mov_b32 s25, exec_lo
	v_cmpx_ne_u16_e32 0, v6
	s_cbranch_execz .LBB302_2718
; %bb.2711:                             ;   in Loop: Header=BB302_2076 Depth=1
	v_bfrev_b32_e32 v31, 1
	s_mov_b32 s26, exec_lo
	v_cmpx_ne_u16_e32 0x80, v6
	s_cbranch_execz .LBB302_2717
; %bb.2712:                             ;   in Loop: Header=BB302_2076 Depth=1
	v_and_b32_sdwa v65, v6, v87 dst_sel:DWORD dst_unused:UNUSED_PAD src0_sel:WORD_0 src1_sel:DWORD
	v_mov_b32_e32 v31, 0x7c010000
	s_mov_b32 s27, exec_lo
	v_cmpx_ne_u32_e32 0x7f, v65
	s_cbranch_execz .LBB302_2716
; %bb.2713:                             ;   in Loop: Header=BB302_2076 Depth=1
	v_and_b32_sdwa v31, v6, v96 dst_sel:DWORD dst_unused:UNUSED_PAD src0_sel:WORD_0 src1_sel:DWORD
	v_lshrrev_b32_e32 v51, 3, v65
	s_mov_b32 s28, exec_lo
	v_cmpx_gt_u32_e32 8, v65
; %bb.2714:                             ;   in Loop: Header=BB302_2076 Depth=1
	v_ffbh_u32_e32 v31, v31
	v_min_u32_e32 v31, 32, v31
	v_subrev_nc_u32_e32 v51, 28, v31
	v_lshlrev_b64 v[65:66], v51, v[6:7]
	v_sub_nc_u32_e32 v51, 29, v31
	v_and_b32_e32 v31, 7, v65
; %bb.2715:                             ;   in Loop: Header=BB302_2076 Depth=1
	s_or_b32 exec_lo, exec_lo, s28
	v_lshlrev_b32_sdwa v6, v97, v6 dst_sel:DWORD dst_unused:UNUSED_PAD src0_sel:DWORD src1_sel:WORD_0
	v_lshl_add_u32 v51, v51, 10, 0x2000
	v_lshlrev_b32_e32 v31, 23, v31
	v_and_or_b32 v6, 0x8000, v6, v51
	v_lshl_or_b32 v31, v6, 16, v31
.LBB302_2716:                           ;   in Loop: Header=BB302_2076 Depth=1
	s_or_b32 exec_lo, exec_lo, s27
.LBB302_2717:                           ;   in Loop: Header=BB302_2076 Depth=1
	s_or_b32 exec_lo, exec_lo, s26
.LBB302_2718:                           ;   in Loop: Header=BB302_2076 Depth=1
	s_or_b32 exec_lo, exec_lo, s25
	v_lshrrev_b32_e32 v6, 16, v15
	v_cmp_ne_u16_sdwa s12, v6, v7 src0_sel:BYTE_0 src1_sel:DWORD
	s_and_saveexec_b32 s25, s12
	s_cbranch_execz .LBB302_2726
; %bb.2719:                             ;   in Loop: Header=BB302_2076 Depth=1
	v_cmp_ne_u16_sdwa s12, v6, v86 src0_sel:BYTE_0 src1_sel:DWORD
	v_mov_b32_e32 v29, 0x8000
	s_and_saveexec_b32 s26, s12
	s_cbranch_execz .LBB302_2725
; %bb.2720:                             ;   in Loop: Header=BB302_2076 Depth=1
	v_bfe_u32 v65, v15, 16, 7
	v_mov_b32_e32 v29, 0x7c01
	s_mov_b32 s27, exec_lo
	v_cmpx_ne_u32_e32 0x7f, v65
	s_cbranch_execz .LBB302_2724
; %bb.2721:                             ;   in Loop: Header=BB302_2076 Depth=1
	v_and_b32_e32 v29, 7, v6
	v_lshrrev_b32_e32 v51, 3, v65
	s_mov_b32 s28, exec_lo
	v_cmpx_gt_u32_e32 8, v65
; %bb.2722:                             ;   in Loop: Header=BB302_2076 Depth=1
	v_ffbh_u32_e32 v29, v29
	v_min_u32_e32 v29, 32, v29
	v_subrev_nc_u32_e32 v51, 28, v29
	v_lshlrev_b64 v[65:66], v51, v[6:7]
	v_sub_nc_u32_e32 v51, 29, v29
	v_and_b32_e32 v29, 7, v65
; %bb.2723:                             ;   in Loop: Header=BB302_2076 Depth=1
	s_or_b32 exec_lo, exec_lo, s28
	v_lshlrev_b32_e32 v6, 8, v6
	v_lshl_add_u32 v51, v51, 10, 0x2000
	v_lshlrev_b32_e32 v29, 7, v29
	v_and_b32_e32 v6, 0x8000, v6
	v_and_b32_e32 v51, 0xfc00, v51
	v_or3_b32 v29, v6, v51, v29
.LBB302_2724:                           ;   in Loop: Header=BB302_2076 Depth=1
	s_or_b32 exec_lo, exec_lo, s27
.LBB302_2725:                           ;   in Loop: Header=BB302_2076 Depth=1
	s_or_b32 exec_lo, exec_lo, s26
.LBB302_2726:                           ;   in Loop: Header=BB302_2076 Depth=1
	s_or_b32 exec_lo, exec_lo, s25
	v_cmp_lt_u64_e64 s12, s[22:23], v[14:15]
	v_mov_b32_e32 v14, 0
	s_and_saveexec_b32 s25, s12
	s_cbranch_execz .LBB302_2734
; %bb.2727:                             ;   in Loop: Header=BB302_2076 Depth=1
	v_lshrrev_b32_e32 v6, 24, v15
	v_bfrev_b32_e32 v14, 1
	s_mov_b32 s26, exec_lo
	v_cmpx_ne_u32_e32 0x80, v6
	s_cbranch_execz .LBB302_2733
; %bb.2728:                             ;   in Loop: Header=BB302_2076 Depth=1
	v_and_b32_e32 v51, 0x7f, v6
	v_mov_b32_e32 v14, 0x7c010000
	s_mov_b32 s27, exec_lo
	v_cmpx_ne_u32_e32 0x7f, v51
	s_cbranch_execz .LBB302_2732
; %bb.2729:                             ;   in Loop: Header=BB302_2076 Depth=1
	v_and_b32_e32 v14, 7, v6
	v_lshrrev_b32_e32 v15, 3, v51
	s_mov_b32 s28, exec_lo
	v_cmpx_gt_u32_e32 8, v51
; %bb.2730:                             ;   in Loop: Header=BB302_2076 Depth=1
	v_ffbh_u32_e32 v14, v14
	v_min_u32_e32 v51, 32, v14
	v_subrev_nc_u32_e32 v14, 28, v51
	v_lshlrev_b64 v[14:15], v14, v[6:7]
	v_sub_nc_u32_e32 v15, 29, v51
	v_and_b32_e32 v14, 7, v14
; %bb.2731:                             ;   in Loop: Header=BB302_2076 Depth=1
	s_or_b32 exec_lo, exec_lo, s28
	v_lshlrev_b32_e32 v6, 8, v6
	v_lshl_add_u32 v15, v15, 10, 0x2000
	v_lshlrev_b32_e32 v14, 23, v14
	v_and_or_b32 v6, 0x8000, v6, v15
	v_lshl_or_b32 v14, v6, 16, v14
.LBB302_2732:                           ;   in Loop: Header=BB302_2076 Depth=1
	s_or_b32 exec_lo, exec_lo, s27
.LBB302_2733:                           ;   in Loop: Header=BB302_2076 Depth=1
	s_or_b32 exec_lo, exec_lo, s26
.LBB302_2734:                           ;   in Loop: Header=BB302_2076 Depth=1
	s_or_b32 exec_lo, exec_lo, s25
	v_or_b32_e32 v6, v19, v28
	s_waitcnt vmcnt(0) lgkmcnt(0)
	v_fma_mixlo_f16 v15, v0, v19, 0 op_sel:[0,1,0] op_sel_hi:[0,1,0]
	v_or_b32_e32 v18, v1, v18
	v_fma_mixlo_f16 v19, v0, v1, 0 op_sel:[0,1,0] op_sel_hi:[0,1,0]
	v_or_b32_e32 v28, v31, v30
	v_or_b32_e32 v29, v14, v29
	v_fma_mixlo_f16 v6, v0, v6, 0 op_sel_hi:[0,1,0]
	v_lshlrev_b32_e32 v1, 16, v15
	v_lshlrev_b32_e32 v15, 16, v19
	v_fma_mixlo_f16 v18, v0, v18, 0 op_sel_hi:[0,1,0]
	v_fma_mixlo_f16 v19, v0, v31, 0 op_sel:[0,1,0] op_sel_hi:[0,1,0]
	v_fma_mixlo_f16 v28, v0, v28, 0 op_sel_hi:[0,1,0]
	v_fma_mixlo_f16 v14, v0, v14, 0 op_sel:[0,1,0] op_sel_hi:[0,1,0]
	v_fma_mixlo_f16 v0, v0, v29, 0 op_sel_hi:[0,1,0]
	v_and_b32_e32 v6, 0xffff, v6
	v_and_b32_e32 v51, 0xffff, v18
	v_lshlrev_b32_e32 v29, 16, v19
	v_and_b32_e32 v31, 0xffff, v28
	v_lshlrev_b32_e32 v28, 16, v14
	v_and_b32_e32 v30, 0xffff, v0
	v_or_b32_e32 v0, v1, v6
	v_or_b32_e32 v19, v15, v51
	;; [unrolled: 1-line block ×4, first 2 shown]
	s_and_saveexec_b32 s12, s7
	s_cbranch_execz .LBB302_2736
; %bb.2735:                             ;   in Loop: Header=BB302_2076 Depth=1
	v_cndmask_b32_e32 v0, 0, v51, vcc_lo
	v_cndmask_b32_e64 v14, 0, v15, s5
	v_cndmask_b32_e64 v6, 0, v6, s4
	v_cndmask_b32_e64 v1, 0, v1, s6
	v_cndmask_b32_e64 v15, 0, v31, s8
	v_cndmask_b32_e64 v18, 0, v29, s9
	v_cndmask_b32_e64 v29, 0, v30, s10
	v_cndmask_b32_e64 v28, 0, v28, s11
	v_or_b32_e32 v19, v0, v14
	v_or_b32_e32 v0, v6, v1
	;; [unrolled: 1-line block ×4, first 2 shown]
.LBB302_2736:                           ;   in Loop: Header=BB302_2076 Depth=1
	s_or_b32 exec_lo, exec_lo, s12
	;;#ASMSTART
	v_pk_mul_f16 v1, v102, v19;

	;;#ASMEND
	;;#ASMSTART
	v_pk_mul_f16 v0, v101, v0;

	;;#ASMEND
	;; [unrolled: 4-line block ×4, first 2 shown]
	;;#ASMSTART
	v_pk_add_f16 v0, v1, v0;

	;;#ASMEND
	;;#ASMSTART
	v_pk_add_f16 v0, v0, v6;

	;;#ASMEND
	;; [unrolled: 4-line block ×3, first 2 shown]
	v_and_b32_e32 v1, 0xffff, v0
	v_lshrrev_b32_e32 v0, 16, v0
	;;#ASMSTART
	v_cvt_f32_f16 v65, v1;
	;;#ASMEND
	;;#ASMSTART
	v_cvt_f32_f16 v58, v0;
	;;#ASMEND
	flat_load_dwordx2 v[14:15], v[12:13] offset:512
	s_clause 0x1
	buffer_load_dword v0, off, s[0:3], s32 offset:192
	buffer_load_dword v1, off, s[0:3], s32 offset:196
	v_mov_b32_e32 v18, 0
	s_waitcnt vmcnt(2) lgkmcnt(0)
	v_cmp_ne_u16_sdwa s12, v14, v7 src0_sel:BYTE_0 src1_sel:DWORD
	s_waitcnt vmcnt(0)
	flat_load_dword v0, v[0:1]
	v_mov_b32_e32 v1, 0
	s_and_saveexec_b32 s25, s12
	s_cbranch_execz .LBB302_2744
; %bb.2737:                             ;   in Loop: Header=BB302_2076 Depth=1
	v_cmp_ne_u16_sdwa s12, v14, v86 src0_sel:BYTE_0 src1_sel:DWORD
	v_mov_b32_e32 v18, 0x8000
	s_and_saveexec_b32 s26, s12
	s_cbranch_execz .LBB302_2743
; %bb.2738:                             ;   in Loop: Header=BB302_2076 Depth=1
	v_and_b32_e32 v19, 0x7f, v14
	v_mov_b32_e32 v18, 0x7c01
	s_mov_b32 s27, exec_lo
	v_cmpx_ne_u32_e32 0x7f, v19
	s_cbranch_execz .LBB302_2742
; %bb.2739:                             ;   in Loop: Header=BB302_2076 Depth=1
	v_and_b32_e32 v6, 7, v14
	v_lshrrev_b32_e32 v18, 3, v19
	s_mov_b32 s28, exec_lo
	v_cmpx_gt_u32_e32 8, v19
; %bb.2740:                             ;   in Loop: Header=BB302_2076 Depth=1
	v_ffbh_u32_e32 v6, v6
	v_min_u32_e32 v6, 32, v6
	v_subrev_nc_u32_e32 v18, 28, v6
	v_lshlrev_b64 v[28:29], v18, v[14:15]
	v_sub_nc_u32_e32 v18, 29, v6
	v_and_b32_e32 v6, 7, v28
; %bb.2741:                             ;   in Loop: Header=BB302_2076 Depth=1
	s_or_b32 exec_lo, exec_lo, s28
	v_lshlrev_b32_e32 v19, 8, v14
	v_lshl_add_u32 v18, v18, 10, 0x2000
	v_lshlrev_b32_e32 v6, 7, v6
	v_and_b32_e32 v19, 0x8000, v19
	v_and_b32_e32 v18, 0xfc00, v18
	v_or3_b32 v18, v19, v18, v6
.LBB302_2742:                           ;   in Loop: Header=BB302_2076 Depth=1
	s_or_b32 exec_lo, exec_lo, s27
.LBB302_2743:                           ;   in Loop: Header=BB302_2076 Depth=1
	s_or_b32 exec_lo, exec_lo, s26
.LBB302_2744:                           ;   in Loop: Header=BB302_2076 Depth=1
	s_or_b32 exec_lo, exec_lo, s25
	v_lshrrev_b16 v6, 8, v14
	s_mov_b32 s25, exec_lo
	v_cmpx_ne_u16_e32 0, v6
	s_cbranch_execz .LBB302_2752
; %bb.2745:                             ;   in Loop: Header=BB302_2076 Depth=1
	v_bfrev_b32_e32 v1, 1
	s_mov_b32 s26, exec_lo
	v_cmpx_ne_u16_e32 0x80, v6
	s_cbranch_execz .LBB302_2751
; %bb.2746:                             ;   in Loop: Header=BB302_2076 Depth=1
	v_and_b32_sdwa v28, v6, v87 dst_sel:DWORD dst_unused:UNUSED_PAD src0_sel:WORD_0 src1_sel:DWORD
	v_mov_b32_e32 v1, 0x7c010000
	s_mov_b32 s27, exec_lo
	v_cmpx_ne_u32_e32 0x7f, v28
	s_cbranch_execz .LBB302_2750
; %bb.2747:                             ;   in Loop: Header=BB302_2076 Depth=1
	v_and_b32_sdwa v1, v6, v96 dst_sel:DWORD dst_unused:UNUSED_PAD src0_sel:WORD_0 src1_sel:DWORD
	v_lshrrev_b32_e32 v19, 3, v28
	s_mov_b32 s28, exec_lo
	v_cmpx_gt_u32_e32 8, v28
; %bb.2748:                             ;   in Loop: Header=BB302_2076 Depth=1
	v_ffbh_u32_e32 v1, v1
	v_min_u32_e32 v1, 32, v1
	v_subrev_nc_u32_e32 v19, 28, v1
	v_lshlrev_b64 v[28:29], v19, v[6:7]
	v_sub_nc_u32_e32 v19, 29, v1
	v_and_b32_e32 v1, 7, v28
; %bb.2749:                             ;   in Loop: Header=BB302_2076 Depth=1
	s_or_b32 exec_lo, exec_lo, s28
	v_lshlrev_b32_sdwa v6, v97, v6 dst_sel:DWORD dst_unused:UNUSED_PAD src0_sel:DWORD src1_sel:WORD_0
	v_lshl_add_u32 v19, v19, 10, 0x2000
	v_lshlrev_b32_e32 v1, 23, v1
	v_and_or_b32 v6, 0x8000, v6, v19
	v_lshl_or_b32 v1, v6, 16, v1
.LBB302_2750:                           ;   in Loop: Header=BB302_2076 Depth=1
	s_or_b32 exec_lo, exec_lo, s27
.LBB302_2751:                           ;   in Loop: Header=BB302_2076 Depth=1
	s_or_b32 exec_lo, exec_lo, s26
.LBB302_2752:                           ;   in Loop: Header=BB302_2076 Depth=1
	s_or_b32 exec_lo, exec_lo, s25
	v_lshrrev_b32_e32 v6, 16, v14
	v_mov_b32_e32 v19, 0
	v_mov_b32_e32 v28, 0
	v_cmp_ne_u16_sdwa s12, v6, v7 src0_sel:BYTE_0 src1_sel:DWORD
	s_and_saveexec_b32 s25, s12
	s_cbranch_execz .LBB302_2760
; %bb.2753:                             ;   in Loop: Header=BB302_2076 Depth=1
	v_cmp_ne_u16_sdwa s12, v6, v86 src0_sel:BYTE_0 src1_sel:DWORD
	v_mov_b32_e32 v28, 0x8000
	s_and_saveexec_b32 s26, s12
	s_cbranch_execz .LBB302_2759
; %bb.2754:                             ;   in Loop: Header=BB302_2076 Depth=1
	v_bfe_u32 v30, v14, 16, 7
	v_mov_b32_e32 v28, 0x7c01
	s_mov_b32 s27, exec_lo
	v_cmpx_ne_u32_e32 0x7f, v30
	s_cbranch_execz .LBB302_2758
; %bb.2755:                             ;   in Loop: Header=BB302_2076 Depth=1
	v_and_b32_e32 v28, 7, v6
	v_lshrrev_b32_e32 v29, 3, v30
	s_mov_b32 s28, exec_lo
	v_cmpx_gt_u32_e32 8, v30
; %bb.2756:                             ;   in Loop: Header=BB302_2076 Depth=1
	v_ffbh_u32_e32 v28, v28
	v_min_u32_e32 v30, 32, v28
	v_subrev_nc_u32_e32 v28, 28, v30
	v_lshlrev_b64 v[28:29], v28, v[6:7]
	v_sub_nc_u32_e32 v29, 29, v30
	v_and_b32_e32 v28, 7, v28
; %bb.2757:                             ;   in Loop: Header=BB302_2076 Depth=1
	s_or_b32 exec_lo, exec_lo, s28
	v_lshlrev_b32_e32 v6, 8, v6
	v_lshl_add_u32 v29, v29, 10, 0x2000
	v_lshlrev_b32_e32 v28, 7, v28
	v_and_b32_e32 v6, 0x8000, v6
	v_and_b32_e32 v29, 0xfc00, v29
	v_or3_b32 v28, v6, v29, v28
.LBB302_2758:                           ;   in Loop: Header=BB302_2076 Depth=1
	s_or_b32 exec_lo, exec_lo, s27
.LBB302_2759:                           ;   in Loop: Header=BB302_2076 Depth=1
	s_or_b32 exec_lo, exec_lo, s26
.LBB302_2760:                           ;   in Loop: Header=BB302_2076 Depth=1
	s_or_b32 exec_lo, exec_lo, s25
	s_mov_b32 s25, exec_lo
	v_cmpx_lt_u32_e32 0xffffff, v14
	s_cbranch_execz .LBB302_2768
; %bb.2761:                             ;   in Loop: Header=BB302_2076 Depth=1
	v_lshrrev_b32_e32 v6, 24, v14
	v_bfrev_b32_e32 v19, 1
	s_mov_b32 s26, exec_lo
	v_cmpx_ne_u32_e32 0x80, v6
	s_cbranch_execz .LBB302_2767
; %bb.2762:                             ;   in Loop: Header=BB302_2076 Depth=1
	v_and_b32_e32 v30, 0x7f, v6
	v_mov_b32_e32 v19, 0x7c010000
	s_mov_b32 s27, exec_lo
	v_cmpx_ne_u32_e32 0x7f, v30
	s_cbranch_execz .LBB302_2766
; %bb.2763:                             ;   in Loop: Header=BB302_2076 Depth=1
	v_and_b32_e32 v19, 7, v6
	v_lshrrev_b32_e32 v29, 3, v30
	s_mov_b32 s28, exec_lo
	v_cmpx_gt_u32_e32 8, v30
; %bb.2764:                             ;   in Loop: Header=BB302_2076 Depth=1
	v_ffbh_u32_e32 v19, v19
	v_min_u32_e32 v19, 32, v19
	v_subrev_nc_u32_e32 v29, 28, v19
	v_lshlrev_b64 v[30:31], v29, v[6:7]
	v_sub_nc_u32_e32 v29, 29, v19
	v_and_b32_e32 v19, 7, v30
; %bb.2765:                             ;   in Loop: Header=BB302_2076 Depth=1
	s_or_b32 exec_lo, exec_lo, s28
	v_lshlrev_b32_e32 v6, 8, v6
	v_lshl_add_u32 v29, v29, 10, 0x2000
	v_lshlrev_b32_e32 v19, 23, v19
	v_and_or_b32 v6, 0x8000, v6, v29
	v_lshl_or_b32 v19, v6, 16, v19
.LBB302_2766:                           ;   in Loop: Header=BB302_2076 Depth=1
	s_or_b32 exec_lo, exec_lo, s27
.LBB302_2767:                           ;   in Loop: Header=BB302_2076 Depth=1
	s_or_b32 exec_lo, exec_lo, s26
.LBB302_2768:                           ;   in Loop: Header=BB302_2076 Depth=1
	s_or_b32 exec_lo, exec_lo, s25
	v_mov_b32_e32 v6, v15
	v_cmp_ne_u16_sdwa s12, v15, v7 src0_sel:BYTE_0 src1_sel:DWORD
	v_mov_b32_e32 v29, 0
	v_mov_b32_e32 v30, 0
	s_and_saveexec_b32 s25, s12
	s_cbranch_execz .LBB302_2776
; %bb.2769:                             ;   in Loop: Header=BB302_2076 Depth=1
	v_cmp_ne_u16_sdwa s12, v15, v86 src0_sel:BYTE_0 src1_sel:DWORD
	v_mov_b32_e32 v30, 0x8000
	s_and_saveexec_b32 s26, s12
	s_cbranch_execz .LBB302_2775
; %bb.2770:                             ;   in Loop: Header=BB302_2076 Depth=1
	v_and_b32_e32 v51, 0x7f, v15
	v_mov_b32_e32 v30, 0x7c01
	s_mov_b32 s27, exec_lo
	v_cmpx_ne_u32_e32 0x7f, v51
	s_cbranch_execz .LBB302_2774
; %bb.2771:                             ;   in Loop: Header=BB302_2076 Depth=1
	v_and_b32_e32 v30, 7, v15
	v_lshrrev_b32_e32 v31, 3, v51
	s_mov_b32 s28, exec_lo
	v_cmpx_gt_u32_e32 8, v51
; %bb.2772:                             ;   in Loop: Header=BB302_2076 Depth=1
	v_ffbh_u32_e32 v30, v30
	v_min_u32_e32 v51, 32, v30
	v_subrev_nc_u32_e32 v30, 28, v51
	v_lshlrev_b64 v[30:31], v30, v[6:7]
	v_sub_nc_u32_e32 v31, 29, v51
	v_and_b32_e32 v30, 7, v30
; %bb.2773:                             ;   in Loop: Header=BB302_2076 Depth=1
	s_or_b32 exec_lo, exec_lo, s28
	v_lshlrev_b32_e32 v51, 8, v15
	v_lshl_add_u32 v31, v31, 10, 0x2000
	v_lshlrev_b32_e32 v30, 7, v30
	v_and_b32_e32 v51, 0x8000, v51
	v_and_b32_e32 v31, 0xfc00, v31
	v_or3_b32 v30, v51, v31, v30
.LBB302_2774:                           ;   in Loop: Header=BB302_2076 Depth=1
	s_or_b32 exec_lo, exec_lo, s27
.LBB302_2775:                           ;   in Loop: Header=BB302_2076 Depth=1
	s_or_b32 exec_lo, exec_lo, s26
.LBB302_2776:                           ;   in Loop: Header=BB302_2076 Depth=1
	s_or_b32 exec_lo, exec_lo, s25
	v_lshrrev_b16 v6, 8, v6
	v_mov_b32_e32 v31, 0
	s_mov_b32 s25, exec_lo
	v_cmpx_ne_u16_e32 0, v6
	s_cbranch_execz .LBB302_2784
; %bb.2777:                             ;   in Loop: Header=BB302_2076 Depth=1
	v_bfrev_b32_e32 v31, 1
	s_mov_b32 s26, exec_lo
	v_cmpx_ne_u16_e32 0x80, v6
	s_cbranch_execz .LBB302_2783
; %bb.2778:                             ;   in Loop: Header=BB302_2076 Depth=1
	v_and_b32_sdwa v66, v6, v87 dst_sel:DWORD dst_unused:UNUSED_PAD src0_sel:WORD_0 src1_sel:DWORD
	v_mov_b32_e32 v31, 0x7c010000
	s_mov_b32 s27, exec_lo
	v_cmpx_ne_u32_e32 0x7f, v66
	s_cbranch_execz .LBB302_2782
; %bb.2779:                             ;   in Loop: Header=BB302_2076 Depth=1
	v_and_b32_sdwa v31, v6, v96 dst_sel:DWORD dst_unused:UNUSED_PAD src0_sel:WORD_0 src1_sel:DWORD
	v_lshrrev_b32_e32 v51, 3, v66
	s_mov_b32 s28, exec_lo
	v_cmpx_gt_u32_e32 8, v66
; %bb.2780:                             ;   in Loop: Header=BB302_2076 Depth=1
	v_ffbh_u32_e32 v31, v31
	v_min_u32_e32 v31, 32, v31
	v_subrev_nc_u32_e32 v51, 28, v31
	v_lshlrev_b64 v[59:60], v51, v[6:7]
	v_sub_nc_u32_e32 v51, 29, v31
	v_and_b32_e32 v31, 7, v59
; %bb.2781:                             ;   in Loop: Header=BB302_2076 Depth=1
	s_or_b32 exec_lo, exec_lo, s28
	v_lshlrev_b32_sdwa v6, v97, v6 dst_sel:DWORD dst_unused:UNUSED_PAD src0_sel:DWORD src1_sel:WORD_0
	v_lshl_add_u32 v51, v51, 10, 0x2000
	v_lshlrev_b32_e32 v31, 23, v31
	v_and_or_b32 v6, 0x8000, v6, v51
	v_lshl_or_b32 v31, v6, 16, v31
.LBB302_2782:                           ;   in Loop: Header=BB302_2076 Depth=1
	s_or_b32 exec_lo, exec_lo, s27
.LBB302_2783:                           ;   in Loop: Header=BB302_2076 Depth=1
	s_or_b32 exec_lo, exec_lo, s26
.LBB302_2784:                           ;   in Loop: Header=BB302_2076 Depth=1
	s_or_b32 exec_lo, exec_lo, s25
	v_lshrrev_b32_e32 v6, 16, v15
	v_cmp_ne_u16_sdwa s12, v6, v7 src0_sel:BYTE_0 src1_sel:DWORD
	s_and_saveexec_b32 s25, s12
	s_cbranch_execz .LBB302_2792
; %bb.2785:                             ;   in Loop: Header=BB302_2076 Depth=1
	v_cmp_ne_u16_sdwa s12, v6, v86 src0_sel:BYTE_0 src1_sel:DWORD
	v_mov_b32_e32 v29, 0x8000
	s_and_saveexec_b32 s26, s12
	s_cbranch_execz .LBB302_2791
; %bb.2786:                             ;   in Loop: Header=BB302_2076 Depth=1
	v_bfe_u32 v66, v15, 16, 7
	v_mov_b32_e32 v29, 0x7c01
	s_mov_b32 s27, exec_lo
	v_cmpx_ne_u32_e32 0x7f, v66
	s_cbranch_execz .LBB302_2790
; %bb.2787:                             ;   in Loop: Header=BB302_2076 Depth=1
	v_and_b32_e32 v29, 7, v6
	v_lshrrev_b32_e32 v51, 3, v66
	s_mov_b32 s28, exec_lo
	v_cmpx_gt_u32_e32 8, v66
; %bb.2788:                             ;   in Loop: Header=BB302_2076 Depth=1
	v_ffbh_u32_e32 v29, v29
	v_min_u32_e32 v29, 32, v29
	v_subrev_nc_u32_e32 v51, 28, v29
	v_lshlrev_b64 v[59:60], v51, v[6:7]
	v_sub_nc_u32_e32 v51, 29, v29
	v_and_b32_e32 v29, 7, v59
; %bb.2789:                             ;   in Loop: Header=BB302_2076 Depth=1
	s_or_b32 exec_lo, exec_lo, s28
	v_lshlrev_b32_e32 v6, 8, v6
	v_lshl_add_u32 v51, v51, 10, 0x2000
	v_lshlrev_b32_e32 v29, 7, v29
	v_and_b32_e32 v6, 0x8000, v6
	v_and_b32_e32 v51, 0xfc00, v51
	v_or3_b32 v29, v6, v51, v29
.LBB302_2790:                           ;   in Loop: Header=BB302_2076 Depth=1
	s_or_b32 exec_lo, exec_lo, s27
.LBB302_2791:                           ;   in Loop: Header=BB302_2076 Depth=1
	s_or_b32 exec_lo, exec_lo, s26
.LBB302_2792:                           ;   in Loop: Header=BB302_2076 Depth=1
	s_or_b32 exec_lo, exec_lo, s25
	v_cmp_lt_u64_e64 s12, s[22:23], v[14:15]
	v_mov_b32_e32 v14, 0
	s_and_saveexec_b32 s25, s12
	s_cbranch_execz .LBB302_2800
; %bb.2793:                             ;   in Loop: Header=BB302_2076 Depth=1
	v_lshrrev_b32_e32 v6, 24, v15
	v_bfrev_b32_e32 v14, 1
	s_mov_b32 s26, exec_lo
	v_cmpx_ne_u32_e32 0x80, v6
	s_cbranch_execz .LBB302_2799
; %bb.2794:                             ;   in Loop: Header=BB302_2076 Depth=1
	v_and_b32_e32 v51, 0x7f, v6
	v_mov_b32_e32 v14, 0x7c010000
	s_mov_b32 s27, exec_lo
	v_cmpx_ne_u32_e32 0x7f, v51
	s_cbranch_execz .LBB302_2798
; %bb.2795:                             ;   in Loop: Header=BB302_2076 Depth=1
	v_and_b32_e32 v14, 7, v6
	v_lshrrev_b32_e32 v15, 3, v51
	s_mov_b32 s28, exec_lo
	v_cmpx_gt_u32_e32 8, v51
; %bb.2796:                             ;   in Loop: Header=BB302_2076 Depth=1
	v_ffbh_u32_e32 v14, v14
	v_min_u32_e32 v51, 32, v14
	v_subrev_nc_u32_e32 v14, 28, v51
	v_lshlrev_b64 v[14:15], v14, v[6:7]
	v_sub_nc_u32_e32 v15, 29, v51
	v_and_b32_e32 v14, 7, v14
; %bb.2797:                             ;   in Loop: Header=BB302_2076 Depth=1
	s_or_b32 exec_lo, exec_lo, s28
	v_lshlrev_b32_e32 v6, 8, v6
	v_lshl_add_u32 v15, v15, 10, 0x2000
	v_lshlrev_b32_e32 v14, 23, v14
	v_and_or_b32 v6, 0x8000, v6, v15
	v_lshl_or_b32 v14, v6, 16, v14
.LBB302_2798:                           ;   in Loop: Header=BB302_2076 Depth=1
	s_or_b32 exec_lo, exec_lo, s27
.LBB302_2799:                           ;   in Loop: Header=BB302_2076 Depth=1
	s_or_b32 exec_lo, exec_lo, s26
.LBB302_2800:                           ;   in Loop: Header=BB302_2076 Depth=1
	s_or_b32 exec_lo, exec_lo, s25
	v_or_b32_e32 v6, v19, v28
	s_waitcnt vmcnt(0) lgkmcnt(0)
	v_fma_mixlo_f16 v15, v0, v19, 0 op_sel:[0,1,0] op_sel_hi:[0,1,0]
	v_or_b32_e32 v18, v1, v18
	v_fma_mixlo_f16 v19, v0, v1, 0 op_sel:[0,1,0] op_sel_hi:[0,1,0]
	v_or_b32_e32 v28, v31, v30
	v_or_b32_e32 v29, v14, v29
	v_fma_mixlo_f16 v6, v0, v6, 0 op_sel_hi:[0,1,0]
	v_lshlrev_b32_e32 v1, 16, v15
	v_lshlrev_b32_e32 v15, 16, v19
	v_fma_mixlo_f16 v18, v0, v18, 0 op_sel_hi:[0,1,0]
	v_fma_mixlo_f16 v19, v0, v31, 0 op_sel:[0,1,0] op_sel_hi:[0,1,0]
	v_fma_mixlo_f16 v28, v0, v28, 0 op_sel_hi:[0,1,0]
	v_fma_mixlo_f16 v14, v0, v14, 0 op_sel:[0,1,0] op_sel_hi:[0,1,0]
	v_fma_mixlo_f16 v0, v0, v29, 0 op_sel_hi:[0,1,0]
	v_and_b32_e32 v6, 0xffff, v6
	v_and_b32_e32 v51, 0xffff, v18
	v_lshlrev_b32_e32 v29, 16, v19
	v_and_b32_e32 v31, 0xffff, v28
	v_lshlrev_b32_e32 v28, 16, v14
	v_and_b32_e32 v30, 0xffff, v0
	v_or_b32_e32 v0, v1, v6
	v_or_b32_e32 v19, v15, v51
	;; [unrolled: 1-line block ×4, first 2 shown]
	s_and_saveexec_b32 s12, s7
	s_cbranch_execz .LBB302_2802
; %bb.2801:                             ;   in Loop: Header=BB302_2076 Depth=1
	v_cndmask_b32_e32 v0, 0, v51, vcc_lo
	v_cndmask_b32_e64 v14, 0, v15, s5
	v_cndmask_b32_e64 v6, 0, v6, s4
	;; [unrolled: 1-line block ×7, first 2 shown]
	v_or_b32_e32 v19, v0, v14
	v_or_b32_e32 v0, v6, v1
	;; [unrolled: 1-line block ×4, first 2 shown]
.LBB302_2802:                           ;   in Loop: Header=BB302_2076 Depth=1
	s_or_b32 exec_lo, exec_lo, s12
	;;#ASMSTART
	v_pk_mul_f16 v1, v102, v19;

	;;#ASMEND
	;;#ASMSTART
	v_pk_mul_f16 v0, v101, v0;

	;;#ASMEND
	;; [unrolled: 4-line block ×4, first 2 shown]
	;;#ASMSTART
	v_pk_add_f16 v0, v1, v0;

	;;#ASMEND
	;;#ASMSTART
	v_pk_add_f16 v0, v0, v6;

	;;#ASMEND
	;; [unrolled: 4-line block ×3, first 2 shown]
	v_and_b32_e32 v1, 0xffff, v0
	v_lshrrev_b32_e32 v0, 16, v0
	;;#ASMSTART
	v_cvt_f32_f16 v59, v1;
	;;#ASMEND
	;;#ASMSTART
	v_cvt_f32_f16 v60, v0;
	;;#ASMEND
	flat_load_dwordx2 v[14:15], v[12:13] offset:768
	s_clause 0x1
	buffer_load_dword v0, off, s[0:3], s32 offset:192
	buffer_load_dword v1, off, s[0:3], s32 offset:196
	v_mov_b32_e32 v18, 0
	s_waitcnt vmcnt(2) lgkmcnt(0)
	v_cmp_ne_u16_sdwa s12, v14, v7 src0_sel:BYTE_0 src1_sel:DWORD
	s_waitcnt vmcnt(0)
	flat_load_dword v0, v[0:1]
	v_mov_b32_e32 v1, 0
	s_and_saveexec_b32 s25, s12
	s_cbranch_execz .LBB302_2810
; %bb.2803:                             ;   in Loop: Header=BB302_2076 Depth=1
	v_cmp_ne_u16_sdwa s12, v14, v86 src0_sel:BYTE_0 src1_sel:DWORD
	v_mov_b32_e32 v18, 0x8000
	s_and_saveexec_b32 s26, s12
	s_cbranch_execz .LBB302_2809
; %bb.2804:                             ;   in Loop: Header=BB302_2076 Depth=1
	v_and_b32_e32 v19, 0x7f, v14
	v_mov_b32_e32 v18, 0x7c01
	s_mov_b32 s27, exec_lo
	v_cmpx_ne_u32_e32 0x7f, v19
	s_cbranch_execz .LBB302_2808
; %bb.2805:                             ;   in Loop: Header=BB302_2076 Depth=1
	v_and_b32_e32 v6, 7, v14
	v_lshrrev_b32_e32 v18, 3, v19
	s_mov_b32 s28, exec_lo
	v_cmpx_gt_u32_e32 8, v19
; %bb.2806:                             ;   in Loop: Header=BB302_2076 Depth=1
	v_ffbh_u32_e32 v6, v6
	v_min_u32_e32 v6, 32, v6
	v_subrev_nc_u32_e32 v18, 28, v6
	v_lshlrev_b64 v[28:29], v18, v[14:15]
	v_sub_nc_u32_e32 v18, 29, v6
	v_and_b32_e32 v6, 7, v28
; %bb.2807:                             ;   in Loop: Header=BB302_2076 Depth=1
	s_or_b32 exec_lo, exec_lo, s28
	v_lshlrev_b32_e32 v19, 8, v14
	v_lshl_add_u32 v18, v18, 10, 0x2000
	v_lshlrev_b32_e32 v6, 7, v6
	v_and_b32_e32 v19, 0x8000, v19
	v_and_b32_e32 v18, 0xfc00, v18
	v_or3_b32 v18, v19, v18, v6
.LBB302_2808:                           ;   in Loop: Header=BB302_2076 Depth=1
	s_or_b32 exec_lo, exec_lo, s27
.LBB302_2809:                           ;   in Loop: Header=BB302_2076 Depth=1
	s_or_b32 exec_lo, exec_lo, s26
.LBB302_2810:                           ;   in Loop: Header=BB302_2076 Depth=1
	s_or_b32 exec_lo, exec_lo, s25
	v_lshrrev_b16 v6, 8, v14
	s_mov_b32 s25, exec_lo
	v_cmpx_ne_u16_e32 0, v6
	s_cbranch_execz .LBB302_2818
; %bb.2811:                             ;   in Loop: Header=BB302_2076 Depth=1
	v_bfrev_b32_e32 v1, 1
	s_mov_b32 s26, exec_lo
	v_cmpx_ne_u16_e32 0x80, v6
	s_cbranch_execz .LBB302_2817
; %bb.2812:                             ;   in Loop: Header=BB302_2076 Depth=1
	v_and_b32_sdwa v28, v6, v87 dst_sel:DWORD dst_unused:UNUSED_PAD src0_sel:WORD_0 src1_sel:DWORD
	v_mov_b32_e32 v1, 0x7c010000
	s_mov_b32 s27, exec_lo
	v_cmpx_ne_u32_e32 0x7f, v28
	s_cbranch_execz .LBB302_2816
; %bb.2813:                             ;   in Loop: Header=BB302_2076 Depth=1
	v_and_b32_sdwa v1, v6, v96 dst_sel:DWORD dst_unused:UNUSED_PAD src0_sel:WORD_0 src1_sel:DWORD
	v_lshrrev_b32_e32 v19, 3, v28
	s_mov_b32 s28, exec_lo
	v_cmpx_gt_u32_e32 8, v28
; %bb.2814:                             ;   in Loop: Header=BB302_2076 Depth=1
	v_ffbh_u32_e32 v1, v1
	v_min_u32_e32 v1, 32, v1
	v_subrev_nc_u32_e32 v19, 28, v1
	v_lshlrev_b64 v[28:29], v19, v[6:7]
	v_sub_nc_u32_e32 v19, 29, v1
	v_and_b32_e32 v1, 7, v28
; %bb.2815:                             ;   in Loop: Header=BB302_2076 Depth=1
	s_or_b32 exec_lo, exec_lo, s28
	v_lshlrev_b32_sdwa v6, v97, v6 dst_sel:DWORD dst_unused:UNUSED_PAD src0_sel:DWORD src1_sel:WORD_0
	v_lshl_add_u32 v19, v19, 10, 0x2000
	v_lshlrev_b32_e32 v1, 23, v1
	v_and_or_b32 v6, 0x8000, v6, v19
	v_lshl_or_b32 v1, v6, 16, v1
.LBB302_2816:                           ;   in Loop: Header=BB302_2076 Depth=1
	s_or_b32 exec_lo, exec_lo, s27
.LBB302_2817:                           ;   in Loop: Header=BB302_2076 Depth=1
	s_or_b32 exec_lo, exec_lo, s26
.LBB302_2818:                           ;   in Loop: Header=BB302_2076 Depth=1
	s_or_b32 exec_lo, exec_lo, s25
	v_lshrrev_b32_e32 v6, 16, v14
	v_mov_b32_e32 v19, 0
	v_mov_b32_e32 v28, 0
	v_cmp_ne_u16_sdwa s12, v6, v7 src0_sel:BYTE_0 src1_sel:DWORD
	s_and_saveexec_b32 s25, s12
	s_cbranch_execz .LBB302_2826
; %bb.2819:                             ;   in Loop: Header=BB302_2076 Depth=1
	v_cmp_ne_u16_sdwa s12, v6, v86 src0_sel:BYTE_0 src1_sel:DWORD
	v_mov_b32_e32 v28, 0x8000
	s_and_saveexec_b32 s26, s12
	s_cbranch_execz .LBB302_2825
; %bb.2820:                             ;   in Loop: Header=BB302_2076 Depth=1
	v_bfe_u32 v30, v14, 16, 7
	v_mov_b32_e32 v28, 0x7c01
	s_mov_b32 s27, exec_lo
	v_cmpx_ne_u32_e32 0x7f, v30
	s_cbranch_execz .LBB302_2824
; %bb.2821:                             ;   in Loop: Header=BB302_2076 Depth=1
	v_and_b32_e32 v28, 7, v6
	v_lshrrev_b32_e32 v29, 3, v30
	s_mov_b32 s28, exec_lo
	v_cmpx_gt_u32_e32 8, v30
; %bb.2822:                             ;   in Loop: Header=BB302_2076 Depth=1
	v_ffbh_u32_e32 v28, v28
	v_min_u32_e32 v30, 32, v28
	v_subrev_nc_u32_e32 v28, 28, v30
	v_lshlrev_b64 v[28:29], v28, v[6:7]
	v_sub_nc_u32_e32 v29, 29, v30
	v_and_b32_e32 v28, 7, v28
; %bb.2823:                             ;   in Loop: Header=BB302_2076 Depth=1
	s_or_b32 exec_lo, exec_lo, s28
	v_lshlrev_b32_e32 v6, 8, v6
	v_lshl_add_u32 v29, v29, 10, 0x2000
	v_lshlrev_b32_e32 v28, 7, v28
	v_and_b32_e32 v6, 0x8000, v6
	v_and_b32_e32 v29, 0xfc00, v29
	v_or3_b32 v28, v6, v29, v28
.LBB302_2824:                           ;   in Loop: Header=BB302_2076 Depth=1
	s_or_b32 exec_lo, exec_lo, s27
.LBB302_2825:                           ;   in Loop: Header=BB302_2076 Depth=1
	s_or_b32 exec_lo, exec_lo, s26
.LBB302_2826:                           ;   in Loop: Header=BB302_2076 Depth=1
	s_or_b32 exec_lo, exec_lo, s25
	s_mov_b32 s25, exec_lo
	v_cmpx_lt_u32_e32 0xffffff, v14
	s_cbranch_execz .LBB302_2834
; %bb.2827:                             ;   in Loop: Header=BB302_2076 Depth=1
	v_lshrrev_b32_e32 v6, 24, v14
	v_bfrev_b32_e32 v19, 1
	s_mov_b32 s26, exec_lo
	v_cmpx_ne_u32_e32 0x80, v6
	s_cbranch_execz .LBB302_2833
; %bb.2828:                             ;   in Loop: Header=BB302_2076 Depth=1
	v_and_b32_e32 v30, 0x7f, v6
	v_mov_b32_e32 v19, 0x7c010000
	s_mov_b32 s27, exec_lo
	v_cmpx_ne_u32_e32 0x7f, v30
	s_cbranch_execz .LBB302_2832
; %bb.2829:                             ;   in Loop: Header=BB302_2076 Depth=1
	v_and_b32_e32 v19, 7, v6
	v_lshrrev_b32_e32 v29, 3, v30
	s_mov_b32 s28, exec_lo
	v_cmpx_gt_u32_e32 8, v30
; %bb.2830:                             ;   in Loop: Header=BB302_2076 Depth=1
	v_ffbh_u32_e32 v19, v19
	v_min_u32_e32 v19, 32, v19
	v_subrev_nc_u32_e32 v29, 28, v19
	v_lshlrev_b64 v[30:31], v29, v[6:7]
	v_sub_nc_u32_e32 v29, 29, v19
	v_and_b32_e32 v19, 7, v30
; %bb.2831:                             ;   in Loop: Header=BB302_2076 Depth=1
	s_or_b32 exec_lo, exec_lo, s28
	v_lshlrev_b32_e32 v6, 8, v6
	v_lshl_add_u32 v29, v29, 10, 0x2000
	v_lshlrev_b32_e32 v19, 23, v19
	v_and_or_b32 v6, 0x8000, v6, v29
	v_lshl_or_b32 v19, v6, 16, v19
.LBB302_2832:                           ;   in Loop: Header=BB302_2076 Depth=1
	s_or_b32 exec_lo, exec_lo, s27
.LBB302_2833:                           ;   in Loop: Header=BB302_2076 Depth=1
	s_or_b32 exec_lo, exec_lo, s26
.LBB302_2834:                           ;   in Loop: Header=BB302_2076 Depth=1
	s_or_b32 exec_lo, exec_lo, s25
	v_mov_b32_e32 v6, v15
	v_cmp_ne_u16_sdwa s12, v15, v7 src0_sel:BYTE_0 src1_sel:DWORD
	v_mov_b32_e32 v29, 0
	v_mov_b32_e32 v30, 0
	s_and_saveexec_b32 s25, s12
	s_cbranch_execz .LBB302_2842
; %bb.2835:                             ;   in Loop: Header=BB302_2076 Depth=1
	v_cmp_ne_u16_sdwa s12, v15, v86 src0_sel:BYTE_0 src1_sel:DWORD
	v_mov_b32_e32 v30, 0x8000
	s_and_saveexec_b32 s26, s12
	s_cbranch_execz .LBB302_2841
; %bb.2836:                             ;   in Loop: Header=BB302_2076 Depth=1
	v_and_b32_e32 v51, 0x7f, v15
	v_mov_b32_e32 v30, 0x7c01
	s_mov_b32 s27, exec_lo
	v_cmpx_ne_u32_e32 0x7f, v51
	s_cbranch_execz .LBB302_2840
; %bb.2837:                             ;   in Loop: Header=BB302_2076 Depth=1
	v_and_b32_e32 v30, 7, v15
	v_lshrrev_b32_e32 v31, 3, v51
	s_mov_b32 s28, exec_lo
	v_cmpx_gt_u32_e32 8, v51
; %bb.2838:                             ;   in Loop: Header=BB302_2076 Depth=1
	v_ffbh_u32_e32 v30, v30
	v_min_u32_e32 v51, 32, v30
	v_subrev_nc_u32_e32 v30, 28, v51
	v_lshlrev_b64 v[30:31], v30, v[6:7]
	v_sub_nc_u32_e32 v31, 29, v51
	v_and_b32_e32 v30, 7, v30
; %bb.2839:                             ;   in Loop: Header=BB302_2076 Depth=1
	s_or_b32 exec_lo, exec_lo, s28
	v_lshlrev_b32_e32 v51, 8, v15
	v_lshl_add_u32 v31, v31, 10, 0x2000
	v_lshlrev_b32_e32 v30, 7, v30
	v_and_b32_e32 v51, 0x8000, v51
	v_and_b32_e32 v31, 0xfc00, v31
	v_or3_b32 v30, v51, v31, v30
.LBB302_2840:                           ;   in Loop: Header=BB302_2076 Depth=1
	s_or_b32 exec_lo, exec_lo, s27
.LBB302_2841:                           ;   in Loop: Header=BB302_2076 Depth=1
	s_or_b32 exec_lo, exec_lo, s26
.LBB302_2842:                           ;   in Loop: Header=BB302_2076 Depth=1
	s_or_b32 exec_lo, exec_lo, s25
	v_lshrrev_b16 v6, 8, v6
	v_mov_b32_e32 v31, 0
	s_mov_b32 s25, exec_lo
	v_cmpx_ne_u16_e32 0, v6
	s_cbranch_execz .LBB302_2850
; %bb.2843:                             ;   in Loop: Header=BB302_2076 Depth=1
	v_bfrev_b32_e32 v31, 1
	s_mov_b32 s26, exec_lo
	v_cmpx_ne_u16_e32 0x80, v6
	s_cbranch_execz .LBB302_2849
; %bb.2844:                             ;   in Loop: Header=BB302_2076 Depth=1
	v_and_b32_sdwa v66, v6, v87 dst_sel:DWORD dst_unused:UNUSED_PAD src0_sel:WORD_0 src1_sel:DWORD
	v_mov_b32_e32 v31, 0x7c010000
	s_mov_b32 s27, exec_lo
	v_cmpx_ne_u32_e32 0x7f, v66
	s_cbranch_execz .LBB302_2848
; %bb.2845:                             ;   in Loop: Header=BB302_2076 Depth=1
	v_and_b32_sdwa v31, v6, v96 dst_sel:DWORD dst_unused:UNUSED_PAD src0_sel:WORD_0 src1_sel:DWORD
	v_lshrrev_b32_e32 v51, 3, v66
	s_mov_b32 s28, exec_lo
	v_cmpx_gt_u32_e32 8, v66
; %bb.2846:                             ;   in Loop: Header=BB302_2076 Depth=1
	v_ffbh_u32_e32 v31, v31
	v_min_u32_e32 v31, 32, v31
	v_subrev_nc_u32_e32 v51, 28, v31
	v_lshlrev_b64 v[61:62], v51, v[6:7]
	v_sub_nc_u32_e32 v51, 29, v31
	v_and_b32_e32 v31, 7, v61
; %bb.2847:                             ;   in Loop: Header=BB302_2076 Depth=1
	s_or_b32 exec_lo, exec_lo, s28
	v_lshlrev_b32_sdwa v6, v97, v6 dst_sel:DWORD dst_unused:UNUSED_PAD src0_sel:DWORD src1_sel:WORD_0
	v_lshl_add_u32 v51, v51, 10, 0x2000
	v_lshlrev_b32_e32 v31, 23, v31
	v_and_or_b32 v6, 0x8000, v6, v51
	v_lshl_or_b32 v31, v6, 16, v31
.LBB302_2848:                           ;   in Loop: Header=BB302_2076 Depth=1
	s_or_b32 exec_lo, exec_lo, s27
.LBB302_2849:                           ;   in Loop: Header=BB302_2076 Depth=1
	s_or_b32 exec_lo, exec_lo, s26
.LBB302_2850:                           ;   in Loop: Header=BB302_2076 Depth=1
	s_or_b32 exec_lo, exec_lo, s25
	v_lshrrev_b32_e32 v6, 16, v15
	v_cmp_ne_u16_sdwa s12, v6, v7 src0_sel:BYTE_0 src1_sel:DWORD
	s_and_saveexec_b32 s25, s12
	s_cbranch_execz .LBB302_2858
; %bb.2851:                             ;   in Loop: Header=BB302_2076 Depth=1
	v_cmp_ne_u16_sdwa s12, v6, v86 src0_sel:BYTE_0 src1_sel:DWORD
	v_mov_b32_e32 v29, 0x8000
	s_and_saveexec_b32 s26, s12
	s_cbranch_execz .LBB302_2857
; %bb.2852:                             ;   in Loop: Header=BB302_2076 Depth=1
	v_bfe_u32 v66, v15, 16, 7
	v_mov_b32_e32 v29, 0x7c01
	s_mov_b32 s27, exec_lo
	v_cmpx_ne_u32_e32 0x7f, v66
	s_cbranch_execz .LBB302_2856
; %bb.2853:                             ;   in Loop: Header=BB302_2076 Depth=1
	v_and_b32_e32 v29, 7, v6
	v_lshrrev_b32_e32 v51, 3, v66
	s_mov_b32 s28, exec_lo
	v_cmpx_gt_u32_e32 8, v66
; %bb.2854:                             ;   in Loop: Header=BB302_2076 Depth=1
	v_ffbh_u32_e32 v29, v29
	v_min_u32_e32 v29, 32, v29
	v_subrev_nc_u32_e32 v51, 28, v29
	v_lshlrev_b64 v[61:62], v51, v[6:7]
	v_sub_nc_u32_e32 v51, 29, v29
	v_and_b32_e32 v29, 7, v61
; %bb.2855:                             ;   in Loop: Header=BB302_2076 Depth=1
	s_or_b32 exec_lo, exec_lo, s28
	v_lshlrev_b32_e32 v6, 8, v6
	v_lshl_add_u32 v51, v51, 10, 0x2000
	v_lshlrev_b32_e32 v29, 7, v29
	v_and_b32_e32 v6, 0x8000, v6
	v_and_b32_e32 v51, 0xfc00, v51
	v_or3_b32 v29, v6, v51, v29
.LBB302_2856:                           ;   in Loop: Header=BB302_2076 Depth=1
	s_or_b32 exec_lo, exec_lo, s27
.LBB302_2857:                           ;   in Loop: Header=BB302_2076 Depth=1
	s_or_b32 exec_lo, exec_lo, s26
.LBB302_2858:                           ;   in Loop: Header=BB302_2076 Depth=1
	s_or_b32 exec_lo, exec_lo, s25
	v_cmp_lt_u64_e64 s12, s[22:23], v[14:15]
	v_mov_b32_e32 v14, 0
	s_and_saveexec_b32 s25, s12
	s_cbranch_execz .LBB302_2866
; %bb.2859:                             ;   in Loop: Header=BB302_2076 Depth=1
	v_lshrrev_b32_e32 v6, 24, v15
	v_bfrev_b32_e32 v14, 1
	s_mov_b32 s26, exec_lo
	v_cmpx_ne_u32_e32 0x80, v6
	s_cbranch_execz .LBB302_2865
; %bb.2860:                             ;   in Loop: Header=BB302_2076 Depth=1
	v_and_b32_e32 v51, 0x7f, v6
	v_mov_b32_e32 v14, 0x7c010000
	s_mov_b32 s27, exec_lo
	v_cmpx_ne_u32_e32 0x7f, v51
	s_cbranch_execz .LBB302_2864
; %bb.2861:                             ;   in Loop: Header=BB302_2076 Depth=1
	v_and_b32_e32 v14, 7, v6
	v_lshrrev_b32_e32 v15, 3, v51
	s_mov_b32 s28, exec_lo
	v_cmpx_gt_u32_e32 8, v51
; %bb.2862:                             ;   in Loop: Header=BB302_2076 Depth=1
	v_ffbh_u32_e32 v14, v14
	v_min_u32_e32 v51, 32, v14
	v_subrev_nc_u32_e32 v14, 28, v51
	v_lshlrev_b64 v[14:15], v14, v[6:7]
	v_sub_nc_u32_e32 v15, 29, v51
	v_and_b32_e32 v14, 7, v14
; %bb.2863:                             ;   in Loop: Header=BB302_2076 Depth=1
	s_or_b32 exec_lo, exec_lo, s28
	v_lshlrev_b32_e32 v6, 8, v6
	v_lshl_add_u32 v15, v15, 10, 0x2000
	v_lshlrev_b32_e32 v14, 23, v14
	v_and_or_b32 v6, 0x8000, v6, v15
	v_lshl_or_b32 v14, v6, 16, v14
.LBB302_2864:                           ;   in Loop: Header=BB302_2076 Depth=1
	s_or_b32 exec_lo, exec_lo, s27
.LBB302_2865:                           ;   in Loop: Header=BB302_2076 Depth=1
	s_or_b32 exec_lo, exec_lo, s26
.LBB302_2866:                           ;   in Loop: Header=BB302_2076 Depth=1
	s_or_b32 exec_lo, exec_lo, s25
	v_or_b32_e32 v6, v19, v28
	s_waitcnt vmcnt(0) lgkmcnt(0)
	v_fma_mixlo_f16 v15, v0, v19, 0 op_sel:[0,1,0] op_sel_hi:[0,1,0]
	v_or_b32_e32 v18, v1, v18
	v_fma_mixlo_f16 v19, v0, v1, 0 op_sel:[0,1,0] op_sel_hi:[0,1,0]
	v_or_b32_e32 v28, v31, v30
	v_or_b32_e32 v29, v14, v29
	v_fma_mixlo_f16 v6, v0, v6, 0 op_sel_hi:[0,1,0]
	v_lshlrev_b32_e32 v1, 16, v15
	v_lshlrev_b32_e32 v15, 16, v19
	v_fma_mixlo_f16 v18, v0, v18, 0 op_sel_hi:[0,1,0]
	v_fma_mixlo_f16 v19, v0, v31, 0 op_sel:[0,1,0] op_sel_hi:[0,1,0]
	v_fma_mixlo_f16 v28, v0, v28, 0 op_sel_hi:[0,1,0]
	v_fma_mixlo_f16 v14, v0, v14, 0 op_sel:[0,1,0] op_sel_hi:[0,1,0]
	v_fma_mixlo_f16 v0, v0, v29, 0 op_sel_hi:[0,1,0]
	v_and_b32_e32 v6, 0xffff, v6
	v_and_b32_e32 v51, 0xffff, v18
	v_lshlrev_b32_e32 v29, 16, v19
	v_and_b32_e32 v31, 0xffff, v28
	v_lshlrev_b32_e32 v28, 16, v14
	v_and_b32_e32 v30, 0xffff, v0
	v_or_b32_e32 v0, v1, v6
	v_or_b32_e32 v19, v15, v51
	;; [unrolled: 1-line block ×4, first 2 shown]
	s_and_saveexec_b32 s12, s7
	s_cbranch_execz .LBB302_2868
; %bb.2867:                             ;   in Loop: Header=BB302_2076 Depth=1
	v_cndmask_b32_e32 v0, 0, v51, vcc_lo
	v_cndmask_b32_e64 v14, 0, v15, s5
	v_cndmask_b32_e64 v6, 0, v6, s4
	v_cndmask_b32_e64 v1, 0, v1, s6
	v_cndmask_b32_e64 v15, 0, v31, s8
	v_cndmask_b32_e64 v18, 0, v29, s9
	v_cndmask_b32_e64 v29, 0, v30, s10
	v_cndmask_b32_e64 v28, 0, v28, s11
	v_or_b32_e32 v19, v0, v14
	v_or_b32_e32 v0, v6, v1
	;; [unrolled: 1-line block ×4, first 2 shown]
.LBB302_2868:                           ;   in Loop: Header=BB302_2076 Depth=1
	s_or_b32 exec_lo, exec_lo, s12
	;;#ASMSTART
	v_pk_mul_f16 v1, v102, v19;

	;;#ASMEND
	;;#ASMSTART
	v_pk_mul_f16 v0, v101, v0;

	;;#ASMEND
	;; [unrolled: 4-line block ×4, first 2 shown]
	;;#ASMSTART
	v_pk_add_f16 v0, v1, v0;

	;;#ASMEND
	;;#ASMSTART
	v_pk_add_f16 v0, v0, v6;

	;;#ASMEND
	;;#ASMSTART
	v_pk_add_f16 v0, v0, v14;

	;;#ASMEND
	v_and_b32_e32 v1, 0xffff, v0
	v_lshrrev_b32_e32 v0, 16, v0
	;;#ASMSTART
	v_cvt_f32_f16 v61, v1;
	;;#ASMEND
	;;#ASMSTART
	v_cvt_f32_f16 v62, v0;
	;;#ASMEND
	flat_load_dwordx2 v[14:15], v[12:13] offset:1024
	s_clause 0x1
	buffer_load_dword v0, off, s[0:3], s32 offset:192
	buffer_load_dword v1, off, s[0:3], s32 offset:196
	v_mov_b32_e32 v18, 0
	s_waitcnt vmcnt(2) lgkmcnt(0)
	v_cmp_ne_u16_sdwa s12, v14, v7 src0_sel:BYTE_0 src1_sel:DWORD
	s_waitcnt vmcnt(0)
	flat_load_dword v0, v[0:1]
	v_mov_b32_e32 v1, 0
	s_and_saveexec_b32 s25, s12
	s_cbranch_execz .LBB302_2876
; %bb.2869:                             ;   in Loop: Header=BB302_2076 Depth=1
	v_cmp_ne_u16_sdwa s12, v14, v86 src0_sel:BYTE_0 src1_sel:DWORD
	v_mov_b32_e32 v18, 0x8000
	s_and_saveexec_b32 s26, s12
	s_cbranch_execz .LBB302_2875
; %bb.2870:                             ;   in Loop: Header=BB302_2076 Depth=1
	v_and_b32_e32 v19, 0x7f, v14
	v_mov_b32_e32 v18, 0x7c01
	s_mov_b32 s27, exec_lo
	v_cmpx_ne_u32_e32 0x7f, v19
	s_cbranch_execz .LBB302_2874
; %bb.2871:                             ;   in Loop: Header=BB302_2076 Depth=1
	v_and_b32_e32 v6, 7, v14
	v_lshrrev_b32_e32 v18, 3, v19
	s_mov_b32 s28, exec_lo
	v_cmpx_gt_u32_e32 8, v19
; %bb.2872:                             ;   in Loop: Header=BB302_2076 Depth=1
	v_ffbh_u32_e32 v6, v6
	v_min_u32_e32 v6, 32, v6
	v_subrev_nc_u32_e32 v18, 28, v6
	v_lshlrev_b64 v[28:29], v18, v[14:15]
	v_sub_nc_u32_e32 v18, 29, v6
	v_and_b32_e32 v6, 7, v28
; %bb.2873:                             ;   in Loop: Header=BB302_2076 Depth=1
	s_or_b32 exec_lo, exec_lo, s28
	v_lshlrev_b32_e32 v19, 8, v14
	v_lshl_add_u32 v18, v18, 10, 0x2000
	v_lshlrev_b32_e32 v6, 7, v6
	v_and_b32_e32 v19, 0x8000, v19
	v_and_b32_e32 v18, 0xfc00, v18
	v_or3_b32 v18, v19, v18, v6
.LBB302_2874:                           ;   in Loop: Header=BB302_2076 Depth=1
	s_or_b32 exec_lo, exec_lo, s27
.LBB302_2875:                           ;   in Loop: Header=BB302_2076 Depth=1
	s_or_b32 exec_lo, exec_lo, s26
.LBB302_2876:                           ;   in Loop: Header=BB302_2076 Depth=1
	s_or_b32 exec_lo, exec_lo, s25
	v_lshrrev_b16 v6, 8, v14
	s_mov_b32 s25, exec_lo
	v_cmpx_ne_u16_e32 0, v6
	s_cbranch_execz .LBB302_2884
; %bb.2877:                             ;   in Loop: Header=BB302_2076 Depth=1
	v_bfrev_b32_e32 v1, 1
	s_mov_b32 s26, exec_lo
	v_cmpx_ne_u16_e32 0x80, v6
	s_cbranch_execz .LBB302_2883
; %bb.2878:                             ;   in Loop: Header=BB302_2076 Depth=1
	v_and_b32_sdwa v28, v6, v87 dst_sel:DWORD dst_unused:UNUSED_PAD src0_sel:WORD_0 src1_sel:DWORD
	v_mov_b32_e32 v1, 0x7c010000
	s_mov_b32 s27, exec_lo
	v_cmpx_ne_u32_e32 0x7f, v28
	s_cbranch_execz .LBB302_2882
; %bb.2879:                             ;   in Loop: Header=BB302_2076 Depth=1
	v_and_b32_sdwa v1, v6, v96 dst_sel:DWORD dst_unused:UNUSED_PAD src0_sel:WORD_0 src1_sel:DWORD
	v_lshrrev_b32_e32 v19, 3, v28
	s_mov_b32 s28, exec_lo
	v_cmpx_gt_u32_e32 8, v28
; %bb.2880:                             ;   in Loop: Header=BB302_2076 Depth=1
	v_ffbh_u32_e32 v1, v1
	v_min_u32_e32 v1, 32, v1
	v_subrev_nc_u32_e32 v19, 28, v1
	v_lshlrev_b64 v[28:29], v19, v[6:7]
	v_sub_nc_u32_e32 v19, 29, v1
	v_and_b32_e32 v1, 7, v28
; %bb.2881:                             ;   in Loop: Header=BB302_2076 Depth=1
	s_or_b32 exec_lo, exec_lo, s28
	v_lshlrev_b32_sdwa v6, v97, v6 dst_sel:DWORD dst_unused:UNUSED_PAD src0_sel:DWORD src1_sel:WORD_0
	v_lshl_add_u32 v19, v19, 10, 0x2000
	v_lshlrev_b32_e32 v1, 23, v1
	v_and_or_b32 v6, 0x8000, v6, v19
	v_lshl_or_b32 v1, v6, 16, v1
.LBB302_2882:                           ;   in Loop: Header=BB302_2076 Depth=1
	s_or_b32 exec_lo, exec_lo, s27
.LBB302_2883:                           ;   in Loop: Header=BB302_2076 Depth=1
	s_or_b32 exec_lo, exec_lo, s26
.LBB302_2884:                           ;   in Loop: Header=BB302_2076 Depth=1
	s_or_b32 exec_lo, exec_lo, s25
	v_lshrrev_b32_e32 v6, 16, v14
	v_mov_b32_e32 v19, 0
	v_mov_b32_e32 v28, 0
	v_cmp_ne_u16_sdwa s12, v6, v7 src0_sel:BYTE_0 src1_sel:DWORD
	s_and_saveexec_b32 s25, s12
	s_cbranch_execz .LBB302_2892
; %bb.2885:                             ;   in Loop: Header=BB302_2076 Depth=1
	v_cmp_ne_u16_sdwa s12, v6, v86 src0_sel:BYTE_0 src1_sel:DWORD
	v_mov_b32_e32 v28, 0x8000
	s_and_saveexec_b32 s26, s12
	s_cbranch_execz .LBB302_2891
; %bb.2886:                             ;   in Loop: Header=BB302_2076 Depth=1
	v_bfe_u32 v30, v14, 16, 7
	v_mov_b32_e32 v28, 0x7c01
	s_mov_b32 s27, exec_lo
	v_cmpx_ne_u32_e32 0x7f, v30
	s_cbranch_execz .LBB302_2890
; %bb.2887:                             ;   in Loop: Header=BB302_2076 Depth=1
	v_and_b32_e32 v28, 7, v6
	v_lshrrev_b32_e32 v29, 3, v30
	s_mov_b32 s28, exec_lo
	v_cmpx_gt_u32_e32 8, v30
; %bb.2888:                             ;   in Loop: Header=BB302_2076 Depth=1
	v_ffbh_u32_e32 v28, v28
	v_min_u32_e32 v30, 32, v28
	v_subrev_nc_u32_e32 v28, 28, v30
	v_lshlrev_b64 v[28:29], v28, v[6:7]
	v_sub_nc_u32_e32 v29, 29, v30
	v_and_b32_e32 v28, 7, v28
; %bb.2889:                             ;   in Loop: Header=BB302_2076 Depth=1
	s_or_b32 exec_lo, exec_lo, s28
	v_lshlrev_b32_e32 v6, 8, v6
	v_lshl_add_u32 v29, v29, 10, 0x2000
	v_lshlrev_b32_e32 v28, 7, v28
	v_and_b32_e32 v6, 0x8000, v6
	v_and_b32_e32 v29, 0xfc00, v29
	v_or3_b32 v28, v6, v29, v28
.LBB302_2890:                           ;   in Loop: Header=BB302_2076 Depth=1
	s_or_b32 exec_lo, exec_lo, s27
.LBB302_2891:                           ;   in Loop: Header=BB302_2076 Depth=1
	s_or_b32 exec_lo, exec_lo, s26
.LBB302_2892:                           ;   in Loop: Header=BB302_2076 Depth=1
	s_or_b32 exec_lo, exec_lo, s25
	s_mov_b32 s25, exec_lo
	v_cmpx_lt_u32_e32 0xffffff, v14
	s_cbranch_execz .LBB302_2900
; %bb.2893:                             ;   in Loop: Header=BB302_2076 Depth=1
	v_lshrrev_b32_e32 v6, 24, v14
	v_bfrev_b32_e32 v19, 1
	s_mov_b32 s26, exec_lo
	v_cmpx_ne_u32_e32 0x80, v6
	s_cbranch_execz .LBB302_2899
; %bb.2894:                             ;   in Loop: Header=BB302_2076 Depth=1
	v_and_b32_e32 v30, 0x7f, v6
	v_mov_b32_e32 v19, 0x7c010000
	s_mov_b32 s27, exec_lo
	v_cmpx_ne_u32_e32 0x7f, v30
	s_cbranch_execz .LBB302_2898
; %bb.2895:                             ;   in Loop: Header=BB302_2076 Depth=1
	v_and_b32_e32 v19, 7, v6
	v_lshrrev_b32_e32 v29, 3, v30
	s_mov_b32 s28, exec_lo
	v_cmpx_gt_u32_e32 8, v30
; %bb.2896:                             ;   in Loop: Header=BB302_2076 Depth=1
	v_ffbh_u32_e32 v19, v19
	v_min_u32_e32 v19, 32, v19
	v_subrev_nc_u32_e32 v29, 28, v19
	v_lshlrev_b64 v[30:31], v29, v[6:7]
	v_sub_nc_u32_e32 v29, 29, v19
	v_and_b32_e32 v19, 7, v30
; %bb.2897:                             ;   in Loop: Header=BB302_2076 Depth=1
	s_or_b32 exec_lo, exec_lo, s28
	v_lshlrev_b32_e32 v6, 8, v6
	v_lshl_add_u32 v29, v29, 10, 0x2000
	v_lshlrev_b32_e32 v19, 23, v19
	v_and_or_b32 v6, 0x8000, v6, v29
	v_lshl_or_b32 v19, v6, 16, v19
.LBB302_2898:                           ;   in Loop: Header=BB302_2076 Depth=1
	s_or_b32 exec_lo, exec_lo, s27
.LBB302_2899:                           ;   in Loop: Header=BB302_2076 Depth=1
	s_or_b32 exec_lo, exec_lo, s26
.LBB302_2900:                           ;   in Loop: Header=BB302_2076 Depth=1
	s_or_b32 exec_lo, exec_lo, s25
	v_mov_b32_e32 v6, v15
	v_cmp_ne_u16_sdwa s12, v15, v7 src0_sel:BYTE_0 src1_sel:DWORD
	v_mov_b32_e32 v29, 0
	v_mov_b32_e32 v30, 0
	s_and_saveexec_b32 s25, s12
	s_cbranch_execz .LBB302_2908
; %bb.2901:                             ;   in Loop: Header=BB302_2076 Depth=1
	v_cmp_ne_u16_sdwa s12, v15, v86 src0_sel:BYTE_0 src1_sel:DWORD
	v_mov_b32_e32 v30, 0x8000
	s_and_saveexec_b32 s26, s12
	s_cbranch_execz .LBB302_2907
; %bb.2902:                             ;   in Loop: Header=BB302_2076 Depth=1
	v_and_b32_e32 v51, 0x7f, v15
	v_mov_b32_e32 v30, 0x7c01
	s_mov_b32 s27, exec_lo
	v_cmpx_ne_u32_e32 0x7f, v51
	s_cbranch_execz .LBB302_2906
; %bb.2903:                             ;   in Loop: Header=BB302_2076 Depth=1
	v_and_b32_e32 v30, 7, v15
	v_lshrrev_b32_e32 v31, 3, v51
	s_mov_b32 s28, exec_lo
	v_cmpx_gt_u32_e32 8, v51
; %bb.2904:                             ;   in Loop: Header=BB302_2076 Depth=1
	v_ffbh_u32_e32 v30, v30
	v_min_u32_e32 v51, 32, v30
	v_subrev_nc_u32_e32 v30, 28, v51
	v_lshlrev_b64 v[30:31], v30, v[6:7]
	v_sub_nc_u32_e32 v31, 29, v51
	v_and_b32_e32 v30, 7, v30
; %bb.2905:                             ;   in Loop: Header=BB302_2076 Depth=1
	s_or_b32 exec_lo, exec_lo, s28
	v_lshlrev_b32_e32 v51, 8, v15
	v_lshl_add_u32 v31, v31, 10, 0x2000
	v_lshlrev_b32_e32 v30, 7, v30
	v_and_b32_e32 v51, 0x8000, v51
	v_and_b32_e32 v31, 0xfc00, v31
	v_or3_b32 v30, v51, v31, v30
.LBB302_2906:                           ;   in Loop: Header=BB302_2076 Depth=1
	s_or_b32 exec_lo, exec_lo, s27
.LBB302_2907:                           ;   in Loop: Header=BB302_2076 Depth=1
	s_or_b32 exec_lo, exec_lo, s26
.LBB302_2908:                           ;   in Loop: Header=BB302_2076 Depth=1
	s_or_b32 exec_lo, exec_lo, s25
	v_lshrrev_b16 v6, 8, v6
	v_mov_b32_e32 v31, 0
	s_mov_b32 s25, exec_lo
	v_cmpx_ne_u16_e32 0, v6
	s_cbranch_execz .LBB302_2916
; %bb.2909:                             ;   in Loop: Header=BB302_2076 Depth=1
	v_bfrev_b32_e32 v31, 1
	s_mov_b32 s26, exec_lo
	v_cmpx_ne_u16_e32 0x80, v6
	s_cbranch_execz .LBB302_2915
; %bb.2910:                             ;   in Loop: Header=BB302_2076 Depth=1
	v_and_b32_sdwa v66, v6, v87 dst_sel:DWORD dst_unused:UNUSED_PAD src0_sel:WORD_0 src1_sel:DWORD
	v_mov_b32_e32 v31, 0x7c010000
	s_mov_b32 s27, exec_lo
	v_cmpx_ne_u32_e32 0x7f, v66
	s_cbranch_execz .LBB302_2914
; %bb.2911:                             ;   in Loop: Header=BB302_2076 Depth=1
	v_and_b32_sdwa v31, v6, v96 dst_sel:DWORD dst_unused:UNUSED_PAD src0_sel:WORD_0 src1_sel:DWORD
	v_lshrrev_b32_e32 v51, 3, v66
	s_mov_b32 s28, exec_lo
	v_cmpx_gt_u32_e32 8, v66
; %bb.2912:                             ;   in Loop: Header=BB302_2076 Depth=1
	v_ffbh_u32_e32 v31, v31
	v_min_u32_e32 v31, 32, v31
	v_subrev_nc_u32_e32 v51, 28, v31
	v_lshlrev_b64 v[71:72], v51, v[6:7]
	v_sub_nc_u32_e32 v51, 29, v31
	v_and_b32_e32 v31, 7, v71
; %bb.2913:                             ;   in Loop: Header=BB302_2076 Depth=1
	s_or_b32 exec_lo, exec_lo, s28
	v_lshlrev_b32_sdwa v6, v97, v6 dst_sel:DWORD dst_unused:UNUSED_PAD src0_sel:DWORD src1_sel:WORD_0
	v_lshl_add_u32 v51, v51, 10, 0x2000
	v_lshlrev_b32_e32 v31, 23, v31
	v_and_or_b32 v6, 0x8000, v6, v51
	v_lshl_or_b32 v31, v6, 16, v31
.LBB302_2914:                           ;   in Loop: Header=BB302_2076 Depth=1
	s_or_b32 exec_lo, exec_lo, s27
.LBB302_2915:                           ;   in Loop: Header=BB302_2076 Depth=1
	s_or_b32 exec_lo, exec_lo, s26
.LBB302_2916:                           ;   in Loop: Header=BB302_2076 Depth=1
	s_or_b32 exec_lo, exec_lo, s25
	v_lshrrev_b32_e32 v6, 16, v15
	v_cmp_ne_u16_sdwa s12, v6, v7 src0_sel:BYTE_0 src1_sel:DWORD
	s_and_saveexec_b32 s25, s12
	s_cbranch_execz .LBB302_2924
; %bb.2917:                             ;   in Loop: Header=BB302_2076 Depth=1
	v_cmp_ne_u16_sdwa s12, v6, v86 src0_sel:BYTE_0 src1_sel:DWORD
	v_mov_b32_e32 v29, 0x8000
	s_and_saveexec_b32 s26, s12
	s_cbranch_execz .LBB302_2923
; %bb.2918:                             ;   in Loop: Header=BB302_2076 Depth=1
	v_bfe_u32 v66, v15, 16, 7
	v_mov_b32_e32 v29, 0x7c01
	s_mov_b32 s27, exec_lo
	v_cmpx_ne_u32_e32 0x7f, v66
	s_cbranch_execz .LBB302_2922
; %bb.2919:                             ;   in Loop: Header=BB302_2076 Depth=1
	v_and_b32_e32 v29, 7, v6
	v_lshrrev_b32_e32 v51, 3, v66
	s_mov_b32 s28, exec_lo
	v_cmpx_gt_u32_e32 8, v66
; %bb.2920:                             ;   in Loop: Header=BB302_2076 Depth=1
	v_ffbh_u32_e32 v29, v29
	v_min_u32_e32 v29, 32, v29
	v_subrev_nc_u32_e32 v51, 28, v29
	v_lshlrev_b64 v[71:72], v51, v[6:7]
	v_sub_nc_u32_e32 v51, 29, v29
	v_and_b32_e32 v29, 7, v71
; %bb.2921:                             ;   in Loop: Header=BB302_2076 Depth=1
	s_or_b32 exec_lo, exec_lo, s28
	v_lshlrev_b32_e32 v6, 8, v6
	v_lshl_add_u32 v51, v51, 10, 0x2000
	v_lshlrev_b32_e32 v29, 7, v29
	v_and_b32_e32 v6, 0x8000, v6
	v_and_b32_e32 v51, 0xfc00, v51
	v_or3_b32 v29, v6, v51, v29
.LBB302_2922:                           ;   in Loop: Header=BB302_2076 Depth=1
	s_or_b32 exec_lo, exec_lo, s27
.LBB302_2923:                           ;   in Loop: Header=BB302_2076 Depth=1
	s_or_b32 exec_lo, exec_lo, s26
.LBB302_2924:                           ;   in Loop: Header=BB302_2076 Depth=1
	s_or_b32 exec_lo, exec_lo, s25
	v_cmp_lt_u64_e64 s12, s[22:23], v[14:15]
	v_mov_b32_e32 v14, 0
	s_and_saveexec_b32 s25, s12
	s_cbranch_execz .LBB302_2932
; %bb.2925:                             ;   in Loop: Header=BB302_2076 Depth=1
	v_lshrrev_b32_e32 v6, 24, v15
	v_bfrev_b32_e32 v14, 1
	s_mov_b32 s26, exec_lo
	v_cmpx_ne_u32_e32 0x80, v6
	s_cbranch_execz .LBB302_2931
; %bb.2926:                             ;   in Loop: Header=BB302_2076 Depth=1
	v_and_b32_e32 v51, 0x7f, v6
	v_mov_b32_e32 v14, 0x7c010000
	s_mov_b32 s27, exec_lo
	v_cmpx_ne_u32_e32 0x7f, v51
	s_cbranch_execz .LBB302_2930
; %bb.2927:                             ;   in Loop: Header=BB302_2076 Depth=1
	v_and_b32_e32 v14, 7, v6
	v_lshrrev_b32_e32 v15, 3, v51
	s_mov_b32 s28, exec_lo
	v_cmpx_gt_u32_e32 8, v51
; %bb.2928:                             ;   in Loop: Header=BB302_2076 Depth=1
	v_ffbh_u32_e32 v14, v14
	v_min_u32_e32 v51, 32, v14
	v_subrev_nc_u32_e32 v14, 28, v51
	v_lshlrev_b64 v[14:15], v14, v[6:7]
	v_sub_nc_u32_e32 v15, 29, v51
	v_and_b32_e32 v14, 7, v14
; %bb.2929:                             ;   in Loop: Header=BB302_2076 Depth=1
	s_or_b32 exec_lo, exec_lo, s28
	v_lshlrev_b32_e32 v6, 8, v6
	v_lshl_add_u32 v15, v15, 10, 0x2000
	v_lshlrev_b32_e32 v14, 23, v14
	v_and_or_b32 v6, 0x8000, v6, v15
	v_lshl_or_b32 v14, v6, 16, v14
.LBB302_2930:                           ;   in Loop: Header=BB302_2076 Depth=1
	s_or_b32 exec_lo, exec_lo, s27
.LBB302_2931:                           ;   in Loop: Header=BB302_2076 Depth=1
	s_or_b32 exec_lo, exec_lo, s26
.LBB302_2932:                           ;   in Loop: Header=BB302_2076 Depth=1
	s_or_b32 exec_lo, exec_lo, s25
	v_or_b32_e32 v6, v19, v28
	s_waitcnt vmcnt(0) lgkmcnt(0)
	v_fma_mixlo_f16 v15, v0, v19, 0 op_sel:[0,1,0] op_sel_hi:[0,1,0]
	v_or_b32_e32 v18, v1, v18
	v_fma_mixlo_f16 v19, v0, v1, 0 op_sel:[0,1,0] op_sel_hi:[0,1,0]
	v_or_b32_e32 v28, v31, v30
	v_or_b32_e32 v29, v14, v29
	v_fma_mixlo_f16 v6, v0, v6, 0 op_sel_hi:[0,1,0]
	v_lshlrev_b32_e32 v1, 16, v15
	v_lshlrev_b32_e32 v15, 16, v19
	v_fma_mixlo_f16 v18, v0, v18, 0 op_sel_hi:[0,1,0]
	v_fma_mixlo_f16 v19, v0, v31, 0 op_sel:[0,1,0] op_sel_hi:[0,1,0]
	v_fma_mixlo_f16 v28, v0, v28, 0 op_sel_hi:[0,1,0]
	v_fma_mixlo_f16 v14, v0, v14, 0 op_sel:[0,1,0] op_sel_hi:[0,1,0]
	v_fma_mixlo_f16 v0, v0, v29, 0 op_sel_hi:[0,1,0]
	v_and_b32_e32 v6, 0xffff, v6
	v_and_b32_e32 v51, 0xffff, v18
	v_lshlrev_b32_e32 v29, 16, v19
	v_and_b32_e32 v31, 0xffff, v28
	v_lshlrev_b32_e32 v28, 16, v14
	v_and_b32_e32 v30, 0xffff, v0
	v_or_b32_e32 v0, v1, v6
	v_or_b32_e32 v19, v15, v51
	;; [unrolled: 1-line block ×4, first 2 shown]
	s_and_saveexec_b32 s12, s7
	s_cbranch_execz .LBB302_2934
; %bb.2933:                             ;   in Loop: Header=BB302_2076 Depth=1
	v_cndmask_b32_e32 v0, 0, v51, vcc_lo
	v_cndmask_b32_e64 v14, 0, v15, s5
	v_cndmask_b32_e64 v6, 0, v6, s4
	;; [unrolled: 1-line block ×7, first 2 shown]
	v_or_b32_e32 v19, v0, v14
	v_or_b32_e32 v0, v6, v1
	;; [unrolled: 1-line block ×4, first 2 shown]
.LBB302_2934:                           ;   in Loop: Header=BB302_2076 Depth=1
	s_or_b32 exec_lo, exec_lo, s12
	;;#ASMSTART
	v_pk_mul_f16 v1, v102, v19;

	;;#ASMEND
	;;#ASMSTART
	v_pk_mul_f16 v0, v101, v0;

	;;#ASMEND
	;; [unrolled: 4-line block ×4, first 2 shown]
	;;#ASMSTART
	v_pk_add_f16 v0, v1, v0;

	;;#ASMEND
	;;#ASMSTART
	v_pk_add_f16 v0, v0, v6;

	;;#ASMEND
	;; [unrolled: 4-line block ×3, first 2 shown]
	v_and_b32_e32 v1, 0xffff, v0
	v_lshrrev_b32_e32 v0, 16, v0
	;;#ASMSTART
	v_cvt_f32_f16 v63, v1;
	;;#ASMEND
	;;#ASMSTART
	v_cvt_f32_f16 v51, v0;
	;;#ASMEND
	flat_load_dwordx2 v[14:15], v[12:13] offset:1280
	s_clause 0x1
	buffer_load_dword v0, off, s[0:3], s32 offset:192
	buffer_load_dword v1, off, s[0:3], s32 offset:196
	v_mov_b32_e32 v18, 0
	s_waitcnt vmcnt(2) lgkmcnt(0)
	v_cmp_ne_u16_sdwa s12, v14, v7 src0_sel:BYTE_0 src1_sel:DWORD
	s_waitcnt vmcnt(0)
	flat_load_dword v0, v[0:1]
	v_mov_b32_e32 v1, 0
	s_and_saveexec_b32 s25, s12
	s_cbranch_execz .LBB302_2942
; %bb.2935:                             ;   in Loop: Header=BB302_2076 Depth=1
	v_cmp_ne_u16_sdwa s12, v14, v86 src0_sel:BYTE_0 src1_sel:DWORD
	v_mov_b32_e32 v18, 0x8000
	s_and_saveexec_b32 s26, s12
	s_cbranch_execz .LBB302_2941
; %bb.2936:                             ;   in Loop: Header=BB302_2076 Depth=1
	v_and_b32_e32 v19, 0x7f, v14
	v_mov_b32_e32 v18, 0x7c01
	s_mov_b32 s27, exec_lo
	v_cmpx_ne_u32_e32 0x7f, v19
	s_cbranch_execz .LBB302_2940
; %bb.2937:                             ;   in Loop: Header=BB302_2076 Depth=1
	v_and_b32_e32 v6, 7, v14
	v_lshrrev_b32_e32 v18, 3, v19
	s_mov_b32 s28, exec_lo
	v_cmpx_gt_u32_e32 8, v19
; %bb.2938:                             ;   in Loop: Header=BB302_2076 Depth=1
	v_ffbh_u32_e32 v6, v6
	v_min_u32_e32 v6, 32, v6
	v_subrev_nc_u32_e32 v18, 28, v6
	v_lshlrev_b64 v[28:29], v18, v[14:15]
	v_sub_nc_u32_e32 v18, 29, v6
	v_and_b32_e32 v6, 7, v28
; %bb.2939:                             ;   in Loop: Header=BB302_2076 Depth=1
	s_or_b32 exec_lo, exec_lo, s28
	v_lshlrev_b32_e32 v19, 8, v14
	v_lshl_add_u32 v18, v18, 10, 0x2000
	v_lshlrev_b32_e32 v6, 7, v6
	v_and_b32_e32 v19, 0x8000, v19
	v_and_b32_e32 v18, 0xfc00, v18
	v_or3_b32 v18, v19, v18, v6
.LBB302_2940:                           ;   in Loop: Header=BB302_2076 Depth=1
	s_or_b32 exec_lo, exec_lo, s27
.LBB302_2941:                           ;   in Loop: Header=BB302_2076 Depth=1
	s_or_b32 exec_lo, exec_lo, s26
.LBB302_2942:                           ;   in Loop: Header=BB302_2076 Depth=1
	s_or_b32 exec_lo, exec_lo, s25
	v_lshrrev_b16 v6, 8, v14
	s_mov_b32 s25, exec_lo
	v_cmpx_ne_u16_e32 0, v6
	s_cbranch_execz .LBB302_2950
; %bb.2943:                             ;   in Loop: Header=BB302_2076 Depth=1
	v_bfrev_b32_e32 v1, 1
	s_mov_b32 s26, exec_lo
	v_cmpx_ne_u16_e32 0x80, v6
	s_cbranch_execz .LBB302_2949
; %bb.2944:                             ;   in Loop: Header=BB302_2076 Depth=1
	v_and_b32_sdwa v28, v6, v87 dst_sel:DWORD dst_unused:UNUSED_PAD src0_sel:WORD_0 src1_sel:DWORD
	v_mov_b32_e32 v1, 0x7c010000
	s_mov_b32 s27, exec_lo
	v_cmpx_ne_u32_e32 0x7f, v28
	s_cbranch_execz .LBB302_2948
; %bb.2945:                             ;   in Loop: Header=BB302_2076 Depth=1
	v_and_b32_sdwa v1, v6, v96 dst_sel:DWORD dst_unused:UNUSED_PAD src0_sel:WORD_0 src1_sel:DWORD
	v_lshrrev_b32_e32 v19, 3, v28
	s_mov_b32 s28, exec_lo
	v_cmpx_gt_u32_e32 8, v28
; %bb.2946:                             ;   in Loop: Header=BB302_2076 Depth=1
	v_ffbh_u32_e32 v1, v1
	v_min_u32_e32 v1, 32, v1
	v_subrev_nc_u32_e32 v19, 28, v1
	v_lshlrev_b64 v[28:29], v19, v[6:7]
	v_sub_nc_u32_e32 v19, 29, v1
	v_and_b32_e32 v1, 7, v28
; %bb.2947:                             ;   in Loop: Header=BB302_2076 Depth=1
	s_or_b32 exec_lo, exec_lo, s28
	v_lshlrev_b32_sdwa v6, v97, v6 dst_sel:DWORD dst_unused:UNUSED_PAD src0_sel:DWORD src1_sel:WORD_0
	v_lshl_add_u32 v19, v19, 10, 0x2000
	v_lshlrev_b32_e32 v1, 23, v1
	v_and_or_b32 v6, 0x8000, v6, v19
	v_lshl_or_b32 v1, v6, 16, v1
.LBB302_2948:                           ;   in Loop: Header=BB302_2076 Depth=1
	s_or_b32 exec_lo, exec_lo, s27
.LBB302_2949:                           ;   in Loop: Header=BB302_2076 Depth=1
	s_or_b32 exec_lo, exec_lo, s26
.LBB302_2950:                           ;   in Loop: Header=BB302_2076 Depth=1
	s_or_b32 exec_lo, exec_lo, s25
	v_lshrrev_b32_e32 v6, 16, v14
	v_mov_b32_e32 v19, 0
	v_mov_b32_e32 v28, 0
	v_cmp_ne_u16_sdwa s12, v6, v7 src0_sel:BYTE_0 src1_sel:DWORD
	s_and_saveexec_b32 s25, s12
	s_cbranch_execz .LBB302_2958
; %bb.2951:                             ;   in Loop: Header=BB302_2076 Depth=1
	v_cmp_ne_u16_sdwa s12, v6, v86 src0_sel:BYTE_0 src1_sel:DWORD
	v_mov_b32_e32 v28, 0x8000
	s_and_saveexec_b32 s26, s12
	s_cbranch_execz .LBB302_2957
; %bb.2952:                             ;   in Loop: Header=BB302_2076 Depth=1
	v_bfe_u32 v30, v14, 16, 7
	v_mov_b32_e32 v28, 0x7c01
	s_mov_b32 s27, exec_lo
	v_cmpx_ne_u32_e32 0x7f, v30
	s_cbranch_execz .LBB302_2956
; %bb.2953:                             ;   in Loop: Header=BB302_2076 Depth=1
	v_and_b32_e32 v28, 7, v6
	v_lshrrev_b32_e32 v29, 3, v30
	s_mov_b32 s28, exec_lo
	v_cmpx_gt_u32_e32 8, v30
; %bb.2954:                             ;   in Loop: Header=BB302_2076 Depth=1
	v_ffbh_u32_e32 v28, v28
	v_min_u32_e32 v30, 32, v28
	v_subrev_nc_u32_e32 v28, 28, v30
	v_lshlrev_b64 v[28:29], v28, v[6:7]
	v_sub_nc_u32_e32 v29, 29, v30
	v_and_b32_e32 v28, 7, v28
; %bb.2955:                             ;   in Loop: Header=BB302_2076 Depth=1
	s_or_b32 exec_lo, exec_lo, s28
	v_lshlrev_b32_e32 v6, 8, v6
	v_lshl_add_u32 v29, v29, 10, 0x2000
	v_lshlrev_b32_e32 v28, 7, v28
	v_and_b32_e32 v6, 0x8000, v6
	v_and_b32_e32 v29, 0xfc00, v29
	v_or3_b32 v28, v6, v29, v28
.LBB302_2956:                           ;   in Loop: Header=BB302_2076 Depth=1
	s_or_b32 exec_lo, exec_lo, s27
.LBB302_2957:                           ;   in Loop: Header=BB302_2076 Depth=1
	s_or_b32 exec_lo, exec_lo, s26
.LBB302_2958:                           ;   in Loop: Header=BB302_2076 Depth=1
	s_or_b32 exec_lo, exec_lo, s25
	s_mov_b32 s25, exec_lo
	v_cmpx_lt_u32_e32 0xffffff, v14
	s_cbranch_execz .LBB302_2966
; %bb.2959:                             ;   in Loop: Header=BB302_2076 Depth=1
	v_lshrrev_b32_e32 v6, 24, v14
	v_bfrev_b32_e32 v19, 1
	s_mov_b32 s26, exec_lo
	v_cmpx_ne_u32_e32 0x80, v6
	s_cbranch_execz .LBB302_2965
; %bb.2960:                             ;   in Loop: Header=BB302_2076 Depth=1
	v_and_b32_e32 v30, 0x7f, v6
	v_mov_b32_e32 v19, 0x7c010000
	s_mov_b32 s27, exec_lo
	v_cmpx_ne_u32_e32 0x7f, v30
	s_cbranch_execz .LBB302_2964
; %bb.2961:                             ;   in Loop: Header=BB302_2076 Depth=1
	v_and_b32_e32 v19, 7, v6
	v_lshrrev_b32_e32 v29, 3, v30
	s_mov_b32 s28, exec_lo
	v_cmpx_gt_u32_e32 8, v30
; %bb.2962:                             ;   in Loop: Header=BB302_2076 Depth=1
	v_ffbh_u32_e32 v19, v19
	v_min_u32_e32 v19, 32, v19
	v_subrev_nc_u32_e32 v29, 28, v19
	v_lshlrev_b64 v[30:31], v29, v[6:7]
	v_sub_nc_u32_e32 v29, 29, v19
	v_and_b32_e32 v19, 7, v30
; %bb.2963:                             ;   in Loop: Header=BB302_2076 Depth=1
	s_or_b32 exec_lo, exec_lo, s28
	v_lshlrev_b32_e32 v6, 8, v6
	v_lshl_add_u32 v29, v29, 10, 0x2000
	v_lshlrev_b32_e32 v19, 23, v19
	v_and_or_b32 v6, 0x8000, v6, v29
	v_lshl_or_b32 v19, v6, 16, v19
.LBB302_2964:                           ;   in Loop: Header=BB302_2076 Depth=1
	s_or_b32 exec_lo, exec_lo, s27
.LBB302_2965:                           ;   in Loop: Header=BB302_2076 Depth=1
	s_or_b32 exec_lo, exec_lo, s26
.LBB302_2966:                           ;   in Loop: Header=BB302_2076 Depth=1
	s_or_b32 exec_lo, exec_lo, s25
	v_mov_b32_e32 v6, v15
	v_cmp_ne_u16_sdwa s12, v15, v7 src0_sel:BYTE_0 src1_sel:DWORD
	v_mov_b32_e32 v29, 0
	v_mov_b32_e32 v30, 0
	s_and_saveexec_b32 s25, s12
	s_cbranch_execz .LBB302_2974
; %bb.2967:                             ;   in Loop: Header=BB302_2076 Depth=1
	v_cmp_ne_u16_sdwa s12, v15, v86 src0_sel:BYTE_0 src1_sel:DWORD
	v_mov_b32_e32 v30, 0x8000
	s_and_saveexec_b32 s26, s12
	s_cbranch_execz .LBB302_2973
; %bb.2968:                             ;   in Loop: Header=BB302_2076 Depth=1
	v_and_b32_e32 v66, 0x7f, v15
	v_mov_b32_e32 v30, 0x7c01
	s_mov_b32 s27, exec_lo
	v_cmpx_ne_u32_e32 0x7f, v66
	s_cbranch_execz .LBB302_2972
; %bb.2969:                             ;   in Loop: Header=BB302_2076 Depth=1
	v_and_b32_e32 v30, 7, v15
	v_lshrrev_b32_e32 v31, 3, v66
	s_mov_b32 s28, exec_lo
	v_cmpx_gt_u32_e32 8, v66
; %bb.2970:                             ;   in Loop: Header=BB302_2076 Depth=1
	v_ffbh_u32_e32 v30, v30
	v_min_u32_e32 v66, 32, v30
	v_subrev_nc_u32_e32 v30, 28, v66
	v_lshlrev_b64 v[30:31], v30, v[6:7]
	v_sub_nc_u32_e32 v31, 29, v66
	v_and_b32_e32 v30, 7, v30
; %bb.2971:                             ;   in Loop: Header=BB302_2076 Depth=1
	s_or_b32 exec_lo, exec_lo, s28
	v_lshlrev_b32_e32 v66, 8, v15
	v_lshl_add_u32 v31, v31, 10, 0x2000
	v_lshlrev_b32_e32 v30, 7, v30
	v_and_b32_e32 v66, 0x8000, v66
	v_and_b32_e32 v31, 0xfc00, v31
	v_or3_b32 v30, v66, v31, v30
.LBB302_2972:                           ;   in Loop: Header=BB302_2076 Depth=1
	s_or_b32 exec_lo, exec_lo, s27
.LBB302_2973:                           ;   in Loop: Header=BB302_2076 Depth=1
	s_or_b32 exec_lo, exec_lo, s26
.LBB302_2974:                           ;   in Loop: Header=BB302_2076 Depth=1
	s_or_b32 exec_lo, exec_lo, s25
	v_lshrrev_b16 v6, 8, v6
	v_mov_b32_e32 v31, 0
	s_mov_b32 s25, exec_lo
	v_cmpx_ne_u16_e32 0, v6
	s_cbranch_execz .LBB302_2982
; %bb.2975:                             ;   in Loop: Header=BB302_2076 Depth=1
	v_bfrev_b32_e32 v31, 1
	s_mov_b32 s26, exec_lo
	v_cmpx_ne_u16_e32 0x80, v6
	s_cbranch_execz .LBB302_2981
; %bb.2976:                             ;   in Loop: Header=BB302_2076 Depth=1
	v_and_b32_sdwa v71, v6, v87 dst_sel:DWORD dst_unused:UNUSED_PAD src0_sel:WORD_0 src1_sel:DWORD
	v_mov_b32_e32 v31, 0x7c010000
	s_mov_b32 s27, exec_lo
	v_cmpx_ne_u32_e32 0x7f, v71
	s_cbranch_execz .LBB302_2980
; %bb.2977:                             ;   in Loop: Header=BB302_2076 Depth=1
	v_and_b32_sdwa v31, v6, v96 dst_sel:DWORD dst_unused:UNUSED_PAD src0_sel:WORD_0 src1_sel:DWORD
	v_lshrrev_b32_e32 v66, 3, v71
	s_mov_b32 s28, exec_lo
	v_cmpx_gt_u32_e32 8, v71
; %bb.2978:                             ;   in Loop: Header=BB302_2076 Depth=1
	v_ffbh_u32_e32 v31, v31
	v_min_u32_e32 v31, 32, v31
	v_subrev_nc_u32_e32 v66, 28, v31
	v_lshlrev_b64 v[71:72], v66, v[6:7]
	v_sub_nc_u32_e32 v66, 29, v31
	v_and_b32_e32 v31, 7, v71
; %bb.2979:                             ;   in Loop: Header=BB302_2076 Depth=1
	s_or_b32 exec_lo, exec_lo, s28
	v_lshlrev_b32_sdwa v6, v97, v6 dst_sel:DWORD dst_unused:UNUSED_PAD src0_sel:DWORD src1_sel:WORD_0
	v_lshl_add_u32 v66, v66, 10, 0x2000
	v_lshlrev_b32_e32 v31, 23, v31
	v_and_or_b32 v6, 0x8000, v6, v66
	v_lshl_or_b32 v31, v6, 16, v31
.LBB302_2980:                           ;   in Loop: Header=BB302_2076 Depth=1
	s_or_b32 exec_lo, exec_lo, s27
.LBB302_2981:                           ;   in Loop: Header=BB302_2076 Depth=1
	s_or_b32 exec_lo, exec_lo, s26
.LBB302_2982:                           ;   in Loop: Header=BB302_2076 Depth=1
	s_or_b32 exec_lo, exec_lo, s25
	v_lshrrev_b32_e32 v6, 16, v15
	v_cmp_ne_u16_sdwa s12, v6, v7 src0_sel:BYTE_0 src1_sel:DWORD
	s_and_saveexec_b32 s25, s12
	s_cbranch_execz .LBB302_2990
; %bb.2983:                             ;   in Loop: Header=BB302_2076 Depth=1
	v_cmp_ne_u16_sdwa s12, v6, v86 src0_sel:BYTE_0 src1_sel:DWORD
	v_mov_b32_e32 v29, 0x8000
	s_and_saveexec_b32 s26, s12
	s_cbranch_execz .LBB302_2989
; %bb.2984:                             ;   in Loop: Header=BB302_2076 Depth=1
	v_bfe_u32 v71, v15, 16, 7
	v_mov_b32_e32 v29, 0x7c01
	s_mov_b32 s27, exec_lo
	v_cmpx_ne_u32_e32 0x7f, v71
	s_cbranch_execz .LBB302_2988
; %bb.2985:                             ;   in Loop: Header=BB302_2076 Depth=1
	v_and_b32_e32 v29, 7, v6
	v_lshrrev_b32_e32 v66, 3, v71
	s_mov_b32 s28, exec_lo
	v_cmpx_gt_u32_e32 8, v71
; %bb.2986:                             ;   in Loop: Header=BB302_2076 Depth=1
	v_ffbh_u32_e32 v29, v29
	v_min_u32_e32 v29, 32, v29
	v_subrev_nc_u32_e32 v66, 28, v29
	v_lshlrev_b64 v[71:72], v66, v[6:7]
	v_sub_nc_u32_e32 v66, 29, v29
	v_and_b32_e32 v29, 7, v71
; %bb.2987:                             ;   in Loop: Header=BB302_2076 Depth=1
	s_or_b32 exec_lo, exec_lo, s28
	v_lshlrev_b32_e32 v6, 8, v6
	v_lshl_add_u32 v66, v66, 10, 0x2000
	v_lshlrev_b32_e32 v29, 7, v29
	v_and_b32_e32 v6, 0x8000, v6
	v_and_b32_e32 v66, 0xfc00, v66
	v_or3_b32 v29, v6, v66, v29
.LBB302_2988:                           ;   in Loop: Header=BB302_2076 Depth=1
	s_or_b32 exec_lo, exec_lo, s27
.LBB302_2989:                           ;   in Loop: Header=BB302_2076 Depth=1
	s_or_b32 exec_lo, exec_lo, s26
.LBB302_2990:                           ;   in Loop: Header=BB302_2076 Depth=1
	s_or_b32 exec_lo, exec_lo, s25
	v_cmp_lt_u64_e64 s12, s[22:23], v[14:15]
	v_mov_b32_e32 v14, 0
	s_and_saveexec_b32 s25, s12
	s_cbranch_execz .LBB302_2998
; %bb.2991:                             ;   in Loop: Header=BB302_2076 Depth=1
	v_lshrrev_b32_e32 v6, 24, v15
	v_bfrev_b32_e32 v14, 1
	s_mov_b32 s26, exec_lo
	v_cmpx_ne_u32_e32 0x80, v6
	s_cbranch_execz .LBB302_2997
; %bb.2992:                             ;   in Loop: Header=BB302_2076 Depth=1
	v_and_b32_e32 v66, 0x7f, v6
	v_mov_b32_e32 v14, 0x7c010000
	s_mov_b32 s27, exec_lo
	v_cmpx_ne_u32_e32 0x7f, v66
	s_cbranch_execz .LBB302_2996
; %bb.2993:                             ;   in Loop: Header=BB302_2076 Depth=1
	v_and_b32_e32 v14, 7, v6
	v_lshrrev_b32_e32 v15, 3, v66
	s_mov_b32 s28, exec_lo
	v_cmpx_gt_u32_e32 8, v66
; %bb.2994:                             ;   in Loop: Header=BB302_2076 Depth=1
	v_ffbh_u32_e32 v14, v14
	v_min_u32_e32 v66, 32, v14
	v_subrev_nc_u32_e32 v14, 28, v66
	v_lshlrev_b64 v[14:15], v14, v[6:7]
	v_sub_nc_u32_e32 v15, 29, v66
	v_and_b32_e32 v14, 7, v14
; %bb.2995:                             ;   in Loop: Header=BB302_2076 Depth=1
	s_or_b32 exec_lo, exec_lo, s28
	v_lshlrev_b32_e32 v6, 8, v6
	v_lshl_add_u32 v15, v15, 10, 0x2000
	v_lshlrev_b32_e32 v14, 23, v14
	v_and_or_b32 v6, 0x8000, v6, v15
	v_lshl_or_b32 v14, v6, 16, v14
.LBB302_2996:                           ;   in Loop: Header=BB302_2076 Depth=1
	s_or_b32 exec_lo, exec_lo, s27
.LBB302_2997:                           ;   in Loop: Header=BB302_2076 Depth=1
	s_or_b32 exec_lo, exec_lo, s26
.LBB302_2998:                           ;   in Loop: Header=BB302_2076 Depth=1
	s_or_b32 exec_lo, exec_lo, s25
	v_or_b32_e32 v6, v19, v28
	s_waitcnt vmcnt(0) lgkmcnt(0)
	v_fma_mixlo_f16 v15, v0, v19, 0 op_sel:[0,1,0] op_sel_hi:[0,1,0]
	v_or_b32_e32 v18, v1, v18
	v_fma_mixlo_f16 v19, v0, v1, 0 op_sel:[0,1,0] op_sel_hi:[0,1,0]
	v_or_b32_e32 v28, v31, v30
	v_or_b32_e32 v29, v14, v29
	v_fma_mixlo_f16 v6, v0, v6, 0 op_sel_hi:[0,1,0]
	v_lshlrev_b32_e32 v1, 16, v15
	v_lshlrev_b32_e32 v15, 16, v19
	v_fma_mixlo_f16 v18, v0, v18, 0 op_sel_hi:[0,1,0]
	v_fma_mixlo_f16 v19, v0, v31, 0 op_sel:[0,1,0] op_sel_hi:[0,1,0]
	v_fma_mixlo_f16 v28, v0, v28, 0 op_sel_hi:[0,1,0]
	v_fma_mixlo_f16 v14, v0, v14, 0 op_sel:[0,1,0] op_sel_hi:[0,1,0]
	v_fma_mixlo_f16 v0, v0, v29, 0 op_sel_hi:[0,1,0]
	v_and_b32_e32 v6, 0xffff, v6
	v_and_b32_e32 v66, 0xffff, v18
	v_lshlrev_b32_e32 v29, 16, v19
	v_and_b32_e32 v31, 0xffff, v28
	v_lshlrev_b32_e32 v28, 16, v14
	v_and_b32_e32 v30, 0xffff, v0
	v_or_b32_e32 v0, v1, v6
	v_or_b32_e32 v19, v15, v66
	;; [unrolled: 1-line block ×4, first 2 shown]
	s_and_saveexec_b32 s12, s7
	s_cbranch_execz .LBB302_3000
; %bb.2999:                             ;   in Loop: Header=BB302_2076 Depth=1
	v_cndmask_b32_e32 v0, 0, v66, vcc_lo
	v_cndmask_b32_e64 v14, 0, v15, s5
	v_cndmask_b32_e64 v6, 0, v6, s4
	;; [unrolled: 1-line block ×7, first 2 shown]
	v_or_b32_e32 v19, v0, v14
	v_or_b32_e32 v0, v6, v1
	;; [unrolled: 1-line block ×4, first 2 shown]
.LBB302_3000:                           ;   in Loop: Header=BB302_2076 Depth=1
	s_or_b32 exec_lo, exec_lo, s12
	;;#ASMSTART
	v_pk_mul_f16 v1, v102, v19;

	;;#ASMEND
	;;#ASMSTART
	v_pk_mul_f16 v0, v101, v0;

	;;#ASMEND
	;; [unrolled: 4-line block ×4, first 2 shown]
	;;#ASMSTART
	v_pk_add_f16 v0, v1, v0;

	;;#ASMEND
	;;#ASMSTART
	v_pk_add_f16 v0, v0, v6;

	;;#ASMEND
	;; [unrolled: 4-line block ×3, first 2 shown]
	v_and_b32_e32 v1, 0xffff, v0
	v_lshrrev_b32_e32 v6, 16, v0
	;;#ASMSTART
	v_cvt_f32_f16 v0, v1;
	;;#ASMEND
	;;#ASMSTART
	v_cvt_f32_f16 v1, v6;
	;;#ASMEND
	flat_load_dwordx2 v[14:15], v[12:13] offset:1536
	s_clause 0x1
	buffer_load_dword v18, off, s[0:3], s32 offset:192
	buffer_load_dword v19, off, s[0:3], s32 offset:196
	v_mov_b32_e32 v28, 0
	s_waitcnt vmcnt(2) lgkmcnt(0)
	v_cmp_ne_u16_sdwa s12, v14, v7 src0_sel:BYTE_0 src1_sel:DWORD
	s_waitcnt vmcnt(0)
	flat_load_dword v18, v[18:19]
	v_mov_b32_e32 v19, 0
	s_and_saveexec_b32 s25, s12
	s_cbranch_execz .LBB302_3008
; %bb.3001:                             ;   in Loop: Header=BB302_2076 Depth=1
	v_cmp_ne_u16_sdwa s12, v14, v86 src0_sel:BYTE_0 src1_sel:DWORD
	v_mov_b32_e32 v28, 0x8000
	s_and_saveexec_b32 s26, s12
	s_cbranch_execz .LBB302_3007
; %bb.3002:                             ;   in Loop: Header=BB302_2076 Depth=1
	v_and_b32_e32 v29, 0x7f, v14
	v_mov_b32_e32 v28, 0x7c01
	s_mov_b32 s27, exec_lo
	v_cmpx_ne_u32_e32 0x7f, v29
	s_cbranch_execz .LBB302_3006
; %bb.3003:                             ;   in Loop: Header=BB302_2076 Depth=1
	v_and_b32_e32 v6, 7, v14
	v_lshrrev_b32_e32 v28, 3, v29
	s_mov_b32 s28, exec_lo
	v_cmpx_gt_u32_e32 8, v29
; %bb.3004:                             ;   in Loop: Header=BB302_2076 Depth=1
	v_ffbh_u32_e32 v6, v6
	v_min_u32_e32 v6, 32, v6
	v_subrev_nc_u32_e32 v28, 28, v6
	v_lshlrev_b64 v[29:30], v28, v[14:15]
	v_sub_nc_u32_e32 v28, 29, v6
	v_and_b32_e32 v6, 7, v29
; %bb.3005:                             ;   in Loop: Header=BB302_2076 Depth=1
	s_or_b32 exec_lo, exec_lo, s28
	v_lshlrev_b32_e32 v29, 8, v14
	v_lshl_add_u32 v28, v28, 10, 0x2000
	v_lshlrev_b32_e32 v6, 7, v6
	v_and_b32_e32 v29, 0x8000, v29
	v_and_b32_e32 v28, 0xfc00, v28
	v_or3_b32 v28, v29, v28, v6
.LBB302_3006:                           ;   in Loop: Header=BB302_2076 Depth=1
	s_or_b32 exec_lo, exec_lo, s27
.LBB302_3007:                           ;   in Loop: Header=BB302_2076 Depth=1
	s_or_b32 exec_lo, exec_lo, s26
.LBB302_3008:                           ;   in Loop: Header=BB302_2076 Depth=1
	s_or_b32 exec_lo, exec_lo, s25
	v_lshrrev_b16 v6, 8, v14
	s_mov_b32 s25, exec_lo
	v_cmpx_ne_u16_e32 0, v6
	s_cbranch_execz .LBB302_3016
; %bb.3009:                             ;   in Loop: Header=BB302_2076 Depth=1
	v_bfrev_b32_e32 v19, 1
	s_mov_b32 s26, exec_lo
	v_cmpx_ne_u16_e32 0x80, v6
	s_cbranch_execz .LBB302_3015
; %bb.3010:                             ;   in Loop: Header=BB302_2076 Depth=1
	v_and_b32_sdwa v30, v6, v87 dst_sel:DWORD dst_unused:UNUSED_PAD src0_sel:WORD_0 src1_sel:DWORD
	v_mov_b32_e32 v19, 0x7c010000
	s_mov_b32 s27, exec_lo
	v_cmpx_ne_u32_e32 0x7f, v30
	s_cbranch_execz .LBB302_3014
; %bb.3011:                             ;   in Loop: Header=BB302_2076 Depth=1
	v_and_b32_sdwa v19, v6, v96 dst_sel:DWORD dst_unused:UNUSED_PAD src0_sel:WORD_0 src1_sel:DWORD
	v_lshrrev_b32_e32 v29, 3, v30
	s_mov_b32 s28, exec_lo
	v_cmpx_gt_u32_e32 8, v30
; %bb.3012:                             ;   in Loop: Header=BB302_2076 Depth=1
	v_ffbh_u32_e32 v19, v19
	v_min_u32_e32 v19, 32, v19
	v_subrev_nc_u32_e32 v29, 28, v19
	v_lshlrev_b64 v[30:31], v29, v[6:7]
	v_sub_nc_u32_e32 v29, 29, v19
	v_and_b32_e32 v19, 7, v30
; %bb.3013:                             ;   in Loop: Header=BB302_2076 Depth=1
	s_or_b32 exec_lo, exec_lo, s28
	v_lshlrev_b32_sdwa v6, v97, v6 dst_sel:DWORD dst_unused:UNUSED_PAD src0_sel:DWORD src1_sel:WORD_0
	v_lshl_add_u32 v29, v29, 10, 0x2000
	v_lshlrev_b32_e32 v19, 23, v19
	v_and_or_b32 v6, 0x8000, v6, v29
	v_lshl_or_b32 v19, v6, 16, v19
.LBB302_3014:                           ;   in Loop: Header=BB302_2076 Depth=1
	s_or_b32 exec_lo, exec_lo, s27
.LBB302_3015:                           ;   in Loop: Header=BB302_2076 Depth=1
	s_or_b32 exec_lo, exec_lo, s26
.LBB302_3016:                           ;   in Loop: Header=BB302_2076 Depth=1
	s_or_b32 exec_lo, exec_lo, s25
	v_lshrrev_b32_e32 v6, 16, v14
	v_mov_b32_e32 v29, 0
	v_mov_b32_e32 v30, 0
	v_cmp_ne_u16_sdwa s12, v6, v7 src0_sel:BYTE_0 src1_sel:DWORD
	s_and_saveexec_b32 s25, s12
	s_cbranch_execz .LBB302_3024
; %bb.3017:                             ;   in Loop: Header=BB302_2076 Depth=1
	v_cmp_ne_u16_sdwa s12, v6, v86 src0_sel:BYTE_0 src1_sel:DWORD
	v_mov_b32_e32 v30, 0x8000
	s_and_saveexec_b32 s26, s12
	s_cbranch_execz .LBB302_3023
; %bb.3018:                             ;   in Loop: Header=BB302_2076 Depth=1
	v_bfe_u32 v66, v14, 16, 7
	v_mov_b32_e32 v30, 0x7c01
	s_mov_b32 s27, exec_lo
	v_cmpx_ne_u32_e32 0x7f, v66
	s_cbranch_execz .LBB302_3022
; %bb.3019:                             ;   in Loop: Header=BB302_2076 Depth=1
	v_and_b32_e32 v30, 7, v6
	v_lshrrev_b32_e32 v31, 3, v66
	s_mov_b32 s28, exec_lo
	v_cmpx_gt_u32_e32 8, v66
; %bb.3020:                             ;   in Loop: Header=BB302_2076 Depth=1
	v_ffbh_u32_e32 v30, v30
	v_min_u32_e32 v66, 32, v30
	v_subrev_nc_u32_e32 v30, 28, v66
	v_lshlrev_b64 v[30:31], v30, v[6:7]
	v_sub_nc_u32_e32 v31, 29, v66
	v_and_b32_e32 v30, 7, v30
; %bb.3021:                             ;   in Loop: Header=BB302_2076 Depth=1
	s_or_b32 exec_lo, exec_lo, s28
	v_lshlrev_b32_e32 v6, 8, v6
	v_lshl_add_u32 v31, v31, 10, 0x2000
	v_lshlrev_b32_e32 v30, 7, v30
	v_and_b32_e32 v6, 0x8000, v6
	v_and_b32_e32 v31, 0xfc00, v31
	v_or3_b32 v30, v6, v31, v30
.LBB302_3022:                           ;   in Loop: Header=BB302_2076 Depth=1
	s_or_b32 exec_lo, exec_lo, s27
.LBB302_3023:                           ;   in Loop: Header=BB302_2076 Depth=1
	s_or_b32 exec_lo, exec_lo, s26
.LBB302_3024:                           ;   in Loop: Header=BB302_2076 Depth=1
	s_or_b32 exec_lo, exec_lo, s25
	s_mov_b32 s25, exec_lo
	v_cmpx_lt_u32_e32 0xffffff, v14
	s_cbranch_execz .LBB302_3032
; %bb.3025:                             ;   in Loop: Header=BB302_2076 Depth=1
	v_lshrrev_b32_e32 v6, 24, v14
	v_bfrev_b32_e32 v29, 1
	s_mov_b32 s26, exec_lo
	v_cmpx_ne_u32_e32 0x80, v6
	s_cbranch_execz .LBB302_3031
; %bb.3026:                             ;   in Loop: Header=BB302_2076 Depth=1
	v_and_b32_e32 v66, 0x7f, v6
	v_mov_b32_e32 v29, 0x7c010000
	s_mov_b32 s27, exec_lo
	v_cmpx_ne_u32_e32 0x7f, v66
	s_cbranch_execz .LBB302_3030
; %bb.3027:                             ;   in Loop: Header=BB302_2076 Depth=1
	v_and_b32_e32 v29, 7, v6
	v_lshrrev_b32_e32 v31, 3, v66
	s_mov_b32 s28, exec_lo
	v_cmpx_gt_u32_e32 8, v66
; %bb.3028:                             ;   in Loop: Header=BB302_2076 Depth=1
	v_ffbh_u32_e32 v29, v29
	v_min_u32_e32 v29, 32, v29
	v_subrev_nc_u32_e32 v31, 28, v29
	v_lshlrev_b64 v[71:72], v31, v[6:7]
	v_sub_nc_u32_e32 v31, 29, v29
	v_and_b32_e32 v29, 7, v71
; %bb.3029:                             ;   in Loop: Header=BB302_2076 Depth=1
	s_or_b32 exec_lo, exec_lo, s28
	v_lshlrev_b32_e32 v6, 8, v6
	v_lshl_add_u32 v31, v31, 10, 0x2000
	v_lshlrev_b32_e32 v29, 23, v29
	v_and_or_b32 v6, 0x8000, v6, v31
	v_lshl_or_b32 v29, v6, 16, v29
.LBB302_3030:                           ;   in Loop: Header=BB302_2076 Depth=1
	s_or_b32 exec_lo, exec_lo, s27
.LBB302_3031:                           ;   in Loop: Header=BB302_2076 Depth=1
	s_or_b32 exec_lo, exec_lo, s26
.LBB302_3032:                           ;   in Loop: Header=BB302_2076 Depth=1
	s_or_b32 exec_lo, exec_lo, s25
	v_mov_b32_e32 v6, v15
	v_cmp_ne_u16_sdwa s12, v15, v7 src0_sel:BYTE_0 src1_sel:DWORD
	v_mov_b32_e32 v31, 0
	v_mov_b32_e32 v66, 0
	s_and_saveexec_b32 s25, s12
	s_cbranch_execz .LBB302_3040
; %bb.3033:                             ;   in Loop: Header=BB302_2076 Depth=1
	v_cmp_ne_u16_sdwa s12, v15, v86 src0_sel:BYTE_0 src1_sel:DWORD
	v_mov_b32_e32 v66, 0x8000
	s_and_saveexec_b32 s26, s12
	s_cbranch_execz .LBB302_3039
; %bb.3034:                             ;   in Loop: Header=BB302_2076 Depth=1
	v_and_b32_e32 v72, 0x7f, v15
	v_mov_b32_e32 v66, 0x7c01
	s_mov_b32 s27, exec_lo
	v_cmpx_ne_u32_e32 0x7f, v72
	s_cbranch_execz .LBB302_3038
; %bb.3035:                             ;   in Loop: Header=BB302_2076 Depth=1
	v_and_b32_e32 v66, 7, v15
	v_lshrrev_b32_e32 v71, 3, v72
	s_mov_b32 s28, exec_lo
	v_cmpx_gt_u32_e32 8, v72
; %bb.3036:                             ;   in Loop: Header=BB302_2076 Depth=1
	v_ffbh_u32_e32 v66, v66
	v_min_u32_e32 v66, 32, v66
	v_subrev_nc_u32_e32 v71, 28, v66
	v_lshlrev_b64 v[72:73], v71, v[6:7]
	v_sub_nc_u32_e32 v71, 29, v66
	v_and_b32_e32 v66, 7, v72
; %bb.3037:                             ;   in Loop: Header=BB302_2076 Depth=1
	s_or_b32 exec_lo, exec_lo, s28
	v_lshlrev_b32_e32 v72, 8, v15
	v_lshl_add_u32 v71, v71, 10, 0x2000
	v_lshlrev_b32_e32 v66, 7, v66
	v_and_b32_e32 v72, 0x8000, v72
	v_and_b32_e32 v71, 0xfc00, v71
	v_or3_b32 v66, v72, v71, v66
.LBB302_3038:                           ;   in Loop: Header=BB302_2076 Depth=1
	s_or_b32 exec_lo, exec_lo, s27
.LBB302_3039:                           ;   in Loop: Header=BB302_2076 Depth=1
	s_or_b32 exec_lo, exec_lo, s26
.LBB302_3040:                           ;   in Loop: Header=BB302_2076 Depth=1
	s_or_b32 exec_lo, exec_lo, s25
	v_lshrrev_b16 v6, 8, v6
	v_mov_b32_e32 v71, 0
	s_mov_b32 s25, exec_lo
	v_cmpx_ne_u16_e32 0, v6
	s_cbranch_execz .LBB302_3048
; %bb.3041:                             ;   in Loop: Header=BB302_2076 Depth=1
	v_bfrev_b32_e32 v71, 1
	s_mov_b32 s26, exec_lo
	v_cmpx_ne_u16_e32 0x80, v6
	s_cbranch_execz .LBB302_3047
; %bb.3042:                             ;   in Loop: Header=BB302_2076 Depth=1
	v_and_b32_sdwa v73, v6, v87 dst_sel:DWORD dst_unused:UNUSED_PAD src0_sel:WORD_0 src1_sel:DWORD
	v_mov_b32_e32 v71, 0x7c010000
	s_mov_b32 s27, exec_lo
	v_cmpx_ne_u32_e32 0x7f, v73
	s_cbranch_execz .LBB302_3046
; %bb.3043:                             ;   in Loop: Header=BB302_2076 Depth=1
	v_and_b32_sdwa v71, v6, v96 dst_sel:DWORD dst_unused:UNUSED_PAD src0_sel:WORD_0 src1_sel:DWORD
	v_lshrrev_b32_e32 v72, 3, v73
	s_mov_b32 s28, exec_lo
	v_cmpx_gt_u32_e32 8, v73
; %bb.3044:                             ;   in Loop: Header=BB302_2076 Depth=1
	v_ffbh_u32_e32 v71, v71
	v_min_u32_e32 v73, 32, v71
	v_subrev_nc_u32_e32 v71, 28, v73
	v_lshlrev_b64 v[71:72], v71, v[6:7]
	v_sub_nc_u32_e32 v72, 29, v73
	v_and_b32_e32 v71, 7, v71
; %bb.3045:                             ;   in Loop: Header=BB302_2076 Depth=1
	s_or_b32 exec_lo, exec_lo, s28
	v_lshlrev_b32_sdwa v6, v97, v6 dst_sel:DWORD dst_unused:UNUSED_PAD src0_sel:DWORD src1_sel:WORD_0
	v_lshl_add_u32 v72, v72, 10, 0x2000
	v_lshlrev_b32_e32 v71, 23, v71
	v_and_or_b32 v6, 0x8000, v6, v72
	v_lshl_or_b32 v71, v6, 16, v71
.LBB302_3046:                           ;   in Loop: Header=BB302_2076 Depth=1
	s_or_b32 exec_lo, exec_lo, s27
.LBB302_3047:                           ;   in Loop: Header=BB302_2076 Depth=1
	s_or_b32 exec_lo, exec_lo, s26
.LBB302_3048:                           ;   in Loop: Header=BB302_2076 Depth=1
	s_or_b32 exec_lo, exec_lo, s25
	v_lshrrev_b32_e32 v6, 16, v15
	v_cmp_ne_u16_sdwa s12, v6, v7 src0_sel:BYTE_0 src1_sel:DWORD
	s_and_saveexec_b32 s25, s12
	s_cbranch_execz .LBB302_3056
; %bb.3049:                             ;   in Loop: Header=BB302_2076 Depth=1
	v_cmp_ne_u16_sdwa s12, v6, v86 src0_sel:BYTE_0 src1_sel:DWORD
	v_mov_b32_e32 v31, 0x8000
	s_and_saveexec_b32 s26, s12
	s_cbranch_execz .LBB302_3055
; %bb.3050:                             ;   in Loop: Header=BB302_2076 Depth=1
	v_bfe_u32 v73, v15, 16, 7
	v_mov_b32_e32 v31, 0x7c01
	s_mov_b32 s27, exec_lo
	v_cmpx_ne_u32_e32 0x7f, v73
	s_cbranch_execz .LBB302_3054
; %bb.3051:                             ;   in Loop: Header=BB302_2076 Depth=1
	v_and_b32_e32 v31, 7, v6
	v_lshrrev_b32_e32 v72, 3, v73
	s_mov_b32 s28, exec_lo
	v_cmpx_gt_u32_e32 8, v73
; %bb.3052:                             ;   in Loop: Header=BB302_2076 Depth=1
	v_ffbh_u32_e32 v31, v31
	v_min_u32_e32 v31, 32, v31
	v_subrev_nc_u32_e32 v72, 28, v31
	v_lshlrev_b64 v[73:74], v72, v[6:7]
	v_sub_nc_u32_e32 v72, 29, v31
	v_and_b32_e32 v31, 7, v73
; %bb.3053:                             ;   in Loop: Header=BB302_2076 Depth=1
	s_or_b32 exec_lo, exec_lo, s28
	v_lshlrev_b32_e32 v6, 8, v6
	v_lshl_add_u32 v72, v72, 10, 0x2000
	v_lshlrev_b32_e32 v31, 7, v31
	v_and_b32_e32 v6, 0x8000, v6
	v_and_b32_e32 v72, 0xfc00, v72
	v_or3_b32 v31, v6, v72, v31
.LBB302_3054:                           ;   in Loop: Header=BB302_2076 Depth=1
	s_or_b32 exec_lo, exec_lo, s27
.LBB302_3055:                           ;   in Loop: Header=BB302_2076 Depth=1
	s_or_b32 exec_lo, exec_lo, s26
.LBB302_3056:                           ;   in Loop: Header=BB302_2076 Depth=1
	s_or_b32 exec_lo, exec_lo, s25
	v_cmp_lt_u64_e64 s12, s[22:23], v[14:15]
	v_mov_b32_e32 v14, 0
	s_and_saveexec_b32 s25, s12
	s_cbranch_execz .LBB302_3064
; %bb.3057:                             ;   in Loop: Header=BB302_2076 Depth=1
	v_lshrrev_b32_e32 v6, 24, v15
	v_bfrev_b32_e32 v14, 1
	s_mov_b32 s26, exec_lo
	v_cmpx_ne_u32_e32 0x80, v6
	s_cbranch_execz .LBB302_3063
; %bb.3058:                             ;   in Loop: Header=BB302_2076 Depth=1
	v_and_b32_e32 v72, 0x7f, v6
	v_mov_b32_e32 v14, 0x7c010000
	s_mov_b32 s27, exec_lo
	v_cmpx_ne_u32_e32 0x7f, v72
	s_cbranch_execz .LBB302_3062
; %bb.3059:                             ;   in Loop: Header=BB302_2076 Depth=1
	v_and_b32_e32 v14, 7, v6
	v_lshrrev_b32_e32 v15, 3, v72
	s_mov_b32 s28, exec_lo
	v_cmpx_gt_u32_e32 8, v72
; %bb.3060:                             ;   in Loop: Header=BB302_2076 Depth=1
	v_ffbh_u32_e32 v14, v14
	v_min_u32_e32 v72, 32, v14
	v_subrev_nc_u32_e32 v14, 28, v72
	v_lshlrev_b64 v[14:15], v14, v[6:7]
	v_sub_nc_u32_e32 v15, 29, v72
	v_and_b32_e32 v14, 7, v14
; %bb.3061:                             ;   in Loop: Header=BB302_2076 Depth=1
	s_or_b32 exec_lo, exec_lo, s28
	v_lshlrev_b32_e32 v6, 8, v6
	v_lshl_add_u32 v15, v15, 10, 0x2000
	v_lshlrev_b32_e32 v14, 23, v14
	v_and_or_b32 v6, 0x8000, v6, v15
	v_lshl_or_b32 v14, v6, 16, v14
.LBB302_3062:                           ;   in Loop: Header=BB302_2076 Depth=1
	s_or_b32 exec_lo, exec_lo, s27
.LBB302_3063:                           ;   in Loop: Header=BB302_2076 Depth=1
	s_or_b32 exec_lo, exec_lo, s26
.LBB302_3064:                           ;   in Loop: Header=BB302_2076 Depth=1
	s_or_b32 exec_lo, exec_lo, s25
	v_or_b32_e32 v6, v29, v30
	s_waitcnt vmcnt(0) lgkmcnt(0)
	v_fma_mixlo_f16 v15, v18, v29, 0 op_sel:[0,1,0] op_sel_hi:[0,1,0]
	v_or_b32_e32 v28, v19, v28
	v_or_b32_e32 v29, v71, v66
	;; [unrolled: 1-line block ×3, first 2 shown]
	v_fma_mixlo_f16 v30, v18, v6, 0 op_sel_hi:[0,1,0]
	v_fma_mixlo_f16 v19, v18, v19, 0 op_sel:[0,1,0] op_sel_hi:[0,1,0]
	v_lshlrev_b32_e32 v6, 16, v15
	v_fma_mixlo_f16 v28, v18, v28, 0 op_sel_hi:[0,1,0]
	v_fma_mixlo_f16 v29, v18, v29, 0 op_sel_hi:[0,1,0]
	v_and_b32_e32 v15, 0xffff, v30
	v_fma_mixlo_f16 v30, v18, v71, 0 op_sel:[0,1,0] op_sel_hi:[0,1,0]
	v_fma_mixlo_f16 v14, v18, v14, 0 op_sel:[0,1,0] op_sel_hi:[0,1,0]
	v_fma_mixlo_f16 v18, v18, v31, 0 op_sel_hi:[0,1,0]
	v_lshlrev_b32_e32 v19, 16, v19
	v_and_b32_e32 v72, 0xffff, v28
	v_lshlrev_b32_e32 v31, 16, v30
	v_and_b32_e32 v71, 0xffff, v29
	;; [unrolled: 2-line block ×3, first 2 shown]
	v_or_b32_e32 v14, v6, v15
	v_or_b32_e32 v29, v19, v72
	;; [unrolled: 1-line block ×4, first 2 shown]
	s_and_saveexec_b32 s12, s7
	s_cbranch_execz .LBB302_3066
; %bb.3065:                             ;   in Loop: Header=BB302_2076 Depth=1
	v_cndmask_b32_e32 v14, 0, v72, vcc_lo
	v_cndmask_b32_e64 v18, 0, v19, s5
	v_cndmask_b32_e64 v15, 0, v15, s4
	v_cndmask_b32_e64 v6, 0, v6, s6
	v_cndmask_b32_e64 v19, 0, v71, s8
	v_cndmask_b32_e64 v28, 0, v31, s9
	v_cndmask_b32_e64 v31, 0, v66, s10
	v_cndmask_b32_e64 v30, 0, v30, s11
	v_or_b32_e32 v29, v14, v18
	v_or_b32_e32 v14, v15, v6
	;; [unrolled: 1-line block ×4, first 2 shown]
.LBB302_3066:                           ;   in Loop: Header=BB302_2076 Depth=1
	s_or_b32 exec_lo, exec_lo, s12
	;;#ASMSTART
	v_pk_mul_f16 v6, v102, v29;

	;;#ASMEND
	;;#ASMSTART
	v_pk_mul_f16 v14, v101, v14;

	;;#ASMEND
	;; [unrolled: 4-line block ×4, first 2 shown]
	;;#ASMSTART
	v_pk_add_f16 v6, v6, v14;

	;;#ASMEND
	;;#ASMSTART
	v_pk_add_f16 v6, v6, v15;

	;;#ASMEND
	;; [unrolled: 4-line block ×3, first 2 shown]
	v_and_b32_e32 v14, 0xffff, v6
	v_lshrrev_b32_e32 v6, 16, v6
	;;#ASMSTART
	v_cvt_f32_f16 v19, v14;
	;;#ASMEND
	;;#ASMSTART
	v_cvt_f32_f16 v28, v6;
	;;#ASMEND
	flat_load_dwordx2 v[12:13], v[12:13] offset:1792
	s_clause 0x1
	buffer_load_dword v14, off, s[0:3], s32 offset:192
	buffer_load_dword v15, off, s[0:3], s32 offset:196
	v_mov_b32_e32 v18, 0
	s_waitcnt vmcnt(2) lgkmcnt(0)
	v_cmp_ne_u16_sdwa s12, v12, v7 src0_sel:BYTE_0 src1_sel:DWORD
	s_waitcnt vmcnt(0)
	flat_load_dword v14, v[14:15]
	v_mov_b32_e32 v15, 0
	s_and_saveexec_b32 s25, s12
	s_cbranch_execz .LBB302_3074
; %bb.3067:                             ;   in Loop: Header=BB302_2076 Depth=1
	v_cmp_ne_u16_sdwa s12, v12, v86 src0_sel:BYTE_0 src1_sel:DWORD
	v_mov_b32_e32 v18, 0x8000
	s_and_saveexec_b32 s26, s12
	s_cbranch_execz .LBB302_3073
; %bb.3068:                             ;   in Loop: Header=BB302_2076 Depth=1
	v_and_b32_e32 v29, 0x7f, v12
	v_mov_b32_e32 v18, 0x7c01
	s_mov_b32 s27, exec_lo
	v_cmpx_ne_u32_e32 0x7f, v29
	s_cbranch_execz .LBB302_3072
; %bb.3069:                             ;   in Loop: Header=BB302_2076 Depth=1
	v_and_b32_e32 v6, 7, v12
	v_lshrrev_b32_e32 v18, 3, v29
	s_mov_b32 s28, exec_lo
	v_cmpx_gt_u32_e32 8, v29
; %bb.3070:                             ;   in Loop: Header=BB302_2076 Depth=1
	v_ffbh_u32_e32 v6, v6
	v_min_u32_e32 v6, 32, v6
	v_subrev_nc_u32_e32 v18, 28, v6
	v_lshlrev_b64 v[29:30], v18, v[12:13]
	v_sub_nc_u32_e32 v18, 29, v6
	v_and_b32_e32 v6, 7, v29
; %bb.3071:                             ;   in Loop: Header=BB302_2076 Depth=1
	s_or_b32 exec_lo, exec_lo, s28
	v_lshlrev_b32_e32 v29, 8, v12
	v_lshl_add_u32 v18, v18, 10, 0x2000
	v_lshlrev_b32_e32 v6, 7, v6
	v_and_b32_e32 v29, 0x8000, v29
	v_and_b32_e32 v18, 0xfc00, v18
	v_or3_b32 v18, v29, v18, v6
.LBB302_3072:                           ;   in Loop: Header=BB302_2076 Depth=1
	s_or_b32 exec_lo, exec_lo, s27
.LBB302_3073:                           ;   in Loop: Header=BB302_2076 Depth=1
	s_or_b32 exec_lo, exec_lo, s26
.LBB302_3074:                           ;   in Loop: Header=BB302_2076 Depth=1
	s_or_b32 exec_lo, exec_lo, s25
	v_lshrrev_b16 v6, 8, v12
	s_mov_b32 s25, exec_lo
	v_cmpx_ne_u16_e32 0, v6
	s_cbranch_execz .LBB302_3082
; %bb.3075:                             ;   in Loop: Header=BB302_2076 Depth=1
	v_bfrev_b32_e32 v15, 1
	s_mov_b32 s26, exec_lo
	v_cmpx_ne_u16_e32 0x80, v6
	s_cbranch_execz .LBB302_3081
; %bb.3076:                             ;   in Loop: Header=BB302_2076 Depth=1
	v_and_b32_sdwa v30, v6, v87 dst_sel:DWORD dst_unused:UNUSED_PAD src0_sel:WORD_0 src1_sel:DWORD
	v_mov_b32_e32 v15, 0x7c010000
	s_mov_b32 s27, exec_lo
	v_cmpx_ne_u32_e32 0x7f, v30
	s_cbranch_execz .LBB302_3080
; %bb.3077:                             ;   in Loop: Header=BB302_2076 Depth=1
	v_and_b32_sdwa v15, v6, v96 dst_sel:DWORD dst_unused:UNUSED_PAD src0_sel:WORD_0 src1_sel:DWORD
	v_lshrrev_b32_e32 v29, 3, v30
	s_mov_b32 s28, exec_lo
	v_cmpx_gt_u32_e32 8, v30
; %bb.3078:                             ;   in Loop: Header=BB302_2076 Depth=1
	v_ffbh_u32_e32 v15, v15
	v_min_u32_e32 v15, 32, v15
	v_subrev_nc_u32_e32 v29, 28, v15
	v_lshlrev_b64 v[30:31], v29, v[6:7]
	v_sub_nc_u32_e32 v29, 29, v15
	v_and_b32_e32 v15, 7, v30
; %bb.3079:                             ;   in Loop: Header=BB302_2076 Depth=1
	s_or_b32 exec_lo, exec_lo, s28
	v_lshlrev_b32_sdwa v6, v97, v6 dst_sel:DWORD dst_unused:UNUSED_PAD src0_sel:DWORD src1_sel:WORD_0
	v_lshl_add_u32 v29, v29, 10, 0x2000
	v_lshlrev_b32_e32 v15, 23, v15
	v_and_or_b32 v6, 0x8000, v6, v29
	v_lshl_or_b32 v15, v6, 16, v15
.LBB302_3080:                           ;   in Loop: Header=BB302_2076 Depth=1
	s_or_b32 exec_lo, exec_lo, s27
.LBB302_3081:                           ;   in Loop: Header=BB302_2076 Depth=1
	s_or_b32 exec_lo, exec_lo, s26
.LBB302_3082:                           ;   in Loop: Header=BB302_2076 Depth=1
	s_or_b32 exec_lo, exec_lo, s25
	v_lshrrev_b32_e32 v6, 16, v12
	v_mov_b32_e32 v29, 0
	v_mov_b32_e32 v30, 0
	v_cmp_ne_u16_sdwa s12, v6, v7 src0_sel:BYTE_0 src1_sel:DWORD
	s_and_saveexec_b32 s25, s12
	s_cbranch_execz .LBB302_3090
; %bb.3083:                             ;   in Loop: Header=BB302_2076 Depth=1
	v_cmp_ne_u16_sdwa s12, v6, v86 src0_sel:BYTE_0 src1_sel:DWORD
	v_mov_b32_e32 v30, 0x8000
	s_and_saveexec_b32 s26, s12
	s_cbranch_execz .LBB302_3089
; %bb.3084:                             ;   in Loop: Header=BB302_2076 Depth=1
	v_bfe_u32 v66, v12, 16, 7
	v_mov_b32_e32 v30, 0x7c01
	s_mov_b32 s27, exec_lo
	v_cmpx_ne_u32_e32 0x7f, v66
	s_cbranch_execz .LBB302_3088
; %bb.3085:                             ;   in Loop: Header=BB302_2076 Depth=1
	v_and_b32_e32 v30, 7, v6
	v_lshrrev_b32_e32 v31, 3, v66
	s_mov_b32 s28, exec_lo
	v_cmpx_gt_u32_e32 8, v66
; %bb.3086:                             ;   in Loop: Header=BB302_2076 Depth=1
	v_ffbh_u32_e32 v30, v30
	v_min_u32_e32 v66, 32, v30
	v_subrev_nc_u32_e32 v30, 28, v66
	v_lshlrev_b64 v[30:31], v30, v[6:7]
	v_sub_nc_u32_e32 v31, 29, v66
	v_and_b32_e32 v30, 7, v30
; %bb.3087:                             ;   in Loop: Header=BB302_2076 Depth=1
	s_or_b32 exec_lo, exec_lo, s28
	v_lshlrev_b32_e32 v6, 8, v6
	v_lshl_add_u32 v31, v31, 10, 0x2000
	v_lshlrev_b32_e32 v30, 7, v30
	v_and_b32_e32 v6, 0x8000, v6
	v_and_b32_e32 v31, 0xfc00, v31
	v_or3_b32 v30, v6, v31, v30
.LBB302_3088:                           ;   in Loop: Header=BB302_2076 Depth=1
	s_or_b32 exec_lo, exec_lo, s27
.LBB302_3089:                           ;   in Loop: Header=BB302_2076 Depth=1
	s_or_b32 exec_lo, exec_lo, s26
.LBB302_3090:                           ;   in Loop: Header=BB302_2076 Depth=1
	s_or_b32 exec_lo, exec_lo, s25
	s_mov_b32 s25, exec_lo
	v_cmpx_lt_u32_e32 0xffffff, v12
	s_cbranch_execz .LBB302_3098
; %bb.3091:                             ;   in Loop: Header=BB302_2076 Depth=1
	v_lshrrev_b32_e32 v6, 24, v12
	v_bfrev_b32_e32 v29, 1
	s_mov_b32 s26, exec_lo
	v_cmpx_ne_u32_e32 0x80, v6
	s_cbranch_execz .LBB302_3097
; %bb.3092:                             ;   in Loop: Header=BB302_2076 Depth=1
	v_and_b32_e32 v66, 0x7f, v6
	v_mov_b32_e32 v29, 0x7c010000
	s_mov_b32 s27, exec_lo
	v_cmpx_ne_u32_e32 0x7f, v66
	s_cbranch_execz .LBB302_3096
; %bb.3093:                             ;   in Loop: Header=BB302_2076 Depth=1
	v_and_b32_e32 v29, 7, v6
	v_lshrrev_b32_e32 v31, 3, v66
	s_mov_b32 s28, exec_lo
	v_cmpx_gt_u32_e32 8, v66
; %bb.3094:                             ;   in Loop: Header=BB302_2076 Depth=1
	v_ffbh_u32_e32 v29, v29
	v_min_u32_e32 v29, 32, v29
	v_subrev_nc_u32_e32 v31, 28, v29
	v_lshlrev_b64 v[71:72], v31, v[6:7]
	v_sub_nc_u32_e32 v31, 29, v29
	v_and_b32_e32 v29, 7, v71
; %bb.3095:                             ;   in Loop: Header=BB302_2076 Depth=1
	s_or_b32 exec_lo, exec_lo, s28
	v_lshlrev_b32_e32 v6, 8, v6
	v_lshl_add_u32 v31, v31, 10, 0x2000
	v_lshlrev_b32_e32 v29, 23, v29
	v_and_or_b32 v6, 0x8000, v6, v31
	v_lshl_or_b32 v29, v6, 16, v29
.LBB302_3096:                           ;   in Loop: Header=BB302_2076 Depth=1
	s_or_b32 exec_lo, exec_lo, s27
.LBB302_3097:                           ;   in Loop: Header=BB302_2076 Depth=1
	s_or_b32 exec_lo, exec_lo, s26
.LBB302_3098:                           ;   in Loop: Header=BB302_2076 Depth=1
	s_or_b32 exec_lo, exec_lo, s25
	v_mov_b32_e32 v6, v13
	v_cmp_ne_u16_sdwa s12, v13, v7 src0_sel:BYTE_0 src1_sel:DWORD
	v_mov_b32_e32 v31, 0
	v_mov_b32_e32 v66, 0
	s_and_saveexec_b32 s25, s12
	s_cbranch_execz .LBB302_3106
; %bb.3099:                             ;   in Loop: Header=BB302_2076 Depth=1
	v_cmp_ne_u16_sdwa s12, v13, v86 src0_sel:BYTE_0 src1_sel:DWORD
	v_mov_b32_e32 v66, 0x8000
	s_and_saveexec_b32 s26, s12
	s_cbranch_execz .LBB302_3105
; %bb.3100:                             ;   in Loop: Header=BB302_2076 Depth=1
	v_and_b32_e32 v72, 0x7f, v13
	v_mov_b32_e32 v66, 0x7c01
	s_mov_b32 s27, exec_lo
	v_cmpx_ne_u32_e32 0x7f, v72
	s_cbranch_execz .LBB302_3104
; %bb.3101:                             ;   in Loop: Header=BB302_2076 Depth=1
	v_and_b32_e32 v66, 7, v13
	v_lshrrev_b32_e32 v71, 3, v72
	s_mov_b32 s28, exec_lo
	v_cmpx_gt_u32_e32 8, v72
; %bb.3102:                             ;   in Loop: Header=BB302_2076 Depth=1
	v_ffbh_u32_e32 v66, v66
	v_min_u32_e32 v66, 32, v66
	v_subrev_nc_u32_e32 v71, 28, v66
	v_lshlrev_b64 v[72:73], v71, v[6:7]
	v_sub_nc_u32_e32 v71, 29, v66
	v_and_b32_e32 v66, 7, v72
; %bb.3103:                             ;   in Loop: Header=BB302_2076 Depth=1
	s_or_b32 exec_lo, exec_lo, s28
	v_lshlrev_b32_e32 v72, 8, v13
	v_lshl_add_u32 v71, v71, 10, 0x2000
	v_lshlrev_b32_e32 v66, 7, v66
	v_and_b32_e32 v72, 0x8000, v72
	v_and_b32_e32 v71, 0xfc00, v71
	v_or3_b32 v66, v72, v71, v66
.LBB302_3104:                           ;   in Loop: Header=BB302_2076 Depth=1
	s_or_b32 exec_lo, exec_lo, s27
.LBB302_3105:                           ;   in Loop: Header=BB302_2076 Depth=1
	s_or_b32 exec_lo, exec_lo, s26
.LBB302_3106:                           ;   in Loop: Header=BB302_2076 Depth=1
	s_or_b32 exec_lo, exec_lo, s25
	v_lshrrev_b16 v6, 8, v6
	v_mov_b32_e32 v71, 0
	s_mov_b32 s25, exec_lo
	v_cmpx_ne_u16_e32 0, v6
	s_cbranch_execz .LBB302_3114
; %bb.3107:                             ;   in Loop: Header=BB302_2076 Depth=1
	v_bfrev_b32_e32 v71, 1
	s_mov_b32 s26, exec_lo
	v_cmpx_ne_u16_e32 0x80, v6
	s_cbranch_execz .LBB302_3113
; %bb.3108:                             ;   in Loop: Header=BB302_2076 Depth=1
	v_and_b32_sdwa v73, v6, v87 dst_sel:DWORD dst_unused:UNUSED_PAD src0_sel:WORD_0 src1_sel:DWORD
	v_mov_b32_e32 v71, 0x7c010000
	s_mov_b32 s27, exec_lo
	v_cmpx_ne_u32_e32 0x7f, v73
	s_cbranch_execz .LBB302_3112
; %bb.3109:                             ;   in Loop: Header=BB302_2076 Depth=1
	v_and_b32_sdwa v71, v6, v96 dst_sel:DWORD dst_unused:UNUSED_PAD src0_sel:WORD_0 src1_sel:DWORD
	v_lshrrev_b32_e32 v72, 3, v73
	s_mov_b32 s28, exec_lo
	v_cmpx_gt_u32_e32 8, v73
; %bb.3110:                             ;   in Loop: Header=BB302_2076 Depth=1
	v_ffbh_u32_e32 v71, v71
	v_min_u32_e32 v73, 32, v71
	v_subrev_nc_u32_e32 v71, 28, v73
	v_lshlrev_b64 v[71:72], v71, v[6:7]
	v_sub_nc_u32_e32 v72, 29, v73
	v_and_b32_e32 v71, 7, v71
; %bb.3111:                             ;   in Loop: Header=BB302_2076 Depth=1
	s_or_b32 exec_lo, exec_lo, s28
	v_lshlrev_b32_sdwa v6, v97, v6 dst_sel:DWORD dst_unused:UNUSED_PAD src0_sel:DWORD src1_sel:WORD_0
	v_lshl_add_u32 v72, v72, 10, 0x2000
	v_lshlrev_b32_e32 v71, 23, v71
	v_and_or_b32 v6, 0x8000, v6, v72
	v_lshl_or_b32 v71, v6, 16, v71
.LBB302_3112:                           ;   in Loop: Header=BB302_2076 Depth=1
	s_or_b32 exec_lo, exec_lo, s27
.LBB302_3113:                           ;   in Loop: Header=BB302_2076 Depth=1
	s_or_b32 exec_lo, exec_lo, s26
.LBB302_3114:                           ;   in Loop: Header=BB302_2076 Depth=1
	s_or_b32 exec_lo, exec_lo, s25
	v_lshrrev_b32_e32 v6, 16, v13
	v_cmp_ne_u16_sdwa s12, v6, v7 src0_sel:BYTE_0 src1_sel:DWORD
	s_and_saveexec_b32 s25, s12
	s_cbranch_execz .LBB302_3122
; %bb.3115:                             ;   in Loop: Header=BB302_2076 Depth=1
	v_cmp_ne_u16_sdwa s12, v6, v86 src0_sel:BYTE_0 src1_sel:DWORD
	v_mov_b32_e32 v31, 0x8000
	s_and_saveexec_b32 s26, s12
	s_cbranch_execz .LBB302_3121
; %bb.3116:                             ;   in Loop: Header=BB302_2076 Depth=1
	v_bfe_u32 v73, v13, 16, 7
	v_mov_b32_e32 v31, 0x7c01
	s_mov_b32 s27, exec_lo
	v_cmpx_ne_u32_e32 0x7f, v73
	s_cbranch_execz .LBB302_3120
; %bb.3117:                             ;   in Loop: Header=BB302_2076 Depth=1
	v_and_b32_e32 v31, 7, v6
	v_lshrrev_b32_e32 v72, 3, v73
	s_mov_b32 s28, exec_lo
	v_cmpx_gt_u32_e32 8, v73
; %bb.3118:                             ;   in Loop: Header=BB302_2076 Depth=1
	v_ffbh_u32_e32 v31, v31
	v_min_u32_e32 v31, 32, v31
	v_subrev_nc_u32_e32 v72, 28, v31
	v_lshlrev_b64 v[73:74], v72, v[6:7]
	v_sub_nc_u32_e32 v72, 29, v31
	v_and_b32_e32 v31, 7, v73
; %bb.3119:                             ;   in Loop: Header=BB302_2076 Depth=1
	s_or_b32 exec_lo, exec_lo, s28
	v_lshlrev_b32_e32 v6, 8, v6
	v_lshl_add_u32 v72, v72, 10, 0x2000
	v_lshlrev_b32_e32 v31, 7, v31
	v_and_b32_e32 v6, 0x8000, v6
	v_and_b32_e32 v72, 0xfc00, v72
	v_or3_b32 v31, v6, v72, v31
.LBB302_3120:                           ;   in Loop: Header=BB302_2076 Depth=1
	s_or_b32 exec_lo, exec_lo, s27
.LBB302_3121:                           ;   in Loop: Header=BB302_2076 Depth=1
	s_or_b32 exec_lo, exec_lo, s26
.LBB302_3122:                           ;   in Loop: Header=BB302_2076 Depth=1
	s_or_b32 exec_lo, exec_lo, s25
	v_cmp_lt_u64_e64 s12, s[22:23], v[12:13]
	v_mov_b32_e32 v12, 0
	s_and_saveexec_b32 s25, s12
	s_cbranch_execz .LBB302_3130
; %bb.3123:                             ;   in Loop: Header=BB302_2076 Depth=1
	v_lshrrev_b32_e32 v6, 24, v13
	v_bfrev_b32_e32 v12, 1
	s_mov_b32 s26, exec_lo
	v_cmpx_ne_u32_e32 0x80, v6
	s_cbranch_execz .LBB302_3129
; %bb.3124:                             ;   in Loop: Header=BB302_2076 Depth=1
	v_and_b32_e32 v72, 0x7f, v6
	v_mov_b32_e32 v12, 0x7c010000
	s_mov_b32 s27, exec_lo
	v_cmpx_ne_u32_e32 0x7f, v72
	s_cbranch_execz .LBB302_3128
; %bb.3125:                             ;   in Loop: Header=BB302_2076 Depth=1
	v_and_b32_e32 v12, 7, v6
	v_lshrrev_b32_e32 v13, 3, v72
	s_mov_b32 s28, exec_lo
	v_cmpx_gt_u32_e32 8, v72
; %bb.3126:                             ;   in Loop: Header=BB302_2076 Depth=1
	v_ffbh_u32_e32 v12, v12
	v_min_u32_e32 v72, 32, v12
	v_subrev_nc_u32_e32 v12, 28, v72
	v_lshlrev_b64 v[12:13], v12, v[6:7]
	v_sub_nc_u32_e32 v13, 29, v72
	v_and_b32_e32 v12, 7, v12
; %bb.3127:                             ;   in Loop: Header=BB302_2076 Depth=1
	s_or_b32 exec_lo, exec_lo, s28
	v_lshlrev_b32_e32 v6, 8, v6
	v_lshl_add_u32 v13, v13, 10, 0x2000
	v_lshlrev_b32_e32 v12, 23, v12
	v_and_or_b32 v6, 0x8000, v6, v13
	v_lshl_or_b32 v12, v6, 16, v12
.LBB302_3128:                           ;   in Loop: Header=BB302_2076 Depth=1
	s_or_b32 exec_lo, exec_lo, s27
.LBB302_3129:                           ;   in Loop: Header=BB302_2076 Depth=1
	s_or_b32 exec_lo, exec_lo, s26
.LBB302_3130:                           ;   in Loop: Header=BB302_2076 Depth=1
	s_or_b32 exec_lo, exec_lo, s25
	v_or_b32_e32 v6, v29, v30
	s_waitcnt vmcnt(0) lgkmcnt(0)
	v_fma_mixlo_f16 v13, v14, v29, 0 op_sel:[0,1,0] op_sel_hi:[0,1,0]
	v_or_b32_e32 v18, v15, v18
	v_or_b32_e32 v29, v71, v66
	;; [unrolled: 1-line block ×3, first 2 shown]
	v_fma_mixlo_f16 v30, v14, v6, 0 op_sel_hi:[0,1,0]
	v_fma_mixlo_f16 v15, v14, v15, 0 op_sel:[0,1,0] op_sel_hi:[0,1,0]
	v_lshlrev_b32_e32 v6, 16, v13
	v_fma_mixlo_f16 v18, v14, v18, 0 op_sel_hi:[0,1,0]
	v_fma_mixlo_f16 v29, v14, v29, 0 op_sel_hi:[0,1,0]
	v_and_b32_e32 v13, 0xffff, v30
	v_fma_mixlo_f16 v30, v14, v71, 0 op_sel:[0,1,0] op_sel_hi:[0,1,0]
	v_fma_mixlo_f16 v12, v14, v12, 0 op_sel:[0,1,0] op_sel_hi:[0,1,0]
	v_fma_mixlo_f16 v14, v14, v31, 0 op_sel_hi:[0,1,0]
	v_lshlrev_b32_e32 v15, 16, v15
	v_and_b32_e32 v72, 0xffff, v18
	v_lshlrev_b32_e32 v31, 16, v30
	v_and_b32_e32 v71, 0xffff, v29
	;; [unrolled: 2-line block ×3, first 2 shown]
	v_or_b32_e32 v12, v6, v13
	v_or_b32_e32 v29, v15, v72
	;; [unrolled: 1-line block ×4, first 2 shown]
	s_and_saveexec_b32 s12, s7
	s_cbranch_execz .LBB302_3132
; %bb.3131:                             ;   in Loop: Header=BB302_2076 Depth=1
	v_cndmask_b32_e32 v12, 0, v72, vcc_lo
	v_cndmask_b32_e64 v14, 0, v15, s5
	v_cndmask_b32_e64 v13, 0, v13, s4
	;; [unrolled: 1-line block ×7, first 2 shown]
	v_or_b32_e32 v29, v12, v14
	v_or_b32_e32 v12, v13, v6
	;; [unrolled: 1-line block ×4, first 2 shown]
.LBB302_3132:                           ;   in Loop: Header=BB302_2076 Depth=1
	s_or_b32 exec_lo, exec_lo, s12
	;;#ASMSTART
	v_pk_mul_f16 v6, v102, v29;

	;;#ASMEND
	;;#ASMSTART
	v_pk_mul_f16 v12, v101, v12;

	;;#ASMEND
	;; [unrolled: 4-line block ×4, first 2 shown]
	;;#ASMSTART
	v_pk_add_f16 v6, v6, v12;

	;;#ASMEND
	v_add_co_u32 v12, s12, 0x1000, v10
	;;#ASMSTART
	v_pk_add_f16 v6, v6, v13;

	;;#ASMEND
	v_add_co_ci_u32_e64 v13, null, 0, v11, s12
	;;#ASMSTART
	v_pk_add_f16 v6, v6, v14;

	;;#ASMEND
	v_lshrrev_b32_e32 v14, 16, v6
	v_and_b32_e32 v6, 0xffff, v6
	;;#ASMSTART
	v_cvt_f32_f16 v18, v6;
	;;#ASMEND
	;;#ASMSTART
	v_cvt_f32_f16 v29, v14;
	;;#ASMEND
	flat_load_dwordx2 v[14:15], v[12:13]
	s_clause 0x1
	buffer_load_dword v30, off, s[0:3], s32 offset:192
	buffer_load_dword v31, off, s[0:3], s32 offset:196
	v_mov_b32_e32 v66, 0
	s_waitcnt vmcnt(2) lgkmcnt(0)
	v_cmp_ne_u16_sdwa s12, v14, v7 src0_sel:BYTE_0 src1_sel:DWORD
	s_waitcnt vmcnt(0)
	flat_load_dword v30, v[30:31]
	v_mov_b32_e32 v31, 0
	s_and_saveexec_b32 s25, s12
	s_cbranch_execz .LBB302_3140
; %bb.3133:                             ;   in Loop: Header=BB302_2076 Depth=1
	v_cmp_ne_u16_sdwa s12, v14, v86 src0_sel:BYTE_0 src1_sel:DWORD
	v_mov_b32_e32 v66, 0x8000
	s_and_saveexec_b32 s26, s12
	s_cbranch_execz .LBB302_3139
; %bb.3134:                             ;   in Loop: Header=BB302_2076 Depth=1
	v_and_b32_e32 v71, 0x7f, v14
	v_mov_b32_e32 v66, 0x7c01
	s_mov_b32 s27, exec_lo
	v_cmpx_ne_u32_e32 0x7f, v71
	s_cbranch_execz .LBB302_3138
; %bb.3135:                             ;   in Loop: Header=BB302_2076 Depth=1
	v_and_b32_e32 v6, 7, v14
	v_lshrrev_b32_e32 v66, 3, v71
	s_mov_b32 s28, exec_lo
	v_cmpx_gt_u32_e32 8, v71
; %bb.3136:                             ;   in Loop: Header=BB302_2076 Depth=1
	v_ffbh_u32_e32 v6, v6
	v_min_u32_e32 v6, 32, v6
	v_subrev_nc_u32_e32 v66, 28, v6
	v_lshlrev_b64 v[71:72], v66, v[14:15]
	v_sub_nc_u32_e32 v66, 29, v6
	v_and_b32_e32 v6, 7, v71
; %bb.3137:                             ;   in Loop: Header=BB302_2076 Depth=1
	s_or_b32 exec_lo, exec_lo, s28
	v_lshlrev_b32_e32 v71, 8, v14
	v_lshl_add_u32 v66, v66, 10, 0x2000
	v_lshlrev_b32_e32 v6, 7, v6
	v_and_b32_e32 v71, 0x8000, v71
	v_and_b32_e32 v66, 0xfc00, v66
	v_or3_b32 v66, v71, v66, v6
.LBB302_3138:                           ;   in Loop: Header=BB302_2076 Depth=1
	s_or_b32 exec_lo, exec_lo, s27
.LBB302_3139:                           ;   in Loop: Header=BB302_2076 Depth=1
	s_or_b32 exec_lo, exec_lo, s26
.LBB302_3140:                           ;   in Loop: Header=BB302_2076 Depth=1
	s_or_b32 exec_lo, exec_lo, s25
	v_lshrrev_b16 v6, 8, v14
	s_mov_b32 s25, exec_lo
	v_cmpx_ne_u16_e32 0, v6
	s_cbranch_execz .LBB302_3148
; %bb.3141:                             ;   in Loop: Header=BB302_2076 Depth=1
	v_bfrev_b32_e32 v31, 1
	s_mov_b32 s26, exec_lo
	v_cmpx_ne_u16_e32 0x80, v6
	s_cbranch_execz .LBB302_3147
; %bb.3142:                             ;   in Loop: Header=BB302_2076 Depth=1
	v_and_b32_sdwa v72, v6, v87 dst_sel:DWORD dst_unused:UNUSED_PAD src0_sel:WORD_0 src1_sel:DWORD
	v_mov_b32_e32 v31, 0x7c010000
	s_mov_b32 s27, exec_lo
	v_cmpx_ne_u32_e32 0x7f, v72
	s_cbranch_execz .LBB302_3146
; %bb.3143:                             ;   in Loop: Header=BB302_2076 Depth=1
	v_and_b32_sdwa v31, v6, v96 dst_sel:DWORD dst_unused:UNUSED_PAD src0_sel:WORD_0 src1_sel:DWORD
	v_lshrrev_b32_e32 v71, 3, v72
	s_mov_b32 s28, exec_lo
	v_cmpx_gt_u32_e32 8, v72
; %bb.3144:                             ;   in Loop: Header=BB302_2076 Depth=1
	v_ffbh_u32_e32 v31, v31
	v_min_u32_e32 v31, 32, v31
	v_subrev_nc_u32_e32 v71, 28, v31
	v_lshlrev_b64 v[72:73], v71, v[6:7]
	v_sub_nc_u32_e32 v71, 29, v31
	v_and_b32_e32 v31, 7, v72
; %bb.3145:                             ;   in Loop: Header=BB302_2076 Depth=1
	s_or_b32 exec_lo, exec_lo, s28
	v_lshlrev_b32_sdwa v6, v97, v6 dst_sel:DWORD dst_unused:UNUSED_PAD src0_sel:DWORD src1_sel:WORD_0
	v_lshl_add_u32 v71, v71, 10, 0x2000
	v_lshlrev_b32_e32 v31, 23, v31
	v_and_or_b32 v6, 0x8000, v6, v71
	v_lshl_or_b32 v31, v6, 16, v31
.LBB302_3146:                           ;   in Loop: Header=BB302_2076 Depth=1
	s_or_b32 exec_lo, exec_lo, s27
.LBB302_3147:                           ;   in Loop: Header=BB302_2076 Depth=1
	s_or_b32 exec_lo, exec_lo, s26
.LBB302_3148:                           ;   in Loop: Header=BB302_2076 Depth=1
	s_or_b32 exec_lo, exec_lo, s25
	v_lshrrev_b32_e32 v6, 16, v14
	v_mov_b32_e32 v73, 0
	v_mov_b32_e32 v74, 0
	v_cmp_ne_u16_sdwa s12, v6, v7 src0_sel:BYTE_0 src1_sel:DWORD
	s_and_saveexec_b32 s25, s12
	s_cbranch_execz .LBB302_3156
; %bb.3149:                             ;   in Loop: Header=BB302_2076 Depth=1
	v_cmp_ne_u16_sdwa s12, v6, v86 src0_sel:BYTE_0 src1_sel:DWORD
	v_mov_b32_e32 v74, 0x8000
	s_and_saveexec_b32 s26, s12
	s_cbranch_execz .LBB302_3155
; %bb.3150:                             ;   in Loop: Header=BB302_2076 Depth=1
	v_bfe_u32 v75, v14, 16, 7
	v_mov_b32_e32 v74, 0x7c01
	s_mov_b32 s27, exec_lo
	v_cmpx_ne_u32_e32 0x7f, v75
	s_cbranch_execz .LBB302_3154
; %bb.3151:                             ;   in Loop: Header=BB302_2076 Depth=1
	v_and_b32_e32 v71, 7, v6
	v_lshrrev_b32_e32 v72, 3, v75
	s_mov_b32 s28, exec_lo
	v_cmpx_gt_u32_e32 8, v75
; %bb.3152:                             ;   in Loop: Header=BB302_2076 Depth=1
	v_ffbh_u32_e32 v71, v71
	v_min_u32_e32 v74, 32, v71
	v_subrev_nc_u32_e32 v71, 28, v74
	v_lshlrev_b64 v[71:72], v71, v[6:7]
	v_sub_nc_u32_e32 v72, 29, v74
	v_and_b32_e32 v71, 7, v71
; %bb.3153:                             ;   in Loop: Header=BB302_2076 Depth=1
	s_or_b32 exec_lo, exec_lo, s28
	v_lshlrev_b32_e32 v6, 8, v6
	v_lshl_add_u32 v72, v72, 10, 0x2000
	v_lshlrev_b32_e32 v71, 7, v71
	v_and_b32_e32 v6, 0x8000, v6
	v_and_b32_e32 v72, 0xfc00, v72
	v_or3_b32 v74, v6, v72, v71
.LBB302_3154:                           ;   in Loop: Header=BB302_2076 Depth=1
	s_or_b32 exec_lo, exec_lo, s27
.LBB302_3155:                           ;   in Loop: Header=BB302_2076 Depth=1
	s_or_b32 exec_lo, exec_lo, s26
.LBB302_3156:                           ;   in Loop: Header=BB302_2076 Depth=1
	s_or_b32 exec_lo, exec_lo, s25
	s_mov_b32 s25, exec_lo
	v_cmpx_lt_u32_e32 0xffffff, v14
	s_cbranch_execz .LBB302_3164
; %bb.3157:                             ;   in Loop: Header=BB302_2076 Depth=1
	v_lshrrev_b32_e32 v6, 24, v14
	v_bfrev_b32_e32 v73, 1
	s_mov_b32 s26, exec_lo
	v_cmpx_ne_u32_e32 0x80, v6
	s_cbranch_execz .LBB302_3163
; %bb.3158:                             ;   in Loop: Header=BB302_2076 Depth=1
	v_and_b32_e32 v75, 0x7f, v6
	v_mov_b32_e32 v73, 0x7c010000
	s_mov_b32 s27, exec_lo
	v_cmpx_ne_u32_e32 0x7f, v75
	s_cbranch_execz .LBB302_3162
; %bb.3159:                             ;   in Loop: Header=BB302_2076 Depth=1
	v_and_b32_e32 v71, 7, v6
	v_lshrrev_b32_e32 v72, 3, v75
	s_mov_b32 s28, exec_lo
	v_cmpx_gt_u32_e32 8, v75
; %bb.3160:                             ;   in Loop: Header=BB302_2076 Depth=1
	v_ffbh_u32_e32 v71, v71
	v_min_u32_e32 v73, 32, v71
	v_subrev_nc_u32_e32 v71, 28, v73
	v_lshlrev_b64 v[71:72], v71, v[6:7]
	v_sub_nc_u32_e32 v72, 29, v73
	v_and_b32_e32 v71, 7, v71
; %bb.3161:                             ;   in Loop: Header=BB302_2076 Depth=1
	s_or_b32 exec_lo, exec_lo, s28
	v_lshlrev_b32_e32 v6, 8, v6
	v_lshl_add_u32 v72, v72, 10, 0x2000
	v_lshlrev_b32_e32 v71, 23, v71
	v_and_or_b32 v6, 0x8000, v6, v72
	v_lshl_or_b32 v73, v6, 16, v71
.LBB302_3162:                           ;   in Loop: Header=BB302_2076 Depth=1
	s_or_b32 exec_lo, exec_lo, s27
.LBB302_3163:                           ;   in Loop: Header=BB302_2076 Depth=1
	s_or_b32 exec_lo, exec_lo, s26
.LBB302_3164:                           ;   in Loop: Header=BB302_2076 Depth=1
	s_or_b32 exec_lo, exec_lo, s25
	v_mov_b32_e32 v6, v15
	v_cmp_ne_u16_sdwa s12, v15, v7 src0_sel:BYTE_0 src1_sel:DWORD
	v_mov_b32_e32 v71, 0
	v_mov_b32_e32 v72, 0
	s_and_saveexec_b32 s25, s12
	s_cbranch_execz .LBB302_3172
; %bb.3165:                             ;   in Loop: Header=BB302_2076 Depth=1
	v_cmp_ne_u16_sdwa s12, v15, v86 src0_sel:BYTE_0 src1_sel:DWORD
	v_mov_b32_e32 v72, 0x8000
	s_and_saveexec_b32 s26, s12
	s_cbranch_execz .LBB302_3171
; %bb.3166:                             ;   in Loop: Header=BB302_2076 Depth=1
	v_and_b32_e32 v76, 0x7f, v15
	v_mov_b32_e32 v72, 0x7c01
	s_mov_b32 s27, exec_lo
	v_cmpx_ne_u32_e32 0x7f, v76
	s_cbranch_execz .LBB302_3170
; %bb.3167:                             ;   in Loop: Header=BB302_2076 Depth=1
	v_and_b32_e32 v72, 7, v15
	v_lshrrev_b32_e32 v75, 3, v76
	s_mov_b32 s28, exec_lo
	v_cmpx_gt_u32_e32 8, v76
; %bb.3168:                             ;   in Loop: Header=BB302_2076 Depth=1
	v_ffbh_u32_e32 v72, v72
	v_min_u32_e32 v72, 32, v72
	v_subrev_nc_u32_e32 v75, 28, v72
	v_lshlrev_b64 v[76:77], v75, v[6:7]
	v_sub_nc_u32_e32 v75, 29, v72
	v_and_b32_e32 v72, 7, v76
; %bb.3169:                             ;   in Loop: Header=BB302_2076 Depth=1
	s_or_b32 exec_lo, exec_lo, s28
	v_lshlrev_b32_e32 v76, 8, v15
	v_lshl_add_u32 v75, v75, 10, 0x2000
	v_lshlrev_b32_e32 v72, 7, v72
	v_and_b32_e32 v76, 0x8000, v76
	v_and_b32_e32 v75, 0xfc00, v75
	v_or3_b32 v72, v76, v75, v72
.LBB302_3170:                           ;   in Loop: Header=BB302_2076 Depth=1
	s_or_b32 exec_lo, exec_lo, s27
.LBB302_3171:                           ;   in Loop: Header=BB302_2076 Depth=1
	s_or_b32 exec_lo, exec_lo, s26
.LBB302_3172:                           ;   in Loop: Header=BB302_2076 Depth=1
	s_or_b32 exec_lo, exec_lo, s25
	v_lshrrev_b16 v6, 8, v6
	v_mov_b32_e32 v75, 0
	s_mov_b32 s25, exec_lo
	v_cmpx_ne_u16_e32 0, v6
	s_cbranch_execz .LBB302_3180
; %bb.3173:                             ;   in Loop: Header=BB302_2076 Depth=1
	v_bfrev_b32_e32 v75, 1
	s_mov_b32 s26, exec_lo
	v_cmpx_ne_u16_e32 0x80, v6
	s_cbranch_execz .LBB302_3179
; %bb.3174:                             ;   in Loop: Header=BB302_2076 Depth=1
	v_and_b32_sdwa v77, v6, v87 dst_sel:DWORD dst_unused:UNUSED_PAD src0_sel:WORD_0 src1_sel:DWORD
	v_mov_b32_e32 v75, 0x7c010000
	s_mov_b32 s27, exec_lo
	v_cmpx_ne_u32_e32 0x7f, v77
	s_cbranch_execz .LBB302_3178
; %bb.3175:                             ;   in Loop: Header=BB302_2076 Depth=1
	v_and_b32_sdwa v75, v6, v96 dst_sel:DWORD dst_unused:UNUSED_PAD src0_sel:WORD_0 src1_sel:DWORD
	v_lshrrev_b32_e32 v76, 3, v77
	s_mov_b32 s28, exec_lo
	v_cmpx_gt_u32_e32 8, v77
; %bb.3176:                             ;   in Loop: Header=BB302_2076 Depth=1
	v_ffbh_u32_e32 v75, v75
	v_min_u32_e32 v77, 32, v75
	v_subrev_nc_u32_e32 v75, 28, v77
	v_lshlrev_b64 v[75:76], v75, v[6:7]
	v_sub_nc_u32_e32 v76, 29, v77
	v_and_b32_e32 v75, 7, v75
; %bb.3177:                             ;   in Loop: Header=BB302_2076 Depth=1
	s_or_b32 exec_lo, exec_lo, s28
	v_lshlrev_b32_sdwa v6, v97, v6 dst_sel:DWORD dst_unused:UNUSED_PAD src0_sel:DWORD src1_sel:WORD_0
	v_lshl_add_u32 v76, v76, 10, 0x2000
	v_lshlrev_b32_e32 v75, 23, v75
	v_and_or_b32 v6, 0x8000, v6, v76
	v_lshl_or_b32 v75, v6, 16, v75
.LBB302_3178:                           ;   in Loop: Header=BB302_2076 Depth=1
	s_or_b32 exec_lo, exec_lo, s27
.LBB302_3179:                           ;   in Loop: Header=BB302_2076 Depth=1
	s_or_b32 exec_lo, exec_lo, s26
.LBB302_3180:                           ;   in Loop: Header=BB302_2076 Depth=1
	s_or_b32 exec_lo, exec_lo, s25
	v_lshrrev_b32_e32 v6, 16, v15
	v_cmp_ne_u16_sdwa s12, v6, v7 src0_sel:BYTE_0 src1_sel:DWORD
	s_and_saveexec_b32 s25, s12
	s_cbranch_execz .LBB302_3188
; %bb.3181:                             ;   in Loop: Header=BB302_2076 Depth=1
	v_cmp_ne_u16_sdwa s12, v6, v86 src0_sel:BYTE_0 src1_sel:DWORD
	v_mov_b32_e32 v71, 0x8000
	s_and_saveexec_b32 s26, s12
	s_cbranch_execz .LBB302_3187
; %bb.3182:                             ;   in Loop: Header=BB302_2076 Depth=1
	v_bfe_u32 v77, v15, 16, 7
	v_mov_b32_e32 v71, 0x7c01
	s_mov_b32 s27, exec_lo
	v_cmpx_ne_u32_e32 0x7f, v77
	s_cbranch_execz .LBB302_3186
; %bb.3183:                             ;   in Loop: Header=BB302_2076 Depth=1
	v_and_b32_e32 v71, 7, v6
	v_lshrrev_b32_e32 v76, 3, v77
	s_mov_b32 s28, exec_lo
	v_cmpx_gt_u32_e32 8, v77
; %bb.3184:                             ;   in Loop: Header=BB302_2076 Depth=1
	v_ffbh_u32_e32 v71, v71
	v_min_u32_e32 v71, 32, v71
	v_subrev_nc_u32_e32 v76, 28, v71
	v_lshlrev_b64 v[77:78], v76, v[6:7]
	v_sub_nc_u32_e32 v76, 29, v71
	v_and_b32_e32 v71, 7, v77
; %bb.3185:                             ;   in Loop: Header=BB302_2076 Depth=1
	s_or_b32 exec_lo, exec_lo, s28
	v_lshlrev_b32_e32 v6, 8, v6
	v_lshl_add_u32 v76, v76, 10, 0x2000
	v_lshlrev_b32_e32 v71, 7, v71
	v_and_b32_e32 v6, 0x8000, v6
	v_and_b32_e32 v76, 0xfc00, v76
	v_or3_b32 v71, v6, v76, v71
.LBB302_3186:                           ;   in Loop: Header=BB302_2076 Depth=1
	s_or_b32 exec_lo, exec_lo, s27
.LBB302_3187:                           ;   in Loop: Header=BB302_2076 Depth=1
	s_or_b32 exec_lo, exec_lo, s26
.LBB302_3188:                           ;   in Loop: Header=BB302_2076 Depth=1
	s_or_b32 exec_lo, exec_lo, s25
	v_cmp_lt_u64_e64 s12, s[22:23], v[14:15]
	v_mov_b32_e32 v14, 0
	s_and_saveexec_b32 s25, s12
	s_cbranch_execz .LBB302_3196
; %bb.3189:                             ;   in Loop: Header=BB302_2076 Depth=1
	v_lshrrev_b32_e32 v6, 24, v15
	v_bfrev_b32_e32 v14, 1
	s_mov_b32 s26, exec_lo
	v_cmpx_ne_u32_e32 0x80, v6
	s_cbranch_execz .LBB302_3195
; %bb.3190:                             ;   in Loop: Header=BB302_2076 Depth=1
	v_and_b32_e32 v76, 0x7f, v6
	v_mov_b32_e32 v14, 0x7c010000
	s_mov_b32 s27, exec_lo
	v_cmpx_ne_u32_e32 0x7f, v76
	s_cbranch_execz .LBB302_3194
; %bb.3191:                             ;   in Loop: Header=BB302_2076 Depth=1
	v_and_b32_e32 v14, 7, v6
	v_lshrrev_b32_e32 v15, 3, v76
	s_mov_b32 s28, exec_lo
	v_cmpx_gt_u32_e32 8, v76
; %bb.3192:                             ;   in Loop: Header=BB302_2076 Depth=1
	v_ffbh_u32_e32 v14, v14
	v_min_u32_e32 v76, 32, v14
	v_subrev_nc_u32_e32 v14, 28, v76
	v_lshlrev_b64 v[14:15], v14, v[6:7]
	v_sub_nc_u32_e32 v15, 29, v76
	v_and_b32_e32 v14, 7, v14
; %bb.3193:                             ;   in Loop: Header=BB302_2076 Depth=1
	s_or_b32 exec_lo, exec_lo, s28
	v_lshlrev_b32_e32 v6, 8, v6
	v_lshl_add_u32 v15, v15, 10, 0x2000
	v_lshlrev_b32_e32 v14, 23, v14
	v_and_or_b32 v6, 0x8000, v6, v15
	v_lshl_or_b32 v14, v6, 16, v14
.LBB302_3194:                           ;   in Loop: Header=BB302_2076 Depth=1
	s_or_b32 exec_lo, exec_lo, s27
.LBB302_3195:                           ;   in Loop: Header=BB302_2076 Depth=1
	s_or_b32 exec_lo, exec_lo, s26
.LBB302_3196:                           ;   in Loop: Header=BB302_2076 Depth=1
	s_or_b32 exec_lo, exec_lo, s25
	v_or_b32_e32 v6, v73, v74
	s_waitcnt vmcnt(0) lgkmcnt(0)
	v_fma_mixlo_f16 v15, v30, v73, 0 op_sel:[0,1,0] op_sel_hi:[0,1,0]
	v_or_b32_e32 v66, v31, v66
	v_or_b32_e32 v72, v75, v72
	;; [unrolled: 1-line block ×3, first 2 shown]
	v_fma_mixlo_f16 v73, v30, v6, 0 op_sel_hi:[0,1,0]
	v_fma_mixlo_f16 v31, v30, v31, 0 op_sel:[0,1,0] op_sel_hi:[0,1,0]
	v_lshlrev_b32_e32 v6, 16, v15
	v_fma_mixlo_f16 v66, v30, v66, 0 op_sel_hi:[0,1,0]
	v_fma_mixlo_f16 v72, v30, v72, 0 op_sel_hi:[0,1,0]
	v_and_b32_e32 v15, 0xffff, v73
	v_fma_mixlo_f16 v73, v30, v75, 0 op_sel:[0,1,0] op_sel_hi:[0,1,0]
	v_fma_mixlo_f16 v14, v30, v14, 0 op_sel:[0,1,0] op_sel_hi:[0,1,0]
	v_fma_mixlo_f16 v30, v30, v71, 0 op_sel_hi:[0,1,0]
	v_lshlrev_b32_e32 v31, 16, v31
	v_and_b32_e32 v76, 0xffff, v66
	v_lshlrev_b32_e32 v73, 16, v73
	v_and_b32_e32 v75, 0xffff, v72
	;; [unrolled: 2-line block ×3, first 2 shown]
	v_or_b32_e32 v14, v6, v15
	v_or_b32_e32 v71, v31, v76
	;; [unrolled: 1-line block ×4, first 2 shown]
	s_and_saveexec_b32 s12, s7
	s_cbranch_execz .LBB302_3198
; %bb.3197:                             ;   in Loop: Header=BB302_2076 Depth=1
	v_cndmask_b32_e32 v14, 0, v76, vcc_lo
	v_cndmask_b32_e64 v30, 0, v31, s5
	v_cndmask_b32_e64 v15, 0, v15, s4
	;; [unrolled: 1-line block ×7, first 2 shown]
	v_or_b32_e32 v71, v14, v30
	v_or_b32_e32 v14, v15, v6
	;; [unrolled: 1-line block ×4, first 2 shown]
.LBB302_3198:                           ;   in Loop: Header=BB302_2076 Depth=1
	s_or_b32 exec_lo, exec_lo, s12
	;;#ASMSTART
	v_pk_mul_f16 v6, v102, v71;

	;;#ASMEND
	;;#ASMSTART
	v_pk_mul_f16 v14, v101, v14;

	;;#ASMEND
	;; [unrolled: 4-line block ×4, first 2 shown]
	;;#ASMSTART
	v_pk_add_f16 v6, v6, v14;

	;;#ASMEND
	;;#ASMSTART
	v_pk_add_f16 v6, v6, v15;

	;;#ASMEND
	;; [unrolled: 4-line block ×3, first 2 shown]
	v_and_b32_e32 v14, 0xffff, v6
	v_lshrrev_b32_e32 v6, 16, v6
	;;#ASMSTART
	v_cvt_f32_f16 v31, v14;
	;;#ASMEND
	;;#ASMSTART
	v_cvt_f32_f16 v73, v6;
	;;#ASMEND
	flat_load_dwordx2 v[14:15], v[12:13] offset:256
	s_clause 0x1
	buffer_load_dword v71, off, s[0:3], s32 offset:192
	buffer_load_dword v72, off, s[0:3], s32 offset:196
	v_mov_b32_e32 v66, 0
	v_mov_b32_e32 v74, 0
	s_waitcnt vmcnt(2) lgkmcnt(0)
	v_cmp_ne_u16_sdwa s12, v14, v7 src0_sel:BYTE_0 src1_sel:DWORD
	s_waitcnt vmcnt(0)
	flat_load_dword v30, v[71:72]
	s_and_saveexec_b32 s25, s12
	s_cbranch_execz .LBB302_3206
; %bb.3199:                             ;   in Loop: Header=BB302_2076 Depth=1
	v_cmp_ne_u16_sdwa s12, v14, v86 src0_sel:BYTE_0 src1_sel:DWORD
	v_mov_b32_e32 v74, 0x8000
	s_and_saveexec_b32 s26, s12
	s_cbranch_execz .LBB302_3205
; %bb.3200:                             ;   in Loop: Header=BB302_2076 Depth=1
	v_and_b32_e32 v72, 0x7f, v14
	v_mov_b32_e32 v74, 0x7c01
	s_mov_b32 s27, exec_lo
	v_cmpx_ne_u32_e32 0x7f, v72
	s_cbranch_execz .LBB302_3204
; %bb.3201:                             ;   in Loop: Header=BB302_2076 Depth=1
	v_and_b32_e32 v6, 7, v14
	v_lshrrev_b32_e32 v71, 3, v72
	s_mov_b32 s28, exec_lo
	v_cmpx_gt_u32_e32 8, v72
; %bb.3202:                             ;   in Loop: Header=BB302_2076 Depth=1
	v_ffbh_u32_e32 v6, v6
	v_min_u32_e32 v6, 32, v6
	v_subrev_nc_u32_e32 v71, 28, v6
	v_lshlrev_b64 v[74:75], v71, v[14:15]
	v_sub_nc_u32_e32 v71, 29, v6
	v_and_b32_e32 v6, 7, v74
; %bb.3203:                             ;   in Loop: Header=BB302_2076 Depth=1
	s_or_b32 exec_lo, exec_lo, s28
	v_lshlrev_b32_e32 v72, 8, v14
	v_lshl_add_u32 v71, v71, 10, 0x2000
	v_lshlrev_b32_e32 v6, 7, v6
	v_and_b32_e32 v72, 0x8000, v72
	v_and_b32_e32 v71, 0xfc00, v71
	v_or3_b32 v74, v72, v71, v6
.LBB302_3204:                           ;   in Loop: Header=BB302_2076 Depth=1
	s_or_b32 exec_lo, exec_lo, s27
.LBB302_3205:                           ;   in Loop: Header=BB302_2076 Depth=1
	s_or_b32 exec_lo, exec_lo, s26
.LBB302_3206:                           ;   in Loop: Header=BB302_2076 Depth=1
	s_or_b32 exec_lo, exec_lo, s25
	v_lshrrev_b16 v6, 8, v14
	s_mov_b32 s25, exec_lo
	v_cmpx_ne_u16_e32 0, v6
	s_cbranch_execz .LBB302_3214
; %bb.3207:                             ;   in Loop: Header=BB302_2076 Depth=1
	v_bfrev_b32_e32 v66, 1
	s_mov_b32 s26, exec_lo
	v_cmpx_ne_u16_e32 0x80, v6
	s_cbranch_execz .LBB302_3213
; %bb.3208:                             ;   in Loop: Header=BB302_2076 Depth=1
	v_and_b32_sdwa v72, v6, v87 dst_sel:DWORD dst_unused:UNUSED_PAD src0_sel:WORD_0 src1_sel:DWORD
	v_mov_b32_e32 v66, 0x7c010000
	s_mov_b32 s27, exec_lo
	v_cmpx_ne_u32_e32 0x7f, v72
	s_cbranch_execz .LBB302_3212
; %bb.3209:                             ;   in Loop: Header=BB302_2076 Depth=1
	v_and_b32_sdwa v66, v6, v96 dst_sel:DWORD dst_unused:UNUSED_PAD src0_sel:WORD_0 src1_sel:DWORD
	v_lshrrev_b32_e32 v71, 3, v72
	s_mov_b32 s28, exec_lo
	v_cmpx_gt_u32_e32 8, v72
; %bb.3210:                             ;   in Loop: Header=BB302_2076 Depth=1
	v_ffbh_u32_e32 v66, v66
	v_min_u32_e32 v66, 32, v66
	v_subrev_nc_u32_e32 v71, 28, v66
	v_lshlrev_b64 v[75:76], v71, v[6:7]
	v_sub_nc_u32_e32 v71, 29, v66
	v_and_b32_e32 v66, 7, v75
; %bb.3211:                             ;   in Loop: Header=BB302_2076 Depth=1
	s_or_b32 exec_lo, exec_lo, s28
	v_lshlrev_b32_sdwa v6, v97, v6 dst_sel:DWORD dst_unused:UNUSED_PAD src0_sel:DWORD src1_sel:WORD_0
	v_lshl_add_u32 v71, v71, 10, 0x2000
	v_lshlrev_b32_e32 v66, 23, v66
	v_and_or_b32 v6, 0x8000, v6, v71
	v_lshl_or_b32 v66, v6, 16, v66
.LBB302_3212:                           ;   in Loop: Header=BB302_2076 Depth=1
	s_or_b32 exec_lo, exec_lo, s27
.LBB302_3213:                           ;   in Loop: Header=BB302_2076 Depth=1
	s_or_b32 exec_lo, exec_lo, s26
.LBB302_3214:                           ;   in Loop: Header=BB302_2076 Depth=1
	s_or_b32 exec_lo, exec_lo, s25
	v_lshrrev_b32_e32 v6, 16, v14
	v_mov_b32_e32 v75, 0
	v_mov_b32_e32 v76, 0
	v_cmp_ne_u16_sdwa s12, v6, v7 src0_sel:BYTE_0 src1_sel:DWORD
	s_and_saveexec_b32 s25, s12
	s_cbranch_execz .LBB302_3222
; %bb.3215:                             ;   in Loop: Header=BB302_2076 Depth=1
	v_cmp_ne_u16_sdwa s12, v6, v86 src0_sel:BYTE_0 src1_sel:DWORD
	v_mov_b32_e32 v76, 0x8000
	s_and_saveexec_b32 s26, s12
	s_cbranch_execz .LBB302_3221
; %bb.3216:                             ;   in Loop: Header=BB302_2076 Depth=1
	v_bfe_u32 v77, v14, 16, 7
	v_mov_b32_e32 v76, 0x7c01
	s_mov_b32 s27, exec_lo
	v_cmpx_ne_u32_e32 0x7f, v77
	s_cbranch_execz .LBB302_3220
; %bb.3217:                             ;   in Loop: Header=BB302_2076 Depth=1
	v_and_b32_e32 v71, 7, v6
	v_lshrrev_b32_e32 v72, 3, v77
	s_mov_b32 s28, exec_lo
	v_cmpx_gt_u32_e32 8, v77
; %bb.3218:                             ;   in Loop: Header=BB302_2076 Depth=1
	v_ffbh_u32_e32 v71, v71
	v_min_u32_e32 v76, 32, v71
	v_subrev_nc_u32_e32 v71, 28, v76
	v_lshlrev_b64 v[71:72], v71, v[6:7]
	v_sub_nc_u32_e32 v72, 29, v76
	v_and_b32_e32 v71, 7, v71
; %bb.3219:                             ;   in Loop: Header=BB302_2076 Depth=1
	s_or_b32 exec_lo, exec_lo, s28
	v_lshlrev_b32_e32 v6, 8, v6
	v_lshl_add_u32 v72, v72, 10, 0x2000
	v_lshlrev_b32_e32 v71, 7, v71
	v_and_b32_e32 v6, 0x8000, v6
	v_and_b32_e32 v72, 0xfc00, v72
	v_or3_b32 v76, v6, v72, v71
.LBB302_3220:                           ;   in Loop: Header=BB302_2076 Depth=1
	s_or_b32 exec_lo, exec_lo, s27
.LBB302_3221:                           ;   in Loop: Header=BB302_2076 Depth=1
	s_or_b32 exec_lo, exec_lo, s26
.LBB302_3222:                           ;   in Loop: Header=BB302_2076 Depth=1
	s_or_b32 exec_lo, exec_lo, s25
	s_mov_b32 s25, exec_lo
	v_cmpx_lt_u32_e32 0xffffff, v14
	s_cbranch_execz .LBB302_3230
; %bb.3223:                             ;   in Loop: Header=BB302_2076 Depth=1
	v_lshrrev_b32_e32 v6, 24, v14
	v_bfrev_b32_e32 v75, 1
	s_mov_b32 s26, exec_lo
	v_cmpx_ne_u32_e32 0x80, v6
	s_cbranch_execz .LBB302_3229
; %bb.3224:                             ;   in Loop: Header=BB302_2076 Depth=1
	v_and_b32_e32 v77, 0x7f, v6
	v_mov_b32_e32 v75, 0x7c010000
	s_mov_b32 s27, exec_lo
	v_cmpx_ne_u32_e32 0x7f, v77
	s_cbranch_execz .LBB302_3228
; %bb.3225:                             ;   in Loop: Header=BB302_2076 Depth=1
	v_and_b32_e32 v71, 7, v6
	v_lshrrev_b32_e32 v72, 3, v77
	s_mov_b32 s28, exec_lo
	v_cmpx_gt_u32_e32 8, v77
; %bb.3226:                             ;   in Loop: Header=BB302_2076 Depth=1
	v_ffbh_u32_e32 v71, v71
	v_min_u32_e32 v75, 32, v71
	v_subrev_nc_u32_e32 v71, 28, v75
	v_lshlrev_b64 v[71:72], v71, v[6:7]
	v_sub_nc_u32_e32 v72, 29, v75
	v_and_b32_e32 v71, 7, v71
; %bb.3227:                             ;   in Loop: Header=BB302_2076 Depth=1
	s_or_b32 exec_lo, exec_lo, s28
	v_lshlrev_b32_e32 v6, 8, v6
	v_lshl_add_u32 v72, v72, 10, 0x2000
	v_lshlrev_b32_e32 v71, 23, v71
	v_and_or_b32 v6, 0x8000, v6, v72
	v_lshl_or_b32 v75, v6, 16, v71
.LBB302_3228:                           ;   in Loop: Header=BB302_2076 Depth=1
	s_or_b32 exec_lo, exec_lo, s27
.LBB302_3229:                           ;   in Loop: Header=BB302_2076 Depth=1
	s_or_b32 exec_lo, exec_lo, s26
.LBB302_3230:                           ;   in Loop: Header=BB302_2076 Depth=1
	s_or_b32 exec_lo, exec_lo, s25
	v_mov_b32_e32 v6, v15
	v_cmp_ne_u16_sdwa s12, v15, v7 src0_sel:BYTE_0 src1_sel:DWORD
	v_mov_b32_e32 v71, 0
	v_mov_b32_e32 v72, 0
	s_and_saveexec_b32 s25, s12
	s_cbranch_execz .LBB302_3238
; %bb.3231:                             ;   in Loop: Header=BB302_2076 Depth=1
	v_cmp_ne_u16_sdwa s12, v15, v86 src0_sel:BYTE_0 src1_sel:DWORD
	v_mov_b32_e32 v72, 0x8000
	s_and_saveexec_b32 s26, s12
	s_cbranch_execz .LBB302_3237
; %bb.3232:                             ;   in Loop: Header=BB302_2076 Depth=1
	v_and_b32_e32 v78, 0x7f, v15
	v_mov_b32_e32 v72, 0x7c01
	s_mov_b32 s27, exec_lo
	v_cmpx_ne_u32_e32 0x7f, v78
	s_cbranch_execz .LBB302_3236
; %bb.3233:                             ;   in Loop: Header=BB302_2076 Depth=1
	v_and_b32_e32 v72, 7, v15
	v_lshrrev_b32_e32 v77, 3, v78
	s_mov_b32 s28, exec_lo
	v_cmpx_gt_u32_e32 8, v78
; %bb.3234:                             ;   in Loop: Header=BB302_2076 Depth=1
	v_ffbh_u32_e32 v72, v72
	v_min_u32_e32 v72, 32, v72
	v_subrev_nc_u32_e32 v77, 28, v72
	v_lshlrev_b64 v[78:79], v77, v[6:7]
	v_sub_nc_u32_e32 v77, 29, v72
	v_and_b32_e32 v72, 7, v78
; %bb.3235:                             ;   in Loop: Header=BB302_2076 Depth=1
	s_or_b32 exec_lo, exec_lo, s28
	v_lshlrev_b32_e32 v78, 8, v15
	v_lshl_add_u32 v77, v77, 10, 0x2000
	v_lshlrev_b32_e32 v72, 7, v72
	v_and_b32_e32 v78, 0x8000, v78
	v_and_b32_e32 v77, 0xfc00, v77
	v_or3_b32 v72, v78, v77, v72
.LBB302_3236:                           ;   in Loop: Header=BB302_2076 Depth=1
	s_or_b32 exec_lo, exec_lo, s27
.LBB302_3237:                           ;   in Loop: Header=BB302_2076 Depth=1
	s_or_b32 exec_lo, exec_lo, s26
.LBB302_3238:                           ;   in Loop: Header=BB302_2076 Depth=1
	s_or_b32 exec_lo, exec_lo, s25
	v_lshrrev_b16 v6, 8, v6
	v_mov_b32_e32 v77, 0
	s_mov_b32 s25, exec_lo
	v_cmpx_ne_u16_e32 0, v6
	s_cbranch_execz .LBB302_3246
; %bb.3239:                             ;   in Loop: Header=BB302_2076 Depth=1
	v_bfrev_b32_e32 v77, 1
	s_mov_b32 s26, exec_lo
	v_cmpx_ne_u16_e32 0x80, v6
	s_cbranch_execz .LBB302_3245
; %bb.3240:                             ;   in Loop: Header=BB302_2076 Depth=1
	v_and_b32_sdwa v79, v6, v87 dst_sel:DWORD dst_unused:UNUSED_PAD src0_sel:WORD_0 src1_sel:DWORD
	v_mov_b32_e32 v77, 0x7c010000
	s_mov_b32 s27, exec_lo
	v_cmpx_ne_u32_e32 0x7f, v79
	s_cbranch_execz .LBB302_3244
; %bb.3241:                             ;   in Loop: Header=BB302_2076 Depth=1
	v_and_b32_sdwa v77, v6, v96 dst_sel:DWORD dst_unused:UNUSED_PAD src0_sel:WORD_0 src1_sel:DWORD
	v_lshrrev_b32_e32 v78, 3, v79
	s_mov_b32 s28, exec_lo
	v_cmpx_gt_u32_e32 8, v79
; %bb.3242:                             ;   in Loop: Header=BB302_2076 Depth=1
	v_ffbh_u32_e32 v77, v77
	v_min_u32_e32 v79, 32, v77
	v_subrev_nc_u32_e32 v77, 28, v79
	v_lshlrev_b64 v[77:78], v77, v[6:7]
	v_sub_nc_u32_e32 v78, 29, v79
	v_and_b32_e32 v77, 7, v77
; %bb.3243:                             ;   in Loop: Header=BB302_2076 Depth=1
	s_or_b32 exec_lo, exec_lo, s28
	v_lshlrev_b32_sdwa v6, v97, v6 dst_sel:DWORD dst_unused:UNUSED_PAD src0_sel:DWORD src1_sel:WORD_0
	v_lshl_add_u32 v78, v78, 10, 0x2000
	v_lshlrev_b32_e32 v77, 23, v77
	v_and_or_b32 v6, 0x8000, v6, v78
	v_lshl_or_b32 v77, v6, 16, v77
.LBB302_3244:                           ;   in Loop: Header=BB302_2076 Depth=1
	s_or_b32 exec_lo, exec_lo, s27
.LBB302_3245:                           ;   in Loop: Header=BB302_2076 Depth=1
	s_or_b32 exec_lo, exec_lo, s26
.LBB302_3246:                           ;   in Loop: Header=BB302_2076 Depth=1
	s_or_b32 exec_lo, exec_lo, s25
	v_lshrrev_b32_e32 v6, 16, v15
	v_cmp_ne_u16_sdwa s12, v6, v7 src0_sel:BYTE_0 src1_sel:DWORD
	s_and_saveexec_b32 s25, s12
	s_cbranch_execz .LBB302_3254
; %bb.3247:                             ;   in Loop: Header=BB302_2076 Depth=1
	v_cmp_ne_u16_sdwa s12, v6, v86 src0_sel:BYTE_0 src1_sel:DWORD
	v_mov_b32_e32 v71, 0x8000
	s_and_saveexec_b32 s26, s12
	s_cbranch_execz .LBB302_3253
; %bb.3248:                             ;   in Loop: Header=BB302_2076 Depth=1
	v_bfe_u32 v79, v15, 16, 7
	v_mov_b32_e32 v71, 0x7c01
	s_mov_b32 s27, exec_lo
	v_cmpx_ne_u32_e32 0x7f, v79
	s_cbranch_execz .LBB302_3252
; %bb.3249:                             ;   in Loop: Header=BB302_2076 Depth=1
	v_and_b32_e32 v71, 7, v6
	v_lshrrev_b32_e32 v78, 3, v79
	s_mov_b32 s28, exec_lo
	v_cmpx_gt_u32_e32 8, v79
; %bb.3250:                             ;   in Loop: Header=BB302_2076 Depth=1
	v_ffbh_u32_e32 v71, v71
	v_min_u32_e32 v71, 32, v71
	v_subrev_nc_u32_e32 v78, 28, v71
	v_lshlrev_b64 v[88:89], v78, v[6:7]
	v_sub_nc_u32_e32 v78, 29, v71
	v_and_b32_e32 v71, 7, v88
; %bb.3251:                             ;   in Loop: Header=BB302_2076 Depth=1
	s_or_b32 exec_lo, exec_lo, s28
	v_lshlrev_b32_e32 v6, 8, v6
	v_lshl_add_u32 v78, v78, 10, 0x2000
	v_lshlrev_b32_e32 v71, 7, v71
	v_and_b32_e32 v6, 0x8000, v6
	v_and_b32_e32 v78, 0xfc00, v78
	v_or3_b32 v71, v6, v78, v71
.LBB302_3252:                           ;   in Loop: Header=BB302_2076 Depth=1
	s_or_b32 exec_lo, exec_lo, s27
.LBB302_3253:                           ;   in Loop: Header=BB302_2076 Depth=1
	s_or_b32 exec_lo, exec_lo, s26
.LBB302_3254:                           ;   in Loop: Header=BB302_2076 Depth=1
	s_or_b32 exec_lo, exec_lo, s25
	v_cmp_lt_u64_e64 s12, s[22:23], v[14:15]
	v_mov_b32_e32 v14, 0
	s_and_saveexec_b32 s25, s12
	s_cbranch_execz .LBB302_3262
; %bb.3255:                             ;   in Loop: Header=BB302_2076 Depth=1
	v_lshrrev_b32_e32 v6, 24, v15
	v_bfrev_b32_e32 v14, 1
	s_mov_b32 s26, exec_lo
	v_cmpx_ne_u32_e32 0x80, v6
	s_cbranch_execz .LBB302_3261
; %bb.3256:                             ;   in Loop: Header=BB302_2076 Depth=1
	v_and_b32_e32 v78, 0x7f, v6
	v_mov_b32_e32 v14, 0x7c010000
	s_mov_b32 s27, exec_lo
	v_cmpx_ne_u32_e32 0x7f, v78
	s_cbranch_execz .LBB302_3260
; %bb.3257:                             ;   in Loop: Header=BB302_2076 Depth=1
	v_and_b32_e32 v14, 7, v6
	v_lshrrev_b32_e32 v15, 3, v78
	s_mov_b32 s28, exec_lo
	v_cmpx_gt_u32_e32 8, v78
; %bb.3258:                             ;   in Loop: Header=BB302_2076 Depth=1
	v_ffbh_u32_e32 v14, v14
	v_min_u32_e32 v78, 32, v14
	v_subrev_nc_u32_e32 v14, 28, v78
	v_lshlrev_b64 v[14:15], v14, v[6:7]
	v_sub_nc_u32_e32 v15, 29, v78
	v_and_b32_e32 v14, 7, v14
; %bb.3259:                             ;   in Loop: Header=BB302_2076 Depth=1
	s_or_b32 exec_lo, exec_lo, s28
	v_lshlrev_b32_e32 v6, 8, v6
	v_lshl_add_u32 v15, v15, 10, 0x2000
	v_lshlrev_b32_e32 v14, 23, v14
	v_and_or_b32 v6, 0x8000, v6, v15
	v_lshl_or_b32 v14, v6, 16, v14
.LBB302_3260:                           ;   in Loop: Header=BB302_2076 Depth=1
	s_or_b32 exec_lo, exec_lo, s27
.LBB302_3261:                           ;   in Loop: Header=BB302_2076 Depth=1
	s_or_b32 exec_lo, exec_lo, s26
.LBB302_3262:                           ;   in Loop: Header=BB302_2076 Depth=1
	s_or_b32 exec_lo, exec_lo, s25
	v_or_b32_e32 v6, v75, v76
	s_waitcnt vmcnt(0) lgkmcnt(0)
	v_fma_mixlo_f16 v15, v30, v75, 0 op_sel:[0,1,0] op_sel_hi:[0,1,0]
	v_or_b32_e32 v74, v66, v74
	v_or_b32_e32 v72, v77, v72
	;; [unrolled: 1-line block ×3, first 2 shown]
	v_fma_mixlo_f16 v75, v30, v6, 0 op_sel_hi:[0,1,0]
	v_fma_mixlo_f16 v66, v30, v66, 0 op_sel:[0,1,0] op_sel_hi:[0,1,0]
	v_lshlrev_b32_e32 v6, 16, v15
	v_fma_mixlo_f16 v74, v30, v74, 0 op_sel_hi:[0,1,0]
	v_fma_mixlo_f16 v72, v30, v72, 0 op_sel_hi:[0,1,0]
	v_and_b32_e32 v15, 0xffff, v75
	v_fma_mixlo_f16 v75, v30, v77, 0 op_sel:[0,1,0] op_sel_hi:[0,1,0]
	v_fma_mixlo_f16 v14, v30, v14, 0 op_sel:[0,1,0] op_sel_hi:[0,1,0]
	v_fma_mixlo_f16 v30, v30, v71, 0 op_sel_hi:[0,1,0]
	v_lshlrev_b32_e32 v66, 16, v66
	v_and_b32_e32 v78, 0xffff, v74
	v_lshlrev_b32_e32 v75, 16, v75
	v_and_b32_e32 v77, 0xffff, v72
	;; [unrolled: 2-line block ×3, first 2 shown]
	v_or_b32_e32 v14, v6, v15
	v_or_b32_e32 v72, v66, v78
	;; [unrolled: 1-line block ×4, first 2 shown]
	s_and_saveexec_b32 s12, s7
	s_cbranch_execz .LBB302_3264
; %bb.3263:                             ;   in Loop: Header=BB302_2076 Depth=1
	v_cndmask_b32_e32 v14, 0, v78, vcc_lo
	v_cndmask_b32_e64 v30, 0, v66, s5
	v_cndmask_b32_e64 v15, 0, v15, s4
	v_cndmask_b32_e64 v6, 0, v6, s6
	v_cndmask_b32_e64 v66, 0, v77, s8
	v_cndmask_b32_e64 v71, 0, v75, s9
	v_cndmask_b32_e64 v75, 0, v76, s10
	v_cndmask_b32_e64 v74, 0, v74, s11
	v_or_b32_e32 v72, v14, v30
	v_or_b32_e32 v14, v15, v6
	;; [unrolled: 1-line block ×4, first 2 shown]
.LBB302_3264:                           ;   in Loop: Header=BB302_2076 Depth=1
	s_or_b32 exec_lo, exec_lo, s12
	;;#ASMSTART
	v_pk_mul_f16 v6, v102, v72;

	;;#ASMEND
	;;#ASMSTART
	v_pk_mul_f16 v14, v101, v14;

	;;#ASMEND
	;; [unrolled: 4-line block ×4, first 2 shown]
	;;#ASMSTART
	v_pk_add_f16 v6, v6, v14;

	;;#ASMEND
	;;#ASMSTART
	v_pk_add_f16 v6, v6, v15;

	;;#ASMEND
	;;#ASMSTART
	v_pk_add_f16 v6, v6, v30;

	;;#ASMEND
	v_and_b32_e32 v14, 0xffff, v6
	v_lshrrev_b32_e32 v6, 16, v6
	;;#ASMSTART
	v_cvt_f32_f16 v30, v14;
	;;#ASMEND
	;;#ASMSTART
	v_cvt_f32_f16 v74, v6;
	;;#ASMEND
	flat_load_dwordx2 v[14:15], v[12:13] offset:512
	s_clause 0x1
	buffer_load_dword v71, off, s[0:3], s32 offset:192
	buffer_load_dword v72, off, s[0:3], s32 offset:196
	v_mov_b32_e32 v75, 0
	v_mov_b32_e32 v76, 0
	s_waitcnt vmcnt(2) lgkmcnt(0)
	v_cmp_ne_u16_sdwa s12, v14, v7 src0_sel:BYTE_0 src1_sel:DWORD
	s_waitcnt vmcnt(0)
	flat_load_dword v66, v[71:72]
	s_and_saveexec_b32 s25, s12
	s_cbranch_execz .LBB302_3272
; %bb.3265:                             ;   in Loop: Header=BB302_2076 Depth=1
	v_cmp_ne_u16_sdwa s12, v14, v86 src0_sel:BYTE_0 src1_sel:DWORD
	v_mov_b32_e32 v76, 0x8000
	s_and_saveexec_b32 s26, s12
	s_cbranch_execz .LBB302_3271
; %bb.3266:                             ;   in Loop: Header=BB302_2076 Depth=1
	v_and_b32_e32 v72, 0x7f, v14
	v_mov_b32_e32 v76, 0x7c01
	s_mov_b32 s27, exec_lo
	v_cmpx_ne_u32_e32 0x7f, v72
	s_cbranch_execz .LBB302_3270
; %bb.3267:                             ;   in Loop: Header=BB302_2076 Depth=1
	v_and_b32_e32 v6, 7, v14
	v_lshrrev_b32_e32 v71, 3, v72
	s_mov_b32 s28, exec_lo
	v_cmpx_gt_u32_e32 8, v72
; %bb.3268:                             ;   in Loop: Header=BB302_2076 Depth=1
	v_ffbh_u32_e32 v6, v6
	v_min_u32_e32 v6, 32, v6
	v_subrev_nc_u32_e32 v71, 28, v6
	v_lshlrev_b64 v[76:77], v71, v[14:15]
	v_sub_nc_u32_e32 v71, 29, v6
	v_and_b32_e32 v6, 7, v76
; %bb.3269:                             ;   in Loop: Header=BB302_2076 Depth=1
	s_or_b32 exec_lo, exec_lo, s28
	v_lshlrev_b32_e32 v72, 8, v14
	v_lshl_add_u32 v71, v71, 10, 0x2000
	v_lshlrev_b32_e32 v6, 7, v6
	v_and_b32_e32 v72, 0x8000, v72
	v_and_b32_e32 v71, 0xfc00, v71
	v_or3_b32 v76, v72, v71, v6
.LBB302_3270:                           ;   in Loop: Header=BB302_2076 Depth=1
	s_or_b32 exec_lo, exec_lo, s27
.LBB302_3271:                           ;   in Loop: Header=BB302_2076 Depth=1
	s_or_b32 exec_lo, exec_lo, s26
.LBB302_3272:                           ;   in Loop: Header=BB302_2076 Depth=1
	s_or_b32 exec_lo, exec_lo, s25
	v_lshrrev_b16 v6, 8, v14
	s_mov_b32 s25, exec_lo
	v_cmpx_ne_u16_e32 0, v6
	s_cbranch_execz .LBB302_3280
; %bb.3273:                             ;   in Loop: Header=BB302_2076 Depth=1
	v_bfrev_b32_e32 v75, 1
	s_mov_b32 s26, exec_lo
	v_cmpx_ne_u16_e32 0x80, v6
	s_cbranch_execz .LBB302_3279
; %bb.3274:                             ;   in Loop: Header=BB302_2076 Depth=1
	v_and_b32_sdwa v77, v6, v87 dst_sel:DWORD dst_unused:UNUSED_PAD src0_sel:WORD_0 src1_sel:DWORD
	v_mov_b32_e32 v75, 0x7c010000
	s_mov_b32 s27, exec_lo
	v_cmpx_ne_u32_e32 0x7f, v77
	s_cbranch_execz .LBB302_3278
; %bb.3275:                             ;   in Loop: Header=BB302_2076 Depth=1
	v_and_b32_sdwa v71, v6, v96 dst_sel:DWORD dst_unused:UNUSED_PAD src0_sel:WORD_0 src1_sel:DWORD
	v_lshrrev_b32_e32 v72, 3, v77
	s_mov_b32 s28, exec_lo
	v_cmpx_gt_u32_e32 8, v77
; %bb.3276:                             ;   in Loop: Header=BB302_2076 Depth=1
	v_ffbh_u32_e32 v71, v71
	v_min_u32_e32 v75, 32, v71
	v_subrev_nc_u32_e32 v71, 28, v75
	v_lshlrev_b64 v[71:72], v71, v[6:7]
	v_sub_nc_u32_e32 v72, 29, v75
	v_and_b32_e32 v71, 7, v71
; %bb.3277:                             ;   in Loop: Header=BB302_2076 Depth=1
	s_or_b32 exec_lo, exec_lo, s28
	v_lshlrev_b32_sdwa v6, v97, v6 dst_sel:DWORD dst_unused:UNUSED_PAD src0_sel:DWORD src1_sel:WORD_0
	v_lshl_add_u32 v72, v72, 10, 0x2000
	v_lshlrev_b32_e32 v71, 23, v71
	v_and_or_b32 v6, 0x8000, v6, v72
	v_lshl_or_b32 v75, v6, 16, v71
.LBB302_3278:                           ;   in Loop: Header=BB302_2076 Depth=1
	s_or_b32 exec_lo, exec_lo, s27
.LBB302_3279:                           ;   in Loop: Header=BB302_2076 Depth=1
	s_or_b32 exec_lo, exec_lo, s26
.LBB302_3280:                           ;   in Loop: Header=BB302_2076 Depth=1
	s_or_b32 exec_lo, exec_lo, s25
	v_lshrrev_b32_e32 v6, 16, v14
	v_mov_b32_e32 v77, 0
	v_mov_b32_e32 v78, 0
	v_cmp_ne_u16_sdwa s12, v6, v7 src0_sel:BYTE_0 src1_sel:DWORD
	s_and_saveexec_b32 s25, s12
	s_cbranch_execz .LBB302_3288
; %bb.3281:                             ;   in Loop: Header=BB302_2076 Depth=1
	v_cmp_ne_u16_sdwa s12, v6, v86 src0_sel:BYTE_0 src1_sel:DWORD
	v_mov_b32_e32 v78, 0x8000
	s_and_saveexec_b32 s26, s12
	s_cbranch_execz .LBB302_3287
; %bb.3282:                             ;   in Loop: Header=BB302_2076 Depth=1
	v_bfe_u32 v79, v14, 16, 7
	v_mov_b32_e32 v78, 0x7c01
	s_mov_b32 s27, exec_lo
	v_cmpx_ne_u32_e32 0x7f, v79
	s_cbranch_execz .LBB302_3286
; %bb.3283:                             ;   in Loop: Header=BB302_2076 Depth=1
	v_and_b32_e32 v71, 7, v6
	v_lshrrev_b32_e32 v72, 3, v79
	s_mov_b32 s28, exec_lo
	v_cmpx_gt_u32_e32 8, v79
; %bb.3284:                             ;   in Loop: Header=BB302_2076 Depth=1
	v_ffbh_u32_e32 v71, v71
	v_min_u32_e32 v78, 32, v71
	v_subrev_nc_u32_e32 v71, 28, v78
	v_lshlrev_b64 v[71:72], v71, v[6:7]
	v_sub_nc_u32_e32 v72, 29, v78
	v_and_b32_e32 v71, 7, v71
; %bb.3285:                             ;   in Loop: Header=BB302_2076 Depth=1
	s_or_b32 exec_lo, exec_lo, s28
	v_lshlrev_b32_e32 v6, 8, v6
	v_lshl_add_u32 v72, v72, 10, 0x2000
	v_lshlrev_b32_e32 v71, 7, v71
	v_and_b32_e32 v6, 0x8000, v6
	v_and_b32_e32 v72, 0xfc00, v72
	v_or3_b32 v78, v6, v72, v71
.LBB302_3286:                           ;   in Loop: Header=BB302_2076 Depth=1
	s_or_b32 exec_lo, exec_lo, s27
.LBB302_3287:                           ;   in Loop: Header=BB302_2076 Depth=1
	s_or_b32 exec_lo, exec_lo, s26
.LBB302_3288:                           ;   in Loop: Header=BB302_2076 Depth=1
	s_or_b32 exec_lo, exec_lo, s25
	s_mov_b32 s25, exec_lo
	v_cmpx_lt_u32_e32 0xffffff, v14
	s_cbranch_execz .LBB302_3296
; %bb.3289:                             ;   in Loop: Header=BB302_2076 Depth=1
	v_lshrrev_b32_e32 v6, 24, v14
	v_bfrev_b32_e32 v77, 1
	s_mov_b32 s26, exec_lo
	v_cmpx_ne_u32_e32 0x80, v6
	s_cbranch_execz .LBB302_3295
; %bb.3290:                             ;   in Loop: Header=BB302_2076 Depth=1
	v_and_b32_e32 v79, 0x7f, v6
	v_mov_b32_e32 v77, 0x7c010000
	s_mov_b32 s27, exec_lo
	v_cmpx_ne_u32_e32 0x7f, v79
	s_cbranch_execz .LBB302_3294
; %bb.3291:                             ;   in Loop: Header=BB302_2076 Depth=1
	v_and_b32_e32 v71, 7, v6
	v_lshrrev_b32_e32 v72, 3, v79
	s_mov_b32 s28, exec_lo
	v_cmpx_gt_u32_e32 8, v79
; %bb.3292:                             ;   in Loop: Header=BB302_2076 Depth=1
	v_ffbh_u32_e32 v71, v71
	v_min_u32_e32 v77, 32, v71
	v_subrev_nc_u32_e32 v71, 28, v77
	v_lshlrev_b64 v[71:72], v71, v[6:7]
	v_sub_nc_u32_e32 v72, 29, v77
	v_and_b32_e32 v71, 7, v71
; %bb.3293:                             ;   in Loop: Header=BB302_2076 Depth=1
	s_or_b32 exec_lo, exec_lo, s28
	v_lshlrev_b32_e32 v6, 8, v6
	v_lshl_add_u32 v72, v72, 10, 0x2000
	v_lshlrev_b32_e32 v71, 23, v71
	v_and_or_b32 v6, 0x8000, v6, v72
	v_lshl_or_b32 v77, v6, 16, v71
.LBB302_3294:                           ;   in Loop: Header=BB302_2076 Depth=1
	s_or_b32 exec_lo, exec_lo, s27
.LBB302_3295:                           ;   in Loop: Header=BB302_2076 Depth=1
	s_or_b32 exec_lo, exec_lo, s26
.LBB302_3296:                           ;   in Loop: Header=BB302_2076 Depth=1
	s_or_b32 exec_lo, exec_lo, s25
	v_mov_b32_e32 v6, v15
	v_cmp_ne_u16_sdwa s12, v15, v7 src0_sel:BYTE_0 src1_sel:DWORD
	v_mov_b32_e32 v71, 0
	v_mov_b32_e32 v72, 0
	s_and_saveexec_b32 s25, s12
	s_cbranch_execz .LBB302_3304
; %bb.3297:                             ;   in Loop: Header=BB302_2076 Depth=1
	v_cmp_ne_u16_sdwa s12, v15, v86 src0_sel:BYTE_0 src1_sel:DWORD
	v_mov_b32_e32 v72, 0x8000
	s_and_saveexec_b32 s26, s12
	s_cbranch_execz .LBB302_3303
; %bb.3298:                             ;   in Loop: Header=BB302_2076 Depth=1
	v_and_b32_e32 v88, 0x7f, v15
	v_mov_b32_e32 v72, 0x7c01
	s_mov_b32 s27, exec_lo
	v_cmpx_ne_u32_e32 0x7f, v88
	s_cbranch_execz .LBB302_3302
; %bb.3299:                             ;   in Loop: Header=BB302_2076 Depth=1
	v_and_b32_e32 v72, 7, v15
	v_lshrrev_b32_e32 v79, 3, v88
	s_mov_b32 s28, exec_lo
	v_cmpx_gt_u32_e32 8, v88
; %bb.3300:                             ;   in Loop: Header=BB302_2076 Depth=1
	v_ffbh_u32_e32 v72, v72
	v_min_u32_e32 v72, 32, v72
	v_subrev_nc_u32_e32 v79, 28, v72
	v_lshlrev_b64 v[88:89], v79, v[6:7]
	v_sub_nc_u32_e32 v79, 29, v72
	v_and_b32_e32 v72, 7, v88
; %bb.3301:                             ;   in Loop: Header=BB302_2076 Depth=1
	s_or_b32 exec_lo, exec_lo, s28
	v_lshlrev_b32_e32 v88, 8, v15
	v_lshl_add_u32 v79, v79, 10, 0x2000
	v_lshlrev_b32_e32 v72, 7, v72
	v_and_b32_e32 v88, 0x8000, v88
	v_and_b32_e32 v79, 0xfc00, v79
	v_or3_b32 v72, v88, v79, v72
.LBB302_3302:                           ;   in Loop: Header=BB302_2076 Depth=1
	s_or_b32 exec_lo, exec_lo, s27
.LBB302_3303:                           ;   in Loop: Header=BB302_2076 Depth=1
	s_or_b32 exec_lo, exec_lo, s26
.LBB302_3304:                           ;   in Loop: Header=BB302_2076 Depth=1
	s_or_b32 exec_lo, exec_lo, s25
	v_lshrrev_b16 v6, 8, v6
	v_mov_b32_e32 v79, 0
	s_mov_b32 s25, exec_lo
	v_cmpx_ne_u16_e32 0, v6
	s_cbranch_execz .LBB302_3312
; %bb.3305:                             ;   in Loop: Header=BB302_2076 Depth=1
	v_bfrev_b32_e32 v79, 1
	s_mov_b32 s26, exec_lo
	v_cmpx_ne_u16_e32 0x80, v6
	s_cbranch_execz .LBB302_3311
; %bb.3306:                             ;   in Loop: Header=BB302_2076 Depth=1
	v_and_b32_sdwa v89, v6, v87 dst_sel:DWORD dst_unused:UNUSED_PAD src0_sel:WORD_0 src1_sel:DWORD
	v_mov_b32_e32 v79, 0x7c010000
	s_mov_b32 s27, exec_lo
	v_cmpx_ne_u32_e32 0x7f, v89
	s_cbranch_execz .LBB302_3310
; %bb.3307:                             ;   in Loop: Header=BB302_2076 Depth=1
	v_and_b32_sdwa v79, v6, v96 dst_sel:DWORD dst_unused:UNUSED_PAD src0_sel:WORD_0 src1_sel:DWORD
	v_lshrrev_b32_e32 v88, 3, v89
	s_mov_b32 s28, exec_lo
	v_cmpx_gt_u32_e32 8, v89
; %bb.3308:                             ;   in Loop: Header=BB302_2076 Depth=1
	v_ffbh_u32_e32 v79, v79
	v_min_u32_e32 v79, 32, v79
	v_subrev_nc_u32_e32 v88, 28, v79
	v_lshlrev_b64 v[89:90], v88, v[6:7]
	v_sub_nc_u32_e32 v88, 29, v79
	v_and_b32_e32 v79, 7, v89
; %bb.3309:                             ;   in Loop: Header=BB302_2076 Depth=1
	s_or_b32 exec_lo, exec_lo, s28
	v_lshlrev_b32_sdwa v6, v97, v6 dst_sel:DWORD dst_unused:UNUSED_PAD src0_sel:DWORD src1_sel:WORD_0
	v_lshl_add_u32 v88, v88, 10, 0x2000
	v_lshlrev_b32_e32 v79, 23, v79
	v_and_or_b32 v6, 0x8000, v6, v88
	v_lshl_or_b32 v79, v6, 16, v79
.LBB302_3310:                           ;   in Loop: Header=BB302_2076 Depth=1
	s_or_b32 exec_lo, exec_lo, s27
.LBB302_3311:                           ;   in Loop: Header=BB302_2076 Depth=1
	s_or_b32 exec_lo, exec_lo, s26
.LBB302_3312:                           ;   in Loop: Header=BB302_2076 Depth=1
	s_or_b32 exec_lo, exec_lo, s25
	v_lshrrev_b32_e32 v6, 16, v15
	v_cmp_ne_u16_sdwa s12, v6, v7 src0_sel:BYTE_0 src1_sel:DWORD
	s_and_saveexec_b32 s25, s12
	s_cbranch_execz .LBB302_3320
; %bb.3313:                             ;   in Loop: Header=BB302_2076 Depth=1
	v_cmp_ne_u16_sdwa s12, v6, v86 src0_sel:BYTE_0 src1_sel:DWORD
	v_mov_b32_e32 v71, 0x8000
	s_and_saveexec_b32 s26, s12
	s_cbranch_execz .LBB302_3319
; %bb.3314:                             ;   in Loop: Header=BB302_2076 Depth=1
	v_bfe_u32 v89, v15, 16, 7
	v_mov_b32_e32 v71, 0x7c01
	s_mov_b32 s27, exec_lo
	v_cmpx_ne_u32_e32 0x7f, v89
	s_cbranch_execz .LBB302_3318
; %bb.3315:                             ;   in Loop: Header=BB302_2076 Depth=1
	v_and_b32_e32 v71, 7, v6
	v_lshrrev_b32_e32 v88, 3, v89
	s_mov_b32 s28, exec_lo
	v_cmpx_gt_u32_e32 8, v89
; %bb.3316:                             ;   in Loop: Header=BB302_2076 Depth=1
	v_ffbh_u32_e32 v71, v71
	v_min_u32_e32 v71, 32, v71
	v_subrev_nc_u32_e32 v88, 28, v71
	v_lshlrev_b64 v[89:90], v88, v[6:7]
	v_sub_nc_u32_e32 v88, 29, v71
	v_and_b32_e32 v71, 7, v89
; %bb.3317:                             ;   in Loop: Header=BB302_2076 Depth=1
	s_or_b32 exec_lo, exec_lo, s28
	v_lshlrev_b32_e32 v6, 8, v6
	v_lshl_add_u32 v88, v88, 10, 0x2000
	v_lshlrev_b32_e32 v71, 7, v71
	v_and_b32_e32 v6, 0x8000, v6
	v_and_b32_e32 v88, 0xfc00, v88
	v_or3_b32 v71, v6, v88, v71
.LBB302_3318:                           ;   in Loop: Header=BB302_2076 Depth=1
	s_or_b32 exec_lo, exec_lo, s27
.LBB302_3319:                           ;   in Loop: Header=BB302_2076 Depth=1
	s_or_b32 exec_lo, exec_lo, s26
.LBB302_3320:                           ;   in Loop: Header=BB302_2076 Depth=1
	s_or_b32 exec_lo, exec_lo, s25
	v_cmp_lt_u64_e64 s12, s[22:23], v[14:15]
	v_mov_b32_e32 v14, 0
	s_and_saveexec_b32 s25, s12
	s_cbranch_execz .LBB302_3328
; %bb.3321:                             ;   in Loop: Header=BB302_2076 Depth=1
	v_lshrrev_b32_e32 v6, 24, v15
	v_bfrev_b32_e32 v14, 1
	s_mov_b32 s26, exec_lo
	v_cmpx_ne_u32_e32 0x80, v6
	s_cbranch_execz .LBB302_3327
; %bb.3322:                             ;   in Loop: Header=BB302_2076 Depth=1
	v_and_b32_e32 v88, 0x7f, v6
	v_mov_b32_e32 v14, 0x7c010000
	s_mov_b32 s27, exec_lo
	v_cmpx_ne_u32_e32 0x7f, v88
	s_cbranch_execz .LBB302_3326
; %bb.3323:                             ;   in Loop: Header=BB302_2076 Depth=1
	v_and_b32_e32 v14, 7, v6
	v_lshrrev_b32_e32 v15, 3, v88
	s_mov_b32 s28, exec_lo
	v_cmpx_gt_u32_e32 8, v88
; %bb.3324:                             ;   in Loop: Header=BB302_2076 Depth=1
	v_ffbh_u32_e32 v14, v14
	v_min_u32_e32 v88, 32, v14
	v_subrev_nc_u32_e32 v14, 28, v88
	v_lshlrev_b64 v[14:15], v14, v[6:7]
	v_sub_nc_u32_e32 v15, 29, v88
	v_and_b32_e32 v14, 7, v14
; %bb.3325:                             ;   in Loop: Header=BB302_2076 Depth=1
	s_or_b32 exec_lo, exec_lo, s28
	v_lshlrev_b32_e32 v6, 8, v6
	v_lshl_add_u32 v15, v15, 10, 0x2000
	v_lshlrev_b32_e32 v14, 23, v14
	v_and_or_b32 v6, 0x8000, v6, v15
	v_lshl_or_b32 v14, v6, 16, v14
.LBB302_3326:                           ;   in Loop: Header=BB302_2076 Depth=1
	s_or_b32 exec_lo, exec_lo, s27
.LBB302_3327:                           ;   in Loop: Header=BB302_2076 Depth=1
	s_or_b32 exec_lo, exec_lo, s26
.LBB302_3328:                           ;   in Loop: Header=BB302_2076 Depth=1
	s_or_b32 exec_lo, exec_lo, s25
	v_or_b32_e32 v6, v77, v78
	v_or_b32_e32 v76, v75, v76
	s_waitcnt vmcnt(0) lgkmcnt(0)
	v_fma_mixlo_f16 v75, v66, v75, 0 op_sel:[0,1,0] op_sel_hi:[0,1,0]
	v_or_b32_e32 v72, v79, v72
	v_or_b32_e32 v78, v14, v71
	v_fma_mixlo_f16 v15, v66, v77, 0 op_sel:[0,1,0] op_sel_hi:[0,1,0]
	v_fma_mixlo_f16 v77, v66, v6, 0 op_sel_hi:[0,1,0]
	v_lshlrev_b32_e32 v71, 16, v75
	v_fma_mixlo_f16 v75, v66, v76, 0 op_sel_hi:[0,1,0]
	v_fma_mixlo_f16 v76, v66, v79, 0 op_sel:[0,1,0] op_sel_hi:[0,1,0]
	v_fma_mixlo_f16 v72, v66, v72, 0 op_sel_hi:[0,1,0]
	v_fma_mixlo_f16 v14, v66, v14, 0 op_sel:[0,1,0] op_sel_hi:[0,1,0]
	v_fma_mixlo_f16 v66, v66, v78, 0 op_sel_hi:[0,1,0]
	v_lshlrev_b32_e32 v6, 16, v15
	v_and_b32_e32 v15, 0xffff, v77
	v_and_b32_e32 v88, 0xffff, v75
	v_lshlrev_b32_e32 v77, 16, v76
	v_and_b32_e32 v79, 0xffff, v72
	v_lshlrev_b32_e32 v76, 16, v14
	v_and_b32_e32 v78, 0xffff, v66
	v_or_b32_e32 v14, v6, v15
	v_or_b32_e32 v75, v71, v88
	;; [unrolled: 1-line block ×4, first 2 shown]
	s_and_saveexec_b32 s12, s7
	s_cbranch_execz .LBB302_3330
; %bb.3329:                             ;   in Loop: Header=BB302_2076 Depth=1
	v_cndmask_b32_e32 v14, 0, v88, vcc_lo
	v_cndmask_b32_e64 v66, 0, v71, s5
	v_cndmask_b32_e64 v15, 0, v15, s4
	v_cndmask_b32_e64 v6, 0, v6, s6
	v_cndmask_b32_e64 v71, 0, v79, s8
	v_cndmask_b32_e64 v72, 0, v77, s9
	v_cndmask_b32_e64 v77, 0, v78, s10
	v_cndmask_b32_e64 v76, 0, v76, s11
	v_or_b32_e32 v75, v14, v66
	v_or_b32_e32 v14, v15, v6
	v_or_b32_e32 v72, v71, v72
	v_or_b32_e32 v66, v77, v76
.LBB302_3330:                           ;   in Loop: Header=BB302_2076 Depth=1
	s_or_b32 exec_lo, exec_lo, s12
	;;#ASMSTART
	v_pk_mul_f16 v6, v102, v75;

	;;#ASMEND
	;;#ASMSTART
	v_pk_mul_f16 v14, v101, v14;

	;;#ASMEND
	;; [unrolled: 4-line block ×4, first 2 shown]
	;;#ASMSTART
	v_pk_add_f16 v6, v6, v14;

	;;#ASMEND
	;;#ASMSTART
	v_pk_add_f16 v6, v6, v15;

	;;#ASMEND
	;; [unrolled: 4-line block ×3, first 2 shown]
	v_and_b32_e32 v14, 0xffff, v6
	v_lshrrev_b32_e32 v6, 16, v6
	;;#ASMSTART
	v_cvt_f32_f16 v75, v14;
	;;#ASMEND
	;;#ASMSTART
	v_cvt_f32_f16 v76, v6;
	;;#ASMEND
	flat_load_dwordx2 v[14:15], v[12:13] offset:768
	s_clause 0x1
	buffer_load_dword v71, off, s[0:3], s32 offset:192
	buffer_load_dword v72, off, s[0:3], s32 offset:196
	v_mov_b32_e32 v77, 0
	v_mov_b32_e32 v78, 0
	s_waitcnt vmcnt(2) lgkmcnt(0)
	v_cmp_ne_u16_sdwa s12, v14, v7 src0_sel:BYTE_0 src1_sel:DWORD
	s_waitcnt vmcnt(0)
	flat_load_dword v66, v[71:72]
	s_and_saveexec_b32 s25, s12
	s_cbranch_execz .LBB302_3338
; %bb.3331:                             ;   in Loop: Header=BB302_2076 Depth=1
	v_cmp_ne_u16_sdwa s12, v14, v86 src0_sel:BYTE_0 src1_sel:DWORD
	v_mov_b32_e32 v78, 0x8000
	s_and_saveexec_b32 s26, s12
	s_cbranch_execz .LBB302_3337
; %bb.3332:                             ;   in Loop: Header=BB302_2076 Depth=1
	v_and_b32_e32 v72, 0x7f, v14
	v_mov_b32_e32 v78, 0x7c01
	s_mov_b32 s27, exec_lo
	v_cmpx_ne_u32_e32 0x7f, v72
	s_cbranch_execz .LBB302_3336
; %bb.3333:                             ;   in Loop: Header=BB302_2076 Depth=1
	v_and_b32_e32 v6, 7, v14
	v_lshrrev_b32_e32 v71, 3, v72
	s_mov_b32 s28, exec_lo
	v_cmpx_gt_u32_e32 8, v72
; %bb.3334:                             ;   in Loop: Header=BB302_2076 Depth=1
	v_ffbh_u32_e32 v6, v6
	v_min_u32_e32 v6, 32, v6
	v_subrev_nc_u32_e32 v71, 28, v6
	v_lshlrev_b64 v[78:79], v71, v[14:15]
	v_sub_nc_u32_e32 v71, 29, v6
	v_and_b32_e32 v6, 7, v78
; %bb.3335:                             ;   in Loop: Header=BB302_2076 Depth=1
	s_or_b32 exec_lo, exec_lo, s28
	v_lshlrev_b32_e32 v72, 8, v14
	v_lshl_add_u32 v71, v71, 10, 0x2000
	v_lshlrev_b32_e32 v6, 7, v6
	v_and_b32_e32 v72, 0x8000, v72
	v_and_b32_e32 v71, 0xfc00, v71
	v_or3_b32 v78, v72, v71, v6
.LBB302_3336:                           ;   in Loop: Header=BB302_2076 Depth=1
	s_or_b32 exec_lo, exec_lo, s27
.LBB302_3337:                           ;   in Loop: Header=BB302_2076 Depth=1
	s_or_b32 exec_lo, exec_lo, s26
.LBB302_3338:                           ;   in Loop: Header=BB302_2076 Depth=1
	s_or_b32 exec_lo, exec_lo, s25
	v_lshrrev_b16 v6, 8, v14
	s_mov_b32 s25, exec_lo
	v_cmpx_ne_u16_e32 0, v6
	s_cbranch_execz .LBB302_3346
; %bb.3339:                             ;   in Loop: Header=BB302_2076 Depth=1
	v_bfrev_b32_e32 v77, 1
	s_mov_b32 s26, exec_lo
	v_cmpx_ne_u16_e32 0x80, v6
	s_cbranch_execz .LBB302_3345
; %bb.3340:                             ;   in Loop: Header=BB302_2076 Depth=1
	v_and_b32_sdwa v79, v6, v87 dst_sel:DWORD dst_unused:UNUSED_PAD src0_sel:WORD_0 src1_sel:DWORD
	v_mov_b32_e32 v77, 0x7c010000
	s_mov_b32 s27, exec_lo
	v_cmpx_ne_u32_e32 0x7f, v79
	s_cbranch_execz .LBB302_3344
; %bb.3341:                             ;   in Loop: Header=BB302_2076 Depth=1
	v_and_b32_sdwa v71, v6, v96 dst_sel:DWORD dst_unused:UNUSED_PAD src0_sel:WORD_0 src1_sel:DWORD
	v_lshrrev_b32_e32 v72, 3, v79
	s_mov_b32 s28, exec_lo
	v_cmpx_gt_u32_e32 8, v79
; %bb.3342:                             ;   in Loop: Header=BB302_2076 Depth=1
	v_ffbh_u32_e32 v71, v71
	v_min_u32_e32 v77, 32, v71
	v_subrev_nc_u32_e32 v71, 28, v77
	v_lshlrev_b64 v[71:72], v71, v[6:7]
	v_sub_nc_u32_e32 v72, 29, v77
	v_and_b32_e32 v71, 7, v71
; %bb.3343:                             ;   in Loop: Header=BB302_2076 Depth=1
	s_or_b32 exec_lo, exec_lo, s28
	v_lshlrev_b32_sdwa v6, v97, v6 dst_sel:DWORD dst_unused:UNUSED_PAD src0_sel:DWORD src1_sel:WORD_0
	v_lshl_add_u32 v72, v72, 10, 0x2000
	v_lshlrev_b32_e32 v71, 23, v71
	v_and_or_b32 v6, 0x8000, v6, v72
	v_lshl_or_b32 v77, v6, 16, v71
.LBB302_3344:                           ;   in Loop: Header=BB302_2076 Depth=1
	s_or_b32 exec_lo, exec_lo, s27
.LBB302_3345:                           ;   in Loop: Header=BB302_2076 Depth=1
	s_or_b32 exec_lo, exec_lo, s26
.LBB302_3346:                           ;   in Loop: Header=BB302_2076 Depth=1
	s_or_b32 exec_lo, exec_lo, s25
	v_lshrrev_b32_e32 v6, 16, v14
	v_mov_b32_e32 v79, 0
	v_mov_b32_e32 v88, 0
	v_cmp_ne_u16_sdwa s12, v6, v7 src0_sel:BYTE_0 src1_sel:DWORD
	s_and_saveexec_b32 s25, s12
	s_cbranch_execz .LBB302_3354
; %bb.3347:                             ;   in Loop: Header=BB302_2076 Depth=1
	v_cmp_ne_u16_sdwa s12, v6, v86 src0_sel:BYTE_0 src1_sel:DWORD
	v_mov_b32_e32 v88, 0x8000
	s_and_saveexec_b32 s26, s12
	s_cbranch_execz .LBB302_3353
; %bb.3348:                             ;   in Loop: Header=BB302_2076 Depth=1
	v_bfe_u32 v89, v14, 16, 7
	v_mov_b32_e32 v88, 0x7c01
	s_mov_b32 s27, exec_lo
	v_cmpx_ne_u32_e32 0x7f, v89
	s_cbranch_execz .LBB302_3352
; %bb.3349:                             ;   in Loop: Header=BB302_2076 Depth=1
	v_and_b32_e32 v71, 7, v6
	v_lshrrev_b32_e32 v72, 3, v89
	s_mov_b32 s28, exec_lo
	v_cmpx_gt_u32_e32 8, v89
; %bb.3350:                             ;   in Loop: Header=BB302_2076 Depth=1
	v_ffbh_u32_e32 v71, v71
	v_min_u32_e32 v88, 32, v71
	v_subrev_nc_u32_e32 v71, 28, v88
	v_lshlrev_b64 v[71:72], v71, v[6:7]
	v_sub_nc_u32_e32 v72, 29, v88
	v_and_b32_e32 v71, 7, v71
; %bb.3351:                             ;   in Loop: Header=BB302_2076 Depth=1
	s_or_b32 exec_lo, exec_lo, s28
	v_lshlrev_b32_e32 v6, 8, v6
	v_lshl_add_u32 v72, v72, 10, 0x2000
	v_lshlrev_b32_e32 v71, 7, v71
	v_and_b32_e32 v6, 0x8000, v6
	v_and_b32_e32 v72, 0xfc00, v72
	v_or3_b32 v88, v6, v72, v71
.LBB302_3352:                           ;   in Loop: Header=BB302_2076 Depth=1
	s_or_b32 exec_lo, exec_lo, s27
.LBB302_3353:                           ;   in Loop: Header=BB302_2076 Depth=1
	s_or_b32 exec_lo, exec_lo, s26
.LBB302_3354:                           ;   in Loop: Header=BB302_2076 Depth=1
	s_or_b32 exec_lo, exec_lo, s25
	s_mov_b32 s25, exec_lo
	v_cmpx_lt_u32_e32 0xffffff, v14
	s_cbranch_execz .LBB302_3362
; %bb.3355:                             ;   in Loop: Header=BB302_2076 Depth=1
	v_lshrrev_b32_e32 v6, 24, v14
	v_bfrev_b32_e32 v79, 1
	s_mov_b32 s26, exec_lo
	v_cmpx_ne_u32_e32 0x80, v6
	s_cbranch_execz .LBB302_3361
; %bb.3356:                             ;   in Loop: Header=BB302_2076 Depth=1
	v_and_b32_e32 v89, 0x7f, v6
	v_mov_b32_e32 v79, 0x7c010000
	s_mov_b32 s27, exec_lo
	v_cmpx_ne_u32_e32 0x7f, v89
	s_cbranch_execz .LBB302_3360
; %bb.3357:                             ;   in Loop: Header=BB302_2076 Depth=1
	v_and_b32_e32 v71, 7, v6
	v_lshrrev_b32_e32 v72, 3, v89
	s_mov_b32 s28, exec_lo
	v_cmpx_gt_u32_e32 8, v89
; %bb.3358:                             ;   in Loop: Header=BB302_2076 Depth=1
	v_ffbh_u32_e32 v71, v71
	v_min_u32_e32 v79, 32, v71
	v_subrev_nc_u32_e32 v71, 28, v79
	v_lshlrev_b64 v[71:72], v71, v[6:7]
	v_sub_nc_u32_e32 v72, 29, v79
	v_and_b32_e32 v71, 7, v71
; %bb.3359:                             ;   in Loop: Header=BB302_2076 Depth=1
	s_or_b32 exec_lo, exec_lo, s28
	v_lshlrev_b32_e32 v6, 8, v6
	v_lshl_add_u32 v72, v72, 10, 0x2000
	v_lshlrev_b32_e32 v71, 23, v71
	v_and_or_b32 v6, 0x8000, v6, v72
	v_lshl_or_b32 v79, v6, 16, v71
.LBB302_3360:                           ;   in Loop: Header=BB302_2076 Depth=1
	s_or_b32 exec_lo, exec_lo, s27
.LBB302_3361:                           ;   in Loop: Header=BB302_2076 Depth=1
	s_or_b32 exec_lo, exec_lo, s26
.LBB302_3362:                           ;   in Loop: Header=BB302_2076 Depth=1
	s_or_b32 exec_lo, exec_lo, s25
	v_mov_b32_e32 v6, v15
	v_cmp_ne_u16_sdwa s12, v15, v7 src0_sel:BYTE_0 src1_sel:DWORD
	v_mov_b32_e32 v71, 0
	v_mov_b32_e32 v72, 0
	s_and_saveexec_b32 s25, s12
	s_cbranch_execz .LBB302_3370
; %bb.3363:                             ;   in Loop: Header=BB302_2076 Depth=1
	v_cmp_ne_u16_sdwa s12, v15, v86 src0_sel:BYTE_0 src1_sel:DWORD
	v_mov_b32_e32 v72, 0x8000
	s_and_saveexec_b32 s26, s12
	s_cbranch_execz .LBB302_3369
; %bb.3364:                             ;   in Loop: Header=BB302_2076 Depth=1
	v_and_b32_e32 v90, 0x7f, v15
	v_mov_b32_e32 v72, 0x7c01
	s_mov_b32 s27, exec_lo
	v_cmpx_ne_u32_e32 0x7f, v90
	s_cbranch_execz .LBB302_3368
; %bb.3365:                             ;   in Loop: Header=BB302_2076 Depth=1
	v_and_b32_e32 v72, 7, v15
	v_lshrrev_b32_e32 v89, 3, v90
	s_mov_b32 s28, exec_lo
	v_cmpx_gt_u32_e32 8, v90
; %bb.3366:                             ;   in Loop: Header=BB302_2076 Depth=1
	v_ffbh_u32_e32 v72, v72
	v_min_u32_e32 v72, 32, v72
	v_subrev_nc_u32_e32 v89, 28, v72
	v_lshlrev_b64 v[90:91], v89, v[6:7]
	v_sub_nc_u32_e32 v89, 29, v72
	v_and_b32_e32 v72, 7, v90
; %bb.3367:                             ;   in Loop: Header=BB302_2076 Depth=1
	s_or_b32 exec_lo, exec_lo, s28
	v_lshlrev_b32_e32 v90, 8, v15
	v_lshl_add_u32 v89, v89, 10, 0x2000
	v_lshlrev_b32_e32 v72, 7, v72
	v_and_b32_e32 v90, 0x8000, v90
	v_and_b32_e32 v89, 0xfc00, v89
	v_or3_b32 v72, v90, v89, v72
.LBB302_3368:                           ;   in Loop: Header=BB302_2076 Depth=1
	s_or_b32 exec_lo, exec_lo, s27
.LBB302_3369:                           ;   in Loop: Header=BB302_2076 Depth=1
	s_or_b32 exec_lo, exec_lo, s26
.LBB302_3370:                           ;   in Loop: Header=BB302_2076 Depth=1
	s_or_b32 exec_lo, exec_lo, s25
	v_lshrrev_b16 v6, 8, v6
	v_mov_b32_e32 v89, 0
	s_mov_b32 s25, exec_lo
	v_cmpx_ne_u16_e32 0, v6
	s_cbranch_execz .LBB302_3378
; %bb.3371:                             ;   in Loop: Header=BB302_2076 Depth=1
	v_bfrev_b32_e32 v89, 1
	s_mov_b32 s26, exec_lo
	v_cmpx_ne_u16_e32 0x80, v6
	s_cbranch_execz .LBB302_3377
; %bb.3372:                             ;   in Loop: Header=BB302_2076 Depth=1
	v_and_b32_sdwa v91, v6, v87 dst_sel:DWORD dst_unused:UNUSED_PAD src0_sel:WORD_0 src1_sel:DWORD
	v_mov_b32_e32 v89, 0x7c010000
	s_mov_b32 s27, exec_lo
	v_cmpx_ne_u32_e32 0x7f, v91
	s_cbranch_execz .LBB302_3376
; %bb.3373:                             ;   in Loop: Header=BB302_2076 Depth=1
	v_and_b32_sdwa v89, v6, v96 dst_sel:DWORD dst_unused:UNUSED_PAD src0_sel:WORD_0 src1_sel:DWORD
	v_lshrrev_b32_e32 v90, 3, v91
	s_mov_b32 s28, exec_lo
	v_cmpx_gt_u32_e32 8, v91
; %bb.3374:                             ;   in Loop: Header=BB302_2076 Depth=1
	v_ffbh_u32_e32 v89, v89
	v_min_u32_e32 v91, 32, v89
	v_subrev_nc_u32_e32 v89, 28, v91
	v_lshlrev_b64 v[89:90], v89, v[6:7]
	v_sub_nc_u32_e32 v90, 29, v91
	v_and_b32_e32 v89, 7, v89
; %bb.3375:                             ;   in Loop: Header=BB302_2076 Depth=1
	s_or_b32 exec_lo, exec_lo, s28
	v_lshlrev_b32_sdwa v6, v97, v6 dst_sel:DWORD dst_unused:UNUSED_PAD src0_sel:DWORD src1_sel:WORD_0
	v_lshl_add_u32 v90, v90, 10, 0x2000
	v_lshlrev_b32_e32 v89, 23, v89
	v_and_or_b32 v6, 0x8000, v6, v90
	v_lshl_or_b32 v89, v6, 16, v89
.LBB302_3376:                           ;   in Loop: Header=BB302_2076 Depth=1
	s_or_b32 exec_lo, exec_lo, s27
.LBB302_3377:                           ;   in Loop: Header=BB302_2076 Depth=1
	s_or_b32 exec_lo, exec_lo, s26
.LBB302_3378:                           ;   in Loop: Header=BB302_2076 Depth=1
	s_or_b32 exec_lo, exec_lo, s25
	v_lshrrev_b32_e32 v6, 16, v15
	v_cmp_ne_u16_sdwa s12, v6, v7 src0_sel:BYTE_0 src1_sel:DWORD
	s_and_saveexec_b32 s25, s12
	s_cbranch_execz .LBB302_3386
; %bb.3379:                             ;   in Loop: Header=BB302_2076 Depth=1
	v_cmp_ne_u16_sdwa s12, v6, v86 src0_sel:BYTE_0 src1_sel:DWORD
	v_mov_b32_e32 v71, 0x8000
	s_and_saveexec_b32 s26, s12
	s_cbranch_execz .LBB302_3385
; %bb.3380:                             ;   in Loop: Header=BB302_2076 Depth=1
	v_bfe_u32 v91, v15, 16, 7
	v_mov_b32_e32 v71, 0x7c01
	s_mov_b32 s27, exec_lo
	v_cmpx_ne_u32_e32 0x7f, v91
	s_cbranch_execz .LBB302_3384
; %bb.3381:                             ;   in Loop: Header=BB302_2076 Depth=1
	v_and_b32_e32 v71, 7, v6
	v_lshrrev_b32_e32 v90, 3, v91
	s_mov_b32 s28, exec_lo
	v_cmpx_gt_u32_e32 8, v91
; %bb.3382:                             ;   in Loop: Header=BB302_2076 Depth=1
	v_ffbh_u32_e32 v71, v71
	v_min_u32_e32 v71, 32, v71
	v_subrev_nc_u32_e32 v90, 28, v71
	v_lshlrev_b64 v[91:92], v90, v[6:7]
	v_sub_nc_u32_e32 v90, 29, v71
	v_and_b32_e32 v71, 7, v91
; %bb.3383:                             ;   in Loop: Header=BB302_2076 Depth=1
	s_or_b32 exec_lo, exec_lo, s28
	v_lshlrev_b32_e32 v6, 8, v6
	v_lshl_add_u32 v90, v90, 10, 0x2000
	v_lshlrev_b32_e32 v71, 7, v71
	v_and_b32_e32 v6, 0x8000, v6
	v_and_b32_e32 v90, 0xfc00, v90
	v_or3_b32 v71, v6, v90, v71
.LBB302_3384:                           ;   in Loop: Header=BB302_2076 Depth=1
	s_or_b32 exec_lo, exec_lo, s27
.LBB302_3385:                           ;   in Loop: Header=BB302_2076 Depth=1
	s_or_b32 exec_lo, exec_lo, s26
.LBB302_3386:                           ;   in Loop: Header=BB302_2076 Depth=1
	s_or_b32 exec_lo, exec_lo, s25
	v_cmp_lt_u64_e64 s12, s[22:23], v[14:15]
	v_mov_b32_e32 v14, 0
	s_and_saveexec_b32 s25, s12
	s_cbranch_execz .LBB302_3394
; %bb.3387:                             ;   in Loop: Header=BB302_2076 Depth=1
	v_lshrrev_b32_e32 v6, 24, v15
	v_bfrev_b32_e32 v14, 1
	s_mov_b32 s26, exec_lo
	v_cmpx_ne_u32_e32 0x80, v6
	s_cbranch_execz .LBB302_3393
; %bb.3388:                             ;   in Loop: Header=BB302_2076 Depth=1
	v_and_b32_e32 v90, 0x7f, v6
	v_mov_b32_e32 v14, 0x7c010000
	s_mov_b32 s27, exec_lo
	v_cmpx_ne_u32_e32 0x7f, v90
	s_cbranch_execz .LBB302_3392
; %bb.3389:                             ;   in Loop: Header=BB302_2076 Depth=1
	v_and_b32_e32 v14, 7, v6
	v_lshrrev_b32_e32 v15, 3, v90
	s_mov_b32 s28, exec_lo
	v_cmpx_gt_u32_e32 8, v90
; %bb.3390:                             ;   in Loop: Header=BB302_2076 Depth=1
	v_ffbh_u32_e32 v14, v14
	v_min_u32_e32 v90, 32, v14
	v_subrev_nc_u32_e32 v14, 28, v90
	v_lshlrev_b64 v[14:15], v14, v[6:7]
	v_sub_nc_u32_e32 v15, 29, v90
	v_and_b32_e32 v14, 7, v14
; %bb.3391:                             ;   in Loop: Header=BB302_2076 Depth=1
	s_or_b32 exec_lo, exec_lo, s28
	v_lshlrev_b32_e32 v6, 8, v6
	v_lshl_add_u32 v15, v15, 10, 0x2000
	v_lshlrev_b32_e32 v14, 23, v14
	v_and_or_b32 v6, 0x8000, v6, v15
	v_lshl_or_b32 v14, v6, 16, v14
.LBB302_3392:                           ;   in Loop: Header=BB302_2076 Depth=1
	s_or_b32 exec_lo, exec_lo, s27
.LBB302_3393:                           ;   in Loop: Header=BB302_2076 Depth=1
	s_or_b32 exec_lo, exec_lo, s26
.LBB302_3394:                           ;   in Loop: Header=BB302_2076 Depth=1
	s_or_b32 exec_lo, exec_lo, s25
	v_or_b32_e32 v6, v79, v88
	v_or_b32_e32 v78, v77, v78
	s_waitcnt vmcnt(0) lgkmcnt(0)
	v_fma_mixlo_f16 v77, v66, v77, 0 op_sel:[0,1,0] op_sel_hi:[0,1,0]
	v_or_b32_e32 v72, v89, v72
	v_or_b32_e32 v88, v14, v71
	v_fma_mixlo_f16 v15, v66, v79, 0 op_sel:[0,1,0] op_sel_hi:[0,1,0]
	v_fma_mixlo_f16 v79, v66, v6, 0 op_sel_hi:[0,1,0]
	v_lshlrev_b32_e32 v71, 16, v77
	v_fma_mixlo_f16 v77, v66, v78, 0 op_sel_hi:[0,1,0]
	v_fma_mixlo_f16 v78, v66, v89, 0 op_sel:[0,1,0] op_sel_hi:[0,1,0]
	v_fma_mixlo_f16 v72, v66, v72, 0 op_sel_hi:[0,1,0]
	v_fma_mixlo_f16 v14, v66, v14, 0 op_sel:[0,1,0] op_sel_hi:[0,1,0]
	v_fma_mixlo_f16 v66, v66, v88, 0 op_sel_hi:[0,1,0]
	v_lshlrev_b32_e32 v6, 16, v15
	v_and_b32_e32 v15, 0xffff, v79
	v_and_b32_e32 v90, 0xffff, v77
	v_lshlrev_b32_e32 v79, 16, v78
	v_and_b32_e32 v89, 0xffff, v72
	v_lshlrev_b32_e32 v78, 16, v14
	v_and_b32_e32 v88, 0xffff, v66
	v_or_b32_e32 v14, v6, v15
	v_or_b32_e32 v77, v71, v90
	;; [unrolled: 1-line block ×4, first 2 shown]
	s_and_saveexec_b32 s12, s7
	s_cbranch_execz .LBB302_3396
; %bb.3395:                             ;   in Loop: Header=BB302_2076 Depth=1
	v_cndmask_b32_e32 v14, 0, v90, vcc_lo
	v_cndmask_b32_e64 v66, 0, v71, s5
	v_cndmask_b32_e64 v15, 0, v15, s4
	;; [unrolled: 1-line block ×7, first 2 shown]
	v_or_b32_e32 v77, v14, v66
	v_or_b32_e32 v14, v15, v6
	;; [unrolled: 1-line block ×4, first 2 shown]
.LBB302_3396:                           ;   in Loop: Header=BB302_2076 Depth=1
	s_or_b32 exec_lo, exec_lo, s12
	;;#ASMSTART
	v_pk_mul_f16 v6, v102, v77;

	;;#ASMEND
	;;#ASMSTART
	v_pk_mul_f16 v14, v101, v14;

	;;#ASMEND
	;; [unrolled: 4-line block ×4, first 2 shown]
	;;#ASMSTART
	v_pk_add_f16 v6, v6, v14;

	;;#ASMEND
	;;#ASMSTART
	v_pk_add_f16 v6, v6, v15;

	;;#ASMEND
	;; [unrolled: 4-line block ×3, first 2 shown]
	v_and_b32_e32 v14, 0xffff, v6
	v_lshrrev_b32_e32 v6, 16, v6
	;;#ASMSTART
	v_cvt_f32_f16 v77, v14;
	;;#ASMEND
	;;#ASMSTART
	v_cvt_f32_f16 v78, v6;
	;;#ASMEND
	flat_load_dwordx2 v[14:15], v[12:13] offset:1024
	s_clause 0x1
	buffer_load_dword v71, off, s[0:3], s32 offset:192
	buffer_load_dword v72, off, s[0:3], s32 offset:196
	v_mov_b32_e32 v79, 0
	v_mov_b32_e32 v88, 0
	s_waitcnt vmcnt(2) lgkmcnt(0)
	v_cmp_ne_u16_sdwa s12, v14, v7 src0_sel:BYTE_0 src1_sel:DWORD
	s_waitcnt vmcnt(0)
	flat_load_dword v66, v[71:72]
	s_and_saveexec_b32 s25, s12
	s_cbranch_execz .LBB302_3404
; %bb.3397:                             ;   in Loop: Header=BB302_2076 Depth=1
	v_cmp_ne_u16_sdwa s12, v14, v86 src0_sel:BYTE_0 src1_sel:DWORD
	v_mov_b32_e32 v88, 0x8000
	s_and_saveexec_b32 s26, s12
	s_cbranch_execz .LBB302_3403
; %bb.3398:                             ;   in Loop: Header=BB302_2076 Depth=1
	v_and_b32_e32 v72, 0x7f, v14
	v_mov_b32_e32 v88, 0x7c01
	s_mov_b32 s27, exec_lo
	v_cmpx_ne_u32_e32 0x7f, v72
	s_cbranch_execz .LBB302_3402
; %bb.3399:                             ;   in Loop: Header=BB302_2076 Depth=1
	v_and_b32_e32 v6, 7, v14
	v_lshrrev_b32_e32 v71, 3, v72
	s_mov_b32 s28, exec_lo
	v_cmpx_gt_u32_e32 8, v72
; %bb.3400:                             ;   in Loop: Header=BB302_2076 Depth=1
	v_ffbh_u32_e32 v6, v6
	v_min_u32_e32 v6, 32, v6
	v_subrev_nc_u32_e32 v71, 28, v6
	v_lshlrev_b64 v[88:89], v71, v[14:15]
	v_sub_nc_u32_e32 v71, 29, v6
	v_and_b32_e32 v6, 7, v88
; %bb.3401:                             ;   in Loop: Header=BB302_2076 Depth=1
	s_or_b32 exec_lo, exec_lo, s28
	v_lshlrev_b32_e32 v72, 8, v14
	v_lshl_add_u32 v71, v71, 10, 0x2000
	v_lshlrev_b32_e32 v6, 7, v6
	v_and_b32_e32 v72, 0x8000, v72
	v_and_b32_e32 v71, 0xfc00, v71
	v_or3_b32 v88, v72, v71, v6
.LBB302_3402:                           ;   in Loop: Header=BB302_2076 Depth=1
	s_or_b32 exec_lo, exec_lo, s27
.LBB302_3403:                           ;   in Loop: Header=BB302_2076 Depth=1
	s_or_b32 exec_lo, exec_lo, s26
.LBB302_3404:                           ;   in Loop: Header=BB302_2076 Depth=1
	s_or_b32 exec_lo, exec_lo, s25
	v_lshrrev_b16 v6, 8, v14
	s_mov_b32 s25, exec_lo
	v_cmpx_ne_u16_e32 0, v6
	s_cbranch_execz .LBB302_3412
; %bb.3405:                             ;   in Loop: Header=BB302_2076 Depth=1
	v_bfrev_b32_e32 v79, 1
	s_mov_b32 s26, exec_lo
	v_cmpx_ne_u16_e32 0x80, v6
	s_cbranch_execz .LBB302_3411
; %bb.3406:                             ;   in Loop: Header=BB302_2076 Depth=1
	v_and_b32_sdwa v89, v6, v87 dst_sel:DWORD dst_unused:UNUSED_PAD src0_sel:WORD_0 src1_sel:DWORD
	v_mov_b32_e32 v79, 0x7c010000
	s_mov_b32 s27, exec_lo
	v_cmpx_ne_u32_e32 0x7f, v89
	s_cbranch_execz .LBB302_3410
; %bb.3407:                             ;   in Loop: Header=BB302_2076 Depth=1
	v_and_b32_sdwa v71, v6, v96 dst_sel:DWORD dst_unused:UNUSED_PAD src0_sel:WORD_0 src1_sel:DWORD
	v_lshrrev_b32_e32 v72, 3, v89
	s_mov_b32 s28, exec_lo
	v_cmpx_gt_u32_e32 8, v89
; %bb.3408:                             ;   in Loop: Header=BB302_2076 Depth=1
	v_ffbh_u32_e32 v71, v71
	v_min_u32_e32 v79, 32, v71
	v_subrev_nc_u32_e32 v71, 28, v79
	v_lshlrev_b64 v[71:72], v71, v[6:7]
	v_sub_nc_u32_e32 v72, 29, v79
	v_and_b32_e32 v71, 7, v71
; %bb.3409:                             ;   in Loop: Header=BB302_2076 Depth=1
	s_or_b32 exec_lo, exec_lo, s28
	v_lshlrev_b32_sdwa v6, v97, v6 dst_sel:DWORD dst_unused:UNUSED_PAD src0_sel:DWORD src1_sel:WORD_0
	v_lshl_add_u32 v72, v72, 10, 0x2000
	v_lshlrev_b32_e32 v71, 23, v71
	v_and_or_b32 v6, 0x8000, v6, v72
	v_lshl_or_b32 v79, v6, 16, v71
.LBB302_3410:                           ;   in Loop: Header=BB302_2076 Depth=1
	s_or_b32 exec_lo, exec_lo, s27
.LBB302_3411:                           ;   in Loop: Header=BB302_2076 Depth=1
	s_or_b32 exec_lo, exec_lo, s26
.LBB302_3412:                           ;   in Loop: Header=BB302_2076 Depth=1
	s_or_b32 exec_lo, exec_lo, s25
	v_lshrrev_b32_e32 v6, 16, v14
	v_mov_b32_e32 v89, 0
	v_mov_b32_e32 v90, 0
	v_cmp_ne_u16_sdwa s12, v6, v7 src0_sel:BYTE_0 src1_sel:DWORD
	s_and_saveexec_b32 s25, s12
	s_cbranch_execz .LBB302_3420
; %bb.3413:                             ;   in Loop: Header=BB302_2076 Depth=1
	v_cmp_ne_u16_sdwa s12, v6, v86 src0_sel:BYTE_0 src1_sel:DWORD
	v_mov_b32_e32 v90, 0x8000
	s_and_saveexec_b32 s26, s12
	s_cbranch_execz .LBB302_3419
; %bb.3414:                             ;   in Loop: Header=BB302_2076 Depth=1
	v_bfe_u32 v91, v14, 16, 7
	v_mov_b32_e32 v90, 0x7c01
	s_mov_b32 s27, exec_lo
	v_cmpx_ne_u32_e32 0x7f, v91
	s_cbranch_execz .LBB302_3418
; %bb.3415:                             ;   in Loop: Header=BB302_2076 Depth=1
	v_and_b32_e32 v71, 7, v6
	v_lshrrev_b32_e32 v72, 3, v91
	s_mov_b32 s28, exec_lo
	v_cmpx_gt_u32_e32 8, v91
; %bb.3416:                             ;   in Loop: Header=BB302_2076 Depth=1
	v_ffbh_u32_e32 v71, v71
	v_min_u32_e32 v90, 32, v71
	v_subrev_nc_u32_e32 v71, 28, v90
	v_lshlrev_b64 v[71:72], v71, v[6:7]
	v_sub_nc_u32_e32 v72, 29, v90
	v_and_b32_e32 v71, 7, v71
; %bb.3417:                             ;   in Loop: Header=BB302_2076 Depth=1
	s_or_b32 exec_lo, exec_lo, s28
	v_lshlrev_b32_e32 v6, 8, v6
	v_lshl_add_u32 v72, v72, 10, 0x2000
	v_lshlrev_b32_e32 v71, 7, v71
	v_and_b32_e32 v6, 0x8000, v6
	v_and_b32_e32 v72, 0xfc00, v72
	v_or3_b32 v90, v6, v72, v71
.LBB302_3418:                           ;   in Loop: Header=BB302_2076 Depth=1
	s_or_b32 exec_lo, exec_lo, s27
.LBB302_3419:                           ;   in Loop: Header=BB302_2076 Depth=1
	s_or_b32 exec_lo, exec_lo, s26
.LBB302_3420:                           ;   in Loop: Header=BB302_2076 Depth=1
	s_or_b32 exec_lo, exec_lo, s25
	s_mov_b32 s25, exec_lo
	v_cmpx_lt_u32_e32 0xffffff, v14
	s_cbranch_execz .LBB302_3428
; %bb.3421:                             ;   in Loop: Header=BB302_2076 Depth=1
	v_lshrrev_b32_e32 v6, 24, v14
	v_bfrev_b32_e32 v89, 1
	s_mov_b32 s26, exec_lo
	v_cmpx_ne_u32_e32 0x80, v6
	s_cbranch_execz .LBB302_3427
; %bb.3422:                             ;   in Loop: Header=BB302_2076 Depth=1
	v_and_b32_e32 v91, 0x7f, v6
	v_mov_b32_e32 v89, 0x7c010000
	s_mov_b32 s27, exec_lo
	v_cmpx_ne_u32_e32 0x7f, v91
	s_cbranch_execz .LBB302_3426
; %bb.3423:                             ;   in Loop: Header=BB302_2076 Depth=1
	v_and_b32_e32 v71, 7, v6
	v_lshrrev_b32_e32 v72, 3, v91
	s_mov_b32 s28, exec_lo
	v_cmpx_gt_u32_e32 8, v91
; %bb.3424:                             ;   in Loop: Header=BB302_2076 Depth=1
	v_ffbh_u32_e32 v71, v71
	v_min_u32_e32 v89, 32, v71
	v_subrev_nc_u32_e32 v71, 28, v89
	v_lshlrev_b64 v[71:72], v71, v[6:7]
	v_sub_nc_u32_e32 v72, 29, v89
	v_and_b32_e32 v71, 7, v71
; %bb.3425:                             ;   in Loop: Header=BB302_2076 Depth=1
	s_or_b32 exec_lo, exec_lo, s28
	v_lshlrev_b32_e32 v6, 8, v6
	v_lshl_add_u32 v72, v72, 10, 0x2000
	v_lshlrev_b32_e32 v71, 23, v71
	v_and_or_b32 v6, 0x8000, v6, v72
	v_lshl_or_b32 v89, v6, 16, v71
.LBB302_3426:                           ;   in Loop: Header=BB302_2076 Depth=1
	s_or_b32 exec_lo, exec_lo, s27
.LBB302_3427:                           ;   in Loop: Header=BB302_2076 Depth=1
	s_or_b32 exec_lo, exec_lo, s26
.LBB302_3428:                           ;   in Loop: Header=BB302_2076 Depth=1
	s_or_b32 exec_lo, exec_lo, s25
	v_mov_b32_e32 v6, v15
	v_cmp_ne_u16_sdwa s12, v15, v7 src0_sel:BYTE_0 src1_sel:DWORD
	v_mov_b32_e32 v71, 0
	v_mov_b32_e32 v72, 0
	s_and_saveexec_b32 s25, s12
	s_cbranch_execz .LBB302_3436
; %bb.3429:                             ;   in Loop: Header=BB302_2076 Depth=1
	v_cmp_ne_u16_sdwa s12, v15, v86 src0_sel:BYTE_0 src1_sel:DWORD
	v_mov_b32_e32 v72, 0x8000
	s_and_saveexec_b32 s26, s12
	s_cbranch_execz .LBB302_3435
; %bb.3430:                             ;   in Loop: Header=BB302_2076 Depth=1
	v_and_b32_e32 v92, 0x7f, v15
	v_mov_b32_e32 v72, 0x7c01
	s_mov_b32 s27, exec_lo
	v_cmpx_ne_u32_e32 0x7f, v92
	s_cbranch_execz .LBB302_3434
; %bb.3431:                             ;   in Loop: Header=BB302_2076 Depth=1
	v_and_b32_e32 v72, 7, v15
	v_lshrrev_b32_e32 v91, 3, v92
	s_mov_b32 s28, exec_lo
	v_cmpx_gt_u32_e32 8, v92
; %bb.3432:                             ;   in Loop: Header=BB302_2076 Depth=1
	v_ffbh_u32_e32 v72, v72
	v_min_u32_e32 v72, 32, v72
	v_subrev_nc_u32_e32 v91, 28, v72
	v_lshlrev_b64 v[92:93], v91, v[6:7]
	v_sub_nc_u32_e32 v91, 29, v72
	v_and_b32_e32 v72, 7, v92
; %bb.3433:                             ;   in Loop: Header=BB302_2076 Depth=1
	s_or_b32 exec_lo, exec_lo, s28
	v_lshlrev_b32_e32 v92, 8, v15
	v_lshl_add_u32 v91, v91, 10, 0x2000
	v_lshlrev_b32_e32 v72, 7, v72
	v_and_b32_e32 v92, 0x8000, v92
	v_and_b32_e32 v91, 0xfc00, v91
	v_or3_b32 v72, v92, v91, v72
.LBB302_3434:                           ;   in Loop: Header=BB302_2076 Depth=1
	s_or_b32 exec_lo, exec_lo, s27
.LBB302_3435:                           ;   in Loop: Header=BB302_2076 Depth=1
	s_or_b32 exec_lo, exec_lo, s26
.LBB302_3436:                           ;   in Loop: Header=BB302_2076 Depth=1
	s_or_b32 exec_lo, exec_lo, s25
	v_lshrrev_b16 v6, 8, v6
	v_mov_b32_e32 v91, 0
	s_mov_b32 s25, exec_lo
	v_cmpx_ne_u16_e32 0, v6
	s_cbranch_execz .LBB302_3444
; %bb.3437:                             ;   in Loop: Header=BB302_2076 Depth=1
	v_bfrev_b32_e32 v91, 1
	s_mov_b32 s26, exec_lo
	v_cmpx_ne_u16_e32 0x80, v6
	s_cbranch_execz .LBB302_3443
; %bb.3438:                             ;   in Loop: Header=BB302_2076 Depth=1
	v_and_b32_sdwa v93, v6, v87 dst_sel:DWORD dst_unused:UNUSED_PAD src0_sel:WORD_0 src1_sel:DWORD
	v_mov_b32_e32 v91, 0x7c010000
	s_mov_b32 s27, exec_lo
	v_cmpx_ne_u32_e32 0x7f, v93
	s_cbranch_execz .LBB302_3442
; %bb.3439:                             ;   in Loop: Header=BB302_2076 Depth=1
	v_and_b32_sdwa v91, v6, v96 dst_sel:DWORD dst_unused:UNUSED_PAD src0_sel:WORD_0 src1_sel:DWORD
	v_lshrrev_b32_e32 v92, 3, v93
	s_mov_b32 s28, exec_lo
	v_cmpx_gt_u32_e32 8, v93
; %bb.3440:                             ;   in Loop: Header=BB302_2076 Depth=1
	v_ffbh_u32_e32 v91, v91
	v_min_u32_e32 v93, 32, v91
	v_subrev_nc_u32_e32 v91, 28, v93
	v_lshlrev_b64 v[91:92], v91, v[6:7]
	v_sub_nc_u32_e32 v92, 29, v93
	v_and_b32_e32 v91, 7, v91
; %bb.3441:                             ;   in Loop: Header=BB302_2076 Depth=1
	s_or_b32 exec_lo, exec_lo, s28
	v_lshlrev_b32_sdwa v6, v97, v6 dst_sel:DWORD dst_unused:UNUSED_PAD src0_sel:DWORD src1_sel:WORD_0
	v_lshl_add_u32 v92, v92, 10, 0x2000
	v_lshlrev_b32_e32 v91, 23, v91
	v_and_or_b32 v6, 0x8000, v6, v92
	v_lshl_or_b32 v91, v6, 16, v91
.LBB302_3442:                           ;   in Loop: Header=BB302_2076 Depth=1
	s_or_b32 exec_lo, exec_lo, s27
.LBB302_3443:                           ;   in Loop: Header=BB302_2076 Depth=1
	s_or_b32 exec_lo, exec_lo, s26
.LBB302_3444:                           ;   in Loop: Header=BB302_2076 Depth=1
	s_or_b32 exec_lo, exec_lo, s25
	v_lshrrev_b32_e32 v6, 16, v15
	v_cmp_ne_u16_sdwa s12, v6, v7 src0_sel:BYTE_0 src1_sel:DWORD
	s_and_saveexec_b32 s25, s12
	s_cbranch_execz .LBB302_3452
; %bb.3445:                             ;   in Loop: Header=BB302_2076 Depth=1
	v_cmp_ne_u16_sdwa s12, v6, v86 src0_sel:BYTE_0 src1_sel:DWORD
	v_mov_b32_e32 v71, 0x8000
	s_and_saveexec_b32 s26, s12
	s_cbranch_execz .LBB302_3451
; %bb.3446:                             ;   in Loop: Header=BB302_2076 Depth=1
	v_bfe_u32 v93, v15, 16, 7
	v_mov_b32_e32 v71, 0x7c01
	s_mov_b32 s27, exec_lo
	v_cmpx_ne_u32_e32 0x7f, v93
	s_cbranch_execz .LBB302_3450
; %bb.3447:                             ;   in Loop: Header=BB302_2076 Depth=1
	v_and_b32_e32 v71, 7, v6
	v_lshrrev_b32_e32 v92, 3, v93
	s_mov_b32 s28, exec_lo
	v_cmpx_gt_u32_e32 8, v93
; %bb.3448:                             ;   in Loop: Header=BB302_2076 Depth=1
	v_ffbh_u32_e32 v71, v71
	v_min_u32_e32 v71, 32, v71
	v_subrev_nc_u32_e32 v92, 28, v71
	v_lshlrev_b64 v[93:94], v92, v[6:7]
	v_sub_nc_u32_e32 v92, 29, v71
	v_and_b32_e32 v71, 7, v93
; %bb.3449:                             ;   in Loop: Header=BB302_2076 Depth=1
	s_or_b32 exec_lo, exec_lo, s28
	v_lshlrev_b32_e32 v6, 8, v6
	v_lshl_add_u32 v92, v92, 10, 0x2000
	v_lshlrev_b32_e32 v71, 7, v71
	v_and_b32_e32 v6, 0x8000, v6
	v_and_b32_e32 v92, 0xfc00, v92
	v_or3_b32 v71, v6, v92, v71
.LBB302_3450:                           ;   in Loop: Header=BB302_2076 Depth=1
	s_or_b32 exec_lo, exec_lo, s27
.LBB302_3451:                           ;   in Loop: Header=BB302_2076 Depth=1
	s_or_b32 exec_lo, exec_lo, s26
.LBB302_3452:                           ;   in Loop: Header=BB302_2076 Depth=1
	s_or_b32 exec_lo, exec_lo, s25
	v_cmp_lt_u64_e64 s12, s[22:23], v[14:15]
	v_mov_b32_e32 v14, 0
	s_and_saveexec_b32 s25, s12
	s_cbranch_execz .LBB302_3460
; %bb.3453:                             ;   in Loop: Header=BB302_2076 Depth=1
	v_lshrrev_b32_e32 v6, 24, v15
	v_bfrev_b32_e32 v14, 1
	s_mov_b32 s26, exec_lo
	v_cmpx_ne_u32_e32 0x80, v6
	s_cbranch_execz .LBB302_3459
; %bb.3454:                             ;   in Loop: Header=BB302_2076 Depth=1
	v_and_b32_e32 v92, 0x7f, v6
	v_mov_b32_e32 v14, 0x7c010000
	s_mov_b32 s27, exec_lo
	v_cmpx_ne_u32_e32 0x7f, v92
	s_cbranch_execz .LBB302_3458
; %bb.3455:                             ;   in Loop: Header=BB302_2076 Depth=1
	v_and_b32_e32 v14, 7, v6
	v_lshrrev_b32_e32 v15, 3, v92
	s_mov_b32 s28, exec_lo
	v_cmpx_gt_u32_e32 8, v92
; %bb.3456:                             ;   in Loop: Header=BB302_2076 Depth=1
	v_ffbh_u32_e32 v14, v14
	v_min_u32_e32 v92, 32, v14
	v_subrev_nc_u32_e32 v14, 28, v92
	v_lshlrev_b64 v[14:15], v14, v[6:7]
	v_sub_nc_u32_e32 v15, 29, v92
	v_and_b32_e32 v14, 7, v14
; %bb.3457:                             ;   in Loop: Header=BB302_2076 Depth=1
	s_or_b32 exec_lo, exec_lo, s28
	v_lshlrev_b32_e32 v6, 8, v6
	v_lshl_add_u32 v15, v15, 10, 0x2000
	v_lshlrev_b32_e32 v14, 23, v14
	v_and_or_b32 v6, 0x8000, v6, v15
	v_lshl_or_b32 v14, v6, 16, v14
.LBB302_3458:                           ;   in Loop: Header=BB302_2076 Depth=1
	s_or_b32 exec_lo, exec_lo, s27
.LBB302_3459:                           ;   in Loop: Header=BB302_2076 Depth=1
	s_or_b32 exec_lo, exec_lo, s26
.LBB302_3460:                           ;   in Loop: Header=BB302_2076 Depth=1
	s_or_b32 exec_lo, exec_lo, s25
	v_or_b32_e32 v6, v89, v90
	v_or_b32_e32 v88, v79, v88
	s_waitcnt vmcnt(0) lgkmcnt(0)
	v_fma_mixlo_f16 v79, v66, v79, 0 op_sel:[0,1,0] op_sel_hi:[0,1,0]
	v_or_b32_e32 v72, v91, v72
	v_or_b32_e32 v90, v14, v71
	v_fma_mixlo_f16 v15, v66, v89, 0 op_sel:[0,1,0] op_sel_hi:[0,1,0]
	v_fma_mixlo_f16 v89, v66, v6, 0 op_sel_hi:[0,1,0]
	v_lshlrev_b32_e32 v71, 16, v79
	v_fma_mixlo_f16 v79, v66, v88, 0 op_sel_hi:[0,1,0]
	v_fma_mixlo_f16 v88, v66, v91, 0 op_sel:[0,1,0] op_sel_hi:[0,1,0]
	v_fma_mixlo_f16 v72, v66, v72, 0 op_sel_hi:[0,1,0]
	v_fma_mixlo_f16 v14, v66, v14, 0 op_sel:[0,1,0] op_sel_hi:[0,1,0]
	v_fma_mixlo_f16 v66, v66, v90, 0 op_sel_hi:[0,1,0]
	v_lshlrev_b32_e32 v6, 16, v15
	v_and_b32_e32 v15, 0xffff, v89
	v_and_b32_e32 v92, 0xffff, v79
	v_lshlrev_b32_e32 v89, 16, v88
	v_and_b32_e32 v91, 0xffff, v72
	v_lshlrev_b32_e32 v88, 16, v14
	v_and_b32_e32 v90, 0xffff, v66
	v_or_b32_e32 v14, v6, v15
	v_or_b32_e32 v79, v71, v92
	;; [unrolled: 1-line block ×4, first 2 shown]
	s_and_saveexec_b32 s12, s7
	s_cbranch_execz .LBB302_3462
; %bb.3461:                             ;   in Loop: Header=BB302_2076 Depth=1
	v_cndmask_b32_e32 v14, 0, v92, vcc_lo
	v_cndmask_b32_e64 v66, 0, v71, s5
	v_cndmask_b32_e64 v15, 0, v15, s4
	;; [unrolled: 1-line block ×7, first 2 shown]
	v_or_b32_e32 v79, v14, v66
	v_or_b32_e32 v14, v15, v6
	;; [unrolled: 1-line block ×4, first 2 shown]
.LBB302_3462:                           ;   in Loop: Header=BB302_2076 Depth=1
	s_or_b32 exec_lo, exec_lo, s12
	;;#ASMSTART
	v_pk_mul_f16 v6, v102, v79;

	;;#ASMEND
	;;#ASMSTART
	v_pk_mul_f16 v14, v101, v14;

	;;#ASMEND
	;;#ASMSTART
	v_pk_mul_f16 v15, v100, v72;

	;;#ASMEND
	;;#ASMSTART
	v_pk_mul_f16 v66, v99, v66;

	;;#ASMEND
	;;#ASMSTART
	v_pk_add_f16 v6, v6, v14;

	;;#ASMEND
	;;#ASMSTART
	v_pk_add_f16 v6, v6, v15;

	;;#ASMEND
	;;#ASMSTART
	v_pk_add_f16 v6, v6, v66;

	;;#ASMEND
	v_and_b32_e32 v14, 0xffff, v6
	v_lshrrev_b32_e32 v6, 16, v6
	;;#ASMSTART
	v_cvt_f32_f16 v79, v14;
	;;#ASMEND
	;;#ASMSTART
	v_cvt_f32_f16 v88, v6;
	;;#ASMEND
	flat_load_dwordx2 v[14:15], v[12:13] offset:1280
	s_clause 0x1
	buffer_load_dword v71, off, s[0:3], s32 offset:192
	buffer_load_dword v72, off, s[0:3], s32 offset:196
	v_mov_b32_e32 v89, 0
	v_mov_b32_e32 v90, 0
	s_waitcnt vmcnt(2) lgkmcnt(0)
	v_cmp_ne_u16_sdwa s12, v14, v7 src0_sel:BYTE_0 src1_sel:DWORD
	s_waitcnt vmcnt(0)
	flat_load_dword v66, v[71:72]
	s_and_saveexec_b32 s25, s12
	s_cbranch_execz .LBB302_3470
; %bb.3463:                             ;   in Loop: Header=BB302_2076 Depth=1
	v_cmp_ne_u16_sdwa s12, v14, v86 src0_sel:BYTE_0 src1_sel:DWORD
	v_mov_b32_e32 v90, 0x8000
	s_and_saveexec_b32 s26, s12
	s_cbranch_execz .LBB302_3469
; %bb.3464:                             ;   in Loop: Header=BB302_2076 Depth=1
	v_and_b32_e32 v72, 0x7f, v14
	v_mov_b32_e32 v90, 0x7c01
	s_mov_b32 s27, exec_lo
	v_cmpx_ne_u32_e32 0x7f, v72
	s_cbranch_execz .LBB302_3468
; %bb.3465:                             ;   in Loop: Header=BB302_2076 Depth=1
	v_and_b32_e32 v6, 7, v14
	v_lshrrev_b32_e32 v71, 3, v72
	s_mov_b32 s28, exec_lo
	v_cmpx_gt_u32_e32 8, v72
; %bb.3466:                             ;   in Loop: Header=BB302_2076 Depth=1
	v_ffbh_u32_e32 v6, v6
	v_min_u32_e32 v6, 32, v6
	v_subrev_nc_u32_e32 v71, 28, v6
	v_lshlrev_b64 v[90:91], v71, v[14:15]
	v_sub_nc_u32_e32 v71, 29, v6
	v_and_b32_e32 v6, 7, v90
; %bb.3467:                             ;   in Loop: Header=BB302_2076 Depth=1
	s_or_b32 exec_lo, exec_lo, s28
	v_lshlrev_b32_e32 v72, 8, v14
	v_lshl_add_u32 v71, v71, 10, 0x2000
	v_lshlrev_b32_e32 v6, 7, v6
	v_and_b32_e32 v72, 0x8000, v72
	v_and_b32_e32 v71, 0xfc00, v71
	v_or3_b32 v90, v72, v71, v6
.LBB302_3468:                           ;   in Loop: Header=BB302_2076 Depth=1
	s_or_b32 exec_lo, exec_lo, s27
.LBB302_3469:                           ;   in Loop: Header=BB302_2076 Depth=1
	s_or_b32 exec_lo, exec_lo, s26
.LBB302_3470:                           ;   in Loop: Header=BB302_2076 Depth=1
	s_or_b32 exec_lo, exec_lo, s25
	v_lshrrev_b16 v6, 8, v14
	s_mov_b32 s25, exec_lo
	v_cmpx_ne_u16_e32 0, v6
	s_cbranch_execz .LBB302_3478
; %bb.3471:                             ;   in Loop: Header=BB302_2076 Depth=1
	v_bfrev_b32_e32 v89, 1
	s_mov_b32 s26, exec_lo
	v_cmpx_ne_u16_e32 0x80, v6
	s_cbranch_execz .LBB302_3477
; %bb.3472:                             ;   in Loop: Header=BB302_2076 Depth=1
	v_and_b32_sdwa v91, v6, v87 dst_sel:DWORD dst_unused:UNUSED_PAD src0_sel:WORD_0 src1_sel:DWORD
	v_mov_b32_e32 v89, 0x7c010000
	s_mov_b32 s27, exec_lo
	v_cmpx_ne_u32_e32 0x7f, v91
	s_cbranch_execz .LBB302_3476
; %bb.3473:                             ;   in Loop: Header=BB302_2076 Depth=1
	v_and_b32_sdwa v71, v6, v96 dst_sel:DWORD dst_unused:UNUSED_PAD src0_sel:WORD_0 src1_sel:DWORD
	v_lshrrev_b32_e32 v72, 3, v91
	s_mov_b32 s28, exec_lo
	v_cmpx_gt_u32_e32 8, v91
; %bb.3474:                             ;   in Loop: Header=BB302_2076 Depth=1
	v_ffbh_u32_e32 v71, v71
	v_min_u32_e32 v89, 32, v71
	v_subrev_nc_u32_e32 v71, 28, v89
	v_lshlrev_b64 v[71:72], v71, v[6:7]
	v_sub_nc_u32_e32 v72, 29, v89
	v_and_b32_e32 v71, 7, v71
; %bb.3475:                             ;   in Loop: Header=BB302_2076 Depth=1
	s_or_b32 exec_lo, exec_lo, s28
	v_lshlrev_b32_sdwa v6, v97, v6 dst_sel:DWORD dst_unused:UNUSED_PAD src0_sel:DWORD src1_sel:WORD_0
	v_lshl_add_u32 v72, v72, 10, 0x2000
	v_lshlrev_b32_e32 v71, 23, v71
	v_and_or_b32 v6, 0x8000, v6, v72
	v_lshl_or_b32 v89, v6, 16, v71
.LBB302_3476:                           ;   in Loop: Header=BB302_2076 Depth=1
	s_or_b32 exec_lo, exec_lo, s27
.LBB302_3477:                           ;   in Loop: Header=BB302_2076 Depth=1
	s_or_b32 exec_lo, exec_lo, s26
.LBB302_3478:                           ;   in Loop: Header=BB302_2076 Depth=1
	s_or_b32 exec_lo, exec_lo, s25
	v_lshrrev_b32_e32 v6, 16, v14
	v_mov_b32_e32 v91, 0
	v_mov_b32_e32 v92, 0
	v_cmp_ne_u16_sdwa s12, v6, v7 src0_sel:BYTE_0 src1_sel:DWORD
	s_and_saveexec_b32 s25, s12
	s_cbranch_execz .LBB302_3486
; %bb.3479:                             ;   in Loop: Header=BB302_2076 Depth=1
	v_cmp_ne_u16_sdwa s12, v6, v86 src0_sel:BYTE_0 src1_sel:DWORD
	v_mov_b32_e32 v92, 0x8000
	s_and_saveexec_b32 s26, s12
	s_cbranch_execz .LBB302_3485
; %bb.3480:                             ;   in Loop: Header=BB302_2076 Depth=1
	v_bfe_u32 v93, v14, 16, 7
	v_mov_b32_e32 v92, 0x7c01
	s_mov_b32 s27, exec_lo
	v_cmpx_ne_u32_e32 0x7f, v93
	s_cbranch_execz .LBB302_3484
; %bb.3481:                             ;   in Loop: Header=BB302_2076 Depth=1
	v_and_b32_e32 v71, 7, v6
	v_lshrrev_b32_e32 v72, 3, v93
	s_mov_b32 s28, exec_lo
	v_cmpx_gt_u32_e32 8, v93
; %bb.3482:                             ;   in Loop: Header=BB302_2076 Depth=1
	v_ffbh_u32_e32 v71, v71
	v_min_u32_e32 v92, 32, v71
	v_subrev_nc_u32_e32 v71, 28, v92
	v_lshlrev_b64 v[71:72], v71, v[6:7]
	v_sub_nc_u32_e32 v72, 29, v92
	v_and_b32_e32 v71, 7, v71
; %bb.3483:                             ;   in Loop: Header=BB302_2076 Depth=1
	s_or_b32 exec_lo, exec_lo, s28
	v_lshlrev_b32_e32 v6, 8, v6
	v_lshl_add_u32 v72, v72, 10, 0x2000
	v_lshlrev_b32_e32 v71, 7, v71
	v_and_b32_e32 v6, 0x8000, v6
	v_and_b32_e32 v72, 0xfc00, v72
	v_or3_b32 v92, v6, v72, v71
.LBB302_3484:                           ;   in Loop: Header=BB302_2076 Depth=1
	s_or_b32 exec_lo, exec_lo, s27
.LBB302_3485:                           ;   in Loop: Header=BB302_2076 Depth=1
	s_or_b32 exec_lo, exec_lo, s26
.LBB302_3486:                           ;   in Loop: Header=BB302_2076 Depth=1
	s_or_b32 exec_lo, exec_lo, s25
	s_mov_b32 s25, exec_lo
	v_cmpx_lt_u32_e32 0xffffff, v14
	s_cbranch_execz .LBB302_3494
; %bb.3487:                             ;   in Loop: Header=BB302_2076 Depth=1
	v_lshrrev_b32_e32 v6, 24, v14
	v_bfrev_b32_e32 v91, 1
	s_mov_b32 s26, exec_lo
	v_cmpx_ne_u32_e32 0x80, v6
	s_cbranch_execz .LBB302_3493
; %bb.3488:                             ;   in Loop: Header=BB302_2076 Depth=1
	v_and_b32_e32 v93, 0x7f, v6
	v_mov_b32_e32 v91, 0x7c010000
	s_mov_b32 s27, exec_lo
	v_cmpx_ne_u32_e32 0x7f, v93
	s_cbranch_execz .LBB302_3492
; %bb.3489:                             ;   in Loop: Header=BB302_2076 Depth=1
	v_and_b32_e32 v71, 7, v6
	v_lshrrev_b32_e32 v72, 3, v93
	s_mov_b32 s28, exec_lo
	v_cmpx_gt_u32_e32 8, v93
; %bb.3490:                             ;   in Loop: Header=BB302_2076 Depth=1
	v_ffbh_u32_e32 v71, v71
	v_min_u32_e32 v91, 32, v71
	v_subrev_nc_u32_e32 v71, 28, v91
	v_lshlrev_b64 v[71:72], v71, v[6:7]
	v_sub_nc_u32_e32 v72, 29, v91
	v_and_b32_e32 v71, 7, v71
; %bb.3491:                             ;   in Loop: Header=BB302_2076 Depth=1
	s_or_b32 exec_lo, exec_lo, s28
	v_lshlrev_b32_e32 v6, 8, v6
	v_lshl_add_u32 v72, v72, 10, 0x2000
	v_lshlrev_b32_e32 v71, 23, v71
	v_and_or_b32 v6, 0x8000, v6, v72
	v_lshl_or_b32 v91, v6, 16, v71
.LBB302_3492:                           ;   in Loop: Header=BB302_2076 Depth=1
	s_or_b32 exec_lo, exec_lo, s27
.LBB302_3493:                           ;   in Loop: Header=BB302_2076 Depth=1
	s_or_b32 exec_lo, exec_lo, s26
.LBB302_3494:                           ;   in Loop: Header=BB302_2076 Depth=1
	s_or_b32 exec_lo, exec_lo, s25
	v_mov_b32_e32 v6, v15
	v_cmp_ne_u16_sdwa s12, v15, v7 src0_sel:BYTE_0 src1_sel:DWORD
	v_mov_b32_e32 v71, 0
	v_mov_b32_e32 v72, 0
	s_and_saveexec_b32 s25, s12
	s_cbranch_execz .LBB302_3502
; %bb.3495:                             ;   in Loop: Header=BB302_2076 Depth=1
	v_cmp_ne_u16_sdwa s12, v15, v86 src0_sel:BYTE_0 src1_sel:DWORD
	v_mov_b32_e32 v72, 0x8000
	s_and_saveexec_b32 s26, s12
	s_cbranch_execz .LBB302_3501
; %bb.3496:                             ;   in Loop: Header=BB302_2076 Depth=1
	v_and_b32_e32 v94, 0x7f, v15
	v_mov_b32_e32 v72, 0x7c01
	s_mov_b32 s27, exec_lo
	v_cmpx_ne_u32_e32 0x7f, v94
	s_cbranch_execz .LBB302_3500
; %bb.3497:                             ;   in Loop: Header=BB302_2076 Depth=1
	v_and_b32_e32 v72, 7, v15
	v_lshrrev_b32_e32 v93, 3, v94
	s_mov_b32 s28, exec_lo
	v_cmpx_gt_u32_e32 8, v94
; %bb.3498:                             ;   in Loop: Header=BB302_2076 Depth=1
	v_ffbh_u32_e32 v72, v72
	v_min_u32_e32 v72, 32, v72
	v_subrev_nc_u32_e32 v93, 28, v72
	v_lshlrev_b64 v[94:95], v93, v[6:7]
	v_sub_nc_u32_e32 v93, 29, v72
	v_and_b32_e32 v72, 7, v94
; %bb.3499:                             ;   in Loop: Header=BB302_2076 Depth=1
	s_or_b32 exec_lo, exec_lo, s28
	v_lshlrev_b32_e32 v94, 8, v15
	v_lshl_add_u32 v93, v93, 10, 0x2000
	v_lshlrev_b32_e32 v72, 7, v72
	v_and_b32_e32 v94, 0x8000, v94
	v_and_b32_e32 v93, 0xfc00, v93
	v_or3_b32 v72, v94, v93, v72
.LBB302_3500:                           ;   in Loop: Header=BB302_2076 Depth=1
	s_or_b32 exec_lo, exec_lo, s27
.LBB302_3501:                           ;   in Loop: Header=BB302_2076 Depth=1
	s_or_b32 exec_lo, exec_lo, s26
.LBB302_3502:                           ;   in Loop: Header=BB302_2076 Depth=1
	s_or_b32 exec_lo, exec_lo, s25
	v_lshrrev_b16 v6, 8, v6
	v_mov_b32_e32 v93, 0
	s_mov_b32 s25, exec_lo
	v_cmpx_ne_u16_e32 0, v6
	s_cbranch_execz .LBB302_3510
; %bb.3503:                             ;   in Loop: Header=BB302_2076 Depth=1
	v_bfrev_b32_e32 v93, 1
	s_mov_b32 s26, exec_lo
	v_cmpx_ne_u16_e32 0x80, v6
	s_cbranch_execz .LBB302_3509
; %bb.3504:                             ;   in Loop: Header=BB302_2076 Depth=1
	v_and_b32_sdwa v95, v6, v87 dst_sel:DWORD dst_unused:UNUSED_PAD src0_sel:WORD_0 src1_sel:DWORD
	v_mov_b32_e32 v93, 0x7c010000
	s_mov_b32 s27, exec_lo
	v_cmpx_ne_u32_e32 0x7f, v95
	s_cbranch_execz .LBB302_3508
; %bb.3505:                             ;   in Loop: Header=BB302_2076 Depth=1
	v_and_b32_sdwa v93, v6, v96 dst_sel:DWORD dst_unused:UNUSED_PAD src0_sel:WORD_0 src1_sel:DWORD
	v_lshrrev_b32_e32 v94, 3, v95
	s_mov_b32 s28, exec_lo
	v_cmpx_gt_u32_e32 8, v95
; %bb.3506:                             ;   in Loop: Header=BB302_2076 Depth=1
	v_ffbh_u32_e32 v93, v93
	v_min_u32_e32 v95, 32, v93
	v_subrev_nc_u32_e32 v93, 28, v95
	v_lshlrev_b64 v[93:94], v93, v[6:7]
	v_sub_nc_u32_e32 v94, 29, v95
	v_and_b32_e32 v93, 7, v93
; %bb.3507:                             ;   in Loop: Header=BB302_2076 Depth=1
	s_or_b32 exec_lo, exec_lo, s28
	v_lshlrev_b32_sdwa v6, v97, v6 dst_sel:DWORD dst_unused:UNUSED_PAD src0_sel:DWORD src1_sel:WORD_0
	v_lshl_add_u32 v94, v94, 10, 0x2000
	v_lshlrev_b32_e32 v93, 23, v93
	v_and_or_b32 v6, 0x8000, v6, v94
	v_lshl_or_b32 v93, v6, 16, v93
.LBB302_3508:                           ;   in Loop: Header=BB302_2076 Depth=1
	s_or_b32 exec_lo, exec_lo, s27
.LBB302_3509:                           ;   in Loop: Header=BB302_2076 Depth=1
	s_or_b32 exec_lo, exec_lo, s26
.LBB302_3510:                           ;   in Loop: Header=BB302_2076 Depth=1
	s_or_b32 exec_lo, exec_lo, s25
	v_lshrrev_b32_e32 v6, 16, v15
	v_cmp_ne_u16_sdwa s12, v6, v7 src0_sel:BYTE_0 src1_sel:DWORD
	s_and_saveexec_b32 s25, s12
	s_cbranch_execz .LBB302_3518
; %bb.3511:                             ;   in Loop: Header=BB302_2076 Depth=1
	v_cmp_ne_u16_sdwa s12, v6, v86 src0_sel:BYTE_0 src1_sel:DWORD
	v_mov_b32_e32 v71, 0x8000
	s_and_saveexec_b32 s26, s12
	s_cbranch_execz .LBB302_3517
; %bb.3512:                             ;   in Loop: Header=BB302_2076 Depth=1
	v_bfe_u32 v95, v15, 16, 7
	v_mov_b32_e32 v71, 0x7c01
	s_mov_b32 s27, exec_lo
	v_cmpx_ne_u32_e32 0x7f, v95
	s_cbranch_execz .LBB302_3516
; %bb.3513:                             ;   in Loop: Header=BB302_2076 Depth=1
	v_and_b32_e32 v71, 7, v6
	v_lshrrev_b32_e32 v94, 3, v95
	s_mov_b32 s28, exec_lo
	v_cmpx_gt_u32_e32 8, v95
; %bb.3514:                             ;   in Loop: Header=BB302_2076 Depth=1
	v_ffbh_u32_e32 v71, v71
	v_min_u32_e32 v71, 32, v71
	v_subrev_nc_u32_e32 v94, 28, v71
	v_lshlrev_b64 v[105:106], v94, v[6:7]
	v_sub_nc_u32_e32 v94, 29, v71
	v_and_b32_e32 v71, 7, v105
; %bb.3515:                             ;   in Loop: Header=BB302_2076 Depth=1
	s_or_b32 exec_lo, exec_lo, s28
	v_lshlrev_b32_e32 v6, 8, v6
	v_lshl_add_u32 v94, v94, 10, 0x2000
	v_lshlrev_b32_e32 v71, 7, v71
	v_and_b32_e32 v6, 0x8000, v6
	v_and_b32_e32 v94, 0xfc00, v94
	v_or3_b32 v71, v6, v94, v71
.LBB302_3516:                           ;   in Loop: Header=BB302_2076 Depth=1
	s_or_b32 exec_lo, exec_lo, s27
.LBB302_3517:                           ;   in Loop: Header=BB302_2076 Depth=1
	s_or_b32 exec_lo, exec_lo, s26
.LBB302_3518:                           ;   in Loop: Header=BB302_2076 Depth=1
	s_or_b32 exec_lo, exec_lo, s25
	v_cmp_lt_u64_e64 s12, s[22:23], v[14:15]
	v_mov_b32_e32 v14, 0
	s_and_saveexec_b32 s25, s12
	s_cbranch_execz .LBB302_3526
; %bb.3519:                             ;   in Loop: Header=BB302_2076 Depth=1
	v_lshrrev_b32_e32 v6, 24, v15
	v_bfrev_b32_e32 v14, 1
	s_mov_b32 s26, exec_lo
	v_cmpx_ne_u32_e32 0x80, v6
	s_cbranch_execz .LBB302_3525
; %bb.3520:                             ;   in Loop: Header=BB302_2076 Depth=1
	v_and_b32_e32 v94, 0x7f, v6
	v_mov_b32_e32 v14, 0x7c010000
	s_mov_b32 s27, exec_lo
	v_cmpx_ne_u32_e32 0x7f, v94
	s_cbranch_execz .LBB302_3524
; %bb.3521:                             ;   in Loop: Header=BB302_2076 Depth=1
	v_and_b32_e32 v14, 7, v6
	v_lshrrev_b32_e32 v15, 3, v94
	s_mov_b32 s28, exec_lo
	v_cmpx_gt_u32_e32 8, v94
; %bb.3522:                             ;   in Loop: Header=BB302_2076 Depth=1
	v_ffbh_u32_e32 v14, v14
	v_min_u32_e32 v94, 32, v14
	v_subrev_nc_u32_e32 v14, 28, v94
	v_lshlrev_b64 v[14:15], v14, v[6:7]
	v_sub_nc_u32_e32 v15, 29, v94
	v_and_b32_e32 v14, 7, v14
; %bb.3523:                             ;   in Loop: Header=BB302_2076 Depth=1
	s_or_b32 exec_lo, exec_lo, s28
	v_lshlrev_b32_e32 v6, 8, v6
	v_lshl_add_u32 v15, v15, 10, 0x2000
	v_lshlrev_b32_e32 v14, 23, v14
	v_and_or_b32 v6, 0x8000, v6, v15
	v_lshl_or_b32 v14, v6, 16, v14
.LBB302_3524:                           ;   in Loop: Header=BB302_2076 Depth=1
	s_or_b32 exec_lo, exec_lo, s27
.LBB302_3525:                           ;   in Loop: Header=BB302_2076 Depth=1
	s_or_b32 exec_lo, exec_lo, s26
.LBB302_3526:                           ;   in Loop: Header=BB302_2076 Depth=1
	s_or_b32 exec_lo, exec_lo, s25
	v_or_b32_e32 v6, v91, v92
	v_or_b32_e32 v90, v89, v90
	s_waitcnt vmcnt(0) lgkmcnt(0)
	v_fma_mixlo_f16 v89, v66, v89, 0 op_sel:[0,1,0] op_sel_hi:[0,1,0]
	v_or_b32_e32 v72, v93, v72
	v_or_b32_e32 v92, v14, v71
	v_fma_mixlo_f16 v15, v66, v91, 0 op_sel:[0,1,0] op_sel_hi:[0,1,0]
	v_fma_mixlo_f16 v91, v66, v6, 0 op_sel_hi:[0,1,0]
	v_lshlrev_b32_e32 v71, 16, v89
	v_fma_mixlo_f16 v89, v66, v90, 0 op_sel_hi:[0,1,0]
	v_fma_mixlo_f16 v90, v66, v93, 0 op_sel:[0,1,0] op_sel_hi:[0,1,0]
	v_fma_mixlo_f16 v72, v66, v72, 0 op_sel_hi:[0,1,0]
	v_fma_mixlo_f16 v14, v66, v14, 0 op_sel:[0,1,0] op_sel_hi:[0,1,0]
	v_fma_mixlo_f16 v66, v66, v92, 0 op_sel_hi:[0,1,0]
	v_lshlrev_b32_e32 v6, 16, v15
	v_and_b32_e32 v15, 0xffff, v91
	v_and_b32_e32 v94, 0xffff, v89
	v_lshlrev_b32_e32 v91, 16, v90
	v_and_b32_e32 v93, 0xffff, v72
	v_lshlrev_b32_e32 v90, 16, v14
	v_and_b32_e32 v92, 0xffff, v66
	v_or_b32_e32 v14, v6, v15
	v_or_b32_e32 v89, v71, v94
	;; [unrolled: 1-line block ×4, first 2 shown]
	s_and_saveexec_b32 s12, s7
	s_cbranch_execz .LBB302_3528
; %bb.3527:                             ;   in Loop: Header=BB302_2076 Depth=1
	v_cndmask_b32_e32 v14, 0, v94, vcc_lo
	v_cndmask_b32_e64 v66, 0, v71, s5
	v_cndmask_b32_e64 v15, 0, v15, s4
	;; [unrolled: 1-line block ×7, first 2 shown]
	v_or_b32_e32 v89, v14, v66
	v_or_b32_e32 v14, v15, v6
	;; [unrolled: 1-line block ×4, first 2 shown]
.LBB302_3528:                           ;   in Loop: Header=BB302_2076 Depth=1
	s_or_b32 exec_lo, exec_lo, s12
	;;#ASMSTART
	v_pk_mul_f16 v6, v102, v89;

	;;#ASMEND
	;;#ASMSTART
	v_pk_mul_f16 v14, v101, v14;

	;;#ASMEND
	;; [unrolled: 4-line block ×4, first 2 shown]
	;;#ASMSTART
	v_pk_add_f16 v6, v6, v14;

	;;#ASMEND
	;;#ASMSTART
	v_pk_add_f16 v6, v6, v15;

	;;#ASMEND
	;; [unrolled: 4-line block ×3, first 2 shown]
	v_and_b32_e32 v14, 0xffff, v6
	v_lshrrev_b32_e32 v6, 16, v6
	;;#ASMSTART
	v_cvt_f32_f16 v89, v14;
	;;#ASMEND
	;;#ASMSTART
	v_cvt_f32_f16 v90, v6;
	;;#ASMEND
	flat_load_dwordx2 v[14:15], v[12:13] offset:1536
	s_clause 0x1
	buffer_load_dword v71, off, s[0:3], s32 offset:192
	buffer_load_dword v72, off, s[0:3], s32 offset:196
	v_mov_b32_e32 v91, 0
	v_mov_b32_e32 v92, 0
	s_waitcnt vmcnt(2) lgkmcnt(0)
	v_cmp_ne_u16_sdwa s12, v14, v7 src0_sel:BYTE_0 src1_sel:DWORD
	s_waitcnt vmcnt(0)
	flat_load_dword v66, v[71:72]
	s_and_saveexec_b32 s25, s12
	s_cbranch_execz .LBB302_3536
; %bb.3529:                             ;   in Loop: Header=BB302_2076 Depth=1
	v_cmp_ne_u16_sdwa s12, v14, v86 src0_sel:BYTE_0 src1_sel:DWORD
	v_mov_b32_e32 v92, 0x8000
	s_and_saveexec_b32 s26, s12
	s_cbranch_execz .LBB302_3535
; %bb.3530:                             ;   in Loop: Header=BB302_2076 Depth=1
	v_and_b32_e32 v72, 0x7f, v14
	v_mov_b32_e32 v92, 0x7c01
	s_mov_b32 s27, exec_lo
	v_cmpx_ne_u32_e32 0x7f, v72
	s_cbranch_execz .LBB302_3534
; %bb.3531:                             ;   in Loop: Header=BB302_2076 Depth=1
	v_and_b32_e32 v6, 7, v14
	v_lshrrev_b32_e32 v71, 3, v72
	s_mov_b32 s28, exec_lo
	v_cmpx_gt_u32_e32 8, v72
; %bb.3532:                             ;   in Loop: Header=BB302_2076 Depth=1
	v_ffbh_u32_e32 v6, v6
	v_min_u32_e32 v6, 32, v6
	v_subrev_nc_u32_e32 v71, 28, v6
	v_lshlrev_b64 v[92:93], v71, v[14:15]
	v_sub_nc_u32_e32 v71, 29, v6
	v_and_b32_e32 v6, 7, v92
; %bb.3533:                             ;   in Loop: Header=BB302_2076 Depth=1
	s_or_b32 exec_lo, exec_lo, s28
	v_lshlrev_b32_e32 v72, 8, v14
	v_lshl_add_u32 v71, v71, 10, 0x2000
	v_lshlrev_b32_e32 v6, 7, v6
	v_and_b32_e32 v72, 0x8000, v72
	v_and_b32_e32 v71, 0xfc00, v71
	v_or3_b32 v92, v72, v71, v6
.LBB302_3534:                           ;   in Loop: Header=BB302_2076 Depth=1
	s_or_b32 exec_lo, exec_lo, s27
.LBB302_3535:                           ;   in Loop: Header=BB302_2076 Depth=1
	s_or_b32 exec_lo, exec_lo, s26
.LBB302_3536:                           ;   in Loop: Header=BB302_2076 Depth=1
	s_or_b32 exec_lo, exec_lo, s25
	v_lshrrev_b16 v6, 8, v14
	s_mov_b32 s25, exec_lo
	v_cmpx_ne_u16_e32 0, v6
	s_cbranch_execz .LBB302_3544
; %bb.3537:                             ;   in Loop: Header=BB302_2076 Depth=1
	v_bfrev_b32_e32 v91, 1
	s_mov_b32 s26, exec_lo
	v_cmpx_ne_u16_e32 0x80, v6
	s_cbranch_execz .LBB302_3543
; %bb.3538:                             ;   in Loop: Header=BB302_2076 Depth=1
	v_and_b32_sdwa v93, v6, v87 dst_sel:DWORD dst_unused:UNUSED_PAD src0_sel:WORD_0 src1_sel:DWORD
	v_mov_b32_e32 v91, 0x7c010000
	s_mov_b32 s27, exec_lo
	v_cmpx_ne_u32_e32 0x7f, v93
	s_cbranch_execz .LBB302_3542
; %bb.3539:                             ;   in Loop: Header=BB302_2076 Depth=1
	v_and_b32_sdwa v71, v6, v96 dst_sel:DWORD dst_unused:UNUSED_PAD src0_sel:WORD_0 src1_sel:DWORD
	v_lshrrev_b32_e32 v72, 3, v93
	s_mov_b32 s28, exec_lo
	v_cmpx_gt_u32_e32 8, v93
; %bb.3540:                             ;   in Loop: Header=BB302_2076 Depth=1
	v_ffbh_u32_e32 v71, v71
	v_min_u32_e32 v91, 32, v71
	v_subrev_nc_u32_e32 v71, 28, v91
	v_lshlrev_b64 v[71:72], v71, v[6:7]
	v_sub_nc_u32_e32 v72, 29, v91
	v_and_b32_e32 v71, 7, v71
; %bb.3541:                             ;   in Loop: Header=BB302_2076 Depth=1
	s_or_b32 exec_lo, exec_lo, s28
	v_lshlrev_b32_sdwa v6, v97, v6 dst_sel:DWORD dst_unused:UNUSED_PAD src0_sel:DWORD src1_sel:WORD_0
	v_lshl_add_u32 v72, v72, 10, 0x2000
	v_lshlrev_b32_e32 v71, 23, v71
	v_and_or_b32 v6, 0x8000, v6, v72
	v_lshl_or_b32 v91, v6, 16, v71
.LBB302_3542:                           ;   in Loop: Header=BB302_2076 Depth=1
	s_or_b32 exec_lo, exec_lo, s27
.LBB302_3543:                           ;   in Loop: Header=BB302_2076 Depth=1
	s_or_b32 exec_lo, exec_lo, s26
.LBB302_3544:                           ;   in Loop: Header=BB302_2076 Depth=1
	s_or_b32 exec_lo, exec_lo, s25
	v_lshrrev_b32_e32 v6, 16, v14
	v_mov_b32_e32 v93, 0
	v_mov_b32_e32 v94, 0
	v_cmp_ne_u16_sdwa s12, v6, v7 src0_sel:BYTE_0 src1_sel:DWORD
	s_and_saveexec_b32 s25, s12
	s_cbranch_execz .LBB302_3552
; %bb.3545:                             ;   in Loop: Header=BB302_2076 Depth=1
	v_cmp_ne_u16_sdwa s12, v6, v86 src0_sel:BYTE_0 src1_sel:DWORD
	v_mov_b32_e32 v94, 0x8000
	s_and_saveexec_b32 s26, s12
	s_cbranch_execz .LBB302_3551
; %bb.3546:                             ;   in Loop: Header=BB302_2076 Depth=1
	v_bfe_u32 v95, v14, 16, 7
	v_mov_b32_e32 v94, 0x7c01
	s_mov_b32 s27, exec_lo
	v_cmpx_ne_u32_e32 0x7f, v95
	s_cbranch_execz .LBB302_3550
; %bb.3547:                             ;   in Loop: Header=BB302_2076 Depth=1
	v_and_b32_e32 v71, 7, v6
	v_lshrrev_b32_e32 v72, 3, v95
	s_mov_b32 s28, exec_lo
	v_cmpx_gt_u32_e32 8, v95
; %bb.3548:                             ;   in Loop: Header=BB302_2076 Depth=1
	v_ffbh_u32_e32 v71, v71
	v_min_u32_e32 v94, 32, v71
	v_subrev_nc_u32_e32 v71, 28, v94
	v_lshlrev_b64 v[71:72], v71, v[6:7]
	v_sub_nc_u32_e32 v72, 29, v94
	v_and_b32_e32 v71, 7, v71
; %bb.3549:                             ;   in Loop: Header=BB302_2076 Depth=1
	s_or_b32 exec_lo, exec_lo, s28
	v_lshlrev_b32_e32 v6, 8, v6
	v_lshl_add_u32 v72, v72, 10, 0x2000
	v_lshlrev_b32_e32 v71, 7, v71
	v_and_b32_e32 v6, 0x8000, v6
	v_and_b32_e32 v72, 0xfc00, v72
	v_or3_b32 v94, v6, v72, v71
.LBB302_3550:                           ;   in Loop: Header=BB302_2076 Depth=1
	s_or_b32 exec_lo, exec_lo, s27
.LBB302_3551:                           ;   in Loop: Header=BB302_2076 Depth=1
	s_or_b32 exec_lo, exec_lo, s26
.LBB302_3552:                           ;   in Loop: Header=BB302_2076 Depth=1
	s_or_b32 exec_lo, exec_lo, s25
	s_mov_b32 s25, exec_lo
	v_cmpx_lt_u32_e32 0xffffff, v14
	s_cbranch_execz .LBB302_3560
; %bb.3553:                             ;   in Loop: Header=BB302_2076 Depth=1
	v_lshrrev_b32_e32 v6, 24, v14
	v_bfrev_b32_e32 v93, 1
	s_mov_b32 s26, exec_lo
	v_cmpx_ne_u32_e32 0x80, v6
	s_cbranch_execz .LBB302_3559
; %bb.3554:                             ;   in Loop: Header=BB302_2076 Depth=1
	v_and_b32_e32 v95, 0x7f, v6
	v_mov_b32_e32 v93, 0x7c010000
	s_mov_b32 s27, exec_lo
	v_cmpx_ne_u32_e32 0x7f, v95
	s_cbranch_execz .LBB302_3558
; %bb.3555:                             ;   in Loop: Header=BB302_2076 Depth=1
	v_and_b32_e32 v71, 7, v6
	v_lshrrev_b32_e32 v72, 3, v95
	s_mov_b32 s28, exec_lo
	v_cmpx_gt_u32_e32 8, v95
; %bb.3556:                             ;   in Loop: Header=BB302_2076 Depth=1
	v_ffbh_u32_e32 v71, v71
	v_min_u32_e32 v93, 32, v71
	v_subrev_nc_u32_e32 v71, 28, v93
	v_lshlrev_b64 v[71:72], v71, v[6:7]
	v_sub_nc_u32_e32 v72, 29, v93
	v_and_b32_e32 v71, 7, v71
; %bb.3557:                             ;   in Loop: Header=BB302_2076 Depth=1
	s_or_b32 exec_lo, exec_lo, s28
	v_lshlrev_b32_e32 v6, 8, v6
	v_lshl_add_u32 v72, v72, 10, 0x2000
	v_lshlrev_b32_e32 v71, 23, v71
	v_and_or_b32 v6, 0x8000, v6, v72
	v_lshl_or_b32 v93, v6, 16, v71
.LBB302_3558:                           ;   in Loop: Header=BB302_2076 Depth=1
	s_or_b32 exec_lo, exec_lo, s27
.LBB302_3559:                           ;   in Loop: Header=BB302_2076 Depth=1
	s_or_b32 exec_lo, exec_lo, s26
.LBB302_3560:                           ;   in Loop: Header=BB302_2076 Depth=1
	s_or_b32 exec_lo, exec_lo, s25
	v_mov_b32_e32 v6, v15
	v_cmp_ne_u16_sdwa s12, v15, v7 src0_sel:BYTE_0 src1_sel:DWORD
	v_mov_b32_e32 v71, 0
	v_mov_b32_e32 v72, 0
	s_and_saveexec_b32 s25, s12
	s_cbranch_execz .LBB302_3568
; %bb.3561:                             ;   in Loop: Header=BB302_2076 Depth=1
	v_cmp_ne_u16_sdwa s12, v15, v86 src0_sel:BYTE_0 src1_sel:DWORD
	v_mov_b32_e32 v72, 0x8000
	s_and_saveexec_b32 s26, s12
	s_cbranch_execz .LBB302_3567
; %bb.3562:                             ;   in Loop: Header=BB302_2076 Depth=1
	v_and_b32_e32 v105, 0x7f, v15
	v_mov_b32_e32 v72, 0x7c01
	s_mov_b32 s27, exec_lo
	v_cmpx_ne_u32_e32 0x7f, v105
	s_cbranch_execz .LBB302_3566
; %bb.3563:                             ;   in Loop: Header=BB302_2076 Depth=1
	v_and_b32_e32 v72, 7, v15
	v_lshrrev_b32_e32 v95, 3, v105
	s_mov_b32 s28, exec_lo
	v_cmpx_gt_u32_e32 8, v105
; %bb.3564:                             ;   in Loop: Header=BB302_2076 Depth=1
	v_ffbh_u32_e32 v72, v72
	v_min_u32_e32 v72, 32, v72
	v_subrev_nc_u32_e32 v95, 28, v72
	v_lshlrev_b64 v[105:106], v95, v[6:7]
	v_sub_nc_u32_e32 v95, 29, v72
	v_and_b32_e32 v72, 7, v105
; %bb.3565:                             ;   in Loop: Header=BB302_2076 Depth=1
	s_or_b32 exec_lo, exec_lo, s28
	v_lshlrev_b32_e32 v105, 8, v15
	v_lshl_add_u32 v95, v95, 10, 0x2000
	v_lshlrev_b32_e32 v72, 7, v72
	v_and_b32_e32 v105, 0x8000, v105
	v_and_b32_e32 v95, 0xfc00, v95
	v_or3_b32 v72, v105, v95, v72
.LBB302_3566:                           ;   in Loop: Header=BB302_2076 Depth=1
	s_or_b32 exec_lo, exec_lo, s27
.LBB302_3567:                           ;   in Loop: Header=BB302_2076 Depth=1
	s_or_b32 exec_lo, exec_lo, s26
.LBB302_3568:                           ;   in Loop: Header=BB302_2076 Depth=1
	s_or_b32 exec_lo, exec_lo, s25
	v_lshrrev_b16 v6, 8, v6
	v_mov_b32_e32 v95, 0
	s_mov_b32 s25, exec_lo
	v_cmpx_ne_u16_e32 0, v6
	s_cbranch_execz .LBB302_3576
; %bb.3569:                             ;   in Loop: Header=BB302_2076 Depth=1
	v_bfrev_b32_e32 v95, 1
	s_mov_b32 s26, exec_lo
	v_cmpx_ne_u16_e32 0x80, v6
	s_cbranch_execz .LBB302_3575
; %bb.3570:                             ;   in Loop: Header=BB302_2076 Depth=1
	v_and_b32_sdwa v106, v6, v87 dst_sel:DWORD dst_unused:UNUSED_PAD src0_sel:WORD_0 src1_sel:DWORD
	v_mov_b32_e32 v95, 0x7c010000
	s_mov_b32 s27, exec_lo
	v_cmpx_ne_u32_e32 0x7f, v106
	s_cbranch_execz .LBB302_3574
; %bb.3571:                             ;   in Loop: Header=BB302_2076 Depth=1
	v_and_b32_sdwa v95, v6, v96 dst_sel:DWORD dst_unused:UNUSED_PAD src0_sel:WORD_0 src1_sel:DWORD
	v_lshrrev_b32_e32 v105, 3, v106
	s_mov_b32 s28, exec_lo
	v_cmpx_gt_u32_e32 8, v106
; %bb.3572:                             ;   in Loop: Header=BB302_2076 Depth=1
	v_ffbh_u32_e32 v95, v95
	v_min_u32_e32 v95, 32, v95
	v_subrev_nc_u32_e32 v105, 28, v95
	v_lshlrev_b64 v[106:107], v105, v[6:7]
	v_sub_nc_u32_e32 v105, 29, v95
	v_and_b32_e32 v95, 7, v106
; %bb.3573:                             ;   in Loop: Header=BB302_2076 Depth=1
	s_or_b32 exec_lo, exec_lo, s28
	v_lshlrev_b32_sdwa v6, v97, v6 dst_sel:DWORD dst_unused:UNUSED_PAD src0_sel:DWORD src1_sel:WORD_0
	v_lshl_add_u32 v105, v105, 10, 0x2000
	v_lshlrev_b32_e32 v95, 23, v95
	v_and_or_b32 v6, 0x8000, v6, v105
	v_lshl_or_b32 v95, v6, 16, v95
.LBB302_3574:                           ;   in Loop: Header=BB302_2076 Depth=1
	s_or_b32 exec_lo, exec_lo, s27
.LBB302_3575:                           ;   in Loop: Header=BB302_2076 Depth=1
	s_or_b32 exec_lo, exec_lo, s26
.LBB302_3576:                           ;   in Loop: Header=BB302_2076 Depth=1
	s_or_b32 exec_lo, exec_lo, s25
	v_lshrrev_b32_e32 v6, 16, v15
	v_cmp_ne_u16_sdwa s12, v6, v7 src0_sel:BYTE_0 src1_sel:DWORD
	s_and_saveexec_b32 s25, s12
	s_cbranch_execz .LBB302_3584
; %bb.3577:                             ;   in Loop: Header=BB302_2076 Depth=1
	v_cmp_ne_u16_sdwa s12, v6, v86 src0_sel:BYTE_0 src1_sel:DWORD
	v_mov_b32_e32 v71, 0x8000
	s_and_saveexec_b32 s26, s12
	s_cbranch_execz .LBB302_3583
; %bb.3578:                             ;   in Loop: Header=BB302_2076 Depth=1
	v_bfe_u32 v106, v15, 16, 7
	v_mov_b32_e32 v71, 0x7c01
	s_mov_b32 s27, exec_lo
	v_cmpx_ne_u32_e32 0x7f, v106
	s_cbranch_execz .LBB302_3582
; %bb.3579:                             ;   in Loop: Header=BB302_2076 Depth=1
	v_and_b32_e32 v71, 7, v6
	v_lshrrev_b32_e32 v105, 3, v106
	s_mov_b32 s28, exec_lo
	v_cmpx_gt_u32_e32 8, v106
; %bb.3580:                             ;   in Loop: Header=BB302_2076 Depth=1
	v_ffbh_u32_e32 v71, v71
	v_min_u32_e32 v71, 32, v71
	v_subrev_nc_u32_e32 v105, 28, v71
	v_lshlrev_b64 v[106:107], v105, v[6:7]
	v_sub_nc_u32_e32 v105, 29, v71
	v_and_b32_e32 v71, 7, v106
; %bb.3581:                             ;   in Loop: Header=BB302_2076 Depth=1
	s_or_b32 exec_lo, exec_lo, s28
	v_lshlrev_b32_e32 v6, 8, v6
	v_lshl_add_u32 v105, v105, 10, 0x2000
	v_lshlrev_b32_e32 v71, 7, v71
	v_and_b32_e32 v6, 0x8000, v6
	v_and_b32_e32 v105, 0xfc00, v105
	v_or3_b32 v71, v6, v105, v71
.LBB302_3582:                           ;   in Loop: Header=BB302_2076 Depth=1
	s_or_b32 exec_lo, exec_lo, s27
.LBB302_3583:                           ;   in Loop: Header=BB302_2076 Depth=1
	s_or_b32 exec_lo, exec_lo, s26
.LBB302_3584:                           ;   in Loop: Header=BB302_2076 Depth=1
	s_or_b32 exec_lo, exec_lo, s25
	v_cmp_lt_u64_e64 s12, s[22:23], v[14:15]
	v_mov_b32_e32 v14, 0
	s_and_saveexec_b32 s25, s12
	s_cbranch_execz .LBB302_3592
; %bb.3585:                             ;   in Loop: Header=BB302_2076 Depth=1
	v_lshrrev_b32_e32 v6, 24, v15
	v_bfrev_b32_e32 v14, 1
	s_mov_b32 s26, exec_lo
	v_cmpx_ne_u32_e32 0x80, v6
	s_cbranch_execz .LBB302_3591
; %bb.3586:                             ;   in Loop: Header=BB302_2076 Depth=1
	v_and_b32_e32 v105, 0x7f, v6
	v_mov_b32_e32 v14, 0x7c010000
	s_mov_b32 s27, exec_lo
	v_cmpx_ne_u32_e32 0x7f, v105
	s_cbranch_execz .LBB302_3590
; %bb.3587:                             ;   in Loop: Header=BB302_2076 Depth=1
	v_and_b32_e32 v14, 7, v6
	v_lshrrev_b32_e32 v15, 3, v105
	s_mov_b32 s28, exec_lo
	v_cmpx_gt_u32_e32 8, v105
; %bb.3588:                             ;   in Loop: Header=BB302_2076 Depth=1
	v_ffbh_u32_e32 v14, v14
	v_min_u32_e32 v105, 32, v14
	v_subrev_nc_u32_e32 v14, 28, v105
	v_lshlrev_b64 v[14:15], v14, v[6:7]
	v_sub_nc_u32_e32 v15, 29, v105
	v_and_b32_e32 v14, 7, v14
; %bb.3589:                             ;   in Loop: Header=BB302_2076 Depth=1
	s_or_b32 exec_lo, exec_lo, s28
	v_lshlrev_b32_e32 v6, 8, v6
	v_lshl_add_u32 v15, v15, 10, 0x2000
	v_lshlrev_b32_e32 v14, 23, v14
	v_and_or_b32 v6, 0x8000, v6, v15
	v_lshl_or_b32 v14, v6, 16, v14
.LBB302_3590:                           ;   in Loop: Header=BB302_2076 Depth=1
	s_or_b32 exec_lo, exec_lo, s27
.LBB302_3591:                           ;   in Loop: Header=BB302_2076 Depth=1
	s_or_b32 exec_lo, exec_lo, s26
.LBB302_3592:                           ;   in Loop: Header=BB302_2076 Depth=1
	s_or_b32 exec_lo, exec_lo, s25
	v_or_b32_e32 v6, v93, v94
	v_or_b32_e32 v92, v91, v92
	s_waitcnt vmcnt(0) lgkmcnt(0)
	v_fma_mixlo_f16 v91, v66, v91, 0 op_sel:[0,1,0] op_sel_hi:[0,1,0]
	v_or_b32_e32 v72, v95, v72
	v_or_b32_e32 v94, v14, v71
	v_fma_mixlo_f16 v15, v66, v93, 0 op_sel:[0,1,0] op_sel_hi:[0,1,0]
	v_fma_mixlo_f16 v93, v66, v6, 0 op_sel_hi:[0,1,0]
	v_lshlrev_b32_e32 v71, 16, v91
	v_fma_mixlo_f16 v91, v66, v92, 0 op_sel_hi:[0,1,0]
	v_fma_mixlo_f16 v92, v66, v95, 0 op_sel:[0,1,0] op_sel_hi:[0,1,0]
	v_fma_mixlo_f16 v72, v66, v72, 0 op_sel_hi:[0,1,0]
	v_fma_mixlo_f16 v14, v66, v14, 0 op_sel:[0,1,0] op_sel_hi:[0,1,0]
	v_fma_mixlo_f16 v66, v66, v94, 0 op_sel_hi:[0,1,0]
	v_lshlrev_b32_e32 v6, 16, v15
	v_and_b32_e32 v15, 0xffff, v93
	v_and_b32_e32 v105, 0xffff, v91
	v_lshlrev_b32_e32 v93, 16, v92
	v_and_b32_e32 v95, 0xffff, v72
	v_lshlrev_b32_e32 v92, 16, v14
	v_and_b32_e32 v94, 0xffff, v66
	v_or_b32_e32 v14, v6, v15
	v_or_b32_e32 v91, v71, v105
	;; [unrolled: 1-line block ×4, first 2 shown]
	s_and_saveexec_b32 s12, s7
	s_cbranch_execz .LBB302_3594
; %bb.3593:                             ;   in Loop: Header=BB302_2076 Depth=1
	v_cndmask_b32_e32 v14, 0, v105, vcc_lo
	v_cndmask_b32_e64 v66, 0, v71, s5
	v_cndmask_b32_e64 v15, 0, v15, s4
	;; [unrolled: 1-line block ×7, first 2 shown]
	v_or_b32_e32 v91, v14, v66
	v_or_b32_e32 v14, v15, v6
	;; [unrolled: 1-line block ×4, first 2 shown]
.LBB302_3594:                           ;   in Loop: Header=BB302_2076 Depth=1
	s_or_b32 exec_lo, exec_lo, s12
	;;#ASMSTART
	v_pk_mul_f16 v6, v102, v91;

	;;#ASMEND
	;;#ASMSTART
	v_pk_mul_f16 v14, v101, v14;

	;;#ASMEND
	;;#ASMSTART
	v_pk_mul_f16 v15, v100, v72;

	;;#ASMEND
	;;#ASMSTART
	v_pk_mul_f16 v66, v99, v66;

	;;#ASMEND
	;;#ASMSTART
	v_pk_add_f16 v6, v6, v14;

	;;#ASMEND
	;;#ASMSTART
	v_pk_add_f16 v6, v6, v15;

	;;#ASMEND
	;; [unrolled: 4-line block ×3, first 2 shown]
	v_and_b32_e32 v14, 0xffff, v6
	v_lshrrev_b32_e32 v6, 16, v6
	;;#ASMSTART
	v_cvt_f32_f16 v14, v14;
	;;#ASMEND
	;;#ASMSTART
	v_cvt_f32_f16 v15, v6;
	;;#ASMEND
	flat_load_dwordx2 v[12:13], v[12:13] offset:1792
	s_clause 0x1
	buffer_load_dword v71, off, s[0:3], s32 offset:192
	buffer_load_dword v72, off, s[0:3], s32 offset:196
	v_mov_b32_e32 v91, 0
	v_mov_b32_e32 v92, 0
	s_waitcnt vmcnt(2) lgkmcnt(0)
	v_cmp_ne_u16_sdwa s12, v12, v7 src0_sel:BYTE_0 src1_sel:DWORD
	s_waitcnt vmcnt(0)
	flat_load_dword v66, v[71:72]
	s_and_saveexec_b32 s25, s12
	s_cbranch_execz .LBB302_3602
; %bb.3595:                             ;   in Loop: Header=BB302_2076 Depth=1
	v_cmp_ne_u16_sdwa s12, v12, v86 src0_sel:BYTE_0 src1_sel:DWORD
	v_mov_b32_e32 v92, 0x8000
	s_and_saveexec_b32 s26, s12
	s_cbranch_execz .LBB302_3601
; %bb.3596:                             ;   in Loop: Header=BB302_2076 Depth=1
	v_and_b32_e32 v72, 0x7f, v12
	v_mov_b32_e32 v92, 0x7c01
	s_mov_b32 s27, exec_lo
	v_cmpx_ne_u32_e32 0x7f, v72
	s_cbranch_execz .LBB302_3600
; %bb.3597:                             ;   in Loop: Header=BB302_2076 Depth=1
	v_and_b32_e32 v6, 7, v12
	v_lshrrev_b32_e32 v71, 3, v72
	s_mov_b32 s28, exec_lo
	v_cmpx_gt_u32_e32 8, v72
; %bb.3598:                             ;   in Loop: Header=BB302_2076 Depth=1
	v_ffbh_u32_e32 v6, v6
	v_min_u32_e32 v6, 32, v6
	v_subrev_nc_u32_e32 v71, 28, v6
	v_lshlrev_b64 v[92:93], v71, v[12:13]
	v_sub_nc_u32_e32 v71, 29, v6
	v_and_b32_e32 v6, 7, v92
; %bb.3599:                             ;   in Loop: Header=BB302_2076 Depth=1
	s_or_b32 exec_lo, exec_lo, s28
	v_lshlrev_b32_e32 v72, 8, v12
	v_lshl_add_u32 v71, v71, 10, 0x2000
	v_lshlrev_b32_e32 v6, 7, v6
	v_and_b32_e32 v72, 0x8000, v72
	v_and_b32_e32 v71, 0xfc00, v71
	v_or3_b32 v92, v72, v71, v6
.LBB302_3600:                           ;   in Loop: Header=BB302_2076 Depth=1
	s_or_b32 exec_lo, exec_lo, s27
.LBB302_3601:                           ;   in Loop: Header=BB302_2076 Depth=1
	s_or_b32 exec_lo, exec_lo, s26
.LBB302_3602:                           ;   in Loop: Header=BB302_2076 Depth=1
	s_or_b32 exec_lo, exec_lo, s25
	v_lshrrev_b16 v6, 8, v12
	s_mov_b32 s25, exec_lo
	v_cmpx_ne_u16_e32 0, v6
	s_cbranch_execz .LBB302_3610
; %bb.3603:                             ;   in Loop: Header=BB302_2076 Depth=1
	v_bfrev_b32_e32 v91, 1
	s_mov_b32 s26, exec_lo
	v_cmpx_ne_u16_e32 0x80, v6
	s_cbranch_execz .LBB302_3609
; %bb.3604:                             ;   in Loop: Header=BB302_2076 Depth=1
	v_and_b32_sdwa v93, v6, v87 dst_sel:DWORD dst_unused:UNUSED_PAD src0_sel:WORD_0 src1_sel:DWORD
	v_mov_b32_e32 v91, 0x7c010000
	s_mov_b32 s27, exec_lo
	v_cmpx_ne_u32_e32 0x7f, v93
	s_cbranch_execz .LBB302_3608
; %bb.3605:                             ;   in Loop: Header=BB302_2076 Depth=1
	v_and_b32_sdwa v71, v6, v96 dst_sel:DWORD dst_unused:UNUSED_PAD src0_sel:WORD_0 src1_sel:DWORD
	v_lshrrev_b32_e32 v72, 3, v93
	s_mov_b32 s28, exec_lo
	v_cmpx_gt_u32_e32 8, v93
; %bb.3606:                             ;   in Loop: Header=BB302_2076 Depth=1
	v_ffbh_u32_e32 v71, v71
	v_min_u32_e32 v91, 32, v71
	v_subrev_nc_u32_e32 v71, 28, v91
	v_lshlrev_b64 v[71:72], v71, v[6:7]
	v_sub_nc_u32_e32 v72, 29, v91
	v_and_b32_e32 v71, 7, v71
; %bb.3607:                             ;   in Loop: Header=BB302_2076 Depth=1
	s_or_b32 exec_lo, exec_lo, s28
	v_lshlrev_b32_sdwa v6, v97, v6 dst_sel:DWORD dst_unused:UNUSED_PAD src0_sel:DWORD src1_sel:WORD_0
	v_lshl_add_u32 v72, v72, 10, 0x2000
	v_lshlrev_b32_e32 v71, 23, v71
	v_and_or_b32 v6, 0x8000, v6, v72
	v_lshl_or_b32 v91, v6, 16, v71
.LBB302_3608:                           ;   in Loop: Header=BB302_2076 Depth=1
	s_or_b32 exec_lo, exec_lo, s27
.LBB302_3609:                           ;   in Loop: Header=BB302_2076 Depth=1
	s_or_b32 exec_lo, exec_lo, s26
.LBB302_3610:                           ;   in Loop: Header=BB302_2076 Depth=1
	s_or_b32 exec_lo, exec_lo, s25
	v_lshrrev_b32_e32 v6, 16, v12
	v_mov_b32_e32 v93, 0
	v_mov_b32_e32 v94, 0
	v_cmp_ne_u16_sdwa s12, v6, v7 src0_sel:BYTE_0 src1_sel:DWORD
	s_and_saveexec_b32 s25, s12
	s_cbranch_execz .LBB302_3618
; %bb.3611:                             ;   in Loop: Header=BB302_2076 Depth=1
	v_cmp_ne_u16_sdwa s12, v6, v86 src0_sel:BYTE_0 src1_sel:DWORD
	v_mov_b32_e32 v94, 0x8000
	s_and_saveexec_b32 s26, s12
	s_cbranch_execz .LBB302_3617
; %bb.3612:                             ;   in Loop: Header=BB302_2076 Depth=1
	v_bfe_u32 v95, v12, 16, 7
	v_mov_b32_e32 v94, 0x7c01
	s_mov_b32 s27, exec_lo
	v_cmpx_ne_u32_e32 0x7f, v95
	s_cbranch_execz .LBB302_3616
; %bb.3613:                             ;   in Loop: Header=BB302_2076 Depth=1
	v_and_b32_e32 v71, 7, v6
	v_lshrrev_b32_e32 v72, 3, v95
	s_mov_b32 s28, exec_lo
	v_cmpx_gt_u32_e32 8, v95
; %bb.3614:                             ;   in Loop: Header=BB302_2076 Depth=1
	v_ffbh_u32_e32 v71, v71
	v_min_u32_e32 v94, 32, v71
	v_subrev_nc_u32_e32 v71, 28, v94
	v_lshlrev_b64 v[71:72], v71, v[6:7]
	v_sub_nc_u32_e32 v72, 29, v94
	v_and_b32_e32 v71, 7, v71
; %bb.3615:                             ;   in Loop: Header=BB302_2076 Depth=1
	s_or_b32 exec_lo, exec_lo, s28
	v_lshlrev_b32_e32 v6, 8, v6
	v_lshl_add_u32 v72, v72, 10, 0x2000
	v_lshlrev_b32_e32 v71, 7, v71
	v_and_b32_e32 v6, 0x8000, v6
	v_and_b32_e32 v72, 0xfc00, v72
	v_or3_b32 v94, v6, v72, v71
.LBB302_3616:                           ;   in Loop: Header=BB302_2076 Depth=1
	s_or_b32 exec_lo, exec_lo, s27
.LBB302_3617:                           ;   in Loop: Header=BB302_2076 Depth=1
	s_or_b32 exec_lo, exec_lo, s26
.LBB302_3618:                           ;   in Loop: Header=BB302_2076 Depth=1
	s_or_b32 exec_lo, exec_lo, s25
	s_mov_b32 s25, exec_lo
	v_cmpx_lt_u32_e32 0xffffff, v12
	s_cbranch_execz .LBB302_3626
; %bb.3619:                             ;   in Loop: Header=BB302_2076 Depth=1
	v_lshrrev_b32_e32 v6, 24, v12
	v_bfrev_b32_e32 v93, 1
	s_mov_b32 s26, exec_lo
	v_cmpx_ne_u32_e32 0x80, v6
	s_cbranch_execz .LBB302_3625
; %bb.3620:                             ;   in Loop: Header=BB302_2076 Depth=1
	v_and_b32_e32 v95, 0x7f, v6
	v_mov_b32_e32 v93, 0x7c010000
	s_mov_b32 s27, exec_lo
	v_cmpx_ne_u32_e32 0x7f, v95
	s_cbranch_execz .LBB302_3624
; %bb.3621:                             ;   in Loop: Header=BB302_2076 Depth=1
	v_and_b32_e32 v71, 7, v6
	v_lshrrev_b32_e32 v72, 3, v95
	s_mov_b32 s28, exec_lo
	v_cmpx_gt_u32_e32 8, v95
; %bb.3622:                             ;   in Loop: Header=BB302_2076 Depth=1
	v_ffbh_u32_e32 v71, v71
	v_min_u32_e32 v93, 32, v71
	v_subrev_nc_u32_e32 v71, 28, v93
	v_lshlrev_b64 v[71:72], v71, v[6:7]
	v_sub_nc_u32_e32 v72, 29, v93
	v_and_b32_e32 v71, 7, v71
; %bb.3623:                             ;   in Loop: Header=BB302_2076 Depth=1
	s_or_b32 exec_lo, exec_lo, s28
	v_lshlrev_b32_e32 v6, 8, v6
	v_lshl_add_u32 v72, v72, 10, 0x2000
	v_lshlrev_b32_e32 v71, 23, v71
	v_and_or_b32 v6, 0x8000, v6, v72
	v_lshl_or_b32 v93, v6, 16, v71
.LBB302_3624:                           ;   in Loop: Header=BB302_2076 Depth=1
	s_or_b32 exec_lo, exec_lo, s27
.LBB302_3625:                           ;   in Loop: Header=BB302_2076 Depth=1
	s_or_b32 exec_lo, exec_lo, s26
.LBB302_3626:                           ;   in Loop: Header=BB302_2076 Depth=1
	s_or_b32 exec_lo, exec_lo, s25
	v_mov_b32_e32 v6, v13
	v_cmp_ne_u16_sdwa s12, v13, v7 src0_sel:BYTE_0 src1_sel:DWORD
	v_mov_b32_e32 v71, 0
	v_mov_b32_e32 v72, 0
	s_and_saveexec_b32 s25, s12
	s_cbranch_execz .LBB302_3634
; %bb.3627:                             ;   in Loop: Header=BB302_2076 Depth=1
	v_cmp_ne_u16_sdwa s12, v13, v86 src0_sel:BYTE_0 src1_sel:DWORD
	v_mov_b32_e32 v72, 0x8000
	s_and_saveexec_b32 s26, s12
	s_cbranch_execz .LBB302_3633
; %bb.3628:                             ;   in Loop: Header=BB302_2076 Depth=1
	v_and_b32_e32 v105, 0x7f, v13
	v_mov_b32_e32 v72, 0x7c01
	s_mov_b32 s27, exec_lo
	v_cmpx_ne_u32_e32 0x7f, v105
	s_cbranch_execz .LBB302_3632
; %bb.3629:                             ;   in Loop: Header=BB302_2076 Depth=1
	v_and_b32_e32 v72, 7, v13
	v_lshrrev_b32_e32 v95, 3, v105
	s_mov_b32 s28, exec_lo
	v_cmpx_gt_u32_e32 8, v105
; %bb.3630:                             ;   in Loop: Header=BB302_2076 Depth=1
	v_ffbh_u32_e32 v72, v72
	v_min_u32_e32 v72, 32, v72
	v_subrev_nc_u32_e32 v95, 28, v72
	v_lshlrev_b64 v[105:106], v95, v[6:7]
	v_sub_nc_u32_e32 v95, 29, v72
	v_and_b32_e32 v72, 7, v105
; %bb.3631:                             ;   in Loop: Header=BB302_2076 Depth=1
	s_or_b32 exec_lo, exec_lo, s28
	v_lshlrev_b32_e32 v105, 8, v13
	v_lshl_add_u32 v95, v95, 10, 0x2000
	v_lshlrev_b32_e32 v72, 7, v72
	v_and_b32_e32 v105, 0x8000, v105
	v_and_b32_e32 v95, 0xfc00, v95
	v_or3_b32 v72, v105, v95, v72
.LBB302_3632:                           ;   in Loop: Header=BB302_2076 Depth=1
	s_or_b32 exec_lo, exec_lo, s27
.LBB302_3633:                           ;   in Loop: Header=BB302_2076 Depth=1
	s_or_b32 exec_lo, exec_lo, s26
.LBB302_3634:                           ;   in Loop: Header=BB302_2076 Depth=1
	s_or_b32 exec_lo, exec_lo, s25
	v_lshrrev_b16 v6, 8, v6
	v_mov_b32_e32 v95, 0
	s_mov_b32 s25, exec_lo
	v_cmpx_ne_u16_e32 0, v6
	s_cbranch_execz .LBB302_3642
; %bb.3635:                             ;   in Loop: Header=BB302_2076 Depth=1
	v_bfrev_b32_e32 v95, 1
	s_mov_b32 s26, exec_lo
	v_cmpx_ne_u16_e32 0x80, v6
	s_cbranch_execz .LBB302_3641
; %bb.3636:                             ;   in Loop: Header=BB302_2076 Depth=1
	v_and_b32_sdwa v106, v6, v87 dst_sel:DWORD dst_unused:UNUSED_PAD src0_sel:WORD_0 src1_sel:DWORD
	v_mov_b32_e32 v95, 0x7c010000
	s_mov_b32 s27, exec_lo
	v_cmpx_ne_u32_e32 0x7f, v106
	s_cbranch_execz .LBB302_3640
; %bb.3637:                             ;   in Loop: Header=BB302_2076 Depth=1
	v_and_b32_sdwa v95, v6, v96 dst_sel:DWORD dst_unused:UNUSED_PAD src0_sel:WORD_0 src1_sel:DWORD
	v_lshrrev_b32_e32 v105, 3, v106
	s_mov_b32 s28, exec_lo
	v_cmpx_gt_u32_e32 8, v106
; %bb.3638:                             ;   in Loop: Header=BB302_2076 Depth=1
	v_ffbh_u32_e32 v95, v95
	v_min_u32_e32 v95, 32, v95
	v_subrev_nc_u32_e32 v105, 28, v95
	v_lshlrev_b64 v[106:107], v105, v[6:7]
	v_sub_nc_u32_e32 v105, 29, v95
	v_and_b32_e32 v95, 7, v106
; %bb.3639:                             ;   in Loop: Header=BB302_2076 Depth=1
	s_or_b32 exec_lo, exec_lo, s28
	v_lshlrev_b32_sdwa v6, v97, v6 dst_sel:DWORD dst_unused:UNUSED_PAD src0_sel:DWORD src1_sel:WORD_0
	v_lshl_add_u32 v105, v105, 10, 0x2000
	v_lshlrev_b32_e32 v95, 23, v95
	v_and_or_b32 v6, 0x8000, v6, v105
	v_lshl_or_b32 v95, v6, 16, v95
.LBB302_3640:                           ;   in Loop: Header=BB302_2076 Depth=1
	s_or_b32 exec_lo, exec_lo, s27
.LBB302_3641:                           ;   in Loop: Header=BB302_2076 Depth=1
	s_or_b32 exec_lo, exec_lo, s26
.LBB302_3642:                           ;   in Loop: Header=BB302_2076 Depth=1
	s_or_b32 exec_lo, exec_lo, s25
	v_lshrrev_b32_e32 v6, 16, v13
	v_cmp_ne_u16_sdwa s12, v6, v7 src0_sel:BYTE_0 src1_sel:DWORD
	s_and_saveexec_b32 s25, s12
	s_cbranch_execz .LBB302_3650
; %bb.3643:                             ;   in Loop: Header=BB302_2076 Depth=1
	v_cmp_ne_u16_sdwa s12, v6, v86 src0_sel:BYTE_0 src1_sel:DWORD
	v_mov_b32_e32 v71, 0x8000
	s_and_saveexec_b32 s26, s12
	s_cbranch_execz .LBB302_3649
; %bb.3644:                             ;   in Loop: Header=BB302_2076 Depth=1
	v_bfe_u32 v106, v13, 16, 7
	v_mov_b32_e32 v71, 0x7c01
	s_mov_b32 s27, exec_lo
	v_cmpx_ne_u32_e32 0x7f, v106
	s_cbranch_execz .LBB302_3648
; %bb.3645:                             ;   in Loop: Header=BB302_2076 Depth=1
	v_and_b32_e32 v71, 7, v6
	v_lshrrev_b32_e32 v105, 3, v106
	s_mov_b32 s28, exec_lo
	v_cmpx_gt_u32_e32 8, v106
; %bb.3646:                             ;   in Loop: Header=BB302_2076 Depth=1
	v_ffbh_u32_e32 v71, v71
	v_min_u32_e32 v71, 32, v71
	v_subrev_nc_u32_e32 v105, 28, v71
	v_lshlrev_b64 v[106:107], v105, v[6:7]
	v_sub_nc_u32_e32 v105, 29, v71
	v_and_b32_e32 v71, 7, v106
; %bb.3647:                             ;   in Loop: Header=BB302_2076 Depth=1
	s_or_b32 exec_lo, exec_lo, s28
	v_lshlrev_b32_e32 v6, 8, v6
	v_lshl_add_u32 v105, v105, 10, 0x2000
	v_lshlrev_b32_e32 v71, 7, v71
	v_and_b32_e32 v6, 0x8000, v6
	v_and_b32_e32 v105, 0xfc00, v105
	v_or3_b32 v71, v6, v105, v71
.LBB302_3648:                           ;   in Loop: Header=BB302_2076 Depth=1
	s_or_b32 exec_lo, exec_lo, s27
.LBB302_3649:                           ;   in Loop: Header=BB302_2076 Depth=1
	s_or_b32 exec_lo, exec_lo, s26
.LBB302_3650:                           ;   in Loop: Header=BB302_2076 Depth=1
	s_or_b32 exec_lo, exec_lo, s25
	v_cmp_lt_u64_e64 s12, s[22:23], v[12:13]
	v_mov_b32_e32 v12, 0
	s_and_saveexec_b32 s25, s12
	s_cbranch_execz .LBB302_3658
; %bb.3651:                             ;   in Loop: Header=BB302_2076 Depth=1
	v_lshrrev_b32_e32 v6, 24, v13
	v_bfrev_b32_e32 v12, 1
	s_mov_b32 s26, exec_lo
	v_cmpx_ne_u32_e32 0x80, v6
	s_cbranch_execz .LBB302_3657
; %bb.3652:                             ;   in Loop: Header=BB302_2076 Depth=1
	v_and_b32_e32 v105, 0x7f, v6
	v_mov_b32_e32 v12, 0x7c010000
	s_mov_b32 s27, exec_lo
	v_cmpx_ne_u32_e32 0x7f, v105
	s_cbranch_execz .LBB302_3656
; %bb.3653:                             ;   in Loop: Header=BB302_2076 Depth=1
	v_and_b32_e32 v12, 7, v6
	v_lshrrev_b32_e32 v13, 3, v105
	s_mov_b32 s28, exec_lo
	v_cmpx_gt_u32_e32 8, v105
; %bb.3654:                             ;   in Loop: Header=BB302_2076 Depth=1
	v_ffbh_u32_e32 v12, v12
	v_min_u32_e32 v105, 32, v12
	v_subrev_nc_u32_e32 v12, 28, v105
	v_lshlrev_b64 v[12:13], v12, v[6:7]
	v_sub_nc_u32_e32 v13, 29, v105
	v_and_b32_e32 v12, 7, v12
; %bb.3655:                             ;   in Loop: Header=BB302_2076 Depth=1
	s_or_b32 exec_lo, exec_lo, s28
	v_lshlrev_b32_e32 v6, 8, v6
	v_lshl_add_u32 v13, v13, 10, 0x2000
	v_lshlrev_b32_e32 v12, 23, v12
	v_and_or_b32 v6, 0x8000, v6, v13
	v_lshl_or_b32 v12, v6, 16, v12
.LBB302_3656:                           ;   in Loop: Header=BB302_2076 Depth=1
	s_or_b32 exec_lo, exec_lo, s27
.LBB302_3657:                           ;   in Loop: Header=BB302_2076 Depth=1
	s_or_b32 exec_lo, exec_lo, s26
.LBB302_3658:                           ;   in Loop: Header=BB302_2076 Depth=1
	s_or_b32 exec_lo, exec_lo, s25
	v_or_b32_e32 v6, v93, v94
	v_or_b32_e32 v92, v91, v92
	s_waitcnt vmcnt(0) lgkmcnt(0)
	v_fma_mixlo_f16 v91, v66, v91, 0 op_sel:[0,1,0] op_sel_hi:[0,1,0]
	v_or_b32_e32 v72, v95, v72
	v_or_b32_e32 v94, v12, v71
	v_fma_mixlo_f16 v13, v66, v93, 0 op_sel:[0,1,0] op_sel_hi:[0,1,0]
	v_fma_mixlo_f16 v93, v66, v6, 0 op_sel_hi:[0,1,0]
	v_lshlrev_b32_e32 v71, 16, v91
	v_fma_mixlo_f16 v91, v66, v92, 0 op_sel_hi:[0,1,0]
	v_fma_mixlo_f16 v92, v66, v95, 0 op_sel:[0,1,0] op_sel_hi:[0,1,0]
	v_fma_mixlo_f16 v72, v66, v72, 0 op_sel_hi:[0,1,0]
	v_fma_mixlo_f16 v12, v66, v12, 0 op_sel:[0,1,0] op_sel_hi:[0,1,0]
	v_fma_mixlo_f16 v66, v66, v94, 0 op_sel_hi:[0,1,0]
	v_lshlrev_b32_e32 v6, 16, v13
	v_and_b32_e32 v13, 0xffff, v93
	v_and_b32_e32 v105, 0xffff, v91
	v_lshlrev_b32_e32 v93, 16, v92
	v_and_b32_e32 v95, 0xffff, v72
	v_lshlrev_b32_e32 v92, 16, v12
	v_and_b32_e32 v94, 0xffff, v66
	v_or_b32_e32 v12, v6, v13
	v_or_b32_e32 v91, v71, v105
	;; [unrolled: 1-line block ×4, first 2 shown]
	s_and_saveexec_b32 s12, s7
	s_cbranch_execz .LBB302_3660
; %bb.3659:                             ;   in Loop: Header=BB302_2076 Depth=1
	v_cndmask_b32_e32 v12, 0, v105, vcc_lo
	v_cndmask_b32_e64 v66, 0, v71, s5
	v_cndmask_b32_e64 v13, 0, v13, s4
	v_cndmask_b32_e64 v6, 0, v6, s6
	v_cndmask_b32_e64 v71, 0, v95, s8
	v_cndmask_b32_e64 v72, 0, v93, s9
	v_cndmask_b32_e64 v93, 0, v94, s10
	v_cndmask_b32_e64 v92, 0, v92, s11
	v_or_b32_e32 v91, v12, v66
	v_or_b32_e32 v12, v13, v6
	;; [unrolled: 1-line block ×4, first 2 shown]
.LBB302_3660:                           ;   in Loop: Header=BB302_2076 Depth=1
	s_or_b32 exec_lo, exec_lo, s12
	v_add_co_u32 v10, s12, 0x1800, v10
	v_add_co_ci_u32_e64 v11, null, 0, v11, s12
	;;#ASMSTART
	v_pk_mul_f16 v6, v102, v91;

	;;#ASMEND
	;;#ASMSTART
	v_pk_mul_f16 v12, v101, v12;

	;;#ASMEND
	;; [unrolled: 4-line block ×4, first 2 shown]
	;;#ASMSTART
	v_pk_add_f16 v6, v6, v12;

	;;#ASMEND
	;;#ASMSTART
	v_pk_add_f16 v6, v6, v13;

	;;#ASMEND
	;; [unrolled: 4-line block ×3, first 2 shown]
	v_lshrrev_b32_e32 v12, 16, v6
	v_and_b32_e32 v6, 0xffff, v6
	;;#ASMSTART
	v_cvt_f32_f16 v91, v6;
	;;#ASMEND
	;;#ASMSTART
	v_cvt_f32_f16 v92, v12;
	;;#ASMEND
	flat_load_dwordx2 v[12:13], v[10:11]
	s_clause 0x1
	buffer_load_dword v71, off, s[0:3], s32 offset:192
	buffer_load_dword v72, off, s[0:3], s32 offset:196
	v_mov_b32_e32 v93, 0
	v_mov_b32_e32 v94, 0
	s_waitcnt vmcnt(2) lgkmcnt(0)
	v_cmp_ne_u16_sdwa s12, v12, v7 src0_sel:BYTE_0 src1_sel:DWORD
	s_waitcnt vmcnt(0)
	flat_load_dword v66, v[71:72]
	s_and_saveexec_b32 s25, s12
	s_cbranch_execz .LBB302_3668
; %bb.3661:                             ;   in Loop: Header=BB302_2076 Depth=1
	v_cmp_ne_u16_sdwa s12, v12, v86 src0_sel:BYTE_0 src1_sel:DWORD
	v_mov_b32_e32 v94, 0x8000
	s_and_saveexec_b32 s26, s12
	s_cbranch_execz .LBB302_3667
; %bb.3662:                             ;   in Loop: Header=BB302_2076 Depth=1
	v_and_b32_e32 v72, 0x7f, v12
	v_mov_b32_e32 v94, 0x7c01
	s_mov_b32 s27, exec_lo
	v_cmpx_ne_u32_e32 0x7f, v72
	s_cbranch_execz .LBB302_3666
; %bb.3663:                             ;   in Loop: Header=BB302_2076 Depth=1
	v_and_b32_e32 v6, 7, v12
	v_lshrrev_b32_e32 v71, 3, v72
	s_mov_b32 s28, exec_lo
	v_cmpx_gt_u32_e32 8, v72
; %bb.3664:                             ;   in Loop: Header=BB302_2076 Depth=1
	v_ffbh_u32_e32 v6, v6
	v_min_u32_e32 v6, 32, v6
	v_subrev_nc_u32_e32 v71, 28, v6
	v_lshlrev_b64 v[94:95], v71, v[12:13]
	v_sub_nc_u32_e32 v71, 29, v6
	v_and_b32_e32 v6, 7, v94
; %bb.3665:                             ;   in Loop: Header=BB302_2076 Depth=1
	s_or_b32 exec_lo, exec_lo, s28
	v_lshlrev_b32_e32 v72, 8, v12
	v_lshl_add_u32 v71, v71, 10, 0x2000
	v_lshlrev_b32_e32 v6, 7, v6
	v_and_b32_e32 v72, 0x8000, v72
	v_and_b32_e32 v71, 0xfc00, v71
	v_or3_b32 v94, v72, v71, v6
.LBB302_3666:                           ;   in Loop: Header=BB302_2076 Depth=1
	s_or_b32 exec_lo, exec_lo, s27
.LBB302_3667:                           ;   in Loop: Header=BB302_2076 Depth=1
	s_or_b32 exec_lo, exec_lo, s26
.LBB302_3668:                           ;   in Loop: Header=BB302_2076 Depth=1
	s_or_b32 exec_lo, exec_lo, s25
	v_lshrrev_b16 v6, 8, v12
	s_mov_b32 s25, exec_lo
	v_cmpx_ne_u16_e32 0, v6
	s_cbranch_execz .LBB302_3676
; %bb.3669:                             ;   in Loop: Header=BB302_2076 Depth=1
	v_bfrev_b32_e32 v93, 1
	s_mov_b32 s26, exec_lo
	v_cmpx_ne_u16_e32 0x80, v6
	s_cbranch_execz .LBB302_3675
; %bb.3670:                             ;   in Loop: Header=BB302_2076 Depth=1
	v_and_b32_sdwa v95, v6, v87 dst_sel:DWORD dst_unused:UNUSED_PAD src0_sel:WORD_0 src1_sel:DWORD
	v_mov_b32_e32 v93, 0x7c010000
	s_mov_b32 s27, exec_lo
	v_cmpx_ne_u32_e32 0x7f, v95
	s_cbranch_execz .LBB302_3674
; %bb.3671:                             ;   in Loop: Header=BB302_2076 Depth=1
	v_and_b32_sdwa v71, v6, v96 dst_sel:DWORD dst_unused:UNUSED_PAD src0_sel:WORD_0 src1_sel:DWORD
	v_lshrrev_b32_e32 v72, 3, v95
	s_mov_b32 s28, exec_lo
	v_cmpx_gt_u32_e32 8, v95
; %bb.3672:                             ;   in Loop: Header=BB302_2076 Depth=1
	v_ffbh_u32_e32 v71, v71
	v_min_u32_e32 v93, 32, v71
	v_subrev_nc_u32_e32 v71, 28, v93
	v_lshlrev_b64 v[71:72], v71, v[6:7]
	v_sub_nc_u32_e32 v72, 29, v93
	v_and_b32_e32 v71, 7, v71
; %bb.3673:                             ;   in Loop: Header=BB302_2076 Depth=1
	s_or_b32 exec_lo, exec_lo, s28
	v_lshlrev_b32_sdwa v6, v97, v6 dst_sel:DWORD dst_unused:UNUSED_PAD src0_sel:DWORD src1_sel:WORD_0
	v_lshl_add_u32 v72, v72, 10, 0x2000
	v_lshlrev_b32_e32 v71, 23, v71
	v_and_or_b32 v6, 0x8000, v6, v72
	v_lshl_or_b32 v93, v6, 16, v71
.LBB302_3674:                           ;   in Loop: Header=BB302_2076 Depth=1
	s_or_b32 exec_lo, exec_lo, s27
.LBB302_3675:                           ;   in Loop: Header=BB302_2076 Depth=1
	s_or_b32 exec_lo, exec_lo, s26
.LBB302_3676:                           ;   in Loop: Header=BB302_2076 Depth=1
	s_or_b32 exec_lo, exec_lo, s25
	v_lshrrev_b32_e32 v6, 16, v12
	v_mov_b32_e32 v95, 0
	v_mov_b32_e32 v105, 0
	v_cmp_ne_u16_sdwa s12, v6, v7 src0_sel:BYTE_0 src1_sel:DWORD
	s_and_saveexec_b32 s25, s12
	s_cbranch_execz .LBB302_3684
; %bb.3677:                             ;   in Loop: Header=BB302_2076 Depth=1
	v_cmp_ne_u16_sdwa s12, v6, v86 src0_sel:BYTE_0 src1_sel:DWORD
	v_mov_b32_e32 v105, 0x8000
	s_and_saveexec_b32 s26, s12
	s_cbranch_execz .LBB302_3683
; %bb.3678:                             ;   in Loop: Header=BB302_2076 Depth=1
	v_bfe_u32 v106, v12, 16, 7
	v_mov_b32_e32 v105, 0x7c01
	s_mov_b32 s27, exec_lo
	v_cmpx_ne_u32_e32 0x7f, v106
	s_cbranch_execz .LBB302_3682
; %bb.3679:                             ;   in Loop: Header=BB302_2076 Depth=1
	v_and_b32_e32 v71, 7, v6
	v_lshrrev_b32_e32 v72, 3, v106
	s_mov_b32 s28, exec_lo
	v_cmpx_gt_u32_e32 8, v106
; %bb.3680:                             ;   in Loop: Header=BB302_2076 Depth=1
	v_ffbh_u32_e32 v71, v71
	v_min_u32_e32 v105, 32, v71
	v_subrev_nc_u32_e32 v71, 28, v105
	v_lshlrev_b64 v[71:72], v71, v[6:7]
	v_sub_nc_u32_e32 v72, 29, v105
	v_and_b32_e32 v71, 7, v71
; %bb.3681:                             ;   in Loop: Header=BB302_2076 Depth=1
	s_or_b32 exec_lo, exec_lo, s28
	v_lshlrev_b32_e32 v6, 8, v6
	v_lshl_add_u32 v72, v72, 10, 0x2000
	v_lshlrev_b32_e32 v71, 7, v71
	v_and_b32_e32 v6, 0x8000, v6
	v_and_b32_e32 v72, 0xfc00, v72
	v_or3_b32 v105, v6, v72, v71
.LBB302_3682:                           ;   in Loop: Header=BB302_2076 Depth=1
	s_or_b32 exec_lo, exec_lo, s27
.LBB302_3683:                           ;   in Loop: Header=BB302_2076 Depth=1
	s_or_b32 exec_lo, exec_lo, s26
.LBB302_3684:                           ;   in Loop: Header=BB302_2076 Depth=1
	s_or_b32 exec_lo, exec_lo, s25
	s_mov_b32 s25, exec_lo
	v_cmpx_lt_u32_e32 0xffffff, v12
	s_cbranch_execz .LBB302_3692
; %bb.3685:                             ;   in Loop: Header=BB302_2076 Depth=1
	v_lshrrev_b32_e32 v6, 24, v12
	v_bfrev_b32_e32 v95, 1
	s_mov_b32 s26, exec_lo
	v_cmpx_ne_u32_e32 0x80, v6
	s_cbranch_execz .LBB302_3691
; %bb.3686:                             ;   in Loop: Header=BB302_2076 Depth=1
	v_and_b32_e32 v106, 0x7f, v6
	v_mov_b32_e32 v95, 0x7c010000
	s_mov_b32 s27, exec_lo
	v_cmpx_ne_u32_e32 0x7f, v106
	s_cbranch_execz .LBB302_3690
; %bb.3687:                             ;   in Loop: Header=BB302_2076 Depth=1
	v_and_b32_e32 v71, 7, v6
	v_lshrrev_b32_e32 v72, 3, v106
	s_mov_b32 s28, exec_lo
	v_cmpx_gt_u32_e32 8, v106
; %bb.3688:                             ;   in Loop: Header=BB302_2076 Depth=1
	v_ffbh_u32_e32 v71, v71
	v_min_u32_e32 v95, 32, v71
	v_subrev_nc_u32_e32 v71, 28, v95
	v_lshlrev_b64 v[71:72], v71, v[6:7]
	v_sub_nc_u32_e32 v72, 29, v95
	v_and_b32_e32 v71, 7, v71
; %bb.3689:                             ;   in Loop: Header=BB302_2076 Depth=1
	s_or_b32 exec_lo, exec_lo, s28
	v_lshlrev_b32_e32 v6, 8, v6
	v_lshl_add_u32 v72, v72, 10, 0x2000
	v_lshlrev_b32_e32 v71, 23, v71
	v_and_or_b32 v6, 0x8000, v6, v72
	v_lshl_or_b32 v95, v6, 16, v71
.LBB302_3690:                           ;   in Loop: Header=BB302_2076 Depth=1
	s_or_b32 exec_lo, exec_lo, s27
.LBB302_3691:                           ;   in Loop: Header=BB302_2076 Depth=1
	s_or_b32 exec_lo, exec_lo, s26
.LBB302_3692:                           ;   in Loop: Header=BB302_2076 Depth=1
	s_or_b32 exec_lo, exec_lo, s25
	v_mov_b32_e32 v6, v13
	v_cmp_ne_u16_sdwa s12, v13, v7 src0_sel:BYTE_0 src1_sel:DWORD
	v_mov_b32_e32 v71, 0
	v_mov_b32_e32 v72, 0
	s_and_saveexec_b32 s25, s12
	s_cbranch_execz .LBB302_3700
; %bb.3693:                             ;   in Loop: Header=BB302_2076 Depth=1
	v_cmp_ne_u16_sdwa s12, v13, v86 src0_sel:BYTE_0 src1_sel:DWORD
	v_mov_b32_e32 v72, 0x8000
	s_and_saveexec_b32 s26, s12
	s_cbranch_execz .LBB302_3699
; %bb.3694:                             ;   in Loop: Header=BB302_2076 Depth=1
	v_and_b32_e32 v107, 0x7f, v13
	v_mov_b32_e32 v72, 0x7c01
	s_mov_b32 s27, exec_lo
	v_cmpx_ne_u32_e32 0x7f, v107
	s_cbranch_execz .LBB302_3698
; %bb.3695:                             ;   in Loop: Header=BB302_2076 Depth=1
	v_and_b32_e32 v72, 7, v13
	v_lshrrev_b32_e32 v106, 3, v107
	s_mov_b32 s28, exec_lo
	v_cmpx_gt_u32_e32 8, v107
; %bb.3696:                             ;   in Loop: Header=BB302_2076 Depth=1
	v_ffbh_u32_e32 v72, v72
	v_min_u32_e32 v72, 32, v72
	v_subrev_nc_u32_e32 v106, 28, v72
	v_lshlrev_b64 v[107:108], v106, v[6:7]
	v_sub_nc_u32_e32 v106, 29, v72
	v_and_b32_e32 v72, 7, v107
; %bb.3697:                             ;   in Loop: Header=BB302_2076 Depth=1
	s_or_b32 exec_lo, exec_lo, s28
	v_lshlrev_b32_e32 v107, 8, v13
	v_lshl_add_u32 v106, v106, 10, 0x2000
	v_lshlrev_b32_e32 v72, 7, v72
	v_and_b32_e32 v107, 0x8000, v107
	v_and_b32_e32 v106, 0xfc00, v106
	v_or3_b32 v72, v107, v106, v72
.LBB302_3698:                           ;   in Loop: Header=BB302_2076 Depth=1
	s_or_b32 exec_lo, exec_lo, s27
.LBB302_3699:                           ;   in Loop: Header=BB302_2076 Depth=1
	s_or_b32 exec_lo, exec_lo, s26
.LBB302_3700:                           ;   in Loop: Header=BB302_2076 Depth=1
	s_or_b32 exec_lo, exec_lo, s25
	v_lshrrev_b16 v6, 8, v6
	v_mov_b32_e32 v106, 0
	s_mov_b32 s25, exec_lo
	v_cmpx_ne_u16_e32 0, v6
	s_cbranch_execz .LBB302_3708
; %bb.3701:                             ;   in Loop: Header=BB302_2076 Depth=1
	v_bfrev_b32_e32 v106, 1
	s_mov_b32 s26, exec_lo
	v_cmpx_ne_u16_e32 0x80, v6
	s_cbranch_execz .LBB302_3707
; %bb.3702:                             ;   in Loop: Header=BB302_2076 Depth=1
	v_and_b32_sdwa v108, v6, v87 dst_sel:DWORD dst_unused:UNUSED_PAD src0_sel:WORD_0 src1_sel:DWORD
	v_mov_b32_e32 v106, 0x7c010000
	s_mov_b32 s27, exec_lo
	v_cmpx_ne_u32_e32 0x7f, v108
	s_cbranch_execz .LBB302_3706
; %bb.3703:                             ;   in Loop: Header=BB302_2076 Depth=1
	v_and_b32_sdwa v106, v6, v96 dst_sel:DWORD dst_unused:UNUSED_PAD src0_sel:WORD_0 src1_sel:DWORD
	v_lshrrev_b32_e32 v107, 3, v108
	s_mov_b32 s28, exec_lo
	v_cmpx_gt_u32_e32 8, v108
; %bb.3704:                             ;   in Loop: Header=BB302_2076 Depth=1
	v_ffbh_u32_e32 v106, v106
	v_min_u32_e32 v108, 32, v106
	v_subrev_nc_u32_e32 v106, 28, v108
	v_lshlrev_b64 v[106:107], v106, v[6:7]
	v_sub_nc_u32_e32 v107, 29, v108
	v_and_b32_e32 v106, 7, v106
; %bb.3705:                             ;   in Loop: Header=BB302_2076 Depth=1
	s_or_b32 exec_lo, exec_lo, s28
	v_lshlrev_b32_sdwa v6, v97, v6 dst_sel:DWORD dst_unused:UNUSED_PAD src0_sel:DWORD src1_sel:WORD_0
	v_lshl_add_u32 v107, v107, 10, 0x2000
	v_lshlrev_b32_e32 v106, 23, v106
	v_and_or_b32 v6, 0x8000, v6, v107
	v_lshl_or_b32 v106, v6, 16, v106
.LBB302_3706:                           ;   in Loop: Header=BB302_2076 Depth=1
	s_or_b32 exec_lo, exec_lo, s27
.LBB302_3707:                           ;   in Loop: Header=BB302_2076 Depth=1
	s_or_b32 exec_lo, exec_lo, s26
.LBB302_3708:                           ;   in Loop: Header=BB302_2076 Depth=1
	s_or_b32 exec_lo, exec_lo, s25
	v_lshrrev_b32_e32 v6, 16, v13
	v_cmp_ne_u16_sdwa s12, v6, v7 src0_sel:BYTE_0 src1_sel:DWORD
	s_and_saveexec_b32 s25, s12
	s_cbranch_execz .LBB302_3716
; %bb.3709:                             ;   in Loop: Header=BB302_2076 Depth=1
	v_cmp_ne_u16_sdwa s12, v6, v86 src0_sel:BYTE_0 src1_sel:DWORD
	v_mov_b32_e32 v71, 0x8000
	s_and_saveexec_b32 s26, s12
	s_cbranch_execz .LBB302_3715
; %bb.3710:                             ;   in Loop: Header=BB302_2076 Depth=1
	v_bfe_u32 v108, v13, 16, 7
	v_mov_b32_e32 v71, 0x7c01
	s_mov_b32 s27, exec_lo
	v_cmpx_ne_u32_e32 0x7f, v108
	s_cbranch_execz .LBB302_3714
; %bb.3711:                             ;   in Loop: Header=BB302_2076 Depth=1
	v_and_b32_e32 v71, 7, v6
	v_lshrrev_b32_e32 v107, 3, v108
	s_mov_b32 s28, exec_lo
	v_cmpx_gt_u32_e32 8, v108
; %bb.3712:                             ;   in Loop: Header=BB302_2076 Depth=1
	v_ffbh_u32_e32 v71, v71
	v_min_u32_e32 v71, 32, v71
	v_subrev_nc_u32_e32 v107, 28, v71
	v_lshlrev_b64 v[108:109], v107, v[6:7]
	v_sub_nc_u32_e32 v107, 29, v71
	v_and_b32_e32 v71, 7, v108
; %bb.3713:                             ;   in Loop: Header=BB302_2076 Depth=1
	s_or_b32 exec_lo, exec_lo, s28
	v_lshlrev_b32_e32 v6, 8, v6
	v_lshl_add_u32 v107, v107, 10, 0x2000
	v_lshlrev_b32_e32 v71, 7, v71
	v_and_b32_e32 v6, 0x8000, v6
	v_and_b32_e32 v107, 0xfc00, v107
	v_or3_b32 v71, v6, v107, v71
.LBB302_3714:                           ;   in Loop: Header=BB302_2076 Depth=1
	s_or_b32 exec_lo, exec_lo, s27
.LBB302_3715:                           ;   in Loop: Header=BB302_2076 Depth=1
	s_or_b32 exec_lo, exec_lo, s26
.LBB302_3716:                           ;   in Loop: Header=BB302_2076 Depth=1
	s_or_b32 exec_lo, exec_lo, s25
	v_cmp_lt_u64_e64 s12, s[22:23], v[12:13]
	v_mov_b32_e32 v12, 0
	s_and_saveexec_b32 s25, s12
	s_cbranch_execz .LBB302_3724
; %bb.3717:                             ;   in Loop: Header=BB302_2076 Depth=1
	v_lshrrev_b32_e32 v6, 24, v13
	v_bfrev_b32_e32 v12, 1
	s_mov_b32 s26, exec_lo
	v_cmpx_ne_u32_e32 0x80, v6
	s_cbranch_execz .LBB302_3723
; %bb.3718:                             ;   in Loop: Header=BB302_2076 Depth=1
	v_and_b32_e32 v107, 0x7f, v6
	v_mov_b32_e32 v12, 0x7c010000
	s_mov_b32 s27, exec_lo
	v_cmpx_ne_u32_e32 0x7f, v107
	s_cbranch_execz .LBB302_3722
; %bb.3719:                             ;   in Loop: Header=BB302_2076 Depth=1
	v_and_b32_e32 v12, 7, v6
	v_lshrrev_b32_e32 v13, 3, v107
	s_mov_b32 s28, exec_lo
	v_cmpx_gt_u32_e32 8, v107
; %bb.3720:                             ;   in Loop: Header=BB302_2076 Depth=1
	v_ffbh_u32_e32 v12, v12
	v_min_u32_e32 v107, 32, v12
	v_subrev_nc_u32_e32 v12, 28, v107
	v_lshlrev_b64 v[12:13], v12, v[6:7]
	v_sub_nc_u32_e32 v13, 29, v107
	v_and_b32_e32 v12, 7, v12
; %bb.3721:                             ;   in Loop: Header=BB302_2076 Depth=1
	s_or_b32 exec_lo, exec_lo, s28
	v_lshlrev_b32_e32 v6, 8, v6
	v_lshl_add_u32 v13, v13, 10, 0x2000
	v_lshlrev_b32_e32 v12, 23, v12
	v_and_or_b32 v6, 0x8000, v6, v13
	v_lshl_or_b32 v12, v6, 16, v12
.LBB302_3722:                           ;   in Loop: Header=BB302_2076 Depth=1
	s_or_b32 exec_lo, exec_lo, s27
.LBB302_3723:                           ;   in Loop: Header=BB302_2076 Depth=1
	s_or_b32 exec_lo, exec_lo, s26
.LBB302_3724:                           ;   in Loop: Header=BB302_2076 Depth=1
	s_or_b32 exec_lo, exec_lo, s25
	v_or_b32_e32 v6, v95, v105
	v_or_b32_e32 v94, v93, v94
	s_waitcnt vmcnt(0) lgkmcnt(0)
	v_fma_mixlo_f16 v93, v66, v93, 0 op_sel:[0,1,0] op_sel_hi:[0,1,0]
	v_or_b32_e32 v72, v106, v72
	v_or_b32_e32 v105, v12, v71
	v_fma_mixlo_f16 v13, v66, v95, 0 op_sel:[0,1,0] op_sel_hi:[0,1,0]
	v_fma_mixlo_f16 v95, v66, v6, 0 op_sel_hi:[0,1,0]
	v_lshlrev_b32_e32 v71, 16, v93
	v_fma_mixlo_f16 v93, v66, v94, 0 op_sel_hi:[0,1,0]
	v_fma_mixlo_f16 v94, v66, v106, 0 op_sel:[0,1,0] op_sel_hi:[0,1,0]
	v_fma_mixlo_f16 v72, v66, v72, 0 op_sel_hi:[0,1,0]
	v_fma_mixlo_f16 v12, v66, v12, 0 op_sel:[0,1,0] op_sel_hi:[0,1,0]
	v_fma_mixlo_f16 v66, v66, v105, 0 op_sel_hi:[0,1,0]
	v_lshlrev_b32_e32 v6, 16, v13
	v_and_b32_e32 v13, 0xffff, v95
	v_and_b32_e32 v107, 0xffff, v93
	v_lshlrev_b32_e32 v95, 16, v94
	v_and_b32_e32 v106, 0xffff, v72
	v_lshlrev_b32_e32 v94, 16, v12
	v_and_b32_e32 v105, 0xffff, v66
	v_or_b32_e32 v12, v6, v13
	v_or_b32_e32 v93, v71, v107
	;; [unrolled: 1-line block ×4, first 2 shown]
	s_and_saveexec_b32 s12, s7
	s_cbranch_execz .LBB302_3726
; %bb.3725:                             ;   in Loop: Header=BB302_2076 Depth=1
	v_cndmask_b32_e32 v12, 0, v107, vcc_lo
	v_cndmask_b32_e64 v66, 0, v71, s5
	v_cndmask_b32_e64 v13, 0, v13, s4
	;; [unrolled: 1-line block ×7, first 2 shown]
	v_or_b32_e32 v93, v12, v66
	v_or_b32_e32 v12, v13, v6
	;; [unrolled: 1-line block ×4, first 2 shown]
.LBB302_3726:                           ;   in Loop: Header=BB302_2076 Depth=1
	s_or_b32 exec_lo, exec_lo, s12
	;;#ASMSTART
	v_pk_mul_f16 v6, v102, v93;

	;;#ASMEND
	;;#ASMSTART
	v_pk_mul_f16 v12, v101, v12;

	;;#ASMEND
	;; [unrolled: 4-line block ×4, first 2 shown]
	;;#ASMSTART
	v_pk_add_f16 v6, v6, v12;

	;;#ASMEND
	;;#ASMSTART
	v_pk_add_f16 v6, v6, v13;

	;;#ASMEND
	;; [unrolled: 4-line block ×3, first 2 shown]
	v_and_b32_e32 v12, 0xffff, v6
	v_lshrrev_b32_e32 v6, 16, v6
	;;#ASMSTART
	v_cvt_f32_f16 v93, v12;
	;;#ASMEND
	;;#ASMSTART
	v_cvt_f32_f16 v94, v6;
	;;#ASMEND
	flat_load_dwordx2 v[12:13], v[10:11] offset:256
	s_clause 0x1
	buffer_load_dword v71, off, s[0:3], s32 offset:192
	buffer_load_dword v72, off, s[0:3], s32 offset:196
	v_mov_b32_e32 v95, 0
	v_mov_b32_e32 v105, 0
	s_waitcnt vmcnt(2) lgkmcnt(0)
	v_cmp_ne_u16_sdwa s12, v12, v7 src0_sel:BYTE_0 src1_sel:DWORD
	s_waitcnt vmcnt(0)
	flat_load_dword v66, v[71:72]
	s_and_saveexec_b32 s25, s12
	s_cbranch_execz .LBB302_3734
; %bb.3727:                             ;   in Loop: Header=BB302_2076 Depth=1
	v_cmp_ne_u16_sdwa s12, v12, v86 src0_sel:BYTE_0 src1_sel:DWORD
	v_mov_b32_e32 v105, 0x8000
	s_and_saveexec_b32 s26, s12
	s_cbranch_execz .LBB302_3733
; %bb.3728:                             ;   in Loop: Header=BB302_2076 Depth=1
	v_and_b32_e32 v72, 0x7f, v12
	v_mov_b32_e32 v105, 0x7c01
	s_mov_b32 s27, exec_lo
	v_cmpx_ne_u32_e32 0x7f, v72
	s_cbranch_execz .LBB302_3732
; %bb.3729:                             ;   in Loop: Header=BB302_2076 Depth=1
	v_and_b32_e32 v6, 7, v12
	v_lshrrev_b32_e32 v71, 3, v72
	s_mov_b32 s28, exec_lo
	v_cmpx_gt_u32_e32 8, v72
; %bb.3730:                             ;   in Loop: Header=BB302_2076 Depth=1
	v_ffbh_u32_e32 v6, v6
	v_min_u32_e32 v6, 32, v6
	v_subrev_nc_u32_e32 v71, 28, v6
	v_lshlrev_b64 v[105:106], v71, v[12:13]
	v_sub_nc_u32_e32 v71, 29, v6
	v_and_b32_e32 v6, 7, v105
; %bb.3731:                             ;   in Loop: Header=BB302_2076 Depth=1
	s_or_b32 exec_lo, exec_lo, s28
	v_lshlrev_b32_e32 v72, 8, v12
	v_lshl_add_u32 v71, v71, 10, 0x2000
	v_lshlrev_b32_e32 v6, 7, v6
	v_and_b32_e32 v72, 0x8000, v72
	v_and_b32_e32 v71, 0xfc00, v71
	v_or3_b32 v105, v72, v71, v6
.LBB302_3732:                           ;   in Loop: Header=BB302_2076 Depth=1
	s_or_b32 exec_lo, exec_lo, s27
.LBB302_3733:                           ;   in Loop: Header=BB302_2076 Depth=1
	s_or_b32 exec_lo, exec_lo, s26
.LBB302_3734:                           ;   in Loop: Header=BB302_2076 Depth=1
	s_or_b32 exec_lo, exec_lo, s25
	v_lshrrev_b16 v6, 8, v12
	s_mov_b32 s25, exec_lo
	v_cmpx_ne_u16_e32 0, v6
	s_cbranch_execz .LBB302_3742
; %bb.3735:                             ;   in Loop: Header=BB302_2076 Depth=1
	v_bfrev_b32_e32 v95, 1
	s_mov_b32 s26, exec_lo
	v_cmpx_ne_u16_e32 0x80, v6
	s_cbranch_execz .LBB302_3741
; %bb.3736:                             ;   in Loop: Header=BB302_2076 Depth=1
	v_and_b32_sdwa v106, v6, v87 dst_sel:DWORD dst_unused:UNUSED_PAD src0_sel:WORD_0 src1_sel:DWORD
	v_mov_b32_e32 v95, 0x7c010000
	s_mov_b32 s27, exec_lo
	v_cmpx_ne_u32_e32 0x7f, v106
	s_cbranch_execz .LBB302_3740
; %bb.3737:                             ;   in Loop: Header=BB302_2076 Depth=1
	v_and_b32_sdwa v71, v6, v96 dst_sel:DWORD dst_unused:UNUSED_PAD src0_sel:WORD_0 src1_sel:DWORD
	v_lshrrev_b32_e32 v72, 3, v106
	s_mov_b32 s28, exec_lo
	v_cmpx_gt_u32_e32 8, v106
; %bb.3738:                             ;   in Loop: Header=BB302_2076 Depth=1
	v_ffbh_u32_e32 v71, v71
	v_min_u32_e32 v95, 32, v71
	v_subrev_nc_u32_e32 v71, 28, v95
	v_lshlrev_b64 v[71:72], v71, v[6:7]
	v_sub_nc_u32_e32 v72, 29, v95
	v_and_b32_e32 v71, 7, v71
; %bb.3739:                             ;   in Loop: Header=BB302_2076 Depth=1
	s_or_b32 exec_lo, exec_lo, s28
	v_lshlrev_b32_sdwa v6, v97, v6 dst_sel:DWORD dst_unused:UNUSED_PAD src0_sel:DWORD src1_sel:WORD_0
	v_lshl_add_u32 v72, v72, 10, 0x2000
	v_lshlrev_b32_e32 v71, 23, v71
	v_and_or_b32 v6, 0x8000, v6, v72
	v_lshl_or_b32 v95, v6, 16, v71
.LBB302_3740:                           ;   in Loop: Header=BB302_2076 Depth=1
	s_or_b32 exec_lo, exec_lo, s27
.LBB302_3741:                           ;   in Loop: Header=BB302_2076 Depth=1
	s_or_b32 exec_lo, exec_lo, s26
.LBB302_3742:                           ;   in Loop: Header=BB302_2076 Depth=1
	s_or_b32 exec_lo, exec_lo, s25
	v_lshrrev_b32_e32 v6, 16, v12
	v_mov_b32_e32 v106, 0
	v_mov_b32_e32 v107, 0
	v_cmp_ne_u16_sdwa s12, v6, v7 src0_sel:BYTE_0 src1_sel:DWORD
	s_and_saveexec_b32 s25, s12
	s_cbranch_execz .LBB302_3750
; %bb.3743:                             ;   in Loop: Header=BB302_2076 Depth=1
	v_cmp_ne_u16_sdwa s12, v6, v86 src0_sel:BYTE_0 src1_sel:DWORD
	v_mov_b32_e32 v107, 0x8000
	s_and_saveexec_b32 s26, s12
	s_cbranch_execz .LBB302_3749
; %bb.3744:                             ;   in Loop: Header=BB302_2076 Depth=1
	v_bfe_u32 v108, v12, 16, 7
	v_mov_b32_e32 v107, 0x7c01
	s_mov_b32 s27, exec_lo
	v_cmpx_ne_u32_e32 0x7f, v108
	s_cbranch_execz .LBB302_3748
; %bb.3745:                             ;   in Loop: Header=BB302_2076 Depth=1
	v_and_b32_e32 v71, 7, v6
	v_lshrrev_b32_e32 v72, 3, v108
	s_mov_b32 s28, exec_lo
	v_cmpx_gt_u32_e32 8, v108
; %bb.3746:                             ;   in Loop: Header=BB302_2076 Depth=1
	v_ffbh_u32_e32 v71, v71
	v_min_u32_e32 v107, 32, v71
	v_subrev_nc_u32_e32 v71, 28, v107
	v_lshlrev_b64 v[71:72], v71, v[6:7]
	v_sub_nc_u32_e32 v72, 29, v107
	v_and_b32_e32 v71, 7, v71
; %bb.3747:                             ;   in Loop: Header=BB302_2076 Depth=1
	s_or_b32 exec_lo, exec_lo, s28
	v_lshlrev_b32_e32 v6, 8, v6
	v_lshl_add_u32 v72, v72, 10, 0x2000
	v_lshlrev_b32_e32 v71, 7, v71
	v_and_b32_e32 v6, 0x8000, v6
	v_and_b32_e32 v72, 0xfc00, v72
	v_or3_b32 v107, v6, v72, v71
.LBB302_3748:                           ;   in Loop: Header=BB302_2076 Depth=1
	s_or_b32 exec_lo, exec_lo, s27
.LBB302_3749:                           ;   in Loop: Header=BB302_2076 Depth=1
	s_or_b32 exec_lo, exec_lo, s26
.LBB302_3750:                           ;   in Loop: Header=BB302_2076 Depth=1
	s_or_b32 exec_lo, exec_lo, s25
	s_mov_b32 s25, exec_lo
	v_cmpx_lt_u32_e32 0xffffff, v12
	s_cbranch_execz .LBB302_3758
; %bb.3751:                             ;   in Loop: Header=BB302_2076 Depth=1
	v_lshrrev_b32_e32 v6, 24, v12
	v_bfrev_b32_e32 v106, 1
	s_mov_b32 s26, exec_lo
	v_cmpx_ne_u32_e32 0x80, v6
	s_cbranch_execz .LBB302_3757
; %bb.3752:                             ;   in Loop: Header=BB302_2076 Depth=1
	v_and_b32_e32 v108, 0x7f, v6
	v_mov_b32_e32 v106, 0x7c010000
	s_mov_b32 s27, exec_lo
	v_cmpx_ne_u32_e32 0x7f, v108
	s_cbranch_execz .LBB302_3756
; %bb.3753:                             ;   in Loop: Header=BB302_2076 Depth=1
	v_and_b32_e32 v71, 7, v6
	v_lshrrev_b32_e32 v72, 3, v108
	s_mov_b32 s28, exec_lo
	v_cmpx_gt_u32_e32 8, v108
; %bb.3754:                             ;   in Loop: Header=BB302_2076 Depth=1
	v_ffbh_u32_e32 v71, v71
	v_min_u32_e32 v106, 32, v71
	v_subrev_nc_u32_e32 v71, 28, v106
	v_lshlrev_b64 v[71:72], v71, v[6:7]
	v_sub_nc_u32_e32 v72, 29, v106
	v_and_b32_e32 v71, 7, v71
; %bb.3755:                             ;   in Loop: Header=BB302_2076 Depth=1
	s_or_b32 exec_lo, exec_lo, s28
	v_lshlrev_b32_e32 v6, 8, v6
	v_lshl_add_u32 v72, v72, 10, 0x2000
	v_lshlrev_b32_e32 v71, 23, v71
	v_and_or_b32 v6, 0x8000, v6, v72
	v_lshl_or_b32 v106, v6, 16, v71
.LBB302_3756:                           ;   in Loop: Header=BB302_2076 Depth=1
	s_or_b32 exec_lo, exec_lo, s27
.LBB302_3757:                           ;   in Loop: Header=BB302_2076 Depth=1
	s_or_b32 exec_lo, exec_lo, s26
.LBB302_3758:                           ;   in Loop: Header=BB302_2076 Depth=1
	s_or_b32 exec_lo, exec_lo, s25
	v_mov_b32_e32 v6, v13
	v_cmp_ne_u16_sdwa s12, v13, v7 src0_sel:BYTE_0 src1_sel:DWORD
	v_mov_b32_e32 v71, 0
	v_mov_b32_e32 v72, 0
	s_and_saveexec_b32 s25, s12
	s_cbranch_execz .LBB302_3766
; %bb.3759:                             ;   in Loop: Header=BB302_2076 Depth=1
	v_cmp_ne_u16_sdwa s12, v13, v86 src0_sel:BYTE_0 src1_sel:DWORD
	v_mov_b32_e32 v72, 0x8000
	s_and_saveexec_b32 s26, s12
	s_cbranch_execz .LBB302_3765
; %bb.3760:                             ;   in Loop: Header=BB302_2076 Depth=1
	v_and_b32_e32 v109, 0x7f, v13
	v_mov_b32_e32 v72, 0x7c01
	s_mov_b32 s27, exec_lo
	v_cmpx_ne_u32_e32 0x7f, v109
	s_cbranch_execz .LBB302_3764
; %bb.3761:                             ;   in Loop: Header=BB302_2076 Depth=1
	v_and_b32_e32 v72, 7, v13
	v_lshrrev_b32_e32 v108, 3, v109
	s_mov_b32 s28, exec_lo
	v_cmpx_gt_u32_e32 8, v109
; %bb.3762:                             ;   in Loop: Header=BB302_2076 Depth=1
	v_ffbh_u32_e32 v72, v72
	v_min_u32_e32 v72, 32, v72
	v_subrev_nc_u32_e32 v108, 28, v72
	v_lshlrev_b64 v[109:110], v108, v[6:7]
	v_sub_nc_u32_e32 v108, 29, v72
	v_and_b32_e32 v72, 7, v109
; %bb.3763:                             ;   in Loop: Header=BB302_2076 Depth=1
	s_or_b32 exec_lo, exec_lo, s28
	v_lshlrev_b32_e32 v109, 8, v13
	v_lshl_add_u32 v108, v108, 10, 0x2000
	v_lshlrev_b32_e32 v72, 7, v72
	v_and_b32_e32 v109, 0x8000, v109
	v_and_b32_e32 v108, 0xfc00, v108
	v_or3_b32 v72, v109, v108, v72
.LBB302_3764:                           ;   in Loop: Header=BB302_2076 Depth=1
	s_or_b32 exec_lo, exec_lo, s27
.LBB302_3765:                           ;   in Loop: Header=BB302_2076 Depth=1
	s_or_b32 exec_lo, exec_lo, s26
.LBB302_3766:                           ;   in Loop: Header=BB302_2076 Depth=1
	s_or_b32 exec_lo, exec_lo, s25
	v_lshrrev_b16 v6, 8, v6
	v_mov_b32_e32 v108, 0
	s_mov_b32 s25, exec_lo
	v_cmpx_ne_u16_e32 0, v6
	s_cbranch_execz .LBB302_3774
; %bb.3767:                             ;   in Loop: Header=BB302_2076 Depth=1
	v_bfrev_b32_e32 v108, 1
	s_mov_b32 s26, exec_lo
	v_cmpx_ne_u16_e32 0x80, v6
	s_cbranch_execz .LBB302_3773
; %bb.3768:                             ;   in Loop: Header=BB302_2076 Depth=1
	v_and_b32_sdwa v110, v6, v87 dst_sel:DWORD dst_unused:UNUSED_PAD src0_sel:WORD_0 src1_sel:DWORD
	v_mov_b32_e32 v108, 0x7c010000
	s_mov_b32 s27, exec_lo
	v_cmpx_ne_u32_e32 0x7f, v110
	s_cbranch_execz .LBB302_3772
; %bb.3769:                             ;   in Loop: Header=BB302_2076 Depth=1
	v_and_b32_sdwa v108, v6, v96 dst_sel:DWORD dst_unused:UNUSED_PAD src0_sel:WORD_0 src1_sel:DWORD
	v_lshrrev_b32_e32 v109, 3, v110
	s_mov_b32 s28, exec_lo
	v_cmpx_gt_u32_e32 8, v110
; %bb.3770:                             ;   in Loop: Header=BB302_2076 Depth=1
	v_ffbh_u32_e32 v108, v108
	v_min_u32_e32 v110, 32, v108
	v_subrev_nc_u32_e32 v108, 28, v110
	v_lshlrev_b64 v[108:109], v108, v[6:7]
	v_sub_nc_u32_e32 v109, 29, v110
	v_and_b32_e32 v108, 7, v108
; %bb.3771:                             ;   in Loop: Header=BB302_2076 Depth=1
	s_or_b32 exec_lo, exec_lo, s28
	v_lshlrev_b32_sdwa v6, v97, v6 dst_sel:DWORD dst_unused:UNUSED_PAD src0_sel:DWORD src1_sel:WORD_0
	v_lshl_add_u32 v109, v109, 10, 0x2000
	v_lshlrev_b32_e32 v108, 23, v108
	v_and_or_b32 v6, 0x8000, v6, v109
	v_lshl_or_b32 v108, v6, 16, v108
.LBB302_3772:                           ;   in Loop: Header=BB302_2076 Depth=1
	s_or_b32 exec_lo, exec_lo, s27
.LBB302_3773:                           ;   in Loop: Header=BB302_2076 Depth=1
	s_or_b32 exec_lo, exec_lo, s26
.LBB302_3774:                           ;   in Loop: Header=BB302_2076 Depth=1
	s_or_b32 exec_lo, exec_lo, s25
	v_lshrrev_b32_e32 v6, 16, v13
	v_cmp_ne_u16_sdwa s12, v6, v7 src0_sel:BYTE_0 src1_sel:DWORD
	s_and_saveexec_b32 s25, s12
	s_cbranch_execz .LBB302_3782
; %bb.3775:                             ;   in Loop: Header=BB302_2076 Depth=1
	v_cmp_ne_u16_sdwa s12, v6, v86 src0_sel:BYTE_0 src1_sel:DWORD
	v_mov_b32_e32 v71, 0x8000
	s_and_saveexec_b32 s26, s12
	s_cbranch_execz .LBB302_3781
; %bb.3776:                             ;   in Loop: Header=BB302_2076 Depth=1
	v_bfe_u32 v110, v13, 16, 7
	v_mov_b32_e32 v71, 0x7c01
	s_mov_b32 s27, exec_lo
	v_cmpx_ne_u32_e32 0x7f, v110
	s_cbranch_execz .LBB302_3780
; %bb.3777:                             ;   in Loop: Header=BB302_2076 Depth=1
	v_and_b32_e32 v71, 7, v6
	v_lshrrev_b32_e32 v109, 3, v110
	s_mov_b32 s28, exec_lo
	v_cmpx_gt_u32_e32 8, v110
; %bb.3778:                             ;   in Loop: Header=BB302_2076 Depth=1
	v_ffbh_u32_e32 v71, v71
	v_min_u32_e32 v71, 32, v71
	v_subrev_nc_u32_e32 v109, 28, v71
	v_lshlrev_b64 v[110:111], v109, v[6:7]
	v_sub_nc_u32_e32 v109, 29, v71
	v_and_b32_e32 v71, 7, v110
; %bb.3779:                             ;   in Loop: Header=BB302_2076 Depth=1
	s_or_b32 exec_lo, exec_lo, s28
	v_lshlrev_b32_e32 v6, 8, v6
	v_lshl_add_u32 v109, v109, 10, 0x2000
	v_lshlrev_b32_e32 v71, 7, v71
	v_and_b32_e32 v6, 0x8000, v6
	v_and_b32_e32 v109, 0xfc00, v109
	v_or3_b32 v71, v6, v109, v71
.LBB302_3780:                           ;   in Loop: Header=BB302_2076 Depth=1
	s_or_b32 exec_lo, exec_lo, s27
.LBB302_3781:                           ;   in Loop: Header=BB302_2076 Depth=1
	s_or_b32 exec_lo, exec_lo, s26
.LBB302_3782:                           ;   in Loop: Header=BB302_2076 Depth=1
	s_or_b32 exec_lo, exec_lo, s25
	v_cmp_lt_u64_e64 s12, s[22:23], v[12:13]
	v_mov_b32_e32 v12, 0
	s_and_saveexec_b32 s25, s12
	s_cbranch_execz .LBB302_3790
; %bb.3783:                             ;   in Loop: Header=BB302_2076 Depth=1
	v_lshrrev_b32_e32 v6, 24, v13
	v_bfrev_b32_e32 v12, 1
	s_mov_b32 s26, exec_lo
	v_cmpx_ne_u32_e32 0x80, v6
	s_cbranch_execz .LBB302_3789
; %bb.3784:                             ;   in Loop: Header=BB302_2076 Depth=1
	v_and_b32_e32 v109, 0x7f, v6
	v_mov_b32_e32 v12, 0x7c010000
	s_mov_b32 s27, exec_lo
	v_cmpx_ne_u32_e32 0x7f, v109
	s_cbranch_execz .LBB302_3788
; %bb.3785:                             ;   in Loop: Header=BB302_2076 Depth=1
	v_and_b32_e32 v12, 7, v6
	v_lshrrev_b32_e32 v13, 3, v109
	s_mov_b32 s28, exec_lo
	v_cmpx_gt_u32_e32 8, v109
; %bb.3786:                             ;   in Loop: Header=BB302_2076 Depth=1
	v_ffbh_u32_e32 v12, v12
	v_min_u32_e32 v109, 32, v12
	v_subrev_nc_u32_e32 v12, 28, v109
	v_lshlrev_b64 v[12:13], v12, v[6:7]
	v_sub_nc_u32_e32 v13, 29, v109
	v_and_b32_e32 v12, 7, v12
; %bb.3787:                             ;   in Loop: Header=BB302_2076 Depth=1
	s_or_b32 exec_lo, exec_lo, s28
	v_lshlrev_b32_e32 v6, 8, v6
	v_lshl_add_u32 v13, v13, 10, 0x2000
	v_lshlrev_b32_e32 v12, 23, v12
	v_and_or_b32 v6, 0x8000, v6, v13
	v_lshl_or_b32 v12, v6, 16, v12
.LBB302_3788:                           ;   in Loop: Header=BB302_2076 Depth=1
	s_or_b32 exec_lo, exec_lo, s27
.LBB302_3789:                           ;   in Loop: Header=BB302_2076 Depth=1
	s_or_b32 exec_lo, exec_lo, s26
.LBB302_3790:                           ;   in Loop: Header=BB302_2076 Depth=1
	s_or_b32 exec_lo, exec_lo, s25
	v_or_b32_e32 v6, v106, v107
	v_or_b32_e32 v105, v95, v105
	s_waitcnt vmcnt(0) lgkmcnt(0)
	v_fma_mixlo_f16 v95, v66, v95, 0 op_sel:[0,1,0] op_sel_hi:[0,1,0]
	v_or_b32_e32 v72, v108, v72
	v_or_b32_e32 v107, v12, v71
	v_fma_mixlo_f16 v13, v66, v106, 0 op_sel:[0,1,0] op_sel_hi:[0,1,0]
	v_fma_mixlo_f16 v106, v66, v6, 0 op_sel_hi:[0,1,0]
	v_lshlrev_b32_e32 v71, 16, v95
	v_fma_mixlo_f16 v95, v66, v105, 0 op_sel_hi:[0,1,0]
	v_fma_mixlo_f16 v105, v66, v108, 0 op_sel:[0,1,0] op_sel_hi:[0,1,0]
	v_fma_mixlo_f16 v72, v66, v72, 0 op_sel_hi:[0,1,0]
	v_fma_mixlo_f16 v12, v66, v12, 0 op_sel:[0,1,0] op_sel_hi:[0,1,0]
	v_fma_mixlo_f16 v66, v66, v107, 0 op_sel_hi:[0,1,0]
	v_lshlrev_b32_e32 v6, 16, v13
	v_and_b32_e32 v13, 0xffff, v106
	v_and_b32_e32 v109, 0xffff, v95
	v_lshlrev_b32_e32 v106, 16, v105
	v_and_b32_e32 v108, 0xffff, v72
	v_lshlrev_b32_e32 v105, 16, v12
	v_and_b32_e32 v107, 0xffff, v66
	v_or_b32_e32 v12, v6, v13
	v_or_b32_e32 v95, v71, v109
	;; [unrolled: 1-line block ×4, first 2 shown]
	s_and_saveexec_b32 s12, s7
	s_cbranch_execz .LBB302_3792
; %bb.3791:                             ;   in Loop: Header=BB302_2076 Depth=1
	v_cndmask_b32_e32 v12, 0, v109, vcc_lo
	v_cndmask_b32_e64 v66, 0, v71, s5
	v_cndmask_b32_e64 v13, 0, v13, s4
	;; [unrolled: 1-line block ×7, first 2 shown]
	v_or_b32_e32 v95, v12, v66
	v_or_b32_e32 v12, v13, v6
	;; [unrolled: 1-line block ×4, first 2 shown]
.LBB302_3792:                           ;   in Loop: Header=BB302_2076 Depth=1
	s_or_b32 exec_lo, exec_lo, s12
	;;#ASMSTART
	v_pk_mul_f16 v6, v102, v95;

	;;#ASMEND
	;;#ASMSTART
	v_pk_mul_f16 v12, v101, v12;

	;;#ASMEND
	;; [unrolled: 4-line block ×4, first 2 shown]
	;;#ASMSTART
	v_pk_add_f16 v6, v6, v12;

	;;#ASMEND
	;;#ASMSTART
	v_pk_add_f16 v6, v6, v13;

	;;#ASMEND
	;; [unrolled: 4-line block ×3, first 2 shown]
	v_and_b32_e32 v12, 0xffff, v6
	v_lshrrev_b32_e32 v6, 16, v6
	;;#ASMSTART
	v_cvt_f32_f16 v95, v12;
	;;#ASMEND
	;;#ASMSTART
	v_cvt_f32_f16 v66, v6;
	;;#ASMEND
	flat_load_dwordx2 v[12:13], v[10:11] offset:512
	s_clause 0x1
	buffer_load_dword v71, off, s[0:3], s32 offset:192
	buffer_load_dword v72, off, s[0:3], s32 offset:196
	v_mov_b32_e32 v106, 0
	v_mov_b32_e32 v107, 0
	s_waitcnt vmcnt(2) lgkmcnt(0)
	v_cmp_ne_u16_sdwa s12, v12, v7 src0_sel:BYTE_0 src1_sel:DWORD
	s_waitcnt vmcnt(0)
	flat_load_dword v105, v[71:72]
	s_and_saveexec_b32 s25, s12
	s_cbranch_execz .LBB302_3800
; %bb.3793:                             ;   in Loop: Header=BB302_2076 Depth=1
	v_cmp_ne_u16_sdwa s12, v12, v86 src0_sel:BYTE_0 src1_sel:DWORD
	v_mov_b32_e32 v107, 0x8000
	s_and_saveexec_b32 s26, s12
	s_cbranch_execz .LBB302_3799
; %bb.3794:                             ;   in Loop: Header=BB302_2076 Depth=1
	v_and_b32_e32 v72, 0x7f, v12
	v_mov_b32_e32 v107, 0x7c01
	s_mov_b32 s27, exec_lo
	v_cmpx_ne_u32_e32 0x7f, v72
	s_cbranch_execz .LBB302_3798
; %bb.3795:                             ;   in Loop: Header=BB302_2076 Depth=1
	v_and_b32_e32 v6, 7, v12
	v_lshrrev_b32_e32 v71, 3, v72
	s_mov_b32 s28, exec_lo
	v_cmpx_gt_u32_e32 8, v72
; %bb.3796:                             ;   in Loop: Header=BB302_2076 Depth=1
	v_ffbh_u32_e32 v6, v6
	v_min_u32_e32 v6, 32, v6
	v_subrev_nc_u32_e32 v71, 28, v6
	v_lshlrev_b64 v[107:108], v71, v[12:13]
	v_sub_nc_u32_e32 v71, 29, v6
	v_and_b32_e32 v6, 7, v107
; %bb.3797:                             ;   in Loop: Header=BB302_2076 Depth=1
	s_or_b32 exec_lo, exec_lo, s28
	v_lshlrev_b32_e32 v72, 8, v12
	v_lshl_add_u32 v71, v71, 10, 0x2000
	v_lshlrev_b32_e32 v6, 7, v6
	v_and_b32_e32 v72, 0x8000, v72
	v_and_b32_e32 v71, 0xfc00, v71
	v_or3_b32 v107, v72, v71, v6
.LBB302_3798:                           ;   in Loop: Header=BB302_2076 Depth=1
	s_or_b32 exec_lo, exec_lo, s27
.LBB302_3799:                           ;   in Loop: Header=BB302_2076 Depth=1
	s_or_b32 exec_lo, exec_lo, s26
.LBB302_3800:                           ;   in Loop: Header=BB302_2076 Depth=1
	s_or_b32 exec_lo, exec_lo, s25
	v_lshrrev_b16 v6, 8, v12
	s_mov_b32 s25, exec_lo
	v_cmpx_ne_u16_e32 0, v6
	s_cbranch_execz .LBB302_3808
; %bb.3801:                             ;   in Loop: Header=BB302_2076 Depth=1
	v_bfrev_b32_e32 v106, 1
	s_mov_b32 s26, exec_lo
	v_cmpx_ne_u16_e32 0x80, v6
	s_cbranch_execz .LBB302_3807
; %bb.3802:                             ;   in Loop: Header=BB302_2076 Depth=1
	v_and_b32_sdwa v108, v6, v87 dst_sel:DWORD dst_unused:UNUSED_PAD src0_sel:WORD_0 src1_sel:DWORD
	v_mov_b32_e32 v106, 0x7c010000
	s_mov_b32 s27, exec_lo
	v_cmpx_ne_u32_e32 0x7f, v108
	s_cbranch_execz .LBB302_3806
; %bb.3803:                             ;   in Loop: Header=BB302_2076 Depth=1
	v_and_b32_sdwa v71, v6, v96 dst_sel:DWORD dst_unused:UNUSED_PAD src0_sel:WORD_0 src1_sel:DWORD
	v_lshrrev_b32_e32 v72, 3, v108
	s_mov_b32 s28, exec_lo
	v_cmpx_gt_u32_e32 8, v108
; %bb.3804:                             ;   in Loop: Header=BB302_2076 Depth=1
	v_ffbh_u32_e32 v71, v71
	v_min_u32_e32 v106, 32, v71
	v_subrev_nc_u32_e32 v71, 28, v106
	v_lshlrev_b64 v[71:72], v71, v[6:7]
	v_sub_nc_u32_e32 v72, 29, v106
	v_and_b32_e32 v71, 7, v71
; %bb.3805:                             ;   in Loop: Header=BB302_2076 Depth=1
	s_or_b32 exec_lo, exec_lo, s28
	v_lshlrev_b32_sdwa v6, v97, v6 dst_sel:DWORD dst_unused:UNUSED_PAD src0_sel:DWORD src1_sel:WORD_0
	v_lshl_add_u32 v72, v72, 10, 0x2000
	v_lshlrev_b32_e32 v71, 23, v71
	v_and_or_b32 v6, 0x8000, v6, v72
	v_lshl_or_b32 v106, v6, 16, v71
.LBB302_3806:                           ;   in Loop: Header=BB302_2076 Depth=1
	s_or_b32 exec_lo, exec_lo, s27
.LBB302_3807:                           ;   in Loop: Header=BB302_2076 Depth=1
	s_or_b32 exec_lo, exec_lo, s26
.LBB302_3808:                           ;   in Loop: Header=BB302_2076 Depth=1
	s_or_b32 exec_lo, exec_lo, s25
	v_lshrrev_b32_e32 v6, 16, v12
	v_mov_b32_e32 v108, 0
	v_mov_b32_e32 v109, 0
	v_cmp_ne_u16_sdwa s12, v6, v7 src0_sel:BYTE_0 src1_sel:DWORD
	s_and_saveexec_b32 s25, s12
	s_cbranch_execz .LBB302_3816
; %bb.3809:                             ;   in Loop: Header=BB302_2076 Depth=1
	v_cmp_ne_u16_sdwa s12, v6, v86 src0_sel:BYTE_0 src1_sel:DWORD
	v_mov_b32_e32 v109, 0x8000
	s_and_saveexec_b32 s26, s12
	s_cbranch_execz .LBB302_3815
; %bb.3810:                             ;   in Loop: Header=BB302_2076 Depth=1
	v_bfe_u32 v110, v12, 16, 7
	v_mov_b32_e32 v109, 0x7c01
	s_mov_b32 s27, exec_lo
	v_cmpx_ne_u32_e32 0x7f, v110
	s_cbranch_execz .LBB302_3814
; %bb.3811:                             ;   in Loop: Header=BB302_2076 Depth=1
	v_and_b32_e32 v71, 7, v6
	v_lshrrev_b32_e32 v72, 3, v110
	s_mov_b32 s28, exec_lo
	v_cmpx_gt_u32_e32 8, v110
; %bb.3812:                             ;   in Loop: Header=BB302_2076 Depth=1
	v_ffbh_u32_e32 v71, v71
	v_min_u32_e32 v109, 32, v71
	v_subrev_nc_u32_e32 v71, 28, v109
	v_lshlrev_b64 v[71:72], v71, v[6:7]
	v_sub_nc_u32_e32 v72, 29, v109
	v_and_b32_e32 v71, 7, v71
; %bb.3813:                             ;   in Loop: Header=BB302_2076 Depth=1
	s_or_b32 exec_lo, exec_lo, s28
	v_lshlrev_b32_e32 v6, 8, v6
	v_lshl_add_u32 v72, v72, 10, 0x2000
	v_lshlrev_b32_e32 v71, 7, v71
	v_and_b32_e32 v6, 0x8000, v6
	v_and_b32_e32 v72, 0xfc00, v72
	v_or3_b32 v109, v6, v72, v71
.LBB302_3814:                           ;   in Loop: Header=BB302_2076 Depth=1
	s_or_b32 exec_lo, exec_lo, s27
.LBB302_3815:                           ;   in Loop: Header=BB302_2076 Depth=1
	s_or_b32 exec_lo, exec_lo, s26
.LBB302_3816:                           ;   in Loop: Header=BB302_2076 Depth=1
	s_or_b32 exec_lo, exec_lo, s25
	s_mov_b32 s25, exec_lo
	v_cmpx_lt_u32_e32 0xffffff, v12
	s_cbranch_execz .LBB302_3824
; %bb.3817:                             ;   in Loop: Header=BB302_2076 Depth=1
	v_lshrrev_b32_e32 v6, 24, v12
	v_bfrev_b32_e32 v108, 1
	s_mov_b32 s26, exec_lo
	v_cmpx_ne_u32_e32 0x80, v6
	s_cbranch_execz .LBB302_3823
; %bb.3818:                             ;   in Loop: Header=BB302_2076 Depth=1
	v_and_b32_e32 v110, 0x7f, v6
	v_mov_b32_e32 v108, 0x7c010000
	s_mov_b32 s27, exec_lo
	v_cmpx_ne_u32_e32 0x7f, v110
	s_cbranch_execz .LBB302_3822
; %bb.3819:                             ;   in Loop: Header=BB302_2076 Depth=1
	v_and_b32_e32 v71, 7, v6
	v_lshrrev_b32_e32 v72, 3, v110
	s_mov_b32 s28, exec_lo
	v_cmpx_gt_u32_e32 8, v110
; %bb.3820:                             ;   in Loop: Header=BB302_2076 Depth=1
	v_ffbh_u32_e32 v71, v71
	v_min_u32_e32 v108, 32, v71
	v_subrev_nc_u32_e32 v71, 28, v108
	v_lshlrev_b64 v[71:72], v71, v[6:7]
	v_sub_nc_u32_e32 v72, 29, v108
	v_and_b32_e32 v71, 7, v71
; %bb.3821:                             ;   in Loop: Header=BB302_2076 Depth=1
	s_or_b32 exec_lo, exec_lo, s28
	v_lshlrev_b32_e32 v6, 8, v6
	v_lshl_add_u32 v72, v72, 10, 0x2000
	v_lshlrev_b32_e32 v71, 23, v71
	v_and_or_b32 v6, 0x8000, v6, v72
	v_lshl_or_b32 v108, v6, 16, v71
.LBB302_3822:                           ;   in Loop: Header=BB302_2076 Depth=1
	s_or_b32 exec_lo, exec_lo, s27
.LBB302_3823:                           ;   in Loop: Header=BB302_2076 Depth=1
	s_or_b32 exec_lo, exec_lo, s26
.LBB302_3824:                           ;   in Loop: Header=BB302_2076 Depth=1
	s_or_b32 exec_lo, exec_lo, s25
	v_mov_b32_e32 v6, v13
	v_cmp_ne_u16_sdwa s12, v13, v7 src0_sel:BYTE_0 src1_sel:DWORD
	v_mov_b32_e32 v71, 0
	v_mov_b32_e32 v72, 0
	s_and_saveexec_b32 s25, s12
	s_cbranch_execz .LBB302_3832
; %bb.3825:                             ;   in Loop: Header=BB302_2076 Depth=1
	v_cmp_ne_u16_sdwa s12, v13, v86 src0_sel:BYTE_0 src1_sel:DWORD
	v_mov_b32_e32 v72, 0x8000
	s_and_saveexec_b32 s26, s12
	s_cbranch_execz .LBB302_3831
; %bb.3826:                             ;   in Loop: Header=BB302_2076 Depth=1
	v_and_b32_e32 v111, 0x7f, v13
	v_mov_b32_e32 v72, 0x7c01
	s_mov_b32 s27, exec_lo
	v_cmpx_ne_u32_e32 0x7f, v111
	s_cbranch_execz .LBB302_3830
; %bb.3827:                             ;   in Loop: Header=BB302_2076 Depth=1
	v_and_b32_e32 v72, 7, v13
	v_lshrrev_b32_e32 v110, 3, v111
	s_mov_b32 s28, exec_lo
	v_cmpx_gt_u32_e32 8, v111
; %bb.3828:                             ;   in Loop: Header=BB302_2076 Depth=1
	v_ffbh_u32_e32 v72, v72
	v_min_u32_e32 v72, 32, v72
	v_subrev_nc_u32_e32 v110, 28, v72
	v_lshlrev_b64 v[120:121], v110, v[6:7]
	v_sub_nc_u32_e32 v110, 29, v72
	v_and_b32_e32 v72, 7, v120
; %bb.3829:                             ;   in Loop: Header=BB302_2076 Depth=1
	s_or_b32 exec_lo, exec_lo, s28
	v_lshlrev_b32_e32 v111, 8, v13
	v_lshl_add_u32 v110, v110, 10, 0x2000
	v_lshlrev_b32_e32 v72, 7, v72
	v_and_b32_e32 v111, 0x8000, v111
	v_and_b32_e32 v110, 0xfc00, v110
	v_or3_b32 v72, v111, v110, v72
.LBB302_3830:                           ;   in Loop: Header=BB302_2076 Depth=1
	s_or_b32 exec_lo, exec_lo, s27
.LBB302_3831:                           ;   in Loop: Header=BB302_2076 Depth=1
	s_or_b32 exec_lo, exec_lo, s26
.LBB302_3832:                           ;   in Loop: Header=BB302_2076 Depth=1
	s_or_b32 exec_lo, exec_lo, s25
	v_lshrrev_b16 v6, 8, v6
	v_mov_b32_e32 v110, 0
	s_mov_b32 s25, exec_lo
	v_cmpx_ne_u16_e32 0, v6
	s_cbranch_execz .LBB302_3840
; %bb.3833:                             ;   in Loop: Header=BB302_2076 Depth=1
	v_bfrev_b32_e32 v110, 1
	s_mov_b32 s26, exec_lo
	v_cmpx_ne_u16_e32 0x80, v6
	s_cbranch_execz .LBB302_3839
; %bb.3834:                             ;   in Loop: Header=BB302_2076 Depth=1
	v_and_b32_sdwa v120, v6, v87 dst_sel:DWORD dst_unused:UNUSED_PAD src0_sel:WORD_0 src1_sel:DWORD
	v_mov_b32_e32 v110, 0x7c010000
	s_mov_b32 s27, exec_lo
	v_cmpx_ne_u32_e32 0x7f, v120
	s_cbranch_execz .LBB302_3838
; %bb.3835:                             ;   in Loop: Header=BB302_2076 Depth=1
	v_and_b32_sdwa v110, v6, v96 dst_sel:DWORD dst_unused:UNUSED_PAD src0_sel:WORD_0 src1_sel:DWORD
	v_lshrrev_b32_e32 v111, 3, v120
	s_mov_b32 s28, exec_lo
	v_cmpx_gt_u32_e32 8, v120
; %bb.3836:                             ;   in Loop: Header=BB302_2076 Depth=1
	v_ffbh_u32_e32 v110, v110
	v_min_u32_e32 v120, 32, v110
	v_subrev_nc_u32_e32 v110, 28, v120
	v_lshlrev_b64 v[110:111], v110, v[6:7]
	v_sub_nc_u32_e32 v111, 29, v120
	v_and_b32_e32 v110, 7, v110
; %bb.3837:                             ;   in Loop: Header=BB302_2076 Depth=1
	s_or_b32 exec_lo, exec_lo, s28
	v_lshlrev_b32_sdwa v6, v97, v6 dst_sel:DWORD dst_unused:UNUSED_PAD src0_sel:DWORD src1_sel:WORD_0
	v_lshl_add_u32 v111, v111, 10, 0x2000
	v_lshlrev_b32_e32 v110, 23, v110
	v_and_or_b32 v6, 0x8000, v6, v111
	v_lshl_or_b32 v110, v6, 16, v110
.LBB302_3838:                           ;   in Loop: Header=BB302_2076 Depth=1
	s_or_b32 exec_lo, exec_lo, s27
.LBB302_3839:                           ;   in Loop: Header=BB302_2076 Depth=1
	s_or_b32 exec_lo, exec_lo, s26
.LBB302_3840:                           ;   in Loop: Header=BB302_2076 Depth=1
	s_or_b32 exec_lo, exec_lo, s25
	v_lshrrev_b32_e32 v6, 16, v13
	v_cmp_ne_u16_sdwa s12, v6, v7 src0_sel:BYTE_0 src1_sel:DWORD
	s_and_saveexec_b32 s25, s12
	s_cbranch_execz .LBB302_3848
; %bb.3841:                             ;   in Loop: Header=BB302_2076 Depth=1
	v_cmp_ne_u16_sdwa s12, v6, v86 src0_sel:BYTE_0 src1_sel:DWORD
	v_mov_b32_e32 v71, 0x8000
	s_and_saveexec_b32 s26, s12
	s_cbranch_execz .LBB302_3847
; %bb.3842:                             ;   in Loop: Header=BB302_2076 Depth=1
	v_bfe_u32 v120, v13, 16, 7
	v_mov_b32_e32 v71, 0x7c01
	s_mov_b32 s27, exec_lo
	v_cmpx_ne_u32_e32 0x7f, v120
	s_cbranch_execz .LBB302_3846
; %bb.3843:                             ;   in Loop: Header=BB302_2076 Depth=1
	v_and_b32_e32 v71, 7, v6
	v_lshrrev_b32_e32 v111, 3, v120
	s_mov_b32 s28, exec_lo
	v_cmpx_gt_u32_e32 8, v120
; %bb.3844:                             ;   in Loop: Header=BB302_2076 Depth=1
	v_ffbh_u32_e32 v71, v71
	v_min_u32_e32 v71, 32, v71
	v_subrev_nc_u32_e32 v111, 28, v71
	v_lshlrev_b64 v[120:121], v111, v[6:7]
	v_sub_nc_u32_e32 v111, 29, v71
	v_and_b32_e32 v71, 7, v120
; %bb.3845:                             ;   in Loop: Header=BB302_2076 Depth=1
	s_or_b32 exec_lo, exec_lo, s28
	v_lshlrev_b32_e32 v6, 8, v6
	v_lshl_add_u32 v111, v111, 10, 0x2000
	v_lshlrev_b32_e32 v71, 7, v71
	v_and_b32_e32 v6, 0x8000, v6
	v_and_b32_e32 v111, 0xfc00, v111
	v_or3_b32 v71, v6, v111, v71
.LBB302_3846:                           ;   in Loop: Header=BB302_2076 Depth=1
	s_or_b32 exec_lo, exec_lo, s27
.LBB302_3847:                           ;   in Loop: Header=BB302_2076 Depth=1
	s_or_b32 exec_lo, exec_lo, s26
.LBB302_3848:                           ;   in Loop: Header=BB302_2076 Depth=1
	s_or_b32 exec_lo, exec_lo, s25
	v_cmp_lt_u64_e64 s12, s[22:23], v[12:13]
	v_mov_b32_e32 v12, 0
	s_and_saveexec_b32 s25, s12
	s_cbranch_execz .LBB302_3856
; %bb.3849:                             ;   in Loop: Header=BB302_2076 Depth=1
	v_lshrrev_b32_e32 v6, 24, v13
	v_bfrev_b32_e32 v12, 1
	s_mov_b32 s26, exec_lo
	v_cmpx_ne_u32_e32 0x80, v6
	s_cbranch_execz .LBB302_3855
; %bb.3850:                             ;   in Loop: Header=BB302_2076 Depth=1
	v_and_b32_e32 v111, 0x7f, v6
	v_mov_b32_e32 v12, 0x7c010000
	s_mov_b32 s27, exec_lo
	v_cmpx_ne_u32_e32 0x7f, v111
	s_cbranch_execz .LBB302_3854
; %bb.3851:                             ;   in Loop: Header=BB302_2076 Depth=1
	v_and_b32_e32 v12, 7, v6
	v_lshrrev_b32_e32 v13, 3, v111
	s_mov_b32 s28, exec_lo
	v_cmpx_gt_u32_e32 8, v111
; %bb.3852:                             ;   in Loop: Header=BB302_2076 Depth=1
	v_ffbh_u32_e32 v12, v12
	v_min_u32_e32 v111, 32, v12
	v_subrev_nc_u32_e32 v12, 28, v111
	v_lshlrev_b64 v[12:13], v12, v[6:7]
	v_sub_nc_u32_e32 v13, 29, v111
	v_and_b32_e32 v12, 7, v12
; %bb.3853:                             ;   in Loop: Header=BB302_2076 Depth=1
	s_or_b32 exec_lo, exec_lo, s28
	v_lshlrev_b32_e32 v6, 8, v6
	v_lshl_add_u32 v13, v13, 10, 0x2000
	v_lshlrev_b32_e32 v12, 23, v12
	v_and_or_b32 v6, 0x8000, v6, v13
	v_lshl_or_b32 v12, v6, 16, v12
.LBB302_3854:                           ;   in Loop: Header=BB302_2076 Depth=1
	s_or_b32 exec_lo, exec_lo, s27
.LBB302_3855:                           ;   in Loop: Header=BB302_2076 Depth=1
	s_or_b32 exec_lo, exec_lo, s26
.LBB302_3856:                           ;   in Loop: Header=BB302_2076 Depth=1
	s_or_b32 exec_lo, exec_lo, s25
	v_or_b32_e32 v6, v108, v109
	v_or_b32_e32 v107, v106, v107
	s_waitcnt vmcnt(0) lgkmcnt(0)
	v_fma_mixlo_f16 v106, v105, v106, 0 op_sel:[0,1,0] op_sel_hi:[0,1,0]
	v_or_b32_e32 v72, v110, v72
	v_or_b32_e32 v109, v12, v71
	v_fma_mixlo_f16 v13, v105, v108, 0 op_sel:[0,1,0] op_sel_hi:[0,1,0]
	v_fma_mixlo_f16 v108, v105, v6, 0 op_sel_hi:[0,1,0]
	v_lshlrev_b32_e32 v71, 16, v106
	v_fma_mixlo_f16 v106, v105, v107, 0 op_sel_hi:[0,1,0]
	v_fma_mixlo_f16 v107, v105, v110, 0 op_sel:[0,1,0] op_sel_hi:[0,1,0]
	v_fma_mixlo_f16 v72, v105, v72, 0 op_sel_hi:[0,1,0]
	v_fma_mixlo_f16 v12, v105, v12, 0 op_sel:[0,1,0] op_sel_hi:[0,1,0]
	v_fma_mixlo_f16 v105, v105, v109, 0 op_sel_hi:[0,1,0]
	v_lshlrev_b32_e32 v6, 16, v13
	v_and_b32_e32 v13, 0xffff, v108
	v_and_b32_e32 v111, 0xffff, v106
	v_lshlrev_b32_e32 v108, 16, v107
	v_and_b32_e32 v110, 0xffff, v72
	v_lshlrev_b32_e32 v107, 16, v12
	v_and_b32_e32 v109, 0xffff, v105
	v_or_b32_e32 v12, v6, v13
	v_or_b32_e32 v106, v71, v111
	;; [unrolled: 1-line block ×4, first 2 shown]
	s_and_saveexec_b32 s12, s7
	s_cbranch_execz .LBB302_3858
; %bb.3857:                             ;   in Loop: Header=BB302_2076 Depth=1
	v_cndmask_b32_e32 v12, 0, v111, vcc_lo
	v_cndmask_b32_e64 v71, 0, v71, s5
	v_cndmask_b32_e64 v13, 0, v13, s4
	;; [unrolled: 1-line block ×7, first 2 shown]
	v_or_b32_e32 v106, v12, v71
	v_or_b32_e32 v12, v13, v6
	;; [unrolled: 1-line block ×4, first 2 shown]
.LBB302_3858:                           ;   in Loop: Header=BB302_2076 Depth=1
	s_or_b32 exec_lo, exec_lo, s12
	;;#ASMSTART
	v_pk_mul_f16 v6, v102, v106;

	;;#ASMEND
	;;#ASMSTART
	v_pk_mul_f16 v12, v101, v12;

	;;#ASMEND
	;; [unrolled: 4-line block ×4, first 2 shown]
	;;#ASMSTART
	v_pk_add_f16 v6, v6, v12;

	;;#ASMEND
	;;#ASMSTART
	v_pk_add_f16 v6, v6, v13;

	;;#ASMEND
	;; [unrolled: 4-line block ×3, first 2 shown]
	v_and_b32_e32 v12, 0xffff, v6
	v_lshrrev_b32_e32 v6, 16, v6
	;;#ASMSTART
	v_cvt_f32_f16 v105, v12;
	;;#ASMEND
	;;#ASMSTART
	v_cvt_f32_f16 v106, v6;
	;;#ASMEND
	flat_load_dwordx2 v[12:13], v[10:11] offset:768
	s_clause 0x1
	buffer_load_dword v71, off, s[0:3], s32 offset:192
	buffer_load_dword v72, off, s[0:3], s32 offset:196
	v_mov_b32_e32 v108, 0
	v_mov_b32_e32 v109, 0
	s_waitcnt vmcnt(2) lgkmcnt(0)
	v_cmp_ne_u16_sdwa s12, v12, v7 src0_sel:BYTE_0 src1_sel:DWORD
	s_waitcnt vmcnt(0)
	flat_load_dword v107, v[71:72]
	s_and_saveexec_b32 s25, s12
	s_cbranch_execz .LBB302_3866
; %bb.3859:                             ;   in Loop: Header=BB302_2076 Depth=1
	v_cmp_ne_u16_sdwa s12, v12, v86 src0_sel:BYTE_0 src1_sel:DWORD
	v_mov_b32_e32 v109, 0x8000
	s_and_saveexec_b32 s26, s12
	s_cbranch_execz .LBB302_3865
; %bb.3860:                             ;   in Loop: Header=BB302_2076 Depth=1
	v_and_b32_e32 v72, 0x7f, v12
	v_mov_b32_e32 v109, 0x7c01
	s_mov_b32 s27, exec_lo
	v_cmpx_ne_u32_e32 0x7f, v72
	s_cbranch_execz .LBB302_3864
; %bb.3861:                             ;   in Loop: Header=BB302_2076 Depth=1
	v_and_b32_e32 v6, 7, v12
	v_lshrrev_b32_e32 v71, 3, v72
	s_mov_b32 s28, exec_lo
	v_cmpx_gt_u32_e32 8, v72
; %bb.3862:                             ;   in Loop: Header=BB302_2076 Depth=1
	v_ffbh_u32_e32 v6, v6
	v_min_u32_e32 v6, 32, v6
	v_subrev_nc_u32_e32 v71, 28, v6
	v_lshlrev_b64 v[109:110], v71, v[12:13]
	v_sub_nc_u32_e32 v71, 29, v6
	v_and_b32_e32 v6, 7, v109
; %bb.3863:                             ;   in Loop: Header=BB302_2076 Depth=1
	s_or_b32 exec_lo, exec_lo, s28
	v_lshlrev_b32_e32 v72, 8, v12
	v_lshl_add_u32 v71, v71, 10, 0x2000
	v_lshlrev_b32_e32 v6, 7, v6
	v_and_b32_e32 v72, 0x8000, v72
	v_and_b32_e32 v71, 0xfc00, v71
	v_or3_b32 v109, v72, v71, v6
.LBB302_3864:                           ;   in Loop: Header=BB302_2076 Depth=1
	s_or_b32 exec_lo, exec_lo, s27
.LBB302_3865:                           ;   in Loop: Header=BB302_2076 Depth=1
	s_or_b32 exec_lo, exec_lo, s26
.LBB302_3866:                           ;   in Loop: Header=BB302_2076 Depth=1
	s_or_b32 exec_lo, exec_lo, s25
	v_lshrrev_b16 v6, 8, v12
	s_mov_b32 s25, exec_lo
	v_cmpx_ne_u16_e32 0, v6
	s_cbranch_execz .LBB302_3874
; %bb.3867:                             ;   in Loop: Header=BB302_2076 Depth=1
	v_bfrev_b32_e32 v108, 1
	s_mov_b32 s26, exec_lo
	v_cmpx_ne_u16_e32 0x80, v6
	s_cbranch_execz .LBB302_3873
; %bb.3868:                             ;   in Loop: Header=BB302_2076 Depth=1
	v_and_b32_sdwa v110, v6, v87 dst_sel:DWORD dst_unused:UNUSED_PAD src0_sel:WORD_0 src1_sel:DWORD
	v_mov_b32_e32 v108, 0x7c010000
	s_mov_b32 s27, exec_lo
	v_cmpx_ne_u32_e32 0x7f, v110
	s_cbranch_execz .LBB302_3872
; %bb.3869:                             ;   in Loop: Header=BB302_2076 Depth=1
	v_and_b32_sdwa v71, v6, v96 dst_sel:DWORD dst_unused:UNUSED_PAD src0_sel:WORD_0 src1_sel:DWORD
	v_lshrrev_b32_e32 v72, 3, v110
	s_mov_b32 s28, exec_lo
	v_cmpx_gt_u32_e32 8, v110
; %bb.3870:                             ;   in Loop: Header=BB302_2076 Depth=1
	v_ffbh_u32_e32 v71, v71
	v_min_u32_e32 v108, 32, v71
	v_subrev_nc_u32_e32 v71, 28, v108
	v_lshlrev_b64 v[71:72], v71, v[6:7]
	v_sub_nc_u32_e32 v72, 29, v108
	v_and_b32_e32 v71, 7, v71
; %bb.3871:                             ;   in Loop: Header=BB302_2076 Depth=1
	s_or_b32 exec_lo, exec_lo, s28
	v_lshlrev_b32_sdwa v6, v97, v6 dst_sel:DWORD dst_unused:UNUSED_PAD src0_sel:DWORD src1_sel:WORD_0
	v_lshl_add_u32 v72, v72, 10, 0x2000
	v_lshlrev_b32_e32 v71, 23, v71
	v_and_or_b32 v6, 0x8000, v6, v72
	v_lshl_or_b32 v108, v6, 16, v71
.LBB302_3872:                           ;   in Loop: Header=BB302_2076 Depth=1
	s_or_b32 exec_lo, exec_lo, s27
.LBB302_3873:                           ;   in Loop: Header=BB302_2076 Depth=1
	s_or_b32 exec_lo, exec_lo, s26
.LBB302_3874:                           ;   in Loop: Header=BB302_2076 Depth=1
	s_or_b32 exec_lo, exec_lo, s25
	v_lshrrev_b32_e32 v6, 16, v12
	v_mov_b32_e32 v110, 0
	v_mov_b32_e32 v111, 0
	v_cmp_ne_u16_sdwa s12, v6, v7 src0_sel:BYTE_0 src1_sel:DWORD
	s_and_saveexec_b32 s25, s12
	s_cbranch_execz .LBB302_3882
; %bb.3875:                             ;   in Loop: Header=BB302_2076 Depth=1
	v_cmp_ne_u16_sdwa s12, v6, v86 src0_sel:BYTE_0 src1_sel:DWORD
	v_mov_b32_e32 v111, 0x8000
	s_and_saveexec_b32 s26, s12
	s_cbranch_execz .LBB302_3881
; %bb.3876:                             ;   in Loop: Header=BB302_2076 Depth=1
	v_bfe_u32 v120, v12, 16, 7
	v_mov_b32_e32 v111, 0x7c01
	s_mov_b32 s27, exec_lo
	v_cmpx_ne_u32_e32 0x7f, v120
	s_cbranch_execz .LBB302_3880
; %bb.3877:                             ;   in Loop: Header=BB302_2076 Depth=1
	v_and_b32_e32 v71, 7, v6
	v_lshrrev_b32_e32 v72, 3, v120
	s_mov_b32 s28, exec_lo
	v_cmpx_gt_u32_e32 8, v120
; %bb.3878:                             ;   in Loop: Header=BB302_2076 Depth=1
	v_ffbh_u32_e32 v71, v71
	v_min_u32_e32 v111, 32, v71
	v_subrev_nc_u32_e32 v71, 28, v111
	v_lshlrev_b64 v[71:72], v71, v[6:7]
	v_sub_nc_u32_e32 v72, 29, v111
	v_and_b32_e32 v71, 7, v71
; %bb.3879:                             ;   in Loop: Header=BB302_2076 Depth=1
	s_or_b32 exec_lo, exec_lo, s28
	v_lshlrev_b32_e32 v6, 8, v6
	v_lshl_add_u32 v72, v72, 10, 0x2000
	v_lshlrev_b32_e32 v71, 7, v71
	v_and_b32_e32 v6, 0x8000, v6
	v_and_b32_e32 v72, 0xfc00, v72
	v_or3_b32 v111, v6, v72, v71
.LBB302_3880:                           ;   in Loop: Header=BB302_2076 Depth=1
	s_or_b32 exec_lo, exec_lo, s27
.LBB302_3881:                           ;   in Loop: Header=BB302_2076 Depth=1
	s_or_b32 exec_lo, exec_lo, s26
.LBB302_3882:                           ;   in Loop: Header=BB302_2076 Depth=1
	s_or_b32 exec_lo, exec_lo, s25
	s_mov_b32 s25, exec_lo
	v_cmpx_lt_u32_e32 0xffffff, v12
	s_cbranch_execz .LBB302_3890
; %bb.3883:                             ;   in Loop: Header=BB302_2076 Depth=1
	v_lshrrev_b32_e32 v6, 24, v12
	v_bfrev_b32_e32 v110, 1
	s_mov_b32 s26, exec_lo
	v_cmpx_ne_u32_e32 0x80, v6
	s_cbranch_execz .LBB302_3889
; %bb.3884:                             ;   in Loop: Header=BB302_2076 Depth=1
	v_and_b32_e32 v120, 0x7f, v6
	v_mov_b32_e32 v110, 0x7c010000
	s_mov_b32 s27, exec_lo
	v_cmpx_ne_u32_e32 0x7f, v120
	s_cbranch_execz .LBB302_3888
; %bb.3885:                             ;   in Loop: Header=BB302_2076 Depth=1
	v_and_b32_e32 v71, 7, v6
	v_lshrrev_b32_e32 v72, 3, v120
	s_mov_b32 s28, exec_lo
	v_cmpx_gt_u32_e32 8, v120
; %bb.3886:                             ;   in Loop: Header=BB302_2076 Depth=1
	v_ffbh_u32_e32 v71, v71
	v_min_u32_e32 v110, 32, v71
	v_subrev_nc_u32_e32 v71, 28, v110
	v_lshlrev_b64 v[71:72], v71, v[6:7]
	v_sub_nc_u32_e32 v72, 29, v110
	v_and_b32_e32 v71, 7, v71
; %bb.3887:                             ;   in Loop: Header=BB302_2076 Depth=1
	s_or_b32 exec_lo, exec_lo, s28
	v_lshlrev_b32_e32 v6, 8, v6
	v_lshl_add_u32 v72, v72, 10, 0x2000
	v_lshlrev_b32_e32 v71, 23, v71
	v_and_or_b32 v6, 0x8000, v6, v72
	v_lshl_or_b32 v110, v6, 16, v71
.LBB302_3888:                           ;   in Loop: Header=BB302_2076 Depth=1
	s_or_b32 exec_lo, exec_lo, s27
.LBB302_3889:                           ;   in Loop: Header=BB302_2076 Depth=1
	s_or_b32 exec_lo, exec_lo, s26
.LBB302_3890:                           ;   in Loop: Header=BB302_2076 Depth=1
	s_or_b32 exec_lo, exec_lo, s25
	v_mov_b32_e32 v6, v13
	v_cmp_ne_u16_sdwa s12, v13, v7 src0_sel:BYTE_0 src1_sel:DWORD
	v_mov_b32_e32 v71, 0
	v_mov_b32_e32 v72, 0
	s_and_saveexec_b32 s25, s12
	s_cbranch_execz .LBB302_3898
; %bb.3891:                             ;   in Loop: Header=BB302_2076 Depth=1
	v_cmp_ne_u16_sdwa s12, v13, v86 src0_sel:BYTE_0 src1_sel:DWORD
	v_mov_b32_e32 v72, 0x8000
	s_and_saveexec_b32 s26, s12
	s_cbranch_execz .LBB302_3897
; %bb.3892:                             ;   in Loop: Header=BB302_2076 Depth=1
	v_and_b32_e32 v121, 0x7f, v13
	v_mov_b32_e32 v72, 0x7c01
	s_mov_b32 s27, exec_lo
	v_cmpx_ne_u32_e32 0x7f, v121
	s_cbranch_execz .LBB302_3896
; %bb.3893:                             ;   in Loop: Header=BB302_2076 Depth=1
	v_and_b32_e32 v72, 7, v13
	v_lshrrev_b32_e32 v120, 3, v121
	s_mov_b32 s28, exec_lo
	v_cmpx_gt_u32_e32 8, v121
; %bb.3894:                             ;   in Loop: Header=BB302_2076 Depth=1
	v_ffbh_u32_e32 v72, v72
	v_min_u32_e32 v72, 32, v72
	v_subrev_nc_u32_e32 v120, 28, v72
	v_lshlrev_b64 v[121:122], v120, v[6:7]
	v_sub_nc_u32_e32 v120, 29, v72
	v_and_b32_e32 v72, 7, v121
; %bb.3895:                             ;   in Loop: Header=BB302_2076 Depth=1
	s_or_b32 exec_lo, exec_lo, s28
	v_lshlrev_b32_e32 v121, 8, v13
	v_lshl_add_u32 v120, v120, 10, 0x2000
	v_lshlrev_b32_e32 v72, 7, v72
	v_and_b32_e32 v121, 0x8000, v121
	v_and_b32_e32 v120, 0xfc00, v120
	v_or3_b32 v72, v121, v120, v72
.LBB302_3896:                           ;   in Loop: Header=BB302_2076 Depth=1
	s_or_b32 exec_lo, exec_lo, s27
.LBB302_3897:                           ;   in Loop: Header=BB302_2076 Depth=1
	s_or_b32 exec_lo, exec_lo, s26
.LBB302_3898:                           ;   in Loop: Header=BB302_2076 Depth=1
	s_or_b32 exec_lo, exec_lo, s25
	v_lshrrev_b16 v6, 8, v6
	v_mov_b32_e32 v120, 0
	s_mov_b32 s25, exec_lo
	v_cmpx_ne_u16_e32 0, v6
	s_cbranch_execz .LBB302_3906
; %bb.3899:                             ;   in Loop: Header=BB302_2076 Depth=1
	v_bfrev_b32_e32 v120, 1
	s_mov_b32 s26, exec_lo
	v_cmpx_ne_u16_e32 0x80, v6
	s_cbranch_execz .LBB302_3905
; %bb.3900:                             ;   in Loop: Header=BB302_2076 Depth=1
	v_and_b32_sdwa v122, v6, v87 dst_sel:DWORD dst_unused:UNUSED_PAD src0_sel:WORD_0 src1_sel:DWORD
	v_mov_b32_e32 v120, 0x7c010000
	s_mov_b32 s27, exec_lo
	v_cmpx_ne_u32_e32 0x7f, v122
	s_cbranch_execz .LBB302_3904
; %bb.3901:                             ;   in Loop: Header=BB302_2076 Depth=1
	v_and_b32_sdwa v120, v6, v96 dst_sel:DWORD dst_unused:UNUSED_PAD src0_sel:WORD_0 src1_sel:DWORD
	v_lshrrev_b32_e32 v121, 3, v122
	s_mov_b32 s28, exec_lo
	v_cmpx_gt_u32_e32 8, v122
; %bb.3902:                             ;   in Loop: Header=BB302_2076 Depth=1
	v_ffbh_u32_e32 v120, v120
	v_min_u32_e32 v122, 32, v120
	v_subrev_nc_u32_e32 v120, 28, v122
	v_lshlrev_b64 v[120:121], v120, v[6:7]
	v_sub_nc_u32_e32 v121, 29, v122
	v_and_b32_e32 v120, 7, v120
; %bb.3903:                             ;   in Loop: Header=BB302_2076 Depth=1
	s_or_b32 exec_lo, exec_lo, s28
	v_lshlrev_b32_sdwa v6, v97, v6 dst_sel:DWORD dst_unused:UNUSED_PAD src0_sel:DWORD src1_sel:WORD_0
	v_lshl_add_u32 v121, v121, 10, 0x2000
	v_lshlrev_b32_e32 v120, 23, v120
	v_and_or_b32 v6, 0x8000, v6, v121
	v_lshl_or_b32 v120, v6, 16, v120
.LBB302_3904:                           ;   in Loop: Header=BB302_2076 Depth=1
	s_or_b32 exec_lo, exec_lo, s27
.LBB302_3905:                           ;   in Loop: Header=BB302_2076 Depth=1
	s_or_b32 exec_lo, exec_lo, s26
.LBB302_3906:                           ;   in Loop: Header=BB302_2076 Depth=1
	s_or_b32 exec_lo, exec_lo, s25
	v_lshrrev_b32_e32 v6, 16, v13
	v_cmp_ne_u16_sdwa s12, v6, v7 src0_sel:BYTE_0 src1_sel:DWORD
	s_and_saveexec_b32 s25, s12
	s_cbranch_execz .LBB302_3914
; %bb.3907:                             ;   in Loop: Header=BB302_2076 Depth=1
	v_cmp_ne_u16_sdwa s12, v6, v86 src0_sel:BYTE_0 src1_sel:DWORD
	v_mov_b32_e32 v71, 0x8000
	s_and_saveexec_b32 s26, s12
	s_cbranch_execz .LBB302_3913
; %bb.3908:                             ;   in Loop: Header=BB302_2076 Depth=1
	v_bfe_u32 v122, v13, 16, 7
	v_mov_b32_e32 v71, 0x7c01
	s_mov_b32 s27, exec_lo
	v_cmpx_ne_u32_e32 0x7f, v122
	s_cbranch_execz .LBB302_3912
; %bb.3909:                             ;   in Loop: Header=BB302_2076 Depth=1
	v_and_b32_e32 v71, 7, v6
	v_lshrrev_b32_e32 v121, 3, v122
	s_mov_b32 s28, exec_lo
	v_cmpx_gt_u32_e32 8, v122
; %bb.3910:                             ;   in Loop: Header=BB302_2076 Depth=1
	v_ffbh_u32_e32 v71, v71
	v_min_u32_e32 v71, 32, v71
	v_subrev_nc_u32_e32 v121, 28, v71
	v_lshlrev_b64 v[122:123], v121, v[6:7]
	v_sub_nc_u32_e32 v121, 29, v71
	v_and_b32_e32 v71, 7, v122
; %bb.3911:                             ;   in Loop: Header=BB302_2076 Depth=1
	s_or_b32 exec_lo, exec_lo, s28
	v_lshlrev_b32_e32 v6, 8, v6
	v_lshl_add_u32 v121, v121, 10, 0x2000
	v_lshlrev_b32_e32 v71, 7, v71
	v_and_b32_e32 v6, 0x8000, v6
	v_and_b32_e32 v121, 0xfc00, v121
	v_or3_b32 v71, v6, v121, v71
.LBB302_3912:                           ;   in Loop: Header=BB302_2076 Depth=1
	s_or_b32 exec_lo, exec_lo, s27
.LBB302_3913:                           ;   in Loop: Header=BB302_2076 Depth=1
	s_or_b32 exec_lo, exec_lo, s26
.LBB302_3914:                           ;   in Loop: Header=BB302_2076 Depth=1
	s_or_b32 exec_lo, exec_lo, s25
	v_cmp_lt_u64_e64 s12, s[22:23], v[12:13]
	v_mov_b32_e32 v12, 0
	s_and_saveexec_b32 s25, s12
	s_cbranch_execz .LBB302_3922
; %bb.3915:                             ;   in Loop: Header=BB302_2076 Depth=1
	v_lshrrev_b32_e32 v6, 24, v13
	v_bfrev_b32_e32 v12, 1
	s_mov_b32 s26, exec_lo
	v_cmpx_ne_u32_e32 0x80, v6
	s_cbranch_execz .LBB302_3921
; %bb.3916:                             ;   in Loop: Header=BB302_2076 Depth=1
	v_and_b32_e32 v121, 0x7f, v6
	v_mov_b32_e32 v12, 0x7c010000
	s_mov_b32 s27, exec_lo
	v_cmpx_ne_u32_e32 0x7f, v121
	s_cbranch_execz .LBB302_3920
; %bb.3917:                             ;   in Loop: Header=BB302_2076 Depth=1
	v_and_b32_e32 v12, 7, v6
	v_lshrrev_b32_e32 v13, 3, v121
	s_mov_b32 s28, exec_lo
	v_cmpx_gt_u32_e32 8, v121
; %bb.3918:                             ;   in Loop: Header=BB302_2076 Depth=1
	v_ffbh_u32_e32 v12, v12
	v_min_u32_e32 v121, 32, v12
	v_subrev_nc_u32_e32 v12, 28, v121
	v_lshlrev_b64 v[12:13], v12, v[6:7]
	v_sub_nc_u32_e32 v13, 29, v121
	v_and_b32_e32 v12, 7, v12
; %bb.3919:                             ;   in Loop: Header=BB302_2076 Depth=1
	s_or_b32 exec_lo, exec_lo, s28
	v_lshlrev_b32_e32 v6, 8, v6
	v_lshl_add_u32 v13, v13, 10, 0x2000
	v_lshlrev_b32_e32 v12, 23, v12
	v_and_or_b32 v6, 0x8000, v6, v13
	v_lshl_or_b32 v12, v6, 16, v12
.LBB302_3920:                           ;   in Loop: Header=BB302_2076 Depth=1
	s_or_b32 exec_lo, exec_lo, s27
.LBB302_3921:                           ;   in Loop: Header=BB302_2076 Depth=1
	s_or_b32 exec_lo, exec_lo, s26
.LBB302_3922:                           ;   in Loop: Header=BB302_2076 Depth=1
	s_or_b32 exec_lo, exec_lo, s25
	v_or_b32_e32 v6, v110, v111
	v_or_b32_e32 v109, v108, v109
	s_waitcnt vmcnt(0) lgkmcnt(0)
	v_fma_mixlo_f16 v108, v107, v108, 0 op_sel:[0,1,0] op_sel_hi:[0,1,0]
	v_or_b32_e32 v72, v120, v72
	v_or_b32_e32 v111, v12, v71
	v_fma_mixlo_f16 v13, v107, v110, 0 op_sel:[0,1,0] op_sel_hi:[0,1,0]
	v_fma_mixlo_f16 v110, v107, v6, 0 op_sel_hi:[0,1,0]
	v_lshlrev_b32_e32 v71, 16, v108
	v_fma_mixlo_f16 v108, v107, v109, 0 op_sel_hi:[0,1,0]
	v_fma_mixlo_f16 v109, v107, v120, 0 op_sel:[0,1,0] op_sel_hi:[0,1,0]
	v_fma_mixlo_f16 v72, v107, v72, 0 op_sel_hi:[0,1,0]
	v_fma_mixlo_f16 v12, v107, v12, 0 op_sel:[0,1,0] op_sel_hi:[0,1,0]
	v_fma_mixlo_f16 v107, v107, v111, 0 op_sel_hi:[0,1,0]
	v_lshlrev_b32_e32 v6, 16, v13
	v_and_b32_e32 v13, 0xffff, v110
	v_and_b32_e32 v121, 0xffff, v108
	v_lshlrev_b32_e32 v110, 16, v109
	v_and_b32_e32 v120, 0xffff, v72
	v_lshlrev_b32_e32 v109, 16, v12
	v_and_b32_e32 v111, 0xffff, v107
	v_or_b32_e32 v12, v6, v13
	v_or_b32_e32 v108, v71, v121
	;; [unrolled: 1-line block ×4, first 2 shown]
	s_and_saveexec_b32 s12, s7
	s_cbranch_execz .LBB302_3924
; %bb.3923:                             ;   in Loop: Header=BB302_2076 Depth=1
	v_cndmask_b32_e32 v12, 0, v121, vcc_lo
	v_cndmask_b32_e64 v71, 0, v71, s5
	v_cndmask_b32_e64 v13, 0, v13, s4
	;; [unrolled: 1-line block ×7, first 2 shown]
	v_or_b32_e32 v108, v12, v71
	v_or_b32_e32 v12, v13, v6
	;; [unrolled: 1-line block ×4, first 2 shown]
.LBB302_3924:                           ;   in Loop: Header=BB302_2076 Depth=1
	s_or_b32 exec_lo, exec_lo, s12
	;;#ASMSTART
	v_pk_mul_f16 v6, v102, v108;

	;;#ASMEND
	;;#ASMSTART
	v_pk_mul_f16 v12, v101, v12;

	;;#ASMEND
	;; [unrolled: 4-line block ×4, first 2 shown]
	;;#ASMSTART
	v_pk_add_f16 v6, v6, v12;

	;;#ASMEND
	;;#ASMSTART
	v_pk_add_f16 v6, v6, v13;

	;;#ASMEND
	;; [unrolled: 4-line block ×3, first 2 shown]
	v_and_b32_e32 v12, 0xffff, v6
	v_lshrrev_b32_e32 v6, 16, v6
	;;#ASMSTART
	v_cvt_f32_f16 v107, v12;
	;;#ASMEND
	;;#ASMSTART
	v_cvt_f32_f16 v108, v6;
	;;#ASMEND
	flat_load_dwordx2 v[12:13], v[10:11] offset:1024
	s_clause 0x1
	buffer_load_dword v71, off, s[0:3], s32 offset:192
	buffer_load_dword v72, off, s[0:3], s32 offset:196
	v_mov_b32_e32 v110, 0
	v_mov_b32_e32 v111, 0
	s_waitcnt vmcnt(2) lgkmcnt(0)
	v_cmp_ne_u16_sdwa s12, v12, v7 src0_sel:BYTE_0 src1_sel:DWORD
	s_waitcnt vmcnt(0)
	flat_load_dword v109, v[71:72]
	s_and_saveexec_b32 s25, s12
	s_cbranch_execz .LBB302_3932
; %bb.3925:                             ;   in Loop: Header=BB302_2076 Depth=1
	v_cmp_ne_u16_sdwa s12, v12, v86 src0_sel:BYTE_0 src1_sel:DWORD
	v_mov_b32_e32 v111, 0x8000
	s_and_saveexec_b32 s26, s12
	s_cbranch_execz .LBB302_3931
; %bb.3926:                             ;   in Loop: Header=BB302_2076 Depth=1
	v_and_b32_e32 v72, 0x7f, v12
	v_mov_b32_e32 v111, 0x7c01
	s_mov_b32 s27, exec_lo
	v_cmpx_ne_u32_e32 0x7f, v72
	s_cbranch_execz .LBB302_3930
; %bb.3927:                             ;   in Loop: Header=BB302_2076 Depth=1
	v_and_b32_e32 v6, 7, v12
	v_lshrrev_b32_e32 v71, 3, v72
	s_mov_b32 s28, exec_lo
	v_cmpx_gt_u32_e32 8, v72
; %bb.3928:                             ;   in Loop: Header=BB302_2076 Depth=1
	v_ffbh_u32_e32 v6, v6
	v_min_u32_e32 v6, 32, v6
	v_subrev_nc_u32_e32 v71, 28, v6
	v_lshlrev_b64 v[120:121], v71, v[12:13]
	v_sub_nc_u32_e32 v71, 29, v6
	v_and_b32_e32 v6, 7, v120
; %bb.3929:                             ;   in Loop: Header=BB302_2076 Depth=1
	s_or_b32 exec_lo, exec_lo, s28
	v_lshlrev_b32_e32 v72, 8, v12
	v_lshl_add_u32 v71, v71, 10, 0x2000
	v_lshlrev_b32_e32 v6, 7, v6
	v_and_b32_e32 v72, 0x8000, v72
	v_and_b32_e32 v71, 0xfc00, v71
	v_or3_b32 v111, v72, v71, v6
.LBB302_3930:                           ;   in Loop: Header=BB302_2076 Depth=1
	s_or_b32 exec_lo, exec_lo, s27
.LBB302_3931:                           ;   in Loop: Header=BB302_2076 Depth=1
	s_or_b32 exec_lo, exec_lo, s26
.LBB302_3932:                           ;   in Loop: Header=BB302_2076 Depth=1
	s_or_b32 exec_lo, exec_lo, s25
	v_lshrrev_b16 v6, 8, v12
	s_mov_b32 s25, exec_lo
	v_cmpx_ne_u16_e32 0, v6
	s_cbranch_execz .LBB302_3940
; %bb.3933:                             ;   in Loop: Header=BB302_2076 Depth=1
	v_bfrev_b32_e32 v110, 1
	s_mov_b32 s26, exec_lo
	v_cmpx_ne_u16_e32 0x80, v6
	s_cbranch_execz .LBB302_3939
; %bb.3934:                             ;   in Loop: Header=BB302_2076 Depth=1
	v_and_b32_sdwa v120, v6, v87 dst_sel:DWORD dst_unused:UNUSED_PAD src0_sel:WORD_0 src1_sel:DWORD
	v_mov_b32_e32 v110, 0x7c010000
	s_mov_b32 s27, exec_lo
	v_cmpx_ne_u32_e32 0x7f, v120
	s_cbranch_execz .LBB302_3938
; %bb.3935:                             ;   in Loop: Header=BB302_2076 Depth=1
	v_and_b32_sdwa v71, v6, v96 dst_sel:DWORD dst_unused:UNUSED_PAD src0_sel:WORD_0 src1_sel:DWORD
	v_lshrrev_b32_e32 v72, 3, v120
	s_mov_b32 s28, exec_lo
	v_cmpx_gt_u32_e32 8, v120
; %bb.3936:                             ;   in Loop: Header=BB302_2076 Depth=1
	v_ffbh_u32_e32 v71, v71
	v_min_u32_e32 v110, 32, v71
	v_subrev_nc_u32_e32 v71, 28, v110
	v_lshlrev_b64 v[71:72], v71, v[6:7]
	v_sub_nc_u32_e32 v72, 29, v110
	v_and_b32_e32 v71, 7, v71
; %bb.3937:                             ;   in Loop: Header=BB302_2076 Depth=1
	s_or_b32 exec_lo, exec_lo, s28
	v_lshlrev_b32_sdwa v6, v97, v6 dst_sel:DWORD dst_unused:UNUSED_PAD src0_sel:DWORD src1_sel:WORD_0
	v_lshl_add_u32 v72, v72, 10, 0x2000
	v_lshlrev_b32_e32 v71, 23, v71
	v_and_or_b32 v6, 0x8000, v6, v72
	v_lshl_or_b32 v110, v6, 16, v71
.LBB302_3938:                           ;   in Loop: Header=BB302_2076 Depth=1
	s_or_b32 exec_lo, exec_lo, s27
.LBB302_3939:                           ;   in Loop: Header=BB302_2076 Depth=1
	s_or_b32 exec_lo, exec_lo, s26
.LBB302_3940:                           ;   in Loop: Header=BB302_2076 Depth=1
	s_or_b32 exec_lo, exec_lo, s25
	v_lshrrev_b32_e32 v6, 16, v12
	v_mov_b32_e32 v120, 0
	v_mov_b32_e32 v121, 0
	v_cmp_ne_u16_sdwa s12, v6, v7 src0_sel:BYTE_0 src1_sel:DWORD
	s_and_saveexec_b32 s25, s12
	s_cbranch_execz .LBB302_3948
; %bb.3941:                             ;   in Loop: Header=BB302_2076 Depth=1
	v_cmp_ne_u16_sdwa s12, v6, v86 src0_sel:BYTE_0 src1_sel:DWORD
	v_mov_b32_e32 v121, 0x8000
	s_and_saveexec_b32 s26, s12
	s_cbranch_execz .LBB302_3947
; %bb.3942:                             ;   in Loop: Header=BB302_2076 Depth=1
	v_bfe_u32 v122, v12, 16, 7
	v_mov_b32_e32 v121, 0x7c01
	s_mov_b32 s27, exec_lo
	v_cmpx_ne_u32_e32 0x7f, v122
	s_cbranch_execz .LBB302_3946
; %bb.3943:                             ;   in Loop: Header=BB302_2076 Depth=1
	v_and_b32_e32 v71, 7, v6
	v_lshrrev_b32_e32 v72, 3, v122
	s_mov_b32 s28, exec_lo
	v_cmpx_gt_u32_e32 8, v122
; %bb.3944:                             ;   in Loop: Header=BB302_2076 Depth=1
	v_ffbh_u32_e32 v71, v71
	v_min_u32_e32 v121, 32, v71
	v_subrev_nc_u32_e32 v71, 28, v121
	v_lshlrev_b64 v[71:72], v71, v[6:7]
	v_sub_nc_u32_e32 v72, 29, v121
	v_and_b32_e32 v71, 7, v71
; %bb.3945:                             ;   in Loop: Header=BB302_2076 Depth=1
	s_or_b32 exec_lo, exec_lo, s28
	v_lshlrev_b32_e32 v6, 8, v6
	v_lshl_add_u32 v72, v72, 10, 0x2000
	v_lshlrev_b32_e32 v71, 7, v71
	v_and_b32_e32 v6, 0x8000, v6
	v_and_b32_e32 v72, 0xfc00, v72
	v_or3_b32 v121, v6, v72, v71
.LBB302_3946:                           ;   in Loop: Header=BB302_2076 Depth=1
	s_or_b32 exec_lo, exec_lo, s27
.LBB302_3947:                           ;   in Loop: Header=BB302_2076 Depth=1
	s_or_b32 exec_lo, exec_lo, s26
.LBB302_3948:                           ;   in Loop: Header=BB302_2076 Depth=1
	s_or_b32 exec_lo, exec_lo, s25
	s_mov_b32 s25, exec_lo
	v_cmpx_lt_u32_e32 0xffffff, v12
	s_cbranch_execz .LBB302_3956
; %bb.3949:                             ;   in Loop: Header=BB302_2076 Depth=1
	v_lshrrev_b32_e32 v6, 24, v12
	v_bfrev_b32_e32 v120, 1
	s_mov_b32 s26, exec_lo
	v_cmpx_ne_u32_e32 0x80, v6
	s_cbranch_execz .LBB302_3955
; %bb.3950:                             ;   in Loop: Header=BB302_2076 Depth=1
	v_and_b32_e32 v122, 0x7f, v6
	v_mov_b32_e32 v120, 0x7c010000
	s_mov_b32 s27, exec_lo
	v_cmpx_ne_u32_e32 0x7f, v122
	s_cbranch_execz .LBB302_3954
; %bb.3951:                             ;   in Loop: Header=BB302_2076 Depth=1
	v_and_b32_e32 v71, 7, v6
	v_lshrrev_b32_e32 v72, 3, v122
	s_mov_b32 s28, exec_lo
	v_cmpx_gt_u32_e32 8, v122
; %bb.3952:                             ;   in Loop: Header=BB302_2076 Depth=1
	v_ffbh_u32_e32 v71, v71
	v_min_u32_e32 v120, 32, v71
	v_subrev_nc_u32_e32 v71, 28, v120
	v_lshlrev_b64 v[71:72], v71, v[6:7]
	v_sub_nc_u32_e32 v72, 29, v120
	v_and_b32_e32 v71, 7, v71
; %bb.3953:                             ;   in Loop: Header=BB302_2076 Depth=1
	s_or_b32 exec_lo, exec_lo, s28
	v_lshlrev_b32_e32 v6, 8, v6
	v_lshl_add_u32 v72, v72, 10, 0x2000
	v_lshlrev_b32_e32 v71, 23, v71
	v_and_or_b32 v6, 0x8000, v6, v72
	v_lshl_or_b32 v120, v6, 16, v71
.LBB302_3954:                           ;   in Loop: Header=BB302_2076 Depth=1
	s_or_b32 exec_lo, exec_lo, s27
.LBB302_3955:                           ;   in Loop: Header=BB302_2076 Depth=1
	s_or_b32 exec_lo, exec_lo, s26
.LBB302_3956:                           ;   in Loop: Header=BB302_2076 Depth=1
	s_or_b32 exec_lo, exec_lo, s25
	v_mov_b32_e32 v6, v13
	v_cmp_ne_u16_sdwa s12, v13, v7 src0_sel:BYTE_0 src1_sel:DWORD
	v_mov_b32_e32 v71, 0
	v_mov_b32_e32 v72, 0
	s_and_saveexec_b32 s25, s12
	s_cbranch_execz .LBB302_3964
; %bb.3957:                             ;   in Loop: Header=BB302_2076 Depth=1
	v_cmp_ne_u16_sdwa s12, v13, v86 src0_sel:BYTE_0 src1_sel:DWORD
	v_mov_b32_e32 v72, 0x8000
	s_and_saveexec_b32 s26, s12
	s_cbranch_execz .LBB302_3963
; %bb.3958:                             ;   in Loop: Header=BB302_2076 Depth=1
	v_and_b32_e32 v123, 0x7f, v13
	v_mov_b32_e32 v72, 0x7c01
	s_mov_b32 s27, exec_lo
	v_cmpx_ne_u32_e32 0x7f, v123
	s_cbranch_execz .LBB302_3962
; %bb.3959:                             ;   in Loop: Header=BB302_2076 Depth=1
	v_and_b32_e32 v72, 7, v13
	v_lshrrev_b32_e32 v122, 3, v123
	s_mov_b32 s28, exec_lo
	v_cmpx_gt_u32_e32 8, v123
; %bb.3960:                             ;   in Loop: Header=BB302_2076 Depth=1
	v_ffbh_u32_e32 v72, v72
	v_min_u32_e32 v72, 32, v72
	v_subrev_nc_u32_e32 v122, 28, v72
	v_lshlrev_b64 v[123:124], v122, v[6:7]
	v_sub_nc_u32_e32 v122, 29, v72
	v_and_b32_e32 v72, 7, v123
; %bb.3961:                             ;   in Loop: Header=BB302_2076 Depth=1
	s_or_b32 exec_lo, exec_lo, s28
	v_lshlrev_b32_e32 v123, 8, v13
	v_lshl_add_u32 v122, v122, 10, 0x2000
	v_lshlrev_b32_e32 v72, 7, v72
	v_and_b32_e32 v123, 0x8000, v123
	v_and_b32_e32 v122, 0xfc00, v122
	v_or3_b32 v72, v123, v122, v72
.LBB302_3962:                           ;   in Loop: Header=BB302_2076 Depth=1
	s_or_b32 exec_lo, exec_lo, s27
.LBB302_3963:                           ;   in Loop: Header=BB302_2076 Depth=1
	s_or_b32 exec_lo, exec_lo, s26
.LBB302_3964:                           ;   in Loop: Header=BB302_2076 Depth=1
	s_or_b32 exec_lo, exec_lo, s25
	v_lshrrev_b16 v6, 8, v6
	v_mov_b32_e32 v122, 0
	s_mov_b32 s25, exec_lo
	v_cmpx_ne_u16_e32 0, v6
	s_cbranch_execz .LBB302_3972
; %bb.3965:                             ;   in Loop: Header=BB302_2076 Depth=1
	v_bfrev_b32_e32 v122, 1
	s_mov_b32 s26, exec_lo
	v_cmpx_ne_u16_e32 0x80, v6
	s_cbranch_execz .LBB302_3971
; %bb.3966:                             ;   in Loop: Header=BB302_2076 Depth=1
	v_and_b32_sdwa v124, v6, v87 dst_sel:DWORD dst_unused:UNUSED_PAD src0_sel:WORD_0 src1_sel:DWORD
	v_mov_b32_e32 v122, 0x7c010000
	s_mov_b32 s27, exec_lo
	v_cmpx_ne_u32_e32 0x7f, v124
	s_cbranch_execz .LBB302_3970
; %bb.3967:                             ;   in Loop: Header=BB302_2076 Depth=1
	v_and_b32_sdwa v122, v6, v96 dst_sel:DWORD dst_unused:UNUSED_PAD src0_sel:WORD_0 src1_sel:DWORD
	v_lshrrev_b32_e32 v123, 3, v124
	s_mov_b32 s28, exec_lo
	v_cmpx_gt_u32_e32 8, v124
; %bb.3968:                             ;   in Loop: Header=BB302_2076 Depth=1
	v_ffbh_u32_e32 v122, v122
	v_min_u32_e32 v124, 32, v122
	v_subrev_nc_u32_e32 v122, 28, v124
	v_lshlrev_b64 v[122:123], v122, v[6:7]
	v_sub_nc_u32_e32 v123, 29, v124
	v_and_b32_e32 v122, 7, v122
; %bb.3969:                             ;   in Loop: Header=BB302_2076 Depth=1
	s_or_b32 exec_lo, exec_lo, s28
	v_lshlrev_b32_sdwa v6, v97, v6 dst_sel:DWORD dst_unused:UNUSED_PAD src0_sel:DWORD src1_sel:WORD_0
	v_lshl_add_u32 v123, v123, 10, 0x2000
	v_lshlrev_b32_e32 v122, 23, v122
	v_and_or_b32 v6, 0x8000, v6, v123
	v_lshl_or_b32 v122, v6, 16, v122
.LBB302_3970:                           ;   in Loop: Header=BB302_2076 Depth=1
	s_or_b32 exec_lo, exec_lo, s27
.LBB302_3971:                           ;   in Loop: Header=BB302_2076 Depth=1
	s_or_b32 exec_lo, exec_lo, s26
.LBB302_3972:                           ;   in Loop: Header=BB302_2076 Depth=1
	s_or_b32 exec_lo, exec_lo, s25
	v_lshrrev_b32_e32 v6, 16, v13
	v_cmp_ne_u16_sdwa s12, v6, v7 src0_sel:BYTE_0 src1_sel:DWORD
	s_and_saveexec_b32 s25, s12
	s_cbranch_execz .LBB302_3980
; %bb.3973:                             ;   in Loop: Header=BB302_2076 Depth=1
	v_cmp_ne_u16_sdwa s12, v6, v86 src0_sel:BYTE_0 src1_sel:DWORD
	v_mov_b32_e32 v71, 0x8000
	s_and_saveexec_b32 s26, s12
	s_cbranch_execz .LBB302_3979
; %bb.3974:                             ;   in Loop: Header=BB302_2076 Depth=1
	v_bfe_u32 v124, v13, 16, 7
	v_mov_b32_e32 v71, 0x7c01
	s_mov_b32 s27, exec_lo
	v_cmpx_ne_u32_e32 0x7f, v124
	s_cbranch_execz .LBB302_3978
; %bb.3975:                             ;   in Loop: Header=BB302_2076 Depth=1
	v_and_b32_e32 v71, 7, v6
	v_lshrrev_b32_e32 v123, 3, v124
	s_mov_b32 s28, exec_lo
	v_cmpx_gt_u32_e32 8, v124
; %bb.3976:                             ;   in Loop: Header=BB302_2076 Depth=1
	v_ffbh_u32_e32 v71, v71
	v_min_u32_e32 v71, 32, v71
	v_subrev_nc_u32_e32 v123, 28, v71
	v_lshlrev_b64 v[124:125], v123, v[6:7]
	v_sub_nc_u32_e32 v123, 29, v71
	v_and_b32_e32 v71, 7, v124
; %bb.3977:                             ;   in Loop: Header=BB302_2076 Depth=1
	s_or_b32 exec_lo, exec_lo, s28
	v_lshlrev_b32_e32 v6, 8, v6
	v_lshl_add_u32 v123, v123, 10, 0x2000
	v_lshlrev_b32_e32 v71, 7, v71
	v_and_b32_e32 v6, 0x8000, v6
	v_and_b32_e32 v123, 0xfc00, v123
	v_or3_b32 v71, v6, v123, v71
.LBB302_3978:                           ;   in Loop: Header=BB302_2076 Depth=1
	s_or_b32 exec_lo, exec_lo, s27
.LBB302_3979:                           ;   in Loop: Header=BB302_2076 Depth=1
	s_or_b32 exec_lo, exec_lo, s26
.LBB302_3980:                           ;   in Loop: Header=BB302_2076 Depth=1
	s_or_b32 exec_lo, exec_lo, s25
	v_cmp_lt_u64_e64 s12, s[22:23], v[12:13]
	v_mov_b32_e32 v12, 0
	s_and_saveexec_b32 s25, s12
	s_cbranch_execz .LBB302_3988
; %bb.3981:                             ;   in Loop: Header=BB302_2076 Depth=1
	v_lshrrev_b32_e32 v6, 24, v13
	v_bfrev_b32_e32 v12, 1
	s_mov_b32 s26, exec_lo
	v_cmpx_ne_u32_e32 0x80, v6
	s_cbranch_execz .LBB302_3987
; %bb.3982:                             ;   in Loop: Header=BB302_2076 Depth=1
	v_and_b32_e32 v123, 0x7f, v6
	v_mov_b32_e32 v12, 0x7c010000
	s_mov_b32 s27, exec_lo
	v_cmpx_ne_u32_e32 0x7f, v123
	s_cbranch_execz .LBB302_3986
; %bb.3983:                             ;   in Loop: Header=BB302_2076 Depth=1
	v_and_b32_e32 v12, 7, v6
	v_lshrrev_b32_e32 v13, 3, v123
	s_mov_b32 s28, exec_lo
	v_cmpx_gt_u32_e32 8, v123
; %bb.3984:                             ;   in Loop: Header=BB302_2076 Depth=1
	v_ffbh_u32_e32 v12, v12
	v_min_u32_e32 v123, 32, v12
	v_subrev_nc_u32_e32 v12, 28, v123
	v_lshlrev_b64 v[12:13], v12, v[6:7]
	v_sub_nc_u32_e32 v13, 29, v123
	v_and_b32_e32 v12, 7, v12
; %bb.3985:                             ;   in Loop: Header=BB302_2076 Depth=1
	s_or_b32 exec_lo, exec_lo, s28
	v_lshlrev_b32_e32 v6, 8, v6
	v_lshl_add_u32 v13, v13, 10, 0x2000
	v_lshlrev_b32_e32 v12, 23, v12
	v_and_or_b32 v6, 0x8000, v6, v13
	v_lshl_or_b32 v12, v6, 16, v12
.LBB302_3986:                           ;   in Loop: Header=BB302_2076 Depth=1
	s_or_b32 exec_lo, exec_lo, s27
.LBB302_3987:                           ;   in Loop: Header=BB302_2076 Depth=1
	s_or_b32 exec_lo, exec_lo, s26
.LBB302_3988:                           ;   in Loop: Header=BB302_2076 Depth=1
	s_or_b32 exec_lo, exec_lo, s25
	v_or_b32_e32 v6, v120, v121
	v_or_b32_e32 v111, v110, v111
	s_waitcnt vmcnt(0) lgkmcnt(0)
	v_fma_mixlo_f16 v110, v109, v110, 0 op_sel:[0,1,0] op_sel_hi:[0,1,0]
	v_or_b32_e32 v72, v122, v72
	v_or_b32_e32 v121, v12, v71
	v_fma_mixlo_f16 v13, v109, v120, 0 op_sel:[0,1,0] op_sel_hi:[0,1,0]
	v_fma_mixlo_f16 v120, v109, v6, 0 op_sel_hi:[0,1,0]
	v_lshlrev_b32_e32 v71, 16, v110
	v_fma_mixlo_f16 v110, v109, v111, 0 op_sel_hi:[0,1,0]
	v_fma_mixlo_f16 v111, v109, v122, 0 op_sel:[0,1,0] op_sel_hi:[0,1,0]
	v_fma_mixlo_f16 v72, v109, v72, 0 op_sel_hi:[0,1,0]
	v_fma_mixlo_f16 v12, v109, v12, 0 op_sel:[0,1,0] op_sel_hi:[0,1,0]
	v_fma_mixlo_f16 v109, v109, v121, 0 op_sel_hi:[0,1,0]
	v_lshlrev_b32_e32 v6, 16, v13
	v_and_b32_e32 v13, 0xffff, v120
	v_and_b32_e32 v123, 0xffff, v110
	v_lshlrev_b32_e32 v120, 16, v111
	v_and_b32_e32 v122, 0xffff, v72
	v_lshlrev_b32_e32 v111, 16, v12
	v_and_b32_e32 v121, 0xffff, v109
	v_or_b32_e32 v12, v6, v13
	v_or_b32_e32 v110, v71, v123
	;; [unrolled: 1-line block ×4, first 2 shown]
	s_and_saveexec_b32 s12, s7
	s_cbranch_execz .LBB302_3990
; %bb.3989:                             ;   in Loop: Header=BB302_2076 Depth=1
	v_cndmask_b32_e32 v12, 0, v123, vcc_lo
	v_cndmask_b32_e64 v71, 0, v71, s5
	v_cndmask_b32_e64 v13, 0, v13, s4
	;; [unrolled: 1-line block ×7, first 2 shown]
	v_or_b32_e32 v110, v12, v71
	v_or_b32_e32 v12, v13, v6
	;; [unrolled: 1-line block ×4, first 2 shown]
.LBB302_3990:                           ;   in Loop: Header=BB302_2076 Depth=1
	s_or_b32 exec_lo, exec_lo, s12
	;;#ASMSTART
	v_pk_mul_f16 v6, v102, v110;

	;;#ASMEND
	;;#ASMSTART
	v_pk_mul_f16 v12, v101, v12;

	;;#ASMEND
	;; [unrolled: 4-line block ×4, first 2 shown]
	;;#ASMSTART
	v_pk_add_f16 v6, v6, v12;

	;;#ASMEND
	;;#ASMSTART
	v_pk_add_f16 v6, v6, v13;

	;;#ASMEND
	;; [unrolled: 4-line block ×3, first 2 shown]
	v_and_b32_e32 v12, 0xffff, v6
	v_lshrrev_b32_e32 v6, 16, v6
	;;#ASMSTART
	v_cvt_f32_f16 v109, v12;
	;;#ASMEND
	;;#ASMSTART
	v_cvt_f32_f16 v110, v6;
	;;#ASMEND
	flat_load_dwordx2 v[12:13], v[10:11] offset:1280
	s_clause 0x1
	buffer_load_dword v71, off, s[0:3], s32 offset:192
	buffer_load_dword v72, off, s[0:3], s32 offset:196
	v_mov_b32_e32 v120, 0
	v_mov_b32_e32 v121, 0
	s_waitcnt vmcnt(2) lgkmcnt(0)
	v_cmp_ne_u16_sdwa s12, v12, v7 src0_sel:BYTE_0 src1_sel:DWORD
	s_waitcnt vmcnt(0)
	flat_load_dword v111, v[71:72]
	s_and_saveexec_b32 s25, s12
	s_cbranch_execz .LBB302_3998
; %bb.3991:                             ;   in Loop: Header=BB302_2076 Depth=1
	v_cmp_ne_u16_sdwa s12, v12, v86 src0_sel:BYTE_0 src1_sel:DWORD
	v_mov_b32_e32 v121, 0x8000
	s_and_saveexec_b32 s26, s12
	s_cbranch_execz .LBB302_3997
; %bb.3992:                             ;   in Loop: Header=BB302_2076 Depth=1
	v_and_b32_e32 v72, 0x7f, v12
	v_mov_b32_e32 v121, 0x7c01
	s_mov_b32 s27, exec_lo
	v_cmpx_ne_u32_e32 0x7f, v72
	s_cbranch_execz .LBB302_3996
; %bb.3993:                             ;   in Loop: Header=BB302_2076 Depth=1
	v_and_b32_e32 v6, 7, v12
	v_lshrrev_b32_e32 v71, 3, v72
	s_mov_b32 s28, exec_lo
	v_cmpx_gt_u32_e32 8, v72
; %bb.3994:                             ;   in Loop: Header=BB302_2076 Depth=1
	v_ffbh_u32_e32 v6, v6
	v_min_u32_e32 v6, 32, v6
	v_subrev_nc_u32_e32 v71, 28, v6
	v_lshlrev_b64 v[121:122], v71, v[12:13]
	v_sub_nc_u32_e32 v71, 29, v6
	v_and_b32_e32 v6, 7, v121
; %bb.3995:                             ;   in Loop: Header=BB302_2076 Depth=1
	s_or_b32 exec_lo, exec_lo, s28
	v_lshlrev_b32_e32 v72, 8, v12
	v_lshl_add_u32 v71, v71, 10, 0x2000
	v_lshlrev_b32_e32 v6, 7, v6
	v_and_b32_e32 v72, 0x8000, v72
	v_and_b32_e32 v71, 0xfc00, v71
	v_or3_b32 v121, v72, v71, v6
.LBB302_3996:                           ;   in Loop: Header=BB302_2076 Depth=1
	s_or_b32 exec_lo, exec_lo, s27
.LBB302_3997:                           ;   in Loop: Header=BB302_2076 Depth=1
	s_or_b32 exec_lo, exec_lo, s26
.LBB302_3998:                           ;   in Loop: Header=BB302_2076 Depth=1
	s_or_b32 exec_lo, exec_lo, s25
	v_lshrrev_b16 v6, 8, v12
	s_mov_b32 s25, exec_lo
	v_cmpx_ne_u16_e32 0, v6
	s_cbranch_execz .LBB302_4006
; %bb.3999:                             ;   in Loop: Header=BB302_2076 Depth=1
	v_bfrev_b32_e32 v120, 1
	s_mov_b32 s26, exec_lo
	v_cmpx_ne_u16_e32 0x80, v6
	s_cbranch_execz .LBB302_4005
; %bb.4000:                             ;   in Loop: Header=BB302_2076 Depth=1
	v_and_b32_sdwa v122, v6, v87 dst_sel:DWORD dst_unused:UNUSED_PAD src0_sel:WORD_0 src1_sel:DWORD
	v_mov_b32_e32 v120, 0x7c010000
	s_mov_b32 s27, exec_lo
	v_cmpx_ne_u32_e32 0x7f, v122
	s_cbranch_execz .LBB302_4004
; %bb.4001:                             ;   in Loop: Header=BB302_2076 Depth=1
	v_and_b32_sdwa v71, v6, v96 dst_sel:DWORD dst_unused:UNUSED_PAD src0_sel:WORD_0 src1_sel:DWORD
	v_lshrrev_b32_e32 v72, 3, v122
	s_mov_b32 s28, exec_lo
	v_cmpx_gt_u32_e32 8, v122
; %bb.4002:                             ;   in Loop: Header=BB302_2076 Depth=1
	v_ffbh_u32_e32 v71, v71
	v_min_u32_e32 v120, 32, v71
	v_subrev_nc_u32_e32 v71, 28, v120
	v_lshlrev_b64 v[71:72], v71, v[6:7]
	v_sub_nc_u32_e32 v72, 29, v120
	v_and_b32_e32 v71, 7, v71
; %bb.4003:                             ;   in Loop: Header=BB302_2076 Depth=1
	s_or_b32 exec_lo, exec_lo, s28
	v_lshlrev_b32_sdwa v6, v97, v6 dst_sel:DWORD dst_unused:UNUSED_PAD src0_sel:DWORD src1_sel:WORD_0
	v_lshl_add_u32 v72, v72, 10, 0x2000
	v_lshlrev_b32_e32 v71, 23, v71
	v_and_or_b32 v6, 0x8000, v6, v72
	v_lshl_or_b32 v120, v6, 16, v71
.LBB302_4004:                           ;   in Loop: Header=BB302_2076 Depth=1
	s_or_b32 exec_lo, exec_lo, s27
.LBB302_4005:                           ;   in Loop: Header=BB302_2076 Depth=1
	s_or_b32 exec_lo, exec_lo, s26
.LBB302_4006:                           ;   in Loop: Header=BB302_2076 Depth=1
	s_or_b32 exec_lo, exec_lo, s25
	v_lshrrev_b32_e32 v6, 16, v12
	v_mov_b32_e32 v122, 0
	v_mov_b32_e32 v123, 0
	v_cmp_ne_u16_sdwa s12, v6, v7 src0_sel:BYTE_0 src1_sel:DWORD
	s_and_saveexec_b32 s25, s12
	s_cbranch_execz .LBB302_4014
; %bb.4007:                             ;   in Loop: Header=BB302_2076 Depth=1
	v_cmp_ne_u16_sdwa s12, v6, v86 src0_sel:BYTE_0 src1_sel:DWORD
	v_mov_b32_e32 v123, 0x8000
	s_and_saveexec_b32 s26, s12
	s_cbranch_execz .LBB302_4013
; %bb.4008:                             ;   in Loop: Header=BB302_2076 Depth=1
	v_bfe_u32 v124, v12, 16, 7
	v_mov_b32_e32 v123, 0x7c01
	s_mov_b32 s27, exec_lo
	v_cmpx_ne_u32_e32 0x7f, v124
	s_cbranch_execz .LBB302_4012
; %bb.4009:                             ;   in Loop: Header=BB302_2076 Depth=1
	v_and_b32_e32 v71, 7, v6
	v_lshrrev_b32_e32 v72, 3, v124
	s_mov_b32 s28, exec_lo
	v_cmpx_gt_u32_e32 8, v124
; %bb.4010:                             ;   in Loop: Header=BB302_2076 Depth=1
	v_ffbh_u32_e32 v71, v71
	v_min_u32_e32 v123, 32, v71
	v_subrev_nc_u32_e32 v71, 28, v123
	v_lshlrev_b64 v[71:72], v71, v[6:7]
	v_sub_nc_u32_e32 v72, 29, v123
	v_and_b32_e32 v71, 7, v71
; %bb.4011:                             ;   in Loop: Header=BB302_2076 Depth=1
	s_or_b32 exec_lo, exec_lo, s28
	v_lshlrev_b32_e32 v6, 8, v6
	v_lshl_add_u32 v72, v72, 10, 0x2000
	v_lshlrev_b32_e32 v71, 7, v71
	v_and_b32_e32 v6, 0x8000, v6
	v_and_b32_e32 v72, 0xfc00, v72
	v_or3_b32 v123, v6, v72, v71
.LBB302_4012:                           ;   in Loop: Header=BB302_2076 Depth=1
	s_or_b32 exec_lo, exec_lo, s27
.LBB302_4013:                           ;   in Loop: Header=BB302_2076 Depth=1
	s_or_b32 exec_lo, exec_lo, s26
.LBB302_4014:                           ;   in Loop: Header=BB302_2076 Depth=1
	s_or_b32 exec_lo, exec_lo, s25
	s_mov_b32 s25, exec_lo
	v_cmpx_lt_u32_e32 0xffffff, v12
	s_cbranch_execz .LBB302_4022
; %bb.4015:                             ;   in Loop: Header=BB302_2076 Depth=1
	v_lshrrev_b32_e32 v6, 24, v12
	v_bfrev_b32_e32 v122, 1
	s_mov_b32 s26, exec_lo
	v_cmpx_ne_u32_e32 0x80, v6
	s_cbranch_execz .LBB302_4021
; %bb.4016:                             ;   in Loop: Header=BB302_2076 Depth=1
	v_and_b32_e32 v124, 0x7f, v6
	v_mov_b32_e32 v122, 0x7c010000
	s_mov_b32 s27, exec_lo
	v_cmpx_ne_u32_e32 0x7f, v124
	s_cbranch_execz .LBB302_4020
; %bb.4017:                             ;   in Loop: Header=BB302_2076 Depth=1
	v_and_b32_e32 v71, 7, v6
	v_lshrrev_b32_e32 v72, 3, v124
	s_mov_b32 s28, exec_lo
	v_cmpx_gt_u32_e32 8, v124
; %bb.4018:                             ;   in Loop: Header=BB302_2076 Depth=1
	v_ffbh_u32_e32 v71, v71
	v_min_u32_e32 v122, 32, v71
	v_subrev_nc_u32_e32 v71, 28, v122
	v_lshlrev_b64 v[71:72], v71, v[6:7]
	v_sub_nc_u32_e32 v72, 29, v122
	v_and_b32_e32 v71, 7, v71
; %bb.4019:                             ;   in Loop: Header=BB302_2076 Depth=1
	s_or_b32 exec_lo, exec_lo, s28
	v_lshlrev_b32_e32 v6, 8, v6
	v_lshl_add_u32 v72, v72, 10, 0x2000
	v_lshlrev_b32_e32 v71, 23, v71
	v_and_or_b32 v6, 0x8000, v6, v72
	v_lshl_or_b32 v122, v6, 16, v71
.LBB302_4020:                           ;   in Loop: Header=BB302_2076 Depth=1
	s_or_b32 exec_lo, exec_lo, s27
.LBB302_4021:                           ;   in Loop: Header=BB302_2076 Depth=1
	s_or_b32 exec_lo, exec_lo, s26
.LBB302_4022:                           ;   in Loop: Header=BB302_2076 Depth=1
	s_or_b32 exec_lo, exec_lo, s25
	v_mov_b32_e32 v6, v13
	v_cmp_ne_u16_sdwa s12, v13, v7 src0_sel:BYTE_0 src1_sel:DWORD
	v_mov_b32_e32 v71, 0
	v_mov_b32_e32 v72, 0
	s_and_saveexec_b32 s25, s12
	s_cbranch_execz .LBB302_4030
; %bb.4023:                             ;   in Loop: Header=BB302_2076 Depth=1
	v_cmp_ne_u16_sdwa s12, v13, v86 src0_sel:BYTE_0 src1_sel:DWORD
	v_mov_b32_e32 v72, 0x8000
	s_and_saveexec_b32 s26, s12
	s_cbranch_execz .LBB302_4029
; %bb.4024:                             ;   in Loop: Header=BB302_2076 Depth=1
	v_and_b32_e32 v125, 0x7f, v13
	v_mov_b32_e32 v72, 0x7c01
	s_mov_b32 s27, exec_lo
	v_cmpx_ne_u32_e32 0x7f, v125
	s_cbranch_execz .LBB302_4028
; %bb.4025:                             ;   in Loop: Header=BB302_2076 Depth=1
	v_and_b32_e32 v72, 7, v13
	v_lshrrev_b32_e32 v124, 3, v125
	s_mov_b32 s28, exec_lo
	v_cmpx_gt_u32_e32 8, v125
; %bb.4026:                             ;   in Loop: Header=BB302_2076 Depth=1
	v_ffbh_u32_e32 v72, v72
	v_min_u32_e32 v72, 32, v72
	v_subrev_nc_u32_e32 v124, 28, v72
	v_lshlrev_b64 v[125:126], v124, v[6:7]
	v_sub_nc_u32_e32 v124, 29, v72
	v_and_b32_e32 v72, 7, v125
; %bb.4027:                             ;   in Loop: Header=BB302_2076 Depth=1
	s_or_b32 exec_lo, exec_lo, s28
	v_lshlrev_b32_e32 v125, 8, v13
	v_lshl_add_u32 v124, v124, 10, 0x2000
	v_lshlrev_b32_e32 v72, 7, v72
	v_and_b32_e32 v125, 0x8000, v125
	v_and_b32_e32 v124, 0xfc00, v124
	v_or3_b32 v72, v125, v124, v72
.LBB302_4028:                           ;   in Loop: Header=BB302_2076 Depth=1
	s_or_b32 exec_lo, exec_lo, s27
.LBB302_4029:                           ;   in Loop: Header=BB302_2076 Depth=1
	s_or_b32 exec_lo, exec_lo, s26
.LBB302_4030:                           ;   in Loop: Header=BB302_2076 Depth=1
	s_or_b32 exec_lo, exec_lo, s25
	v_lshrrev_b16 v6, 8, v6
	v_mov_b32_e32 v124, 0
	s_mov_b32 s25, exec_lo
	v_cmpx_ne_u16_e32 0, v6
	s_cbranch_execz .LBB302_4038
; %bb.4031:                             ;   in Loop: Header=BB302_2076 Depth=1
	v_bfrev_b32_e32 v124, 1
	s_mov_b32 s26, exec_lo
	v_cmpx_ne_u16_e32 0x80, v6
	s_cbranch_execz .LBB302_4037
; %bb.4032:                             ;   in Loop: Header=BB302_2076 Depth=1
	v_and_b32_sdwa v126, v6, v87 dst_sel:DWORD dst_unused:UNUSED_PAD src0_sel:WORD_0 src1_sel:DWORD
	v_mov_b32_e32 v124, 0x7c010000
	s_mov_b32 s27, exec_lo
	v_cmpx_ne_u32_e32 0x7f, v126
	s_cbranch_execz .LBB302_4036
; %bb.4033:                             ;   in Loop: Header=BB302_2076 Depth=1
	v_and_b32_sdwa v124, v6, v96 dst_sel:DWORD dst_unused:UNUSED_PAD src0_sel:WORD_0 src1_sel:DWORD
	v_lshrrev_b32_e32 v125, 3, v126
	s_mov_b32 s28, exec_lo
	v_cmpx_gt_u32_e32 8, v126
; %bb.4034:                             ;   in Loop: Header=BB302_2076 Depth=1
	v_ffbh_u32_e32 v124, v124
	v_min_u32_e32 v126, 32, v124
	v_subrev_nc_u32_e32 v124, 28, v126
	v_lshlrev_b64 v[124:125], v124, v[6:7]
	v_sub_nc_u32_e32 v125, 29, v126
	v_and_b32_e32 v124, 7, v124
; %bb.4035:                             ;   in Loop: Header=BB302_2076 Depth=1
	s_or_b32 exec_lo, exec_lo, s28
	v_lshlrev_b32_sdwa v6, v97, v6 dst_sel:DWORD dst_unused:UNUSED_PAD src0_sel:DWORD src1_sel:WORD_0
	v_lshl_add_u32 v125, v125, 10, 0x2000
	v_lshlrev_b32_e32 v124, 23, v124
	v_and_or_b32 v6, 0x8000, v6, v125
	v_lshl_or_b32 v124, v6, 16, v124
.LBB302_4036:                           ;   in Loop: Header=BB302_2076 Depth=1
	s_or_b32 exec_lo, exec_lo, s27
.LBB302_4037:                           ;   in Loop: Header=BB302_2076 Depth=1
	s_or_b32 exec_lo, exec_lo, s26
.LBB302_4038:                           ;   in Loop: Header=BB302_2076 Depth=1
	s_or_b32 exec_lo, exec_lo, s25
	v_lshrrev_b32_e32 v6, 16, v13
	v_cmp_ne_u16_sdwa s12, v6, v7 src0_sel:BYTE_0 src1_sel:DWORD
	s_and_saveexec_b32 s25, s12
	s_cbranch_execz .LBB302_4046
; %bb.4039:                             ;   in Loop: Header=BB302_2076 Depth=1
	v_cmp_ne_u16_sdwa s12, v6, v86 src0_sel:BYTE_0 src1_sel:DWORD
	v_mov_b32_e32 v71, 0x8000
	s_and_saveexec_b32 s26, s12
	s_cbranch_execz .LBB302_4045
; %bb.4040:                             ;   in Loop: Header=BB302_2076 Depth=1
	v_bfe_u32 v126, v13, 16, 7
	v_mov_b32_e32 v71, 0x7c01
	s_mov_b32 s27, exec_lo
	v_cmpx_ne_u32_e32 0x7f, v126
	s_cbranch_execz .LBB302_4044
; %bb.4041:                             ;   in Loop: Header=BB302_2076 Depth=1
	v_and_b32_e32 v71, 7, v6
	v_lshrrev_b32_e32 v125, 3, v126
	s_mov_b32 s28, exec_lo
	v_cmpx_gt_u32_e32 8, v126
; %bb.4042:                             ;   in Loop: Header=BB302_2076 Depth=1
	v_ffbh_u32_e32 v71, v71
	v_min_u32_e32 v71, 32, v71
	v_subrev_nc_u32_e32 v125, 28, v71
	v_lshlrev_b64 v[126:127], v125, v[6:7]
	v_sub_nc_u32_e32 v125, 29, v71
	v_and_b32_e32 v71, 7, v126
; %bb.4043:                             ;   in Loop: Header=BB302_2076 Depth=1
	s_or_b32 exec_lo, exec_lo, s28
	v_lshlrev_b32_e32 v6, 8, v6
	v_lshl_add_u32 v125, v125, 10, 0x2000
	v_lshlrev_b32_e32 v71, 7, v71
	v_and_b32_e32 v6, 0x8000, v6
	v_and_b32_e32 v125, 0xfc00, v125
	v_or3_b32 v71, v6, v125, v71
.LBB302_4044:                           ;   in Loop: Header=BB302_2076 Depth=1
	s_or_b32 exec_lo, exec_lo, s27
.LBB302_4045:                           ;   in Loop: Header=BB302_2076 Depth=1
	s_or_b32 exec_lo, exec_lo, s26
.LBB302_4046:                           ;   in Loop: Header=BB302_2076 Depth=1
	s_or_b32 exec_lo, exec_lo, s25
	v_cmp_lt_u64_e64 s12, s[22:23], v[12:13]
	v_mov_b32_e32 v12, 0
	s_and_saveexec_b32 s25, s12
	s_cbranch_execz .LBB302_4054
; %bb.4047:                             ;   in Loop: Header=BB302_2076 Depth=1
	v_lshrrev_b32_e32 v6, 24, v13
	v_bfrev_b32_e32 v12, 1
	s_mov_b32 s26, exec_lo
	v_cmpx_ne_u32_e32 0x80, v6
	s_cbranch_execz .LBB302_4053
; %bb.4048:                             ;   in Loop: Header=BB302_2076 Depth=1
	v_and_b32_e32 v125, 0x7f, v6
	v_mov_b32_e32 v12, 0x7c010000
	s_mov_b32 s27, exec_lo
	v_cmpx_ne_u32_e32 0x7f, v125
	s_cbranch_execz .LBB302_4052
; %bb.4049:                             ;   in Loop: Header=BB302_2076 Depth=1
	v_and_b32_e32 v12, 7, v6
	v_lshrrev_b32_e32 v13, 3, v125
	s_mov_b32 s28, exec_lo
	v_cmpx_gt_u32_e32 8, v125
; %bb.4050:                             ;   in Loop: Header=BB302_2076 Depth=1
	v_ffbh_u32_e32 v12, v12
	v_min_u32_e32 v125, 32, v12
	v_subrev_nc_u32_e32 v12, 28, v125
	v_lshlrev_b64 v[12:13], v12, v[6:7]
	v_sub_nc_u32_e32 v13, 29, v125
	v_and_b32_e32 v12, 7, v12
; %bb.4051:                             ;   in Loop: Header=BB302_2076 Depth=1
	s_or_b32 exec_lo, exec_lo, s28
	v_lshlrev_b32_e32 v6, 8, v6
	v_lshl_add_u32 v13, v13, 10, 0x2000
	v_lshlrev_b32_e32 v12, 23, v12
	v_and_or_b32 v6, 0x8000, v6, v13
	v_lshl_or_b32 v12, v6, 16, v12
.LBB302_4052:                           ;   in Loop: Header=BB302_2076 Depth=1
	s_or_b32 exec_lo, exec_lo, s27
.LBB302_4053:                           ;   in Loop: Header=BB302_2076 Depth=1
	s_or_b32 exec_lo, exec_lo, s26
.LBB302_4054:                           ;   in Loop: Header=BB302_2076 Depth=1
	s_or_b32 exec_lo, exec_lo, s25
	v_or_b32_e32 v6, v122, v123
	v_or_b32_e32 v121, v120, v121
	s_waitcnt vmcnt(0) lgkmcnt(0)
	v_fma_mixlo_f16 v120, v111, v120, 0 op_sel:[0,1,0] op_sel_hi:[0,1,0]
	v_or_b32_e32 v72, v124, v72
	v_or_b32_e32 v123, v12, v71
	v_fma_mixlo_f16 v13, v111, v122, 0 op_sel:[0,1,0] op_sel_hi:[0,1,0]
	v_fma_mixlo_f16 v122, v111, v6, 0 op_sel_hi:[0,1,0]
	v_lshlrev_b32_e32 v71, 16, v120
	v_fma_mixlo_f16 v120, v111, v121, 0 op_sel_hi:[0,1,0]
	v_fma_mixlo_f16 v121, v111, v124, 0 op_sel:[0,1,0] op_sel_hi:[0,1,0]
	v_fma_mixlo_f16 v72, v111, v72, 0 op_sel_hi:[0,1,0]
	v_fma_mixlo_f16 v12, v111, v12, 0 op_sel:[0,1,0] op_sel_hi:[0,1,0]
	v_fma_mixlo_f16 v111, v111, v123, 0 op_sel_hi:[0,1,0]
	v_lshlrev_b32_e32 v6, 16, v13
	v_and_b32_e32 v13, 0xffff, v122
	v_and_b32_e32 v125, 0xffff, v120
	v_lshlrev_b32_e32 v122, 16, v121
	v_and_b32_e32 v124, 0xffff, v72
	v_lshlrev_b32_e32 v121, 16, v12
	v_and_b32_e32 v123, 0xffff, v111
	v_or_b32_e32 v12, v6, v13
	v_or_b32_e32 v120, v71, v125
	;; [unrolled: 1-line block ×4, first 2 shown]
	s_and_saveexec_b32 s12, s7
	s_cbranch_execz .LBB302_4056
; %bb.4055:                             ;   in Loop: Header=BB302_2076 Depth=1
	v_cndmask_b32_e32 v12, 0, v125, vcc_lo
	v_cndmask_b32_e64 v71, 0, v71, s5
	v_cndmask_b32_e64 v13, 0, v13, s4
	;; [unrolled: 1-line block ×7, first 2 shown]
	v_or_b32_e32 v120, v12, v71
	v_or_b32_e32 v12, v13, v6
	;; [unrolled: 1-line block ×4, first 2 shown]
.LBB302_4056:                           ;   in Loop: Header=BB302_2076 Depth=1
	s_or_b32 exec_lo, exec_lo, s12
	;;#ASMSTART
	v_pk_mul_f16 v6, v102, v120;

	;;#ASMEND
	;;#ASMSTART
	v_pk_mul_f16 v12, v101, v12;

	;;#ASMEND
	;; [unrolled: 4-line block ×4, first 2 shown]
	;;#ASMSTART
	v_pk_add_f16 v6, v6, v12;

	;;#ASMEND
	;;#ASMSTART
	v_pk_add_f16 v6, v6, v13;

	;;#ASMEND
	;; [unrolled: 4-line block ×3, first 2 shown]
	v_and_b32_e32 v12, 0xffff, v6
	v_lshrrev_b32_e32 v6, 16, v6
	;;#ASMSTART
	v_cvt_f32_f16 v12, v12;
	;;#ASMEND
	;;#ASMSTART
	v_cvt_f32_f16 v13, v6;
	;;#ASMEND
	flat_load_dwordx2 v[10:11], v[10:11] offset:1536
	s_clause 0x1
	buffer_load_dword v71, off, s[0:3], s32 offset:192
	buffer_load_dword v72, off, s[0:3], s32 offset:196
	v_mov_b32_e32 v120, 0
	v_mov_b32_e32 v121, 0
	s_waitcnt vmcnt(2) lgkmcnt(0)
	v_cmp_ne_u16_sdwa s12, v10, v7 src0_sel:BYTE_0 src1_sel:DWORD
	s_waitcnt vmcnt(0)
	flat_load_dword v111, v[71:72]
	s_and_saveexec_b32 s25, s12
	s_cbranch_execz .LBB302_4064
; %bb.4057:                             ;   in Loop: Header=BB302_2076 Depth=1
	v_cmp_ne_u16_sdwa s12, v10, v86 src0_sel:BYTE_0 src1_sel:DWORD
	v_mov_b32_e32 v121, 0x8000
	s_and_saveexec_b32 s26, s12
	s_cbranch_execz .LBB302_4063
; %bb.4058:                             ;   in Loop: Header=BB302_2076 Depth=1
	v_and_b32_e32 v72, 0x7f, v10
	v_mov_b32_e32 v121, 0x7c01
	s_mov_b32 s27, exec_lo
	v_cmpx_ne_u32_e32 0x7f, v72
	s_cbranch_execz .LBB302_4062
; %bb.4059:                             ;   in Loop: Header=BB302_2076 Depth=1
	v_and_b32_e32 v6, 7, v10
	v_lshrrev_b32_e32 v71, 3, v72
	s_mov_b32 s28, exec_lo
	v_cmpx_gt_u32_e32 8, v72
; %bb.4060:                             ;   in Loop: Header=BB302_2076 Depth=1
	v_ffbh_u32_e32 v6, v6
	v_min_u32_e32 v6, 32, v6
	v_subrev_nc_u32_e32 v71, 28, v6
	v_lshlrev_b64 v[121:122], v71, v[10:11]
	v_sub_nc_u32_e32 v71, 29, v6
	v_and_b32_e32 v6, 7, v121
; %bb.4061:                             ;   in Loop: Header=BB302_2076 Depth=1
	s_or_b32 exec_lo, exec_lo, s28
	v_lshlrev_b32_e32 v72, 8, v10
	v_lshl_add_u32 v71, v71, 10, 0x2000
	v_lshlrev_b32_e32 v6, 7, v6
	v_and_b32_e32 v72, 0x8000, v72
	v_and_b32_e32 v71, 0xfc00, v71
	v_or3_b32 v121, v72, v71, v6
.LBB302_4062:                           ;   in Loop: Header=BB302_2076 Depth=1
	s_or_b32 exec_lo, exec_lo, s27
.LBB302_4063:                           ;   in Loop: Header=BB302_2076 Depth=1
	s_or_b32 exec_lo, exec_lo, s26
.LBB302_4064:                           ;   in Loop: Header=BB302_2076 Depth=1
	s_or_b32 exec_lo, exec_lo, s25
	v_lshrrev_b16 v6, 8, v10
	s_mov_b32 s25, exec_lo
	v_cmpx_ne_u16_e32 0, v6
	s_cbranch_execz .LBB302_4072
; %bb.4065:                             ;   in Loop: Header=BB302_2076 Depth=1
	v_bfrev_b32_e32 v120, 1
	s_mov_b32 s26, exec_lo
	v_cmpx_ne_u16_e32 0x80, v6
	s_cbranch_execz .LBB302_4071
; %bb.4066:                             ;   in Loop: Header=BB302_2076 Depth=1
	v_and_b32_sdwa v122, v6, v87 dst_sel:DWORD dst_unused:UNUSED_PAD src0_sel:WORD_0 src1_sel:DWORD
	v_mov_b32_e32 v120, 0x7c010000
	s_mov_b32 s27, exec_lo
	v_cmpx_ne_u32_e32 0x7f, v122
	s_cbranch_execz .LBB302_4070
; %bb.4067:                             ;   in Loop: Header=BB302_2076 Depth=1
	v_and_b32_sdwa v71, v6, v96 dst_sel:DWORD dst_unused:UNUSED_PAD src0_sel:WORD_0 src1_sel:DWORD
	v_lshrrev_b32_e32 v72, 3, v122
	s_mov_b32 s28, exec_lo
	v_cmpx_gt_u32_e32 8, v122
; %bb.4068:                             ;   in Loop: Header=BB302_2076 Depth=1
	v_ffbh_u32_e32 v71, v71
	v_min_u32_e32 v120, 32, v71
	v_subrev_nc_u32_e32 v71, 28, v120
	v_lshlrev_b64 v[71:72], v71, v[6:7]
	v_sub_nc_u32_e32 v72, 29, v120
	v_and_b32_e32 v71, 7, v71
; %bb.4069:                             ;   in Loop: Header=BB302_2076 Depth=1
	s_or_b32 exec_lo, exec_lo, s28
	v_lshlrev_b32_sdwa v6, v97, v6 dst_sel:DWORD dst_unused:UNUSED_PAD src0_sel:DWORD src1_sel:WORD_0
	v_lshl_add_u32 v72, v72, 10, 0x2000
	v_lshlrev_b32_e32 v71, 23, v71
	v_and_or_b32 v6, 0x8000, v6, v72
	v_lshl_or_b32 v120, v6, 16, v71
.LBB302_4070:                           ;   in Loop: Header=BB302_2076 Depth=1
	s_or_b32 exec_lo, exec_lo, s27
.LBB302_4071:                           ;   in Loop: Header=BB302_2076 Depth=1
	s_or_b32 exec_lo, exec_lo, s26
.LBB302_4072:                           ;   in Loop: Header=BB302_2076 Depth=1
	s_or_b32 exec_lo, exec_lo, s25
	v_lshrrev_b32_e32 v6, 16, v10
	v_mov_b32_e32 v122, 0
	v_mov_b32_e32 v123, 0
	v_cmp_ne_u16_sdwa s12, v6, v7 src0_sel:BYTE_0 src1_sel:DWORD
	s_and_saveexec_b32 s25, s12
	s_cbranch_execz .LBB302_4080
; %bb.4073:                             ;   in Loop: Header=BB302_2076 Depth=1
	v_cmp_ne_u16_sdwa s12, v6, v86 src0_sel:BYTE_0 src1_sel:DWORD
	v_mov_b32_e32 v123, 0x8000
	s_and_saveexec_b32 s26, s12
	s_cbranch_execz .LBB302_4079
; %bb.4074:                             ;   in Loop: Header=BB302_2076 Depth=1
	v_bfe_u32 v124, v10, 16, 7
	v_mov_b32_e32 v123, 0x7c01
	s_mov_b32 s27, exec_lo
	v_cmpx_ne_u32_e32 0x7f, v124
	s_cbranch_execz .LBB302_4078
; %bb.4075:                             ;   in Loop: Header=BB302_2076 Depth=1
	v_and_b32_e32 v71, 7, v6
	v_lshrrev_b32_e32 v72, 3, v124
	s_mov_b32 s28, exec_lo
	v_cmpx_gt_u32_e32 8, v124
; %bb.4076:                             ;   in Loop: Header=BB302_2076 Depth=1
	v_ffbh_u32_e32 v71, v71
	v_min_u32_e32 v123, 32, v71
	v_subrev_nc_u32_e32 v71, 28, v123
	v_lshlrev_b64 v[71:72], v71, v[6:7]
	v_sub_nc_u32_e32 v72, 29, v123
	v_and_b32_e32 v71, 7, v71
; %bb.4077:                             ;   in Loop: Header=BB302_2076 Depth=1
	s_or_b32 exec_lo, exec_lo, s28
	v_lshlrev_b32_e32 v6, 8, v6
	v_lshl_add_u32 v72, v72, 10, 0x2000
	v_lshlrev_b32_e32 v71, 7, v71
	v_and_b32_e32 v6, 0x8000, v6
	v_and_b32_e32 v72, 0xfc00, v72
	v_or3_b32 v123, v6, v72, v71
.LBB302_4078:                           ;   in Loop: Header=BB302_2076 Depth=1
	s_or_b32 exec_lo, exec_lo, s27
.LBB302_4079:                           ;   in Loop: Header=BB302_2076 Depth=1
	s_or_b32 exec_lo, exec_lo, s26
.LBB302_4080:                           ;   in Loop: Header=BB302_2076 Depth=1
	s_or_b32 exec_lo, exec_lo, s25
	s_mov_b32 s25, exec_lo
	v_cmpx_lt_u32_e32 0xffffff, v10
	s_cbranch_execz .LBB302_4088
; %bb.4081:                             ;   in Loop: Header=BB302_2076 Depth=1
	v_lshrrev_b32_e32 v6, 24, v10
	v_bfrev_b32_e32 v122, 1
	s_mov_b32 s26, exec_lo
	v_cmpx_ne_u32_e32 0x80, v6
	s_cbranch_execz .LBB302_4087
; %bb.4082:                             ;   in Loop: Header=BB302_2076 Depth=1
	v_and_b32_e32 v124, 0x7f, v6
	v_mov_b32_e32 v122, 0x7c010000
	s_mov_b32 s27, exec_lo
	v_cmpx_ne_u32_e32 0x7f, v124
	s_cbranch_execz .LBB302_4086
; %bb.4083:                             ;   in Loop: Header=BB302_2076 Depth=1
	v_and_b32_e32 v71, 7, v6
	v_lshrrev_b32_e32 v72, 3, v124
	s_mov_b32 s28, exec_lo
	v_cmpx_gt_u32_e32 8, v124
; %bb.4084:                             ;   in Loop: Header=BB302_2076 Depth=1
	v_ffbh_u32_e32 v71, v71
	v_min_u32_e32 v122, 32, v71
	v_subrev_nc_u32_e32 v71, 28, v122
	v_lshlrev_b64 v[71:72], v71, v[6:7]
	v_sub_nc_u32_e32 v72, 29, v122
	v_and_b32_e32 v71, 7, v71
; %bb.4085:                             ;   in Loop: Header=BB302_2076 Depth=1
	s_or_b32 exec_lo, exec_lo, s28
	v_lshlrev_b32_e32 v6, 8, v6
	v_lshl_add_u32 v72, v72, 10, 0x2000
	v_lshlrev_b32_e32 v71, 23, v71
	v_and_or_b32 v6, 0x8000, v6, v72
	v_lshl_or_b32 v122, v6, 16, v71
.LBB302_4086:                           ;   in Loop: Header=BB302_2076 Depth=1
	s_or_b32 exec_lo, exec_lo, s27
.LBB302_4087:                           ;   in Loop: Header=BB302_2076 Depth=1
	s_or_b32 exec_lo, exec_lo, s26
.LBB302_4088:                           ;   in Loop: Header=BB302_2076 Depth=1
	s_or_b32 exec_lo, exec_lo, s25
	v_mov_b32_e32 v6, v11
	v_cmp_ne_u16_sdwa s12, v11, v7 src0_sel:BYTE_0 src1_sel:DWORD
	v_mov_b32_e32 v71, 0
	v_mov_b32_e32 v72, 0
	s_and_saveexec_b32 s25, s12
	s_cbranch_execz .LBB302_4096
; %bb.4089:                             ;   in Loop: Header=BB302_2076 Depth=1
	v_cmp_ne_u16_sdwa s12, v11, v86 src0_sel:BYTE_0 src1_sel:DWORD
	v_mov_b32_e32 v72, 0x8000
	s_and_saveexec_b32 s26, s12
	s_cbranch_execz .LBB302_4095
; %bb.4090:                             ;   in Loop: Header=BB302_2076 Depth=1
	v_and_b32_e32 v125, 0x7f, v11
	v_mov_b32_e32 v72, 0x7c01
	s_mov_b32 s27, exec_lo
	v_cmpx_ne_u32_e32 0x7f, v125
	s_cbranch_execz .LBB302_4094
; %bb.4091:                             ;   in Loop: Header=BB302_2076 Depth=1
	v_and_b32_e32 v72, 7, v11
	v_lshrrev_b32_e32 v124, 3, v125
	s_mov_b32 s28, exec_lo
	v_cmpx_gt_u32_e32 8, v125
; %bb.4092:                             ;   in Loop: Header=BB302_2076 Depth=1
	v_ffbh_u32_e32 v72, v72
	v_min_u32_e32 v72, 32, v72
	v_subrev_nc_u32_e32 v124, 28, v72
	v_lshlrev_b64 v[125:126], v124, v[6:7]
	v_sub_nc_u32_e32 v124, 29, v72
	v_and_b32_e32 v72, 7, v125
; %bb.4093:                             ;   in Loop: Header=BB302_2076 Depth=1
	s_or_b32 exec_lo, exec_lo, s28
	v_lshlrev_b32_e32 v125, 8, v11
	v_lshl_add_u32 v124, v124, 10, 0x2000
	v_lshlrev_b32_e32 v72, 7, v72
	v_and_b32_e32 v125, 0x8000, v125
	v_and_b32_e32 v124, 0xfc00, v124
	v_or3_b32 v72, v125, v124, v72
.LBB302_4094:                           ;   in Loop: Header=BB302_2076 Depth=1
	s_or_b32 exec_lo, exec_lo, s27
.LBB302_4095:                           ;   in Loop: Header=BB302_2076 Depth=1
	s_or_b32 exec_lo, exec_lo, s26
.LBB302_4096:                           ;   in Loop: Header=BB302_2076 Depth=1
	s_or_b32 exec_lo, exec_lo, s25
	v_lshrrev_b16 v6, 8, v6
	v_mov_b32_e32 v124, 0
	s_mov_b32 s25, exec_lo
	v_cmpx_ne_u16_e32 0, v6
	s_cbranch_execz .LBB302_4104
; %bb.4097:                             ;   in Loop: Header=BB302_2076 Depth=1
	v_bfrev_b32_e32 v124, 1
	s_mov_b32 s26, exec_lo
	v_cmpx_ne_u16_e32 0x80, v6
	s_cbranch_execz .LBB302_4103
; %bb.4098:                             ;   in Loop: Header=BB302_2076 Depth=1
	v_and_b32_sdwa v126, v6, v87 dst_sel:DWORD dst_unused:UNUSED_PAD src0_sel:WORD_0 src1_sel:DWORD
	v_mov_b32_e32 v124, 0x7c010000
	s_mov_b32 s27, exec_lo
	v_cmpx_ne_u32_e32 0x7f, v126
	s_cbranch_execz .LBB302_4102
; %bb.4099:                             ;   in Loop: Header=BB302_2076 Depth=1
	v_and_b32_sdwa v124, v6, v96 dst_sel:DWORD dst_unused:UNUSED_PAD src0_sel:WORD_0 src1_sel:DWORD
	v_lshrrev_b32_e32 v125, 3, v126
	s_mov_b32 s28, exec_lo
	v_cmpx_gt_u32_e32 8, v126
; %bb.4100:                             ;   in Loop: Header=BB302_2076 Depth=1
	v_ffbh_u32_e32 v124, v124
	v_min_u32_e32 v126, 32, v124
	v_subrev_nc_u32_e32 v124, 28, v126
	v_lshlrev_b64 v[124:125], v124, v[6:7]
	v_sub_nc_u32_e32 v125, 29, v126
	v_and_b32_e32 v124, 7, v124
; %bb.4101:                             ;   in Loop: Header=BB302_2076 Depth=1
	s_or_b32 exec_lo, exec_lo, s28
	v_lshlrev_b32_sdwa v6, v97, v6 dst_sel:DWORD dst_unused:UNUSED_PAD src0_sel:DWORD src1_sel:WORD_0
	v_lshl_add_u32 v125, v125, 10, 0x2000
	v_lshlrev_b32_e32 v124, 23, v124
	v_and_or_b32 v6, 0x8000, v6, v125
	v_lshl_or_b32 v124, v6, 16, v124
.LBB302_4102:                           ;   in Loop: Header=BB302_2076 Depth=1
	s_or_b32 exec_lo, exec_lo, s27
.LBB302_4103:                           ;   in Loop: Header=BB302_2076 Depth=1
	s_or_b32 exec_lo, exec_lo, s26
.LBB302_4104:                           ;   in Loop: Header=BB302_2076 Depth=1
	s_or_b32 exec_lo, exec_lo, s25
	v_lshrrev_b32_e32 v6, 16, v11
	v_cmp_ne_u16_sdwa s12, v6, v7 src0_sel:BYTE_0 src1_sel:DWORD
	s_and_saveexec_b32 s25, s12
	s_cbranch_execz .LBB302_4112
; %bb.4105:                             ;   in Loop: Header=BB302_2076 Depth=1
	v_cmp_ne_u16_sdwa s12, v6, v86 src0_sel:BYTE_0 src1_sel:DWORD
	v_mov_b32_e32 v71, 0x8000
	s_and_saveexec_b32 s26, s12
	s_cbranch_execz .LBB302_4111
; %bb.4106:                             ;   in Loop: Header=BB302_2076 Depth=1
	v_bfe_u32 v126, v11, 16, 7
	v_mov_b32_e32 v71, 0x7c01
	s_mov_b32 s27, exec_lo
	v_cmpx_ne_u32_e32 0x7f, v126
	s_cbranch_execz .LBB302_4110
; %bb.4107:                             ;   in Loop: Header=BB302_2076 Depth=1
	v_and_b32_e32 v71, 7, v6
	v_lshrrev_b32_e32 v125, 3, v126
	s_mov_b32 s28, exec_lo
	v_cmpx_gt_u32_e32 8, v126
; %bb.4108:                             ;   in Loop: Header=BB302_2076 Depth=1
	v_ffbh_u32_e32 v71, v71
	v_min_u32_e32 v71, 32, v71
	v_subrev_nc_u32_e32 v125, 28, v71
	v_lshlrev_b64 v[126:127], v125, v[6:7]
	v_sub_nc_u32_e32 v125, 29, v71
	v_and_b32_e32 v71, 7, v126
; %bb.4109:                             ;   in Loop: Header=BB302_2076 Depth=1
	s_or_b32 exec_lo, exec_lo, s28
	v_lshlrev_b32_e32 v6, 8, v6
	v_lshl_add_u32 v125, v125, 10, 0x2000
	v_lshlrev_b32_e32 v71, 7, v71
	v_and_b32_e32 v6, 0x8000, v6
	v_and_b32_e32 v125, 0xfc00, v125
	v_or3_b32 v71, v6, v125, v71
.LBB302_4110:                           ;   in Loop: Header=BB302_2076 Depth=1
	s_or_b32 exec_lo, exec_lo, s27
.LBB302_4111:                           ;   in Loop: Header=BB302_2076 Depth=1
	s_or_b32 exec_lo, exec_lo, s26
.LBB302_4112:                           ;   in Loop: Header=BB302_2076 Depth=1
	s_or_b32 exec_lo, exec_lo, s25
	v_cmp_lt_u64_e64 s12, s[22:23], v[10:11]
	v_mov_b32_e32 v10, 0
	s_and_saveexec_b32 s25, s12
	s_cbranch_execz .LBB302_4120
; %bb.4113:                             ;   in Loop: Header=BB302_2076 Depth=1
	v_lshrrev_b32_e32 v6, 24, v11
	v_bfrev_b32_e32 v10, 1
	s_mov_b32 s26, exec_lo
	v_cmpx_ne_u32_e32 0x80, v6
	s_cbranch_execz .LBB302_4119
; %bb.4114:                             ;   in Loop: Header=BB302_2076 Depth=1
	v_and_b32_e32 v125, 0x7f, v6
	v_mov_b32_e32 v10, 0x7c010000
	s_mov_b32 s27, exec_lo
	v_cmpx_ne_u32_e32 0x7f, v125
	s_cbranch_execz .LBB302_4118
; %bb.4115:                             ;   in Loop: Header=BB302_2076 Depth=1
	v_and_b32_e32 v10, 7, v6
	v_lshrrev_b32_e32 v11, 3, v125
	s_mov_b32 s28, exec_lo
	v_cmpx_gt_u32_e32 8, v125
; %bb.4116:                             ;   in Loop: Header=BB302_2076 Depth=1
	v_ffbh_u32_e32 v10, v10
	v_min_u32_e32 v125, 32, v10
	v_subrev_nc_u32_e32 v10, 28, v125
	v_lshlrev_b64 v[10:11], v10, v[6:7]
	v_sub_nc_u32_e32 v11, 29, v125
	v_and_b32_e32 v10, 7, v10
; %bb.4117:                             ;   in Loop: Header=BB302_2076 Depth=1
	s_or_b32 exec_lo, exec_lo, s28
	v_lshlrev_b32_e32 v6, 8, v6
	v_lshl_add_u32 v11, v11, 10, 0x2000
	v_lshlrev_b32_e32 v10, 23, v10
	v_and_or_b32 v6, 0x8000, v6, v11
	v_lshl_or_b32 v10, v6, 16, v10
.LBB302_4118:                           ;   in Loop: Header=BB302_2076 Depth=1
	s_or_b32 exec_lo, exec_lo, s27
.LBB302_4119:                           ;   in Loop: Header=BB302_2076 Depth=1
	s_or_b32 exec_lo, exec_lo, s26
.LBB302_4120:                           ;   in Loop: Header=BB302_2076 Depth=1
	s_or_b32 exec_lo, exec_lo, s25
	v_or_b32_e32 v6, v122, v123
	v_or_b32_e32 v121, v120, v121
	s_waitcnt vmcnt(0) lgkmcnt(0)
	v_fma_mixlo_f16 v120, v111, v120, 0 op_sel:[0,1,0] op_sel_hi:[0,1,0]
	v_or_b32_e32 v72, v124, v72
	v_or_b32_e32 v123, v10, v71
	v_fma_mixlo_f16 v11, v111, v122, 0 op_sel:[0,1,0] op_sel_hi:[0,1,0]
	v_fma_mixlo_f16 v122, v111, v6, 0 op_sel_hi:[0,1,0]
	v_lshlrev_b32_e32 v71, 16, v120
	v_fma_mixlo_f16 v120, v111, v121, 0 op_sel_hi:[0,1,0]
	v_fma_mixlo_f16 v121, v111, v124, 0 op_sel:[0,1,0] op_sel_hi:[0,1,0]
	v_fma_mixlo_f16 v72, v111, v72, 0 op_sel_hi:[0,1,0]
	v_fma_mixlo_f16 v10, v111, v10, 0 op_sel:[0,1,0] op_sel_hi:[0,1,0]
	v_fma_mixlo_f16 v111, v111, v123, 0 op_sel_hi:[0,1,0]
	v_lshlrev_b32_e32 v6, 16, v11
	v_and_b32_e32 v11, 0xffff, v122
	v_and_b32_e32 v125, 0xffff, v120
	v_lshlrev_b32_e32 v122, 16, v121
	v_and_b32_e32 v124, 0xffff, v72
	v_lshlrev_b32_e32 v121, 16, v10
	v_and_b32_e32 v123, 0xffff, v111
	v_or_b32_e32 v10, v6, v11
	v_or_b32_e32 v120, v71, v125
	;; [unrolled: 1-line block ×4, first 2 shown]
	s_and_saveexec_b32 s12, s7
	s_cbranch_execz .LBB302_4122
; %bb.4121:                             ;   in Loop: Header=BB302_2076 Depth=1
	v_cndmask_b32_e32 v10, 0, v125, vcc_lo
	v_cndmask_b32_e64 v71, 0, v71, s5
	v_cndmask_b32_e64 v11, 0, v11, s4
	;; [unrolled: 1-line block ×7, first 2 shown]
	v_or_b32_e32 v120, v10, v71
	v_or_b32_e32 v10, v11, v6
	;; [unrolled: 1-line block ×4, first 2 shown]
.LBB302_4122:                           ;   in Loop: Header=BB302_2076 Depth=1
	s_or_b32 exec_lo, exec_lo, s12
	v_add_co_u32 v8, s12, v8, v33
	v_add_co_ci_u32_e64 v9, null, 0, v9, s12
	;;#ASMSTART
	v_pk_mul_f16 v6, v102, v120;

	;;#ASMEND
	;;#ASMSTART
	v_pk_mul_f16 v10, v101, v10;

	;;#ASMEND
	;; [unrolled: 4-line block ×4, first 2 shown]
	;;#ASMSTART
	v_pk_add_f16 v6, v6, v10;

	;;#ASMEND
	;;#ASMSTART
	v_pk_add_f16 v6, v6, v11;

	;;#ASMEND
	;;#ASMSTART
	v_pk_add_f16 v6, v6, v71;

	;;#ASMEND
	v_lshrrev_b32_e32 v11, 16, v6
	v_and_b32_e32 v6, 0xffff, v6
	;;#ASMSTART
	v_cvt_f32_f16 v10, v6;
	;;#ASMEND
	;;#ASMSTART
	v_cvt_f32_f16 v11, v11;
	;;#ASMEND
	flat_load_dwordx2 v[8:9], v[8:9]
	s_clause 0x1
	buffer_load_dword v71, off, s[0:3], s32 offset:192
	buffer_load_dword v72, off, s[0:3], s32 offset:196
	v_mov_b32_e32 v120, 0
	v_mov_b32_e32 v121, 0
	s_waitcnt vmcnt(2) lgkmcnt(0)
	v_cmp_ne_u16_sdwa s12, v8, v7 src0_sel:BYTE_0 src1_sel:DWORD
	s_waitcnt vmcnt(0)
	flat_load_dword v111, v[71:72]
	s_and_saveexec_b32 s25, s12
	s_cbranch_execz .LBB302_4130
; %bb.4123:                             ;   in Loop: Header=BB302_2076 Depth=1
	v_cmp_ne_u16_sdwa s12, v8, v86 src0_sel:BYTE_0 src1_sel:DWORD
	v_mov_b32_e32 v121, 0x8000
	s_and_saveexec_b32 s26, s12
	s_cbranch_execz .LBB302_4129
; %bb.4124:                             ;   in Loop: Header=BB302_2076 Depth=1
	v_and_b32_e32 v72, 0x7f, v8
	v_mov_b32_e32 v121, 0x7c01
	s_mov_b32 s27, exec_lo
	v_cmpx_ne_u32_e32 0x7f, v72
	s_cbranch_execz .LBB302_4128
; %bb.4125:                             ;   in Loop: Header=BB302_2076 Depth=1
	v_and_b32_e32 v6, 7, v8
	v_lshrrev_b32_e32 v71, 3, v72
	s_mov_b32 s28, exec_lo
	v_cmpx_gt_u32_e32 8, v72
; %bb.4126:                             ;   in Loop: Header=BB302_2076 Depth=1
	v_ffbh_u32_e32 v6, v6
	v_min_u32_e32 v6, 32, v6
	v_subrev_nc_u32_e32 v71, 28, v6
	v_lshlrev_b64 v[121:122], v71, v[8:9]
	v_sub_nc_u32_e32 v71, 29, v6
	v_and_b32_e32 v6, 7, v121
; %bb.4127:                             ;   in Loop: Header=BB302_2076 Depth=1
	s_or_b32 exec_lo, exec_lo, s28
	v_lshlrev_b32_e32 v72, 8, v8
	v_lshl_add_u32 v71, v71, 10, 0x2000
	v_lshlrev_b32_e32 v6, 7, v6
	v_and_b32_e32 v72, 0x8000, v72
	v_and_b32_e32 v71, 0xfc00, v71
	v_or3_b32 v121, v72, v71, v6
.LBB302_4128:                           ;   in Loop: Header=BB302_2076 Depth=1
	s_or_b32 exec_lo, exec_lo, s27
.LBB302_4129:                           ;   in Loop: Header=BB302_2076 Depth=1
	s_or_b32 exec_lo, exec_lo, s26
.LBB302_4130:                           ;   in Loop: Header=BB302_2076 Depth=1
	s_or_b32 exec_lo, exec_lo, s25
	v_lshrrev_b16 v6, 8, v8
	s_mov_b32 s25, exec_lo
	v_cmpx_ne_u16_e32 0, v6
	s_cbranch_execz .LBB302_4138
; %bb.4131:                             ;   in Loop: Header=BB302_2076 Depth=1
	v_bfrev_b32_e32 v120, 1
	s_mov_b32 s26, exec_lo
	v_cmpx_ne_u16_e32 0x80, v6
	s_cbranch_execz .LBB302_4137
; %bb.4132:                             ;   in Loop: Header=BB302_2076 Depth=1
	v_and_b32_sdwa v122, v6, v87 dst_sel:DWORD dst_unused:UNUSED_PAD src0_sel:WORD_0 src1_sel:DWORD
	v_mov_b32_e32 v120, 0x7c010000
	s_mov_b32 s27, exec_lo
	v_cmpx_ne_u32_e32 0x7f, v122
	s_cbranch_execz .LBB302_4136
; %bb.4133:                             ;   in Loop: Header=BB302_2076 Depth=1
	v_and_b32_sdwa v71, v6, v96 dst_sel:DWORD dst_unused:UNUSED_PAD src0_sel:WORD_0 src1_sel:DWORD
	v_lshrrev_b32_e32 v72, 3, v122
	s_mov_b32 s28, exec_lo
	v_cmpx_gt_u32_e32 8, v122
; %bb.4134:                             ;   in Loop: Header=BB302_2076 Depth=1
	v_ffbh_u32_e32 v71, v71
	v_min_u32_e32 v120, 32, v71
	v_subrev_nc_u32_e32 v71, 28, v120
	v_lshlrev_b64 v[71:72], v71, v[6:7]
	v_sub_nc_u32_e32 v72, 29, v120
	v_and_b32_e32 v71, 7, v71
; %bb.4135:                             ;   in Loop: Header=BB302_2076 Depth=1
	s_or_b32 exec_lo, exec_lo, s28
	v_lshlrev_b32_sdwa v6, v97, v6 dst_sel:DWORD dst_unused:UNUSED_PAD src0_sel:DWORD src1_sel:WORD_0
	v_lshl_add_u32 v72, v72, 10, 0x2000
	v_lshlrev_b32_e32 v71, 23, v71
	v_and_or_b32 v6, 0x8000, v6, v72
	v_lshl_or_b32 v120, v6, 16, v71
.LBB302_4136:                           ;   in Loop: Header=BB302_2076 Depth=1
	s_or_b32 exec_lo, exec_lo, s27
.LBB302_4137:                           ;   in Loop: Header=BB302_2076 Depth=1
	s_or_b32 exec_lo, exec_lo, s26
.LBB302_4138:                           ;   in Loop: Header=BB302_2076 Depth=1
	s_or_b32 exec_lo, exec_lo, s25
	v_lshrrev_b32_e32 v6, 16, v8
	v_mov_b32_e32 v122, 0
	v_mov_b32_e32 v123, 0
	v_cmp_ne_u16_sdwa s12, v6, v7 src0_sel:BYTE_0 src1_sel:DWORD
	s_and_saveexec_b32 s25, s12
	s_cbranch_execz .LBB302_4146
; %bb.4139:                             ;   in Loop: Header=BB302_2076 Depth=1
	v_cmp_ne_u16_sdwa s12, v6, v86 src0_sel:BYTE_0 src1_sel:DWORD
	v_mov_b32_e32 v123, 0x8000
	s_and_saveexec_b32 s26, s12
	s_cbranch_execz .LBB302_4145
; %bb.4140:                             ;   in Loop: Header=BB302_2076 Depth=1
	v_bfe_u32 v124, v8, 16, 7
	v_mov_b32_e32 v123, 0x7c01
	s_mov_b32 s27, exec_lo
	v_cmpx_ne_u32_e32 0x7f, v124
	s_cbranch_execz .LBB302_4144
; %bb.4141:                             ;   in Loop: Header=BB302_2076 Depth=1
	v_and_b32_e32 v71, 7, v6
	v_lshrrev_b32_e32 v72, 3, v124
	s_mov_b32 s28, exec_lo
	v_cmpx_gt_u32_e32 8, v124
; %bb.4142:                             ;   in Loop: Header=BB302_2076 Depth=1
	v_ffbh_u32_e32 v71, v71
	v_min_u32_e32 v123, 32, v71
	v_subrev_nc_u32_e32 v71, 28, v123
	v_lshlrev_b64 v[71:72], v71, v[6:7]
	v_sub_nc_u32_e32 v72, 29, v123
	v_and_b32_e32 v71, 7, v71
; %bb.4143:                             ;   in Loop: Header=BB302_2076 Depth=1
	s_or_b32 exec_lo, exec_lo, s28
	v_lshlrev_b32_e32 v6, 8, v6
	v_lshl_add_u32 v72, v72, 10, 0x2000
	v_lshlrev_b32_e32 v71, 7, v71
	v_and_b32_e32 v6, 0x8000, v6
	v_and_b32_e32 v72, 0xfc00, v72
	v_or3_b32 v123, v6, v72, v71
.LBB302_4144:                           ;   in Loop: Header=BB302_2076 Depth=1
	s_or_b32 exec_lo, exec_lo, s27
.LBB302_4145:                           ;   in Loop: Header=BB302_2076 Depth=1
	s_or_b32 exec_lo, exec_lo, s26
.LBB302_4146:                           ;   in Loop: Header=BB302_2076 Depth=1
	s_or_b32 exec_lo, exec_lo, s25
	s_mov_b32 s25, exec_lo
	v_cmpx_lt_u32_e32 0xffffff, v8
	s_cbranch_execz .LBB302_4154
; %bb.4147:                             ;   in Loop: Header=BB302_2076 Depth=1
	v_lshrrev_b32_e32 v6, 24, v8
	v_bfrev_b32_e32 v122, 1
	s_mov_b32 s26, exec_lo
	v_cmpx_ne_u32_e32 0x80, v6
	s_cbranch_execz .LBB302_4153
; %bb.4148:                             ;   in Loop: Header=BB302_2076 Depth=1
	v_and_b32_e32 v124, 0x7f, v6
	v_mov_b32_e32 v122, 0x7c010000
	s_mov_b32 s27, exec_lo
	v_cmpx_ne_u32_e32 0x7f, v124
	s_cbranch_execz .LBB302_4152
; %bb.4149:                             ;   in Loop: Header=BB302_2076 Depth=1
	v_and_b32_e32 v71, 7, v6
	v_lshrrev_b32_e32 v72, 3, v124
	s_mov_b32 s28, exec_lo
	v_cmpx_gt_u32_e32 8, v124
; %bb.4150:                             ;   in Loop: Header=BB302_2076 Depth=1
	v_ffbh_u32_e32 v71, v71
	v_min_u32_e32 v122, 32, v71
	v_subrev_nc_u32_e32 v71, 28, v122
	v_lshlrev_b64 v[71:72], v71, v[6:7]
	v_sub_nc_u32_e32 v72, 29, v122
	v_and_b32_e32 v71, 7, v71
; %bb.4151:                             ;   in Loop: Header=BB302_2076 Depth=1
	s_or_b32 exec_lo, exec_lo, s28
	v_lshlrev_b32_e32 v6, 8, v6
	v_lshl_add_u32 v72, v72, 10, 0x2000
	v_lshlrev_b32_e32 v71, 23, v71
	v_and_or_b32 v6, 0x8000, v6, v72
	v_lshl_or_b32 v122, v6, 16, v71
.LBB302_4152:                           ;   in Loop: Header=BB302_2076 Depth=1
	s_or_b32 exec_lo, exec_lo, s27
.LBB302_4153:                           ;   in Loop: Header=BB302_2076 Depth=1
	s_or_b32 exec_lo, exec_lo, s26
.LBB302_4154:                           ;   in Loop: Header=BB302_2076 Depth=1
	s_or_b32 exec_lo, exec_lo, s25
	v_mov_b32_e32 v6, v9
	v_cmp_ne_u16_sdwa s12, v9, v7 src0_sel:BYTE_0 src1_sel:DWORD
	v_mov_b32_e32 v71, 0
	v_mov_b32_e32 v72, 0
	s_and_saveexec_b32 s25, s12
	s_cbranch_execz .LBB302_4162
; %bb.4155:                             ;   in Loop: Header=BB302_2076 Depth=1
	v_cmp_ne_u16_sdwa s12, v9, v86 src0_sel:BYTE_0 src1_sel:DWORD
	v_mov_b32_e32 v72, 0x8000
	s_and_saveexec_b32 s26, s12
	s_cbranch_execz .LBB302_4161
; %bb.4156:                             ;   in Loop: Header=BB302_2076 Depth=1
	v_and_b32_e32 v125, 0x7f, v9
	v_mov_b32_e32 v72, 0x7c01
	s_mov_b32 s27, exec_lo
	v_cmpx_ne_u32_e32 0x7f, v125
	s_cbranch_execz .LBB302_4160
; %bb.4157:                             ;   in Loop: Header=BB302_2076 Depth=1
	v_and_b32_e32 v72, 7, v9
	v_lshrrev_b32_e32 v124, 3, v125
	s_mov_b32 s28, exec_lo
	v_cmpx_gt_u32_e32 8, v125
; %bb.4158:                             ;   in Loop: Header=BB302_2076 Depth=1
	v_ffbh_u32_e32 v72, v72
	v_min_u32_e32 v72, 32, v72
	v_subrev_nc_u32_e32 v124, 28, v72
	v_lshlrev_b64 v[125:126], v124, v[6:7]
	v_sub_nc_u32_e32 v124, 29, v72
	v_and_b32_e32 v72, 7, v125
; %bb.4159:                             ;   in Loop: Header=BB302_2076 Depth=1
	s_or_b32 exec_lo, exec_lo, s28
	v_lshlrev_b32_e32 v125, 8, v9
	v_lshl_add_u32 v124, v124, 10, 0x2000
	v_lshlrev_b32_e32 v72, 7, v72
	v_and_b32_e32 v125, 0x8000, v125
	v_and_b32_e32 v124, 0xfc00, v124
	v_or3_b32 v72, v125, v124, v72
.LBB302_4160:                           ;   in Loop: Header=BB302_2076 Depth=1
	s_or_b32 exec_lo, exec_lo, s27
.LBB302_4161:                           ;   in Loop: Header=BB302_2076 Depth=1
	s_or_b32 exec_lo, exec_lo, s26
.LBB302_4162:                           ;   in Loop: Header=BB302_2076 Depth=1
	s_or_b32 exec_lo, exec_lo, s25
	v_lshrrev_b16 v6, 8, v6
	v_mov_b32_e32 v124, 0
	s_mov_b32 s25, exec_lo
	v_cmpx_ne_u16_e32 0, v6
	s_cbranch_execz .LBB302_4170
; %bb.4163:                             ;   in Loop: Header=BB302_2076 Depth=1
	v_bfrev_b32_e32 v124, 1
	s_mov_b32 s26, exec_lo
	v_cmpx_ne_u16_e32 0x80, v6
	s_cbranch_execz .LBB302_4169
; %bb.4164:                             ;   in Loop: Header=BB302_2076 Depth=1
	v_and_b32_sdwa v126, v6, v87 dst_sel:DWORD dst_unused:UNUSED_PAD src0_sel:WORD_0 src1_sel:DWORD
	v_mov_b32_e32 v124, 0x7c010000
	s_mov_b32 s27, exec_lo
	v_cmpx_ne_u32_e32 0x7f, v126
	s_cbranch_execz .LBB302_4168
; %bb.4165:                             ;   in Loop: Header=BB302_2076 Depth=1
	v_and_b32_sdwa v124, v6, v96 dst_sel:DWORD dst_unused:UNUSED_PAD src0_sel:WORD_0 src1_sel:DWORD
	v_lshrrev_b32_e32 v125, 3, v126
	s_mov_b32 s28, exec_lo
	v_cmpx_gt_u32_e32 8, v126
; %bb.4166:                             ;   in Loop: Header=BB302_2076 Depth=1
	v_ffbh_u32_e32 v124, v124
	v_min_u32_e32 v126, 32, v124
	v_subrev_nc_u32_e32 v124, 28, v126
	v_lshlrev_b64 v[124:125], v124, v[6:7]
	v_sub_nc_u32_e32 v125, 29, v126
	v_and_b32_e32 v124, 7, v124
; %bb.4167:                             ;   in Loop: Header=BB302_2076 Depth=1
	s_or_b32 exec_lo, exec_lo, s28
	v_lshlrev_b32_sdwa v6, v97, v6 dst_sel:DWORD dst_unused:UNUSED_PAD src0_sel:DWORD src1_sel:WORD_0
	v_lshl_add_u32 v125, v125, 10, 0x2000
	v_lshlrev_b32_e32 v124, 23, v124
	v_and_or_b32 v6, 0x8000, v6, v125
	v_lshl_or_b32 v124, v6, 16, v124
.LBB302_4168:                           ;   in Loop: Header=BB302_2076 Depth=1
	s_or_b32 exec_lo, exec_lo, s27
.LBB302_4169:                           ;   in Loop: Header=BB302_2076 Depth=1
	s_or_b32 exec_lo, exec_lo, s26
.LBB302_4170:                           ;   in Loop: Header=BB302_2076 Depth=1
	s_or_b32 exec_lo, exec_lo, s25
	v_lshrrev_b32_e32 v6, 16, v9
	v_cmp_ne_u16_sdwa s12, v6, v7 src0_sel:BYTE_0 src1_sel:DWORD
	s_and_saveexec_b32 s25, s12
	s_cbranch_execz .LBB302_4178
; %bb.4171:                             ;   in Loop: Header=BB302_2076 Depth=1
	v_cmp_ne_u16_sdwa s12, v6, v86 src0_sel:BYTE_0 src1_sel:DWORD
	v_mov_b32_e32 v71, 0x8000
	s_and_saveexec_b32 s26, s12
	s_cbranch_execz .LBB302_4177
; %bb.4172:                             ;   in Loop: Header=BB302_2076 Depth=1
	v_bfe_u32 v126, v9, 16, 7
	v_mov_b32_e32 v71, 0x7c01
	s_mov_b32 s27, exec_lo
	v_cmpx_ne_u32_e32 0x7f, v126
	s_cbranch_execz .LBB302_4176
; %bb.4173:                             ;   in Loop: Header=BB302_2076 Depth=1
	v_and_b32_e32 v71, 7, v6
	v_lshrrev_b32_e32 v125, 3, v126
	s_mov_b32 s28, exec_lo
	v_cmpx_gt_u32_e32 8, v126
; %bb.4174:                             ;   in Loop: Header=BB302_2076 Depth=1
	v_ffbh_u32_e32 v71, v71
	v_min_u32_e32 v71, 32, v71
	v_subrev_nc_u32_e32 v125, 28, v71
	v_lshlrev_b64 v[126:127], v125, v[6:7]
	v_sub_nc_u32_e32 v125, 29, v71
	v_and_b32_e32 v71, 7, v126
; %bb.4175:                             ;   in Loop: Header=BB302_2076 Depth=1
	s_or_b32 exec_lo, exec_lo, s28
	v_lshlrev_b32_e32 v6, 8, v6
	v_lshl_add_u32 v125, v125, 10, 0x2000
	v_lshlrev_b32_e32 v71, 7, v71
	v_and_b32_e32 v6, 0x8000, v6
	v_and_b32_e32 v125, 0xfc00, v125
	v_or3_b32 v71, v6, v125, v71
.LBB302_4176:                           ;   in Loop: Header=BB302_2076 Depth=1
	s_or_b32 exec_lo, exec_lo, s27
.LBB302_4177:                           ;   in Loop: Header=BB302_2076 Depth=1
	s_or_b32 exec_lo, exec_lo, s26
.LBB302_4178:                           ;   in Loop: Header=BB302_2076 Depth=1
	s_or_b32 exec_lo, exec_lo, s25
	v_cmp_lt_u64_e64 s12, s[22:23], v[8:9]
	v_mov_b32_e32 v8, 0
	s_and_saveexec_b32 s25, s12
	s_cbranch_execz .LBB302_4186
; %bb.4179:                             ;   in Loop: Header=BB302_2076 Depth=1
	v_lshrrev_b32_e32 v6, 24, v9
	v_bfrev_b32_e32 v8, 1
	s_mov_b32 s26, exec_lo
	v_cmpx_ne_u32_e32 0x80, v6
	s_cbranch_execz .LBB302_4185
; %bb.4180:                             ;   in Loop: Header=BB302_2076 Depth=1
	v_and_b32_e32 v125, 0x7f, v6
	v_mov_b32_e32 v8, 0x7c010000
	s_mov_b32 s27, exec_lo
	v_cmpx_ne_u32_e32 0x7f, v125
	s_cbranch_execz .LBB302_4184
; %bb.4181:                             ;   in Loop: Header=BB302_2076 Depth=1
	v_and_b32_e32 v8, 7, v6
	v_lshrrev_b32_e32 v9, 3, v125
	s_mov_b32 s28, exec_lo
	v_cmpx_gt_u32_e32 8, v125
; %bb.4182:                             ;   in Loop: Header=BB302_2076 Depth=1
	v_ffbh_u32_e32 v8, v8
	v_min_u32_e32 v125, 32, v8
	v_subrev_nc_u32_e32 v8, 28, v125
	v_lshlrev_b64 v[8:9], v8, v[6:7]
	v_sub_nc_u32_e32 v9, 29, v125
	v_and_b32_e32 v8, 7, v8
; %bb.4183:                             ;   in Loop: Header=BB302_2076 Depth=1
	s_or_b32 exec_lo, exec_lo, s28
	v_lshlrev_b32_e32 v6, 8, v6
	v_lshl_add_u32 v9, v9, 10, 0x2000
	v_lshlrev_b32_e32 v8, 23, v8
	v_and_or_b32 v6, 0x8000, v6, v9
	v_lshl_or_b32 v8, v6, 16, v8
.LBB302_4184:                           ;   in Loop: Header=BB302_2076 Depth=1
	s_or_b32 exec_lo, exec_lo, s27
.LBB302_4185:                           ;   in Loop: Header=BB302_2076 Depth=1
	s_or_b32 exec_lo, exec_lo, s26
.LBB302_4186:                           ;   in Loop: Header=BB302_2076 Depth=1
	s_or_b32 exec_lo, exec_lo, s25
	v_or_b32_e32 v6, v122, v123
	s_waitcnt vmcnt(0) lgkmcnt(0)
	v_fma_mixlo_f16 v9, v111, v122, 0 op_sel:[0,1,0] op_sel_hi:[0,1,0]
	v_or_b32_e32 v121, v120, v121
	v_or_b32_e32 v122, v124, v72
	;; [unrolled: 1-line block ×3, first 2 shown]
	v_fma_mixlo_f16 v6, v111, v6, 0 op_sel_hi:[0,1,0]
	v_fma_mixlo_f16 v120, v111, v120, 0 op_sel:[0,1,0] op_sel_hi:[0,1,0]
	v_lshlrev_b32_e32 v71, 16, v9
	v_fma_mixlo_f16 v9, v111, v121, 0 op_sel_hi:[0,1,0]
	v_fma_mixlo_f16 v121, v111, v122, 0 op_sel_hi:[0,1,0]
	v_and_b32_e32 v72, 0xffff, v6
	v_fma_mixlo_f16 v6, v111, v124, 0 op_sel:[0,1,0] op_sel_hi:[0,1,0]
	v_fma_mixlo_f16 v8, v111, v8, 0 op_sel:[0,1,0] op_sel_hi:[0,1,0]
	v_fma_mixlo_f16 v111, v111, v123, 0 op_sel_hi:[0,1,0]
	v_lshlrev_b32_e32 v120, 16, v120
	v_and_b32_e32 v125, 0xffff, v9
	v_lshlrev_b32_e32 v122, 16, v6
	v_and_b32_e32 v124, 0xffff, v121
	v_lshlrev_b32_e32 v121, 16, v8
	v_and_b32_e32 v123, 0xffff, v111
	v_or_b32_e32 v6, v71, v72
	v_or_b32_e32 v111, v120, v125
	;; [unrolled: 1-line block ×4, first 2 shown]
	s_and_saveexec_b32 s12, s7
	s_cbranch_execz .LBB302_2075
; %bb.4187:                             ;   in Loop: Header=BB302_2076 Depth=1
	v_cndmask_b32_e32 v6, 0, v125, vcc_lo
	v_cndmask_b32_e64 v8, 0, v120, s5
	v_cndmask_b32_e64 v9, 0, v72, s4
	;; [unrolled: 1-line block ×7, first 2 shown]
	v_or_b32_e32 v111, v6, v8
	v_or_b32_e32 v6, v9, v71
	;; [unrolled: 1-line block ×4, first 2 shown]
	s_branch .LBB302_2075
.LBB302_4188:
	s_or_b32 exec_lo, exec_lo, s24
	v_mov_b32_e32 v4, s20
	v_mov_b32_e32 v5, s21
.LBB302_4189:
	s_or_b32 exec_lo, exec_lo, s19
	s_waitcnt vmcnt(0)
	s_barrier
	buffer_gl0_inv
	buffer_load_dword v51, off, s[0:3], s32 offset:1264 ; 4-byte Folded Reload
	v_lshlrev_b64 v[0:1], 2, v[4:5]
	s_getpc_b64 s[4:5]
	s_add_u32 s4, s4, llvm.amdgcn.dynlds.offset.table@rel32@lo+4
	s_addc_u32 s5, s5, llvm.amdgcn.dynlds.offset.table@rel32@hi+12
	ds_bpermute_b32 v2, v17, v82
	ds_bpermute_b32 v3, v17, v80
	;; [unrolled: 1-line block ×4, first 2 shown]
	v_add_co_u32 v0, vcc_lo, s4, v0
	v_add_co_ci_u32_e64 v1, null, s5, v1, vcc_lo
	ds_bpermute_b32 v6, v17, v69
	ds_bpermute_b32 v7, v17, v104
	;; [unrolled: 1-line block ×3, first 2 shown]
	global_load_dword v32, v[0:1], off
	ds_bpermute_b32 v0, v17, v81
	ds_bpermute_b32 v1, v17, v83
	;; [unrolled: 1-line block ×25, first 2 shown]
	s_waitcnt lgkmcnt(24)
	v_add_f32_e32 v0, v81, v0
	s_waitcnt lgkmcnt(23)
	v_add_f32_e32 v1, v83, v1
	v_add_f32_e32 v2, v82, v2
	;; [unrolled: 1-line block ×8, first 2 shown]
	s_waitcnt lgkmcnt(22)
	v_add_f32_e32 v9, v64, v9
	s_waitcnt lgkmcnt(21)
	v_add_f32_e32 v10, v118, v10
	;; [unrolled: 2-line block ×23, first 2 shown]
	ds_bpermute_b32 v17, v16, v0
	ds_bpermute_b32 v18, v16, v1
	;; [unrolled: 1-line block ×32, first 2 shown]
	s_waitcnt lgkmcnt(31)
	v_add_f32_e32 v31, v0, v17
	s_waitcnt lgkmcnt(30)
	v_add_f32_e32 v30, v1, v18
	;; [unrolled: 2-line block ×32, first 2 shown]
	s_mov_b32 s4, exec_lo
	s_waitcnt vmcnt(1)
	v_lshrrev_b32_e32 v54, 2, v51
	v_and_b32_e32 v87, 28, v51
	buffer_load_dword v51, off, s[0:3], s32 offset:1268 ; 4-byte Folded Reload
	s_waitcnt vmcnt(1)
	v_add_nc_u32_e32 v33, v32, v87
	s_waitcnt vmcnt(0)
	v_lshlrev_b32_e32 v55, 10, v51
	buffer_load_dword v51, off, s[0:3], s32 offset:1260 ; 4-byte Folded Reload
	s_waitcnt vmcnt(0)
	v_and_b32_e32 v51, 0x3c3, v51
	v_cmpx_eq_u32_e32 64, v51
	s_cbranch_execz .LBB302_4191
; %bb.4190:
	v_add_nc_u32_e32 v34, v33, v55
	v_add_nc_u32_e32 v35, 0xfffff800, v34
	;; [unrolled: 1-line block ×8, first 2 shown]
	ds_write_b32 v35, v31
	ds_write_b32 v36, v30
	;; [unrolled: 1-line block ×7, first 2 shown]
	v_add_nc_u32_e32 v35, 0xfffff8e0, v34
	v_add_nc_u32_e32 v36, 0xfffff900, v34
	v_add_nc_u32_e32 v37, 0xfffff920, v34
	v_add_nc_u32_e32 v38, 0xfffff940, v34
	v_add_nc_u32_e32 v39, 0xfffff960, v34
	ds_write_b32 v35, v24
	ds_write_b32 v36, v23
	ds_write_b32 v37, v22
	ds_write_b32 v38, v21
	ds_write_b32 v39, v20
	v_add_nc_u32_e32 v35, 0xfffff980, v34
	v_add_nc_u32_e32 v36, 0xfffff9a0, v34
	v_add_nc_u32_e32 v37, 0xfffff9c0, v34
	v_add_nc_u32_e32 v38, 0xfffff9e0, v34
	v_add_nc_u32_e32 v39, 0xfffffa00, v34
	ds_write_b32 v35, v19
	ds_write_b32 v36, v18
	ds_write_b32 v37, v17
	ds_write_b32 v38, v16
	ds_write_b32 v39, v15
	;; [unrolled: 10-line block ×5, first 2 shown]
.LBB302_4191:
	s_or_b32 exec_lo, exec_lo, s4
	v_lshlrev_b32_e32 v34, 2, v54
	s_mov_b32 s4, exec_lo
	s_waitcnt lgkmcnt(0)
	s_barrier
	buffer_gl0_inv
	v_add3_u32 v32, v32, v55, v34
	v_cmpx_eq_u32_e32 0, v51
	s_cbranch_execz .LBB302_4193
; %bb.4192:
	ds_read2_b32 v[34:35], v32 offset1:8
	ds_read2_b32 v[36:37], v32 offset0:16 offset1:24
	ds_read2_b32 v[38:39], v32 offset0:32 offset1:40
	ds_read2_b32 v[48:49], v32 offset0:48 offset1:56
	ds_read2_b32 v[50:51], v32 offset0:64 offset1:72
	ds_read2_b32 v[52:53], v32 offset0:80 offset1:88
	ds_read2_b32 v[54:55], v32 offset0:96 offset1:104
	ds_read2_b32 v[64:65], v32 offset0:112 offset1:120
	ds_read2_b32 v[66:67], v32 offset0:128 offset1:136
	ds_read2_b32 v[68:69], v32 offset0:144 offset1:152
	ds_read2_b32 v[70:71], v32 offset0:160 offset1:168
	ds_read2_b32 v[80:81], v32 offset0:176 offset1:184
	ds_read2_b32 v[82:83], v32 offset0:192 offset1:200
	s_waitcnt lgkmcnt(12)
	v_add_f32_e32 v31, v34, v31
	v_add_f32_e32 v30, v35, v30
	s_waitcnt lgkmcnt(11)
	v_add_f32_e32 v29, v36, v29
	v_add_f32_e32 v28, v37, v28
	s_waitcnt lgkmcnt(10)
	v_add_f32_e32 v27, v38, v27
	v_add_f32_e32 v26, v39, v26
	ds_read2_b32 v[34:35], v32 offset0:208 offset1:216
	ds_read2_b32 v[36:37], v32 offset0:224 offset1:232
	;; [unrolled: 1-line block ×3, first 2 shown]
	s_waitcnt lgkmcnt(12)
	v_add_f32_e32 v25, v48, v25
	v_add_f32_e32 v24, v49, v24
	s_waitcnt lgkmcnt(11)
	v_add_f32_e32 v23, v50, v23
	v_add_f32_e32 v22, v51, v22
	;; [unrolled: 3-line block ×13, first 2 shown]
.LBB302_4193:
	s_or_b32 exec_lo, exec_lo, s4
	buffer_load_dword v34, off, s[0:3], s32 offset:1260 ; 4-byte Folded Reload
	s_mov_b32 s4, exec_lo
	s_waitcnt vmcnt(0)
	s_barrier
	buffer_gl0_inv
	v_and_b32_e32 v34, 0x3e3, v34
	v_cmpx_eq_u32_e32 32, v34
	s_cbranch_execz .LBB302_4195
; %bb.4194:
	ds_write2_b32 v33, v31, v30 offset1:8
	ds_write2_b32 v33, v29, v28 offset0:16 offset1:24
	ds_write2_b32 v33, v27, v26 offset0:32 offset1:40
	ds_write2_b32 v33, v25, v24 offset0:48 offset1:56
	ds_write2_b32 v33, v23, v22 offset0:64 offset1:72
	ds_write2_b32 v33, v21, v20 offset0:80 offset1:88
	ds_write2_b32 v33, v19, v18 offset0:96 offset1:104
	ds_write2_b32 v33, v17, v16 offset0:112 offset1:120
	ds_write2_b32 v33, v15, v14 offset0:128 offset1:136
	ds_write2_b32 v33, v13, v12 offset0:144 offset1:152
	ds_write2_b32 v33, v11, v10 offset0:160 offset1:168
	ds_write2_b32 v33, v9, v8 offset0:176 offset1:184
	ds_write2_b32 v33, v7, v6 offset0:192 offset1:200
	ds_write2_b32 v33, v5, v4 offset0:208 offset1:216
	ds_write2_b32 v33, v3, v2 offset0:224 offset1:232
	ds_write2_b32 v33, v1, v0 offset0:240 offset1:248
.LBB302_4195:
	s_or_b32 exec_lo, exec_lo, s4
	v_cmp_eq_u32_e32 vcc_lo, 0, v34
	s_waitcnt lgkmcnt(0)
	s_barrier
	buffer_gl0_inv
	s_and_saveexec_b32 s4, vcc_lo
	s_cbranch_execz .LBB302_4197
; %bb.4196:
	ds_read2_b32 v[33:34], v32 offset1:8
	ds_read2_b32 v[35:36], v32 offset0:16 offset1:24
	ds_read2_b32 v[37:38], v32 offset0:32 offset1:40
	;; [unrolled: 1-line block ×12, first 2 shown]
	s_waitcnt lgkmcnt(12)
	v_add_f32_e32 v31, v33, v31
	v_add_f32_e32 v30, v34, v30
	s_waitcnt lgkmcnt(11)
	v_add_f32_e32 v29, v35, v29
	v_add_f32_e32 v28, v36, v28
	;; [unrolled: 3-line block ×3, first 2 shown]
	ds_read2_b32 v[33:34], v32 offset0:208 offset1:216
	ds_read2_b32 v[35:36], v32 offset0:224 offset1:232
	;; [unrolled: 1-line block ×3, first 2 shown]
	s_waitcnt lgkmcnt(12)
	v_add_f32_e32 v25, v48, v25
	v_add_f32_e32 v24, v49, v24
	s_waitcnt lgkmcnt(11)
	v_add_f32_e32 v23, v50, v23
	v_add_f32_e32 v22, v51, v22
	;; [unrolled: 3-line block ×13, first 2 shown]
.LBB302_4197:
	s_or_b32 exec_lo, exec_lo, s4
	s_barrier
	buffer_gl0_inv
	s_and_saveexec_b32 s4, vcc_lo
	s_cbranch_execz .LBB302_4199
; %bb.4198:
	s_clause 0x2
	buffer_load_dword v33, off, s[0:3], s32 offset:1276
	buffer_load_dword v32, off, s[0:3], s32 offset:1260
	;; [unrolled: 1-line block ×3, first 2 shown]
	s_and_b32 s5, 0xffff, s17
	;;#ASMSTART
	v_cvt_f16_f32 v31, v31;

	;;#ASMEND
	s_cmp_lg_u32 s5, 0
	s_cselect_b32 s5, -1, 0
	s_cmp_lg_u32 s5, 0
	s_addc_u32 s5, s13, 0
	s_lshl_b32 s6, s14, 8
	s_mul_i32 s7, s16, s5
	s_mul_i32 s8, s18, s5
	;; [unrolled: 1-line block ×3, first 2 shown]
	s_ashr_i32 s9, s8, 31
	s_lshl_b32 s10, s7, 8
	s_lshl_b64 s[8:9], s[8:9], 1
	s_ashr_i32 s11, s10, 31
	s_ashr_i32 s7, s6, 31
	s_lshl_b64 s[10:11], s[10:11], 1
	s_lshl_b64 s[6:7], s[6:7], 1
	s_waitcnt vmcnt(2)
	v_add_co_u32 v33, vcc_lo, v33, s10
	s_waitcnt vmcnt(0)
	v_add_co_ci_u32_e64 v34, null, s11, v34, vcc_lo
	v_lshrrev_b32_e32 v32, 1, v32
	v_add_co_u32 v33, vcc_lo, v33, s8
	v_add_co_ci_u32_e64 v34, null, s9, v34, vcc_lo
	v_add_co_u32 v33, vcc_lo, v33, s6
	v_add_co_ci_u32_e64 v34, null, s7, v34, vcc_lo
	;; [unrolled: 2-line block ×3, first 2 shown]
	flat_store_short v[32:33], v31
	;;#ASMSTART
	v_cvt_f16_f32 v30, v30;

	;;#ASMEND
	flat_store_short v[32:33], v30 offset:16
	;;#ASMSTART
	v_cvt_f16_f32 v29, v29;

	;;#ASMEND
	flat_store_short v[32:33], v29 offset:32
	;; [unrolled: 5-line block ×31, first 2 shown]
.LBB302_4199:
	s_or_b32 exec_lo, exec_lo, s4
	s_clause 0x2f
	buffer_load_dword v127, off, s[0:3], s32
	buffer_load_dword v126, off, s[0:3], s32 offset:4
	buffer_load_dword v125, off, s[0:3], s32 offset:8
	;; [unrolled: 1-line block ×47, first 2 shown]
	s_waitcnt vmcnt(0) lgkmcnt(0)
	s_setpc_b64 s[30:31]
.Lfunc_end302:
	.size	_ZN4vllm22paged_attention_kernelIthLi256ELi32ELi128ELNS_18Fp8KVCacheDataTypeE1ELb0ELi0EEEvPfS2_PT_PKS3_PKT0_S9_ifPKiSB_iPKfiiiSD_SD_iiiii, .Lfunc_end302-_ZN4vllm22paged_attention_kernelIthLi256ELi32ELi128ELNS_18Fp8KVCacheDataTypeE1ELb0ELi0EEEvPfS2_PT_PKS3_PKT0_S9_ifPKiSB_iPKfiiiSD_SD_iiiii
                                        ; -- End function
	.set .L_ZN4vllm22paged_attention_kernelIthLi256ELi32ELi128ELNS_18Fp8KVCacheDataTypeE1ELb0ELi0EEEvPfS2_PT_PKS3_PKT0_S9_ifPKiSB_iPKfiiiSD_SD_iiiii.num_vgpr, 128
	.set .L_ZN4vllm22paged_attention_kernelIthLi256ELi32ELi128ELNS_18Fp8KVCacheDataTypeE1ELb0ELi0EEEvPfS2_PT_PKS3_PKT0_S9_ifPKiSB_iPKfiiiSD_SD_iiiii.num_agpr, 0
	.set .L_ZN4vllm22paged_attention_kernelIthLi256ELi32ELi128ELNS_18Fp8KVCacheDataTypeE1ELb0ELi0EEEvPfS2_PT_PKS3_PKT0_S9_ifPKiSB_iPKfiiiSD_SD_iiiii.numbered_sgpr, 33
	.set .L_ZN4vllm22paged_attention_kernelIthLi256ELi32ELi128ELNS_18Fp8KVCacheDataTypeE1ELb0ELi0EEEvPfS2_PT_PKS3_PKT0_S9_ifPKiSB_iPKfiiiSD_SD_iiiii.num_named_barrier, 0
	.set .L_ZN4vllm22paged_attention_kernelIthLi256ELi32ELi128ELNS_18Fp8KVCacheDataTypeE1ELb0ELi0EEEvPfS2_PT_PKS3_PKT0_S9_ifPKiSB_iPKfiiiSD_SD_iiiii.private_seg_size, 1324
	.set .L_ZN4vllm22paged_attention_kernelIthLi256ELi32ELi128ELNS_18Fp8KVCacheDataTypeE1ELb0ELi0EEEvPfS2_PT_PKS3_PKT0_S9_ifPKiSB_iPKfiiiSD_SD_iiiii.uses_vcc, 1
	.set .L_ZN4vllm22paged_attention_kernelIthLi256ELi32ELi128ELNS_18Fp8KVCacheDataTypeE1ELb0ELi0EEEvPfS2_PT_PKS3_PKT0_S9_ifPKiSB_iPKfiiiSD_SD_iiiii.uses_flat_scratch, 0
	.set .L_ZN4vllm22paged_attention_kernelIthLi256ELi32ELi128ELNS_18Fp8KVCacheDataTypeE1ELb0ELi0EEEvPfS2_PT_PKS3_PKT0_S9_ifPKiSB_iPKfiiiSD_SD_iiiii.has_dyn_sized_stack, 0
	.set .L_ZN4vllm22paged_attention_kernelIthLi256ELi32ELi128ELNS_18Fp8KVCacheDataTypeE1ELb0ELi0EEEvPfS2_PT_PKS3_PKT0_S9_ifPKiSB_iPKfiiiSD_SD_iiiii.has_recursion, 0
	.set .L_ZN4vllm22paged_attention_kernelIthLi256ELi32ELi128ELNS_18Fp8KVCacheDataTypeE1ELb0ELi0EEEvPfS2_PT_PKS3_PKT0_S9_ifPKiSB_iPKfiiiSD_SD_iiiii.has_indirect_call, 0
	.section	.AMDGPU.csdata,"",@progbits
; Function info:
; codeLenInByte = 144712
; TotalNumSgprs: 35
; NumVgprs: 128
; ScratchSize: 1324
; MemoryBound: 0
	.section	.text._ZN4vllm25paged_attention_v1_kernelIthLi256ELi32ELi128ELNS_18Fp8KVCacheDataTypeE1ELb0EEEvPT_PKS2_PKT0_S8_ifPKiSA_iPKfiiiSC_SC_iiiii,"axG",@progbits,_ZN4vllm25paged_attention_v1_kernelIthLi256ELi32ELi128ELNS_18Fp8KVCacheDataTypeE1ELb0EEEvPT_PKS2_PKT0_S8_ifPKiSA_iPKfiiiSC_SC_iiiii,comdat
	.protected	_ZN4vllm25paged_attention_v1_kernelIthLi256ELi32ELi128ELNS_18Fp8KVCacheDataTypeE1ELb0EEEvPT_PKS2_PKT0_S8_ifPKiSA_iPKfiiiSC_SC_iiiii ; -- Begin function _ZN4vllm25paged_attention_v1_kernelIthLi256ELi32ELi128ELNS_18Fp8KVCacheDataTypeE1ELb0EEEvPT_PKS2_PKT0_S8_ifPKiSA_iPKfiiiSC_SC_iiiii
	.globl	_ZN4vllm25paged_attention_v1_kernelIthLi256ELi32ELi128ELNS_18Fp8KVCacheDataTypeE1ELb0EEEvPT_PKS2_PKT0_S8_ifPKiSA_iPKfiiiSC_SC_iiiii
	.p2align	8
	.type	_ZN4vllm25paged_attention_v1_kernelIthLi256ELi32ELi128ELNS_18Fp8KVCacheDataTypeE1ELb0EEEvPT_PKS2_PKT0_S8_ifPKiSA_iPKfiiiSC_SC_iiiii,@function
_ZN4vllm25paged_attention_v1_kernelIthLi256ELi32ELi128ELNS_18Fp8KVCacheDataTypeE1ELb0EEEvPT_PKS2_PKT0_S8_ifPKiSA_iPKfiiiSC_SC_iiiii: ; @_ZN4vllm25paged_attention_v1_kernelIthLi256ELi32ELi128ELNS_18Fp8KVCacheDataTypeE1ELb0EEEvPT_PKS2_PKT0_S8_ifPKiSA_iPKfiiiSC_SC_iiiii
; %bb.0:
	s_clause 0x5
	s_load_dwordx8 s[16:23], s[4:5], 0x0
	s_load_dwordx4 s[36:39], s[4:5], 0x20
	s_load_dwordx2 s[10:11], s[4:5], 0x30
	s_load_dword s13, s[4:5], 0x38
	s_load_dwordx2 s[34:35], s[4:5], 0x40
	s_load_dwordx8 s[24:31], s[4:5], 0x48
	s_add_u32 s0, s0, s9
	s_addc_u32 s1, s1, 0
	v_mov_b32_e32 v31, v0
	s_mov_b32 s14, s8
	s_add_u32 s8, s4, 0x80
	s_addc_u32 s9, s5, 0
	s_getpc_b64 s[4:5]
	s_add_u32 s4, s4, _ZN4vllm22paged_attention_kernelIthLi256ELi32ELi128ELNS_18Fp8KVCacheDataTypeE1ELb0ELi0EEEvPfS2_PT_PKS3_PKT0_S9_ifPKiSB_iPKfiiiSD_SD_iiiii@rel32@lo+4
	s_addc_u32 s5, s5, _ZN4vllm22paged_attention_kernelIthLi256ELi32ELi128ELNS_18Fp8KVCacheDataTypeE1ELb0ELi0EEEvPfS2_PT_PKS3_PKT0_S9_ifPKiSB_iPKfiiiSD_SD_iiiii@rel32@hi+12
	s_mov_b32 s12, s6
	s_mov_b32 s15, 46
	;; [unrolled: 1-line block ×3, first 2 shown]
	s_waitcnt lgkmcnt(0)
	v_mov_b32_e32 v0, s16
	v_mov_b32_e32 v1, s17
	;; [unrolled: 1-line block ×24, first 2 shown]
	s_mov_b32 s13, s7
	s_swappc_b64 s[30:31], s[4:5]
	s_endpgm
	.section	.rodata,"a",@progbits
	.p2align	6, 0x0
	.amdhsa_kernel _ZN4vllm25paged_attention_v1_kernelIthLi256ELi32ELi128ELNS_18Fp8KVCacheDataTypeE1ELb0EEEvPT_PKS2_PKT0_S8_ifPKiSA_iPKfiiiSC_SC_iiiii
		.amdhsa_group_segment_fixed_size 544
		.amdhsa_private_segment_fixed_size 1324
		.amdhsa_kernarg_size 384
		.amdhsa_user_sgpr_count 6
		.amdhsa_user_sgpr_private_segment_buffer 1
		.amdhsa_user_sgpr_dispatch_ptr 0
		.amdhsa_user_sgpr_queue_ptr 0
		.amdhsa_user_sgpr_kernarg_segment_ptr 1
		.amdhsa_user_sgpr_dispatch_id 0
		.amdhsa_user_sgpr_flat_scratch_init 0
		.amdhsa_user_sgpr_private_segment_size 0
		.amdhsa_wavefront_size32 1
		.amdhsa_uses_dynamic_stack 0
		.amdhsa_system_sgpr_private_segment_wavefront_offset 1
		.amdhsa_system_sgpr_workgroup_id_x 1
		.amdhsa_system_sgpr_workgroup_id_y 1
		.amdhsa_system_sgpr_workgroup_id_z 1
		.amdhsa_system_sgpr_workgroup_info 0
		.amdhsa_system_vgpr_workitem_id 0
		.amdhsa_next_free_vgpr 128
		.amdhsa_next_free_sgpr 40
		.amdhsa_reserve_vcc 1
		.amdhsa_reserve_flat_scratch 0
		.amdhsa_float_round_mode_32 0
		.amdhsa_float_round_mode_16_64 0
		.amdhsa_float_denorm_mode_32 3
		.amdhsa_float_denorm_mode_16_64 3
		.amdhsa_dx10_clamp 1
		.amdhsa_ieee_mode 1
		.amdhsa_fp16_overflow 0
		.amdhsa_workgroup_processor_mode 1
		.amdhsa_memory_ordered 1
		.amdhsa_forward_progress 1
		.amdhsa_shared_vgpr_count 0
		.amdhsa_exception_fp_ieee_invalid_op 0
		.amdhsa_exception_fp_denorm_src 0
		.amdhsa_exception_fp_ieee_div_zero 0
		.amdhsa_exception_fp_ieee_overflow 0
		.amdhsa_exception_fp_ieee_underflow 0
		.amdhsa_exception_fp_ieee_inexact 0
		.amdhsa_exception_int_div_zero 0
	.end_amdhsa_kernel
	.section	.text._ZN4vllm25paged_attention_v1_kernelIthLi256ELi32ELi128ELNS_18Fp8KVCacheDataTypeE1ELb0EEEvPT_PKS2_PKT0_S8_ifPKiSA_iPKfiiiSC_SC_iiiii,"axG",@progbits,_ZN4vllm25paged_attention_v1_kernelIthLi256ELi32ELi128ELNS_18Fp8KVCacheDataTypeE1ELb0EEEvPT_PKS2_PKT0_S8_ifPKiSA_iPKfiiiSC_SC_iiiii,comdat
.Lfunc_end303:
	.size	_ZN4vllm25paged_attention_v1_kernelIthLi256ELi32ELi128ELNS_18Fp8KVCacheDataTypeE1ELb0EEEvPT_PKS2_PKT0_S8_ifPKiSA_iPKfiiiSC_SC_iiiii, .Lfunc_end303-_ZN4vllm25paged_attention_v1_kernelIthLi256ELi32ELi128ELNS_18Fp8KVCacheDataTypeE1ELb0EEEvPT_PKS2_PKT0_S8_ifPKiSA_iPKfiiiSC_SC_iiiii
                                        ; -- End function
	.set _ZN4vllm25paged_attention_v1_kernelIthLi256ELi32ELi128ELNS_18Fp8KVCacheDataTypeE1ELb0EEEvPT_PKS2_PKT0_S8_ifPKiSA_iPKfiiiSC_SC_iiiii.num_vgpr, max(32, .L_ZN4vllm22paged_attention_kernelIthLi256ELi32ELi128ELNS_18Fp8KVCacheDataTypeE1ELb0ELi0EEEvPfS2_PT_PKS3_PKT0_S9_ifPKiSB_iPKfiiiSD_SD_iiiii.num_vgpr)
	.set _ZN4vllm25paged_attention_v1_kernelIthLi256ELi32ELi128ELNS_18Fp8KVCacheDataTypeE1ELb0EEEvPT_PKS2_PKT0_S8_ifPKiSA_iPKfiiiSC_SC_iiiii.num_agpr, max(0, .L_ZN4vllm22paged_attention_kernelIthLi256ELi32ELi128ELNS_18Fp8KVCacheDataTypeE1ELb0ELi0EEEvPfS2_PT_PKS3_PKT0_S9_ifPKiSB_iPKfiiiSD_SD_iiiii.num_agpr)
	.set _ZN4vllm25paged_attention_v1_kernelIthLi256ELi32ELi128ELNS_18Fp8KVCacheDataTypeE1ELb0EEEvPT_PKS2_PKT0_S8_ifPKiSA_iPKfiiiSC_SC_iiiii.numbered_sgpr, max(40, .L_ZN4vllm22paged_attention_kernelIthLi256ELi32ELi128ELNS_18Fp8KVCacheDataTypeE1ELb0ELi0EEEvPfS2_PT_PKS3_PKT0_S9_ifPKiSB_iPKfiiiSD_SD_iiiii.numbered_sgpr)
	.set _ZN4vllm25paged_attention_v1_kernelIthLi256ELi32ELi128ELNS_18Fp8KVCacheDataTypeE1ELb0EEEvPT_PKS2_PKT0_S8_ifPKiSA_iPKfiiiSC_SC_iiiii.num_named_barrier, max(0, .L_ZN4vllm22paged_attention_kernelIthLi256ELi32ELi128ELNS_18Fp8KVCacheDataTypeE1ELb0ELi0EEEvPfS2_PT_PKS3_PKT0_S9_ifPKiSB_iPKfiiiSD_SD_iiiii.num_named_barrier)
	.set _ZN4vllm25paged_attention_v1_kernelIthLi256ELi32ELi128ELNS_18Fp8KVCacheDataTypeE1ELb0EEEvPT_PKS2_PKT0_S8_ifPKiSA_iPKfiiiSC_SC_iiiii.private_seg_size, 0+max(.L_ZN4vllm22paged_attention_kernelIthLi256ELi32ELi128ELNS_18Fp8KVCacheDataTypeE1ELb0ELi0EEEvPfS2_PT_PKS3_PKT0_S9_ifPKiSB_iPKfiiiSD_SD_iiiii.private_seg_size)
	.set _ZN4vllm25paged_attention_v1_kernelIthLi256ELi32ELi128ELNS_18Fp8KVCacheDataTypeE1ELb0EEEvPT_PKS2_PKT0_S8_ifPKiSA_iPKfiiiSC_SC_iiiii.uses_vcc, or(1, .L_ZN4vllm22paged_attention_kernelIthLi256ELi32ELi128ELNS_18Fp8KVCacheDataTypeE1ELb0ELi0EEEvPfS2_PT_PKS3_PKT0_S9_ifPKiSB_iPKfiiiSD_SD_iiiii.uses_vcc)
	.set _ZN4vllm25paged_attention_v1_kernelIthLi256ELi32ELi128ELNS_18Fp8KVCacheDataTypeE1ELb0EEEvPT_PKS2_PKT0_S8_ifPKiSA_iPKfiiiSC_SC_iiiii.uses_flat_scratch, or(0, .L_ZN4vllm22paged_attention_kernelIthLi256ELi32ELi128ELNS_18Fp8KVCacheDataTypeE1ELb0ELi0EEEvPfS2_PT_PKS3_PKT0_S9_ifPKiSB_iPKfiiiSD_SD_iiiii.uses_flat_scratch)
	.set _ZN4vllm25paged_attention_v1_kernelIthLi256ELi32ELi128ELNS_18Fp8KVCacheDataTypeE1ELb0EEEvPT_PKS2_PKT0_S8_ifPKiSA_iPKfiiiSC_SC_iiiii.has_dyn_sized_stack, or(0, .L_ZN4vllm22paged_attention_kernelIthLi256ELi32ELi128ELNS_18Fp8KVCacheDataTypeE1ELb0ELi0EEEvPfS2_PT_PKS3_PKT0_S9_ifPKiSB_iPKfiiiSD_SD_iiiii.has_dyn_sized_stack)
	.set _ZN4vllm25paged_attention_v1_kernelIthLi256ELi32ELi128ELNS_18Fp8KVCacheDataTypeE1ELb0EEEvPT_PKS2_PKT0_S8_ifPKiSA_iPKfiiiSC_SC_iiiii.has_recursion, or(0, .L_ZN4vllm22paged_attention_kernelIthLi256ELi32ELi128ELNS_18Fp8KVCacheDataTypeE1ELb0ELi0EEEvPfS2_PT_PKS3_PKT0_S9_ifPKiSB_iPKfiiiSD_SD_iiiii.has_recursion)
	.set _ZN4vllm25paged_attention_v1_kernelIthLi256ELi32ELi128ELNS_18Fp8KVCacheDataTypeE1ELb0EEEvPT_PKS2_PKT0_S8_ifPKiSA_iPKfiiiSC_SC_iiiii.has_indirect_call, or(0, .L_ZN4vllm22paged_attention_kernelIthLi256ELi32ELi128ELNS_18Fp8KVCacheDataTypeE1ELb0ELi0EEEvPfS2_PT_PKS3_PKT0_S9_ifPKiSB_iPKfiiiSD_SD_iiiii.has_indirect_call)
	.section	.AMDGPU.csdata,"",@progbits
; Kernel info:
; codeLenInByte = 224
; TotalNumSgprs: 42
; NumVgprs: 128
; ScratchSize: 1324
; MemoryBound: 0
; FloatMode: 240
; IeeeMode: 1
; LDSByteSize: 544 bytes/workgroup (compile time only)
; SGPRBlocks: 0
; VGPRBlocks: 15
; NumSGPRsForWavesPerEU: 42
; NumVGPRsForWavesPerEU: 128
; Occupancy: 8
; WaveLimiterHint : 1
; COMPUTE_PGM_RSRC2:SCRATCH_EN: 1
; COMPUTE_PGM_RSRC2:USER_SGPR: 6
; COMPUTE_PGM_RSRC2:TRAP_HANDLER: 0
; COMPUTE_PGM_RSRC2:TGID_X_EN: 1
; COMPUTE_PGM_RSRC2:TGID_Y_EN: 1
; COMPUTE_PGM_RSRC2:TGID_Z_EN: 1
; COMPUTE_PGM_RSRC2:TIDIG_COMP_CNT: 0
	.section	.text._ZN4vllm25paged_attention_v1_kernelI14__hip_bfloat16hLi32ELi8ELi128ELNS_18Fp8KVCacheDataTypeE1ELb1EEEvPT_PKS3_PKT0_S9_ifPKiSB_iPKfiiiSD_SD_iiiii,"axG",@progbits,_ZN4vllm25paged_attention_v1_kernelI14__hip_bfloat16hLi32ELi8ELi128ELNS_18Fp8KVCacheDataTypeE1ELb1EEEvPT_PKS3_PKT0_S9_ifPKiSB_iPKfiiiSD_SD_iiiii,comdat
	.protected	_ZN4vllm25paged_attention_v1_kernelI14__hip_bfloat16hLi32ELi8ELi128ELNS_18Fp8KVCacheDataTypeE1ELb1EEEvPT_PKS3_PKT0_S9_ifPKiSB_iPKfiiiSD_SD_iiiii ; -- Begin function _ZN4vllm25paged_attention_v1_kernelI14__hip_bfloat16hLi32ELi8ELi128ELNS_18Fp8KVCacheDataTypeE1ELb1EEEvPT_PKS3_PKT0_S9_ifPKiSB_iPKfiiiSD_SD_iiiii
	.globl	_ZN4vllm25paged_attention_v1_kernelI14__hip_bfloat16hLi32ELi8ELi128ELNS_18Fp8KVCacheDataTypeE1ELb1EEEvPT_PKS3_PKT0_S9_ifPKiSB_iPKfiiiSD_SD_iiiii
	.p2align	8
	.type	_ZN4vllm25paged_attention_v1_kernelI14__hip_bfloat16hLi32ELi8ELi128ELNS_18Fp8KVCacheDataTypeE1ELb1EEEvPT_PKS3_PKT0_S9_ifPKiSB_iPKfiiiSD_SD_iiiii,@function
_ZN4vllm25paged_attention_v1_kernelI14__hip_bfloat16hLi32ELi8ELi128ELNS_18Fp8KVCacheDataTypeE1ELb1EEEvPT_PKS3_PKT0_S9_ifPKiSB_iPKfiiiSD_SD_iiiii: ; @_ZN4vllm25paged_attention_v1_kernelI14__hip_bfloat16hLi32ELi8ELi128ELNS_18Fp8KVCacheDataTypeE1ELb1EEEvPT_PKS3_PKT0_S9_ifPKiSB_iPKfiiiSD_SD_iiiii
; %bb.0:
	s_clause 0x2
	s_load_dword s9, s[4:5], 0x80
	s_load_dwordx2 s[0:1], s[4:5], 0x30
	s_load_dwordx2 s[34:35], s[4:5], 0x20
	s_mov_b32 s10, s7
	s_ashr_i32 s11, s7, 31
	s_mov_b32 s36, 0
	s_lshl_b64 s[2:3], s[10:11], 2
	s_waitcnt lgkmcnt(0)
	s_add_u32 s0, s0, s2
	s_addc_u32 s1, s1, s3
	s_abs_i32 s2, s34
	s_abs_i32 s11, s9
	v_cvt_f32_u32_e32 v1, s2
	s_sub_i32 s7, 0, s2
	v_rcp_iflag_f32_e32 v1, v1
	v_mul_f32_e32 v1, 0x4f7ffffe, v1
	v_cvt_u32_f32_e32 v1, v1
	v_readfirstlane_b32 s3, v1
	s_mul_i32 s7, s7, s3
	s_mul_hi_u32 s7, s3, s7
	s_add_i32 s3, s3, s7
	s_xor_b32 s7, s9, s34
	s_mul_hi_u32 s3, s11, s3
	s_ashr_i32 s7, s7, 31
	s_mul_i32 s12, s3, s2
	s_sub_i32 s11, s11, s12
	s_add_i32 s12, s3, 1
	s_sub_i32 s13, s11, s2
	s_cmp_ge_u32 s11, s2
	s_cselect_b32 s3, s12, s3
	s_cselect_b32 s11, s13, s11
	s_add_i32 s12, s3, 1
	s_cmp_ge_u32 s11, s2
	s_cselect_b32 s2, s12, s3
	s_abs_i32 s13, s6
	s_xor_b32 s2, s2, s7
	s_sub_i32 s15, s2, s7
	s_load_dwordx2 s[2:3], s[4:5], 0x40
	s_abs_i32 s12, s15
	v_cvt_f32_u32_e32 v1, s12
	s_sub_i32 s11, 0, s12
	v_rcp_iflag_f32_e32 v1, v1
	v_mul_f32_e32 v1, 0x4f7ffffe, v1
	v_cvt_u32_f32_e32 v1, v1
	v_readfirstlane_b32 s7, v1
	s_mul_i32 s11, s11, s7
	s_mul_hi_u32 s11, s7, s11
	s_add_i32 s7, s7, s11
	s_waitcnt lgkmcnt(0)
	s_cmp_eq_u64 s[2:3], 0
	s_mul_hi_u32 s14, s13, s7
	s_cbranch_scc1 .LBB304_2
; %bb.1:
	s_ashr_i32 s7, s6, 31
	s_lshl_b64 s[16:17], s[6:7], 2
	s_add_u32 s2, s2, s16
	s_addc_u32 s3, s3, s17
	s_load_dword s36, s[2:3], 0x0
.LBB304_2:
	s_load_dword s11, s[0:1], 0x0
	s_load_dwordx4 s[16:19], s[4:5], 0x48
	v_and_b32_e32 v1, 3, v0
	s_ashr_i32 s0, s6, 31
	s_ashr_i32 s1, s15, 31
	s_lshl_b32 s24, s6, 5
	s_mov_b32 s2, exec_lo
	v_cmpx_gt_u32_e32 16, v0
	s_cbranch_execz .LBB304_4
; %bb.3:
	s_load_dwordx2 s[20:21], s[4:5], 0x8
	s_waitcnt lgkmcnt(0)
	s_mul_i32 s22, s16, s10
	v_lshlrev_b32_e32 v2, 2, v0
	s_ashr_i32 s23, s22, 31
	v_and_b32_e32 v3, 0x3fc, v0
	s_lshl_b64 s[22:23], s[22:23], 1
	v_lshl_add_u32 v3, v1, 4, v3
	s_add_u32 s3, s20, s22
	s_addc_u32 s7, s21, s23
	s_ashr_i32 s25, s24, 31
	s_lshl_b64 s[20:21], s[24:25], 1
	s_add_u32 s20, s3, s20
	s_addc_u32 s21, s7, s21
	global_load_dword v2, v2, s[20:21]
	s_waitcnt vmcnt(0)
	ds_write_b32 v3, v2
.LBB304_4:
	s_or_b32 exec_lo, exec_lo, s2
	s_load_dwordx4 s[20:23], s[4:5], 0x68
	s_mul_i32 s2, s14, s12
	s_xor_b32 s1, s0, s1
	s_sub_i32 s0, s13, s2
	s_add_i32 s2, s14, 1
	s_sub_i32 s3, s0, s12
	s_cmp_ge_u32 s0, s12
	s_mov_b32 s13, -1
	s_cselect_b32 s2, s2, s14
	s_cselect_b32 s0, s3, s0
	s_add_i32 s3, s2, 1
	s_cmp_ge_u32 s0, s12
	s_load_dword s0, s[4:5], 0x78
	s_cselect_b32 s2, s3, s2
	s_waitcnt lgkmcnt(0)
	s_add_i32 s7, s11, -1
	s_xor_b32 s2, s2, s1
	s_abs_i32 s3, s7
	s_sub_i32 s1, s2, s1
	s_barrier
	s_abs_i32 s19, s23
	buffer_gl0_inv
	v_cvt_f32_u32_e32 v2, s19
	s_sub_i32 s2, 0, s19
                                        ; implicit-def: $sgpr33
	v_rcp_iflag_f32_e32 v2, v2
	v_mul_f32_e32 v2, 0x4f7ffffe, v2
	v_cvt_u32_f32_e32 v2, v2
	v_readfirstlane_b32 s25, v2
	s_mul_i32 s2, s2, s25
	s_mul_hi_u32 s2, s25, s2
	s_add_i32 s25, s25, s2
	s_cmp_lt_i32 s0, 0
	s_mul_hi_u32 s2, s3, s25
	s_cbranch_scc0 .LBB304_6
; %bb.5:
	s_mul_i32 s12, s20, s34
	s_mov_b32 s13, 0
	s_add_i32 s12, s1, s12
	s_mul_i32 s12, s12, s0
	s_sub_i32 s33, 1, s12
.LBB304_6:
	s_load_dwordx2 s[26:27], s[4:5], 0x28
	s_ashr_i32 s12, s7, 31
	s_andn2_b32 vcc_lo, exec_lo, s13
	s_ashr_i32 s23, s23, 31
	s_cbranch_vccnz .LBB304_8
; %bb.7:
	s_mul_i32 s7, s9, s20
	s_add_i32 s6, s7, s6
	s_mul_i32 s0, s6, s0
	s_add_i32 s33, s0, 1
.LBB304_8:
	s_clause 0x2
	s_load_dword s0, s[4:5], 0x38
	s_load_dwordx2 s[6:7], s[4:5], 0x0
	s_load_dwordx2 s[30:31], s[4:5], 0x18
	s_xor_b32 s34, s12, s23
	s_mul_i32 s12, s2, s19
	s_add_i32 s20, s2, 1
	s_sub_i32 s3, s3, s12
	s_clause 0x1
	s_load_dword s16, s[4:5], 0x88
	s_load_dwordx4 s[12:15], s[4:5], 0x58
	v_lshrrev_b32_e32 v18, 5, v0
	v_mov_b32_e32 v16, 0xff7fffff
	v_lshrrev_b32_e32 v13, 3, v0
	v_mbcnt_lo_u32_b32 v14, -1, 0
	s_mul_i32 s18, s1, s18
	v_lshlrev_b32_e32 v19, 3, v18
	s_waitcnt lgkmcnt(0)
	s_mul_i32 s28, s0, s10
	s_sub_i32 s0, s3, s19
	s_ashr_i32 s29, s28, 31
	s_cmp_ge_u32 s3, s19
	s_cselect_b32 s2, s20, s2
	s_cselect_b32 s0, s0, s3
	s_add_i32 s3, s2, 1
	s_cmp_ge_u32 s0, s19
	s_cselect_b32 s0, s3, s2
	s_add_i32 s2, s11, 7
	s_ashr_i32 s3, s2, 31
	s_lshr_b32 s3, s3, 29
	s_add_i32 s2, s2, s3
	s_ashr_i32 s20, s2, 3
	s_xor_b32 s2, s0, s34
	v_cmp_gt_i32_e64 s0, s20, v18
	s_sub_i32 s34, s2, s34
	s_and_saveexec_b32 s37, s0
	s_cbranch_execz .LBB304_84
; %bb.9:
	s_load_dwordx2 s[2:3], s[4:5], 0x10
	s_sub_i32 s4, s34, s21
	s_ashr_i32 s1, s18, 31
	v_bfe_u32 v15, v0, 2, 3
	v_cmp_eq_u32_e32 vcc_lo, 0, v1
	v_lshlrev_b32_e32 v3, 1, v1
	v_lshlrev_b32_e32 v17, 4, v1
	v_and_b32_e32 v1, 0x7c, v13
	v_lshlrev_b32_e32 v4, 2, v15
	v_subrev_nc_u32_e32 v5, s11, v15
	v_lshlrev_b32_e32 v7, 4, v15
	v_mov_b32_e32 v6, 0
	v_lshlrev_b32_e32 v20, 3, v18
	v_lshl_or_b32 v4, v18, 5, v4
	v_add_nc_u32_e32 v24, 1, v5
	v_mov_b32_e32 v21, 0xff7fffff
	v_mov_b32_e32 v22, 0x80
	;; [unrolled: 1-line block ×3, first 2 shown]
	v_add_nc_u32_e32 v25, 0x60, v4
	v_mov_b32_e32 v16, 0xff7fffff
	s_waitcnt lgkmcnt(0)
	s_add_u32 s38, s2, s18
	s_addc_u32 s39, s3, s1
	s_abs_i32 s5, s22
	v_add_co_u32 v5, s38, s38, v7
	v_cvt_f32_u32_e32 v2, s5
	s_sub_i32 s2, 0, s5
	v_add_co_ci_u32_e64 v10, null, s39, 0, s38
	v_cmp_neq_f32_e64 s1, s36, 0
	v_rcp_iflag_f32_e32 v2, v2
	v_mov_b32_e32 v27, v18
	s_mov_b32 s38, 0
	s_mov_b32 s39, s17
	v_mul_f32_e32 v2, 0x4f7ffffe, v2
	v_cvt_u32_f32_e32 v2, v2
	v_mul_lo_u32 v4, s2, v2
	s_lshl_b64 s[2:3], s[28:29], 2
	s_add_u32 s2, s26, s2
	s_addc_u32 s3, s27, s3
	v_add_co_u32 v7, s2, s2, v1
	v_add_co_ci_u32_e64 v8, null, s3, 0, s2
	v_mul_hi_u32 v4, v2, v4
	v_add_co_u32 v9, s2, v5, v3
	v_add_co_ci_u32_e64 v10, null, 0, v10, s2
	v_add_nc_u32_e32 v26, v2, v4
	s_branch .LBB304_12
.LBB304_10:                             ;   in Loop: Header=BB304_12 Depth=1
	s_or_b32 exec_lo, exec_lo, s40
.LBB304_11:                             ;   in Loop: Header=BB304_12 Depth=1
	s_or_b32 exec_lo, exec_lo, s3
	v_add_nc_u32_e32 v27, 4, v27
	v_add_co_u32 v7, s3, v7, 16
	v_add_co_ci_u32_e64 v8, null, 0, v8, s3
	v_cmp_le_i32_e64 s2, s20, v27
	v_add_nc_u32_e32 v20, 32, v20
	v_add_nc_u32_e32 v25, 0x80, v25
	s_or_b32 s38, s2, s38
	s_andn2_b32 exec_lo, exec_lo, s38
	s_cbranch_execz .LBB304_83
.LBB304_12:                             ; =>This Inner Loop Header: Depth=1
	v_mul_hi_u32 v1, v20, s25
	s_waitcnt lgkmcnt(0)
	v_mul_lo_u32 v2, v1, s19
	v_add_nc_u32_e32 v3, 1, v1
	v_sub_nc_u32_e32 v2, v20, v2
	v_subrev_nc_u32_e32 v4, s19, v2
	v_cmp_le_u32_e64 s2, s19, v2
	v_cndmask_b32_e64 v1, v1, v3, s2
	v_cndmask_b32_e64 v2, v2, v4, s2
	v_add_nc_u32_e32 v3, 1, v1
	v_cmp_le_u32_e64 s2, s19, v2
	v_cndmask_b32_e64 v1, v1, v3, s2
	v_xor_b32_e32 v1, s23, v1
	v_subrev_nc_u32_e32 v1, s23, v1
	v_add_nc_u32_e32 v2, s33, v1
	v_cmp_ge_i32_e64 s3, s4, v1
	v_sub_nc_u32_e32 v3, 0, v2
	v_max_i32_e32 v3, v2, v3
	v_ashrrev_i32_e32 v2, 31, v2
	v_mul_hi_u32 v4, v3, v26
	v_mul_lo_u32 v4, v4, s5
	v_sub_nc_u32_e32 v3, v3, v4
	v_subrev_nc_u32_e32 v4, s5, v3
	v_cmp_le_u32_e64 s2, s5, v3
	v_cndmask_b32_e64 v3, v3, v4, s2
	v_subrev_nc_u32_e32 v4, s5, v3
	v_cmp_le_u32_e64 s2, s5, v3
	v_cndmask_b32_e64 v3, v3, v4, s2
	v_xor_b32_e32 v3, v3, v2
	v_sub_nc_u32_e32 v2, v3, v2
	v_cmp_ne_u32_e64 s2, 0, v2
	s_and_b32 s2, s2, s3
	s_and_saveexec_b32 s3, s2
	s_xor_b32 s2, exec_lo, s3
	s_cbranch_execz .LBB304_16
; %bb.13:                               ;   in Loop: Header=BB304_12 Depth=1
	s_and_saveexec_b32 s3, vcc_lo
; %bb.14:                               ;   in Loop: Header=BB304_12 Depth=1
	ds_write_b32 v25, v21
; %bb.15:                               ;   in Loop: Header=BB304_12 Depth=1
	s_or_b32 exec_lo, exec_lo, s3
.LBB304_16:                             ;   in Loop: Header=BB304_12 Depth=1
	s_andn2_saveexec_b32 s3, s2
	s_cbranch_execz .LBB304_11
; %bb.17:                               ;   in Loop: Header=BB304_12 Depth=1
	global_load_dword v1, v[7:8], off
	s_load_dword s40, s[12:13], 0x0
	v_mov_b32_e32 v29, 0
	v_mov_b32_e32 v28, 0
	s_waitcnt vmcnt(0)
	v_mad_i64_i32 v[11:12], null, v1, s39, v[9:10]
	ds_read_b128 v[1:4], v17
	global_load_ushort v5, v[11:12], off
	s_waitcnt vmcnt(0)
	v_and_b32_e32 v30, 0xffff, v5
	v_cmp_ne_u16_sdwa s2, v5, v6 src0_sel:BYTE_0 src1_sel:DWORD
	s_and_saveexec_b32 s41, s2
	s_cbranch_execz .LBB304_25
; %bb.18:                               ;   in Loop: Header=BB304_12 Depth=1
	v_cmp_ne_u16_sdwa s2, v30, v22 src0_sel:BYTE_0 src1_sel:DWORD
	v_bfrev_b32_e32 v28, 1
	s_and_saveexec_b32 s42, s2
	s_cbranch_execz .LBB304_24
; %bb.19:                               ;   in Loop: Header=BB304_12 Depth=1
	v_and_b32_e32 v31, 0x7f, v30
	v_mov_b32_e32 v28, 0x7f800001
	s_mov_b32 s43, exec_lo
	v_cmpx_ne_u32_e32 0x7f, v31
	s_cbranch_execz .LBB304_23
; %bb.20:                               ;   in Loop: Header=BB304_12 Depth=1
	v_and_b32_e32 v5, 7, v30
	v_lshrrev_b32_e32 v28, 3, v31
	s_mov_b32 s44, exec_lo
	v_cmpx_gt_u32_e32 8, v31
; %bb.21:                               ;   in Loop: Header=BB304_12 Depth=1
	v_ffbh_u32_e32 v28, v5
	v_min_u32_e32 v28, 32, v28
	v_subrev_nc_u32_e32 v31, 28, v28
	v_sub_nc_u32_e32 v28, 29, v28
	v_lshlrev_b64 v[31:32], v31, v[5:6]
	v_and_b32_e32 v5, 7, v31
; %bb.22:                               ;   in Loop: Header=BB304_12 Depth=1
	s_or_b32 exec_lo, exec_lo, s44
	v_lshlrev_b32_e32 v31, 24, v30
	v_lshlrev_b32_e32 v5, 20, v5
	v_lshl_add_u32 v28, v28, 23, 0x3c000000
	v_and_b32_e32 v31, 0x80000000, v31
	v_or3_b32 v28, v5, v31, v28
.LBB304_23:                             ;   in Loop: Header=BB304_12 Depth=1
	s_or_b32 exec_lo, exec_lo, s43
.LBB304_24:                             ;   in Loop: Header=BB304_12 Depth=1
	s_or_b32 exec_lo, exec_lo, s42
.LBB304_25:                             ;   in Loop: Header=BB304_12 Depth=1
	s_or_b32 exec_lo, exec_lo, s41
	v_cmp_ne_u16_sdwa s2, v30, v6 src0_sel:BYTE_1 src1_sel:DWORD
	s_and_saveexec_b32 s41, s2
	s_cbranch_execz .LBB304_33
; %bb.26:                               ;   in Loop: Header=BB304_12 Depth=1
	v_cmp_ne_u16_sdwa s2, v30, v22 src0_sel:BYTE_1 src1_sel:DWORD
	v_bfrev_b32_e32 v29, 1
	s_and_saveexec_b32 s42, s2
	s_cbranch_execz .LBB304_32
; %bb.27:                               ;   in Loop: Header=BB304_12 Depth=1
	v_and_b32_sdwa v5, v23, v30 dst_sel:DWORD dst_unused:UNUSED_PAD src0_sel:DWORD src1_sel:BYTE_1
	v_mov_b32_e32 v29, 0x7f800001
	s_mov_b32 s43, exec_lo
	v_and_b32_e32 v31, 0x7f, v5
	v_cmpx_ne_u32_e32 0x7f, v31
	s_cbranch_execz .LBB304_31
; %bb.28:                               ;   in Loop: Header=BB304_12 Depth=1
	v_and_b32_e32 v5, 7, v5
	v_lshrrev_b32_e32 v29, 3, v31
	s_mov_b32 s44, exec_lo
	v_cmpx_gt_u32_e32 8, v31
; %bb.29:                               ;   in Loop: Header=BB304_12 Depth=1
	v_ffbh_u32_e32 v29, v5
	v_min_u32_e32 v29, 32, v29
	v_subrev_nc_u32_e32 v31, 28, v29
	v_sub_nc_u32_e32 v29, 29, v29
	v_lshlrev_b64 v[31:32], v31, v[5:6]
	v_and_b32_e32 v5, 7, v31
; %bb.30:                               ;   in Loop: Header=BB304_12 Depth=1
	s_or_b32 exec_lo, exec_lo, s44
	v_lshlrev_b32_e32 v30, 16, v30
	v_lshlrev_b32_e32 v5, 20, v5
	v_lshl_add_u32 v29, v29, 23, 0x3c000000
	v_and_b32_e32 v30, 0x80000000, v30
	v_or3_b32 v29, v5, v30, v29
.LBB304_31:                             ;   in Loop: Header=BB304_12 Depth=1
	s_or_b32 exec_lo, exec_lo, s43
.LBB304_32:                             ;   in Loop: Header=BB304_12 Depth=1
	s_or_b32 exec_lo, exec_lo, s42
.LBB304_33:                             ;   in Loop: Header=BB304_12 Depth=1
	s_or_b32 exec_lo, exec_lo, s41
	global_load_ushort v5, v[11:12], off offset:8
	v_mov_b32_e32 v31, 0
	v_mov_b32_e32 v30, 0
	s_waitcnt vmcnt(0)
	v_and_b32_e32 v32, 0xffff, v5
	v_cmp_ne_u16_sdwa s2, v5, v6 src0_sel:BYTE_0 src1_sel:DWORD
	s_and_saveexec_b32 s41, s2
	s_cbranch_execz .LBB304_41
; %bb.34:                               ;   in Loop: Header=BB304_12 Depth=1
	v_cmp_ne_u16_sdwa s2, v32, v22 src0_sel:BYTE_0 src1_sel:DWORD
	v_bfrev_b32_e32 v30, 1
	s_and_saveexec_b32 s42, s2
	s_cbranch_execz .LBB304_40
; %bb.35:                               ;   in Loop: Header=BB304_12 Depth=1
	v_and_b32_e32 v33, 0x7f, v32
	v_mov_b32_e32 v30, 0x7f800001
	s_mov_b32 s43, exec_lo
	v_cmpx_ne_u32_e32 0x7f, v33
	s_cbranch_execz .LBB304_39
; %bb.36:                               ;   in Loop: Header=BB304_12 Depth=1
	v_and_b32_e32 v5, 7, v32
	v_lshrrev_b32_e32 v30, 3, v33
	s_mov_b32 s44, exec_lo
	v_cmpx_gt_u32_e32 8, v33
; %bb.37:                               ;   in Loop: Header=BB304_12 Depth=1
	v_ffbh_u32_e32 v30, v5
	v_min_u32_e32 v30, 32, v30
	v_subrev_nc_u32_e32 v33, 28, v30
	v_sub_nc_u32_e32 v30, 29, v30
	v_lshlrev_b64 v[33:34], v33, v[5:6]
	v_and_b32_e32 v5, 7, v33
; %bb.38:                               ;   in Loop: Header=BB304_12 Depth=1
	s_or_b32 exec_lo, exec_lo, s44
	v_lshlrev_b32_e32 v33, 24, v32
	v_lshlrev_b32_e32 v5, 20, v5
	v_lshl_add_u32 v30, v30, 23, 0x3c000000
	v_and_b32_e32 v33, 0x80000000, v33
	v_or3_b32 v30, v5, v33, v30
.LBB304_39:                             ;   in Loop: Header=BB304_12 Depth=1
	s_or_b32 exec_lo, exec_lo, s43
.LBB304_40:                             ;   in Loop: Header=BB304_12 Depth=1
	s_or_b32 exec_lo, exec_lo, s42
.LBB304_41:                             ;   in Loop: Header=BB304_12 Depth=1
	s_or_b32 exec_lo, exec_lo, s41
	v_cmp_ne_u16_sdwa s2, v32, v6 src0_sel:BYTE_1 src1_sel:DWORD
	s_and_saveexec_b32 s41, s2
	s_cbranch_execz .LBB304_49
; %bb.42:                               ;   in Loop: Header=BB304_12 Depth=1
	v_cmp_ne_u16_sdwa s2, v32, v22 src0_sel:BYTE_1 src1_sel:DWORD
	v_bfrev_b32_e32 v31, 1
	s_and_saveexec_b32 s42, s2
	s_cbranch_execz .LBB304_48
; %bb.43:                               ;   in Loop: Header=BB304_12 Depth=1
	v_and_b32_sdwa v5, v23, v32 dst_sel:DWORD dst_unused:UNUSED_PAD src0_sel:DWORD src1_sel:BYTE_1
	v_mov_b32_e32 v31, 0x7f800001
	s_mov_b32 s43, exec_lo
	v_and_b32_e32 v33, 0x7f, v5
	v_cmpx_ne_u32_e32 0x7f, v33
	s_cbranch_execz .LBB304_47
; %bb.44:                               ;   in Loop: Header=BB304_12 Depth=1
	v_and_b32_e32 v5, 7, v5
	v_lshrrev_b32_e32 v31, 3, v33
	s_mov_b32 s44, exec_lo
	v_cmpx_gt_u32_e32 8, v33
; %bb.45:                               ;   in Loop: Header=BB304_12 Depth=1
	v_ffbh_u32_e32 v31, v5
	v_min_u32_e32 v31, 32, v31
	v_subrev_nc_u32_e32 v33, 28, v31
	v_sub_nc_u32_e32 v31, 29, v31
	v_lshlrev_b64 v[33:34], v33, v[5:6]
	v_and_b32_e32 v5, 7, v33
; %bb.46:                               ;   in Loop: Header=BB304_12 Depth=1
	s_or_b32 exec_lo, exec_lo, s44
	v_lshlrev_b32_e32 v32, 16, v32
	v_lshlrev_b32_e32 v5, 20, v5
	v_lshl_add_u32 v31, v31, 23, 0x3c000000
	v_and_b32_e32 v32, 0x80000000, v32
	v_or3_b32 v31, v5, v32, v31
.LBB304_47:                             ;   in Loop: Header=BB304_12 Depth=1
	s_or_b32 exec_lo, exec_lo, s43
.LBB304_48:                             ;   in Loop: Header=BB304_12 Depth=1
	s_or_b32 exec_lo, exec_lo, s42
.LBB304_49:                             ;   in Loop: Header=BB304_12 Depth=1
	s_or_b32 exec_lo, exec_lo, s41
	global_load_ushort v5, v[11:12], off offset:128
	v_mov_b32_e32 v33, 0
	v_mov_b32_e32 v32, 0
	s_waitcnt vmcnt(0)
	v_and_b32_e32 v34, 0xffff, v5
	v_cmp_ne_u16_sdwa s2, v5, v6 src0_sel:BYTE_0 src1_sel:DWORD
	s_and_saveexec_b32 s41, s2
	s_cbranch_execz .LBB304_57
; %bb.50:                               ;   in Loop: Header=BB304_12 Depth=1
	v_cmp_ne_u16_sdwa s2, v34, v22 src0_sel:BYTE_0 src1_sel:DWORD
	v_bfrev_b32_e32 v32, 1
	s_and_saveexec_b32 s42, s2
	s_cbranch_execz .LBB304_56
; %bb.51:                               ;   in Loop: Header=BB304_12 Depth=1
	v_and_b32_e32 v35, 0x7f, v34
	v_mov_b32_e32 v32, 0x7f800001
	s_mov_b32 s43, exec_lo
	v_cmpx_ne_u32_e32 0x7f, v35
	s_cbranch_execz .LBB304_55
; %bb.52:                               ;   in Loop: Header=BB304_12 Depth=1
	v_and_b32_e32 v5, 7, v34
	v_lshrrev_b32_e32 v32, 3, v35
	s_mov_b32 s44, exec_lo
	v_cmpx_gt_u32_e32 8, v35
; %bb.53:                               ;   in Loop: Header=BB304_12 Depth=1
	v_ffbh_u32_e32 v32, v5
	v_min_u32_e32 v32, 32, v32
	v_subrev_nc_u32_e32 v35, 28, v32
	v_sub_nc_u32_e32 v32, 29, v32
	v_lshlrev_b64 v[35:36], v35, v[5:6]
	v_and_b32_e32 v5, 7, v35
; %bb.54:                               ;   in Loop: Header=BB304_12 Depth=1
	s_or_b32 exec_lo, exec_lo, s44
	v_lshlrev_b32_e32 v35, 24, v34
	v_lshlrev_b32_e32 v5, 20, v5
	v_lshl_add_u32 v32, v32, 23, 0x3c000000
	v_and_b32_e32 v35, 0x80000000, v35
	v_or3_b32 v32, v5, v35, v32
.LBB304_55:                             ;   in Loop: Header=BB304_12 Depth=1
	s_or_b32 exec_lo, exec_lo, s43
.LBB304_56:                             ;   in Loop: Header=BB304_12 Depth=1
	s_or_b32 exec_lo, exec_lo, s42
.LBB304_57:                             ;   in Loop: Header=BB304_12 Depth=1
	s_or_b32 exec_lo, exec_lo, s41
	v_cmp_ne_u16_sdwa s2, v34, v6 src0_sel:BYTE_1 src1_sel:DWORD
	s_and_saveexec_b32 s41, s2
	s_cbranch_execz .LBB304_65
; %bb.58:                               ;   in Loop: Header=BB304_12 Depth=1
	v_cmp_ne_u16_sdwa s2, v34, v22 src0_sel:BYTE_1 src1_sel:DWORD
	v_bfrev_b32_e32 v33, 1
	s_and_saveexec_b32 s42, s2
	s_cbranch_execz .LBB304_64
; %bb.59:                               ;   in Loop: Header=BB304_12 Depth=1
	v_and_b32_sdwa v5, v23, v34 dst_sel:DWORD dst_unused:UNUSED_PAD src0_sel:DWORD src1_sel:BYTE_1
	v_mov_b32_e32 v33, 0x7f800001
	s_mov_b32 s43, exec_lo
	v_and_b32_e32 v35, 0x7f, v5
	v_cmpx_ne_u32_e32 0x7f, v35
	s_cbranch_execz .LBB304_63
; %bb.60:                               ;   in Loop: Header=BB304_12 Depth=1
	v_and_b32_e32 v5, 7, v5
	v_lshrrev_b32_e32 v33, 3, v35
	s_mov_b32 s44, exec_lo
	v_cmpx_gt_u32_e32 8, v35
; %bb.61:                               ;   in Loop: Header=BB304_12 Depth=1
	v_ffbh_u32_e32 v33, v5
	v_min_u32_e32 v33, 32, v33
	v_subrev_nc_u32_e32 v35, 28, v33
	v_sub_nc_u32_e32 v33, 29, v33
	v_lshlrev_b64 v[35:36], v35, v[5:6]
	v_and_b32_e32 v5, 7, v35
; %bb.62:                               ;   in Loop: Header=BB304_12 Depth=1
	s_or_b32 exec_lo, exec_lo, s44
	v_lshlrev_b32_e32 v34, 16, v34
	v_lshlrev_b32_e32 v5, 20, v5
	v_lshl_add_u32 v33, v33, 23, 0x3c000000
	v_and_b32_e32 v34, 0x80000000, v34
	v_or3_b32 v33, v5, v34, v33
.LBB304_63:                             ;   in Loop: Header=BB304_12 Depth=1
	s_or_b32 exec_lo, exec_lo, s43
.LBB304_64:                             ;   in Loop: Header=BB304_12 Depth=1
	s_or_b32 exec_lo, exec_lo, s42
.LBB304_65:                             ;   in Loop: Header=BB304_12 Depth=1
	s_or_b32 exec_lo, exec_lo, s41
	global_load_ushort v5, v[11:12], off offset:136
	v_mov_b32_e32 v11, 0
	v_mov_b32_e32 v34, 0
	s_waitcnt vmcnt(0)
	v_and_b32_e32 v12, 0xffff, v5
	v_cmp_ne_u16_sdwa s2, v5, v6 src0_sel:BYTE_0 src1_sel:DWORD
	s_and_saveexec_b32 s41, s2
	s_cbranch_execz .LBB304_73
; %bb.66:                               ;   in Loop: Header=BB304_12 Depth=1
	v_cmp_ne_u16_sdwa s2, v12, v22 src0_sel:BYTE_0 src1_sel:DWORD
	v_bfrev_b32_e32 v34, 1
	s_and_saveexec_b32 s42, s2
	s_cbranch_execz .LBB304_72
; %bb.67:                               ;   in Loop: Header=BB304_12 Depth=1
	v_and_b32_e32 v35, 0x7f, v12
	v_mov_b32_e32 v34, 0x7f800001
	s_mov_b32 s43, exec_lo
	v_cmpx_ne_u32_e32 0x7f, v35
	s_cbranch_execz .LBB304_71
; %bb.68:                               ;   in Loop: Header=BB304_12 Depth=1
	v_and_b32_e32 v5, 7, v12
	v_lshrrev_b32_e32 v34, 3, v35
	s_mov_b32 s44, exec_lo
	v_cmpx_gt_u32_e32 8, v35
; %bb.69:                               ;   in Loop: Header=BB304_12 Depth=1
	v_ffbh_u32_e32 v34, v5
	v_min_u32_e32 v34, 32, v34
	v_subrev_nc_u32_e32 v35, 28, v34
	v_sub_nc_u32_e32 v34, 29, v34
	v_lshlrev_b64 v[35:36], v35, v[5:6]
	v_and_b32_e32 v5, 7, v35
; %bb.70:                               ;   in Loop: Header=BB304_12 Depth=1
	s_or_b32 exec_lo, exec_lo, s44
	v_lshlrev_b32_e32 v35, 24, v12
	v_lshlrev_b32_e32 v5, 20, v5
	v_lshl_add_u32 v34, v34, 23, 0x3c000000
	v_and_b32_e32 v35, 0x80000000, v35
	v_or3_b32 v34, v5, v35, v34
.LBB304_71:                             ;   in Loop: Header=BB304_12 Depth=1
	s_or_b32 exec_lo, exec_lo, s43
.LBB304_72:                             ;   in Loop: Header=BB304_12 Depth=1
	s_or_b32 exec_lo, exec_lo, s42
.LBB304_73:                             ;   in Loop: Header=BB304_12 Depth=1
	s_or_b32 exec_lo, exec_lo, s41
	v_cmp_ne_u16_sdwa s2, v12, v6 src0_sel:BYTE_1 src1_sel:DWORD
	s_and_saveexec_b32 s41, s2
	s_cbranch_execz .LBB304_81
; %bb.74:                               ;   in Loop: Header=BB304_12 Depth=1
	v_cmp_ne_u16_sdwa s2, v12, v22 src0_sel:BYTE_1 src1_sel:DWORD
	v_bfrev_b32_e32 v11, 1
	s_and_saveexec_b32 s42, s2
	s_cbranch_execz .LBB304_80
; %bb.75:                               ;   in Loop: Header=BB304_12 Depth=1
	v_and_b32_sdwa v5, v23, v12 dst_sel:DWORD dst_unused:UNUSED_PAD src0_sel:DWORD src1_sel:BYTE_1
	v_mov_b32_e32 v11, 0x7f800001
	s_mov_b32 s43, exec_lo
	v_and_b32_e32 v35, 0x7f, v5
	v_cmpx_ne_u32_e32 0x7f, v35
	s_cbranch_execz .LBB304_79
; %bb.76:                               ;   in Loop: Header=BB304_12 Depth=1
	v_and_b32_e32 v5, 7, v5
	v_lshrrev_b32_e32 v11, 3, v35
	s_mov_b32 s44, exec_lo
	v_cmpx_gt_u32_e32 8, v35
; %bb.77:                               ;   in Loop: Header=BB304_12 Depth=1
	v_ffbh_u32_e32 v11, v5
	v_min_u32_e32 v11, 32, v11
	v_subrev_nc_u32_e32 v35, 28, v11
	v_sub_nc_u32_e32 v11, 29, v11
	v_lshlrev_b64 v[35:36], v35, v[5:6]
	v_and_b32_e32 v5, 7, v35
; %bb.78:                               ;   in Loop: Header=BB304_12 Depth=1
	s_or_b32 exec_lo, exec_lo, s44
	v_lshlrev_b32_e32 v12, 16, v12
	v_lshlrev_b32_e32 v5, 20, v5
	v_lshl_add_u32 v11, v11, 23, 0x3c000000
	v_and_b32_e32 v12, 0x80000000, v12
	v_or3_b32 v11, v5, v12, v11
.LBB304_79:                             ;   in Loop: Header=BB304_12 Depth=1
	s_or_b32 exec_lo, exec_lo, s43
.LBB304_80:                             ;   in Loop: Header=BB304_12 Depth=1
	s_or_b32 exec_lo, exec_lo, s42
.LBB304_81:                             ;   in Loop: Header=BB304_12 Depth=1
	s_or_b32 exec_lo, exec_lo, s41
	s_waitcnt lgkmcnt(0)
	v_mul_f32_e32 v5, s40, v34
	v_mul_f32_e32 v12, s40, v33
	;; [unrolled: 1-line block ×5, first 2 shown]
	v_bfe_u32 v33, v5, 16, 1
	v_or_b32_e32 v34, 0x400000, v5
	v_bfe_u32 v35, v12, 16, 1
	v_cmp_u_f32_e64 s2, v5, v5
	v_bfe_u32 v36, v32, 16, 1
	v_add3_u32 v33, v33, v5, 0x7fff
	v_or_b32_e32 v37, 0x400000, v12
	v_add3_u32 v35, v35, v12, 0x7fff
	v_or_b32_e32 v38, 0x400000, v32
	v_add3_u32 v36, v36, v32, 0x7fff
	v_cndmask_b32_e64 v5, v33, v34, s2
	v_cmp_u_f32_e64 s2, v12, v12
	v_bfe_u32 v33, v31, 16, 1
	v_mul_f32_e32 v29, s40, v29
	v_or_b32_e32 v34, 0x400000, v31
	v_mul_f32_e32 v28, s40, v28
	v_cndmask_b32_e64 v12, v35, v37, s2
	v_cmp_u_f32_e64 s2, v32, v32
	v_add3_u32 v33, v33, v31, 0x7fff
	v_bfe_u32 v35, v30, 16, 1
	v_or_b32_e32 v37, 0x400000, v29
	v_mul_f32_e32 v11, s40, v11
	v_cndmask_b32_e64 v32, v36, v38, s2
	v_cmp_u_f32_e64 s2, v31, v31
	v_bfe_u32 v36, v29, 16, 1
	v_or_b32_e32 v38, 0x400000, v28
	v_and_b32_e32 v12, 0xffff0000, v12
	v_cndmask_b32_e64 v31, v33, v34, s2
	v_add3_u32 v34, v35, v30, 0x7fff
	v_or_b32_e32 v35, 0x400000, v30
	v_cmp_u_f32_e64 s2, v30, v30
	v_bfe_u32 v33, v28, 16, 1
	v_add3_u32 v36, v36, v29, 0x7fff
	v_and_b32_e32 v31, 0xffff0000, v31
	v_cndmask_b32_e64 v30, v34, v35, s2
	v_cmp_u_f32_e64 s2, v29, v29
	v_add3_u32 v33, v33, v28, 0x7fff
	v_lshlrev_b32_e32 v34, 16, v2
	v_and_b32_e32 v2, 0xffff0000, v2
	v_and_b32_e32 v30, 0xffff0000, v30
	v_cndmask_b32_e64 v29, v36, v37, s2
	v_cmp_u_f32_e64 s2, v28, v28
	v_lshlrev_b32_e32 v35, 16, v3
	v_mul_f32_e32 v2, v2, v31
	v_mul_f32_e32 v30, v34, v30
	v_and_b32_e32 v29, 0xffff0000, v29
	v_cndmask_b32_e64 v28, v33, v38, s2
	v_bfe_u32 v38, v11, 16, 1
	v_lshlrev_b32_e32 v33, 16, v1
	v_and_b32_e32 v1, 0xffff0000, v1
	v_or_b32_e32 v34, 0x400000, v11
	v_and_b32_e32 v28, 0xffff0000, v28
	v_add3_u32 v31, v38, v11, 0x7fff
	v_cmp_u_f32_e64 s2, v11, v11
	v_xor_b32_e32 v37, 2, v14
	v_and_b32_e32 v3, 0xffff0000, v3
	v_fmac_f32_e32 v30, v33, v28
	v_fmac_f32_e32 v2, v1, v29
	v_and_b32_e32 v1, 0xffff0000, v32
	v_cndmask_b32_e64 v11, v31, v34, s2
	v_lshlrev_b32_e32 v36, 16, v4
	v_and_b32_e32 v4, 0xffff0000, v4
	v_fmac_f32_e32 v2, v3, v12
	v_fmac_f32_e32 v30, v35, v1
	v_and_b32_e32 v1, 0xffff0000, v5
	v_and_b32_e32 v3, 0xffff0000, v11
	v_cmp_gt_i32_e64 s2, 32, v37
	v_fmac_f32_e32 v30, v36, v1
	v_fmac_f32_e32 v2, v4, v3
	v_cndmask_b32_e64 v5, v14, v37, s2
	v_xor_b32_e32 v3, 1, v14
	v_add_f32_e32 v2, v30, v2
	v_lshlrev_b32_e32 v1, 2, v5
	v_cmp_gt_i32_e64 s2, 32, v3
	ds_bpermute_b32 v1, v1, v2
	v_cndmask_b32_e64 v3, v14, v3, s2
	v_lshlrev_b32_e32 v3, 2, v3
	s_waitcnt lgkmcnt(0)
	v_add_f32_e32 v1, v2, v1
	ds_bpermute_b32 v2, v3, v1
	s_and_saveexec_b32 s40, vcc_lo
	s_cbranch_execz .LBB304_10
; %bb.82:                               ;   in Loop: Header=BB304_12 Depth=1
	v_add_nc_u32_e32 v3, v24, v20
	s_waitcnt lgkmcnt(0)
	v_add_f32_e32 v1, v1, v2
	v_cvt_f32_i32_e32 v3, v3
	v_mul_f32_e32 v3, s36, v3
	v_cndmask_b32_e64 v2, 0, v3, s1
	v_max_f32_e32 v3, v16, v16
	v_fmac_f32_e32 v2, s35, v1
	v_add_nc_u32_e32 v1, v15, v20
	v_max_f32_e32 v3, v3, v2
	v_cmp_gt_i32_e64 s2, s11, v1
	v_cndmask_b32_e64 v1, 0, v2, s2
	v_cndmask_b32_e64 v16, v16, v3, s2
	ds_write_b32 v25, v1
	s_branch .LBB304_10
.LBB304_83:
	s_or_b32 exec_lo, exec_lo, s38
.LBB304_84:
	s_or_b32 exec_lo, exec_lo, s37
	v_xor_b32_e32 v1, 16, v14
	v_xor_b32_e32 v3, 8, v14
	v_max_f32_e32 v4, v16, v16
	v_xor_b32_e32 v5, 4, v14
	v_and_b32_e32 v20, 31, v0
	v_cmp_gt_i32_e32 vcc_lo, 32, v1
	v_cndmask_b32_e32 v1, v14, v1, vcc_lo
	v_cmp_gt_i32_e32 vcc_lo, 32, v3
	s_waitcnt lgkmcnt(0)
	v_lshlrev_b32_e32 v2, 2, v1
	v_cndmask_b32_e32 v3, v14, v3, vcc_lo
	v_cmp_gt_i32_e32 vcc_lo, 32, v5
	ds_bpermute_b32 v1, v2, v16
	v_lshlrev_b32_e32 v3, 2, v3
	v_cndmask_b32_e32 v5, v14, v5, vcc_lo
	v_cmp_eq_u32_e32 vcc_lo, 0, v20
	v_lshlrev_b32_e32 v6, 2, v5
	s_waitcnt lgkmcnt(0)
	v_max_f32_e32 v1, v1, v1
	v_max_f32_e32 v1, v4, v1
	ds_bpermute_b32 v4, v3, v1
	s_waitcnt lgkmcnt(0)
	v_max_f32_e32 v4, v4, v4
	v_max_f32_e32 v1, v1, v4
	v_lshlrev_b32_e32 v4, 2, v18
	ds_bpermute_b32 v5, v6, v1
	s_and_saveexec_b32 s1, vcc_lo
	s_cbranch_execz .LBB304_86
; %bb.85:
	s_waitcnt lgkmcnt(0)
	v_max_f32_e32 v5, v5, v5
	v_max_f32_e32 v1, v1, v1
	;; [unrolled: 1-line block ×3, first 2 shown]
	ds_write_b32 v4, v1 offset:64
.LBB304_86:
	s_or_b32 exec_lo, exec_lo, s1
	v_cmp_gt_u32_e64 s1, 4, v20
	v_mov_b32_e32 v1, 0xff7fffff
	s_waitcnt lgkmcnt(0)
	v_lshlrev_b32_e32 v5, 2, v20
	s_barrier
	buffer_gl0_inv
	s_and_saveexec_b32 s2, s1
; %bb.87:
	ds_read_b32 v1, v5 offset:64
; %bb.88:
	s_or_b32 exec_lo, exec_lo, s2
	v_xor_b32_e32 v7, 2, v14
	v_xor_b32_e32 v9, 1, v14
	v_cmp_gt_i32_e64 s2, 32, v7
	v_cndmask_b32_e64 v7, v14, v7, s2
	v_cmp_gt_i32_e64 s2, 32, v9
	v_lshlrev_b32_e32 v7, 2, v7
	v_cndmask_b32_e64 v9, v14, v9, s2
	s_lshl_b32 s2, s20, 3
	s_min_i32 s4, s2, s11
	s_waitcnt lgkmcnt(0)
	ds_bpermute_b32 v8, v7, v1
	v_max_f32_e32 v1, v1, v1
	v_cmp_gt_i32_e64 s2, s4, v0
	s_waitcnt lgkmcnt(0)
	v_max_f32_e32 v10, v8, v8
	v_lshlrev_b32_e32 v8, 2, v9
	v_max_f32_e32 v1, v1, v10
	ds_bpermute_b32 v9, v8, v1
	s_waitcnt lgkmcnt(0)
	v_max_f32_e32 v9, v9, v9
	v_max_f32_e32 v1, v1, v9
	v_mov_b32_e32 v9, 0
	ds_bpermute_b32 v10, v9, v1
	v_lshl_add_u32 v1, v0, 2, 0x60
	s_and_saveexec_b32 s5, s2
	s_cbranch_execz .LBB304_92
; %bb.89:
	v_lshl_add_u32 v11, v0, 2, 0x60
	v_mov_b32_e32 v9, 0
	v_mov_b32_e32 v12, v0
	s_mov_b32 s12, 0
	.p2align	6
.LBB304_90:                             ; =>This Inner Loop Header: Depth=1
	ds_read_b32 v14, v11
	v_add_nc_u32_e32 v12, 0x80, v12
	v_cmp_le_i32_e64 s3, s4, v12
	s_or_b32 s12, s3, s12
	s_waitcnt lgkmcnt(0)
	v_sub_f32_e32 v14, v14, v10
	v_mul_f32_e32 v14, 0x3fb8aa3b, v14
	v_exp_f32_e32 v14, v14
	ds_write_b32 v11, v14
	v_add_f32_e32 v9, v9, v14
	v_add_nc_u32_e32 v11, 0x200, v11
	s_andn2_b32 exec_lo, exec_lo, s12
	s_cbranch_execnz .LBB304_90
; %bb.91:
	s_or_b32 exec_lo, exec_lo, s12
.LBB304_92:
	s_or_b32 exec_lo, exec_lo, s5
	ds_bpermute_b32 v2, v2, v9
	s_waitcnt lgkmcnt(0)
	v_add_f32_e32 v2, v9, v2
	ds_bpermute_b32 v3, v3, v2
	s_waitcnt lgkmcnt(0)
	v_add_f32_e32 v2, v2, v3
	;; [unrolled: 3-line block ×5, first 2 shown]
	s_and_saveexec_b32 s3, vcc_lo
; %bb.93:
	ds_write_b32 v4, v2 offset:80
; %bb.94:
	s_or_b32 exec_lo, exec_lo, s3
	s_waitcnt lgkmcnt(0)
	s_barrier
	buffer_gl0_inv
	s_and_saveexec_b32 s3, s1
; %bb.95:
	ds_read_b32 v2, v5 offset:80
; %bb.96:
	s_or_b32 exec_lo, exec_lo, s3
	s_waitcnt lgkmcnt(0)
	ds_bpermute_b32 v3, v7, v2
	s_waitcnt lgkmcnt(0)
	v_add_f32_e32 v2, v2, v3
	ds_bpermute_b32 v3, v8, v2
	s_waitcnt lgkmcnt(0)
	v_add_f32_e32 v2, v2, v3
	v_mov_b32_e32 v3, 0
	ds_bpermute_b32 v2, v3, v2
	s_and_saveexec_b32 s1, s2
	s_cbranch_execz .LBB304_99
; %bb.97:
	s_waitcnt lgkmcnt(0)
	v_add_f32_e32 v2, 0x358637bd, v2
	s_mov_b32 s2, 0
	v_div_scale_f32 v3, null, v2, v2, 1.0
	v_div_scale_f32 v6, vcc_lo, 1.0, v2, 1.0
	v_rcp_f32_e32 v4, v3
	v_fma_f32 v5, -v3, v4, 1.0
	v_fmac_f32_e32 v4, v5, v4
	v_mul_f32_e32 v5, v6, v4
	v_fma_f32 v7, -v3, v5, v6
	v_fmac_f32_e32 v5, v7, v4
	v_fma_f32 v3, -v3, v5, v6
	v_div_fmas_f32 v3, v3, v4, v5
	v_div_fixup_f32 v2, v3, v2, 1.0
	v_mov_b32_e32 v3, v0
.LBB304_98:                             ; =>This Inner Loop Header: Depth=1
	ds_read_b32 v4, v1
	v_add_nc_u32_e32 v3, 0x80, v3
	v_cmp_le_i32_e32 vcc_lo, s4, v3
	s_or_b32 s2, vcc_lo, s2
	s_waitcnt lgkmcnt(0)
	v_mul_f32_e32 v4, v2, v4
	ds_write_b32 v1, v4
	v_add_nc_u32_e32 v1, 0x200, v1
	s_andn2_b32 exec_lo, exec_lo, s2
	s_cbranch_execnz .LBB304_98
.LBB304_99:
	s_or_b32 exec_lo, exec_lo, s1
	v_mov_b32_e32 v21, 0
	s_waitcnt lgkmcnt(0)
	s_barrier
	buffer_gl0_inv
	s_and_saveexec_b32 s4, s0
	s_cbranch_execz .LBB304_171
; %bb.100:
	s_sub_i32 s5, s34, s21
	s_ashr_i32 s0, s18, 31
	s_add_u32 s2, s30, s18
	s_addc_u32 s3, s31, s0
	s_abs_i32 s12, s22
	v_lshlrev_b32_e32 v2, 3, v20
	v_cvt_f32_u32_e32 v1, s12
	s_sub_i32 s0, 0, s12
	v_and_b32_e32 v3, 0x7c, v13
	s_mov_b32 s13, s17
	s_add_i32 s17, s20, -1
	v_rcp_iflag_f32_e32 v1, v1
	v_add_co_u32 v11, s2, s2, v2
	v_mov_b32_e32 v10, 0
	v_lshl_add_u32 v22, v18, 5, 0x60
	v_mov_b32_e32 v23, 0x7f
	v_mov_b32_e32 v24, 0x80
	v_mov_b32_e32 v25, 0xffff
	v_mov_b32_e32 v26, 24
	v_bfrev_b32_e32 v27, 1
	v_mul_f32_e32 v1, 0x4f7ffffe, v1
	v_mov_b32_e32 v28, v18
	v_add_co_ci_u32_e64 v12, null, s3, 0, s2
	v_mov_b32_e32 v21, 0
	v_cvt_u32_f32_e32 v1, v1
	s_mov_b32 s2, 0
	s_mov_b32 s3, 0x1000000
	;; [unrolled: 1-line block ×3, first 2 shown]
	v_mul_lo_u32 v4, s0, v1
	s_lshl_b64 s[0:1], s[28:29], 2
	s_add_u32 s0, s26, s0
	s_addc_u32 s1, s27, s1
	v_add_co_u32 v13, s0, s0, v3
	v_add_co_ci_u32_e64 v14, null, s1, 0, s0
	v_mul_hi_u32 v4, v1, v4
	v_add_nc_u32_e32 v29, v1, v4
	s_branch .LBB304_103
.LBB304_101:                            ;   in Loop: Header=BB304_103 Depth=1
	s_or_b32 exec_lo, exec_lo, s0
	v_bfe_u32 v34, v5, 16, 1
	v_or_b32_e32 v35, 0x400000, v5
	v_bfe_u32 v36, v6, 16, 1
	v_cmp_u_f32_e32 vcc_lo, v5, v5
	v_bfe_u32 v37, v7, 16, 1
	v_add3_u32 v34, v34, v5, 0x7fff
	v_or_b32_e32 v38, 0x400000, v6
	v_add3_u32 v36, v36, v6, 0x7fff
	v_or_b32_e32 v39, 0x400000, v7
	v_add3_u32 v37, v37, v7, 0x7fff
	v_cndmask_b32_e32 v5, v34, v35, vcc_lo
	v_cmp_u_f32_e32 vcc_lo, v6, v6
	v_bfe_u32 v34, v8, 16, 1
	v_bfe_u32 v35, v1, 16, 1
	v_lshlrev_b32_e32 v33, 16, v33
	v_and_b32_e32 v5, 0xffff0000, v5
	v_cndmask_b32_e32 v6, v36, v38, vcc_lo
	v_cmp_u_f32_e32 vcc_lo, v7, v7
	v_add3_u32 v34, v34, v8, 0x7fff
	v_or_b32_e32 v36, 0x400000, v8
	v_add3_u32 v35, v35, v1, 0x7fff
	v_bfe_u32 v38, v2, 16, 1
	v_cndmask_b32_e32 v7, v37, v39, vcc_lo
	v_cmp_u_f32_e32 vcc_lo, v8, v8
	v_or_b32_e32 v37, 0x400000, v1
	v_mul_f32_e32 v5, v5, v33
	v_and_b32_e32 v6, 0xffff0000, v6
	v_lshlrev_b32_e32 v32, 16, v32
	v_cndmask_b32_e32 v8, v34, v36, vcc_lo
	v_cmp_u_f32_e32 vcc_lo, v1, v1
	v_add3_u32 v34, v38, v2, 0x7fff
	v_bfe_u32 v36, v3, 16, 1
	v_mul_f32_e32 v6, v6, v32
	v_and_b32_e32 v7, 0xffff0000, v7
	v_cndmask_b32_e32 v1, v35, v37, vcc_lo
	v_or_b32_e32 v35, 0x400000, v2
	v_cmp_u_f32_e32 vcc_lo, v2, v2
	v_lshlrev_b32_e32 v31, 16, v31
	v_and_b32_e32 v8, 0xffff0000, v8
	v_lshlrev_b32_e32 v16, 16, v16
	v_and_b32_e32 v1, 0xffff0000, v1
	v_cndmask_b32_e32 v2, v34, v35, vcc_lo
	v_add3_u32 v34, v36, v3, 0x7fff
	v_or_b32_e32 v35, 0x400000, v3
	v_bfe_u32 v36, v4, 16, 1
	v_cmp_u_f32_e32 vcc_lo, v3, v3
	v_mul_f32_e32 v7, v7, v31
	v_mul_f32_e32 v8, v8, v16
	v_lshlrev_b32_e32 v15, 16, v15
	v_add3_u32 v33, v36, v4, 0x7fff
	v_cndmask_b32_e32 v3, v34, v35, vcc_lo
	v_or_b32_e32 v34, 0x400000, v4
	v_bfe_u32 v35, v5, 16, 1
	v_cmp_u_f32_e32 vcc_lo, v4, v4
	v_mul_f32_e32 v1, v1, v15
	v_and_b32_e32 v2, 0xffff0000, v2
	v_lshlrev_b32_e32 v9, 16, v9
	v_add3_u32 v32, v35, v5, 0x7fff
	v_cndmask_b32_e32 v4, v33, v34, vcc_lo
	v_or_b32_e32 v33, 0x400000, v5
	v_bfe_u32 v34, v6, 16, 1
	v_cmp_u_f32_e32 vcc_lo, v5, v5
	v_mul_f32_e32 v2, v2, v9
	v_and_b32_e32 v3, 0xffff0000, v3
	v_lshlrev_b32_e32 v9, 16, v30
	v_add3_u32 v31, v34, v6, 0x7fff
	v_cndmask_b32_e32 v5, v32, v33, vcc_lo
	v_or_b32_e32 v32, 0x400000, v6
	v_bfe_u32 v33, v7, 16, 1
	v_cmp_u_f32_e32 vcc_lo, v6, v6
	v_and_b32_e32 v4, 0xffff0000, v4
	v_lshlrev_b32_e32 v17, 16, v17
	v_mul_f32_e32 v3, v3, v9
	v_add3_u32 v16, v33, v7, 0x7fff
	v_cndmask_b32_e32 v6, v31, v32, vcc_lo
	v_or_b32_e32 v31, 0x400000, v7
	v_bfe_u32 v32, v8, 16, 1
	v_cmp_u_f32_e32 vcc_lo, v7, v7
	v_mul_f32_e32 v4, v4, v17
	v_or_b32_e32 v9, 0x400000, v1
	v_or_b32_e32 v17, 0x400000, v2
	v_add3_u32 v15, v32, v8, 0x7fff
	v_cndmask_b32_e32 v7, v16, v31, vcc_lo
	v_or_b32_e32 v16, 0x400000, v8
	v_bfe_u32 v31, v1, 16, 1
	v_cmp_u_f32_e32 vcc_lo, v8, v8
	v_bfe_u32 v30, v3, 16, 1
	v_and_b32_e32 v6, 0xffff0000, v6
	v_and_b32_e32 v5, 0xffff0000, v5
	;; [unrolled: 1-line block ×3, first 2 shown]
	v_cndmask_b32_e32 v8, v15, v16, vcc_lo
	v_bfe_u32 v15, v2, 16, 1
	v_add3_u32 v16, v31, v1, 0x7fff
	v_cmp_u_f32_e32 vcc_lo, v1, v1
	v_bfe_u32 v31, v4, 16, 1
	v_and_b32_e32 v8, 0xffff0000, v8
	v_add3_u32 v15, v15, v2, 0x7fff
	v_add_f32_e32 v5, v5, v6
	v_cndmask_b32_e32 v1, v16, v9, vcc_lo
	v_cmp_u_f32_e32 vcc_lo, v2, v2
	v_or_b32_e32 v16, 0x400000, v4
	v_add3_u32 v9, v30, v3, 0x7fff
	v_add_f32_e32 v6, v7, v8
	v_and_b32_e32 v1, 0xffff0000, v1
	v_cndmask_b32_e32 v2, v15, v17, vcc_lo
	v_add3_u32 v15, v31, v4, 0x7fff
	v_cmp_u_f32_e32 vcc_lo, v4, v4
	v_or_b32_e32 v17, 0x400000, v3
	v_add_f32_e32 v5, v6, v5
	v_and_b32_e32 v2, 0xffff0000, v2
	v_cndmask_b32_e32 v4, v15, v16, vcc_lo
	v_cmp_u_f32_e32 vcc_lo, v3, v3
	v_add_f32_e32 v1, v1, v2
	v_and_b32_e32 v2, 0xffff0000, v4
	v_cndmask_b32_e32 v3, v9, v17, vcc_lo
	v_add_f32_e32 v1, v1, v5
	v_and_b32_e32 v3, 0xffff0000, v3
	v_add_f32_e32 v2, v3, v2
	v_add_f32_e32 v1, v2, v1
	;; [unrolled: 1-line block ×3, first 2 shown]
.LBB304_102:                            ;   in Loop: Header=BB304_103 Depth=1
	s_or_b32 exec_lo, exec_lo, s21
	v_add_nc_u32_e32 v28, 4, v28
	v_add_co_u32 v13, s0, v13, 16
	v_add_co_ci_u32_e64 v14, null, 0, v14, s0
	v_cmp_le_i32_e32 vcc_lo, s20, v28
	v_add_nc_u32_e32 v19, 32, v19
	v_add_nc_u32_e32 v22, 0x80, v22
	s_or_b32 s18, vcc_lo, s18
	s_andn2_b32 exec_lo, exec_lo, s18
	s_cbranch_execz .LBB304_170
.LBB304_103:                            ; =>This Inner Loop Header: Depth=1
	v_mul_hi_u32 v1, v19, s25
	v_mul_lo_u32 v2, v1, s19
	v_add_nc_u32_e32 v3, 1, v1
	v_sub_nc_u32_e32 v2, v19, v2
	v_subrev_nc_u32_e32 v4, s19, v2
	v_cmp_le_u32_e32 vcc_lo, s19, v2
	v_cndmask_b32_e32 v1, v1, v3, vcc_lo
	v_cndmask_b32_e32 v2, v2, v4, vcc_lo
	v_add_nc_u32_e32 v3, 1, v1
	v_cmp_le_u32_e32 vcc_lo, s19, v2
	v_cndmask_b32_e32 v1, v1, v3, vcc_lo
	v_xor_b32_e32 v1, s23, v1
	v_subrev_nc_u32_e32 v1, s23, v1
	v_add_nc_u32_e32 v2, s33, v1
	v_cmp_lt_i32_e64 s0, s5, v1
	v_sub_nc_u32_e32 v3, 0, v2
	v_max_i32_e32 v3, v2, v3
	v_ashrrev_i32_e32 v2, 31, v2
	v_mul_hi_u32 v4, v3, v29
	v_mul_lo_u32 v4, v4, s12
	v_sub_nc_u32_e32 v3, v3, v4
	v_subrev_nc_u32_e32 v4, s12, v3
	v_cmp_le_u32_e32 vcc_lo, s12, v3
	v_cndmask_b32_e32 v3, v3, v4, vcc_lo
	v_subrev_nc_u32_e32 v4, s12, v3
	v_cmp_le_u32_e32 vcc_lo, s12, v3
	v_cndmask_b32_e32 v3, v3, v4, vcc_lo
	v_xor_b32_e32 v3, v3, v2
	v_sub_nc_u32_e32 v2, v3, v2
	v_cmp_eq_u32_e32 vcc_lo, 0, v2
	s_or_b32 s0, vcc_lo, s0
	s_and_saveexec_b32 s21, s0
	s_cbranch_execz .LBB304_102
; %bb.104:                              ;   in Loop: Header=BB304_103 Depth=1
	global_load_dword v1, v[13:14], off
	s_mov_b32 s1, 0
	s_waitcnt vmcnt(0)
	v_mad_i64_i32 v[1:2], null, v1, s13, v[11:12]
	global_load_dwordx2 v[15:16], v[1:2], off
	ds_read2_b64 v[5:8], v22 offset1:1
	ds_read2_b64 v[1:4], v22 offset0:2 offset1:3
	s_load_dword s22, s[14:15], 0x0
	s_waitcnt vmcnt(0)
	v_cmp_gt_i16_sdwa s0, v15, v23 src0_sel:BYTE_0 src1_sel:DWORD
	s_and_saveexec_b32 s26, s0
	s_xor_b32 s0, exec_lo, s26
	s_cbranch_execnz .LBB304_107
; %bb.105:                              ;   in Loop: Header=BB304_103 Depth=1
	s_or_saveexec_b32 s0, s0
	v_bfrev_b32_e32 v30, 1
	s_xor_b32 exec_lo, exec_lo, s0
	s_cbranch_execnz .LBB304_110
.LBB304_106:                            ;   in Loop: Header=BB304_103 Depth=1
	s_or_b32 exec_lo, exec_lo, s0
	s_and_saveexec_b32 s0, s1
	s_cbranch_execnz .LBB304_111
	s_branch .LBB304_114
.LBB304_107:                            ;   in Loop: Header=BB304_103 Depth=1
	v_cmp_eq_u16_sdwa s27, v15, v24 src0_sel:BYTE_0 src1_sel:DWORD
	s_mov_b32 s1, -1
	s_and_saveexec_b32 s26, s27
; %bb.108:                              ;   in Loop: Header=BB304_103 Depth=1
	s_xor_b32 s1, exec_lo, -1
; %bb.109:                              ;   in Loop: Header=BB304_103 Depth=1
	s_or_b32 exec_lo, exec_lo, s26
	s_and_b32 s1, s1, exec_lo
	s_or_saveexec_b32 s0, s0
	v_bfrev_b32_e32 v30, 1
	s_xor_b32 exec_lo, exec_lo, s0
	s_cbranch_execz .LBB304_106
.LBB304_110:                            ;   in Loop: Header=BB304_103 Depth=1
	v_cmp_ne_u16_sdwa s26, v15, v10 src0_sel:BYTE_0 src1_sel:DWORD
	v_mov_b32_e32 v30, 0
	s_andn2_b32 s1, s1, exec_lo
	s_and_b32 s26, s26, exec_lo
	s_or_b32 s1, s1, s26
	s_or_b32 exec_lo, exec_lo, s0
	s_and_saveexec_b32 s0, s1
	s_cbranch_execz .LBB304_114
.LBB304_111:                            ;   in Loop: Header=BB304_103 Depth=1
	v_and_b32_e32 v9, 0x7f, v15
	v_mov_b32_e32 v30, 0x7f800001
	s_mov_b32 s1, exec_lo
	v_cmpx_ne_u32_e32 0x7f, v9
	s_cbranch_execz .LBB304_113
; %bb.112:                              ;   in Loop: Header=BB304_103 Depth=1
	v_and_b32_e32 v17, 7, v15
	v_lshrrev_b32_e32 v30, 3, v9
	v_cmp_gt_u32_e32 vcc_lo, 8, v9
	v_ffbh_u32_e32 v17, v17
	v_min_u32_e32 v17, 32, v17
	v_subrev_nc_u32_e32 v31, 28, v17
	v_sub_nc_u32_e32 v17, 29, v17
	v_cndmask_b32_e32 v9, v30, v17, vcc_lo
	v_cndmask_b32_e32 v17, 0, v31, vcc_lo
	v_lshl_add_u32 v9, v9, 23, 0x3c000000
	v_lshlrev_b64 v[30:31], v17, v[15:16]
	v_lshlrev_b32_e32 v17, 24, v15
	v_and_b32_e32 v17, 0x80000000, v17
	v_lshlrev_b32_e32 v30, 20, v30
	v_and_b32_e32 v30, 0x700000, v30
	v_or3_b32 v30, v30, v17, v9
.LBB304_113:                            ;   in Loop: Header=BB304_103 Depth=1
	s_or_b32 exec_lo, exec_lo, s1
.LBB304_114:                            ;   in Loop: Header=BB304_103 Depth=1
	s_or_b32 exec_lo, exec_lo, s0
	v_cmp_gt_i16_sdwa s0, v15, v23 src0_sel:BYTE_1 src1_sel:DWORD
	s_mov_b32 s1, 0
	s_and_saveexec_b32 s26, s0
	s_xor_b32 s0, exec_lo, s26
	s_cbranch_execnz .LBB304_117
; %bb.115:                              ;   in Loop: Header=BB304_103 Depth=1
	s_or_saveexec_b32 s0, s0
	v_bfrev_b32_e32 v31, 1
	s_xor_b32 exec_lo, exec_lo, s0
	s_cbranch_execnz .LBB304_120
.LBB304_116:                            ;   in Loop: Header=BB304_103 Depth=1
	s_or_b32 exec_lo, exec_lo, s0
	s_and_saveexec_b32 s0, s1
	s_cbranch_execnz .LBB304_121
	s_branch .LBB304_124
.LBB304_117:                            ;   in Loop: Header=BB304_103 Depth=1
	v_cmp_eq_u16_sdwa s27, v15, v24 src0_sel:BYTE_1 src1_sel:DWORD
	s_mov_b32 s1, -1
	s_and_saveexec_b32 s26, s27
; %bb.118:                              ;   in Loop: Header=BB304_103 Depth=1
	s_xor_b32 s1, exec_lo, -1
; %bb.119:                              ;   in Loop: Header=BB304_103 Depth=1
	s_or_b32 exec_lo, exec_lo, s26
	s_and_b32 s1, s1, exec_lo
	s_or_saveexec_b32 s0, s0
	v_bfrev_b32_e32 v31, 1
	s_xor_b32 exec_lo, exec_lo, s0
	s_cbranch_execz .LBB304_116
.LBB304_120:                            ;   in Loop: Header=BB304_103 Depth=1
	v_cmp_ne_u16_sdwa s26, v15, v10 src0_sel:BYTE_1 src1_sel:DWORD
	v_mov_b32_e32 v31, 0
	s_andn2_b32 s1, s1, exec_lo
	s_and_b32 s26, s26, exec_lo
	s_or_b32 s1, s1, s26
	s_or_b32 exec_lo, exec_lo, s0
	s_and_saveexec_b32 s0, s1
	s_cbranch_execz .LBB304_124
.LBB304_121:                            ;   in Loop: Header=BB304_103 Depth=1
	v_and_b32_sdwa v9, v25, v15 dst_sel:DWORD dst_unused:UNUSED_PAD src0_sel:DWORD src1_sel:BYTE_1
	v_mov_b32_e32 v31, 0x7f800001
	s_mov_b32 s1, exec_lo
	v_and_b32_e32 v17, 0x7f, v9
	v_cmpx_ne_u32_e32 0x7f, v17
	s_cbranch_execz .LBB304_123
; %bb.122:                              ;   in Loop: Header=BB304_103 Depth=1
	v_and_b32_e32 v33, 7, v9
	v_cmp_gt_u32_e32 vcc_lo, 8, v17
	v_ffbh_u32_e32 v31, v33
	v_min_u32_e32 v34, 32, v31
	v_subrev_nc_u32_e32 v31, 28, v34
	v_lshlrev_b64 v[31:32], v31, v[9:10]
	v_lshrrev_b32_e32 v9, 3, v17
	v_sub_nc_u32_e32 v32, 29, v34
	v_and_b32_e32 v17, 7, v31
	v_lshlrev_b32_sdwa v31, v26, v15 dst_sel:DWORD dst_unused:UNUSED_PAD src0_sel:DWORD src1_sel:BYTE_1
	v_cndmask_b32_e32 v9, v9, v32, vcc_lo
	v_cndmask_b32_e32 v17, v33, v17, vcc_lo
	v_and_b32_e32 v31, 0x80000000, v31
	v_lshl_add_u32 v9, v9, 23, 0x3c000000
	v_lshlrev_b32_e32 v17, 20, v17
	v_or3_b32 v31, v17, v31, v9
.LBB304_123:                            ;   in Loop: Header=BB304_103 Depth=1
	s_or_b32 exec_lo, exec_lo, s1
.LBB304_124:                            ;   in Loop: Header=BB304_103 Depth=1
	s_or_b32 exec_lo, exec_lo, s0
	v_lshrrev_b32_e32 v9, 16, v15
	s_mov_b32 s1, 0
	v_cmp_gt_i16_sdwa s0, v9, v23 src0_sel:BYTE_0 src1_sel:DWORD
	s_and_saveexec_b32 s26, s0
	s_xor_b32 s0, exec_lo, s26
	s_cbranch_execnz .LBB304_127
; %bb.125:                              ;   in Loop: Header=BB304_103 Depth=1
	s_or_saveexec_b32 s0, s0
	v_bfrev_b32_e32 v32, 1
	s_xor_b32 exec_lo, exec_lo, s0
	s_cbranch_execnz .LBB304_130
.LBB304_126:                            ;   in Loop: Header=BB304_103 Depth=1
	s_or_b32 exec_lo, exec_lo, s0
	s_and_saveexec_b32 s0, s1
	s_cbranch_execnz .LBB304_131
	s_branch .LBB304_134
.LBB304_127:                            ;   in Loop: Header=BB304_103 Depth=1
	v_cmp_eq_u16_sdwa s27, v9, v24 src0_sel:BYTE_0 src1_sel:DWORD
	s_mov_b32 s1, -1
	s_and_saveexec_b32 s26, s27
; %bb.128:                              ;   in Loop: Header=BB304_103 Depth=1
	s_xor_b32 s1, exec_lo, -1
; %bb.129:                              ;   in Loop: Header=BB304_103 Depth=1
	s_or_b32 exec_lo, exec_lo, s26
	s_and_b32 s1, s1, exec_lo
	s_or_saveexec_b32 s0, s0
	v_bfrev_b32_e32 v32, 1
	s_xor_b32 exec_lo, exec_lo, s0
	s_cbranch_execz .LBB304_126
.LBB304_130:                            ;   in Loop: Header=BB304_103 Depth=1
	v_cmp_ne_u16_sdwa s26, v9, v10 src0_sel:BYTE_0 src1_sel:DWORD
	v_mov_b32_e32 v32, 0
	s_andn2_b32 s1, s1, exec_lo
	s_and_b32 s26, s26, exec_lo
	s_or_b32 s1, s1, s26
	s_or_b32 exec_lo, exec_lo, s0
	s_and_saveexec_b32 s0, s1
	s_cbranch_execz .LBB304_134
.LBB304_131:                            ;   in Loop: Header=BB304_103 Depth=1
	v_and_b32_e32 v17, 0x7f, v9
	v_mov_b32_e32 v32, 0x7f800001
	s_mov_b32 s1, exec_lo
	v_cmpx_ne_u32_e32 0x7f, v17
	s_cbranch_execz .LBB304_133
; %bb.132:                              ;   in Loop: Header=BB304_103 Depth=1
	v_and_b32_e32 v34, 7, v9
	v_cmp_gt_u32_e32 vcc_lo, 8, v17
	v_ffbh_u32_e32 v32, v34
	v_min_u32_e32 v35, 32, v32
	v_subrev_nc_u32_e32 v32, 28, v35
	v_sub_nc_u32_e32 v35, 29, v35
	v_lshlrev_b64 v[32:33], v32, v[9:10]
	v_lshrrev_b32_e32 v33, 3, v17
	v_lshlrev_b32_e32 v9, 24, v9
	v_and_b32_e32 v17, 7, v32
	v_cndmask_b32_e32 v32, v33, v35, vcc_lo
	v_and_b32_e32 v9, 0x80000000, v9
	v_cndmask_b32_e32 v17, v34, v17, vcc_lo
	v_lshl_add_u32 v32, v32, 23, 0x3c000000
	v_lshlrev_b32_e32 v17, 20, v17
	v_or3_b32 v32, v17, v9, v32
.LBB304_133:                            ;   in Loop: Header=BB304_103 Depth=1
	s_or_b32 exec_lo, exec_lo, s1
.LBB304_134:                            ;   in Loop: Header=BB304_103 Depth=1
	s_or_b32 exec_lo, exec_lo, s0
	v_lshrrev_b32_e32 v9, 24, v15
	v_bfe_u32 v17, v15, 24, 7
	v_cmp_gt_u32_e64 s1, 0x1000000, v15
	v_cmp_eq_u32_e32 vcc_lo, 0x80, v9
	v_cmp_eq_u32_e64 s0, 0x7f, v17
	v_cndmask_b32_e32 v33, 0x7f800001, v27, vcc_lo
	s_or_b32 s0, vcc_lo, s0
	v_cndmask_b32_e64 v33, v33, 0, s1
	s_nor_b32 s1, s1, s0
	s_and_saveexec_b32 s0, s1
	s_cbranch_execz .LBB304_136
; %bb.135:                              ;   in Loop: Header=BB304_103 Depth=1
	v_and_b32_e32 v35, 7, v9
	v_cmp_gt_u32_e32 vcc_lo, 8, v17
	v_ffbh_u32_e32 v33, v35
	v_min_u32_e32 v36, 32, v33
	v_subrev_nc_u32_e32 v33, 28, v36
	v_sub_nc_u32_e32 v36, 29, v36
	v_lshlrev_b64 v[33:34], v33, v[9:10]
	v_lshrrev_b32_e32 v34, 3, v17
	v_lshlrev_b32_e32 v9, 24, v9
	v_and_b32_e32 v17, 7, v33
	v_cndmask_b32_e32 v33, v34, v36, vcc_lo
	v_and_b32_e32 v9, 0x80000000, v9
	v_cndmask_b32_e32 v17, v35, v17, vcc_lo
	v_lshl_add_u32 v33, v33, 23, 0x3c000000
	v_lshlrev_b32_e32 v17, 20, v17
	v_or3_b32 v33, v17, v9, v33
.LBB304_136:                            ;   in Loop: Header=BB304_103 Depth=1
	s_or_b32 exec_lo, exec_lo, s0
	v_cmp_gt_i16_sdwa s0, v16, v23 src0_sel:BYTE_0 src1_sel:DWORD
	s_mov_b32 s1, 0
	s_and_saveexec_b32 s26, s0
	s_xor_b32 s0, exec_lo, s26
	s_cbranch_execnz .LBB304_139
; %bb.137:                              ;   in Loop: Header=BB304_103 Depth=1
	s_or_saveexec_b32 s0, s0
	v_bfrev_b32_e32 v34, 1
	s_xor_b32 exec_lo, exec_lo, s0
	s_cbranch_execnz .LBB304_142
.LBB304_138:                            ;   in Loop: Header=BB304_103 Depth=1
	s_or_b32 exec_lo, exec_lo, s0
	v_mov_b32_e32 v9, v16
	s_and_saveexec_b32 s0, s1
	s_cbranch_execnz .LBB304_143
	s_branch .LBB304_146
.LBB304_139:                            ;   in Loop: Header=BB304_103 Depth=1
	v_cmp_eq_u16_sdwa s27, v16, v24 src0_sel:BYTE_0 src1_sel:DWORD
	s_mov_b32 s1, -1
	s_and_saveexec_b32 s26, s27
; %bb.140:                              ;   in Loop: Header=BB304_103 Depth=1
	s_xor_b32 s1, exec_lo, -1
; %bb.141:                              ;   in Loop: Header=BB304_103 Depth=1
	s_or_b32 exec_lo, exec_lo, s26
	s_and_b32 s1, s1, exec_lo
	s_or_saveexec_b32 s0, s0
	v_bfrev_b32_e32 v34, 1
	s_xor_b32 exec_lo, exec_lo, s0
	s_cbranch_execz .LBB304_138
.LBB304_142:                            ;   in Loop: Header=BB304_103 Depth=1
	v_cmp_ne_u16_sdwa s26, v16, v10 src0_sel:BYTE_0 src1_sel:DWORD
	v_mov_b32_e32 v34, 0
	s_andn2_b32 s1, s1, exec_lo
	s_and_b32 s26, s26, exec_lo
	s_or_b32 s1, s1, s26
	s_or_b32 exec_lo, exec_lo, s0
	v_mov_b32_e32 v9, v16
	s_and_saveexec_b32 s0, s1
	s_cbranch_execz .LBB304_146
.LBB304_143:                            ;   in Loop: Header=BB304_103 Depth=1
	v_and_b32_e32 v17, 0x7f, v16
	v_mov_b32_e32 v34, 0x7f800001
	s_mov_b32 s1, exec_lo
	v_cmpx_ne_u32_e32 0x7f, v17
	s_cbranch_execz .LBB304_145
; %bb.144:                              ;   in Loop: Header=BB304_103 Depth=1
	v_and_b32_e32 v34, 7, v16
	v_lshrrev_b32_e32 v35, 3, v17
	v_cmp_gt_u32_e32 vcc_lo, 8, v17
	v_ffbh_u32_e32 v34, v34
	v_min_u32_e32 v34, 32, v34
	v_subrev_nc_u32_e32 v36, 28, v34
	v_sub_nc_u32_e32 v34, 29, v34
	v_cndmask_b32_e32 v17, v35, v34, vcc_lo
	v_cndmask_b32_e32 v34, 0, v36, vcc_lo
	v_lshl_add_u32 v17, v17, 23, 0x3c000000
	v_lshlrev_b64 v[34:35], v34, v[9:10]
	v_lshlrev_b32_e32 v35, 24, v9
	v_lshlrev_b32_e32 v34, 20, v34
	v_and_b32_e32 v35, 0x80000000, v35
	v_and_b32_e32 v34, 0x700000, v34
	v_or3_b32 v34, v34, v35, v17
.LBB304_145:                            ;   in Loop: Header=BB304_103 Depth=1
	s_or_b32 exec_lo, exec_lo, s1
.LBB304_146:                            ;   in Loop: Header=BB304_103 Depth=1
	s_or_b32 exec_lo, exec_lo, s0
	v_cmp_gt_i16_sdwa s0, v9, v23 src0_sel:BYTE_1 src1_sel:DWORD
	s_mov_b32 s1, 0
	s_and_saveexec_b32 s26, s0
	s_xor_b32 s0, exec_lo, s26
	s_cbranch_execnz .LBB304_149
; %bb.147:                              ;   in Loop: Header=BB304_103 Depth=1
	s_or_saveexec_b32 s0, s0
	v_bfrev_b32_e32 v35, 1
	s_xor_b32 exec_lo, exec_lo, s0
	s_cbranch_execnz .LBB304_152
.LBB304_148:                            ;   in Loop: Header=BB304_103 Depth=1
	s_or_b32 exec_lo, exec_lo, s0
	s_and_saveexec_b32 s0, s1
	s_cbranch_execnz .LBB304_153
	s_branch .LBB304_156
.LBB304_149:                            ;   in Loop: Header=BB304_103 Depth=1
	v_cmp_eq_u16_sdwa s27, v9, v24 src0_sel:BYTE_1 src1_sel:DWORD
	s_mov_b32 s1, -1
	s_and_saveexec_b32 s26, s27
; %bb.150:                              ;   in Loop: Header=BB304_103 Depth=1
	s_xor_b32 s1, exec_lo, -1
; %bb.151:                              ;   in Loop: Header=BB304_103 Depth=1
	s_or_b32 exec_lo, exec_lo, s26
	s_and_b32 s1, s1, exec_lo
	s_or_saveexec_b32 s0, s0
	v_bfrev_b32_e32 v35, 1
	s_xor_b32 exec_lo, exec_lo, s0
	s_cbranch_execz .LBB304_148
.LBB304_152:                            ;   in Loop: Header=BB304_103 Depth=1
	v_cmp_ne_u16_sdwa s26, v9, v10 src0_sel:BYTE_1 src1_sel:DWORD
	v_mov_b32_e32 v35, 0
	s_andn2_b32 s1, s1, exec_lo
	s_and_b32 s26, s26, exec_lo
	s_or_b32 s1, s1, s26
	s_or_b32 exec_lo, exec_lo, s0
	s_and_saveexec_b32 s0, s1
	s_cbranch_execz .LBB304_156
.LBB304_153:                            ;   in Loop: Header=BB304_103 Depth=1
	v_and_b32_sdwa v17, v25, v9 dst_sel:DWORD dst_unused:UNUSED_PAD src0_sel:DWORD src1_sel:BYTE_1
	v_mov_b32_e32 v35, 0x7f800001
	s_mov_b32 s1, exec_lo
	v_and_b32_e32 v36, 0x7f, v17
	v_cmpx_ne_u32_e32 0x7f, v36
	s_cbranch_execz .LBB304_155
; %bb.154:                              ;   in Loop: Header=BB304_103 Depth=1
	v_and_b32_e32 v35, 7, v17
	v_cmp_gt_u32_e32 vcc_lo, 8, v36
	v_lshlrev_b32_sdwa v9, v26, v9 dst_sel:DWORD dst_unused:UNUSED_PAD src0_sel:DWORD src1_sel:BYTE_1
	v_ffbh_u32_e32 v37, v35
	v_and_b32_e32 v9, 0x80000000, v9
	v_min_u32_e32 v39, 32, v37
	v_subrev_nc_u32_e32 v37, 28, v39
	v_lshlrev_b64 v[37:38], v37, v[17:18]
	v_lshrrev_b32_e32 v17, 3, v36
	v_sub_nc_u32_e32 v38, 29, v39
	v_and_b32_e32 v36, 7, v37
	v_cndmask_b32_e32 v17, v17, v38, vcc_lo
	v_cndmask_b32_e32 v35, v35, v36, vcc_lo
	v_lshl_add_u32 v17, v17, 23, 0x3c000000
	v_lshlrev_b32_e32 v35, 20, v35
	v_or3_b32 v35, v35, v9, v17
.LBB304_155:                            ;   in Loop: Header=BB304_103 Depth=1
	s_or_b32 exec_lo, exec_lo, s1
.LBB304_156:                            ;   in Loop: Header=BB304_103 Depth=1
	s_or_b32 exec_lo, exec_lo, s0
	v_lshrrev_b32_e32 v9, 16, v16
	s_mov_b32 s1, 0
	v_cmp_gt_i16_sdwa s0, v9, v23 src0_sel:BYTE_0 src1_sel:DWORD
	s_and_saveexec_b32 s26, s0
	s_xor_b32 s0, exec_lo, s26
	s_cbranch_execnz .LBB304_159
; %bb.157:                              ;   in Loop: Header=BB304_103 Depth=1
	s_or_saveexec_b32 s0, s0
	v_bfrev_b32_e32 v17, 1
	s_xor_b32 exec_lo, exec_lo, s0
	s_cbranch_execnz .LBB304_162
.LBB304_158:                            ;   in Loop: Header=BB304_103 Depth=1
	s_or_b32 exec_lo, exec_lo, s0
	s_and_saveexec_b32 s0, s1
	s_cbranch_execnz .LBB304_163
	s_branch .LBB304_166
.LBB304_159:                            ;   in Loop: Header=BB304_103 Depth=1
	v_cmp_eq_u16_sdwa s27, v9, v24 src0_sel:BYTE_0 src1_sel:DWORD
	s_mov_b32 s1, -1
	s_and_saveexec_b32 s26, s27
; %bb.160:                              ;   in Loop: Header=BB304_103 Depth=1
	s_xor_b32 s1, exec_lo, -1
; %bb.161:                              ;   in Loop: Header=BB304_103 Depth=1
	s_or_b32 exec_lo, exec_lo, s26
	s_and_b32 s1, s1, exec_lo
	s_or_saveexec_b32 s0, s0
	v_bfrev_b32_e32 v17, 1
	s_xor_b32 exec_lo, exec_lo, s0
	s_cbranch_execz .LBB304_158
.LBB304_162:                            ;   in Loop: Header=BB304_103 Depth=1
	v_cmp_ne_u16_sdwa s26, v9, v10 src0_sel:BYTE_0 src1_sel:DWORD
	v_mov_b32_e32 v17, 0
	s_andn2_b32 s1, s1, exec_lo
	s_and_b32 s26, s26, exec_lo
	s_or_b32 s1, s1, s26
	s_or_b32 exec_lo, exec_lo, s0
	s_and_saveexec_b32 s0, s1
	s_cbranch_execz .LBB304_166
.LBB304_163:                            ;   in Loop: Header=BB304_103 Depth=1
	v_and_b32_e32 v36, 0x7f, v9
	v_mov_b32_e32 v17, 0x7f800001
	s_mov_b32 s1, exec_lo
	v_cmpx_ne_u32_e32 0x7f, v36
	s_cbranch_execz .LBB304_165
; %bb.164:                              ;   in Loop: Header=BB304_103 Depth=1
	v_and_b32_e32 v17, 7, v9
	v_cmp_gt_u32_e32 vcc_lo, 8, v36
	v_ffbh_u32_e32 v37, v17
	v_min_u32_e32 v39, 32, v37
	v_subrev_nc_u32_e32 v37, 28, v39
	v_sub_nc_u32_e32 v39, 29, v39
	v_lshlrev_b64 v[37:38], v37, v[9:10]
	v_lshrrev_b32_e32 v38, 3, v36
	v_lshlrev_b32_e32 v9, 24, v9
	v_and_b32_e32 v36, 7, v37
	v_cndmask_b32_e32 v37, v38, v39, vcc_lo
	v_and_b32_e32 v9, 0x80000000, v9
	v_cndmask_b32_e32 v17, v17, v36, vcc_lo
	v_lshl_add_u32 v36, v37, 23, 0x3c000000
	v_lshlrev_b32_e32 v17, 20, v17
	v_or3_b32 v17, v17, v9, v36
.LBB304_165:                            ;   in Loop: Header=BB304_103 Depth=1
	s_or_b32 exec_lo, exec_lo, s1
.LBB304_166:                            ;   in Loop: Header=BB304_103 Depth=1
	s_or_b32 exec_lo, exec_lo, s0
	v_lshrrev_b32_e32 v9, 24, v16
	v_bfe_u32 v37, v16, 24, 7
	v_cmp_gt_u64_e64 s1, s[2:3], v[15:16]
	v_cmp_eq_u32_e32 vcc_lo, 0x80, v9
	v_cmp_eq_u32_e64 s0, 0x7f, v37
	v_cndmask_b32_e32 v36, 0x7f800001, v27, vcc_lo
	s_or_b32 s0, vcc_lo, s0
	v_cndmask_b32_e64 v36, v36, 0, s1
	s_nor_b32 s1, s1, s0
	s_and_saveexec_b32 s0, s1
	s_cbranch_execz .LBB304_168
; %bb.167:                              ;   in Loop: Header=BB304_103 Depth=1
	v_and_b32_e32 v36, 7, v9
	v_cmp_gt_u32_e32 vcc_lo, 8, v37
	v_ffbh_u32_e32 v15, v36
	v_min_u32_e32 v38, 32, v15
	v_subrev_nc_u32_e32 v15, 28, v38
	v_sub_nc_u32_e32 v38, 29, v38
	v_lshlrev_b64 v[15:16], v15, v[9:10]
	v_lshrrev_b32_e32 v16, 3, v37
	v_lshlrev_b32_e32 v9, 24, v9
	v_and_b32_e32 v15, 7, v15
	v_cndmask_b32_e32 v16, v16, v38, vcc_lo
	v_and_b32_e32 v9, 0x80000000, v9
	v_cndmask_b32_e32 v15, v36, v15, vcc_lo
	v_lshl_add_u32 v16, v16, 23, 0x3c000000
	v_lshlrev_b32_e32 v15, 20, v15
	v_or3_b32 v36, v15, v9, v16
.LBB304_168:                            ;   in Loop: Header=BB304_103 Depth=1
	s_or_b32 exec_lo, exec_lo, s0
	s_waitcnt lgkmcnt(0)
	v_mul_f32_e32 v9, s22, v35
	v_mul_f32_e32 v15, s22, v34
	;; [unrolled: 1-line block ×5, first 2 shown]
	v_bfe_u32 v33, v9, 16, 1
	v_or_b32_e32 v34, 0x400000, v9
	v_bfe_u32 v35, v15, 16, 1
	v_cmp_u_f32_e64 s0, v9, v9
	v_or_b32_e32 v37, 0x400000, v15
	v_add3_u32 v33, v33, v9, 0x7fff
	v_bfe_u32 v38, v16, 16, 1
	v_add3_u32 v35, v35, v15, 0x7fff
	v_or_b32_e32 v39, 0x400000, v16
	v_mul_f32_e32 v30, s22, v30
	v_cndmask_b32_e64 v9, v33, v34, s0
	v_cmp_u_f32_e64 s0, v15, v15
	v_bfe_u32 v33, v32, 16, 1
	v_add3_u32 v34, v38, v16, 0x7fff
	v_mul_f32_e32 v17, s22, v17
	v_cmp_eq_u32_e32 vcc_lo, s17, v28
	v_cndmask_b32_e64 v15, v35, v37, s0
	v_cmp_u_f32_e64 s0, v16, v16
	v_add3_u32 v33, v33, v32, 0x7fff
	v_bfe_u32 v35, v31, 16, 1
	v_bfe_u32 v37, v17, 16, 1
	v_or_b32_e32 v38, 0x400000, v17
	v_cndmask_b32_e64 v16, v34, v39, s0
	v_or_b32_e32 v34, 0x400000, v32
	v_cmp_u_f32_e64 s0, v32, v32
	v_add3_u32 v37, v37, v17, 0x7fff
	v_lshrrev_b32_e32 v9, 16, v9
	v_lshrrev_b32_e32 v15, 16, v15
	;; [unrolled: 1-line block ×3, first 2 shown]
	v_cndmask_b32_e64 v32, v33, v34, s0
	v_add3_u32 v33, v35, v31, 0x7fff
	v_or_b32_e32 v34, 0x400000, v31
	v_mul_f32_e32 v35, s22, v36
	v_bfe_u32 v36, v30, 16, 1
	v_cmp_u_f32_e64 s0, v31, v31
	v_bfe_u32 v31, v35, 16, 1
	v_or_b32_e32 v39, 0x400000, v35
	v_cndmask_b32_e64 v33, v33, v34, s0
	v_add3_u32 v34, v36, v30, 0x7fff
	v_or_b32_e32 v36, 0x400000, v30
	v_cmp_u_f32_e64 s0, v30, v30
	v_add3_u32 v31, v31, v35, 0x7fff
	v_cndmask_b32_e64 v30, v34, v36, s0
	v_cmp_u_f32_e64 s0, v17, v17
	v_cndmask_b32_e64 v17, v37, v38, s0
	v_cmp_u_f32_e64 s0, v35, v35
	v_cndmask_b32_e64 v34, v31, v39, s0
	v_lshrrev_b32_e32 v31, 16, v32
	v_lshrrev_b32_e32 v32, 16, v33
	;; [unrolled: 1-line block ×5, first 2 shown]
	s_and_saveexec_b32 s0, vcc_lo
	s_cbranch_execz .LBB304_101
; %bb.169:                              ;   in Loop: Header=BB304_103 Depth=1
	v_add_nc_u32_e32 v34, 1, v19
	v_cmp_gt_i32_e32 vcc_lo, s11, v19
	v_add_nc_u32_e32 v35, 2, v19
	v_add_nc_u32_e32 v36, 3, v19
	v_cndmask_b32_e32 v33, 0, v33, vcc_lo
	v_cmp_gt_i32_e32 vcc_lo, s11, v34
	v_add_nc_u32_e32 v34, 4, v19
	v_cndmask_b32_e32 v32, 0, v32, vcc_lo
	v_cmp_gt_i32_e32 vcc_lo, s11, v35
	;; [unrolled: 3-line block ×5, first 2 shown]
	v_cndmask_b32_e32 v9, 0, v9, vcc_lo
	v_cmp_gt_i32_e32 vcc_lo, s11, v36
	v_cndmask_b32_e32 v30, 0, v30, vcc_lo
	v_cmp_gt_i32_e32 vcc_lo, s11, v34
	v_cndmask_b32_e32 v17, 0, v17, vcc_lo
	s_branch .LBB304_101
.LBB304_170:
	s_or_b32 exec_lo, exec_lo, s18
.LBB304_171:
	s_or_b32 exec_lo, exec_lo, s4
	v_and_b32_e32 v2, 0x3c0, v0
	v_lshl_add_u32 v1, v20, 2, 0x60
	s_mov_b32 s0, exec_lo
	s_barrier
	buffer_gl0_inv
	v_cmpx_eq_u32_e32 64, v2
; %bb.172:
	v_lshlrev_b32_e32 v2, 7, v18
	v_add3_u32 v2, v1, v2, 0xffffff00
	ds_write_b32 v2, v21
; %bb.173:
	s_or_b32 exec_lo, exec_lo, s0
	v_and_b32_e32 v3, 0x3e0, v0
	s_mov_b32 s0, exec_lo
	s_waitcnt lgkmcnt(0)
	s_barrier
	buffer_gl0_inv
	v_lshl_add_u32 v2, v3, 2, v1
	v_cmpx_gt_u32_e32 64, v0
	s_cbranch_execz .LBB304_175
; %bb.174:
	ds_read_b32 v4, v2
	s_waitcnt lgkmcnt(0)
	v_add_f32_e32 v21, v21, v4
.LBB304_175:
	s_or_b32 exec_lo, exec_lo, s0
	s_mov_b32 s0, exec_lo
	s_barrier
	buffer_gl0_inv
	v_cmpx_eq_u32_e32 32, v3
; %bb.176:
	ds_write_b32 v1, v21
; %bb.177:
	s_or_b32 exec_lo, exec_lo, s0
	v_cmp_gt_u32_e32 vcc_lo, 32, v0
	s_waitcnt lgkmcnt(0)
	s_barrier
	buffer_gl0_inv
	s_and_saveexec_b32 s0, vcc_lo
	s_cbranch_execz .LBB304_179
; %bb.178:
	ds_read_b32 v0, v2
	s_waitcnt lgkmcnt(0)
	v_add_f32_e32 v21, v21, v0
.LBB304_179:
	s_or_b32 exec_lo, exec_lo, s0
	s_barrier
	buffer_gl0_inv
	s_and_saveexec_b32 s0, vcc_lo
	s_cbranch_execz .LBB304_181
; %bb.180:
	s_mul_i32 s0, s10, s16
	s_mul_i32 s2, s16, s24
	;; [unrolled: 1-line block ×3, first 2 shown]
	v_bfe_u32 v0, v21, 16, 1
	s_lshl_b32 s0, s0, 5
	v_or_b32_e32 v1, 0x400000, v21
	s_ashr_i32 s1, s0, 31
	v_cmp_u_f32_e32 vcc_lo, v21, v21
	s_lshl_b64 s[0:1], s[0:1], 1
	v_add3_u32 v0, v0, v21, 0x7fff
	s_add_u32 s4, s6, s0
	s_addc_u32 s5, s7, s1
	s_ashr_i32 s3, s2, 31
	v_lshlrev_b32_e32 v2, 1, v20
	s_lshl_b64 s[0:1], s[2:3], 1
	v_cndmask_b32_e32 v0, v0, v1, vcc_lo
	s_add_u32 s2, s4, s0
	s_addc_u32 s3, s5, s1
	s_lshl_b32 s0, s8, 5
	s_ashr_i32 s1, s0, 31
	s_lshl_b64 s[0:1], s[0:1], 1
	s_add_u32 s0, s2, s0
	s_addc_u32 s1, s3, s1
	global_store_short_d16_hi v2, v0, s[0:1]
.LBB304_181:
	s_endpgm
	.section	.rodata,"a",@progbits
	.p2align	6, 0x0
	.amdhsa_kernel _ZN4vllm25paged_attention_v1_kernelI14__hip_bfloat16hLi32ELi8ELi128ELNS_18Fp8KVCacheDataTypeE1ELb1EEEvPT_PKS3_PKT0_S9_ifPKiSB_iPKfiiiSD_SD_iiiii
		.amdhsa_group_segment_fixed_size 96
		.amdhsa_private_segment_fixed_size 0
		.amdhsa_kernarg_size 384
		.amdhsa_user_sgpr_count 6
		.amdhsa_user_sgpr_private_segment_buffer 1
		.amdhsa_user_sgpr_dispatch_ptr 0
		.amdhsa_user_sgpr_queue_ptr 0
		.amdhsa_user_sgpr_kernarg_segment_ptr 1
		.amdhsa_user_sgpr_dispatch_id 0
		.amdhsa_user_sgpr_flat_scratch_init 0
		.amdhsa_user_sgpr_private_segment_size 0
		.amdhsa_wavefront_size32 1
		.amdhsa_uses_dynamic_stack 0
		.amdhsa_system_sgpr_private_segment_wavefront_offset 0
		.amdhsa_system_sgpr_workgroup_id_x 1
		.amdhsa_system_sgpr_workgroup_id_y 1
		.amdhsa_system_sgpr_workgroup_id_z 1
		.amdhsa_system_sgpr_workgroup_info 0
		.amdhsa_system_vgpr_workitem_id 0
		.amdhsa_next_free_vgpr 40
		.amdhsa_next_free_sgpr 45
		.amdhsa_reserve_vcc 1
		.amdhsa_reserve_flat_scratch 0
		.amdhsa_float_round_mode_32 0
		.amdhsa_float_round_mode_16_64 0
		.amdhsa_float_denorm_mode_32 3
		.amdhsa_float_denorm_mode_16_64 3
		.amdhsa_dx10_clamp 1
		.amdhsa_ieee_mode 1
		.amdhsa_fp16_overflow 0
		.amdhsa_workgroup_processor_mode 1
		.amdhsa_memory_ordered 1
		.amdhsa_forward_progress 1
		.amdhsa_shared_vgpr_count 0
		.amdhsa_exception_fp_ieee_invalid_op 0
		.amdhsa_exception_fp_denorm_src 0
		.amdhsa_exception_fp_ieee_div_zero 0
		.amdhsa_exception_fp_ieee_overflow 0
		.amdhsa_exception_fp_ieee_underflow 0
		.amdhsa_exception_fp_ieee_inexact 0
		.amdhsa_exception_int_div_zero 0
	.end_amdhsa_kernel
	.section	.text._ZN4vllm25paged_attention_v1_kernelI14__hip_bfloat16hLi32ELi8ELi128ELNS_18Fp8KVCacheDataTypeE1ELb1EEEvPT_PKS3_PKT0_S9_ifPKiSB_iPKfiiiSD_SD_iiiii,"axG",@progbits,_ZN4vllm25paged_attention_v1_kernelI14__hip_bfloat16hLi32ELi8ELi128ELNS_18Fp8KVCacheDataTypeE1ELb1EEEvPT_PKS3_PKT0_S9_ifPKiSB_iPKfiiiSD_SD_iiiii,comdat
.Lfunc_end304:
	.size	_ZN4vllm25paged_attention_v1_kernelI14__hip_bfloat16hLi32ELi8ELi128ELNS_18Fp8KVCacheDataTypeE1ELb1EEEvPT_PKS3_PKT0_S9_ifPKiSB_iPKfiiiSD_SD_iiiii, .Lfunc_end304-_ZN4vllm25paged_attention_v1_kernelI14__hip_bfloat16hLi32ELi8ELi128ELNS_18Fp8KVCacheDataTypeE1ELb1EEEvPT_PKS3_PKT0_S9_ifPKiSB_iPKfiiiSD_SD_iiiii
                                        ; -- End function
	.set _ZN4vllm25paged_attention_v1_kernelI14__hip_bfloat16hLi32ELi8ELi128ELNS_18Fp8KVCacheDataTypeE1ELb1EEEvPT_PKS3_PKT0_S9_ifPKiSB_iPKfiiiSD_SD_iiiii.num_vgpr, 40
	.set _ZN4vllm25paged_attention_v1_kernelI14__hip_bfloat16hLi32ELi8ELi128ELNS_18Fp8KVCacheDataTypeE1ELb1EEEvPT_PKS3_PKT0_S9_ifPKiSB_iPKfiiiSD_SD_iiiii.num_agpr, 0
	.set _ZN4vllm25paged_attention_v1_kernelI14__hip_bfloat16hLi32ELi8ELi128ELNS_18Fp8KVCacheDataTypeE1ELb1EEEvPT_PKS3_PKT0_S9_ifPKiSB_iPKfiiiSD_SD_iiiii.numbered_sgpr, 45
	.set _ZN4vllm25paged_attention_v1_kernelI14__hip_bfloat16hLi32ELi8ELi128ELNS_18Fp8KVCacheDataTypeE1ELb1EEEvPT_PKS3_PKT0_S9_ifPKiSB_iPKfiiiSD_SD_iiiii.num_named_barrier, 0
	.set _ZN4vllm25paged_attention_v1_kernelI14__hip_bfloat16hLi32ELi8ELi128ELNS_18Fp8KVCacheDataTypeE1ELb1EEEvPT_PKS3_PKT0_S9_ifPKiSB_iPKfiiiSD_SD_iiiii.private_seg_size, 0
	.set _ZN4vllm25paged_attention_v1_kernelI14__hip_bfloat16hLi32ELi8ELi128ELNS_18Fp8KVCacheDataTypeE1ELb1EEEvPT_PKS3_PKT0_S9_ifPKiSB_iPKfiiiSD_SD_iiiii.uses_vcc, 1
	.set _ZN4vllm25paged_attention_v1_kernelI14__hip_bfloat16hLi32ELi8ELi128ELNS_18Fp8KVCacheDataTypeE1ELb1EEEvPT_PKS3_PKT0_S9_ifPKiSB_iPKfiiiSD_SD_iiiii.uses_flat_scratch, 0
	.set _ZN4vllm25paged_attention_v1_kernelI14__hip_bfloat16hLi32ELi8ELi128ELNS_18Fp8KVCacheDataTypeE1ELb1EEEvPT_PKS3_PKT0_S9_ifPKiSB_iPKfiiiSD_SD_iiiii.has_dyn_sized_stack, 0
	.set _ZN4vllm25paged_attention_v1_kernelI14__hip_bfloat16hLi32ELi8ELi128ELNS_18Fp8KVCacheDataTypeE1ELb1EEEvPT_PKS3_PKT0_S9_ifPKiSB_iPKfiiiSD_SD_iiiii.has_recursion, 0
	.set _ZN4vllm25paged_attention_v1_kernelI14__hip_bfloat16hLi32ELi8ELi128ELNS_18Fp8KVCacheDataTypeE1ELb1EEEvPT_PKS3_PKT0_S9_ifPKiSB_iPKfiiiSD_SD_iiiii.has_indirect_call, 0
	.section	.AMDGPU.csdata,"",@progbits
; Kernel info:
; codeLenInByte = 8440
; TotalNumSgprs: 47
; NumVgprs: 40
; ScratchSize: 0
; MemoryBound: 0
; FloatMode: 240
; IeeeMode: 1
; LDSByteSize: 96 bytes/workgroup (compile time only)
; SGPRBlocks: 0
; VGPRBlocks: 4
; NumSGPRsForWavesPerEU: 47
; NumVGPRsForWavesPerEU: 40
; Occupancy: 16
; WaveLimiterHint : 1
; COMPUTE_PGM_RSRC2:SCRATCH_EN: 0
; COMPUTE_PGM_RSRC2:USER_SGPR: 6
; COMPUTE_PGM_RSRC2:TRAP_HANDLER: 0
; COMPUTE_PGM_RSRC2:TGID_X_EN: 1
; COMPUTE_PGM_RSRC2:TGID_Y_EN: 1
; COMPUTE_PGM_RSRC2:TGID_Z_EN: 1
; COMPUTE_PGM_RSRC2:TIDIG_COMP_CNT: 0
	.section	.text._ZN4vllm25paged_attention_v1_kernelI14__hip_bfloat16hLi64ELi8ELi128ELNS_18Fp8KVCacheDataTypeE1ELb1EEEvPT_PKS3_PKT0_S9_ifPKiSB_iPKfiiiSD_SD_iiiii,"axG",@progbits,_ZN4vllm25paged_attention_v1_kernelI14__hip_bfloat16hLi64ELi8ELi128ELNS_18Fp8KVCacheDataTypeE1ELb1EEEvPT_PKS3_PKT0_S9_ifPKiSB_iPKfiiiSD_SD_iiiii,comdat
	.protected	_ZN4vllm25paged_attention_v1_kernelI14__hip_bfloat16hLi64ELi8ELi128ELNS_18Fp8KVCacheDataTypeE1ELb1EEEvPT_PKS3_PKT0_S9_ifPKiSB_iPKfiiiSD_SD_iiiii ; -- Begin function _ZN4vllm25paged_attention_v1_kernelI14__hip_bfloat16hLi64ELi8ELi128ELNS_18Fp8KVCacheDataTypeE1ELb1EEEvPT_PKS3_PKT0_S9_ifPKiSB_iPKfiiiSD_SD_iiiii
	.globl	_ZN4vllm25paged_attention_v1_kernelI14__hip_bfloat16hLi64ELi8ELi128ELNS_18Fp8KVCacheDataTypeE1ELb1EEEvPT_PKS3_PKT0_S9_ifPKiSB_iPKfiiiSD_SD_iiiii
	.p2align	8
	.type	_ZN4vllm25paged_attention_v1_kernelI14__hip_bfloat16hLi64ELi8ELi128ELNS_18Fp8KVCacheDataTypeE1ELb1EEEvPT_PKS3_PKT0_S9_ifPKiSB_iPKfiiiSD_SD_iiiii,@function
_ZN4vllm25paged_attention_v1_kernelI14__hip_bfloat16hLi64ELi8ELi128ELNS_18Fp8KVCacheDataTypeE1ELb1EEEvPT_PKS3_PKT0_S9_ifPKiSB_iPKfiiiSD_SD_iiiii: ; @_ZN4vllm25paged_attention_v1_kernelI14__hip_bfloat16hLi64ELi8ELi128ELNS_18Fp8KVCacheDataTypeE1ELb1EEEvPT_PKS3_PKT0_S9_ifPKiSB_iPKfiiiSD_SD_iiiii
; %bb.0:
	s_clause 0x2
	s_load_dword s9, s[4:5], 0x80
	s_load_dwordx2 s[0:1], s[4:5], 0x30
	s_load_dwordx2 s[34:35], s[4:5], 0x20
	s_mov_b32 s10, s7
	s_ashr_i32 s11, s7, 31
	s_mov_b32 s36, 0
	s_lshl_b64 s[2:3], s[10:11], 2
	s_waitcnt lgkmcnt(0)
	s_add_u32 s0, s0, s2
	s_addc_u32 s1, s1, s3
	s_abs_i32 s2, s34
	s_abs_i32 s11, s9
	v_cvt_f32_u32_e32 v1, s2
	s_sub_i32 s7, 0, s2
	v_rcp_iflag_f32_e32 v1, v1
	v_mul_f32_e32 v1, 0x4f7ffffe, v1
	v_cvt_u32_f32_e32 v1, v1
	v_readfirstlane_b32 s3, v1
	s_mul_i32 s7, s7, s3
	s_mul_hi_u32 s7, s3, s7
	s_add_i32 s3, s3, s7
	s_xor_b32 s7, s9, s34
	s_mul_hi_u32 s3, s11, s3
	s_ashr_i32 s7, s7, 31
	s_mul_i32 s12, s3, s2
	s_sub_i32 s11, s11, s12
	s_add_i32 s12, s3, 1
	s_sub_i32 s13, s11, s2
	s_cmp_ge_u32 s11, s2
	s_cselect_b32 s3, s12, s3
	s_cselect_b32 s11, s13, s11
	s_add_i32 s12, s3, 1
	s_cmp_ge_u32 s11, s2
	s_cselect_b32 s2, s12, s3
	s_abs_i32 s13, s6
	s_xor_b32 s2, s2, s7
	s_sub_i32 s15, s2, s7
	s_load_dwordx2 s[2:3], s[4:5], 0x40
	s_abs_i32 s12, s15
	v_cvt_f32_u32_e32 v1, s12
	s_sub_i32 s11, 0, s12
	v_rcp_iflag_f32_e32 v1, v1
	v_mul_f32_e32 v1, 0x4f7ffffe, v1
	v_cvt_u32_f32_e32 v1, v1
	v_readfirstlane_b32 s7, v1
	s_mul_i32 s11, s11, s7
	s_mul_hi_u32 s11, s7, s11
	s_add_i32 s7, s7, s11
	s_waitcnt lgkmcnt(0)
	s_cmp_eq_u64 s[2:3], 0
	s_mul_hi_u32 s14, s13, s7
	s_cbranch_scc1 .LBB305_2
; %bb.1:
	s_ashr_i32 s7, s6, 31
	s_lshl_b64 s[16:17], s[6:7], 2
	s_add_u32 s2, s2, s16
	s_addc_u32 s3, s3, s17
	s_load_dword s36, s[2:3], 0x0
.LBB305_2:
	s_load_dword s11, s[0:1], 0x0
	s_load_dwordx4 s[16:19], s[4:5], 0x48
	v_and_b32_e32 v1, 3, v0
	v_cmp_gt_u32_e64 s0, 32, v0
	s_ashr_i32 s1, s6, 31
	s_ashr_i32 s2, s15, 31
	s_lshl_b32 s24, s6, 6
	s_and_saveexec_b32 s3, s0
	s_cbranch_execz .LBB305_4
; %bb.3:
	s_load_dwordx2 s[20:21], s[4:5], 0x8
	s_waitcnt lgkmcnt(0)
	s_mul_i32 s22, s16, s10
	v_lshlrev_b32_e32 v2, 2, v0
	s_ashr_i32 s23, s22, 31
	v_and_b32_e32 v3, 0x3fc, v0
	s_lshl_b64 s[22:23], s[22:23], 1
	v_lshl_add_u32 v3, v1, 5, v3
	s_add_u32 s7, s20, s22
	s_addc_u32 s15, s21, s23
	s_ashr_i32 s25, s24, 31
	s_lshl_b64 s[20:21], s[24:25], 1
	s_add_u32 s20, s7, s20
	s_addc_u32 s21, s15, s21
	global_load_dword v2, v2, s[20:21]
	s_waitcnt vmcnt(0)
	ds_write_b32 v3, v2
.LBB305_4:
	s_or_b32 exec_lo, exec_lo, s3
	s_load_dwordx4 s[20:23], s[4:5], 0x68
	s_mul_i32 s3, s14, s12
	s_xor_b32 s2, s1, s2
	s_sub_i32 s1, s13, s3
	s_add_i32 s3, s14, 1
	s_sub_i32 s7, s1, s12
	s_cmp_ge_u32 s1, s12
	s_waitcnt lgkmcnt(0)
	s_cselect_b32 s3, s3, s14
	s_cselect_b32 s1, s7, s1
	s_add_i32 s7, s3, 1
	s_cmp_ge_u32 s1, s12
	s_load_dword s1, s[4:5], 0x78
	s_cselect_b32 s3, s7, s3
	s_add_i32 s7, s11, -1
	s_xor_b32 s3, s3, s2
	s_abs_i32 s12, s7
	s_sub_i32 s2, s3, s2
	s_mov_b32 s14, -1
	s_barrier
	s_abs_i32 s19, s23
	s_waitcnt lgkmcnt(0)
	buffer_gl0_inv
	v_cvt_f32_u32_e32 v2, s19
	s_sub_i32 s3, 0, s19
                                        ; implicit-def: $sgpr33
	v_rcp_iflag_f32_e32 v2, v2
	v_mul_f32_e32 v2, 0x4f7ffffe, v2
	v_cvt_u32_f32_e32 v2, v2
	v_readfirstlane_b32 s25, v2
	s_mul_i32 s3, s3, s25
	s_mul_hi_u32 s3, s25, s3
	s_add_i32 s25, s25, s3
	s_cmp_lt_i32 s1, 0
	s_mul_hi_u32 s3, s12, s25
	s_cbranch_scc0 .LBB305_6
; %bb.5:
	s_mul_i32 s13, s20, s34
	s_mov_b32 s14, 0
	s_add_i32 s13, s2, s13
	s_mul_i32 s13, s13, s1
	s_sub_i32 s33, 1, s13
.LBB305_6:
	s_load_dwordx2 s[26:27], s[4:5], 0x28
	s_ashr_i32 s13, s7, 31
	s_andn2_b32 vcc_lo, exec_lo, s14
	s_ashr_i32 s23, s23, 31
	s_cbranch_vccnz .LBB305_8
; %bb.7:
	s_mul_i32 s7, s9, s20
	s_add_i32 s6, s7, s6
	s_mul_i32 s1, s6, s1
	s_add_i32 s33, s1, 1
.LBB305_8:
	s_clause 0x2
	s_load_dword s1, s[4:5], 0x38
	s_load_dwordx2 s[6:7], s[4:5], 0x0
	s_load_dwordx2 s[30:31], s[4:5], 0x18
	s_xor_b32 s34, s13, s23
	s_mul_i32 s13, s3, s19
	s_add_i32 s20, s3, 1
	s_sub_i32 s37, s12, s13
	s_clause 0x1
	s_load_dword s16, s[4:5], 0x88
	s_load_dwordx4 s[12:15], s[4:5], 0x58
	v_lshrrev_b32_e32 v21, 5, v0
	v_mov_b32_e32 v20, 0xff7fffff
	v_lshrrev_b32_e32 v17, 3, v0
	v_mbcnt_lo_u32_b32 v18, -1, 0
	s_mul_i32 s18, s2, s18
	v_lshlrev_b32_e32 v22, 3, v21
	s_waitcnt lgkmcnt(0)
	s_mul_i32 s28, s1, s10
	s_sub_i32 s1, s37, s19
	s_ashr_i32 s29, s28, 31
	s_cmp_ge_u32 s37, s19
	s_cselect_b32 s3, s20, s3
	s_cselect_b32 s1, s1, s37
	s_add_i32 s20, s3, 1
	s_cmp_ge_u32 s1, s19
	s_cselect_b32 s1, s20, s3
	s_add_i32 s3, s11, 7
	s_ashr_i32 s20, s3, 31
	s_lshr_b32 s20, s20, 29
	s_add_i32 s3, s3, s20
	s_ashr_i32 s20, s3, 3
	s_xor_b32 s3, s1, s34
	v_cmp_gt_i32_e64 s1, s20, v21
	s_sub_i32 s34, s3, s34
	s_and_saveexec_b32 s37, s1
	s_cbranch_execz .LBB305_148
; %bb.9:
	s_load_dwordx2 s[2:3], s[4:5], 0x10
	s_sub_i32 s5, s34, s21
	s_ashr_i32 s4, s18, 31
	v_bfe_u32 v19, v0, 2, 3
	v_cmp_eq_u32_e32 vcc_lo, 0, v1
	v_lshlrev_b32_e32 v3, 1, v1
	v_lshlrev_b32_e32 v23, 5, v1
	v_and_b32_e32 v1, 0x7c, v17
	v_lshlrev_b32_e32 v4, 2, v19
	v_subrev_nc_u32_e32 v5, s11, v19
	v_lshlrev_b32_e32 v6, 4, v19
	v_mov_b32_e32 v10, 0
	v_lshlrev_b32_e32 v24, 3, v21
	v_lshl_or_b32 v4, v21, 5, v4
	v_add_nc_u32_e32 v28, 1, v5
	v_mov_b32_e32 v25, 0xff7fffff
	v_mov_b32_e32 v26, 0x80
	;; [unrolled: 1-line block ×3, first 2 shown]
	v_add_nc_u32_e32 v29, 0xa0, v4
	v_mov_b32_e32 v20, 0xff7fffff
	s_waitcnt lgkmcnt(0)
	s_add_u32 s39, s2, s18
	s_addc_u32 s3, s3, s4
	s_abs_i32 s38, s22
	s_lshl_b64 s[40:41], s[28:29], 2
	v_cvt_f32_u32_e32 v2, s38
	s_sub_i32 s4, 0, s38
	v_cmp_neq_f32_e64 s2, s36, 0
	v_mov_b32_e32 v31, v21
	v_rcp_iflag_f32_e32 v2, v2
	v_mul_f32_e32 v2, 0x4f7ffffe, v2
	v_cvt_u32_f32_e32 v2, v2
	v_mul_lo_u32 v4, s4, v2
	v_add_co_u32 v5, s4, s39, v6
	v_add_co_ci_u32_e64 v6, null, s3, 0, s4
	s_add_u32 s3, s26, s40
	s_addc_u32 s4, s27, s41
	v_add_co_u32 v11, s3, s3, v1
	v_mul_hi_u32 v4, v2, v4
	v_add_co_ci_u32_e64 v12, null, s4, 0, s3
	v_add_co_u32 v13, s3, v5, v3
	v_add_co_ci_u32_e64 v14, null, 0, v6, s3
	s_mov_b32 s39, 0
	v_add_nc_u32_e32 v30, v2, v4
	s_mov_b32 s40, s17
	s_branch .LBB305_12
.LBB305_10:                             ;   in Loop: Header=BB305_12 Depth=1
	s_or_b32 exec_lo, exec_lo, s41
.LBB305_11:                             ;   in Loop: Header=BB305_12 Depth=1
	s_or_b32 exec_lo, exec_lo, s4
	v_add_nc_u32_e32 v31, 4, v31
	v_add_co_u32 v11, s4, v11, 16
	v_add_co_ci_u32_e64 v12, null, 0, v12, s4
	v_cmp_le_i32_e64 s3, s20, v31
	v_add_nc_u32_e32 v24, 32, v24
	v_add_nc_u32_e32 v29, 0x80, v29
	s_or_b32 s39, s3, s39
	s_andn2_b32 exec_lo, exec_lo, s39
	s_cbranch_execz .LBB305_147
.LBB305_12:                             ; =>This Inner Loop Header: Depth=1
	v_mul_hi_u32 v1, v24, s25
	s_waitcnt lgkmcnt(0)
	v_mul_lo_u32 v2, v1, s19
	v_add_nc_u32_e32 v3, 1, v1
	v_sub_nc_u32_e32 v2, v24, v2
	v_subrev_nc_u32_e32 v4, s19, v2
	v_cmp_le_u32_e64 s3, s19, v2
	v_cndmask_b32_e64 v1, v1, v3, s3
	v_cndmask_b32_e64 v2, v2, v4, s3
	v_add_nc_u32_e32 v3, 1, v1
	v_cmp_le_u32_e64 s3, s19, v2
	v_cndmask_b32_e64 v1, v1, v3, s3
	v_xor_b32_e32 v1, s23, v1
	v_subrev_nc_u32_e32 v1, s23, v1
	v_add_nc_u32_e32 v2, s33, v1
	v_cmp_ge_i32_e64 s4, s5, v1
	v_sub_nc_u32_e32 v3, 0, v2
	v_max_i32_e32 v3, v2, v3
	v_ashrrev_i32_e32 v2, 31, v2
	v_mul_hi_u32 v4, v3, v30
	v_mul_lo_u32 v4, v4, s38
	v_sub_nc_u32_e32 v3, v3, v4
	v_subrev_nc_u32_e32 v4, s38, v3
	v_cmp_le_u32_e64 s3, s38, v3
	v_cndmask_b32_e64 v3, v3, v4, s3
	v_subrev_nc_u32_e32 v4, s38, v3
	v_cmp_le_u32_e64 s3, s38, v3
	v_cndmask_b32_e64 v3, v3, v4, s3
	v_xor_b32_e32 v3, v3, v2
	v_sub_nc_u32_e32 v2, v3, v2
	v_cmp_ne_u32_e64 s3, 0, v2
	s_and_b32 s3, s3, s4
	s_and_saveexec_b32 s4, s3
	s_xor_b32 s3, exec_lo, s4
	s_cbranch_execz .LBB305_16
; %bb.13:                               ;   in Loop: Header=BB305_12 Depth=1
	s_and_saveexec_b32 s4, vcc_lo
; %bb.14:                               ;   in Loop: Header=BB305_12 Depth=1
	ds_write_b32 v29, v25
; %bb.15:                               ;   in Loop: Header=BB305_12 Depth=1
	s_or_b32 exec_lo, exec_lo, s4
.LBB305_16:                             ;   in Loop: Header=BB305_12 Depth=1
	s_andn2_saveexec_b32 s4, s3
	s_cbranch_execz .LBB305_11
; %bb.17:                               ;   in Loop: Header=BB305_12 Depth=1
	global_load_dword v1, v[11:12], off
	v_mov_b32_e32 v33, 0
	v_mov_b32_e32 v32, 0
	s_waitcnt vmcnt(0)
	v_mad_i64_i32 v[15:16], null, v1, s40, v[13:14]
	global_load_ushort v9, v[15:16], off
	ds_read_b128 v[5:8], v23
	ds_read_b128 v[1:4], v23 offset:16
	s_load_dword s41, s[12:13], 0x0
	s_waitcnt vmcnt(0)
	v_and_b32_e32 v34, 0xffff, v9
	v_cmp_ne_u16_sdwa s3, v9, v10 src0_sel:BYTE_0 src1_sel:DWORD
	s_and_saveexec_b32 s42, s3
	s_cbranch_execz .LBB305_25
; %bb.18:                               ;   in Loop: Header=BB305_12 Depth=1
	v_cmp_ne_u16_sdwa s3, v34, v26 src0_sel:BYTE_0 src1_sel:DWORD
	v_bfrev_b32_e32 v32, 1
	s_and_saveexec_b32 s43, s3
	s_cbranch_execz .LBB305_24
; %bb.19:                               ;   in Loop: Header=BB305_12 Depth=1
	v_and_b32_e32 v35, 0x7f, v34
	v_mov_b32_e32 v32, 0x7f800001
	s_mov_b32 s44, exec_lo
	v_cmpx_ne_u32_e32 0x7f, v35
	s_cbranch_execz .LBB305_23
; %bb.20:                               ;   in Loop: Header=BB305_12 Depth=1
	v_and_b32_e32 v9, 7, v34
	v_lshrrev_b32_e32 v32, 3, v35
	s_mov_b32 s45, exec_lo
	v_cmpx_gt_u32_e32 8, v35
; %bb.21:                               ;   in Loop: Header=BB305_12 Depth=1
	v_ffbh_u32_e32 v32, v9
	v_min_u32_e32 v32, 32, v32
	v_subrev_nc_u32_e32 v35, 28, v32
	v_sub_nc_u32_e32 v32, 29, v32
	v_lshlrev_b64 v[35:36], v35, v[9:10]
	v_and_b32_e32 v9, 7, v35
; %bb.22:                               ;   in Loop: Header=BB305_12 Depth=1
	s_or_b32 exec_lo, exec_lo, s45
	v_lshlrev_b32_e32 v35, 24, v34
	v_lshlrev_b32_e32 v9, 20, v9
	v_lshl_add_u32 v32, v32, 23, 0x3c000000
	v_and_b32_e32 v35, 0x80000000, v35
	v_or3_b32 v32, v9, v35, v32
.LBB305_23:                             ;   in Loop: Header=BB305_12 Depth=1
	s_or_b32 exec_lo, exec_lo, s44
.LBB305_24:                             ;   in Loop: Header=BB305_12 Depth=1
	s_or_b32 exec_lo, exec_lo, s43
.LBB305_25:                             ;   in Loop: Header=BB305_12 Depth=1
	s_or_b32 exec_lo, exec_lo, s42
	v_cmp_ne_u16_sdwa s3, v34, v10 src0_sel:BYTE_1 src1_sel:DWORD
	s_and_saveexec_b32 s42, s3
	s_cbranch_execz .LBB305_33
; %bb.26:                               ;   in Loop: Header=BB305_12 Depth=1
	v_cmp_ne_u16_sdwa s3, v34, v26 src0_sel:BYTE_1 src1_sel:DWORD
	v_bfrev_b32_e32 v33, 1
	s_and_saveexec_b32 s43, s3
	s_cbranch_execz .LBB305_32
; %bb.27:                               ;   in Loop: Header=BB305_12 Depth=1
	v_and_b32_sdwa v9, v27, v34 dst_sel:DWORD dst_unused:UNUSED_PAD src0_sel:DWORD src1_sel:BYTE_1
	v_mov_b32_e32 v33, 0x7f800001
	s_mov_b32 s44, exec_lo
	v_and_b32_e32 v35, 0x7f, v9
	v_cmpx_ne_u32_e32 0x7f, v35
	s_cbranch_execz .LBB305_31
; %bb.28:                               ;   in Loop: Header=BB305_12 Depth=1
	v_and_b32_e32 v9, 7, v9
	v_lshrrev_b32_e32 v33, 3, v35
	s_mov_b32 s45, exec_lo
	v_cmpx_gt_u32_e32 8, v35
; %bb.29:                               ;   in Loop: Header=BB305_12 Depth=1
	v_ffbh_u32_e32 v33, v9
	v_min_u32_e32 v33, 32, v33
	v_subrev_nc_u32_e32 v35, 28, v33
	v_sub_nc_u32_e32 v33, 29, v33
	v_lshlrev_b64 v[35:36], v35, v[9:10]
	v_and_b32_e32 v9, 7, v35
; %bb.30:                               ;   in Loop: Header=BB305_12 Depth=1
	s_or_b32 exec_lo, exec_lo, s45
	v_lshlrev_b32_e32 v34, 16, v34
	v_lshlrev_b32_e32 v9, 20, v9
	v_lshl_add_u32 v33, v33, 23, 0x3c000000
	v_and_b32_e32 v34, 0x80000000, v34
	v_or3_b32 v33, v9, v34, v33
.LBB305_31:                             ;   in Loop: Header=BB305_12 Depth=1
	s_or_b32 exec_lo, exec_lo, s44
.LBB305_32:                             ;   in Loop: Header=BB305_12 Depth=1
	s_or_b32 exec_lo, exec_lo, s43
.LBB305_33:                             ;   in Loop: Header=BB305_12 Depth=1
	s_or_b32 exec_lo, exec_lo, s42
	global_load_ushort v9, v[15:16], off offset:8
	v_mov_b32_e32 v35, 0
	v_mov_b32_e32 v34, 0
	s_waitcnt vmcnt(0)
	v_and_b32_e32 v36, 0xffff, v9
	v_cmp_ne_u16_sdwa s3, v9, v10 src0_sel:BYTE_0 src1_sel:DWORD
	s_and_saveexec_b32 s42, s3
	s_cbranch_execz .LBB305_41
; %bb.34:                               ;   in Loop: Header=BB305_12 Depth=1
	v_cmp_ne_u16_sdwa s3, v36, v26 src0_sel:BYTE_0 src1_sel:DWORD
	v_bfrev_b32_e32 v34, 1
	s_and_saveexec_b32 s43, s3
	s_cbranch_execz .LBB305_40
; %bb.35:                               ;   in Loop: Header=BB305_12 Depth=1
	v_and_b32_e32 v37, 0x7f, v36
	v_mov_b32_e32 v34, 0x7f800001
	s_mov_b32 s44, exec_lo
	v_cmpx_ne_u32_e32 0x7f, v37
	s_cbranch_execz .LBB305_39
; %bb.36:                               ;   in Loop: Header=BB305_12 Depth=1
	v_and_b32_e32 v9, 7, v36
	v_lshrrev_b32_e32 v34, 3, v37
	s_mov_b32 s45, exec_lo
	v_cmpx_gt_u32_e32 8, v37
; %bb.37:                               ;   in Loop: Header=BB305_12 Depth=1
	v_ffbh_u32_e32 v34, v9
	v_min_u32_e32 v34, 32, v34
	v_subrev_nc_u32_e32 v37, 28, v34
	v_sub_nc_u32_e32 v34, 29, v34
	v_lshlrev_b64 v[37:38], v37, v[9:10]
	v_and_b32_e32 v9, 7, v37
; %bb.38:                               ;   in Loop: Header=BB305_12 Depth=1
	s_or_b32 exec_lo, exec_lo, s45
	v_lshlrev_b32_e32 v37, 24, v36
	v_lshlrev_b32_e32 v9, 20, v9
	v_lshl_add_u32 v34, v34, 23, 0x3c000000
	v_and_b32_e32 v37, 0x80000000, v37
	v_or3_b32 v34, v9, v37, v34
.LBB305_39:                             ;   in Loop: Header=BB305_12 Depth=1
	s_or_b32 exec_lo, exec_lo, s44
.LBB305_40:                             ;   in Loop: Header=BB305_12 Depth=1
	s_or_b32 exec_lo, exec_lo, s43
.LBB305_41:                             ;   in Loop: Header=BB305_12 Depth=1
	s_or_b32 exec_lo, exec_lo, s42
	v_cmp_ne_u16_sdwa s3, v36, v10 src0_sel:BYTE_1 src1_sel:DWORD
	s_and_saveexec_b32 s42, s3
	s_cbranch_execz .LBB305_49
; %bb.42:                               ;   in Loop: Header=BB305_12 Depth=1
	v_cmp_ne_u16_sdwa s3, v36, v26 src0_sel:BYTE_1 src1_sel:DWORD
	v_bfrev_b32_e32 v35, 1
	s_and_saveexec_b32 s43, s3
	s_cbranch_execz .LBB305_48
; %bb.43:                               ;   in Loop: Header=BB305_12 Depth=1
	v_and_b32_sdwa v9, v27, v36 dst_sel:DWORD dst_unused:UNUSED_PAD src0_sel:DWORD src1_sel:BYTE_1
	v_mov_b32_e32 v35, 0x7f800001
	s_mov_b32 s44, exec_lo
	v_and_b32_e32 v37, 0x7f, v9
	v_cmpx_ne_u32_e32 0x7f, v37
	s_cbranch_execz .LBB305_47
; %bb.44:                               ;   in Loop: Header=BB305_12 Depth=1
	v_and_b32_e32 v9, 7, v9
	v_lshrrev_b32_e32 v35, 3, v37
	s_mov_b32 s45, exec_lo
	v_cmpx_gt_u32_e32 8, v37
; %bb.45:                               ;   in Loop: Header=BB305_12 Depth=1
	v_ffbh_u32_e32 v35, v9
	v_min_u32_e32 v35, 32, v35
	v_subrev_nc_u32_e32 v37, 28, v35
	v_sub_nc_u32_e32 v35, 29, v35
	v_lshlrev_b64 v[37:38], v37, v[9:10]
	v_and_b32_e32 v9, 7, v37
; %bb.46:                               ;   in Loop: Header=BB305_12 Depth=1
	s_or_b32 exec_lo, exec_lo, s45
	v_lshlrev_b32_e32 v36, 16, v36
	v_lshlrev_b32_e32 v9, 20, v9
	v_lshl_add_u32 v35, v35, 23, 0x3c000000
	v_and_b32_e32 v36, 0x80000000, v36
	v_or3_b32 v35, v9, v36, v35
.LBB305_47:                             ;   in Loop: Header=BB305_12 Depth=1
	s_or_b32 exec_lo, exec_lo, s44
.LBB305_48:                             ;   in Loop: Header=BB305_12 Depth=1
	s_or_b32 exec_lo, exec_lo, s43
.LBB305_49:                             ;   in Loop: Header=BB305_12 Depth=1
	s_or_b32 exec_lo, exec_lo, s42
	global_load_ushort v9, v[15:16], off offset:128
	v_mov_b32_e32 v37, 0
	v_mov_b32_e32 v36, 0
	s_waitcnt vmcnt(0)
	v_and_b32_e32 v38, 0xffff, v9
	v_cmp_ne_u16_sdwa s3, v9, v10 src0_sel:BYTE_0 src1_sel:DWORD
	s_and_saveexec_b32 s42, s3
	s_cbranch_execz .LBB305_57
; %bb.50:                               ;   in Loop: Header=BB305_12 Depth=1
	v_cmp_ne_u16_sdwa s3, v38, v26 src0_sel:BYTE_0 src1_sel:DWORD
	v_bfrev_b32_e32 v36, 1
	s_and_saveexec_b32 s43, s3
	s_cbranch_execz .LBB305_56
; %bb.51:                               ;   in Loop: Header=BB305_12 Depth=1
	v_and_b32_e32 v39, 0x7f, v38
	v_mov_b32_e32 v36, 0x7f800001
	s_mov_b32 s44, exec_lo
	v_cmpx_ne_u32_e32 0x7f, v39
	s_cbranch_execz .LBB305_55
; %bb.52:                               ;   in Loop: Header=BB305_12 Depth=1
	v_and_b32_e32 v9, 7, v38
	v_lshrrev_b32_e32 v36, 3, v39
	s_mov_b32 s45, exec_lo
	v_cmpx_gt_u32_e32 8, v39
; %bb.53:                               ;   in Loop: Header=BB305_12 Depth=1
	v_ffbh_u32_e32 v36, v9
	v_min_u32_e32 v36, 32, v36
	v_subrev_nc_u32_e32 v39, 28, v36
	v_sub_nc_u32_e32 v36, 29, v36
	v_lshlrev_b64 v[39:40], v39, v[9:10]
	v_and_b32_e32 v9, 7, v39
; %bb.54:                               ;   in Loop: Header=BB305_12 Depth=1
	s_or_b32 exec_lo, exec_lo, s45
	v_lshlrev_b32_e32 v39, 24, v38
	v_lshlrev_b32_e32 v9, 20, v9
	v_lshl_add_u32 v36, v36, 23, 0x3c000000
	v_and_b32_e32 v39, 0x80000000, v39
	v_or3_b32 v36, v9, v39, v36
.LBB305_55:                             ;   in Loop: Header=BB305_12 Depth=1
	s_or_b32 exec_lo, exec_lo, s44
.LBB305_56:                             ;   in Loop: Header=BB305_12 Depth=1
	s_or_b32 exec_lo, exec_lo, s43
.LBB305_57:                             ;   in Loop: Header=BB305_12 Depth=1
	s_or_b32 exec_lo, exec_lo, s42
	v_cmp_ne_u16_sdwa s3, v38, v10 src0_sel:BYTE_1 src1_sel:DWORD
	s_and_saveexec_b32 s42, s3
	s_cbranch_execz .LBB305_65
; %bb.58:                               ;   in Loop: Header=BB305_12 Depth=1
	v_cmp_ne_u16_sdwa s3, v38, v26 src0_sel:BYTE_1 src1_sel:DWORD
	v_bfrev_b32_e32 v37, 1
	s_and_saveexec_b32 s43, s3
	s_cbranch_execz .LBB305_64
; %bb.59:                               ;   in Loop: Header=BB305_12 Depth=1
	v_and_b32_sdwa v9, v27, v38 dst_sel:DWORD dst_unused:UNUSED_PAD src0_sel:DWORD src1_sel:BYTE_1
	v_mov_b32_e32 v37, 0x7f800001
	s_mov_b32 s44, exec_lo
	v_and_b32_e32 v39, 0x7f, v9
	v_cmpx_ne_u32_e32 0x7f, v39
	s_cbranch_execz .LBB305_63
; %bb.60:                               ;   in Loop: Header=BB305_12 Depth=1
	v_and_b32_e32 v9, 7, v9
	v_lshrrev_b32_e32 v37, 3, v39
	s_mov_b32 s45, exec_lo
	v_cmpx_gt_u32_e32 8, v39
; %bb.61:                               ;   in Loop: Header=BB305_12 Depth=1
	v_ffbh_u32_e32 v37, v9
	v_min_u32_e32 v37, 32, v37
	v_subrev_nc_u32_e32 v39, 28, v37
	v_sub_nc_u32_e32 v37, 29, v37
	v_lshlrev_b64 v[39:40], v39, v[9:10]
	v_and_b32_e32 v9, 7, v39
; %bb.62:                               ;   in Loop: Header=BB305_12 Depth=1
	s_or_b32 exec_lo, exec_lo, s45
	v_lshlrev_b32_e32 v38, 16, v38
	v_lshlrev_b32_e32 v9, 20, v9
	v_lshl_add_u32 v37, v37, 23, 0x3c000000
	v_and_b32_e32 v38, 0x80000000, v38
	v_or3_b32 v37, v9, v38, v37
.LBB305_63:                             ;   in Loop: Header=BB305_12 Depth=1
	s_or_b32 exec_lo, exec_lo, s44
.LBB305_64:                             ;   in Loop: Header=BB305_12 Depth=1
	s_or_b32 exec_lo, exec_lo, s43
.LBB305_65:                             ;   in Loop: Header=BB305_12 Depth=1
	s_or_b32 exec_lo, exec_lo, s42
	global_load_ushort v9, v[15:16], off offset:136
	v_mov_b32_e32 v39, 0
	v_mov_b32_e32 v38, 0
	s_waitcnt vmcnt(0)
	v_and_b32_e32 v40, 0xffff, v9
	v_cmp_ne_u16_sdwa s3, v9, v10 src0_sel:BYTE_0 src1_sel:DWORD
	s_and_saveexec_b32 s42, s3
	s_cbranch_execz .LBB305_73
; %bb.66:                               ;   in Loop: Header=BB305_12 Depth=1
	v_cmp_ne_u16_sdwa s3, v40, v26 src0_sel:BYTE_0 src1_sel:DWORD
	v_bfrev_b32_e32 v38, 1
	s_and_saveexec_b32 s43, s3
	s_cbranch_execz .LBB305_72
; %bb.67:                               ;   in Loop: Header=BB305_12 Depth=1
	v_and_b32_e32 v41, 0x7f, v40
	v_mov_b32_e32 v38, 0x7f800001
	s_mov_b32 s44, exec_lo
	v_cmpx_ne_u32_e32 0x7f, v41
	s_cbranch_execz .LBB305_71
; %bb.68:                               ;   in Loop: Header=BB305_12 Depth=1
	v_and_b32_e32 v9, 7, v40
	v_lshrrev_b32_e32 v38, 3, v41
	s_mov_b32 s45, exec_lo
	v_cmpx_gt_u32_e32 8, v41
; %bb.69:                               ;   in Loop: Header=BB305_12 Depth=1
	v_ffbh_u32_e32 v38, v9
	v_min_u32_e32 v38, 32, v38
	v_subrev_nc_u32_e32 v41, 28, v38
	v_sub_nc_u32_e32 v38, 29, v38
	v_lshlrev_b64 v[41:42], v41, v[9:10]
	v_and_b32_e32 v9, 7, v41
; %bb.70:                               ;   in Loop: Header=BB305_12 Depth=1
	s_or_b32 exec_lo, exec_lo, s45
	v_lshlrev_b32_e32 v41, 24, v40
	v_lshlrev_b32_e32 v9, 20, v9
	v_lshl_add_u32 v38, v38, 23, 0x3c000000
	v_and_b32_e32 v41, 0x80000000, v41
	v_or3_b32 v38, v9, v41, v38
.LBB305_71:                             ;   in Loop: Header=BB305_12 Depth=1
	s_or_b32 exec_lo, exec_lo, s44
.LBB305_72:                             ;   in Loop: Header=BB305_12 Depth=1
	s_or_b32 exec_lo, exec_lo, s43
.LBB305_73:                             ;   in Loop: Header=BB305_12 Depth=1
	s_or_b32 exec_lo, exec_lo, s42
	v_cmp_ne_u16_sdwa s3, v40, v10 src0_sel:BYTE_1 src1_sel:DWORD
	s_and_saveexec_b32 s42, s3
	s_cbranch_execz .LBB305_81
; %bb.74:                               ;   in Loop: Header=BB305_12 Depth=1
	v_cmp_ne_u16_sdwa s3, v40, v26 src0_sel:BYTE_1 src1_sel:DWORD
	v_bfrev_b32_e32 v39, 1
	s_and_saveexec_b32 s43, s3
	s_cbranch_execz .LBB305_80
; %bb.75:                               ;   in Loop: Header=BB305_12 Depth=1
	v_and_b32_sdwa v9, v27, v40 dst_sel:DWORD dst_unused:UNUSED_PAD src0_sel:DWORD src1_sel:BYTE_1
	v_mov_b32_e32 v39, 0x7f800001
	s_mov_b32 s44, exec_lo
	v_and_b32_e32 v41, 0x7f, v9
	v_cmpx_ne_u32_e32 0x7f, v41
	s_cbranch_execz .LBB305_79
; %bb.76:                               ;   in Loop: Header=BB305_12 Depth=1
	v_and_b32_e32 v9, 7, v9
	v_lshrrev_b32_e32 v39, 3, v41
	s_mov_b32 s45, exec_lo
	v_cmpx_gt_u32_e32 8, v41
; %bb.77:                               ;   in Loop: Header=BB305_12 Depth=1
	v_ffbh_u32_e32 v39, v9
	v_min_u32_e32 v39, 32, v39
	v_subrev_nc_u32_e32 v41, 28, v39
	v_sub_nc_u32_e32 v39, 29, v39
	v_lshlrev_b64 v[41:42], v41, v[9:10]
	v_and_b32_e32 v9, 7, v41
; %bb.78:                               ;   in Loop: Header=BB305_12 Depth=1
	s_or_b32 exec_lo, exec_lo, s45
	v_lshlrev_b32_e32 v40, 16, v40
	v_lshlrev_b32_e32 v9, 20, v9
	v_lshl_add_u32 v39, v39, 23, 0x3c000000
	v_and_b32_e32 v40, 0x80000000, v40
	v_or3_b32 v39, v9, v40, v39
.LBB305_79:                             ;   in Loop: Header=BB305_12 Depth=1
	s_or_b32 exec_lo, exec_lo, s44
.LBB305_80:                             ;   in Loop: Header=BB305_12 Depth=1
	s_or_b32 exec_lo, exec_lo, s43
.LBB305_81:                             ;   in Loop: Header=BB305_12 Depth=1
	s_or_b32 exec_lo, exec_lo, s42
	global_load_ushort v9, v[15:16], off offset:256
	v_mov_b32_e32 v41, 0
	v_mov_b32_e32 v40, 0
	s_waitcnt vmcnt(0)
	v_and_b32_e32 v42, 0xffff, v9
	v_cmp_ne_u16_sdwa s3, v9, v10 src0_sel:BYTE_0 src1_sel:DWORD
	s_and_saveexec_b32 s42, s3
	s_cbranch_execz .LBB305_89
; %bb.82:                               ;   in Loop: Header=BB305_12 Depth=1
	v_cmp_ne_u16_sdwa s3, v42, v26 src0_sel:BYTE_0 src1_sel:DWORD
	v_bfrev_b32_e32 v40, 1
	s_and_saveexec_b32 s43, s3
	s_cbranch_execz .LBB305_88
; %bb.83:                               ;   in Loop: Header=BB305_12 Depth=1
	v_and_b32_e32 v43, 0x7f, v42
	v_mov_b32_e32 v40, 0x7f800001
	s_mov_b32 s44, exec_lo
	v_cmpx_ne_u32_e32 0x7f, v43
	s_cbranch_execz .LBB305_87
; %bb.84:                               ;   in Loop: Header=BB305_12 Depth=1
	v_and_b32_e32 v9, 7, v42
	v_lshrrev_b32_e32 v40, 3, v43
	s_mov_b32 s45, exec_lo
	v_cmpx_gt_u32_e32 8, v43
; %bb.85:                               ;   in Loop: Header=BB305_12 Depth=1
	v_ffbh_u32_e32 v40, v9
	v_min_u32_e32 v40, 32, v40
	v_subrev_nc_u32_e32 v43, 28, v40
	v_sub_nc_u32_e32 v40, 29, v40
	v_lshlrev_b64 v[43:44], v43, v[9:10]
	v_and_b32_e32 v9, 7, v43
; %bb.86:                               ;   in Loop: Header=BB305_12 Depth=1
	s_or_b32 exec_lo, exec_lo, s45
	v_lshlrev_b32_e32 v43, 24, v42
	v_lshlrev_b32_e32 v9, 20, v9
	v_lshl_add_u32 v40, v40, 23, 0x3c000000
	v_and_b32_e32 v43, 0x80000000, v43
	v_or3_b32 v40, v9, v43, v40
.LBB305_87:                             ;   in Loop: Header=BB305_12 Depth=1
	s_or_b32 exec_lo, exec_lo, s44
.LBB305_88:                             ;   in Loop: Header=BB305_12 Depth=1
	s_or_b32 exec_lo, exec_lo, s43
.LBB305_89:                             ;   in Loop: Header=BB305_12 Depth=1
	s_or_b32 exec_lo, exec_lo, s42
	v_cmp_ne_u16_sdwa s3, v42, v10 src0_sel:BYTE_1 src1_sel:DWORD
	s_and_saveexec_b32 s42, s3
	s_cbranch_execz .LBB305_97
; %bb.90:                               ;   in Loop: Header=BB305_12 Depth=1
	v_cmp_ne_u16_sdwa s3, v42, v26 src0_sel:BYTE_1 src1_sel:DWORD
	v_bfrev_b32_e32 v41, 1
	s_and_saveexec_b32 s43, s3
	s_cbranch_execz .LBB305_96
; %bb.91:                               ;   in Loop: Header=BB305_12 Depth=1
	v_and_b32_sdwa v9, v27, v42 dst_sel:DWORD dst_unused:UNUSED_PAD src0_sel:DWORD src1_sel:BYTE_1
	v_mov_b32_e32 v41, 0x7f800001
	s_mov_b32 s44, exec_lo
	v_and_b32_e32 v43, 0x7f, v9
	v_cmpx_ne_u32_e32 0x7f, v43
	s_cbranch_execz .LBB305_95
; %bb.92:                               ;   in Loop: Header=BB305_12 Depth=1
	v_and_b32_e32 v9, 7, v9
	v_lshrrev_b32_e32 v41, 3, v43
	s_mov_b32 s45, exec_lo
	v_cmpx_gt_u32_e32 8, v43
; %bb.93:                               ;   in Loop: Header=BB305_12 Depth=1
	v_ffbh_u32_e32 v41, v9
	v_min_u32_e32 v41, 32, v41
	v_subrev_nc_u32_e32 v43, 28, v41
	v_sub_nc_u32_e32 v41, 29, v41
	v_lshlrev_b64 v[43:44], v43, v[9:10]
	v_and_b32_e32 v9, 7, v43
; %bb.94:                               ;   in Loop: Header=BB305_12 Depth=1
	s_or_b32 exec_lo, exec_lo, s45
	v_lshlrev_b32_e32 v42, 16, v42
	v_lshlrev_b32_e32 v9, 20, v9
	v_lshl_add_u32 v41, v41, 23, 0x3c000000
	v_and_b32_e32 v42, 0x80000000, v42
	v_or3_b32 v41, v9, v42, v41
.LBB305_95:                             ;   in Loop: Header=BB305_12 Depth=1
	s_or_b32 exec_lo, exec_lo, s44
.LBB305_96:                             ;   in Loop: Header=BB305_12 Depth=1
	s_or_b32 exec_lo, exec_lo, s43
.LBB305_97:                             ;   in Loop: Header=BB305_12 Depth=1
	s_or_b32 exec_lo, exec_lo, s42
	global_load_ushort v9, v[15:16], off offset:264
	v_mov_b32_e32 v43, 0
	v_mov_b32_e32 v42, 0
	s_waitcnt vmcnt(0)
	v_and_b32_e32 v44, 0xffff, v9
	v_cmp_ne_u16_sdwa s3, v9, v10 src0_sel:BYTE_0 src1_sel:DWORD
	s_and_saveexec_b32 s42, s3
	s_cbranch_execz .LBB305_105
; %bb.98:                               ;   in Loop: Header=BB305_12 Depth=1
	v_cmp_ne_u16_sdwa s3, v44, v26 src0_sel:BYTE_0 src1_sel:DWORD
	v_bfrev_b32_e32 v42, 1
	s_and_saveexec_b32 s43, s3
	s_cbranch_execz .LBB305_104
; %bb.99:                               ;   in Loop: Header=BB305_12 Depth=1
	v_and_b32_e32 v45, 0x7f, v44
	v_mov_b32_e32 v42, 0x7f800001
	s_mov_b32 s44, exec_lo
	v_cmpx_ne_u32_e32 0x7f, v45
	s_cbranch_execz .LBB305_103
; %bb.100:                              ;   in Loop: Header=BB305_12 Depth=1
	v_and_b32_e32 v9, 7, v44
	v_lshrrev_b32_e32 v42, 3, v45
	s_mov_b32 s45, exec_lo
	v_cmpx_gt_u32_e32 8, v45
; %bb.101:                              ;   in Loop: Header=BB305_12 Depth=1
	v_ffbh_u32_e32 v42, v9
	v_min_u32_e32 v42, 32, v42
	v_subrev_nc_u32_e32 v45, 28, v42
	v_sub_nc_u32_e32 v42, 29, v42
	v_lshlrev_b64 v[45:46], v45, v[9:10]
	v_and_b32_e32 v9, 7, v45
; %bb.102:                              ;   in Loop: Header=BB305_12 Depth=1
	s_or_b32 exec_lo, exec_lo, s45
	v_lshlrev_b32_e32 v45, 24, v44
	v_lshlrev_b32_e32 v9, 20, v9
	v_lshl_add_u32 v42, v42, 23, 0x3c000000
	v_and_b32_e32 v45, 0x80000000, v45
	v_or3_b32 v42, v9, v45, v42
.LBB305_103:                            ;   in Loop: Header=BB305_12 Depth=1
	s_or_b32 exec_lo, exec_lo, s44
.LBB305_104:                            ;   in Loop: Header=BB305_12 Depth=1
	s_or_b32 exec_lo, exec_lo, s43
.LBB305_105:                            ;   in Loop: Header=BB305_12 Depth=1
	s_or_b32 exec_lo, exec_lo, s42
	v_cmp_ne_u16_sdwa s3, v44, v10 src0_sel:BYTE_1 src1_sel:DWORD
	s_and_saveexec_b32 s42, s3
	s_cbranch_execz .LBB305_113
; %bb.106:                              ;   in Loop: Header=BB305_12 Depth=1
	v_cmp_ne_u16_sdwa s3, v44, v26 src0_sel:BYTE_1 src1_sel:DWORD
	v_bfrev_b32_e32 v43, 1
	s_and_saveexec_b32 s43, s3
	s_cbranch_execz .LBB305_112
; %bb.107:                              ;   in Loop: Header=BB305_12 Depth=1
	v_and_b32_sdwa v9, v27, v44 dst_sel:DWORD dst_unused:UNUSED_PAD src0_sel:DWORD src1_sel:BYTE_1
	v_mov_b32_e32 v43, 0x7f800001
	s_mov_b32 s44, exec_lo
	v_and_b32_e32 v45, 0x7f, v9
	v_cmpx_ne_u32_e32 0x7f, v45
	s_cbranch_execz .LBB305_111
; %bb.108:                              ;   in Loop: Header=BB305_12 Depth=1
	v_and_b32_e32 v9, 7, v9
	v_lshrrev_b32_e32 v43, 3, v45
	s_mov_b32 s45, exec_lo
	v_cmpx_gt_u32_e32 8, v45
; %bb.109:                              ;   in Loop: Header=BB305_12 Depth=1
	v_ffbh_u32_e32 v43, v9
	v_min_u32_e32 v43, 32, v43
	v_subrev_nc_u32_e32 v45, 28, v43
	v_sub_nc_u32_e32 v43, 29, v43
	v_lshlrev_b64 v[45:46], v45, v[9:10]
	v_and_b32_e32 v9, 7, v45
; %bb.110:                              ;   in Loop: Header=BB305_12 Depth=1
	s_or_b32 exec_lo, exec_lo, s45
	v_lshlrev_b32_e32 v44, 16, v44
	v_lshlrev_b32_e32 v9, 20, v9
	v_lshl_add_u32 v43, v43, 23, 0x3c000000
	v_and_b32_e32 v44, 0x80000000, v44
	v_or3_b32 v43, v9, v44, v43
.LBB305_111:                            ;   in Loop: Header=BB305_12 Depth=1
	s_or_b32 exec_lo, exec_lo, s44
.LBB305_112:                            ;   in Loop: Header=BB305_12 Depth=1
	s_or_b32 exec_lo, exec_lo, s43
.LBB305_113:                            ;   in Loop: Header=BB305_12 Depth=1
	s_or_b32 exec_lo, exec_lo, s42
	global_load_ushort v9, v[15:16], off offset:384
	v_mov_b32_e32 v45, 0
	v_mov_b32_e32 v44, 0
	s_waitcnt vmcnt(0)
	v_and_b32_e32 v46, 0xffff, v9
	v_cmp_ne_u16_sdwa s3, v9, v10 src0_sel:BYTE_0 src1_sel:DWORD
	s_and_saveexec_b32 s42, s3
	s_cbranch_execz .LBB305_121
; %bb.114:                              ;   in Loop: Header=BB305_12 Depth=1
	v_cmp_ne_u16_sdwa s3, v46, v26 src0_sel:BYTE_0 src1_sel:DWORD
	v_bfrev_b32_e32 v44, 1
	s_and_saveexec_b32 s43, s3
	s_cbranch_execz .LBB305_120
; %bb.115:                              ;   in Loop: Header=BB305_12 Depth=1
	v_and_b32_e32 v47, 0x7f, v46
	v_mov_b32_e32 v44, 0x7f800001
	s_mov_b32 s44, exec_lo
	v_cmpx_ne_u32_e32 0x7f, v47
	s_cbranch_execz .LBB305_119
; %bb.116:                              ;   in Loop: Header=BB305_12 Depth=1
	v_and_b32_e32 v9, 7, v46
	v_lshrrev_b32_e32 v44, 3, v47
	s_mov_b32 s45, exec_lo
	v_cmpx_gt_u32_e32 8, v47
; %bb.117:                              ;   in Loop: Header=BB305_12 Depth=1
	v_ffbh_u32_e32 v44, v9
	v_min_u32_e32 v44, 32, v44
	v_subrev_nc_u32_e32 v47, 28, v44
	v_sub_nc_u32_e32 v44, 29, v44
	v_lshlrev_b64 v[47:48], v47, v[9:10]
	v_and_b32_e32 v9, 7, v47
; %bb.118:                              ;   in Loop: Header=BB305_12 Depth=1
	s_or_b32 exec_lo, exec_lo, s45
	v_lshlrev_b32_e32 v47, 24, v46
	v_lshlrev_b32_e32 v9, 20, v9
	v_lshl_add_u32 v44, v44, 23, 0x3c000000
	v_and_b32_e32 v47, 0x80000000, v47
	v_or3_b32 v44, v9, v47, v44
.LBB305_119:                            ;   in Loop: Header=BB305_12 Depth=1
	s_or_b32 exec_lo, exec_lo, s44
.LBB305_120:                            ;   in Loop: Header=BB305_12 Depth=1
	s_or_b32 exec_lo, exec_lo, s43
.LBB305_121:                            ;   in Loop: Header=BB305_12 Depth=1
	s_or_b32 exec_lo, exec_lo, s42
	v_cmp_ne_u16_sdwa s3, v46, v10 src0_sel:BYTE_1 src1_sel:DWORD
	s_and_saveexec_b32 s42, s3
	s_cbranch_execz .LBB305_129
; %bb.122:                              ;   in Loop: Header=BB305_12 Depth=1
	v_cmp_ne_u16_sdwa s3, v46, v26 src0_sel:BYTE_1 src1_sel:DWORD
	v_bfrev_b32_e32 v45, 1
	s_and_saveexec_b32 s43, s3
	s_cbranch_execz .LBB305_128
; %bb.123:                              ;   in Loop: Header=BB305_12 Depth=1
	v_and_b32_sdwa v9, v27, v46 dst_sel:DWORD dst_unused:UNUSED_PAD src0_sel:DWORD src1_sel:BYTE_1
	v_mov_b32_e32 v45, 0x7f800001
	s_mov_b32 s44, exec_lo
	v_and_b32_e32 v47, 0x7f, v9
	v_cmpx_ne_u32_e32 0x7f, v47
	s_cbranch_execz .LBB305_127
; %bb.124:                              ;   in Loop: Header=BB305_12 Depth=1
	v_and_b32_e32 v9, 7, v9
	v_lshrrev_b32_e32 v45, 3, v47
	s_mov_b32 s45, exec_lo
	v_cmpx_gt_u32_e32 8, v47
; %bb.125:                              ;   in Loop: Header=BB305_12 Depth=1
	v_ffbh_u32_e32 v45, v9
	v_min_u32_e32 v45, 32, v45
	v_subrev_nc_u32_e32 v47, 28, v45
	v_sub_nc_u32_e32 v45, 29, v45
	v_lshlrev_b64 v[47:48], v47, v[9:10]
	v_and_b32_e32 v9, 7, v47
; %bb.126:                              ;   in Loop: Header=BB305_12 Depth=1
	s_or_b32 exec_lo, exec_lo, s45
	v_lshlrev_b32_e32 v46, 16, v46
	v_lshlrev_b32_e32 v9, 20, v9
	v_lshl_add_u32 v45, v45, 23, 0x3c000000
	v_and_b32_e32 v46, 0x80000000, v46
	v_or3_b32 v45, v9, v46, v45
.LBB305_127:                            ;   in Loop: Header=BB305_12 Depth=1
	s_or_b32 exec_lo, exec_lo, s44
.LBB305_128:                            ;   in Loop: Header=BB305_12 Depth=1
	s_or_b32 exec_lo, exec_lo, s43
.LBB305_129:                            ;   in Loop: Header=BB305_12 Depth=1
	s_or_b32 exec_lo, exec_lo, s42
	global_load_ushort v9, v[15:16], off offset:392
	v_mov_b32_e32 v15, 0
	v_mov_b32_e32 v46, 0
	s_waitcnt vmcnt(0)
	v_and_b32_e32 v16, 0xffff, v9
	v_cmp_ne_u16_sdwa s3, v9, v10 src0_sel:BYTE_0 src1_sel:DWORD
	s_and_saveexec_b32 s42, s3
	s_cbranch_execz .LBB305_137
; %bb.130:                              ;   in Loop: Header=BB305_12 Depth=1
	v_cmp_ne_u16_sdwa s3, v16, v26 src0_sel:BYTE_0 src1_sel:DWORD
	v_bfrev_b32_e32 v46, 1
	s_and_saveexec_b32 s43, s3
	s_cbranch_execz .LBB305_136
; %bb.131:                              ;   in Loop: Header=BB305_12 Depth=1
	v_and_b32_e32 v47, 0x7f, v16
	v_mov_b32_e32 v46, 0x7f800001
	s_mov_b32 s44, exec_lo
	v_cmpx_ne_u32_e32 0x7f, v47
	s_cbranch_execz .LBB305_135
; %bb.132:                              ;   in Loop: Header=BB305_12 Depth=1
	v_and_b32_e32 v9, 7, v16
	v_lshrrev_b32_e32 v46, 3, v47
	s_mov_b32 s45, exec_lo
	v_cmpx_gt_u32_e32 8, v47
; %bb.133:                              ;   in Loop: Header=BB305_12 Depth=1
	v_ffbh_u32_e32 v46, v9
	v_min_u32_e32 v46, 32, v46
	v_subrev_nc_u32_e32 v47, 28, v46
	v_sub_nc_u32_e32 v46, 29, v46
	v_lshlrev_b64 v[47:48], v47, v[9:10]
	v_and_b32_e32 v9, 7, v47
; %bb.134:                              ;   in Loop: Header=BB305_12 Depth=1
	s_or_b32 exec_lo, exec_lo, s45
	v_lshlrev_b32_e32 v47, 24, v16
	v_lshlrev_b32_e32 v9, 20, v9
	v_lshl_add_u32 v46, v46, 23, 0x3c000000
	v_and_b32_e32 v47, 0x80000000, v47
	v_or3_b32 v46, v9, v47, v46
.LBB305_135:                            ;   in Loop: Header=BB305_12 Depth=1
	s_or_b32 exec_lo, exec_lo, s44
.LBB305_136:                            ;   in Loop: Header=BB305_12 Depth=1
	s_or_b32 exec_lo, exec_lo, s43
.LBB305_137:                            ;   in Loop: Header=BB305_12 Depth=1
	s_or_b32 exec_lo, exec_lo, s42
	v_cmp_ne_u16_sdwa s3, v16, v10 src0_sel:BYTE_1 src1_sel:DWORD
	s_and_saveexec_b32 s42, s3
	s_cbranch_execz .LBB305_145
; %bb.138:                              ;   in Loop: Header=BB305_12 Depth=1
	v_cmp_ne_u16_sdwa s3, v16, v26 src0_sel:BYTE_1 src1_sel:DWORD
	v_bfrev_b32_e32 v15, 1
	s_and_saveexec_b32 s43, s3
	s_cbranch_execz .LBB305_144
; %bb.139:                              ;   in Loop: Header=BB305_12 Depth=1
	v_and_b32_sdwa v9, v27, v16 dst_sel:DWORD dst_unused:UNUSED_PAD src0_sel:DWORD src1_sel:BYTE_1
	v_mov_b32_e32 v15, 0x7f800001
	s_mov_b32 s44, exec_lo
	v_and_b32_e32 v47, 0x7f, v9
	v_cmpx_ne_u32_e32 0x7f, v47
	s_cbranch_execz .LBB305_143
; %bb.140:                              ;   in Loop: Header=BB305_12 Depth=1
	v_and_b32_e32 v9, 7, v9
	v_lshrrev_b32_e32 v15, 3, v47
	s_mov_b32 s45, exec_lo
	v_cmpx_gt_u32_e32 8, v47
; %bb.141:                              ;   in Loop: Header=BB305_12 Depth=1
	v_ffbh_u32_e32 v15, v9
	v_min_u32_e32 v15, 32, v15
	v_subrev_nc_u32_e32 v47, 28, v15
	v_sub_nc_u32_e32 v15, 29, v15
	v_lshlrev_b64 v[47:48], v47, v[9:10]
	v_and_b32_e32 v9, 7, v47
; %bb.142:                              ;   in Loop: Header=BB305_12 Depth=1
	s_or_b32 exec_lo, exec_lo, s45
	v_lshlrev_b32_e32 v16, 16, v16
	v_lshlrev_b32_e32 v9, 20, v9
	v_lshl_add_u32 v15, v15, 23, 0x3c000000
	v_and_b32_e32 v16, 0x80000000, v16
	v_or3_b32 v15, v9, v16, v15
.LBB305_143:                            ;   in Loop: Header=BB305_12 Depth=1
	s_or_b32 exec_lo, exec_lo, s44
.LBB305_144:                            ;   in Loop: Header=BB305_12 Depth=1
	s_or_b32 exec_lo, exec_lo, s43
.LBB305_145:                            ;   in Loop: Header=BB305_12 Depth=1
	s_or_b32 exec_lo, exec_lo, s42
	s_waitcnt lgkmcnt(0)
	v_mul_f32_e32 v9, s41, v46
	v_mul_f32_e32 v16, s41, v45
	;; [unrolled: 1-line block ×5, first 2 shown]
	v_bfe_u32 v45, v9, 16, 1
	v_or_b32_e32 v46, 0x400000, v9
	v_bfe_u32 v47, v16, 16, 1
	v_cmp_u_f32_e64 s3, v9, v9
	v_bfe_u32 v48, v44, 16, 1
	v_add3_u32 v45, v45, v9, 0x7fff
	v_or_b32_e32 v49, 0x400000, v16
	v_add3_u32 v47, v47, v16, 0x7fff
	v_or_b32_e32 v50, 0x400000, v44
	v_add3_u32 v48, v48, v44, 0x7fff
	v_cndmask_b32_e64 v9, v45, v46, s3
	v_cmp_u_f32_e64 s3, v16, v16
	v_bfe_u32 v45, v43, 16, 1
	v_bfe_u32 v46, v42, 16, 1
	v_mul_f32_e32 v41, s41, v41
	v_mul_f32_e32 v40, s41, v40
	v_cndmask_b32_e64 v16, v47, v49, s3
	v_cmp_u_f32_e64 s3, v44, v44
	v_add3_u32 v45, v45, v43, 0x7fff
	v_or_b32_e32 v47, 0x400000, v43
	v_add3_u32 v46, v46, v42, 0x7fff
	v_bfe_u32 v49, v41, 16, 1
	v_cndmask_b32_e64 v44, v48, v50, s3
	v_cmp_u_f32_e64 s3, v43, v43
	v_or_b32_e32 v48, 0x400000, v42
	v_mul_f32_e32 v39, s41, v39
	v_mul_f32_e32 v38, s41, v38
	;; [unrolled: 1-line block ×3, first 2 shown]
	v_cndmask_b32_e64 v43, v45, v47, s3
	v_cmp_u_f32_e64 s3, v42, v42
	v_bfe_u32 v45, v40, 16, 1
	v_or_b32_e32 v47, 0x400000, v41
	v_mul_f32_e32 v36, s41, v36
	v_mul_f32_e32 v35, s41, v35
	v_cndmask_b32_e64 v42, v46, v48, s3
	v_add3_u32 v46, v49, v41, 0x7fff
	v_cmp_u_f32_e64 s3, v41, v41
	v_add3_u32 v45, v45, v40, 0x7fff
	v_or_b32_e32 v48, 0x400000, v40
	v_bfe_u32 v49, v39, 16, 1
	v_mul_f32_e32 v34, s41, v34
	v_cndmask_b32_e64 v41, v46, v47, s3
	v_cmp_u_f32_e64 s3, v40, v40
	v_bfe_u32 v46, v38, 16, 1
	v_or_b32_e32 v47, 0x400000, v39
	v_mul_f32_e32 v33, s41, v33
	v_mul_f32_e32 v32, s41, v32
	v_cndmask_b32_e64 v40, v45, v48, s3
	v_add3_u32 v45, v49, v39, 0x7fff
	v_cmp_u_f32_e64 s3, v39, v39
	v_add3_u32 v46, v46, v38, 0x7fff
	v_or_b32_e32 v48, 0x400000, v38
	v_bfe_u32 v49, v37, 16, 1
	v_or_b32_e32 v50, 0x400000, v32
	v_cndmask_b32_e64 v39, v45, v47, s3
	v_cmp_u_f32_e64 s3, v38, v38
	v_bfe_u32 v45, v36, 16, 1
	v_or_b32_e32 v47, 0x400000, v37
	v_mul_f32_e32 v15, s41, v15
	v_cndmask_b32_e64 v38, v46, v48, s3
	v_add3_u32 v46, v49, v37, 0x7fff
	v_cmp_u_f32_e64 s3, v37, v37
	v_add3_u32 v45, v45, v36, 0x7fff
	v_or_b32_e32 v48, 0x400000, v36
	v_or_b32_e32 v49, 0x400000, v33
	v_cndmask_b32_e64 v37, v46, v47, s3
	v_bfe_u32 v46, v35, 16, 1
	v_cmp_u_f32_e64 s3, v36, v36
	v_bfe_u32 v47, v34, 16, 1
	v_cndmask_b32_e64 v36, v45, v48, s3
	v_add3_u32 v45, v46, v35, 0x7fff
	v_or_b32_e32 v46, 0x400000, v35
	v_cmp_u_f32_e64 s3, v35, v35
	v_bfe_u32 v48, v33, 16, 1
	v_cndmask_b32_e64 v35, v45, v46, s3
	v_add3_u32 v46, v47, v34, 0x7fff
	v_or_b32_e32 v47, 0x400000, v34
	v_cmp_u_f32_e64 s3, v34, v34
	v_bfe_u32 v45, v32, 16, 1
	v_add3_u32 v48, v48, v33, 0x7fff
	v_and_b32_e32 v35, 0xffff0000, v35
	v_cndmask_b32_e64 v34, v46, v47, s3
	v_cmp_u_f32_e64 s3, v33, v33
	v_add3_u32 v45, v45, v32, 0x7fff
	v_lshlrev_b32_e32 v46, 16, v6
	v_and_b32_e32 v6, 0xffff0000, v6
	v_and_b32_e32 v34, 0xffff0000, v34
	v_cndmask_b32_e64 v33, v48, v49, s3
	v_cmp_u_f32_e64 s3, v32, v32
	v_lshlrev_b32_e32 v47, 16, v7
	v_mul_f32_e32 v6, v6, v35
	v_mul_f32_e32 v34, v46, v34
	v_and_b32_e32 v33, 0xffff0000, v33
	v_cndmask_b32_e64 v32, v45, v50, s3
	v_lshlrev_b32_e32 v45, 16, v5
	v_and_b32_e32 v5, 0xffff0000, v5
	v_and_b32_e32 v7, 0xffff0000, v7
	v_lshlrev_b32_e32 v35, 16, v8
	v_and_b32_e32 v32, 0xffff0000, v32
	v_and_b32_e32 v8, 0xffff0000, v8
	v_fmac_f32_e32 v6, v5, v33
	v_and_b32_e32 v5, 0xffff0000, v36
	v_lshlrev_b32_e32 v46, 16, v1
	v_fmac_f32_e32 v34, v45, v32
	v_and_b32_e32 v32, 0xffff0000, v37
	v_and_b32_e32 v1, 0xffff0000, v1
	v_lshlrev_b32_e32 v33, 16, v2
	v_and_b32_e32 v2, 0xffff0000, v2
	v_fmac_f32_e32 v34, v47, v5
	v_fmac_f32_e32 v6, v7, v32
	v_and_b32_e32 v5, 0xffff0000, v38
	v_and_b32_e32 v7, 0xffff0000, v39
	v_cmp_u_f32_e64 s3, v15, v15
	v_lshlrev_b32_e32 v36, 16, v3
	v_and_b32_e32 v3, 0xffff0000, v3
	v_fmac_f32_e32 v34, v35, v5
	v_fmac_f32_e32 v6, v8, v7
	v_and_b32_e32 v5, 0xffff0000, v40
	v_and_b32_e32 v7, 0xffff0000, v41
	v_bfe_u32 v35, v15, 16, 1
	v_xor_b32_e32 v8, 2, v18
	v_lshlrev_b32_e32 v32, 16, v4
	v_fmac_f32_e32 v34, v46, v5
	v_fmac_f32_e32 v6, v1, v7
	v_and_b32_e32 v1, 0xffff0000, v42
	v_and_b32_e32 v5, 0xffff0000, v43
	v_add3_u32 v7, v35, v15, 0x7fff
	v_or_b32_e32 v35, 0x400000, v15
	v_and_b32_e32 v4, 0xffff0000, v4
	v_fmac_f32_e32 v34, v33, v1
	v_fmac_f32_e32 v6, v2, v5
	v_and_b32_e32 v1, 0xffff0000, v44
	v_and_b32_e32 v2, 0xffff0000, v16
	v_cndmask_b32_e64 v5, v7, v35, s3
	v_cmp_gt_i32_e64 s3, 32, v8
	v_fmac_f32_e32 v34, v36, v1
	v_fmac_f32_e32 v6, v3, v2
	v_and_b32_e32 v1, 0xffff0000, v9
	v_and_b32_e32 v2, 0xffff0000, v5
	v_cndmask_b32_e64 v3, v18, v8, s3
	v_fmac_f32_e32 v34, v32, v1
	v_fmac_f32_e32 v6, v4, v2
	v_lshlrev_b32_e32 v1, 2, v3
	v_xor_b32_e32 v3, 1, v18
	v_add_f32_e32 v2, v34, v6
	v_cmp_gt_i32_e64 s3, 32, v3
	ds_bpermute_b32 v1, v1, v2
	v_cndmask_b32_e64 v3, v18, v3, s3
	v_lshlrev_b32_e32 v3, 2, v3
	s_waitcnt lgkmcnt(0)
	v_add_f32_e32 v1, v2, v1
	ds_bpermute_b32 v2, v3, v1
	s_and_saveexec_b32 s41, vcc_lo
	s_cbranch_execz .LBB305_10
; %bb.146:                              ;   in Loop: Header=BB305_12 Depth=1
	v_add_nc_u32_e32 v3, v28, v24
	s_waitcnt lgkmcnt(0)
	v_add_f32_e32 v1, v1, v2
	v_cvt_f32_i32_e32 v3, v3
	v_mul_f32_e32 v3, s36, v3
	v_cndmask_b32_e64 v2, 0, v3, s2
	v_max_f32_e32 v3, v20, v20
	v_fmac_f32_e32 v2, s35, v1
	v_add_nc_u32_e32 v1, v19, v24
	v_max_f32_e32 v3, v3, v2
	v_cmp_gt_i32_e64 s3, s11, v1
	v_cndmask_b32_e64 v1, 0, v2, s3
	v_cndmask_b32_e64 v20, v20, v3, s3
	ds_write_b32 v29, v1
	s_branch .LBB305_10
.LBB305_147:
	s_or_b32 exec_lo, exec_lo, s39
.LBB305_148:
	s_or_b32 exec_lo, exec_lo, s37
	v_xor_b32_e32 v1, 16, v18
	v_xor_b32_e32 v3, 8, v18
	v_max_f32_e32 v4, v20, v20
	v_xor_b32_e32 v5, 4, v18
	v_and_b32_e32 v23, 31, v0
	v_cmp_gt_i32_e32 vcc_lo, 32, v1
	v_cndmask_b32_e32 v1, v18, v1, vcc_lo
	v_cmp_gt_i32_e32 vcc_lo, 32, v3
	s_waitcnt lgkmcnt(0)
	v_lshlrev_b32_e32 v2, 2, v1
	v_cndmask_b32_e32 v3, v18, v3, vcc_lo
	v_cmp_gt_i32_e32 vcc_lo, 32, v5
	ds_bpermute_b32 v1, v2, v20
	v_lshlrev_b32_e32 v3, 2, v3
	v_cndmask_b32_e32 v5, v18, v5, vcc_lo
	v_cmp_eq_u32_e32 vcc_lo, 0, v23
	v_lshlrev_b32_e32 v6, 2, v5
	s_waitcnt lgkmcnt(0)
	v_max_f32_e32 v1, v1, v1
	v_max_f32_e32 v1, v4, v1
	ds_bpermute_b32 v4, v3, v1
	s_waitcnt lgkmcnt(0)
	v_max_f32_e32 v4, v4, v4
	v_max_f32_e32 v1, v1, v4
	v_lshlrev_b32_e32 v4, 2, v21
	ds_bpermute_b32 v5, v6, v1
	s_and_saveexec_b32 s2, vcc_lo
	s_cbranch_execz .LBB305_150
; %bb.149:
	s_waitcnt lgkmcnt(0)
	v_max_f32_e32 v5, v5, v5
	v_max_f32_e32 v1, v1, v1
	;; [unrolled: 1-line block ×3, first 2 shown]
	ds_write_b32 v4, v1 offset:128
.LBB305_150:
	s_or_b32 exec_lo, exec_lo, s2
	v_cmp_gt_u32_e64 s2, 4, v23
	v_mov_b32_e32 v1, 0xff7fffff
	s_waitcnt lgkmcnt(0)
	v_lshlrev_b32_e32 v5, 2, v23
	s_barrier
	buffer_gl0_inv
	s_and_saveexec_b32 s3, s2
; %bb.151:
	ds_read_b32 v1, v5 offset:128
; %bb.152:
	s_or_b32 exec_lo, exec_lo, s3
	v_xor_b32_e32 v7, 2, v18
	v_xor_b32_e32 v9, 1, v18
	v_cmp_gt_i32_e64 s3, 32, v7
	v_cndmask_b32_e64 v7, v18, v7, s3
	v_cmp_gt_i32_e64 s3, 32, v9
	v_lshlrev_b32_e32 v7, 2, v7
	v_cndmask_b32_e64 v9, v18, v9, s3
	s_lshl_b32 s3, s20, 3
	s_min_i32 s5, s3, s11
	s_waitcnt lgkmcnt(0)
	ds_bpermute_b32 v8, v7, v1
	v_max_f32_e32 v1, v1, v1
	v_cmp_gt_i32_e64 s3, s5, v0
	s_waitcnt lgkmcnt(0)
	v_max_f32_e32 v10, v8, v8
	v_lshlrev_b32_e32 v8, 2, v9
	v_max_f32_e32 v1, v1, v10
	ds_bpermute_b32 v9, v8, v1
	s_waitcnt lgkmcnt(0)
	v_max_f32_e32 v9, v9, v9
	v_max_f32_e32 v1, v1, v9
	v_mov_b32_e32 v9, 0
	ds_bpermute_b32 v10, v9, v1
	v_lshl_add_u32 v1, v0, 2, 0xa0
	s_and_saveexec_b32 s12, s3
	s_cbranch_execz .LBB305_156
; %bb.153:
	v_lshl_add_u32 v11, v0, 2, 0xa0
	v_mov_b32_e32 v9, 0
	v_mov_b32_e32 v12, v0
	s_mov_b32 s13, 0
	.p2align	6
.LBB305_154:                            ; =>This Inner Loop Header: Depth=1
	ds_read_b32 v13, v11
	v_add_nc_u32_e32 v12, 0x80, v12
	v_cmp_le_i32_e64 s4, s5, v12
	s_or_b32 s13, s4, s13
	s_waitcnt lgkmcnt(0)
	v_sub_f32_e32 v13, v13, v10
	v_mul_f32_e32 v13, 0x3fb8aa3b, v13
	v_exp_f32_e32 v13, v13
	ds_write_b32 v11, v13
	v_add_f32_e32 v9, v9, v13
	v_add_nc_u32_e32 v11, 0x200, v11
	s_andn2_b32 exec_lo, exec_lo, s13
	s_cbranch_execnz .LBB305_154
; %bb.155:
	s_or_b32 exec_lo, exec_lo, s13
.LBB305_156:
	s_or_b32 exec_lo, exec_lo, s12
	ds_bpermute_b32 v2, v2, v9
	s_waitcnt lgkmcnt(0)
	v_add_f32_e32 v2, v9, v2
	ds_bpermute_b32 v3, v3, v2
	s_waitcnt lgkmcnt(0)
	v_add_f32_e32 v2, v2, v3
	;; [unrolled: 3-line block ×5, first 2 shown]
	s_and_saveexec_b32 s4, vcc_lo
; %bb.157:
	ds_write_b32 v4, v2 offset:144
; %bb.158:
	s_or_b32 exec_lo, exec_lo, s4
	s_waitcnt lgkmcnt(0)
	s_barrier
	buffer_gl0_inv
	s_and_saveexec_b32 s4, s2
; %bb.159:
	ds_read_b32 v2, v5 offset:144
; %bb.160:
	s_or_b32 exec_lo, exec_lo, s4
	s_waitcnt lgkmcnt(0)
	ds_bpermute_b32 v3, v7, v2
	s_waitcnt lgkmcnt(0)
	v_add_f32_e32 v2, v2, v3
	ds_bpermute_b32 v3, v8, v2
	s_waitcnt lgkmcnt(0)
	v_add_f32_e32 v2, v2, v3
	v_mov_b32_e32 v3, 0
	ds_bpermute_b32 v2, v3, v2
	s_and_saveexec_b32 s2, s3
	s_cbranch_execz .LBB305_163
; %bb.161:
	s_waitcnt lgkmcnt(0)
	v_add_f32_e32 v2, 0x358637bd, v2
	s_mov_b32 s3, 0
	v_div_scale_f32 v3, null, v2, v2, 1.0
	v_div_scale_f32 v6, vcc_lo, 1.0, v2, 1.0
	v_rcp_f32_e32 v4, v3
	v_fma_f32 v5, -v3, v4, 1.0
	v_fmac_f32_e32 v4, v5, v4
	v_mul_f32_e32 v5, v6, v4
	v_fma_f32 v7, -v3, v5, v6
	v_fmac_f32_e32 v5, v7, v4
	v_fma_f32 v3, -v3, v5, v6
	v_div_fmas_f32 v3, v3, v4, v5
	v_div_fixup_f32 v2, v3, v2, 1.0
	v_mov_b32_e32 v3, v0
.LBB305_162:                            ; =>This Inner Loop Header: Depth=1
	ds_read_b32 v4, v1
	v_add_nc_u32_e32 v3, 0x80, v3
	v_cmp_le_i32_e32 vcc_lo, s5, v3
	s_or_b32 s3, vcc_lo, s3
	s_waitcnt lgkmcnt(0)
	v_mul_f32_e32 v4, v2, v4
	ds_write_b32 v1, v4
	v_add_nc_u32_e32 v1, 0x200, v1
	s_andn2_b32 exec_lo, exec_lo, s3
	s_cbranch_execnz .LBB305_162
.LBB305_163:
	s_or_b32 exec_lo, exec_lo, s2
	v_mov_b32_e32 v25, 0
	v_mov_b32_e32 v24, 0
	s_waitcnt lgkmcnt(0)
	s_barrier
	buffer_gl0_inv
	s_and_saveexec_b32 s4, s1
	s_cbranch_execz .LBB305_293
; %bb.164:
	s_sub_i32 s5, s34, s21
	s_ashr_i32 s1, s18, 31
	s_add_u32 s18, s30, s18
	s_addc_u32 s1, s31, s1
	s_abs_i32 s12, s22
	v_lshlrev_b32_e32 v2, 3, v23
	v_cvt_f32_u32_e32 v1, s12
	s_sub_i32 s2, 0, s12
	v_and_b32_e32 v3, 0x7c, v17
	s_mov_b32 s13, s17
	v_add_co_u32 v11, s18, s18, v2
	v_rcp_iflag_f32_e32 v1, v1
	s_add_i32 s17, s20, -1
	v_add_co_ci_u32_e64 v12, null, s1, 0, s18
	v_mov_b32_e32 v10, 0
	v_lshl_add_u32 v26, v21, 5, 0xa0
	v_mov_b32_e32 v27, 0x80
	v_mov_b32_e32 v28, 0xffff
	;; [unrolled: 1-line block ×4, first 2 shown]
	v_mul_f32_e32 v1, 0x4f7ffffe, v1
	v_mov_b32_e32 v31, 24
	v_mov_b32_e32 v32, v21
	;; [unrolled: 1-line block ×4, first 2 shown]
	v_cvt_u32_f32_e32 v1, v1
	s_mov_b32 s18, 0
	v_mul_lo_u32 v4, s2, v1
	s_lshl_b64 s[2:3], s[28:29], 2
	s_add_u32 s1, s26, s2
	s_addc_u32 s2, s27, s3
	v_add_co_u32 v13, s1, s1, v3
	v_add_co_ci_u32_e64 v14, null, s2, 0, s1
	v_mul_hi_u32 v4, v1, v4
	s_mov_b32 s2, -1
	s_mov_b32 s3, 0xffffff
	v_add_nc_u32_e32 v33, v1, v4
	s_branch .LBB305_167
.LBB305_165:                            ;   in Loop: Header=BB305_167 Depth=1
	s_or_b32 exec_lo, exec_lo, s1
	v_bfe_u32 v40, v5, 16, 1
	v_or_b32_e32 v41, 0x400000, v5
	v_bfe_u32 v42, v6, 16, 1
	v_cmp_u_f32_e32 vcc_lo, v5, v5
	v_bfe_u32 v43, v7, 16, 1
	v_add3_u32 v40, v40, v5, 0x7fff
	v_or_b32_e32 v44, 0x400000, v6
	v_add3_u32 v42, v42, v6, 0x7fff
	v_or_b32_e32 v45, 0x400000, v7
	v_add3_u32 v43, v43, v7, 0x7fff
	v_cndmask_b32_e32 v5, v40, v41, vcc_lo
	v_cmp_u_f32_e32 vcc_lo, v6, v6
	v_bfe_u32 v40, v8, 16, 1
	v_bfe_u32 v41, v1, 16, 1
	v_lshlrev_b32_e32 v39, 16, v39
	v_and_b32_e32 v5, 0xffff0000, v5
	v_cndmask_b32_e32 v6, v42, v44, vcc_lo
	v_cmp_u_f32_e32 vcc_lo, v7, v7
	v_add3_u32 v40, v40, v8, 0x7fff
	v_or_b32_e32 v42, 0x400000, v8
	v_add3_u32 v41, v41, v1, 0x7fff
	v_bfe_u32 v44, v2, 16, 1
	v_cndmask_b32_e32 v7, v43, v45, vcc_lo
	v_cmp_u_f32_e32 vcc_lo, v8, v8
	v_or_b32_e32 v43, 0x400000, v1
	v_mul_f32_e32 v39, v5, v39
	v_and_b32_e32 v6, 0xffff0000, v6
	v_lshlrev_b32_e32 v38, 16, v38
	v_cndmask_b32_e32 v8, v40, v42, vcc_lo
	v_cmp_u_f32_e32 vcc_lo, v1, v1
	v_add3_u32 v40, v44, v2, 0x7fff
	v_bfe_u32 v42, v3, 16, 1
	v_mul_f32_e32 v38, v6, v38
	v_and_b32_e32 v7, 0xffff0000, v7
	v_cndmask_b32_e32 v1, v41, v43, vcc_lo
	v_or_b32_e32 v41, 0x400000, v2
	v_cmp_u_f32_e32 vcc_lo, v2, v2
	v_lshlrev_b32_e32 v37, 16, v37
	v_and_b32_e32 v8, 0xffff0000, v8
	v_lshlrev_b32_e32 v35, 16, v35
	v_and_b32_e32 v1, 0xffff0000, v1
	v_cndmask_b32_e32 v2, v40, v41, vcc_lo
	v_add3_u32 v40, v42, v3, 0x7fff
	v_or_b32_e32 v41, 0x400000, v3
	v_bfe_u32 v42, v4, 16, 1
	v_cmp_u_f32_e32 vcc_lo, v3, v3
	v_mul_f32_e32 v37, v7, v37
	v_mul_f32_e32 v35, v8, v35
	v_lshlrev_b32_e32 v20, 16, v20
	v_and_b32_e32 v2, 0xffff0000, v2
	v_cndmask_b32_e32 v3, v40, v41, vcc_lo
	v_add3_u32 v40, v42, v4, 0x7fff
	v_or_b32_e32 v41, 0x400000, v4
	v_bfe_u32 v42, v39, 16, 1
	v_cmp_u_f32_e32 vcc_lo, v4, v4
	v_or_b32_e32 v43, 0x400000, v37
	v_bfe_u32 v44, v35, 16, 1
	v_mul_f32_e32 v20, v1, v20
	v_lshlrev_b32_e32 v19, 16, v19
	v_cndmask_b32_e32 v4, v40, v41, vcc_lo
	v_add3_u32 v40, v42, v39, 0x7fff
	v_or_b32_e32 v41, 0x400000, v39
	v_bfe_u32 v42, v38, 16, 1
	v_cmp_u_f32_e32 vcc_lo, v39, v39
	v_mul_f32_e32 v19, v2, v19
	v_and_b32_e32 v3, 0xffff0000, v3
	v_lshlrev_b32_e32 v36, 16, v36
	v_and_b32_e32 v4, 0xffff0000, v4
	v_cndmask_b32_e32 v39, v40, v41, vcc_lo
	v_add3_u32 v40, v42, v38, 0x7fff
	v_bfe_u32 v41, v37, 16, 1
	v_or_b32_e32 v42, 0x400000, v38
	v_cmp_u_f32_e32 vcc_lo, v38, v38
	v_mul_f32_e32 v36, v3, v36
	v_lshlrev_b32_e32 v34, 16, v34
	v_add3_u32 v41, v41, v37, 0x7fff
	v_and_b32_e32 v39, 0xffff0000, v39
	v_cndmask_b32_e32 v38, v40, v42, vcc_lo
	v_cmp_u_f32_e32 vcc_lo, v37, v37
	v_add3_u32 v40, v44, v35, 0x7fff
	v_or_b32_e32 v42, 0x400000, v35
	v_mul_f32_e32 v34, v4, v34
	v_and_b32_e32 v38, 0xffff0000, v38
	v_cndmask_b32_e32 v37, v41, v43, vcc_lo
	v_bfe_u32 v41, v20, 16, 1
	v_cmp_u_f32_e32 vcc_lo, v35, v35
	v_or_b32_e32 v43, 0x400000, v20
	v_add_f32_e32 v38, v39, v38
	v_and_b32_e32 v37, 0xffff0000, v37
	v_add3_u32 v41, v41, v20, 0x7fff
	v_cndmask_b32_e32 v35, v40, v42, vcc_lo
	v_bfe_u32 v40, v19, 16, 1
	v_cmp_u_f32_e32 vcc_lo, v20, v20
	v_or_b32_e32 v42, 0x400000, v19
	v_lshlrev_b32_e32 v16, 16, v16
	v_and_b32_e32 v35, 0xffff0000, v35
	v_add3_u32 v40, v40, v19, 0x7fff
	v_cndmask_b32_e32 v20, v41, v43, vcc_lo
	v_cmp_u_f32_e32 vcc_lo, v19, v19
	v_bfe_u32 v41, v36, 16, 1
	v_or_b32_e32 v43, 0x400000, v36
	v_add_f32_e32 v35, v37, v35
	v_and_b32_e32 v20, 0xffff0000, v20
	v_cndmask_b32_e32 v19, v40, v42, vcc_lo
	v_lshlrev_b32_e32 v42, 16, v49
	v_add3_u32 v41, v41, v36, 0x7fff
	v_cmp_u_f32_e32 vcc_lo, v36, v36
	v_bfe_u32 v40, v34, 16, 1
	v_and_b32_e32 v19, 0xffff0000, v19
	v_mul_f32_e32 v5, v5, v42
	v_lshlrev_b32_e32 v37, 16, v48
	v_cndmask_b32_e32 v36, v41, v43, vcc_lo
	v_add3_u32 v40, v40, v34, 0x7fff
	v_or_b32_e32 v41, 0x400000, v34
	v_cmp_u_f32_e32 vcc_lo, v34, v34
	v_add_f32_e32 v35, v35, v38
	v_bfe_u32 v38, v5, 16, 1
	v_add_f32_e32 v19, v20, v19
	v_mul_f32_e32 v6, v6, v37
	v_lshlrev_b32_e32 v20, 16, v47
	v_cndmask_b32_e32 v34, v40, v41, vcc_lo
	v_add3_u32 v37, v38, v5, 0x7fff
	v_or_b32_e32 v38, 0x400000, v5
	v_bfe_u32 v39, v6, 16, 1
	v_mul_f32_e32 v7, v7, v20
	v_cmp_u_f32_e32 vcc_lo, v5, v5
	v_mul_f32_e32 v8, v8, v16
	v_lshlrev_b32_e32 v15, 16, v15
	v_add3_u32 v20, v39, v6, 0x7fff
	v_lshlrev_b32_e32 v9, 16, v9
	v_cndmask_b32_e32 v5, v37, v38, vcc_lo
	v_or_b32_e32 v37, 0x400000, v6
	v_bfe_u32 v38, v7, 16, 1
	v_cmp_u_f32_e32 vcc_lo, v6, v6
	v_mul_f32_e32 v1, v1, v15
	v_mul_f32_e32 v2, v2, v9
	v_lshlrev_b32_e32 v9, 16, v18
	v_add3_u32 v16, v38, v7, 0x7fff
	v_cndmask_b32_e32 v6, v20, v37, vcc_lo
	v_or_b32_e32 v20, 0x400000, v7
	v_bfe_u32 v37, v8, 16, 1
	v_cmp_u_f32_e32 vcc_lo, v7, v7
	v_lshlrev_b32_e32 v17, 16, v17
	v_mul_f32_e32 v3, v3, v9
	v_or_b32_e32 v9, 0x400000, v1
	v_add3_u32 v15, v37, v8, 0x7fff
	v_cndmask_b32_e32 v7, v16, v20, vcc_lo
	v_or_b32_e32 v16, 0x400000, v8
	v_bfe_u32 v20, v1, 16, 1
	v_cmp_u_f32_e32 vcc_lo, v8, v8
	v_mul_f32_e32 v4, v4, v17
	v_or_b32_e32 v17, 0x400000, v2
	v_bfe_u32 v18, v3, 16, 1
	v_and_b32_e32 v6, 0xffff0000, v6
	v_cndmask_b32_e32 v8, v15, v16, vcc_lo
	v_bfe_u32 v15, v2, 16, 1
	v_add3_u32 v16, v20, v1, 0x7fff
	v_cmp_u_f32_e32 vcc_lo, v1, v1
	v_bfe_u32 v20, v4, 16, 1
	v_and_b32_e32 v5, 0xffff0000, v5
	v_add3_u32 v15, v15, v2, 0x7fff
	v_and_b32_e32 v8, 0xffff0000, v8
	v_cndmask_b32_e32 v1, v16, v9, vcc_lo
	v_cmp_u_f32_e32 vcc_lo, v2, v2
	v_or_b32_e32 v16, 0x400000, v4
	v_add3_u32 v9, v18, v3, 0x7fff
	v_and_b32_e32 v7, 0xffff0000, v7
	v_add_f32_e32 v5, v5, v6
	v_cndmask_b32_e32 v2, v15, v17, vcc_lo
	v_add3_u32 v15, v20, v4, 0x7fff
	v_cmp_u_f32_e32 vcc_lo, v4, v4
	v_or_b32_e32 v17, 0x400000, v3
	v_add_f32_e32 v6, v7, v8
	v_and_b32_e32 v2, 0xffff0000, v2
	v_and_b32_e32 v1, 0xffff0000, v1
	v_cndmask_b32_e32 v4, v15, v16, vcc_lo
	v_cmp_u_f32_e32 vcc_lo, v3, v3
	v_and_b32_e32 v34, 0xffff0000, v34
	v_and_b32_e32 v7, 0xffff0000, v36
	v_add_f32_e32 v5, v6, v5
	v_add_f32_e32 v1, v1, v2
	v_cndmask_b32_e32 v3, v9, v17, vcc_lo
	v_and_b32_e32 v2, 0xffff0000, v4
	v_add_f32_e32 v4, v19, v35
	v_add_f32_e32 v6, v7, v34
	;; [unrolled: 1-line block ×3, first 2 shown]
	v_and_b32_e32 v3, 0xffff0000, v3
	v_add_f32_e32 v2, v3, v2
	v_add_f32_e32 v3, v6, v4
	;; [unrolled: 1-line block ×5, first 2 shown]
.LBB305_166:                            ;   in Loop: Header=BB305_167 Depth=1
	s_or_b32 exec_lo, exec_lo, s21
	v_add_nc_u32_e32 v32, 4, v32
	v_add_co_u32 v13, s1, v13, 16
	v_add_co_ci_u32_e64 v14, null, 0, v14, s1
	v_cmp_le_i32_e32 vcc_lo, s20, v32
	v_add_nc_u32_e32 v22, 32, v22
	v_add_nc_u32_e32 v26, 0x80, v26
	s_or_b32 s18, vcc_lo, s18
	s_andn2_b32 exec_lo, exec_lo, s18
	s_cbranch_execz .LBB305_292
.LBB305_167:                            ; =>This Inner Loop Header: Depth=1
	v_mul_hi_u32 v1, v22, s25
	v_mul_lo_u32 v2, v1, s19
	v_add_nc_u32_e32 v3, 1, v1
	v_sub_nc_u32_e32 v2, v22, v2
	v_subrev_nc_u32_e32 v4, s19, v2
	v_cmp_le_u32_e32 vcc_lo, s19, v2
	v_cndmask_b32_e32 v1, v1, v3, vcc_lo
	v_cndmask_b32_e32 v2, v2, v4, vcc_lo
	v_add_nc_u32_e32 v3, 1, v1
	v_cmp_le_u32_e32 vcc_lo, s19, v2
	v_cndmask_b32_e32 v1, v1, v3, vcc_lo
	v_xor_b32_e32 v1, s23, v1
	v_subrev_nc_u32_e32 v1, s23, v1
	v_add_nc_u32_e32 v2, s33, v1
	v_cmp_lt_i32_e64 s1, s5, v1
	v_sub_nc_u32_e32 v3, 0, v2
	v_max_i32_e32 v3, v2, v3
	v_ashrrev_i32_e32 v2, 31, v2
	v_mul_hi_u32 v4, v3, v33
	v_mul_lo_u32 v4, v4, s12
	v_sub_nc_u32_e32 v3, v3, v4
	v_subrev_nc_u32_e32 v4, s12, v3
	v_cmp_le_u32_e32 vcc_lo, s12, v3
	v_cndmask_b32_e32 v3, v3, v4, vcc_lo
	v_subrev_nc_u32_e32 v4, s12, v3
	v_cmp_le_u32_e32 vcc_lo, s12, v3
	v_cndmask_b32_e32 v3, v3, v4, vcc_lo
	v_xor_b32_e32 v3, v3, v2
	v_sub_nc_u32_e32 v2, v3, v2
	v_cmp_eq_u32_e32 vcc_lo, 0, v2
	s_or_b32 s1, vcc_lo, s1
	s_and_saveexec_b32 s21, s1
	s_cbranch_execz .LBB305_166
; %bb.168:                              ;   in Loop: Header=BB305_167 Depth=1
	global_load_dword v1, v[13:14], off
	v_mov_b32_e32 v35, 0
	v_mov_b32_e32 v34, 0
	s_waitcnt vmcnt(0)
	v_mad_i64_i32 v[15:16], null, v1, s13, v[11:12]
	global_load_dwordx2 v[17:18], v[15:16], off
	ds_read2_b64 v[5:8], v26 offset1:1
	ds_read2_b64 v[1:4], v26 offset0:2 offset1:3
	s_load_dword s22, s[14:15], 0x0
	s_waitcnt vmcnt(0)
	v_cmp_ne_u16_sdwa s26, v17, v10 src0_sel:BYTE_0 src1_sel:DWORD
	s_and_saveexec_b32 s1, s26
	s_cbranch_execz .LBB305_174
; %bb.169:                              ;   in Loop: Header=BB305_167 Depth=1
	v_cmp_ne_u16_sdwa s27, v17, v27 src0_sel:BYTE_0 src1_sel:DWORD
	v_bfrev_b32_e32 v34, 1
	s_and_saveexec_b32 s26, s27
	s_cbranch_execz .LBB305_173
; %bb.170:                              ;   in Loop: Header=BB305_167 Depth=1
	v_and_b32_e32 v9, 0x7f, v17
	v_mov_b32_e32 v34, 0x7f800001
	s_mov_b32 s27, exec_lo
	v_cmpx_ne_u32_e32 0x7f, v9
	s_cbranch_execz .LBB305_172
; %bb.171:                              ;   in Loop: Header=BB305_167 Depth=1
	v_and_b32_e32 v19, 7, v17
	v_lshrrev_b32_e32 v20, 3, v9
	v_cmp_gt_u32_e32 vcc_lo, 8, v9
	v_ffbh_u32_e32 v19, v19
	v_min_u32_e32 v19, 32, v19
	v_subrev_nc_u32_e32 v34, 28, v19
	v_sub_nc_u32_e32 v19, 29, v19
	v_cndmask_b32_e32 v9, v20, v19, vcc_lo
	v_cndmask_b32_e32 v19, 0, v34, vcc_lo
	v_lshl_add_u32 v9, v9, 23, 0x3c000000
	v_lshlrev_b64 v[19:20], v19, v[17:18]
	v_lshlrev_b32_e32 v20, 24, v17
	v_lshlrev_b32_e32 v19, 20, v19
	v_and_b32_e32 v20, 0x80000000, v20
	v_and_b32_e32 v19, 0x700000, v19
	v_or3_b32 v34, v19, v20, v9
.LBB305_172:                            ;   in Loop: Header=BB305_167 Depth=1
	s_or_b32 exec_lo, exec_lo, s27
.LBB305_173:                            ;   in Loop: Header=BB305_167 Depth=1
	s_or_b32 exec_lo, exec_lo, s26
.LBB305_174:                            ;   in Loop: Header=BB305_167 Depth=1
	s_or_b32 exec_lo, exec_lo, s1
	v_cmp_ne_u16_sdwa s26, v17, v10 src0_sel:BYTE_1 src1_sel:DWORD
	s_and_saveexec_b32 s1, s26
	s_cbranch_execz .LBB305_182
; %bb.175:                              ;   in Loop: Header=BB305_167 Depth=1
	v_cmp_ne_u16_sdwa s27, v17, v27 src0_sel:BYTE_1 src1_sel:DWORD
	v_bfrev_b32_e32 v35, 1
	s_and_saveexec_b32 s26, s27
	s_cbranch_execz .LBB305_181
; %bb.176:                              ;   in Loop: Header=BB305_167 Depth=1
	v_and_b32_sdwa v9, v28, v17 dst_sel:DWORD dst_unused:UNUSED_PAD src0_sel:DWORD src1_sel:BYTE_1
	v_mov_b32_e32 v35, 0x7f800001
	s_mov_b32 s27, exec_lo
	v_and_b32_e32 v20, 0x7f, v9
	v_cmpx_ne_u32_e32 0x7f, v20
	s_cbranch_execz .LBB305_180
; %bb.177:                              ;   in Loop: Header=BB305_167 Depth=1
	v_and_b32_e32 v9, 7, v9
	v_lshrrev_b32_e32 v19, 3, v20
	s_mov_b32 s28, exec_lo
	v_cmpx_gt_u32_e32 8, v20
; %bb.178:                              ;   in Loop: Header=BB305_167 Depth=1
	v_ffbh_u32_e32 v19, v9
	v_min_u32_e32 v19, 32, v19
	v_subrev_nc_u32_e32 v20, 28, v19
	v_sub_nc_u32_e32 v19, 29, v19
	v_lshlrev_b64 v[35:36], v20, v[9:10]
	v_and_b32_e32 v9, 7, v35
; %bb.179:                              ;   in Loop: Header=BB305_167 Depth=1
	s_or_b32 exec_lo, exec_lo, s28
	v_lshlrev_b32_e32 v20, 16, v17
	v_lshlrev_b32_e32 v9, 20, v9
	v_lshl_add_u32 v19, v19, 23, 0x3c000000
	v_and_b32_e32 v20, 0x80000000, v20
	v_or3_b32 v35, v9, v20, v19
.LBB305_180:                            ;   in Loop: Header=BB305_167 Depth=1
	s_or_b32 exec_lo, exec_lo, s27
.LBB305_181:                            ;   in Loop: Header=BB305_167 Depth=1
	s_or_b32 exec_lo, exec_lo, s26
.LBB305_182:                            ;   in Loop: Header=BB305_167 Depth=1
	s_or_b32 exec_lo, exec_lo, s1
	v_and_b32_sdwa v9, v17, v29 dst_sel:DWORD dst_unused:UNUSED_PAD src0_sel:WORD_1 src1_sel:DWORD
	v_mov_b32_e32 v37, 0
	v_mov_b32_e32 v36, 0
	s_mov_b32 s1, exec_lo
	v_cmpx_ne_u16_e32 0, v9
	s_cbranch_execz .LBB305_190
; %bb.183:                              ;   in Loop: Header=BB305_167 Depth=1
	v_bfrev_b32_e32 v36, 1
	s_mov_b32 s26, exec_lo
	v_cmpx_ne_u16_e32 0x80, v9
	s_cbranch_execz .LBB305_189
; %bb.184:                              ;   in Loop: Header=BB305_167 Depth=1
	v_bfe_u32 v20, v17, 16, 7
	v_mov_b32_e32 v36, 0x7f800001
	s_mov_b32 s27, exec_lo
	v_cmpx_ne_u32_e32 0x7f, v20
	s_cbranch_execz .LBB305_188
; %bb.185:                              ;   in Loop: Header=BB305_167 Depth=1
	v_and_b32_sdwa v9, v17, v30 dst_sel:DWORD dst_unused:UNUSED_PAD src0_sel:WORD_1 src1_sel:DWORD
	v_lshrrev_b32_e32 v19, 3, v20
	s_mov_b32 s28, exec_lo
	v_cmpx_gt_u32_e32 8, v20
; %bb.186:                              ;   in Loop: Header=BB305_167 Depth=1
	v_ffbh_u32_e32 v19, v9
	v_min_u32_e32 v19, 32, v19
	v_subrev_nc_u32_e32 v20, 28, v19
	v_sub_nc_u32_e32 v19, 29, v19
	v_lshlrev_b64 v[38:39], v20, v[9:10]
	v_and_b32_e32 v9, 7, v38
; %bb.187:                              ;   in Loop: Header=BB305_167 Depth=1
	s_or_b32 exec_lo, exec_lo, s28
	v_lshlrev_b32_sdwa v20, v31, v17 dst_sel:DWORD dst_unused:UNUSED_PAD src0_sel:DWORD src1_sel:WORD_1
	v_lshlrev_b32_e32 v9, 20, v9
	v_lshl_add_u32 v19, v19, 23, 0x3c000000
	v_and_b32_e32 v20, 0x80000000, v20
	v_or3_b32 v36, v9, v20, v19
.LBB305_188:                            ;   in Loop: Header=BB305_167 Depth=1
	s_or_b32 exec_lo, exec_lo, s27
.LBB305_189:                            ;   in Loop: Header=BB305_167 Depth=1
	s_or_b32 exec_lo, exec_lo, s26
.LBB305_190:                            ;   in Loop: Header=BB305_167 Depth=1
	s_or_b32 exec_lo, exec_lo, s1
	s_mov_b32 s1, exec_lo
	v_cmpx_lt_u32_e32 0xffffff, v17
	s_cbranch_execz .LBB305_198
; %bb.191:                              ;   in Loop: Header=BB305_167 Depth=1
	v_cmp_ne_u32_sdwa s27, v17, v27 src0_sel:BYTE_3 src1_sel:DWORD
	v_bfrev_b32_e32 v37, 1
	s_and_saveexec_b32 s26, s27
	s_cbranch_execz .LBB305_197
; %bb.192:                              ;   in Loop: Header=BB305_167 Depth=1
	v_bfe_u32 v20, v17, 24, 7
	v_mov_b32_e32 v37, 0x7f800001
	s_mov_b32 s27, exec_lo
	v_cmpx_ne_u32_e32 0x7f, v20
	s_cbranch_execz .LBB305_196
; %bb.193:                              ;   in Loop: Header=BB305_167 Depth=1
	v_and_b32_sdwa v9, v17, v30 dst_sel:DWORD dst_unused:UNUSED_PAD src0_sel:BYTE_3 src1_sel:DWORD
	v_lshrrev_b32_e32 v19, 3, v20
	s_mov_b32 s28, exec_lo
	v_cmpx_gt_u32_e32 8, v20
; %bb.194:                              ;   in Loop: Header=BB305_167 Depth=1
	v_ffbh_u32_e32 v19, v9
	v_min_u32_e32 v19, 32, v19
	v_subrev_nc_u32_e32 v20, 28, v19
	v_sub_nc_u32_e32 v19, 29, v19
	v_lshlrev_b64 v[37:38], v20, v[9:10]
	v_and_b32_e32 v9, 7, v37
; %bb.195:                              ;   in Loop: Header=BB305_167 Depth=1
	s_or_b32 exec_lo, exec_lo, s28
	v_lshlrev_b32_sdwa v20, v31, v17 dst_sel:DWORD dst_unused:UNUSED_PAD src0_sel:DWORD src1_sel:BYTE_3
	v_lshlrev_b32_e32 v9, 20, v9
	v_lshl_add_u32 v19, v19, 23, 0x3c000000
	v_and_b32_e32 v20, 0x80000000, v20
	v_or3_b32 v37, v9, v20, v19
.LBB305_196:                            ;   in Loop: Header=BB305_167 Depth=1
	s_or_b32 exec_lo, exec_lo, s27
.LBB305_197:                            ;   in Loop: Header=BB305_167 Depth=1
	s_or_b32 exec_lo, exec_lo, s26
.LBB305_198:                            ;   in Loop: Header=BB305_167 Depth=1
	s_or_b32 exec_lo, exec_lo, s1
	v_mov_b32_e32 v9, v18
	v_cmp_ne_u16_sdwa s26, v18, v10 src0_sel:BYTE_0 src1_sel:DWORD
	v_mov_b32_e32 v19, 0
	v_mov_b32_e32 v38, 0
	s_and_saveexec_b32 s1, s26
	s_cbranch_execz .LBB305_204
; %bb.199:                              ;   in Loop: Header=BB305_167 Depth=1
	v_cmp_ne_u16_sdwa s27, v18, v27 src0_sel:BYTE_0 src1_sel:DWORD
	v_bfrev_b32_e32 v38, 1
	s_and_saveexec_b32 s26, s27
	s_cbranch_execz .LBB305_203
; %bb.200:                              ;   in Loop: Header=BB305_167 Depth=1
	v_and_b32_e32 v20, 0x7f, v18
	v_mov_b32_e32 v38, 0x7f800001
	s_mov_b32 s27, exec_lo
	v_cmpx_ne_u32_e32 0x7f, v20
	s_cbranch_execz .LBB305_202
; %bb.201:                              ;   in Loop: Header=BB305_167 Depth=1
	v_and_b32_e32 v38, 7, v18
	v_lshrrev_b32_e32 v39, 3, v20
	v_cmp_gt_u32_e32 vcc_lo, 8, v20
	v_ffbh_u32_e32 v38, v38
	v_min_u32_e32 v38, 32, v38
	v_subrev_nc_u32_e32 v40, 28, v38
	v_sub_nc_u32_e32 v38, 29, v38
	v_cndmask_b32_e32 v20, v39, v38, vcc_lo
	v_cndmask_b32_e32 v38, 0, v40, vcc_lo
	v_lshl_add_u32 v20, v20, 23, 0x3c000000
	v_lshlrev_b64 v[38:39], v38, v[9:10]
	v_lshlrev_b32_e32 v39, 24, v9
	v_lshlrev_b32_e32 v38, 20, v38
	v_and_b32_e32 v39, 0x80000000, v39
	v_and_b32_e32 v38, 0x700000, v38
	v_or3_b32 v38, v38, v39, v20
.LBB305_202:                            ;   in Loop: Header=BB305_167 Depth=1
	s_or_b32 exec_lo, exec_lo, s27
.LBB305_203:                            ;   in Loop: Header=BB305_167 Depth=1
	s_or_b32 exec_lo, exec_lo, s26
.LBB305_204:                            ;   in Loop: Header=BB305_167 Depth=1
	s_or_b32 exec_lo, exec_lo, s1
	v_cmp_ne_u16_sdwa s26, v9, v10 src0_sel:BYTE_1 src1_sel:DWORD
	s_and_saveexec_b32 s1, s26
	s_cbranch_execz .LBB305_212
; %bb.205:                              ;   in Loop: Header=BB305_167 Depth=1
	v_cmp_ne_u16_sdwa s27, v9, v27 src0_sel:BYTE_1 src1_sel:DWORD
	v_bfrev_b32_e32 v19, 1
	s_and_saveexec_b32 s26, s27
	s_cbranch_execz .LBB305_211
; %bb.206:                              ;   in Loop: Header=BB305_167 Depth=1
	v_and_b32_sdwa v20, v28, v9 dst_sel:DWORD dst_unused:UNUSED_PAD src0_sel:DWORD src1_sel:BYTE_1
	v_mov_b32_e32 v19, 0x7f800001
	s_mov_b32 s27, exec_lo
	v_and_b32_e32 v40, 0x7f, v20
	v_cmpx_ne_u32_e32 0x7f, v40
	s_cbranch_execz .LBB305_210
; %bb.207:                              ;   in Loop: Header=BB305_167 Depth=1
	v_and_b32_e32 v19, 7, v20
	v_mov_b32_e32 v20, v10
	v_lshrrev_b32_e32 v39, 3, v40
	s_mov_b32 s28, exec_lo
	v_cmpx_gt_u32_e32 8, v40
; %bb.208:                              ;   in Loop: Header=BB305_167 Depth=1
	v_ffbh_u32_e32 v39, v19
	v_min_u32_e32 v39, 32, v39
	v_subrev_nc_u32_e32 v40, 28, v39
	v_sub_nc_u32_e32 v39, 29, v39
	v_lshlrev_b64 v[19:20], v40, v[19:20]
	v_and_b32_e32 v19, 7, v19
; %bb.209:                              ;   in Loop: Header=BB305_167 Depth=1
	s_or_b32 exec_lo, exec_lo, s28
	v_lshlrev_b32_e32 v9, 16, v9
	v_lshlrev_b32_e32 v19, 20, v19
	v_lshl_add_u32 v20, v39, 23, 0x3c000000
	v_and_b32_e32 v9, 0x80000000, v9
	v_or3_b32 v19, v19, v9, v20
.LBB305_210:                            ;   in Loop: Header=BB305_167 Depth=1
	s_or_b32 exec_lo, exec_lo, s27
.LBB305_211:                            ;   in Loop: Header=BB305_167 Depth=1
	s_or_b32 exec_lo, exec_lo, s26
.LBB305_212:                            ;   in Loop: Header=BB305_167 Depth=1
	s_or_b32 exec_lo, exec_lo, s1
	v_and_b32_sdwa v9, v18, v29 dst_sel:DWORD dst_unused:UNUSED_PAD src0_sel:WORD_1 src1_sel:DWORD
	v_mov_b32_e32 v39, 0
	v_mov_b32_e32 v40, 0
	s_mov_b32 s1, exec_lo
	v_cmpx_ne_u16_e32 0, v9
	s_cbranch_execz .LBB305_220
; %bb.213:                              ;   in Loop: Header=BB305_167 Depth=1
	v_bfrev_b32_e32 v40, 1
	s_mov_b32 s26, exec_lo
	v_cmpx_ne_u16_e32 0x80, v9
	s_cbranch_execz .LBB305_219
; %bb.214:                              ;   in Loop: Header=BB305_167 Depth=1
	v_bfe_u32 v41, v18, 16, 7
	v_mov_b32_e32 v40, 0x7f800001
	s_mov_b32 s27, exec_lo
	v_cmpx_ne_u32_e32 0x7f, v41
	s_cbranch_execz .LBB305_218
; %bb.215:                              ;   in Loop: Header=BB305_167 Depth=1
	v_and_b32_sdwa v9, v18, v30 dst_sel:DWORD dst_unused:UNUSED_PAD src0_sel:WORD_1 src1_sel:DWORD
	v_lshrrev_b32_e32 v20, 3, v41
	s_mov_b32 s28, exec_lo
	v_cmpx_gt_u32_e32 8, v41
; %bb.216:                              ;   in Loop: Header=BB305_167 Depth=1
	v_ffbh_u32_e32 v20, v9
	v_min_u32_e32 v20, 32, v20
	v_subrev_nc_u32_e32 v40, 28, v20
	v_sub_nc_u32_e32 v20, 29, v20
	v_lshlrev_b64 v[40:41], v40, v[9:10]
	v_and_b32_e32 v9, 7, v40
; %bb.217:                              ;   in Loop: Header=BB305_167 Depth=1
	s_or_b32 exec_lo, exec_lo, s28
	v_lshlrev_b32_sdwa v40, v31, v18 dst_sel:DWORD dst_unused:UNUSED_PAD src0_sel:DWORD src1_sel:WORD_1
	v_lshlrev_b32_e32 v9, 20, v9
	v_lshl_add_u32 v20, v20, 23, 0x3c000000
	v_and_b32_e32 v40, 0x80000000, v40
	v_or3_b32 v40, v9, v40, v20
.LBB305_218:                            ;   in Loop: Header=BB305_167 Depth=1
	s_or_b32 exec_lo, exec_lo, s27
.LBB305_219:                            ;   in Loop: Header=BB305_167 Depth=1
	s_or_b32 exec_lo, exec_lo, s26
.LBB305_220:                            ;   in Loop: Header=BB305_167 Depth=1
	s_or_b32 exec_lo, exec_lo, s1
	s_mov_b32 s1, exec_lo
	v_cmpx_lt_u64_e64 s[2:3], v[17:18]
	s_cbranch_execz .LBB305_228
; %bb.221:                              ;   in Loop: Header=BB305_167 Depth=1
	v_cmp_ne_u32_sdwa s27, v18, v27 src0_sel:BYTE_3 src1_sel:DWORD
	v_bfrev_b32_e32 v39, 1
	s_and_saveexec_b32 s26, s27
	s_cbranch_execz .LBB305_227
; %bb.222:                              ;   in Loop: Header=BB305_167 Depth=1
	v_bfe_u32 v20, v18, 24, 7
	v_mov_b32_e32 v39, 0x7f800001
	s_mov_b32 s27, exec_lo
	v_cmpx_ne_u32_e32 0x7f, v20
	s_cbranch_execz .LBB305_226
; %bb.223:                              ;   in Loop: Header=BB305_167 Depth=1
	v_and_b32_sdwa v9, v18, v30 dst_sel:DWORD dst_unused:UNUSED_PAD src0_sel:BYTE_3 src1_sel:DWORD
	v_lshrrev_b32_e32 v17, 3, v20
	s_mov_b32 s28, exec_lo
	v_cmpx_gt_u32_e32 8, v20
; %bb.224:                              ;   in Loop: Header=BB305_167 Depth=1
	v_ffbh_u32_e32 v17, v9
	v_min_u32_e32 v17, 32, v17
	v_subrev_nc_u32_e32 v20, 28, v17
	v_sub_nc_u32_e32 v17, 29, v17
	v_lshlrev_b64 v[41:42], v20, v[9:10]
	v_and_b32_e32 v9, 7, v41
; %bb.225:                              ;   in Loop: Header=BB305_167 Depth=1
	s_or_b32 exec_lo, exec_lo, s28
	v_lshlrev_b32_sdwa v18, v31, v18 dst_sel:DWORD dst_unused:UNUSED_PAD src0_sel:DWORD src1_sel:BYTE_3
	v_lshlrev_b32_e32 v9, 20, v9
	v_lshl_add_u32 v17, v17, 23, 0x3c000000
	v_and_b32_e32 v18, 0x80000000, v18
	v_or3_b32 v39, v9, v18, v17
.LBB305_226:                            ;   in Loop: Header=BB305_167 Depth=1
	s_or_b32 exec_lo, exec_lo, s27
.LBB305_227:                            ;   in Loop: Header=BB305_167 Depth=1
	s_or_b32 exec_lo, exec_lo, s26
.LBB305_228:                            ;   in Loop: Header=BB305_167 Depth=1
	s_or_b32 exec_lo, exec_lo, s1
	s_waitcnt lgkmcnt(0)
	v_mul_f32_e32 v9, s22, v19
	v_mul_f32_e32 v17, s22, v38
	;; [unrolled: 1-line block ×5, first 2 shown]
	v_bfe_u32 v19, v9, 16, 1
	v_or_b32_e32 v20, 0x400000, v9
	v_bfe_u32 v37, v17, 16, 1
	v_cmp_u_f32_e64 s1, v9, v9
	v_or_b32_e32 v38, 0x400000, v17
	v_add3_u32 v19, v19, v9, 0x7fff
	v_bfe_u32 v41, v18, 16, 1
	v_add3_u32 v37, v37, v17, 0x7fff
	v_or_b32_e32 v42, 0x400000, v18
	v_cmp_eq_u32_e32 vcc_lo, s17, v32
	v_cndmask_b32_e64 v9, v19, v20, s1
	v_cmp_u_f32_e64 s1, v17, v17
	v_add3_u32 v41, v41, v18, 0x7fff
	v_bfe_u32 v20, v36, 16, 1
	v_add_nc_u32_e32 v46, 1, v22
	v_lshrrev_b32_e32 v19, 16, v9
	v_cndmask_b32_e64 v17, v37, v38, s1
	v_cmp_u_f32_e64 s1, v18, v18
	v_mul_f32_e32 v18, s22, v35
	v_add3_u32 v37, v20, v36, 0x7fff
	v_or_b32_e32 v38, 0x400000, v36
	v_lshrrev_b32_e32 v20, 16, v17
	v_cndmask_b32_e64 v9, v41, v42, s1
	v_cmp_u_f32_e64 s1, v36, v36
	v_mul_f32_e32 v36, s22, v40
	v_add_nc_u32_e32 v45, 2, v22
	v_add_nc_u32_e32 v44, 3, v22
	v_lshrrev_b32_e32 v35, 16, v9
	v_bfe_u32 v9, v18, 16, 1
	v_cndmask_b32_e64 v17, v37, v38, s1
	v_or_b32_e32 v37, 0x400000, v18
	v_mul_f32_e32 v38, s22, v39
	v_bfe_u32 v39, v34, 16, 1
	v_add3_u32 v9, v9, v18, 0x7fff
	v_cmp_u_f32_e64 s1, v18, v18
	v_bfe_u32 v40, v36, 16, 1
	v_bfe_u32 v18, v38, 16, 1
	v_or_b32_e32 v41, 0x400000, v36
	v_or_b32_e32 v42, 0x400000, v38
	v_cndmask_b32_e64 v9, v9, v37, s1
	v_add3_u32 v37, v39, v34, 0x7fff
	v_or_b32_e32 v39, 0x400000, v34
	v_cmp_u_f32_e64 s1, v34, v34
	v_add3_u32 v40, v40, v36, 0x7fff
	v_add3_u32 v18, v18, v38, 0x7fff
	v_add_nc_u32_e32 v43, 4, v22
	v_cndmask_b32_e64 v34, v37, v39, s1
	v_cmp_u_f32_e64 s1, v36, v36
	v_lshrrev_b32_e32 v37, 16, v17
	v_lshrrev_b32_e32 v39, 16, v34
	v_cndmask_b32_e64 v36, v40, v41, s1
	v_cmp_u_f32_e64 s1, v38, v38
	v_lshrrev_b32_e32 v38, 16, v9
	v_add_nc_u32_e32 v41, 6, v22
	v_add_nc_u32_e32 v40, 7, v22
	v_lshrrev_b32_e32 v36, 16, v36
	v_cndmask_b32_e64 v18, v18, v42, s1
	v_add_nc_u32_e32 v42, 5, v22
	v_lshrrev_b32_e32 v34, 16, v18
	s_and_saveexec_b32 s26, vcc_lo
	s_cbranch_execz .LBB305_230
; %bb.229:                              ;   in Loop: Header=BB305_167 Depth=1
	v_cmp_gt_i32_e64 s1, s11, v22
	v_cndmask_b32_e64 v39, 0, v39, s1
	v_cmp_gt_i32_e64 s1, s11, v46
	v_cndmask_b32_e64 v38, 0, v38, s1
	v_cmp_gt_i32_e64 s1, s11, v45
	v_cndmask_b32_e64 v37, 0, v37, s1
	v_cmp_gt_i32_e64 s1, s11, v44
	v_cndmask_b32_e64 v35, 0, v35, s1
	v_cmp_gt_i32_e64 s1, s11, v43
	v_cndmask_b32_e64 v20, 0, v20, s1
	v_cmp_gt_i32_e64 s1, s11, v42
	v_cndmask_b32_e64 v19, 0, v19, s1
	v_cmp_gt_i32_e64 s1, s11, v41
	v_cndmask_b32_e64 v36, 0, v36, s1
	v_cmp_gt_i32_e64 s1, s11, v40
	v_cndmask_b32_e64 v34, 0, v34, s1
.LBB305_230:                            ;   in Loop: Header=BB305_167 Depth=1
	s_or_b32 exec_lo, exec_lo, s26
	global_load_dwordx2 v[15:16], v[15:16], off offset:256
	v_mov_b32_e32 v48, 0
	v_mov_b32_e32 v47, 0
	s_waitcnt vmcnt(0)
	v_cmp_ne_u16_sdwa s1, v15, v10 src0_sel:BYTE_0 src1_sel:DWORD
	s_and_saveexec_b32 s26, s1
	s_cbranch_execz .LBB305_236
; %bb.231:                              ;   in Loop: Header=BB305_167 Depth=1
	v_cmp_ne_u16_sdwa s1, v15, v27 src0_sel:BYTE_0 src1_sel:DWORD
	v_bfrev_b32_e32 v47, 1
	s_and_saveexec_b32 s27, s1
	s_cbranch_execz .LBB305_235
; %bb.232:                              ;   in Loop: Header=BB305_167 Depth=1
	v_and_b32_e32 v9, 0x7f, v15
	v_mov_b32_e32 v47, 0x7f800001
	s_mov_b32 s28, exec_lo
	v_cmpx_ne_u32_e32 0x7f, v9
	s_cbranch_execz .LBB305_234
; %bb.233:                              ;   in Loop: Header=BB305_167 Depth=1
	v_and_b32_e32 v17, 7, v15
	v_lshrrev_b32_e32 v18, 3, v9
	v_cmp_gt_u32_e64 s1, 8, v9
	v_ffbh_u32_e32 v17, v17
	v_min_u32_e32 v17, 32, v17
	v_subrev_nc_u32_e32 v47, 28, v17
	v_sub_nc_u32_e32 v17, 29, v17
	v_cndmask_b32_e64 v9, v18, v17, s1
	v_cndmask_b32_e64 v17, 0, v47, s1
	v_lshl_add_u32 v9, v9, 23, 0x3c000000
	v_lshlrev_b64 v[17:18], v17, v[15:16]
	v_lshlrev_b32_e32 v18, 24, v15
	v_lshlrev_b32_e32 v17, 20, v17
	v_and_b32_e32 v18, 0x80000000, v18
	v_and_b32_e32 v17, 0x700000, v17
	v_or3_b32 v47, v17, v18, v9
.LBB305_234:                            ;   in Loop: Header=BB305_167 Depth=1
	s_or_b32 exec_lo, exec_lo, s28
.LBB305_235:                            ;   in Loop: Header=BB305_167 Depth=1
	s_or_b32 exec_lo, exec_lo, s27
.LBB305_236:                            ;   in Loop: Header=BB305_167 Depth=1
	s_or_b32 exec_lo, exec_lo, s26
	v_cmp_ne_u16_sdwa s1, v15, v10 src0_sel:BYTE_1 src1_sel:DWORD
	s_and_saveexec_b32 s26, s1
	s_cbranch_execz .LBB305_244
; %bb.237:                              ;   in Loop: Header=BB305_167 Depth=1
	v_cmp_ne_u16_sdwa s1, v15, v27 src0_sel:BYTE_1 src1_sel:DWORD
	v_bfrev_b32_e32 v48, 1
	s_and_saveexec_b32 s27, s1
	s_cbranch_execz .LBB305_243
; %bb.238:                              ;   in Loop: Header=BB305_167 Depth=1
	v_and_b32_sdwa v9, v28, v15 dst_sel:DWORD dst_unused:UNUSED_PAD src0_sel:DWORD src1_sel:BYTE_1
	v_mov_b32_e32 v48, 0x7f800001
	s_mov_b32 s28, exec_lo
	v_and_b32_e32 v18, 0x7f, v9
	v_cmpx_ne_u32_e32 0x7f, v18
	s_cbranch_execz .LBB305_242
; %bb.239:                              ;   in Loop: Header=BB305_167 Depth=1
	v_and_b32_e32 v9, 7, v9
	v_lshrrev_b32_e32 v17, 3, v18
	s_mov_b32 s29, exec_lo
	v_cmpx_gt_u32_e32 8, v18
; %bb.240:                              ;   in Loop: Header=BB305_167 Depth=1
	v_ffbh_u32_e32 v17, v9
	v_min_u32_e32 v17, 32, v17
	v_subrev_nc_u32_e32 v18, 28, v17
	v_sub_nc_u32_e32 v17, 29, v17
	v_lshlrev_b64 v[48:49], v18, v[9:10]
	v_and_b32_e32 v9, 7, v48
; %bb.241:                              ;   in Loop: Header=BB305_167 Depth=1
	s_or_b32 exec_lo, exec_lo, s29
	v_lshlrev_b32_e32 v18, 16, v15
	v_lshlrev_b32_e32 v9, 20, v9
	v_lshl_add_u32 v17, v17, 23, 0x3c000000
	v_and_b32_e32 v18, 0x80000000, v18
	v_or3_b32 v48, v9, v18, v17
.LBB305_242:                            ;   in Loop: Header=BB305_167 Depth=1
	s_or_b32 exec_lo, exec_lo, s28
.LBB305_243:                            ;   in Loop: Header=BB305_167 Depth=1
	s_or_b32 exec_lo, exec_lo, s27
.LBB305_244:                            ;   in Loop: Header=BB305_167 Depth=1
	s_or_b32 exec_lo, exec_lo, s26
	v_and_b32_sdwa v9, v15, v29 dst_sel:DWORD dst_unused:UNUSED_PAD src0_sel:WORD_1 src1_sel:DWORD
	v_mov_b32_e32 v50, 0
	v_mov_b32_e32 v49, 0
	s_mov_b32 s26, exec_lo
	v_cmpx_ne_u16_e32 0, v9
	s_cbranch_execz .LBB305_252
; %bb.245:                              ;   in Loop: Header=BB305_167 Depth=1
	v_bfrev_b32_e32 v49, 1
	s_mov_b32 s27, exec_lo
	v_cmpx_ne_u16_e32 0x80, v9
	s_cbranch_execz .LBB305_251
; %bb.246:                              ;   in Loop: Header=BB305_167 Depth=1
	v_bfe_u32 v18, v15, 16, 7
	v_mov_b32_e32 v49, 0x7f800001
	s_mov_b32 s28, exec_lo
	v_cmpx_ne_u32_e32 0x7f, v18
	s_cbranch_execz .LBB305_250
; %bb.247:                              ;   in Loop: Header=BB305_167 Depth=1
	v_and_b32_sdwa v9, v15, v30 dst_sel:DWORD dst_unused:UNUSED_PAD src0_sel:WORD_1 src1_sel:DWORD
	v_lshrrev_b32_e32 v17, 3, v18
	s_mov_b32 s29, exec_lo
	v_cmpx_gt_u32_e32 8, v18
; %bb.248:                              ;   in Loop: Header=BB305_167 Depth=1
	v_ffbh_u32_e32 v17, v9
	v_min_u32_e32 v17, 32, v17
	v_subrev_nc_u32_e32 v18, 28, v17
	v_sub_nc_u32_e32 v17, 29, v17
	v_lshlrev_b64 v[51:52], v18, v[9:10]
	v_and_b32_e32 v9, 7, v51
; %bb.249:                              ;   in Loop: Header=BB305_167 Depth=1
	s_or_b32 exec_lo, exec_lo, s29
	v_lshlrev_b32_sdwa v18, v31, v15 dst_sel:DWORD dst_unused:UNUSED_PAD src0_sel:DWORD src1_sel:WORD_1
	v_lshlrev_b32_e32 v9, 20, v9
	v_lshl_add_u32 v17, v17, 23, 0x3c000000
	v_and_b32_e32 v18, 0x80000000, v18
	v_or3_b32 v49, v9, v18, v17
.LBB305_250:                            ;   in Loop: Header=BB305_167 Depth=1
	s_or_b32 exec_lo, exec_lo, s28
.LBB305_251:                            ;   in Loop: Header=BB305_167 Depth=1
	s_or_b32 exec_lo, exec_lo, s27
.LBB305_252:                            ;   in Loop: Header=BB305_167 Depth=1
	s_or_b32 exec_lo, exec_lo, s26
	s_mov_b32 s26, exec_lo
	v_cmpx_lt_u32_e32 0xffffff, v15
	s_cbranch_execz .LBB305_260
; %bb.253:                              ;   in Loop: Header=BB305_167 Depth=1
	v_cmp_ne_u32_sdwa s1, v15, v27 src0_sel:BYTE_3 src1_sel:DWORD
	v_bfrev_b32_e32 v50, 1
	s_and_saveexec_b32 s27, s1
	s_cbranch_execz .LBB305_259
; %bb.254:                              ;   in Loop: Header=BB305_167 Depth=1
	v_bfe_u32 v18, v15, 24, 7
	v_mov_b32_e32 v50, 0x7f800001
	s_mov_b32 s28, exec_lo
	v_cmpx_ne_u32_e32 0x7f, v18
	s_cbranch_execz .LBB305_258
; %bb.255:                              ;   in Loop: Header=BB305_167 Depth=1
	v_and_b32_sdwa v9, v15, v30 dst_sel:DWORD dst_unused:UNUSED_PAD src0_sel:BYTE_3 src1_sel:DWORD
	v_lshrrev_b32_e32 v17, 3, v18
	s_mov_b32 s29, exec_lo
	v_cmpx_gt_u32_e32 8, v18
; %bb.256:                              ;   in Loop: Header=BB305_167 Depth=1
	v_ffbh_u32_e32 v17, v9
	v_min_u32_e32 v17, 32, v17
	v_subrev_nc_u32_e32 v18, 28, v17
	v_sub_nc_u32_e32 v17, 29, v17
	v_lshlrev_b64 v[50:51], v18, v[9:10]
	v_and_b32_e32 v9, 7, v50
; %bb.257:                              ;   in Loop: Header=BB305_167 Depth=1
	s_or_b32 exec_lo, exec_lo, s29
	v_lshlrev_b32_sdwa v18, v31, v15 dst_sel:DWORD dst_unused:UNUSED_PAD src0_sel:DWORD src1_sel:BYTE_3
	v_lshlrev_b32_e32 v9, 20, v9
	v_lshl_add_u32 v17, v17, 23, 0x3c000000
	v_and_b32_e32 v18, 0x80000000, v18
	v_or3_b32 v50, v9, v18, v17
.LBB305_258:                            ;   in Loop: Header=BB305_167 Depth=1
	s_or_b32 exec_lo, exec_lo, s28
.LBB305_259:                            ;   in Loop: Header=BB305_167 Depth=1
	s_or_b32 exec_lo, exec_lo, s27
.LBB305_260:                            ;   in Loop: Header=BB305_167 Depth=1
	s_or_b32 exec_lo, exec_lo, s26
	v_mov_b32_e32 v9, v16
	v_cmp_ne_u16_sdwa s1, v16, v10 src0_sel:BYTE_0 src1_sel:DWORD
	v_mov_b32_e32 v17, 0
	v_mov_b32_e32 v51, 0
	s_and_saveexec_b32 s26, s1
	s_cbranch_execz .LBB305_266
; %bb.261:                              ;   in Loop: Header=BB305_167 Depth=1
	v_cmp_ne_u16_sdwa s1, v16, v27 src0_sel:BYTE_0 src1_sel:DWORD
	v_bfrev_b32_e32 v51, 1
	s_and_saveexec_b32 s27, s1
	s_cbranch_execz .LBB305_265
; %bb.262:                              ;   in Loop: Header=BB305_167 Depth=1
	v_and_b32_e32 v18, 0x7f, v16
	v_mov_b32_e32 v51, 0x7f800001
	s_mov_b32 s28, exec_lo
	v_cmpx_ne_u32_e32 0x7f, v18
	s_cbranch_execz .LBB305_264
; %bb.263:                              ;   in Loop: Header=BB305_167 Depth=1
	v_and_b32_e32 v51, 7, v16
	v_lshrrev_b32_e32 v52, 3, v18
	v_cmp_gt_u32_e64 s1, 8, v18
	v_ffbh_u32_e32 v51, v51
	v_min_u32_e32 v51, 32, v51
	v_subrev_nc_u32_e32 v53, 28, v51
	v_sub_nc_u32_e32 v51, 29, v51
	v_cndmask_b32_e64 v18, v52, v51, s1
	v_cndmask_b32_e64 v51, 0, v53, s1
	v_lshl_add_u32 v18, v18, 23, 0x3c000000
	v_lshlrev_b64 v[51:52], v51, v[9:10]
	v_lshlrev_b32_e32 v52, 24, v9
	v_lshlrev_b32_e32 v51, 20, v51
	v_and_b32_e32 v52, 0x80000000, v52
	v_and_b32_e32 v51, 0x700000, v51
	v_or3_b32 v51, v51, v52, v18
.LBB305_264:                            ;   in Loop: Header=BB305_167 Depth=1
	s_or_b32 exec_lo, exec_lo, s28
.LBB305_265:                            ;   in Loop: Header=BB305_167 Depth=1
	s_or_b32 exec_lo, exec_lo, s27
.LBB305_266:                            ;   in Loop: Header=BB305_167 Depth=1
	s_or_b32 exec_lo, exec_lo, s26
	v_cmp_ne_u16_sdwa s1, v9, v10 src0_sel:BYTE_1 src1_sel:DWORD
	s_and_saveexec_b32 s26, s1
	s_cbranch_execz .LBB305_274
; %bb.267:                              ;   in Loop: Header=BB305_167 Depth=1
	v_cmp_ne_u16_sdwa s1, v9, v27 src0_sel:BYTE_1 src1_sel:DWORD
	v_bfrev_b32_e32 v17, 1
	s_and_saveexec_b32 s27, s1
	s_cbranch_execz .LBB305_273
; %bb.268:                              ;   in Loop: Header=BB305_167 Depth=1
	v_and_b32_sdwa v18, v28, v9 dst_sel:DWORD dst_unused:UNUSED_PAD src0_sel:DWORD src1_sel:BYTE_1
	v_mov_b32_e32 v17, 0x7f800001
	s_mov_b32 s28, exec_lo
	v_and_b32_e32 v53, 0x7f, v18
	v_cmpx_ne_u32_e32 0x7f, v53
	s_cbranch_execz .LBB305_272
; %bb.269:                              ;   in Loop: Header=BB305_167 Depth=1
	v_and_b32_e32 v17, 7, v18
	v_mov_b32_e32 v18, v10
	v_lshrrev_b32_e32 v52, 3, v53
	s_mov_b32 s29, exec_lo
	v_cmpx_gt_u32_e32 8, v53
; %bb.270:                              ;   in Loop: Header=BB305_167 Depth=1
	v_ffbh_u32_e32 v52, v17
	v_min_u32_e32 v52, 32, v52
	v_subrev_nc_u32_e32 v53, 28, v52
	v_sub_nc_u32_e32 v52, 29, v52
	v_lshlrev_b64 v[17:18], v53, v[17:18]
	v_and_b32_e32 v17, 7, v17
; %bb.271:                              ;   in Loop: Header=BB305_167 Depth=1
	s_or_b32 exec_lo, exec_lo, s29
	v_lshlrev_b32_e32 v9, 16, v9
	v_lshlrev_b32_e32 v17, 20, v17
	v_lshl_add_u32 v18, v52, 23, 0x3c000000
	v_and_b32_e32 v9, 0x80000000, v9
	v_or3_b32 v17, v17, v9, v18
.LBB305_272:                            ;   in Loop: Header=BB305_167 Depth=1
	s_or_b32 exec_lo, exec_lo, s28
.LBB305_273:                            ;   in Loop: Header=BB305_167 Depth=1
	s_or_b32 exec_lo, exec_lo, s27
.LBB305_274:                            ;   in Loop: Header=BB305_167 Depth=1
	s_or_b32 exec_lo, exec_lo, s26
	v_and_b32_sdwa v9, v16, v29 dst_sel:DWORD dst_unused:UNUSED_PAD src0_sel:WORD_1 src1_sel:DWORD
	v_mov_b32_e32 v18, 0
	v_mov_b32_e32 v52, 0
	s_mov_b32 s26, exec_lo
	v_cmpx_ne_u16_e32 0, v9
	s_cbranch_execz .LBB305_282
; %bb.275:                              ;   in Loop: Header=BB305_167 Depth=1
	v_bfrev_b32_e32 v52, 1
	s_mov_b32 s27, exec_lo
	v_cmpx_ne_u16_e32 0x80, v9
	s_cbranch_execz .LBB305_281
; %bb.276:                              ;   in Loop: Header=BB305_167 Depth=1
	v_bfe_u32 v53, v16, 16, 7
	v_mov_b32_e32 v52, 0x7f800001
	s_mov_b32 s28, exec_lo
	v_cmpx_ne_u32_e32 0x7f, v53
	s_cbranch_execz .LBB305_280
; %bb.277:                              ;   in Loop: Header=BB305_167 Depth=1
	v_and_b32_sdwa v9, v16, v30 dst_sel:DWORD dst_unused:UNUSED_PAD src0_sel:WORD_1 src1_sel:DWORD
	v_lshrrev_b32_e32 v52, 3, v53
	s_mov_b32 s29, exec_lo
	v_cmpx_gt_u32_e32 8, v53
; %bb.278:                              ;   in Loop: Header=BB305_167 Depth=1
	v_ffbh_u32_e32 v52, v9
	v_min_u32_e32 v52, 32, v52
	v_subrev_nc_u32_e32 v53, 28, v52
	v_sub_nc_u32_e32 v52, 29, v52
	v_lshlrev_b64 v[53:54], v53, v[9:10]
	v_and_b32_e32 v9, 7, v53
; %bb.279:                              ;   in Loop: Header=BB305_167 Depth=1
	s_or_b32 exec_lo, exec_lo, s29
	v_lshlrev_b32_sdwa v53, v31, v16 dst_sel:DWORD dst_unused:UNUSED_PAD src0_sel:DWORD src1_sel:WORD_1
	v_lshlrev_b32_e32 v9, 20, v9
	v_lshl_add_u32 v52, v52, 23, 0x3c000000
	v_and_b32_e32 v53, 0x80000000, v53
	v_or3_b32 v52, v9, v53, v52
.LBB305_280:                            ;   in Loop: Header=BB305_167 Depth=1
	s_or_b32 exec_lo, exec_lo, s28
.LBB305_281:                            ;   in Loop: Header=BB305_167 Depth=1
	s_or_b32 exec_lo, exec_lo, s27
.LBB305_282:                            ;   in Loop: Header=BB305_167 Depth=1
	s_or_b32 exec_lo, exec_lo, s26
	s_mov_b32 s26, exec_lo
	v_cmpx_lt_u64_e64 s[2:3], v[15:16]
	s_cbranch_execz .LBB305_290
; %bb.283:                              ;   in Loop: Header=BB305_167 Depth=1
	v_cmp_ne_u32_sdwa s1, v16, v27 src0_sel:BYTE_3 src1_sel:DWORD
	v_bfrev_b32_e32 v18, 1
	s_and_saveexec_b32 s27, s1
	s_cbranch_execz .LBB305_289
; %bb.284:                              ;   in Loop: Header=BB305_167 Depth=1
	v_bfe_u32 v53, v16, 24, 7
	v_mov_b32_e32 v18, 0x7f800001
	s_mov_b32 s28, exec_lo
	v_cmpx_ne_u32_e32 0x7f, v53
	s_cbranch_execz .LBB305_288
; %bb.285:                              ;   in Loop: Header=BB305_167 Depth=1
	v_and_b32_sdwa v9, v16, v30 dst_sel:DWORD dst_unused:UNUSED_PAD src0_sel:BYTE_3 src1_sel:DWORD
	v_lshrrev_b32_e32 v15, 3, v53
	s_mov_b32 s29, exec_lo
	v_cmpx_gt_u32_e32 8, v53
; %bb.286:                              ;   in Loop: Header=BB305_167 Depth=1
	v_ffbh_u32_e32 v15, v9
	v_min_u32_e32 v15, 32, v15
	v_subrev_nc_u32_e32 v18, 28, v15
	v_sub_nc_u32_e32 v15, 29, v15
	v_lshlrev_b64 v[53:54], v18, v[9:10]
	v_and_b32_e32 v9, 7, v53
; %bb.287:                              ;   in Loop: Header=BB305_167 Depth=1
	s_or_b32 exec_lo, exec_lo, s29
	v_lshlrev_b32_sdwa v16, v31, v16 dst_sel:DWORD dst_unused:UNUSED_PAD src0_sel:DWORD src1_sel:BYTE_3
	v_lshlrev_b32_e32 v9, 20, v9
	v_lshl_add_u32 v15, v15, 23, 0x3c000000
	v_and_b32_e32 v16, 0x80000000, v16
	v_or3_b32 v18, v9, v16, v15
.LBB305_288:                            ;   in Loop: Header=BB305_167 Depth=1
	s_or_b32 exec_lo, exec_lo, s28
.LBB305_289:                            ;   in Loop: Header=BB305_167 Depth=1
	s_or_b32 exec_lo, exec_lo, s27
.LBB305_290:                            ;   in Loop: Header=BB305_167 Depth=1
	s_or_b32 exec_lo, exec_lo, s26
	v_mul_f32_e32 v9, s22, v17
	v_mul_f32_e32 v15, s22, v51
	;; [unrolled: 1-line block ×5, first 2 shown]
	v_bfe_u32 v49, v9, 16, 1
	v_or_b32_e32 v50, 0x400000, v9
	v_bfe_u32 v51, v15, 16, 1
	v_cmp_u_f32_e64 s1, v9, v9
	v_or_b32_e32 v53, 0x400000, v15
	v_add3_u32 v49, v49, v9, 0x7fff
	v_bfe_u32 v54, v16, 16, 1
	v_add3_u32 v51, v51, v15, 0x7fff
	v_or_b32_e32 v55, 0x400000, v16
	v_bfe_u32 v56, v17, 16, 1
	v_cndmask_b32_e64 v9, v49, v50, s1
	v_cmp_u_f32_e64 s1, v15, v15
	v_add3_u32 v54, v54, v16, 0x7fff
	v_or_b32_e32 v50, 0x400000, v17
	v_add3_u32 v49, v56, v17, 0x7fff
	v_mul_f32_e32 v47, s22, v47
	v_cndmask_b32_e64 v15, v51, v53, s1
	v_cmp_u_f32_e64 s1, v16, v16
	v_bfe_u32 v51, v48, 16, 1
	v_mul_f32_e32 v18, s22, v18
	v_lshrrev_b32_e32 v9, 16, v9
	v_lshrrev_b32_e32 v15, 16, v15
	v_cndmask_b32_e64 v16, v54, v55, s1
	v_cmp_u_f32_e64 s1, v17, v17
	v_or_b32_e32 v55, 0x400000, v18
	v_lshrrev_b32_e32 v16, 16, v16
	v_cndmask_b32_e64 v17, v49, v50, s1
	v_mul_f32_e32 v49, s22, v52
	v_add3_u32 v50, v51, v48, 0x7fff
	v_or_b32_e32 v51, 0x400000, v48
	v_bfe_u32 v52, v47, 16, 1
	v_cmp_u_f32_e64 s1, v48, v48
	v_bfe_u32 v53, v49, 16, 1
	v_or_b32_e32 v54, 0x400000, v49
	v_cndmask_b32_e64 v48, v50, v51, s1
	v_add3_u32 v51, v52, v47, 0x7fff
	v_or_b32_e32 v52, 0x400000, v47
	v_cmp_u_f32_e64 s1, v47, v47
	v_bfe_u32 v50, v18, 16, 1
	v_add3_u32 v53, v53, v49, 0x7fff
	v_lshrrev_b32_e32 v47, 16, v17
	v_lshrrev_b32_e32 v48, 16, v48
	v_cndmask_b32_e64 v51, v51, v52, s1
	v_cmp_u_f32_e64 s1, v49, v49
	v_add3_u32 v50, v50, v18, 0x7fff
	v_lshrrev_b32_e32 v49, 16, v51
	v_cndmask_b32_e64 v52, v53, v54, s1
	v_cmp_u_f32_e64 s1, v18, v18
	v_lshrrev_b32_e32 v18, 16, v52
	v_cndmask_b32_e64 v50, v50, v55, s1
	v_lshrrev_b32_e32 v17, 16, v50
	s_and_saveexec_b32 s1, vcc_lo
	s_cbranch_execz .LBB305_165
; %bb.291:                              ;   in Loop: Header=BB305_167 Depth=1
	v_cmp_gt_i32_e32 vcc_lo, s11, v22
	v_cndmask_b32_e32 v49, 0, v49, vcc_lo
	v_cmp_gt_i32_e32 vcc_lo, s11, v46
	v_cndmask_b32_e32 v48, 0, v48, vcc_lo
	;; [unrolled: 2-line block ×8, first 2 shown]
	s_branch .LBB305_165
.LBB305_292:
	s_or_b32 exec_lo, exec_lo, s18
.LBB305_293:
	s_or_b32 exec_lo, exec_lo, s4
	v_lshl_add_u32 v2, v23, 2, 0xa0
	v_and_b32_e32 v3, 0x3c0, v0
	s_mov_b32 s1, exec_lo
	s_barrier
	v_lshl_add_u32 v1, v21, 8, v2
	buffer_gl0_inv
	v_cmpx_eq_u32_e32 64, v3
	s_cbranch_execz .LBB305_295
; %bb.294:
	v_add_nc_u32_e32 v3, 0xfffffe00, v1
	v_add_nc_u32_e32 v4, 0xfffffe80, v1
	ds_write_b32 v3, v24
	ds_write_b32 v4, v25
.LBB305_295:
	s_or_b32 exec_lo, exec_lo, s1
	s_mov_b32 s1, exec_lo
	s_waitcnt lgkmcnt(0)
	s_barrier
	buffer_gl0_inv
	v_cmpx_gt_u32_e32 64, v0
	s_cbranch_execz .LBB305_297
; %bb.296:
	ds_read2_b32 v[3:4], v1 offset1:32
	s_waitcnt lgkmcnt(0)
	v_add_f32_e32 v24, v24, v3
	v_add_f32_e32 v25, v25, v4
.LBB305_297:
	s_or_b32 exec_lo, exec_lo, s1
	v_and_b32_e32 v3, 0x3e0, v0
	s_mov_b32 s1, exec_lo
	s_barrier
	buffer_gl0_inv
	v_cmpx_eq_u32_e32 32, v3
; %bb.298:
	ds_write2_b32 v2, v24, v25 offset1:32
; %bb.299:
	s_or_b32 exec_lo, exec_lo, s1
	s_waitcnt lgkmcnt(0)
	s_barrier
	buffer_gl0_inv
	s_and_saveexec_b32 s1, s0
	s_cbranch_execz .LBB305_301
; %bb.300:
	ds_read2_b32 v[1:2], v1 offset1:32
	s_waitcnt lgkmcnt(0)
	v_add_f32_e32 v24, v24, v1
	v_add_f32_e32 v25, v25, v2
.LBB305_301:
	s_or_b32 exec_lo, exec_lo, s1
	s_barrier
	buffer_gl0_inv
	s_and_saveexec_b32 s1, s0
	s_cbranch_execz .LBB305_303
; %bb.302:
	s_mul_i32 s0, s10, s16
	v_bfe_u32 v1, v24, 16, 1
	s_mul_i32 s0, s0, s9
	s_mul_i32 s2, s16, s24
	s_lshl_b32 s0, s0, 6
	v_or_b32_e32 v2, 0x400000, v24
	s_ashr_i32 s1, s0, 31
	v_bfe_u32 v3, v25, 16, 1
	s_lshl_b64 s[0:1], s[0:1], 1
	v_add3_u32 v1, v1, v24, 0x7fff
	s_add_u32 s4, s6, s0
	s_addc_u32 s5, s7, s1
	s_ashr_i32 s3, s2, 31
	v_cmp_u_f32_e32 vcc_lo, v24, v24
	s_lshl_b64 s[0:1], s[2:3], 1
	v_or_b32_e32 v4, 0x400000, v25
	s_add_u32 s2, s4, s0
	s_addc_u32 s3, s5, s1
	s_lshl_b32 s0, s8, 6
	v_add3_u32 v3, v3, v25, 0x7fff
	v_cndmask_b32_e32 v1, v1, v2, vcc_lo
	v_cmp_u_f32_e32 vcc_lo, v25, v25
	s_ashr_i32 s1, s0, 31
	v_lshlrev_b32_e32 v0, 1, v0
	s_lshl_b64 s[0:1], s[0:1], 1
	v_cndmask_b32_e32 v2, v3, v4, vcc_lo
	s_add_u32 s0, s2, s0
	s_addc_u32 s1, s3, s1
	global_store_short_d16_hi v0, v1, s[0:1]
	global_store_short_d16_hi v0, v2, s[0:1] offset:64
.LBB305_303:
	s_endpgm
	.section	.rodata,"a",@progbits
	.p2align	6, 0x0
	.amdhsa_kernel _ZN4vllm25paged_attention_v1_kernelI14__hip_bfloat16hLi64ELi8ELi128ELNS_18Fp8KVCacheDataTypeE1ELb1EEEvPT_PKS3_PKT0_S9_ifPKiSB_iPKfiiiSD_SD_iiiii
		.amdhsa_group_segment_fixed_size 160
		.amdhsa_private_segment_fixed_size 0
		.amdhsa_kernarg_size 384
		.amdhsa_user_sgpr_count 6
		.amdhsa_user_sgpr_private_segment_buffer 1
		.amdhsa_user_sgpr_dispatch_ptr 0
		.amdhsa_user_sgpr_queue_ptr 0
		.amdhsa_user_sgpr_kernarg_segment_ptr 1
		.amdhsa_user_sgpr_dispatch_id 0
		.amdhsa_user_sgpr_flat_scratch_init 0
		.amdhsa_user_sgpr_private_segment_size 0
		.amdhsa_wavefront_size32 1
		.amdhsa_uses_dynamic_stack 0
		.amdhsa_system_sgpr_private_segment_wavefront_offset 0
		.amdhsa_system_sgpr_workgroup_id_x 1
		.amdhsa_system_sgpr_workgroup_id_y 1
		.amdhsa_system_sgpr_workgroup_id_z 1
		.amdhsa_system_sgpr_workgroup_info 0
		.amdhsa_system_vgpr_workitem_id 0
		.amdhsa_next_free_vgpr 57
		.amdhsa_next_free_sgpr 46
		.amdhsa_reserve_vcc 1
		.amdhsa_reserve_flat_scratch 0
		.amdhsa_float_round_mode_32 0
		.amdhsa_float_round_mode_16_64 0
		.amdhsa_float_denorm_mode_32 3
		.amdhsa_float_denorm_mode_16_64 3
		.amdhsa_dx10_clamp 1
		.amdhsa_ieee_mode 1
		.amdhsa_fp16_overflow 0
		.amdhsa_workgroup_processor_mode 1
		.amdhsa_memory_ordered 1
		.amdhsa_forward_progress 1
		.amdhsa_shared_vgpr_count 0
		.amdhsa_exception_fp_ieee_invalid_op 0
		.amdhsa_exception_fp_denorm_src 0
		.amdhsa_exception_fp_ieee_div_zero 0
		.amdhsa_exception_fp_ieee_overflow 0
		.amdhsa_exception_fp_ieee_underflow 0
		.amdhsa_exception_fp_ieee_inexact 0
		.amdhsa_exception_int_div_zero 0
	.end_amdhsa_kernel
	.section	.text._ZN4vllm25paged_attention_v1_kernelI14__hip_bfloat16hLi64ELi8ELi128ELNS_18Fp8KVCacheDataTypeE1ELb1EEEvPT_PKS3_PKT0_S9_ifPKiSB_iPKfiiiSD_SD_iiiii,"axG",@progbits,_ZN4vllm25paged_attention_v1_kernelI14__hip_bfloat16hLi64ELi8ELi128ELNS_18Fp8KVCacheDataTypeE1ELb1EEEvPT_PKS3_PKT0_S9_ifPKiSB_iPKfiiiSD_SD_iiiii,comdat
.Lfunc_end305:
	.size	_ZN4vllm25paged_attention_v1_kernelI14__hip_bfloat16hLi64ELi8ELi128ELNS_18Fp8KVCacheDataTypeE1ELb1EEEvPT_PKS3_PKT0_S9_ifPKiSB_iPKfiiiSD_SD_iiiii, .Lfunc_end305-_ZN4vllm25paged_attention_v1_kernelI14__hip_bfloat16hLi64ELi8ELi128ELNS_18Fp8KVCacheDataTypeE1ELb1EEEvPT_PKS3_PKT0_S9_ifPKiSB_iPKfiiiSD_SD_iiiii
                                        ; -- End function
	.set _ZN4vllm25paged_attention_v1_kernelI14__hip_bfloat16hLi64ELi8ELi128ELNS_18Fp8KVCacheDataTypeE1ELb1EEEvPT_PKS3_PKT0_S9_ifPKiSB_iPKfiiiSD_SD_iiiii.num_vgpr, 57
	.set _ZN4vllm25paged_attention_v1_kernelI14__hip_bfloat16hLi64ELi8ELi128ELNS_18Fp8KVCacheDataTypeE1ELb1EEEvPT_PKS3_PKT0_S9_ifPKiSB_iPKfiiiSD_SD_iiiii.num_agpr, 0
	.set _ZN4vllm25paged_attention_v1_kernelI14__hip_bfloat16hLi64ELi8ELi128ELNS_18Fp8KVCacheDataTypeE1ELb1EEEvPT_PKS3_PKT0_S9_ifPKiSB_iPKfiiiSD_SD_iiiii.numbered_sgpr, 46
	.set _ZN4vllm25paged_attention_v1_kernelI14__hip_bfloat16hLi64ELi8ELi128ELNS_18Fp8KVCacheDataTypeE1ELb1EEEvPT_PKS3_PKT0_S9_ifPKiSB_iPKfiiiSD_SD_iiiii.num_named_barrier, 0
	.set _ZN4vllm25paged_attention_v1_kernelI14__hip_bfloat16hLi64ELi8ELi128ELNS_18Fp8KVCacheDataTypeE1ELb1EEEvPT_PKS3_PKT0_S9_ifPKiSB_iPKfiiiSD_SD_iiiii.private_seg_size, 0
	.set _ZN4vllm25paged_attention_v1_kernelI14__hip_bfloat16hLi64ELi8ELi128ELNS_18Fp8KVCacheDataTypeE1ELb1EEEvPT_PKS3_PKT0_S9_ifPKiSB_iPKfiiiSD_SD_iiiii.uses_vcc, 1
	.set _ZN4vllm25paged_attention_v1_kernelI14__hip_bfloat16hLi64ELi8ELi128ELNS_18Fp8KVCacheDataTypeE1ELb1EEEvPT_PKS3_PKT0_S9_ifPKiSB_iPKfiiiSD_SD_iiiii.uses_flat_scratch, 0
	.set _ZN4vllm25paged_attention_v1_kernelI14__hip_bfloat16hLi64ELi8ELi128ELNS_18Fp8KVCacheDataTypeE1ELb1EEEvPT_PKS3_PKT0_S9_ifPKiSB_iPKfiiiSD_SD_iiiii.has_dyn_sized_stack, 0
	.set _ZN4vllm25paged_attention_v1_kernelI14__hip_bfloat16hLi64ELi8ELi128ELNS_18Fp8KVCacheDataTypeE1ELb1EEEvPT_PKS3_PKT0_S9_ifPKiSB_iPKfiiiSD_SD_iiiii.has_recursion, 0
	.set _ZN4vllm25paged_attention_v1_kernelI14__hip_bfloat16hLi64ELi8ELi128ELNS_18Fp8KVCacheDataTypeE1ELb1EEEvPT_PKS3_PKT0_S9_ifPKiSB_iPKfiiiSD_SD_iiiii.has_indirect_call, 0
	.section	.AMDGPU.csdata,"",@progbits
; Kernel info:
; codeLenInByte = 12496
; TotalNumSgprs: 48
; NumVgprs: 57
; ScratchSize: 0
; MemoryBound: 0
; FloatMode: 240
; IeeeMode: 1
; LDSByteSize: 160 bytes/workgroup (compile time only)
; SGPRBlocks: 0
; VGPRBlocks: 7
; NumSGPRsForWavesPerEU: 48
; NumVGPRsForWavesPerEU: 57
; Occupancy: 16
; WaveLimiterHint : 1
; COMPUTE_PGM_RSRC2:SCRATCH_EN: 0
; COMPUTE_PGM_RSRC2:USER_SGPR: 6
; COMPUTE_PGM_RSRC2:TRAP_HANDLER: 0
; COMPUTE_PGM_RSRC2:TGID_X_EN: 1
; COMPUTE_PGM_RSRC2:TGID_Y_EN: 1
; COMPUTE_PGM_RSRC2:TGID_Z_EN: 1
; COMPUTE_PGM_RSRC2:TIDIG_COMP_CNT: 0
	.section	.text._ZN4vllm25paged_attention_v1_kernelI14__hip_bfloat16hLi80ELi8ELi128ELNS_18Fp8KVCacheDataTypeE1ELb1EEEvPT_PKS3_PKT0_S9_ifPKiSB_iPKfiiiSD_SD_iiiii,"axG",@progbits,_ZN4vllm25paged_attention_v1_kernelI14__hip_bfloat16hLi80ELi8ELi128ELNS_18Fp8KVCacheDataTypeE1ELb1EEEvPT_PKS3_PKT0_S9_ifPKiSB_iPKfiiiSD_SD_iiiii,comdat
	.protected	_ZN4vllm25paged_attention_v1_kernelI14__hip_bfloat16hLi80ELi8ELi128ELNS_18Fp8KVCacheDataTypeE1ELb1EEEvPT_PKS3_PKT0_S9_ifPKiSB_iPKfiiiSD_SD_iiiii ; -- Begin function _ZN4vllm25paged_attention_v1_kernelI14__hip_bfloat16hLi80ELi8ELi128ELNS_18Fp8KVCacheDataTypeE1ELb1EEEvPT_PKS3_PKT0_S9_ifPKiSB_iPKfiiiSD_SD_iiiii
	.globl	_ZN4vllm25paged_attention_v1_kernelI14__hip_bfloat16hLi80ELi8ELi128ELNS_18Fp8KVCacheDataTypeE1ELb1EEEvPT_PKS3_PKT0_S9_ifPKiSB_iPKfiiiSD_SD_iiiii
	.p2align	8
	.type	_ZN4vllm25paged_attention_v1_kernelI14__hip_bfloat16hLi80ELi8ELi128ELNS_18Fp8KVCacheDataTypeE1ELb1EEEvPT_PKS3_PKT0_S9_ifPKiSB_iPKfiiiSD_SD_iiiii,@function
_ZN4vllm25paged_attention_v1_kernelI14__hip_bfloat16hLi80ELi8ELi128ELNS_18Fp8KVCacheDataTypeE1ELb1EEEvPT_PKS3_PKT0_S9_ifPKiSB_iPKfiiiSD_SD_iiiii: ; @_ZN4vllm25paged_attention_v1_kernelI14__hip_bfloat16hLi80ELi8ELi128ELNS_18Fp8KVCacheDataTypeE1ELb1EEEvPT_PKS3_PKT0_S9_ifPKiSB_iPKfiiiSD_SD_iiiii
; %bb.0:
	s_clause 0x2
	s_load_dword s33, s[4:5], 0x80
	s_load_dwordx2 s[0:1], s[4:5], 0x30
	s_load_dwordx2 s[34:35], s[4:5], 0x20
	s_mov_b32 s24, s7
	s_ashr_i32 s25, s7, 31
	s_mov_b32 s39, 0
	s_lshl_b64 s[2:3], s[24:25], 2
	s_waitcnt lgkmcnt(0)
	s_add_u32 s0, s0, s2
	s_addc_u32 s1, s1, s3
	s_abs_i32 s2, s34
	s_abs_i32 s9, s33
	v_cvt_f32_u32_e32 v1, s2
	s_sub_i32 s7, 0, s2
	v_rcp_iflag_f32_e32 v1, v1
	v_mul_f32_e32 v1, 0x4f7ffffe, v1
	v_cvt_u32_f32_e32 v1, v1
	v_readfirstlane_b32 s3, v1
	s_mul_i32 s7, s7, s3
	s_mul_hi_u32 s7, s3, s7
	s_add_i32 s3, s3, s7
	s_xor_b32 s7, s33, s34
	s_mul_hi_u32 s3, s9, s3
	s_ashr_i32 s7, s7, 31
	s_mul_i32 s10, s3, s2
	s_sub_i32 s9, s9, s10
	s_add_i32 s10, s3, 1
	s_sub_i32 s11, s9, s2
	s_cmp_ge_u32 s9, s2
	s_cselect_b32 s3, s10, s3
	s_cselect_b32 s9, s11, s9
	s_add_i32 s10, s3, 1
	s_cmp_ge_u32 s9, s2
	s_cselect_b32 s2, s10, s3
	s_xor_b32 s2, s2, s7
	s_sub_i32 s16, s2, s7
	s_load_dwordx2 s[2:3], s[4:5], 0x40
	s_abs_i32 s9, s16
	v_cvt_f32_u32_e32 v1, s9
	s_sub_i32 s10, 0, s9
	v_rcp_iflag_f32_e32 v1, v1
	v_mul_f32_e32 v1, 0x4f7ffffe, v1
	v_cvt_u32_f32_e32 v1, v1
	v_readfirstlane_b32 s7, v1
	s_mul_i32 s10, s10, s7
	s_mul_hi_u32 s11, s7, s10
	s_abs_i32 s10, s6
	s_add_i32 s7, s7, s11
	s_waitcnt lgkmcnt(0)
	s_cmp_eq_u64 s[2:3], 0
	s_mul_hi_u32 s11, s10, s7
	s_cbranch_scc1 .LBB306_2
; %bb.1:
	s_ashr_i32 s7, s6, 31
	s_lshl_b64 s[12:13], s[6:7], 2
	s_add_u32 s2, s2, s12
	s_addc_u32 s3, s3, s13
	s_load_dword s39, s[2:3], 0x0
.LBB306_2:
	s_load_dword s25, s[0:1], 0x0
	s_load_dwordx4 s[12:15], s[4:5], 0x48
	v_and_b32_e32 v1, 3, v0
	s_ashr_i32 s0, s6, 31
	s_ashr_i32 s1, s16, 31
	s_mul_i32 s26, s6, 0x50
	s_mov_b32 s2, exec_lo
	v_cmpx_gt_u32_e32 40, v0
	s_cbranch_execz .LBB306_4
; %bb.3:
	s_load_dwordx2 s[16:17], s[4:5], 0x8
	s_waitcnt lgkmcnt(0)
	s_mul_i32 s18, s12, s24
	v_lshlrev_b32_e32 v2, 2, v0
	s_ashr_i32 s19, s18, 31
	v_and_b32_e32 v3, 0x3fc, v0
	s_lshl_b64 s[18:19], s[18:19], 1
	v_mad_u32_u24 v3, v1, 40, v3
	s_add_u32 s3, s16, s18
	s_addc_u32 s7, s17, s19
	s_ashr_i32 s27, s26, 31
	s_lshl_b64 s[16:17], s[26:27], 1
	s_add_u32 s16, s3, s16
	s_addc_u32 s17, s7, s17
	global_load_dword v2, v2, s[16:17]
	s_waitcnt vmcnt(0)
	ds_write_b32 v3, v2
.LBB306_4:
	s_or_b32 exec_lo, exec_lo, s2
	s_load_dwordx4 s[16:19], s[4:5], 0x68
	s_mul_i32 s2, s11, s9
	s_xor_b32 s1, s0, s1
	s_sub_i32 s0, s10, s2
	s_add_i32 s2, s11, 1
	s_sub_i32 s3, s0, s9
	s_cmp_ge_u32 s0, s9
	s_mov_b32 s7, -1
	s_cselect_b32 s2, s2, s11
	s_cselect_b32 s0, s3, s0
	s_add_i32 s3, s2, 1
	s_cmp_ge_u32 s0, s9
	s_load_dword s0, s[4:5], 0x78
	s_cselect_b32 s2, s3, s2
	s_waitcnt lgkmcnt(0)
	s_add_i32 s3, s25, -1
	s_xor_b32 s2, s2, s1
	s_sub_i32 s9, s2, s1
	s_abs_i32 s2, s3
	s_barrier
	s_abs_i32 s27, s19
	buffer_gl0_inv
	v_cvt_f32_u32_e32 v2, s27
	s_sub_i32 s1, 0, s27
                                        ; implicit-def: $sgpr37
	v_rcp_iflag_f32_e32 v2, v2
	v_mul_f32_e32 v2, 0x4f7ffffe, v2
	v_cvt_u32_f32_e32 v2, v2
	v_readfirstlane_b32 s36, v2
	s_mul_i32 s1, s1, s36
	s_mul_hi_u32 s1, s36, s1
	s_add_i32 s36, s36, s1
	s_cmp_lt_i32 s0, 0
	s_mul_hi_u32 s1, s2, s36
	s_cbranch_scc0 .LBB306_6
; %bb.5:
	s_mul_i32 s7, s16, s34
	s_add_i32 s7, s9, s7
	s_mul_i32 s7, s7, s0
	s_sub_i32 s37, 1, s7
	s_mov_b32 s7, 0
.LBB306_6:
	s_load_dwordx2 s[10:11], s[4:5], 0x28
	s_ashr_i32 s3, s3, 31
	s_andn2_b32 vcc_lo, exec_lo, s7
	s_ashr_i32 s34, s19, 31
	s_cbranch_vccnz .LBB306_8
; %bb.7:
	s_mul_i32 s7, s33, s16
	s_add_i32 s6, s7, s6
	s_mul_i32 s0, s6, s0
	s_add_i32 s37, s0, 1
.LBB306_8:
	s_clause 0x2
	s_load_dword s0, s[4:5], 0x38
	s_load_dwordx2 s[28:29], s[4:5], 0x0
	s_load_dwordx2 s[30:31], s[4:5], 0x18
	s_mul_i32 s6, s1, s27
	s_xor_b32 s3, s3, s34
	s_sub_i32 s2, s2, s6
	s_add_i32 s12, s1, 1
	s_clause 0x1
	s_load_dword s19, s[4:5], 0x88
	s_load_dwordx4 s[20:23], s[4:5], 0x58
	v_lshrrev_b32_e32 v21, 5, v0
	v_mov_b32_e32 v24, 0xff7fffff
	v_lshrrev_b32_e32 v19, 3, v0
	v_mbcnt_lo_u32_b32 v20, -1, 0
	s_mul_i32 s9, s9, s14
	v_lshlrev_b32_e32 v22, 3, v21
	s_waitcnt lgkmcnt(0)
	s_mul_i32 s6, s0, s24
	s_sub_i32 s0, s2, s27
	s_ashr_i32 s7, s6, 31
	s_cmp_ge_u32 s2, s27
	s_cselect_b32 s1, s12, s1
	s_cselect_b32 s0, s0, s2
	s_add_i32 s2, s1, 1
	s_cmp_ge_u32 s0, s27
	s_cselect_b32 s0, s2, s1
	s_add_i32 s1, s25, 7
	s_ashr_i32 s2, s1, 31
	s_lshr_b32 s2, s2, 29
	s_add_i32 s1, s1, s2
	s_ashr_i32 s38, s1, 3
	s_xor_b32 s1, s0, s3
	v_cmp_gt_i32_e64 s0, s38, v21
	s_sub_i32 s12, s1, s3
	s_and_saveexec_b32 s14, s0
	s_cbranch_execz .LBB306_180
; %bb.9:
	s_load_dwordx2 s[2:3], s[4:5], 0x10
	s_sub_i32 s4, s12, s17
	s_ashr_i32 s1, s9, 31
	v_bfe_u32 v23, v0, 2, 3
	v_cmp_eq_u32_e32 vcc_lo, 0, v1
	v_lshlrev_b32_e32 v3, 1, v1
	v_mul_u32_u24_e32 v25, 40, v1
	v_and_b32_e32 v1, 0x7c, v19
	v_lshlrev_b32_e32 v4, 2, v23
	v_subrev_nc_u32_e32 v5, s25, v23
	v_lshlrev_b32_e32 v6, 4, v23
	v_mov_b32_e32 v10, 0
	v_lshlrev_b32_e32 v26, 3, v21
	v_lshl_or_b32 v4, v21, 5, v4
	v_add_nc_u32_e32 v30, 1, v5
	v_mov_b32_e32 v27, 0xff7fffff
	v_mov_b32_e32 v28, 0x80
	;; [unrolled: 1-line block ×3, first 2 shown]
	v_add_nc_u32_e32 v31, 0xc0, v4
	v_mov_b32_e32 v24, 0xff7fffff
	s_waitcnt lgkmcnt(0)
	s_add_u32 s15, s2, s9
	s_addc_u32 s16, s3, s1
	s_abs_i32 s5, s18
	v_add_co_u32 v5, s15, s15, v6
	v_cvt_f32_u32_e32 v2, s5
	s_sub_i32 s2, 0, s5
	v_add_co_ci_u32_e64 v6, null, s16, 0, s15
	v_cmp_neq_f32_e64 s1, s39, 0
	v_rcp_iflag_f32_e32 v2, v2
	v_mov_b32_e32 v33, v21
	s_mov_b32 s15, 0
	s_mov_b32 s16, s13
	v_mul_f32_e32 v2, 0x4f7ffffe, v2
	v_cvt_u32_f32_e32 v2, v2
	v_mul_lo_u32 v4, s2, v2
	s_lshl_b64 s[2:3], s[6:7], 2
	s_add_u32 s2, s10, s2
	s_addc_u32 s3, s11, s3
	v_add_co_u32 v11, s2, s2, v1
	v_add_co_ci_u32_e64 v12, null, s3, 0, s2
	v_mul_hi_u32 v4, v2, v4
	v_add_co_u32 v13, s2, v5, v3
	v_add_co_ci_u32_e64 v14, null, 0, v6, s2
	v_add_nc_u32_e32 v32, v2, v4
	s_branch .LBB306_12
.LBB306_10:                             ;   in Loop: Header=BB306_12 Depth=1
	s_or_b32 exec_lo, exec_lo, s40
.LBB306_11:                             ;   in Loop: Header=BB306_12 Depth=1
	s_or_b32 exec_lo, exec_lo, s3
	v_add_nc_u32_e32 v33, 4, v33
	v_add_co_u32 v11, s3, v11, 16
	v_add_co_ci_u32_e64 v12, null, 0, v12, s3
	v_cmp_le_i32_e64 s2, s38, v33
	v_add_nc_u32_e32 v26, 32, v26
	v_add_nc_u32_e32 v31, 0x80, v31
	s_or_b32 s15, s2, s15
	s_andn2_b32 exec_lo, exec_lo, s15
	s_cbranch_execz .LBB306_179
.LBB306_12:                             ; =>This Inner Loop Header: Depth=1
	v_mul_hi_u32 v1, v26, s36
	s_waitcnt lgkmcnt(0)
	v_mul_lo_u32 v2, v1, s27
	v_add_nc_u32_e32 v3, 1, v1
	v_sub_nc_u32_e32 v2, v26, v2
	v_subrev_nc_u32_e32 v4, s27, v2
	v_cmp_le_u32_e64 s2, s27, v2
	v_cndmask_b32_e64 v1, v1, v3, s2
	v_cndmask_b32_e64 v2, v2, v4, s2
	v_add_nc_u32_e32 v3, 1, v1
	v_cmp_le_u32_e64 s2, s27, v2
	v_cndmask_b32_e64 v1, v1, v3, s2
	v_xor_b32_e32 v1, s34, v1
	v_subrev_nc_u32_e32 v1, s34, v1
	v_add_nc_u32_e32 v2, s37, v1
	v_cmp_ge_i32_e64 s3, s4, v1
	v_sub_nc_u32_e32 v3, 0, v2
	v_max_i32_e32 v3, v2, v3
	v_ashrrev_i32_e32 v2, 31, v2
	v_mul_hi_u32 v4, v3, v32
	v_mul_lo_u32 v4, v4, s5
	v_sub_nc_u32_e32 v3, v3, v4
	v_subrev_nc_u32_e32 v4, s5, v3
	v_cmp_le_u32_e64 s2, s5, v3
	v_cndmask_b32_e64 v3, v3, v4, s2
	v_subrev_nc_u32_e32 v4, s5, v3
	v_cmp_le_u32_e64 s2, s5, v3
	v_cndmask_b32_e64 v3, v3, v4, s2
	v_xor_b32_e32 v3, v3, v2
	v_sub_nc_u32_e32 v2, v3, v2
	v_cmp_ne_u32_e64 s2, 0, v2
	s_and_b32 s2, s2, s3
	s_and_saveexec_b32 s3, s2
	s_xor_b32 s2, exec_lo, s3
	s_cbranch_execz .LBB306_16
; %bb.13:                               ;   in Loop: Header=BB306_12 Depth=1
	s_and_saveexec_b32 s3, vcc_lo
; %bb.14:                               ;   in Loop: Header=BB306_12 Depth=1
	ds_write_b32 v31, v27
; %bb.15:                               ;   in Loop: Header=BB306_12 Depth=1
	s_or_b32 exec_lo, exec_lo, s3
.LBB306_16:                             ;   in Loop: Header=BB306_12 Depth=1
	s_andn2_saveexec_b32 s3, s2
	s_cbranch_execz .LBB306_11
; %bb.17:                               ;   in Loop: Header=BB306_12 Depth=1
	global_load_dword v1, v[11:12], off
	v_mov_b32_e32 v35, 0
	v_mov_b32_e32 v34, 0
	s_waitcnt vmcnt(0)
	v_mad_i64_i32 v[17:18], null, v1, s16, v[13:14]
	global_load_ushort v9, v[17:18], off
	ds_read2_b64 v[5:8], v25 offset1:1
	ds_read2_b64 v[1:4], v25 offset0:2 offset1:3
	ds_read_b64 v[15:16], v25 offset:32
	s_load_dword s40, s[20:21], 0x0
	s_waitcnt vmcnt(0)
	v_and_b32_e32 v36, 0xffff, v9
	v_cmp_ne_u16_sdwa s2, v9, v10 src0_sel:BYTE_0 src1_sel:DWORD
	s_and_saveexec_b32 s41, s2
	s_cbranch_execz .LBB306_25
; %bb.18:                               ;   in Loop: Header=BB306_12 Depth=1
	v_cmp_ne_u16_sdwa s2, v36, v28 src0_sel:BYTE_0 src1_sel:DWORD
	v_bfrev_b32_e32 v34, 1
	s_and_saveexec_b32 s42, s2
	s_cbranch_execz .LBB306_24
; %bb.19:                               ;   in Loop: Header=BB306_12 Depth=1
	v_and_b32_e32 v37, 0x7f, v36
	v_mov_b32_e32 v34, 0x7f800001
	s_mov_b32 s43, exec_lo
	v_cmpx_ne_u32_e32 0x7f, v37
	s_cbranch_execz .LBB306_23
; %bb.20:                               ;   in Loop: Header=BB306_12 Depth=1
	v_and_b32_e32 v9, 7, v36
	v_lshrrev_b32_e32 v34, 3, v37
	s_mov_b32 s44, exec_lo
	v_cmpx_gt_u32_e32 8, v37
; %bb.21:                               ;   in Loop: Header=BB306_12 Depth=1
	v_ffbh_u32_e32 v34, v9
	v_min_u32_e32 v34, 32, v34
	v_subrev_nc_u32_e32 v37, 28, v34
	v_sub_nc_u32_e32 v34, 29, v34
	v_lshlrev_b64 v[37:38], v37, v[9:10]
	v_and_b32_e32 v9, 7, v37
; %bb.22:                               ;   in Loop: Header=BB306_12 Depth=1
	s_or_b32 exec_lo, exec_lo, s44
	v_lshlrev_b32_e32 v37, 24, v36
	v_lshlrev_b32_e32 v9, 20, v9
	v_lshl_add_u32 v34, v34, 23, 0x3c000000
	v_and_b32_e32 v37, 0x80000000, v37
	v_or3_b32 v34, v9, v37, v34
.LBB306_23:                             ;   in Loop: Header=BB306_12 Depth=1
	s_or_b32 exec_lo, exec_lo, s43
.LBB306_24:                             ;   in Loop: Header=BB306_12 Depth=1
	s_or_b32 exec_lo, exec_lo, s42
.LBB306_25:                             ;   in Loop: Header=BB306_12 Depth=1
	s_or_b32 exec_lo, exec_lo, s41
	v_cmp_ne_u16_sdwa s2, v36, v10 src0_sel:BYTE_1 src1_sel:DWORD
	s_and_saveexec_b32 s41, s2
	s_cbranch_execz .LBB306_33
; %bb.26:                               ;   in Loop: Header=BB306_12 Depth=1
	v_cmp_ne_u16_sdwa s2, v36, v28 src0_sel:BYTE_1 src1_sel:DWORD
	v_bfrev_b32_e32 v35, 1
	s_and_saveexec_b32 s42, s2
	s_cbranch_execz .LBB306_32
; %bb.27:                               ;   in Loop: Header=BB306_12 Depth=1
	v_and_b32_sdwa v9, v29, v36 dst_sel:DWORD dst_unused:UNUSED_PAD src0_sel:DWORD src1_sel:BYTE_1
	v_mov_b32_e32 v35, 0x7f800001
	s_mov_b32 s43, exec_lo
	v_and_b32_e32 v37, 0x7f, v9
	v_cmpx_ne_u32_e32 0x7f, v37
	s_cbranch_execz .LBB306_31
; %bb.28:                               ;   in Loop: Header=BB306_12 Depth=1
	v_and_b32_e32 v9, 7, v9
	v_lshrrev_b32_e32 v35, 3, v37
	s_mov_b32 s44, exec_lo
	v_cmpx_gt_u32_e32 8, v37
; %bb.29:                               ;   in Loop: Header=BB306_12 Depth=1
	v_ffbh_u32_e32 v35, v9
	v_min_u32_e32 v35, 32, v35
	v_subrev_nc_u32_e32 v37, 28, v35
	v_sub_nc_u32_e32 v35, 29, v35
	v_lshlrev_b64 v[37:38], v37, v[9:10]
	v_and_b32_e32 v9, 7, v37
; %bb.30:                               ;   in Loop: Header=BB306_12 Depth=1
	s_or_b32 exec_lo, exec_lo, s44
	v_lshlrev_b32_e32 v36, 16, v36
	v_lshlrev_b32_e32 v9, 20, v9
	v_lshl_add_u32 v35, v35, 23, 0x3c000000
	v_and_b32_e32 v36, 0x80000000, v36
	v_or3_b32 v35, v9, v36, v35
.LBB306_31:                             ;   in Loop: Header=BB306_12 Depth=1
	s_or_b32 exec_lo, exec_lo, s43
.LBB306_32:                             ;   in Loop: Header=BB306_12 Depth=1
	s_or_b32 exec_lo, exec_lo, s42
.LBB306_33:                             ;   in Loop: Header=BB306_12 Depth=1
	s_or_b32 exec_lo, exec_lo, s41
	global_load_ushort v9, v[17:18], off offset:8
	v_mov_b32_e32 v37, 0
	v_mov_b32_e32 v36, 0
	s_waitcnt vmcnt(0)
	v_and_b32_e32 v38, 0xffff, v9
	v_cmp_ne_u16_sdwa s2, v9, v10 src0_sel:BYTE_0 src1_sel:DWORD
	s_and_saveexec_b32 s41, s2
	s_cbranch_execz .LBB306_41
; %bb.34:                               ;   in Loop: Header=BB306_12 Depth=1
	v_cmp_ne_u16_sdwa s2, v38, v28 src0_sel:BYTE_0 src1_sel:DWORD
	v_bfrev_b32_e32 v36, 1
	s_and_saveexec_b32 s42, s2
	s_cbranch_execz .LBB306_40
; %bb.35:                               ;   in Loop: Header=BB306_12 Depth=1
	v_and_b32_e32 v39, 0x7f, v38
	v_mov_b32_e32 v36, 0x7f800001
	s_mov_b32 s43, exec_lo
	v_cmpx_ne_u32_e32 0x7f, v39
	s_cbranch_execz .LBB306_39
; %bb.36:                               ;   in Loop: Header=BB306_12 Depth=1
	v_and_b32_e32 v9, 7, v38
	v_lshrrev_b32_e32 v36, 3, v39
	s_mov_b32 s44, exec_lo
	v_cmpx_gt_u32_e32 8, v39
; %bb.37:                               ;   in Loop: Header=BB306_12 Depth=1
	v_ffbh_u32_e32 v36, v9
	v_min_u32_e32 v36, 32, v36
	v_subrev_nc_u32_e32 v39, 28, v36
	v_sub_nc_u32_e32 v36, 29, v36
	v_lshlrev_b64 v[39:40], v39, v[9:10]
	v_and_b32_e32 v9, 7, v39
; %bb.38:                               ;   in Loop: Header=BB306_12 Depth=1
	s_or_b32 exec_lo, exec_lo, s44
	v_lshlrev_b32_e32 v39, 24, v38
	v_lshlrev_b32_e32 v9, 20, v9
	v_lshl_add_u32 v36, v36, 23, 0x3c000000
	v_and_b32_e32 v39, 0x80000000, v39
	v_or3_b32 v36, v9, v39, v36
.LBB306_39:                             ;   in Loop: Header=BB306_12 Depth=1
	s_or_b32 exec_lo, exec_lo, s43
.LBB306_40:                             ;   in Loop: Header=BB306_12 Depth=1
	s_or_b32 exec_lo, exec_lo, s42
.LBB306_41:                             ;   in Loop: Header=BB306_12 Depth=1
	s_or_b32 exec_lo, exec_lo, s41
	v_cmp_ne_u16_sdwa s2, v38, v10 src0_sel:BYTE_1 src1_sel:DWORD
	s_and_saveexec_b32 s41, s2
	s_cbranch_execz .LBB306_49
; %bb.42:                               ;   in Loop: Header=BB306_12 Depth=1
	v_cmp_ne_u16_sdwa s2, v38, v28 src0_sel:BYTE_1 src1_sel:DWORD
	v_bfrev_b32_e32 v37, 1
	s_and_saveexec_b32 s42, s2
	s_cbranch_execz .LBB306_48
; %bb.43:                               ;   in Loop: Header=BB306_12 Depth=1
	v_and_b32_sdwa v9, v29, v38 dst_sel:DWORD dst_unused:UNUSED_PAD src0_sel:DWORD src1_sel:BYTE_1
	v_mov_b32_e32 v37, 0x7f800001
	s_mov_b32 s43, exec_lo
	v_and_b32_e32 v39, 0x7f, v9
	v_cmpx_ne_u32_e32 0x7f, v39
	s_cbranch_execz .LBB306_47
; %bb.44:                               ;   in Loop: Header=BB306_12 Depth=1
	v_and_b32_e32 v9, 7, v9
	v_lshrrev_b32_e32 v37, 3, v39
	s_mov_b32 s44, exec_lo
	v_cmpx_gt_u32_e32 8, v39
; %bb.45:                               ;   in Loop: Header=BB306_12 Depth=1
	v_ffbh_u32_e32 v37, v9
	v_min_u32_e32 v37, 32, v37
	v_subrev_nc_u32_e32 v39, 28, v37
	v_sub_nc_u32_e32 v37, 29, v37
	v_lshlrev_b64 v[39:40], v39, v[9:10]
	v_and_b32_e32 v9, 7, v39
; %bb.46:                               ;   in Loop: Header=BB306_12 Depth=1
	s_or_b32 exec_lo, exec_lo, s44
	v_lshlrev_b32_e32 v38, 16, v38
	v_lshlrev_b32_e32 v9, 20, v9
	v_lshl_add_u32 v37, v37, 23, 0x3c000000
	v_and_b32_e32 v38, 0x80000000, v38
	v_or3_b32 v37, v9, v38, v37
.LBB306_47:                             ;   in Loop: Header=BB306_12 Depth=1
	s_or_b32 exec_lo, exec_lo, s43
.LBB306_48:                             ;   in Loop: Header=BB306_12 Depth=1
	s_or_b32 exec_lo, exec_lo, s42
.LBB306_49:                             ;   in Loop: Header=BB306_12 Depth=1
	s_or_b32 exec_lo, exec_lo, s41
	global_load_ushort v9, v[17:18], off offset:128
	v_mov_b32_e32 v39, 0
	v_mov_b32_e32 v38, 0
	s_waitcnt vmcnt(0)
	v_and_b32_e32 v40, 0xffff, v9
	v_cmp_ne_u16_sdwa s2, v9, v10 src0_sel:BYTE_0 src1_sel:DWORD
	s_and_saveexec_b32 s41, s2
	s_cbranch_execz .LBB306_57
; %bb.50:                               ;   in Loop: Header=BB306_12 Depth=1
	v_cmp_ne_u16_sdwa s2, v40, v28 src0_sel:BYTE_0 src1_sel:DWORD
	v_bfrev_b32_e32 v38, 1
	s_and_saveexec_b32 s42, s2
	s_cbranch_execz .LBB306_56
; %bb.51:                               ;   in Loop: Header=BB306_12 Depth=1
	v_and_b32_e32 v41, 0x7f, v40
	v_mov_b32_e32 v38, 0x7f800001
	s_mov_b32 s43, exec_lo
	v_cmpx_ne_u32_e32 0x7f, v41
	s_cbranch_execz .LBB306_55
; %bb.52:                               ;   in Loop: Header=BB306_12 Depth=1
	v_and_b32_e32 v9, 7, v40
	v_lshrrev_b32_e32 v38, 3, v41
	s_mov_b32 s44, exec_lo
	v_cmpx_gt_u32_e32 8, v41
; %bb.53:                               ;   in Loop: Header=BB306_12 Depth=1
	v_ffbh_u32_e32 v38, v9
	v_min_u32_e32 v38, 32, v38
	v_subrev_nc_u32_e32 v41, 28, v38
	v_sub_nc_u32_e32 v38, 29, v38
	v_lshlrev_b64 v[41:42], v41, v[9:10]
	v_and_b32_e32 v9, 7, v41
; %bb.54:                               ;   in Loop: Header=BB306_12 Depth=1
	s_or_b32 exec_lo, exec_lo, s44
	v_lshlrev_b32_e32 v41, 24, v40
	v_lshlrev_b32_e32 v9, 20, v9
	v_lshl_add_u32 v38, v38, 23, 0x3c000000
	v_and_b32_e32 v41, 0x80000000, v41
	v_or3_b32 v38, v9, v41, v38
.LBB306_55:                             ;   in Loop: Header=BB306_12 Depth=1
	s_or_b32 exec_lo, exec_lo, s43
.LBB306_56:                             ;   in Loop: Header=BB306_12 Depth=1
	s_or_b32 exec_lo, exec_lo, s42
.LBB306_57:                             ;   in Loop: Header=BB306_12 Depth=1
	s_or_b32 exec_lo, exec_lo, s41
	v_cmp_ne_u16_sdwa s2, v40, v10 src0_sel:BYTE_1 src1_sel:DWORD
	s_and_saveexec_b32 s41, s2
	s_cbranch_execz .LBB306_65
; %bb.58:                               ;   in Loop: Header=BB306_12 Depth=1
	v_cmp_ne_u16_sdwa s2, v40, v28 src0_sel:BYTE_1 src1_sel:DWORD
	v_bfrev_b32_e32 v39, 1
	s_and_saveexec_b32 s42, s2
	s_cbranch_execz .LBB306_64
; %bb.59:                               ;   in Loop: Header=BB306_12 Depth=1
	v_and_b32_sdwa v9, v29, v40 dst_sel:DWORD dst_unused:UNUSED_PAD src0_sel:DWORD src1_sel:BYTE_1
	v_mov_b32_e32 v39, 0x7f800001
	s_mov_b32 s43, exec_lo
	v_and_b32_e32 v41, 0x7f, v9
	v_cmpx_ne_u32_e32 0x7f, v41
	s_cbranch_execz .LBB306_63
; %bb.60:                               ;   in Loop: Header=BB306_12 Depth=1
	v_and_b32_e32 v9, 7, v9
	v_lshrrev_b32_e32 v39, 3, v41
	s_mov_b32 s44, exec_lo
	v_cmpx_gt_u32_e32 8, v41
; %bb.61:                               ;   in Loop: Header=BB306_12 Depth=1
	v_ffbh_u32_e32 v39, v9
	v_min_u32_e32 v39, 32, v39
	v_subrev_nc_u32_e32 v41, 28, v39
	v_sub_nc_u32_e32 v39, 29, v39
	v_lshlrev_b64 v[41:42], v41, v[9:10]
	v_and_b32_e32 v9, 7, v41
; %bb.62:                               ;   in Loop: Header=BB306_12 Depth=1
	s_or_b32 exec_lo, exec_lo, s44
	v_lshlrev_b32_e32 v40, 16, v40
	v_lshlrev_b32_e32 v9, 20, v9
	v_lshl_add_u32 v39, v39, 23, 0x3c000000
	v_and_b32_e32 v40, 0x80000000, v40
	v_or3_b32 v39, v9, v40, v39
.LBB306_63:                             ;   in Loop: Header=BB306_12 Depth=1
	s_or_b32 exec_lo, exec_lo, s43
.LBB306_64:                             ;   in Loop: Header=BB306_12 Depth=1
	s_or_b32 exec_lo, exec_lo, s42
.LBB306_65:                             ;   in Loop: Header=BB306_12 Depth=1
	s_or_b32 exec_lo, exec_lo, s41
	global_load_ushort v9, v[17:18], off offset:136
	v_mov_b32_e32 v41, 0
	v_mov_b32_e32 v40, 0
	s_waitcnt vmcnt(0)
	v_and_b32_e32 v42, 0xffff, v9
	v_cmp_ne_u16_sdwa s2, v9, v10 src0_sel:BYTE_0 src1_sel:DWORD
	s_and_saveexec_b32 s41, s2
	s_cbranch_execz .LBB306_73
; %bb.66:                               ;   in Loop: Header=BB306_12 Depth=1
	v_cmp_ne_u16_sdwa s2, v42, v28 src0_sel:BYTE_0 src1_sel:DWORD
	v_bfrev_b32_e32 v40, 1
	s_and_saveexec_b32 s42, s2
	s_cbranch_execz .LBB306_72
; %bb.67:                               ;   in Loop: Header=BB306_12 Depth=1
	v_and_b32_e32 v43, 0x7f, v42
	v_mov_b32_e32 v40, 0x7f800001
	s_mov_b32 s43, exec_lo
	v_cmpx_ne_u32_e32 0x7f, v43
	s_cbranch_execz .LBB306_71
; %bb.68:                               ;   in Loop: Header=BB306_12 Depth=1
	v_and_b32_e32 v9, 7, v42
	v_lshrrev_b32_e32 v40, 3, v43
	s_mov_b32 s44, exec_lo
	v_cmpx_gt_u32_e32 8, v43
; %bb.69:                               ;   in Loop: Header=BB306_12 Depth=1
	v_ffbh_u32_e32 v40, v9
	v_min_u32_e32 v40, 32, v40
	v_subrev_nc_u32_e32 v43, 28, v40
	v_sub_nc_u32_e32 v40, 29, v40
	v_lshlrev_b64 v[43:44], v43, v[9:10]
	v_and_b32_e32 v9, 7, v43
; %bb.70:                               ;   in Loop: Header=BB306_12 Depth=1
	s_or_b32 exec_lo, exec_lo, s44
	v_lshlrev_b32_e32 v43, 24, v42
	v_lshlrev_b32_e32 v9, 20, v9
	v_lshl_add_u32 v40, v40, 23, 0x3c000000
	v_and_b32_e32 v43, 0x80000000, v43
	v_or3_b32 v40, v9, v43, v40
.LBB306_71:                             ;   in Loop: Header=BB306_12 Depth=1
	s_or_b32 exec_lo, exec_lo, s43
.LBB306_72:                             ;   in Loop: Header=BB306_12 Depth=1
	s_or_b32 exec_lo, exec_lo, s42
.LBB306_73:                             ;   in Loop: Header=BB306_12 Depth=1
	s_or_b32 exec_lo, exec_lo, s41
	v_cmp_ne_u16_sdwa s2, v42, v10 src0_sel:BYTE_1 src1_sel:DWORD
	s_and_saveexec_b32 s41, s2
	s_cbranch_execz .LBB306_81
; %bb.74:                               ;   in Loop: Header=BB306_12 Depth=1
	v_cmp_ne_u16_sdwa s2, v42, v28 src0_sel:BYTE_1 src1_sel:DWORD
	v_bfrev_b32_e32 v41, 1
	s_and_saveexec_b32 s42, s2
	s_cbranch_execz .LBB306_80
; %bb.75:                               ;   in Loop: Header=BB306_12 Depth=1
	v_and_b32_sdwa v9, v29, v42 dst_sel:DWORD dst_unused:UNUSED_PAD src0_sel:DWORD src1_sel:BYTE_1
	v_mov_b32_e32 v41, 0x7f800001
	s_mov_b32 s43, exec_lo
	v_and_b32_e32 v43, 0x7f, v9
	v_cmpx_ne_u32_e32 0x7f, v43
	s_cbranch_execz .LBB306_79
; %bb.76:                               ;   in Loop: Header=BB306_12 Depth=1
	v_and_b32_e32 v9, 7, v9
	v_lshrrev_b32_e32 v41, 3, v43
	s_mov_b32 s44, exec_lo
	v_cmpx_gt_u32_e32 8, v43
; %bb.77:                               ;   in Loop: Header=BB306_12 Depth=1
	v_ffbh_u32_e32 v41, v9
	v_min_u32_e32 v41, 32, v41
	v_subrev_nc_u32_e32 v43, 28, v41
	v_sub_nc_u32_e32 v41, 29, v41
	v_lshlrev_b64 v[43:44], v43, v[9:10]
	v_and_b32_e32 v9, 7, v43
; %bb.78:                               ;   in Loop: Header=BB306_12 Depth=1
	s_or_b32 exec_lo, exec_lo, s44
	v_lshlrev_b32_e32 v42, 16, v42
	v_lshlrev_b32_e32 v9, 20, v9
	v_lshl_add_u32 v41, v41, 23, 0x3c000000
	v_and_b32_e32 v42, 0x80000000, v42
	v_or3_b32 v41, v9, v42, v41
.LBB306_79:                             ;   in Loop: Header=BB306_12 Depth=1
	s_or_b32 exec_lo, exec_lo, s43
.LBB306_80:                             ;   in Loop: Header=BB306_12 Depth=1
	s_or_b32 exec_lo, exec_lo, s42
.LBB306_81:                             ;   in Loop: Header=BB306_12 Depth=1
	s_or_b32 exec_lo, exec_lo, s41
	global_load_ushort v9, v[17:18], off offset:256
	v_mov_b32_e32 v43, 0
	v_mov_b32_e32 v42, 0
	s_waitcnt vmcnt(0)
	v_and_b32_e32 v44, 0xffff, v9
	v_cmp_ne_u16_sdwa s2, v9, v10 src0_sel:BYTE_0 src1_sel:DWORD
	s_and_saveexec_b32 s41, s2
	s_cbranch_execz .LBB306_89
; %bb.82:                               ;   in Loop: Header=BB306_12 Depth=1
	v_cmp_ne_u16_sdwa s2, v44, v28 src0_sel:BYTE_0 src1_sel:DWORD
	v_bfrev_b32_e32 v42, 1
	s_and_saveexec_b32 s42, s2
	s_cbranch_execz .LBB306_88
; %bb.83:                               ;   in Loop: Header=BB306_12 Depth=1
	v_and_b32_e32 v45, 0x7f, v44
	v_mov_b32_e32 v42, 0x7f800001
	s_mov_b32 s43, exec_lo
	v_cmpx_ne_u32_e32 0x7f, v45
	s_cbranch_execz .LBB306_87
; %bb.84:                               ;   in Loop: Header=BB306_12 Depth=1
	v_and_b32_e32 v9, 7, v44
	v_lshrrev_b32_e32 v42, 3, v45
	s_mov_b32 s44, exec_lo
	v_cmpx_gt_u32_e32 8, v45
; %bb.85:                               ;   in Loop: Header=BB306_12 Depth=1
	v_ffbh_u32_e32 v42, v9
	v_min_u32_e32 v42, 32, v42
	v_subrev_nc_u32_e32 v45, 28, v42
	v_sub_nc_u32_e32 v42, 29, v42
	v_lshlrev_b64 v[45:46], v45, v[9:10]
	v_and_b32_e32 v9, 7, v45
; %bb.86:                               ;   in Loop: Header=BB306_12 Depth=1
	s_or_b32 exec_lo, exec_lo, s44
	v_lshlrev_b32_e32 v45, 24, v44
	v_lshlrev_b32_e32 v9, 20, v9
	v_lshl_add_u32 v42, v42, 23, 0x3c000000
	v_and_b32_e32 v45, 0x80000000, v45
	v_or3_b32 v42, v9, v45, v42
.LBB306_87:                             ;   in Loop: Header=BB306_12 Depth=1
	s_or_b32 exec_lo, exec_lo, s43
.LBB306_88:                             ;   in Loop: Header=BB306_12 Depth=1
	s_or_b32 exec_lo, exec_lo, s42
.LBB306_89:                             ;   in Loop: Header=BB306_12 Depth=1
	s_or_b32 exec_lo, exec_lo, s41
	v_cmp_ne_u16_sdwa s2, v44, v10 src0_sel:BYTE_1 src1_sel:DWORD
	s_and_saveexec_b32 s41, s2
	s_cbranch_execz .LBB306_97
; %bb.90:                               ;   in Loop: Header=BB306_12 Depth=1
	v_cmp_ne_u16_sdwa s2, v44, v28 src0_sel:BYTE_1 src1_sel:DWORD
	v_bfrev_b32_e32 v43, 1
	s_and_saveexec_b32 s42, s2
	s_cbranch_execz .LBB306_96
; %bb.91:                               ;   in Loop: Header=BB306_12 Depth=1
	v_and_b32_sdwa v9, v29, v44 dst_sel:DWORD dst_unused:UNUSED_PAD src0_sel:DWORD src1_sel:BYTE_1
	v_mov_b32_e32 v43, 0x7f800001
	s_mov_b32 s43, exec_lo
	v_and_b32_e32 v45, 0x7f, v9
	v_cmpx_ne_u32_e32 0x7f, v45
	s_cbranch_execz .LBB306_95
; %bb.92:                               ;   in Loop: Header=BB306_12 Depth=1
	v_and_b32_e32 v9, 7, v9
	v_lshrrev_b32_e32 v43, 3, v45
	s_mov_b32 s44, exec_lo
	v_cmpx_gt_u32_e32 8, v45
; %bb.93:                               ;   in Loop: Header=BB306_12 Depth=1
	v_ffbh_u32_e32 v43, v9
	v_min_u32_e32 v43, 32, v43
	v_subrev_nc_u32_e32 v45, 28, v43
	v_sub_nc_u32_e32 v43, 29, v43
	v_lshlrev_b64 v[45:46], v45, v[9:10]
	v_and_b32_e32 v9, 7, v45
; %bb.94:                               ;   in Loop: Header=BB306_12 Depth=1
	s_or_b32 exec_lo, exec_lo, s44
	v_lshlrev_b32_e32 v44, 16, v44
	v_lshlrev_b32_e32 v9, 20, v9
	v_lshl_add_u32 v43, v43, 23, 0x3c000000
	v_and_b32_e32 v44, 0x80000000, v44
	v_or3_b32 v43, v9, v44, v43
.LBB306_95:                             ;   in Loop: Header=BB306_12 Depth=1
	s_or_b32 exec_lo, exec_lo, s43
.LBB306_96:                             ;   in Loop: Header=BB306_12 Depth=1
	s_or_b32 exec_lo, exec_lo, s42
.LBB306_97:                             ;   in Loop: Header=BB306_12 Depth=1
	s_or_b32 exec_lo, exec_lo, s41
	global_load_ushort v9, v[17:18], off offset:264
	v_mov_b32_e32 v45, 0
	v_mov_b32_e32 v44, 0
	s_waitcnt vmcnt(0)
	v_and_b32_e32 v46, 0xffff, v9
	v_cmp_ne_u16_sdwa s2, v9, v10 src0_sel:BYTE_0 src1_sel:DWORD
	s_and_saveexec_b32 s41, s2
	s_cbranch_execz .LBB306_105
; %bb.98:                               ;   in Loop: Header=BB306_12 Depth=1
	v_cmp_ne_u16_sdwa s2, v46, v28 src0_sel:BYTE_0 src1_sel:DWORD
	v_bfrev_b32_e32 v44, 1
	s_and_saveexec_b32 s42, s2
	s_cbranch_execz .LBB306_104
; %bb.99:                               ;   in Loop: Header=BB306_12 Depth=1
	v_and_b32_e32 v47, 0x7f, v46
	v_mov_b32_e32 v44, 0x7f800001
	s_mov_b32 s43, exec_lo
	v_cmpx_ne_u32_e32 0x7f, v47
	s_cbranch_execz .LBB306_103
; %bb.100:                              ;   in Loop: Header=BB306_12 Depth=1
	v_and_b32_e32 v9, 7, v46
	v_lshrrev_b32_e32 v44, 3, v47
	s_mov_b32 s44, exec_lo
	v_cmpx_gt_u32_e32 8, v47
; %bb.101:                              ;   in Loop: Header=BB306_12 Depth=1
	v_ffbh_u32_e32 v44, v9
	v_min_u32_e32 v44, 32, v44
	v_subrev_nc_u32_e32 v47, 28, v44
	v_sub_nc_u32_e32 v44, 29, v44
	v_lshlrev_b64 v[47:48], v47, v[9:10]
	v_and_b32_e32 v9, 7, v47
; %bb.102:                              ;   in Loop: Header=BB306_12 Depth=1
	s_or_b32 exec_lo, exec_lo, s44
	v_lshlrev_b32_e32 v47, 24, v46
	v_lshlrev_b32_e32 v9, 20, v9
	v_lshl_add_u32 v44, v44, 23, 0x3c000000
	v_and_b32_e32 v47, 0x80000000, v47
	v_or3_b32 v44, v9, v47, v44
.LBB306_103:                            ;   in Loop: Header=BB306_12 Depth=1
	s_or_b32 exec_lo, exec_lo, s43
.LBB306_104:                            ;   in Loop: Header=BB306_12 Depth=1
	s_or_b32 exec_lo, exec_lo, s42
.LBB306_105:                            ;   in Loop: Header=BB306_12 Depth=1
	s_or_b32 exec_lo, exec_lo, s41
	v_cmp_ne_u16_sdwa s2, v46, v10 src0_sel:BYTE_1 src1_sel:DWORD
	s_and_saveexec_b32 s41, s2
	s_cbranch_execz .LBB306_113
; %bb.106:                              ;   in Loop: Header=BB306_12 Depth=1
	v_cmp_ne_u16_sdwa s2, v46, v28 src0_sel:BYTE_1 src1_sel:DWORD
	v_bfrev_b32_e32 v45, 1
	s_and_saveexec_b32 s42, s2
	s_cbranch_execz .LBB306_112
; %bb.107:                              ;   in Loop: Header=BB306_12 Depth=1
	v_and_b32_sdwa v9, v29, v46 dst_sel:DWORD dst_unused:UNUSED_PAD src0_sel:DWORD src1_sel:BYTE_1
	v_mov_b32_e32 v45, 0x7f800001
	s_mov_b32 s43, exec_lo
	v_and_b32_e32 v47, 0x7f, v9
	v_cmpx_ne_u32_e32 0x7f, v47
	s_cbranch_execz .LBB306_111
; %bb.108:                              ;   in Loop: Header=BB306_12 Depth=1
	v_and_b32_e32 v9, 7, v9
	v_lshrrev_b32_e32 v45, 3, v47
	s_mov_b32 s44, exec_lo
	v_cmpx_gt_u32_e32 8, v47
; %bb.109:                              ;   in Loop: Header=BB306_12 Depth=1
	v_ffbh_u32_e32 v45, v9
	v_min_u32_e32 v45, 32, v45
	v_subrev_nc_u32_e32 v47, 28, v45
	v_sub_nc_u32_e32 v45, 29, v45
	v_lshlrev_b64 v[47:48], v47, v[9:10]
	v_and_b32_e32 v9, 7, v47
; %bb.110:                              ;   in Loop: Header=BB306_12 Depth=1
	s_or_b32 exec_lo, exec_lo, s44
	v_lshlrev_b32_e32 v46, 16, v46
	v_lshlrev_b32_e32 v9, 20, v9
	v_lshl_add_u32 v45, v45, 23, 0x3c000000
	v_and_b32_e32 v46, 0x80000000, v46
	v_or3_b32 v45, v9, v46, v45
.LBB306_111:                            ;   in Loop: Header=BB306_12 Depth=1
	s_or_b32 exec_lo, exec_lo, s43
.LBB306_112:                            ;   in Loop: Header=BB306_12 Depth=1
	s_or_b32 exec_lo, exec_lo, s42
.LBB306_113:                            ;   in Loop: Header=BB306_12 Depth=1
	s_or_b32 exec_lo, exec_lo, s41
	global_load_ushort v9, v[17:18], off offset:384
	v_mov_b32_e32 v47, 0
	v_mov_b32_e32 v46, 0
	s_waitcnt vmcnt(0)
	v_and_b32_e32 v48, 0xffff, v9
	v_cmp_ne_u16_sdwa s2, v9, v10 src0_sel:BYTE_0 src1_sel:DWORD
	s_and_saveexec_b32 s41, s2
	s_cbranch_execz .LBB306_121
; %bb.114:                              ;   in Loop: Header=BB306_12 Depth=1
	v_cmp_ne_u16_sdwa s2, v48, v28 src0_sel:BYTE_0 src1_sel:DWORD
	v_bfrev_b32_e32 v46, 1
	s_and_saveexec_b32 s42, s2
	s_cbranch_execz .LBB306_120
; %bb.115:                              ;   in Loop: Header=BB306_12 Depth=1
	v_and_b32_e32 v49, 0x7f, v48
	v_mov_b32_e32 v46, 0x7f800001
	s_mov_b32 s43, exec_lo
	v_cmpx_ne_u32_e32 0x7f, v49
	s_cbranch_execz .LBB306_119
; %bb.116:                              ;   in Loop: Header=BB306_12 Depth=1
	v_and_b32_e32 v9, 7, v48
	v_lshrrev_b32_e32 v46, 3, v49
	s_mov_b32 s44, exec_lo
	v_cmpx_gt_u32_e32 8, v49
; %bb.117:                              ;   in Loop: Header=BB306_12 Depth=1
	v_ffbh_u32_e32 v46, v9
	v_min_u32_e32 v46, 32, v46
	v_subrev_nc_u32_e32 v49, 28, v46
	v_sub_nc_u32_e32 v46, 29, v46
	v_lshlrev_b64 v[49:50], v49, v[9:10]
	v_and_b32_e32 v9, 7, v49
; %bb.118:                              ;   in Loop: Header=BB306_12 Depth=1
	s_or_b32 exec_lo, exec_lo, s44
	v_lshlrev_b32_e32 v49, 24, v48
	v_lshlrev_b32_e32 v9, 20, v9
	v_lshl_add_u32 v46, v46, 23, 0x3c000000
	v_and_b32_e32 v49, 0x80000000, v49
	v_or3_b32 v46, v9, v49, v46
.LBB306_119:                            ;   in Loop: Header=BB306_12 Depth=1
	s_or_b32 exec_lo, exec_lo, s43
.LBB306_120:                            ;   in Loop: Header=BB306_12 Depth=1
	s_or_b32 exec_lo, exec_lo, s42
.LBB306_121:                            ;   in Loop: Header=BB306_12 Depth=1
	s_or_b32 exec_lo, exec_lo, s41
	v_cmp_ne_u16_sdwa s2, v48, v10 src0_sel:BYTE_1 src1_sel:DWORD
	s_and_saveexec_b32 s41, s2
	s_cbranch_execz .LBB306_129
; %bb.122:                              ;   in Loop: Header=BB306_12 Depth=1
	v_cmp_ne_u16_sdwa s2, v48, v28 src0_sel:BYTE_1 src1_sel:DWORD
	v_bfrev_b32_e32 v47, 1
	s_and_saveexec_b32 s42, s2
	s_cbranch_execz .LBB306_128
; %bb.123:                              ;   in Loop: Header=BB306_12 Depth=1
	v_and_b32_sdwa v9, v29, v48 dst_sel:DWORD dst_unused:UNUSED_PAD src0_sel:DWORD src1_sel:BYTE_1
	v_mov_b32_e32 v47, 0x7f800001
	s_mov_b32 s43, exec_lo
	v_and_b32_e32 v49, 0x7f, v9
	v_cmpx_ne_u32_e32 0x7f, v49
	s_cbranch_execz .LBB306_127
; %bb.124:                              ;   in Loop: Header=BB306_12 Depth=1
	v_and_b32_e32 v9, 7, v9
	v_lshrrev_b32_e32 v47, 3, v49
	s_mov_b32 s44, exec_lo
	v_cmpx_gt_u32_e32 8, v49
; %bb.125:                              ;   in Loop: Header=BB306_12 Depth=1
	v_ffbh_u32_e32 v47, v9
	v_min_u32_e32 v47, 32, v47
	v_subrev_nc_u32_e32 v49, 28, v47
	v_sub_nc_u32_e32 v47, 29, v47
	v_lshlrev_b64 v[49:50], v49, v[9:10]
	v_and_b32_e32 v9, 7, v49
; %bb.126:                              ;   in Loop: Header=BB306_12 Depth=1
	s_or_b32 exec_lo, exec_lo, s44
	v_lshlrev_b32_e32 v48, 16, v48
	v_lshlrev_b32_e32 v9, 20, v9
	v_lshl_add_u32 v47, v47, 23, 0x3c000000
	v_and_b32_e32 v48, 0x80000000, v48
	v_or3_b32 v47, v9, v48, v47
.LBB306_127:                            ;   in Loop: Header=BB306_12 Depth=1
	s_or_b32 exec_lo, exec_lo, s43
.LBB306_128:                            ;   in Loop: Header=BB306_12 Depth=1
	s_or_b32 exec_lo, exec_lo, s42
.LBB306_129:                            ;   in Loop: Header=BB306_12 Depth=1
	s_or_b32 exec_lo, exec_lo, s41
	global_load_ushort v9, v[17:18], off offset:392
	v_mov_b32_e32 v49, 0
	v_mov_b32_e32 v48, 0
	s_waitcnt vmcnt(0)
	v_and_b32_e32 v50, 0xffff, v9
	v_cmp_ne_u16_sdwa s2, v9, v10 src0_sel:BYTE_0 src1_sel:DWORD
	s_and_saveexec_b32 s41, s2
	s_cbranch_execz .LBB306_137
; %bb.130:                              ;   in Loop: Header=BB306_12 Depth=1
	v_cmp_ne_u16_sdwa s2, v50, v28 src0_sel:BYTE_0 src1_sel:DWORD
	v_bfrev_b32_e32 v48, 1
	s_and_saveexec_b32 s42, s2
	s_cbranch_execz .LBB306_136
; %bb.131:                              ;   in Loop: Header=BB306_12 Depth=1
	v_and_b32_e32 v51, 0x7f, v50
	v_mov_b32_e32 v48, 0x7f800001
	s_mov_b32 s43, exec_lo
	v_cmpx_ne_u32_e32 0x7f, v51
	s_cbranch_execz .LBB306_135
; %bb.132:                              ;   in Loop: Header=BB306_12 Depth=1
	v_and_b32_e32 v9, 7, v50
	v_lshrrev_b32_e32 v48, 3, v51
	s_mov_b32 s44, exec_lo
	v_cmpx_gt_u32_e32 8, v51
; %bb.133:                              ;   in Loop: Header=BB306_12 Depth=1
	v_ffbh_u32_e32 v48, v9
	v_min_u32_e32 v48, 32, v48
	v_subrev_nc_u32_e32 v51, 28, v48
	v_sub_nc_u32_e32 v48, 29, v48
	v_lshlrev_b64 v[51:52], v51, v[9:10]
	v_and_b32_e32 v9, 7, v51
; %bb.134:                              ;   in Loop: Header=BB306_12 Depth=1
	s_or_b32 exec_lo, exec_lo, s44
	v_lshlrev_b32_e32 v51, 24, v50
	v_lshlrev_b32_e32 v9, 20, v9
	v_lshl_add_u32 v48, v48, 23, 0x3c000000
	v_and_b32_e32 v51, 0x80000000, v51
	v_or3_b32 v48, v9, v51, v48
.LBB306_135:                            ;   in Loop: Header=BB306_12 Depth=1
	s_or_b32 exec_lo, exec_lo, s43
.LBB306_136:                            ;   in Loop: Header=BB306_12 Depth=1
	s_or_b32 exec_lo, exec_lo, s42
.LBB306_137:                            ;   in Loop: Header=BB306_12 Depth=1
	s_or_b32 exec_lo, exec_lo, s41
	v_cmp_ne_u16_sdwa s2, v50, v10 src0_sel:BYTE_1 src1_sel:DWORD
	s_and_saveexec_b32 s41, s2
	s_cbranch_execz .LBB306_145
; %bb.138:                              ;   in Loop: Header=BB306_12 Depth=1
	v_cmp_ne_u16_sdwa s2, v50, v28 src0_sel:BYTE_1 src1_sel:DWORD
	v_bfrev_b32_e32 v49, 1
	s_and_saveexec_b32 s42, s2
	s_cbranch_execz .LBB306_144
; %bb.139:                              ;   in Loop: Header=BB306_12 Depth=1
	v_and_b32_sdwa v9, v29, v50 dst_sel:DWORD dst_unused:UNUSED_PAD src0_sel:DWORD src1_sel:BYTE_1
	v_mov_b32_e32 v49, 0x7f800001
	s_mov_b32 s43, exec_lo
	v_and_b32_e32 v51, 0x7f, v9
	v_cmpx_ne_u32_e32 0x7f, v51
	s_cbranch_execz .LBB306_143
; %bb.140:                              ;   in Loop: Header=BB306_12 Depth=1
	v_and_b32_e32 v9, 7, v9
	v_lshrrev_b32_e32 v49, 3, v51
	s_mov_b32 s44, exec_lo
	v_cmpx_gt_u32_e32 8, v51
; %bb.141:                              ;   in Loop: Header=BB306_12 Depth=1
	v_ffbh_u32_e32 v49, v9
	v_min_u32_e32 v49, 32, v49
	v_subrev_nc_u32_e32 v51, 28, v49
	v_sub_nc_u32_e32 v49, 29, v49
	v_lshlrev_b64 v[51:52], v51, v[9:10]
	v_and_b32_e32 v9, 7, v51
; %bb.142:                              ;   in Loop: Header=BB306_12 Depth=1
	s_or_b32 exec_lo, exec_lo, s44
	v_lshlrev_b32_e32 v50, 16, v50
	v_lshlrev_b32_e32 v9, 20, v9
	v_lshl_add_u32 v49, v49, 23, 0x3c000000
	v_and_b32_e32 v50, 0x80000000, v50
	v_or3_b32 v49, v9, v50, v49
.LBB306_143:                            ;   in Loop: Header=BB306_12 Depth=1
	s_or_b32 exec_lo, exec_lo, s43
.LBB306_144:                            ;   in Loop: Header=BB306_12 Depth=1
	s_or_b32 exec_lo, exec_lo, s42
.LBB306_145:                            ;   in Loop: Header=BB306_12 Depth=1
	s_or_b32 exec_lo, exec_lo, s41
	global_load_ushort v9, v[17:18], off offset:512
	v_mov_b32_e32 v51, 0
	v_mov_b32_e32 v50, 0
	s_waitcnt vmcnt(0)
	v_and_b32_e32 v52, 0xffff, v9
	v_cmp_ne_u16_sdwa s2, v9, v10 src0_sel:BYTE_0 src1_sel:DWORD
	s_and_saveexec_b32 s41, s2
	s_cbranch_execz .LBB306_153
; %bb.146:                              ;   in Loop: Header=BB306_12 Depth=1
	v_cmp_ne_u16_sdwa s2, v52, v28 src0_sel:BYTE_0 src1_sel:DWORD
	v_bfrev_b32_e32 v50, 1
	s_and_saveexec_b32 s42, s2
	s_cbranch_execz .LBB306_152
; %bb.147:                              ;   in Loop: Header=BB306_12 Depth=1
	v_and_b32_e32 v53, 0x7f, v52
	v_mov_b32_e32 v50, 0x7f800001
	s_mov_b32 s43, exec_lo
	v_cmpx_ne_u32_e32 0x7f, v53
	s_cbranch_execz .LBB306_151
; %bb.148:                              ;   in Loop: Header=BB306_12 Depth=1
	v_and_b32_e32 v9, 7, v52
	v_lshrrev_b32_e32 v50, 3, v53
	s_mov_b32 s44, exec_lo
	v_cmpx_gt_u32_e32 8, v53
; %bb.149:                              ;   in Loop: Header=BB306_12 Depth=1
	v_ffbh_u32_e32 v50, v9
	v_min_u32_e32 v50, 32, v50
	v_subrev_nc_u32_e32 v53, 28, v50
	v_sub_nc_u32_e32 v50, 29, v50
	v_lshlrev_b64 v[53:54], v53, v[9:10]
	v_and_b32_e32 v9, 7, v53
; %bb.150:                              ;   in Loop: Header=BB306_12 Depth=1
	s_or_b32 exec_lo, exec_lo, s44
	v_lshlrev_b32_e32 v53, 24, v52
	v_lshlrev_b32_e32 v9, 20, v9
	v_lshl_add_u32 v50, v50, 23, 0x3c000000
	v_and_b32_e32 v53, 0x80000000, v53
	v_or3_b32 v50, v9, v53, v50
.LBB306_151:                            ;   in Loop: Header=BB306_12 Depth=1
	s_or_b32 exec_lo, exec_lo, s43
.LBB306_152:                            ;   in Loop: Header=BB306_12 Depth=1
	s_or_b32 exec_lo, exec_lo, s42
.LBB306_153:                            ;   in Loop: Header=BB306_12 Depth=1
	s_or_b32 exec_lo, exec_lo, s41
	v_cmp_ne_u16_sdwa s2, v52, v10 src0_sel:BYTE_1 src1_sel:DWORD
	s_and_saveexec_b32 s41, s2
	s_cbranch_execz .LBB306_161
; %bb.154:                              ;   in Loop: Header=BB306_12 Depth=1
	v_cmp_ne_u16_sdwa s2, v52, v28 src0_sel:BYTE_1 src1_sel:DWORD
	v_bfrev_b32_e32 v51, 1
	s_and_saveexec_b32 s42, s2
	s_cbranch_execz .LBB306_160
; %bb.155:                              ;   in Loop: Header=BB306_12 Depth=1
	v_and_b32_sdwa v9, v29, v52 dst_sel:DWORD dst_unused:UNUSED_PAD src0_sel:DWORD src1_sel:BYTE_1
	v_mov_b32_e32 v51, 0x7f800001
	s_mov_b32 s43, exec_lo
	v_and_b32_e32 v53, 0x7f, v9
	v_cmpx_ne_u32_e32 0x7f, v53
	s_cbranch_execz .LBB306_159
; %bb.156:                              ;   in Loop: Header=BB306_12 Depth=1
	v_and_b32_e32 v9, 7, v9
	v_lshrrev_b32_e32 v51, 3, v53
	s_mov_b32 s44, exec_lo
	v_cmpx_gt_u32_e32 8, v53
; %bb.157:                              ;   in Loop: Header=BB306_12 Depth=1
	v_ffbh_u32_e32 v51, v9
	v_min_u32_e32 v51, 32, v51
	v_subrev_nc_u32_e32 v53, 28, v51
	v_sub_nc_u32_e32 v51, 29, v51
	v_lshlrev_b64 v[53:54], v53, v[9:10]
	v_and_b32_e32 v9, 7, v53
; %bb.158:                              ;   in Loop: Header=BB306_12 Depth=1
	s_or_b32 exec_lo, exec_lo, s44
	v_lshlrev_b32_e32 v52, 16, v52
	v_lshlrev_b32_e32 v9, 20, v9
	v_lshl_add_u32 v51, v51, 23, 0x3c000000
	v_and_b32_e32 v52, 0x80000000, v52
	v_or3_b32 v51, v9, v52, v51
.LBB306_159:                            ;   in Loop: Header=BB306_12 Depth=1
	s_or_b32 exec_lo, exec_lo, s43
.LBB306_160:                            ;   in Loop: Header=BB306_12 Depth=1
	s_or_b32 exec_lo, exec_lo, s42
.LBB306_161:                            ;   in Loop: Header=BB306_12 Depth=1
	s_or_b32 exec_lo, exec_lo, s41
	global_load_ushort v9, v[17:18], off offset:520
	v_mov_b32_e32 v17, 0
	v_mov_b32_e32 v52, 0
	s_waitcnt vmcnt(0)
	v_and_b32_e32 v18, 0xffff, v9
	v_cmp_ne_u16_sdwa s2, v9, v10 src0_sel:BYTE_0 src1_sel:DWORD
	s_and_saveexec_b32 s41, s2
	s_cbranch_execz .LBB306_169
; %bb.162:                              ;   in Loop: Header=BB306_12 Depth=1
	v_cmp_ne_u16_sdwa s2, v18, v28 src0_sel:BYTE_0 src1_sel:DWORD
	v_bfrev_b32_e32 v52, 1
	s_and_saveexec_b32 s42, s2
	s_cbranch_execz .LBB306_168
; %bb.163:                              ;   in Loop: Header=BB306_12 Depth=1
	v_and_b32_e32 v53, 0x7f, v18
	v_mov_b32_e32 v52, 0x7f800001
	s_mov_b32 s43, exec_lo
	v_cmpx_ne_u32_e32 0x7f, v53
	s_cbranch_execz .LBB306_167
; %bb.164:                              ;   in Loop: Header=BB306_12 Depth=1
	v_and_b32_e32 v9, 7, v18
	v_lshrrev_b32_e32 v52, 3, v53
	s_mov_b32 s44, exec_lo
	v_cmpx_gt_u32_e32 8, v53
; %bb.165:                              ;   in Loop: Header=BB306_12 Depth=1
	v_ffbh_u32_e32 v52, v9
	v_min_u32_e32 v52, 32, v52
	v_subrev_nc_u32_e32 v53, 28, v52
	v_sub_nc_u32_e32 v52, 29, v52
	v_lshlrev_b64 v[53:54], v53, v[9:10]
	v_and_b32_e32 v9, 7, v53
; %bb.166:                              ;   in Loop: Header=BB306_12 Depth=1
	s_or_b32 exec_lo, exec_lo, s44
	v_lshlrev_b32_e32 v53, 24, v18
	v_lshlrev_b32_e32 v9, 20, v9
	v_lshl_add_u32 v52, v52, 23, 0x3c000000
	v_and_b32_e32 v53, 0x80000000, v53
	v_or3_b32 v52, v9, v53, v52
.LBB306_167:                            ;   in Loop: Header=BB306_12 Depth=1
	s_or_b32 exec_lo, exec_lo, s43
.LBB306_168:                            ;   in Loop: Header=BB306_12 Depth=1
	s_or_b32 exec_lo, exec_lo, s42
.LBB306_169:                            ;   in Loop: Header=BB306_12 Depth=1
	s_or_b32 exec_lo, exec_lo, s41
	v_cmp_ne_u16_sdwa s2, v18, v10 src0_sel:BYTE_1 src1_sel:DWORD
	s_and_saveexec_b32 s41, s2
	s_cbranch_execz .LBB306_177
; %bb.170:                              ;   in Loop: Header=BB306_12 Depth=1
	v_cmp_ne_u16_sdwa s2, v18, v28 src0_sel:BYTE_1 src1_sel:DWORD
	v_bfrev_b32_e32 v17, 1
	s_and_saveexec_b32 s42, s2
	s_cbranch_execz .LBB306_176
; %bb.171:                              ;   in Loop: Header=BB306_12 Depth=1
	v_and_b32_sdwa v9, v29, v18 dst_sel:DWORD dst_unused:UNUSED_PAD src0_sel:DWORD src1_sel:BYTE_1
	v_mov_b32_e32 v17, 0x7f800001
	s_mov_b32 s43, exec_lo
	v_and_b32_e32 v53, 0x7f, v9
	v_cmpx_ne_u32_e32 0x7f, v53
	s_cbranch_execz .LBB306_175
; %bb.172:                              ;   in Loop: Header=BB306_12 Depth=1
	v_and_b32_e32 v9, 7, v9
	v_lshrrev_b32_e32 v17, 3, v53
	s_mov_b32 s44, exec_lo
	v_cmpx_gt_u32_e32 8, v53
; %bb.173:                              ;   in Loop: Header=BB306_12 Depth=1
	v_ffbh_u32_e32 v17, v9
	v_min_u32_e32 v17, 32, v17
	v_subrev_nc_u32_e32 v53, 28, v17
	v_sub_nc_u32_e32 v17, 29, v17
	v_lshlrev_b64 v[53:54], v53, v[9:10]
	v_and_b32_e32 v9, 7, v53
; %bb.174:                              ;   in Loop: Header=BB306_12 Depth=1
	s_or_b32 exec_lo, exec_lo, s44
	v_lshlrev_b32_e32 v18, 16, v18
	v_lshlrev_b32_e32 v9, 20, v9
	v_lshl_add_u32 v17, v17, 23, 0x3c000000
	v_and_b32_e32 v18, 0x80000000, v18
	v_or3_b32 v17, v9, v18, v17
.LBB306_175:                            ;   in Loop: Header=BB306_12 Depth=1
	s_or_b32 exec_lo, exec_lo, s43
.LBB306_176:                            ;   in Loop: Header=BB306_12 Depth=1
	s_or_b32 exec_lo, exec_lo, s42
.LBB306_177:                            ;   in Loop: Header=BB306_12 Depth=1
	s_or_b32 exec_lo, exec_lo, s41
	s_waitcnt lgkmcnt(0)
	v_mul_f32_e32 v9, s40, v52
	v_mul_f32_e32 v18, s40, v51
	;; [unrolled: 1-line block ×5, first 2 shown]
	v_bfe_u32 v51, v9, 16, 1
	v_bfe_u32 v52, v18, 16, 1
	v_or_b32_e32 v53, 0x400000, v9
	v_cmp_u_f32_e64 s2, v9, v9
	v_or_b32_e32 v54, 0x400000, v18
	v_add3_u32 v51, v51, v9, 0x7fff
	v_bfe_u32 v55, v50, 16, 1
	v_add3_u32 v52, v52, v18, 0x7fff
	v_bfe_u32 v56, v49, 16, 1
	v_mul_f32_e32 v47, s40, v47
	v_cndmask_b32_e64 v9, v51, v53, s2
	v_cmp_u_f32_e64 s2, v18, v18
	v_add3_u32 v51, v55, v50, 0x7fff
	v_add3_u32 v53, v56, v49, 0x7fff
	v_bfe_u32 v55, v48, 16, 1
	v_mul_f32_e32 v46, s40, v46
	v_cndmask_b32_e64 v18, v52, v54, s2
	v_or_b32_e32 v52, 0x400000, v50
	v_cmp_u_f32_e64 s2, v50, v50
	v_or_b32_e32 v54, 0x400000, v49
	v_mul_f32_e32 v45, s40, v45
	v_mul_f32_e32 v44, s40, v44
	;; [unrolled: 1-line block ×3, first 2 shown]
	v_cndmask_b32_e64 v50, v51, v52, s2
	v_cmp_u_f32_e64 s2, v49, v49
	v_bfe_u32 v51, v47, 16, 1
	v_add3_u32 v52, v55, v48, 0x7fff
	v_bfe_u32 v55, v46, 16, 1
	v_mul_f32_e32 v42, s40, v42
	v_cndmask_b32_e64 v49, v53, v54, s2
	v_or_b32_e32 v53, 0x400000, v48
	v_cmp_u_f32_e64 s2, v48, v48
	v_add3_u32 v51, v51, v47, 0x7fff
	v_or_b32_e32 v54, 0x400000, v47
	v_mul_f32_e32 v41, s40, v41
	v_mul_f32_e32 v40, s40, v40
	v_cndmask_b32_e64 v48, v52, v53, s2
	v_cmp_u_f32_e64 s2, v47, v47
	v_bfe_u32 v52, v45, 16, 1
	v_or_b32_e32 v53, 0x400000, v46
	v_mul_f32_e32 v39, s40, v39
	v_mul_f32_e32 v38, s40, v38
	v_cndmask_b32_e64 v47, v51, v54, s2
	v_add3_u32 v51, v55, v46, 0x7fff
	v_cmp_u_f32_e64 s2, v46, v46
	v_add3_u32 v52, v52, v45, 0x7fff
	v_or_b32_e32 v54, 0x400000, v45
	v_bfe_u32 v55, v44, 16, 1
	v_mul_f32_e32 v37, s40, v37
	v_cndmask_b32_e64 v46, v51, v53, s2
	v_cmp_u_f32_e64 s2, v45, v45
	v_bfe_u32 v51, v43, 16, 1
	v_or_b32_e32 v53, 0x400000, v44
	v_mul_f32_e32 v36, s40, v36
	v_mul_f32_e32 v35, s40, v35
	v_cndmask_b32_e64 v45, v52, v54, s2
	v_add3_u32 v52, v55, v44, 0x7fff
	v_cmp_u_f32_e64 s2, v44, v44
	v_add3_u32 v51, v51, v43, 0x7fff
	v_or_b32_e32 v54, 0x400000, v43
	v_bfe_u32 v55, v42, 16, 1
	v_mul_f32_e32 v34, s40, v34
	v_cndmask_b32_e64 v44, v52, v53, s2
	v_cmp_u_f32_e64 s2, v43, v43
	v_bfe_u32 v52, v41, 16, 1
	v_or_b32_e32 v53, 0x400000, v42
	v_bfe_u32 v56, v35, 16, 1
	v_or_b32_e32 v57, 0x400000, v35
	v_cndmask_b32_e64 v43, v51, v54, s2
	v_add3_u32 v51, v55, v42, 0x7fff
	v_cmp_u_f32_e64 s2, v42, v42
	v_add3_u32 v52, v52, v41, 0x7fff
	v_or_b32_e32 v54, 0x400000, v41
	v_bfe_u32 v55, v38, 16, 1
	v_add3_u32 v56, v56, v35, 0x7fff
	v_cndmask_b32_e64 v42, v51, v53, s2
	v_bfe_u32 v51, v40, 16, 1
	v_cmp_u_f32_e64 s2, v41, v41
	v_bfe_u32 v53, v39, 16, 1
	v_or_b32_e32 v58, 0x400000, v34
	v_mul_f32_e32 v17, s40, v17
	v_add3_u32 v51, v51, v40, 0x7fff
	v_cndmask_b32_e64 v41, v52, v54, s2
	v_or_b32_e32 v52, 0x400000, v40
	v_cmp_u_f32_e64 s2, v40, v40
	v_add3_u32 v53, v53, v39, 0x7fff
	v_or_b32_e32 v54, 0x400000, v39
	v_cndmask_b32_e64 v40, v51, v52, s2
	v_cmp_u_f32_e64 s2, v39, v39
	v_bfe_u32 v51, v37, 16, 1
	v_add3_u32 v52, v55, v38, 0x7fff
	v_bfe_u32 v55, v36, 16, 1
	v_cndmask_b32_e64 v39, v53, v54, s2
	v_add3_u32 v51, v51, v37, 0x7fff
	v_or_b32_e32 v54, 0x400000, v37
	v_cmp_u_f32_e64 s2, v37, v37
	v_or_b32_e32 v53, 0x400000, v38
	v_cndmask_b32_e64 v37, v51, v54, s2
	v_add3_u32 v54, v55, v36, 0x7fff
	v_or_b32_e32 v55, 0x400000, v36
	v_cmp_u_f32_e64 s2, v36, v36
	v_bfe_u32 v51, v34, 16, 1
	v_and_b32_e32 v37, 0xffff0000, v37
	v_cndmask_b32_e64 v36, v54, v55, s2
	v_cmp_u_f32_e64 s2, v35, v35
	v_add3_u32 v51, v51, v34, 0x7fff
	v_lshlrev_b32_e32 v54, 16, v6
	v_and_b32_e32 v6, 0xffff0000, v6
	v_and_b32_e32 v36, 0xffff0000, v36
	v_cndmask_b32_e64 v35, v56, v57, s2
	v_cmp_u_f32_e64 s2, v34, v34
	v_mul_f32_e32 v6, v6, v37
	v_mul_f32_e32 v36, v54, v36
	v_and_b32_e32 v35, 0xffff0000, v35
	v_cndmask_b32_e64 v34, v51, v58, s2
	v_cmp_u_f32_e64 s2, v38, v38
	v_lshlrev_b32_e32 v51, 16, v5
	v_and_b32_e32 v5, 0xffff0000, v5
	v_lshlrev_b32_e32 v38, 16, v7
	v_and_b32_e32 v34, 0xffff0000, v34
	v_cndmask_b32_e64 v37, v52, v53, s2
	v_and_b32_e32 v7, 0xffff0000, v7
	v_fmac_f32_e32 v6, v5, v35
	v_lshlrev_b32_e32 v35, 16, v8
	v_fmac_f32_e32 v36, v51, v34
	v_and_b32_e32 v5, 0xffff0000, v37
	v_and_b32_e32 v34, 0xffff0000, v39
	;; [unrolled: 1-line block ×3, first 2 shown]
	v_lshlrev_b32_e32 v37, 16, v1
	v_and_b32_e32 v1, 0xffff0000, v1
	v_fmac_f32_e32 v36, v38, v5
	v_fmac_f32_e32 v6, v7, v34
	v_and_b32_e32 v5, 0xffff0000, v40
	v_and_b32_e32 v7, 0xffff0000, v41
	v_lshlrev_b32_e32 v34, 16, v2
	v_and_b32_e32 v2, 0xffff0000, v2
	v_lshlrev_b32_e32 v38, 16, v3
	v_fmac_f32_e32 v36, v35, v5
	v_fmac_f32_e32 v6, v8, v7
	v_and_b32_e32 v5, 0xffff0000, v42
	v_and_b32_e32 v7, 0xffff0000, v43
	;; [unrolled: 1-line block ×3, first 2 shown]
	v_lshlrev_b32_e32 v8, 16, v4
	v_and_b32_e32 v4, 0xffff0000, v4
	v_fmac_f32_e32 v36, v37, v5
	v_fmac_f32_e32 v6, v1, v7
	v_and_b32_e32 v1, 0xffff0000, v44
	v_and_b32_e32 v5, 0xffff0000, v45
	v_cmp_u_f32_e64 s2, v17, v17
	v_lshlrev_b32_e32 v35, 16, v15
	v_and_b32_e32 v15, 0xffff0000, v15
	v_fmac_f32_e32 v36, v34, v1
	v_fmac_f32_e32 v6, v2, v5
	v_and_b32_e32 v1, 0xffff0000, v46
	v_and_b32_e32 v2, 0xffff0000, v47
	v_bfe_u32 v34, v17, 16, 1
	v_xor_b32_e32 v5, 2, v20
	v_lshlrev_b32_e32 v7, 16, v16
	v_fmac_f32_e32 v36, v38, v1
	v_fmac_f32_e32 v6, v3, v2
	v_and_b32_e32 v1, 0xffff0000, v48
	v_and_b32_e32 v2, 0xffff0000, v49
	v_add3_u32 v3, v34, v17, 0x7fff
	v_or_b32_e32 v34, 0x400000, v17
	v_fmac_f32_e32 v36, v8, v1
	v_fmac_f32_e32 v6, v4, v2
	v_and_b32_e32 v1, 0xffff0000, v50
	v_and_b32_e32 v2, 0xffff0000, v18
	v_cndmask_b32_e64 v3, v3, v34, s2
	v_and_b32_e32 v4, 0xffff0000, v16
	v_cmp_gt_i32_e64 s2, 32, v5
	v_fmac_f32_e32 v36, v35, v1
	v_fmac_f32_e32 v6, v15, v2
	v_and_b32_e32 v1, 0xffff0000, v9
	v_and_b32_e32 v2, 0xffff0000, v3
	v_cndmask_b32_e64 v3, v20, v5, s2
	v_fmac_f32_e32 v36, v7, v1
	v_fmac_f32_e32 v6, v4, v2
	v_lshlrev_b32_e32 v1, 2, v3
	v_xor_b32_e32 v3, 1, v20
	v_add_f32_e32 v2, v36, v6
	v_cmp_gt_i32_e64 s2, 32, v3
	ds_bpermute_b32 v1, v1, v2
	v_cndmask_b32_e64 v3, v20, v3, s2
	v_lshlrev_b32_e32 v3, 2, v3
	s_waitcnt lgkmcnt(0)
	v_add_f32_e32 v1, v2, v1
	ds_bpermute_b32 v2, v3, v1
	s_and_saveexec_b32 s40, vcc_lo
	s_cbranch_execz .LBB306_10
; %bb.178:                              ;   in Loop: Header=BB306_12 Depth=1
	v_add_nc_u32_e32 v3, v30, v26
	s_waitcnt lgkmcnt(0)
	v_add_f32_e32 v1, v1, v2
	v_cvt_f32_i32_e32 v3, v3
	v_mul_f32_e32 v3, s39, v3
	v_cndmask_b32_e64 v2, 0, v3, s1
	v_max_f32_e32 v3, v24, v24
	v_fmac_f32_e32 v2, s35, v1
	v_add_nc_u32_e32 v1, v23, v26
	v_max_f32_e32 v3, v3, v2
	v_cmp_gt_i32_e64 s2, s25, v1
	v_cndmask_b32_e64 v1, 0, v2, s2
	v_cndmask_b32_e64 v24, v24, v3, s2
	ds_write_b32 v31, v1
	s_branch .LBB306_10
.LBB306_179:
	s_or_b32 exec_lo, exec_lo, s15
.LBB306_180:
	s_or_b32 exec_lo, exec_lo, s14
	v_xor_b32_e32 v1, 16, v20
	v_xor_b32_e32 v3, 8, v20
	v_max_f32_e32 v4, v24, v24
	v_and_b32_e32 v23, 31, v0
	v_cmp_gt_i32_e32 vcc_lo, 32, v1
	v_cndmask_b32_e32 v1, v20, v1, vcc_lo
	v_cmp_gt_i32_e32 vcc_lo, 32, v3
	v_lshlrev_b32_e32 v1, 2, v1
	v_cndmask_b32_e32 v3, v20, v3, vcc_lo
	s_waitcnt lgkmcnt(0)
	ds_bpermute_b32 v2, v1, v24
	s_waitcnt lgkmcnt(0)
	v_max_f32_e32 v5, v2, v2
	v_lshlrev_b32_e32 v2, 2, v3
	v_max_f32_e32 v3, v4, v5
	v_xor_b32_e32 v5, 4, v20
	ds_bpermute_b32 v4, v2, v3
	v_cmp_gt_i32_e32 vcc_lo, 32, v5
	v_cndmask_b32_e32 v5, v20, v5, vcc_lo
	v_cmp_eq_u32_e32 vcc_lo, 0, v23
	v_lshlrev_b32_e32 v5, 2, v5
	s_waitcnt lgkmcnt(0)
	v_max_f32_e32 v4, v4, v4
	v_max_f32_e32 v4, v3, v4
	v_lshlrev_b32_e32 v3, 2, v21
	ds_bpermute_b32 v6, v5, v4
	s_and_saveexec_b32 s1, vcc_lo
	s_cbranch_execz .LBB306_182
; %bb.181:
	s_waitcnt lgkmcnt(0)
	v_max_f32_e32 v6, v6, v6
	v_max_f32_e32 v4, v4, v4
	;; [unrolled: 1-line block ×3, first 2 shown]
	ds_write_b32 v3, v4 offset:160
.LBB306_182:
	s_or_b32 exec_lo, exec_lo, s1
	v_cmp_gt_u32_e64 s1, 4, v23
	v_mov_b32_e32 v7, 0xff7fffff
	v_lshlrev_b32_e32 v4, 2, v23
	s_waitcnt lgkmcnt(0)
	s_barrier
	buffer_gl0_inv
	s_and_saveexec_b32 s2, s1
; %bb.183:
	ds_read_b32 v7, v4 offset:160
; %bb.184:
	s_or_b32 exec_lo, exec_lo, s2
	v_xor_b32_e32 v6, 2, v20
	v_xor_b32_e32 v9, 1, v20
	s_waitcnt lgkmcnt(0)
	v_max_f32_e32 v10, v7, v7
	v_lshl_add_u32 v24, v0, 2, 0xc0
	v_cmp_gt_i32_e64 s2, 32, v6
	v_cndmask_b32_e64 v6, v20, v6, s2
	v_cmp_gt_i32_e64 s2, 32, v9
	v_lshlrev_b32_e32 v6, 2, v6
	ds_bpermute_b32 v8, v6, v7
	v_cndmask_b32_e64 v7, v20, v9, s2
	s_lshl_b32 s2, s38, 3
	s_min_i32 s4, s2, s25
	v_lshlrev_b32_e32 v7, 2, v7
	v_cmp_gt_i32_e64 s2, s4, v0
	s_waitcnt lgkmcnt(0)
	v_max_f32_e32 v8, v8, v8
	v_max_f32_e32 v8, v10, v8
	ds_bpermute_b32 v9, v7, v8
	s_waitcnt lgkmcnt(0)
	v_max_f32_e32 v9, v9, v9
	v_max_f32_e32 v9, v8, v9
	v_mov_b32_e32 v8, 0
	ds_bpermute_b32 v9, v8, v9
	s_and_saveexec_b32 s5, s2
	s_cbranch_execz .LBB306_188
; %bb.185:
	v_lshl_add_u32 v10, v0, 2, 0xc0
	v_mov_b32_e32 v8, 0
	v_mov_b32_e32 v11, v0
	s_mov_b32 s14, 0
	.p2align	6
.LBB306_186:                            ; =>This Inner Loop Header: Depth=1
	ds_read_b32 v12, v10
	v_add_nc_u32_e32 v11, 0x80, v11
	v_cmp_le_i32_e64 s3, s4, v11
	s_or_b32 s14, s3, s14
	s_waitcnt lgkmcnt(0)
	v_sub_f32_e32 v12, v12, v9
	v_mul_f32_e32 v12, 0x3fb8aa3b, v12
	v_exp_f32_e32 v12, v12
	ds_write_b32 v10, v12
	v_add_f32_e32 v8, v8, v12
	v_add_nc_u32_e32 v10, 0x200, v10
	s_andn2_b32 exec_lo, exec_lo, s14
	s_cbranch_execnz .LBB306_186
; %bb.187:
	s_or_b32 exec_lo, exec_lo, s14
.LBB306_188:
	s_or_b32 exec_lo, exec_lo, s5
	ds_bpermute_b32 v1, v1, v8
	s_waitcnt lgkmcnt(0)
	v_add_f32_e32 v1, v8, v1
	ds_bpermute_b32 v2, v2, v1
	s_waitcnt lgkmcnt(0)
	v_add_f32_e32 v1, v1, v2
	;; [unrolled: 3-line block ×5, first 2 shown]
	s_and_saveexec_b32 s3, vcc_lo
; %bb.189:
	ds_write_b32 v3, v1 offset:176
; %bb.190:
	s_or_b32 exec_lo, exec_lo, s3
	s_waitcnt lgkmcnt(0)
	s_barrier
	buffer_gl0_inv
	s_and_saveexec_b32 s3, s1
; %bb.191:
	ds_read_b32 v1, v4 offset:176
; %bb.192:
	s_or_b32 exec_lo, exec_lo, s3
	s_waitcnt lgkmcnt(0)
	ds_bpermute_b32 v2, v6, v1
	s_waitcnt lgkmcnt(0)
	v_add_f32_e32 v1, v1, v2
	ds_bpermute_b32 v2, v7, v1
	s_waitcnt lgkmcnt(0)
	v_add_f32_e32 v1, v1, v2
	v_mov_b32_e32 v2, 0
	ds_bpermute_b32 v1, v2, v1
	s_and_saveexec_b32 s1, s2
	s_cbranch_execz .LBB306_195
; %bb.193:
	s_waitcnt lgkmcnt(0)
	v_add_f32_e32 v2, 0x358637bd, v1
	s_mov_b32 s2, 0
	v_div_scale_f32 v1, null, v2, v2, 1.0
	v_div_scale_f32 v5, vcc_lo, 1.0, v2, 1.0
	v_rcp_f32_e32 v3, v1
	v_fma_f32 v4, -v1, v3, 1.0
	v_fmac_f32_e32 v3, v4, v3
	v_mul_f32_e32 v4, v5, v3
	v_fma_f32 v6, -v1, v4, v5
	v_fmac_f32_e32 v4, v6, v3
	v_fma_f32 v1, -v1, v4, v5
	v_div_fmas_f32 v3, v1, v3, v4
	v_mov_b32_e32 v1, v24
	v_div_fixup_f32 v2, v3, v2, 1.0
	v_mov_b32_e32 v3, v0
.LBB306_194:                            ; =>This Inner Loop Header: Depth=1
	ds_read_b32 v4, v1
	v_add_nc_u32_e32 v3, 0x80, v3
	v_cmp_le_i32_e32 vcc_lo, s4, v3
	s_or_b32 s2, vcc_lo, s2
	s_waitcnt lgkmcnt(0)
	v_mul_f32_e32 v4, v2, v4
	ds_write_b32 v1, v4
	v_add_nc_u32_e32 v1, 0x200, v1
	s_andn2_b32 exec_lo, exec_lo, s2
	s_cbranch_execnz .LBB306_194
.LBB306_195:
	s_or_b32 exec_lo, exec_lo, s1
	v_mov_b32_e32 v27, 0
	v_or_b32_e32 v28, 64, v23
	v_mov_b32_e32 v26, 0
	v_mov_b32_e32 v25, 0
	s_waitcnt lgkmcnt(0)
	s_barrier
	buffer_gl0_inv
	s_and_saveexec_b32 s35, s0
	s_cbranch_execz .LBB306_389
; %bb.196:
	s_sub_i32 s39, s12, s17
	s_ashr_i32 s0, s9, 31
	s_add_u32 s20, s30, s9
	s_addc_u32 s21, s31, s0
	s_abs_i32 s40, s18
	v_and_b32_e32 v2, 0x7c, v19
	v_cvt_f32_u32_e32 v1, s40
	s_sub_i32 s0, 0, s40
	s_add_i32 s42, s38, -1
	v_lshlrev_b32_e32 v29, 3, v23
	v_mov_b32_e32 v10, 0
	v_rcp_iflag_f32_e32 v1, v1
	v_lshlrev_b32_e32 v30, 3, v28
	v_lshl_add_u32 v31, v21, 5, 0xc0
	v_mov_b32_e32 v32, 0x80
	v_mov_b32_e32 v33, 0xffff
	;; [unrolled: 1-line block ×7, first 2 shown]
	v_mul_f32_e32 v1, 0x4f7ffffe, v1
	v_mov_b32_e32 v27, 0
	v_mov_b32_e32 v38, v21
	s_mov_b32 s30, -1
	s_mov_b32 s41, s13
	v_cvt_u32_f32_e32 v1, v1
	s_mov_b32 s31, 0xffffff
	s_mov_b32 s43, 0
	v_cmp_gt_u32_e32 vcc_lo, 0x50, v28
	v_mul_lo_u32 v3, s0, v1
	s_lshl_b64 s[0:1], s[6:7], 2
	s_add_u32 s0, s10, s0
	s_addc_u32 s1, s11, s1
	v_add_co_u32 v11, s0, s0, v2
	v_add_co_ci_u32_e64 v12, null, s1, 0, s0
	v_mul_hi_u32 v3, v1, v3
	v_add_nc_u32_e32 v37, v1, v3
	s_branch .LBB306_200
.LBB306_197:                            ;   in Loop: Header=BB306_200 Depth=1
	s_or_b32 exec_lo, exec_lo, s18
	v_perm_b32 v46, v48, v47, 0x7060302
	v_perm_b32 v47, v50, v49, 0x7060302
	v_lshlrev_b32_e32 v45, 16, v45
	v_lshlrev_b32_e32 v14, 16, v14
	v_perm_b32 v48, v52, v51, 0x7060302
	v_and_b32_e32 v50, 0xffff0000, v46
	v_lshlrev_b32_e32 v46, 16, v46
	v_lshlrev_b32_e32 v9, 16, v9
	;; [unrolled: 1-line block ×3, first 2 shown]
	v_perm_b32 v49, v54, v53, 0x7060302
	v_mul_f32_e32 v45, v50, v45
	v_and_b32_e32 v50, 0xffff0000, v47
	v_lshlrev_b32_e32 v47, 16, v47
	v_mul_f32_e32 v14, v46, v14
	v_and_b32_e32 v46, 0xffff0000, v48
	v_bfe_u32 v51, v45, 16, 1
	v_mul_f32_e32 v9, v50, v9
	v_mul_f32_e32 v13, v47, v13
	v_bfe_u32 v47, v14, 16, 1
	v_or_b32_e32 v50, 0x400000, v45
	v_add3_u32 v51, v51, v45, 0x7fff
	v_cmp_u_f32_e64 s0, v45, v45
	v_or_b32_e32 v52, 0x400000, v14
	v_bfe_u32 v53, v9, 16, 1
	v_add3_u32 v47, v47, v14, 0x7fff
	v_lshlrev_b32_e32 v2, 16, v2
	v_cndmask_b32_e64 v45, v51, v50, s0
	v_cmp_u_f32_e64 s0, v14, v14
	v_or_b32_e32 v50, 0x400000, v9
	v_bfe_u32 v51, v13, 16, 1
	v_mul_f32_e32 v2, v46, v2
	v_lshlrev_b32_e32 v46, 16, v48
	v_cndmask_b32_e64 v14, v47, v52, s0
	v_add3_u32 v47, v53, v9, 0x7fff
	v_lshlrev_b32_e32 v1, 16, v1
	v_cmp_u_f32_e64 s0, v9, v9
	v_or_b32_e32 v48, 0x400000, v13
	v_lshlrev_b32_e32 v4, 16, v4
	v_lshlrev_b32_e32 v3, 16, v3
	v_mul_f32_e32 v1, v46, v1
	v_cndmask_b32_e64 v9, v47, v50, s0
	v_add3_u32 v47, v51, v13, 0x7fff
	v_bfe_u32 v50, v2, 16, 1
	v_and_b32_e32 v46, 0xffff0000, v49
	v_lshlrev_b32_e32 v49, 16, v49
	v_cmp_u_f32_e64 s0, v13, v13
	v_and_b32_e32 v14, 0xffff0000, v14
	v_and_b32_e32 v45, 0xffff0000, v45
	v_mul_f32_e32 v4, v46, v4
	v_mul_f32_e32 v3, v49, v3
	v_cndmask_b32_e64 v13, v47, v48, s0
	v_bfe_u32 v47, v1, 16, 1
	v_add3_u32 v48, v50, v2, 0x7fff
	v_or_b32_e32 v46, 0x400000, v2
	v_cmp_u_f32_e64 s0, v2, v2
	v_or_b32_e32 v49, 0x400000, v1
	v_add3_u32 v47, v47, v1, 0x7fff
	v_bfe_u32 v51, v3, 16, 1
	v_bfe_u32 v50, v4, 16, 1
	v_cndmask_b32_e64 v2, v48, v46, s0
	v_cmp_u_f32_e64 s0, v1, v1
	v_or_b32_e32 v48, 0x400000, v3
	v_and_b32_e32 v13, 0xffff0000, v13
	v_add3_u32 v46, v50, v4, 0x7fff
	v_and_b32_e32 v9, 0xffff0000, v9
	v_cndmask_b32_e64 v1, v47, v49, s0
	v_add3_u32 v47, v51, v3, 0x7fff
	v_cmp_u_f32_e64 s0, v3, v3
	v_or_b32_e32 v49, 0x400000, v4
	v_add_f32_e32 v14, v14, v45
	v_add_f32_e32 v9, v13, v9
	v_and_b32_e32 v1, 0xffff0000, v1
	v_cndmask_b32_e64 v3, v47, v48, s0
	v_cmp_u_f32_e64 s0, v4, v4
	v_and_b32_e32 v2, 0xffff0000, v2
	v_add_f32_e32 v9, v9, v14
	v_cndmask_b32_e64 v4, v46, v49, s0
	v_add_f32_e32 v1, v1, v2
	v_and_b32_e32 v2, 0xffff0000, v3
	v_and_b32_e32 v3, 0xffff0000, v4
	v_add_f32_e32 v1, v1, v9
	v_add_f32_e32 v2, v2, v3
	;; [unrolled: 1-line block ×4, first 2 shown]
.LBB306_198:                            ;   in Loop: Header=BB306_200 Depth=1
	s_or_b32 exec_lo, exec_lo, s46
	v_bfe_u32 v1, v20, 16, 1
	v_bfe_u32 v2, v44, 16, 1
	v_or_b32_e32 v3, 0x400000, v20
	v_or_b32_e32 v4, 0x400000, v44
	v_bfe_u32 v9, v43, 16, 1
	v_add3_u32 v1, v1, v20, 0x7fff
	v_add3_u32 v2, v2, v44, 0x7fff
	v_bfe_u32 v13, v42, 16, 1
	v_bfe_u32 v14, v41, 16, 1
	v_or_b32_e32 v20, 0x400000, v41
	v_cndmask_b32_e64 v1, v1, v3, s11
	v_cndmask_b32_e64 v2, v2, v4, s17
	v_add3_u32 v3, v9, v43, 0x7fff
	v_or_b32_e32 v4, 0x400000, v43
	v_add3_u32 v9, v13, v42, 0x7fff
	v_or_b32_e32 v13, 0x400000, v42
	v_add3_u32 v14, v14, v41, 0x7fff
	v_bfe_u32 v41, v19, 16, 1
	v_cndmask_b32_e64 v3, v3, v4, s16
	v_and_b32_e32 v2, 0xffff0000, v2
	v_cndmask_b32_e64 v9, v9, v13, s12
	v_and_b32_e32 v1, 0xffff0000, v1
	;; [unrolled: 2-line block ×3, first 2 shown]
	v_add3_u32 v14, v41, v19, 0x7fff
	v_and_b32_e32 v9, 0xffff0000, v9
	v_or_b32_e32 v19, 0x400000, v19
	v_add_f32_e32 v1, v2, v1
	v_and_b32_e32 v13, 0xffff0000, v13
	v_bfe_u32 v20, v39, 16, 1
	v_add_f32_e32 v2, v9, v3
	v_cndmask_b32_e64 v3, v14, v19, s10
	v_bfe_u32 v14, v18, 16, 1
	v_bfe_u32 v19, v8, 16, 1
	v_add3_u32 v20, v20, v39, 0x7fff
	v_add_f32_e32 v1, v2, v1
	v_bfe_u32 v2, v17, 16, 1
	v_and_b32_e32 v3, 0xffff0000, v3
	v_add3_u32 v14, v14, v18, 0x7fff
	v_or_b32_e32 v18, 0x400000, v18
	v_or_b32_e32 v39, 0x400000, v39
	v_add3_u32 v2, v2, v17, 0x7fff
	v_or_b32_e32 v17, 0x400000, v17
	v_add_f32_e32 v3, v3, v13
	v_bfe_u32 v13, v7, 16, 1
	v_cndmask_b32_e64 v14, v14, v18, s7
	v_bfe_u32 v18, v15, 16, 1
	v_cndmask_b32_e64 v2, v2, v17, s9
	v_bfe_u32 v17, v16, 16, 1
	v_add3_u32 v13, v13, v7, 0x7fff
	v_or_b32_e32 v7, 0x400000, v7
	v_bfe_u32 v4, v40, 16, 1
	v_cndmask_b32_e64 v9, v20, v39, s15
	v_add3_u32 v17, v17, v16, 0x7fff
	v_or_b32_e32 v16, 0x400000, v16
	v_add3_u32 v18, v18, v15, 0x7fff
	v_or_b32_e32 v15, 0x400000, v15
	v_add3_u32 v19, v19, v8, 0x7fff
	v_or_b32_e32 v8, 0x400000, v8
	v_bfe_u32 v20, v6, 16, 1
	v_cndmask_b32_e64 v7, v13, v7, s3
	v_cndmask_b32_e64 v13, v17, v16, s4
	v_bfe_u32 v17, v5, 16, 1
	v_add3_u32 v4, v4, v40, 0x7fff
	v_or_b32_e32 v40, 0x400000, v40
	v_cndmask_b32_e64 v15, v18, v15, s5
	v_cndmask_b32_e64 v8, v19, v8, s6
	v_add3_u32 v16, v20, v6, 0x7fff
	v_and_b32_e32 v2, 0xffff0000, v2
	v_and_b32_e32 v14, 0xffff0000, v14
	;; [unrolled: 1-line block ×4, first 2 shown]
	v_or_b32_e32 v6, 0x400000, v6
	v_add3_u32 v17, v17, v5, 0x7fff
	v_or_b32_e32 v5, 0x400000, v5
	v_cndmask_b32_e64 v4, v4, v40, s14
	v_add_f32_e32 v2, v2, v14
	v_add_f32_e32 v7, v13, v7
	v_and_b32_e32 v8, 0xffff0000, v8
	v_and_b32_e32 v13, 0xffff0000, v15
	v_cndmask_b32_e64 v5, v17, v5, s2
	v_cndmask_b32_e64 v6, v16, v6, s1
	v_and_b32_e32 v9, 0xffff0000, v9
	v_and_b32_e32 v4, 0xffff0000, v4
	v_add_f32_e32 v2, v7, v2
	v_add_f32_e32 v7, v8, v13
	v_and_b32_e32 v5, 0xffff0000, v5
	v_and_b32_e32 v6, 0xffff0000, v6
	v_add_f32_e32 v1, v3, v1
	v_add_f32_e32 v3, v9, v4
	;; [unrolled: 1-line block ×8, first 2 shown]
.LBB306_199:                            ;   in Loop: Header=BB306_200 Depth=1
	s_or_b32 exec_lo, exec_lo, s44
	v_add_nc_u32_e32 v38, 4, v38
	v_add_co_u32 v11, s1, v11, 16
	v_add_co_ci_u32_e64 v12, null, 0, v12, s1
	v_cmp_le_i32_e64 s0, s38, v38
	v_add_nc_u32_e32 v22, 32, v22
	v_add_nc_u32_e32 v31, 0x80, v31
	s_or_b32 s43, s0, s43
	s_andn2_b32 exec_lo, exec_lo, s43
	s_cbranch_execz .LBB306_388
.LBB306_200:                            ; =>This Inner Loop Header: Depth=1
	v_mul_hi_u32 v1, v22, s36
	v_mul_lo_u32 v2, v1, s27
	v_add_nc_u32_e32 v3, 1, v1
	v_sub_nc_u32_e32 v2, v22, v2
	v_subrev_nc_u32_e32 v4, s27, v2
	v_cmp_le_u32_e64 s0, s27, v2
	v_cndmask_b32_e64 v1, v1, v3, s0
	v_cndmask_b32_e64 v2, v2, v4, s0
	v_add_nc_u32_e32 v3, 1, v1
	v_cmp_le_u32_e64 s0, s27, v2
	v_cndmask_b32_e64 v1, v1, v3, s0
	v_xor_b32_e32 v1, s34, v1
	v_subrev_nc_u32_e32 v1, s34, v1
	v_add_nc_u32_e32 v2, s37, v1
	v_cmp_lt_i32_e64 s1, s39, v1
	v_sub_nc_u32_e32 v3, 0, v2
	v_max_i32_e32 v3, v2, v3
	v_ashrrev_i32_e32 v2, 31, v2
	v_mul_hi_u32 v4, v3, v37
	v_mul_lo_u32 v4, v4, s40
	v_sub_nc_u32_e32 v3, v3, v4
	v_subrev_nc_u32_e32 v4, s40, v3
	v_cmp_le_u32_e64 s0, s40, v3
	v_cndmask_b32_e64 v3, v3, v4, s0
	v_subrev_nc_u32_e32 v4, s40, v3
	v_cmp_le_u32_e64 s0, s40, v3
	v_cndmask_b32_e64 v3, v3, v4, s0
	v_xor_b32_e32 v3, v3, v2
	v_sub_nc_u32_e32 v2, v3, v2
	v_cmp_eq_u32_e64 s0, 0, v2
	s_or_b32 s0, s0, s1
	s_and_saveexec_b32 s44, s0
	s_cbranch_execz .LBB306_199
; %bb.201:                              ;   in Loop: Header=BB306_200 Depth=1
	global_load_dword v1, v[11:12], off
	v_mov_b32_e32 v39, 0
	v_mov_b32_e32 v41, 0
	s_waitcnt vmcnt(0)
	v_mad_i64_i32 v[13:14], null, v1, s41, s[20:21]
	v_add_co_u32 v15, s0, v13, v29
	v_add_co_ci_u32_e64 v16, null, 0, v14, s0
	global_load_dwordx2 v[17:18], v[15:16], off
	ds_read2_b64 v[5:8], v31 offset1:1
	ds_read2_b64 v[1:4], v31 offset0:2 offset1:3
	s_load_dword s45, s[22:23], 0x0
	s_waitcnt vmcnt(0)
	v_cmp_ne_u16_sdwa s0, v17, v10 src0_sel:BYTE_0 src1_sel:DWORD
	s_and_saveexec_b32 s1, s0
	s_cbranch_execz .LBB306_207
; %bb.202:                              ;   in Loop: Header=BB306_200 Depth=1
	v_cmp_ne_u16_sdwa s0, v17, v32 src0_sel:BYTE_0 src1_sel:DWORD
	v_bfrev_b32_e32 v41, 1
	s_and_saveexec_b32 s2, s0
	s_cbranch_execz .LBB306_206
; %bb.203:                              ;   in Loop: Header=BB306_200 Depth=1
	v_and_b32_e32 v9, 0x7f, v17
	v_mov_b32_e32 v41, 0x7f800001
	s_mov_b32 s3, exec_lo
	v_cmpx_ne_u32_e32 0x7f, v9
	s_cbranch_execz .LBB306_205
; %bb.204:                              ;   in Loop: Header=BB306_200 Depth=1
	v_and_b32_e32 v19, 7, v17
	v_lshrrev_b32_e32 v20, 3, v9
	v_cmp_gt_u32_e64 s0, 8, v9
	v_ffbh_u32_e32 v19, v19
	v_min_u32_e32 v19, 32, v19
	v_subrev_nc_u32_e32 v40, 28, v19
	v_sub_nc_u32_e32 v19, 29, v19
	v_cndmask_b32_e64 v9, v20, v19, s0
	v_cndmask_b32_e64 v19, 0, v40, s0
	v_lshl_add_u32 v9, v9, 23, 0x3c000000
	v_lshlrev_b64 v[19:20], v19, v[17:18]
	v_lshlrev_b32_e32 v20, 24, v17
	v_lshlrev_b32_e32 v19, 20, v19
	v_and_b32_e32 v20, 0x80000000, v20
	v_and_b32_e32 v19, 0x700000, v19
	v_or3_b32 v41, v19, v20, v9
.LBB306_205:                            ;   in Loop: Header=BB306_200 Depth=1
	s_or_b32 exec_lo, exec_lo, s3
.LBB306_206:                            ;   in Loop: Header=BB306_200 Depth=1
	s_or_b32 exec_lo, exec_lo, s2
.LBB306_207:                            ;   in Loop: Header=BB306_200 Depth=1
	s_or_b32 exec_lo, exec_lo, s1
	v_cmp_ne_u16_sdwa s0, v17, v10 src0_sel:BYTE_1 src1_sel:DWORD
	s_and_saveexec_b32 s1, s0
	s_cbranch_execz .LBB306_215
; %bb.208:                              ;   in Loop: Header=BB306_200 Depth=1
	v_cmp_ne_u16_sdwa s0, v17, v32 src0_sel:BYTE_1 src1_sel:DWORD
	v_bfrev_b32_e32 v39, 1
	s_and_saveexec_b32 s2, s0
	s_cbranch_execz .LBB306_214
; %bb.209:                              ;   in Loop: Header=BB306_200 Depth=1
	v_and_b32_sdwa v9, v33, v17 dst_sel:DWORD dst_unused:UNUSED_PAD src0_sel:DWORD src1_sel:BYTE_1
	v_mov_b32_e32 v39, 0x7f800001
	s_mov_b32 s3, exec_lo
	v_and_b32_e32 v20, 0x7f, v9
	v_cmpx_ne_u32_e32 0x7f, v20
	s_cbranch_execz .LBB306_213
; %bb.210:                              ;   in Loop: Header=BB306_200 Depth=1
	v_and_b32_e32 v9, 7, v9
	v_lshrrev_b32_e32 v19, 3, v20
	s_mov_b32 s4, exec_lo
	v_cmpx_gt_u32_e32 8, v20
; %bb.211:                              ;   in Loop: Header=BB306_200 Depth=1
	v_ffbh_u32_e32 v19, v9
	v_min_u32_e32 v19, 32, v19
	v_subrev_nc_u32_e32 v20, 28, v19
	v_sub_nc_u32_e32 v19, 29, v19
	v_lshlrev_b64 v[39:40], v20, v[9:10]
	v_and_b32_e32 v9, 7, v39
; %bb.212:                              ;   in Loop: Header=BB306_200 Depth=1
	s_or_b32 exec_lo, exec_lo, s4
	v_lshlrev_b32_e32 v20, 16, v17
	v_lshlrev_b32_e32 v9, 20, v9
	v_lshl_add_u32 v19, v19, 23, 0x3c000000
	v_and_b32_e32 v20, 0x80000000, v20
	v_or3_b32 v39, v9, v20, v19
.LBB306_213:                            ;   in Loop: Header=BB306_200 Depth=1
	s_or_b32 exec_lo, exec_lo, s3
.LBB306_214:                            ;   in Loop: Header=BB306_200 Depth=1
	s_or_b32 exec_lo, exec_lo, s2
.LBB306_215:                            ;   in Loop: Header=BB306_200 Depth=1
	s_or_b32 exec_lo, exec_lo, s1
	v_and_b32_sdwa v9, v17, v34 dst_sel:DWORD dst_unused:UNUSED_PAD src0_sel:WORD_1 src1_sel:DWORD
	v_mov_b32_e32 v42, 0
	v_mov_b32_e32 v40, 0
	s_mov_b32 s1, exec_lo
	v_cmpx_ne_u16_e32 0, v9
	s_cbranch_execz .LBB306_223
; %bb.216:                              ;   in Loop: Header=BB306_200 Depth=1
	v_bfrev_b32_e32 v40, 1
	s_mov_b32 s2, exec_lo
	v_cmpx_ne_u16_e32 0x80, v9
	s_cbranch_execz .LBB306_222
; %bb.217:                              ;   in Loop: Header=BB306_200 Depth=1
	v_bfe_u32 v20, v17, 16, 7
	v_mov_b32_e32 v40, 0x7f800001
	s_mov_b32 s3, exec_lo
	v_cmpx_ne_u32_e32 0x7f, v20
	s_cbranch_execz .LBB306_221
; %bb.218:                              ;   in Loop: Header=BB306_200 Depth=1
	v_and_b32_sdwa v9, v17, v35 dst_sel:DWORD dst_unused:UNUSED_PAD src0_sel:WORD_1 src1_sel:DWORD
	v_lshrrev_b32_e32 v19, 3, v20
	s_mov_b32 s4, exec_lo
	v_cmpx_gt_u32_e32 8, v20
; %bb.219:                              ;   in Loop: Header=BB306_200 Depth=1
	v_ffbh_u32_e32 v19, v9
	v_min_u32_e32 v19, 32, v19
	v_subrev_nc_u32_e32 v20, 28, v19
	v_sub_nc_u32_e32 v19, 29, v19
	v_lshlrev_b64 v[43:44], v20, v[9:10]
	v_and_b32_e32 v9, 7, v43
; %bb.220:                              ;   in Loop: Header=BB306_200 Depth=1
	s_or_b32 exec_lo, exec_lo, s4
	v_lshlrev_b32_sdwa v20, v36, v17 dst_sel:DWORD dst_unused:UNUSED_PAD src0_sel:DWORD src1_sel:WORD_1
	v_lshlrev_b32_e32 v9, 20, v9
	v_lshl_add_u32 v19, v19, 23, 0x3c000000
	v_and_b32_e32 v20, 0x80000000, v20
	v_or3_b32 v40, v9, v20, v19
.LBB306_221:                            ;   in Loop: Header=BB306_200 Depth=1
	s_or_b32 exec_lo, exec_lo, s3
.LBB306_222:                            ;   in Loop: Header=BB306_200 Depth=1
	s_or_b32 exec_lo, exec_lo, s2
.LBB306_223:                            ;   in Loop: Header=BB306_200 Depth=1
	s_or_b32 exec_lo, exec_lo, s1
	s_mov_b32 s1, exec_lo
	v_cmpx_lt_u32_e32 0xffffff, v17
	s_cbranch_execz .LBB306_231
; %bb.224:                              ;   in Loop: Header=BB306_200 Depth=1
	v_cmp_ne_u32_sdwa s0, v17, v32 src0_sel:BYTE_3 src1_sel:DWORD
	v_bfrev_b32_e32 v42, 1
	s_and_saveexec_b32 s2, s0
	s_cbranch_execz .LBB306_230
; %bb.225:                              ;   in Loop: Header=BB306_200 Depth=1
	v_bfe_u32 v20, v17, 24, 7
	v_mov_b32_e32 v42, 0x7f800001
	s_mov_b32 s3, exec_lo
	v_cmpx_ne_u32_e32 0x7f, v20
	s_cbranch_execz .LBB306_229
; %bb.226:                              ;   in Loop: Header=BB306_200 Depth=1
	v_and_b32_sdwa v9, v17, v35 dst_sel:DWORD dst_unused:UNUSED_PAD src0_sel:BYTE_3 src1_sel:DWORD
	v_lshrrev_b32_e32 v19, 3, v20
	s_mov_b32 s4, exec_lo
	v_cmpx_gt_u32_e32 8, v20
; %bb.227:                              ;   in Loop: Header=BB306_200 Depth=1
	v_ffbh_u32_e32 v19, v9
	v_min_u32_e32 v19, 32, v19
	v_subrev_nc_u32_e32 v20, 28, v19
	v_sub_nc_u32_e32 v19, 29, v19
	v_lshlrev_b64 v[42:43], v20, v[9:10]
	v_and_b32_e32 v9, 7, v42
; %bb.228:                              ;   in Loop: Header=BB306_200 Depth=1
	s_or_b32 exec_lo, exec_lo, s4
	v_lshlrev_b32_sdwa v20, v36, v17 dst_sel:DWORD dst_unused:UNUSED_PAD src0_sel:DWORD src1_sel:BYTE_3
	v_lshlrev_b32_e32 v9, 20, v9
	v_lshl_add_u32 v19, v19, 23, 0x3c000000
	v_and_b32_e32 v20, 0x80000000, v20
	v_or3_b32 v42, v9, v20, v19
.LBB306_229:                            ;   in Loop: Header=BB306_200 Depth=1
	s_or_b32 exec_lo, exec_lo, s3
.LBB306_230:                            ;   in Loop: Header=BB306_200 Depth=1
	s_or_b32 exec_lo, exec_lo, s2
.LBB306_231:                            ;   in Loop: Header=BB306_200 Depth=1
	s_or_b32 exec_lo, exec_lo, s1
	v_mov_b32_e32 v9, v18
	v_cmp_ne_u16_sdwa s0, v18, v10 src0_sel:BYTE_0 src1_sel:DWORD
	v_mov_b32_e32 v19, 0
	v_mov_b32_e32 v43, 0
	s_and_saveexec_b32 s1, s0
	s_cbranch_execz .LBB306_237
; %bb.232:                              ;   in Loop: Header=BB306_200 Depth=1
	v_cmp_ne_u16_sdwa s0, v18, v32 src0_sel:BYTE_0 src1_sel:DWORD
	v_bfrev_b32_e32 v43, 1
	s_and_saveexec_b32 s2, s0
	s_cbranch_execz .LBB306_236
; %bb.233:                              ;   in Loop: Header=BB306_200 Depth=1
	v_and_b32_e32 v20, 0x7f, v18
	v_mov_b32_e32 v43, 0x7f800001
	s_mov_b32 s3, exec_lo
	v_cmpx_ne_u32_e32 0x7f, v20
	s_cbranch_execz .LBB306_235
; %bb.234:                              ;   in Loop: Header=BB306_200 Depth=1
	v_and_b32_e32 v43, 7, v18
	v_lshrrev_b32_e32 v44, 3, v20
	v_cmp_gt_u32_e64 s0, 8, v20
	v_ffbh_u32_e32 v43, v43
	v_min_u32_e32 v43, 32, v43
	v_subrev_nc_u32_e32 v45, 28, v43
	v_sub_nc_u32_e32 v43, 29, v43
	v_cndmask_b32_e64 v20, v44, v43, s0
	v_cndmask_b32_e64 v43, 0, v45, s0
	v_lshl_add_u32 v20, v20, 23, 0x3c000000
	v_lshlrev_b64 v[43:44], v43, v[9:10]
	v_lshlrev_b32_e32 v44, 24, v9
	v_lshlrev_b32_e32 v43, 20, v43
	v_and_b32_e32 v44, 0x80000000, v44
	v_and_b32_e32 v43, 0x700000, v43
	v_or3_b32 v43, v43, v44, v20
.LBB306_235:                            ;   in Loop: Header=BB306_200 Depth=1
	s_or_b32 exec_lo, exec_lo, s3
.LBB306_236:                            ;   in Loop: Header=BB306_200 Depth=1
	s_or_b32 exec_lo, exec_lo, s2
.LBB306_237:                            ;   in Loop: Header=BB306_200 Depth=1
	s_or_b32 exec_lo, exec_lo, s1
	v_cmp_ne_u16_sdwa s0, v9, v10 src0_sel:BYTE_1 src1_sel:DWORD
	s_and_saveexec_b32 s1, s0
	s_cbranch_execz .LBB306_245
; %bb.238:                              ;   in Loop: Header=BB306_200 Depth=1
	v_cmp_ne_u16_sdwa s0, v9, v32 src0_sel:BYTE_1 src1_sel:DWORD
	v_bfrev_b32_e32 v19, 1
	s_and_saveexec_b32 s2, s0
	s_cbranch_execz .LBB306_244
; %bb.239:                              ;   in Loop: Header=BB306_200 Depth=1
	v_and_b32_sdwa v20, v33, v9 dst_sel:DWORD dst_unused:UNUSED_PAD src0_sel:DWORD src1_sel:BYTE_1
	v_mov_b32_e32 v19, 0x7f800001
	s_mov_b32 s3, exec_lo
	v_and_b32_e32 v45, 0x7f, v20
	v_cmpx_ne_u32_e32 0x7f, v45
	s_cbranch_execz .LBB306_243
; %bb.240:                              ;   in Loop: Header=BB306_200 Depth=1
	v_and_b32_e32 v19, 7, v20
	v_mov_b32_e32 v20, v10
	v_lshrrev_b32_e32 v44, 3, v45
	s_mov_b32 s4, exec_lo
	v_cmpx_gt_u32_e32 8, v45
; %bb.241:                              ;   in Loop: Header=BB306_200 Depth=1
	v_ffbh_u32_e32 v44, v19
	v_min_u32_e32 v44, 32, v44
	v_subrev_nc_u32_e32 v45, 28, v44
	v_sub_nc_u32_e32 v44, 29, v44
	v_lshlrev_b64 v[19:20], v45, v[19:20]
	v_and_b32_e32 v19, 7, v19
; %bb.242:                              ;   in Loop: Header=BB306_200 Depth=1
	s_or_b32 exec_lo, exec_lo, s4
	v_lshlrev_b32_e32 v9, 16, v9
	v_lshlrev_b32_e32 v19, 20, v19
	v_lshl_add_u32 v20, v44, 23, 0x3c000000
	v_and_b32_e32 v9, 0x80000000, v9
	v_or3_b32 v19, v19, v9, v20
.LBB306_243:                            ;   in Loop: Header=BB306_200 Depth=1
	s_or_b32 exec_lo, exec_lo, s3
.LBB306_244:                            ;   in Loop: Header=BB306_200 Depth=1
	s_or_b32 exec_lo, exec_lo, s2
.LBB306_245:                            ;   in Loop: Header=BB306_200 Depth=1
	s_or_b32 exec_lo, exec_lo, s1
	v_and_b32_sdwa v9, v18, v34 dst_sel:DWORD dst_unused:UNUSED_PAD src0_sel:WORD_1 src1_sel:DWORD
	v_mov_b32_e32 v20, 0
	v_mov_b32_e32 v44, 0
	s_mov_b32 s1, exec_lo
	v_cmpx_ne_u16_e32 0, v9
	s_cbranch_execz .LBB306_253
; %bb.246:                              ;   in Loop: Header=BB306_200 Depth=1
	v_bfrev_b32_e32 v44, 1
	s_mov_b32 s2, exec_lo
	v_cmpx_ne_u16_e32 0x80, v9
	s_cbranch_execz .LBB306_252
; %bb.247:                              ;   in Loop: Header=BB306_200 Depth=1
	v_bfe_u32 v45, v18, 16, 7
	v_mov_b32_e32 v44, 0x7f800001
	s_mov_b32 s3, exec_lo
	v_cmpx_ne_u32_e32 0x7f, v45
	s_cbranch_execz .LBB306_251
; %bb.248:                              ;   in Loop: Header=BB306_200 Depth=1
	v_and_b32_sdwa v9, v18, v35 dst_sel:DWORD dst_unused:UNUSED_PAD src0_sel:WORD_1 src1_sel:DWORD
	v_lshrrev_b32_e32 v44, 3, v45
	s_mov_b32 s4, exec_lo
	v_cmpx_gt_u32_e32 8, v45
; %bb.249:                              ;   in Loop: Header=BB306_200 Depth=1
	v_ffbh_u32_e32 v44, v9
	v_min_u32_e32 v44, 32, v44
	v_subrev_nc_u32_e32 v45, 28, v44
	v_sub_nc_u32_e32 v44, 29, v44
	v_lshlrev_b64 v[45:46], v45, v[9:10]
	v_and_b32_e32 v9, 7, v45
; %bb.250:                              ;   in Loop: Header=BB306_200 Depth=1
	s_or_b32 exec_lo, exec_lo, s4
	v_lshlrev_b32_sdwa v45, v36, v18 dst_sel:DWORD dst_unused:UNUSED_PAD src0_sel:DWORD src1_sel:WORD_1
	v_lshlrev_b32_e32 v9, 20, v9
	v_lshl_add_u32 v44, v44, 23, 0x3c000000
	v_and_b32_e32 v45, 0x80000000, v45
	v_or3_b32 v44, v9, v45, v44
.LBB306_251:                            ;   in Loop: Header=BB306_200 Depth=1
	s_or_b32 exec_lo, exec_lo, s3
.LBB306_252:                            ;   in Loop: Header=BB306_200 Depth=1
	s_or_b32 exec_lo, exec_lo, s2
.LBB306_253:                            ;   in Loop: Header=BB306_200 Depth=1
	s_or_b32 exec_lo, exec_lo, s1
	s_mov_b32 s1, exec_lo
	v_cmpx_lt_u64_e64 s[30:31], v[17:18]
	s_cbranch_execz .LBB306_261
; %bb.254:                              ;   in Loop: Header=BB306_200 Depth=1
	v_cmp_ne_u32_sdwa s0, v18, v32 src0_sel:BYTE_3 src1_sel:DWORD
	v_bfrev_b32_e32 v20, 1
	s_and_saveexec_b32 s2, s0
	s_cbranch_execz .LBB306_260
; %bb.255:                              ;   in Loop: Header=BB306_200 Depth=1
	v_bfe_u32 v45, v18, 24, 7
	v_mov_b32_e32 v20, 0x7f800001
	s_mov_b32 s3, exec_lo
	v_cmpx_ne_u32_e32 0x7f, v45
	s_cbranch_execz .LBB306_259
; %bb.256:                              ;   in Loop: Header=BB306_200 Depth=1
	v_and_b32_sdwa v9, v18, v35 dst_sel:DWORD dst_unused:UNUSED_PAD src0_sel:BYTE_3 src1_sel:DWORD
	v_lshrrev_b32_e32 v17, 3, v45
	s_mov_b32 s4, exec_lo
	v_cmpx_gt_u32_e32 8, v45
; %bb.257:                              ;   in Loop: Header=BB306_200 Depth=1
	v_ffbh_u32_e32 v17, v9
	v_min_u32_e32 v17, 32, v17
	v_subrev_nc_u32_e32 v20, 28, v17
	v_sub_nc_u32_e32 v17, 29, v17
	v_lshlrev_b64 v[45:46], v20, v[9:10]
	v_and_b32_e32 v9, 7, v45
; %bb.258:                              ;   in Loop: Header=BB306_200 Depth=1
	s_or_b32 exec_lo, exec_lo, s4
	v_lshlrev_b32_sdwa v18, v36, v18 dst_sel:DWORD dst_unused:UNUSED_PAD src0_sel:DWORD src1_sel:BYTE_3
	v_lshlrev_b32_e32 v9, 20, v9
	v_lshl_add_u32 v17, v17, 23, 0x3c000000
	v_and_b32_e32 v18, 0x80000000, v18
	v_or3_b32 v20, v9, v18, v17
.LBB306_259:                            ;   in Loop: Header=BB306_200 Depth=1
	s_or_b32 exec_lo, exec_lo, s3
.LBB306_260:                            ;   in Loop: Header=BB306_200 Depth=1
	s_or_b32 exec_lo, exec_lo, s2
.LBB306_261:                            ;   in Loop: Header=BB306_200 Depth=1
	s_or_b32 exec_lo, exec_lo, s1
	s_waitcnt lgkmcnt(0)
	v_mul_f32_e32 v9, s45, v19
	v_mul_f32_e32 v17, s45, v43
	;; [unrolled: 1-line block ×5, first 2 shown]
	v_bfe_u32 v19, v9, 16, 1
	v_or_b32_e32 v40, 0x400000, v9
	v_bfe_u32 v43, v17, 16, 1
	v_cmp_u_f32_e64 s1, v9, v9
	v_or_b32_e32 v45, 0x400000, v17
	v_add3_u32 v19, v19, v9, 0x7fff
	v_bfe_u32 v46, v18, 16, 1
	v_add3_u32 v43, v43, v17, 0x7fff
	v_or_b32_e32 v47, 0x400000, v18
	v_mul_f32_e32 v20, s45, v20
	v_cndmask_b32_e64 v9, v19, v40, s1
	v_cmp_u_f32_e64 s1, v17, v17
	v_add3_u32 v46, v46, v18, 0x7fff
	v_bfe_u32 v40, v42, 16, 1
	v_cmp_eq_u32_e64 s0, s42, v38
	v_lshrrev_b32_e32 v19, 16, v9
	v_cndmask_b32_e64 v17, v43, v45, s1
	v_cmp_u_f32_e64 s1, v18, v18
	v_mul_f32_e32 v18, s45, v39
	v_add3_u32 v43, v40, v42, 0x7fff
	v_or_b32_e32 v45, 0x400000, v42
	v_lshrrev_b32_e32 v39, 16, v17
	v_cndmask_b32_e64 v9, v46, v47, s1
	v_cmp_u_f32_e64 s1, v42, v42
	v_mul_f32_e32 v42, s45, v44
	v_bfe_u32 v44, v41, 16, 1
	v_or_b32_e32 v47, 0x400000, v20
	v_lshrrev_b32_e32 v40, 16, v9
	v_bfe_u32 v9, v18, 16, 1
	v_cndmask_b32_e64 v17, v43, v45, s1
	v_or_b32_e32 v43, 0x400000, v18
	v_cmp_u_f32_e64 s1, v18, v18
	v_bfe_u32 v45, v42, 16, 1
	v_add3_u32 v9, v9, v18, 0x7fff
	v_bfe_u32 v18, v20, 16, 1
	v_or_b32_e32 v46, 0x400000, v42
	v_add3_u32 v45, v45, v42, 0x7fff
	v_cndmask_b32_e64 v9, v9, v43, s1
	v_add3_u32 v43, v44, v41, 0x7fff
	v_or_b32_e32 v44, 0x400000, v41
	v_cmp_u_f32_e64 s1, v41, v41
	v_add3_u32 v18, v18, v20, 0x7fff
	v_lshrrev_b32_e32 v41, 16, v17
	v_cndmask_b32_e64 v43, v43, v44, s1
	v_cmp_u_f32_e64 s1, v42, v42
	v_lshrrev_b32_e32 v42, 16, v43
	v_cndmask_b32_e64 v44, v45, v46, s1
	v_cmp_u_f32_e64 s1, v20, v20
	v_lshrrev_b32_e32 v20, 16, v9
	v_lshrrev_b32_e32 v45, 16, v44
	v_cndmask_b32_e64 v18, v18, v47, s1
	v_lshrrev_b32_e32 v46, 16, v18
	s_and_saveexec_b32 s2, s0
	s_cbranch_execz .LBB306_263
; %bb.262:                              ;   in Loop: Header=BB306_200 Depth=1
	v_add_nc_u32_e32 v9, 1, v22
	v_cmp_gt_i32_e64 s1, s25, v22
	v_add_nc_u32_e32 v17, 2, v22
	v_add_nc_u32_e32 v18, 3, v22
	v_cndmask_b32_e64 v42, 0, v42, s1
	v_cmp_gt_i32_e64 s1, s25, v9
	v_add_nc_u32_e32 v9, 4, v22
	v_cndmask_b32_e64 v20, 0, v20, s1
	v_cmp_gt_i32_e64 s1, s25, v17
	;; [unrolled: 3-line block ×5, first 2 shown]
	v_cndmask_b32_e64 v19, 0, v19, s1
	v_cmp_gt_i32_e64 s1, s25, v18
	v_cndmask_b32_e64 v45, 0, v45, s1
	v_cmp_gt_i32_e64 s1, s25, v9
	v_cndmask_b32_e64 v46, 0, v46, s1
.LBB306_263:                            ;   in Loop: Header=BB306_200 Depth=1
	s_or_b32 exec_lo, exec_lo, s2
	global_load_dwordx2 v[15:16], v[15:16], off offset:256
	v_mov_b32_e32 v44, 0
	v_mov_b32_e32 v43, 0
	s_waitcnt vmcnt(0)
	v_cmp_ne_u16_sdwa s1, v15, v10 src0_sel:BYTE_0 src1_sel:DWORD
	s_and_saveexec_b32 s2, s1
	s_cbranch_execz .LBB306_269
; %bb.264:                              ;   in Loop: Header=BB306_200 Depth=1
	v_cmp_ne_u16_sdwa s1, v15, v32 src0_sel:BYTE_0 src1_sel:DWORD
	v_bfrev_b32_e32 v43, 1
	s_and_saveexec_b32 s3, s1
	s_cbranch_execz .LBB306_268
; %bb.265:                              ;   in Loop: Header=BB306_200 Depth=1
	v_and_b32_e32 v9, 0x7f, v15
	v_mov_b32_e32 v43, 0x7f800001
	s_mov_b32 s4, exec_lo
	v_cmpx_ne_u32_e32 0x7f, v9
	s_cbranch_execz .LBB306_267
; %bb.266:                              ;   in Loop: Header=BB306_200 Depth=1
	v_and_b32_e32 v17, 7, v15
	v_lshrrev_b32_e32 v18, 3, v9
	v_cmp_gt_u32_e64 s1, 8, v9
	v_ffbh_u32_e32 v17, v17
	v_min_u32_e32 v17, 32, v17
	v_subrev_nc_u32_e32 v43, 28, v17
	v_sub_nc_u32_e32 v17, 29, v17
	v_cndmask_b32_e64 v9, v18, v17, s1
	v_cndmask_b32_e64 v17, 0, v43, s1
	v_lshl_add_u32 v9, v9, 23, 0x3c000000
	v_lshlrev_b64 v[17:18], v17, v[15:16]
	v_lshlrev_b32_e32 v18, 24, v15
	v_lshlrev_b32_e32 v17, 20, v17
	v_and_b32_e32 v18, 0x80000000, v18
	v_and_b32_e32 v17, 0x700000, v17
	v_or3_b32 v43, v17, v18, v9
.LBB306_267:                            ;   in Loop: Header=BB306_200 Depth=1
	s_or_b32 exec_lo, exec_lo, s4
.LBB306_268:                            ;   in Loop: Header=BB306_200 Depth=1
	s_or_b32 exec_lo, exec_lo, s3
.LBB306_269:                            ;   in Loop: Header=BB306_200 Depth=1
	s_or_b32 exec_lo, exec_lo, s2
	v_cmp_ne_u16_sdwa s1, v15, v10 src0_sel:BYTE_1 src1_sel:DWORD
	s_and_saveexec_b32 s2, s1
	s_cbranch_execz .LBB306_277
; %bb.270:                              ;   in Loop: Header=BB306_200 Depth=1
	v_cmp_ne_u16_sdwa s1, v15, v32 src0_sel:BYTE_1 src1_sel:DWORD
	v_bfrev_b32_e32 v44, 1
	s_and_saveexec_b32 s3, s1
	s_cbranch_execz .LBB306_276
; %bb.271:                              ;   in Loop: Header=BB306_200 Depth=1
	v_and_b32_sdwa v9, v33, v15 dst_sel:DWORD dst_unused:UNUSED_PAD src0_sel:DWORD src1_sel:BYTE_1
	v_mov_b32_e32 v44, 0x7f800001
	s_mov_b32 s4, exec_lo
	v_and_b32_e32 v18, 0x7f, v9
	v_cmpx_ne_u32_e32 0x7f, v18
	s_cbranch_execz .LBB306_275
; %bb.272:                              ;   in Loop: Header=BB306_200 Depth=1
	v_and_b32_e32 v9, 7, v9
	v_lshrrev_b32_e32 v17, 3, v18
	s_mov_b32 s5, exec_lo
	v_cmpx_gt_u32_e32 8, v18
; %bb.273:                              ;   in Loop: Header=BB306_200 Depth=1
	v_ffbh_u32_e32 v17, v9
	v_min_u32_e32 v17, 32, v17
	v_subrev_nc_u32_e32 v18, 28, v17
	v_sub_nc_u32_e32 v17, 29, v17
	v_lshlrev_b64 v[47:48], v18, v[9:10]
	v_and_b32_e32 v9, 7, v47
; %bb.274:                              ;   in Loop: Header=BB306_200 Depth=1
	s_or_b32 exec_lo, exec_lo, s5
	v_lshlrev_b32_e32 v18, 16, v15
	v_lshlrev_b32_e32 v9, 20, v9
	v_lshl_add_u32 v17, v17, 23, 0x3c000000
	v_and_b32_e32 v18, 0x80000000, v18
	v_or3_b32 v44, v9, v18, v17
.LBB306_275:                            ;   in Loop: Header=BB306_200 Depth=1
	s_or_b32 exec_lo, exec_lo, s4
.LBB306_276:                            ;   in Loop: Header=BB306_200 Depth=1
	s_or_b32 exec_lo, exec_lo, s3
.LBB306_277:                            ;   in Loop: Header=BB306_200 Depth=1
	s_or_b32 exec_lo, exec_lo, s2
	v_and_b32_sdwa v9, v15, v34 dst_sel:DWORD dst_unused:UNUSED_PAD src0_sel:WORD_1 src1_sel:DWORD
	v_mov_b32_e32 v48, 0
	v_mov_b32_e32 v47, 0
	s_mov_b32 s2, exec_lo
	v_cmpx_ne_u16_e32 0, v9
	s_cbranch_execz .LBB306_285
; %bb.278:                              ;   in Loop: Header=BB306_200 Depth=1
	v_bfrev_b32_e32 v47, 1
	s_mov_b32 s3, exec_lo
	v_cmpx_ne_u16_e32 0x80, v9
	s_cbranch_execz .LBB306_284
; %bb.279:                              ;   in Loop: Header=BB306_200 Depth=1
	v_bfe_u32 v18, v15, 16, 7
	v_mov_b32_e32 v47, 0x7f800001
	s_mov_b32 s4, exec_lo
	v_cmpx_ne_u32_e32 0x7f, v18
	s_cbranch_execz .LBB306_283
; %bb.280:                              ;   in Loop: Header=BB306_200 Depth=1
	v_and_b32_sdwa v9, v15, v35 dst_sel:DWORD dst_unused:UNUSED_PAD src0_sel:WORD_1 src1_sel:DWORD
	v_lshrrev_b32_e32 v17, 3, v18
	s_mov_b32 s5, exec_lo
	v_cmpx_gt_u32_e32 8, v18
; %bb.281:                              ;   in Loop: Header=BB306_200 Depth=1
	v_ffbh_u32_e32 v17, v9
	v_min_u32_e32 v17, 32, v17
	v_subrev_nc_u32_e32 v18, 28, v17
	v_sub_nc_u32_e32 v17, 29, v17
	v_lshlrev_b64 v[49:50], v18, v[9:10]
	v_and_b32_e32 v9, 7, v49
; %bb.282:                              ;   in Loop: Header=BB306_200 Depth=1
	s_or_b32 exec_lo, exec_lo, s5
	v_lshlrev_b32_sdwa v18, v36, v15 dst_sel:DWORD dst_unused:UNUSED_PAD src0_sel:DWORD src1_sel:WORD_1
	v_lshlrev_b32_e32 v9, 20, v9
	v_lshl_add_u32 v17, v17, 23, 0x3c000000
	v_and_b32_e32 v18, 0x80000000, v18
	v_or3_b32 v47, v9, v18, v17
.LBB306_283:                            ;   in Loop: Header=BB306_200 Depth=1
	s_or_b32 exec_lo, exec_lo, s4
.LBB306_284:                            ;   in Loop: Header=BB306_200 Depth=1
	s_or_b32 exec_lo, exec_lo, s3
.LBB306_285:                            ;   in Loop: Header=BB306_200 Depth=1
	s_or_b32 exec_lo, exec_lo, s2
	s_mov_b32 s2, exec_lo
	v_cmpx_lt_u32_e32 0xffffff, v15
	s_cbranch_execz .LBB306_293
; %bb.286:                              ;   in Loop: Header=BB306_200 Depth=1
	v_cmp_ne_u32_sdwa s1, v15, v32 src0_sel:BYTE_3 src1_sel:DWORD
	v_bfrev_b32_e32 v48, 1
	s_and_saveexec_b32 s3, s1
	s_cbranch_execz .LBB306_292
; %bb.287:                              ;   in Loop: Header=BB306_200 Depth=1
	v_bfe_u32 v18, v15, 24, 7
	v_mov_b32_e32 v48, 0x7f800001
	s_mov_b32 s4, exec_lo
	v_cmpx_ne_u32_e32 0x7f, v18
	s_cbranch_execz .LBB306_291
; %bb.288:                              ;   in Loop: Header=BB306_200 Depth=1
	v_and_b32_sdwa v9, v15, v35 dst_sel:DWORD dst_unused:UNUSED_PAD src0_sel:BYTE_3 src1_sel:DWORD
	v_lshrrev_b32_e32 v17, 3, v18
	s_mov_b32 s5, exec_lo
	v_cmpx_gt_u32_e32 8, v18
; %bb.289:                              ;   in Loop: Header=BB306_200 Depth=1
	v_ffbh_u32_e32 v17, v9
	v_min_u32_e32 v17, 32, v17
	v_subrev_nc_u32_e32 v18, 28, v17
	v_sub_nc_u32_e32 v17, 29, v17
	v_lshlrev_b64 v[48:49], v18, v[9:10]
	v_and_b32_e32 v9, 7, v48
; %bb.290:                              ;   in Loop: Header=BB306_200 Depth=1
	s_or_b32 exec_lo, exec_lo, s5
	v_lshlrev_b32_sdwa v18, v36, v15 dst_sel:DWORD dst_unused:UNUSED_PAD src0_sel:DWORD src1_sel:BYTE_3
	v_lshlrev_b32_e32 v9, 20, v9
	v_lshl_add_u32 v17, v17, 23, 0x3c000000
	v_and_b32_e32 v18, 0x80000000, v18
	v_or3_b32 v48, v9, v18, v17
.LBB306_291:                            ;   in Loop: Header=BB306_200 Depth=1
	s_or_b32 exec_lo, exec_lo, s4
.LBB306_292:                            ;   in Loop: Header=BB306_200 Depth=1
	s_or_b32 exec_lo, exec_lo, s3
.LBB306_293:                            ;   in Loop: Header=BB306_200 Depth=1
	s_or_b32 exec_lo, exec_lo, s2
	v_mov_b32_e32 v9, v16
	v_cmp_ne_u16_sdwa s1, v16, v10 src0_sel:BYTE_0 src1_sel:DWORD
	v_mov_b32_e32 v17, 0
	v_mov_b32_e32 v49, 0
	s_and_saveexec_b32 s2, s1
	s_cbranch_execz .LBB306_299
; %bb.294:                              ;   in Loop: Header=BB306_200 Depth=1
	v_cmp_ne_u16_sdwa s1, v16, v32 src0_sel:BYTE_0 src1_sel:DWORD
	v_bfrev_b32_e32 v49, 1
	s_and_saveexec_b32 s3, s1
	s_cbranch_execz .LBB306_298
; %bb.295:                              ;   in Loop: Header=BB306_200 Depth=1
	v_and_b32_e32 v18, 0x7f, v16
	v_mov_b32_e32 v49, 0x7f800001
	s_mov_b32 s4, exec_lo
	v_cmpx_ne_u32_e32 0x7f, v18
	s_cbranch_execz .LBB306_297
; %bb.296:                              ;   in Loop: Header=BB306_200 Depth=1
	v_and_b32_e32 v49, 7, v16
	v_lshrrev_b32_e32 v50, 3, v18
	v_cmp_gt_u32_e64 s1, 8, v18
	v_ffbh_u32_e32 v49, v49
	v_min_u32_e32 v49, 32, v49
	v_subrev_nc_u32_e32 v51, 28, v49
	v_sub_nc_u32_e32 v49, 29, v49
	v_cndmask_b32_e64 v18, v50, v49, s1
	v_cndmask_b32_e64 v49, 0, v51, s1
	v_lshl_add_u32 v18, v18, 23, 0x3c000000
	v_lshlrev_b64 v[49:50], v49, v[9:10]
	v_lshlrev_b32_e32 v50, 24, v9
	v_lshlrev_b32_e32 v49, 20, v49
	v_and_b32_e32 v50, 0x80000000, v50
	v_and_b32_e32 v49, 0x700000, v49
	v_or3_b32 v49, v49, v50, v18
.LBB306_297:                            ;   in Loop: Header=BB306_200 Depth=1
	s_or_b32 exec_lo, exec_lo, s4
.LBB306_298:                            ;   in Loop: Header=BB306_200 Depth=1
	s_or_b32 exec_lo, exec_lo, s3
.LBB306_299:                            ;   in Loop: Header=BB306_200 Depth=1
	s_or_b32 exec_lo, exec_lo, s2
	v_cmp_ne_u16_sdwa s1, v9, v10 src0_sel:BYTE_1 src1_sel:DWORD
	s_and_saveexec_b32 s2, s1
	s_cbranch_execz .LBB306_307
; %bb.300:                              ;   in Loop: Header=BB306_200 Depth=1
	v_cmp_ne_u16_sdwa s1, v9, v32 src0_sel:BYTE_1 src1_sel:DWORD
	v_bfrev_b32_e32 v17, 1
	s_and_saveexec_b32 s3, s1
	s_cbranch_execz .LBB306_306
; %bb.301:                              ;   in Loop: Header=BB306_200 Depth=1
	v_and_b32_sdwa v18, v33, v9 dst_sel:DWORD dst_unused:UNUSED_PAD src0_sel:DWORD src1_sel:BYTE_1
	v_mov_b32_e32 v17, 0x7f800001
	s_mov_b32 s4, exec_lo
	v_and_b32_e32 v51, 0x7f, v18
	v_cmpx_ne_u32_e32 0x7f, v51
	s_cbranch_execz .LBB306_305
; %bb.302:                              ;   in Loop: Header=BB306_200 Depth=1
	v_and_b32_e32 v17, 7, v18
	v_mov_b32_e32 v18, v10
	v_lshrrev_b32_e32 v50, 3, v51
	s_mov_b32 s5, exec_lo
	v_cmpx_gt_u32_e32 8, v51
; %bb.303:                              ;   in Loop: Header=BB306_200 Depth=1
	v_ffbh_u32_e32 v50, v17
	v_min_u32_e32 v50, 32, v50
	v_subrev_nc_u32_e32 v51, 28, v50
	v_sub_nc_u32_e32 v50, 29, v50
	v_lshlrev_b64 v[17:18], v51, v[17:18]
	v_and_b32_e32 v17, 7, v17
; %bb.304:                              ;   in Loop: Header=BB306_200 Depth=1
	s_or_b32 exec_lo, exec_lo, s5
	v_lshlrev_b32_e32 v9, 16, v9
	v_lshlrev_b32_e32 v17, 20, v17
	v_lshl_add_u32 v18, v50, 23, 0x3c000000
	v_and_b32_e32 v9, 0x80000000, v9
	v_or3_b32 v17, v17, v9, v18
.LBB306_305:                            ;   in Loop: Header=BB306_200 Depth=1
	s_or_b32 exec_lo, exec_lo, s4
.LBB306_306:                            ;   in Loop: Header=BB306_200 Depth=1
	s_or_b32 exec_lo, exec_lo, s3
.LBB306_307:                            ;   in Loop: Header=BB306_200 Depth=1
	s_or_b32 exec_lo, exec_lo, s2
	v_and_b32_sdwa v9, v16, v34 dst_sel:DWORD dst_unused:UNUSED_PAD src0_sel:WORD_1 src1_sel:DWORD
	v_mov_b32_e32 v18, 0
	v_mov_b32_e32 v50, 0
	s_mov_b32 s2, exec_lo
	v_cmpx_ne_u16_e32 0, v9
	s_cbranch_execz .LBB306_315
; %bb.308:                              ;   in Loop: Header=BB306_200 Depth=1
	v_bfrev_b32_e32 v50, 1
	s_mov_b32 s3, exec_lo
	v_cmpx_ne_u16_e32 0x80, v9
	s_cbranch_execz .LBB306_314
; %bb.309:                              ;   in Loop: Header=BB306_200 Depth=1
	v_bfe_u32 v51, v16, 16, 7
	v_mov_b32_e32 v50, 0x7f800001
	s_mov_b32 s4, exec_lo
	v_cmpx_ne_u32_e32 0x7f, v51
	s_cbranch_execz .LBB306_313
; %bb.310:                              ;   in Loop: Header=BB306_200 Depth=1
	v_and_b32_sdwa v9, v16, v35 dst_sel:DWORD dst_unused:UNUSED_PAD src0_sel:WORD_1 src1_sel:DWORD
	v_lshrrev_b32_e32 v50, 3, v51
	s_mov_b32 s5, exec_lo
	v_cmpx_gt_u32_e32 8, v51
; %bb.311:                              ;   in Loop: Header=BB306_200 Depth=1
	v_ffbh_u32_e32 v50, v9
	v_min_u32_e32 v50, 32, v50
	v_subrev_nc_u32_e32 v51, 28, v50
	v_sub_nc_u32_e32 v50, 29, v50
	v_lshlrev_b64 v[51:52], v51, v[9:10]
	v_and_b32_e32 v9, 7, v51
; %bb.312:                              ;   in Loop: Header=BB306_200 Depth=1
	s_or_b32 exec_lo, exec_lo, s5
	v_lshlrev_b32_sdwa v51, v36, v16 dst_sel:DWORD dst_unused:UNUSED_PAD src0_sel:DWORD src1_sel:WORD_1
	v_lshlrev_b32_e32 v9, 20, v9
	v_lshl_add_u32 v50, v50, 23, 0x3c000000
	v_and_b32_e32 v51, 0x80000000, v51
	v_or3_b32 v50, v9, v51, v50
.LBB306_313:                            ;   in Loop: Header=BB306_200 Depth=1
	s_or_b32 exec_lo, exec_lo, s4
.LBB306_314:                            ;   in Loop: Header=BB306_200 Depth=1
	s_or_b32 exec_lo, exec_lo, s3
.LBB306_315:                            ;   in Loop: Header=BB306_200 Depth=1
	s_or_b32 exec_lo, exec_lo, s2
	s_mov_b32 s2, exec_lo
	v_cmpx_lt_u64_e64 s[30:31], v[15:16]
	s_cbranch_execz .LBB306_323
; %bb.316:                              ;   in Loop: Header=BB306_200 Depth=1
	v_cmp_ne_u32_sdwa s1, v16, v32 src0_sel:BYTE_3 src1_sel:DWORD
	v_bfrev_b32_e32 v18, 1
	s_and_saveexec_b32 s3, s1
	s_cbranch_execz .LBB306_322
; %bb.317:                              ;   in Loop: Header=BB306_200 Depth=1
	v_bfe_u32 v51, v16, 24, 7
	v_mov_b32_e32 v18, 0x7f800001
	s_mov_b32 s4, exec_lo
	v_cmpx_ne_u32_e32 0x7f, v51
	s_cbranch_execz .LBB306_321
; %bb.318:                              ;   in Loop: Header=BB306_200 Depth=1
	v_and_b32_sdwa v9, v16, v35 dst_sel:DWORD dst_unused:UNUSED_PAD src0_sel:BYTE_3 src1_sel:DWORD
	v_lshrrev_b32_e32 v15, 3, v51
	s_mov_b32 s5, exec_lo
	v_cmpx_gt_u32_e32 8, v51
; %bb.319:                              ;   in Loop: Header=BB306_200 Depth=1
	v_ffbh_u32_e32 v15, v9
	v_min_u32_e32 v15, 32, v15
	v_subrev_nc_u32_e32 v18, 28, v15
	v_sub_nc_u32_e32 v15, 29, v15
	v_lshlrev_b64 v[51:52], v18, v[9:10]
	v_and_b32_e32 v9, 7, v51
; %bb.320:                              ;   in Loop: Header=BB306_200 Depth=1
	s_or_b32 exec_lo, exec_lo, s5
	v_lshlrev_b32_sdwa v16, v36, v16 dst_sel:DWORD dst_unused:UNUSED_PAD src0_sel:DWORD src1_sel:BYTE_3
	v_lshlrev_b32_e32 v9, 20, v9
	v_lshl_add_u32 v15, v15, 23, 0x3c000000
	v_and_b32_e32 v16, 0x80000000, v16
	v_or3_b32 v18, v9, v16, v15
.LBB306_321:                            ;   in Loop: Header=BB306_200 Depth=1
	s_or_b32 exec_lo, exec_lo, s4
.LBB306_322:                            ;   in Loop: Header=BB306_200 Depth=1
	s_or_b32 exec_lo, exec_lo, s3
.LBB306_323:                            ;   in Loop: Header=BB306_200 Depth=1
	s_or_b32 exec_lo, exec_lo, s2
	v_mul_f32_e32 v9, s45, v17
	v_mul_f32_e32 v15, s45, v49
	;; [unrolled: 1-line block ×5, first 2 shown]
	v_bfe_u32 v47, v9, 16, 1
	v_or_b32_e32 v48, 0x400000, v9
	v_bfe_u32 v49, v15, 16, 1
	v_cmp_u_f32_e64 s1, v9, v9
	v_or_b32_e32 v51, 0x400000, v15
	v_add3_u32 v47, v47, v9, 0x7fff
	v_bfe_u32 v52, v16, 16, 1
	v_add3_u32 v49, v49, v15, 0x7fff
	v_or_b32_e32 v53, 0x400000, v16
	v_bfe_u32 v54, v17, 16, 1
	v_cndmask_b32_e64 v9, v47, v48, s1
	v_cmp_u_f32_e64 s1, v15, v15
	v_add3_u32 v52, v52, v16, 0x7fff
	v_or_b32_e32 v48, 0x400000, v17
	v_add3_u32 v47, v54, v17, 0x7fff
	v_mul_f32_e32 v43, s45, v43
	v_cndmask_b32_e64 v15, v49, v51, s1
	v_cmp_u_f32_e64 s1, v16, v16
	v_bfe_u32 v49, v44, 16, 1
	v_mul_f32_e32 v18, s45, v18
	v_lshrrev_b32_e32 v9, 16, v9
	v_lshrrev_b32_e32 v15, 16, v15
	v_cndmask_b32_e64 v16, v52, v53, s1
	v_cmp_u_f32_e64 s1, v17, v17
	v_or_b32_e32 v53, 0x400000, v18
	v_lshrrev_b32_e32 v16, 16, v16
	v_cndmask_b32_e64 v17, v47, v48, s1
	v_mul_f32_e32 v47, s45, v50
	v_add3_u32 v48, v49, v44, 0x7fff
	v_or_b32_e32 v49, 0x400000, v44
	v_bfe_u32 v50, v43, 16, 1
	v_cmp_u_f32_e64 s1, v44, v44
	v_bfe_u32 v51, v47, 16, 1
	v_or_b32_e32 v52, 0x400000, v47
	v_lshrrev_b32_e32 v57, 16, v17
	v_cndmask_b32_e64 v44, v48, v49, s1
	v_add3_u32 v49, v50, v43, 0x7fff
	v_or_b32_e32 v50, 0x400000, v43
	v_cmp_u_f32_e64 s1, v43, v43
	v_bfe_u32 v48, v18, 16, 1
	v_add3_u32 v51, v51, v47, 0x7fff
	v_cndmask_b32_e64 v43, v49, v50, s1
	v_cmp_u_f32_e64 s1, v47, v47
	v_add3_u32 v48, v48, v18, 0x7fff
	v_lshrrev_b32_e32 v17, 16, v43
	v_cndmask_b32_e64 v47, v51, v52, s1
	v_cmp_u_f32_e64 s1, v18, v18
	v_lshrrev_b32_e32 v18, 16, v44
	v_lshrrev_b32_e32 v55, 16, v47
	v_cndmask_b32_e64 v48, v48, v53, s1
	v_lshrrev_b32_e32 v56, 16, v48
	s_and_saveexec_b32 s2, s0
	s_cbranch_execz .LBB306_325
; %bb.324:                              ;   in Loop: Header=BB306_200 Depth=1
	v_add_nc_u32_e32 v43, 1, v22
	v_cmp_gt_i32_e64 s1, s25, v22
	v_add_nc_u32_e32 v44, 2, v22
	v_add_nc_u32_e32 v47, 3, v22
	v_cndmask_b32_e64 v17, 0, v17, s1
	v_cmp_gt_i32_e64 s1, s25, v43
	v_add_nc_u32_e32 v43, 4, v22
	v_cndmask_b32_e64 v18, 0, v18, s1
	v_cmp_gt_i32_e64 s1, s25, v44
	;; [unrolled: 3-line block ×5, first 2 shown]
	v_cndmask_b32_e64 v9, 0, v9, s1
	v_cmp_gt_i32_e64 s1, s25, v47
	v_cndmask_b32_e64 v55, 0, v55, s1
	v_cmp_gt_i32_e64 s1, s25, v43
	v_cndmask_b32_e64 v56, 0, v56, s1
.LBB306_325:                            ;   in Loop: Header=BB306_200 Depth=1
	s_or_b32 exec_lo, exec_lo, s2
	v_bfe_u32 v43, v5, 16, 1
	v_or_b32_e32 v44, 0x400000, v5
	v_bfe_u32 v47, v6, 16, 1
	v_cmp_u_f32_e64 s1, v5, v5
	v_bfe_u32 v48, v7, 16, 1
	v_add3_u32 v43, v43, v5, 0x7fff
	v_or_b32_e32 v49, 0x400000, v6
	v_add3_u32 v51, v47, v6, 0x7fff
	v_or_b32_e32 v50, 0x400000, v7
	v_add3_u32 v52, v48, v7, 0x7fff
	v_cndmask_b32_e64 v47, v43, v44, s1
	v_cmp_u_f32_e64 s1, v6, v6
	v_bfe_u32 v5, v8, 16, 1
	v_bfe_u32 v6, v1, 16, 1
	;; [unrolled: 1-line block ×3, first 2 shown]
	v_or_b32_e32 v44, 0x400000, v1
	v_cndmask_b32_e64 v48, v51, v49, s1
	v_cmp_u_f32_e64 s1, v7, v7
	v_add3_u32 v5, v5, v8, 0x7fff
	v_or_b32_e32 v7, 0x400000, v8
	v_add3_u32 v6, v6, v1, 0x7fff
	v_lshlrev_b32_e32 v19, 16, v19
	v_cndmask_b32_e64 v49, v52, v50, s1
	v_cmp_u_f32_e64 s1, v8, v8
	v_or_b32_e32 v8, 0x400000, v4
	v_lshlrev_b32_e32 v39, 16, v39
	v_lshlrev_b32_e32 v18, 16, v18
	;; [unrolled: 1-line block ×3, first 2 shown]
	v_cndmask_b32_e64 v50, v5, v7, s1
	v_cmp_u_f32_e64 s1, v1, v1
	v_add3_u32 v5, v43, v2, 0x7fff
	v_or_b32_e32 v7, 0x400000, v2
	v_bfe_u32 v1, v3, 16, 1
	v_lshlrev_b32_e32 v16, 16, v16
	v_cndmask_b32_e64 v51, v6, v44, s1
	v_cmp_u_f32_e64 s1, v2, v2
	v_bfe_u32 v2, v4, 16, 1
	v_add3_u32 v1, v1, v3, 0x7fff
	v_lshlrev_b32_e32 v6, 16, v20
	v_and_b32_e32 v58, 0xffff0000, v51
	v_cndmask_b32_e64 v52, v5, v7, s1
	v_or_b32_e32 v7, 0x400000, v3
	v_cmp_u_f32_e64 s1, v3, v3
	v_and_b32_e32 v5, 0xffff0000, v48
	v_add3_u32 v2, v2, v4, 0x7fff
	v_and_b32_e32 v3, 0xffff0000, v50
	v_cndmask_b32_e64 v53, v1, v7, s1
	v_cmp_u_f32_e64 s1, v4, v4
	v_mul_f32_e32 v20, v5, v6
	v_and_b32_e32 v1, 0xffff0000, v47
	v_lshlrev_b32_e32 v4, 16, v40
	v_and_b32_e32 v6, 0xffff0000, v49
	v_cndmask_b32_e64 v54, v2, v8, s1
	v_lshlrev_b32_e32 v2, 16, v42
	v_lshlrev_b32_e32 v7, 16, v41
	v_and_b32_e32 v8, 0xffff0000, v52
	v_mul_f32_e32 v43, v3, v4
	v_lshlrev_b32_e32 v4, 16, v46
	v_mul_f32_e32 v44, v1, v2
	v_mul_f32_e32 v42, v6, v7
	v_and_b32_e32 v2, 0xffff0000, v54
	v_and_b32_e32 v46, 0xffff0000, v53
	v_lshlrev_b32_e32 v7, 16, v45
	v_mul_f32_e32 v41, v8, v19
	v_mul_f32_e32 v19, v58, v39
	;; [unrolled: 1-line block ×7, first 2 shown]
	v_lshlrev_b32_e32 v1, 16, v57
	v_lshlrev_b32_e32 v3, 16, v9
	v_lshlrev_b32_e32 v4, 16, v15
	v_lshlrev_b32_e32 v5, 16, v56
	v_lshlrev_b32_e32 v9, 16, v55
	v_mul_f32_e32 v16, v6, v1
	v_mul_f32_e32 v15, v8, v3
	;; [unrolled: 1-line block ×5, first 2 shown]
	v_cmp_u_f32_e64 s11, v20, v20
	v_cmp_u_f32_e64 s17, v44, v44
	;; [unrolled: 1-line block ×16, first 2 shown]
	s_and_saveexec_b32 s46, vcc_lo
	s_cbranch_execz .LBB306_198
; %bb.326:                              ;   in Loop: Header=BB306_200 Depth=1
	v_add_co_u32 v1, s18, v13, v30
	v_add_co_ci_u32_e64 v2, null, 0, v14, s18
	v_mov_b32_e32 v14, 0
	v_mov_b32_e32 v13, 0
	global_load_dwordx2 v[1:2], v[1:2], off
	s_waitcnt vmcnt(0)
	v_cmp_ne_u16_sdwa s18, v1, v10 src0_sel:BYTE_0 src1_sel:DWORD
	s_and_saveexec_b32 s47, s18
	s_cbranch_execz .LBB306_332
; %bb.327:                              ;   in Loop: Header=BB306_200 Depth=1
	v_cmp_ne_u16_sdwa s18, v1, v32 src0_sel:BYTE_0 src1_sel:DWORD
	v_bfrev_b32_e32 v13, 1
	s_and_saveexec_b32 s48, s18
	s_cbranch_execz .LBB306_331
; %bb.328:                              ;   in Loop: Header=BB306_200 Depth=1
	v_and_b32_e32 v3, 0x7f, v1
	v_mov_b32_e32 v13, 0x7f800001
	s_mov_b32 s49, exec_lo
	v_cmpx_ne_u32_e32 0x7f, v3
	s_cbranch_execz .LBB306_330
; %bb.329:                              ;   in Loop: Header=BB306_200 Depth=1
	v_and_b32_e32 v4, 7, v1
	v_cmp_gt_u32_e64 s18, 8, v3
	v_lshrrev_b32_e32 v9, 3, v3
	v_ffbh_u32_e32 v4, v4
	v_min_u32_e32 v4, 32, v4
	v_subrev_nc_u32_e32 v13, 28, v4
	v_sub_nc_u32_e32 v4, 29, v4
	v_cndmask_b32_e64 v3, 0, v13, s18
	v_cndmask_b32_e64 v9, v9, v4, s18
	v_lshlrev_b64 v[3:4], v3, v[1:2]
	v_lshlrev_b32_e32 v4, 24, v1
	v_lshl_add_u32 v9, v9, 23, 0x3c000000
	v_lshlrev_b32_e32 v3, 20, v3
	v_and_b32_e32 v4, 0x80000000, v4
	v_and_b32_e32 v3, 0x700000, v3
	v_or3_b32 v13, v3, v4, v9
.LBB306_330:                            ;   in Loop: Header=BB306_200 Depth=1
	s_or_b32 exec_lo, exec_lo, s49
.LBB306_331:                            ;   in Loop: Header=BB306_200 Depth=1
	s_or_b32 exec_lo, exec_lo, s48
.LBB306_332:                            ;   in Loop: Header=BB306_200 Depth=1
	s_or_b32 exec_lo, exec_lo, s47
	v_cmp_ne_u16_sdwa s18, v1, v10 src0_sel:BYTE_1 src1_sel:DWORD
	s_and_saveexec_b32 s47, s18
	s_cbranch_execz .LBB306_340
; %bb.333:                              ;   in Loop: Header=BB306_200 Depth=1
	v_cmp_ne_u16_sdwa s18, v1, v32 src0_sel:BYTE_1 src1_sel:DWORD
	v_bfrev_b32_e32 v14, 1
	s_and_saveexec_b32 s48, s18
	s_cbranch_execz .LBB306_339
; %bb.334:                              ;   in Loop: Header=BB306_200 Depth=1
	v_and_b32_sdwa v3, v33, v1 dst_sel:DWORD dst_unused:UNUSED_PAD src0_sel:DWORD src1_sel:BYTE_1
	v_mov_b32_e32 v14, 0x7f800001
	s_mov_b32 s49, exec_lo
	v_and_b32_e32 v4, 0x7f, v3
	v_cmpx_ne_u32_e32 0x7f, v4
	s_cbranch_execz .LBB306_338
; %bb.335:                              ;   in Loop: Header=BB306_200 Depth=1
	v_and_b32_e32 v9, 7, v3
	v_lshrrev_b32_e32 v3, 3, v4
	s_mov_b32 s50, exec_lo
	v_cmpx_gt_u32_e32 8, v4
; %bb.336:                              ;   in Loop: Header=BB306_200 Depth=1
	v_ffbh_u32_e32 v3, v9
	v_min_u32_e32 v3, 32, v3
	v_subrev_nc_u32_e32 v4, 28, v3
	v_sub_nc_u32_e32 v3, 29, v3
	v_lshlrev_b64 v[45:46], v4, v[9:10]
	v_and_b32_e32 v9, 7, v45
; %bb.337:                              ;   in Loop: Header=BB306_200 Depth=1
	s_or_b32 exec_lo, exec_lo, s50
	v_lshlrev_b32_e32 v4, 16, v1
	v_lshlrev_b32_e32 v9, 20, v9
	v_lshl_add_u32 v3, v3, 23, 0x3c000000
	v_and_b32_e32 v4, 0x80000000, v4
	v_or3_b32 v14, v9, v4, v3
.LBB306_338:                            ;   in Loop: Header=BB306_200 Depth=1
	s_or_b32 exec_lo, exec_lo, s49
.LBB306_339:                            ;   in Loop: Header=BB306_200 Depth=1
	s_or_b32 exec_lo, exec_lo, s48
.LBB306_340:                            ;   in Loop: Header=BB306_200 Depth=1
	s_or_b32 exec_lo, exec_lo, s47
	v_and_b32_sdwa v3, v1, v34 dst_sel:DWORD dst_unused:UNUSED_PAD src0_sel:WORD_1 src1_sel:DWORD
	v_mov_b32_e32 v46, 0
	v_mov_b32_e32 v45, 0
	s_mov_b32 s47, exec_lo
	v_cmpx_ne_u16_e32 0, v3
	s_cbranch_execz .LBB306_348
; %bb.341:                              ;   in Loop: Header=BB306_200 Depth=1
	v_bfrev_b32_e32 v45, 1
	s_mov_b32 s48, exec_lo
	v_cmpx_ne_u16_e32 0x80, v3
	s_cbranch_execz .LBB306_347
; %bb.342:                              ;   in Loop: Header=BB306_200 Depth=1
	v_bfe_u32 v4, v1, 16, 7
	v_mov_b32_e32 v45, 0x7f800001
	s_mov_b32 s49, exec_lo
	v_cmpx_ne_u32_e32 0x7f, v4
	s_cbranch_execz .LBB306_346
; %bb.343:                              ;   in Loop: Header=BB306_200 Depth=1
	v_and_b32_sdwa v9, v1, v35 dst_sel:DWORD dst_unused:UNUSED_PAD src0_sel:WORD_1 src1_sel:DWORD
	v_lshrrev_b32_e32 v3, 3, v4
	s_mov_b32 s50, exec_lo
	v_cmpx_gt_u32_e32 8, v4
; %bb.344:                              ;   in Loop: Header=BB306_200 Depth=1
	v_ffbh_u32_e32 v3, v9
	v_min_u32_e32 v3, 32, v3
	v_subrev_nc_u32_e32 v4, 28, v3
	v_sub_nc_u32_e32 v3, 29, v3
	v_lshlrev_b64 v[55:56], v4, v[9:10]
	v_and_b32_e32 v9, 7, v55
; %bb.345:                              ;   in Loop: Header=BB306_200 Depth=1
	s_or_b32 exec_lo, exec_lo, s50
	v_lshlrev_b32_sdwa v4, v36, v1 dst_sel:DWORD dst_unused:UNUSED_PAD src0_sel:DWORD src1_sel:WORD_1
	v_lshlrev_b32_e32 v9, 20, v9
	v_lshl_add_u32 v3, v3, 23, 0x3c000000
	v_and_b32_e32 v4, 0x80000000, v4
	v_or3_b32 v45, v9, v4, v3
.LBB306_346:                            ;   in Loop: Header=BB306_200 Depth=1
	s_or_b32 exec_lo, exec_lo, s49
.LBB306_347:                            ;   in Loop: Header=BB306_200 Depth=1
	s_or_b32 exec_lo, exec_lo, s48
.LBB306_348:                            ;   in Loop: Header=BB306_200 Depth=1
	s_or_b32 exec_lo, exec_lo, s47
	s_mov_b32 s47, exec_lo
	v_cmpx_lt_u32_e32 0xffffff, v1
	s_cbranch_execz .LBB306_356
; %bb.349:                              ;   in Loop: Header=BB306_200 Depth=1
	v_cmp_ne_u32_sdwa s18, v1, v32 src0_sel:BYTE_3 src1_sel:DWORD
	v_bfrev_b32_e32 v46, 1
	s_and_saveexec_b32 s48, s18
	s_cbranch_execz .LBB306_355
; %bb.350:                              ;   in Loop: Header=BB306_200 Depth=1
	v_bfe_u32 v4, v1, 24, 7
	v_mov_b32_e32 v46, 0x7f800001
	s_mov_b32 s49, exec_lo
	v_cmpx_ne_u32_e32 0x7f, v4
	s_cbranch_execz .LBB306_354
; %bb.351:                              ;   in Loop: Header=BB306_200 Depth=1
	v_and_b32_sdwa v9, v1, v35 dst_sel:DWORD dst_unused:UNUSED_PAD src0_sel:BYTE_3 src1_sel:DWORD
	v_lshrrev_b32_e32 v3, 3, v4
	s_mov_b32 s50, exec_lo
	v_cmpx_gt_u32_e32 8, v4
; %bb.352:                              ;   in Loop: Header=BB306_200 Depth=1
	v_ffbh_u32_e32 v3, v9
	v_min_u32_e32 v3, 32, v3
	v_subrev_nc_u32_e32 v4, 28, v3
	v_sub_nc_u32_e32 v3, 29, v3
	v_lshlrev_b64 v[55:56], v4, v[9:10]
	v_and_b32_e32 v9, 7, v55
; %bb.353:                              ;   in Loop: Header=BB306_200 Depth=1
	s_or_b32 exec_lo, exec_lo, s50
	v_lshlrev_b32_sdwa v4, v36, v1 dst_sel:DWORD dst_unused:UNUSED_PAD src0_sel:DWORD src1_sel:BYTE_3
	v_lshlrev_b32_e32 v9, 20, v9
	v_lshl_add_u32 v3, v3, 23, 0x3c000000
	v_and_b32_e32 v4, 0x80000000, v4
	v_or3_b32 v46, v9, v4, v3
.LBB306_354:                            ;   in Loop: Header=BB306_200 Depth=1
	s_or_b32 exec_lo, exec_lo, s49
.LBB306_355:                            ;   in Loop: Header=BB306_200 Depth=1
	s_or_b32 exec_lo, exec_lo, s48
.LBB306_356:                            ;   in Loop: Header=BB306_200 Depth=1
	s_or_b32 exec_lo, exec_lo, s47
	v_mov_b32_e32 v9, v2
	v_cmp_ne_u16_sdwa s18, v2, v10 src0_sel:BYTE_0 src1_sel:DWORD
	v_mov_b32_e32 v3, 0
	v_mov_b32_e32 v55, 0
	s_and_saveexec_b32 s47, s18
	s_cbranch_execz .LBB306_362
; %bb.357:                              ;   in Loop: Header=BB306_200 Depth=1
	v_cmp_ne_u16_sdwa s18, v2, v32 src0_sel:BYTE_0 src1_sel:DWORD
	v_bfrev_b32_e32 v55, 1
	s_and_saveexec_b32 s48, s18
	s_cbranch_execz .LBB306_361
; %bb.358:                              ;   in Loop: Header=BB306_200 Depth=1
	v_and_b32_e32 v4, 0x7f, v2
	v_mov_b32_e32 v55, 0x7f800001
	s_mov_b32 s49, exec_lo
	v_cmpx_ne_u32_e32 0x7f, v4
	s_cbranch_execz .LBB306_360
; %bb.359:                              ;   in Loop: Header=BB306_200 Depth=1
	v_and_b32_e32 v55, 7, v2
	v_lshrrev_b32_e32 v56, 3, v4
	v_cmp_gt_u32_e64 s18, 8, v4
	v_ffbh_u32_e32 v55, v55
	v_min_u32_e32 v55, 32, v55
	v_subrev_nc_u32_e32 v57, 28, v55
	v_sub_nc_u32_e32 v55, 29, v55
	v_cndmask_b32_e64 v4, v56, v55, s18
	v_cndmask_b32_e64 v55, 0, v57, s18
	v_lshl_add_u32 v4, v4, 23, 0x3c000000
	v_lshlrev_b64 v[55:56], v55, v[9:10]
	v_lshlrev_b32_e32 v56, 24, v9
	v_lshlrev_b32_e32 v55, 20, v55
	v_and_b32_e32 v56, 0x80000000, v56
	v_and_b32_e32 v55, 0x700000, v55
	v_or3_b32 v55, v55, v56, v4
.LBB306_360:                            ;   in Loop: Header=BB306_200 Depth=1
	s_or_b32 exec_lo, exec_lo, s49
.LBB306_361:                            ;   in Loop: Header=BB306_200 Depth=1
	s_or_b32 exec_lo, exec_lo, s48
.LBB306_362:                            ;   in Loop: Header=BB306_200 Depth=1
	s_or_b32 exec_lo, exec_lo, s47
	v_cmp_ne_u16_sdwa s18, v9, v10 src0_sel:BYTE_1 src1_sel:DWORD
	s_and_saveexec_b32 s47, s18
	s_cbranch_execz .LBB306_370
; %bb.363:                              ;   in Loop: Header=BB306_200 Depth=1
	v_cmp_ne_u16_sdwa s18, v9, v32 src0_sel:BYTE_1 src1_sel:DWORD
	v_bfrev_b32_e32 v3, 1
	s_and_saveexec_b32 s48, s18
	s_cbranch_execz .LBB306_369
; %bb.364:                              ;   in Loop: Header=BB306_200 Depth=1
	v_and_b32_sdwa v4, v33, v9 dst_sel:DWORD dst_unused:UNUSED_PAD src0_sel:DWORD src1_sel:BYTE_1
	v_mov_b32_e32 v3, 0x7f800001
	s_mov_b32 s49, exec_lo
	v_and_b32_e32 v57, 0x7f, v4
	v_cmpx_ne_u32_e32 0x7f, v57
	s_cbranch_execz .LBB306_368
; %bb.365:                              ;   in Loop: Header=BB306_200 Depth=1
	v_and_b32_e32 v3, 7, v4
	v_mov_b32_e32 v4, v10
	v_lshrrev_b32_e32 v56, 3, v57
	s_mov_b32 s50, exec_lo
	v_cmpx_gt_u32_e32 8, v57
; %bb.366:                              ;   in Loop: Header=BB306_200 Depth=1
	v_ffbh_u32_e32 v56, v3
	v_min_u32_e32 v56, 32, v56
	v_subrev_nc_u32_e32 v57, 28, v56
	v_sub_nc_u32_e32 v56, 29, v56
	v_lshlrev_b64 v[3:4], v57, v[3:4]
	v_and_b32_e32 v3, 7, v3
; %bb.367:                              ;   in Loop: Header=BB306_200 Depth=1
	s_or_b32 exec_lo, exec_lo, s50
	v_lshlrev_b32_e32 v4, 16, v9
	v_lshlrev_b32_e32 v3, 20, v3
	v_lshl_add_u32 v9, v56, 23, 0x3c000000
	v_and_b32_e32 v4, 0x80000000, v4
	v_or3_b32 v3, v3, v4, v9
.LBB306_368:                            ;   in Loop: Header=BB306_200 Depth=1
	s_or_b32 exec_lo, exec_lo, s49
.LBB306_369:                            ;   in Loop: Header=BB306_200 Depth=1
	s_or_b32 exec_lo, exec_lo, s48
.LBB306_370:                            ;   in Loop: Header=BB306_200 Depth=1
	s_or_b32 exec_lo, exec_lo, s47
	v_and_b32_sdwa v9, v2, v34 dst_sel:DWORD dst_unused:UNUSED_PAD src0_sel:WORD_1 src1_sel:DWORD
	v_mov_b32_e32 v4, 0
	v_mov_b32_e32 v56, 0
	s_mov_b32 s47, exec_lo
	v_cmpx_ne_u16_e32 0, v9
	s_cbranch_execz .LBB306_378
; %bb.371:                              ;   in Loop: Header=BB306_200 Depth=1
	v_bfrev_b32_e32 v56, 1
	s_mov_b32 s48, exec_lo
	v_cmpx_ne_u16_e32 0x80, v9
	s_cbranch_execz .LBB306_377
; %bb.372:                              ;   in Loop: Header=BB306_200 Depth=1
	v_bfe_u32 v57, v2, 16, 7
	v_mov_b32_e32 v56, 0x7f800001
	s_mov_b32 s49, exec_lo
	v_cmpx_ne_u32_e32 0x7f, v57
	s_cbranch_execz .LBB306_376
; %bb.373:                              ;   in Loop: Header=BB306_200 Depth=1
	v_and_b32_sdwa v9, v2, v35 dst_sel:DWORD dst_unused:UNUSED_PAD src0_sel:WORD_1 src1_sel:DWORD
	v_lshrrev_b32_e32 v56, 3, v57
	s_mov_b32 s50, exec_lo
	v_cmpx_gt_u32_e32 8, v57
; %bb.374:                              ;   in Loop: Header=BB306_200 Depth=1
	v_ffbh_u32_e32 v56, v9
	v_min_u32_e32 v56, 32, v56
	v_subrev_nc_u32_e32 v57, 28, v56
	v_sub_nc_u32_e32 v56, 29, v56
	v_lshlrev_b64 v[57:58], v57, v[9:10]
	v_and_b32_e32 v9, 7, v57
; %bb.375:                              ;   in Loop: Header=BB306_200 Depth=1
	s_or_b32 exec_lo, exec_lo, s50
	v_lshlrev_b32_sdwa v57, v36, v2 dst_sel:DWORD dst_unused:UNUSED_PAD src0_sel:DWORD src1_sel:WORD_1
	v_lshlrev_b32_e32 v9, 20, v9
	v_lshl_add_u32 v56, v56, 23, 0x3c000000
	v_and_b32_e32 v57, 0x80000000, v57
	v_or3_b32 v56, v9, v57, v56
.LBB306_376:                            ;   in Loop: Header=BB306_200 Depth=1
	s_or_b32 exec_lo, exec_lo, s49
.LBB306_377:                            ;   in Loop: Header=BB306_200 Depth=1
	s_or_b32 exec_lo, exec_lo, s48
.LBB306_378:                            ;   in Loop: Header=BB306_200 Depth=1
	s_or_b32 exec_lo, exec_lo, s47
	s_mov_b32 s47, exec_lo
	v_cmpx_lt_u64_e64 s[30:31], v[1:2]
	s_cbranch_execz .LBB306_386
; %bb.379:                              ;   in Loop: Header=BB306_200 Depth=1
	v_cmp_ne_u32_sdwa s18, v2, v32 src0_sel:BYTE_3 src1_sel:DWORD
	v_bfrev_b32_e32 v4, 1
	s_and_saveexec_b32 s48, s18
	s_cbranch_execz .LBB306_385
; %bb.380:                              ;   in Loop: Header=BB306_200 Depth=1
	v_bfe_u32 v57, v2, 24, 7
	v_mov_b32_e32 v4, 0x7f800001
	s_mov_b32 s49, exec_lo
	v_cmpx_ne_u32_e32 0x7f, v57
	s_cbranch_execz .LBB306_384
; %bb.381:                              ;   in Loop: Header=BB306_200 Depth=1
	v_and_b32_sdwa v9, v2, v35 dst_sel:DWORD dst_unused:UNUSED_PAD src0_sel:BYTE_3 src1_sel:DWORD
	v_lshrrev_b32_e32 v1, 3, v57
	s_mov_b32 s50, exec_lo
	v_cmpx_gt_u32_e32 8, v57
; %bb.382:                              ;   in Loop: Header=BB306_200 Depth=1
	v_ffbh_u32_e32 v1, v9
	v_min_u32_e32 v1, 32, v1
	v_subrev_nc_u32_e32 v4, 28, v1
	v_sub_nc_u32_e32 v1, 29, v1
	v_lshlrev_b64 v[57:58], v4, v[9:10]
	v_and_b32_e32 v9, 7, v57
; %bb.383:                              ;   in Loop: Header=BB306_200 Depth=1
	s_or_b32 exec_lo, exec_lo, s50
	v_lshlrev_b32_sdwa v2, v36, v2 dst_sel:DWORD dst_unused:UNUSED_PAD src0_sel:DWORD src1_sel:BYTE_3
	v_lshlrev_b32_e32 v4, 20, v9
	v_lshl_add_u32 v1, v1, 23, 0x3c000000
	v_and_b32_e32 v2, 0x80000000, v2
	v_or3_b32 v4, v4, v2, v1
.LBB306_384:                            ;   in Loop: Header=BB306_200 Depth=1
	s_or_b32 exec_lo, exec_lo, s49
.LBB306_385:                            ;   in Loop: Header=BB306_200 Depth=1
	s_or_b32 exec_lo, exec_lo, s48
.LBB306_386:                            ;   in Loop: Header=BB306_200 Depth=1
	s_or_b32 exec_lo, exec_lo, s47
	v_mul_f32_e32 v1, s45, v3
	v_mul_f32_e32 v2, s45, v55
	;; [unrolled: 1-line block ×5, first 2 shown]
	v_bfe_u32 v9, v1, 16, 1
	v_or_b32_e32 v46, 0x400000, v1
	v_bfe_u32 v55, v2, 16, 1
	v_cmp_u_f32_e64 s18, v1, v1
	v_or_b32_e32 v57, 0x400000, v2
	v_add3_u32 v9, v9, v1, 0x7fff
	v_bfe_u32 v58, v3, 16, 1
	v_add3_u32 v55, v55, v2, 0x7fff
	v_or_b32_e32 v59, 0x400000, v3
	v_bfe_u32 v60, v45, 16, 1
	v_cndmask_b32_e64 v1, v9, v46, s18
	v_cmp_u_f32_e64 s18, v2, v2
	v_add3_u32 v58, v58, v3, 0x7fff
	v_mul_f32_e32 v13, s45, v13
	v_add3_u32 v46, v60, v45, 0x7fff
	v_lshrrev_b32_e32 v2, 16, v1
	v_cndmask_b32_e64 v9, v55, v57, s18
	v_cmp_u_f32_e64 s18, v3, v3
	v_or_b32_e32 v55, 0x400000, v45
	v_mul_f32_e32 v4, s45, v4
	v_lshrrev_b32_e32 v1, 16, v9
	v_cndmask_b32_e64 v3, v58, v59, s18
	v_cmp_u_f32_e64 s18, v45, v45
	v_or_b32_e32 v59, 0x400000, v4
	v_lshrrev_b32_e32 v9, 16, v3
	v_bfe_u32 v3, v14, 16, 1
	v_cndmask_b32_e64 v45, v46, v55, s18
	v_mul_f32_e32 v46, s45, v56
	v_or_b32_e32 v55, 0x400000, v14
	v_bfe_u32 v56, v13, 16, 1
	v_add3_u32 v3, v3, v14, 0x7fff
	v_cmp_u_f32_e64 s18, v14, v14
	v_bfe_u32 v57, v46, 16, 1
	v_bfe_u32 v14, v4, 16, 1
	v_or_b32_e32 v58, 0x400000, v46
	v_cndmask_b32_e64 v3, v3, v55, s18
	v_add3_u32 v55, v56, v13, 0x7fff
	v_or_b32_e32 v56, 0x400000, v13
	v_cmp_u_f32_e64 s18, v13, v13
	v_add3_u32 v57, v57, v46, 0x7fff
	v_add3_u32 v14, v14, v4, 0x7fff
	v_lshrrev_b32_e32 v13, 16, v45
	v_lshrrev_b32_e32 v45, 16, v3
	v_cndmask_b32_e64 v55, v55, v56, s18
	v_cmp_u_f32_e64 s18, v46, v46
	v_cndmask_b32_e64 v46, v57, v58, s18
	v_cmp_u_f32_e64 s18, v4, v4
	v_lshrrev_b32_e32 v3, 16, v46
	v_cndmask_b32_e64 v4, v14, v59, s18
	v_lshrrev_b32_e32 v14, 16, v55
	v_lshrrev_b32_e32 v4, 16, v4
	s_and_saveexec_b32 s18, s0
	s_cbranch_execz .LBB306_197
; %bb.387:                              ;   in Loop: Header=BB306_200 Depth=1
	v_add_nc_u32_e32 v46, 1, v22
	v_cmp_gt_i32_e64 s0, s25, v22
	v_add_nc_u32_e32 v55, 2, v22
	v_add_nc_u32_e32 v56, 3, v22
	v_cndmask_b32_e64 v14, 0, v14, s0
	v_cmp_gt_i32_e64 s0, s25, v46
	v_add_nc_u32_e32 v46, 4, v22
	v_cndmask_b32_e64 v45, 0, v45, s0
	v_cmp_gt_i32_e64 s0, s25, v55
	;; [unrolled: 3-line block ×5, first 2 shown]
	v_cndmask_b32_e64 v2, 0, v2, s0
	v_cmp_gt_i32_e64 s0, s25, v56
	v_cndmask_b32_e64 v3, 0, v3, s0
	v_cmp_gt_i32_e64 s0, s25, v46
	v_cndmask_b32_e64 v4, 0, v4, s0
	s_branch .LBB306_197
.LBB306_388:
	s_or_b32 exec_lo, exec_lo, s43
.LBB306_389:
	s_or_b32 exec_lo, exec_lo, s35
	s_movk_i32 s0, 0x140
	v_and_b32_e32 v2, 0x3c0, v0
	v_mad_u32_u24 v1, v21, s0, 0xc0
	s_mov_b32 s0, exec_lo
	s_barrier
	buffer_gl0_inv
	v_cmpx_eq_u32_e32 64, v2
	s_cbranch_execz .LBB306_392
; %bb.390:
	v_add_nc_u32_e32 v2, 0xfffffd80, v1
	v_cmp_gt_u32_e32 vcc_lo, 0x50, v28
	v_lshl_add_u32 v3, v23, 2, v2
	ds_write2_b32 v3, v27, v26 offset1:32
	s_and_b32 exec_lo, exec_lo, vcc_lo
; %bb.391:
	v_lshl_add_u32 v2, v28, 2, v2
	ds_write_b32 v2, v25
.LBB306_392:
	s_or_b32 exec_lo, exec_lo, s0
	v_lshl_add_u32 v3, v23, 2, v1
	s_mov_b32 s0, exec_lo
	s_waitcnt lgkmcnt(0)
	s_barrier
	buffer_gl0_inv
	v_cmpx_gt_u32_e32 64, v0
	s_cbranch_execz .LBB306_396
; %bb.393:
	v_lshl_or_b32 v2, v0, 2, 0x80
	s_mov_b32 s1, exec_lo
	v_add_nc_u32_e32 v4, v1, v2
	ds_read_b32 v2, v3
	ds_read_b32 v4, v4
	v_cmpx_gt_u32_e32 0x50, v28
	s_cbranch_execz .LBB306_395
; %bb.394:
	ds_read_b32 v5, v3 offset:256
	s_waitcnt lgkmcnt(0)
	v_add_f32_e32 v25, v25, v5
.LBB306_395:
	s_or_b32 exec_lo, exec_lo, s1
	s_waitcnt lgkmcnt(1)
	v_add_f32_e32 v27, v27, v2
	s_waitcnt lgkmcnt(0)
	v_add_f32_e32 v26, v26, v4
.LBB306_396:
	s_or_b32 exec_lo, exec_lo, s0
	v_and_b32_e32 v2, 0x3e0, v0
	s_mov_b32 s0, exec_lo
	s_barrier
	buffer_gl0_inv
	v_cmpx_eq_u32_e32 32, v2
	s_cbranch_execz .LBB306_399
; %bb.397:
	v_lshl_add_u32 v2, v23, 2, 0xc0
	v_cmp_gt_u32_e32 vcc_lo, 0x50, v28
	ds_write_b32 v2, v27
	ds_write_b32 v24, v26
	s_and_b32 exec_lo, exec_lo, vcc_lo
; %bb.398:
	ds_write_b32 v2, v25 offset:256
.LBB306_399:
	s_or_b32 exec_lo, exec_lo, s0
	v_cmp_gt_u32_e32 vcc_lo, 32, v0
	v_or_b32_e32 v2, 64, v0
	s_waitcnt lgkmcnt(0)
	s_barrier
	buffer_gl0_inv
	s_and_saveexec_b32 s1, vcc_lo
	s_cbranch_execz .LBB306_403
; %bb.400:
	v_lshl_add_u32 v4, v0, 2, v1
	s_mov_b32 s2, exec_lo
	ds_read_b32 v1, v3
	ds_read_b32 v3, v4 offset:128
	v_cmpx_gt_u32_e32 0x50, v2
	s_cbranch_execz .LBB306_402
; %bb.401:
	ds_read_b32 v4, v4 offset:256
	s_waitcnt lgkmcnt(0)
	v_add_f32_e32 v25, v25, v4
.LBB306_402:
	s_or_b32 exec_lo, exec_lo, s2
	s_waitcnt lgkmcnt(1)
	v_add_f32_e32 v27, v27, v1
	s_waitcnt lgkmcnt(0)
	v_add_f32_e32 v26, v26, v3
.LBB306_403:
	s_or_b32 exec_lo, exec_lo, s1
	s_barrier
	buffer_gl0_inv
	s_and_saveexec_b32 s0, vcc_lo
	s_cbranch_execz .LBB306_406
; %bb.404:
	s_mul_i32 s0, s24, s19
	v_bfe_u32 v1, v27, 16, 1
	s_mul_i32 s0, s0, s33
	v_or_b32_e32 v3, 0x400000, v27
	s_mulk_i32 s0, 0x50
	v_bfe_u32 v4, v26, 16, 1
	s_ashr_i32 s1, s0, 31
	v_add3_u32 v1, v1, v27, 0x7fff
	s_lshl_b64 s[0:1], s[0:1], 1
	v_cmp_u_f32_e32 vcc_lo, v27, v27
	s_mul_i32 s2, s19, s26
	s_add_u32 s5, s28, s0
	s_addc_u32 s6, s29, s1
	s_ashr_i32 s3, s2, 31
	v_add3_u32 v4, v4, v26, 0x7fff
	s_lshl_b64 s[0:1], s[2:3], 1
	v_or_b32_e32 v5, 0x400000, v26
	v_cndmask_b32_e32 v1, v1, v3, vcc_lo
	v_cmp_u_f32_e32 vcc_lo, v26, v26
	s_mul_i32 s4, s8, 0x50
	s_add_u32 s2, s5, s0
	s_addc_u32 s3, s6, s1
	s_ashr_i32 s5, s4, 31
	v_lshlrev_b32_e32 v0, 1, v0
	s_lshl_b64 s[0:1], s[4:5], 1
	v_cndmask_b32_e32 v3, v4, v5, vcc_lo
	v_cmp_gt_u32_e32 vcc_lo, 0x50, v2
	s_add_u32 s0, s2, s0
	s_addc_u32 s1, s3, s1
	global_store_short_d16_hi v0, v1, s[0:1]
	global_store_short_d16_hi v0, v3, s[0:1] offset:64
	s_and_b32 exec_lo, exec_lo, vcc_lo
	s_cbranch_execz .LBB306_406
; %bb.405:
	v_bfe_u32 v1, v25, 16, 1
	v_or_b32_e32 v2, 0x400000, v25
	v_cmp_u_f32_e32 vcc_lo, v25, v25
	v_add_co_u32 v0, s0, s0, v0
	v_add3_u32 v3, v1, v25, 0x7fff
	v_add_co_ci_u32_e64 v1, null, s1, 0, s0
	v_cndmask_b32_e32 v2, v3, v2, vcc_lo
	global_store_short_d16_hi v[0:1], v2, off offset:128
.LBB306_406:
	s_endpgm
	.section	.rodata,"a",@progbits
	.p2align	6, 0x0
	.amdhsa_kernel _ZN4vllm25paged_attention_v1_kernelI14__hip_bfloat16hLi80ELi8ELi128ELNS_18Fp8KVCacheDataTypeE1ELb1EEEvPT_PKS3_PKT0_S9_ifPKiSB_iPKfiiiSD_SD_iiiii
		.amdhsa_group_segment_fixed_size 192
		.amdhsa_private_segment_fixed_size 0
		.amdhsa_kernarg_size 384
		.amdhsa_user_sgpr_count 6
		.amdhsa_user_sgpr_private_segment_buffer 1
		.amdhsa_user_sgpr_dispatch_ptr 0
		.amdhsa_user_sgpr_queue_ptr 0
		.amdhsa_user_sgpr_kernarg_segment_ptr 1
		.amdhsa_user_sgpr_dispatch_id 0
		.amdhsa_user_sgpr_flat_scratch_init 0
		.amdhsa_user_sgpr_private_segment_size 0
		.amdhsa_wavefront_size32 1
		.amdhsa_uses_dynamic_stack 0
		.amdhsa_system_sgpr_private_segment_wavefront_offset 0
		.amdhsa_system_sgpr_workgroup_id_x 1
		.amdhsa_system_sgpr_workgroup_id_y 1
		.amdhsa_system_sgpr_workgroup_id_z 1
		.amdhsa_system_sgpr_workgroup_info 0
		.amdhsa_system_vgpr_workitem_id 0
		.amdhsa_next_free_vgpr 61
		.amdhsa_next_free_sgpr 51
		.amdhsa_reserve_vcc 1
		.amdhsa_reserve_flat_scratch 0
		.amdhsa_float_round_mode_32 0
		.amdhsa_float_round_mode_16_64 0
		.amdhsa_float_denorm_mode_32 3
		.amdhsa_float_denorm_mode_16_64 3
		.amdhsa_dx10_clamp 1
		.amdhsa_ieee_mode 1
		.amdhsa_fp16_overflow 0
		.amdhsa_workgroup_processor_mode 1
		.amdhsa_memory_ordered 1
		.amdhsa_forward_progress 1
		.amdhsa_shared_vgpr_count 0
		.amdhsa_exception_fp_ieee_invalid_op 0
		.amdhsa_exception_fp_denorm_src 0
		.amdhsa_exception_fp_ieee_div_zero 0
		.amdhsa_exception_fp_ieee_overflow 0
		.amdhsa_exception_fp_ieee_underflow 0
		.amdhsa_exception_fp_ieee_inexact 0
		.amdhsa_exception_int_div_zero 0
	.end_amdhsa_kernel
	.section	.text._ZN4vllm25paged_attention_v1_kernelI14__hip_bfloat16hLi80ELi8ELi128ELNS_18Fp8KVCacheDataTypeE1ELb1EEEvPT_PKS3_PKT0_S9_ifPKiSB_iPKfiiiSD_SD_iiiii,"axG",@progbits,_ZN4vllm25paged_attention_v1_kernelI14__hip_bfloat16hLi80ELi8ELi128ELNS_18Fp8KVCacheDataTypeE1ELb1EEEvPT_PKS3_PKT0_S9_ifPKiSB_iPKfiiiSD_SD_iiiii,comdat
.Lfunc_end306:
	.size	_ZN4vllm25paged_attention_v1_kernelI14__hip_bfloat16hLi80ELi8ELi128ELNS_18Fp8KVCacheDataTypeE1ELb1EEEvPT_PKS3_PKT0_S9_ifPKiSB_iPKfiiiSD_SD_iiiii, .Lfunc_end306-_ZN4vllm25paged_attention_v1_kernelI14__hip_bfloat16hLi80ELi8ELi128ELNS_18Fp8KVCacheDataTypeE1ELb1EEEvPT_PKS3_PKT0_S9_ifPKiSB_iPKfiiiSD_SD_iiiii
                                        ; -- End function
	.set _ZN4vllm25paged_attention_v1_kernelI14__hip_bfloat16hLi80ELi8ELi128ELNS_18Fp8KVCacheDataTypeE1ELb1EEEvPT_PKS3_PKT0_S9_ifPKiSB_iPKfiiiSD_SD_iiiii.num_vgpr, 61
	.set _ZN4vllm25paged_attention_v1_kernelI14__hip_bfloat16hLi80ELi8ELi128ELNS_18Fp8KVCacheDataTypeE1ELb1EEEvPT_PKS3_PKT0_S9_ifPKiSB_iPKfiiiSD_SD_iiiii.num_agpr, 0
	.set _ZN4vllm25paged_attention_v1_kernelI14__hip_bfloat16hLi80ELi8ELi128ELNS_18Fp8KVCacheDataTypeE1ELb1EEEvPT_PKS3_PKT0_S9_ifPKiSB_iPKfiiiSD_SD_iiiii.numbered_sgpr, 51
	.set _ZN4vllm25paged_attention_v1_kernelI14__hip_bfloat16hLi80ELi8ELi128ELNS_18Fp8KVCacheDataTypeE1ELb1EEEvPT_PKS3_PKT0_S9_ifPKiSB_iPKfiiiSD_SD_iiiii.num_named_barrier, 0
	.set _ZN4vllm25paged_attention_v1_kernelI14__hip_bfloat16hLi80ELi8ELi128ELNS_18Fp8KVCacheDataTypeE1ELb1EEEvPT_PKS3_PKT0_S9_ifPKiSB_iPKfiiiSD_SD_iiiii.private_seg_size, 0
	.set _ZN4vllm25paged_attention_v1_kernelI14__hip_bfloat16hLi80ELi8ELi128ELNS_18Fp8KVCacheDataTypeE1ELb1EEEvPT_PKS3_PKT0_S9_ifPKiSB_iPKfiiiSD_SD_iiiii.uses_vcc, 1
	.set _ZN4vllm25paged_attention_v1_kernelI14__hip_bfloat16hLi80ELi8ELi128ELNS_18Fp8KVCacheDataTypeE1ELb1EEEvPT_PKS3_PKT0_S9_ifPKiSB_iPKfiiiSD_SD_iiiii.uses_flat_scratch, 0
	.set _ZN4vllm25paged_attention_v1_kernelI14__hip_bfloat16hLi80ELi8ELi128ELNS_18Fp8KVCacheDataTypeE1ELb1EEEvPT_PKS3_PKT0_S9_ifPKiSB_iPKfiiiSD_SD_iiiii.has_dyn_sized_stack, 0
	.set _ZN4vllm25paged_attention_v1_kernelI14__hip_bfloat16hLi80ELi8ELi128ELNS_18Fp8KVCacheDataTypeE1ELb1EEEvPT_PKS3_PKT0_S9_ifPKiSB_iPKfiiiSD_SD_iiiii.has_recursion, 0
	.set _ZN4vllm25paged_attention_v1_kernelI14__hip_bfloat16hLi80ELi8ELi128ELNS_18Fp8KVCacheDataTypeE1ELb1EEEvPT_PKS3_PKT0_S9_ifPKiSB_iPKfiiiSD_SD_iiiii.has_indirect_call, 0
	.section	.AMDGPU.csdata,"",@progbits
; Kernel info:
; codeLenInByte = 16788
; TotalNumSgprs: 53
; NumVgprs: 61
; ScratchSize: 0
; MemoryBound: 0
; FloatMode: 240
; IeeeMode: 1
; LDSByteSize: 192 bytes/workgroup (compile time only)
; SGPRBlocks: 0
; VGPRBlocks: 7
; NumSGPRsForWavesPerEU: 53
; NumVGPRsForWavesPerEU: 61
; Occupancy: 16
; WaveLimiterHint : 1
; COMPUTE_PGM_RSRC2:SCRATCH_EN: 0
; COMPUTE_PGM_RSRC2:USER_SGPR: 6
; COMPUTE_PGM_RSRC2:TRAP_HANDLER: 0
; COMPUTE_PGM_RSRC2:TGID_X_EN: 1
; COMPUTE_PGM_RSRC2:TGID_Y_EN: 1
; COMPUTE_PGM_RSRC2:TGID_Z_EN: 1
; COMPUTE_PGM_RSRC2:TIDIG_COMP_CNT: 0
	.section	.text._ZN4vllm25paged_attention_v1_kernelI14__hip_bfloat16hLi96ELi8ELi128ELNS_18Fp8KVCacheDataTypeE1ELb1EEEvPT_PKS3_PKT0_S9_ifPKiSB_iPKfiiiSD_SD_iiiii,"axG",@progbits,_ZN4vllm25paged_attention_v1_kernelI14__hip_bfloat16hLi96ELi8ELi128ELNS_18Fp8KVCacheDataTypeE1ELb1EEEvPT_PKS3_PKT0_S9_ifPKiSB_iPKfiiiSD_SD_iiiii,comdat
	.protected	_ZN4vllm25paged_attention_v1_kernelI14__hip_bfloat16hLi96ELi8ELi128ELNS_18Fp8KVCacheDataTypeE1ELb1EEEvPT_PKS3_PKT0_S9_ifPKiSB_iPKfiiiSD_SD_iiiii ; -- Begin function _ZN4vllm25paged_attention_v1_kernelI14__hip_bfloat16hLi96ELi8ELi128ELNS_18Fp8KVCacheDataTypeE1ELb1EEEvPT_PKS3_PKT0_S9_ifPKiSB_iPKfiiiSD_SD_iiiii
	.globl	_ZN4vllm25paged_attention_v1_kernelI14__hip_bfloat16hLi96ELi8ELi128ELNS_18Fp8KVCacheDataTypeE1ELb1EEEvPT_PKS3_PKT0_S9_ifPKiSB_iPKfiiiSD_SD_iiiii
	.p2align	8
	.type	_ZN4vllm25paged_attention_v1_kernelI14__hip_bfloat16hLi96ELi8ELi128ELNS_18Fp8KVCacheDataTypeE1ELb1EEEvPT_PKS3_PKT0_S9_ifPKiSB_iPKfiiiSD_SD_iiiii,@function
_ZN4vllm25paged_attention_v1_kernelI14__hip_bfloat16hLi96ELi8ELi128ELNS_18Fp8KVCacheDataTypeE1ELb1EEEvPT_PKS3_PKT0_S9_ifPKiSB_iPKfiiiSD_SD_iiiii: ; @_ZN4vllm25paged_attention_v1_kernelI14__hip_bfloat16hLi96ELi8ELi128ELNS_18Fp8KVCacheDataTypeE1ELb1EEEvPT_PKS3_PKT0_S9_ifPKiSB_iPKfiiiSD_SD_iiiii
; %bb.0:
	s_clause 0x2
	s_load_dword s9, s[4:5], 0x80
	s_load_dwordx2 s[0:1], s[4:5], 0x30
	s_load_dwordx2 s[34:35], s[4:5], 0x20
	s_mov_b32 s10, s7
	s_ashr_i32 s11, s7, 31
	s_mov_b32 s36, 0
	s_lshl_b64 s[2:3], s[10:11], 2
	s_waitcnt lgkmcnt(0)
	s_add_u32 s0, s0, s2
	s_addc_u32 s1, s1, s3
	s_abs_i32 s2, s34
	s_abs_i32 s11, s9
	v_cvt_f32_u32_e32 v1, s2
	s_sub_i32 s7, 0, s2
	v_rcp_iflag_f32_e32 v1, v1
	v_mul_f32_e32 v1, 0x4f7ffffe, v1
	v_cvt_u32_f32_e32 v1, v1
	v_readfirstlane_b32 s3, v1
	s_mul_i32 s7, s7, s3
	s_mul_hi_u32 s7, s3, s7
	s_add_i32 s3, s3, s7
	s_xor_b32 s7, s9, s34
	s_mul_hi_u32 s3, s11, s3
	s_ashr_i32 s7, s7, 31
	s_mul_i32 s12, s3, s2
	s_sub_i32 s11, s11, s12
	s_add_i32 s12, s3, 1
	s_sub_i32 s13, s11, s2
	s_cmp_ge_u32 s11, s2
	s_cselect_b32 s3, s12, s3
	s_cselect_b32 s11, s13, s11
	s_add_i32 s12, s3, 1
	s_cmp_ge_u32 s11, s2
	s_cselect_b32 s2, s12, s3
	s_abs_i32 s13, s6
	s_xor_b32 s2, s2, s7
	s_sub_i32 s15, s2, s7
	s_load_dwordx2 s[2:3], s[4:5], 0x40
	s_abs_i32 s12, s15
	v_cvt_f32_u32_e32 v1, s12
	s_sub_i32 s11, 0, s12
	v_rcp_iflag_f32_e32 v1, v1
	v_mul_f32_e32 v1, 0x4f7ffffe, v1
	v_cvt_u32_f32_e32 v1, v1
	v_readfirstlane_b32 s7, v1
	s_mul_i32 s11, s11, s7
	s_mul_hi_u32 s11, s7, s11
	s_add_i32 s7, s7, s11
	s_waitcnt lgkmcnt(0)
	s_cmp_eq_u64 s[2:3], 0
	s_mul_hi_u32 s14, s13, s7
	s_cbranch_scc1 .LBB307_2
; %bb.1:
	s_ashr_i32 s7, s6, 31
	s_lshl_b64 s[16:17], s[6:7], 2
	s_add_u32 s2, s2, s16
	s_addc_u32 s3, s3, s17
	s_load_dword s36, s[2:3], 0x0
.LBB307_2:
	s_load_dword s11, s[0:1], 0x0
	s_load_dwordx4 s[16:19], s[4:5], 0x48
	v_and_b32_e32 v1, 3, v0
	s_ashr_i32 s0, s6, 31
	s_ashr_i32 s1, s15, 31
	s_mul_i32 s24, s6, 0x60
	s_mov_b32 s2, exec_lo
	v_cmpx_gt_u32_e32 48, v0
	s_cbranch_execz .LBB307_4
; %bb.3:
	s_load_dwordx2 s[20:21], s[4:5], 0x8
	s_waitcnt lgkmcnt(0)
	s_mul_i32 s22, s16, s10
	v_lshlrev_b32_e32 v2, 2, v0
	s_ashr_i32 s23, s22, 31
	v_and_b32_e32 v3, 0x3fc, v0
	s_lshl_b64 s[22:23], s[22:23], 1
	v_mad_u32_u24 v3, v1, 48, v3
	s_add_u32 s3, s20, s22
	s_addc_u32 s7, s21, s23
	s_ashr_i32 s25, s24, 31
	s_lshl_b64 s[20:21], s[24:25], 1
	s_add_u32 s20, s3, s20
	s_addc_u32 s21, s7, s21
	global_load_dword v2, v2, s[20:21]
	s_waitcnt vmcnt(0)
	ds_write_b32 v3, v2
.LBB307_4:
	s_or_b32 exec_lo, exec_lo, s2
	s_load_dwordx4 s[20:23], s[4:5], 0x68
	s_mul_i32 s2, s14, s12
	s_xor_b32 s1, s0, s1
	s_sub_i32 s0, s13, s2
	s_add_i32 s2, s14, 1
	s_sub_i32 s3, s0, s12
	s_cmp_ge_u32 s0, s12
	s_mov_b32 s13, -1
	s_cselect_b32 s2, s2, s14
	s_cselect_b32 s0, s3, s0
	s_add_i32 s3, s2, 1
	s_cmp_ge_u32 s0, s12
	s_load_dword s0, s[4:5], 0x78
	s_cselect_b32 s2, s3, s2
	s_waitcnt lgkmcnt(0)
	s_add_i32 s7, s11, -1
	s_xor_b32 s2, s2, s1
	s_abs_i32 s3, s7
	s_sub_i32 s1, s2, s1
	s_barrier
	s_abs_i32 s19, s23
	buffer_gl0_inv
	v_cvt_f32_u32_e32 v2, s19
	s_sub_i32 s2, 0, s19
                                        ; implicit-def: $sgpr33
	v_rcp_iflag_f32_e32 v2, v2
	v_mul_f32_e32 v2, 0x4f7ffffe, v2
	v_cvt_u32_f32_e32 v2, v2
	v_readfirstlane_b32 s25, v2
	s_mul_i32 s2, s2, s25
	s_mul_hi_u32 s2, s25, s2
	s_add_i32 s25, s25, s2
	s_cmp_lt_i32 s0, 0
	s_mul_hi_u32 s2, s3, s25
	s_cbranch_scc0 .LBB307_6
; %bb.5:
	s_mul_i32 s12, s20, s34
	s_mov_b32 s13, 0
	s_add_i32 s12, s1, s12
	s_mul_i32 s12, s12, s0
	s_sub_i32 s33, 1, s12
.LBB307_6:
	s_load_dwordx2 s[26:27], s[4:5], 0x28
	s_ashr_i32 s12, s7, 31
	s_andn2_b32 vcc_lo, exec_lo, s13
	s_ashr_i32 s23, s23, 31
	s_cbranch_vccnz .LBB307_8
; %bb.7:
	s_mul_i32 s7, s9, s20
	s_add_i32 s6, s7, s6
	s_mul_i32 s0, s6, s0
	s_add_i32 s33, s0, 1
.LBB307_8:
	s_clause 0x2
	s_load_dword s0, s[4:5], 0x38
	s_load_dwordx2 s[6:7], s[4:5], 0x0
	s_load_dwordx2 s[30:31], s[4:5], 0x18
	s_xor_b32 s34, s12, s23
	s_mul_i32 s12, s2, s19
	s_add_i32 s20, s2, 1
	s_sub_i32 s3, s3, s12
	s_clause 0x1
	s_load_dword s16, s[4:5], 0x88
	s_load_dwordx4 s[12:15], s[4:5], 0x58
	v_lshrrev_b32_e32 v21, 5, v0
	v_mov_b32_e32 v25, 0xff7fffff
	v_lshrrev_b32_e32 v27, 3, v0
	v_mbcnt_lo_u32_b32 v24, -1, 0
	s_mul_i32 s18, s1, s18
	v_lshlrev_b32_e32 v22, 3, v21
	s_waitcnt lgkmcnt(0)
	s_mul_i32 s28, s0, s10
	s_sub_i32 s0, s3, s19
	s_ashr_i32 s29, s28, 31
	s_cmp_ge_u32 s3, s19
	s_cselect_b32 s2, s20, s2
	s_cselect_b32 s0, s0, s3
	s_add_i32 s3, s2, 1
	s_cmp_ge_u32 s0, s19
	s_cselect_b32 s0, s3, s2
	s_add_i32 s2, s11, 7
	s_ashr_i32 s3, s2, 31
	s_lshr_b32 s3, s3, 29
	s_add_i32 s2, s2, s3
	s_ashr_i32 s20, s2, 3
	s_xor_b32 s2, s0, s34
	v_cmp_gt_i32_e64 s0, s20, v21
	s_sub_i32 s34, s2, s34
	s_and_saveexec_b32 s37, s0
	s_cbranch_execz .LBB307_212
; %bb.9:
	s_load_dwordx2 s[2:3], s[4:5], 0x10
	s_sub_i32 s4, s34, s21
	s_ashr_i32 s1, s18, 31
	v_bfe_u32 v23, v0, 2, 3
	v_cmp_eq_u32_e32 vcc_lo, 0, v1
	v_lshlrev_b32_e32 v3, 1, v1
	v_mul_u32_u24_e32 v26, 48, v1
	v_and_b32_e32 v1, 0x7c, v27
	v_lshlrev_b32_e32 v4, 2, v23
	v_subrev_nc_u32_e32 v5, s11, v23
	v_lshlrev_b32_e32 v6, 4, v23
	v_mov_b32_e32 v14, 0
	v_lshlrev_b32_e32 v28, 3, v21
	v_lshl_or_b32 v4, v21, 5, v4
	v_add_nc_u32_e32 v32, 1, v5
	v_mov_b32_e32 v29, 0xff7fffff
	v_mov_b32_e32 v30, 0x80
	;; [unrolled: 1-line block ×3, first 2 shown]
	v_add_nc_u32_e32 v33, 0xe0, v4
	v_mov_b32_e32 v25, 0xff7fffff
	s_waitcnt lgkmcnt(0)
	s_add_u32 s38, s2, s18
	s_addc_u32 s39, s3, s1
	s_abs_i32 s5, s22
	v_add_co_u32 v5, s38, s38, v6
	v_cvt_f32_u32_e32 v2, s5
	s_sub_i32 s2, 0, s5
	v_add_co_ci_u32_e64 v6, null, s39, 0, s38
	v_cmp_neq_f32_e64 s1, s36, 0
	v_rcp_iflag_f32_e32 v2, v2
	v_mov_b32_e32 v35, v21
	s_mov_b32 s38, 0
	s_mov_b32 s39, s17
	v_mul_f32_e32 v2, 0x4f7ffffe, v2
	v_cvt_u32_f32_e32 v2, v2
	v_mul_lo_u32 v4, s2, v2
	s_lshl_b64 s[2:3], s[28:29], 2
	s_add_u32 s2, s26, s2
	s_addc_u32 s3, s27, s3
	v_add_co_u32 v15, s2, s2, v1
	v_add_co_ci_u32_e64 v16, null, s3, 0, s2
	v_mul_hi_u32 v4, v2, v4
	v_add_co_u32 v17, s2, v5, v3
	v_add_co_ci_u32_e64 v18, null, 0, v6, s2
	v_add_nc_u32_e32 v34, v2, v4
	s_branch .LBB307_12
.LBB307_10:                             ;   in Loop: Header=BB307_12 Depth=1
	s_or_b32 exec_lo, exec_lo, s40
.LBB307_11:                             ;   in Loop: Header=BB307_12 Depth=1
	s_or_b32 exec_lo, exec_lo, s3
	v_add_nc_u32_e32 v35, 4, v35
	v_add_co_u32 v15, s3, v15, 16
	v_add_co_ci_u32_e64 v16, null, 0, v16, s3
	v_cmp_le_i32_e64 s2, s20, v35
	v_add_nc_u32_e32 v28, 32, v28
	v_add_nc_u32_e32 v33, 0x80, v33
	s_or_b32 s38, s2, s38
	s_andn2_b32 exec_lo, exec_lo, s38
	s_cbranch_execz .LBB307_211
.LBB307_12:                             ; =>This Inner Loop Header: Depth=1
	v_mul_hi_u32 v1, v28, s25
	s_waitcnt lgkmcnt(0)
	v_mul_lo_u32 v2, v1, s19
	v_add_nc_u32_e32 v3, 1, v1
	v_sub_nc_u32_e32 v2, v28, v2
	v_subrev_nc_u32_e32 v4, s19, v2
	v_cmp_le_u32_e64 s2, s19, v2
	v_cndmask_b32_e64 v1, v1, v3, s2
	v_cndmask_b32_e64 v2, v2, v4, s2
	v_add_nc_u32_e32 v3, 1, v1
	v_cmp_le_u32_e64 s2, s19, v2
	v_cndmask_b32_e64 v1, v1, v3, s2
	v_xor_b32_e32 v1, s23, v1
	v_subrev_nc_u32_e32 v1, s23, v1
	v_add_nc_u32_e32 v2, s33, v1
	v_cmp_ge_i32_e64 s3, s4, v1
	v_sub_nc_u32_e32 v3, 0, v2
	v_max_i32_e32 v3, v2, v3
	v_ashrrev_i32_e32 v2, 31, v2
	v_mul_hi_u32 v4, v3, v34
	v_mul_lo_u32 v4, v4, s5
	v_sub_nc_u32_e32 v3, v3, v4
	v_subrev_nc_u32_e32 v4, s5, v3
	v_cmp_le_u32_e64 s2, s5, v3
	v_cndmask_b32_e64 v3, v3, v4, s2
	v_subrev_nc_u32_e32 v4, s5, v3
	v_cmp_le_u32_e64 s2, s5, v3
	v_cndmask_b32_e64 v3, v3, v4, s2
	v_xor_b32_e32 v3, v3, v2
	v_sub_nc_u32_e32 v2, v3, v2
	v_cmp_ne_u32_e64 s2, 0, v2
	s_and_b32 s2, s2, s3
	s_and_saveexec_b32 s3, s2
	s_xor_b32 s2, exec_lo, s3
	s_cbranch_execz .LBB307_16
; %bb.13:                               ;   in Loop: Header=BB307_12 Depth=1
	s_and_saveexec_b32 s3, vcc_lo
; %bb.14:                               ;   in Loop: Header=BB307_12 Depth=1
	ds_write_b32 v33, v29
; %bb.15:                               ;   in Loop: Header=BB307_12 Depth=1
	s_or_b32 exec_lo, exec_lo, s3
.LBB307_16:                             ;   in Loop: Header=BB307_12 Depth=1
	s_andn2_saveexec_b32 s3, s2
	s_cbranch_execz .LBB307_11
; %bb.17:                               ;   in Loop: Header=BB307_12 Depth=1
	global_load_dword v1, v[15:16], off
	v_mov_b32_e32 v37, 0
	v_mov_b32_e32 v36, 0
	s_waitcnt vmcnt(0)
	v_mad_i64_i32 v[19:20], null, v1, s39, v[17:18]
	global_load_ushort v13, v[19:20], off
	ds_read_b128 v[9:12], v26
	ds_read_b128 v[5:8], v26 offset:16
	ds_read_b128 v[1:4], v26 offset:32
	s_load_dword s40, s[12:13], 0x0
	s_waitcnt vmcnt(0)
	v_and_b32_e32 v38, 0xffff, v13
	v_cmp_ne_u16_sdwa s2, v13, v14 src0_sel:BYTE_0 src1_sel:DWORD
	s_and_saveexec_b32 s41, s2
	s_cbranch_execz .LBB307_25
; %bb.18:                               ;   in Loop: Header=BB307_12 Depth=1
	v_cmp_ne_u16_sdwa s2, v38, v30 src0_sel:BYTE_0 src1_sel:DWORD
	v_bfrev_b32_e32 v36, 1
	s_and_saveexec_b32 s42, s2
	s_cbranch_execz .LBB307_24
; %bb.19:                               ;   in Loop: Header=BB307_12 Depth=1
	v_and_b32_e32 v39, 0x7f, v38
	v_mov_b32_e32 v36, 0x7f800001
	s_mov_b32 s43, exec_lo
	v_cmpx_ne_u32_e32 0x7f, v39
	s_cbranch_execz .LBB307_23
; %bb.20:                               ;   in Loop: Header=BB307_12 Depth=1
	v_and_b32_e32 v13, 7, v38
	v_lshrrev_b32_e32 v36, 3, v39
	s_mov_b32 s44, exec_lo
	v_cmpx_gt_u32_e32 8, v39
; %bb.21:                               ;   in Loop: Header=BB307_12 Depth=1
	v_ffbh_u32_e32 v36, v13
	v_min_u32_e32 v36, 32, v36
	v_subrev_nc_u32_e32 v39, 28, v36
	v_sub_nc_u32_e32 v36, 29, v36
	v_lshlrev_b64 v[39:40], v39, v[13:14]
	v_and_b32_e32 v13, 7, v39
; %bb.22:                               ;   in Loop: Header=BB307_12 Depth=1
	s_or_b32 exec_lo, exec_lo, s44
	v_lshlrev_b32_e32 v39, 24, v38
	v_lshlrev_b32_e32 v13, 20, v13
	v_lshl_add_u32 v36, v36, 23, 0x3c000000
	v_and_b32_e32 v39, 0x80000000, v39
	v_or3_b32 v36, v13, v39, v36
.LBB307_23:                             ;   in Loop: Header=BB307_12 Depth=1
	s_or_b32 exec_lo, exec_lo, s43
.LBB307_24:                             ;   in Loop: Header=BB307_12 Depth=1
	s_or_b32 exec_lo, exec_lo, s42
.LBB307_25:                             ;   in Loop: Header=BB307_12 Depth=1
	s_or_b32 exec_lo, exec_lo, s41
	v_cmp_ne_u16_sdwa s2, v38, v14 src0_sel:BYTE_1 src1_sel:DWORD
	s_and_saveexec_b32 s41, s2
	s_cbranch_execz .LBB307_33
; %bb.26:                               ;   in Loop: Header=BB307_12 Depth=1
	v_cmp_ne_u16_sdwa s2, v38, v30 src0_sel:BYTE_1 src1_sel:DWORD
	v_bfrev_b32_e32 v37, 1
	s_and_saveexec_b32 s42, s2
	s_cbranch_execz .LBB307_32
; %bb.27:                               ;   in Loop: Header=BB307_12 Depth=1
	v_and_b32_sdwa v13, v31, v38 dst_sel:DWORD dst_unused:UNUSED_PAD src0_sel:DWORD src1_sel:BYTE_1
	v_mov_b32_e32 v37, 0x7f800001
	s_mov_b32 s43, exec_lo
	v_and_b32_e32 v39, 0x7f, v13
	v_cmpx_ne_u32_e32 0x7f, v39
	s_cbranch_execz .LBB307_31
; %bb.28:                               ;   in Loop: Header=BB307_12 Depth=1
	v_and_b32_e32 v13, 7, v13
	v_lshrrev_b32_e32 v37, 3, v39
	s_mov_b32 s44, exec_lo
	v_cmpx_gt_u32_e32 8, v39
; %bb.29:                               ;   in Loop: Header=BB307_12 Depth=1
	v_ffbh_u32_e32 v37, v13
	v_min_u32_e32 v37, 32, v37
	v_subrev_nc_u32_e32 v39, 28, v37
	v_sub_nc_u32_e32 v37, 29, v37
	v_lshlrev_b64 v[39:40], v39, v[13:14]
	v_and_b32_e32 v13, 7, v39
; %bb.30:                               ;   in Loop: Header=BB307_12 Depth=1
	s_or_b32 exec_lo, exec_lo, s44
	v_lshlrev_b32_e32 v38, 16, v38
	v_lshlrev_b32_e32 v13, 20, v13
	v_lshl_add_u32 v37, v37, 23, 0x3c000000
	v_and_b32_e32 v38, 0x80000000, v38
	v_or3_b32 v37, v13, v38, v37
.LBB307_31:                             ;   in Loop: Header=BB307_12 Depth=1
	s_or_b32 exec_lo, exec_lo, s43
.LBB307_32:                             ;   in Loop: Header=BB307_12 Depth=1
	s_or_b32 exec_lo, exec_lo, s42
.LBB307_33:                             ;   in Loop: Header=BB307_12 Depth=1
	s_or_b32 exec_lo, exec_lo, s41
	global_load_ushort v13, v[19:20], off offset:8
	v_mov_b32_e32 v39, 0
	v_mov_b32_e32 v38, 0
	s_waitcnt vmcnt(0)
	v_and_b32_e32 v40, 0xffff, v13
	v_cmp_ne_u16_sdwa s2, v13, v14 src0_sel:BYTE_0 src1_sel:DWORD
	s_and_saveexec_b32 s41, s2
	s_cbranch_execz .LBB307_41
; %bb.34:                               ;   in Loop: Header=BB307_12 Depth=1
	v_cmp_ne_u16_sdwa s2, v40, v30 src0_sel:BYTE_0 src1_sel:DWORD
	v_bfrev_b32_e32 v38, 1
	s_and_saveexec_b32 s42, s2
	s_cbranch_execz .LBB307_40
; %bb.35:                               ;   in Loop: Header=BB307_12 Depth=1
	v_and_b32_e32 v41, 0x7f, v40
	v_mov_b32_e32 v38, 0x7f800001
	s_mov_b32 s43, exec_lo
	v_cmpx_ne_u32_e32 0x7f, v41
	s_cbranch_execz .LBB307_39
; %bb.36:                               ;   in Loop: Header=BB307_12 Depth=1
	v_and_b32_e32 v13, 7, v40
	v_lshrrev_b32_e32 v38, 3, v41
	s_mov_b32 s44, exec_lo
	v_cmpx_gt_u32_e32 8, v41
; %bb.37:                               ;   in Loop: Header=BB307_12 Depth=1
	v_ffbh_u32_e32 v38, v13
	v_min_u32_e32 v38, 32, v38
	v_subrev_nc_u32_e32 v41, 28, v38
	v_sub_nc_u32_e32 v38, 29, v38
	v_lshlrev_b64 v[41:42], v41, v[13:14]
	v_and_b32_e32 v13, 7, v41
; %bb.38:                               ;   in Loop: Header=BB307_12 Depth=1
	s_or_b32 exec_lo, exec_lo, s44
	v_lshlrev_b32_e32 v41, 24, v40
	v_lshlrev_b32_e32 v13, 20, v13
	v_lshl_add_u32 v38, v38, 23, 0x3c000000
	v_and_b32_e32 v41, 0x80000000, v41
	v_or3_b32 v38, v13, v41, v38
.LBB307_39:                             ;   in Loop: Header=BB307_12 Depth=1
	s_or_b32 exec_lo, exec_lo, s43
.LBB307_40:                             ;   in Loop: Header=BB307_12 Depth=1
	s_or_b32 exec_lo, exec_lo, s42
.LBB307_41:                             ;   in Loop: Header=BB307_12 Depth=1
	s_or_b32 exec_lo, exec_lo, s41
	v_cmp_ne_u16_sdwa s2, v40, v14 src0_sel:BYTE_1 src1_sel:DWORD
	s_and_saveexec_b32 s41, s2
	s_cbranch_execz .LBB307_49
; %bb.42:                               ;   in Loop: Header=BB307_12 Depth=1
	v_cmp_ne_u16_sdwa s2, v40, v30 src0_sel:BYTE_1 src1_sel:DWORD
	v_bfrev_b32_e32 v39, 1
	s_and_saveexec_b32 s42, s2
	s_cbranch_execz .LBB307_48
; %bb.43:                               ;   in Loop: Header=BB307_12 Depth=1
	v_and_b32_sdwa v13, v31, v40 dst_sel:DWORD dst_unused:UNUSED_PAD src0_sel:DWORD src1_sel:BYTE_1
	v_mov_b32_e32 v39, 0x7f800001
	s_mov_b32 s43, exec_lo
	v_and_b32_e32 v41, 0x7f, v13
	v_cmpx_ne_u32_e32 0x7f, v41
	s_cbranch_execz .LBB307_47
; %bb.44:                               ;   in Loop: Header=BB307_12 Depth=1
	v_and_b32_e32 v13, 7, v13
	v_lshrrev_b32_e32 v39, 3, v41
	s_mov_b32 s44, exec_lo
	v_cmpx_gt_u32_e32 8, v41
; %bb.45:                               ;   in Loop: Header=BB307_12 Depth=1
	v_ffbh_u32_e32 v39, v13
	v_min_u32_e32 v39, 32, v39
	v_subrev_nc_u32_e32 v41, 28, v39
	v_sub_nc_u32_e32 v39, 29, v39
	v_lshlrev_b64 v[41:42], v41, v[13:14]
	v_and_b32_e32 v13, 7, v41
; %bb.46:                               ;   in Loop: Header=BB307_12 Depth=1
	s_or_b32 exec_lo, exec_lo, s44
	v_lshlrev_b32_e32 v40, 16, v40
	v_lshlrev_b32_e32 v13, 20, v13
	v_lshl_add_u32 v39, v39, 23, 0x3c000000
	v_and_b32_e32 v40, 0x80000000, v40
	v_or3_b32 v39, v13, v40, v39
.LBB307_47:                             ;   in Loop: Header=BB307_12 Depth=1
	s_or_b32 exec_lo, exec_lo, s43
.LBB307_48:                             ;   in Loop: Header=BB307_12 Depth=1
	s_or_b32 exec_lo, exec_lo, s42
.LBB307_49:                             ;   in Loop: Header=BB307_12 Depth=1
	s_or_b32 exec_lo, exec_lo, s41
	global_load_ushort v13, v[19:20], off offset:128
	v_mov_b32_e32 v41, 0
	v_mov_b32_e32 v40, 0
	s_waitcnt vmcnt(0)
	v_and_b32_e32 v42, 0xffff, v13
	v_cmp_ne_u16_sdwa s2, v13, v14 src0_sel:BYTE_0 src1_sel:DWORD
	s_and_saveexec_b32 s41, s2
	s_cbranch_execz .LBB307_57
; %bb.50:                               ;   in Loop: Header=BB307_12 Depth=1
	v_cmp_ne_u16_sdwa s2, v42, v30 src0_sel:BYTE_0 src1_sel:DWORD
	v_bfrev_b32_e32 v40, 1
	s_and_saveexec_b32 s42, s2
	s_cbranch_execz .LBB307_56
; %bb.51:                               ;   in Loop: Header=BB307_12 Depth=1
	v_and_b32_e32 v43, 0x7f, v42
	v_mov_b32_e32 v40, 0x7f800001
	s_mov_b32 s43, exec_lo
	v_cmpx_ne_u32_e32 0x7f, v43
	s_cbranch_execz .LBB307_55
; %bb.52:                               ;   in Loop: Header=BB307_12 Depth=1
	v_and_b32_e32 v13, 7, v42
	v_lshrrev_b32_e32 v40, 3, v43
	s_mov_b32 s44, exec_lo
	v_cmpx_gt_u32_e32 8, v43
; %bb.53:                               ;   in Loop: Header=BB307_12 Depth=1
	v_ffbh_u32_e32 v40, v13
	v_min_u32_e32 v40, 32, v40
	v_subrev_nc_u32_e32 v43, 28, v40
	v_sub_nc_u32_e32 v40, 29, v40
	v_lshlrev_b64 v[43:44], v43, v[13:14]
	v_and_b32_e32 v13, 7, v43
; %bb.54:                               ;   in Loop: Header=BB307_12 Depth=1
	s_or_b32 exec_lo, exec_lo, s44
	v_lshlrev_b32_e32 v43, 24, v42
	v_lshlrev_b32_e32 v13, 20, v13
	v_lshl_add_u32 v40, v40, 23, 0x3c000000
	v_and_b32_e32 v43, 0x80000000, v43
	v_or3_b32 v40, v13, v43, v40
.LBB307_55:                             ;   in Loop: Header=BB307_12 Depth=1
	s_or_b32 exec_lo, exec_lo, s43
.LBB307_56:                             ;   in Loop: Header=BB307_12 Depth=1
	s_or_b32 exec_lo, exec_lo, s42
.LBB307_57:                             ;   in Loop: Header=BB307_12 Depth=1
	s_or_b32 exec_lo, exec_lo, s41
	v_cmp_ne_u16_sdwa s2, v42, v14 src0_sel:BYTE_1 src1_sel:DWORD
	s_and_saveexec_b32 s41, s2
	s_cbranch_execz .LBB307_65
; %bb.58:                               ;   in Loop: Header=BB307_12 Depth=1
	v_cmp_ne_u16_sdwa s2, v42, v30 src0_sel:BYTE_1 src1_sel:DWORD
	v_bfrev_b32_e32 v41, 1
	s_and_saveexec_b32 s42, s2
	s_cbranch_execz .LBB307_64
; %bb.59:                               ;   in Loop: Header=BB307_12 Depth=1
	v_and_b32_sdwa v13, v31, v42 dst_sel:DWORD dst_unused:UNUSED_PAD src0_sel:DWORD src1_sel:BYTE_1
	v_mov_b32_e32 v41, 0x7f800001
	s_mov_b32 s43, exec_lo
	v_and_b32_e32 v43, 0x7f, v13
	v_cmpx_ne_u32_e32 0x7f, v43
	s_cbranch_execz .LBB307_63
; %bb.60:                               ;   in Loop: Header=BB307_12 Depth=1
	v_and_b32_e32 v13, 7, v13
	v_lshrrev_b32_e32 v41, 3, v43
	s_mov_b32 s44, exec_lo
	v_cmpx_gt_u32_e32 8, v43
; %bb.61:                               ;   in Loop: Header=BB307_12 Depth=1
	v_ffbh_u32_e32 v41, v13
	v_min_u32_e32 v41, 32, v41
	v_subrev_nc_u32_e32 v43, 28, v41
	v_sub_nc_u32_e32 v41, 29, v41
	v_lshlrev_b64 v[43:44], v43, v[13:14]
	v_and_b32_e32 v13, 7, v43
; %bb.62:                               ;   in Loop: Header=BB307_12 Depth=1
	s_or_b32 exec_lo, exec_lo, s44
	v_lshlrev_b32_e32 v42, 16, v42
	v_lshlrev_b32_e32 v13, 20, v13
	v_lshl_add_u32 v41, v41, 23, 0x3c000000
	v_and_b32_e32 v42, 0x80000000, v42
	v_or3_b32 v41, v13, v42, v41
.LBB307_63:                             ;   in Loop: Header=BB307_12 Depth=1
	s_or_b32 exec_lo, exec_lo, s43
.LBB307_64:                             ;   in Loop: Header=BB307_12 Depth=1
	s_or_b32 exec_lo, exec_lo, s42
.LBB307_65:                             ;   in Loop: Header=BB307_12 Depth=1
	s_or_b32 exec_lo, exec_lo, s41
	global_load_ushort v13, v[19:20], off offset:136
	v_mov_b32_e32 v43, 0
	v_mov_b32_e32 v42, 0
	s_waitcnt vmcnt(0)
	v_and_b32_e32 v44, 0xffff, v13
	v_cmp_ne_u16_sdwa s2, v13, v14 src0_sel:BYTE_0 src1_sel:DWORD
	s_and_saveexec_b32 s41, s2
	s_cbranch_execz .LBB307_73
; %bb.66:                               ;   in Loop: Header=BB307_12 Depth=1
	v_cmp_ne_u16_sdwa s2, v44, v30 src0_sel:BYTE_0 src1_sel:DWORD
	v_bfrev_b32_e32 v42, 1
	s_and_saveexec_b32 s42, s2
	s_cbranch_execz .LBB307_72
; %bb.67:                               ;   in Loop: Header=BB307_12 Depth=1
	v_and_b32_e32 v45, 0x7f, v44
	v_mov_b32_e32 v42, 0x7f800001
	s_mov_b32 s43, exec_lo
	v_cmpx_ne_u32_e32 0x7f, v45
	s_cbranch_execz .LBB307_71
; %bb.68:                               ;   in Loop: Header=BB307_12 Depth=1
	v_and_b32_e32 v13, 7, v44
	v_lshrrev_b32_e32 v42, 3, v45
	s_mov_b32 s44, exec_lo
	v_cmpx_gt_u32_e32 8, v45
; %bb.69:                               ;   in Loop: Header=BB307_12 Depth=1
	v_ffbh_u32_e32 v42, v13
	v_min_u32_e32 v42, 32, v42
	v_subrev_nc_u32_e32 v45, 28, v42
	v_sub_nc_u32_e32 v42, 29, v42
	v_lshlrev_b64 v[45:46], v45, v[13:14]
	v_and_b32_e32 v13, 7, v45
; %bb.70:                               ;   in Loop: Header=BB307_12 Depth=1
	s_or_b32 exec_lo, exec_lo, s44
	v_lshlrev_b32_e32 v45, 24, v44
	v_lshlrev_b32_e32 v13, 20, v13
	v_lshl_add_u32 v42, v42, 23, 0x3c000000
	v_and_b32_e32 v45, 0x80000000, v45
	v_or3_b32 v42, v13, v45, v42
.LBB307_71:                             ;   in Loop: Header=BB307_12 Depth=1
	s_or_b32 exec_lo, exec_lo, s43
.LBB307_72:                             ;   in Loop: Header=BB307_12 Depth=1
	s_or_b32 exec_lo, exec_lo, s42
.LBB307_73:                             ;   in Loop: Header=BB307_12 Depth=1
	s_or_b32 exec_lo, exec_lo, s41
	v_cmp_ne_u16_sdwa s2, v44, v14 src0_sel:BYTE_1 src1_sel:DWORD
	s_and_saveexec_b32 s41, s2
	s_cbranch_execz .LBB307_81
; %bb.74:                               ;   in Loop: Header=BB307_12 Depth=1
	v_cmp_ne_u16_sdwa s2, v44, v30 src0_sel:BYTE_1 src1_sel:DWORD
	v_bfrev_b32_e32 v43, 1
	s_and_saveexec_b32 s42, s2
	s_cbranch_execz .LBB307_80
; %bb.75:                               ;   in Loop: Header=BB307_12 Depth=1
	v_and_b32_sdwa v13, v31, v44 dst_sel:DWORD dst_unused:UNUSED_PAD src0_sel:DWORD src1_sel:BYTE_1
	v_mov_b32_e32 v43, 0x7f800001
	s_mov_b32 s43, exec_lo
	v_and_b32_e32 v45, 0x7f, v13
	v_cmpx_ne_u32_e32 0x7f, v45
	s_cbranch_execz .LBB307_79
; %bb.76:                               ;   in Loop: Header=BB307_12 Depth=1
	v_and_b32_e32 v13, 7, v13
	v_lshrrev_b32_e32 v43, 3, v45
	s_mov_b32 s44, exec_lo
	v_cmpx_gt_u32_e32 8, v45
; %bb.77:                               ;   in Loop: Header=BB307_12 Depth=1
	v_ffbh_u32_e32 v43, v13
	v_min_u32_e32 v43, 32, v43
	v_subrev_nc_u32_e32 v45, 28, v43
	v_sub_nc_u32_e32 v43, 29, v43
	v_lshlrev_b64 v[45:46], v45, v[13:14]
	v_and_b32_e32 v13, 7, v45
; %bb.78:                               ;   in Loop: Header=BB307_12 Depth=1
	s_or_b32 exec_lo, exec_lo, s44
	v_lshlrev_b32_e32 v44, 16, v44
	v_lshlrev_b32_e32 v13, 20, v13
	v_lshl_add_u32 v43, v43, 23, 0x3c000000
	v_and_b32_e32 v44, 0x80000000, v44
	v_or3_b32 v43, v13, v44, v43
.LBB307_79:                             ;   in Loop: Header=BB307_12 Depth=1
	s_or_b32 exec_lo, exec_lo, s43
.LBB307_80:                             ;   in Loop: Header=BB307_12 Depth=1
	s_or_b32 exec_lo, exec_lo, s42
.LBB307_81:                             ;   in Loop: Header=BB307_12 Depth=1
	s_or_b32 exec_lo, exec_lo, s41
	global_load_ushort v13, v[19:20], off offset:256
	v_mov_b32_e32 v45, 0
	v_mov_b32_e32 v44, 0
	s_waitcnt vmcnt(0)
	v_and_b32_e32 v46, 0xffff, v13
	v_cmp_ne_u16_sdwa s2, v13, v14 src0_sel:BYTE_0 src1_sel:DWORD
	s_and_saveexec_b32 s41, s2
	s_cbranch_execz .LBB307_89
; %bb.82:                               ;   in Loop: Header=BB307_12 Depth=1
	v_cmp_ne_u16_sdwa s2, v46, v30 src0_sel:BYTE_0 src1_sel:DWORD
	v_bfrev_b32_e32 v44, 1
	s_and_saveexec_b32 s42, s2
	s_cbranch_execz .LBB307_88
; %bb.83:                               ;   in Loop: Header=BB307_12 Depth=1
	v_and_b32_e32 v47, 0x7f, v46
	v_mov_b32_e32 v44, 0x7f800001
	s_mov_b32 s43, exec_lo
	v_cmpx_ne_u32_e32 0x7f, v47
	s_cbranch_execz .LBB307_87
; %bb.84:                               ;   in Loop: Header=BB307_12 Depth=1
	v_and_b32_e32 v13, 7, v46
	v_lshrrev_b32_e32 v44, 3, v47
	s_mov_b32 s44, exec_lo
	v_cmpx_gt_u32_e32 8, v47
; %bb.85:                               ;   in Loop: Header=BB307_12 Depth=1
	v_ffbh_u32_e32 v44, v13
	v_min_u32_e32 v44, 32, v44
	v_subrev_nc_u32_e32 v47, 28, v44
	v_sub_nc_u32_e32 v44, 29, v44
	v_lshlrev_b64 v[47:48], v47, v[13:14]
	v_and_b32_e32 v13, 7, v47
; %bb.86:                               ;   in Loop: Header=BB307_12 Depth=1
	s_or_b32 exec_lo, exec_lo, s44
	v_lshlrev_b32_e32 v47, 24, v46
	v_lshlrev_b32_e32 v13, 20, v13
	v_lshl_add_u32 v44, v44, 23, 0x3c000000
	v_and_b32_e32 v47, 0x80000000, v47
	v_or3_b32 v44, v13, v47, v44
.LBB307_87:                             ;   in Loop: Header=BB307_12 Depth=1
	s_or_b32 exec_lo, exec_lo, s43
.LBB307_88:                             ;   in Loop: Header=BB307_12 Depth=1
	s_or_b32 exec_lo, exec_lo, s42
.LBB307_89:                             ;   in Loop: Header=BB307_12 Depth=1
	s_or_b32 exec_lo, exec_lo, s41
	v_cmp_ne_u16_sdwa s2, v46, v14 src0_sel:BYTE_1 src1_sel:DWORD
	s_and_saveexec_b32 s41, s2
	s_cbranch_execz .LBB307_97
; %bb.90:                               ;   in Loop: Header=BB307_12 Depth=1
	v_cmp_ne_u16_sdwa s2, v46, v30 src0_sel:BYTE_1 src1_sel:DWORD
	v_bfrev_b32_e32 v45, 1
	s_and_saveexec_b32 s42, s2
	s_cbranch_execz .LBB307_96
; %bb.91:                               ;   in Loop: Header=BB307_12 Depth=1
	v_and_b32_sdwa v13, v31, v46 dst_sel:DWORD dst_unused:UNUSED_PAD src0_sel:DWORD src1_sel:BYTE_1
	v_mov_b32_e32 v45, 0x7f800001
	s_mov_b32 s43, exec_lo
	v_and_b32_e32 v47, 0x7f, v13
	v_cmpx_ne_u32_e32 0x7f, v47
	s_cbranch_execz .LBB307_95
; %bb.92:                               ;   in Loop: Header=BB307_12 Depth=1
	v_and_b32_e32 v13, 7, v13
	v_lshrrev_b32_e32 v45, 3, v47
	s_mov_b32 s44, exec_lo
	v_cmpx_gt_u32_e32 8, v47
; %bb.93:                               ;   in Loop: Header=BB307_12 Depth=1
	v_ffbh_u32_e32 v45, v13
	v_min_u32_e32 v45, 32, v45
	v_subrev_nc_u32_e32 v47, 28, v45
	v_sub_nc_u32_e32 v45, 29, v45
	v_lshlrev_b64 v[47:48], v47, v[13:14]
	v_and_b32_e32 v13, 7, v47
; %bb.94:                               ;   in Loop: Header=BB307_12 Depth=1
	s_or_b32 exec_lo, exec_lo, s44
	v_lshlrev_b32_e32 v46, 16, v46
	v_lshlrev_b32_e32 v13, 20, v13
	v_lshl_add_u32 v45, v45, 23, 0x3c000000
	v_and_b32_e32 v46, 0x80000000, v46
	v_or3_b32 v45, v13, v46, v45
.LBB307_95:                             ;   in Loop: Header=BB307_12 Depth=1
	s_or_b32 exec_lo, exec_lo, s43
.LBB307_96:                             ;   in Loop: Header=BB307_12 Depth=1
	s_or_b32 exec_lo, exec_lo, s42
.LBB307_97:                             ;   in Loop: Header=BB307_12 Depth=1
	s_or_b32 exec_lo, exec_lo, s41
	global_load_ushort v13, v[19:20], off offset:264
	v_mov_b32_e32 v47, 0
	v_mov_b32_e32 v46, 0
	s_waitcnt vmcnt(0)
	v_and_b32_e32 v48, 0xffff, v13
	v_cmp_ne_u16_sdwa s2, v13, v14 src0_sel:BYTE_0 src1_sel:DWORD
	s_and_saveexec_b32 s41, s2
	s_cbranch_execz .LBB307_105
; %bb.98:                               ;   in Loop: Header=BB307_12 Depth=1
	v_cmp_ne_u16_sdwa s2, v48, v30 src0_sel:BYTE_0 src1_sel:DWORD
	v_bfrev_b32_e32 v46, 1
	s_and_saveexec_b32 s42, s2
	s_cbranch_execz .LBB307_104
; %bb.99:                               ;   in Loop: Header=BB307_12 Depth=1
	v_and_b32_e32 v49, 0x7f, v48
	v_mov_b32_e32 v46, 0x7f800001
	s_mov_b32 s43, exec_lo
	v_cmpx_ne_u32_e32 0x7f, v49
	s_cbranch_execz .LBB307_103
; %bb.100:                              ;   in Loop: Header=BB307_12 Depth=1
	v_and_b32_e32 v13, 7, v48
	v_lshrrev_b32_e32 v46, 3, v49
	s_mov_b32 s44, exec_lo
	v_cmpx_gt_u32_e32 8, v49
; %bb.101:                              ;   in Loop: Header=BB307_12 Depth=1
	v_ffbh_u32_e32 v46, v13
	v_min_u32_e32 v46, 32, v46
	v_subrev_nc_u32_e32 v49, 28, v46
	v_sub_nc_u32_e32 v46, 29, v46
	v_lshlrev_b64 v[49:50], v49, v[13:14]
	v_and_b32_e32 v13, 7, v49
; %bb.102:                              ;   in Loop: Header=BB307_12 Depth=1
	s_or_b32 exec_lo, exec_lo, s44
	v_lshlrev_b32_e32 v49, 24, v48
	v_lshlrev_b32_e32 v13, 20, v13
	v_lshl_add_u32 v46, v46, 23, 0x3c000000
	v_and_b32_e32 v49, 0x80000000, v49
	v_or3_b32 v46, v13, v49, v46
.LBB307_103:                            ;   in Loop: Header=BB307_12 Depth=1
	s_or_b32 exec_lo, exec_lo, s43
.LBB307_104:                            ;   in Loop: Header=BB307_12 Depth=1
	s_or_b32 exec_lo, exec_lo, s42
.LBB307_105:                            ;   in Loop: Header=BB307_12 Depth=1
	s_or_b32 exec_lo, exec_lo, s41
	v_cmp_ne_u16_sdwa s2, v48, v14 src0_sel:BYTE_1 src1_sel:DWORD
	s_and_saveexec_b32 s41, s2
	s_cbranch_execz .LBB307_113
; %bb.106:                              ;   in Loop: Header=BB307_12 Depth=1
	v_cmp_ne_u16_sdwa s2, v48, v30 src0_sel:BYTE_1 src1_sel:DWORD
	v_bfrev_b32_e32 v47, 1
	s_and_saveexec_b32 s42, s2
	s_cbranch_execz .LBB307_112
; %bb.107:                              ;   in Loop: Header=BB307_12 Depth=1
	v_and_b32_sdwa v13, v31, v48 dst_sel:DWORD dst_unused:UNUSED_PAD src0_sel:DWORD src1_sel:BYTE_1
	v_mov_b32_e32 v47, 0x7f800001
	s_mov_b32 s43, exec_lo
	v_and_b32_e32 v49, 0x7f, v13
	v_cmpx_ne_u32_e32 0x7f, v49
	s_cbranch_execz .LBB307_111
; %bb.108:                              ;   in Loop: Header=BB307_12 Depth=1
	v_and_b32_e32 v13, 7, v13
	v_lshrrev_b32_e32 v47, 3, v49
	s_mov_b32 s44, exec_lo
	v_cmpx_gt_u32_e32 8, v49
; %bb.109:                              ;   in Loop: Header=BB307_12 Depth=1
	v_ffbh_u32_e32 v47, v13
	v_min_u32_e32 v47, 32, v47
	v_subrev_nc_u32_e32 v49, 28, v47
	v_sub_nc_u32_e32 v47, 29, v47
	v_lshlrev_b64 v[49:50], v49, v[13:14]
	v_and_b32_e32 v13, 7, v49
; %bb.110:                              ;   in Loop: Header=BB307_12 Depth=1
	s_or_b32 exec_lo, exec_lo, s44
	v_lshlrev_b32_e32 v48, 16, v48
	v_lshlrev_b32_e32 v13, 20, v13
	v_lshl_add_u32 v47, v47, 23, 0x3c000000
	v_and_b32_e32 v48, 0x80000000, v48
	v_or3_b32 v47, v13, v48, v47
.LBB307_111:                            ;   in Loop: Header=BB307_12 Depth=1
	s_or_b32 exec_lo, exec_lo, s43
.LBB307_112:                            ;   in Loop: Header=BB307_12 Depth=1
	s_or_b32 exec_lo, exec_lo, s42
.LBB307_113:                            ;   in Loop: Header=BB307_12 Depth=1
	s_or_b32 exec_lo, exec_lo, s41
	global_load_ushort v13, v[19:20], off offset:384
	v_mov_b32_e32 v49, 0
	v_mov_b32_e32 v48, 0
	s_waitcnt vmcnt(0)
	v_and_b32_e32 v50, 0xffff, v13
	v_cmp_ne_u16_sdwa s2, v13, v14 src0_sel:BYTE_0 src1_sel:DWORD
	s_and_saveexec_b32 s41, s2
	s_cbranch_execz .LBB307_121
; %bb.114:                              ;   in Loop: Header=BB307_12 Depth=1
	v_cmp_ne_u16_sdwa s2, v50, v30 src0_sel:BYTE_0 src1_sel:DWORD
	v_bfrev_b32_e32 v48, 1
	s_and_saveexec_b32 s42, s2
	s_cbranch_execz .LBB307_120
; %bb.115:                              ;   in Loop: Header=BB307_12 Depth=1
	v_and_b32_e32 v51, 0x7f, v50
	v_mov_b32_e32 v48, 0x7f800001
	s_mov_b32 s43, exec_lo
	v_cmpx_ne_u32_e32 0x7f, v51
	s_cbranch_execz .LBB307_119
; %bb.116:                              ;   in Loop: Header=BB307_12 Depth=1
	v_and_b32_e32 v13, 7, v50
	v_lshrrev_b32_e32 v48, 3, v51
	s_mov_b32 s44, exec_lo
	v_cmpx_gt_u32_e32 8, v51
; %bb.117:                              ;   in Loop: Header=BB307_12 Depth=1
	v_ffbh_u32_e32 v48, v13
	v_min_u32_e32 v48, 32, v48
	v_subrev_nc_u32_e32 v51, 28, v48
	v_sub_nc_u32_e32 v48, 29, v48
	v_lshlrev_b64 v[51:52], v51, v[13:14]
	v_and_b32_e32 v13, 7, v51
; %bb.118:                              ;   in Loop: Header=BB307_12 Depth=1
	s_or_b32 exec_lo, exec_lo, s44
	v_lshlrev_b32_e32 v51, 24, v50
	v_lshlrev_b32_e32 v13, 20, v13
	v_lshl_add_u32 v48, v48, 23, 0x3c000000
	v_and_b32_e32 v51, 0x80000000, v51
	v_or3_b32 v48, v13, v51, v48
.LBB307_119:                            ;   in Loop: Header=BB307_12 Depth=1
	s_or_b32 exec_lo, exec_lo, s43
.LBB307_120:                            ;   in Loop: Header=BB307_12 Depth=1
	s_or_b32 exec_lo, exec_lo, s42
.LBB307_121:                            ;   in Loop: Header=BB307_12 Depth=1
	s_or_b32 exec_lo, exec_lo, s41
	v_cmp_ne_u16_sdwa s2, v50, v14 src0_sel:BYTE_1 src1_sel:DWORD
	s_and_saveexec_b32 s41, s2
	s_cbranch_execz .LBB307_129
; %bb.122:                              ;   in Loop: Header=BB307_12 Depth=1
	v_cmp_ne_u16_sdwa s2, v50, v30 src0_sel:BYTE_1 src1_sel:DWORD
	v_bfrev_b32_e32 v49, 1
	s_and_saveexec_b32 s42, s2
	s_cbranch_execz .LBB307_128
; %bb.123:                              ;   in Loop: Header=BB307_12 Depth=1
	v_and_b32_sdwa v13, v31, v50 dst_sel:DWORD dst_unused:UNUSED_PAD src0_sel:DWORD src1_sel:BYTE_1
	v_mov_b32_e32 v49, 0x7f800001
	s_mov_b32 s43, exec_lo
	v_and_b32_e32 v51, 0x7f, v13
	v_cmpx_ne_u32_e32 0x7f, v51
	s_cbranch_execz .LBB307_127
; %bb.124:                              ;   in Loop: Header=BB307_12 Depth=1
	v_and_b32_e32 v13, 7, v13
	v_lshrrev_b32_e32 v49, 3, v51
	s_mov_b32 s44, exec_lo
	v_cmpx_gt_u32_e32 8, v51
; %bb.125:                              ;   in Loop: Header=BB307_12 Depth=1
	v_ffbh_u32_e32 v49, v13
	v_min_u32_e32 v49, 32, v49
	v_subrev_nc_u32_e32 v51, 28, v49
	v_sub_nc_u32_e32 v49, 29, v49
	v_lshlrev_b64 v[51:52], v51, v[13:14]
	v_and_b32_e32 v13, 7, v51
; %bb.126:                              ;   in Loop: Header=BB307_12 Depth=1
	s_or_b32 exec_lo, exec_lo, s44
	v_lshlrev_b32_e32 v50, 16, v50
	v_lshlrev_b32_e32 v13, 20, v13
	v_lshl_add_u32 v49, v49, 23, 0x3c000000
	v_and_b32_e32 v50, 0x80000000, v50
	v_or3_b32 v49, v13, v50, v49
.LBB307_127:                            ;   in Loop: Header=BB307_12 Depth=1
	s_or_b32 exec_lo, exec_lo, s43
.LBB307_128:                            ;   in Loop: Header=BB307_12 Depth=1
	s_or_b32 exec_lo, exec_lo, s42
.LBB307_129:                            ;   in Loop: Header=BB307_12 Depth=1
	s_or_b32 exec_lo, exec_lo, s41
	global_load_ushort v13, v[19:20], off offset:392
	v_mov_b32_e32 v51, 0
	v_mov_b32_e32 v50, 0
	s_waitcnt vmcnt(0)
	v_and_b32_e32 v52, 0xffff, v13
	v_cmp_ne_u16_sdwa s2, v13, v14 src0_sel:BYTE_0 src1_sel:DWORD
	s_and_saveexec_b32 s41, s2
	s_cbranch_execz .LBB307_137
; %bb.130:                              ;   in Loop: Header=BB307_12 Depth=1
	v_cmp_ne_u16_sdwa s2, v52, v30 src0_sel:BYTE_0 src1_sel:DWORD
	v_bfrev_b32_e32 v50, 1
	s_and_saveexec_b32 s42, s2
	s_cbranch_execz .LBB307_136
; %bb.131:                              ;   in Loop: Header=BB307_12 Depth=1
	v_and_b32_e32 v53, 0x7f, v52
	v_mov_b32_e32 v50, 0x7f800001
	s_mov_b32 s43, exec_lo
	v_cmpx_ne_u32_e32 0x7f, v53
	s_cbranch_execz .LBB307_135
; %bb.132:                              ;   in Loop: Header=BB307_12 Depth=1
	v_and_b32_e32 v13, 7, v52
	v_lshrrev_b32_e32 v50, 3, v53
	s_mov_b32 s44, exec_lo
	v_cmpx_gt_u32_e32 8, v53
; %bb.133:                              ;   in Loop: Header=BB307_12 Depth=1
	v_ffbh_u32_e32 v50, v13
	v_min_u32_e32 v50, 32, v50
	v_subrev_nc_u32_e32 v53, 28, v50
	v_sub_nc_u32_e32 v50, 29, v50
	v_lshlrev_b64 v[53:54], v53, v[13:14]
	v_and_b32_e32 v13, 7, v53
; %bb.134:                              ;   in Loop: Header=BB307_12 Depth=1
	s_or_b32 exec_lo, exec_lo, s44
	v_lshlrev_b32_e32 v53, 24, v52
	v_lshlrev_b32_e32 v13, 20, v13
	v_lshl_add_u32 v50, v50, 23, 0x3c000000
	v_and_b32_e32 v53, 0x80000000, v53
	v_or3_b32 v50, v13, v53, v50
.LBB307_135:                            ;   in Loop: Header=BB307_12 Depth=1
	s_or_b32 exec_lo, exec_lo, s43
.LBB307_136:                            ;   in Loop: Header=BB307_12 Depth=1
	s_or_b32 exec_lo, exec_lo, s42
.LBB307_137:                            ;   in Loop: Header=BB307_12 Depth=1
	s_or_b32 exec_lo, exec_lo, s41
	v_cmp_ne_u16_sdwa s2, v52, v14 src0_sel:BYTE_1 src1_sel:DWORD
	s_and_saveexec_b32 s41, s2
	s_cbranch_execz .LBB307_145
; %bb.138:                              ;   in Loop: Header=BB307_12 Depth=1
	v_cmp_ne_u16_sdwa s2, v52, v30 src0_sel:BYTE_1 src1_sel:DWORD
	v_bfrev_b32_e32 v51, 1
	s_and_saveexec_b32 s42, s2
	s_cbranch_execz .LBB307_144
; %bb.139:                              ;   in Loop: Header=BB307_12 Depth=1
	v_and_b32_sdwa v13, v31, v52 dst_sel:DWORD dst_unused:UNUSED_PAD src0_sel:DWORD src1_sel:BYTE_1
	v_mov_b32_e32 v51, 0x7f800001
	s_mov_b32 s43, exec_lo
	v_and_b32_e32 v53, 0x7f, v13
	v_cmpx_ne_u32_e32 0x7f, v53
	s_cbranch_execz .LBB307_143
; %bb.140:                              ;   in Loop: Header=BB307_12 Depth=1
	v_and_b32_e32 v13, 7, v13
	v_lshrrev_b32_e32 v51, 3, v53
	s_mov_b32 s44, exec_lo
	v_cmpx_gt_u32_e32 8, v53
; %bb.141:                              ;   in Loop: Header=BB307_12 Depth=1
	v_ffbh_u32_e32 v51, v13
	v_min_u32_e32 v51, 32, v51
	v_subrev_nc_u32_e32 v53, 28, v51
	v_sub_nc_u32_e32 v51, 29, v51
	v_lshlrev_b64 v[53:54], v53, v[13:14]
	v_and_b32_e32 v13, 7, v53
; %bb.142:                              ;   in Loop: Header=BB307_12 Depth=1
	s_or_b32 exec_lo, exec_lo, s44
	v_lshlrev_b32_e32 v52, 16, v52
	v_lshlrev_b32_e32 v13, 20, v13
	v_lshl_add_u32 v51, v51, 23, 0x3c000000
	v_and_b32_e32 v52, 0x80000000, v52
	v_or3_b32 v51, v13, v52, v51
.LBB307_143:                            ;   in Loop: Header=BB307_12 Depth=1
	s_or_b32 exec_lo, exec_lo, s43
.LBB307_144:                            ;   in Loop: Header=BB307_12 Depth=1
	s_or_b32 exec_lo, exec_lo, s42
.LBB307_145:                            ;   in Loop: Header=BB307_12 Depth=1
	s_or_b32 exec_lo, exec_lo, s41
	global_load_ushort v13, v[19:20], off offset:512
	v_mov_b32_e32 v53, 0
	v_mov_b32_e32 v52, 0
	s_waitcnt vmcnt(0)
	v_and_b32_e32 v54, 0xffff, v13
	v_cmp_ne_u16_sdwa s2, v13, v14 src0_sel:BYTE_0 src1_sel:DWORD
	s_and_saveexec_b32 s41, s2
	s_cbranch_execz .LBB307_153
; %bb.146:                              ;   in Loop: Header=BB307_12 Depth=1
	v_cmp_ne_u16_sdwa s2, v54, v30 src0_sel:BYTE_0 src1_sel:DWORD
	v_bfrev_b32_e32 v52, 1
	s_and_saveexec_b32 s42, s2
	s_cbranch_execz .LBB307_152
; %bb.147:                              ;   in Loop: Header=BB307_12 Depth=1
	v_and_b32_e32 v55, 0x7f, v54
	v_mov_b32_e32 v52, 0x7f800001
	s_mov_b32 s43, exec_lo
	v_cmpx_ne_u32_e32 0x7f, v55
	s_cbranch_execz .LBB307_151
; %bb.148:                              ;   in Loop: Header=BB307_12 Depth=1
	v_and_b32_e32 v13, 7, v54
	v_lshrrev_b32_e32 v52, 3, v55
	s_mov_b32 s44, exec_lo
	v_cmpx_gt_u32_e32 8, v55
; %bb.149:                              ;   in Loop: Header=BB307_12 Depth=1
	v_ffbh_u32_e32 v52, v13
	v_min_u32_e32 v52, 32, v52
	v_subrev_nc_u32_e32 v55, 28, v52
	v_sub_nc_u32_e32 v52, 29, v52
	v_lshlrev_b64 v[55:56], v55, v[13:14]
	v_and_b32_e32 v13, 7, v55
; %bb.150:                              ;   in Loop: Header=BB307_12 Depth=1
	s_or_b32 exec_lo, exec_lo, s44
	v_lshlrev_b32_e32 v55, 24, v54
	v_lshlrev_b32_e32 v13, 20, v13
	v_lshl_add_u32 v52, v52, 23, 0x3c000000
	v_and_b32_e32 v55, 0x80000000, v55
	v_or3_b32 v52, v13, v55, v52
.LBB307_151:                            ;   in Loop: Header=BB307_12 Depth=1
	s_or_b32 exec_lo, exec_lo, s43
.LBB307_152:                            ;   in Loop: Header=BB307_12 Depth=1
	s_or_b32 exec_lo, exec_lo, s42
.LBB307_153:                            ;   in Loop: Header=BB307_12 Depth=1
	s_or_b32 exec_lo, exec_lo, s41
	v_cmp_ne_u16_sdwa s2, v54, v14 src0_sel:BYTE_1 src1_sel:DWORD
	s_and_saveexec_b32 s41, s2
	s_cbranch_execz .LBB307_161
; %bb.154:                              ;   in Loop: Header=BB307_12 Depth=1
	v_cmp_ne_u16_sdwa s2, v54, v30 src0_sel:BYTE_1 src1_sel:DWORD
	v_bfrev_b32_e32 v53, 1
	s_and_saveexec_b32 s42, s2
	s_cbranch_execz .LBB307_160
; %bb.155:                              ;   in Loop: Header=BB307_12 Depth=1
	v_and_b32_sdwa v13, v31, v54 dst_sel:DWORD dst_unused:UNUSED_PAD src0_sel:DWORD src1_sel:BYTE_1
	v_mov_b32_e32 v53, 0x7f800001
	s_mov_b32 s43, exec_lo
	v_and_b32_e32 v55, 0x7f, v13
	v_cmpx_ne_u32_e32 0x7f, v55
	s_cbranch_execz .LBB307_159
; %bb.156:                              ;   in Loop: Header=BB307_12 Depth=1
	v_and_b32_e32 v13, 7, v13
	v_lshrrev_b32_e32 v53, 3, v55
	s_mov_b32 s44, exec_lo
	v_cmpx_gt_u32_e32 8, v55
; %bb.157:                              ;   in Loop: Header=BB307_12 Depth=1
	v_ffbh_u32_e32 v53, v13
	v_min_u32_e32 v53, 32, v53
	v_subrev_nc_u32_e32 v55, 28, v53
	v_sub_nc_u32_e32 v53, 29, v53
	v_lshlrev_b64 v[55:56], v55, v[13:14]
	v_and_b32_e32 v13, 7, v55
; %bb.158:                              ;   in Loop: Header=BB307_12 Depth=1
	s_or_b32 exec_lo, exec_lo, s44
	v_lshlrev_b32_e32 v54, 16, v54
	v_lshlrev_b32_e32 v13, 20, v13
	v_lshl_add_u32 v53, v53, 23, 0x3c000000
	v_and_b32_e32 v54, 0x80000000, v54
	v_or3_b32 v53, v13, v54, v53
.LBB307_159:                            ;   in Loop: Header=BB307_12 Depth=1
	s_or_b32 exec_lo, exec_lo, s43
.LBB307_160:                            ;   in Loop: Header=BB307_12 Depth=1
	s_or_b32 exec_lo, exec_lo, s42
.LBB307_161:                            ;   in Loop: Header=BB307_12 Depth=1
	s_or_b32 exec_lo, exec_lo, s41
	global_load_ushort v13, v[19:20], off offset:520
	v_mov_b32_e32 v55, 0
	v_mov_b32_e32 v54, 0
	s_waitcnt vmcnt(0)
	v_and_b32_e32 v56, 0xffff, v13
	v_cmp_ne_u16_sdwa s2, v13, v14 src0_sel:BYTE_0 src1_sel:DWORD
	s_and_saveexec_b32 s41, s2
	s_cbranch_execz .LBB307_169
; %bb.162:                              ;   in Loop: Header=BB307_12 Depth=1
	v_cmp_ne_u16_sdwa s2, v56, v30 src0_sel:BYTE_0 src1_sel:DWORD
	v_bfrev_b32_e32 v54, 1
	s_and_saveexec_b32 s42, s2
	s_cbranch_execz .LBB307_168
; %bb.163:                              ;   in Loop: Header=BB307_12 Depth=1
	v_and_b32_e32 v57, 0x7f, v56
	v_mov_b32_e32 v54, 0x7f800001
	s_mov_b32 s43, exec_lo
	v_cmpx_ne_u32_e32 0x7f, v57
	s_cbranch_execz .LBB307_167
; %bb.164:                              ;   in Loop: Header=BB307_12 Depth=1
	v_and_b32_e32 v13, 7, v56
	v_lshrrev_b32_e32 v54, 3, v57
	s_mov_b32 s44, exec_lo
	v_cmpx_gt_u32_e32 8, v57
; %bb.165:                              ;   in Loop: Header=BB307_12 Depth=1
	v_ffbh_u32_e32 v54, v13
	v_min_u32_e32 v54, 32, v54
	v_subrev_nc_u32_e32 v57, 28, v54
	v_sub_nc_u32_e32 v54, 29, v54
	v_lshlrev_b64 v[57:58], v57, v[13:14]
	v_and_b32_e32 v13, 7, v57
; %bb.166:                              ;   in Loop: Header=BB307_12 Depth=1
	s_or_b32 exec_lo, exec_lo, s44
	v_lshlrev_b32_e32 v57, 24, v56
	v_lshlrev_b32_e32 v13, 20, v13
	v_lshl_add_u32 v54, v54, 23, 0x3c000000
	v_and_b32_e32 v57, 0x80000000, v57
	v_or3_b32 v54, v13, v57, v54
.LBB307_167:                            ;   in Loop: Header=BB307_12 Depth=1
	s_or_b32 exec_lo, exec_lo, s43
.LBB307_168:                            ;   in Loop: Header=BB307_12 Depth=1
	s_or_b32 exec_lo, exec_lo, s42
.LBB307_169:                            ;   in Loop: Header=BB307_12 Depth=1
	s_or_b32 exec_lo, exec_lo, s41
	v_cmp_ne_u16_sdwa s2, v56, v14 src0_sel:BYTE_1 src1_sel:DWORD
	s_and_saveexec_b32 s41, s2
	s_cbranch_execz .LBB307_177
; %bb.170:                              ;   in Loop: Header=BB307_12 Depth=1
	v_cmp_ne_u16_sdwa s2, v56, v30 src0_sel:BYTE_1 src1_sel:DWORD
	v_bfrev_b32_e32 v55, 1
	s_and_saveexec_b32 s42, s2
	s_cbranch_execz .LBB307_176
; %bb.171:                              ;   in Loop: Header=BB307_12 Depth=1
	v_and_b32_sdwa v13, v31, v56 dst_sel:DWORD dst_unused:UNUSED_PAD src0_sel:DWORD src1_sel:BYTE_1
	v_mov_b32_e32 v55, 0x7f800001
	s_mov_b32 s43, exec_lo
	v_and_b32_e32 v57, 0x7f, v13
	v_cmpx_ne_u32_e32 0x7f, v57
	s_cbranch_execz .LBB307_175
; %bb.172:                              ;   in Loop: Header=BB307_12 Depth=1
	v_and_b32_e32 v13, 7, v13
	v_lshrrev_b32_e32 v55, 3, v57
	s_mov_b32 s44, exec_lo
	v_cmpx_gt_u32_e32 8, v57
; %bb.173:                              ;   in Loop: Header=BB307_12 Depth=1
	v_ffbh_u32_e32 v55, v13
	v_min_u32_e32 v55, 32, v55
	v_subrev_nc_u32_e32 v57, 28, v55
	v_sub_nc_u32_e32 v55, 29, v55
	v_lshlrev_b64 v[57:58], v57, v[13:14]
	v_and_b32_e32 v13, 7, v57
; %bb.174:                              ;   in Loop: Header=BB307_12 Depth=1
	s_or_b32 exec_lo, exec_lo, s44
	v_lshlrev_b32_e32 v56, 16, v56
	v_lshlrev_b32_e32 v13, 20, v13
	v_lshl_add_u32 v55, v55, 23, 0x3c000000
	v_and_b32_e32 v56, 0x80000000, v56
	v_or3_b32 v55, v13, v56, v55
.LBB307_175:                            ;   in Loop: Header=BB307_12 Depth=1
	s_or_b32 exec_lo, exec_lo, s43
.LBB307_176:                            ;   in Loop: Header=BB307_12 Depth=1
	s_or_b32 exec_lo, exec_lo, s42
.LBB307_177:                            ;   in Loop: Header=BB307_12 Depth=1
	s_or_b32 exec_lo, exec_lo, s41
	global_load_ushort v13, v[19:20], off offset:640
	v_mov_b32_e32 v57, 0
	v_mov_b32_e32 v56, 0
	s_waitcnt vmcnt(0)
	v_and_b32_e32 v58, 0xffff, v13
	v_cmp_ne_u16_sdwa s2, v13, v14 src0_sel:BYTE_0 src1_sel:DWORD
	s_and_saveexec_b32 s41, s2
	s_cbranch_execz .LBB307_185
; %bb.178:                              ;   in Loop: Header=BB307_12 Depth=1
	v_cmp_ne_u16_sdwa s2, v58, v30 src0_sel:BYTE_0 src1_sel:DWORD
	v_bfrev_b32_e32 v56, 1
	s_and_saveexec_b32 s42, s2
	s_cbranch_execz .LBB307_184
; %bb.179:                              ;   in Loop: Header=BB307_12 Depth=1
	v_and_b32_e32 v59, 0x7f, v58
	v_mov_b32_e32 v56, 0x7f800001
	s_mov_b32 s43, exec_lo
	v_cmpx_ne_u32_e32 0x7f, v59
	s_cbranch_execz .LBB307_183
; %bb.180:                              ;   in Loop: Header=BB307_12 Depth=1
	v_and_b32_e32 v13, 7, v58
	v_lshrrev_b32_e32 v56, 3, v59
	s_mov_b32 s44, exec_lo
	v_cmpx_gt_u32_e32 8, v59
; %bb.181:                              ;   in Loop: Header=BB307_12 Depth=1
	v_ffbh_u32_e32 v56, v13
	v_min_u32_e32 v56, 32, v56
	v_subrev_nc_u32_e32 v59, 28, v56
	v_sub_nc_u32_e32 v56, 29, v56
	v_lshlrev_b64 v[59:60], v59, v[13:14]
	v_and_b32_e32 v13, 7, v59
; %bb.182:                              ;   in Loop: Header=BB307_12 Depth=1
	s_or_b32 exec_lo, exec_lo, s44
	v_lshlrev_b32_e32 v59, 24, v58
	v_lshlrev_b32_e32 v13, 20, v13
	v_lshl_add_u32 v56, v56, 23, 0x3c000000
	v_and_b32_e32 v59, 0x80000000, v59
	v_or3_b32 v56, v13, v59, v56
.LBB307_183:                            ;   in Loop: Header=BB307_12 Depth=1
	s_or_b32 exec_lo, exec_lo, s43
.LBB307_184:                            ;   in Loop: Header=BB307_12 Depth=1
	s_or_b32 exec_lo, exec_lo, s42
.LBB307_185:                            ;   in Loop: Header=BB307_12 Depth=1
	s_or_b32 exec_lo, exec_lo, s41
	v_cmp_ne_u16_sdwa s2, v58, v14 src0_sel:BYTE_1 src1_sel:DWORD
	s_and_saveexec_b32 s41, s2
	s_cbranch_execz .LBB307_193
; %bb.186:                              ;   in Loop: Header=BB307_12 Depth=1
	v_cmp_ne_u16_sdwa s2, v58, v30 src0_sel:BYTE_1 src1_sel:DWORD
	v_bfrev_b32_e32 v57, 1
	s_and_saveexec_b32 s42, s2
	s_cbranch_execz .LBB307_192
; %bb.187:                              ;   in Loop: Header=BB307_12 Depth=1
	v_and_b32_sdwa v13, v31, v58 dst_sel:DWORD dst_unused:UNUSED_PAD src0_sel:DWORD src1_sel:BYTE_1
	v_mov_b32_e32 v57, 0x7f800001
	s_mov_b32 s43, exec_lo
	v_and_b32_e32 v59, 0x7f, v13
	v_cmpx_ne_u32_e32 0x7f, v59
	s_cbranch_execz .LBB307_191
; %bb.188:                              ;   in Loop: Header=BB307_12 Depth=1
	v_and_b32_e32 v13, 7, v13
	v_lshrrev_b32_e32 v57, 3, v59
	s_mov_b32 s44, exec_lo
	v_cmpx_gt_u32_e32 8, v59
; %bb.189:                              ;   in Loop: Header=BB307_12 Depth=1
	v_ffbh_u32_e32 v57, v13
	v_min_u32_e32 v57, 32, v57
	v_subrev_nc_u32_e32 v59, 28, v57
	v_sub_nc_u32_e32 v57, 29, v57
	v_lshlrev_b64 v[59:60], v59, v[13:14]
	v_and_b32_e32 v13, 7, v59
; %bb.190:                              ;   in Loop: Header=BB307_12 Depth=1
	s_or_b32 exec_lo, exec_lo, s44
	v_lshlrev_b32_e32 v58, 16, v58
	v_lshlrev_b32_e32 v13, 20, v13
	v_lshl_add_u32 v57, v57, 23, 0x3c000000
	v_and_b32_e32 v58, 0x80000000, v58
	v_or3_b32 v57, v13, v58, v57
.LBB307_191:                            ;   in Loop: Header=BB307_12 Depth=1
	s_or_b32 exec_lo, exec_lo, s43
.LBB307_192:                            ;   in Loop: Header=BB307_12 Depth=1
	s_or_b32 exec_lo, exec_lo, s42
.LBB307_193:                            ;   in Loop: Header=BB307_12 Depth=1
	s_or_b32 exec_lo, exec_lo, s41
	global_load_ushort v13, v[19:20], off offset:648
	v_mov_b32_e32 v19, 0
	v_mov_b32_e32 v58, 0
	s_waitcnt vmcnt(0)
	v_and_b32_e32 v20, 0xffff, v13
	v_cmp_ne_u16_sdwa s2, v13, v14 src0_sel:BYTE_0 src1_sel:DWORD
	s_and_saveexec_b32 s41, s2
	s_cbranch_execz .LBB307_201
; %bb.194:                              ;   in Loop: Header=BB307_12 Depth=1
	v_cmp_ne_u16_sdwa s2, v20, v30 src0_sel:BYTE_0 src1_sel:DWORD
	v_bfrev_b32_e32 v58, 1
	s_and_saveexec_b32 s42, s2
	s_cbranch_execz .LBB307_200
; %bb.195:                              ;   in Loop: Header=BB307_12 Depth=1
	v_and_b32_e32 v59, 0x7f, v20
	v_mov_b32_e32 v58, 0x7f800001
	s_mov_b32 s43, exec_lo
	v_cmpx_ne_u32_e32 0x7f, v59
	s_cbranch_execz .LBB307_199
; %bb.196:                              ;   in Loop: Header=BB307_12 Depth=1
	v_and_b32_e32 v13, 7, v20
	v_lshrrev_b32_e32 v58, 3, v59
	s_mov_b32 s44, exec_lo
	v_cmpx_gt_u32_e32 8, v59
; %bb.197:                              ;   in Loop: Header=BB307_12 Depth=1
	v_ffbh_u32_e32 v58, v13
	v_min_u32_e32 v58, 32, v58
	v_subrev_nc_u32_e32 v59, 28, v58
	v_sub_nc_u32_e32 v58, 29, v58
	v_lshlrev_b64 v[59:60], v59, v[13:14]
	v_and_b32_e32 v13, 7, v59
; %bb.198:                              ;   in Loop: Header=BB307_12 Depth=1
	s_or_b32 exec_lo, exec_lo, s44
	v_lshlrev_b32_e32 v59, 24, v20
	v_lshlrev_b32_e32 v13, 20, v13
	v_lshl_add_u32 v58, v58, 23, 0x3c000000
	v_and_b32_e32 v59, 0x80000000, v59
	v_or3_b32 v58, v13, v59, v58
.LBB307_199:                            ;   in Loop: Header=BB307_12 Depth=1
	s_or_b32 exec_lo, exec_lo, s43
.LBB307_200:                            ;   in Loop: Header=BB307_12 Depth=1
	s_or_b32 exec_lo, exec_lo, s42
.LBB307_201:                            ;   in Loop: Header=BB307_12 Depth=1
	s_or_b32 exec_lo, exec_lo, s41
	v_cmp_ne_u16_sdwa s2, v20, v14 src0_sel:BYTE_1 src1_sel:DWORD
	s_and_saveexec_b32 s41, s2
	s_cbranch_execz .LBB307_209
; %bb.202:                              ;   in Loop: Header=BB307_12 Depth=1
	v_cmp_ne_u16_sdwa s2, v20, v30 src0_sel:BYTE_1 src1_sel:DWORD
	v_bfrev_b32_e32 v19, 1
	s_and_saveexec_b32 s42, s2
	s_cbranch_execz .LBB307_208
; %bb.203:                              ;   in Loop: Header=BB307_12 Depth=1
	v_and_b32_sdwa v13, v31, v20 dst_sel:DWORD dst_unused:UNUSED_PAD src0_sel:DWORD src1_sel:BYTE_1
	v_mov_b32_e32 v19, 0x7f800001
	s_mov_b32 s43, exec_lo
	v_and_b32_e32 v59, 0x7f, v13
	v_cmpx_ne_u32_e32 0x7f, v59
	s_cbranch_execz .LBB307_207
; %bb.204:                              ;   in Loop: Header=BB307_12 Depth=1
	v_and_b32_e32 v13, 7, v13
	v_lshrrev_b32_e32 v19, 3, v59
	s_mov_b32 s44, exec_lo
	v_cmpx_gt_u32_e32 8, v59
; %bb.205:                              ;   in Loop: Header=BB307_12 Depth=1
	v_ffbh_u32_e32 v19, v13
	v_min_u32_e32 v19, 32, v19
	v_subrev_nc_u32_e32 v59, 28, v19
	v_sub_nc_u32_e32 v19, 29, v19
	v_lshlrev_b64 v[59:60], v59, v[13:14]
	v_and_b32_e32 v13, 7, v59
; %bb.206:                              ;   in Loop: Header=BB307_12 Depth=1
	s_or_b32 exec_lo, exec_lo, s44
	v_lshlrev_b32_e32 v20, 16, v20
	v_lshlrev_b32_e32 v13, 20, v13
	v_lshl_add_u32 v19, v19, 23, 0x3c000000
	v_and_b32_e32 v20, 0x80000000, v20
	v_or3_b32 v19, v13, v20, v19
.LBB307_207:                            ;   in Loop: Header=BB307_12 Depth=1
	s_or_b32 exec_lo, exec_lo, s43
.LBB307_208:                            ;   in Loop: Header=BB307_12 Depth=1
	s_or_b32 exec_lo, exec_lo, s42
.LBB307_209:                            ;   in Loop: Header=BB307_12 Depth=1
	s_or_b32 exec_lo, exec_lo, s41
	s_waitcnt lgkmcnt(0)
	v_mul_f32_e32 v13, s40, v58
	v_mul_f32_e32 v20, s40, v57
	v_mul_f32_e32 v56, s40, v56
	v_mul_f32_e32 v55, s40, v55
	v_mul_f32_e32 v50, s40, v50
	v_bfe_u32 v57, v13, 16, 1
	v_bfe_u32 v58, v20, 16, 1
	v_or_b32_e32 v59, 0x400000, v13
	v_cmp_u_f32_e64 s2, v13, v13
	v_or_b32_e32 v60, 0x400000, v20
	v_add3_u32 v57, v57, v13, 0x7fff
	v_bfe_u32 v61, v56, 16, 1
	v_add3_u32 v58, v58, v20, 0x7fff
	v_bfe_u32 v62, v55, 16, 1
	v_mul_f32_e32 v49, s40, v49
	v_cndmask_b32_e64 v13, v57, v59, s2
	v_cmp_u_f32_e64 s2, v20, v20
	v_add3_u32 v57, v61, v56, 0x7fff
	v_add3_u32 v59, v62, v55, 0x7fff
	v_or_b32_e32 v61, 0x400000, v55
	v_mul_f32_e32 v48, s40, v48
	v_cndmask_b32_e64 v20, v58, v60, s2
	v_mul_f32_e32 v58, s40, v54
	v_or_b32_e32 v54, 0x400000, v56
	v_cmp_u_f32_e64 s2, v56, v56
	v_mul_f32_e32 v60, s40, v53
	v_mul_f32_e32 v47, s40, v47
	v_bfe_u32 v62, v58, 16, 1
	v_mul_f32_e32 v46, s40, v46
	v_cndmask_b32_e64 v53, v57, v54, s2
	v_cmp_u_f32_e64 s2, v55, v55
	v_bfe_u32 v56, v60, 16, 1
	v_add3_u32 v55, v62, v58, 0x7fff
	v_mul_f32_e32 v57, s40, v52
	v_or_b32_e32 v52, 0x400000, v58
	v_cndmask_b32_e64 v54, v59, v61, s2
	v_cmp_u_f32_e64 s2, v58, v58
	v_add3_u32 v56, v56, v60, 0x7fff
	v_mul_f32_e32 v59, s40, v51
	v_or_b32_e32 v61, 0x400000, v60
	v_bfe_u32 v62, v57, 16, 1
	v_cndmask_b32_e64 v51, v55, v52, s2
	v_cmp_u_f32_e64 s2, v60, v60
	v_bfe_u32 v55, v59, 16, 1
	v_or_b32_e32 v58, 0x400000, v57
	v_or_b32_e32 v60, 0x400000, v59
	v_mul_f32_e32 v45, s40, v45
	v_cndmask_b32_e64 v52, v56, v61, s2
	v_add3_u32 v56, v62, v57, 0x7fff
	v_cmp_u_f32_e64 s2, v57, v57
	v_add3_u32 v55, v55, v59, 0x7fff
	v_bfe_u32 v61, v50, 16, 1
	v_bfe_u32 v57, v49, 16, 1
	v_mul_f32_e32 v44, s40, v44
	v_cndmask_b32_e64 v56, v56, v58, s2
	v_cmp_u_f32_e64 s2, v59, v59
	v_add3_u32 v58, v61, v50, 0x7fff
	v_or_b32_e32 v59, 0x400000, v50
	v_add3_u32 v57, v57, v49, 0x7fff
	v_bfe_u32 v61, v48, 16, 1
	v_cndmask_b32_e64 v55, v55, v60, s2
	v_cmp_u_f32_e64 s2, v50, v50
	v_or_b32_e32 v60, 0x400000, v49
	v_mul_f32_e32 v43, s40, v43
	v_mul_f32_e32 v42, s40, v42
	;; [unrolled: 1-line block ×3, first 2 shown]
	v_cndmask_b32_e64 v50, v58, v59, s2
	v_cmp_u_f32_e64 s2, v49, v49
	v_bfe_u32 v58, v47, 16, 1
	v_or_b32_e32 v59, 0x400000, v48
	v_bfe_u32 v62, v41, 16, 1
	v_mul_f32_e32 v39, s40, v39
	v_cndmask_b32_e64 v49, v57, v60, s2
	v_add3_u32 v57, v61, v48, 0x7fff
	v_cmp_u_f32_e64 s2, v48, v48
	v_add3_u32 v58, v58, v47, 0x7fff
	v_or_b32_e32 v60, 0x400000, v47
	v_bfe_u32 v61, v46, 16, 1
	v_mul_f32_e32 v38, s40, v38
	v_cndmask_b32_e64 v48, v57, v59, s2
	v_cmp_u_f32_e64 s2, v47, v47
	v_bfe_u32 v57, v45, 16, 1
	v_or_b32_e32 v59, 0x400000, v46
	v_mul_f32_e32 v37, s40, v37
	v_or_b32_e32 v64, 0x400000, v39
	v_cndmask_b32_e64 v47, v58, v60, s2
	v_add3_u32 v58, v61, v46, 0x7fff
	v_cmp_u_f32_e64 s2, v46, v46
	v_add3_u32 v57, v57, v45, 0x7fff
	v_or_b32_e32 v60, 0x400000, v45
	v_bfe_u32 v61, v44, 16, 1
	v_bfe_u32 v65, v38, 16, 1
	v_cndmask_b32_e64 v46, v58, v59, s2
	v_bfe_u32 v58, v43, 16, 1
	v_cmp_u_f32_e64 s2, v45, v45
	v_or_b32_e32 v59, 0x400000, v43
	v_mul_f32_e32 v36, s40, v36
	v_bfe_u32 v66, v37, 16, 1
	v_add3_u32 v58, v58, v43, 0x7fff
	v_cndmask_b32_e64 v45, v57, v60, s2
	v_add3_u32 v57, v61, v44, 0x7fff
	v_bfe_u32 v61, v42, 16, 1
	v_cmp_u_f32_e64 s2, v43, v43
	v_mul_f32_e32 v40, s40, v40
	v_add3_u32 v66, v66, v37, 0x7fff
	v_or_b32_e32 v67, 0x400000, v37
	v_or_b32_e32 v68, 0x400000, v36
	v_cndmask_b32_e64 v43, v58, v59, s2
	v_add3_u32 v58, v61, v42, 0x7fff
	v_add3_u32 v59, v62, v41, 0x7fff
	v_or_b32_e32 v61, 0x400000, v41
	v_cmp_u_f32_e64 s2, v41, v41
	v_bfe_u32 v62, v40, 16, 1
	v_or_b32_e32 v63, 0x400000, v42
	v_or_b32_e32 v60, 0x400000, v44
	v_mul_f32_e32 v19, s40, v19
	v_cndmask_b32_e64 v41, v59, v61, s2
	v_bfe_u32 v59, v39, 16, 1
	v_cmp_u_f32_e64 s2, v39, v39
	v_add3_u32 v61, v62, v40, 0x7fff
	v_or_b32_e32 v62, 0x400000, v40
	v_add3_u32 v59, v59, v39, 0x7fff
	v_cndmask_b32_e64 v39, v59, v64, s2
	v_add3_u32 v64, v65, v38, 0x7fff
	v_or_b32_e32 v65, 0x400000, v38
	v_cmp_u_f32_e64 s2, v38, v38
	v_bfe_u32 v59, v36, 16, 1
	v_and_b32_e32 v39, 0xffff0000, v39
	v_cndmask_b32_e64 v38, v64, v65, s2
	v_cmp_u_f32_e64 s2, v37, v37
	v_add3_u32 v59, v59, v36, 0x7fff
	v_lshlrev_b32_e32 v64, 16, v10
	v_and_b32_e32 v10, 0xffff0000, v10
	v_and_b32_e32 v38, 0xffff0000, v38
	v_cndmask_b32_e64 v37, v66, v67, s2
	v_cmp_u_f32_e64 s2, v36, v36
	v_mul_f32_e32 v10, v10, v39
	v_mul_f32_e32 v38, v64, v38
	v_and_b32_e32 v37, 0xffff0000, v37
	v_cndmask_b32_e64 v36, v59, v68, s2
	v_cmp_u_f32_e64 s2, v40, v40
	v_lshlrev_b32_e32 v59, 16, v9
	v_and_b32_e32 v9, 0xffff0000, v9
	v_lshlrev_b32_e32 v40, 16, v11
	v_and_b32_e32 v36, 0xffff0000, v36
	v_cndmask_b32_e64 v39, v61, v62, s2
	v_cmp_u_f32_e64 s2, v42, v42
	v_and_b32_e32 v11, 0xffff0000, v11
	v_fmac_f32_e32 v10, v9, v37
	v_fmac_f32_e32 v38, v59, v36
	v_and_b32_e32 v9, 0xffff0000, v39
	v_and_b32_e32 v36, 0xffff0000, v41
	v_cndmask_b32_e64 v37, v58, v63, s2
	v_cmp_u_f32_e64 s2, v44, v44
	v_lshlrev_b32_e32 v39, 16, v12
	v_and_b32_e32 v12, 0xffff0000, v12
	v_fmac_f32_e32 v38, v40, v9
	v_fmac_f32_e32 v10, v11, v36
	v_and_b32_e32 v9, 0xffff0000, v37
	v_and_b32_e32 v11, 0xffff0000, v43
	v_cndmask_b32_e64 v36, v57, v60, s2
	v_lshlrev_b32_e32 v37, 16, v5
	v_and_b32_e32 v5, 0xffff0000, v5
	v_fmac_f32_e32 v38, v39, v9
	v_fmac_f32_e32 v10, v12, v11
	v_and_b32_e32 v9, 0xffff0000, v36
	v_and_b32_e32 v11, 0xffff0000, v45
	v_lshlrev_b32_e32 v12, 16, v6
	v_and_b32_e32 v6, 0xffff0000, v6
	v_lshlrev_b32_e32 v36, 16, v7
	v_fmac_f32_e32 v38, v37, v9
	v_fmac_f32_e32 v10, v5, v11
	v_and_b32_e32 v5, 0xffff0000, v46
	v_and_b32_e32 v9, 0xffff0000, v47
	;; [unrolled: 1-line block ×3, first 2 shown]
	v_lshlrev_b32_e32 v11, 16, v8
	v_and_b32_e32 v8, 0xffff0000, v8
	v_fmac_f32_e32 v38, v12, v5
	v_fmac_f32_e32 v10, v6, v9
	v_and_b32_e32 v5, 0xffff0000, v48
	v_and_b32_e32 v6, 0xffff0000, v49
	v_lshlrev_b32_e32 v37, 16, v1
	v_and_b32_e32 v1, 0xffff0000, v1
	v_lshlrev_b32_e32 v9, 16, v2
	v_fmac_f32_e32 v38, v36, v5
	v_fmac_f32_e32 v10, v7, v6
	v_and_b32_e32 v5, 0xffff0000, v50
	v_and_b32_e32 v6, 0xffff0000, v55
	v_and_b32_e32 v2, 0xffff0000, v2
	v_cmp_u_f32_e64 s2, v19, v19
	v_lshlrev_b32_e32 v12, 16, v3
	v_fmac_f32_e32 v38, v11, v5
	v_fmac_f32_e32 v10, v8, v6
	v_and_b32_e32 v5, 0xffff0000, v56
	v_and_b32_e32 v6, 0xffff0000, v52
	v_bfe_u32 v11, v19, 16, 1
	v_xor_b32_e32 v8, 2, v24
	v_and_b32_e32 v3, 0xffff0000, v3
	v_fmac_f32_e32 v38, v37, v5
	v_fmac_f32_e32 v10, v1, v6
	v_and_b32_e32 v1, 0xffff0000, v51
	v_and_b32_e32 v5, 0xffff0000, v54
	v_add3_u32 v6, v11, v19, 0x7fff
	v_or_b32_e32 v11, 0x400000, v19
	v_lshlrev_b32_e32 v7, 16, v4
	v_fmac_f32_e32 v38, v9, v1
	v_fmac_f32_e32 v10, v2, v5
	v_and_b32_e32 v1, 0xffff0000, v53
	v_and_b32_e32 v2, 0xffff0000, v20
	v_cndmask_b32_e64 v5, v6, v11, s2
	v_and_b32_e32 v4, 0xffff0000, v4
	v_cmp_gt_i32_e64 s2, 32, v8
	v_fmac_f32_e32 v38, v12, v1
	v_fmac_f32_e32 v10, v3, v2
	v_and_b32_e32 v1, 0xffff0000, v13
	v_and_b32_e32 v2, 0xffff0000, v5
	v_cndmask_b32_e64 v3, v24, v8, s2
	v_fmac_f32_e32 v38, v7, v1
	v_fmac_f32_e32 v10, v4, v2
	v_lshlrev_b32_e32 v1, 2, v3
	v_xor_b32_e32 v3, 1, v24
	v_add_f32_e32 v2, v38, v10
	v_cmp_gt_i32_e64 s2, 32, v3
	ds_bpermute_b32 v1, v1, v2
	v_cndmask_b32_e64 v3, v24, v3, s2
	v_lshlrev_b32_e32 v3, 2, v3
	s_waitcnt lgkmcnt(0)
	v_add_f32_e32 v1, v2, v1
	ds_bpermute_b32 v2, v3, v1
	s_and_saveexec_b32 s40, vcc_lo
	s_cbranch_execz .LBB307_10
; %bb.210:                              ;   in Loop: Header=BB307_12 Depth=1
	v_add_nc_u32_e32 v3, v32, v28
	s_waitcnt lgkmcnt(0)
	v_add_f32_e32 v1, v1, v2
	v_cvt_f32_i32_e32 v3, v3
	v_mul_f32_e32 v3, s36, v3
	v_cndmask_b32_e64 v2, 0, v3, s1
	v_max_f32_e32 v3, v25, v25
	v_fmac_f32_e32 v2, s35, v1
	v_add_nc_u32_e32 v1, v23, v28
	v_max_f32_e32 v3, v3, v2
	v_cmp_gt_i32_e64 s2, s11, v1
	v_cndmask_b32_e64 v1, 0, v2, s2
	v_cndmask_b32_e64 v25, v25, v3, s2
	ds_write_b32 v33, v1
	s_branch .LBB307_10
.LBB307_211:
	s_or_b32 exec_lo, exec_lo, s38
.LBB307_212:
	s_or_b32 exec_lo, exec_lo, s37
	v_xor_b32_e32 v1, 16, v24
	v_xor_b32_e32 v3, 8, v24
	v_max_f32_e32 v4, v25, v25
	v_xor_b32_e32 v5, 4, v24
	v_and_b32_e32 v23, 31, v0
	v_cmp_gt_i32_e32 vcc_lo, 32, v1
	v_cndmask_b32_e32 v1, v24, v1, vcc_lo
	v_cmp_gt_i32_e32 vcc_lo, 32, v3
	s_waitcnt lgkmcnt(0)
	v_lshlrev_b32_e32 v2, 2, v1
	v_cndmask_b32_e32 v3, v24, v3, vcc_lo
	v_cmp_gt_i32_e32 vcc_lo, 32, v5
	ds_bpermute_b32 v1, v2, v25
	v_lshlrev_b32_e32 v3, 2, v3
	v_cndmask_b32_e32 v5, v24, v5, vcc_lo
	v_cmp_eq_u32_e32 vcc_lo, 0, v23
	v_lshlrev_b32_e32 v6, 2, v5
	s_waitcnt lgkmcnt(0)
	v_max_f32_e32 v1, v1, v1
	v_max_f32_e32 v1, v4, v1
	ds_bpermute_b32 v4, v3, v1
	s_waitcnt lgkmcnt(0)
	v_max_f32_e32 v4, v4, v4
	v_max_f32_e32 v1, v1, v4
	v_lshlrev_b32_e32 v4, 2, v21
	ds_bpermute_b32 v5, v6, v1
	s_and_saveexec_b32 s1, vcc_lo
	s_cbranch_execz .LBB307_214
; %bb.213:
	s_waitcnt lgkmcnt(0)
	v_max_f32_e32 v5, v5, v5
	v_max_f32_e32 v1, v1, v1
	;; [unrolled: 1-line block ×3, first 2 shown]
	ds_write_b32 v4, v1 offset:192
.LBB307_214:
	s_or_b32 exec_lo, exec_lo, s1
	v_cmp_gt_u32_e64 s1, 4, v23
	v_mov_b32_e32 v1, 0xff7fffff
	s_waitcnt lgkmcnt(0)
	v_lshlrev_b32_e32 v5, 2, v23
	s_barrier
	buffer_gl0_inv
	s_and_saveexec_b32 s2, s1
; %bb.215:
	ds_read_b32 v1, v5 offset:192
; %bb.216:
	s_or_b32 exec_lo, exec_lo, s2
	v_xor_b32_e32 v7, 2, v24
	v_xor_b32_e32 v9, 1, v24
	v_cmp_gt_i32_e64 s2, 32, v7
	v_cndmask_b32_e64 v7, v24, v7, s2
	v_cmp_gt_i32_e64 s2, 32, v9
	v_lshlrev_b32_e32 v7, 2, v7
	v_cndmask_b32_e64 v9, v24, v9, s2
	s_lshl_b32 s2, s20, 3
	s_min_i32 s4, s2, s11
	s_waitcnt lgkmcnt(0)
	ds_bpermute_b32 v8, v7, v1
	v_max_f32_e32 v1, v1, v1
	v_cmp_gt_i32_e64 s2, s4, v0
	s_waitcnt lgkmcnt(0)
	v_max_f32_e32 v10, v8, v8
	v_lshlrev_b32_e32 v8, 2, v9
	v_max_f32_e32 v1, v1, v10
	ds_bpermute_b32 v9, v8, v1
	s_waitcnt lgkmcnt(0)
	v_max_f32_e32 v9, v9, v9
	v_max_f32_e32 v1, v1, v9
	v_mov_b32_e32 v9, 0
	ds_bpermute_b32 v10, v9, v1
	v_lshl_add_u32 v1, v0, 2, 0xe0
	s_and_saveexec_b32 s5, s2
	s_cbranch_execz .LBB307_220
; %bb.217:
	v_lshl_add_u32 v11, v0, 2, 0xe0
	v_mov_b32_e32 v9, 0
	v_mov_b32_e32 v12, v0
	s_mov_b32 s12, 0
	.p2align	6
.LBB307_218:                            ; =>This Inner Loop Header: Depth=1
	ds_read_b32 v13, v11
	v_add_nc_u32_e32 v12, 0x80, v12
	v_cmp_le_i32_e64 s3, s4, v12
	s_or_b32 s12, s3, s12
	s_waitcnt lgkmcnt(0)
	v_sub_f32_e32 v13, v13, v10
	v_mul_f32_e32 v13, 0x3fb8aa3b, v13
	v_exp_f32_e32 v13, v13
	ds_write_b32 v11, v13
	v_add_f32_e32 v9, v9, v13
	v_add_nc_u32_e32 v11, 0x200, v11
	s_andn2_b32 exec_lo, exec_lo, s12
	s_cbranch_execnz .LBB307_218
; %bb.219:
	s_or_b32 exec_lo, exec_lo, s12
.LBB307_220:
	s_or_b32 exec_lo, exec_lo, s5
	ds_bpermute_b32 v2, v2, v9
	s_waitcnt lgkmcnt(0)
	v_add_f32_e32 v2, v9, v2
	ds_bpermute_b32 v3, v3, v2
	s_waitcnt lgkmcnt(0)
	v_add_f32_e32 v2, v2, v3
	;; [unrolled: 3-line block ×5, first 2 shown]
	s_and_saveexec_b32 s3, vcc_lo
; %bb.221:
	ds_write_b32 v4, v2 offset:208
; %bb.222:
	s_or_b32 exec_lo, exec_lo, s3
	s_waitcnt lgkmcnt(0)
	s_barrier
	buffer_gl0_inv
	s_and_saveexec_b32 s3, s1
; %bb.223:
	ds_read_b32 v2, v5 offset:208
; %bb.224:
	s_or_b32 exec_lo, exec_lo, s3
	s_waitcnt lgkmcnt(0)
	ds_bpermute_b32 v3, v7, v2
	s_waitcnt lgkmcnt(0)
	v_add_f32_e32 v2, v2, v3
	ds_bpermute_b32 v3, v8, v2
	s_waitcnt lgkmcnt(0)
	v_add_f32_e32 v2, v2, v3
	v_mov_b32_e32 v3, 0
	ds_bpermute_b32 v2, v3, v2
	s_and_saveexec_b32 s1, s2
	s_cbranch_execz .LBB307_227
; %bb.225:
	s_waitcnt lgkmcnt(0)
	v_add_f32_e32 v2, 0x358637bd, v2
	s_mov_b32 s2, 0
	v_div_scale_f32 v3, null, v2, v2, 1.0
	v_div_scale_f32 v6, vcc_lo, 1.0, v2, 1.0
	v_rcp_f32_e32 v4, v3
	v_fma_f32 v5, -v3, v4, 1.0
	v_fmac_f32_e32 v4, v5, v4
	v_mul_f32_e32 v5, v6, v4
	v_fma_f32 v7, -v3, v5, v6
	v_fmac_f32_e32 v5, v7, v4
	v_fma_f32 v3, -v3, v5, v6
	v_div_fmas_f32 v3, v3, v4, v5
	v_div_fixup_f32 v2, v3, v2, 1.0
	v_mov_b32_e32 v3, v0
.LBB307_226:                            ; =>This Inner Loop Header: Depth=1
	ds_read_b32 v4, v1
	v_add_nc_u32_e32 v3, 0x80, v3
	v_cmp_le_i32_e32 vcc_lo, s4, v3
	s_or_b32 s2, vcc_lo, s2
	s_waitcnt lgkmcnt(0)
	v_mul_f32_e32 v4, v2, v4
	ds_write_b32 v1, v4
	v_add_nc_u32_e32 v1, 0x200, v1
	s_andn2_b32 exec_lo, exec_lo, s2
	s_cbranch_execnz .LBB307_226
.LBB307_227:
	s_or_b32 exec_lo, exec_lo, s1
	v_mov_b32_e32 v26, 0
	v_mov_b32_e32 v25, 0
	;; [unrolled: 1-line block ×3, first 2 shown]
	s_waitcnt lgkmcnt(0)
	s_barrier
	buffer_gl0_inv
	s_and_saveexec_b32 s1, s0
	s_cbranch_execz .LBB307_419
; %bb.228:
	s_sub_i32 s4, s34, s21
	s_ashr_i32 s0, s18, 31
	s_add_u32 s18, s30, s18
	s_addc_u32 s0, s31, s0
	s_abs_i32 s5, s22
	v_lshlrev_b32_e32 v2, 3, v23
	v_cvt_f32_u32_e32 v1, s5
	s_sub_i32 s2, 0, s5
	v_and_b32_e32 v3, 0x7c, v27
	s_mov_b32 s12, s17
	v_add_co_u32 v11, s17, s18, v2
	v_rcp_iflag_f32_e32 v1, v1
	s_add_i32 s13, s20, -1
	v_add_co_ci_u32_e64 v12, null, s0, 0, s17
	v_mov_b32_e32 v10, 0
	v_lshl_add_u32 v27, v21, 5, 0xe0
	v_mov_b32_e32 v28, 0x80
	v_mov_b32_e32 v29, 0xffff
	;; [unrolled: 1-line block ×4, first 2 shown]
	v_mul_f32_e32 v1, 0x4f7ffffe, v1
	v_mov_b32_e32 v32, 24
	v_mov_b32_e32 v24, 0
	;; [unrolled: 1-line block ×4, first 2 shown]
	v_cvt_u32_f32_e32 v1, v1
	v_mov_b32_e32 v34, v21
	s_mov_b32 s17, 0
	v_mul_lo_u32 v4, s2, v1
	s_lshl_b64 s[2:3], s[28:29], 2
	s_add_u32 s0, s26, s2
	s_addc_u32 s2, s27, s3
	v_add_co_u32 v13, s0, s0, v3
	v_add_co_ci_u32_e64 v14, null, s2, 0, s0
	v_mul_hi_u32 v4, v1, v4
	s_mov_b32 s2, -1
	s_mov_b32 s3, 0xffffff
	v_add_nc_u32_e32 v33, v1, v4
	s_branch .LBB307_231
.LBB307_229:                            ;   in Loop: Header=BB307_231 Depth=1
	s_or_b32 exec_lo, exec_lo, s0
	v_bfe_u32 v43, v5, 16, 1
	v_bfe_u32 v44, v6, 16, 1
	v_or_b32_e32 v45, 0x400000, v5
	v_cmp_u_f32_e32 vcc_lo, v5, v5
	v_or_b32_e32 v46, 0x400000, v6
	v_add3_u32 v43, v43, v5, 0x7fff
	v_bfe_u32 v47, v7, 16, 1
	v_add3_u32 v44, v44, v6, 0x7fff
	v_bfe_u32 v48, v8, 16, 1
	v_lshlrev_b32_e32 v49, 16, v52
	v_cndmask_b32_e32 v5, v43, v45, vcc_lo
	v_cmp_u_f32_e32 vcc_lo, v6, v6
	v_add3_u32 v43, v47, v7, 0x7fff
	v_bfe_u32 v45, v1, 16, 1
	v_or_b32_e32 v47, 0x400000, v8
	v_and_b32_e32 v5, 0xffff0000, v5
	v_cndmask_b32_e32 v6, v44, v46, vcc_lo
	v_or_b32_e32 v44, 0x400000, v7
	v_cmp_u_f32_e32 vcc_lo, v7, v7
	v_add3_u32 v46, v48, v8, 0x7fff
	v_lshlrev_b32_e32 v20, 16, v20
	v_and_b32_e32 v6, 0xffff0000, v6
	v_lshlrev_b32_e32 v19, 16, v19
	v_cndmask_b32_e32 v7, v43, v44, vcc_lo
	v_cmp_u_f32_e32 vcc_lo, v8, v8
	v_add3_u32 v43, v45, v1, 0x7fff
	v_or_b32_e32 v44, 0x400000, v1
	v_bfe_u32 v45, v2, 16, 1
	v_and_b32_e32 v7, 0xffff0000, v7
	v_cndmask_b32_e32 v8, v46, v47, vcc_lo
	v_cmp_u_f32_e32 vcc_lo, v1, v1
	v_or_b32_e32 v46, 0x400000, v2
	v_add3_u32 v45, v45, v2, 0x7fff
	v_or_b32_e32 v47, 0x400000, v3
	v_and_b32_e32 v8, 0xffff0000, v8
	v_cndmask_b32_e32 v1, v43, v44, vcc_lo
	v_bfe_u32 v43, v3, 16, 1
	v_lshlrev_b32_e32 v44, 16, v55
	v_cmp_u_f32_e32 vcc_lo, v2, v2
	v_lshlrev_b32_e32 v51, 16, v51
	v_and_b32_e32 v1, 0xffff0000, v1
	v_add3_u32 v43, v43, v3, 0x7fff
	v_mul_f32_e32 v44, v6, v44
	v_cndmask_b32_e32 v2, v45, v46, vcc_lo
	v_bfe_u32 v45, v4, 16, 1
	v_cmp_u_f32_e32 vcc_lo, v3, v3
	v_lshlrev_b32_e32 v46, 16, v54
	v_or_b32_e32 v48, 0x400000, v44
	v_and_b32_e32 v2, 0xffff0000, v2
	v_add3_u32 v45, v45, v4, 0x7fff
	v_cndmask_b32_e32 v3, v43, v47, vcc_lo
	v_bfe_u32 v43, v44, 16, 1
	v_or_b32_e32 v47, 0x400000, v4
	v_mul_f32_e32 v46, v5, v46
	v_cmp_u_f32_e32 vcc_lo, v4, v4
	v_mul_f32_e32 v20, v2, v20
	v_add3_u32 v43, v43, v44, 0x7fff
	v_mul_f32_e32 v19, v1, v19
	v_and_b32_e32 v3, 0xffff0000, v3
	v_cndmask_b32_e32 v4, v45, v47, vcc_lo
	v_cmp_u_f32_e32 vcc_lo, v44, v44
	v_bfe_u32 v44, v46, 16, 1
	v_mul_f32_e32 v45, v8, v49
	v_lshlrev_b32_e32 v47, 16, v53
	v_bfe_u32 v52, v20, 16, 1
	v_cndmask_b32_e32 v43, v43, v48, vcc_lo
	v_add3_u32 v44, v44, v46, 0x7fff
	v_or_b32_e32 v48, 0x400000, v46
	v_bfe_u32 v49, v45, 16, 1
	v_mul_f32_e32 v47, v7, v47
	v_cmp_u_f32_e32 vcc_lo, v46, v46
	v_and_b32_e32 v4, 0xffff0000, v4
	v_bfe_u32 v53, v19, 16, 1
	v_add3_u32 v46, v49, v45, 0x7fff
	v_bfe_u32 v49, v47, 16, 1
	v_cndmask_b32_e32 v44, v44, v48, vcc_lo
	v_or_b32_e32 v48, 0x400000, v45
	v_cmp_u_f32_e32 vcc_lo, v45, v45
	v_lshlrev_b32_e32 v50, 16, v50
	v_and_b32_e32 v43, 0xffff0000, v43
	v_and_b32_e32 v44, 0xffff0000, v44
	v_lshlrev_b32_e32 v42, 16, v42
	v_cndmask_b32_e32 v45, v46, v48, vcc_lo
	v_add3_u32 v46, v49, v47, 0x7fff
	v_or_b32_e32 v48, 0x400000, v47
	v_cmp_u_f32_e32 vcc_lo, v47, v47
	v_add3_u32 v49, v52, v20, 0x7fff
	v_or_b32_e32 v52, 0x400000, v20
	v_mul_f32_e32 v47, v4, v51
	v_mul_f32_e32 v50, v3, v50
	v_cndmask_b32_e32 v46, v46, v48, vcc_lo
	v_cmp_u_f32_e32 vcc_lo, v20, v20
	v_add3_u32 v48, v53, v19, 0x7fff
	v_bfe_u32 v51, v47, 16, 1
	v_and_b32_e32 v45, 0xffff0000, v45
	v_and_b32_e32 v46, 0xffff0000, v46
	v_cndmask_b32_e32 v20, v49, v52, vcc_lo
	v_or_b32_e32 v49, 0x400000, v19
	v_cmp_u_f32_e32 vcc_lo, v19, v19
	v_add_f32_e32 v43, v44, v43
	v_add_f32_e32 v44, v46, v45
	v_and_b32_e32 v20, 0xffff0000, v20
	v_mul_f32_e32 v42, v6, v42
	v_cndmask_b32_e32 v19, v48, v49, vcc_lo
	v_add3_u32 v48, v51, v47, 0x7fff
	v_or_b32_e32 v49, 0x400000, v47
	v_cmp_u_f32_e32 vcc_lo, v47, v47
	v_lshlrev_b32_e32 v41, 16, v41
	v_and_b32_e32 v19, 0xffff0000, v19
	v_or_b32_e32 v46, 0x400000, v50
	v_add_f32_e32 v43, v44, v43
	v_cndmask_b32_e32 v47, v48, v49, vcc_lo
	v_bfe_u32 v48, v50, 16, 1
	v_add_f32_e32 v19, v19, v20
	v_cmp_u_f32_e32 vcc_lo, v50, v50
	v_bfe_u32 v44, v42, 16, 1
	v_lshlrev_b32_e32 v38, 16, v38
	v_add3_u32 v45, v48, v50, 0x7fff
	v_mul_f32_e32 v41, v5, v41
	v_add_f32_e32 v19, v19, v43
	v_add3_u32 v43, v44, v42, 0x7fff
	v_or_b32_e32 v44, 0x400000, v42
	v_cndmask_b32_e32 v20, v45, v46, vcc_lo
	v_mul_f32_e32 v38, v8, v38
	v_bfe_u32 v46, v41, 16, 1
	v_cmp_u_f32_e32 vcc_lo, v42, v42
	v_lshlrev_b32_e32 v40, 16, v40
	v_lshlrev_b32_e32 v36, 16, v36
	v_and_b32_e32 v45, 0xffff0000, v47
	v_or_b32_e32 v47, 0x400000, v38
	v_cndmask_b32_e32 v42, v43, v44, vcc_lo
	v_bfe_u32 v43, v38, 16, 1
	v_add3_u32 v44, v46, v41, 0x7fff
	v_or_b32_e32 v46, 0x400000, v41
	v_mul_f32_e32 v40, v7, v40
	v_cmp_u_f32_e32 vcc_lo, v41, v41
	v_add3_u32 v43, v43, v38, 0x7fff
	v_mul_f32_e32 v36, v2, v36
	v_lshlrev_b32_e32 v35, 16, v35
	v_lshlrev_b32_e32 v39, 16, v39
	v_cndmask_b32_e32 v41, v44, v46, vcc_lo
	v_bfe_u32 v44, v40, 16, 1
	v_cmp_u_f32_e32 vcc_lo, v38, v38
	v_or_b32_e32 v46, 0x400000, v40
	v_mul_f32_e32 v35, v1, v35
	v_mul_f32_e32 v39, v4, v39
	v_add3_u32 v44, v44, v40, 0x7fff
	v_cndmask_b32_e32 v38, v43, v47, vcc_lo
	v_bfe_u32 v43, v36, 16, 1
	v_cmp_u_f32_e32 vcc_lo, v40, v40
	v_or_b32_e32 v47, 0x400000, v36
	v_lshlrev_b32_e32 v37, 16, v37
	v_and_b32_e32 v41, 0xffff0000, v41
	v_add3_u32 v43, v43, v36, 0x7fff
	v_cndmask_b32_e32 v40, v44, v46, vcc_lo
	v_bfe_u32 v44, v35, 16, 1
	v_cmp_u_f32_e32 vcc_lo, v36, v36
	v_bfe_u32 v46, v39, 16, 1
	v_mul_f32_e32 v37, v3, v37
	v_and_b32_e32 v42, 0xffff0000, v42
	v_and_b32_e32 v40, 0xffff0000, v40
	v_cndmask_b32_e32 v36, v43, v47, vcc_lo
	v_add3_u32 v43, v44, v35, 0x7fff
	v_or_b32_e32 v44, 0x400000, v35
	v_cmp_u_f32_e32 vcc_lo, v35, v35
	v_add3_u32 v46, v46, v39, 0x7fff
	v_or_b32_e32 v47, 0x400000, v39
	v_and_b32_e32 v38, 0xffff0000, v38
	v_add_f32_e32 v41, v41, v42
	v_cndmask_b32_e32 v35, v43, v44, vcc_lo
	v_cmp_u_f32_e32 vcc_lo, v39, v39
	v_bfe_u32 v43, v37, 16, 1
	v_or_b32_e32 v44, 0x400000, v37
	v_add_f32_e32 v38, v40, v38
	v_lshlrev_b32_e32 v40, 16, v57
	v_cndmask_b32_e32 v39, v46, v47, vcc_lo
	v_lshlrev_b32_e32 v46, 16, v58
	v_add3_u32 v43, v43, v37, 0x7fff
	v_cmp_u_f32_e32 vcc_lo, v37, v37
	v_and_b32_e32 v35, 0xffff0000, v35
	v_and_b32_e32 v36, 0xffff0000, v36
	v_mul_f32_e32 v6, v6, v46
	v_add_f32_e32 v38, v38, v41
	v_cndmask_b32_e32 v37, v43, v44, vcc_lo
	v_mul_f32_e32 v5, v5, v40
	v_lshlrev_b32_e32 v17, 16, v17
	v_bfe_u32 v41, v6, 16, 1
	v_add_f32_e32 v35, v35, v36
	v_and_b32_e32 v36, 0xffff0000, v37
	v_or_b32_e32 v40, 0x400000, v6
	v_mul_f32_e32 v8, v8, v17
	v_add3_u32 v37, v41, v6, 0x7fff
	v_bfe_u32 v41, v5, 16, 1
	v_lshlrev_b32_e32 v17, 16, v56
	v_cmp_u_f32_e32 vcc_lo, v6, v6
	v_lshlrev_b32_e32 v15, 16, v15
	v_lshlrev_b32_e32 v9, 16, v9
	;; [unrolled: 1-line block ×3, first 2 shown]
	v_mul_f32_e32 v7, v7, v17
	v_cndmask_b32_e32 v6, v37, v40, vcc_lo
	v_add3_u32 v37, v41, v5, 0x7fff
	v_or_b32_e32 v40, 0x400000, v5
	v_bfe_u32 v41, v8, 16, 1
	v_cmp_u_f32_e32 vcc_lo, v5, v5
	v_mul_f32_e32 v2, v2, v15
	v_mul_f32_e32 v1, v1, v9
	v_lshlrev_b32_e32 v9, 16, v18
	v_add3_u32 v17, v41, v8, 0x7fff
	v_cndmask_b32_e32 v5, v37, v40, vcc_lo
	v_or_b32_e32 v37, 0x400000, v8
	v_bfe_u32 v40, v7, 16, 1
	v_cmp_u_f32_e32 vcc_lo, v8, v8
	v_mul_f32_e32 v4, v4, v9
	v_mul_f32_e32 v3, v3, v16
	v_or_b32_e32 v9, 0x400000, v2
	v_add3_u32 v15, v40, v7, 0x7fff
	v_cndmask_b32_e32 v8, v17, v37, vcc_lo
	v_or_b32_e32 v17, 0x400000, v7
	v_bfe_u32 v37, v2, 16, 1
	v_cmp_u_f32_e32 vcc_lo, v7, v7
	v_or_b32_e32 v16, 0x400000, v1
	v_bfe_u32 v18, v4, 16, 1
	v_and_b32_e32 v5, 0xffff0000, v5
	v_and_b32_e32 v6, 0xffff0000, v6
	v_cndmask_b32_e32 v7, v15, v17, vcc_lo
	v_bfe_u32 v15, v1, 16, 1
	v_add3_u32 v17, v37, v2, 0x7fff
	v_cmp_u_f32_e32 vcc_lo, v2, v2
	v_bfe_u32 v37, v3, 16, 1
	v_and_b32_e32 v7, 0xffff0000, v7
	v_add3_u32 v15, v15, v1, 0x7fff
	v_and_b32_e32 v8, 0xffff0000, v8
	v_cndmask_b32_e32 v2, v17, v9, vcc_lo
	v_cmp_u_f32_e32 vcc_lo, v1, v1
	v_add3_u32 v9, v18, v4, 0x7fff
	v_or_b32_e32 v17, 0x400000, v4
	v_add_f32_e32 v5, v5, v6
	v_add_f32_e32 v6, v7, v8
	v_cndmask_b32_e32 v1, v15, v16, vcc_lo
	v_add3_u32 v15, v37, v3, 0x7fff
	v_or_b32_e32 v16, 0x400000, v3
	v_cmp_u_f32_e32 vcc_lo, v3, v3
	v_and_b32_e32 v2, 0xffff0000, v2
	v_and_b32_e32 v1, 0xffff0000, v1
	;; [unrolled: 1-line block ×4, first 2 shown]
	v_cndmask_b32_e32 v3, v15, v16, vcc_lo
	v_cmp_u_f32_e32 vcc_lo, v4, v4
	v_add_f32_e32 v5, v6, v5
	v_add_f32_e32 v1, v1, v2
	v_add_f32_e32 v6, v35, v38
	v_and_b32_e32 v2, 0xffff0000, v3
	v_cndmask_b32_e32 v4, v9, v17, vcc_lo
	v_add_f32_e32 v7, v36, v7
	v_add_f32_e32 v1, v1, v5
	v_and_b32_e32 v3, 0xffff0000, v4
	v_add_f32_e32 v4, v20, v45
	v_add_f32_e32 v2, v2, v3
	v_add_f32_e32 v3, v4, v19
	v_add_f32_e32 v4, v7, v6
	v_add_f32_e32 v1, v2, v1
	v_add_f32_e32 v25, v25, v3
	v_add_f32_e32 v26, v26, v4
	v_add_f32_e32 v24, v24, v1
.LBB307_230:                            ;   in Loop: Header=BB307_231 Depth=1
	s_or_b32 exec_lo, exec_lo, s18
	v_add_nc_u32_e32 v34, 4, v34
	v_add_co_u32 v13, s0, v13, 16
	v_add_co_ci_u32_e64 v14, null, 0, v14, s0
	v_cmp_le_i32_e32 vcc_lo, s20, v34
	v_add_nc_u32_e32 v22, 32, v22
	v_add_nc_u32_e32 v27, 0x80, v27
	s_or_b32 s17, vcc_lo, s17
	s_andn2_b32 exec_lo, exec_lo, s17
	s_cbranch_execz .LBB307_418
.LBB307_231:                            ; =>This Inner Loop Header: Depth=1
	v_mul_hi_u32 v1, v22, s25
	v_mul_lo_u32 v2, v1, s19
	v_add_nc_u32_e32 v3, 1, v1
	v_sub_nc_u32_e32 v2, v22, v2
	v_subrev_nc_u32_e32 v4, s19, v2
	v_cmp_le_u32_e32 vcc_lo, s19, v2
	v_cndmask_b32_e32 v1, v1, v3, vcc_lo
	v_cndmask_b32_e32 v2, v2, v4, vcc_lo
	v_add_nc_u32_e32 v3, 1, v1
	v_cmp_le_u32_e32 vcc_lo, s19, v2
	v_cndmask_b32_e32 v1, v1, v3, vcc_lo
	v_xor_b32_e32 v1, s23, v1
	v_subrev_nc_u32_e32 v1, s23, v1
	v_add_nc_u32_e32 v2, s33, v1
	v_cmp_lt_i32_e64 s0, s4, v1
	v_sub_nc_u32_e32 v3, 0, v2
	v_max_i32_e32 v3, v2, v3
	v_ashrrev_i32_e32 v2, 31, v2
	v_mul_hi_u32 v4, v3, v33
	v_mul_lo_u32 v4, v4, s5
	v_sub_nc_u32_e32 v3, v3, v4
	v_subrev_nc_u32_e32 v4, s5, v3
	v_cmp_le_u32_e32 vcc_lo, s5, v3
	v_cndmask_b32_e32 v3, v3, v4, vcc_lo
	v_subrev_nc_u32_e32 v4, s5, v3
	v_cmp_le_u32_e32 vcc_lo, s5, v3
	v_cndmask_b32_e32 v3, v3, v4, vcc_lo
	v_xor_b32_e32 v3, v3, v2
	v_sub_nc_u32_e32 v2, v3, v2
	v_cmp_eq_u32_e32 vcc_lo, 0, v2
	s_or_b32 s0, vcc_lo, s0
	s_and_saveexec_b32 s18, s0
	s_cbranch_execz .LBB307_230
; %bb.232:                              ;   in Loop: Header=BB307_231 Depth=1
	global_load_dword v1, v[13:14], off
	v_mov_b32_e32 v35, 0
	v_mov_b32_e32 v37, 0
	s_waitcnt vmcnt(0)
	v_mad_i64_i32 v[15:16], null, v1, s12, v[11:12]
	global_load_dwordx2 v[17:18], v[15:16], off
	ds_read2_b64 v[5:8], v27 offset1:1
	ds_read2_b64 v[1:4], v27 offset0:2 offset1:3
	s_load_dword s21, s[14:15], 0x0
	s_waitcnt vmcnt(0)
	v_cmp_ne_u16_sdwa s22, v17, v10 src0_sel:BYTE_0 src1_sel:DWORD
	s_and_saveexec_b32 s0, s22
	s_cbranch_execz .LBB307_238
; %bb.233:                              ;   in Loop: Header=BB307_231 Depth=1
	v_cmp_ne_u16_sdwa s26, v17, v28 src0_sel:BYTE_0 src1_sel:DWORD
	v_bfrev_b32_e32 v37, 1
	s_and_saveexec_b32 s22, s26
	s_cbranch_execz .LBB307_237
; %bb.234:                              ;   in Loop: Header=BB307_231 Depth=1
	v_and_b32_e32 v9, 0x7f, v17
	v_mov_b32_e32 v37, 0x7f800001
	s_mov_b32 s26, exec_lo
	v_cmpx_ne_u32_e32 0x7f, v9
	s_cbranch_execz .LBB307_236
; %bb.235:                              ;   in Loop: Header=BB307_231 Depth=1
	v_and_b32_e32 v19, 7, v17
	v_lshrrev_b32_e32 v20, 3, v9
	v_cmp_gt_u32_e32 vcc_lo, 8, v9
	v_ffbh_u32_e32 v19, v19
	v_min_u32_e32 v19, 32, v19
	v_subrev_nc_u32_e32 v36, 28, v19
	v_sub_nc_u32_e32 v19, 29, v19
	v_cndmask_b32_e32 v9, v20, v19, vcc_lo
	v_cndmask_b32_e32 v19, 0, v36, vcc_lo
	v_lshl_add_u32 v9, v9, 23, 0x3c000000
	v_lshlrev_b64 v[19:20], v19, v[17:18]
	v_lshlrev_b32_e32 v20, 24, v17
	v_lshlrev_b32_e32 v19, 20, v19
	v_and_b32_e32 v20, 0x80000000, v20
	v_and_b32_e32 v19, 0x700000, v19
	v_or3_b32 v37, v19, v20, v9
.LBB307_236:                            ;   in Loop: Header=BB307_231 Depth=1
	s_or_b32 exec_lo, exec_lo, s26
.LBB307_237:                            ;   in Loop: Header=BB307_231 Depth=1
	s_or_b32 exec_lo, exec_lo, s22
.LBB307_238:                            ;   in Loop: Header=BB307_231 Depth=1
	s_or_b32 exec_lo, exec_lo, s0
	v_cmp_ne_u16_sdwa s22, v17, v10 src0_sel:BYTE_1 src1_sel:DWORD
	s_and_saveexec_b32 s0, s22
	s_cbranch_execz .LBB307_246
; %bb.239:                              ;   in Loop: Header=BB307_231 Depth=1
	v_cmp_ne_u16_sdwa s26, v17, v28 src0_sel:BYTE_1 src1_sel:DWORD
	v_bfrev_b32_e32 v35, 1
	s_and_saveexec_b32 s22, s26
	s_cbranch_execz .LBB307_245
; %bb.240:                              ;   in Loop: Header=BB307_231 Depth=1
	v_and_b32_sdwa v9, v29, v17 dst_sel:DWORD dst_unused:UNUSED_PAD src0_sel:DWORD src1_sel:BYTE_1
	v_mov_b32_e32 v35, 0x7f800001
	s_mov_b32 s26, exec_lo
	v_and_b32_e32 v20, 0x7f, v9
	v_cmpx_ne_u32_e32 0x7f, v20
	s_cbranch_execz .LBB307_244
; %bb.241:                              ;   in Loop: Header=BB307_231 Depth=1
	v_and_b32_e32 v9, 7, v9
	v_lshrrev_b32_e32 v19, 3, v20
	s_mov_b32 s27, exec_lo
	v_cmpx_gt_u32_e32 8, v20
; %bb.242:                              ;   in Loop: Header=BB307_231 Depth=1
	v_ffbh_u32_e32 v19, v9
	v_min_u32_e32 v19, 32, v19
	v_subrev_nc_u32_e32 v20, 28, v19
	v_sub_nc_u32_e32 v19, 29, v19
	v_lshlrev_b64 v[35:36], v20, v[9:10]
	v_and_b32_e32 v9, 7, v35
; %bb.243:                              ;   in Loop: Header=BB307_231 Depth=1
	s_or_b32 exec_lo, exec_lo, s27
	v_lshlrev_b32_e32 v20, 16, v17
	v_lshlrev_b32_e32 v9, 20, v9
	v_lshl_add_u32 v19, v19, 23, 0x3c000000
	v_and_b32_e32 v20, 0x80000000, v20
	v_or3_b32 v35, v9, v20, v19
.LBB307_244:                            ;   in Loop: Header=BB307_231 Depth=1
	s_or_b32 exec_lo, exec_lo, s26
.LBB307_245:                            ;   in Loop: Header=BB307_231 Depth=1
	s_or_b32 exec_lo, exec_lo, s22
.LBB307_246:                            ;   in Loop: Header=BB307_231 Depth=1
	s_or_b32 exec_lo, exec_lo, s0
	v_and_b32_sdwa v9, v17, v30 dst_sel:DWORD dst_unused:UNUSED_PAD src0_sel:WORD_1 src1_sel:DWORD
	v_mov_b32_e32 v38, 0
	v_mov_b32_e32 v36, 0
	s_mov_b32 s0, exec_lo
	v_cmpx_ne_u16_e32 0, v9
	s_cbranch_execz .LBB307_254
; %bb.247:                              ;   in Loop: Header=BB307_231 Depth=1
	v_bfrev_b32_e32 v36, 1
	s_mov_b32 s22, exec_lo
	v_cmpx_ne_u16_e32 0x80, v9
	s_cbranch_execz .LBB307_253
; %bb.248:                              ;   in Loop: Header=BB307_231 Depth=1
	v_bfe_u32 v20, v17, 16, 7
	v_mov_b32_e32 v36, 0x7f800001
	s_mov_b32 s26, exec_lo
	v_cmpx_ne_u32_e32 0x7f, v20
	s_cbranch_execz .LBB307_252
; %bb.249:                              ;   in Loop: Header=BB307_231 Depth=1
	v_and_b32_sdwa v9, v17, v31 dst_sel:DWORD dst_unused:UNUSED_PAD src0_sel:WORD_1 src1_sel:DWORD
	v_lshrrev_b32_e32 v19, 3, v20
	s_mov_b32 s27, exec_lo
	v_cmpx_gt_u32_e32 8, v20
; %bb.250:                              ;   in Loop: Header=BB307_231 Depth=1
	v_ffbh_u32_e32 v19, v9
	v_min_u32_e32 v19, 32, v19
	v_subrev_nc_u32_e32 v20, 28, v19
	v_sub_nc_u32_e32 v19, 29, v19
	v_lshlrev_b64 v[39:40], v20, v[9:10]
	v_and_b32_e32 v9, 7, v39
; %bb.251:                              ;   in Loop: Header=BB307_231 Depth=1
	s_or_b32 exec_lo, exec_lo, s27
	v_lshlrev_b32_sdwa v20, v32, v17 dst_sel:DWORD dst_unused:UNUSED_PAD src0_sel:DWORD src1_sel:WORD_1
	v_lshlrev_b32_e32 v9, 20, v9
	v_lshl_add_u32 v19, v19, 23, 0x3c000000
	v_and_b32_e32 v20, 0x80000000, v20
	v_or3_b32 v36, v9, v20, v19
.LBB307_252:                            ;   in Loop: Header=BB307_231 Depth=1
	s_or_b32 exec_lo, exec_lo, s26
.LBB307_253:                            ;   in Loop: Header=BB307_231 Depth=1
	s_or_b32 exec_lo, exec_lo, s22
.LBB307_254:                            ;   in Loop: Header=BB307_231 Depth=1
	s_or_b32 exec_lo, exec_lo, s0
	s_mov_b32 s0, exec_lo
	v_cmpx_lt_u32_e32 0xffffff, v17
	s_cbranch_execz .LBB307_262
; %bb.255:                              ;   in Loop: Header=BB307_231 Depth=1
	v_cmp_ne_u32_sdwa s26, v17, v28 src0_sel:BYTE_3 src1_sel:DWORD
	v_bfrev_b32_e32 v38, 1
	s_and_saveexec_b32 s22, s26
	s_cbranch_execz .LBB307_261
; %bb.256:                              ;   in Loop: Header=BB307_231 Depth=1
	v_bfe_u32 v20, v17, 24, 7
	v_mov_b32_e32 v38, 0x7f800001
	s_mov_b32 s26, exec_lo
	v_cmpx_ne_u32_e32 0x7f, v20
	s_cbranch_execz .LBB307_260
; %bb.257:                              ;   in Loop: Header=BB307_231 Depth=1
	v_and_b32_sdwa v9, v17, v31 dst_sel:DWORD dst_unused:UNUSED_PAD src0_sel:BYTE_3 src1_sel:DWORD
	v_lshrrev_b32_e32 v19, 3, v20
	s_mov_b32 s27, exec_lo
	v_cmpx_gt_u32_e32 8, v20
; %bb.258:                              ;   in Loop: Header=BB307_231 Depth=1
	v_ffbh_u32_e32 v19, v9
	v_min_u32_e32 v19, 32, v19
	v_subrev_nc_u32_e32 v20, 28, v19
	v_sub_nc_u32_e32 v19, 29, v19
	v_lshlrev_b64 v[38:39], v20, v[9:10]
	v_and_b32_e32 v9, 7, v38
; %bb.259:                              ;   in Loop: Header=BB307_231 Depth=1
	s_or_b32 exec_lo, exec_lo, s27
	v_lshlrev_b32_sdwa v20, v32, v17 dst_sel:DWORD dst_unused:UNUSED_PAD src0_sel:DWORD src1_sel:BYTE_3
	v_lshlrev_b32_e32 v9, 20, v9
	v_lshl_add_u32 v19, v19, 23, 0x3c000000
	v_and_b32_e32 v20, 0x80000000, v20
	v_or3_b32 v38, v9, v20, v19
.LBB307_260:                            ;   in Loop: Header=BB307_231 Depth=1
	s_or_b32 exec_lo, exec_lo, s26
.LBB307_261:                            ;   in Loop: Header=BB307_231 Depth=1
	s_or_b32 exec_lo, exec_lo, s22
.LBB307_262:                            ;   in Loop: Header=BB307_231 Depth=1
	s_or_b32 exec_lo, exec_lo, s0
	v_mov_b32_e32 v9, v18
	v_cmp_ne_u16_sdwa s22, v18, v10 src0_sel:BYTE_0 src1_sel:DWORD
	v_mov_b32_e32 v19, 0
	v_mov_b32_e32 v39, 0
	s_and_saveexec_b32 s0, s22
	s_cbranch_execz .LBB307_268
; %bb.263:                              ;   in Loop: Header=BB307_231 Depth=1
	v_cmp_ne_u16_sdwa s26, v18, v28 src0_sel:BYTE_0 src1_sel:DWORD
	v_bfrev_b32_e32 v39, 1
	s_and_saveexec_b32 s22, s26
	s_cbranch_execz .LBB307_267
; %bb.264:                              ;   in Loop: Header=BB307_231 Depth=1
	v_and_b32_e32 v20, 0x7f, v18
	v_mov_b32_e32 v39, 0x7f800001
	s_mov_b32 s26, exec_lo
	v_cmpx_ne_u32_e32 0x7f, v20
	s_cbranch_execz .LBB307_266
; %bb.265:                              ;   in Loop: Header=BB307_231 Depth=1
	v_and_b32_e32 v39, 7, v18
	v_lshrrev_b32_e32 v40, 3, v20
	v_cmp_gt_u32_e32 vcc_lo, 8, v20
	v_ffbh_u32_e32 v39, v39
	v_min_u32_e32 v39, 32, v39
	v_subrev_nc_u32_e32 v41, 28, v39
	v_sub_nc_u32_e32 v39, 29, v39
	v_cndmask_b32_e32 v20, v40, v39, vcc_lo
	v_cndmask_b32_e32 v39, 0, v41, vcc_lo
	v_lshl_add_u32 v20, v20, 23, 0x3c000000
	v_lshlrev_b64 v[39:40], v39, v[9:10]
	v_lshlrev_b32_e32 v40, 24, v9
	v_lshlrev_b32_e32 v39, 20, v39
	v_and_b32_e32 v40, 0x80000000, v40
	v_and_b32_e32 v39, 0x700000, v39
	v_or3_b32 v39, v39, v40, v20
.LBB307_266:                            ;   in Loop: Header=BB307_231 Depth=1
	s_or_b32 exec_lo, exec_lo, s26
.LBB307_267:                            ;   in Loop: Header=BB307_231 Depth=1
	s_or_b32 exec_lo, exec_lo, s22
.LBB307_268:                            ;   in Loop: Header=BB307_231 Depth=1
	s_or_b32 exec_lo, exec_lo, s0
	v_cmp_ne_u16_sdwa s22, v9, v10 src0_sel:BYTE_1 src1_sel:DWORD
	s_and_saveexec_b32 s0, s22
	s_cbranch_execz .LBB307_276
; %bb.269:                              ;   in Loop: Header=BB307_231 Depth=1
	v_cmp_ne_u16_sdwa s26, v9, v28 src0_sel:BYTE_1 src1_sel:DWORD
	v_bfrev_b32_e32 v19, 1
	s_and_saveexec_b32 s22, s26
	s_cbranch_execz .LBB307_275
; %bb.270:                              ;   in Loop: Header=BB307_231 Depth=1
	v_and_b32_sdwa v20, v29, v9 dst_sel:DWORD dst_unused:UNUSED_PAD src0_sel:DWORD src1_sel:BYTE_1
	v_mov_b32_e32 v19, 0x7f800001
	s_mov_b32 s26, exec_lo
	v_and_b32_e32 v41, 0x7f, v20
	v_cmpx_ne_u32_e32 0x7f, v41
	s_cbranch_execz .LBB307_274
; %bb.271:                              ;   in Loop: Header=BB307_231 Depth=1
	v_and_b32_e32 v19, 7, v20
	v_mov_b32_e32 v20, v10
	v_lshrrev_b32_e32 v40, 3, v41
	s_mov_b32 s27, exec_lo
	v_cmpx_gt_u32_e32 8, v41
; %bb.272:                              ;   in Loop: Header=BB307_231 Depth=1
	v_ffbh_u32_e32 v40, v19
	v_min_u32_e32 v40, 32, v40
	v_subrev_nc_u32_e32 v41, 28, v40
	v_sub_nc_u32_e32 v40, 29, v40
	v_lshlrev_b64 v[19:20], v41, v[19:20]
	v_and_b32_e32 v19, 7, v19
; %bb.273:                              ;   in Loop: Header=BB307_231 Depth=1
	s_or_b32 exec_lo, exec_lo, s27
	v_lshlrev_b32_e32 v9, 16, v9
	v_lshlrev_b32_e32 v19, 20, v19
	v_lshl_add_u32 v20, v40, 23, 0x3c000000
	v_and_b32_e32 v9, 0x80000000, v9
	v_or3_b32 v19, v19, v9, v20
.LBB307_274:                            ;   in Loop: Header=BB307_231 Depth=1
	s_or_b32 exec_lo, exec_lo, s26
.LBB307_275:                            ;   in Loop: Header=BB307_231 Depth=1
	s_or_b32 exec_lo, exec_lo, s22
.LBB307_276:                            ;   in Loop: Header=BB307_231 Depth=1
	s_or_b32 exec_lo, exec_lo, s0
	v_and_b32_sdwa v9, v18, v30 dst_sel:DWORD dst_unused:UNUSED_PAD src0_sel:WORD_1 src1_sel:DWORD
	v_mov_b32_e32 v20, 0
	v_mov_b32_e32 v40, 0
	s_mov_b32 s0, exec_lo
	v_cmpx_ne_u16_e32 0, v9
	s_cbranch_execz .LBB307_284
; %bb.277:                              ;   in Loop: Header=BB307_231 Depth=1
	v_bfrev_b32_e32 v40, 1
	s_mov_b32 s22, exec_lo
	v_cmpx_ne_u16_e32 0x80, v9
	s_cbranch_execz .LBB307_283
; %bb.278:                              ;   in Loop: Header=BB307_231 Depth=1
	v_bfe_u32 v41, v18, 16, 7
	v_mov_b32_e32 v40, 0x7f800001
	s_mov_b32 s26, exec_lo
	v_cmpx_ne_u32_e32 0x7f, v41
	s_cbranch_execz .LBB307_282
; %bb.279:                              ;   in Loop: Header=BB307_231 Depth=1
	v_and_b32_sdwa v9, v18, v31 dst_sel:DWORD dst_unused:UNUSED_PAD src0_sel:WORD_1 src1_sel:DWORD
	v_lshrrev_b32_e32 v40, 3, v41
	s_mov_b32 s27, exec_lo
	v_cmpx_gt_u32_e32 8, v41
; %bb.280:                              ;   in Loop: Header=BB307_231 Depth=1
	v_ffbh_u32_e32 v40, v9
	v_min_u32_e32 v40, 32, v40
	v_subrev_nc_u32_e32 v41, 28, v40
	v_sub_nc_u32_e32 v40, 29, v40
	v_lshlrev_b64 v[41:42], v41, v[9:10]
	v_and_b32_e32 v9, 7, v41
; %bb.281:                              ;   in Loop: Header=BB307_231 Depth=1
	s_or_b32 exec_lo, exec_lo, s27
	v_lshlrev_b32_sdwa v41, v32, v18 dst_sel:DWORD dst_unused:UNUSED_PAD src0_sel:DWORD src1_sel:WORD_1
	v_lshlrev_b32_e32 v9, 20, v9
	v_lshl_add_u32 v40, v40, 23, 0x3c000000
	v_and_b32_e32 v41, 0x80000000, v41
	v_or3_b32 v40, v9, v41, v40
.LBB307_282:                            ;   in Loop: Header=BB307_231 Depth=1
	s_or_b32 exec_lo, exec_lo, s26
.LBB307_283:                            ;   in Loop: Header=BB307_231 Depth=1
	s_or_b32 exec_lo, exec_lo, s22
.LBB307_284:                            ;   in Loop: Header=BB307_231 Depth=1
	s_or_b32 exec_lo, exec_lo, s0
	s_mov_b32 s0, exec_lo
	v_cmpx_lt_u64_e64 s[2:3], v[17:18]
	s_cbranch_execz .LBB307_292
; %bb.285:                              ;   in Loop: Header=BB307_231 Depth=1
	v_cmp_ne_u32_sdwa s26, v18, v28 src0_sel:BYTE_3 src1_sel:DWORD
	v_bfrev_b32_e32 v20, 1
	s_and_saveexec_b32 s22, s26
	s_cbranch_execz .LBB307_291
; %bb.286:                              ;   in Loop: Header=BB307_231 Depth=1
	v_bfe_u32 v41, v18, 24, 7
	v_mov_b32_e32 v20, 0x7f800001
	s_mov_b32 s26, exec_lo
	v_cmpx_ne_u32_e32 0x7f, v41
	s_cbranch_execz .LBB307_290
; %bb.287:                              ;   in Loop: Header=BB307_231 Depth=1
	v_and_b32_sdwa v9, v18, v31 dst_sel:DWORD dst_unused:UNUSED_PAD src0_sel:BYTE_3 src1_sel:DWORD
	v_lshrrev_b32_e32 v17, 3, v41
	s_mov_b32 s27, exec_lo
	v_cmpx_gt_u32_e32 8, v41
; %bb.288:                              ;   in Loop: Header=BB307_231 Depth=1
	v_ffbh_u32_e32 v17, v9
	v_min_u32_e32 v17, 32, v17
	v_subrev_nc_u32_e32 v20, 28, v17
	v_sub_nc_u32_e32 v17, 29, v17
	v_lshlrev_b64 v[41:42], v20, v[9:10]
	v_and_b32_e32 v9, 7, v41
; %bb.289:                              ;   in Loop: Header=BB307_231 Depth=1
	s_or_b32 exec_lo, exec_lo, s27
	v_lshlrev_b32_sdwa v18, v32, v18 dst_sel:DWORD dst_unused:UNUSED_PAD src0_sel:DWORD src1_sel:BYTE_3
	v_lshlrev_b32_e32 v9, 20, v9
	v_lshl_add_u32 v17, v17, 23, 0x3c000000
	v_and_b32_e32 v18, 0x80000000, v18
	v_or3_b32 v20, v9, v18, v17
.LBB307_290:                            ;   in Loop: Header=BB307_231 Depth=1
	s_or_b32 exec_lo, exec_lo, s26
.LBB307_291:                            ;   in Loop: Header=BB307_231 Depth=1
	s_or_b32 exec_lo, exec_lo, s22
.LBB307_292:                            ;   in Loop: Header=BB307_231 Depth=1
	s_or_b32 exec_lo, exec_lo, s0
	s_waitcnt lgkmcnt(0)
	v_mul_f32_e32 v9, s21, v19
	v_mul_f32_e32 v17, s21, v39
	;; [unrolled: 1-line block ×5, first 2 shown]
	v_bfe_u32 v19, v9, 16, 1
	v_or_b32_e32 v36, 0x400000, v9
	v_bfe_u32 v38, v17, 16, 1
	v_cmp_u_f32_e64 s0, v9, v9
	v_or_b32_e32 v41, 0x400000, v17
	v_add3_u32 v19, v19, v9, 0x7fff
	v_bfe_u32 v42, v18, 16, 1
	v_add3_u32 v38, v38, v17, 0x7fff
	v_or_b32_e32 v43, 0x400000, v18
	v_cmp_eq_u32_e32 vcc_lo, s13, v34
	v_cndmask_b32_e64 v9, v19, v36, s0
	v_cmp_u_f32_e64 s0, v17, v17
	v_bfe_u32 v19, v39, 16, 1
	v_add3_u32 v42, v42, v18, 0x7fff
	v_add_nc_u32_e32 v49, 1, v22
	v_lshrrev_b32_e32 v36, 16, v9
	v_cndmask_b32_e64 v17, v38, v41, s0
	v_cmp_u_f32_e64 s0, v18, v18
	v_mul_f32_e32 v18, s21, v35
	v_add3_u32 v19, v19, v39, 0x7fff
	v_or_b32_e32 v41, 0x400000, v39
	v_lshrrev_b32_e32 v35, 16, v17
	v_cndmask_b32_e64 v9, v42, v43, s0
	v_cmp_u_f32_e64 s0, v39, v39
	v_or_b32_e32 v39, 0x400000, v18
	v_or_b32_e32 v43, 0x400000, v20
	v_add_nc_u32_e32 v48, 2, v22
	v_lshrrev_b32_e32 v38, 16, v9
	v_bfe_u32 v9, v18, 16, 1
	v_cndmask_b32_e64 v17, v19, v41, s0
	v_mul_f32_e32 v19, s21, v37
	v_mul_f32_e32 v37, s21, v40
	v_cmp_u_f32_e64 s0, v18, v18
	v_add3_u32 v9, v9, v18, 0x7fff
	v_bfe_u32 v18, v20, 16, 1
	v_bfe_u32 v40, v19, 16, 1
	;; [unrolled: 1-line block ×3, first 2 shown]
	v_or_b32_e32 v42, 0x400000, v37
	v_cndmask_b32_e64 v9, v9, v39, s0
	v_cmp_u_f32_e64 s0, v19, v19
	v_add3_u32 v39, v40, v19, 0x7fff
	v_or_b32_e32 v40, 0x400000, v19
	v_add3_u32 v41, v41, v37, 0x7fff
	v_add3_u32 v18, v18, v20, 0x7fff
	v_add_nc_u32_e32 v47, 3, v22
	v_add_nc_u32_e32 v46, 4, v22
	v_cndmask_b32_e64 v19, v39, v40, s0
	v_cmp_u_f32_e64 s0, v37, v37
	v_lshrrev_b32_e32 v40, 16, v17
	v_add_nc_u32_e32 v45, 5, v22
	v_add_nc_u32_e32 v44, 6, v22
	v_cndmask_b32_e64 v37, v41, v42, s0
	v_cmp_u_f32_e64 s0, v20, v20
	v_lshrrev_b32_e32 v42, 16, v9
	v_lshrrev_b32_e32 v41, 16, v19
	;; [unrolled: 1-line block ×3, first 2 shown]
	v_cndmask_b32_e64 v18, v18, v43, s0
	v_add_nc_u32_e32 v43, 7, v22
	v_lshrrev_b32_e32 v39, 16, v18
	s_and_saveexec_b32 s22, vcc_lo
	s_cbranch_execz .LBB307_294
; %bb.293:                              ;   in Loop: Header=BB307_231 Depth=1
	v_cmp_gt_i32_e64 s0, s11, v22
	v_cndmask_b32_e64 v41, 0, v41, s0
	v_cmp_gt_i32_e64 s0, s11, v49
	v_cndmask_b32_e64 v42, 0, v42, s0
	;; [unrolled: 2-line block ×8, first 2 shown]
.LBB307_294:                            ;   in Loop: Header=BB307_231 Depth=1
	s_or_b32 exec_lo, exec_lo, s22
	global_load_dwordx2 v[17:18], v[15:16], off offset:256
	v_mov_b32_e32 v51, 0
	v_mov_b32_e32 v50, 0
	s_waitcnt vmcnt(0)
	v_cmp_ne_u16_sdwa s0, v17, v10 src0_sel:BYTE_0 src1_sel:DWORD
	s_and_saveexec_b32 s22, s0
	s_cbranch_execz .LBB307_300
; %bb.295:                              ;   in Loop: Header=BB307_231 Depth=1
	v_cmp_ne_u16_sdwa s0, v17, v28 src0_sel:BYTE_0 src1_sel:DWORD
	v_bfrev_b32_e32 v50, 1
	s_and_saveexec_b32 s26, s0
	s_cbranch_execz .LBB307_299
; %bb.296:                              ;   in Loop: Header=BB307_231 Depth=1
	v_and_b32_e32 v9, 0x7f, v17
	v_mov_b32_e32 v50, 0x7f800001
	s_mov_b32 s27, exec_lo
	v_cmpx_ne_u32_e32 0x7f, v9
	s_cbranch_execz .LBB307_298
; %bb.297:                              ;   in Loop: Header=BB307_231 Depth=1
	v_and_b32_e32 v19, 7, v17
	v_lshrrev_b32_e32 v20, 3, v9
	v_cmp_gt_u32_e64 s0, 8, v9
	v_ffbh_u32_e32 v19, v19
	v_min_u32_e32 v19, 32, v19
	v_subrev_nc_u32_e32 v50, 28, v19
	v_sub_nc_u32_e32 v19, 29, v19
	v_cndmask_b32_e64 v9, v20, v19, s0
	v_cndmask_b32_e64 v19, 0, v50, s0
	v_lshl_add_u32 v9, v9, 23, 0x3c000000
	v_lshlrev_b64 v[19:20], v19, v[17:18]
	v_lshlrev_b32_e32 v20, 24, v17
	v_lshlrev_b32_e32 v19, 20, v19
	v_and_b32_e32 v20, 0x80000000, v20
	v_and_b32_e32 v19, 0x700000, v19
	v_or3_b32 v50, v19, v20, v9
.LBB307_298:                            ;   in Loop: Header=BB307_231 Depth=1
	s_or_b32 exec_lo, exec_lo, s27
.LBB307_299:                            ;   in Loop: Header=BB307_231 Depth=1
	s_or_b32 exec_lo, exec_lo, s26
.LBB307_300:                            ;   in Loop: Header=BB307_231 Depth=1
	s_or_b32 exec_lo, exec_lo, s22
	v_cmp_ne_u16_sdwa s0, v17, v10 src0_sel:BYTE_1 src1_sel:DWORD
	s_and_saveexec_b32 s22, s0
	s_cbranch_execz .LBB307_308
; %bb.301:                              ;   in Loop: Header=BB307_231 Depth=1
	v_cmp_ne_u16_sdwa s0, v17, v28 src0_sel:BYTE_1 src1_sel:DWORD
	v_bfrev_b32_e32 v51, 1
	s_and_saveexec_b32 s26, s0
	s_cbranch_execz .LBB307_307
; %bb.302:                              ;   in Loop: Header=BB307_231 Depth=1
	v_and_b32_sdwa v9, v29, v17 dst_sel:DWORD dst_unused:UNUSED_PAD src0_sel:DWORD src1_sel:BYTE_1
	v_mov_b32_e32 v51, 0x7f800001
	s_mov_b32 s27, exec_lo
	v_and_b32_e32 v20, 0x7f, v9
	v_cmpx_ne_u32_e32 0x7f, v20
	s_cbranch_execz .LBB307_306
; %bb.303:                              ;   in Loop: Header=BB307_231 Depth=1
	v_and_b32_e32 v9, 7, v9
	v_lshrrev_b32_e32 v19, 3, v20
	s_mov_b32 s28, exec_lo
	v_cmpx_gt_u32_e32 8, v20
; %bb.304:                              ;   in Loop: Header=BB307_231 Depth=1
	v_ffbh_u32_e32 v19, v9
	v_min_u32_e32 v19, 32, v19
	v_subrev_nc_u32_e32 v20, 28, v19
	v_sub_nc_u32_e32 v19, 29, v19
	v_lshlrev_b64 v[51:52], v20, v[9:10]
	v_and_b32_e32 v9, 7, v51
; %bb.305:                              ;   in Loop: Header=BB307_231 Depth=1
	s_or_b32 exec_lo, exec_lo, s28
	v_lshlrev_b32_e32 v20, 16, v17
	v_lshlrev_b32_e32 v9, 20, v9
	v_lshl_add_u32 v19, v19, 23, 0x3c000000
	v_and_b32_e32 v20, 0x80000000, v20
	v_or3_b32 v51, v9, v20, v19
.LBB307_306:                            ;   in Loop: Header=BB307_231 Depth=1
	s_or_b32 exec_lo, exec_lo, s27
.LBB307_307:                            ;   in Loop: Header=BB307_231 Depth=1
	s_or_b32 exec_lo, exec_lo, s26
.LBB307_308:                            ;   in Loop: Header=BB307_231 Depth=1
	s_or_b32 exec_lo, exec_lo, s22
	v_and_b32_sdwa v9, v17, v30 dst_sel:DWORD dst_unused:UNUSED_PAD src0_sel:WORD_1 src1_sel:DWORD
	v_mov_b32_e32 v53, 0
	v_mov_b32_e32 v52, 0
	s_mov_b32 s22, exec_lo
	v_cmpx_ne_u16_e32 0, v9
	s_cbranch_execz .LBB307_316
; %bb.309:                              ;   in Loop: Header=BB307_231 Depth=1
	v_bfrev_b32_e32 v52, 1
	s_mov_b32 s26, exec_lo
	v_cmpx_ne_u16_e32 0x80, v9
	s_cbranch_execz .LBB307_315
; %bb.310:                              ;   in Loop: Header=BB307_231 Depth=1
	v_bfe_u32 v20, v17, 16, 7
	v_mov_b32_e32 v52, 0x7f800001
	s_mov_b32 s27, exec_lo
	v_cmpx_ne_u32_e32 0x7f, v20
	s_cbranch_execz .LBB307_314
; %bb.311:                              ;   in Loop: Header=BB307_231 Depth=1
	v_and_b32_sdwa v9, v17, v31 dst_sel:DWORD dst_unused:UNUSED_PAD src0_sel:WORD_1 src1_sel:DWORD
	v_lshrrev_b32_e32 v19, 3, v20
	s_mov_b32 s28, exec_lo
	v_cmpx_gt_u32_e32 8, v20
; %bb.312:                              ;   in Loop: Header=BB307_231 Depth=1
	v_ffbh_u32_e32 v19, v9
	v_min_u32_e32 v19, 32, v19
	v_subrev_nc_u32_e32 v20, 28, v19
	v_sub_nc_u32_e32 v19, 29, v19
	v_lshlrev_b64 v[54:55], v20, v[9:10]
	v_and_b32_e32 v9, 7, v54
; %bb.313:                              ;   in Loop: Header=BB307_231 Depth=1
	s_or_b32 exec_lo, exec_lo, s28
	v_lshlrev_b32_sdwa v20, v32, v17 dst_sel:DWORD dst_unused:UNUSED_PAD src0_sel:DWORD src1_sel:WORD_1
	v_lshlrev_b32_e32 v9, 20, v9
	v_lshl_add_u32 v19, v19, 23, 0x3c000000
	v_and_b32_e32 v20, 0x80000000, v20
	v_or3_b32 v52, v9, v20, v19
.LBB307_314:                            ;   in Loop: Header=BB307_231 Depth=1
	s_or_b32 exec_lo, exec_lo, s27
.LBB307_315:                            ;   in Loop: Header=BB307_231 Depth=1
	s_or_b32 exec_lo, exec_lo, s26
.LBB307_316:                            ;   in Loop: Header=BB307_231 Depth=1
	s_or_b32 exec_lo, exec_lo, s22
	s_mov_b32 s22, exec_lo
	v_cmpx_lt_u32_e32 0xffffff, v17
	s_cbranch_execz .LBB307_324
; %bb.317:                              ;   in Loop: Header=BB307_231 Depth=1
	v_cmp_ne_u32_sdwa s0, v17, v28 src0_sel:BYTE_3 src1_sel:DWORD
	v_bfrev_b32_e32 v53, 1
	s_and_saveexec_b32 s26, s0
	s_cbranch_execz .LBB307_323
; %bb.318:                              ;   in Loop: Header=BB307_231 Depth=1
	v_bfe_u32 v20, v17, 24, 7
	v_mov_b32_e32 v53, 0x7f800001
	s_mov_b32 s27, exec_lo
	v_cmpx_ne_u32_e32 0x7f, v20
	s_cbranch_execz .LBB307_322
; %bb.319:                              ;   in Loop: Header=BB307_231 Depth=1
	v_and_b32_sdwa v9, v17, v31 dst_sel:DWORD dst_unused:UNUSED_PAD src0_sel:BYTE_3 src1_sel:DWORD
	v_lshrrev_b32_e32 v19, 3, v20
	s_mov_b32 s28, exec_lo
	v_cmpx_gt_u32_e32 8, v20
; %bb.320:                              ;   in Loop: Header=BB307_231 Depth=1
	v_ffbh_u32_e32 v19, v9
	v_min_u32_e32 v19, 32, v19
	v_subrev_nc_u32_e32 v20, 28, v19
	v_sub_nc_u32_e32 v19, 29, v19
	v_lshlrev_b64 v[53:54], v20, v[9:10]
	v_and_b32_e32 v9, 7, v53
; %bb.321:                              ;   in Loop: Header=BB307_231 Depth=1
	s_or_b32 exec_lo, exec_lo, s28
	v_lshlrev_b32_sdwa v20, v32, v17 dst_sel:DWORD dst_unused:UNUSED_PAD src0_sel:DWORD src1_sel:BYTE_3
	v_lshlrev_b32_e32 v9, 20, v9
	v_lshl_add_u32 v19, v19, 23, 0x3c000000
	v_and_b32_e32 v20, 0x80000000, v20
	v_or3_b32 v53, v9, v20, v19
.LBB307_322:                            ;   in Loop: Header=BB307_231 Depth=1
	s_or_b32 exec_lo, exec_lo, s27
.LBB307_323:                            ;   in Loop: Header=BB307_231 Depth=1
	s_or_b32 exec_lo, exec_lo, s26
.LBB307_324:                            ;   in Loop: Header=BB307_231 Depth=1
	s_or_b32 exec_lo, exec_lo, s22
	v_mov_b32_e32 v9, v18
	v_cmp_ne_u16_sdwa s0, v18, v10 src0_sel:BYTE_0 src1_sel:DWORD
	v_mov_b32_e32 v19, 0
	v_mov_b32_e32 v54, 0
	s_and_saveexec_b32 s22, s0
	s_cbranch_execz .LBB307_330
; %bb.325:                              ;   in Loop: Header=BB307_231 Depth=1
	v_cmp_ne_u16_sdwa s0, v18, v28 src0_sel:BYTE_0 src1_sel:DWORD
	v_bfrev_b32_e32 v54, 1
	s_and_saveexec_b32 s26, s0
	s_cbranch_execz .LBB307_329
; %bb.326:                              ;   in Loop: Header=BB307_231 Depth=1
	v_and_b32_e32 v20, 0x7f, v18
	v_mov_b32_e32 v54, 0x7f800001
	s_mov_b32 s27, exec_lo
	v_cmpx_ne_u32_e32 0x7f, v20
	s_cbranch_execz .LBB307_328
; %bb.327:                              ;   in Loop: Header=BB307_231 Depth=1
	v_and_b32_e32 v54, 7, v18
	v_lshrrev_b32_e32 v55, 3, v20
	v_cmp_gt_u32_e64 s0, 8, v20
	v_ffbh_u32_e32 v54, v54
	v_min_u32_e32 v54, 32, v54
	v_subrev_nc_u32_e32 v56, 28, v54
	v_sub_nc_u32_e32 v54, 29, v54
	v_cndmask_b32_e64 v20, v55, v54, s0
	v_cndmask_b32_e64 v54, 0, v56, s0
	v_lshl_add_u32 v20, v20, 23, 0x3c000000
	v_lshlrev_b64 v[54:55], v54, v[9:10]
	v_lshlrev_b32_e32 v55, 24, v9
	v_lshlrev_b32_e32 v54, 20, v54
	v_and_b32_e32 v55, 0x80000000, v55
	v_and_b32_e32 v54, 0x700000, v54
	v_or3_b32 v54, v54, v55, v20
.LBB307_328:                            ;   in Loop: Header=BB307_231 Depth=1
	s_or_b32 exec_lo, exec_lo, s27
.LBB307_329:                            ;   in Loop: Header=BB307_231 Depth=1
	s_or_b32 exec_lo, exec_lo, s26
.LBB307_330:                            ;   in Loop: Header=BB307_231 Depth=1
	s_or_b32 exec_lo, exec_lo, s22
	v_cmp_ne_u16_sdwa s0, v9, v10 src0_sel:BYTE_1 src1_sel:DWORD
	s_and_saveexec_b32 s22, s0
	s_cbranch_execz .LBB307_338
; %bb.331:                              ;   in Loop: Header=BB307_231 Depth=1
	v_cmp_ne_u16_sdwa s0, v9, v28 src0_sel:BYTE_1 src1_sel:DWORD
	v_bfrev_b32_e32 v19, 1
	s_and_saveexec_b32 s26, s0
	s_cbranch_execz .LBB307_337
; %bb.332:                              ;   in Loop: Header=BB307_231 Depth=1
	v_and_b32_sdwa v20, v29, v9 dst_sel:DWORD dst_unused:UNUSED_PAD src0_sel:DWORD src1_sel:BYTE_1
	v_mov_b32_e32 v19, 0x7f800001
	s_mov_b32 s27, exec_lo
	v_and_b32_e32 v56, 0x7f, v20
	v_cmpx_ne_u32_e32 0x7f, v56
	s_cbranch_execz .LBB307_336
; %bb.333:                              ;   in Loop: Header=BB307_231 Depth=1
	v_and_b32_e32 v19, 7, v20
	v_mov_b32_e32 v20, v10
	v_lshrrev_b32_e32 v55, 3, v56
	s_mov_b32 s28, exec_lo
	v_cmpx_gt_u32_e32 8, v56
; %bb.334:                              ;   in Loop: Header=BB307_231 Depth=1
	v_ffbh_u32_e32 v55, v19
	v_min_u32_e32 v55, 32, v55
	v_subrev_nc_u32_e32 v56, 28, v55
	v_sub_nc_u32_e32 v55, 29, v55
	v_lshlrev_b64 v[19:20], v56, v[19:20]
	v_and_b32_e32 v19, 7, v19
; %bb.335:                              ;   in Loop: Header=BB307_231 Depth=1
	s_or_b32 exec_lo, exec_lo, s28
	v_lshlrev_b32_e32 v9, 16, v9
	v_lshlrev_b32_e32 v19, 20, v19
	v_lshl_add_u32 v20, v55, 23, 0x3c000000
	v_and_b32_e32 v9, 0x80000000, v9
	v_or3_b32 v19, v19, v9, v20
.LBB307_336:                            ;   in Loop: Header=BB307_231 Depth=1
	s_or_b32 exec_lo, exec_lo, s27
.LBB307_337:                            ;   in Loop: Header=BB307_231 Depth=1
	s_or_b32 exec_lo, exec_lo, s26
.LBB307_338:                            ;   in Loop: Header=BB307_231 Depth=1
	s_or_b32 exec_lo, exec_lo, s22
	v_and_b32_sdwa v9, v18, v30 dst_sel:DWORD dst_unused:UNUSED_PAD src0_sel:WORD_1 src1_sel:DWORD
	v_mov_b32_e32 v55, 0
	v_mov_b32_e32 v56, 0
	s_mov_b32 s22, exec_lo
	v_cmpx_ne_u16_e32 0, v9
	s_cbranch_execz .LBB307_346
; %bb.339:                              ;   in Loop: Header=BB307_231 Depth=1
	v_bfrev_b32_e32 v56, 1
	s_mov_b32 s26, exec_lo
	v_cmpx_ne_u16_e32 0x80, v9
	s_cbranch_execz .LBB307_345
; %bb.340:                              ;   in Loop: Header=BB307_231 Depth=1
	v_bfe_u32 v57, v18, 16, 7
	v_mov_b32_e32 v56, 0x7f800001
	s_mov_b32 s27, exec_lo
	v_cmpx_ne_u32_e32 0x7f, v57
	s_cbranch_execz .LBB307_344
; %bb.341:                              ;   in Loop: Header=BB307_231 Depth=1
	v_and_b32_sdwa v9, v18, v31 dst_sel:DWORD dst_unused:UNUSED_PAD src0_sel:WORD_1 src1_sel:DWORD
	v_lshrrev_b32_e32 v20, 3, v57
	s_mov_b32 s28, exec_lo
	v_cmpx_gt_u32_e32 8, v57
; %bb.342:                              ;   in Loop: Header=BB307_231 Depth=1
	v_ffbh_u32_e32 v20, v9
	v_min_u32_e32 v20, 32, v20
	v_subrev_nc_u32_e32 v56, 28, v20
	v_sub_nc_u32_e32 v20, 29, v20
	v_lshlrev_b64 v[56:57], v56, v[9:10]
	v_and_b32_e32 v9, 7, v56
; %bb.343:                              ;   in Loop: Header=BB307_231 Depth=1
	s_or_b32 exec_lo, exec_lo, s28
	v_lshlrev_b32_sdwa v56, v32, v18 dst_sel:DWORD dst_unused:UNUSED_PAD src0_sel:DWORD src1_sel:WORD_1
	v_lshlrev_b32_e32 v9, 20, v9
	v_lshl_add_u32 v20, v20, 23, 0x3c000000
	v_and_b32_e32 v56, 0x80000000, v56
	v_or3_b32 v56, v9, v56, v20
.LBB307_344:                            ;   in Loop: Header=BB307_231 Depth=1
	s_or_b32 exec_lo, exec_lo, s27
.LBB307_345:                            ;   in Loop: Header=BB307_231 Depth=1
	s_or_b32 exec_lo, exec_lo, s26
.LBB307_346:                            ;   in Loop: Header=BB307_231 Depth=1
	s_or_b32 exec_lo, exec_lo, s22
	s_mov_b32 s22, exec_lo
	v_cmpx_lt_u64_e64 s[2:3], v[17:18]
	s_cbranch_execz .LBB307_354
; %bb.347:                              ;   in Loop: Header=BB307_231 Depth=1
	v_cmp_ne_u32_sdwa s0, v18, v28 src0_sel:BYTE_3 src1_sel:DWORD
	v_bfrev_b32_e32 v55, 1
	s_and_saveexec_b32 s26, s0
	s_cbranch_execz .LBB307_353
; %bb.348:                              ;   in Loop: Header=BB307_231 Depth=1
	v_bfe_u32 v20, v18, 24, 7
	v_mov_b32_e32 v55, 0x7f800001
	s_mov_b32 s27, exec_lo
	v_cmpx_ne_u32_e32 0x7f, v20
	s_cbranch_execz .LBB307_352
; %bb.349:                              ;   in Loop: Header=BB307_231 Depth=1
	v_and_b32_sdwa v9, v18, v31 dst_sel:DWORD dst_unused:UNUSED_PAD src0_sel:BYTE_3 src1_sel:DWORD
	v_lshrrev_b32_e32 v17, 3, v20
	s_mov_b32 s28, exec_lo
	v_cmpx_gt_u32_e32 8, v20
; %bb.350:                              ;   in Loop: Header=BB307_231 Depth=1
	v_ffbh_u32_e32 v17, v9
	v_min_u32_e32 v17, 32, v17
	v_subrev_nc_u32_e32 v20, 28, v17
	v_sub_nc_u32_e32 v17, 29, v17
	v_lshlrev_b64 v[57:58], v20, v[9:10]
	v_and_b32_e32 v9, 7, v57
; %bb.351:                              ;   in Loop: Header=BB307_231 Depth=1
	s_or_b32 exec_lo, exec_lo, s28
	v_lshlrev_b32_sdwa v18, v32, v18 dst_sel:DWORD dst_unused:UNUSED_PAD src0_sel:DWORD src1_sel:BYTE_3
	v_lshlrev_b32_e32 v9, 20, v9
	v_lshl_add_u32 v17, v17, 23, 0x3c000000
	v_and_b32_e32 v18, 0x80000000, v18
	v_or3_b32 v55, v9, v18, v17
.LBB307_352:                            ;   in Loop: Header=BB307_231 Depth=1
	s_or_b32 exec_lo, exec_lo, s27
.LBB307_353:                            ;   in Loop: Header=BB307_231 Depth=1
	s_or_b32 exec_lo, exec_lo, s26
.LBB307_354:                            ;   in Loop: Header=BB307_231 Depth=1
	s_or_b32 exec_lo, exec_lo, s22
	v_mul_f32_e32 v9, s21, v19
	v_mul_f32_e32 v17, s21, v54
	;; [unrolled: 1-line block ×5, first 2 shown]
	v_bfe_u32 v19, v9, 16, 1
	v_or_b32_e32 v20, 0x400000, v9
	v_bfe_u32 v52, v17, 16, 1
	v_cmp_u_f32_e64 s0, v9, v9
	v_or_b32_e32 v54, 0x400000, v17
	v_add3_u32 v19, v19, v9, 0x7fff
	v_bfe_u32 v57, v18, 16, 1
	v_add3_u32 v52, v52, v17, 0x7fff
	v_or_b32_e32 v58, 0x400000, v18
	v_bfe_u32 v59, v53, 16, 1
	v_cndmask_b32_e64 v9, v19, v20, s0
	v_cmp_u_f32_e64 s0, v17, v17
	v_add3_u32 v57, v57, v18, 0x7fff
	v_lshrrev_b32_e32 v20, 16, v9
	v_cndmask_b32_e64 v17, v52, v54, s0
	v_cmp_u_f32_e64 s0, v18, v18
	v_mul_f32_e32 v9, s21, v51
	v_add3_u32 v51, v59, v53, 0x7fff
	v_or_b32_e32 v54, 0x400000, v53
	v_lshrrev_b32_e32 v19, 16, v17
	v_cndmask_b32_e64 v18, v57, v58, s0
	v_bfe_u32 v17, v9, 16, 1
	v_cmp_u_f32_e64 s0, v53, v53
	v_or_b32_e32 v53, 0x400000, v9
	v_lshrrev_b32_e32 v52, 16, v18
	v_add3_u32 v17, v17, v9, 0x7fff
	v_cndmask_b32_e64 v18, v51, v54, s0
	v_mul_f32_e32 v51, s21, v56
	v_mul_f32_e32 v54, s21, v55
	v_bfe_u32 v55, v50, 16, 1
	v_cmp_u_f32_e64 s0, v9, v9
	v_bfe_u32 v56, v51, 16, 1
	v_or_b32_e32 v57, 0x400000, v51
	v_or_b32_e32 v58, 0x400000, v54
	v_cndmask_b32_e64 v9, v17, v53, s0
	v_add3_u32 v53, v55, v50, 0x7fff
	v_or_b32_e32 v55, 0x400000, v50
	v_cmp_u_f32_e64 s0, v50, v50
	v_bfe_u32 v17, v54, 16, 1
	v_add3_u32 v56, v56, v51, 0x7fff
	v_cndmask_b32_e64 v50, v53, v55, s0
	v_cmp_u_f32_e64 s0, v51, v51
	v_add3_u32 v17, v17, v54, 0x7fff
	v_lshrrev_b32_e32 v53, 16, v18
	v_lshrrev_b32_e32 v55, 16, v9
	v_cndmask_b32_e64 v51, v56, v57, s0
	v_cmp_u_f32_e64 s0, v54, v54
	v_lshrrev_b32_e32 v54, 16, v50
	v_lshrrev_b32_e32 v50, 16, v51
	v_cndmask_b32_e64 v17, v17, v58, s0
	v_lshrrev_b32_e32 v51, 16, v17
	s_and_saveexec_b32 s22, vcc_lo
	s_cbranch_execz .LBB307_356
; %bb.355:                              ;   in Loop: Header=BB307_231 Depth=1
	v_cmp_gt_i32_e64 s0, s11, v22
	v_cndmask_b32_e64 v54, 0, v54, s0
	v_cmp_gt_i32_e64 s0, s11, v49
	v_cndmask_b32_e64 v55, 0, v55, s0
	;; [unrolled: 2-line block ×8, first 2 shown]
.LBB307_356:                            ;   in Loop: Header=BB307_231 Depth=1
	s_or_b32 exec_lo, exec_lo, s22
	global_load_dwordx2 v[15:16], v[15:16], off offset:512
	v_mov_b32_e32 v57, 0
	v_mov_b32_e32 v56, 0
	s_waitcnt vmcnt(0)
	v_cmp_ne_u16_sdwa s0, v15, v10 src0_sel:BYTE_0 src1_sel:DWORD
	s_and_saveexec_b32 s22, s0
	s_cbranch_execz .LBB307_362
; %bb.357:                              ;   in Loop: Header=BB307_231 Depth=1
	v_cmp_ne_u16_sdwa s0, v15, v28 src0_sel:BYTE_0 src1_sel:DWORD
	v_bfrev_b32_e32 v56, 1
	s_and_saveexec_b32 s26, s0
	s_cbranch_execz .LBB307_361
; %bb.358:                              ;   in Loop: Header=BB307_231 Depth=1
	v_and_b32_e32 v9, 0x7f, v15
	v_mov_b32_e32 v56, 0x7f800001
	s_mov_b32 s27, exec_lo
	v_cmpx_ne_u32_e32 0x7f, v9
	s_cbranch_execz .LBB307_360
; %bb.359:                              ;   in Loop: Header=BB307_231 Depth=1
	v_and_b32_e32 v17, 7, v15
	v_lshrrev_b32_e32 v18, 3, v9
	v_cmp_gt_u32_e64 s0, 8, v9
	v_ffbh_u32_e32 v17, v17
	v_min_u32_e32 v17, 32, v17
	v_subrev_nc_u32_e32 v56, 28, v17
	v_sub_nc_u32_e32 v17, 29, v17
	v_cndmask_b32_e64 v9, v18, v17, s0
	v_cndmask_b32_e64 v17, 0, v56, s0
	v_lshl_add_u32 v9, v9, 23, 0x3c000000
	v_lshlrev_b64 v[17:18], v17, v[15:16]
	v_lshlrev_b32_e32 v18, 24, v15
	v_lshlrev_b32_e32 v17, 20, v17
	v_and_b32_e32 v18, 0x80000000, v18
	v_and_b32_e32 v17, 0x700000, v17
	v_or3_b32 v56, v17, v18, v9
.LBB307_360:                            ;   in Loop: Header=BB307_231 Depth=1
	s_or_b32 exec_lo, exec_lo, s27
.LBB307_361:                            ;   in Loop: Header=BB307_231 Depth=1
	s_or_b32 exec_lo, exec_lo, s26
.LBB307_362:                            ;   in Loop: Header=BB307_231 Depth=1
	s_or_b32 exec_lo, exec_lo, s22
	v_cmp_ne_u16_sdwa s0, v15, v10 src0_sel:BYTE_1 src1_sel:DWORD
	s_and_saveexec_b32 s22, s0
	s_cbranch_execz .LBB307_370
; %bb.363:                              ;   in Loop: Header=BB307_231 Depth=1
	v_cmp_ne_u16_sdwa s0, v15, v28 src0_sel:BYTE_1 src1_sel:DWORD
	v_bfrev_b32_e32 v57, 1
	s_and_saveexec_b32 s26, s0
	s_cbranch_execz .LBB307_369
; %bb.364:                              ;   in Loop: Header=BB307_231 Depth=1
	v_and_b32_sdwa v9, v29, v15 dst_sel:DWORD dst_unused:UNUSED_PAD src0_sel:DWORD src1_sel:BYTE_1
	v_mov_b32_e32 v57, 0x7f800001
	s_mov_b32 s27, exec_lo
	v_and_b32_e32 v18, 0x7f, v9
	v_cmpx_ne_u32_e32 0x7f, v18
	s_cbranch_execz .LBB307_368
; %bb.365:                              ;   in Loop: Header=BB307_231 Depth=1
	v_and_b32_e32 v9, 7, v9
	v_lshrrev_b32_e32 v17, 3, v18
	s_mov_b32 s28, exec_lo
	v_cmpx_gt_u32_e32 8, v18
; %bb.366:                              ;   in Loop: Header=BB307_231 Depth=1
	v_ffbh_u32_e32 v17, v9
	v_min_u32_e32 v17, 32, v17
	v_subrev_nc_u32_e32 v18, 28, v17
	v_sub_nc_u32_e32 v17, 29, v17
	v_lshlrev_b64 v[57:58], v18, v[9:10]
	v_and_b32_e32 v9, 7, v57
; %bb.367:                              ;   in Loop: Header=BB307_231 Depth=1
	s_or_b32 exec_lo, exec_lo, s28
	v_lshlrev_b32_e32 v18, 16, v15
	v_lshlrev_b32_e32 v9, 20, v9
	v_lshl_add_u32 v17, v17, 23, 0x3c000000
	v_and_b32_e32 v18, 0x80000000, v18
	v_or3_b32 v57, v9, v18, v17
.LBB307_368:                            ;   in Loop: Header=BB307_231 Depth=1
	s_or_b32 exec_lo, exec_lo, s27
.LBB307_369:                            ;   in Loop: Header=BB307_231 Depth=1
	s_or_b32 exec_lo, exec_lo, s26
.LBB307_370:                            ;   in Loop: Header=BB307_231 Depth=1
	s_or_b32 exec_lo, exec_lo, s22
	v_and_b32_sdwa v9, v15, v30 dst_sel:DWORD dst_unused:UNUSED_PAD src0_sel:WORD_1 src1_sel:DWORD
	v_mov_b32_e32 v59, 0
	v_mov_b32_e32 v58, 0
	s_mov_b32 s22, exec_lo
	v_cmpx_ne_u16_e32 0, v9
	s_cbranch_execz .LBB307_378
; %bb.371:                              ;   in Loop: Header=BB307_231 Depth=1
	v_bfrev_b32_e32 v58, 1
	s_mov_b32 s26, exec_lo
	v_cmpx_ne_u16_e32 0x80, v9
	s_cbranch_execz .LBB307_377
; %bb.372:                              ;   in Loop: Header=BB307_231 Depth=1
	v_bfe_u32 v18, v15, 16, 7
	v_mov_b32_e32 v58, 0x7f800001
	s_mov_b32 s27, exec_lo
	v_cmpx_ne_u32_e32 0x7f, v18
	s_cbranch_execz .LBB307_376
; %bb.373:                              ;   in Loop: Header=BB307_231 Depth=1
	v_and_b32_sdwa v9, v15, v31 dst_sel:DWORD dst_unused:UNUSED_PAD src0_sel:WORD_1 src1_sel:DWORD
	v_lshrrev_b32_e32 v17, 3, v18
	s_mov_b32 s28, exec_lo
	v_cmpx_gt_u32_e32 8, v18
; %bb.374:                              ;   in Loop: Header=BB307_231 Depth=1
	v_ffbh_u32_e32 v17, v9
	v_min_u32_e32 v17, 32, v17
	v_subrev_nc_u32_e32 v18, 28, v17
	v_sub_nc_u32_e32 v17, 29, v17
	v_lshlrev_b64 v[60:61], v18, v[9:10]
	v_and_b32_e32 v9, 7, v60
; %bb.375:                              ;   in Loop: Header=BB307_231 Depth=1
	s_or_b32 exec_lo, exec_lo, s28
	v_lshlrev_b32_sdwa v18, v32, v15 dst_sel:DWORD dst_unused:UNUSED_PAD src0_sel:DWORD src1_sel:WORD_1
	v_lshlrev_b32_e32 v9, 20, v9
	v_lshl_add_u32 v17, v17, 23, 0x3c000000
	v_and_b32_e32 v18, 0x80000000, v18
	v_or3_b32 v58, v9, v18, v17
.LBB307_376:                            ;   in Loop: Header=BB307_231 Depth=1
	s_or_b32 exec_lo, exec_lo, s27
.LBB307_377:                            ;   in Loop: Header=BB307_231 Depth=1
	s_or_b32 exec_lo, exec_lo, s26
.LBB307_378:                            ;   in Loop: Header=BB307_231 Depth=1
	s_or_b32 exec_lo, exec_lo, s22
	s_mov_b32 s22, exec_lo
	v_cmpx_lt_u32_e32 0xffffff, v15
	s_cbranch_execz .LBB307_386
; %bb.379:                              ;   in Loop: Header=BB307_231 Depth=1
	v_cmp_ne_u32_sdwa s0, v15, v28 src0_sel:BYTE_3 src1_sel:DWORD
	v_bfrev_b32_e32 v59, 1
	s_and_saveexec_b32 s26, s0
	s_cbranch_execz .LBB307_385
; %bb.380:                              ;   in Loop: Header=BB307_231 Depth=1
	v_bfe_u32 v18, v15, 24, 7
	v_mov_b32_e32 v59, 0x7f800001
	s_mov_b32 s27, exec_lo
	v_cmpx_ne_u32_e32 0x7f, v18
	s_cbranch_execz .LBB307_384
; %bb.381:                              ;   in Loop: Header=BB307_231 Depth=1
	v_and_b32_sdwa v9, v15, v31 dst_sel:DWORD dst_unused:UNUSED_PAD src0_sel:BYTE_3 src1_sel:DWORD
	v_lshrrev_b32_e32 v17, 3, v18
	s_mov_b32 s28, exec_lo
	v_cmpx_gt_u32_e32 8, v18
; %bb.382:                              ;   in Loop: Header=BB307_231 Depth=1
	v_ffbh_u32_e32 v17, v9
	v_min_u32_e32 v17, 32, v17
	v_subrev_nc_u32_e32 v18, 28, v17
	v_sub_nc_u32_e32 v17, 29, v17
	v_lshlrev_b64 v[59:60], v18, v[9:10]
	v_and_b32_e32 v9, 7, v59
; %bb.383:                              ;   in Loop: Header=BB307_231 Depth=1
	s_or_b32 exec_lo, exec_lo, s28
	v_lshlrev_b32_sdwa v18, v32, v15 dst_sel:DWORD dst_unused:UNUSED_PAD src0_sel:DWORD src1_sel:BYTE_3
	v_lshlrev_b32_e32 v9, 20, v9
	v_lshl_add_u32 v17, v17, 23, 0x3c000000
	v_and_b32_e32 v18, 0x80000000, v18
	v_or3_b32 v59, v9, v18, v17
.LBB307_384:                            ;   in Loop: Header=BB307_231 Depth=1
	s_or_b32 exec_lo, exec_lo, s27
.LBB307_385:                            ;   in Loop: Header=BB307_231 Depth=1
	s_or_b32 exec_lo, exec_lo, s26
.LBB307_386:                            ;   in Loop: Header=BB307_231 Depth=1
	s_or_b32 exec_lo, exec_lo, s22
	v_mov_b32_e32 v9, v16
	v_cmp_ne_u16_sdwa s0, v16, v10 src0_sel:BYTE_0 src1_sel:DWORD
	v_mov_b32_e32 v17, 0
	v_mov_b32_e32 v60, 0
	s_and_saveexec_b32 s22, s0
	s_cbranch_execz .LBB307_392
; %bb.387:                              ;   in Loop: Header=BB307_231 Depth=1
	v_cmp_ne_u16_sdwa s0, v16, v28 src0_sel:BYTE_0 src1_sel:DWORD
	v_bfrev_b32_e32 v60, 1
	s_and_saveexec_b32 s26, s0
	s_cbranch_execz .LBB307_391
; %bb.388:                              ;   in Loop: Header=BB307_231 Depth=1
	v_and_b32_e32 v18, 0x7f, v16
	v_mov_b32_e32 v60, 0x7f800001
	s_mov_b32 s27, exec_lo
	v_cmpx_ne_u32_e32 0x7f, v18
	s_cbranch_execz .LBB307_390
; %bb.389:                              ;   in Loop: Header=BB307_231 Depth=1
	v_and_b32_e32 v60, 7, v16
	v_lshrrev_b32_e32 v61, 3, v18
	v_cmp_gt_u32_e64 s0, 8, v18
	v_ffbh_u32_e32 v60, v60
	v_min_u32_e32 v60, 32, v60
	v_subrev_nc_u32_e32 v62, 28, v60
	v_sub_nc_u32_e32 v60, 29, v60
	v_cndmask_b32_e64 v18, v61, v60, s0
	v_cndmask_b32_e64 v60, 0, v62, s0
	v_lshl_add_u32 v18, v18, 23, 0x3c000000
	v_lshlrev_b64 v[60:61], v60, v[9:10]
	v_lshlrev_b32_e32 v61, 24, v9
	v_lshlrev_b32_e32 v60, 20, v60
	v_and_b32_e32 v61, 0x80000000, v61
	v_and_b32_e32 v60, 0x700000, v60
	v_or3_b32 v60, v60, v61, v18
.LBB307_390:                            ;   in Loop: Header=BB307_231 Depth=1
	s_or_b32 exec_lo, exec_lo, s27
.LBB307_391:                            ;   in Loop: Header=BB307_231 Depth=1
	s_or_b32 exec_lo, exec_lo, s26
.LBB307_392:                            ;   in Loop: Header=BB307_231 Depth=1
	s_or_b32 exec_lo, exec_lo, s22
	v_cmp_ne_u16_sdwa s0, v9, v10 src0_sel:BYTE_1 src1_sel:DWORD
	s_and_saveexec_b32 s22, s0
	s_cbranch_execz .LBB307_400
; %bb.393:                              ;   in Loop: Header=BB307_231 Depth=1
	v_cmp_ne_u16_sdwa s0, v9, v28 src0_sel:BYTE_1 src1_sel:DWORD
	v_bfrev_b32_e32 v17, 1
	s_and_saveexec_b32 s26, s0
	s_cbranch_execz .LBB307_399
; %bb.394:                              ;   in Loop: Header=BB307_231 Depth=1
	v_and_b32_sdwa v18, v29, v9 dst_sel:DWORD dst_unused:UNUSED_PAD src0_sel:DWORD src1_sel:BYTE_1
	v_mov_b32_e32 v17, 0x7f800001
	s_mov_b32 s27, exec_lo
	v_and_b32_e32 v62, 0x7f, v18
	v_cmpx_ne_u32_e32 0x7f, v62
	s_cbranch_execz .LBB307_398
; %bb.395:                              ;   in Loop: Header=BB307_231 Depth=1
	v_and_b32_e32 v17, 7, v18
	v_mov_b32_e32 v18, v10
	v_lshrrev_b32_e32 v61, 3, v62
	s_mov_b32 s28, exec_lo
	v_cmpx_gt_u32_e32 8, v62
; %bb.396:                              ;   in Loop: Header=BB307_231 Depth=1
	v_ffbh_u32_e32 v61, v17
	v_min_u32_e32 v61, 32, v61
	v_subrev_nc_u32_e32 v62, 28, v61
	v_sub_nc_u32_e32 v61, 29, v61
	v_lshlrev_b64 v[17:18], v62, v[17:18]
	v_and_b32_e32 v17, 7, v17
; %bb.397:                              ;   in Loop: Header=BB307_231 Depth=1
	s_or_b32 exec_lo, exec_lo, s28
	v_lshlrev_b32_e32 v9, 16, v9
	v_lshlrev_b32_e32 v17, 20, v17
	v_lshl_add_u32 v18, v61, 23, 0x3c000000
	v_and_b32_e32 v9, 0x80000000, v9
	v_or3_b32 v17, v17, v9, v18
.LBB307_398:                            ;   in Loop: Header=BB307_231 Depth=1
	s_or_b32 exec_lo, exec_lo, s27
.LBB307_399:                            ;   in Loop: Header=BB307_231 Depth=1
	s_or_b32 exec_lo, exec_lo, s26
.LBB307_400:                            ;   in Loop: Header=BB307_231 Depth=1
	s_or_b32 exec_lo, exec_lo, s22
	v_and_b32_sdwa v9, v16, v30 dst_sel:DWORD dst_unused:UNUSED_PAD src0_sel:WORD_1 src1_sel:DWORD
	v_mov_b32_e32 v18, 0
	v_mov_b32_e32 v61, 0
	s_mov_b32 s22, exec_lo
	v_cmpx_ne_u16_e32 0, v9
	s_cbranch_execz .LBB307_408
; %bb.401:                              ;   in Loop: Header=BB307_231 Depth=1
	v_bfrev_b32_e32 v61, 1
	s_mov_b32 s26, exec_lo
	v_cmpx_ne_u16_e32 0x80, v9
	s_cbranch_execz .LBB307_407
; %bb.402:                              ;   in Loop: Header=BB307_231 Depth=1
	v_bfe_u32 v62, v16, 16, 7
	v_mov_b32_e32 v61, 0x7f800001
	s_mov_b32 s27, exec_lo
	v_cmpx_ne_u32_e32 0x7f, v62
	s_cbranch_execz .LBB307_406
; %bb.403:                              ;   in Loop: Header=BB307_231 Depth=1
	v_and_b32_sdwa v9, v16, v31 dst_sel:DWORD dst_unused:UNUSED_PAD src0_sel:WORD_1 src1_sel:DWORD
	v_lshrrev_b32_e32 v61, 3, v62
	s_mov_b32 s28, exec_lo
	v_cmpx_gt_u32_e32 8, v62
; %bb.404:                              ;   in Loop: Header=BB307_231 Depth=1
	v_ffbh_u32_e32 v61, v9
	v_min_u32_e32 v61, 32, v61
	v_subrev_nc_u32_e32 v62, 28, v61
	v_sub_nc_u32_e32 v61, 29, v61
	v_lshlrev_b64 v[62:63], v62, v[9:10]
	v_and_b32_e32 v9, 7, v62
; %bb.405:                              ;   in Loop: Header=BB307_231 Depth=1
	s_or_b32 exec_lo, exec_lo, s28
	v_lshlrev_b32_sdwa v62, v32, v16 dst_sel:DWORD dst_unused:UNUSED_PAD src0_sel:DWORD src1_sel:WORD_1
	v_lshlrev_b32_e32 v9, 20, v9
	v_lshl_add_u32 v61, v61, 23, 0x3c000000
	v_and_b32_e32 v62, 0x80000000, v62
	v_or3_b32 v61, v9, v62, v61
.LBB307_406:                            ;   in Loop: Header=BB307_231 Depth=1
	s_or_b32 exec_lo, exec_lo, s27
.LBB307_407:                            ;   in Loop: Header=BB307_231 Depth=1
	s_or_b32 exec_lo, exec_lo, s26
.LBB307_408:                            ;   in Loop: Header=BB307_231 Depth=1
	s_or_b32 exec_lo, exec_lo, s22
	s_mov_b32 s22, exec_lo
	v_cmpx_lt_u64_e64 s[2:3], v[15:16]
	s_cbranch_execz .LBB307_416
; %bb.409:                              ;   in Loop: Header=BB307_231 Depth=1
	v_cmp_ne_u32_sdwa s0, v16, v28 src0_sel:BYTE_3 src1_sel:DWORD
	v_bfrev_b32_e32 v18, 1
	s_and_saveexec_b32 s26, s0
	s_cbranch_execz .LBB307_415
; %bb.410:                              ;   in Loop: Header=BB307_231 Depth=1
	v_bfe_u32 v62, v16, 24, 7
	v_mov_b32_e32 v18, 0x7f800001
	s_mov_b32 s27, exec_lo
	v_cmpx_ne_u32_e32 0x7f, v62
	s_cbranch_execz .LBB307_414
; %bb.411:                              ;   in Loop: Header=BB307_231 Depth=1
	v_and_b32_sdwa v9, v16, v31 dst_sel:DWORD dst_unused:UNUSED_PAD src0_sel:BYTE_3 src1_sel:DWORD
	v_lshrrev_b32_e32 v15, 3, v62
	s_mov_b32 s28, exec_lo
	v_cmpx_gt_u32_e32 8, v62
; %bb.412:                              ;   in Loop: Header=BB307_231 Depth=1
	v_ffbh_u32_e32 v15, v9
	v_min_u32_e32 v15, 32, v15
	v_subrev_nc_u32_e32 v18, 28, v15
	v_sub_nc_u32_e32 v15, 29, v15
	v_lshlrev_b64 v[62:63], v18, v[9:10]
	v_and_b32_e32 v9, 7, v62
; %bb.413:                              ;   in Loop: Header=BB307_231 Depth=1
	s_or_b32 exec_lo, exec_lo, s28
	v_lshlrev_b32_sdwa v16, v32, v16 dst_sel:DWORD dst_unused:UNUSED_PAD src0_sel:DWORD src1_sel:BYTE_3
	v_lshlrev_b32_e32 v9, 20, v9
	v_lshl_add_u32 v15, v15, 23, 0x3c000000
	v_and_b32_e32 v16, 0x80000000, v16
	v_or3_b32 v18, v9, v16, v15
.LBB307_414:                            ;   in Loop: Header=BB307_231 Depth=1
	s_or_b32 exec_lo, exec_lo, s27
.LBB307_415:                            ;   in Loop: Header=BB307_231 Depth=1
	s_or_b32 exec_lo, exec_lo, s26
.LBB307_416:                            ;   in Loop: Header=BB307_231 Depth=1
	s_or_b32 exec_lo, exec_lo, s22
	v_mul_f32_e32 v9, s21, v17
	v_mul_f32_e32 v15, s21, v60
	;; [unrolled: 1-line block ×5, first 2 shown]
	v_bfe_u32 v17, v9, 16, 1
	v_or_b32_e32 v59, 0x400000, v9
	v_bfe_u32 v60, v15, 16, 1
	v_cmp_u_f32_e64 s0, v9, v9
	v_or_b32_e32 v62, 0x400000, v15
	v_add3_u32 v17, v17, v9, 0x7fff
	v_bfe_u32 v63, v16, 16, 1
	v_add3_u32 v60, v60, v15, 0x7fff
	v_or_b32_e32 v64, 0x400000, v16
	v_bfe_u32 v65, v58, 16, 1
	v_cndmask_b32_e64 v9, v17, v59, s0
	v_cmp_u_f32_e64 s0, v15, v15
	v_add3_u32 v63, v63, v16, 0x7fff
	v_mul_f32_e32 v56, s21, v56
	v_add3_u32 v59, v65, v58, 0x7fff
	v_lshrrev_b32_e32 v15, 16, v9
	v_cndmask_b32_e64 v17, v60, v62, s0
	v_cmp_u_f32_e64 s0, v16, v16
	v_or_b32_e32 v60, 0x400000, v58
	v_mul_f32_e32 v18, s21, v18
	v_lshrrev_b32_e32 v9, 16, v17
	v_cndmask_b32_e64 v16, v63, v64, s0
	v_cmp_u_f32_e64 s0, v58, v58
	v_or_b32_e32 v64, 0x400000, v18
	v_lshrrev_b32_e32 v17, 16, v16
	v_bfe_u32 v16, v57, 16, 1
	v_cndmask_b32_e64 v58, v59, v60, s0
	v_mul_f32_e32 v59, s21, v61
	v_or_b32_e32 v60, 0x400000, v57
	v_bfe_u32 v61, v56, 16, 1
	v_add3_u32 v16, v16, v57, 0x7fff
	v_cmp_u_f32_e64 s0, v57, v57
	v_bfe_u32 v62, v59, 16, 1
	v_bfe_u32 v57, v18, 16, 1
	v_or_b32_e32 v63, 0x400000, v59
	v_cndmask_b32_e64 v16, v16, v60, s0
	v_add3_u32 v60, v61, v56, 0x7fff
	v_or_b32_e32 v61, 0x400000, v56
	v_cmp_u_f32_e64 s0, v56, v56
	v_add3_u32 v62, v62, v59, 0x7fff
	v_add3_u32 v57, v57, v18, 0x7fff
	v_lshrrev_b32_e32 v56, 16, v58
	v_lshrrev_b32_e32 v58, 16, v16
	v_cndmask_b32_e64 v60, v60, v61, s0
	v_cmp_u_f32_e64 s0, v59, v59
	v_cndmask_b32_e64 v59, v62, v63, s0
	v_cmp_u_f32_e64 s0, v18, v18
	v_lshrrev_b32_e32 v16, 16, v59
	v_cndmask_b32_e64 v18, v57, v64, s0
	v_lshrrev_b32_e32 v57, 16, v60
	v_lshrrev_b32_e32 v18, 16, v18
	s_and_saveexec_b32 s0, vcc_lo
	s_cbranch_execz .LBB307_229
; %bb.417:                              ;   in Loop: Header=BB307_231 Depth=1
	v_cmp_gt_i32_e32 vcc_lo, s11, v22
	v_cndmask_b32_e32 v57, 0, v57, vcc_lo
	v_cmp_gt_i32_e32 vcc_lo, s11, v49
	v_cndmask_b32_e32 v58, 0, v58, vcc_lo
	;; [unrolled: 2-line block ×8, first 2 shown]
	s_branch .LBB307_229
.LBB307_418:
	s_or_b32 exec_lo, exec_lo, s17
.LBB307_419:
	s_or_b32 exec_lo, exec_lo, s1
	v_lshl_add_u32 v2, v23, 2, 0xe0
	v_and_b32_e32 v3, 0x3c0, v0
	s_mov_b32 s0, exec_lo
	s_barrier
	v_mad_u32_u24 v1, 0x180, v21, v2
	buffer_gl0_inv
	v_cmpx_eq_u32_e32 64, v3
	s_cbranch_execz .LBB307_421
; %bb.420:
	v_add_nc_u32_e32 v3, 0xfffffd00, v1
	v_add_nc_u32_e32 v4, 0xfffffd80, v1
	;; [unrolled: 1-line block ×3, first 2 shown]
	ds_write_b32 v3, v26
	ds_write_b32 v4, v25
	ds_write_b32 v5, v24
.LBB307_421:
	s_or_b32 exec_lo, exec_lo, s0
	s_mov_b32 s0, exec_lo
	s_waitcnt lgkmcnt(0)
	s_barrier
	buffer_gl0_inv
	v_cmpx_gt_u32_e32 64, v0
	s_cbranch_execz .LBB307_423
; %bb.422:
	ds_read2_b32 v[3:4], v1 offset1:32
	ds_read_b32 v5, v1 offset:256
	s_waitcnt lgkmcnt(1)
	v_add_f32_e32 v26, v26, v3
	v_add_f32_e32 v25, v25, v4
	s_waitcnt lgkmcnt(0)
	v_add_f32_e32 v24, v24, v5
.LBB307_423:
	s_or_b32 exec_lo, exec_lo, s0
	v_and_b32_e32 v3, 0x3e0, v0
	s_mov_b32 s0, exec_lo
	s_barrier
	buffer_gl0_inv
	v_cmpx_eq_u32_e32 32, v3
	s_cbranch_execz .LBB307_425
; %bb.424:
	ds_write2_b32 v2, v26, v25 offset1:32
	ds_write_b32 v2, v24 offset:256
.LBB307_425:
	s_or_b32 exec_lo, exec_lo, s0
	v_cmp_gt_u32_e32 vcc_lo, 32, v0
	s_waitcnt lgkmcnt(0)
	s_barrier
	buffer_gl0_inv
	s_and_saveexec_b32 s0, vcc_lo
	s_cbranch_execz .LBB307_427
; %bb.426:
	ds_read2_b32 v[2:3], v1 offset1:32
	ds_read_b32 v1, v1 offset:256
	s_waitcnt lgkmcnt(1)
	v_add_f32_e32 v26, v26, v2
	v_add_f32_e32 v25, v25, v3
	s_waitcnt lgkmcnt(0)
	v_add_f32_e32 v24, v24, v1
.LBB307_427:
	s_or_b32 exec_lo, exec_lo, s0
	s_barrier
	buffer_gl0_inv
	s_and_saveexec_b32 s0, vcc_lo
	s_cbranch_execz .LBB307_429
; %bb.428:
	s_mul_i32 s0, s10, s16
	v_bfe_u32 v1, v26, 16, 1
	s_mul_i32 s0, s0, s9
	v_bfe_u32 v2, v25, 16, 1
	s_mulk_i32 s0, 0x60
	v_or_b32_e32 v4, 0x400000, v26
	v_add3_u32 v1, v1, v26, 0x7fff
	v_cmp_u_f32_e32 vcc_lo, v26, v26
	s_ashr_i32 s1, s0, 31
	s_mul_i32 s2, s16, s24
	s_lshl_b64 s[0:1], s[0:1], 1
	v_bfe_u32 v3, v24, 16, 1
	s_add_u32 s5, s6, s0
	v_add3_u32 v2, v2, v25, 0x7fff
	v_or_b32_e32 v5, 0x400000, v25
	v_cndmask_b32_e32 v1, v1, v4, vcc_lo
	v_cmp_u_f32_e32 vcc_lo, v25, v25
	s_addc_u32 s6, s7, s1
	s_ashr_i32 s3, s2, 31
	s_mul_i32 s4, s8, 0x60
	s_lshl_b64 s[0:1], s[2:3], 1
	v_add3_u32 v3, v3, v24, 0x7fff
	s_add_u32 s2, s5, s0
	v_or_b32_e32 v6, 0x400000, v24
	v_cndmask_b32_e32 v2, v2, v5, vcc_lo
	v_cmp_u_f32_e32 vcc_lo, v24, v24
	s_addc_u32 s3, s6, s1
	s_ashr_i32 s5, s4, 31
	v_lshlrev_b32_e32 v0, 1, v0
	s_lshl_b64 s[0:1], s[4:5], 1
	v_cndmask_b32_e32 v3, v3, v6, vcc_lo
	s_add_u32 s0, s2, s0
	s_addc_u32 s1, s3, s1
	global_store_short_d16_hi v0, v1, s[0:1]
	global_store_short_d16_hi v0, v2, s[0:1] offset:64
	global_store_short_d16_hi v0, v3, s[0:1] offset:128
.LBB307_429:
	s_endpgm
	.section	.rodata,"a",@progbits
	.p2align	6, 0x0
	.amdhsa_kernel _ZN4vllm25paged_attention_v1_kernelI14__hip_bfloat16hLi96ELi8ELi128ELNS_18Fp8KVCacheDataTypeE1ELb1EEEvPT_PKS3_PKT0_S9_ifPKiSB_iPKfiiiSD_SD_iiiii
		.amdhsa_group_segment_fixed_size 224
		.amdhsa_private_segment_fixed_size 0
		.amdhsa_kernarg_size 384
		.amdhsa_user_sgpr_count 6
		.amdhsa_user_sgpr_private_segment_buffer 1
		.amdhsa_user_sgpr_dispatch_ptr 0
		.amdhsa_user_sgpr_queue_ptr 0
		.amdhsa_user_sgpr_kernarg_segment_ptr 1
		.amdhsa_user_sgpr_dispatch_id 0
		.amdhsa_user_sgpr_flat_scratch_init 0
		.amdhsa_user_sgpr_private_segment_size 0
		.amdhsa_wavefront_size32 1
		.amdhsa_uses_dynamic_stack 0
		.amdhsa_system_sgpr_private_segment_wavefront_offset 0
		.amdhsa_system_sgpr_workgroup_id_x 1
		.amdhsa_system_sgpr_workgroup_id_y 1
		.amdhsa_system_sgpr_workgroup_id_z 1
		.amdhsa_system_sgpr_workgroup_info 0
		.amdhsa_system_vgpr_workitem_id 0
		.amdhsa_next_free_vgpr 69
		.amdhsa_next_free_sgpr 45
		.amdhsa_reserve_vcc 1
		.amdhsa_reserve_flat_scratch 0
		.amdhsa_float_round_mode_32 0
		.amdhsa_float_round_mode_16_64 0
		.amdhsa_float_denorm_mode_32 3
		.amdhsa_float_denorm_mode_16_64 3
		.amdhsa_dx10_clamp 1
		.amdhsa_ieee_mode 1
		.amdhsa_fp16_overflow 0
		.amdhsa_workgroup_processor_mode 1
		.amdhsa_memory_ordered 1
		.amdhsa_forward_progress 1
		.amdhsa_shared_vgpr_count 0
		.amdhsa_exception_fp_ieee_invalid_op 0
		.amdhsa_exception_fp_denorm_src 0
		.amdhsa_exception_fp_ieee_div_zero 0
		.amdhsa_exception_fp_ieee_overflow 0
		.amdhsa_exception_fp_ieee_underflow 0
		.amdhsa_exception_fp_ieee_inexact 0
		.amdhsa_exception_int_div_zero 0
	.end_amdhsa_kernel
	.section	.text._ZN4vllm25paged_attention_v1_kernelI14__hip_bfloat16hLi96ELi8ELi128ELNS_18Fp8KVCacheDataTypeE1ELb1EEEvPT_PKS3_PKT0_S9_ifPKiSB_iPKfiiiSD_SD_iiiii,"axG",@progbits,_ZN4vllm25paged_attention_v1_kernelI14__hip_bfloat16hLi96ELi8ELi128ELNS_18Fp8KVCacheDataTypeE1ELb1EEEvPT_PKS3_PKT0_S9_ifPKiSB_iPKfiiiSD_SD_iiiii,comdat
.Lfunc_end307:
	.size	_ZN4vllm25paged_attention_v1_kernelI14__hip_bfloat16hLi96ELi8ELi128ELNS_18Fp8KVCacheDataTypeE1ELb1EEEvPT_PKS3_PKT0_S9_ifPKiSB_iPKfiiiSD_SD_iiiii, .Lfunc_end307-_ZN4vllm25paged_attention_v1_kernelI14__hip_bfloat16hLi96ELi8ELi128ELNS_18Fp8KVCacheDataTypeE1ELb1EEEvPT_PKS3_PKT0_S9_ifPKiSB_iPKfiiiSD_SD_iiiii
                                        ; -- End function
	.set _ZN4vllm25paged_attention_v1_kernelI14__hip_bfloat16hLi96ELi8ELi128ELNS_18Fp8KVCacheDataTypeE1ELb1EEEvPT_PKS3_PKT0_S9_ifPKiSB_iPKfiiiSD_SD_iiiii.num_vgpr, 69
	.set _ZN4vllm25paged_attention_v1_kernelI14__hip_bfloat16hLi96ELi8ELi128ELNS_18Fp8KVCacheDataTypeE1ELb1EEEvPT_PKS3_PKT0_S9_ifPKiSB_iPKfiiiSD_SD_iiiii.num_agpr, 0
	.set _ZN4vllm25paged_attention_v1_kernelI14__hip_bfloat16hLi96ELi8ELi128ELNS_18Fp8KVCacheDataTypeE1ELb1EEEvPT_PKS3_PKT0_S9_ifPKiSB_iPKfiiiSD_SD_iiiii.numbered_sgpr, 45
	.set _ZN4vllm25paged_attention_v1_kernelI14__hip_bfloat16hLi96ELi8ELi128ELNS_18Fp8KVCacheDataTypeE1ELb1EEEvPT_PKS3_PKT0_S9_ifPKiSB_iPKfiiiSD_SD_iiiii.num_named_barrier, 0
	.set _ZN4vllm25paged_attention_v1_kernelI14__hip_bfloat16hLi96ELi8ELi128ELNS_18Fp8KVCacheDataTypeE1ELb1EEEvPT_PKS3_PKT0_S9_ifPKiSB_iPKfiiiSD_SD_iiiii.private_seg_size, 0
	.set _ZN4vllm25paged_attention_v1_kernelI14__hip_bfloat16hLi96ELi8ELi128ELNS_18Fp8KVCacheDataTypeE1ELb1EEEvPT_PKS3_PKT0_S9_ifPKiSB_iPKfiiiSD_SD_iiiii.uses_vcc, 1
	.set _ZN4vllm25paged_attention_v1_kernelI14__hip_bfloat16hLi96ELi8ELi128ELNS_18Fp8KVCacheDataTypeE1ELb1EEEvPT_PKS3_PKT0_S9_ifPKiSB_iPKfiiiSD_SD_iiiii.uses_flat_scratch, 0
	.set _ZN4vllm25paged_attention_v1_kernelI14__hip_bfloat16hLi96ELi8ELi128ELNS_18Fp8KVCacheDataTypeE1ELb1EEEvPT_PKS3_PKT0_S9_ifPKiSB_iPKfiiiSD_SD_iiiii.has_dyn_sized_stack, 0
	.set _ZN4vllm25paged_attention_v1_kernelI14__hip_bfloat16hLi96ELi8ELi128ELNS_18Fp8KVCacheDataTypeE1ELb1EEEvPT_PKS3_PKT0_S9_ifPKiSB_iPKfiiiSD_SD_iiiii.has_recursion, 0
	.set _ZN4vllm25paged_attention_v1_kernelI14__hip_bfloat16hLi96ELi8ELi128ELNS_18Fp8KVCacheDataTypeE1ELb1EEEvPT_PKS3_PKT0_S9_ifPKiSB_iPKfiiiSD_SD_iiiii.has_indirect_call, 0
	.section	.AMDGPU.csdata,"",@progbits
; Kernel info:
; codeLenInByte = 17060
; TotalNumSgprs: 47
; NumVgprs: 69
; ScratchSize: 0
; MemoryBound: 0
; FloatMode: 240
; IeeeMode: 1
; LDSByteSize: 224 bytes/workgroup (compile time only)
; SGPRBlocks: 0
; VGPRBlocks: 8
; NumSGPRsForWavesPerEU: 47
; NumVGPRsForWavesPerEU: 69
; Occupancy: 12
; WaveLimiterHint : 1
; COMPUTE_PGM_RSRC2:SCRATCH_EN: 0
; COMPUTE_PGM_RSRC2:USER_SGPR: 6
; COMPUTE_PGM_RSRC2:TRAP_HANDLER: 0
; COMPUTE_PGM_RSRC2:TGID_X_EN: 1
; COMPUTE_PGM_RSRC2:TGID_Y_EN: 1
; COMPUTE_PGM_RSRC2:TGID_Z_EN: 1
; COMPUTE_PGM_RSRC2:TIDIG_COMP_CNT: 0
	.section	.text._ZN4vllm25paged_attention_v1_kernelI14__hip_bfloat16hLi112ELi8ELi128ELNS_18Fp8KVCacheDataTypeE1ELb1EEEvPT_PKS3_PKT0_S9_ifPKiSB_iPKfiiiSD_SD_iiiii,"axG",@progbits,_ZN4vllm25paged_attention_v1_kernelI14__hip_bfloat16hLi112ELi8ELi128ELNS_18Fp8KVCacheDataTypeE1ELb1EEEvPT_PKS3_PKT0_S9_ifPKiSB_iPKfiiiSD_SD_iiiii,comdat
	.protected	_ZN4vllm25paged_attention_v1_kernelI14__hip_bfloat16hLi112ELi8ELi128ELNS_18Fp8KVCacheDataTypeE1ELb1EEEvPT_PKS3_PKT0_S9_ifPKiSB_iPKfiiiSD_SD_iiiii ; -- Begin function _ZN4vllm25paged_attention_v1_kernelI14__hip_bfloat16hLi112ELi8ELi128ELNS_18Fp8KVCacheDataTypeE1ELb1EEEvPT_PKS3_PKT0_S9_ifPKiSB_iPKfiiiSD_SD_iiiii
	.globl	_ZN4vllm25paged_attention_v1_kernelI14__hip_bfloat16hLi112ELi8ELi128ELNS_18Fp8KVCacheDataTypeE1ELb1EEEvPT_PKS3_PKT0_S9_ifPKiSB_iPKfiiiSD_SD_iiiii
	.p2align	8
	.type	_ZN4vllm25paged_attention_v1_kernelI14__hip_bfloat16hLi112ELi8ELi128ELNS_18Fp8KVCacheDataTypeE1ELb1EEEvPT_PKS3_PKT0_S9_ifPKiSB_iPKfiiiSD_SD_iiiii,@function
_ZN4vllm25paged_attention_v1_kernelI14__hip_bfloat16hLi112ELi8ELi128ELNS_18Fp8KVCacheDataTypeE1ELb1EEEvPT_PKS3_PKT0_S9_ifPKiSB_iPKfiiiSD_SD_iiiii: ; @_ZN4vllm25paged_attention_v1_kernelI14__hip_bfloat16hLi112ELi8ELi128ELNS_18Fp8KVCacheDataTypeE1ELb1EEEvPT_PKS3_PKT0_S9_ifPKiSB_iPKfiiiSD_SD_iiiii
; %bb.0:
	s_clause 0x2
	s_load_dword s27, s[4:5], 0x80
	s_load_dwordx2 s[0:1], s[4:5], 0x30
	s_load_dwordx2 s[22:23], s[4:5], 0x20
	s_mov_b32 s34, s7
	s_ashr_i32 s35, s7, 31
	s_mov_b32 s24, 0
	s_lshl_b64 s[2:3], s[34:35], 2
	s_waitcnt lgkmcnt(0)
	s_add_u32 s0, s0, s2
	s_addc_u32 s1, s1, s3
	s_abs_i32 s2, s22
	s_abs_i32 s9, s27
	v_cvt_f32_u32_e32 v1, s2
	s_sub_i32 s7, 0, s2
	v_rcp_iflag_f32_e32 v1, v1
	v_mul_f32_e32 v1, 0x4f7ffffe, v1
	v_cvt_u32_f32_e32 v1, v1
	v_readfirstlane_b32 s3, v1
	s_mul_i32 s7, s7, s3
	s_mul_hi_u32 s7, s3, s7
	s_add_i32 s3, s3, s7
	s_xor_b32 s7, s27, s22
	s_mul_hi_u32 s3, s9, s3
	s_ashr_i32 s7, s7, 31
	s_mul_i32 s10, s3, s2
	s_sub_i32 s9, s9, s10
	s_add_i32 s10, s3, 1
	s_sub_i32 s11, s9, s2
	s_cmp_ge_u32 s9, s2
	s_cselect_b32 s3, s10, s3
	s_cselect_b32 s9, s11, s9
	s_add_i32 s10, s3, 1
	s_cmp_ge_u32 s9, s2
	s_cselect_b32 s2, s10, s3
	s_xor_b32 s2, s2, s7
	s_sub_i32 s16, s2, s7
	s_load_dwordx2 s[2:3], s[4:5], 0x40
	s_abs_i32 s9, s16
	v_cvt_f32_u32_e32 v1, s9
	s_sub_i32 s10, 0, s9
	v_rcp_iflag_f32_e32 v1, v1
	v_mul_f32_e32 v1, 0x4f7ffffe, v1
	v_cvt_u32_f32_e32 v1, v1
	v_readfirstlane_b32 s7, v1
	s_mul_i32 s10, s10, s7
	s_mul_hi_u32 s11, s7, s10
	s_abs_i32 s10, s6
	s_add_i32 s7, s7, s11
	s_waitcnt lgkmcnt(0)
	s_cmp_eq_u64 s[2:3], 0
	s_mul_hi_u32 s11, s10, s7
	s_cbranch_scc1 .LBB308_2
; %bb.1:
	s_ashr_i32 s7, s6, 31
	s_lshl_b64 s[12:13], s[6:7], 2
	s_add_u32 s2, s2, s12
	s_addc_u32 s3, s3, s13
	s_load_dword s24, s[2:3], 0x0
.LBB308_2:
	s_load_dword s35, s[0:1], 0x0
	s_load_dwordx4 s[12:15], s[4:5], 0x48
	v_and_b32_e32 v1, 3, v0
	s_ashr_i32 s0, s6, 31
	s_ashr_i32 s1, s16, 31
	s_mul_i32 s36, s6, 0x70
	s_mov_b32 s2, exec_lo
	v_cmpx_gt_u32_e32 56, v0
	s_cbranch_execz .LBB308_4
; %bb.3:
	s_load_dwordx2 s[16:17], s[4:5], 0x8
	s_waitcnt lgkmcnt(0)
	s_mul_i32 s18, s12, s34
	v_lshlrev_b32_e32 v2, 2, v0
	s_ashr_i32 s19, s18, 31
	v_and_b32_e32 v3, 0x3fc, v0
	s_lshl_b64 s[18:19], s[18:19], 1
	v_mad_u32_u24 v3, v1, 56, v3
	s_add_u32 s3, s16, s18
	s_addc_u32 s7, s17, s19
	s_ashr_i32 s37, s36, 31
	s_lshl_b64 s[16:17], s[36:37], 1
	s_add_u32 s16, s3, s16
	s_addc_u32 s17, s7, s17
	global_load_dword v2, v2, s[16:17]
	s_waitcnt vmcnt(0)
	ds_write_b32 v3, v2
.LBB308_4:
	s_or_b32 exec_lo, exec_lo, s2
	s_load_dwordx4 s[16:19], s[4:5], 0x68
	s_mul_i32 s2, s11, s9
	s_xor_b32 s1, s0, s1
	s_sub_i32 s0, s10, s2
	s_add_i32 s2, s11, 1
	s_sub_i32 s3, s0, s9
	s_cmp_ge_u32 s0, s9
	s_mov_b32 s7, -1
	s_cselect_b32 s2, s2, s11
	s_cselect_b32 s0, s3, s0
	s_add_i32 s3, s2, 1
	s_cmp_ge_u32 s0, s9
	s_load_dword s0, s[4:5], 0x78
	s_cselect_b32 s2, s3, s2
	s_waitcnt lgkmcnt(0)
	s_add_i32 s3, s35, -1
	s_xor_b32 s2, s2, s1
	s_sub_i32 s9, s2, s1
	s_abs_i32 s2, s3
	s_barrier
	s_abs_i32 s37, s19
	buffer_gl0_inv
	v_cvt_f32_u32_e32 v2, s37
	s_sub_i32 s1, 0, s37
                                        ; implicit-def: $sgpr43
	v_rcp_iflag_f32_e32 v2, v2
	v_mul_f32_e32 v2, 0x4f7ffffe, v2
	v_cvt_u32_f32_e32 v2, v2
	v_readfirstlane_b32 s42, v2
	s_mul_i32 s1, s1, s42
	s_mul_hi_u32 s1, s42, s1
	s_add_i32 s42, s42, s1
	s_cmp_lt_i32 s0, 0
	s_mul_hi_u32 s1, s2, s42
	s_cbranch_scc0 .LBB308_6
; %bb.5:
	s_mul_i32 s7, s16, s22
	s_add_i32 s7, s9, s7
	s_mul_i32 s7, s7, s0
	s_sub_i32 s43, 1, s7
	s_mov_b32 s7, 0
.LBB308_6:
	s_load_dwordx2 s[10:11], s[4:5], 0x28
	s_ashr_i32 s3, s3, 31
	s_andn2_b32 vcc_lo, exec_lo, s7
	s_ashr_i32 s44, s19, 31
	s_cbranch_vccnz .LBB308_8
; %bb.7:
	s_mul_i32 s7, s27, s16
	s_add_i32 s6, s7, s6
	s_mul_i32 s0, s6, s0
	s_add_i32 s43, s0, 1
.LBB308_8:
	s_clause 0x2
	s_load_dword s0, s[4:5], 0x38
	s_load_dwordx2 s[38:39], s[4:5], 0x0
	s_load_dwordx2 s[20:21], s[4:5], 0x18
	s_mul_i32 s6, s1, s37
	s_xor_b32 s3, s3, s44
	s_sub_i32 s2, s2, s6
	s_add_i32 s12, s1, 1
	s_clause 0x1
	s_load_dword s33, s[4:5], 0x88
	s_load_dwordx4 s[28:31], s[4:5], 0x58
	v_lshrrev_b32_e32 v23, 5, v0
	v_mov_b32_e32 v27, 0xff7fffff
	v_lshrrev_b32_e32 v30, 3, v0
	v_mbcnt_lo_u32_b32 v25, -1, 0
	s_mul_i32 s9, s9, s14
	v_lshlrev_b32_e32 v24, 3, v23
	s_waitcnt lgkmcnt(0)
	s_mul_i32 s6, s0, s34
	s_sub_i32 s0, s2, s37
	s_ashr_i32 s7, s6, 31
	s_cmp_ge_u32 s2, s37
	s_cselect_b32 s1, s12, s1
	s_cselect_b32 s0, s0, s2
	s_add_i32 s2, s1, 1
	s_cmp_ge_u32 s0, s37
	s_cselect_b32 s0, s2, s1
	s_add_i32 s1, s35, 7
	s_ashr_i32 s2, s1, 31
	s_lshr_b32 s2, s2, 29
	s_add_i32 s1, s1, s2
	s_ashr_i32 s45, s1, 3
	s_xor_b32 s1, s0, s3
	v_cmp_gt_i32_e64 s0, s45, v23
	s_sub_i32 s12, s1, s3
	s_and_saveexec_b32 s14, s0
	s_cbranch_execz .LBB308_244
; %bb.9:
	s_load_dwordx2 s[2:3], s[4:5], 0x10
	s_sub_i32 s4, s12, s17
	s_ashr_i32 s1, s9, 31
	v_bfe_u32 v26, v0, 2, 3
	v_cmp_eq_u32_e32 vcc_lo, 0, v1
	v_lshlrev_b32_e32 v3, 1, v1
	v_mul_u32_u24_e32 v28, 56, v1
	v_and_b32_e32 v1, 0x7c, v30
	v_lshlrev_b32_e32 v4, 2, v26
	v_subrev_nc_u32_e32 v5, s35, v26
	v_lshlrev_b32_e32 v6, 4, v26
	v_mov_b32_e32 v14, 0
	v_lshlrev_b32_e32 v29, 3, v23
	v_lshl_or_b32 v4, v23, 5, v4
	v_add_nc_u32_e32 v34, 1, v5
	v_mov_b32_e32 v31, 0xff7fffff
	v_mov_b32_e32 v32, 0x80
	v_mov_b32_e32 v33, 0xffff
	v_add_nc_u32_e32 v35, 0x100, v4
	v_mov_b32_e32 v27, 0xff7fffff
	s_waitcnt lgkmcnt(0)
	s_add_u32 s15, s2, s9
	s_addc_u32 s16, s3, s1
	s_abs_i32 s5, s18
	v_add_co_u32 v5, s15, s15, v6
	v_cvt_f32_u32_e32 v2, s5
	s_sub_i32 s2, 0, s5
	v_add_co_ci_u32_e64 v6, null, s16, 0, s15
	v_cmp_neq_f32_e64 s1, s24, 0
	v_rcp_iflag_f32_e32 v2, v2
	v_mov_b32_e32 v37, v23
	s_mov_b32 s15, 0
	s_mov_b32 s16, s13
	v_mul_f32_e32 v2, 0x4f7ffffe, v2
	v_cvt_u32_f32_e32 v2, v2
	v_mul_lo_u32 v4, s2, v2
	s_lshl_b64 s[2:3], s[6:7], 2
	s_add_u32 s2, s10, s2
	s_addc_u32 s3, s11, s3
	v_add_co_u32 v15, s2, s2, v1
	v_add_co_ci_u32_e64 v16, null, s3, 0, s2
	v_mul_hi_u32 v4, v2, v4
	v_add_co_u32 v17, s2, v5, v3
	v_add_co_ci_u32_e64 v18, null, 0, v6, s2
	v_add_nc_u32_e32 v36, v2, v4
	s_branch .LBB308_12
.LBB308_10:                             ;   in Loop: Header=BB308_12 Depth=1
	s_or_b32 exec_lo, exec_lo, s19
.LBB308_11:                             ;   in Loop: Header=BB308_12 Depth=1
	s_or_b32 exec_lo, exec_lo, s3
	v_add_nc_u32_e32 v37, 4, v37
	v_add_co_u32 v15, s3, v15, 16
	v_add_co_ci_u32_e64 v16, null, 0, v16, s3
	v_cmp_le_i32_e64 s2, s45, v37
	v_add_nc_u32_e32 v29, 32, v29
	v_add_nc_u32_e32 v35, 0x80, v35
	s_or_b32 s15, s2, s15
	s_andn2_b32 exec_lo, exec_lo, s15
	s_cbranch_execz .LBB308_243
.LBB308_12:                             ; =>This Inner Loop Header: Depth=1
	v_mul_hi_u32 v1, v29, s42
	s_waitcnt lgkmcnt(0)
	v_mul_lo_u32 v2, v1, s37
	v_add_nc_u32_e32 v3, 1, v1
	v_sub_nc_u32_e32 v2, v29, v2
	v_subrev_nc_u32_e32 v4, s37, v2
	v_cmp_le_u32_e64 s2, s37, v2
	v_cndmask_b32_e64 v1, v1, v3, s2
	v_cndmask_b32_e64 v2, v2, v4, s2
	v_add_nc_u32_e32 v3, 1, v1
	v_cmp_le_u32_e64 s2, s37, v2
	v_cndmask_b32_e64 v1, v1, v3, s2
	v_xor_b32_e32 v1, s44, v1
	v_subrev_nc_u32_e32 v1, s44, v1
	v_add_nc_u32_e32 v2, s43, v1
	v_cmp_ge_i32_e64 s3, s4, v1
	v_sub_nc_u32_e32 v3, 0, v2
	v_max_i32_e32 v3, v2, v3
	v_ashrrev_i32_e32 v2, 31, v2
	v_mul_hi_u32 v4, v3, v36
	v_mul_lo_u32 v4, v4, s5
	v_sub_nc_u32_e32 v3, v3, v4
	v_subrev_nc_u32_e32 v4, s5, v3
	v_cmp_le_u32_e64 s2, s5, v3
	v_cndmask_b32_e64 v3, v3, v4, s2
	v_subrev_nc_u32_e32 v4, s5, v3
	v_cmp_le_u32_e64 s2, s5, v3
	v_cndmask_b32_e64 v3, v3, v4, s2
	v_xor_b32_e32 v3, v3, v2
	v_sub_nc_u32_e32 v2, v3, v2
	v_cmp_ne_u32_e64 s2, 0, v2
	s_and_b32 s2, s2, s3
	s_and_saveexec_b32 s3, s2
	s_xor_b32 s2, exec_lo, s3
	s_cbranch_execz .LBB308_16
; %bb.13:                               ;   in Loop: Header=BB308_12 Depth=1
	s_and_saveexec_b32 s3, vcc_lo
; %bb.14:                               ;   in Loop: Header=BB308_12 Depth=1
	ds_write_b32 v35, v31
; %bb.15:                               ;   in Loop: Header=BB308_12 Depth=1
	s_or_b32 exec_lo, exec_lo, s3
.LBB308_16:                             ;   in Loop: Header=BB308_12 Depth=1
	s_andn2_saveexec_b32 s3, s2
	s_cbranch_execz .LBB308_11
; %bb.17:                               ;   in Loop: Header=BB308_12 Depth=1
	global_load_dword v1, v[15:16], off
	v_mov_b32_e32 v39, 0
	v_mov_b32_e32 v38, 0
	s_waitcnt vmcnt(0)
	v_mad_i64_i32 v[21:22], null, v1, s16, v[17:18]
	global_load_ushort v13, v[21:22], off
	ds_read2_b64 v[9:12], v28 offset1:1
	ds_read2_b64 v[5:8], v28 offset0:2 offset1:3
	ds_read2_b64 v[1:4], v28 offset0:4 offset1:5
	ds_read_b64 v[19:20], v28 offset:48
	s_load_dword s19, s[28:29], 0x0
	s_waitcnt vmcnt(0)
	v_and_b32_e32 v40, 0xffff, v13
	v_cmp_ne_u16_sdwa s2, v13, v14 src0_sel:BYTE_0 src1_sel:DWORD
	s_and_saveexec_b32 s22, s2
	s_cbranch_execz .LBB308_25
; %bb.18:                               ;   in Loop: Header=BB308_12 Depth=1
	v_cmp_ne_u16_sdwa s2, v40, v32 src0_sel:BYTE_0 src1_sel:DWORD
	v_bfrev_b32_e32 v38, 1
	s_and_saveexec_b32 s25, s2
	s_cbranch_execz .LBB308_24
; %bb.19:                               ;   in Loop: Header=BB308_12 Depth=1
	v_and_b32_e32 v41, 0x7f, v40
	v_mov_b32_e32 v38, 0x7f800001
	s_mov_b32 s26, exec_lo
	v_cmpx_ne_u32_e32 0x7f, v41
	s_cbranch_execz .LBB308_23
; %bb.20:                               ;   in Loop: Header=BB308_12 Depth=1
	v_and_b32_e32 v13, 7, v40
	v_lshrrev_b32_e32 v38, 3, v41
	s_mov_b32 s40, exec_lo
	v_cmpx_gt_u32_e32 8, v41
; %bb.21:                               ;   in Loop: Header=BB308_12 Depth=1
	v_ffbh_u32_e32 v38, v13
	v_min_u32_e32 v38, 32, v38
	v_subrev_nc_u32_e32 v41, 28, v38
	v_sub_nc_u32_e32 v38, 29, v38
	v_lshlrev_b64 v[41:42], v41, v[13:14]
	v_and_b32_e32 v13, 7, v41
; %bb.22:                               ;   in Loop: Header=BB308_12 Depth=1
	s_or_b32 exec_lo, exec_lo, s40
	v_lshlrev_b32_e32 v41, 24, v40
	v_lshlrev_b32_e32 v13, 20, v13
	v_lshl_add_u32 v38, v38, 23, 0x3c000000
	v_and_b32_e32 v41, 0x80000000, v41
	v_or3_b32 v38, v13, v41, v38
.LBB308_23:                             ;   in Loop: Header=BB308_12 Depth=1
	s_or_b32 exec_lo, exec_lo, s26
.LBB308_24:                             ;   in Loop: Header=BB308_12 Depth=1
	s_or_b32 exec_lo, exec_lo, s25
.LBB308_25:                             ;   in Loop: Header=BB308_12 Depth=1
	s_or_b32 exec_lo, exec_lo, s22
	v_cmp_ne_u16_sdwa s2, v40, v14 src0_sel:BYTE_1 src1_sel:DWORD
	s_and_saveexec_b32 s22, s2
	s_cbranch_execz .LBB308_33
; %bb.26:                               ;   in Loop: Header=BB308_12 Depth=1
	v_cmp_ne_u16_sdwa s2, v40, v32 src0_sel:BYTE_1 src1_sel:DWORD
	v_bfrev_b32_e32 v39, 1
	s_and_saveexec_b32 s25, s2
	s_cbranch_execz .LBB308_32
; %bb.27:                               ;   in Loop: Header=BB308_12 Depth=1
	v_and_b32_sdwa v13, v33, v40 dst_sel:DWORD dst_unused:UNUSED_PAD src0_sel:DWORD src1_sel:BYTE_1
	v_mov_b32_e32 v39, 0x7f800001
	s_mov_b32 s26, exec_lo
	v_and_b32_e32 v41, 0x7f, v13
	v_cmpx_ne_u32_e32 0x7f, v41
	s_cbranch_execz .LBB308_31
; %bb.28:                               ;   in Loop: Header=BB308_12 Depth=1
	v_and_b32_e32 v13, 7, v13
	v_lshrrev_b32_e32 v39, 3, v41
	s_mov_b32 s40, exec_lo
	v_cmpx_gt_u32_e32 8, v41
; %bb.29:                               ;   in Loop: Header=BB308_12 Depth=1
	v_ffbh_u32_e32 v39, v13
	v_min_u32_e32 v39, 32, v39
	v_subrev_nc_u32_e32 v41, 28, v39
	v_sub_nc_u32_e32 v39, 29, v39
	v_lshlrev_b64 v[41:42], v41, v[13:14]
	v_and_b32_e32 v13, 7, v41
; %bb.30:                               ;   in Loop: Header=BB308_12 Depth=1
	s_or_b32 exec_lo, exec_lo, s40
	v_lshlrev_b32_e32 v40, 16, v40
	v_lshlrev_b32_e32 v13, 20, v13
	v_lshl_add_u32 v39, v39, 23, 0x3c000000
	v_and_b32_e32 v40, 0x80000000, v40
	v_or3_b32 v39, v13, v40, v39
.LBB308_31:                             ;   in Loop: Header=BB308_12 Depth=1
	s_or_b32 exec_lo, exec_lo, s26
.LBB308_32:                             ;   in Loop: Header=BB308_12 Depth=1
	s_or_b32 exec_lo, exec_lo, s25
.LBB308_33:                             ;   in Loop: Header=BB308_12 Depth=1
	s_or_b32 exec_lo, exec_lo, s22
	global_load_ushort v13, v[21:22], off offset:8
	v_mov_b32_e32 v41, 0
	v_mov_b32_e32 v40, 0
	s_waitcnt vmcnt(0)
	v_and_b32_e32 v42, 0xffff, v13
	v_cmp_ne_u16_sdwa s2, v13, v14 src0_sel:BYTE_0 src1_sel:DWORD
	s_and_saveexec_b32 s22, s2
	s_cbranch_execz .LBB308_41
; %bb.34:                               ;   in Loop: Header=BB308_12 Depth=1
	v_cmp_ne_u16_sdwa s2, v42, v32 src0_sel:BYTE_0 src1_sel:DWORD
	v_bfrev_b32_e32 v40, 1
	s_and_saveexec_b32 s25, s2
	s_cbranch_execz .LBB308_40
; %bb.35:                               ;   in Loop: Header=BB308_12 Depth=1
	v_and_b32_e32 v43, 0x7f, v42
	v_mov_b32_e32 v40, 0x7f800001
	s_mov_b32 s26, exec_lo
	v_cmpx_ne_u32_e32 0x7f, v43
	s_cbranch_execz .LBB308_39
; %bb.36:                               ;   in Loop: Header=BB308_12 Depth=1
	v_and_b32_e32 v13, 7, v42
	v_lshrrev_b32_e32 v40, 3, v43
	s_mov_b32 s40, exec_lo
	v_cmpx_gt_u32_e32 8, v43
; %bb.37:                               ;   in Loop: Header=BB308_12 Depth=1
	v_ffbh_u32_e32 v40, v13
	v_min_u32_e32 v40, 32, v40
	v_subrev_nc_u32_e32 v43, 28, v40
	v_sub_nc_u32_e32 v40, 29, v40
	v_lshlrev_b64 v[43:44], v43, v[13:14]
	v_and_b32_e32 v13, 7, v43
; %bb.38:                               ;   in Loop: Header=BB308_12 Depth=1
	s_or_b32 exec_lo, exec_lo, s40
	v_lshlrev_b32_e32 v43, 24, v42
	v_lshlrev_b32_e32 v13, 20, v13
	v_lshl_add_u32 v40, v40, 23, 0x3c000000
	v_and_b32_e32 v43, 0x80000000, v43
	v_or3_b32 v40, v13, v43, v40
.LBB308_39:                             ;   in Loop: Header=BB308_12 Depth=1
	s_or_b32 exec_lo, exec_lo, s26
.LBB308_40:                             ;   in Loop: Header=BB308_12 Depth=1
	s_or_b32 exec_lo, exec_lo, s25
.LBB308_41:                             ;   in Loop: Header=BB308_12 Depth=1
	s_or_b32 exec_lo, exec_lo, s22
	v_cmp_ne_u16_sdwa s2, v42, v14 src0_sel:BYTE_1 src1_sel:DWORD
	s_and_saveexec_b32 s22, s2
	s_cbranch_execz .LBB308_49
; %bb.42:                               ;   in Loop: Header=BB308_12 Depth=1
	v_cmp_ne_u16_sdwa s2, v42, v32 src0_sel:BYTE_1 src1_sel:DWORD
	v_bfrev_b32_e32 v41, 1
	s_and_saveexec_b32 s25, s2
	s_cbranch_execz .LBB308_48
; %bb.43:                               ;   in Loop: Header=BB308_12 Depth=1
	v_and_b32_sdwa v13, v33, v42 dst_sel:DWORD dst_unused:UNUSED_PAD src0_sel:DWORD src1_sel:BYTE_1
	v_mov_b32_e32 v41, 0x7f800001
	s_mov_b32 s26, exec_lo
	v_and_b32_e32 v43, 0x7f, v13
	v_cmpx_ne_u32_e32 0x7f, v43
	s_cbranch_execz .LBB308_47
; %bb.44:                               ;   in Loop: Header=BB308_12 Depth=1
	v_and_b32_e32 v13, 7, v13
	v_lshrrev_b32_e32 v41, 3, v43
	s_mov_b32 s40, exec_lo
	v_cmpx_gt_u32_e32 8, v43
; %bb.45:                               ;   in Loop: Header=BB308_12 Depth=1
	v_ffbh_u32_e32 v41, v13
	v_min_u32_e32 v41, 32, v41
	v_subrev_nc_u32_e32 v43, 28, v41
	v_sub_nc_u32_e32 v41, 29, v41
	v_lshlrev_b64 v[43:44], v43, v[13:14]
	v_and_b32_e32 v13, 7, v43
; %bb.46:                               ;   in Loop: Header=BB308_12 Depth=1
	s_or_b32 exec_lo, exec_lo, s40
	v_lshlrev_b32_e32 v42, 16, v42
	v_lshlrev_b32_e32 v13, 20, v13
	v_lshl_add_u32 v41, v41, 23, 0x3c000000
	v_and_b32_e32 v42, 0x80000000, v42
	v_or3_b32 v41, v13, v42, v41
.LBB308_47:                             ;   in Loop: Header=BB308_12 Depth=1
	s_or_b32 exec_lo, exec_lo, s26
.LBB308_48:                             ;   in Loop: Header=BB308_12 Depth=1
	s_or_b32 exec_lo, exec_lo, s25
.LBB308_49:                             ;   in Loop: Header=BB308_12 Depth=1
	s_or_b32 exec_lo, exec_lo, s22
	global_load_ushort v13, v[21:22], off offset:128
	v_mov_b32_e32 v43, 0
	v_mov_b32_e32 v42, 0
	s_waitcnt vmcnt(0)
	v_and_b32_e32 v44, 0xffff, v13
	v_cmp_ne_u16_sdwa s2, v13, v14 src0_sel:BYTE_0 src1_sel:DWORD
	s_and_saveexec_b32 s22, s2
	s_cbranch_execz .LBB308_57
; %bb.50:                               ;   in Loop: Header=BB308_12 Depth=1
	v_cmp_ne_u16_sdwa s2, v44, v32 src0_sel:BYTE_0 src1_sel:DWORD
	v_bfrev_b32_e32 v42, 1
	s_and_saveexec_b32 s25, s2
	s_cbranch_execz .LBB308_56
; %bb.51:                               ;   in Loop: Header=BB308_12 Depth=1
	v_and_b32_e32 v45, 0x7f, v44
	v_mov_b32_e32 v42, 0x7f800001
	s_mov_b32 s26, exec_lo
	v_cmpx_ne_u32_e32 0x7f, v45
	s_cbranch_execz .LBB308_55
; %bb.52:                               ;   in Loop: Header=BB308_12 Depth=1
	v_and_b32_e32 v13, 7, v44
	v_lshrrev_b32_e32 v42, 3, v45
	s_mov_b32 s40, exec_lo
	v_cmpx_gt_u32_e32 8, v45
; %bb.53:                               ;   in Loop: Header=BB308_12 Depth=1
	v_ffbh_u32_e32 v42, v13
	v_min_u32_e32 v42, 32, v42
	v_subrev_nc_u32_e32 v45, 28, v42
	v_sub_nc_u32_e32 v42, 29, v42
	v_lshlrev_b64 v[45:46], v45, v[13:14]
	v_and_b32_e32 v13, 7, v45
; %bb.54:                               ;   in Loop: Header=BB308_12 Depth=1
	s_or_b32 exec_lo, exec_lo, s40
	v_lshlrev_b32_e32 v45, 24, v44
	v_lshlrev_b32_e32 v13, 20, v13
	v_lshl_add_u32 v42, v42, 23, 0x3c000000
	v_and_b32_e32 v45, 0x80000000, v45
	v_or3_b32 v42, v13, v45, v42
.LBB308_55:                             ;   in Loop: Header=BB308_12 Depth=1
	s_or_b32 exec_lo, exec_lo, s26
.LBB308_56:                             ;   in Loop: Header=BB308_12 Depth=1
	s_or_b32 exec_lo, exec_lo, s25
.LBB308_57:                             ;   in Loop: Header=BB308_12 Depth=1
	s_or_b32 exec_lo, exec_lo, s22
	v_cmp_ne_u16_sdwa s2, v44, v14 src0_sel:BYTE_1 src1_sel:DWORD
	s_and_saveexec_b32 s22, s2
	s_cbranch_execz .LBB308_65
; %bb.58:                               ;   in Loop: Header=BB308_12 Depth=1
	v_cmp_ne_u16_sdwa s2, v44, v32 src0_sel:BYTE_1 src1_sel:DWORD
	v_bfrev_b32_e32 v43, 1
	s_and_saveexec_b32 s25, s2
	s_cbranch_execz .LBB308_64
; %bb.59:                               ;   in Loop: Header=BB308_12 Depth=1
	v_and_b32_sdwa v13, v33, v44 dst_sel:DWORD dst_unused:UNUSED_PAD src0_sel:DWORD src1_sel:BYTE_1
	v_mov_b32_e32 v43, 0x7f800001
	s_mov_b32 s26, exec_lo
	v_and_b32_e32 v45, 0x7f, v13
	v_cmpx_ne_u32_e32 0x7f, v45
	s_cbranch_execz .LBB308_63
; %bb.60:                               ;   in Loop: Header=BB308_12 Depth=1
	v_and_b32_e32 v13, 7, v13
	v_lshrrev_b32_e32 v43, 3, v45
	s_mov_b32 s40, exec_lo
	v_cmpx_gt_u32_e32 8, v45
; %bb.61:                               ;   in Loop: Header=BB308_12 Depth=1
	v_ffbh_u32_e32 v43, v13
	v_min_u32_e32 v43, 32, v43
	v_subrev_nc_u32_e32 v45, 28, v43
	v_sub_nc_u32_e32 v43, 29, v43
	v_lshlrev_b64 v[45:46], v45, v[13:14]
	v_and_b32_e32 v13, 7, v45
; %bb.62:                               ;   in Loop: Header=BB308_12 Depth=1
	s_or_b32 exec_lo, exec_lo, s40
	v_lshlrev_b32_e32 v44, 16, v44
	v_lshlrev_b32_e32 v13, 20, v13
	v_lshl_add_u32 v43, v43, 23, 0x3c000000
	v_and_b32_e32 v44, 0x80000000, v44
	v_or3_b32 v43, v13, v44, v43
.LBB308_63:                             ;   in Loop: Header=BB308_12 Depth=1
	s_or_b32 exec_lo, exec_lo, s26
.LBB308_64:                             ;   in Loop: Header=BB308_12 Depth=1
	s_or_b32 exec_lo, exec_lo, s25
.LBB308_65:                             ;   in Loop: Header=BB308_12 Depth=1
	s_or_b32 exec_lo, exec_lo, s22
	global_load_ushort v13, v[21:22], off offset:136
	v_mov_b32_e32 v45, 0
	v_mov_b32_e32 v44, 0
	s_waitcnt vmcnt(0)
	v_and_b32_e32 v46, 0xffff, v13
	v_cmp_ne_u16_sdwa s2, v13, v14 src0_sel:BYTE_0 src1_sel:DWORD
	s_and_saveexec_b32 s22, s2
	s_cbranch_execz .LBB308_73
; %bb.66:                               ;   in Loop: Header=BB308_12 Depth=1
	v_cmp_ne_u16_sdwa s2, v46, v32 src0_sel:BYTE_0 src1_sel:DWORD
	v_bfrev_b32_e32 v44, 1
	s_and_saveexec_b32 s25, s2
	s_cbranch_execz .LBB308_72
; %bb.67:                               ;   in Loop: Header=BB308_12 Depth=1
	v_and_b32_e32 v47, 0x7f, v46
	v_mov_b32_e32 v44, 0x7f800001
	s_mov_b32 s26, exec_lo
	v_cmpx_ne_u32_e32 0x7f, v47
	s_cbranch_execz .LBB308_71
; %bb.68:                               ;   in Loop: Header=BB308_12 Depth=1
	v_and_b32_e32 v13, 7, v46
	v_lshrrev_b32_e32 v44, 3, v47
	s_mov_b32 s40, exec_lo
	v_cmpx_gt_u32_e32 8, v47
; %bb.69:                               ;   in Loop: Header=BB308_12 Depth=1
	v_ffbh_u32_e32 v44, v13
	v_min_u32_e32 v44, 32, v44
	v_subrev_nc_u32_e32 v47, 28, v44
	v_sub_nc_u32_e32 v44, 29, v44
	v_lshlrev_b64 v[47:48], v47, v[13:14]
	v_and_b32_e32 v13, 7, v47
; %bb.70:                               ;   in Loop: Header=BB308_12 Depth=1
	s_or_b32 exec_lo, exec_lo, s40
	v_lshlrev_b32_e32 v47, 24, v46
	v_lshlrev_b32_e32 v13, 20, v13
	v_lshl_add_u32 v44, v44, 23, 0x3c000000
	v_and_b32_e32 v47, 0x80000000, v47
	v_or3_b32 v44, v13, v47, v44
.LBB308_71:                             ;   in Loop: Header=BB308_12 Depth=1
	s_or_b32 exec_lo, exec_lo, s26
.LBB308_72:                             ;   in Loop: Header=BB308_12 Depth=1
	s_or_b32 exec_lo, exec_lo, s25
.LBB308_73:                             ;   in Loop: Header=BB308_12 Depth=1
	s_or_b32 exec_lo, exec_lo, s22
	v_cmp_ne_u16_sdwa s2, v46, v14 src0_sel:BYTE_1 src1_sel:DWORD
	s_and_saveexec_b32 s22, s2
	s_cbranch_execz .LBB308_81
; %bb.74:                               ;   in Loop: Header=BB308_12 Depth=1
	v_cmp_ne_u16_sdwa s2, v46, v32 src0_sel:BYTE_1 src1_sel:DWORD
	v_bfrev_b32_e32 v45, 1
	s_and_saveexec_b32 s25, s2
	s_cbranch_execz .LBB308_80
; %bb.75:                               ;   in Loop: Header=BB308_12 Depth=1
	v_and_b32_sdwa v13, v33, v46 dst_sel:DWORD dst_unused:UNUSED_PAD src0_sel:DWORD src1_sel:BYTE_1
	v_mov_b32_e32 v45, 0x7f800001
	s_mov_b32 s26, exec_lo
	v_and_b32_e32 v47, 0x7f, v13
	v_cmpx_ne_u32_e32 0x7f, v47
	s_cbranch_execz .LBB308_79
; %bb.76:                               ;   in Loop: Header=BB308_12 Depth=1
	v_and_b32_e32 v13, 7, v13
	v_lshrrev_b32_e32 v45, 3, v47
	s_mov_b32 s40, exec_lo
	v_cmpx_gt_u32_e32 8, v47
; %bb.77:                               ;   in Loop: Header=BB308_12 Depth=1
	v_ffbh_u32_e32 v45, v13
	v_min_u32_e32 v45, 32, v45
	v_subrev_nc_u32_e32 v47, 28, v45
	v_sub_nc_u32_e32 v45, 29, v45
	v_lshlrev_b64 v[47:48], v47, v[13:14]
	v_and_b32_e32 v13, 7, v47
; %bb.78:                               ;   in Loop: Header=BB308_12 Depth=1
	s_or_b32 exec_lo, exec_lo, s40
	v_lshlrev_b32_e32 v46, 16, v46
	v_lshlrev_b32_e32 v13, 20, v13
	v_lshl_add_u32 v45, v45, 23, 0x3c000000
	v_and_b32_e32 v46, 0x80000000, v46
	v_or3_b32 v45, v13, v46, v45
.LBB308_79:                             ;   in Loop: Header=BB308_12 Depth=1
	s_or_b32 exec_lo, exec_lo, s26
.LBB308_80:                             ;   in Loop: Header=BB308_12 Depth=1
	s_or_b32 exec_lo, exec_lo, s25
.LBB308_81:                             ;   in Loop: Header=BB308_12 Depth=1
	s_or_b32 exec_lo, exec_lo, s22
	global_load_ushort v13, v[21:22], off offset:256
	v_mov_b32_e32 v47, 0
	v_mov_b32_e32 v46, 0
	s_waitcnt vmcnt(0)
	v_and_b32_e32 v48, 0xffff, v13
	v_cmp_ne_u16_sdwa s2, v13, v14 src0_sel:BYTE_0 src1_sel:DWORD
	s_and_saveexec_b32 s22, s2
	s_cbranch_execz .LBB308_89
; %bb.82:                               ;   in Loop: Header=BB308_12 Depth=1
	v_cmp_ne_u16_sdwa s2, v48, v32 src0_sel:BYTE_0 src1_sel:DWORD
	v_bfrev_b32_e32 v46, 1
	s_and_saveexec_b32 s25, s2
	s_cbranch_execz .LBB308_88
; %bb.83:                               ;   in Loop: Header=BB308_12 Depth=1
	v_and_b32_e32 v49, 0x7f, v48
	v_mov_b32_e32 v46, 0x7f800001
	s_mov_b32 s26, exec_lo
	v_cmpx_ne_u32_e32 0x7f, v49
	s_cbranch_execz .LBB308_87
; %bb.84:                               ;   in Loop: Header=BB308_12 Depth=1
	v_and_b32_e32 v13, 7, v48
	v_lshrrev_b32_e32 v46, 3, v49
	s_mov_b32 s40, exec_lo
	v_cmpx_gt_u32_e32 8, v49
; %bb.85:                               ;   in Loop: Header=BB308_12 Depth=1
	v_ffbh_u32_e32 v46, v13
	v_min_u32_e32 v46, 32, v46
	v_subrev_nc_u32_e32 v49, 28, v46
	v_sub_nc_u32_e32 v46, 29, v46
	v_lshlrev_b64 v[49:50], v49, v[13:14]
	v_and_b32_e32 v13, 7, v49
; %bb.86:                               ;   in Loop: Header=BB308_12 Depth=1
	s_or_b32 exec_lo, exec_lo, s40
	v_lshlrev_b32_e32 v49, 24, v48
	v_lshlrev_b32_e32 v13, 20, v13
	v_lshl_add_u32 v46, v46, 23, 0x3c000000
	v_and_b32_e32 v49, 0x80000000, v49
	v_or3_b32 v46, v13, v49, v46
.LBB308_87:                             ;   in Loop: Header=BB308_12 Depth=1
	s_or_b32 exec_lo, exec_lo, s26
.LBB308_88:                             ;   in Loop: Header=BB308_12 Depth=1
	s_or_b32 exec_lo, exec_lo, s25
.LBB308_89:                             ;   in Loop: Header=BB308_12 Depth=1
	s_or_b32 exec_lo, exec_lo, s22
	v_cmp_ne_u16_sdwa s2, v48, v14 src0_sel:BYTE_1 src1_sel:DWORD
	s_and_saveexec_b32 s22, s2
	s_cbranch_execz .LBB308_97
; %bb.90:                               ;   in Loop: Header=BB308_12 Depth=1
	v_cmp_ne_u16_sdwa s2, v48, v32 src0_sel:BYTE_1 src1_sel:DWORD
	v_bfrev_b32_e32 v47, 1
	s_and_saveexec_b32 s25, s2
	s_cbranch_execz .LBB308_96
; %bb.91:                               ;   in Loop: Header=BB308_12 Depth=1
	v_and_b32_sdwa v13, v33, v48 dst_sel:DWORD dst_unused:UNUSED_PAD src0_sel:DWORD src1_sel:BYTE_1
	v_mov_b32_e32 v47, 0x7f800001
	s_mov_b32 s26, exec_lo
	v_and_b32_e32 v49, 0x7f, v13
	v_cmpx_ne_u32_e32 0x7f, v49
	s_cbranch_execz .LBB308_95
; %bb.92:                               ;   in Loop: Header=BB308_12 Depth=1
	v_and_b32_e32 v13, 7, v13
	v_lshrrev_b32_e32 v47, 3, v49
	s_mov_b32 s40, exec_lo
	v_cmpx_gt_u32_e32 8, v49
; %bb.93:                               ;   in Loop: Header=BB308_12 Depth=1
	v_ffbh_u32_e32 v47, v13
	v_min_u32_e32 v47, 32, v47
	v_subrev_nc_u32_e32 v49, 28, v47
	v_sub_nc_u32_e32 v47, 29, v47
	v_lshlrev_b64 v[49:50], v49, v[13:14]
	v_and_b32_e32 v13, 7, v49
; %bb.94:                               ;   in Loop: Header=BB308_12 Depth=1
	s_or_b32 exec_lo, exec_lo, s40
	v_lshlrev_b32_e32 v48, 16, v48
	v_lshlrev_b32_e32 v13, 20, v13
	v_lshl_add_u32 v47, v47, 23, 0x3c000000
	v_and_b32_e32 v48, 0x80000000, v48
	v_or3_b32 v47, v13, v48, v47
.LBB308_95:                             ;   in Loop: Header=BB308_12 Depth=1
	s_or_b32 exec_lo, exec_lo, s26
.LBB308_96:                             ;   in Loop: Header=BB308_12 Depth=1
	s_or_b32 exec_lo, exec_lo, s25
.LBB308_97:                             ;   in Loop: Header=BB308_12 Depth=1
	s_or_b32 exec_lo, exec_lo, s22
	global_load_ushort v13, v[21:22], off offset:264
	v_mov_b32_e32 v49, 0
	v_mov_b32_e32 v48, 0
	s_waitcnt vmcnt(0)
	v_and_b32_e32 v50, 0xffff, v13
	v_cmp_ne_u16_sdwa s2, v13, v14 src0_sel:BYTE_0 src1_sel:DWORD
	s_and_saveexec_b32 s22, s2
	s_cbranch_execz .LBB308_105
; %bb.98:                               ;   in Loop: Header=BB308_12 Depth=1
	v_cmp_ne_u16_sdwa s2, v50, v32 src0_sel:BYTE_0 src1_sel:DWORD
	v_bfrev_b32_e32 v48, 1
	s_and_saveexec_b32 s25, s2
	s_cbranch_execz .LBB308_104
; %bb.99:                               ;   in Loop: Header=BB308_12 Depth=1
	v_and_b32_e32 v51, 0x7f, v50
	v_mov_b32_e32 v48, 0x7f800001
	s_mov_b32 s26, exec_lo
	v_cmpx_ne_u32_e32 0x7f, v51
	s_cbranch_execz .LBB308_103
; %bb.100:                              ;   in Loop: Header=BB308_12 Depth=1
	v_and_b32_e32 v13, 7, v50
	v_lshrrev_b32_e32 v48, 3, v51
	s_mov_b32 s40, exec_lo
	v_cmpx_gt_u32_e32 8, v51
; %bb.101:                              ;   in Loop: Header=BB308_12 Depth=1
	v_ffbh_u32_e32 v48, v13
	v_min_u32_e32 v48, 32, v48
	v_subrev_nc_u32_e32 v51, 28, v48
	v_sub_nc_u32_e32 v48, 29, v48
	v_lshlrev_b64 v[51:52], v51, v[13:14]
	v_and_b32_e32 v13, 7, v51
; %bb.102:                              ;   in Loop: Header=BB308_12 Depth=1
	s_or_b32 exec_lo, exec_lo, s40
	v_lshlrev_b32_e32 v51, 24, v50
	v_lshlrev_b32_e32 v13, 20, v13
	v_lshl_add_u32 v48, v48, 23, 0x3c000000
	v_and_b32_e32 v51, 0x80000000, v51
	v_or3_b32 v48, v13, v51, v48
.LBB308_103:                            ;   in Loop: Header=BB308_12 Depth=1
	s_or_b32 exec_lo, exec_lo, s26
.LBB308_104:                            ;   in Loop: Header=BB308_12 Depth=1
	s_or_b32 exec_lo, exec_lo, s25
.LBB308_105:                            ;   in Loop: Header=BB308_12 Depth=1
	s_or_b32 exec_lo, exec_lo, s22
	v_cmp_ne_u16_sdwa s2, v50, v14 src0_sel:BYTE_1 src1_sel:DWORD
	s_and_saveexec_b32 s22, s2
	s_cbranch_execz .LBB308_113
; %bb.106:                              ;   in Loop: Header=BB308_12 Depth=1
	v_cmp_ne_u16_sdwa s2, v50, v32 src0_sel:BYTE_1 src1_sel:DWORD
	v_bfrev_b32_e32 v49, 1
	s_and_saveexec_b32 s25, s2
	s_cbranch_execz .LBB308_112
; %bb.107:                              ;   in Loop: Header=BB308_12 Depth=1
	v_and_b32_sdwa v13, v33, v50 dst_sel:DWORD dst_unused:UNUSED_PAD src0_sel:DWORD src1_sel:BYTE_1
	v_mov_b32_e32 v49, 0x7f800001
	s_mov_b32 s26, exec_lo
	v_and_b32_e32 v51, 0x7f, v13
	v_cmpx_ne_u32_e32 0x7f, v51
	s_cbranch_execz .LBB308_111
; %bb.108:                              ;   in Loop: Header=BB308_12 Depth=1
	v_and_b32_e32 v13, 7, v13
	v_lshrrev_b32_e32 v49, 3, v51
	s_mov_b32 s40, exec_lo
	v_cmpx_gt_u32_e32 8, v51
; %bb.109:                              ;   in Loop: Header=BB308_12 Depth=1
	v_ffbh_u32_e32 v49, v13
	v_min_u32_e32 v49, 32, v49
	v_subrev_nc_u32_e32 v51, 28, v49
	v_sub_nc_u32_e32 v49, 29, v49
	v_lshlrev_b64 v[51:52], v51, v[13:14]
	v_and_b32_e32 v13, 7, v51
; %bb.110:                              ;   in Loop: Header=BB308_12 Depth=1
	s_or_b32 exec_lo, exec_lo, s40
	v_lshlrev_b32_e32 v50, 16, v50
	v_lshlrev_b32_e32 v13, 20, v13
	v_lshl_add_u32 v49, v49, 23, 0x3c000000
	v_and_b32_e32 v50, 0x80000000, v50
	v_or3_b32 v49, v13, v50, v49
.LBB308_111:                            ;   in Loop: Header=BB308_12 Depth=1
	s_or_b32 exec_lo, exec_lo, s26
.LBB308_112:                            ;   in Loop: Header=BB308_12 Depth=1
	s_or_b32 exec_lo, exec_lo, s25
.LBB308_113:                            ;   in Loop: Header=BB308_12 Depth=1
	s_or_b32 exec_lo, exec_lo, s22
	global_load_ushort v13, v[21:22], off offset:384
	v_mov_b32_e32 v51, 0
	v_mov_b32_e32 v50, 0
	s_waitcnt vmcnt(0)
	v_and_b32_e32 v52, 0xffff, v13
	v_cmp_ne_u16_sdwa s2, v13, v14 src0_sel:BYTE_0 src1_sel:DWORD
	s_and_saveexec_b32 s22, s2
	s_cbranch_execz .LBB308_121
; %bb.114:                              ;   in Loop: Header=BB308_12 Depth=1
	v_cmp_ne_u16_sdwa s2, v52, v32 src0_sel:BYTE_0 src1_sel:DWORD
	v_bfrev_b32_e32 v50, 1
	s_and_saveexec_b32 s25, s2
	s_cbranch_execz .LBB308_120
; %bb.115:                              ;   in Loop: Header=BB308_12 Depth=1
	v_and_b32_e32 v53, 0x7f, v52
	v_mov_b32_e32 v50, 0x7f800001
	s_mov_b32 s26, exec_lo
	v_cmpx_ne_u32_e32 0x7f, v53
	s_cbranch_execz .LBB308_119
; %bb.116:                              ;   in Loop: Header=BB308_12 Depth=1
	v_and_b32_e32 v13, 7, v52
	v_lshrrev_b32_e32 v50, 3, v53
	s_mov_b32 s40, exec_lo
	v_cmpx_gt_u32_e32 8, v53
; %bb.117:                              ;   in Loop: Header=BB308_12 Depth=1
	v_ffbh_u32_e32 v50, v13
	v_min_u32_e32 v50, 32, v50
	v_subrev_nc_u32_e32 v53, 28, v50
	v_sub_nc_u32_e32 v50, 29, v50
	v_lshlrev_b64 v[53:54], v53, v[13:14]
	v_and_b32_e32 v13, 7, v53
; %bb.118:                              ;   in Loop: Header=BB308_12 Depth=1
	s_or_b32 exec_lo, exec_lo, s40
	v_lshlrev_b32_e32 v53, 24, v52
	v_lshlrev_b32_e32 v13, 20, v13
	v_lshl_add_u32 v50, v50, 23, 0x3c000000
	v_and_b32_e32 v53, 0x80000000, v53
	v_or3_b32 v50, v13, v53, v50
.LBB308_119:                            ;   in Loop: Header=BB308_12 Depth=1
	s_or_b32 exec_lo, exec_lo, s26
.LBB308_120:                            ;   in Loop: Header=BB308_12 Depth=1
	s_or_b32 exec_lo, exec_lo, s25
.LBB308_121:                            ;   in Loop: Header=BB308_12 Depth=1
	s_or_b32 exec_lo, exec_lo, s22
	v_cmp_ne_u16_sdwa s2, v52, v14 src0_sel:BYTE_1 src1_sel:DWORD
	s_and_saveexec_b32 s22, s2
	s_cbranch_execz .LBB308_129
; %bb.122:                              ;   in Loop: Header=BB308_12 Depth=1
	v_cmp_ne_u16_sdwa s2, v52, v32 src0_sel:BYTE_1 src1_sel:DWORD
	v_bfrev_b32_e32 v51, 1
	s_and_saveexec_b32 s25, s2
	s_cbranch_execz .LBB308_128
; %bb.123:                              ;   in Loop: Header=BB308_12 Depth=1
	v_and_b32_sdwa v13, v33, v52 dst_sel:DWORD dst_unused:UNUSED_PAD src0_sel:DWORD src1_sel:BYTE_1
	v_mov_b32_e32 v51, 0x7f800001
	s_mov_b32 s26, exec_lo
	v_and_b32_e32 v53, 0x7f, v13
	v_cmpx_ne_u32_e32 0x7f, v53
	s_cbranch_execz .LBB308_127
; %bb.124:                              ;   in Loop: Header=BB308_12 Depth=1
	v_and_b32_e32 v13, 7, v13
	v_lshrrev_b32_e32 v51, 3, v53
	s_mov_b32 s40, exec_lo
	v_cmpx_gt_u32_e32 8, v53
; %bb.125:                              ;   in Loop: Header=BB308_12 Depth=1
	v_ffbh_u32_e32 v51, v13
	v_min_u32_e32 v51, 32, v51
	v_subrev_nc_u32_e32 v53, 28, v51
	v_sub_nc_u32_e32 v51, 29, v51
	v_lshlrev_b64 v[53:54], v53, v[13:14]
	v_and_b32_e32 v13, 7, v53
; %bb.126:                              ;   in Loop: Header=BB308_12 Depth=1
	s_or_b32 exec_lo, exec_lo, s40
	v_lshlrev_b32_e32 v52, 16, v52
	v_lshlrev_b32_e32 v13, 20, v13
	v_lshl_add_u32 v51, v51, 23, 0x3c000000
	v_and_b32_e32 v52, 0x80000000, v52
	v_or3_b32 v51, v13, v52, v51
.LBB308_127:                            ;   in Loop: Header=BB308_12 Depth=1
	s_or_b32 exec_lo, exec_lo, s26
.LBB308_128:                            ;   in Loop: Header=BB308_12 Depth=1
	s_or_b32 exec_lo, exec_lo, s25
.LBB308_129:                            ;   in Loop: Header=BB308_12 Depth=1
	s_or_b32 exec_lo, exec_lo, s22
	global_load_ushort v13, v[21:22], off offset:392
	v_mov_b32_e32 v53, 0
	v_mov_b32_e32 v52, 0
	s_waitcnt vmcnt(0)
	v_and_b32_e32 v54, 0xffff, v13
	v_cmp_ne_u16_sdwa s2, v13, v14 src0_sel:BYTE_0 src1_sel:DWORD
	s_and_saveexec_b32 s22, s2
	s_cbranch_execz .LBB308_137
; %bb.130:                              ;   in Loop: Header=BB308_12 Depth=1
	v_cmp_ne_u16_sdwa s2, v54, v32 src0_sel:BYTE_0 src1_sel:DWORD
	v_bfrev_b32_e32 v52, 1
	s_and_saveexec_b32 s25, s2
	s_cbranch_execz .LBB308_136
; %bb.131:                              ;   in Loop: Header=BB308_12 Depth=1
	v_and_b32_e32 v55, 0x7f, v54
	v_mov_b32_e32 v52, 0x7f800001
	s_mov_b32 s26, exec_lo
	v_cmpx_ne_u32_e32 0x7f, v55
	s_cbranch_execz .LBB308_135
; %bb.132:                              ;   in Loop: Header=BB308_12 Depth=1
	v_and_b32_e32 v13, 7, v54
	v_lshrrev_b32_e32 v52, 3, v55
	s_mov_b32 s40, exec_lo
	v_cmpx_gt_u32_e32 8, v55
; %bb.133:                              ;   in Loop: Header=BB308_12 Depth=1
	v_ffbh_u32_e32 v52, v13
	v_min_u32_e32 v52, 32, v52
	v_subrev_nc_u32_e32 v55, 28, v52
	v_sub_nc_u32_e32 v52, 29, v52
	v_lshlrev_b64 v[55:56], v55, v[13:14]
	v_and_b32_e32 v13, 7, v55
; %bb.134:                              ;   in Loop: Header=BB308_12 Depth=1
	s_or_b32 exec_lo, exec_lo, s40
	v_lshlrev_b32_e32 v55, 24, v54
	v_lshlrev_b32_e32 v13, 20, v13
	v_lshl_add_u32 v52, v52, 23, 0x3c000000
	v_and_b32_e32 v55, 0x80000000, v55
	v_or3_b32 v52, v13, v55, v52
.LBB308_135:                            ;   in Loop: Header=BB308_12 Depth=1
	s_or_b32 exec_lo, exec_lo, s26
.LBB308_136:                            ;   in Loop: Header=BB308_12 Depth=1
	s_or_b32 exec_lo, exec_lo, s25
.LBB308_137:                            ;   in Loop: Header=BB308_12 Depth=1
	s_or_b32 exec_lo, exec_lo, s22
	v_cmp_ne_u16_sdwa s2, v54, v14 src0_sel:BYTE_1 src1_sel:DWORD
	s_and_saveexec_b32 s22, s2
	s_cbranch_execz .LBB308_145
; %bb.138:                              ;   in Loop: Header=BB308_12 Depth=1
	v_cmp_ne_u16_sdwa s2, v54, v32 src0_sel:BYTE_1 src1_sel:DWORD
	v_bfrev_b32_e32 v53, 1
	s_and_saveexec_b32 s25, s2
	s_cbranch_execz .LBB308_144
; %bb.139:                              ;   in Loop: Header=BB308_12 Depth=1
	v_and_b32_sdwa v13, v33, v54 dst_sel:DWORD dst_unused:UNUSED_PAD src0_sel:DWORD src1_sel:BYTE_1
	v_mov_b32_e32 v53, 0x7f800001
	s_mov_b32 s26, exec_lo
	v_and_b32_e32 v55, 0x7f, v13
	v_cmpx_ne_u32_e32 0x7f, v55
	s_cbranch_execz .LBB308_143
; %bb.140:                              ;   in Loop: Header=BB308_12 Depth=1
	v_and_b32_e32 v13, 7, v13
	v_lshrrev_b32_e32 v53, 3, v55
	s_mov_b32 s40, exec_lo
	v_cmpx_gt_u32_e32 8, v55
; %bb.141:                              ;   in Loop: Header=BB308_12 Depth=1
	v_ffbh_u32_e32 v53, v13
	v_min_u32_e32 v53, 32, v53
	v_subrev_nc_u32_e32 v55, 28, v53
	v_sub_nc_u32_e32 v53, 29, v53
	v_lshlrev_b64 v[55:56], v55, v[13:14]
	v_and_b32_e32 v13, 7, v55
; %bb.142:                              ;   in Loop: Header=BB308_12 Depth=1
	s_or_b32 exec_lo, exec_lo, s40
	v_lshlrev_b32_e32 v54, 16, v54
	v_lshlrev_b32_e32 v13, 20, v13
	v_lshl_add_u32 v53, v53, 23, 0x3c000000
	v_and_b32_e32 v54, 0x80000000, v54
	v_or3_b32 v53, v13, v54, v53
.LBB308_143:                            ;   in Loop: Header=BB308_12 Depth=1
	s_or_b32 exec_lo, exec_lo, s26
.LBB308_144:                            ;   in Loop: Header=BB308_12 Depth=1
	s_or_b32 exec_lo, exec_lo, s25
.LBB308_145:                            ;   in Loop: Header=BB308_12 Depth=1
	s_or_b32 exec_lo, exec_lo, s22
	global_load_ushort v13, v[21:22], off offset:512
	v_mov_b32_e32 v55, 0
	v_mov_b32_e32 v54, 0
	s_waitcnt vmcnt(0)
	v_and_b32_e32 v56, 0xffff, v13
	v_cmp_ne_u16_sdwa s2, v13, v14 src0_sel:BYTE_0 src1_sel:DWORD
	s_and_saveexec_b32 s22, s2
	s_cbranch_execz .LBB308_153
; %bb.146:                              ;   in Loop: Header=BB308_12 Depth=1
	v_cmp_ne_u16_sdwa s2, v56, v32 src0_sel:BYTE_0 src1_sel:DWORD
	v_bfrev_b32_e32 v54, 1
	s_and_saveexec_b32 s25, s2
	s_cbranch_execz .LBB308_152
; %bb.147:                              ;   in Loop: Header=BB308_12 Depth=1
	v_and_b32_e32 v57, 0x7f, v56
	v_mov_b32_e32 v54, 0x7f800001
	s_mov_b32 s26, exec_lo
	v_cmpx_ne_u32_e32 0x7f, v57
	s_cbranch_execz .LBB308_151
; %bb.148:                              ;   in Loop: Header=BB308_12 Depth=1
	v_and_b32_e32 v13, 7, v56
	v_lshrrev_b32_e32 v54, 3, v57
	s_mov_b32 s40, exec_lo
	v_cmpx_gt_u32_e32 8, v57
; %bb.149:                              ;   in Loop: Header=BB308_12 Depth=1
	v_ffbh_u32_e32 v54, v13
	v_min_u32_e32 v54, 32, v54
	v_subrev_nc_u32_e32 v57, 28, v54
	v_sub_nc_u32_e32 v54, 29, v54
	v_lshlrev_b64 v[57:58], v57, v[13:14]
	v_and_b32_e32 v13, 7, v57
; %bb.150:                              ;   in Loop: Header=BB308_12 Depth=1
	s_or_b32 exec_lo, exec_lo, s40
	v_lshlrev_b32_e32 v57, 24, v56
	v_lshlrev_b32_e32 v13, 20, v13
	v_lshl_add_u32 v54, v54, 23, 0x3c000000
	v_and_b32_e32 v57, 0x80000000, v57
	v_or3_b32 v54, v13, v57, v54
.LBB308_151:                            ;   in Loop: Header=BB308_12 Depth=1
	s_or_b32 exec_lo, exec_lo, s26
.LBB308_152:                            ;   in Loop: Header=BB308_12 Depth=1
	s_or_b32 exec_lo, exec_lo, s25
.LBB308_153:                            ;   in Loop: Header=BB308_12 Depth=1
	s_or_b32 exec_lo, exec_lo, s22
	v_cmp_ne_u16_sdwa s2, v56, v14 src0_sel:BYTE_1 src1_sel:DWORD
	s_and_saveexec_b32 s22, s2
	s_cbranch_execz .LBB308_161
; %bb.154:                              ;   in Loop: Header=BB308_12 Depth=1
	v_cmp_ne_u16_sdwa s2, v56, v32 src0_sel:BYTE_1 src1_sel:DWORD
	v_bfrev_b32_e32 v55, 1
	s_and_saveexec_b32 s25, s2
	s_cbranch_execz .LBB308_160
; %bb.155:                              ;   in Loop: Header=BB308_12 Depth=1
	v_and_b32_sdwa v13, v33, v56 dst_sel:DWORD dst_unused:UNUSED_PAD src0_sel:DWORD src1_sel:BYTE_1
	v_mov_b32_e32 v55, 0x7f800001
	s_mov_b32 s26, exec_lo
	v_and_b32_e32 v57, 0x7f, v13
	v_cmpx_ne_u32_e32 0x7f, v57
	s_cbranch_execz .LBB308_159
; %bb.156:                              ;   in Loop: Header=BB308_12 Depth=1
	v_and_b32_e32 v13, 7, v13
	v_lshrrev_b32_e32 v55, 3, v57
	s_mov_b32 s40, exec_lo
	v_cmpx_gt_u32_e32 8, v57
; %bb.157:                              ;   in Loop: Header=BB308_12 Depth=1
	v_ffbh_u32_e32 v55, v13
	v_min_u32_e32 v55, 32, v55
	v_subrev_nc_u32_e32 v57, 28, v55
	v_sub_nc_u32_e32 v55, 29, v55
	v_lshlrev_b64 v[57:58], v57, v[13:14]
	v_and_b32_e32 v13, 7, v57
; %bb.158:                              ;   in Loop: Header=BB308_12 Depth=1
	s_or_b32 exec_lo, exec_lo, s40
	v_lshlrev_b32_e32 v56, 16, v56
	v_lshlrev_b32_e32 v13, 20, v13
	v_lshl_add_u32 v55, v55, 23, 0x3c000000
	v_and_b32_e32 v56, 0x80000000, v56
	v_or3_b32 v55, v13, v56, v55
.LBB308_159:                            ;   in Loop: Header=BB308_12 Depth=1
	s_or_b32 exec_lo, exec_lo, s26
.LBB308_160:                            ;   in Loop: Header=BB308_12 Depth=1
	s_or_b32 exec_lo, exec_lo, s25
.LBB308_161:                            ;   in Loop: Header=BB308_12 Depth=1
	s_or_b32 exec_lo, exec_lo, s22
	global_load_ushort v13, v[21:22], off offset:520
	v_mov_b32_e32 v57, 0
	v_mov_b32_e32 v56, 0
	s_waitcnt vmcnt(0)
	v_and_b32_e32 v58, 0xffff, v13
	v_cmp_ne_u16_sdwa s2, v13, v14 src0_sel:BYTE_0 src1_sel:DWORD
	s_and_saveexec_b32 s22, s2
	s_cbranch_execz .LBB308_169
; %bb.162:                              ;   in Loop: Header=BB308_12 Depth=1
	v_cmp_ne_u16_sdwa s2, v58, v32 src0_sel:BYTE_0 src1_sel:DWORD
	v_bfrev_b32_e32 v56, 1
	s_and_saveexec_b32 s25, s2
	s_cbranch_execz .LBB308_168
; %bb.163:                              ;   in Loop: Header=BB308_12 Depth=1
	v_and_b32_e32 v59, 0x7f, v58
	v_mov_b32_e32 v56, 0x7f800001
	s_mov_b32 s26, exec_lo
	v_cmpx_ne_u32_e32 0x7f, v59
	s_cbranch_execz .LBB308_167
; %bb.164:                              ;   in Loop: Header=BB308_12 Depth=1
	v_and_b32_e32 v13, 7, v58
	v_lshrrev_b32_e32 v56, 3, v59
	s_mov_b32 s40, exec_lo
	v_cmpx_gt_u32_e32 8, v59
; %bb.165:                              ;   in Loop: Header=BB308_12 Depth=1
	v_ffbh_u32_e32 v56, v13
	v_min_u32_e32 v56, 32, v56
	v_subrev_nc_u32_e32 v59, 28, v56
	v_sub_nc_u32_e32 v56, 29, v56
	v_lshlrev_b64 v[59:60], v59, v[13:14]
	v_and_b32_e32 v13, 7, v59
; %bb.166:                              ;   in Loop: Header=BB308_12 Depth=1
	s_or_b32 exec_lo, exec_lo, s40
	v_lshlrev_b32_e32 v59, 24, v58
	v_lshlrev_b32_e32 v13, 20, v13
	v_lshl_add_u32 v56, v56, 23, 0x3c000000
	v_and_b32_e32 v59, 0x80000000, v59
	v_or3_b32 v56, v13, v59, v56
.LBB308_167:                            ;   in Loop: Header=BB308_12 Depth=1
	s_or_b32 exec_lo, exec_lo, s26
.LBB308_168:                            ;   in Loop: Header=BB308_12 Depth=1
	s_or_b32 exec_lo, exec_lo, s25
.LBB308_169:                            ;   in Loop: Header=BB308_12 Depth=1
	s_or_b32 exec_lo, exec_lo, s22
	v_cmp_ne_u16_sdwa s2, v58, v14 src0_sel:BYTE_1 src1_sel:DWORD
	s_and_saveexec_b32 s22, s2
	s_cbranch_execz .LBB308_177
; %bb.170:                              ;   in Loop: Header=BB308_12 Depth=1
	v_cmp_ne_u16_sdwa s2, v58, v32 src0_sel:BYTE_1 src1_sel:DWORD
	v_bfrev_b32_e32 v57, 1
	s_and_saveexec_b32 s25, s2
	s_cbranch_execz .LBB308_176
; %bb.171:                              ;   in Loop: Header=BB308_12 Depth=1
	v_and_b32_sdwa v13, v33, v58 dst_sel:DWORD dst_unused:UNUSED_PAD src0_sel:DWORD src1_sel:BYTE_1
	v_mov_b32_e32 v57, 0x7f800001
	s_mov_b32 s26, exec_lo
	v_and_b32_e32 v59, 0x7f, v13
	v_cmpx_ne_u32_e32 0x7f, v59
	s_cbranch_execz .LBB308_175
; %bb.172:                              ;   in Loop: Header=BB308_12 Depth=1
	v_and_b32_e32 v13, 7, v13
	v_lshrrev_b32_e32 v57, 3, v59
	s_mov_b32 s40, exec_lo
	v_cmpx_gt_u32_e32 8, v59
; %bb.173:                              ;   in Loop: Header=BB308_12 Depth=1
	v_ffbh_u32_e32 v57, v13
	v_min_u32_e32 v57, 32, v57
	v_subrev_nc_u32_e32 v59, 28, v57
	v_sub_nc_u32_e32 v57, 29, v57
	v_lshlrev_b64 v[59:60], v59, v[13:14]
	v_and_b32_e32 v13, 7, v59
; %bb.174:                              ;   in Loop: Header=BB308_12 Depth=1
	s_or_b32 exec_lo, exec_lo, s40
	v_lshlrev_b32_e32 v58, 16, v58
	v_lshlrev_b32_e32 v13, 20, v13
	v_lshl_add_u32 v57, v57, 23, 0x3c000000
	v_and_b32_e32 v58, 0x80000000, v58
	v_or3_b32 v57, v13, v58, v57
.LBB308_175:                            ;   in Loop: Header=BB308_12 Depth=1
	s_or_b32 exec_lo, exec_lo, s26
.LBB308_176:                            ;   in Loop: Header=BB308_12 Depth=1
	s_or_b32 exec_lo, exec_lo, s25
.LBB308_177:                            ;   in Loop: Header=BB308_12 Depth=1
	s_or_b32 exec_lo, exec_lo, s22
	global_load_ushort v13, v[21:22], off offset:640
	v_mov_b32_e32 v59, 0
	v_mov_b32_e32 v58, 0
	s_waitcnt vmcnt(0)
	v_and_b32_e32 v60, 0xffff, v13
	v_cmp_ne_u16_sdwa s2, v13, v14 src0_sel:BYTE_0 src1_sel:DWORD
	s_and_saveexec_b32 s22, s2
	s_cbranch_execz .LBB308_185
; %bb.178:                              ;   in Loop: Header=BB308_12 Depth=1
	v_cmp_ne_u16_sdwa s2, v60, v32 src0_sel:BYTE_0 src1_sel:DWORD
	v_bfrev_b32_e32 v58, 1
	s_and_saveexec_b32 s25, s2
	s_cbranch_execz .LBB308_184
; %bb.179:                              ;   in Loop: Header=BB308_12 Depth=1
	v_and_b32_e32 v61, 0x7f, v60
	v_mov_b32_e32 v58, 0x7f800001
	s_mov_b32 s26, exec_lo
	v_cmpx_ne_u32_e32 0x7f, v61
	s_cbranch_execz .LBB308_183
; %bb.180:                              ;   in Loop: Header=BB308_12 Depth=1
	v_and_b32_e32 v13, 7, v60
	v_lshrrev_b32_e32 v58, 3, v61
	s_mov_b32 s40, exec_lo
	v_cmpx_gt_u32_e32 8, v61
; %bb.181:                              ;   in Loop: Header=BB308_12 Depth=1
	v_ffbh_u32_e32 v58, v13
	v_min_u32_e32 v58, 32, v58
	v_subrev_nc_u32_e32 v61, 28, v58
	v_sub_nc_u32_e32 v58, 29, v58
	v_lshlrev_b64 v[61:62], v61, v[13:14]
	v_and_b32_e32 v13, 7, v61
; %bb.182:                              ;   in Loop: Header=BB308_12 Depth=1
	s_or_b32 exec_lo, exec_lo, s40
	v_lshlrev_b32_e32 v61, 24, v60
	v_lshlrev_b32_e32 v13, 20, v13
	v_lshl_add_u32 v58, v58, 23, 0x3c000000
	v_and_b32_e32 v61, 0x80000000, v61
	v_or3_b32 v58, v13, v61, v58
.LBB308_183:                            ;   in Loop: Header=BB308_12 Depth=1
	s_or_b32 exec_lo, exec_lo, s26
.LBB308_184:                            ;   in Loop: Header=BB308_12 Depth=1
	s_or_b32 exec_lo, exec_lo, s25
.LBB308_185:                            ;   in Loop: Header=BB308_12 Depth=1
	s_or_b32 exec_lo, exec_lo, s22
	v_cmp_ne_u16_sdwa s2, v60, v14 src0_sel:BYTE_1 src1_sel:DWORD
	s_and_saveexec_b32 s22, s2
	s_cbranch_execz .LBB308_193
; %bb.186:                              ;   in Loop: Header=BB308_12 Depth=1
	v_cmp_ne_u16_sdwa s2, v60, v32 src0_sel:BYTE_1 src1_sel:DWORD
	v_bfrev_b32_e32 v59, 1
	s_and_saveexec_b32 s25, s2
	s_cbranch_execz .LBB308_192
; %bb.187:                              ;   in Loop: Header=BB308_12 Depth=1
	v_and_b32_sdwa v13, v33, v60 dst_sel:DWORD dst_unused:UNUSED_PAD src0_sel:DWORD src1_sel:BYTE_1
	v_mov_b32_e32 v59, 0x7f800001
	s_mov_b32 s26, exec_lo
	v_and_b32_e32 v61, 0x7f, v13
	v_cmpx_ne_u32_e32 0x7f, v61
	s_cbranch_execz .LBB308_191
; %bb.188:                              ;   in Loop: Header=BB308_12 Depth=1
	v_and_b32_e32 v13, 7, v13
	v_lshrrev_b32_e32 v59, 3, v61
	s_mov_b32 s40, exec_lo
	v_cmpx_gt_u32_e32 8, v61
; %bb.189:                              ;   in Loop: Header=BB308_12 Depth=1
	v_ffbh_u32_e32 v59, v13
	v_min_u32_e32 v59, 32, v59
	v_subrev_nc_u32_e32 v61, 28, v59
	v_sub_nc_u32_e32 v59, 29, v59
	v_lshlrev_b64 v[61:62], v61, v[13:14]
	v_and_b32_e32 v13, 7, v61
; %bb.190:                              ;   in Loop: Header=BB308_12 Depth=1
	s_or_b32 exec_lo, exec_lo, s40
	v_lshlrev_b32_e32 v60, 16, v60
	v_lshlrev_b32_e32 v13, 20, v13
	v_lshl_add_u32 v59, v59, 23, 0x3c000000
	v_and_b32_e32 v60, 0x80000000, v60
	v_or3_b32 v59, v13, v60, v59
.LBB308_191:                            ;   in Loop: Header=BB308_12 Depth=1
	s_or_b32 exec_lo, exec_lo, s26
.LBB308_192:                            ;   in Loop: Header=BB308_12 Depth=1
	s_or_b32 exec_lo, exec_lo, s25
.LBB308_193:                            ;   in Loop: Header=BB308_12 Depth=1
	s_or_b32 exec_lo, exec_lo, s22
	global_load_ushort v13, v[21:22], off offset:648
	v_mov_b32_e32 v61, 0
	v_mov_b32_e32 v60, 0
	s_waitcnt vmcnt(0)
	v_and_b32_e32 v62, 0xffff, v13
	v_cmp_ne_u16_sdwa s2, v13, v14 src0_sel:BYTE_0 src1_sel:DWORD
	s_and_saveexec_b32 s22, s2
	s_cbranch_execz .LBB308_201
; %bb.194:                              ;   in Loop: Header=BB308_12 Depth=1
	v_cmp_ne_u16_sdwa s2, v62, v32 src0_sel:BYTE_0 src1_sel:DWORD
	v_bfrev_b32_e32 v60, 1
	s_and_saveexec_b32 s25, s2
	s_cbranch_execz .LBB308_200
; %bb.195:                              ;   in Loop: Header=BB308_12 Depth=1
	v_and_b32_e32 v63, 0x7f, v62
	v_mov_b32_e32 v60, 0x7f800001
	s_mov_b32 s26, exec_lo
	v_cmpx_ne_u32_e32 0x7f, v63
	s_cbranch_execz .LBB308_199
; %bb.196:                              ;   in Loop: Header=BB308_12 Depth=1
	v_and_b32_e32 v13, 7, v62
	v_lshrrev_b32_e32 v60, 3, v63
	s_mov_b32 s40, exec_lo
	v_cmpx_gt_u32_e32 8, v63
; %bb.197:                              ;   in Loop: Header=BB308_12 Depth=1
	v_ffbh_u32_e32 v60, v13
	v_min_u32_e32 v60, 32, v60
	v_subrev_nc_u32_e32 v63, 28, v60
	v_sub_nc_u32_e32 v60, 29, v60
	v_lshlrev_b64 v[63:64], v63, v[13:14]
	v_and_b32_e32 v13, 7, v63
; %bb.198:                              ;   in Loop: Header=BB308_12 Depth=1
	s_or_b32 exec_lo, exec_lo, s40
	v_lshlrev_b32_e32 v63, 24, v62
	v_lshlrev_b32_e32 v13, 20, v13
	v_lshl_add_u32 v60, v60, 23, 0x3c000000
	v_and_b32_e32 v63, 0x80000000, v63
	v_or3_b32 v60, v13, v63, v60
.LBB308_199:                            ;   in Loop: Header=BB308_12 Depth=1
	s_or_b32 exec_lo, exec_lo, s26
.LBB308_200:                            ;   in Loop: Header=BB308_12 Depth=1
	s_or_b32 exec_lo, exec_lo, s25
.LBB308_201:                            ;   in Loop: Header=BB308_12 Depth=1
	s_or_b32 exec_lo, exec_lo, s22
	v_cmp_ne_u16_sdwa s2, v62, v14 src0_sel:BYTE_1 src1_sel:DWORD
	s_and_saveexec_b32 s22, s2
	s_cbranch_execz .LBB308_209
; %bb.202:                              ;   in Loop: Header=BB308_12 Depth=1
	v_cmp_ne_u16_sdwa s2, v62, v32 src0_sel:BYTE_1 src1_sel:DWORD
	v_bfrev_b32_e32 v61, 1
	s_and_saveexec_b32 s25, s2
	s_cbranch_execz .LBB308_208
; %bb.203:                              ;   in Loop: Header=BB308_12 Depth=1
	v_and_b32_sdwa v13, v33, v62 dst_sel:DWORD dst_unused:UNUSED_PAD src0_sel:DWORD src1_sel:BYTE_1
	v_mov_b32_e32 v61, 0x7f800001
	s_mov_b32 s26, exec_lo
	v_and_b32_e32 v63, 0x7f, v13
	v_cmpx_ne_u32_e32 0x7f, v63
	s_cbranch_execz .LBB308_207
; %bb.204:                              ;   in Loop: Header=BB308_12 Depth=1
	v_and_b32_e32 v13, 7, v13
	v_lshrrev_b32_e32 v61, 3, v63
	s_mov_b32 s40, exec_lo
	v_cmpx_gt_u32_e32 8, v63
; %bb.205:                              ;   in Loop: Header=BB308_12 Depth=1
	v_ffbh_u32_e32 v61, v13
	v_min_u32_e32 v61, 32, v61
	v_subrev_nc_u32_e32 v63, 28, v61
	v_sub_nc_u32_e32 v61, 29, v61
	v_lshlrev_b64 v[63:64], v63, v[13:14]
	v_and_b32_e32 v13, 7, v63
; %bb.206:                              ;   in Loop: Header=BB308_12 Depth=1
	s_or_b32 exec_lo, exec_lo, s40
	v_lshlrev_b32_e32 v62, 16, v62
	v_lshlrev_b32_e32 v13, 20, v13
	v_lshl_add_u32 v61, v61, 23, 0x3c000000
	v_and_b32_e32 v62, 0x80000000, v62
	v_or3_b32 v61, v13, v62, v61
.LBB308_207:                            ;   in Loop: Header=BB308_12 Depth=1
	s_or_b32 exec_lo, exec_lo, s26
.LBB308_208:                            ;   in Loop: Header=BB308_12 Depth=1
	s_or_b32 exec_lo, exec_lo, s25
.LBB308_209:                            ;   in Loop: Header=BB308_12 Depth=1
	s_or_b32 exec_lo, exec_lo, s22
	global_load_ushort v13, v[21:22], off offset:768
	v_mov_b32_e32 v63, 0
	v_mov_b32_e32 v62, 0
	s_waitcnt vmcnt(0)
	v_and_b32_e32 v64, 0xffff, v13
	v_cmp_ne_u16_sdwa s2, v13, v14 src0_sel:BYTE_0 src1_sel:DWORD
	s_and_saveexec_b32 s22, s2
	s_cbranch_execz .LBB308_217
; %bb.210:                              ;   in Loop: Header=BB308_12 Depth=1
	v_cmp_ne_u16_sdwa s2, v64, v32 src0_sel:BYTE_0 src1_sel:DWORD
	v_bfrev_b32_e32 v62, 1
	s_and_saveexec_b32 s25, s2
	s_cbranch_execz .LBB308_216
; %bb.211:                              ;   in Loop: Header=BB308_12 Depth=1
	v_and_b32_e32 v65, 0x7f, v64
	v_mov_b32_e32 v62, 0x7f800001
	s_mov_b32 s26, exec_lo
	v_cmpx_ne_u32_e32 0x7f, v65
	s_cbranch_execz .LBB308_215
; %bb.212:                              ;   in Loop: Header=BB308_12 Depth=1
	v_and_b32_e32 v13, 7, v64
	v_lshrrev_b32_e32 v62, 3, v65
	s_mov_b32 s40, exec_lo
	v_cmpx_gt_u32_e32 8, v65
; %bb.213:                              ;   in Loop: Header=BB308_12 Depth=1
	v_ffbh_u32_e32 v62, v13
	v_min_u32_e32 v62, 32, v62
	v_subrev_nc_u32_e32 v65, 28, v62
	v_sub_nc_u32_e32 v62, 29, v62
	v_lshlrev_b64 v[65:66], v65, v[13:14]
	v_and_b32_e32 v13, 7, v65
; %bb.214:                              ;   in Loop: Header=BB308_12 Depth=1
	s_or_b32 exec_lo, exec_lo, s40
	v_lshlrev_b32_e32 v65, 24, v64
	v_lshlrev_b32_e32 v13, 20, v13
	v_lshl_add_u32 v62, v62, 23, 0x3c000000
	v_and_b32_e32 v65, 0x80000000, v65
	v_or3_b32 v62, v13, v65, v62
.LBB308_215:                            ;   in Loop: Header=BB308_12 Depth=1
	s_or_b32 exec_lo, exec_lo, s26
.LBB308_216:                            ;   in Loop: Header=BB308_12 Depth=1
	s_or_b32 exec_lo, exec_lo, s25
.LBB308_217:                            ;   in Loop: Header=BB308_12 Depth=1
	s_or_b32 exec_lo, exec_lo, s22
	v_cmp_ne_u16_sdwa s2, v64, v14 src0_sel:BYTE_1 src1_sel:DWORD
	s_and_saveexec_b32 s22, s2
	s_cbranch_execz .LBB308_225
; %bb.218:                              ;   in Loop: Header=BB308_12 Depth=1
	v_cmp_ne_u16_sdwa s2, v64, v32 src0_sel:BYTE_1 src1_sel:DWORD
	v_bfrev_b32_e32 v63, 1
	s_and_saveexec_b32 s25, s2
	s_cbranch_execz .LBB308_224
; %bb.219:                              ;   in Loop: Header=BB308_12 Depth=1
	v_and_b32_sdwa v13, v33, v64 dst_sel:DWORD dst_unused:UNUSED_PAD src0_sel:DWORD src1_sel:BYTE_1
	v_mov_b32_e32 v63, 0x7f800001
	s_mov_b32 s26, exec_lo
	v_and_b32_e32 v65, 0x7f, v13
	v_cmpx_ne_u32_e32 0x7f, v65
	s_cbranch_execz .LBB308_223
; %bb.220:                              ;   in Loop: Header=BB308_12 Depth=1
	v_and_b32_e32 v13, 7, v13
	v_lshrrev_b32_e32 v63, 3, v65
	s_mov_b32 s40, exec_lo
	v_cmpx_gt_u32_e32 8, v65
; %bb.221:                              ;   in Loop: Header=BB308_12 Depth=1
	v_ffbh_u32_e32 v63, v13
	v_min_u32_e32 v63, 32, v63
	v_subrev_nc_u32_e32 v65, 28, v63
	v_sub_nc_u32_e32 v63, 29, v63
	v_lshlrev_b64 v[65:66], v65, v[13:14]
	v_and_b32_e32 v13, 7, v65
; %bb.222:                              ;   in Loop: Header=BB308_12 Depth=1
	s_or_b32 exec_lo, exec_lo, s40
	v_lshlrev_b32_e32 v64, 16, v64
	v_lshlrev_b32_e32 v13, 20, v13
	v_lshl_add_u32 v63, v63, 23, 0x3c000000
	v_and_b32_e32 v64, 0x80000000, v64
	v_or3_b32 v63, v13, v64, v63
.LBB308_223:                            ;   in Loop: Header=BB308_12 Depth=1
	s_or_b32 exec_lo, exec_lo, s26
.LBB308_224:                            ;   in Loop: Header=BB308_12 Depth=1
	s_or_b32 exec_lo, exec_lo, s25
.LBB308_225:                            ;   in Loop: Header=BB308_12 Depth=1
	s_or_b32 exec_lo, exec_lo, s22
	global_load_ushort v13, v[21:22], off offset:776
	v_mov_b32_e32 v21, 0
	v_mov_b32_e32 v64, 0
	s_waitcnt vmcnt(0)
	v_and_b32_e32 v22, 0xffff, v13
	v_cmp_ne_u16_sdwa s2, v13, v14 src0_sel:BYTE_0 src1_sel:DWORD
	s_and_saveexec_b32 s22, s2
	s_cbranch_execz .LBB308_233
; %bb.226:                              ;   in Loop: Header=BB308_12 Depth=1
	v_cmp_ne_u16_sdwa s2, v22, v32 src0_sel:BYTE_0 src1_sel:DWORD
	v_bfrev_b32_e32 v64, 1
	s_and_saveexec_b32 s25, s2
	s_cbranch_execz .LBB308_232
; %bb.227:                              ;   in Loop: Header=BB308_12 Depth=1
	v_and_b32_e32 v65, 0x7f, v22
	v_mov_b32_e32 v64, 0x7f800001
	s_mov_b32 s26, exec_lo
	v_cmpx_ne_u32_e32 0x7f, v65
	s_cbranch_execz .LBB308_231
; %bb.228:                              ;   in Loop: Header=BB308_12 Depth=1
	v_and_b32_e32 v13, 7, v22
	v_lshrrev_b32_e32 v64, 3, v65
	s_mov_b32 s40, exec_lo
	v_cmpx_gt_u32_e32 8, v65
; %bb.229:                              ;   in Loop: Header=BB308_12 Depth=1
	v_ffbh_u32_e32 v64, v13
	v_min_u32_e32 v64, 32, v64
	v_subrev_nc_u32_e32 v65, 28, v64
	v_sub_nc_u32_e32 v64, 29, v64
	v_lshlrev_b64 v[65:66], v65, v[13:14]
	v_and_b32_e32 v13, 7, v65
; %bb.230:                              ;   in Loop: Header=BB308_12 Depth=1
	s_or_b32 exec_lo, exec_lo, s40
	v_lshlrev_b32_e32 v65, 24, v22
	v_lshlrev_b32_e32 v13, 20, v13
	v_lshl_add_u32 v64, v64, 23, 0x3c000000
	v_and_b32_e32 v65, 0x80000000, v65
	v_or3_b32 v64, v13, v65, v64
.LBB308_231:                            ;   in Loop: Header=BB308_12 Depth=1
	s_or_b32 exec_lo, exec_lo, s26
.LBB308_232:                            ;   in Loop: Header=BB308_12 Depth=1
	s_or_b32 exec_lo, exec_lo, s25
.LBB308_233:                            ;   in Loop: Header=BB308_12 Depth=1
	s_or_b32 exec_lo, exec_lo, s22
	v_cmp_ne_u16_sdwa s2, v22, v14 src0_sel:BYTE_1 src1_sel:DWORD
	s_and_saveexec_b32 s22, s2
	s_cbranch_execz .LBB308_241
; %bb.234:                              ;   in Loop: Header=BB308_12 Depth=1
	v_cmp_ne_u16_sdwa s2, v22, v32 src0_sel:BYTE_1 src1_sel:DWORD
	v_bfrev_b32_e32 v21, 1
	s_and_saveexec_b32 s25, s2
	s_cbranch_execz .LBB308_240
; %bb.235:                              ;   in Loop: Header=BB308_12 Depth=1
	v_and_b32_sdwa v13, v33, v22 dst_sel:DWORD dst_unused:UNUSED_PAD src0_sel:DWORD src1_sel:BYTE_1
	v_mov_b32_e32 v21, 0x7f800001
	s_mov_b32 s26, exec_lo
	v_and_b32_e32 v65, 0x7f, v13
	v_cmpx_ne_u32_e32 0x7f, v65
	s_cbranch_execz .LBB308_239
; %bb.236:                              ;   in Loop: Header=BB308_12 Depth=1
	v_and_b32_e32 v13, 7, v13
	v_lshrrev_b32_e32 v21, 3, v65
	s_mov_b32 s40, exec_lo
	v_cmpx_gt_u32_e32 8, v65
; %bb.237:                              ;   in Loop: Header=BB308_12 Depth=1
	v_ffbh_u32_e32 v21, v13
	v_min_u32_e32 v21, 32, v21
	v_subrev_nc_u32_e32 v65, 28, v21
	v_sub_nc_u32_e32 v21, 29, v21
	v_lshlrev_b64 v[65:66], v65, v[13:14]
	v_and_b32_e32 v13, 7, v65
; %bb.238:                              ;   in Loop: Header=BB308_12 Depth=1
	s_or_b32 exec_lo, exec_lo, s40
	v_lshlrev_b32_e32 v22, 16, v22
	v_lshlrev_b32_e32 v13, 20, v13
	v_lshl_add_u32 v21, v21, 23, 0x3c000000
	v_and_b32_e32 v22, 0x80000000, v22
	v_or3_b32 v21, v13, v22, v21
.LBB308_239:                            ;   in Loop: Header=BB308_12 Depth=1
	s_or_b32 exec_lo, exec_lo, s26
.LBB308_240:                            ;   in Loop: Header=BB308_12 Depth=1
	s_or_b32 exec_lo, exec_lo, s25
.LBB308_241:                            ;   in Loop: Header=BB308_12 Depth=1
	s_or_b32 exec_lo, exec_lo, s22
	s_waitcnt lgkmcnt(0)
	v_mul_f32_e32 v13, s19, v64
	v_mul_f32_e32 v22, s19, v63
	;; [unrolled: 1-line block ×5, first 2 shown]
	v_bfe_u32 v63, v13, 16, 1
	v_bfe_u32 v64, v22, 16, 1
	v_or_b32_e32 v65, 0x400000, v13
	v_cmp_u_f32_e64 s2, v13, v13
	v_or_b32_e32 v66, 0x400000, v22
	v_add3_u32 v63, v63, v13, 0x7fff
	v_bfe_u32 v67, v62, 16, 1
	v_add3_u32 v64, v64, v22, 0x7fff
	v_bfe_u32 v68, v61, 16, 1
	v_mul_f32_e32 v50, s19, v50
	v_cndmask_b32_e64 v13, v63, v65, s2
	v_cmp_u_f32_e64 s2, v22, v22
	v_add3_u32 v63, v67, v62, 0x7fff
	v_add3_u32 v65, v68, v61, 0x7fff
	v_or_b32_e32 v67, 0x400000, v61
	v_mul_f32_e32 v49, s19, v49
	v_cndmask_b32_e64 v22, v64, v66, s2
	v_mul_f32_e32 v64, s19, v60
	v_or_b32_e32 v60, 0x400000, v62
	v_cmp_u_f32_e64 s2, v62, v62
	v_mul_f32_e32 v66, s19, v59
	v_mul_f32_e32 v48, s19, v48
	v_bfe_u32 v68, v64, 16, 1
	v_mul_f32_e32 v47, s19, v47
	v_cndmask_b32_e64 v59, v63, v60, s2
	v_cmp_u_f32_e64 s2, v61, v61
	v_bfe_u32 v62, v66, 16, 1
	v_add3_u32 v61, v68, v64, 0x7fff
	v_mul_f32_e32 v63, s19, v58
	v_or_b32_e32 v58, 0x400000, v64
	v_cndmask_b32_e64 v60, v65, v67, s2
	v_cmp_u_f32_e64 s2, v64, v64
	v_add3_u32 v62, v62, v66, 0x7fff
	v_mul_f32_e32 v65, s19, v57
	v_or_b32_e32 v67, 0x400000, v66
	v_bfe_u32 v68, v63, 16, 1
	v_cndmask_b32_e64 v57, v61, v58, s2
	v_cmp_u_f32_e64 s2, v66, v66
	v_bfe_u32 v61, v65, 16, 1
	v_mul_f32_e32 v64, s19, v56
	v_or_b32_e32 v56, 0x400000, v63
	v_mul_f32_e32 v66, s19, v55
	v_cndmask_b32_e64 v58, v62, v67, s2
	v_add3_u32 v62, v68, v63, 0x7fff
	v_cmp_u_f32_e64 s2, v63, v63
	v_add3_u32 v61, v61, v65, 0x7fff
	v_or_b32_e32 v67, 0x400000, v65
	v_bfe_u32 v68, v64, 16, 1
	v_mul_f32_e32 v63, s19, v54
	v_cndmask_b32_e64 v55, v62, v56, s2
	v_cmp_u_f32_e64 s2, v65, v65
	v_bfe_u32 v62, v66, 16, 1
	v_or_b32_e32 v54, 0x400000, v64
	v_mul_f32_e32 v65, s19, v53
	v_mul_f32_e32 v46, s19, v46
	v_cndmask_b32_e64 v56, v61, v67, s2
	v_add3_u32 v61, v68, v64, 0x7fff
	v_cmp_u_f32_e64 s2, v64, v64
	v_add3_u32 v62, v62, v66, 0x7fff
	v_or_b32_e32 v67, 0x400000, v66
	v_bfe_u32 v68, v63, 16, 1
	v_or_b32_e32 v64, 0x400000, v63
	v_cndmask_b32_e64 v53, v61, v54, s2
	v_cmp_u_f32_e64 s2, v66, v66
	v_bfe_u32 v61, v65, 16, 1
	v_mul_f32_e32 v66, s19, v51
	v_mul_f32_e32 v45, s19, v45
	;; [unrolled: 1-line block ×3, first 2 shown]
	v_cndmask_b32_e64 v54, v62, v67, s2
	v_add3_u32 v62, v68, v63, 0x7fff
	v_cmp_u_f32_e64 s2, v63, v63
	v_add3_u32 v61, v61, v65, 0x7fff
	v_or_b32_e32 v67, 0x400000, v65
	v_bfe_u32 v68, v52, 16, 1
	v_bfe_u32 v70, v45, 16, 1
	v_cndmask_b32_e64 v51, v62, v64, s2
	v_cmp_u_f32_e64 s2, v65, v65
	v_bfe_u32 v62, v66, 16, 1
	v_add3_u32 v63, v68, v52, 0x7fff
	v_or_b32_e32 v64, 0x400000, v52
	v_or_b32_e32 v65, 0x400000, v66
	v_cndmask_b32_e64 v61, v61, v67, s2
	v_cmp_u_f32_e64 s2, v52, v52
	v_add3_u32 v62, v62, v66, 0x7fff
	v_bfe_u32 v67, v50, 16, 1
	v_bfe_u32 v68, v47, 16, 1
	v_mul_f32_e32 v43, s19, v43
	v_cndmask_b32_e64 v52, v63, v64, s2
	v_bfe_u32 v63, v49, 16, 1
	v_cmp_u_f32_e64 s2, v66, v66
	v_add3_u32 v64, v67, v50, 0x7fff
	v_bfe_u32 v67, v48, 16, 1
	v_bfe_u32 v71, v44, 16, 1
	v_add3_u32 v63, v63, v49, 0x7fff
	v_cndmask_b32_e64 v62, v62, v65, s2
	v_or_b32_e32 v65, 0x400000, v49
	v_cmp_u_f32_e64 s2, v49, v49
	v_bfe_u32 v72, v43, 16, 1
	v_mul_f32_e32 v41, s19, v41
	v_mul_f32_e32 v40, s19, v40
	;; [unrolled: 1-line block ×3, first 2 shown]
	v_cndmask_b32_e64 v49, v63, v65, s2
	v_add3_u32 v63, v67, v48, 0x7fff
	v_add3_u32 v65, v68, v47, 0x7fff
	v_or_b32_e32 v67, 0x400000, v47
	v_bfe_u32 v68, v46, 16, 1
	v_cmp_u_f32_e64 s2, v47, v47
	v_or_b32_e32 v74, 0x400000, v41
	v_bfe_u32 v75, v40, 16, 1
	v_mul_f32_e32 v38, s19, v38
	v_bfe_u32 v76, v39, 16, 1
	v_cndmask_b32_e64 v47, v65, v67, s2
	v_add3_u32 v65, v68, v46, 0x7fff
	v_add3_u32 v67, v70, v45, 0x7fff
	v_or_b32_e32 v68, 0x400000, v45
	v_cmp_u_f32_e64 s2, v45, v45
	v_mul_f32_e32 v42, s19, v42
	v_add3_u32 v76, v76, v39, 0x7fff
	v_or_b32_e32 v77, 0x400000, v39
	v_or_b32_e32 v78, 0x400000, v38
	v_cndmask_b32_e64 v45, v67, v68, s2
	v_add3_u32 v67, v71, v44, 0x7fff
	v_add3_u32 v68, v72, v43, 0x7fff
	v_or_b32_e32 v71, 0x400000, v43
	v_cmp_u_f32_e64 s2, v43, v43
	v_bfe_u32 v72, v42, 16, 1
	v_or_b32_e32 v73, 0x400000, v44
	v_or_b32_e32 v70, 0x400000, v46
	;; [unrolled: 1-line block ×3, first 2 shown]
	v_cndmask_b32_e64 v43, v68, v71, s2
	v_bfe_u32 v68, v41, 16, 1
	v_cmp_u_f32_e64 s2, v41, v41
	v_add3_u32 v71, v72, v42, 0x7fff
	v_or_b32_e32 v72, 0x400000, v42
	v_or_b32_e32 v66, 0x400000, v50
	v_add3_u32 v68, v68, v41, 0x7fff
	v_cndmask_b32_e64 v41, v68, v74, s2
	v_add3_u32 v74, v75, v40, 0x7fff
	v_or_b32_e32 v75, 0x400000, v40
	v_cmp_u_f32_e64 s2, v40, v40
	v_bfe_u32 v68, v38, 16, 1
	v_and_b32_e32 v41, 0xffff0000, v41
	v_cndmask_b32_e64 v40, v74, v75, s2
	v_cmp_u_f32_e64 s2, v39, v39
	v_add3_u32 v68, v68, v38, 0x7fff
	v_lshlrev_b32_e32 v74, 16, v10
	v_and_b32_e32 v10, 0xffff0000, v10
	v_and_b32_e32 v40, 0xffff0000, v40
	v_cndmask_b32_e64 v39, v76, v77, s2
	v_cmp_u_f32_e64 s2, v38, v38
	v_mul_f32_e32 v10, v10, v41
	v_mul_f32_e32 v40, v74, v40
	v_and_b32_e32 v39, 0xffff0000, v39
	v_cndmask_b32_e64 v38, v68, v78, s2
	v_cmp_u_f32_e64 s2, v42, v42
	v_lshlrev_b32_e32 v68, 16, v9
	v_and_b32_e32 v9, 0xffff0000, v9
	v_lshlrev_b32_e32 v42, 16, v11
	v_and_b32_e32 v38, 0xffff0000, v38
	v_cndmask_b32_e64 v41, v71, v72, s2
	v_cmp_u_f32_e64 s2, v44, v44
	v_and_b32_e32 v11, 0xffff0000, v11
	v_fmac_f32_e32 v10, v9, v39
	v_fmac_f32_e32 v40, v68, v38
	v_and_b32_e32 v9, 0xffff0000, v41
	v_and_b32_e32 v38, 0xffff0000, v43
	v_cndmask_b32_e64 v39, v67, v73, s2
	v_cmp_u_f32_e64 s2, v46, v46
	v_lshlrev_b32_e32 v41, 16, v12
	v_and_b32_e32 v12, 0xffff0000, v12
	v_fmac_f32_e32 v40, v42, v9
	v_fmac_f32_e32 v10, v11, v38
	v_and_b32_e32 v9, 0xffff0000, v39
	v_and_b32_e32 v11, 0xffff0000, v45
	v_cndmask_b32_e64 v38, v65, v70, s2
	v_cmp_u_f32_e64 s2, v48, v48
	v_lshlrev_b32_e32 v39, 16, v5
	;; [unrolled: 8-line block ×3, first 2 shown]
	v_and_b32_e32 v6, 0xffff0000, v6
	v_fmac_f32_e32 v40, v39, v9
	v_fmac_f32_e32 v10, v5, v11
	v_and_b32_e32 v5, 0xffff0000, v12
	v_and_b32_e32 v9, 0xffff0000, v49
	v_cndmask_b32_e64 v11, v64, v66, s2
	v_lshlrev_b32_e32 v12, 16, v7
	v_and_b32_e32 v7, 0xffff0000, v7
	v_fmac_f32_e32 v40, v38, v5
	v_fmac_f32_e32 v10, v6, v9
	v_and_b32_e32 v5, 0xffff0000, v11
	v_and_b32_e32 v6, 0xffff0000, v62
	v_lshlrev_b32_e32 v9, 16, v8
	v_and_b32_e32 v8, 0xffff0000, v8
	v_lshlrev_b32_e32 v11, 16, v1
	v_fmac_f32_e32 v40, v12, v5
	v_fmac_f32_e32 v10, v7, v6
	v_and_b32_e32 v5, 0xffff0000, v52
	v_and_b32_e32 v6, 0xffff0000, v61
	;; [unrolled: 1-line block ×3, first 2 shown]
	v_lshlrev_b32_e32 v7, 16, v2
	v_and_b32_e32 v2, 0xffff0000, v2
	v_fmac_f32_e32 v40, v9, v5
	v_fmac_f32_e32 v10, v8, v6
	v_and_b32_e32 v5, 0xffff0000, v51
	v_and_b32_e32 v6, 0xffff0000, v54
	v_lshlrev_b32_e32 v12, 16, v3
	v_and_b32_e32 v3, 0xffff0000, v3
	v_lshlrev_b32_e32 v8, 16, v4
	v_fmac_f32_e32 v40, v11, v5
	v_fmac_f32_e32 v10, v1, v6
	v_and_b32_e32 v1, 0xffff0000, v53
	v_and_b32_e32 v5, 0xffff0000, v56
	v_mul_f32_e32 v11, s19, v21
	v_and_b32_e32 v4, 0xffff0000, v4
	v_lshlrev_b32_e32 v9, 16, v19
	v_fmac_f32_e32 v40, v7, v1
	v_fmac_f32_e32 v10, v2, v5
	v_and_b32_e32 v1, 0xffff0000, v55
	v_and_b32_e32 v2, 0xffff0000, v58
	v_bfe_u32 v7, v11, 16, 1
	v_cmp_u_f32_e64 s2, v11, v11
	v_xor_b32_e32 v5, 2, v25
	v_fmac_f32_e32 v40, v12, v1
	v_fmac_f32_e32 v10, v3, v2
	v_and_b32_e32 v1, 0xffff0000, v57
	v_and_b32_e32 v2, 0xffff0000, v60
	v_add3_u32 v3, v7, v11, 0x7fff
	v_or_b32_e32 v7, 0x400000, v11
	v_and_b32_e32 v12, 0xffff0000, v19
	v_fmac_f32_e32 v40, v8, v1
	v_fmac_f32_e32 v10, v4, v2
	v_and_b32_e32 v1, 0xffff0000, v59
	v_and_b32_e32 v2, 0xffff0000, v22
	v_cndmask_b32_e64 v3, v3, v7, s2
	v_lshlrev_b32_e32 v6, 16, v20
	v_and_b32_e32 v4, 0xffff0000, v20
	v_fmac_f32_e32 v40, v9, v1
	v_fmac_f32_e32 v10, v12, v2
	v_and_b32_e32 v1, 0xffff0000, v13
	v_and_b32_e32 v2, 0xffff0000, v3
	v_cmp_gt_i32_e64 s2, 32, v5
	v_fmac_f32_e32 v40, v6, v1
	v_fmac_f32_e32 v10, v4, v2
	v_cndmask_b32_e64 v3, v25, v5, s2
	v_add_f32_e32 v2, v40, v10
	v_lshlrev_b32_e32 v1, 2, v3
	v_xor_b32_e32 v3, 1, v25
	ds_bpermute_b32 v1, v1, v2
	v_cmp_gt_i32_e64 s2, 32, v3
	v_cndmask_b32_e64 v3, v25, v3, s2
	v_lshlrev_b32_e32 v3, 2, v3
	s_waitcnt lgkmcnt(0)
	v_add_f32_e32 v1, v2, v1
	ds_bpermute_b32 v2, v3, v1
	s_and_saveexec_b32 s19, vcc_lo
	s_cbranch_execz .LBB308_10
; %bb.242:                              ;   in Loop: Header=BB308_12 Depth=1
	v_add_nc_u32_e32 v3, v34, v29
	s_waitcnt lgkmcnt(0)
	v_add_f32_e32 v1, v1, v2
	v_cvt_f32_i32_e32 v3, v3
	v_mul_f32_e32 v3, s24, v3
	v_cndmask_b32_e64 v2, 0, v3, s1
	v_max_f32_e32 v3, v27, v27
	v_fmac_f32_e32 v2, s23, v1
	v_add_nc_u32_e32 v1, v26, v29
	v_max_f32_e32 v3, v3, v2
	v_cmp_gt_i32_e64 s2, s35, v1
	v_cndmask_b32_e64 v1, 0, v2, s2
	v_cndmask_b32_e64 v27, v27, v3, s2
	ds_write_b32 v35, v1
	s_branch .LBB308_10
.LBB308_243:
	s_or_b32 exec_lo, exec_lo, s15
.LBB308_244:
	s_or_b32 exec_lo, exec_lo, s14
	v_xor_b32_e32 v1, 16, v25
	v_xor_b32_e32 v3, 8, v25
	v_max_f32_e32 v4, v27, v27
	v_and_b32_e32 v21, 31, v0
	v_cmp_gt_i32_e32 vcc_lo, 32, v1
	v_cndmask_b32_e32 v1, v25, v1, vcc_lo
	v_cmp_gt_i32_e32 vcc_lo, 32, v3
	v_lshlrev_b32_e32 v1, 2, v1
	v_cndmask_b32_e32 v3, v25, v3, vcc_lo
	s_waitcnt lgkmcnt(0)
	ds_bpermute_b32 v2, v1, v27
	s_waitcnt lgkmcnt(0)
	v_max_f32_e32 v5, v2, v2
	v_lshlrev_b32_e32 v2, 2, v3
	v_max_f32_e32 v3, v4, v5
	v_xor_b32_e32 v5, 4, v25
	ds_bpermute_b32 v4, v2, v3
	v_cmp_gt_i32_e32 vcc_lo, 32, v5
	v_cndmask_b32_e32 v5, v25, v5, vcc_lo
	v_cmp_eq_u32_e32 vcc_lo, 0, v21
	v_lshlrev_b32_e32 v5, 2, v5
	s_waitcnt lgkmcnt(0)
	v_max_f32_e32 v4, v4, v4
	v_max_f32_e32 v4, v3, v4
	v_lshlrev_b32_e32 v3, 2, v23
	ds_bpermute_b32 v6, v5, v4
	s_and_saveexec_b32 s1, vcc_lo
	s_cbranch_execz .LBB308_246
; %bb.245:
	s_waitcnt lgkmcnt(0)
	v_max_f32_e32 v6, v6, v6
	v_max_f32_e32 v4, v4, v4
	;; [unrolled: 1-line block ×3, first 2 shown]
	ds_write_b32 v3, v4 offset:224
.LBB308_246:
	s_or_b32 exec_lo, exec_lo, s1
	v_cmp_gt_u32_e64 s1, 4, v21
	v_mov_b32_e32 v7, 0xff7fffff
	v_lshlrev_b32_e32 v4, 2, v21
	s_waitcnt lgkmcnt(0)
	s_barrier
	buffer_gl0_inv
	s_and_saveexec_b32 s2, s1
; %bb.247:
	ds_read_b32 v7, v4 offset:224
; %bb.248:
	s_or_b32 exec_lo, exec_lo, s2
	v_xor_b32_e32 v6, 2, v25
	v_xor_b32_e32 v9, 1, v25
	s_waitcnt lgkmcnt(0)
	v_max_f32_e32 v10, v7, v7
	v_lshl_add_u32 v22, v0, 2, 0x100
	v_cmp_gt_i32_e64 s2, 32, v6
	v_cndmask_b32_e64 v6, v25, v6, s2
	v_cmp_gt_i32_e64 s2, 32, v9
	v_lshlrev_b32_e32 v6, 2, v6
	ds_bpermute_b32 v8, v6, v7
	v_cndmask_b32_e64 v7, v25, v9, s2
	s_lshl_b32 s2, s45, 3
	s_min_i32 s4, s2, s35
	v_lshlrev_b32_e32 v7, 2, v7
	v_cmp_gt_i32_e64 s2, s4, v0
	s_waitcnt lgkmcnt(0)
	v_max_f32_e32 v8, v8, v8
	v_max_f32_e32 v8, v10, v8
	ds_bpermute_b32 v9, v7, v8
	s_waitcnt lgkmcnt(0)
	v_max_f32_e32 v9, v9, v9
	v_max_f32_e32 v9, v8, v9
	v_mov_b32_e32 v8, 0
	ds_bpermute_b32 v9, v8, v9
	s_and_saveexec_b32 s5, s2
	s_cbranch_execz .LBB308_252
; %bb.249:
	v_lshl_add_u32 v10, v0, 2, 0x100
	v_mov_b32_e32 v8, 0
	v_mov_b32_e32 v11, v0
	s_mov_b32 s14, 0
	.p2align	6
.LBB308_250:                            ; =>This Inner Loop Header: Depth=1
	ds_read_b32 v12, v10
	v_add_nc_u32_e32 v11, 0x80, v11
	v_cmp_le_i32_e64 s3, s4, v11
	s_or_b32 s14, s3, s14
	s_waitcnt lgkmcnt(0)
	v_sub_f32_e32 v12, v12, v9
	v_mul_f32_e32 v12, 0x3fb8aa3b, v12
	v_exp_f32_e32 v12, v12
	ds_write_b32 v10, v12
	v_add_f32_e32 v8, v8, v12
	v_add_nc_u32_e32 v10, 0x200, v10
	s_andn2_b32 exec_lo, exec_lo, s14
	s_cbranch_execnz .LBB308_250
; %bb.251:
	s_or_b32 exec_lo, exec_lo, s14
.LBB308_252:
	s_or_b32 exec_lo, exec_lo, s5
	ds_bpermute_b32 v1, v1, v8
	s_waitcnt lgkmcnt(0)
	v_add_f32_e32 v1, v8, v1
	ds_bpermute_b32 v2, v2, v1
	s_waitcnt lgkmcnt(0)
	v_add_f32_e32 v1, v1, v2
	ds_bpermute_b32 v2, v5, v1
	s_waitcnt lgkmcnt(0)
	v_add_f32_e32 v1, v1, v2
	ds_bpermute_b32 v2, v6, v1
	s_waitcnt lgkmcnt(0)
	v_add_f32_e32 v1, v1, v2
	ds_bpermute_b32 v2, v7, v1
	s_waitcnt lgkmcnt(0)
	v_add_f32_e32 v1, v1, v2
	s_and_saveexec_b32 s3, vcc_lo
; %bb.253:
	ds_write_b32 v3, v1 offset:240
; %bb.254:
	s_or_b32 exec_lo, exec_lo, s3
	s_waitcnt lgkmcnt(0)
	s_barrier
	buffer_gl0_inv
	s_and_saveexec_b32 s3, s1
; %bb.255:
	ds_read_b32 v1, v4 offset:240
; %bb.256:
	s_or_b32 exec_lo, exec_lo, s3
	s_waitcnt lgkmcnt(0)
	ds_bpermute_b32 v2, v6, v1
	s_waitcnt lgkmcnt(0)
	v_add_f32_e32 v1, v1, v2
	ds_bpermute_b32 v2, v7, v1
	s_waitcnt lgkmcnt(0)
	v_add_f32_e32 v1, v1, v2
	v_mov_b32_e32 v2, 0
	ds_bpermute_b32 v1, v2, v1
	s_and_saveexec_b32 s1, s2
	s_cbranch_execz .LBB308_259
; %bb.257:
	s_waitcnt lgkmcnt(0)
	v_add_f32_e32 v2, 0x358637bd, v1
	s_mov_b32 s2, 0
	v_div_scale_f32 v1, null, v2, v2, 1.0
	v_div_scale_f32 v5, vcc_lo, 1.0, v2, 1.0
	v_rcp_f32_e32 v3, v1
	v_fma_f32 v4, -v1, v3, 1.0
	v_fmac_f32_e32 v3, v4, v3
	v_mul_f32_e32 v4, v5, v3
	v_fma_f32 v6, -v1, v4, v5
	v_fmac_f32_e32 v4, v6, v3
	v_fma_f32 v1, -v1, v4, v5
	v_div_fmas_f32 v3, v1, v3, v4
	v_mov_b32_e32 v1, v22
	v_div_fixup_f32 v2, v3, v2, 1.0
	v_mov_b32_e32 v3, v0
.LBB308_258:                            ; =>This Inner Loop Header: Depth=1
	ds_read_b32 v4, v1
	v_add_nc_u32_e32 v3, 0x80, v3
	v_cmp_le_i32_e32 vcc_lo, s4, v3
	s_or_b32 s2, vcc_lo, s2
	s_waitcnt lgkmcnt(0)
	v_mul_f32_e32 v4, v2, v4
	ds_write_b32 v1, v4
	v_add_nc_u32_e32 v1, 0x200, v1
	s_andn2_b32 exec_lo, exec_lo, s2
	s_cbranch_execnz .LBB308_258
.LBB308_259:
	s_or_b32 exec_lo, exec_lo, s1
	v_mov_b32_e32 v28, 0
	v_mov_b32_e32 v27, 0
	v_mov_b32_e32 v26, 0
	v_mov_b32_e32 v25, 0
	s_waitcnt lgkmcnt(0)
	s_barrier
	buffer_gl0_inv
	s_and_saveexec_b32 s46, s0
	s_cbranch_execz .LBB308_515
; %bb.260:
	s_sub_i32 s47, s12, s17
	s_ashr_i32 s0, s9, 31
	s_add_u32 s28, s20, s9
	s_addc_u32 s29, s21, s0
	s_abs_i32 s48, s18
	v_and_b32_e32 v3, 0x7c, v30
	v_cvt_f32_u32_e32 v1, s48
	s_sub_i32 s0, 0, s48
	v_or_b32_e32 v2, 0x60, v21
	s_add_i32 s50, s45, -1
	v_lshlrev_b32_e32 v29, 3, v21
	v_rcp_iflag_f32_e32 v1, v1
	v_mov_b32_e32 v10, 0
	v_lshl_add_u32 v30, v23, 5, 0x100
	v_mov_b32_e32 v31, 0x80
	v_mov_b32_e32 v32, 0xffff
	;; [unrolled: 1-line block ×7, first 2 shown]
	v_mul_f32_e32 v1, 0x4f7ffffe, v1
	v_mov_b32_e32 v27, 0
	v_mov_b32_e32 v28, 0
	v_lshlrev_b32_e32 v36, 3, v2
	v_mov_b32_e32 v38, v23
	v_cvt_u32_f32_e32 v1, v1
	s_mov_b32 s40, -1
	s_mov_b32 s49, s13
	s_mov_b32 s41, 0xffffff
	;; [unrolled: 1-line block ×3, first 2 shown]
	v_mul_lo_u32 v4, s0, v1
	s_lshl_b64 s[0:1], s[6:7], 2
	v_cmp_gt_u32_e32 vcc_lo, 0x70, v2
	s_add_u32 s0, s10, s0
	s_addc_u32 s1, s11, s1
	v_add_co_u32 v11, s0, s0, v3
	v_add_co_ci_u32_e64 v12, null, s1, 0, s0
	v_mul_hi_u32 v4, v1, v4
	v_add_nc_u32_e32 v37, v1, v4
	s_branch .LBB308_264
.LBB308_261:                            ;   in Loop: Header=BB308_264 Depth=1
	s_or_b32 exec_lo, exec_lo, s26
	v_perm_b32 v43, v56, v55, 0x7060302
	v_perm_b32 v55, v58, v57, 0x7060302
	v_lshlrev_b32_e32 v42, 16, v42
	v_lshlrev_b32_e32 v14, 16, v14
	v_perm_b32 v56, v60, v59, 0x7060302
	v_and_b32_e32 v58, 0xffff0000, v43
	v_lshlrev_b32_e32 v43, 16, v43
	v_lshlrev_b32_e32 v9, 16, v9
	;; [unrolled: 1-line block ×3, first 2 shown]
	v_perm_b32 v57, v62, v61, 0x7060302
	v_mul_f32_e32 v42, v58, v42
	v_and_b32_e32 v58, 0xffff0000, v55
	v_lshlrev_b32_e32 v55, 16, v55
	v_mul_f32_e32 v14, v43, v14
	v_and_b32_e32 v43, 0xffff0000, v56
	v_bfe_u32 v59, v42, 16, 1
	v_mul_f32_e32 v9, v58, v9
	v_mul_f32_e32 v13, v55, v13
	v_bfe_u32 v55, v14, 16, 1
	v_or_b32_e32 v58, 0x400000, v42
	v_add3_u32 v59, v59, v42, 0x7fff
	v_cmp_u_f32_e64 s0, v42, v42
	v_or_b32_e32 v60, 0x400000, v14
	v_bfe_u32 v61, v9, 16, 1
	v_add3_u32 v55, v55, v14, 0x7fff
	v_lshlrev_b32_e32 v2, 16, v2
	v_cndmask_b32_e64 v42, v59, v58, s0
	v_cmp_u_f32_e64 s0, v14, v14
	v_or_b32_e32 v58, 0x400000, v9
	v_bfe_u32 v59, v13, 16, 1
	v_mul_f32_e32 v2, v43, v2
	v_lshlrev_b32_e32 v43, 16, v56
	v_cndmask_b32_e64 v14, v55, v60, s0
	v_add3_u32 v55, v61, v9, 0x7fff
	v_lshlrev_b32_e32 v1, 16, v1
	v_cmp_u_f32_e64 s0, v9, v9
	v_or_b32_e32 v56, 0x400000, v13
	v_lshlrev_b32_e32 v4, 16, v4
	v_lshlrev_b32_e32 v3, 16, v3
	v_mul_f32_e32 v1, v43, v1
	v_cndmask_b32_e64 v9, v55, v58, s0
	v_add3_u32 v55, v59, v13, 0x7fff
	v_bfe_u32 v58, v2, 16, 1
	v_and_b32_e32 v43, 0xffff0000, v57
	v_lshlrev_b32_e32 v57, 16, v57
	v_cmp_u_f32_e64 s0, v13, v13
	v_and_b32_e32 v14, 0xffff0000, v14
	v_and_b32_e32 v42, 0xffff0000, v42
	v_mul_f32_e32 v4, v43, v4
	v_mul_f32_e32 v3, v57, v3
	v_cndmask_b32_e64 v13, v55, v56, s0
	v_bfe_u32 v55, v1, 16, 1
	v_add3_u32 v56, v58, v2, 0x7fff
	v_or_b32_e32 v43, 0x400000, v2
	v_cmp_u_f32_e64 s0, v2, v2
	v_or_b32_e32 v57, 0x400000, v1
	v_add3_u32 v55, v55, v1, 0x7fff
	v_bfe_u32 v59, v3, 16, 1
	v_bfe_u32 v58, v4, 16, 1
	v_cndmask_b32_e64 v2, v56, v43, s0
	v_cmp_u_f32_e64 s0, v1, v1
	v_or_b32_e32 v56, 0x400000, v3
	v_and_b32_e32 v13, 0xffff0000, v13
	v_add3_u32 v43, v58, v4, 0x7fff
	v_and_b32_e32 v9, 0xffff0000, v9
	v_cndmask_b32_e64 v1, v55, v57, s0
	v_add3_u32 v55, v59, v3, 0x7fff
	v_cmp_u_f32_e64 s0, v3, v3
	v_or_b32_e32 v57, 0x400000, v4
	v_add_f32_e32 v14, v14, v42
	v_add_f32_e32 v9, v13, v9
	v_and_b32_e32 v1, 0xffff0000, v1
	v_cndmask_b32_e64 v3, v55, v56, s0
	v_cmp_u_f32_e64 s0, v4, v4
	v_and_b32_e32 v2, 0xffff0000, v2
	v_add_f32_e32 v9, v9, v14
	v_cndmask_b32_e64 v4, v43, v57, s0
	v_add_f32_e32 v1, v1, v2
	v_and_b32_e32 v2, 0xffff0000, v3
	v_and_b32_e32 v3, 0xffff0000, v4
	v_add_f32_e32 v1, v1, v9
	v_add_f32_e32 v2, v2, v3
	;; [unrolled: 1-line block ×4, first 2 shown]
.LBB308_262:                            ;   in Loop: Header=BB308_264 Depth=1
	s_or_b32 exec_lo, exec_lo, s54
	v_bfe_u32 v1, v52, 16, 1
	v_or_b32_e32 v2, 0x400000, v52
	v_bfe_u32 v3, v51, 16, 1
	v_bfe_u32 v9, v50, 16, 1
	;; [unrolled: 1-line block ×3, first 2 shown]
	v_add3_u32 v1, v1, v52, 0x7fff
	v_bfe_u32 v14, v54, 16, 1
	v_or_b32_e32 v4, 0x400000, v51
	v_add3_u32 v3, v3, v51, 0x7fff
	v_add3_u32 v9, v9, v50, 0x7fff
	v_cndmask_b32_e64 v1, v1, v2, s24
	v_or_b32_e32 v2, 0x400000, v50
	v_add3_u32 v13, v13, v49, 0x7fff
	v_or_b32_e32 v42, 0x400000, v49
	v_add3_u32 v14, v14, v54, 0x7fff
	v_or_b32_e32 v43, 0x400000, v54
	v_bfe_u32 v49, v53, 16, 1
	v_cndmask_b32_e64 v3, v3, v4, s20
	v_cndmask_b32_e64 v2, v9, v2, s21
	;; [unrolled: 1-line block ×4, first 2 shown]
	v_add3_u32 v13, v49, v53, 0x7fff
	v_or_b32_e32 v14, 0x400000, v53
	v_bfe_u32 v42, v48, 16, 1
	v_and_b32_e32 v3, 0xffff0000, v3
	v_and_b32_e32 v1, 0xffff0000, v1
	;; [unrolled: 1-line block ×4, first 2 shown]
	v_cndmask_b32_e64 v13, v13, v14, s23
	v_add3_u32 v42, v42, v48, 0x7fff
	v_add_f32_e32 v1, v3, v1
	v_bfe_u32 v14, v47, 16, 1
	v_add_f32_e32 v2, v4, v2
	v_and_b32_e32 v3, 0xffff0000, v13
	v_and_b32_e32 v4, 0xffff0000, v9
	v_or_b32_e32 v9, 0x400000, v48
	v_add3_u32 v13, v14, v47, 0x7fff
	v_add_f32_e32 v1, v2, v1
	v_or_b32_e32 v14, 0x400000, v47
	v_add_f32_e32 v2, v3, v4
	v_cndmask_b32_e64 v3, v42, v9, s19
	v_bfe_u32 v4, v46, 16, 1
	v_bfe_u32 v42, v44, 16, 1
	v_cndmask_b32_e64 v9, v13, v14, s17
	v_add_f32_e32 v1, v2, v1
	v_and_b32_e32 v2, 0xffff0000, v3
	v_add3_u32 v3, v4, v46, 0x7fff
	v_or_b32_e32 v4, 0x400000, v46
	v_bfe_u32 v13, v45, 16, 1
	v_or_b32_e32 v14, 0x400000, v45
	v_add3_u32 v42, v42, v44, 0x7fff
	v_or_b32_e32 v43, 0x400000, v44
	v_cndmask_b32_e64 v3, v3, v4, s15
	v_bfe_u32 v4, v41, 16, 1
	v_add3_u32 v13, v13, v45, 0x7fff
	v_bfe_u32 v44, v19, 16, 1
	v_cndmask_b32_e64 v42, v42, v43, s16
	v_and_b32_e32 v3, 0xffff0000, v3
	v_add3_u32 v4, v4, v41, 0x7fff
	v_or_b32_e32 v41, 0x400000, v41
	v_cndmask_b32_e64 v13, v13, v14, s18
	v_bfe_u32 v14, v40, 16, 1
	v_and_b32_e32 v42, 0xffff0000, v42
	v_bfe_u32 v43, v39, 16, 1
	v_cndmask_b32_e64 v4, v4, v41, s13
	v_and_b32_e32 v13, 0xffff0000, v13
	v_add3_u32 v14, v14, v40, 0x7fff
	v_or_b32_e32 v40, 0x400000, v40
	v_add3_u32 v41, v43, v39, 0x7fff
	v_and_b32_e32 v4, 0xffff0000, v4
	v_add_f32_e32 v3, v13, v3
	v_or_b32_e32 v39, 0x400000, v39
	v_cndmask_b32_e64 v14, v14, v40, s14
	v_add3_u32 v40, v44, v19, 0x7fff
	v_or_b32_e32 v19, 0x400000, v19
	v_add_f32_e32 v4, v4, v42
	v_bfe_u32 v43, v20, 16, 1
	v_and_b32_e32 v14, 0xffff0000, v14
	v_and_b32_e32 v9, 0xffff0000, v9
	v_cndmask_b32_e64 v13, v40, v19, s10
	v_add_f32_e32 v3, v4, v3
	v_bfe_u32 v4, v17, 16, 1
	v_cndmask_b32_e64 v19, v41, v39, s11
	v_bfe_u32 v39, v18, 16, 1
	v_and_b32_e32 v13, 0xffff0000, v13
	v_bfe_u32 v40, v8, 16, 1
	v_add3_u32 v4, v4, v17, 0x7fff
	v_or_b32_e32 v17, 0x400000, v17
	v_add3_u32 v39, v39, v18, 0x7fff
	v_or_b32_e32 v18, 0x400000, v18
	v_add_f32_e32 v13, v13, v14
	v_bfe_u32 v14, v7, 16, 1
	v_cndmask_b32_e64 v4, v4, v17, s9
	v_bfe_u32 v17, v16, 16, 1
	v_cndmask_b32_e64 v18, v39, v18, s7
	v_bfe_u32 v39, v15, 16, 1
	v_add3_u32 v14, v14, v7, 0x7fff
	v_or_b32_e32 v7, 0x400000, v7
	v_add3_u32 v17, v17, v16, 0x7fff
	v_or_b32_e32 v16, 0x400000, v16
	;; [unrolled: 2-line block ×4, first 2 shown]
	v_bfe_u32 v41, v6, 16, 1
	v_cndmask_b32_e64 v7, v14, v7, s3
	v_cndmask_b32_e64 v14, v17, v16, s4
	v_bfe_u32 v17, v5, 16, 1
	v_add3_u32 v43, v43, v20, 0x7fff
	v_or_b32_e32 v20, 0x400000, v20
	v_cndmask_b32_e64 v15, v39, v15, s5
	v_cndmask_b32_e64 v8, v40, v8, s6
	v_add3_u32 v16, v41, v6, 0x7fff
	v_and_b32_e32 v4, 0xffff0000, v4
	v_and_b32_e32 v18, 0xffff0000, v18
	;; [unrolled: 1-line block ×4, first 2 shown]
	v_or_b32_e32 v6, 0x400000, v6
	v_add3_u32 v17, v17, v5, 0x7fff
	v_or_b32_e32 v5, 0x400000, v5
	v_cndmask_b32_e64 v20, v43, v20, s12
	v_add_f32_e32 v4, v4, v18
	v_add_f32_e32 v7, v14, v7
	v_and_b32_e32 v8, 0xffff0000, v8
	v_and_b32_e32 v14, 0xffff0000, v15
	v_cndmask_b32_e64 v5, v17, v5, s2
	v_cndmask_b32_e64 v6, v16, v6, s1
	v_and_b32_e32 v20, 0xffff0000, v20
	v_and_b32_e32 v15, 0xffff0000, v19
	v_add_f32_e32 v4, v7, v4
	v_add_f32_e32 v7, v8, v14
	v_and_b32_e32 v5, 0xffff0000, v5
	v_and_b32_e32 v6, 0xffff0000, v6
	v_add_f32_e32 v2, v2, v9
	v_add_f32_e32 v3, v13, v3
	;; [unrolled: 1-line block ×11, first 2 shown]
.LBB308_263:                            ;   in Loop: Header=BB308_264 Depth=1
	s_or_b32 exec_lo, exec_lo, s52
	v_add_nc_u32_e32 v38, 4, v38
	v_add_co_u32 v11, s1, v11, 16
	v_add_co_ci_u32_e64 v12, null, 0, v12, s1
	v_cmp_le_i32_e64 s0, s45, v38
	v_add_nc_u32_e32 v24, 32, v24
	v_add_nc_u32_e32 v30, 0x80, v30
	s_or_b32 s51, s0, s51
	s_andn2_b32 exec_lo, exec_lo, s51
	s_cbranch_execz .LBB308_514
.LBB308_264:                            ; =>This Inner Loop Header: Depth=1
	v_mul_hi_u32 v1, v24, s42
	v_mul_lo_u32 v2, v1, s37
	v_add_nc_u32_e32 v3, 1, v1
	v_sub_nc_u32_e32 v2, v24, v2
	v_subrev_nc_u32_e32 v4, s37, v2
	v_cmp_le_u32_e64 s0, s37, v2
	v_cndmask_b32_e64 v1, v1, v3, s0
	v_cndmask_b32_e64 v2, v2, v4, s0
	v_add_nc_u32_e32 v3, 1, v1
	v_cmp_le_u32_e64 s0, s37, v2
	v_cndmask_b32_e64 v1, v1, v3, s0
	v_xor_b32_e32 v1, s44, v1
	v_subrev_nc_u32_e32 v1, s44, v1
	v_add_nc_u32_e32 v2, s43, v1
	v_cmp_lt_i32_e64 s1, s47, v1
	v_sub_nc_u32_e32 v3, 0, v2
	v_max_i32_e32 v3, v2, v3
	v_ashrrev_i32_e32 v2, 31, v2
	v_mul_hi_u32 v4, v3, v37
	v_mul_lo_u32 v4, v4, s48
	v_sub_nc_u32_e32 v3, v3, v4
	v_subrev_nc_u32_e32 v4, s48, v3
	v_cmp_le_u32_e64 s0, s48, v3
	v_cndmask_b32_e64 v3, v3, v4, s0
	v_subrev_nc_u32_e32 v4, s48, v3
	v_cmp_le_u32_e64 s0, s48, v3
	v_cndmask_b32_e64 v3, v3, v4, s0
	v_xor_b32_e32 v3, v3, v2
	v_sub_nc_u32_e32 v2, v3, v2
	v_cmp_eq_u32_e64 s0, 0, v2
	s_or_b32 s0, s0, s1
	s_and_saveexec_b32 s52, s0
	s_cbranch_execz .LBB308_263
; %bb.265:                              ;   in Loop: Header=BB308_264 Depth=1
	global_load_dword v1, v[11:12], off
	v_mov_b32_e32 v40, 0
	v_mov_b32_e32 v42, 0
	s_waitcnt vmcnt(0)
	v_mad_i64_i32 v[13:14], null, v1, s49, s[28:29]
	v_add_co_u32 v15, s0, v13, v29
	v_add_co_ci_u32_e64 v16, null, 0, v14, s0
	global_load_dwordx2 v[17:18], v[15:16], off
	ds_read2_b64 v[5:8], v30 offset1:1
	ds_read2_b64 v[1:4], v30 offset0:2 offset1:3
	s_load_dword s53, s[30:31], 0x0
	s_waitcnt vmcnt(0)
	v_cmp_ne_u16_sdwa s0, v17, v10 src0_sel:BYTE_0 src1_sel:DWORD
	s_and_saveexec_b32 s1, s0
	s_cbranch_execz .LBB308_271
; %bb.266:                              ;   in Loop: Header=BB308_264 Depth=1
	v_cmp_ne_u16_sdwa s0, v17, v31 src0_sel:BYTE_0 src1_sel:DWORD
	v_bfrev_b32_e32 v42, 1
	s_and_saveexec_b32 s2, s0
	s_cbranch_execz .LBB308_270
; %bb.267:                              ;   in Loop: Header=BB308_264 Depth=1
	v_and_b32_e32 v9, 0x7f, v17
	v_mov_b32_e32 v42, 0x7f800001
	s_mov_b32 s3, exec_lo
	v_cmpx_ne_u32_e32 0x7f, v9
	s_cbranch_execz .LBB308_269
; %bb.268:                              ;   in Loop: Header=BB308_264 Depth=1
	v_and_b32_e32 v19, 7, v17
	v_lshrrev_b32_e32 v20, 3, v9
	v_cmp_gt_u32_e64 s0, 8, v9
	v_ffbh_u32_e32 v19, v19
	v_min_u32_e32 v19, 32, v19
	v_subrev_nc_u32_e32 v39, 28, v19
	v_sub_nc_u32_e32 v19, 29, v19
	v_cndmask_b32_e64 v9, v20, v19, s0
	v_cndmask_b32_e64 v19, 0, v39, s0
	v_lshl_add_u32 v9, v9, 23, 0x3c000000
	v_lshlrev_b64 v[19:20], v19, v[17:18]
	v_lshlrev_b32_e32 v20, 24, v17
	v_lshlrev_b32_e32 v19, 20, v19
	v_and_b32_e32 v20, 0x80000000, v20
	v_and_b32_e32 v19, 0x700000, v19
	v_or3_b32 v42, v19, v20, v9
.LBB308_269:                            ;   in Loop: Header=BB308_264 Depth=1
	s_or_b32 exec_lo, exec_lo, s3
.LBB308_270:                            ;   in Loop: Header=BB308_264 Depth=1
	s_or_b32 exec_lo, exec_lo, s2
.LBB308_271:                            ;   in Loop: Header=BB308_264 Depth=1
	s_or_b32 exec_lo, exec_lo, s1
	v_cmp_ne_u16_sdwa s0, v17, v10 src0_sel:BYTE_1 src1_sel:DWORD
	s_and_saveexec_b32 s1, s0
	s_cbranch_execz .LBB308_279
; %bb.272:                              ;   in Loop: Header=BB308_264 Depth=1
	v_cmp_ne_u16_sdwa s0, v17, v31 src0_sel:BYTE_1 src1_sel:DWORD
	v_bfrev_b32_e32 v40, 1
	s_and_saveexec_b32 s2, s0
	s_cbranch_execz .LBB308_278
; %bb.273:                              ;   in Loop: Header=BB308_264 Depth=1
	v_and_b32_sdwa v9, v32, v17 dst_sel:DWORD dst_unused:UNUSED_PAD src0_sel:DWORD src1_sel:BYTE_1
	v_mov_b32_e32 v40, 0x7f800001
	s_mov_b32 s3, exec_lo
	v_and_b32_e32 v20, 0x7f, v9
	v_cmpx_ne_u32_e32 0x7f, v20
	s_cbranch_execz .LBB308_277
; %bb.274:                              ;   in Loop: Header=BB308_264 Depth=1
	v_and_b32_e32 v9, 7, v9
	v_lshrrev_b32_e32 v19, 3, v20
	s_mov_b32 s4, exec_lo
	v_cmpx_gt_u32_e32 8, v20
; %bb.275:                              ;   in Loop: Header=BB308_264 Depth=1
	v_ffbh_u32_e32 v19, v9
	v_min_u32_e32 v19, 32, v19
	v_subrev_nc_u32_e32 v20, 28, v19
	v_sub_nc_u32_e32 v19, 29, v19
	v_lshlrev_b64 v[39:40], v20, v[9:10]
	v_and_b32_e32 v9, 7, v39
; %bb.276:                              ;   in Loop: Header=BB308_264 Depth=1
	s_or_b32 exec_lo, exec_lo, s4
	v_lshlrev_b32_e32 v20, 16, v17
	v_lshlrev_b32_e32 v9, 20, v9
	v_lshl_add_u32 v19, v19, 23, 0x3c000000
	v_and_b32_e32 v20, 0x80000000, v20
	v_or3_b32 v40, v9, v20, v19
.LBB308_277:                            ;   in Loop: Header=BB308_264 Depth=1
	s_or_b32 exec_lo, exec_lo, s3
.LBB308_278:                            ;   in Loop: Header=BB308_264 Depth=1
	s_or_b32 exec_lo, exec_lo, s2
.LBB308_279:                            ;   in Loop: Header=BB308_264 Depth=1
	s_or_b32 exec_lo, exec_lo, s1
	v_and_b32_sdwa v9, v17, v33 dst_sel:DWORD dst_unused:UNUSED_PAD src0_sel:WORD_1 src1_sel:DWORD
	v_mov_b32_e32 v41, 0
	v_mov_b32_e32 v39, 0
	s_mov_b32 s1, exec_lo
	v_cmpx_ne_u16_e32 0, v9
	s_cbranch_execz .LBB308_287
; %bb.280:                              ;   in Loop: Header=BB308_264 Depth=1
	v_bfrev_b32_e32 v39, 1
	s_mov_b32 s2, exec_lo
	v_cmpx_ne_u16_e32 0x80, v9
	s_cbranch_execz .LBB308_286
; %bb.281:                              ;   in Loop: Header=BB308_264 Depth=1
	v_bfe_u32 v20, v17, 16, 7
	v_mov_b32_e32 v39, 0x7f800001
	s_mov_b32 s3, exec_lo
	v_cmpx_ne_u32_e32 0x7f, v20
	s_cbranch_execz .LBB308_285
; %bb.282:                              ;   in Loop: Header=BB308_264 Depth=1
	v_and_b32_sdwa v9, v17, v34 dst_sel:DWORD dst_unused:UNUSED_PAD src0_sel:WORD_1 src1_sel:DWORD
	v_lshrrev_b32_e32 v19, 3, v20
	s_mov_b32 s4, exec_lo
	v_cmpx_gt_u32_e32 8, v20
; %bb.283:                              ;   in Loop: Header=BB308_264 Depth=1
	v_ffbh_u32_e32 v19, v9
	v_min_u32_e32 v19, 32, v19
	v_subrev_nc_u32_e32 v20, 28, v19
	v_sub_nc_u32_e32 v19, 29, v19
	v_lshlrev_b64 v[43:44], v20, v[9:10]
	v_and_b32_e32 v9, 7, v43
; %bb.284:                              ;   in Loop: Header=BB308_264 Depth=1
	s_or_b32 exec_lo, exec_lo, s4
	v_lshlrev_b32_sdwa v20, v35, v17 dst_sel:DWORD dst_unused:UNUSED_PAD src0_sel:DWORD src1_sel:WORD_1
	v_lshlrev_b32_e32 v9, 20, v9
	v_lshl_add_u32 v19, v19, 23, 0x3c000000
	v_and_b32_e32 v20, 0x80000000, v20
	v_or3_b32 v39, v9, v20, v19
.LBB308_285:                            ;   in Loop: Header=BB308_264 Depth=1
	s_or_b32 exec_lo, exec_lo, s3
.LBB308_286:                            ;   in Loop: Header=BB308_264 Depth=1
	s_or_b32 exec_lo, exec_lo, s2
.LBB308_287:                            ;   in Loop: Header=BB308_264 Depth=1
	s_or_b32 exec_lo, exec_lo, s1
	s_mov_b32 s1, exec_lo
	v_cmpx_lt_u32_e32 0xffffff, v17
	s_cbranch_execz .LBB308_295
; %bb.288:                              ;   in Loop: Header=BB308_264 Depth=1
	v_cmp_ne_u32_sdwa s0, v17, v31 src0_sel:BYTE_3 src1_sel:DWORD
	v_bfrev_b32_e32 v41, 1
	s_and_saveexec_b32 s2, s0
	s_cbranch_execz .LBB308_294
; %bb.289:                              ;   in Loop: Header=BB308_264 Depth=1
	v_bfe_u32 v20, v17, 24, 7
	v_mov_b32_e32 v41, 0x7f800001
	s_mov_b32 s3, exec_lo
	v_cmpx_ne_u32_e32 0x7f, v20
	s_cbranch_execz .LBB308_293
; %bb.290:                              ;   in Loop: Header=BB308_264 Depth=1
	v_and_b32_sdwa v9, v17, v34 dst_sel:DWORD dst_unused:UNUSED_PAD src0_sel:BYTE_3 src1_sel:DWORD
	v_lshrrev_b32_e32 v19, 3, v20
	s_mov_b32 s4, exec_lo
	v_cmpx_gt_u32_e32 8, v20
; %bb.291:                              ;   in Loop: Header=BB308_264 Depth=1
	v_ffbh_u32_e32 v19, v9
	v_min_u32_e32 v19, 32, v19
	v_subrev_nc_u32_e32 v20, 28, v19
	v_sub_nc_u32_e32 v19, 29, v19
	v_lshlrev_b64 v[43:44], v20, v[9:10]
	v_and_b32_e32 v9, 7, v43
; %bb.292:                              ;   in Loop: Header=BB308_264 Depth=1
	s_or_b32 exec_lo, exec_lo, s4
	v_lshlrev_b32_sdwa v20, v35, v17 dst_sel:DWORD dst_unused:UNUSED_PAD src0_sel:DWORD src1_sel:BYTE_3
	v_lshlrev_b32_e32 v9, 20, v9
	v_lshl_add_u32 v19, v19, 23, 0x3c000000
	v_and_b32_e32 v20, 0x80000000, v20
	v_or3_b32 v41, v9, v20, v19
.LBB308_293:                            ;   in Loop: Header=BB308_264 Depth=1
	s_or_b32 exec_lo, exec_lo, s3
.LBB308_294:                            ;   in Loop: Header=BB308_264 Depth=1
	s_or_b32 exec_lo, exec_lo, s2
.LBB308_295:                            ;   in Loop: Header=BB308_264 Depth=1
	s_or_b32 exec_lo, exec_lo, s1
	v_mov_b32_e32 v9, v18
	v_cmp_ne_u16_sdwa s0, v18, v10 src0_sel:BYTE_0 src1_sel:DWORD
	v_mov_b32_e32 v19, 0
	v_mov_b32_e32 v43, 0
	s_and_saveexec_b32 s1, s0
	s_cbranch_execz .LBB308_301
; %bb.296:                              ;   in Loop: Header=BB308_264 Depth=1
	v_cmp_ne_u16_sdwa s0, v18, v31 src0_sel:BYTE_0 src1_sel:DWORD
	v_bfrev_b32_e32 v43, 1
	s_and_saveexec_b32 s2, s0
	s_cbranch_execz .LBB308_300
; %bb.297:                              ;   in Loop: Header=BB308_264 Depth=1
	v_and_b32_e32 v20, 0x7f, v18
	v_mov_b32_e32 v43, 0x7f800001
	s_mov_b32 s3, exec_lo
	v_cmpx_ne_u32_e32 0x7f, v20
	s_cbranch_execz .LBB308_299
; %bb.298:                              ;   in Loop: Header=BB308_264 Depth=1
	v_and_b32_e32 v43, 7, v18
	v_lshrrev_b32_e32 v44, 3, v20
	v_cmp_gt_u32_e64 s0, 8, v20
	v_ffbh_u32_e32 v43, v43
	v_min_u32_e32 v43, 32, v43
	v_subrev_nc_u32_e32 v45, 28, v43
	v_sub_nc_u32_e32 v43, 29, v43
	v_cndmask_b32_e64 v20, v44, v43, s0
	v_cndmask_b32_e64 v43, 0, v45, s0
	v_lshl_add_u32 v20, v20, 23, 0x3c000000
	v_lshlrev_b64 v[43:44], v43, v[9:10]
	v_lshlrev_b32_e32 v44, 24, v9
	v_lshlrev_b32_e32 v43, 20, v43
	v_and_b32_e32 v44, 0x80000000, v44
	v_and_b32_e32 v43, 0x700000, v43
	v_or3_b32 v43, v43, v44, v20
.LBB308_299:                            ;   in Loop: Header=BB308_264 Depth=1
	s_or_b32 exec_lo, exec_lo, s3
.LBB308_300:                            ;   in Loop: Header=BB308_264 Depth=1
	s_or_b32 exec_lo, exec_lo, s2
.LBB308_301:                            ;   in Loop: Header=BB308_264 Depth=1
	s_or_b32 exec_lo, exec_lo, s1
	v_cmp_ne_u16_sdwa s0, v9, v10 src0_sel:BYTE_1 src1_sel:DWORD
	s_and_saveexec_b32 s1, s0
	s_cbranch_execz .LBB308_309
; %bb.302:                              ;   in Loop: Header=BB308_264 Depth=1
	v_cmp_ne_u16_sdwa s0, v9, v31 src0_sel:BYTE_1 src1_sel:DWORD
	v_bfrev_b32_e32 v19, 1
	s_and_saveexec_b32 s2, s0
	s_cbranch_execz .LBB308_308
; %bb.303:                              ;   in Loop: Header=BB308_264 Depth=1
	v_and_b32_sdwa v20, v32, v9 dst_sel:DWORD dst_unused:UNUSED_PAD src0_sel:DWORD src1_sel:BYTE_1
	v_mov_b32_e32 v19, 0x7f800001
	s_mov_b32 s3, exec_lo
	v_and_b32_e32 v45, 0x7f, v20
	v_cmpx_ne_u32_e32 0x7f, v45
	s_cbranch_execz .LBB308_307
; %bb.304:                              ;   in Loop: Header=BB308_264 Depth=1
	v_and_b32_e32 v19, 7, v20
	v_mov_b32_e32 v20, v10
	v_lshrrev_b32_e32 v44, 3, v45
	s_mov_b32 s4, exec_lo
	v_cmpx_gt_u32_e32 8, v45
; %bb.305:                              ;   in Loop: Header=BB308_264 Depth=1
	v_ffbh_u32_e32 v44, v19
	v_min_u32_e32 v44, 32, v44
	v_subrev_nc_u32_e32 v45, 28, v44
	v_sub_nc_u32_e32 v44, 29, v44
	v_lshlrev_b64 v[19:20], v45, v[19:20]
	v_and_b32_e32 v19, 7, v19
; %bb.306:                              ;   in Loop: Header=BB308_264 Depth=1
	s_or_b32 exec_lo, exec_lo, s4
	v_lshlrev_b32_e32 v9, 16, v9
	v_lshlrev_b32_e32 v19, 20, v19
	v_lshl_add_u32 v20, v44, 23, 0x3c000000
	v_and_b32_e32 v9, 0x80000000, v9
	v_or3_b32 v19, v19, v9, v20
.LBB308_307:                            ;   in Loop: Header=BB308_264 Depth=1
	s_or_b32 exec_lo, exec_lo, s3
.LBB308_308:                            ;   in Loop: Header=BB308_264 Depth=1
	s_or_b32 exec_lo, exec_lo, s2
.LBB308_309:                            ;   in Loop: Header=BB308_264 Depth=1
	s_or_b32 exec_lo, exec_lo, s1
	v_and_b32_sdwa v9, v18, v33 dst_sel:DWORD dst_unused:UNUSED_PAD src0_sel:WORD_1 src1_sel:DWORD
	v_mov_b32_e32 v20, 0
	v_mov_b32_e32 v44, 0
	s_mov_b32 s1, exec_lo
	v_cmpx_ne_u16_e32 0, v9
	s_cbranch_execz .LBB308_317
; %bb.310:                              ;   in Loop: Header=BB308_264 Depth=1
	v_bfrev_b32_e32 v44, 1
	s_mov_b32 s2, exec_lo
	v_cmpx_ne_u16_e32 0x80, v9
	s_cbranch_execz .LBB308_316
; %bb.311:                              ;   in Loop: Header=BB308_264 Depth=1
	v_bfe_u32 v45, v18, 16, 7
	v_mov_b32_e32 v44, 0x7f800001
	s_mov_b32 s3, exec_lo
	v_cmpx_ne_u32_e32 0x7f, v45
	s_cbranch_execz .LBB308_315
; %bb.312:                              ;   in Loop: Header=BB308_264 Depth=1
	v_and_b32_sdwa v9, v18, v34 dst_sel:DWORD dst_unused:UNUSED_PAD src0_sel:WORD_1 src1_sel:DWORD
	v_lshrrev_b32_e32 v44, 3, v45
	s_mov_b32 s4, exec_lo
	v_cmpx_gt_u32_e32 8, v45
; %bb.313:                              ;   in Loop: Header=BB308_264 Depth=1
	v_ffbh_u32_e32 v44, v9
	v_min_u32_e32 v44, 32, v44
	v_subrev_nc_u32_e32 v45, 28, v44
	v_sub_nc_u32_e32 v44, 29, v44
	v_lshlrev_b64 v[45:46], v45, v[9:10]
	v_and_b32_e32 v9, 7, v45
; %bb.314:                              ;   in Loop: Header=BB308_264 Depth=1
	s_or_b32 exec_lo, exec_lo, s4
	v_lshlrev_b32_sdwa v45, v35, v18 dst_sel:DWORD dst_unused:UNUSED_PAD src0_sel:DWORD src1_sel:WORD_1
	v_lshlrev_b32_e32 v9, 20, v9
	v_lshl_add_u32 v44, v44, 23, 0x3c000000
	v_and_b32_e32 v45, 0x80000000, v45
	v_or3_b32 v44, v9, v45, v44
.LBB308_315:                            ;   in Loop: Header=BB308_264 Depth=1
	s_or_b32 exec_lo, exec_lo, s3
.LBB308_316:                            ;   in Loop: Header=BB308_264 Depth=1
	s_or_b32 exec_lo, exec_lo, s2
.LBB308_317:                            ;   in Loop: Header=BB308_264 Depth=1
	s_or_b32 exec_lo, exec_lo, s1
	s_mov_b32 s1, exec_lo
	v_cmpx_lt_u64_e64 s[40:41], v[17:18]
	s_cbranch_execz .LBB308_325
; %bb.318:                              ;   in Loop: Header=BB308_264 Depth=1
	v_cmp_ne_u32_sdwa s0, v18, v31 src0_sel:BYTE_3 src1_sel:DWORD
	v_bfrev_b32_e32 v20, 1
	s_and_saveexec_b32 s2, s0
	s_cbranch_execz .LBB308_324
; %bb.319:                              ;   in Loop: Header=BB308_264 Depth=1
	v_bfe_u32 v45, v18, 24, 7
	v_mov_b32_e32 v20, 0x7f800001
	s_mov_b32 s3, exec_lo
	v_cmpx_ne_u32_e32 0x7f, v45
	s_cbranch_execz .LBB308_323
; %bb.320:                              ;   in Loop: Header=BB308_264 Depth=1
	v_and_b32_sdwa v9, v18, v34 dst_sel:DWORD dst_unused:UNUSED_PAD src0_sel:BYTE_3 src1_sel:DWORD
	v_lshrrev_b32_e32 v17, 3, v45
	s_mov_b32 s4, exec_lo
	v_cmpx_gt_u32_e32 8, v45
; %bb.321:                              ;   in Loop: Header=BB308_264 Depth=1
	v_ffbh_u32_e32 v17, v9
	v_min_u32_e32 v17, 32, v17
	v_subrev_nc_u32_e32 v20, 28, v17
	v_sub_nc_u32_e32 v17, 29, v17
	v_lshlrev_b64 v[45:46], v20, v[9:10]
	v_and_b32_e32 v9, 7, v45
; %bb.322:                              ;   in Loop: Header=BB308_264 Depth=1
	s_or_b32 exec_lo, exec_lo, s4
	v_lshlrev_b32_sdwa v18, v35, v18 dst_sel:DWORD dst_unused:UNUSED_PAD src0_sel:DWORD src1_sel:BYTE_3
	v_lshlrev_b32_e32 v9, 20, v9
	v_lshl_add_u32 v17, v17, 23, 0x3c000000
	v_and_b32_e32 v18, 0x80000000, v18
	v_or3_b32 v20, v9, v18, v17
.LBB308_323:                            ;   in Loop: Header=BB308_264 Depth=1
	s_or_b32 exec_lo, exec_lo, s3
.LBB308_324:                            ;   in Loop: Header=BB308_264 Depth=1
	s_or_b32 exec_lo, exec_lo, s2
.LBB308_325:                            ;   in Loop: Header=BB308_264 Depth=1
	s_or_b32 exec_lo, exec_lo, s1
	s_waitcnt lgkmcnt(0)
	v_mul_f32_e32 v9, s53, v19
	v_mul_f32_e32 v17, s53, v43
	;; [unrolled: 1-line block ×5, first 2 shown]
	v_bfe_u32 v19, v9, 16, 1
	v_or_b32_e32 v39, 0x400000, v9
	v_bfe_u32 v41, v17, 16, 1
	v_cmp_u_f32_e64 s1, v9, v9
	v_or_b32_e32 v45, 0x400000, v17
	v_add3_u32 v19, v19, v9, 0x7fff
	v_bfe_u32 v46, v18, 16, 1
	v_add3_u32 v41, v41, v17, 0x7fff
	v_or_b32_e32 v47, 0x400000, v18
	v_cmp_eq_u32_e64 s0, s50, v38
	v_cndmask_b32_e64 v9, v19, v39, s1
	v_cmp_u_f32_e64 s1, v17, v17
	v_bfe_u32 v19, v43, 16, 1
	v_add3_u32 v46, v46, v18, 0x7fff
	v_lshrrev_b32_e32 v39, 16, v9
	v_cndmask_b32_e64 v17, v41, v45, s1
	v_cmp_u_f32_e64 s1, v18, v18
	v_mul_f32_e32 v18, s53, v40
	v_add3_u32 v19, v19, v43, 0x7fff
	v_or_b32_e32 v45, 0x400000, v43
	v_lshrrev_b32_e32 v40, 16, v17
	v_cndmask_b32_e64 v9, v46, v47, s1
	v_cmp_u_f32_e64 s1, v43, v43
	v_or_b32_e32 v43, 0x400000, v18
	v_or_b32_e32 v47, 0x400000, v20
	v_lshrrev_b32_e32 v41, 16, v9
	v_bfe_u32 v9, v18, 16, 1
	v_cndmask_b32_e64 v17, v19, v45, s1
	v_mul_f32_e32 v19, s53, v42
	v_mul_f32_e32 v42, s53, v44
	v_cmp_u_f32_e64 s1, v18, v18
	v_add3_u32 v9, v9, v18, 0x7fff
	v_bfe_u32 v18, v20, 16, 1
	v_bfe_u32 v44, v19, 16, 1
	v_bfe_u32 v45, v42, 16, 1
	v_or_b32_e32 v46, 0x400000, v42
	v_cndmask_b32_e64 v9, v9, v43, s1
	v_cmp_u_f32_e64 s1, v19, v19
	v_add3_u32 v43, v44, v19, 0x7fff
	v_or_b32_e32 v44, 0x400000, v19
	v_add3_u32 v45, v45, v42, 0x7fff
	v_add3_u32 v18, v18, v20, 0x7fff
	v_cndmask_b32_e64 v19, v43, v44, s1
	v_cmp_u_f32_e64 s1, v42, v42
	v_lshrrev_b32_e32 v44, 16, v17
	v_cndmask_b32_e64 v42, v45, v46, s1
	v_cmp_u_f32_e64 s1, v20, v20
	v_lshrrev_b32_e32 v46, 16, v9
	v_lshrrev_b32_e32 v45, 16, v19
	;; [unrolled: 1-line block ×3, first 2 shown]
	v_cndmask_b32_e64 v18, v18, v47, s1
	v_lshrrev_b32_e32 v43, 16, v18
	s_and_saveexec_b32 s2, s0
	s_cbranch_execz .LBB308_327
; %bb.326:                              ;   in Loop: Header=BB308_264 Depth=1
	v_add_nc_u32_e32 v9, 1, v24
	v_cmp_gt_i32_e64 s1, s35, v24
	v_add_nc_u32_e32 v17, 2, v24
	v_add_nc_u32_e32 v18, 3, v24
	v_cndmask_b32_e64 v45, 0, v45, s1
	v_cmp_gt_i32_e64 s1, s35, v9
	v_add_nc_u32_e32 v9, 4, v24
	v_cndmask_b32_e64 v46, 0, v46, s1
	v_cmp_gt_i32_e64 s1, s35, v17
	;; [unrolled: 3-line block ×5, first 2 shown]
	v_cndmask_b32_e64 v39, 0, v39, s1
	v_cmp_gt_i32_e64 s1, s35, v18
	v_cndmask_b32_e64 v42, 0, v42, s1
	v_cmp_gt_i32_e64 s1, s35, v9
	v_cndmask_b32_e64 v43, 0, v43, s1
.LBB308_327:                            ;   in Loop: Header=BB308_264 Depth=1
	s_or_b32 exec_lo, exec_lo, s2
	global_load_dwordx2 v[17:18], v[15:16], off offset:256
	v_mov_b32_e32 v47, 0
	v_mov_b32_e32 v48, 0
	s_waitcnt vmcnt(0)
	v_cmp_ne_u16_sdwa s1, v17, v10 src0_sel:BYTE_0 src1_sel:DWORD
	s_and_saveexec_b32 s2, s1
	s_cbranch_execz .LBB308_333
; %bb.328:                              ;   in Loop: Header=BB308_264 Depth=1
	v_cmp_ne_u16_sdwa s1, v17, v31 src0_sel:BYTE_0 src1_sel:DWORD
	v_bfrev_b32_e32 v48, 1
	s_and_saveexec_b32 s3, s1
	s_cbranch_execz .LBB308_332
; %bb.329:                              ;   in Loop: Header=BB308_264 Depth=1
	v_and_b32_e32 v9, 0x7f, v17
	v_mov_b32_e32 v48, 0x7f800001
	s_mov_b32 s4, exec_lo
	v_cmpx_ne_u32_e32 0x7f, v9
	s_cbranch_execz .LBB308_331
; %bb.330:                              ;   in Loop: Header=BB308_264 Depth=1
	v_and_b32_e32 v19, 7, v17
	v_lshrrev_b32_e32 v20, 3, v9
	v_cmp_gt_u32_e64 s1, 8, v9
	v_ffbh_u32_e32 v19, v19
	v_min_u32_e32 v19, 32, v19
	v_subrev_nc_u32_e32 v48, 28, v19
	v_sub_nc_u32_e32 v19, 29, v19
	v_cndmask_b32_e64 v9, v20, v19, s1
	v_cndmask_b32_e64 v19, 0, v48, s1
	v_lshl_add_u32 v9, v9, 23, 0x3c000000
	v_lshlrev_b64 v[19:20], v19, v[17:18]
	v_lshlrev_b32_e32 v20, 24, v17
	v_lshlrev_b32_e32 v19, 20, v19
	v_and_b32_e32 v20, 0x80000000, v20
	v_and_b32_e32 v19, 0x700000, v19
	v_or3_b32 v48, v19, v20, v9
.LBB308_331:                            ;   in Loop: Header=BB308_264 Depth=1
	s_or_b32 exec_lo, exec_lo, s4
.LBB308_332:                            ;   in Loop: Header=BB308_264 Depth=1
	s_or_b32 exec_lo, exec_lo, s3
.LBB308_333:                            ;   in Loop: Header=BB308_264 Depth=1
	s_or_b32 exec_lo, exec_lo, s2
	v_cmp_ne_u16_sdwa s1, v17, v10 src0_sel:BYTE_1 src1_sel:DWORD
	s_and_saveexec_b32 s2, s1
	s_cbranch_execz .LBB308_341
; %bb.334:                              ;   in Loop: Header=BB308_264 Depth=1
	v_cmp_ne_u16_sdwa s1, v17, v31 src0_sel:BYTE_1 src1_sel:DWORD
	v_bfrev_b32_e32 v47, 1
	s_and_saveexec_b32 s3, s1
	s_cbranch_execz .LBB308_340
; %bb.335:                              ;   in Loop: Header=BB308_264 Depth=1
	v_and_b32_sdwa v9, v32, v17 dst_sel:DWORD dst_unused:UNUSED_PAD src0_sel:DWORD src1_sel:BYTE_1
	v_mov_b32_e32 v47, 0x7f800001
	s_mov_b32 s4, exec_lo
	v_and_b32_e32 v20, 0x7f, v9
	v_cmpx_ne_u32_e32 0x7f, v20
	s_cbranch_execz .LBB308_339
; %bb.336:                              ;   in Loop: Header=BB308_264 Depth=1
	v_and_b32_e32 v9, 7, v9
	v_lshrrev_b32_e32 v19, 3, v20
	s_mov_b32 s5, exec_lo
	v_cmpx_gt_u32_e32 8, v20
; %bb.337:                              ;   in Loop: Header=BB308_264 Depth=1
	v_ffbh_u32_e32 v19, v9
	v_min_u32_e32 v19, 32, v19
	v_subrev_nc_u32_e32 v20, 28, v19
	v_sub_nc_u32_e32 v19, 29, v19
	v_lshlrev_b64 v[49:50], v20, v[9:10]
	v_and_b32_e32 v9, 7, v49
; %bb.338:                              ;   in Loop: Header=BB308_264 Depth=1
	s_or_b32 exec_lo, exec_lo, s5
	v_lshlrev_b32_e32 v20, 16, v17
	v_lshlrev_b32_e32 v9, 20, v9
	v_lshl_add_u32 v19, v19, 23, 0x3c000000
	v_and_b32_e32 v20, 0x80000000, v20
	v_or3_b32 v47, v9, v20, v19
.LBB308_339:                            ;   in Loop: Header=BB308_264 Depth=1
	s_or_b32 exec_lo, exec_lo, s4
.LBB308_340:                            ;   in Loop: Header=BB308_264 Depth=1
	s_or_b32 exec_lo, exec_lo, s3
.LBB308_341:                            ;   in Loop: Header=BB308_264 Depth=1
	s_or_b32 exec_lo, exec_lo, s2
	v_and_b32_sdwa v9, v17, v33 dst_sel:DWORD dst_unused:UNUSED_PAD src0_sel:WORD_1 src1_sel:DWORD
	v_mov_b32_e32 v50, 0
	v_mov_b32_e32 v49, 0
	s_mov_b32 s2, exec_lo
	v_cmpx_ne_u16_e32 0, v9
	s_cbranch_execz .LBB308_349
; %bb.342:                              ;   in Loop: Header=BB308_264 Depth=1
	v_bfrev_b32_e32 v49, 1
	s_mov_b32 s3, exec_lo
	v_cmpx_ne_u16_e32 0x80, v9
	s_cbranch_execz .LBB308_348
; %bb.343:                              ;   in Loop: Header=BB308_264 Depth=1
	v_bfe_u32 v20, v17, 16, 7
	v_mov_b32_e32 v49, 0x7f800001
	s_mov_b32 s4, exec_lo
	v_cmpx_ne_u32_e32 0x7f, v20
	s_cbranch_execz .LBB308_347
; %bb.344:                              ;   in Loop: Header=BB308_264 Depth=1
	v_and_b32_sdwa v9, v17, v34 dst_sel:DWORD dst_unused:UNUSED_PAD src0_sel:WORD_1 src1_sel:DWORD
	v_lshrrev_b32_e32 v19, 3, v20
	s_mov_b32 s5, exec_lo
	v_cmpx_gt_u32_e32 8, v20
; %bb.345:                              ;   in Loop: Header=BB308_264 Depth=1
	v_ffbh_u32_e32 v19, v9
	v_min_u32_e32 v19, 32, v19
	v_subrev_nc_u32_e32 v20, 28, v19
	v_sub_nc_u32_e32 v19, 29, v19
	v_lshlrev_b64 v[51:52], v20, v[9:10]
	v_and_b32_e32 v9, 7, v51
; %bb.346:                              ;   in Loop: Header=BB308_264 Depth=1
	s_or_b32 exec_lo, exec_lo, s5
	v_lshlrev_b32_sdwa v20, v35, v17 dst_sel:DWORD dst_unused:UNUSED_PAD src0_sel:DWORD src1_sel:WORD_1
	v_lshlrev_b32_e32 v9, 20, v9
	v_lshl_add_u32 v19, v19, 23, 0x3c000000
	v_and_b32_e32 v20, 0x80000000, v20
	v_or3_b32 v49, v9, v20, v19
.LBB308_347:                            ;   in Loop: Header=BB308_264 Depth=1
	s_or_b32 exec_lo, exec_lo, s4
.LBB308_348:                            ;   in Loop: Header=BB308_264 Depth=1
	s_or_b32 exec_lo, exec_lo, s3
.LBB308_349:                            ;   in Loop: Header=BB308_264 Depth=1
	s_or_b32 exec_lo, exec_lo, s2
	s_mov_b32 s2, exec_lo
	v_cmpx_lt_u32_e32 0xffffff, v17
	s_cbranch_execz .LBB308_357
; %bb.350:                              ;   in Loop: Header=BB308_264 Depth=1
	v_cmp_ne_u32_sdwa s1, v17, v31 src0_sel:BYTE_3 src1_sel:DWORD
	v_bfrev_b32_e32 v50, 1
	s_and_saveexec_b32 s3, s1
	s_cbranch_execz .LBB308_356
; %bb.351:                              ;   in Loop: Header=BB308_264 Depth=1
	v_bfe_u32 v20, v17, 24, 7
	v_mov_b32_e32 v50, 0x7f800001
	s_mov_b32 s4, exec_lo
	v_cmpx_ne_u32_e32 0x7f, v20
	s_cbranch_execz .LBB308_355
; %bb.352:                              ;   in Loop: Header=BB308_264 Depth=1
	v_and_b32_sdwa v9, v17, v34 dst_sel:DWORD dst_unused:UNUSED_PAD src0_sel:BYTE_3 src1_sel:DWORD
	v_lshrrev_b32_e32 v19, 3, v20
	s_mov_b32 s5, exec_lo
	v_cmpx_gt_u32_e32 8, v20
; %bb.353:                              ;   in Loop: Header=BB308_264 Depth=1
	v_ffbh_u32_e32 v19, v9
	v_min_u32_e32 v19, 32, v19
	v_subrev_nc_u32_e32 v20, 28, v19
	v_sub_nc_u32_e32 v19, 29, v19
	v_lshlrev_b64 v[50:51], v20, v[9:10]
	v_and_b32_e32 v9, 7, v50
; %bb.354:                              ;   in Loop: Header=BB308_264 Depth=1
	s_or_b32 exec_lo, exec_lo, s5
	v_lshlrev_b32_sdwa v20, v35, v17 dst_sel:DWORD dst_unused:UNUSED_PAD src0_sel:DWORD src1_sel:BYTE_3
	v_lshlrev_b32_e32 v9, 20, v9
	v_lshl_add_u32 v19, v19, 23, 0x3c000000
	v_and_b32_e32 v20, 0x80000000, v20
	v_or3_b32 v50, v9, v20, v19
.LBB308_355:                            ;   in Loop: Header=BB308_264 Depth=1
	s_or_b32 exec_lo, exec_lo, s4
.LBB308_356:                            ;   in Loop: Header=BB308_264 Depth=1
	s_or_b32 exec_lo, exec_lo, s3
.LBB308_357:                            ;   in Loop: Header=BB308_264 Depth=1
	s_or_b32 exec_lo, exec_lo, s2
	v_mov_b32_e32 v9, v18
	v_cmp_ne_u16_sdwa s1, v18, v10 src0_sel:BYTE_0 src1_sel:DWORD
	v_mov_b32_e32 v19, 0
	v_mov_b32_e32 v51, 0
	s_and_saveexec_b32 s2, s1
	s_cbranch_execz .LBB308_363
; %bb.358:                              ;   in Loop: Header=BB308_264 Depth=1
	v_cmp_ne_u16_sdwa s1, v18, v31 src0_sel:BYTE_0 src1_sel:DWORD
	v_bfrev_b32_e32 v51, 1
	s_and_saveexec_b32 s3, s1
	s_cbranch_execz .LBB308_362
; %bb.359:                              ;   in Loop: Header=BB308_264 Depth=1
	v_and_b32_e32 v20, 0x7f, v18
	v_mov_b32_e32 v51, 0x7f800001
	s_mov_b32 s4, exec_lo
	v_cmpx_ne_u32_e32 0x7f, v20
	s_cbranch_execz .LBB308_361
; %bb.360:                              ;   in Loop: Header=BB308_264 Depth=1
	v_and_b32_e32 v51, 7, v18
	v_lshrrev_b32_e32 v52, 3, v20
	v_cmp_gt_u32_e64 s1, 8, v20
	v_ffbh_u32_e32 v51, v51
	v_min_u32_e32 v51, 32, v51
	v_subrev_nc_u32_e32 v53, 28, v51
	v_sub_nc_u32_e32 v51, 29, v51
	v_cndmask_b32_e64 v20, v52, v51, s1
	v_cndmask_b32_e64 v51, 0, v53, s1
	v_lshl_add_u32 v20, v20, 23, 0x3c000000
	v_lshlrev_b64 v[51:52], v51, v[9:10]
	v_lshlrev_b32_e32 v52, 24, v9
	v_lshlrev_b32_e32 v51, 20, v51
	v_and_b32_e32 v52, 0x80000000, v52
	v_and_b32_e32 v51, 0x700000, v51
	v_or3_b32 v51, v51, v52, v20
.LBB308_361:                            ;   in Loop: Header=BB308_264 Depth=1
	s_or_b32 exec_lo, exec_lo, s4
.LBB308_362:                            ;   in Loop: Header=BB308_264 Depth=1
	s_or_b32 exec_lo, exec_lo, s3
.LBB308_363:                            ;   in Loop: Header=BB308_264 Depth=1
	s_or_b32 exec_lo, exec_lo, s2
	v_cmp_ne_u16_sdwa s1, v9, v10 src0_sel:BYTE_1 src1_sel:DWORD
	s_and_saveexec_b32 s2, s1
	s_cbranch_execz .LBB308_371
; %bb.364:                              ;   in Loop: Header=BB308_264 Depth=1
	v_cmp_ne_u16_sdwa s1, v9, v31 src0_sel:BYTE_1 src1_sel:DWORD
	v_bfrev_b32_e32 v19, 1
	s_and_saveexec_b32 s3, s1
	s_cbranch_execz .LBB308_370
; %bb.365:                              ;   in Loop: Header=BB308_264 Depth=1
	v_and_b32_sdwa v20, v32, v9 dst_sel:DWORD dst_unused:UNUSED_PAD src0_sel:DWORD src1_sel:BYTE_1
	v_mov_b32_e32 v19, 0x7f800001
	s_mov_b32 s4, exec_lo
	v_and_b32_e32 v53, 0x7f, v20
	v_cmpx_ne_u32_e32 0x7f, v53
	s_cbranch_execz .LBB308_369
; %bb.366:                              ;   in Loop: Header=BB308_264 Depth=1
	v_and_b32_e32 v19, 7, v20
	v_mov_b32_e32 v20, v10
	v_lshrrev_b32_e32 v52, 3, v53
	s_mov_b32 s5, exec_lo
	v_cmpx_gt_u32_e32 8, v53
; %bb.367:                              ;   in Loop: Header=BB308_264 Depth=1
	v_ffbh_u32_e32 v52, v19
	v_min_u32_e32 v52, 32, v52
	v_subrev_nc_u32_e32 v53, 28, v52
	v_sub_nc_u32_e32 v52, 29, v52
	v_lshlrev_b64 v[19:20], v53, v[19:20]
	v_and_b32_e32 v19, 7, v19
; %bb.368:                              ;   in Loop: Header=BB308_264 Depth=1
	s_or_b32 exec_lo, exec_lo, s5
	v_lshlrev_b32_e32 v9, 16, v9
	v_lshlrev_b32_e32 v19, 20, v19
	v_lshl_add_u32 v20, v52, 23, 0x3c000000
	v_and_b32_e32 v9, 0x80000000, v9
	v_or3_b32 v19, v19, v9, v20
.LBB308_369:                            ;   in Loop: Header=BB308_264 Depth=1
	s_or_b32 exec_lo, exec_lo, s4
.LBB308_370:                            ;   in Loop: Header=BB308_264 Depth=1
	s_or_b32 exec_lo, exec_lo, s3
.LBB308_371:                            ;   in Loop: Header=BB308_264 Depth=1
	s_or_b32 exec_lo, exec_lo, s2
	v_and_b32_sdwa v9, v18, v33 dst_sel:DWORD dst_unused:UNUSED_PAD src0_sel:WORD_1 src1_sel:DWORD
	v_mov_b32_e32 v52, 0
	v_mov_b32_e32 v53, 0
	s_mov_b32 s2, exec_lo
	v_cmpx_ne_u16_e32 0, v9
	s_cbranch_execz .LBB308_379
; %bb.372:                              ;   in Loop: Header=BB308_264 Depth=1
	v_bfrev_b32_e32 v53, 1
	s_mov_b32 s3, exec_lo
	v_cmpx_ne_u16_e32 0x80, v9
	s_cbranch_execz .LBB308_378
; %bb.373:                              ;   in Loop: Header=BB308_264 Depth=1
	v_bfe_u32 v54, v18, 16, 7
	v_mov_b32_e32 v53, 0x7f800001
	s_mov_b32 s4, exec_lo
	v_cmpx_ne_u32_e32 0x7f, v54
	s_cbranch_execz .LBB308_377
; %bb.374:                              ;   in Loop: Header=BB308_264 Depth=1
	v_and_b32_sdwa v9, v18, v34 dst_sel:DWORD dst_unused:UNUSED_PAD src0_sel:WORD_1 src1_sel:DWORD
	v_lshrrev_b32_e32 v20, 3, v54
	s_mov_b32 s5, exec_lo
	v_cmpx_gt_u32_e32 8, v54
; %bb.375:                              ;   in Loop: Header=BB308_264 Depth=1
	v_ffbh_u32_e32 v20, v9
	v_min_u32_e32 v20, 32, v20
	v_subrev_nc_u32_e32 v53, 28, v20
	v_sub_nc_u32_e32 v20, 29, v20
	v_lshlrev_b64 v[53:54], v53, v[9:10]
	v_and_b32_e32 v9, 7, v53
; %bb.376:                              ;   in Loop: Header=BB308_264 Depth=1
	s_or_b32 exec_lo, exec_lo, s5
	v_lshlrev_b32_sdwa v53, v35, v18 dst_sel:DWORD dst_unused:UNUSED_PAD src0_sel:DWORD src1_sel:WORD_1
	v_lshlrev_b32_e32 v9, 20, v9
	v_lshl_add_u32 v20, v20, 23, 0x3c000000
	v_and_b32_e32 v53, 0x80000000, v53
	v_or3_b32 v53, v9, v53, v20
.LBB308_377:                            ;   in Loop: Header=BB308_264 Depth=1
	s_or_b32 exec_lo, exec_lo, s4
.LBB308_378:                            ;   in Loop: Header=BB308_264 Depth=1
	s_or_b32 exec_lo, exec_lo, s3
.LBB308_379:                            ;   in Loop: Header=BB308_264 Depth=1
	s_or_b32 exec_lo, exec_lo, s2
	s_mov_b32 s2, exec_lo
	v_cmpx_lt_u64_e64 s[40:41], v[17:18]
	s_cbranch_execz .LBB308_387
; %bb.380:                              ;   in Loop: Header=BB308_264 Depth=1
	v_cmp_ne_u32_sdwa s1, v18, v31 src0_sel:BYTE_3 src1_sel:DWORD
	v_bfrev_b32_e32 v52, 1
	s_and_saveexec_b32 s3, s1
	s_cbranch_execz .LBB308_386
; %bb.381:                              ;   in Loop: Header=BB308_264 Depth=1
	v_bfe_u32 v20, v18, 24, 7
	v_mov_b32_e32 v52, 0x7f800001
	s_mov_b32 s4, exec_lo
	v_cmpx_ne_u32_e32 0x7f, v20
	s_cbranch_execz .LBB308_385
; %bb.382:                              ;   in Loop: Header=BB308_264 Depth=1
	v_and_b32_sdwa v9, v18, v34 dst_sel:DWORD dst_unused:UNUSED_PAD src0_sel:BYTE_3 src1_sel:DWORD
	v_lshrrev_b32_e32 v17, 3, v20
	s_mov_b32 s5, exec_lo
	v_cmpx_gt_u32_e32 8, v20
; %bb.383:                              ;   in Loop: Header=BB308_264 Depth=1
	v_ffbh_u32_e32 v17, v9
	v_min_u32_e32 v17, 32, v17
	v_subrev_nc_u32_e32 v20, 28, v17
	v_sub_nc_u32_e32 v17, 29, v17
	v_lshlrev_b64 v[54:55], v20, v[9:10]
	v_and_b32_e32 v9, 7, v54
; %bb.384:                              ;   in Loop: Header=BB308_264 Depth=1
	s_or_b32 exec_lo, exec_lo, s5
	v_lshlrev_b32_sdwa v18, v35, v18 dst_sel:DWORD dst_unused:UNUSED_PAD src0_sel:DWORD src1_sel:BYTE_3
	v_lshlrev_b32_e32 v9, 20, v9
	v_lshl_add_u32 v17, v17, 23, 0x3c000000
	v_and_b32_e32 v18, 0x80000000, v18
	v_or3_b32 v52, v9, v18, v17
.LBB308_385:                            ;   in Loop: Header=BB308_264 Depth=1
	s_or_b32 exec_lo, exec_lo, s4
.LBB308_386:                            ;   in Loop: Header=BB308_264 Depth=1
	s_or_b32 exec_lo, exec_lo, s3
.LBB308_387:                            ;   in Loop: Header=BB308_264 Depth=1
	s_or_b32 exec_lo, exec_lo, s2
	v_mul_f32_e32 v9, s53, v19
	v_mul_f32_e32 v17, s53, v51
	;; [unrolled: 1-line block ×5, first 2 shown]
	v_bfe_u32 v19, v9, 16, 1
	v_or_b32_e32 v20, 0x400000, v9
	v_bfe_u32 v50, v17, 16, 1
	v_cmp_u_f32_e64 s1, v9, v9
	v_or_b32_e32 v51, 0x400000, v17
	v_add3_u32 v19, v19, v9, 0x7fff
	v_bfe_u32 v54, v18, 16, 1
	v_add3_u32 v50, v50, v17, 0x7fff
	v_or_b32_e32 v55, 0x400000, v18
	v_bfe_u32 v56, v49, 16, 1
	v_cndmask_b32_e64 v9, v19, v20, s1
	v_cmp_u_f32_e64 s1, v17, v17
	v_add3_u32 v54, v54, v18, 0x7fff
	v_lshrrev_b32_e32 v19, 16, v9
	v_cndmask_b32_e64 v17, v50, v51, s1
	v_cmp_u_f32_e64 s1, v18, v18
	v_mul_f32_e32 v9, s53, v47
	v_add3_u32 v50, v56, v49, 0x7fff
	v_or_b32_e32 v51, 0x400000, v49
	v_lshrrev_b32_e32 v20, 16, v17
	v_cndmask_b32_e64 v18, v54, v55, s1
	v_bfe_u32 v17, v9, 16, 1
	v_cmp_u_f32_e64 s1, v49, v49
	v_mul_f32_e32 v49, s53, v53
	v_lshrrev_b32_e32 v47, 16, v18
	v_add3_u32 v17, v17, v9, 0x7fff
	v_cndmask_b32_e64 v18, v50, v51, s1
	v_or_b32_e32 v50, 0x400000, v9
	v_mul_f32_e32 v51, s53, v52
	v_bfe_u32 v52, v48, 16, 1
	v_cmp_u_f32_e64 s1, v9, v9
	v_bfe_u32 v53, v49, 16, 1
	v_or_b32_e32 v54, 0x400000, v49
	v_or_b32_e32 v55, 0x400000, v51
	v_cndmask_b32_e64 v9, v17, v50, s1
	v_add3_u32 v50, v52, v48, 0x7fff
	v_or_b32_e32 v52, 0x400000, v48
	v_cmp_u_f32_e64 s1, v48, v48
	v_bfe_u32 v17, v51, 16, 1
	v_add3_u32 v53, v53, v49, 0x7fff
	v_cndmask_b32_e64 v48, v50, v52, s1
	v_cmp_u_f32_e64 s1, v49, v49
	v_add3_u32 v17, v17, v51, 0x7fff
	v_lshrrev_b32_e32 v49, 16, v18
	v_lshrrev_b32_e32 v50, 16, v48
	v_cndmask_b32_e64 v52, v53, v54, s1
	v_cmp_u_f32_e64 s1, v51, v51
	v_lshrrev_b32_e32 v51, 16, v9
	v_lshrrev_b32_e32 v48, 16, v52
	v_cndmask_b32_e64 v17, v17, v55, s1
	v_lshrrev_b32_e32 v53, 16, v17
	s_and_saveexec_b32 s2, s0
	s_cbranch_execz .LBB308_389
; %bb.388:                              ;   in Loop: Header=BB308_264 Depth=1
	v_add_nc_u32_e32 v9, 1, v24
	v_cmp_gt_i32_e64 s1, s35, v24
	v_add_nc_u32_e32 v17, 2, v24
	v_add_nc_u32_e32 v18, 3, v24
	v_cndmask_b32_e64 v50, 0, v50, s1
	v_cmp_gt_i32_e64 s1, s35, v9
	v_add_nc_u32_e32 v9, 4, v24
	v_cndmask_b32_e64 v51, 0, v51, s1
	v_cmp_gt_i32_e64 s1, s35, v17
	;; [unrolled: 3-line block ×5, first 2 shown]
	v_cndmask_b32_e64 v19, 0, v19, s1
	v_cmp_gt_i32_e64 s1, s35, v18
	v_cndmask_b32_e64 v48, 0, v48, s1
	v_cmp_gt_i32_e64 s1, s35, v9
	v_cndmask_b32_e64 v53, 0, v53, s1
.LBB308_389:                            ;   in Loop: Header=BB308_264 Depth=1
	s_or_b32 exec_lo, exec_lo, s2
	global_load_dwordx2 v[15:16], v[15:16], off offset:512
	v_mov_b32_e32 v54, 0
	v_mov_b32_e32 v52, 0
	s_waitcnt vmcnt(0)
	v_cmp_ne_u16_sdwa s1, v15, v10 src0_sel:BYTE_0 src1_sel:DWORD
	s_and_saveexec_b32 s2, s1
	s_cbranch_execz .LBB308_395
; %bb.390:                              ;   in Loop: Header=BB308_264 Depth=1
	v_cmp_ne_u16_sdwa s1, v15, v31 src0_sel:BYTE_0 src1_sel:DWORD
	v_bfrev_b32_e32 v52, 1
	s_and_saveexec_b32 s3, s1
	s_cbranch_execz .LBB308_394
; %bb.391:                              ;   in Loop: Header=BB308_264 Depth=1
	v_and_b32_e32 v9, 0x7f, v15
	v_mov_b32_e32 v52, 0x7f800001
	s_mov_b32 s4, exec_lo
	v_cmpx_ne_u32_e32 0x7f, v9
	s_cbranch_execz .LBB308_393
; %bb.392:                              ;   in Loop: Header=BB308_264 Depth=1
	v_and_b32_e32 v17, 7, v15
	v_lshrrev_b32_e32 v18, 3, v9
	v_cmp_gt_u32_e64 s1, 8, v9
	v_ffbh_u32_e32 v17, v17
	v_min_u32_e32 v17, 32, v17
	v_subrev_nc_u32_e32 v52, 28, v17
	v_sub_nc_u32_e32 v17, 29, v17
	v_cndmask_b32_e64 v9, v18, v17, s1
	v_cndmask_b32_e64 v17, 0, v52, s1
	v_lshl_add_u32 v9, v9, 23, 0x3c000000
	v_lshlrev_b64 v[17:18], v17, v[15:16]
	v_lshlrev_b32_e32 v18, 24, v15
	v_lshlrev_b32_e32 v17, 20, v17
	v_and_b32_e32 v18, 0x80000000, v18
	v_and_b32_e32 v17, 0x700000, v17
	v_or3_b32 v52, v17, v18, v9
.LBB308_393:                            ;   in Loop: Header=BB308_264 Depth=1
	s_or_b32 exec_lo, exec_lo, s4
.LBB308_394:                            ;   in Loop: Header=BB308_264 Depth=1
	s_or_b32 exec_lo, exec_lo, s3
.LBB308_395:                            ;   in Loop: Header=BB308_264 Depth=1
	s_or_b32 exec_lo, exec_lo, s2
	v_cmp_ne_u16_sdwa s1, v15, v10 src0_sel:BYTE_1 src1_sel:DWORD
	s_and_saveexec_b32 s2, s1
	s_cbranch_execz .LBB308_403
; %bb.396:                              ;   in Loop: Header=BB308_264 Depth=1
	v_cmp_ne_u16_sdwa s1, v15, v31 src0_sel:BYTE_1 src1_sel:DWORD
	v_bfrev_b32_e32 v54, 1
	s_and_saveexec_b32 s3, s1
	s_cbranch_execz .LBB308_402
; %bb.397:                              ;   in Loop: Header=BB308_264 Depth=1
	v_and_b32_sdwa v9, v32, v15 dst_sel:DWORD dst_unused:UNUSED_PAD src0_sel:DWORD src1_sel:BYTE_1
	v_mov_b32_e32 v54, 0x7f800001
	s_mov_b32 s4, exec_lo
	v_and_b32_e32 v18, 0x7f, v9
	v_cmpx_ne_u32_e32 0x7f, v18
	s_cbranch_execz .LBB308_401
; %bb.398:                              ;   in Loop: Header=BB308_264 Depth=1
	v_and_b32_e32 v9, 7, v9
	v_lshrrev_b32_e32 v17, 3, v18
	s_mov_b32 s5, exec_lo
	v_cmpx_gt_u32_e32 8, v18
; %bb.399:                              ;   in Loop: Header=BB308_264 Depth=1
	v_ffbh_u32_e32 v17, v9
	v_min_u32_e32 v17, 32, v17
	v_subrev_nc_u32_e32 v18, 28, v17
	v_sub_nc_u32_e32 v17, 29, v17
	v_lshlrev_b64 v[54:55], v18, v[9:10]
	v_and_b32_e32 v9, 7, v54
; %bb.400:                              ;   in Loop: Header=BB308_264 Depth=1
	s_or_b32 exec_lo, exec_lo, s5
	v_lshlrev_b32_e32 v18, 16, v15
	v_lshlrev_b32_e32 v9, 20, v9
	v_lshl_add_u32 v17, v17, 23, 0x3c000000
	v_and_b32_e32 v18, 0x80000000, v18
	v_or3_b32 v54, v9, v18, v17
.LBB308_401:                            ;   in Loop: Header=BB308_264 Depth=1
	s_or_b32 exec_lo, exec_lo, s4
.LBB308_402:                            ;   in Loop: Header=BB308_264 Depth=1
	s_or_b32 exec_lo, exec_lo, s3
.LBB308_403:                            ;   in Loop: Header=BB308_264 Depth=1
	s_or_b32 exec_lo, exec_lo, s2
	v_and_b32_sdwa v9, v15, v33 dst_sel:DWORD dst_unused:UNUSED_PAD src0_sel:WORD_1 src1_sel:DWORD
	v_mov_b32_e32 v56, 0
	v_mov_b32_e32 v55, 0
	s_mov_b32 s2, exec_lo
	v_cmpx_ne_u16_e32 0, v9
	s_cbranch_execz .LBB308_411
; %bb.404:                              ;   in Loop: Header=BB308_264 Depth=1
	v_bfrev_b32_e32 v55, 1
	s_mov_b32 s3, exec_lo
	v_cmpx_ne_u16_e32 0x80, v9
	s_cbranch_execz .LBB308_410
; %bb.405:                              ;   in Loop: Header=BB308_264 Depth=1
	v_bfe_u32 v18, v15, 16, 7
	v_mov_b32_e32 v55, 0x7f800001
	s_mov_b32 s4, exec_lo
	v_cmpx_ne_u32_e32 0x7f, v18
	s_cbranch_execz .LBB308_409
; %bb.406:                              ;   in Loop: Header=BB308_264 Depth=1
	v_and_b32_sdwa v9, v15, v34 dst_sel:DWORD dst_unused:UNUSED_PAD src0_sel:WORD_1 src1_sel:DWORD
	v_lshrrev_b32_e32 v17, 3, v18
	s_mov_b32 s5, exec_lo
	v_cmpx_gt_u32_e32 8, v18
; %bb.407:                              ;   in Loop: Header=BB308_264 Depth=1
	v_ffbh_u32_e32 v17, v9
	v_min_u32_e32 v17, 32, v17
	v_subrev_nc_u32_e32 v18, 28, v17
	v_sub_nc_u32_e32 v17, 29, v17
	v_lshlrev_b64 v[57:58], v18, v[9:10]
	v_and_b32_e32 v9, 7, v57
; %bb.408:                              ;   in Loop: Header=BB308_264 Depth=1
	s_or_b32 exec_lo, exec_lo, s5
	v_lshlrev_b32_sdwa v18, v35, v15 dst_sel:DWORD dst_unused:UNUSED_PAD src0_sel:DWORD src1_sel:WORD_1
	v_lshlrev_b32_e32 v9, 20, v9
	v_lshl_add_u32 v17, v17, 23, 0x3c000000
	v_and_b32_e32 v18, 0x80000000, v18
	v_or3_b32 v55, v9, v18, v17
.LBB308_409:                            ;   in Loop: Header=BB308_264 Depth=1
	s_or_b32 exec_lo, exec_lo, s4
.LBB308_410:                            ;   in Loop: Header=BB308_264 Depth=1
	s_or_b32 exec_lo, exec_lo, s3
.LBB308_411:                            ;   in Loop: Header=BB308_264 Depth=1
	s_or_b32 exec_lo, exec_lo, s2
	s_mov_b32 s2, exec_lo
	v_cmpx_lt_u32_e32 0xffffff, v15
	s_cbranch_execz .LBB308_419
; %bb.412:                              ;   in Loop: Header=BB308_264 Depth=1
	v_cmp_ne_u32_sdwa s1, v15, v31 src0_sel:BYTE_3 src1_sel:DWORD
	v_bfrev_b32_e32 v56, 1
	s_and_saveexec_b32 s3, s1
	s_cbranch_execz .LBB308_418
; %bb.413:                              ;   in Loop: Header=BB308_264 Depth=1
	v_bfe_u32 v18, v15, 24, 7
	v_mov_b32_e32 v56, 0x7f800001
	s_mov_b32 s4, exec_lo
	v_cmpx_ne_u32_e32 0x7f, v18
	s_cbranch_execz .LBB308_417
; %bb.414:                              ;   in Loop: Header=BB308_264 Depth=1
	v_and_b32_sdwa v9, v15, v34 dst_sel:DWORD dst_unused:UNUSED_PAD src0_sel:BYTE_3 src1_sel:DWORD
	v_lshrrev_b32_e32 v17, 3, v18
	s_mov_b32 s5, exec_lo
	v_cmpx_gt_u32_e32 8, v18
; %bb.415:                              ;   in Loop: Header=BB308_264 Depth=1
	v_ffbh_u32_e32 v17, v9
	v_min_u32_e32 v17, 32, v17
	v_subrev_nc_u32_e32 v18, 28, v17
	v_sub_nc_u32_e32 v17, 29, v17
	v_lshlrev_b64 v[56:57], v18, v[9:10]
	v_and_b32_e32 v9, 7, v56
; %bb.416:                              ;   in Loop: Header=BB308_264 Depth=1
	s_or_b32 exec_lo, exec_lo, s5
	v_lshlrev_b32_sdwa v18, v35, v15 dst_sel:DWORD dst_unused:UNUSED_PAD src0_sel:DWORD src1_sel:BYTE_3
	v_lshlrev_b32_e32 v9, 20, v9
	v_lshl_add_u32 v17, v17, 23, 0x3c000000
	v_and_b32_e32 v18, 0x80000000, v18
	v_or3_b32 v56, v9, v18, v17
.LBB308_417:                            ;   in Loop: Header=BB308_264 Depth=1
	s_or_b32 exec_lo, exec_lo, s4
.LBB308_418:                            ;   in Loop: Header=BB308_264 Depth=1
	s_or_b32 exec_lo, exec_lo, s3
.LBB308_419:                            ;   in Loop: Header=BB308_264 Depth=1
	s_or_b32 exec_lo, exec_lo, s2
	v_mov_b32_e32 v9, v16
	v_cmp_ne_u16_sdwa s1, v16, v10 src0_sel:BYTE_0 src1_sel:DWORD
	v_mov_b32_e32 v17, 0
	v_mov_b32_e32 v57, 0
	s_and_saveexec_b32 s2, s1
	s_cbranch_execz .LBB308_425
; %bb.420:                              ;   in Loop: Header=BB308_264 Depth=1
	v_cmp_ne_u16_sdwa s1, v16, v31 src0_sel:BYTE_0 src1_sel:DWORD
	v_bfrev_b32_e32 v57, 1
	s_and_saveexec_b32 s3, s1
	s_cbranch_execz .LBB308_424
; %bb.421:                              ;   in Loop: Header=BB308_264 Depth=1
	v_and_b32_e32 v18, 0x7f, v16
	v_mov_b32_e32 v57, 0x7f800001
	s_mov_b32 s4, exec_lo
	v_cmpx_ne_u32_e32 0x7f, v18
	s_cbranch_execz .LBB308_423
; %bb.422:                              ;   in Loop: Header=BB308_264 Depth=1
	v_and_b32_e32 v57, 7, v16
	v_lshrrev_b32_e32 v58, 3, v18
	v_cmp_gt_u32_e64 s1, 8, v18
	v_ffbh_u32_e32 v57, v57
	v_min_u32_e32 v57, 32, v57
	v_subrev_nc_u32_e32 v59, 28, v57
	v_sub_nc_u32_e32 v57, 29, v57
	v_cndmask_b32_e64 v18, v58, v57, s1
	v_cndmask_b32_e64 v57, 0, v59, s1
	v_lshl_add_u32 v18, v18, 23, 0x3c000000
	v_lshlrev_b64 v[57:58], v57, v[9:10]
	v_lshlrev_b32_e32 v58, 24, v9
	v_lshlrev_b32_e32 v57, 20, v57
	v_and_b32_e32 v58, 0x80000000, v58
	v_and_b32_e32 v57, 0x700000, v57
	v_or3_b32 v57, v57, v58, v18
.LBB308_423:                            ;   in Loop: Header=BB308_264 Depth=1
	s_or_b32 exec_lo, exec_lo, s4
.LBB308_424:                            ;   in Loop: Header=BB308_264 Depth=1
	s_or_b32 exec_lo, exec_lo, s3
.LBB308_425:                            ;   in Loop: Header=BB308_264 Depth=1
	s_or_b32 exec_lo, exec_lo, s2
	v_cmp_ne_u16_sdwa s1, v9, v10 src0_sel:BYTE_1 src1_sel:DWORD
	s_and_saveexec_b32 s2, s1
	s_cbranch_execz .LBB308_433
; %bb.426:                              ;   in Loop: Header=BB308_264 Depth=1
	v_cmp_ne_u16_sdwa s1, v9, v31 src0_sel:BYTE_1 src1_sel:DWORD
	v_bfrev_b32_e32 v17, 1
	s_and_saveexec_b32 s3, s1
	s_cbranch_execz .LBB308_432
; %bb.427:                              ;   in Loop: Header=BB308_264 Depth=1
	v_and_b32_sdwa v18, v32, v9 dst_sel:DWORD dst_unused:UNUSED_PAD src0_sel:DWORD src1_sel:BYTE_1
	v_mov_b32_e32 v17, 0x7f800001
	s_mov_b32 s4, exec_lo
	v_and_b32_e32 v59, 0x7f, v18
	v_cmpx_ne_u32_e32 0x7f, v59
	s_cbranch_execz .LBB308_431
; %bb.428:                              ;   in Loop: Header=BB308_264 Depth=1
	v_and_b32_e32 v17, 7, v18
	v_mov_b32_e32 v18, v10
	v_lshrrev_b32_e32 v58, 3, v59
	s_mov_b32 s5, exec_lo
	v_cmpx_gt_u32_e32 8, v59
; %bb.429:                              ;   in Loop: Header=BB308_264 Depth=1
	v_ffbh_u32_e32 v58, v17
	v_min_u32_e32 v58, 32, v58
	v_subrev_nc_u32_e32 v59, 28, v58
	v_sub_nc_u32_e32 v58, 29, v58
	v_lshlrev_b64 v[17:18], v59, v[17:18]
	v_and_b32_e32 v17, 7, v17
; %bb.430:                              ;   in Loop: Header=BB308_264 Depth=1
	s_or_b32 exec_lo, exec_lo, s5
	v_lshlrev_b32_e32 v9, 16, v9
	v_lshlrev_b32_e32 v17, 20, v17
	v_lshl_add_u32 v18, v58, 23, 0x3c000000
	v_and_b32_e32 v9, 0x80000000, v9
	v_or3_b32 v17, v17, v9, v18
.LBB308_431:                            ;   in Loop: Header=BB308_264 Depth=1
	s_or_b32 exec_lo, exec_lo, s4
.LBB308_432:                            ;   in Loop: Header=BB308_264 Depth=1
	s_or_b32 exec_lo, exec_lo, s3
.LBB308_433:                            ;   in Loop: Header=BB308_264 Depth=1
	s_or_b32 exec_lo, exec_lo, s2
	v_and_b32_sdwa v9, v16, v33 dst_sel:DWORD dst_unused:UNUSED_PAD src0_sel:WORD_1 src1_sel:DWORD
	v_mov_b32_e32 v18, 0
	v_mov_b32_e32 v58, 0
	s_mov_b32 s2, exec_lo
	v_cmpx_ne_u16_e32 0, v9
	s_cbranch_execz .LBB308_441
; %bb.434:                              ;   in Loop: Header=BB308_264 Depth=1
	v_bfrev_b32_e32 v58, 1
	s_mov_b32 s3, exec_lo
	v_cmpx_ne_u16_e32 0x80, v9
	s_cbranch_execz .LBB308_440
; %bb.435:                              ;   in Loop: Header=BB308_264 Depth=1
	v_bfe_u32 v59, v16, 16, 7
	v_mov_b32_e32 v58, 0x7f800001
	s_mov_b32 s4, exec_lo
	v_cmpx_ne_u32_e32 0x7f, v59
	s_cbranch_execz .LBB308_439
; %bb.436:                              ;   in Loop: Header=BB308_264 Depth=1
	v_and_b32_sdwa v9, v16, v34 dst_sel:DWORD dst_unused:UNUSED_PAD src0_sel:WORD_1 src1_sel:DWORD
	v_lshrrev_b32_e32 v58, 3, v59
	s_mov_b32 s5, exec_lo
	v_cmpx_gt_u32_e32 8, v59
; %bb.437:                              ;   in Loop: Header=BB308_264 Depth=1
	v_ffbh_u32_e32 v58, v9
	v_min_u32_e32 v58, 32, v58
	v_subrev_nc_u32_e32 v59, 28, v58
	v_sub_nc_u32_e32 v58, 29, v58
	v_lshlrev_b64 v[59:60], v59, v[9:10]
	v_and_b32_e32 v9, 7, v59
; %bb.438:                              ;   in Loop: Header=BB308_264 Depth=1
	s_or_b32 exec_lo, exec_lo, s5
	v_lshlrev_b32_sdwa v59, v35, v16 dst_sel:DWORD dst_unused:UNUSED_PAD src0_sel:DWORD src1_sel:WORD_1
	v_lshlrev_b32_e32 v9, 20, v9
	v_lshl_add_u32 v58, v58, 23, 0x3c000000
	v_and_b32_e32 v59, 0x80000000, v59
	v_or3_b32 v58, v9, v59, v58
.LBB308_439:                            ;   in Loop: Header=BB308_264 Depth=1
	s_or_b32 exec_lo, exec_lo, s4
.LBB308_440:                            ;   in Loop: Header=BB308_264 Depth=1
	s_or_b32 exec_lo, exec_lo, s3
.LBB308_441:                            ;   in Loop: Header=BB308_264 Depth=1
	s_or_b32 exec_lo, exec_lo, s2
	s_mov_b32 s2, exec_lo
	v_cmpx_lt_u64_e64 s[40:41], v[15:16]
	s_cbranch_execz .LBB308_449
; %bb.442:                              ;   in Loop: Header=BB308_264 Depth=1
	v_cmp_ne_u32_sdwa s1, v16, v31 src0_sel:BYTE_3 src1_sel:DWORD
	v_bfrev_b32_e32 v18, 1
	s_and_saveexec_b32 s3, s1
	s_cbranch_execz .LBB308_448
; %bb.443:                              ;   in Loop: Header=BB308_264 Depth=1
	v_bfe_u32 v59, v16, 24, 7
	v_mov_b32_e32 v18, 0x7f800001
	s_mov_b32 s4, exec_lo
	v_cmpx_ne_u32_e32 0x7f, v59
	s_cbranch_execz .LBB308_447
; %bb.444:                              ;   in Loop: Header=BB308_264 Depth=1
	v_and_b32_sdwa v9, v16, v34 dst_sel:DWORD dst_unused:UNUSED_PAD src0_sel:BYTE_3 src1_sel:DWORD
	v_lshrrev_b32_e32 v15, 3, v59
	s_mov_b32 s5, exec_lo
	v_cmpx_gt_u32_e32 8, v59
; %bb.445:                              ;   in Loop: Header=BB308_264 Depth=1
	v_ffbh_u32_e32 v15, v9
	v_min_u32_e32 v15, 32, v15
	v_subrev_nc_u32_e32 v18, 28, v15
	v_sub_nc_u32_e32 v15, 29, v15
	v_lshlrev_b64 v[59:60], v18, v[9:10]
	v_and_b32_e32 v9, 7, v59
; %bb.446:                              ;   in Loop: Header=BB308_264 Depth=1
	s_or_b32 exec_lo, exec_lo, s5
	v_lshlrev_b32_sdwa v16, v35, v16 dst_sel:DWORD dst_unused:UNUSED_PAD src0_sel:DWORD src1_sel:BYTE_3
	v_lshlrev_b32_e32 v9, 20, v9
	v_lshl_add_u32 v15, v15, 23, 0x3c000000
	v_and_b32_e32 v16, 0x80000000, v16
	v_or3_b32 v18, v9, v16, v15
.LBB308_447:                            ;   in Loop: Header=BB308_264 Depth=1
	s_or_b32 exec_lo, exec_lo, s4
.LBB308_448:                            ;   in Loop: Header=BB308_264 Depth=1
	s_or_b32 exec_lo, exec_lo, s3
.LBB308_449:                            ;   in Loop: Header=BB308_264 Depth=1
	s_or_b32 exec_lo, exec_lo, s2
	v_mul_f32_e32 v9, s53, v17
	v_mul_f32_e32 v15, s53, v57
	;; [unrolled: 1-line block ×5, first 2 shown]
	v_bfe_u32 v55, v9, 16, 1
	v_or_b32_e32 v56, 0x400000, v9
	v_bfe_u32 v57, v15, 16, 1
	v_cmp_u_f32_e64 s1, v9, v9
	v_or_b32_e32 v59, 0x400000, v15
	v_add3_u32 v55, v55, v9, 0x7fff
	v_bfe_u32 v60, v16, 16, 1
	v_add3_u32 v57, v57, v15, 0x7fff
	v_or_b32_e32 v61, 0x400000, v16
	v_bfe_u32 v62, v17, 16, 1
	v_cndmask_b32_e64 v9, v55, v56, s1
	v_cmp_u_f32_e64 s1, v15, v15
	v_add3_u32 v60, v60, v16, 0x7fff
	v_or_b32_e32 v56, 0x400000, v17
	v_add3_u32 v55, v62, v17, 0x7fff
	v_mul_f32_e32 v52, s53, v52
	v_cndmask_b32_e64 v15, v57, v59, s1
	v_cmp_u_f32_e64 s1, v16, v16
	v_bfe_u32 v57, v54, 16, 1
	v_mul_f32_e32 v18, s53, v18
	v_lshrrev_b32_e32 v9, 16, v9
	v_lshrrev_b32_e32 v15, 16, v15
	v_cndmask_b32_e64 v16, v60, v61, s1
	v_cmp_u_f32_e64 s1, v17, v17
	v_or_b32_e32 v61, 0x400000, v18
	v_lshrrev_b32_e32 v16, 16, v16
	v_cndmask_b32_e64 v17, v55, v56, s1
	v_mul_f32_e32 v55, s53, v58
	v_add3_u32 v56, v57, v54, 0x7fff
	v_or_b32_e32 v57, 0x400000, v54
	v_bfe_u32 v58, v52, 16, 1
	v_cmp_u_f32_e64 s1, v54, v54
	v_bfe_u32 v59, v55, 16, 1
	v_or_b32_e32 v60, 0x400000, v55
	v_lshrrev_b32_e32 v65, 16, v17
	v_cndmask_b32_e64 v54, v56, v57, s1
	v_add3_u32 v57, v58, v52, 0x7fff
	v_or_b32_e32 v58, 0x400000, v52
	v_cmp_u_f32_e64 s1, v52, v52
	v_bfe_u32 v56, v18, 16, 1
	v_add3_u32 v59, v59, v55, 0x7fff
	v_cndmask_b32_e64 v52, v57, v58, s1
	v_cmp_u_f32_e64 s1, v55, v55
	v_add3_u32 v56, v56, v18, 0x7fff
	v_lshrrev_b32_e32 v17, 16, v52
	v_cndmask_b32_e64 v55, v59, v60, s1
	v_cmp_u_f32_e64 s1, v18, v18
	v_lshrrev_b32_e32 v18, 16, v54
	v_lshrrev_b32_e32 v63, 16, v55
	v_cndmask_b32_e64 v56, v56, v61, s1
	v_lshrrev_b32_e32 v64, 16, v56
	s_and_saveexec_b32 s2, s0
	s_cbranch_execz .LBB308_451
; %bb.450:                              ;   in Loop: Header=BB308_264 Depth=1
	v_add_nc_u32_e32 v52, 1, v24
	v_cmp_gt_i32_e64 s1, s35, v24
	v_add_nc_u32_e32 v54, 2, v24
	v_add_nc_u32_e32 v55, 3, v24
	v_cndmask_b32_e64 v17, 0, v17, s1
	v_cmp_gt_i32_e64 s1, s35, v52
	v_add_nc_u32_e32 v52, 4, v24
	v_cndmask_b32_e64 v18, 0, v18, s1
	v_cmp_gt_i32_e64 s1, s35, v54
	;; [unrolled: 3-line block ×5, first 2 shown]
	v_cndmask_b32_e64 v9, 0, v9, s1
	v_cmp_gt_i32_e64 s1, s35, v55
	v_cndmask_b32_e64 v63, 0, v63, s1
	v_cmp_gt_i32_e64 s1, s35, v52
	v_cndmask_b32_e64 v64, 0, v64, s1
.LBB308_451:                            ;   in Loop: Header=BB308_264 Depth=1
	s_or_b32 exec_lo, exec_lo, s2
	v_bfe_u32 v52, v5, 16, 1
	v_or_b32_e32 v54, 0x400000, v5
	v_bfe_u32 v55, v6, 16, 1
	v_cmp_u_f32_e64 s1, v5, v5
	v_bfe_u32 v56, v7, 16, 1
	v_add3_u32 v52, v52, v5, 0x7fff
	v_or_b32_e32 v57, 0x400000, v6
	v_add3_u32 v59, v55, v6, 0x7fff
	v_or_b32_e32 v58, 0x400000, v7
	v_add3_u32 v60, v56, v7, 0x7fff
	v_cndmask_b32_e64 v55, v52, v54, s1
	v_cmp_u_f32_e64 s1, v6, v6
	v_bfe_u32 v5, v8, 16, 1
	v_bfe_u32 v6, v1, 16, 1
	v_or_b32_e32 v52, 0x400000, v1
	v_bfe_u32 v54, v2, 16, 1
	v_cndmask_b32_e64 v56, v59, v57, s1
	v_cmp_u_f32_e64 s1, v7, v7
	v_add3_u32 v5, v5, v8, 0x7fff
	v_or_b32_e32 v7, 0x400000, v8
	v_add3_u32 v6, v6, v1, 0x7fff
	v_lshlrev_b32_e32 v17, 16, v17
	v_cndmask_b32_e64 v57, v60, v58, s1
	v_cmp_u_f32_e64 s1, v8, v8
	v_bfe_u32 v8, v4, 16, 1
	v_lshlrev_b32_e32 v16, 16, v16
	v_and_b32_e32 v66, 0xffff0000, v57
	v_cndmask_b32_e64 v58, v5, v7, s1
	v_cmp_u_f32_e64 s1, v1, v1
	v_bfe_u32 v5, v3, 16, 1
	v_add3_u32 v1, v54, v2, 0x7fff
	v_or_b32_e32 v7, 0x400000, v3
	v_or_b32_e32 v54, 0x400000, v4
	v_cndmask_b32_e64 v59, v6, v52, s1
	v_or_b32_e32 v6, 0x400000, v2
	v_cmp_u_f32_e64 s1, v2, v2
	v_add3_u32 v5, v5, v3, 0x7fff
	v_and_b32_e32 v2, 0xffff0000, v56
	v_cndmask_b32_e64 v60, v1, v6, s1
	v_cmp_u_f32_e64 s1, v3, v3
	v_add3_u32 v1, v8, v4, 0x7fff
	v_lshlrev_b32_e32 v3, 16, v51
	v_lshlrev_b32_e32 v6, 16, v50
	;; [unrolled: 1-line block ×3, first 2 shown]
	v_cndmask_b32_e64 v61, v5, v7, s1
	v_cmp_u_f32_e64 s1, v4, v4
	v_and_b32_e32 v5, 0xffff0000, v55
	v_and_b32_e32 v7, 0xffff0000, v58
	v_lshlrev_b32_e32 v47, 16, v49
	v_mul_f32_e32 v52, v2, v3
	v_cndmask_b32_e64 v62, v1, v54, s1
	v_mul_f32_e32 v51, v5, v6
	v_mul_f32_e32 v50, v7, v8
	v_and_b32_e32 v1, 0xffff0000, v60
	v_lshlrev_b32_e32 v3, 16, v19
	v_and_b32_e32 v4, 0xffff0000, v59
	v_lshlrev_b32_e32 v6, 16, v20
	;; [unrolled: 2-line block ×3, first 2 shown]
	v_mul_f32_e32 v49, v66, v47
	v_and_b32_e32 v68, 0xffff0000, v61
	v_lshlrev_b32_e32 v19, 16, v48
	v_lshlrev_b32_e32 v20, 16, v46
	v_mul_f32_e32 v54, v1, v3
	v_mul_f32_e32 v53, v4, v6
	;; [unrolled: 1-line block ×3, first 2 shown]
	v_lshlrev_b32_e32 v3, 16, v45
	v_lshlrev_b32_e32 v6, 16, v41
	;; [unrolled: 1-line block ×3, first 2 shown]
	v_mul_f32_e32 v48, v68, v19
	v_mul_f32_e32 v46, v2, v20
	v_lshlrev_b32_e32 v19, 16, v39
	v_lshlrev_b32_e32 v20, 16, v40
	v_mul_f32_e32 v45, v5, v3
	v_mul_f32_e32 v44, v7, v6
	;; [unrolled: 1-line block ×3, first 2 shown]
	v_lshlrev_b32_e32 v3, 16, v43
	v_lshlrev_b32_e32 v6, 16, v42
	;; [unrolled: 1-line block ×3, first 2 shown]
	v_mul_f32_e32 v40, v1, v19
	v_mul_f32_e32 v19, v4, v20
	;; [unrolled: 1-line block ×6, first 2 shown]
	v_lshlrev_b32_e32 v2, 16, v65
	v_lshlrev_b32_e32 v3, 16, v9
	;; [unrolled: 1-line block ×5, first 2 shown]
	v_mul_f32_e32 v7, v7, v16
	v_mul_f32_e32 v16, v66, v2
	;; [unrolled: 1-line block ×6, first 2 shown]
	v_cmp_u_f32_e64 s24, v52, v52
	v_cmp_u_f32_e64 s20, v51, v51
	;; [unrolled: 1-line block ×24, first 2 shown]
	s_and_saveexec_b32 s54, vcc_lo
	s_cbranch_execz .LBB308_262
; %bb.452:                              ;   in Loop: Header=BB308_264 Depth=1
	v_add_co_u32 v1, s26, v13, v36
	v_add_co_ci_u32_e64 v2, null, 0, v14, s26
	v_mov_b32_e32 v14, 0
	v_mov_b32_e32 v13, 0
	global_load_dwordx2 v[1:2], v[1:2], off
	s_waitcnt vmcnt(0)
	v_cmp_ne_u16_sdwa s26, v1, v10 src0_sel:BYTE_0 src1_sel:DWORD
	s_and_saveexec_b32 s55, s26
	s_cbranch_execz .LBB308_458
; %bb.453:                              ;   in Loop: Header=BB308_264 Depth=1
	v_cmp_ne_u16_sdwa s26, v1, v31 src0_sel:BYTE_0 src1_sel:DWORD
	v_bfrev_b32_e32 v13, 1
	s_and_saveexec_b32 s56, s26
	s_cbranch_execz .LBB308_457
; %bb.454:                              ;   in Loop: Header=BB308_264 Depth=1
	v_and_b32_e32 v3, 0x7f, v1
	v_mov_b32_e32 v13, 0x7f800001
	s_mov_b32 s57, exec_lo
	v_cmpx_ne_u32_e32 0x7f, v3
	s_cbranch_execz .LBB308_456
; %bb.455:                              ;   in Loop: Header=BB308_264 Depth=1
	v_and_b32_e32 v4, 7, v1
	v_cmp_gt_u32_e64 s26, 8, v3
	v_lshrrev_b32_e32 v9, 3, v3
	v_ffbh_u32_e32 v4, v4
	v_min_u32_e32 v4, 32, v4
	v_subrev_nc_u32_e32 v13, 28, v4
	v_sub_nc_u32_e32 v4, 29, v4
	v_cndmask_b32_e64 v3, 0, v13, s26
	v_cndmask_b32_e64 v9, v9, v4, s26
	v_lshlrev_b64 v[3:4], v3, v[1:2]
	v_lshlrev_b32_e32 v4, 24, v1
	v_lshl_add_u32 v9, v9, 23, 0x3c000000
	v_lshlrev_b32_e32 v3, 20, v3
	v_and_b32_e32 v4, 0x80000000, v4
	v_and_b32_e32 v3, 0x700000, v3
	v_or3_b32 v13, v3, v4, v9
.LBB308_456:                            ;   in Loop: Header=BB308_264 Depth=1
	s_or_b32 exec_lo, exec_lo, s57
.LBB308_457:                            ;   in Loop: Header=BB308_264 Depth=1
	s_or_b32 exec_lo, exec_lo, s56
.LBB308_458:                            ;   in Loop: Header=BB308_264 Depth=1
	s_or_b32 exec_lo, exec_lo, s55
	v_cmp_ne_u16_sdwa s26, v1, v10 src0_sel:BYTE_1 src1_sel:DWORD
	s_and_saveexec_b32 s55, s26
	s_cbranch_execz .LBB308_466
; %bb.459:                              ;   in Loop: Header=BB308_264 Depth=1
	v_cmp_ne_u16_sdwa s26, v1, v31 src0_sel:BYTE_1 src1_sel:DWORD
	v_bfrev_b32_e32 v14, 1
	s_and_saveexec_b32 s56, s26
	s_cbranch_execz .LBB308_465
; %bb.460:                              ;   in Loop: Header=BB308_264 Depth=1
	v_and_b32_sdwa v3, v32, v1 dst_sel:DWORD dst_unused:UNUSED_PAD src0_sel:DWORD src1_sel:BYTE_1
	v_mov_b32_e32 v14, 0x7f800001
	s_mov_b32 s57, exec_lo
	v_and_b32_e32 v4, 0x7f, v3
	v_cmpx_ne_u32_e32 0x7f, v4
	s_cbranch_execz .LBB308_464
; %bb.461:                              ;   in Loop: Header=BB308_264 Depth=1
	v_and_b32_e32 v9, 7, v3
	v_lshrrev_b32_e32 v3, 3, v4
	s_mov_b32 s58, exec_lo
	v_cmpx_gt_u32_e32 8, v4
; %bb.462:                              ;   in Loop: Header=BB308_264 Depth=1
	v_ffbh_u32_e32 v3, v9
	v_min_u32_e32 v3, 32, v3
	v_subrev_nc_u32_e32 v4, 28, v3
	v_sub_nc_u32_e32 v3, 29, v3
	v_lshlrev_b64 v[42:43], v4, v[9:10]
	v_and_b32_e32 v9, 7, v42
; %bb.463:                              ;   in Loop: Header=BB308_264 Depth=1
	s_or_b32 exec_lo, exec_lo, s58
	v_lshlrev_b32_e32 v4, 16, v1
	v_lshlrev_b32_e32 v9, 20, v9
	v_lshl_add_u32 v3, v3, 23, 0x3c000000
	v_and_b32_e32 v4, 0x80000000, v4
	v_or3_b32 v14, v9, v4, v3
.LBB308_464:                            ;   in Loop: Header=BB308_264 Depth=1
	s_or_b32 exec_lo, exec_lo, s57
.LBB308_465:                            ;   in Loop: Header=BB308_264 Depth=1
	s_or_b32 exec_lo, exec_lo, s56
.LBB308_466:                            ;   in Loop: Header=BB308_264 Depth=1
	s_or_b32 exec_lo, exec_lo, s55
	v_and_b32_sdwa v3, v1, v33 dst_sel:DWORD dst_unused:UNUSED_PAD src0_sel:WORD_1 src1_sel:DWORD
	v_mov_b32_e32 v43, 0
	v_mov_b32_e32 v42, 0
	s_mov_b32 s55, exec_lo
	v_cmpx_ne_u16_e32 0, v3
	s_cbranch_execz .LBB308_474
; %bb.467:                              ;   in Loop: Header=BB308_264 Depth=1
	v_bfrev_b32_e32 v42, 1
	s_mov_b32 s56, exec_lo
	v_cmpx_ne_u16_e32 0x80, v3
	s_cbranch_execz .LBB308_473
; %bb.468:                              ;   in Loop: Header=BB308_264 Depth=1
	v_bfe_u32 v4, v1, 16, 7
	v_mov_b32_e32 v42, 0x7f800001
	s_mov_b32 s57, exec_lo
	v_cmpx_ne_u32_e32 0x7f, v4
	s_cbranch_execz .LBB308_472
; %bb.469:                              ;   in Loop: Header=BB308_264 Depth=1
	v_and_b32_sdwa v9, v1, v34 dst_sel:DWORD dst_unused:UNUSED_PAD src0_sel:WORD_1 src1_sel:DWORD
	v_lshrrev_b32_e32 v3, 3, v4
	s_mov_b32 s58, exec_lo
	v_cmpx_gt_u32_e32 8, v4
; %bb.470:                              ;   in Loop: Header=BB308_264 Depth=1
	v_ffbh_u32_e32 v3, v9
	v_min_u32_e32 v3, 32, v3
	v_subrev_nc_u32_e32 v4, 28, v3
	v_sub_nc_u32_e32 v3, 29, v3
	v_lshlrev_b64 v[63:64], v4, v[9:10]
	v_and_b32_e32 v9, 7, v63
; %bb.471:                              ;   in Loop: Header=BB308_264 Depth=1
	s_or_b32 exec_lo, exec_lo, s58
	v_lshlrev_b32_sdwa v4, v35, v1 dst_sel:DWORD dst_unused:UNUSED_PAD src0_sel:DWORD src1_sel:WORD_1
	v_lshlrev_b32_e32 v9, 20, v9
	v_lshl_add_u32 v3, v3, 23, 0x3c000000
	v_and_b32_e32 v4, 0x80000000, v4
	v_or3_b32 v42, v9, v4, v3
.LBB308_472:                            ;   in Loop: Header=BB308_264 Depth=1
	s_or_b32 exec_lo, exec_lo, s57
.LBB308_473:                            ;   in Loop: Header=BB308_264 Depth=1
	s_or_b32 exec_lo, exec_lo, s56
.LBB308_474:                            ;   in Loop: Header=BB308_264 Depth=1
	s_or_b32 exec_lo, exec_lo, s55
	s_mov_b32 s55, exec_lo
	v_cmpx_lt_u32_e32 0xffffff, v1
	s_cbranch_execz .LBB308_482
; %bb.475:                              ;   in Loop: Header=BB308_264 Depth=1
	v_cmp_ne_u32_sdwa s26, v1, v31 src0_sel:BYTE_3 src1_sel:DWORD
	v_bfrev_b32_e32 v43, 1
	s_and_saveexec_b32 s56, s26
	s_cbranch_execz .LBB308_481
; %bb.476:                              ;   in Loop: Header=BB308_264 Depth=1
	v_bfe_u32 v4, v1, 24, 7
	v_mov_b32_e32 v43, 0x7f800001
	s_mov_b32 s57, exec_lo
	v_cmpx_ne_u32_e32 0x7f, v4
	s_cbranch_execz .LBB308_480
; %bb.477:                              ;   in Loop: Header=BB308_264 Depth=1
	v_and_b32_sdwa v9, v1, v34 dst_sel:DWORD dst_unused:UNUSED_PAD src0_sel:BYTE_3 src1_sel:DWORD
	v_lshrrev_b32_e32 v3, 3, v4
	s_mov_b32 s58, exec_lo
	v_cmpx_gt_u32_e32 8, v4
; %bb.478:                              ;   in Loop: Header=BB308_264 Depth=1
	v_ffbh_u32_e32 v3, v9
	v_min_u32_e32 v3, 32, v3
	v_subrev_nc_u32_e32 v4, 28, v3
	v_sub_nc_u32_e32 v3, 29, v3
	v_lshlrev_b64 v[63:64], v4, v[9:10]
	v_and_b32_e32 v9, 7, v63
; %bb.479:                              ;   in Loop: Header=BB308_264 Depth=1
	s_or_b32 exec_lo, exec_lo, s58
	v_lshlrev_b32_sdwa v4, v35, v1 dst_sel:DWORD dst_unused:UNUSED_PAD src0_sel:DWORD src1_sel:BYTE_3
	v_lshlrev_b32_e32 v9, 20, v9
	v_lshl_add_u32 v3, v3, 23, 0x3c000000
	v_and_b32_e32 v4, 0x80000000, v4
	v_or3_b32 v43, v9, v4, v3
.LBB308_480:                            ;   in Loop: Header=BB308_264 Depth=1
	s_or_b32 exec_lo, exec_lo, s57
.LBB308_481:                            ;   in Loop: Header=BB308_264 Depth=1
	s_or_b32 exec_lo, exec_lo, s56
.LBB308_482:                            ;   in Loop: Header=BB308_264 Depth=1
	s_or_b32 exec_lo, exec_lo, s55
	v_mov_b32_e32 v9, v2
	v_cmp_ne_u16_sdwa s26, v2, v10 src0_sel:BYTE_0 src1_sel:DWORD
	v_mov_b32_e32 v3, 0
	v_mov_b32_e32 v63, 0
	s_and_saveexec_b32 s55, s26
	s_cbranch_execz .LBB308_488
; %bb.483:                              ;   in Loop: Header=BB308_264 Depth=1
	v_cmp_ne_u16_sdwa s26, v2, v31 src0_sel:BYTE_0 src1_sel:DWORD
	v_bfrev_b32_e32 v63, 1
	s_and_saveexec_b32 s56, s26
	s_cbranch_execz .LBB308_487
; %bb.484:                              ;   in Loop: Header=BB308_264 Depth=1
	v_and_b32_e32 v4, 0x7f, v2
	v_mov_b32_e32 v63, 0x7f800001
	s_mov_b32 s57, exec_lo
	v_cmpx_ne_u32_e32 0x7f, v4
	s_cbranch_execz .LBB308_486
; %bb.485:                              ;   in Loop: Header=BB308_264 Depth=1
	v_and_b32_e32 v63, 7, v2
	v_lshrrev_b32_e32 v64, 3, v4
	v_cmp_gt_u32_e64 s26, 8, v4
	v_ffbh_u32_e32 v63, v63
	v_min_u32_e32 v63, 32, v63
	v_subrev_nc_u32_e32 v65, 28, v63
	v_sub_nc_u32_e32 v63, 29, v63
	v_cndmask_b32_e64 v4, v64, v63, s26
	v_cndmask_b32_e64 v63, 0, v65, s26
	v_lshl_add_u32 v4, v4, 23, 0x3c000000
	v_lshlrev_b64 v[63:64], v63, v[9:10]
	v_lshlrev_b32_e32 v64, 24, v9
	v_lshlrev_b32_e32 v63, 20, v63
	v_and_b32_e32 v64, 0x80000000, v64
	v_and_b32_e32 v63, 0x700000, v63
	v_or3_b32 v63, v63, v64, v4
.LBB308_486:                            ;   in Loop: Header=BB308_264 Depth=1
	s_or_b32 exec_lo, exec_lo, s57
.LBB308_487:                            ;   in Loop: Header=BB308_264 Depth=1
	s_or_b32 exec_lo, exec_lo, s56
.LBB308_488:                            ;   in Loop: Header=BB308_264 Depth=1
	s_or_b32 exec_lo, exec_lo, s55
	v_cmp_ne_u16_sdwa s26, v9, v10 src0_sel:BYTE_1 src1_sel:DWORD
	s_and_saveexec_b32 s55, s26
	s_cbranch_execz .LBB308_496
; %bb.489:                              ;   in Loop: Header=BB308_264 Depth=1
	v_cmp_ne_u16_sdwa s26, v9, v31 src0_sel:BYTE_1 src1_sel:DWORD
	v_bfrev_b32_e32 v3, 1
	s_and_saveexec_b32 s56, s26
	s_cbranch_execz .LBB308_495
; %bb.490:                              ;   in Loop: Header=BB308_264 Depth=1
	v_and_b32_sdwa v4, v32, v9 dst_sel:DWORD dst_unused:UNUSED_PAD src0_sel:DWORD src1_sel:BYTE_1
	v_mov_b32_e32 v3, 0x7f800001
	s_mov_b32 s57, exec_lo
	v_and_b32_e32 v65, 0x7f, v4
	v_cmpx_ne_u32_e32 0x7f, v65
	s_cbranch_execz .LBB308_494
; %bb.491:                              ;   in Loop: Header=BB308_264 Depth=1
	v_and_b32_e32 v3, 7, v4
	v_mov_b32_e32 v4, v10
	v_lshrrev_b32_e32 v64, 3, v65
	s_mov_b32 s58, exec_lo
	v_cmpx_gt_u32_e32 8, v65
; %bb.492:                              ;   in Loop: Header=BB308_264 Depth=1
	v_ffbh_u32_e32 v64, v3
	v_min_u32_e32 v64, 32, v64
	v_subrev_nc_u32_e32 v65, 28, v64
	v_sub_nc_u32_e32 v64, 29, v64
	v_lshlrev_b64 v[3:4], v65, v[3:4]
	v_and_b32_e32 v3, 7, v3
; %bb.493:                              ;   in Loop: Header=BB308_264 Depth=1
	s_or_b32 exec_lo, exec_lo, s58
	v_lshlrev_b32_e32 v4, 16, v9
	v_lshlrev_b32_e32 v3, 20, v3
	v_lshl_add_u32 v9, v64, 23, 0x3c000000
	v_and_b32_e32 v4, 0x80000000, v4
	v_or3_b32 v3, v3, v4, v9
.LBB308_494:                            ;   in Loop: Header=BB308_264 Depth=1
	s_or_b32 exec_lo, exec_lo, s57
.LBB308_495:                            ;   in Loop: Header=BB308_264 Depth=1
	s_or_b32 exec_lo, exec_lo, s56
.LBB308_496:                            ;   in Loop: Header=BB308_264 Depth=1
	s_or_b32 exec_lo, exec_lo, s55
	v_and_b32_sdwa v9, v2, v33 dst_sel:DWORD dst_unused:UNUSED_PAD src0_sel:WORD_1 src1_sel:DWORD
	v_mov_b32_e32 v4, 0
	v_mov_b32_e32 v64, 0
	s_mov_b32 s55, exec_lo
	v_cmpx_ne_u16_e32 0, v9
	s_cbranch_execz .LBB308_504
; %bb.497:                              ;   in Loop: Header=BB308_264 Depth=1
	v_bfrev_b32_e32 v64, 1
	s_mov_b32 s56, exec_lo
	v_cmpx_ne_u16_e32 0x80, v9
	s_cbranch_execz .LBB308_503
; %bb.498:                              ;   in Loop: Header=BB308_264 Depth=1
	v_bfe_u32 v65, v2, 16, 7
	v_mov_b32_e32 v64, 0x7f800001
	s_mov_b32 s57, exec_lo
	v_cmpx_ne_u32_e32 0x7f, v65
	s_cbranch_execz .LBB308_502
; %bb.499:                              ;   in Loop: Header=BB308_264 Depth=1
	v_and_b32_sdwa v9, v2, v34 dst_sel:DWORD dst_unused:UNUSED_PAD src0_sel:WORD_1 src1_sel:DWORD
	v_lshrrev_b32_e32 v64, 3, v65
	s_mov_b32 s58, exec_lo
	v_cmpx_gt_u32_e32 8, v65
; %bb.500:                              ;   in Loop: Header=BB308_264 Depth=1
	v_ffbh_u32_e32 v64, v9
	v_min_u32_e32 v64, 32, v64
	v_subrev_nc_u32_e32 v65, 28, v64
	v_sub_nc_u32_e32 v64, 29, v64
	v_lshlrev_b64 v[65:66], v65, v[9:10]
	v_and_b32_e32 v9, 7, v65
; %bb.501:                              ;   in Loop: Header=BB308_264 Depth=1
	s_or_b32 exec_lo, exec_lo, s58
	v_lshlrev_b32_sdwa v65, v35, v2 dst_sel:DWORD dst_unused:UNUSED_PAD src0_sel:DWORD src1_sel:WORD_1
	v_lshlrev_b32_e32 v9, 20, v9
	v_lshl_add_u32 v64, v64, 23, 0x3c000000
	v_and_b32_e32 v65, 0x80000000, v65
	v_or3_b32 v64, v9, v65, v64
.LBB308_502:                            ;   in Loop: Header=BB308_264 Depth=1
	s_or_b32 exec_lo, exec_lo, s57
.LBB308_503:                            ;   in Loop: Header=BB308_264 Depth=1
	s_or_b32 exec_lo, exec_lo, s56
.LBB308_504:                            ;   in Loop: Header=BB308_264 Depth=1
	s_or_b32 exec_lo, exec_lo, s55
	s_mov_b32 s55, exec_lo
	v_cmpx_lt_u64_e64 s[40:41], v[1:2]
	s_cbranch_execz .LBB308_512
; %bb.505:                              ;   in Loop: Header=BB308_264 Depth=1
	v_cmp_ne_u32_sdwa s26, v2, v31 src0_sel:BYTE_3 src1_sel:DWORD
	v_bfrev_b32_e32 v4, 1
	s_and_saveexec_b32 s56, s26
	s_cbranch_execz .LBB308_511
; %bb.506:                              ;   in Loop: Header=BB308_264 Depth=1
	v_bfe_u32 v65, v2, 24, 7
	v_mov_b32_e32 v4, 0x7f800001
	s_mov_b32 s57, exec_lo
	v_cmpx_ne_u32_e32 0x7f, v65
	s_cbranch_execz .LBB308_510
; %bb.507:                              ;   in Loop: Header=BB308_264 Depth=1
	v_and_b32_sdwa v9, v2, v34 dst_sel:DWORD dst_unused:UNUSED_PAD src0_sel:BYTE_3 src1_sel:DWORD
	v_lshrrev_b32_e32 v1, 3, v65
	s_mov_b32 s58, exec_lo
	v_cmpx_gt_u32_e32 8, v65
; %bb.508:                              ;   in Loop: Header=BB308_264 Depth=1
	v_ffbh_u32_e32 v1, v9
	v_min_u32_e32 v1, 32, v1
	v_subrev_nc_u32_e32 v4, 28, v1
	v_sub_nc_u32_e32 v1, 29, v1
	v_lshlrev_b64 v[65:66], v4, v[9:10]
	v_and_b32_e32 v9, 7, v65
; %bb.509:                              ;   in Loop: Header=BB308_264 Depth=1
	s_or_b32 exec_lo, exec_lo, s58
	v_lshlrev_b32_sdwa v2, v35, v2 dst_sel:DWORD dst_unused:UNUSED_PAD src0_sel:DWORD src1_sel:BYTE_3
	v_lshlrev_b32_e32 v4, 20, v9
	v_lshl_add_u32 v1, v1, 23, 0x3c000000
	v_and_b32_e32 v2, 0x80000000, v2
	v_or3_b32 v4, v4, v2, v1
.LBB308_510:                            ;   in Loop: Header=BB308_264 Depth=1
	s_or_b32 exec_lo, exec_lo, s57
.LBB308_511:                            ;   in Loop: Header=BB308_264 Depth=1
	s_or_b32 exec_lo, exec_lo, s56
.LBB308_512:                            ;   in Loop: Header=BB308_264 Depth=1
	s_or_b32 exec_lo, exec_lo, s55
	v_mul_f32_e32 v1, s53, v3
	v_mul_f32_e32 v2, s53, v63
	;; [unrolled: 1-line block ×5, first 2 shown]
	v_bfe_u32 v9, v1, 16, 1
	v_or_b32_e32 v43, 0x400000, v1
	v_bfe_u32 v63, v2, 16, 1
	v_cmp_u_f32_e64 s26, v1, v1
	v_or_b32_e32 v65, 0x400000, v2
	v_add3_u32 v9, v9, v1, 0x7fff
	v_bfe_u32 v66, v3, 16, 1
	v_add3_u32 v63, v63, v2, 0x7fff
	v_or_b32_e32 v67, 0x400000, v3
	v_bfe_u32 v68, v42, 16, 1
	v_cndmask_b32_e64 v1, v9, v43, s26
	v_cmp_u_f32_e64 s26, v2, v2
	v_add3_u32 v66, v66, v3, 0x7fff
	v_mul_f32_e32 v13, s53, v13
	v_add3_u32 v43, v68, v42, 0x7fff
	v_lshrrev_b32_e32 v2, 16, v1
	v_cndmask_b32_e64 v9, v63, v65, s26
	v_cmp_u_f32_e64 s26, v3, v3
	v_or_b32_e32 v63, 0x400000, v42
	v_mul_f32_e32 v4, s53, v4
	v_lshrrev_b32_e32 v1, 16, v9
	v_cndmask_b32_e64 v3, v66, v67, s26
	v_cmp_u_f32_e64 s26, v42, v42
	v_or_b32_e32 v67, 0x400000, v4
	v_lshrrev_b32_e32 v9, 16, v3
	v_bfe_u32 v3, v14, 16, 1
	v_cndmask_b32_e64 v42, v43, v63, s26
	v_mul_f32_e32 v43, s53, v64
	v_or_b32_e32 v63, 0x400000, v14
	v_bfe_u32 v64, v13, 16, 1
	v_add3_u32 v3, v3, v14, 0x7fff
	v_cmp_u_f32_e64 s26, v14, v14
	v_bfe_u32 v65, v43, 16, 1
	v_bfe_u32 v14, v4, 16, 1
	v_or_b32_e32 v66, 0x400000, v43
	v_cndmask_b32_e64 v3, v3, v63, s26
	v_add3_u32 v63, v64, v13, 0x7fff
	v_or_b32_e32 v64, 0x400000, v13
	v_cmp_u_f32_e64 s26, v13, v13
	v_add3_u32 v65, v65, v43, 0x7fff
	v_add3_u32 v14, v14, v4, 0x7fff
	v_lshrrev_b32_e32 v13, 16, v42
	v_lshrrev_b32_e32 v42, 16, v3
	v_cndmask_b32_e64 v63, v63, v64, s26
	v_cmp_u_f32_e64 s26, v43, v43
	v_cndmask_b32_e64 v43, v65, v66, s26
	v_cmp_u_f32_e64 s26, v4, v4
	v_lshrrev_b32_e32 v3, 16, v43
	v_cndmask_b32_e64 v4, v14, v67, s26
	v_lshrrev_b32_e32 v14, 16, v63
	v_lshrrev_b32_e32 v4, 16, v4
	s_and_saveexec_b32 s26, s0
	s_cbranch_execz .LBB308_261
; %bb.513:                              ;   in Loop: Header=BB308_264 Depth=1
	v_add_nc_u32_e32 v43, 1, v24
	v_cmp_gt_i32_e64 s0, s35, v24
	v_add_nc_u32_e32 v63, 2, v24
	v_add_nc_u32_e32 v64, 3, v24
	v_cndmask_b32_e64 v14, 0, v14, s0
	v_cmp_gt_i32_e64 s0, s35, v43
	v_add_nc_u32_e32 v43, 4, v24
	v_cndmask_b32_e64 v42, 0, v42, s0
	v_cmp_gt_i32_e64 s0, s35, v63
	;; [unrolled: 3-line block ×5, first 2 shown]
	v_cndmask_b32_e64 v2, 0, v2, s0
	v_cmp_gt_i32_e64 s0, s35, v64
	v_cndmask_b32_e64 v3, 0, v3, s0
	v_cmp_gt_i32_e64 s0, s35, v43
	v_cndmask_b32_e64 v4, 0, v4, s0
	s_branch .LBB308_261
.LBB308_514:
	s_or_b32 exec_lo, exec_lo, s51
.LBB308_515:
	s_or_b32 exec_lo, exec_lo, s46
	s_movk_i32 s0, 0x1c0
	v_and_b32_e32 v1, 0x3c0, v0
	v_mad_u32_u24 v4, v23, s0, 0x100
	v_or_b32_e32 v3, 0x60, v0
	s_mov_b32 s0, exec_lo
	s_barrier
	buffer_gl0_inv
	v_cmpx_eq_u32_e32 64, v1
	s_cbranch_execz .LBB308_518
; %bb.516:
	v_add_nc_u32_e32 v1, 0xfffffc80, v4
	v_cmp_gt_u32_e32 vcc_lo, 0x70, v3
	v_lshl_add_u32 v2, v21, 2, v1
	ds_write2_b32 v2, v28, v27 offset1:32
	ds_write_b32 v2, v26 offset:256
	s_and_b32 exec_lo, exec_lo, vcc_lo
; %bb.517:
	v_lshl_add_u32 v1, v3, 2, v1
	ds_write_b32 v1, v25
.LBB308_518:
	s_or_b32 exec_lo, exec_lo, s0
	v_lshl_add_u32 v5, v21, 2, v4
	s_mov_b32 s0, exec_lo
	s_waitcnt lgkmcnt(0)
	s_barrier
	buffer_gl0_inv
	v_cmpx_gt_u32_e32 64, v0
	s_cbranch_execz .LBB308_522
; %bb.519:
	v_lshl_or_b32 v1, v0, 2, 0x80
	s_mov_b32 s1, exec_lo
	v_add_nc_u32_e32 v6, v4, v1
	ds_read2st64_b32 v[1:2], v5 offset1:1
	ds_read_b32 v6, v6
	v_cmpx_gt_u32_e32 0x70, v3
	s_cbranch_execz .LBB308_521
; %bb.520:
	v_lshl_add_u32 v7, v3, 2, v4
	ds_read_b32 v7, v7
	s_waitcnt lgkmcnt(0)
	v_add_f32_e32 v25, v25, v7
.LBB308_521:
	s_or_b32 exec_lo, exec_lo, s1
	s_waitcnt lgkmcnt(1)
	v_add_f32_e32 v28, v28, v1
	s_waitcnt lgkmcnt(0)
	v_add_f32_e32 v27, v27, v6
	v_add_f32_e32 v26, v26, v2
.LBB308_522:
	s_or_b32 exec_lo, exec_lo, s0
	v_and_b32_e32 v1, 0x3e0, v0
	s_mov_b32 s0, exec_lo
	s_barrier
	buffer_gl0_inv
	v_cmpx_eq_u32_e32 32, v1
	s_cbranch_execz .LBB308_525
; %bb.523:
	v_lshl_add_u32 v1, v21, 2, 0x100
	v_cmp_gt_u32_e32 vcc_lo, 0x70, v3
	ds_write_b32 v1, v28
	ds_write_b32 v22, v27
	ds_write_b32 v1, v26 offset:256
	s_and_b32 exec_lo, exec_lo, vcc_lo
; %bb.524:
	v_lshl_add_u32 v1, v3, 2, 0x100
	ds_write_b32 v1, v25
.LBB308_525:
	s_or_b32 exec_lo, exec_lo, s0
	v_cmp_gt_u32_e32 vcc_lo, 32, v0
	s_waitcnt lgkmcnt(0)
	s_barrier
	buffer_gl0_inv
	s_and_saveexec_b32 s1, vcc_lo
	s_cbranch_execz .LBB308_529
; %bb.526:
	v_lshl_add_u32 v6, v0, 2, v4
	s_mov_b32 s2, exec_lo
	ds_read_b32 v4, v5
	ds_read2_b32 v[1:2], v6 offset0:32 offset1:64
	v_cmpx_gt_u32_e32 0x70, v3
	s_cbranch_execz .LBB308_528
; %bb.527:
	ds_read_b32 v5, v6 offset:384
	s_waitcnt lgkmcnt(0)
	v_add_f32_e32 v25, v25, v5
.LBB308_528:
	s_or_b32 exec_lo, exec_lo, s2
	s_waitcnt lgkmcnt(1)
	v_add_f32_e32 v28, v28, v4
	s_waitcnt lgkmcnt(0)
	v_add_f32_e32 v27, v27, v1
	v_add_f32_e32 v26, v26, v2
.LBB308_529:
	s_or_b32 exec_lo, exec_lo, s1
	s_barrier
	buffer_gl0_inv
	s_and_saveexec_b32 s0, vcc_lo
	s_cbranch_execz .LBB308_532
; %bb.530:
	v_bfe_u32 v1, v28, 16, 1
	s_mul_i32 s0, s34, s33
	v_bfe_u32 v2, v27, 16, 1
	s_mul_i32 s0, s0, s27
	v_or_b32_e32 v5, 0x400000, v28
	v_add3_u32 v1, v1, v28, 0x7fff
	v_cmp_u_f32_e32 vcc_lo, v28, v28
	s_mulk_i32 s0, 0x70
	v_bfe_u32 v4, v26, 16, 1
	s_ashr_i32 s1, s0, 31
	v_add3_u32 v2, v2, v27, 0x7fff
	s_lshl_b64 s[0:1], s[0:1], 1
	v_or_b32_e32 v6, 0x400000, v27
	v_cndmask_b32_e32 v1, v1, v5, vcc_lo
	v_cmp_u_f32_e32 vcc_lo, v27, v27
	s_mul_i32 s2, s33, s36
	s_add_u32 s5, s38, s0
	s_addc_u32 s6, s39, s1
	s_ashr_i32 s3, s2, 31
	v_add3_u32 v4, v4, v26, 0x7fff
	s_lshl_b64 s[0:1], s[2:3], 1
	v_or_b32_e32 v7, 0x400000, v26
	v_cndmask_b32_e32 v2, v2, v6, vcc_lo
	v_cmp_u_f32_e32 vcc_lo, v26, v26
	s_mul_i32 s4, s8, 0x70
	s_add_u32 s2, s5, s0
	s_addc_u32 s3, s6, s1
	s_ashr_i32 s5, s4, 31
	v_lshlrev_b32_e32 v0, 1, v0
	s_lshl_b64 s[0:1], s[4:5], 1
	v_cndmask_b32_e32 v4, v4, v7, vcc_lo
	v_cmp_gt_u32_e32 vcc_lo, 0x70, v3
	s_add_u32 s0, s2, s0
	s_addc_u32 s1, s3, s1
	global_store_short_d16_hi v0, v1, s[0:1]
	global_store_short_d16_hi v0, v2, s[0:1] offset:64
	global_store_short_d16_hi v0, v4, s[0:1] offset:128
	s_and_b32 exec_lo, exec_lo, vcc_lo
	s_cbranch_execz .LBB308_532
; %bb.531:
	v_bfe_u32 v1, v25, 16, 1
	v_or_b32_e32 v2, 0x400000, v25
	v_cmp_u_f32_e32 vcc_lo, v25, v25
	v_add_co_u32 v0, s0, s0, v0
	v_add3_u32 v3, v1, v25, 0x7fff
	v_add_co_ci_u32_e64 v1, null, s1, 0, s0
	v_cndmask_b32_e32 v2, v3, v2, vcc_lo
	global_store_short_d16_hi v[0:1], v2, off offset:192
.LBB308_532:
	s_endpgm
	.section	.rodata,"a",@progbits
	.p2align	6, 0x0
	.amdhsa_kernel _ZN4vllm25paged_attention_v1_kernelI14__hip_bfloat16hLi112ELi8ELi128ELNS_18Fp8KVCacheDataTypeE1ELb1EEEvPT_PKS3_PKT0_S9_ifPKiSB_iPKfiiiSD_SD_iiiii
		.amdhsa_group_segment_fixed_size 256
		.amdhsa_private_segment_fixed_size 0
		.amdhsa_kernarg_size 384
		.amdhsa_user_sgpr_count 6
		.amdhsa_user_sgpr_private_segment_buffer 1
		.amdhsa_user_sgpr_dispatch_ptr 0
		.amdhsa_user_sgpr_queue_ptr 0
		.amdhsa_user_sgpr_kernarg_segment_ptr 1
		.amdhsa_user_sgpr_dispatch_id 0
		.amdhsa_user_sgpr_flat_scratch_init 0
		.amdhsa_user_sgpr_private_segment_size 0
		.amdhsa_wavefront_size32 1
		.amdhsa_uses_dynamic_stack 0
		.amdhsa_system_sgpr_private_segment_wavefront_offset 0
		.amdhsa_system_sgpr_workgroup_id_x 1
		.amdhsa_system_sgpr_workgroup_id_y 1
		.amdhsa_system_sgpr_workgroup_id_z 1
		.amdhsa_system_sgpr_workgroup_info 0
		.amdhsa_system_vgpr_workitem_id 0
		.amdhsa_next_free_vgpr 79
		.amdhsa_next_free_sgpr 59
		.amdhsa_reserve_vcc 1
		.amdhsa_reserve_flat_scratch 0
		.amdhsa_float_round_mode_32 0
		.amdhsa_float_round_mode_16_64 0
		.amdhsa_float_denorm_mode_32 3
		.amdhsa_float_denorm_mode_16_64 3
		.amdhsa_dx10_clamp 1
		.amdhsa_ieee_mode 1
		.amdhsa_fp16_overflow 0
		.amdhsa_workgroup_processor_mode 1
		.amdhsa_memory_ordered 1
		.amdhsa_forward_progress 1
		.amdhsa_shared_vgpr_count 0
		.amdhsa_exception_fp_ieee_invalid_op 0
		.amdhsa_exception_fp_denorm_src 0
		.amdhsa_exception_fp_ieee_div_zero 0
		.amdhsa_exception_fp_ieee_overflow 0
		.amdhsa_exception_fp_ieee_underflow 0
		.amdhsa_exception_fp_ieee_inexact 0
		.amdhsa_exception_int_div_zero 0
	.end_amdhsa_kernel
	.section	.text._ZN4vllm25paged_attention_v1_kernelI14__hip_bfloat16hLi112ELi8ELi128ELNS_18Fp8KVCacheDataTypeE1ELb1EEEvPT_PKS3_PKT0_S9_ifPKiSB_iPKfiiiSD_SD_iiiii,"axG",@progbits,_ZN4vllm25paged_attention_v1_kernelI14__hip_bfloat16hLi112ELi8ELi128ELNS_18Fp8KVCacheDataTypeE1ELb1EEEvPT_PKS3_PKT0_S9_ifPKiSB_iPKfiiiSD_SD_iiiii,comdat
.Lfunc_end308:
	.size	_ZN4vllm25paged_attention_v1_kernelI14__hip_bfloat16hLi112ELi8ELi128ELNS_18Fp8KVCacheDataTypeE1ELb1EEEvPT_PKS3_PKT0_S9_ifPKiSB_iPKfiiiSD_SD_iiiii, .Lfunc_end308-_ZN4vllm25paged_attention_v1_kernelI14__hip_bfloat16hLi112ELi8ELi128ELNS_18Fp8KVCacheDataTypeE1ELb1EEEvPT_PKS3_PKT0_S9_ifPKiSB_iPKfiiiSD_SD_iiiii
                                        ; -- End function
	.set _ZN4vllm25paged_attention_v1_kernelI14__hip_bfloat16hLi112ELi8ELi128ELNS_18Fp8KVCacheDataTypeE1ELb1EEEvPT_PKS3_PKT0_S9_ifPKiSB_iPKfiiiSD_SD_iiiii.num_vgpr, 79
	.set _ZN4vllm25paged_attention_v1_kernelI14__hip_bfloat16hLi112ELi8ELi128ELNS_18Fp8KVCacheDataTypeE1ELb1EEEvPT_PKS3_PKT0_S9_ifPKiSB_iPKfiiiSD_SD_iiiii.num_agpr, 0
	.set _ZN4vllm25paged_attention_v1_kernelI14__hip_bfloat16hLi112ELi8ELi128ELNS_18Fp8KVCacheDataTypeE1ELb1EEEvPT_PKS3_PKT0_S9_ifPKiSB_iPKfiiiSD_SD_iiiii.numbered_sgpr, 59
	.set _ZN4vllm25paged_attention_v1_kernelI14__hip_bfloat16hLi112ELi8ELi128ELNS_18Fp8KVCacheDataTypeE1ELb1EEEvPT_PKS3_PKT0_S9_ifPKiSB_iPKfiiiSD_SD_iiiii.num_named_barrier, 0
	.set _ZN4vllm25paged_attention_v1_kernelI14__hip_bfloat16hLi112ELi8ELi128ELNS_18Fp8KVCacheDataTypeE1ELb1EEEvPT_PKS3_PKT0_S9_ifPKiSB_iPKfiiiSD_SD_iiiii.private_seg_size, 0
	.set _ZN4vllm25paged_attention_v1_kernelI14__hip_bfloat16hLi112ELi8ELi128ELNS_18Fp8KVCacheDataTypeE1ELb1EEEvPT_PKS3_PKT0_S9_ifPKiSB_iPKfiiiSD_SD_iiiii.uses_vcc, 1
	.set _ZN4vllm25paged_attention_v1_kernelI14__hip_bfloat16hLi112ELi8ELi128ELNS_18Fp8KVCacheDataTypeE1ELb1EEEvPT_PKS3_PKT0_S9_ifPKiSB_iPKfiiiSD_SD_iiiii.uses_flat_scratch, 0
	.set _ZN4vllm25paged_attention_v1_kernelI14__hip_bfloat16hLi112ELi8ELi128ELNS_18Fp8KVCacheDataTypeE1ELb1EEEvPT_PKS3_PKT0_S9_ifPKiSB_iPKfiiiSD_SD_iiiii.has_dyn_sized_stack, 0
	.set _ZN4vllm25paged_attention_v1_kernelI14__hip_bfloat16hLi112ELi8ELi128ELNS_18Fp8KVCacheDataTypeE1ELb1EEEvPT_PKS3_PKT0_S9_ifPKiSB_iPKfiiiSD_SD_iiiii.has_recursion, 0
	.set _ZN4vllm25paged_attention_v1_kernelI14__hip_bfloat16hLi112ELi8ELi128ELNS_18Fp8KVCacheDataTypeE1ELb1EEEvPT_PKS3_PKT0_S9_ifPKiSB_iPKfiiiSD_SD_iiiii.has_indirect_call, 0
	.section	.AMDGPU.csdata,"",@progbits
; Kernel info:
; codeLenInByte = 21424
; TotalNumSgprs: 61
; NumVgprs: 79
; ScratchSize: 0
; MemoryBound: 0
; FloatMode: 240
; IeeeMode: 1
; LDSByteSize: 256 bytes/workgroup (compile time only)
; SGPRBlocks: 0
; VGPRBlocks: 9
; NumSGPRsForWavesPerEU: 61
; NumVGPRsForWavesPerEU: 79
; Occupancy: 12
; WaveLimiterHint : 1
; COMPUTE_PGM_RSRC2:SCRATCH_EN: 0
; COMPUTE_PGM_RSRC2:USER_SGPR: 6
; COMPUTE_PGM_RSRC2:TRAP_HANDLER: 0
; COMPUTE_PGM_RSRC2:TGID_X_EN: 1
; COMPUTE_PGM_RSRC2:TGID_Y_EN: 1
; COMPUTE_PGM_RSRC2:TGID_Z_EN: 1
; COMPUTE_PGM_RSRC2:TIDIG_COMP_CNT: 0
	.section	.text._ZN4vllm25paged_attention_v1_kernelI14__hip_bfloat16hLi120ELi8ELi128ELNS_18Fp8KVCacheDataTypeE1ELb1EEEvPT_PKS3_PKT0_S9_ifPKiSB_iPKfiiiSD_SD_iiiii,"axG",@progbits,_ZN4vllm25paged_attention_v1_kernelI14__hip_bfloat16hLi120ELi8ELi128ELNS_18Fp8KVCacheDataTypeE1ELb1EEEvPT_PKS3_PKT0_S9_ifPKiSB_iPKfiiiSD_SD_iiiii,comdat
	.protected	_ZN4vllm25paged_attention_v1_kernelI14__hip_bfloat16hLi120ELi8ELi128ELNS_18Fp8KVCacheDataTypeE1ELb1EEEvPT_PKS3_PKT0_S9_ifPKiSB_iPKfiiiSD_SD_iiiii ; -- Begin function _ZN4vllm25paged_attention_v1_kernelI14__hip_bfloat16hLi120ELi8ELi128ELNS_18Fp8KVCacheDataTypeE1ELb1EEEvPT_PKS3_PKT0_S9_ifPKiSB_iPKfiiiSD_SD_iiiii
	.globl	_ZN4vllm25paged_attention_v1_kernelI14__hip_bfloat16hLi120ELi8ELi128ELNS_18Fp8KVCacheDataTypeE1ELb1EEEvPT_PKS3_PKT0_S9_ifPKiSB_iPKfiiiSD_SD_iiiii
	.p2align	8
	.type	_ZN4vllm25paged_attention_v1_kernelI14__hip_bfloat16hLi120ELi8ELi128ELNS_18Fp8KVCacheDataTypeE1ELb1EEEvPT_PKS3_PKT0_S9_ifPKiSB_iPKfiiiSD_SD_iiiii,@function
_ZN4vllm25paged_attention_v1_kernelI14__hip_bfloat16hLi120ELi8ELi128ELNS_18Fp8KVCacheDataTypeE1ELb1EEEvPT_PKS3_PKT0_S9_ifPKiSB_iPKfiiiSD_SD_iiiii: ; @_ZN4vllm25paged_attention_v1_kernelI14__hip_bfloat16hLi120ELi8ELi128ELNS_18Fp8KVCacheDataTypeE1ELb1EEEvPT_PKS3_PKT0_S9_ifPKiSB_iPKfiiiSD_SD_iiiii
; %bb.0:
	s_clause 0x2
	s_load_dword s27, s[4:5], 0x80
	s_load_dwordx2 s[0:1], s[4:5], 0x30
	s_load_dwordx2 s[22:23], s[4:5], 0x20
	s_mov_b32 s34, s7
	s_ashr_i32 s35, s7, 31
	s_mov_b32 s24, 0
	s_lshl_b64 s[2:3], s[34:35], 2
	s_waitcnt lgkmcnt(0)
	s_add_u32 s0, s0, s2
	s_addc_u32 s1, s1, s3
	s_abs_i32 s2, s22
	s_abs_i32 s9, s27
	v_cvt_f32_u32_e32 v1, s2
	s_sub_i32 s7, 0, s2
	v_rcp_iflag_f32_e32 v1, v1
	v_mul_f32_e32 v1, 0x4f7ffffe, v1
	v_cvt_u32_f32_e32 v1, v1
	v_readfirstlane_b32 s3, v1
	s_mul_i32 s7, s7, s3
	s_mul_hi_u32 s7, s3, s7
	s_add_i32 s3, s3, s7
	s_xor_b32 s7, s27, s22
	s_mul_hi_u32 s3, s9, s3
	s_ashr_i32 s7, s7, 31
	s_mul_i32 s10, s3, s2
	s_sub_i32 s9, s9, s10
	s_add_i32 s10, s3, 1
	s_sub_i32 s11, s9, s2
	s_cmp_ge_u32 s9, s2
	s_cselect_b32 s3, s10, s3
	s_cselect_b32 s9, s11, s9
	s_add_i32 s10, s3, 1
	s_cmp_ge_u32 s9, s2
	s_cselect_b32 s2, s10, s3
	s_xor_b32 s2, s2, s7
	s_sub_i32 s16, s2, s7
	s_load_dwordx2 s[2:3], s[4:5], 0x40
	s_abs_i32 s9, s16
	v_cvt_f32_u32_e32 v1, s9
	s_sub_i32 s10, 0, s9
	v_rcp_iflag_f32_e32 v1, v1
	v_mul_f32_e32 v1, 0x4f7ffffe, v1
	v_cvt_u32_f32_e32 v1, v1
	v_readfirstlane_b32 s7, v1
	s_mul_i32 s10, s10, s7
	s_mul_hi_u32 s11, s7, s10
	s_abs_i32 s10, s6
	s_add_i32 s7, s7, s11
	s_waitcnt lgkmcnt(0)
	s_cmp_eq_u64 s[2:3], 0
	s_mul_hi_u32 s11, s10, s7
	s_cbranch_scc1 .LBB309_2
; %bb.1:
	s_ashr_i32 s7, s6, 31
	s_lshl_b64 s[12:13], s[6:7], 2
	s_add_u32 s2, s2, s12
	s_addc_u32 s3, s3, s13
	s_load_dword s24, s[2:3], 0x0
.LBB309_2:
	s_load_dword s35, s[0:1], 0x0
	s_load_dwordx4 s[12:15], s[4:5], 0x48
	v_and_b32_e32 v1, 3, v0
	s_ashr_i32 s0, s6, 31
	s_ashr_i32 s1, s16, 31
	s_mul_i32 s36, s6, 0x78
	s_mov_b32 s2, exec_lo
	v_cmpx_gt_u32_e32 60, v0
	s_cbranch_execz .LBB309_4
; %bb.3:
	s_load_dwordx2 s[16:17], s[4:5], 0x8
	s_waitcnt lgkmcnt(0)
	s_mul_i32 s18, s12, s34
	v_lshlrev_b32_e32 v2, 2, v0
	s_ashr_i32 s19, s18, 31
	v_and_b32_e32 v3, 0x3fc, v0
	s_lshl_b64 s[18:19], s[18:19], 1
	v_mad_u32_u24 v3, v1, 60, v3
	s_add_u32 s3, s16, s18
	s_addc_u32 s7, s17, s19
	s_ashr_i32 s37, s36, 31
	s_lshl_b64 s[16:17], s[36:37], 1
	s_add_u32 s16, s3, s16
	s_addc_u32 s17, s7, s17
	global_load_dword v2, v2, s[16:17]
	s_waitcnt vmcnt(0)
	ds_write_b32 v3, v2
.LBB309_4:
	s_or_b32 exec_lo, exec_lo, s2
	s_load_dwordx4 s[16:19], s[4:5], 0x68
	s_mul_i32 s2, s11, s9
	s_xor_b32 s1, s0, s1
	s_sub_i32 s0, s10, s2
	s_add_i32 s2, s11, 1
	s_sub_i32 s3, s0, s9
	s_cmp_ge_u32 s0, s9
	s_mov_b32 s7, -1
	s_cselect_b32 s2, s2, s11
	s_cselect_b32 s0, s3, s0
	s_add_i32 s3, s2, 1
	s_cmp_ge_u32 s0, s9
	s_load_dword s0, s[4:5], 0x78
	s_cselect_b32 s2, s3, s2
	s_waitcnt lgkmcnt(0)
	s_add_i32 s3, s35, -1
	s_xor_b32 s2, s2, s1
	s_sub_i32 s9, s2, s1
	s_abs_i32 s2, s3
	s_barrier
	s_abs_i32 s37, s19
	buffer_gl0_inv
	v_cvt_f32_u32_e32 v2, s37
	s_sub_i32 s1, 0, s37
                                        ; implicit-def: $sgpr43
	v_rcp_iflag_f32_e32 v2, v2
	v_mul_f32_e32 v2, 0x4f7ffffe, v2
	v_cvt_u32_f32_e32 v2, v2
	v_readfirstlane_b32 s42, v2
	s_mul_i32 s1, s1, s42
	s_mul_hi_u32 s1, s42, s1
	s_add_i32 s42, s42, s1
	s_cmp_lt_i32 s0, 0
	s_mul_hi_u32 s1, s2, s42
	s_cbranch_scc0 .LBB309_6
; %bb.5:
	s_mul_i32 s7, s16, s22
	s_add_i32 s7, s9, s7
	s_mul_i32 s7, s7, s0
	s_sub_i32 s43, 1, s7
	s_mov_b32 s7, 0
.LBB309_6:
	s_load_dwordx2 s[10:11], s[4:5], 0x28
	s_ashr_i32 s3, s3, 31
	s_andn2_b32 vcc_lo, exec_lo, s7
	s_ashr_i32 s44, s19, 31
	s_cbranch_vccnz .LBB309_8
; %bb.7:
	s_mul_i32 s7, s27, s16
	s_add_i32 s6, s7, s6
	s_mul_i32 s0, s6, s0
	s_add_i32 s43, s0, 1
.LBB309_8:
	s_clause 0x2
	s_load_dword s0, s[4:5], 0x38
	s_load_dwordx2 s[38:39], s[4:5], 0x0
	s_load_dwordx2 s[20:21], s[4:5], 0x18
	s_mul_i32 s6, s1, s37
	s_xor_b32 s3, s3, s44
	s_sub_i32 s2, s2, s6
	s_add_i32 s12, s1, 1
	s_clause 0x1
	s_load_dword s33, s[4:5], 0x88
	s_load_dwordx4 s[28:31], s[4:5], 0x58
	v_lshrrev_b32_e32 v23, 5, v0
	v_mov_b32_e32 v27, 0xff7fffff
	v_lshrrev_b32_e32 v30, 3, v0
	v_mbcnt_lo_u32_b32 v25, -1, 0
	s_mul_i32 s9, s9, s14
	v_lshlrev_b32_e32 v24, 3, v23
	s_waitcnt lgkmcnt(0)
	s_mul_i32 s6, s0, s34
	s_sub_i32 s0, s2, s37
	s_ashr_i32 s7, s6, 31
	s_cmp_ge_u32 s2, s37
	s_cselect_b32 s1, s12, s1
	s_cselect_b32 s0, s0, s2
	s_add_i32 s2, s1, 1
	s_cmp_ge_u32 s0, s37
	s_cselect_b32 s0, s2, s1
	s_add_i32 s1, s35, 7
	s_ashr_i32 s2, s1, 31
	s_lshr_b32 s2, s2, 29
	s_add_i32 s1, s1, s2
	s_ashr_i32 s45, s1, 3
	s_xor_b32 s1, s0, s3
	v_cmp_gt_i32_e64 s0, s45, v23
	s_sub_i32 s12, s1, s3
	s_and_saveexec_b32 s14, s0
	s_cbranch_execz .LBB309_260
; %bb.9:
	s_load_dwordx2 s[2:3], s[4:5], 0x10
	s_sub_i32 s4, s12, s17
	s_ashr_i32 s1, s9, 31
	v_bfe_u32 v26, v0, 2, 3
	v_cmp_eq_u32_e32 vcc_lo, 0, v1
	v_lshlrev_b32_e32 v5, 1, v1
	v_mul_u32_u24_e32 v28, 60, v1
	v_and_b32_e32 v1, 0x7c, v30
	v_lshlrev_b32_e32 v4, 2, v26
	v_subrev_nc_u32_e32 v6, s35, v26
	v_lshlrev_b32_e32 v29, 3, v23
	v_mov_b32_e32 v31, 0xff7fffff
	v_mov_b32_e32 v32, 0x80
	v_lshl_or_b32 v4, v23, 5, v4
	v_add_nc_u32_e32 v34, 1, v6
	v_mov_b32_e32 v33, 0xffff
	v_mov_b32_e32 v27, 0xff7fffff
	;; [unrolled: 1-line block ×3, first 2 shown]
	v_add_nc_u32_e32 v35, 0x110, v4
	s_waitcnt lgkmcnt(0)
	s_add_u32 s15, s2, s9
	s_addc_u32 s16, s3, s1
	s_abs_i32 s5, s18
	v_cmp_neq_f32_e64 s1, s24, 0
	v_cvt_f32_u32_e32 v2, s5
	s_sub_i32 s2, 0, s5
	v_rcp_iflag_f32_e32 v3, v2
	v_mov_b32_e32 v2, 0
	v_mul_f32_e32 v3, 0x4f7ffffe, v3
	v_cvt_u32_f32_e32 v7, v3
	v_lshlrev_b32_e32 v3, 4, v26
	v_mul_lo_u32 v4, s2, v7
	s_lshl_b64 s[2:3], s[6:7], 2
	v_add_co_u32 v6, s15, s15, v3
	s_add_u32 s2, s10, s2
	v_add_co_ci_u32_e64 v8, null, s16, 0, s15
	s_addc_u32 s3, s11, s3
	v_mul_hi_u32 v9, v7, v4
	v_add_co_u32 v3, s2, s2, v1
	v_add_co_ci_u32_e64 v4, null, s3, 0, s2
	v_add_co_u32 v5, s2, v6, v5
	v_add_co_ci_u32_e64 v6, null, 0, v8, s2
	v_add_nc_u32_e32 v36, v7, v9
	s_mov_b32 s15, 0
	s_mov_b32 s16, s13
	s_branch .LBB309_12
.LBB309_10:                             ;   in Loop: Header=BB309_12 Depth=1
	s_or_b32 exec_lo, exec_lo, s19
.LBB309_11:                             ;   in Loop: Header=BB309_12 Depth=1
	s_or_b32 exec_lo, exec_lo, s3
	v_add_nc_u32_e32 v37, 4, v37
	v_add_co_u32 v3, s3, v3, 16
	v_add_co_ci_u32_e64 v4, null, 0, v4, s3
	v_cmp_le_i32_e64 s2, s45, v37
	v_add_nc_u32_e32 v29, 32, v29
	v_add_nc_u32_e32 v35, 0x80, v35
	s_or_b32 s15, s2, s15
	s_andn2_b32 exec_lo, exec_lo, s15
	s_cbranch_execz .LBB309_259
.LBB309_12:                             ; =>This Inner Loop Header: Depth=1
	v_mul_hi_u32 v1, v29, s42
	s_waitcnt lgkmcnt(0)
	v_mul_lo_u32 v7, v1, s37
	v_add_nc_u32_e32 v8, 1, v1
	v_sub_nc_u32_e32 v7, v29, v7
	v_subrev_nc_u32_e32 v9, s37, v7
	v_cmp_le_u32_e64 s2, s37, v7
	v_cndmask_b32_e64 v1, v1, v8, s2
	v_cndmask_b32_e64 v7, v7, v9, s2
	v_add_nc_u32_e32 v8, 1, v1
	v_cmp_le_u32_e64 s2, s37, v7
	v_cndmask_b32_e64 v1, v1, v8, s2
	v_xor_b32_e32 v1, s44, v1
	v_subrev_nc_u32_e32 v1, s44, v1
	v_add_nc_u32_e32 v7, s43, v1
	v_cmp_ge_i32_e64 s3, s4, v1
	v_sub_nc_u32_e32 v8, 0, v7
	v_max_i32_e32 v8, v7, v8
	v_ashrrev_i32_e32 v7, 31, v7
	v_mul_hi_u32 v9, v8, v36
	v_mul_lo_u32 v9, v9, s5
	v_sub_nc_u32_e32 v8, v8, v9
	v_subrev_nc_u32_e32 v9, s5, v8
	v_cmp_le_u32_e64 s2, s5, v8
	v_cndmask_b32_e64 v8, v8, v9, s2
	v_subrev_nc_u32_e32 v9, s5, v8
	v_cmp_le_u32_e64 s2, s5, v8
	v_cndmask_b32_e64 v8, v8, v9, s2
	v_xor_b32_e32 v8, v8, v7
	v_sub_nc_u32_e32 v7, v8, v7
	v_cmp_ne_u32_e64 s2, 0, v7
	s_and_b32 s2, s2, s3
	s_and_saveexec_b32 s3, s2
	s_xor_b32 s2, exec_lo, s3
	s_cbranch_execz .LBB309_16
; %bb.13:                               ;   in Loop: Header=BB309_12 Depth=1
	s_and_saveexec_b32 s3, vcc_lo
; %bb.14:                               ;   in Loop: Header=BB309_12 Depth=1
	ds_write_b32 v35, v31
; %bb.15:                               ;   in Loop: Header=BB309_12 Depth=1
	s_or_b32 exec_lo, exec_lo, s3
.LBB309_16:                             ;   in Loop: Header=BB309_12 Depth=1
	s_andn2_saveexec_b32 s3, s2
	s_cbranch_execz .LBB309_11
; %bb.17:                               ;   in Loop: Header=BB309_12 Depth=1
	global_load_dword v1, v[3:4], off
	v_mov_b32_e32 v40, 0
	v_mov_b32_e32 v39, 0
	s_waitcnt vmcnt(0)
	v_mad_i64_i32 v[21:22], null, v1, s16, v[5:6]
	global_load_ushort v1, v[21:22], off
	ds_read2_b32 v[19:20], v28 offset1:1
	ds_read2_b32 v[17:18], v28 offset0:2 offset1:3
	ds_read2_b32 v[15:16], v28 offset0:4 offset1:5
	;; [unrolled: 1-line block ×6, first 2 shown]
	ds_read_b32 v38, v28 offset:56
	s_load_dword s19, s[28:29], 0x0
	s_waitcnt vmcnt(0)
	v_and_b32_e32 v41, 0xffff, v1
	v_cmp_ne_u16_sdwa s2, v1, v2 src0_sel:BYTE_0 src1_sel:DWORD
	s_and_saveexec_b32 s22, s2
	s_cbranch_execz .LBB309_25
; %bb.18:                               ;   in Loop: Header=BB309_12 Depth=1
	v_cmp_ne_u16_sdwa s2, v41, v32 src0_sel:BYTE_0 src1_sel:DWORD
	v_bfrev_b32_e32 v39, 1
	s_and_saveexec_b32 s25, s2
	s_cbranch_execz .LBB309_24
; %bb.19:                               ;   in Loop: Header=BB309_12 Depth=1
	v_and_b32_e32 v42, 0x7f, v41
	v_mov_b32_e32 v39, 0x7f800001
	s_mov_b32 s26, exec_lo
	v_cmpx_ne_u32_e32 0x7f, v42
	s_cbranch_execz .LBB309_23
; %bb.20:                               ;   in Loop: Header=BB309_12 Depth=1
	v_and_b32_e32 v1, 7, v41
	v_lshrrev_b32_e32 v39, 3, v42
	s_mov_b32 s40, exec_lo
	v_cmpx_gt_u32_e32 8, v42
; %bb.21:                               ;   in Loop: Header=BB309_12 Depth=1
	v_ffbh_u32_e32 v39, v1
	v_min_u32_e32 v39, 32, v39
	v_subrev_nc_u32_e32 v42, 28, v39
	v_sub_nc_u32_e32 v39, 29, v39
	v_lshlrev_b64 v[42:43], v42, v[1:2]
	v_and_b32_e32 v1, 7, v42
; %bb.22:                               ;   in Loop: Header=BB309_12 Depth=1
	s_or_b32 exec_lo, exec_lo, s40
	v_lshlrev_b32_e32 v42, 24, v41
	v_lshlrev_b32_e32 v1, 20, v1
	v_lshl_add_u32 v39, v39, 23, 0x3c000000
	v_and_b32_e32 v42, 0x80000000, v42
	v_or3_b32 v39, v1, v42, v39
.LBB309_23:                             ;   in Loop: Header=BB309_12 Depth=1
	s_or_b32 exec_lo, exec_lo, s26
.LBB309_24:                             ;   in Loop: Header=BB309_12 Depth=1
	s_or_b32 exec_lo, exec_lo, s25
.LBB309_25:                             ;   in Loop: Header=BB309_12 Depth=1
	s_or_b32 exec_lo, exec_lo, s22
	v_cmp_ne_u16_sdwa s2, v41, v2 src0_sel:BYTE_1 src1_sel:DWORD
	s_and_saveexec_b32 s22, s2
	s_cbranch_execz .LBB309_33
; %bb.26:                               ;   in Loop: Header=BB309_12 Depth=1
	v_cmp_ne_u16_sdwa s2, v41, v32 src0_sel:BYTE_1 src1_sel:DWORD
	v_bfrev_b32_e32 v40, 1
	s_and_saveexec_b32 s25, s2
	s_cbranch_execz .LBB309_32
; %bb.27:                               ;   in Loop: Header=BB309_12 Depth=1
	v_and_b32_sdwa v1, v33, v41 dst_sel:DWORD dst_unused:UNUSED_PAD src0_sel:DWORD src1_sel:BYTE_1
	v_mov_b32_e32 v40, 0x7f800001
	s_mov_b32 s26, exec_lo
	v_and_b32_e32 v42, 0x7f, v1
	v_cmpx_ne_u32_e32 0x7f, v42
	s_cbranch_execz .LBB309_31
; %bb.28:                               ;   in Loop: Header=BB309_12 Depth=1
	v_and_b32_e32 v1, 7, v1
	v_lshrrev_b32_e32 v40, 3, v42
	s_mov_b32 s40, exec_lo
	v_cmpx_gt_u32_e32 8, v42
; %bb.29:                               ;   in Loop: Header=BB309_12 Depth=1
	v_ffbh_u32_e32 v40, v1
	v_min_u32_e32 v40, 32, v40
	v_subrev_nc_u32_e32 v42, 28, v40
	v_sub_nc_u32_e32 v40, 29, v40
	v_lshlrev_b64 v[42:43], v42, v[1:2]
	v_and_b32_e32 v1, 7, v42
; %bb.30:                               ;   in Loop: Header=BB309_12 Depth=1
	s_or_b32 exec_lo, exec_lo, s40
	v_lshlrev_b32_e32 v41, 16, v41
	v_lshlrev_b32_e32 v1, 20, v1
	v_lshl_add_u32 v40, v40, 23, 0x3c000000
	v_and_b32_e32 v41, 0x80000000, v41
	v_or3_b32 v40, v1, v41, v40
.LBB309_31:                             ;   in Loop: Header=BB309_12 Depth=1
	s_or_b32 exec_lo, exec_lo, s26
.LBB309_32:                             ;   in Loop: Header=BB309_12 Depth=1
	s_or_b32 exec_lo, exec_lo, s25
.LBB309_33:                             ;   in Loop: Header=BB309_12 Depth=1
	s_or_b32 exec_lo, exec_lo, s22
	global_load_ushort v1, v[21:22], off offset:8
	v_mov_b32_e32 v42, 0
	v_mov_b32_e32 v41, 0
	s_waitcnt vmcnt(0)
	v_and_b32_e32 v43, 0xffff, v1
	v_cmp_ne_u16_sdwa s2, v1, v2 src0_sel:BYTE_0 src1_sel:DWORD
	s_and_saveexec_b32 s22, s2
	s_cbranch_execz .LBB309_41
; %bb.34:                               ;   in Loop: Header=BB309_12 Depth=1
	v_cmp_ne_u16_sdwa s2, v43, v32 src0_sel:BYTE_0 src1_sel:DWORD
	v_bfrev_b32_e32 v41, 1
	s_and_saveexec_b32 s25, s2
	s_cbranch_execz .LBB309_40
; %bb.35:                               ;   in Loop: Header=BB309_12 Depth=1
	v_and_b32_e32 v44, 0x7f, v43
	v_mov_b32_e32 v41, 0x7f800001
	s_mov_b32 s26, exec_lo
	v_cmpx_ne_u32_e32 0x7f, v44
	s_cbranch_execz .LBB309_39
; %bb.36:                               ;   in Loop: Header=BB309_12 Depth=1
	v_and_b32_e32 v1, 7, v43
	v_lshrrev_b32_e32 v41, 3, v44
	s_mov_b32 s40, exec_lo
	v_cmpx_gt_u32_e32 8, v44
; %bb.37:                               ;   in Loop: Header=BB309_12 Depth=1
	v_ffbh_u32_e32 v41, v1
	v_min_u32_e32 v41, 32, v41
	v_subrev_nc_u32_e32 v44, 28, v41
	v_sub_nc_u32_e32 v41, 29, v41
	v_lshlrev_b64 v[44:45], v44, v[1:2]
	v_and_b32_e32 v1, 7, v44
; %bb.38:                               ;   in Loop: Header=BB309_12 Depth=1
	s_or_b32 exec_lo, exec_lo, s40
	v_lshlrev_b32_e32 v44, 24, v43
	v_lshlrev_b32_e32 v1, 20, v1
	v_lshl_add_u32 v41, v41, 23, 0x3c000000
	v_and_b32_e32 v44, 0x80000000, v44
	v_or3_b32 v41, v1, v44, v41
.LBB309_39:                             ;   in Loop: Header=BB309_12 Depth=1
	s_or_b32 exec_lo, exec_lo, s26
.LBB309_40:                             ;   in Loop: Header=BB309_12 Depth=1
	s_or_b32 exec_lo, exec_lo, s25
.LBB309_41:                             ;   in Loop: Header=BB309_12 Depth=1
	s_or_b32 exec_lo, exec_lo, s22
	v_cmp_ne_u16_sdwa s2, v43, v2 src0_sel:BYTE_1 src1_sel:DWORD
	s_and_saveexec_b32 s22, s2
	s_cbranch_execz .LBB309_49
; %bb.42:                               ;   in Loop: Header=BB309_12 Depth=1
	v_cmp_ne_u16_sdwa s2, v43, v32 src0_sel:BYTE_1 src1_sel:DWORD
	v_bfrev_b32_e32 v42, 1
	s_and_saveexec_b32 s25, s2
	s_cbranch_execz .LBB309_48
; %bb.43:                               ;   in Loop: Header=BB309_12 Depth=1
	v_and_b32_sdwa v1, v33, v43 dst_sel:DWORD dst_unused:UNUSED_PAD src0_sel:DWORD src1_sel:BYTE_1
	v_mov_b32_e32 v42, 0x7f800001
	s_mov_b32 s26, exec_lo
	v_and_b32_e32 v44, 0x7f, v1
	v_cmpx_ne_u32_e32 0x7f, v44
	s_cbranch_execz .LBB309_47
; %bb.44:                               ;   in Loop: Header=BB309_12 Depth=1
	v_and_b32_e32 v1, 7, v1
	v_lshrrev_b32_e32 v42, 3, v44
	s_mov_b32 s40, exec_lo
	v_cmpx_gt_u32_e32 8, v44
; %bb.45:                               ;   in Loop: Header=BB309_12 Depth=1
	v_ffbh_u32_e32 v42, v1
	v_min_u32_e32 v42, 32, v42
	v_subrev_nc_u32_e32 v44, 28, v42
	v_sub_nc_u32_e32 v42, 29, v42
	v_lshlrev_b64 v[44:45], v44, v[1:2]
	v_and_b32_e32 v1, 7, v44
; %bb.46:                               ;   in Loop: Header=BB309_12 Depth=1
	s_or_b32 exec_lo, exec_lo, s40
	v_lshlrev_b32_e32 v43, 16, v43
	v_lshlrev_b32_e32 v1, 20, v1
	v_lshl_add_u32 v42, v42, 23, 0x3c000000
	v_and_b32_e32 v43, 0x80000000, v43
	v_or3_b32 v42, v1, v43, v42
.LBB309_47:                             ;   in Loop: Header=BB309_12 Depth=1
	s_or_b32 exec_lo, exec_lo, s26
.LBB309_48:                             ;   in Loop: Header=BB309_12 Depth=1
	s_or_b32 exec_lo, exec_lo, s25
.LBB309_49:                             ;   in Loop: Header=BB309_12 Depth=1
	s_or_b32 exec_lo, exec_lo, s22
	global_load_ushort v1, v[21:22], off offset:128
	v_mov_b32_e32 v44, 0
	v_mov_b32_e32 v43, 0
	s_waitcnt vmcnt(0)
	v_and_b32_e32 v45, 0xffff, v1
	v_cmp_ne_u16_sdwa s2, v1, v2 src0_sel:BYTE_0 src1_sel:DWORD
	s_and_saveexec_b32 s22, s2
	s_cbranch_execz .LBB309_57
; %bb.50:                               ;   in Loop: Header=BB309_12 Depth=1
	v_cmp_ne_u16_sdwa s2, v45, v32 src0_sel:BYTE_0 src1_sel:DWORD
	v_bfrev_b32_e32 v43, 1
	s_and_saveexec_b32 s25, s2
	s_cbranch_execz .LBB309_56
; %bb.51:                               ;   in Loop: Header=BB309_12 Depth=1
	v_and_b32_e32 v46, 0x7f, v45
	v_mov_b32_e32 v43, 0x7f800001
	s_mov_b32 s26, exec_lo
	v_cmpx_ne_u32_e32 0x7f, v46
	s_cbranch_execz .LBB309_55
; %bb.52:                               ;   in Loop: Header=BB309_12 Depth=1
	v_and_b32_e32 v1, 7, v45
	v_lshrrev_b32_e32 v43, 3, v46
	s_mov_b32 s40, exec_lo
	v_cmpx_gt_u32_e32 8, v46
; %bb.53:                               ;   in Loop: Header=BB309_12 Depth=1
	v_ffbh_u32_e32 v43, v1
	v_min_u32_e32 v43, 32, v43
	v_subrev_nc_u32_e32 v46, 28, v43
	v_sub_nc_u32_e32 v43, 29, v43
	v_lshlrev_b64 v[46:47], v46, v[1:2]
	v_and_b32_e32 v1, 7, v46
; %bb.54:                               ;   in Loop: Header=BB309_12 Depth=1
	s_or_b32 exec_lo, exec_lo, s40
	v_lshlrev_b32_e32 v46, 24, v45
	v_lshlrev_b32_e32 v1, 20, v1
	v_lshl_add_u32 v43, v43, 23, 0x3c000000
	v_and_b32_e32 v46, 0x80000000, v46
	v_or3_b32 v43, v1, v46, v43
.LBB309_55:                             ;   in Loop: Header=BB309_12 Depth=1
	s_or_b32 exec_lo, exec_lo, s26
.LBB309_56:                             ;   in Loop: Header=BB309_12 Depth=1
	s_or_b32 exec_lo, exec_lo, s25
.LBB309_57:                             ;   in Loop: Header=BB309_12 Depth=1
	s_or_b32 exec_lo, exec_lo, s22
	v_cmp_ne_u16_sdwa s2, v45, v2 src0_sel:BYTE_1 src1_sel:DWORD
	s_and_saveexec_b32 s22, s2
	s_cbranch_execz .LBB309_65
; %bb.58:                               ;   in Loop: Header=BB309_12 Depth=1
	v_cmp_ne_u16_sdwa s2, v45, v32 src0_sel:BYTE_1 src1_sel:DWORD
	v_bfrev_b32_e32 v44, 1
	s_and_saveexec_b32 s25, s2
	s_cbranch_execz .LBB309_64
; %bb.59:                               ;   in Loop: Header=BB309_12 Depth=1
	v_and_b32_sdwa v1, v33, v45 dst_sel:DWORD dst_unused:UNUSED_PAD src0_sel:DWORD src1_sel:BYTE_1
	v_mov_b32_e32 v44, 0x7f800001
	s_mov_b32 s26, exec_lo
	v_and_b32_e32 v46, 0x7f, v1
	v_cmpx_ne_u32_e32 0x7f, v46
	s_cbranch_execz .LBB309_63
; %bb.60:                               ;   in Loop: Header=BB309_12 Depth=1
	v_and_b32_e32 v1, 7, v1
	v_lshrrev_b32_e32 v44, 3, v46
	s_mov_b32 s40, exec_lo
	v_cmpx_gt_u32_e32 8, v46
; %bb.61:                               ;   in Loop: Header=BB309_12 Depth=1
	v_ffbh_u32_e32 v44, v1
	v_min_u32_e32 v44, 32, v44
	v_subrev_nc_u32_e32 v46, 28, v44
	v_sub_nc_u32_e32 v44, 29, v44
	v_lshlrev_b64 v[46:47], v46, v[1:2]
	v_and_b32_e32 v1, 7, v46
; %bb.62:                               ;   in Loop: Header=BB309_12 Depth=1
	s_or_b32 exec_lo, exec_lo, s40
	v_lshlrev_b32_e32 v45, 16, v45
	v_lshlrev_b32_e32 v1, 20, v1
	v_lshl_add_u32 v44, v44, 23, 0x3c000000
	v_and_b32_e32 v45, 0x80000000, v45
	v_or3_b32 v44, v1, v45, v44
.LBB309_63:                             ;   in Loop: Header=BB309_12 Depth=1
	s_or_b32 exec_lo, exec_lo, s26
.LBB309_64:                             ;   in Loop: Header=BB309_12 Depth=1
	s_or_b32 exec_lo, exec_lo, s25
.LBB309_65:                             ;   in Loop: Header=BB309_12 Depth=1
	s_or_b32 exec_lo, exec_lo, s22
	global_load_ushort v1, v[21:22], off offset:136
	v_mov_b32_e32 v46, 0
	v_mov_b32_e32 v45, 0
	s_waitcnt vmcnt(0)
	v_and_b32_e32 v47, 0xffff, v1
	v_cmp_ne_u16_sdwa s2, v1, v2 src0_sel:BYTE_0 src1_sel:DWORD
	s_and_saveexec_b32 s22, s2
	s_cbranch_execz .LBB309_73
; %bb.66:                               ;   in Loop: Header=BB309_12 Depth=1
	v_cmp_ne_u16_sdwa s2, v47, v32 src0_sel:BYTE_0 src1_sel:DWORD
	v_bfrev_b32_e32 v45, 1
	s_and_saveexec_b32 s25, s2
	s_cbranch_execz .LBB309_72
; %bb.67:                               ;   in Loop: Header=BB309_12 Depth=1
	v_and_b32_e32 v48, 0x7f, v47
	v_mov_b32_e32 v45, 0x7f800001
	s_mov_b32 s26, exec_lo
	v_cmpx_ne_u32_e32 0x7f, v48
	s_cbranch_execz .LBB309_71
; %bb.68:                               ;   in Loop: Header=BB309_12 Depth=1
	v_and_b32_e32 v1, 7, v47
	v_lshrrev_b32_e32 v45, 3, v48
	s_mov_b32 s40, exec_lo
	v_cmpx_gt_u32_e32 8, v48
; %bb.69:                               ;   in Loop: Header=BB309_12 Depth=1
	v_ffbh_u32_e32 v45, v1
	v_min_u32_e32 v45, 32, v45
	v_subrev_nc_u32_e32 v48, 28, v45
	v_sub_nc_u32_e32 v45, 29, v45
	v_lshlrev_b64 v[48:49], v48, v[1:2]
	v_and_b32_e32 v1, 7, v48
; %bb.70:                               ;   in Loop: Header=BB309_12 Depth=1
	s_or_b32 exec_lo, exec_lo, s40
	v_lshlrev_b32_e32 v48, 24, v47
	v_lshlrev_b32_e32 v1, 20, v1
	v_lshl_add_u32 v45, v45, 23, 0x3c000000
	v_and_b32_e32 v48, 0x80000000, v48
	v_or3_b32 v45, v1, v48, v45
.LBB309_71:                             ;   in Loop: Header=BB309_12 Depth=1
	s_or_b32 exec_lo, exec_lo, s26
.LBB309_72:                             ;   in Loop: Header=BB309_12 Depth=1
	s_or_b32 exec_lo, exec_lo, s25
.LBB309_73:                             ;   in Loop: Header=BB309_12 Depth=1
	s_or_b32 exec_lo, exec_lo, s22
	v_cmp_ne_u16_sdwa s2, v47, v2 src0_sel:BYTE_1 src1_sel:DWORD
	s_and_saveexec_b32 s22, s2
	s_cbranch_execz .LBB309_81
; %bb.74:                               ;   in Loop: Header=BB309_12 Depth=1
	v_cmp_ne_u16_sdwa s2, v47, v32 src0_sel:BYTE_1 src1_sel:DWORD
	v_bfrev_b32_e32 v46, 1
	s_and_saveexec_b32 s25, s2
	s_cbranch_execz .LBB309_80
; %bb.75:                               ;   in Loop: Header=BB309_12 Depth=1
	v_and_b32_sdwa v1, v33, v47 dst_sel:DWORD dst_unused:UNUSED_PAD src0_sel:DWORD src1_sel:BYTE_1
	v_mov_b32_e32 v46, 0x7f800001
	s_mov_b32 s26, exec_lo
	v_and_b32_e32 v48, 0x7f, v1
	v_cmpx_ne_u32_e32 0x7f, v48
	s_cbranch_execz .LBB309_79
; %bb.76:                               ;   in Loop: Header=BB309_12 Depth=1
	v_and_b32_e32 v1, 7, v1
	v_lshrrev_b32_e32 v46, 3, v48
	s_mov_b32 s40, exec_lo
	v_cmpx_gt_u32_e32 8, v48
; %bb.77:                               ;   in Loop: Header=BB309_12 Depth=1
	v_ffbh_u32_e32 v46, v1
	v_min_u32_e32 v46, 32, v46
	v_subrev_nc_u32_e32 v48, 28, v46
	v_sub_nc_u32_e32 v46, 29, v46
	v_lshlrev_b64 v[48:49], v48, v[1:2]
	v_and_b32_e32 v1, 7, v48
; %bb.78:                               ;   in Loop: Header=BB309_12 Depth=1
	s_or_b32 exec_lo, exec_lo, s40
	v_lshlrev_b32_e32 v47, 16, v47
	v_lshlrev_b32_e32 v1, 20, v1
	v_lshl_add_u32 v46, v46, 23, 0x3c000000
	v_and_b32_e32 v47, 0x80000000, v47
	v_or3_b32 v46, v1, v47, v46
.LBB309_79:                             ;   in Loop: Header=BB309_12 Depth=1
	s_or_b32 exec_lo, exec_lo, s26
.LBB309_80:                             ;   in Loop: Header=BB309_12 Depth=1
	s_or_b32 exec_lo, exec_lo, s25
.LBB309_81:                             ;   in Loop: Header=BB309_12 Depth=1
	s_or_b32 exec_lo, exec_lo, s22
	global_load_ushort v1, v[21:22], off offset:256
	v_mov_b32_e32 v48, 0
	v_mov_b32_e32 v47, 0
	s_waitcnt vmcnt(0)
	v_and_b32_e32 v49, 0xffff, v1
	v_cmp_ne_u16_sdwa s2, v1, v2 src0_sel:BYTE_0 src1_sel:DWORD
	s_and_saveexec_b32 s22, s2
	s_cbranch_execz .LBB309_89
; %bb.82:                               ;   in Loop: Header=BB309_12 Depth=1
	v_cmp_ne_u16_sdwa s2, v49, v32 src0_sel:BYTE_0 src1_sel:DWORD
	v_bfrev_b32_e32 v47, 1
	s_and_saveexec_b32 s25, s2
	s_cbranch_execz .LBB309_88
; %bb.83:                               ;   in Loop: Header=BB309_12 Depth=1
	v_and_b32_e32 v50, 0x7f, v49
	v_mov_b32_e32 v47, 0x7f800001
	s_mov_b32 s26, exec_lo
	v_cmpx_ne_u32_e32 0x7f, v50
	s_cbranch_execz .LBB309_87
; %bb.84:                               ;   in Loop: Header=BB309_12 Depth=1
	v_and_b32_e32 v1, 7, v49
	v_lshrrev_b32_e32 v47, 3, v50
	s_mov_b32 s40, exec_lo
	v_cmpx_gt_u32_e32 8, v50
; %bb.85:                               ;   in Loop: Header=BB309_12 Depth=1
	v_ffbh_u32_e32 v47, v1
	v_min_u32_e32 v47, 32, v47
	v_subrev_nc_u32_e32 v50, 28, v47
	v_sub_nc_u32_e32 v47, 29, v47
	v_lshlrev_b64 v[50:51], v50, v[1:2]
	v_and_b32_e32 v1, 7, v50
; %bb.86:                               ;   in Loop: Header=BB309_12 Depth=1
	s_or_b32 exec_lo, exec_lo, s40
	v_lshlrev_b32_e32 v50, 24, v49
	v_lshlrev_b32_e32 v1, 20, v1
	v_lshl_add_u32 v47, v47, 23, 0x3c000000
	v_and_b32_e32 v50, 0x80000000, v50
	v_or3_b32 v47, v1, v50, v47
.LBB309_87:                             ;   in Loop: Header=BB309_12 Depth=1
	s_or_b32 exec_lo, exec_lo, s26
.LBB309_88:                             ;   in Loop: Header=BB309_12 Depth=1
	s_or_b32 exec_lo, exec_lo, s25
.LBB309_89:                             ;   in Loop: Header=BB309_12 Depth=1
	s_or_b32 exec_lo, exec_lo, s22
	v_cmp_ne_u16_sdwa s2, v49, v2 src0_sel:BYTE_1 src1_sel:DWORD
	s_and_saveexec_b32 s22, s2
	s_cbranch_execz .LBB309_97
; %bb.90:                               ;   in Loop: Header=BB309_12 Depth=1
	v_cmp_ne_u16_sdwa s2, v49, v32 src0_sel:BYTE_1 src1_sel:DWORD
	v_bfrev_b32_e32 v48, 1
	s_and_saveexec_b32 s25, s2
	s_cbranch_execz .LBB309_96
; %bb.91:                               ;   in Loop: Header=BB309_12 Depth=1
	v_and_b32_sdwa v1, v33, v49 dst_sel:DWORD dst_unused:UNUSED_PAD src0_sel:DWORD src1_sel:BYTE_1
	v_mov_b32_e32 v48, 0x7f800001
	s_mov_b32 s26, exec_lo
	v_and_b32_e32 v50, 0x7f, v1
	v_cmpx_ne_u32_e32 0x7f, v50
	s_cbranch_execz .LBB309_95
; %bb.92:                               ;   in Loop: Header=BB309_12 Depth=1
	v_and_b32_e32 v1, 7, v1
	v_lshrrev_b32_e32 v48, 3, v50
	s_mov_b32 s40, exec_lo
	v_cmpx_gt_u32_e32 8, v50
; %bb.93:                               ;   in Loop: Header=BB309_12 Depth=1
	v_ffbh_u32_e32 v48, v1
	v_min_u32_e32 v48, 32, v48
	v_subrev_nc_u32_e32 v50, 28, v48
	v_sub_nc_u32_e32 v48, 29, v48
	v_lshlrev_b64 v[50:51], v50, v[1:2]
	v_and_b32_e32 v1, 7, v50
; %bb.94:                               ;   in Loop: Header=BB309_12 Depth=1
	s_or_b32 exec_lo, exec_lo, s40
	v_lshlrev_b32_e32 v49, 16, v49
	v_lshlrev_b32_e32 v1, 20, v1
	v_lshl_add_u32 v48, v48, 23, 0x3c000000
	v_and_b32_e32 v49, 0x80000000, v49
	v_or3_b32 v48, v1, v49, v48
.LBB309_95:                             ;   in Loop: Header=BB309_12 Depth=1
	s_or_b32 exec_lo, exec_lo, s26
.LBB309_96:                             ;   in Loop: Header=BB309_12 Depth=1
	s_or_b32 exec_lo, exec_lo, s25
.LBB309_97:                             ;   in Loop: Header=BB309_12 Depth=1
	s_or_b32 exec_lo, exec_lo, s22
	global_load_ushort v1, v[21:22], off offset:264
	v_mov_b32_e32 v50, 0
	v_mov_b32_e32 v49, 0
	s_waitcnt vmcnt(0)
	v_and_b32_e32 v51, 0xffff, v1
	v_cmp_ne_u16_sdwa s2, v1, v2 src0_sel:BYTE_0 src1_sel:DWORD
	s_and_saveexec_b32 s22, s2
	s_cbranch_execz .LBB309_105
; %bb.98:                               ;   in Loop: Header=BB309_12 Depth=1
	v_cmp_ne_u16_sdwa s2, v51, v32 src0_sel:BYTE_0 src1_sel:DWORD
	v_bfrev_b32_e32 v49, 1
	s_and_saveexec_b32 s25, s2
	s_cbranch_execz .LBB309_104
; %bb.99:                               ;   in Loop: Header=BB309_12 Depth=1
	v_and_b32_e32 v52, 0x7f, v51
	v_mov_b32_e32 v49, 0x7f800001
	s_mov_b32 s26, exec_lo
	v_cmpx_ne_u32_e32 0x7f, v52
	s_cbranch_execz .LBB309_103
; %bb.100:                              ;   in Loop: Header=BB309_12 Depth=1
	v_and_b32_e32 v1, 7, v51
	v_lshrrev_b32_e32 v49, 3, v52
	s_mov_b32 s40, exec_lo
	v_cmpx_gt_u32_e32 8, v52
; %bb.101:                              ;   in Loop: Header=BB309_12 Depth=1
	v_ffbh_u32_e32 v49, v1
	v_min_u32_e32 v49, 32, v49
	v_subrev_nc_u32_e32 v52, 28, v49
	v_sub_nc_u32_e32 v49, 29, v49
	v_lshlrev_b64 v[52:53], v52, v[1:2]
	v_and_b32_e32 v1, 7, v52
; %bb.102:                              ;   in Loop: Header=BB309_12 Depth=1
	s_or_b32 exec_lo, exec_lo, s40
	v_lshlrev_b32_e32 v52, 24, v51
	v_lshlrev_b32_e32 v1, 20, v1
	v_lshl_add_u32 v49, v49, 23, 0x3c000000
	v_and_b32_e32 v52, 0x80000000, v52
	v_or3_b32 v49, v1, v52, v49
.LBB309_103:                            ;   in Loop: Header=BB309_12 Depth=1
	s_or_b32 exec_lo, exec_lo, s26
.LBB309_104:                            ;   in Loop: Header=BB309_12 Depth=1
	s_or_b32 exec_lo, exec_lo, s25
.LBB309_105:                            ;   in Loop: Header=BB309_12 Depth=1
	s_or_b32 exec_lo, exec_lo, s22
	v_cmp_ne_u16_sdwa s2, v51, v2 src0_sel:BYTE_1 src1_sel:DWORD
	s_and_saveexec_b32 s22, s2
	s_cbranch_execz .LBB309_113
; %bb.106:                              ;   in Loop: Header=BB309_12 Depth=1
	v_cmp_ne_u16_sdwa s2, v51, v32 src0_sel:BYTE_1 src1_sel:DWORD
	v_bfrev_b32_e32 v50, 1
	s_and_saveexec_b32 s25, s2
	s_cbranch_execz .LBB309_112
; %bb.107:                              ;   in Loop: Header=BB309_12 Depth=1
	v_and_b32_sdwa v1, v33, v51 dst_sel:DWORD dst_unused:UNUSED_PAD src0_sel:DWORD src1_sel:BYTE_1
	v_mov_b32_e32 v50, 0x7f800001
	s_mov_b32 s26, exec_lo
	v_and_b32_e32 v52, 0x7f, v1
	v_cmpx_ne_u32_e32 0x7f, v52
	s_cbranch_execz .LBB309_111
; %bb.108:                              ;   in Loop: Header=BB309_12 Depth=1
	v_and_b32_e32 v1, 7, v1
	v_lshrrev_b32_e32 v50, 3, v52
	s_mov_b32 s40, exec_lo
	v_cmpx_gt_u32_e32 8, v52
; %bb.109:                              ;   in Loop: Header=BB309_12 Depth=1
	v_ffbh_u32_e32 v50, v1
	v_min_u32_e32 v50, 32, v50
	v_subrev_nc_u32_e32 v52, 28, v50
	v_sub_nc_u32_e32 v50, 29, v50
	v_lshlrev_b64 v[52:53], v52, v[1:2]
	v_and_b32_e32 v1, 7, v52
; %bb.110:                              ;   in Loop: Header=BB309_12 Depth=1
	s_or_b32 exec_lo, exec_lo, s40
	v_lshlrev_b32_e32 v51, 16, v51
	v_lshlrev_b32_e32 v1, 20, v1
	v_lshl_add_u32 v50, v50, 23, 0x3c000000
	v_and_b32_e32 v51, 0x80000000, v51
	v_or3_b32 v50, v1, v51, v50
.LBB309_111:                            ;   in Loop: Header=BB309_12 Depth=1
	s_or_b32 exec_lo, exec_lo, s26
.LBB309_112:                            ;   in Loop: Header=BB309_12 Depth=1
	s_or_b32 exec_lo, exec_lo, s25
.LBB309_113:                            ;   in Loop: Header=BB309_12 Depth=1
	s_or_b32 exec_lo, exec_lo, s22
	global_load_ushort v1, v[21:22], off offset:384
	v_mov_b32_e32 v52, 0
	v_mov_b32_e32 v51, 0
	s_waitcnt vmcnt(0)
	v_and_b32_e32 v53, 0xffff, v1
	v_cmp_ne_u16_sdwa s2, v1, v2 src0_sel:BYTE_0 src1_sel:DWORD
	s_and_saveexec_b32 s22, s2
	s_cbranch_execz .LBB309_121
; %bb.114:                              ;   in Loop: Header=BB309_12 Depth=1
	v_cmp_ne_u16_sdwa s2, v53, v32 src0_sel:BYTE_0 src1_sel:DWORD
	v_bfrev_b32_e32 v51, 1
	s_and_saveexec_b32 s25, s2
	s_cbranch_execz .LBB309_120
; %bb.115:                              ;   in Loop: Header=BB309_12 Depth=1
	v_and_b32_e32 v54, 0x7f, v53
	v_mov_b32_e32 v51, 0x7f800001
	s_mov_b32 s26, exec_lo
	v_cmpx_ne_u32_e32 0x7f, v54
	s_cbranch_execz .LBB309_119
; %bb.116:                              ;   in Loop: Header=BB309_12 Depth=1
	v_and_b32_e32 v1, 7, v53
	v_lshrrev_b32_e32 v51, 3, v54
	s_mov_b32 s40, exec_lo
	v_cmpx_gt_u32_e32 8, v54
; %bb.117:                              ;   in Loop: Header=BB309_12 Depth=1
	v_ffbh_u32_e32 v51, v1
	v_min_u32_e32 v51, 32, v51
	v_subrev_nc_u32_e32 v54, 28, v51
	v_sub_nc_u32_e32 v51, 29, v51
	v_lshlrev_b64 v[54:55], v54, v[1:2]
	v_and_b32_e32 v1, 7, v54
; %bb.118:                              ;   in Loop: Header=BB309_12 Depth=1
	s_or_b32 exec_lo, exec_lo, s40
	v_lshlrev_b32_e32 v54, 24, v53
	v_lshlrev_b32_e32 v1, 20, v1
	v_lshl_add_u32 v51, v51, 23, 0x3c000000
	v_and_b32_e32 v54, 0x80000000, v54
	v_or3_b32 v51, v1, v54, v51
.LBB309_119:                            ;   in Loop: Header=BB309_12 Depth=1
	s_or_b32 exec_lo, exec_lo, s26
.LBB309_120:                            ;   in Loop: Header=BB309_12 Depth=1
	s_or_b32 exec_lo, exec_lo, s25
.LBB309_121:                            ;   in Loop: Header=BB309_12 Depth=1
	s_or_b32 exec_lo, exec_lo, s22
	v_cmp_ne_u16_sdwa s2, v53, v2 src0_sel:BYTE_1 src1_sel:DWORD
	s_and_saveexec_b32 s22, s2
	s_cbranch_execz .LBB309_129
; %bb.122:                              ;   in Loop: Header=BB309_12 Depth=1
	v_cmp_ne_u16_sdwa s2, v53, v32 src0_sel:BYTE_1 src1_sel:DWORD
	v_bfrev_b32_e32 v52, 1
	s_and_saveexec_b32 s25, s2
	s_cbranch_execz .LBB309_128
; %bb.123:                              ;   in Loop: Header=BB309_12 Depth=1
	v_and_b32_sdwa v1, v33, v53 dst_sel:DWORD dst_unused:UNUSED_PAD src0_sel:DWORD src1_sel:BYTE_1
	v_mov_b32_e32 v52, 0x7f800001
	s_mov_b32 s26, exec_lo
	v_and_b32_e32 v54, 0x7f, v1
	v_cmpx_ne_u32_e32 0x7f, v54
	s_cbranch_execz .LBB309_127
; %bb.124:                              ;   in Loop: Header=BB309_12 Depth=1
	v_and_b32_e32 v1, 7, v1
	v_lshrrev_b32_e32 v52, 3, v54
	s_mov_b32 s40, exec_lo
	v_cmpx_gt_u32_e32 8, v54
; %bb.125:                              ;   in Loop: Header=BB309_12 Depth=1
	v_ffbh_u32_e32 v52, v1
	v_min_u32_e32 v52, 32, v52
	v_subrev_nc_u32_e32 v54, 28, v52
	v_sub_nc_u32_e32 v52, 29, v52
	v_lshlrev_b64 v[54:55], v54, v[1:2]
	v_and_b32_e32 v1, 7, v54
; %bb.126:                              ;   in Loop: Header=BB309_12 Depth=1
	s_or_b32 exec_lo, exec_lo, s40
	v_lshlrev_b32_e32 v53, 16, v53
	v_lshlrev_b32_e32 v1, 20, v1
	v_lshl_add_u32 v52, v52, 23, 0x3c000000
	v_and_b32_e32 v53, 0x80000000, v53
	v_or3_b32 v52, v1, v53, v52
.LBB309_127:                            ;   in Loop: Header=BB309_12 Depth=1
	s_or_b32 exec_lo, exec_lo, s26
.LBB309_128:                            ;   in Loop: Header=BB309_12 Depth=1
	s_or_b32 exec_lo, exec_lo, s25
.LBB309_129:                            ;   in Loop: Header=BB309_12 Depth=1
	s_or_b32 exec_lo, exec_lo, s22
	global_load_ushort v1, v[21:22], off offset:392
	v_mov_b32_e32 v54, 0
	v_mov_b32_e32 v53, 0
	s_waitcnt vmcnt(0)
	v_and_b32_e32 v55, 0xffff, v1
	v_cmp_ne_u16_sdwa s2, v1, v2 src0_sel:BYTE_0 src1_sel:DWORD
	s_and_saveexec_b32 s22, s2
	s_cbranch_execz .LBB309_137
; %bb.130:                              ;   in Loop: Header=BB309_12 Depth=1
	v_cmp_ne_u16_sdwa s2, v55, v32 src0_sel:BYTE_0 src1_sel:DWORD
	v_bfrev_b32_e32 v53, 1
	s_and_saveexec_b32 s25, s2
	s_cbranch_execz .LBB309_136
; %bb.131:                              ;   in Loop: Header=BB309_12 Depth=1
	v_and_b32_e32 v56, 0x7f, v55
	v_mov_b32_e32 v53, 0x7f800001
	s_mov_b32 s26, exec_lo
	v_cmpx_ne_u32_e32 0x7f, v56
	s_cbranch_execz .LBB309_135
; %bb.132:                              ;   in Loop: Header=BB309_12 Depth=1
	v_and_b32_e32 v1, 7, v55
	v_lshrrev_b32_e32 v53, 3, v56
	s_mov_b32 s40, exec_lo
	v_cmpx_gt_u32_e32 8, v56
; %bb.133:                              ;   in Loop: Header=BB309_12 Depth=1
	v_ffbh_u32_e32 v53, v1
	v_min_u32_e32 v53, 32, v53
	v_subrev_nc_u32_e32 v56, 28, v53
	v_sub_nc_u32_e32 v53, 29, v53
	v_lshlrev_b64 v[56:57], v56, v[1:2]
	v_and_b32_e32 v1, 7, v56
; %bb.134:                              ;   in Loop: Header=BB309_12 Depth=1
	s_or_b32 exec_lo, exec_lo, s40
	v_lshlrev_b32_e32 v56, 24, v55
	v_lshlrev_b32_e32 v1, 20, v1
	v_lshl_add_u32 v53, v53, 23, 0x3c000000
	v_and_b32_e32 v56, 0x80000000, v56
	v_or3_b32 v53, v1, v56, v53
.LBB309_135:                            ;   in Loop: Header=BB309_12 Depth=1
	s_or_b32 exec_lo, exec_lo, s26
.LBB309_136:                            ;   in Loop: Header=BB309_12 Depth=1
	s_or_b32 exec_lo, exec_lo, s25
.LBB309_137:                            ;   in Loop: Header=BB309_12 Depth=1
	s_or_b32 exec_lo, exec_lo, s22
	v_cmp_ne_u16_sdwa s2, v55, v2 src0_sel:BYTE_1 src1_sel:DWORD
	s_and_saveexec_b32 s22, s2
	s_cbranch_execz .LBB309_145
; %bb.138:                              ;   in Loop: Header=BB309_12 Depth=1
	v_cmp_ne_u16_sdwa s2, v55, v32 src0_sel:BYTE_1 src1_sel:DWORD
	v_bfrev_b32_e32 v54, 1
	s_and_saveexec_b32 s25, s2
	s_cbranch_execz .LBB309_144
; %bb.139:                              ;   in Loop: Header=BB309_12 Depth=1
	v_and_b32_sdwa v1, v33, v55 dst_sel:DWORD dst_unused:UNUSED_PAD src0_sel:DWORD src1_sel:BYTE_1
	v_mov_b32_e32 v54, 0x7f800001
	s_mov_b32 s26, exec_lo
	v_and_b32_e32 v56, 0x7f, v1
	v_cmpx_ne_u32_e32 0x7f, v56
	s_cbranch_execz .LBB309_143
; %bb.140:                              ;   in Loop: Header=BB309_12 Depth=1
	v_and_b32_e32 v1, 7, v1
	v_lshrrev_b32_e32 v54, 3, v56
	s_mov_b32 s40, exec_lo
	v_cmpx_gt_u32_e32 8, v56
; %bb.141:                              ;   in Loop: Header=BB309_12 Depth=1
	v_ffbh_u32_e32 v54, v1
	v_min_u32_e32 v54, 32, v54
	v_subrev_nc_u32_e32 v56, 28, v54
	v_sub_nc_u32_e32 v54, 29, v54
	v_lshlrev_b64 v[56:57], v56, v[1:2]
	v_and_b32_e32 v1, 7, v56
; %bb.142:                              ;   in Loop: Header=BB309_12 Depth=1
	s_or_b32 exec_lo, exec_lo, s40
	v_lshlrev_b32_e32 v55, 16, v55
	v_lshlrev_b32_e32 v1, 20, v1
	v_lshl_add_u32 v54, v54, 23, 0x3c000000
	v_and_b32_e32 v55, 0x80000000, v55
	v_or3_b32 v54, v1, v55, v54
.LBB309_143:                            ;   in Loop: Header=BB309_12 Depth=1
	s_or_b32 exec_lo, exec_lo, s26
.LBB309_144:                            ;   in Loop: Header=BB309_12 Depth=1
	s_or_b32 exec_lo, exec_lo, s25
.LBB309_145:                            ;   in Loop: Header=BB309_12 Depth=1
	s_or_b32 exec_lo, exec_lo, s22
	global_load_ushort v1, v[21:22], off offset:512
	v_mov_b32_e32 v56, 0
	v_mov_b32_e32 v55, 0
	s_waitcnt vmcnt(0)
	v_and_b32_e32 v57, 0xffff, v1
	v_cmp_ne_u16_sdwa s2, v1, v2 src0_sel:BYTE_0 src1_sel:DWORD
	s_and_saveexec_b32 s22, s2
	s_cbranch_execz .LBB309_153
; %bb.146:                              ;   in Loop: Header=BB309_12 Depth=1
	v_cmp_ne_u16_sdwa s2, v57, v32 src0_sel:BYTE_0 src1_sel:DWORD
	v_bfrev_b32_e32 v55, 1
	s_and_saveexec_b32 s25, s2
	s_cbranch_execz .LBB309_152
; %bb.147:                              ;   in Loop: Header=BB309_12 Depth=1
	v_and_b32_e32 v58, 0x7f, v57
	v_mov_b32_e32 v55, 0x7f800001
	s_mov_b32 s26, exec_lo
	v_cmpx_ne_u32_e32 0x7f, v58
	s_cbranch_execz .LBB309_151
; %bb.148:                              ;   in Loop: Header=BB309_12 Depth=1
	v_and_b32_e32 v1, 7, v57
	v_lshrrev_b32_e32 v55, 3, v58
	s_mov_b32 s40, exec_lo
	v_cmpx_gt_u32_e32 8, v58
; %bb.149:                              ;   in Loop: Header=BB309_12 Depth=1
	v_ffbh_u32_e32 v55, v1
	v_min_u32_e32 v55, 32, v55
	v_subrev_nc_u32_e32 v58, 28, v55
	v_sub_nc_u32_e32 v55, 29, v55
	v_lshlrev_b64 v[58:59], v58, v[1:2]
	v_and_b32_e32 v1, 7, v58
; %bb.150:                              ;   in Loop: Header=BB309_12 Depth=1
	s_or_b32 exec_lo, exec_lo, s40
	v_lshlrev_b32_e32 v58, 24, v57
	v_lshlrev_b32_e32 v1, 20, v1
	v_lshl_add_u32 v55, v55, 23, 0x3c000000
	v_and_b32_e32 v58, 0x80000000, v58
	v_or3_b32 v55, v1, v58, v55
.LBB309_151:                            ;   in Loop: Header=BB309_12 Depth=1
	s_or_b32 exec_lo, exec_lo, s26
.LBB309_152:                            ;   in Loop: Header=BB309_12 Depth=1
	s_or_b32 exec_lo, exec_lo, s25
.LBB309_153:                            ;   in Loop: Header=BB309_12 Depth=1
	s_or_b32 exec_lo, exec_lo, s22
	v_cmp_ne_u16_sdwa s2, v57, v2 src0_sel:BYTE_1 src1_sel:DWORD
	s_and_saveexec_b32 s22, s2
	s_cbranch_execz .LBB309_161
; %bb.154:                              ;   in Loop: Header=BB309_12 Depth=1
	v_cmp_ne_u16_sdwa s2, v57, v32 src0_sel:BYTE_1 src1_sel:DWORD
	v_bfrev_b32_e32 v56, 1
	s_and_saveexec_b32 s25, s2
	s_cbranch_execz .LBB309_160
; %bb.155:                              ;   in Loop: Header=BB309_12 Depth=1
	v_and_b32_sdwa v1, v33, v57 dst_sel:DWORD dst_unused:UNUSED_PAD src0_sel:DWORD src1_sel:BYTE_1
	v_mov_b32_e32 v56, 0x7f800001
	s_mov_b32 s26, exec_lo
	v_and_b32_e32 v58, 0x7f, v1
	v_cmpx_ne_u32_e32 0x7f, v58
	s_cbranch_execz .LBB309_159
; %bb.156:                              ;   in Loop: Header=BB309_12 Depth=1
	v_and_b32_e32 v1, 7, v1
	v_lshrrev_b32_e32 v56, 3, v58
	s_mov_b32 s40, exec_lo
	v_cmpx_gt_u32_e32 8, v58
; %bb.157:                              ;   in Loop: Header=BB309_12 Depth=1
	v_ffbh_u32_e32 v56, v1
	v_min_u32_e32 v56, 32, v56
	v_subrev_nc_u32_e32 v58, 28, v56
	v_sub_nc_u32_e32 v56, 29, v56
	v_lshlrev_b64 v[58:59], v58, v[1:2]
	v_and_b32_e32 v1, 7, v58
; %bb.158:                              ;   in Loop: Header=BB309_12 Depth=1
	s_or_b32 exec_lo, exec_lo, s40
	v_lshlrev_b32_e32 v57, 16, v57
	v_lshlrev_b32_e32 v1, 20, v1
	v_lshl_add_u32 v56, v56, 23, 0x3c000000
	v_and_b32_e32 v57, 0x80000000, v57
	v_or3_b32 v56, v1, v57, v56
.LBB309_159:                            ;   in Loop: Header=BB309_12 Depth=1
	s_or_b32 exec_lo, exec_lo, s26
.LBB309_160:                            ;   in Loop: Header=BB309_12 Depth=1
	s_or_b32 exec_lo, exec_lo, s25
.LBB309_161:                            ;   in Loop: Header=BB309_12 Depth=1
	s_or_b32 exec_lo, exec_lo, s22
	global_load_ushort v1, v[21:22], off offset:520
	v_mov_b32_e32 v58, 0
	v_mov_b32_e32 v57, 0
	s_waitcnt vmcnt(0)
	v_and_b32_e32 v59, 0xffff, v1
	v_cmp_ne_u16_sdwa s2, v1, v2 src0_sel:BYTE_0 src1_sel:DWORD
	s_and_saveexec_b32 s22, s2
	s_cbranch_execz .LBB309_169
; %bb.162:                              ;   in Loop: Header=BB309_12 Depth=1
	v_cmp_ne_u16_sdwa s2, v59, v32 src0_sel:BYTE_0 src1_sel:DWORD
	v_bfrev_b32_e32 v57, 1
	s_and_saveexec_b32 s25, s2
	s_cbranch_execz .LBB309_168
; %bb.163:                              ;   in Loop: Header=BB309_12 Depth=1
	v_and_b32_e32 v60, 0x7f, v59
	v_mov_b32_e32 v57, 0x7f800001
	s_mov_b32 s26, exec_lo
	v_cmpx_ne_u32_e32 0x7f, v60
	s_cbranch_execz .LBB309_167
; %bb.164:                              ;   in Loop: Header=BB309_12 Depth=1
	v_and_b32_e32 v1, 7, v59
	v_lshrrev_b32_e32 v57, 3, v60
	s_mov_b32 s40, exec_lo
	v_cmpx_gt_u32_e32 8, v60
; %bb.165:                              ;   in Loop: Header=BB309_12 Depth=1
	v_ffbh_u32_e32 v57, v1
	v_min_u32_e32 v57, 32, v57
	v_subrev_nc_u32_e32 v60, 28, v57
	v_sub_nc_u32_e32 v57, 29, v57
	v_lshlrev_b64 v[60:61], v60, v[1:2]
	v_and_b32_e32 v1, 7, v60
; %bb.166:                              ;   in Loop: Header=BB309_12 Depth=1
	s_or_b32 exec_lo, exec_lo, s40
	v_lshlrev_b32_e32 v60, 24, v59
	v_lshlrev_b32_e32 v1, 20, v1
	v_lshl_add_u32 v57, v57, 23, 0x3c000000
	v_and_b32_e32 v60, 0x80000000, v60
	v_or3_b32 v57, v1, v60, v57
.LBB309_167:                            ;   in Loop: Header=BB309_12 Depth=1
	s_or_b32 exec_lo, exec_lo, s26
.LBB309_168:                            ;   in Loop: Header=BB309_12 Depth=1
	s_or_b32 exec_lo, exec_lo, s25
.LBB309_169:                            ;   in Loop: Header=BB309_12 Depth=1
	s_or_b32 exec_lo, exec_lo, s22
	v_cmp_ne_u16_sdwa s2, v59, v2 src0_sel:BYTE_1 src1_sel:DWORD
	s_and_saveexec_b32 s22, s2
	s_cbranch_execz .LBB309_177
; %bb.170:                              ;   in Loop: Header=BB309_12 Depth=1
	v_cmp_ne_u16_sdwa s2, v59, v32 src0_sel:BYTE_1 src1_sel:DWORD
	v_bfrev_b32_e32 v58, 1
	s_and_saveexec_b32 s25, s2
	s_cbranch_execz .LBB309_176
; %bb.171:                              ;   in Loop: Header=BB309_12 Depth=1
	v_and_b32_sdwa v1, v33, v59 dst_sel:DWORD dst_unused:UNUSED_PAD src0_sel:DWORD src1_sel:BYTE_1
	v_mov_b32_e32 v58, 0x7f800001
	s_mov_b32 s26, exec_lo
	v_and_b32_e32 v60, 0x7f, v1
	v_cmpx_ne_u32_e32 0x7f, v60
	s_cbranch_execz .LBB309_175
; %bb.172:                              ;   in Loop: Header=BB309_12 Depth=1
	v_and_b32_e32 v1, 7, v1
	v_lshrrev_b32_e32 v58, 3, v60
	s_mov_b32 s40, exec_lo
	v_cmpx_gt_u32_e32 8, v60
; %bb.173:                              ;   in Loop: Header=BB309_12 Depth=1
	v_ffbh_u32_e32 v58, v1
	v_min_u32_e32 v58, 32, v58
	v_subrev_nc_u32_e32 v60, 28, v58
	v_sub_nc_u32_e32 v58, 29, v58
	v_lshlrev_b64 v[60:61], v60, v[1:2]
	v_and_b32_e32 v1, 7, v60
; %bb.174:                              ;   in Loop: Header=BB309_12 Depth=1
	s_or_b32 exec_lo, exec_lo, s40
	v_lshlrev_b32_e32 v59, 16, v59
	v_lshlrev_b32_e32 v1, 20, v1
	v_lshl_add_u32 v58, v58, 23, 0x3c000000
	v_and_b32_e32 v59, 0x80000000, v59
	v_or3_b32 v58, v1, v59, v58
.LBB309_175:                            ;   in Loop: Header=BB309_12 Depth=1
	s_or_b32 exec_lo, exec_lo, s26
.LBB309_176:                            ;   in Loop: Header=BB309_12 Depth=1
	s_or_b32 exec_lo, exec_lo, s25
.LBB309_177:                            ;   in Loop: Header=BB309_12 Depth=1
	s_or_b32 exec_lo, exec_lo, s22
	global_load_ushort v1, v[21:22], off offset:640
	v_mov_b32_e32 v60, 0
	v_mov_b32_e32 v59, 0
	s_waitcnt vmcnt(0)
	v_and_b32_e32 v61, 0xffff, v1
	v_cmp_ne_u16_sdwa s2, v1, v2 src0_sel:BYTE_0 src1_sel:DWORD
	s_and_saveexec_b32 s22, s2
	s_cbranch_execz .LBB309_185
; %bb.178:                              ;   in Loop: Header=BB309_12 Depth=1
	v_cmp_ne_u16_sdwa s2, v61, v32 src0_sel:BYTE_0 src1_sel:DWORD
	v_bfrev_b32_e32 v59, 1
	s_and_saveexec_b32 s25, s2
	s_cbranch_execz .LBB309_184
; %bb.179:                              ;   in Loop: Header=BB309_12 Depth=1
	v_and_b32_e32 v62, 0x7f, v61
	v_mov_b32_e32 v59, 0x7f800001
	s_mov_b32 s26, exec_lo
	v_cmpx_ne_u32_e32 0x7f, v62
	s_cbranch_execz .LBB309_183
; %bb.180:                              ;   in Loop: Header=BB309_12 Depth=1
	v_and_b32_e32 v1, 7, v61
	v_lshrrev_b32_e32 v59, 3, v62
	s_mov_b32 s40, exec_lo
	v_cmpx_gt_u32_e32 8, v62
; %bb.181:                              ;   in Loop: Header=BB309_12 Depth=1
	v_ffbh_u32_e32 v59, v1
	v_min_u32_e32 v59, 32, v59
	v_subrev_nc_u32_e32 v62, 28, v59
	v_sub_nc_u32_e32 v59, 29, v59
	v_lshlrev_b64 v[62:63], v62, v[1:2]
	v_and_b32_e32 v1, 7, v62
; %bb.182:                              ;   in Loop: Header=BB309_12 Depth=1
	s_or_b32 exec_lo, exec_lo, s40
	v_lshlrev_b32_e32 v62, 24, v61
	v_lshlrev_b32_e32 v1, 20, v1
	v_lshl_add_u32 v59, v59, 23, 0x3c000000
	v_and_b32_e32 v62, 0x80000000, v62
	v_or3_b32 v59, v1, v62, v59
.LBB309_183:                            ;   in Loop: Header=BB309_12 Depth=1
	s_or_b32 exec_lo, exec_lo, s26
.LBB309_184:                            ;   in Loop: Header=BB309_12 Depth=1
	s_or_b32 exec_lo, exec_lo, s25
.LBB309_185:                            ;   in Loop: Header=BB309_12 Depth=1
	s_or_b32 exec_lo, exec_lo, s22
	v_cmp_ne_u16_sdwa s2, v61, v2 src0_sel:BYTE_1 src1_sel:DWORD
	s_and_saveexec_b32 s22, s2
	s_cbranch_execz .LBB309_193
; %bb.186:                              ;   in Loop: Header=BB309_12 Depth=1
	v_cmp_ne_u16_sdwa s2, v61, v32 src0_sel:BYTE_1 src1_sel:DWORD
	v_bfrev_b32_e32 v60, 1
	s_and_saveexec_b32 s25, s2
	s_cbranch_execz .LBB309_192
; %bb.187:                              ;   in Loop: Header=BB309_12 Depth=1
	v_and_b32_sdwa v1, v33, v61 dst_sel:DWORD dst_unused:UNUSED_PAD src0_sel:DWORD src1_sel:BYTE_1
	v_mov_b32_e32 v60, 0x7f800001
	s_mov_b32 s26, exec_lo
	v_and_b32_e32 v62, 0x7f, v1
	v_cmpx_ne_u32_e32 0x7f, v62
	s_cbranch_execz .LBB309_191
; %bb.188:                              ;   in Loop: Header=BB309_12 Depth=1
	v_and_b32_e32 v1, 7, v1
	v_lshrrev_b32_e32 v60, 3, v62
	s_mov_b32 s40, exec_lo
	v_cmpx_gt_u32_e32 8, v62
; %bb.189:                              ;   in Loop: Header=BB309_12 Depth=1
	v_ffbh_u32_e32 v60, v1
	v_min_u32_e32 v60, 32, v60
	v_subrev_nc_u32_e32 v62, 28, v60
	v_sub_nc_u32_e32 v60, 29, v60
	v_lshlrev_b64 v[62:63], v62, v[1:2]
	v_and_b32_e32 v1, 7, v62
; %bb.190:                              ;   in Loop: Header=BB309_12 Depth=1
	s_or_b32 exec_lo, exec_lo, s40
	v_lshlrev_b32_e32 v61, 16, v61
	v_lshlrev_b32_e32 v1, 20, v1
	v_lshl_add_u32 v60, v60, 23, 0x3c000000
	v_and_b32_e32 v61, 0x80000000, v61
	v_or3_b32 v60, v1, v61, v60
.LBB309_191:                            ;   in Loop: Header=BB309_12 Depth=1
	s_or_b32 exec_lo, exec_lo, s26
.LBB309_192:                            ;   in Loop: Header=BB309_12 Depth=1
	s_or_b32 exec_lo, exec_lo, s25
.LBB309_193:                            ;   in Loop: Header=BB309_12 Depth=1
	s_or_b32 exec_lo, exec_lo, s22
	global_load_ushort v1, v[21:22], off offset:648
	v_mov_b32_e32 v62, 0
	v_mov_b32_e32 v61, 0
	s_waitcnt vmcnt(0)
	v_and_b32_e32 v63, 0xffff, v1
	v_cmp_ne_u16_sdwa s2, v1, v2 src0_sel:BYTE_0 src1_sel:DWORD
	s_and_saveexec_b32 s22, s2
	s_cbranch_execz .LBB309_201
; %bb.194:                              ;   in Loop: Header=BB309_12 Depth=1
	v_cmp_ne_u16_sdwa s2, v63, v32 src0_sel:BYTE_0 src1_sel:DWORD
	v_bfrev_b32_e32 v61, 1
	s_and_saveexec_b32 s25, s2
	s_cbranch_execz .LBB309_200
; %bb.195:                              ;   in Loop: Header=BB309_12 Depth=1
	v_and_b32_e32 v64, 0x7f, v63
	v_mov_b32_e32 v61, 0x7f800001
	s_mov_b32 s26, exec_lo
	v_cmpx_ne_u32_e32 0x7f, v64
	s_cbranch_execz .LBB309_199
; %bb.196:                              ;   in Loop: Header=BB309_12 Depth=1
	v_and_b32_e32 v1, 7, v63
	v_lshrrev_b32_e32 v61, 3, v64
	s_mov_b32 s40, exec_lo
	v_cmpx_gt_u32_e32 8, v64
; %bb.197:                              ;   in Loop: Header=BB309_12 Depth=1
	v_ffbh_u32_e32 v61, v1
	v_min_u32_e32 v61, 32, v61
	v_subrev_nc_u32_e32 v64, 28, v61
	v_sub_nc_u32_e32 v61, 29, v61
	v_lshlrev_b64 v[64:65], v64, v[1:2]
	v_and_b32_e32 v1, 7, v64
; %bb.198:                              ;   in Loop: Header=BB309_12 Depth=1
	s_or_b32 exec_lo, exec_lo, s40
	v_lshlrev_b32_e32 v64, 24, v63
	v_lshlrev_b32_e32 v1, 20, v1
	v_lshl_add_u32 v61, v61, 23, 0x3c000000
	v_and_b32_e32 v64, 0x80000000, v64
	v_or3_b32 v61, v1, v64, v61
.LBB309_199:                            ;   in Loop: Header=BB309_12 Depth=1
	s_or_b32 exec_lo, exec_lo, s26
.LBB309_200:                            ;   in Loop: Header=BB309_12 Depth=1
	s_or_b32 exec_lo, exec_lo, s25
.LBB309_201:                            ;   in Loop: Header=BB309_12 Depth=1
	s_or_b32 exec_lo, exec_lo, s22
	v_cmp_ne_u16_sdwa s2, v63, v2 src0_sel:BYTE_1 src1_sel:DWORD
	s_and_saveexec_b32 s22, s2
	s_cbranch_execz .LBB309_209
; %bb.202:                              ;   in Loop: Header=BB309_12 Depth=1
	v_cmp_ne_u16_sdwa s2, v63, v32 src0_sel:BYTE_1 src1_sel:DWORD
	v_bfrev_b32_e32 v62, 1
	s_and_saveexec_b32 s25, s2
	s_cbranch_execz .LBB309_208
; %bb.203:                              ;   in Loop: Header=BB309_12 Depth=1
	v_and_b32_sdwa v1, v33, v63 dst_sel:DWORD dst_unused:UNUSED_PAD src0_sel:DWORD src1_sel:BYTE_1
	v_mov_b32_e32 v62, 0x7f800001
	s_mov_b32 s26, exec_lo
	v_and_b32_e32 v64, 0x7f, v1
	v_cmpx_ne_u32_e32 0x7f, v64
	s_cbranch_execz .LBB309_207
; %bb.204:                              ;   in Loop: Header=BB309_12 Depth=1
	v_and_b32_e32 v1, 7, v1
	v_lshrrev_b32_e32 v62, 3, v64
	s_mov_b32 s40, exec_lo
	v_cmpx_gt_u32_e32 8, v64
; %bb.205:                              ;   in Loop: Header=BB309_12 Depth=1
	v_ffbh_u32_e32 v62, v1
	v_min_u32_e32 v62, 32, v62
	v_subrev_nc_u32_e32 v64, 28, v62
	v_sub_nc_u32_e32 v62, 29, v62
	v_lshlrev_b64 v[64:65], v64, v[1:2]
	v_and_b32_e32 v1, 7, v64
; %bb.206:                              ;   in Loop: Header=BB309_12 Depth=1
	s_or_b32 exec_lo, exec_lo, s40
	v_lshlrev_b32_e32 v63, 16, v63
	v_lshlrev_b32_e32 v1, 20, v1
	v_lshl_add_u32 v62, v62, 23, 0x3c000000
	v_and_b32_e32 v63, 0x80000000, v63
	v_or3_b32 v62, v1, v63, v62
.LBB309_207:                            ;   in Loop: Header=BB309_12 Depth=1
	s_or_b32 exec_lo, exec_lo, s26
.LBB309_208:                            ;   in Loop: Header=BB309_12 Depth=1
	s_or_b32 exec_lo, exec_lo, s25
.LBB309_209:                            ;   in Loop: Header=BB309_12 Depth=1
	s_or_b32 exec_lo, exec_lo, s22
	global_load_ushort v1, v[21:22], off offset:768
	v_mov_b32_e32 v64, 0
	v_mov_b32_e32 v63, 0
	s_waitcnt vmcnt(0)
	v_and_b32_e32 v65, 0xffff, v1
	v_cmp_ne_u16_sdwa s2, v1, v2 src0_sel:BYTE_0 src1_sel:DWORD
	s_and_saveexec_b32 s22, s2
	s_cbranch_execz .LBB309_217
; %bb.210:                              ;   in Loop: Header=BB309_12 Depth=1
	v_cmp_ne_u16_sdwa s2, v65, v32 src0_sel:BYTE_0 src1_sel:DWORD
	v_bfrev_b32_e32 v63, 1
	s_and_saveexec_b32 s25, s2
	s_cbranch_execz .LBB309_216
; %bb.211:                              ;   in Loop: Header=BB309_12 Depth=1
	v_and_b32_e32 v66, 0x7f, v65
	v_mov_b32_e32 v63, 0x7f800001
	s_mov_b32 s26, exec_lo
	v_cmpx_ne_u32_e32 0x7f, v66
	s_cbranch_execz .LBB309_215
; %bb.212:                              ;   in Loop: Header=BB309_12 Depth=1
	v_and_b32_e32 v1, 7, v65
	v_lshrrev_b32_e32 v63, 3, v66
	s_mov_b32 s40, exec_lo
	v_cmpx_gt_u32_e32 8, v66
; %bb.213:                              ;   in Loop: Header=BB309_12 Depth=1
	v_ffbh_u32_e32 v63, v1
	v_min_u32_e32 v63, 32, v63
	v_subrev_nc_u32_e32 v66, 28, v63
	v_sub_nc_u32_e32 v63, 29, v63
	v_lshlrev_b64 v[66:67], v66, v[1:2]
	v_and_b32_e32 v1, 7, v66
; %bb.214:                              ;   in Loop: Header=BB309_12 Depth=1
	s_or_b32 exec_lo, exec_lo, s40
	v_lshlrev_b32_e32 v66, 24, v65
	v_lshlrev_b32_e32 v1, 20, v1
	v_lshl_add_u32 v63, v63, 23, 0x3c000000
	v_and_b32_e32 v66, 0x80000000, v66
	v_or3_b32 v63, v1, v66, v63
.LBB309_215:                            ;   in Loop: Header=BB309_12 Depth=1
	s_or_b32 exec_lo, exec_lo, s26
.LBB309_216:                            ;   in Loop: Header=BB309_12 Depth=1
	s_or_b32 exec_lo, exec_lo, s25
.LBB309_217:                            ;   in Loop: Header=BB309_12 Depth=1
	s_or_b32 exec_lo, exec_lo, s22
	v_cmp_ne_u16_sdwa s2, v65, v2 src0_sel:BYTE_1 src1_sel:DWORD
	s_and_saveexec_b32 s22, s2
	s_cbranch_execz .LBB309_225
; %bb.218:                              ;   in Loop: Header=BB309_12 Depth=1
	v_cmp_ne_u16_sdwa s2, v65, v32 src0_sel:BYTE_1 src1_sel:DWORD
	v_bfrev_b32_e32 v64, 1
	s_and_saveexec_b32 s25, s2
	s_cbranch_execz .LBB309_224
; %bb.219:                              ;   in Loop: Header=BB309_12 Depth=1
	v_and_b32_sdwa v1, v33, v65 dst_sel:DWORD dst_unused:UNUSED_PAD src0_sel:DWORD src1_sel:BYTE_1
	v_mov_b32_e32 v64, 0x7f800001
	s_mov_b32 s26, exec_lo
	v_and_b32_e32 v66, 0x7f, v1
	v_cmpx_ne_u32_e32 0x7f, v66
	s_cbranch_execz .LBB309_223
; %bb.220:                              ;   in Loop: Header=BB309_12 Depth=1
	v_and_b32_e32 v1, 7, v1
	v_lshrrev_b32_e32 v64, 3, v66
	s_mov_b32 s40, exec_lo
	v_cmpx_gt_u32_e32 8, v66
; %bb.221:                              ;   in Loop: Header=BB309_12 Depth=1
	v_ffbh_u32_e32 v64, v1
	v_min_u32_e32 v64, 32, v64
	v_subrev_nc_u32_e32 v66, 28, v64
	v_sub_nc_u32_e32 v64, 29, v64
	v_lshlrev_b64 v[66:67], v66, v[1:2]
	v_and_b32_e32 v1, 7, v66
; %bb.222:                              ;   in Loop: Header=BB309_12 Depth=1
	s_or_b32 exec_lo, exec_lo, s40
	v_lshlrev_b32_e32 v65, 16, v65
	v_lshlrev_b32_e32 v1, 20, v1
	v_lshl_add_u32 v64, v64, 23, 0x3c000000
	v_and_b32_e32 v65, 0x80000000, v65
	v_or3_b32 v64, v1, v65, v64
.LBB309_223:                            ;   in Loop: Header=BB309_12 Depth=1
	s_or_b32 exec_lo, exec_lo, s26
.LBB309_224:                            ;   in Loop: Header=BB309_12 Depth=1
	s_or_b32 exec_lo, exec_lo, s25
.LBB309_225:                            ;   in Loop: Header=BB309_12 Depth=1
	s_or_b32 exec_lo, exec_lo, s22
	global_load_ushort v1, v[21:22], off offset:776
	v_mov_b32_e32 v66, 0
	v_mov_b32_e32 v65, 0
	s_waitcnt vmcnt(0)
	v_and_b32_e32 v67, 0xffff, v1
	v_cmp_ne_u16_sdwa s2, v1, v2 src0_sel:BYTE_0 src1_sel:DWORD
	s_and_saveexec_b32 s22, s2
	s_cbranch_execz .LBB309_233
; %bb.226:                              ;   in Loop: Header=BB309_12 Depth=1
	v_cmp_ne_u16_sdwa s2, v67, v32 src0_sel:BYTE_0 src1_sel:DWORD
	v_bfrev_b32_e32 v65, 1
	s_and_saveexec_b32 s25, s2
	s_cbranch_execz .LBB309_232
; %bb.227:                              ;   in Loop: Header=BB309_12 Depth=1
	v_and_b32_e32 v68, 0x7f, v67
	v_mov_b32_e32 v65, 0x7f800001
	s_mov_b32 s26, exec_lo
	v_cmpx_ne_u32_e32 0x7f, v68
	s_cbranch_execz .LBB309_231
; %bb.228:                              ;   in Loop: Header=BB309_12 Depth=1
	v_and_b32_e32 v1, 7, v67
	v_lshrrev_b32_e32 v65, 3, v68
	s_mov_b32 s40, exec_lo
	v_cmpx_gt_u32_e32 8, v68
; %bb.229:                              ;   in Loop: Header=BB309_12 Depth=1
	v_ffbh_u32_e32 v65, v1
	v_min_u32_e32 v65, 32, v65
	v_subrev_nc_u32_e32 v68, 28, v65
	v_sub_nc_u32_e32 v65, 29, v65
	v_lshlrev_b64 v[68:69], v68, v[1:2]
	v_and_b32_e32 v1, 7, v68
; %bb.230:                              ;   in Loop: Header=BB309_12 Depth=1
	s_or_b32 exec_lo, exec_lo, s40
	v_lshlrev_b32_e32 v68, 24, v67
	v_lshlrev_b32_e32 v1, 20, v1
	v_lshl_add_u32 v65, v65, 23, 0x3c000000
	v_and_b32_e32 v68, 0x80000000, v68
	v_or3_b32 v65, v1, v68, v65
.LBB309_231:                            ;   in Loop: Header=BB309_12 Depth=1
	s_or_b32 exec_lo, exec_lo, s26
.LBB309_232:                            ;   in Loop: Header=BB309_12 Depth=1
	s_or_b32 exec_lo, exec_lo, s25
.LBB309_233:                            ;   in Loop: Header=BB309_12 Depth=1
	s_or_b32 exec_lo, exec_lo, s22
	v_cmp_ne_u16_sdwa s2, v67, v2 src0_sel:BYTE_1 src1_sel:DWORD
	s_and_saveexec_b32 s22, s2
	s_cbranch_execz .LBB309_241
; %bb.234:                              ;   in Loop: Header=BB309_12 Depth=1
	v_cmp_ne_u16_sdwa s2, v67, v32 src0_sel:BYTE_1 src1_sel:DWORD
	v_bfrev_b32_e32 v66, 1
	s_and_saveexec_b32 s25, s2
	s_cbranch_execz .LBB309_240
; %bb.235:                              ;   in Loop: Header=BB309_12 Depth=1
	v_and_b32_sdwa v1, v33, v67 dst_sel:DWORD dst_unused:UNUSED_PAD src0_sel:DWORD src1_sel:BYTE_1
	v_mov_b32_e32 v66, 0x7f800001
	s_mov_b32 s26, exec_lo
	v_and_b32_e32 v68, 0x7f, v1
	v_cmpx_ne_u32_e32 0x7f, v68
	s_cbranch_execz .LBB309_239
; %bb.236:                              ;   in Loop: Header=BB309_12 Depth=1
	v_and_b32_e32 v1, 7, v1
	v_lshrrev_b32_e32 v66, 3, v68
	s_mov_b32 s40, exec_lo
	v_cmpx_gt_u32_e32 8, v68
; %bb.237:                              ;   in Loop: Header=BB309_12 Depth=1
	v_ffbh_u32_e32 v66, v1
	v_min_u32_e32 v66, 32, v66
	v_subrev_nc_u32_e32 v68, 28, v66
	v_sub_nc_u32_e32 v66, 29, v66
	v_lshlrev_b64 v[68:69], v68, v[1:2]
	v_and_b32_e32 v1, 7, v68
; %bb.238:                              ;   in Loop: Header=BB309_12 Depth=1
	s_or_b32 exec_lo, exec_lo, s40
	v_lshlrev_b32_e32 v67, 16, v67
	v_lshlrev_b32_e32 v1, 20, v1
	v_lshl_add_u32 v66, v66, 23, 0x3c000000
	v_and_b32_e32 v67, 0x80000000, v67
	v_or3_b32 v66, v1, v67, v66
.LBB309_239:                            ;   in Loop: Header=BB309_12 Depth=1
	s_or_b32 exec_lo, exec_lo, s26
.LBB309_240:                            ;   in Loop: Header=BB309_12 Depth=1
	s_or_b32 exec_lo, exec_lo, s25
.LBB309_241:                            ;   in Loop: Header=BB309_12 Depth=1
	s_or_b32 exec_lo, exec_lo, s22
	global_load_ushort v1, v[21:22], off offset:896
	v_mov_b32_e32 v21, 0
	v_mov_b32_e32 v67, 0
	s_waitcnt vmcnt(0)
	v_and_b32_e32 v22, 0xffff, v1
	v_cmp_ne_u16_sdwa s2, v1, v2 src0_sel:BYTE_0 src1_sel:DWORD
	s_and_saveexec_b32 s22, s2
	s_cbranch_execz .LBB309_249
; %bb.242:                              ;   in Loop: Header=BB309_12 Depth=1
	v_cmp_ne_u16_sdwa s2, v22, v32 src0_sel:BYTE_0 src1_sel:DWORD
	v_bfrev_b32_e32 v67, 1
	s_and_saveexec_b32 s25, s2
	s_cbranch_execz .LBB309_248
; %bb.243:                              ;   in Loop: Header=BB309_12 Depth=1
	v_and_b32_e32 v68, 0x7f, v22
	v_mov_b32_e32 v67, 0x7f800001
	s_mov_b32 s26, exec_lo
	v_cmpx_ne_u32_e32 0x7f, v68
	s_cbranch_execz .LBB309_247
; %bb.244:                              ;   in Loop: Header=BB309_12 Depth=1
	v_and_b32_e32 v1, 7, v22
	v_lshrrev_b32_e32 v67, 3, v68
	s_mov_b32 s40, exec_lo
	v_cmpx_gt_u32_e32 8, v68
; %bb.245:                              ;   in Loop: Header=BB309_12 Depth=1
	v_ffbh_u32_e32 v67, v1
	v_min_u32_e32 v67, 32, v67
	v_subrev_nc_u32_e32 v68, 28, v67
	v_sub_nc_u32_e32 v67, 29, v67
	v_lshlrev_b64 v[68:69], v68, v[1:2]
	v_and_b32_e32 v1, 7, v68
; %bb.246:                              ;   in Loop: Header=BB309_12 Depth=1
	s_or_b32 exec_lo, exec_lo, s40
	v_lshlrev_b32_e32 v68, 24, v22
	v_lshlrev_b32_e32 v1, 20, v1
	v_lshl_add_u32 v67, v67, 23, 0x3c000000
	v_and_b32_e32 v68, 0x80000000, v68
	v_or3_b32 v67, v1, v68, v67
.LBB309_247:                            ;   in Loop: Header=BB309_12 Depth=1
	s_or_b32 exec_lo, exec_lo, s26
.LBB309_248:                            ;   in Loop: Header=BB309_12 Depth=1
	s_or_b32 exec_lo, exec_lo, s25
.LBB309_249:                            ;   in Loop: Header=BB309_12 Depth=1
	s_or_b32 exec_lo, exec_lo, s22
	v_cmp_ne_u16_sdwa s2, v22, v2 src0_sel:BYTE_1 src1_sel:DWORD
	s_and_saveexec_b32 s22, s2
	s_cbranch_execz .LBB309_257
; %bb.250:                              ;   in Loop: Header=BB309_12 Depth=1
	v_cmp_ne_u16_sdwa s2, v22, v32 src0_sel:BYTE_1 src1_sel:DWORD
	v_bfrev_b32_e32 v21, 1
	s_and_saveexec_b32 s25, s2
	s_cbranch_execz .LBB309_256
; %bb.251:                              ;   in Loop: Header=BB309_12 Depth=1
	v_and_b32_sdwa v1, v33, v22 dst_sel:DWORD dst_unused:UNUSED_PAD src0_sel:DWORD src1_sel:BYTE_1
	v_mov_b32_e32 v21, 0x7f800001
	s_mov_b32 s26, exec_lo
	v_and_b32_e32 v68, 0x7f, v1
	v_cmpx_ne_u32_e32 0x7f, v68
	s_cbranch_execz .LBB309_255
; %bb.252:                              ;   in Loop: Header=BB309_12 Depth=1
	v_and_b32_e32 v1, 7, v1
	v_lshrrev_b32_e32 v21, 3, v68
	s_mov_b32 s40, exec_lo
	v_cmpx_gt_u32_e32 8, v68
; %bb.253:                              ;   in Loop: Header=BB309_12 Depth=1
	v_ffbh_u32_e32 v21, v1
	v_min_u32_e32 v21, 32, v21
	v_subrev_nc_u32_e32 v68, 28, v21
	v_sub_nc_u32_e32 v21, 29, v21
	v_lshlrev_b64 v[68:69], v68, v[1:2]
	v_and_b32_e32 v1, 7, v68
; %bb.254:                              ;   in Loop: Header=BB309_12 Depth=1
	s_or_b32 exec_lo, exec_lo, s40
	v_lshlrev_b32_e32 v22, 16, v22
	v_lshlrev_b32_e32 v1, 20, v1
	v_lshl_add_u32 v21, v21, 23, 0x3c000000
	v_and_b32_e32 v22, 0x80000000, v22
	v_or3_b32 v21, v1, v22, v21
.LBB309_255:                            ;   in Loop: Header=BB309_12 Depth=1
	s_or_b32 exec_lo, exec_lo, s26
.LBB309_256:                            ;   in Loop: Header=BB309_12 Depth=1
	s_or_b32 exec_lo, exec_lo, s25
.LBB309_257:                            ;   in Loop: Header=BB309_12 Depth=1
	s_or_b32 exec_lo, exec_lo, s22
	s_waitcnt lgkmcnt(0)
	v_mul_f32_e32 v1, s19, v67
	v_mul_f32_e32 v22, s19, v66
	;; [unrolled: 1-line block ×5, first 2 shown]
	v_bfe_u32 v66, v1, 16, 1
	v_bfe_u32 v67, v22, 16, 1
	v_or_b32_e32 v68, 0x400000, v1
	v_cmp_u_f32_e64 s2, v1, v1
	v_or_b32_e32 v69, 0x400000, v22
	v_add3_u32 v66, v66, v1, 0x7fff
	v_bfe_u32 v70, v65, 16, 1
	v_add3_u32 v67, v67, v22, 0x7fff
	v_bfe_u32 v71, v64, 16, 1
	v_mul_f32_e32 v50, s19, v50
	v_cndmask_b32_e64 v1, v66, v68, s2
	v_cmp_u_f32_e64 s2, v22, v22
	v_add3_u32 v66, v70, v65, 0x7fff
	v_add3_u32 v68, v71, v64, 0x7fff
	v_or_b32_e32 v70, 0x400000, v64
	v_mul_f32_e32 v49, s19, v49
	v_cndmask_b32_e64 v22, v67, v69, s2
	v_mul_f32_e32 v67, s19, v63
	v_or_b32_e32 v63, 0x400000, v65
	v_cmp_u_f32_e64 s2, v65, v65
	v_mul_f32_e32 v69, s19, v62
	v_mul_f32_e32 v48, s19, v48
	v_bfe_u32 v71, v67, 16, 1
	v_bfe_u32 v72, v49, 16, 1
	v_cndmask_b32_e64 v62, v66, v63, s2
	v_cmp_u_f32_e64 s2, v64, v64
	v_bfe_u32 v65, v69, 16, 1
	v_add3_u32 v64, v71, v67, 0x7fff
	v_mul_f32_e32 v66, s19, v61
	v_or_b32_e32 v61, 0x400000, v67
	v_cndmask_b32_e64 v63, v68, v70, s2
	v_cmp_u_f32_e64 s2, v67, v67
	v_add3_u32 v65, v65, v69, 0x7fff
	v_mul_f32_e32 v68, s19, v60
	v_or_b32_e32 v70, 0x400000, v69
	v_bfe_u32 v71, v66, 16, 1
	v_cndmask_b32_e64 v60, v64, v61, s2
	v_cmp_u_f32_e64 s2, v69, v69
	v_bfe_u32 v64, v68, 16, 1
	v_mul_f32_e32 v67, s19, v59
	v_or_b32_e32 v59, 0x400000, v66
	v_mul_f32_e32 v69, s19, v58
	v_cndmask_b32_e64 v61, v65, v70, s2
	v_add3_u32 v65, v71, v66, 0x7fff
	v_cmp_u_f32_e64 s2, v66, v66
	v_add3_u32 v64, v64, v68, 0x7fff
	v_or_b32_e32 v70, 0x400000, v68
	v_bfe_u32 v71, v67, 16, 1
	v_mul_f32_e32 v66, s19, v57
	v_cndmask_b32_e64 v58, v65, v59, s2
	v_cmp_u_f32_e64 s2, v68, v68
	v_bfe_u32 v65, v69, 16, 1
	v_or_b32_e32 v57, 0x400000, v67
	v_mul_f32_e32 v68, s19, v56
	v_bfe_u32 v73, v48, 16, 1
	v_cndmask_b32_e64 v59, v64, v70, s2
	v_add3_u32 v64, v71, v67, 0x7fff
	v_cmp_u_f32_e64 s2, v67, v67
	v_add3_u32 v65, v65, v69, 0x7fff
	v_or_b32_e32 v70, 0x400000, v69
	v_bfe_u32 v71, v66, 16, 1
	v_mul_f32_e32 v67, s19, v55
	v_cndmask_b32_e64 v56, v64, v57, s2
	v_cmp_u_f32_e64 s2, v69, v69
	v_bfe_u32 v64, v68, 16, 1
	v_or_b32_e32 v55, 0x400000, v66
	v_mul_f32_e32 v69, s19, v54
	v_mul_f32_e32 v47, s19, v47
	v_cndmask_b32_e64 v57, v65, v70, s2
	v_add3_u32 v65, v71, v66, 0x7fff
	v_cmp_u_f32_e64 s2, v66, v66
	v_add3_u32 v64, v64, v68, 0x7fff
	v_or_b32_e32 v70, 0x400000, v68
	v_bfe_u32 v71, v67, 16, 1
	v_or_b32_e32 v66, 0x400000, v67
	v_cndmask_b32_e64 v54, v65, v55, s2
	v_cmp_u_f32_e64 s2, v68, v68
	v_bfe_u32 v65, v69, 16, 1
	v_mul_f32_e32 v68, s19, v52
	v_mul_f32_e32 v46, s19, v46
	;; [unrolled: 1-line block ×3, first 2 shown]
	v_cndmask_b32_e64 v55, v64, v70, s2
	v_add3_u32 v64, v71, v67, 0x7fff
	v_cmp_u_f32_e64 s2, v67, v67
	v_add3_u32 v65, v65, v69, 0x7fff
	v_or_b32_e32 v70, 0x400000, v69
	v_or_b32_e32 v67, 0x400000, v68
	v_bfe_u32 v71, v50, 16, 1
	v_cndmask_b32_e64 v52, v64, v66, s2
	v_bfe_u32 v66, v68, 16, 1
	v_cmp_u_f32_e64 s2, v69, v69
	v_bfe_u32 v69, v51, 16, 1
	v_bfe_u32 v75, v46, 16, 1
	v_mul_f32_e32 v44, s19, v44
	v_add3_u32 v66, v66, v68, 0x7fff
	v_cndmask_b32_e64 v65, v65, v70, s2
	v_cmp_u_f32_e64 s2, v68, v68
	v_add3_u32 v68, v71, v50, 0x7fff
	v_bfe_u32 v76, v45, 16, 1
	v_bfe_u32 v77, v44, 16, 1
	v_mul_f32_e32 v42, s19, v42
	v_cndmask_b32_e64 v66, v66, v67, s2
	v_add3_u32 v67, v69, v51, 0x7fff
	v_or_b32_e32 v69, 0x400000, v50
	v_cmp_u_f32_e64 s2, v50, v50
	v_mul_f32_e32 v41, s19, v41
	v_mul_f32_e32 v40, s19, v40
	v_or_b32_e32 v79, 0x400000, v42
	v_mul_f32_e32 v39, s19, v39
	v_cndmask_b32_e64 v50, v68, v69, s2
	v_add3_u32 v68, v72, v49, 0x7fff
	v_add3_u32 v69, v73, v48, 0x7fff
	v_or_b32_e32 v72, 0x400000, v48
	v_bfe_u32 v73, v47, 16, 1
	v_cmp_u_f32_e64 s2, v48, v48
	v_bfe_u32 v80, v41, 16, 1
	v_bfe_u32 v81, v40, 16, 1
	v_mul_f32_e32 v43, s19, v43
	v_or_b32_e32 v82, 0x400000, v40
	v_cndmask_b32_e64 v48, v69, v72, s2
	v_add3_u32 v69, v73, v47, 0x7fff
	v_add3_u32 v72, v75, v46, 0x7fff
	v_or_b32_e32 v73, 0x400000, v46
	v_cmp_u_f32_e64 s2, v46, v46
	v_add3_u32 v81, v81, v40, 0x7fff
	v_or_b32_e32 v83, 0x400000, v39
	v_or_b32_e32 v78, 0x400000, v45
	;; [unrolled: 1-line block ×3, first 2 shown]
	v_cndmask_b32_e64 v46, v72, v73, s2
	v_add3_u32 v72, v76, v45, 0x7fff
	v_add3_u32 v73, v77, v44, 0x7fff
	v_or_b32_e32 v76, 0x400000, v44
	v_cmp_u_f32_e64 s2, v44, v44
	v_bfe_u32 v77, v43, 16, 1
	v_mul_f32_e32 v53, s19, v53
	v_or_b32_e32 v74, 0x400000, v49
	v_or_b32_e32 v71, 0x400000, v51
	v_cndmask_b32_e64 v44, v73, v76, s2
	v_bfe_u32 v73, v42, 16, 1
	v_cmp_u_f32_e64 s2, v42, v42
	v_add3_u32 v76, v77, v43, 0x7fff
	v_or_b32_e32 v77, 0x400000, v43
	v_bfe_u32 v64, v53, 16, 1
	v_add3_u32 v73, v73, v42, 0x7fff
	v_or_b32_e32 v70, 0x400000, v53
	v_and_b32_e32 v1, 0xffff0000, v1
	v_add3_u32 v64, v64, v53, 0x7fff
	v_cndmask_b32_e64 v42, v73, v79, s2
	v_add3_u32 v79, v80, v41, 0x7fff
	v_or_b32_e32 v80, 0x400000, v41
	v_cmp_u_f32_e64 s2, v41, v41
	v_bfe_u32 v73, v39, 16, 1
	v_and_b32_e32 v42, 0xffff0000, v42
	v_cndmask_b32_e64 v41, v79, v80, s2
	v_cmp_u_f32_e64 s2, v40, v40
	v_add3_u32 v73, v73, v39, 0x7fff
	v_lshlrev_b32_e32 v79, 16, v20
	v_and_b32_e32 v20, 0xffff0000, v20
	v_and_b32_e32 v41, 0xffff0000, v41
	v_cndmask_b32_e64 v40, v81, v82, s2
	v_cmp_u_f32_e64 s2, v39, v39
	v_mul_f32_e32 v20, v20, v42
	v_mul_f32_e32 v41, v79, v41
	v_and_b32_e32 v40, 0xffff0000, v40
	v_cndmask_b32_e64 v39, v73, v83, s2
	v_cmp_u_f32_e64 s2, v43, v43
	v_lshlrev_b32_e32 v73, 16, v19
	v_and_b32_e32 v19, 0xffff0000, v19
	v_lshlrev_b32_e32 v43, 16, v17
	v_and_b32_e32 v39, 0xffff0000, v39
	v_cndmask_b32_e64 v42, v76, v77, s2
	v_cmp_u_f32_e64 s2, v45, v45
	v_and_b32_e32 v17, 0xffff0000, v17
	v_fmac_f32_e32 v20, v19, v40
	v_fmac_f32_e32 v41, v73, v39
	v_and_b32_e32 v19, 0xffff0000, v42
	v_and_b32_e32 v39, 0xffff0000, v44
	v_cndmask_b32_e64 v40, v72, v78, s2
	v_cmp_u_f32_e64 s2, v47, v47
	v_lshlrev_b32_e32 v42, 16, v18
	v_and_b32_e32 v18, 0xffff0000, v18
	v_fmac_f32_e32 v41, v43, v19
	v_fmac_f32_e32 v20, v17, v39
	v_and_b32_e32 v17, 0xffff0000, v40
	v_and_b32_e32 v19, 0xffff0000, v46
	v_cndmask_b32_e64 v39, v69, v75, s2
	v_cmp_u_f32_e64 s2, v49, v49
	v_lshlrev_b32_e32 v40, 16, v15
	v_and_b32_e32 v15, 0xffff0000, v15
	v_fmac_f32_e32 v41, v42, v17
	v_fmac_f32_e32 v20, v18, v19
	v_and_b32_e32 v17, 0xffff0000, v39
	v_and_b32_e32 v18, 0xffff0000, v48
	v_cndmask_b32_e64 v19, v68, v74, s2
	v_cmp_u_f32_e64 s2, v51, v51
	v_lshlrev_b32_e32 v39, 16, v16
	v_and_b32_e32 v16, 0xffff0000, v16
	v_fmac_f32_e32 v41, v40, v17
	v_fmac_f32_e32 v20, v15, v18
	v_and_b32_e32 v15, 0xffff0000, v19
	v_and_b32_e32 v17, 0xffff0000, v50
	v_cndmask_b32_e64 v18, v67, v71, s2
	v_cmp_u_f32_e64 s2, v53, v53
	v_lshlrev_b32_e32 v19, 16, v13
	v_and_b32_e32 v13, 0xffff0000, v13
	v_fmac_f32_e32 v41, v39, v15
	v_fmac_f32_e32 v20, v16, v17
	v_and_b32_e32 v15, 0xffff0000, v18
	v_and_b32_e32 v16, 0xffff0000, v66
	v_cndmask_b32_e64 v17, v64, v70, s2
	v_lshlrev_b32_e32 v18, 16, v14
	v_and_b32_e32 v14, 0xffff0000, v14
	v_fmac_f32_e32 v41, v19, v15
	v_fmac_f32_e32 v20, v13, v16
	v_and_b32_e32 v13, 0xffff0000, v17
	v_and_b32_e32 v15, 0xffff0000, v65
	v_lshlrev_b32_e32 v16, 16, v11
	v_and_b32_e32 v11, 0xffff0000, v11
	v_lshlrev_b32_e32 v17, 16, v12
	v_fmac_f32_e32 v41, v18, v13
	v_fmac_f32_e32 v20, v14, v15
	v_and_b32_e32 v13, 0xffff0000, v52
	v_and_b32_e32 v14, 0xffff0000, v55
	;; [unrolled: 1-line block ×3, first 2 shown]
	v_lshlrev_b32_e32 v15, 16, v9
	v_and_b32_e32 v9, 0xffff0000, v9
	v_fmac_f32_e32 v41, v16, v13
	v_fmac_f32_e32 v20, v11, v14
	v_and_b32_e32 v11, 0xffff0000, v54
	v_and_b32_e32 v13, 0xffff0000, v57
	v_lshlrev_b32_e32 v18, 16, v10
	v_and_b32_e32 v10, 0xffff0000, v10
	v_lshlrev_b32_e32 v14, 16, v7
	v_fmac_f32_e32 v41, v17, v11
	v_fmac_f32_e32 v20, v12, v13
	v_and_b32_e32 v11, 0xffff0000, v56
	v_and_b32_e32 v12, 0xffff0000, v59
	v_mul_f32_e32 v17, s19, v21
	v_and_b32_e32 v7, 0xffff0000, v7
	v_lshlrev_b32_e32 v16, 16, v8
	v_fmac_f32_e32 v41, v15, v11
	v_fmac_f32_e32 v20, v9, v12
	v_and_b32_e32 v9, 0xffff0000, v58
	v_and_b32_e32 v11, 0xffff0000, v61
	v_bfe_u32 v15, v17, 16, 1
	v_cmp_u_f32_e64 s2, v17, v17
	v_xor_b32_e32 v12, 2, v25
	v_fmac_f32_e32 v41, v18, v9
	v_fmac_f32_e32 v20, v10, v11
	v_and_b32_e32 v9, 0xffff0000, v60
	v_and_b32_e32 v10, 0xffff0000, v63
	v_add3_u32 v11, v15, v17, 0x7fff
	v_or_b32_e32 v15, 0x400000, v17
	v_and_b32_e32 v8, 0xffff0000, v8
	v_fmac_f32_e32 v41, v14, v9
	v_fmac_f32_e32 v20, v7, v10
	v_and_b32_e32 v7, 0xffff0000, v62
	v_and_b32_e32 v9, 0xffff0000, v22
	v_cndmask_b32_e64 v10, v11, v15, s2
	v_lshlrev_b32_e32 v13, 16, v38
	v_and_b32_e32 v11, 0xffff0000, v38
	v_fmac_f32_e32 v41, v16, v7
	v_fmac_f32_e32 v20, v8, v9
	v_and_b32_e32 v7, 0xffff0000, v10
	v_cmp_gt_i32_e64 s2, 32, v12
	v_fmac_f32_e32 v41, v13, v1
	v_fmac_f32_e32 v20, v11, v7
	v_cndmask_b32_e64 v8, v25, v12, s2
	v_add_f32_e32 v7, v41, v20
	v_lshlrev_b32_e32 v1, 2, v8
	v_xor_b32_e32 v8, 1, v25
	ds_bpermute_b32 v1, v1, v7
	v_cmp_gt_i32_e64 s2, 32, v8
	v_cndmask_b32_e64 v8, v25, v8, s2
	v_lshlrev_b32_e32 v8, 2, v8
	s_waitcnt lgkmcnt(0)
	v_add_f32_e32 v1, v7, v1
	ds_bpermute_b32 v7, v8, v1
	s_and_saveexec_b32 s19, vcc_lo
	s_cbranch_execz .LBB309_10
; %bb.258:                              ;   in Loop: Header=BB309_12 Depth=1
	v_add_nc_u32_e32 v8, v34, v29
	s_waitcnt lgkmcnt(0)
	v_add_f32_e32 v1, v1, v7
	v_cvt_f32_i32_e32 v8, v8
	v_mul_f32_e32 v8, s24, v8
	v_cndmask_b32_e64 v7, 0, v8, s1
	v_max_f32_e32 v8, v27, v27
	v_fmac_f32_e32 v7, s23, v1
	v_add_nc_u32_e32 v1, v26, v29
	v_max_f32_e32 v8, v8, v7
	v_cmp_gt_i32_e64 s2, s35, v1
	v_cndmask_b32_e64 v1, 0, v7, s2
	v_cndmask_b32_e64 v27, v27, v8, s2
	ds_write_b32 v35, v1
	s_branch .LBB309_10
.LBB309_259:
	s_or_b32 exec_lo, exec_lo, s15
.LBB309_260:
	s_or_b32 exec_lo, exec_lo, s14
	v_xor_b32_e32 v1, 16, v25
	v_xor_b32_e32 v3, 8, v25
	v_max_f32_e32 v4, v27, v27
	v_and_b32_e32 v21, 31, v0
	v_cmp_gt_i32_e32 vcc_lo, 32, v1
	v_cndmask_b32_e32 v1, v25, v1, vcc_lo
	v_cmp_gt_i32_e32 vcc_lo, 32, v3
	v_lshlrev_b32_e32 v1, 2, v1
	v_cndmask_b32_e32 v3, v25, v3, vcc_lo
	ds_bpermute_b32 v2, v1, v27
	s_waitcnt lgkmcnt(0)
	v_max_f32_e32 v5, v2, v2
	v_lshlrev_b32_e32 v2, 2, v3
	v_max_f32_e32 v3, v4, v5
	v_xor_b32_e32 v5, 4, v25
	ds_bpermute_b32 v4, v2, v3
	v_cmp_gt_i32_e32 vcc_lo, 32, v5
	v_cndmask_b32_e32 v5, v25, v5, vcc_lo
	v_cmp_eq_u32_e32 vcc_lo, 0, v21
	v_lshlrev_b32_e32 v5, 2, v5
	s_waitcnt lgkmcnt(0)
	v_max_f32_e32 v4, v4, v4
	v_max_f32_e32 v4, v3, v4
	v_lshlrev_b32_e32 v3, 2, v23
	ds_bpermute_b32 v6, v5, v4
	s_and_saveexec_b32 s1, vcc_lo
	s_cbranch_execz .LBB309_262
; %bb.261:
	s_waitcnt lgkmcnt(0)
	v_max_f32_e32 v6, v6, v6
	v_max_f32_e32 v4, v4, v4
	;; [unrolled: 1-line block ×3, first 2 shown]
	ds_write_b32 v3, v4 offset:240
.LBB309_262:
	s_or_b32 exec_lo, exec_lo, s1
	v_cmp_gt_u32_e64 s1, 4, v21
	v_mov_b32_e32 v7, 0xff7fffff
	v_lshlrev_b32_e32 v4, 2, v21
	s_waitcnt lgkmcnt(0)
	s_barrier
	buffer_gl0_inv
	s_and_saveexec_b32 s2, s1
; %bb.263:
	ds_read_b32 v7, v4 offset:240
; %bb.264:
	s_or_b32 exec_lo, exec_lo, s2
	v_xor_b32_e32 v6, 2, v25
	v_xor_b32_e32 v9, 1, v25
	s_waitcnt lgkmcnt(0)
	v_max_f32_e32 v10, v7, v7
	v_lshl_add_u32 v22, v0, 2, 0x110
	v_cmp_gt_i32_e64 s2, 32, v6
	v_cndmask_b32_e64 v6, v25, v6, s2
	v_cmp_gt_i32_e64 s2, 32, v9
	v_lshlrev_b32_e32 v6, 2, v6
	ds_bpermute_b32 v8, v6, v7
	v_cndmask_b32_e64 v7, v25, v9, s2
	s_lshl_b32 s2, s45, 3
	s_min_i32 s4, s2, s35
	v_lshlrev_b32_e32 v7, 2, v7
	v_cmp_gt_i32_e64 s2, s4, v0
	s_waitcnt lgkmcnt(0)
	v_max_f32_e32 v8, v8, v8
	v_max_f32_e32 v8, v10, v8
	ds_bpermute_b32 v9, v7, v8
	s_waitcnt lgkmcnt(0)
	v_max_f32_e32 v9, v9, v9
	v_max_f32_e32 v9, v8, v9
	v_mov_b32_e32 v8, 0
	ds_bpermute_b32 v9, v8, v9
	s_and_saveexec_b32 s5, s2
	s_cbranch_execz .LBB309_268
; %bb.265:
	v_lshl_add_u32 v10, v0, 2, 0x110
	v_mov_b32_e32 v8, 0
	v_mov_b32_e32 v11, v0
	s_mov_b32 s14, 0
	.p2align	6
.LBB309_266:                            ; =>This Inner Loop Header: Depth=1
	ds_read_b32 v12, v10
	v_add_nc_u32_e32 v11, 0x80, v11
	v_cmp_le_i32_e64 s3, s4, v11
	s_or_b32 s14, s3, s14
	s_waitcnt lgkmcnt(0)
	v_sub_f32_e32 v12, v12, v9
	v_mul_f32_e32 v12, 0x3fb8aa3b, v12
	v_exp_f32_e32 v12, v12
	ds_write_b32 v10, v12
	v_add_f32_e32 v8, v8, v12
	v_add_nc_u32_e32 v10, 0x200, v10
	s_andn2_b32 exec_lo, exec_lo, s14
	s_cbranch_execnz .LBB309_266
; %bb.267:
	s_or_b32 exec_lo, exec_lo, s14
.LBB309_268:
	s_or_b32 exec_lo, exec_lo, s5
	ds_bpermute_b32 v1, v1, v8
	s_waitcnt lgkmcnt(0)
	v_add_f32_e32 v1, v8, v1
	ds_bpermute_b32 v2, v2, v1
	s_waitcnt lgkmcnt(0)
	v_add_f32_e32 v1, v1, v2
	;; [unrolled: 3-line block ×5, first 2 shown]
	s_and_saveexec_b32 s3, vcc_lo
; %bb.269:
	ds_write_b32 v3, v1 offset:256
; %bb.270:
	s_or_b32 exec_lo, exec_lo, s3
	s_waitcnt lgkmcnt(0)
	s_barrier
	buffer_gl0_inv
	s_and_saveexec_b32 s3, s1
; %bb.271:
	ds_read_b32 v1, v4 offset:256
; %bb.272:
	s_or_b32 exec_lo, exec_lo, s3
	s_waitcnt lgkmcnt(0)
	ds_bpermute_b32 v2, v6, v1
	s_waitcnt lgkmcnt(0)
	v_add_f32_e32 v1, v1, v2
	ds_bpermute_b32 v2, v7, v1
	s_waitcnt lgkmcnt(0)
	v_add_f32_e32 v1, v1, v2
	v_mov_b32_e32 v2, 0
	ds_bpermute_b32 v1, v2, v1
	s_and_saveexec_b32 s1, s2
	s_cbranch_execz .LBB309_275
; %bb.273:
	s_waitcnt lgkmcnt(0)
	v_add_f32_e32 v2, 0x358637bd, v1
	s_mov_b32 s2, 0
	v_div_scale_f32 v1, null, v2, v2, 1.0
	v_div_scale_f32 v5, vcc_lo, 1.0, v2, 1.0
	v_rcp_f32_e32 v3, v1
	v_fma_f32 v4, -v1, v3, 1.0
	v_fmac_f32_e32 v3, v4, v3
	v_mul_f32_e32 v4, v5, v3
	v_fma_f32 v6, -v1, v4, v5
	v_fmac_f32_e32 v4, v6, v3
	v_fma_f32 v1, -v1, v4, v5
	v_div_fmas_f32 v3, v1, v3, v4
	v_mov_b32_e32 v1, v22
	v_div_fixup_f32 v2, v3, v2, 1.0
	v_mov_b32_e32 v3, v0
.LBB309_274:                            ; =>This Inner Loop Header: Depth=1
	ds_read_b32 v4, v1
	v_add_nc_u32_e32 v3, 0x80, v3
	v_cmp_le_i32_e32 vcc_lo, s4, v3
	s_or_b32 s2, vcc_lo, s2
	s_waitcnt lgkmcnt(0)
	v_mul_f32_e32 v4, v2, v4
	ds_write_b32 v1, v4
	v_add_nc_u32_e32 v1, 0x200, v1
	s_andn2_b32 exec_lo, exec_lo, s2
	s_cbranch_execnz .LBB309_274
.LBB309_275:
	s_or_b32 exec_lo, exec_lo, s1
	v_mov_b32_e32 v28, 0
	v_mov_b32_e32 v27, 0
	;; [unrolled: 1-line block ×4, first 2 shown]
	s_waitcnt lgkmcnt(0)
	s_barrier
	buffer_gl0_inv
	s_and_saveexec_b32 s46, s0
	s_cbranch_execz .LBB309_531
; %bb.276:
	s_sub_i32 s47, s12, s17
	s_ashr_i32 s0, s9, 31
	s_add_u32 s28, s20, s9
	s_addc_u32 s29, s21, s0
	s_abs_i32 s48, s18
	v_and_b32_e32 v3, 0x7c, v30
	v_cvt_f32_u32_e32 v1, s48
	s_sub_i32 s0, 0, s48
	v_or_b32_e32 v2, 0x60, v21
	s_add_i32 s50, s45, -1
	v_lshlrev_b32_e32 v29, 3, v21
	v_rcp_iflag_f32_e32 v1, v1
	v_mov_b32_e32 v10, 0
	v_lshl_add_u32 v30, v23, 5, 0x110
	v_mov_b32_e32 v31, 0x80
	v_mov_b32_e32 v32, 0xffff
	;; [unrolled: 1-line block ×7, first 2 shown]
	v_mul_f32_e32 v1, 0x4f7ffffe, v1
	v_mov_b32_e32 v27, 0
	v_mov_b32_e32 v28, 0
	v_lshlrev_b32_e32 v36, 3, v2
	v_mov_b32_e32 v38, v23
	v_cvt_u32_f32_e32 v1, v1
	s_mov_b32 s40, -1
	s_mov_b32 s49, s13
	s_mov_b32 s41, 0xffffff
	;; [unrolled: 1-line block ×3, first 2 shown]
	v_mul_lo_u32 v4, s0, v1
	s_lshl_b64 s[0:1], s[6:7], 2
	v_cmp_gt_u32_e32 vcc_lo, 0x78, v2
	s_add_u32 s0, s10, s0
	s_addc_u32 s1, s11, s1
	v_add_co_u32 v11, s0, s0, v3
	v_add_co_ci_u32_e64 v12, null, s1, 0, s0
	v_mul_hi_u32 v4, v1, v4
	v_add_nc_u32_e32 v37, v1, v4
	s_branch .LBB309_280
.LBB309_277:                            ;   in Loop: Header=BB309_280 Depth=1
	s_or_b32 exec_lo, exec_lo, s26
	v_perm_b32 v43, v56, v55, 0x7060302
	v_perm_b32 v55, v58, v57, 0x7060302
	v_lshlrev_b32_e32 v42, 16, v42
	v_lshlrev_b32_e32 v14, 16, v14
	v_perm_b32 v56, v60, v59, 0x7060302
	v_and_b32_e32 v58, 0xffff0000, v43
	v_lshlrev_b32_e32 v43, 16, v43
	v_lshlrev_b32_e32 v9, 16, v9
	v_lshlrev_b32_e32 v13, 16, v13
	v_perm_b32 v57, v62, v61, 0x7060302
	v_mul_f32_e32 v42, v58, v42
	v_and_b32_e32 v58, 0xffff0000, v55
	v_lshlrev_b32_e32 v55, 16, v55
	v_mul_f32_e32 v14, v43, v14
	v_and_b32_e32 v43, 0xffff0000, v56
	v_bfe_u32 v59, v42, 16, 1
	v_mul_f32_e32 v9, v58, v9
	v_mul_f32_e32 v13, v55, v13
	v_bfe_u32 v55, v14, 16, 1
	v_or_b32_e32 v58, 0x400000, v42
	v_add3_u32 v59, v59, v42, 0x7fff
	v_cmp_u_f32_e64 s0, v42, v42
	v_or_b32_e32 v60, 0x400000, v14
	v_bfe_u32 v61, v9, 16, 1
	v_add3_u32 v55, v55, v14, 0x7fff
	v_lshlrev_b32_e32 v2, 16, v2
	v_cndmask_b32_e64 v42, v59, v58, s0
	v_cmp_u_f32_e64 s0, v14, v14
	v_or_b32_e32 v58, 0x400000, v9
	v_bfe_u32 v59, v13, 16, 1
	v_mul_f32_e32 v2, v43, v2
	v_lshlrev_b32_e32 v43, 16, v56
	v_cndmask_b32_e64 v14, v55, v60, s0
	v_add3_u32 v55, v61, v9, 0x7fff
	v_lshlrev_b32_e32 v1, 16, v1
	v_cmp_u_f32_e64 s0, v9, v9
	v_or_b32_e32 v56, 0x400000, v13
	v_lshlrev_b32_e32 v4, 16, v4
	v_lshlrev_b32_e32 v3, 16, v3
	v_mul_f32_e32 v1, v43, v1
	v_cndmask_b32_e64 v9, v55, v58, s0
	v_add3_u32 v55, v59, v13, 0x7fff
	v_bfe_u32 v58, v2, 16, 1
	v_and_b32_e32 v43, 0xffff0000, v57
	v_lshlrev_b32_e32 v57, 16, v57
	v_cmp_u_f32_e64 s0, v13, v13
	v_and_b32_e32 v14, 0xffff0000, v14
	v_and_b32_e32 v42, 0xffff0000, v42
	v_mul_f32_e32 v4, v43, v4
	v_mul_f32_e32 v3, v57, v3
	v_cndmask_b32_e64 v13, v55, v56, s0
	v_bfe_u32 v55, v1, 16, 1
	v_add3_u32 v56, v58, v2, 0x7fff
	v_or_b32_e32 v43, 0x400000, v2
	v_cmp_u_f32_e64 s0, v2, v2
	v_or_b32_e32 v57, 0x400000, v1
	v_add3_u32 v55, v55, v1, 0x7fff
	v_bfe_u32 v59, v3, 16, 1
	v_bfe_u32 v58, v4, 16, 1
	v_cndmask_b32_e64 v2, v56, v43, s0
	v_cmp_u_f32_e64 s0, v1, v1
	v_or_b32_e32 v56, 0x400000, v3
	v_and_b32_e32 v13, 0xffff0000, v13
	v_add3_u32 v43, v58, v4, 0x7fff
	v_and_b32_e32 v9, 0xffff0000, v9
	v_cndmask_b32_e64 v1, v55, v57, s0
	v_add3_u32 v55, v59, v3, 0x7fff
	v_cmp_u_f32_e64 s0, v3, v3
	v_or_b32_e32 v57, 0x400000, v4
	v_add_f32_e32 v14, v14, v42
	v_add_f32_e32 v9, v13, v9
	v_and_b32_e32 v1, 0xffff0000, v1
	v_cndmask_b32_e64 v3, v55, v56, s0
	v_cmp_u_f32_e64 s0, v4, v4
	v_and_b32_e32 v2, 0xffff0000, v2
	v_add_f32_e32 v9, v9, v14
	v_cndmask_b32_e64 v4, v43, v57, s0
	v_add_f32_e32 v1, v1, v2
	v_and_b32_e32 v2, 0xffff0000, v3
	v_and_b32_e32 v3, 0xffff0000, v4
	v_add_f32_e32 v1, v1, v9
	v_add_f32_e32 v2, v2, v3
	;; [unrolled: 1-line block ×4, first 2 shown]
.LBB309_278:                            ;   in Loop: Header=BB309_280 Depth=1
	s_or_b32 exec_lo, exec_lo, s54
	v_bfe_u32 v1, v52, 16, 1
	v_or_b32_e32 v2, 0x400000, v52
	v_bfe_u32 v3, v51, 16, 1
	v_bfe_u32 v9, v50, 16, 1
	;; [unrolled: 1-line block ×3, first 2 shown]
	v_add3_u32 v1, v1, v52, 0x7fff
	v_bfe_u32 v14, v54, 16, 1
	v_or_b32_e32 v4, 0x400000, v51
	v_add3_u32 v3, v3, v51, 0x7fff
	v_add3_u32 v9, v9, v50, 0x7fff
	v_cndmask_b32_e64 v1, v1, v2, s24
	v_or_b32_e32 v2, 0x400000, v50
	v_add3_u32 v13, v13, v49, 0x7fff
	v_or_b32_e32 v42, 0x400000, v49
	v_add3_u32 v14, v14, v54, 0x7fff
	v_or_b32_e32 v43, 0x400000, v54
	v_bfe_u32 v49, v53, 16, 1
	v_cndmask_b32_e64 v3, v3, v4, s20
	v_cndmask_b32_e64 v2, v9, v2, s21
	;; [unrolled: 1-line block ×4, first 2 shown]
	v_add3_u32 v13, v49, v53, 0x7fff
	v_or_b32_e32 v14, 0x400000, v53
	v_bfe_u32 v42, v48, 16, 1
	v_and_b32_e32 v3, 0xffff0000, v3
	v_and_b32_e32 v1, 0xffff0000, v1
	;; [unrolled: 1-line block ×4, first 2 shown]
	v_cndmask_b32_e64 v13, v13, v14, s23
	v_add3_u32 v42, v42, v48, 0x7fff
	v_add_f32_e32 v1, v3, v1
	v_bfe_u32 v14, v47, 16, 1
	v_add_f32_e32 v2, v4, v2
	v_and_b32_e32 v3, 0xffff0000, v13
	v_and_b32_e32 v4, 0xffff0000, v9
	v_or_b32_e32 v9, 0x400000, v48
	v_add3_u32 v13, v14, v47, 0x7fff
	v_add_f32_e32 v1, v2, v1
	v_or_b32_e32 v14, 0x400000, v47
	v_add_f32_e32 v2, v3, v4
	v_cndmask_b32_e64 v3, v42, v9, s19
	v_bfe_u32 v4, v46, 16, 1
	v_bfe_u32 v42, v44, 16, 1
	v_cndmask_b32_e64 v9, v13, v14, s17
	v_add_f32_e32 v1, v2, v1
	v_and_b32_e32 v2, 0xffff0000, v3
	v_add3_u32 v3, v4, v46, 0x7fff
	v_or_b32_e32 v4, 0x400000, v46
	v_bfe_u32 v13, v45, 16, 1
	v_or_b32_e32 v14, 0x400000, v45
	v_add3_u32 v42, v42, v44, 0x7fff
	v_or_b32_e32 v43, 0x400000, v44
	v_cndmask_b32_e64 v3, v3, v4, s15
	v_bfe_u32 v4, v41, 16, 1
	v_add3_u32 v13, v13, v45, 0x7fff
	v_bfe_u32 v44, v19, 16, 1
	v_cndmask_b32_e64 v42, v42, v43, s16
	v_and_b32_e32 v3, 0xffff0000, v3
	v_add3_u32 v4, v4, v41, 0x7fff
	v_or_b32_e32 v41, 0x400000, v41
	v_cndmask_b32_e64 v13, v13, v14, s18
	v_bfe_u32 v14, v40, 16, 1
	v_and_b32_e32 v42, 0xffff0000, v42
	v_bfe_u32 v43, v39, 16, 1
	v_cndmask_b32_e64 v4, v4, v41, s13
	v_and_b32_e32 v13, 0xffff0000, v13
	v_add3_u32 v14, v14, v40, 0x7fff
	v_or_b32_e32 v40, 0x400000, v40
	v_add3_u32 v41, v43, v39, 0x7fff
	v_and_b32_e32 v4, 0xffff0000, v4
	v_add_f32_e32 v3, v13, v3
	v_or_b32_e32 v39, 0x400000, v39
	v_cndmask_b32_e64 v14, v14, v40, s14
	v_add3_u32 v40, v44, v19, 0x7fff
	v_or_b32_e32 v19, 0x400000, v19
	v_add_f32_e32 v4, v4, v42
	v_bfe_u32 v43, v20, 16, 1
	v_and_b32_e32 v14, 0xffff0000, v14
	v_and_b32_e32 v9, 0xffff0000, v9
	v_cndmask_b32_e64 v13, v40, v19, s10
	v_add_f32_e32 v3, v4, v3
	v_bfe_u32 v4, v17, 16, 1
	v_cndmask_b32_e64 v19, v41, v39, s11
	v_bfe_u32 v39, v18, 16, 1
	v_and_b32_e32 v13, 0xffff0000, v13
	v_bfe_u32 v40, v8, 16, 1
	v_add3_u32 v4, v4, v17, 0x7fff
	v_or_b32_e32 v17, 0x400000, v17
	v_add3_u32 v39, v39, v18, 0x7fff
	v_or_b32_e32 v18, 0x400000, v18
	v_add_f32_e32 v13, v13, v14
	v_bfe_u32 v14, v7, 16, 1
	v_cndmask_b32_e64 v4, v4, v17, s9
	v_bfe_u32 v17, v16, 16, 1
	v_cndmask_b32_e64 v18, v39, v18, s7
	v_bfe_u32 v39, v15, 16, 1
	v_add3_u32 v14, v14, v7, 0x7fff
	v_or_b32_e32 v7, 0x400000, v7
	v_add3_u32 v17, v17, v16, 0x7fff
	v_or_b32_e32 v16, 0x400000, v16
	;; [unrolled: 2-line block ×4, first 2 shown]
	v_bfe_u32 v41, v6, 16, 1
	v_cndmask_b32_e64 v7, v14, v7, s3
	v_cndmask_b32_e64 v14, v17, v16, s4
	v_bfe_u32 v17, v5, 16, 1
	v_add3_u32 v43, v43, v20, 0x7fff
	v_or_b32_e32 v20, 0x400000, v20
	v_cndmask_b32_e64 v15, v39, v15, s5
	v_cndmask_b32_e64 v8, v40, v8, s6
	v_add3_u32 v16, v41, v6, 0x7fff
	v_and_b32_e32 v4, 0xffff0000, v4
	v_and_b32_e32 v18, 0xffff0000, v18
	;; [unrolled: 1-line block ×4, first 2 shown]
	v_or_b32_e32 v6, 0x400000, v6
	v_add3_u32 v17, v17, v5, 0x7fff
	v_or_b32_e32 v5, 0x400000, v5
	v_cndmask_b32_e64 v20, v43, v20, s12
	v_add_f32_e32 v4, v4, v18
	v_add_f32_e32 v7, v14, v7
	v_and_b32_e32 v8, 0xffff0000, v8
	v_and_b32_e32 v14, 0xffff0000, v15
	v_cndmask_b32_e64 v5, v17, v5, s2
	v_cndmask_b32_e64 v6, v16, v6, s1
	v_and_b32_e32 v20, 0xffff0000, v20
	v_and_b32_e32 v15, 0xffff0000, v19
	v_add_f32_e32 v4, v7, v4
	v_add_f32_e32 v7, v8, v14
	v_and_b32_e32 v5, 0xffff0000, v5
	v_and_b32_e32 v6, 0xffff0000, v6
	v_add_f32_e32 v2, v2, v9
	v_add_f32_e32 v3, v13, v3
	;; [unrolled: 1-line block ×11, first 2 shown]
.LBB309_279:                            ;   in Loop: Header=BB309_280 Depth=1
	s_or_b32 exec_lo, exec_lo, s52
	v_add_nc_u32_e32 v38, 4, v38
	v_add_co_u32 v11, s1, v11, 16
	v_add_co_ci_u32_e64 v12, null, 0, v12, s1
	v_cmp_le_i32_e64 s0, s45, v38
	v_add_nc_u32_e32 v24, 32, v24
	v_add_nc_u32_e32 v30, 0x80, v30
	s_or_b32 s51, s0, s51
	s_andn2_b32 exec_lo, exec_lo, s51
	s_cbranch_execz .LBB309_530
.LBB309_280:                            ; =>This Inner Loop Header: Depth=1
	v_mul_hi_u32 v1, v24, s42
	v_mul_lo_u32 v2, v1, s37
	v_add_nc_u32_e32 v3, 1, v1
	v_sub_nc_u32_e32 v2, v24, v2
	v_subrev_nc_u32_e32 v4, s37, v2
	v_cmp_le_u32_e64 s0, s37, v2
	v_cndmask_b32_e64 v1, v1, v3, s0
	v_cndmask_b32_e64 v2, v2, v4, s0
	v_add_nc_u32_e32 v3, 1, v1
	v_cmp_le_u32_e64 s0, s37, v2
	v_cndmask_b32_e64 v1, v1, v3, s0
	v_xor_b32_e32 v1, s44, v1
	v_subrev_nc_u32_e32 v1, s44, v1
	v_add_nc_u32_e32 v2, s43, v1
	v_cmp_lt_i32_e64 s1, s47, v1
	v_sub_nc_u32_e32 v3, 0, v2
	v_max_i32_e32 v3, v2, v3
	v_ashrrev_i32_e32 v2, 31, v2
	v_mul_hi_u32 v4, v3, v37
	v_mul_lo_u32 v4, v4, s48
	v_sub_nc_u32_e32 v3, v3, v4
	v_subrev_nc_u32_e32 v4, s48, v3
	v_cmp_le_u32_e64 s0, s48, v3
	v_cndmask_b32_e64 v3, v3, v4, s0
	v_subrev_nc_u32_e32 v4, s48, v3
	v_cmp_le_u32_e64 s0, s48, v3
	v_cndmask_b32_e64 v3, v3, v4, s0
	v_xor_b32_e32 v3, v3, v2
	v_sub_nc_u32_e32 v2, v3, v2
	v_cmp_eq_u32_e64 s0, 0, v2
	s_or_b32 s0, s0, s1
	s_and_saveexec_b32 s52, s0
	s_cbranch_execz .LBB309_279
; %bb.281:                              ;   in Loop: Header=BB309_280 Depth=1
	global_load_dword v1, v[11:12], off
	v_mov_b32_e32 v40, 0
	v_mov_b32_e32 v42, 0
	s_waitcnt vmcnt(0)
	v_mad_i64_i32 v[13:14], null, v1, s49, s[28:29]
	v_add_co_u32 v15, s0, v13, v29
	v_add_co_ci_u32_e64 v16, null, 0, v14, s0
	global_load_dwordx2 v[17:18], v[15:16], off
	ds_read2_b64 v[5:8], v30 offset1:1
	ds_read2_b64 v[1:4], v30 offset0:2 offset1:3
	s_load_dword s53, s[30:31], 0x0
	s_waitcnt vmcnt(0)
	v_cmp_ne_u16_sdwa s0, v17, v10 src0_sel:BYTE_0 src1_sel:DWORD
	s_and_saveexec_b32 s1, s0
	s_cbranch_execz .LBB309_287
; %bb.282:                              ;   in Loop: Header=BB309_280 Depth=1
	v_cmp_ne_u16_sdwa s0, v17, v31 src0_sel:BYTE_0 src1_sel:DWORD
	v_bfrev_b32_e32 v42, 1
	s_and_saveexec_b32 s2, s0
	s_cbranch_execz .LBB309_286
; %bb.283:                              ;   in Loop: Header=BB309_280 Depth=1
	v_and_b32_e32 v9, 0x7f, v17
	v_mov_b32_e32 v42, 0x7f800001
	s_mov_b32 s3, exec_lo
	v_cmpx_ne_u32_e32 0x7f, v9
	s_cbranch_execz .LBB309_285
; %bb.284:                              ;   in Loop: Header=BB309_280 Depth=1
	v_and_b32_e32 v19, 7, v17
	v_lshrrev_b32_e32 v20, 3, v9
	v_cmp_gt_u32_e64 s0, 8, v9
	v_ffbh_u32_e32 v19, v19
	v_min_u32_e32 v19, 32, v19
	v_subrev_nc_u32_e32 v39, 28, v19
	v_sub_nc_u32_e32 v19, 29, v19
	v_cndmask_b32_e64 v9, v20, v19, s0
	v_cndmask_b32_e64 v19, 0, v39, s0
	v_lshl_add_u32 v9, v9, 23, 0x3c000000
	v_lshlrev_b64 v[19:20], v19, v[17:18]
	v_lshlrev_b32_e32 v20, 24, v17
	v_lshlrev_b32_e32 v19, 20, v19
	v_and_b32_e32 v20, 0x80000000, v20
	v_and_b32_e32 v19, 0x700000, v19
	v_or3_b32 v42, v19, v20, v9
.LBB309_285:                            ;   in Loop: Header=BB309_280 Depth=1
	s_or_b32 exec_lo, exec_lo, s3
.LBB309_286:                            ;   in Loop: Header=BB309_280 Depth=1
	s_or_b32 exec_lo, exec_lo, s2
.LBB309_287:                            ;   in Loop: Header=BB309_280 Depth=1
	s_or_b32 exec_lo, exec_lo, s1
	v_cmp_ne_u16_sdwa s0, v17, v10 src0_sel:BYTE_1 src1_sel:DWORD
	s_and_saveexec_b32 s1, s0
	s_cbranch_execz .LBB309_295
; %bb.288:                              ;   in Loop: Header=BB309_280 Depth=1
	v_cmp_ne_u16_sdwa s0, v17, v31 src0_sel:BYTE_1 src1_sel:DWORD
	v_bfrev_b32_e32 v40, 1
	s_and_saveexec_b32 s2, s0
	s_cbranch_execz .LBB309_294
; %bb.289:                              ;   in Loop: Header=BB309_280 Depth=1
	v_and_b32_sdwa v9, v32, v17 dst_sel:DWORD dst_unused:UNUSED_PAD src0_sel:DWORD src1_sel:BYTE_1
	v_mov_b32_e32 v40, 0x7f800001
	s_mov_b32 s3, exec_lo
	v_and_b32_e32 v20, 0x7f, v9
	v_cmpx_ne_u32_e32 0x7f, v20
	s_cbranch_execz .LBB309_293
; %bb.290:                              ;   in Loop: Header=BB309_280 Depth=1
	v_and_b32_e32 v9, 7, v9
	v_lshrrev_b32_e32 v19, 3, v20
	s_mov_b32 s4, exec_lo
	v_cmpx_gt_u32_e32 8, v20
; %bb.291:                              ;   in Loop: Header=BB309_280 Depth=1
	v_ffbh_u32_e32 v19, v9
	v_min_u32_e32 v19, 32, v19
	v_subrev_nc_u32_e32 v20, 28, v19
	v_sub_nc_u32_e32 v19, 29, v19
	v_lshlrev_b64 v[39:40], v20, v[9:10]
	v_and_b32_e32 v9, 7, v39
; %bb.292:                              ;   in Loop: Header=BB309_280 Depth=1
	s_or_b32 exec_lo, exec_lo, s4
	v_lshlrev_b32_e32 v20, 16, v17
	v_lshlrev_b32_e32 v9, 20, v9
	v_lshl_add_u32 v19, v19, 23, 0x3c000000
	v_and_b32_e32 v20, 0x80000000, v20
	v_or3_b32 v40, v9, v20, v19
.LBB309_293:                            ;   in Loop: Header=BB309_280 Depth=1
	s_or_b32 exec_lo, exec_lo, s3
.LBB309_294:                            ;   in Loop: Header=BB309_280 Depth=1
	s_or_b32 exec_lo, exec_lo, s2
.LBB309_295:                            ;   in Loop: Header=BB309_280 Depth=1
	s_or_b32 exec_lo, exec_lo, s1
	v_and_b32_sdwa v9, v17, v33 dst_sel:DWORD dst_unused:UNUSED_PAD src0_sel:WORD_1 src1_sel:DWORD
	v_mov_b32_e32 v41, 0
	v_mov_b32_e32 v39, 0
	s_mov_b32 s1, exec_lo
	v_cmpx_ne_u16_e32 0, v9
	s_cbranch_execz .LBB309_303
; %bb.296:                              ;   in Loop: Header=BB309_280 Depth=1
	v_bfrev_b32_e32 v39, 1
	s_mov_b32 s2, exec_lo
	v_cmpx_ne_u16_e32 0x80, v9
	s_cbranch_execz .LBB309_302
; %bb.297:                              ;   in Loop: Header=BB309_280 Depth=1
	v_bfe_u32 v20, v17, 16, 7
	v_mov_b32_e32 v39, 0x7f800001
	s_mov_b32 s3, exec_lo
	v_cmpx_ne_u32_e32 0x7f, v20
	s_cbranch_execz .LBB309_301
; %bb.298:                              ;   in Loop: Header=BB309_280 Depth=1
	v_and_b32_sdwa v9, v17, v34 dst_sel:DWORD dst_unused:UNUSED_PAD src0_sel:WORD_1 src1_sel:DWORD
	v_lshrrev_b32_e32 v19, 3, v20
	s_mov_b32 s4, exec_lo
	v_cmpx_gt_u32_e32 8, v20
; %bb.299:                              ;   in Loop: Header=BB309_280 Depth=1
	v_ffbh_u32_e32 v19, v9
	v_min_u32_e32 v19, 32, v19
	v_subrev_nc_u32_e32 v20, 28, v19
	v_sub_nc_u32_e32 v19, 29, v19
	v_lshlrev_b64 v[43:44], v20, v[9:10]
	v_and_b32_e32 v9, 7, v43
; %bb.300:                              ;   in Loop: Header=BB309_280 Depth=1
	s_or_b32 exec_lo, exec_lo, s4
	v_lshlrev_b32_sdwa v20, v35, v17 dst_sel:DWORD dst_unused:UNUSED_PAD src0_sel:DWORD src1_sel:WORD_1
	v_lshlrev_b32_e32 v9, 20, v9
	v_lshl_add_u32 v19, v19, 23, 0x3c000000
	v_and_b32_e32 v20, 0x80000000, v20
	v_or3_b32 v39, v9, v20, v19
.LBB309_301:                            ;   in Loop: Header=BB309_280 Depth=1
	s_or_b32 exec_lo, exec_lo, s3
.LBB309_302:                            ;   in Loop: Header=BB309_280 Depth=1
	s_or_b32 exec_lo, exec_lo, s2
.LBB309_303:                            ;   in Loop: Header=BB309_280 Depth=1
	s_or_b32 exec_lo, exec_lo, s1
	s_mov_b32 s1, exec_lo
	v_cmpx_lt_u32_e32 0xffffff, v17
	s_cbranch_execz .LBB309_311
; %bb.304:                              ;   in Loop: Header=BB309_280 Depth=1
	v_cmp_ne_u32_sdwa s0, v17, v31 src0_sel:BYTE_3 src1_sel:DWORD
	v_bfrev_b32_e32 v41, 1
	s_and_saveexec_b32 s2, s0
	s_cbranch_execz .LBB309_310
; %bb.305:                              ;   in Loop: Header=BB309_280 Depth=1
	v_bfe_u32 v20, v17, 24, 7
	v_mov_b32_e32 v41, 0x7f800001
	s_mov_b32 s3, exec_lo
	v_cmpx_ne_u32_e32 0x7f, v20
	s_cbranch_execz .LBB309_309
; %bb.306:                              ;   in Loop: Header=BB309_280 Depth=1
	v_and_b32_sdwa v9, v17, v34 dst_sel:DWORD dst_unused:UNUSED_PAD src0_sel:BYTE_3 src1_sel:DWORD
	v_lshrrev_b32_e32 v19, 3, v20
	s_mov_b32 s4, exec_lo
	v_cmpx_gt_u32_e32 8, v20
; %bb.307:                              ;   in Loop: Header=BB309_280 Depth=1
	v_ffbh_u32_e32 v19, v9
	v_min_u32_e32 v19, 32, v19
	v_subrev_nc_u32_e32 v20, 28, v19
	v_sub_nc_u32_e32 v19, 29, v19
	v_lshlrev_b64 v[43:44], v20, v[9:10]
	v_and_b32_e32 v9, 7, v43
; %bb.308:                              ;   in Loop: Header=BB309_280 Depth=1
	s_or_b32 exec_lo, exec_lo, s4
	v_lshlrev_b32_sdwa v20, v35, v17 dst_sel:DWORD dst_unused:UNUSED_PAD src0_sel:DWORD src1_sel:BYTE_3
	v_lshlrev_b32_e32 v9, 20, v9
	v_lshl_add_u32 v19, v19, 23, 0x3c000000
	v_and_b32_e32 v20, 0x80000000, v20
	v_or3_b32 v41, v9, v20, v19
.LBB309_309:                            ;   in Loop: Header=BB309_280 Depth=1
	s_or_b32 exec_lo, exec_lo, s3
.LBB309_310:                            ;   in Loop: Header=BB309_280 Depth=1
	s_or_b32 exec_lo, exec_lo, s2
.LBB309_311:                            ;   in Loop: Header=BB309_280 Depth=1
	s_or_b32 exec_lo, exec_lo, s1
	v_mov_b32_e32 v9, v18
	v_cmp_ne_u16_sdwa s0, v18, v10 src0_sel:BYTE_0 src1_sel:DWORD
	v_mov_b32_e32 v19, 0
	v_mov_b32_e32 v43, 0
	s_and_saveexec_b32 s1, s0
	s_cbranch_execz .LBB309_317
; %bb.312:                              ;   in Loop: Header=BB309_280 Depth=1
	v_cmp_ne_u16_sdwa s0, v18, v31 src0_sel:BYTE_0 src1_sel:DWORD
	v_bfrev_b32_e32 v43, 1
	s_and_saveexec_b32 s2, s0
	s_cbranch_execz .LBB309_316
; %bb.313:                              ;   in Loop: Header=BB309_280 Depth=1
	v_and_b32_e32 v20, 0x7f, v18
	v_mov_b32_e32 v43, 0x7f800001
	s_mov_b32 s3, exec_lo
	v_cmpx_ne_u32_e32 0x7f, v20
	s_cbranch_execz .LBB309_315
; %bb.314:                              ;   in Loop: Header=BB309_280 Depth=1
	v_and_b32_e32 v43, 7, v18
	v_lshrrev_b32_e32 v44, 3, v20
	v_cmp_gt_u32_e64 s0, 8, v20
	v_ffbh_u32_e32 v43, v43
	v_min_u32_e32 v43, 32, v43
	v_subrev_nc_u32_e32 v45, 28, v43
	v_sub_nc_u32_e32 v43, 29, v43
	v_cndmask_b32_e64 v20, v44, v43, s0
	v_cndmask_b32_e64 v43, 0, v45, s0
	v_lshl_add_u32 v20, v20, 23, 0x3c000000
	v_lshlrev_b64 v[43:44], v43, v[9:10]
	v_lshlrev_b32_e32 v44, 24, v9
	v_lshlrev_b32_e32 v43, 20, v43
	v_and_b32_e32 v44, 0x80000000, v44
	v_and_b32_e32 v43, 0x700000, v43
	v_or3_b32 v43, v43, v44, v20
.LBB309_315:                            ;   in Loop: Header=BB309_280 Depth=1
	s_or_b32 exec_lo, exec_lo, s3
.LBB309_316:                            ;   in Loop: Header=BB309_280 Depth=1
	s_or_b32 exec_lo, exec_lo, s2
.LBB309_317:                            ;   in Loop: Header=BB309_280 Depth=1
	s_or_b32 exec_lo, exec_lo, s1
	v_cmp_ne_u16_sdwa s0, v9, v10 src0_sel:BYTE_1 src1_sel:DWORD
	s_and_saveexec_b32 s1, s0
	s_cbranch_execz .LBB309_325
; %bb.318:                              ;   in Loop: Header=BB309_280 Depth=1
	v_cmp_ne_u16_sdwa s0, v9, v31 src0_sel:BYTE_1 src1_sel:DWORD
	v_bfrev_b32_e32 v19, 1
	s_and_saveexec_b32 s2, s0
	s_cbranch_execz .LBB309_324
; %bb.319:                              ;   in Loop: Header=BB309_280 Depth=1
	v_and_b32_sdwa v20, v32, v9 dst_sel:DWORD dst_unused:UNUSED_PAD src0_sel:DWORD src1_sel:BYTE_1
	v_mov_b32_e32 v19, 0x7f800001
	s_mov_b32 s3, exec_lo
	v_and_b32_e32 v45, 0x7f, v20
	v_cmpx_ne_u32_e32 0x7f, v45
	s_cbranch_execz .LBB309_323
; %bb.320:                              ;   in Loop: Header=BB309_280 Depth=1
	v_and_b32_e32 v19, 7, v20
	v_mov_b32_e32 v20, v10
	v_lshrrev_b32_e32 v44, 3, v45
	s_mov_b32 s4, exec_lo
	v_cmpx_gt_u32_e32 8, v45
; %bb.321:                              ;   in Loop: Header=BB309_280 Depth=1
	v_ffbh_u32_e32 v44, v19
	v_min_u32_e32 v44, 32, v44
	v_subrev_nc_u32_e32 v45, 28, v44
	v_sub_nc_u32_e32 v44, 29, v44
	v_lshlrev_b64 v[19:20], v45, v[19:20]
	v_and_b32_e32 v19, 7, v19
; %bb.322:                              ;   in Loop: Header=BB309_280 Depth=1
	s_or_b32 exec_lo, exec_lo, s4
	v_lshlrev_b32_e32 v9, 16, v9
	v_lshlrev_b32_e32 v19, 20, v19
	v_lshl_add_u32 v20, v44, 23, 0x3c000000
	v_and_b32_e32 v9, 0x80000000, v9
	v_or3_b32 v19, v19, v9, v20
.LBB309_323:                            ;   in Loop: Header=BB309_280 Depth=1
	s_or_b32 exec_lo, exec_lo, s3
.LBB309_324:                            ;   in Loop: Header=BB309_280 Depth=1
	s_or_b32 exec_lo, exec_lo, s2
.LBB309_325:                            ;   in Loop: Header=BB309_280 Depth=1
	s_or_b32 exec_lo, exec_lo, s1
	v_and_b32_sdwa v9, v18, v33 dst_sel:DWORD dst_unused:UNUSED_PAD src0_sel:WORD_1 src1_sel:DWORD
	v_mov_b32_e32 v20, 0
	v_mov_b32_e32 v44, 0
	s_mov_b32 s1, exec_lo
	v_cmpx_ne_u16_e32 0, v9
	s_cbranch_execz .LBB309_333
; %bb.326:                              ;   in Loop: Header=BB309_280 Depth=1
	v_bfrev_b32_e32 v44, 1
	s_mov_b32 s2, exec_lo
	v_cmpx_ne_u16_e32 0x80, v9
	s_cbranch_execz .LBB309_332
; %bb.327:                              ;   in Loop: Header=BB309_280 Depth=1
	v_bfe_u32 v45, v18, 16, 7
	v_mov_b32_e32 v44, 0x7f800001
	s_mov_b32 s3, exec_lo
	v_cmpx_ne_u32_e32 0x7f, v45
	s_cbranch_execz .LBB309_331
; %bb.328:                              ;   in Loop: Header=BB309_280 Depth=1
	v_and_b32_sdwa v9, v18, v34 dst_sel:DWORD dst_unused:UNUSED_PAD src0_sel:WORD_1 src1_sel:DWORD
	v_lshrrev_b32_e32 v44, 3, v45
	s_mov_b32 s4, exec_lo
	v_cmpx_gt_u32_e32 8, v45
; %bb.329:                              ;   in Loop: Header=BB309_280 Depth=1
	v_ffbh_u32_e32 v44, v9
	v_min_u32_e32 v44, 32, v44
	v_subrev_nc_u32_e32 v45, 28, v44
	v_sub_nc_u32_e32 v44, 29, v44
	v_lshlrev_b64 v[45:46], v45, v[9:10]
	v_and_b32_e32 v9, 7, v45
; %bb.330:                              ;   in Loop: Header=BB309_280 Depth=1
	s_or_b32 exec_lo, exec_lo, s4
	v_lshlrev_b32_sdwa v45, v35, v18 dst_sel:DWORD dst_unused:UNUSED_PAD src0_sel:DWORD src1_sel:WORD_1
	v_lshlrev_b32_e32 v9, 20, v9
	v_lshl_add_u32 v44, v44, 23, 0x3c000000
	v_and_b32_e32 v45, 0x80000000, v45
	v_or3_b32 v44, v9, v45, v44
.LBB309_331:                            ;   in Loop: Header=BB309_280 Depth=1
	s_or_b32 exec_lo, exec_lo, s3
.LBB309_332:                            ;   in Loop: Header=BB309_280 Depth=1
	s_or_b32 exec_lo, exec_lo, s2
.LBB309_333:                            ;   in Loop: Header=BB309_280 Depth=1
	s_or_b32 exec_lo, exec_lo, s1
	s_mov_b32 s1, exec_lo
	v_cmpx_lt_u64_e64 s[40:41], v[17:18]
	s_cbranch_execz .LBB309_341
; %bb.334:                              ;   in Loop: Header=BB309_280 Depth=1
	v_cmp_ne_u32_sdwa s0, v18, v31 src0_sel:BYTE_3 src1_sel:DWORD
	v_bfrev_b32_e32 v20, 1
	s_and_saveexec_b32 s2, s0
	s_cbranch_execz .LBB309_340
; %bb.335:                              ;   in Loop: Header=BB309_280 Depth=1
	v_bfe_u32 v45, v18, 24, 7
	v_mov_b32_e32 v20, 0x7f800001
	s_mov_b32 s3, exec_lo
	v_cmpx_ne_u32_e32 0x7f, v45
	s_cbranch_execz .LBB309_339
; %bb.336:                              ;   in Loop: Header=BB309_280 Depth=1
	v_and_b32_sdwa v9, v18, v34 dst_sel:DWORD dst_unused:UNUSED_PAD src0_sel:BYTE_3 src1_sel:DWORD
	v_lshrrev_b32_e32 v17, 3, v45
	s_mov_b32 s4, exec_lo
	v_cmpx_gt_u32_e32 8, v45
; %bb.337:                              ;   in Loop: Header=BB309_280 Depth=1
	v_ffbh_u32_e32 v17, v9
	v_min_u32_e32 v17, 32, v17
	v_subrev_nc_u32_e32 v20, 28, v17
	v_sub_nc_u32_e32 v17, 29, v17
	v_lshlrev_b64 v[45:46], v20, v[9:10]
	v_and_b32_e32 v9, 7, v45
; %bb.338:                              ;   in Loop: Header=BB309_280 Depth=1
	s_or_b32 exec_lo, exec_lo, s4
	v_lshlrev_b32_sdwa v18, v35, v18 dst_sel:DWORD dst_unused:UNUSED_PAD src0_sel:DWORD src1_sel:BYTE_3
	v_lshlrev_b32_e32 v9, 20, v9
	v_lshl_add_u32 v17, v17, 23, 0x3c000000
	v_and_b32_e32 v18, 0x80000000, v18
	v_or3_b32 v20, v9, v18, v17
.LBB309_339:                            ;   in Loop: Header=BB309_280 Depth=1
	s_or_b32 exec_lo, exec_lo, s3
.LBB309_340:                            ;   in Loop: Header=BB309_280 Depth=1
	s_or_b32 exec_lo, exec_lo, s2
.LBB309_341:                            ;   in Loop: Header=BB309_280 Depth=1
	s_or_b32 exec_lo, exec_lo, s1
	s_waitcnt lgkmcnt(0)
	v_mul_f32_e32 v9, s53, v19
	v_mul_f32_e32 v17, s53, v43
	;; [unrolled: 1-line block ×5, first 2 shown]
	v_bfe_u32 v19, v9, 16, 1
	v_or_b32_e32 v39, 0x400000, v9
	v_bfe_u32 v41, v17, 16, 1
	v_cmp_u_f32_e64 s1, v9, v9
	v_or_b32_e32 v45, 0x400000, v17
	v_add3_u32 v19, v19, v9, 0x7fff
	v_bfe_u32 v46, v18, 16, 1
	v_add3_u32 v41, v41, v17, 0x7fff
	v_or_b32_e32 v47, 0x400000, v18
	v_cmp_eq_u32_e64 s0, s50, v38
	v_cndmask_b32_e64 v9, v19, v39, s1
	v_cmp_u_f32_e64 s1, v17, v17
	v_bfe_u32 v19, v43, 16, 1
	v_add3_u32 v46, v46, v18, 0x7fff
	v_lshrrev_b32_e32 v39, 16, v9
	v_cndmask_b32_e64 v17, v41, v45, s1
	v_cmp_u_f32_e64 s1, v18, v18
	v_mul_f32_e32 v18, s53, v40
	v_add3_u32 v19, v19, v43, 0x7fff
	v_or_b32_e32 v45, 0x400000, v43
	v_lshrrev_b32_e32 v40, 16, v17
	v_cndmask_b32_e64 v9, v46, v47, s1
	v_cmp_u_f32_e64 s1, v43, v43
	v_or_b32_e32 v43, 0x400000, v18
	v_or_b32_e32 v47, 0x400000, v20
	v_lshrrev_b32_e32 v41, 16, v9
	v_bfe_u32 v9, v18, 16, 1
	v_cndmask_b32_e64 v17, v19, v45, s1
	v_mul_f32_e32 v19, s53, v42
	v_mul_f32_e32 v42, s53, v44
	v_cmp_u_f32_e64 s1, v18, v18
	v_add3_u32 v9, v9, v18, 0x7fff
	v_bfe_u32 v18, v20, 16, 1
	v_bfe_u32 v44, v19, 16, 1
	;; [unrolled: 1-line block ×3, first 2 shown]
	v_or_b32_e32 v46, 0x400000, v42
	v_cndmask_b32_e64 v9, v9, v43, s1
	v_cmp_u_f32_e64 s1, v19, v19
	v_add3_u32 v43, v44, v19, 0x7fff
	v_or_b32_e32 v44, 0x400000, v19
	v_add3_u32 v45, v45, v42, 0x7fff
	v_add3_u32 v18, v18, v20, 0x7fff
	v_cndmask_b32_e64 v19, v43, v44, s1
	v_cmp_u_f32_e64 s1, v42, v42
	v_lshrrev_b32_e32 v44, 16, v17
	v_cndmask_b32_e64 v42, v45, v46, s1
	v_cmp_u_f32_e64 s1, v20, v20
	v_lshrrev_b32_e32 v46, 16, v9
	v_lshrrev_b32_e32 v45, 16, v19
	;; [unrolled: 1-line block ×3, first 2 shown]
	v_cndmask_b32_e64 v18, v18, v47, s1
	v_lshrrev_b32_e32 v43, 16, v18
	s_and_saveexec_b32 s2, s0
	s_cbranch_execz .LBB309_343
; %bb.342:                              ;   in Loop: Header=BB309_280 Depth=1
	v_add_nc_u32_e32 v9, 1, v24
	v_cmp_gt_i32_e64 s1, s35, v24
	v_add_nc_u32_e32 v17, 2, v24
	v_add_nc_u32_e32 v18, 3, v24
	v_cndmask_b32_e64 v45, 0, v45, s1
	v_cmp_gt_i32_e64 s1, s35, v9
	v_add_nc_u32_e32 v9, 4, v24
	v_cndmask_b32_e64 v46, 0, v46, s1
	v_cmp_gt_i32_e64 s1, s35, v17
	;; [unrolled: 3-line block ×5, first 2 shown]
	v_cndmask_b32_e64 v39, 0, v39, s1
	v_cmp_gt_i32_e64 s1, s35, v18
	v_cndmask_b32_e64 v42, 0, v42, s1
	v_cmp_gt_i32_e64 s1, s35, v9
	v_cndmask_b32_e64 v43, 0, v43, s1
.LBB309_343:                            ;   in Loop: Header=BB309_280 Depth=1
	s_or_b32 exec_lo, exec_lo, s2
	global_load_dwordx2 v[17:18], v[15:16], off offset:256
	v_mov_b32_e32 v47, 0
	v_mov_b32_e32 v48, 0
	s_waitcnt vmcnt(0)
	v_cmp_ne_u16_sdwa s1, v17, v10 src0_sel:BYTE_0 src1_sel:DWORD
	s_and_saveexec_b32 s2, s1
	s_cbranch_execz .LBB309_349
; %bb.344:                              ;   in Loop: Header=BB309_280 Depth=1
	v_cmp_ne_u16_sdwa s1, v17, v31 src0_sel:BYTE_0 src1_sel:DWORD
	v_bfrev_b32_e32 v48, 1
	s_and_saveexec_b32 s3, s1
	s_cbranch_execz .LBB309_348
; %bb.345:                              ;   in Loop: Header=BB309_280 Depth=1
	v_and_b32_e32 v9, 0x7f, v17
	v_mov_b32_e32 v48, 0x7f800001
	s_mov_b32 s4, exec_lo
	v_cmpx_ne_u32_e32 0x7f, v9
	s_cbranch_execz .LBB309_347
; %bb.346:                              ;   in Loop: Header=BB309_280 Depth=1
	v_and_b32_e32 v19, 7, v17
	v_lshrrev_b32_e32 v20, 3, v9
	v_cmp_gt_u32_e64 s1, 8, v9
	v_ffbh_u32_e32 v19, v19
	v_min_u32_e32 v19, 32, v19
	v_subrev_nc_u32_e32 v48, 28, v19
	v_sub_nc_u32_e32 v19, 29, v19
	v_cndmask_b32_e64 v9, v20, v19, s1
	v_cndmask_b32_e64 v19, 0, v48, s1
	v_lshl_add_u32 v9, v9, 23, 0x3c000000
	v_lshlrev_b64 v[19:20], v19, v[17:18]
	v_lshlrev_b32_e32 v20, 24, v17
	v_lshlrev_b32_e32 v19, 20, v19
	v_and_b32_e32 v20, 0x80000000, v20
	v_and_b32_e32 v19, 0x700000, v19
	v_or3_b32 v48, v19, v20, v9
.LBB309_347:                            ;   in Loop: Header=BB309_280 Depth=1
	s_or_b32 exec_lo, exec_lo, s4
.LBB309_348:                            ;   in Loop: Header=BB309_280 Depth=1
	s_or_b32 exec_lo, exec_lo, s3
.LBB309_349:                            ;   in Loop: Header=BB309_280 Depth=1
	s_or_b32 exec_lo, exec_lo, s2
	v_cmp_ne_u16_sdwa s1, v17, v10 src0_sel:BYTE_1 src1_sel:DWORD
	s_and_saveexec_b32 s2, s1
	s_cbranch_execz .LBB309_357
; %bb.350:                              ;   in Loop: Header=BB309_280 Depth=1
	v_cmp_ne_u16_sdwa s1, v17, v31 src0_sel:BYTE_1 src1_sel:DWORD
	v_bfrev_b32_e32 v47, 1
	s_and_saveexec_b32 s3, s1
	s_cbranch_execz .LBB309_356
; %bb.351:                              ;   in Loop: Header=BB309_280 Depth=1
	v_and_b32_sdwa v9, v32, v17 dst_sel:DWORD dst_unused:UNUSED_PAD src0_sel:DWORD src1_sel:BYTE_1
	v_mov_b32_e32 v47, 0x7f800001
	s_mov_b32 s4, exec_lo
	v_and_b32_e32 v20, 0x7f, v9
	v_cmpx_ne_u32_e32 0x7f, v20
	s_cbranch_execz .LBB309_355
; %bb.352:                              ;   in Loop: Header=BB309_280 Depth=1
	v_and_b32_e32 v9, 7, v9
	v_lshrrev_b32_e32 v19, 3, v20
	s_mov_b32 s5, exec_lo
	v_cmpx_gt_u32_e32 8, v20
; %bb.353:                              ;   in Loop: Header=BB309_280 Depth=1
	v_ffbh_u32_e32 v19, v9
	v_min_u32_e32 v19, 32, v19
	v_subrev_nc_u32_e32 v20, 28, v19
	v_sub_nc_u32_e32 v19, 29, v19
	v_lshlrev_b64 v[49:50], v20, v[9:10]
	v_and_b32_e32 v9, 7, v49
; %bb.354:                              ;   in Loop: Header=BB309_280 Depth=1
	s_or_b32 exec_lo, exec_lo, s5
	v_lshlrev_b32_e32 v20, 16, v17
	v_lshlrev_b32_e32 v9, 20, v9
	v_lshl_add_u32 v19, v19, 23, 0x3c000000
	v_and_b32_e32 v20, 0x80000000, v20
	v_or3_b32 v47, v9, v20, v19
.LBB309_355:                            ;   in Loop: Header=BB309_280 Depth=1
	s_or_b32 exec_lo, exec_lo, s4
.LBB309_356:                            ;   in Loop: Header=BB309_280 Depth=1
	s_or_b32 exec_lo, exec_lo, s3
.LBB309_357:                            ;   in Loop: Header=BB309_280 Depth=1
	s_or_b32 exec_lo, exec_lo, s2
	v_and_b32_sdwa v9, v17, v33 dst_sel:DWORD dst_unused:UNUSED_PAD src0_sel:WORD_1 src1_sel:DWORD
	v_mov_b32_e32 v50, 0
	v_mov_b32_e32 v49, 0
	s_mov_b32 s2, exec_lo
	v_cmpx_ne_u16_e32 0, v9
	s_cbranch_execz .LBB309_365
; %bb.358:                              ;   in Loop: Header=BB309_280 Depth=1
	v_bfrev_b32_e32 v49, 1
	s_mov_b32 s3, exec_lo
	v_cmpx_ne_u16_e32 0x80, v9
	s_cbranch_execz .LBB309_364
; %bb.359:                              ;   in Loop: Header=BB309_280 Depth=1
	v_bfe_u32 v20, v17, 16, 7
	v_mov_b32_e32 v49, 0x7f800001
	s_mov_b32 s4, exec_lo
	v_cmpx_ne_u32_e32 0x7f, v20
	s_cbranch_execz .LBB309_363
; %bb.360:                              ;   in Loop: Header=BB309_280 Depth=1
	v_and_b32_sdwa v9, v17, v34 dst_sel:DWORD dst_unused:UNUSED_PAD src0_sel:WORD_1 src1_sel:DWORD
	v_lshrrev_b32_e32 v19, 3, v20
	s_mov_b32 s5, exec_lo
	v_cmpx_gt_u32_e32 8, v20
; %bb.361:                              ;   in Loop: Header=BB309_280 Depth=1
	v_ffbh_u32_e32 v19, v9
	v_min_u32_e32 v19, 32, v19
	v_subrev_nc_u32_e32 v20, 28, v19
	v_sub_nc_u32_e32 v19, 29, v19
	v_lshlrev_b64 v[51:52], v20, v[9:10]
	v_and_b32_e32 v9, 7, v51
; %bb.362:                              ;   in Loop: Header=BB309_280 Depth=1
	s_or_b32 exec_lo, exec_lo, s5
	v_lshlrev_b32_sdwa v20, v35, v17 dst_sel:DWORD dst_unused:UNUSED_PAD src0_sel:DWORD src1_sel:WORD_1
	v_lshlrev_b32_e32 v9, 20, v9
	v_lshl_add_u32 v19, v19, 23, 0x3c000000
	v_and_b32_e32 v20, 0x80000000, v20
	v_or3_b32 v49, v9, v20, v19
.LBB309_363:                            ;   in Loop: Header=BB309_280 Depth=1
	s_or_b32 exec_lo, exec_lo, s4
.LBB309_364:                            ;   in Loop: Header=BB309_280 Depth=1
	s_or_b32 exec_lo, exec_lo, s3
.LBB309_365:                            ;   in Loop: Header=BB309_280 Depth=1
	s_or_b32 exec_lo, exec_lo, s2
	s_mov_b32 s2, exec_lo
	v_cmpx_lt_u32_e32 0xffffff, v17
	s_cbranch_execz .LBB309_373
; %bb.366:                              ;   in Loop: Header=BB309_280 Depth=1
	v_cmp_ne_u32_sdwa s1, v17, v31 src0_sel:BYTE_3 src1_sel:DWORD
	v_bfrev_b32_e32 v50, 1
	s_and_saveexec_b32 s3, s1
	s_cbranch_execz .LBB309_372
; %bb.367:                              ;   in Loop: Header=BB309_280 Depth=1
	v_bfe_u32 v20, v17, 24, 7
	v_mov_b32_e32 v50, 0x7f800001
	s_mov_b32 s4, exec_lo
	v_cmpx_ne_u32_e32 0x7f, v20
	s_cbranch_execz .LBB309_371
; %bb.368:                              ;   in Loop: Header=BB309_280 Depth=1
	v_and_b32_sdwa v9, v17, v34 dst_sel:DWORD dst_unused:UNUSED_PAD src0_sel:BYTE_3 src1_sel:DWORD
	v_lshrrev_b32_e32 v19, 3, v20
	s_mov_b32 s5, exec_lo
	v_cmpx_gt_u32_e32 8, v20
; %bb.369:                              ;   in Loop: Header=BB309_280 Depth=1
	v_ffbh_u32_e32 v19, v9
	v_min_u32_e32 v19, 32, v19
	v_subrev_nc_u32_e32 v20, 28, v19
	v_sub_nc_u32_e32 v19, 29, v19
	v_lshlrev_b64 v[50:51], v20, v[9:10]
	v_and_b32_e32 v9, 7, v50
; %bb.370:                              ;   in Loop: Header=BB309_280 Depth=1
	s_or_b32 exec_lo, exec_lo, s5
	v_lshlrev_b32_sdwa v20, v35, v17 dst_sel:DWORD dst_unused:UNUSED_PAD src0_sel:DWORD src1_sel:BYTE_3
	v_lshlrev_b32_e32 v9, 20, v9
	v_lshl_add_u32 v19, v19, 23, 0x3c000000
	v_and_b32_e32 v20, 0x80000000, v20
	v_or3_b32 v50, v9, v20, v19
.LBB309_371:                            ;   in Loop: Header=BB309_280 Depth=1
	s_or_b32 exec_lo, exec_lo, s4
.LBB309_372:                            ;   in Loop: Header=BB309_280 Depth=1
	s_or_b32 exec_lo, exec_lo, s3
.LBB309_373:                            ;   in Loop: Header=BB309_280 Depth=1
	s_or_b32 exec_lo, exec_lo, s2
	v_mov_b32_e32 v9, v18
	v_cmp_ne_u16_sdwa s1, v18, v10 src0_sel:BYTE_0 src1_sel:DWORD
	v_mov_b32_e32 v19, 0
	v_mov_b32_e32 v51, 0
	s_and_saveexec_b32 s2, s1
	s_cbranch_execz .LBB309_379
; %bb.374:                              ;   in Loop: Header=BB309_280 Depth=1
	v_cmp_ne_u16_sdwa s1, v18, v31 src0_sel:BYTE_0 src1_sel:DWORD
	v_bfrev_b32_e32 v51, 1
	s_and_saveexec_b32 s3, s1
	s_cbranch_execz .LBB309_378
; %bb.375:                              ;   in Loop: Header=BB309_280 Depth=1
	v_and_b32_e32 v20, 0x7f, v18
	v_mov_b32_e32 v51, 0x7f800001
	s_mov_b32 s4, exec_lo
	v_cmpx_ne_u32_e32 0x7f, v20
	s_cbranch_execz .LBB309_377
; %bb.376:                              ;   in Loop: Header=BB309_280 Depth=1
	v_and_b32_e32 v51, 7, v18
	v_lshrrev_b32_e32 v52, 3, v20
	v_cmp_gt_u32_e64 s1, 8, v20
	v_ffbh_u32_e32 v51, v51
	v_min_u32_e32 v51, 32, v51
	v_subrev_nc_u32_e32 v53, 28, v51
	v_sub_nc_u32_e32 v51, 29, v51
	v_cndmask_b32_e64 v20, v52, v51, s1
	v_cndmask_b32_e64 v51, 0, v53, s1
	v_lshl_add_u32 v20, v20, 23, 0x3c000000
	v_lshlrev_b64 v[51:52], v51, v[9:10]
	v_lshlrev_b32_e32 v52, 24, v9
	v_lshlrev_b32_e32 v51, 20, v51
	v_and_b32_e32 v52, 0x80000000, v52
	v_and_b32_e32 v51, 0x700000, v51
	v_or3_b32 v51, v51, v52, v20
.LBB309_377:                            ;   in Loop: Header=BB309_280 Depth=1
	s_or_b32 exec_lo, exec_lo, s4
.LBB309_378:                            ;   in Loop: Header=BB309_280 Depth=1
	s_or_b32 exec_lo, exec_lo, s3
.LBB309_379:                            ;   in Loop: Header=BB309_280 Depth=1
	s_or_b32 exec_lo, exec_lo, s2
	v_cmp_ne_u16_sdwa s1, v9, v10 src0_sel:BYTE_1 src1_sel:DWORD
	s_and_saveexec_b32 s2, s1
	s_cbranch_execz .LBB309_387
; %bb.380:                              ;   in Loop: Header=BB309_280 Depth=1
	v_cmp_ne_u16_sdwa s1, v9, v31 src0_sel:BYTE_1 src1_sel:DWORD
	v_bfrev_b32_e32 v19, 1
	s_and_saveexec_b32 s3, s1
	s_cbranch_execz .LBB309_386
; %bb.381:                              ;   in Loop: Header=BB309_280 Depth=1
	v_and_b32_sdwa v20, v32, v9 dst_sel:DWORD dst_unused:UNUSED_PAD src0_sel:DWORD src1_sel:BYTE_1
	v_mov_b32_e32 v19, 0x7f800001
	s_mov_b32 s4, exec_lo
	v_and_b32_e32 v53, 0x7f, v20
	v_cmpx_ne_u32_e32 0x7f, v53
	s_cbranch_execz .LBB309_385
; %bb.382:                              ;   in Loop: Header=BB309_280 Depth=1
	v_and_b32_e32 v19, 7, v20
	v_mov_b32_e32 v20, v10
	v_lshrrev_b32_e32 v52, 3, v53
	s_mov_b32 s5, exec_lo
	v_cmpx_gt_u32_e32 8, v53
; %bb.383:                              ;   in Loop: Header=BB309_280 Depth=1
	v_ffbh_u32_e32 v52, v19
	v_min_u32_e32 v52, 32, v52
	v_subrev_nc_u32_e32 v53, 28, v52
	v_sub_nc_u32_e32 v52, 29, v52
	v_lshlrev_b64 v[19:20], v53, v[19:20]
	v_and_b32_e32 v19, 7, v19
; %bb.384:                              ;   in Loop: Header=BB309_280 Depth=1
	s_or_b32 exec_lo, exec_lo, s5
	v_lshlrev_b32_e32 v9, 16, v9
	v_lshlrev_b32_e32 v19, 20, v19
	v_lshl_add_u32 v20, v52, 23, 0x3c000000
	v_and_b32_e32 v9, 0x80000000, v9
	v_or3_b32 v19, v19, v9, v20
.LBB309_385:                            ;   in Loop: Header=BB309_280 Depth=1
	s_or_b32 exec_lo, exec_lo, s4
.LBB309_386:                            ;   in Loop: Header=BB309_280 Depth=1
	s_or_b32 exec_lo, exec_lo, s3
.LBB309_387:                            ;   in Loop: Header=BB309_280 Depth=1
	s_or_b32 exec_lo, exec_lo, s2
	v_and_b32_sdwa v9, v18, v33 dst_sel:DWORD dst_unused:UNUSED_PAD src0_sel:WORD_1 src1_sel:DWORD
	v_mov_b32_e32 v52, 0
	v_mov_b32_e32 v53, 0
	s_mov_b32 s2, exec_lo
	v_cmpx_ne_u16_e32 0, v9
	s_cbranch_execz .LBB309_395
; %bb.388:                              ;   in Loop: Header=BB309_280 Depth=1
	v_bfrev_b32_e32 v53, 1
	s_mov_b32 s3, exec_lo
	v_cmpx_ne_u16_e32 0x80, v9
	s_cbranch_execz .LBB309_394
; %bb.389:                              ;   in Loop: Header=BB309_280 Depth=1
	v_bfe_u32 v54, v18, 16, 7
	v_mov_b32_e32 v53, 0x7f800001
	s_mov_b32 s4, exec_lo
	v_cmpx_ne_u32_e32 0x7f, v54
	s_cbranch_execz .LBB309_393
; %bb.390:                              ;   in Loop: Header=BB309_280 Depth=1
	v_and_b32_sdwa v9, v18, v34 dst_sel:DWORD dst_unused:UNUSED_PAD src0_sel:WORD_1 src1_sel:DWORD
	v_lshrrev_b32_e32 v20, 3, v54
	s_mov_b32 s5, exec_lo
	v_cmpx_gt_u32_e32 8, v54
; %bb.391:                              ;   in Loop: Header=BB309_280 Depth=1
	v_ffbh_u32_e32 v20, v9
	v_min_u32_e32 v20, 32, v20
	v_subrev_nc_u32_e32 v53, 28, v20
	v_sub_nc_u32_e32 v20, 29, v20
	v_lshlrev_b64 v[53:54], v53, v[9:10]
	v_and_b32_e32 v9, 7, v53
; %bb.392:                              ;   in Loop: Header=BB309_280 Depth=1
	s_or_b32 exec_lo, exec_lo, s5
	v_lshlrev_b32_sdwa v53, v35, v18 dst_sel:DWORD dst_unused:UNUSED_PAD src0_sel:DWORD src1_sel:WORD_1
	v_lshlrev_b32_e32 v9, 20, v9
	v_lshl_add_u32 v20, v20, 23, 0x3c000000
	v_and_b32_e32 v53, 0x80000000, v53
	v_or3_b32 v53, v9, v53, v20
.LBB309_393:                            ;   in Loop: Header=BB309_280 Depth=1
	s_or_b32 exec_lo, exec_lo, s4
.LBB309_394:                            ;   in Loop: Header=BB309_280 Depth=1
	s_or_b32 exec_lo, exec_lo, s3
.LBB309_395:                            ;   in Loop: Header=BB309_280 Depth=1
	s_or_b32 exec_lo, exec_lo, s2
	s_mov_b32 s2, exec_lo
	v_cmpx_lt_u64_e64 s[40:41], v[17:18]
	s_cbranch_execz .LBB309_403
; %bb.396:                              ;   in Loop: Header=BB309_280 Depth=1
	v_cmp_ne_u32_sdwa s1, v18, v31 src0_sel:BYTE_3 src1_sel:DWORD
	v_bfrev_b32_e32 v52, 1
	s_and_saveexec_b32 s3, s1
	s_cbranch_execz .LBB309_402
; %bb.397:                              ;   in Loop: Header=BB309_280 Depth=1
	v_bfe_u32 v20, v18, 24, 7
	v_mov_b32_e32 v52, 0x7f800001
	s_mov_b32 s4, exec_lo
	v_cmpx_ne_u32_e32 0x7f, v20
	s_cbranch_execz .LBB309_401
; %bb.398:                              ;   in Loop: Header=BB309_280 Depth=1
	v_and_b32_sdwa v9, v18, v34 dst_sel:DWORD dst_unused:UNUSED_PAD src0_sel:BYTE_3 src1_sel:DWORD
	v_lshrrev_b32_e32 v17, 3, v20
	s_mov_b32 s5, exec_lo
	v_cmpx_gt_u32_e32 8, v20
; %bb.399:                              ;   in Loop: Header=BB309_280 Depth=1
	v_ffbh_u32_e32 v17, v9
	v_min_u32_e32 v17, 32, v17
	v_subrev_nc_u32_e32 v20, 28, v17
	v_sub_nc_u32_e32 v17, 29, v17
	v_lshlrev_b64 v[54:55], v20, v[9:10]
	v_and_b32_e32 v9, 7, v54
; %bb.400:                              ;   in Loop: Header=BB309_280 Depth=1
	s_or_b32 exec_lo, exec_lo, s5
	v_lshlrev_b32_sdwa v18, v35, v18 dst_sel:DWORD dst_unused:UNUSED_PAD src0_sel:DWORD src1_sel:BYTE_3
	v_lshlrev_b32_e32 v9, 20, v9
	v_lshl_add_u32 v17, v17, 23, 0x3c000000
	v_and_b32_e32 v18, 0x80000000, v18
	v_or3_b32 v52, v9, v18, v17
.LBB309_401:                            ;   in Loop: Header=BB309_280 Depth=1
	s_or_b32 exec_lo, exec_lo, s4
.LBB309_402:                            ;   in Loop: Header=BB309_280 Depth=1
	s_or_b32 exec_lo, exec_lo, s3
.LBB309_403:                            ;   in Loop: Header=BB309_280 Depth=1
	s_or_b32 exec_lo, exec_lo, s2
	v_mul_f32_e32 v9, s53, v19
	v_mul_f32_e32 v17, s53, v51
	;; [unrolled: 1-line block ×5, first 2 shown]
	v_bfe_u32 v19, v9, 16, 1
	v_or_b32_e32 v20, 0x400000, v9
	v_bfe_u32 v50, v17, 16, 1
	v_cmp_u_f32_e64 s1, v9, v9
	v_or_b32_e32 v51, 0x400000, v17
	v_add3_u32 v19, v19, v9, 0x7fff
	v_bfe_u32 v54, v18, 16, 1
	v_add3_u32 v50, v50, v17, 0x7fff
	v_or_b32_e32 v55, 0x400000, v18
	v_bfe_u32 v56, v49, 16, 1
	v_cndmask_b32_e64 v9, v19, v20, s1
	v_cmp_u_f32_e64 s1, v17, v17
	v_add3_u32 v54, v54, v18, 0x7fff
	v_lshrrev_b32_e32 v19, 16, v9
	v_cndmask_b32_e64 v17, v50, v51, s1
	v_cmp_u_f32_e64 s1, v18, v18
	v_mul_f32_e32 v9, s53, v47
	v_add3_u32 v50, v56, v49, 0x7fff
	v_or_b32_e32 v51, 0x400000, v49
	v_lshrrev_b32_e32 v20, 16, v17
	v_cndmask_b32_e64 v18, v54, v55, s1
	v_bfe_u32 v17, v9, 16, 1
	v_cmp_u_f32_e64 s1, v49, v49
	v_mul_f32_e32 v49, s53, v53
	v_lshrrev_b32_e32 v47, 16, v18
	v_add3_u32 v17, v17, v9, 0x7fff
	v_cndmask_b32_e64 v18, v50, v51, s1
	v_or_b32_e32 v50, 0x400000, v9
	v_mul_f32_e32 v51, s53, v52
	v_bfe_u32 v52, v48, 16, 1
	v_cmp_u_f32_e64 s1, v9, v9
	v_bfe_u32 v53, v49, 16, 1
	v_or_b32_e32 v54, 0x400000, v49
	v_or_b32_e32 v55, 0x400000, v51
	v_cndmask_b32_e64 v9, v17, v50, s1
	v_add3_u32 v50, v52, v48, 0x7fff
	v_or_b32_e32 v52, 0x400000, v48
	v_cmp_u_f32_e64 s1, v48, v48
	v_bfe_u32 v17, v51, 16, 1
	v_add3_u32 v53, v53, v49, 0x7fff
	v_cndmask_b32_e64 v48, v50, v52, s1
	v_cmp_u_f32_e64 s1, v49, v49
	v_add3_u32 v17, v17, v51, 0x7fff
	v_lshrrev_b32_e32 v49, 16, v18
	v_lshrrev_b32_e32 v50, 16, v48
	v_cndmask_b32_e64 v52, v53, v54, s1
	v_cmp_u_f32_e64 s1, v51, v51
	v_lshrrev_b32_e32 v51, 16, v9
	v_lshrrev_b32_e32 v48, 16, v52
	v_cndmask_b32_e64 v17, v17, v55, s1
	v_lshrrev_b32_e32 v53, 16, v17
	s_and_saveexec_b32 s2, s0
	s_cbranch_execz .LBB309_405
; %bb.404:                              ;   in Loop: Header=BB309_280 Depth=1
	v_add_nc_u32_e32 v9, 1, v24
	v_cmp_gt_i32_e64 s1, s35, v24
	v_add_nc_u32_e32 v17, 2, v24
	v_add_nc_u32_e32 v18, 3, v24
	v_cndmask_b32_e64 v50, 0, v50, s1
	v_cmp_gt_i32_e64 s1, s35, v9
	v_add_nc_u32_e32 v9, 4, v24
	v_cndmask_b32_e64 v51, 0, v51, s1
	v_cmp_gt_i32_e64 s1, s35, v17
	;; [unrolled: 3-line block ×5, first 2 shown]
	v_cndmask_b32_e64 v19, 0, v19, s1
	v_cmp_gt_i32_e64 s1, s35, v18
	v_cndmask_b32_e64 v48, 0, v48, s1
	v_cmp_gt_i32_e64 s1, s35, v9
	v_cndmask_b32_e64 v53, 0, v53, s1
.LBB309_405:                            ;   in Loop: Header=BB309_280 Depth=1
	s_or_b32 exec_lo, exec_lo, s2
	global_load_dwordx2 v[15:16], v[15:16], off offset:512
	v_mov_b32_e32 v54, 0
	v_mov_b32_e32 v52, 0
	s_waitcnt vmcnt(0)
	v_cmp_ne_u16_sdwa s1, v15, v10 src0_sel:BYTE_0 src1_sel:DWORD
	s_and_saveexec_b32 s2, s1
	s_cbranch_execz .LBB309_411
; %bb.406:                              ;   in Loop: Header=BB309_280 Depth=1
	v_cmp_ne_u16_sdwa s1, v15, v31 src0_sel:BYTE_0 src1_sel:DWORD
	v_bfrev_b32_e32 v52, 1
	s_and_saveexec_b32 s3, s1
	s_cbranch_execz .LBB309_410
; %bb.407:                              ;   in Loop: Header=BB309_280 Depth=1
	v_and_b32_e32 v9, 0x7f, v15
	v_mov_b32_e32 v52, 0x7f800001
	s_mov_b32 s4, exec_lo
	v_cmpx_ne_u32_e32 0x7f, v9
	s_cbranch_execz .LBB309_409
; %bb.408:                              ;   in Loop: Header=BB309_280 Depth=1
	v_and_b32_e32 v17, 7, v15
	v_lshrrev_b32_e32 v18, 3, v9
	v_cmp_gt_u32_e64 s1, 8, v9
	v_ffbh_u32_e32 v17, v17
	v_min_u32_e32 v17, 32, v17
	v_subrev_nc_u32_e32 v52, 28, v17
	v_sub_nc_u32_e32 v17, 29, v17
	v_cndmask_b32_e64 v9, v18, v17, s1
	v_cndmask_b32_e64 v17, 0, v52, s1
	v_lshl_add_u32 v9, v9, 23, 0x3c000000
	v_lshlrev_b64 v[17:18], v17, v[15:16]
	v_lshlrev_b32_e32 v18, 24, v15
	v_lshlrev_b32_e32 v17, 20, v17
	v_and_b32_e32 v18, 0x80000000, v18
	v_and_b32_e32 v17, 0x700000, v17
	v_or3_b32 v52, v17, v18, v9
.LBB309_409:                            ;   in Loop: Header=BB309_280 Depth=1
	s_or_b32 exec_lo, exec_lo, s4
.LBB309_410:                            ;   in Loop: Header=BB309_280 Depth=1
	s_or_b32 exec_lo, exec_lo, s3
.LBB309_411:                            ;   in Loop: Header=BB309_280 Depth=1
	s_or_b32 exec_lo, exec_lo, s2
	v_cmp_ne_u16_sdwa s1, v15, v10 src0_sel:BYTE_1 src1_sel:DWORD
	s_and_saveexec_b32 s2, s1
	s_cbranch_execz .LBB309_419
; %bb.412:                              ;   in Loop: Header=BB309_280 Depth=1
	v_cmp_ne_u16_sdwa s1, v15, v31 src0_sel:BYTE_1 src1_sel:DWORD
	v_bfrev_b32_e32 v54, 1
	s_and_saveexec_b32 s3, s1
	s_cbranch_execz .LBB309_418
; %bb.413:                              ;   in Loop: Header=BB309_280 Depth=1
	v_and_b32_sdwa v9, v32, v15 dst_sel:DWORD dst_unused:UNUSED_PAD src0_sel:DWORD src1_sel:BYTE_1
	v_mov_b32_e32 v54, 0x7f800001
	s_mov_b32 s4, exec_lo
	v_and_b32_e32 v18, 0x7f, v9
	v_cmpx_ne_u32_e32 0x7f, v18
	s_cbranch_execz .LBB309_417
; %bb.414:                              ;   in Loop: Header=BB309_280 Depth=1
	v_and_b32_e32 v9, 7, v9
	v_lshrrev_b32_e32 v17, 3, v18
	s_mov_b32 s5, exec_lo
	v_cmpx_gt_u32_e32 8, v18
; %bb.415:                              ;   in Loop: Header=BB309_280 Depth=1
	v_ffbh_u32_e32 v17, v9
	v_min_u32_e32 v17, 32, v17
	v_subrev_nc_u32_e32 v18, 28, v17
	v_sub_nc_u32_e32 v17, 29, v17
	v_lshlrev_b64 v[54:55], v18, v[9:10]
	v_and_b32_e32 v9, 7, v54
; %bb.416:                              ;   in Loop: Header=BB309_280 Depth=1
	s_or_b32 exec_lo, exec_lo, s5
	v_lshlrev_b32_e32 v18, 16, v15
	v_lshlrev_b32_e32 v9, 20, v9
	v_lshl_add_u32 v17, v17, 23, 0x3c000000
	v_and_b32_e32 v18, 0x80000000, v18
	v_or3_b32 v54, v9, v18, v17
.LBB309_417:                            ;   in Loop: Header=BB309_280 Depth=1
	s_or_b32 exec_lo, exec_lo, s4
.LBB309_418:                            ;   in Loop: Header=BB309_280 Depth=1
	s_or_b32 exec_lo, exec_lo, s3
.LBB309_419:                            ;   in Loop: Header=BB309_280 Depth=1
	s_or_b32 exec_lo, exec_lo, s2
	v_and_b32_sdwa v9, v15, v33 dst_sel:DWORD dst_unused:UNUSED_PAD src0_sel:WORD_1 src1_sel:DWORD
	v_mov_b32_e32 v56, 0
	v_mov_b32_e32 v55, 0
	s_mov_b32 s2, exec_lo
	v_cmpx_ne_u16_e32 0, v9
	s_cbranch_execz .LBB309_427
; %bb.420:                              ;   in Loop: Header=BB309_280 Depth=1
	v_bfrev_b32_e32 v55, 1
	s_mov_b32 s3, exec_lo
	v_cmpx_ne_u16_e32 0x80, v9
	s_cbranch_execz .LBB309_426
; %bb.421:                              ;   in Loop: Header=BB309_280 Depth=1
	v_bfe_u32 v18, v15, 16, 7
	v_mov_b32_e32 v55, 0x7f800001
	s_mov_b32 s4, exec_lo
	v_cmpx_ne_u32_e32 0x7f, v18
	s_cbranch_execz .LBB309_425
; %bb.422:                              ;   in Loop: Header=BB309_280 Depth=1
	v_and_b32_sdwa v9, v15, v34 dst_sel:DWORD dst_unused:UNUSED_PAD src0_sel:WORD_1 src1_sel:DWORD
	v_lshrrev_b32_e32 v17, 3, v18
	s_mov_b32 s5, exec_lo
	v_cmpx_gt_u32_e32 8, v18
; %bb.423:                              ;   in Loop: Header=BB309_280 Depth=1
	v_ffbh_u32_e32 v17, v9
	v_min_u32_e32 v17, 32, v17
	v_subrev_nc_u32_e32 v18, 28, v17
	v_sub_nc_u32_e32 v17, 29, v17
	v_lshlrev_b64 v[57:58], v18, v[9:10]
	v_and_b32_e32 v9, 7, v57
; %bb.424:                              ;   in Loop: Header=BB309_280 Depth=1
	s_or_b32 exec_lo, exec_lo, s5
	v_lshlrev_b32_sdwa v18, v35, v15 dst_sel:DWORD dst_unused:UNUSED_PAD src0_sel:DWORD src1_sel:WORD_1
	v_lshlrev_b32_e32 v9, 20, v9
	v_lshl_add_u32 v17, v17, 23, 0x3c000000
	v_and_b32_e32 v18, 0x80000000, v18
	v_or3_b32 v55, v9, v18, v17
.LBB309_425:                            ;   in Loop: Header=BB309_280 Depth=1
	s_or_b32 exec_lo, exec_lo, s4
.LBB309_426:                            ;   in Loop: Header=BB309_280 Depth=1
	s_or_b32 exec_lo, exec_lo, s3
.LBB309_427:                            ;   in Loop: Header=BB309_280 Depth=1
	s_or_b32 exec_lo, exec_lo, s2
	s_mov_b32 s2, exec_lo
	v_cmpx_lt_u32_e32 0xffffff, v15
	s_cbranch_execz .LBB309_435
; %bb.428:                              ;   in Loop: Header=BB309_280 Depth=1
	v_cmp_ne_u32_sdwa s1, v15, v31 src0_sel:BYTE_3 src1_sel:DWORD
	v_bfrev_b32_e32 v56, 1
	s_and_saveexec_b32 s3, s1
	s_cbranch_execz .LBB309_434
; %bb.429:                              ;   in Loop: Header=BB309_280 Depth=1
	v_bfe_u32 v18, v15, 24, 7
	v_mov_b32_e32 v56, 0x7f800001
	s_mov_b32 s4, exec_lo
	v_cmpx_ne_u32_e32 0x7f, v18
	s_cbranch_execz .LBB309_433
; %bb.430:                              ;   in Loop: Header=BB309_280 Depth=1
	v_and_b32_sdwa v9, v15, v34 dst_sel:DWORD dst_unused:UNUSED_PAD src0_sel:BYTE_3 src1_sel:DWORD
	v_lshrrev_b32_e32 v17, 3, v18
	s_mov_b32 s5, exec_lo
	v_cmpx_gt_u32_e32 8, v18
; %bb.431:                              ;   in Loop: Header=BB309_280 Depth=1
	v_ffbh_u32_e32 v17, v9
	v_min_u32_e32 v17, 32, v17
	v_subrev_nc_u32_e32 v18, 28, v17
	v_sub_nc_u32_e32 v17, 29, v17
	v_lshlrev_b64 v[56:57], v18, v[9:10]
	v_and_b32_e32 v9, 7, v56
; %bb.432:                              ;   in Loop: Header=BB309_280 Depth=1
	s_or_b32 exec_lo, exec_lo, s5
	v_lshlrev_b32_sdwa v18, v35, v15 dst_sel:DWORD dst_unused:UNUSED_PAD src0_sel:DWORD src1_sel:BYTE_3
	v_lshlrev_b32_e32 v9, 20, v9
	v_lshl_add_u32 v17, v17, 23, 0x3c000000
	v_and_b32_e32 v18, 0x80000000, v18
	v_or3_b32 v56, v9, v18, v17
.LBB309_433:                            ;   in Loop: Header=BB309_280 Depth=1
	s_or_b32 exec_lo, exec_lo, s4
.LBB309_434:                            ;   in Loop: Header=BB309_280 Depth=1
	s_or_b32 exec_lo, exec_lo, s3
.LBB309_435:                            ;   in Loop: Header=BB309_280 Depth=1
	s_or_b32 exec_lo, exec_lo, s2
	v_mov_b32_e32 v9, v16
	v_cmp_ne_u16_sdwa s1, v16, v10 src0_sel:BYTE_0 src1_sel:DWORD
	v_mov_b32_e32 v17, 0
	v_mov_b32_e32 v57, 0
	s_and_saveexec_b32 s2, s1
	s_cbranch_execz .LBB309_441
; %bb.436:                              ;   in Loop: Header=BB309_280 Depth=1
	v_cmp_ne_u16_sdwa s1, v16, v31 src0_sel:BYTE_0 src1_sel:DWORD
	v_bfrev_b32_e32 v57, 1
	s_and_saveexec_b32 s3, s1
	s_cbranch_execz .LBB309_440
; %bb.437:                              ;   in Loop: Header=BB309_280 Depth=1
	v_and_b32_e32 v18, 0x7f, v16
	v_mov_b32_e32 v57, 0x7f800001
	s_mov_b32 s4, exec_lo
	v_cmpx_ne_u32_e32 0x7f, v18
	s_cbranch_execz .LBB309_439
; %bb.438:                              ;   in Loop: Header=BB309_280 Depth=1
	v_and_b32_e32 v57, 7, v16
	v_lshrrev_b32_e32 v58, 3, v18
	v_cmp_gt_u32_e64 s1, 8, v18
	v_ffbh_u32_e32 v57, v57
	v_min_u32_e32 v57, 32, v57
	v_subrev_nc_u32_e32 v59, 28, v57
	v_sub_nc_u32_e32 v57, 29, v57
	v_cndmask_b32_e64 v18, v58, v57, s1
	v_cndmask_b32_e64 v57, 0, v59, s1
	v_lshl_add_u32 v18, v18, 23, 0x3c000000
	v_lshlrev_b64 v[57:58], v57, v[9:10]
	v_lshlrev_b32_e32 v58, 24, v9
	v_lshlrev_b32_e32 v57, 20, v57
	v_and_b32_e32 v58, 0x80000000, v58
	v_and_b32_e32 v57, 0x700000, v57
	v_or3_b32 v57, v57, v58, v18
.LBB309_439:                            ;   in Loop: Header=BB309_280 Depth=1
	s_or_b32 exec_lo, exec_lo, s4
.LBB309_440:                            ;   in Loop: Header=BB309_280 Depth=1
	s_or_b32 exec_lo, exec_lo, s3
.LBB309_441:                            ;   in Loop: Header=BB309_280 Depth=1
	s_or_b32 exec_lo, exec_lo, s2
	v_cmp_ne_u16_sdwa s1, v9, v10 src0_sel:BYTE_1 src1_sel:DWORD
	s_and_saveexec_b32 s2, s1
	s_cbranch_execz .LBB309_449
; %bb.442:                              ;   in Loop: Header=BB309_280 Depth=1
	v_cmp_ne_u16_sdwa s1, v9, v31 src0_sel:BYTE_1 src1_sel:DWORD
	v_bfrev_b32_e32 v17, 1
	s_and_saveexec_b32 s3, s1
	s_cbranch_execz .LBB309_448
; %bb.443:                              ;   in Loop: Header=BB309_280 Depth=1
	v_and_b32_sdwa v18, v32, v9 dst_sel:DWORD dst_unused:UNUSED_PAD src0_sel:DWORD src1_sel:BYTE_1
	v_mov_b32_e32 v17, 0x7f800001
	s_mov_b32 s4, exec_lo
	v_and_b32_e32 v59, 0x7f, v18
	v_cmpx_ne_u32_e32 0x7f, v59
	s_cbranch_execz .LBB309_447
; %bb.444:                              ;   in Loop: Header=BB309_280 Depth=1
	v_and_b32_e32 v17, 7, v18
	v_mov_b32_e32 v18, v10
	v_lshrrev_b32_e32 v58, 3, v59
	s_mov_b32 s5, exec_lo
	v_cmpx_gt_u32_e32 8, v59
; %bb.445:                              ;   in Loop: Header=BB309_280 Depth=1
	v_ffbh_u32_e32 v58, v17
	v_min_u32_e32 v58, 32, v58
	v_subrev_nc_u32_e32 v59, 28, v58
	v_sub_nc_u32_e32 v58, 29, v58
	v_lshlrev_b64 v[17:18], v59, v[17:18]
	v_and_b32_e32 v17, 7, v17
; %bb.446:                              ;   in Loop: Header=BB309_280 Depth=1
	s_or_b32 exec_lo, exec_lo, s5
	v_lshlrev_b32_e32 v9, 16, v9
	v_lshlrev_b32_e32 v17, 20, v17
	v_lshl_add_u32 v18, v58, 23, 0x3c000000
	v_and_b32_e32 v9, 0x80000000, v9
	v_or3_b32 v17, v17, v9, v18
.LBB309_447:                            ;   in Loop: Header=BB309_280 Depth=1
	s_or_b32 exec_lo, exec_lo, s4
.LBB309_448:                            ;   in Loop: Header=BB309_280 Depth=1
	s_or_b32 exec_lo, exec_lo, s3
.LBB309_449:                            ;   in Loop: Header=BB309_280 Depth=1
	s_or_b32 exec_lo, exec_lo, s2
	v_and_b32_sdwa v9, v16, v33 dst_sel:DWORD dst_unused:UNUSED_PAD src0_sel:WORD_1 src1_sel:DWORD
	v_mov_b32_e32 v18, 0
	v_mov_b32_e32 v58, 0
	s_mov_b32 s2, exec_lo
	v_cmpx_ne_u16_e32 0, v9
	s_cbranch_execz .LBB309_457
; %bb.450:                              ;   in Loop: Header=BB309_280 Depth=1
	v_bfrev_b32_e32 v58, 1
	s_mov_b32 s3, exec_lo
	v_cmpx_ne_u16_e32 0x80, v9
	s_cbranch_execz .LBB309_456
; %bb.451:                              ;   in Loop: Header=BB309_280 Depth=1
	v_bfe_u32 v59, v16, 16, 7
	v_mov_b32_e32 v58, 0x7f800001
	s_mov_b32 s4, exec_lo
	v_cmpx_ne_u32_e32 0x7f, v59
	s_cbranch_execz .LBB309_455
; %bb.452:                              ;   in Loop: Header=BB309_280 Depth=1
	v_and_b32_sdwa v9, v16, v34 dst_sel:DWORD dst_unused:UNUSED_PAD src0_sel:WORD_1 src1_sel:DWORD
	v_lshrrev_b32_e32 v58, 3, v59
	s_mov_b32 s5, exec_lo
	v_cmpx_gt_u32_e32 8, v59
; %bb.453:                              ;   in Loop: Header=BB309_280 Depth=1
	v_ffbh_u32_e32 v58, v9
	v_min_u32_e32 v58, 32, v58
	v_subrev_nc_u32_e32 v59, 28, v58
	v_sub_nc_u32_e32 v58, 29, v58
	v_lshlrev_b64 v[59:60], v59, v[9:10]
	v_and_b32_e32 v9, 7, v59
; %bb.454:                              ;   in Loop: Header=BB309_280 Depth=1
	s_or_b32 exec_lo, exec_lo, s5
	v_lshlrev_b32_sdwa v59, v35, v16 dst_sel:DWORD dst_unused:UNUSED_PAD src0_sel:DWORD src1_sel:WORD_1
	v_lshlrev_b32_e32 v9, 20, v9
	v_lshl_add_u32 v58, v58, 23, 0x3c000000
	v_and_b32_e32 v59, 0x80000000, v59
	v_or3_b32 v58, v9, v59, v58
.LBB309_455:                            ;   in Loop: Header=BB309_280 Depth=1
	s_or_b32 exec_lo, exec_lo, s4
.LBB309_456:                            ;   in Loop: Header=BB309_280 Depth=1
	s_or_b32 exec_lo, exec_lo, s3
.LBB309_457:                            ;   in Loop: Header=BB309_280 Depth=1
	s_or_b32 exec_lo, exec_lo, s2
	s_mov_b32 s2, exec_lo
	v_cmpx_lt_u64_e64 s[40:41], v[15:16]
	s_cbranch_execz .LBB309_465
; %bb.458:                              ;   in Loop: Header=BB309_280 Depth=1
	v_cmp_ne_u32_sdwa s1, v16, v31 src0_sel:BYTE_3 src1_sel:DWORD
	v_bfrev_b32_e32 v18, 1
	s_and_saveexec_b32 s3, s1
	s_cbranch_execz .LBB309_464
; %bb.459:                              ;   in Loop: Header=BB309_280 Depth=1
	v_bfe_u32 v59, v16, 24, 7
	v_mov_b32_e32 v18, 0x7f800001
	s_mov_b32 s4, exec_lo
	v_cmpx_ne_u32_e32 0x7f, v59
	s_cbranch_execz .LBB309_463
; %bb.460:                              ;   in Loop: Header=BB309_280 Depth=1
	v_and_b32_sdwa v9, v16, v34 dst_sel:DWORD dst_unused:UNUSED_PAD src0_sel:BYTE_3 src1_sel:DWORD
	v_lshrrev_b32_e32 v15, 3, v59
	s_mov_b32 s5, exec_lo
	v_cmpx_gt_u32_e32 8, v59
; %bb.461:                              ;   in Loop: Header=BB309_280 Depth=1
	v_ffbh_u32_e32 v15, v9
	v_min_u32_e32 v15, 32, v15
	v_subrev_nc_u32_e32 v18, 28, v15
	v_sub_nc_u32_e32 v15, 29, v15
	v_lshlrev_b64 v[59:60], v18, v[9:10]
	v_and_b32_e32 v9, 7, v59
; %bb.462:                              ;   in Loop: Header=BB309_280 Depth=1
	s_or_b32 exec_lo, exec_lo, s5
	v_lshlrev_b32_sdwa v16, v35, v16 dst_sel:DWORD dst_unused:UNUSED_PAD src0_sel:DWORD src1_sel:BYTE_3
	v_lshlrev_b32_e32 v9, 20, v9
	v_lshl_add_u32 v15, v15, 23, 0x3c000000
	v_and_b32_e32 v16, 0x80000000, v16
	v_or3_b32 v18, v9, v16, v15
.LBB309_463:                            ;   in Loop: Header=BB309_280 Depth=1
	s_or_b32 exec_lo, exec_lo, s4
.LBB309_464:                            ;   in Loop: Header=BB309_280 Depth=1
	s_or_b32 exec_lo, exec_lo, s3
.LBB309_465:                            ;   in Loop: Header=BB309_280 Depth=1
	s_or_b32 exec_lo, exec_lo, s2
	v_mul_f32_e32 v9, s53, v17
	v_mul_f32_e32 v15, s53, v57
	;; [unrolled: 1-line block ×5, first 2 shown]
	v_bfe_u32 v55, v9, 16, 1
	v_or_b32_e32 v56, 0x400000, v9
	v_bfe_u32 v57, v15, 16, 1
	v_cmp_u_f32_e64 s1, v9, v9
	v_or_b32_e32 v59, 0x400000, v15
	v_add3_u32 v55, v55, v9, 0x7fff
	v_bfe_u32 v60, v16, 16, 1
	v_add3_u32 v57, v57, v15, 0x7fff
	v_or_b32_e32 v61, 0x400000, v16
	v_bfe_u32 v62, v17, 16, 1
	v_cndmask_b32_e64 v9, v55, v56, s1
	v_cmp_u_f32_e64 s1, v15, v15
	v_add3_u32 v60, v60, v16, 0x7fff
	v_or_b32_e32 v56, 0x400000, v17
	v_add3_u32 v55, v62, v17, 0x7fff
	v_mul_f32_e32 v52, s53, v52
	v_cndmask_b32_e64 v15, v57, v59, s1
	v_cmp_u_f32_e64 s1, v16, v16
	v_bfe_u32 v57, v54, 16, 1
	v_mul_f32_e32 v18, s53, v18
	v_lshrrev_b32_e32 v9, 16, v9
	v_lshrrev_b32_e32 v15, 16, v15
	v_cndmask_b32_e64 v16, v60, v61, s1
	v_cmp_u_f32_e64 s1, v17, v17
	v_or_b32_e32 v61, 0x400000, v18
	v_lshrrev_b32_e32 v16, 16, v16
	v_cndmask_b32_e64 v17, v55, v56, s1
	v_mul_f32_e32 v55, s53, v58
	v_add3_u32 v56, v57, v54, 0x7fff
	v_or_b32_e32 v57, 0x400000, v54
	v_bfe_u32 v58, v52, 16, 1
	v_cmp_u_f32_e64 s1, v54, v54
	v_bfe_u32 v59, v55, 16, 1
	v_or_b32_e32 v60, 0x400000, v55
	v_lshrrev_b32_e32 v65, 16, v17
	v_cndmask_b32_e64 v54, v56, v57, s1
	v_add3_u32 v57, v58, v52, 0x7fff
	v_or_b32_e32 v58, 0x400000, v52
	v_cmp_u_f32_e64 s1, v52, v52
	v_bfe_u32 v56, v18, 16, 1
	v_add3_u32 v59, v59, v55, 0x7fff
	v_cndmask_b32_e64 v52, v57, v58, s1
	v_cmp_u_f32_e64 s1, v55, v55
	v_add3_u32 v56, v56, v18, 0x7fff
	v_lshrrev_b32_e32 v17, 16, v52
	v_cndmask_b32_e64 v55, v59, v60, s1
	v_cmp_u_f32_e64 s1, v18, v18
	v_lshrrev_b32_e32 v18, 16, v54
	v_lshrrev_b32_e32 v63, 16, v55
	v_cndmask_b32_e64 v56, v56, v61, s1
	v_lshrrev_b32_e32 v64, 16, v56
	s_and_saveexec_b32 s2, s0
	s_cbranch_execz .LBB309_467
; %bb.466:                              ;   in Loop: Header=BB309_280 Depth=1
	v_add_nc_u32_e32 v52, 1, v24
	v_cmp_gt_i32_e64 s1, s35, v24
	v_add_nc_u32_e32 v54, 2, v24
	v_add_nc_u32_e32 v55, 3, v24
	v_cndmask_b32_e64 v17, 0, v17, s1
	v_cmp_gt_i32_e64 s1, s35, v52
	v_add_nc_u32_e32 v52, 4, v24
	v_cndmask_b32_e64 v18, 0, v18, s1
	v_cmp_gt_i32_e64 s1, s35, v54
	;; [unrolled: 3-line block ×5, first 2 shown]
	v_cndmask_b32_e64 v9, 0, v9, s1
	v_cmp_gt_i32_e64 s1, s35, v55
	v_cndmask_b32_e64 v63, 0, v63, s1
	v_cmp_gt_i32_e64 s1, s35, v52
	v_cndmask_b32_e64 v64, 0, v64, s1
.LBB309_467:                            ;   in Loop: Header=BB309_280 Depth=1
	s_or_b32 exec_lo, exec_lo, s2
	v_bfe_u32 v52, v5, 16, 1
	v_or_b32_e32 v54, 0x400000, v5
	v_bfe_u32 v55, v6, 16, 1
	v_cmp_u_f32_e64 s1, v5, v5
	v_bfe_u32 v56, v7, 16, 1
	v_add3_u32 v52, v52, v5, 0x7fff
	v_or_b32_e32 v57, 0x400000, v6
	v_add3_u32 v59, v55, v6, 0x7fff
	v_or_b32_e32 v58, 0x400000, v7
	v_add3_u32 v60, v56, v7, 0x7fff
	v_cndmask_b32_e64 v55, v52, v54, s1
	v_cmp_u_f32_e64 s1, v6, v6
	v_bfe_u32 v5, v8, 16, 1
	v_bfe_u32 v6, v1, 16, 1
	v_or_b32_e32 v52, 0x400000, v1
	v_bfe_u32 v54, v2, 16, 1
	v_cndmask_b32_e64 v56, v59, v57, s1
	v_cmp_u_f32_e64 s1, v7, v7
	v_add3_u32 v5, v5, v8, 0x7fff
	v_or_b32_e32 v7, 0x400000, v8
	v_add3_u32 v6, v6, v1, 0x7fff
	v_lshlrev_b32_e32 v17, 16, v17
	v_cndmask_b32_e64 v57, v60, v58, s1
	v_cmp_u_f32_e64 s1, v8, v8
	v_bfe_u32 v8, v4, 16, 1
	v_lshlrev_b32_e32 v16, 16, v16
	v_and_b32_e32 v66, 0xffff0000, v57
	v_cndmask_b32_e64 v58, v5, v7, s1
	v_cmp_u_f32_e64 s1, v1, v1
	v_bfe_u32 v5, v3, 16, 1
	v_add3_u32 v1, v54, v2, 0x7fff
	v_or_b32_e32 v7, 0x400000, v3
	v_or_b32_e32 v54, 0x400000, v4
	v_cndmask_b32_e64 v59, v6, v52, s1
	v_or_b32_e32 v6, 0x400000, v2
	v_cmp_u_f32_e64 s1, v2, v2
	v_add3_u32 v5, v5, v3, 0x7fff
	v_and_b32_e32 v2, 0xffff0000, v56
	v_cndmask_b32_e64 v60, v1, v6, s1
	v_cmp_u_f32_e64 s1, v3, v3
	v_add3_u32 v1, v8, v4, 0x7fff
	v_lshlrev_b32_e32 v3, 16, v51
	v_lshlrev_b32_e32 v6, 16, v50
	;; [unrolled: 1-line block ×3, first 2 shown]
	v_cndmask_b32_e64 v61, v5, v7, s1
	v_cmp_u_f32_e64 s1, v4, v4
	v_and_b32_e32 v5, 0xffff0000, v55
	v_and_b32_e32 v7, 0xffff0000, v58
	v_lshlrev_b32_e32 v47, 16, v49
	v_mul_f32_e32 v52, v2, v3
	v_cndmask_b32_e64 v62, v1, v54, s1
	v_mul_f32_e32 v51, v5, v6
	v_mul_f32_e32 v50, v7, v8
	v_and_b32_e32 v1, 0xffff0000, v60
	v_lshlrev_b32_e32 v3, 16, v19
	v_and_b32_e32 v4, 0xffff0000, v59
	v_lshlrev_b32_e32 v6, 16, v20
	;; [unrolled: 2-line block ×3, first 2 shown]
	v_mul_f32_e32 v49, v66, v47
	v_and_b32_e32 v68, 0xffff0000, v61
	v_lshlrev_b32_e32 v19, 16, v48
	v_lshlrev_b32_e32 v20, 16, v46
	v_mul_f32_e32 v54, v1, v3
	v_mul_f32_e32 v53, v4, v6
	;; [unrolled: 1-line block ×3, first 2 shown]
	v_lshlrev_b32_e32 v3, 16, v45
	v_lshlrev_b32_e32 v6, 16, v41
	;; [unrolled: 1-line block ×3, first 2 shown]
	v_mul_f32_e32 v48, v68, v19
	v_mul_f32_e32 v46, v2, v20
	v_lshlrev_b32_e32 v19, 16, v39
	v_lshlrev_b32_e32 v20, 16, v40
	v_mul_f32_e32 v45, v5, v3
	v_mul_f32_e32 v44, v7, v6
	;; [unrolled: 1-line block ×3, first 2 shown]
	v_lshlrev_b32_e32 v3, 16, v43
	v_lshlrev_b32_e32 v6, 16, v42
	;; [unrolled: 1-line block ×3, first 2 shown]
	v_mul_f32_e32 v40, v1, v19
	v_mul_f32_e32 v19, v4, v20
	v_mul_f32_e32 v39, v67, v3
	v_mul_f32_e32 v20, v68, v6
	v_mul_f32_e32 v18, v2, v8
	v_mul_f32_e32 v17, v5, v17
	v_lshlrev_b32_e32 v2, 16, v65
	v_lshlrev_b32_e32 v3, 16, v9
	;; [unrolled: 1-line block ×5, first 2 shown]
	v_mul_f32_e32 v7, v7, v16
	v_mul_f32_e32 v16, v66, v2
	;; [unrolled: 1-line block ×6, first 2 shown]
	v_cmp_u_f32_e64 s24, v52, v52
	v_cmp_u_f32_e64 s20, v51, v51
	v_cmp_u_f32_e64 s21, v50, v50
	v_cmp_u_f32_e64 s22, v49, v49
	v_cmp_u_f32_e64 s25, v54, v54
	v_cmp_u_f32_e64 s23, v53, v53
	v_cmp_u_f32_e64 s17, v47, v47
	v_cmp_u_f32_e64 s19, v48, v48
	v_cmp_u_f32_e64 s15, v46, v46
	v_cmp_u_f32_e64 s18, v45, v45
	v_cmp_u_f32_e64 s16, v44, v44
	v_cmp_u_f32_e64 s13, v41, v41
	v_cmp_u_f32_e64 s14, v40, v40
	v_cmp_u_f32_e64 s10, v19, v19
	v_cmp_u_f32_e64 s11, v39, v39
	v_cmp_u_f32_e64 s12, v20, v20
	v_cmp_u_f32_e64 s7, v18, v18
	v_cmp_u_f32_e64 s9, v17, v17
	v_cmp_u_f32_e64 s3, v7, v7
	v_cmp_u_f32_e64 s4, v16, v16
	v_cmp_u_f32_e64 s5, v15, v15
	v_cmp_u_f32_e64 s6, v8, v8
	v_cmp_u_f32_e64 s1, v6, v6
	v_cmp_u_f32_e64 s2, v5, v5
	s_and_saveexec_b32 s54, vcc_lo
	s_cbranch_execz .LBB309_278
; %bb.468:                              ;   in Loop: Header=BB309_280 Depth=1
	v_add_co_u32 v1, s26, v13, v36
	v_add_co_ci_u32_e64 v2, null, 0, v14, s26
	v_mov_b32_e32 v14, 0
	v_mov_b32_e32 v13, 0
	global_load_dwordx2 v[1:2], v[1:2], off
	s_waitcnt vmcnt(0)
	v_cmp_ne_u16_sdwa s26, v1, v10 src0_sel:BYTE_0 src1_sel:DWORD
	s_and_saveexec_b32 s55, s26
	s_cbranch_execz .LBB309_474
; %bb.469:                              ;   in Loop: Header=BB309_280 Depth=1
	v_cmp_ne_u16_sdwa s26, v1, v31 src0_sel:BYTE_0 src1_sel:DWORD
	v_bfrev_b32_e32 v13, 1
	s_and_saveexec_b32 s56, s26
	s_cbranch_execz .LBB309_473
; %bb.470:                              ;   in Loop: Header=BB309_280 Depth=1
	v_and_b32_e32 v3, 0x7f, v1
	v_mov_b32_e32 v13, 0x7f800001
	s_mov_b32 s57, exec_lo
	v_cmpx_ne_u32_e32 0x7f, v3
	s_cbranch_execz .LBB309_472
; %bb.471:                              ;   in Loop: Header=BB309_280 Depth=1
	v_and_b32_e32 v4, 7, v1
	v_cmp_gt_u32_e64 s26, 8, v3
	v_lshrrev_b32_e32 v9, 3, v3
	v_ffbh_u32_e32 v4, v4
	v_min_u32_e32 v4, 32, v4
	v_subrev_nc_u32_e32 v13, 28, v4
	v_sub_nc_u32_e32 v4, 29, v4
	v_cndmask_b32_e64 v3, 0, v13, s26
	v_cndmask_b32_e64 v9, v9, v4, s26
	v_lshlrev_b64 v[3:4], v3, v[1:2]
	v_lshlrev_b32_e32 v4, 24, v1
	v_lshl_add_u32 v9, v9, 23, 0x3c000000
	v_lshlrev_b32_e32 v3, 20, v3
	v_and_b32_e32 v4, 0x80000000, v4
	v_and_b32_e32 v3, 0x700000, v3
	v_or3_b32 v13, v3, v4, v9
.LBB309_472:                            ;   in Loop: Header=BB309_280 Depth=1
	s_or_b32 exec_lo, exec_lo, s57
.LBB309_473:                            ;   in Loop: Header=BB309_280 Depth=1
	s_or_b32 exec_lo, exec_lo, s56
.LBB309_474:                            ;   in Loop: Header=BB309_280 Depth=1
	s_or_b32 exec_lo, exec_lo, s55
	v_cmp_ne_u16_sdwa s26, v1, v10 src0_sel:BYTE_1 src1_sel:DWORD
	s_and_saveexec_b32 s55, s26
	s_cbranch_execz .LBB309_482
; %bb.475:                              ;   in Loop: Header=BB309_280 Depth=1
	v_cmp_ne_u16_sdwa s26, v1, v31 src0_sel:BYTE_1 src1_sel:DWORD
	v_bfrev_b32_e32 v14, 1
	s_and_saveexec_b32 s56, s26
	s_cbranch_execz .LBB309_481
; %bb.476:                              ;   in Loop: Header=BB309_280 Depth=1
	v_and_b32_sdwa v3, v32, v1 dst_sel:DWORD dst_unused:UNUSED_PAD src0_sel:DWORD src1_sel:BYTE_1
	v_mov_b32_e32 v14, 0x7f800001
	s_mov_b32 s57, exec_lo
	v_and_b32_e32 v4, 0x7f, v3
	v_cmpx_ne_u32_e32 0x7f, v4
	s_cbranch_execz .LBB309_480
; %bb.477:                              ;   in Loop: Header=BB309_280 Depth=1
	v_and_b32_e32 v9, 7, v3
	v_lshrrev_b32_e32 v3, 3, v4
	s_mov_b32 s58, exec_lo
	v_cmpx_gt_u32_e32 8, v4
; %bb.478:                              ;   in Loop: Header=BB309_280 Depth=1
	v_ffbh_u32_e32 v3, v9
	v_min_u32_e32 v3, 32, v3
	v_subrev_nc_u32_e32 v4, 28, v3
	v_sub_nc_u32_e32 v3, 29, v3
	v_lshlrev_b64 v[42:43], v4, v[9:10]
	v_and_b32_e32 v9, 7, v42
; %bb.479:                              ;   in Loop: Header=BB309_280 Depth=1
	s_or_b32 exec_lo, exec_lo, s58
	v_lshlrev_b32_e32 v4, 16, v1
	v_lshlrev_b32_e32 v9, 20, v9
	v_lshl_add_u32 v3, v3, 23, 0x3c000000
	v_and_b32_e32 v4, 0x80000000, v4
	v_or3_b32 v14, v9, v4, v3
.LBB309_480:                            ;   in Loop: Header=BB309_280 Depth=1
	s_or_b32 exec_lo, exec_lo, s57
.LBB309_481:                            ;   in Loop: Header=BB309_280 Depth=1
	s_or_b32 exec_lo, exec_lo, s56
.LBB309_482:                            ;   in Loop: Header=BB309_280 Depth=1
	s_or_b32 exec_lo, exec_lo, s55
	v_and_b32_sdwa v3, v1, v33 dst_sel:DWORD dst_unused:UNUSED_PAD src0_sel:WORD_1 src1_sel:DWORD
	v_mov_b32_e32 v43, 0
	v_mov_b32_e32 v42, 0
	s_mov_b32 s55, exec_lo
	v_cmpx_ne_u16_e32 0, v3
	s_cbranch_execz .LBB309_490
; %bb.483:                              ;   in Loop: Header=BB309_280 Depth=1
	v_bfrev_b32_e32 v42, 1
	s_mov_b32 s56, exec_lo
	v_cmpx_ne_u16_e32 0x80, v3
	s_cbranch_execz .LBB309_489
; %bb.484:                              ;   in Loop: Header=BB309_280 Depth=1
	v_bfe_u32 v4, v1, 16, 7
	v_mov_b32_e32 v42, 0x7f800001
	s_mov_b32 s57, exec_lo
	v_cmpx_ne_u32_e32 0x7f, v4
	s_cbranch_execz .LBB309_488
; %bb.485:                              ;   in Loop: Header=BB309_280 Depth=1
	v_and_b32_sdwa v9, v1, v34 dst_sel:DWORD dst_unused:UNUSED_PAD src0_sel:WORD_1 src1_sel:DWORD
	v_lshrrev_b32_e32 v3, 3, v4
	s_mov_b32 s58, exec_lo
	v_cmpx_gt_u32_e32 8, v4
; %bb.486:                              ;   in Loop: Header=BB309_280 Depth=1
	v_ffbh_u32_e32 v3, v9
	v_min_u32_e32 v3, 32, v3
	v_subrev_nc_u32_e32 v4, 28, v3
	v_sub_nc_u32_e32 v3, 29, v3
	v_lshlrev_b64 v[63:64], v4, v[9:10]
	v_and_b32_e32 v9, 7, v63
; %bb.487:                              ;   in Loop: Header=BB309_280 Depth=1
	s_or_b32 exec_lo, exec_lo, s58
	v_lshlrev_b32_sdwa v4, v35, v1 dst_sel:DWORD dst_unused:UNUSED_PAD src0_sel:DWORD src1_sel:WORD_1
	v_lshlrev_b32_e32 v9, 20, v9
	v_lshl_add_u32 v3, v3, 23, 0x3c000000
	v_and_b32_e32 v4, 0x80000000, v4
	v_or3_b32 v42, v9, v4, v3
.LBB309_488:                            ;   in Loop: Header=BB309_280 Depth=1
	s_or_b32 exec_lo, exec_lo, s57
.LBB309_489:                            ;   in Loop: Header=BB309_280 Depth=1
	s_or_b32 exec_lo, exec_lo, s56
.LBB309_490:                            ;   in Loop: Header=BB309_280 Depth=1
	s_or_b32 exec_lo, exec_lo, s55
	s_mov_b32 s55, exec_lo
	v_cmpx_lt_u32_e32 0xffffff, v1
	s_cbranch_execz .LBB309_498
; %bb.491:                              ;   in Loop: Header=BB309_280 Depth=1
	v_cmp_ne_u32_sdwa s26, v1, v31 src0_sel:BYTE_3 src1_sel:DWORD
	v_bfrev_b32_e32 v43, 1
	s_and_saveexec_b32 s56, s26
	s_cbranch_execz .LBB309_497
; %bb.492:                              ;   in Loop: Header=BB309_280 Depth=1
	v_bfe_u32 v4, v1, 24, 7
	v_mov_b32_e32 v43, 0x7f800001
	s_mov_b32 s57, exec_lo
	v_cmpx_ne_u32_e32 0x7f, v4
	s_cbranch_execz .LBB309_496
; %bb.493:                              ;   in Loop: Header=BB309_280 Depth=1
	v_and_b32_sdwa v9, v1, v34 dst_sel:DWORD dst_unused:UNUSED_PAD src0_sel:BYTE_3 src1_sel:DWORD
	v_lshrrev_b32_e32 v3, 3, v4
	s_mov_b32 s58, exec_lo
	v_cmpx_gt_u32_e32 8, v4
; %bb.494:                              ;   in Loop: Header=BB309_280 Depth=1
	v_ffbh_u32_e32 v3, v9
	v_min_u32_e32 v3, 32, v3
	v_subrev_nc_u32_e32 v4, 28, v3
	v_sub_nc_u32_e32 v3, 29, v3
	v_lshlrev_b64 v[63:64], v4, v[9:10]
	v_and_b32_e32 v9, 7, v63
; %bb.495:                              ;   in Loop: Header=BB309_280 Depth=1
	s_or_b32 exec_lo, exec_lo, s58
	v_lshlrev_b32_sdwa v4, v35, v1 dst_sel:DWORD dst_unused:UNUSED_PAD src0_sel:DWORD src1_sel:BYTE_3
	v_lshlrev_b32_e32 v9, 20, v9
	v_lshl_add_u32 v3, v3, 23, 0x3c000000
	v_and_b32_e32 v4, 0x80000000, v4
	v_or3_b32 v43, v9, v4, v3
.LBB309_496:                            ;   in Loop: Header=BB309_280 Depth=1
	s_or_b32 exec_lo, exec_lo, s57
.LBB309_497:                            ;   in Loop: Header=BB309_280 Depth=1
	s_or_b32 exec_lo, exec_lo, s56
.LBB309_498:                            ;   in Loop: Header=BB309_280 Depth=1
	s_or_b32 exec_lo, exec_lo, s55
	v_mov_b32_e32 v9, v2
	v_cmp_ne_u16_sdwa s26, v2, v10 src0_sel:BYTE_0 src1_sel:DWORD
	v_mov_b32_e32 v3, 0
	v_mov_b32_e32 v63, 0
	s_and_saveexec_b32 s55, s26
	s_cbranch_execz .LBB309_504
; %bb.499:                              ;   in Loop: Header=BB309_280 Depth=1
	v_cmp_ne_u16_sdwa s26, v2, v31 src0_sel:BYTE_0 src1_sel:DWORD
	v_bfrev_b32_e32 v63, 1
	s_and_saveexec_b32 s56, s26
	s_cbranch_execz .LBB309_503
; %bb.500:                              ;   in Loop: Header=BB309_280 Depth=1
	v_and_b32_e32 v4, 0x7f, v2
	v_mov_b32_e32 v63, 0x7f800001
	s_mov_b32 s57, exec_lo
	v_cmpx_ne_u32_e32 0x7f, v4
	s_cbranch_execz .LBB309_502
; %bb.501:                              ;   in Loop: Header=BB309_280 Depth=1
	v_and_b32_e32 v63, 7, v2
	v_lshrrev_b32_e32 v64, 3, v4
	v_cmp_gt_u32_e64 s26, 8, v4
	v_ffbh_u32_e32 v63, v63
	v_min_u32_e32 v63, 32, v63
	v_subrev_nc_u32_e32 v65, 28, v63
	v_sub_nc_u32_e32 v63, 29, v63
	v_cndmask_b32_e64 v4, v64, v63, s26
	v_cndmask_b32_e64 v63, 0, v65, s26
	v_lshl_add_u32 v4, v4, 23, 0x3c000000
	v_lshlrev_b64 v[63:64], v63, v[9:10]
	v_lshlrev_b32_e32 v64, 24, v9
	v_lshlrev_b32_e32 v63, 20, v63
	v_and_b32_e32 v64, 0x80000000, v64
	v_and_b32_e32 v63, 0x700000, v63
	v_or3_b32 v63, v63, v64, v4
.LBB309_502:                            ;   in Loop: Header=BB309_280 Depth=1
	s_or_b32 exec_lo, exec_lo, s57
.LBB309_503:                            ;   in Loop: Header=BB309_280 Depth=1
	s_or_b32 exec_lo, exec_lo, s56
.LBB309_504:                            ;   in Loop: Header=BB309_280 Depth=1
	s_or_b32 exec_lo, exec_lo, s55
	v_cmp_ne_u16_sdwa s26, v9, v10 src0_sel:BYTE_1 src1_sel:DWORD
	s_and_saveexec_b32 s55, s26
	s_cbranch_execz .LBB309_512
; %bb.505:                              ;   in Loop: Header=BB309_280 Depth=1
	v_cmp_ne_u16_sdwa s26, v9, v31 src0_sel:BYTE_1 src1_sel:DWORD
	v_bfrev_b32_e32 v3, 1
	s_and_saveexec_b32 s56, s26
	s_cbranch_execz .LBB309_511
; %bb.506:                              ;   in Loop: Header=BB309_280 Depth=1
	v_and_b32_sdwa v4, v32, v9 dst_sel:DWORD dst_unused:UNUSED_PAD src0_sel:DWORD src1_sel:BYTE_1
	v_mov_b32_e32 v3, 0x7f800001
	s_mov_b32 s57, exec_lo
	v_and_b32_e32 v65, 0x7f, v4
	v_cmpx_ne_u32_e32 0x7f, v65
	s_cbranch_execz .LBB309_510
; %bb.507:                              ;   in Loop: Header=BB309_280 Depth=1
	v_and_b32_e32 v3, 7, v4
	v_mov_b32_e32 v4, v10
	v_lshrrev_b32_e32 v64, 3, v65
	s_mov_b32 s58, exec_lo
	v_cmpx_gt_u32_e32 8, v65
; %bb.508:                              ;   in Loop: Header=BB309_280 Depth=1
	v_ffbh_u32_e32 v64, v3
	v_min_u32_e32 v64, 32, v64
	v_subrev_nc_u32_e32 v65, 28, v64
	v_sub_nc_u32_e32 v64, 29, v64
	v_lshlrev_b64 v[3:4], v65, v[3:4]
	v_and_b32_e32 v3, 7, v3
; %bb.509:                              ;   in Loop: Header=BB309_280 Depth=1
	s_or_b32 exec_lo, exec_lo, s58
	v_lshlrev_b32_e32 v4, 16, v9
	v_lshlrev_b32_e32 v3, 20, v3
	v_lshl_add_u32 v9, v64, 23, 0x3c000000
	v_and_b32_e32 v4, 0x80000000, v4
	v_or3_b32 v3, v3, v4, v9
.LBB309_510:                            ;   in Loop: Header=BB309_280 Depth=1
	s_or_b32 exec_lo, exec_lo, s57
.LBB309_511:                            ;   in Loop: Header=BB309_280 Depth=1
	s_or_b32 exec_lo, exec_lo, s56
.LBB309_512:                            ;   in Loop: Header=BB309_280 Depth=1
	s_or_b32 exec_lo, exec_lo, s55
	v_and_b32_sdwa v9, v2, v33 dst_sel:DWORD dst_unused:UNUSED_PAD src0_sel:WORD_1 src1_sel:DWORD
	v_mov_b32_e32 v4, 0
	v_mov_b32_e32 v64, 0
	s_mov_b32 s55, exec_lo
	v_cmpx_ne_u16_e32 0, v9
	s_cbranch_execz .LBB309_520
; %bb.513:                              ;   in Loop: Header=BB309_280 Depth=1
	v_bfrev_b32_e32 v64, 1
	s_mov_b32 s56, exec_lo
	v_cmpx_ne_u16_e32 0x80, v9
	s_cbranch_execz .LBB309_519
; %bb.514:                              ;   in Loop: Header=BB309_280 Depth=1
	v_bfe_u32 v65, v2, 16, 7
	v_mov_b32_e32 v64, 0x7f800001
	s_mov_b32 s57, exec_lo
	v_cmpx_ne_u32_e32 0x7f, v65
	s_cbranch_execz .LBB309_518
; %bb.515:                              ;   in Loop: Header=BB309_280 Depth=1
	v_and_b32_sdwa v9, v2, v34 dst_sel:DWORD dst_unused:UNUSED_PAD src0_sel:WORD_1 src1_sel:DWORD
	v_lshrrev_b32_e32 v64, 3, v65
	s_mov_b32 s58, exec_lo
	v_cmpx_gt_u32_e32 8, v65
; %bb.516:                              ;   in Loop: Header=BB309_280 Depth=1
	v_ffbh_u32_e32 v64, v9
	v_min_u32_e32 v64, 32, v64
	v_subrev_nc_u32_e32 v65, 28, v64
	v_sub_nc_u32_e32 v64, 29, v64
	v_lshlrev_b64 v[65:66], v65, v[9:10]
	v_and_b32_e32 v9, 7, v65
; %bb.517:                              ;   in Loop: Header=BB309_280 Depth=1
	s_or_b32 exec_lo, exec_lo, s58
	v_lshlrev_b32_sdwa v65, v35, v2 dst_sel:DWORD dst_unused:UNUSED_PAD src0_sel:DWORD src1_sel:WORD_1
	v_lshlrev_b32_e32 v9, 20, v9
	v_lshl_add_u32 v64, v64, 23, 0x3c000000
	v_and_b32_e32 v65, 0x80000000, v65
	v_or3_b32 v64, v9, v65, v64
.LBB309_518:                            ;   in Loop: Header=BB309_280 Depth=1
	s_or_b32 exec_lo, exec_lo, s57
.LBB309_519:                            ;   in Loop: Header=BB309_280 Depth=1
	s_or_b32 exec_lo, exec_lo, s56
.LBB309_520:                            ;   in Loop: Header=BB309_280 Depth=1
	s_or_b32 exec_lo, exec_lo, s55
	s_mov_b32 s55, exec_lo
	v_cmpx_lt_u64_e64 s[40:41], v[1:2]
	s_cbranch_execz .LBB309_528
; %bb.521:                              ;   in Loop: Header=BB309_280 Depth=1
	v_cmp_ne_u32_sdwa s26, v2, v31 src0_sel:BYTE_3 src1_sel:DWORD
	v_bfrev_b32_e32 v4, 1
	s_and_saveexec_b32 s56, s26
	s_cbranch_execz .LBB309_527
; %bb.522:                              ;   in Loop: Header=BB309_280 Depth=1
	v_bfe_u32 v65, v2, 24, 7
	v_mov_b32_e32 v4, 0x7f800001
	s_mov_b32 s57, exec_lo
	v_cmpx_ne_u32_e32 0x7f, v65
	s_cbranch_execz .LBB309_526
; %bb.523:                              ;   in Loop: Header=BB309_280 Depth=1
	v_and_b32_sdwa v9, v2, v34 dst_sel:DWORD dst_unused:UNUSED_PAD src0_sel:BYTE_3 src1_sel:DWORD
	v_lshrrev_b32_e32 v1, 3, v65
	s_mov_b32 s58, exec_lo
	v_cmpx_gt_u32_e32 8, v65
; %bb.524:                              ;   in Loop: Header=BB309_280 Depth=1
	v_ffbh_u32_e32 v1, v9
	v_min_u32_e32 v1, 32, v1
	v_subrev_nc_u32_e32 v4, 28, v1
	v_sub_nc_u32_e32 v1, 29, v1
	v_lshlrev_b64 v[65:66], v4, v[9:10]
	v_and_b32_e32 v9, 7, v65
; %bb.525:                              ;   in Loop: Header=BB309_280 Depth=1
	s_or_b32 exec_lo, exec_lo, s58
	v_lshlrev_b32_sdwa v2, v35, v2 dst_sel:DWORD dst_unused:UNUSED_PAD src0_sel:DWORD src1_sel:BYTE_3
	v_lshlrev_b32_e32 v4, 20, v9
	v_lshl_add_u32 v1, v1, 23, 0x3c000000
	v_and_b32_e32 v2, 0x80000000, v2
	v_or3_b32 v4, v4, v2, v1
.LBB309_526:                            ;   in Loop: Header=BB309_280 Depth=1
	s_or_b32 exec_lo, exec_lo, s57
.LBB309_527:                            ;   in Loop: Header=BB309_280 Depth=1
	s_or_b32 exec_lo, exec_lo, s56
.LBB309_528:                            ;   in Loop: Header=BB309_280 Depth=1
	s_or_b32 exec_lo, exec_lo, s55
	v_mul_f32_e32 v1, s53, v3
	v_mul_f32_e32 v2, s53, v63
	;; [unrolled: 1-line block ×5, first 2 shown]
	v_bfe_u32 v9, v1, 16, 1
	v_or_b32_e32 v43, 0x400000, v1
	v_bfe_u32 v63, v2, 16, 1
	v_cmp_u_f32_e64 s26, v1, v1
	v_or_b32_e32 v65, 0x400000, v2
	v_add3_u32 v9, v9, v1, 0x7fff
	v_bfe_u32 v66, v3, 16, 1
	v_add3_u32 v63, v63, v2, 0x7fff
	v_or_b32_e32 v67, 0x400000, v3
	v_bfe_u32 v68, v42, 16, 1
	v_cndmask_b32_e64 v1, v9, v43, s26
	v_cmp_u_f32_e64 s26, v2, v2
	v_add3_u32 v66, v66, v3, 0x7fff
	v_mul_f32_e32 v13, s53, v13
	v_add3_u32 v43, v68, v42, 0x7fff
	v_lshrrev_b32_e32 v2, 16, v1
	v_cndmask_b32_e64 v9, v63, v65, s26
	v_cmp_u_f32_e64 s26, v3, v3
	v_or_b32_e32 v63, 0x400000, v42
	v_mul_f32_e32 v4, s53, v4
	v_lshrrev_b32_e32 v1, 16, v9
	v_cndmask_b32_e64 v3, v66, v67, s26
	v_cmp_u_f32_e64 s26, v42, v42
	v_or_b32_e32 v67, 0x400000, v4
	v_lshrrev_b32_e32 v9, 16, v3
	v_bfe_u32 v3, v14, 16, 1
	v_cndmask_b32_e64 v42, v43, v63, s26
	v_mul_f32_e32 v43, s53, v64
	v_or_b32_e32 v63, 0x400000, v14
	v_bfe_u32 v64, v13, 16, 1
	v_add3_u32 v3, v3, v14, 0x7fff
	v_cmp_u_f32_e64 s26, v14, v14
	v_bfe_u32 v65, v43, 16, 1
	v_bfe_u32 v14, v4, 16, 1
	v_or_b32_e32 v66, 0x400000, v43
	v_cndmask_b32_e64 v3, v3, v63, s26
	v_add3_u32 v63, v64, v13, 0x7fff
	v_or_b32_e32 v64, 0x400000, v13
	v_cmp_u_f32_e64 s26, v13, v13
	v_add3_u32 v65, v65, v43, 0x7fff
	v_add3_u32 v14, v14, v4, 0x7fff
	v_lshrrev_b32_e32 v13, 16, v42
	v_lshrrev_b32_e32 v42, 16, v3
	v_cndmask_b32_e64 v63, v63, v64, s26
	v_cmp_u_f32_e64 s26, v43, v43
	v_cndmask_b32_e64 v43, v65, v66, s26
	v_cmp_u_f32_e64 s26, v4, v4
	v_lshrrev_b32_e32 v3, 16, v43
	v_cndmask_b32_e64 v4, v14, v67, s26
	v_lshrrev_b32_e32 v14, 16, v63
	v_lshrrev_b32_e32 v4, 16, v4
	s_and_saveexec_b32 s26, s0
	s_cbranch_execz .LBB309_277
; %bb.529:                              ;   in Loop: Header=BB309_280 Depth=1
	v_add_nc_u32_e32 v43, 1, v24
	v_cmp_gt_i32_e64 s0, s35, v24
	v_add_nc_u32_e32 v63, 2, v24
	v_add_nc_u32_e32 v64, 3, v24
	v_cndmask_b32_e64 v14, 0, v14, s0
	v_cmp_gt_i32_e64 s0, s35, v43
	v_add_nc_u32_e32 v43, 4, v24
	v_cndmask_b32_e64 v42, 0, v42, s0
	v_cmp_gt_i32_e64 s0, s35, v63
	;; [unrolled: 3-line block ×5, first 2 shown]
	v_cndmask_b32_e64 v2, 0, v2, s0
	v_cmp_gt_i32_e64 s0, s35, v64
	v_cndmask_b32_e64 v3, 0, v3, s0
	v_cmp_gt_i32_e64 s0, s35, v43
	v_cndmask_b32_e64 v4, 0, v4, s0
	s_branch .LBB309_277
.LBB309_530:
	s_or_b32 exec_lo, exec_lo, s51
.LBB309_531:
	s_or_b32 exec_lo, exec_lo, s46
	s_movk_i32 s0, 0x1e0
	v_and_b32_e32 v1, 0x3c0, v0
	v_mad_u32_u24 v4, v23, s0, 0x110
	v_or_b32_e32 v3, 0x60, v0
	s_mov_b32 s0, exec_lo
	s_barrier
	buffer_gl0_inv
	v_cmpx_eq_u32_e32 64, v1
	s_cbranch_execz .LBB309_534
; %bb.532:
	v_add_nc_u32_e32 v1, 0xfffffc40, v4
	v_cmp_gt_u32_e32 vcc_lo, 0x78, v3
	v_lshl_add_u32 v2, v21, 2, v1
	ds_write2_b32 v2, v28, v27 offset1:32
	ds_write_b32 v2, v26 offset:256
	s_and_b32 exec_lo, exec_lo, vcc_lo
; %bb.533:
	v_lshl_add_u32 v1, v3, 2, v1
	ds_write_b32 v1, v25
.LBB309_534:
	s_or_b32 exec_lo, exec_lo, s0
	v_lshl_add_u32 v5, v21, 2, v4
	s_mov_b32 s0, exec_lo
	s_waitcnt lgkmcnt(0)
	s_barrier
	buffer_gl0_inv
	v_cmpx_gt_u32_e32 64, v0
	s_cbranch_execz .LBB309_538
; %bb.535:
	v_lshl_or_b32 v1, v0, 2, 0x80
	s_mov_b32 s1, exec_lo
	v_add_nc_u32_e32 v6, v4, v1
	ds_read2st64_b32 v[1:2], v5 offset1:1
	ds_read_b32 v6, v6
	v_cmpx_gt_u32_e32 0x78, v3
	s_cbranch_execz .LBB309_537
; %bb.536:
	v_lshl_add_u32 v7, v3, 2, v4
	ds_read_b32 v7, v7
	s_waitcnt lgkmcnt(0)
	v_add_f32_e32 v25, v25, v7
.LBB309_537:
	s_or_b32 exec_lo, exec_lo, s1
	s_waitcnt lgkmcnt(1)
	v_add_f32_e32 v28, v28, v1
	s_waitcnt lgkmcnt(0)
	v_add_f32_e32 v27, v27, v6
	v_add_f32_e32 v26, v26, v2
.LBB309_538:
	s_or_b32 exec_lo, exec_lo, s0
	v_and_b32_e32 v1, 0x3e0, v0
	s_mov_b32 s0, exec_lo
	s_barrier
	buffer_gl0_inv
	v_cmpx_eq_u32_e32 32, v1
	s_cbranch_execz .LBB309_541
; %bb.539:
	v_lshl_add_u32 v1, v21, 2, 0x110
	v_cmp_gt_u32_e32 vcc_lo, 0x78, v3
	ds_write_b32 v1, v28
	ds_write_b32 v22, v27
	ds_write_b32 v1, v26 offset:256
	s_and_b32 exec_lo, exec_lo, vcc_lo
; %bb.540:
	v_lshl_add_u32 v1, v3, 2, 0x110
	ds_write_b32 v1, v25
.LBB309_541:
	s_or_b32 exec_lo, exec_lo, s0
	v_cmp_gt_u32_e32 vcc_lo, 32, v0
	s_waitcnt lgkmcnt(0)
	s_barrier
	buffer_gl0_inv
	s_and_saveexec_b32 s1, vcc_lo
	s_cbranch_execz .LBB309_545
; %bb.542:
	v_lshl_add_u32 v6, v0, 2, v4
	s_mov_b32 s2, exec_lo
	ds_read_b32 v4, v5
	ds_read2_b32 v[1:2], v6 offset0:32 offset1:64
	v_cmpx_gt_u32_e32 0x78, v3
	s_cbranch_execz .LBB309_544
; %bb.543:
	ds_read_b32 v5, v6 offset:384
	s_waitcnt lgkmcnt(0)
	v_add_f32_e32 v25, v25, v5
.LBB309_544:
	s_or_b32 exec_lo, exec_lo, s2
	s_waitcnt lgkmcnt(1)
	v_add_f32_e32 v28, v28, v4
	s_waitcnt lgkmcnt(0)
	v_add_f32_e32 v27, v27, v1
	v_add_f32_e32 v26, v26, v2
.LBB309_545:
	s_or_b32 exec_lo, exec_lo, s1
	s_barrier
	buffer_gl0_inv
	s_and_saveexec_b32 s0, vcc_lo
	s_cbranch_execz .LBB309_548
; %bb.546:
	v_bfe_u32 v1, v28, 16, 1
	s_mul_i32 s0, s34, s33
	v_bfe_u32 v2, v27, 16, 1
	s_mul_i32 s0, s0, s27
	v_or_b32_e32 v5, 0x400000, v28
	v_add3_u32 v1, v1, v28, 0x7fff
	v_cmp_u_f32_e32 vcc_lo, v28, v28
	s_mulk_i32 s0, 0x78
	v_bfe_u32 v4, v26, 16, 1
	s_ashr_i32 s1, s0, 31
	v_add3_u32 v2, v2, v27, 0x7fff
	s_lshl_b64 s[0:1], s[0:1], 1
	v_or_b32_e32 v6, 0x400000, v27
	v_cndmask_b32_e32 v1, v1, v5, vcc_lo
	v_cmp_u_f32_e32 vcc_lo, v27, v27
	s_mul_i32 s2, s33, s36
	s_add_u32 s5, s38, s0
	s_addc_u32 s6, s39, s1
	s_ashr_i32 s3, s2, 31
	v_add3_u32 v4, v4, v26, 0x7fff
	s_lshl_b64 s[0:1], s[2:3], 1
	v_or_b32_e32 v7, 0x400000, v26
	v_cndmask_b32_e32 v2, v2, v6, vcc_lo
	v_cmp_u_f32_e32 vcc_lo, v26, v26
	s_mul_i32 s4, s8, 0x78
	s_add_u32 s2, s5, s0
	s_addc_u32 s3, s6, s1
	s_ashr_i32 s5, s4, 31
	v_lshlrev_b32_e32 v0, 1, v0
	s_lshl_b64 s[0:1], s[4:5], 1
	v_cndmask_b32_e32 v4, v4, v7, vcc_lo
	v_cmp_gt_u32_e32 vcc_lo, 0x78, v3
	s_add_u32 s0, s2, s0
	s_addc_u32 s1, s3, s1
	global_store_short_d16_hi v0, v1, s[0:1]
	global_store_short_d16_hi v0, v2, s[0:1] offset:64
	global_store_short_d16_hi v0, v4, s[0:1] offset:128
	s_and_b32 exec_lo, exec_lo, vcc_lo
	s_cbranch_execz .LBB309_548
; %bb.547:
	v_bfe_u32 v1, v25, 16, 1
	v_or_b32_e32 v2, 0x400000, v25
	v_cmp_u_f32_e32 vcc_lo, v25, v25
	v_add_co_u32 v0, s0, s0, v0
	v_add3_u32 v3, v1, v25, 0x7fff
	v_add_co_ci_u32_e64 v1, null, s1, 0, s0
	v_cndmask_b32_e32 v2, v3, v2, vcc_lo
	global_store_short_d16_hi v[0:1], v2, off offset:192
.LBB309_548:
	s_endpgm
	.section	.rodata,"a",@progbits
	.p2align	6, 0x0
	.amdhsa_kernel _ZN4vllm25paged_attention_v1_kernelI14__hip_bfloat16hLi120ELi8ELi128ELNS_18Fp8KVCacheDataTypeE1ELb1EEEvPT_PKS3_PKT0_S9_ifPKiSB_iPKfiiiSD_SD_iiiii
		.amdhsa_group_segment_fixed_size 272
		.amdhsa_private_segment_fixed_size 0
		.amdhsa_kernarg_size 384
		.amdhsa_user_sgpr_count 6
		.amdhsa_user_sgpr_private_segment_buffer 1
		.amdhsa_user_sgpr_dispatch_ptr 0
		.amdhsa_user_sgpr_queue_ptr 0
		.amdhsa_user_sgpr_kernarg_segment_ptr 1
		.amdhsa_user_sgpr_dispatch_id 0
		.amdhsa_user_sgpr_flat_scratch_init 0
		.amdhsa_user_sgpr_private_segment_size 0
		.amdhsa_wavefront_size32 1
		.amdhsa_uses_dynamic_stack 0
		.amdhsa_system_sgpr_private_segment_wavefront_offset 0
		.amdhsa_system_sgpr_workgroup_id_x 1
		.amdhsa_system_sgpr_workgroup_id_y 1
		.amdhsa_system_sgpr_workgroup_id_z 1
		.amdhsa_system_sgpr_workgroup_info 0
		.amdhsa_system_vgpr_workitem_id 0
		.amdhsa_next_free_vgpr 84
		.amdhsa_next_free_sgpr 59
		.amdhsa_reserve_vcc 1
		.amdhsa_reserve_flat_scratch 0
		.amdhsa_float_round_mode_32 0
		.amdhsa_float_round_mode_16_64 0
		.amdhsa_float_denorm_mode_32 3
		.amdhsa_float_denorm_mode_16_64 3
		.amdhsa_dx10_clamp 1
		.amdhsa_ieee_mode 1
		.amdhsa_fp16_overflow 0
		.amdhsa_workgroup_processor_mode 1
		.amdhsa_memory_ordered 1
		.amdhsa_forward_progress 1
		.amdhsa_shared_vgpr_count 0
		.amdhsa_exception_fp_ieee_invalid_op 0
		.amdhsa_exception_fp_denorm_src 0
		.amdhsa_exception_fp_ieee_div_zero 0
		.amdhsa_exception_fp_ieee_overflow 0
		.amdhsa_exception_fp_ieee_underflow 0
		.amdhsa_exception_fp_ieee_inexact 0
		.amdhsa_exception_int_div_zero 0
	.end_amdhsa_kernel
	.section	.text._ZN4vllm25paged_attention_v1_kernelI14__hip_bfloat16hLi120ELi8ELi128ELNS_18Fp8KVCacheDataTypeE1ELb1EEEvPT_PKS3_PKT0_S9_ifPKiSB_iPKfiiiSD_SD_iiiii,"axG",@progbits,_ZN4vllm25paged_attention_v1_kernelI14__hip_bfloat16hLi120ELi8ELi128ELNS_18Fp8KVCacheDataTypeE1ELb1EEEvPT_PKS3_PKT0_S9_ifPKiSB_iPKfiiiSD_SD_iiiii,comdat
.Lfunc_end309:
	.size	_ZN4vllm25paged_attention_v1_kernelI14__hip_bfloat16hLi120ELi8ELi128ELNS_18Fp8KVCacheDataTypeE1ELb1EEEvPT_PKS3_PKT0_S9_ifPKiSB_iPKfiiiSD_SD_iiiii, .Lfunc_end309-_ZN4vllm25paged_attention_v1_kernelI14__hip_bfloat16hLi120ELi8ELi128ELNS_18Fp8KVCacheDataTypeE1ELb1EEEvPT_PKS3_PKT0_S9_ifPKiSB_iPKfiiiSD_SD_iiiii
                                        ; -- End function
	.set _ZN4vllm25paged_attention_v1_kernelI14__hip_bfloat16hLi120ELi8ELi128ELNS_18Fp8KVCacheDataTypeE1ELb1EEEvPT_PKS3_PKT0_S9_ifPKiSB_iPKfiiiSD_SD_iiiii.num_vgpr, 84
	.set _ZN4vllm25paged_attention_v1_kernelI14__hip_bfloat16hLi120ELi8ELi128ELNS_18Fp8KVCacheDataTypeE1ELb1EEEvPT_PKS3_PKT0_S9_ifPKiSB_iPKfiiiSD_SD_iiiii.num_agpr, 0
	.set _ZN4vllm25paged_attention_v1_kernelI14__hip_bfloat16hLi120ELi8ELi128ELNS_18Fp8KVCacheDataTypeE1ELb1EEEvPT_PKS3_PKT0_S9_ifPKiSB_iPKfiiiSD_SD_iiiii.numbered_sgpr, 59
	.set _ZN4vllm25paged_attention_v1_kernelI14__hip_bfloat16hLi120ELi8ELi128ELNS_18Fp8KVCacheDataTypeE1ELb1EEEvPT_PKS3_PKT0_S9_ifPKiSB_iPKfiiiSD_SD_iiiii.num_named_barrier, 0
	.set _ZN4vllm25paged_attention_v1_kernelI14__hip_bfloat16hLi120ELi8ELi128ELNS_18Fp8KVCacheDataTypeE1ELb1EEEvPT_PKS3_PKT0_S9_ifPKiSB_iPKfiiiSD_SD_iiiii.private_seg_size, 0
	.set _ZN4vllm25paged_attention_v1_kernelI14__hip_bfloat16hLi120ELi8ELi128ELNS_18Fp8KVCacheDataTypeE1ELb1EEEvPT_PKS3_PKT0_S9_ifPKiSB_iPKfiiiSD_SD_iiiii.uses_vcc, 1
	.set _ZN4vllm25paged_attention_v1_kernelI14__hip_bfloat16hLi120ELi8ELi128ELNS_18Fp8KVCacheDataTypeE1ELb1EEEvPT_PKS3_PKT0_S9_ifPKiSB_iPKfiiiSD_SD_iiiii.uses_flat_scratch, 0
	.set _ZN4vllm25paged_attention_v1_kernelI14__hip_bfloat16hLi120ELi8ELi128ELNS_18Fp8KVCacheDataTypeE1ELb1EEEvPT_PKS3_PKT0_S9_ifPKiSB_iPKfiiiSD_SD_iiiii.has_dyn_sized_stack, 0
	.set _ZN4vllm25paged_attention_v1_kernelI14__hip_bfloat16hLi120ELi8ELi128ELNS_18Fp8KVCacheDataTypeE1ELb1EEEvPT_PKS3_PKT0_S9_ifPKiSB_iPKfiiiSD_SD_iiiii.has_recursion, 0
	.set _ZN4vllm25paged_attention_v1_kernelI14__hip_bfloat16hLi120ELi8ELi128ELNS_18Fp8KVCacheDataTypeE1ELb1EEEvPT_PKS3_PKT0_S9_ifPKiSB_iPKfiiiSD_SD_iiiii.has_indirect_call, 0
	.section	.AMDGPU.csdata,"",@progbits
; Kernel info:
; codeLenInByte = 22000
; TotalNumSgprs: 61
; NumVgprs: 84
; ScratchSize: 0
; MemoryBound: 0
; FloatMode: 240
; IeeeMode: 1
; LDSByteSize: 272 bytes/workgroup (compile time only)
; SGPRBlocks: 0
; VGPRBlocks: 10
; NumSGPRsForWavesPerEU: 61
; NumVGPRsForWavesPerEU: 84
; Occupancy: 10
; WaveLimiterHint : 1
; COMPUTE_PGM_RSRC2:SCRATCH_EN: 0
; COMPUTE_PGM_RSRC2:USER_SGPR: 6
; COMPUTE_PGM_RSRC2:TRAP_HANDLER: 0
; COMPUTE_PGM_RSRC2:TGID_X_EN: 1
; COMPUTE_PGM_RSRC2:TGID_Y_EN: 1
; COMPUTE_PGM_RSRC2:TGID_Z_EN: 1
; COMPUTE_PGM_RSRC2:TIDIG_COMP_CNT: 0
	.section	.text._ZN4vllm25paged_attention_v1_kernelI14__hip_bfloat16hLi128ELi8ELi128ELNS_18Fp8KVCacheDataTypeE1ELb1EEEvPT_PKS3_PKT0_S9_ifPKiSB_iPKfiiiSD_SD_iiiii,"axG",@progbits,_ZN4vllm25paged_attention_v1_kernelI14__hip_bfloat16hLi128ELi8ELi128ELNS_18Fp8KVCacheDataTypeE1ELb1EEEvPT_PKS3_PKT0_S9_ifPKiSB_iPKfiiiSD_SD_iiiii,comdat
	.protected	_ZN4vllm25paged_attention_v1_kernelI14__hip_bfloat16hLi128ELi8ELi128ELNS_18Fp8KVCacheDataTypeE1ELb1EEEvPT_PKS3_PKT0_S9_ifPKiSB_iPKfiiiSD_SD_iiiii ; -- Begin function _ZN4vllm25paged_attention_v1_kernelI14__hip_bfloat16hLi128ELi8ELi128ELNS_18Fp8KVCacheDataTypeE1ELb1EEEvPT_PKS3_PKT0_S9_ifPKiSB_iPKfiiiSD_SD_iiiii
	.globl	_ZN4vllm25paged_attention_v1_kernelI14__hip_bfloat16hLi128ELi8ELi128ELNS_18Fp8KVCacheDataTypeE1ELb1EEEvPT_PKS3_PKT0_S9_ifPKiSB_iPKfiiiSD_SD_iiiii
	.p2align	8
	.type	_ZN4vllm25paged_attention_v1_kernelI14__hip_bfloat16hLi128ELi8ELi128ELNS_18Fp8KVCacheDataTypeE1ELb1EEEvPT_PKS3_PKT0_S9_ifPKiSB_iPKfiiiSD_SD_iiiii,@function
_ZN4vllm25paged_attention_v1_kernelI14__hip_bfloat16hLi128ELi8ELi128ELNS_18Fp8KVCacheDataTypeE1ELb1EEEvPT_PKS3_PKT0_S9_ifPKiSB_iPKfiiiSD_SD_iiiii: ; @_ZN4vllm25paged_attention_v1_kernelI14__hip_bfloat16hLi128ELi8ELi128ELNS_18Fp8KVCacheDataTypeE1ELb1EEEvPT_PKS3_PKT0_S9_ifPKiSB_iPKfiiiSD_SD_iiiii
; %bb.0:
	s_clause 0x2
	s_load_dword s9, s[4:5], 0x80
	s_load_dwordx2 s[0:1], s[4:5], 0x30
	s_load_dwordx2 s[34:35], s[4:5], 0x20
	s_mov_b32 s10, s7
	s_ashr_i32 s11, s7, 31
	s_mov_b32 s36, 0
	s_lshl_b64 s[2:3], s[10:11], 2
	s_waitcnt lgkmcnt(0)
	s_add_u32 s0, s0, s2
	s_addc_u32 s1, s1, s3
	s_abs_i32 s2, s34
	s_abs_i32 s11, s9
	v_cvt_f32_u32_e32 v1, s2
	s_sub_i32 s7, 0, s2
	v_rcp_iflag_f32_e32 v1, v1
	v_mul_f32_e32 v1, 0x4f7ffffe, v1
	v_cvt_u32_f32_e32 v1, v1
	v_readfirstlane_b32 s3, v1
	s_mul_i32 s7, s7, s3
	s_mul_hi_u32 s7, s3, s7
	s_add_i32 s3, s3, s7
	s_xor_b32 s7, s9, s34
	s_mul_hi_u32 s3, s11, s3
	s_ashr_i32 s7, s7, 31
	s_mul_i32 s12, s3, s2
	s_sub_i32 s11, s11, s12
	s_add_i32 s12, s3, 1
	s_sub_i32 s13, s11, s2
	s_cmp_ge_u32 s11, s2
	s_cselect_b32 s3, s12, s3
	s_cselect_b32 s11, s13, s11
	s_add_i32 s12, s3, 1
	s_cmp_ge_u32 s11, s2
	s_cselect_b32 s2, s12, s3
	s_xor_b32 s2, s2, s7
	s_sub_i32 s14, s2, s7
	s_load_dwordx2 s[2:3], s[4:5], 0x40
	s_abs_i32 s11, s14
	v_cvt_f32_u32_e32 v1, s11
	s_sub_i32 s12, 0, s11
	v_rcp_iflag_f32_e32 v1, v1
	v_mul_f32_e32 v1, 0x4f7ffffe, v1
	v_cvt_u32_f32_e32 v1, v1
	v_readfirstlane_b32 s7, v1
	s_mul_i32 s12, s12, s7
	s_mul_hi_u32 s13, s7, s12
	s_abs_i32 s12, s6
	s_add_i32 s7, s7, s13
	s_waitcnt lgkmcnt(0)
	s_cmp_eq_u64 s[2:3], 0
	s_mul_hi_u32 s13, s12, s7
	s_cbranch_scc1 .LBB310_2
; %bb.1:
	s_ashr_i32 s7, s6, 31
	s_lshl_b64 s[16:17], s[6:7], 2
	s_add_u32 s2, s2, s16
	s_addc_u32 s3, s3, s17
	s_load_dword s36, s[2:3], 0x0
.LBB310_2:
	s_load_dword s33, s[0:1], 0x0
	s_load_dwordx4 s[16:19], s[4:5], 0x48
	v_and_b32_e32 v1, 3, v0
	v_cmp_gt_u32_e64 s0, 64, v0
	s_ashr_i32 s1, s6, 31
	s_ashr_i32 s2, s14, 31
	s_lshl_b32 s24, s6, 7
	s_and_saveexec_b32 s3, s0
	s_cbranch_execz .LBB310_4
; %bb.3:
	s_load_dwordx2 s[14:15], s[4:5], 0x8
	s_waitcnt lgkmcnt(0)
	s_mul_i32 s20, s16, s10
	v_lshlrev_b32_e32 v2, 2, v0
	s_ashr_i32 s21, s20, 31
	v_and_b32_e32 v3, 0x3fc, v0
	s_lshl_b64 s[20:21], s[20:21], 1
	v_lshl_add_u32 v3, v1, 6, v3
	s_add_u32 s7, s14, s20
	s_addc_u32 s16, s15, s21
	s_ashr_i32 s25, s24, 31
	s_lshl_b64 s[14:15], s[24:25], 1
	s_add_u32 s14, s7, s14
	s_addc_u32 s15, s16, s15
	global_load_dword v2, v2, s[14:15]
	s_waitcnt vmcnt(0)
	ds_write_b32 v3, v2
.LBB310_4:
	s_or_b32 exec_lo, exec_lo, s3
	s_load_dwordx4 s[20:23], s[4:5], 0x68
	s_mul_i32 s3, s13, s11
	s_xor_b32 s2, s1, s2
	s_sub_i32 s1, s12, s3
	s_add_i32 s3, s13, 1
	s_sub_i32 s7, s1, s11
	s_cmp_ge_u32 s1, s11
	s_waitcnt lgkmcnt(0)
	s_cselect_b32 s3, s3, s13
	s_cselect_b32 s1, s7, s1
	s_add_i32 s7, s3, 1
	s_cmp_ge_u32 s1, s11
	s_load_dword s1, s[4:5], 0x78
	s_cselect_b32 s3, s7, s3
	s_add_i32 s7, s33, -1
	s_xor_b32 s3, s3, s2
	s_abs_i32 s11, s7
	s_sub_i32 s2, s3, s2
	s_mov_b32 s13, -1
	s_barrier
	s_abs_i32 s16, s23
	s_waitcnt lgkmcnt(0)
	buffer_gl0_inv
	v_cvt_f32_u32_e32 v2, s16
	s_sub_i32 s3, 0, s16
                                        ; implicit-def: $sgpr25
	v_rcp_iflag_f32_e32 v2, v2
	v_mul_f32_e32 v2, 0x4f7ffffe, v2
	v_cvt_u32_f32_e32 v2, v2
	v_readfirstlane_b32 s19, v2
	s_mul_i32 s3, s3, s19
	s_mul_hi_u32 s3, s19, s3
	s_add_i32 s19, s19, s3
	s_cmp_lt_i32 s1, 0
	s_mul_hi_u32 s3, s11, s19
	s_cbranch_scc0 .LBB310_6
; %bb.5:
	s_mul_i32 s12, s20, s34
	s_mov_b32 s13, 0
	s_add_i32 s12, s2, s12
	s_mul_i32 s12, s12, s1
	s_sub_i32 s25, 1, s12
.LBB310_6:
	s_load_dwordx2 s[26:27], s[4:5], 0x28
	s_ashr_i32 s12, s7, 31
	s_andn2_b32 vcc_lo, exec_lo, s13
	s_ashr_i32 s23, s23, 31
	s_cbranch_vccnz .LBB310_8
; %bb.7:
	s_mul_i32 s7, s9, s20
	s_add_i32 s6, s7, s6
	s_mul_i32 s1, s6, s1
	s_add_i32 s25, s1, 1
.LBB310_8:
	s_clause 0x2
	s_load_dword s1, s[4:5], 0x38
	s_load_dwordx2 s[6:7], s[4:5], 0x0
	s_load_dwordx2 s[30:31], s[4:5], 0x18
	s_xor_b32 s34, s12, s23
	s_mul_i32 s12, s3, s16
	s_add_i32 s20, s3, 1
	s_sub_i32 s37, s11, s12
	s_clause 0x1
	s_load_dword s11, s[4:5], 0x88
	s_load_dwordx4 s[12:15], s[4:5], 0x58
	v_lshrrev_b32_e32 v25, 5, v0
	v_mov_b32_e32 v30, 0xff7fffff
	v_lshrrev_b32_e32 v28, 3, v0
	v_mbcnt_lo_u32_b32 v27, -1, 0
	s_mul_i32 s18, s2, s18
	v_lshlrev_b32_e32 v26, 3, v25
	s_waitcnt lgkmcnt(0)
	s_mul_i32 s28, s1, s10
	s_sub_i32 s1, s37, s16
	s_ashr_i32 s29, s28, 31
	s_cmp_ge_u32 s37, s16
	s_cselect_b32 s3, s20, s3
	s_cselect_b32 s1, s1, s37
	s_add_i32 s20, s3, 1
	s_cmp_ge_u32 s1, s16
	s_cselect_b32 s1, s20, s3
	s_add_i32 s3, s33, 7
	s_ashr_i32 s20, s3, 31
	s_lshr_b32 s20, s20, 29
	s_add_i32 s3, s3, s20
	s_ashr_i32 s20, s3, 3
	s_xor_b32 s3, s1, s34
	v_cmp_gt_i32_e64 s1, s20, v25
	s_sub_i32 s34, s3, s34
	s_and_saveexec_b32 s37, s1
	s_cbranch_execz .LBB310_276
; %bb.9:
	s_load_dwordx2 s[2:3], s[4:5], 0x10
	s_sub_i32 s5, s34, s21
	s_ashr_i32 s4, s18, 31
	v_bfe_u32 v29, v0, 2, 3
	v_cmp_eq_u32_e32 vcc_lo, 0, v1
	v_lshlrev_b32_e32 v3, 1, v1
	v_lshlrev_b32_e32 v31, 6, v1
	v_and_b32_e32 v1, 0x7c, v28
	v_lshlrev_b32_e32 v4, 2, v29
	v_subrev_nc_u32_e32 v5, s33, v29
	v_lshlrev_b32_e32 v6, 4, v29
	v_mov_b32_e32 v18, 0
	v_lshlrev_b32_e32 v32, 3, v25
	v_lshl_or_b32 v4, v25, 5, v4
	v_add_nc_u32_e32 v36, 1, v5
	v_mov_b32_e32 v33, 0xff7fffff
	v_mov_b32_e32 v34, 0x80
	;; [unrolled: 1-line block ×3, first 2 shown]
	v_add_nc_u32_e32 v37, 0x120, v4
	v_mov_b32_e32 v30, 0xff7fffff
	s_waitcnt lgkmcnt(0)
	s_add_u32 s39, s2, s18
	s_addc_u32 s3, s3, s4
	s_abs_i32 s38, s22
	s_lshl_b64 s[40:41], s[28:29], 2
	v_cvt_f32_u32_e32 v2, s38
	s_sub_i32 s4, 0, s38
	v_cmp_neq_f32_e64 s2, s36, 0
	v_mov_b32_e32 v39, v25
	v_rcp_iflag_f32_e32 v2, v2
	v_mul_f32_e32 v2, 0x4f7ffffe, v2
	v_cvt_u32_f32_e32 v2, v2
	v_mul_lo_u32 v4, s4, v2
	v_add_co_u32 v5, s4, s39, v6
	v_add_co_ci_u32_e64 v6, null, s3, 0, s4
	s_add_u32 s3, s26, s40
	s_addc_u32 s4, s27, s41
	v_add_co_u32 v19, s3, s3, v1
	v_mul_hi_u32 v4, v2, v4
	v_add_co_ci_u32_e64 v20, null, s4, 0, s3
	v_add_co_u32 v21, s3, v5, v3
	v_add_co_ci_u32_e64 v22, null, 0, v6, s3
	s_mov_b32 s39, 0
	v_add_nc_u32_e32 v38, v2, v4
	s_mov_b32 s40, s17
	s_branch .LBB310_12
.LBB310_10:                             ;   in Loop: Header=BB310_12 Depth=1
	s_or_b32 exec_lo, exec_lo, s41
.LBB310_11:                             ;   in Loop: Header=BB310_12 Depth=1
	s_or_b32 exec_lo, exec_lo, s4
	v_add_nc_u32_e32 v39, 4, v39
	v_add_co_u32 v19, s4, v19, 16
	v_add_co_ci_u32_e64 v20, null, 0, v20, s4
	v_cmp_le_i32_e64 s3, s20, v39
	v_add_nc_u32_e32 v32, 32, v32
	v_add_nc_u32_e32 v37, 0x80, v37
	s_or_b32 s39, s3, s39
	s_andn2_b32 exec_lo, exec_lo, s39
	s_cbranch_execz .LBB310_275
.LBB310_12:                             ; =>This Inner Loop Header: Depth=1
	v_mul_hi_u32 v1, v32, s19
	s_waitcnt lgkmcnt(0)
	v_mul_lo_u32 v2, v1, s16
	v_add_nc_u32_e32 v3, 1, v1
	v_sub_nc_u32_e32 v2, v32, v2
	v_subrev_nc_u32_e32 v4, s16, v2
	v_cmp_le_u32_e64 s3, s16, v2
	v_cndmask_b32_e64 v1, v1, v3, s3
	v_cndmask_b32_e64 v2, v2, v4, s3
	v_add_nc_u32_e32 v3, 1, v1
	v_cmp_le_u32_e64 s3, s16, v2
	v_cndmask_b32_e64 v1, v1, v3, s3
	v_xor_b32_e32 v1, s23, v1
	v_subrev_nc_u32_e32 v1, s23, v1
	v_add_nc_u32_e32 v2, s25, v1
	v_cmp_ge_i32_e64 s4, s5, v1
	v_sub_nc_u32_e32 v3, 0, v2
	v_max_i32_e32 v3, v2, v3
	v_ashrrev_i32_e32 v2, 31, v2
	v_mul_hi_u32 v4, v3, v38
	v_mul_lo_u32 v4, v4, s38
	v_sub_nc_u32_e32 v3, v3, v4
	v_subrev_nc_u32_e32 v4, s38, v3
	v_cmp_le_u32_e64 s3, s38, v3
	v_cndmask_b32_e64 v3, v3, v4, s3
	v_subrev_nc_u32_e32 v4, s38, v3
	v_cmp_le_u32_e64 s3, s38, v3
	v_cndmask_b32_e64 v3, v3, v4, s3
	v_xor_b32_e32 v3, v3, v2
	v_sub_nc_u32_e32 v2, v3, v2
	v_cmp_ne_u32_e64 s3, 0, v2
	s_and_b32 s3, s3, s4
	s_and_saveexec_b32 s4, s3
	s_xor_b32 s3, exec_lo, s4
	s_cbranch_execz .LBB310_16
; %bb.13:                               ;   in Loop: Header=BB310_12 Depth=1
	s_and_saveexec_b32 s4, vcc_lo
; %bb.14:                               ;   in Loop: Header=BB310_12 Depth=1
	ds_write_b32 v37, v33
; %bb.15:                               ;   in Loop: Header=BB310_12 Depth=1
	s_or_b32 exec_lo, exec_lo, s4
.LBB310_16:                             ;   in Loop: Header=BB310_12 Depth=1
	s_andn2_saveexec_b32 s4, s3
	s_cbranch_execz .LBB310_11
; %bb.17:                               ;   in Loop: Header=BB310_12 Depth=1
	global_load_dword v1, v[19:20], off
	v_mov_b32_e32 v41, 0
	v_mov_b32_e32 v40, 0
	s_waitcnt vmcnt(0)
	v_mad_i64_i32 v[23:24], null, v1, s40, v[21:22]
	global_load_ushort v17, v[23:24], off
	ds_read_b128 v[13:16], v31
	ds_read_b128 v[9:12], v31 offset:16
	ds_read_b128 v[5:8], v31 offset:32
	;; [unrolled: 1-line block ×3, first 2 shown]
	s_load_dword s41, s[12:13], 0x0
	s_waitcnt vmcnt(0)
	v_and_b32_e32 v42, 0xffff, v17
	v_cmp_ne_u16_sdwa s3, v17, v18 src0_sel:BYTE_0 src1_sel:DWORD
	s_and_saveexec_b32 s42, s3
	s_cbranch_execz .LBB310_25
; %bb.18:                               ;   in Loop: Header=BB310_12 Depth=1
	v_cmp_ne_u16_sdwa s3, v42, v34 src0_sel:BYTE_0 src1_sel:DWORD
	v_bfrev_b32_e32 v40, 1
	s_and_saveexec_b32 s43, s3
	s_cbranch_execz .LBB310_24
; %bb.19:                               ;   in Loop: Header=BB310_12 Depth=1
	v_and_b32_e32 v43, 0x7f, v42
	v_mov_b32_e32 v40, 0x7f800001
	s_mov_b32 s44, exec_lo
	v_cmpx_ne_u32_e32 0x7f, v43
	s_cbranch_execz .LBB310_23
; %bb.20:                               ;   in Loop: Header=BB310_12 Depth=1
	v_and_b32_e32 v17, 7, v42
	v_lshrrev_b32_e32 v40, 3, v43
	s_mov_b32 s45, exec_lo
	v_cmpx_gt_u32_e32 8, v43
; %bb.21:                               ;   in Loop: Header=BB310_12 Depth=1
	v_ffbh_u32_e32 v40, v17
	v_min_u32_e32 v40, 32, v40
	v_subrev_nc_u32_e32 v43, 28, v40
	v_sub_nc_u32_e32 v40, 29, v40
	v_lshlrev_b64 v[43:44], v43, v[17:18]
	v_and_b32_e32 v17, 7, v43
; %bb.22:                               ;   in Loop: Header=BB310_12 Depth=1
	s_or_b32 exec_lo, exec_lo, s45
	v_lshlrev_b32_e32 v43, 24, v42
	v_lshlrev_b32_e32 v17, 20, v17
	v_lshl_add_u32 v40, v40, 23, 0x3c000000
	v_and_b32_e32 v43, 0x80000000, v43
	v_or3_b32 v40, v17, v43, v40
.LBB310_23:                             ;   in Loop: Header=BB310_12 Depth=1
	s_or_b32 exec_lo, exec_lo, s44
.LBB310_24:                             ;   in Loop: Header=BB310_12 Depth=1
	s_or_b32 exec_lo, exec_lo, s43
.LBB310_25:                             ;   in Loop: Header=BB310_12 Depth=1
	s_or_b32 exec_lo, exec_lo, s42
	v_cmp_ne_u16_sdwa s3, v42, v18 src0_sel:BYTE_1 src1_sel:DWORD
	s_and_saveexec_b32 s42, s3
	s_cbranch_execz .LBB310_33
; %bb.26:                               ;   in Loop: Header=BB310_12 Depth=1
	v_cmp_ne_u16_sdwa s3, v42, v34 src0_sel:BYTE_1 src1_sel:DWORD
	v_bfrev_b32_e32 v41, 1
	s_and_saveexec_b32 s43, s3
	s_cbranch_execz .LBB310_32
; %bb.27:                               ;   in Loop: Header=BB310_12 Depth=1
	v_and_b32_sdwa v17, v35, v42 dst_sel:DWORD dst_unused:UNUSED_PAD src0_sel:DWORD src1_sel:BYTE_1
	v_mov_b32_e32 v41, 0x7f800001
	s_mov_b32 s44, exec_lo
	v_and_b32_e32 v43, 0x7f, v17
	v_cmpx_ne_u32_e32 0x7f, v43
	s_cbranch_execz .LBB310_31
; %bb.28:                               ;   in Loop: Header=BB310_12 Depth=1
	v_and_b32_e32 v17, 7, v17
	v_lshrrev_b32_e32 v41, 3, v43
	s_mov_b32 s45, exec_lo
	v_cmpx_gt_u32_e32 8, v43
; %bb.29:                               ;   in Loop: Header=BB310_12 Depth=1
	v_ffbh_u32_e32 v41, v17
	v_min_u32_e32 v41, 32, v41
	v_subrev_nc_u32_e32 v43, 28, v41
	v_sub_nc_u32_e32 v41, 29, v41
	v_lshlrev_b64 v[43:44], v43, v[17:18]
	v_and_b32_e32 v17, 7, v43
; %bb.30:                               ;   in Loop: Header=BB310_12 Depth=1
	s_or_b32 exec_lo, exec_lo, s45
	v_lshlrev_b32_e32 v42, 16, v42
	v_lshlrev_b32_e32 v17, 20, v17
	v_lshl_add_u32 v41, v41, 23, 0x3c000000
	v_and_b32_e32 v42, 0x80000000, v42
	v_or3_b32 v41, v17, v42, v41
.LBB310_31:                             ;   in Loop: Header=BB310_12 Depth=1
	s_or_b32 exec_lo, exec_lo, s44
.LBB310_32:                             ;   in Loop: Header=BB310_12 Depth=1
	s_or_b32 exec_lo, exec_lo, s43
.LBB310_33:                             ;   in Loop: Header=BB310_12 Depth=1
	s_or_b32 exec_lo, exec_lo, s42
	global_load_ushort v17, v[23:24], off offset:8
	v_mov_b32_e32 v43, 0
	v_mov_b32_e32 v42, 0
	s_waitcnt vmcnt(0)
	v_and_b32_e32 v44, 0xffff, v17
	v_cmp_ne_u16_sdwa s3, v17, v18 src0_sel:BYTE_0 src1_sel:DWORD
	s_and_saveexec_b32 s42, s3
	s_cbranch_execz .LBB310_41
; %bb.34:                               ;   in Loop: Header=BB310_12 Depth=1
	v_cmp_ne_u16_sdwa s3, v44, v34 src0_sel:BYTE_0 src1_sel:DWORD
	v_bfrev_b32_e32 v42, 1
	s_and_saveexec_b32 s43, s3
	s_cbranch_execz .LBB310_40
; %bb.35:                               ;   in Loop: Header=BB310_12 Depth=1
	v_and_b32_e32 v45, 0x7f, v44
	v_mov_b32_e32 v42, 0x7f800001
	s_mov_b32 s44, exec_lo
	v_cmpx_ne_u32_e32 0x7f, v45
	s_cbranch_execz .LBB310_39
; %bb.36:                               ;   in Loop: Header=BB310_12 Depth=1
	v_and_b32_e32 v17, 7, v44
	v_lshrrev_b32_e32 v42, 3, v45
	s_mov_b32 s45, exec_lo
	v_cmpx_gt_u32_e32 8, v45
; %bb.37:                               ;   in Loop: Header=BB310_12 Depth=1
	v_ffbh_u32_e32 v42, v17
	v_min_u32_e32 v42, 32, v42
	v_subrev_nc_u32_e32 v45, 28, v42
	v_sub_nc_u32_e32 v42, 29, v42
	v_lshlrev_b64 v[45:46], v45, v[17:18]
	v_and_b32_e32 v17, 7, v45
; %bb.38:                               ;   in Loop: Header=BB310_12 Depth=1
	s_or_b32 exec_lo, exec_lo, s45
	v_lshlrev_b32_e32 v45, 24, v44
	v_lshlrev_b32_e32 v17, 20, v17
	v_lshl_add_u32 v42, v42, 23, 0x3c000000
	v_and_b32_e32 v45, 0x80000000, v45
	v_or3_b32 v42, v17, v45, v42
.LBB310_39:                             ;   in Loop: Header=BB310_12 Depth=1
	s_or_b32 exec_lo, exec_lo, s44
.LBB310_40:                             ;   in Loop: Header=BB310_12 Depth=1
	s_or_b32 exec_lo, exec_lo, s43
.LBB310_41:                             ;   in Loop: Header=BB310_12 Depth=1
	s_or_b32 exec_lo, exec_lo, s42
	v_cmp_ne_u16_sdwa s3, v44, v18 src0_sel:BYTE_1 src1_sel:DWORD
	s_and_saveexec_b32 s42, s3
	s_cbranch_execz .LBB310_49
; %bb.42:                               ;   in Loop: Header=BB310_12 Depth=1
	v_cmp_ne_u16_sdwa s3, v44, v34 src0_sel:BYTE_1 src1_sel:DWORD
	v_bfrev_b32_e32 v43, 1
	s_and_saveexec_b32 s43, s3
	s_cbranch_execz .LBB310_48
; %bb.43:                               ;   in Loop: Header=BB310_12 Depth=1
	v_and_b32_sdwa v17, v35, v44 dst_sel:DWORD dst_unused:UNUSED_PAD src0_sel:DWORD src1_sel:BYTE_1
	v_mov_b32_e32 v43, 0x7f800001
	s_mov_b32 s44, exec_lo
	v_and_b32_e32 v45, 0x7f, v17
	v_cmpx_ne_u32_e32 0x7f, v45
	s_cbranch_execz .LBB310_47
; %bb.44:                               ;   in Loop: Header=BB310_12 Depth=1
	v_and_b32_e32 v17, 7, v17
	v_lshrrev_b32_e32 v43, 3, v45
	s_mov_b32 s45, exec_lo
	v_cmpx_gt_u32_e32 8, v45
; %bb.45:                               ;   in Loop: Header=BB310_12 Depth=1
	v_ffbh_u32_e32 v43, v17
	v_min_u32_e32 v43, 32, v43
	v_subrev_nc_u32_e32 v45, 28, v43
	v_sub_nc_u32_e32 v43, 29, v43
	v_lshlrev_b64 v[45:46], v45, v[17:18]
	v_and_b32_e32 v17, 7, v45
; %bb.46:                               ;   in Loop: Header=BB310_12 Depth=1
	s_or_b32 exec_lo, exec_lo, s45
	v_lshlrev_b32_e32 v44, 16, v44
	v_lshlrev_b32_e32 v17, 20, v17
	v_lshl_add_u32 v43, v43, 23, 0x3c000000
	v_and_b32_e32 v44, 0x80000000, v44
	v_or3_b32 v43, v17, v44, v43
.LBB310_47:                             ;   in Loop: Header=BB310_12 Depth=1
	s_or_b32 exec_lo, exec_lo, s44
.LBB310_48:                             ;   in Loop: Header=BB310_12 Depth=1
	s_or_b32 exec_lo, exec_lo, s43
.LBB310_49:                             ;   in Loop: Header=BB310_12 Depth=1
	s_or_b32 exec_lo, exec_lo, s42
	global_load_ushort v17, v[23:24], off offset:128
	v_mov_b32_e32 v45, 0
	v_mov_b32_e32 v44, 0
	s_waitcnt vmcnt(0)
	v_and_b32_e32 v46, 0xffff, v17
	v_cmp_ne_u16_sdwa s3, v17, v18 src0_sel:BYTE_0 src1_sel:DWORD
	s_and_saveexec_b32 s42, s3
	s_cbranch_execz .LBB310_57
; %bb.50:                               ;   in Loop: Header=BB310_12 Depth=1
	v_cmp_ne_u16_sdwa s3, v46, v34 src0_sel:BYTE_0 src1_sel:DWORD
	v_bfrev_b32_e32 v44, 1
	s_and_saveexec_b32 s43, s3
	s_cbranch_execz .LBB310_56
; %bb.51:                               ;   in Loop: Header=BB310_12 Depth=1
	v_and_b32_e32 v47, 0x7f, v46
	v_mov_b32_e32 v44, 0x7f800001
	s_mov_b32 s44, exec_lo
	v_cmpx_ne_u32_e32 0x7f, v47
	s_cbranch_execz .LBB310_55
; %bb.52:                               ;   in Loop: Header=BB310_12 Depth=1
	v_and_b32_e32 v17, 7, v46
	v_lshrrev_b32_e32 v44, 3, v47
	s_mov_b32 s45, exec_lo
	v_cmpx_gt_u32_e32 8, v47
; %bb.53:                               ;   in Loop: Header=BB310_12 Depth=1
	v_ffbh_u32_e32 v44, v17
	v_min_u32_e32 v44, 32, v44
	v_subrev_nc_u32_e32 v47, 28, v44
	v_sub_nc_u32_e32 v44, 29, v44
	v_lshlrev_b64 v[47:48], v47, v[17:18]
	v_and_b32_e32 v17, 7, v47
; %bb.54:                               ;   in Loop: Header=BB310_12 Depth=1
	s_or_b32 exec_lo, exec_lo, s45
	v_lshlrev_b32_e32 v47, 24, v46
	v_lshlrev_b32_e32 v17, 20, v17
	v_lshl_add_u32 v44, v44, 23, 0x3c000000
	v_and_b32_e32 v47, 0x80000000, v47
	v_or3_b32 v44, v17, v47, v44
.LBB310_55:                             ;   in Loop: Header=BB310_12 Depth=1
	s_or_b32 exec_lo, exec_lo, s44
.LBB310_56:                             ;   in Loop: Header=BB310_12 Depth=1
	s_or_b32 exec_lo, exec_lo, s43
.LBB310_57:                             ;   in Loop: Header=BB310_12 Depth=1
	s_or_b32 exec_lo, exec_lo, s42
	v_cmp_ne_u16_sdwa s3, v46, v18 src0_sel:BYTE_1 src1_sel:DWORD
	s_and_saveexec_b32 s42, s3
	s_cbranch_execz .LBB310_65
; %bb.58:                               ;   in Loop: Header=BB310_12 Depth=1
	v_cmp_ne_u16_sdwa s3, v46, v34 src0_sel:BYTE_1 src1_sel:DWORD
	v_bfrev_b32_e32 v45, 1
	s_and_saveexec_b32 s43, s3
	s_cbranch_execz .LBB310_64
; %bb.59:                               ;   in Loop: Header=BB310_12 Depth=1
	v_and_b32_sdwa v17, v35, v46 dst_sel:DWORD dst_unused:UNUSED_PAD src0_sel:DWORD src1_sel:BYTE_1
	v_mov_b32_e32 v45, 0x7f800001
	s_mov_b32 s44, exec_lo
	v_and_b32_e32 v47, 0x7f, v17
	v_cmpx_ne_u32_e32 0x7f, v47
	s_cbranch_execz .LBB310_63
; %bb.60:                               ;   in Loop: Header=BB310_12 Depth=1
	v_and_b32_e32 v17, 7, v17
	v_lshrrev_b32_e32 v45, 3, v47
	s_mov_b32 s45, exec_lo
	v_cmpx_gt_u32_e32 8, v47
; %bb.61:                               ;   in Loop: Header=BB310_12 Depth=1
	v_ffbh_u32_e32 v45, v17
	v_min_u32_e32 v45, 32, v45
	v_subrev_nc_u32_e32 v47, 28, v45
	v_sub_nc_u32_e32 v45, 29, v45
	v_lshlrev_b64 v[47:48], v47, v[17:18]
	v_and_b32_e32 v17, 7, v47
; %bb.62:                               ;   in Loop: Header=BB310_12 Depth=1
	s_or_b32 exec_lo, exec_lo, s45
	v_lshlrev_b32_e32 v46, 16, v46
	v_lshlrev_b32_e32 v17, 20, v17
	v_lshl_add_u32 v45, v45, 23, 0x3c000000
	v_and_b32_e32 v46, 0x80000000, v46
	v_or3_b32 v45, v17, v46, v45
.LBB310_63:                             ;   in Loop: Header=BB310_12 Depth=1
	s_or_b32 exec_lo, exec_lo, s44
.LBB310_64:                             ;   in Loop: Header=BB310_12 Depth=1
	s_or_b32 exec_lo, exec_lo, s43
.LBB310_65:                             ;   in Loop: Header=BB310_12 Depth=1
	s_or_b32 exec_lo, exec_lo, s42
	global_load_ushort v17, v[23:24], off offset:136
	v_mov_b32_e32 v47, 0
	v_mov_b32_e32 v46, 0
	s_waitcnt vmcnt(0)
	v_and_b32_e32 v48, 0xffff, v17
	v_cmp_ne_u16_sdwa s3, v17, v18 src0_sel:BYTE_0 src1_sel:DWORD
	s_and_saveexec_b32 s42, s3
	s_cbranch_execz .LBB310_73
; %bb.66:                               ;   in Loop: Header=BB310_12 Depth=1
	v_cmp_ne_u16_sdwa s3, v48, v34 src0_sel:BYTE_0 src1_sel:DWORD
	v_bfrev_b32_e32 v46, 1
	s_and_saveexec_b32 s43, s3
	s_cbranch_execz .LBB310_72
; %bb.67:                               ;   in Loop: Header=BB310_12 Depth=1
	v_and_b32_e32 v49, 0x7f, v48
	v_mov_b32_e32 v46, 0x7f800001
	s_mov_b32 s44, exec_lo
	v_cmpx_ne_u32_e32 0x7f, v49
	s_cbranch_execz .LBB310_71
; %bb.68:                               ;   in Loop: Header=BB310_12 Depth=1
	v_and_b32_e32 v17, 7, v48
	v_lshrrev_b32_e32 v46, 3, v49
	s_mov_b32 s45, exec_lo
	v_cmpx_gt_u32_e32 8, v49
; %bb.69:                               ;   in Loop: Header=BB310_12 Depth=1
	v_ffbh_u32_e32 v46, v17
	v_min_u32_e32 v46, 32, v46
	v_subrev_nc_u32_e32 v49, 28, v46
	v_sub_nc_u32_e32 v46, 29, v46
	v_lshlrev_b64 v[49:50], v49, v[17:18]
	v_and_b32_e32 v17, 7, v49
; %bb.70:                               ;   in Loop: Header=BB310_12 Depth=1
	s_or_b32 exec_lo, exec_lo, s45
	v_lshlrev_b32_e32 v49, 24, v48
	v_lshlrev_b32_e32 v17, 20, v17
	v_lshl_add_u32 v46, v46, 23, 0x3c000000
	v_and_b32_e32 v49, 0x80000000, v49
	v_or3_b32 v46, v17, v49, v46
.LBB310_71:                             ;   in Loop: Header=BB310_12 Depth=1
	s_or_b32 exec_lo, exec_lo, s44
.LBB310_72:                             ;   in Loop: Header=BB310_12 Depth=1
	s_or_b32 exec_lo, exec_lo, s43
.LBB310_73:                             ;   in Loop: Header=BB310_12 Depth=1
	s_or_b32 exec_lo, exec_lo, s42
	v_cmp_ne_u16_sdwa s3, v48, v18 src0_sel:BYTE_1 src1_sel:DWORD
	s_and_saveexec_b32 s42, s3
	s_cbranch_execz .LBB310_81
; %bb.74:                               ;   in Loop: Header=BB310_12 Depth=1
	v_cmp_ne_u16_sdwa s3, v48, v34 src0_sel:BYTE_1 src1_sel:DWORD
	v_bfrev_b32_e32 v47, 1
	s_and_saveexec_b32 s43, s3
	s_cbranch_execz .LBB310_80
; %bb.75:                               ;   in Loop: Header=BB310_12 Depth=1
	v_and_b32_sdwa v17, v35, v48 dst_sel:DWORD dst_unused:UNUSED_PAD src0_sel:DWORD src1_sel:BYTE_1
	v_mov_b32_e32 v47, 0x7f800001
	s_mov_b32 s44, exec_lo
	v_and_b32_e32 v49, 0x7f, v17
	v_cmpx_ne_u32_e32 0x7f, v49
	s_cbranch_execz .LBB310_79
; %bb.76:                               ;   in Loop: Header=BB310_12 Depth=1
	v_and_b32_e32 v17, 7, v17
	v_lshrrev_b32_e32 v47, 3, v49
	s_mov_b32 s45, exec_lo
	v_cmpx_gt_u32_e32 8, v49
; %bb.77:                               ;   in Loop: Header=BB310_12 Depth=1
	v_ffbh_u32_e32 v47, v17
	v_min_u32_e32 v47, 32, v47
	v_subrev_nc_u32_e32 v49, 28, v47
	v_sub_nc_u32_e32 v47, 29, v47
	v_lshlrev_b64 v[49:50], v49, v[17:18]
	v_and_b32_e32 v17, 7, v49
; %bb.78:                               ;   in Loop: Header=BB310_12 Depth=1
	s_or_b32 exec_lo, exec_lo, s45
	v_lshlrev_b32_e32 v48, 16, v48
	v_lshlrev_b32_e32 v17, 20, v17
	v_lshl_add_u32 v47, v47, 23, 0x3c000000
	v_and_b32_e32 v48, 0x80000000, v48
	v_or3_b32 v47, v17, v48, v47
.LBB310_79:                             ;   in Loop: Header=BB310_12 Depth=1
	s_or_b32 exec_lo, exec_lo, s44
.LBB310_80:                             ;   in Loop: Header=BB310_12 Depth=1
	s_or_b32 exec_lo, exec_lo, s43
.LBB310_81:                             ;   in Loop: Header=BB310_12 Depth=1
	s_or_b32 exec_lo, exec_lo, s42
	global_load_ushort v17, v[23:24], off offset:256
	v_mov_b32_e32 v49, 0
	v_mov_b32_e32 v48, 0
	s_waitcnt vmcnt(0)
	v_and_b32_e32 v50, 0xffff, v17
	v_cmp_ne_u16_sdwa s3, v17, v18 src0_sel:BYTE_0 src1_sel:DWORD
	s_and_saveexec_b32 s42, s3
	s_cbranch_execz .LBB310_89
; %bb.82:                               ;   in Loop: Header=BB310_12 Depth=1
	v_cmp_ne_u16_sdwa s3, v50, v34 src0_sel:BYTE_0 src1_sel:DWORD
	v_bfrev_b32_e32 v48, 1
	s_and_saveexec_b32 s43, s3
	s_cbranch_execz .LBB310_88
; %bb.83:                               ;   in Loop: Header=BB310_12 Depth=1
	v_and_b32_e32 v51, 0x7f, v50
	v_mov_b32_e32 v48, 0x7f800001
	s_mov_b32 s44, exec_lo
	v_cmpx_ne_u32_e32 0x7f, v51
	s_cbranch_execz .LBB310_87
; %bb.84:                               ;   in Loop: Header=BB310_12 Depth=1
	v_and_b32_e32 v17, 7, v50
	v_lshrrev_b32_e32 v48, 3, v51
	s_mov_b32 s45, exec_lo
	v_cmpx_gt_u32_e32 8, v51
; %bb.85:                               ;   in Loop: Header=BB310_12 Depth=1
	v_ffbh_u32_e32 v48, v17
	v_min_u32_e32 v48, 32, v48
	v_subrev_nc_u32_e32 v51, 28, v48
	v_sub_nc_u32_e32 v48, 29, v48
	v_lshlrev_b64 v[51:52], v51, v[17:18]
	v_and_b32_e32 v17, 7, v51
; %bb.86:                               ;   in Loop: Header=BB310_12 Depth=1
	s_or_b32 exec_lo, exec_lo, s45
	v_lshlrev_b32_e32 v51, 24, v50
	v_lshlrev_b32_e32 v17, 20, v17
	v_lshl_add_u32 v48, v48, 23, 0x3c000000
	v_and_b32_e32 v51, 0x80000000, v51
	v_or3_b32 v48, v17, v51, v48
.LBB310_87:                             ;   in Loop: Header=BB310_12 Depth=1
	s_or_b32 exec_lo, exec_lo, s44
.LBB310_88:                             ;   in Loop: Header=BB310_12 Depth=1
	s_or_b32 exec_lo, exec_lo, s43
.LBB310_89:                             ;   in Loop: Header=BB310_12 Depth=1
	s_or_b32 exec_lo, exec_lo, s42
	v_cmp_ne_u16_sdwa s3, v50, v18 src0_sel:BYTE_1 src1_sel:DWORD
	s_and_saveexec_b32 s42, s3
	s_cbranch_execz .LBB310_97
; %bb.90:                               ;   in Loop: Header=BB310_12 Depth=1
	v_cmp_ne_u16_sdwa s3, v50, v34 src0_sel:BYTE_1 src1_sel:DWORD
	v_bfrev_b32_e32 v49, 1
	s_and_saveexec_b32 s43, s3
	s_cbranch_execz .LBB310_96
; %bb.91:                               ;   in Loop: Header=BB310_12 Depth=1
	v_and_b32_sdwa v17, v35, v50 dst_sel:DWORD dst_unused:UNUSED_PAD src0_sel:DWORD src1_sel:BYTE_1
	v_mov_b32_e32 v49, 0x7f800001
	s_mov_b32 s44, exec_lo
	v_and_b32_e32 v51, 0x7f, v17
	v_cmpx_ne_u32_e32 0x7f, v51
	s_cbranch_execz .LBB310_95
; %bb.92:                               ;   in Loop: Header=BB310_12 Depth=1
	v_and_b32_e32 v17, 7, v17
	v_lshrrev_b32_e32 v49, 3, v51
	s_mov_b32 s45, exec_lo
	v_cmpx_gt_u32_e32 8, v51
; %bb.93:                               ;   in Loop: Header=BB310_12 Depth=1
	v_ffbh_u32_e32 v49, v17
	v_min_u32_e32 v49, 32, v49
	v_subrev_nc_u32_e32 v51, 28, v49
	v_sub_nc_u32_e32 v49, 29, v49
	v_lshlrev_b64 v[51:52], v51, v[17:18]
	v_and_b32_e32 v17, 7, v51
; %bb.94:                               ;   in Loop: Header=BB310_12 Depth=1
	s_or_b32 exec_lo, exec_lo, s45
	v_lshlrev_b32_e32 v50, 16, v50
	v_lshlrev_b32_e32 v17, 20, v17
	v_lshl_add_u32 v49, v49, 23, 0x3c000000
	v_and_b32_e32 v50, 0x80000000, v50
	v_or3_b32 v49, v17, v50, v49
.LBB310_95:                             ;   in Loop: Header=BB310_12 Depth=1
	s_or_b32 exec_lo, exec_lo, s44
.LBB310_96:                             ;   in Loop: Header=BB310_12 Depth=1
	s_or_b32 exec_lo, exec_lo, s43
.LBB310_97:                             ;   in Loop: Header=BB310_12 Depth=1
	s_or_b32 exec_lo, exec_lo, s42
	global_load_ushort v17, v[23:24], off offset:264
	v_mov_b32_e32 v51, 0
	v_mov_b32_e32 v50, 0
	s_waitcnt vmcnt(0)
	v_and_b32_e32 v52, 0xffff, v17
	v_cmp_ne_u16_sdwa s3, v17, v18 src0_sel:BYTE_0 src1_sel:DWORD
	s_and_saveexec_b32 s42, s3
	s_cbranch_execz .LBB310_105
; %bb.98:                               ;   in Loop: Header=BB310_12 Depth=1
	v_cmp_ne_u16_sdwa s3, v52, v34 src0_sel:BYTE_0 src1_sel:DWORD
	v_bfrev_b32_e32 v50, 1
	s_and_saveexec_b32 s43, s3
	s_cbranch_execz .LBB310_104
; %bb.99:                               ;   in Loop: Header=BB310_12 Depth=1
	v_and_b32_e32 v53, 0x7f, v52
	v_mov_b32_e32 v50, 0x7f800001
	s_mov_b32 s44, exec_lo
	v_cmpx_ne_u32_e32 0x7f, v53
	s_cbranch_execz .LBB310_103
; %bb.100:                              ;   in Loop: Header=BB310_12 Depth=1
	v_and_b32_e32 v17, 7, v52
	v_lshrrev_b32_e32 v50, 3, v53
	s_mov_b32 s45, exec_lo
	v_cmpx_gt_u32_e32 8, v53
; %bb.101:                              ;   in Loop: Header=BB310_12 Depth=1
	v_ffbh_u32_e32 v50, v17
	v_min_u32_e32 v50, 32, v50
	v_subrev_nc_u32_e32 v53, 28, v50
	v_sub_nc_u32_e32 v50, 29, v50
	v_lshlrev_b64 v[53:54], v53, v[17:18]
	v_and_b32_e32 v17, 7, v53
; %bb.102:                              ;   in Loop: Header=BB310_12 Depth=1
	s_or_b32 exec_lo, exec_lo, s45
	v_lshlrev_b32_e32 v53, 24, v52
	v_lshlrev_b32_e32 v17, 20, v17
	v_lshl_add_u32 v50, v50, 23, 0x3c000000
	v_and_b32_e32 v53, 0x80000000, v53
	v_or3_b32 v50, v17, v53, v50
.LBB310_103:                            ;   in Loop: Header=BB310_12 Depth=1
	s_or_b32 exec_lo, exec_lo, s44
.LBB310_104:                            ;   in Loop: Header=BB310_12 Depth=1
	s_or_b32 exec_lo, exec_lo, s43
.LBB310_105:                            ;   in Loop: Header=BB310_12 Depth=1
	s_or_b32 exec_lo, exec_lo, s42
	v_cmp_ne_u16_sdwa s3, v52, v18 src0_sel:BYTE_1 src1_sel:DWORD
	s_and_saveexec_b32 s42, s3
	s_cbranch_execz .LBB310_113
; %bb.106:                              ;   in Loop: Header=BB310_12 Depth=1
	v_cmp_ne_u16_sdwa s3, v52, v34 src0_sel:BYTE_1 src1_sel:DWORD
	v_bfrev_b32_e32 v51, 1
	s_and_saveexec_b32 s43, s3
	s_cbranch_execz .LBB310_112
; %bb.107:                              ;   in Loop: Header=BB310_12 Depth=1
	v_and_b32_sdwa v17, v35, v52 dst_sel:DWORD dst_unused:UNUSED_PAD src0_sel:DWORD src1_sel:BYTE_1
	v_mov_b32_e32 v51, 0x7f800001
	s_mov_b32 s44, exec_lo
	v_and_b32_e32 v53, 0x7f, v17
	v_cmpx_ne_u32_e32 0x7f, v53
	s_cbranch_execz .LBB310_111
; %bb.108:                              ;   in Loop: Header=BB310_12 Depth=1
	v_and_b32_e32 v17, 7, v17
	v_lshrrev_b32_e32 v51, 3, v53
	s_mov_b32 s45, exec_lo
	v_cmpx_gt_u32_e32 8, v53
; %bb.109:                              ;   in Loop: Header=BB310_12 Depth=1
	v_ffbh_u32_e32 v51, v17
	v_min_u32_e32 v51, 32, v51
	v_subrev_nc_u32_e32 v53, 28, v51
	v_sub_nc_u32_e32 v51, 29, v51
	v_lshlrev_b64 v[53:54], v53, v[17:18]
	v_and_b32_e32 v17, 7, v53
; %bb.110:                              ;   in Loop: Header=BB310_12 Depth=1
	s_or_b32 exec_lo, exec_lo, s45
	v_lshlrev_b32_e32 v52, 16, v52
	v_lshlrev_b32_e32 v17, 20, v17
	v_lshl_add_u32 v51, v51, 23, 0x3c000000
	v_and_b32_e32 v52, 0x80000000, v52
	v_or3_b32 v51, v17, v52, v51
.LBB310_111:                            ;   in Loop: Header=BB310_12 Depth=1
	s_or_b32 exec_lo, exec_lo, s44
.LBB310_112:                            ;   in Loop: Header=BB310_12 Depth=1
	s_or_b32 exec_lo, exec_lo, s43
.LBB310_113:                            ;   in Loop: Header=BB310_12 Depth=1
	s_or_b32 exec_lo, exec_lo, s42
	global_load_ushort v17, v[23:24], off offset:384
	v_mov_b32_e32 v53, 0
	v_mov_b32_e32 v52, 0
	s_waitcnt vmcnt(0)
	v_and_b32_e32 v54, 0xffff, v17
	v_cmp_ne_u16_sdwa s3, v17, v18 src0_sel:BYTE_0 src1_sel:DWORD
	s_and_saveexec_b32 s42, s3
	s_cbranch_execz .LBB310_121
; %bb.114:                              ;   in Loop: Header=BB310_12 Depth=1
	v_cmp_ne_u16_sdwa s3, v54, v34 src0_sel:BYTE_0 src1_sel:DWORD
	v_bfrev_b32_e32 v52, 1
	s_and_saveexec_b32 s43, s3
	s_cbranch_execz .LBB310_120
; %bb.115:                              ;   in Loop: Header=BB310_12 Depth=1
	v_and_b32_e32 v55, 0x7f, v54
	v_mov_b32_e32 v52, 0x7f800001
	s_mov_b32 s44, exec_lo
	v_cmpx_ne_u32_e32 0x7f, v55
	s_cbranch_execz .LBB310_119
; %bb.116:                              ;   in Loop: Header=BB310_12 Depth=1
	v_and_b32_e32 v17, 7, v54
	v_lshrrev_b32_e32 v52, 3, v55
	s_mov_b32 s45, exec_lo
	v_cmpx_gt_u32_e32 8, v55
; %bb.117:                              ;   in Loop: Header=BB310_12 Depth=1
	v_ffbh_u32_e32 v52, v17
	v_min_u32_e32 v52, 32, v52
	v_subrev_nc_u32_e32 v55, 28, v52
	v_sub_nc_u32_e32 v52, 29, v52
	v_lshlrev_b64 v[55:56], v55, v[17:18]
	v_and_b32_e32 v17, 7, v55
; %bb.118:                              ;   in Loop: Header=BB310_12 Depth=1
	s_or_b32 exec_lo, exec_lo, s45
	v_lshlrev_b32_e32 v55, 24, v54
	v_lshlrev_b32_e32 v17, 20, v17
	v_lshl_add_u32 v52, v52, 23, 0x3c000000
	v_and_b32_e32 v55, 0x80000000, v55
	v_or3_b32 v52, v17, v55, v52
.LBB310_119:                            ;   in Loop: Header=BB310_12 Depth=1
	s_or_b32 exec_lo, exec_lo, s44
.LBB310_120:                            ;   in Loop: Header=BB310_12 Depth=1
	s_or_b32 exec_lo, exec_lo, s43
.LBB310_121:                            ;   in Loop: Header=BB310_12 Depth=1
	s_or_b32 exec_lo, exec_lo, s42
	v_cmp_ne_u16_sdwa s3, v54, v18 src0_sel:BYTE_1 src1_sel:DWORD
	s_and_saveexec_b32 s42, s3
	s_cbranch_execz .LBB310_129
; %bb.122:                              ;   in Loop: Header=BB310_12 Depth=1
	v_cmp_ne_u16_sdwa s3, v54, v34 src0_sel:BYTE_1 src1_sel:DWORD
	v_bfrev_b32_e32 v53, 1
	s_and_saveexec_b32 s43, s3
	s_cbranch_execz .LBB310_128
; %bb.123:                              ;   in Loop: Header=BB310_12 Depth=1
	v_and_b32_sdwa v17, v35, v54 dst_sel:DWORD dst_unused:UNUSED_PAD src0_sel:DWORD src1_sel:BYTE_1
	v_mov_b32_e32 v53, 0x7f800001
	s_mov_b32 s44, exec_lo
	v_and_b32_e32 v55, 0x7f, v17
	v_cmpx_ne_u32_e32 0x7f, v55
	s_cbranch_execz .LBB310_127
; %bb.124:                              ;   in Loop: Header=BB310_12 Depth=1
	v_and_b32_e32 v17, 7, v17
	v_lshrrev_b32_e32 v53, 3, v55
	s_mov_b32 s45, exec_lo
	v_cmpx_gt_u32_e32 8, v55
; %bb.125:                              ;   in Loop: Header=BB310_12 Depth=1
	v_ffbh_u32_e32 v53, v17
	v_min_u32_e32 v53, 32, v53
	v_subrev_nc_u32_e32 v55, 28, v53
	v_sub_nc_u32_e32 v53, 29, v53
	v_lshlrev_b64 v[55:56], v55, v[17:18]
	v_and_b32_e32 v17, 7, v55
; %bb.126:                              ;   in Loop: Header=BB310_12 Depth=1
	s_or_b32 exec_lo, exec_lo, s45
	v_lshlrev_b32_e32 v54, 16, v54
	v_lshlrev_b32_e32 v17, 20, v17
	v_lshl_add_u32 v53, v53, 23, 0x3c000000
	v_and_b32_e32 v54, 0x80000000, v54
	v_or3_b32 v53, v17, v54, v53
.LBB310_127:                            ;   in Loop: Header=BB310_12 Depth=1
	s_or_b32 exec_lo, exec_lo, s44
.LBB310_128:                            ;   in Loop: Header=BB310_12 Depth=1
	s_or_b32 exec_lo, exec_lo, s43
.LBB310_129:                            ;   in Loop: Header=BB310_12 Depth=1
	s_or_b32 exec_lo, exec_lo, s42
	global_load_ushort v17, v[23:24], off offset:392
	v_mov_b32_e32 v55, 0
	v_mov_b32_e32 v54, 0
	s_waitcnt vmcnt(0)
	v_and_b32_e32 v56, 0xffff, v17
	v_cmp_ne_u16_sdwa s3, v17, v18 src0_sel:BYTE_0 src1_sel:DWORD
	s_and_saveexec_b32 s42, s3
	s_cbranch_execz .LBB310_137
; %bb.130:                              ;   in Loop: Header=BB310_12 Depth=1
	v_cmp_ne_u16_sdwa s3, v56, v34 src0_sel:BYTE_0 src1_sel:DWORD
	v_bfrev_b32_e32 v54, 1
	s_and_saveexec_b32 s43, s3
	s_cbranch_execz .LBB310_136
; %bb.131:                              ;   in Loop: Header=BB310_12 Depth=1
	v_and_b32_e32 v57, 0x7f, v56
	v_mov_b32_e32 v54, 0x7f800001
	s_mov_b32 s44, exec_lo
	v_cmpx_ne_u32_e32 0x7f, v57
	s_cbranch_execz .LBB310_135
; %bb.132:                              ;   in Loop: Header=BB310_12 Depth=1
	v_and_b32_e32 v17, 7, v56
	v_lshrrev_b32_e32 v54, 3, v57
	s_mov_b32 s45, exec_lo
	v_cmpx_gt_u32_e32 8, v57
; %bb.133:                              ;   in Loop: Header=BB310_12 Depth=1
	v_ffbh_u32_e32 v54, v17
	v_min_u32_e32 v54, 32, v54
	v_subrev_nc_u32_e32 v57, 28, v54
	v_sub_nc_u32_e32 v54, 29, v54
	v_lshlrev_b64 v[57:58], v57, v[17:18]
	v_and_b32_e32 v17, 7, v57
; %bb.134:                              ;   in Loop: Header=BB310_12 Depth=1
	s_or_b32 exec_lo, exec_lo, s45
	v_lshlrev_b32_e32 v57, 24, v56
	v_lshlrev_b32_e32 v17, 20, v17
	v_lshl_add_u32 v54, v54, 23, 0x3c000000
	v_and_b32_e32 v57, 0x80000000, v57
	v_or3_b32 v54, v17, v57, v54
.LBB310_135:                            ;   in Loop: Header=BB310_12 Depth=1
	s_or_b32 exec_lo, exec_lo, s44
.LBB310_136:                            ;   in Loop: Header=BB310_12 Depth=1
	s_or_b32 exec_lo, exec_lo, s43
.LBB310_137:                            ;   in Loop: Header=BB310_12 Depth=1
	s_or_b32 exec_lo, exec_lo, s42
	v_cmp_ne_u16_sdwa s3, v56, v18 src0_sel:BYTE_1 src1_sel:DWORD
	s_and_saveexec_b32 s42, s3
	s_cbranch_execz .LBB310_145
; %bb.138:                              ;   in Loop: Header=BB310_12 Depth=1
	v_cmp_ne_u16_sdwa s3, v56, v34 src0_sel:BYTE_1 src1_sel:DWORD
	v_bfrev_b32_e32 v55, 1
	s_and_saveexec_b32 s43, s3
	s_cbranch_execz .LBB310_144
; %bb.139:                              ;   in Loop: Header=BB310_12 Depth=1
	v_and_b32_sdwa v17, v35, v56 dst_sel:DWORD dst_unused:UNUSED_PAD src0_sel:DWORD src1_sel:BYTE_1
	v_mov_b32_e32 v55, 0x7f800001
	s_mov_b32 s44, exec_lo
	v_and_b32_e32 v57, 0x7f, v17
	v_cmpx_ne_u32_e32 0x7f, v57
	s_cbranch_execz .LBB310_143
; %bb.140:                              ;   in Loop: Header=BB310_12 Depth=1
	v_and_b32_e32 v17, 7, v17
	v_lshrrev_b32_e32 v55, 3, v57
	s_mov_b32 s45, exec_lo
	v_cmpx_gt_u32_e32 8, v57
; %bb.141:                              ;   in Loop: Header=BB310_12 Depth=1
	v_ffbh_u32_e32 v55, v17
	v_min_u32_e32 v55, 32, v55
	v_subrev_nc_u32_e32 v57, 28, v55
	v_sub_nc_u32_e32 v55, 29, v55
	v_lshlrev_b64 v[57:58], v57, v[17:18]
	v_and_b32_e32 v17, 7, v57
; %bb.142:                              ;   in Loop: Header=BB310_12 Depth=1
	s_or_b32 exec_lo, exec_lo, s45
	v_lshlrev_b32_e32 v56, 16, v56
	v_lshlrev_b32_e32 v17, 20, v17
	v_lshl_add_u32 v55, v55, 23, 0x3c000000
	v_and_b32_e32 v56, 0x80000000, v56
	v_or3_b32 v55, v17, v56, v55
.LBB310_143:                            ;   in Loop: Header=BB310_12 Depth=1
	s_or_b32 exec_lo, exec_lo, s44
.LBB310_144:                            ;   in Loop: Header=BB310_12 Depth=1
	s_or_b32 exec_lo, exec_lo, s43
.LBB310_145:                            ;   in Loop: Header=BB310_12 Depth=1
	s_or_b32 exec_lo, exec_lo, s42
	global_load_ushort v17, v[23:24], off offset:512
	v_mov_b32_e32 v57, 0
	v_mov_b32_e32 v56, 0
	s_waitcnt vmcnt(0)
	v_and_b32_e32 v58, 0xffff, v17
	v_cmp_ne_u16_sdwa s3, v17, v18 src0_sel:BYTE_0 src1_sel:DWORD
	s_and_saveexec_b32 s42, s3
	s_cbranch_execz .LBB310_153
; %bb.146:                              ;   in Loop: Header=BB310_12 Depth=1
	v_cmp_ne_u16_sdwa s3, v58, v34 src0_sel:BYTE_0 src1_sel:DWORD
	v_bfrev_b32_e32 v56, 1
	s_and_saveexec_b32 s43, s3
	s_cbranch_execz .LBB310_152
; %bb.147:                              ;   in Loop: Header=BB310_12 Depth=1
	v_and_b32_e32 v59, 0x7f, v58
	v_mov_b32_e32 v56, 0x7f800001
	s_mov_b32 s44, exec_lo
	v_cmpx_ne_u32_e32 0x7f, v59
	s_cbranch_execz .LBB310_151
; %bb.148:                              ;   in Loop: Header=BB310_12 Depth=1
	v_and_b32_e32 v17, 7, v58
	v_lshrrev_b32_e32 v56, 3, v59
	s_mov_b32 s45, exec_lo
	v_cmpx_gt_u32_e32 8, v59
; %bb.149:                              ;   in Loop: Header=BB310_12 Depth=1
	v_ffbh_u32_e32 v56, v17
	v_min_u32_e32 v56, 32, v56
	v_subrev_nc_u32_e32 v59, 28, v56
	v_sub_nc_u32_e32 v56, 29, v56
	v_lshlrev_b64 v[59:60], v59, v[17:18]
	v_and_b32_e32 v17, 7, v59
; %bb.150:                              ;   in Loop: Header=BB310_12 Depth=1
	s_or_b32 exec_lo, exec_lo, s45
	v_lshlrev_b32_e32 v59, 24, v58
	v_lshlrev_b32_e32 v17, 20, v17
	v_lshl_add_u32 v56, v56, 23, 0x3c000000
	v_and_b32_e32 v59, 0x80000000, v59
	v_or3_b32 v56, v17, v59, v56
.LBB310_151:                            ;   in Loop: Header=BB310_12 Depth=1
	s_or_b32 exec_lo, exec_lo, s44
.LBB310_152:                            ;   in Loop: Header=BB310_12 Depth=1
	s_or_b32 exec_lo, exec_lo, s43
.LBB310_153:                            ;   in Loop: Header=BB310_12 Depth=1
	s_or_b32 exec_lo, exec_lo, s42
	v_cmp_ne_u16_sdwa s3, v58, v18 src0_sel:BYTE_1 src1_sel:DWORD
	s_and_saveexec_b32 s42, s3
	s_cbranch_execz .LBB310_161
; %bb.154:                              ;   in Loop: Header=BB310_12 Depth=1
	v_cmp_ne_u16_sdwa s3, v58, v34 src0_sel:BYTE_1 src1_sel:DWORD
	v_bfrev_b32_e32 v57, 1
	s_and_saveexec_b32 s43, s3
	s_cbranch_execz .LBB310_160
; %bb.155:                              ;   in Loop: Header=BB310_12 Depth=1
	v_and_b32_sdwa v17, v35, v58 dst_sel:DWORD dst_unused:UNUSED_PAD src0_sel:DWORD src1_sel:BYTE_1
	v_mov_b32_e32 v57, 0x7f800001
	s_mov_b32 s44, exec_lo
	v_and_b32_e32 v59, 0x7f, v17
	v_cmpx_ne_u32_e32 0x7f, v59
	s_cbranch_execz .LBB310_159
; %bb.156:                              ;   in Loop: Header=BB310_12 Depth=1
	v_and_b32_e32 v17, 7, v17
	v_lshrrev_b32_e32 v57, 3, v59
	s_mov_b32 s45, exec_lo
	v_cmpx_gt_u32_e32 8, v59
; %bb.157:                              ;   in Loop: Header=BB310_12 Depth=1
	v_ffbh_u32_e32 v57, v17
	v_min_u32_e32 v57, 32, v57
	v_subrev_nc_u32_e32 v59, 28, v57
	v_sub_nc_u32_e32 v57, 29, v57
	v_lshlrev_b64 v[59:60], v59, v[17:18]
	v_and_b32_e32 v17, 7, v59
; %bb.158:                              ;   in Loop: Header=BB310_12 Depth=1
	s_or_b32 exec_lo, exec_lo, s45
	v_lshlrev_b32_e32 v58, 16, v58
	v_lshlrev_b32_e32 v17, 20, v17
	v_lshl_add_u32 v57, v57, 23, 0x3c000000
	v_and_b32_e32 v58, 0x80000000, v58
	v_or3_b32 v57, v17, v58, v57
.LBB310_159:                            ;   in Loop: Header=BB310_12 Depth=1
	s_or_b32 exec_lo, exec_lo, s44
.LBB310_160:                            ;   in Loop: Header=BB310_12 Depth=1
	s_or_b32 exec_lo, exec_lo, s43
.LBB310_161:                            ;   in Loop: Header=BB310_12 Depth=1
	s_or_b32 exec_lo, exec_lo, s42
	global_load_ushort v17, v[23:24], off offset:520
	v_mov_b32_e32 v59, 0
	v_mov_b32_e32 v58, 0
	s_waitcnt vmcnt(0)
	v_and_b32_e32 v60, 0xffff, v17
	v_cmp_ne_u16_sdwa s3, v17, v18 src0_sel:BYTE_0 src1_sel:DWORD
	s_and_saveexec_b32 s42, s3
	s_cbranch_execz .LBB310_169
; %bb.162:                              ;   in Loop: Header=BB310_12 Depth=1
	v_cmp_ne_u16_sdwa s3, v60, v34 src0_sel:BYTE_0 src1_sel:DWORD
	v_bfrev_b32_e32 v58, 1
	s_and_saveexec_b32 s43, s3
	s_cbranch_execz .LBB310_168
; %bb.163:                              ;   in Loop: Header=BB310_12 Depth=1
	v_and_b32_e32 v61, 0x7f, v60
	v_mov_b32_e32 v58, 0x7f800001
	s_mov_b32 s44, exec_lo
	v_cmpx_ne_u32_e32 0x7f, v61
	s_cbranch_execz .LBB310_167
; %bb.164:                              ;   in Loop: Header=BB310_12 Depth=1
	v_and_b32_e32 v17, 7, v60
	v_lshrrev_b32_e32 v58, 3, v61
	s_mov_b32 s45, exec_lo
	v_cmpx_gt_u32_e32 8, v61
; %bb.165:                              ;   in Loop: Header=BB310_12 Depth=1
	v_ffbh_u32_e32 v58, v17
	v_min_u32_e32 v58, 32, v58
	v_subrev_nc_u32_e32 v61, 28, v58
	v_sub_nc_u32_e32 v58, 29, v58
	v_lshlrev_b64 v[61:62], v61, v[17:18]
	v_and_b32_e32 v17, 7, v61
; %bb.166:                              ;   in Loop: Header=BB310_12 Depth=1
	s_or_b32 exec_lo, exec_lo, s45
	v_lshlrev_b32_e32 v61, 24, v60
	v_lshlrev_b32_e32 v17, 20, v17
	v_lshl_add_u32 v58, v58, 23, 0x3c000000
	v_and_b32_e32 v61, 0x80000000, v61
	v_or3_b32 v58, v17, v61, v58
.LBB310_167:                            ;   in Loop: Header=BB310_12 Depth=1
	s_or_b32 exec_lo, exec_lo, s44
.LBB310_168:                            ;   in Loop: Header=BB310_12 Depth=1
	s_or_b32 exec_lo, exec_lo, s43
.LBB310_169:                            ;   in Loop: Header=BB310_12 Depth=1
	s_or_b32 exec_lo, exec_lo, s42
	v_cmp_ne_u16_sdwa s3, v60, v18 src0_sel:BYTE_1 src1_sel:DWORD
	s_and_saveexec_b32 s42, s3
	s_cbranch_execz .LBB310_177
; %bb.170:                              ;   in Loop: Header=BB310_12 Depth=1
	v_cmp_ne_u16_sdwa s3, v60, v34 src0_sel:BYTE_1 src1_sel:DWORD
	v_bfrev_b32_e32 v59, 1
	s_and_saveexec_b32 s43, s3
	s_cbranch_execz .LBB310_176
; %bb.171:                              ;   in Loop: Header=BB310_12 Depth=1
	v_and_b32_sdwa v17, v35, v60 dst_sel:DWORD dst_unused:UNUSED_PAD src0_sel:DWORD src1_sel:BYTE_1
	v_mov_b32_e32 v59, 0x7f800001
	s_mov_b32 s44, exec_lo
	v_and_b32_e32 v61, 0x7f, v17
	v_cmpx_ne_u32_e32 0x7f, v61
	s_cbranch_execz .LBB310_175
; %bb.172:                              ;   in Loop: Header=BB310_12 Depth=1
	v_and_b32_e32 v17, 7, v17
	v_lshrrev_b32_e32 v59, 3, v61
	s_mov_b32 s45, exec_lo
	v_cmpx_gt_u32_e32 8, v61
; %bb.173:                              ;   in Loop: Header=BB310_12 Depth=1
	v_ffbh_u32_e32 v59, v17
	v_min_u32_e32 v59, 32, v59
	v_subrev_nc_u32_e32 v61, 28, v59
	v_sub_nc_u32_e32 v59, 29, v59
	v_lshlrev_b64 v[61:62], v61, v[17:18]
	v_and_b32_e32 v17, 7, v61
; %bb.174:                              ;   in Loop: Header=BB310_12 Depth=1
	s_or_b32 exec_lo, exec_lo, s45
	v_lshlrev_b32_e32 v60, 16, v60
	v_lshlrev_b32_e32 v17, 20, v17
	v_lshl_add_u32 v59, v59, 23, 0x3c000000
	v_and_b32_e32 v60, 0x80000000, v60
	v_or3_b32 v59, v17, v60, v59
.LBB310_175:                            ;   in Loop: Header=BB310_12 Depth=1
	s_or_b32 exec_lo, exec_lo, s44
.LBB310_176:                            ;   in Loop: Header=BB310_12 Depth=1
	s_or_b32 exec_lo, exec_lo, s43
.LBB310_177:                            ;   in Loop: Header=BB310_12 Depth=1
	s_or_b32 exec_lo, exec_lo, s42
	global_load_ushort v17, v[23:24], off offset:640
	v_mov_b32_e32 v61, 0
	v_mov_b32_e32 v60, 0
	s_waitcnt vmcnt(0)
	v_and_b32_e32 v62, 0xffff, v17
	v_cmp_ne_u16_sdwa s3, v17, v18 src0_sel:BYTE_0 src1_sel:DWORD
	s_and_saveexec_b32 s42, s3
	s_cbranch_execz .LBB310_185
; %bb.178:                              ;   in Loop: Header=BB310_12 Depth=1
	v_cmp_ne_u16_sdwa s3, v62, v34 src0_sel:BYTE_0 src1_sel:DWORD
	v_bfrev_b32_e32 v60, 1
	s_and_saveexec_b32 s43, s3
	s_cbranch_execz .LBB310_184
; %bb.179:                              ;   in Loop: Header=BB310_12 Depth=1
	v_and_b32_e32 v63, 0x7f, v62
	v_mov_b32_e32 v60, 0x7f800001
	s_mov_b32 s44, exec_lo
	v_cmpx_ne_u32_e32 0x7f, v63
	s_cbranch_execz .LBB310_183
; %bb.180:                              ;   in Loop: Header=BB310_12 Depth=1
	v_and_b32_e32 v17, 7, v62
	v_lshrrev_b32_e32 v60, 3, v63
	s_mov_b32 s45, exec_lo
	v_cmpx_gt_u32_e32 8, v63
; %bb.181:                              ;   in Loop: Header=BB310_12 Depth=1
	v_ffbh_u32_e32 v60, v17
	v_min_u32_e32 v60, 32, v60
	v_subrev_nc_u32_e32 v63, 28, v60
	v_sub_nc_u32_e32 v60, 29, v60
	v_lshlrev_b64 v[63:64], v63, v[17:18]
	v_and_b32_e32 v17, 7, v63
; %bb.182:                              ;   in Loop: Header=BB310_12 Depth=1
	s_or_b32 exec_lo, exec_lo, s45
	v_lshlrev_b32_e32 v63, 24, v62
	v_lshlrev_b32_e32 v17, 20, v17
	v_lshl_add_u32 v60, v60, 23, 0x3c000000
	v_and_b32_e32 v63, 0x80000000, v63
	v_or3_b32 v60, v17, v63, v60
.LBB310_183:                            ;   in Loop: Header=BB310_12 Depth=1
	s_or_b32 exec_lo, exec_lo, s44
.LBB310_184:                            ;   in Loop: Header=BB310_12 Depth=1
	s_or_b32 exec_lo, exec_lo, s43
.LBB310_185:                            ;   in Loop: Header=BB310_12 Depth=1
	s_or_b32 exec_lo, exec_lo, s42
	v_cmp_ne_u16_sdwa s3, v62, v18 src0_sel:BYTE_1 src1_sel:DWORD
	s_and_saveexec_b32 s42, s3
	s_cbranch_execz .LBB310_193
; %bb.186:                              ;   in Loop: Header=BB310_12 Depth=1
	v_cmp_ne_u16_sdwa s3, v62, v34 src0_sel:BYTE_1 src1_sel:DWORD
	v_bfrev_b32_e32 v61, 1
	s_and_saveexec_b32 s43, s3
	s_cbranch_execz .LBB310_192
; %bb.187:                              ;   in Loop: Header=BB310_12 Depth=1
	v_and_b32_sdwa v17, v35, v62 dst_sel:DWORD dst_unused:UNUSED_PAD src0_sel:DWORD src1_sel:BYTE_1
	v_mov_b32_e32 v61, 0x7f800001
	s_mov_b32 s44, exec_lo
	v_and_b32_e32 v63, 0x7f, v17
	v_cmpx_ne_u32_e32 0x7f, v63
	s_cbranch_execz .LBB310_191
; %bb.188:                              ;   in Loop: Header=BB310_12 Depth=1
	v_and_b32_e32 v17, 7, v17
	v_lshrrev_b32_e32 v61, 3, v63
	s_mov_b32 s45, exec_lo
	v_cmpx_gt_u32_e32 8, v63
; %bb.189:                              ;   in Loop: Header=BB310_12 Depth=1
	v_ffbh_u32_e32 v61, v17
	v_min_u32_e32 v61, 32, v61
	v_subrev_nc_u32_e32 v63, 28, v61
	v_sub_nc_u32_e32 v61, 29, v61
	v_lshlrev_b64 v[63:64], v63, v[17:18]
	v_and_b32_e32 v17, 7, v63
; %bb.190:                              ;   in Loop: Header=BB310_12 Depth=1
	s_or_b32 exec_lo, exec_lo, s45
	v_lshlrev_b32_e32 v62, 16, v62
	v_lshlrev_b32_e32 v17, 20, v17
	v_lshl_add_u32 v61, v61, 23, 0x3c000000
	v_and_b32_e32 v62, 0x80000000, v62
	v_or3_b32 v61, v17, v62, v61
.LBB310_191:                            ;   in Loop: Header=BB310_12 Depth=1
	s_or_b32 exec_lo, exec_lo, s44
.LBB310_192:                            ;   in Loop: Header=BB310_12 Depth=1
	s_or_b32 exec_lo, exec_lo, s43
.LBB310_193:                            ;   in Loop: Header=BB310_12 Depth=1
	s_or_b32 exec_lo, exec_lo, s42
	global_load_ushort v17, v[23:24], off offset:648
	v_mov_b32_e32 v63, 0
	v_mov_b32_e32 v62, 0
	s_waitcnt vmcnt(0)
	v_and_b32_e32 v64, 0xffff, v17
	v_cmp_ne_u16_sdwa s3, v17, v18 src0_sel:BYTE_0 src1_sel:DWORD
	s_and_saveexec_b32 s42, s3
	s_cbranch_execz .LBB310_201
; %bb.194:                              ;   in Loop: Header=BB310_12 Depth=1
	v_cmp_ne_u16_sdwa s3, v64, v34 src0_sel:BYTE_0 src1_sel:DWORD
	v_bfrev_b32_e32 v62, 1
	s_and_saveexec_b32 s43, s3
	s_cbranch_execz .LBB310_200
; %bb.195:                              ;   in Loop: Header=BB310_12 Depth=1
	v_and_b32_e32 v65, 0x7f, v64
	v_mov_b32_e32 v62, 0x7f800001
	s_mov_b32 s44, exec_lo
	v_cmpx_ne_u32_e32 0x7f, v65
	s_cbranch_execz .LBB310_199
; %bb.196:                              ;   in Loop: Header=BB310_12 Depth=1
	v_and_b32_e32 v17, 7, v64
	v_lshrrev_b32_e32 v62, 3, v65
	s_mov_b32 s45, exec_lo
	v_cmpx_gt_u32_e32 8, v65
; %bb.197:                              ;   in Loop: Header=BB310_12 Depth=1
	v_ffbh_u32_e32 v62, v17
	v_min_u32_e32 v62, 32, v62
	v_subrev_nc_u32_e32 v65, 28, v62
	v_sub_nc_u32_e32 v62, 29, v62
	v_lshlrev_b64 v[65:66], v65, v[17:18]
	v_and_b32_e32 v17, 7, v65
; %bb.198:                              ;   in Loop: Header=BB310_12 Depth=1
	s_or_b32 exec_lo, exec_lo, s45
	v_lshlrev_b32_e32 v65, 24, v64
	v_lshlrev_b32_e32 v17, 20, v17
	v_lshl_add_u32 v62, v62, 23, 0x3c000000
	v_and_b32_e32 v65, 0x80000000, v65
	v_or3_b32 v62, v17, v65, v62
.LBB310_199:                            ;   in Loop: Header=BB310_12 Depth=1
	s_or_b32 exec_lo, exec_lo, s44
.LBB310_200:                            ;   in Loop: Header=BB310_12 Depth=1
	s_or_b32 exec_lo, exec_lo, s43
.LBB310_201:                            ;   in Loop: Header=BB310_12 Depth=1
	s_or_b32 exec_lo, exec_lo, s42
	v_cmp_ne_u16_sdwa s3, v64, v18 src0_sel:BYTE_1 src1_sel:DWORD
	s_and_saveexec_b32 s42, s3
	s_cbranch_execz .LBB310_209
; %bb.202:                              ;   in Loop: Header=BB310_12 Depth=1
	v_cmp_ne_u16_sdwa s3, v64, v34 src0_sel:BYTE_1 src1_sel:DWORD
	v_bfrev_b32_e32 v63, 1
	s_and_saveexec_b32 s43, s3
	s_cbranch_execz .LBB310_208
; %bb.203:                              ;   in Loop: Header=BB310_12 Depth=1
	v_and_b32_sdwa v17, v35, v64 dst_sel:DWORD dst_unused:UNUSED_PAD src0_sel:DWORD src1_sel:BYTE_1
	v_mov_b32_e32 v63, 0x7f800001
	s_mov_b32 s44, exec_lo
	v_and_b32_e32 v65, 0x7f, v17
	v_cmpx_ne_u32_e32 0x7f, v65
	s_cbranch_execz .LBB310_207
; %bb.204:                              ;   in Loop: Header=BB310_12 Depth=1
	v_and_b32_e32 v17, 7, v17
	v_lshrrev_b32_e32 v63, 3, v65
	s_mov_b32 s45, exec_lo
	v_cmpx_gt_u32_e32 8, v65
; %bb.205:                              ;   in Loop: Header=BB310_12 Depth=1
	v_ffbh_u32_e32 v63, v17
	v_min_u32_e32 v63, 32, v63
	v_subrev_nc_u32_e32 v65, 28, v63
	v_sub_nc_u32_e32 v63, 29, v63
	v_lshlrev_b64 v[65:66], v65, v[17:18]
	v_and_b32_e32 v17, 7, v65
; %bb.206:                              ;   in Loop: Header=BB310_12 Depth=1
	s_or_b32 exec_lo, exec_lo, s45
	v_lshlrev_b32_e32 v64, 16, v64
	v_lshlrev_b32_e32 v17, 20, v17
	v_lshl_add_u32 v63, v63, 23, 0x3c000000
	v_and_b32_e32 v64, 0x80000000, v64
	v_or3_b32 v63, v17, v64, v63
.LBB310_207:                            ;   in Loop: Header=BB310_12 Depth=1
	s_or_b32 exec_lo, exec_lo, s44
.LBB310_208:                            ;   in Loop: Header=BB310_12 Depth=1
	s_or_b32 exec_lo, exec_lo, s43
.LBB310_209:                            ;   in Loop: Header=BB310_12 Depth=1
	s_or_b32 exec_lo, exec_lo, s42
	global_load_ushort v17, v[23:24], off offset:768
	v_mov_b32_e32 v65, 0
	v_mov_b32_e32 v64, 0
	s_waitcnt vmcnt(0)
	v_and_b32_e32 v66, 0xffff, v17
	v_cmp_ne_u16_sdwa s3, v17, v18 src0_sel:BYTE_0 src1_sel:DWORD
	s_and_saveexec_b32 s42, s3
	s_cbranch_execz .LBB310_217
; %bb.210:                              ;   in Loop: Header=BB310_12 Depth=1
	v_cmp_ne_u16_sdwa s3, v66, v34 src0_sel:BYTE_0 src1_sel:DWORD
	v_bfrev_b32_e32 v64, 1
	s_and_saveexec_b32 s43, s3
	s_cbranch_execz .LBB310_216
; %bb.211:                              ;   in Loop: Header=BB310_12 Depth=1
	v_and_b32_e32 v67, 0x7f, v66
	v_mov_b32_e32 v64, 0x7f800001
	s_mov_b32 s44, exec_lo
	v_cmpx_ne_u32_e32 0x7f, v67
	s_cbranch_execz .LBB310_215
; %bb.212:                              ;   in Loop: Header=BB310_12 Depth=1
	v_and_b32_e32 v17, 7, v66
	v_lshrrev_b32_e32 v64, 3, v67
	s_mov_b32 s45, exec_lo
	v_cmpx_gt_u32_e32 8, v67
; %bb.213:                              ;   in Loop: Header=BB310_12 Depth=1
	v_ffbh_u32_e32 v64, v17
	v_min_u32_e32 v64, 32, v64
	v_subrev_nc_u32_e32 v67, 28, v64
	v_sub_nc_u32_e32 v64, 29, v64
	v_lshlrev_b64 v[67:68], v67, v[17:18]
	v_and_b32_e32 v17, 7, v67
; %bb.214:                              ;   in Loop: Header=BB310_12 Depth=1
	s_or_b32 exec_lo, exec_lo, s45
	v_lshlrev_b32_e32 v67, 24, v66
	v_lshlrev_b32_e32 v17, 20, v17
	v_lshl_add_u32 v64, v64, 23, 0x3c000000
	v_and_b32_e32 v67, 0x80000000, v67
	v_or3_b32 v64, v17, v67, v64
.LBB310_215:                            ;   in Loop: Header=BB310_12 Depth=1
	s_or_b32 exec_lo, exec_lo, s44
.LBB310_216:                            ;   in Loop: Header=BB310_12 Depth=1
	s_or_b32 exec_lo, exec_lo, s43
.LBB310_217:                            ;   in Loop: Header=BB310_12 Depth=1
	s_or_b32 exec_lo, exec_lo, s42
	v_cmp_ne_u16_sdwa s3, v66, v18 src0_sel:BYTE_1 src1_sel:DWORD
	s_and_saveexec_b32 s42, s3
	s_cbranch_execz .LBB310_225
; %bb.218:                              ;   in Loop: Header=BB310_12 Depth=1
	v_cmp_ne_u16_sdwa s3, v66, v34 src0_sel:BYTE_1 src1_sel:DWORD
	v_bfrev_b32_e32 v65, 1
	s_and_saveexec_b32 s43, s3
	s_cbranch_execz .LBB310_224
; %bb.219:                              ;   in Loop: Header=BB310_12 Depth=1
	v_and_b32_sdwa v17, v35, v66 dst_sel:DWORD dst_unused:UNUSED_PAD src0_sel:DWORD src1_sel:BYTE_1
	v_mov_b32_e32 v65, 0x7f800001
	s_mov_b32 s44, exec_lo
	v_and_b32_e32 v67, 0x7f, v17
	v_cmpx_ne_u32_e32 0x7f, v67
	s_cbranch_execz .LBB310_223
; %bb.220:                              ;   in Loop: Header=BB310_12 Depth=1
	v_and_b32_e32 v17, 7, v17
	v_lshrrev_b32_e32 v65, 3, v67
	s_mov_b32 s45, exec_lo
	v_cmpx_gt_u32_e32 8, v67
; %bb.221:                              ;   in Loop: Header=BB310_12 Depth=1
	v_ffbh_u32_e32 v65, v17
	v_min_u32_e32 v65, 32, v65
	v_subrev_nc_u32_e32 v67, 28, v65
	v_sub_nc_u32_e32 v65, 29, v65
	v_lshlrev_b64 v[67:68], v67, v[17:18]
	v_and_b32_e32 v17, 7, v67
; %bb.222:                              ;   in Loop: Header=BB310_12 Depth=1
	s_or_b32 exec_lo, exec_lo, s45
	v_lshlrev_b32_e32 v66, 16, v66
	v_lshlrev_b32_e32 v17, 20, v17
	v_lshl_add_u32 v65, v65, 23, 0x3c000000
	v_and_b32_e32 v66, 0x80000000, v66
	v_or3_b32 v65, v17, v66, v65
.LBB310_223:                            ;   in Loop: Header=BB310_12 Depth=1
	s_or_b32 exec_lo, exec_lo, s44
.LBB310_224:                            ;   in Loop: Header=BB310_12 Depth=1
	s_or_b32 exec_lo, exec_lo, s43
.LBB310_225:                            ;   in Loop: Header=BB310_12 Depth=1
	s_or_b32 exec_lo, exec_lo, s42
	global_load_ushort v17, v[23:24], off offset:776
	v_mov_b32_e32 v67, 0
	v_mov_b32_e32 v66, 0
	s_waitcnt vmcnt(0)
	v_and_b32_e32 v68, 0xffff, v17
	v_cmp_ne_u16_sdwa s3, v17, v18 src0_sel:BYTE_0 src1_sel:DWORD
	s_and_saveexec_b32 s42, s3
	s_cbranch_execz .LBB310_233
; %bb.226:                              ;   in Loop: Header=BB310_12 Depth=1
	v_cmp_ne_u16_sdwa s3, v68, v34 src0_sel:BYTE_0 src1_sel:DWORD
	v_bfrev_b32_e32 v66, 1
	s_and_saveexec_b32 s43, s3
	s_cbranch_execz .LBB310_232
; %bb.227:                              ;   in Loop: Header=BB310_12 Depth=1
	v_and_b32_e32 v69, 0x7f, v68
	v_mov_b32_e32 v66, 0x7f800001
	s_mov_b32 s44, exec_lo
	v_cmpx_ne_u32_e32 0x7f, v69
	s_cbranch_execz .LBB310_231
; %bb.228:                              ;   in Loop: Header=BB310_12 Depth=1
	v_and_b32_e32 v17, 7, v68
	v_lshrrev_b32_e32 v66, 3, v69
	s_mov_b32 s45, exec_lo
	v_cmpx_gt_u32_e32 8, v69
; %bb.229:                              ;   in Loop: Header=BB310_12 Depth=1
	v_ffbh_u32_e32 v66, v17
	v_min_u32_e32 v66, 32, v66
	v_subrev_nc_u32_e32 v69, 28, v66
	v_sub_nc_u32_e32 v66, 29, v66
	v_lshlrev_b64 v[69:70], v69, v[17:18]
	v_and_b32_e32 v17, 7, v69
; %bb.230:                              ;   in Loop: Header=BB310_12 Depth=1
	s_or_b32 exec_lo, exec_lo, s45
	v_lshlrev_b32_e32 v69, 24, v68
	v_lshlrev_b32_e32 v17, 20, v17
	v_lshl_add_u32 v66, v66, 23, 0x3c000000
	v_and_b32_e32 v69, 0x80000000, v69
	v_or3_b32 v66, v17, v69, v66
.LBB310_231:                            ;   in Loop: Header=BB310_12 Depth=1
	s_or_b32 exec_lo, exec_lo, s44
.LBB310_232:                            ;   in Loop: Header=BB310_12 Depth=1
	s_or_b32 exec_lo, exec_lo, s43
.LBB310_233:                            ;   in Loop: Header=BB310_12 Depth=1
	s_or_b32 exec_lo, exec_lo, s42
	v_cmp_ne_u16_sdwa s3, v68, v18 src0_sel:BYTE_1 src1_sel:DWORD
	s_and_saveexec_b32 s42, s3
	s_cbranch_execz .LBB310_241
; %bb.234:                              ;   in Loop: Header=BB310_12 Depth=1
	v_cmp_ne_u16_sdwa s3, v68, v34 src0_sel:BYTE_1 src1_sel:DWORD
	v_bfrev_b32_e32 v67, 1
	s_and_saveexec_b32 s43, s3
	s_cbranch_execz .LBB310_240
; %bb.235:                              ;   in Loop: Header=BB310_12 Depth=1
	v_and_b32_sdwa v17, v35, v68 dst_sel:DWORD dst_unused:UNUSED_PAD src0_sel:DWORD src1_sel:BYTE_1
	v_mov_b32_e32 v67, 0x7f800001
	s_mov_b32 s44, exec_lo
	v_and_b32_e32 v69, 0x7f, v17
	v_cmpx_ne_u32_e32 0x7f, v69
	s_cbranch_execz .LBB310_239
; %bb.236:                              ;   in Loop: Header=BB310_12 Depth=1
	v_and_b32_e32 v17, 7, v17
	v_lshrrev_b32_e32 v67, 3, v69
	s_mov_b32 s45, exec_lo
	v_cmpx_gt_u32_e32 8, v69
; %bb.237:                              ;   in Loop: Header=BB310_12 Depth=1
	v_ffbh_u32_e32 v67, v17
	v_min_u32_e32 v67, 32, v67
	v_subrev_nc_u32_e32 v69, 28, v67
	v_sub_nc_u32_e32 v67, 29, v67
	v_lshlrev_b64 v[69:70], v69, v[17:18]
	v_and_b32_e32 v17, 7, v69
; %bb.238:                              ;   in Loop: Header=BB310_12 Depth=1
	s_or_b32 exec_lo, exec_lo, s45
	v_lshlrev_b32_e32 v68, 16, v68
	v_lshlrev_b32_e32 v17, 20, v17
	v_lshl_add_u32 v67, v67, 23, 0x3c000000
	v_and_b32_e32 v68, 0x80000000, v68
	v_or3_b32 v67, v17, v68, v67
.LBB310_239:                            ;   in Loop: Header=BB310_12 Depth=1
	s_or_b32 exec_lo, exec_lo, s44
.LBB310_240:                            ;   in Loop: Header=BB310_12 Depth=1
	s_or_b32 exec_lo, exec_lo, s43
.LBB310_241:                            ;   in Loop: Header=BB310_12 Depth=1
	s_or_b32 exec_lo, exec_lo, s42
	global_load_ushort v17, v[23:24], off offset:896
	v_mov_b32_e32 v69, 0
	v_mov_b32_e32 v68, 0
	s_waitcnt vmcnt(0)
	v_and_b32_e32 v70, 0xffff, v17
	v_cmp_ne_u16_sdwa s3, v17, v18 src0_sel:BYTE_0 src1_sel:DWORD
	s_and_saveexec_b32 s42, s3
	s_cbranch_execz .LBB310_249
; %bb.242:                              ;   in Loop: Header=BB310_12 Depth=1
	v_cmp_ne_u16_sdwa s3, v70, v34 src0_sel:BYTE_0 src1_sel:DWORD
	v_bfrev_b32_e32 v68, 1
	s_and_saveexec_b32 s43, s3
	s_cbranch_execz .LBB310_248
; %bb.243:                              ;   in Loop: Header=BB310_12 Depth=1
	v_and_b32_e32 v71, 0x7f, v70
	v_mov_b32_e32 v68, 0x7f800001
	s_mov_b32 s44, exec_lo
	v_cmpx_ne_u32_e32 0x7f, v71
	s_cbranch_execz .LBB310_247
; %bb.244:                              ;   in Loop: Header=BB310_12 Depth=1
	v_and_b32_e32 v17, 7, v70
	v_lshrrev_b32_e32 v68, 3, v71
	s_mov_b32 s45, exec_lo
	v_cmpx_gt_u32_e32 8, v71
; %bb.245:                              ;   in Loop: Header=BB310_12 Depth=1
	v_ffbh_u32_e32 v68, v17
	v_min_u32_e32 v68, 32, v68
	v_subrev_nc_u32_e32 v71, 28, v68
	v_sub_nc_u32_e32 v68, 29, v68
	v_lshlrev_b64 v[71:72], v71, v[17:18]
	v_and_b32_e32 v17, 7, v71
; %bb.246:                              ;   in Loop: Header=BB310_12 Depth=1
	s_or_b32 exec_lo, exec_lo, s45
	v_lshlrev_b32_e32 v71, 24, v70
	v_lshlrev_b32_e32 v17, 20, v17
	v_lshl_add_u32 v68, v68, 23, 0x3c000000
	v_and_b32_e32 v71, 0x80000000, v71
	v_or3_b32 v68, v17, v71, v68
.LBB310_247:                            ;   in Loop: Header=BB310_12 Depth=1
	s_or_b32 exec_lo, exec_lo, s44
.LBB310_248:                            ;   in Loop: Header=BB310_12 Depth=1
	s_or_b32 exec_lo, exec_lo, s43
.LBB310_249:                            ;   in Loop: Header=BB310_12 Depth=1
	s_or_b32 exec_lo, exec_lo, s42
	v_cmp_ne_u16_sdwa s3, v70, v18 src0_sel:BYTE_1 src1_sel:DWORD
	s_and_saveexec_b32 s42, s3
	s_cbranch_execz .LBB310_257
; %bb.250:                              ;   in Loop: Header=BB310_12 Depth=1
	v_cmp_ne_u16_sdwa s3, v70, v34 src0_sel:BYTE_1 src1_sel:DWORD
	v_bfrev_b32_e32 v69, 1
	s_and_saveexec_b32 s43, s3
	s_cbranch_execz .LBB310_256
; %bb.251:                              ;   in Loop: Header=BB310_12 Depth=1
	v_and_b32_sdwa v17, v35, v70 dst_sel:DWORD dst_unused:UNUSED_PAD src0_sel:DWORD src1_sel:BYTE_1
	v_mov_b32_e32 v69, 0x7f800001
	s_mov_b32 s44, exec_lo
	v_and_b32_e32 v71, 0x7f, v17
	v_cmpx_ne_u32_e32 0x7f, v71
	s_cbranch_execz .LBB310_255
; %bb.252:                              ;   in Loop: Header=BB310_12 Depth=1
	v_and_b32_e32 v17, 7, v17
	v_lshrrev_b32_e32 v69, 3, v71
	s_mov_b32 s45, exec_lo
	v_cmpx_gt_u32_e32 8, v71
; %bb.253:                              ;   in Loop: Header=BB310_12 Depth=1
	v_ffbh_u32_e32 v69, v17
	v_min_u32_e32 v69, 32, v69
	v_subrev_nc_u32_e32 v71, 28, v69
	v_sub_nc_u32_e32 v69, 29, v69
	v_lshlrev_b64 v[71:72], v71, v[17:18]
	v_and_b32_e32 v17, 7, v71
; %bb.254:                              ;   in Loop: Header=BB310_12 Depth=1
	s_or_b32 exec_lo, exec_lo, s45
	v_lshlrev_b32_e32 v70, 16, v70
	v_lshlrev_b32_e32 v17, 20, v17
	v_lshl_add_u32 v69, v69, 23, 0x3c000000
	v_and_b32_e32 v70, 0x80000000, v70
	v_or3_b32 v69, v17, v70, v69
.LBB310_255:                            ;   in Loop: Header=BB310_12 Depth=1
	s_or_b32 exec_lo, exec_lo, s44
.LBB310_256:                            ;   in Loop: Header=BB310_12 Depth=1
	s_or_b32 exec_lo, exec_lo, s43
.LBB310_257:                            ;   in Loop: Header=BB310_12 Depth=1
	s_or_b32 exec_lo, exec_lo, s42
	global_load_ushort v17, v[23:24], off offset:904
	v_mov_b32_e32 v23, 0
	v_mov_b32_e32 v70, 0
	s_waitcnt vmcnt(0)
	v_and_b32_e32 v24, 0xffff, v17
	v_cmp_ne_u16_sdwa s3, v17, v18 src0_sel:BYTE_0 src1_sel:DWORD
	s_and_saveexec_b32 s42, s3
	s_cbranch_execz .LBB310_265
; %bb.258:                              ;   in Loop: Header=BB310_12 Depth=1
	v_cmp_ne_u16_sdwa s3, v24, v34 src0_sel:BYTE_0 src1_sel:DWORD
	v_bfrev_b32_e32 v70, 1
	s_and_saveexec_b32 s43, s3
	s_cbranch_execz .LBB310_264
; %bb.259:                              ;   in Loop: Header=BB310_12 Depth=1
	v_and_b32_e32 v71, 0x7f, v24
	v_mov_b32_e32 v70, 0x7f800001
	s_mov_b32 s44, exec_lo
	v_cmpx_ne_u32_e32 0x7f, v71
	s_cbranch_execz .LBB310_263
; %bb.260:                              ;   in Loop: Header=BB310_12 Depth=1
	v_and_b32_e32 v17, 7, v24
	v_lshrrev_b32_e32 v70, 3, v71
	s_mov_b32 s45, exec_lo
	v_cmpx_gt_u32_e32 8, v71
; %bb.261:                              ;   in Loop: Header=BB310_12 Depth=1
	v_ffbh_u32_e32 v70, v17
	v_min_u32_e32 v70, 32, v70
	v_subrev_nc_u32_e32 v71, 28, v70
	v_sub_nc_u32_e32 v70, 29, v70
	v_lshlrev_b64 v[71:72], v71, v[17:18]
	v_and_b32_e32 v17, 7, v71
; %bb.262:                              ;   in Loop: Header=BB310_12 Depth=1
	s_or_b32 exec_lo, exec_lo, s45
	v_lshlrev_b32_e32 v71, 24, v24
	v_lshlrev_b32_e32 v17, 20, v17
	v_lshl_add_u32 v70, v70, 23, 0x3c000000
	v_and_b32_e32 v71, 0x80000000, v71
	v_or3_b32 v70, v17, v71, v70
.LBB310_263:                            ;   in Loop: Header=BB310_12 Depth=1
	s_or_b32 exec_lo, exec_lo, s44
.LBB310_264:                            ;   in Loop: Header=BB310_12 Depth=1
	s_or_b32 exec_lo, exec_lo, s43
.LBB310_265:                            ;   in Loop: Header=BB310_12 Depth=1
	s_or_b32 exec_lo, exec_lo, s42
	v_cmp_ne_u16_sdwa s3, v24, v18 src0_sel:BYTE_1 src1_sel:DWORD
	s_and_saveexec_b32 s42, s3
	s_cbranch_execz .LBB310_273
; %bb.266:                              ;   in Loop: Header=BB310_12 Depth=1
	v_cmp_ne_u16_sdwa s3, v24, v34 src0_sel:BYTE_1 src1_sel:DWORD
	v_bfrev_b32_e32 v23, 1
	s_and_saveexec_b32 s43, s3
	s_cbranch_execz .LBB310_272
; %bb.267:                              ;   in Loop: Header=BB310_12 Depth=1
	v_and_b32_sdwa v17, v35, v24 dst_sel:DWORD dst_unused:UNUSED_PAD src0_sel:DWORD src1_sel:BYTE_1
	v_mov_b32_e32 v23, 0x7f800001
	s_mov_b32 s44, exec_lo
	v_and_b32_e32 v71, 0x7f, v17
	v_cmpx_ne_u32_e32 0x7f, v71
	s_cbranch_execz .LBB310_271
; %bb.268:                              ;   in Loop: Header=BB310_12 Depth=1
	v_and_b32_e32 v17, 7, v17
	v_lshrrev_b32_e32 v23, 3, v71
	s_mov_b32 s45, exec_lo
	v_cmpx_gt_u32_e32 8, v71
; %bb.269:                              ;   in Loop: Header=BB310_12 Depth=1
	v_ffbh_u32_e32 v23, v17
	v_min_u32_e32 v23, 32, v23
	v_subrev_nc_u32_e32 v71, 28, v23
	v_sub_nc_u32_e32 v23, 29, v23
	v_lshlrev_b64 v[71:72], v71, v[17:18]
	v_and_b32_e32 v17, 7, v71
; %bb.270:                              ;   in Loop: Header=BB310_12 Depth=1
	s_or_b32 exec_lo, exec_lo, s45
	v_lshlrev_b32_e32 v24, 16, v24
	v_lshlrev_b32_e32 v17, 20, v17
	v_lshl_add_u32 v23, v23, 23, 0x3c000000
	v_and_b32_e32 v24, 0x80000000, v24
	v_or3_b32 v23, v17, v24, v23
.LBB310_271:                            ;   in Loop: Header=BB310_12 Depth=1
	s_or_b32 exec_lo, exec_lo, s44
.LBB310_272:                            ;   in Loop: Header=BB310_12 Depth=1
	s_or_b32 exec_lo, exec_lo, s43
.LBB310_273:                            ;   in Loop: Header=BB310_12 Depth=1
	s_or_b32 exec_lo, exec_lo, s42
	s_waitcnt lgkmcnt(0)
	v_mul_f32_e32 v17, s41, v70
	v_mul_f32_e32 v24, s41, v69
	v_mul_f32_e32 v68, s41, v68
	v_mul_f32_e32 v67, s41, v67
	v_mul_f32_e32 v56, s41, v56
	v_bfe_u32 v69, v17, 16, 1
	v_bfe_u32 v70, v24, 16, 1
	v_or_b32_e32 v71, 0x400000, v17
	v_cmp_u_f32_e64 s3, v17, v17
	v_or_b32_e32 v72, 0x400000, v24
	v_add3_u32 v69, v69, v17, 0x7fff
	v_bfe_u32 v73, v68, 16, 1
	v_add3_u32 v70, v70, v24, 0x7fff
	v_bfe_u32 v74, v67, 16, 1
	v_mul_f32_e32 v54, s41, v54
	v_cndmask_b32_e64 v17, v69, v71, s3
	v_cmp_u_f32_e64 s3, v24, v24
	v_add3_u32 v69, v73, v68, 0x7fff
	v_add3_u32 v71, v74, v67, 0x7fff
	v_or_b32_e32 v73, 0x400000, v67
	v_mul_f32_e32 v53, s41, v53
	v_cndmask_b32_e64 v24, v70, v72, s3
	v_mul_f32_e32 v70, s41, v66
	v_or_b32_e32 v66, 0x400000, v68
	v_cmp_u_f32_e64 s3, v68, v68
	v_mul_f32_e32 v72, s41, v65
	v_mul_f32_e32 v52, s41, v52
	v_bfe_u32 v74, v70, 16, 1
	v_mul_f32_e32 v51, s41, v51
	v_cndmask_b32_e64 v65, v69, v66, s3
	v_cmp_u_f32_e64 s3, v67, v67
	v_bfe_u32 v68, v72, 16, 1
	v_add3_u32 v67, v74, v70, 0x7fff
	v_mul_f32_e32 v69, s41, v64
	v_or_b32_e32 v64, 0x400000, v70
	v_cndmask_b32_e64 v66, v71, v73, s3
	v_cmp_u_f32_e64 s3, v70, v70
	v_add3_u32 v68, v68, v72, 0x7fff
	v_mul_f32_e32 v71, s41, v63
	v_or_b32_e32 v73, 0x400000, v72
	v_bfe_u32 v74, v69, 16, 1
	v_cndmask_b32_e64 v63, v67, v64, s3
	v_cmp_u_f32_e64 s3, v72, v72
	v_bfe_u32 v67, v71, 16, 1
	v_mul_f32_e32 v70, s41, v62
	v_or_b32_e32 v62, 0x400000, v69
	v_mul_f32_e32 v72, s41, v61
	v_cndmask_b32_e64 v64, v68, v73, s3
	v_add3_u32 v68, v74, v69, 0x7fff
	v_cmp_u_f32_e64 s3, v69, v69
	v_add3_u32 v67, v67, v71, 0x7fff
	v_or_b32_e32 v73, 0x400000, v71
	v_bfe_u32 v74, v70, 16, 1
	v_mul_f32_e32 v69, s41, v60
	v_cndmask_b32_e64 v61, v68, v62, s3
	v_cmp_u_f32_e64 s3, v71, v71
	v_bfe_u32 v68, v72, 16, 1
	v_or_b32_e32 v60, 0x400000, v70
	v_mul_f32_e32 v71, s41, v59
	v_bfe_u32 v76, v51, 16, 1
	v_cndmask_b32_e64 v62, v67, v73, s3
	v_add3_u32 v67, v74, v70, 0x7fff
	v_cmp_u_f32_e64 s3, v70, v70
	v_add3_u32 v68, v68, v72, 0x7fff
	v_or_b32_e32 v73, 0x400000, v72
	v_bfe_u32 v74, v69, 16, 1
	v_mul_f32_e32 v70, s41, v58
	v_cndmask_b32_e64 v59, v67, v60, s3
	v_cmp_u_f32_e64 s3, v72, v72
	v_bfe_u32 v67, v71, 16, 1
	v_or_b32_e32 v58, 0x400000, v69
	v_mul_f32_e32 v72, s41, v57
	v_mul_f32_e32 v50, s41, v50
	v_cndmask_b32_e64 v60, v68, v73, s3
	v_add3_u32 v68, v74, v69, 0x7fff
	v_cmp_u_f32_e64 s3, v69, v69
	v_add3_u32 v67, v67, v71, 0x7fff
	v_or_b32_e32 v73, 0x400000, v71
	v_bfe_u32 v74, v70, 16, 1
	v_or_b32_e32 v69, 0x400000, v70
	v_cndmask_b32_e64 v57, v68, v58, s3
	v_cmp_u_f32_e64 s3, v71, v71
	v_bfe_u32 v68, v72, 16, 1
	v_mul_f32_e32 v71, s41, v55
	v_mul_f32_e32 v49, s41, v49
	v_bfe_u32 v77, v50, 16, 1
	v_cndmask_b32_e64 v58, v67, v73, s3
	v_add3_u32 v67, v74, v70, 0x7fff
	v_cmp_u_f32_e64 s3, v70, v70
	v_add3_u32 v68, v68, v72, 0x7fff
	v_or_b32_e32 v73, 0x400000, v72
	v_bfe_u32 v74, v56, 16, 1
	v_or_b32_e32 v70, 0x400000, v71
	v_cndmask_b32_e64 v55, v67, v69, s3
	v_bfe_u32 v69, v71, 16, 1
	v_cmp_u_f32_e64 s3, v72, v72
	v_bfe_u32 v78, v49, 16, 1
	v_mul_f32_e32 v48, s41, v48
	v_mul_f32_e32 v47, s41, v47
	v_add3_u32 v69, v69, v71, 0x7fff
	v_cndmask_b32_e64 v67, v68, v73, s3
	v_add3_u32 v68, v74, v56, 0x7fff
	v_bfe_u32 v73, v54, 16, 1
	v_bfe_u32 v74, v53, 16, 1
	v_cmp_u_f32_e64 s3, v71, v71
	v_bfe_u32 v80, v47, 16, 1
	v_mul_f32_e32 v46, s41, v46
	v_mul_f32_e32 v45, s41, v45
	v_add3_u32 v71, v74, v53, 0x7fff
	v_cndmask_b32_e64 v69, v69, v70, s3
	v_add3_u32 v70, v73, v54, 0x7fff
	v_or_b32_e32 v73, 0x400000, v53
	v_bfe_u32 v74, v52, 16, 1
	v_cmp_u_f32_e64 s3, v53, v53
	v_bfe_u32 v81, v46, 16, 1
	v_bfe_u32 v82, v45, 16, 1
	v_mul_f32_e32 v43, s41, v43
	v_mul_f32_e32 v42, s41, v42
	v_cndmask_b32_e64 v53, v71, v73, s3
	v_add3_u32 v71, v74, v52, 0x7fff
	v_add3_u32 v73, v76, v51, 0x7fff
	v_or_b32_e32 v74, 0x400000, v51
	v_cmp_u_f32_e64 s3, v51, v51
	v_mul_f32_e32 v41, s41, v41
	v_or_b32_e32 v84, 0x400000, v43
	v_bfe_u32 v85, v42, 16, 1
	v_mul_f32_e32 v40, s41, v40
	v_cndmask_b32_e64 v51, v73, v74, s3
	v_add3_u32 v73, v77, v50, 0x7fff
	v_add3_u32 v74, v78, v49, 0x7fff
	v_or_b32_e32 v77, 0x400000, v49
	v_bfe_u32 v78, v48, 16, 1
	v_cmp_u_f32_e64 s3, v49, v49
	v_bfe_u32 v86, v41, 16, 1
	v_mul_f32_e32 v44, s41, v44
	v_or_b32_e32 v87, 0x400000, v41
	v_or_b32_e32 v88, 0x400000, v40
	v_cndmask_b32_e64 v49, v74, v77, s3
	v_add3_u32 v74, v78, v48, 0x7fff
	v_add3_u32 v77, v80, v47, 0x7fff
	v_or_b32_e32 v78, 0x400000, v47
	v_cmp_u_f32_e64 s3, v47, v47
	v_add3_u32 v86, v86, v41, 0x7fff
	v_or_b32_e32 v83, 0x400000, v46
	v_or_b32_e32 v80, 0x400000, v48
	v_or_b32_e32 v79, 0x400000, v50
	v_cndmask_b32_e64 v47, v77, v78, s3
	v_add3_u32 v77, v81, v46, 0x7fff
	v_add3_u32 v78, v82, v45, 0x7fff
	v_or_b32_e32 v81, 0x400000, v45
	v_cmp_u_f32_e64 s3, v45, v45
	v_bfe_u32 v82, v44, 16, 1
	v_or_b32_e32 v76, 0x400000, v52
	v_or_b32_e32 v75, 0x400000, v54
	;; [unrolled: 1-line block ×3, first 2 shown]
	v_cndmask_b32_e64 v45, v78, v81, s3
	v_bfe_u32 v78, v43, 16, 1
	v_cmp_u_f32_e64 s3, v43, v43
	v_add3_u32 v81, v82, v44, 0x7fff
	v_or_b32_e32 v82, 0x400000, v44
	v_add3_u32 v78, v78, v43, 0x7fff
	v_cndmask_b32_e64 v43, v78, v84, s3
	v_add3_u32 v84, v85, v42, 0x7fff
	v_or_b32_e32 v85, 0x400000, v42
	v_cmp_u_f32_e64 s3, v42, v42
	v_bfe_u32 v78, v40, 16, 1
	v_and_b32_e32 v43, 0xffff0000, v43
	v_cndmask_b32_e64 v42, v84, v85, s3
	v_cmp_u_f32_e64 s3, v41, v41
	v_add3_u32 v78, v78, v40, 0x7fff
	v_lshlrev_b32_e32 v84, 16, v14
	v_and_b32_e32 v14, 0xffff0000, v14
	v_and_b32_e32 v42, 0xffff0000, v42
	v_cndmask_b32_e64 v41, v86, v87, s3
	v_cmp_u_f32_e64 s3, v40, v40
	v_mul_f32_e32 v14, v14, v43
	v_mul_f32_e32 v42, v84, v42
	v_and_b32_e32 v41, 0xffff0000, v41
	v_cndmask_b32_e64 v40, v78, v88, s3
	v_cmp_u_f32_e64 s3, v44, v44
	v_lshlrev_b32_e32 v78, 16, v13
	v_and_b32_e32 v13, 0xffff0000, v13
	v_lshlrev_b32_e32 v44, 16, v15
	v_and_b32_e32 v40, 0xffff0000, v40
	v_cndmask_b32_e64 v43, v81, v82, s3
	v_cmp_u_f32_e64 s3, v46, v46
	v_and_b32_e32 v15, 0xffff0000, v15
	v_fmac_f32_e32 v14, v13, v41
	v_fmac_f32_e32 v42, v78, v40
	v_and_b32_e32 v13, 0xffff0000, v43
	v_and_b32_e32 v40, 0xffff0000, v45
	v_cndmask_b32_e64 v41, v77, v83, s3
	v_cmp_u_f32_e64 s3, v48, v48
	v_lshlrev_b32_e32 v43, 16, v16
	v_and_b32_e32 v16, 0xffff0000, v16
	v_fmac_f32_e32 v42, v44, v13
	v_fmac_f32_e32 v14, v15, v40
	v_and_b32_e32 v13, 0xffff0000, v41
	v_and_b32_e32 v15, 0xffff0000, v47
	v_cndmask_b32_e64 v40, v74, v80, s3
	v_cmp_u_f32_e64 s3, v50, v50
	v_lshlrev_b32_e32 v41, 16, v9
	;; [unrolled: 8-line block ×5, first 2 shown]
	v_and_b32_e32 v12, 0xffff0000, v12
	v_fmac_f32_e32 v42, v16, v9
	v_fmac_f32_e32 v14, v11, v10
	v_and_b32_e32 v9, 0xffff0000, v13
	v_and_b32_e32 v10, 0xffff0000, v69
	v_cndmask_b32_e64 v11, v68, v72, s3
	v_lshlrev_b32_e32 v13, 16, v5
	v_and_b32_e32 v5, 0xffff0000, v5
	v_fmac_f32_e32 v42, v15, v9
	v_fmac_f32_e32 v14, v12, v10
	v_and_b32_e32 v9, 0xffff0000, v11
	v_and_b32_e32 v10, 0xffff0000, v67
	v_lshlrev_b32_e32 v11, 16, v6
	v_and_b32_e32 v6, 0xffff0000, v6
	v_lshlrev_b32_e32 v12, 16, v7
	v_fmac_f32_e32 v42, v13, v9
	v_fmac_f32_e32 v14, v5, v10
	v_and_b32_e32 v5, 0xffff0000, v55
	v_and_b32_e32 v9, 0xffff0000, v58
	;; [unrolled: 1-line block ×3, first 2 shown]
	v_lshlrev_b32_e32 v10, 16, v8
	v_and_b32_e32 v8, 0xffff0000, v8
	v_fmac_f32_e32 v42, v11, v5
	v_fmac_f32_e32 v14, v6, v9
	v_and_b32_e32 v5, 0xffff0000, v57
	v_and_b32_e32 v6, 0xffff0000, v60
	v_lshlrev_b32_e32 v13, 16, v1
	v_and_b32_e32 v1, 0xffff0000, v1
	v_lshlrev_b32_e32 v9, 16, v2
	v_fmac_f32_e32 v42, v12, v5
	v_fmac_f32_e32 v14, v7, v6
	v_and_b32_e32 v5, 0xffff0000, v59
	v_and_b32_e32 v6, 0xffff0000, v62
	v_mul_f32_e32 v12, s41, v23
	v_and_b32_e32 v2, 0xffff0000, v2
	v_lshlrev_b32_e32 v11, 16, v3
	v_fmac_f32_e32 v42, v10, v5
	v_fmac_f32_e32 v14, v8, v6
	v_and_b32_e32 v5, 0xffff0000, v61
	v_and_b32_e32 v6, 0xffff0000, v64
	v_bfe_u32 v10, v12, 16, 1
	v_cmp_u_f32_e64 s3, v12, v12
	v_xor_b32_e32 v8, 2, v27
	v_fmac_f32_e32 v42, v13, v5
	v_fmac_f32_e32 v14, v1, v6
	v_and_b32_e32 v1, 0xffff0000, v63
	v_and_b32_e32 v5, 0xffff0000, v66
	v_add3_u32 v6, v10, v12, 0x7fff
	v_or_b32_e32 v10, 0x400000, v12
	v_and_b32_e32 v3, 0xffff0000, v3
	v_fmac_f32_e32 v42, v9, v1
	v_fmac_f32_e32 v14, v2, v5
	v_and_b32_e32 v1, 0xffff0000, v65
	v_and_b32_e32 v2, 0xffff0000, v24
	v_cndmask_b32_e64 v5, v6, v10, s3
	v_lshlrev_b32_e32 v7, 16, v4
	v_and_b32_e32 v4, 0xffff0000, v4
	v_fmac_f32_e32 v42, v11, v1
	v_fmac_f32_e32 v14, v3, v2
	v_and_b32_e32 v1, 0xffff0000, v17
	v_and_b32_e32 v2, 0xffff0000, v5
	v_cmp_gt_i32_e64 s3, 32, v8
	v_fmac_f32_e32 v42, v7, v1
	v_fmac_f32_e32 v14, v4, v2
	v_cndmask_b32_e64 v3, v27, v8, s3
	v_add_f32_e32 v2, v42, v14
	v_lshlrev_b32_e32 v1, 2, v3
	v_xor_b32_e32 v3, 1, v27
	ds_bpermute_b32 v1, v1, v2
	v_cmp_gt_i32_e64 s3, 32, v3
	v_cndmask_b32_e64 v3, v27, v3, s3
	v_lshlrev_b32_e32 v3, 2, v3
	s_waitcnt lgkmcnt(0)
	v_add_f32_e32 v1, v2, v1
	ds_bpermute_b32 v2, v3, v1
	s_and_saveexec_b32 s41, vcc_lo
	s_cbranch_execz .LBB310_10
; %bb.274:                              ;   in Loop: Header=BB310_12 Depth=1
	v_add_nc_u32_e32 v3, v36, v32
	s_waitcnt lgkmcnt(0)
	v_add_f32_e32 v1, v1, v2
	v_cvt_f32_i32_e32 v3, v3
	v_mul_f32_e32 v3, s36, v3
	v_cndmask_b32_e64 v2, 0, v3, s2
	v_max_f32_e32 v3, v30, v30
	v_fmac_f32_e32 v2, s35, v1
	v_add_nc_u32_e32 v1, v29, v32
	v_max_f32_e32 v3, v3, v2
	v_cmp_gt_i32_e64 s3, s33, v1
	v_cndmask_b32_e64 v1, 0, v2, s3
	v_cndmask_b32_e64 v30, v30, v3, s3
	ds_write_b32 v37, v1
	s_branch .LBB310_10
.LBB310_275:
	s_or_b32 exec_lo, exec_lo, s39
.LBB310_276:
	s_or_b32 exec_lo, exec_lo, s37
	v_xor_b32_e32 v1, 16, v27
	v_xor_b32_e32 v3, 8, v27
	v_max_f32_e32 v4, v30, v30
	v_xor_b32_e32 v5, 4, v27
	v_and_b32_e32 v21, 31, v0
	v_cmp_gt_i32_e32 vcc_lo, 32, v1
	v_cndmask_b32_e32 v1, v27, v1, vcc_lo
	v_cmp_gt_i32_e32 vcc_lo, 32, v3
	s_waitcnt lgkmcnt(0)
	v_lshlrev_b32_e32 v2, 2, v1
	v_cndmask_b32_e32 v3, v27, v3, vcc_lo
	v_cmp_gt_i32_e32 vcc_lo, 32, v5
	ds_bpermute_b32 v1, v2, v30
	v_lshlrev_b32_e32 v3, 2, v3
	v_cndmask_b32_e32 v5, v27, v5, vcc_lo
	v_cmp_eq_u32_e32 vcc_lo, 0, v21
	v_lshlrev_b32_e32 v6, 2, v5
	s_waitcnt lgkmcnt(0)
	v_max_f32_e32 v1, v1, v1
	v_max_f32_e32 v1, v4, v1
	ds_bpermute_b32 v4, v3, v1
	s_waitcnt lgkmcnt(0)
	v_max_f32_e32 v4, v4, v4
	v_max_f32_e32 v1, v1, v4
	v_lshlrev_b32_e32 v4, 2, v25
	ds_bpermute_b32 v5, v6, v1
	s_and_saveexec_b32 s2, vcc_lo
	s_cbranch_execz .LBB310_278
; %bb.277:
	s_waitcnt lgkmcnt(0)
	v_max_f32_e32 v5, v5, v5
	v_max_f32_e32 v1, v1, v1
	;; [unrolled: 1-line block ×3, first 2 shown]
	ds_write_b32 v4, v1 offset:256
.LBB310_278:
	s_or_b32 exec_lo, exec_lo, s2
	v_cmp_gt_u32_e64 s2, 4, v21
	v_mov_b32_e32 v1, 0xff7fffff
	s_waitcnt lgkmcnt(0)
	v_lshlrev_b32_e32 v5, 2, v21
	s_barrier
	buffer_gl0_inv
	s_and_saveexec_b32 s3, s2
; %bb.279:
	ds_read_b32 v1, v5 offset:256
; %bb.280:
	s_or_b32 exec_lo, exec_lo, s3
	v_xor_b32_e32 v7, 2, v27
	v_xor_b32_e32 v9, 1, v27
	v_cmp_gt_i32_e64 s3, 32, v7
	v_cndmask_b32_e64 v7, v27, v7, s3
	v_cmp_gt_i32_e64 s3, 32, v9
	v_lshlrev_b32_e32 v7, 2, v7
	v_cndmask_b32_e64 v9, v27, v9, s3
	s_lshl_b32 s3, s20, 3
	s_min_i32 s5, s3, s33
	s_waitcnt lgkmcnt(0)
	ds_bpermute_b32 v8, v7, v1
	v_max_f32_e32 v1, v1, v1
	v_cmp_gt_i32_e64 s3, s5, v0
	s_waitcnt lgkmcnt(0)
	v_max_f32_e32 v10, v8, v8
	v_lshlrev_b32_e32 v8, 2, v9
	v_max_f32_e32 v1, v1, v10
	ds_bpermute_b32 v9, v8, v1
	s_waitcnt lgkmcnt(0)
	v_max_f32_e32 v9, v9, v9
	v_max_f32_e32 v1, v1, v9
	v_mov_b32_e32 v9, 0
	ds_bpermute_b32 v10, v9, v1
	v_lshl_add_u32 v1, v0, 2, 0x120
	s_and_saveexec_b32 s12, s3
	s_cbranch_execz .LBB310_284
; %bb.281:
	v_lshl_add_u32 v11, v0, 2, 0x120
	v_mov_b32_e32 v9, 0
	v_mov_b32_e32 v12, v0
	s_mov_b32 s13, 0
	.p2align	6
.LBB310_282:                            ; =>This Inner Loop Header: Depth=1
	ds_read_b32 v13, v11
	v_add_nc_u32_e32 v12, 0x80, v12
	v_cmp_le_i32_e64 s4, s5, v12
	s_or_b32 s13, s4, s13
	s_waitcnt lgkmcnt(0)
	v_sub_f32_e32 v13, v13, v10
	v_mul_f32_e32 v13, 0x3fb8aa3b, v13
	v_exp_f32_e32 v13, v13
	ds_write_b32 v11, v13
	v_add_f32_e32 v9, v9, v13
	v_add_nc_u32_e32 v11, 0x200, v11
	s_andn2_b32 exec_lo, exec_lo, s13
	s_cbranch_execnz .LBB310_282
; %bb.283:
	s_or_b32 exec_lo, exec_lo, s13
.LBB310_284:
	s_or_b32 exec_lo, exec_lo, s12
	ds_bpermute_b32 v2, v2, v9
	s_waitcnt lgkmcnt(0)
	v_add_f32_e32 v2, v9, v2
	ds_bpermute_b32 v3, v3, v2
	s_waitcnt lgkmcnt(0)
	v_add_f32_e32 v2, v2, v3
	;; [unrolled: 3-line block ×5, first 2 shown]
	s_and_saveexec_b32 s4, vcc_lo
; %bb.285:
	ds_write_b32 v4, v2 offset:272
; %bb.286:
	s_or_b32 exec_lo, exec_lo, s4
	s_waitcnt lgkmcnt(0)
	s_barrier
	buffer_gl0_inv
	s_and_saveexec_b32 s4, s2
; %bb.287:
	ds_read_b32 v2, v5 offset:272
; %bb.288:
	s_or_b32 exec_lo, exec_lo, s4
	s_waitcnt lgkmcnt(0)
	ds_bpermute_b32 v3, v7, v2
	s_waitcnt lgkmcnt(0)
	v_add_f32_e32 v2, v2, v3
	ds_bpermute_b32 v3, v8, v2
	s_waitcnt lgkmcnt(0)
	v_add_f32_e32 v2, v2, v3
	v_mov_b32_e32 v3, 0
	ds_bpermute_b32 v2, v3, v2
	s_and_saveexec_b32 s2, s3
	s_cbranch_execz .LBB310_291
; %bb.289:
	s_waitcnt lgkmcnt(0)
	v_add_f32_e32 v2, 0x358637bd, v2
	s_mov_b32 s3, 0
	v_div_scale_f32 v3, null, v2, v2, 1.0
	v_div_scale_f32 v6, vcc_lo, 1.0, v2, 1.0
	v_rcp_f32_e32 v4, v3
	v_fma_f32 v5, -v3, v4, 1.0
	v_fmac_f32_e32 v4, v5, v4
	v_mul_f32_e32 v5, v6, v4
	v_fma_f32 v7, -v3, v5, v6
	v_fmac_f32_e32 v5, v7, v4
	v_fma_f32 v3, -v3, v5, v6
	v_div_fmas_f32 v3, v3, v4, v5
	v_div_fixup_f32 v2, v3, v2, 1.0
	v_mov_b32_e32 v3, v0
.LBB310_290:                            ; =>This Inner Loop Header: Depth=1
	ds_read_b32 v4, v1
	v_add_nc_u32_e32 v3, 0x80, v3
	v_cmp_le_i32_e32 vcc_lo, s5, v3
	s_or_b32 s3, vcc_lo, s3
	s_waitcnt lgkmcnt(0)
	v_mul_f32_e32 v4, v2, v4
	ds_write_b32 v1, v4
	v_add_nc_u32_e32 v1, 0x200, v1
	s_andn2_b32 exec_lo, exec_lo, s3
	s_cbranch_execnz .LBB310_290
.LBB310_291:
	s_or_b32 exec_lo, exec_lo, s2
	v_mov_b32_e32 v27, 0
	v_mov_b32_e32 v24, 0
	;; [unrolled: 1-line block ×4, first 2 shown]
	s_waitcnt lgkmcnt(0)
	s_barrier
	buffer_gl0_inv
	s_and_saveexec_b32 s4, s1
	s_cbranch_execz .LBB310_545
; %bb.292:
	s_sub_i32 s5, s34, s21
	s_ashr_i32 s1, s18, 31
	s_add_u32 s18, s30, s18
	s_addc_u32 s1, s31, s1
	s_abs_i32 s12, s22
	v_lshlrev_b32_e32 v2, 3, v21
	v_cvt_f32_u32_e32 v1, s12
	s_sub_i32 s2, 0, s12
	v_and_b32_e32 v3, 0x7c, v28
	s_mov_b32 s13, s17
	v_add_co_u32 v11, s18, s18, v2
	v_rcp_iflag_f32_e32 v1, v1
	s_add_i32 s17, s20, -1
	v_add_co_ci_u32_e64 v12, null, s1, 0, s18
	v_mov_b32_e32 v10, 0
	v_lshl_add_u32 v28, v25, 5, 0x120
	v_mov_b32_e32 v29, 0x80
	v_mov_b32_e32 v30, 0xffff
	;; [unrolled: 1-line block ×4, first 2 shown]
	v_mul_f32_e32 v1, 0x4f7ffffe, v1
	v_mov_b32_e32 v33, 24
	v_mov_b32_e32 v22, 0
	;; [unrolled: 1-line block ×4, first 2 shown]
	v_cvt_u32_f32_e32 v1, v1
	v_mov_b32_e32 v27, 0
	v_mov_b32_e32 v35, v25
	s_mov_b32 s18, 0
	v_mul_lo_u32 v4, s2, v1
	s_lshl_b64 s[2:3], s[28:29], 2
	s_add_u32 s1, s26, s2
	s_addc_u32 s2, s27, s3
	v_add_co_u32 v13, s1, s1, v3
	v_add_co_ci_u32_e64 v14, null, s2, 0, s1
	v_mul_hi_u32 v4, v1, v4
	s_mov_b32 s2, -1
	s_mov_b32 s3, 0xffffff
	v_add_nc_u32_e32 v34, v1, v4
	s_branch .LBB310_295
.LBB310_293:                            ;   in Loop: Header=BB310_295 Depth=1
	s_or_b32 exec_lo, exec_lo, s1
	v_bfe_u32 v44, v5, 16, 1
	v_bfe_u32 v45, v6, 16, 1
	v_or_b32_e32 v46, 0x400000, v5
	v_cmp_u_f32_e32 vcc_lo, v5, v5
	v_or_b32_e32 v47, 0x400000, v6
	v_add3_u32 v44, v44, v5, 0x7fff
	v_bfe_u32 v48, v7, 16, 1
	v_add3_u32 v45, v45, v6, 0x7fff
	v_bfe_u32 v49, v8, 16, 1
	v_lshlrev_b32_e32 v56, 16, v56
	v_cndmask_b32_e32 v44, v44, v46, vcc_lo
	v_cmp_u_f32_e32 vcc_lo, v6, v6
	v_add3_u32 v6, v48, v7, 0x7fff
	v_add3_u32 v46, v49, v8, 0x7fff
	v_bfe_u32 v48, v1, 16, 1
	v_or_b32_e32 v49, 0x400000, v4
	v_cndmask_b32_e32 v5, v45, v47, vcc_lo
	v_or_b32_e32 v45, 0x400000, v7
	v_cmp_u_f32_e32 vcc_lo, v7, v7
	v_or_b32_e32 v47, 0x400000, v8
	v_bfe_u32 v7, v2, 16, 1
	v_and_b32_e32 v5, 0xffff0000, v5
	v_lshlrev_b32_e32 v43, 16, v43
	v_cndmask_b32_e32 v6, v6, v45, vcc_lo
	v_cmp_u_f32_e32 vcc_lo, v8, v8
	v_add3_u32 v45, v48, v1, 0x7fff
	v_add3_u32 v7, v7, v2, 0x7fff
	v_bfe_u32 v48, v3, 16, 1
	v_and_b32_e32 v6, 0xffff0000, v6
	v_cndmask_b32_e32 v8, v46, v47, vcc_lo
	v_or_b32_e32 v46, 0x400000, v1
	v_cmp_u_f32_e32 vcc_lo, v1, v1
	v_or_b32_e32 v47, 0x400000, v2
	v_and_b32_e32 v1, 0xffff0000, v44
	v_lshlrev_b32_e32 v44, 16, v63
	v_mul_f32_e32 v43, v5, v43
	v_cndmask_b32_e32 v45, v45, v46, vcc_lo
	v_cmp_u_f32_e32 vcc_lo, v2, v2
	v_bfe_u32 v46, v4, 16, 1
	v_mul_f32_e32 v44, v1, v44
	v_lshlrev_b32_e32 v42, 16, v42
	v_lshlrev_b32_e32 v39, 16, v39
	v_cndmask_b32_e32 v2, v7, v47, vcc_lo
	v_lshlrev_b32_e32 v47, 16, v64
	v_add3_u32 v7, v48, v3, 0x7fff
	v_or_b32_e32 v48, 0x400000, v3
	v_cmp_u_f32_e32 vcc_lo, v3, v3
	v_add3_u32 v46, v46, v4, 0x7fff
	v_mul_f32_e32 v47, v5, v47
	v_or_b32_e32 v50, 0x400000, v44
	v_mul_f32_e32 v42, v1, v42
	v_cndmask_b32_e32 v48, v7, v48, vcc_lo
	v_cmp_u_f32_e32 vcc_lo, v4, v4
	v_bfe_u32 v3, v47, 16, 1
	v_bfe_u32 v7, v44, 16, 1
	v_and_b32_e32 v4, 0xffff0000, v8
	v_lshlrev_b32_e32 v8, 16, v61
	v_cndmask_b32_e32 v46, v46, v49, vcc_lo
	v_add3_u32 v3, v3, v47, 0x7fff
	v_or_b32_e32 v49, 0x400000, v47
	v_cmp_u_f32_e32 vcc_lo, v47, v47
	v_add3_u32 v7, v7, v44, 0x7fff
	v_mul_f32_e32 v8, v4, v8
	v_lshlrev_b32_e32 v61, 16, v62
	v_mul_f32_e32 v39, v4, v39
	v_cndmask_b32_e32 v47, v3, v49, vcc_lo
	v_cmp_u_f32_e32 vcc_lo, v44, v44
	v_bfe_u32 v49, v8, 16, 1
	v_and_b32_e32 v3, 0xffff0000, v45
	v_or_b32_e32 v45, 0x400000, v8
	v_and_b32_e32 v47, 0xffff0000, v47
	v_cndmask_b32_e32 v44, v7, v50, vcc_lo
	v_mul_f32_e32 v50, v6, v61
	v_and_b32_e32 v7, 0xffff0000, v2
	v_lshlrev_b32_e32 v2, 16, v19
	v_lshlrev_b32_e32 v19, 16, v20
	v_add3_u32 v20, v49, v8, 0x7fff
	v_bfe_u32 v49, v50, 16, 1
	v_cmp_u_f32_e32 vcc_lo, v8, v8
	v_mul_f32_e32 v61, v7, v2
	v_mul_f32_e32 v19, v3, v19
	v_and_b32_e32 v2, 0xffff0000, v46
	v_add3_u32 v8, v49, v50, 0x7fff
	v_cndmask_b32_e32 v20, v20, v45, vcc_lo
	v_or_b32_e32 v45, 0x400000, v50
	v_bfe_u32 v49, v61, 16, 1
	v_lshlrev_b32_e32 v46, 16, v60
	v_cmp_u_f32_e32 vcc_lo, v50, v50
	v_bfe_u32 v62, v19, 16, 1
	v_or_b32_e32 v50, 0x400000, v61
	v_add3_u32 v49, v49, v61, 0x7fff
	v_mul_f32_e32 v46, v2, v46
	v_cndmask_b32_e32 v45, v8, v45, vcc_lo
	v_and_b32_e32 v8, 0xffff0000, v48
	v_lshlrev_b32_e32 v48, 16, v59
	v_cmp_u_f32_e32 vcc_lo, v61, v61
	v_add3_u32 v60, v62, v19, 0x7fff
	v_or_b32_e32 v59, 0x400000, v19
	v_bfe_u32 v62, v46, 16, 1
	v_mul_f32_e32 v48, v8, v48
	v_cndmask_b32_e32 v49, v49, v50, vcc_lo
	v_cmp_u_f32_e32 vcc_lo, v19, v19
	v_and_b32_e32 v44, 0xffff0000, v44
	v_add3_u32 v50, v62, v46, 0x7fff
	v_and_b32_e32 v45, 0xffff0000, v45
	v_and_b32_e32 v20, 0xffff0000, v20
	v_cndmask_b32_e32 v19, v60, v59, vcc_lo
	v_or_b32_e32 v59, 0x400000, v46
	v_bfe_u32 v60, v48, 16, 1
	v_cmp_u_f32_e32 vcc_lo, v46, v46
	v_add_f32_e32 v44, v44, v47
	v_add_f32_e32 v20, v45, v20
	v_lshlrev_b32_e32 v47, 16, v58
	v_and_b32_e32 v19, 0xffff0000, v19
	v_cndmask_b32_e32 v46, v50, v59, vcc_lo
	v_add3_u32 v50, v60, v48, 0x7fff
	v_or_b32_e32 v59, 0x400000, v48
	v_cmp_u_f32_e32 vcc_lo, v48, v48
	v_and_b32_e32 v45, 0xffff0000, v49
	v_lshlrev_b32_e32 v49, 16, v57
	v_add_f32_e32 v20, v20, v44
	v_mul_f32_e32 v44, v5, v47
	v_cndmask_b32_e32 v48, v50, v59, vcc_lo
	v_add_f32_e32 v19, v19, v45
	v_mul_f32_e32 v47, v1, v49
	v_and_b32_e32 v46, 0xffff0000, v46
	v_bfe_u32 v49, v44, 16, 1
	v_and_b32_e32 v45, 0xffff0000, v48
	v_lshlrev_b32_e32 v48, 16, v54
	v_add_f32_e32 v19, v19, v20
	v_bfe_u32 v50, v47, 16, 1
	v_cmp_u_f32_e32 vcc_lo, v44, v44
	v_add_f32_e32 v20, v45, v46
	v_mul_f32_e32 v45, v4, v48
	v_add3_u32 v46, v49, v44, 0x7fff
	v_or_b32_e32 v48, 0x400000, v44
	v_add3_u32 v49, v50, v47, 0x7fff
	v_or_b32_e32 v50, 0x400000, v47
	v_bfe_u32 v54, v45, 16, 1
	v_lshlrev_b32_e32 v41, 16, v41
	v_cndmask_b32_e32 v44, v46, v48, vcc_lo
	v_cmp_u_f32_e32 vcc_lo, v47, v47
	v_mul_f32_e32 v47, v6, v56
	v_add3_u32 v48, v54, v45, 0x7fff
	v_lshlrev_b32_e32 v37, 16, v37
	v_and_b32_e32 v44, 0xffff0000, v44
	v_cndmask_b32_e32 v46, v49, v50, vcc_lo
	v_or_b32_e32 v49, 0x400000, v45
	v_lshlrev_b32_e32 v50, 16, v51
	v_cmp_u_f32_e32 vcc_lo, v45, v45
	v_lshlrev_b32_e32 v51, 16, v52
	v_bfe_u32 v52, v47, 16, 1
	v_and_b32_e32 v46, 0xffff0000, v46
	v_mul_f32_e32 v41, v6, v41
	v_cndmask_b32_e32 v45, v48, v49, vcc_lo
	v_mul_f32_e32 v48, v7, v50
	v_mul_f32_e32 v49, v3, v51
	v_add3_u32 v50, v52, v47, 0x7fff
	v_or_b32_e32 v51, 0x400000, v47
	v_lshlrev_b32_e32 v52, 16, v55
	v_bfe_u32 v54, v48, 16, 1
	v_cmp_u_f32_e32 vcc_lo, v47, v47
	v_bfe_u32 v55, v49, 16, 1
	v_and_b32_e32 v45, 0xffff0000, v45
	v_add_f32_e32 v44, v46, v44
	v_mul_f32_e32 v37, v7, v37
	v_cndmask_b32_e32 v47, v50, v51, vcc_lo
	v_mul_f32_e32 v50, v2, v52
	v_add3_u32 v51, v54, v48, 0x7fff
	v_or_b32_e32 v52, 0x400000, v48
	v_cmp_u_f32_e32 vcc_lo, v48, v48
	v_add3_u32 v54, v55, v49, 0x7fff
	v_or_b32_e32 v55, 0x400000, v49
	v_bfe_u32 v56, v50, 16, 1
	v_and_b32_e32 v47, 0xffff0000, v47
	v_cndmask_b32_e32 v48, v51, v52, vcc_lo
	v_lshlrev_b32_e32 v51, 16, v53
	v_cmp_u_f32_e32 vcc_lo, v49, v49
	v_add3_u32 v52, v56, v50, 0x7fff
	v_or_b32_e32 v53, 0x400000, v50
	v_add_f32_e32 v45, v47, v45
	v_mul_f32_e32 v51, v8, v51
	v_cndmask_b32_e32 v49, v54, v55, vcc_lo
	v_cmp_u_f32_e32 vcc_lo, v50, v50
	v_and_b32_e32 v47, 0xffff0000, v48
	v_add_f32_e32 v44, v45, v44
	v_lshlrev_b32_e32 v36, 16, v36
	v_and_b32_e32 v46, 0xffff0000, v49
	v_cndmask_b32_e32 v50, v52, v53, vcc_lo
	v_bfe_u32 v52, v51, 16, 1
	v_or_b32_e32 v49, 0x400000, v51
	v_cmp_u_f32_e32 vcc_lo, v51, v51
	v_add_f32_e32 v45, v46, v47
	v_bfe_u32 v47, v43, 16, 1
	v_add3_u32 v48, v52, v51, 0x7fff
	v_lshlrev_b32_e32 v40, 16, v40
	v_mul_f32_e32 v36, v3, v36
	v_add_f32_e32 v44, v45, v44
	v_lshlrev_b32_e32 v38, 16, v38
	v_cndmask_b32_e32 v46, v48, v49, vcc_lo
	v_bfe_u32 v49, v42, 16, 1
	v_cmp_u_f32_e32 vcc_lo, v43, v43
	v_and_b32_e32 v48, 0xffff0000, v50
	v_or_b32_e32 v50, 0x400000, v39
	v_and_b32_e32 v45, 0xffff0000, v46
	v_add3_u32 v46, v47, v43, 0x7fff
	v_or_b32_e32 v47, 0x400000, v43
	v_mul_f32_e32 v40, v2, v40
	v_mul_f32_e32 v38, v8, v38
	v_lshlrev_b32_e32 v17, 16, v17
	v_lshlrev_b32_e32 v15, 16, v15
	v_cndmask_b32_e32 v43, v46, v47, vcc_lo
	v_bfe_u32 v46, v39, 16, 1
	v_add3_u32 v47, v49, v42, 0x7fff
	v_or_b32_e32 v49, 0x400000, v42
	v_cmp_u_f32_e32 vcc_lo, v42, v42
	v_and_b32_e32 v43, 0xffff0000, v43
	v_add3_u32 v46, v46, v39, 0x7fff
	v_mul_f32_e32 v4, v4, v17
	v_lshlrev_b32_e32 v17, 16, v65
	v_cndmask_b32_e32 v42, v47, v49, vcc_lo
	v_bfe_u32 v47, v41, 16, 1
	v_cmp_u_f32_e32 vcc_lo, v39, v39
	v_or_b32_e32 v49, 0x400000, v41
	v_mul_f32_e32 v6, v6, v17
	v_and_b32_e32 v42, 0xffff0000, v42
	v_add3_u32 v47, v47, v41, 0x7fff
	v_cndmask_b32_e32 v39, v46, v50, vcc_lo
	v_bfe_u32 v46, v37, 16, 1
	v_cmp_u_f32_e32 vcc_lo, v41, v41
	v_or_b32_e32 v50, 0x400000, v37
	v_add_f32_e32 v42, v42, v43
	v_and_b32_e32 v39, 0xffff0000, v39
	v_add3_u32 v46, v46, v37, 0x7fff
	v_cndmask_b32_e32 v41, v47, v49, vcc_lo
	v_bfe_u32 v47, v36, 16, 1
	v_cmp_u_f32_e32 vcc_lo, v37, v37
	v_bfe_u32 v49, v40, 16, 1
	v_mul_f32_e32 v7, v7, v15
	v_and_b32_e32 v41, 0xffff0000, v41
	v_lshlrev_b32_e32 v9, 16, v9
	v_cndmask_b32_e32 v37, v46, v50, vcc_lo
	v_add3_u32 v46, v47, v36, 0x7fff
	v_or_b32_e32 v47, 0x400000, v36
	v_cmp_u_f32_e32 vcc_lo, v36, v36
	v_add3_u32 v49, v49, v40, 0x7fff
	v_or_b32_e32 v50, 0x400000, v40
	v_add_f32_e32 v39, v41, v39
	v_lshlrev_b32_e32 v41, 16, v66
	v_cndmask_b32_e32 v36, v46, v47, vcc_lo
	v_cmp_u_f32_e32 vcc_lo, v40, v40
	v_bfe_u32 v46, v38, 16, 1
	v_or_b32_e32 v47, 0x400000, v38
	v_and_b32_e32 v37, 0xffff0000, v37
	v_and_b32_e32 v36, 0xffff0000, v36
	v_cndmask_b32_e32 v40, v49, v50, vcc_lo
	v_lshlrev_b32_e32 v49, 16, v67
	v_add3_u32 v46, v46, v38, 0x7fff
	v_cmp_u_f32_e32 vcc_lo, v38, v38
	v_add_f32_e32 v39, v39, v42
	v_mul_f32_e32 v1, v1, v41
	v_mul_f32_e32 v5, v5, v49
	v_add_f32_e32 v36, v36, v37
	v_cndmask_b32_e32 v38, v46, v47, vcc_lo
	v_mul_f32_e32 v3, v3, v9
	v_lshlrev_b32_e32 v9, 16, v18
	v_bfe_u32 v42, v5, 16, 1
	v_or_b32_e32 v41, 0x400000, v5
	v_and_b32_e32 v37, 0xffff0000, v38
	v_cmp_u_f32_e32 vcc_lo, v5, v5
	v_lshlrev_b32_e32 v16, 16, v16
	v_add3_u32 v38, v42, v5, 0x7fff
	v_bfe_u32 v42, v1, 16, 1
	v_mul_f32_e32 v2, v2, v9
	v_or_b32_e32 v9, 0x400000, v7
	v_mul_f32_e32 v8, v8, v16
	v_cndmask_b32_e32 v5, v38, v41, vcc_lo
	v_add3_u32 v38, v42, v1, 0x7fff
	v_or_b32_e32 v41, 0x400000, v1
	v_bfe_u32 v42, v4, 16, 1
	v_cmp_u_f32_e32 vcc_lo, v1, v1
	v_or_b32_e32 v16, 0x400000, v3
	v_bfe_u32 v18, v2, 16, 1
	v_and_b32_e32 v5, 0xffff0000, v5
	v_add3_u32 v17, v42, v4, 0x7fff
	v_cndmask_b32_e32 v1, v38, v41, vcc_lo
	v_or_b32_e32 v38, 0x400000, v4
	v_bfe_u32 v41, v6, 16, 1
	v_cmp_u_f32_e32 vcc_lo, v4, v4
	v_and_b32_e32 v1, 0xffff0000, v1
	v_add3_u32 v15, v41, v6, 0x7fff
	v_cndmask_b32_e32 v4, v17, v38, vcc_lo
	v_or_b32_e32 v17, 0x400000, v6
	v_bfe_u32 v38, v7, 16, 1
	v_cmp_u_f32_e32 vcc_lo, v6, v6
	v_add_f32_e32 v1, v1, v5
	v_and_b32_e32 v4, 0xffff0000, v4
	v_cndmask_b32_e32 v6, v15, v17, vcc_lo
	v_bfe_u32 v15, v3, 16, 1
	v_add3_u32 v17, v38, v7, 0x7fff
	v_cmp_u_f32_e32 vcc_lo, v7, v7
	v_bfe_u32 v38, v8, 16, 1
	v_and_b32_e32 v6, 0xffff0000, v6
	v_add3_u32 v15, v15, v3, 0x7fff
	v_cndmask_b32_e32 v7, v17, v9, vcc_lo
	v_cmp_u_f32_e32 vcc_lo, v3, v3
	v_add3_u32 v9, v18, v2, 0x7fff
	v_or_b32_e32 v17, 0x400000, v2
	v_add_f32_e32 v4, v6, v4
	v_and_b32_e32 v5, 0xffff0000, v7
	v_cndmask_b32_e32 v3, v15, v16, vcc_lo
	v_add3_u32 v15, v38, v8, 0x7fff
	v_or_b32_e32 v16, 0x400000, v8
	v_cmp_u_f32_e32 vcc_lo, v8, v8
	v_and_b32_e32 v6, 0xffff0000, v40
	v_and_b32_e32 v3, 0xffff0000, v3
	v_add_f32_e32 v1, v4, v1
	v_add_f32_e32 v7, v36, v39
	v_cndmask_b32_e32 v8, v15, v16, vcc_lo
	v_cmp_u_f32_e32 vcc_lo, v2, v2
	v_add_f32_e32 v3, v3, v5
	v_add_f32_e32 v5, v45, v48
	v_add_f32_e32 v6, v37, v6
	v_and_b32_e32 v4, 0xffff0000, v8
	v_cndmask_b32_e32 v2, v9, v17, vcc_lo
	v_add_f32_e32 v1, v3, v1
	v_add_f32_e32 v3, v20, v19
	v_and_b32_e32 v2, 0xffff0000, v2
	v_add_f32_e32 v23, v23, v3
	v_add_f32_e32 v2, v4, v2
	v_add_f32_e32 v4, v5, v44
	v_add_f32_e32 v5, v6, v7
	v_add_f32_e32 v1, v2, v1
	v_add_f32_e32 v24, v24, v4
	v_add_f32_e32 v27, v27, v5
	v_add_f32_e32 v22, v22, v1
.LBB310_294:                            ;   in Loop: Header=BB310_295 Depth=1
	s_or_b32 exec_lo, exec_lo, s21
	v_add_nc_u32_e32 v35, 4, v35
	v_add_co_u32 v13, s1, v13, 16
	v_add_co_ci_u32_e64 v14, null, 0, v14, s1
	v_cmp_le_i32_e32 vcc_lo, s20, v35
	v_add_nc_u32_e32 v26, 32, v26
	v_add_nc_u32_e32 v28, 0x80, v28
	s_or_b32 s18, vcc_lo, s18
	s_andn2_b32 exec_lo, exec_lo, s18
	s_cbranch_execz .LBB310_544
.LBB310_295:                            ; =>This Inner Loop Header: Depth=1
	v_mul_hi_u32 v1, v26, s19
	v_mul_lo_u32 v2, v1, s16
	v_add_nc_u32_e32 v3, 1, v1
	v_sub_nc_u32_e32 v2, v26, v2
	v_subrev_nc_u32_e32 v4, s16, v2
	v_cmp_le_u32_e32 vcc_lo, s16, v2
	v_cndmask_b32_e32 v1, v1, v3, vcc_lo
	v_cndmask_b32_e32 v2, v2, v4, vcc_lo
	v_add_nc_u32_e32 v3, 1, v1
	v_cmp_le_u32_e32 vcc_lo, s16, v2
	v_cndmask_b32_e32 v1, v1, v3, vcc_lo
	v_xor_b32_e32 v1, s23, v1
	v_subrev_nc_u32_e32 v1, s23, v1
	v_add_nc_u32_e32 v2, s25, v1
	v_cmp_lt_i32_e64 s1, s5, v1
	v_sub_nc_u32_e32 v3, 0, v2
	v_max_i32_e32 v3, v2, v3
	v_ashrrev_i32_e32 v2, 31, v2
	v_mul_hi_u32 v4, v3, v34
	v_mul_lo_u32 v4, v4, s12
	v_sub_nc_u32_e32 v3, v3, v4
	v_subrev_nc_u32_e32 v4, s12, v3
	v_cmp_le_u32_e32 vcc_lo, s12, v3
	v_cndmask_b32_e32 v3, v3, v4, vcc_lo
	v_subrev_nc_u32_e32 v4, s12, v3
	v_cmp_le_u32_e32 vcc_lo, s12, v3
	v_cndmask_b32_e32 v3, v3, v4, vcc_lo
	v_xor_b32_e32 v3, v3, v2
	v_sub_nc_u32_e32 v2, v3, v2
	v_cmp_eq_u32_e32 vcc_lo, 0, v2
	s_or_b32 s1, vcc_lo, s1
	s_and_saveexec_b32 s21, s1
	s_cbranch_execz .LBB310_294
; %bb.296:                              ;   in Loop: Header=BB310_295 Depth=1
	global_load_dword v1, v[13:14], off
	v_mov_b32_e32 v36, 0
	v_mov_b32_e32 v38, 0
	s_waitcnt vmcnt(0)
	v_mad_i64_i32 v[15:16], null, v1, s13, v[11:12]
	global_load_dwordx2 v[17:18], v[15:16], off
	ds_read2_b64 v[5:8], v28 offset1:1
	ds_read2_b64 v[1:4], v28 offset0:2 offset1:3
	s_load_dword s22, s[14:15], 0x0
	s_waitcnt vmcnt(0)
	v_cmp_ne_u16_sdwa s26, v17, v10 src0_sel:BYTE_0 src1_sel:DWORD
	s_and_saveexec_b32 s1, s26
	s_cbranch_execz .LBB310_302
; %bb.297:                              ;   in Loop: Header=BB310_295 Depth=1
	v_cmp_ne_u16_sdwa s27, v17, v29 src0_sel:BYTE_0 src1_sel:DWORD
	v_bfrev_b32_e32 v38, 1
	s_and_saveexec_b32 s26, s27
	s_cbranch_execz .LBB310_301
; %bb.298:                              ;   in Loop: Header=BB310_295 Depth=1
	v_and_b32_e32 v9, 0x7f, v17
	v_mov_b32_e32 v38, 0x7f800001
	s_mov_b32 s27, exec_lo
	v_cmpx_ne_u32_e32 0x7f, v9
	s_cbranch_execz .LBB310_300
; %bb.299:                              ;   in Loop: Header=BB310_295 Depth=1
	v_and_b32_e32 v19, 7, v17
	v_lshrrev_b32_e32 v20, 3, v9
	v_cmp_gt_u32_e32 vcc_lo, 8, v9
	v_ffbh_u32_e32 v19, v19
	v_min_u32_e32 v19, 32, v19
	v_subrev_nc_u32_e32 v37, 28, v19
	v_sub_nc_u32_e32 v19, 29, v19
	v_cndmask_b32_e32 v9, v20, v19, vcc_lo
	v_cndmask_b32_e32 v19, 0, v37, vcc_lo
	v_lshl_add_u32 v9, v9, 23, 0x3c000000
	v_lshlrev_b64 v[19:20], v19, v[17:18]
	v_lshlrev_b32_e32 v20, 24, v17
	v_lshlrev_b32_e32 v19, 20, v19
	v_and_b32_e32 v20, 0x80000000, v20
	v_and_b32_e32 v19, 0x700000, v19
	v_or3_b32 v38, v19, v20, v9
.LBB310_300:                            ;   in Loop: Header=BB310_295 Depth=1
	s_or_b32 exec_lo, exec_lo, s27
.LBB310_301:                            ;   in Loop: Header=BB310_295 Depth=1
	s_or_b32 exec_lo, exec_lo, s26
.LBB310_302:                            ;   in Loop: Header=BB310_295 Depth=1
	s_or_b32 exec_lo, exec_lo, s1
	v_cmp_ne_u16_sdwa s26, v17, v10 src0_sel:BYTE_1 src1_sel:DWORD
	s_and_saveexec_b32 s1, s26
	s_cbranch_execz .LBB310_310
; %bb.303:                              ;   in Loop: Header=BB310_295 Depth=1
	v_cmp_ne_u16_sdwa s27, v17, v29 src0_sel:BYTE_1 src1_sel:DWORD
	v_bfrev_b32_e32 v36, 1
	s_and_saveexec_b32 s26, s27
	s_cbranch_execz .LBB310_309
; %bb.304:                              ;   in Loop: Header=BB310_295 Depth=1
	v_and_b32_sdwa v9, v30, v17 dst_sel:DWORD dst_unused:UNUSED_PAD src0_sel:DWORD src1_sel:BYTE_1
	v_mov_b32_e32 v36, 0x7f800001
	s_mov_b32 s27, exec_lo
	v_and_b32_e32 v20, 0x7f, v9
	v_cmpx_ne_u32_e32 0x7f, v20
	s_cbranch_execz .LBB310_308
; %bb.305:                              ;   in Loop: Header=BB310_295 Depth=1
	v_and_b32_e32 v9, 7, v9
	v_lshrrev_b32_e32 v19, 3, v20
	s_mov_b32 s28, exec_lo
	v_cmpx_gt_u32_e32 8, v20
; %bb.306:                              ;   in Loop: Header=BB310_295 Depth=1
	v_ffbh_u32_e32 v19, v9
	v_min_u32_e32 v19, 32, v19
	v_subrev_nc_u32_e32 v20, 28, v19
	v_sub_nc_u32_e32 v19, 29, v19
	v_lshlrev_b64 v[36:37], v20, v[9:10]
	v_and_b32_e32 v9, 7, v36
; %bb.307:                              ;   in Loop: Header=BB310_295 Depth=1
	s_or_b32 exec_lo, exec_lo, s28
	v_lshlrev_b32_e32 v20, 16, v17
	v_lshlrev_b32_e32 v9, 20, v9
	v_lshl_add_u32 v19, v19, 23, 0x3c000000
	v_and_b32_e32 v20, 0x80000000, v20
	v_or3_b32 v36, v9, v20, v19
.LBB310_308:                            ;   in Loop: Header=BB310_295 Depth=1
	s_or_b32 exec_lo, exec_lo, s27
.LBB310_309:                            ;   in Loop: Header=BB310_295 Depth=1
	s_or_b32 exec_lo, exec_lo, s26
.LBB310_310:                            ;   in Loop: Header=BB310_295 Depth=1
	s_or_b32 exec_lo, exec_lo, s1
	v_and_b32_sdwa v9, v17, v31 dst_sel:DWORD dst_unused:UNUSED_PAD src0_sel:WORD_1 src1_sel:DWORD
	v_mov_b32_e32 v39, 0
	v_mov_b32_e32 v37, 0
	s_mov_b32 s1, exec_lo
	v_cmpx_ne_u16_e32 0, v9
	s_cbranch_execz .LBB310_318
; %bb.311:                              ;   in Loop: Header=BB310_295 Depth=1
	v_bfrev_b32_e32 v37, 1
	s_mov_b32 s26, exec_lo
	v_cmpx_ne_u16_e32 0x80, v9
	s_cbranch_execz .LBB310_317
; %bb.312:                              ;   in Loop: Header=BB310_295 Depth=1
	v_bfe_u32 v20, v17, 16, 7
	v_mov_b32_e32 v37, 0x7f800001
	s_mov_b32 s27, exec_lo
	v_cmpx_ne_u32_e32 0x7f, v20
	s_cbranch_execz .LBB310_316
; %bb.313:                              ;   in Loop: Header=BB310_295 Depth=1
	v_and_b32_sdwa v9, v17, v32 dst_sel:DWORD dst_unused:UNUSED_PAD src0_sel:WORD_1 src1_sel:DWORD
	v_lshrrev_b32_e32 v19, 3, v20
	s_mov_b32 s28, exec_lo
	v_cmpx_gt_u32_e32 8, v20
; %bb.314:                              ;   in Loop: Header=BB310_295 Depth=1
	v_ffbh_u32_e32 v19, v9
	v_min_u32_e32 v19, 32, v19
	v_subrev_nc_u32_e32 v20, 28, v19
	v_sub_nc_u32_e32 v19, 29, v19
	v_lshlrev_b64 v[40:41], v20, v[9:10]
	v_and_b32_e32 v9, 7, v40
; %bb.315:                              ;   in Loop: Header=BB310_295 Depth=1
	s_or_b32 exec_lo, exec_lo, s28
	v_lshlrev_b32_sdwa v20, v33, v17 dst_sel:DWORD dst_unused:UNUSED_PAD src0_sel:DWORD src1_sel:WORD_1
	v_lshlrev_b32_e32 v9, 20, v9
	v_lshl_add_u32 v19, v19, 23, 0x3c000000
	v_and_b32_e32 v20, 0x80000000, v20
	v_or3_b32 v37, v9, v20, v19
.LBB310_316:                            ;   in Loop: Header=BB310_295 Depth=1
	s_or_b32 exec_lo, exec_lo, s27
.LBB310_317:                            ;   in Loop: Header=BB310_295 Depth=1
	s_or_b32 exec_lo, exec_lo, s26
.LBB310_318:                            ;   in Loop: Header=BB310_295 Depth=1
	s_or_b32 exec_lo, exec_lo, s1
	s_mov_b32 s1, exec_lo
	v_cmpx_lt_u32_e32 0xffffff, v17
	s_cbranch_execz .LBB310_326
; %bb.319:                              ;   in Loop: Header=BB310_295 Depth=1
	v_cmp_ne_u32_sdwa s27, v17, v29 src0_sel:BYTE_3 src1_sel:DWORD
	v_bfrev_b32_e32 v39, 1
	s_and_saveexec_b32 s26, s27
	s_cbranch_execz .LBB310_325
; %bb.320:                              ;   in Loop: Header=BB310_295 Depth=1
	v_bfe_u32 v20, v17, 24, 7
	v_mov_b32_e32 v39, 0x7f800001
	s_mov_b32 s27, exec_lo
	v_cmpx_ne_u32_e32 0x7f, v20
	s_cbranch_execz .LBB310_324
; %bb.321:                              ;   in Loop: Header=BB310_295 Depth=1
	v_and_b32_sdwa v9, v17, v32 dst_sel:DWORD dst_unused:UNUSED_PAD src0_sel:BYTE_3 src1_sel:DWORD
	v_lshrrev_b32_e32 v19, 3, v20
	s_mov_b32 s28, exec_lo
	v_cmpx_gt_u32_e32 8, v20
; %bb.322:                              ;   in Loop: Header=BB310_295 Depth=1
	v_ffbh_u32_e32 v19, v9
	v_min_u32_e32 v19, 32, v19
	v_subrev_nc_u32_e32 v20, 28, v19
	v_sub_nc_u32_e32 v19, 29, v19
	v_lshlrev_b64 v[39:40], v20, v[9:10]
	v_and_b32_e32 v9, 7, v39
; %bb.323:                              ;   in Loop: Header=BB310_295 Depth=1
	s_or_b32 exec_lo, exec_lo, s28
	v_lshlrev_b32_sdwa v20, v33, v17 dst_sel:DWORD dst_unused:UNUSED_PAD src0_sel:DWORD src1_sel:BYTE_3
	v_lshlrev_b32_e32 v9, 20, v9
	v_lshl_add_u32 v19, v19, 23, 0x3c000000
	v_and_b32_e32 v20, 0x80000000, v20
	v_or3_b32 v39, v9, v20, v19
.LBB310_324:                            ;   in Loop: Header=BB310_295 Depth=1
	s_or_b32 exec_lo, exec_lo, s27
.LBB310_325:                            ;   in Loop: Header=BB310_295 Depth=1
	s_or_b32 exec_lo, exec_lo, s26
.LBB310_326:                            ;   in Loop: Header=BB310_295 Depth=1
	s_or_b32 exec_lo, exec_lo, s1
	v_mov_b32_e32 v9, v18
	v_cmp_ne_u16_sdwa s26, v18, v10 src0_sel:BYTE_0 src1_sel:DWORD
	v_mov_b32_e32 v19, 0
	v_mov_b32_e32 v40, 0
	s_and_saveexec_b32 s1, s26
	s_cbranch_execz .LBB310_332
; %bb.327:                              ;   in Loop: Header=BB310_295 Depth=1
	v_cmp_ne_u16_sdwa s27, v18, v29 src0_sel:BYTE_0 src1_sel:DWORD
	v_bfrev_b32_e32 v40, 1
	s_and_saveexec_b32 s26, s27
	s_cbranch_execz .LBB310_331
; %bb.328:                              ;   in Loop: Header=BB310_295 Depth=1
	v_and_b32_e32 v20, 0x7f, v18
	v_mov_b32_e32 v40, 0x7f800001
	s_mov_b32 s27, exec_lo
	v_cmpx_ne_u32_e32 0x7f, v20
	s_cbranch_execz .LBB310_330
; %bb.329:                              ;   in Loop: Header=BB310_295 Depth=1
	v_and_b32_e32 v40, 7, v18
	v_lshrrev_b32_e32 v41, 3, v20
	v_cmp_gt_u32_e32 vcc_lo, 8, v20
	v_ffbh_u32_e32 v40, v40
	v_min_u32_e32 v40, 32, v40
	v_subrev_nc_u32_e32 v42, 28, v40
	v_sub_nc_u32_e32 v40, 29, v40
	v_cndmask_b32_e32 v20, v41, v40, vcc_lo
	v_cndmask_b32_e32 v40, 0, v42, vcc_lo
	v_lshl_add_u32 v20, v20, 23, 0x3c000000
	v_lshlrev_b64 v[40:41], v40, v[9:10]
	v_lshlrev_b32_e32 v41, 24, v9
	v_lshlrev_b32_e32 v40, 20, v40
	v_and_b32_e32 v41, 0x80000000, v41
	v_and_b32_e32 v40, 0x700000, v40
	v_or3_b32 v40, v40, v41, v20
.LBB310_330:                            ;   in Loop: Header=BB310_295 Depth=1
	s_or_b32 exec_lo, exec_lo, s27
.LBB310_331:                            ;   in Loop: Header=BB310_295 Depth=1
	s_or_b32 exec_lo, exec_lo, s26
.LBB310_332:                            ;   in Loop: Header=BB310_295 Depth=1
	s_or_b32 exec_lo, exec_lo, s1
	v_cmp_ne_u16_sdwa s26, v9, v10 src0_sel:BYTE_1 src1_sel:DWORD
	s_and_saveexec_b32 s1, s26
	s_cbranch_execz .LBB310_340
; %bb.333:                              ;   in Loop: Header=BB310_295 Depth=1
	v_cmp_ne_u16_sdwa s27, v9, v29 src0_sel:BYTE_1 src1_sel:DWORD
	v_bfrev_b32_e32 v19, 1
	s_and_saveexec_b32 s26, s27
	s_cbranch_execz .LBB310_339
; %bb.334:                              ;   in Loop: Header=BB310_295 Depth=1
	v_and_b32_sdwa v20, v30, v9 dst_sel:DWORD dst_unused:UNUSED_PAD src0_sel:DWORD src1_sel:BYTE_1
	v_mov_b32_e32 v19, 0x7f800001
	s_mov_b32 s27, exec_lo
	v_and_b32_e32 v42, 0x7f, v20
	v_cmpx_ne_u32_e32 0x7f, v42
	s_cbranch_execz .LBB310_338
; %bb.335:                              ;   in Loop: Header=BB310_295 Depth=1
	v_and_b32_e32 v19, 7, v20
	v_mov_b32_e32 v20, v10
	v_lshrrev_b32_e32 v41, 3, v42
	s_mov_b32 s28, exec_lo
	v_cmpx_gt_u32_e32 8, v42
; %bb.336:                              ;   in Loop: Header=BB310_295 Depth=1
	v_ffbh_u32_e32 v41, v19
	v_min_u32_e32 v41, 32, v41
	v_subrev_nc_u32_e32 v42, 28, v41
	v_sub_nc_u32_e32 v41, 29, v41
	v_lshlrev_b64 v[19:20], v42, v[19:20]
	v_and_b32_e32 v19, 7, v19
; %bb.337:                              ;   in Loop: Header=BB310_295 Depth=1
	s_or_b32 exec_lo, exec_lo, s28
	v_lshlrev_b32_e32 v9, 16, v9
	v_lshlrev_b32_e32 v19, 20, v19
	v_lshl_add_u32 v20, v41, 23, 0x3c000000
	v_and_b32_e32 v9, 0x80000000, v9
	v_or3_b32 v19, v19, v9, v20
.LBB310_338:                            ;   in Loop: Header=BB310_295 Depth=1
	s_or_b32 exec_lo, exec_lo, s27
.LBB310_339:                            ;   in Loop: Header=BB310_295 Depth=1
	s_or_b32 exec_lo, exec_lo, s26
.LBB310_340:                            ;   in Loop: Header=BB310_295 Depth=1
	s_or_b32 exec_lo, exec_lo, s1
	v_and_b32_sdwa v9, v18, v31 dst_sel:DWORD dst_unused:UNUSED_PAD src0_sel:WORD_1 src1_sel:DWORD
	v_mov_b32_e32 v20, 0
	v_mov_b32_e32 v41, 0
	s_mov_b32 s1, exec_lo
	v_cmpx_ne_u16_e32 0, v9
	s_cbranch_execz .LBB310_348
; %bb.341:                              ;   in Loop: Header=BB310_295 Depth=1
	v_bfrev_b32_e32 v41, 1
	s_mov_b32 s26, exec_lo
	v_cmpx_ne_u16_e32 0x80, v9
	s_cbranch_execz .LBB310_347
; %bb.342:                              ;   in Loop: Header=BB310_295 Depth=1
	v_bfe_u32 v42, v18, 16, 7
	v_mov_b32_e32 v41, 0x7f800001
	s_mov_b32 s27, exec_lo
	v_cmpx_ne_u32_e32 0x7f, v42
	s_cbranch_execz .LBB310_346
; %bb.343:                              ;   in Loop: Header=BB310_295 Depth=1
	v_and_b32_sdwa v9, v18, v32 dst_sel:DWORD dst_unused:UNUSED_PAD src0_sel:WORD_1 src1_sel:DWORD
	v_lshrrev_b32_e32 v41, 3, v42
	s_mov_b32 s28, exec_lo
	v_cmpx_gt_u32_e32 8, v42
; %bb.344:                              ;   in Loop: Header=BB310_295 Depth=1
	v_ffbh_u32_e32 v41, v9
	v_min_u32_e32 v41, 32, v41
	v_subrev_nc_u32_e32 v42, 28, v41
	v_sub_nc_u32_e32 v41, 29, v41
	v_lshlrev_b64 v[42:43], v42, v[9:10]
	v_and_b32_e32 v9, 7, v42
; %bb.345:                              ;   in Loop: Header=BB310_295 Depth=1
	s_or_b32 exec_lo, exec_lo, s28
	v_lshlrev_b32_sdwa v42, v33, v18 dst_sel:DWORD dst_unused:UNUSED_PAD src0_sel:DWORD src1_sel:WORD_1
	v_lshlrev_b32_e32 v9, 20, v9
	v_lshl_add_u32 v41, v41, 23, 0x3c000000
	v_and_b32_e32 v42, 0x80000000, v42
	v_or3_b32 v41, v9, v42, v41
.LBB310_346:                            ;   in Loop: Header=BB310_295 Depth=1
	s_or_b32 exec_lo, exec_lo, s27
.LBB310_347:                            ;   in Loop: Header=BB310_295 Depth=1
	s_or_b32 exec_lo, exec_lo, s26
.LBB310_348:                            ;   in Loop: Header=BB310_295 Depth=1
	s_or_b32 exec_lo, exec_lo, s1
	s_mov_b32 s1, exec_lo
	v_cmpx_lt_u64_e64 s[2:3], v[17:18]
	s_cbranch_execz .LBB310_356
; %bb.349:                              ;   in Loop: Header=BB310_295 Depth=1
	v_cmp_ne_u32_sdwa s27, v18, v29 src0_sel:BYTE_3 src1_sel:DWORD
	v_bfrev_b32_e32 v20, 1
	s_and_saveexec_b32 s26, s27
	s_cbranch_execz .LBB310_355
; %bb.350:                              ;   in Loop: Header=BB310_295 Depth=1
	v_bfe_u32 v42, v18, 24, 7
	v_mov_b32_e32 v20, 0x7f800001
	s_mov_b32 s27, exec_lo
	v_cmpx_ne_u32_e32 0x7f, v42
	s_cbranch_execz .LBB310_354
; %bb.351:                              ;   in Loop: Header=BB310_295 Depth=1
	v_and_b32_sdwa v9, v18, v32 dst_sel:DWORD dst_unused:UNUSED_PAD src0_sel:BYTE_3 src1_sel:DWORD
	v_lshrrev_b32_e32 v17, 3, v42
	s_mov_b32 s28, exec_lo
	v_cmpx_gt_u32_e32 8, v42
; %bb.352:                              ;   in Loop: Header=BB310_295 Depth=1
	v_ffbh_u32_e32 v17, v9
	v_min_u32_e32 v17, 32, v17
	v_subrev_nc_u32_e32 v20, 28, v17
	v_sub_nc_u32_e32 v17, 29, v17
	v_lshlrev_b64 v[42:43], v20, v[9:10]
	v_and_b32_e32 v9, 7, v42
; %bb.353:                              ;   in Loop: Header=BB310_295 Depth=1
	s_or_b32 exec_lo, exec_lo, s28
	v_lshlrev_b32_sdwa v18, v33, v18 dst_sel:DWORD dst_unused:UNUSED_PAD src0_sel:DWORD src1_sel:BYTE_3
	v_lshlrev_b32_e32 v9, 20, v9
	v_lshl_add_u32 v17, v17, 23, 0x3c000000
	v_and_b32_e32 v18, 0x80000000, v18
	v_or3_b32 v20, v9, v18, v17
.LBB310_354:                            ;   in Loop: Header=BB310_295 Depth=1
	s_or_b32 exec_lo, exec_lo, s27
.LBB310_355:                            ;   in Loop: Header=BB310_295 Depth=1
	s_or_b32 exec_lo, exec_lo, s26
.LBB310_356:                            ;   in Loop: Header=BB310_295 Depth=1
	s_or_b32 exec_lo, exec_lo, s1
	s_waitcnt lgkmcnt(0)
	v_mul_f32_e32 v9, s22, v19
	v_mul_f32_e32 v17, s22, v40
	;; [unrolled: 1-line block ×5, first 2 shown]
	v_bfe_u32 v19, v9, 16, 1
	v_or_b32_e32 v37, 0x400000, v9
	v_bfe_u32 v39, v17, 16, 1
	v_cmp_u_f32_e64 s1, v9, v9
	v_or_b32_e32 v42, 0x400000, v17
	v_add3_u32 v19, v19, v9, 0x7fff
	v_bfe_u32 v43, v18, 16, 1
	v_add3_u32 v39, v39, v17, 0x7fff
	v_or_b32_e32 v44, 0x400000, v18
	v_cmp_eq_u32_e32 vcc_lo, s17, v35
	v_cndmask_b32_e64 v9, v19, v37, s1
	v_cmp_u_f32_e64 s1, v17, v17
	v_bfe_u32 v19, v40, 16, 1
	v_add3_u32 v43, v43, v18, 0x7fff
	v_add_nc_u32_e32 v50, 1, v26
	v_lshrrev_b32_e32 v37, 16, v9
	v_cndmask_b32_e64 v17, v39, v42, s1
	v_cmp_u_f32_e64 s1, v18, v18
	v_mul_f32_e32 v18, s22, v36
	v_add3_u32 v19, v19, v40, 0x7fff
	v_or_b32_e32 v42, 0x400000, v40
	v_lshrrev_b32_e32 v36, 16, v17
	v_cndmask_b32_e64 v9, v43, v44, s1
	v_cmp_u_f32_e64 s1, v40, v40
	v_or_b32_e32 v40, 0x400000, v18
	v_or_b32_e32 v44, 0x400000, v20
	v_add_nc_u32_e32 v49, 2, v26
	v_lshrrev_b32_e32 v39, 16, v9
	v_bfe_u32 v9, v18, 16, 1
	v_cndmask_b32_e64 v17, v19, v42, s1
	v_mul_f32_e32 v19, s22, v38
	v_mul_f32_e32 v38, s22, v41
	v_cmp_u_f32_e64 s1, v18, v18
	v_add3_u32 v9, v9, v18, 0x7fff
	v_bfe_u32 v18, v20, 16, 1
	v_bfe_u32 v41, v19, 16, 1
	;; [unrolled: 1-line block ×3, first 2 shown]
	v_or_b32_e32 v43, 0x400000, v38
	v_cndmask_b32_e64 v9, v9, v40, s1
	v_cmp_u_f32_e64 s1, v19, v19
	v_add3_u32 v40, v41, v19, 0x7fff
	v_or_b32_e32 v41, 0x400000, v19
	v_add3_u32 v42, v42, v38, 0x7fff
	v_add3_u32 v18, v18, v20, 0x7fff
	v_add_nc_u32_e32 v48, 3, v26
	v_add_nc_u32_e32 v47, 4, v26
	v_cndmask_b32_e64 v19, v40, v41, s1
	v_cmp_u_f32_e64 s1, v38, v38
	v_lshrrev_b32_e32 v41, 16, v17
	v_add_nc_u32_e32 v46, 5, v26
	v_add_nc_u32_e32 v45, 6, v26
	v_cndmask_b32_e64 v38, v42, v43, s1
	v_cmp_u_f32_e64 s1, v20, v20
	v_lshrrev_b32_e32 v43, 16, v9
	v_lshrrev_b32_e32 v42, 16, v19
	;; [unrolled: 1-line block ×3, first 2 shown]
	v_cndmask_b32_e64 v18, v18, v44, s1
	v_add_nc_u32_e32 v44, 7, v26
	v_lshrrev_b32_e32 v40, 16, v18
	s_and_saveexec_b32 s26, vcc_lo
	s_cbranch_execz .LBB310_358
; %bb.357:                              ;   in Loop: Header=BB310_295 Depth=1
	v_cmp_gt_i32_e64 s1, s33, v26
	v_cndmask_b32_e64 v42, 0, v42, s1
	v_cmp_gt_i32_e64 s1, s33, v50
	v_cndmask_b32_e64 v43, 0, v43, s1
	;; [unrolled: 2-line block ×8, first 2 shown]
.LBB310_358:                            ;   in Loop: Header=BB310_295 Depth=1
	s_or_b32 exec_lo, exec_lo, s26
	global_load_dwordx2 v[17:18], v[15:16], off offset:256
	v_mov_b32_e32 v52, 0
	v_mov_b32_e32 v53, 0
	s_waitcnt vmcnt(0)
	v_cmp_ne_u16_sdwa s1, v17, v10 src0_sel:BYTE_0 src1_sel:DWORD
	s_and_saveexec_b32 s26, s1
	s_cbranch_execz .LBB310_364
; %bb.359:                              ;   in Loop: Header=BB310_295 Depth=1
	v_cmp_ne_u16_sdwa s1, v17, v29 src0_sel:BYTE_0 src1_sel:DWORD
	v_bfrev_b32_e32 v53, 1
	s_and_saveexec_b32 s27, s1
	s_cbranch_execz .LBB310_363
; %bb.360:                              ;   in Loop: Header=BB310_295 Depth=1
	v_and_b32_e32 v9, 0x7f, v17
	v_mov_b32_e32 v53, 0x7f800001
	s_mov_b32 s28, exec_lo
	v_cmpx_ne_u32_e32 0x7f, v9
	s_cbranch_execz .LBB310_362
; %bb.361:                              ;   in Loop: Header=BB310_295 Depth=1
	v_and_b32_e32 v19, 7, v17
	v_lshrrev_b32_e32 v20, 3, v9
	v_cmp_gt_u32_e64 s1, 8, v9
	v_ffbh_u32_e32 v19, v19
	v_min_u32_e32 v19, 32, v19
	v_subrev_nc_u32_e32 v51, 28, v19
	v_sub_nc_u32_e32 v19, 29, v19
	v_cndmask_b32_e64 v9, v20, v19, s1
	v_cndmask_b32_e64 v19, 0, v51, s1
	v_lshl_add_u32 v9, v9, 23, 0x3c000000
	v_lshlrev_b64 v[19:20], v19, v[17:18]
	v_lshlrev_b32_e32 v20, 24, v17
	v_lshlrev_b32_e32 v19, 20, v19
	v_and_b32_e32 v20, 0x80000000, v20
	v_and_b32_e32 v19, 0x700000, v19
	v_or3_b32 v53, v19, v20, v9
.LBB310_362:                            ;   in Loop: Header=BB310_295 Depth=1
	s_or_b32 exec_lo, exec_lo, s28
.LBB310_363:                            ;   in Loop: Header=BB310_295 Depth=1
	s_or_b32 exec_lo, exec_lo, s27
.LBB310_364:                            ;   in Loop: Header=BB310_295 Depth=1
	s_or_b32 exec_lo, exec_lo, s26
	v_cmp_ne_u16_sdwa s1, v17, v10 src0_sel:BYTE_1 src1_sel:DWORD
	s_and_saveexec_b32 s26, s1
	s_cbranch_execz .LBB310_372
; %bb.365:                              ;   in Loop: Header=BB310_295 Depth=1
	v_cmp_ne_u16_sdwa s1, v17, v29 src0_sel:BYTE_1 src1_sel:DWORD
	v_bfrev_b32_e32 v52, 1
	s_and_saveexec_b32 s27, s1
	s_cbranch_execz .LBB310_371
; %bb.366:                              ;   in Loop: Header=BB310_295 Depth=1
	v_and_b32_sdwa v9, v30, v17 dst_sel:DWORD dst_unused:UNUSED_PAD src0_sel:DWORD src1_sel:BYTE_1
	v_mov_b32_e32 v52, 0x7f800001
	s_mov_b32 s28, exec_lo
	v_and_b32_e32 v20, 0x7f, v9
	v_cmpx_ne_u32_e32 0x7f, v20
	s_cbranch_execz .LBB310_370
; %bb.367:                              ;   in Loop: Header=BB310_295 Depth=1
	v_and_b32_e32 v9, 7, v9
	v_lshrrev_b32_e32 v19, 3, v20
	s_mov_b32 s29, exec_lo
	v_cmpx_gt_u32_e32 8, v20
; %bb.368:                              ;   in Loop: Header=BB310_295 Depth=1
	v_ffbh_u32_e32 v19, v9
	v_min_u32_e32 v19, 32, v19
	v_subrev_nc_u32_e32 v20, 28, v19
	v_sub_nc_u32_e32 v19, 29, v19
	v_lshlrev_b64 v[51:52], v20, v[9:10]
	v_and_b32_e32 v9, 7, v51
; %bb.369:                              ;   in Loop: Header=BB310_295 Depth=1
	s_or_b32 exec_lo, exec_lo, s29
	v_lshlrev_b32_e32 v20, 16, v17
	v_lshlrev_b32_e32 v9, 20, v9
	v_lshl_add_u32 v19, v19, 23, 0x3c000000
	v_and_b32_e32 v20, 0x80000000, v20
	v_or3_b32 v52, v9, v20, v19
.LBB310_370:                            ;   in Loop: Header=BB310_295 Depth=1
	s_or_b32 exec_lo, exec_lo, s28
.LBB310_371:                            ;   in Loop: Header=BB310_295 Depth=1
	s_or_b32 exec_lo, exec_lo, s27
.LBB310_372:                            ;   in Loop: Header=BB310_295 Depth=1
	s_or_b32 exec_lo, exec_lo, s26
	v_and_b32_sdwa v9, v17, v31 dst_sel:DWORD dst_unused:UNUSED_PAD src0_sel:WORD_1 src1_sel:DWORD
	v_mov_b32_e32 v54, 0
	v_mov_b32_e32 v51, 0
	s_mov_b32 s26, exec_lo
	v_cmpx_ne_u16_e32 0, v9
	s_cbranch_execz .LBB310_380
; %bb.373:                              ;   in Loop: Header=BB310_295 Depth=1
	v_bfrev_b32_e32 v51, 1
	s_mov_b32 s27, exec_lo
	v_cmpx_ne_u16_e32 0x80, v9
	s_cbranch_execz .LBB310_379
; %bb.374:                              ;   in Loop: Header=BB310_295 Depth=1
	v_bfe_u32 v20, v17, 16, 7
	v_mov_b32_e32 v51, 0x7f800001
	s_mov_b32 s28, exec_lo
	v_cmpx_ne_u32_e32 0x7f, v20
	s_cbranch_execz .LBB310_378
; %bb.375:                              ;   in Loop: Header=BB310_295 Depth=1
	v_and_b32_sdwa v9, v17, v32 dst_sel:DWORD dst_unused:UNUSED_PAD src0_sel:WORD_1 src1_sel:DWORD
	v_lshrrev_b32_e32 v19, 3, v20
	s_mov_b32 s29, exec_lo
	v_cmpx_gt_u32_e32 8, v20
; %bb.376:                              ;   in Loop: Header=BB310_295 Depth=1
	v_ffbh_u32_e32 v19, v9
	v_min_u32_e32 v19, 32, v19
	v_subrev_nc_u32_e32 v20, 28, v19
	v_sub_nc_u32_e32 v19, 29, v19
	v_lshlrev_b64 v[55:56], v20, v[9:10]
	v_and_b32_e32 v9, 7, v55
; %bb.377:                              ;   in Loop: Header=BB310_295 Depth=1
	s_or_b32 exec_lo, exec_lo, s29
	v_lshlrev_b32_sdwa v20, v33, v17 dst_sel:DWORD dst_unused:UNUSED_PAD src0_sel:DWORD src1_sel:WORD_1
	v_lshlrev_b32_e32 v9, 20, v9
	v_lshl_add_u32 v19, v19, 23, 0x3c000000
	v_and_b32_e32 v20, 0x80000000, v20
	v_or3_b32 v51, v9, v20, v19
.LBB310_378:                            ;   in Loop: Header=BB310_295 Depth=1
	s_or_b32 exec_lo, exec_lo, s28
.LBB310_379:                            ;   in Loop: Header=BB310_295 Depth=1
	s_or_b32 exec_lo, exec_lo, s27
.LBB310_380:                            ;   in Loop: Header=BB310_295 Depth=1
	s_or_b32 exec_lo, exec_lo, s26
	s_mov_b32 s26, exec_lo
	v_cmpx_lt_u32_e32 0xffffff, v17
	s_cbranch_execz .LBB310_388
; %bb.381:                              ;   in Loop: Header=BB310_295 Depth=1
	v_cmp_ne_u32_sdwa s1, v17, v29 src0_sel:BYTE_3 src1_sel:DWORD
	v_bfrev_b32_e32 v54, 1
	s_and_saveexec_b32 s27, s1
	s_cbranch_execz .LBB310_387
; %bb.382:                              ;   in Loop: Header=BB310_295 Depth=1
	v_bfe_u32 v20, v17, 24, 7
	v_mov_b32_e32 v54, 0x7f800001
	s_mov_b32 s28, exec_lo
	v_cmpx_ne_u32_e32 0x7f, v20
	s_cbranch_execz .LBB310_386
; %bb.383:                              ;   in Loop: Header=BB310_295 Depth=1
	v_and_b32_sdwa v9, v17, v32 dst_sel:DWORD dst_unused:UNUSED_PAD src0_sel:BYTE_3 src1_sel:DWORD
	v_lshrrev_b32_e32 v19, 3, v20
	s_mov_b32 s29, exec_lo
	v_cmpx_gt_u32_e32 8, v20
; %bb.384:                              ;   in Loop: Header=BB310_295 Depth=1
	v_ffbh_u32_e32 v19, v9
	v_min_u32_e32 v19, 32, v19
	v_subrev_nc_u32_e32 v20, 28, v19
	v_sub_nc_u32_e32 v19, 29, v19
	v_lshlrev_b64 v[54:55], v20, v[9:10]
	v_and_b32_e32 v9, 7, v54
; %bb.385:                              ;   in Loop: Header=BB310_295 Depth=1
	s_or_b32 exec_lo, exec_lo, s29
	v_lshlrev_b32_sdwa v20, v33, v17 dst_sel:DWORD dst_unused:UNUSED_PAD src0_sel:DWORD src1_sel:BYTE_3
	v_lshlrev_b32_e32 v9, 20, v9
	v_lshl_add_u32 v19, v19, 23, 0x3c000000
	v_and_b32_e32 v20, 0x80000000, v20
	v_or3_b32 v54, v9, v20, v19
.LBB310_386:                            ;   in Loop: Header=BB310_295 Depth=1
	s_or_b32 exec_lo, exec_lo, s28
.LBB310_387:                            ;   in Loop: Header=BB310_295 Depth=1
	s_or_b32 exec_lo, exec_lo, s27
.LBB310_388:                            ;   in Loop: Header=BB310_295 Depth=1
	s_or_b32 exec_lo, exec_lo, s26
	v_mov_b32_e32 v9, v18
	v_cmp_ne_u16_sdwa s1, v18, v10 src0_sel:BYTE_0 src1_sel:DWORD
	v_mov_b32_e32 v19, 0
	v_mov_b32_e32 v55, 0
	s_and_saveexec_b32 s26, s1
	s_cbranch_execz .LBB310_394
; %bb.389:                              ;   in Loop: Header=BB310_295 Depth=1
	v_cmp_ne_u16_sdwa s1, v18, v29 src0_sel:BYTE_0 src1_sel:DWORD
	v_bfrev_b32_e32 v55, 1
	s_and_saveexec_b32 s27, s1
	s_cbranch_execz .LBB310_393
; %bb.390:                              ;   in Loop: Header=BB310_295 Depth=1
	v_and_b32_e32 v20, 0x7f, v18
	v_mov_b32_e32 v55, 0x7f800001
	s_mov_b32 s28, exec_lo
	v_cmpx_ne_u32_e32 0x7f, v20
	s_cbranch_execz .LBB310_392
; %bb.391:                              ;   in Loop: Header=BB310_295 Depth=1
	v_and_b32_e32 v55, 7, v18
	v_lshrrev_b32_e32 v56, 3, v20
	v_cmp_gt_u32_e64 s1, 8, v20
	v_ffbh_u32_e32 v55, v55
	v_min_u32_e32 v55, 32, v55
	v_subrev_nc_u32_e32 v57, 28, v55
	v_sub_nc_u32_e32 v55, 29, v55
	v_cndmask_b32_e64 v20, v56, v55, s1
	v_cndmask_b32_e64 v55, 0, v57, s1
	v_lshl_add_u32 v20, v20, 23, 0x3c000000
	v_lshlrev_b64 v[55:56], v55, v[9:10]
	v_lshlrev_b32_e32 v56, 24, v9
	v_lshlrev_b32_e32 v55, 20, v55
	v_and_b32_e32 v56, 0x80000000, v56
	v_and_b32_e32 v55, 0x700000, v55
	v_or3_b32 v55, v55, v56, v20
.LBB310_392:                            ;   in Loop: Header=BB310_295 Depth=1
	s_or_b32 exec_lo, exec_lo, s28
.LBB310_393:                            ;   in Loop: Header=BB310_295 Depth=1
	s_or_b32 exec_lo, exec_lo, s27
.LBB310_394:                            ;   in Loop: Header=BB310_295 Depth=1
	s_or_b32 exec_lo, exec_lo, s26
	v_cmp_ne_u16_sdwa s1, v9, v10 src0_sel:BYTE_1 src1_sel:DWORD
	s_and_saveexec_b32 s26, s1
	s_cbranch_execz .LBB310_402
; %bb.395:                              ;   in Loop: Header=BB310_295 Depth=1
	v_cmp_ne_u16_sdwa s1, v9, v29 src0_sel:BYTE_1 src1_sel:DWORD
	v_bfrev_b32_e32 v19, 1
	s_and_saveexec_b32 s27, s1
	s_cbranch_execz .LBB310_401
; %bb.396:                              ;   in Loop: Header=BB310_295 Depth=1
	v_and_b32_sdwa v20, v30, v9 dst_sel:DWORD dst_unused:UNUSED_PAD src0_sel:DWORD src1_sel:BYTE_1
	v_mov_b32_e32 v19, 0x7f800001
	s_mov_b32 s28, exec_lo
	v_and_b32_e32 v57, 0x7f, v20
	v_cmpx_ne_u32_e32 0x7f, v57
	s_cbranch_execz .LBB310_400
; %bb.397:                              ;   in Loop: Header=BB310_295 Depth=1
	v_and_b32_e32 v19, 7, v20
	v_mov_b32_e32 v20, v10
	v_lshrrev_b32_e32 v56, 3, v57
	s_mov_b32 s29, exec_lo
	v_cmpx_gt_u32_e32 8, v57
; %bb.398:                              ;   in Loop: Header=BB310_295 Depth=1
	v_ffbh_u32_e32 v56, v19
	v_min_u32_e32 v56, 32, v56
	v_subrev_nc_u32_e32 v57, 28, v56
	v_sub_nc_u32_e32 v56, 29, v56
	v_lshlrev_b64 v[19:20], v57, v[19:20]
	v_and_b32_e32 v19, 7, v19
; %bb.399:                              ;   in Loop: Header=BB310_295 Depth=1
	s_or_b32 exec_lo, exec_lo, s29
	v_lshlrev_b32_e32 v9, 16, v9
	v_lshlrev_b32_e32 v19, 20, v19
	v_lshl_add_u32 v20, v56, 23, 0x3c000000
	v_and_b32_e32 v9, 0x80000000, v9
	v_or3_b32 v19, v19, v9, v20
.LBB310_400:                            ;   in Loop: Header=BB310_295 Depth=1
	s_or_b32 exec_lo, exec_lo, s28
.LBB310_401:                            ;   in Loop: Header=BB310_295 Depth=1
	s_or_b32 exec_lo, exec_lo, s27
.LBB310_402:                            ;   in Loop: Header=BB310_295 Depth=1
	s_or_b32 exec_lo, exec_lo, s26
	v_and_b32_sdwa v9, v18, v31 dst_sel:DWORD dst_unused:UNUSED_PAD src0_sel:WORD_1 src1_sel:DWORD
	v_mov_b32_e32 v20, 0
	v_mov_b32_e32 v56, 0
	s_mov_b32 s26, exec_lo
	v_cmpx_ne_u16_e32 0, v9
	s_cbranch_execz .LBB310_410
; %bb.403:                              ;   in Loop: Header=BB310_295 Depth=1
	v_bfrev_b32_e32 v56, 1
	s_mov_b32 s27, exec_lo
	v_cmpx_ne_u16_e32 0x80, v9
	s_cbranch_execz .LBB310_409
; %bb.404:                              ;   in Loop: Header=BB310_295 Depth=1
	v_bfe_u32 v57, v18, 16, 7
	v_mov_b32_e32 v56, 0x7f800001
	s_mov_b32 s28, exec_lo
	v_cmpx_ne_u32_e32 0x7f, v57
	s_cbranch_execz .LBB310_408
; %bb.405:                              ;   in Loop: Header=BB310_295 Depth=1
	v_and_b32_sdwa v9, v18, v32 dst_sel:DWORD dst_unused:UNUSED_PAD src0_sel:WORD_1 src1_sel:DWORD
	v_lshrrev_b32_e32 v56, 3, v57
	s_mov_b32 s29, exec_lo
	v_cmpx_gt_u32_e32 8, v57
; %bb.406:                              ;   in Loop: Header=BB310_295 Depth=1
	v_ffbh_u32_e32 v56, v9
	v_min_u32_e32 v56, 32, v56
	v_subrev_nc_u32_e32 v57, 28, v56
	v_sub_nc_u32_e32 v56, 29, v56
	v_lshlrev_b64 v[57:58], v57, v[9:10]
	v_and_b32_e32 v9, 7, v57
; %bb.407:                              ;   in Loop: Header=BB310_295 Depth=1
	s_or_b32 exec_lo, exec_lo, s29
	v_lshlrev_b32_sdwa v57, v33, v18 dst_sel:DWORD dst_unused:UNUSED_PAD src0_sel:DWORD src1_sel:WORD_1
	v_lshlrev_b32_e32 v9, 20, v9
	v_lshl_add_u32 v56, v56, 23, 0x3c000000
	v_and_b32_e32 v57, 0x80000000, v57
	v_or3_b32 v56, v9, v57, v56
.LBB310_408:                            ;   in Loop: Header=BB310_295 Depth=1
	s_or_b32 exec_lo, exec_lo, s28
.LBB310_409:                            ;   in Loop: Header=BB310_295 Depth=1
	s_or_b32 exec_lo, exec_lo, s27
.LBB310_410:                            ;   in Loop: Header=BB310_295 Depth=1
	s_or_b32 exec_lo, exec_lo, s26
	s_mov_b32 s26, exec_lo
	v_cmpx_lt_u64_e64 s[2:3], v[17:18]
	s_cbranch_execz .LBB310_418
; %bb.411:                              ;   in Loop: Header=BB310_295 Depth=1
	v_cmp_ne_u32_sdwa s1, v18, v29 src0_sel:BYTE_3 src1_sel:DWORD
	v_bfrev_b32_e32 v20, 1
	s_and_saveexec_b32 s27, s1
	s_cbranch_execz .LBB310_417
; %bb.412:                              ;   in Loop: Header=BB310_295 Depth=1
	v_bfe_u32 v57, v18, 24, 7
	v_mov_b32_e32 v20, 0x7f800001
	s_mov_b32 s28, exec_lo
	v_cmpx_ne_u32_e32 0x7f, v57
	s_cbranch_execz .LBB310_416
; %bb.413:                              ;   in Loop: Header=BB310_295 Depth=1
	v_and_b32_sdwa v9, v18, v32 dst_sel:DWORD dst_unused:UNUSED_PAD src0_sel:BYTE_3 src1_sel:DWORD
	v_lshrrev_b32_e32 v17, 3, v57
	s_mov_b32 s29, exec_lo
	v_cmpx_gt_u32_e32 8, v57
; %bb.414:                              ;   in Loop: Header=BB310_295 Depth=1
	v_ffbh_u32_e32 v17, v9
	v_min_u32_e32 v17, 32, v17
	v_subrev_nc_u32_e32 v20, 28, v17
	v_sub_nc_u32_e32 v17, 29, v17
	v_lshlrev_b64 v[57:58], v20, v[9:10]
	v_and_b32_e32 v9, 7, v57
; %bb.415:                              ;   in Loop: Header=BB310_295 Depth=1
	s_or_b32 exec_lo, exec_lo, s29
	v_lshlrev_b32_sdwa v18, v33, v18 dst_sel:DWORD dst_unused:UNUSED_PAD src0_sel:DWORD src1_sel:BYTE_3
	v_lshlrev_b32_e32 v9, 20, v9
	v_lshl_add_u32 v17, v17, 23, 0x3c000000
	v_and_b32_e32 v18, 0x80000000, v18
	v_or3_b32 v20, v9, v18, v17
.LBB310_416:                            ;   in Loop: Header=BB310_295 Depth=1
	s_or_b32 exec_lo, exec_lo, s28
.LBB310_417:                            ;   in Loop: Header=BB310_295 Depth=1
	s_or_b32 exec_lo, exec_lo, s27
.LBB310_418:                            ;   in Loop: Header=BB310_295 Depth=1
	s_or_b32 exec_lo, exec_lo, s26
	v_mul_f32_e32 v9, s22, v19
	v_mul_f32_e32 v17, s22, v55
	;; [unrolled: 1-line block ×5, first 2 shown]
	v_bfe_u32 v51, v9, 16, 1
	v_or_b32_e32 v54, 0x400000, v9
	v_bfe_u32 v55, v17, 16, 1
	v_cmp_u_f32_e64 s1, v9, v9
	v_or_b32_e32 v57, 0x400000, v17
	v_add3_u32 v51, v51, v9, 0x7fff
	v_bfe_u32 v58, v18, 16, 1
	v_add3_u32 v55, v55, v17, 0x7fff
	v_or_b32_e32 v59, 0x400000, v18
	v_bfe_u32 v60, v19, 16, 1
	v_cndmask_b32_e64 v9, v51, v54, s1
	v_cmp_u_f32_e64 s1, v17, v17
	v_add3_u32 v58, v58, v18, 0x7fff
	v_lshrrev_b32_e32 v51, 16, v9
	v_cndmask_b32_e64 v17, v55, v57, s1
	v_cmp_u_f32_e64 s1, v18, v18
	v_mul_f32_e32 v9, s22, v52
	v_add3_u32 v55, v60, v19, 0x7fff
	v_or_b32_e32 v57, 0x400000, v19
	v_lshrrev_b32_e32 v52, 16, v17
	v_cndmask_b32_e64 v18, v58, v59, s1
	v_bfe_u32 v17, v9, 16, 1
	v_cmp_u_f32_e64 s1, v19, v19
	v_mul_f32_e32 v19, s22, v53
	v_mul_f32_e32 v53, s22, v56
	v_lshrrev_b32_e32 v54, 16, v18
	v_add3_u32 v17, v17, v9, 0x7fff
	v_cndmask_b32_e64 v18, v55, v57, s1
	v_or_b32_e32 v55, 0x400000, v9
	v_bfe_u32 v56, v19, 16, 1
	v_cmp_u_f32_e64 s1, v9, v9
	v_bfe_u32 v57, v53, 16, 1
	v_or_b32_e32 v58, 0x400000, v53
	v_or_b32_e32 v59, 0x400000, v20
	v_cndmask_b32_e64 v9, v17, v55, s1
	v_add3_u32 v55, v56, v19, 0x7fff
	v_or_b32_e32 v56, 0x400000, v19
	v_cmp_u_f32_e64 s1, v19, v19
	v_bfe_u32 v17, v20, 16, 1
	v_add3_u32 v57, v57, v53, 0x7fff
	v_cndmask_b32_e64 v19, v55, v56, s1
	v_cmp_u_f32_e64 s1, v53, v53
	v_add3_u32 v17, v17, v20, 0x7fff
	v_lshrrev_b32_e32 v56, 16, v18
	v_cndmask_b32_e64 v53, v57, v58, s1
	v_cmp_u_f32_e64 s1, v20, v20
	v_lshrrev_b32_e32 v58, 16, v9
	v_lshrrev_b32_e32 v57, 16, v19
	;; [unrolled: 1-line block ×3, first 2 shown]
	v_cndmask_b32_e64 v17, v17, v59, s1
	v_lshrrev_b32_e32 v55, 16, v17
	s_and_saveexec_b32 s26, vcc_lo
	s_cbranch_execz .LBB310_420
; %bb.419:                              ;   in Loop: Header=BB310_295 Depth=1
	v_cmp_gt_i32_e64 s1, s33, v26
	v_cndmask_b32_e64 v57, 0, v57, s1
	v_cmp_gt_i32_e64 s1, s33, v50
	v_cndmask_b32_e64 v58, 0, v58, s1
	;; [unrolled: 2-line block ×8, first 2 shown]
.LBB310_420:                            ;   in Loop: Header=BB310_295 Depth=1
	s_or_b32 exec_lo, exec_lo, s26
	global_load_dwordx2 v[17:18], v[15:16], off offset:512
	v_mov_b32_e32 v60, 0
	v_mov_b32_e32 v59, 0
	s_waitcnt vmcnt(0)
	v_cmp_ne_u16_sdwa s1, v17, v10 src0_sel:BYTE_0 src1_sel:DWORD
	s_and_saveexec_b32 s26, s1
	s_cbranch_execz .LBB310_426
; %bb.421:                              ;   in Loop: Header=BB310_295 Depth=1
	v_cmp_ne_u16_sdwa s1, v17, v29 src0_sel:BYTE_0 src1_sel:DWORD
	v_bfrev_b32_e32 v59, 1
	s_and_saveexec_b32 s27, s1
	s_cbranch_execz .LBB310_425
; %bb.422:                              ;   in Loop: Header=BB310_295 Depth=1
	v_and_b32_e32 v9, 0x7f, v17
	v_mov_b32_e32 v59, 0x7f800001
	s_mov_b32 s28, exec_lo
	v_cmpx_ne_u32_e32 0x7f, v9
	s_cbranch_execz .LBB310_424
; %bb.423:                              ;   in Loop: Header=BB310_295 Depth=1
	v_and_b32_e32 v19, 7, v17
	v_lshrrev_b32_e32 v20, 3, v9
	v_cmp_gt_u32_e64 s1, 8, v9
	v_ffbh_u32_e32 v19, v19
	v_min_u32_e32 v19, 32, v19
	v_subrev_nc_u32_e32 v59, 28, v19
	v_sub_nc_u32_e32 v19, 29, v19
	v_cndmask_b32_e64 v9, v20, v19, s1
	v_cndmask_b32_e64 v19, 0, v59, s1
	v_lshl_add_u32 v9, v9, 23, 0x3c000000
	v_lshlrev_b64 v[19:20], v19, v[17:18]
	v_lshlrev_b32_e32 v20, 24, v17
	v_lshlrev_b32_e32 v19, 20, v19
	v_and_b32_e32 v20, 0x80000000, v20
	v_and_b32_e32 v19, 0x700000, v19
	v_or3_b32 v59, v19, v20, v9
.LBB310_424:                            ;   in Loop: Header=BB310_295 Depth=1
	s_or_b32 exec_lo, exec_lo, s28
.LBB310_425:                            ;   in Loop: Header=BB310_295 Depth=1
	s_or_b32 exec_lo, exec_lo, s27
.LBB310_426:                            ;   in Loop: Header=BB310_295 Depth=1
	s_or_b32 exec_lo, exec_lo, s26
	v_cmp_ne_u16_sdwa s1, v17, v10 src0_sel:BYTE_1 src1_sel:DWORD
	s_and_saveexec_b32 s26, s1
	s_cbranch_execz .LBB310_434
; %bb.427:                              ;   in Loop: Header=BB310_295 Depth=1
	v_cmp_ne_u16_sdwa s1, v17, v29 src0_sel:BYTE_1 src1_sel:DWORD
	v_bfrev_b32_e32 v60, 1
	s_and_saveexec_b32 s27, s1
	s_cbranch_execz .LBB310_433
; %bb.428:                              ;   in Loop: Header=BB310_295 Depth=1
	v_and_b32_sdwa v9, v30, v17 dst_sel:DWORD dst_unused:UNUSED_PAD src0_sel:DWORD src1_sel:BYTE_1
	v_mov_b32_e32 v60, 0x7f800001
	s_mov_b32 s28, exec_lo
	v_and_b32_e32 v20, 0x7f, v9
	v_cmpx_ne_u32_e32 0x7f, v20
	s_cbranch_execz .LBB310_432
; %bb.429:                              ;   in Loop: Header=BB310_295 Depth=1
	v_and_b32_e32 v9, 7, v9
	v_lshrrev_b32_e32 v19, 3, v20
	s_mov_b32 s29, exec_lo
	v_cmpx_gt_u32_e32 8, v20
; %bb.430:                              ;   in Loop: Header=BB310_295 Depth=1
	v_ffbh_u32_e32 v19, v9
	v_min_u32_e32 v19, 32, v19
	v_subrev_nc_u32_e32 v20, 28, v19
	v_sub_nc_u32_e32 v19, 29, v19
	v_lshlrev_b64 v[60:61], v20, v[9:10]
	v_and_b32_e32 v9, 7, v60
; %bb.431:                              ;   in Loop: Header=BB310_295 Depth=1
	s_or_b32 exec_lo, exec_lo, s29
	v_lshlrev_b32_e32 v20, 16, v17
	v_lshlrev_b32_e32 v9, 20, v9
	v_lshl_add_u32 v19, v19, 23, 0x3c000000
	v_and_b32_e32 v20, 0x80000000, v20
	v_or3_b32 v60, v9, v20, v19
.LBB310_432:                            ;   in Loop: Header=BB310_295 Depth=1
	s_or_b32 exec_lo, exec_lo, s28
.LBB310_433:                            ;   in Loop: Header=BB310_295 Depth=1
	s_or_b32 exec_lo, exec_lo, s27
.LBB310_434:                            ;   in Loop: Header=BB310_295 Depth=1
	s_or_b32 exec_lo, exec_lo, s26
	v_and_b32_sdwa v9, v17, v31 dst_sel:DWORD dst_unused:UNUSED_PAD src0_sel:WORD_1 src1_sel:DWORD
	v_mov_b32_e32 v62, 0
	v_mov_b32_e32 v61, 0
	s_mov_b32 s26, exec_lo
	v_cmpx_ne_u16_e32 0, v9
	s_cbranch_execz .LBB310_442
; %bb.435:                              ;   in Loop: Header=BB310_295 Depth=1
	v_bfrev_b32_e32 v61, 1
	s_mov_b32 s27, exec_lo
	v_cmpx_ne_u16_e32 0x80, v9
	s_cbranch_execz .LBB310_441
; %bb.436:                              ;   in Loop: Header=BB310_295 Depth=1
	v_bfe_u32 v20, v17, 16, 7
	v_mov_b32_e32 v61, 0x7f800001
	s_mov_b32 s28, exec_lo
	v_cmpx_ne_u32_e32 0x7f, v20
	s_cbranch_execz .LBB310_440
; %bb.437:                              ;   in Loop: Header=BB310_295 Depth=1
	v_and_b32_sdwa v9, v17, v32 dst_sel:DWORD dst_unused:UNUSED_PAD src0_sel:WORD_1 src1_sel:DWORD
	v_lshrrev_b32_e32 v19, 3, v20
	s_mov_b32 s29, exec_lo
	v_cmpx_gt_u32_e32 8, v20
; %bb.438:                              ;   in Loop: Header=BB310_295 Depth=1
	v_ffbh_u32_e32 v19, v9
	v_min_u32_e32 v19, 32, v19
	v_subrev_nc_u32_e32 v20, 28, v19
	v_sub_nc_u32_e32 v19, 29, v19
	v_lshlrev_b64 v[63:64], v20, v[9:10]
	v_and_b32_e32 v9, 7, v63
; %bb.439:                              ;   in Loop: Header=BB310_295 Depth=1
	s_or_b32 exec_lo, exec_lo, s29
	v_lshlrev_b32_sdwa v20, v33, v17 dst_sel:DWORD dst_unused:UNUSED_PAD src0_sel:DWORD src1_sel:WORD_1
	v_lshlrev_b32_e32 v9, 20, v9
	v_lshl_add_u32 v19, v19, 23, 0x3c000000
	v_and_b32_e32 v20, 0x80000000, v20
	v_or3_b32 v61, v9, v20, v19
.LBB310_440:                            ;   in Loop: Header=BB310_295 Depth=1
	s_or_b32 exec_lo, exec_lo, s28
.LBB310_441:                            ;   in Loop: Header=BB310_295 Depth=1
	s_or_b32 exec_lo, exec_lo, s27
.LBB310_442:                            ;   in Loop: Header=BB310_295 Depth=1
	s_or_b32 exec_lo, exec_lo, s26
	s_mov_b32 s26, exec_lo
	v_cmpx_lt_u32_e32 0xffffff, v17
	s_cbranch_execz .LBB310_450
; %bb.443:                              ;   in Loop: Header=BB310_295 Depth=1
	v_cmp_ne_u32_sdwa s1, v17, v29 src0_sel:BYTE_3 src1_sel:DWORD
	v_bfrev_b32_e32 v62, 1
	s_and_saveexec_b32 s27, s1
	s_cbranch_execz .LBB310_449
; %bb.444:                              ;   in Loop: Header=BB310_295 Depth=1
	v_bfe_u32 v20, v17, 24, 7
	v_mov_b32_e32 v62, 0x7f800001
	s_mov_b32 s28, exec_lo
	v_cmpx_ne_u32_e32 0x7f, v20
	s_cbranch_execz .LBB310_448
; %bb.445:                              ;   in Loop: Header=BB310_295 Depth=1
	v_and_b32_sdwa v9, v17, v32 dst_sel:DWORD dst_unused:UNUSED_PAD src0_sel:BYTE_3 src1_sel:DWORD
	v_lshrrev_b32_e32 v19, 3, v20
	s_mov_b32 s29, exec_lo
	v_cmpx_gt_u32_e32 8, v20
; %bb.446:                              ;   in Loop: Header=BB310_295 Depth=1
	v_ffbh_u32_e32 v19, v9
	v_min_u32_e32 v19, 32, v19
	v_subrev_nc_u32_e32 v20, 28, v19
	v_sub_nc_u32_e32 v19, 29, v19
	v_lshlrev_b64 v[62:63], v20, v[9:10]
	v_and_b32_e32 v9, 7, v62
; %bb.447:                              ;   in Loop: Header=BB310_295 Depth=1
	s_or_b32 exec_lo, exec_lo, s29
	v_lshlrev_b32_sdwa v20, v33, v17 dst_sel:DWORD dst_unused:UNUSED_PAD src0_sel:DWORD src1_sel:BYTE_3
	v_lshlrev_b32_e32 v9, 20, v9
	v_lshl_add_u32 v19, v19, 23, 0x3c000000
	v_and_b32_e32 v20, 0x80000000, v20
	v_or3_b32 v62, v9, v20, v19
.LBB310_448:                            ;   in Loop: Header=BB310_295 Depth=1
	s_or_b32 exec_lo, exec_lo, s28
.LBB310_449:                            ;   in Loop: Header=BB310_295 Depth=1
	s_or_b32 exec_lo, exec_lo, s27
.LBB310_450:                            ;   in Loop: Header=BB310_295 Depth=1
	s_or_b32 exec_lo, exec_lo, s26
	v_mov_b32_e32 v9, v18
	v_cmp_ne_u16_sdwa s1, v18, v10 src0_sel:BYTE_0 src1_sel:DWORD
	v_mov_b32_e32 v19, 0
	v_mov_b32_e32 v63, 0
	s_and_saveexec_b32 s26, s1
	s_cbranch_execz .LBB310_456
; %bb.451:                              ;   in Loop: Header=BB310_295 Depth=1
	v_cmp_ne_u16_sdwa s1, v18, v29 src0_sel:BYTE_0 src1_sel:DWORD
	v_bfrev_b32_e32 v63, 1
	s_and_saveexec_b32 s27, s1
	s_cbranch_execz .LBB310_455
; %bb.452:                              ;   in Loop: Header=BB310_295 Depth=1
	v_and_b32_e32 v20, 0x7f, v18
	v_mov_b32_e32 v63, 0x7f800001
	s_mov_b32 s28, exec_lo
	v_cmpx_ne_u32_e32 0x7f, v20
	s_cbranch_execz .LBB310_454
; %bb.453:                              ;   in Loop: Header=BB310_295 Depth=1
	v_and_b32_e32 v63, 7, v18
	v_lshrrev_b32_e32 v64, 3, v20
	v_cmp_gt_u32_e64 s1, 8, v20
	v_ffbh_u32_e32 v63, v63
	v_min_u32_e32 v63, 32, v63
	v_subrev_nc_u32_e32 v65, 28, v63
	v_sub_nc_u32_e32 v63, 29, v63
	v_cndmask_b32_e64 v20, v64, v63, s1
	v_cndmask_b32_e64 v63, 0, v65, s1
	v_lshl_add_u32 v20, v20, 23, 0x3c000000
	v_lshlrev_b64 v[63:64], v63, v[9:10]
	v_lshlrev_b32_e32 v64, 24, v9
	v_lshlrev_b32_e32 v63, 20, v63
	v_and_b32_e32 v64, 0x80000000, v64
	v_and_b32_e32 v63, 0x700000, v63
	v_or3_b32 v63, v63, v64, v20
.LBB310_454:                            ;   in Loop: Header=BB310_295 Depth=1
	s_or_b32 exec_lo, exec_lo, s28
.LBB310_455:                            ;   in Loop: Header=BB310_295 Depth=1
	s_or_b32 exec_lo, exec_lo, s27
.LBB310_456:                            ;   in Loop: Header=BB310_295 Depth=1
	s_or_b32 exec_lo, exec_lo, s26
	v_cmp_ne_u16_sdwa s1, v9, v10 src0_sel:BYTE_1 src1_sel:DWORD
	s_and_saveexec_b32 s26, s1
	s_cbranch_execz .LBB310_464
; %bb.457:                              ;   in Loop: Header=BB310_295 Depth=1
	v_cmp_ne_u16_sdwa s1, v9, v29 src0_sel:BYTE_1 src1_sel:DWORD
	v_bfrev_b32_e32 v19, 1
	s_and_saveexec_b32 s27, s1
	s_cbranch_execz .LBB310_463
; %bb.458:                              ;   in Loop: Header=BB310_295 Depth=1
	v_and_b32_sdwa v20, v30, v9 dst_sel:DWORD dst_unused:UNUSED_PAD src0_sel:DWORD src1_sel:BYTE_1
	v_mov_b32_e32 v19, 0x7f800001
	s_mov_b32 s28, exec_lo
	v_and_b32_e32 v65, 0x7f, v20
	v_cmpx_ne_u32_e32 0x7f, v65
	s_cbranch_execz .LBB310_462
; %bb.459:                              ;   in Loop: Header=BB310_295 Depth=1
	v_and_b32_e32 v19, 7, v20
	v_mov_b32_e32 v20, v10
	v_lshrrev_b32_e32 v64, 3, v65
	s_mov_b32 s29, exec_lo
	v_cmpx_gt_u32_e32 8, v65
; %bb.460:                              ;   in Loop: Header=BB310_295 Depth=1
	v_ffbh_u32_e32 v64, v19
	v_min_u32_e32 v64, 32, v64
	v_subrev_nc_u32_e32 v65, 28, v64
	v_sub_nc_u32_e32 v64, 29, v64
	v_lshlrev_b64 v[19:20], v65, v[19:20]
	v_and_b32_e32 v19, 7, v19
; %bb.461:                              ;   in Loop: Header=BB310_295 Depth=1
	s_or_b32 exec_lo, exec_lo, s29
	v_lshlrev_b32_e32 v9, 16, v9
	v_lshlrev_b32_e32 v19, 20, v19
	v_lshl_add_u32 v20, v64, 23, 0x3c000000
	v_and_b32_e32 v9, 0x80000000, v9
	v_or3_b32 v19, v19, v9, v20
.LBB310_462:                            ;   in Loop: Header=BB310_295 Depth=1
	s_or_b32 exec_lo, exec_lo, s28
.LBB310_463:                            ;   in Loop: Header=BB310_295 Depth=1
	s_or_b32 exec_lo, exec_lo, s27
.LBB310_464:                            ;   in Loop: Header=BB310_295 Depth=1
	s_or_b32 exec_lo, exec_lo, s26
	v_and_b32_sdwa v9, v18, v31 dst_sel:DWORD dst_unused:UNUSED_PAD src0_sel:WORD_1 src1_sel:DWORD
	v_mov_b32_e32 v64, 0
	v_mov_b32_e32 v65, 0
	s_mov_b32 s26, exec_lo
	v_cmpx_ne_u16_e32 0, v9
	s_cbranch_execz .LBB310_472
; %bb.465:                              ;   in Loop: Header=BB310_295 Depth=1
	v_bfrev_b32_e32 v65, 1
	s_mov_b32 s27, exec_lo
	v_cmpx_ne_u16_e32 0x80, v9
	s_cbranch_execz .LBB310_471
; %bb.466:                              ;   in Loop: Header=BB310_295 Depth=1
	v_bfe_u32 v66, v18, 16, 7
	v_mov_b32_e32 v65, 0x7f800001
	s_mov_b32 s28, exec_lo
	v_cmpx_ne_u32_e32 0x7f, v66
	s_cbranch_execz .LBB310_470
; %bb.467:                              ;   in Loop: Header=BB310_295 Depth=1
	v_and_b32_sdwa v9, v18, v32 dst_sel:DWORD dst_unused:UNUSED_PAD src0_sel:WORD_1 src1_sel:DWORD
	v_lshrrev_b32_e32 v20, 3, v66
	s_mov_b32 s29, exec_lo
	v_cmpx_gt_u32_e32 8, v66
; %bb.468:                              ;   in Loop: Header=BB310_295 Depth=1
	v_ffbh_u32_e32 v20, v9
	v_min_u32_e32 v20, 32, v20
	v_subrev_nc_u32_e32 v65, 28, v20
	v_sub_nc_u32_e32 v20, 29, v20
	v_lshlrev_b64 v[65:66], v65, v[9:10]
	v_and_b32_e32 v9, 7, v65
; %bb.469:                              ;   in Loop: Header=BB310_295 Depth=1
	s_or_b32 exec_lo, exec_lo, s29
	v_lshlrev_b32_sdwa v65, v33, v18 dst_sel:DWORD dst_unused:UNUSED_PAD src0_sel:DWORD src1_sel:WORD_1
	v_lshlrev_b32_e32 v9, 20, v9
	v_lshl_add_u32 v20, v20, 23, 0x3c000000
	v_and_b32_e32 v65, 0x80000000, v65
	v_or3_b32 v65, v9, v65, v20
.LBB310_470:                            ;   in Loop: Header=BB310_295 Depth=1
	s_or_b32 exec_lo, exec_lo, s28
.LBB310_471:                            ;   in Loop: Header=BB310_295 Depth=1
	s_or_b32 exec_lo, exec_lo, s27
.LBB310_472:                            ;   in Loop: Header=BB310_295 Depth=1
	s_or_b32 exec_lo, exec_lo, s26
	s_mov_b32 s26, exec_lo
	v_cmpx_lt_u64_e64 s[2:3], v[17:18]
	s_cbranch_execz .LBB310_480
; %bb.473:                              ;   in Loop: Header=BB310_295 Depth=1
	v_cmp_ne_u32_sdwa s1, v18, v29 src0_sel:BYTE_3 src1_sel:DWORD
	v_bfrev_b32_e32 v64, 1
	s_and_saveexec_b32 s27, s1
	s_cbranch_execz .LBB310_479
; %bb.474:                              ;   in Loop: Header=BB310_295 Depth=1
	v_bfe_u32 v20, v18, 24, 7
	v_mov_b32_e32 v64, 0x7f800001
	s_mov_b32 s28, exec_lo
	v_cmpx_ne_u32_e32 0x7f, v20
	s_cbranch_execz .LBB310_478
; %bb.475:                              ;   in Loop: Header=BB310_295 Depth=1
	v_and_b32_sdwa v9, v18, v32 dst_sel:DWORD dst_unused:UNUSED_PAD src0_sel:BYTE_3 src1_sel:DWORD
	v_lshrrev_b32_e32 v17, 3, v20
	s_mov_b32 s29, exec_lo
	v_cmpx_gt_u32_e32 8, v20
; %bb.476:                              ;   in Loop: Header=BB310_295 Depth=1
	v_ffbh_u32_e32 v17, v9
	v_min_u32_e32 v17, 32, v17
	v_subrev_nc_u32_e32 v20, 28, v17
	v_sub_nc_u32_e32 v17, 29, v17
	v_lshlrev_b64 v[66:67], v20, v[9:10]
	v_and_b32_e32 v9, 7, v66
; %bb.477:                              ;   in Loop: Header=BB310_295 Depth=1
	s_or_b32 exec_lo, exec_lo, s29
	v_lshlrev_b32_sdwa v18, v33, v18 dst_sel:DWORD dst_unused:UNUSED_PAD src0_sel:DWORD src1_sel:BYTE_3
	v_lshlrev_b32_e32 v9, 20, v9
	v_lshl_add_u32 v17, v17, 23, 0x3c000000
	v_and_b32_e32 v18, 0x80000000, v18
	v_or3_b32 v64, v9, v18, v17
.LBB310_478:                            ;   in Loop: Header=BB310_295 Depth=1
	s_or_b32 exec_lo, exec_lo, s28
.LBB310_479:                            ;   in Loop: Header=BB310_295 Depth=1
	s_or_b32 exec_lo, exec_lo, s27
.LBB310_480:                            ;   in Loop: Header=BB310_295 Depth=1
	s_or_b32 exec_lo, exec_lo, s26
	v_mul_f32_e32 v9, s22, v19
	v_mul_f32_e32 v17, s22, v63
	;; [unrolled: 1-line block ×5, first 2 shown]
	v_bfe_u32 v19, v9, 16, 1
	v_or_b32_e32 v20, 0x400000, v9
	v_bfe_u32 v61, v17, 16, 1
	v_cmp_u_f32_e64 s1, v9, v9
	v_or_b32_e32 v63, 0x400000, v17
	v_add3_u32 v19, v19, v9, 0x7fff
	v_bfe_u32 v66, v18, 16, 1
	v_add3_u32 v61, v61, v17, 0x7fff
	v_or_b32_e32 v67, 0x400000, v18
	v_bfe_u32 v68, v62, 16, 1
	v_cndmask_b32_e64 v9, v19, v20, s1
	v_cmp_u_f32_e64 s1, v17, v17
	v_add3_u32 v66, v66, v18, 0x7fff
	v_lshrrev_b32_e32 v19, 16, v9
	v_cndmask_b32_e64 v17, v61, v63, s1
	v_cmp_u_f32_e64 s1, v18, v18
	v_mul_f32_e32 v9, s22, v60
	v_add3_u32 v60, v68, v62, 0x7fff
	v_or_b32_e32 v63, 0x400000, v62
	v_lshrrev_b32_e32 v20, 16, v17
	v_cndmask_b32_e64 v18, v66, v67, s1
	v_bfe_u32 v17, v9, 16, 1
	v_cmp_u_f32_e64 s1, v62, v62
	v_or_b32_e32 v62, 0x400000, v9
	v_lshrrev_b32_e32 v61, 16, v18
	v_add3_u32 v17, v17, v9, 0x7fff
	v_cndmask_b32_e64 v18, v60, v63, s1
	v_mul_f32_e32 v60, s22, v65
	v_mul_f32_e32 v63, s22, v64
	v_bfe_u32 v64, v59, 16, 1
	v_cmp_u_f32_e64 s1, v9, v9
	v_bfe_u32 v65, v60, 16, 1
	v_or_b32_e32 v66, 0x400000, v60
	v_or_b32_e32 v67, 0x400000, v63
	v_cndmask_b32_e64 v9, v17, v62, s1
	v_add3_u32 v62, v64, v59, 0x7fff
	v_or_b32_e32 v64, 0x400000, v59
	v_cmp_u_f32_e64 s1, v59, v59
	v_bfe_u32 v17, v63, 16, 1
	v_add3_u32 v65, v65, v60, 0x7fff
	v_cndmask_b32_e64 v59, v62, v64, s1
	v_cmp_u_f32_e64 s1, v60, v60
	v_add3_u32 v17, v17, v63, 0x7fff
	v_lshrrev_b32_e32 v62, 16, v18
	v_lshrrev_b32_e32 v64, 16, v9
	v_cndmask_b32_e64 v60, v65, v66, s1
	v_cmp_u_f32_e64 s1, v63, v63
	v_lshrrev_b32_e32 v63, 16, v59
	v_lshrrev_b32_e32 v59, 16, v60
	v_cndmask_b32_e64 v17, v17, v67, s1
	v_lshrrev_b32_e32 v60, 16, v17
	s_and_saveexec_b32 s26, vcc_lo
	s_cbranch_execz .LBB310_482
; %bb.481:                              ;   in Loop: Header=BB310_295 Depth=1
	v_cmp_gt_i32_e64 s1, s33, v26
	v_cndmask_b32_e64 v63, 0, v63, s1
	v_cmp_gt_i32_e64 s1, s33, v50
	v_cndmask_b32_e64 v64, 0, v64, s1
	;; [unrolled: 2-line block ×8, first 2 shown]
.LBB310_482:                            ;   in Loop: Header=BB310_295 Depth=1
	s_or_b32 exec_lo, exec_lo, s26
	global_load_dwordx2 v[15:16], v[15:16], off offset:768
	v_mov_b32_e32 v66, 0
	v_mov_b32_e32 v65, 0
	s_waitcnt vmcnt(0)
	v_cmp_ne_u16_sdwa s1, v15, v10 src0_sel:BYTE_0 src1_sel:DWORD
	s_and_saveexec_b32 s26, s1
	s_cbranch_execz .LBB310_488
; %bb.483:                              ;   in Loop: Header=BB310_295 Depth=1
	v_cmp_ne_u16_sdwa s1, v15, v29 src0_sel:BYTE_0 src1_sel:DWORD
	v_bfrev_b32_e32 v65, 1
	s_and_saveexec_b32 s27, s1
	s_cbranch_execz .LBB310_487
; %bb.484:                              ;   in Loop: Header=BB310_295 Depth=1
	v_and_b32_e32 v9, 0x7f, v15
	v_mov_b32_e32 v65, 0x7f800001
	s_mov_b32 s28, exec_lo
	v_cmpx_ne_u32_e32 0x7f, v9
	s_cbranch_execz .LBB310_486
; %bb.485:                              ;   in Loop: Header=BB310_295 Depth=1
	v_and_b32_e32 v17, 7, v15
	v_lshrrev_b32_e32 v18, 3, v9
	v_cmp_gt_u32_e64 s1, 8, v9
	v_ffbh_u32_e32 v17, v17
	v_min_u32_e32 v17, 32, v17
	v_subrev_nc_u32_e32 v65, 28, v17
	v_sub_nc_u32_e32 v17, 29, v17
	v_cndmask_b32_e64 v9, v18, v17, s1
	v_cndmask_b32_e64 v17, 0, v65, s1
	v_lshl_add_u32 v9, v9, 23, 0x3c000000
	v_lshlrev_b64 v[17:18], v17, v[15:16]
	v_lshlrev_b32_e32 v18, 24, v15
	v_lshlrev_b32_e32 v17, 20, v17
	v_and_b32_e32 v18, 0x80000000, v18
	v_and_b32_e32 v17, 0x700000, v17
	v_or3_b32 v65, v17, v18, v9
.LBB310_486:                            ;   in Loop: Header=BB310_295 Depth=1
	s_or_b32 exec_lo, exec_lo, s28
.LBB310_487:                            ;   in Loop: Header=BB310_295 Depth=1
	s_or_b32 exec_lo, exec_lo, s27
.LBB310_488:                            ;   in Loop: Header=BB310_295 Depth=1
	s_or_b32 exec_lo, exec_lo, s26
	v_cmp_ne_u16_sdwa s1, v15, v10 src0_sel:BYTE_1 src1_sel:DWORD
	s_and_saveexec_b32 s26, s1
	s_cbranch_execz .LBB310_496
; %bb.489:                              ;   in Loop: Header=BB310_295 Depth=1
	v_cmp_ne_u16_sdwa s1, v15, v29 src0_sel:BYTE_1 src1_sel:DWORD
	v_bfrev_b32_e32 v66, 1
	s_and_saveexec_b32 s27, s1
	s_cbranch_execz .LBB310_495
; %bb.490:                              ;   in Loop: Header=BB310_295 Depth=1
	v_and_b32_sdwa v9, v30, v15 dst_sel:DWORD dst_unused:UNUSED_PAD src0_sel:DWORD src1_sel:BYTE_1
	v_mov_b32_e32 v66, 0x7f800001
	s_mov_b32 s28, exec_lo
	v_and_b32_e32 v18, 0x7f, v9
	v_cmpx_ne_u32_e32 0x7f, v18
	s_cbranch_execz .LBB310_494
; %bb.491:                              ;   in Loop: Header=BB310_295 Depth=1
	v_and_b32_e32 v9, 7, v9
	v_lshrrev_b32_e32 v17, 3, v18
	s_mov_b32 s29, exec_lo
	v_cmpx_gt_u32_e32 8, v18
; %bb.492:                              ;   in Loop: Header=BB310_295 Depth=1
	v_ffbh_u32_e32 v17, v9
	v_min_u32_e32 v17, 32, v17
	v_subrev_nc_u32_e32 v18, 28, v17
	v_sub_nc_u32_e32 v17, 29, v17
	v_lshlrev_b64 v[66:67], v18, v[9:10]
	v_and_b32_e32 v9, 7, v66
; %bb.493:                              ;   in Loop: Header=BB310_295 Depth=1
	s_or_b32 exec_lo, exec_lo, s29
	v_lshlrev_b32_e32 v18, 16, v15
	v_lshlrev_b32_e32 v9, 20, v9
	v_lshl_add_u32 v17, v17, 23, 0x3c000000
	v_and_b32_e32 v18, 0x80000000, v18
	v_or3_b32 v66, v9, v18, v17
.LBB310_494:                            ;   in Loop: Header=BB310_295 Depth=1
	s_or_b32 exec_lo, exec_lo, s28
.LBB310_495:                            ;   in Loop: Header=BB310_295 Depth=1
	s_or_b32 exec_lo, exec_lo, s27
.LBB310_496:                            ;   in Loop: Header=BB310_295 Depth=1
	s_or_b32 exec_lo, exec_lo, s26
	v_and_b32_sdwa v9, v15, v31 dst_sel:DWORD dst_unused:UNUSED_PAD src0_sel:WORD_1 src1_sel:DWORD
	v_mov_b32_e32 v68, 0
	v_mov_b32_e32 v67, 0
	s_mov_b32 s26, exec_lo
	v_cmpx_ne_u16_e32 0, v9
	s_cbranch_execz .LBB310_504
; %bb.497:                              ;   in Loop: Header=BB310_295 Depth=1
	v_bfrev_b32_e32 v67, 1
	s_mov_b32 s27, exec_lo
	v_cmpx_ne_u16_e32 0x80, v9
	s_cbranch_execz .LBB310_503
; %bb.498:                              ;   in Loop: Header=BB310_295 Depth=1
	v_bfe_u32 v18, v15, 16, 7
	v_mov_b32_e32 v67, 0x7f800001
	s_mov_b32 s28, exec_lo
	v_cmpx_ne_u32_e32 0x7f, v18
	s_cbranch_execz .LBB310_502
; %bb.499:                              ;   in Loop: Header=BB310_295 Depth=1
	v_and_b32_sdwa v9, v15, v32 dst_sel:DWORD dst_unused:UNUSED_PAD src0_sel:WORD_1 src1_sel:DWORD
	v_lshrrev_b32_e32 v17, 3, v18
	s_mov_b32 s29, exec_lo
	v_cmpx_gt_u32_e32 8, v18
; %bb.500:                              ;   in Loop: Header=BB310_295 Depth=1
	v_ffbh_u32_e32 v17, v9
	v_min_u32_e32 v17, 32, v17
	v_subrev_nc_u32_e32 v18, 28, v17
	v_sub_nc_u32_e32 v17, 29, v17
	v_lshlrev_b64 v[69:70], v18, v[9:10]
	v_and_b32_e32 v9, 7, v69
; %bb.501:                              ;   in Loop: Header=BB310_295 Depth=1
	s_or_b32 exec_lo, exec_lo, s29
	v_lshlrev_b32_sdwa v18, v33, v15 dst_sel:DWORD dst_unused:UNUSED_PAD src0_sel:DWORD src1_sel:WORD_1
	v_lshlrev_b32_e32 v9, 20, v9
	v_lshl_add_u32 v17, v17, 23, 0x3c000000
	v_and_b32_e32 v18, 0x80000000, v18
	v_or3_b32 v67, v9, v18, v17
.LBB310_502:                            ;   in Loop: Header=BB310_295 Depth=1
	s_or_b32 exec_lo, exec_lo, s28
.LBB310_503:                            ;   in Loop: Header=BB310_295 Depth=1
	s_or_b32 exec_lo, exec_lo, s27
.LBB310_504:                            ;   in Loop: Header=BB310_295 Depth=1
	s_or_b32 exec_lo, exec_lo, s26
	s_mov_b32 s26, exec_lo
	v_cmpx_lt_u32_e32 0xffffff, v15
	s_cbranch_execz .LBB310_512
; %bb.505:                              ;   in Loop: Header=BB310_295 Depth=1
	v_cmp_ne_u32_sdwa s1, v15, v29 src0_sel:BYTE_3 src1_sel:DWORD
	v_bfrev_b32_e32 v68, 1
	s_and_saveexec_b32 s27, s1
	s_cbranch_execz .LBB310_511
; %bb.506:                              ;   in Loop: Header=BB310_295 Depth=1
	v_bfe_u32 v18, v15, 24, 7
	v_mov_b32_e32 v68, 0x7f800001
	s_mov_b32 s28, exec_lo
	v_cmpx_ne_u32_e32 0x7f, v18
	s_cbranch_execz .LBB310_510
; %bb.507:                              ;   in Loop: Header=BB310_295 Depth=1
	v_and_b32_sdwa v9, v15, v32 dst_sel:DWORD dst_unused:UNUSED_PAD src0_sel:BYTE_3 src1_sel:DWORD
	v_lshrrev_b32_e32 v17, 3, v18
	s_mov_b32 s29, exec_lo
	v_cmpx_gt_u32_e32 8, v18
; %bb.508:                              ;   in Loop: Header=BB310_295 Depth=1
	v_ffbh_u32_e32 v17, v9
	v_min_u32_e32 v17, 32, v17
	v_subrev_nc_u32_e32 v18, 28, v17
	v_sub_nc_u32_e32 v17, 29, v17
	v_lshlrev_b64 v[68:69], v18, v[9:10]
	v_and_b32_e32 v9, 7, v68
; %bb.509:                              ;   in Loop: Header=BB310_295 Depth=1
	s_or_b32 exec_lo, exec_lo, s29
	v_lshlrev_b32_sdwa v18, v33, v15 dst_sel:DWORD dst_unused:UNUSED_PAD src0_sel:DWORD src1_sel:BYTE_3
	v_lshlrev_b32_e32 v9, 20, v9
	v_lshl_add_u32 v17, v17, 23, 0x3c000000
	v_and_b32_e32 v18, 0x80000000, v18
	v_or3_b32 v68, v9, v18, v17
.LBB310_510:                            ;   in Loop: Header=BB310_295 Depth=1
	s_or_b32 exec_lo, exec_lo, s28
.LBB310_511:                            ;   in Loop: Header=BB310_295 Depth=1
	s_or_b32 exec_lo, exec_lo, s27
.LBB310_512:                            ;   in Loop: Header=BB310_295 Depth=1
	s_or_b32 exec_lo, exec_lo, s26
	v_mov_b32_e32 v9, v16
	v_cmp_ne_u16_sdwa s1, v16, v10 src0_sel:BYTE_0 src1_sel:DWORD
	v_mov_b32_e32 v17, 0
	v_mov_b32_e32 v69, 0
	s_and_saveexec_b32 s26, s1
	s_cbranch_execz .LBB310_518
; %bb.513:                              ;   in Loop: Header=BB310_295 Depth=1
	v_cmp_ne_u16_sdwa s1, v16, v29 src0_sel:BYTE_0 src1_sel:DWORD
	v_bfrev_b32_e32 v69, 1
	s_and_saveexec_b32 s27, s1
	s_cbranch_execz .LBB310_517
; %bb.514:                              ;   in Loop: Header=BB310_295 Depth=1
	v_and_b32_e32 v18, 0x7f, v16
	v_mov_b32_e32 v69, 0x7f800001
	s_mov_b32 s28, exec_lo
	v_cmpx_ne_u32_e32 0x7f, v18
	s_cbranch_execz .LBB310_516
; %bb.515:                              ;   in Loop: Header=BB310_295 Depth=1
	v_and_b32_e32 v69, 7, v16
	v_lshrrev_b32_e32 v70, 3, v18
	v_cmp_gt_u32_e64 s1, 8, v18
	v_ffbh_u32_e32 v69, v69
	v_min_u32_e32 v69, 32, v69
	v_subrev_nc_u32_e32 v71, 28, v69
	v_sub_nc_u32_e32 v69, 29, v69
	v_cndmask_b32_e64 v18, v70, v69, s1
	v_cndmask_b32_e64 v69, 0, v71, s1
	v_lshl_add_u32 v18, v18, 23, 0x3c000000
	v_lshlrev_b64 v[69:70], v69, v[9:10]
	v_lshlrev_b32_e32 v70, 24, v9
	v_lshlrev_b32_e32 v69, 20, v69
	v_and_b32_e32 v70, 0x80000000, v70
	v_and_b32_e32 v69, 0x700000, v69
	v_or3_b32 v69, v69, v70, v18
.LBB310_516:                            ;   in Loop: Header=BB310_295 Depth=1
	s_or_b32 exec_lo, exec_lo, s28
.LBB310_517:                            ;   in Loop: Header=BB310_295 Depth=1
	s_or_b32 exec_lo, exec_lo, s27
.LBB310_518:                            ;   in Loop: Header=BB310_295 Depth=1
	s_or_b32 exec_lo, exec_lo, s26
	v_cmp_ne_u16_sdwa s1, v9, v10 src0_sel:BYTE_1 src1_sel:DWORD
	s_and_saveexec_b32 s26, s1
	s_cbranch_execz .LBB310_526
; %bb.519:                              ;   in Loop: Header=BB310_295 Depth=1
	v_cmp_ne_u16_sdwa s1, v9, v29 src0_sel:BYTE_1 src1_sel:DWORD
	v_bfrev_b32_e32 v17, 1
	s_and_saveexec_b32 s27, s1
	s_cbranch_execz .LBB310_525
; %bb.520:                              ;   in Loop: Header=BB310_295 Depth=1
	v_and_b32_sdwa v18, v30, v9 dst_sel:DWORD dst_unused:UNUSED_PAD src0_sel:DWORD src1_sel:BYTE_1
	v_mov_b32_e32 v17, 0x7f800001
	s_mov_b32 s28, exec_lo
	v_and_b32_e32 v71, 0x7f, v18
	v_cmpx_ne_u32_e32 0x7f, v71
	s_cbranch_execz .LBB310_524
; %bb.521:                              ;   in Loop: Header=BB310_295 Depth=1
	v_and_b32_e32 v17, 7, v18
	v_mov_b32_e32 v18, v10
	v_lshrrev_b32_e32 v70, 3, v71
	s_mov_b32 s29, exec_lo
	v_cmpx_gt_u32_e32 8, v71
; %bb.522:                              ;   in Loop: Header=BB310_295 Depth=1
	v_ffbh_u32_e32 v70, v17
	v_min_u32_e32 v70, 32, v70
	v_subrev_nc_u32_e32 v71, 28, v70
	v_sub_nc_u32_e32 v70, 29, v70
	v_lshlrev_b64 v[17:18], v71, v[17:18]
	v_and_b32_e32 v17, 7, v17
; %bb.523:                              ;   in Loop: Header=BB310_295 Depth=1
	s_or_b32 exec_lo, exec_lo, s29
	v_lshlrev_b32_e32 v9, 16, v9
	v_lshlrev_b32_e32 v17, 20, v17
	v_lshl_add_u32 v18, v70, 23, 0x3c000000
	v_and_b32_e32 v9, 0x80000000, v9
	v_or3_b32 v17, v17, v9, v18
.LBB310_524:                            ;   in Loop: Header=BB310_295 Depth=1
	s_or_b32 exec_lo, exec_lo, s28
.LBB310_525:                            ;   in Loop: Header=BB310_295 Depth=1
	s_or_b32 exec_lo, exec_lo, s27
.LBB310_526:                            ;   in Loop: Header=BB310_295 Depth=1
	s_or_b32 exec_lo, exec_lo, s26
	v_and_b32_sdwa v9, v16, v31 dst_sel:DWORD dst_unused:UNUSED_PAD src0_sel:WORD_1 src1_sel:DWORD
	v_mov_b32_e32 v18, 0
	v_mov_b32_e32 v70, 0
	s_mov_b32 s26, exec_lo
	v_cmpx_ne_u16_e32 0, v9
	s_cbranch_execz .LBB310_534
; %bb.527:                              ;   in Loop: Header=BB310_295 Depth=1
	v_bfrev_b32_e32 v70, 1
	s_mov_b32 s27, exec_lo
	v_cmpx_ne_u16_e32 0x80, v9
	s_cbranch_execz .LBB310_533
; %bb.528:                              ;   in Loop: Header=BB310_295 Depth=1
	v_bfe_u32 v71, v16, 16, 7
	v_mov_b32_e32 v70, 0x7f800001
	s_mov_b32 s28, exec_lo
	v_cmpx_ne_u32_e32 0x7f, v71
	s_cbranch_execz .LBB310_532
; %bb.529:                              ;   in Loop: Header=BB310_295 Depth=1
	v_and_b32_sdwa v9, v16, v32 dst_sel:DWORD dst_unused:UNUSED_PAD src0_sel:WORD_1 src1_sel:DWORD
	v_lshrrev_b32_e32 v70, 3, v71
	s_mov_b32 s29, exec_lo
	v_cmpx_gt_u32_e32 8, v71
; %bb.530:                              ;   in Loop: Header=BB310_295 Depth=1
	v_ffbh_u32_e32 v70, v9
	v_min_u32_e32 v70, 32, v70
	v_subrev_nc_u32_e32 v71, 28, v70
	v_sub_nc_u32_e32 v70, 29, v70
	v_lshlrev_b64 v[71:72], v71, v[9:10]
	v_and_b32_e32 v9, 7, v71
; %bb.531:                              ;   in Loop: Header=BB310_295 Depth=1
	s_or_b32 exec_lo, exec_lo, s29
	v_lshlrev_b32_sdwa v71, v33, v16 dst_sel:DWORD dst_unused:UNUSED_PAD src0_sel:DWORD src1_sel:WORD_1
	v_lshlrev_b32_e32 v9, 20, v9
	v_lshl_add_u32 v70, v70, 23, 0x3c000000
	v_and_b32_e32 v71, 0x80000000, v71
	v_or3_b32 v70, v9, v71, v70
.LBB310_532:                            ;   in Loop: Header=BB310_295 Depth=1
	s_or_b32 exec_lo, exec_lo, s28
.LBB310_533:                            ;   in Loop: Header=BB310_295 Depth=1
	s_or_b32 exec_lo, exec_lo, s27
.LBB310_534:                            ;   in Loop: Header=BB310_295 Depth=1
	s_or_b32 exec_lo, exec_lo, s26
	s_mov_b32 s26, exec_lo
	v_cmpx_lt_u64_e64 s[2:3], v[15:16]
	s_cbranch_execz .LBB310_542
; %bb.535:                              ;   in Loop: Header=BB310_295 Depth=1
	v_cmp_ne_u32_sdwa s1, v16, v29 src0_sel:BYTE_3 src1_sel:DWORD
	v_bfrev_b32_e32 v18, 1
	s_and_saveexec_b32 s27, s1
	s_cbranch_execz .LBB310_541
; %bb.536:                              ;   in Loop: Header=BB310_295 Depth=1
	v_bfe_u32 v71, v16, 24, 7
	v_mov_b32_e32 v18, 0x7f800001
	s_mov_b32 s28, exec_lo
	v_cmpx_ne_u32_e32 0x7f, v71
	s_cbranch_execz .LBB310_540
; %bb.537:                              ;   in Loop: Header=BB310_295 Depth=1
	v_and_b32_sdwa v9, v16, v32 dst_sel:DWORD dst_unused:UNUSED_PAD src0_sel:BYTE_3 src1_sel:DWORD
	v_lshrrev_b32_e32 v15, 3, v71
	s_mov_b32 s29, exec_lo
	v_cmpx_gt_u32_e32 8, v71
; %bb.538:                              ;   in Loop: Header=BB310_295 Depth=1
	v_ffbh_u32_e32 v15, v9
	v_min_u32_e32 v15, 32, v15
	v_subrev_nc_u32_e32 v18, 28, v15
	v_sub_nc_u32_e32 v15, 29, v15
	v_lshlrev_b64 v[71:72], v18, v[9:10]
	v_and_b32_e32 v9, 7, v71
; %bb.539:                              ;   in Loop: Header=BB310_295 Depth=1
	s_or_b32 exec_lo, exec_lo, s29
	v_lshlrev_b32_sdwa v16, v33, v16 dst_sel:DWORD dst_unused:UNUSED_PAD src0_sel:DWORD src1_sel:BYTE_3
	v_lshlrev_b32_e32 v9, 20, v9
	v_lshl_add_u32 v15, v15, 23, 0x3c000000
	v_and_b32_e32 v16, 0x80000000, v16
	v_or3_b32 v18, v9, v16, v15
.LBB310_540:                            ;   in Loop: Header=BB310_295 Depth=1
	s_or_b32 exec_lo, exec_lo, s28
.LBB310_541:                            ;   in Loop: Header=BB310_295 Depth=1
	s_or_b32 exec_lo, exec_lo, s27
.LBB310_542:                            ;   in Loop: Header=BB310_295 Depth=1
	s_or_b32 exec_lo, exec_lo, s26
	v_mul_f32_e32 v9, s22, v17
	v_mul_f32_e32 v15, s22, v69
	;; [unrolled: 1-line block ×5, first 2 shown]
	v_bfe_u32 v17, v9, 16, 1
	v_or_b32_e32 v68, 0x400000, v9
	v_bfe_u32 v69, v15, 16, 1
	v_cmp_u_f32_e64 s1, v9, v9
	v_or_b32_e32 v71, 0x400000, v15
	v_add3_u32 v17, v17, v9, 0x7fff
	v_bfe_u32 v72, v16, 16, 1
	v_add3_u32 v69, v69, v15, 0x7fff
	v_or_b32_e32 v73, 0x400000, v16
	v_bfe_u32 v74, v67, 16, 1
	v_cndmask_b32_e64 v9, v17, v68, s1
	v_cmp_u_f32_e64 s1, v15, v15
	v_add3_u32 v72, v72, v16, 0x7fff
	v_mul_f32_e32 v65, s22, v65
	v_add3_u32 v68, v74, v67, 0x7fff
	v_lshrrev_b32_e32 v15, 16, v9
	v_cndmask_b32_e64 v17, v69, v71, s1
	v_cmp_u_f32_e64 s1, v16, v16
	v_or_b32_e32 v69, 0x400000, v67
	v_mul_f32_e32 v18, s22, v18
	v_lshrrev_b32_e32 v9, 16, v17
	v_cndmask_b32_e64 v16, v72, v73, s1
	v_cmp_u_f32_e64 s1, v67, v67
	v_or_b32_e32 v73, 0x400000, v18
	v_lshrrev_b32_e32 v17, 16, v16
	v_bfe_u32 v16, v66, 16, 1
	v_cndmask_b32_e64 v67, v68, v69, s1
	v_mul_f32_e32 v68, s22, v70
	v_or_b32_e32 v69, 0x400000, v66
	v_bfe_u32 v70, v65, 16, 1
	v_add3_u32 v16, v16, v66, 0x7fff
	v_cmp_u_f32_e64 s1, v66, v66
	v_bfe_u32 v71, v68, 16, 1
	v_bfe_u32 v66, v18, 16, 1
	v_or_b32_e32 v72, 0x400000, v68
	v_cndmask_b32_e64 v16, v16, v69, s1
	v_add3_u32 v69, v70, v65, 0x7fff
	v_or_b32_e32 v70, 0x400000, v65
	v_cmp_u_f32_e64 s1, v65, v65
	v_add3_u32 v71, v71, v68, 0x7fff
	v_add3_u32 v66, v66, v18, 0x7fff
	v_lshrrev_b32_e32 v65, 16, v67
	v_lshrrev_b32_e32 v67, 16, v16
	v_cndmask_b32_e64 v69, v69, v70, s1
	v_cmp_u_f32_e64 s1, v68, v68
	v_cndmask_b32_e64 v68, v71, v72, s1
	v_cmp_u_f32_e64 s1, v18, v18
	v_lshrrev_b32_e32 v16, 16, v68
	v_cndmask_b32_e64 v18, v66, v73, s1
	v_lshrrev_b32_e32 v66, 16, v69
	v_lshrrev_b32_e32 v18, 16, v18
	s_and_saveexec_b32 s1, vcc_lo
	s_cbranch_execz .LBB310_293
; %bb.543:                              ;   in Loop: Header=BB310_295 Depth=1
	v_cmp_gt_i32_e32 vcc_lo, s33, v26
	v_cndmask_b32_e32 v66, 0, v66, vcc_lo
	v_cmp_gt_i32_e32 vcc_lo, s33, v50
	v_cndmask_b32_e32 v67, 0, v67, vcc_lo
	;; [unrolled: 2-line block ×8, first 2 shown]
	s_branch .LBB310_293
.LBB310_544:
	s_or_b32 exec_lo, exec_lo, s18
.LBB310_545:
	s_or_b32 exec_lo, exec_lo, s4
	v_lshl_add_u32 v2, v21, 2, 0x120
	v_and_b32_e32 v3, 0x3c0, v0
	s_mov_b32 s1, exec_lo
	s_barrier
	v_lshl_add_u32 v1, v25, 9, v2
	buffer_gl0_inv
	v_cmpx_eq_u32_e32 64, v3
	s_cbranch_execz .LBB310_547
; %bb.546:
	v_add_nc_u32_e32 v3, 0xfffffc00, v1
	v_add_nc_u32_e32 v4, 0xfffffc80, v1
	v_add_nc_u32_e32 v5, 0xfffffd00, v1
	v_add_nc_u32_e32 v6, 0xfffffd80, v1
	ds_write_b32 v3, v27
	ds_write_b32 v4, v24
	;; [unrolled: 1-line block ×4, first 2 shown]
.LBB310_547:
	s_or_b32 exec_lo, exec_lo, s1
	s_waitcnt lgkmcnt(0)
	s_barrier
	buffer_gl0_inv
	s_and_saveexec_b32 s1, s0
	s_cbranch_execz .LBB310_549
; %bb.548:
	ds_read2_b32 v[3:4], v1 offset1:32
	ds_read2_b32 v[5:6], v1 offset0:64 offset1:96
	s_waitcnt lgkmcnt(1)
	v_add_f32_e32 v27, v27, v3
	v_add_f32_e32 v24, v24, v4
	s_waitcnt lgkmcnt(0)
	v_add_f32_e32 v23, v23, v5
	v_add_f32_e32 v22, v22, v6
.LBB310_549:
	s_or_b32 exec_lo, exec_lo, s1
	v_and_b32_e32 v3, 0x3e0, v0
	s_mov_b32 s0, exec_lo
	s_barrier
	buffer_gl0_inv
	v_cmpx_eq_u32_e32 32, v3
	s_cbranch_execz .LBB310_551
; %bb.550:
	ds_write2_b32 v2, v27, v24 offset1:32
	ds_write2_b32 v2, v23, v22 offset0:64 offset1:96
.LBB310_551:
	s_or_b32 exec_lo, exec_lo, s0
	v_cmp_gt_u32_e32 vcc_lo, 32, v0
	s_waitcnt lgkmcnt(0)
	s_barrier
	buffer_gl0_inv
	s_and_saveexec_b32 s0, vcc_lo
	s_cbranch_execz .LBB310_553
; %bb.552:
	ds_read2_b32 v[2:3], v1 offset1:32
	ds_read2_b32 v[4:5], v1 offset0:64 offset1:96
	s_waitcnt lgkmcnt(1)
	v_add_f32_e32 v27, v27, v2
	v_add_f32_e32 v24, v24, v3
	s_waitcnt lgkmcnt(0)
	v_add_f32_e32 v23, v23, v4
	v_add_f32_e32 v22, v22, v5
.LBB310_553:
	s_or_b32 exec_lo, exec_lo, s0
	s_barrier
	buffer_gl0_inv
	s_and_saveexec_b32 s0, vcc_lo
	s_cbranch_execz .LBB310_555
; %bb.554:
	v_bfe_u32 v1, v27, 16, 1
	s_mul_i32 s0, s10, s11
	v_or_b32_e32 v2, 0x400000, v27
	s_mul_i32 s0, s0, s9
	v_bfe_u32 v3, v24, 16, 1
	v_add3_u32 v1, v1, v27, 0x7fff
	v_cmp_u_f32_e32 vcc_lo, v27, v27
	s_lshl_b32 s0, s0, 7
	v_bfe_u32 v4, v23, 16, 1
	s_ashr_i32 s1, s0, 31
	v_add3_u32 v3, v3, v24, 0x7fff
	s_lshl_b64 s[0:1], s[0:1], 1
	v_cndmask_b32_e32 v1, v1, v2, vcc_lo
	v_or_b32_e32 v5, 0x400000, v24
	v_cmp_u_f32_e32 vcc_lo, v24, v24
	s_mul_i32 s2, s11, s24
	s_add_u32 s4, s6, s0
	s_addc_u32 s5, s7, s1
	s_ashr_i32 s3, s2, 31
	v_bfe_u32 v2, v22, 16, 1
	s_lshl_b64 s[0:1], s[2:3], 1
	v_add3_u32 v4, v4, v23, 0x7fff
	v_or_b32_e32 v6, 0x400000, v23
	v_cndmask_b32_e32 v3, v3, v5, vcc_lo
	v_cmp_u_f32_e32 vcc_lo, v23, v23
	s_add_u32 s2, s4, s0
	s_addc_u32 s3, s5, s1
	s_lshl_b32 s0, s8, 7
	v_add3_u32 v2, v2, v22, 0x7fff
	s_ashr_i32 s1, s0, 31
	v_or_b32_e32 v7, 0x400000, v22
	v_cndmask_b32_e32 v4, v4, v6, vcc_lo
	v_cmp_u_f32_e32 vcc_lo, v22, v22
	v_lshlrev_b32_e32 v0, 1, v0
	s_lshl_b64 s[0:1], s[0:1], 1
	s_add_u32 s0, s2, s0
	s_addc_u32 s1, s3, s1
	v_cndmask_b32_e32 v2, v2, v7, vcc_lo
	global_store_short_d16_hi v0, v1, s[0:1]
	global_store_short_d16_hi v0, v3, s[0:1] offset:64
	global_store_short_d16_hi v0, v4, s[0:1] offset:128
	;; [unrolled: 1-line block ×3, first 2 shown]
.LBB310_555:
	s_endpgm
	.section	.rodata,"a",@progbits
	.p2align	6, 0x0
	.amdhsa_kernel _ZN4vllm25paged_attention_v1_kernelI14__hip_bfloat16hLi128ELi8ELi128ELNS_18Fp8KVCacheDataTypeE1ELb1EEEvPT_PKS3_PKT0_S9_ifPKiSB_iPKfiiiSD_SD_iiiii
		.amdhsa_group_segment_fixed_size 288
		.amdhsa_private_segment_fixed_size 0
		.amdhsa_kernarg_size 384
		.amdhsa_user_sgpr_count 6
		.amdhsa_user_sgpr_private_segment_buffer 1
		.amdhsa_user_sgpr_dispatch_ptr 0
		.amdhsa_user_sgpr_queue_ptr 0
		.amdhsa_user_sgpr_kernarg_segment_ptr 1
		.amdhsa_user_sgpr_dispatch_id 0
		.amdhsa_user_sgpr_flat_scratch_init 0
		.amdhsa_user_sgpr_private_segment_size 0
		.amdhsa_wavefront_size32 1
		.amdhsa_uses_dynamic_stack 0
		.amdhsa_system_sgpr_private_segment_wavefront_offset 0
		.amdhsa_system_sgpr_workgroup_id_x 1
		.amdhsa_system_sgpr_workgroup_id_y 1
		.amdhsa_system_sgpr_workgroup_id_z 1
		.amdhsa_system_sgpr_workgroup_info 0
		.amdhsa_system_vgpr_workitem_id 0
		.amdhsa_next_free_vgpr 89
		.amdhsa_next_free_sgpr 46
		.amdhsa_reserve_vcc 1
		.amdhsa_reserve_flat_scratch 0
		.amdhsa_float_round_mode_32 0
		.amdhsa_float_round_mode_16_64 0
		.amdhsa_float_denorm_mode_32 3
		.amdhsa_float_denorm_mode_16_64 3
		.amdhsa_dx10_clamp 1
		.amdhsa_ieee_mode 1
		.amdhsa_fp16_overflow 0
		.amdhsa_workgroup_processor_mode 1
		.amdhsa_memory_ordered 1
		.amdhsa_forward_progress 1
		.amdhsa_shared_vgpr_count 0
		.amdhsa_exception_fp_ieee_invalid_op 0
		.amdhsa_exception_fp_denorm_src 0
		.amdhsa_exception_fp_ieee_div_zero 0
		.amdhsa_exception_fp_ieee_overflow 0
		.amdhsa_exception_fp_ieee_underflow 0
		.amdhsa_exception_fp_ieee_inexact 0
		.amdhsa_exception_int_div_zero 0
	.end_amdhsa_kernel
	.section	.text._ZN4vllm25paged_attention_v1_kernelI14__hip_bfloat16hLi128ELi8ELi128ELNS_18Fp8KVCacheDataTypeE1ELb1EEEvPT_PKS3_PKT0_S9_ifPKiSB_iPKfiiiSD_SD_iiiii,"axG",@progbits,_ZN4vllm25paged_attention_v1_kernelI14__hip_bfloat16hLi128ELi8ELi128ELNS_18Fp8KVCacheDataTypeE1ELb1EEEvPT_PKS3_PKT0_S9_ifPKiSB_iPKfiiiSD_SD_iiiii,comdat
.Lfunc_end310:
	.size	_ZN4vllm25paged_attention_v1_kernelI14__hip_bfloat16hLi128ELi8ELi128ELNS_18Fp8KVCacheDataTypeE1ELb1EEEvPT_PKS3_PKT0_S9_ifPKiSB_iPKfiiiSD_SD_iiiii, .Lfunc_end310-_ZN4vllm25paged_attention_v1_kernelI14__hip_bfloat16hLi128ELi8ELi128ELNS_18Fp8KVCacheDataTypeE1ELb1EEEvPT_PKS3_PKT0_S9_ifPKiSB_iPKfiiiSD_SD_iiiii
                                        ; -- End function
	.set _ZN4vllm25paged_attention_v1_kernelI14__hip_bfloat16hLi128ELi8ELi128ELNS_18Fp8KVCacheDataTypeE1ELb1EEEvPT_PKS3_PKT0_S9_ifPKiSB_iPKfiiiSD_SD_iiiii.num_vgpr, 89
	.set _ZN4vllm25paged_attention_v1_kernelI14__hip_bfloat16hLi128ELi8ELi128ELNS_18Fp8KVCacheDataTypeE1ELb1EEEvPT_PKS3_PKT0_S9_ifPKiSB_iPKfiiiSD_SD_iiiii.num_agpr, 0
	.set _ZN4vllm25paged_attention_v1_kernelI14__hip_bfloat16hLi128ELi8ELi128ELNS_18Fp8KVCacheDataTypeE1ELb1EEEvPT_PKS3_PKT0_S9_ifPKiSB_iPKfiiiSD_SD_iiiii.numbered_sgpr, 46
	.set _ZN4vllm25paged_attention_v1_kernelI14__hip_bfloat16hLi128ELi8ELi128ELNS_18Fp8KVCacheDataTypeE1ELb1EEEvPT_PKS3_PKT0_S9_ifPKiSB_iPKfiiiSD_SD_iiiii.num_named_barrier, 0
	.set _ZN4vllm25paged_attention_v1_kernelI14__hip_bfloat16hLi128ELi8ELi128ELNS_18Fp8KVCacheDataTypeE1ELb1EEEvPT_PKS3_PKT0_S9_ifPKiSB_iPKfiiiSD_SD_iiiii.private_seg_size, 0
	.set _ZN4vllm25paged_attention_v1_kernelI14__hip_bfloat16hLi128ELi8ELi128ELNS_18Fp8KVCacheDataTypeE1ELb1EEEvPT_PKS3_PKT0_S9_ifPKiSB_iPKfiiiSD_SD_iiiii.uses_vcc, 1
	.set _ZN4vllm25paged_attention_v1_kernelI14__hip_bfloat16hLi128ELi8ELi128ELNS_18Fp8KVCacheDataTypeE1ELb1EEEvPT_PKS3_PKT0_S9_ifPKiSB_iPKfiiiSD_SD_iiiii.uses_flat_scratch, 0
	.set _ZN4vllm25paged_attention_v1_kernelI14__hip_bfloat16hLi128ELi8ELi128ELNS_18Fp8KVCacheDataTypeE1ELb1EEEvPT_PKS3_PKT0_S9_ifPKiSB_iPKfiiiSD_SD_iiiii.has_dyn_sized_stack, 0
	.set _ZN4vllm25paged_attention_v1_kernelI14__hip_bfloat16hLi128ELi8ELi128ELNS_18Fp8KVCacheDataTypeE1ELb1EEEvPT_PKS3_PKT0_S9_ifPKiSB_iPKfiiiSD_SD_iiiii.has_recursion, 0
	.set _ZN4vllm25paged_attention_v1_kernelI14__hip_bfloat16hLi128ELi8ELi128ELNS_18Fp8KVCacheDataTypeE1ELb1EEEvPT_PKS3_PKT0_S9_ifPKiSB_iPKfiiiSD_SD_iiiii.has_indirect_call, 0
	.section	.AMDGPU.csdata,"",@progbits
; Kernel info:
; codeLenInByte = 21564
; TotalNumSgprs: 48
; NumVgprs: 89
; ScratchSize: 0
; MemoryBound: 0
; FloatMode: 240
; IeeeMode: 1
; LDSByteSize: 288 bytes/workgroup (compile time only)
; SGPRBlocks: 0
; VGPRBlocks: 11
; NumSGPRsForWavesPerEU: 48
; NumVGPRsForWavesPerEU: 89
; Occupancy: 10
; WaveLimiterHint : 1
; COMPUTE_PGM_RSRC2:SCRATCH_EN: 0
; COMPUTE_PGM_RSRC2:USER_SGPR: 6
; COMPUTE_PGM_RSRC2:TRAP_HANDLER: 0
; COMPUTE_PGM_RSRC2:TGID_X_EN: 1
; COMPUTE_PGM_RSRC2:TGID_Y_EN: 1
; COMPUTE_PGM_RSRC2:TGID_Z_EN: 1
; COMPUTE_PGM_RSRC2:TIDIG_COMP_CNT: 0
	.section	.text._ZN4vllm25paged_attention_v1_kernelI14__hip_bfloat16hLi192ELi8ELi128ELNS_18Fp8KVCacheDataTypeE1ELb1EEEvPT_PKS3_PKT0_S9_ifPKiSB_iPKfiiiSD_SD_iiiii,"axG",@progbits,_ZN4vllm25paged_attention_v1_kernelI14__hip_bfloat16hLi192ELi8ELi128ELNS_18Fp8KVCacheDataTypeE1ELb1EEEvPT_PKS3_PKT0_S9_ifPKiSB_iPKfiiiSD_SD_iiiii,comdat
	.protected	_ZN4vllm25paged_attention_v1_kernelI14__hip_bfloat16hLi192ELi8ELi128ELNS_18Fp8KVCacheDataTypeE1ELb1EEEvPT_PKS3_PKT0_S9_ifPKiSB_iPKfiiiSD_SD_iiiii ; -- Begin function _ZN4vllm25paged_attention_v1_kernelI14__hip_bfloat16hLi192ELi8ELi128ELNS_18Fp8KVCacheDataTypeE1ELb1EEEvPT_PKS3_PKT0_S9_ifPKiSB_iPKfiiiSD_SD_iiiii
	.globl	_ZN4vllm25paged_attention_v1_kernelI14__hip_bfloat16hLi192ELi8ELi128ELNS_18Fp8KVCacheDataTypeE1ELb1EEEvPT_PKS3_PKT0_S9_ifPKiSB_iPKfiiiSD_SD_iiiii
	.p2align	8
	.type	_ZN4vllm25paged_attention_v1_kernelI14__hip_bfloat16hLi192ELi8ELi128ELNS_18Fp8KVCacheDataTypeE1ELb1EEEvPT_PKS3_PKT0_S9_ifPKiSB_iPKfiiiSD_SD_iiiii,@function
_ZN4vllm25paged_attention_v1_kernelI14__hip_bfloat16hLi192ELi8ELi128ELNS_18Fp8KVCacheDataTypeE1ELb1EEEvPT_PKS3_PKT0_S9_ifPKiSB_iPKfiiiSD_SD_iiiii: ; @_ZN4vllm25paged_attention_v1_kernelI14__hip_bfloat16hLi192ELi8ELi128ELNS_18Fp8KVCacheDataTypeE1ELb1EEEvPT_PKS3_PKT0_S9_ifPKiSB_iPKfiiiSD_SD_iiiii
; %bb.0:
	s_clause 0x2
	s_load_dword s9, s[4:5], 0x80
	s_load_dwordx2 s[0:1], s[4:5], 0x30
	s_load_dwordx2 s[34:35], s[4:5], 0x20
	s_mov_b32 s10, s7
	s_ashr_i32 s11, s7, 31
	s_mov_b32 s36, 0
	s_lshl_b64 s[2:3], s[10:11], 2
	s_waitcnt lgkmcnt(0)
	s_add_u32 s0, s0, s2
	s_addc_u32 s1, s1, s3
	s_abs_i32 s2, s34
	s_abs_i32 s11, s9
	v_cvt_f32_u32_e32 v1, s2
	s_sub_i32 s7, 0, s2
	v_rcp_iflag_f32_e32 v1, v1
	v_mul_f32_e32 v1, 0x4f7ffffe, v1
	v_cvt_u32_f32_e32 v1, v1
	v_readfirstlane_b32 s3, v1
	s_mul_i32 s7, s7, s3
	s_mul_hi_u32 s7, s3, s7
	s_add_i32 s3, s3, s7
	s_xor_b32 s7, s9, s34
	s_mul_hi_u32 s3, s11, s3
	s_ashr_i32 s7, s7, 31
	s_mul_i32 s12, s3, s2
	s_sub_i32 s11, s11, s12
	s_add_i32 s12, s3, 1
	s_sub_i32 s13, s11, s2
	s_cmp_ge_u32 s11, s2
	s_cselect_b32 s3, s12, s3
	s_cselect_b32 s11, s13, s11
	s_add_i32 s12, s3, 1
	s_cmp_ge_u32 s11, s2
	s_cselect_b32 s2, s12, s3
	s_xor_b32 s2, s2, s7
	s_sub_i32 s14, s2, s7
	s_load_dwordx2 s[2:3], s[4:5], 0x40
	s_abs_i32 s11, s14
	v_cvt_f32_u32_e32 v1, s11
	s_sub_i32 s12, 0, s11
	v_rcp_iflag_f32_e32 v1, v1
	v_mul_f32_e32 v1, 0x4f7ffffe, v1
	v_cvt_u32_f32_e32 v1, v1
	v_readfirstlane_b32 s7, v1
	s_mul_i32 s12, s12, s7
	s_mul_hi_u32 s13, s7, s12
	s_abs_i32 s12, s6
	s_add_i32 s7, s7, s13
	s_waitcnt lgkmcnt(0)
	s_cmp_eq_u64 s[2:3], 0
	s_mul_hi_u32 s13, s12, s7
	s_cbranch_scc1 .LBB311_2
; %bb.1:
	s_ashr_i32 s7, s6, 31
	s_lshl_b64 s[16:17], s[6:7], 2
	s_add_u32 s2, s2, s16
	s_addc_u32 s3, s3, s17
	s_load_dword s36, s[2:3], 0x0
.LBB311_2:
	s_load_dword s33, s[0:1], 0x0
	s_load_dwordx4 s[16:19], s[4:5], 0x48
	v_and_b32_e32 v1, 3, v0
	s_ashr_i32 s0, s6, 31
	s_ashr_i32 s1, s14, 31
	s_mul_i32 s24, s6, 0xc0
	s_mov_b32 s2, exec_lo
	v_cmpx_gt_u32_e32 0x60, v0
	s_cbranch_execz .LBB311_4
; %bb.3:
	s_load_dwordx2 s[14:15], s[4:5], 0x8
	s_waitcnt lgkmcnt(0)
	s_mul_i32 s20, s16, s10
	v_lshlrev_b32_e32 v2, 2, v0
	s_ashr_i32 s21, s20, 31
	v_and_b32_e32 v3, 0x3fc, v0
	s_lshl_b64 s[20:21], s[20:21], 1
	v_mad_u32_u24 v3, 0x60, v1, v3
	s_add_u32 s3, s14, s20
	s_addc_u32 s7, s15, s21
	s_ashr_i32 s25, s24, 31
	s_lshl_b64 s[14:15], s[24:25], 1
	s_add_u32 s14, s3, s14
	s_addc_u32 s15, s7, s15
	global_load_dword v2, v2, s[14:15]
	s_waitcnt vmcnt(0)
	ds_write_b32 v3, v2
.LBB311_4:
	s_or_b32 exec_lo, exec_lo, s2
	s_load_dwordx4 s[20:23], s[4:5], 0x68
	s_mul_i32 s2, s13, s11
	s_xor_b32 s1, s0, s1
	s_sub_i32 s0, s12, s2
	s_add_i32 s2, s13, 1
	s_sub_i32 s3, s0, s11
	s_cmp_ge_u32 s0, s11
	s_mov_b32 s12, -1
	s_cselect_b32 s2, s2, s13
	s_cselect_b32 s0, s3, s0
	s_add_i32 s3, s2, 1
	s_cmp_ge_u32 s0, s11
	s_load_dword s0, s[4:5], 0x78
	s_cselect_b32 s2, s3, s2
	s_waitcnt lgkmcnt(0)
	s_add_i32 s7, s33, -1
	s_xor_b32 s2, s2, s1
	s_abs_i32 s3, s7
	s_sub_i32 s1, s2, s1
	s_barrier
	s_abs_i32 s16, s23
	buffer_gl0_inv
	v_cvt_f32_u32_e32 v2, s16
	s_sub_i32 s2, 0, s16
                                        ; implicit-def: $sgpr25
	v_rcp_iflag_f32_e32 v2, v2
	v_mul_f32_e32 v2, 0x4f7ffffe, v2
	v_cvt_u32_f32_e32 v2, v2
	v_readfirstlane_b32 s19, v2
	s_mul_i32 s2, s2, s19
	s_mul_hi_u32 s2, s19, s2
	s_add_i32 s19, s19, s2
	s_cmp_lt_i32 s0, 0
	s_mul_hi_u32 s2, s3, s19
	s_cbranch_scc0 .LBB311_6
; %bb.5:
	s_mul_i32 s11, s20, s34
	s_mov_b32 s12, 0
	s_add_i32 s11, s1, s11
	s_mul_i32 s11, s11, s0
	s_sub_i32 s25, 1, s11
.LBB311_6:
	s_load_dwordx2 s[26:27], s[4:5], 0x28
	s_ashr_i32 s11, s7, 31
	s_andn2_b32 vcc_lo, exec_lo, s12
	s_ashr_i32 s23, s23, 31
	s_cbranch_vccnz .LBB311_8
; %bb.7:
	s_mul_i32 s7, s9, s20
	s_add_i32 s6, s7, s6
	s_mul_i32 s0, s6, s0
	s_add_i32 s25, s0, 1
.LBB311_8:
	s_clause 0x2
	s_load_dword s0, s[4:5], 0x38
	s_load_dwordx2 s[6:7], s[4:5], 0x0
	s_load_dwordx2 s[30:31], s[4:5], 0x18
	s_xor_b32 s34, s11, s23
	s_mul_i32 s11, s2, s16
	s_add_i32 s20, s2, 1
	s_sub_i32 s3, s3, s11
	s_clause 0x1
	s_load_dword s11, s[4:5], 0x88
	s_load_dwordx4 s[12:15], s[4:5], 0x58
	v_lshrrev_b32_e32 v33, 5, v0
	v_mov_b32_e32 v38, 0xff7fffff
	v_lshrrev_b32_e32 v35, 3, v0
	v_mbcnt_lo_u32_b32 v36, -1, 0
	s_mul_i32 s18, s1, s18
	v_lshlrev_b32_e32 v34, 3, v33
	s_waitcnt lgkmcnt(0)
	s_mul_i32 s28, s0, s10
	s_sub_i32 s0, s3, s16
	s_ashr_i32 s29, s28, 31
	s_cmp_ge_u32 s3, s16
	s_cselect_b32 s2, s20, s2
	s_cselect_b32 s0, s0, s3
	s_add_i32 s3, s2, 1
	s_cmp_ge_u32 s0, s16
	s_cselect_b32 s0, s3, s2
	s_add_i32 s2, s33, 7
	s_ashr_i32 s3, s2, 31
	s_lshr_b32 s3, s3, 29
	s_add_i32 s2, s2, s3
	s_ashr_i32 s20, s2, 3
	s_xor_b32 s2, s0, s34
	v_cmp_gt_i32_e64 s0, s20, v33
	s_sub_i32 s34, s2, s34
	s_and_saveexec_b32 s37, s0
	s_cbranch_execz .LBB311_404
; %bb.9:
	s_load_dwordx2 s[2:3], s[4:5], 0x10
	s_sub_i32 s4, s34, s21
	s_ashr_i32 s1, s18, 31
	v_bfe_u32 v37, v0, 2, 3
	v_cmp_eq_u32_e32 vcc_lo, 0, v1
	v_lshlrev_b32_e32 v3, 1, v1
	v_mul_u32_u24_e32 v39, 0x60, v1
	v_and_b32_e32 v1, 0x7c, v35
	v_lshlrev_b32_e32 v4, 2, v37
	v_subrev_nc_u32_e32 v5, s33, v37
	v_lshlrev_b32_e32 v6, 4, v37
	v_mov_b32_e32 v26, 0
	v_lshlrev_b32_e32 v40, 3, v33
	v_lshl_or_b32 v4, v33, 5, v4
	v_add_nc_u32_e32 v44, 1, v5
	v_mov_b32_e32 v41, 0xff7fffff
	v_mov_b32_e32 v42, 0x80
	;; [unrolled: 1-line block ×3, first 2 shown]
	v_add_nc_u32_e32 v45, 0x1a0, v4
	v_mov_b32_e32 v38, 0xff7fffff
	s_waitcnt lgkmcnt(0)
	s_add_u32 s38, s2, s18
	s_addc_u32 s39, s3, s1
	s_abs_i32 s5, s22
	v_add_co_u32 v5, s38, s38, v6
	v_cvt_f32_u32_e32 v2, s5
	s_sub_i32 s2, 0, s5
	v_add_co_ci_u32_e64 v6, null, s39, 0, s38
	v_cmp_neq_f32_e64 s1, s36, 0
	v_rcp_iflag_f32_e32 v2, v2
	v_mov_b32_e32 v47, v33
	s_mov_b32 s38, 0
	s_mov_b32 s39, s17
	v_mul_f32_e32 v2, 0x4f7ffffe, v2
	v_cvt_u32_f32_e32 v2, v2
	v_mul_lo_u32 v4, s2, v2
	s_lshl_b64 s[2:3], s[28:29], 2
	s_add_u32 s2, s26, s2
	s_addc_u32 s3, s27, s3
	v_add_co_u32 v27, s2, s2, v1
	v_add_co_ci_u32_e64 v28, null, s3, 0, s2
	v_mul_hi_u32 v4, v2, v4
	v_add_co_u32 v29, s2, v5, v3
	v_add_co_ci_u32_e64 v30, null, 0, v6, s2
	v_add_nc_u32_e32 v46, v2, v4
	s_branch .LBB311_12
.LBB311_10:                             ;   in Loop: Header=BB311_12 Depth=1
	s_or_b32 exec_lo, exec_lo, s40
.LBB311_11:                             ;   in Loop: Header=BB311_12 Depth=1
	s_or_b32 exec_lo, exec_lo, s3
	v_add_nc_u32_e32 v47, 4, v47
	v_add_co_u32 v27, s3, v27, 16
	v_add_co_ci_u32_e64 v28, null, 0, v28, s3
	v_cmp_le_i32_e64 s2, s20, v47
	v_add_nc_u32_e32 v40, 32, v40
	v_add_nc_u32_e32 v45, 0x80, v45
	s_or_b32 s38, s2, s38
	s_andn2_b32 exec_lo, exec_lo, s38
	s_cbranch_execz .LBB311_403
.LBB311_12:                             ; =>This Inner Loop Header: Depth=1
	v_mul_hi_u32 v1, v40, s19
	s_waitcnt lgkmcnt(0)
	v_mul_lo_u32 v2, v1, s16
	v_add_nc_u32_e32 v3, 1, v1
	v_sub_nc_u32_e32 v2, v40, v2
	v_subrev_nc_u32_e32 v4, s16, v2
	v_cmp_le_u32_e64 s2, s16, v2
	v_cndmask_b32_e64 v1, v1, v3, s2
	v_cndmask_b32_e64 v2, v2, v4, s2
	v_add_nc_u32_e32 v3, 1, v1
	v_cmp_le_u32_e64 s2, s16, v2
	v_cndmask_b32_e64 v1, v1, v3, s2
	v_xor_b32_e32 v1, s23, v1
	v_subrev_nc_u32_e32 v1, s23, v1
	v_add_nc_u32_e32 v2, s25, v1
	v_cmp_ge_i32_e64 s3, s4, v1
	v_sub_nc_u32_e32 v3, 0, v2
	v_max_i32_e32 v3, v2, v3
	v_ashrrev_i32_e32 v2, 31, v2
	v_mul_hi_u32 v4, v3, v46
	v_mul_lo_u32 v4, v4, s5
	v_sub_nc_u32_e32 v3, v3, v4
	v_subrev_nc_u32_e32 v4, s5, v3
	v_cmp_le_u32_e64 s2, s5, v3
	v_cndmask_b32_e64 v3, v3, v4, s2
	v_subrev_nc_u32_e32 v4, s5, v3
	v_cmp_le_u32_e64 s2, s5, v3
	v_cndmask_b32_e64 v3, v3, v4, s2
	v_xor_b32_e32 v3, v3, v2
	v_sub_nc_u32_e32 v2, v3, v2
	v_cmp_ne_u32_e64 s2, 0, v2
	s_and_b32 s2, s2, s3
	s_and_saveexec_b32 s3, s2
	s_xor_b32 s2, exec_lo, s3
	s_cbranch_execz .LBB311_16
; %bb.13:                               ;   in Loop: Header=BB311_12 Depth=1
	s_and_saveexec_b32 s3, vcc_lo
; %bb.14:                               ;   in Loop: Header=BB311_12 Depth=1
	ds_write_b32 v45, v41
; %bb.15:                               ;   in Loop: Header=BB311_12 Depth=1
	s_or_b32 exec_lo, exec_lo, s3
.LBB311_16:                             ;   in Loop: Header=BB311_12 Depth=1
	s_andn2_saveexec_b32 s3, s2
	s_cbranch_execz .LBB311_11
; %bb.17:                               ;   in Loop: Header=BB311_12 Depth=1
	global_load_dword v1, v[27:28], off
	v_mov_b32_e32 v48, 0
	v_mov_b32_e32 v49, 0
	s_waitcnt vmcnt(0)
	v_mad_i64_i32 v[31:32], null, v1, s39, v[29:30]
	global_load_ushort v25, v[31:32], off
	ds_read_b128 v[21:24], v39
	ds_read_b128 v[17:20], v39 offset:16
	ds_read_b128 v[13:16], v39 offset:32
	;; [unrolled: 1-line block ×5, first 2 shown]
	s_load_dword s40, s[12:13], 0x0
	s_waitcnt vmcnt(0)
	v_and_b32_e32 v50, 0xffff, v25
	v_cmp_ne_u16_sdwa s2, v25, v26 src0_sel:BYTE_0 src1_sel:DWORD
	s_and_saveexec_b32 s41, s2
	s_cbranch_execz .LBB311_25
; %bb.18:                               ;   in Loop: Header=BB311_12 Depth=1
	v_cmp_ne_u16_sdwa s2, v50, v42 src0_sel:BYTE_0 src1_sel:DWORD
	v_bfrev_b32_e32 v49, 1
	s_and_saveexec_b32 s42, s2
	s_cbranch_execz .LBB311_24
; %bb.19:                               ;   in Loop: Header=BB311_12 Depth=1
	v_and_b32_e32 v51, 0x7f, v50
	v_mov_b32_e32 v49, 0x7f800001
	s_mov_b32 s43, exec_lo
	v_cmpx_ne_u32_e32 0x7f, v51
	s_cbranch_execz .LBB311_23
; %bb.20:                               ;   in Loop: Header=BB311_12 Depth=1
	v_and_b32_e32 v25, 7, v50
	v_lshrrev_b32_e32 v49, 3, v51
	s_mov_b32 s44, exec_lo
	v_cmpx_gt_u32_e32 8, v51
; %bb.21:                               ;   in Loop: Header=BB311_12 Depth=1
	v_ffbh_u32_e32 v49, v25
	v_min_u32_e32 v49, 32, v49
	v_subrev_nc_u32_e32 v51, 28, v49
	v_sub_nc_u32_e32 v49, 29, v49
	v_lshlrev_b64 v[51:52], v51, v[25:26]
	v_and_b32_e32 v25, 7, v51
; %bb.22:                               ;   in Loop: Header=BB311_12 Depth=1
	s_or_b32 exec_lo, exec_lo, s44
	v_lshlrev_b32_e32 v51, 24, v50
	v_lshlrev_b32_e32 v25, 20, v25
	v_lshl_add_u32 v49, v49, 23, 0x3c000000
	v_and_b32_e32 v51, 0x80000000, v51
	v_or3_b32 v49, v25, v51, v49
.LBB311_23:                             ;   in Loop: Header=BB311_12 Depth=1
	s_or_b32 exec_lo, exec_lo, s43
.LBB311_24:                             ;   in Loop: Header=BB311_12 Depth=1
	s_or_b32 exec_lo, exec_lo, s42
.LBB311_25:                             ;   in Loop: Header=BB311_12 Depth=1
	s_or_b32 exec_lo, exec_lo, s41
	v_cmp_ne_u16_sdwa s2, v50, v26 src0_sel:BYTE_1 src1_sel:DWORD
	s_and_saveexec_b32 s41, s2
	s_cbranch_execz .LBB311_33
; %bb.26:                               ;   in Loop: Header=BB311_12 Depth=1
	v_cmp_ne_u16_sdwa s2, v50, v42 src0_sel:BYTE_1 src1_sel:DWORD
	v_bfrev_b32_e32 v48, 1
	s_and_saveexec_b32 s42, s2
	s_cbranch_execz .LBB311_32
; %bb.27:                               ;   in Loop: Header=BB311_12 Depth=1
	v_and_b32_sdwa v25, v43, v50 dst_sel:DWORD dst_unused:UNUSED_PAD src0_sel:DWORD src1_sel:BYTE_1
	v_mov_b32_e32 v48, 0x7f800001
	s_mov_b32 s43, exec_lo
	v_and_b32_e32 v51, 0x7f, v25
	v_cmpx_ne_u32_e32 0x7f, v51
	s_cbranch_execz .LBB311_31
; %bb.28:                               ;   in Loop: Header=BB311_12 Depth=1
	v_and_b32_e32 v25, 7, v25
	v_lshrrev_b32_e32 v48, 3, v51
	s_mov_b32 s44, exec_lo
	v_cmpx_gt_u32_e32 8, v51
; %bb.29:                               ;   in Loop: Header=BB311_12 Depth=1
	v_ffbh_u32_e32 v48, v25
	v_min_u32_e32 v48, 32, v48
	v_subrev_nc_u32_e32 v51, 28, v48
	v_sub_nc_u32_e32 v48, 29, v48
	v_lshlrev_b64 v[51:52], v51, v[25:26]
	v_and_b32_e32 v25, 7, v51
; %bb.30:                               ;   in Loop: Header=BB311_12 Depth=1
	s_or_b32 exec_lo, exec_lo, s44
	v_lshlrev_b32_e32 v50, 16, v50
	v_lshlrev_b32_e32 v25, 20, v25
	v_lshl_add_u32 v48, v48, 23, 0x3c000000
	v_and_b32_e32 v50, 0x80000000, v50
	v_or3_b32 v48, v25, v50, v48
.LBB311_31:                             ;   in Loop: Header=BB311_12 Depth=1
	s_or_b32 exec_lo, exec_lo, s43
.LBB311_32:                             ;   in Loop: Header=BB311_12 Depth=1
	s_or_b32 exec_lo, exec_lo, s42
.LBB311_33:                             ;   in Loop: Header=BB311_12 Depth=1
	s_or_b32 exec_lo, exec_lo, s41
	global_load_ushort v25, v[31:32], off offset:8
	v_mov_b32_e32 v50, 0
	v_mov_b32_e32 v51, 0
	s_waitcnt vmcnt(0)
	v_and_b32_e32 v52, 0xffff, v25
	v_cmp_ne_u16_sdwa s2, v25, v26 src0_sel:BYTE_0 src1_sel:DWORD
	s_and_saveexec_b32 s41, s2
	s_cbranch_execz .LBB311_41
; %bb.34:                               ;   in Loop: Header=BB311_12 Depth=1
	v_cmp_ne_u16_sdwa s2, v52, v42 src0_sel:BYTE_0 src1_sel:DWORD
	v_bfrev_b32_e32 v51, 1
	s_and_saveexec_b32 s42, s2
	s_cbranch_execz .LBB311_40
; %bb.35:                               ;   in Loop: Header=BB311_12 Depth=1
	v_and_b32_e32 v53, 0x7f, v52
	v_mov_b32_e32 v51, 0x7f800001
	s_mov_b32 s43, exec_lo
	v_cmpx_ne_u32_e32 0x7f, v53
	s_cbranch_execz .LBB311_39
; %bb.36:                               ;   in Loop: Header=BB311_12 Depth=1
	v_and_b32_e32 v25, 7, v52
	v_lshrrev_b32_e32 v51, 3, v53
	s_mov_b32 s44, exec_lo
	v_cmpx_gt_u32_e32 8, v53
; %bb.37:                               ;   in Loop: Header=BB311_12 Depth=1
	v_ffbh_u32_e32 v51, v25
	v_min_u32_e32 v51, 32, v51
	v_subrev_nc_u32_e32 v53, 28, v51
	v_sub_nc_u32_e32 v51, 29, v51
	v_lshlrev_b64 v[53:54], v53, v[25:26]
	v_and_b32_e32 v25, 7, v53
; %bb.38:                               ;   in Loop: Header=BB311_12 Depth=1
	s_or_b32 exec_lo, exec_lo, s44
	v_lshlrev_b32_e32 v53, 24, v52
	v_lshlrev_b32_e32 v25, 20, v25
	v_lshl_add_u32 v51, v51, 23, 0x3c000000
	v_and_b32_e32 v53, 0x80000000, v53
	v_or3_b32 v51, v25, v53, v51
.LBB311_39:                             ;   in Loop: Header=BB311_12 Depth=1
	s_or_b32 exec_lo, exec_lo, s43
.LBB311_40:                             ;   in Loop: Header=BB311_12 Depth=1
	s_or_b32 exec_lo, exec_lo, s42
.LBB311_41:                             ;   in Loop: Header=BB311_12 Depth=1
	s_or_b32 exec_lo, exec_lo, s41
	v_cmp_ne_u16_sdwa s2, v52, v26 src0_sel:BYTE_1 src1_sel:DWORD
	s_and_saveexec_b32 s41, s2
	s_cbranch_execz .LBB311_49
; %bb.42:                               ;   in Loop: Header=BB311_12 Depth=1
	v_cmp_ne_u16_sdwa s2, v52, v42 src0_sel:BYTE_1 src1_sel:DWORD
	v_bfrev_b32_e32 v50, 1
	s_and_saveexec_b32 s42, s2
	s_cbranch_execz .LBB311_48
; %bb.43:                               ;   in Loop: Header=BB311_12 Depth=1
	v_and_b32_sdwa v25, v43, v52 dst_sel:DWORD dst_unused:UNUSED_PAD src0_sel:DWORD src1_sel:BYTE_1
	v_mov_b32_e32 v50, 0x7f800001
	s_mov_b32 s43, exec_lo
	v_and_b32_e32 v53, 0x7f, v25
	v_cmpx_ne_u32_e32 0x7f, v53
	s_cbranch_execz .LBB311_47
; %bb.44:                               ;   in Loop: Header=BB311_12 Depth=1
	v_and_b32_e32 v25, 7, v25
	v_lshrrev_b32_e32 v50, 3, v53
	s_mov_b32 s44, exec_lo
	v_cmpx_gt_u32_e32 8, v53
; %bb.45:                               ;   in Loop: Header=BB311_12 Depth=1
	v_ffbh_u32_e32 v50, v25
	v_min_u32_e32 v50, 32, v50
	v_subrev_nc_u32_e32 v53, 28, v50
	v_sub_nc_u32_e32 v50, 29, v50
	v_lshlrev_b64 v[53:54], v53, v[25:26]
	v_and_b32_e32 v25, 7, v53
; %bb.46:                               ;   in Loop: Header=BB311_12 Depth=1
	s_or_b32 exec_lo, exec_lo, s44
	v_lshlrev_b32_e32 v52, 16, v52
	v_lshlrev_b32_e32 v25, 20, v25
	v_lshl_add_u32 v50, v50, 23, 0x3c000000
	v_and_b32_e32 v52, 0x80000000, v52
	v_or3_b32 v50, v25, v52, v50
.LBB311_47:                             ;   in Loop: Header=BB311_12 Depth=1
	s_or_b32 exec_lo, exec_lo, s43
.LBB311_48:                             ;   in Loop: Header=BB311_12 Depth=1
	s_or_b32 exec_lo, exec_lo, s42
.LBB311_49:                             ;   in Loop: Header=BB311_12 Depth=1
	s_or_b32 exec_lo, exec_lo, s41
	global_load_ushort v25, v[31:32], off offset:128
	v_mov_b32_e32 v52, 0
	v_mov_b32_e32 v53, 0
	s_waitcnt vmcnt(0)
	v_and_b32_e32 v54, 0xffff, v25
	v_cmp_ne_u16_sdwa s2, v25, v26 src0_sel:BYTE_0 src1_sel:DWORD
	s_and_saveexec_b32 s41, s2
	s_cbranch_execz .LBB311_57
; %bb.50:                               ;   in Loop: Header=BB311_12 Depth=1
	v_cmp_ne_u16_sdwa s2, v54, v42 src0_sel:BYTE_0 src1_sel:DWORD
	v_bfrev_b32_e32 v53, 1
	s_and_saveexec_b32 s42, s2
	s_cbranch_execz .LBB311_56
; %bb.51:                               ;   in Loop: Header=BB311_12 Depth=1
	v_and_b32_e32 v55, 0x7f, v54
	v_mov_b32_e32 v53, 0x7f800001
	s_mov_b32 s43, exec_lo
	v_cmpx_ne_u32_e32 0x7f, v55
	s_cbranch_execz .LBB311_55
; %bb.52:                               ;   in Loop: Header=BB311_12 Depth=1
	v_and_b32_e32 v25, 7, v54
	v_lshrrev_b32_e32 v53, 3, v55
	s_mov_b32 s44, exec_lo
	v_cmpx_gt_u32_e32 8, v55
; %bb.53:                               ;   in Loop: Header=BB311_12 Depth=1
	v_ffbh_u32_e32 v53, v25
	v_min_u32_e32 v53, 32, v53
	v_subrev_nc_u32_e32 v55, 28, v53
	v_sub_nc_u32_e32 v53, 29, v53
	v_lshlrev_b64 v[55:56], v55, v[25:26]
	v_and_b32_e32 v25, 7, v55
; %bb.54:                               ;   in Loop: Header=BB311_12 Depth=1
	s_or_b32 exec_lo, exec_lo, s44
	v_lshlrev_b32_e32 v55, 24, v54
	v_lshlrev_b32_e32 v25, 20, v25
	v_lshl_add_u32 v53, v53, 23, 0x3c000000
	v_and_b32_e32 v55, 0x80000000, v55
	v_or3_b32 v53, v25, v55, v53
.LBB311_55:                             ;   in Loop: Header=BB311_12 Depth=1
	s_or_b32 exec_lo, exec_lo, s43
.LBB311_56:                             ;   in Loop: Header=BB311_12 Depth=1
	s_or_b32 exec_lo, exec_lo, s42
.LBB311_57:                             ;   in Loop: Header=BB311_12 Depth=1
	s_or_b32 exec_lo, exec_lo, s41
	v_cmp_ne_u16_sdwa s2, v54, v26 src0_sel:BYTE_1 src1_sel:DWORD
	s_and_saveexec_b32 s41, s2
	s_cbranch_execz .LBB311_65
; %bb.58:                               ;   in Loop: Header=BB311_12 Depth=1
	v_cmp_ne_u16_sdwa s2, v54, v42 src0_sel:BYTE_1 src1_sel:DWORD
	v_bfrev_b32_e32 v52, 1
	s_and_saveexec_b32 s42, s2
	s_cbranch_execz .LBB311_64
; %bb.59:                               ;   in Loop: Header=BB311_12 Depth=1
	v_and_b32_sdwa v25, v43, v54 dst_sel:DWORD dst_unused:UNUSED_PAD src0_sel:DWORD src1_sel:BYTE_1
	v_mov_b32_e32 v52, 0x7f800001
	s_mov_b32 s43, exec_lo
	v_and_b32_e32 v55, 0x7f, v25
	v_cmpx_ne_u32_e32 0x7f, v55
	s_cbranch_execz .LBB311_63
; %bb.60:                               ;   in Loop: Header=BB311_12 Depth=1
	v_and_b32_e32 v25, 7, v25
	v_lshrrev_b32_e32 v52, 3, v55
	s_mov_b32 s44, exec_lo
	v_cmpx_gt_u32_e32 8, v55
; %bb.61:                               ;   in Loop: Header=BB311_12 Depth=1
	v_ffbh_u32_e32 v52, v25
	v_min_u32_e32 v52, 32, v52
	v_subrev_nc_u32_e32 v55, 28, v52
	v_sub_nc_u32_e32 v52, 29, v52
	v_lshlrev_b64 v[55:56], v55, v[25:26]
	v_and_b32_e32 v25, 7, v55
; %bb.62:                               ;   in Loop: Header=BB311_12 Depth=1
	s_or_b32 exec_lo, exec_lo, s44
	v_lshlrev_b32_e32 v54, 16, v54
	v_lshlrev_b32_e32 v25, 20, v25
	v_lshl_add_u32 v52, v52, 23, 0x3c000000
	v_and_b32_e32 v54, 0x80000000, v54
	v_or3_b32 v52, v25, v54, v52
.LBB311_63:                             ;   in Loop: Header=BB311_12 Depth=1
	s_or_b32 exec_lo, exec_lo, s43
.LBB311_64:                             ;   in Loop: Header=BB311_12 Depth=1
	s_or_b32 exec_lo, exec_lo, s42
.LBB311_65:                             ;   in Loop: Header=BB311_12 Depth=1
	s_or_b32 exec_lo, exec_lo, s41
	global_load_ushort v25, v[31:32], off offset:136
	v_mov_b32_e32 v54, 0
	v_mov_b32_e32 v55, 0
	s_waitcnt vmcnt(0)
	v_and_b32_e32 v56, 0xffff, v25
	v_cmp_ne_u16_sdwa s2, v25, v26 src0_sel:BYTE_0 src1_sel:DWORD
	s_and_saveexec_b32 s41, s2
	s_cbranch_execz .LBB311_73
; %bb.66:                               ;   in Loop: Header=BB311_12 Depth=1
	v_cmp_ne_u16_sdwa s2, v56, v42 src0_sel:BYTE_0 src1_sel:DWORD
	v_bfrev_b32_e32 v55, 1
	s_and_saveexec_b32 s42, s2
	s_cbranch_execz .LBB311_72
; %bb.67:                               ;   in Loop: Header=BB311_12 Depth=1
	v_and_b32_e32 v57, 0x7f, v56
	v_mov_b32_e32 v55, 0x7f800001
	s_mov_b32 s43, exec_lo
	v_cmpx_ne_u32_e32 0x7f, v57
	s_cbranch_execz .LBB311_71
; %bb.68:                               ;   in Loop: Header=BB311_12 Depth=1
	v_and_b32_e32 v25, 7, v56
	v_lshrrev_b32_e32 v55, 3, v57
	s_mov_b32 s44, exec_lo
	v_cmpx_gt_u32_e32 8, v57
; %bb.69:                               ;   in Loop: Header=BB311_12 Depth=1
	v_ffbh_u32_e32 v55, v25
	v_min_u32_e32 v55, 32, v55
	v_subrev_nc_u32_e32 v57, 28, v55
	v_sub_nc_u32_e32 v55, 29, v55
	v_lshlrev_b64 v[57:58], v57, v[25:26]
	v_and_b32_e32 v25, 7, v57
; %bb.70:                               ;   in Loop: Header=BB311_12 Depth=1
	s_or_b32 exec_lo, exec_lo, s44
	v_lshlrev_b32_e32 v57, 24, v56
	v_lshlrev_b32_e32 v25, 20, v25
	v_lshl_add_u32 v55, v55, 23, 0x3c000000
	v_and_b32_e32 v57, 0x80000000, v57
	v_or3_b32 v55, v25, v57, v55
.LBB311_71:                             ;   in Loop: Header=BB311_12 Depth=1
	s_or_b32 exec_lo, exec_lo, s43
.LBB311_72:                             ;   in Loop: Header=BB311_12 Depth=1
	s_or_b32 exec_lo, exec_lo, s42
.LBB311_73:                             ;   in Loop: Header=BB311_12 Depth=1
	s_or_b32 exec_lo, exec_lo, s41
	v_cmp_ne_u16_sdwa s2, v56, v26 src0_sel:BYTE_1 src1_sel:DWORD
	s_and_saveexec_b32 s41, s2
	s_cbranch_execz .LBB311_81
; %bb.74:                               ;   in Loop: Header=BB311_12 Depth=1
	v_cmp_ne_u16_sdwa s2, v56, v42 src0_sel:BYTE_1 src1_sel:DWORD
	v_bfrev_b32_e32 v54, 1
	s_and_saveexec_b32 s42, s2
	s_cbranch_execz .LBB311_80
; %bb.75:                               ;   in Loop: Header=BB311_12 Depth=1
	v_and_b32_sdwa v25, v43, v56 dst_sel:DWORD dst_unused:UNUSED_PAD src0_sel:DWORD src1_sel:BYTE_1
	v_mov_b32_e32 v54, 0x7f800001
	s_mov_b32 s43, exec_lo
	v_and_b32_e32 v57, 0x7f, v25
	v_cmpx_ne_u32_e32 0x7f, v57
	s_cbranch_execz .LBB311_79
; %bb.76:                               ;   in Loop: Header=BB311_12 Depth=1
	v_and_b32_e32 v25, 7, v25
	v_lshrrev_b32_e32 v54, 3, v57
	s_mov_b32 s44, exec_lo
	v_cmpx_gt_u32_e32 8, v57
; %bb.77:                               ;   in Loop: Header=BB311_12 Depth=1
	v_ffbh_u32_e32 v54, v25
	v_min_u32_e32 v54, 32, v54
	v_subrev_nc_u32_e32 v57, 28, v54
	v_sub_nc_u32_e32 v54, 29, v54
	v_lshlrev_b64 v[57:58], v57, v[25:26]
	v_and_b32_e32 v25, 7, v57
; %bb.78:                               ;   in Loop: Header=BB311_12 Depth=1
	s_or_b32 exec_lo, exec_lo, s44
	v_lshlrev_b32_e32 v56, 16, v56
	v_lshlrev_b32_e32 v25, 20, v25
	v_lshl_add_u32 v54, v54, 23, 0x3c000000
	v_and_b32_e32 v56, 0x80000000, v56
	v_or3_b32 v54, v25, v56, v54
.LBB311_79:                             ;   in Loop: Header=BB311_12 Depth=1
	s_or_b32 exec_lo, exec_lo, s43
.LBB311_80:                             ;   in Loop: Header=BB311_12 Depth=1
	s_or_b32 exec_lo, exec_lo, s42
.LBB311_81:                             ;   in Loop: Header=BB311_12 Depth=1
	s_or_b32 exec_lo, exec_lo, s41
	global_load_ushort v25, v[31:32], off offset:256
	v_mov_b32_e32 v56, 0
	v_mov_b32_e32 v57, 0
	s_waitcnt vmcnt(0)
	v_and_b32_e32 v58, 0xffff, v25
	v_cmp_ne_u16_sdwa s2, v25, v26 src0_sel:BYTE_0 src1_sel:DWORD
	s_and_saveexec_b32 s41, s2
	s_cbranch_execz .LBB311_89
; %bb.82:                               ;   in Loop: Header=BB311_12 Depth=1
	v_cmp_ne_u16_sdwa s2, v58, v42 src0_sel:BYTE_0 src1_sel:DWORD
	v_bfrev_b32_e32 v57, 1
	s_and_saveexec_b32 s42, s2
	s_cbranch_execz .LBB311_88
; %bb.83:                               ;   in Loop: Header=BB311_12 Depth=1
	v_and_b32_e32 v59, 0x7f, v58
	v_mov_b32_e32 v57, 0x7f800001
	s_mov_b32 s43, exec_lo
	v_cmpx_ne_u32_e32 0x7f, v59
	s_cbranch_execz .LBB311_87
; %bb.84:                               ;   in Loop: Header=BB311_12 Depth=1
	v_and_b32_e32 v25, 7, v58
	v_lshrrev_b32_e32 v57, 3, v59
	s_mov_b32 s44, exec_lo
	v_cmpx_gt_u32_e32 8, v59
; %bb.85:                               ;   in Loop: Header=BB311_12 Depth=1
	v_ffbh_u32_e32 v57, v25
	v_min_u32_e32 v57, 32, v57
	v_subrev_nc_u32_e32 v59, 28, v57
	v_sub_nc_u32_e32 v57, 29, v57
	v_lshlrev_b64 v[59:60], v59, v[25:26]
	v_and_b32_e32 v25, 7, v59
; %bb.86:                               ;   in Loop: Header=BB311_12 Depth=1
	s_or_b32 exec_lo, exec_lo, s44
	v_lshlrev_b32_e32 v59, 24, v58
	v_lshlrev_b32_e32 v25, 20, v25
	v_lshl_add_u32 v57, v57, 23, 0x3c000000
	v_and_b32_e32 v59, 0x80000000, v59
	v_or3_b32 v57, v25, v59, v57
.LBB311_87:                             ;   in Loop: Header=BB311_12 Depth=1
	s_or_b32 exec_lo, exec_lo, s43
.LBB311_88:                             ;   in Loop: Header=BB311_12 Depth=1
	s_or_b32 exec_lo, exec_lo, s42
.LBB311_89:                             ;   in Loop: Header=BB311_12 Depth=1
	s_or_b32 exec_lo, exec_lo, s41
	v_cmp_ne_u16_sdwa s2, v58, v26 src0_sel:BYTE_1 src1_sel:DWORD
	s_and_saveexec_b32 s41, s2
	s_cbranch_execz .LBB311_97
; %bb.90:                               ;   in Loop: Header=BB311_12 Depth=1
	v_cmp_ne_u16_sdwa s2, v58, v42 src0_sel:BYTE_1 src1_sel:DWORD
	v_bfrev_b32_e32 v56, 1
	s_and_saveexec_b32 s42, s2
	s_cbranch_execz .LBB311_96
; %bb.91:                               ;   in Loop: Header=BB311_12 Depth=1
	v_and_b32_sdwa v25, v43, v58 dst_sel:DWORD dst_unused:UNUSED_PAD src0_sel:DWORD src1_sel:BYTE_1
	v_mov_b32_e32 v56, 0x7f800001
	s_mov_b32 s43, exec_lo
	v_and_b32_e32 v59, 0x7f, v25
	v_cmpx_ne_u32_e32 0x7f, v59
	s_cbranch_execz .LBB311_95
; %bb.92:                               ;   in Loop: Header=BB311_12 Depth=1
	v_and_b32_e32 v25, 7, v25
	v_lshrrev_b32_e32 v56, 3, v59
	s_mov_b32 s44, exec_lo
	v_cmpx_gt_u32_e32 8, v59
; %bb.93:                               ;   in Loop: Header=BB311_12 Depth=1
	v_ffbh_u32_e32 v56, v25
	v_min_u32_e32 v56, 32, v56
	v_subrev_nc_u32_e32 v59, 28, v56
	v_sub_nc_u32_e32 v56, 29, v56
	v_lshlrev_b64 v[59:60], v59, v[25:26]
	v_and_b32_e32 v25, 7, v59
; %bb.94:                               ;   in Loop: Header=BB311_12 Depth=1
	s_or_b32 exec_lo, exec_lo, s44
	v_lshlrev_b32_e32 v58, 16, v58
	v_lshlrev_b32_e32 v25, 20, v25
	v_lshl_add_u32 v56, v56, 23, 0x3c000000
	v_and_b32_e32 v58, 0x80000000, v58
	v_or3_b32 v56, v25, v58, v56
.LBB311_95:                             ;   in Loop: Header=BB311_12 Depth=1
	s_or_b32 exec_lo, exec_lo, s43
.LBB311_96:                             ;   in Loop: Header=BB311_12 Depth=1
	s_or_b32 exec_lo, exec_lo, s42
.LBB311_97:                             ;   in Loop: Header=BB311_12 Depth=1
	s_or_b32 exec_lo, exec_lo, s41
	global_load_ushort v25, v[31:32], off offset:264
	v_mov_b32_e32 v58, 0
	v_mov_b32_e32 v59, 0
	s_waitcnt vmcnt(0)
	v_and_b32_e32 v60, 0xffff, v25
	v_cmp_ne_u16_sdwa s2, v25, v26 src0_sel:BYTE_0 src1_sel:DWORD
	s_and_saveexec_b32 s41, s2
	s_cbranch_execz .LBB311_105
; %bb.98:                               ;   in Loop: Header=BB311_12 Depth=1
	v_cmp_ne_u16_sdwa s2, v60, v42 src0_sel:BYTE_0 src1_sel:DWORD
	v_bfrev_b32_e32 v59, 1
	s_and_saveexec_b32 s42, s2
	s_cbranch_execz .LBB311_104
; %bb.99:                               ;   in Loop: Header=BB311_12 Depth=1
	v_and_b32_e32 v61, 0x7f, v60
	v_mov_b32_e32 v59, 0x7f800001
	s_mov_b32 s43, exec_lo
	v_cmpx_ne_u32_e32 0x7f, v61
	s_cbranch_execz .LBB311_103
; %bb.100:                              ;   in Loop: Header=BB311_12 Depth=1
	v_and_b32_e32 v25, 7, v60
	v_lshrrev_b32_e32 v59, 3, v61
	s_mov_b32 s44, exec_lo
	v_cmpx_gt_u32_e32 8, v61
; %bb.101:                              ;   in Loop: Header=BB311_12 Depth=1
	v_ffbh_u32_e32 v59, v25
	v_min_u32_e32 v59, 32, v59
	v_subrev_nc_u32_e32 v61, 28, v59
	v_sub_nc_u32_e32 v59, 29, v59
	v_lshlrev_b64 v[61:62], v61, v[25:26]
	v_and_b32_e32 v25, 7, v61
; %bb.102:                              ;   in Loop: Header=BB311_12 Depth=1
	s_or_b32 exec_lo, exec_lo, s44
	v_lshlrev_b32_e32 v61, 24, v60
	v_lshlrev_b32_e32 v25, 20, v25
	v_lshl_add_u32 v59, v59, 23, 0x3c000000
	v_and_b32_e32 v61, 0x80000000, v61
	v_or3_b32 v59, v25, v61, v59
.LBB311_103:                            ;   in Loop: Header=BB311_12 Depth=1
	s_or_b32 exec_lo, exec_lo, s43
.LBB311_104:                            ;   in Loop: Header=BB311_12 Depth=1
	s_or_b32 exec_lo, exec_lo, s42
.LBB311_105:                            ;   in Loop: Header=BB311_12 Depth=1
	s_or_b32 exec_lo, exec_lo, s41
	v_cmp_ne_u16_sdwa s2, v60, v26 src0_sel:BYTE_1 src1_sel:DWORD
	s_and_saveexec_b32 s41, s2
	s_cbranch_execz .LBB311_113
; %bb.106:                              ;   in Loop: Header=BB311_12 Depth=1
	v_cmp_ne_u16_sdwa s2, v60, v42 src0_sel:BYTE_1 src1_sel:DWORD
	v_bfrev_b32_e32 v58, 1
	s_and_saveexec_b32 s42, s2
	s_cbranch_execz .LBB311_112
; %bb.107:                              ;   in Loop: Header=BB311_12 Depth=1
	v_and_b32_sdwa v25, v43, v60 dst_sel:DWORD dst_unused:UNUSED_PAD src0_sel:DWORD src1_sel:BYTE_1
	v_mov_b32_e32 v58, 0x7f800001
	s_mov_b32 s43, exec_lo
	v_and_b32_e32 v61, 0x7f, v25
	v_cmpx_ne_u32_e32 0x7f, v61
	s_cbranch_execz .LBB311_111
; %bb.108:                              ;   in Loop: Header=BB311_12 Depth=1
	v_and_b32_e32 v25, 7, v25
	v_lshrrev_b32_e32 v58, 3, v61
	s_mov_b32 s44, exec_lo
	v_cmpx_gt_u32_e32 8, v61
; %bb.109:                              ;   in Loop: Header=BB311_12 Depth=1
	v_ffbh_u32_e32 v58, v25
	v_min_u32_e32 v58, 32, v58
	v_subrev_nc_u32_e32 v61, 28, v58
	v_sub_nc_u32_e32 v58, 29, v58
	v_lshlrev_b64 v[61:62], v61, v[25:26]
	v_and_b32_e32 v25, 7, v61
; %bb.110:                              ;   in Loop: Header=BB311_12 Depth=1
	s_or_b32 exec_lo, exec_lo, s44
	v_lshlrev_b32_e32 v60, 16, v60
	v_lshlrev_b32_e32 v25, 20, v25
	v_lshl_add_u32 v58, v58, 23, 0x3c000000
	v_and_b32_e32 v60, 0x80000000, v60
	v_or3_b32 v58, v25, v60, v58
.LBB311_111:                            ;   in Loop: Header=BB311_12 Depth=1
	s_or_b32 exec_lo, exec_lo, s43
.LBB311_112:                            ;   in Loop: Header=BB311_12 Depth=1
	s_or_b32 exec_lo, exec_lo, s42
.LBB311_113:                            ;   in Loop: Header=BB311_12 Depth=1
	s_or_b32 exec_lo, exec_lo, s41
	global_load_ushort v25, v[31:32], off offset:384
	v_mov_b32_e32 v60, 0
	v_mov_b32_e32 v61, 0
	s_waitcnt vmcnt(0)
	v_and_b32_e32 v62, 0xffff, v25
	v_cmp_ne_u16_sdwa s2, v25, v26 src0_sel:BYTE_0 src1_sel:DWORD
	s_and_saveexec_b32 s41, s2
	s_cbranch_execz .LBB311_121
; %bb.114:                              ;   in Loop: Header=BB311_12 Depth=1
	v_cmp_ne_u16_sdwa s2, v62, v42 src0_sel:BYTE_0 src1_sel:DWORD
	v_bfrev_b32_e32 v61, 1
	s_and_saveexec_b32 s42, s2
	s_cbranch_execz .LBB311_120
; %bb.115:                              ;   in Loop: Header=BB311_12 Depth=1
	v_and_b32_e32 v63, 0x7f, v62
	v_mov_b32_e32 v61, 0x7f800001
	s_mov_b32 s43, exec_lo
	v_cmpx_ne_u32_e32 0x7f, v63
	s_cbranch_execz .LBB311_119
; %bb.116:                              ;   in Loop: Header=BB311_12 Depth=1
	v_and_b32_e32 v25, 7, v62
	v_lshrrev_b32_e32 v61, 3, v63
	s_mov_b32 s44, exec_lo
	v_cmpx_gt_u32_e32 8, v63
; %bb.117:                              ;   in Loop: Header=BB311_12 Depth=1
	v_ffbh_u32_e32 v61, v25
	v_min_u32_e32 v61, 32, v61
	v_subrev_nc_u32_e32 v63, 28, v61
	v_sub_nc_u32_e32 v61, 29, v61
	v_lshlrev_b64 v[63:64], v63, v[25:26]
	v_and_b32_e32 v25, 7, v63
; %bb.118:                              ;   in Loop: Header=BB311_12 Depth=1
	s_or_b32 exec_lo, exec_lo, s44
	v_lshlrev_b32_e32 v63, 24, v62
	v_lshlrev_b32_e32 v25, 20, v25
	v_lshl_add_u32 v61, v61, 23, 0x3c000000
	v_and_b32_e32 v63, 0x80000000, v63
	v_or3_b32 v61, v25, v63, v61
.LBB311_119:                            ;   in Loop: Header=BB311_12 Depth=1
	s_or_b32 exec_lo, exec_lo, s43
.LBB311_120:                            ;   in Loop: Header=BB311_12 Depth=1
	s_or_b32 exec_lo, exec_lo, s42
.LBB311_121:                            ;   in Loop: Header=BB311_12 Depth=1
	s_or_b32 exec_lo, exec_lo, s41
	v_cmp_ne_u16_sdwa s2, v62, v26 src0_sel:BYTE_1 src1_sel:DWORD
	s_and_saveexec_b32 s41, s2
	s_cbranch_execz .LBB311_129
; %bb.122:                              ;   in Loop: Header=BB311_12 Depth=1
	v_cmp_ne_u16_sdwa s2, v62, v42 src0_sel:BYTE_1 src1_sel:DWORD
	v_bfrev_b32_e32 v60, 1
	s_and_saveexec_b32 s42, s2
	s_cbranch_execz .LBB311_128
; %bb.123:                              ;   in Loop: Header=BB311_12 Depth=1
	v_and_b32_sdwa v25, v43, v62 dst_sel:DWORD dst_unused:UNUSED_PAD src0_sel:DWORD src1_sel:BYTE_1
	v_mov_b32_e32 v60, 0x7f800001
	s_mov_b32 s43, exec_lo
	v_and_b32_e32 v63, 0x7f, v25
	v_cmpx_ne_u32_e32 0x7f, v63
	s_cbranch_execz .LBB311_127
; %bb.124:                              ;   in Loop: Header=BB311_12 Depth=1
	v_and_b32_e32 v25, 7, v25
	v_lshrrev_b32_e32 v60, 3, v63
	s_mov_b32 s44, exec_lo
	v_cmpx_gt_u32_e32 8, v63
; %bb.125:                              ;   in Loop: Header=BB311_12 Depth=1
	v_ffbh_u32_e32 v60, v25
	v_min_u32_e32 v60, 32, v60
	v_subrev_nc_u32_e32 v63, 28, v60
	v_sub_nc_u32_e32 v60, 29, v60
	v_lshlrev_b64 v[63:64], v63, v[25:26]
	v_and_b32_e32 v25, 7, v63
; %bb.126:                              ;   in Loop: Header=BB311_12 Depth=1
	s_or_b32 exec_lo, exec_lo, s44
	v_lshlrev_b32_e32 v62, 16, v62
	v_lshlrev_b32_e32 v25, 20, v25
	v_lshl_add_u32 v60, v60, 23, 0x3c000000
	v_and_b32_e32 v62, 0x80000000, v62
	v_or3_b32 v60, v25, v62, v60
.LBB311_127:                            ;   in Loop: Header=BB311_12 Depth=1
	s_or_b32 exec_lo, exec_lo, s43
.LBB311_128:                            ;   in Loop: Header=BB311_12 Depth=1
	s_or_b32 exec_lo, exec_lo, s42
.LBB311_129:                            ;   in Loop: Header=BB311_12 Depth=1
	s_or_b32 exec_lo, exec_lo, s41
	global_load_ushort v25, v[31:32], off offset:392
	v_mov_b32_e32 v62, 0
	v_mov_b32_e32 v63, 0
	s_waitcnt vmcnt(0)
	v_and_b32_e32 v64, 0xffff, v25
	v_cmp_ne_u16_sdwa s2, v25, v26 src0_sel:BYTE_0 src1_sel:DWORD
	s_and_saveexec_b32 s41, s2
	s_cbranch_execz .LBB311_137
; %bb.130:                              ;   in Loop: Header=BB311_12 Depth=1
	v_cmp_ne_u16_sdwa s2, v64, v42 src0_sel:BYTE_0 src1_sel:DWORD
	v_bfrev_b32_e32 v63, 1
	s_and_saveexec_b32 s42, s2
	s_cbranch_execz .LBB311_136
; %bb.131:                              ;   in Loop: Header=BB311_12 Depth=1
	v_and_b32_e32 v65, 0x7f, v64
	v_mov_b32_e32 v63, 0x7f800001
	s_mov_b32 s43, exec_lo
	v_cmpx_ne_u32_e32 0x7f, v65
	s_cbranch_execz .LBB311_135
; %bb.132:                              ;   in Loop: Header=BB311_12 Depth=1
	v_and_b32_e32 v25, 7, v64
	v_lshrrev_b32_e32 v63, 3, v65
	s_mov_b32 s44, exec_lo
	v_cmpx_gt_u32_e32 8, v65
; %bb.133:                              ;   in Loop: Header=BB311_12 Depth=1
	v_ffbh_u32_e32 v63, v25
	v_min_u32_e32 v63, 32, v63
	v_subrev_nc_u32_e32 v65, 28, v63
	v_sub_nc_u32_e32 v63, 29, v63
	v_lshlrev_b64 v[65:66], v65, v[25:26]
	v_and_b32_e32 v25, 7, v65
; %bb.134:                              ;   in Loop: Header=BB311_12 Depth=1
	s_or_b32 exec_lo, exec_lo, s44
	v_lshlrev_b32_e32 v65, 24, v64
	v_lshlrev_b32_e32 v25, 20, v25
	v_lshl_add_u32 v63, v63, 23, 0x3c000000
	v_and_b32_e32 v65, 0x80000000, v65
	v_or3_b32 v63, v25, v65, v63
.LBB311_135:                            ;   in Loop: Header=BB311_12 Depth=1
	s_or_b32 exec_lo, exec_lo, s43
.LBB311_136:                            ;   in Loop: Header=BB311_12 Depth=1
	s_or_b32 exec_lo, exec_lo, s42
.LBB311_137:                            ;   in Loop: Header=BB311_12 Depth=1
	s_or_b32 exec_lo, exec_lo, s41
	v_cmp_ne_u16_sdwa s2, v64, v26 src0_sel:BYTE_1 src1_sel:DWORD
	s_and_saveexec_b32 s41, s2
	s_cbranch_execz .LBB311_145
; %bb.138:                              ;   in Loop: Header=BB311_12 Depth=1
	v_cmp_ne_u16_sdwa s2, v64, v42 src0_sel:BYTE_1 src1_sel:DWORD
	v_bfrev_b32_e32 v62, 1
	s_and_saveexec_b32 s42, s2
	s_cbranch_execz .LBB311_144
; %bb.139:                              ;   in Loop: Header=BB311_12 Depth=1
	v_and_b32_sdwa v25, v43, v64 dst_sel:DWORD dst_unused:UNUSED_PAD src0_sel:DWORD src1_sel:BYTE_1
	v_mov_b32_e32 v62, 0x7f800001
	s_mov_b32 s43, exec_lo
	v_and_b32_e32 v65, 0x7f, v25
	v_cmpx_ne_u32_e32 0x7f, v65
	s_cbranch_execz .LBB311_143
; %bb.140:                              ;   in Loop: Header=BB311_12 Depth=1
	v_and_b32_e32 v25, 7, v25
	v_lshrrev_b32_e32 v62, 3, v65
	s_mov_b32 s44, exec_lo
	v_cmpx_gt_u32_e32 8, v65
; %bb.141:                              ;   in Loop: Header=BB311_12 Depth=1
	v_ffbh_u32_e32 v62, v25
	v_min_u32_e32 v62, 32, v62
	v_subrev_nc_u32_e32 v65, 28, v62
	v_sub_nc_u32_e32 v62, 29, v62
	v_lshlrev_b64 v[65:66], v65, v[25:26]
	v_and_b32_e32 v25, 7, v65
; %bb.142:                              ;   in Loop: Header=BB311_12 Depth=1
	s_or_b32 exec_lo, exec_lo, s44
	v_lshlrev_b32_e32 v64, 16, v64
	v_lshlrev_b32_e32 v25, 20, v25
	v_lshl_add_u32 v62, v62, 23, 0x3c000000
	v_and_b32_e32 v64, 0x80000000, v64
	v_or3_b32 v62, v25, v64, v62
.LBB311_143:                            ;   in Loop: Header=BB311_12 Depth=1
	s_or_b32 exec_lo, exec_lo, s43
.LBB311_144:                            ;   in Loop: Header=BB311_12 Depth=1
	s_or_b32 exec_lo, exec_lo, s42
.LBB311_145:                            ;   in Loop: Header=BB311_12 Depth=1
	s_or_b32 exec_lo, exec_lo, s41
	global_load_ushort v25, v[31:32], off offset:512
	v_mov_b32_e32 v64, 0
	v_mov_b32_e32 v65, 0
	s_waitcnt vmcnt(0)
	v_and_b32_e32 v66, 0xffff, v25
	v_cmp_ne_u16_sdwa s2, v25, v26 src0_sel:BYTE_0 src1_sel:DWORD
	s_and_saveexec_b32 s41, s2
	s_cbranch_execz .LBB311_153
; %bb.146:                              ;   in Loop: Header=BB311_12 Depth=1
	v_cmp_ne_u16_sdwa s2, v66, v42 src0_sel:BYTE_0 src1_sel:DWORD
	v_bfrev_b32_e32 v65, 1
	s_and_saveexec_b32 s42, s2
	s_cbranch_execz .LBB311_152
; %bb.147:                              ;   in Loop: Header=BB311_12 Depth=1
	v_and_b32_e32 v67, 0x7f, v66
	v_mov_b32_e32 v65, 0x7f800001
	s_mov_b32 s43, exec_lo
	v_cmpx_ne_u32_e32 0x7f, v67
	s_cbranch_execz .LBB311_151
; %bb.148:                              ;   in Loop: Header=BB311_12 Depth=1
	v_and_b32_e32 v25, 7, v66
	v_lshrrev_b32_e32 v65, 3, v67
	s_mov_b32 s44, exec_lo
	v_cmpx_gt_u32_e32 8, v67
; %bb.149:                              ;   in Loop: Header=BB311_12 Depth=1
	v_ffbh_u32_e32 v65, v25
	v_min_u32_e32 v65, 32, v65
	v_subrev_nc_u32_e32 v67, 28, v65
	v_sub_nc_u32_e32 v65, 29, v65
	v_lshlrev_b64 v[67:68], v67, v[25:26]
	v_and_b32_e32 v25, 7, v67
; %bb.150:                              ;   in Loop: Header=BB311_12 Depth=1
	s_or_b32 exec_lo, exec_lo, s44
	v_lshlrev_b32_e32 v67, 24, v66
	v_lshlrev_b32_e32 v25, 20, v25
	v_lshl_add_u32 v65, v65, 23, 0x3c000000
	v_and_b32_e32 v67, 0x80000000, v67
	v_or3_b32 v65, v25, v67, v65
.LBB311_151:                            ;   in Loop: Header=BB311_12 Depth=1
	s_or_b32 exec_lo, exec_lo, s43
.LBB311_152:                            ;   in Loop: Header=BB311_12 Depth=1
	s_or_b32 exec_lo, exec_lo, s42
.LBB311_153:                            ;   in Loop: Header=BB311_12 Depth=1
	s_or_b32 exec_lo, exec_lo, s41
	v_cmp_ne_u16_sdwa s2, v66, v26 src0_sel:BYTE_1 src1_sel:DWORD
	s_and_saveexec_b32 s41, s2
	s_cbranch_execz .LBB311_161
; %bb.154:                              ;   in Loop: Header=BB311_12 Depth=1
	v_cmp_ne_u16_sdwa s2, v66, v42 src0_sel:BYTE_1 src1_sel:DWORD
	v_bfrev_b32_e32 v64, 1
	s_and_saveexec_b32 s42, s2
	s_cbranch_execz .LBB311_160
; %bb.155:                              ;   in Loop: Header=BB311_12 Depth=1
	v_and_b32_sdwa v25, v43, v66 dst_sel:DWORD dst_unused:UNUSED_PAD src0_sel:DWORD src1_sel:BYTE_1
	v_mov_b32_e32 v64, 0x7f800001
	s_mov_b32 s43, exec_lo
	v_and_b32_e32 v67, 0x7f, v25
	v_cmpx_ne_u32_e32 0x7f, v67
	s_cbranch_execz .LBB311_159
; %bb.156:                              ;   in Loop: Header=BB311_12 Depth=1
	v_and_b32_e32 v25, 7, v25
	v_lshrrev_b32_e32 v64, 3, v67
	s_mov_b32 s44, exec_lo
	v_cmpx_gt_u32_e32 8, v67
; %bb.157:                              ;   in Loop: Header=BB311_12 Depth=1
	v_ffbh_u32_e32 v64, v25
	v_min_u32_e32 v64, 32, v64
	v_subrev_nc_u32_e32 v67, 28, v64
	v_sub_nc_u32_e32 v64, 29, v64
	v_lshlrev_b64 v[67:68], v67, v[25:26]
	v_and_b32_e32 v25, 7, v67
; %bb.158:                              ;   in Loop: Header=BB311_12 Depth=1
	s_or_b32 exec_lo, exec_lo, s44
	v_lshlrev_b32_e32 v66, 16, v66
	v_lshlrev_b32_e32 v25, 20, v25
	v_lshl_add_u32 v64, v64, 23, 0x3c000000
	v_and_b32_e32 v66, 0x80000000, v66
	v_or3_b32 v64, v25, v66, v64
.LBB311_159:                            ;   in Loop: Header=BB311_12 Depth=1
	s_or_b32 exec_lo, exec_lo, s43
.LBB311_160:                            ;   in Loop: Header=BB311_12 Depth=1
	s_or_b32 exec_lo, exec_lo, s42
.LBB311_161:                            ;   in Loop: Header=BB311_12 Depth=1
	s_or_b32 exec_lo, exec_lo, s41
	global_load_ushort v25, v[31:32], off offset:520
	v_mov_b32_e32 v66, 0
	v_mov_b32_e32 v67, 0
	s_waitcnt vmcnt(0)
	v_and_b32_e32 v68, 0xffff, v25
	v_cmp_ne_u16_sdwa s2, v25, v26 src0_sel:BYTE_0 src1_sel:DWORD
	s_and_saveexec_b32 s41, s2
	s_cbranch_execz .LBB311_169
; %bb.162:                              ;   in Loop: Header=BB311_12 Depth=1
	v_cmp_ne_u16_sdwa s2, v68, v42 src0_sel:BYTE_0 src1_sel:DWORD
	v_bfrev_b32_e32 v67, 1
	s_and_saveexec_b32 s42, s2
	s_cbranch_execz .LBB311_168
; %bb.163:                              ;   in Loop: Header=BB311_12 Depth=1
	v_and_b32_e32 v69, 0x7f, v68
	v_mov_b32_e32 v67, 0x7f800001
	s_mov_b32 s43, exec_lo
	v_cmpx_ne_u32_e32 0x7f, v69
	s_cbranch_execz .LBB311_167
; %bb.164:                              ;   in Loop: Header=BB311_12 Depth=1
	v_and_b32_e32 v25, 7, v68
	v_lshrrev_b32_e32 v67, 3, v69
	s_mov_b32 s44, exec_lo
	v_cmpx_gt_u32_e32 8, v69
; %bb.165:                              ;   in Loop: Header=BB311_12 Depth=1
	v_ffbh_u32_e32 v67, v25
	v_min_u32_e32 v67, 32, v67
	v_subrev_nc_u32_e32 v69, 28, v67
	v_sub_nc_u32_e32 v67, 29, v67
	v_lshlrev_b64 v[69:70], v69, v[25:26]
	v_and_b32_e32 v25, 7, v69
; %bb.166:                              ;   in Loop: Header=BB311_12 Depth=1
	s_or_b32 exec_lo, exec_lo, s44
	v_lshlrev_b32_e32 v69, 24, v68
	v_lshlrev_b32_e32 v25, 20, v25
	v_lshl_add_u32 v67, v67, 23, 0x3c000000
	v_and_b32_e32 v69, 0x80000000, v69
	v_or3_b32 v67, v25, v69, v67
.LBB311_167:                            ;   in Loop: Header=BB311_12 Depth=1
	s_or_b32 exec_lo, exec_lo, s43
.LBB311_168:                            ;   in Loop: Header=BB311_12 Depth=1
	s_or_b32 exec_lo, exec_lo, s42
.LBB311_169:                            ;   in Loop: Header=BB311_12 Depth=1
	s_or_b32 exec_lo, exec_lo, s41
	v_cmp_ne_u16_sdwa s2, v68, v26 src0_sel:BYTE_1 src1_sel:DWORD
	s_and_saveexec_b32 s41, s2
	s_cbranch_execz .LBB311_177
; %bb.170:                              ;   in Loop: Header=BB311_12 Depth=1
	v_cmp_ne_u16_sdwa s2, v68, v42 src0_sel:BYTE_1 src1_sel:DWORD
	v_bfrev_b32_e32 v66, 1
	s_and_saveexec_b32 s42, s2
	s_cbranch_execz .LBB311_176
; %bb.171:                              ;   in Loop: Header=BB311_12 Depth=1
	v_and_b32_sdwa v25, v43, v68 dst_sel:DWORD dst_unused:UNUSED_PAD src0_sel:DWORD src1_sel:BYTE_1
	v_mov_b32_e32 v66, 0x7f800001
	s_mov_b32 s43, exec_lo
	v_and_b32_e32 v69, 0x7f, v25
	v_cmpx_ne_u32_e32 0x7f, v69
	s_cbranch_execz .LBB311_175
; %bb.172:                              ;   in Loop: Header=BB311_12 Depth=1
	v_and_b32_e32 v25, 7, v25
	v_lshrrev_b32_e32 v66, 3, v69
	s_mov_b32 s44, exec_lo
	v_cmpx_gt_u32_e32 8, v69
; %bb.173:                              ;   in Loop: Header=BB311_12 Depth=1
	v_ffbh_u32_e32 v66, v25
	v_min_u32_e32 v66, 32, v66
	v_subrev_nc_u32_e32 v69, 28, v66
	v_sub_nc_u32_e32 v66, 29, v66
	v_lshlrev_b64 v[69:70], v69, v[25:26]
	v_and_b32_e32 v25, 7, v69
; %bb.174:                              ;   in Loop: Header=BB311_12 Depth=1
	s_or_b32 exec_lo, exec_lo, s44
	v_lshlrev_b32_e32 v68, 16, v68
	v_lshlrev_b32_e32 v25, 20, v25
	v_lshl_add_u32 v66, v66, 23, 0x3c000000
	v_and_b32_e32 v68, 0x80000000, v68
	v_or3_b32 v66, v25, v68, v66
.LBB311_175:                            ;   in Loop: Header=BB311_12 Depth=1
	s_or_b32 exec_lo, exec_lo, s43
.LBB311_176:                            ;   in Loop: Header=BB311_12 Depth=1
	s_or_b32 exec_lo, exec_lo, s42
.LBB311_177:                            ;   in Loop: Header=BB311_12 Depth=1
	s_or_b32 exec_lo, exec_lo, s41
	global_load_ushort v25, v[31:32], off offset:640
	v_mov_b32_e32 v68, 0
	v_mov_b32_e32 v69, 0
	s_waitcnt vmcnt(0)
	v_and_b32_e32 v70, 0xffff, v25
	v_cmp_ne_u16_sdwa s2, v25, v26 src0_sel:BYTE_0 src1_sel:DWORD
	s_and_saveexec_b32 s41, s2
	s_cbranch_execz .LBB311_185
; %bb.178:                              ;   in Loop: Header=BB311_12 Depth=1
	v_cmp_ne_u16_sdwa s2, v70, v42 src0_sel:BYTE_0 src1_sel:DWORD
	v_bfrev_b32_e32 v69, 1
	s_and_saveexec_b32 s42, s2
	s_cbranch_execz .LBB311_184
; %bb.179:                              ;   in Loop: Header=BB311_12 Depth=1
	v_and_b32_e32 v71, 0x7f, v70
	v_mov_b32_e32 v69, 0x7f800001
	s_mov_b32 s43, exec_lo
	v_cmpx_ne_u32_e32 0x7f, v71
	s_cbranch_execz .LBB311_183
; %bb.180:                              ;   in Loop: Header=BB311_12 Depth=1
	v_and_b32_e32 v25, 7, v70
	v_lshrrev_b32_e32 v69, 3, v71
	s_mov_b32 s44, exec_lo
	v_cmpx_gt_u32_e32 8, v71
; %bb.181:                              ;   in Loop: Header=BB311_12 Depth=1
	v_ffbh_u32_e32 v69, v25
	v_min_u32_e32 v69, 32, v69
	v_subrev_nc_u32_e32 v71, 28, v69
	v_sub_nc_u32_e32 v69, 29, v69
	v_lshlrev_b64 v[71:72], v71, v[25:26]
	v_and_b32_e32 v25, 7, v71
; %bb.182:                              ;   in Loop: Header=BB311_12 Depth=1
	s_or_b32 exec_lo, exec_lo, s44
	v_lshlrev_b32_e32 v71, 24, v70
	v_lshlrev_b32_e32 v25, 20, v25
	v_lshl_add_u32 v69, v69, 23, 0x3c000000
	v_and_b32_e32 v71, 0x80000000, v71
	v_or3_b32 v69, v25, v71, v69
.LBB311_183:                            ;   in Loop: Header=BB311_12 Depth=1
	s_or_b32 exec_lo, exec_lo, s43
.LBB311_184:                            ;   in Loop: Header=BB311_12 Depth=1
	s_or_b32 exec_lo, exec_lo, s42
.LBB311_185:                            ;   in Loop: Header=BB311_12 Depth=1
	s_or_b32 exec_lo, exec_lo, s41
	v_cmp_ne_u16_sdwa s2, v70, v26 src0_sel:BYTE_1 src1_sel:DWORD
	s_and_saveexec_b32 s41, s2
	s_cbranch_execz .LBB311_193
; %bb.186:                              ;   in Loop: Header=BB311_12 Depth=1
	v_cmp_ne_u16_sdwa s2, v70, v42 src0_sel:BYTE_1 src1_sel:DWORD
	v_bfrev_b32_e32 v68, 1
	s_and_saveexec_b32 s42, s2
	s_cbranch_execz .LBB311_192
; %bb.187:                              ;   in Loop: Header=BB311_12 Depth=1
	v_and_b32_sdwa v25, v43, v70 dst_sel:DWORD dst_unused:UNUSED_PAD src0_sel:DWORD src1_sel:BYTE_1
	v_mov_b32_e32 v68, 0x7f800001
	s_mov_b32 s43, exec_lo
	v_and_b32_e32 v71, 0x7f, v25
	v_cmpx_ne_u32_e32 0x7f, v71
	s_cbranch_execz .LBB311_191
; %bb.188:                              ;   in Loop: Header=BB311_12 Depth=1
	v_and_b32_e32 v25, 7, v25
	v_lshrrev_b32_e32 v68, 3, v71
	s_mov_b32 s44, exec_lo
	v_cmpx_gt_u32_e32 8, v71
; %bb.189:                              ;   in Loop: Header=BB311_12 Depth=1
	v_ffbh_u32_e32 v68, v25
	v_min_u32_e32 v68, 32, v68
	v_subrev_nc_u32_e32 v71, 28, v68
	v_sub_nc_u32_e32 v68, 29, v68
	v_lshlrev_b64 v[71:72], v71, v[25:26]
	v_and_b32_e32 v25, 7, v71
; %bb.190:                              ;   in Loop: Header=BB311_12 Depth=1
	s_or_b32 exec_lo, exec_lo, s44
	v_lshlrev_b32_e32 v70, 16, v70
	v_lshlrev_b32_e32 v25, 20, v25
	v_lshl_add_u32 v68, v68, 23, 0x3c000000
	v_and_b32_e32 v70, 0x80000000, v70
	v_or3_b32 v68, v25, v70, v68
.LBB311_191:                            ;   in Loop: Header=BB311_12 Depth=1
	s_or_b32 exec_lo, exec_lo, s43
.LBB311_192:                            ;   in Loop: Header=BB311_12 Depth=1
	s_or_b32 exec_lo, exec_lo, s42
.LBB311_193:                            ;   in Loop: Header=BB311_12 Depth=1
	s_or_b32 exec_lo, exec_lo, s41
	global_load_ushort v25, v[31:32], off offset:648
	v_mov_b32_e32 v70, 0
	v_mov_b32_e32 v71, 0
	s_waitcnt vmcnt(0)
	v_and_b32_e32 v72, 0xffff, v25
	v_cmp_ne_u16_sdwa s2, v25, v26 src0_sel:BYTE_0 src1_sel:DWORD
	s_and_saveexec_b32 s41, s2
	s_cbranch_execz .LBB311_201
; %bb.194:                              ;   in Loop: Header=BB311_12 Depth=1
	v_cmp_ne_u16_sdwa s2, v72, v42 src0_sel:BYTE_0 src1_sel:DWORD
	v_bfrev_b32_e32 v71, 1
	s_and_saveexec_b32 s42, s2
	s_cbranch_execz .LBB311_200
; %bb.195:                              ;   in Loop: Header=BB311_12 Depth=1
	v_and_b32_e32 v73, 0x7f, v72
	v_mov_b32_e32 v71, 0x7f800001
	s_mov_b32 s43, exec_lo
	v_cmpx_ne_u32_e32 0x7f, v73
	s_cbranch_execz .LBB311_199
; %bb.196:                              ;   in Loop: Header=BB311_12 Depth=1
	v_and_b32_e32 v25, 7, v72
	v_lshrrev_b32_e32 v71, 3, v73
	s_mov_b32 s44, exec_lo
	v_cmpx_gt_u32_e32 8, v73
; %bb.197:                              ;   in Loop: Header=BB311_12 Depth=1
	v_ffbh_u32_e32 v71, v25
	v_min_u32_e32 v71, 32, v71
	v_subrev_nc_u32_e32 v73, 28, v71
	v_sub_nc_u32_e32 v71, 29, v71
	v_lshlrev_b64 v[73:74], v73, v[25:26]
	v_and_b32_e32 v25, 7, v73
; %bb.198:                              ;   in Loop: Header=BB311_12 Depth=1
	s_or_b32 exec_lo, exec_lo, s44
	v_lshlrev_b32_e32 v73, 24, v72
	v_lshlrev_b32_e32 v25, 20, v25
	v_lshl_add_u32 v71, v71, 23, 0x3c000000
	v_and_b32_e32 v73, 0x80000000, v73
	v_or3_b32 v71, v25, v73, v71
.LBB311_199:                            ;   in Loop: Header=BB311_12 Depth=1
	s_or_b32 exec_lo, exec_lo, s43
.LBB311_200:                            ;   in Loop: Header=BB311_12 Depth=1
	s_or_b32 exec_lo, exec_lo, s42
.LBB311_201:                            ;   in Loop: Header=BB311_12 Depth=1
	s_or_b32 exec_lo, exec_lo, s41
	v_cmp_ne_u16_sdwa s2, v72, v26 src0_sel:BYTE_1 src1_sel:DWORD
	s_and_saveexec_b32 s41, s2
	s_cbranch_execz .LBB311_209
; %bb.202:                              ;   in Loop: Header=BB311_12 Depth=1
	v_cmp_ne_u16_sdwa s2, v72, v42 src0_sel:BYTE_1 src1_sel:DWORD
	v_bfrev_b32_e32 v70, 1
	s_and_saveexec_b32 s42, s2
	s_cbranch_execz .LBB311_208
; %bb.203:                              ;   in Loop: Header=BB311_12 Depth=1
	v_and_b32_sdwa v25, v43, v72 dst_sel:DWORD dst_unused:UNUSED_PAD src0_sel:DWORD src1_sel:BYTE_1
	v_mov_b32_e32 v70, 0x7f800001
	s_mov_b32 s43, exec_lo
	v_and_b32_e32 v73, 0x7f, v25
	v_cmpx_ne_u32_e32 0x7f, v73
	s_cbranch_execz .LBB311_207
; %bb.204:                              ;   in Loop: Header=BB311_12 Depth=1
	v_and_b32_e32 v25, 7, v25
	v_lshrrev_b32_e32 v70, 3, v73
	s_mov_b32 s44, exec_lo
	v_cmpx_gt_u32_e32 8, v73
; %bb.205:                              ;   in Loop: Header=BB311_12 Depth=1
	v_ffbh_u32_e32 v70, v25
	v_min_u32_e32 v70, 32, v70
	v_subrev_nc_u32_e32 v73, 28, v70
	v_sub_nc_u32_e32 v70, 29, v70
	v_lshlrev_b64 v[73:74], v73, v[25:26]
	v_and_b32_e32 v25, 7, v73
; %bb.206:                              ;   in Loop: Header=BB311_12 Depth=1
	s_or_b32 exec_lo, exec_lo, s44
	v_lshlrev_b32_e32 v72, 16, v72
	v_lshlrev_b32_e32 v25, 20, v25
	v_lshl_add_u32 v70, v70, 23, 0x3c000000
	v_and_b32_e32 v72, 0x80000000, v72
	v_or3_b32 v70, v25, v72, v70
.LBB311_207:                            ;   in Loop: Header=BB311_12 Depth=1
	s_or_b32 exec_lo, exec_lo, s43
.LBB311_208:                            ;   in Loop: Header=BB311_12 Depth=1
	s_or_b32 exec_lo, exec_lo, s42
.LBB311_209:                            ;   in Loop: Header=BB311_12 Depth=1
	s_or_b32 exec_lo, exec_lo, s41
	global_load_ushort v25, v[31:32], off offset:768
	v_mov_b32_e32 v72, 0
	v_mov_b32_e32 v73, 0
	s_waitcnt vmcnt(0)
	v_and_b32_e32 v74, 0xffff, v25
	v_cmp_ne_u16_sdwa s2, v25, v26 src0_sel:BYTE_0 src1_sel:DWORD
	s_and_saveexec_b32 s41, s2
	s_cbranch_execz .LBB311_217
; %bb.210:                              ;   in Loop: Header=BB311_12 Depth=1
	v_cmp_ne_u16_sdwa s2, v74, v42 src0_sel:BYTE_0 src1_sel:DWORD
	v_bfrev_b32_e32 v73, 1
	s_and_saveexec_b32 s42, s2
	s_cbranch_execz .LBB311_216
; %bb.211:                              ;   in Loop: Header=BB311_12 Depth=1
	v_and_b32_e32 v75, 0x7f, v74
	v_mov_b32_e32 v73, 0x7f800001
	s_mov_b32 s43, exec_lo
	v_cmpx_ne_u32_e32 0x7f, v75
	s_cbranch_execz .LBB311_215
; %bb.212:                              ;   in Loop: Header=BB311_12 Depth=1
	v_and_b32_e32 v25, 7, v74
	v_lshrrev_b32_e32 v73, 3, v75
	s_mov_b32 s44, exec_lo
	v_cmpx_gt_u32_e32 8, v75
; %bb.213:                              ;   in Loop: Header=BB311_12 Depth=1
	v_ffbh_u32_e32 v73, v25
	v_min_u32_e32 v73, 32, v73
	v_subrev_nc_u32_e32 v75, 28, v73
	v_sub_nc_u32_e32 v73, 29, v73
	v_lshlrev_b64 v[75:76], v75, v[25:26]
	v_and_b32_e32 v25, 7, v75
; %bb.214:                              ;   in Loop: Header=BB311_12 Depth=1
	s_or_b32 exec_lo, exec_lo, s44
	v_lshlrev_b32_e32 v75, 24, v74
	v_lshlrev_b32_e32 v25, 20, v25
	v_lshl_add_u32 v73, v73, 23, 0x3c000000
	v_and_b32_e32 v75, 0x80000000, v75
	v_or3_b32 v73, v25, v75, v73
.LBB311_215:                            ;   in Loop: Header=BB311_12 Depth=1
	s_or_b32 exec_lo, exec_lo, s43
.LBB311_216:                            ;   in Loop: Header=BB311_12 Depth=1
	s_or_b32 exec_lo, exec_lo, s42
.LBB311_217:                            ;   in Loop: Header=BB311_12 Depth=1
	s_or_b32 exec_lo, exec_lo, s41
	v_cmp_ne_u16_sdwa s2, v74, v26 src0_sel:BYTE_1 src1_sel:DWORD
	s_and_saveexec_b32 s41, s2
	s_cbranch_execz .LBB311_225
; %bb.218:                              ;   in Loop: Header=BB311_12 Depth=1
	v_cmp_ne_u16_sdwa s2, v74, v42 src0_sel:BYTE_1 src1_sel:DWORD
	v_bfrev_b32_e32 v72, 1
	s_and_saveexec_b32 s42, s2
	s_cbranch_execz .LBB311_224
; %bb.219:                              ;   in Loop: Header=BB311_12 Depth=1
	v_and_b32_sdwa v25, v43, v74 dst_sel:DWORD dst_unused:UNUSED_PAD src0_sel:DWORD src1_sel:BYTE_1
	v_mov_b32_e32 v72, 0x7f800001
	s_mov_b32 s43, exec_lo
	v_and_b32_e32 v75, 0x7f, v25
	v_cmpx_ne_u32_e32 0x7f, v75
	s_cbranch_execz .LBB311_223
; %bb.220:                              ;   in Loop: Header=BB311_12 Depth=1
	v_and_b32_e32 v25, 7, v25
	v_lshrrev_b32_e32 v72, 3, v75
	s_mov_b32 s44, exec_lo
	v_cmpx_gt_u32_e32 8, v75
; %bb.221:                              ;   in Loop: Header=BB311_12 Depth=1
	v_ffbh_u32_e32 v72, v25
	v_min_u32_e32 v72, 32, v72
	v_subrev_nc_u32_e32 v75, 28, v72
	v_sub_nc_u32_e32 v72, 29, v72
	v_lshlrev_b64 v[75:76], v75, v[25:26]
	v_and_b32_e32 v25, 7, v75
; %bb.222:                              ;   in Loop: Header=BB311_12 Depth=1
	s_or_b32 exec_lo, exec_lo, s44
	v_lshlrev_b32_e32 v74, 16, v74
	v_lshlrev_b32_e32 v25, 20, v25
	v_lshl_add_u32 v72, v72, 23, 0x3c000000
	v_and_b32_e32 v74, 0x80000000, v74
	v_or3_b32 v72, v25, v74, v72
.LBB311_223:                            ;   in Loop: Header=BB311_12 Depth=1
	s_or_b32 exec_lo, exec_lo, s43
.LBB311_224:                            ;   in Loop: Header=BB311_12 Depth=1
	s_or_b32 exec_lo, exec_lo, s42
.LBB311_225:                            ;   in Loop: Header=BB311_12 Depth=1
	s_or_b32 exec_lo, exec_lo, s41
	global_load_ushort v25, v[31:32], off offset:776
	v_mov_b32_e32 v74, 0
	v_mov_b32_e32 v75, 0
	s_waitcnt vmcnt(0)
	v_and_b32_e32 v76, 0xffff, v25
	v_cmp_ne_u16_sdwa s2, v25, v26 src0_sel:BYTE_0 src1_sel:DWORD
	s_and_saveexec_b32 s41, s2
	s_cbranch_execz .LBB311_233
; %bb.226:                              ;   in Loop: Header=BB311_12 Depth=1
	v_cmp_ne_u16_sdwa s2, v76, v42 src0_sel:BYTE_0 src1_sel:DWORD
	v_bfrev_b32_e32 v75, 1
	s_and_saveexec_b32 s42, s2
	s_cbranch_execz .LBB311_232
; %bb.227:                              ;   in Loop: Header=BB311_12 Depth=1
	v_and_b32_e32 v77, 0x7f, v76
	v_mov_b32_e32 v75, 0x7f800001
	s_mov_b32 s43, exec_lo
	v_cmpx_ne_u32_e32 0x7f, v77
	s_cbranch_execz .LBB311_231
; %bb.228:                              ;   in Loop: Header=BB311_12 Depth=1
	v_and_b32_e32 v25, 7, v76
	v_lshrrev_b32_e32 v75, 3, v77
	s_mov_b32 s44, exec_lo
	v_cmpx_gt_u32_e32 8, v77
; %bb.229:                              ;   in Loop: Header=BB311_12 Depth=1
	v_ffbh_u32_e32 v75, v25
	v_min_u32_e32 v75, 32, v75
	v_subrev_nc_u32_e32 v77, 28, v75
	v_sub_nc_u32_e32 v75, 29, v75
	v_lshlrev_b64 v[77:78], v77, v[25:26]
	v_and_b32_e32 v25, 7, v77
; %bb.230:                              ;   in Loop: Header=BB311_12 Depth=1
	s_or_b32 exec_lo, exec_lo, s44
	v_lshlrev_b32_e32 v77, 24, v76
	v_lshlrev_b32_e32 v25, 20, v25
	v_lshl_add_u32 v75, v75, 23, 0x3c000000
	v_and_b32_e32 v77, 0x80000000, v77
	v_or3_b32 v75, v25, v77, v75
.LBB311_231:                            ;   in Loop: Header=BB311_12 Depth=1
	s_or_b32 exec_lo, exec_lo, s43
.LBB311_232:                            ;   in Loop: Header=BB311_12 Depth=1
	s_or_b32 exec_lo, exec_lo, s42
.LBB311_233:                            ;   in Loop: Header=BB311_12 Depth=1
	s_or_b32 exec_lo, exec_lo, s41
	v_cmp_ne_u16_sdwa s2, v76, v26 src0_sel:BYTE_1 src1_sel:DWORD
	s_and_saveexec_b32 s41, s2
	s_cbranch_execz .LBB311_241
; %bb.234:                              ;   in Loop: Header=BB311_12 Depth=1
	v_cmp_ne_u16_sdwa s2, v76, v42 src0_sel:BYTE_1 src1_sel:DWORD
	v_bfrev_b32_e32 v74, 1
	s_and_saveexec_b32 s42, s2
	s_cbranch_execz .LBB311_240
; %bb.235:                              ;   in Loop: Header=BB311_12 Depth=1
	v_and_b32_sdwa v25, v43, v76 dst_sel:DWORD dst_unused:UNUSED_PAD src0_sel:DWORD src1_sel:BYTE_1
	v_mov_b32_e32 v74, 0x7f800001
	s_mov_b32 s43, exec_lo
	v_and_b32_e32 v77, 0x7f, v25
	v_cmpx_ne_u32_e32 0x7f, v77
	s_cbranch_execz .LBB311_239
; %bb.236:                              ;   in Loop: Header=BB311_12 Depth=1
	v_and_b32_e32 v25, 7, v25
	v_lshrrev_b32_e32 v74, 3, v77
	s_mov_b32 s44, exec_lo
	v_cmpx_gt_u32_e32 8, v77
; %bb.237:                              ;   in Loop: Header=BB311_12 Depth=1
	v_ffbh_u32_e32 v74, v25
	v_min_u32_e32 v74, 32, v74
	v_subrev_nc_u32_e32 v77, 28, v74
	v_sub_nc_u32_e32 v74, 29, v74
	v_lshlrev_b64 v[77:78], v77, v[25:26]
	v_and_b32_e32 v25, 7, v77
; %bb.238:                              ;   in Loop: Header=BB311_12 Depth=1
	s_or_b32 exec_lo, exec_lo, s44
	v_lshlrev_b32_e32 v76, 16, v76
	v_lshlrev_b32_e32 v25, 20, v25
	v_lshl_add_u32 v74, v74, 23, 0x3c000000
	v_and_b32_e32 v76, 0x80000000, v76
	v_or3_b32 v74, v25, v76, v74
.LBB311_239:                            ;   in Loop: Header=BB311_12 Depth=1
	s_or_b32 exec_lo, exec_lo, s43
.LBB311_240:                            ;   in Loop: Header=BB311_12 Depth=1
	s_or_b32 exec_lo, exec_lo, s42
.LBB311_241:                            ;   in Loop: Header=BB311_12 Depth=1
	s_or_b32 exec_lo, exec_lo, s41
	global_load_ushort v25, v[31:32], off offset:896
	v_mov_b32_e32 v76, 0
	v_mov_b32_e32 v77, 0
	s_waitcnt vmcnt(0)
	v_and_b32_e32 v78, 0xffff, v25
	v_cmp_ne_u16_sdwa s2, v25, v26 src0_sel:BYTE_0 src1_sel:DWORD
	s_and_saveexec_b32 s41, s2
	s_cbranch_execz .LBB311_249
; %bb.242:                              ;   in Loop: Header=BB311_12 Depth=1
	v_cmp_ne_u16_sdwa s2, v78, v42 src0_sel:BYTE_0 src1_sel:DWORD
	v_bfrev_b32_e32 v77, 1
	s_and_saveexec_b32 s42, s2
	s_cbranch_execz .LBB311_248
; %bb.243:                              ;   in Loop: Header=BB311_12 Depth=1
	v_and_b32_e32 v79, 0x7f, v78
	v_mov_b32_e32 v77, 0x7f800001
	s_mov_b32 s43, exec_lo
	v_cmpx_ne_u32_e32 0x7f, v79
	s_cbranch_execz .LBB311_247
; %bb.244:                              ;   in Loop: Header=BB311_12 Depth=1
	v_and_b32_e32 v25, 7, v78
	v_lshrrev_b32_e32 v77, 3, v79
	s_mov_b32 s44, exec_lo
	v_cmpx_gt_u32_e32 8, v79
; %bb.245:                              ;   in Loop: Header=BB311_12 Depth=1
	v_ffbh_u32_e32 v77, v25
	v_min_u32_e32 v77, 32, v77
	v_subrev_nc_u32_e32 v79, 28, v77
	v_sub_nc_u32_e32 v77, 29, v77
	v_lshlrev_b64 v[79:80], v79, v[25:26]
	v_and_b32_e32 v25, 7, v79
; %bb.246:                              ;   in Loop: Header=BB311_12 Depth=1
	s_or_b32 exec_lo, exec_lo, s44
	v_lshlrev_b32_e32 v79, 24, v78
	v_lshlrev_b32_e32 v25, 20, v25
	v_lshl_add_u32 v77, v77, 23, 0x3c000000
	v_and_b32_e32 v79, 0x80000000, v79
	v_or3_b32 v77, v25, v79, v77
.LBB311_247:                            ;   in Loop: Header=BB311_12 Depth=1
	s_or_b32 exec_lo, exec_lo, s43
.LBB311_248:                            ;   in Loop: Header=BB311_12 Depth=1
	s_or_b32 exec_lo, exec_lo, s42
.LBB311_249:                            ;   in Loop: Header=BB311_12 Depth=1
	s_or_b32 exec_lo, exec_lo, s41
	v_cmp_ne_u16_sdwa s2, v78, v26 src0_sel:BYTE_1 src1_sel:DWORD
	s_and_saveexec_b32 s41, s2
	s_cbranch_execz .LBB311_257
; %bb.250:                              ;   in Loop: Header=BB311_12 Depth=1
	v_cmp_ne_u16_sdwa s2, v78, v42 src0_sel:BYTE_1 src1_sel:DWORD
	v_bfrev_b32_e32 v76, 1
	s_and_saveexec_b32 s42, s2
	s_cbranch_execz .LBB311_256
; %bb.251:                              ;   in Loop: Header=BB311_12 Depth=1
	v_and_b32_sdwa v25, v43, v78 dst_sel:DWORD dst_unused:UNUSED_PAD src0_sel:DWORD src1_sel:BYTE_1
	v_mov_b32_e32 v76, 0x7f800001
	s_mov_b32 s43, exec_lo
	v_and_b32_e32 v79, 0x7f, v25
	v_cmpx_ne_u32_e32 0x7f, v79
	s_cbranch_execz .LBB311_255
; %bb.252:                              ;   in Loop: Header=BB311_12 Depth=1
	v_and_b32_e32 v25, 7, v25
	v_lshrrev_b32_e32 v76, 3, v79
	s_mov_b32 s44, exec_lo
	v_cmpx_gt_u32_e32 8, v79
; %bb.253:                              ;   in Loop: Header=BB311_12 Depth=1
	v_ffbh_u32_e32 v76, v25
	v_min_u32_e32 v76, 32, v76
	v_subrev_nc_u32_e32 v79, 28, v76
	v_sub_nc_u32_e32 v76, 29, v76
	v_lshlrev_b64 v[79:80], v79, v[25:26]
	v_and_b32_e32 v25, 7, v79
; %bb.254:                              ;   in Loop: Header=BB311_12 Depth=1
	s_or_b32 exec_lo, exec_lo, s44
	v_lshlrev_b32_e32 v78, 16, v78
	v_lshlrev_b32_e32 v25, 20, v25
	v_lshl_add_u32 v76, v76, 23, 0x3c000000
	v_and_b32_e32 v78, 0x80000000, v78
	v_or3_b32 v76, v25, v78, v76
.LBB311_255:                            ;   in Loop: Header=BB311_12 Depth=1
	s_or_b32 exec_lo, exec_lo, s43
.LBB311_256:                            ;   in Loop: Header=BB311_12 Depth=1
	s_or_b32 exec_lo, exec_lo, s42
.LBB311_257:                            ;   in Loop: Header=BB311_12 Depth=1
	s_or_b32 exec_lo, exec_lo, s41
	global_load_ushort v25, v[31:32], off offset:904
	v_mov_b32_e32 v78, 0
	v_mov_b32_e32 v79, 0
	s_waitcnt vmcnt(0)
	v_and_b32_e32 v80, 0xffff, v25
	v_cmp_ne_u16_sdwa s2, v25, v26 src0_sel:BYTE_0 src1_sel:DWORD
	s_and_saveexec_b32 s41, s2
	s_cbranch_execz .LBB311_265
; %bb.258:                              ;   in Loop: Header=BB311_12 Depth=1
	v_cmp_ne_u16_sdwa s2, v80, v42 src0_sel:BYTE_0 src1_sel:DWORD
	v_bfrev_b32_e32 v79, 1
	s_and_saveexec_b32 s42, s2
	s_cbranch_execz .LBB311_264
; %bb.259:                              ;   in Loop: Header=BB311_12 Depth=1
	v_and_b32_e32 v81, 0x7f, v80
	v_mov_b32_e32 v79, 0x7f800001
	s_mov_b32 s43, exec_lo
	v_cmpx_ne_u32_e32 0x7f, v81
	s_cbranch_execz .LBB311_263
; %bb.260:                              ;   in Loop: Header=BB311_12 Depth=1
	v_and_b32_e32 v25, 7, v80
	v_lshrrev_b32_e32 v79, 3, v81
	s_mov_b32 s44, exec_lo
	v_cmpx_gt_u32_e32 8, v81
; %bb.261:                              ;   in Loop: Header=BB311_12 Depth=1
	v_ffbh_u32_e32 v79, v25
	v_min_u32_e32 v79, 32, v79
	v_subrev_nc_u32_e32 v81, 28, v79
	v_sub_nc_u32_e32 v79, 29, v79
	v_lshlrev_b64 v[81:82], v81, v[25:26]
	v_and_b32_e32 v25, 7, v81
; %bb.262:                              ;   in Loop: Header=BB311_12 Depth=1
	s_or_b32 exec_lo, exec_lo, s44
	v_lshlrev_b32_e32 v81, 24, v80
	v_lshlrev_b32_e32 v25, 20, v25
	v_lshl_add_u32 v79, v79, 23, 0x3c000000
	v_and_b32_e32 v81, 0x80000000, v81
	v_or3_b32 v79, v25, v81, v79
.LBB311_263:                            ;   in Loop: Header=BB311_12 Depth=1
	s_or_b32 exec_lo, exec_lo, s43
.LBB311_264:                            ;   in Loop: Header=BB311_12 Depth=1
	s_or_b32 exec_lo, exec_lo, s42
.LBB311_265:                            ;   in Loop: Header=BB311_12 Depth=1
	s_or_b32 exec_lo, exec_lo, s41
	v_cmp_ne_u16_sdwa s2, v80, v26 src0_sel:BYTE_1 src1_sel:DWORD
	s_and_saveexec_b32 s41, s2
	s_cbranch_execz .LBB311_273
; %bb.266:                              ;   in Loop: Header=BB311_12 Depth=1
	v_cmp_ne_u16_sdwa s2, v80, v42 src0_sel:BYTE_1 src1_sel:DWORD
	v_bfrev_b32_e32 v78, 1
	s_and_saveexec_b32 s42, s2
	s_cbranch_execz .LBB311_272
; %bb.267:                              ;   in Loop: Header=BB311_12 Depth=1
	v_and_b32_sdwa v25, v43, v80 dst_sel:DWORD dst_unused:UNUSED_PAD src0_sel:DWORD src1_sel:BYTE_1
	v_mov_b32_e32 v78, 0x7f800001
	s_mov_b32 s43, exec_lo
	v_and_b32_e32 v81, 0x7f, v25
	v_cmpx_ne_u32_e32 0x7f, v81
	s_cbranch_execz .LBB311_271
; %bb.268:                              ;   in Loop: Header=BB311_12 Depth=1
	v_and_b32_e32 v25, 7, v25
	v_lshrrev_b32_e32 v78, 3, v81
	s_mov_b32 s44, exec_lo
	v_cmpx_gt_u32_e32 8, v81
; %bb.269:                              ;   in Loop: Header=BB311_12 Depth=1
	v_ffbh_u32_e32 v78, v25
	v_min_u32_e32 v78, 32, v78
	v_subrev_nc_u32_e32 v81, 28, v78
	v_sub_nc_u32_e32 v78, 29, v78
	v_lshlrev_b64 v[81:82], v81, v[25:26]
	v_and_b32_e32 v25, 7, v81
; %bb.270:                              ;   in Loop: Header=BB311_12 Depth=1
	s_or_b32 exec_lo, exec_lo, s44
	v_lshlrev_b32_e32 v80, 16, v80
	v_lshlrev_b32_e32 v25, 20, v25
	v_lshl_add_u32 v78, v78, 23, 0x3c000000
	v_and_b32_e32 v80, 0x80000000, v80
	v_or3_b32 v78, v25, v80, v78
.LBB311_271:                            ;   in Loop: Header=BB311_12 Depth=1
	s_or_b32 exec_lo, exec_lo, s43
.LBB311_272:                            ;   in Loop: Header=BB311_12 Depth=1
	s_or_b32 exec_lo, exec_lo, s42
.LBB311_273:                            ;   in Loop: Header=BB311_12 Depth=1
	s_or_b32 exec_lo, exec_lo, s41
	global_load_ushort v25, v[31:32], off offset:1024
	v_mov_b32_e32 v80, 0
	v_mov_b32_e32 v81, 0
	s_waitcnt vmcnt(0)
	v_and_b32_e32 v82, 0xffff, v25
	v_cmp_ne_u16_sdwa s2, v25, v26 src0_sel:BYTE_0 src1_sel:DWORD
	s_and_saveexec_b32 s41, s2
	s_cbranch_execz .LBB311_281
; %bb.274:                              ;   in Loop: Header=BB311_12 Depth=1
	v_cmp_ne_u16_sdwa s2, v82, v42 src0_sel:BYTE_0 src1_sel:DWORD
	v_bfrev_b32_e32 v81, 1
	s_and_saveexec_b32 s42, s2
	s_cbranch_execz .LBB311_280
; %bb.275:                              ;   in Loop: Header=BB311_12 Depth=1
	v_and_b32_e32 v83, 0x7f, v82
	v_mov_b32_e32 v81, 0x7f800001
	s_mov_b32 s43, exec_lo
	v_cmpx_ne_u32_e32 0x7f, v83
	s_cbranch_execz .LBB311_279
; %bb.276:                              ;   in Loop: Header=BB311_12 Depth=1
	v_and_b32_e32 v25, 7, v82
	v_lshrrev_b32_e32 v81, 3, v83
	s_mov_b32 s44, exec_lo
	v_cmpx_gt_u32_e32 8, v83
; %bb.277:                              ;   in Loop: Header=BB311_12 Depth=1
	v_ffbh_u32_e32 v81, v25
	v_min_u32_e32 v81, 32, v81
	v_subrev_nc_u32_e32 v83, 28, v81
	v_sub_nc_u32_e32 v81, 29, v81
	v_lshlrev_b64 v[83:84], v83, v[25:26]
	v_and_b32_e32 v25, 7, v83
; %bb.278:                              ;   in Loop: Header=BB311_12 Depth=1
	s_or_b32 exec_lo, exec_lo, s44
	v_lshlrev_b32_e32 v83, 24, v82
	v_lshlrev_b32_e32 v25, 20, v25
	v_lshl_add_u32 v81, v81, 23, 0x3c000000
	v_and_b32_e32 v83, 0x80000000, v83
	v_or3_b32 v81, v25, v83, v81
.LBB311_279:                            ;   in Loop: Header=BB311_12 Depth=1
	s_or_b32 exec_lo, exec_lo, s43
.LBB311_280:                            ;   in Loop: Header=BB311_12 Depth=1
	s_or_b32 exec_lo, exec_lo, s42
.LBB311_281:                            ;   in Loop: Header=BB311_12 Depth=1
	s_or_b32 exec_lo, exec_lo, s41
	v_cmp_ne_u16_sdwa s2, v82, v26 src0_sel:BYTE_1 src1_sel:DWORD
	s_and_saveexec_b32 s41, s2
	s_cbranch_execz .LBB311_289
; %bb.282:                              ;   in Loop: Header=BB311_12 Depth=1
	v_cmp_ne_u16_sdwa s2, v82, v42 src0_sel:BYTE_1 src1_sel:DWORD
	v_bfrev_b32_e32 v80, 1
	s_and_saveexec_b32 s42, s2
	s_cbranch_execz .LBB311_288
; %bb.283:                              ;   in Loop: Header=BB311_12 Depth=1
	v_and_b32_sdwa v25, v43, v82 dst_sel:DWORD dst_unused:UNUSED_PAD src0_sel:DWORD src1_sel:BYTE_1
	v_mov_b32_e32 v80, 0x7f800001
	s_mov_b32 s43, exec_lo
	v_and_b32_e32 v83, 0x7f, v25
	v_cmpx_ne_u32_e32 0x7f, v83
	s_cbranch_execz .LBB311_287
; %bb.284:                              ;   in Loop: Header=BB311_12 Depth=1
	v_and_b32_e32 v25, 7, v25
	v_lshrrev_b32_e32 v80, 3, v83
	s_mov_b32 s44, exec_lo
	v_cmpx_gt_u32_e32 8, v83
; %bb.285:                              ;   in Loop: Header=BB311_12 Depth=1
	v_ffbh_u32_e32 v80, v25
	v_min_u32_e32 v80, 32, v80
	v_subrev_nc_u32_e32 v83, 28, v80
	v_sub_nc_u32_e32 v80, 29, v80
	v_lshlrev_b64 v[83:84], v83, v[25:26]
	v_and_b32_e32 v25, 7, v83
; %bb.286:                              ;   in Loop: Header=BB311_12 Depth=1
	s_or_b32 exec_lo, exec_lo, s44
	v_lshlrev_b32_e32 v82, 16, v82
	v_lshlrev_b32_e32 v25, 20, v25
	v_lshl_add_u32 v80, v80, 23, 0x3c000000
	v_and_b32_e32 v82, 0x80000000, v82
	v_or3_b32 v80, v25, v82, v80
.LBB311_287:                            ;   in Loop: Header=BB311_12 Depth=1
	s_or_b32 exec_lo, exec_lo, s43
.LBB311_288:                            ;   in Loop: Header=BB311_12 Depth=1
	s_or_b32 exec_lo, exec_lo, s42
.LBB311_289:                            ;   in Loop: Header=BB311_12 Depth=1
	s_or_b32 exec_lo, exec_lo, s41
	global_load_ushort v25, v[31:32], off offset:1032
	v_mov_b32_e32 v82, 0
	v_mov_b32_e32 v83, 0
	s_waitcnt vmcnt(0)
	v_and_b32_e32 v84, 0xffff, v25
	v_cmp_ne_u16_sdwa s2, v25, v26 src0_sel:BYTE_0 src1_sel:DWORD
	s_and_saveexec_b32 s41, s2
	s_cbranch_execz .LBB311_297
; %bb.290:                              ;   in Loop: Header=BB311_12 Depth=1
	v_cmp_ne_u16_sdwa s2, v84, v42 src0_sel:BYTE_0 src1_sel:DWORD
	v_bfrev_b32_e32 v83, 1
	s_and_saveexec_b32 s42, s2
	s_cbranch_execz .LBB311_296
; %bb.291:                              ;   in Loop: Header=BB311_12 Depth=1
	v_and_b32_e32 v85, 0x7f, v84
	v_mov_b32_e32 v83, 0x7f800001
	s_mov_b32 s43, exec_lo
	v_cmpx_ne_u32_e32 0x7f, v85
	s_cbranch_execz .LBB311_295
; %bb.292:                              ;   in Loop: Header=BB311_12 Depth=1
	v_and_b32_e32 v25, 7, v84
	v_lshrrev_b32_e32 v83, 3, v85
	s_mov_b32 s44, exec_lo
	v_cmpx_gt_u32_e32 8, v85
; %bb.293:                              ;   in Loop: Header=BB311_12 Depth=1
	v_ffbh_u32_e32 v83, v25
	v_min_u32_e32 v83, 32, v83
	v_subrev_nc_u32_e32 v85, 28, v83
	v_sub_nc_u32_e32 v83, 29, v83
	v_lshlrev_b64 v[85:86], v85, v[25:26]
	v_and_b32_e32 v25, 7, v85
; %bb.294:                              ;   in Loop: Header=BB311_12 Depth=1
	s_or_b32 exec_lo, exec_lo, s44
	v_lshlrev_b32_e32 v85, 24, v84
	v_lshlrev_b32_e32 v25, 20, v25
	v_lshl_add_u32 v83, v83, 23, 0x3c000000
	v_and_b32_e32 v85, 0x80000000, v85
	v_or3_b32 v83, v25, v85, v83
.LBB311_295:                            ;   in Loop: Header=BB311_12 Depth=1
	s_or_b32 exec_lo, exec_lo, s43
.LBB311_296:                            ;   in Loop: Header=BB311_12 Depth=1
	s_or_b32 exec_lo, exec_lo, s42
.LBB311_297:                            ;   in Loop: Header=BB311_12 Depth=1
	s_or_b32 exec_lo, exec_lo, s41
	v_cmp_ne_u16_sdwa s2, v84, v26 src0_sel:BYTE_1 src1_sel:DWORD
	s_and_saveexec_b32 s41, s2
	s_cbranch_execz .LBB311_305
; %bb.298:                              ;   in Loop: Header=BB311_12 Depth=1
	v_cmp_ne_u16_sdwa s2, v84, v42 src0_sel:BYTE_1 src1_sel:DWORD
	v_bfrev_b32_e32 v82, 1
	s_and_saveexec_b32 s42, s2
	s_cbranch_execz .LBB311_304
; %bb.299:                              ;   in Loop: Header=BB311_12 Depth=1
	v_and_b32_sdwa v25, v43, v84 dst_sel:DWORD dst_unused:UNUSED_PAD src0_sel:DWORD src1_sel:BYTE_1
	v_mov_b32_e32 v82, 0x7f800001
	s_mov_b32 s43, exec_lo
	v_and_b32_e32 v85, 0x7f, v25
	v_cmpx_ne_u32_e32 0x7f, v85
	s_cbranch_execz .LBB311_303
; %bb.300:                              ;   in Loop: Header=BB311_12 Depth=1
	v_and_b32_e32 v25, 7, v25
	v_lshrrev_b32_e32 v82, 3, v85
	s_mov_b32 s44, exec_lo
	v_cmpx_gt_u32_e32 8, v85
; %bb.301:                              ;   in Loop: Header=BB311_12 Depth=1
	v_ffbh_u32_e32 v82, v25
	v_min_u32_e32 v82, 32, v82
	v_subrev_nc_u32_e32 v85, 28, v82
	v_sub_nc_u32_e32 v82, 29, v82
	v_lshlrev_b64 v[85:86], v85, v[25:26]
	v_and_b32_e32 v25, 7, v85
; %bb.302:                              ;   in Loop: Header=BB311_12 Depth=1
	s_or_b32 exec_lo, exec_lo, s44
	v_lshlrev_b32_e32 v84, 16, v84
	v_lshlrev_b32_e32 v25, 20, v25
	v_lshl_add_u32 v82, v82, 23, 0x3c000000
	v_and_b32_e32 v84, 0x80000000, v84
	v_or3_b32 v82, v25, v84, v82
.LBB311_303:                            ;   in Loop: Header=BB311_12 Depth=1
	s_or_b32 exec_lo, exec_lo, s43
.LBB311_304:                            ;   in Loop: Header=BB311_12 Depth=1
	s_or_b32 exec_lo, exec_lo, s42
.LBB311_305:                            ;   in Loop: Header=BB311_12 Depth=1
	s_or_b32 exec_lo, exec_lo, s41
	global_load_ushort v25, v[31:32], off offset:1152
	v_mov_b32_e32 v84, 0
	v_mov_b32_e32 v85, 0
	s_waitcnt vmcnt(0)
	v_and_b32_e32 v86, 0xffff, v25
	v_cmp_ne_u16_sdwa s2, v25, v26 src0_sel:BYTE_0 src1_sel:DWORD
	s_and_saveexec_b32 s41, s2
	s_cbranch_execz .LBB311_313
; %bb.306:                              ;   in Loop: Header=BB311_12 Depth=1
	v_cmp_ne_u16_sdwa s2, v86, v42 src0_sel:BYTE_0 src1_sel:DWORD
	v_bfrev_b32_e32 v85, 1
	s_and_saveexec_b32 s42, s2
	s_cbranch_execz .LBB311_312
; %bb.307:                              ;   in Loop: Header=BB311_12 Depth=1
	v_and_b32_e32 v87, 0x7f, v86
	v_mov_b32_e32 v85, 0x7f800001
	s_mov_b32 s43, exec_lo
	v_cmpx_ne_u32_e32 0x7f, v87
	s_cbranch_execz .LBB311_311
; %bb.308:                              ;   in Loop: Header=BB311_12 Depth=1
	v_and_b32_e32 v25, 7, v86
	v_lshrrev_b32_e32 v85, 3, v87
	s_mov_b32 s44, exec_lo
	v_cmpx_gt_u32_e32 8, v87
; %bb.309:                              ;   in Loop: Header=BB311_12 Depth=1
	v_ffbh_u32_e32 v85, v25
	v_min_u32_e32 v85, 32, v85
	v_subrev_nc_u32_e32 v87, 28, v85
	v_sub_nc_u32_e32 v85, 29, v85
	v_lshlrev_b64 v[87:88], v87, v[25:26]
	v_and_b32_e32 v25, 7, v87
; %bb.310:                              ;   in Loop: Header=BB311_12 Depth=1
	s_or_b32 exec_lo, exec_lo, s44
	v_lshlrev_b32_e32 v87, 24, v86
	v_lshlrev_b32_e32 v25, 20, v25
	v_lshl_add_u32 v85, v85, 23, 0x3c000000
	v_and_b32_e32 v87, 0x80000000, v87
	v_or3_b32 v85, v25, v87, v85
.LBB311_311:                            ;   in Loop: Header=BB311_12 Depth=1
	s_or_b32 exec_lo, exec_lo, s43
.LBB311_312:                            ;   in Loop: Header=BB311_12 Depth=1
	s_or_b32 exec_lo, exec_lo, s42
.LBB311_313:                            ;   in Loop: Header=BB311_12 Depth=1
	s_or_b32 exec_lo, exec_lo, s41
	v_cmp_ne_u16_sdwa s2, v86, v26 src0_sel:BYTE_1 src1_sel:DWORD
	s_and_saveexec_b32 s41, s2
	s_cbranch_execz .LBB311_321
; %bb.314:                              ;   in Loop: Header=BB311_12 Depth=1
	v_cmp_ne_u16_sdwa s2, v86, v42 src0_sel:BYTE_1 src1_sel:DWORD
	v_bfrev_b32_e32 v84, 1
	s_and_saveexec_b32 s42, s2
	s_cbranch_execz .LBB311_320
; %bb.315:                              ;   in Loop: Header=BB311_12 Depth=1
	v_and_b32_sdwa v25, v43, v86 dst_sel:DWORD dst_unused:UNUSED_PAD src0_sel:DWORD src1_sel:BYTE_1
	v_mov_b32_e32 v84, 0x7f800001
	s_mov_b32 s43, exec_lo
	v_and_b32_e32 v87, 0x7f, v25
	v_cmpx_ne_u32_e32 0x7f, v87
	s_cbranch_execz .LBB311_319
; %bb.316:                              ;   in Loop: Header=BB311_12 Depth=1
	v_and_b32_e32 v25, 7, v25
	v_lshrrev_b32_e32 v84, 3, v87
	s_mov_b32 s44, exec_lo
	v_cmpx_gt_u32_e32 8, v87
; %bb.317:                              ;   in Loop: Header=BB311_12 Depth=1
	v_ffbh_u32_e32 v84, v25
	v_min_u32_e32 v84, 32, v84
	v_subrev_nc_u32_e32 v87, 28, v84
	v_sub_nc_u32_e32 v84, 29, v84
	v_lshlrev_b64 v[87:88], v87, v[25:26]
	v_and_b32_e32 v25, 7, v87
; %bb.318:                              ;   in Loop: Header=BB311_12 Depth=1
	s_or_b32 exec_lo, exec_lo, s44
	v_lshlrev_b32_e32 v86, 16, v86
	v_lshlrev_b32_e32 v25, 20, v25
	v_lshl_add_u32 v84, v84, 23, 0x3c000000
	v_and_b32_e32 v86, 0x80000000, v86
	v_or3_b32 v84, v25, v86, v84
.LBB311_319:                            ;   in Loop: Header=BB311_12 Depth=1
	s_or_b32 exec_lo, exec_lo, s43
.LBB311_320:                            ;   in Loop: Header=BB311_12 Depth=1
	s_or_b32 exec_lo, exec_lo, s42
.LBB311_321:                            ;   in Loop: Header=BB311_12 Depth=1
	s_or_b32 exec_lo, exec_lo, s41
	global_load_ushort v25, v[31:32], off offset:1160
	v_mov_b32_e32 v86, 0
	v_mov_b32_e32 v87, 0
	s_waitcnt vmcnt(0)
	v_and_b32_e32 v88, 0xffff, v25
	v_cmp_ne_u16_sdwa s2, v25, v26 src0_sel:BYTE_0 src1_sel:DWORD
	s_and_saveexec_b32 s41, s2
	s_cbranch_execz .LBB311_329
; %bb.322:                              ;   in Loop: Header=BB311_12 Depth=1
	v_cmp_ne_u16_sdwa s2, v88, v42 src0_sel:BYTE_0 src1_sel:DWORD
	v_bfrev_b32_e32 v87, 1
	s_and_saveexec_b32 s42, s2
	s_cbranch_execz .LBB311_328
; %bb.323:                              ;   in Loop: Header=BB311_12 Depth=1
	v_and_b32_e32 v89, 0x7f, v88
	v_mov_b32_e32 v87, 0x7f800001
	s_mov_b32 s43, exec_lo
	v_cmpx_ne_u32_e32 0x7f, v89
	s_cbranch_execz .LBB311_327
; %bb.324:                              ;   in Loop: Header=BB311_12 Depth=1
	v_and_b32_e32 v25, 7, v88
	v_lshrrev_b32_e32 v87, 3, v89
	s_mov_b32 s44, exec_lo
	v_cmpx_gt_u32_e32 8, v89
; %bb.325:                              ;   in Loop: Header=BB311_12 Depth=1
	v_ffbh_u32_e32 v87, v25
	v_min_u32_e32 v87, 32, v87
	v_subrev_nc_u32_e32 v89, 28, v87
	v_sub_nc_u32_e32 v87, 29, v87
	v_lshlrev_b64 v[89:90], v89, v[25:26]
	v_and_b32_e32 v25, 7, v89
; %bb.326:                              ;   in Loop: Header=BB311_12 Depth=1
	s_or_b32 exec_lo, exec_lo, s44
	v_lshlrev_b32_e32 v89, 24, v88
	v_lshlrev_b32_e32 v25, 20, v25
	v_lshl_add_u32 v87, v87, 23, 0x3c000000
	v_and_b32_e32 v89, 0x80000000, v89
	v_or3_b32 v87, v25, v89, v87
.LBB311_327:                            ;   in Loop: Header=BB311_12 Depth=1
	s_or_b32 exec_lo, exec_lo, s43
.LBB311_328:                            ;   in Loop: Header=BB311_12 Depth=1
	s_or_b32 exec_lo, exec_lo, s42
.LBB311_329:                            ;   in Loop: Header=BB311_12 Depth=1
	s_or_b32 exec_lo, exec_lo, s41
	v_cmp_ne_u16_sdwa s2, v88, v26 src0_sel:BYTE_1 src1_sel:DWORD
	s_and_saveexec_b32 s41, s2
	s_cbranch_execz .LBB311_337
; %bb.330:                              ;   in Loop: Header=BB311_12 Depth=1
	v_cmp_ne_u16_sdwa s2, v88, v42 src0_sel:BYTE_1 src1_sel:DWORD
	v_bfrev_b32_e32 v86, 1
	s_and_saveexec_b32 s42, s2
	s_cbranch_execz .LBB311_336
; %bb.331:                              ;   in Loop: Header=BB311_12 Depth=1
	v_and_b32_sdwa v25, v43, v88 dst_sel:DWORD dst_unused:UNUSED_PAD src0_sel:DWORD src1_sel:BYTE_1
	v_mov_b32_e32 v86, 0x7f800001
	s_mov_b32 s43, exec_lo
	v_and_b32_e32 v89, 0x7f, v25
	v_cmpx_ne_u32_e32 0x7f, v89
	s_cbranch_execz .LBB311_335
; %bb.332:                              ;   in Loop: Header=BB311_12 Depth=1
	v_and_b32_e32 v25, 7, v25
	v_lshrrev_b32_e32 v86, 3, v89
	s_mov_b32 s44, exec_lo
	v_cmpx_gt_u32_e32 8, v89
; %bb.333:                              ;   in Loop: Header=BB311_12 Depth=1
	v_ffbh_u32_e32 v86, v25
	v_min_u32_e32 v86, 32, v86
	v_subrev_nc_u32_e32 v89, 28, v86
	v_sub_nc_u32_e32 v86, 29, v86
	v_lshlrev_b64 v[89:90], v89, v[25:26]
	v_and_b32_e32 v25, 7, v89
; %bb.334:                              ;   in Loop: Header=BB311_12 Depth=1
	s_or_b32 exec_lo, exec_lo, s44
	v_lshlrev_b32_e32 v88, 16, v88
	v_lshlrev_b32_e32 v25, 20, v25
	v_lshl_add_u32 v86, v86, 23, 0x3c000000
	v_and_b32_e32 v88, 0x80000000, v88
	v_or3_b32 v86, v25, v88, v86
.LBB311_335:                            ;   in Loop: Header=BB311_12 Depth=1
	s_or_b32 exec_lo, exec_lo, s43
.LBB311_336:                            ;   in Loop: Header=BB311_12 Depth=1
	s_or_b32 exec_lo, exec_lo, s42
.LBB311_337:                            ;   in Loop: Header=BB311_12 Depth=1
	s_or_b32 exec_lo, exec_lo, s41
	global_load_ushort v25, v[31:32], off offset:1280
	v_mov_b32_e32 v89, 0
	v_mov_b32_e32 v88, 0
	s_waitcnt vmcnt(0)
	v_and_b32_e32 v90, 0xffff, v25
	v_cmp_ne_u16_sdwa s2, v25, v26 src0_sel:BYTE_0 src1_sel:DWORD
	s_and_saveexec_b32 s41, s2
	s_cbranch_execz .LBB311_345
; %bb.338:                              ;   in Loop: Header=BB311_12 Depth=1
	v_cmp_ne_u16_sdwa s2, v90, v42 src0_sel:BYTE_0 src1_sel:DWORD
	v_bfrev_b32_e32 v88, 1
	s_and_saveexec_b32 s42, s2
	s_cbranch_execz .LBB311_344
; %bb.339:                              ;   in Loop: Header=BB311_12 Depth=1
	v_and_b32_e32 v91, 0x7f, v90
	v_mov_b32_e32 v88, 0x7f800001
	s_mov_b32 s43, exec_lo
	v_cmpx_ne_u32_e32 0x7f, v91
	s_cbranch_execz .LBB311_343
; %bb.340:                              ;   in Loop: Header=BB311_12 Depth=1
	v_and_b32_e32 v25, 7, v90
	v_lshrrev_b32_e32 v88, 3, v91
	s_mov_b32 s44, exec_lo
	v_cmpx_gt_u32_e32 8, v91
; %bb.341:                              ;   in Loop: Header=BB311_12 Depth=1
	v_ffbh_u32_e32 v88, v25
	v_min_u32_e32 v88, 32, v88
	v_subrev_nc_u32_e32 v91, 28, v88
	v_sub_nc_u32_e32 v88, 29, v88
	v_lshlrev_b64 v[91:92], v91, v[25:26]
	v_and_b32_e32 v25, 7, v91
; %bb.342:                              ;   in Loop: Header=BB311_12 Depth=1
	s_or_b32 exec_lo, exec_lo, s44
	v_lshlrev_b32_e32 v91, 24, v90
	v_lshlrev_b32_e32 v25, 20, v25
	v_lshl_add_u32 v88, v88, 23, 0x3c000000
	v_and_b32_e32 v91, 0x80000000, v91
	v_or3_b32 v88, v25, v91, v88
.LBB311_343:                            ;   in Loop: Header=BB311_12 Depth=1
	s_or_b32 exec_lo, exec_lo, s43
.LBB311_344:                            ;   in Loop: Header=BB311_12 Depth=1
	s_or_b32 exec_lo, exec_lo, s42
.LBB311_345:                            ;   in Loop: Header=BB311_12 Depth=1
	s_or_b32 exec_lo, exec_lo, s41
	v_cmp_ne_u16_sdwa s2, v90, v26 src0_sel:BYTE_1 src1_sel:DWORD
	s_and_saveexec_b32 s41, s2
	s_cbranch_execz .LBB311_353
; %bb.346:                              ;   in Loop: Header=BB311_12 Depth=1
	v_cmp_ne_u16_sdwa s2, v90, v42 src0_sel:BYTE_1 src1_sel:DWORD
	v_bfrev_b32_e32 v89, 1
	s_and_saveexec_b32 s42, s2
	s_cbranch_execz .LBB311_352
; %bb.347:                              ;   in Loop: Header=BB311_12 Depth=1
	v_and_b32_sdwa v25, v43, v90 dst_sel:DWORD dst_unused:UNUSED_PAD src0_sel:DWORD src1_sel:BYTE_1
	v_mov_b32_e32 v89, 0x7f800001
	s_mov_b32 s43, exec_lo
	v_and_b32_e32 v91, 0x7f, v25
	v_cmpx_ne_u32_e32 0x7f, v91
	s_cbranch_execz .LBB311_351
; %bb.348:                              ;   in Loop: Header=BB311_12 Depth=1
	v_and_b32_e32 v25, 7, v25
	v_lshrrev_b32_e32 v89, 3, v91
	s_mov_b32 s44, exec_lo
	v_cmpx_gt_u32_e32 8, v91
; %bb.349:                              ;   in Loop: Header=BB311_12 Depth=1
	v_ffbh_u32_e32 v89, v25
	v_min_u32_e32 v89, 32, v89
	v_subrev_nc_u32_e32 v91, 28, v89
	v_sub_nc_u32_e32 v89, 29, v89
	v_lshlrev_b64 v[91:92], v91, v[25:26]
	v_and_b32_e32 v25, 7, v91
; %bb.350:                              ;   in Loop: Header=BB311_12 Depth=1
	s_or_b32 exec_lo, exec_lo, s44
	v_lshlrev_b32_e32 v90, 16, v90
	v_lshlrev_b32_e32 v25, 20, v25
	v_lshl_add_u32 v89, v89, 23, 0x3c000000
	v_and_b32_e32 v90, 0x80000000, v90
	v_or3_b32 v89, v25, v90, v89
.LBB311_351:                            ;   in Loop: Header=BB311_12 Depth=1
	s_or_b32 exec_lo, exec_lo, s43
.LBB311_352:                            ;   in Loop: Header=BB311_12 Depth=1
	s_or_b32 exec_lo, exec_lo, s42
.LBB311_353:                            ;   in Loop: Header=BB311_12 Depth=1
	s_or_b32 exec_lo, exec_lo, s41
	global_load_ushort v25, v[31:32], off offset:1288
	v_mov_b32_e32 v91, 0
	v_mov_b32_e32 v90, 0
	s_waitcnt vmcnt(0)
	v_and_b32_e32 v92, 0xffff, v25
	v_cmp_ne_u16_sdwa s2, v25, v26 src0_sel:BYTE_0 src1_sel:DWORD
	s_and_saveexec_b32 s41, s2
	s_cbranch_execz .LBB311_361
; %bb.354:                              ;   in Loop: Header=BB311_12 Depth=1
	v_cmp_ne_u16_sdwa s2, v92, v42 src0_sel:BYTE_0 src1_sel:DWORD
	v_bfrev_b32_e32 v90, 1
	s_and_saveexec_b32 s42, s2
	s_cbranch_execz .LBB311_360
; %bb.355:                              ;   in Loop: Header=BB311_12 Depth=1
	v_and_b32_e32 v93, 0x7f, v92
	v_mov_b32_e32 v90, 0x7f800001
	s_mov_b32 s43, exec_lo
	v_cmpx_ne_u32_e32 0x7f, v93
	s_cbranch_execz .LBB311_359
; %bb.356:                              ;   in Loop: Header=BB311_12 Depth=1
	v_and_b32_e32 v25, 7, v92
	v_lshrrev_b32_e32 v90, 3, v93
	s_mov_b32 s44, exec_lo
	v_cmpx_gt_u32_e32 8, v93
; %bb.357:                              ;   in Loop: Header=BB311_12 Depth=1
	v_ffbh_u32_e32 v90, v25
	v_min_u32_e32 v90, 32, v90
	v_subrev_nc_u32_e32 v93, 28, v90
	v_sub_nc_u32_e32 v90, 29, v90
	v_lshlrev_b64 v[93:94], v93, v[25:26]
	v_and_b32_e32 v25, 7, v93
; %bb.358:                              ;   in Loop: Header=BB311_12 Depth=1
	s_or_b32 exec_lo, exec_lo, s44
	v_lshlrev_b32_e32 v93, 24, v92
	v_lshlrev_b32_e32 v25, 20, v25
	v_lshl_add_u32 v90, v90, 23, 0x3c000000
	v_and_b32_e32 v93, 0x80000000, v93
	v_or3_b32 v90, v25, v93, v90
.LBB311_359:                            ;   in Loop: Header=BB311_12 Depth=1
	s_or_b32 exec_lo, exec_lo, s43
.LBB311_360:                            ;   in Loop: Header=BB311_12 Depth=1
	s_or_b32 exec_lo, exec_lo, s42
.LBB311_361:                            ;   in Loop: Header=BB311_12 Depth=1
	s_or_b32 exec_lo, exec_lo, s41
	v_cmp_ne_u16_sdwa s2, v92, v26 src0_sel:BYTE_1 src1_sel:DWORD
	s_and_saveexec_b32 s41, s2
	s_cbranch_execz .LBB311_369
; %bb.362:                              ;   in Loop: Header=BB311_12 Depth=1
	v_cmp_ne_u16_sdwa s2, v92, v42 src0_sel:BYTE_1 src1_sel:DWORD
	v_bfrev_b32_e32 v91, 1
	s_and_saveexec_b32 s42, s2
	s_cbranch_execz .LBB311_368
; %bb.363:                              ;   in Loop: Header=BB311_12 Depth=1
	v_and_b32_sdwa v25, v43, v92 dst_sel:DWORD dst_unused:UNUSED_PAD src0_sel:DWORD src1_sel:BYTE_1
	v_mov_b32_e32 v91, 0x7f800001
	s_mov_b32 s43, exec_lo
	v_and_b32_e32 v93, 0x7f, v25
	v_cmpx_ne_u32_e32 0x7f, v93
	s_cbranch_execz .LBB311_367
; %bb.364:                              ;   in Loop: Header=BB311_12 Depth=1
	v_and_b32_e32 v25, 7, v25
	v_lshrrev_b32_e32 v91, 3, v93
	s_mov_b32 s44, exec_lo
	v_cmpx_gt_u32_e32 8, v93
; %bb.365:                              ;   in Loop: Header=BB311_12 Depth=1
	v_ffbh_u32_e32 v91, v25
	v_min_u32_e32 v91, 32, v91
	v_subrev_nc_u32_e32 v93, 28, v91
	v_sub_nc_u32_e32 v91, 29, v91
	v_lshlrev_b64 v[93:94], v93, v[25:26]
	v_and_b32_e32 v25, 7, v93
; %bb.366:                              ;   in Loop: Header=BB311_12 Depth=1
	s_or_b32 exec_lo, exec_lo, s44
	v_lshlrev_b32_e32 v92, 16, v92
	v_lshlrev_b32_e32 v25, 20, v25
	v_lshl_add_u32 v91, v91, 23, 0x3c000000
	v_and_b32_e32 v92, 0x80000000, v92
	v_or3_b32 v91, v25, v92, v91
.LBB311_367:                            ;   in Loop: Header=BB311_12 Depth=1
	s_or_b32 exec_lo, exec_lo, s43
.LBB311_368:                            ;   in Loop: Header=BB311_12 Depth=1
	s_or_b32 exec_lo, exec_lo, s42
.LBB311_369:                            ;   in Loop: Header=BB311_12 Depth=1
	s_or_b32 exec_lo, exec_lo, s41
	global_load_ushort v25, v[31:32], off offset:1408
	v_mov_b32_e32 v93, 0
	v_mov_b32_e32 v92, 0
	s_waitcnt vmcnt(0)
	v_and_b32_e32 v94, 0xffff, v25
	v_cmp_ne_u16_sdwa s2, v25, v26 src0_sel:BYTE_0 src1_sel:DWORD
	s_and_saveexec_b32 s41, s2
	s_cbranch_execz .LBB311_377
; %bb.370:                              ;   in Loop: Header=BB311_12 Depth=1
	v_cmp_ne_u16_sdwa s2, v94, v42 src0_sel:BYTE_0 src1_sel:DWORD
	v_bfrev_b32_e32 v92, 1
	s_and_saveexec_b32 s42, s2
	s_cbranch_execz .LBB311_376
; %bb.371:                              ;   in Loop: Header=BB311_12 Depth=1
	v_and_b32_e32 v95, 0x7f, v94
	v_mov_b32_e32 v92, 0x7f800001
	s_mov_b32 s43, exec_lo
	v_cmpx_ne_u32_e32 0x7f, v95
	s_cbranch_execz .LBB311_375
; %bb.372:                              ;   in Loop: Header=BB311_12 Depth=1
	v_and_b32_e32 v25, 7, v94
	v_lshrrev_b32_e32 v92, 3, v95
	s_mov_b32 s44, exec_lo
	v_cmpx_gt_u32_e32 8, v95
; %bb.373:                              ;   in Loop: Header=BB311_12 Depth=1
	v_ffbh_u32_e32 v92, v25
	v_min_u32_e32 v92, 32, v92
	v_subrev_nc_u32_e32 v95, 28, v92
	v_sub_nc_u32_e32 v92, 29, v92
	v_lshlrev_b64 v[95:96], v95, v[25:26]
	v_and_b32_e32 v25, 7, v95
; %bb.374:                              ;   in Loop: Header=BB311_12 Depth=1
	s_or_b32 exec_lo, exec_lo, s44
	v_lshlrev_b32_e32 v95, 24, v94
	v_lshlrev_b32_e32 v25, 20, v25
	v_lshl_add_u32 v92, v92, 23, 0x3c000000
	v_and_b32_e32 v95, 0x80000000, v95
	v_or3_b32 v92, v25, v95, v92
.LBB311_375:                            ;   in Loop: Header=BB311_12 Depth=1
	s_or_b32 exec_lo, exec_lo, s43
.LBB311_376:                            ;   in Loop: Header=BB311_12 Depth=1
	s_or_b32 exec_lo, exec_lo, s42
.LBB311_377:                            ;   in Loop: Header=BB311_12 Depth=1
	s_or_b32 exec_lo, exec_lo, s41
	v_cmp_ne_u16_sdwa s2, v94, v26 src0_sel:BYTE_1 src1_sel:DWORD
	s_and_saveexec_b32 s41, s2
	s_cbranch_execz .LBB311_385
; %bb.378:                              ;   in Loop: Header=BB311_12 Depth=1
	v_cmp_ne_u16_sdwa s2, v94, v42 src0_sel:BYTE_1 src1_sel:DWORD
	v_bfrev_b32_e32 v93, 1
	s_and_saveexec_b32 s42, s2
	s_cbranch_execz .LBB311_384
; %bb.379:                              ;   in Loop: Header=BB311_12 Depth=1
	v_and_b32_sdwa v25, v43, v94 dst_sel:DWORD dst_unused:UNUSED_PAD src0_sel:DWORD src1_sel:BYTE_1
	v_mov_b32_e32 v93, 0x7f800001
	s_mov_b32 s43, exec_lo
	v_and_b32_e32 v95, 0x7f, v25
	v_cmpx_ne_u32_e32 0x7f, v95
	s_cbranch_execz .LBB311_383
; %bb.380:                              ;   in Loop: Header=BB311_12 Depth=1
	v_and_b32_e32 v25, 7, v25
	v_lshrrev_b32_e32 v93, 3, v95
	s_mov_b32 s44, exec_lo
	v_cmpx_gt_u32_e32 8, v95
; %bb.381:                              ;   in Loop: Header=BB311_12 Depth=1
	v_ffbh_u32_e32 v93, v25
	v_min_u32_e32 v93, 32, v93
	v_subrev_nc_u32_e32 v95, 28, v93
	v_sub_nc_u32_e32 v93, 29, v93
	v_lshlrev_b64 v[95:96], v95, v[25:26]
	v_and_b32_e32 v25, 7, v95
; %bb.382:                              ;   in Loop: Header=BB311_12 Depth=1
	s_or_b32 exec_lo, exec_lo, s44
	v_lshlrev_b32_e32 v94, 16, v94
	v_lshlrev_b32_e32 v25, 20, v25
	v_lshl_add_u32 v93, v93, 23, 0x3c000000
	v_and_b32_e32 v94, 0x80000000, v94
	v_or3_b32 v93, v25, v94, v93
.LBB311_383:                            ;   in Loop: Header=BB311_12 Depth=1
	s_or_b32 exec_lo, exec_lo, s43
.LBB311_384:                            ;   in Loop: Header=BB311_12 Depth=1
	s_or_b32 exec_lo, exec_lo, s42
.LBB311_385:                            ;   in Loop: Header=BB311_12 Depth=1
	s_or_b32 exec_lo, exec_lo, s41
	global_load_ushort v25, v[31:32], off offset:1416
	v_mov_b32_e32 v31, 0
	v_mov_b32_e32 v32, 0
	s_waitcnt vmcnt(0)
	v_and_b32_e32 v94, 0xffff, v25
	v_cmp_ne_u16_sdwa s2, v25, v26 src0_sel:BYTE_0 src1_sel:DWORD
	s_and_saveexec_b32 s41, s2
	s_cbranch_execz .LBB311_393
; %bb.386:                              ;   in Loop: Header=BB311_12 Depth=1
	v_cmp_ne_u16_sdwa s2, v94, v42 src0_sel:BYTE_0 src1_sel:DWORD
	v_bfrev_b32_e32 v32, 1
	s_and_saveexec_b32 s42, s2
	s_cbranch_execz .LBB311_392
; %bb.387:                              ;   in Loop: Header=BB311_12 Depth=1
	v_and_b32_e32 v95, 0x7f, v94
	v_mov_b32_e32 v32, 0x7f800001
	s_mov_b32 s43, exec_lo
	v_cmpx_ne_u32_e32 0x7f, v95
	s_cbranch_execz .LBB311_391
; %bb.388:                              ;   in Loop: Header=BB311_12 Depth=1
	v_and_b32_e32 v25, 7, v94
	v_lshrrev_b32_e32 v32, 3, v95
	s_mov_b32 s44, exec_lo
	v_cmpx_gt_u32_e32 8, v95
; %bb.389:                              ;   in Loop: Header=BB311_12 Depth=1
	v_ffbh_u32_e32 v32, v25
	v_min_u32_e32 v32, 32, v32
	v_subrev_nc_u32_e32 v95, 28, v32
	v_sub_nc_u32_e32 v32, 29, v32
	v_lshlrev_b64 v[95:96], v95, v[25:26]
	v_and_b32_e32 v25, 7, v95
; %bb.390:                              ;   in Loop: Header=BB311_12 Depth=1
	s_or_b32 exec_lo, exec_lo, s44
	v_lshlrev_b32_e32 v95, 24, v94
	v_lshlrev_b32_e32 v25, 20, v25
	v_lshl_add_u32 v32, v32, 23, 0x3c000000
	v_and_b32_e32 v95, 0x80000000, v95
	v_or3_b32 v32, v25, v95, v32
.LBB311_391:                            ;   in Loop: Header=BB311_12 Depth=1
	s_or_b32 exec_lo, exec_lo, s43
.LBB311_392:                            ;   in Loop: Header=BB311_12 Depth=1
	s_or_b32 exec_lo, exec_lo, s42
.LBB311_393:                            ;   in Loop: Header=BB311_12 Depth=1
	s_or_b32 exec_lo, exec_lo, s41
	v_cmp_ne_u16_sdwa s2, v94, v26 src0_sel:BYTE_1 src1_sel:DWORD
	s_and_saveexec_b32 s41, s2
	s_cbranch_execz .LBB311_401
; %bb.394:                              ;   in Loop: Header=BB311_12 Depth=1
	v_cmp_ne_u16_sdwa s2, v94, v42 src0_sel:BYTE_1 src1_sel:DWORD
	v_bfrev_b32_e32 v31, 1
	s_and_saveexec_b32 s42, s2
	s_cbranch_execz .LBB311_400
; %bb.395:                              ;   in Loop: Header=BB311_12 Depth=1
	v_and_b32_sdwa v25, v43, v94 dst_sel:DWORD dst_unused:UNUSED_PAD src0_sel:DWORD src1_sel:BYTE_1
	v_mov_b32_e32 v31, 0x7f800001
	s_mov_b32 s43, exec_lo
	v_and_b32_e32 v95, 0x7f, v25
	v_cmpx_ne_u32_e32 0x7f, v95
	s_cbranch_execz .LBB311_399
; %bb.396:                              ;   in Loop: Header=BB311_12 Depth=1
	v_and_b32_e32 v25, 7, v25
	v_lshrrev_b32_e32 v31, 3, v95
	s_mov_b32 s44, exec_lo
	v_cmpx_gt_u32_e32 8, v95
; %bb.397:                              ;   in Loop: Header=BB311_12 Depth=1
	v_ffbh_u32_e32 v31, v25
	v_min_u32_e32 v31, 32, v31
	v_subrev_nc_u32_e32 v95, 28, v31
	v_sub_nc_u32_e32 v31, 29, v31
	v_lshlrev_b64 v[95:96], v95, v[25:26]
	v_and_b32_e32 v25, 7, v95
; %bb.398:                              ;   in Loop: Header=BB311_12 Depth=1
	s_or_b32 exec_lo, exec_lo, s44
	v_lshlrev_b32_e32 v94, 16, v94
	v_lshlrev_b32_e32 v25, 20, v25
	v_lshl_add_u32 v31, v31, 23, 0x3c000000
	v_and_b32_e32 v94, 0x80000000, v94
	v_or3_b32 v31, v25, v94, v31
.LBB311_399:                            ;   in Loop: Header=BB311_12 Depth=1
	s_or_b32 exec_lo, exec_lo, s43
.LBB311_400:                            ;   in Loop: Header=BB311_12 Depth=1
	s_or_b32 exec_lo, exec_lo, s42
.LBB311_401:                            ;   in Loop: Header=BB311_12 Depth=1
	s_or_b32 exec_lo, exec_lo, s41
	s_waitcnt lgkmcnt(0)
	v_lshlrev_b32_e32 v101, 16, v23
	v_lshlrev_b32_e32 v102, 16, v24
	v_and_b32_e32 v105, 0xffff0000, v23
	v_and_b32_e32 v106, 0xffff0000, v24
	v_lshlrev_b32_e32 v107, 16, v17
	v_lshlrev_b32_e32 v108, 16, v18
	v_and_b32_e32 v111, 0xffff0000, v17
	v_and_b32_e32 v112, 0xffff0000, v18
	;; [unrolled: 4-line block ×4, first 2 shown]
	v_lshlrev_b32_e32 v11, 16, v6
	v_and_b32_e32 v12, 0xffff0000, v6
	v_mul_f32_e32 v6, s40, v51
	v_lshlrev_b32_e32 v99, 16, v21
	v_lshlrev_b32_e32 v100, 16, v22
	v_and_b32_e32 v103, 0xffff0000, v21
	v_and_b32_e32 v104, 0xffff0000, v22
	v_lshlrev_b32_e32 v98, 16, v13
	v_lshlrev_b32_e32 v96, 16, v14
	v_and_b32_e32 v97, 0xffff0000, v13
	v_and_b32_e32 v95, 0xffff0000, v14
	v_lshlrev_b32_e32 v22, 16, v9
	v_and_b32_e32 v21, 0xffff0000, v9
	v_lshlrev_b32_e32 v14, 16, v5
	v_lshlrev_b32_e32 v9, 16, v8
	v_and_b32_e32 v13, 0xffff0000, v5
	v_and_b32_e32 v5, 0xffff0000, v8
	v_bfe_u32 v8, v6, 16, 1
	v_or_b32_e32 v51, 0x400000, v6
	v_cmp_u_f32_e64 s2, v6, v6
	v_mul_f32_e32 v48, s40, v48
	v_lshlrev_b32_e32 v109, 16, v19
	v_add3_u32 v8, v8, v6, 0x7fff
	v_and_b32_e32 v113, 0xffff0000, v19
	v_lshlrev_b32_e32 v110, 16, v20
	v_and_b32_e32 v114, 0xffff0000, v20
	v_lshlrev_b32_e32 v20, 16, v10
	v_cndmask_b32_e64 v6, v8, v51, s2
	v_mul_f32_e32 v8, s40, v49
	v_and_b32_e32 v19, 0xffff0000, v10
	v_lshlrev_b32_e32 v10, 16, v7
	v_and_b32_e32 v7, 0xffff0000, v7
	v_and_b32_e32 v6, 0xffff0000, v6
	v_bfe_u32 v49, v8, 16, 1
	v_or_b32_e32 v51, 0x400000, v8
	v_cmp_u_f32_e64 s2, v8, v8
	v_mul_f32_e32 v6, v100, v6
	v_add3_u32 v49, v49, v8, 0x7fff
	v_cndmask_b32_e64 v8, v49, v51, s2
	v_and_b32_e32 v8, 0xffff0000, v8
	v_fmac_f32_e32 v6, v99, v8
	v_mul_f32_e32 v8, s40, v50
	v_bfe_u32 v49, v8, 16, 1
	v_or_b32_e32 v50, 0x400000, v8
	v_cmp_u_f32_e64 s2, v8, v8
	v_add3_u32 v49, v49, v8, 0x7fff
	v_cndmask_b32_e64 v8, v49, v50, s2
	v_bfe_u32 v49, v48, 16, 1
	v_or_b32_e32 v50, 0x400000, v48
	v_cmp_u_f32_e64 s2, v48, v48
	v_and_b32_e32 v8, 0xffff0000, v8
	v_add3_u32 v49, v49, v48, 0x7fff
	v_mul_f32_e32 v8, v104, v8
	v_cndmask_b32_e64 v48, v49, v50, s2
	v_and_b32_e32 v48, 0xffff0000, v48
	v_fmac_f32_e32 v8, v103, v48
	v_mul_f32_e32 v48, s40, v53
	v_bfe_u32 v49, v48, 16, 1
	v_or_b32_e32 v50, 0x400000, v48
	v_cmp_u_f32_e64 s2, v48, v48
	v_add3_u32 v49, v49, v48, 0x7fff
	v_cndmask_b32_e64 v48, v49, v50, s2
	v_and_b32_e32 v48, 0xffff0000, v48
	v_fmac_f32_e32 v6, v101, v48
	v_mul_f32_e32 v48, s40, v52
	v_bfe_u32 v49, v48, 16, 1
	v_or_b32_e32 v50, 0x400000, v48
	v_cmp_u_f32_e64 s2, v48, v48
	v_add3_u32 v49, v49, v48, 0x7fff
	;; [unrolled: 8-line block ×25, first 2 shown]
	v_cndmask_b32_e64 v19, v20, v21, s2
	v_mul_f32_e32 v21, s40, v87
	v_and_b32_e32 v19, 0xffff0000, v19
	v_bfe_u32 v22, v21, 16, 1
	v_fmac_f32_e32 v6, v18, v19
	v_mul_f32_e32 v18, s40, v76
	v_add3_u32 v22, v22, v21, 0x7fff
	v_bfe_u32 v19, v18, 16, 1
	v_or_b32_e32 v20, 0x400000, v18
	v_cmp_u_f32_e64 s2, v18, v18
	v_add3_u32 v19, v19, v18, 0x7fff
	v_cndmask_b32_e64 v18, v19, v20, s2
	v_and_b32_e32 v18, 0xffff0000, v18
	v_fmac_f32_e32 v8, v17, v18
	v_mul_f32_e32 v17, s40, v79
	v_bfe_u32 v18, v17, 16, 1
	v_or_b32_e32 v19, 0x400000, v17
	v_cmp_u_f32_e64 s2, v17, v17
	v_add3_u32 v18, v18, v17, 0x7fff
	v_cndmask_b32_e64 v17, v18, v19, s2
	v_and_b32_e32 v17, 0xffff0000, v17
	v_fmac_f32_e32 v6, v16, v17
	v_mul_f32_e32 v16, s40, v78
	;; [unrolled: 8-line block ×5, first 2 shown]
	v_bfe_u32 v14, v13, 16, 1
	v_or_b32_e32 v15, 0x400000, v13
	v_cmp_u_f32_e64 s2, v13, v13
	v_add3_u32 v14, v14, v13, 0x7fff
	v_mul_f32_e32 v13, s40, v82
	v_cndmask_b32_e64 v14, v14, v15, s2
	v_bfe_u32 v15, v13, 16, 1
	v_or_b32_e32 v16, 0x400000, v13
	v_cmp_u_f32_e64 s2, v13, v13
	v_add3_u32 v15, v15, v13, 0x7fff
	v_mul_f32_e32 v13, s40, v85
	v_cndmask_b32_e64 v15, v15, v16, s2
	v_bfe_u32 v16, v13, 16, 1
	v_or_b32_e32 v17, 0x400000, v13
	v_cmp_u_f32_e64 s2, v13, v13
	v_and_b32_e32 v15, 0xffff0000, v15
	v_add3_u32 v16, v16, v13, 0x7fff
	v_and_b32_e32 v13, 0xffff0000, v14
	v_mul_f32_e32 v14, s40, v32
	v_or_b32_e32 v32, 0x400000, v21
	v_fmac_f32_e32 v8, v12, v15
	v_cndmask_b32_e64 v16, v16, v17, s2
	v_fmac_f32_e32 v6, v11, v13
	v_bfe_u32 v11, v14, 16, 1
	v_mul_f32_e32 v12, s40, v93
	v_mul_f32_e32 v15, s40, v92
	v_and_b32_e32 v13, 0xffff0000, v16
	v_or_b32_e32 v16, 0x400000, v14
	v_add3_u32 v11, v11, v14, 0x7fff
	v_bfe_u32 v17, v12, 16, 1
	v_cmp_u_f32_e64 s2, v14, v14
	v_fmac_f32_e32 v6, v10, v13
	v_bfe_u32 v10, v15, 16, 1
	v_or_b32_e32 v14, 0x400000, v12
	v_add3_u32 v13, v17, v12, 0x7fff
	v_cndmask_b32_e64 v11, v11, v16, s2
	v_mul_f32_e32 v16, s40, v91
	v_cmp_u_f32_e64 s2, v12, v12
	v_add3_u32 v10, v10, v15, 0x7fff
	v_mul_f32_e32 v17, s40, v90
	v_or_b32_e32 v18, 0x400000, v15
	v_cndmask_b32_e64 v12, v13, v14, s2
	v_bfe_u32 v13, v16, 16, 1
	v_cmp_u_f32_e64 s2, v15, v15
	v_bfe_u32 v14, v17, 16, 1
	v_mul_f32_e32 v15, s40, v89
	v_or_b32_e32 v19, 0x400000, v17
	v_add3_u32 v13, v13, v16, 0x7fff
	v_cndmask_b32_e64 v10, v10, v18, s2
	v_or_b32_e32 v18, 0x400000, v16
	v_cmp_u_f32_e64 s2, v16, v16
	v_add3_u32 v14, v14, v17, 0x7fff
	v_bfe_u32 v20, v15, 16, 1
	v_mul_f32_e32 v16, s40, v88
	v_cndmask_b32_e64 v13, v13, v18, s2
	v_cmp_u_f32_e64 s2, v17, v17
	v_add3_u32 v17, v20, v15, 0x7fff
	v_or_b32_e32 v18, 0x400000, v15
	v_bfe_u32 v20, v16, 16, 1
	v_or_b32_e32 v23, 0x400000, v16
	v_cndmask_b32_e64 v14, v14, v19, s2
	v_mul_f32_e32 v19, s40, v84
	v_cmp_u_f32_e64 s2, v15, v15
	v_or_b32_e32 v24, 0x400000, v19
	v_cndmask_b32_e64 v15, v17, v18, s2
	v_bfe_u32 v17, v19, 16, 1
	v_cmp_u_f32_e64 s2, v19, v19
	v_add3_u32 v18, v20, v16, 0x7fff
	v_mul_f32_e32 v20, s40, v86
	v_add3_u32 v17, v17, v19, 0x7fff
	v_bfe_u32 v25, v20, 16, 1
	v_cndmask_b32_e64 v17, v17, v24, s2
	v_cmp_u_f32_e64 s2, v21, v21
	v_or_b32_e32 v24, 0x400000, v20
	v_add3_u32 v19, v25, v20, 0x7fff
	v_and_b32_e32 v17, 0xffff0000, v17
	v_cndmask_b32_e64 v21, v22, v32, s2
	v_cmp_u_f32_e64 s2, v16, v16
	v_fmac_f32_e32 v8, v7, v17
	v_and_b32_e32 v7, 0xffff0000, v21
	v_cndmask_b32_e64 v16, v18, v23, s2
	v_cmp_u_f32_e64 s2, v20, v20
	v_mul_f32_e32 v20, s40, v31
	v_lshlrev_b32_e32 v17, 16, v1
	v_fmac_f32_e32 v6, v9, v7
	v_and_b32_e32 v16, 0xffff0000, v16
	v_cndmask_b32_e64 v18, v19, v24, s2
	v_and_b32_e32 v1, 0xffff0000, v1
	v_lshlrev_b32_e32 v19, 16, v2
	v_and_b32_e32 v2, 0xffff0000, v2
	v_fmac_f32_e32 v6, v17, v16
	v_and_b32_e32 v18, 0xffff0000, v18
	v_cmp_u_f32_e64 s2, v20, v20
	v_lshlrev_b32_e32 v7, 16, v3
	v_xor_b32_e32 v16, 2, v36
	v_and_b32_e32 v3, 0xffff0000, v3
	v_fmac_f32_e32 v8, v5, v18
	v_and_b32_e32 v5, 0xffff0000, v15
	v_bfe_u32 v15, v20, 16, 1
	v_lshlrev_b32_e32 v9, 16, v4
	v_and_b32_e32 v4, 0xffff0000, v4
	v_fmac_f32_e32 v8, v1, v5
	v_and_b32_e32 v1, 0xffff0000, v14
	v_and_b32_e32 v5, 0xffff0000, v13
	v_add3_u32 v13, v15, v20, 0x7fff
	v_or_b32_e32 v14, 0x400000, v20
	v_fmac_f32_e32 v6, v19, v1
	v_fmac_f32_e32 v8, v2, v5
	v_and_b32_e32 v1, 0xffff0000, v10
	v_and_b32_e32 v2, 0xffff0000, v12
	v_cndmask_b32_e64 v5, v13, v14, s2
	v_cmp_gt_i32_e64 s2, 32, v16
	v_fmac_f32_e32 v6, v7, v1
	v_fmac_f32_e32 v8, v3, v2
	v_and_b32_e32 v1, 0xffff0000, v11
	v_and_b32_e32 v2, 0xffff0000, v5
	v_cndmask_b32_e64 v3, v36, v16, s2
	v_fmac_f32_e32 v6, v9, v1
	v_fmac_f32_e32 v8, v4, v2
	v_lshlrev_b32_e32 v1, 2, v3
	v_xor_b32_e32 v3, 1, v36
	v_add_f32_e32 v2, v6, v8
	v_cmp_gt_i32_e64 s2, 32, v3
	ds_bpermute_b32 v1, v1, v2
	v_cndmask_b32_e64 v3, v36, v3, s2
	v_lshlrev_b32_e32 v3, 2, v3
	s_waitcnt lgkmcnt(0)
	v_add_f32_e32 v1, v2, v1
	ds_bpermute_b32 v2, v3, v1
	s_and_saveexec_b32 s40, vcc_lo
	s_cbranch_execz .LBB311_10
; %bb.402:                              ;   in Loop: Header=BB311_12 Depth=1
	v_add_nc_u32_e32 v3, v44, v40
	s_waitcnt lgkmcnt(0)
	v_add_f32_e32 v1, v1, v2
	v_cvt_f32_i32_e32 v3, v3
	v_mul_f32_e32 v3, s36, v3
	v_cndmask_b32_e64 v2, 0, v3, s1
	v_max_f32_e32 v3, v38, v38
	v_fmac_f32_e32 v2, s35, v1
	v_add_nc_u32_e32 v1, v37, v40
	v_max_f32_e32 v3, v3, v2
	v_cmp_gt_i32_e64 s2, s33, v1
	v_cndmask_b32_e64 v1, 0, v2, s2
	v_cndmask_b32_e64 v38, v38, v3, s2
	ds_write_b32 v45, v1
	s_branch .LBB311_10
.LBB311_403:
	s_or_b32 exec_lo, exec_lo, s38
.LBB311_404:
	s_or_b32 exec_lo, exec_lo, s37
	v_xor_b32_e32 v1, 16, v36
	v_xor_b32_e32 v3, 8, v36
	v_max_f32_e32 v4, v38, v38
	v_xor_b32_e32 v5, 4, v36
	v_and_b32_e32 v21, 31, v0
	v_cmp_gt_i32_e32 vcc_lo, 32, v1
	v_cndmask_b32_e32 v1, v36, v1, vcc_lo
	v_cmp_gt_i32_e32 vcc_lo, 32, v3
	s_waitcnt lgkmcnt(0)
	v_lshlrev_b32_e32 v2, 2, v1
	v_cndmask_b32_e32 v3, v36, v3, vcc_lo
	v_cmp_gt_i32_e32 vcc_lo, 32, v5
	ds_bpermute_b32 v1, v2, v38
	v_lshlrev_b32_e32 v3, 2, v3
	v_cndmask_b32_e32 v5, v36, v5, vcc_lo
	v_cmp_eq_u32_e32 vcc_lo, 0, v21
	v_lshlrev_b32_e32 v6, 2, v5
	s_waitcnt lgkmcnt(0)
	v_max_f32_e32 v1, v1, v1
	v_max_f32_e32 v1, v4, v1
	ds_bpermute_b32 v4, v3, v1
	s_waitcnt lgkmcnt(0)
	v_max_f32_e32 v4, v4, v4
	v_max_f32_e32 v1, v1, v4
	v_lshlrev_b32_e32 v4, 2, v33
	ds_bpermute_b32 v5, v6, v1
	s_and_saveexec_b32 s1, vcc_lo
	s_cbranch_execz .LBB311_406
; %bb.405:
	s_waitcnt lgkmcnt(0)
	v_max_f32_e32 v5, v5, v5
	v_max_f32_e32 v1, v1, v1
	;; [unrolled: 1-line block ×3, first 2 shown]
	ds_write_b32 v4, v1 offset:384
.LBB311_406:
	s_or_b32 exec_lo, exec_lo, s1
	v_cmp_gt_u32_e64 s1, 4, v21
	v_mov_b32_e32 v1, 0xff7fffff
	s_waitcnt lgkmcnt(0)
	v_lshlrev_b32_e32 v5, 2, v21
	s_barrier
	buffer_gl0_inv
	s_and_saveexec_b32 s2, s1
; %bb.407:
	ds_read_b32 v1, v5 offset:384
; %bb.408:
	s_or_b32 exec_lo, exec_lo, s2
	v_xor_b32_e32 v7, 2, v36
	v_xor_b32_e32 v9, 1, v36
	v_cmp_gt_i32_e64 s2, 32, v7
	v_cndmask_b32_e64 v7, v36, v7, s2
	v_cmp_gt_i32_e64 s2, 32, v9
	v_lshlrev_b32_e32 v7, 2, v7
	v_cndmask_b32_e64 v9, v36, v9, s2
	s_lshl_b32 s2, s20, 3
	s_min_i32 s4, s2, s33
	s_waitcnt lgkmcnt(0)
	ds_bpermute_b32 v8, v7, v1
	v_max_f32_e32 v1, v1, v1
	v_cmp_gt_i32_e64 s2, s4, v0
	s_waitcnt lgkmcnt(0)
	v_max_f32_e32 v10, v8, v8
	v_lshlrev_b32_e32 v8, 2, v9
	v_max_f32_e32 v1, v1, v10
	ds_bpermute_b32 v9, v8, v1
	s_waitcnt lgkmcnt(0)
	v_max_f32_e32 v9, v9, v9
	v_max_f32_e32 v1, v1, v9
	v_mov_b32_e32 v9, 0
	ds_bpermute_b32 v10, v9, v1
	v_lshl_add_u32 v1, v0, 2, 0x1a0
	s_and_saveexec_b32 s5, s2
	s_cbranch_execz .LBB311_412
; %bb.409:
	v_lshl_add_u32 v11, v0, 2, 0x1a0
	v_mov_b32_e32 v9, 0
	v_mov_b32_e32 v12, v0
	s_mov_b32 s12, 0
	.p2align	6
.LBB311_410:                            ; =>This Inner Loop Header: Depth=1
	ds_read_b32 v13, v11
	v_add_nc_u32_e32 v12, 0x80, v12
	v_cmp_le_i32_e64 s3, s4, v12
	s_or_b32 s12, s3, s12
	s_waitcnt lgkmcnt(0)
	v_sub_f32_e32 v13, v13, v10
	v_mul_f32_e32 v13, 0x3fb8aa3b, v13
	v_exp_f32_e32 v13, v13
	ds_write_b32 v11, v13
	v_add_f32_e32 v9, v9, v13
	v_add_nc_u32_e32 v11, 0x200, v11
	s_andn2_b32 exec_lo, exec_lo, s12
	s_cbranch_execnz .LBB311_410
; %bb.411:
	s_or_b32 exec_lo, exec_lo, s12
.LBB311_412:
	s_or_b32 exec_lo, exec_lo, s5
	ds_bpermute_b32 v2, v2, v9
	s_waitcnt lgkmcnt(0)
	v_add_f32_e32 v2, v9, v2
	ds_bpermute_b32 v3, v3, v2
	s_waitcnt lgkmcnt(0)
	v_add_f32_e32 v2, v2, v3
	;; [unrolled: 3-line block ×5, first 2 shown]
	s_and_saveexec_b32 s3, vcc_lo
; %bb.413:
	ds_write_b32 v4, v2 offset:400
; %bb.414:
	s_or_b32 exec_lo, exec_lo, s3
	s_waitcnt lgkmcnt(0)
	s_barrier
	buffer_gl0_inv
	s_and_saveexec_b32 s3, s1
; %bb.415:
	ds_read_b32 v2, v5 offset:400
; %bb.416:
	s_or_b32 exec_lo, exec_lo, s3
	s_waitcnt lgkmcnt(0)
	ds_bpermute_b32 v3, v7, v2
	s_waitcnt lgkmcnt(0)
	v_add_f32_e32 v2, v2, v3
	ds_bpermute_b32 v3, v8, v2
	s_waitcnt lgkmcnt(0)
	v_add_f32_e32 v2, v2, v3
	v_mov_b32_e32 v3, 0
	ds_bpermute_b32 v2, v3, v2
	s_and_saveexec_b32 s1, s2
	s_cbranch_execz .LBB311_419
; %bb.417:
	s_waitcnt lgkmcnt(0)
	v_add_f32_e32 v2, 0x358637bd, v2
	s_mov_b32 s2, 0
	v_div_scale_f32 v3, null, v2, v2, 1.0
	v_div_scale_f32 v6, vcc_lo, 1.0, v2, 1.0
	v_rcp_f32_e32 v4, v3
	v_fma_f32 v5, -v3, v4, 1.0
	v_fmac_f32_e32 v4, v5, v4
	v_mul_f32_e32 v5, v6, v4
	v_fma_f32 v7, -v3, v5, v6
	v_fmac_f32_e32 v5, v7, v4
	v_fma_f32 v3, -v3, v5, v6
	v_div_fmas_f32 v3, v3, v4, v5
	v_div_fixup_f32 v2, v3, v2, 1.0
	v_mov_b32_e32 v3, v0
.LBB311_418:                            ; =>This Inner Loop Header: Depth=1
	ds_read_b32 v4, v1
	v_add_nc_u32_e32 v3, 0x80, v3
	v_cmp_le_i32_e32 vcc_lo, s4, v3
	s_or_b32 s2, vcc_lo, s2
	s_waitcnt lgkmcnt(0)
	v_mul_f32_e32 v4, v2, v4
	ds_write_b32 v1, v4
	v_add_nc_u32_e32 v1, 0x200, v1
	s_andn2_b32 exec_lo, exec_lo, s2
	s_cbranch_execnz .LBB311_418
.LBB311_419:
	s_or_b32 exec_lo, exec_lo, s1
	v_mov_b32_e32 v27, 0
	v_mov_b32_e32 v26, 0
	v_mov_b32_e32 v25, 0
	v_mov_b32_e32 v24, 0
	v_mov_b32_e32 v23, 0
	v_mov_b32_e32 v22, 0
	s_waitcnt lgkmcnt(0)
	s_barrier
	buffer_gl0_inv
	s_and_saveexec_b32 s1, s0
	s_cbranch_execz .LBB311_797
; %bb.420:
	s_sub_i32 s4, s34, s21
	s_ashr_i32 s0, s18, 31
	s_add_u32 s18, s30, s18
	s_addc_u32 s0, s31, s0
	s_abs_i32 s5, s22
	v_lshlrev_b32_e32 v2, 3, v21
	v_cvt_f32_u32_e32 v1, s5
	s_sub_i32 s2, 0, s5
	v_and_b32_e32 v3, 0x7c, v35
	s_mov_b32 s12, s17
	v_add_co_u32 v11, s17, s18, v2
	v_rcp_iflag_f32_e32 v1, v1
	s_add_i32 s13, s20, -1
	v_add_co_ci_u32_e64 v12, null, s0, 0, s17
	v_mov_b32_e32 v10, 0
	v_lshl_add_u32 v28, v33, 5, 0x1a0
	v_mov_b32_e32 v29, 0x80
	v_mov_b32_e32 v30, 0xffff
	;; [unrolled: 1-line block ×4, first 2 shown]
	v_mul_f32_e32 v1, 0x4f7ffffe, v1
	v_mov_b32_e32 v35, 24
	v_mov_b32_e32 v22, 0
	;; [unrolled: 1-line block ×4, first 2 shown]
	v_cvt_u32_f32_e32 v1, v1
	v_mov_b32_e32 v25, 0
	v_mov_b32_e32 v26, 0
	;; [unrolled: 1-line block ×4, first 2 shown]
	v_mul_lo_u32 v4, s2, v1
	s_lshl_b64 s[2:3], s[28:29], 2
	s_mov_b32 s17, 0
	s_add_u32 s0, s26, s2
	s_addc_u32 s2, s27, s3
	v_add_co_u32 v13, s0, s0, v3
	v_add_co_ci_u32_e64 v14, null, s2, 0, s0
	v_mul_hi_u32 v4, v1, v4
	s_mov_b32 s2, -1
	s_mov_b32 s3, 0xffffff
	v_add_nc_u32_e32 v36, v1, v4
	s_branch .LBB311_423
.LBB311_421:                            ;   in Loop: Header=BB311_423 Depth=1
	s_or_b32 exec_lo, exec_lo, s0
	v_bfe_u32 v46, v5, 16, 1
	v_or_b32_e32 v47, 0x400000, v5
	v_bfe_u32 v48, v6, 16, 1
	v_cmp_u_f32_e32 vcc_lo, v5, v5
	v_bfe_u32 v49, v7, 16, 1
	v_add3_u32 v46, v46, v5, 0x7fff
	v_or_b32_e32 v50, 0x400000, v6
	v_add3_u32 v48, v48, v6, 0x7fff
	v_or_b32_e32 v51, 0x400000, v7
	v_add3_u32 v49, v49, v7, 0x7fff
	v_cndmask_b32_e32 v5, v46, v47, vcc_lo
	v_cmp_u_f32_e32 vcc_lo, v6, v6
	v_bfe_u32 v46, v8, 16, 1
	v_bfe_u32 v47, v1, 16, 1
	v_lshlrev_b32_e32 v19, 16, v19
	v_lshlrev_b32_e32 v78, 16, v78
	v_cndmask_b32_e32 v6, v48, v50, vcc_lo
	v_cmp_u_f32_e32 vcc_lo, v7, v7
	v_add3_u32 v46, v46, v8, 0x7fff
	v_or_b32_e32 v48, 0x400000, v8
	v_add3_u32 v47, v47, v1, 0x7fff
	v_bfe_u32 v50, v2, 16, 1
	v_cndmask_b32_e32 v7, v49, v51, vcc_lo
	v_cmp_u_f32_e32 vcc_lo, v8, v8
	v_or_b32_e32 v49, 0x400000, v1
	v_lshlrev_b32_e32 v63, 16, v63
	v_lshlrev_b32_e32 v58, 16, v58
	;; [unrolled: 1-line block ×3, first 2 shown]
	v_cndmask_b32_e32 v8, v46, v48, vcc_lo
	v_cmp_u_f32_e32 vcc_lo, v1, v1
	v_or_b32_e32 v48, 0x400000, v2
	v_and_b32_e32 v1, 0xffff0000, v6
	v_lshlrev_b32_e32 v6, 16, v82
	v_lshlrev_b32_e32 v54, 16, v54
	v_cndmask_b32_e32 v46, v47, v49, vcc_lo
	v_add3_u32 v47, v50, v2, 0x7fff
	v_bfe_u32 v49, v3, 16, 1
	v_cmp_u_f32_e32 vcc_lo, v2, v2
	v_bfe_u32 v50, v4, 16, 1
	v_mul_f32_e32 v6, v1, v6
	v_and_b32_e32 v2, 0xffff0000, v5
	v_lshlrev_b32_e32 v5, 16, v81
	v_cndmask_b32_e32 v47, v47, v48, vcc_lo
	v_add3_u32 v48, v49, v3, 0x7fff
	v_or_b32_e32 v49, 0x400000, v3
	v_cmp_u_f32_e32 vcc_lo, v3, v3
	v_add3_u32 v3, v50, v4, 0x7fff
	v_bfe_u32 v50, v6, 16, 1
	v_mul_f32_e32 v51, v2, v5
	v_and_b32_e32 v5, 0xffff0000, v8
	v_cndmask_b32_e32 v48, v48, v49, vcc_lo
	v_or_b32_e32 v49, 0x400000, v4
	v_lshlrev_b32_e32 v8, 16, v79
	v_cmp_u_f32_e32 vcc_lo, v4, v4
	v_bfe_u32 v52, v51, 16, 1
	v_and_b32_e32 v4, 0xffff0000, v7
	v_lshlrev_b32_e32 v7, 16, v80
	v_mul_f32_e32 v8, v5, v8
	v_cndmask_b32_e32 v3, v3, v49, vcc_lo
	v_add3_u32 v49, v50, v6, 0x7fff
	v_or_b32_e32 v50, 0x400000, v6
	v_cmp_u_f32_e32 vcc_lo, v6, v6
	v_bfe_u32 v79, v8, 16, 1
	v_mul_f32_e32 v80, v4, v7
	v_and_b32_e32 v6, 0xffff0000, v47
	v_lshlrev_b32_e32 v7, 16, v20
	v_cndmask_b32_e32 v49, v49, v50, vcc_lo
	v_add3_u32 v50, v52, v51, 0x7fff
	v_or_b32_e32 v52, 0x400000, v51
	v_cmp_u_f32_e32 vcc_lo, v51, v51
	v_add3_u32 v47, v79, v8, 0x7fff
	v_bfe_u32 v51, v80, 16, 1
	v_and_b32_e32 v3, 0xffff0000, v3
	v_and_b32_e32 v49, 0xffff0000, v49
	v_cndmask_b32_e32 v20, v50, v52, vcc_lo
	v_or_b32_e32 v50, 0x400000, v8
	v_mul_f32_e32 v52, v6, v7
	v_and_b32_e32 v7, 0xffff0000, v46
	v_cmp_u_f32_e32 vcc_lo, v8, v8
	v_and_b32_e32 v8, 0xffff0000, v48
	v_lshlrev_b32_e32 v48, 16, v77
	v_mul_f32_e32 v77, v3, v78
	v_mul_f32_e32 v19, v7, v19
	v_cndmask_b32_e32 v46, v47, v50, vcc_lo
	v_add3_u32 v47, v51, v80, 0x7fff
	v_or_b32_e32 v50, 0x400000, v80
	v_bfe_u32 v51, v52, 16, 1
	v_cmp_u_f32_e32 vcc_lo, v80, v80
	v_mul_f32_e32 v48, v8, v48
	v_or_b32_e32 v78, 0x400000, v52
	v_or_b32_e32 v79, 0x400000, v19
	v_add3_u32 v51, v51, v52, 0x7fff
	v_cndmask_b32_e32 v47, v47, v50, vcc_lo
	v_bfe_u32 v50, v19, 16, 1
	v_cmp_u_f32_e32 vcc_lo, v52, v52
	v_bfe_u32 v81, v48, 16, 1
	v_bfe_u32 v80, v77, 16, 1
	v_and_b32_e32 v20, 0xffff0000, v20
	v_add3_u32 v50, v50, v19, 0x7fff
	v_cndmask_b32_e32 v51, v51, v78, vcc_lo
	v_cmp_u_f32_e32 vcc_lo, v19, v19
	v_add3_u32 v52, v81, v48, 0x7fff
	v_or_b32_e32 v78, 0x400000, v48
	v_and_b32_e32 v47, 0xffff0000, v47
	v_and_b32_e32 v46, 0xffff0000, v46
	v_cndmask_b32_e32 v19, v50, v79, vcc_lo
	v_cmp_u_f32_e32 vcc_lo, v48, v48
	v_add3_u32 v50, v80, v77, 0x7fff
	v_or_b32_e32 v79, 0x400000, v77
	v_add_f32_e32 v20, v20, v49
	v_add_f32_e32 v46, v47, v46
	v_cndmask_b32_e32 v48, v52, v78, vcc_lo
	v_cmp_u_f32_e32 vcc_lo, v77, v77
	v_and_b32_e32 v19, 0xffff0000, v19
	v_and_b32_e32 v47, 0xffff0000, v51
	v_add_f32_e32 v20, v46, v20
	v_and_b32_e32 v46, 0xffff0000, v48
	v_cndmask_b32_e32 v49, v50, v79, vcc_lo
	v_lshlrev_b32_e32 v48, 16, v76
	v_add_f32_e32 v19, v19, v47
	v_lshlrev_b32_e32 v51, 16, v74
	v_lshlrev_b32_e32 v57, 16, v57
	v_and_b32_e32 v47, 0xffff0000, v49
	v_lshlrev_b32_e32 v49, 16, v75
	v_add_f32_e32 v19, v19, v20
	v_lshlrev_b32_e32 v55, 16, v55
	v_lshlrev_b32_e32 v45, 16, v45
	v_add_f32_e32 v20, v46, v47
	v_mul_f32_e32 v46, v1, v48
	v_mul_f32_e32 v47, v2, v49
	v_lshlrev_b32_e32 v49, 16, v72
	v_mul_f32_e32 v55, v8, v55
	v_add_f32_e32 v19, v20, v19
	v_bfe_u32 v20, v46, 16, 1
	v_bfe_u32 v48, v47, 16, 1
	v_cmp_u_f32_e32 vcc_lo, v46, v46
	v_mul_f32_e32 v49, v5, v49
	v_add_f32_e32 v23, v23, v19
	v_add3_u32 v19, v20, v46, 0x7fff
	v_or_b32_e32 v20, 0x400000, v46
	v_add3_u32 v48, v48, v47, 0x7fff
	v_or_b32_e32 v50, 0x400000, v47
	v_mul_f32_e32 v45, v1, v45
	v_lshlrev_b32_e32 v44, 16, v44
	v_cndmask_b32_e32 v19, v19, v20, vcc_lo
	v_cmp_u_f32_e32 vcc_lo, v47, v47
	v_bfe_u32 v20, v49, 16, 1
	v_mul_f32_e32 v47, v4, v51
	v_lshlrev_b32_e32 v51, 16, v70
	v_and_b32_e32 v19, 0xffff0000, v19
	v_cndmask_b32_e32 v46, v48, v50, vcc_lo
	v_lshlrev_b32_e32 v48, 16, v69
	v_add3_u32 v20, v20, v49, 0x7fff
	v_or_b32_e32 v50, 0x400000, v49
	v_bfe_u32 v52, v47, 16, 1
	v_cmp_u_f32_e32 vcc_lo, v49, v49
	v_mul_f32_e32 v48, v6, v48
	v_mul_f32_e32 v49, v7, v51
	v_or_b32_e32 v51, 0x400000, v47
	v_lshlrev_b32_e32 v69, 16, v73
	v_cndmask_b32_e32 v20, v20, v50, vcc_lo
	v_add3_u32 v50, v52, v47, 0x7fff
	v_bfe_u32 v52, v48, 16, 1
	v_bfe_u32 v70, v49, 16, 1
	v_cmp_u_f32_e32 vcc_lo, v47, v47
	v_and_b32_e32 v20, 0xffff0000, v20
	v_and_b32_e32 v46, 0xffff0000, v46
	v_lshlrev_b32_e32 v41, 16, v41
	v_mul_f32_e32 v44, v2, v44
	v_cndmask_b32_e32 v47, v50, v51, vcc_lo
	v_add3_u32 v50, v52, v48, 0x7fff
	v_mul_f32_e32 v51, v3, v69
	v_or_b32_e32 v52, 0x400000, v48
	v_add3_u32 v69, v70, v49, 0x7fff
	v_lshlrev_b32_e32 v70, 16, v71
	v_cmp_u_f32_e32 vcc_lo, v48, v48
	v_or_b32_e32 v71, 0x400000, v49
	v_bfe_u32 v72, v51, 16, 1
	v_and_b32_e32 v47, 0xffff0000, v47
	v_add_f32_e32 v19, v46, v19
	v_cndmask_b32_e32 v48, v50, v52, vcc_lo
	v_mul_f32_e32 v50, v8, v70
	v_cmp_u_f32_e32 vcc_lo, v49, v49
	v_add3_u32 v52, v72, v51, 0x7fff
	v_add_f32_e32 v20, v47, v20
	v_and_b32_e32 v47, 0xffff0000, v48
	v_bfe_u32 v70, v50, 16, 1
	v_cndmask_b32_e32 v49, v69, v71, vcc_lo
	v_or_b32_e32 v69, 0x400000, v51
	v_cmp_u_f32_e32 vcc_lo, v51, v51
	v_lshlrev_b32_e32 v48, 16, v68
	v_add_f32_e32 v19, v20, v19
	v_and_b32_e32 v46, 0xffff0000, v49
	v_lshlrev_b32_e32 v49, 16, v67
	v_cndmask_b32_e32 v51, v52, v69, vcc_lo
	v_add3_u32 v52, v70, v50, 0x7fff
	v_or_b32_e32 v69, 0x400000, v50
	v_cmp_u_f32_e32 vcc_lo, v50, v50
	v_mul_f32_e32 v48, v1, v48
	v_add_f32_e32 v20, v46, v47
	v_mul_f32_e32 v46, v2, v49
	v_and_b32_e32 v49, 0xffff0000, v51
	v_cndmask_b32_e32 v50, v52, v69, vcc_lo
	v_lshlrev_b32_e32 v52, 16, v64
	v_add_f32_e32 v19, v20, v19
	v_bfe_u32 v51, v46, 16, 1
	v_cmp_u_f32_e32 vcc_lo, v48, v48
	v_and_b32_e32 v47, 0xffff0000, v50
	v_bfe_u32 v50, v48, 16, 1
	v_lshlrev_b32_e32 v64, 16, v66
	v_mul_f32_e32 v41, v5, v41
	v_lshlrev_b32_e32 v43, 16, v43
	v_add_f32_e32 v20, v47, v49
	v_add3_u32 v47, v50, v48, 0x7fff
	v_or_b32_e32 v49, 0x400000, v48
	v_add3_u32 v50, v51, v46, 0x7fff
	v_mul_f32_e32 v51, v5, v52
	v_or_b32_e32 v52, 0x400000, v46
	v_lshlrev_b32_e32 v39, 16, v39
	v_cndmask_b32_e32 v47, v47, v49, vcc_lo
	v_cmp_u_f32_e32 vcc_lo, v46, v46
	v_bfe_u32 v48, v51, 16, 1
	v_mul_f32_e32 v49, v4, v64
	v_lshlrev_b32_e32 v64, 16, v65
	v_and_b32_e32 v47, 0xffff0000, v47
	v_cndmask_b32_e32 v46, v50, v52, vcc_lo
	v_lshlrev_b32_e32 v50, 16, v61
	v_add3_u32 v48, v48, v51, 0x7fff
	v_or_b32_e32 v52, 0x400000, v51
	v_lshlrev_b32_e32 v61, 16, v62
	v_bfe_u32 v62, v49, 16, 1
	v_mul_f32_e32 v50, v6, v50
	v_cmp_u_f32_e32 vcc_lo, v51, v51
	v_and_b32_e32 v46, 0xffff0000, v46
	v_mul_f32_e32 v51, v7, v61
	v_or_b32_e32 v61, 0x400000, v49
	v_mul_f32_e32 v43, v4, v43
	v_cndmask_b32_e32 v48, v48, v52, vcc_lo
	v_add3_u32 v52, v62, v49, 0x7fff
	v_bfe_u32 v62, v50, 16, 1
	v_cmp_u_f32_e32 vcc_lo, v49, v49
	v_bfe_u32 v65, v51, 16, 1
	v_and_b32_e32 v48, 0xffff0000, v48
	v_add_f32_e32 v46, v46, v47
	v_mul_f32_e32 v39, v6, v39
	v_cndmask_b32_e32 v49, v52, v61, vcc_lo
	v_add3_u32 v52, v62, v50, 0x7fff
	v_mul_f32_e32 v61, v3, v64
	v_or_b32_e32 v62, 0x400000, v50
	v_cmp_u_f32_e32 vcc_lo, v50, v50
	v_add3_u32 v64, v65, v51, 0x7fff
	v_or_b32_e32 v65, 0x400000, v51
	v_bfe_u32 v66, v61, 16, 1
	v_and_b32_e32 v49, 0xffff0000, v49
	v_cndmask_b32_e32 v50, v52, v62, vcc_lo
	v_mul_f32_e32 v52, v8, v63
	v_cmp_u_f32_e32 vcc_lo, v51, v51
	v_add3_u32 v62, v66, v61, 0x7fff
	v_or_b32_e32 v63, 0x400000, v61
	v_add_f32_e32 v47, v49, v48
	v_and_b32_e32 v49, 0xffff0000, v50
	v_cndmask_b32_e32 v51, v64, v65, vcc_lo
	v_bfe_u32 v64, v52, 16, 1
	v_cmp_u_f32_e32 vcc_lo, v61, v61
	v_lshlrev_b32_e32 v50, 16, v60
	v_add_f32_e32 v46, v47, v46
	v_and_b32_e32 v48, 0xffff0000, v51
	v_lshlrev_b32_e32 v38, 16, v38
	v_cndmask_b32_e32 v61, v62, v63, vcc_lo
	v_add3_u32 v62, v64, v52, 0x7fff
	v_or_b32_e32 v63, 0x400000, v52
	v_cmp_u_f32_e32 vcc_lo, v52, v52
	v_lshlrev_b32_e32 v52, 16, v59
	v_add_f32_e32 v47, v48, v49
	v_mul_f32_e32 v48, v1, v50
	v_lshlrev_b32_e32 v42, 16, v42
	v_cndmask_b32_e32 v51, v62, v63, vcc_lo
	v_mul_f32_e32 v50, v2, v52
	v_lshlrev_b32_e32 v52, 16, v56
	v_bfe_u32 v56, v48, 16, 1
	v_add_f32_e32 v46, v47, v46
	v_and_b32_e32 v49, 0xffff0000, v51
	v_and_b32_e32 v51, 0xffff0000, v61
	v_bfe_u32 v59, v50, 16, 1
	v_cmp_u_f32_e32 vcc_lo, v48, v48
	v_mul_f32_e32 v38, v7, v38
	v_mul_f32_e32 v42, v3, v42
	v_add_f32_e32 v47, v49, v51
	v_mul_f32_e32 v49, v5, v52
	v_add3_u32 v51, v56, v48, 0x7fff
	v_or_b32_e32 v52, 0x400000, v48
	v_add3_u32 v56, v59, v50, 0x7fff
	v_or_b32_e32 v59, 0x400000, v50
	v_bfe_u32 v60, v49, 16, 1
	v_lshlrev_b32_e32 v40, 16, v40
	v_cndmask_b32_e32 v48, v51, v52, vcc_lo
	v_cmp_u_f32_e32 vcc_lo, v50, v50
	v_mul_f32_e32 v51, v4, v58
	v_add3_u32 v52, v60, v49, 0x7fff
	v_mul_f32_e32 v40, v8, v40
	v_and_b32_e32 v48, 0xffff0000, v48
	v_cndmask_b32_e32 v50, v56, v59, vcc_lo
	v_or_b32_e32 v56, 0x400000, v49
	v_cmp_u_f32_e32 vcc_lo, v49, v49
	v_bfe_u32 v58, v51, 16, 1
	v_lshlrev_b32_e32 v17, 16, v17
	v_and_b32_e32 v50, 0xffff0000, v50
	v_lshlrev_b32_e32 v15, 16, v15
	v_cndmask_b32_e32 v49, v52, v56, vcc_lo
	v_mul_f32_e32 v52, v6, v53
	v_mul_f32_e32 v53, v7, v54
	v_add3_u32 v54, v58, v51, 0x7fff
	v_or_b32_e32 v56, 0x400000, v51
	v_cmp_u_f32_e32 vcc_lo, v51, v51
	v_bfe_u32 v58, v52, 16, 1
	v_bfe_u32 v59, v53, 16, 1
	v_and_b32_e32 v49, 0xffff0000, v49
	v_add_f32_e32 v48, v50, v48
	v_cndmask_b32_e32 v51, v54, v56, vcc_lo
	v_mul_f32_e32 v54, v3, v57
	v_add3_u32 v56, v58, v52, 0x7fff
	v_or_b32_e32 v57, 0x400000, v52
	v_cmp_u_f32_e32 vcc_lo, v52, v52
	v_add3_u32 v58, v59, v53, 0x7fff
	v_or_b32_e32 v59, 0x400000, v53
	v_bfe_u32 v60, v54, 16, 1
	v_and_b32_e32 v51, 0xffff0000, v51
	v_cndmask_b32_e32 v52, v56, v57, vcc_lo
	v_cmp_u_f32_e32 vcc_lo, v53, v53
	v_or_b32_e32 v57, 0x400000, v54
	v_add3_u32 v56, v60, v54, 0x7fff
	v_add_f32_e32 v49, v51, v49
	v_and_b32_e32 v51, 0xffff0000, v52
	v_cndmask_b32_e32 v53, v58, v59, vcc_lo
	v_cmp_u_f32_e32 vcc_lo, v54, v54
	v_mul_f32_e32 v5, v5, v17
	v_add_f32_e32 v48, v49, v48
	v_lshlrev_b32_e32 v17, 16, v83
	v_and_b32_e32 v50, 0xffff0000, v53
	v_cndmask_b32_e32 v54, v56, v57, vcc_lo
	v_bfe_u32 v56, v55, 16, 1
	v_or_b32_e32 v53, 0x400000, v55
	v_cmp_u_f32_e32 vcc_lo, v55, v55
	v_add_f32_e32 v49, v50, v51
	v_bfe_u32 v51, v45, 16, 1
	v_add3_u32 v52, v56, v55, 0x7fff
	v_mul_f32_e32 v4, v4, v17
	v_mul_f32_e32 v6, v6, v15
	v_add_f32_e32 v48, v49, v48
	v_lshlrev_b32_e32 v9, 16, v9
	v_cndmask_b32_e32 v50, v52, v53, vcc_lo
	v_bfe_u32 v53, v44, 16, 1
	v_cmp_u_f32_e32 vcc_lo, v45, v45
	v_and_b32_e32 v52, 0xffff0000, v54
	v_or_b32_e32 v54, 0x400000, v41
	v_and_b32_e32 v49, 0xffff0000, v50
	v_add3_u32 v50, v51, v45, 0x7fff
	v_or_b32_e32 v51, 0x400000, v45
	v_mul_f32_e32 v7, v7, v9
	v_lshlrev_b32_e32 v9, 16, v18
	v_lshlrev_b32_e32 v16, 16, v16
	v_cndmask_b32_e32 v45, v50, v51, vcc_lo
	v_bfe_u32 v50, v41, 16, 1
	v_add3_u32 v51, v53, v44, 0x7fff
	v_or_b32_e32 v53, 0x400000, v44
	v_cmp_u_f32_e32 vcc_lo, v44, v44
	v_and_b32_e32 v45, 0xffff0000, v45
	v_add3_u32 v50, v50, v41, 0x7fff
	v_mul_f32_e32 v3, v3, v9
	v_mul_f32_e32 v8, v8, v16
	v_cndmask_b32_e32 v44, v51, v53, vcc_lo
	v_bfe_u32 v51, v43, 16, 1
	v_cmp_u_f32_e32 vcc_lo, v41, v41
	v_or_b32_e32 v53, 0x400000, v43
	v_or_b32_e32 v9, 0x400000, v6
	v_and_b32_e32 v44, 0xffff0000, v44
	v_add3_u32 v51, v51, v43, 0x7fff
	v_cndmask_b32_e32 v41, v50, v54, vcc_lo
	v_bfe_u32 v50, v39, 16, 1
	v_cmp_u_f32_e32 vcc_lo, v43, v43
	v_or_b32_e32 v54, 0x400000, v39
	v_add_f32_e32 v44, v44, v45
	v_and_b32_e32 v41, 0xffff0000, v41
	v_add3_u32 v50, v50, v39, 0x7fff
	v_cndmask_b32_e32 v43, v51, v53, vcc_lo
	v_bfe_u32 v51, v38, 16, 1
	v_cmp_u_f32_e32 vcc_lo, v39, v39
	v_bfe_u32 v53, v42, 16, 1
	v_or_b32_e32 v16, 0x400000, v7
	v_and_b32_e32 v43, 0xffff0000, v43
	v_bfe_u32 v18, v3, 16, 1
	v_cndmask_b32_e32 v39, v50, v54, vcc_lo
	v_add3_u32 v50, v51, v38, 0x7fff
	v_or_b32_e32 v51, 0x400000, v38
	v_cmp_u_f32_e32 vcc_lo, v38, v38
	v_add3_u32 v53, v53, v42, 0x7fff
	v_or_b32_e32 v54, 0x400000, v42
	v_add_f32_e32 v41, v43, v41
	v_lshlrev_b32_e32 v43, 16, v84
	v_cndmask_b32_e32 v38, v50, v51, vcc_lo
	v_cmp_u_f32_e32 vcc_lo, v42, v42
	v_bfe_u32 v50, v40, 16, 1
	v_or_b32_e32 v51, 0x400000, v40
	v_and_b32_e32 v39, 0xffff0000, v39
	v_and_b32_e32 v38, 0xffff0000, v38
	v_cndmask_b32_e32 v42, v53, v54, vcc_lo
	v_lshlrev_b32_e32 v53, 16, v85
	v_add3_u32 v50, v50, v40, 0x7fff
	v_cmp_u_f32_e32 vcc_lo, v40, v40
	v_add_f32_e32 v41, v41, v44
	v_mul_f32_e32 v2, v2, v43
	v_mul_f32_e32 v1, v1, v53
	v_add_f32_e32 v38, v38, v39
	v_cndmask_b32_e32 v40, v50, v51, vcc_lo
	v_bfe_u32 v44, v1, 16, 1
	v_or_b32_e32 v43, 0x400000, v1
	v_and_b32_e32 v39, 0xffff0000, v40
	v_cmp_u_f32_e32 vcc_lo, v1, v1
	v_add3_u32 v40, v44, v1, 0x7fff
	v_bfe_u32 v44, v2, 16, 1
	v_cndmask_b32_e32 v1, v40, v43, vcc_lo
	v_add3_u32 v40, v44, v2, 0x7fff
	v_or_b32_e32 v43, 0x400000, v2
	v_bfe_u32 v44, v5, 16, 1
	v_cmp_u_f32_e32 vcc_lo, v2, v2
	v_and_b32_e32 v1, 0xffff0000, v1
	v_add3_u32 v17, v44, v5, 0x7fff
	v_cndmask_b32_e32 v2, v40, v43, vcc_lo
	v_or_b32_e32 v40, 0x400000, v5
	v_bfe_u32 v43, v4, 16, 1
	v_cmp_u_f32_e32 vcc_lo, v5, v5
	v_and_b32_e32 v2, 0xffff0000, v2
	v_add3_u32 v15, v43, v4, 0x7fff
	v_cndmask_b32_e32 v5, v17, v40, vcc_lo
	v_or_b32_e32 v17, 0x400000, v4
	v_bfe_u32 v40, v6, 16, 1
	v_cmp_u_f32_e32 vcc_lo, v4, v4
	v_add_f32_e32 v1, v2, v1
	v_and_b32_e32 v5, 0xffff0000, v5
	v_cndmask_b32_e32 v4, v15, v17, vcc_lo
	v_bfe_u32 v15, v7, 16, 1
	v_add3_u32 v17, v40, v6, 0x7fff
	v_cmp_u_f32_e32 vcc_lo, v6, v6
	v_bfe_u32 v40, v8, 16, 1
	v_and_b32_e32 v4, 0xffff0000, v4
	v_add3_u32 v15, v15, v7, 0x7fff
	v_cndmask_b32_e32 v6, v17, v9, vcc_lo
	v_cmp_u_f32_e32 vcc_lo, v7, v7
	v_add3_u32 v9, v18, v3, 0x7fff
	v_or_b32_e32 v17, 0x400000, v3
	v_add_f32_e32 v2, v4, v5
	v_and_b32_e32 v5, 0xffff0000, v6
	v_cndmask_b32_e32 v7, v15, v16, vcc_lo
	v_add3_u32 v15, v40, v8, 0x7fff
	v_or_b32_e32 v16, 0x400000, v8
	v_cmp_u_f32_e32 vcc_lo, v8, v8
	v_and_b32_e32 v6, 0xffff0000, v42
	v_and_b32_e32 v4, 0xffff0000, v7
	v_add_f32_e32 v1, v2, v1
	v_add_f32_e32 v7, v38, v41
	v_cndmask_b32_e32 v8, v15, v16, vcc_lo
	v_cmp_u_f32_e32 vcc_lo, v3, v3
	v_add_f32_e32 v2, v4, v5
	v_add_f32_e32 v5, v49, v52
	;; [unrolled: 1-line block ×3, first 2 shown]
	v_and_b32_e32 v4, 0xffff0000, v8
	v_cndmask_b32_e32 v3, v9, v17, vcc_lo
	v_add_f32_e32 v1, v2, v1
	v_add_f32_e32 v5, v5, v48
	;; [unrolled: 1-line block ×3, first 2 shown]
	v_and_b32_e32 v3, 0xffff0000, v3
	v_add_f32_e32 v26, v26, v5
	v_add_f32_e32 v27, v27, v6
	;; [unrolled: 1-line block ×9, first 2 shown]
.LBB311_422:                            ;   in Loop: Header=BB311_423 Depth=1
	s_or_b32 exec_lo, exec_lo, s18
	v_add_nc_u32_e32 v37, 4, v37
	v_add_co_u32 v13, s0, v13, 16
	v_add_co_ci_u32_e64 v14, null, 0, v14, s0
	v_cmp_le_i32_e32 vcc_lo, s20, v37
	v_add_nc_u32_e32 v34, 32, v34
	v_add_nc_u32_e32 v28, 0x80, v28
	s_or_b32 s17, vcc_lo, s17
	s_andn2_b32 exec_lo, exec_lo, s17
	s_cbranch_execz .LBB311_796
.LBB311_423:                            ; =>This Inner Loop Header: Depth=1
	v_mul_hi_u32 v1, v34, s19
	v_mul_lo_u32 v2, v1, s16
	v_add_nc_u32_e32 v3, 1, v1
	v_sub_nc_u32_e32 v2, v34, v2
	v_subrev_nc_u32_e32 v4, s16, v2
	v_cmp_le_u32_e32 vcc_lo, s16, v2
	v_cndmask_b32_e32 v1, v1, v3, vcc_lo
	v_cndmask_b32_e32 v2, v2, v4, vcc_lo
	v_add_nc_u32_e32 v3, 1, v1
	v_cmp_le_u32_e32 vcc_lo, s16, v2
	v_cndmask_b32_e32 v1, v1, v3, vcc_lo
	v_xor_b32_e32 v1, s23, v1
	v_subrev_nc_u32_e32 v1, s23, v1
	v_add_nc_u32_e32 v2, s25, v1
	v_cmp_lt_i32_e64 s0, s4, v1
	v_sub_nc_u32_e32 v3, 0, v2
	v_max_i32_e32 v3, v2, v3
	v_ashrrev_i32_e32 v2, 31, v2
	v_mul_hi_u32 v4, v3, v36
	v_mul_lo_u32 v4, v4, s5
	v_sub_nc_u32_e32 v3, v3, v4
	v_subrev_nc_u32_e32 v4, s5, v3
	v_cmp_le_u32_e32 vcc_lo, s5, v3
	v_cndmask_b32_e32 v3, v3, v4, vcc_lo
	v_subrev_nc_u32_e32 v4, s5, v3
	v_cmp_le_u32_e32 vcc_lo, s5, v3
	v_cndmask_b32_e32 v3, v3, v4, vcc_lo
	v_xor_b32_e32 v3, v3, v2
	v_sub_nc_u32_e32 v2, v3, v2
	v_cmp_eq_u32_e32 vcc_lo, 0, v2
	s_or_b32 s0, vcc_lo, s0
	s_and_saveexec_b32 s18, s0
	s_cbranch_execz .LBB311_422
; %bb.424:                              ;   in Loop: Header=BB311_423 Depth=1
	global_load_dword v1, v[13:14], off
	v_mov_b32_e32 v38, 0
	v_mov_b32_e32 v40, 0
	s_waitcnt vmcnt(0)
	v_mad_i64_i32 v[15:16], null, v1, s12, v[11:12]
	global_load_dwordx2 v[17:18], v[15:16], off
	ds_read2_b64 v[5:8], v28 offset1:1
	ds_read2_b64 v[1:4], v28 offset0:2 offset1:3
	s_load_dword s21, s[14:15], 0x0
	s_waitcnt vmcnt(0)
	v_cmp_ne_u16_sdwa s22, v17, v10 src0_sel:BYTE_0 src1_sel:DWORD
	s_and_saveexec_b32 s0, s22
	s_cbranch_execz .LBB311_430
; %bb.425:                              ;   in Loop: Header=BB311_423 Depth=1
	v_cmp_ne_u16_sdwa s26, v17, v29 src0_sel:BYTE_0 src1_sel:DWORD
	v_bfrev_b32_e32 v40, 1
	s_and_saveexec_b32 s22, s26
	s_cbranch_execz .LBB311_429
; %bb.426:                              ;   in Loop: Header=BB311_423 Depth=1
	v_and_b32_e32 v9, 0x7f, v17
	v_mov_b32_e32 v40, 0x7f800001
	s_mov_b32 s26, exec_lo
	v_cmpx_ne_u32_e32 0x7f, v9
	s_cbranch_execz .LBB311_428
; %bb.427:                              ;   in Loop: Header=BB311_423 Depth=1
	v_and_b32_e32 v19, 7, v17
	v_lshrrev_b32_e32 v20, 3, v9
	v_cmp_gt_u32_e32 vcc_lo, 8, v9
	v_ffbh_u32_e32 v19, v19
	v_min_u32_e32 v19, 32, v19
	v_subrev_nc_u32_e32 v39, 28, v19
	v_sub_nc_u32_e32 v19, 29, v19
	v_cndmask_b32_e32 v9, v20, v19, vcc_lo
	v_cndmask_b32_e32 v19, 0, v39, vcc_lo
	v_lshl_add_u32 v9, v9, 23, 0x3c000000
	v_lshlrev_b64 v[19:20], v19, v[17:18]
	v_lshlrev_b32_e32 v20, 24, v17
	v_lshlrev_b32_e32 v19, 20, v19
	v_and_b32_e32 v20, 0x80000000, v20
	v_and_b32_e32 v19, 0x700000, v19
	v_or3_b32 v40, v19, v20, v9
.LBB311_428:                            ;   in Loop: Header=BB311_423 Depth=1
	s_or_b32 exec_lo, exec_lo, s26
.LBB311_429:                            ;   in Loop: Header=BB311_423 Depth=1
	s_or_b32 exec_lo, exec_lo, s22
.LBB311_430:                            ;   in Loop: Header=BB311_423 Depth=1
	s_or_b32 exec_lo, exec_lo, s0
	v_cmp_ne_u16_sdwa s22, v17, v10 src0_sel:BYTE_1 src1_sel:DWORD
	s_and_saveexec_b32 s0, s22
	s_cbranch_execz .LBB311_438
; %bb.431:                              ;   in Loop: Header=BB311_423 Depth=1
	v_cmp_ne_u16_sdwa s26, v17, v29 src0_sel:BYTE_1 src1_sel:DWORD
	v_bfrev_b32_e32 v38, 1
	s_and_saveexec_b32 s22, s26
	s_cbranch_execz .LBB311_437
; %bb.432:                              ;   in Loop: Header=BB311_423 Depth=1
	v_and_b32_sdwa v9, v30, v17 dst_sel:DWORD dst_unused:UNUSED_PAD src0_sel:DWORD src1_sel:BYTE_1
	v_mov_b32_e32 v38, 0x7f800001
	s_mov_b32 s26, exec_lo
	v_and_b32_e32 v20, 0x7f, v9
	v_cmpx_ne_u32_e32 0x7f, v20
	s_cbranch_execz .LBB311_436
; %bb.433:                              ;   in Loop: Header=BB311_423 Depth=1
	v_and_b32_e32 v9, 7, v9
	v_lshrrev_b32_e32 v19, 3, v20
	s_mov_b32 s27, exec_lo
	v_cmpx_gt_u32_e32 8, v20
; %bb.434:                              ;   in Loop: Header=BB311_423 Depth=1
	v_ffbh_u32_e32 v19, v9
	v_min_u32_e32 v19, 32, v19
	v_subrev_nc_u32_e32 v20, 28, v19
	v_sub_nc_u32_e32 v19, 29, v19
	v_lshlrev_b64 v[38:39], v20, v[9:10]
	v_and_b32_e32 v9, 7, v38
; %bb.435:                              ;   in Loop: Header=BB311_423 Depth=1
	s_or_b32 exec_lo, exec_lo, s27
	v_lshlrev_b32_e32 v20, 16, v17
	v_lshlrev_b32_e32 v9, 20, v9
	v_lshl_add_u32 v19, v19, 23, 0x3c000000
	v_and_b32_e32 v20, 0x80000000, v20
	v_or3_b32 v38, v9, v20, v19
.LBB311_436:                            ;   in Loop: Header=BB311_423 Depth=1
	s_or_b32 exec_lo, exec_lo, s26
.LBB311_437:                            ;   in Loop: Header=BB311_423 Depth=1
	s_or_b32 exec_lo, exec_lo, s22
.LBB311_438:                            ;   in Loop: Header=BB311_423 Depth=1
	s_or_b32 exec_lo, exec_lo, s0
	v_and_b32_sdwa v9, v17, v31 dst_sel:DWORD dst_unused:UNUSED_PAD src0_sel:WORD_1 src1_sel:DWORD
	v_mov_b32_e32 v41, 0
	v_mov_b32_e32 v39, 0
	s_mov_b32 s0, exec_lo
	v_cmpx_ne_u16_e32 0, v9
	s_cbranch_execz .LBB311_446
; %bb.439:                              ;   in Loop: Header=BB311_423 Depth=1
	v_bfrev_b32_e32 v39, 1
	s_mov_b32 s22, exec_lo
	v_cmpx_ne_u16_e32 0x80, v9
	s_cbranch_execz .LBB311_445
; %bb.440:                              ;   in Loop: Header=BB311_423 Depth=1
	v_bfe_u32 v20, v17, 16, 7
	v_mov_b32_e32 v39, 0x7f800001
	s_mov_b32 s26, exec_lo
	v_cmpx_ne_u32_e32 0x7f, v20
	s_cbranch_execz .LBB311_444
; %bb.441:                              ;   in Loop: Header=BB311_423 Depth=1
	v_and_b32_sdwa v9, v17, v32 dst_sel:DWORD dst_unused:UNUSED_PAD src0_sel:WORD_1 src1_sel:DWORD
	v_lshrrev_b32_e32 v19, 3, v20
	s_mov_b32 s27, exec_lo
	v_cmpx_gt_u32_e32 8, v20
; %bb.442:                              ;   in Loop: Header=BB311_423 Depth=1
	v_ffbh_u32_e32 v19, v9
	v_min_u32_e32 v19, 32, v19
	v_subrev_nc_u32_e32 v20, 28, v19
	v_sub_nc_u32_e32 v19, 29, v19
	v_lshlrev_b64 v[42:43], v20, v[9:10]
	v_and_b32_e32 v9, 7, v42
; %bb.443:                              ;   in Loop: Header=BB311_423 Depth=1
	s_or_b32 exec_lo, exec_lo, s27
	v_lshlrev_b32_sdwa v20, v35, v17 dst_sel:DWORD dst_unused:UNUSED_PAD src0_sel:DWORD src1_sel:WORD_1
	v_lshlrev_b32_e32 v9, 20, v9
	v_lshl_add_u32 v19, v19, 23, 0x3c000000
	v_and_b32_e32 v20, 0x80000000, v20
	v_or3_b32 v39, v9, v20, v19
.LBB311_444:                            ;   in Loop: Header=BB311_423 Depth=1
	s_or_b32 exec_lo, exec_lo, s26
.LBB311_445:                            ;   in Loop: Header=BB311_423 Depth=1
	s_or_b32 exec_lo, exec_lo, s22
.LBB311_446:                            ;   in Loop: Header=BB311_423 Depth=1
	s_or_b32 exec_lo, exec_lo, s0
	s_mov_b32 s0, exec_lo
	v_cmpx_lt_u32_e32 0xffffff, v17
	s_cbranch_execz .LBB311_454
; %bb.447:                              ;   in Loop: Header=BB311_423 Depth=1
	v_cmp_ne_u32_sdwa s26, v17, v29 src0_sel:BYTE_3 src1_sel:DWORD
	v_bfrev_b32_e32 v41, 1
	s_and_saveexec_b32 s22, s26
	s_cbranch_execz .LBB311_453
; %bb.448:                              ;   in Loop: Header=BB311_423 Depth=1
	v_bfe_u32 v20, v17, 24, 7
	v_mov_b32_e32 v41, 0x7f800001
	s_mov_b32 s26, exec_lo
	v_cmpx_ne_u32_e32 0x7f, v20
	s_cbranch_execz .LBB311_452
; %bb.449:                              ;   in Loop: Header=BB311_423 Depth=1
	v_and_b32_sdwa v9, v17, v32 dst_sel:DWORD dst_unused:UNUSED_PAD src0_sel:BYTE_3 src1_sel:DWORD
	v_lshrrev_b32_e32 v19, 3, v20
	s_mov_b32 s27, exec_lo
	v_cmpx_gt_u32_e32 8, v20
; %bb.450:                              ;   in Loop: Header=BB311_423 Depth=1
	v_ffbh_u32_e32 v19, v9
	v_min_u32_e32 v19, 32, v19
	v_subrev_nc_u32_e32 v20, 28, v19
	v_sub_nc_u32_e32 v19, 29, v19
	v_lshlrev_b64 v[41:42], v20, v[9:10]
	v_and_b32_e32 v9, 7, v41
; %bb.451:                              ;   in Loop: Header=BB311_423 Depth=1
	s_or_b32 exec_lo, exec_lo, s27
	v_lshlrev_b32_sdwa v20, v35, v17 dst_sel:DWORD dst_unused:UNUSED_PAD src0_sel:DWORD src1_sel:BYTE_3
	v_lshlrev_b32_e32 v9, 20, v9
	v_lshl_add_u32 v19, v19, 23, 0x3c000000
	v_and_b32_e32 v20, 0x80000000, v20
	v_or3_b32 v41, v9, v20, v19
.LBB311_452:                            ;   in Loop: Header=BB311_423 Depth=1
	s_or_b32 exec_lo, exec_lo, s26
.LBB311_453:                            ;   in Loop: Header=BB311_423 Depth=1
	s_or_b32 exec_lo, exec_lo, s22
.LBB311_454:                            ;   in Loop: Header=BB311_423 Depth=1
	s_or_b32 exec_lo, exec_lo, s0
	v_mov_b32_e32 v9, v18
	v_cmp_ne_u16_sdwa s22, v18, v10 src0_sel:BYTE_0 src1_sel:DWORD
	v_mov_b32_e32 v19, 0
	v_mov_b32_e32 v42, 0
	s_and_saveexec_b32 s0, s22
	s_cbranch_execz .LBB311_460
; %bb.455:                              ;   in Loop: Header=BB311_423 Depth=1
	v_cmp_ne_u16_sdwa s26, v18, v29 src0_sel:BYTE_0 src1_sel:DWORD
	v_bfrev_b32_e32 v42, 1
	s_and_saveexec_b32 s22, s26
	s_cbranch_execz .LBB311_459
; %bb.456:                              ;   in Loop: Header=BB311_423 Depth=1
	v_and_b32_e32 v20, 0x7f, v18
	v_mov_b32_e32 v42, 0x7f800001
	s_mov_b32 s26, exec_lo
	v_cmpx_ne_u32_e32 0x7f, v20
	s_cbranch_execz .LBB311_458
; %bb.457:                              ;   in Loop: Header=BB311_423 Depth=1
	v_and_b32_e32 v42, 7, v18
	v_lshrrev_b32_e32 v43, 3, v20
	v_cmp_gt_u32_e32 vcc_lo, 8, v20
	v_ffbh_u32_e32 v42, v42
	v_min_u32_e32 v42, 32, v42
	v_subrev_nc_u32_e32 v44, 28, v42
	v_sub_nc_u32_e32 v42, 29, v42
	v_cndmask_b32_e32 v20, v43, v42, vcc_lo
	v_cndmask_b32_e32 v42, 0, v44, vcc_lo
	v_lshl_add_u32 v20, v20, 23, 0x3c000000
	v_lshlrev_b64 v[42:43], v42, v[9:10]
	v_lshlrev_b32_e32 v43, 24, v9
	v_lshlrev_b32_e32 v42, 20, v42
	v_and_b32_e32 v43, 0x80000000, v43
	v_and_b32_e32 v42, 0x700000, v42
	v_or3_b32 v42, v42, v43, v20
.LBB311_458:                            ;   in Loop: Header=BB311_423 Depth=1
	s_or_b32 exec_lo, exec_lo, s26
.LBB311_459:                            ;   in Loop: Header=BB311_423 Depth=1
	s_or_b32 exec_lo, exec_lo, s22
.LBB311_460:                            ;   in Loop: Header=BB311_423 Depth=1
	s_or_b32 exec_lo, exec_lo, s0
	v_cmp_ne_u16_sdwa s22, v9, v10 src0_sel:BYTE_1 src1_sel:DWORD
	s_and_saveexec_b32 s0, s22
	s_cbranch_execz .LBB311_468
; %bb.461:                              ;   in Loop: Header=BB311_423 Depth=1
	v_cmp_ne_u16_sdwa s26, v9, v29 src0_sel:BYTE_1 src1_sel:DWORD
	v_bfrev_b32_e32 v19, 1
	s_and_saveexec_b32 s22, s26
	s_cbranch_execz .LBB311_467
; %bb.462:                              ;   in Loop: Header=BB311_423 Depth=1
	v_and_b32_sdwa v20, v30, v9 dst_sel:DWORD dst_unused:UNUSED_PAD src0_sel:DWORD src1_sel:BYTE_1
	v_mov_b32_e32 v19, 0x7f800001
	s_mov_b32 s26, exec_lo
	v_and_b32_e32 v44, 0x7f, v20
	v_cmpx_ne_u32_e32 0x7f, v44
	s_cbranch_execz .LBB311_466
; %bb.463:                              ;   in Loop: Header=BB311_423 Depth=1
	v_and_b32_e32 v19, 7, v20
	v_mov_b32_e32 v20, v10
	v_lshrrev_b32_e32 v43, 3, v44
	s_mov_b32 s27, exec_lo
	v_cmpx_gt_u32_e32 8, v44
; %bb.464:                              ;   in Loop: Header=BB311_423 Depth=1
	v_ffbh_u32_e32 v43, v19
	v_min_u32_e32 v43, 32, v43
	v_subrev_nc_u32_e32 v44, 28, v43
	v_sub_nc_u32_e32 v43, 29, v43
	v_lshlrev_b64 v[19:20], v44, v[19:20]
	v_and_b32_e32 v19, 7, v19
; %bb.465:                              ;   in Loop: Header=BB311_423 Depth=1
	s_or_b32 exec_lo, exec_lo, s27
	v_lshlrev_b32_e32 v9, 16, v9
	v_lshlrev_b32_e32 v19, 20, v19
	v_lshl_add_u32 v20, v43, 23, 0x3c000000
	v_and_b32_e32 v9, 0x80000000, v9
	v_or3_b32 v19, v19, v9, v20
.LBB311_466:                            ;   in Loop: Header=BB311_423 Depth=1
	s_or_b32 exec_lo, exec_lo, s26
.LBB311_467:                            ;   in Loop: Header=BB311_423 Depth=1
	s_or_b32 exec_lo, exec_lo, s22
.LBB311_468:                            ;   in Loop: Header=BB311_423 Depth=1
	s_or_b32 exec_lo, exec_lo, s0
	v_and_b32_sdwa v9, v18, v31 dst_sel:DWORD dst_unused:UNUSED_PAD src0_sel:WORD_1 src1_sel:DWORD
	v_mov_b32_e32 v20, 0
	v_mov_b32_e32 v43, 0
	s_mov_b32 s0, exec_lo
	v_cmpx_ne_u16_e32 0, v9
	s_cbranch_execz .LBB311_476
; %bb.469:                              ;   in Loop: Header=BB311_423 Depth=1
	v_bfrev_b32_e32 v43, 1
	s_mov_b32 s22, exec_lo
	v_cmpx_ne_u16_e32 0x80, v9
	s_cbranch_execz .LBB311_475
; %bb.470:                              ;   in Loop: Header=BB311_423 Depth=1
	v_bfe_u32 v44, v18, 16, 7
	v_mov_b32_e32 v43, 0x7f800001
	s_mov_b32 s26, exec_lo
	v_cmpx_ne_u32_e32 0x7f, v44
	s_cbranch_execz .LBB311_474
; %bb.471:                              ;   in Loop: Header=BB311_423 Depth=1
	v_and_b32_sdwa v9, v18, v32 dst_sel:DWORD dst_unused:UNUSED_PAD src0_sel:WORD_1 src1_sel:DWORD
	v_lshrrev_b32_e32 v43, 3, v44
	s_mov_b32 s27, exec_lo
	v_cmpx_gt_u32_e32 8, v44
; %bb.472:                              ;   in Loop: Header=BB311_423 Depth=1
	v_ffbh_u32_e32 v43, v9
	v_min_u32_e32 v43, 32, v43
	v_subrev_nc_u32_e32 v44, 28, v43
	v_sub_nc_u32_e32 v43, 29, v43
	v_lshlrev_b64 v[44:45], v44, v[9:10]
	v_and_b32_e32 v9, 7, v44
; %bb.473:                              ;   in Loop: Header=BB311_423 Depth=1
	s_or_b32 exec_lo, exec_lo, s27
	v_lshlrev_b32_sdwa v44, v35, v18 dst_sel:DWORD dst_unused:UNUSED_PAD src0_sel:DWORD src1_sel:WORD_1
	v_lshlrev_b32_e32 v9, 20, v9
	v_lshl_add_u32 v43, v43, 23, 0x3c000000
	v_and_b32_e32 v44, 0x80000000, v44
	v_or3_b32 v43, v9, v44, v43
.LBB311_474:                            ;   in Loop: Header=BB311_423 Depth=1
	s_or_b32 exec_lo, exec_lo, s26
.LBB311_475:                            ;   in Loop: Header=BB311_423 Depth=1
	s_or_b32 exec_lo, exec_lo, s22
.LBB311_476:                            ;   in Loop: Header=BB311_423 Depth=1
	s_or_b32 exec_lo, exec_lo, s0
	s_mov_b32 s0, exec_lo
	v_cmpx_lt_u64_e64 s[2:3], v[17:18]
	s_cbranch_execz .LBB311_484
; %bb.477:                              ;   in Loop: Header=BB311_423 Depth=1
	v_cmp_ne_u32_sdwa s26, v18, v29 src0_sel:BYTE_3 src1_sel:DWORD
	v_bfrev_b32_e32 v20, 1
	s_and_saveexec_b32 s22, s26
	s_cbranch_execz .LBB311_483
; %bb.478:                              ;   in Loop: Header=BB311_423 Depth=1
	v_bfe_u32 v44, v18, 24, 7
	v_mov_b32_e32 v20, 0x7f800001
	s_mov_b32 s26, exec_lo
	v_cmpx_ne_u32_e32 0x7f, v44
	s_cbranch_execz .LBB311_482
; %bb.479:                              ;   in Loop: Header=BB311_423 Depth=1
	v_and_b32_sdwa v9, v18, v32 dst_sel:DWORD dst_unused:UNUSED_PAD src0_sel:BYTE_3 src1_sel:DWORD
	v_lshrrev_b32_e32 v17, 3, v44
	s_mov_b32 s27, exec_lo
	v_cmpx_gt_u32_e32 8, v44
; %bb.480:                              ;   in Loop: Header=BB311_423 Depth=1
	v_ffbh_u32_e32 v17, v9
	v_min_u32_e32 v17, 32, v17
	v_subrev_nc_u32_e32 v20, 28, v17
	v_sub_nc_u32_e32 v17, 29, v17
	v_lshlrev_b64 v[44:45], v20, v[9:10]
	v_and_b32_e32 v9, 7, v44
; %bb.481:                              ;   in Loop: Header=BB311_423 Depth=1
	s_or_b32 exec_lo, exec_lo, s27
	v_lshlrev_b32_sdwa v18, v35, v18 dst_sel:DWORD dst_unused:UNUSED_PAD src0_sel:DWORD src1_sel:BYTE_3
	v_lshlrev_b32_e32 v9, 20, v9
	v_lshl_add_u32 v17, v17, 23, 0x3c000000
	v_and_b32_e32 v18, 0x80000000, v18
	v_or3_b32 v20, v9, v18, v17
.LBB311_482:                            ;   in Loop: Header=BB311_423 Depth=1
	s_or_b32 exec_lo, exec_lo, s26
.LBB311_483:                            ;   in Loop: Header=BB311_423 Depth=1
	s_or_b32 exec_lo, exec_lo, s22
.LBB311_484:                            ;   in Loop: Header=BB311_423 Depth=1
	s_or_b32 exec_lo, exec_lo, s0
	s_waitcnt lgkmcnt(0)
	v_mul_f32_e32 v9, s21, v19
	v_mul_f32_e32 v17, s21, v42
	;; [unrolled: 1-line block ×5, first 2 shown]
	v_bfe_u32 v19, v9, 16, 1
	v_or_b32_e32 v39, 0x400000, v9
	v_bfe_u32 v41, v17, 16, 1
	v_cmp_u_f32_e64 s0, v9, v9
	v_or_b32_e32 v44, 0x400000, v17
	v_add3_u32 v19, v19, v9, 0x7fff
	v_bfe_u32 v45, v18, 16, 1
	v_add3_u32 v41, v41, v17, 0x7fff
	v_or_b32_e32 v46, 0x400000, v18
	v_cmp_eq_u32_e32 vcc_lo, s13, v37
	v_cndmask_b32_e64 v9, v19, v39, s0
	v_cmp_u_f32_e64 s0, v17, v17
	v_bfe_u32 v19, v42, 16, 1
	v_add3_u32 v45, v45, v18, 0x7fff
	v_add_nc_u32_e32 v52, 1, v34
	v_lshrrev_b32_e32 v39, 16, v9
	v_cndmask_b32_e64 v17, v41, v44, s0
	v_cmp_u_f32_e64 s0, v18, v18
	v_mul_f32_e32 v18, s21, v38
	v_add3_u32 v19, v19, v42, 0x7fff
	v_or_b32_e32 v44, 0x400000, v42
	v_lshrrev_b32_e32 v38, 16, v17
	v_cndmask_b32_e64 v9, v45, v46, s0
	v_cmp_u_f32_e64 s0, v42, v42
	v_or_b32_e32 v42, 0x400000, v18
	v_or_b32_e32 v46, 0x400000, v20
	v_add_nc_u32_e32 v51, 2, v34
	v_lshrrev_b32_e32 v41, 16, v9
	v_bfe_u32 v9, v18, 16, 1
	v_cndmask_b32_e64 v17, v19, v44, s0
	v_mul_f32_e32 v19, s21, v40
	v_mul_f32_e32 v40, s21, v43
	v_cmp_u_f32_e64 s0, v18, v18
	v_add3_u32 v9, v9, v18, 0x7fff
	v_bfe_u32 v18, v20, 16, 1
	v_bfe_u32 v43, v19, 16, 1
	;; [unrolled: 1-line block ×3, first 2 shown]
	v_or_b32_e32 v45, 0x400000, v40
	v_cndmask_b32_e64 v9, v9, v42, s0
	v_cmp_u_f32_e64 s0, v19, v19
	v_add3_u32 v42, v43, v19, 0x7fff
	v_or_b32_e32 v43, 0x400000, v19
	v_add3_u32 v44, v44, v40, 0x7fff
	v_add3_u32 v18, v18, v20, 0x7fff
	v_add_nc_u32_e32 v50, 3, v34
	v_add_nc_u32_e32 v49, 4, v34
	v_cndmask_b32_e64 v19, v42, v43, s0
	v_cmp_u_f32_e64 s0, v40, v40
	v_lshrrev_b32_e32 v43, 16, v17
	v_add_nc_u32_e32 v48, 5, v34
	v_add_nc_u32_e32 v47, 6, v34
	v_cndmask_b32_e64 v40, v44, v45, s0
	v_cmp_u_f32_e64 s0, v20, v20
	v_lshrrev_b32_e32 v45, 16, v9
	v_lshrrev_b32_e32 v44, 16, v19
	;; [unrolled: 1-line block ×3, first 2 shown]
	v_cndmask_b32_e64 v18, v18, v46, s0
	v_add_nc_u32_e32 v46, 7, v34
	v_lshrrev_b32_e32 v42, 16, v18
	s_and_saveexec_b32 s22, vcc_lo
	s_cbranch_execz .LBB311_486
; %bb.485:                              ;   in Loop: Header=BB311_423 Depth=1
	v_cmp_gt_i32_e64 s0, s33, v34
	v_cndmask_b32_e64 v44, 0, v44, s0
	v_cmp_gt_i32_e64 s0, s33, v52
	v_cndmask_b32_e64 v45, 0, v45, s0
	;; [unrolled: 2-line block ×8, first 2 shown]
.LBB311_486:                            ;   in Loop: Header=BB311_423 Depth=1
	s_or_b32 exec_lo, exec_lo, s22
	global_load_dwordx2 v[17:18], v[15:16], off offset:256
	v_mov_b32_e32 v54, 0
	v_mov_b32_e32 v55, 0
	s_waitcnt vmcnt(0)
	v_cmp_ne_u16_sdwa s0, v17, v10 src0_sel:BYTE_0 src1_sel:DWORD
	s_and_saveexec_b32 s22, s0
	s_cbranch_execz .LBB311_492
; %bb.487:                              ;   in Loop: Header=BB311_423 Depth=1
	v_cmp_ne_u16_sdwa s0, v17, v29 src0_sel:BYTE_0 src1_sel:DWORD
	v_bfrev_b32_e32 v55, 1
	s_and_saveexec_b32 s26, s0
	s_cbranch_execz .LBB311_491
; %bb.488:                              ;   in Loop: Header=BB311_423 Depth=1
	v_and_b32_e32 v9, 0x7f, v17
	v_mov_b32_e32 v55, 0x7f800001
	s_mov_b32 s27, exec_lo
	v_cmpx_ne_u32_e32 0x7f, v9
	s_cbranch_execz .LBB311_490
; %bb.489:                              ;   in Loop: Header=BB311_423 Depth=1
	v_and_b32_e32 v19, 7, v17
	v_lshrrev_b32_e32 v20, 3, v9
	v_cmp_gt_u32_e64 s0, 8, v9
	v_ffbh_u32_e32 v19, v19
	v_min_u32_e32 v19, 32, v19
	v_subrev_nc_u32_e32 v53, 28, v19
	v_sub_nc_u32_e32 v19, 29, v19
	v_cndmask_b32_e64 v9, v20, v19, s0
	v_cndmask_b32_e64 v19, 0, v53, s0
	v_lshl_add_u32 v9, v9, 23, 0x3c000000
	v_lshlrev_b64 v[19:20], v19, v[17:18]
	v_lshlrev_b32_e32 v20, 24, v17
	v_lshlrev_b32_e32 v19, 20, v19
	v_and_b32_e32 v20, 0x80000000, v20
	v_and_b32_e32 v19, 0x700000, v19
	v_or3_b32 v55, v19, v20, v9
.LBB311_490:                            ;   in Loop: Header=BB311_423 Depth=1
	s_or_b32 exec_lo, exec_lo, s27
.LBB311_491:                            ;   in Loop: Header=BB311_423 Depth=1
	s_or_b32 exec_lo, exec_lo, s26
.LBB311_492:                            ;   in Loop: Header=BB311_423 Depth=1
	s_or_b32 exec_lo, exec_lo, s22
	v_cmp_ne_u16_sdwa s0, v17, v10 src0_sel:BYTE_1 src1_sel:DWORD
	s_and_saveexec_b32 s22, s0
	s_cbranch_execz .LBB311_500
; %bb.493:                              ;   in Loop: Header=BB311_423 Depth=1
	v_cmp_ne_u16_sdwa s0, v17, v29 src0_sel:BYTE_1 src1_sel:DWORD
	v_bfrev_b32_e32 v54, 1
	s_and_saveexec_b32 s26, s0
	s_cbranch_execz .LBB311_499
; %bb.494:                              ;   in Loop: Header=BB311_423 Depth=1
	v_and_b32_sdwa v9, v30, v17 dst_sel:DWORD dst_unused:UNUSED_PAD src0_sel:DWORD src1_sel:BYTE_1
	v_mov_b32_e32 v54, 0x7f800001
	s_mov_b32 s27, exec_lo
	v_and_b32_e32 v20, 0x7f, v9
	v_cmpx_ne_u32_e32 0x7f, v20
	s_cbranch_execz .LBB311_498
; %bb.495:                              ;   in Loop: Header=BB311_423 Depth=1
	v_and_b32_e32 v9, 7, v9
	v_lshrrev_b32_e32 v19, 3, v20
	s_mov_b32 s28, exec_lo
	v_cmpx_gt_u32_e32 8, v20
; %bb.496:                              ;   in Loop: Header=BB311_423 Depth=1
	v_ffbh_u32_e32 v19, v9
	v_min_u32_e32 v19, 32, v19
	v_subrev_nc_u32_e32 v20, 28, v19
	v_sub_nc_u32_e32 v19, 29, v19
	v_lshlrev_b64 v[53:54], v20, v[9:10]
	v_and_b32_e32 v9, 7, v53
; %bb.497:                              ;   in Loop: Header=BB311_423 Depth=1
	s_or_b32 exec_lo, exec_lo, s28
	v_lshlrev_b32_e32 v20, 16, v17
	v_lshlrev_b32_e32 v9, 20, v9
	v_lshl_add_u32 v19, v19, 23, 0x3c000000
	v_and_b32_e32 v20, 0x80000000, v20
	v_or3_b32 v54, v9, v20, v19
.LBB311_498:                            ;   in Loop: Header=BB311_423 Depth=1
	s_or_b32 exec_lo, exec_lo, s27
.LBB311_499:                            ;   in Loop: Header=BB311_423 Depth=1
	s_or_b32 exec_lo, exec_lo, s26
.LBB311_500:                            ;   in Loop: Header=BB311_423 Depth=1
	s_or_b32 exec_lo, exec_lo, s22
	v_and_b32_sdwa v9, v17, v31 dst_sel:DWORD dst_unused:UNUSED_PAD src0_sel:WORD_1 src1_sel:DWORD
	v_mov_b32_e32 v56, 0
	v_mov_b32_e32 v53, 0
	s_mov_b32 s22, exec_lo
	v_cmpx_ne_u16_e32 0, v9
	s_cbranch_execz .LBB311_508
; %bb.501:                              ;   in Loop: Header=BB311_423 Depth=1
	v_bfrev_b32_e32 v53, 1
	s_mov_b32 s26, exec_lo
	v_cmpx_ne_u16_e32 0x80, v9
	s_cbranch_execz .LBB311_507
; %bb.502:                              ;   in Loop: Header=BB311_423 Depth=1
	v_bfe_u32 v20, v17, 16, 7
	v_mov_b32_e32 v53, 0x7f800001
	s_mov_b32 s27, exec_lo
	v_cmpx_ne_u32_e32 0x7f, v20
	s_cbranch_execz .LBB311_506
; %bb.503:                              ;   in Loop: Header=BB311_423 Depth=1
	v_and_b32_sdwa v9, v17, v32 dst_sel:DWORD dst_unused:UNUSED_PAD src0_sel:WORD_1 src1_sel:DWORD
	v_lshrrev_b32_e32 v19, 3, v20
	s_mov_b32 s28, exec_lo
	v_cmpx_gt_u32_e32 8, v20
; %bb.504:                              ;   in Loop: Header=BB311_423 Depth=1
	v_ffbh_u32_e32 v19, v9
	v_min_u32_e32 v19, 32, v19
	v_subrev_nc_u32_e32 v20, 28, v19
	v_sub_nc_u32_e32 v19, 29, v19
	v_lshlrev_b64 v[57:58], v20, v[9:10]
	v_and_b32_e32 v9, 7, v57
; %bb.505:                              ;   in Loop: Header=BB311_423 Depth=1
	s_or_b32 exec_lo, exec_lo, s28
	v_lshlrev_b32_sdwa v20, v35, v17 dst_sel:DWORD dst_unused:UNUSED_PAD src0_sel:DWORD src1_sel:WORD_1
	v_lshlrev_b32_e32 v9, 20, v9
	v_lshl_add_u32 v19, v19, 23, 0x3c000000
	v_and_b32_e32 v20, 0x80000000, v20
	v_or3_b32 v53, v9, v20, v19
.LBB311_506:                            ;   in Loop: Header=BB311_423 Depth=1
	s_or_b32 exec_lo, exec_lo, s27
.LBB311_507:                            ;   in Loop: Header=BB311_423 Depth=1
	s_or_b32 exec_lo, exec_lo, s26
.LBB311_508:                            ;   in Loop: Header=BB311_423 Depth=1
	s_or_b32 exec_lo, exec_lo, s22
	s_mov_b32 s22, exec_lo
	v_cmpx_lt_u32_e32 0xffffff, v17
	s_cbranch_execz .LBB311_516
; %bb.509:                              ;   in Loop: Header=BB311_423 Depth=1
	v_cmp_ne_u32_sdwa s0, v17, v29 src0_sel:BYTE_3 src1_sel:DWORD
	v_bfrev_b32_e32 v56, 1
	s_and_saveexec_b32 s26, s0
	s_cbranch_execz .LBB311_515
; %bb.510:                              ;   in Loop: Header=BB311_423 Depth=1
	v_bfe_u32 v20, v17, 24, 7
	v_mov_b32_e32 v56, 0x7f800001
	s_mov_b32 s27, exec_lo
	v_cmpx_ne_u32_e32 0x7f, v20
	s_cbranch_execz .LBB311_514
; %bb.511:                              ;   in Loop: Header=BB311_423 Depth=1
	v_and_b32_sdwa v9, v17, v32 dst_sel:DWORD dst_unused:UNUSED_PAD src0_sel:BYTE_3 src1_sel:DWORD
	v_lshrrev_b32_e32 v19, 3, v20
	s_mov_b32 s28, exec_lo
	v_cmpx_gt_u32_e32 8, v20
; %bb.512:                              ;   in Loop: Header=BB311_423 Depth=1
	v_ffbh_u32_e32 v19, v9
	v_min_u32_e32 v19, 32, v19
	v_subrev_nc_u32_e32 v20, 28, v19
	v_sub_nc_u32_e32 v19, 29, v19
	v_lshlrev_b64 v[56:57], v20, v[9:10]
	v_and_b32_e32 v9, 7, v56
; %bb.513:                              ;   in Loop: Header=BB311_423 Depth=1
	s_or_b32 exec_lo, exec_lo, s28
	v_lshlrev_b32_sdwa v20, v35, v17 dst_sel:DWORD dst_unused:UNUSED_PAD src0_sel:DWORD src1_sel:BYTE_3
	v_lshlrev_b32_e32 v9, 20, v9
	v_lshl_add_u32 v19, v19, 23, 0x3c000000
	v_and_b32_e32 v20, 0x80000000, v20
	v_or3_b32 v56, v9, v20, v19
.LBB311_514:                            ;   in Loop: Header=BB311_423 Depth=1
	s_or_b32 exec_lo, exec_lo, s27
.LBB311_515:                            ;   in Loop: Header=BB311_423 Depth=1
	s_or_b32 exec_lo, exec_lo, s26
.LBB311_516:                            ;   in Loop: Header=BB311_423 Depth=1
	s_or_b32 exec_lo, exec_lo, s22
	v_mov_b32_e32 v9, v18
	v_cmp_ne_u16_sdwa s0, v18, v10 src0_sel:BYTE_0 src1_sel:DWORD
	v_mov_b32_e32 v19, 0
	v_mov_b32_e32 v57, 0
	s_and_saveexec_b32 s22, s0
	s_cbranch_execz .LBB311_522
; %bb.517:                              ;   in Loop: Header=BB311_423 Depth=1
	v_cmp_ne_u16_sdwa s0, v18, v29 src0_sel:BYTE_0 src1_sel:DWORD
	v_bfrev_b32_e32 v57, 1
	s_and_saveexec_b32 s26, s0
	s_cbranch_execz .LBB311_521
; %bb.518:                              ;   in Loop: Header=BB311_423 Depth=1
	v_and_b32_e32 v20, 0x7f, v18
	v_mov_b32_e32 v57, 0x7f800001
	s_mov_b32 s27, exec_lo
	v_cmpx_ne_u32_e32 0x7f, v20
	s_cbranch_execz .LBB311_520
; %bb.519:                              ;   in Loop: Header=BB311_423 Depth=1
	v_and_b32_e32 v57, 7, v18
	v_lshrrev_b32_e32 v58, 3, v20
	v_cmp_gt_u32_e64 s0, 8, v20
	v_ffbh_u32_e32 v57, v57
	v_min_u32_e32 v57, 32, v57
	v_subrev_nc_u32_e32 v59, 28, v57
	v_sub_nc_u32_e32 v57, 29, v57
	v_cndmask_b32_e64 v20, v58, v57, s0
	v_cndmask_b32_e64 v57, 0, v59, s0
	v_lshl_add_u32 v20, v20, 23, 0x3c000000
	v_lshlrev_b64 v[57:58], v57, v[9:10]
	v_lshlrev_b32_e32 v58, 24, v9
	v_lshlrev_b32_e32 v57, 20, v57
	v_and_b32_e32 v58, 0x80000000, v58
	v_and_b32_e32 v57, 0x700000, v57
	v_or3_b32 v57, v57, v58, v20
.LBB311_520:                            ;   in Loop: Header=BB311_423 Depth=1
	s_or_b32 exec_lo, exec_lo, s27
.LBB311_521:                            ;   in Loop: Header=BB311_423 Depth=1
	s_or_b32 exec_lo, exec_lo, s26
.LBB311_522:                            ;   in Loop: Header=BB311_423 Depth=1
	s_or_b32 exec_lo, exec_lo, s22
	v_cmp_ne_u16_sdwa s0, v9, v10 src0_sel:BYTE_1 src1_sel:DWORD
	s_and_saveexec_b32 s22, s0
	s_cbranch_execz .LBB311_530
; %bb.523:                              ;   in Loop: Header=BB311_423 Depth=1
	v_cmp_ne_u16_sdwa s0, v9, v29 src0_sel:BYTE_1 src1_sel:DWORD
	v_bfrev_b32_e32 v19, 1
	s_and_saveexec_b32 s26, s0
	s_cbranch_execz .LBB311_529
; %bb.524:                              ;   in Loop: Header=BB311_423 Depth=1
	v_and_b32_sdwa v20, v30, v9 dst_sel:DWORD dst_unused:UNUSED_PAD src0_sel:DWORD src1_sel:BYTE_1
	v_mov_b32_e32 v19, 0x7f800001
	s_mov_b32 s27, exec_lo
	v_and_b32_e32 v59, 0x7f, v20
	v_cmpx_ne_u32_e32 0x7f, v59
	s_cbranch_execz .LBB311_528
; %bb.525:                              ;   in Loop: Header=BB311_423 Depth=1
	v_and_b32_e32 v19, 7, v20
	v_mov_b32_e32 v20, v10
	v_lshrrev_b32_e32 v58, 3, v59
	s_mov_b32 s28, exec_lo
	v_cmpx_gt_u32_e32 8, v59
; %bb.526:                              ;   in Loop: Header=BB311_423 Depth=1
	v_ffbh_u32_e32 v58, v19
	v_min_u32_e32 v58, 32, v58
	v_subrev_nc_u32_e32 v59, 28, v58
	v_sub_nc_u32_e32 v58, 29, v58
	v_lshlrev_b64 v[19:20], v59, v[19:20]
	v_and_b32_e32 v19, 7, v19
; %bb.527:                              ;   in Loop: Header=BB311_423 Depth=1
	s_or_b32 exec_lo, exec_lo, s28
	v_lshlrev_b32_e32 v9, 16, v9
	v_lshlrev_b32_e32 v19, 20, v19
	v_lshl_add_u32 v20, v58, 23, 0x3c000000
	v_and_b32_e32 v9, 0x80000000, v9
	v_or3_b32 v19, v19, v9, v20
.LBB311_528:                            ;   in Loop: Header=BB311_423 Depth=1
	s_or_b32 exec_lo, exec_lo, s27
.LBB311_529:                            ;   in Loop: Header=BB311_423 Depth=1
	s_or_b32 exec_lo, exec_lo, s26
.LBB311_530:                            ;   in Loop: Header=BB311_423 Depth=1
	s_or_b32 exec_lo, exec_lo, s22
	v_and_b32_sdwa v9, v18, v31 dst_sel:DWORD dst_unused:UNUSED_PAD src0_sel:WORD_1 src1_sel:DWORD
	v_mov_b32_e32 v20, 0
	v_mov_b32_e32 v58, 0
	s_mov_b32 s22, exec_lo
	v_cmpx_ne_u16_e32 0, v9
	s_cbranch_execz .LBB311_538
; %bb.531:                              ;   in Loop: Header=BB311_423 Depth=1
	v_bfrev_b32_e32 v58, 1
	s_mov_b32 s26, exec_lo
	v_cmpx_ne_u16_e32 0x80, v9
	s_cbranch_execz .LBB311_537
; %bb.532:                              ;   in Loop: Header=BB311_423 Depth=1
	v_bfe_u32 v59, v18, 16, 7
	v_mov_b32_e32 v58, 0x7f800001
	s_mov_b32 s27, exec_lo
	v_cmpx_ne_u32_e32 0x7f, v59
	s_cbranch_execz .LBB311_536
; %bb.533:                              ;   in Loop: Header=BB311_423 Depth=1
	v_and_b32_sdwa v9, v18, v32 dst_sel:DWORD dst_unused:UNUSED_PAD src0_sel:WORD_1 src1_sel:DWORD
	v_lshrrev_b32_e32 v58, 3, v59
	s_mov_b32 s28, exec_lo
	v_cmpx_gt_u32_e32 8, v59
; %bb.534:                              ;   in Loop: Header=BB311_423 Depth=1
	v_ffbh_u32_e32 v58, v9
	v_min_u32_e32 v58, 32, v58
	v_subrev_nc_u32_e32 v59, 28, v58
	v_sub_nc_u32_e32 v58, 29, v58
	v_lshlrev_b64 v[59:60], v59, v[9:10]
	v_and_b32_e32 v9, 7, v59
; %bb.535:                              ;   in Loop: Header=BB311_423 Depth=1
	s_or_b32 exec_lo, exec_lo, s28
	v_lshlrev_b32_sdwa v59, v35, v18 dst_sel:DWORD dst_unused:UNUSED_PAD src0_sel:DWORD src1_sel:WORD_1
	v_lshlrev_b32_e32 v9, 20, v9
	v_lshl_add_u32 v58, v58, 23, 0x3c000000
	v_and_b32_e32 v59, 0x80000000, v59
	v_or3_b32 v58, v9, v59, v58
.LBB311_536:                            ;   in Loop: Header=BB311_423 Depth=1
	s_or_b32 exec_lo, exec_lo, s27
.LBB311_537:                            ;   in Loop: Header=BB311_423 Depth=1
	s_or_b32 exec_lo, exec_lo, s26
.LBB311_538:                            ;   in Loop: Header=BB311_423 Depth=1
	s_or_b32 exec_lo, exec_lo, s22
	s_mov_b32 s22, exec_lo
	v_cmpx_lt_u64_e64 s[2:3], v[17:18]
	s_cbranch_execz .LBB311_546
; %bb.539:                              ;   in Loop: Header=BB311_423 Depth=1
	v_cmp_ne_u32_sdwa s0, v18, v29 src0_sel:BYTE_3 src1_sel:DWORD
	v_bfrev_b32_e32 v20, 1
	s_and_saveexec_b32 s26, s0
	s_cbranch_execz .LBB311_545
; %bb.540:                              ;   in Loop: Header=BB311_423 Depth=1
	v_bfe_u32 v59, v18, 24, 7
	v_mov_b32_e32 v20, 0x7f800001
	s_mov_b32 s27, exec_lo
	v_cmpx_ne_u32_e32 0x7f, v59
	s_cbranch_execz .LBB311_544
; %bb.541:                              ;   in Loop: Header=BB311_423 Depth=1
	v_and_b32_sdwa v9, v18, v32 dst_sel:DWORD dst_unused:UNUSED_PAD src0_sel:BYTE_3 src1_sel:DWORD
	v_lshrrev_b32_e32 v17, 3, v59
	s_mov_b32 s28, exec_lo
	v_cmpx_gt_u32_e32 8, v59
; %bb.542:                              ;   in Loop: Header=BB311_423 Depth=1
	v_ffbh_u32_e32 v17, v9
	v_min_u32_e32 v17, 32, v17
	v_subrev_nc_u32_e32 v20, 28, v17
	v_sub_nc_u32_e32 v17, 29, v17
	v_lshlrev_b64 v[59:60], v20, v[9:10]
	v_and_b32_e32 v9, 7, v59
; %bb.543:                              ;   in Loop: Header=BB311_423 Depth=1
	s_or_b32 exec_lo, exec_lo, s28
	v_lshlrev_b32_sdwa v18, v35, v18 dst_sel:DWORD dst_unused:UNUSED_PAD src0_sel:DWORD src1_sel:BYTE_3
	v_lshlrev_b32_e32 v9, 20, v9
	v_lshl_add_u32 v17, v17, 23, 0x3c000000
	v_and_b32_e32 v18, 0x80000000, v18
	v_or3_b32 v20, v9, v18, v17
.LBB311_544:                            ;   in Loop: Header=BB311_423 Depth=1
	s_or_b32 exec_lo, exec_lo, s27
.LBB311_545:                            ;   in Loop: Header=BB311_423 Depth=1
	s_or_b32 exec_lo, exec_lo, s26
.LBB311_546:                            ;   in Loop: Header=BB311_423 Depth=1
	s_or_b32 exec_lo, exec_lo, s22
	v_mul_f32_e32 v9, s21, v19
	v_mul_f32_e32 v17, s21, v57
	;; [unrolled: 1-line block ×5, first 2 shown]
	v_bfe_u32 v53, v9, 16, 1
	v_or_b32_e32 v56, 0x400000, v9
	v_bfe_u32 v57, v17, 16, 1
	v_cmp_u_f32_e64 s0, v9, v9
	v_or_b32_e32 v59, 0x400000, v17
	v_add3_u32 v53, v53, v9, 0x7fff
	v_bfe_u32 v60, v18, 16, 1
	v_add3_u32 v57, v57, v17, 0x7fff
	v_or_b32_e32 v61, 0x400000, v18
	v_bfe_u32 v62, v19, 16, 1
	v_cndmask_b32_e64 v9, v53, v56, s0
	v_cmp_u_f32_e64 s0, v17, v17
	v_add3_u32 v60, v60, v18, 0x7fff
	v_lshrrev_b32_e32 v53, 16, v9
	v_cndmask_b32_e64 v17, v57, v59, s0
	v_cmp_u_f32_e64 s0, v18, v18
	v_mul_f32_e32 v9, s21, v54
	v_add3_u32 v57, v62, v19, 0x7fff
	v_or_b32_e32 v59, 0x400000, v19
	v_lshrrev_b32_e32 v54, 16, v17
	v_cndmask_b32_e64 v18, v60, v61, s0
	v_bfe_u32 v17, v9, 16, 1
	v_cmp_u_f32_e64 s0, v19, v19
	v_mul_f32_e32 v19, s21, v55
	v_mul_f32_e32 v55, s21, v58
	v_lshrrev_b32_e32 v56, 16, v18
	v_add3_u32 v17, v17, v9, 0x7fff
	v_cndmask_b32_e64 v18, v57, v59, s0
	v_or_b32_e32 v57, 0x400000, v9
	v_bfe_u32 v58, v19, 16, 1
	v_cmp_u_f32_e64 s0, v9, v9
	v_bfe_u32 v59, v55, 16, 1
	v_or_b32_e32 v60, 0x400000, v55
	v_or_b32_e32 v61, 0x400000, v20
	v_cndmask_b32_e64 v9, v17, v57, s0
	v_add3_u32 v57, v58, v19, 0x7fff
	v_or_b32_e32 v58, 0x400000, v19
	v_cmp_u_f32_e64 s0, v19, v19
	v_bfe_u32 v17, v20, 16, 1
	v_add3_u32 v59, v59, v55, 0x7fff
	v_cndmask_b32_e64 v19, v57, v58, s0
	v_cmp_u_f32_e64 s0, v55, v55
	v_add3_u32 v17, v17, v20, 0x7fff
	v_lshrrev_b32_e32 v58, 16, v18
	v_cndmask_b32_e64 v55, v59, v60, s0
	v_cmp_u_f32_e64 s0, v20, v20
	v_lshrrev_b32_e32 v60, 16, v9
	v_lshrrev_b32_e32 v59, 16, v19
	v_lshrrev_b32_e32 v55, 16, v55
	v_cndmask_b32_e64 v17, v17, v61, s0
	v_lshrrev_b32_e32 v57, 16, v17
	s_and_saveexec_b32 s22, vcc_lo
	s_cbranch_execz .LBB311_548
; %bb.547:                              ;   in Loop: Header=BB311_423 Depth=1
	v_cmp_gt_i32_e64 s0, s33, v34
	v_cndmask_b32_e64 v59, 0, v59, s0
	v_cmp_gt_i32_e64 s0, s33, v52
	v_cndmask_b32_e64 v60, 0, v60, s0
	;; [unrolled: 2-line block ×8, first 2 shown]
.LBB311_548:                            ;   in Loop: Header=BB311_423 Depth=1
	s_or_b32 exec_lo, exec_lo, s22
	global_load_dwordx2 v[17:18], v[15:16], off offset:512
	v_mov_b32_e32 v62, 0
	v_mov_b32_e32 v63, 0
	s_waitcnt vmcnt(0)
	v_cmp_ne_u16_sdwa s0, v17, v10 src0_sel:BYTE_0 src1_sel:DWORD
	s_and_saveexec_b32 s22, s0
	s_cbranch_execz .LBB311_554
; %bb.549:                              ;   in Loop: Header=BB311_423 Depth=1
	v_cmp_ne_u16_sdwa s0, v17, v29 src0_sel:BYTE_0 src1_sel:DWORD
	v_bfrev_b32_e32 v63, 1
	s_and_saveexec_b32 s26, s0
	s_cbranch_execz .LBB311_553
; %bb.550:                              ;   in Loop: Header=BB311_423 Depth=1
	v_and_b32_e32 v9, 0x7f, v17
	v_mov_b32_e32 v63, 0x7f800001
	s_mov_b32 s27, exec_lo
	v_cmpx_ne_u32_e32 0x7f, v9
	s_cbranch_execz .LBB311_552
; %bb.551:                              ;   in Loop: Header=BB311_423 Depth=1
	v_and_b32_e32 v19, 7, v17
	v_lshrrev_b32_e32 v20, 3, v9
	v_cmp_gt_u32_e64 s0, 8, v9
	v_ffbh_u32_e32 v19, v19
	v_min_u32_e32 v19, 32, v19
	v_subrev_nc_u32_e32 v61, 28, v19
	v_sub_nc_u32_e32 v19, 29, v19
	v_cndmask_b32_e64 v9, v20, v19, s0
	v_cndmask_b32_e64 v19, 0, v61, s0
	v_lshl_add_u32 v9, v9, 23, 0x3c000000
	v_lshlrev_b64 v[19:20], v19, v[17:18]
	v_lshlrev_b32_e32 v20, 24, v17
	v_lshlrev_b32_e32 v19, 20, v19
	v_and_b32_e32 v20, 0x80000000, v20
	v_and_b32_e32 v19, 0x700000, v19
	v_or3_b32 v63, v19, v20, v9
.LBB311_552:                            ;   in Loop: Header=BB311_423 Depth=1
	s_or_b32 exec_lo, exec_lo, s27
.LBB311_553:                            ;   in Loop: Header=BB311_423 Depth=1
	s_or_b32 exec_lo, exec_lo, s26
.LBB311_554:                            ;   in Loop: Header=BB311_423 Depth=1
	s_or_b32 exec_lo, exec_lo, s22
	v_cmp_ne_u16_sdwa s0, v17, v10 src0_sel:BYTE_1 src1_sel:DWORD
	s_and_saveexec_b32 s22, s0
	s_cbranch_execz .LBB311_562
; %bb.555:                              ;   in Loop: Header=BB311_423 Depth=1
	v_cmp_ne_u16_sdwa s0, v17, v29 src0_sel:BYTE_1 src1_sel:DWORD
	v_bfrev_b32_e32 v62, 1
	s_and_saveexec_b32 s26, s0
	s_cbranch_execz .LBB311_561
; %bb.556:                              ;   in Loop: Header=BB311_423 Depth=1
	v_and_b32_sdwa v9, v30, v17 dst_sel:DWORD dst_unused:UNUSED_PAD src0_sel:DWORD src1_sel:BYTE_1
	v_mov_b32_e32 v62, 0x7f800001
	s_mov_b32 s27, exec_lo
	v_and_b32_e32 v20, 0x7f, v9
	v_cmpx_ne_u32_e32 0x7f, v20
	s_cbranch_execz .LBB311_560
; %bb.557:                              ;   in Loop: Header=BB311_423 Depth=1
	v_and_b32_e32 v9, 7, v9
	v_lshrrev_b32_e32 v19, 3, v20
	s_mov_b32 s28, exec_lo
	v_cmpx_gt_u32_e32 8, v20
; %bb.558:                              ;   in Loop: Header=BB311_423 Depth=1
	v_ffbh_u32_e32 v19, v9
	v_min_u32_e32 v19, 32, v19
	v_subrev_nc_u32_e32 v20, 28, v19
	v_sub_nc_u32_e32 v19, 29, v19
	v_lshlrev_b64 v[61:62], v20, v[9:10]
	v_and_b32_e32 v9, 7, v61
; %bb.559:                              ;   in Loop: Header=BB311_423 Depth=1
	s_or_b32 exec_lo, exec_lo, s28
	v_lshlrev_b32_e32 v20, 16, v17
	v_lshlrev_b32_e32 v9, 20, v9
	v_lshl_add_u32 v19, v19, 23, 0x3c000000
	v_and_b32_e32 v20, 0x80000000, v20
	v_or3_b32 v62, v9, v20, v19
.LBB311_560:                            ;   in Loop: Header=BB311_423 Depth=1
	s_or_b32 exec_lo, exec_lo, s27
.LBB311_561:                            ;   in Loop: Header=BB311_423 Depth=1
	s_or_b32 exec_lo, exec_lo, s26
.LBB311_562:                            ;   in Loop: Header=BB311_423 Depth=1
	s_or_b32 exec_lo, exec_lo, s22
	v_and_b32_sdwa v9, v17, v31 dst_sel:DWORD dst_unused:UNUSED_PAD src0_sel:WORD_1 src1_sel:DWORD
	v_mov_b32_e32 v64, 0
	v_mov_b32_e32 v61, 0
	s_mov_b32 s22, exec_lo
	v_cmpx_ne_u16_e32 0, v9
	s_cbranch_execz .LBB311_570
; %bb.563:                              ;   in Loop: Header=BB311_423 Depth=1
	v_bfrev_b32_e32 v61, 1
	s_mov_b32 s26, exec_lo
	v_cmpx_ne_u16_e32 0x80, v9
	s_cbranch_execz .LBB311_569
; %bb.564:                              ;   in Loop: Header=BB311_423 Depth=1
	v_bfe_u32 v20, v17, 16, 7
	v_mov_b32_e32 v61, 0x7f800001
	s_mov_b32 s27, exec_lo
	v_cmpx_ne_u32_e32 0x7f, v20
	s_cbranch_execz .LBB311_568
; %bb.565:                              ;   in Loop: Header=BB311_423 Depth=1
	v_and_b32_sdwa v9, v17, v32 dst_sel:DWORD dst_unused:UNUSED_PAD src0_sel:WORD_1 src1_sel:DWORD
	v_lshrrev_b32_e32 v19, 3, v20
	s_mov_b32 s28, exec_lo
	v_cmpx_gt_u32_e32 8, v20
; %bb.566:                              ;   in Loop: Header=BB311_423 Depth=1
	v_ffbh_u32_e32 v19, v9
	v_min_u32_e32 v19, 32, v19
	v_subrev_nc_u32_e32 v20, 28, v19
	v_sub_nc_u32_e32 v19, 29, v19
	v_lshlrev_b64 v[65:66], v20, v[9:10]
	v_and_b32_e32 v9, 7, v65
; %bb.567:                              ;   in Loop: Header=BB311_423 Depth=1
	s_or_b32 exec_lo, exec_lo, s28
	v_lshlrev_b32_sdwa v20, v35, v17 dst_sel:DWORD dst_unused:UNUSED_PAD src0_sel:DWORD src1_sel:WORD_1
	v_lshlrev_b32_e32 v9, 20, v9
	v_lshl_add_u32 v19, v19, 23, 0x3c000000
	v_and_b32_e32 v20, 0x80000000, v20
	v_or3_b32 v61, v9, v20, v19
.LBB311_568:                            ;   in Loop: Header=BB311_423 Depth=1
	s_or_b32 exec_lo, exec_lo, s27
.LBB311_569:                            ;   in Loop: Header=BB311_423 Depth=1
	s_or_b32 exec_lo, exec_lo, s26
.LBB311_570:                            ;   in Loop: Header=BB311_423 Depth=1
	s_or_b32 exec_lo, exec_lo, s22
	s_mov_b32 s22, exec_lo
	v_cmpx_lt_u32_e32 0xffffff, v17
	s_cbranch_execz .LBB311_578
; %bb.571:                              ;   in Loop: Header=BB311_423 Depth=1
	v_cmp_ne_u32_sdwa s0, v17, v29 src0_sel:BYTE_3 src1_sel:DWORD
	v_bfrev_b32_e32 v64, 1
	s_and_saveexec_b32 s26, s0
	s_cbranch_execz .LBB311_577
; %bb.572:                              ;   in Loop: Header=BB311_423 Depth=1
	v_bfe_u32 v20, v17, 24, 7
	v_mov_b32_e32 v64, 0x7f800001
	s_mov_b32 s27, exec_lo
	v_cmpx_ne_u32_e32 0x7f, v20
	s_cbranch_execz .LBB311_576
; %bb.573:                              ;   in Loop: Header=BB311_423 Depth=1
	v_and_b32_sdwa v9, v17, v32 dst_sel:DWORD dst_unused:UNUSED_PAD src0_sel:BYTE_3 src1_sel:DWORD
	v_lshrrev_b32_e32 v19, 3, v20
	s_mov_b32 s28, exec_lo
	v_cmpx_gt_u32_e32 8, v20
; %bb.574:                              ;   in Loop: Header=BB311_423 Depth=1
	v_ffbh_u32_e32 v19, v9
	v_min_u32_e32 v19, 32, v19
	v_subrev_nc_u32_e32 v20, 28, v19
	v_sub_nc_u32_e32 v19, 29, v19
	v_lshlrev_b64 v[64:65], v20, v[9:10]
	v_and_b32_e32 v9, 7, v64
; %bb.575:                              ;   in Loop: Header=BB311_423 Depth=1
	s_or_b32 exec_lo, exec_lo, s28
	v_lshlrev_b32_sdwa v20, v35, v17 dst_sel:DWORD dst_unused:UNUSED_PAD src0_sel:DWORD src1_sel:BYTE_3
	v_lshlrev_b32_e32 v9, 20, v9
	v_lshl_add_u32 v19, v19, 23, 0x3c000000
	v_and_b32_e32 v20, 0x80000000, v20
	v_or3_b32 v64, v9, v20, v19
.LBB311_576:                            ;   in Loop: Header=BB311_423 Depth=1
	s_or_b32 exec_lo, exec_lo, s27
.LBB311_577:                            ;   in Loop: Header=BB311_423 Depth=1
	s_or_b32 exec_lo, exec_lo, s26
.LBB311_578:                            ;   in Loop: Header=BB311_423 Depth=1
	s_or_b32 exec_lo, exec_lo, s22
	v_mov_b32_e32 v9, v18
	v_cmp_ne_u16_sdwa s0, v18, v10 src0_sel:BYTE_0 src1_sel:DWORD
	v_mov_b32_e32 v19, 0
	v_mov_b32_e32 v65, 0
	s_and_saveexec_b32 s22, s0
	s_cbranch_execz .LBB311_584
; %bb.579:                              ;   in Loop: Header=BB311_423 Depth=1
	v_cmp_ne_u16_sdwa s0, v18, v29 src0_sel:BYTE_0 src1_sel:DWORD
	v_bfrev_b32_e32 v65, 1
	s_and_saveexec_b32 s26, s0
	s_cbranch_execz .LBB311_583
; %bb.580:                              ;   in Loop: Header=BB311_423 Depth=1
	v_and_b32_e32 v20, 0x7f, v18
	v_mov_b32_e32 v65, 0x7f800001
	s_mov_b32 s27, exec_lo
	v_cmpx_ne_u32_e32 0x7f, v20
	s_cbranch_execz .LBB311_582
; %bb.581:                              ;   in Loop: Header=BB311_423 Depth=1
	v_and_b32_e32 v65, 7, v18
	v_lshrrev_b32_e32 v66, 3, v20
	v_cmp_gt_u32_e64 s0, 8, v20
	v_ffbh_u32_e32 v65, v65
	v_min_u32_e32 v65, 32, v65
	v_subrev_nc_u32_e32 v67, 28, v65
	v_sub_nc_u32_e32 v65, 29, v65
	v_cndmask_b32_e64 v20, v66, v65, s0
	v_cndmask_b32_e64 v65, 0, v67, s0
	v_lshl_add_u32 v20, v20, 23, 0x3c000000
	v_lshlrev_b64 v[65:66], v65, v[9:10]
	v_lshlrev_b32_e32 v66, 24, v9
	v_lshlrev_b32_e32 v65, 20, v65
	v_and_b32_e32 v66, 0x80000000, v66
	v_and_b32_e32 v65, 0x700000, v65
	v_or3_b32 v65, v65, v66, v20
.LBB311_582:                            ;   in Loop: Header=BB311_423 Depth=1
	s_or_b32 exec_lo, exec_lo, s27
.LBB311_583:                            ;   in Loop: Header=BB311_423 Depth=1
	s_or_b32 exec_lo, exec_lo, s26
.LBB311_584:                            ;   in Loop: Header=BB311_423 Depth=1
	s_or_b32 exec_lo, exec_lo, s22
	v_cmp_ne_u16_sdwa s0, v9, v10 src0_sel:BYTE_1 src1_sel:DWORD
	s_and_saveexec_b32 s22, s0
	s_cbranch_execz .LBB311_592
; %bb.585:                              ;   in Loop: Header=BB311_423 Depth=1
	v_cmp_ne_u16_sdwa s0, v9, v29 src0_sel:BYTE_1 src1_sel:DWORD
	v_bfrev_b32_e32 v19, 1
	s_and_saveexec_b32 s26, s0
	s_cbranch_execz .LBB311_591
; %bb.586:                              ;   in Loop: Header=BB311_423 Depth=1
	v_and_b32_sdwa v20, v30, v9 dst_sel:DWORD dst_unused:UNUSED_PAD src0_sel:DWORD src1_sel:BYTE_1
	v_mov_b32_e32 v19, 0x7f800001
	s_mov_b32 s27, exec_lo
	v_and_b32_e32 v67, 0x7f, v20
	v_cmpx_ne_u32_e32 0x7f, v67
	s_cbranch_execz .LBB311_590
; %bb.587:                              ;   in Loop: Header=BB311_423 Depth=1
	v_and_b32_e32 v19, 7, v20
	v_mov_b32_e32 v20, v10
	v_lshrrev_b32_e32 v66, 3, v67
	s_mov_b32 s28, exec_lo
	v_cmpx_gt_u32_e32 8, v67
; %bb.588:                              ;   in Loop: Header=BB311_423 Depth=1
	v_ffbh_u32_e32 v66, v19
	v_min_u32_e32 v66, 32, v66
	v_subrev_nc_u32_e32 v67, 28, v66
	v_sub_nc_u32_e32 v66, 29, v66
	v_lshlrev_b64 v[19:20], v67, v[19:20]
	v_and_b32_e32 v19, 7, v19
; %bb.589:                              ;   in Loop: Header=BB311_423 Depth=1
	s_or_b32 exec_lo, exec_lo, s28
	v_lshlrev_b32_e32 v9, 16, v9
	v_lshlrev_b32_e32 v19, 20, v19
	v_lshl_add_u32 v20, v66, 23, 0x3c000000
	v_and_b32_e32 v9, 0x80000000, v9
	v_or3_b32 v19, v19, v9, v20
.LBB311_590:                            ;   in Loop: Header=BB311_423 Depth=1
	s_or_b32 exec_lo, exec_lo, s27
.LBB311_591:                            ;   in Loop: Header=BB311_423 Depth=1
	s_or_b32 exec_lo, exec_lo, s26
.LBB311_592:                            ;   in Loop: Header=BB311_423 Depth=1
	s_or_b32 exec_lo, exec_lo, s22
	v_and_b32_sdwa v9, v18, v31 dst_sel:DWORD dst_unused:UNUSED_PAD src0_sel:WORD_1 src1_sel:DWORD
	v_mov_b32_e32 v20, 0
	v_mov_b32_e32 v66, 0
	s_mov_b32 s22, exec_lo
	v_cmpx_ne_u16_e32 0, v9
	s_cbranch_execz .LBB311_600
; %bb.593:                              ;   in Loop: Header=BB311_423 Depth=1
	v_bfrev_b32_e32 v66, 1
	s_mov_b32 s26, exec_lo
	v_cmpx_ne_u16_e32 0x80, v9
	s_cbranch_execz .LBB311_599
; %bb.594:                              ;   in Loop: Header=BB311_423 Depth=1
	v_bfe_u32 v67, v18, 16, 7
	v_mov_b32_e32 v66, 0x7f800001
	s_mov_b32 s27, exec_lo
	v_cmpx_ne_u32_e32 0x7f, v67
	s_cbranch_execz .LBB311_598
; %bb.595:                              ;   in Loop: Header=BB311_423 Depth=1
	v_and_b32_sdwa v9, v18, v32 dst_sel:DWORD dst_unused:UNUSED_PAD src0_sel:WORD_1 src1_sel:DWORD
	v_lshrrev_b32_e32 v66, 3, v67
	s_mov_b32 s28, exec_lo
	v_cmpx_gt_u32_e32 8, v67
; %bb.596:                              ;   in Loop: Header=BB311_423 Depth=1
	v_ffbh_u32_e32 v66, v9
	v_min_u32_e32 v66, 32, v66
	v_subrev_nc_u32_e32 v67, 28, v66
	v_sub_nc_u32_e32 v66, 29, v66
	v_lshlrev_b64 v[67:68], v67, v[9:10]
	v_and_b32_e32 v9, 7, v67
; %bb.597:                              ;   in Loop: Header=BB311_423 Depth=1
	s_or_b32 exec_lo, exec_lo, s28
	v_lshlrev_b32_sdwa v67, v35, v18 dst_sel:DWORD dst_unused:UNUSED_PAD src0_sel:DWORD src1_sel:WORD_1
	v_lshlrev_b32_e32 v9, 20, v9
	v_lshl_add_u32 v66, v66, 23, 0x3c000000
	v_and_b32_e32 v67, 0x80000000, v67
	v_or3_b32 v66, v9, v67, v66
.LBB311_598:                            ;   in Loop: Header=BB311_423 Depth=1
	s_or_b32 exec_lo, exec_lo, s27
.LBB311_599:                            ;   in Loop: Header=BB311_423 Depth=1
	s_or_b32 exec_lo, exec_lo, s26
.LBB311_600:                            ;   in Loop: Header=BB311_423 Depth=1
	s_or_b32 exec_lo, exec_lo, s22
	s_mov_b32 s22, exec_lo
	v_cmpx_lt_u64_e64 s[2:3], v[17:18]
	s_cbranch_execz .LBB311_608
; %bb.601:                              ;   in Loop: Header=BB311_423 Depth=1
	v_cmp_ne_u32_sdwa s0, v18, v29 src0_sel:BYTE_3 src1_sel:DWORD
	v_bfrev_b32_e32 v20, 1
	s_and_saveexec_b32 s26, s0
	s_cbranch_execz .LBB311_607
; %bb.602:                              ;   in Loop: Header=BB311_423 Depth=1
	v_bfe_u32 v67, v18, 24, 7
	v_mov_b32_e32 v20, 0x7f800001
	s_mov_b32 s27, exec_lo
	v_cmpx_ne_u32_e32 0x7f, v67
	s_cbranch_execz .LBB311_606
; %bb.603:                              ;   in Loop: Header=BB311_423 Depth=1
	v_and_b32_sdwa v9, v18, v32 dst_sel:DWORD dst_unused:UNUSED_PAD src0_sel:BYTE_3 src1_sel:DWORD
	v_lshrrev_b32_e32 v17, 3, v67
	s_mov_b32 s28, exec_lo
	v_cmpx_gt_u32_e32 8, v67
; %bb.604:                              ;   in Loop: Header=BB311_423 Depth=1
	v_ffbh_u32_e32 v17, v9
	v_min_u32_e32 v17, 32, v17
	v_subrev_nc_u32_e32 v20, 28, v17
	v_sub_nc_u32_e32 v17, 29, v17
	v_lshlrev_b64 v[67:68], v20, v[9:10]
	v_and_b32_e32 v9, 7, v67
; %bb.605:                              ;   in Loop: Header=BB311_423 Depth=1
	s_or_b32 exec_lo, exec_lo, s28
	v_lshlrev_b32_sdwa v18, v35, v18 dst_sel:DWORD dst_unused:UNUSED_PAD src0_sel:DWORD src1_sel:BYTE_3
	v_lshlrev_b32_e32 v9, 20, v9
	v_lshl_add_u32 v17, v17, 23, 0x3c000000
	v_and_b32_e32 v18, 0x80000000, v18
	v_or3_b32 v20, v9, v18, v17
.LBB311_606:                            ;   in Loop: Header=BB311_423 Depth=1
	s_or_b32 exec_lo, exec_lo, s27
.LBB311_607:                            ;   in Loop: Header=BB311_423 Depth=1
	s_or_b32 exec_lo, exec_lo, s26
.LBB311_608:                            ;   in Loop: Header=BB311_423 Depth=1
	s_or_b32 exec_lo, exec_lo, s22
	v_mul_f32_e32 v9, s21, v19
	v_mul_f32_e32 v17, s21, v65
	;; [unrolled: 1-line block ×5, first 2 shown]
	v_bfe_u32 v61, v9, 16, 1
	v_or_b32_e32 v64, 0x400000, v9
	v_bfe_u32 v65, v17, 16, 1
	v_cmp_u_f32_e64 s0, v9, v9
	v_or_b32_e32 v67, 0x400000, v17
	v_add3_u32 v61, v61, v9, 0x7fff
	v_bfe_u32 v68, v18, 16, 1
	v_add3_u32 v65, v65, v17, 0x7fff
	v_or_b32_e32 v69, 0x400000, v18
	v_bfe_u32 v70, v19, 16, 1
	v_cndmask_b32_e64 v9, v61, v64, s0
	v_cmp_u_f32_e64 s0, v17, v17
	v_add3_u32 v68, v68, v18, 0x7fff
	v_lshrrev_b32_e32 v61, 16, v9
	v_cndmask_b32_e64 v17, v65, v67, s0
	v_cmp_u_f32_e64 s0, v18, v18
	v_mul_f32_e32 v9, s21, v62
	v_add3_u32 v65, v70, v19, 0x7fff
	v_or_b32_e32 v67, 0x400000, v19
	v_lshrrev_b32_e32 v62, 16, v17
	v_cndmask_b32_e64 v18, v68, v69, s0
	v_bfe_u32 v17, v9, 16, 1
	v_cmp_u_f32_e64 s0, v19, v19
	v_mul_f32_e32 v19, s21, v63
	v_mul_f32_e32 v63, s21, v66
	v_lshrrev_b32_e32 v64, 16, v18
	v_add3_u32 v17, v17, v9, 0x7fff
	v_cndmask_b32_e64 v18, v65, v67, s0
	v_or_b32_e32 v65, 0x400000, v9
	v_bfe_u32 v66, v19, 16, 1
	v_cmp_u_f32_e64 s0, v9, v9
	v_bfe_u32 v67, v63, 16, 1
	v_or_b32_e32 v68, 0x400000, v63
	v_or_b32_e32 v69, 0x400000, v20
	v_cndmask_b32_e64 v9, v17, v65, s0
	v_add3_u32 v65, v66, v19, 0x7fff
	v_or_b32_e32 v66, 0x400000, v19
	v_cmp_u_f32_e64 s0, v19, v19
	v_bfe_u32 v17, v20, 16, 1
	v_add3_u32 v67, v67, v63, 0x7fff
	v_cndmask_b32_e64 v19, v65, v66, s0
	v_cmp_u_f32_e64 s0, v63, v63
	v_add3_u32 v17, v17, v20, 0x7fff
	v_lshrrev_b32_e32 v66, 16, v18
	v_cndmask_b32_e64 v63, v67, v68, s0
	v_cmp_u_f32_e64 s0, v20, v20
	v_lshrrev_b32_e32 v68, 16, v9
	v_lshrrev_b32_e32 v67, 16, v19
	;; [unrolled: 1-line block ×3, first 2 shown]
	v_cndmask_b32_e64 v17, v17, v69, s0
	v_lshrrev_b32_e32 v65, 16, v17
	s_and_saveexec_b32 s22, vcc_lo
	s_cbranch_execz .LBB311_610
; %bb.609:                              ;   in Loop: Header=BB311_423 Depth=1
	v_cmp_gt_i32_e64 s0, s33, v34
	v_cndmask_b32_e64 v67, 0, v67, s0
	v_cmp_gt_i32_e64 s0, s33, v52
	v_cndmask_b32_e64 v68, 0, v68, s0
	;; [unrolled: 2-line block ×8, first 2 shown]
.LBB311_610:                            ;   in Loop: Header=BB311_423 Depth=1
	s_or_b32 exec_lo, exec_lo, s22
	global_load_dwordx2 v[17:18], v[15:16], off offset:768
	v_mov_b32_e32 v70, 0
	v_mov_b32_e32 v71, 0
	s_waitcnt vmcnt(0)
	v_cmp_ne_u16_sdwa s0, v17, v10 src0_sel:BYTE_0 src1_sel:DWORD
	s_and_saveexec_b32 s22, s0
	s_cbranch_execz .LBB311_616
; %bb.611:                              ;   in Loop: Header=BB311_423 Depth=1
	v_cmp_ne_u16_sdwa s0, v17, v29 src0_sel:BYTE_0 src1_sel:DWORD
	v_bfrev_b32_e32 v71, 1
	s_and_saveexec_b32 s26, s0
	s_cbranch_execz .LBB311_615
; %bb.612:                              ;   in Loop: Header=BB311_423 Depth=1
	v_and_b32_e32 v9, 0x7f, v17
	v_mov_b32_e32 v71, 0x7f800001
	s_mov_b32 s27, exec_lo
	v_cmpx_ne_u32_e32 0x7f, v9
	s_cbranch_execz .LBB311_614
; %bb.613:                              ;   in Loop: Header=BB311_423 Depth=1
	v_and_b32_e32 v19, 7, v17
	v_lshrrev_b32_e32 v20, 3, v9
	v_cmp_gt_u32_e64 s0, 8, v9
	v_ffbh_u32_e32 v19, v19
	v_min_u32_e32 v19, 32, v19
	v_subrev_nc_u32_e32 v69, 28, v19
	v_sub_nc_u32_e32 v19, 29, v19
	v_cndmask_b32_e64 v9, v20, v19, s0
	v_cndmask_b32_e64 v19, 0, v69, s0
	v_lshl_add_u32 v9, v9, 23, 0x3c000000
	v_lshlrev_b64 v[19:20], v19, v[17:18]
	v_lshlrev_b32_e32 v20, 24, v17
	v_lshlrev_b32_e32 v19, 20, v19
	v_and_b32_e32 v20, 0x80000000, v20
	v_and_b32_e32 v19, 0x700000, v19
	v_or3_b32 v71, v19, v20, v9
.LBB311_614:                            ;   in Loop: Header=BB311_423 Depth=1
	s_or_b32 exec_lo, exec_lo, s27
.LBB311_615:                            ;   in Loop: Header=BB311_423 Depth=1
	s_or_b32 exec_lo, exec_lo, s26
.LBB311_616:                            ;   in Loop: Header=BB311_423 Depth=1
	s_or_b32 exec_lo, exec_lo, s22
	v_cmp_ne_u16_sdwa s0, v17, v10 src0_sel:BYTE_1 src1_sel:DWORD
	s_and_saveexec_b32 s22, s0
	s_cbranch_execz .LBB311_624
; %bb.617:                              ;   in Loop: Header=BB311_423 Depth=1
	v_cmp_ne_u16_sdwa s0, v17, v29 src0_sel:BYTE_1 src1_sel:DWORD
	v_bfrev_b32_e32 v70, 1
	s_and_saveexec_b32 s26, s0
	s_cbranch_execz .LBB311_623
; %bb.618:                              ;   in Loop: Header=BB311_423 Depth=1
	v_and_b32_sdwa v9, v30, v17 dst_sel:DWORD dst_unused:UNUSED_PAD src0_sel:DWORD src1_sel:BYTE_1
	v_mov_b32_e32 v70, 0x7f800001
	s_mov_b32 s27, exec_lo
	v_and_b32_e32 v20, 0x7f, v9
	v_cmpx_ne_u32_e32 0x7f, v20
	s_cbranch_execz .LBB311_622
; %bb.619:                              ;   in Loop: Header=BB311_423 Depth=1
	v_and_b32_e32 v9, 7, v9
	v_lshrrev_b32_e32 v19, 3, v20
	s_mov_b32 s28, exec_lo
	v_cmpx_gt_u32_e32 8, v20
; %bb.620:                              ;   in Loop: Header=BB311_423 Depth=1
	v_ffbh_u32_e32 v19, v9
	v_min_u32_e32 v19, 32, v19
	v_subrev_nc_u32_e32 v20, 28, v19
	v_sub_nc_u32_e32 v19, 29, v19
	v_lshlrev_b64 v[69:70], v20, v[9:10]
	v_and_b32_e32 v9, 7, v69
; %bb.621:                              ;   in Loop: Header=BB311_423 Depth=1
	s_or_b32 exec_lo, exec_lo, s28
	v_lshlrev_b32_e32 v20, 16, v17
	v_lshlrev_b32_e32 v9, 20, v9
	v_lshl_add_u32 v19, v19, 23, 0x3c000000
	v_and_b32_e32 v20, 0x80000000, v20
	v_or3_b32 v70, v9, v20, v19
.LBB311_622:                            ;   in Loop: Header=BB311_423 Depth=1
	s_or_b32 exec_lo, exec_lo, s27
.LBB311_623:                            ;   in Loop: Header=BB311_423 Depth=1
	s_or_b32 exec_lo, exec_lo, s26
.LBB311_624:                            ;   in Loop: Header=BB311_423 Depth=1
	s_or_b32 exec_lo, exec_lo, s22
	v_and_b32_sdwa v9, v17, v31 dst_sel:DWORD dst_unused:UNUSED_PAD src0_sel:WORD_1 src1_sel:DWORD
	v_mov_b32_e32 v72, 0
	v_mov_b32_e32 v69, 0
	s_mov_b32 s22, exec_lo
	v_cmpx_ne_u16_e32 0, v9
	s_cbranch_execz .LBB311_632
; %bb.625:                              ;   in Loop: Header=BB311_423 Depth=1
	v_bfrev_b32_e32 v69, 1
	s_mov_b32 s26, exec_lo
	v_cmpx_ne_u16_e32 0x80, v9
	s_cbranch_execz .LBB311_631
; %bb.626:                              ;   in Loop: Header=BB311_423 Depth=1
	v_bfe_u32 v20, v17, 16, 7
	v_mov_b32_e32 v69, 0x7f800001
	s_mov_b32 s27, exec_lo
	v_cmpx_ne_u32_e32 0x7f, v20
	s_cbranch_execz .LBB311_630
; %bb.627:                              ;   in Loop: Header=BB311_423 Depth=1
	v_and_b32_sdwa v9, v17, v32 dst_sel:DWORD dst_unused:UNUSED_PAD src0_sel:WORD_1 src1_sel:DWORD
	v_lshrrev_b32_e32 v19, 3, v20
	s_mov_b32 s28, exec_lo
	v_cmpx_gt_u32_e32 8, v20
; %bb.628:                              ;   in Loop: Header=BB311_423 Depth=1
	v_ffbh_u32_e32 v19, v9
	v_min_u32_e32 v19, 32, v19
	v_subrev_nc_u32_e32 v20, 28, v19
	v_sub_nc_u32_e32 v19, 29, v19
	v_lshlrev_b64 v[73:74], v20, v[9:10]
	v_and_b32_e32 v9, 7, v73
; %bb.629:                              ;   in Loop: Header=BB311_423 Depth=1
	s_or_b32 exec_lo, exec_lo, s28
	v_lshlrev_b32_sdwa v20, v35, v17 dst_sel:DWORD dst_unused:UNUSED_PAD src0_sel:DWORD src1_sel:WORD_1
	v_lshlrev_b32_e32 v9, 20, v9
	v_lshl_add_u32 v19, v19, 23, 0x3c000000
	v_and_b32_e32 v20, 0x80000000, v20
	v_or3_b32 v69, v9, v20, v19
.LBB311_630:                            ;   in Loop: Header=BB311_423 Depth=1
	s_or_b32 exec_lo, exec_lo, s27
.LBB311_631:                            ;   in Loop: Header=BB311_423 Depth=1
	s_or_b32 exec_lo, exec_lo, s26
.LBB311_632:                            ;   in Loop: Header=BB311_423 Depth=1
	s_or_b32 exec_lo, exec_lo, s22
	s_mov_b32 s22, exec_lo
	v_cmpx_lt_u32_e32 0xffffff, v17
	s_cbranch_execz .LBB311_640
; %bb.633:                              ;   in Loop: Header=BB311_423 Depth=1
	v_cmp_ne_u32_sdwa s0, v17, v29 src0_sel:BYTE_3 src1_sel:DWORD
	v_bfrev_b32_e32 v72, 1
	s_and_saveexec_b32 s26, s0
	s_cbranch_execz .LBB311_639
; %bb.634:                              ;   in Loop: Header=BB311_423 Depth=1
	v_bfe_u32 v20, v17, 24, 7
	v_mov_b32_e32 v72, 0x7f800001
	s_mov_b32 s27, exec_lo
	v_cmpx_ne_u32_e32 0x7f, v20
	s_cbranch_execz .LBB311_638
; %bb.635:                              ;   in Loop: Header=BB311_423 Depth=1
	v_and_b32_sdwa v9, v17, v32 dst_sel:DWORD dst_unused:UNUSED_PAD src0_sel:BYTE_3 src1_sel:DWORD
	v_lshrrev_b32_e32 v19, 3, v20
	s_mov_b32 s28, exec_lo
	v_cmpx_gt_u32_e32 8, v20
; %bb.636:                              ;   in Loop: Header=BB311_423 Depth=1
	v_ffbh_u32_e32 v19, v9
	v_min_u32_e32 v19, 32, v19
	v_subrev_nc_u32_e32 v20, 28, v19
	v_sub_nc_u32_e32 v19, 29, v19
	v_lshlrev_b64 v[72:73], v20, v[9:10]
	v_and_b32_e32 v9, 7, v72
; %bb.637:                              ;   in Loop: Header=BB311_423 Depth=1
	s_or_b32 exec_lo, exec_lo, s28
	v_lshlrev_b32_sdwa v20, v35, v17 dst_sel:DWORD dst_unused:UNUSED_PAD src0_sel:DWORD src1_sel:BYTE_3
	v_lshlrev_b32_e32 v9, 20, v9
	v_lshl_add_u32 v19, v19, 23, 0x3c000000
	v_and_b32_e32 v20, 0x80000000, v20
	v_or3_b32 v72, v9, v20, v19
.LBB311_638:                            ;   in Loop: Header=BB311_423 Depth=1
	s_or_b32 exec_lo, exec_lo, s27
.LBB311_639:                            ;   in Loop: Header=BB311_423 Depth=1
	s_or_b32 exec_lo, exec_lo, s26
.LBB311_640:                            ;   in Loop: Header=BB311_423 Depth=1
	s_or_b32 exec_lo, exec_lo, s22
	v_mov_b32_e32 v9, v18
	v_cmp_ne_u16_sdwa s0, v18, v10 src0_sel:BYTE_0 src1_sel:DWORD
	v_mov_b32_e32 v19, 0
	v_mov_b32_e32 v73, 0
	s_and_saveexec_b32 s22, s0
	s_cbranch_execz .LBB311_646
; %bb.641:                              ;   in Loop: Header=BB311_423 Depth=1
	v_cmp_ne_u16_sdwa s0, v18, v29 src0_sel:BYTE_0 src1_sel:DWORD
	v_bfrev_b32_e32 v73, 1
	s_and_saveexec_b32 s26, s0
	s_cbranch_execz .LBB311_645
; %bb.642:                              ;   in Loop: Header=BB311_423 Depth=1
	v_and_b32_e32 v20, 0x7f, v18
	v_mov_b32_e32 v73, 0x7f800001
	s_mov_b32 s27, exec_lo
	v_cmpx_ne_u32_e32 0x7f, v20
	s_cbranch_execz .LBB311_644
; %bb.643:                              ;   in Loop: Header=BB311_423 Depth=1
	v_and_b32_e32 v73, 7, v18
	v_lshrrev_b32_e32 v74, 3, v20
	v_cmp_gt_u32_e64 s0, 8, v20
	v_ffbh_u32_e32 v73, v73
	v_min_u32_e32 v73, 32, v73
	v_subrev_nc_u32_e32 v75, 28, v73
	v_sub_nc_u32_e32 v73, 29, v73
	v_cndmask_b32_e64 v20, v74, v73, s0
	v_cndmask_b32_e64 v73, 0, v75, s0
	v_lshl_add_u32 v20, v20, 23, 0x3c000000
	v_lshlrev_b64 v[73:74], v73, v[9:10]
	v_lshlrev_b32_e32 v74, 24, v9
	v_lshlrev_b32_e32 v73, 20, v73
	v_and_b32_e32 v74, 0x80000000, v74
	v_and_b32_e32 v73, 0x700000, v73
	v_or3_b32 v73, v73, v74, v20
.LBB311_644:                            ;   in Loop: Header=BB311_423 Depth=1
	s_or_b32 exec_lo, exec_lo, s27
.LBB311_645:                            ;   in Loop: Header=BB311_423 Depth=1
	s_or_b32 exec_lo, exec_lo, s26
.LBB311_646:                            ;   in Loop: Header=BB311_423 Depth=1
	s_or_b32 exec_lo, exec_lo, s22
	v_cmp_ne_u16_sdwa s0, v9, v10 src0_sel:BYTE_1 src1_sel:DWORD
	s_and_saveexec_b32 s22, s0
	s_cbranch_execz .LBB311_654
; %bb.647:                              ;   in Loop: Header=BB311_423 Depth=1
	v_cmp_ne_u16_sdwa s0, v9, v29 src0_sel:BYTE_1 src1_sel:DWORD
	v_bfrev_b32_e32 v19, 1
	s_and_saveexec_b32 s26, s0
	s_cbranch_execz .LBB311_653
; %bb.648:                              ;   in Loop: Header=BB311_423 Depth=1
	v_and_b32_sdwa v20, v30, v9 dst_sel:DWORD dst_unused:UNUSED_PAD src0_sel:DWORD src1_sel:BYTE_1
	v_mov_b32_e32 v19, 0x7f800001
	s_mov_b32 s27, exec_lo
	v_and_b32_e32 v75, 0x7f, v20
	v_cmpx_ne_u32_e32 0x7f, v75
	s_cbranch_execz .LBB311_652
; %bb.649:                              ;   in Loop: Header=BB311_423 Depth=1
	v_and_b32_e32 v19, 7, v20
	v_mov_b32_e32 v20, v10
	v_lshrrev_b32_e32 v74, 3, v75
	s_mov_b32 s28, exec_lo
	v_cmpx_gt_u32_e32 8, v75
; %bb.650:                              ;   in Loop: Header=BB311_423 Depth=1
	v_ffbh_u32_e32 v74, v19
	v_min_u32_e32 v74, 32, v74
	v_subrev_nc_u32_e32 v75, 28, v74
	v_sub_nc_u32_e32 v74, 29, v74
	v_lshlrev_b64 v[19:20], v75, v[19:20]
	v_and_b32_e32 v19, 7, v19
; %bb.651:                              ;   in Loop: Header=BB311_423 Depth=1
	s_or_b32 exec_lo, exec_lo, s28
	v_lshlrev_b32_e32 v9, 16, v9
	v_lshlrev_b32_e32 v19, 20, v19
	v_lshl_add_u32 v20, v74, 23, 0x3c000000
	v_and_b32_e32 v9, 0x80000000, v9
	v_or3_b32 v19, v19, v9, v20
.LBB311_652:                            ;   in Loop: Header=BB311_423 Depth=1
	s_or_b32 exec_lo, exec_lo, s27
.LBB311_653:                            ;   in Loop: Header=BB311_423 Depth=1
	s_or_b32 exec_lo, exec_lo, s26
.LBB311_654:                            ;   in Loop: Header=BB311_423 Depth=1
	s_or_b32 exec_lo, exec_lo, s22
	v_and_b32_sdwa v9, v18, v31 dst_sel:DWORD dst_unused:UNUSED_PAD src0_sel:WORD_1 src1_sel:DWORD
	v_mov_b32_e32 v20, 0
	v_mov_b32_e32 v74, 0
	s_mov_b32 s22, exec_lo
	v_cmpx_ne_u16_e32 0, v9
	s_cbranch_execz .LBB311_662
; %bb.655:                              ;   in Loop: Header=BB311_423 Depth=1
	v_bfrev_b32_e32 v74, 1
	s_mov_b32 s26, exec_lo
	v_cmpx_ne_u16_e32 0x80, v9
	s_cbranch_execz .LBB311_661
; %bb.656:                              ;   in Loop: Header=BB311_423 Depth=1
	v_bfe_u32 v75, v18, 16, 7
	v_mov_b32_e32 v74, 0x7f800001
	s_mov_b32 s27, exec_lo
	v_cmpx_ne_u32_e32 0x7f, v75
	s_cbranch_execz .LBB311_660
; %bb.657:                              ;   in Loop: Header=BB311_423 Depth=1
	v_and_b32_sdwa v9, v18, v32 dst_sel:DWORD dst_unused:UNUSED_PAD src0_sel:WORD_1 src1_sel:DWORD
	v_lshrrev_b32_e32 v74, 3, v75
	s_mov_b32 s28, exec_lo
	v_cmpx_gt_u32_e32 8, v75
; %bb.658:                              ;   in Loop: Header=BB311_423 Depth=1
	v_ffbh_u32_e32 v74, v9
	v_min_u32_e32 v74, 32, v74
	v_subrev_nc_u32_e32 v75, 28, v74
	v_sub_nc_u32_e32 v74, 29, v74
	v_lshlrev_b64 v[75:76], v75, v[9:10]
	v_and_b32_e32 v9, 7, v75
; %bb.659:                              ;   in Loop: Header=BB311_423 Depth=1
	s_or_b32 exec_lo, exec_lo, s28
	v_lshlrev_b32_sdwa v75, v35, v18 dst_sel:DWORD dst_unused:UNUSED_PAD src0_sel:DWORD src1_sel:WORD_1
	v_lshlrev_b32_e32 v9, 20, v9
	v_lshl_add_u32 v74, v74, 23, 0x3c000000
	v_and_b32_e32 v75, 0x80000000, v75
	v_or3_b32 v74, v9, v75, v74
.LBB311_660:                            ;   in Loop: Header=BB311_423 Depth=1
	s_or_b32 exec_lo, exec_lo, s27
.LBB311_661:                            ;   in Loop: Header=BB311_423 Depth=1
	s_or_b32 exec_lo, exec_lo, s26
.LBB311_662:                            ;   in Loop: Header=BB311_423 Depth=1
	s_or_b32 exec_lo, exec_lo, s22
	s_mov_b32 s22, exec_lo
	v_cmpx_lt_u64_e64 s[2:3], v[17:18]
	s_cbranch_execz .LBB311_670
; %bb.663:                              ;   in Loop: Header=BB311_423 Depth=1
	v_cmp_ne_u32_sdwa s0, v18, v29 src0_sel:BYTE_3 src1_sel:DWORD
	v_bfrev_b32_e32 v20, 1
	s_and_saveexec_b32 s26, s0
	s_cbranch_execz .LBB311_669
; %bb.664:                              ;   in Loop: Header=BB311_423 Depth=1
	v_bfe_u32 v75, v18, 24, 7
	v_mov_b32_e32 v20, 0x7f800001
	s_mov_b32 s27, exec_lo
	v_cmpx_ne_u32_e32 0x7f, v75
	s_cbranch_execz .LBB311_668
; %bb.665:                              ;   in Loop: Header=BB311_423 Depth=1
	v_and_b32_sdwa v9, v18, v32 dst_sel:DWORD dst_unused:UNUSED_PAD src0_sel:BYTE_3 src1_sel:DWORD
	v_lshrrev_b32_e32 v17, 3, v75
	s_mov_b32 s28, exec_lo
	v_cmpx_gt_u32_e32 8, v75
; %bb.666:                              ;   in Loop: Header=BB311_423 Depth=1
	v_ffbh_u32_e32 v17, v9
	v_min_u32_e32 v17, 32, v17
	v_subrev_nc_u32_e32 v20, 28, v17
	v_sub_nc_u32_e32 v17, 29, v17
	v_lshlrev_b64 v[75:76], v20, v[9:10]
	v_and_b32_e32 v9, 7, v75
; %bb.667:                              ;   in Loop: Header=BB311_423 Depth=1
	s_or_b32 exec_lo, exec_lo, s28
	v_lshlrev_b32_sdwa v18, v35, v18 dst_sel:DWORD dst_unused:UNUSED_PAD src0_sel:DWORD src1_sel:BYTE_3
	v_lshlrev_b32_e32 v9, 20, v9
	v_lshl_add_u32 v17, v17, 23, 0x3c000000
	v_and_b32_e32 v18, 0x80000000, v18
	v_or3_b32 v20, v9, v18, v17
.LBB311_668:                            ;   in Loop: Header=BB311_423 Depth=1
	s_or_b32 exec_lo, exec_lo, s27
.LBB311_669:                            ;   in Loop: Header=BB311_423 Depth=1
	s_or_b32 exec_lo, exec_lo, s26
.LBB311_670:                            ;   in Loop: Header=BB311_423 Depth=1
	s_or_b32 exec_lo, exec_lo, s22
	v_mul_f32_e32 v9, s21, v19
	v_mul_f32_e32 v17, s21, v73
	;; [unrolled: 1-line block ×5, first 2 shown]
	v_bfe_u32 v69, v9, 16, 1
	v_or_b32_e32 v72, 0x400000, v9
	v_bfe_u32 v73, v17, 16, 1
	v_cmp_u_f32_e64 s0, v9, v9
	v_or_b32_e32 v75, 0x400000, v17
	v_add3_u32 v69, v69, v9, 0x7fff
	v_bfe_u32 v76, v18, 16, 1
	v_add3_u32 v73, v73, v17, 0x7fff
	v_or_b32_e32 v77, 0x400000, v18
	v_bfe_u32 v78, v19, 16, 1
	v_cndmask_b32_e64 v9, v69, v72, s0
	v_cmp_u_f32_e64 s0, v17, v17
	v_add3_u32 v76, v76, v18, 0x7fff
	v_lshrrev_b32_e32 v69, 16, v9
	v_cndmask_b32_e64 v17, v73, v75, s0
	v_cmp_u_f32_e64 s0, v18, v18
	v_mul_f32_e32 v9, s21, v70
	v_add3_u32 v73, v78, v19, 0x7fff
	v_or_b32_e32 v75, 0x400000, v19
	v_lshrrev_b32_e32 v70, 16, v17
	v_cndmask_b32_e64 v18, v76, v77, s0
	v_bfe_u32 v17, v9, 16, 1
	v_cmp_u_f32_e64 s0, v19, v19
	v_mul_f32_e32 v19, s21, v71
	v_mul_f32_e32 v71, s21, v74
	v_lshrrev_b32_e32 v72, 16, v18
	v_add3_u32 v17, v17, v9, 0x7fff
	v_cndmask_b32_e64 v18, v73, v75, s0
	v_or_b32_e32 v73, 0x400000, v9
	v_bfe_u32 v74, v19, 16, 1
	v_cmp_u_f32_e64 s0, v9, v9
	v_bfe_u32 v75, v71, 16, 1
	v_or_b32_e32 v76, 0x400000, v71
	v_or_b32_e32 v77, 0x400000, v20
	v_cndmask_b32_e64 v9, v17, v73, s0
	v_add3_u32 v73, v74, v19, 0x7fff
	v_or_b32_e32 v74, 0x400000, v19
	v_cmp_u_f32_e64 s0, v19, v19
	v_bfe_u32 v17, v20, 16, 1
	v_add3_u32 v75, v75, v71, 0x7fff
	v_cndmask_b32_e64 v19, v73, v74, s0
	v_cmp_u_f32_e64 s0, v71, v71
	v_add3_u32 v17, v17, v20, 0x7fff
	v_lshrrev_b32_e32 v74, 16, v18
	v_cndmask_b32_e64 v71, v75, v76, s0
	v_cmp_u_f32_e64 s0, v20, v20
	v_lshrrev_b32_e32 v76, 16, v9
	v_lshrrev_b32_e32 v75, 16, v19
	;; [unrolled: 1-line block ×3, first 2 shown]
	v_cndmask_b32_e64 v17, v17, v77, s0
	v_lshrrev_b32_e32 v73, 16, v17
	s_and_saveexec_b32 s22, vcc_lo
	s_cbranch_execz .LBB311_672
; %bb.671:                              ;   in Loop: Header=BB311_423 Depth=1
	v_cmp_gt_i32_e64 s0, s33, v34
	v_cndmask_b32_e64 v75, 0, v75, s0
	v_cmp_gt_i32_e64 s0, s33, v52
	v_cndmask_b32_e64 v76, 0, v76, s0
	;; [unrolled: 2-line block ×8, first 2 shown]
.LBB311_672:                            ;   in Loop: Header=BB311_423 Depth=1
	s_or_b32 exec_lo, exec_lo, s22
	global_load_dwordx2 v[17:18], v[15:16], off offset:1024
	v_mov_b32_e32 v78, 0
	v_mov_b32_e32 v77, 0
	s_waitcnt vmcnt(0)
	v_cmp_ne_u16_sdwa s0, v17, v10 src0_sel:BYTE_0 src1_sel:DWORD
	s_and_saveexec_b32 s22, s0
	s_cbranch_execz .LBB311_678
; %bb.673:                              ;   in Loop: Header=BB311_423 Depth=1
	v_cmp_ne_u16_sdwa s0, v17, v29 src0_sel:BYTE_0 src1_sel:DWORD
	v_bfrev_b32_e32 v77, 1
	s_and_saveexec_b32 s26, s0
	s_cbranch_execz .LBB311_677
; %bb.674:                              ;   in Loop: Header=BB311_423 Depth=1
	v_and_b32_e32 v9, 0x7f, v17
	v_mov_b32_e32 v77, 0x7f800001
	s_mov_b32 s27, exec_lo
	v_cmpx_ne_u32_e32 0x7f, v9
	s_cbranch_execz .LBB311_676
; %bb.675:                              ;   in Loop: Header=BB311_423 Depth=1
	v_and_b32_e32 v19, 7, v17
	v_lshrrev_b32_e32 v20, 3, v9
	v_cmp_gt_u32_e64 s0, 8, v9
	v_ffbh_u32_e32 v19, v19
	v_min_u32_e32 v19, 32, v19
	v_subrev_nc_u32_e32 v77, 28, v19
	v_sub_nc_u32_e32 v19, 29, v19
	v_cndmask_b32_e64 v9, v20, v19, s0
	v_cndmask_b32_e64 v19, 0, v77, s0
	v_lshl_add_u32 v9, v9, 23, 0x3c000000
	v_lshlrev_b64 v[19:20], v19, v[17:18]
	v_lshlrev_b32_e32 v20, 24, v17
	v_lshlrev_b32_e32 v19, 20, v19
	v_and_b32_e32 v20, 0x80000000, v20
	v_and_b32_e32 v19, 0x700000, v19
	v_or3_b32 v77, v19, v20, v9
.LBB311_676:                            ;   in Loop: Header=BB311_423 Depth=1
	s_or_b32 exec_lo, exec_lo, s27
.LBB311_677:                            ;   in Loop: Header=BB311_423 Depth=1
	s_or_b32 exec_lo, exec_lo, s26
.LBB311_678:                            ;   in Loop: Header=BB311_423 Depth=1
	s_or_b32 exec_lo, exec_lo, s22
	v_cmp_ne_u16_sdwa s0, v17, v10 src0_sel:BYTE_1 src1_sel:DWORD
	s_and_saveexec_b32 s22, s0
	s_cbranch_execz .LBB311_686
; %bb.679:                              ;   in Loop: Header=BB311_423 Depth=1
	v_cmp_ne_u16_sdwa s0, v17, v29 src0_sel:BYTE_1 src1_sel:DWORD
	v_bfrev_b32_e32 v78, 1
	s_and_saveexec_b32 s26, s0
	s_cbranch_execz .LBB311_685
; %bb.680:                              ;   in Loop: Header=BB311_423 Depth=1
	v_and_b32_sdwa v9, v30, v17 dst_sel:DWORD dst_unused:UNUSED_PAD src0_sel:DWORD src1_sel:BYTE_1
	v_mov_b32_e32 v78, 0x7f800001
	s_mov_b32 s27, exec_lo
	v_and_b32_e32 v20, 0x7f, v9
	v_cmpx_ne_u32_e32 0x7f, v20
	s_cbranch_execz .LBB311_684
; %bb.681:                              ;   in Loop: Header=BB311_423 Depth=1
	v_and_b32_e32 v9, 7, v9
	v_lshrrev_b32_e32 v19, 3, v20
	s_mov_b32 s28, exec_lo
	v_cmpx_gt_u32_e32 8, v20
; %bb.682:                              ;   in Loop: Header=BB311_423 Depth=1
	v_ffbh_u32_e32 v19, v9
	v_min_u32_e32 v19, 32, v19
	v_subrev_nc_u32_e32 v20, 28, v19
	v_sub_nc_u32_e32 v19, 29, v19
	v_lshlrev_b64 v[78:79], v20, v[9:10]
	v_and_b32_e32 v9, 7, v78
; %bb.683:                              ;   in Loop: Header=BB311_423 Depth=1
	s_or_b32 exec_lo, exec_lo, s28
	v_lshlrev_b32_e32 v20, 16, v17
	v_lshlrev_b32_e32 v9, 20, v9
	v_lshl_add_u32 v19, v19, 23, 0x3c000000
	v_and_b32_e32 v20, 0x80000000, v20
	v_or3_b32 v78, v9, v20, v19
.LBB311_684:                            ;   in Loop: Header=BB311_423 Depth=1
	s_or_b32 exec_lo, exec_lo, s27
.LBB311_685:                            ;   in Loop: Header=BB311_423 Depth=1
	s_or_b32 exec_lo, exec_lo, s26
.LBB311_686:                            ;   in Loop: Header=BB311_423 Depth=1
	s_or_b32 exec_lo, exec_lo, s22
	v_and_b32_sdwa v9, v17, v31 dst_sel:DWORD dst_unused:UNUSED_PAD src0_sel:WORD_1 src1_sel:DWORD
	v_mov_b32_e32 v80, 0
	v_mov_b32_e32 v79, 0
	s_mov_b32 s22, exec_lo
	v_cmpx_ne_u16_e32 0, v9
	s_cbranch_execz .LBB311_694
; %bb.687:                              ;   in Loop: Header=BB311_423 Depth=1
	v_bfrev_b32_e32 v79, 1
	s_mov_b32 s26, exec_lo
	v_cmpx_ne_u16_e32 0x80, v9
	s_cbranch_execz .LBB311_693
; %bb.688:                              ;   in Loop: Header=BB311_423 Depth=1
	v_bfe_u32 v20, v17, 16, 7
	v_mov_b32_e32 v79, 0x7f800001
	s_mov_b32 s27, exec_lo
	v_cmpx_ne_u32_e32 0x7f, v20
	s_cbranch_execz .LBB311_692
; %bb.689:                              ;   in Loop: Header=BB311_423 Depth=1
	v_and_b32_sdwa v9, v17, v32 dst_sel:DWORD dst_unused:UNUSED_PAD src0_sel:WORD_1 src1_sel:DWORD
	v_lshrrev_b32_e32 v19, 3, v20
	s_mov_b32 s28, exec_lo
	v_cmpx_gt_u32_e32 8, v20
; %bb.690:                              ;   in Loop: Header=BB311_423 Depth=1
	v_ffbh_u32_e32 v19, v9
	v_min_u32_e32 v19, 32, v19
	v_subrev_nc_u32_e32 v20, 28, v19
	v_sub_nc_u32_e32 v19, 29, v19
	v_lshlrev_b64 v[81:82], v20, v[9:10]
	v_and_b32_e32 v9, 7, v81
; %bb.691:                              ;   in Loop: Header=BB311_423 Depth=1
	s_or_b32 exec_lo, exec_lo, s28
	v_lshlrev_b32_sdwa v20, v35, v17 dst_sel:DWORD dst_unused:UNUSED_PAD src0_sel:DWORD src1_sel:WORD_1
	v_lshlrev_b32_e32 v9, 20, v9
	v_lshl_add_u32 v19, v19, 23, 0x3c000000
	v_and_b32_e32 v20, 0x80000000, v20
	v_or3_b32 v79, v9, v20, v19
.LBB311_692:                            ;   in Loop: Header=BB311_423 Depth=1
	s_or_b32 exec_lo, exec_lo, s27
.LBB311_693:                            ;   in Loop: Header=BB311_423 Depth=1
	s_or_b32 exec_lo, exec_lo, s26
.LBB311_694:                            ;   in Loop: Header=BB311_423 Depth=1
	s_or_b32 exec_lo, exec_lo, s22
	s_mov_b32 s22, exec_lo
	v_cmpx_lt_u32_e32 0xffffff, v17
	s_cbranch_execz .LBB311_702
; %bb.695:                              ;   in Loop: Header=BB311_423 Depth=1
	v_cmp_ne_u32_sdwa s0, v17, v29 src0_sel:BYTE_3 src1_sel:DWORD
	v_bfrev_b32_e32 v80, 1
	s_and_saveexec_b32 s26, s0
	s_cbranch_execz .LBB311_701
; %bb.696:                              ;   in Loop: Header=BB311_423 Depth=1
	v_bfe_u32 v20, v17, 24, 7
	v_mov_b32_e32 v80, 0x7f800001
	s_mov_b32 s27, exec_lo
	v_cmpx_ne_u32_e32 0x7f, v20
	s_cbranch_execz .LBB311_700
; %bb.697:                              ;   in Loop: Header=BB311_423 Depth=1
	v_and_b32_sdwa v9, v17, v32 dst_sel:DWORD dst_unused:UNUSED_PAD src0_sel:BYTE_3 src1_sel:DWORD
	v_lshrrev_b32_e32 v19, 3, v20
	s_mov_b32 s28, exec_lo
	v_cmpx_gt_u32_e32 8, v20
; %bb.698:                              ;   in Loop: Header=BB311_423 Depth=1
	v_ffbh_u32_e32 v19, v9
	v_min_u32_e32 v19, 32, v19
	v_subrev_nc_u32_e32 v20, 28, v19
	v_sub_nc_u32_e32 v19, 29, v19
	v_lshlrev_b64 v[80:81], v20, v[9:10]
	v_and_b32_e32 v9, 7, v80
; %bb.699:                              ;   in Loop: Header=BB311_423 Depth=1
	s_or_b32 exec_lo, exec_lo, s28
	v_lshlrev_b32_sdwa v20, v35, v17 dst_sel:DWORD dst_unused:UNUSED_PAD src0_sel:DWORD src1_sel:BYTE_3
	v_lshlrev_b32_e32 v9, 20, v9
	v_lshl_add_u32 v19, v19, 23, 0x3c000000
	v_and_b32_e32 v20, 0x80000000, v20
	v_or3_b32 v80, v9, v20, v19
.LBB311_700:                            ;   in Loop: Header=BB311_423 Depth=1
	s_or_b32 exec_lo, exec_lo, s27
.LBB311_701:                            ;   in Loop: Header=BB311_423 Depth=1
	s_or_b32 exec_lo, exec_lo, s26
.LBB311_702:                            ;   in Loop: Header=BB311_423 Depth=1
	s_or_b32 exec_lo, exec_lo, s22
	v_mov_b32_e32 v9, v18
	v_cmp_ne_u16_sdwa s0, v18, v10 src0_sel:BYTE_0 src1_sel:DWORD
	v_mov_b32_e32 v19, 0
	v_mov_b32_e32 v81, 0
	s_and_saveexec_b32 s22, s0
	s_cbranch_execz .LBB311_708
; %bb.703:                              ;   in Loop: Header=BB311_423 Depth=1
	v_cmp_ne_u16_sdwa s0, v18, v29 src0_sel:BYTE_0 src1_sel:DWORD
	v_bfrev_b32_e32 v81, 1
	s_and_saveexec_b32 s26, s0
	s_cbranch_execz .LBB311_707
; %bb.704:                              ;   in Loop: Header=BB311_423 Depth=1
	v_and_b32_e32 v20, 0x7f, v18
	v_mov_b32_e32 v81, 0x7f800001
	s_mov_b32 s27, exec_lo
	v_cmpx_ne_u32_e32 0x7f, v20
	s_cbranch_execz .LBB311_706
; %bb.705:                              ;   in Loop: Header=BB311_423 Depth=1
	v_and_b32_e32 v81, 7, v18
	v_lshrrev_b32_e32 v82, 3, v20
	v_cmp_gt_u32_e64 s0, 8, v20
	v_ffbh_u32_e32 v81, v81
	v_min_u32_e32 v81, 32, v81
	v_subrev_nc_u32_e32 v83, 28, v81
	v_sub_nc_u32_e32 v81, 29, v81
	v_cndmask_b32_e64 v20, v82, v81, s0
	v_cndmask_b32_e64 v81, 0, v83, s0
	v_lshl_add_u32 v20, v20, 23, 0x3c000000
	v_lshlrev_b64 v[81:82], v81, v[9:10]
	v_lshlrev_b32_e32 v82, 24, v9
	v_lshlrev_b32_e32 v81, 20, v81
	v_and_b32_e32 v82, 0x80000000, v82
	v_and_b32_e32 v81, 0x700000, v81
	v_or3_b32 v81, v81, v82, v20
.LBB311_706:                            ;   in Loop: Header=BB311_423 Depth=1
	s_or_b32 exec_lo, exec_lo, s27
.LBB311_707:                            ;   in Loop: Header=BB311_423 Depth=1
	s_or_b32 exec_lo, exec_lo, s26
.LBB311_708:                            ;   in Loop: Header=BB311_423 Depth=1
	s_or_b32 exec_lo, exec_lo, s22
	v_cmp_ne_u16_sdwa s0, v9, v10 src0_sel:BYTE_1 src1_sel:DWORD
	s_and_saveexec_b32 s22, s0
	s_cbranch_execz .LBB311_716
; %bb.709:                              ;   in Loop: Header=BB311_423 Depth=1
	v_cmp_ne_u16_sdwa s0, v9, v29 src0_sel:BYTE_1 src1_sel:DWORD
	v_bfrev_b32_e32 v19, 1
	s_and_saveexec_b32 s26, s0
	s_cbranch_execz .LBB311_715
; %bb.710:                              ;   in Loop: Header=BB311_423 Depth=1
	v_and_b32_sdwa v20, v30, v9 dst_sel:DWORD dst_unused:UNUSED_PAD src0_sel:DWORD src1_sel:BYTE_1
	v_mov_b32_e32 v19, 0x7f800001
	s_mov_b32 s27, exec_lo
	v_and_b32_e32 v83, 0x7f, v20
	v_cmpx_ne_u32_e32 0x7f, v83
	s_cbranch_execz .LBB311_714
; %bb.711:                              ;   in Loop: Header=BB311_423 Depth=1
	v_and_b32_e32 v19, 7, v20
	v_mov_b32_e32 v20, v10
	v_lshrrev_b32_e32 v82, 3, v83
	s_mov_b32 s28, exec_lo
	v_cmpx_gt_u32_e32 8, v83
; %bb.712:                              ;   in Loop: Header=BB311_423 Depth=1
	v_ffbh_u32_e32 v82, v19
	v_min_u32_e32 v82, 32, v82
	v_subrev_nc_u32_e32 v83, 28, v82
	v_sub_nc_u32_e32 v82, 29, v82
	v_lshlrev_b64 v[19:20], v83, v[19:20]
	v_and_b32_e32 v19, 7, v19
; %bb.713:                              ;   in Loop: Header=BB311_423 Depth=1
	s_or_b32 exec_lo, exec_lo, s28
	v_lshlrev_b32_e32 v9, 16, v9
	v_lshlrev_b32_e32 v19, 20, v19
	v_lshl_add_u32 v20, v82, 23, 0x3c000000
	v_and_b32_e32 v9, 0x80000000, v9
	v_or3_b32 v19, v19, v9, v20
.LBB311_714:                            ;   in Loop: Header=BB311_423 Depth=1
	s_or_b32 exec_lo, exec_lo, s27
.LBB311_715:                            ;   in Loop: Header=BB311_423 Depth=1
	s_or_b32 exec_lo, exec_lo, s26
.LBB311_716:                            ;   in Loop: Header=BB311_423 Depth=1
	s_or_b32 exec_lo, exec_lo, s22
	v_and_b32_sdwa v9, v18, v31 dst_sel:DWORD dst_unused:UNUSED_PAD src0_sel:WORD_1 src1_sel:DWORD
	v_mov_b32_e32 v82, 0
	v_mov_b32_e32 v83, 0
	s_mov_b32 s22, exec_lo
	v_cmpx_ne_u16_e32 0, v9
	s_cbranch_execz .LBB311_724
; %bb.717:                              ;   in Loop: Header=BB311_423 Depth=1
	v_bfrev_b32_e32 v83, 1
	s_mov_b32 s26, exec_lo
	v_cmpx_ne_u16_e32 0x80, v9
	s_cbranch_execz .LBB311_723
; %bb.718:                              ;   in Loop: Header=BB311_423 Depth=1
	v_bfe_u32 v84, v18, 16, 7
	v_mov_b32_e32 v83, 0x7f800001
	s_mov_b32 s27, exec_lo
	v_cmpx_ne_u32_e32 0x7f, v84
	s_cbranch_execz .LBB311_722
; %bb.719:                              ;   in Loop: Header=BB311_423 Depth=1
	v_and_b32_sdwa v9, v18, v32 dst_sel:DWORD dst_unused:UNUSED_PAD src0_sel:WORD_1 src1_sel:DWORD
	v_lshrrev_b32_e32 v20, 3, v84
	s_mov_b32 s28, exec_lo
	v_cmpx_gt_u32_e32 8, v84
; %bb.720:                              ;   in Loop: Header=BB311_423 Depth=1
	v_ffbh_u32_e32 v20, v9
	v_min_u32_e32 v20, 32, v20
	v_subrev_nc_u32_e32 v83, 28, v20
	v_sub_nc_u32_e32 v20, 29, v20
	v_lshlrev_b64 v[83:84], v83, v[9:10]
	v_and_b32_e32 v9, 7, v83
; %bb.721:                              ;   in Loop: Header=BB311_423 Depth=1
	s_or_b32 exec_lo, exec_lo, s28
	v_lshlrev_b32_sdwa v83, v35, v18 dst_sel:DWORD dst_unused:UNUSED_PAD src0_sel:DWORD src1_sel:WORD_1
	v_lshlrev_b32_e32 v9, 20, v9
	v_lshl_add_u32 v20, v20, 23, 0x3c000000
	v_and_b32_e32 v83, 0x80000000, v83
	v_or3_b32 v83, v9, v83, v20
.LBB311_722:                            ;   in Loop: Header=BB311_423 Depth=1
	s_or_b32 exec_lo, exec_lo, s27
.LBB311_723:                            ;   in Loop: Header=BB311_423 Depth=1
	s_or_b32 exec_lo, exec_lo, s26
.LBB311_724:                            ;   in Loop: Header=BB311_423 Depth=1
	s_or_b32 exec_lo, exec_lo, s22
	s_mov_b32 s22, exec_lo
	v_cmpx_lt_u64_e64 s[2:3], v[17:18]
	s_cbranch_execz .LBB311_732
; %bb.725:                              ;   in Loop: Header=BB311_423 Depth=1
	v_cmp_ne_u32_sdwa s0, v18, v29 src0_sel:BYTE_3 src1_sel:DWORD
	v_bfrev_b32_e32 v82, 1
	s_and_saveexec_b32 s26, s0
	s_cbranch_execz .LBB311_731
; %bb.726:                              ;   in Loop: Header=BB311_423 Depth=1
	v_bfe_u32 v20, v18, 24, 7
	v_mov_b32_e32 v82, 0x7f800001
	s_mov_b32 s27, exec_lo
	v_cmpx_ne_u32_e32 0x7f, v20
	s_cbranch_execz .LBB311_730
; %bb.727:                              ;   in Loop: Header=BB311_423 Depth=1
	v_and_b32_sdwa v9, v18, v32 dst_sel:DWORD dst_unused:UNUSED_PAD src0_sel:BYTE_3 src1_sel:DWORD
	v_lshrrev_b32_e32 v17, 3, v20
	s_mov_b32 s28, exec_lo
	v_cmpx_gt_u32_e32 8, v20
; %bb.728:                              ;   in Loop: Header=BB311_423 Depth=1
	v_ffbh_u32_e32 v17, v9
	v_min_u32_e32 v17, 32, v17
	v_subrev_nc_u32_e32 v20, 28, v17
	v_sub_nc_u32_e32 v17, 29, v17
	v_lshlrev_b64 v[84:85], v20, v[9:10]
	v_and_b32_e32 v9, 7, v84
; %bb.729:                              ;   in Loop: Header=BB311_423 Depth=1
	s_or_b32 exec_lo, exec_lo, s28
	v_lshlrev_b32_sdwa v18, v35, v18 dst_sel:DWORD dst_unused:UNUSED_PAD src0_sel:DWORD src1_sel:BYTE_3
	v_lshlrev_b32_e32 v9, 20, v9
	v_lshl_add_u32 v17, v17, 23, 0x3c000000
	v_and_b32_e32 v18, 0x80000000, v18
	v_or3_b32 v82, v9, v18, v17
.LBB311_730:                            ;   in Loop: Header=BB311_423 Depth=1
	s_or_b32 exec_lo, exec_lo, s27
.LBB311_731:                            ;   in Loop: Header=BB311_423 Depth=1
	s_or_b32 exec_lo, exec_lo, s26
.LBB311_732:                            ;   in Loop: Header=BB311_423 Depth=1
	s_or_b32 exec_lo, exec_lo, s22
	v_mul_f32_e32 v9, s21, v19
	v_mul_f32_e32 v17, s21, v81
	;; [unrolled: 1-line block ×5, first 2 shown]
	v_bfe_u32 v19, v9, 16, 1
	v_or_b32_e32 v20, 0x400000, v9
	v_bfe_u32 v79, v17, 16, 1
	v_cmp_u_f32_e64 s0, v9, v9
	v_or_b32_e32 v81, 0x400000, v17
	v_add3_u32 v19, v19, v9, 0x7fff
	v_bfe_u32 v84, v18, 16, 1
	v_add3_u32 v79, v79, v17, 0x7fff
	v_or_b32_e32 v85, 0x400000, v18
	v_bfe_u32 v86, v80, 16, 1
	v_cndmask_b32_e64 v9, v19, v20, s0
	v_cmp_u_f32_e64 s0, v17, v17
	v_add3_u32 v84, v84, v18, 0x7fff
	v_lshrrev_b32_e32 v20, 16, v9
	v_cndmask_b32_e64 v17, v79, v81, s0
	v_cmp_u_f32_e64 s0, v18, v18
	v_mul_f32_e32 v9, s21, v78
	v_add3_u32 v78, v86, v80, 0x7fff
	v_or_b32_e32 v81, 0x400000, v80
	v_lshrrev_b32_e32 v19, 16, v17
	v_cndmask_b32_e64 v18, v84, v85, s0
	v_bfe_u32 v17, v9, 16, 1
	v_cmp_u_f32_e64 s0, v80, v80
	v_or_b32_e32 v80, 0x400000, v9
	v_lshrrev_b32_e32 v79, 16, v18
	v_add3_u32 v17, v17, v9, 0x7fff
	v_cndmask_b32_e64 v18, v78, v81, s0
	v_mul_f32_e32 v78, s21, v83
	v_mul_f32_e32 v81, s21, v82
	v_bfe_u32 v82, v77, 16, 1
	v_cmp_u_f32_e64 s0, v9, v9
	v_bfe_u32 v83, v78, 16, 1
	v_or_b32_e32 v84, 0x400000, v78
	v_or_b32_e32 v85, 0x400000, v81
	v_cndmask_b32_e64 v9, v17, v80, s0
	v_add3_u32 v80, v82, v77, 0x7fff
	v_or_b32_e32 v82, 0x400000, v77
	v_cmp_u_f32_e64 s0, v77, v77
	v_bfe_u32 v17, v81, 16, 1
	v_add3_u32 v83, v83, v78, 0x7fff
	v_cndmask_b32_e64 v77, v80, v82, s0
	v_cmp_u_f32_e64 s0, v78, v78
	v_add3_u32 v17, v17, v81, 0x7fff
	v_lshrrev_b32_e32 v80, 16, v18
	v_lshrrev_b32_e32 v82, 16, v9
	v_cndmask_b32_e64 v78, v83, v84, s0
	v_cmp_u_f32_e64 s0, v81, v81
	v_lshrrev_b32_e32 v81, 16, v77
	v_lshrrev_b32_e32 v77, 16, v78
	v_cndmask_b32_e64 v17, v17, v85, s0
	v_lshrrev_b32_e32 v78, 16, v17
	s_and_saveexec_b32 s22, vcc_lo
	s_cbranch_execz .LBB311_734
; %bb.733:                              ;   in Loop: Header=BB311_423 Depth=1
	v_cmp_gt_i32_e64 s0, s33, v34
	v_cndmask_b32_e64 v81, 0, v81, s0
	v_cmp_gt_i32_e64 s0, s33, v52
	v_cndmask_b32_e64 v82, 0, v82, s0
	v_cmp_gt_i32_e64 s0, s33, v51
	v_cndmask_b32_e64 v80, 0, v80, s0
	v_cmp_gt_i32_e64 s0, s33, v50
	v_cndmask_b32_e64 v79, 0, v79, s0
	v_cmp_gt_i32_e64 s0, s33, v49
	v_cndmask_b32_e64 v19, 0, v19, s0
	v_cmp_gt_i32_e64 s0, s33, v48
	v_cndmask_b32_e64 v20, 0, v20, s0
	v_cmp_gt_i32_e64 s0, s33, v47
	v_cndmask_b32_e64 v77, 0, v77, s0
	v_cmp_gt_i32_e64 s0, s33, v46
	v_cndmask_b32_e64 v78, 0, v78, s0
.LBB311_734:                            ;   in Loop: Header=BB311_423 Depth=1
	s_or_b32 exec_lo, exec_lo, s22
	global_load_dwordx2 v[15:16], v[15:16], off offset:1280
	v_mov_b32_e32 v84, 0
	v_mov_b32_e32 v83, 0
	s_waitcnt vmcnt(0)
	v_cmp_ne_u16_sdwa s0, v15, v10 src0_sel:BYTE_0 src1_sel:DWORD
	s_and_saveexec_b32 s22, s0
	s_cbranch_execz .LBB311_740
; %bb.735:                              ;   in Loop: Header=BB311_423 Depth=1
	v_cmp_ne_u16_sdwa s0, v15, v29 src0_sel:BYTE_0 src1_sel:DWORD
	v_bfrev_b32_e32 v83, 1
	s_and_saveexec_b32 s26, s0
	s_cbranch_execz .LBB311_739
; %bb.736:                              ;   in Loop: Header=BB311_423 Depth=1
	v_and_b32_e32 v9, 0x7f, v15
	v_mov_b32_e32 v83, 0x7f800001
	s_mov_b32 s27, exec_lo
	v_cmpx_ne_u32_e32 0x7f, v9
	s_cbranch_execz .LBB311_738
; %bb.737:                              ;   in Loop: Header=BB311_423 Depth=1
	v_and_b32_e32 v17, 7, v15
	v_lshrrev_b32_e32 v18, 3, v9
	v_cmp_gt_u32_e64 s0, 8, v9
	v_ffbh_u32_e32 v17, v17
	v_min_u32_e32 v17, 32, v17
	v_subrev_nc_u32_e32 v83, 28, v17
	v_sub_nc_u32_e32 v17, 29, v17
	v_cndmask_b32_e64 v9, v18, v17, s0
	v_cndmask_b32_e64 v17, 0, v83, s0
	v_lshl_add_u32 v9, v9, 23, 0x3c000000
	v_lshlrev_b64 v[17:18], v17, v[15:16]
	v_lshlrev_b32_e32 v18, 24, v15
	v_lshlrev_b32_e32 v17, 20, v17
	v_and_b32_e32 v18, 0x80000000, v18
	v_and_b32_e32 v17, 0x700000, v17
	v_or3_b32 v83, v17, v18, v9
.LBB311_738:                            ;   in Loop: Header=BB311_423 Depth=1
	s_or_b32 exec_lo, exec_lo, s27
.LBB311_739:                            ;   in Loop: Header=BB311_423 Depth=1
	s_or_b32 exec_lo, exec_lo, s26
.LBB311_740:                            ;   in Loop: Header=BB311_423 Depth=1
	s_or_b32 exec_lo, exec_lo, s22
	v_cmp_ne_u16_sdwa s0, v15, v10 src0_sel:BYTE_1 src1_sel:DWORD
	s_and_saveexec_b32 s22, s0
	s_cbranch_execz .LBB311_748
; %bb.741:                              ;   in Loop: Header=BB311_423 Depth=1
	v_cmp_ne_u16_sdwa s0, v15, v29 src0_sel:BYTE_1 src1_sel:DWORD
	v_bfrev_b32_e32 v84, 1
	s_and_saveexec_b32 s26, s0
	s_cbranch_execz .LBB311_747
; %bb.742:                              ;   in Loop: Header=BB311_423 Depth=1
	v_and_b32_sdwa v9, v30, v15 dst_sel:DWORD dst_unused:UNUSED_PAD src0_sel:DWORD src1_sel:BYTE_1
	v_mov_b32_e32 v84, 0x7f800001
	s_mov_b32 s27, exec_lo
	v_and_b32_e32 v18, 0x7f, v9
	v_cmpx_ne_u32_e32 0x7f, v18
	s_cbranch_execz .LBB311_746
; %bb.743:                              ;   in Loop: Header=BB311_423 Depth=1
	v_and_b32_e32 v9, 7, v9
	v_lshrrev_b32_e32 v17, 3, v18
	s_mov_b32 s28, exec_lo
	v_cmpx_gt_u32_e32 8, v18
; %bb.744:                              ;   in Loop: Header=BB311_423 Depth=1
	v_ffbh_u32_e32 v17, v9
	v_min_u32_e32 v17, 32, v17
	v_subrev_nc_u32_e32 v18, 28, v17
	v_sub_nc_u32_e32 v17, 29, v17
	v_lshlrev_b64 v[84:85], v18, v[9:10]
	v_and_b32_e32 v9, 7, v84
; %bb.745:                              ;   in Loop: Header=BB311_423 Depth=1
	s_or_b32 exec_lo, exec_lo, s28
	v_lshlrev_b32_e32 v18, 16, v15
	v_lshlrev_b32_e32 v9, 20, v9
	v_lshl_add_u32 v17, v17, 23, 0x3c000000
	v_and_b32_e32 v18, 0x80000000, v18
	v_or3_b32 v84, v9, v18, v17
.LBB311_746:                            ;   in Loop: Header=BB311_423 Depth=1
	s_or_b32 exec_lo, exec_lo, s27
.LBB311_747:                            ;   in Loop: Header=BB311_423 Depth=1
	s_or_b32 exec_lo, exec_lo, s26
.LBB311_748:                            ;   in Loop: Header=BB311_423 Depth=1
	s_or_b32 exec_lo, exec_lo, s22
	v_and_b32_sdwa v9, v15, v31 dst_sel:DWORD dst_unused:UNUSED_PAD src0_sel:WORD_1 src1_sel:DWORD
	v_mov_b32_e32 v86, 0
	v_mov_b32_e32 v85, 0
	s_mov_b32 s22, exec_lo
	v_cmpx_ne_u16_e32 0, v9
	s_cbranch_execz .LBB311_756
; %bb.749:                              ;   in Loop: Header=BB311_423 Depth=1
	v_bfrev_b32_e32 v85, 1
	s_mov_b32 s26, exec_lo
	v_cmpx_ne_u16_e32 0x80, v9
	s_cbranch_execz .LBB311_755
; %bb.750:                              ;   in Loop: Header=BB311_423 Depth=1
	v_bfe_u32 v18, v15, 16, 7
	v_mov_b32_e32 v85, 0x7f800001
	s_mov_b32 s27, exec_lo
	v_cmpx_ne_u32_e32 0x7f, v18
	s_cbranch_execz .LBB311_754
; %bb.751:                              ;   in Loop: Header=BB311_423 Depth=1
	v_and_b32_sdwa v9, v15, v32 dst_sel:DWORD dst_unused:UNUSED_PAD src0_sel:WORD_1 src1_sel:DWORD
	v_lshrrev_b32_e32 v17, 3, v18
	s_mov_b32 s28, exec_lo
	v_cmpx_gt_u32_e32 8, v18
; %bb.752:                              ;   in Loop: Header=BB311_423 Depth=1
	v_ffbh_u32_e32 v17, v9
	v_min_u32_e32 v17, 32, v17
	v_subrev_nc_u32_e32 v18, 28, v17
	v_sub_nc_u32_e32 v17, 29, v17
	v_lshlrev_b64 v[87:88], v18, v[9:10]
	v_and_b32_e32 v9, 7, v87
; %bb.753:                              ;   in Loop: Header=BB311_423 Depth=1
	s_or_b32 exec_lo, exec_lo, s28
	v_lshlrev_b32_sdwa v18, v35, v15 dst_sel:DWORD dst_unused:UNUSED_PAD src0_sel:DWORD src1_sel:WORD_1
	v_lshlrev_b32_e32 v9, 20, v9
	v_lshl_add_u32 v17, v17, 23, 0x3c000000
	v_and_b32_e32 v18, 0x80000000, v18
	v_or3_b32 v85, v9, v18, v17
.LBB311_754:                            ;   in Loop: Header=BB311_423 Depth=1
	s_or_b32 exec_lo, exec_lo, s27
.LBB311_755:                            ;   in Loop: Header=BB311_423 Depth=1
	s_or_b32 exec_lo, exec_lo, s26
.LBB311_756:                            ;   in Loop: Header=BB311_423 Depth=1
	s_or_b32 exec_lo, exec_lo, s22
	s_mov_b32 s22, exec_lo
	v_cmpx_lt_u32_e32 0xffffff, v15
	s_cbranch_execz .LBB311_764
; %bb.757:                              ;   in Loop: Header=BB311_423 Depth=1
	v_cmp_ne_u32_sdwa s0, v15, v29 src0_sel:BYTE_3 src1_sel:DWORD
	v_bfrev_b32_e32 v86, 1
	s_and_saveexec_b32 s26, s0
	s_cbranch_execz .LBB311_763
; %bb.758:                              ;   in Loop: Header=BB311_423 Depth=1
	v_bfe_u32 v18, v15, 24, 7
	v_mov_b32_e32 v86, 0x7f800001
	s_mov_b32 s27, exec_lo
	v_cmpx_ne_u32_e32 0x7f, v18
	s_cbranch_execz .LBB311_762
; %bb.759:                              ;   in Loop: Header=BB311_423 Depth=1
	v_and_b32_sdwa v9, v15, v32 dst_sel:DWORD dst_unused:UNUSED_PAD src0_sel:BYTE_3 src1_sel:DWORD
	v_lshrrev_b32_e32 v17, 3, v18
	s_mov_b32 s28, exec_lo
	v_cmpx_gt_u32_e32 8, v18
; %bb.760:                              ;   in Loop: Header=BB311_423 Depth=1
	v_ffbh_u32_e32 v17, v9
	v_min_u32_e32 v17, 32, v17
	v_subrev_nc_u32_e32 v18, 28, v17
	v_sub_nc_u32_e32 v17, 29, v17
	v_lshlrev_b64 v[86:87], v18, v[9:10]
	v_and_b32_e32 v9, 7, v86
; %bb.761:                              ;   in Loop: Header=BB311_423 Depth=1
	s_or_b32 exec_lo, exec_lo, s28
	v_lshlrev_b32_sdwa v18, v35, v15 dst_sel:DWORD dst_unused:UNUSED_PAD src0_sel:DWORD src1_sel:BYTE_3
	v_lshlrev_b32_e32 v9, 20, v9
	v_lshl_add_u32 v17, v17, 23, 0x3c000000
	v_and_b32_e32 v18, 0x80000000, v18
	v_or3_b32 v86, v9, v18, v17
.LBB311_762:                            ;   in Loop: Header=BB311_423 Depth=1
	s_or_b32 exec_lo, exec_lo, s27
.LBB311_763:                            ;   in Loop: Header=BB311_423 Depth=1
	s_or_b32 exec_lo, exec_lo, s26
.LBB311_764:                            ;   in Loop: Header=BB311_423 Depth=1
	s_or_b32 exec_lo, exec_lo, s22
	v_mov_b32_e32 v9, v16
	v_cmp_ne_u16_sdwa s0, v16, v10 src0_sel:BYTE_0 src1_sel:DWORD
	v_mov_b32_e32 v17, 0
	v_mov_b32_e32 v87, 0
	s_and_saveexec_b32 s22, s0
	s_cbranch_execz .LBB311_770
; %bb.765:                              ;   in Loop: Header=BB311_423 Depth=1
	v_cmp_ne_u16_sdwa s0, v16, v29 src0_sel:BYTE_0 src1_sel:DWORD
	v_bfrev_b32_e32 v87, 1
	s_and_saveexec_b32 s26, s0
	s_cbranch_execz .LBB311_769
; %bb.766:                              ;   in Loop: Header=BB311_423 Depth=1
	v_and_b32_e32 v18, 0x7f, v16
	v_mov_b32_e32 v87, 0x7f800001
	s_mov_b32 s27, exec_lo
	v_cmpx_ne_u32_e32 0x7f, v18
	s_cbranch_execz .LBB311_768
; %bb.767:                              ;   in Loop: Header=BB311_423 Depth=1
	v_and_b32_e32 v87, 7, v16
	v_lshrrev_b32_e32 v88, 3, v18
	v_cmp_gt_u32_e64 s0, 8, v18
	v_ffbh_u32_e32 v87, v87
	v_min_u32_e32 v87, 32, v87
	v_subrev_nc_u32_e32 v89, 28, v87
	v_sub_nc_u32_e32 v87, 29, v87
	v_cndmask_b32_e64 v18, v88, v87, s0
	v_cndmask_b32_e64 v87, 0, v89, s0
	v_lshl_add_u32 v18, v18, 23, 0x3c000000
	v_lshlrev_b64 v[87:88], v87, v[9:10]
	v_lshlrev_b32_e32 v88, 24, v9
	v_lshlrev_b32_e32 v87, 20, v87
	v_and_b32_e32 v88, 0x80000000, v88
	v_and_b32_e32 v87, 0x700000, v87
	v_or3_b32 v87, v87, v88, v18
.LBB311_768:                            ;   in Loop: Header=BB311_423 Depth=1
	s_or_b32 exec_lo, exec_lo, s27
.LBB311_769:                            ;   in Loop: Header=BB311_423 Depth=1
	s_or_b32 exec_lo, exec_lo, s26
.LBB311_770:                            ;   in Loop: Header=BB311_423 Depth=1
	s_or_b32 exec_lo, exec_lo, s22
	v_cmp_ne_u16_sdwa s0, v9, v10 src0_sel:BYTE_1 src1_sel:DWORD
	s_and_saveexec_b32 s22, s0
	s_cbranch_execz .LBB311_778
; %bb.771:                              ;   in Loop: Header=BB311_423 Depth=1
	v_cmp_ne_u16_sdwa s0, v9, v29 src0_sel:BYTE_1 src1_sel:DWORD
	v_bfrev_b32_e32 v17, 1
	s_and_saveexec_b32 s26, s0
	s_cbranch_execz .LBB311_777
; %bb.772:                              ;   in Loop: Header=BB311_423 Depth=1
	v_and_b32_sdwa v18, v30, v9 dst_sel:DWORD dst_unused:UNUSED_PAD src0_sel:DWORD src1_sel:BYTE_1
	v_mov_b32_e32 v17, 0x7f800001
	s_mov_b32 s27, exec_lo
	v_and_b32_e32 v89, 0x7f, v18
	v_cmpx_ne_u32_e32 0x7f, v89
	s_cbranch_execz .LBB311_776
; %bb.773:                              ;   in Loop: Header=BB311_423 Depth=1
	v_and_b32_e32 v17, 7, v18
	v_mov_b32_e32 v18, v10
	v_lshrrev_b32_e32 v88, 3, v89
	s_mov_b32 s28, exec_lo
	v_cmpx_gt_u32_e32 8, v89
; %bb.774:                              ;   in Loop: Header=BB311_423 Depth=1
	v_ffbh_u32_e32 v88, v17
	v_min_u32_e32 v88, 32, v88
	v_subrev_nc_u32_e32 v89, 28, v88
	v_sub_nc_u32_e32 v88, 29, v88
	v_lshlrev_b64 v[17:18], v89, v[17:18]
	v_and_b32_e32 v17, 7, v17
; %bb.775:                              ;   in Loop: Header=BB311_423 Depth=1
	s_or_b32 exec_lo, exec_lo, s28
	v_lshlrev_b32_e32 v9, 16, v9
	v_lshlrev_b32_e32 v17, 20, v17
	v_lshl_add_u32 v18, v88, 23, 0x3c000000
	v_and_b32_e32 v9, 0x80000000, v9
	v_or3_b32 v17, v17, v9, v18
.LBB311_776:                            ;   in Loop: Header=BB311_423 Depth=1
	s_or_b32 exec_lo, exec_lo, s27
.LBB311_777:                            ;   in Loop: Header=BB311_423 Depth=1
	s_or_b32 exec_lo, exec_lo, s26
.LBB311_778:                            ;   in Loop: Header=BB311_423 Depth=1
	s_or_b32 exec_lo, exec_lo, s22
	v_and_b32_sdwa v9, v16, v31 dst_sel:DWORD dst_unused:UNUSED_PAD src0_sel:WORD_1 src1_sel:DWORD
	v_mov_b32_e32 v18, 0
	v_mov_b32_e32 v88, 0
	s_mov_b32 s22, exec_lo
	v_cmpx_ne_u16_e32 0, v9
	s_cbranch_execz .LBB311_786
; %bb.779:                              ;   in Loop: Header=BB311_423 Depth=1
	v_bfrev_b32_e32 v88, 1
	s_mov_b32 s26, exec_lo
	v_cmpx_ne_u16_e32 0x80, v9
	s_cbranch_execz .LBB311_785
; %bb.780:                              ;   in Loop: Header=BB311_423 Depth=1
	v_bfe_u32 v89, v16, 16, 7
	v_mov_b32_e32 v88, 0x7f800001
	s_mov_b32 s27, exec_lo
	v_cmpx_ne_u32_e32 0x7f, v89
	s_cbranch_execz .LBB311_784
; %bb.781:                              ;   in Loop: Header=BB311_423 Depth=1
	v_and_b32_sdwa v9, v16, v32 dst_sel:DWORD dst_unused:UNUSED_PAD src0_sel:WORD_1 src1_sel:DWORD
	v_lshrrev_b32_e32 v88, 3, v89
	s_mov_b32 s28, exec_lo
	v_cmpx_gt_u32_e32 8, v89
; %bb.782:                              ;   in Loop: Header=BB311_423 Depth=1
	v_ffbh_u32_e32 v88, v9
	v_min_u32_e32 v88, 32, v88
	v_subrev_nc_u32_e32 v89, 28, v88
	v_sub_nc_u32_e32 v88, 29, v88
	v_lshlrev_b64 v[89:90], v89, v[9:10]
	v_and_b32_e32 v9, 7, v89
; %bb.783:                              ;   in Loop: Header=BB311_423 Depth=1
	s_or_b32 exec_lo, exec_lo, s28
	v_lshlrev_b32_sdwa v89, v35, v16 dst_sel:DWORD dst_unused:UNUSED_PAD src0_sel:DWORD src1_sel:WORD_1
	v_lshlrev_b32_e32 v9, 20, v9
	v_lshl_add_u32 v88, v88, 23, 0x3c000000
	v_and_b32_e32 v89, 0x80000000, v89
	v_or3_b32 v88, v9, v89, v88
.LBB311_784:                            ;   in Loop: Header=BB311_423 Depth=1
	s_or_b32 exec_lo, exec_lo, s27
.LBB311_785:                            ;   in Loop: Header=BB311_423 Depth=1
	s_or_b32 exec_lo, exec_lo, s26
.LBB311_786:                            ;   in Loop: Header=BB311_423 Depth=1
	s_or_b32 exec_lo, exec_lo, s22
	s_mov_b32 s22, exec_lo
	v_cmpx_lt_u64_e64 s[2:3], v[15:16]
	s_cbranch_execz .LBB311_794
; %bb.787:                              ;   in Loop: Header=BB311_423 Depth=1
	v_cmp_ne_u32_sdwa s0, v16, v29 src0_sel:BYTE_3 src1_sel:DWORD
	v_bfrev_b32_e32 v18, 1
	s_and_saveexec_b32 s26, s0
	s_cbranch_execz .LBB311_793
; %bb.788:                              ;   in Loop: Header=BB311_423 Depth=1
	v_bfe_u32 v89, v16, 24, 7
	v_mov_b32_e32 v18, 0x7f800001
	s_mov_b32 s27, exec_lo
	v_cmpx_ne_u32_e32 0x7f, v89
	s_cbranch_execz .LBB311_792
; %bb.789:                              ;   in Loop: Header=BB311_423 Depth=1
	v_and_b32_sdwa v9, v16, v32 dst_sel:DWORD dst_unused:UNUSED_PAD src0_sel:BYTE_3 src1_sel:DWORD
	v_lshrrev_b32_e32 v15, 3, v89
	s_mov_b32 s28, exec_lo
	v_cmpx_gt_u32_e32 8, v89
; %bb.790:                              ;   in Loop: Header=BB311_423 Depth=1
	v_ffbh_u32_e32 v15, v9
	v_min_u32_e32 v15, 32, v15
	v_subrev_nc_u32_e32 v18, 28, v15
	v_sub_nc_u32_e32 v15, 29, v15
	v_lshlrev_b64 v[89:90], v18, v[9:10]
	v_and_b32_e32 v9, 7, v89
; %bb.791:                              ;   in Loop: Header=BB311_423 Depth=1
	s_or_b32 exec_lo, exec_lo, s28
	v_lshlrev_b32_sdwa v16, v35, v16 dst_sel:DWORD dst_unused:UNUSED_PAD src0_sel:DWORD src1_sel:BYTE_3
	v_lshlrev_b32_e32 v9, 20, v9
	v_lshl_add_u32 v15, v15, 23, 0x3c000000
	v_and_b32_e32 v16, 0x80000000, v16
	v_or3_b32 v18, v9, v16, v15
.LBB311_792:                            ;   in Loop: Header=BB311_423 Depth=1
	s_or_b32 exec_lo, exec_lo, s27
.LBB311_793:                            ;   in Loop: Header=BB311_423 Depth=1
	s_or_b32 exec_lo, exec_lo, s26
.LBB311_794:                            ;   in Loop: Header=BB311_423 Depth=1
	s_or_b32 exec_lo, exec_lo, s22
	v_mul_f32_e32 v9, s21, v17
	v_mul_f32_e32 v15, s21, v87
	;; [unrolled: 1-line block ×5, first 2 shown]
	v_bfe_u32 v17, v9, 16, 1
	v_or_b32_e32 v86, 0x400000, v9
	v_bfe_u32 v87, v15, 16, 1
	v_cmp_u_f32_e64 s0, v9, v9
	v_or_b32_e32 v89, 0x400000, v15
	v_add3_u32 v17, v17, v9, 0x7fff
	v_bfe_u32 v90, v16, 16, 1
	v_add3_u32 v87, v87, v15, 0x7fff
	v_or_b32_e32 v91, 0x400000, v16
	v_bfe_u32 v92, v85, 16, 1
	v_cndmask_b32_e64 v9, v17, v86, s0
	v_cmp_u_f32_e64 s0, v15, v15
	v_add3_u32 v90, v90, v16, 0x7fff
	v_mul_f32_e32 v83, s21, v83
	v_add3_u32 v86, v92, v85, 0x7fff
	v_lshrrev_b32_e32 v15, 16, v9
	v_cndmask_b32_e64 v17, v87, v89, s0
	v_cmp_u_f32_e64 s0, v16, v16
	v_or_b32_e32 v87, 0x400000, v85
	v_mul_f32_e32 v18, s21, v18
	v_lshrrev_b32_e32 v9, 16, v17
	v_cndmask_b32_e64 v16, v90, v91, s0
	v_cmp_u_f32_e64 s0, v85, v85
	v_or_b32_e32 v91, 0x400000, v18
	v_lshrrev_b32_e32 v17, 16, v16
	v_bfe_u32 v16, v84, 16, 1
	v_cndmask_b32_e64 v85, v86, v87, s0
	v_mul_f32_e32 v86, s21, v88
	v_or_b32_e32 v87, 0x400000, v84
	v_bfe_u32 v88, v83, 16, 1
	v_add3_u32 v16, v16, v84, 0x7fff
	v_cmp_u_f32_e64 s0, v84, v84
	v_bfe_u32 v89, v86, 16, 1
	v_bfe_u32 v84, v18, 16, 1
	v_or_b32_e32 v90, 0x400000, v86
	v_cndmask_b32_e64 v16, v16, v87, s0
	v_add3_u32 v87, v88, v83, 0x7fff
	v_or_b32_e32 v88, 0x400000, v83
	v_cmp_u_f32_e64 s0, v83, v83
	v_add3_u32 v89, v89, v86, 0x7fff
	v_add3_u32 v84, v84, v18, 0x7fff
	v_lshrrev_b32_e32 v83, 16, v85
	v_lshrrev_b32_e32 v85, 16, v16
	v_cndmask_b32_e64 v87, v87, v88, s0
	v_cmp_u_f32_e64 s0, v86, v86
	v_cndmask_b32_e64 v86, v89, v90, s0
	v_cmp_u_f32_e64 s0, v18, v18
	v_lshrrev_b32_e32 v16, 16, v86
	v_cndmask_b32_e64 v18, v84, v91, s0
	v_lshrrev_b32_e32 v84, 16, v87
	v_lshrrev_b32_e32 v18, 16, v18
	s_and_saveexec_b32 s0, vcc_lo
	s_cbranch_execz .LBB311_421
; %bb.795:                              ;   in Loop: Header=BB311_423 Depth=1
	v_cmp_gt_i32_e32 vcc_lo, s33, v34
	v_cndmask_b32_e32 v84, 0, v84, vcc_lo
	v_cmp_gt_i32_e32 vcc_lo, s33, v52
	v_cndmask_b32_e32 v85, 0, v85, vcc_lo
	;; [unrolled: 2-line block ×8, first 2 shown]
	s_branch .LBB311_421
.LBB311_796:
	s_or_b32 exec_lo, exec_lo, s17
.LBB311_797:
	s_or_b32 exec_lo, exec_lo, s1
	v_lshl_add_u32 v2, v21, 2, 0x1a0
	v_and_b32_e32 v3, 0x3c0, v0
	s_mov_b32 s0, exec_lo
	s_barrier
	v_mad_u32_u24 v1, 0x300, v33, v2
	buffer_gl0_inv
	v_cmpx_eq_u32_e32 64, v3
	s_cbranch_execz .LBB311_799
; %bb.798:
	v_add_nc_u32_e32 v3, 0xfffffa00, v1
	v_add_nc_u32_e32 v4, 0xfffffa80, v1
	;; [unrolled: 1-line block ×5, first 2 shown]
	ds_write_b32 v3, v27
	v_add_nc_u32_e32 v3, 0xfffffc80, v1
	ds_write_b32 v4, v26
	ds_write_b32 v5, v25
	;; [unrolled: 1-line block ×5, first 2 shown]
.LBB311_799:
	s_or_b32 exec_lo, exec_lo, s0
	s_mov_b32 s0, exec_lo
	s_waitcnt lgkmcnt(0)
	s_barrier
	buffer_gl0_inv
	v_cmpx_gt_u32_e32 64, v0
	s_cbranch_execz .LBB311_801
; %bb.800:
	ds_read2_b32 v[3:4], v1 offset1:32
	ds_read2_b32 v[5:6], v1 offset0:64 offset1:96
	ds_read2_b32 v[7:8], v1 offset0:128 offset1:160
	s_waitcnt lgkmcnt(2)
	v_add_f32_e32 v27, v27, v3
	v_add_f32_e32 v26, v26, v4
	s_waitcnt lgkmcnt(1)
	v_add_f32_e32 v25, v25, v5
	v_add_f32_e32 v24, v24, v6
	;; [unrolled: 3-line block ×3, first 2 shown]
.LBB311_801:
	s_or_b32 exec_lo, exec_lo, s0
	v_and_b32_e32 v3, 0x3e0, v0
	s_mov_b32 s0, exec_lo
	s_barrier
	buffer_gl0_inv
	v_cmpx_eq_u32_e32 32, v3
	s_cbranch_execz .LBB311_803
; %bb.802:
	ds_write2_b32 v2, v27, v26 offset1:32
	ds_write2_b32 v2, v25, v24 offset0:64 offset1:96
	ds_write2_b32 v2, v23, v22 offset0:128 offset1:160
.LBB311_803:
	s_or_b32 exec_lo, exec_lo, s0
	v_cmp_gt_u32_e32 vcc_lo, 32, v0
	s_waitcnt lgkmcnt(0)
	s_barrier
	buffer_gl0_inv
	s_and_saveexec_b32 s0, vcc_lo
	s_cbranch_execz .LBB311_805
; %bb.804:
	ds_read2_b32 v[2:3], v1 offset1:32
	ds_read2_b32 v[4:5], v1 offset0:64 offset1:96
	ds_read2_b32 v[6:7], v1 offset0:128 offset1:160
	s_waitcnt lgkmcnt(2)
	v_add_f32_e32 v27, v27, v2
	v_add_f32_e32 v26, v26, v3
	s_waitcnt lgkmcnt(1)
	v_add_f32_e32 v25, v25, v4
	v_add_f32_e32 v24, v24, v5
	;; [unrolled: 3-line block ×3, first 2 shown]
.LBB311_805:
	s_or_b32 exec_lo, exec_lo, s0
	s_barrier
	buffer_gl0_inv
	s_and_saveexec_b32 s0, vcc_lo
	s_cbranch_execz .LBB311_807
; %bb.806:
	s_mul_i32 s0, s10, s11
	v_bfe_u32 v1, v27, 16, 1
	s_mul_i32 s0, s0, s9
	s_mul_i32 s2, s11, s24
	s_mulk_i32 s0, 0xc0
	v_or_b32_e32 v2, 0x400000, v27
	s_ashr_i32 s1, s0, 31
	v_add3_u32 v1, v1, v27, 0x7fff
	s_lshl_b64 s[0:1], s[0:1], 1
	v_bfe_u32 v3, v26, 16, 1
	s_add_u32 s5, s6, s0
	s_addc_u32 s6, s7, s1
	s_ashr_i32 s3, s2, 31
	v_cmp_u_f32_e32 vcc_lo, v27, v27
	s_lshl_b64 s[0:1], s[2:3], 1
	s_mul_i32 s4, s8, 0xc0
	s_add_u32 s2, s5, s0
	s_addc_u32 s3, s6, s1
	s_ashr_i32 s5, s4, 31
	v_lshlrev_b32_e32 v0, 1, v0
	s_lshl_b64 s[0:1], s[4:5], 1
	v_cndmask_b32_e32 v1, v1, v2, vcc_lo
	v_bfe_u32 v2, v25, 16, 1
	v_add3_u32 v3, v3, v26, 0x7fff
	v_or_b32_e32 v4, 0x400000, v26
	v_cmp_u_f32_e32 vcc_lo, v26, v26
	s_add_u32 s0, s2, s0
	s_addc_u32 s1, s3, s1
	v_bfe_u32 v5, v23, 16, 1
	global_store_short_d16_hi v0, v1, s[0:1]
	v_add3_u32 v1, v2, v25, 0x7fff
	v_or_b32_e32 v2, 0x400000, v25
	v_cndmask_b32_e32 v3, v3, v4, vcc_lo
	v_bfe_u32 v4, v24, 16, 1
	v_cmp_u_f32_e32 vcc_lo, v25, v25
	v_or_b32_e32 v6, 0x400000, v24
	v_add3_u32 v5, v5, v23, 0x7fff
	v_or_b32_e32 v7, 0x400000, v23
	v_add3_u32 v4, v4, v24, 0x7fff
	v_cndmask_b32_e32 v1, v1, v2, vcc_lo
	v_cmp_u_f32_e32 vcc_lo, v24, v24
	v_bfe_u32 v2, v22, 16, 1
	v_or_b32_e32 v8, 0x400000, v22
	v_cndmask_b32_e32 v4, v4, v6, vcc_lo
	v_cmp_u_f32_e32 vcc_lo, v23, v23
	v_add3_u32 v2, v2, v22, 0x7fff
	v_cndmask_b32_e32 v5, v5, v7, vcc_lo
	v_cmp_u_f32_e32 vcc_lo, v22, v22
	v_cndmask_b32_e32 v2, v2, v8, vcc_lo
	global_store_short_d16_hi v0, v3, s[0:1] offset:64
	global_store_short_d16_hi v0, v1, s[0:1] offset:128
	global_store_short_d16_hi v0, v4, s[0:1] offset:192
	global_store_short_d16_hi v0, v5, s[0:1] offset:256
	global_store_short_d16_hi v0, v2, s[0:1] offset:320
.LBB311_807:
	s_endpgm
	.section	.rodata,"a",@progbits
	.p2align	6, 0x0
	.amdhsa_kernel _ZN4vllm25paged_attention_v1_kernelI14__hip_bfloat16hLi192ELi8ELi128ELNS_18Fp8KVCacheDataTypeE1ELb1EEEvPT_PKS3_PKT0_S9_ifPKiSB_iPKfiiiSD_SD_iiiii
		.amdhsa_group_segment_fixed_size 416
		.amdhsa_private_segment_fixed_size 0
		.amdhsa_kernarg_size 384
		.amdhsa_user_sgpr_count 6
		.amdhsa_user_sgpr_private_segment_buffer 1
		.amdhsa_user_sgpr_dispatch_ptr 0
		.amdhsa_user_sgpr_queue_ptr 0
		.amdhsa_user_sgpr_kernarg_segment_ptr 1
		.amdhsa_user_sgpr_dispatch_id 0
		.amdhsa_user_sgpr_flat_scratch_init 0
		.amdhsa_user_sgpr_private_segment_size 0
		.amdhsa_wavefront_size32 1
		.amdhsa_uses_dynamic_stack 0
		.amdhsa_system_sgpr_private_segment_wavefront_offset 0
		.amdhsa_system_sgpr_workgroup_id_x 1
		.amdhsa_system_sgpr_workgroup_id_y 1
		.amdhsa_system_sgpr_workgroup_id_z 1
		.amdhsa_system_sgpr_workgroup_info 0
		.amdhsa_system_vgpr_workitem_id 0
		.amdhsa_next_free_vgpr 115
		.amdhsa_next_free_sgpr 45
		.amdhsa_reserve_vcc 1
		.amdhsa_reserve_flat_scratch 0
		.amdhsa_float_round_mode_32 0
		.amdhsa_float_round_mode_16_64 0
		.amdhsa_float_denorm_mode_32 3
		.amdhsa_float_denorm_mode_16_64 3
		.amdhsa_dx10_clamp 1
		.amdhsa_ieee_mode 1
		.amdhsa_fp16_overflow 0
		.amdhsa_workgroup_processor_mode 1
		.amdhsa_memory_ordered 1
		.amdhsa_forward_progress 1
		.amdhsa_shared_vgpr_count 0
		.amdhsa_exception_fp_ieee_invalid_op 0
		.amdhsa_exception_fp_denorm_src 0
		.amdhsa_exception_fp_ieee_div_zero 0
		.amdhsa_exception_fp_ieee_overflow 0
		.amdhsa_exception_fp_ieee_underflow 0
		.amdhsa_exception_fp_ieee_inexact 0
		.amdhsa_exception_int_div_zero 0
	.end_amdhsa_kernel
	.section	.text._ZN4vllm25paged_attention_v1_kernelI14__hip_bfloat16hLi192ELi8ELi128ELNS_18Fp8KVCacheDataTypeE1ELb1EEEvPT_PKS3_PKT0_S9_ifPKiSB_iPKfiiiSD_SD_iiiii,"axG",@progbits,_ZN4vllm25paged_attention_v1_kernelI14__hip_bfloat16hLi192ELi8ELi128ELNS_18Fp8KVCacheDataTypeE1ELb1EEEvPT_PKS3_PKT0_S9_ifPKiSB_iPKfiiiSD_SD_iiiii,comdat
.Lfunc_end311:
	.size	_ZN4vllm25paged_attention_v1_kernelI14__hip_bfloat16hLi192ELi8ELi128ELNS_18Fp8KVCacheDataTypeE1ELb1EEEvPT_PKS3_PKT0_S9_ifPKiSB_iPKfiiiSD_SD_iiiii, .Lfunc_end311-_ZN4vllm25paged_attention_v1_kernelI14__hip_bfloat16hLi192ELi8ELi128ELNS_18Fp8KVCacheDataTypeE1ELb1EEEvPT_PKS3_PKT0_S9_ifPKiSB_iPKfiiiSD_SD_iiiii
                                        ; -- End function
	.set _ZN4vllm25paged_attention_v1_kernelI14__hip_bfloat16hLi192ELi8ELi128ELNS_18Fp8KVCacheDataTypeE1ELb1EEEvPT_PKS3_PKT0_S9_ifPKiSB_iPKfiiiSD_SD_iiiii.num_vgpr, 115
	.set _ZN4vllm25paged_attention_v1_kernelI14__hip_bfloat16hLi192ELi8ELi128ELNS_18Fp8KVCacheDataTypeE1ELb1EEEvPT_PKS3_PKT0_S9_ifPKiSB_iPKfiiiSD_SD_iiiii.num_agpr, 0
	.set _ZN4vllm25paged_attention_v1_kernelI14__hip_bfloat16hLi192ELi8ELi128ELNS_18Fp8KVCacheDataTypeE1ELb1EEEvPT_PKS3_PKT0_S9_ifPKiSB_iPKfiiiSD_SD_iiiii.numbered_sgpr, 45
	.set _ZN4vllm25paged_attention_v1_kernelI14__hip_bfloat16hLi192ELi8ELi128ELNS_18Fp8KVCacheDataTypeE1ELb1EEEvPT_PKS3_PKT0_S9_ifPKiSB_iPKfiiiSD_SD_iiiii.num_named_barrier, 0
	.set _ZN4vllm25paged_attention_v1_kernelI14__hip_bfloat16hLi192ELi8ELi128ELNS_18Fp8KVCacheDataTypeE1ELb1EEEvPT_PKS3_PKT0_S9_ifPKiSB_iPKfiiiSD_SD_iiiii.private_seg_size, 0
	.set _ZN4vllm25paged_attention_v1_kernelI14__hip_bfloat16hLi192ELi8ELi128ELNS_18Fp8KVCacheDataTypeE1ELb1EEEvPT_PKS3_PKT0_S9_ifPKiSB_iPKfiiiSD_SD_iiiii.uses_vcc, 1
	.set _ZN4vllm25paged_attention_v1_kernelI14__hip_bfloat16hLi192ELi8ELi128ELNS_18Fp8KVCacheDataTypeE1ELb1EEEvPT_PKS3_PKT0_S9_ifPKiSB_iPKfiiiSD_SD_iiiii.uses_flat_scratch, 0
	.set _ZN4vllm25paged_attention_v1_kernelI14__hip_bfloat16hLi192ELi8ELi128ELNS_18Fp8KVCacheDataTypeE1ELb1EEEvPT_PKS3_PKT0_S9_ifPKiSB_iPKfiiiSD_SD_iiiii.has_dyn_sized_stack, 0
	.set _ZN4vllm25paged_attention_v1_kernelI14__hip_bfloat16hLi192ELi8ELi128ELNS_18Fp8KVCacheDataTypeE1ELb1EEEvPT_PKS3_PKT0_S9_ifPKiSB_iPKfiiiSD_SD_iiiii.has_recursion, 0
	.set _ZN4vllm25paged_attention_v1_kernelI14__hip_bfloat16hLi192ELi8ELi128ELNS_18Fp8KVCacheDataTypeE1ELb1EEEvPT_PKS3_PKT0_S9_ifPKiSB_iPKfiiiSD_SD_iiiii.has_indirect_call, 0
	.section	.AMDGPU.csdata,"",@progbits
; Kernel info:
; codeLenInByte = 30640
; TotalNumSgprs: 47
; NumVgprs: 115
; ScratchSize: 0
; MemoryBound: 0
; FloatMode: 240
; IeeeMode: 1
; LDSByteSize: 416 bytes/workgroup (compile time only)
; SGPRBlocks: 0
; VGPRBlocks: 14
; NumSGPRsForWavesPerEU: 47
; NumVGPRsForWavesPerEU: 115
; Occupancy: 8
; WaveLimiterHint : 1
; COMPUTE_PGM_RSRC2:SCRATCH_EN: 0
; COMPUTE_PGM_RSRC2:USER_SGPR: 6
; COMPUTE_PGM_RSRC2:TRAP_HANDLER: 0
; COMPUTE_PGM_RSRC2:TGID_X_EN: 1
; COMPUTE_PGM_RSRC2:TGID_Y_EN: 1
; COMPUTE_PGM_RSRC2:TGID_Z_EN: 1
; COMPUTE_PGM_RSRC2:TIDIG_COMP_CNT: 0
	.section	.text._ZN4vllm25paged_attention_v1_kernelI14__hip_bfloat16hLi256ELi8ELi128ELNS_18Fp8KVCacheDataTypeE1ELb1EEEvPT_PKS3_PKT0_S9_ifPKiSB_iPKfiiiSD_SD_iiiii,"axG",@progbits,_ZN4vllm25paged_attention_v1_kernelI14__hip_bfloat16hLi256ELi8ELi128ELNS_18Fp8KVCacheDataTypeE1ELb1EEEvPT_PKS3_PKT0_S9_ifPKiSB_iPKfiiiSD_SD_iiiii,comdat
	.protected	_ZN4vllm25paged_attention_v1_kernelI14__hip_bfloat16hLi256ELi8ELi128ELNS_18Fp8KVCacheDataTypeE1ELb1EEEvPT_PKS3_PKT0_S9_ifPKiSB_iPKfiiiSD_SD_iiiii ; -- Begin function _ZN4vllm25paged_attention_v1_kernelI14__hip_bfloat16hLi256ELi8ELi128ELNS_18Fp8KVCacheDataTypeE1ELb1EEEvPT_PKS3_PKT0_S9_ifPKiSB_iPKfiiiSD_SD_iiiii
	.globl	_ZN4vllm25paged_attention_v1_kernelI14__hip_bfloat16hLi256ELi8ELi128ELNS_18Fp8KVCacheDataTypeE1ELb1EEEvPT_PKS3_PKT0_S9_ifPKiSB_iPKfiiiSD_SD_iiiii
	.p2align	8
	.type	_ZN4vllm25paged_attention_v1_kernelI14__hip_bfloat16hLi256ELi8ELi128ELNS_18Fp8KVCacheDataTypeE1ELb1EEEvPT_PKS3_PKT0_S9_ifPKiSB_iPKfiiiSD_SD_iiiii,@function
_ZN4vllm25paged_attention_v1_kernelI14__hip_bfloat16hLi256ELi8ELi128ELNS_18Fp8KVCacheDataTypeE1ELb1EEEvPT_PKS3_PKT0_S9_ifPKiSB_iPKfiiiSD_SD_iiiii: ; @_ZN4vllm25paged_attention_v1_kernelI14__hip_bfloat16hLi256ELi8ELi128ELNS_18Fp8KVCacheDataTypeE1ELb1EEEvPT_PKS3_PKT0_S9_ifPKiSB_iPKfiiiSD_SD_iiiii
; %bb.0:
	s_mov_b64 s[50:51], s[2:3]
	s_mov_b64 s[48:49], s[0:1]
	s_mov_b32 s10, s7
	s_add_u32 s48, s48, s9
	s_clause 0x2
	s_load_dword s9, s[4:5], 0x80
	s_load_dwordx2 s[0:1], s[4:5], 0x30
	s_load_dwordx2 s[34:35], s[4:5], 0x20
	s_addc_u32 s49, s49, 0
	s_ashr_i32 s11, s7, 31
	v_mov_b32_e32 v13, v0
	s_lshl_b64 s[2:3], s[10:11], 2
	s_mov_b32 s36, 0
	s_waitcnt lgkmcnt(0)
	s_add_u32 s0, s0, s2
	s_addc_u32 s1, s1, s3
	s_abs_i32 s2, s34
	s_abs_i32 s11, s9
	v_cvt_f32_u32_e32 v1, s2
	s_sub_i32 s7, 0, s2
	v_rcp_iflag_f32_e32 v1, v1
	v_mul_f32_e32 v1, 0x4f7ffffe, v1
	v_cvt_u32_f32_e32 v1, v1
	v_readfirstlane_b32 s3, v1
	s_mul_i32 s7, s7, s3
	s_mul_hi_u32 s7, s3, s7
	s_add_i32 s3, s3, s7
	s_xor_b32 s7, s9, s34
	s_mul_hi_u32 s3, s11, s3
	s_ashr_i32 s7, s7, 31
	s_mul_i32 s12, s3, s2
	s_sub_i32 s11, s11, s12
	s_add_i32 s12, s3, 1
	s_sub_i32 s13, s11, s2
	s_cmp_ge_u32 s11, s2
	s_cselect_b32 s3, s12, s3
	s_cselect_b32 s11, s13, s11
	s_add_i32 s12, s3, 1
	s_cmp_ge_u32 s11, s2
	s_cselect_b32 s2, s12, s3
	s_xor_b32 s2, s2, s7
	s_sub_i32 s14, s2, s7
	s_load_dwordx2 s[2:3], s[4:5], 0x40
	s_abs_i32 s11, s14
	v_cvt_f32_u32_e32 v1, s11
	s_sub_i32 s12, 0, s11
	v_rcp_iflag_f32_e32 v1, v1
	v_mul_f32_e32 v1, 0x4f7ffffe, v1
	v_cvt_u32_f32_e32 v1, v1
	v_readfirstlane_b32 s7, v1
	s_mul_i32 s12, s12, s7
	s_mul_hi_u32 s13, s7, s12
	s_abs_i32 s12, s6
	s_add_i32 s7, s7, s13
	s_waitcnt lgkmcnt(0)
	s_cmp_eq_u64 s[2:3], 0
	s_mul_hi_u32 s13, s12, s7
	s_cbranch_scc1 .LBB312_2
; %bb.1:
	s_ashr_i32 s7, s6, 31
	s_lshl_b64 s[16:17], s[6:7], 2
	s_add_u32 s2, s2, s16
	s_addc_u32 s3, s3, s17
	s_load_dword s36, s[2:3], 0x0
.LBB312_2:
	s_load_dword s33, s[0:1], 0x0
	s_load_dwordx4 s[16:19], s[4:5], 0x48
	v_and_b32_e32 v1, 3, v13
	s_ashr_i32 s0, s6, 31
	s_ashr_i32 s1, s14, 31
	s_lshl_b32 s24, s6, 8
	s_mov_b32 s2, exec_lo
	v_cmpx_gt_u32_e32 0x80, v13
	s_cbranch_execz .LBB312_4
; %bb.3:
	s_load_dwordx2 s[14:15], s[4:5], 0x8
	s_waitcnt lgkmcnt(0)
	s_mul_i32 s20, s16, s10
	v_lshlrev_b32_e32 v2, 2, v13
	s_ashr_i32 s21, s20, 31
	v_and_b32_e32 v3, 0x3fc, v13
	s_lshl_b64 s[20:21], s[20:21], 1
	v_lshl_add_u32 v3, v1, 7, v3
	s_add_u32 s3, s14, s20
	s_addc_u32 s7, s15, s21
	s_ashr_i32 s25, s24, 31
	s_lshl_b64 s[14:15], s[24:25], 1
	s_add_u32 s14, s3, s14
	s_addc_u32 s15, s7, s15
	global_load_dword v2, v2, s[14:15]
	s_waitcnt vmcnt(0)
	ds_write_b32 v3, v2
.LBB312_4:
	s_or_b32 exec_lo, exec_lo, s2
	s_load_dwordx4 s[20:23], s[4:5], 0x68
	s_mul_i32 s2, s13, s11
	s_xor_b32 s1, s0, s1
	s_sub_i32 s0, s12, s2
	s_add_i32 s2, s13, 1
	s_sub_i32 s3, s0, s11
	s_cmp_ge_u32 s0, s11
	s_mov_b32 s12, -1
	s_cselect_b32 s2, s2, s13
	s_cselect_b32 s0, s3, s0
	s_add_i32 s3, s2, 1
	s_cmp_ge_u32 s0, s11
	s_load_dword s0, s[4:5], 0x78
	s_cselect_b32 s2, s3, s2
	s_waitcnt lgkmcnt(0)
	s_add_i32 s7, s33, -1
	s_xor_b32 s2, s2, s1
	s_abs_i32 s3, s7
	s_sub_i32 s1, s2, s1
	s_barrier
	s_abs_i32 s16, s23
	buffer_gl0_inv
	v_cvt_f32_u32_e32 v2, s16
	s_sub_i32 s2, 0, s16
                                        ; implicit-def: $sgpr25
	v_rcp_iflag_f32_e32 v2, v2
	v_mul_f32_e32 v2, 0x4f7ffffe, v2
	v_cvt_u32_f32_e32 v2, v2
	v_readfirstlane_b32 s19, v2
	s_mul_i32 s2, s2, s19
	s_mul_hi_u32 s2, s19, s2
	s_add_i32 s19, s19, s2
	s_cmp_lt_i32 s0, 0
	s_mul_hi_u32 s2, s3, s19
	s_cbranch_scc0 .LBB312_6
; %bb.5:
	s_mul_i32 s11, s20, s34
	s_mov_b32 s12, 0
	s_add_i32 s11, s1, s11
	s_mul_i32 s11, s11, s0
	s_sub_i32 s25, 1, s11
.LBB312_6:
	s_load_dwordx2 s[26:27], s[4:5], 0x28
	s_ashr_i32 s11, s7, 31
	s_andn2_b32 vcc_lo, exec_lo, s12
	s_ashr_i32 s23, s23, 31
	s_cbranch_vccnz .LBB312_8
; %bb.7:
	s_mul_i32 s7, s9, s20
	s_add_i32 s6, s7, s6
	s_mul_i32 s0, s6, s0
	s_add_i32 s25, s0, 1
.LBB312_8:
	s_clause 0x2
	s_load_dword s0, s[4:5], 0x38
	s_load_dwordx2 s[6:7], s[4:5], 0x0
	s_load_dwordx2 s[30:31], s[4:5], 0x18
	s_xor_b32 s34, s11, s23
	s_mul_i32 s11, s2, s16
	s_add_i32 s20, s2, 1
	s_sub_i32 s3, s3, s11
	s_clause 0x1
	s_load_dword s11, s[4:5], 0x88
	s_load_dwordx4 s[12:15], s[4:5], 0x58
	v_lshrrev_b32_e32 v46, 5, v13
	v_mov_b32_e32 v0, 0xff7fffff
	v_lshrrev_b32_e32 v14, 3, v13
	v_mbcnt_lo_u32_b32 v36, -1, 0
	s_mul_i32 s18, s1, s18
	v_lshlrev_b32_e32 v34, 3, v46
	s_waitcnt lgkmcnt(0)
	s_mul_i32 s28, s0, s10
	s_sub_i32 s0, s3, s16
	s_ashr_i32 s29, s28, 31
	s_cmp_ge_u32 s3, s16
	s_cselect_b32 s2, s20, s2
	s_cselect_b32 s0, s0, s3
	s_add_i32 s3, s2, 1
	s_cmp_ge_u32 s0, s16
	s_cselect_b32 s0, s3, s2
	s_add_i32 s2, s33, 7
	s_ashr_i32 s3, s2, 31
	s_lshr_b32 s3, s3, 29
	s_add_i32 s2, s2, s3
	s_ashr_i32 s20, s2, 3
	s_xor_b32 s2, s0, s34
	v_cmp_gt_i32_e64 s0, s20, v46
	s_sub_i32 s34, s2, s34
	s_and_saveexec_b32 s37, s0
	s_cbranch_execz .LBB312_532
; %bb.9:
	s_load_dwordx2 s[2:3], s[4:5], 0x10
	s_sub_i32 s4, s34, s21
	s_ashr_i32 s1, s18, 31
	v_bfe_u32 v6, v13, 2, 3
	v_cmp_eq_u32_e32 vcc_lo, 0, v1
	v_lshlrev_b32_e32 v3, 1, v1
	v_lshlrev_b32_e32 v39, 7, v1
	v_and_b32_e32 v1, 0x7c, v14
	v_lshlrev_b32_e32 v4, 2, v6
	v_subrev_nc_u32_e32 v5, s33, v6
	buffer_store_dword v6, off, s[48:51], 0 offset:8 ; 4-byte Folded Spill
	v_lshlrev_b32_e32 v6, 4, v6
	v_mov_b32_e32 v26, 0
	v_lshl_or_b32 v4, v46, 5, v4
	v_add_nc_u32_e32 v5, 1, v5
	v_lshlrev_b32_e32 v40, 3, v46
	v_mov_b32_e32 v41, 0x80
	v_mov_b32_e32 v42, 0xffff
	v_add_nc_u32_e32 v44, 0x220, v4
	buffer_store_dword v5, off, s[48:51], 0 offset:12 ; 4-byte Folded Spill
	s_waitcnt lgkmcnt(0)
	s_add_u32 s38, s2, s18
	s_addc_u32 s39, s3, s1
	s_abs_i32 s5, s22
	v_add_co_u32 v5, s38, s38, v6
	v_cvt_f32_u32_e32 v2, s5
	s_sub_i32 s2, 0, s5
	v_add_co_ci_u32_e64 v6, null, s39, 0, s38
	v_cmp_neq_f32_e64 s1, s36, 0
	v_rcp_iflag_f32_e32 v2, v2
	v_mov_b32_e32 v0, 0xff7fffff
	s_mov_b32 s38, 0
	s_mov_b32 s39, s17
	buffer_store_dword v13, off, s[48:51], 0 offset:16 ; 4-byte Folded Spill
	buffer_store_dword v14, off, s[48:51], 0 offset:24 ; 4-byte Folded Spill
	v_mul_f32_e32 v2, 0x4f7ffffe, v2
	v_cvt_u32_f32_e32 v2, v2
	v_mul_lo_u32 v4, s2, v2
	s_lshl_b64 s[2:3], s[28:29], 2
	s_add_u32 s2, s26, s2
	s_addc_u32 s3, s27, s3
	v_add_co_u32 v27, s2, s2, v1
	v_add_co_ci_u32_e64 v28, null, s3, 0, s2
	v_mul_hi_u32 v4, v2, v4
	v_add_co_u32 v5, s2, v5, v3
	v_add_co_ci_u32_e64 v6, null, 0, v6, s2
	buffer_store_dword v5, off, s[48:51], 0 ; 4-byte Folded Spill
	buffer_store_dword v6, off, s[48:51], 0 offset:4 ; 4-byte Folded Spill
	v_add_nc_u32_e32 v45, v2, v4
	buffer_store_dword v46, off, s[48:51], 0 offset:20 ; 4-byte Folded Spill
	s_branch .LBB312_12
.LBB312_10:                             ;   in Loop: Header=BB312_12 Depth=1
	s_or_b32 exec_lo, exec_lo, s3
.LBB312_11:                             ;   in Loop: Header=BB312_12 Depth=1
	s_or_b32 exec_lo, exec_lo, s40
	v_add_nc_u32_e32 v46, 4, v46
	v_add_co_u32 v27, s3, v27, 16
	v_add_co_ci_u32_e64 v28, null, 0, v28, s3
	v_cmp_le_i32_e64 s2, s20, v46
	v_add_nc_u32_e32 v40, 32, v40
	v_add_nc_u32_e32 v44, 0x80, v44
	s_or_b32 s38, s2, s38
	s_andn2_b32 exec_lo, exec_lo, s38
	s_cbranch_execz .LBB312_531
.LBB312_12:                             ; =>This Inner Loop Header: Depth=1
	v_mul_hi_u32 v1, v40, s19
	s_waitcnt lgkmcnt(0)
	v_mul_lo_u32 v2, v1, s16
	v_add_nc_u32_e32 v3, 1, v1
	v_sub_nc_u32_e32 v2, v40, v2
	v_subrev_nc_u32_e32 v4, s16, v2
	v_cmp_le_u32_e64 s2, s16, v2
	v_cndmask_b32_e64 v1, v1, v3, s2
	v_cndmask_b32_e64 v2, v2, v4, s2
	v_add_nc_u32_e32 v3, 1, v1
	v_cmp_le_u32_e64 s2, s16, v2
	v_cndmask_b32_e64 v1, v1, v3, s2
	v_xor_b32_e32 v1, s23, v1
	v_subrev_nc_u32_e32 v1, s23, v1
	v_add_nc_u32_e32 v2, s25, v1
	v_cmp_ge_i32_e64 s3, s4, v1
	v_sub_nc_u32_e32 v3, 0, v2
	v_max_i32_e32 v3, v2, v3
	v_ashrrev_i32_e32 v2, 31, v2
	v_mul_hi_u32 v4, v3, v45
	v_mul_lo_u32 v4, v4, s5
	v_sub_nc_u32_e32 v3, v3, v4
	v_subrev_nc_u32_e32 v4, s5, v3
	v_cmp_le_u32_e64 s2, s5, v3
	v_cndmask_b32_e64 v3, v3, v4, s2
	v_subrev_nc_u32_e32 v4, s5, v3
	v_cmp_le_u32_e64 s2, s5, v3
	v_cndmask_b32_e64 v3, v3, v4, s2
	v_xor_b32_e32 v3, v3, v2
	v_sub_nc_u32_e32 v2, v3, v2
	v_cmp_ne_u32_e64 s2, 0, v2
	s_and_b32 s2, s2, s3
	s_and_saveexec_b32 s3, s2
	s_xor_b32 s2, exec_lo, s3
	s_cbranch_execz .LBB312_16
; %bb.13:                               ;   in Loop: Header=BB312_12 Depth=1
	s_and_saveexec_b32 s3, vcc_lo
; %bb.14:                               ;   in Loop: Header=BB312_12 Depth=1
	v_mov_b32_e32 v1, 0xff7fffff
	ds_write_b32 v44, v1
; %bb.15:                               ;   in Loop: Header=BB312_12 Depth=1
	s_or_b32 exec_lo, exec_lo, s3
.LBB312_16:                             ;   in Loop: Header=BB312_12 Depth=1
	s_andn2_saveexec_b32 s40, s2
	s_cbranch_execz .LBB312_11
; %bb.17:                               ;   in Loop: Header=BB312_12 Depth=1
	global_load_dword v1, v[27:28], off
	s_clause 0x1
	buffer_load_dword v2, off, s[48:51], 0
	buffer_load_dword v3, off, s[48:51], 0 offset:4
	v_mov_b32_e32 v48, 0
	v_mov_b32_e32 v49, 0
	s_waitcnt vmcnt(0)
	v_mad_i64_i32 v[31:32], null, v1, s39, v[2:3]
	global_load_ushort v25, v[31:32], off
	ds_read_b128 v[21:24], v39
	ds_read_b128 v[17:20], v39 offset:16
	ds_read_b128 v[13:16], v39 offset:32
	;; [unrolled: 1-line block ×5, first 2 shown]
	ds_read_b32 v47, v39 offset:96
	s_load_dword s41, s[12:13], 0x0
	s_waitcnt vmcnt(0)
	v_and_b32_e32 v35, 0xffff, v25
	v_cmp_ne_u16_sdwa s2, v25, v26 src0_sel:BYTE_0 src1_sel:DWORD
	s_and_saveexec_b32 s3, s2
	s_cbranch_execz .LBB312_25
; %bb.18:                               ;   in Loop: Header=BB312_12 Depth=1
	v_cmp_ne_u16_sdwa s2, v35, v41 src0_sel:BYTE_0 src1_sel:DWORD
	v_bfrev_b32_e32 v49, 1
	s_and_saveexec_b32 s42, s2
	s_cbranch_execz .LBB312_24
; %bb.19:                               ;   in Loop: Header=BB312_12 Depth=1
	v_and_b32_e32 v50, 0x7f, v35
	v_mov_b32_e32 v49, 0x7f800001
	s_mov_b32 s43, exec_lo
	v_cmpx_ne_u32_e32 0x7f, v50
	s_cbranch_execz .LBB312_23
; %bb.20:                               ;   in Loop: Header=BB312_12 Depth=1
	v_and_b32_e32 v25, 7, v35
	v_lshrrev_b32_e32 v49, 3, v50
	s_mov_b32 s44, exec_lo
	v_cmpx_gt_u32_e32 8, v50
; %bb.21:                               ;   in Loop: Header=BB312_12 Depth=1
	v_ffbh_u32_e32 v49, v25
	v_min_u32_e32 v49, 32, v49
	v_subrev_nc_u32_e32 v50, 28, v49
	v_sub_nc_u32_e32 v49, 29, v49
	v_lshlrev_b64 v[50:51], v50, v[25:26]
	v_and_b32_e32 v25, 7, v50
; %bb.22:                               ;   in Loop: Header=BB312_12 Depth=1
	s_or_b32 exec_lo, exec_lo, s44
	v_lshlrev_b32_e32 v50, 24, v35
	v_lshlrev_b32_e32 v25, 20, v25
	v_lshl_add_u32 v49, v49, 23, 0x3c000000
	v_and_b32_e32 v50, 0x80000000, v50
	v_or3_b32 v49, v25, v50, v49
.LBB312_23:                             ;   in Loop: Header=BB312_12 Depth=1
	s_or_b32 exec_lo, exec_lo, s43
.LBB312_24:                             ;   in Loop: Header=BB312_12 Depth=1
	s_or_b32 exec_lo, exec_lo, s42
.LBB312_25:                             ;   in Loop: Header=BB312_12 Depth=1
	s_or_b32 exec_lo, exec_lo, s3
	v_cmp_ne_u16_sdwa s2, v35, v26 src0_sel:BYTE_1 src1_sel:DWORD
	s_and_saveexec_b32 s3, s2
	s_cbranch_execz .LBB312_33
; %bb.26:                               ;   in Loop: Header=BB312_12 Depth=1
	v_cmp_ne_u16_sdwa s2, v35, v41 src0_sel:BYTE_1 src1_sel:DWORD
	v_bfrev_b32_e32 v48, 1
	s_and_saveexec_b32 s42, s2
	s_cbranch_execz .LBB312_32
; %bb.27:                               ;   in Loop: Header=BB312_12 Depth=1
	v_and_b32_sdwa v25, v42, v35 dst_sel:DWORD dst_unused:UNUSED_PAD src0_sel:DWORD src1_sel:BYTE_1
	v_mov_b32_e32 v48, 0x7f800001
	s_mov_b32 s43, exec_lo
	v_and_b32_e32 v50, 0x7f, v25
	v_cmpx_ne_u32_e32 0x7f, v50
	s_cbranch_execz .LBB312_31
; %bb.28:                               ;   in Loop: Header=BB312_12 Depth=1
	v_and_b32_e32 v25, 7, v25
	v_lshrrev_b32_e32 v48, 3, v50
	s_mov_b32 s44, exec_lo
	v_cmpx_gt_u32_e32 8, v50
; %bb.29:                               ;   in Loop: Header=BB312_12 Depth=1
	v_ffbh_u32_e32 v48, v25
	v_min_u32_e32 v48, 32, v48
	v_subrev_nc_u32_e32 v50, 28, v48
	v_sub_nc_u32_e32 v48, 29, v48
	v_lshlrev_b64 v[50:51], v50, v[25:26]
	v_and_b32_e32 v25, 7, v50
; %bb.30:                               ;   in Loop: Header=BB312_12 Depth=1
	s_or_b32 exec_lo, exec_lo, s44
	v_lshlrev_b32_e32 v35, 16, v35
	v_lshlrev_b32_e32 v25, 20, v25
	v_lshl_add_u32 v48, v48, 23, 0x3c000000
	v_and_b32_e32 v35, 0x80000000, v35
	v_or3_b32 v48, v25, v35, v48
.LBB312_31:                             ;   in Loop: Header=BB312_12 Depth=1
	s_or_b32 exec_lo, exec_lo, s43
.LBB312_32:                             ;   in Loop: Header=BB312_12 Depth=1
	s_or_b32 exec_lo, exec_lo, s42
.LBB312_33:                             ;   in Loop: Header=BB312_12 Depth=1
	s_or_b32 exec_lo, exec_lo, s3
	global_load_ushort v25, v[31:32], off offset:8
	v_mov_b32_e32 v50, 0
	v_mov_b32_e32 v51, 0
	s_waitcnt vmcnt(0)
	v_and_b32_e32 v35, 0xffff, v25
	v_cmp_ne_u16_sdwa s2, v25, v26 src0_sel:BYTE_0 src1_sel:DWORD
	s_and_saveexec_b32 s3, s2
	s_cbranch_execz .LBB312_41
; %bb.34:                               ;   in Loop: Header=BB312_12 Depth=1
	v_cmp_ne_u16_sdwa s2, v35, v41 src0_sel:BYTE_0 src1_sel:DWORD
	v_bfrev_b32_e32 v51, 1
	s_and_saveexec_b32 s42, s2
	s_cbranch_execz .LBB312_40
; %bb.35:                               ;   in Loop: Header=BB312_12 Depth=1
	v_and_b32_e32 v52, 0x7f, v35
	v_mov_b32_e32 v51, 0x7f800001
	s_mov_b32 s43, exec_lo
	v_cmpx_ne_u32_e32 0x7f, v52
	s_cbranch_execz .LBB312_39
; %bb.36:                               ;   in Loop: Header=BB312_12 Depth=1
	v_and_b32_e32 v25, 7, v35
	v_lshrrev_b32_e32 v51, 3, v52
	s_mov_b32 s44, exec_lo
	v_cmpx_gt_u32_e32 8, v52
; %bb.37:                               ;   in Loop: Header=BB312_12 Depth=1
	v_ffbh_u32_e32 v51, v25
	v_min_u32_e32 v51, 32, v51
	v_subrev_nc_u32_e32 v52, 28, v51
	v_sub_nc_u32_e32 v51, 29, v51
	v_lshlrev_b64 v[52:53], v52, v[25:26]
	v_and_b32_e32 v25, 7, v52
; %bb.38:                               ;   in Loop: Header=BB312_12 Depth=1
	s_or_b32 exec_lo, exec_lo, s44
	v_lshlrev_b32_e32 v52, 24, v35
	v_lshlrev_b32_e32 v25, 20, v25
	v_lshl_add_u32 v51, v51, 23, 0x3c000000
	v_and_b32_e32 v52, 0x80000000, v52
	v_or3_b32 v51, v25, v52, v51
.LBB312_39:                             ;   in Loop: Header=BB312_12 Depth=1
	s_or_b32 exec_lo, exec_lo, s43
.LBB312_40:                             ;   in Loop: Header=BB312_12 Depth=1
	s_or_b32 exec_lo, exec_lo, s42
.LBB312_41:                             ;   in Loop: Header=BB312_12 Depth=1
	s_or_b32 exec_lo, exec_lo, s3
	v_cmp_ne_u16_sdwa s2, v35, v26 src0_sel:BYTE_1 src1_sel:DWORD
	s_and_saveexec_b32 s3, s2
	s_cbranch_execz .LBB312_49
; %bb.42:                               ;   in Loop: Header=BB312_12 Depth=1
	v_cmp_ne_u16_sdwa s2, v35, v41 src0_sel:BYTE_1 src1_sel:DWORD
	v_bfrev_b32_e32 v50, 1
	s_and_saveexec_b32 s42, s2
	s_cbranch_execz .LBB312_48
; %bb.43:                               ;   in Loop: Header=BB312_12 Depth=1
	v_and_b32_sdwa v25, v42, v35 dst_sel:DWORD dst_unused:UNUSED_PAD src0_sel:DWORD src1_sel:BYTE_1
	v_mov_b32_e32 v50, 0x7f800001
	s_mov_b32 s43, exec_lo
	v_and_b32_e32 v52, 0x7f, v25
	v_cmpx_ne_u32_e32 0x7f, v52
	s_cbranch_execz .LBB312_47
; %bb.44:                               ;   in Loop: Header=BB312_12 Depth=1
	v_and_b32_e32 v25, 7, v25
	v_lshrrev_b32_e32 v50, 3, v52
	s_mov_b32 s44, exec_lo
	v_cmpx_gt_u32_e32 8, v52
; %bb.45:                               ;   in Loop: Header=BB312_12 Depth=1
	v_ffbh_u32_e32 v50, v25
	v_min_u32_e32 v50, 32, v50
	v_subrev_nc_u32_e32 v52, 28, v50
	v_sub_nc_u32_e32 v50, 29, v50
	v_lshlrev_b64 v[52:53], v52, v[25:26]
	v_and_b32_e32 v25, 7, v52
; %bb.46:                               ;   in Loop: Header=BB312_12 Depth=1
	s_or_b32 exec_lo, exec_lo, s44
	v_lshlrev_b32_e32 v35, 16, v35
	v_lshlrev_b32_e32 v25, 20, v25
	v_lshl_add_u32 v50, v50, 23, 0x3c000000
	v_and_b32_e32 v35, 0x80000000, v35
	v_or3_b32 v50, v25, v35, v50
.LBB312_47:                             ;   in Loop: Header=BB312_12 Depth=1
	s_or_b32 exec_lo, exec_lo, s43
.LBB312_48:                             ;   in Loop: Header=BB312_12 Depth=1
	s_or_b32 exec_lo, exec_lo, s42
.LBB312_49:                             ;   in Loop: Header=BB312_12 Depth=1
	s_or_b32 exec_lo, exec_lo, s3
	global_load_ushort v25, v[31:32], off offset:128
	v_mov_b32_e32 v52, 0
	v_mov_b32_e32 v53, 0
	s_waitcnt vmcnt(0)
	v_and_b32_e32 v35, 0xffff, v25
	v_cmp_ne_u16_sdwa s2, v25, v26 src0_sel:BYTE_0 src1_sel:DWORD
	s_and_saveexec_b32 s3, s2
	s_cbranch_execz .LBB312_57
; %bb.50:                               ;   in Loop: Header=BB312_12 Depth=1
	v_cmp_ne_u16_sdwa s2, v35, v41 src0_sel:BYTE_0 src1_sel:DWORD
	v_bfrev_b32_e32 v53, 1
	s_and_saveexec_b32 s42, s2
	s_cbranch_execz .LBB312_56
; %bb.51:                               ;   in Loop: Header=BB312_12 Depth=1
	v_and_b32_e32 v54, 0x7f, v35
	v_mov_b32_e32 v53, 0x7f800001
	s_mov_b32 s43, exec_lo
	v_cmpx_ne_u32_e32 0x7f, v54
	s_cbranch_execz .LBB312_55
; %bb.52:                               ;   in Loop: Header=BB312_12 Depth=1
	v_and_b32_e32 v25, 7, v35
	v_lshrrev_b32_e32 v53, 3, v54
	s_mov_b32 s44, exec_lo
	v_cmpx_gt_u32_e32 8, v54
; %bb.53:                               ;   in Loop: Header=BB312_12 Depth=1
	v_ffbh_u32_e32 v53, v25
	v_min_u32_e32 v53, 32, v53
	v_subrev_nc_u32_e32 v54, 28, v53
	v_sub_nc_u32_e32 v53, 29, v53
	v_lshlrev_b64 v[54:55], v54, v[25:26]
	v_and_b32_e32 v25, 7, v54
; %bb.54:                               ;   in Loop: Header=BB312_12 Depth=1
	s_or_b32 exec_lo, exec_lo, s44
	v_lshlrev_b32_e32 v54, 24, v35
	v_lshlrev_b32_e32 v25, 20, v25
	v_lshl_add_u32 v53, v53, 23, 0x3c000000
	v_and_b32_e32 v54, 0x80000000, v54
	v_or3_b32 v53, v25, v54, v53
.LBB312_55:                             ;   in Loop: Header=BB312_12 Depth=1
	s_or_b32 exec_lo, exec_lo, s43
.LBB312_56:                             ;   in Loop: Header=BB312_12 Depth=1
	s_or_b32 exec_lo, exec_lo, s42
.LBB312_57:                             ;   in Loop: Header=BB312_12 Depth=1
	s_or_b32 exec_lo, exec_lo, s3
	v_cmp_ne_u16_sdwa s2, v35, v26 src0_sel:BYTE_1 src1_sel:DWORD
	s_and_saveexec_b32 s3, s2
	s_cbranch_execz .LBB312_65
; %bb.58:                               ;   in Loop: Header=BB312_12 Depth=1
	v_cmp_ne_u16_sdwa s2, v35, v41 src0_sel:BYTE_1 src1_sel:DWORD
	v_bfrev_b32_e32 v52, 1
	s_and_saveexec_b32 s42, s2
	s_cbranch_execz .LBB312_64
; %bb.59:                               ;   in Loop: Header=BB312_12 Depth=1
	v_and_b32_sdwa v25, v42, v35 dst_sel:DWORD dst_unused:UNUSED_PAD src0_sel:DWORD src1_sel:BYTE_1
	v_mov_b32_e32 v52, 0x7f800001
	s_mov_b32 s43, exec_lo
	v_and_b32_e32 v54, 0x7f, v25
	v_cmpx_ne_u32_e32 0x7f, v54
	s_cbranch_execz .LBB312_63
; %bb.60:                               ;   in Loop: Header=BB312_12 Depth=1
	v_and_b32_e32 v25, 7, v25
	v_lshrrev_b32_e32 v52, 3, v54
	s_mov_b32 s44, exec_lo
	v_cmpx_gt_u32_e32 8, v54
; %bb.61:                               ;   in Loop: Header=BB312_12 Depth=1
	v_ffbh_u32_e32 v52, v25
	v_min_u32_e32 v52, 32, v52
	v_subrev_nc_u32_e32 v54, 28, v52
	v_sub_nc_u32_e32 v52, 29, v52
	v_lshlrev_b64 v[54:55], v54, v[25:26]
	v_and_b32_e32 v25, 7, v54
; %bb.62:                               ;   in Loop: Header=BB312_12 Depth=1
	s_or_b32 exec_lo, exec_lo, s44
	v_lshlrev_b32_e32 v35, 16, v35
	v_lshlrev_b32_e32 v25, 20, v25
	v_lshl_add_u32 v52, v52, 23, 0x3c000000
	v_and_b32_e32 v35, 0x80000000, v35
	v_or3_b32 v52, v25, v35, v52
.LBB312_63:                             ;   in Loop: Header=BB312_12 Depth=1
	s_or_b32 exec_lo, exec_lo, s43
.LBB312_64:                             ;   in Loop: Header=BB312_12 Depth=1
	s_or_b32 exec_lo, exec_lo, s42
.LBB312_65:                             ;   in Loop: Header=BB312_12 Depth=1
	s_or_b32 exec_lo, exec_lo, s3
	global_load_ushort v25, v[31:32], off offset:136
	v_mov_b32_e32 v54, 0
	v_mov_b32_e32 v55, 0
	s_waitcnt vmcnt(0)
	v_and_b32_e32 v35, 0xffff, v25
	v_cmp_ne_u16_sdwa s2, v25, v26 src0_sel:BYTE_0 src1_sel:DWORD
	s_and_saveexec_b32 s3, s2
	s_cbranch_execz .LBB312_73
; %bb.66:                               ;   in Loop: Header=BB312_12 Depth=1
	v_cmp_ne_u16_sdwa s2, v35, v41 src0_sel:BYTE_0 src1_sel:DWORD
	v_bfrev_b32_e32 v55, 1
	s_and_saveexec_b32 s42, s2
	s_cbranch_execz .LBB312_72
; %bb.67:                               ;   in Loop: Header=BB312_12 Depth=1
	v_and_b32_e32 v56, 0x7f, v35
	v_mov_b32_e32 v55, 0x7f800001
	s_mov_b32 s43, exec_lo
	v_cmpx_ne_u32_e32 0x7f, v56
	s_cbranch_execz .LBB312_71
; %bb.68:                               ;   in Loop: Header=BB312_12 Depth=1
	v_and_b32_e32 v25, 7, v35
	v_lshrrev_b32_e32 v55, 3, v56
	s_mov_b32 s44, exec_lo
	v_cmpx_gt_u32_e32 8, v56
; %bb.69:                               ;   in Loop: Header=BB312_12 Depth=1
	v_ffbh_u32_e32 v55, v25
	v_min_u32_e32 v55, 32, v55
	v_subrev_nc_u32_e32 v56, 28, v55
	v_sub_nc_u32_e32 v55, 29, v55
	v_lshlrev_b64 v[56:57], v56, v[25:26]
	v_and_b32_e32 v25, 7, v56
; %bb.70:                               ;   in Loop: Header=BB312_12 Depth=1
	s_or_b32 exec_lo, exec_lo, s44
	v_lshlrev_b32_e32 v56, 24, v35
	v_lshlrev_b32_e32 v25, 20, v25
	v_lshl_add_u32 v55, v55, 23, 0x3c000000
	v_and_b32_e32 v56, 0x80000000, v56
	v_or3_b32 v55, v25, v56, v55
.LBB312_71:                             ;   in Loop: Header=BB312_12 Depth=1
	s_or_b32 exec_lo, exec_lo, s43
.LBB312_72:                             ;   in Loop: Header=BB312_12 Depth=1
	s_or_b32 exec_lo, exec_lo, s42
.LBB312_73:                             ;   in Loop: Header=BB312_12 Depth=1
	s_or_b32 exec_lo, exec_lo, s3
	v_cmp_ne_u16_sdwa s2, v35, v26 src0_sel:BYTE_1 src1_sel:DWORD
	s_and_saveexec_b32 s3, s2
	s_cbranch_execz .LBB312_81
; %bb.74:                               ;   in Loop: Header=BB312_12 Depth=1
	v_cmp_ne_u16_sdwa s2, v35, v41 src0_sel:BYTE_1 src1_sel:DWORD
	v_bfrev_b32_e32 v54, 1
	s_and_saveexec_b32 s42, s2
	s_cbranch_execz .LBB312_80
; %bb.75:                               ;   in Loop: Header=BB312_12 Depth=1
	v_and_b32_sdwa v25, v42, v35 dst_sel:DWORD dst_unused:UNUSED_PAD src0_sel:DWORD src1_sel:BYTE_1
	v_mov_b32_e32 v54, 0x7f800001
	s_mov_b32 s43, exec_lo
	v_and_b32_e32 v56, 0x7f, v25
	v_cmpx_ne_u32_e32 0x7f, v56
	s_cbranch_execz .LBB312_79
; %bb.76:                               ;   in Loop: Header=BB312_12 Depth=1
	v_and_b32_e32 v25, 7, v25
	v_lshrrev_b32_e32 v54, 3, v56
	s_mov_b32 s44, exec_lo
	v_cmpx_gt_u32_e32 8, v56
; %bb.77:                               ;   in Loop: Header=BB312_12 Depth=1
	v_ffbh_u32_e32 v54, v25
	v_min_u32_e32 v54, 32, v54
	v_subrev_nc_u32_e32 v56, 28, v54
	v_sub_nc_u32_e32 v54, 29, v54
	v_lshlrev_b64 v[56:57], v56, v[25:26]
	v_and_b32_e32 v25, 7, v56
; %bb.78:                               ;   in Loop: Header=BB312_12 Depth=1
	s_or_b32 exec_lo, exec_lo, s44
	v_lshlrev_b32_e32 v35, 16, v35
	v_lshlrev_b32_e32 v25, 20, v25
	v_lshl_add_u32 v54, v54, 23, 0x3c000000
	v_and_b32_e32 v35, 0x80000000, v35
	v_or3_b32 v54, v25, v35, v54
.LBB312_79:                             ;   in Loop: Header=BB312_12 Depth=1
	s_or_b32 exec_lo, exec_lo, s43
.LBB312_80:                             ;   in Loop: Header=BB312_12 Depth=1
	s_or_b32 exec_lo, exec_lo, s42
.LBB312_81:                             ;   in Loop: Header=BB312_12 Depth=1
	s_or_b32 exec_lo, exec_lo, s3
	global_load_ushort v25, v[31:32], off offset:256
	v_mov_b32_e32 v56, 0
	v_mov_b32_e32 v57, 0
	s_waitcnt vmcnt(0)
	v_and_b32_e32 v35, 0xffff, v25
	v_cmp_ne_u16_sdwa s2, v25, v26 src0_sel:BYTE_0 src1_sel:DWORD
	s_and_saveexec_b32 s3, s2
	s_cbranch_execz .LBB312_89
; %bb.82:                               ;   in Loop: Header=BB312_12 Depth=1
	v_cmp_ne_u16_sdwa s2, v35, v41 src0_sel:BYTE_0 src1_sel:DWORD
	v_bfrev_b32_e32 v57, 1
	s_and_saveexec_b32 s42, s2
	s_cbranch_execz .LBB312_88
; %bb.83:                               ;   in Loop: Header=BB312_12 Depth=1
	v_and_b32_e32 v58, 0x7f, v35
	v_mov_b32_e32 v57, 0x7f800001
	s_mov_b32 s43, exec_lo
	v_cmpx_ne_u32_e32 0x7f, v58
	s_cbranch_execz .LBB312_87
; %bb.84:                               ;   in Loop: Header=BB312_12 Depth=1
	v_and_b32_e32 v25, 7, v35
	v_lshrrev_b32_e32 v57, 3, v58
	s_mov_b32 s44, exec_lo
	v_cmpx_gt_u32_e32 8, v58
; %bb.85:                               ;   in Loop: Header=BB312_12 Depth=1
	v_ffbh_u32_e32 v57, v25
	v_min_u32_e32 v57, 32, v57
	v_subrev_nc_u32_e32 v58, 28, v57
	v_sub_nc_u32_e32 v57, 29, v57
	v_lshlrev_b64 v[58:59], v58, v[25:26]
	v_and_b32_e32 v25, 7, v58
; %bb.86:                               ;   in Loop: Header=BB312_12 Depth=1
	s_or_b32 exec_lo, exec_lo, s44
	v_lshlrev_b32_e32 v58, 24, v35
	v_lshlrev_b32_e32 v25, 20, v25
	v_lshl_add_u32 v57, v57, 23, 0x3c000000
	v_and_b32_e32 v58, 0x80000000, v58
	v_or3_b32 v57, v25, v58, v57
.LBB312_87:                             ;   in Loop: Header=BB312_12 Depth=1
	s_or_b32 exec_lo, exec_lo, s43
.LBB312_88:                             ;   in Loop: Header=BB312_12 Depth=1
	s_or_b32 exec_lo, exec_lo, s42
.LBB312_89:                             ;   in Loop: Header=BB312_12 Depth=1
	s_or_b32 exec_lo, exec_lo, s3
	v_cmp_ne_u16_sdwa s2, v35, v26 src0_sel:BYTE_1 src1_sel:DWORD
	s_and_saveexec_b32 s3, s2
	s_cbranch_execz .LBB312_97
; %bb.90:                               ;   in Loop: Header=BB312_12 Depth=1
	v_cmp_ne_u16_sdwa s2, v35, v41 src0_sel:BYTE_1 src1_sel:DWORD
	v_bfrev_b32_e32 v56, 1
	s_and_saveexec_b32 s42, s2
	s_cbranch_execz .LBB312_96
; %bb.91:                               ;   in Loop: Header=BB312_12 Depth=1
	v_and_b32_sdwa v25, v42, v35 dst_sel:DWORD dst_unused:UNUSED_PAD src0_sel:DWORD src1_sel:BYTE_1
	v_mov_b32_e32 v56, 0x7f800001
	s_mov_b32 s43, exec_lo
	v_and_b32_e32 v58, 0x7f, v25
	v_cmpx_ne_u32_e32 0x7f, v58
	s_cbranch_execz .LBB312_95
; %bb.92:                               ;   in Loop: Header=BB312_12 Depth=1
	v_and_b32_e32 v25, 7, v25
	v_lshrrev_b32_e32 v56, 3, v58
	s_mov_b32 s44, exec_lo
	v_cmpx_gt_u32_e32 8, v58
; %bb.93:                               ;   in Loop: Header=BB312_12 Depth=1
	v_ffbh_u32_e32 v56, v25
	v_min_u32_e32 v56, 32, v56
	v_subrev_nc_u32_e32 v58, 28, v56
	v_sub_nc_u32_e32 v56, 29, v56
	v_lshlrev_b64 v[58:59], v58, v[25:26]
	v_and_b32_e32 v25, 7, v58
; %bb.94:                               ;   in Loop: Header=BB312_12 Depth=1
	s_or_b32 exec_lo, exec_lo, s44
	v_lshlrev_b32_e32 v35, 16, v35
	v_lshlrev_b32_e32 v25, 20, v25
	v_lshl_add_u32 v56, v56, 23, 0x3c000000
	v_and_b32_e32 v35, 0x80000000, v35
	v_or3_b32 v56, v25, v35, v56
.LBB312_95:                             ;   in Loop: Header=BB312_12 Depth=1
	s_or_b32 exec_lo, exec_lo, s43
.LBB312_96:                             ;   in Loop: Header=BB312_12 Depth=1
	s_or_b32 exec_lo, exec_lo, s42
.LBB312_97:                             ;   in Loop: Header=BB312_12 Depth=1
	s_or_b32 exec_lo, exec_lo, s3
	global_load_ushort v25, v[31:32], off offset:264
	v_mov_b32_e32 v58, 0
	v_mov_b32_e32 v59, 0
	s_waitcnt vmcnt(0)
	v_and_b32_e32 v35, 0xffff, v25
	v_cmp_ne_u16_sdwa s2, v25, v26 src0_sel:BYTE_0 src1_sel:DWORD
	s_and_saveexec_b32 s3, s2
	s_cbranch_execz .LBB312_105
; %bb.98:                               ;   in Loop: Header=BB312_12 Depth=1
	v_cmp_ne_u16_sdwa s2, v35, v41 src0_sel:BYTE_0 src1_sel:DWORD
	v_bfrev_b32_e32 v59, 1
	s_and_saveexec_b32 s42, s2
	s_cbranch_execz .LBB312_104
; %bb.99:                               ;   in Loop: Header=BB312_12 Depth=1
	v_and_b32_e32 v60, 0x7f, v35
	v_mov_b32_e32 v59, 0x7f800001
	s_mov_b32 s43, exec_lo
	v_cmpx_ne_u32_e32 0x7f, v60
	s_cbranch_execz .LBB312_103
; %bb.100:                              ;   in Loop: Header=BB312_12 Depth=1
	v_and_b32_e32 v25, 7, v35
	v_lshrrev_b32_e32 v59, 3, v60
	s_mov_b32 s44, exec_lo
	v_cmpx_gt_u32_e32 8, v60
; %bb.101:                              ;   in Loop: Header=BB312_12 Depth=1
	v_ffbh_u32_e32 v59, v25
	v_min_u32_e32 v59, 32, v59
	v_subrev_nc_u32_e32 v60, 28, v59
	v_sub_nc_u32_e32 v59, 29, v59
	v_lshlrev_b64 v[60:61], v60, v[25:26]
	v_and_b32_e32 v25, 7, v60
; %bb.102:                              ;   in Loop: Header=BB312_12 Depth=1
	s_or_b32 exec_lo, exec_lo, s44
	v_lshlrev_b32_e32 v60, 24, v35
	v_lshlrev_b32_e32 v25, 20, v25
	v_lshl_add_u32 v59, v59, 23, 0x3c000000
	v_and_b32_e32 v60, 0x80000000, v60
	v_or3_b32 v59, v25, v60, v59
.LBB312_103:                            ;   in Loop: Header=BB312_12 Depth=1
	s_or_b32 exec_lo, exec_lo, s43
.LBB312_104:                            ;   in Loop: Header=BB312_12 Depth=1
	s_or_b32 exec_lo, exec_lo, s42
.LBB312_105:                            ;   in Loop: Header=BB312_12 Depth=1
	s_or_b32 exec_lo, exec_lo, s3
	v_cmp_ne_u16_sdwa s2, v35, v26 src0_sel:BYTE_1 src1_sel:DWORD
	s_and_saveexec_b32 s3, s2
	s_cbranch_execz .LBB312_113
; %bb.106:                              ;   in Loop: Header=BB312_12 Depth=1
	v_cmp_ne_u16_sdwa s2, v35, v41 src0_sel:BYTE_1 src1_sel:DWORD
	v_bfrev_b32_e32 v58, 1
	s_and_saveexec_b32 s42, s2
	s_cbranch_execz .LBB312_112
; %bb.107:                              ;   in Loop: Header=BB312_12 Depth=1
	v_and_b32_sdwa v25, v42, v35 dst_sel:DWORD dst_unused:UNUSED_PAD src0_sel:DWORD src1_sel:BYTE_1
	v_mov_b32_e32 v58, 0x7f800001
	s_mov_b32 s43, exec_lo
	v_and_b32_e32 v60, 0x7f, v25
	v_cmpx_ne_u32_e32 0x7f, v60
	s_cbranch_execz .LBB312_111
; %bb.108:                              ;   in Loop: Header=BB312_12 Depth=1
	v_and_b32_e32 v25, 7, v25
	v_lshrrev_b32_e32 v58, 3, v60
	s_mov_b32 s44, exec_lo
	v_cmpx_gt_u32_e32 8, v60
; %bb.109:                              ;   in Loop: Header=BB312_12 Depth=1
	v_ffbh_u32_e32 v58, v25
	v_min_u32_e32 v58, 32, v58
	v_subrev_nc_u32_e32 v60, 28, v58
	v_sub_nc_u32_e32 v58, 29, v58
	v_lshlrev_b64 v[60:61], v60, v[25:26]
	v_and_b32_e32 v25, 7, v60
; %bb.110:                              ;   in Loop: Header=BB312_12 Depth=1
	s_or_b32 exec_lo, exec_lo, s44
	v_lshlrev_b32_e32 v35, 16, v35
	v_lshlrev_b32_e32 v25, 20, v25
	v_lshl_add_u32 v58, v58, 23, 0x3c000000
	v_and_b32_e32 v35, 0x80000000, v35
	v_or3_b32 v58, v25, v35, v58
.LBB312_111:                            ;   in Loop: Header=BB312_12 Depth=1
	s_or_b32 exec_lo, exec_lo, s43
.LBB312_112:                            ;   in Loop: Header=BB312_12 Depth=1
	s_or_b32 exec_lo, exec_lo, s42
.LBB312_113:                            ;   in Loop: Header=BB312_12 Depth=1
	s_or_b32 exec_lo, exec_lo, s3
	global_load_ushort v25, v[31:32], off offset:384
	v_mov_b32_e32 v60, 0
	v_mov_b32_e32 v61, 0
	s_waitcnt vmcnt(0)
	v_and_b32_e32 v35, 0xffff, v25
	v_cmp_ne_u16_sdwa s2, v25, v26 src0_sel:BYTE_0 src1_sel:DWORD
	s_and_saveexec_b32 s3, s2
	s_cbranch_execz .LBB312_121
; %bb.114:                              ;   in Loop: Header=BB312_12 Depth=1
	v_cmp_ne_u16_sdwa s2, v35, v41 src0_sel:BYTE_0 src1_sel:DWORD
	v_bfrev_b32_e32 v61, 1
	s_and_saveexec_b32 s42, s2
	s_cbranch_execz .LBB312_120
; %bb.115:                              ;   in Loop: Header=BB312_12 Depth=1
	v_and_b32_e32 v62, 0x7f, v35
	v_mov_b32_e32 v61, 0x7f800001
	s_mov_b32 s43, exec_lo
	v_cmpx_ne_u32_e32 0x7f, v62
	s_cbranch_execz .LBB312_119
; %bb.116:                              ;   in Loop: Header=BB312_12 Depth=1
	v_and_b32_e32 v25, 7, v35
	v_lshrrev_b32_e32 v61, 3, v62
	s_mov_b32 s44, exec_lo
	v_cmpx_gt_u32_e32 8, v62
; %bb.117:                              ;   in Loop: Header=BB312_12 Depth=1
	v_ffbh_u32_e32 v61, v25
	v_min_u32_e32 v61, 32, v61
	v_subrev_nc_u32_e32 v62, 28, v61
	v_sub_nc_u32_e32 v61, 29, v61
	v_lshlrev_b64 v[62:63], v62, v[25:26]
	v_and_b32_e32 v25, 7, v62
; %bb.118:                              ;   in Loop: Header=BB312_12 Depth=1
	s_or_b32 exec_lo, exec_lo, s44
	v_lshlrev_b32_e32 v62, 24, v35
	v_lshlrev_b32_e32 v25, 20, v25
	v_lshl_add_u32 v61, v61, 23, 0x3c000000
	v_and_b32_e32 v62, 0x80000000, v62
	v_or3_b32 v61, v25, v62, v61
.LBB312_119:                            ;   in Loop: Header=BB312_12 Depth=1
	s_or_b32 exec_lo, exec_lo, s43
.LBB312_120:                            ;   in Loop: Header=BB312_12 Depth=1
	s_or_b32 exec_lo, exec_lo, s42
.LBB312_121:                            ;   in Loop: Header=BB312_12 Depth=1
	s_or_b32 exec_lo, exec_lo, s3
	v_cmp_ne_u16_sdwa s2, v35, v26 src0_sel:BYTE_1 src1_sel:DWORD
	s_and_saveexec_b32 s3, s2
	s_cbranch_execz .LBB312_129
; %bb.122:                              ;   in Loop: Header=BB312_12 Depth=1
	v_cmp_ne_u16_sdwa s2, v35, v41 src0_sel:BYTE_1 src1_sel:DWORD
	v_bfrev_b32_e32 v60, 1
	s_and_saveexec_b32 s42, s2
	s_cbranch_execz .LBB312_128
; %bb.123:                              ;   in Loop: Header=BB312_12 Depth=1
	v_and_b32_sdwa v25, v42, v35 dst_sel:DWORD dst_unused:UNUSED_PAD src0_sel:DWORD src1_sel:BYTE_1
	v_mov_b32_e32 v60, 0x7f800001
	s_mov_b32 s43, exec_lo
	v_and_b32_e32 v62, 0x7f, v25
	v_cmpx_ne_u32_e32 0x7f, v62
	s_cbranch_execz .LBB312_127
; %bb.124:                              ;   in Loop: Header=BB312_12 Depth=1
	v_and_b32_e32 v25, 7, v25
	v_lshrrev_b32_e32 v60, 3, v62
	s_mov_b32 s44, exec_lo
	v_cmpx_gt_u32_e32 8, v62
; %bb.125:                              ;   in Loop: Header=BB312_12 Depth=1
	v_ffbh_u32_e32 v60, v25
	v_min_u32_e32 v60, 32, v60
	v_subrev_nc_u32_e32 v62, 28, v60
	v_sub_nc_u32_e32 v60, 29, v60
	v_lshlrev_b64 v[62:63], v62, v[25:26]
	v_and_b32_e32 v25, 7, v62
; %bb.126:                              ;   in Loop: Header=BB312_12 Depth=1
	s_or_b32 exec_lo, exec_lo, s44
	v_lshlrev_b32_e32 v35, 16, v35
	v_lshlrev_b32_e32 v25, 20, v25
	v_lshl_add_u32 v60, v60, 23, 0x3c000000
	v_and_b32_e32 v35, 0x80000000, v35
	v_or3_b32 v60, v25, v35, v60
.LBB312_127:                            ;   in Loop: Header=BB312_12 Depth=1
	s_or_b32 exec_lo, exec_lo, s43
.LBB312_128:                            ;   in Loop: Header=BB312_12 Depth=1
	s_or_b32 exec_lo, exec_lo, s42
.LBB312_129:                            ;   in Loop: Header=BB312_12 Depth=1
	s_or_b32 exec_lo, exec_lo, s3
	global_load_ushort v25, v[31:32], off offset:392
	v_mov_b32_e32 v62, 0
	v_mov_b32_e32 v63, 0
	s_waitcnt vmcnt(0)
	v_and_b32_e32 v35, 0xffff, v25
	v_cmp_ne_u16_sdwa s2, v25, v26 src0_sel:BYTE_0 src1_sel:DWORD
	s_and_saveexec_b32 s3, s2
	s_cbranch_execz .LBB312_137
; %bb.130:                              ;   in Loop: Header=BB312_12 Depth=1
	v_cmp_ne_u16_sdwa s2, v35, v41 src0_sel:BYTE_0 src1_sel:DWORD
	v_bfrev_b32_e32 v63, 1
	s_and_saveexec_b32 s42, s2
	s_cbranch_execz .LBB312_136
; %bb.131:                              ;   in Loop: Header=BB312_12 Depth=1
	v_and_b32_e32 v64, 0x7f, v35
	v_mov_b32_e32 v63, 0x7f800001
	s_mov_b32 s43, exec_lo
	v_cmpx_ne_u32_e32 0x7f, v64
	s_cbranch_execz .LBB312_135
; %bb.132:                              ;   in Loop: Header=BB312_12 Depth=1
	v_and_b32_e32 v25, 7, v35
	v_lshrrev_b32_e32 v63, 3, v64
	s_mov_b32 s44, exec_lo
	v_cmpx_gt_u32_e32 8, v64
; %bb.133:                              ;   in Loop: Header=BB312_12 Depth=1
	v_ffbh_u32_e32 v63, v25
	v_min_u32_e32 v63, 32, v63
	v_subrev_nc_u32_e32 v64, 28, v63
	v_sub_nc_u32_e32 v63, 29, v63
	v_lshlrev_b64 v[64:65], v64, v[25:26]
	v_and_b32_e32 v25, 7, v64
; %bb.134:                              ;   in Loop: Header=BB312_12 Depth=1
	s_or_b32 exec_lo, exec_lo, s44
	v_lshlrev_b32_e32 v64, 24, v35
	v_lshlrev_b32_e32 v25, 20, v25
	v_lshl_add_u32 v63, v63, 23, 0x3c000000
	v_and_b32_e32 v64, 0x80000000, v64
	v_or3_b32 v63, v25, v64, v63
.LBB312_135:                            ;   in Loop: Header=BB312_12 Depth=1
	s_or_b32 exec_lo, exec_lo, s43
.LBB312_136:                            ;   in Loop: Header=BB312_12 Depth=1
	s_or_b32 exec_lo, exec_lo, s42
.LBB312_137:                            ;   in Loop: Header=BB312_12 Depth=1
	s_or_b32 exec_lo, exec_lo, s3
	v_cmp_ne_u16_sdwa s2, v35, v26 src0_sel:BYTE_1 src1_sel:DWORD
	s_and_saveexec_b32 s3, s2
	s_cbranch_execz .LBB312_145
; %bb.138:                              ;   in Loop: Header=BB312_12 Depth=1
	v_cmp_ne_u16_sdwa s2, v35, v41 src0_sel:BYTE_1 src1_sel:DWORD
	v_bfrev_b32_e32 v62, 1
	s_and_saveexec_b32 s42, s2
	s_cbranch_execz .LBB312_144
; %bb.139:                              ;   in Loop: Header=BB312_12 Depth=1
	v_and_b32_sdwa v25, v42, v35 dst_sel:DWORD dst_unused:UNUSED_PAD src0_sel:DWORD src1_sel:BYTE_1
	v_mov_b32_e32 v62, 0x7f800001
	s_mov_b32 s43, exec_lo
	v_and_b32_e32 v64, 0x7f, v25
	v_cmpx_ne_u32_e32 0x7f, v64
	s_cbranch_execz .LBB312_143
; %bb.140:                              ;   in Loop: Header=BB312_12 Depth=1
	v_and_b32_e32 v25, 7, v25
	v_lshrrev_b32_e32 v62, 3, v64
	s_mov_b32 s44, exec_lo
	v_cmpx_gt_u32_e32 8, v64
; %bb.141:                              ;   in Loop: Header=BB312_12 Depth=1
	v_ffbh_u32_e32 v62, v25
	v_min_u32_e32 v62, 32, v62
	v_subrev_nc_u32_e32 v64, 28, v62
	v_sub_nc_u32_e32 v62, 29, v62
	v_lshlrev_b64 v[64:65], v64, v[25:26]
	v_and_b32_e32 v25, 7, v64
; %bb.142:                              ;   in Loop: Header=BB312_12 Depth=1
	s_or_b32 exec_lo, exec_lo, s44
	v_lshlrev_b32_e32 v35, 16, v35
	v_lshlrev_b32_e32 v25, 20, v25
	v_lshl_add_u32 v62, v62, 23, 0x3c000000
	v_and_b32_e32 v35, 0x80000000, v35
	v_or3_b32 v62, v25, v35, v62
.LBB312_143:                            ;   in Loop: Header=BB312_12 Depth=1
	s_or_b32 exec_lo, exec_lo, s43
.LBB312_144:                            ;   in Loop: Header=BB312_12 Depth=1
	s_or_b32 exec_lo, exec_lo, s42
.LBB312_145:                            ;   in Loop: Header=BB312_12 Depth=1
	s_or_b32 exec_lo, exec_lo, s3
	global_load_ushort v25, v[31:32], off offset:512
	v_mov_b32_e32 v64, 0
	v_mov_b32_e32 v65, 0
	s_waitcnt vmcnt(0)
	v_and_b32_e32 v35, 0xffff, v25
	v_cmp_ne_u16_sdwa s2, v25, v26 src0_sel:BYTE_0 src1_sel:DWORD
	s_and_saveexec_b32 s3, s2
	s_cbranch_execz .LBB312_153
; %bb.146:                              ;   in Loop: Header=BB312_12 Depth=1
	v_cmp_ne_u16_sdwa s2, v35, v41 src0_sel:BYTE_0 src1_sel:DWORD
	v_bfrev_b32_e32 v65, 1
	s_and_saveexec_b32 s42, s2
	s_cbranch_execz .LBB312_152
; %bb.147:                              ;   in Loop: Header=BB312_12 Depth=1
	v_and_b32_e32 v66, 0x7f, v35
	v_mov_b32_e32 v65, 0x7f800001
	s_mov_b32 s43, exec_lo
	v_cmpx_ne_u32_e32 0x7f, v66
	s_cbranch_execz .LBB312_151
; %bb.148:                              ;   in Loop: Header=BB312_12 Depth=1
	v_and_b32_e32 v25, 7, v35
	v_lshrrev_b32_e32 v65, 3, v66
	s_mov_b32 s44, exec_lo
	v_cmpx_gt_u32_e32 8, v66
; %bb.149:                              ;   in Loop: Header=BB312_12 Depth=1
	v_ffbh_u32_e32 v65, v25
	v_min_u32_e32 v65, 32, v65
	v_subrev_nc_u32_e32 v66, 28, v65
	v_sub_nc_u32_e32 v65, 29, v65
	v_lshlrev_b64 v[66:67], v66, v[25:26]
	v_and_b32_e32 v25, 7, v66
; %bb.150:                              ;   in Loop: Header=BB312_12 Depth=1
	s_or_b32 exec_lo, exec_lo, s44
	v_lshlrev_b32_e32 v66, 24, v35
	v_lshlrev_b32_e32 v25, 20, v25
	v_lshl_add_u32 v65, v65, 23, 0x3c000000
	v_and_b32_e32 v66, 0x80000000, v66
	v_or3_b32 v65, v25, v66, v65
.LBB312_151:                            ;   in Loop: Header=BB312_12 Depth=1
	s_or_b32 exec_lo, exec_lo, s43
.LBB312_152:                            ;   in Loop: Header=BB312_12 Depth=1
	s_or_b32 exec_lo, exec_lo, s42
.LBB312_153:                            ;   in Loop: Header=BB312_12 Depth=1
	s_or_b32 exec_lo, exec_lo, s3
	v_cmp_ne_u16_sdwa s2, v35, v26 src0_sel:BYTE_1 src1_sel:DWORD
	s_and_saveexec_b32 s3, s2
	s_cbranch_execz .LBB312_161
; %bb.154:                              ;   in Loop: Header=BB312_12 Depth=1
	v_cmp_ne_u16_sdwa s2, v35, v41 src0_sel:BYTE_1 src1_sel:DWORD
	v_bfrev_b32_e32 v64, 1
	s_and_saveexec_b32 s42, s2
	s_cbranch_execz .LBB312_160
; %bb.155:                              ;   in Loop: Header=BB312_12 Depth=1
	v_and_b32_sdwa v25, v42, v35 dst_sel:DWORD dst_unused:UNUSED_PAD src0_sel:DWORD src1_sel:BYTE_1
	v_mov_b32_e32 v64, 0x7f800001
	s_mov_b32 s43, exec_lo
	v_and_b32_e32 v66, 0x7f, v25
	v_cmpx_ne_u32_e32 0x7f, v66
	s_cbranch_execz .LBB312_159
; %bb.156:                              ;   in Loop: Header=BB312_12 Depth=1
	v_and_b32_e32 v25, 7, v25
	v_lshrrev_b32_e32 v64, 3, v66
	s_mov_b32 s44, exec_lo
	v_cmpx_gt_u32_e32 8, v66
; %bb.157:                              ;   in Loop: Header=BB312_12 Depth=1
	v_ffbh_u32_e32 v64, v25
	v_min_u32_e32 v64, 32, v64
	v_subrev_nc_u32_e32 v66, 28, v64
	v_sub_nc_u32_e32 v64, 29, v64
	v_lshlrev_b64 v[66:67], v66, v[25:26]
	v_and_b32_e32 v25, 7, v66
; %bb.158:                              ;   in Loop: Header=BB312_12 Depth=1
	s_or_b32 exec_lo, exec_lo, s44
	v_lshlrev_b32_e32 v35, 16, v35
	v_lshlrev_b32_e32 v25, 20, v25
	v_lshl_add_u32 v64, v64, 23, 0x3c000000
	v_and_b32_e32 v35, 0x80000000, v35
	v_or3_b32 v64, v25, v35, v64
.LBB312_159:                            ;   in Loop: Header=BB312_12 Depth=1
	s_or_b32 exec_lo, exec_lo, s43
.LBB312_160:                            ;   in Loop: Header=BB312_12 Depth=1
	s_or_b32 exec_lo, exec_lo, s42
.LBB312_161:                            ;   in Loop: Header=BB312_12 Depth=1
	s_or_b32 exec_lo, exec_lo, s3
	global_load_ushort v25, v[31:32], off offset:520
	v_mov_b32_e32 v66, 0
	v_mov_b32_e32 v67, 0
	s_waitcnt vmcnt(0)
	v_and_b32_e32 v35, 0xffff, v25
	v_cmp_ne_u16_sdwa s2, v25, v26 src0_sel:BYTE_0 src1_sel:DWORD
	s_and_saveexec_b32 s3, s2
	s_cbranch_execz .LBB312_169
; %bb.162:                              ;   in Loop: Header=BB312_12 Depth=1
	v_cmp_ne_u16_sdwa s2, v35, v41 src0_sel:BYTE_0 src1_sel:DWORD
	v_bfrev_b32_e32 v67, 1
	s_and_saveexec_b32 s42, s2
	s_cbranch_execz .LBB312_168
; %bb.163:                              ;   in Loop: Header=BB312_12 Depth=1
	v_and_b32_e32 v68, 0x7f, v35
	v_mov_b32_e32 v67, 0x7f800001
	s_mov_b32 s43, exec_lo
	v_cmpx_ne_u32_e32 0x7f, v68
	s_cbranch_execz .LBB312_167
; %bb.164:                              ;   in Loop: Header=BB312_12 Depth=1
	v_and_b32_e32 v25, 7, v35
	v_lshrrev_b32_e32 v67, 3, v68
	s_mov_b32 s44, exec_lo
	v_cmpx_gt_u32_e32 8, v68
; %bb.165:                              ;   in Loop: Header=BB312_12 Depth=1
	v_ffbh_u32_e32 v67, v25
	v_min_u32_e32 v67, 32, v67
	v_subrev_nc_u32_e32 v68, 28, v67
	v_sub_nc_u32_e32 v67, 29, v67
	v_lshlrev_b64 v[68:69], v68, v[25:26]
	v_and_b32_e32 v25, 7, v68
; %bb.166:                              ;   in Loop: Header=BB312_12 Depth=1
	s_or_b32 exec_lo, exec_lo, s44
	v_lshlrev_b32_e32 v68, 24, v35
	v_lshlrev_b32_e32 v25, 20, v25
	v_lshl_add_u32 v67, v67, 23, 0x3c000000
	v_and_b32_e32 v68, 0x80000000, v68
	v_or3_b32 v67, v25, v68, v67
.LBB312_167:                            ;   in Loop: Header=BB312_12 Depth=1
	s_or_b32 exec_lo, exec_lo, s43
.LBB312_168:                            ;   in Loop: Header=BB312_12 Depth=1
	s_or_b32 exec_lo, exec_lo, s42
.LBB312_169:                            ;   in Loop: Header=BB312_12 Depth=1
	s_or_b32 exec_lo, exec_lo, s3
	v_cmp_ne_u16_sdwa s2, v35, v26 src0_sel:BYTE_1 src1_sel:DWORD
	s_and_saveexec_b32 s3, s2
	s_cbranch_execz .LBB312_177
; %bb.170:                              ;   in Loop: Header=BB312_12 Depth=1
	v_cmp_ne_u16_sdwa s2, v35, v41 src0_sel:BYTE_1 src1_sel:DWORD
	v_bfrev_b32_e32 v66, 1
	s_and_saveexec_b32 s42, s2
	s_cbranch_execz .LBB312_176
; %bb.171:                              ;   in Loop: Header=BB312_12 Depth=1
	v_and_b32_sdwa v25, v42, v35 dst_sel:DWORD dst_unused:UNUSED_PAD src0_sel:DWORD src1_sel:BYTE_1
	v_mov_b32_e32 v66, 0x7f800001
	s_mov_b32 s43, exec_lo
	v_and_b32_e32 v68, 0x7f, v25
	v_cmpx_ne_u32_e32 0x7f, v68
	s_cbranch_execz .LBB312_175
; %bb.172:                              ;   in Loop: Header=BB312_12 Depth=1
	v_and_b32_e32 v25, 7, v25
	v_lshrrev_b32_e32 v66, 3, v68
	s_mov_b32 s44, exec_lo
	v_cmpx_gt_u32_e32 8, v68
; %bb.173:                              ;   in Loop: Header=BB312_12 Depth=1
	v_ffbh_u32_e32 v66, v25
	v_min_u32_e32 v66, 32, v66
	v_subrev_nc_u32_e32 v68, 28, v66
	v_sub_nc_u32_e32 v66, 29, v66
	v_lshlrev_b64 v[68:69], v68, v[25:26]
	v_and_b32_e32 v25, 7, v68
; %bb.174:                              ;   in Loop: Header=BB312_12 Depth=1
	s_or_b32 exec_lo, exec_lo, s44
	v_lshlrev_b32_e32 v35, 16, v35
	v_lshlrev_b32_e32 v25, 20, v25
	v_lshl_add_u32 v66, v66, 23, 0x3c000000
	v_and_b32_e32 v35, 0x80000000, v35
	v_or3_b32 v66, v25, v35, v66
.LBB312_175:                            ;   in Loop: Header=BB312_12 Depth=1
	s_or_b32 exec_lo, exec_lo, s43
.LBB312_176:                            ;   in Loop: Header=BB312_12 Depth=1
	s_or_b32 exec_lo, exec_lo, s42
.LBB312_177:                            ;   in Loop: Header=BB312_12 Depth=1
	s_or_b32 exec_lo, exec_lo, s3
	global_load_ushort v25, v[31:32], off offset:640
	v_mov_b32_e32 v68, 0
	v_mov_b32_e32 v69, 0
	s_waitcnt vmcnt(0)
	v_and_b32_e32 v35, 0xffff, v25
	v_cmp_ne_u16_sdwa s2, v25, v26 src0_sel:BYTE_0 src1_sel:DWORD
	s_and_saveexec_b32 s3, s2
	s_cbranch_execz .LBB312_185
; %bb.178:                              ;   in Loop: Header=BB312_12 Depth=1
	v_cmp_ne_u16_sdwa s2, v35, v41 src0_sel:BYTE_0 src1_sel:DWORD
	v_bfrev_b32_e32 v69, 1
	s_and_saveexec_b32 s42, s2
	s_cbranch_execz .LBB312_184
; %bb.179:                              ;   in Loop: Header=BB312_12 Depth=1
	v_and_b32_e32 v70, 0x7f, v35
	v_mov_b32_e32 v69, 0x7f800001
	s_mov_b32 s43, exec_lo
	v_cmpx_ne_u32_e32 0x7f, v70
	s_cbranch_execz .LBB312_183
; %bb.180:                              ;   in Loop: Header=BB312_12 Depth=1
	v_and_b32_e32 v25, 7, v35
	v_lshrrev_b32_e32 v69, 3, v70
	s_mov_b32 s44, exec_lo
	v_cmpx_gt_u32_e32 8, v70
; %bb.181:                              ;   in Loop: Header=BB312_12 Depth=1
	v_ffbh_u32_e32 v69, v25
	v_min_u32_e32 v69, 32, v69
	v_subrev_nc_u32_e32 v70, 28, v69
	v_sub_nc_u32_e32 v69, 29, v69
	v_lshlrev_b64 v[70:71], v70, v[25:26]
	v_and_b32_e32 v25, 7, v70
; %bb.182:                              ;   in Loop: Header=BB312_12 Depth=1
	s_or_b32 exec_lo, exec_lo, s44
	v_lshlrev_b32_e32 v70, 24, v35
	v_lshlrev_b32_e32 v25, 20, v25
	v_lshl_add_u32 v69, v69, 23, 0x3c000000
	v_and_b32_e32 v70, 0x80000000, v70
	v_or3_b32 v69, v25, v70, v69
.LBB312_183:                            ;   in Loop: Header=BB312_12 Depth=1
	s_or_b32 exec_lo, exec_lo, s43
.LBB312_184:                            ;   in Loop: Header=BB312_12 Depth=1
	s_or_b32 exec_lo, exec_lo, s42
.LBB312_185:                            ;   in Loop: Header=BB312_12 Depth=1
	s_or_b32 exec_lo, exec_lo, s3
	v_cmp_ne_u16_sdwa s2, v35, v26 src0_sel:BYTE_1 src1_sel:DWORD
	s_and_saveexec_b32 s3, s2
	s_cbranch_execz .LBB312_193
; %bb.186:                              ;   in Loop: Header=BB312_12 Depth=1
	v_cmp_ne_u16_sdwa s2, v35, v41 src0_sel:BYTE_1 src1_sel:DWORD
	v_bfrev_b32_e32 v68, 1
	s_and_saveexec_b32 s42, s2
	s_cbranch_execz .LBB312_192
; %bb.187:                              ;   in Loop: Header=BB312_12 Depth=1
	v_and_b32_sdwa v25, v42, v35 dst_sel:DWORD dst_unused:UNUSED_PAD src0_sel:DWORD src1_sel:BYTE_1
	v_mov_b32_e32 v68, 0x7f800001
	s_mov_b32 s43, exec_lo
	v_and_b32_e32 v70, 0x7f, v25
	v_cmpx_ne_u32_e32 0x7f, v70
	s_cbranch_execz .LBB312_191
; %bb.188:                              ;   in Loop: Header=BB312_12 Depth=1
	v_and_b32_e32 v25, 7, v25
	v_lshrrev_b32_e32 v68, 3, v70
	s_mov_b32 s44, exec_lo
	v_cmpx_gt_u32_e32 8, v70
; %bb.189:                              ;   in Loop: Header=BB312_12 Depth=1
	v_ffbh_u32_e32 v68, v25
	v_min_u32_e32 v68, 32, v68
	v_subrev_nc_u32_e32 v70, 28, v68
	v_sub_nc_u32_e32 v68, 29, v68
	v_lshlrev_b64 v[70:71], v70, v[25:26]
	v_and_b32_e32 v25, 7, v70
; %bb.190:                              ;   in Loop: Header=BB312_12 Depth=1
	s_or_b32 exec_lo, exec_lo, s44
	v_lshlrev_b32_e32 v35, 16, v35
	v_lshlrev_b32_e32 v25, 20, v25
	v_lshl_add_u32 v68, v68, 23, 0x3c000000
	v_and_b32_e32 v35, 0x80000000, v35
	v_or3_b32 v68, v25, v35, v68
.LBB312_191:                            ;   in Loop: Header=BB312_12 Depth=1
	s_or_b32 exec_lo, exec_lo, s43
.LBB312_192:                            ;   in Loop: Header=BB312_12 Depth=1
	s_or_b32 exec_lo, exec_lo, s42
.LBB312_193:                            ;   in Loop: Header=BB312_12 Depth=1
	s_or_b32 exec_lo, exec_lo, s3
	global_load_ushort v25, v[31:32], off offset:648
	v_mov_b32_e32 v70, 0
	v_mov_b32_e32 v71, 0
	s_waitcnt vmcnt(0)
	v_and_b32_e32 v35, 0xffff, v25
	v_cmp_ne_u16_sdwa s2, v25, v26 src0_sel:BYTE_0 src1_sel:DWORD
	s_and_saveexec_b32 s3, s2
	s_cbranch_execz .LBB312_201
; %bb.194:                              ;   in Loop: Header=BB312_12 Depth=1
	v_cmp_ne_u16_sdwa s2, v35, v41 src0_sel:BYTE_0 src1_sel:DWORD
	v_bfrev_b32_e32 v71, 1
	s_and_saveexec_b32 s42, s2
	s_cbranch_execz .LBB312_200
; %bb.195:                              ;   in Loop: Header=BB312_12 Depth=1
	v_and_b32_e32 v72, 0x7f, v35
	v_mov_b32_e32 v71, 0x7f800001
	s_mov_b32 s43, exec_lo
	v_cmpx_ne_u32_e32 0x7f, v72
	s_cbranch_execz .LBB312_199
; %bb.196:                              ;   in Loop: Header=BB312_12 Depth=1
	v_and_b32_e32 v25, 7, v35
	v_lshrrev_b32_e32 v71, 3, v72
	s_mov_b32 s44, exec_lo
	v_cmpx_gt_u32_e32 8, v72
; %bb.197:                              ;   in Loop: Header=BB312_12 Depth=1
	v_ffbh_u32_e32 v71, v25
	v_min_u32_e32 v71, 32, v71
	v_subrev_nc_u32_e32 v72, 28, v71
	v_sub_nc_u32_e32 v71, 29, v71
	v_lshlrev_b64 v[72:73], v72, v[25:26]
	v_and_b32_e32 v25, 7, v72
; %bb.198:                              ;   in Loop: Header=BB312_12 Depth=1
	s_or_b32 exec_lo, exec_lo, s44
	v_lshlrev_b32_e32 v72, 24, v35
	v_lshlrev_b32_e32 v25, 20, v25
	v_lshl_add_u32 v71, v71, 23, 0x3c000000
	v_and_b32_e32 v72, 0x80000000, v72
	v_or3_b32 v71, v25, v72, v71
.LBB312_199:                            ;   in Loop: Header=BB312_12 Depth=1
	s_or_b32 exec_lo, exec_lo, s43
.LBB312_200:                            ;   in Loop: Header=BB312_12 Depth=1
	s_or_b32 exec_lo, exec_lo, s42
.LBB312_201:                            ;   in Loop: Header=BB312_12 Depth=1
	s_or_b32 exec_lo, exec_lo, s3
	v_cmp_ne_u16_sdwa s2, v35, v26 src0_sel:BYTE_1 src1_sel:DWORD
	s_and_saveexec_b32 s3, s2
	s_cbranch_execz .LBB312_209
; %bb.202:                              ;   in Loop: Header=BB312_12 Depth=1
	v_cmp_ne_u16_sdwa s2, v35, v41 src0_sel:BYTE_1 src1_sel:DWORD
	v_bfrev_b32_e32 v70, 1
	s_and_saveexec_b32 s42, s2
	s_cbranch_execz .LBB312_208
; %bb.203:                              ;   in Loop: Header=BB312_12 Depth=1
	v_and_b32_sdwa v25, v42, v35 dst_sel:DWORD dst_unused:UNUSED_PAD src0_sel:DWORD src1_sel:BYTE_1
	v_mov_b32_e32 v70, 0x7f800001
	s_mov_b32 s43, exec_lo
	v_and_b32_e32 v72, 0x7f, v25
	v_cmpx_ne_u32_e32 0x7f, v72
	s_cbranch_execz .LBB312_207
; %bb.204:                              ;   in Loop: Header=BB312_12 Depth=1
	v_and_b32_e32 v25, 7, v25
	v_lshrrev_b32_e32 v70, 3, v72
	s_mov_b32 s44, exec_lo
	v_cmpx_gt_u32_e32 8, v72
; %bb.205:                              ;   in Loop: Header=BB312_12 Depth=1
	v_ffbh_u32_e32 v70, v25
	v_min_u32_e32 v70, 32, v70
	v_subrev_nc_u32_e32 v72, 28, v70
	v_sub_nc_u32_e32 v70, 29, v70
	v_lshlrev_b64 v[72:73], v72, v[25:26]
	v_and_b32_e32 v25, 7, v72
; %bb.206:                              ;   in Loop: Header=BB312_12 Depth=1
	s_or_b32 exec_lo, exec_lo, s44
	v_lshlrev_b32_e32 v35, 16, v35
	v_lshlrev_b32_e32 v25, 20, v25
	v_lshl_add_u32 v70, v70, 23, 0x3c000000
	v_and_b32_e32 v35, 0x80000000, v35
	v_or3_b32 v70, v25, v35, v70
.LBB312_207:                            ;   in Loop: Header=BB312_12 Depth=1
	s_or_b32 exec_lo, exec_lo, s43
.LBB312_208:                            ;   in Loop: Header=BB312_12 Depth=1
	s_or_b32 exec_lo, exec_lo, s42
.LBB312_209:                            ;   in Loop: Header=BB312_12 Depth=1
	s_or_b32 exec_lo, exec_lo, s3
	global_load_ushort v25, v[31:32], off offset:768
	v_mov_b32_e32 v72, 0
	v_mov_b32_e32 v73, 0
	s_waitcnt vmcnt(0)
	v_and_b32_e32 v35, 0xffff, v25
	v_cmp_ne_u16_sdwa s2, v25, v26 src0_sel:BYTE_0 src1_sel:DWORD
	s_and_saveexec_b32 s3, s2
	s_cbranch_execz .LBB312_217
; %bb.210:                              ;   in Loop: Header=BB312_12 Depth=1
	v_cmp_ne_u16_sdwa s2, v35, v41 src0_sel:BYTE_0 src1_sel:DWORD
	v_bfrev_b32_e32 v73, 1
	s_and_saveexec_b32 s42, s2
	s_cbranch_execz .LBB312_216
; %bb.211:                              ;   in Loop: Header=BB312_12 Depth=1
	v_and_b32_e32 v74, 0x7f, v35
	v_mov_b32_e32 v73, 0x7f800001
	s_mov_b32 s43, exec_lo
	v_cmpx_ne_u32_e32 0x7f, v74
	s_cbranch_execz .LBB312_215
; %bb.212:                              ;   in Loop: Header=BB312_12 Depth=1
	v_and_b32_e32 v25, 7, v35
	v_lshrrev_b32_e32 v73, 3, v74
	s_mov_b32 s44, exec_lo
	v_cmpx_gt_u32_e32 8, v74
; %bb.213:                              ;   in Loop: Header=BB312_12 Depth=1
	v_ffbh_u32_e32 v73, v25
	v_min_u32_e32 v73, 32, v73
	v_subrev_nc_u32_e32 v74, 28, v73
	v_sub_nc_u32_e32 v73, 29, v73
	v_lshlrev_b64 v[74:75], v74, v[25:26]
	v_and_b32_e32 v25, 7, v74
; %bb.214:                              ;   in Loop: Header=BB312_12 Depth=1
	s_or_b32 exec_lo, exec_lo, s44
	v_lshlrev_b32_e32 v74, 24, v35
	v_lshlrev_b32_e32 v25, 20, v25
	v_lshl_add_u32 v73, v73, 23, 0x3c000000
	v_and_b32_e32 v74, 0x80000000, v74
	v_or3_b32 v73, v25, v74, v73
.LBB312_215:                            ;   in Loop: Header=BB312_12 Depth=1
	s_or_b32 exec_lo, exec_lo, s43
.LBB312_216:                            ;   in Loop: Header=BB312_12 Depth=1
	s_or_b32 exec_lo, exec_lo, s42
.LBB312_217:                            ;   in Loop: Header=BB312_12 Depth=1
	s_or_b32 exec_lo, exec_lo, s3
	v_cmp_ne_u16_sdwa s2, v35, v26 src0_sel:BYTE_1 src1_sel:DWORD
	s_and_saveexec_b32 s3, s2
	s_cbranch_execz .LBB312_225
; %bb.218:                              ;   in Loop: Header=BB312_12 Depth=1
	v_cmp_ne_u16_sdwa s2, v35, v41 src0_sel:BYTE_1 src1_sel:DWORD
	v_bfrev_b32_e32 v72, 1
	s_and_saveexec_b32 s42, s2
	s_cbranch_execz .LBB312_224
; %bb.219:                              ;   in Loop: Header=BB312_12 Depth=1
	v_and_b32_sdwa v25, v42, v35 dst_sel:DWORD dst_unused:UNUSED_PAD src0_sel:DWORD src1_sel:BYTE_1
	v_mov_b32_e32 v72, 0x7f800001
	s_mov_b32 s43, exec_lo
	v_and_b32_e32 v74, 0x7f, v25
	v_cmpx_ne_u32_e32 0x7f, v74
	s_cbranch_execz .LBB312_223
; %bb.220:                              ;   in Loop: Header=BB312_12 Depth=1
	v_and_b32_e32 v25, 7, v25
	v_lshrrev_b32_e32 v72, 3, v74
	s_mov_b32 s44, exec_lo
	v_cmpx_gt_u32_e32 8, v74
; %bb.221:                              ;   in Loop: Header=BB312_12 Depth=1
	v_ffbh_u32_e32 v72, v25
	v_min_u32_e32 v72, 32, v72
	v_subrev_nc_u32_e32 v74, 28, v72
	v_sub_nc_u32_e32 v72, 29, v72
	v_lshlrev_b64 v[74:75], v74, v[25:26]
	v_and_b32_e32 v25, 7, v74
; %bb.222:                              ;   in Loop: Header=BB312_12 Depth=1
	s_or_b32 exec_lo, exec_lo, s44
	v_lshlrev_b32_e32 v35, 16, v35
	v_lshlrev_b32_e32 v25, 20, v25
	v_lshl_add_u32 v72, v72, 23, 0x3c000000
	v_and_b32_e32 v35, 0x80000000, v35
	v_or3_b32 v72, v25, v35, v72
.LBB312_223:                            ;   in Loop: Header=BB312_12 Depth=1
	s_or_b32 exec_lo, exec_lo, s43
.LBB312_224:                            ;   in Loop: Header=BB312_12 Depth=1
	s_or_b32 exec_lo, exec_lo, s42
.LBB312_225:                            ;   in Loop: Header=BB312_12 Depth=1
	s_or_b32 exec_lo, exec_lo, s3
	global_load_ushort v25, v[31:32], off offset:776
	v_mov_b32_e32 v74, 0
	v_mov_b32_e32 v75, 0
	s_waitcnt vmcnt(0)
	v_and_b32_e32 v35, 0xffff, v25
	v_cmp_ne_u16_sdwa s2, v25, v26 src0_sel:BYTE_0 src1_sel:DWORD
	s_and_saveexec_b32 s3, s2
	s_cbranch_execz .LBB312_233
; %bb.226:                              ;   in Loop: Header=BB312_12 Depth=1
	v_cmp_ne_u16_sdwa s2, v35, v41 src0_sel:BYTE_0 src1_sel:DWORD
	v_bfrev_b32_e32 v75, 1
	s_and_saveexec_b32 s42, s2
	s_cbranch_execz .LBB312_232
; %bb.227:                              ;   in Loop: Header=BB312_12 Depth=1
	v_and_b32_e32 v76, 0x7f, v35
	v_mov_b32_e32 v75, 0x7f800001
	s_mov_b32 s43, exec_lo
	v_cmpx_ne_u32_e32 0x7f, v76
	s_cbranch_execz .LBB312_231
; %bb.228:                              ;   in Loop: Header=BB312_12 Depth=1
	v_and_b32_e32 v25, 7, v35
	v_lshrrev_b32_e32 v75, 3, v76
	s_mov_b32 s44, exec_lo
	v_cmpx_gt_u32_e32 8, v76
; %bb.229:                              ;   in Loop: Header=BB312_12 Depth=1
	v_ffbh_u32_e32 v75, v25
	v_min_u32_e32 v75, 32, v75
	v_subrev_nc_u32_e32 v76, 28, v75
	v_sub_nc_u32_e32 v75, 29, v75
	v_lshlrev_b64 v[76:77], v76, v[25:26]
	v_and_b32_e32 v25, 7, v76
; %bb.230:                              ;   in Loop: Header=BB312_12 Depth=1
	s_or_b32 exec_lo, exec_lo, s44
	v_lshlrev_b32_e32 v76, 24, v35
	v_lshlrev_b32_e32 v25, 20, v25
	v_lshl_add_u32 v75, v75, 23, 0x3c000000
	v_and_b32_e32 v76, 0x80000000, v76
	v_or3_b32 v75, v25, v76, v75
.LBB312_231:                            ;   in Loop: Header=BB312_12 Depth=1
	s_or_b32 exec_lo, exec_lo, s43
.LBB312_232:                            ;   in Loop: Header=BB312_12 Depth=1
	s_or_b32 exec_lo, exec_lo, s42
.LBB312_233:                            ;   in Loop: Header=BB312_12 Depth=1
	s_or_b32 exec_lo, exec_lo, s3
	v_cmp_ne_u16_sdwa s2, v35, v26 src0_sel:BYTE_1 src1_sel:DWORD
	s_and_saveexec_b32 s3, s2
	s_cbranch_execz .LBB312_241
; %bb.234:                              ;   in Loop: Header=BB312_12 Depth=1
	v_cmp_ne_u16_sdwa s2, v35, v41 src0_sel:BYTE_1 src1_sel:DWORD
	v_bfrev_b32_e32 v74, 1
	s_and_saveexec_b32 s42, s2
	s_cbranch_execz .LBB312_240
; %bb.235:                              ;   in Loop: Header=BB312_12 Depth=1
	v_and_b32_sdwa v25, v42, v35 dst_sel:DWORD dst_unused:UNUSED_PAD src0_sel:DWORD src1_sel:BYTE_1
	v_mov_b32_e32 v74, 0x7f800001
	s_mov_b32 s43, exec_lo
	v_and_b32_e32 v76, 0x7f, v25
	v_cmpx_ne_u32_e32 0x7f, v76
	s_cbranch_execz .LBB312_239
; %bb.236:                              ;   in Loop: Header=BB312_12 Depth=1
	v_and_b32_e32 v25, 7, v25
	v_lshrrev_b32_e32 v74, 3, v76
	s_mov_b32 s44, exec_lo
	v_cmpx_gt_u32_e32 8, v76
; %bb.237:                              ;   in Loop: Header=BB312_12 Depth=1
	v_ffbh_u32_e32 v74, v25
	v_min_u32_e32 v74, 32, v74
	v_subrev_nc_u32_e32 v76, 28, v74
	v_sub_nc_u32_e32 v74, 29, v74
	v_lshlrev_b64 v[76:77], v76, v[25:26]
	v_and_b32_e32 v25, 7, v76
; %bb.238:                              ;   in Loop: Header=BB312_12 Depth=1
	s_or_b32 exec_lo, exec_lo, s44
	v_lshlrev_b32_e32 v35, 16, v35
	v_lshlrev_b32_e32 v25, 20, v25
	v_lshl_add_u32 v74, v74, 23, 0x3c000000
	v_and_b32_e32 v35, 0x80000000, v35
	v_or3_b32 v74, v25, v35, v74
.LBB312_239:                            ;   in Loop: Header=BB312_12 Depth=1
	s_or_b32 exec_lo, exec_lo, s43
.LBB312_240:                            ;   in Loop: Header=BB312_12 Depth=1
	s_or_b32 exec_lo, exec_lo, s42
.LBB312_241:                            ;   in Loop: Header=BB312_12 Depth=1
	s_or_b32 exec_lo, exec_lo, s3
	global_load_ushort v25, v[31:32], off offset:896
	v_mov_b32_e32 v76, 0
	v_mov_b32_e32 v77, 0
	s_waitcnt vmcnt(0)
	v_and_b32_e32 v35, 0xffff, v25
	v_cmp_ne_u16_sdwa s2, v25, v26 src0_sel:BYTE_0 src1_sel:DWORD
	s_and_saveexec_b32 s3, s2
	s_cbranch_execz .LBB312_249
; %bb.242:                              ;   in Loop: Header=BB312_12 Depth=1
	v_cmp_ne_u16_sdwa s2, v35, v41 src0_sel:BYTE_0 src1_sel:DWORD
	v_bfrev_b32_e32 v77, 1
	s_and_saveexec_b32 s42, s2
	s_cbranch_execz .LBB312_248
; %bb.243:                              ;   in Loop: Header=BB312_12 Depth=1
	v_and_b32_e32 v78, 0x7f, v35
	v_mov_b32_e32 v77, 0x7f800001
	s_mov_b32 s43, exec_lo
	v_cmpx_ne_u32_e32 0x7f, v78
	s_cbranch_execz .LBB312_247
; %bb.244:                              ;   in Loop: Header=BB312_12 Depth=1
	v_and_b32_e32 v25, 7, v35
	v_lshrrev_b32_e32 v77, 3, v78
	s_mov_b32 s44, exec_lo
	v_cmpx_gt_u32_e32 8, v78
; %bb.245:                              ;   in Loop: Header=BB312_12 Depth=1
	v_ffbh_u32_e32 v77, v25
	v_min_u32_e32 v77, 32, v77
	v_subrev_nc_u32_e32 v78, 28, v77
	v_sub_nc_u32_e32 v77, 29, v77
	v_lshlrev_b64 v[78:79], v78, v[25:26]
	v_and_b32_e32 v25, 7, v78
; %bb.246:                              ;   in Loop: Header=BB312_12 Depth=1
	s_or_b32 exec_lo, exec_lo, s44
	v_lshlrev_b32_e32 v78, 24, v35
	v_lshlrev_b32_e32 v25, 20, v25
	v_lshl_add_u32 v77, v77, 23, 0x3c000000
	v_and_b32_e32 v78, 0x80000000, v78
	v_or3_b32 v77, v25, v78, v77
.LBB312_247:                            ;   in Loop: Header=BB312_12 Depth=1
	s_or_b32 exec_lo, exec_lo, s43
.LBB312_248:                            ;   in Loop: Header=BB312_12 Depth=1
	s_or_b32 exec_lo, exec_lo, s42
.LBB312_249:                            ;   in Loop: Header=BB312_12 Depth=1
	s_or_b32 exec_lo, exec_lo, s3
	v_cmp_ne_u16_sdwa s2, v35, v26 src0_sel:BYTE_1 src1_sel:DWORD
	s_and_saveexec_b32 s3, s2
	s_cbranch_execz .LBB312_257
; %bb.250:                              ;   in Loop: Header=BB312_12 Depth=1
	v_cmp_ne_u16_sdwa s2, v35, v41 src0_sel:BYTE_1 src1_sel:DWORD
	v_bfrev_b32_e32 v76, 1
	s_and_saveexec_b32 s42, s2
	s_cbranch_execz .LBB312_256
; %bb.251:                              ;   in Loop: Header=BB312_12 Depth=1
	v_and_b32_sdwa v25, v42, v35 dst_sel:DWORD dst_unused:UNUSED_PAD src0_sel:DWORD src1_sel:BYTE_1
	v_mov_b32_e32 v76, 0x7f800001
	s_mov_b32 s43, exec_lo
	v_and_b32_e32 v78, 0x7f, v25
	v_cmpx_ne_u32_e32 0x7f, v78
	s_cbranch_execz .LBB312_255
; %bb.252:                              ;   in Loop: Header=BB312_12 Depth=1
	v_and_b32_e32 v25, 7, v25
	v_lshrrev_b32_e32 v76, 3, v78
	s_mov_b32 s44, exec_lo
	v_cmpx_gt_u32_e32 8, v78
; %bb.253:                              ;   in Loop: Header=BB312_12 Depth=1
	v_ffbh_u32_e32 v76, v25
	v_min_u32_e32 v76, 32, v76
	v_subrev_nc_u32_e32 v78, 28, v76
	v_sub_nc_u32_e32 v76, 29, v76
	v_lshlrev_b64 v[78:79], v78, v[25:26]
	v_and_b32_e32 v25, 7, v78
; %bb.254:                              ;   in Loop: Header=BB312_12 Depth=1
	s_or_b32 exec_lo, exec_lo, s44
	v_lshlrev_b32_e32 v35, 16, v35
	v_lshlrev_b32_e32 v25, 20, v25
	v_lshl_add_u32 v76, v76, 23, 0x3c000000
	v_and_b32_e32 v35, 0x80000000, v35
	v_or3_b32 v76, v25, v35, v76
.LBB312_255:                            ;   in Loop: Header=BB312_12 Depth=1
	s_or_b32 exec_lo, exec_lo, s43
.LBB312_256:                            ;   in Loop: Header=BB312_12 Depth=1
	s_or_b32 exec_lo, exec_lo, s42
.LBB312_257:                            ;   in Loop: Header=BB312_12 Depth=1
	s_or_b32 exec_lo, exec_lo, s3
	global_load_ushort v25, v[31:32], off offset:904
	v_mov_b32_e32 v78, 0
	v_mov_b32_e32 v79, 0
	s_waitcnt vmcnt(0)
	v_and_b32_e32 v35, 0xffff, v25
	v_cmp_ne_u16_sdwa s2, v25, v26 src0_sel:BYTE_0 src1_sel:DWORD
	s_and_saveexec_b32 s3, s2
	s_cbranch_execz .LBB312_265
; %bb.258:                              ;   in Loop: Header=BB312_12 Depth=1
	v_cmp_ne_u16_sdwa s2, v35, v41 src0_sel:BYTE_0 src1_sel:DWORD
	v_bfrev_b32_e32 v79, 1
	s_and_saveexec_b32 s42, s2
	s_cbranch_execz .LBB312_264
; %bb.259:                              ;   in Loop: Header=BB312_12 Depth=1
	v_and_b32_e32 v80, 0x7f, v35
	v_mov_b32_e32 v79, 0x7f800001
	s_mov_b32 s43, exec_lo
	v_cmpx_ne_u32_e32 0x7f, v80
	s_cbranch_execz .LBB312_263
; %bb.260:                              ;   in Loop: Header=BB312_12 Depth=1
	v_and_b32_e32 v25, 7, v35
	v_lshrrev_b32_e32 v79, 3, v80
	s_mov_b32 s44, exec_lo
	v_cmpx_gt_u32_e32 8, v80
; %bb.261:                              ;   in Loop: Header=BB312_12 Depth=1
	v_ffbh_u32_e32 v79, v25
	v_min_u32_e32 v79, 32, v79
	v_subrev_nc_u32_e32 v80, 28, v79
	v_sub_nc_u32_e32 v79, 29, v79
	v_lshlrev_b64 v[80:81], v80, v[25:26]
	v_and_b32_e32 v25, 7, v80
; %bb.262:                              ;   in Loop: Header=BB312_12 Depth=1
	s_or_b32 exec_lo, exec_lo, s44
	v_lshlrev_b32_e32 v80, 24, v35
	v_lshlrev_b32_e32 v25, 20, v25
	v_lshl_add_u32 v79, v79, 23, 0x3c000000
	v_and_b32_e32 v80, 0x80000000, v80
	v_or3_b32 v79, v25, v80, v79
.LBB312_263:                            ;   in Loop: Header=BB312_12 Depth=1
	s_or_b32 exec_lo, exec_lo, s43
.LBB312_264:                            ;   in Loop: Header=BB312_12 Depth=1
	s_or_b32 exec_lo, exec_lo, s42
.LBB312_265:                            ;   in Loop: Header=BB312_12 Depth=1
	s_or_b32 exec_lo, exec_lo, s3
	v_cmp_ne_u16_sdwa s2, v35, v26 src0_sel:BYTE_1 src1_sel:DWORD
	s_and_saveexec_b32 s3, s2
	s_cbranch_execz .LBB312_273
; %bb.266:                              ;   in Loop: Header=BB312_12 Depth=1
	v_cmp_ne_u16_sdwa s2, v35, v41 src0_sel:BYTE_1 src1_sel:DWORD
	v_bfrev_b32_e32 v78, 1
	s_and_saveexec_b32 s42, s2
	s_cbranch_execz .LBB312_272
; %bb.267:                              ;   in Loop: Header=BB312_12 Depth=1
	v_and_b32_sdwa v25, v42, v35 dst_sel:DWORD dst_unused:UNUSED_PAD src0_sel:DWORD src1_sel:BYTE_1
	v_mov_b32_e32 v78, 0x7f800001
	s_mov_b32 s43, exec_lo
	v_and_b32_e32 v80, 0x7f, v25
	v_cmpx_ne_u32_e32 0x7f, v80
	s_cbranch_execz .LBB312_271
; %bb.268:                              ;   in Loop: Header=BB312_12 Depth=1
	v_and_b32_e32 v25, 7, v25
	v_lshrrev_b32_e32 v78, 3, v80
	s_mov_b32 s44, exec_lo
	v_cmpx_gt_u32_e32 8, v80
; %bb.269:                              ;   in Loop: Header=BB312_12 Depth=1
	v_ffbh_u32_e32 v78, v25
	v_min_u32_e32 v78, 32, v78
	v_subrev_nc_u32_e32 v80, 28, v78
	v_sub_nc_u32_e32 v78, 29, v78
	v_lshlrev_b64 v[80:81], v80, v[25:26]
	v_and_b32_e32 v25, 7, v80
; %bb.270:                              ;   in Loop: Header=BB312_12 Depth=1
	s_or_b32 exec_lo, exec_lo, s44
	v_lshlrev_b32_e32 v35, 16, v35
	v_lshlrev_b32_e32 v25, 20, v25
	v_lshl_add_u32 v78, v78, 23, 0x3c000000
	v_and_b32_e32 v35, 0x80000000, v35
	v_or3_b32 v78, v25, v35, v78
.LBB312_271:                            ;   in Loop: Header=BB312_12 Depth=1
	s_or_b32 exec_lo, exec_lo, s43
.LBB312_272:                            ;   in Loop: Header=BB312_12 Depth=1
	s_or_b32 exec_lo, exec_lo, s42
.LBB312_273:                            ;   in Loop: Header=BB312_12 Depth=1
	s_or_b32 exec_lo, exec_lo, s3
	global_load_ushort v25, v[31:32], off offset:1024
	v_mov_b32_e32 v80, 0
	v_mov_b32_e32 v81, 0
	s_waitcnt vmcnt(0)
	v_and_b32_e32 v35, 0xffff, v25
	v_cmp_ne_u16_sdwa s2, v25, v26 src0_sel:BYTE_0 src1_sel:DWORD
	s_and_saveexec_b32 s3, s2
	s_cbranch_execz .LBB312_281
; %bb.274:                              ;   in Loop: Header=BB312_12 Depth=1
	v_cmp_ne_u16_sdwa s2, v35, v41 src0_sel:BYTE_0 src1_sel:DWORD
	v_bfrev_b32_e32 v81, 1
	s_and_saveexec_b32 s42, s2
	s_cbranch_execz .LBB312_280
; %bb.275:                              ;   in Loop: Header=BB312_12 Depth=1
	v_and_b32_e32 v82, 0x7f, v35
	v_mov_b32_e32 v81, 0x7f800001
	s_mov_b32 s43, exec_lo
	v_cmpx_ne_u32_e32 0x7f, v82
	s_cbranch_execz .LBB312_279
; %bb.276:                              ;   in Loop: Header=BB312_12 Depth=1
	v_and_b32_e32 v25, 7, v35
	v_lshrrev_b32_e32 v81, 3, v82
	s_mov_b32 s44, exec_lo
	v_cmpx_gt_u32_e32 8, v82
; %bb.277:                              ;   in Loop: Header=BB312_12 Depth=1
	v_ffbh_u32_e32 v81, v25
	v_min_u32_e32 v81, 32, v81
	v_subrev_nc_u32_e32 v82, 28, v81
	v_sub_nc_u32_e32 v81, 29, v81
	v_lshlrev_b64 v[82:83], v82, v[25:26]
	v_and_b32_e32 v25, 7, v82
; %bb.278:                              ;   in Loop: Header=BB312_12 Depth=1
	s_or_b32 exec_lo, exec_lo, s44
	v_lshlrev_b32_e32 v82, 24, v35
	v_lshlrev_b32_e32 v25, 20, v25
	v_lshl_add_u32 v81, v81, 23, 0x3c000000
	v_and_b32_e32 v82, 0x80000000, v82
	v_or3_b32 v81, v25, v82, v81
.LBB312_279:                            ;   in Loop: Header=BB312_12 Depth=1
	s_or_b32 exec_lo, exec_lo, s43
.LBB312_280:                            ;   in Loop: Header=BB312_12 Depth=1
	s_or_b32 exec_lo, exec_lo, s42
.LBB312_281:                            ;   in Loop: Header=BB312_12 Depth=1
	s_or_b32 exec_lo, exec_lo, s3
	v_cmp_ne_u16_sdwa s2, v35, v26 src0_sel:BYTE_1 src1_sel:DWORD
	s_and_saveexec_b32 s3, s2
	s_cbranch_execz .LBB312_289
; %bb.282:                              ;   in Loop: Header=BB312_12 Depth=1
	v_cmp_ne_u16_sdwa s2, v35, v41 src0_sel:BYTE_1 src1_sel:DWORD
	v_bfrev_b32_e32 v80, 1
	s_and_saveexec_b32 s42, s2
	s_cbranch_execz .LBB312_288
; %bb.283:                              ;   in Loop: Header=BB312_12 Depth=1
	v_and_b32_sdwa v25, v42, v35 dst_sel:DWORD dst_unused:UNUSED_PAD src0_sel:DWORD src1_sel:BYTE_1
	v_mov_b32_e32 v80, 0x7f800001
	s_mov_b32 s43, exec_lo
	v_and_b32_e32 v82, 0x7f, v25
	v_cmpx_ne_u32_e32 0x7f, v82
	s_cbranch_execz .LBB312_287
; %bb.284:                              ;   in Loop: Header=BB312_12 Depth=1
	v_and_b32_e32 v25, 7, v25
	v_lshrrev_b32_e32 v80, 3, v82
	s_mov_b32 s44, exec_lo
	v_cmpx_gt_u32_e32 8, v82
; %bb.285:                              ;   in Loop: Header=BB312_12 Depth=1
	v_ffbh_u32_e32 v80, v25
	v_min_u32_e32 v80, 32, v80
	v_subrev_nc_u32_e32 v82, 28, v80
	v_sub_nc_u32_e32 v80, 29, v80
	v_lshlrev_b64 v[82:83], v82, v[25:26]
	v_and_b32_e32 v25, 7, v82
; %bb.286:                              ;   in Loop: Header=BB312_12 Depth=1
	s_or_b32 exec_lo, exec_lo, s44
	v_lshlrev_b32_e32 v35, 16, v35
	v_lshlrev_b32_e32 v25, 20, v25
	v_lshl_add_u32 v80, v80, 23, 0x3c000000
	v_and_b32_e32 v35, 0x80000000, v35
	v_or3_b32 v80, v25, v35, v80
.LBB312_287:                            ;   in Loop: Header=BB312_12 Depth=1
	s_or_b32 exec_lo, exec_lo, s43
.LBB312_288:                            ;   in Loop: Header=BB312_12 Depth=1
	s_or_b32 exec_lo, exec_lo, s42
.LBB312_289:                            ;   in Loop: Header=BB312_12 Depth=1
	s_or_b32 exec_lo, exec_lo, s3
	global_load_ushort v25, v[31:32], off offset:1032
	v_mov_b32_e32 v82, 0
	v_mov_b32_e32 v83, 0
	s_waitcnt vmcnt(0)
	v_and_b32_e32 v35, 0xffff, v25
	v_cmp_ne_u16_sdwa s2, v25, v26 src0_sel:BYTE_0 src1_sel:DWORD
	s_and_saveexec_b32 s3, s2
	s_cbranch_execz .LBB312_297
; %bb.290:                              ;   in Loop: Header=BB312_12 Depth=1
	v_cmp_ne_u16_sdwa s2, v35, v41 src0_sel:BYTE_0 src1_sel:DWORD
	v_bfrev_b32_e32 v83, 1
	s_and_saveexec_b32 s42, s2
	s_cbranch_execz .LBB312_296
; %bb.291:                              ;   in Loop: Header=BB312_12 Depth=1
	v_and_b32_e32 v84, 0x7f, v35
	v_mov_b32_e32 v83, 0x7f800001
	s_mov_b32 s43, exec_lo
	v_cmpx_ne_u32_e32 0x7f, v84
	s_cbranch_execz .LBB312_295
; %bb.292:                              ;   in Loop: Header=BB312_12 Depth=1
	v_and_b32_e32 v25, 7, v35
	v_lshrrev_b32_e32 v83, 3, v84
	s_mov_b32 s44, exec_lo
	v_cmpx_gt_u32_e32 8, v84
; %bb.293:                              ;   in Loop: Header=BB312_12 Depth=1
	v_ffbh_u32_e32 v83, v25
	v_min_u32_e32 v83, 32, v83
	v_subrev_nc_u32_e32 v84, 28, v83
	v_sub_nc_u32_e32 v83, 29, v83
	v_lshlrev_b64 v[84:85], v84, v[25:26]
	v_and_b32_e32 v25, 7, v84
; %bb.294:                              ;   in Loop: Header=BB312_12 Depth=1
	s_or_b32 exec_lo, exec_lo, s44
	v_lshlrev_b32_e32 v84, 24, v35
	v_lshlrev_b32_e32 v25, 20, v25
	v_lshl_add_u32 v83, v83, 23, 0x3c000000
	v_and_b32_e32 v84, 0x80000000, v84
	v_or3_b32 v83, v25, v84, v83
.LBB312_295:                            ;   in Loop: Header=BB312_12 Depth=1
	s_or_b32 exec_lo, exec_lo, s43
.LBB312_296:                            ;   in Loop: Header=BB312_12 Depth=1
	s_or_b32 exec_lo, exec_lo, s42
.LBB312_297:                            ;   in Loop: Header=BB312_12 Depth=1
	s_or_b32 exec_lo, exec_lo, s3
	v_cmp_ne_u16_sdwa s2, v35, v26 src0_sel:BYTE_1 src1_sel:DWORD
	s_and_saveexec_b32 s3, s2
	s_cbranch_execz .LBB312_305
; %bb.298:                              ;   in Loop: Header=BB312_12 Depth=1
	v_cmp_ne_u16_sdwa s2, v35, v41 src0_sel:BYTE_1 src1_sel:DWORD
	v_bfrev_b32_e32 v82, 1
	s_and_saveexec_b32 s42, s2
	s_cbranch_execz .LBB312_304
; %bb.299:                              ;   in Loop: Header=BB312_12 Depth=1
	v_and_b32_sdwa v25, v42, v35 dst_sel:DWORD dst_unused:UNUSED_PAD src0_sel:DWORD src1_sel:BYTE_1
	v_mov_b32_e32 v82, 0x7f800001
	s_mov_b32 s43, exec_lo
	v_and_b32_e32 v84, 0x7f, v25
	v_cmpx_ne_u32_e32 0x7f, v84
	s_cbranch_execz .LBB312_303
; %bb.300:                              ;   in Loop: Header=BB312_12 Depth=1
	v_and_b32_e32 v25, 7, v25
	v_lshrrev_b32_e32 v82, 3, v84
	s_mov_b32 s44, exec_lo
	v_cmpx_gt_u32_e32 8, v84
; %bb.301:                              ;   in Loop: Header=BB312_12 Depth=1
	v_ffbh_u32_e32 v82, v25
	v_min_u32_e32 v82, 32, v82
	v_subrev_nc_u32_e32 v84, 28, v82
	v_sub_nc_u32_e32 v82, 29, v82
	v_lshlrev_b64 v[84:85], v84, v[25:26]
	v_and_b32_e32 v25, 7, v84
; %bb.302:                              ;   in Loop: Header=BB312_12 Depth=1
	s_or_b32 exec_lo, exec_lo, s44
	v_lshlrev_b32_e32 v35, 16, v35
	v_lshlrev_b32_e32 v25, 20, v25
	v_lshl_add_u32 v82, v82, 23, 0x3c000000
	v_and_b32_e32 v35, 0x80000000, v35
	v_or3_b32 v82, v25, v35, v82
.LBB312_303:                            ;   in Loop: Header=BB312_12 Depth=1
	s_or_b32 exec_lo, exec_lo, s43
.LBB312_304:                            ;   in Loop: Header=BB312_12 Depth=1
	s_or_b32 exec_lo, exec_lo, s42
.LBB312_305:                            ;   in Loop: Header=BB312_12 Depth=1
	s_or_b32 exec_lo, exec_lo, s3
	global_load_ushort v25, v[31:32], off offset:1152
	v_mov_b32_e32 v84, 0
	v_mov_b32_e32 v85, 0
	s_waitcnt vmcnt(0)
	v_and_b32_e32 v35, 0xffff, v25
	v_cmp_ne_u16_sdwa s2, v25, v26 src0_sel:BYTE_0 src1_sel:DWORD
	s_and_saveexec_b32 s3, s2
	s_cbranch_execz .LBB312_313
; %bb.306:                              ;   in Loop: Header=BB312_12 Depth=1
	v_cmp_ne_u16_sdwa s2, v35, v41 src0_sel:BYTE_0 src1_sel:DWORD
	v_bfrev_b32_e32 v85, 1
	s_and_saveexec_b32 s42, s2
	s_cbranch_execz .LBB312_312
; %bb.307:                              ;   in Loop: Header=BB312_12 Depth=1
	v_and_b32_e32 v86, 0x7f, v35
	v_mov_b32_e32 v85, 0x7f800001
	s_mov_b32 s43, exec_lo
	v_cmpx_ne_u32_e32 0x7f, v86
	s_cbranch_execz .LBB312_311
; %bb.308:                              ;   in Loop: Header=BB312_12 Depth=1
	v_and_b32_e32 v25, 7, v35
	v_lshrrev_b32_e32 v85, 3, v86
	s_mov_b32 s44, exec_lo
	v_cmpx_gt_u32_e32 8, v86
; %bb.309:                              ;   in Loop: Header=BB312_12 Depth=1
	v_ffbh_u32_e32 v85, v25
	v_min_u32_e32 v85, 32, v85
	v_subrev_nc_u32_e32 v86, 28, v85
	v_sub_nc_u32_e32 v85, 29, v85
	v_lshlrev_b64 v[86:87], v86, v[25:26]
	v_and_b32_e32 v25, 7, v86
; %bb.310:                              ;   in Loop: Header=BB312_12 Depth=1
	s_or_b32 exec_lo, exec_lo, s44
	v_lshlrev_b32_e32 v86, 24, v35
	v_lshlrev_b32_e32 v25, 20, v25
	v_lshl_add_u32 v85, v85, 23, 0x3c000000
	v_and_b32_e32 v86, 0x80000000, v86
	v_or3_b32 v85, v25, v86, v85
.LBB312_311:                            ;   in Loop: Header=BB312_12 Depth=1
	s_or_b32 exec_lo, exec_lo, s43
.LBB312_312:                            ;   in Loop: Header=BB312_12 Depth=1
	s_or_b32 exec_lo, exec_lo, s42
.LBB312_313:                            ;   in Loop: Header=BB312_12 Depth=1
	s_or_b32 exec_lo, exec_lo, s3
	v_cmp_ne_u16_sdwa s2, v35, v26 src0_sel:BYTE_1 src1_sel:DWORD
	s_and_saveexec_b32 s3, s2
	s_cbranch_execz .LBB312_321
; %bb.314:                              ;   in Loop: Header=BB312_12 Depth=1
	v_cmp_ne_u16_sdwa s2, v35, v41 src0_sel:BYTE_1 src1_sel:DWORD
	v_bfrev_b32_e32 v84, 1
	s_and_saveexec_b32 s42, s2
	s_cbranch_execz .LBB312_320
; %bb.315:                              ;   in Loop: Header=BB312_12 Depth=1
	v_and_b32_sdwa v25, v42, v35 dst_sel:DWORD dst_unused:UNUSED_PAD src0_sel:DWORD src1_sel:BYTE_1
	v_mov_b32_e32 v84, 0x7f800001
	s_mov_b32 s43, exec_lo
	v_and_b32_e32 v86, 0x7f, v25
	v_cmpx_ne_u32_e32 0x7f, v86
	s_cbranch_execz .LBB312_319
; %bb.316:                              ;   in Loop: Header=BB312_12 Depth=1
	v_and_b32_e32 v25, 7, v25
	v_lshrrev_b32_e32 v84, 3, v86
	s_mov_b32 s44, exec_lo
	v_cmpx_gt_u32_e32 8, v86
; %bb.317:                              ;   in Loop: Header=BB312_12 Depth=1
	v_ffbh_u32_e32 v84, v25
	v_min_u32_e32 v84, 32, v84
	v_subrev_nc_u32_e32 v86, 28, v84
	v_sub_nc_u32_e32 v84, 29, v84
	v_lshlrev_b64 v[86:87], v86, v[25:26]
	v_and_b32_e32 v25, 7, v86
; %bb.318:                              ;   in Loop: Header=BB312_12 Depth=1
	s_or_b32 exec_lo, exec_lo, s44
	v_lshlrev_b32_e32 v35, 16, v35
	v_lshlrev_b32_e32 v25, 20, v25
	v_lshl_add_u32 v84, v84, 23, 0x3c000000
	v_and_b32_e32 v35, 0x80000000, v35
	v_or3_b32 v84, v25, v35, v84
.LBB312_319:                            ;   in Loop: Header=BB312_12 Depth=1
	s_or_b32 exec_lo, exec_lo, s43
.LBB312_320:                            ;   in Loop: Header=BB312_12 Depth=1
	s_or_b32 exec_lo, exec_lo, s42
.LBB312_321:                            ;   in Loop: Header=BB312_12 Depth=1
	s_or_b32 exec_lo, exec_lo, s3
	global_load_ushort v25, v[31:32], off offset:1160
	v_mov_b32_e32 v86, 0
	v_mov_b32_e32 v87, 0
	s_waitcnt vmcnt(0)
	v_and_b32_e32 v35, 0xffff, v25
	v_cmp_ne_u16_sdwa s2, v25, v26 src0_sel:BYTE_0 src1_sel:DWORD
	s_and_saveexec_b32 s3, s2
	s_cbranch_execz .LBB312_329
; %bb.322:                              ;   in Loop: Header=BB312_12 Depth=1
	v_cmp_ne_u16_sdwa s2, v35, v41 src0_sel:BYTE_0 src1_sel:DWORD
	v_bfrev_b32_e32 v87, 1
	s_and_saveexec_b32 s42, s2
	s_cbranch_execz .LBB312_328
; %bb.323:                              ;   in Loop: Header=BB312_12 Depth=1
	v_and_b32_e32 v88, 0x7f, v35
	v_mov_b32_e32 v87, 0x7f800001
	s_mov_b32 s43, exec_lo
	v_cmpx_ne_u32_e32 0x7f, v88
	s_cbranch_execz .LBB312_327
; %bb.324:                              ;   in Loop: Header=BB312_12 Depth=1
	v_and_b32_e32 v25, 7, v35
	v_lshrrev_b32_e32 v87, 3, v88
	s_mov_b32 s44, exec_lo
	v_cmpx_gt_u32_e32 8, v88
; %bb.325:                              ;   in Loop: Header=BB312_12 Depth=1
	v_ffbh_u32_e32 v87, v25
	v_min_u32_e32 v87, 32, v87
	v_subrev_nc_u32_e32 v88, 28, v87
	v_sub_nc_u32_e32 v87, 29, v87
	v_lshlrev_b64 v[88:89], v88, v[25:26]
	v_and_b32_e32 v25, 7, v88
; %bb.326:                              ;   in Loop: Header=BB312_12 Depth=1
	s_or_b32 exec_lo, exec_lo, s44
	v_lshlrev_b32_e32 v88, 24, v35
	v_lshlrev_b32_e32 v25, 20, v25
	v_lshl_add_u32 v87, v87, 23, 0x3c000000
	v_and_b32_e32 v88, 0x80000000, v88
	v_or3_b32 v87, v25, v88, v87
.LBB312_327:                            ;   in Loop: Header=BB312_12 Depth=1
	s_or_b32 exec_lo, exec_lo, s43
.LBB312_328:                            ;   in Loop: Header=BB312_12 Depth=1
	s_or_b32 exec_lo, exec_lo, s42
.LBB312_329:                            ;   in Loop: Header=BB312_12 Depth=1
	s_or_b32 exec_lo, exec_lo, s3
	v_cmp_ne_u16_sdwa s2, v35, v26 src0_sel:BYTE_1 src1_sel:DWORD
	s_and_saveexec_b32 s3, s2
	s_cbranch_execz .LBB312_337
; %bb.330:                              ;   in Loop: Header=BB312_12 Depth=1
	v_cmp_ne_u16_sdwa s2, v35, v41 src0_sel:BYTE_1 src1_sel:DWORD
	v_bfrev_b32_e32 v86, 1
	s_and_saveexec_b32 s42, s2
	s_cbranch_execz .LBB312_336
; %bb.331:                              ;   in Loop: Header=BB312_12 Depth=1
	v_and_b32_sdwa v25, v42, v35 dst_sel:DWORD dst_unused:UNUSED_PAD src0_sel:DWORD src1_sel:BYTE_1
	v_mov_b32_e32 v86, 0x7f800001
	s_mov_b32 s43, exec_lo
	v_and_b32_e32 v88, 0x7f, v25
	v_cmpx_ne_u32_e32 0x7f, v88
	s_cbranch_execz .LBB312_335
; %bb.332:                              ;   in Loop: Header=BB312_12 Depth=1
	v_and_b32_e32 v25, 7, v25
	v_lshrrev_b32_e32 v86, 3, v88
	s_mov_b32 s44, exec_lo
	v_cmpx_gt_u32_e32 8, v88
; %bb.333:                              ;   in Loop: Header=BB312_12 Depth=1
	v_ffbh_u32_e32 v86, v25
	v_min_u32_e32 v86, 32, v86
	v_subrev_nc_u32_e32 v88, 28, v86
	v_sub_nc_u32_e32 v86, 29, v86
	v_lshlrev_b64 v[88:89], v88, v[25:26]
	v_and_b32_e32 v25, 7, v88
; %bb.334:                              ;   in Loop: Header=BB312_12 Depth=1
	s_or_b32 exec_lo, exec_lo, s44
	v_lshlrev_b32_e32 v35, 16, v35
	v_lshlrev_b32_e32 v25, 20, v25
	v_lshl_add_u32 v86, v86, 23, 0x3c000000
	v_and_b32_e32 v35, 0x80000000, v35
	v_or3_b32 v86, v25, v35, v86
.LBB312_335:                            ;   in Loop: Header=BB312_12 Depth=1
	s_or_b32 exec_lo, exec_lo, s43
.LBB312_336:                            ;   in Loop: Header=BB312_12 Depth=1
	s_or_b32 exec_lo, exec_lo, s42
.LBB312_337:                            ;   in Loop: Header=BB312_12 Depth=1
	s_or_b32 exec_lo, exec_lo, s3
	global_load_ushort v25, v[31:32], off offset:1280
	v_mov_b32_e32 v88, 0
	v_mov_b32_e32 v89, 0
	s_waitcnt vmcnt(0)
	v_and_b32_e32 v35, 0xffff, v25
	v_cmp_ne_u16_sdwa s2, v25, v26 src0_sel:BYTE_0 src1_sel:DWORD
	s_and_saveexec_b32 s3, s2
	s_cbranch_execz .LBB312_345
; %bb.338:                              ;   in Loop: Header=BB312_12 Depth=1
	v_cmp_ne_u16_sdwa s2, v35, v41 src0_sel:BYTE_0 src1_sel:DWORD
	v_bfrev_b32_e32 v89, 1
	s_and_saveexec_b32 s42, s2
	s_cbranch_execz .LBB312_344
; %bb.339:                              ;   in Loop: Header=BB312_12 Depth=1
	v_and_b32_e32 v90, 0x7f, v35
	v_mov_b32_e32 v89, 0x7f800001
	s_mov_b32 s43, exec_lo
	v_cmpx_ne_u32_e32 0x7f, v90
	s_cbranch_execz .LBB312_343
; %bb.340:                              ;   in Loop: Header=BB312_12 Depth=1
	v_and_b32_e32 v25, 7, v35
	v_lshrrev_b32_e32 v89, 3, v90
	s_mov_b32 s44, exec_lo
	v_cmpx_gt_u32_e32 8, v90
; %bb.341:                              ;   in Loop: Header=BB312_12 Depth=1
	v_ffbh_u32_e32 v89, v25
	v_min_u32_e32 v89, 32, v89
	v_subrev_nc_u32_e32 v90, 28, v89
	v_sub_nc_u32_e32 v89, 29, v89
	v_lshlrev_b64 v[90:91], v90, v[25:26]
	v_and_b32_e32 v25, 7, v90
; %bb.342:                              ;   in Loop: Header=BB312_12 Depth=1
	s_or_b32 exec_lo, exec_lo, s44
	v_lshlrev_b32_e32 v90, 24, v35
	v_lshlrev_b32_e32 v25, 20, v25
	v_lshl_add_u32 v89, v89, 23, 0x3c000000
	v_and_b32_e32 v90, 0x80000000, v90
	v_or3_b32 v89, v25, v90, v89
.LBB312_343:                            ;   in Loop: Header=BB312_12 Depth=1
	s_or_b32 exec_lo, exec_lo, s43
.LBB312_344:                            ;   in Loop: Header=BB312_12 Depth=1
	s_or_b32 exec_lo, exec_lo, s42
.LBB312_345:                            ;   in Loop: Header=BB312_12 Depth=1
	s_or_b32 exec_lo, exec_lo, s3
	v_cmp_ne_u16_sdwa s2, v35, v26 src0_sel:BYTE_1 src1_sel:DWORD
	s_and_saveexec_b32 s3, s2
	s_cbranch_execz .LBB312_353
; %bb.346:                              ;   in Loop: Header=BB312_12 Depth=1
	v_cmp_ne_u16_sdwa s2, v35, v41 src0_sel:BYTE_1 src1_sel:DWORD
	v_bfrev_b32_e32 v88, 1
	s_and_saveexec_b32 s42, s2
	s_cbranch_execz .LBB312_352
; %bb.347:                              ;   in Loop: Header=BB312_12 Depth=1
	v_and_b32_sdwa v25, v42, v35 dst_sel:DWORD dst_unused:UNUSED_PAD src0_sel:DWORD src1_sel:BYTE_1
	v_mov_b32_e32 v88, 0x7f800001
	s_mov_b32 s43, exec_lo
	v_and_b32_e32 v90, 0x7f, v25
	v_cmpx_ne_u32_e32 0x7f, v90
	s_cbranch_execz .LBB312_351
; %bb.348:                              ;   in Loop: Header=BB312_12 Depth=1
	v_and_b32_e32 v25, 7, v25
	v_lshrrev_b32_e32 v88, 3, v90
	s_mov_b32 s44, exec_lo
	v_cmpx_gt_u32_e32 8, v90
; %bb.349:                              ;   in Loop: Header=BB312_12 Depth=1
	v_ffbh_u32_e32 v88, v25
	v_min_u32_e32 v88, 32, v88
	v_subrev_nc_u32_e32 v90, 28, v88
	v_sub_nc_u32_e32 v88, 29, v88
	v_lshlrev_b64 v[90:91], v90, v[25:26]
	v_and_b32_e32 v25, 7, v90
; %bb.350:                              ;   in Loop: Header=BB312_12 Depth=1
	s_or_b32 exec_lo, exec_lo, s44
	v_lshlrev_b32_e32 v35, 16, v35
	v_lshlrev_b32_e32 v25, 20, v25
	v_lshl_add_u32 v88, v88, 23, 0x3c000000
	v_and_b32_e32 v35, 0x80000000, v35
	v_or3_b32 v88, v25, v35, v88
.LBB312_351:                            ;   in Loop: Header=BB312_12 Depth=1
	s_or_b32 exec_lo, exec_lo, s43
.LBB312_352:                            ;   in Loop: Header=BB312_12 Depth=1
	s_or_b32 exec_lo, exec_lo, s42
.LBB312_353:                            ;   in Loop: Header=BB312_12 Depth=1
	s_or_b32 exec_lo, exec_lo, s3
	global_load_ushort v25, v[31:32], off offset:1288
	v_mov_b32_e32 v90, 0
	v_mov_b32_e32 v91, 0
	s_waitcnt vmcnt(0)
	v_and_b32_e32 v35, 0xffff, v25
	v_cmp_ne_u16_sdwa s2, v25, v26 src0_sel:BYTE_0 src1_sel:DWORD
	s_and_saveexec_b32 s3, s2
	s_cbranch_execz .LBB312_361
; %bb.354:                              ;   in Loop: Header=BB312_12 Depth=1
	v_cmp_ne_u16_sdwa s2, v35, v41 src0_sel:BYTE_0 src1_sel:DWORD
	v_bfrev_b32_e32 v91, 1
	s_and_saveexec_b32 s42, s2
	s_cbranch_execz .LBB312_360
; %bb.355:                              ;   in Loop: Header=BB312_12 Depth=1
	v_and_b32_e32 v92, 0x7f, v35
	v_mov_b32_e32 v91, 0x7f800001
	s_mov_b32 s43, exec_lo
	v_cmpx_ne_u32_e32 0x7f, v92
	s_cbranch_execz .LBB312_359
; %bb.356:                              ;   in Loop: Header=BB312_12 Depth=1
	v_and_b32_e32 v25, 7, v35
	v_lshrrev_b32_e32 v91, 3, v92
	s_mov_b32 s44, exec_lo
	v_cmpx_gt_u32_e32 8, v92
; %bb.357:                              ;   in Loop: Header=BB312_12 Depth=1
	v_ffbh_u32_e32 v91, v25
	v_min_u32_e32 v91, 32, v91
	v_subrev_nc_u32_e32 v92, 28, v91
	v_sub_nc_u32_e32 v91, 29, v91
	v_lshlrev_b64 v[92:93], v92, v[25:26]
	v_and_b32_e32 v25, 7, v92
; %bb.358:                              ;   in Loop: Header=BB312_12 Depth=1
	s_or_b32 exec_lo, exec_lo, s44
	v_lshlrev_b32_e32 v92, 24, v35
	v_lshlrev_b32_e32 v25, 20, v25
	v_lshl_add_u32 v91, v91, 23, 0x3c000000
	v_and_b32_e32 v92, 0x80000000, v92
	v_or3_b32 v91, v25, v92, v91
.LBB312_359:                            ;   in Loop: Header=BB312_12 Depth=1
	s_or_b32 exec_lo, exec_lo, s43
.LBB312_360:                            ;   in Loop: Header=BB312_12 Depth=1
	s_or_b32 exec_lo, exec_lo, s42
.LBB312_361:                            ;   in Loop: Header=BB312_12 Depth=1
	s_or_b32 exec_lo, exec_lo, s3
	v_cmp_ne_u16_sdwa s2, v35, v26 src0_sel:BYTE_1 src1_sel:DWORD
	s_and_saveexec_b32 s3, s2
	s_cbranch_execz .LBB312_369
; %bb.362:                              ;   in Loop: Header=BB312_12 Depth=1
	v_cmp_ne_u16_sdwa s2, v35, v41 src0_sel:BYTE_1 src1_sel:DWORD
	v_bfrev_b32_e32 v90, 1
	s_and_saveexec_b32 s42, s2
	s_cbranch_execz .LBB312_368
; %bb.363:                              ;   in Loop: Header=BB312_12 Depth=1
	v_and_b32_sdwa v25, v42, v35 dst_sel:DWORD dst_unused:UNUSED_PAD src0_sel:DWORD src1_sel:BYTE_1
	v_mov_b32_e32 v90, 0x7f800001
	s_mov_b32 s43, exec_lo
	v_and_b32_e32 v92, 0x7f, v25
	v_cmpx_ne_u32_e32 0x7f, v92
	s_cbranch_execz .LBB312_367
; %bb.364:                              ;   in Loop: Header=BB312_12 Depth=1
	v_and_b32_e32 v25, 7, v25
	v_lshrrev_b32_e32 v90, 3, v92
	s_mov_b32 s44, exec_lo
	v_cmpx_gt_u32_e32 8, v92
; %bb.365:                              ;   in Loop: Header=BB312_12 Depth=1
	v_ffbh_u32_e32 v90, v25
	v_min_u32_e32 v90, 32, v90
	v_subrev_nc_u32_e32 v92, 28, v90
	v_sub_nc_u32_e32 v90, 29, v90
	v_lshlrev_b64 v[92:93], v92, v[25:26]
	v_and_b32_e32 v25, 7, v92
; %bb.366:                              ;   in Loop: Header=BB312_12 Depth=1
	s_or_b32 exec_lo, exec_lo, s44
	v_lshlrev_b32_e32 v35, 16, v35
	v_lshlrev_b32_e32 v25, 20, v25
	v_lshl_add_u32 v90, v90, 23, 0x3c000000
	v_and_b32_e32 v35, 0x80000000, v35
	v_or3_b32 v90, v25, v35, v90
.LBB312_367:                            ;   in Loop: Header=BB312_12 Depth=1
	s_or_b32 exec_lo, exec_lo, s43
.LBB312_368:                            ;   in Loop: Header=BB312_12 Depth=1
	s_or_b32 exec_lo, exec_lo, s42
.LBB312_369:                            ;   in Loop: Header=BB312_12 Depth=1
	s_or_b32 exec_lo, exec_lo, s3
	global_load_ushort v25, v[31:32], off offset:1408
	v_mov_b32_e32 v92, 0
	v_mov_b32_e32 v93, 0
	s_waitcnt vmcnt(0)
	v_and_b32_e32 v35, 0xffff, v25
	v_cmp_ne_u16_sdwa s2, v25, v26 src0_sel:BYTE_0 src1_sel:DWORD
	s_and_saveexec_b32 s3, s2
	s_cbranch_execz .LBB312_377
; %bb.370:                              ;   in Loop: Header=BB312_12 Depth=1
	v_cmp_ne_u16_sdwa s2, v35, v41 src0_sel:BYTE_0 src1_sel:DWORD
	v_bfrev_b32_e32 v93, 1
	s_and_saveexec_b32 s42, s2
	s_cbranch_execz .LBB312_376
; %bb.371:                              ;   in Loop: Header=BB312_12 Depth=1
	v_and_b32_e32 v94, 0x7f, v35
	v_mov_b32_e32 v93, 0x7f800001
	s_mov_b32 s43, exec_lo
	v_cmpx_ne_u32_e32 0x7f, v94
	s_cbranch_execz .LBB312_375
; %bb.372:                              ;   in Loop: Header=BB312_12 Depth=1
	v_and_b32_e32 v25, 7, v35
	v_lshrrev_b32_e32 v93, 3, v94
	s_mov_b32 s44, exec_lo
	v_cmpx_gt_u32_e32 8, v94
; %bb.373:                              ;   in Loop: Header=BB312_12 Depth=1
	v_ffbh_u32_e32 v93, v25
	v_min_u32_e32 v93, 32, v93
	v_subrev_nc_u32_e32 v94, 28, v93
	v_sub_nc_u32_e32 v93, 29, v93
	v_lshlrev_b64 v[94:95], v94, v[25:26]
	v_and_b32_e32 v25, 7, v94
; %bb.374:                              ;   in Loop: Header=BB312_12 Depth=1
	s_or_b32 exec_lo, exec_lo, s44
	v_lshlrev_b32_e32 v94, 24, v35
	v_lshlrev_b32_e32 v25, 20, v25
	v_lshl_add_u32 v93, v93, 23, 0x3c000000
	v_and_b32_e32 v94, 0x80000000, v94
	v_or3_b32 v93, v25, v94, v93
.LBB312_375:                            ;   in Loop: Header=BB312_12 Depth=1
	s_or_b32 exec_lo, exec_lo, s43
.LBB312_376:                            ;   in Loop: Header=BB312_12 Depth=1
	s_or_b32 exec_lo, exec_lo, s42
.LBB312_377:                            ;   in Loop: Header=BB312_12 Depth=1
	s_or_b32 exec_lo, exec_lo, s3
	v_cmp_ne_u16_sdwa s2, v35, v26 src0_sel:BYTE_1 src1_sel:DWORD
	s_and_saveexec_b32 s3, s2
	s_cbranch_execz .LBB312_385
; %bb.378:                              ;   in Loop: Header=BB312_12 Depth=1
	v_cmp_ne_u16_sdwa s2, v35, v41 src0_sel:BYTE_1 src1_sel:DWORD
	v_bfrev_b32_e32 v92, 1
	s_and_saveexec_b32 s42, s2
	s_cbranch_execz .LBB312_384
; %bb.379:                              ;   in Loop: Header=BB312_12 Depth=1
	v_and_b32_sdwa v25, v42, v35 dst_sel:DWORD dst_unused:UNUSED_PAD src0_sel:DWORD src1_sel:BYTE_1
	v_mov_b32_e32 v92, 0x7f800001
	s_mov_b32 s43, exec_lo
	v_and_b32_e32 v94, 0x7f, v25
	v_cmpx_ne_u32_e32 0x7f, v94
	s_cbranch_execz .LBB312_383
; %bb.380:                              ;   in Loop: Header=BB312_12 Depth=1
	v_and_b32_e32 v25, 7, v25
	v_lshrrev_b32_e32 v92, 3, v94
	s_mov_b32 s44, exec_lo
	v_cmpx_gt_u32_e32 8, v94
; %bb.381:                              ;   in Loop: Header=BB312_12 Depth=1
	v_ffbh_u32_e32 v92, v25
	v_min_u32_e32 v92, 32, v92
	v_subrev_nc_u32_e32 v94, 28, v92
	v_sub_nc_u32_e32 v92, 29, v92
	v_lshlrev_b64 v[94:95], v94, v[25:26]
	v_and_b32_e32 v25, 7, v94
; %bb.382:                              ;   in Loop: Header=BB312_12 Depth=1
	s_or_b32 exec_lo, exec_lo, s44
	v_lshlrev_b32_e32 v35, 16, v35
	v_lshlrev_b32_e32 v25, 20, v25
	v_lshl_add_u32 v92, v92, 23, 0x3c000000
	v_and_b32_e32 v35, 0x80000000, v35
	v_or3_b32 v92, v25, v35, v92
.LBB312_383:                            ;   in Loop: Header=BB312_12 Depth=1
	s_or_b32 exec_lo, exec_lo, s43
.LBB312_384:                            ;   in Loop: Header=BB312_12 Depth=1
	s_or_b32 exec_lo, exec_lo, s42
.LBB312_385:                            ;   in Loop: Header=BB312_12 Depth=1
	s_or_b32 exec_lo, exec_lo, s3
	global_load_ushort v25, v[31:32], off offset:1416
	v_mov_b32_e32 v94, 0
	v_mov_b32_e32 v95, 0
	s_waitcnt vmcnt(0)
	v_and_b32_e32 v35, 0xffff, v25
	v_cmp_ne_u16_sdwa s2, v25, v26 src0_sel:BYTE_0 src1_sel:DWORD
	s_and_saveexec_b32 s3, s2
	s_cbranch_execz .LBB312_393
; %bb.386:                              ;   in Loop: Header=BB312_12 Depth=1
	v_cmp_ne_u16_sdwa s2, v35, v41 src0_sel:BYTE_0 src1_sel:DWORD
	v_bfrev_b32_e32 v95, 1
	s_and_saveexec_b32 s42, s2
	s_cbranch_execz .LBB312_392
; %bb.387:                              ;   in Loop: Header=BB312_12 Depth=1
	v_and_b32_e32 v96, 0x7f, v35
	v_mov_b32_e32 v95, 0x7f800001
	s_mov_b32 s43, exec_lo
	v_cmpx_ne_u32_e32 0x7f, v96
	s_cbranch_execz .LBB312_391
; %bb.388:                              ;   in Loop: Header=BB312_12 Depth=1
	v_and_b32_e32 v25, 7, v35
	v_lshrrev_b32_e32 v95, 3, v96
	s_mov_b32 s44, exec_lo
	v_cmpx_gt_u32_e32 8, v96
; %bb.389:                              ;   in Loop: Header=BB312_12 Depth=1
	v_ffbh_u32_e32 v95, v25
	v_min_u32_e32 v95, 32, v95
	v_subrev_nc_u32_e32 v96, 28, v95
	v_sub_nc_u32_e32 v95, 29, v95
	v_lshlrev_b64 v[96:97], v96, v[25:26]
	v_and_b32_e32 v25, 7, v96
; %bb.390:                              ;   in Loop: Header=BB312_12 Depth=1
	s_or_b32 exec_lo, exec_lo, s44
	v_lshlrev_b32_e32 v96, 24, v35
	v_lshlrev_b32_e32 v25, 20, v25
	v_lshl_add_u32 v95, v95, 23, 0x3c000000
	v_and_b32_e32 v96, 0x80000000, v96
	v_or3_b32 v95, v25, v96, v95
.LBB312_391:                            ;   in Loop: Header=BB312_12 Depth=1
	s_or_b32 exec_lo, exec_lo, s43
.LBB312_392:                            ;   in Loop: Header=BB312_12 Depth=1
	s_or_b32 exec_lo, exec_lo, s42
.LBB312_393:                            ;   in Loop: Header=BB312_12 Depth=1
	s_or_b32 exec_lo, exec_lo, s3
	v_cmp_ne_u16_sdwa s2, v35, v26 src0_sel:BYTE_1 src1_sel:DWORD
	s_and_saveexec_b32 s3, s2
	s_cbranch_execz .LBB312_401
; %bb.394:                              ;   in Loop: Header=BB312_12 Depth=1
	v_cmp_ne_u16_sdwa s2, v35, v41 src0_sel:BYTE_1 src1_sel:DWORD
	v_bfrev_b32_e32 v94, 1
	s_and_saveexec_b32 s42, s2
	s_cbranch_execz .LBB312_400
; %bb.395:                              ;   in Loop: Header=BB312_12 Depth=1
	v_and_b32_sdwa v25, v42, v35 dst_sel:DWORD dst_unused:UNUSED_PAD src0_sel:DWORD src1_sel:BYTE_1
	v_mov_b32_e32 v94, 0x7f800001
	s_mov_b32 s43, exec_lo
	v_and_b32_e32 v96, 0x7f, v25
	v_cmpx_ne_u32_e32 0x7f, v96
	s_cbranch_execz .LBB312_399
; %bb.396:                              ;   in Loop: Header=BB312_12 Depth=1
	v_and_b32_e32 v25, 7, v25
	v_lshrrev_b32_e32 v94, 3, v96
	s_mov_b32 s44, exec_lo
	v_cmpx_gt_u32_e32 8, v96
; %bb.397:                              ;   in Loop: Header=BB312_12 Depth=1
	v_ffbh_u32_e32 v94, v25
	v_min_u32_e32 v94, 32, v94
	v_subrev_nc_u32_e32 v96, 28, v94
	v_sub_nc_u32_e32 v94, 29, v94
	v_lshlrev_b64 v[96:97], v96, v[25:26]
	v_and_b32_e32 v25, 7, v96
; %bb.398:                              ;   in Loop: Header=BB312_12 Depth=1
	s_or_b32 exec_lo, exec_lo, s44
	v_lshlrev_b32_e32 v35, 16, v35
	v_lshlrev_b32_e32 v25, 20, v25
	v_lshl_add_u32 v94, v94, 23, 0x3c000000
	v_and_b32_e32 v35, 0x80000000, v35
	v_or3_b32 v94, v25, v35, v94
.LBB312_399:                            ;   in Loop: Header=BB312_12 Depth=1
	s_or_b32 exec_lo, exec_lo, s43
.LBB312_400:                            ;   in Loop: Header=BB312_12 Depth=1
	s_or_b32 exec_lo, exec_lo, s42
.LBB312_401:                            ;   in Loop: Header=BB312_12 Depth=1
	s_or_b32 exec_lo, exec_lo, s3
	global_load_ushort v25, v[31:32], off offset:1536
	v_mov_b32_e32 v97, 0
	v_mov_b32_e32 v98, 0
	s_waitcnt vmcnt(0)
	v_and_b32_e32 v35, 0xffff, v25
	v_cmp_ne_u16_sdwa s2, v25, v26 src0_sel:BYTE_0 src1_sel:DWORD
	s_and_saveexec_b32 s3, s2
	s_cbranch_execz .LBB312_409
; %bb.402:                              ;   in Loop: Header=BB312_12 Depth=1
	v_cmp_ne_u16_sdwa s2, v35, v41 src0_sel:BYTE_0 src1_sel:DWORD
	v_bfrev_b32_e32 v98, 1
	s_and_saveexec_b32 s42, s2
	s_cbranch_execz .LBB312_408
; %bb.403:                              ;   in Loop: Header=BB312_12 Depth=1
	v_and_b32_e32 v99, 0x7f, v35
	v_mov_b32_e32 v98, 0x7f800001
	s_mov_b32 s43, exec_lo
	v_cmpx_ne_u32_e32 0x7f, v99
	s_cbranch_execz .LBB312_407
; %bb.404:                              ;   in Loop: Header=BB312_12 Depth=1
	v_and_b32_e32 v25, 7, v35
	v_lshrrev_b32_e32 v96, 3, v99
	s_mov_b32 s44, exec_lo
	v_cmpx_gt_u32_e32 8, v99
; %bb.405:                              ;   in Loop: Header=BB312_12 Depth=1
	v_ffbh_u32_e32 v96, v25
	v_min_u32_e32 v96, 32, v96
	v_subrev_nc_u32_e32 v98, 28, v96
	v_sub_nc_u32_e32 v96, 29, v96
	v_lshlrev_b64 v[98:99], v98, v[25:26]
	v_and_b32_e32 v25, 7, v98
; %bb.406:                              ;   in Loop: Header=BB312_12 Depth=1
	s_or_b32 exec_lo, exec_lo, s44
	v_lshlrev_b32_e32 v98, 24, v35
	v_lshlrev_b32_e32 v25, 20, v25
	v_lshl_add_u32 v96, v96, 23, 0x3c000000
	v_and_b32_e32 v98, 0x80000000, v98
	v_or3_b32 v98, v25, v98, v96
.LBB312_407:                            ;   in Loop: Header=BB312_12 Depth=1
	s_or_b32 exec_lo, exec_lo, s43
.LBB312_408:                            ;   in Loop: Header=BB312_12 Depth=1
	s_or_b32 exec_lo, exec_lo, s42
.LBB312_409:                            ;   in Loop: Header=BB312_12 Depth=1
	s_or_b32 exec_lo, exec_lo, s3
	v_cmp_ne_u16_sdwa s2, v35, v26 src0_sel:BYTE_1 src1_sel:DWORD
	s_and_saveexec_b32 s3, s2
	s_cbranch_execz .LBB312_417
; %bb.410:                              ;   in Loop: Header=BB312_12 Depth=1
	v_cmp_ne_u16_sdwa s2, v35, v41 src0_sel:BYTE_1 src1_sel:DWORD
	v_bfrev_b32_e32 v97, 1
	s_and_saveexec_b32 s42, s2
	s_cbranch_execz .LBB312_416
; %bb.411:                              ;   in Loop: Header=BB312_12 Depth=1
	v_and_b32_sdwa v25, v42, v35 dst_sel:DWORD dst_unused:UNUSED_PAD src0_sel:DWORD src1_sel:BYTE_1
	v_mov_b32_e32 v97, 0x7f800001
	s_mov_b32 s43, exec_lo
	v_and_b32_e32 v99, 0x7f, v25
	v_cmpx_ne_u32_e32 0x7f, v99
	s_cbranch_execz .LBB312_415
; %bb.412:                              ;   in Loop: Header=BB312_12 Depth=1
	v_and_b32_e32 v25, 7, v25
	v_lshrrev_b32_e32 v96, 3, v99
	s_mov_b32 s44, exec_lo
	v_cmpx_gt_u32_e32 8, v99
; %bb.413:                              ;   in Loop: Header=BB312_12 Depth=1
	v_ffbh_u32_e32 v96, v25
	v_min_u32_e32 v96, 32, v96
	v_subrev_nc_u32_e32 v97, 28, v96
	v_sub_nc_u32_e32 v96, 29, v96
	v_lshlrev_b64 v[99:100], v97, v[25:26]
	v_and_b32_e32 v25, 7, v99
; %bb.414:                              ;   in Loop: Header=BB312_12 Depth=1
	s_or_b32 exec_lo, exec_lo, s44
	v_lshlrev_b32_e32 v35, 16, v35
	v_lshlrev_b32_e32 v25, 20, v25
	v_lshl_add_u32 v96, v96, 23, 0x3c000000
	v_and_b32_e32 v35, 0x80000000, v35
	v_or3_b32 v97, v25, v35, v96
.LBB312_415:                            ;   in Loop: Header=BB312_12 Depth=1
	s_or_b32 exec_lo, exec_lo, s43
.LBB312_416:                            ;   in Loop: Header=BB312_12 Depth=1
	s_or_b32 exec_lo, exec_lo, s42
.LBB312_417:                            ;   in Loop: Header=BB312_12 Depth=1
	s_or_b32 exec_lo, exec_lo, s3
	global_load_ushort v25, v[31:32], off offset:1544
	v_mov_b32_e32 v96, 0
	v_mov_b32_e32 v101, 0
	s_waitcnt vmcnt(0)
	v_and_b32_e32 v35, 0xffff, v25
	v_cmp_ne_u16_sdwa s2, v25, v26 src0_sel:BYTE_0 src1_sel:DWORD
	s_and_saveexec_b32 s3, s2
	s_cbranch_execz .LBB312_425
; %bb.418:                              ;   in Loop: Header=BB312_12 Depth=1
	v_cmp_ne_u16_sdwa s2, v35, v41 src0_sel:BYTE_0 src1_sel:DWORD
	v_bfrev_b32_e32 v101, 1
	s_and_saveexec_b32 s42, s2
	s_cbranch_execz .LBB312_424
; %bb.419:                              ;   in Loop: Header=BB312_12 Depth=1
	v_and_b32_e32 v100, 0x7f, v35
	v_mov_b32_e32 v101, 0x7f800001
	s_mov_b32 s43, exec_lo
	v_cmpx_ne_u32_e32 0x7f, v100
	s_cbranch_execz .LBB312_423
; %bb.420:                              ;   in Loop: Header=BB312_12 Depth=1
	v_and_b32_e32 v25, 7, v35
	v_lshrrev_b32_e32 v99, 3, v100
	s_mov_b32 s44, exec_lo
	v_cmpx_gt_u32_e32 8, v100
; %bb.421:                              ;   in Loop: Header=BB312_12 Depth=1
	v_ffbh_u32_e32 v99, v25
	v_min_u32_e32 v99, 32, v99
	v_subrev_nc_u32_e32 v100, 28, v99
	v_sub_nc_u32_e32 v99, 29, v99
	v_lshlrev_b64 v[100:101], v100, v[25:26]
	v_and_b32_e32 v25, 7, v100
; %bb.422:                              ;   in Loop: Header=BB312_12 Depth=1
	s_or_b32 exec_lo, exec_lo, s44
	v_lshlrev_b32_e32 v100, 24, v35
	v_lshlrev_b32_e32 v25, 20, v25
	v_lshl_add_u32 v99, v99, 23, 0x3c000000
	v_and_b32_e32 v100, 0x80000000, v100
	v_or3_b32 v101, v25, v100, v99
.LBB312_423:                            ;   in Loop: Header=BB312_12 Depth=1
	s_or_b32 exec_lo, exec_lo, s43
.LBB312_424:                            ;   in Loop: Header=BB312_12 Depth=1
	s_or_b32 exec_lo, exec_lo, s42
.LBB312_425:                            ;   in Loop: Header=BB312_12 Depth=1
	s_or_b32 exec_lo, exec_lo, s3
	v_cmp_ne_u16_sdwa s2, v35, v26 src0_sel:BYTE_1 src1_sel:DWORD
	s_and_saveexec_b32 s3, s2
	s_cbranch_execz .LBB312_433
; %bb.426:                              ;   in Loop: Header=BB312_12 Depth=1
	v_cmp_ne_u16_sdwa s2, v35, v41 src0_sel:BYTE_1 src1_sel:DWORD
	v_bfrev_b32_e32 v96, 1
	s_and_saveexec_b32 s42, s2
	s_cbranch_execz .LBB312_432
; %bb.427:                              ;   in Loop: Header=BB312_12 Depth=1
	v_and_b32_sdwa v25, v42, v35 dst_sel:DWORD dst_unused:UNUSED_PAD src0_sel:DWORD src1_sel:BYTE_1
	v_mov_b32_e32 v96, 0x7f800001
	s_mov_b32 s43, exec_lo
	v_and_b32_e32 v99, 0x7f, v25
	v_cmpx_ne_u32_e32 0x7f, v99
	s_cbranch_execz .LBB312_431
; %bb.428:                              ;   in Loop: Header=BB312_12 Depth=1
	v_and_b32_e32 v25, 7, v25
	v_lshrrev_b32_e32 v96, 3, v99
	s_mov_b32 s44, exec_lo
	v_cmpx_gt_u32_e32 8, v99
; %bb.429:                              ;   in Loop: Header=BB312_12 Depth=1
	v_ffbh_u32_e32 v96, v25
	v_min_u32_e32 v96, 32, v96
	v_subrev_nc_u32_e32 v99, 28, v96
	v_sub_nc_u32_e32 v96, 29, v96
	v_lshlrev_b64 v[99:100], v99, v[25:26]
	v_and_b32_e32 v25, 7, v99
; %bb.430:                              ;   in Loop: Header=BB312_12 Depth=1
	s_or_b32 exec_lo, exec_lo, s44
	v_lshlrev_b32_e32 v35, 16, v35
	v_lshlrev_b32_e32 v25, 20, v25
	v_lshl_add_u32 v96, v96, 23, 0x3c000000
	v_and_b32_e32 v35, 0x80000000, v35
	v_or3_b32 v96, v25, v35, v96
.LBB312_431:                            ;   in Loop: Header=BB312_12 Depth=1
	s_or_b32 exec_lo, exec_lo, s43
.LBB312_432:                            ;   in Loop: Header=BB312_12 Depth=1
	s_or_b32 exec_lo, exec_lo, s42
.LBB312_433:                            ;   in Loop: Header=BB312_12 Depth=1
	s_or_b32 exec_lo, exec_lo, s3
	global_load_ushort v25, v[31:32], off offset:1664
	v_mov_b32_e32 v99, 0
	v_mov_b32_e32 v100, 0
	s_waitcnt vmcnt(0)
	v_and_b32_e32 v35, 0xffff, v25
	v_cmp_ne_u16_sdwa s2, v25, v26 src0_sel:BYTE_0 src1_sel:DWORD
	s_and_saveexec_b32 s3, s2
	s_cbranch_execz .LBB312_441
; %bb.434:                              ;   in Loop: Header=BB312_12 Depth=1
	v_cmp_ne_u16_sdwa s2, v35, v41 src0_sel:BYTE_0 src1_sel:DWORD
	v_bfrev_b32_e32 v100, 1
	s_and_saveexec_b32 s42, s2
	s_cbranch_execz .LBB312_440
; %bb.435:                              ;   in Loop: Header=BB312_12 Depth=1
	v_and_b32_e32 v102, 0x7f, v35
	v_mov_b32_e32 v100, 0x7f800001
	s_mov_b32 s43, exec_lo
	v_cmpx_ne_u32_e32 0x7f, v102
	s_cbranch_execz .LBB312_439
; %bb.436:                              ;   in Loop: Header=BB312_12 Depth=1
	v_and_b32_e32 v25, 7, v35
	v_lshrrev_b32_e32 v100, 3, v102
	s_mov_b32 s44, exec_lo
	v_cmpx_gt_u32_e32 8, v102
; %bb.437:                              ;   in Loop: Header=BB312_12 Depth=1
	v_ffbh_u32_e32 v100, v25
	v_min_u32_e32 v100, 32, v100
	v_subrev_nc_u32_e32 v102, 28, v100
	v_sub_nc_u32_e32 v100, 29, v100
	v_lshlrev_b64 v[102:103], v102, v[25:26]
	v_and_b32_e32 v25, 7, v102
; %bb.438:                              ;   in Loop: Header=BB312_12 Depth=1
	s_or_b32 exec_lo, exec_lo, s44
	v_lshlrev_b32_e32 v102, 24, v35
	v_lshlrev_b32_e32 v25, 20, v25
	v_lshl_add_u32 v100, v100, 23, 0x3c000000
	v_and_b32_e32 v102, 0x80000000, v102
	v_or3_b32 v100, v25, v102, v100
.LBB312_439:                            ;   in Loop: Header=BB312_12 Depth=1
	s_or_b32 exec_lo, exec_lo, s43
.LBB312_440:                            ;   in Loop: Header=BB312_12 Depth=1
	s_or_b32 exec_lo, exec_lo, s42
.LBB312_441:                            ;   in Loop: Header=BB312_12 Depth=1
	s_or_b32 exec_lo, exec_lo, s3
	v_cmp_ne_u16_sdwa s2, v35, v26 src0_sel:BYTE_1 src1_sel:DWORD
	s_and_saveexec_b32 s3, s2
	s_cbranch_execz .LBB312_449
; %bb.442:                              ;   in Loop: Header=BB312_12 Depth=1
	v_cmp_ne_u16_sdwa s2, v35, v41 src0_sel:BYTE_1 src1_sel:DWORD
	v_bfrev_b32_e32 v99, 1
	s_and_saveexec_b32 s42, s2
	s_cbranch_execz .LBB312_448
; %bb.443:                              ;   in Loop: Header=BB312_12 Depth=1
	v_and_b32_sdwa v25, v42, v35 dst_sel:DWORD dst_unused:UNUSED_PAD src0_sel:DWORD src1_sel:BYTE_1
	v_mov_b32_e32 v99, 0x7f800001
	s_mov_b32 s43, exec_lo
	v_and_b32_e32 v102, 0x7f, v25
	v_cmpx_ne_u32_e32 0x7f, v102
	s_cbranch_execz .LBB312_447
; %bb.444:                              ;   in Loop: Header=BB312_12 Depth=1
	v_and_b32_e32 v25, 7, v25
	v_lshrrev_b32_e32 v99, 3, v102
	s_mov_b32 s44, exec_lo
	v_cmpx_gt_u32_e32 8, v102
; %bb.445:                              ;   in Loop: Header=BB312_12 Depth=1
	v_ffbh_u32_e32 v99, v25
	v_min_u32_e32 v99, 32, v99
	v_subrev_nc_u32_e32 v102, 28, v99
	v_sub_nc_u32_e32 v99, 29, v99
	v_lshlrev_b64 v[102:103], v102, v[25:26]
	v_and_b32_e32 v25, 7, v102
; %bb.446:                              ;   in Loop: Header=BB312_12 Depth=1
	s_or_b32 exec_lo, exec_lo, s44
	v_lshlrev_b32_e32 v35, 16, v35
	v_lshlrev_b32_e32 v25, 20, v25
	v_lshl_add_u32 v99, v99, 23, 0x3c000000
	v_and_b32_e32 v35, 0x80000000, v35
	v_or3_b32 v99, v25, v35, v99
.LBB312_447:                            ;   in Loop: Header=BB312_12 Depth=1
	s_or_b32 exec_lo, exec_lo, s43
.LBB312_448:                            ;   in Loop: Header=BB312_12 Depth=1
	s_or_b32 exec_lo, exec_lo, s42
.LBB312_449:                            ;   in Loop: Header=BB312_12 Depth=1
	s_or_b32 exec_lo, exec_lo, s3
	global_load_ushort v25, v[31:32], off offset:1672
	v_mov_b32_e32 v103, 0
	v_mov_b32_e32 v102, 0
	s_waitcnt vmcnt(0)
	v_and_b32_e32 v35, 0xffff, v25
	v_cmp_ne_u16_sdwa s2, v25, v26 src0_sel:BYTE_0 src1_sel:DWORD
	s_and_saveexec_b32 s3, s2
	s_cbranch_execz .LBB312_457
; %bb.450:                              ;   in Loop: Header=BB312_12 Depth=1
	v_cmp_ne_u16_sdwa s2, v35, v41 src0_sel:BYTE_0 src1_sel:DWORD
	v_bfrev_b32_e32 v102, 1
	s_and_saveexec_b32 s42, s2
	s_cbranch_execz .LBB312_456
; %bb.451:                              ;   in Loop: Header=BB312_12 Depth=1
	v_and_b32_e32 v104, 0x7f, v35
	v_mov_b32_e32 v102, 0x7f800001
	s_mov_b32 s43, exec_lo
	v_cmpx_ne_u32_e32 0x7f, v104
	s_cbranch_execz .LBB312_455
; %bb.452:                              ;   in Loop: Header=BB312_12 Depth=1
	v_and_b32_e32 v25, 7, v35
	v_lshrrev_b32_e32 v102, 3, v104
	s_mov_b32 s44, exec_lo
	v_cmpx_gt_u32_e32 8, v104
; %bb.453:                              ;   in Loop: Header=BB312_12 Depth=1
	v_ffbh_u32_e32 v102, v25
	v_min_u32_e32 v102, 32, v102
	v_subrev_nc_u32_e32 v104, 28, v102
	v_sub_nc_u32_e32 v102, 29, v102
	v_lshlrev_b64 v[104:105], v104, v[25:26]
	v_and_b32_e32 v25, 7, v104
; %bb.454:                              ;   in Loop: Header=BB312_12 Depth=1
	s_or_b32 exec_lo, exec_lo, s44
	v_lshlrev_b32_e32 v104, 24, v35
	v_lshlrev_b32_e32 v25, 20, v25
	v_lshl_add_u32 v102, v102, 23, 0x3c000000
	v_and_b32_e32 v104, 0x80000000, v104
	v_or3_b32 v102, v25, v104, v102
.LBB312_455:                            ;   in Loop: Header=BB312_12 Depth=1
	s_or_b32 exec_lo, exec_lo, s43
.LBB312_456:                            ;   in Loop: Header=BB312_12 Depth=1
	s_or_b32 exec_lo, exec_lo, s42
.LBB312_457:                            ;   in Loop: Header=BB312_12 Depth=1
	s_or_b32 exec_lo, exec_lo, s3
	v_cmp_ne_u16_sdwa s2, v35, v26 src0_sel:BYTE_1 src1_sel:DWORD
	s_and_saveexec_b32 s3, s2
	s_cbranch_execz .LBB312_465
; %bb.458:                              ;   in Loop: Header=BB312_12 Depth=1
	v_cmp_ne_u16_sdwa s2, v35, v41 src0_sel:BYTE_1 src1_sel:DWORD
	v_bfrev_b32_e32 v103, 1
	s_and_saveexec_b32 s42, s2
	s_cbranch_execz .LBB312_464
; %bb.459:                              ;   in Loop: Header=BB312_12 Depth=1
	v_and_b32_sdwa v25, v42, v35 dst_sel:DWORD dst_unused:UNUSED_PAD src0_sel:DWORD src1_sel:BYTE_1
	v_mov_b32_e32 v103, 0x7f800001
	s_mov_b32 s43, exec_lo
	v_and_b32_e32 v104, 0x7f, v25
	v_cmpx_ne_u32_e32 0x7f, v104
	s_cbranch_execz .LBB312_463
; %bb.460:                              ;   in Loop: Header=BB312_12 Depth=1
	v_and_b32_e32 v25, 7, v25
	v_lshrrev_b32_e32 v103, 3, v104
	s_mov_b32 s44, exec_lo
	v_cmpx_gt_u32_e32 8, v104
; %bb.461:                              ;   in Loop: Header=BB312_12 Depth=1
	v_ffbh_u32_e32 v103, v25
	v_min_u32_e32 v103, 32, v103
	v_subrev_nc_u32_e32 v104, 28, v103
	v_sub_nc_u32_e32 v103, 29, v103
	v_lshlrev_b64 v[104:105], v104, v[25:26]
	v_and_b32_e32 v25, 7, v104
; %bb.462:                              ;   in Loop: Header=BB312_12 Depth=1
	s_or_b32 exec_lo, exec_lo, s44
	v_lshlrev_b32_e32 v35, 16, v35
	v_lshlrev_b32_e32 v25, 20, v25
	v_lshl_add_u32 v103, v103, 23, 0x3c000000
	v_and_b32_e32 v35, 0x80000000, v35
	v_or3_b32 v103, v25, v35, v103
.LBB312_463:                            ;   in Loop: Header=BB312_12 Depth=1
	s_or_b32 exec_lo, exec_lo, s43
.LBB312_464:                            ;   in Loop: Header=BB312_12 Depth=1
	s_or_b32 exec_lo, exec_lo, s42
.LBB312_465:                            ;   in Loop: Header=BB312_12 Depth=1
	s_or_b32 exec_lo, exec_lo, s3
	global_load_ushort v25, v[31:32], off offset:1792
	v_mov_b32_e32 v105, 0
	v_mov_b32_e32 v104, 0
	s_waitcnt vmcnt(0)
	v_and_b32_e32 v35, 0xffff, v25
	v_cmp_ne_u16_sdwa s2, v25, v26 src0_sel:BYTE_0 src1_sel:DWORD
	s_and_saveexec_b32 s3, s2
	s_cbranch_execz .LBB312_473
; %bb.466:                              ;   in Loop: Header=BB312_12 Depth=1
	v_cmp_ne_u16_sdwa s2, v35, v41 src0_sel:BYTE_0 src1_sel:DWORD
	v_bfrev_b32_e32 v104, 1
	s_and_saveexec_b32 s42, s2
	s_cbranch_execz .LBB312_472
; %bb.467:                              ;   in Loop: Header=BB312_12 Depth=1
	v_and_b32_e32 v106, 0x7f, v35
	v_mov_b32_e32 v104, 0x7f800001
	s_mov_b32 s43, exec_lo
	v_cmpx_ne_u32_e32 0x7f, v106
	s_cbranch_execz .LBB312_471
; %bb.468:                              ;   in Loop: Header=BB312_12 Depth=1
	v_and_b32_e32 v25, 7, v35
	v_lshrrev_b32_e32 v104, 3, v106
	s_mov_b32 s44, exec_lo
	v_cmpx_gt_u32_e32 8, v106
; %bb.469:                              ;   in Loop: Header=BB312_12 Depth=1
	v_ffbh_u32_e32 v104, v25
	v_min_u32_e32 v104, 32, v104
	v_subrev_nc_u32_e32 v106, 28, v104
	v_sub_nc_u32_e32 v104, 29, v104
	v_lshlrev_b64 v[106:107], v106, v[25:26]
	v_and_b32_e32 v25, 7, v106
; %bb.470:                              ;   in Loop: Header=BB312_12 Depth=1
	s_or_b32 exec_lo, exec_lo, s44
	v_lshlrev_b32_e32 v106, 24, v35
	v_lshlrev_b32_e32 v25, 20, v25
	v_lshl_add_u32 v104, v104, 23, 0x3c000000
	v_and_b32_e32 v106, 0x80000000, v106
	v_or3_b32 v104, v25, v106, v104
.LBB312_471:                            ;   in Loop: Header=BB312_12 Depth=1
	s_or_b32 exec_lo, exec_lo, s43
.LBB312_472:                            ;   in Loop: Header=BB312_12 Depth=1
	s_or_b32 exec_lo, exec_lo, s42
.LBB312_473:                            ;   in Loop: Header=BB312_12 Depth=1
	s_or_b32 exec_lo, exec_lo, s3
	v_cmp_ne_u16_sdwa s2, v35, v26 src0_sel:BYTE_1 src1_sel:DWORD
	s_and_saveexec_b32 s3, s2
	s_cbranch_execz .LBB312_481
; %bb.474:                              ;   in Loop: Header=BB312_12 Depth=1
	v_cmp_ne_u16_sdwa s2, v35, v41 src0_sel:BYTE_1 src1_sel:DWORD
	v_bfrev_b32_e32 v105, 1
	s_and_saveexec_b32 s42, s2
	s_cbranch_execz .LBB312_480
; %bb.475:                              ;   in Loop: Header=BB312_12 Depth=1
	v_and_b32_sdwa v25, v42, v35 dst_sel:DWORD dst_unused:UNUSED_PAD src0_sel:DWORD src1_sel:BYTE_1
	v_mov_b32_e32 v105, 0x7f800001
	s_mov_b32 s43, exec_lo
	v_and_b32_e32 v106, 0x7f, v25
	v_cmpx_ne_u32_e32 0x7f, v106
	s_cbranch_execz .LBB312_479
; %bb.476:                              ;   in Loop: Header=BB312_12 Depth=1
	v_and_b32_e32 v25, 7, v25
	v_lshrrev_b32_e32 v105, 3, v106
	s_mov_b32 s44, exec_lo
	v_cmpx_gt_u32_e32 8, v106
; %bb.477:                              ;   in Loop: Header=BB312_12 Depth=1
	v_ffbh_u32_e32 v105, v25
	v_min_u32_e32 v105, 32, v105
	v_subrev_nc_u32_e32 v106, 28, v105
	v_sub_nc_u32_e32 v105, 29, v105
	v_lshlrev_b64 v[106:107], v106, v[25:26]
	v_and_b32_e32 v25, 7, v106
; %bb.478:                              ;   in Loop: Header=BB312_12 Depth=1
	s_or_b32 exec_lo, exec_lo, s44
	v_lshlrev_b32_e32 v35, 16, v35
	v_lshlrev_b32_e32 v25, 20, v25
	v_lshl_add_u32 v105, v105, 23, 0x3c000000
	v_and_b32_e32 v35, 0x80000000, v35
	v_or3_b32 v105, v25, v35, v105
.LBB312_479:                            ;   in Loop: Header=BB312_12 Depth=1
	s_or_b32 exec_lo, exec_lo, s43
.LBB312_480:                            ;   in Loop: Header=BB312_12 Depth=1
	s_or_b32 exec_lo, exec_lo, s42
.LBB312_481:                            ;   in Loop: Header=BB312_12 Depth=1
	s_or_b32 exec_lo, exec_lo, s3
	global_load_ushort v25, v[31:32], off offset:1800
	v_mov_b32_e32 v107, 0
	v_mov_b32_e32 v106, 0
	s_waitcnt vmcnt(0)
	v_and_b32_e32 v35, 0xffff, v25
	v_cmp_ne_u16_sdwa s2, v25, v26 src0_sel:BYTE_0 src1_sel:DWORD
	s_and_saveexec_b32 s3, s2
	s_cbranch_execz .LBB312_489
; %bb.482:                              ;   in Loop: Header=BB312_12 Depth=1
	v_cmp_ne_u16_sdwa s2, v35, v41 src0_sel:BYTE_0 src1_sel:DWORD
	v_bfrev_b32_e32 v106, 1
	s_and_saveexec_b32 s42, s2
	s_cbranch_execz .LBB312_488
; %bb.483:                              ;   in Loop: Header=BB312_12 Depth=1
	v_and_b32_e32 v108, 0x7f, v35
	v_mov_b32_e32 v106, 0x7f800001
	s_mov_b32 s43, exec_lo
	v_cmpx_ne_u32_e32 0x7f, v108
	s_cbranch_execz .LBB312_487
; %bb.484:                              ;   in Loop: Header=BB312_12 Depth=1
	v_and_b32_e32 v25, 7, v35
	v_lshrrev_b32_e32 v106, 3, v108
	s_mov_b32 s44, exec_lo
	v_cmpx_gt_u32_e32 8, v108
; %bb.485:                              ;   in Loop: Header=BB312_12 Depth=1
	v_ffbh_u32_e32 v106, v25
	v_min_u32_e32 v106, 32, v106
	v_subrev_nc_u32_e32 v108, 28, v106
	v_sub_nc_u32_e32 v106, 29, v106
	v_lshlrev_b64 v[108:109], v108, v[25:26]
	v_and_b32_e32 v25, 7, v108
; %bb.486:                              ;   in Loop: Header=BB312_12 Depth=1
	s_or_b32 exec_lo, exec_lo, s44
	v_lshlrev_b32_e32 v108, 24, v35
	v_lshlrev_b32_e32 v25, 20, v25
	v_lshl_add_u32 v106, v106, 23, 0x3c000000
	v_and_b32_e32 v108, 0x80000000, v108
	v_or3_b32 v106, v25, v108, v106
.LBB312_487:                            ;   in Loop: Header=BB312_12 Depth=1
	s_or_b32 exec_lo, exec_lo, s43
.LBB312_488:                            ;   in Loop: Header=BB312_12 Depth=1
	s_or_b32 exec_lo, exec_lo, s42
.LBB312_489:                            ;   in Loop: Header=BB312_12 Depth=1
	s_or_b32 exec_lo, exec_lo, s3
	v_cmp_ne_u16_sdwa s2, v35, v26 src0_sel:BYTE_1 src1_sel:DWORD
	s_and_saveexec_b32 s3, s2
	s_cbranch_execz .LBB312_497
; %bb.490:                              ;   in Loop: Header=BB312_12 Depth=1
	v_cmp_ne_u16_sdwa s2, v35, v41 src0_sel:BYTE_1 src1_sel:DWORD
	v_bfrev_b32_e32 v107, 1
	s_and_saveexec_b32 s42, s2
	s_cbranch_execz .LBB312_496
; %bb.491:                              ;   in Loop: Header=BB312_12 Depth=1
	v_and_b32_sdwa v25, v42, v35 dst_sel:DWORD dst_unused:UNUSED_PAD src0_sel:DWORD src1_sel:BYTE_1
	v_mov_b32_e32 v107, 0x7f800001
	s_mov_b32 s43, exec_lo
	v_and_b32_e32 v108, 0x7f, v25
	v_cmpx_ne_u32_e32 0x7f, v108
	s_cbranch_execz .LBB312_495
; %bb.492:                              ;   in Loop: Header=BB312_12 Depth=1
	v_and_b32_e32 v25, 7, v25
	v_lshrrev_b32_e32 v107, 3, v108
	s_mov_b32 s44, exec_lo
	v_cmpx_gt_u32_e32 8, v108
; %bb.493:                              ;   in Loop: Header=BB312_12 Depth=1
	v_ffbh_u32_e32 v107, v25
	v_min_u32_e32 v107, 32, v107
	v_subrev_nc_u32_e32 v108, 28, v107
	v_sub_nc_u32_e32 v107, 29, v107
	v_lshlrev_b64 v[108:109], v108, v[25:26]
	v_and_b32_e32 v25, 7, v108
; %bb.494:                              ;   in Loop: Header=BB312_12 Depth=1
	s_or_b32 exec_lo, exec_lo, s44
	v_lshlrev_b32_e32 v35, 16, v35
	v_lshlrev_b32_e32 v25, 20, v25
	v_lshl_add_u32 v107, v107, 23, 0x3c000000
	v_and_b32_e32 v35, 0x80000000, v35
	v_or3_b32 v107, v25, v35, v107
.LBB312_495:                            ;   in Loop: Header=BB312_12 Depth=1
	s_or_b32 exec_lo, exec_lo, s43
.LBB312_496:                            ;   in Loop: Header=BB312_12 Depth=1
	s_or_b32 exec_lo, exec_lo, s42
.LBB312_497:                            ;   in Loop: Header=BB312_12 Depth=1
	s_or_b32 exec_lo, exec_lo, s3
	global_load_ushort v25, v[31:32], off offset:1920
	v_mov_b32_e32 v109, 0
	v_mov_b32_e32 v108, 0
	s_waitcnt vmcnt(0)
	v_and_b32_e32 v35, 0xffff, v25
	v_cmp_ne_u16_sdwa s2, v25, v26 src0_sel:BYTE_0 src1_sel:DWORD
	s_and_saveexec_b32 s3, s2
	s_cbranch_execz .LBB312_505
; %bb.498:                              ;   in Loop: Header=BB312_12 Depth=1
	v_cmp_ne_u16_sdwa s2, v35, v41 src0_sel:BYTE_0 src1_sel:DWORD
	v_bfrev_b32_e32 v108, 1
	s_and_saveexec_b32 s42, s2
	s_cbranch_execz .LBB312_504
; %bb.499:                              ;   in Loop: Header=BB312_12 Depth=1
	v_and_b32_e32 v110, 0x7f, v35
	v_mov_b32_e32 v108, 0x7f800001
	s_mov_b32 s43, exec_lo
	v_cmpx_ne_u32_e32 0x7f, v110
	s_cbranch_execz .LBB312_503
; %bb.500:                              ;   in Loop: Header=BB312_12 Depth=1
	v_and_b32_e32 v25, 7, v35
	v_lshrrev_b32_e32 v108, 3, v110
	s_mov_b32 s44, exec_lo
	v_cmpx_gt_u32_e32 8, v110
; %bb.501:                              ;   in Loop: Header=BB312_12 Depth=1
	v_ffbh_u32_e32 v108, v25
	v_min_u32_e32 v108, 32, v108
	v_subrev_nc_u32_e32 v110, 28, v108
	v_sub_nc_u32_e32 v108, 29, v108
	v_lshlrev_b64 v[110:111], v110, v[25:26]
	v_and_b32_e32 v25, 7, v110
; %bb.502:                              ;   in Loop: Header=BB312_12 Depth=1
	s_or_b32 exec_lo, exec_lo, s44
	v_lshlrev_b32_e32 v110, 24, v35
	v_lshlrev_b32_e32 v25, 20, v25
	v_lshl_add_u32 v108, v108, 23, 0x3c000000
	v_and_b32_e32 v110, 0x80000000, v110
	v_or3_b32 v108, v25, v110, v108
.LBB312_503:                            ;   in Loop: Header=BB312_12 Depth=1
	s_or_b32 exec_lo, exec_lo, s43
.LBB312_504:                            ;   in Loop: Header=BB312_12 Depth=1
	s_or_b32 exec_lo, exec_lo, s42
.LBB312_505:                            ;   in Loop: Header=BB312_12 Depth=1
	s_or_b32 exec_lo, exec_lo, s3
	v_cmp_ne_u16_sdwa s2, v35, v26 src0_sel:BYTE_1 src1_sel:DWORD
	s_and_saveexec_b32 s3, s2
	s_cbranch_execz .LBB312_513
; %bb.506:                              ;   in Loop: Header=BB312_12 Depth=1
	v_cmp_ne_u16_sdwa s2, v35, v41 src0_sel:BYTE_1 src1_sel:DWORD
	v_bfrev_b32_e32 v109, 1
	s_and_saveexec_b32 s42, s2
	s_cbranch_execz .LBB312_512
; %bb.507:                              ;   in Loop: Header=BB312_12 Depth=1
	v_and_b32_sdwa v25, v42, v35 dst_sel:DWORD dst_unused:UNUSED_PAD src0_sel:DWORD src1_sel:BYTE_1
	v_mov_b32_e32 v109, 0x7f800001
	s_mov_b32 s43, exec_lo
	v_and_b32_e32 v110, 0x7f, v25
	v_cmpx_ne_u32_e32 0x7f, v110
	s_cbranch_execz .LBB312_511
; %bb.508:                              ;   in Loop: Header=BB312_12 Depth=1
	v_and_b32_e32 v25, 7, v25
	v_lshrrev_b32_e32 v109, 3, v110
	s_mov_b32 s44, exec_lo
	v_cmpx_gt_u32_e32 8, v110
; %bb.509:                              ;   in Loop: Header=BB312_12 Depth=1
	v_ffbh_u32_e32 v109, v25
	v_min_u32_e32 v109, 32, v109
	v_subrev_nc_u32_e32 v110, 28, v109
	v_sub_nc_u32_e32 v109, 29, v109
	v_lshlrev_b64 v[110:111], v110, v[25:26]
	v_and_b32_e32 v25, 7, v110
; %bb.510:                              ;   in Loop: Header=BB312_12 Depth=1
	s_or_b32 exec_lo, exec_lo, s44
	v_lshlrev_b32_e32 v35, 16, v35
	v_lshlrev_b32_e32 v25, 20, v25
	v_lshl_add_u32 v109, v109, 23, 0x3c000000
	v_and_b32_e32 v35, 0x80000000, v35
	v_or3_b32 v109, v25, v35, v109
.LBB312_511:                            ;   in Loop: Header=BB312_12 Depth=1
	s_or_b32 exec_lo, exec_lo, s43
.LBB312_512:                            ;   in Loop: Header=BB312_12 Depth=1
	s_or_b32 exec_lo, exec_lo, s42
.LBB312_513:                            ;   in Loop: Header=BB312_12 Depth=1
	s_or_b32 exec_lo, exec_lo, s3
	global_load_ushort v25, v[31:32], off offset:1928
	v_mov_b32_e32 v31, 0
	v_mov_b32_e32 v32, 0
	s_waitcnt vmcnt(0)
	v_and_b32_e32 v35, 0xffff, v25
	v_cmp_ne_u16_sdwa s2, v25, v26 src0_sel:BYTE_0 src1_sel:DWORD
	s_and_saveexec_b32 s3, s2
	s_cbranch_execz .LBB312_521
; %bb.514:                              ;   in Loop: Header=BB312_12 Depth=1
	v_cmp_ne_u16_sdwa s2, v35, v41 src0_sel:BYTE_0 src1_sel:DWORD
	v_bfrev_b32_e32 v32, 1
	s_and_saveexec_b32 s42, s2
	s_cbranch_execz .LBB312_520
; %bb.515:                              ;   in Loop: Header=BB312_12 Depth=1
	v_and_b32_e32 v110, 0x7f, v35
	v_mov_b32_e32 v32, 0x7f800001
	s_mov_b32 s43, exec_lo
	v_cmpx_ne_u32_e32 0x7f, v110
	s_cbranch_execz .LBB312_519
; %bb.516:                              ;   in Loop: Header=BB312_12 Depth=1
	v_and_b32_e32 v25, 7, v35
	v_lshrrev_b32_e32 v32, 3, v110
	s_mov_b32 s44, exec_lo
	v_cmpx_gt_u32_e32 8, v110
; %bb.517:                              ;   in Loop: Header=BB312_12 Depth=1
	v_ffbh_u32_e32 v32, v25
	v_min_u32_e32 v32, 32, v32
	v_subrev_nc_u32_e32 v110, 28, v32
	v_sub_nc_u32_e32 v32, 29, v32
	v_lshlrev_b64 v[110:111], v110, v[25:26]
	v_and_b32_e32 v25, 7, v110
; %bb.518:                              ;   in Loop: Header=BB312_12 Depth=1
	s_or_b32 exec_lo, exec_lo, s44
	v_lshlrev_b32_e32 v110, 24, v35
	v_lshlrev_b32_e32 v25, 20, v25
	v_lshl_add_u32 v32, v32, 23, 0x3c000000
	v_and_b32_e32 v110, 0x80000000, v110
	v_or3_b32 v32, v25, v110, v32
.LBB312_519:                            ;   in Loop: Header=BB312_12 Depth=1
	s_or_b32 exec_lo, exec_lo, s43
.LBB312_520:                            ;   in Loop: Header=BB312_12 Depth=1
	s_or_b32 exec_lo, exec_lo, s42
.LBB312_521:                            ;   in Loop: Header=BB312_12 Depth=1
	s_or_b32 exec_lo, exec_lo, s3
	v_cmp_ne_u16_sdwa s2, v35, v26 src0_sel:BYTE_1 src1_sel:DWORD
	s_and_saveexec_b32 s3, s2
	s_cbranch_execz .LBB312_529
; %bb.522:                              ;   in Loop: Header=BB312_12 Depth=1
	v_cmp_ne_u16_sdwa s2, v35, v41 src0_sel:BYTE_1 src1_sel:DWORD
	v_bfrev_b32_e32 v31, 1
	s_and_saveexec_b32 s42, s2
	s_cbranch_execz .LBB312_528
; %bb.523:                              ;   in Loop: Header=BB312_12 Depth=1
	v_and_b32_sdwa v25, v42, v35 dst_sel:DWORD dst_unused:UNUSED_PAD src0_sel:DWORD src1_sel:BYTE_1
	v_mov_b32_e32 v31, 0x7f800001
	s_mov_b32 s43, exec_lo
	v_and_b32_e32 v110, 0x7f, v25
	v_cmpx_ne_u32_e32 0x7f, v110
	s_cbranch_execz .LBB312_527
; %bb.524:                              ;   in Loop: Header=BB312_12 Depth=1
	v_and_b32_e32 v25, 7, v25
	v_lshrrev_b32_e32 v31, 3, v110
	s_mov_b32 s44, exec_lo
	v_cmpx_gt_u32_e32 8, v110
; %bb.525:                              ;   in Loop: Header=BB312_12 Depth=1
	v_ffbh_u32_e32 v31, v25
	v_min_u32_e32 v31, 32, v31
	v_subrev_nc_u32_e32 v110, 28, v31
	v_sub_nc_u32_e32 v31, 29, v31
	v_lshlrev_b64 v[110:111], v110, v[25:26]
	v_and_b32_e32 v25, 7, v110
; %bb.526:                              ;   in Loop: Header=BB312_12 Depth=1
	s_or_b32 exec_lo, exec_lo, s44
	v_lshlrev_b32_e32 v35, 16, v35
	v_lshlrev_b32_e32 v25, 20, v25
	v_lshl_add_u32 v31, v31, 23, 0x3c000000
	v_and_b32_e32 v35, 0x80000000, v35
	v_or3_b32 v31, v25, v35, v31
.LBB312_527:                            ;   in Loop: Header=BB312_12 Depth=1
	s_or_b32 exec_lo, exec_lo, s43
.LBB312_528:                            ;   in Loop: Header=BB312_12 Depth=1
	s_or_b32 exec_lo, exec_lo, s42
.LBB312_529:                            ;   in Loop: Header=BB312_12 Depth=1
	s_or_b32 exec_lo, exec_lo, s3
	s_waitcnt lgkmcnt(0)
	v_lshlrev_b32_e32 v43, 16, v23
	v_lshlrev_b32_e32 v126, 16, v24
	v_and_b32_e32 v38, 0xffff0000, v23
	v_and_b32_e32 v35, 0xffff0000, v24
	v_lshlrev_b32_e32 v118, 16, v13
	v_lshlrev_b32_e32 v116, 16, v14
	v_and_b32_e32 v117, 0xffff0000, v13
	v_and_b32_e32 v115, 0xffff0000, v14
	;; [unrolled: 4-line block ×3, first 2 shown]
	v_lshlrev_b32_e32 v14, 16, v7
	v_and_b32_e32 v13, 0xffff0000, v7
	v_lshlrev_b32_e32 v10, 16, v1
	v_lshlrev_b32_e32 v7, 16, v3
	v_and_b32_e32 v9, 0xffff0000, v1
	v_and_b32_e32 v1, 0xffff0000, v3
	v_mul_f32_e32 v3, s41, v51
	v_lshlrev_b32_e32 v127, 16, v17
	v_lshlrev_b32_e32 v124, 16, v18
	v_and_b32_e32 v125, 0xffff0000, v17
	v_and_b32_e32 v123, 0xffff0000, v18
	v_lshlrev_b32_e32 v114, 16, v15
	v_lshlrev_b32_e32 v112, 16, v16
	v_and_b32_e32 v113, 0xffff0000, v15
	v_and_b32_e32 v111, 0xffff0000, v16
	;; [unrolled: 4-line block ×3, first 2 shown]
	v_lshlrev_b32_e32 v6, 16, v4
	v_and_b32_e32 v5, 0xffff0000, v4
	v_bfe_u32 v4, v3, 16, 1
	v_or_b32_e32 v51, 0x400000, v3
	v_cmp_u_f32_e64 s2, v3, v3
	v_lshlrev_b32_e32 v37, 16, v22
	v_lshlrev_b32_e32 v33, 16, v21
	v_add3_u32 v4, v4, v3, 0x7fff
	v_and_b32_e32 v30, 0xffff0000, v22
	v_and_b32_e32 v29, 0xffff0000, v21
	v_lshlrev_b32_e32 v122, 16, v19
	v_and_b32_e32 v121, 0xffff0000, v19
	v_cndmask_b32_e64 v3, v4, v51, s2
	v_mul_f32_e32 v4, s41, v49
	v_lshlrev_b32_e32 v120, 16, v20
	v_and_b32_e32 v119, 0xffff0000, v20
	v_lshlrev_b32_e32 v22, 16, v11
	v_and_b32_e32 v3, 0xffff0000, v3
	v_bfe_u32 v49, v4, 16, 1
	v_or_b32_e32 v51, 0x400000, v4
	v_cmp_u_f32_e64 s2, v4, v4
	v_and_b32_e32 v21, 0xffff0000, v11
	v_mul_f32_e32 v3, v37, v3
	v_add3_u32 v49, v49, v4, 0x7fff
	v_lshlrev_b32_e32 v20, 16, v12
	v_and_b32_e32 v19, 0xffff0000, v12
	v_lshlrev_b32_e32 v12, 16, v8
	v_and_b32_e32 v11, 0xffff0000, v8
	v_cndmask_b32_e64 v4, v49, v51, s2
	v_lshlrev_b32_e32 v8, 16, v2
	v_and_b32_e32 v2, 0xffff0000, v2
	v_and_b32_e32 v4, 0xffff0000, v4
	v_fmac_f32_e32 v3, v33, v4
	v_mul_f32_e32 v4, s41, v50
	v_bfe_u32 v33, v4, 16, 1
	v_or_b32_e32 v37, 0x400000, v4
	v_cmp_u_f32_e64 s2, v4, v4
	v_add3_u32 v33, v33, v4, 0x7fff
	v_cndmask_b32_e64 v4, v33, v37, s2
	v_mul_f32_e32 v33, s41, v48
	v_and_b32_e32 v4, 0xffff0000, v4
	v_bfe_u32 v37, v33, 16, 1
	v_or_b32_e32 v48, 0x400000, v33
	v_cmp_u_f32_e64 s2, v33, v33
	v_mul_f32_e32 v4, v30, v4
	v_add3_u32 v37, v37, v33, 0x7fff
	v_cndmask_b32_e64 v33, v37, v48, s2
	v_and_b32_e32 v30, 0xffff0000, v33
	v_fmac_f32_e32 v4, v29, v30
	v_mul_f32_e32 v29, s41, v53
	v_bfe_u32 v30, v29, 16, 1
	v_or_b32_e32 v33, 0x400000, v29
	v_cmp_u_f32_e64 s2, v29, v29
	v_add3_u32 v30, v30, v29, 0x7fff
	v_cndmask_b32_e64 v29, v30, v33, s2
	v_and_b32_e32 v29, 0xffff0000, v29
	v_fmac_f32_e32 v3, v43, v29
	v_mul_f32_e32 v29, s41, v52
	v_bfe_u32 v30, v29, 16, 1
	v_or_b32_e32 v33, 0x400000, v29
	v_cmp_u_f32_e64 s2, v29, v29
	;; [unrolled: 8-line block ×27, first 2 shown]
	v_add3_u32 v22, v22, v21, 0x7fff
	v_cndmask_b32_e64 v21, v22, v23, s2
	v_mul_f32_e32 v23, s41, v102
	v_and_b32_e32 v21, 0xffff0000, v21
	v_fmac_f32_e32 v3, v20, v21
	v_mul_f32_e32 v20, s41, v78
	v_bfe_u32 v21, v20, 16, 1
	v_or_b32_e32 v22, 0x400000, v20
	v_cmp_u_f32_e64 s2, v20, v20
	v_add3_u32 v21, v21, v20, 0x7fff
	v_cndmask_b32_e64 v20, v21, v22, s2
	v_mul_f32_e32 v22, s41, v100
	v_and_b32_e32 v20, 0xffff0000, v20
	v_fmac_f32_e32 v4, v19, v20
	v_mul_f32_e32 v19, s41, v81
	v_bfe_u32 v20, v19, 16, 1
	v_or_b32_e32 v21, 0x400000, v19
	v_cmp_u_f32_e64 s2, v19, v19
	v_add3_u32 v20, v20, v19, 0x7fff
	v_cndmask_b32_e64 v19, v20, v21, s2
	v_and_b32_e32 v19, 0xffff0000, v19
	v_fmac_f32_e32 v3, v18, v19
	v_mul_f32_e32 v18, s41, v80
	v_bfe_u32 v19, v18, 16, 1
	v_or_b32_e32 v20, 0x400000, v18
	v_cmp_u_f32_e64 s2, v18, v18
	v_add3_u32 v19, v19, v18, 0x7fff
	v_cndmask_b32_e64 v18, v19, v20, s2
	v_mul_f32_e32 v20, s41, v103
	v_and_b32_e32 v18, 0xffff0000, v18
	v_fmac_f32_e32 v4, v17, v18
	v_mul_f32_e32 v17, s41, v83
	v_bfe_u32 v18, v17, 16, 1
	v_or_b32_e32 v19, 0x400000, v17
	v_cmp_u_f32_e64 s2, v17, v17
	v_add3_u32 v18, v18, v17, 0x7fff
	v_cndmask_b32_e64 v17, v18, v19, s2
	v_and_b32_e32 v17, 0xffff0000, v17
	v_fmac_f32_e32 v3, v16, v17
	v_mul_f32_e32 v16, s41, v82
	v_bfe_u32 v17, v16, 16, 1
	v_or_b32_e32 v18, 0x400000, v16
	v_cmp_u_f32_e64 s2, v16, v16
	v_add3_u32 v17, v17, v16, 0x7fff
	v_cndmask_b32_e64 v16, v17, v18, s2
	;; [unrolled: 8-line block ×3, first 2 shown]
	v_mul_f32_e32 v17, s41, v106
	v_and_b32_e32 v15, 0xffff0000, v15
	v_bfe_u32 v18, v17, 16, 1
	v_fmac_f32_e32 v3, v14, v15
	v_mul_f32_e32 v14, s41, v84
	v_bfe_u32 v15, v14, 16, 1
	v_or_b32_e32 v16, 0x400000, v14
	v_cmp_u_f32_e64 s2, v14, v14
	v_add3_u32 v15, v15, v14, 0x7fff
	v_cndmask_b32_e64 v14, v15, v16, s2
	v_and_b32_e32 v14, 0xffff0000, v14
	v_fmac_f32_e32 v4, v13, v14
	v_mul_f32_e32 v13, s41, v87
	v_bfe_u32 v14, v13, 16, 1
	v_or_b32_e32 v15, 0x400000, v13
	v_cmp_u_f32_e64 s2, v13, v13
	v_add3_u32 v14, v14, v13, 0x7fff
	v_cndmask_b32_e64 v13, v14, v15, s2
	v_and_b32_e32 v13, 0xffff0000, v13
	;; [unrolled: 8-line block ×3, first 2 shown]
	v_fmac_f32_e32 v4, v11, v12
	v_mul_f32_e32 v11, s41, v89
	v_bfe_u32 v12, v11, 16, 1
	v_or_b32_e32 v13, 0x400000, v11
	v_cmp_u_f32_e64 s2, v11, v11
	v_add3_u32 v12, v12, v11, 0x7fff
	v_cndmask_b32_e64 v11, v12, v13, s2
	v_mul_f32_e32 v13, s41, v108
	v_and_b32_e32 v11, 0xffff0000, v11
	v_bfe_u32 v15, v13, 16, 1
	v_or_b32_e32 v16, 0x400000, v13
	v_fmac_f32_e32 v3, v10, v11
	v_mul_f32_e32 v10, s41, v88
	v_add3_u32 v15, v15, v13, 0x7fff
	v_bfe_u32 v11, v10, 16, 1
	v_or_b32_e32 v12, 0x400000, v10
	v_cmp_u_f32_e64 s2, v10, v10
	v_add3_u32 v11, v11, v10, 0x7fff
	v_cndmask_b32_e64 v10, v11, v12, s2
	v_and_b32_e32 v10, 0xffff0000, v10
	v_fmac_f32_e32 v4, v9, v10
	v_mul_f32_e32 v9, s41, v91
	v_bfe_u32 v10, v9, 16, 1
	v_or_b32_e32 v11, 0x400000, v9
	v_cmp_u_f32_e64 s2, v9, v9
	v_add3_u32 v10, v10, v9, 0x7fff
	v_cndmask_b32_e64 v9, v10, v11, s2
	v_mul_f32_e32 v11, s41, v97
	v_and_b32_e32 v9, 0xffff0000, v9
	v_fmac_f32_e32 v3, v8, v9
	v_mul_f32_e32 v8, s41, v90
	v_bfe_u32 v9, v8, 16, 1
	v_or_b32_e32 v10, 0x400000, v8
	v_cmp_u_f32_e64 s2, v8, v8
	v_add3_u32 v9, v9, v8, 0x7fff
	v_cndmask_b32_e64 v8, v9, v10, s2
	v_mul_f32_e32 v10, s41, v98
	v_and_b32_e32 v8, 0xffff0000, v8
	v_fmac_f32_e32 v4, v2, v8
	v_mul_f32_e32 v2, s41, v93
	v_bfe_u32 v8, v2, 16, 1
	v_or_b32_e32 v9, 0x400000, v2
	v_cmp_u_f32_e64 s2, v2, v2
	v_add3_u32 v8, v8, v2, 0x7fff
	v_cndmask_b32_e64 v2, v8, v9, s2
	v_and_b32_e32 v2, 0xffff0000, v2
	v_fmac_f32_e32 v3, v7, v2
	v_mul_f32_e32 v2, s41, v92
	v_bfe_u32 v7, v2, 16, 1
	v_or_b32_e32 v8, 0x400000, v2
	v_cmp_u_f32_e64 s2, v2, v2
	v_add3_u32 v7, v7, v2, 0x7fff
	v_mul_f32_e32 v2, s41, v95
	v_cndmask_b32_e64 v7, v7, v8, s2
	v_bfe_u32 v8, v2, 16, 1
	v_or_b32_e32 v9, 0x400000, v2
	v_cmp_u_f32_e64 s2, v2, v2
	v_and_b32_e32 v7, 0xffff0000, v7
	v_add3_u32 v8, v8, v2, 0x7fff
	v_mul_f32_e32 v2, s41, v94
	v_fmac_f32_e32 v4, v1, v7
	v_cndmask_b32_e64 v8, v8, v9, s2
	v_bfe_u32 v9, v2, 16, 1
	v_or_b32_e32 v7, 0x400000, v2
	v_cmp_u_f32_e64 s2, v2, v2
	v_and_b32_e32 v8, 0xffff0000, v8
	v_add3_u32 v1, v9, v2, 0x7fff
	v_bfe_u32 v9, v10, 16, 1
	v_fmac_f32_e32 v3, v6, v8
	v_cndmask_b32_e64 v1, v1, v7, s2
	v_add3_u32 v2, v9, v10, 0x7fff
	v_or_b32_e32 v7, 0x400000, v10
	v_bfe_u32 v9, v11, 16, 1
	v_cmp_u_f32_e64 s2, v10, v10
	v_and_b32_e32 v6, 0xffff0000, v1
	v_mul_f32_e32 v10, s41, v101
	v_add3_u32 v8, v9, v11, 0x7fff
	v_cndmask_b32_e64 v7, v2, v7, s2
	v_or_b32_e32 v9, 0x400000, v11
	ds_read2_b32 v[1:2], v39 offset0:25 offset1:26
	v_cmp_u_f32_e64 s2, v11, v11
	v_fmac_f32_e32 v4, v5, v6
	v_bfe_u32 v6, v10, 16, 1
	v_or_b32_e32 v11, 0x400000, v10
	v_and_b32_e32 v7, 0xffff0000, v7
	v_cndmask_b32_e64 v5, v8, v9, s2
	v_and_b32_e32 v9, 0xffff0000, v47
	v_add3_u32 v6, v6, v10, 0x7fff
	v_cmp_u_f32_e64 s2, v10, v10
	v_lshlrev_b32_e32 v8, 16, v47
	v_and_b32_e32 v5, 0xffff0000, v5
	v_mul_f32_e32 v10, s41, v109
	v_fmac_f32_e32 v3, v8, v7
	v_fmac_f32_e32 v4, v9, v5
	v_cndmask_b32_e64 v9, v6, v11, s2
	v_bfe_u32 v14, v10, 16, 1
	v_cmp_u_f32_e64 s2, v13, v13
	s_waitcnt lgkmcnt(0)
	v_lshlrev_b32_e32 v12, 16, v1
	v_cmp_u_f32_e64 s3, v10, v10
	v_and_b32_e32 v9, 0xffff0000, v9
	v_and_b32_e32 v1, 0xffff0000, v1
	v_cndmask_b32_e64 v15, v15, v16, s2
	v_or_b32_e32 v16, 0x400000, v17
	ds_read2_b32 v[5:6], v39 offset0:27 offset1:28
	ds_read2_b32 v[7:8], v39 offset0:29 offset1:30
	ds_read_b32 v11, v39 offset:124
	v_fmac_f32_e32 v3, v9, v12
	v_mul_f32_e32 v12, s41, v107
	v_add3_u32 v9, v14, v10, 0x7fff
	v_or_b32_e32 v14, 0x400000, v10
	v_bfe_u32 v13, v12, 16, 1
	v_cmp_u_f32_e64 s2, v12, v12
	v_cndmask_b32_e64 v9, v9, v14, s3
	v_mul_f32_e32 v14, s41, v105
	v_add3_u32 v10, v13, v12, 0x7fff
	v_or_b32_e32 v13, 0x400000, v12
	v_bfe_u32 v12, v14, 16, 1
	v_or_b32_e32 v19, 0x400000, v14
	v_cmp_u_f32_e64 s3, v14, v14
	v_cndmask_b32_e64 v10, v10, v13, s2
	v_add3_u32 v13, v18, v17, 0x7fff
	v_mul_f32_e32 v18, s41, v96
	v_cmp_u_f32_e64 s2, v17, v17
	v_add3_u32 v12, v12, v14, 0x7fff
	v_mul_f32_e32 v17, s41, v104
	v_bfe_u32 v21, v18, 16, 1
	v_cndmask_b32_e64 v13, v13, v16, s2
	v_cndmask_b32_e64 v12, v12, v19, s3
	v_cmp_u_f32_e64 s2, v18, v18
	v_bfe_u32 v16, v20, 16, 1
	v_add3_u32 v19, v21, v18, 0x7fff
	v_or_b32_e32 v21, 0x400000, v18
	v_or_b32_e32 v18, 0x400000, v20
	v_bfe_u32 v14, v17, 16, 1
	v_add3_u32 v16, v16, v20, 0x7fff
	v_cndmask_b32_e64 v19, v19, v21, s2
	v_cmp_u_f32_e64 s2, v20, v20
	v_bfe_u32 v20, v22, 16, 1
	v_mul_f32_e32 v21, s41, v99
	v_add3_u32 v14, v14, v17, 0x7fff
	v_and_b32_e32 v19, 0xffff0000, v19
	v_cndmask_b32_e64 v16, v16, v18, s2
	v_add3_u32 v18, v20, v22, 0x7fff
	v_bfe_u32 v20, v21, 16, 1
	v_cmp_u_f32_e64 s2, v22, v22
	v_fmac_f32_e32 v4, v19, v1
	v_or_b32_e32 v1, 0x400000, v22
	v_bfe_u32 v19, v23, 16, 1
	v_add3_u32 v20, v20, v21, 0x7fff
	v_or_b32_e32 v22, 0x400000, v21
	v_and_b32_e32 v16, 0xffff0000, v16
	v_cndmask_b32_e64 v1, v18, v1, s2
	v_cmp_u_f32_e64 s2, v21, v21
	v_add3_u32 v19, v19, v23, 0x7fff
	v_or_b32_e32 v21, 0x400000, v23
	v_or_b32_e32 v18, 0x400000, v17
	v_and_b32_e32 v1, 0xffff0000, v1
	v_cndmask_b32_e64 v20, v20, v22, s2
	v_cmp_u_f32_e64 s2, v23, v23
	v_lshlrev_b32_e32 v22, 16, v2
	v_and_b32_e32 v2, 0xffff0000, v2
	v_and_b32_e32 v20, 0xffff0000, v20
	v_cndmask_b32_e64 v19, v19, v21, s2
	v_cmp_u_f32_e64 s2, v17, v17
	v_mul_f32_e32 v21, s41, v32
	v_fmac_f32_e32 v3, v1, v22
	v_fmac_f32_e32 v4, v20, v2
	s_waitcnt lgkmcnt(2)
	v_lshlrev_b32_e32 v1, 16, v5
	v_and_b32_e32 v2, 0xffff0000, v5
	v_and_b32_e32 v5, 0xffff0000, v19
	v_cndmask_b32_e64 v14, v14, v18, s2
	v_bfe_u32 v17, v21, 16, 1
	v_mul_f32_e32 v18, s41, v31
	v_fmac_f32_e32 v4, v16, v2
	v_fmac_f32_e32 v3, v5, v1
	v_lshlrev_b32_e32 v1, 16, v6
	v_and_b32_e32 v2, 0xffff0000, v14
	v_and_b32_e32 v5, 0xffff0000, v6
	;; [unrolled: 1-line block ×3, first 2 shown]
	v_add3_u32 v12, v17, v21, 0x7fff
	v_or_b32_e32 v14, 0x400000, v21
	v_bfe_u32 v16, v18, 16, 1
	v_fmac_f32_e32 v3, v2, v1
	v_fmac_f32_e32 v4, v6, v5
	s_waitcnt lgkmcnt(1)
	v_lshlrev_b32_e32 v1, 16, v7
	v_and_b32_e32 v2, 0xffff0000, v7
	v_and_b32_e32 v5, 0xffff0000, v13
	;; [unrolled: 1-line block ×3, first 2 shown]
	v_cmp_u_f32_e64 s2, v21, v21
	v_add3_u32 v10, v16, v18, 0x7fff
	v_or_b32_e32 v13, 0x400000, v18
	v_fmac_f32_e32 v3, v5, v1
	v_fmac_f32_e32 v4, v6, v2
	v_lshlrev_b32_e32 v1, 16, v8
	v_and_b32_e32 v2, 0xffff0000, v8
	v_cndmask_b32_e64 v8, v12, v14, s2
	v_cmp_u_f32_e64 s2, v18, v18
	v_xor_b32_e32 v7, 2, v36
	v_and_b32_e32 v5, 0xffff0000, v15
	v_and_b32_e32 v6, 0xffff0000, v9
	v_cndmask_b32_e64 v9, v10, v13, s2
	v_cmp_gt_i32_e64 s2, 32, v7
	v_fmac_f32_e32 v3, v5, v1
	v_fmac_f32_e32 v4, v6, v2
	s_waitcnt lgkmcnt(0)
	v_lshlrev_b32_e32 v1, 16, v11
	v_and_b32_e32 v2, 0xffff0000, v11
	v_and_b32_e32 v5, 0xffff0000, v8
	;; [unrolled: 1-line block ×3, first 2 shown]
	v_cndmask_b32_e64 v7, v36, v7, s2
	v_fmac_f32_e32 v3, v5, v1
	v_fmac_f32_e32 v4, v6, v2
	v_lshlrev_b32_e32 v1, 2, v7
	v_add_f32_e32 v2, v3, v4
	v_xor_b32_e32 v3, 1, v36
	ds_bpermute_b32 v1, v1, v2
	v_cmp_gt_i32_e64 s2, 32, v3
	v_cndmask_b32_e64 v3, v36, v3, s2
	v_lshlrev_b32_e32 v3, 2, v3
	s_waitcnt lgkmcnt(0)
	v_add_f32_e32 v1, v2, v1
	ds_bpermute_b32 v2, v3, v1
	s_and_saveexec_b32 s3, vcc_lo
	s_cbranch_execz .LBB312_10
; %bb.530:                              ;   in Loop: Header=BB312_12 Depth=1
	buffer_load_dword v3, off, s[48:51], 0 offset:12 ; 4-byte Folded Reload
	s_waitcnt lgkmcnt(0)
	v_add_f32_e32 v1, v1, v2
	s_waitcnt vmcnt(0)
	v_add_nc_u32_e32 v3, v3, v40
	v_cvt_f32_i32_e32 v3, v3
	v_mul_f32_e32 v3, s36, v3
	v_cndmask_b32_e64 v2, 0, v3, s1
	v_max_f32_e32 v3, v0, v0
	v_fmac_f32_e32 v2, s35, v1
	buffer_load_dword v1, off, s[48:51], 0 offset:8 ; 4-byte Folded Reload
	v_max_f32_e32 v3, v3, v2
	s_waitcnt vmcnt(0)
	v_add_nc_u32_e32 v1, v1, v40
	v_cmp_gt_i32_e64 s2, s33, v1
	v_cndmask_b32_e64 v1, 0, v2, s2
	v_cndmask_b32_e64 v0, v0, v3, s2
	ds_write_b32 v44, v1
	s_branch .LBB312_10
.LBB312_531:
	s_or_b32 exec_lo, exec_lo, s38
	s_clause 0x2
	buffer_load_dword v13, off, s[48:51], 0 offset:16
	buffer_load_dword v46, off, s[48:51], 0 offset:20
	;; [unrolled: 1-line block ×3, first 2 shown]
.LBB312_532:
	s_or_b32 exec_lo, exec_lo, s37
	v_xor_b32_e32 v1, 16, v36
	v_xor_b32_e32 v3, 8, v36
	v_max_f32_e32 v4, v0, v0
	v_xor_b32_e32 v5, 4, v36
	s_waitcnt vmcnt(2)
	v_and_b32_e32 v25, 31, v13
	v_cmp_gt_i32_e32 vcc_lo, 32, v1
	v_cndmask_b32_e32 v1, v36, v1, vcc_lo
	v_cmp_gt_i32_e32 vcc_lo, 32, v3
	s_waitcnt lgkmcnt(0)
	v_lshlrev_b32_e32 v2, 2, v1
	v_cndmask_b32_e32 v3, v36, v3, vcc_lo
	v_cmp_gt_i32_e32 vcc_lo, 32, v5
	ds_bpermute_b32 v1, v2, v0
	v_lshlrev_b32_e32 v3, 2, v3
	v_cndmask_b32_e32 v5, v36, v5, vcc_lo
	v_cmp_eq_u32_e32 vcc_lo, 0, v25
	v_lshlrev_b32_e32 v6, 2, v5
	s_waitcnt lgkmcnt(0)
	v_max_f32_e32 v1, v1, v1
	v_max_f32_e32 v1, v4, v1
	ds_bpermute_b32 v4, v3, v1
	s_waitcnt lgkmcnt(0)
	v_max_f32_e32 v4, v4, v4
	v_max_f32_e32 v1, v1, v4
	s_waitcnt vmcnt(1)
	v_lshlrev_b32_e32 v4, 2, v46
	ds_bpermute_b32 v5, v6, v1
	s_and_saveexec_b32 s1, vcc_lo
	s_cbranch_execz .LBB312_534
; %bb.533:
	s_waitcnt lgkmcnt(0)
	v_max_f32_e32 v0, v5, v5
	v_max_f32_e32 v1, v1, v1
	;; [unrolled: 1-line block ×3, first 2 shown]
	ds_write_b32 v4, v0 offset:512
.LBB312_534:
	s_or_b32 exec_lo, exec_lo, s1
	v_cmp_gt_u32_e64 s1, 4, v25
	v_mov_b32_e32 v1, 0xff7fffff
	s_waitcnt lgkmcnt(0)
	v_lshlrev_b32_e32 v5, 2, v25
	s_waitcnt vmcnt(0)
	s_waitcnt_vscnt null, 0x0
	s_barrier
	buffer_gl0_inv
	s_and_saveexec_b32 s2, s1
; %bb.535:
	ds_read_b32 v1, v5 offset:512
; %bb.536:
	s_or_b32 exec_lo, exec_lo, s2
	v_xor_b32_e32 v0, 2, v36
	v_xor_b32_e32 v8, 1, v36
	v_mov_b32_e32 v9, 0
	v_cmp_gt_i32_e64 s2, 32, v0
	v_cndmask_b32_e64 v0, v36, v0, s2
	v_cmp_gt_i32_e64 s2, 32, v8
	v_lshlrev_b32_e32 v7, 2, v0
	v_cndmask_b32_e64 v8, v36, v8, s2
	s_lshl_b32 s2, s20, 3
	s_min_i32 s4, s2, s33
	s_waitcnt lgkmcnt(0)
	ds_bpermute_b32 v0, v7, v1
	v_max_f32_e32 v1, v1, v1
	v_lshlrev_b32_e32 v8, 2, v8
	v_cmp_gt_i32_e64 s2, s4, v13
	s_waitcnt lgkmcnt(0)
	v_max_f32_e32 v0, v0, v0
	v_max_f32_e32 v0, v1, v0
	ds_bpermute_b32 v1, v8, v0
	s_waitcnt lgkmcnt(0)
	v_max_f32_e32 v1, v1, v1
	v_max_f32_e32 v0, v0, v1
	v_lshl_add_u32 v1, v13, 2, 0x220
	ds_bpermute_b32 v10, v9, v0
	s_and_saveexec_b32 s5, s2
	s_cbranch_execz .LBB312_540
; %bb.537:
	v_lshl_add_u32 v11, v13, 2, 0x220
	v_mov_b32_e32 v9, 0
	v_mov_b32_e32 v12, v13
	s_mov_b32 s12, 0
	.p2align	6
.LBB312_538:                            ; =>This Inner Loop Header: Depth=1
	ds_read_b32 v0, v11
	v_add_nc_u32_e32 v12, 0x80, v12
	v_cmp_le_i32_e64 s3, s4, v12
	s_or_b32 s12, s3, s12
	s_waitcnt lgkmcnt(0)
	v_sub_f32_e32 v0, v0, v10
	v_mul_f32_e32 v0, 0x3fb8aa3b, v0
	v_exp_f32_e32 v0, v0
	ds_write_b32 v11, v0
	v_add_f32_e32 v9, v9, v0
	v_add_nc_u32_e32 v11, 0x200, v11
	s_andn2_b32 exec_lo, exec_lo, s12
	s_cbranch_execnz .LBB312_538
; %bb.539:
	s_or_b32 exec_lo, exec_lo, s12
.LBB312_540:
	s_or_b32 exec_lo, exec_lo, s5
	ds_bpermute_b32 v0, v2, v9
	s_waitcnt lgkmcnt(0)
	v_add_f32_e32 v0, v9, v0
	ds_bpermute_b32 v2, v3, v0
	s_waitcnt lgkmcnt(0)
	v_add_f32_e32 v0, v0, v2
	;; [unrolled: 3-line block ×5, first 2 shown]
	s_and_saveexec_b32 s3, vcc_lo
; %bb.541:
	ds_write_b32 v4, v2 offset:528
; %bb.542:
	s_or_b32 exec_lo, exec_lo, s3
	s_waitcnt lgkmcnt(0)
	s_barrier
	buffer_gl0_inv
	s_and_saveexec_b32 s3, s1
; %bb.543:
	ds_read_b32 v2, v5 offset:528
; %bb.544:
	s_or_b32 exec_lo, exec_lo, s3
	s_waitcnt lgkmcnt(0)
	ds_bpermute_b32 v0, v7, v2
	s_waitcnt lgkmcnt(0)
	v_add_f32_e32 v0, v2, v0
	ds_bpermute_b32 v2, v8, v0
	s_waitcnt lgkmcnt(0)
	v_add_f32_e32 v0, v0, v2
	v_mov_b32_e32 v2, 0
	ds_bpermute_b32 v2, v2, v0
	s_and_saveexec_b32 s1, s2
	s_cbranch_execz .LBB312_547
; %bb.545:
	s_waitcnt lgkmcnt(0)
	v_add_f32_e32 v0, 0x358637bd, v2
	s_mov_b32 s2, 0
	v_div_scale_f32 v2, null, v0, v0, 1.0
	v_div_scale_f32 v5, vcc_lo, 1.0, v0, 1.0
	v_rcp_f32_e32 v3, v2
	v_fma_f32 v4, -v2, v3, 1.0
	v_fmac_f32_e32 v3, v4, v3
	v_mul_f32_e32 v4, v5, v3
	v_fma_f32 v6, -v2, v4, v5
	v_fmac_f32_e32 v4, v6, v3
	v_fma_f32 v2, -v2, v4, v5
	v_div_fmas_f32 v2, v2, v3, v4
	v_mov_b32_e32 v3, v13
	v_div_fixup_f32 v2, v2, v0, 1.0
.LBB312_546:                            ; =>This Inner Loop Header: Depth=1
	ds_read_b32 v0, v1
	v_add_nc_u32_e32 v3, 0x80, v3
	v_cmp_le_i32_e32 vcc_lo, s4, v3
	s_or_b32 s2, vcc_lo, s2
	s_waitcnt lgkmcnt(0)
	v_mul_f32_e32 v0, v2, v0
	ds_write_b32 v1, v0
	v_add_nc_u32_e32 v1, 0x200, v1
	s_andn2_b32 exec_lo, exec_lo, s2
	s_cbranch_execnz .LBB312_546
.LBB312_547:
	s_or_b32 exec_lo, exec_lo, s1
	v_mov_b32_e32 v29, 0
	v_mov_b32_e32 v28, 0
	;; [unrolled: 1-line block ×8, first 2 shown]
	s_waitcnt lgkmcnt(0)
	s_barrier
	buffer_gl0_inv
	s_and_saveexec_b32 s1, s0
	s_cbranch_execz .LBB312_1049
; %bb.548:
	s_sub_i32 s4, s34, s21
	s_ashr_i32 s0, s18, 31
	s_add_u32 s18, s30, s18
	s_addc_u32 s0, s31, s0
	s_abs_i32 s5, s22
	v_lshlrev_b32_e32 v1, 3, v25
	v_cvt_f32_u32_e32 v0, s5
	s_sub_i32 s2, 0, s5
	v_and_b32_e32 v2, 0x7c, v14
	s_mov_b32 s12, s17
	v_add_co_u32 v11, s17, s18, v1
	v_rcp_iflag_f32_e32 v0, v0
	s_add_i32 s13, s20, -1
	v_add_co_ci_u32_e64 v12, null, s0, 0, s17
	v_mov_b32_e32 v109, v13
	v_mov_b32_e32 v10, 0
	v_lshl_add_u32 v30, v46, 5, 0x220
	v_mov_b32_e32 v31, 0x80
	v_mov_b32_e32 v32, 0xffff
	;; [unrolled: 1-line block ×3, first 2 shown]
	v_mul_f32_e32 v0, 0x4f7ffffe, v0
	v_mov_b32_e32 v36, 7
	v_mov_b32_e32 v37, 24
	;; [unrolled: 1-line block ×4, first 2 shown]
	v_cvt_u32_f32_e32 v0, v0
	v_mov_b32_e32 v23, 0
	v_mov_b32_e32 v24, 0
	;; [unrolled: 1-line block ×4, first 2 shown]
	v_mul_lo_u32 v3, s2, v0
	s_lshl_b64 s[2:3], s[28:29], 2
	v_mov_b32_e32 v28, 0
	s_add_u32 s0, s26, s2
	s_addc_u32 s2, s27, s3
	v_add_co_u32 v13, s0, s0, v2
	v_mov_b32_e32 v29, 0
	v_mul_hi_u32 v3, v0, v3
	v_add_co_ci_u32_e64 v14, null, s2, 0, s0
	v_mov_b32_e32 v110, v46
	v_mov_b32_e32 v39, v46
	s_mov_b32 s2, -1
	s_mov_b32 s3, 0xffffff
	s_mov_b32 s17, 0
	v_add_nc_u32_e32 v38, v0, v3
	s_branch .LBB312_551
.LBB312_549:                            ;   in Loop: Header=BB312_551 Depth=1
	s_or_b32 exec_lo, exec_lo, s0
	v_bfe_u32 v0, v5, 16, 1
	v_or_b32_e32 v33, 0x400000, v5
	v_bfe_u32 v53, v6, 16, 1
	v_cmp_u_f32_e32 vcc_lo, v5, v5
	v_bfe_u32 v54, v7, 16, 1
	v_add3_u32 v0, v0, v5, 0x7fff
	v_or_b32_e32 v55, 0x400000, v6
	v_add3_u32 v53, v53, v6, 0x7fff
	v_or_b32_e32 v56, 0x400000, v7
	v_add3_u32 v54, v54, v7, 0x7fff
	v_cndmask_b32_e32 v0, v0, v33, vcc_lo
	v_cmp_u_f32_e32 vcc_lo, v6, v6
	v_bfe_u32 v5, v8, 16, 1
	v_bfe_u32 v33, v1, 16, 1
	v_lshlrev_b32_e32 v80, 16, v80
	v_lshlrev_b32_e32 v79, 16, v79
	v_cndmask_b32_e32 v6, v53, v55, vcc_lo
	v_cmp_u_f32_e32 vcc_lo, v7, v7
	v_add3_u32 v5, v5, v8, 0x7fff
	v_or_b32_e32 v53, 0x400000, v8
	v_add3_u32 v33, v33, v1, 0x7fff
	v_bfe_u32 v55, v2, 16, 1
	v_cndmask_b32_e32 v7, v54, v56, vcc_lo
	v_cmp_u_f32_e32 vcc_lo, v8, v8
	v_or_b32_e32 v54, 0x400000, v1
	v_lshlrev_b32_e32 v56, 16, v100
	v_lshlrev_b32_e32 v83, 16, v83
	;; [unrolled: 1-line block ×3, first 2 shown]
	v_cndmask_b32_e32 v5, v5, v53, vcc_lo
	v_cmp_u_f32_e32 vcc_lo, v1, v1
	v_or_b32_e32 v53, 0x400000, v2
	v_and_b32_e32 v1, 0xffff0000, v6
	v_lshlrev_b32_e32 v6, 16, v103
	v_and_b32_e32 v5, 0xffff0000, v5
	v_cndmask_b32_e32 v8, v33, v54, vcc_lo
	v_add3_u32 v33, v55, v2, 0x7fff
	v_bfe_u32 v54, v3, 16, 1
	v_cmp_u_f32_e32 vcc_lo, v2, v2
	v_bfe_u32 v55, v4, 16, 1
	v_mul_f32_e32 v6, v1, v6
	v_and_b32_e32 v2, 0xffff0000, v0
	v_lshlrev_b32_e32 v0, 16, v102
	v_cndmask_b32_e32 v33, v33, v53, vcc_lo
	v_add3_u32 v53, v54, v3, 0x7fff
	v_or_b32_e32 v54, 0x400000, v3
	v_cmp_u_f32_e32 vcc_lo, v3, v3
	v_add3_u32 v3, v55, v4, 0x7fff
	v_bfe_u32 v55, v6, 16, 1
	v_mul_f32_e32 v0, v2, v0
	v_mul_f32_e32 v56, v5, v56
	v_cndmask_b32_e32 v53, v53, v54, vcc_lo
	v_or_b32_e32 v54, 0x400000, v4
	v_cmp_u_f32_e32 vcc_lo, v4, v4
	v_bfe_u32 v57, v0, 16, 1
	v_and_b32_e32 v4, 0xffff0000, v7
	v_lshlrev_b32_e32 v7, 16, v101
	v_bfe_u32 v58, v56, 16, 1
	v_cndmask_b32_e32 v3, v3, v54, vcc_lo
	v_add3_u32 v54, v55, v6, 0x7fff
	v_or_b32_e32 v55, 0x400000, v6
	v_cmp_u_f32_e32 vcc_lo, v6, v6
	v_mul_f32_e32 v59, v4, v7
	v_and_b32_e32 v6, 0xffff0000, v33
	v_lshlrev_b32_e32 v7, 16, v95
	v_add3_u32 v33, v58, v56, 0x7fff
	v_cndmask_b32_e32 v54, v54, v55, vcc_lo
	v_add3_u32 v55, v57, v0, 0x7fff
	v_or_b32_e32 v57, 0x400000, v0
	v_cmp_u_f32_e32 vcc_lo, v0, v0
	v_mul_f32_e32 v58, v6, v7
	v_and_b32_e32 v7, 0xffff0000, v8
	v_lshlrev_b32_e32 v8, 16, v20
	v_and_b32_e32 v3, 0xffff0000, v3
	v_cndmask_b32_e32 v0, v55, v57, vcc_lo
	v_or_b32_e32 v55, 0x400000, v56
	v_bfe_u32 v57, v59, 16, 1
	v_cmp_u_f32_e32 vcc_lo, v56, v56
	v_bfe_u32 v56, v58, 16, 1
	v_or_b32_e32 v95, 0x400000, v58
	v_and_b32_e32 v0, 0xffff0000, v0
	v_and_b32_e32 v54, 0xffff0000, v54
	v_cndmask_b32_e32 v20, v33, v55, vcc_lo
	v_add3_u32 v33, v57, v59, 0x7fff
	v_mul_f32_e32 v57, v7, v8
	v_lshlrev_b32_e32 v8, 16, v99
	v_or_b32_e32 v55, 0x400000, v59
	v_cmp_u_f32_e32 vcc_lo, v59, v59
	v_and_b32_e32 v20, 0xffff0000, v20
	v_add_f32_e32 v0, v0, v54
	v_mul_f32_e32 v59, v3, v8
	v_and_b32_e32 v8, 0xffff0000, v53
	v_lshlrev_b32_e32 v53, 16, v98
	v_cndmask_b32_e32 v33, v33, v55, vcc_lo
	v_add3_u32 v55, v56, v58, 0x7fff
	v_bfe_u32 v56, v57, 16, 1
	v_cmp_u_f32_e32 vcc_lo, v58, v58
	v_mul_f32_e32 v53, v8, v53
	v_or_b32_e32 v98, 0x400000, v57
	v_bfe_u32 v99, v59, 16, 1
	v_add3_u32 v56, v56, v57, 0x7fff
	v_cndmask_b32_e32 v55, v55, v95, vcc_lo
	v_cmp_u_f32_e32 vcc_lo, v57, v57
	v_bfe_u32 v58, v53, 16, 1
	v_and_b32_e32 v33, 0xffff0000, v33
	v_add3_u32 v57, v99, v59, 0x7fff
	v_or_b32_e32 v95, 0x400000, v59
	v_cndmask_b32_e32 v56, v56, v98, vcc_lo
	v_add3_u32 v58, v58, v53, 0x7fff
	v_or_b32_e32 v98, 0x400000, v53
	v_cmp_u_f32_e32 vcc_lo, v53, v53
	v_add_f32_e32 v20, v33, v20
	v_and_b32_e32 v33, 0xffff0000, v56
	v_and_b32_e32 v54, 0xffff0000, v55
	v_mul_f32_e32 v80, v6, v80
	v_cndmask_b32_e32 v53, v58, v98, vcc_lo
	v_cmp_u_f32_e32 vcc_lo, v59, v59
	v_add_f32_e32 v0, v20, v0
	v_add_f32_e32 v20, v33, v54
	v_lshlrev_b32_e32 v33, 16, v94
	v_and_b32_e32 v53, 0xffff0000, v53
	v_cndmask_b32_e32 v55, v57, v95, vcc_lo
	v_lshlrev_b32_e32 v54, 16, v93
	v_add_f32_e32 v0, v20, v0
	v_mul_f32_e32 v33, v1, v33
	v_lshlrev_b32_e32 v59, 16, v92
	v_and_b32_e32 v55, 0xffff0000, v55
	v_mul_f32_e32 v20, v2, v54
	v_lshlrev_b32_e32 v54, 16, v90
	v_cmp_u_f32_e32 vcc_lo, v33, v33
	v_mul_f32_e32 v79, v7, v79
	v_add_f32_e32 v53, v53, v55
	v_bfe_u32 v55, v33, 16, 1
	v_bfe_u32 v56, v20, 16, 1
	v_or_b32_e32 v57, 0x400000, v20
	v_mul_f32_e32 v81, v8, v81
	v_add_f32_e32 v0, v53, v0
	v_mul_f32_e32 v53, v5, v54
	v_add3_u32 v54, v55, v33, 0x7fff
	v_or_b32_e32 v55, 0x400000, v33
	v_add3_u32 v56, v56, v20, 0x7fff
	v_add_f32_e32 v22, v22, v0
	v_bfe_u32 v58, v53, 16, 1
	v_lshlrev_b32_e32 v65, 16, v65
	v_cndmask_b32_e32 v33, v54, v55, vcc_lo
	v_cmp_u_f32_e32 vcc_lo, v20, v20
	v_mul_f32_e32 v54, v4, v59
	v_add3_u32 v55, v58, v53, 0x7fff
	v_lshlrev_b32_e32 v58, 16, v88
	v_and_b32_e32 v33, 0xffff0000, v33
	v_cndmask_b32_e32 v20, v56, v57, vcc_lo
	v_or_b32_e32 v56, 0x400000, v53
	v_lshlrev_b32_e32 v57, 16, v87
	v_cmp_u_f32_e32 vcc_lo, v53, v53
	v_bfe_u32 v59, v54, 16, 1
	v_and_b32_e32 v20, 0xffff0000, v20
	v_lshlrev_b32_e32 v60, 16, v60
	v_lshlrev_b32_e32 v48, 16, v48
	v_cndmask_b32_e32 v53, v55, v56, vcc_lo
	v_mul_f32_e32 v55, v6, v57
	v_mul_f32_e32 v56, v7, v58
	v_add3_u32 v57, v59, v54, 0x7fff
	v_or_b32_e32 v58, 0x400000, v54
	v_lshlrev_b32_e32 v59, 16, v91
	v_bfe_u32 v87, v55, 16, 1
	v_cmp_u_f32_e32 vcc_lo, v54, v54
	v_bfe_u32 v88, v56, 16, 1
	v_and_b32_e32 v53, 0xffff0000, v53
	v_add_f32_e32 v20, v20, v33
	v_lshlrev_b32_e32 v49, 16, v49
	v_cndmask_b32_e32 v54, v57, v58, vcc_lo
	v_mul_f32_e32 v57, v3, v59
	v_add3_u32 v58, v87, v55, 0x7fff
	v_or_b32_e32 v59, 0x400000, v55
	v_cmp_u_f32_e32 vcc_lo, v55, v55
	v_add3_u32 v87, v88, v56, 0x7fff
	v_or_b32_e32 v88, 0x400000, v56
	v_bfe_u32 v90, v57, 16, 1
	v_and_b32_e32 v54, 0xffff0000, v54
	v_cndmask_b32_e32 v55, v58, v59, vcc_lo
	v_lshlrev_b32_e32 v58, 16, v89
	v_cmp_u_f32_e32 vcc_lo, v56, v56
	v_add3_u32 v59, v90, v57, 0x7fff
	v_add_f32_e32 v33, v54, v53
	v_lshlrev_b32_e32 v54, 16, v86
	v_mul_f32_e32 v58, v8, v58
	v_cndmask_b32_e32 v56, v87, v88, vcc_lo
	v_or_b32_e32 v87, 0x400000, v57
	v_cmp_u_f32_e32 vcc_lo, v57, v57
	v_and_b32_e32 v55, 0xffff0000, v55
	v_add_f32_e32 v20, v33, v20
	v_and_b32_e32 v53, 0xffff0000, v56
	v_mul_f32_e32 v33, v1, v54
	v_cndmask_b32_e32 v57, v59, v87, vcc_lo
	v_bfe_u32 v59, v58, 16, 1
	v_lshlrev_b32_e32 v54, 16, v85
	v_add_f32_e32 v53, v53, v55
	v_cmp_u_f32_e32 vcc_lo, v58, v58
	v_bfe_u32 v86, v81, 16, 1
	v_add3_u32 v56, v59, v58, 0x7fff
	v_or_b32_e32 v59, 0x400000, v58
	v_add_f32_e32 v20, v53, v20
	v_mul_f32_e32 v53, v2, v54
	v_lshlrev_b32_e32 v54, 16, v82
	v_or_b32_e32 v58, 0x400000, v33
	v_cndmask_b32_e32 v55, v56, v59, vcc_lo
	v_bfe_u32 v56, v33, 16, 1
	v_bfe_u32 v59, v53, 16, 1
	v_mul_f32_e32 v54, v5, v54
	v_lshlrev_b32_e32 v82, 16, v84
	v_cmp_u_f32_e32 vcc_lo, v33, v33
	v_add3_u32 v56, v56, v33, 0x7fff
	v_or_b32_e32 v84, 0x400000, v79
	v_and_b32_e32 v55, 0xffff0000, v55
	v_mul_f32_e32 v82, v4, v82
	v_and_b32_e32 v57, 0xffff0000, v57
	v_cndmask_b32_e32 v33, v56, v58, vcc_lo
	v_add3_u32 v56, v59, v53, 0x7fff
	v_or_b32_e32 v58, 0x400000, v53
	v_bfe_u32 v59, v54, 16, 1
	v_cmp_u_f32_e32 vcc_lo, v53, v53
	v_and_b32_e32 v33, 0xffff0000, v33
	v_add_f32_e32 v55, v55, v57
	v_lshlrev_b32_e32 v57, 16, v77
	v_mul_f32_e32 v48, v6, v48
	v_cndmask_b32_e32 v53, v56, v58, vcc_lo
	v_add3_u32 v56, v59, v54, 0x7fff
	v_or_b32_e32 v58, 0x400000, v54
	v_bfe_u32 v59, v82, 16, 1
	v_cmp_u_f32_e32 vcc_lo, v54, v54
	v_and_b32_e32 v53, 0xffff0000, v53
	v_add_f32_e32 v20, v55, v20
	v_mul_f32_e32 v55, v2, v57
	v_lshlrev_b32_e32 v57, 16, v76
	v_cndmask_b32_e32 v54, v56, v58, vcc_lo
	v_add3_u32 v56, v59, v82, 0x7fff
	v_or_b32_e32 v58, 0x400000, v82
	v_bfe_u32 v59, v80, 16, 1
	v_cmp_u_f32_e32 vcc_lo, v82, v82
	v_mul_f32_e32 v82, v3, v83
	v_or_b32_e32 v83, 0x400000, v80
	v_and_b32_e32 v54, 0xffff0000, v54
	v_add3_u32 v59, v59, v80, 0x7fff
	v_cndmask_b32_e32 v56, v56, v58, vcc_lo
	v_bfe_u32 v58, v79, 16, 1
	v_cmp_u_f32_e32 vcc_lo, v80, v80
	v_bfe_u32 v85, v82, 16, 1
	v_add3_u32 v80, v86, v81, 0x7fff
	v_and_b32_e32 v56, 0xffff0000, v56
	v_add3_u32 v58, v58, v79, 0x7fff
	v_cndmask_b32_e32 v59, v59, v83, vcc_lo
	v_cmp_u_f32_e32 vcc_lo, v79, v79
	v_or_b32_e32 v83, 0x400000, v81
	v_add3_u32 v79, v85, v82, 0x7fff
	v_add_f32_e32 v33, v53, v33
	v_add_f32_e32 v53, v56, v54
	v_cndmask_b32_e32 v58, v58, v84, vcc_lo
	v_cmp_u_f32_e32 vcc_lo, v81, v81
	v_or_b32_e32 v84, 0x400000, v82
	v_and_b32_e32 v56, 0xffff0000, v59
	v_add_f32_e32 v33, v53, v33
	v_and_b32_e32 v54, 0xffff0000, v58
	v_cndmask_b32_e32 v80, v80, v83, vcc_lo
	v_cmp_u_f32_e32 vcc_lo, v82, v82
	v_add_f32_e32 v23, v23, v20
	v_bfe_u32 v20, v55, 16, 1
	v_add_f32_e32 v53, v54, v56
	v_and_b32_e32 v54, 0xffff0000, v80
	v_cndmask_b32_e32 v58, v79, v84, vcc_lo
	v_lshlrev_b32_e32 v59, 16, v75
	v_add3_u32 v20, v20, v55, 0x7fff
	v_add_f32_e32 v33, v53, v33
	v_mul_f32_e32 v49, v7, v49
	v_and_b32_e32 v56, 0xffff0000, v58
	v_lshlrev_b32_e32 v58, 16, v78
	v_lshlrev_b32_e32 v52, 16, v52
	;; [unrolled: 1-line block ×4, first 2 shown]
	v_add_f32_e32 v53, v54, v56
	v_mul_f32_e32 v54, v1, v58
	v_or_b32_e32 v56, 0x400000, v55
	v_mul_f32_e32 v52, v3, v52
	v_mul_f32_e32 v50, v8, v50
	v_add_f32_e32 v0, v53, v33
	v_bfe_u32 v33, v54, 16, 1
	v_lshlrev_b32_e32 v53, 16, v74
	v_cmp_u_f32_e32 vcc_lo, v54, v54
	v_lshlrev_b32_e32 v46, 16, v46
	v_add_f32_e32 v24, v24, v0
	v_add3_u32 v0, v33, v54, 0x7fff
	v_or_b32_e32 v33, 0x400000, v54
	v_mul_f32_e32 v53, v5, v53
	v_mul_f32_e32 v54, v4, v57
	v_lshlrev_b32_e32 v57, 16, v72
	v_lshlrev_b32_e32 v43, 16, v43
	v_cndmask_b32_e32 v0, v0, v33, vcc_lo
	v_bfe_u32 v33, v53, 16, 1
	v_cmp_u_f32_e32 vcc_lo, v55, v55
	v_lshlrev_b32_e32 v55, 16, v71
	v_bfe_u32 v58, v54, 16, 1
	v_and_b32_e32 v0, 0xffff0000, v0
	v_add3_u32 v33, v33, v53, 0x7fff
	v_cndmask_b32_e32 v20, v20, v56, vcc_lo
	v_or_b32_e32 v56, 0x400000, v53
	v_mul_f32_e32 v55, v6, v55
	v_cmp_u_f32_e32 vcc_lo, v53, v53
	v_mul_f32_e32 v53, v7, v57
	v_or_b32_e32 v57, 0x400000, v54
	v_and_b32_e32 v20, 0xffff0000, v20
	v_mul_f32_e32 v46, v2, v46
	v_cndmask_b32_e32 v33, v33, v56, vcc_lo
	v_add3_u32 v56, v58, v54, 0x7fff
	v_bfe_u32 v58, v55, 16, 1
	v_bfe_u32 v71, v53, 16, 1
	v_cmp_u_f32_e32 vcc_lo, v54, v54
	v_or_b32_e32 v72, 0x400000, v53
	v_and_b32_e32 v33, 0xffff0000, v33
	v_add_f32_e32 v0, v20, v0
	v_mul_f32_e32 v43, v5, v43
	v_cndmask_b32_e32 v54, v56, v57, vcc_lo
	v_add3_u32 v56, v58, v55, 0x7fff
	v_mul_f32_e32 v57, v3, v59
	v_or_b32_e32 v58, 0x400000, v55
	v_add3_u32 v59, v71, v53, 0x7fff
	v_lshlrev_b32_e32 v71, 16, v73
	v_cmp_u_f32_e32 vcc_lo, v55, v55
	v_bfe_u32 v73, v57, 16, 1
	v_and_b32_e32 v54, 0xffff0000, v54
	v_lshlrev_b32_e32 v45, 16, v45
	v_lshlrev_b32_e32 v41, 16, v41
	v_cndmask_b32_e32 v55, v56, v58, vcc_lo
	v_mul_f32_e32 v56, v8, v71
	v_cmp_u_f32_e32 vcc_lo, v53, v53
	v_add3_u32 v58, v73, v57, 0x7fff
	v_add_f32_e32 v20, v54, v33
	v_lshlrev_b32_e32 v54, 16, v70
	v_bfe_u32 v71, v56, 16, 1
	v_cndmask_b32_e32 v53, v59, v72, vcc_lo
	v_or_b32_e32 v59, 0x400000, v57
	v_cmp_u_f32_e32 vcc_lo, v57, v57
	v_mul_f32_e32 v54, v1, v54
	v_add_f32_e32 v0, v20, v0
	v_and_b32_e32 v33, 0xffff0000, v53
	v_and_b32_e32 v53, 0xffff0000, v55
	v_cndmask_b32_e32 v57, v58, v59, vcc_lo
	v_add3_u32 v58, v71, v56, 0x7fff
	v_or_b32_e32 v59, 0x400000, v56
	v_cmp_u_f32_e32 vcc_lo, v56, v56
	v_lshlrev_b32_e32 v55, 16, v69
	v_add_f32_e32 v20, v33, v53
	v_mul_f32_e32 v45, v4, v45
	v_mul_f32_e32 v41, v6, v41
	v_cndmask_b32_e32 v56, v58, v59, vcc_lo
	v_mul_f32_e32 v33, v2, v55
	v_and_b32_e32 v55, 0xffff0000, v57
	v_lshlrev_b32_e32 v57, 16, v66
	v_add_f32_e32 v20, v20, v0
	v_and_b32_e32 v53, 0xffff0000, v56
	v_bfe_u32 v56, v54, 16, 1
	v_bfe_u32 v0, v33, 16, 1
	v_mul_f32_e32 v57, v5, v57
	v_lshlrev_b32_e32 v59, 16, v68
	v_add_f32_e32 v53, v53, v55
	v_add3_u32 v55, v56, v54, 0x7fff
	v_or_b32_e32 v56, 0x400000, v54
	v_cmp_u_f32_e32 vcc_lo, v54, v54
	v_add3_u32 v0, v0, v33, 0x7fff
	v_or_b32_e32 v58, 0x400000, v33
	v_lshlrev_b32_e32 v40, 16, v40
	v_lshlrev_b32_e32 v44, 16, v44
	v_cndmask_b32_e32 v54, v55, v56, vcc_lo
	v_bfe_u32 v55, v57, 16, 1
	v_cmp_u_f32_e32 vcc_lo, v33, v33
	v_mul_f32_e32 v33, v4, v59
	v_lshlrev_b32_e32 v56, 16, v63
	v_lshlrev_b32_e32 v59, 16, v64
	v_add3_u32 v55, v55, v57, 0x7fff
	v_cndmask_b32_e32 v0, v0, v58, vcc_lo
	v_or_b32_e32 v58, 0x400000, v57
	v_bfe_u32 v63, v33, 16, 1
	v_mul_f32_e32 v56, v6, v56
	v_cmp_u_f32_e32 vcc_lo, v57, v57
	v_mul_f32_e32 v57, v7, v59
	v_or_b32_e32 v59, 0x400000, v33
	v_lshlrev_b32_e32 v64, 16, v67
	v_and_b32_e32 v0, 0xffff0000, v0
	v_cndmask_b32_e32 v55, v55, v58, vcc_lo
	v_add3_u32 v58, v63, v33, 0x7fff
	v_bfe_u32 v63, v56, 16, 1
	v_cmp_u_f32_e32 vcc_lo, v33, v33
	v_bfe_u32 v66, v57, 16, 1
	v_and_b32_e32 v54, 0xffff0000, v54
	v_and_b32_e32 v55, 0xffff0000, v55
	v_mul_f32_e32 v40, v7, v40
	v_cndmask_b32_e32 v33, v58, v59, vcc_lo
	v_add3_u32 v58, v63, v56, 0x7fff
	v_mul_f32_e32 v59, v3, v64
	v_or_b32_e32 v63, 0x400000, v56
	v_cmp_u_f32_e32 vcc_lo, v56, v56
	v_add3_u32 v64, v66, v57, 0x7fff
	v_or_b32_e32 v66, 0x400000, v57
	v_bfe_u32 v67, v59, 16, 1
	v_and_b32_e32 v33, 0xffff0000, v33
	v_cndmask_b32_e32 v56, v58, v63, vcc_lo
	v_mul_f32_e32 v58, v8, v65
	v_cmp_u_f32_e32 vcc_lo, v57, v57
	v_add3_u32 v63, v67, v59, 0x7fff
	v_add_f32_e32 v0, v0, v54
	v_add_f32_e32 v33, v33, v55
	v_bfe_u32 v65, v58, 16, 1
	v_cndmask_b32_e32 v57, v64, v66, vcc_lo
	v_or_b32_e32 v64, 0x400000, v59
	v_cmp_u_f32_e32 vcc_lo, v59, v59
	v_and_b32_e32 v55, 0xffff0000, v56
	v_lshlrev_b32_e32 v56, 16, v62
	v_and_b32_e32 v54, 0xffff0000, v57
	v_add_f32_e32 v0, v33, v0
	v_cndmask_b32_e32 v59, v63, v64, vcc_lo
	v_add3_u32 v63, v65, v58, 0x7fff
	v_or_b32_e32 v64, 0x400000, v58
	v_cmp_u_f32_e32 vcc_lo, v58, v58
	v_lshlrev_b32_e32 v58, 16, v61
	v_add_f32_e32 v33, v54, v55
	v_mul_f32_e32 v55, v1, v56
	v_mul_f32_e32 v44, v3, v44
	v_cndmask_b32_e32 v57, v63, v64, vcc_lo
	v_mul_f32_e32 v56, v2, v58
	v_lshlrev_b32_e32 v58, 16, v51
	v_add_f32_e32 v51, v33, v0
	v_cmp_u_f32_e32 vcc_lo, v55, v55
	v_and_b32_e32 v54, 0xffff0000, v57
	v_and_b32_e32 v57, 0xffff0000, v59
	v_bfe_u32 v59, v55, 16, 1
	v_bfe_u32 v0, v56, 16, 1
	v_mul_f32_e32 v33, v5, v58
	v_or_b32_e32 v58, 0x400000, v55
	v_add_f32_e32 v54, v54, v57
	v_add3_u32 v57, v59, v55, 0x7fff
	v_add3_u32 v0, v0, v56, 0x7fff
	v_or_b32_e32 v59, 0x400000, v56
	v_bfe_u32 v61, v33, 16, 1
	v_lshlrev_b32_e32 v42, 16, v42
	v_cndmask_b32_e32 v55, v57, v58, vcc_lo
	v_cmp_u_f32_e32 vcc_lo, v56, v56
	v_mul_f32_e32 v56, v4, v60
	v_add3_u32 v57, v61, v33, 0x7fff
	v_or_b32_e32 v58, 0x400000, v33
	v_bfe_u32 v60, v49, 16, 1
	v_cndmask_b32_e32 v0, v0, v59, vcc_lo
	v_bfe_u32 v59, v56, 16, 1
	v_cmp_u_f32_e32 vcc_lo, v33, v33
	v_bfe_u32 v61, v52, 16, 1
	v_and_b32_e32 v55, 0xffff0000, v55
	v_and_b32_e32 v0, 0xffff0000, v0
	v_mul_f32_e32 v42, v8, v42
	v_cndmask_b32_e32 v33, v57, v58, vcc_lo
	v_add3_u32 v57, v59, v56, 0x7fff
	v_or_b32_e32 v58, 0x400000, v56
	v_bfe_u32 v59, v48, 16, 1
	v_cmp_u_f32_e32 vcc_lo, v56, v56
	v_and_b32_e32 v33, 0xffff0000, v33
	v_add_f32_e32 v0, v0, v55
	v_lshlrev_b32_e32 v17, 16, v17
	v_lshlrev_b32_e32 v15, 16, v15
	v_cndmask_b32_e32 v56, v57, v58, vcc_lo
	v_add3_u32 v57, v59, v48, 0x7fff
	v_or_b32_e32 v58, 0x400000, v48
	v_cmp_u_f32_e32 vcc_lo, v48, v48
	v_add3_u32 v59, v60, v49, 0x7fff
	v_or_b32_e32 v60, 0x400000, v49
	v_and_b32_e32 v56, 0xffff0000, v56
	v_mul_f32_e32 v5, v5, v17
	v_cndmask_b32_e32 v48, v57, v58, vcc_lo
	v_cmp_u_f32_e32 vcc_lo, v49, v49
	v_add3_u32 v57, v61, v52, 0x7fff
	v_or_b32_e32 v58, 0x400000, v52
	v_add_f32_e32 v33, v56, v33
	v_and_b32_e32 v48, 0xffff0000, v48
	v_cndmask_b32_e32 v49, v59, v60, vcc_lo
	v_cmp_u_f32_e32 vcc_lo, v52, v52
	v_or_b32_e32 v56, 0x400000, v50
	v_add_f32_e32 v0, v33, v0
	v_mul_f32_e32 v33, v1, v47
	v_and_b32_e32 v49, 0xffff0000, v49
	v_cndmask_b32_e32 v52, v57, v58, vcc_lo
	v_bfe_u32 v57, v50, 16, 1
	v_cmp_u_f32_e32 vcc_lo, v50, v50
	v_lshlrev_b32_e32 v17, 16, v19
	v_add_f32_e32 v47, v49, v48
	v_bfe_u32 v49, v33, 16, 1
	v_add3_u32 v55, v57, v50, 0x7fff
	v_and_b32_e32 v50, 0xffff0000, v52
	v_bfe_u32 v52, v46, 16, 1
	v_add_f32_e32 v0, v47, v0
	v_mul_f32_e32 v4, v4, v17
	v_cndmask_b32_e32 v48, v55, v56, vcc_lo
	v_cmp_u_f32_e32 vcc_lo, v33, v33
	v_or_b32_e32 v55, 0x400000, v43
	v_mul_f32_e32 v6, v6, v15
	v_lshlrev_b32_e32 v9, 16, v9
	v_and_b32_e32 v47, 0xffff0000, v48
	v_add3_u32 v48, v49, v33, 0x7fff
	v_or_b32_e32 v49, 0x400000, v33
	v_lshlrev_b32_e32 v16, 16, v16
	v_mul_f32_e32 v7, v7, v9
	v_lshlrev_b32_e32 v9, 16, v18
	v_cndmask_b32_e32 v33, v48, v49, vcc_lo
	v_bfe_u32 v48, v43, 16, 1
	v_add3_u32 v49, v52, v46, 0x7fff
	v_or_b32_e32 v52, 0x400000, v46
	v_cmp_u_f32_e32 vcc_lo, v46, v46
	v_and_b32_e32 v33, 0xffff0000, v33
	v_add3_u32 v48, v48, v43, 0x7fff
	v_mul_f32_e32 v3, v3, v9
	v_mul_f32_e32 v8, v8, v16
	v_cndmask_b32_e32 v46, v49, v52, vcc_lo
	v_bfe_u32 v49, v45, 16, 1
	v_cmp_u_f32_e32 vcc_lo, v43, v43
	v_or_b32_e32 v52, 0x400000, v45
	v_or_b32_e32 v9, 0x400000, v6
	v_and_b32_e32 v46, 0xffff0000, v46
	v_add3_u32 v49, v49, v45, 0x7fff
	v_cndmask_b32_e32 v43, v48, v55, vcc_lo
	v_bfe_u32 v48, v41, 16, 1
	v_cmp_u_f32_e32 vcc_lo, v45, v45
	v_or_b32_e32 v55, 0x400000, v41
	v_add_f32_e32 v33, v46, v33
	v_and_b32_e32 v43, 0xffff0000, v43
	v_add3_u32 v48, v48, v41, 0x7fff
	v_cndmask_b32_e32 v45, v49, v52, vcc_lo
	v_bfe_u32 v49, v40, 16, 1
	v_cmp_u_f32_e32 vcc_lo, v41, v41
	v_bfe_u32 v52, v44, 16, 1
	v_or_b32_e32 v16, 0x400000, v7
	v_and_b32_e32 v45, 0xffff0000, v45
	v_bfe_u32 v18, v3, 16, 1
	v_cndmask_b32_e32 v41, v48, v55, vcc_lo
	v_add3_u32 v48, v49, v40, 0x7fff
	v_or_b32_e32 v49, 0x400000, v40
	v_cmp_u_f32_e32 vcc_lo, v40, v40
	v_add3_u32 v52, v52, v44, 0x7fff
	v_or_b32_e32 v55, 0x400000, v44
	v_add_f32_e32 v43, v45, v43
	v_lshlrev_b32_e32 v45, 16, v96
	v_cndmask_b32_e32 v40, v48, v49, vcc_lo
	v_cmp_u_f32_e32 vcc_lo, v44, v44
	v_bfe_u32 v48, v42, 16, 1
	v_or_b32_e32 v49, 0x400000, v42
	v_and_b32_e32 v41, 0xffff0000, v41
	v_and_b32_e32 v40, 0xffff0000, v40
	v_cndmask_b32_e32 v44, v52, v55, vcc_lo
	v_lshlrev_b32_e32 v52, 16, v97
	v_add3_u32 v48, v48, v42, 0x7fff
	v_cmp_u_f32_e32 vcc_lo, v42, v42
	v_add_f32_e32 v33, v43, v33
	v_mul_f32_e32 v2, v2, v45
	v_mul_f32_e32 v1, v1, v52
	v_add_f32_e32 v40, v40, v41
	v_cndmask_b32_e32 v42, v48, v49, vcc_lo
	v_bfe_u32 v45, v2, 16, 1
	v_bfe_u32 v43, v1, 16, 1
	v_cmp_u_f32_e32 vcc_lo, v1, v1
	v_and_b32_e32 v41, 0xffff0000, v42
	v_add3_u32 v19, v45, v2, 0x7fff
	v_add3_u32 v42, v43, v1, 0x7fff
	v_or_b32_e32 v43, 0x400000, v1
	v_cndmask_b32_e32 v1, v42, v43, vcc_lo
	v_or_b32_e32 v42, 0x400000, v2
	v_bfe_u32 v43, v5, 16, 1
	v_cmp_u_f32_e32 vcc_lo, v2, v2
	v_and_b32_e32 v1, 0xffff0000, v1
	v_add3_u32 v17, v43, v5, 0x7fff
	v_cndmask_b32_e32 v2, v19, v42, vcc_lo
	v_or_b32_e32 v19, 0x400000, v5
	v_bfe_u32 v42, v4, 16, 1
	v_cmp_u_f32_e32 vcc_lo, v5, v5
	v_and_b32_e32 v2, 0xffff0000, v2
	v_add3_u32 v15, v42, v4, 0x7fff
	v_cndmask_b32_e32 v5, v17, v19, vcc_lo
	v_or_b32_e32 v17, 0x400000, v4
	v_bfe_u32 v19, v6, 16, 1
	v_cmp_u_f32_e32 vcc_lo, v4, v4
	v_add_f32_e32 v1, v2, v1
	v_and_b32_e32 v5, 0xffff0000, v5
	v_cndmask_b32_e32 v4, v15, v17, vcc_lo
	v_bfe_u32 v15, v7, 16, 1
	v_add3_u32 v17, v19, v6, 0x7fff
	v_cmp_u_f32_e32 vcc_lo, v6, v6
	v_bfe_u32 v19, v8, 16, 1
	v_and_b32_e32 v4, 0xffff0000, v4
	v_add3_u32 v15, v15, v7, 0x7fff
	v_cndmask_b32_e32 v6, v17, v9, vcc_lo
	v_cmp_u_f32_e32 vcc_lo, v7, v7
	v_add3_u32 v9, v18, v3, 0x7fff
	v_or_b32_e32 v17, 0x400000, v3
	v_add_f32_e32 v2, v4, v5
	v_and_b32_e32 v5, 0xffff0000, v6
	v_cndmask_b32_e32 v7, v15, v16, vcc_lo
	v_add3_u32 v15, v19, v8, 0x7fff
	v_or_b32_e32 v16, 0x400000, v8
	v_cmp_u_f32_e32 vcc_lo, v8, v8
	v_and_b32_e32 v6, 0xffff0000, v44
	v_and_b32_e32 v4, 0xffff0000, v7
	v_add_f32_e32 v1, v2, v1
	v_add_f32_e32 v7, v40, v33
	v_cndmask_b32_e32 v8, v15, v16, vcc_lo
	v_cmp_u_f32_e32 vcc_lo, v3, v3
	v_add_f32_e32 v2, v4, v5
	v_add_f32_e32 v5, v47, v50
	;; [unrolled: 1-line block ×3, first 2 shown]
	v_and_b32_e32 v4, 0xffff0000, v8
	v_cndmask_b32_e32 v3, v9, v17, vcc_lo
	v_add_f32_e32 v1, v2, v1
	v_add_f32_e32 v0, v5, v0
	;; [unrolled: 1-line block ×3, first 2 shown]
	v_and_b32_e32 v3, 0xffff0000, v3
	v_add_f32_e32 v28, v28, v0
	v_add_f32_e32 v29, v29, v5
	;; [unrolled: 1-line block ×9, first 2 shown]
.LBB312_550:                            ;   in Loop: Header=BB312_551 Depth=1
	s_or_b32 exec_lo, exec_lo, s18
	v_add_nc_u32_e32 v39, 4, v39
	v_add_co_u32 v13, s0, v13, 16
	v_add_co_ci_u32_e64 v14, null, 0, v14, s0
	v_cmp_le_i32_e32 vcc_lo, s20, v39
	v_add_nc_u32_e32 v34, 32, v34
	v_add_nc_u32_e32 v30, 0x80, v30
	s_or_b32 s17, vcc_lo, s17
	s_andn2_b32 exec_lo, exec_lo, s17
	s_cbranch_execz .LBB312_1048
.LBB312_551:                            ; =>This Inner Loop Header: Depth=1
	v_mul_hi_u32 v0, v34, s19
	v_mul_lo_u32 v1, v0, s16
	v_add_nc_u32_e32 v2, 1, v0
	v_sub_nc_u32_e32 v1, v34, v1
	v_subrev_nc_u32_e32 v3, s16, v1
	v_cmp_le_u32_e32 vcc_lo, s16, v1
	v_cndmask_b32_e32 v0, v0, v2, vcc_lo
	v_cndmask_b32_e32 v1, v1, v3, vcc_lo
	v_add_nc_u32_e32 v2, 1, v0
	v_cmp_le_u32_e32 vcc_lo, s16, v1
	v_cndmask_b32_e32 v0, v0, v2, vcc_lo
	v_xor_b32_e32 v0, s23, v0
	v_subrev_nc_u32_e32 v0, s23, v0
	v_add_nc_u32_e32 v1, s25, v0
	v_cmp_lt_i32_e64 s0, s4, v0
	v_sub_nc_u32_e32 v2, 0, v1
	v_max_i32_e32 v2, v1, v2
	v_ashrrev_i32_e32 v1, 31, v1
	v_mul_hi_u32 v3, v2, v38
	v_mul_lo_u32 v3, v3, s5
	v_sub_nc_u32_e32 v2, v2, v3
	v_subrev_nc_u32_e32 v3, s5, v2
	v_cmp_le_u32_e32 vcc_lo, s5, v2
	v_cndmask_b32_e32 v2, v2, v3, vcc_lo
	v_subrev_nc_u32_e32 v3, s5, v2
	v_cmp_le_u32_e32 vcc_lo, s5, v2
	v_cndmask_b32_e32 v2, v2, v3, vcc_lo
	v_xor_b32_e32 v2, v2, v1
	v_sub_nc_u32_e32 v1, v2, v1
	v_cmp_eq_u32_e32 vcc_lo, 0, v1
	s_or_b32 s0, vcc_lo, s0
	s_and_saveexec_b32 s18, s0
	s_cbranch_execz .LBB312_550
; %bb.552:                              ;   in Loop: Header=BB312_551 Depth=1
	global_load_dword v0, v[13:14], off
	v_mov_b32_e32 v40, 0
	v_mov_b32_e32 v42, 0
	s_waitcnt vmcnt(0)
	v_mad_i64_i32 v[15:16], null, v0, s12, v[11:12]
	global_load_dwordx2 v[17:18], v[15:16], off
	ds_read2_b64 v[5:8], v30 offset1:1
	ds_read2_b64 v[1:4], v30 offset0:2 offset1:3
	s_load_dword s21, s[14:15], 0x0
	s_waitcnt vmcnt(0)
	v_cmp_ne_u16_sdwa s22, v17, v10 src0_sel:BYTE_0 src1_sel:DWORD
	s_and_saveexec_b32 s0, s22
	s_cbranch_execz .LBB312_558
; %bb.553:                              ;   in Loop: Header=BB312_551 Depth=1
	v_cmp_ne_u16_sdwa s26, v17, v31 src0_sel:BYTE_0 src1_sel:DWORD
	v_bfrev_b32_e32 v42, 1
	s_and_saveexec_b32 s22, s26
	s_cbranch_execz .LBB312_557
; %bb.554:                              ;   in Loop: Header=BB312_551 Depth=1
	v_and_b32_e32 v9, 0x7f, v17
	v_mov_b32_e32 v42, 0x7f800001
	s_mov_b32 s26, exec_lo
	v_cmpx_ne_u32_e32 0x7f, v9
	s_cbranch_execz .LBB312_556
; %bb.555:                              ;   in Loop: Header=BB312_551 Depth=1
	v_and_b32_e32 v0, 7, v17
	v_cmp_gt_u32_e32 vcc_lo, 8, v9
	v_lshrrev_b32_e32 v19, 3, v9
	v_ffbh_u32_e32 v0, v0
	v_min_u32_e32 v0, 32, v0
	v_subrev_nc_u32_e32 v20, 28, v0
	v_sub_nc_u32_e32 v0, 29, v0
	v_cndmask_b32_e32 v9, 0, v20, vcc_lo
	v_cndmask_b32_e32 v0, v19, v0, vcc_lo
	v_lshlrev_b64 v[19:20], v9, v[17:18]
	v_lshlrev_b32_e32 v9, 24, v17
	v_lshl_add_u32 v0, v0, 23, 0x3c000000
	v_and_b32_e32 v9, 0x80000000, v9
	v_lshlrev_b32_e32 v19, 20, v19
	v_and_b32_e32 v19, 0x700000, v19
	v_or3_b32 v42, v19, v9, v0
.LBB312_556:                            ;   in Loop: Header=BB312_551 Depth=1
	s_or_b32 exec_lo, exec_lo, s26
.LBB312_557:                            ;   in Loop: Header=BB312_551 Depth=1
	s_or_b32 exec_lo, exec_lo, s22
.LBB312_558:                            ;   in Loop: Header=BB312_551 Depth=1
	s_or_b32 exec_lo, exec_lo, s0
	v_cmp_ne_u16_sdwa s22, v17, v10 src0_sel:BYTE_1 src1_sel:DWORD
	s_and_saveexec_b32 s0, s22
	s_cbranch_execz .LBB312_566
; %bb.559:                              ;   in Loop: Header=BB312_551 Depth=1
	v_cmp_ne_u16_sdwa s26, v17, v31 src0_sel:BYTE_1 src1_sel:DWORD
	v_bfrev_b32_e32 v40, 1
	s_and_saveexec_b32 s22, s26
	s_cbranch_execz .LBB312_565
; %bb.560:                              ;   in Loop: Header=BB312_551 Depth=1
	v_and_b32_sdwa v9, v32, v17 dst_sel:DWORD dst_unused:UNUSED_PAD src0_sel:DWORD src1_sel:BYTE_1
	v_mov_b32_e32 v40, 0x7f800001
	s_mov_b32 s26, exec_lo
	v_and_b32_e32 v20, 0x7f, v9
	v_cmpx_ne_u32_e32 0x7f, v20
	s_cbranch_execz .LBB312_564
; %bb.561:                              ;   in Loop: Header=BB312_551 Depth=1
	v_and_b32_e32 v9, 7, v9
	v_lshrrev_b32_e32 v19, 3, v20
	s_mov_b32 s27, exec_lo
	v_cmpx_gt_u32_e32 8, v20
; %bb.562:                              ;   in Loop: Header=BB312_551 Depth=1
	v_ffbh_u32_e32 v0, v9
	v_min_u32_e32 v0, 32, v0
	v_subrev_nc_u32_e32 v19, 28, v0
	v_lshlrev_b64 v[40:41], v19, v[9:10]
	v_sub_nc_u32_e32 v19, 29, v0
	v_and_b32_e32 v9, 7, v40
; %bb.563:                              ;   in Loop: Header=BB312_551 Depth=1
	s_or_b32 exec_lo, exec_lo, s27
	v_lshlrev_b32_e32 v0, 16, v17
	v_lshlrev_b32_e32 v9, 20, v9
	v_lshl_add_u32 v19, v19, 23, 0x3c000000
	v_and_b32_e32 v0, 0x80000000, v0
	v_or3_b32 v40, v9, v0, v19
.LBB312_564:                            ;   in Loop: Header=BB312_551 Depth=1
	s_or_b32 exec_lo, exec_lo, s26
.LBB312_565:                            ;   in Loop: Header=BB312_551 Depth=1
	s_or_b32 exec_lo, exec_lo, s22
.LBB312_566:                            ;   in Loop: Header=BB312_551 Depth=1
	s_or_b32 exec_lo, exec_lo, s0
	v_and_b32_sdwa v9, v17, v35 dst_sel:DWORD dst_unused:UNUSED_PAD src0_sel:WORD_1 src1_sel:DWORD
	v_mov_b32_e32 v43, 0
	v_mov_b32_e32 v41, 0
	s_mov_b32 s0, exec_lo
	v_cmpx_ne_u16_e32 0, v9
	s_cbranch_execz .LBB312_574
; %bb.567:                              ;   in Loop: Header=BB312_551 Depth=1
	v_bfrev_b32_e32 v41, 1
	s_mov_b32 s22, exec_lo
	v_cmpx_ne_u16_e32 0x80, v9
	s_cbranch_execz .LBB312_573
; %bb.568:                              ;   in Loop: Header=BB312_551 Depth=1
	v_bfe_u32 v20, v17, 16, 7
	v_mov_b32_e32 v41, 0x7f800001
	s_mov_b32 s26, exec_lo
	v_cmpx_ne_u32_e32 0x7f, v20
	s_cbranch_execz .LBB312_572
; %bb.569:                              ;   in Loop: Header=BB312_551 Depth=1
	v_and_b32_sdwa v9, v17, v36 dst_sel:DWORD dst_unused:UNUSED_PAD src0_sel:WORD_1 src1_sel:DWORD
	v_lshrrev_b32_e32 v19, 3, v20
	s_mov_b32 s27, exec_lo
	v_cmpx_gt_u32_e32 8, v20
; %bb.570:                              ;   in Loop: Header=BB312_551 Depth=1
	v_ffbh_u32_e32 v0, v9
	v_min_u32_e32 v0, 32, v0
	v_subrev_nc_u32_e32 v19, 28, v0
	v_lshlrev_b64 v[44:45], v19, v[9:10]
	v_sub_nc_u32_e32 v19, 29, v0
	v_and_b32_e32 v9, 7, v44
; %bb.571:                              ;   in Loop: Header=BB312_551 Depth=1
	s_or_b32 exec_lo, exec_lo, s27
	v_lshlrev_b32_sdwa v0, v37, v17 dst_sel:DWORD dst_unused:UNUSED_PAD src0_sel:DWORD src1_sel:WORD_1
	v_lshlrev_b32_e32 v9, 20, v9
	v_lshl_add_u32 v19, v19, 23, 0x3c000000
	v_and_b32_e32 v0, 0x80000000, v0
	v_or3_b32 v41, v9, v0, v19
.LBB312_572:                            ;   in Loop: Header=BB312_551 Depth=1
	s_or_b32 exec_lo, exec_lo, s26
.LBB312_573:                            ;   in Loop: Header=BB312_551 Depth=1
	s_or_b32 exec_lo, exec_lo, s22
.LBB312_574:                            ;   in Loop: Header=BB312_551 Depth=1
	s_or_b32 exec_lo, exec_lo, s0
	s_mov_b32 s0, exec_lo
	v_cmpx_lt_u32_e32 0xffffff, v17
	s_cbranch_execz .LBB312_582
; %bb.575:                              ;   in Loop: Header=BB312_551 Depth=1
	v_cmp_ne_u32_sdwa s26, v17, v31 src0_sel:BYTE_3 src1_sel:DWORD
	v_bfrev_b32_e32 v43, 1
	s_and_saveexec_b32 s22, s26
	s_cbranch_execz .LBB312_581
; %bb.576:                              ;   in Loop: Header=BB312_551 Depth=1
	v_bfe_u32 v20, v17, 24, 7
	v_mov_b32_e32 v43, 0x7f800001
	s_mov_b32 s26, exec_lo
	v_cmpx_ne_u32_e32 0x7f, v20
	s_cbranch_execz .LBB312_580
; %bb.577:                              ;   in Loop: Header=BB312_551 Depth=1
	v_and_b32_sdwa v9, v17, v36 dst_sel:DWORD dst_unused:UNUSED_PAD src0_sel:BYTE_3 src1_sel:DWORD
	v_lshrrev_b32_e32 v19, 3, v20
	s_mov_b32 s27, exec_lo
	v_cmpx_gt_u32_e32 8, v20
; %bb.578:                              ;   in Loop: Header=BB312_551 Depth=1
	v_ffbh_u32_e32 v0, v9
	v_min_u32_e32 v0, 32, v0
	v_subrev_nc_u32_e32 v19, 28, v0
	v_lshlrev_b64 v[43:44], v19, v[9:10]
	v_sub_nc_u32_e32 v19, 29, v0
	v_and_b32_e32 v9, 7, v43
; %bb.579:                              ;   in Loop: Header=BB312_551 Depth=1
	s_or_b32 exec_lo, exec_lo, s27
	v_lshlrev_b32_sdwa v0, v37, v17 dst_sel:DWORD dst_unused:UNUSED_PAD src0_sel:DWORD src1_sel:BYTE_3
	v_lshlrev_b32_e32 v9, 20, v9
	v_lshl_add_u32 v19, v19, 23, 0x3c000000
	v_and_b32_e32 v0, 0x80000000, v0
	v_or3_b32 v43, v9, v0, v19
.LBB312_580:                            ;   in Loop: Header=BB312_551 Depth=1
	s_or_b32 exec_lo, exec_lo, s26
.LBB312_581:                            ;   in Loop: Header=BB312_551 Depth=1
	s_or_b32 exec_lo, exec_lo, s22
.LBB312_582:                            ;   in Loop: Header=BB312_551 Depth=1
	s_or_b32 exec_lo, exec_lo, s0
	v_mov_b32_e32 v9, v18
	v_cmp_ne_u16_sdwa s22, v18, v10 src0_sel:BYTE_0 src1_sel:DWORD
	v_mov_b32_e32 v19, 0
	v_mov_b32_e32 v44, 0
	s_and_saveexec_b32 s0, s22
	s_cbranch_execz .LBB312_588
; %bb.583:                              ;   in Loop: Header=BB312_551 Depth=1
	v_cmp_ne_u16_sdwa s26, v18, v31 src0_sel:BYTE_0 src1_sel:DWORD
	v_bfrev_b32_e32 v44, 1
	s_and_saveexec_b32 s22, s26
	s_cbranch_execz .LBB312_587
; %bb.584:                              ;   in Loop: Header=BB312_551 Depth=1
	v_and_b32_e32 v20, 0x7f, v18
	v_mov_b32_e32 v44, 0x7f800001
	s_mov_b32 s26, exec_lo
	v_cmpx_ne_u32_e32 0x7f, v20
	s_cbranch_execz .LBB312_586
; %bb.585:                              ;   in Loop: Header=BB312_551 Depth=1
	v_and_b32_e32 v0, 7, v18
	v_cmp_gt_u32_e32 vcc_lo, 8, v20
	v_lshrrev_b32_e32 v33, 3, v20
	v_ffbh_u32_e32 v0, v0
	v_min_u32_e32 v0, 32, v0
	v_subrev_nc_u32_e32 v44, 28, v0
	v_sub_nc_u32_e32 v0, 29, v0
	v_cndmask_b32_e32 v20, 0, v44, vcc_lo
	v_cndmask_b32_e32 v0, v33, v0, vcc_lo
	v_lshlrev_b64 v[44:45], v20, v[9:10]
	v_lshlrev_b32_e32 v20, 24, v9
	v_lshl_add_u32 v0, v0, 23, 0x3c000000
	v_and_b32_e32 v20, 0x80000000, v20
	v_lshlrev_b32_e32 v33, 20, v44
	v_and_b32_e32 v33, 0x700000, v33
	v_or3_b32 v44, v33, v20, v0
.LBB312_586:                            ;   in Loop: Header=BB312_551 Depth=1
	s_or_b32 exec_lo, exec_lo, s26
.LBB312_587:                            ;   in Loop: Header=BB312_551 Depth=1
	s_or_b32 exec_lo, exec_lo, s22
.LBB312_588:                            ;   in Loop: Header=BB312_551 Depth=1
	s_or_b32 exec_lo, exec_lo, s0
	v_cmp_ne_u16_sdwa s22, v9, v10 src0_sel:BYTE_1 src1_sel:DWORD
	s_and_saveexec_b32 s0, s22
	s_cbranch_execz .LBB312_596
; %bb.589:                              ;   in Loop: Header=BB312_551 Depth=1
	v_cmp_ne_u16_sdwa s26, v9, v31 src0_sel:BYTE_1 src1_sel:DWORD
	v_bfrev_b32_e32 v19, 1
	s_and_saveexec_b32 s22, s26
	s_cbranch_execz .LBB312_595
; %bb.590:                              ;   in Loop: Header=BB312_551 Depth=1
	v_and_b32_sdwa v20, v32, v9 dst_sel:DWORD dst_unused:UNUSED_PAD src0_sel:DWORD src1_sel:BYTE_1
	v_mov_b32_e32 v19, 0x7f800001
	s_mov_b32 s26, exec_lo
	v_and_b32_e32 v46, 0x7f, v20
	v_cmpx_ne_u32_e32 0x7f, v46
	s_cbranch_execz .LBB312_594
; %bb.591:                              ;   in Loop: Header=BB312_551 Depth=1
	v_and_b32_e32 v19, 7, v20
	v_mov_b32_e32 v20, v10
	v_lshrrev_b32_e32 v45, 3, v46
	s_mov_b32 s27, exec_lo
	v_cmpx_gt_u32_e32 8, v46
; %bb.592:                              ;   in Loop: Header=BB312_551 Depth=1
	v_ffbh_u32_e32 v0, v19
	v_min_u32_e32 v0, 32, v0
	v_subrev_nc_u32_e32 v33, 28, v0
	v_sub_nc_u32_e32 v45, 29, v0
	v_lshlrev_b64 v[19:20], v33, v[19:20]
	v_and_b32_e32 v19, 7, v19
; %bb.593:                              ;   in Loop: Header=BB312_551 Depth=1
	s_or_b32 exec_lo, exec_lo, s27
	v_lshlrev_b32_e32 v0, 16, v9
	v_lshlrev_b32_e32 v9, 20, v19
	v_lshl_add_u32 v19, v45, 23, 0x3c000000
	v_and_b32_e32 v0, 0x80000000, v0
	v_or3_b32 v19, v9, v0, v19
.LBB312_594:                            ;   in Loop: Header=BB312_551 Depth=1
	s_or_b32 exec_lo, exec_lo, s26
.LBB312_595:                            ;   in Loop: Header=BB312_551 Depth=1
	s_or_b32 exec_lo, exec_lo, s22
.LBB312_596:                            ;   in Loop: Header=BB312_551 Depth=1
	s_or_b32 exec_lo, exec_lo, s0
	v_and_b32_sdwa v9, v18, v35 dst_sel:DWORD dst_unused:UNUSED_PAD src0_sel:WORD_1 src1_sel:DWORD
	v_mov_b32_e32 v20, 0
	v_mov_b32_e32 v45, 0
	s_mov_b32 s0, exec_lo
	v_cmpx_ne_u16_e32 0, v9
	s_cbranch_execz .LBB312_604
; %bb.597:                              ;   in Loop: Header=BB312_551 Depth=1
	v_bfrev_b32_e32 v45, 1
	s_mov_b32 s22, exec_lo
	v_cmpx_ne_u16_e32 0x80, v9
	s_cbranch_execz .LBB312_603
; %bb.598:                              ;   in Loop: Header=BB312_551 Depth=1
	v_bfe_u32 v46, v18, 16, 7
	v_mov_b32_e32 v45, 0x7f800001
	s_mov_b32 s26, exec_lo
	v_cmpx_ne_u32_e32 0x7f, v46
	s_cbranch_execz .LBB312_602
; %bb.599:                              ;   in Loop: Header=BB312_551 Depth=1
	v_and_b32_sdwa v9, v18, v36 dst_sel:DWORD dst_unused:UNUSED_PAD src0_sel:WORD_1 src1_sel:DWORD
	v_lshrrev_b32_e32 v45, 3, v46
	s_mov_b32 s27, exec_lo
	v_cmpx_gt_u32_e32 8, v46
; %bb.600:                              ;   in Loop: Header=BB312_551 Depth=1
	v_ffbh_u32_e32 v0, v9
	v_min_u32_e32 v0, 32, v0
	v_subrev_nc_u32_e32 v33, 28, v0
	v_sub_nc_u32_e32 v45, 29, v0
	v_lshlrev_b64 v[46:47], v33, v[9:10]
	v_and_b32_e32 v9, 7, v46
; %bb.601:                              ;   in Loop: Header=BB312_551 Depth=1
	s_or_b32 exec_lo, exec_lo, s27
	v_lshlrev_b32_sdwa v0, v37, v18 dst_sel:DWORD dst_unused:UNUSED_PAD src0_sel:DWORD src1_sel:WORD_1
	v_lshlrev_b32_e32 v9, 20, v9
	v_lshl_add_u32 v33, v45, 23, 0x3c000000
	v_and_b32_e32 v0, 0x80000000, v0
	v_or3_b32 v45, v9, v0, v33
.LBB312_602:                            ;   in Loop: Header=BB312_551 Depth=1
	s_or_b32 exec_lo, exec_lo, s26
.LBB312_603:                            ;   in Loop: Header=BB312_551 Depth=1
	s_or_b32 exec_lo, exec_lo, s22
.LBB312_604:                            ;   in Loop: Header=BB312_551 Depth=1
	s_or_b32 exec_lo, exec_lo, s0
	s_mov_b32 s0, exec_lo
	v_cmpx_lt_u64_e64 s[2:3], v[17:18]
	s_cbranch_execz .LBB312_612
; %bb.605:                              ;   in Loop: Header=BB312_551 Depth=1
	v_cmp_ne_u32_sdwa s26, v18, v31 src0_sel:BYTE_3 src1_sel:DWORD
	v_bfrev_b32_e32 v20, 1
	s_and_saveexec_b32 s22, s26
	s_cbranch_execz .LBB312_611
; %bb.606:                              ;   in Loop: Header=BB312_551 Depth=1
	v_bfe_u32 v46, v18, 24, 7
	v_mov_b32_e32 v20, 0x7f800001
	s_mov_b32 s26, exec_lo
	v_cmpx_ne_u32_e32 0x7f, v46
	s_cbranch_execz .LBB312_610
; %bb.607:                              ;   in Loop: Header=BB312_551 Depth=1
	v_and_b32_sdwa v9, v18, v36 dst_sel:DWORD dst_unused:UNUSED_PAD src0_sel:BYTE_3 src1_sel:DWORD
	v_lshrrev_b32_e32 v17, 3, v46
	s_mov_b32 s27, exec_lo
	v_cmpx_gt_u32_e32 8, v46
; %bb.608:                              ;   in Loop: Header=BB312_551 Depth=1
	v_ffbh_u32_e32 v0, v9
	v_min_u32_e32 v0, 32, v0
	v_subrev_nc_u32_e32 v17, 28, v0
	v_lshlrev_b64 v[46:47], v17, v[9:10]
	v_sub_nc_u32_e32 v17, 29, v0
	v_and_b32_e32 v9, 7, v46
; %bb.609:                              ;   in Loop: Header=BB312_551 Depth=1
	s_or_b32 exec_lo, exec_lo, s27
	v_lshlrev_b32_sdwa v0, v37, v18 dst_sel:DWORD dst_unused:UNUSED_PAD src0_sel:DWORD src1_sel:BYTE_3
	v_lshlrev_b32_e32 v9, 20, v9
	v_lshl_add_u32 v17, v17, 23, 0x3c000000
	v_and_b32_e32 v0, 0x80000000, v0
	v_or3_b32 v20, v9, v0, v17
.LBB312_610:                            ;   in Loop: Header=BB312_551 Depth=1
	s_or_b32 exec_lo, exec_lo, s26
.LBB312_611:                            ;   in Loop: Header=BB312_551 Depth=1
	s_or_b32 exec_lo, exec_lo, s22
.LBB312_612:                            ;   in Loop: Header=BB312_551 Depth=1
	s_or_b32 exec_lo, exec_lo, s0
	s_waitcnt lgkmcnt(0)
	v_mul_f32_e32 v0, s21, v19
	v_mul_f32_e32 v9, s21, v44
	v_mul_f32_e32 v17, s21, v43
	v_mul_f32_e32 v19, s21, v41
	v_mul_f32_e32 v20, s21, v20
	v_bfe_u32 v18, v0, 16, 1
	v_or_b32_e32 v33, 0x400000, v0
	v_bfe_u32 v41, v9, 16, 1
	v_cmp_u_f32_e64 s0, v0, v0
	v_or_b32_e32 v43, 0x400000, v9
	v_add3_u32 v18, v18, v0, 0x7fff
	v_bfe_u32 v44, v17, 16, 1
	v_add3_u32 v41, v41, v9, 0x7fff
	v_or_b32_e32 v46, 0x400000, v17
	v_cmp_eq_u32_e32 vcc_lo, s13, v39
	v_cndmask_b32_e64 v0, v18, v33, s0
	v_cmp_u_f32_e64 s0, v9, v9
	v_bfe_u32 v18, v19, 16, 1
	v_add3_u32 v33, v44, v17, 0x7fff
	v_add_nc_u32_e32 v59, 1, v34
	v_add_nc_u32_e32 v58, 2, v34
	v_cndmask_b32_e64 v9, v41, v43, s0
	v_cmp_u_f32_e64 s0, v17, v17
	v_lshrrev_b32_e32 v41, 16, v0
	v_mul_f32_e32 v17, s21, v40
	v_add3_u32 v18, v18, v19, 0x7fff
	v_lshrrev_b32_e32 v40, 16, v9
	v_cndmask_b32_e64 v0, v33, v46, s0
	v_or_b32_e32 v33, 0x400000, v19
	v_cmp_u_f32_e64 s0, v19, v19
	v_mul_f32_e32 v19, s21, v45
	v_or_b32_e32 v46, 0x400000, v20
	v_lshrrev_b32_e32 v43, 16, v0
	v_bfe_u32 v0, v17, 16, 1
	v_cndmask_b32_e64 v9, v18, v33, s0
	v_mul_f32_e32 v18, s21, v42
	v_or_b32_e32 v33, 0x400000, v17
	v_cmp_u_f32_e64 s0, v17, v17
	v_add3_u32 v0, v0, v17, 0x7fff
	v_bfe_u32 v44, v19, 16, 1
	v_bfe_u32 v42, v18, 16, 1
	v_bfe_u32 v17, v20, 16, 1
	v_or_b32_e32 v45, 0x400000, v19
	v_cndmask_b32_e64 v0, v0, v33, s0
	v_cmp_u_f32_e64 s0, v18, v18
	v_add3_u32 v33, v42, v18, 0x7fff
	v_or_b32_e32 v42, 0x400000, v18
	v_add3_u32 v44, v44, v19, 0x7fff
	v_add3_u32 v17, v17, v20, 0x7fff
	v_lshrrev_b32_e32 v47, 16, v0
	v_add_nc_u32_e32 v57, 3, v34
	v_cndmask_b32_e64 v18, v33, v42, s0
	v_cmp_u_f32_e64 s0, v19, v19
	v_add_nc_u32_e32 v56, 4, v34
	v_add_nc_u32_e32 v55, 5, v34
	;; [unrolled: 1-line block ×4, first 2 shown]
	v_cndmask_b32_e64 v19, v44, v45, s0
	v_cmp_u_f32_e64 s0, v20, v20
	v_lshrrev_b32_e32 v45, 16, v9
	v_lshrrev_b32_e32 v42, 16, v19
	v_cndmask_b32_e64 v17, v17, v46, s0
	v_lshrrev_b32_e32 v46, 16, v18
	v_lshrrev_b32_e32 v44, 16, v17
	s_and_saveexec_b32 s22, vcc_lo
	s_cbranch_execz .LBB312_614
; %bb.613:                              ;   in Loop: Header=BB312_551 Depth=1
	v_cmp_gt_i32_e64 s0, s33, v34
	v_cndmask_b32_e64 v46, 0, v46, s0
	v_cmp_gt_i32_e64 s0, s33, v59
	v_cndmask_b32_e64 v47, 0, v47, s0
	;; [unrolled: 2-line block ×8, first 2 shown]
.LBB312_614:                            ;   in Loop: Header=BB312_551 Depth=1
	s_or_b32 exec_lo, exec_lo, s22
	global_load_dwordx2 v[17:18], v[15:16], off offset:256
	v_mov_b32_e32 v49, 0
	v_mov_b32_e32 v50, 0
	s_waitcnt vmcnt(0)
	v_cmp_ne_u16_sdwa s0, v17, v10 src0_sel:BYTE_0 src1_sel:DWORD
	s_and_saveexec_b32 s22, s0
	s_cbranch_execz .LBB312_620
; %bb.615:                              ;   in Loop: Header=BB312_551 Depth=1
	v_cmp_ne_u16_sdwa s0, v17, v31 src0_sel:BYTE_0 src1_sel:DWORD
	v_bfrev_b32_e32 v50, 1
	s_and_saveexec_b32 s26, s0
	s_cbranch_execz .LBB312_619
; %bb.616:                              ;   in Loop: Header=BB312_551 Depth=1
	v_and_b32_e32 v9, 0x7f, v17
	v_mov_b32_e32 v50, 0x7f800001
	s_mov_b32 s27, exec_lo
	v_cmpx_ne_u32_e32 0x7f, v9
	s_cbranch_execz .LBB312_618
; %bb.617:                              ;   in Loop: Header=BB312_551 Depth=1
	v_and_b32_e32 v0, 7, v17
	v_cmp_gt_u32_e64 s0, 8, v9
	v_lshrrev_b32_e32 v19, 3, v9
	v_ffbh_u32_e32 v0, v0
	v_min_u32_e32 v0, 32, v0
	v_subrev_nc_u32_e32 v20, 28, v0
	v_sub_nc_u32_e32 v0, 29, v0
	v_cndmask_b32_e64 v9, 0, v20, s0
	v_cndmask_b32_e64 v0, v19, v0, s0
	v_lshlrev_b64 v[19:20], v9, v[17:18]
	v_lshlrev_b32_e32 v9, 24, v17
	v_lshl_add_u32 v0, v0, 23, 0x3c000000
	v_and_b32_e32 v9, 0x80000000, v9
	v_lshlrev_b32_e32 v19, 20, v19
	v_and_b32_e32 v19, 0x700000, v19
	v_or3_b32 v50, v19, v9, v0
.LBB312_618:                            ;   in Loop: Header=BB312_551 Depth=1
	s_or_b32 exec_lo, exec_lo, s27
.LBB312_619:                            ;   in Loop: Header=BB312_551 Depth=1
	s_or_b32 exec_lo, exec_lo, s26
.LBB312_620:                            ;   in Loop: Header=BB312_551 Depth=1
	s_or_b32 exec_lo, exec_lo, s22
	v_cmp_ne_u16_sdwa s0, v17, v10 src0_sel:BYTE_1 src1_sel:DWORD
	s_and_saveexec_b32 s22, s0
	s_cbranch_execz .LBB312_628
; %bb.621:                              ;   in Loop: Header=BB312_551 Depth=1
	v_cmp_ne_u16_sdwa s0, v17, v31 src0_sel:BYTE_1 src1_sel:DWORD
	v_bfrev_b32_e32 v49, 1
	s_and_saveexec_b32 s26, s0
	s_cbranch_execz .LBB312_627
; %bb.622:                              ;   in Loop: Header=BB312_551 Depth=1
	v_and_b32_sdwa v9, v32, v17 dst_sel:DWORD dst_unused:UNUSED_PAD src0_sel:DWORD src1_sel:BYTE_1
	v_mov_b32_e32 v49, 0x7f800001
	s_mov_b32 s27, exec_lo
	v_and_b32_e32 v20, 0x7f, v9
	v_cmpx_ne_u32_e32 0x7f, v20
	s_cbranch_execz .LBB312_626
; %bb.623:                              ;   in Loop: Header=BB312_551 Depth=1
	v_and_b32_e32 v9, 7, v9
	v_lshrrev_b32_e32 v19, 3, v20
	s_mov_b32 s28, exec_lo
	v_cmpx_gt_u32_e32 8, v20
; %bb.624:                              ;   in Loop: Header=BB312_551 Depth=1
	v_ffbh_u32_e32 v0, v9
	v_min_u32_e32 v0, 32, v0
	v_subrev_nc_u32_e32 v19, 28, v0
	v_lshlrev_b64 v[48:49], v19, v[9:10]
	v_sub_nc_u32_e32 v19, 29, v0
	v_and_b32_e32 v9, 7, v48
; %bb.625:                              ;   in Loop: Header=BB312_551 Depth=1
	s_or_b32 exec_lo, exec_lo, s28
	v_lshlrev_b32_e32 v0, 16, v17
	v_lshlrev_b32_e32 v9, 20, v9
	v_lshl_add_u32 v19, v19, 23, 0x3c000000
	v_and_b32_e32 v0, 0x80000000, v0
	v_or3_b32 v49, v9, v0, v19
.LBB312_626:                            ;   in Loop: Header=BB312_551 Depth=1
	s_or_b32 exec_lo, exec_lo, s27
.LBB312_627:                            ;   in Loop: Header=BB312_551 Depth=1
	s_or_b32 exec_lo, exec_lo, s26
.LBB312_628:                            ;   in Loop: Header=BB312_551 Depth=1
	s_or_b32 exec_lo, exec_lo, s22
	v_and_b32_sdwa v9, v17, v35 dst_sel:DWORD dst_unused:UNUSED_PAD src0_sel:WORD_1 src1_sel:DWORD
	v_mov_b32_e32 v51, 0
	v_mov_b32_e32 v48, 0
	s_mov_b32 s22, exec_lo
	v_cmpx_ne_u16_e32 0, v9
	s_cbranch_execz .LBB312_636
; %bb.629:                              ;   in Loop: Header=BB312_551 Depth=1
	v_bfrev_b32_e32 v48, 1
	s_mov_b32 s26, exec_lo
	v_cmpx_ne_u16_e32 0x80, v9
	s_cbranch_execz .LBB312_635
; %bb.630:                              ;   in Loop: Header=BB312_551 Depth=1
	v_bfe_u32 v20, v17, 16, 7
	v_mov_b32_e32 v48, 0x7f800001
	s_mov_b32 s27, exec_lo
	v_cmpx_ne_u32_e32 0x7f, v20
	s_cbranch_execz .LBB312_634
; %bb.631:                              ;   in Loop: Header=BB312_551 Depth=1
	v_and_b32_sdwa v9, v17, v36 dst_sel:DWORD dst_unused:UNUSED_PAD src0_sel:WORD_1 src1_sel:DWORD
	v_lshrrev_b32_e32 v19, 3, v20
	s_mov_b32 s28, exec_lo
	v_cmpx_gt_u32_e32 8, v20
; %bb.632:                              ;   in Loop: Header=BB312_551 Depth=1
	v_ffbh_u32_e32 v0, v9
	v_min_u32_e32 v0, 32, v0
	v_subrev_nc_u32_e32 v19, 28, v0
	v_lshlrev_b64 v[60:61], v19, v[9:10]
	v_sub_nc_u32_e32 v19, 29, v0
	v_and_b32_e32 v9, 7, v60
; %bb.633:                              ;   in Loop: Header=BB312_551 Depth=1
	s_or_b32 exec_lo, exec_lo, s28
	v_lshlrev_b32_sdwa v0, v37, v17 dst_sel:DWORD dst_unused:UNUSED_PAD src0_sel:DWORD src1_sel:WORD_1
	v_lshlrev_b32_e32 v9, 20, v9
	v_lshl_add_u32 v19, v19, 23, 0x3c000000
	v_and_b32_e32 v0, 0x80000000, v0
	v_or3_b32 v48, v9, v0, v19
.LBB312_634:                            ;   in Loop: Header=BB312_551 Depth=1
	s_or_b32 exec_lo, exec_lo, s27
.LBB312_635:                            ;   in Loop: Header=BB312_551 Depth=1
	s_or_b32 exec_lo, exec_lo, s26
.LBB312_636:                            ;   in Loop: Header=BB312_551 Depth=1
	s_or_b32 exec_lo, exec_lo, s22
	s_mov_b32 s22, exec_lo
	v_cmpx_lt_u32_e32 0xffffff, v17
	s_cbranch_execz .LBB312_644
; %bb.637:                              ;   in Loop: Header=BB312_551 Depth=1
	v_cmp_ne_u32_sdwa s0, v17, v31 src0_sel:BYTE_3 src1_sel:DWORD
	v_bfrev_b32_e32 v51, 1
	s_and_saveexec_b32 s26, s0
	s_cbranch_execz .LBB312_643
; %bb.638:                              ;   in Loop: Header=BB312_551 Depth=1
	v_bfe_u32 v20, v17, 24, 7
	v_mov_b32_e32 v51, 0x7f800001
	s_mov_b32 s27, exec_lo
	v_cmpx_ne_u32_e32 0x7f, v20
	s_cbranch_execz .LBB312_642
; %bb.639:                              ;   in Loop: Header=BB312_551 Depth=1
	v_and_b32_sdwa v9, v17, v36 dst_sel:DWORD dst_unused:UNUSED_PAD src0_sel:BYTE_3 src1_sel:DWORD
	v_lshrrev_b32_e32 v19, 3, v20
	s_mov_b32 s28, exec_lo
	v_cmpx_gt_u32_e32 8, v20
; %bb.640:                              ;   in Loop: Header=BB312_551 Depth=1
	v_ffbh_u32_e32 v0, v9
	v_min_u32_e32 v0, 32, v0
	v_subrev_nc_u32_e32 v19, 28, v0
	v_lshlrev_b64 v[51:52], v19, v[9:10]
	v_sub_nc_u32_e32 v19, 29, v0
	v_and_b32_e32 v9, 7, v51
; %bb.641:                              ;   in Loop: Header=BB312_551 Depth=1
	s_or_b32 exec_lo, exec_lo, s28
	v_lshlrev_b32_sdwa v0, v37, v17 dst_sel:DWORD dst_unused:UNUSED_PAD src0_sel:DWORD src1_sel:BYTE_3
	v_lshlrev_b32_e32 v9, 20, v9
	v_lshl_add_u32 v19, v19, 23, 0x3c000000
	v_and_b32_e32 v0, 0x80000000, v0
	v_or3_b32 v51, v9, v0, v19
.LBB312_642:                            ;   in Loop: Header=BB312_551 Depth=1
	s_or_b32 exec_lo, exec_lo, s27
.LBB312_643:                            ;   in Loop: Header=BB312_551 Depth=1
	s_or_b32 exec_lo, exec_lo, s26
.LBB312_644:                            ;   in Loop: Header=BB312_551 Depth=1
	s_or_b32 exec_lo, exec_lo, s22
	v_mov_b32_e32 v9, v18
	v_cmp_ne_u16_sdwa s0, v18, v10 src0_sel:BYTE_0 src1_sel:DWORD
	v_mov_b32_e32 v19, 0
	v_mov_b32_e32 v52, 0
	s_and_saveexec_b32 s22, s0
	s_cbranch_execz .LBB312_650
; %bb.645:                              ;   in Loop: Header=BB312_551 Depth=1
	v_cmp_ne_u16_sdwa s0, v18, v31 src0_sel:BYTE_0 src1_sel:DWORD
	v_bfrev_b32_e32 v52, 1
	s_and_saveexec_b32 s26, s0
	s_cbranch_execz .LBB312_649
; %bb.646:                              ;   in Loop: Header=BB312_551 Depth=1
	v_and_b32_e32 v20, 0x7f, v18
	v_mov_b32_e32 v52, 0x7f800001
	s_mov_b32 s27, exec_lo
	v_cmpx_ne_u32_e32 0x7f, v20
	s_cbranch_execz .LBB312_648
; %bb.647:                              ;   in Loop: Header=BB312_551 Depth=1
	v_and_b32_e32 v0, 7, v18
	v_cmp_gt_u32_e64 s0, 8, v20
	v_lshrrev_b32_e32 v33, 3, v20
	v_ffbh_u32_e32 v0, v0
	v_min_u32_e32 v0, 32, v0
	v_subrev_nc_u32_e32 v52, 28, v0
	v_sub_nc_u32_e32 v0, 29, v0
	v_cndmask_b32_e64 v20, 0, v52, s0
	v_cndmask_b32_e64 v0, v33, v0, s0
	v_lshlrev_b64 v[60:61], v20, v[9:10]
	v_lshlrev_b32_e32 v20, 24, v9
	v_lshl_add_u32 v0, v0, 23, 0x3c000000
	v_and_b32_e32 v20, 0x80000000, v20
	v_lshlrev_b32_e32 v33, 20, v60
	v_and_b32_e32 v33, 0x700000, v33
	v_or3_b32 v52, v33, v20, v0
.LBB312_648:                            ;   in Loop: Header=BB312_551 Depth=1
	s_or_b32 exec_lo, exec_lo, s27
.LBB312_649:                            ;   in Loop: Header=BB312_551 Depth=1
	s_or_b32 exec_lo, exec_lo, s26
.LBB312_650:                            ;   in Loop: Header=BB312_551 Depth=1
	s_or_b32 exec_lo, exec_lo, s22
	v_cmp_ne_u16_sdwa s0, v9, v10 src0_sel:BYTE_1 src1_sel:DWORD
	s_and_saveexec_b32 s22, s0
	s_cbranch_execz .LBB312_658
; %bb.651:                              ;   in Loop: Header=BB312_551 Depth=1
	v_cmp_ne_u16_sdwa s0, v9, v31 src0_sel:BYTE_1 src1_sel:DWORD
	v_bfrev_b32_e32 v19, 1
	s_and_saveexec_b32 s26, s0
	s_cbranch_execz .LBB312_657
; %bb.652:                              ;   in Loop: Header=BB312_551 Depth=1
	v_and_b32_sdwa v20, v32, v9 dst_sel:DWORD dst_unused:UNUSED_PAD src0_sel:DWORD src1_sel:BYTE_1
	v_mov_b32_e32 v19, 0x7f800001
	s_mov_b32 s27, exec_lo
	v_and_b32_e32 v61, 0x7f, v20
	v_cmpx_ne_u32_e32 0x7f, v61
	s_cbranch_execz .LBB312_656
; %bb.653:                              ;   in Loop: Header=BB312_551 Depth=1
	v_and_b32_e32 v19, 7, v20
	v_mov_b32_e32 v20, v10
	v_lshrrev_b32_e32 v60, 3, v61
	s_mov_b32 s28, exec_lo
	v_cmpx_gt_u32_e32 8, v61
; %bb.654:                              ;   in Loop: Header=BB312_551 Depth=1
	v_ffbh_u32_e32 v0, v19
	v_min_u32_e32 v0, 32, v0
	v_subrev_nc_u32_e32 v33, 28, v0
	v_sub_nc_u32_e32 v60, 29, v0
	v_lshlrev_b64 v[19:20], v33, v[19:20]
	v_and_b32_e32 v19, 7, v19
; %bb.655:                              ;   in Loop: Header=BB312_551 Depth=1
	s_or_b32 exec_lo, exec_lo, s28
	v_lshlrev_b32_e32 v0, 16, v9
	v_lshlrev_b32_e32 v9, 20, v19
	v_lshl_add_u32 v19, v60, 23, 0x3c000000
	v_and_b32_e32 v0, 0x80000000, v0
	v_or3_b32 v19, v9, v0, v19
.LBB312_656:                            ;   in Loop: Header=BB312_551 Depth=1
	s_or_b32 exec_lo, exec_lo, s27
.LBB312_657:                            ;   in Loop: Header=BB312_551 Depth=1
	s_or_b32 exec_lo, exec_lo, s26
.LBB312_658:                            ;   in Loop: Header=BB312_551 Depth=1
	s_or_b32 exec_lo, exec_lo, s22
	v_and_b32_sdwa v9, v18, v35 dst_sel:DWORD dst_unused:UNUSED_PAD src0_sel:WORD_1 src1_sel:DWORD
	v_mov_b32_e32 v20, 0
	v_mov_b32_e32 v60, 0
	s_mov_b32 s22, exec_lo
	v_cmpx_ne_u16_e32 0, v9
	s_cbranch_execz .LBB312_666
; %bb.659:                              ;   in Loop: Header=BB312_551 Depth=1
	v_bfrev_b32_e32 v60, 1
	s_mov_b32 s26, exec_lo
	v_cmpx_ne_u16_e32 0x80, v9
	s_cbranch_execz .LBB312_665
; %bb.660:                              ;   in Loop: Header=BB312_551 Depth=1
	v_bfe_u32 v61, v18, 16, 7
	v_mov_b32_e32 v60, 0x7f800001
	s_mov_b32 s27, exec_lo
	v_cmpx_ne_u32_e32 0x7f, v61
	s_cbranch_execz .LBB312_664
; %bb.661:                              ;   in Loop: Header=BB312_551 Depth=1
	v_and_b32_sdwa v9, v18, v36 dst_sel:DWORD dst_unused:UNUSED_PAD src0_sel:WORD_1 src1_sel:DWORD
	v_lshrrev_b32_e32 v60, 3, v61
	s_mov_b32 s28, exec_lo
	v_cmpx_gt_u32_e32 8, v61
; %bb.662:                              ;   in Loop: Header=BB312_551 Depth=1
	v_ffbh_u32_e32 v0, v9
	v_min_u32_e32 v0, 32, v0
	v_subrev_nc_u32_e32 v33, 28, v0
	v_sub_nc_u32_e32 v60, 29, v0
	v_lshlrev_b64 v[61:62], v33, v[9:10]
	v_and_b32_e32 v9, 7, v61
; %bb.663:                              ;   in Loop: Header=BB312_551 Depth=1
	s_or_b32 exec_lo, exec_lo, s28
	v_lshlrev_b32_sdwa v0, v37, v18 dst_sel:DWORD dst_unused:UNUSED_PAD src0_sel:DWORD src1_sel:WORD_1
	v_lshlrev_b32_e32 v9, 20, v9
	v_lshl_add_u32 v33, v60, 23, 0x3c000000
	v_and_b32_e32 v0, 0x80000000, v0
	v_or3_b32 v60, v9, v0, v33
.LBB312_664:                            ;   in Loop: Header=BB312_551 Depth=1
	s_or_b32 exec_lo, exec_lo, s27
.LBB312_665:                            ;   in Loop: Header=BB312_551 Depth=1
	s_or_b32 exec_lo, exec_lo, s26
.LBB312_666:                            ;   in Loop: Header=BB312_551 Depth=1
	s_or_b32 exec_lo, exec_lo, s22
	s_mov_b32 s22, exec_lo
	v_cmpx_lt_u64_e64 s[2:3], v[17:18]
	s_cbranch_execz .LBB312_674
; %bb.667:                              ;   in Loop: Header=BB312_551 Depth=1
	v_cmp_ne_u32_sdwa s0, v18, v31 src0_sel:BYTE_3 src1_sel:DWORD
	v_bfrev_b32_e32 v20, 1
	s_and_saveexec_b32 s26, s0
	s_cbranch_execz .LBB312_673
; %bb.668:                              ;   in Loop: Header=BB312_551 Depth=1
	v_bfe_u32 v61, v18, 24, 7
	v_mov_b32_e32 v20, 0x7f800001
	s_mov_b32 s27, exec_lo
	v_cmpx_ne_u32_e32 0x7f, v61
	s_cbranch_execz .LBB312_672
; %bb.669:                              ;   in Loop: Header=BB312_551 Depth=1
	v_and_b32_sdwa v9, v18, v36 dst_sel:DWORD dst_unused:UNUSED_PAD src0_sel:BYTE_3 src1_sel:DWORD
	v_lshrrev_b32_e32 v17, 3, v61
	s_mov_b32 s28, exec_lo
	v_cmpx_gt_u32_e32 8, v61
; %bb.670:                              ;   in Loop: Header=BB312_551 Depth=1
	v_ffbh_u32_e32 v0, v9
	v_min_u32_e32 v0, 32, v0
	v_subrev_nc_u32_e32 v17, 28, v0
	v_lshlrev_b64 v[61:62], v17, v[9:10]
	v_sub_nc_u32_e32 v17, 29, v0
	v_and_b32_e32 v9, 7, v61
; %bb.671:                              ;   in Loop: Header=BB312_551 Depth=1
	s_or_b32 exec_lo, exec_lo, s28
	v_lshlrev_b32_sdwa v0, v37, v18 dst_sel:DWORD dst_unused:UNUSED_PAD src0_sel:DWORD src1_sel:BYTE_3
	v_lshlrev_b32_e32 v9, 20, v9
	v_lshl_add_u32 v17, v17, 23, 0x3c000000
	v_and_b32_e32 v0, 0x80000000, v0
	v_or3_b32 v20, v9, v0, v17
.LBB312_672:                            ;   in Loop: Header=BB312_551 Depth=1
	s_or_b32 exec_lo, exec_lo, s27
.LBB312_673:                            ;   in Loop: Header=BB312_551 Depth=1
	s_or_b32 exec_lo, exec_lo, s26
.LBB312_674:                            ;   in Loop: Header=BB312_551 Depth=1
	s_or_b32 exec_lo, exec_lo, s22
	v_mul_f32_e32 v0, s21, v19
	v_mul_f32_e32 v9, s21, v52
	;; [unrolled: 1-line block ×5, first 2 shown]
	v_bfe_u32 v19, v0, 16, 1
	v_or_b32_e32 v33, 0x400000, v0
	v_bfe_u32 v48, v9, 16, 1
	v_cmp_u_f32_e64 s0, v0, v0
	v_or_b32_e32 v51, 0x400000, v9
	v_add3_u32 v19, v19, v0, 0x7fff
	v_bfe_u32 v52, v17, 16, 1
	v_add3_u32 v48, v48, v9, 0x7fff
	v_or_b32_e32 v61, 0x400000, v17
	v_bfe_u32 v62, v18, 16, 1
	v_cndmask_b32_e64 v0, v19, v33, s0
	v_cmp_u_f32_e64 s0, v9, v9
	v_add3_u32 v52, v52, v17, 0x7fff
	v_or_b32_e32 v33, 0x400000, v18
	v_add3_u32 v19, v62, v18, 0x7fff
	v_cndmask_b32_e64 v9, v48, v51, s0
	v_cmp_u_f32_e64 s0, v17, v17
	v_lshrrev_b32_e32 v48, 16, v0
	v_mul_f32_e32 v0, s21, v49
	v_lshrrev_b32_e32 v49, 16, v9
	v_cndmask_b32_e64 v17, v52, v61, s0
	v_cmp_u_f32_e64 s0, v18, v18
	v_bfe_u32 v9, v0, 16, 1
	v_mul_f32_e32 v18, s21, v50
	v_or_b32_e32 v61, 0x400000, v20
	v_lshrrev_b32_e32 v51, 16, v17
	v_cndmask_b32_e64 v17, v19, v33, s0
	v_mul_f32_e32 v19, s21, v60
	v_add3_u32 v9, v9, v0, 0x7fff
	v_or_b32_e32 v33, 0x400000, v0
	v_bfe_u32 v50, v18, 16, 1
	v_cmp_u_f32_e64 s0, v0, v0
	v_bfe_u32 v52, v19, 16, 1
	v_or_b32_e32 v60, 0x400000, v19
	v_cndmask_b32_e64 v0, v9, v33, s0
	v_add3_u32 v33, v50, v18, 0x7fff
	v_or_b32_e32 v50, 0x400000, v18
	v_cmp_u_f32_e64 s0, v18, v18
	v_bfe_u32 v9, v20, 16, 1
	v_add3_u32 v52, v52, v19, 0x7fff
	v_lshrrev_b32_e32 v62, 16, v0
	v_cndmask_b32_e64 v18, v33, v50, s0
	v_cmp_u_f32_e64 s0, v19, v19
	v_add3_u32 v9, v9, v20, 0x7fff
	v_cndmask_b32_e64 v19, v52, v60, s0
	v_cmp_u_f32_e64 s0, v20, v20
	v_lshrrev_b32_e32 v60, 16, v17
	v_lshrrev_b32_e32 v50, 16, v19
	v_cndmask_b32_e64 v9, v9, v61, s0
	v_lshrrev_b32_e32 v61, 16, v18
	v_lshrrev_b32_e32 v52, 16, v9
	s_and_saveexec_b32 s22, vcc_lo
	s_cbranch_execz .LBB312_676
; %bb.675:                              ;   in Loop: Header=BB312_551 Depth=1
	v_cmp_gt_i32_e64 s0, s33, v34
	v_cndmask_b32_e64 v61, 0, v61, s0
	v_cmp_gt_i32_e64 s0, s33, v59
	v_cndmask_b32_e64 v62, 0, v62, s0
	;; [unrolled: 2-line block ×8, first 2 shown]
.LBB312_676:                            ;   in Loop: Header=BB312_551 Depth=1
	s_or_b32 exec_lo, exec_lo, s22
	global_load_dwordx2 v[17:18], v[15:16], off offset:512
	v_mov_b32_e32 v64, 0
	v_mov_b32_e32 v65, 0
	s_waitcnt vmcnt(0)
	v_cmp_ne_u16_sdwa s0, v17, v10 src0_sel:BYTE_0 src1_sel:DWORD
	s_and_saveexec_b32 s22, s0
	s_cbranch_execz .LBB312_682
; %bb.677:                              ;   in Loop: Header=BB312_551 Depth=1
	v_cmp_ne_u16_sdwa s0, v17, v31 src0_sel:BYTE_0 src1_sel:DWORD
	v_bfrev_b32_e32 v65, 1
	s_and_saveexec_b32 s26, s0
	s_cbranch_execz .LBB312_681
; %bb.678:                              ;   in Loop: Header=BB312_551 Depth=1
	v_and_b32_e32 v9, 0x7f, v17
	v_mov_b32_e32 v65, 0x7f800001
	s_mov_b32 s27, exec_lo
	v_cmpx_ne_u32_e32 0x7f, v9
	s_cbranch_execz .LBB312_680
; %bb.679:                              ;   in Loop: Header=BB312_551 Depth=1
	v_and_b32_e32 v0, 7, v17
	v_cmp_gt_u32_e64 s0, 8, v9
	v_lshrrev_b32_e32 v19, 3, v9
	v_ffbh_u32_e32 v0, v0
	v_min_u32_e32 v0, 32, v0
	v_subrev_nc_u32_e32 v20, 28, v0
	v_sub_nc_u32_e32 v0, 29, v0
	v_cndmask_b32_e64 v9, 0, v20, s0
	v_cndmask_b32_e64 v0, v19, v0, s0
	v_lshlrev_b64 v[19:20], v9, v[17:18]
	v_lshlrev_b32_e32 v9, 24, v17
	v_lshl_add_u32 v0, v0, 23, 0x3c000000
	v_and_b32_e32 v9, 0x80000000, v9
	v_lshlrev_b32_e32 v19, 20, v19
	v_and_b32_e32 v19, 0x700000, v19
	v_or3_b32 v65, v19, v9, v0
.LBB312_680:                            ;   in Loop: Header=BB312_551 Depth=1
	s_or_b32 exec_lo, exec_lo, s27
.LBB312_681:                            ;   in Loop: Header=BB312_551 Depth=1
	s_or_b32 exec_lo, exec_lo, s26
.LBB312_682:                            ;   in Loop: Header=BB312_551 Depth=1
	s_or_b32 exec_lo, exec_lo, s22
	v_cmp_ne_u16_sdwa s0, v17, v10 src0_sel:BYTE_1 src1_sel:DWORD
	s_and_saveexec_b32 s22, s0
	s_cbranch_execz .LBB312_690
; %bb.683:                              ;   in Loop: Header=BB312_551 Depth=1
	v_cmp_ne_u16_sdwa s0, v17, v31 src0_sel:BYTE_1 src1_sel:DWORD
	v_bfrev_b32_e32 v64, 1
	s_and_saveexec_b32 s26, s0
	s_cbranch_execz .LBB312_689
; %bb.684:                              ;   in Loop: Header=BB312_551 Depth=1
	v_and_b32_sdwa v9, v32, v17 dst_sel:DWORD dst_unused:UNUSED_PAD src0_sel:DWORD src1_sel:BYTE_1
	v_mov_b32_e32 v64, 0x7f800001
	s_mov_b32 s27, exec_lo
	v_and_b32_e32 v20, 0x7f, v9
	v_cmpx_ne_u32_e32 0x7f, v20
	s_cbranch_execz .LBB312_688
; %bb.685:                              ;   in Loop: Header=BB312_551 Depth=1
	v_and_b32_e32 v9, 7, v9
	v_lshrrev_b32_e32 v19, 3, v20
	s_mov_b32 s28, exec_lo
	v_cmpx_gt_u32_e32 8, v20
; %bb.686:                              ;   in Loop: Header=BB312_551 Depth=1
	v_ffbh_u32_e32 v0, v9
	v_min_u32_e32 v0, 32, v0
	v_subrev_nc_u32_e32 v19, 28, v0
	v_lshlrev_b64 v[63:64], v19, v[9:10]
	v_sub_nc_u32_e32 v19, 29, v0
	v_and_b32_e32 v9, 7, v63
; %bb.687:                              ;   in Loop: Header=BB312_551 Depth=1
	s_or_b32 exec_lo, exec_lo, s28
	v_lshlrev_b32_e32 v0, 16, v17
	v_lshlrev_b32_e32 v9, 20, v9
	v_lshl_add_u32 v19, v19, 23, 0x3c000000
	v_and_b32_e32 v0, 0x80000000, v0
	v_or3_b32 v64, v9, v0, v19
.LBB312_688:                            ;   in Loop: Header=BB312_551 Depth=1
	s_or_b32 exec_lo, exec_lo, s27
.LBB312_689:                            ;   in Loop: Header=BB312_551 Depth=1
	s_or_b32 exec_lo, exec_lo, s26
.LBB312_690:                            ;   in Loop: Header=BB312_551 Depth=1
	s_or_b32 exec_lo, exec_lo, s22
	v_and_b32_sdwa v9, v17, v35 dst_sel:DWORD dst_unused:UNUSED_PAD src0_sel:WORD_1 src1_sel:DWORD
	v_mov_b32_e32 v66, 0
	v_mov_b32_e32 v63, 0
	s_mov_b32 s22, exec_lo
	v_cmpx_ne_u16_e32 0, v9
	s_cbranch_execz .LBB312_698
; %bb.691:                              ;   in Loop: Header=BB312_551 Depth=1
	v_bfrev_b32_e32 v63, 1
	s_mov_b32 s26, exec_lo
	v_cmpx_ne_u16_e32 0x80, v9
	s_cbranch_execz .LBB312_697
; %bb.692:                              ;   in Loop: Header=BB312_551 Depth=1
	v_bfe_u32 v20, v17, 16, 7
	v_mov_b32_e32 v63, 0x7f800001
	s_mov_b32 s27, exec_lo
	v_cmpx_ne_u32_e32 0x7f, v20
	s_cbranch_execz .LBB312_696
; %bb.693:                              ;   in Loop: Header=BB312_551 Depth=1
	v_and_b32_sdwa v9, v17, v36 dst_sel:DWORD dst_unused:UNUSED_PAD src0_sel:WORD_1 src1_sel:DWORD
	v_lshrrev_b32_e32 v19, 3, v20
	s_mov_b32 s28, exec_lo
	v_cmpx_gt_u32_e32 8, v20
; %bb.694:                              ;   in Loop: Header=BB312_551 Depth=1
	v_ffbh_u32_e32 v0, v9
	v_min_u32_e32 v0, 32, v0
	v_subrev_nc_u32_e32 v19, 28, v0
	v_lshlrev_b64 v[67:68], v19, v[9:10]
	v_sub_nc_u32_e32 v19, 29, v0
	v_and_b32_e32 v9, 7, v67
; %bb.695:                              ;   in Loop: Header=BB312_551 Depth=1
	s_or_b32 exec_lo, exec_lo, s28
	v_lshlrev_b32_sdwa v0, v37, v17 dst_sel:DWORD dst_unused:UNUSED_PAD src0_sel:DWORD src1_sel:WORD_1
	v_lshlrev_b32_e32 v9, 20, v9
	v_lshl_add_u32 v19, v19, 23, 0x3c000000
	v_and_b32_e32 v0, 0x80000000, v0
	v_or3_b32 v63, v9, v0, v19
.LBB312_696:                            ;   in Loop: Header=BB312_551 Depth=1
	s_or_b32 exec_lo, exec_lo, s27
.LBB312_697:                            ;   in Loop: Header=BB312_551 Depth=1
	s_or_b32 exec_lo, exec_lo, s26
.LBB312_698:                            ;   in Loop: Header=BB312_551 Depth=1
	s_or_b32 exec_lo, exec_lo, s22
	s_mov_b32 s22, exec_lo
	v_cmpx_lt_u32_e32 0xffffff, v17
	s_cbranch_execz .LBB312_706
; %bb.699:                              ;   in Loop: Header=BB312_551 Depth=1
	v_cmp_ne_u32_sdwa s0, v17, v31 src0_sel:BYTE_3 src1_sel:DWORD
	v_bfrev_b32_e32 v66, 1
	s_and_saveexec_b32 s26, s0
	s_cbranch_execz .LBB312_705
; %bb.700:                              ;   in Loop: Header=BB312_551 Depth=1
	v_bfe_u32 v20, v17, 24, 7
	v_mov_b32_e32 v66, 0x7f800001
	s_mov_b32 s27, exec_lo
	v_cmpx_ne_u32_e32 0x7f, v20
	s_cbranch_execz .LBB312_704
; %bb.701:                              ;   in Loop: Header=BB312_551 Depth=1
	v_and_b32_sdwa v9, v17, v36 dst_sel:DWORD dst_unused:UNUSED_PAD src0_sel:BYTE_3 src1_sel:DWORD
	v_lshrrev_b32_e32 v19, 3, v20
	s_mov_b32 s28, exec_lo
	v_cmpx_gt_u32_e32 8, v20
; %bb.702:                              ;   in Loop: Header=BB312_551 Depth=1
	v_ffbh_u32_e32 v0, v9
	v_min_u32_e32 v0, 32, v0
	v_subrev_nc_u32_e32 v19, 28, v0
	v_lshlrev_b64 v[66:67], v19, v[9:10]
	v_sub_nc_u32_e32 v19, 29, v0
	v_and_b32_e32 v9, 7, v66
; %bb.703:                              ;   in Loop: Header=BB312_551 Depth=1
	s_or_b32 exec_lo, exec_lo, s28
	v_lshlrev_b32_sdwa v0, v37, v17 dst_sel:DWORD dst_unused:UNUSED_PAD src0_sel:DWORD src1_sel:BYTE_3
	v_lshlrev_b32_e32 v9, 20, v9
	v_lshl_add_u32 v19, v19, 23, 0x3c000000
	v_and_b32_e32 v0, 0x80000000, v0
	v_or3_b32 v66, v9, v0, v19
.LBB312_704:                            ;   in Loop: Header=BB312_551 Depth=1
	s_or_b32 exec_lo, exec_lo, s27
.LBB312_705:                            ;   in Loop: Header=BB312_551 Depth=1
	s_or_b32 exec_lo, exec_lo, s26
.LBB312_706:                            ;   in Loop: Header=BB312_551 Depth=1
	s_or_b32 exec_lo, exec_lo, s22
	v_mov_b32_e32 v9, v18
	v_cmp_ne_u16_sdwa s0, v18, v10 src0_sel:BYTE_0 src1_sel:DWORD
	v_mov_b32_e32 v19, 0
	v_mov_b32_e32 v67, 0
	s_and_saveexec_b32 s22, s0
	s_cbranch_execz .LBB312_712
; %bb.707:                              ;   in Loop: Header=BB312_551 Depth=1
	v_cmp_ne_u16_sdwa s0, v18, v31 src0_sel:BYTE_0 src1_sel:DWORD
	v_bfrev_b32_e32 v67, 1
	s_and_saveexec_b32 s26, s0
	s_cbranch_execz .LBB312_711
; %bb.708:                              ;   in Loop: Header=BB312_551 Depth=1
	v_and_b32_e32 v20, 0x7f, v18
	v_mov_b32_e32 v67, 0x7f800001
	s_mov_b32 s27, exec_lo
	v_cmpx_ne_u32_e32 0x7f, v20
	s_cbranch_execz .LBB312_710
; %bb.709:                              ;   in Loop: Header=BB312_551 Depth=1
	v_and_b32_e32 v0, 7, v18
	v_cmp_gt_u32_e64 s0, 8, v20
	v_lshrrev_b32_e32 v33, 3, v20
	v_ffbh_u32_e32 v0, v0
	v_min_u32_e32 v0, 32, v0
	v_subrev_nc_u32_e32 v67, 28, v0
	v_sub_nc_u32_e32 v0, 29, v0
	v_cndmask_b32_e64 v20, 0, v67, s0
	v_cndmask_b32_e64 v0, v33, v0, s0
	v_lshlrev_b64 v[67:68], v20, v[9:10]
	v_lshlrev_b32_e32 v20, 24, v9
	v_lshl_add_u32 v0, v0, 23, 0x3c000000
	v_and_b32_e32 v20, 0x80000000, v20
	v_lshlrev_b32_e32 v33, 20, v67
	v_and_b32_e32 v33, 0x700000, v33
	v_or3_b32 v67, v33, v20, v0
.LBB312_710:                            ;   in Loop: Header=BB312_551 Depth=1
	s_or_b32 exec_lo, exec_lo, s27
.LBB312_711:                            ;   in Loop: Header=BB312_551 Depth=1
	s_or_b32 exec_lo, exec_lo, s26
.LBB312_712:                            ;   in Loop: Header=BB312_551 Depth=1
	s_or_b32 exec_lo, exec_lo, s22
	v_cmp_ne_u16_sdwa s0, v9, v10 src0_sel:BYTE_1 src1_sel:DWORD
	s_and_saveexec_b32 s22, s0
	s_cbranch_execz .LBB312_720
; %bb.713:                              ;   in Loop: Header=BB312_551 Depth=1
	v_cmp_ne_u16_sdwa s0, v9, v31 src0_sel:BYTE_1 src1_sel:DWORD
	v_bfrev_b32_e32 v19, 1
	s_and_saveexec_b32 s26, s0
	s_cbranch_execz .LBB312_719
; %bb.714:                              ;   in Loop: Header=BB312_551 Depth=1
	v_and_b32_sdwa v20, v32, v9 dst_sel:DWORD dst_unused:UNUSED_PAD src0_sel:DWORD src1_sel:BYTE_1
	v_mov_b32_e32 v19, 0x7f800001
	s_mov_b32 s27, exec_lo
	v_and_b32_e32 v69, 0x7f, v20
	v_cmpx_ne_u32_e32 0x7f, v69
	s_cbranch_execz .LBB312_718
; %bb.715:                              ;   in Loop: Header=BB312_551 Depth=1
	v_and_b32_e32 v19, 7, v20
	v_mov_b32_e32 v20, v10
	v_lshrrev_b32_e32 v68, 3, v69
	s_mov_b32 s28, exec_lo
	v_cmpx_gt_u32_e32 8, v69
; %bb.716:                              ;   in Loop: Header=BB312_551 Depth=1
	v_ffbh_u32_e32 v0, v19
	v_min_u32_e32 v0, 32, v0
	v_subrev_nc_u32_e32 v33, 28, v0
	v_sub_nc_u32_e32 v68, 29, v0
	v_lshlrev_b64 v[19:20], v33, v[19:20]
	v_and_b32_e32 v19, 7, v19
; %bb.717:                              ;   in Loop: Header=BB312_551 Depth=1
	s_or_b32 exec_lo, exec_lo, s28
	v_lshlrev_b32_e32 v0, 16, v9
	v_lshlrev_b32_e32 v9, 20, v19
	v_lshl_add_u32 v19, v68, 23, 0x3c000000
	v_and_b32_e32 v0, 0x80000000, v0
	v_or3_b32 v19, v9, v0, v19
.LBB312_718:                            ;   in Loop: Header=BB312_551 Depth=1
	s_or_b32 exec_lo, exec_lo, s27
.LBB312_719:                            ;   in Loop: Header=BB312_551 Depth=1
	s_or_b32 exec_lo, exec_lo, s26
.LBB312_720:                            ;   in Loop: Header=BB312_551 Depth=1
	s_or_b32 exec_lo, exec_lo, s22
	v_and_b32_sdwa v9, v18, v35 dst_sel:DWORD dst_unused:UNUSED_PAD src0_sel:WORD_1 src1_sel:DWORD
	v_mov_b32_e32 v20, 0
	v_mov_b32_e32 v68, 0
	s_mov_b32 s22, exec_lo
	v_cmpx_ne_u16_e32 0, v9
	s_cbranch_execz .LBB312_728
; %bb.721:                              ;   in Loop: Header=BB312_551 Depth=1
	v_bfrev_b32_e32 v68, 1
	s_mov_b32 s26, exec_lo
	v_cmpx_ne_u16_e32 0x80, v9
	s_cbranch_execz .LBB312_727
; %bb.722:                              ;   in Loop: Header=BB312_551 Depth=1
	v_bfe_u32 v69, v18, 16, 7
	v_mov_b32_e32 v68, 0x7f800001
	s_mov_b32 s27, exec_lo
	v_cmpx_ne_u32_e32 0x7f, v69
	s_cbranch_execz .LBB312_726
; %bb.723:                              ;   in Loop: Header=BB312_551 Depth=1
	v_and_b32_sdwa v9, v18, v36 dst_sel:DWORD dst_unused:UNUSED_PAD src0_sel:WORD_1 src1_sel:DWORD
	v_lshrrev_b32_e32 v68, 3, v69
	s_mov_b32 s28, exec_lo
	v_cmpx_gt_u32_e32 8, v69
; %bb.724:                              ;   in Loop: Header=BB312_551 Depth=1
	v_ffbh_u32_e32 v0, v9
	v_min_u32_e32 v0, 32, v0
	v_subrev_nc_u32_e32 v33, 28, v0
	v_sub_nc_u32_e32 v68, 29, v0
	v_lshlrev_b64 v[69:70], v33, v[9:10]
	v_and_b32_e32 v9, 7, v69
; %bb.725:                              ;   in Loop: Header=BB312_551 Depth=1
	s_or_b32 exec_lo, exec_lo, s28
	v_lshlrev_b32_sdwa v0, v37, v18 dst_sel:DWORD dst_unused:UNUSED_PAD src0_sel:DWORD src1_sel:WORD_1
	v_lshlrev_b32_e32 v9, 20, v9
	v_lshl_add_u32 v33, v68, 23, 0x3c000000
	v_and_b32_e32 v0, 0x80000000, v0
	v_or3_b32 v68, v9, v0, v33
.LBB312_726:                            ;   in Loop: Header=BB312_551 Depth=1
	s_or_b32 exec_lo, exec_lo, s27
.LBB312_727:                            ;   in Loop: Header=BB312_551 Depth=1
	s_or_b32 exec_lo, exec_lo, s26
.LBB312_728:                            ;   in Loop: Header=BB312_551 Depth=1
	s_or_b32 exec_lo, exec_lo, s22
	s_mov_b32 s22, exec_lo
	v_cmpx_lt_u64_e64 s[2:3], v[17:18]
	s_cbranch_execz .LBB312_736
; %bb.729:                              ;   in Loop: Header=BB312_551 Depth=1
	v_cmp_ne_u32_sdwa s0, v18, v31 src0_sel:BYTE_3 src1_sel:DWORD
	v_bfrev_b32_e32 v20, 1
	s_and_saveexec_b32 s26, s0
	s_cbranch_execz .LBB312_735
; %bb.730:                              ;   in Loop: Header=BB312_551 Depth=1
	v_bfe_u32 v69, v18, 24, 7
	v_mov_b32_e32 v20, 0x7f800001
	s_mov_b32 s27, exec_lo
	v_cmpx_ne_u32_e32 0x7f, v69
	s_cbranch_execz .LBB312_734
; %bb.731:                              ;   in Loop: Header=BB312_551 Depth=1
	v_and_b32_sdwa v9, v18, v36 dst_sel:DWORD dst_unused:UNUSED_PAD src0_sel:BYTE_3 src1_sel:DWORD
	v_lshrrev_b32_e32 v17, 3, v69
	s_mov_b32 s28, exec_lo
	v_cmpx_gt_u32_e32 8, v69
; %bb.732:                              ;   in Loop: Header=BB312_551 Depth=1
	v_ffbh_u32_e32 v0, v9
	v_min_u32_e32 v0, 32, v0
	v_subrev_nc_u32_e32 v17, 28, v0
	v_lshlrev_b64 v[69:70], v17, v[9:10]
	v_sub_nc_u32_e32 v17, 29, v0
	v_and_b32_e32 v9, 7, v69
; %bb.733:                              ;   in Loop: Header=BB312_551 Depth=1
	s_or_b32 exec_lo, exec_lo, s28
	v_lshlrev_b32_sdwa v0, v37, v18 dst_sel:DWORD dst_unused:UNUSED_PAD src0_sel:DWORD src1_sel:BYTE_3
	v_lshlrev_b32_e32 v9, 20, v9
	v_lshl_add_u32 v17, v17, 23, 0x3c000000
	v_and_b32_e32 v0, 0x80000000, v0
	v_or3_b32 v20, v9, v0, v17
.LBB312_734:                            ;   in Loop: Header=BB312_551 Depth=1
	s_or_b32 exec_lo, exec_lo, s27
.LBB312_735:                            ;   in Loop: Header=BB312_551 Depth=1
	s_or_b32 exec_lo, exec_lo, s26
.LBB312_736:                            ;   in Loop: Header=BB312_551 Depth=1
	s_or_b32 exec_lo, exec_lo, s22
	v_mul_f32_e32 v0, s21, v19
	v_mul_f32_e32 v9, s21, v67
	;; [unrolled: 1-line block ×5, first 2 shown]
	v_bfe_u32 v19, v0, 16, 1
	v_or_b32_e32 v33, 0x400000, v0
	v_bfe_u32 v63, v9, 16, 1
	v_cmp_u_f32_e64 s0, v0, v0
	v_or_b32_e32 v66, 0x400000, v9
	v_add3_u32 v19, v19, v0, 0x7fff
	v_bfe_u32 v67, v17, 16, 1
	v_add3_u32 v63, v63, v9, 0x7fff
	v_or_b32_e32 v69, 0x400000, v17
	v_bfe_u32 v70, v18, 16, 1
	v_cndmask_b32_e64 v0, v19, v33, s0
	v_cmp_u_f32_e64 s0, v9, v9
	v_add3_u32 v67, v67, v17, 0x7fff
	v_or_b32_e32 v33, 0x400000, v18
	v_add3_u32 v19, v70, v18, 0x7fff
	v_cndmask_b32_e64 v9, v63, v66, s0
	v_cmp_u_f32_e64 s0, v17, v17
	v_lshrrev_b32_e32 v63, 16, v0
	v_mul_f32_e32 v0, s21, v64
	v_lshrrev_b32_e32 v64, 16, v9
	v_cndmask_b32_e64 v17, v67, v69, s0
	v_cmp_u_f32_e64 s0, v18, v18
	v_bfe_u32 v9, v0, 16, 1
	v_mul_f32_e32 v18, s21, v65
	v_or_b32_e32 v69, 0x400000, v20
	v_lshrrev_b32_e32 v66, 16, v17
	v_cndmask_b32_e64 v17, v19, v33, s0
	v_mul_f32_e32 v19, s21, v68
	v_add3_u32 v9, v9, v0, 0x7fff
	v_or_b32_e32 v33, 0x400000, v0
	v_bfe_u32 v65, v18, 16, 1
	v_cmp_u_f32_e64 s0, v0, v0
	v_bfe_u32 v67, v19, 16, 1
	v_or_b32_e32 v68, 0x400000, v19
	v_cndmask_b32_e64 v0, v9, v33, s0
	v_add3_u32 v33, v65, v18, 0x7fff
	v_or_b32_e32 v65, 0x400000, v18
	v_cmp_u_f32_e64 s0, v18, v18
	v_bfe_u32 v9, v20, 16, 1
	v_add3_u32 v67, v67, v19, 0x7fff
	v_lshrrev_b32_e32 v70, 16, v0
	v_cndmask_b32_e64 v18, v33, v65, s0
	v_cmp_u_f32_e64 s0, v19, v19
	v_add3_u32 v9, v9, v20, 0x7fff
	v_cndmask_b32_e64 v19, v67, v68, s0
	v_cmp_u_f32_e64 s0, v20, v20
	v_lshrrev_b32_e32 v68, 16, v17
	v_lshrrev_b32_e32 v65, 16, v19
	v_cndmask_b32_e64 v9, v9, v69, s0
	v_lshrrev_b32_e32 v69, 16, v18
	v_lshrrev_b32_e32 v67, 16, v9
	s_and_saveexec_b32 s22, vcc_lo
	s_cbranch_execz .LBB312_738
; %bb.737:                              ;   in Loop: Header=BB312_551 Depth=1
	v_cmp_gt_i32_e64 s0, s33, v34
	v_cndmask_b32_e64 v69, 0, v69, s0
	v_cmp_gt_i32_e64 s0, s33, v59
	v_cndmask_b32_e64 v70, 0, v70, s0
	;; [unrolled: 2-line block ×8, first 2 shown]
.LBB312_738:                            ;   in Loop: Header=BB312_551 Depth=1
	s_or_b32 exec_lo, exec_lo, s22
	global_load_dwordx2 v[17:18], v[15:16], off offset:768
	v_mov_b32_e32 v72, 0
	v_mov_b32_e32 v73, 0
	s_waitcnt vmcnt(0)
	v_cmp_ne_u16_sdwa s0, v17, v10 src0_sel:BYTE_0 src1_sel:DWORD
	s_and_saveexec_b32 s22, s0
	s_cbranch_execz .LBB312_744
; %bb.739:                              ;   in Loop: Header=BB312_551 Depth=1
	v_cmp_ne_u16_sdwa s0, v17, v31 src0_sel:BYTE_0 src1_sel:DWORD
	v_bfrev_b32_e32 v73, 1
	s_and_saveexec_b32 s26, s0
	s_cbranch_execz .LBB312_743
; %bb.740:                              ;   in Loop: Header=BB312_551 Depth=1
	v_and_b32_e32 v9, 0x7f, v17
	v_mov_b32_e32 v73, 0x7f800001
	s_mov_b32 s27, exec_lo
	v_cmpx_ne_u32_e32 0x7f, v9
	s_cbranch_execz .LBB312_742
; %bb.741:                              ;   in Loop: Header=BB312_551 Depth=1
	v_and_b32_e32 v0, 7, v17
	v_cmp_gt_u32_e64 s0, 8, v9
	v_lshrrev_b32_e32 v19, 3, v9
	v_ffbh_u32_e32 v0, v0
	v_min_u32_e32 v0, 32, v0
	v_subrev_nc_u32_e32 v20, 28, v0
	v_sub_nc_u32_e32 v0, 29, v0
	v_cndmask_b32_e64 v9, 0, v20, s0
	v_cndmask_b32_e64 v0, v19, v0, s0
	v_lshlrev_b64 v[19:20], v9, v[17:18]
	v_lshlrev_b32_e32 v9, 24, v17
	v_lshl_add_u32 v0, v0, 23, 0x3c000000
	v_and_b32_e32 v9, 0x80000000, v9
	v_lshlrev_b32_e32 v19, 20, v19
	v_and_b32_e32 v19, 0x700000, v19
	v_or3_b32 v73, v19, v9, v0
.LBB312_742:                            ;   in Loop: Header=BB312_551 Depth=1
	s_or_b32 exec_lo, exec_lo, s27
.LBB312_743:                            ;   in Loop: Header=BB312_551 Depth=1
	s_or_b32 exec_lo, exec_lo, s26
.LBB312_744:                            ;   in Loop: Header=BB312_551 Depth=1
	s_or_b32 exec_lo, exec_lo, s22
	v_cmp_ne_u16_sdwa s0, v17, v10 src0_sel:BYTE_1 src1_sel:DWORD
	s_and_saveexec_b32 s22, s0
	s_cbranch_execz .LBB312_752
; %bb.745:                              ;   in Loop: Header=BB312_551 Depth=1
	v_cmp_ne_u16_sdwa s0, v17, v31 src0_sel:BYTE_1 src1_sel:DWORD
	v_bfrev_b32_e32 v72, 1
	s_and_saveexec_b32 s26, s0
	s_cbranch_execz .LBB312_751
; %bb.746:                              ;   in Loop: Header=BB312_551 Depth=1
	v_and_b32_sdwa v9, v32, v17 dst_sel:DWORD dst_unused:UNUSED_PAD src0_sel:DWORD src1_sel:BYTE_1
	v_mov_b32_e32 v72, 0x7f800001
	s_mov_b32 s27, exec_lo
	v_and_b32_e32 v20, 0x7f, v9
	v_cmpx_ne_u32_e32 0x7f, v20
	s_cbranch_execz .LBB312_750
; %bb.747:                              ;   in Loop: Header=BB312_551 Depth=1
	v_and_b32_e32 v9, 7, v9
	v_lshrrev_b32_e32 v19, 3, v20
	s_mov_b32 s28, exec_lo
	v_cmpx_gt_u32_e32 8, v20
; %bb.748:                              ;   in Loop: Header=BB312_551 Depth=1
	v_ffbh_u32_e32 v0, v9
	v_min_u32_e32 v0, 32, v0
	v_subrev_nc_u32_e32 v19, 28, v0
	v_lshlrev_b64 v[71:72], v19, v[9:10]
	v_sub_nc_u32_e32 v19, 29, v0
	v_and_b32_e32 v9, 7, v71
; %bb.749:                              ;   in Loop: Header=BB312_551 Depth=1
	s_or_b32 exec_lo, exec_lo, s28
	v_lshlrev_b32_e32 v0, 16, v17
	v_lshlrev_b32_e32 v9, 20, v9
	v_lshl_add_u32 v19, v19, 23, 0x3c000000
	v_and_b32_e32 v0, 0x80000000, v0
	v_or3_b32 v72, v9, v0, v19
.LBB312_750:                            ;   in Loop: Header=BB312_551 Depth=1
	s_or_b32 exec_lo, exec_lo, s27
.LBB312_751:                            ;   in Loop: Header=BB312_551 Depth=1
	s_or_b32 exec_lo, exec_lo, s26
.LBB312_752:                            ;   in Loop: Header=BB312_551 Depth=1
	s_or_b32 exec_lo, exec_lo, s22
	v_and_b32_sdwa v9, v17, v35 dst_sel:DWORD dst_unused:UNUSED_PAD src0_sel:WORD_1 src1_sel:DWORD
	v_mov_b32_e32 v74, 0
	v_mov_b32_e32 v71, 0
	s_mov_b32 s22, exec_lo
	v_cmpx_ne_u16_e32 0, v9
	s_cbranch_execz .LBB312_760
; %bb.753:                              ;   in Loop: Header=BB312_551 Depth=1
	v_bfrev_b32_e32 v71, 1
	s_mov_b32 s26, exec_lo
	v_cmpx_ne_u16_e32 0x80, v9
	s_cbranch_execz .LBB312_759
; %bb.754:                              ;   in Loop: Header=BB312_551 Depth=1
	v_bfe_u32 v20, v17, 16, 7
	v_mov_b32_e32 v71, 0x7f800001
	s_mov_b32 s27, exec_lo
	v_cmpx_ne_u32_e32 0x7f, v20
	s_cbranch_execz .LBB312_758
; %bb.755:                              ;   in Loop: Header=BB312_551 Depth=1
	v_and_b32_sdwa v9, v17, v36 dst_sel:DWORD dst_unused:UNUSED_PAD src0_sel:WORD_1 src1_sel:DWORD
	v_lshrrev_b32_e32 v19, 3, v20
	s_mov_b32 s28, exec_lo
	v_cmpx_gt_u32_e32 8, v20
; %bb.756:                              ;   in Loop: Header=BB312_551 Depth=1
	v_ffbh_u32_e32 v0, v9
	v_min_u32_e32 v0, 32, v0
	v_subrev_nc_u32_e32 v19, 28, v0
	v_lshlrev_b64 v[75:76], v19, v[9:10]
	v_sub_nc_u32_e32 v19, 29, v0
	v_and_b32_e32 v9, 7, v75
; %bb.757:                              ;   in Loop: Header=BB312_551 Depth=1
	s_or_b32 exec_lo, exec_lo, s28
	v_lshlrev_b32_sdwa v0, v37, v17 dst_sel:DWORD dst_unused:UNUSED_PAD src0_sel:DWORD src1_sel:WORD_1
	v_lshlrev_b32_e32 v9, 20, v9
	v_lshl_add_u32 v19, v19, 23, 0x3c000000
	v_and_b32_e32 v0, 0x80000000, v0
	v_or3_b32 v71, v9, v0, v19
.LBB312_758:                            ;   in Loop: Header=BB312_551 Depth=1
	s_or_b32 exec_lo, exec_lo, s27
.LBB312_759:                            ;   in Loop: Header=BB312_551 Depth=1
	s_or_b32 exec_lo, exec_lo, s26
.LBB312_760:                            ;   in Loop: Header=BB312_551 Depth=1
	s_or_b32 exec_lo, exec_lo, s22
	s_mov_b32 s22, exec_lo
	v_cmpx_lt_u32_e32 0xffffff, v17
	s_cbranch_execz .LBB312_768
; %bb.761:                              ;   in Loop: Header=BB312_551 Depth=1
	v_cmp_ne_u32_sdwa s0, v17, v31 src0_sel:BYTE_3 src1_sel:DWORD
	v_bfrev_b32_e32 v74, 1
	s_and_saveexec_b32 s26, s0
	s_cbranch_execz .LBB312_767
; %bb.762:                              ;   in Loop: Header=BB312_551 Depth=1
	v_bfe_u32 v20, v17, 24, 7
	v_mov_b32_e32 v74, 0x7f800001
	s_mov_b32 s27, exec_lo
	v_cmpx_ne_u32_e32 0x7f, v20
	s_cbranch_execz .LBB312_766
; %bb.763:                              ;   in Loop: Header=BB312_551 Depth=1
	v_and_b32_sdwa v9, v17, v36 dst_sel:DWORD dst_unused:UNUSED_PAD src0_sel:BYTE_3 src1_sel:DWORD
	v_lshrrev_b32_e32 v19, 3, v20
	s_mov_b32 s28, exec_lo
	v_cmpx_gt_u32_e32 8, v20
; %bb.764:                              ;   in Loop: Header=BB312_551 Depth=1
	v_ffbh_u32_e32 v0, v9
	v_min_u32_e32 v0, 32, v0
	v_subrev_nc_u32_e32 v19, 28, v0
	v_lshlrev_b64 v[74:75], v19, v[9:10]
	v_sub_nc_u32_e32 v19, 29, v0
	v_and_b32_e32 v9, 7, v74
; %bb.765:                              ;   in Loop: Header=BB312_551 Depth=1
	s_or_b32 exec_lo, exec_lo, s28
	v_lshlrev_b32_sdwa v0, v37, v17 dst_sel:DWORD dst_unused:UNUSED_PAD src0_sel:DWORD src1_sel:BYTE_3
	v_lshlrev_b32_e32 v9, 20, v9
	v_lshl_add_u32 v19, v19, 23, 0x3c000000
	v_and_b32_e32 v0, 0x80000000, v0
	v_or3_b32 v74, v9, v0, v19
.LBB312_766:                            ;   in Loop: Header=BB312_551 Depth=1
	s_or_b32 exec_lo, exec_lo, s27
.LBB312_767:                            ;   in Loop: Header=BB312_551 Depth=1
	s_or_b32 exec_lo, exec_lo, s26
.LBB312_768:                            ;   in Loop: Header=BB312_551 Depth=1
	s_or_b32 exec_lo, exec_lo, s22
	v_mov_b32_e32 v9, v18
	v_cmp_ne_u16_sdwa s0, v18, v10 src0_sel:BYTE_0 src1_sel:DWORD
	v_mov_b32_e32 v19, 0
	v_mov_b32_e32 v75, 0
	s_and_saveexec_b32 s22, s0
	s_cbranch_execz .LBB312_774
; %bb.769:                              ;   in Loop: Header=BB312_551 Depth=1
	v_cmp_ne_u16_sdwa s0, v18, v31 src0_sel:BYTE_0 src1_sel:DWORD
	v_bfrev_b32_e32 v75, 1
	s_and_saveexec_b32 s26, s0
	s_cbranch_execz .LBB312_773
; %bb.770:                              ;   in Loop: Header=BB312_551 Depth=1
	v_and_b32_e32 v20, 0x7f, v18
	v_mov_b32_e32 v75, 0x7f800001
	s_mov_b32 s27, exec_lo
	v_cmpx_ne_u32_e32 0x7f, v20
	s_cbranch_execz .LBB312_772
; %bb.771:                              ;   in Loop: Header=BB312_551 Depth=1
	v_and_b32_e32 v0, 7, v18
	v_cmp_gt_u32_e64 s0, 8, v20
	v_lshrrev_b32_e32 v33, 3, v20
	v_ffbh_u32_e32 v0, v0
	v_min_u32_e32 v0, 32, v0
	v_subrev_nc_u32_e32 v75, 28, v0
	v_sub_nc_u32_e32 v0, 29, v0
	v_cndmask_b32_e64 v20, 0, v75, s0
	v_cndmask_b32_e64 v0, v33, v0, s0
	v_lshlrev_b64 v[75:76], v20, v[9:10]
	v_lshlrev_b32_e32 v20, 24, v9
	v_lshl_add_u32 v0, v0, 23, 0x3c000000
	v_and_b32_e32 v20, 0x80000000, v20
	v_lshlrev_b32_e32 v33, 20, v75
	v_and_b32_e32 v33, 0x700000, v33
	v_or3_b32 v75, v33, v20, v0
.LBB312_772:                            ;   in Loop: Header=BB312_551 Depth=1
	s_or_b32 exec_lo, exec_lo, s27
.LBB312_773:                            ;   in Loop: Header=BB312_551 Depth=1
	s_or_b32 exec_lo, exec_lo, s26
.LBB312_774:                            ;   in Loop: Header=BB312_551 Depth=1
	s_or_b32 exec_lo, exec_lo, s22
	v_cmp_ne_u16_sdwa s0, v9, v10 src0_sel:BYTE_1 src1_sel:DWORD
	s_and_saveexec_b32 s22, s0
	s_cbranch_execz .LBB312_782
; %bb.775:                              ;   in Loop: Header=BB312_551 Depth=1
	v_cmp_ne_u16_sdwa s0, v9, v31 src0_sel:BYTE_1 src1_sel:DWORD
	v_bfrev_b32_e32 v19, 1
	s_and_saveexec_b32 s26, s0
	s_cbranch_execz .LBB312_781
; %bb.776:                              ;   in Loop: Header=BB312_551 Depth=1
	v_and_b32_sdwa v20, v32, v9 dst_sel:DWORD dst_unused:UNUSED_PAD src0_sel:DWORD src1_sel:BYTE_1
	v_mov_b32_e32 v19, 0x7f800001
	s_mov_b32 s27, exec_lo
	v_and_b32_e32 v77, 0x7f, v20
	v_cmpx_ne_u32_e32 0x7f, v77
	s_cbranch_execz .LBB312_780
; %bb.777:                              ;   in Loop: Header=BB312_551 Depth=1
	v_and_b32_e32 v19, 7, v20
	v_mov_b32_e32 v20, v10
	v_lshrrev_b32_e32 v76, 3, v77
	s_mov_b32 s28, exec_lo
	v_cmpx_gt_u32_e32 8, v77
; %bb.778:                              ;   in Loop: Header=BB312_551 Depth=1
	v_ffbh_u32_e32 v0, v19
	v_min_u32_e32 v0, 32, v0
	v_subrev_nc_u32_e32 v33, 28, v0
	v_sub_nc_u32_e32 v76, 29, v0
	v_lshlrev_b64 v[19:20], v33, v[19:20]
	v_and_b32_e32 v19, 7, v19
; %bb.779:                              ;   in Loop: Header=BB312_551 Depth=1
	s_or_b32 exec_lo, exec_lo, s28
	v_lshlrev_b32_e32 v0, 16, v9
	v_lshlrev_b32_e32 v9, 20, v19
	v_lshl_add_u32 v19, v76, 23, 0x3c000000
	v_and_b32_e32 v0, 0x80000000, v0
	v_or3_b32 v19, v9, v0, v19
.LBB312_780:                            ;   in Loop: Header=BB312_551 Depth=1
	s_or_b32 exec_lo, exec_lo, s27
.LBB312_781:                            ;   in Loop: Header=BB312_551 Depth=1
	s_or_b32 exec_lo, exec_lo, s26
.LBB312_782:                            ;   in Loop: Header=BB312_551 Depth=1
	s_or_b32 exec_lo, exec_lo, s22
	v_and_b32_sdwa v9, v18, v35 dst_sel:DWORD dst_unused:UNUSED_PAD src0_sel:WORD_1 src1_sel:DWORD
	v_mov_b32_e32 v20, 0
	v_mov_b32_e32 v76, 0
	s_mov_b32 s22, exec_lo
	v_cmpx_ne_u16_e32 0, v9
	s_cbranch_execz .LBB312_790
; %bb.783:                              ;   in Loop: Header=BB312_551 Depth=1
	v_bfrev_b32_e32 v76, 1
	s_mov_b32 s26, exec_lo
	v_cmpx_ne_u16_e32 0x80, v9
	s_cbranch_execz .LBB312_789
; %bb.784:                              ;   in Loop: Header=BB312_551 Depth=1
	v_bfe_u32 v77, v18, 16, 7
	v_mov_b32_e32 v76, 0x7f800001
	s_mov_b32 s27, exec_lo
	v_cmpx_ne_u32_e32 0x7f, v77
	s_cbranch_execz .LBB312_788
; %bb.785:                              ;   in Loop: Header=BB312_551 Depth=1
	v_and_b32_sdwa v9, v18, v36 dst_sel:DWORD dst_unused:UNUSED_PAD src0_sel:WORD_1 src1_sel:DWORD
	v_lshrrev_b32_e32 v76, 3, v77
	s_mov_b32 s28, exec_lo
	v_cmpx_gt_u32_e32 8, v77
; %bb.786:                              ;   in Loop: Header=BB312_551 Depth=1
	v_ffbh_u32_e32 v0, v9
	v_min_u32_e32 v0, 32, v0
	v_subrev_nc_u32_e32 v33, 28, v0
	v_sub_nc_u32_e32 v76, 29, v0
	v_lshlrev_b64 v[77:78], v33, v[9:10]
	v_and_b32_e32 v9, 7, v77
; %bb.787:                              ;   in Loop: Header=BB312_551 Depth=1
	s_or_b32 exec_lo, exec_lo, s28
	v_lshlrev_b32_sdwa v0, v37, v18 dst_sel:DWORD dst_unused:UNUSED_PAD src0_sel:DWORD src1_sel:WORD_1
	v_lshlrev_b32_e32 v9, 20, v9
	v_lshl_add_u32 v33, v76, 23, 0x3c000000
	v_and_b32_e32 v0, 0x80000000, v0
	v_or3_b32 v76, v9, v0, v33
.LBB312_788:                            ;   in Loop: Header=BB312_551 Depth=1
	s_or_b32 exec_lo, exec_lo, s27
.LBB312_789:                            ;   in Loop: Header=BB312_551 Depth=1
	s_or_b32 exec_lo, exec_lo, s26
.LBB312_790:                            ;   in Loop: Header=BB312_551 Depth=1
	s_or_b32 exec_lo, exec_lo, s22
	s_mov_b32 s22, exec_lo
	v_cmpx_lt_u64_e64 s[2:3], v[17:18]
	s_cbranch_execz .LBB312_798
; %bb.791:                              ;   in Loop: Header=BB312_551 Depth=1
	v_cmp_ne_u32_sdwa s0, v18, v31 src0_sel:BYTE_3 src1_sel:DWORD
	v_bfrev_b32_e32 v20, 1
	s_and_saveexec_b32 s26, s0
	s_cbranch_execz .LBB312_797
; %bb.792:                              ;   in Loop: Header=BB312_551 Depth=1
	v_bfe_u32 v77, v18, 24, 7
	v_mov_b32_e32 v20, 0x7f800001
	s_mov_b32 s27, exec_lo
	v_cmpx_ne_u32_e32 0x7f, v77
	s_cbranch_execz .LBB312_796
; %bb.793:                              ;   in Loop: Header=BB312_551 Depth=1
	v_and_b32_sdwa v9, v18, v36 dst_sel:DWORD dst_unused:UNUSED_PAD src0_sel:BYTE_3 src1_sel:DWORD
	v_lshrrev_b32_e32 v17, 3, v77
	s_mov_b32 s28, exec_lo
	v_cmpx_gt_u32_e32 8, v77
; %bb.794:                              ;   in Loop: Header=BB312_551 Depth=1
	v_ffbh_u32_e32 v0, v9
	v_min_u32_e32 v0, 32, v0
	v_subrev_nc_u32_e32 v17, 28, v0
	v_lshlrev_b64 v[77:78], v17, v[9:10]
	v_sub_nc_u32_e32 v17, 29, v0
	v_and_b32_e32 v9, 7, v77
; %bb.795:                              ;   in Loop: Header=BB312_551 Depth=1
	s_or_b32 exec_lo, exec_lo, s28
	v_lshlrev_b32_sdwa v0, v37, v18 dst_sel:DWORD dst_unused:UNUSED_PAD src0_sel:DWORD src1_sel:BYTE_3
	v_lshlrev_b32_e32 v9, 20, v9
	v_lshl_add_u32 v17, v17, 23, 0x3c000000
	v_and_b32_e32 v0, 0x80000000, v0
	v_or3_b32 v20, v9, v0, v17
.LBB312_796:                            ;   in Loop: Header=BB312_551 Depth=1
	s_or_b32 exec_lo, exec_lo, s27
.LBB312_797:                            ;   in Loop: Header=BB312_551 Depth=1
	s_or_b32 exec_lo, exec_lo, s26
.LBB312_798:                            ;   in Loop: Header=BB312_551 Depth=1
	s_or_b32 exec_lo, exec_lo, s22
	v_mul_f32_e32 v0, s21, v19
	v_mul_f32_e32 v9, s21, v75
	;; [unrolled: 1-line block ×5, first 2 shown]
	v_bfe_u32 v19, v0, 16, 1
	v_or_b32_e32 v33, 0x400000, v0
	v_bfe_u32 v71, v9, 16, 1
	v_cmp_u_f32_e64 s0, v0, v0
	v_or_b32_e32 v74, 0x400000, v9
	v_add3_u32 v19, v19, v0, 0x7fff
	v_bfe_u32 v75, v17, 16, 1
	v_add3_u32 v71, v71, v9, 0x7fff
	v_or_b32_e32 v77, 0x400000, v17
	v_bfe_u32 v78, v18, 16, 1
	v_cndmask_b32_e64 v0, v19, v33, s0
	v_cmp_u_f32_e64 s0, v9, v9
	v_add3_u32 v75, v75, v17, 0x7fff
	v_or_b32_e32 v33, 0x400000, v18
	v_add3_u32 v19, v78, v18, 0x7fff
	v_cndmask_b32_e64 v9, v71, v74, s0
	v_cmp_u_f32_e64 s0, v17, v17
	v_lshrrev_b32_e32 v71, 16, v0
	v_mul_f32_e32 v0, s21, v72
	v_lshrrev_b32_e32 v72, 16, v9
	v_cndmask_b32_e64 v17, v75, v77, s0
	v_cmp_u_f32_e64 s0, v18, v18
	v_bfe_u32 v9, v0, 16, 1
	v_mul_f32_e32 v18, s21, v73
	v_or_b32_e32 v77, 0x400000, v20
	v_lshrrev_b32_e32 v74, 16, v17
	v_cndmask_b32_e64 v17, v19, v33, s0
	v_mul_f32_e32 v19, s21, v76
	v_add3_u32 v9, v9, v0, 0x7fff
	v_or_b32_e32 v33, 0x400000, v0
	v_bfe_u32 v73, v18, 16, 1
	v_cmp_u_f32_e64 s0, v0, v0
	v_bfe_u32 v75, v19, 16, 1
	v_or_b32_e32 v76, 0x400000, v19
	v_cndmask_b32_e64 v0, v9, v33, s0
	v_add3_u32 v33, v73, v18, 0x7fff
	v_or_b32_e32 v73, 0x400000, v18
	v_cmp_u_f32_e64 s0, v18, v18
	v_bfe_u32 v9, v20, 16, 1
	v_add3_u32 v75, v75, v19, 0x7fff
	v_lshrrev_b32_e32 v78, 16, v0
	v_cndmask_b32_e64 v18, v33, v73, s0
	v_cmp_u_f32_e64 s0, v19, v19
	v_add3_u32 v9, v9, v20, 0x7fff
	v_cndmask_b32_e64 v19, v75, v76, s0
	v_cmp_u_f32_e64 s0, v20, v20
	v_lshrrev_b32_e32 v76, 16, v17
	v_lshrrev_b32_e32 v73, 16, v19
	v_cndmask_b32_e64 v9, v9, v77, s0
	v_lshrrev_b32_e32 v77, 16, v18
	v_lshrrev_b32_e32 v75, 16, v9
	s_and_saveexec_b32 s22, vcc_lo
	s_cbranch_execz .LBB312_800
; %bb.799:                              ;   in Loop: Header=BB312_551 Depth=1
	v_cmp_gt_i32_e64 s0, s33, v34
	v_cndmask_b32_e64 v77, 0, v77, s0
	v_cmp_gt_i32_e64 s0, s33, v59
	v_cndmask_b32_e64 v78, 0, v78, s0
	;; [unrolled: 2-line block ×8, first 2 shown]
.LBB312_800:                            ;   in Loop: Header=BB312_551 Depth=1
	s_or_b32 exec_lo, exec_lo, s22
	global_load_dwordx2 v[17:18], v[15:16], off offset:1024
	v_mov_b32_e32 v79, 0
	v_mov_b32_e32 v81, 0
	s_waitcnt vmcnt(0)
	v_cmp_ne_u16_sdwa s0, v17, v10 src0_sel:BYTE_0 src1_sel:DWORD
	s_and_saveexec_b32 s22, s0
	s_cbranch_execz .LBB312_806
; %bb.801:                              ;   in Loop: Header=BB312_551 Depth=1
	v_cmp_ne_u16_sdwa s0, v17, v31 src0_sel:BYTE_0 src1_sel:DWORD
	v_bfrev_b32_e32 v81, 1
	s_and_saveexec_b32 s26, s0
	s_cbranch_execz .LBB312_805
; %bb.802:                              ;   in Loop: Header=BB312_551 Depth=1
	v_and_b32_e32 v9, 0x7f, v17
	v_mov_b32_e32 v81, 0x7f800001
	s_mov_b32 s27, exec_lo
	v_cmpx_ne_u32_e32 0x7f, v9
	s_cbranch_execz .LBB312_804
; %bb.803:                              ;   in Loop: Header=BB312_551 Depth=1
	v_and_b32_e32 v0, 7, v17
	v_cmp_gt_u32_e64 s0, 8, v9
	v_lshrrev_b32_e32 v19, 3, v9
	v_ffbh_u32_e32 v0, v0
	v_min_u32_e32 v0, 32, v0
	v_subrev_nc_u32_e32 v20, 28, v0
	v_sub_nc_u32_e32 v0, 29, v0
	v_cndmask_b32_e64 v9, 0, v20, s0
	v_cndmask_b32_e64 v0, v19, v0, s0
	v_lshlrev_b64 v[19:20], v9, v[17:18]
	v_lshlrev_b32_e32 v9, 24, v17
	v_lshl_add_u32 v0, v0, 23, 0x3c000000
	v_and_b32_e32 v9, 0x80000000, v9
	v_lshlrev_b32_e32 v19, 20, v19
	v_and_b32_e32 v19, 0x700000, v19
	v_or3_b32 v81, v19, v9, v0
.LBB312_804:                            ;   in Loop: Header=BB312_551 Depth=1
	s_or_b32 exec_lo, exec_lo, s27
.LBB312_805:                            ;   in Loop: Header=BB312_551 Depth=1
	s_or_b32 exec_lo, exec_lo, s26
.LBB312_806:                            ;   in Loop: Header=BB312_551 Depth=1
	s_or_b32 exec_lo, exec_lo, s22
	v_cmp_ne_u16_sdwa s0, v17, v10 src0_sel:BYTE_1 src1_sel:DWORD
	s_and_saveexec_b32 s22, s0
	s_cbranch_execz .LBB312_814
; %bb.807:                              ;   in Loop: Header=BB312_551 Depth=1
	v_cmp_ne_u16_sdwa s0, v17, v31 src0_sel:BYTE_1 src1_sel:DWORD
	v_bfrev_b32_e32 v79, 1
	s_and_saveexec_b32 s26, s0
	s_cbranch_execz .LBB312_813
; %bb.808:                              ;   in Loop: Header=BB312_551 Depth=1
	v_and_b32_sdwa v9, v32, v17 dst_sel:DWORD dst_unused:UNUSED_PAD src0_sel:DWORD src1_sel:BYTE_1
	v_mov_b32_e32 v79, 0x7f800001
	s_mov_b32 s27, exec_lo
	v_and_b32_e32 v20, 0x7f, v9
	v_cmpx_ne_u32_e32 0x7f, v20
	s_cbranch_execz .LBB312_812
; %bb.809:                              ;   in Loop: Header=BB312_551 Depth=1
	v_and_b32_e32 v9, 7, v9
	v_lshrrev_b32_e32 v19, 3, v20
	s_mov_b32 s28, exec_lo
	v_cmpx_gt_u32_e32 8, v20
; %bb.810:                              ;   in Loop: Header=BB312_551 Depth=1
	v_ffbh_u32_e32 v0, v9
	v_min_u32_e32 v0, 32, v0
	v_subrev_nc_u32_e32 v19, 28, v0
	v_lshlrev_b64 v[79:80], v19, v[9:10]
	v_sub_nc_u32_e32 v19, 29, v0
	v_and_b32_e32 v9, 7, v79
; %bb.811:                              ;   in Loop: Header=BB312_551 Depth=1
	s_or_b32 exec_lo, exec_lo, s28
	v_lshlrev_b32_e32 v0, 16, v17
	v_lshlrev_b32_e32 v9, 20, v9
	v_lshl_add_u32 v19, v19, 23, 0x3c000000
	v_and_b32_e32 v0, 0x80000000, v0
	v_or3_b32 v79, v9, v0, v19
.LBB312_812:                            ;   in Loop: Header=BB312_551 Depth=1
	s_or_b32 exec_lo, exec_lo, s27
.LBB312_813:                            ;   in Loop: Header=BB312_551 Depth=1
	s_or_b32 exec_lo, exec_lo, s26
.LBB312_814:                            ;   in Loop: Header=BB312_551 Depth=1
	s_or_b32 exec_lo, exec_lo, s22
	v_and_b32_sdwa v9, v17, v35 dst_sel:DWORD dst_unused:UNUSED_PAD src0_sel:WORD_1 src1_sel:DWORD
	v_mov_b32_e32 v82, 0
	v_mov_b32_e32 v80, 0
	s_mov_b32 s22, exec_lo
	v_cmpx_ne_u16_e32 0, v9
	s_cbranch_execz .LBB312_822
; %bb.815:                              ;   in Loop: Header=BB312_551 Depth=1
	v_bfrev_b32_e32 v80, 1
	s_mov_b32 s26, exec_lo
	v_cmpx_ne_u16_e32 0x80, v9
	s_cbranch_execz .LBB312_821
; %bb.816:                              ;   in Loop: Header=BB312_551 Depth=1
	v_bfe_u32 v20, v17, 16, 7
	v_mov_b32_e32 v80, 0x7f800001
	s_mov_b32 s27, exec_lo
	v_cmpx_ne_u32_e32 0x7f, v20
	s_cbranch_execz .LBB312_820
; %bb.817:                              ;   in Loop: Header=BB312_551 Depth=1
	v_and_b32_sdwa v9, v17, v36 dst_sel:DWORD dst_unused:UNUSED_PAD src0_sel:WORD_1 src1_sel:DWORD
	v_lshrrev_b32_e32 v19, 3, v20
	s_mov_b32 s28, exec_lo
	v_cmpx_gt_u32_e32 8, v20
; %bb.818:                              ;   in Loop: Header=BB312_551 Depth=1
	v_ffbh_u32_e32 v0, v9
	v_min_u32_e32 v0, 32, v0
	v_subrev_nc_u32_e32 v19, 28, v0
	v_lshlrev_b64 v[83:84], v19, v[9:10]
	v_sub_nc_u32_e32 v19, 29, v0
	v_and_b32_e32 v9, 7, v83
; %bb.819:                              ;   in Loop: Header=BB312_551 Depth=1
	s_or_b32 exec_lo, exec_lo, s28
	v_lshlrev_b32_sdwa v0, v37, v17 dst_sel:DWORD dst_unused:UNUSED_PAD src0_sel:DWORD src1_sel:WORD_1
	v_lshlrev_b32_e32 v9, 20, v9
	v_lshl_add_u32 v19, v19, 23, 0x3c000000
	v_and_b32_e32 v0, 0x80000000, v0
	v_or3_b32 v80, v9, v0, v19
.LBB312_820:                            ;   in Loop: Header=BB312_551 Depth=1
	s_or_b32 exec_lo, exec_lo, s27
.LBB312_821:                            ;   in Loop: Header=BB312_551 Depth=1
	s_or_b32 exec_lo, exec_lo, s26
.LBB312_822:                            ;   in Loop: Header=BB312_551 Depth=1
	s_or_b32 exec_lo, exec_lo, s22
	s_mov_b32 s22, exec_lo
	v_cmpx_lt_u32_e32 0xffffff, v17
	s_cbranch_execz .LBB312_830
; %bb.823:                              ;   in Loop: Header=BB312_551 Depth=1
	v_cmp_ne_u32_sdwa s0, v17, v31 src0_sel:BYTE_3 src1_sel:DWORD
	v_bfrev_b32_e32 v82, 1
	s_and_saveexec_b32 s26, s0
	s_cbranch_execz .LBB312_829
; %bb.824:                              ;   in Loop: Header=BB312_551 Depth=1
	v_bfe_u32 v20, v17, 24, 7
	v_mov_b32_e32 v82, 0x7f800001
	s_mov_b32 s27, exec_lo
	v_cmpx_ne_u32_e32 0x7f, v20
	s_cbranch_execz .LBB312_828
; %bb.825:                              ;   in Loop: Header=BB312_551 Depth=1
	v_and_b32_sdwa v9, v17, v36 dst_sel:DWORD dst_unused:UNUSED_PAD src0_sel:BYTE_3 src1_sel:DWORD
	v_lshrrev_b32_e32 v19, 3, v20
	s_mov_b32 s28, exec_lo
	v_cmpx_gt_u32_e32 8, v20
; %bb.826:                              ;   in Loop: Header=BB312_551 Depth=1
	v_ffbh_u32_e32 v0, v9
	v_min_u32_e32 v0, 32, v0
	v_subrev_nc_u32_e32 v19, 28, v0
	v_lshlrev_b64 v[82:83], v19, v[9:10]
	v_sub_nc_u32_e32 v19, 29, v0
	v_and_b32_e32 v9, 7, v82
; %bb.827:                              ;   in Loop: Header=BB312_551 Depth=1
	s_or_b32 exec_lo, exec_lo, s28
	v_lshlrev_b32_sdwa v0, v37, v17 dst_sel:DWORD dst_unused:UNUSED_PAD src0_sel:DWORD src1_sel:BYTE_3
	v_lshlrev_b32_e32 v9, 20, v9
	v_lshl_add_u32 v19, v19, 23, 0x3c000000
	v_and_b32_e32 v0, 0x80000000, v0
	v_or3_b32 v82, v9, v0, v19
.LBB312_828:                            ;   in Loop: Header=BB312_551 Depth=1
	s_or_b32 exec_lo, exec_lo, s27
.LBB312_829:                            ;   in Loop: Header=BB312_551 Depth=1
	s_or_b32 exec_lo, exec_lo, s26
.LBB312_830:                            ;   in Loop: Header=BB312_551 Depth=1
	s_or_b32 exec_lo, exec_lo, s22
	v_mov_b32_e32 v9, v18
	v_cmp_ne_u16_sdwa s0, v18, v10 src0_sel:BYTE_0 src1_sel:DWORD
	v_mov_b32_e32 v19, 0
	v_mov_b32_e32 v83, 0
	s_and_saveexec_b32 s22, s0
	s_cbranch_execz .LBB312_836
; %bb.831:                              ;   in Loop: Header=BB312_551 Depth=1
	v_cmp_ne_u16_sdwa s0, v18, v31 src0_sel:BYTE_0 src1_sel:DWORD
	v_bfrev_b32_e32 v83, 1
	s_and_saveexec_b32 s26, s0
	s_cbranch_execz .LBB312_835
; %bb.832:                              ;   in Loop: Header=BB312_551 Depth=1
	v_and_b32_e32 v20, 0x7f, v18
	v_mov_b32_e32 v83, 0x7f800001
	s_mov_b32 s27, exec_lo
	v_cmpx_ne_u32_e32 0x7f, v20
	s_cbranch_execz .LBB312_834
; %bb.833:                              ;   in Loop: Header=BB312_551 Depth=1
	v_and_b32_e32 v0, 7, v18
	v_cmp_gt_u32_e64 s0, 8, v20
	v_lshrrev_b32_e32 v33, 3, v20
	v_ffbh_u32_e32 v0, v0
	v_min_u32_e32 v0, 32, v0
	v_subrev_nc_u32_e32 v83, 28, v0
	v_sub_nc_u32_e32 v0, 29, v0
	v_cndmask_b32_e64 v20, 0, v83, s0
	v_cndmask_b32_e64 v0, v33, v0, s0
	v_lshlrev_b64 v[83:84], v20, v[9:10]
	v_lshlrev_b32_e32 v20, 24, v9
	v_lshl_add_u32 v0, v0, 23, 0x3c000000
	v_and_b32_e32 v20, 0x80000000, v20
	v_lshlrev_b32_e32 v33, 20, v83
	v_and_b32_e32 v33, 0x700000, v33
	v_or3_b32 v83, v33, v20, v0
.LBB312_834:                            ;   in Loop: Header=BB312_551 Depth=1
	s_or_b32 exec_lo, exec_lo, s27
.LBB312_835:                            ;   in Loop: Header=BB312_551 Depth=1
	s_or_b32 exec_lo, exec_lo, s26
.LBB312_836:                            ;   in Loop: Header=BB312_551 Depth=1
	s_or_b32 exec_lo, exec_lo, s22
	v_cmp_ne_u16_sdwa s0, v9, v10 src0_sel:BYTE_1 src1_sel:DWORD
	s_and_saveexec_b32 s22, s0
	s_cbranch_execz .LBB312_844
; %bb.837:                              ;   in Loop: Header=BB312_551 Depth=1
	v_cmp_ne_u16_sdwa s0, v9, v31 src0_sel:BYTE_1 src1_sel:DWORD
	v_bfrev_b32_e32 v19, 1
	s_and_saveexec_b32 s26, s0
	s_cbranch_execz .LBB312_843
; %bb.838:                              ;   in Loop: Header=BB312_551 Depth=1
	v_and_b32_sdwa v20, v32, v9 dst_sel:DWORD dst_unused:UNUSED_PAD src0_sel:DWORD src1_sel:BYTE_1
	v_mov_b32_e32 v19, 0x7f800001
	s_mov_b32 s27, exec_lo
	v_and_b32_e32 v85, 0x7f, v20
	v_cmpx_ne_u32_e32 0x7f, v85
	s_cbranch_execz .LBB312_842
; %bb.839:                              ;   in Loop: Header=BB312_551 Depth=1
	v_and_b32_e32 v19, 7, v20
	v_mov_b32_e32 v20, v10
	v_lshrrev_b32_e32 v84, 3, v85
	s_mov_b32 s28, exec_lo
	v_cmpx_gt_u32_e32 8, v85
; %bb.840:                              ;   in Loop: Header=BB312_551 Depth=1
	v_ffbh_u32_e32 v0, v19
	v_min_u32_e32 v0, 32, v0
	v_subrev_nc_u32_e32 v33, 28, v0
	v_sub_nc_u32_e32 v84, 29, v0
	v_lshlrev_b64 v[19:20], v33, v[19:20]
	v_and_b32_e32 v19, 7, v19
; %bb.841:                              ;   in Loop: Header=BB312_551 Depth=1
	s_or_b32 exec_lo, exec_lo, s28
	v_lshlrev_b32_e32 v0, 16, v9
	v_lshlrev_b32_e32 v9, 20, v19
	v_lshl_add_u32 v19, v84, 23, 0x3c000000
	v_and_b32_e32 v0, 0x80000000, v0
	v_or3_b32 v19, v9, v0, v19
.LBB312_842:                            ;   in Loop: Header=BB312_551 Depth=1
	s_or_b32 exec_lo, exec_lo, s27
.LBB312_843:                            ;   in Loop: Header=BB312_551 Depth=1
	s_or_b32 exec_lo, exec_lo, s26
.LBB312_844:                            ;   in Loop: Header=BB312_551 Depth=1
	s_or_b32 exec_lo, exec_lo, s22
	v_and_b32_sdwa v9, v18, v35 dst_sel:DWORD dst_unused:UNUSED_PAD src0_sel:WORD_1 src1_sel:DWORD
	v_mov_b32_e32 v20, 0
	v_mov_b32_e32 v84, 0
	s_mov_b32 s22, exec_lo
	v_cmpx_ne_u16_e32 0, v9
	s_cbranch_execz .LBB312_852
; %bb.845:                              ;   in Loop: Header=BB312_551 Depth=1
	v_bfrev_b32_e32 v84, 1
	s_mov_b32 s26, exec_lo
	v_cmpx_ne_u16_e32 0x80, v9
	s_cbranch_execz .LBB312_851
; %bb.846:                              ;   in Loop: Header=BB312_551 Depth=1
	v_bfe_u32 v85, v18, 16, 7
	v_mov_b32_e32 v84, 0x7f800001
	s_mov_b32 s27, exec_lo
	v_cmpx_ne_u32_e32 0x7f, v85
	s_cbranch_execz .LBB312_850
; %bb.847:                              ;   in Loop: Header=BB312_551 Depth=1
	v_and_b32_sdwa v9, v18, v36 dst_sel:DWORD dst_unused:UNUSED_PAD src0_sel:WORD_1 src1_sel:DWORD
	v_lshrrev_b32_e32 v84, 3, v85
	s_mov_b32 s28, exec_lo
	v_cmpx_gt_u32_e32 8, v85
; %bb.848:                              ;   in Loop: Header=BB312_551 Depth=1
	v_ffbh_u32_e32 v0, v9
	v_min_u32_e32 v0, 32, v0
	v_subrev_nc_u32_e32 v33, 28, v0
	v_sub_nc_u32_e32 v84, 29, v0
	v_lshlrev_b64 v[85:86], v33, v[9:10]
	v_and_b32_e32 v9, 7, v85
; %bb.849:                              ;   in Loop: Header=BB312_551 Depth=1
	s_or_b32 exec_lo, exec_lo, s28
	v_lshlrev_b32_sdwa v0, v37, v18 dst_sel:DWORD dst_unused:UNUSED_PAD src0_sel:DWORD src1_sel:WORD_1
	v_lshlrev_b32_e32 v9, 20, v9
	v_lshl_add_u32 v33, v84, 23, 0x3c000000
	v_and_b32_e32 v0, 0x80000000, v0
	v_or3_b32 v84, v9, v0, v33
.LBB312_850:                            ;   in Loop: Header=BB312_551 Depth=1
	s_or_b32 exec_lo, exec_lo, s27
.LBB312_851:                            ;   in Loop: Header=BB312_551 Depth=1
	s_or_b32 exec_lo, exec_lo, s26
.LBB312_852:                            ;   in Loop: Header=BB312_551 Depth=1
	s_or_b32 exec_lo, exec_lo, s22
	s_mov_b32 s22, exec_lo
	v_cmpx_lt_u64_e64 s[2:3], v[17:18]
	s_cbranch_execz .LBB312_860
; %bb.853:                              ;   in Loop: Header=BB312_551 Depth=1
	v_cmp_ne_u32_sdwa s0, v18, v31 src0_sel:BYTE_3 src1_sel:DWORD
	v_bfrev_b32_e32 v20, 1
	s_and_saveexec_b32 s26, s0
	s_cbranch_execz .LBB312_859
; %bb.854:                              ;   in Loop: Header=BB312_551 Depth=1
	v_bfe_u32 v85, v18, 24, 7
	v_mov_b32_e32 v20, 0x7f800001
	s_mov_b32 s27, exec_lo
	v_cmpx_ne_u32_e32 0x7f, v85
	s_cbranch_execz .LBB312_858
; %bb.855:                              ;   in Loop: Header=BB312_551 Depth=1
	v_and_b32_sdwa v9, v18, v36 dst_sel:DWORD dst_unused:UNUSED_PAD src0_sel:BYTE_3 src1_sel:DWORD
	v_lshrrev_b32_e32 v17, 3, v85
	s_mov_b32 s28, exec_lo
	v_cmpx_gt_u32_e32 8, v85
; %bb.856:                              ;   in Loop: Header=BB312_551 Depth=1
	v_ffbh_u32_e32 v0, v9
	v_min_u32_e32 v0, 32, v0
	v_subrev_nc_u32_e32 v17, 28, v0
	v_lshlrev_b64 v[85:86], v17, v[9:10]
	v_sub_nc_u32_e32 v17, 29, v0
	v_and_b32_e32 v9, 7, v85
; %bb.857:                              ;   in Loop: Header=BB312_551 Depth=1
	s_or_b32 exec_lo, exec_lo, s28
	v_lshlrev_b32_sdwa v0, v37, v18 dst_sel:DWORD dst_unused:UNUSED_PAD src0_sel:DWORD src1_sel:BYTE_3
	v_lshlrev_b32_e32 v9, 20, v9
	v_lshl_add_u32 v17, v17, 23, 0x3c000000
	v_and_b32_e32 v0, 0x80000000, v0
	v_or3_b32 v20, v9, v0, v17
.LBB312_858:                            ;   in Loop: Header=BB312_551 Depth=1
	s_or_b32 exec_lo, exec_lo, s27
.LBB312_859:                            ;   in Loop: Header=BB312_551 Depth=1
	s_or_b32 exec_lo, exec_lo, s26
.LBB312_860:                            ;   in Loop: Header=BB312_551 Depth=1
	s_or_b32 exec_lo, exec_lo, s22
	v_mul_f32_e32 v0, s21, v19
	v_mul_f32_e32 v9, s21, v83
	;; [unrolled: 1-line block ×5, first 2 shown]
	v_bfe_u32 v19, v0, 16, 1
	v_or_b32_e32 v33, 0x400000, v0
	v_bfe_u32 v80, v9, 16, 1
	v_cmp_u_f32_e64 s0, v0, v0
	v_or_b32_e32 v82, 0x400000, v9
	v_add3_u32 v19, v19, v0, 0x7fff
	v_bfe_u32 v83, v17, 16, 1
	v_add3_u32 v80, v80, v9, 0x7fff
	v_or_b32_e32 v85, 0x400000, v17
	v_bfe_u32 v86, v18, 16, 1
	v_cndmask_b32_e64 v0, v19, v33, s0
	v_cmp_u_f32_e64 s0, v9, v9
	v_add3_u32 v83, v83, v17, 0x7fff
	v_or_b32_e32 v33, 0x400000, v18
	v_add3_u32 v19, v86, v18, 0x7fff
	v_cndmask_b32_e64 v9, v80, v82, s0
	v_cmp_u_f32_e64 s0, v17, v17
	v_lshrrev_b32_e32 v80, 16, v0
	v_mul_f32_e32 v0, s21, v79
	v_lshrrev_b32_e32 v79, 16, v9
	v_cndmask_b32_e64 v17, v83, v85, s0
	v_cmp_u_f32_e64 s0, v18, v18
	v_bfe_u32 v9, v0, 16, 1
	v_mul_f32_e32 v18, s21, v81
	v_or_b32_e32 v85, 0x400000, v20
	v_lshrrev_b32_e32 v82, 16, v17
	v_cndmask_b32_e64 v17, v19, v33, s0
	v_mul_f32_e32 v19, s21, v84
	v_add3_u32 v9, v9, v0, 0x7fff
	v_or_b32_e32 v33, 0x400000, v0
	v_bfe_u32 v81, v18, 16, 1
	v_cmp_u_f32_e64 s0, v0, v0
	v_bfe_u32 v83, v19, 16, 1
	v_or_b32_e32 v84, 0x400000, v19
	v_cndmask_b32_e64 v0, v9, v33, s0
	v_add3_u32 v33, v81, v18, 0x7fff
	v_or_b32_e32 v81, 0x400000, v18
	v_cmp_u_f32_e64 s0, v18, v18
	v_bfe_u32 v9, v20, 16, 1
	v_add3_u32 v83, v83, v19, 0x7fff
	v_lshrrev_b32_e32 v86, 16, v0
	v_cndmask_b32_e64 v18, v33, v81, s0
	v_cmp_u_f32_e64 s0, v19, v19
	v_add3_u32 v9, v9, v20, 0x7fff
	v_cndmask_b32_e64 v19, v83, v84, s0
	v_cmp_u_f32_e64 s0, v20, v20
	v_lshrrev_b32_e32 v84, 16, v17
	v_lshrrev_b32_e32 v81, 16, v19
	v_cndmask_b32_e64 v9, v9, v85, s0
	v_lshrrev_b32_e32 v85, 16, v18
	v_lshrrev_b32_e32 v83, 16, v9
	s_and_saveexec_b32 s22, vcc_lo
	s_cbranch_execz .LBB312_862
; %bb.861:                              ;   in Loop: Header=BB312_551 Depth=1
	v_cmp_gt_i32_e64 s0, s33, v34
	v_cndmask_b32_e64 v85, 0, v85, s0
	v_cmp_gt_i32_e64 s0, s33, v59
	v_cndmask_b32_e64 v86, 0, v86, s0
	;; [unrolled: 2-line block ×8, first 2 shown]
.LBB312_862:                            ;   in Loop: Header=BB312_551 Depth=1
	s_or_b32 exec_lo, exec_lo, s22
	global_load_dwordx2 v[17:18], v[15:16], off offset:1280
	v_mov_b32_e32 v88, 0
	v_mov_b32_e32 v89, 0
	s_waitcnt vmcnt(0)
	v_cmp_ne_u16_sdwa s0, v17, v10 src0_sel:BYTE_0 src1_sel:DWORD
	s_and_saveexec_b32 s22, s0
	s_cbranch_execz .LBB312_868
; %bb.863:                              ;   in Loop: Header=BB312_551 Depth=1
	v_cmp_ne_u16_sdwa s0, v17, v31 src0_sel:BYTE_0 src1_sel:DWORD
	v_bfrev_b32_e32 v89, 1
	s_and_saveexec_b32 s26, s0
	s_cbranch_execz .LBB312_867
; %bb.864:                              ;   in Loop: Header=BB312_551 Depth=1
	v_and_b32_e32 v9, 0x7f, v17
	v_mov_b32_e32 v89, 0x7f800001
	s_mov_b32 s27, exec_lo
	v_cmpx_ne_u32_e32 0x7f, v9
	s_cbranch_execz .LBB312_866
; %bb.865:                              ;   in Loop: Header=BB312_551 Depth=1
	v_and_b32_e32 v0, 7, v17
	v_cmp_gt_u32_e64 s0, 8, v9
	v_lshrrev_b32_e32 v19, 3, v9
	v_ffbh_u32_e32 v0, v0
	v_min_u32_e32 v0, 32, v0
	v_subrev_nc_u32_e32 v20, 28, v0
	v_sub_nc_u32_e32 v0, 29, v0
	v_cndmask_b32_e64 v9, 0, v20, s0
	v_cndmask_b32_e64 v0, v19, v0, s0
	v_lshlrev_b64 v[19:20], v9, v[17:18]
	v_lshlrev_b32_e32 v9, 24, v17
	v_lshl_add_u32 v0, v0, 23, 0x3c000000
	v_and_b32_e32 v9, 0x80000000, v9
	v_lshlrev_b32_e32 v19, 20, v19
	v_and_b32_e32 v19, 0x700000, v19
	v_or3_b32 v89, v19, v9, v0
.LBB312_866:                            ;   in Loop: Header=BB312_551 Depth=1
	s_or_b32 exec_lo, exec_lo, s27
.LBB312_867:                            ;   in Loop: Header=BB312_551 Depth=1
	s_or_b32 exec_lo, exec_lo, s26
.LBB312_868:                            ;   in Loop: Header=BB312_551 Depth=1
	s_or_b32 exec_lo, exec_lo, s22
	v_cmp_ne_u16_sdwa s0, v17, v10 src0_sel:BYTE_1 src1_sel:DWORD
	s_and_saveexec_b32 s22, s0
	s_cbranch_execz .LBB312_876
; %bb.869:                              ;   in Loop: Header=BB312_551 Depth=1
	v_cmp_ne_u16_sdwa s0, v17, v31 src0_sel:BYTE_1 src1_sel:DWORD
	v_bfrev_b32_e32 v88, 1
	s_and_saveexec_b32 s26, s0
	s_cbranch_execz .LBB312_875
; %bb.870:                              ;   in Loop: Header=BB312_551 Depth=1
	v_and_b32_sdwa v9, v32, v17 dst_sel:DWORD dst_unused:UNUSED_PAD src0_sel:DWORD src1_sel:BYTE_1
	v_mov_b32_e32 v88, 0x7f800001
	s_mov_b32 s27, exec_lo
	v_and_b32_e32 v20, 0x7f, v9
	v_cmpx_ne_u32_e32 0x7f, v20
	s_cbranch_execz .LBB312_874
; %bb.871:                              ;   in Loop: Header=BB312_551 Depth=1
	v_and_b32_e32 v9, 7, v9
	v_lshrrev_b32_e32 v19, 3, v20
	s_mov_b32 s28, exec_lo
	v_cmpx_gt_u32_e32 8, v20
; %bb.872:                              ;   in Loop: Header=BB312_551 Depth=1
	v_ffbh_u32_e32 v0, v9
	v_min_u32_e32 v0, 32, v0
	v_subrev_nc_u32_e32 v19, 28, v0
	v_lshlrev_b64 v[87:88], v19, v[9:10]
	v_sub_nc_u32_e32 v19, 29, v0
	v_and_b32_e32 v9, 7, v87
; %bb.873:                              ;   in Loop: Header=BB312_551 Depth=1
	s_or_b32 exec_lo, exec_lo, s28
	v_lshlrev_b32_e32 v0, 16, v17
	v_lshlrev_b32_e32 v9, 20, v9
	v_lshl_add_u32 v19, v19, 23, 0x3c000000
	v_and_b32_e32 v0, 0x80000000, v0
	v_or3_b32 v88, v9, v0, v19
.LBB312_874:                            ;   in Loop: Header=BB312_551 Depth=1
	s_or_b32 exec_lo, exec_lo, s27
.LBB312_875:                            ;   in Loop: Header=BB312_551 Depth=1
	s_or_b32 exec_lo, exec_lo, s26
.LBB312_876:                            ;   in Loop: Header=BB312_551 Depth=1
	s_or_b32 exec_lo, exec_lo, s22
	v_and_b32_sdwa v9, v17, v35 dst_sel:DWORD dst_unused:UNUSED_PAD src0_sel:WORD_1 src1_sel:DWORD
	v_mov_b32_e32 v90, 0
	v_mov_b32_e32 v87, 0
	s_mov_b32 s22, exec_lo
	v_cmpx_ne_u16_e32 0, v9
	s_cbranch_execz .LBB312_884
; %bb.877:                              ;   in Loop: Header=BB312_551 Depth=1
	v_bfrev_b32_e32 v87, 1
	s_mov_b32 s26, exec_lo
	v_cmpx_ne_u16_e32 0x80, v9
	s_cbranch_execz .LBB312_883
; %bb.878:                              ;   in Loop: Header=BB312_551 Depth=1
	v_bfe_u32 v20, v17, 16, 7
	v_mov_b32_e32 v87, 0x7f800001
	s_mov_b32 s27, exec_lo
	v_cmpx_ne_u32_e32 0x7f, v20
	s_cbranch_execz .LBB312_882
; %bb.879:                              ;   in Loop: Header=BB312_551 Depth=1
	v_and_b32_sdwa v9, v17, v36 dst_sel:DWORD dst_unused:UNUSED_PAD src0_sel:WORD_1 src1_sel:DWORD
	v_lshrrev_b32_e32 v19, 3, v20
	s_mov_b32 s28, exec_lo
	v_cmpx_gt_u32_e32 8, v20
; %bb.880:                              ;   in Loop: Header=BB312_551 Depth=1
	v_ffbh_u32_e32 v0, v9
	v_min_u32_e32 v0, 32, v0
	v_subrev_nc_u32_e32 v19, 28, v0
	v_lshlrev_b64 v[91:92], v19, v[9:10]
	v_sub_nc_u32_e32 v19, 29, v0
	v_and_b32_e32 v9, 7, v91
; %bb.881:                              ;   in Loop: Header=BB312_551 Depth=1
	s_or_b32 exec_lo, exec_lo, s28
	v_lshlrev_b32_sdwa v0, v37, v17 dst_sel:DWORD dst_unused:UNUSED_PAD src0_sel:DWORD src1_sel:WORD_1
	v_lshlrev_b32_e32 v9, 20, v9
	v_lshl_add_u32 v19, v19, 23, 0x3c000000
	v_and_b32_e32 v0, 0x80000000, v0
	v_or3_b32 v87, v9, v0, v19
.LBB312_882:                            ;   in Loop: Header=BB312_551 Depth=1
	s_or_b32 exec_lo, exec_lo, s27
.LBB312_883:                            ;   in Loop: Header=BB312_551 Depth=1
	s_or_b32 exec_lo, exec_lo, s26
.LBB312_884:                            ;   in Loop: Header=BB312_551 Depth=1
	s_or_b32 exec_lo, exec_lo, s22
	s_mov_b32 s22, exec_lo
	v_cmpx_lt_u32_e32 0xffffff, v17
	s_cbranch_execz .LBB312_892
; %bb.885:                              ;   in Loop: Header=BB312_551 Depth=1
	v_cmp_ne_u32_sdwa s0, v17, v31 src0_sel:BYTE_3 src1_sel:DWORD
	v_bfrev_b32_e32 v90, 1
	s_and_saveexec_b32 s26, s0
	s_cbranch_execz .LBB312_891
; %bb.886:                              ;   in Loop: Header=BB312_551 Depth=1
	v_bfe_u32 v20, v17, 24, 7
	v_mov_b32_e32 v90, 0x7f800001
	s_mov_b32 s27, exec_lo
	v_cmpx_ne_u32_e32 0x7f, v20
	s_cbranch_execz .LBB312_890
; %bb.887:                              ;   in Loop: Header=BB312_551 Depth=1
	v_and_b32_sdwa v9, v17, v36 dst_sel:DWORD dst_unused:UNUSED_PAD src0_sel:BYTE_3 src1_sel:DWORD
	v_lshrrev_b32_e32 v19, 3, v20
	s_mov_b32 s28, exec_lo
	v_cmpx_gt_u32_e32 8, v20
; %bb.888:                              ;   in Loop: Header=BB312_551 Depth=1
	v_ffbh_u32_e32 v0, v9
	v_min_u32_e32 v0, 32, v0
	v_subrev_nc_u32_e32 v19, 28, v0
	v_lshlrev_b64 v[90:91], v19, v[9:10]
	v_sub_nc_u32_e32 v19, 29, v0
	v_and_b32_e32 v9, 7, v90
; %bb.889:                              ;   in Loop: Header=BB312_551 Depth=1
	s_or_b32 exec_lo, exec_lo, s28
	v_lshlrev_b32_sdwa v0, v37, v17 dst_sel:DWORD dst_unused:UNUSED_PAD src0_sel:DWORD src1_sel:BYTE_3
	v_lshlrev_b32_e32 v9, 20, v9
	v_lshl_add_u32 v19, v19, 23, 0x3c000000
	v_and_b32_e32 v0, 0x80000000, v0
	v_or3_b32 v90, v9, v0, v19
.LBB312_890:                            ;   in Loop: Header=BB312_551 Depth=1
	s_or_b32 exec_lo, exec_lo, s27
.LBB312_891:                            ;   in Loop: Header=BB312_551 Depth=1
	s_or_b32 exec_lo, exec_lo, s26
.LBB312_892:                            ;   in Loop: Header=BB312_551 Depth=1
	s_or_b32 exec_lo, exec_lo, s22
	v_mov_b32_e32 v9, v18
	v_cmp_ne_u16_sdwa s0, v18, v10 src0_sel:BYTE_0 src1_sel:DWORD
	v_mov_b32_e32 v19, 0
	v_mov_b32_e32 v91, 0
	s_and_saveexec_b32 s22, s0
	s_cbranch_execz .LBB312_898
; %bb.893:                              ;   in Loop: Header=BB312_551 Depth=1
	v_cmp_ne_u16_sdwa s0, v18, v31 src0_sel:BYTE_0 src1_sel:DWORD
	v_bfrev_b32_e32 v91, 1
	s_and_saveexec_b32 s26, s0
	s_cbranch_execz .LBB312_897
; %bb.894:                              ;   in Loop: Header=BB312_551 Depth=1
	v_and_b32_e32 v20, 0x7f, v18
	v_mov_b32_e32 v91, 0x7f800001
	s_mov_b32 s27, exec_lo
	v_cmpx_ne_u32_e32 0x7f, v20
	s_cbranch_execz .LBB312_896
; %bb.895:                              ;   in Loop: Header=BB312_551 Depth=1
	v_and_b32_e32 v0, 7, v18
	v_cmp_gt_u32_e64 s0, 8, v20
	v_lshrrev_b32_e32 v33, 3, v20
	v_ffbh_u32_e32 v0, v0
	v_min_u32_e32 v0, 32, v0
	v_subrev_nc_u32_e32 v91, 28, v0
	v_sub_nc_u32_e32 v0, 29, v0
	v_cndmask_b32_e64 v20, 0, v91, s0
	v_cndmask_b32_e64 v0, v33, v0, s0
	v_lshlrev_b64 v[91:92], v20, v[9:10]
	v_lshlrev_b32_e32 v20, 24, v9
	v_lshl_add_u32 v0, v0, 23, 0x3c000000
	v_and_b32_e32 v20, 0x80000000, v20
	v_lshlrev_b32_e32 v33, 20, v91
	v_and_b32_e32 v33, 0x700000, v33
	v_or3_b32 v91, v33, v20, v0
.LBB312_896:                            ;   in Loop: Header=BB312_551 Depth=1
	s_or_b32 exec_lo, exec_lo, s27
.LBB312_897:                            ;   in Loop: Header=BB312_551 Depth=1
	s_or_b32 exec_lo, exec_lo, s26
.LBB312_898:                            ;   in Loop: Header=BB312_551 Depth=1
	s_or_b32 exec_lo, exec_lo, s22
	v_cmp_ne_u16_sdwa s0, v9, v10 src0_sel:BYTE_1 src1_sel:DWORD
	s_and_saveexec_b32 s22, s0
	s_cbranch_execz .LBB312_906
; %bb.899:                              ;   in Loop: Header=BB312_551 Depth=1
	v_cmp_ne_u16_sdwa s0, v9, v31 src0_sel:BYTE_1 src1_sel:DWORD
	v_bfrev_b32_e32 v19, 1
	s_and_saveexec_b32 s26, s0
	s_cbranch_execz .LBB312_905
; %bb.900:                              ;   in Loop: Header=BB312_551 Depth=1
	v_and_b32_sdwa v20, v32, v9 dst_sel:DWORD dst_unused:UNUSED_PAD src0_sel:DWORD src1_sel:BYTE_1
	v_mov_b32_e32 v19, 0x7f800001
	s_mov_b32 s27, exec_lo
	v_and_b32_e32 v93, 0x7f, v20
	v_cmpx_ne_u32_e32 0x7f, v93
	s_cbranch_execz .LBB312_904
; %bb.901:                              ;   in Loop: Header=BB312_551 Depth=1
	v_and_b32_e32 v19, 7, v20
	v_mov_b32_e32 v20, v10
	v_lshrrev_b32_e32 v92, 3, v93
	s_mov_b32 s28, exec_lo
	v_cmpx_gt_u32_e32 8, v93
; %bb.902:                              ;   in Loop: Header=BB312_551 Depth=1
	v_ffbh_u32_e32 v0, v19
	v_min_u32_e32 v0, 32, v0
	v_subrev_nc_u32_e32 v33, 28, v0
	v_sub_nc_u32_e32 v92, 29, v0
	v_lshlrev_b64 v[19:20], v33, v[19:20]
	v_and_b32_e32 v19, 7, v19
; %bb.903:                              ;   in Loop: Header=BB312_551 Depth=1
	s_or_b32 exec_lo, exec_lo, s28
	v_lshlrev_b32_e32 v0, 16, v9
	v_lshlrev_b32_e32 v9, 20, v19
	v_lshl_add_u32 v19, v92, 23, 0x3c000000
	v_and_b32_e32 v0, 0x80000000, v0
	v_or3_b32 v19, v9, v0, v19
.LBB312_904:                            ;   in Loop: Header=BB312_551 Depth=1
	s_or_b32 exec_lo, exec_lo, s27
.LBB312_905:                            ;   in Loop: Header=BB312_551 Depth=1
	s_or_b32 exec_lo, exec_lo, s26
.LBB312_906:                            ;   in Loop: Header=BB312_551 Depth=1
	s_or_b32 exec_lo, exec_lo, s22
	v_and_b32_sdwa v9, v18, v35 dst_sel:DWORD dst_unused:UNUSED_PAD src0_sel:WORD_1 src1_sel:DWORD
	v_mov_b32_e32 v20, 0
	v_mov_b32_e32 v92, 0
	s_mov_b32 s22, exec_lo
	v_cmpx_ne_u16_e32 0, v9
	s_cbranch_execz .LBB312_914
; %bb.907:                              ;   in Loop: Header=BB312_551 Depth=1
	v_bfrev_b32_e32 v92, 1
	s_mov_b32 s26, exec_lo
	v_cmpx_ne_u16_e32 0x80, v9
	s_cbranch_execz .LBB312_913
; %bb.908:                              ;   in Loop: Header=BB312_551 Depth=1
	v_bfe_u32 v93, v18, 16, 7
	v_mov_b32_e32 v92, 0x7f800001
	s_mov_b32 s27, exec_lo
	v_cmpx_ne_u32_e32 0x7f, v93
	s_cbranch_execz .LBB312_912
; %bb.909:                              ;   in Loop: Header=BB312_551 Depth=1
	v_and_b32_sdwa v9, v18, v36 dst_sel:DWORD dst_unused:UNUSED_PAD src0_sel:WORD_1 src1_sel:DWORD
	v_lshrrev_b32_e32 v92, 3, v93
	s_mov_b32 s28, exec_lo
	v_cmpx_gt_u32_e32 8, v93
; %bb.910:                              ;   in Loop: Header=BB312_551 Depth=1
	v_ffbh_u32_e32 v0, v9
	v_min_u32_e32 v0, 32, v0
	v_subrev_nc_u32_e32 v33, 28, v0
	v_sub_nc_u32_e32 v92, 29, v0
	v_lshlrev_b64 v[93:94], v33, v[9:10]
	v_and_b32_e32 v9, 7, v93
; %bb.911:                              ;   in Loop: Header=BB312_551 Depth=1
	s_or_b32 exec_lo, exec_lo, s28
	v_lshlrev_b32_sdwa v0, v37, v18 dst_sel:DWORD dst_unused:UNUSED_PAD src0_sel:DWORD src1_sel:WORD_1
	v_lshlrev_b32_e32 v9, 20, v9
	v_lshl_add_u32 v33, v92, 23, 0x3c000000
	v_and_b32_e32 v0, 0x80000000, v0
	v_or3_b32 v92, v9, v0, v33
.LBB312_912:                            ;   in Loop: Header=BB312_551 Depth=1
	s_or_b32 exec_lo, exec_lo, s27
.LBB312_913:                            ;   in Loop: Header=BB312_551 Depth=1
	s_or_b32 exec_lo, exec_lo, s26
.LBB312_914:                            ;   in Loop: Header=BB312_551 Depth=1
	s_or_b32 exec_lo, exec_lo, s22
	s_mov_b32 s22, exec_lo
	v_cmpx_lt_u64_e64 s[2:3], v[17:18]
	s_cbranch_execz .LBB312_922
; %bb.915:                              ;   in Loop: Header=BB312_551 Depth=1
	v_cmp_ne_u32_sdwa s0, v18, v31 src0_sel:BYTE_3 src1_sel:DWORD
	v_bfrev_b32_e32 v20, 1
	s_and_saveexec_b32 s26, s0
	s_cbranch_execz .LBB312_921
; %bb.916:                              ;   in Loop: Header=BB312_551 Depth=1
	v_bfe_u32 v93, v18, 24, 7
	v_mov_b32_e32 v20, 0x7f800001
	s_mov_b32 s27, exec_lo
	v_cmpx_ne_u32_e32 0x7f, v93
	s_cbranch_execz .LBB312_920
; %bb.917:                              ;   in Loop: Header=BB312_551 Depth=1
	v_and_b32_sdwa v9, v18, v36 dst_sel:DWORD dst_unused:UNUSED_PAD src0_sel:BYTE_3 src1_sel:DWORD
	v_lshrrev_b32_e32 v17, 3, v93
	s_mov_b32 s28, exec_lo
	v_cmpx_gt_u32_e32 8, v93
; %bb.918:                              ;   in Loop: Header=BB312_551 Depth=1
	v_ffbh_u32_e32 v0, v9
	v_min_u32_e32 v0, 32, v0
	v_subrev_nc_u32_e32 v17, 28, v0
	v_lshlrev_b64 v[93:94], v17, v[9:10]
	v_sub_nc_u32_e32 v17, 29, v0
	v_and_b32_e32 v9, 7, v93
; %bb.919:                              ;   in Loop: Header=BB312_551 Depth=1
	s_or_b32 exec_lo, exec_lo, s28
	v_lshlrev_b32_sdwa v0, v37, v18 dst_sel:DWORD dst_unused:UNUSED_PAD src0_sel:DWORD src1_sel:BYTE_3
	v_lshlrev_b32_e32 v9, 20, v9
	v_lshl_add_u32 v17, v17, 23, 0x3c000000
	v_and_b32_e32 v0, 0x80000000, v0
	v_or3_b32 v20, v9, v0, v17
.LBB312_920:                            ;   in Loop: Header=BB312_551 Depth=1
	s_or_b32 exec_lo, exec_lo, s27
.LBB312_921:                            ;   in Loop: Header=BB312_551 Depth=1
	s_or_b32 exec_lo, exec_lo, s26
.LBB312_922:                            ;   in Loop: Header=BB312_551 Depth=1
	s_or_b32 exec_lo, exec_lo, s22
	v_mul_f32_e32 v0, s21, v19
	v_mul_f32_e32 v9, s21, v91
	;; [unrolled: 1-line block ×5, first 2 shown]
	v_bfe_u32 v19, v0, 16, 1
	v_or_b32_e32 v33, 0x400000, v0
	v_bfe_u32 v87, v9, 16, 1
	v_cmp_u_f32_e64 s0, v0, v0
	v_or_b32_e32 v90, 0x400000, v9
	v_add3_u32 v19, v19, v0, 0x7fff
	v_bfe_u32 v91, v17, 16, 1
	v_add3_u32 v87, v87, v9, 0x7fff
	v_or_b32_e32 v93, 0x400000, v17
	v_bfe_u32 v94, v18, 16, 1
	v_cndmask_b32_e64 v0, v19, v33, s0
	v_cmp_u_f32_e64 s0, v9, v9
	v_add3_u32 v91, v91, v17, 0x7fff
	v_or_b32_e32 v33, 0x400000, v18
	v_add3_u32 v19, v94, v18, 0x7fff
	v_cndmask_b32_e64 v9, v87, v90, s0
	v_cmp_u_f32_e64 s0, v17, v17
	v_lshrrev_b32_e32 v87, 16, v0
	v_mul_f32_e32 v0, s21, v88
	v_lshrrev_b32_e32 v88, 16, v9
	v_cndmask_b32_e64 v17, v91, v93, s0
	v_cmp_u_f32_e64 s0, v18, v18
	v_bfe_u32 v9, v0, 16, 1
	v_mul_f32_e32 v18, s21, v89
	v_or_b32_e32 v93, 0x400000, v20
	v_lshrrev_b32_e32 v90, 16, v17
	v_cndmask_b32_e64 v17, v19, v33, s0
	v_mul_f32_e32 v19, s21, v92
	v_add3_u32 v9, v9, v0, 0x7fff
	v_or_b32_e32 v33, 0x400000, v0
	v_bfe_u32 v89, v18, 16, 1
	v_cmp_u_f32_e64 s0, v0, v0
	v_bfe_u32 v91, v19, 16, 1
	v_or_b32_e32 v92, 0x400000, v19
	v_cndmask_b32_e64 v0, v9, v33, s0
	v_add3_u32 v33, v89, v18, 0x7fff
	v_or_b32_e32 v89, 0x400000, v18
	v_cmp_u_f32_e64 s0, v18, v18
	v_bfe_u32 v9, v20, 16, 1
	v_add3_u32 v91, v91, v19, 0x7fff
	v_lshrrev_b32_e32 v94, 16, v0
	v_cndmask_b32_e64 v18, v33, v89, s0
	v_cmp_u_f32_e64 s0, v19, v19
	v_add3_u32 v9, v9, v20, 0x7fff
	v_cndmask_b32_e64 v19, v91, v92, s0
	v_cmp_u_f32_e64 s0, v20, v20
	v_lshrrev_b32_e32 v92, 16, v17
	v_lshrrev_b32_e32 v89, 16, v19
	v_cndmask_b32_e64 v9, v9, v93, s0
	v_lshrrev_b32_e32 v93, 16, v18
	v_lshrrev_b32_e32 v91, 16, v9
	s_and_saveexec_b32 s22, vcc_lo
	s_cbranch_execz .LBB312_924
; %bb.923:                              ;   in Loop: Header=BB312_551 Depth=1
	v_cmp_gt_i32_e64 s0, s33, v34
	v_cndmask_b32_e64 v93, 0, v93, s0
	v_cmp_gt_i32_e64 s0, s33, v59
	v_cndmask_b32_e64 v94, 0, v94, s0
	;; [unrolled: 2-line block ×8, first 2 shown]
.LBB312_924:                            ;   in Loop: Header=BB312_551 Depth=1
	s_or_b32 exec_lo, exec_lo, s22
	global_load_dwordx2 v[17:18], v[15:16], off offset:1536
	v_mov_b32_e32 v97, 0
	v_mov_b32_e32 v96, 0
	s_waitcnt vmcnt(0)
	v_cmp_ne_u16_sdwa s0, v17, v10 src0_sel:BYTE_0 src1_sel:DWORD
	s_and_saveexec_b32 s22, s0
	s_cbranch_execz .LBB312_930
; %bb.925:                              ;   in Loop: Header=BB312_551 Depth=1
	v_cmp_ne_u16_sdwa s0, v17, v31 src0_sel:BYTE_0 src1_sel:DWORD
	v_bfrev_b32_e32 v96, 1
	s_and_saveexec_b32 s26, s0
	s_cbranch_execz .LBB312_929
; %bb.926:                              ;   in Loop: Header=BB312_551 Depth=1
	v_and_b32_e32 v9, 0x7f, v17
	v_mov_b32_e32 v96, 0x7f800001
	s_mov_b32 s27, exec_lo
	v_cmpx_ne_u32_e32 0x7f, v9
	s_cbranch_execz .LBB312_928
; %bb.927:                              ;   in Loop: Header=BB312_551 Depth=1
	v_and_b32_e32 v0, 7, v17
	v_cmp_gt_u32_e64 s0, 8, v9
	v_lshrrev_b32_e32 v19, 3, v9
	v_ffbh_u32_e32 v0, v0
	v_min_u32_e32 v0, 32, v0
	v_subrev_nc_u32_e32 v20, 28, v0
	v_sub_nc_u32_e32 v0, 29, v0
	v_cndmask_b32_e64 v9, 0, v20, s0
	v_cndmask_b32_e64 v0, v19, v0, s0
	v_lshlrev_b64 v[19:20], v9, v[17:18]
	v_lshlrev_b32_e32 v9, 24, v17
	v_lshl_add_u32 v0, v0, 23, 0x3c000000
	v_and_b32_e32 v9, 0x80000000, v9
	v_lshlrev_b32_e32 v19, 20, v19
	v_and_b32_e32 v19, 0x700000, v19
	v_or3_b32 v96, v19, v9, v0
.LBB312_928:                            ;   in Loop: Header=BB312_551 Depth=1
	s_or_b32 exec_lo, exec_lo, s27
.LBB312_929:                            ;   in Loop: Header=BB312_551 Depth=1
	s_or_b32 exec_lo, exec_lo, s26
.LBB312_930:                            ;   in Loop: Header=BB312_551 Depth=1
	s_or_b32 exec_lo, exec_lo, s22
	v_cmp_ne_u16_sdwa s0, v17, v10 src0_sel:BYTE_1 src1_sel:DWORD
	s_and_saveexec_b32 s22, s0
	s_cbranch_execz .LBB312_938
; %bb.931:                              ;   in Loop: Header=BB312_551 Depth=1
	v_cmp_ne_u16_sdwa s0, v17, v31 src0_sel:BYTE_1 src1_sel:DWORD
	v_bfrev_b32_e32 v97, 1
	s_and_saveexec_b32 s26, s0
	s_cbranch_execz .LBB312_937
; %bb.932:                              ;   in Loop: Header=BB312_551 Depth=1
	v_and_b32_sdwa v9, v32, v17 dst_sel:DWORD dst_unused:UNUSED_PAD src0_sel:DWORD src1_sel:BYTE_1
	v_mov_b32_e32 v97, 0x7f800001
	s_mov_b32 s27, exec_lo
	v_and_b32_e32 v20, 0x7f, v9
	v_cmpx_ne_u32_e32 0x7f, v20
	s_cbranch_execz .LBB312_936
; %bb.933:                              ;   in Loop: Header=BB312_551 Depth=1
	v_and_b32_e32 v9, 7, v9
	v_lshrrev_b32_e32 v19, 3, v20
	s_mov_b32 s28, exec_lo
	v_cmpx_gt_u32_e32 8, v20
; %bb.934:                              ;   in Loop: Header=BB312_551 Depth=1
	v_ffbh_u32_e32 v0, v9
	v_min_u32_e32 v0, 32, v0
	v_subrev_nc_u32_e32 v19, 28, v0
	v_lshlrev_b64 v[97:98], v19, v[9:10]
	v_sub_nc_u32_e32 v19, 29, v0
	v_and_b32_e32 v9, 7, v97
; %bb.935:                              ;   in Loop: Header=BB312_551 Depth=1
	s_or_b32 exec_lo, exec_lo, s28
	v_lshlrev_b32_e32 v0, 16, v17
	v_lshlrev_b32_e32 v9, 20, v9
	v_lshl_add_u32 v19, v19, 23, 0x3c000000
	v_and_b32_e32 v0, 0x80000000, v0
	v_or3_b32 v97, v9, v0, v19
.LBB312_936:                            ;   in Loop: Header=BB312_551 Depth=1
	s_or_b32 exec_lo, exec_lo, s27
.LBB312_937:                            ;   in Loop: Header=BB312_551 Depth=1
	s_or_b32 exec_lo, exec_lo, s26
.LBB312_938:                            ;   in Loop: Header=BB312_551 Depth=1
	s_or_b32 exec_lo, exec_lo, s22
	v_and_b32_sdwa v9, v17, v35 dst_sel:DWORD dst_unused:UNUSED_PAD src0_sel:WORD_1 src1_sel:DWORD
	v_mov_b32_e32 v98, 0
	v_mov_b32_e32 v95, 0
	s_mov_b32 s22, exec_lo
	v_cmpx_ne_u16_e32 0, v9
	s_cbranch_execz .LBB312_946
; %bb.939:                              ;   in Loop: Header=BB312_551 Depth=1
	v_bfrev_b32_e32 v95, 1
	s_mov_b32 s26, exec_lo
	v_cmpx_ne_u16_e32 0x80, v9
	s_cbranch_execz .LBB312_945
; %bb.940:                              ;   in Loop: Header=BB312_551 Depth=1
	v_bfe_u32 v20, v17, 16, 7
	v_mov_b32_e32 v95, 0x7f800001
	s_mov_b32 s27, exec_lo
	v_cmpx_ne_u32_e32 0x7f, v20
	s_cbranch_execz .LBB312_944
; %bb.941:                              ;   in Loop: Header=BB312_551 Depth=1
	v_and_b32_sdwa v9, v17, v36 dst_sel:DWORD dst_unused:UNUSED_PAD src0_sel:WORD_1 src1_sel:DWORD
	v_lshrrev_b32_e32 v19, 3, v20
	s_mov_b32 s28, exec_lo
	v_cmpx_gt_u32_e32 8, v20
; %bb.942:                              ;   in Loop: Header=BB312_551 Depth=1
	v_ffbh_u32_e32 v0, v9
	v_min_u32_e32 v0, 32, v0
	v_subrev_nc_u32_e32 v19, 28, v0
	v_lshlrev_b64 v[99:100], v19, v[9:10]
	v_sub_nc_u32_e32 v19, 29, v0
	v_and_b32_e32 v9, 7, v99
; %bb.943:                              ;   in Loop: Header=BB312_551 Depth=1
	s_or_b32 exec_lo, exec_lo, s28
	v_lshlrev_b32_sdwa v0, v37, v17 dst_sel:DWORD dst_unused:UNUSED_PAD src0_sel:DWORD src1_sel:WORD_1
	v_lshlrev_b32_e32 v9, 20, v9
	v_lshl_add_u32 v19, v19, 23, 0x3c000000
	v_and_b32_e32 v0, 0x80000000, v0
	v_or3_b32 v95, v9, v0, v19
.LBB312_944:                            ;   in Loop: Header=BB312_551 Depth=1
	s_or_b32 exec_lo, exec_lo, s27
.LBB312_945:                            ;   in Loop: Header=BB312_551 Depth=1
	s_or_b32 exec_lo, exec_lo, s26
.LBB312_946:                            ;   in Loop: Header=BB312_551 Depth=1
	s_or_b32 exec_lo, exec_lo, s22
	s_mov_b32 s22, exec_lo
	v_cmpx_lt_u32_e32 0xffffff, v17
	s_cbranch_execz .LBB312_954
; %bb.947:                              ;   in Loop: Header=BB312_551 Depth=1
	v_cmp_ne_u32_sdwa s0, v17, v31 src0_sel:BYTE_3 src1_sel:DWORD
	v_bfrev_b32_e32 v98, 1
	s_and_saveexec_b32 s26, s0
	s_cbranch_execz .LBB312_953
; %bb.948:                              ;   in Loop: Header=BB312_551 Depth=1
	v_bfe_u32 v20, v17, 24, 7
	v_mov_b32_e32 v98, 0x7f800001
	s_mov_b32 s27, exec_lo
	v_cmpx_ne_u32_e32 0x7f, v20
	s_cbranch_execz .LBB312_952
; %bb.949:                              ;   in Loop: Header=BB312_551 Depth=1
	v_and_b32_sdwa v9, v17, v36 dst_sel:DWORD dst_unused:UNUSED_PAD src0_sel:BYTE_3 src1_sel:DWORD
	v_lshrrev_b32_e32 v19, 3, v20
	s_mov_b32 s28, exec_lo
	v_cmpx_gt_u32_e32 8, v20
; %bb.950:                              ;   in Loop: Header=BB312_551 Depth=1
	v_ffbh_u32_e32 v0, v9
	v_min_u32_e32 v0, 32, v0
	v_subrev_nc_u32_e32 v19, 28, v0
	v_lshlrev_b64 v[98:99], v19, v[9:10]
	v_sub_nc_u32_e32 v19, 29, v0
	v_and_b32_e32 v9, 7, v98
; %bb.951:                              ;   in Loop: Header=BB312_551 Depth=1
	s_or_b32 exec_lo, exec_lo, s28
	v_lshlrev_b32_sdwa v0, v37, v17 dst_sel:DWORD dst_unused:UNUSED_PAD src0_sel:DWORD src1_sel:BYTE_3
	v_lshlrev_b32_e32 v9, 20, v9
	v_lshl_add_u32 v19, v19, 23, 0x3c000000
	v_and_b32_e32 v0, 0x80000000, v0
	v_or3_b32 v98, v9, v0, v19
.LBB312_952:                            ;   in Loop: Header=BB312_551 Depth=1
	s_or_b32 exec_lo, exec_lo, s27
.LBB312_953:                            ;   in Loop: Header=BB312_551 Depth=1
	s_or_b32 exec_lo, exec_lo, s26
.LBB312_954:                            ;   in Loop: Header=BB312_551 Depth=1
	s_or_b32 exec_lo, exec_lo, s22
	v_mov_b32_e32 v9, v18
	v_cmp_ne_u16_sdwa s0, v18, v10 src0_sel:BYTE_0 src1_sel:DWORD
	v_mov_b32_e32 v19, 0
	v_mov_b32_e32 v99, 0
	s_and_saveexec_b32 s22, s0
	s_cbranch_execz .LBB312_960
; %bb.955:                              ;   in Loop: Header=BB312_551 Depth=1
	v_cmp_ne_u16_sdwa s0, v18, v31 src0_sel:BYTE_0 src1_sel:DWORD
	v_bfrev_b32_e32 v99, 1
	s_and_saveexec_b32 s26, s0
	s_cbranch_execz .LBB312_959
; %bb.956:                              ;   in Loop: Header=BB312_551 Depth=1
	v_and_b32_e32 v20, 0x7f, v18
	v_mov_b32_e32 v99, 0x7f800001
	s_mov_b32 s27, exec_lo
	v_cmpx_ne_u32_e32 0x7f, v20
	s_cbranch_execz .LBB312_958
; %bb.957:                              ;   in Loop: Header=BB312_551 Depth=1
	v_and_b32_e32 v0, 7, v18
	v_cmp_gt_u32_e64 s0, 8, v20
	v_lshrrev_b32_e32 v33, 3, v20
	v_ffbh_u32_e32 v0, v0
	v_min_u32_e32 v0, 32, v0
	v_subrev_nc_u32_e32 v99, 28, v0
	v_sub_nc_u32_e32 v0, 29, v0
	v_cndmask_b32_e64 v20, 0, v99, s0
	v_cndmask_b32_e64 v0, v33, v0, s0
	v_lshlrev_b64 v[99:100], v20, v[9:10]
	v_lshlrev_b32_e32 v20, 24, v9
	v_lshl_add_u32 v0, v0, 23, 0x3c000000
	v_and_b32_e32 v20, 0x80000000, v20
	v_lshlrev_b32_e32 v33, 20, v99
	v_and_b32_e32 v33, 0x700000, v33
	v_or3_b32 v99, v33, v20, v0
.LBB312_958:                            ;   in Loop: Header=BB312_551 Depth=1
	s_or_b32 exec_lo, exec_lo, s27
.LBB312_959:                            ;   in Loop: Header=BB312_551 Depth=1
	s_or_b32 exec_lo, exec_lo, s26
.LBB312_960:                            ;   in Loop: Header=BB312_551 Depth=1
	s_or_b32 exec_lo, exec_lo, s22
	v_cmp_ne_u16_sdwa s0, v9, v10 src0_sel:BYTE_1 src1_sel:DWORD
	s_and_saveexec_b32 s22, s0
	s_cbranch_execz .LBB312_968
; %bb.961:                              ;   in Loop: Header=BB312_551 Depth=1
	v_cmp_ne_u16_sdwa s0, v9, v31 src0_sel:BYTE_1 src1_sel:DWORD
	v_bfrev_b32_e32 v19, 1
	s_and_saveexec_b32 s26, s0
	s_cbranch_execz .LBB312_967
; %bb.962:                              ;   in Loop: Header=BB312_551 Depth=1
	v_and_b32_sdwa v20, v32, v9 dst_sel:DWORD dst_unused:UNUSED_PAD src0_sel:DWORD src1_sel:BYTE_1
	v_mov_b32_e32 v19, 0x7f800001
	s_mov_b32 s27, exec_lo
	v_and_b32_e32 v101, 0x7f, v20
	v_cmpx_ne_u32_e32 0x7f, v101
	s_cbranch_execz .LBB312_966
; %bb.963:                              ;   in Loop: Header=BB312_551 Depth=1
	v_and_b32_e32 v19, 7, v20
	v_mov_b32_e32 v20, v10
	v_lshrrev_b32_e32 v100, 3, v101
	s_mov_b32 s28, exec_lo
	v_cmpx_gt_u32_e32 8, v101
; %bb.964:                              ;   in Loop: Header=BB312_551 Depth=1
	v_ffbh_u32_e32 v0, v19
	v_min_u32_e32 v0, 32, v0
	v_subrev_nc_u32_e32 v33, 28, v0
	v_sub_nc_u32_e32 v100, 29, v0
	v_lshlrev_b64 v[19:20], v33, v[19:20]
	v_and_b32_e32 v19, 7, v19
; %bb.965:                              ;   in Loop: Header=BB312_551 Depth=1
	s_or_b32 exec_lo, exec_lo, s28
	v_lshlrev_b32_e32 v0, 16, v9
	v_lshlrev_b32_e32 v9, 20, v19
	v_lshl_add_u32 v19, v100, 23, 0x3c000000
	v_and_b32_e32 v0, 0x80000000, v0
	v_or3_b32 v19, v9, v0, v19
.LBB312_966:                            ;   in Loop: Header=BB312_551 Depth=1
	s_or_b32 exec_lo, exec_lo, s27
.LBB312_967:                            ;   in Loop: Header=BB312_551 Depth=1
	s_or_b32 exec_lo, exec_lo, s26
.LBB312_968:                            ;   in Loop: Header=BB312_551 Depth=1
	s_or_b32 exec_lo, exec_lo, s22
	v_and_b32_sdwa v9, v18, v35 dst_sel:DWORD dst_unused:UNUSED_PAD src0_sel:WORD_1 src1_sel:DWORD
	v_mov_b32_e32 v101, 0
	v_mov_b32_e32 v102, 0
	s_mov_b32 s22, exec_lo
	v_cmpx_ne_u16_e32 0, v9
	s_cbranch_execz .LBB312_976
; %bb.969:                              ;   in Loop: Header=BB312_551 Depth=1
	v_bfrev_b32_e32 v102, 1
	s_mov_b32 s26, exec_lo
	v_cmpx_ne_u16_e32 0x80, v9
	s_cbranch_execz .LBB312_975
; %bb.970:                              ;   in Loop: Header=BB312_551 Depth=1
	v_bfe_u32 v100, v18, 16, 7
	v_mov_b32_e32 v102, 0x7f800001
	s_mov_b32 s27, exec_lo
	v_cmpx_ne_u32_e32 0x7f, v100
	s_cbranch_execz .LBB312_974
; %bb.971:                              ;   in Loop: Header=BB312_551 Depth=1
	v_and_b32_sdwa v9, v18, v36 dst_sel:DWORD dst_unused:UNUSED_PAD src0_sel:WORD_1 src1_sel:DWORD
	v_lshrrev_b32_e32 v20, 3, v100
	s_mov_b32 s28, exec_lo
	v_cmpx_gt_u32_e32 8, v100
; %bb.972:                              ;   in Loop: Header=BB312_551 Depth=1
	v_ffbh_u32_e32 v0, v9
	v_min_u32_e32 v0, 32, v0
	v_subrev_nc_u32_e32 v20, 28, v0
	v_lshlrev_b64 v[102:103], v20, v[9:10]
	v_sub_nc_u32_e32 v20, 29, v0
	v_and_b32_e32 v9, 7, v102
; %bb.973:                              ;   in Loop: Header=BB312_551 Depth=1
	s_or_b32 exec_lo, exec_lo, s28
	v_lshlrev_b32_sdwa v0, v37, v18 dst_sel:DWORD dst_unused:UNUSED_PAD src0_sel:DWORD src1_sel:WORD_1
	v_lshlrev_b32_e32 v9, 20, v9
	v_lshl_add_u32 v20, v20, 23, 0x3c000000
	v_and_b32_e32 v0, 0x80000000, v0
	v_or3_b32 v102, v9, v0, v20
.LBB312_974:                            ;   in Loop: Header=BB312_551 Depth=1
	s_or_b32 exec_lo, exec_lo, s27
.LBB312_975:                            ;   in Loop: Header=BB312_551 Depth=1
	s_or_b32 exec_lo, exec_lo, s26
.LBB312_976:                            ;   in Loop: Header=BB312_551 Depth=1
	s_or_b32 exec_lo, exec_lo, s22
	s_mov_b32 s22, exec_lo
	v_cmpx_lt_u64_e64 s[2:3], v[17:18]
	s_cbranch_execz .LBB312_984
; %bb.977:                              ;   in Loop: Header=BB312_551 Depth=1
	v_cmp_ne_u32_sdwa s0, v18, v31 src0_sel:BYTE_3 src1_sel:DWORD
	v_bfrev_b32_e32 v101, 1
	s_and_saveexec_b32 s26, s0
	s_cbranch_execz .LBB312_983
; %bb.978:                              ;   in Loop: Header=BB312_551 Depth=1
	v_bfe_u32 v20, v18, 24, 7
	v_mov_b32_e32 v101, 0x7f800001
	s_mov_b32 s27, exec_lo
	v_cmpx_ne_u32_e32 0x7f, v20
	s_cbranch_execz .LBB312_982
; %bb.979:                              ;   in Loop: Header=BB312_551 Depth=1
	v_and_b32_sdwa v9, v18, v36 dst_sel:DWORD dst_unused:UNUSED_PAD src0_sel:BYTE_3 src1_sel:DWORD
	v_lshrrev_b32_e32 v17, 3, v20
	s_mov_b32 s28, exec_lo
	v_cmpx_gt_u32_e32 8, v20
; %bb.980:                              ;   in Loop: Header=BB312_551 Depth=1
	v_ffbh_u32_e32 v0, v9
	v_min_u32_e32 v0, 32, v0
	v_subrev_nc_u32_e32 v17, 28, v0
	v_lshlrev_b64 v[100:101], v17, v[9:10]
	v_sub_nc_u32_e32 v17, 29, v0
	v_and_b32_e32 v9, 7, v100
; %bb.981:                              ;   in Loop: Header=BB312_551 Depth=1
	s_or_b32 exec_lo, exec_lo, s28
	v_lshlrev_b32_sdwa v0, v37, v18 dst_sel:DWORD dst_unused:UNUSED_PAD src0_sel:DWORD src1_sel:BYTE_3
	v_lshlrev_b32_e32 v9, 20, v9
	v_lshl_add_u32 v17, v17, 23, 0x3c000000
	v_and_b32_e32 v0, 0x80000000, v0
	v_or3_b32 v101, v9, v0, v17
.LBB312_982:                            ;   in Loop: Header=BB312_551 Depth=1
	s_or_b32 exec_lo, exec_lo, s27
.LBB312_983:                            ;   in Loop: Header=BB312_551 Depth=1
	s_or_b32 exec_lo, exec_lo, s26
.LBB312_984:                            ;   in Loop: Header=BB312_551 Depth=1
	s_or_b32 exec_lo, exec_lo, s22
	v_mul_f32_e32 v0, s21, v19
	v_mul_f32_e32 v9, s21, v99
	;; [unrolled: 1-line block ×4, first 2 shown]
	v_bfe_u32 v19, v0, 16, 1
	v_or_b32_e32 v20, 0x400000, v0
	v_bfe_u32 v33, v9, 16, 1
	v_cmp_u_f32_e64 s0, v0, v0
	v_or_b32_e32 v95, 0x400000, v9
	v_add3_u32 v19, v19, v0, 0x7fff
	v_bfe_u32 v98, v17, 16, 1
	v_add3_u32 v33, v33, v9, 0x7fff
	v_or_b32_e32 v99, 0x400000, v17
	v_bfe_u32 v100, v18, 16, 1
	v_cndmask_b32_e64 v0, v19, v20, s0
	v_cmp_u_f32_e64 s0, v9, v9
	v_add3_u32 v98, v98, v17, 0x7fff
	v_add3_u32 v19, v100, v18, 0x7fff
	v_cndmask_b32_e64 v9, v33, v95, s0
	v_cmp_u_f32_e64 s0, v17, v17
	v_lshrrev_b32_e32 v95, 16, v0
	v_mul_f32_e32 v0, s21, v97
	v_or_b32_e32 v33, 0x400000, v18
	v_lshrrev_b32_e32 v20, 16, v9
	v_cndmask_b32_e64 v17, v98, v99, s0
	v_cmp_u_f32_e64 s0, v18, v18
	v_bfe_u32 v9, v0, 16, 1
	v_mul_f32_e32 v18, s21, v96
	v_mul_f32_e32 v96, s21, v101
	v_lshrrev_b32_e32 v100, 16, v17
	v_cndmask_b32_e64 v17, v19, v33, s0
	v_mul_f32_e32 v19, s21, v102
	v_add3_u32 v9, v9, v0, 0x7fff
	v_or_b32_e32 v33, 0x400000, v0
	v_bfe_u32 v97, v18, 16, 1
	v_cmp_u_f32_e64 s0, v0, v0
	v_bfe_u32 v98, v19, 16, 1
	v_or_b32_e32 v99, 0x400000, v19
	v_or_b32_e32 v101, 0x400000, v96
	v_cndmask_b32_e64 v0, v9, v33, s0
	v_add3_u32 v33, v97, v18, 0x7fff
	v_or_b32_e32 v97, 0x400000, v18
	v_cmp_u_f32_e64 s0, v18, v18
	v_bfe_u32 v9, v96, 16, 1
	v_add3_u32 v98, v98, v19, 0x7fff
	v_lshrrev_b32_e32 v103, 16, v0
	v_cndmask_b32_e64 v18, v33, v97, s0
	v_cmp_u_f32_e64 s0, v19, v19
	v_add3_u32 v9, v9, v96, 0x7fff
	v_lshrrev_b32_e32 v102, 16, v18
	v_cndmask_b32_e64 v19, v98, v99, s0
	v_cmp_u_f32_e64 s0, v96, v96
	v_lshrrev_b32_e32 v98, 16, v19
	v_cndmask_b32_e64 v9, v9, v101, s0
	v_lshrrev_b32_e32 v101, 16, v17
	v_lshrrev_b32_e32 v99, 16, v9
	s_and_saveexec_b32 s22, vcc_lo
	s_cbranch_execz .LBB312_986
; %bb.985:                              ;   in Loop: Header=BB312_551 Depth=1
	v_cmp_gt_i32_e64 s0, s33, v34
	v_cndmask_b32_e64 v102, 0, v102, s0
	v_cmp_gt_i32_e64 s0, s33, v59
	v_cndmask_b32_e64 v103, 0, v103, s0
	v_cmp_gt_i32_e64 s0, s33, v58
	v_cndmask_b32_e64 v101, 0, v101, s0
	v_cmp_gt_i32_e64 s0, s33, v57
	v_cndmask_b32_e64 v100, 0, v100, s0
	v_cmp_gt_i32_e64 s0, s33, v56
	v_cndmask_b32_e64 v20, 0, v20, s0
	v_cmp_gt_i32_e64 s0, s33, v55
	v_cndmask_b32_e64 v95, 0, v95, s0
	v_cmp_gt_i32_e64 s0, s33, v54
	v_cndmask_b32_e64 v98, 0, v98, s0
	v_cmp_gt_i32_e64 s0, s33, v53
	v_cndmask_b32_e64 v99, 0, v99, s0
.LBB312_986:                            ;   in Loop: Header=BB312_551 Depth=1
	s_or_b32 exec_lo, exec_lo, s22
	global_load_dwordx2 v[15:16], v[15:16], off offset:1792
	v_mov_b32_e32 v96, 0
	v_mov_b32_e32 v19, 0
	s_waitcnt vmcnt(0)
	v_cmp_ne_u16_sdwa s0, v15, v10 src0_sel:BYTE_0 src1_sel:DWORD
	s_and_saveexec_b32 s22, s0
	s_cbranch_execz .LBB312_992
; %bb.987:                              ;   in Loop: Header=BB312_551 Depth=1
	v_cmp_ne_u16_sdwa s0, v15, v31 src0_sel:BYTE_0 src1_sel:DWORD
	v_bfrev_b32_e32 v19, 1
	s_and_saveexec_b32 s26, s0
	s_cbranch_execz .LBB312_991
; %bb.988:                              ;   in Loop: Header=BB312_551 Depth=1
	v_and_b32_e32 v9, 0x7f, v15
	v_mov_b32_e32 v19, 0x7f800001
	s_mov_b32 s27, exec_lo
	v_cmpx_ne_u32_e32 0x7f, v9
	s_cbranch_execz .LBB312_990
; %bb.989:                              ;   in Loop: Header=BB312_551 Depth=1
	v_and_b32_e32 v0, 7, v15
	v_cmp_gt_u32_e64 s0, 8, v9
	v_lshrrev_b32_e32 v17, 3, v9
	v_ffbh_u32_e32 v0, v0
	v_min_u32_e32 v0, 32, v0
	v_subrev_nc_u32_e32 v18, 28, v0
	v_sub_nc_u32_e32 v0, 29, v0
	v_cndmask_b32_e64 v9, 0, v18, s0
	v_cndmask_b32_e64 v0, v17, v0, s0
	v_lshlrev_b64 v[17:18], v9, v[15:16]
	v_lshlrev_b32_e32 v9, 24, v15
	v_lshl_add_u32 v0, v0, 23, 0x3c000000
	v_and_b32_e32 v9, 0x80000000, v9
	v_lshlrev_b32_e32 v17, 20, v17
	v_and_b32_e32 v17, 0x700000, v17
	v_or3_b32 v19, v17, v9, v0
.LBB312_990:                            ;   in Loop: Header=BB312_551 Depth=1
	s_or_b32 exec_lo, exec_lo, s27
.LBB312_991:                            ;   in Loop: Header=BB312_551 Depth=1
	s_or_b32 exec_lo, exec_lo, s26
.LBB312_992:                            ;   in Loop: Header=BB312_551 Depth=1
	s_or_b32 exec_lo, exec_lo, s22
	v_cmp_ne_u16_sdwa s0, v15, v10 src0_sel:BYTE_1 src1_sel:DWORD
	s_and_saveexec_b32 s22, s0
	s_cbranch_execz .LBB312_1000
; %bb.993:                              ;   in Loop: Header=BB312_551 Depth=1
	v_cmp_ne_u16_sdwa s0, v15, v31 src0_sel:BYTE_1 src1_sel:DWORD
	v_bfrev_b32_e32 v96, 1
	s_and_saveexec_b32 s26, s0
	s_cbranch_execz .LBB312_999
; %bb.994:                              ;   in Loop: Header=BB312_551 Depth=1
	v_and_b32_sdwa v9, v32, v15 dst_sel:DWORD dst_unused:UNUSED_PAD src0_sel:DWORD src1_sel:BYTE_1
	v_mov_b32_e32 v96, 0x7f800001
	s_mov_b32 s27, exec_lo
	v_and_b32_e32 v18, 0x7f, v9
	v_cmpx_ne_u32_e32 0x7f, v18
	s_cbranch_execz .LBB312_998
; %bb.995:                              ;   in Loop: Header=BB312_551 Depth=1
	v_and_b32_e32 v9, 7, v9
	v_lshrrev_b32_e32 v17, 3, v18
	s_mov_b32 s28, exec_lo
	v_cmpx_gt_u32_e32 8, v18
; %bb.996:                              ;   in Loop: Header=BB312_551 Depth=1
	v_ffbh_u32_e32 v0, v9
	v_min_u32_e32 v0, 32, v0
	v_subrev_nc_u32_e32 v17, 28, v0
	v_lshlrev_b64 v[96:97], v17, v[9:10]
	v_sub_nc_u32_e32 v17, 29, v0
	v_and_b32_e32 v9, 7, v96
; %bb.997:                              ;   in Loop: Header=BB312_551 Depth=1
	s_or_b32 exec_lo, exec_lo, s28
	v_lshlrev_b32_e32 v0, 16, v15
	v_lshlrev_b32_e32 v9, 20, v9
	v_lshl_add_u32 v17, v17, 23, 0x3c000000
	v_and_b32_e32 v0, 0x80000000, v0
	v_or3_b32 v96, v9, v0, v17
.LBB312_998:                            ;   in Loop: Header=BB312_551 Depth=1
	s_or_b32 exec_lo, exec_lo, s27
.LBB312_999:                            ;   in Loop: Header=BB312_551 Depth=1
	s_or_b32 exec_lo, exec_lo, s26
.LBB312_1000:                           ;   in Loop: Header=BB312_551 Depth=1
	s_or_b32 exec_lo, exec_lo, s22
	v_and_b32_sdwa v9, v15, v35 dst_sel:DWORD dst_unused:UNUSED_PAD src0_sel:WORD_1 src1_sel:DWORD
	v_mov_b32_e32 v104, 0
	v_mov_b32_e32 v97, 0
	s_mov_b32 s22, exec_lo
	v_cmpx_ne_u16_e32 0, v9
	s_cbranch_execz .LBB312_1008
; %bb.1001:                             ;   in Loop: Header=BB312_551 Depth=1
	v_bfrev_b32_e32 v97, 1
	s_mov_b32 s26, exec_lo
	v_cmpx_ne_u16_e32 0x80, v9
	s_cbranch_execz .LBB312_1007
; %bb.1002:                             ;   in Loop: Header=BB312_551 Depth=1
	v_bfe_u32 v18, v15, 16, 7
	v_mov_b32_e32 v97, 0x7f800001
	s_mov_b32 s27, exec_lo
	v_cmpx_ne_u32_e32 0x7f, v18
	s_cbranch_execz .LBB312_1006
; %bb.1003:                             ;   in Loop: Header=BB312_551 Depth=1
	v_and_b32_sdwa v9, v15, v36 dst_sel:DWORD dst_unused:UNUSED_PAD src0_sel:WORD_1 src1_sel:DWORD
	v_lshrrev_b32_e32 v17, 3, v18
	s_mov_b32 s28, exec_lo
	v_cmpx_gt_u32_e32 8, v18
; %bb.1004:                             ;   in Loop: Header=BB312_551 Depth=1
	v_ffbh_u32_e32 v0, v9
	v_min_u32_e32 v0, 32, v0
	v_subrev_nc_u32_e32 v17, 28, v0
	v_lshlrev_b64 v[105:106], v17, v[9:10]
	v_sub_nc_u32_e32 v17, 29, v0
	v_and_b32_e32 v9, 7, v105
; %bb.1005:                             ;   in Loop: Header=BB312_551 Depth=1
	s_or_b32 exec_lo, exec_lo, s28
	v_lshlrev_b32_sdwa v0, v37, v15 dst_sel:DWORD dst_unused:UNUSED_PAD src0_sel:DWORD src1_sel:WORD_1
	v_lshlrev_b32_e32 v9, 20, v9
	v_lshl_add_u32 v17, v17, 23, 0x3c000000
	v_and_b32_e32 v0, 0x80000000, v0
	v_or3_b32 v97, v9, v0, v17
.LBB312_1006:                           ;   in Loop: Header=BB312_551 Depth=1
	s_or_b32 exec_lo, exec_lo, s27
.LBB312_1007:                           ;   in Loop: Header=BB312_551 Depth=1
	s_or_b32 exec_lo, exec_lo, s26
.LBB312_1008:                           ;   in Loop: Header=BB312_551 Depth=1
	s_or_b32 exec_lo, exec_lo, s22
	s_mov_b32 s22, exec_lo
	v_cmpx_lt_u32_e32 0xffffff, v15
	s_cbranch_execz .LBB312_1016
; %bb.1009:                             ;   in Loop: Header=BB312_551 Depth=1
	v_cmp_ne_u32_sdwa s0, v15, v31 src0_sel:BYTE_3 src1_sel:DWORD
	v_bfrev_b32_e32 v104, 1
	s_and_saveexec_b32 s26, s0
	s_cbranch_execz .LBB312_1015
; %bb.1010:                             ;   in Loop: Header=BB312_551 Depth=1
	v_bfe_u32 v18, v15, 24, 7
	v_mov_b32_e32 v104, 0x7f800001
	s_mov_b32 s27, exec_lo
	v_cmpx_ne_u32_e32 0x7f, v18
	s_cbranch_execz .LBB312_1014
; %bb.1011:                             ;   in Loop: Header=BB312_551 Depth=1
	v_and_b32_sdwa v9, v15, v36 dst_sel:DWORD dst_unused:UNUSED_PAD src0_sel:BYTE_3 src1_sel:DWORD
	v_lshrrev_b32_e32 v17, 3, v18
	s_mov_b32 s28, exec_lo
	v_cmpx_gt_u32_e32 8, v18
; %bb.1012:                             ;   in Loop: Header=BB312_551 Depth=1
	v_ffbh_u32_e32 v0, v9
	v_min_u32_e32 v0, 32, v0
	v_subrev_nc_u32_e32 v17, 28, v0
	v_lshlrev_b64 v[104:105], v17, v[9:10]
	v_sub_nc_u32_e32 v17, 29, v0
	v_and_b32_e32 v9, 7, v104
; %bb.1013:                             ;   in Loop: Header=BB312_551 Depth=1
	s_or_b32 exec_lo, exec_lo, s28
	v_lshlrev_b32_sdwa v0, v37, v15 dst_sel:DWORD dst_unused:UNUSED_PAD src0_sel:DWORD src1_sel:BYTE_3
	v_lshlrev_b32_e32 v9, 20, v9
	v_lshl_add_u32 v17, v17, 23, 0x3c000000
	v_and_b32_e32 v0, 0x80000000, v0
	v_or3_b32 v104, v9, v0, v17
.LBB312_1014:                           ;   in Loop: Header=BB312_551 Depth=1
	s_or_b32 exec_lo, exec_lo, s27
.LBB312_1015:                           ;   in Loop: Header=BB312_551 Depth=1
	s_or_b32 exec_lo, exec_lo, s26
.LBB312_1016:                           ;   in Loop: Header=BB312_551 Depth=1
	s_or_b32 exec_lo, exec_lo, s22
	v_mov_b32_e32 v9, v16
	v_cmp_ne_u16_sdwa s0, v16, v10 src0_sel:BYTE_0 src1_sel:DWORD
	v_mov_b32_e32 v17, 0
	v_mov_b32_e32 v105, 0
	s_and_saveexec_b32 s22, s0
	s_cbranch_execz .LBB312_1022
; %bb.1017:                             ;   in Loop: Header=BB312_551 Depth=1
	v_cmp_ne_u16_sdwa s0, v16, v31 src0_sel:BYTE_0 src1_sel:DWORD
	v_bfrev_b32_e32 v105, 1
	s_and_saveexec_b32 s26, s0
	s_cbranch_execz .LBB312_1021
; %bb.1018:                             ;   in Loop: Header=BB312_551 Depth=1
	v_and_b32_e32 v18, 0x7f, v16
	v_mov_b32_e32 v105, 0x7f800001
	s_mov_b32 s27, exec_lo
	v_cmpx_ne_u32_e32 0x7f, v18
	s_cbranch_execz .LBB312_1020
; %bb.1019:                             ;   in Loop: Header=BB312_551 Depth=1
	v_and_b32_e32 v0, 7, v16
	v_cmp_gt_u32_e64 s0, 8, v18
	v_lshrrev_b32_e32 v33, 3, v18
	v_ffbh_u32_e32 v0, v0
	v_min_u32_e32 v0, 32, v0
	v_subrev_nc_u32_e32 v105, 28, v0
	v_sub_nc_u32_e32 v0, 29, v0
	v_cndmask_b32_e64 v18, 0, v105, s0
	v_cndmask_b32_e64 v0, v33, v0, s0
	v_lshlrev_b64 v[105:106], v18, v[9:10]
	v_lshlrev_b32_e32 v18, 24, v9
	v_lshl_add_u32 v0, v0, 23, 0x3c000000
	v_and_b32_e32 v18, 0x80000000, v18
	v_lshlrev_b32_e32 v33, 20, v105
	v_and_b32_e32 v33, 0x700000, v33
	v_or3_b32 v105, v33, v18, v0
.LBB312_1020:                           ;   in Loop: Header=BB312_551 Depth=1
	s_or_b32 exec_lo, exec_lo, s27
.LBB312_1021:                           ;   in Loop: Header=BB312_551 Depth=1
	s_or_b32 exec_lo, exec_lo, s26
.LBB312_1022:                           ;   in Loop: Header=BB312_551 Depth=1
	s_or_b32 exec_lo, exec_lo, s22
	v_cmp_ne_u16_sdwa s0, v9, v10 src0_sel:BYTE_1 src1_sel:DWORD
	s_and_saveexec_b32 s22, s0
	s_cbranch_execz .LBB312_1030
; %bb.1023:                             ;   in Loop: Header=BB312_551 Depth=1
	v_cmp_ne_u16_sdwa s0, v9, v31 src0_sel:BYTE_1 src1_sel:DWORD
	v_bfrev_b32_e32 v17, 1
	s_and_saveexec_b32 s26, s0
	s_cbranch_execz .LBB312_1029
; %bb.1024:                             ;   in Loop: Header=BB312_551 Depth=1
	v_and_b32_sdwa v18, v32, v9 dst_sel:DWORD dst_unused:UNUSED_PAD src0_sel:DWORD src1_sel:BYTE_1
	v_mov_b32_e32 v17, 0x7f800001
	s_mov_b32 s27, exec_lo
	v_and_b32_e32 v107, 0x7f, v18
	v_cmpx_ne_u32_e32 0x7f, v107
	s_cbranch_execz .LBB312_1028
; %bb.1025:                             ;   in Loop: Header=BB312_551 Depth=1
	v_and_b32_e32 v17, 7, v18
	v_mov_b32_e32 v18, v10
	v_lshrrev_b32_e32 v106, 3, v107
	s_mov_b32 s28, exec_lo
	v_cmpx_gt_u32_e32 8, v107
; %bb.1026:                             ;   in Loop: Header=BB312_551 Depth=1
	v_ffbh_u32_e32 v0, v17
	v_min_u32_e32 v0, 32, v0
	v_subrev_nc_u32_e32 v33, 28, v0
	v_sub_nc_u32_e32 v106, 29, v0
	v_lshlrev_b64 v[17:18], v33, v[17:18]
	v_and_b32_e32 v17, 7, v17
; %bb.1027:                             ;   in Loop: Header=BB312_551 Depth=1
	s_or_b32 exec_lo, exec_lo, s28
	v_lshlrev_b32_e32 v0, 16, v9
	v_lshlrev_b32_e32 v9, 20, v17
	v_lshl_add_u32 v17, v106, 23, 0x3c000000
	v_and_b32_e32 v0, 0x80000000, v0
	v_or3_b32 v17, v9, v0, v17
.LBB312_1028:                           ;   in Loop: Header=BB312_551 Depth=1
	s_or_b32 exec_lo, exec_lo, s27
.LBB312_1029:                           ;   in Loop: Header=BB312_551 Depth=1
	s_or_b32 exec_lo, exec_lo, s26
.LBB312_1030:                           ;   in Loop: Header=BB312_551 Depth=1
	s_or_b32 exec_lo, exec_lo, s22
	v_and_b32_sdwa v9, v16, v35 dst_sel:DWORD dst_unused:UNUSED_PAD src0_sel:WORD_1 src1_sel:DWORD
	v_mov_b32_e32 v18, 0
	v_mov_b32_e32 v106, 0
	s_mov_b32 s22, exec_lo
	v_cmpx_ne_u16_e32 0, v9
	s_cbranch_execz .LBB312_1038
; %bb.1031:                             ;   in Loop: Header=BB312_551 Depth=1
	v_bfrev_b32_e32 v106, 1
	s_mov_b32 s26, exec_lo
	v_cmpx_ne_u16_e32 0x80, v9
	s_cbranch_execz .LBB312_1037
; %bb.1032:                             ;   in Loop: Header=BB312_551 Depth=1
	v_bfe_u32 v107, v16, 16, 7
	v_mov_b32_e32 v106, 0x7f800001
	s_mov_b32 s27, exec_lo
	v_cmpx_ne_u32_e32 0x7f, v107
	s_cbranch_execz .LBB312_1036
; %bb.1033:                             ;   in Loop: Header=BB312_551 Depth=1
	v_and_b32_sdwa v9, v16, v36 dst_sel:DWORD dst_unused:UNUSED_PAD src0_sel:WORD_1 src1_sel:DWORD
	v_lshrrev_b32_e32 v106, 3, v107
	s_mov_b32 s28, exec_lo
	v_cmpx_gt_u32_e32 8, v107
; %bb.1034:                             ;   in Loop: Header=BB312_551 Depth=1
	v_ffbh_u32_e32 v0, v9
	v_min_u32_e32 v0, 32, v0
	v_subrev_nc_u32_e32 v33, 28, v0
	v_sub_nc_u32_e32 v106, 29, v0
	v_lshlrev_b64 v[107:108], v33, v[9:10]
	v_and_b32_e32 v9, 7, v107
; %bb.1035:                             ;   in Loop: Header=BB312_551 Depth=1
	s_or_b32 exec_lo, exec_lo, s28
	v_lshlrev_b32_sdwa v0, v37, v16 dst_sel:DWORD dst_unused:UNUSED_PAD src0_sel:DWORD src1_sel:WORD_1
	v_lshlrev_b32_e32 v9, 20, v9
	v_lshl_add_u32 v33, v106, 23, 0x3c000000
	v_and_b32_e32 v0, 0x80000000, v0
	v_or3_b32 v106, v9, v0, v33
.LBB312_1036:                           ;   in Loop: Header=BB312_551 Depth=1
	s_or_b32 exec_lo, exec_lo, s27
.LBB312_1037:                           ;   in Loop: Header=BB312_551 Depth=1
	s_or_b32 exec_lo, exec_lo, s26
.LBB312_1038:                           ;   in Loop: Header=BB312_551 Depth=1
	s_or_b32 exec_lo, exec_lo, s22
	s_mov_b32 s22, exec_lo
	v_cmpx_lt_u64_e64 s[2:3], v[15:16]
	s_cbranch_execz .LBB312_1046
; %bb.1039:                             ;   in Loop: Header=BB312_551 Depth=1
	v_cmp_ne_u32_sdwa s0, v16, v31 src0_sel:BYTE_3 src1_sel:DWORD
	v_bfrev_b32_e32 v18, 1
	s_and_saveexec_b32 s26, s0
	s_cbranch_execz .LBB312_1045
; %bb.1040:                             ;   in Loop: Header=BB312_551 Depth=1
	v_bfe_u32 v107, v16, 24, 7
	v_mov_b32_e32 v18, 0x7f800001
	s_mov_b32 s27, exec_lo
	v_cmpx_ne_u32_e32 0x7f, v107
	s_cbranch_execz .LBB312_1044
; %bb.1041:                             ;   in Loop: Header=BB312_551 Depth=1
	v_and_b32_sdwa v9, v16, v36 dst_sel:DWORD dst_unused:UNUSED_PAD src0_sel:BYTE_3 src1_sel:DWORD
	v_lshrrev_b32_e32 v15, 3, v107
	s_mov_b32 s28, exec_lo
	v_cmpx_gt_u32_e32 8, v107
; %bb.1042:                             ;   in Loop: Header=BB312_551 Depth=1
	v_ffbh_u32_e32 v0, v9
	v_min_u32_e32 v0, 32, v0
	v_subrev_nc_u32_e32 v15, 28, v0
	v_lshlrev_b64 v[107:108], v15, v[9:10]
	v_sub_nc_u32_e32 v15, 29, v0
	v_and_b32_e32 v9, 7, v107
; %bb.1043:                             ;   in Loop: Header=BB312_551 Depth=1
	s_or_b32 exec_lo, exec_lo, s28
	v_lshlrev_b32_sdwa v0, v37, v16 dst_sel:DWORD dst_unused:UNUSED_PAD src0_sel:DWORD src1_sel:BYTE_3
	v_lshlrev_b32_e32 v9, 20, v9
	v_lshl_add_u32 v15, v15, 23, 0x3c000000
	v_and_b32_e32 v0, 0x80000000, v0
	v_or3_b32 v18, v9, v0, v15
.LBB312_1044:                           ;   in Loop: Header=BB312_551 Depth=1
	s_or_b32 exec_lo, exec_lo, s27
.LBB312_1045:                           ;   in Loop: Header=BB312_551 Depth=1
	s_or_b32 exec_lo, exec_lo, s26
.LBB312_1046:                           ;   in Loop: Header=BB312_551 Depth=1
	s_or_b32 exec_lo, exec_lo, s22
	v_mul_f32_e32 v0, s21, v17
	v_mul_f32_e32 v9, s21, v105
	;; [unrolled: 1-line block ×5, first 2 shown]
	v_bfe_u32 v17, v0, 16, 1
	v_or_b32_e32 v33, 0x400000, v0
	v_bfe_u32 v97, v9, 16, 1
	v_cmp_u_f32_e64 s0, v0, v0
	v_or_b32_e32 v104, 0x400000, v9
	v_add3_u32 v17, v17, v0, 0x7fff
	v_bfe_u32 v105, v15, 16, 1
	v_add3_u32 v97, v97, v9, 0x7fff
	v_or_b32_e32 v107, 0x400000, v15
	v_bfe_u32 v108, v16, 16, 1
	v_cndmask_b32_e64 v0, v17, v33, s0
	v_cmp_u_f32_e64 s0, v9, v9
	v_add3_u32 v105, v105, v15, 0x7fff
	v_mul_f32_e32 v18, s21, v18
	v_add3_u32 v33, v108, v16, 0x7fff
	v_cndmask_b32_e64 v9, v97, v104, s0
	v_cmp_u_f32_e64 s0, v15, v15
	v_lshrrev_b32_e32 v15, 16, v0
	v_mul_f32_e32 v0, s21, v96
	v_or_b32_e32 v96, 0x400000, v16
	v_bfe_u32 v104, v19, 16, 1
	v_cndmask_b32_e64 v17, v105, v107, s0
	v_cmp_u_f32_e64 s0, v16, v16
	v_bfe_u32 v97, v0, 16, 1
	v_or_b32_e32 v107, 0x400000, v18
	v_lshrrev_b32_e32 v9, 16, v9
	v_lshrrev_b32_e32 v17, 16, v17
	v_cndmask_b32_e64 v16, v33, v96, s0
	v_mul_f32_e32 v33, s21, v106
	v_add3_u32 v96, v97, v0, 0x7fff
	v_or_b32_e32 v97, 0x400000, v0
	v_cmp_u_f32_e64 s0, v0, v0
	v_bfe_u32 v105, v33, 16, 1
	v_or_b32_e32 v106, 0x400000, v33
	v_cndmask_b32_e64 v0, v96, v97, s0
	v_add3_u32 v97, v104, v19, 0x7fff
	v_or_b32_e32 v104, 0x400000, v19
	v_cmp_u_f32_e64 s0, v19, v19
	v_bfe_u32 v96, v18, 16, 1
	v_add3_u32 v105, v105, v33, 0x7fff
	v_lshrrev_b32_e32 v19, 16, v16
	v_cndmask_b32_e64 v104, v97, v104, s0
	v_cmp_u_f32_e64 s0, v33, v33
	v_add3_u32 v96, v96, v18, 0x7fff
	v_lshrrev_b32_e32 v97, 16, v0
	v_cndmask_b32_e64 v33, v105, v106, s0
	v_cmp_u_f32_e64 s0, v18, v18
	v_lshrrev_b32_e32 v16, 16, v33
	v_cndmask_b32_e64 v18, v96, v107, s0
	v_lshrrev_b32_e32 v96, 16, v104
	v_lshrrev_b32_e32 v18, 16, v18
	s_and_saveexec_b32 s0, vcc_lo
	s_cbranch_execz .LBB312_549
; %bb.1047:                             ;   in Loop: Header=BB312_551 Depth=1
	v_cmp_gt_i32_e32 vcc_lo, s33, v34
	v_cndmask_b32_e32 v96, 0, v96, vcc_lo
	v_cmp_gt_i32_e32 vcc_lo, s33, v59
	v_cndmask_b32_e32 v97, 0, v97, vcc_lo
	;; [unrolled: 2-line block ×8, first 2 shown]
	s_branch .LBB312_549
.LBB312_1048:
	s_or_b32 exec_lo, exec_lo, s17
	v_mov_b32_e32 v13, v109
	v_mov_b32_e32 v46, v110
.LBB312_1049:
	s_or_b32 exec_lo, exec_lo, s1
	v_lshl_add_u32 v2, v25, 2, 0x220
	v_and_b32_e32 v0, 0x3c0, v13
	s_mov_b32 s0, exec_lo
	s_barrier
	v_lshl_add_u32 v1, v46, 10, v2
	buffer_gl0_inv
	v_cmpx_eq_u32_e32 64, v0
	s_cbranch_execz .LBB312_1051
; %bb.1050:
	v_add_nc_u32_e32 v0, 0xfffff800, v1
	v_add_nc_u32_e32 v3, 0xfffff880, v1
	;; [unrolled: 1-line block ×5, first 2 shown]
	ds_write_b32 v0, v29
	ds_write_b32 v3, v28
	;; [unrolled: 1-line block ×3, first 2 shown]
	v_add_nc_u32_e32 v0, 0xfffff980, v1
	v_add_nc_u32_e32 v3, 0xfffffa00, v1
	;; [unrolled: 1-line block ×3, first 2 shown]
	ds_write_b32 v0, v26
	ds_write_b32 v3, v24
	;; [unrolled: 1-line block ×5, first 2 shown]
.LBB312_1051:
	s_or_b32 exec_lo, exec_lo, s0
	s_mov_b32 s0, exec_lo
	s_waitcnt lgkmcnt(0)
	s_barrier
	buffer_gl0_inv
	v_cmpx_gt_u32_e32 64, v13
	s_cbranch_execz .LBB312_1053
; %bb.1052:
	ds_read2_b32 v[3:4], v1 offset1:32
	ds_read2_b32 v[5:6], v1 offset0:64 offset1:96
	ds_read2_b32 v[7:8], v1 offset0:128 offset1:160
	;; [unrolled: 1-line block ×3, first 2 shown]
	s_waitcnt lgkmcnt(3)
	v_add_f32_e32 v29, v29, v3
	v_add_f32_e32 v28, v28, v4
	s_waitcnt lgkmcnt(2)
	v_add_f32_e32 v27, v27, v5
	v_add_f32_e32 v26, v26, v6
	;; [unrolled: 3-line block ×4, first 2 shown]
.LBB312_1053:
	s_or_b32 exec_lo, exec_lo, s0
	v_and_b32_e32 v0, 0x3e0, v13
	s_mov_b32 s0, exec_lo
	s_barrier
	buffer_gl0_inv
	v_cmpx_eq_u32_e32 32, v0
	s_cbranch_execz .LBB312_1055
; %bb.1054:
	ds_write2_b32 v2, v29, v28 offset1:32
	ds_write2_b32 v2, v27, v26 offset0:64 offset1:96
	ds_write2_b32 v2, v24, v23 offset0:128 offset1:160
	;; [unrolled: 1-line block ×3, first 2 shown]
.LBB312_1055:
	s_or_b32 exec_lo, exec_lo, s0
	v_cmp_gt_u32_e32 vcc_lo, 32, v13
	s_waitcnt lgkmcnt(0)
	s_barrier
	buffer_gl0_inv
	s_and_saveexec_b32 s0, vcc_lo
	s_cbranch_execz .LBB312_1057
; %bb.1056:
	ds_read2_b32 v[2:3], v1 offset1:32
	ds_read2_b32 v[4:5], v1 offset0:64 offset1:96
	ds_read2_b32 v[6:7], v1 offset0:128 offset1:160
	;; [unrolled: 1-line block ×3, first 2 shown]
	s_waitcnt lgkmcnt(3)
	v_add_f32_e32 v29, v29, v2
	v_add_f32_e32 v28, v28, v3
	s_waitcnt lgkmcnt(2)
	v_add_f32_e32 v27, v27, v4
	v_add_f32_e32 v26, v26, v5
	;; [unrolled: 3-line block ×4, first 2 shown]
.LBB312_1057:
	s_or_b32 exec_lo, exec_lo, s0
	s_barrier
	buffer_gl0_inv
	s_and_saveexec_b32 s0, vcc_lo
	s_cbranch_execz .LBB312_1059
; %bb.1058:
	s_mul_i32 s0, s10, s11
	s_mul_i32 s2, s11, s24
	;; [unrolled: 1-line block ×3, first 2 shown]
	v_bfe_u32 v1, v29, 16, 1
	s_lshl_b32 s0, s0, 8
	v_or_b32_e32 v2, 0x400000, v29
	s_ashr_i32 s1, s0, 31
	v_bfe_u32 v3, v28, 16, 1
	s_lshl_b64 s[0:1], s[0:1], 1
	v_add3_u32 v1, v1, v29, 0x7fff
	s_add_u32 s4, s6, s0
	s_addc_u32 s5, s7, s1
	s_ashr_i32 s3, s2, 31
	v_cmp_u_f32_e32 vcc_lo, v29, v29
	s_lshl_b64 s[0:1], s[2:3], 1
	v_lshlrev_b32_e32 v0, 1, v13
	s_add_u32 s2, s4, s0
	s_addc_u32 s3, s5, s1
	s_lshl_b32 s0, s8, 8
	v_cndmask_b32_e32 v1, v1, v2, vcc_lo
	s_ashr_i32 s1, s0, 31
	v_bfe_u32 v2, v27, 16, 1
	s_lshl_b64 s[0:1], s[0:1], 1
	v_add3_u32 v3, v3, v28, 0x7fff
	v_or_b32_e32 v4, 0x400000, v28
	v_cmp_u_f32_e32 vcc_lo, v28, v28
	s_add_u32 s0, s2, s0
	s_addc_u32 s1, s3, s1
	v_bfe_u32 v5, v22, 16, 1
	global_store_short_d16_hi v0, v1, s[0:1]
	v_add3_u32 v1, v2, v27, 0x7fff
	v_or_b32_e32 v2, 0x400000, v27
	v_cndmask_b32_e32 v3, v3, v4, vcc_lo
	v_bfe_u32 v4, v26, 16, 1
	v_cmp_u_f32_e32 vcc_lo, v27, v27
	v_or_b32_e32 v6, 0x400000, v23
	v_add3_u32 v5, v5, v22, 0x7fff
	global_store_short_d16_hi v0, v3, s[0:1] offset:64
	v_add3_u32 v3, v4, v26, 0x7fff
	v_cndmask_b32_e32 v1, v1, v2, vcc_lo
	v_bfe_u32 v2, v24, 16, 1
	v_or_b32_e32 v4, 0x400000, v26
	v_cmp_u_f32_e32 vcc_lo, v26, v26
	v_or_b32_e32 v7, 0x400000, v22
	global_store_short_d16_hi v0, v1, s[0:1] offset:128
	v_add3_u32 v1, v2, v24, 0x7fff
	v_or_b32_e32 v2, 0x400000, v24
	v_cndmask_b32_e32 v3, v3, v4, vcc_lo
	v_bfe_u32 v4, v23, 16, 1
	v_cmp_u_f32_e32 vcc_lo, v24, v24
	v_or_b32_e32 v8, 0x400000, v21
	v_add3_u32 v4, v4, v23, 0x7fff
	v_cndmask_b32_e32 v1, v1, v2, vcc_lo
	v_cmp_u_f32_e32 vcc_lo, v23, v23
	v_bfe_u32 v2, v21, 16, 1
	v_cndmask_b32_e32 v4, v4, v6, vcc_lo
	v_cmp_u_f32_e32 vcc_lo, v22, v22
	v_add3_u32 v2, v2, v21, 0x7fff
	v_cndmask_b32_e32 v5, v5, v7, vcc_lo
	v_cmp_u_f32_e32 vcc_lo, v21, v21
	v_cndmask_b32_e32 v2, v2, v8, vcc_lo
	global_store_short_d16_hi v0, v3, s[0:1] offset:192
	global_store_short_d16_hi v0, v1, s[0:1] offset:256
	;; [unrolled: 1-line block ×5, first 2 shown]
.LBB312_1059:
	s_endpgm
	.section	.rodata,"a",@progbits
	.p2align	6, 0x0
	.amdhsa_kernel _ZN4vllm25paged_attention_v1_kernelI14__hip_bfloat16hLi256ELi8ELi128ELNS_18Fp8KVCacheDataTypeE1ELb1EEEvPT_PKS3_PKT0_S9_ifPKiSB_iPKfiiiSD_SD_iiiii
		.amdhsa_group_segment_fixed_size 544
		.amdhsa_private_segment_fixed_size 32
		.amdhsa_kernarg_size 384
		.amdhsa_user_sgpr_count 6
		.amdhsa_user_sgpr_private_segment_buffer 1
		.amdhsa_user_sgpr_dispatch_ptr 0
		.amdhsa_user_sgpr_queue_ptr 0
		.amdhsa_user_sgpr_kernarg_segment_ptr 1
		.amdhsa_user_sgpr_dispatch_id 0
		.amdhsa_user_sgpr_flat_scratch_init 0
		.amdhsa_user_sgpr_private_segment_size 0
		.amdhsa_wavefront_size32 1
		.amdhsa_uses_dynamic_stack 0
		.amdhsa_system_sgpr_private_segment_wavefront_offset 1
		.amdhsa_system_sgpr_workgroup_id_x 1
		.amdhsa_system_sgpr_workgroup_id_y 1
		.amdhsa_system_sgpr_workgroup_id_z 1
		.amdhsa_system_sgpr_workgroup_info 0
		.amdhsa_system_vgpr_workitem_id 0
		.amdhsa_next_free_vgpr 128
		.amdhsa_next_free_sgpr 52
		.amdhsa_reserve_vcc 1
		.amdhsa_reserve_flat_scratch 0
		.amdhsa_float_round_mode_32 0
		.amdhsa_float_round_mode_16_64 0
		.amdhsa_float_denorm_mode_32 3
		.amdhsa_float_denorm_mode_16_64 3
		.amdhsa_dx10_clamp 1
		.amdhsa_ieee_mode 1
		.amdhsa_fp16_overflow 0
		.amdhsa_workgroup_processor_mode 1
		.amdhsa_memory_ordered 1
		.amdhsa_forward_progress 1
		.amdhsa_shared_vgpr_count 0
		.amdhsa_exception_fp_ieee_invalid_op 0
		.amdhsa_exception_fp_denorm_src 0
		.amdhsa_exception_fp_ieee_div_zero 0
		.amdhsa_exception_fp_ieee_overflow 0
		.amdhsa_exception_fp_ieee_underflow 0
		.amdhsa_exception_fp_ieee_inexact 0
		.amdhsa_exception_int_div_zero 0
	.end_amdhsa_kernel
	.section	.text._ZN4vllm25paged_attention_v1_kernelI14__hip_bfloat16hLi256ELi8ELi128ELNS_18Fp8KVCacheDataTypeE1ELb1EEEvPT_PKS3_PKT0_S9_ifPKiSB_iPKfiiiSD_SD_iiiii,"axG",@progbits,_ZN4vllm25paged_attention_v1_kernelI14__hip_bfloat16hLi256ELi8ELi128ELNS_18Fp8KVCacheDataTypeE1ELb1EEEvPT_PKS3_PKT0_S9_ifPKiSB_iPKfiiiSD_SD_iiiii,comdat
.Lfunc_end312:
	.size	_ZN4vllm25paged_attention_v1_kernelI14__hip_bfloat16hLi256ELi8ELi128ELNS_18Fp8KVCacheDataTypeE1ELb1EEEvPT_PKS3_PKT0_S9_ifPKiSB_iPKfiiiSD_SD_iiiii, .Lfunc_end312-_ZN4vllm25paged_attention_v1_kernelI14__hip_bfloat16hLi256ELi8ELi128ELNS_18Fp8KVCacheDataTypeE1ELb1EEEvPT_PKS3_PKT0_S9_ifPKiSB_iPKfiiiSD_SD_iiiii
                                        ; -- End function
	.set _ZN4vllm25paged_attention_v1_kernelI14__hip_bfloat16hLi256ELi8ELi128ELNS_18Fp8KVCacheDataTypeE1ELb1EEEvPT_PKS3_PKT0_S9_ifPKiSB_iPKfiiiSD_SD_iiiii.num_vgpr, 128
	.set _ZN4vllm25paged_attention_v1_kernelI14__hip_bfloat16hLi256ELi8ELi128ELNS_18Fp8KVCacheDataTypeE1ELb1EEEvPT_PKS3_PKT0_S9_ifPKiSB_iPKfiiiSD_SD_iiiii.num_agpr, 0
	.set _ZN4vllm25paged_attention_v1_kernelI14__hip_bfloat16hLi256ELi8ELi128ELNS_18Fp8KVCacheDataTypeE1ELb1EEEvPT_PKS3_PKT0_S9_ifPKiSB_iPKfiiiSD_SD_iiiii.numbered_sgpr, 52
	.set _ZN4vllm25paged_attention_v1_kernelI14__hip_bfloat16hLi256ELi8ELi128ELNS_18Fp8KVCacheDataTypeE1ELb1EEEvPT_PKS3_PKT0_S9_ifPKiSB_iPKfiiiSD_SD_iiiii.num_named_barrier, 0
	.set _ZN4vllm25paged_attention_v1_kernelI14__hip_bfloat16hLi256ELi8ELi128ELNS_18Fp8KVCacheDataTypeE1ELb1EEEvPT_PKS3_PKT0_S9_ifPKiSB_iPKfiiiSD_SD_iiiii.private_seg_size, 32
	.set _ZN4vllm25paged_attention_v1_kernelI14__hip_bfloat16hLi256ELi8ELi128ELNS_18Fp8KVCacheDataTypeE1ELb1EEEvPT_PKS3_PKT0_S9_ifPKiSB_iPKfiiiSD_SD_iiiii.uses_vcc, 1
	.set _ZN4vllm25paged_attention_v1_kernelI14__hip_bfloat16hLi256ELi8ELi128ELNS_18Fp8KVCacheDataTypeE1ELb1EEEvPT_PKS3_PKT0_S9_ifPKiSB_iPKfiiiSD_SD_iiiii.uses_flat_scratch, 0
	.set _ZN4vllm25paged_attention_v1_kernelI14__hip_bfloat16hLi256ELi8ELi128ELNS_18Fp8KVCacheDataTypeE1ELb1EEEvPT_PKS3_PKT0_S9_ifPKiSB_iPKfiiiSD_SD_iiiii.has_dyn_sized_stack, 0
	.set _ZN4vllm25paged_attention_v1_kernelI14__hip_bfloat16hLi256ELi8ELi128ELNS_18Fp8KVCacheDataTypeE1ELb1EEEvPT_PKS3_PKT0_S9_ifPKiSB_iPKfiiiSD_SD_iiiii.has_recursion, 0
	.set _ZN4vllm25paged_attention_v1_kernelI14__hip_bfloat16hLi256ELi8ELi128ELNS_18Fp8KVCacheDataTypeE1ELb1EEEvPT_PKS3_PKT0_S9_ifPKiSB_iPKfiiiSD_SD_iiiii.has_indirect_call, 0
	.section	.AMDGPU.csdata,"",@progbits
; Kernel info:
; codeLenInByte = 39904
; TotalNumSgprs: 54
; NumVgprs: 128
; ScratchSize: 32
; MemoryBound: 0
; FloatMode: 240
; IeeeMode: 1
; LDSByteSize: 544 bytes/workgroup (compile time only)
; SGPRBlocks: 0
; VGPRBlocks: 15
; NumSGPRsForWavesPerEU: 54
; NumVGPRsForWavesPerEU: 128
; Occupancy: 8
; WaveLimiterHint : 1
; COMPUTE_PGM_RSRC2:SCRATCH_EN: 1
; COMPUTE_PGM_RSRC2:USER_SGPR: 6
; COMPUTE_PGM_RSRC2:TRAP_HANDLER: 0
; COMPUTE_PGM_RSRC2:TGID_X_EN: 1
; COMPUTE_PGM_RSRC2:TGID_Y_EN: 1
; COMPUTE_PGM_RSRC2:TGID_Z_EN: 1
; COMPUTE_PGM_RSRC2:TIDIG_COMP_CNT: 0
	.section	.text._ZN4vllm25paged_attention_v1_kernelI14__hip_bfloat16hLi32ELi8ELi128ELNS_18Fp8KVCacheDataTypeE1ELb0EEEvPT_PKS3_PKT0_S9_ifPKiSB_iPKfiiiSD_SD_iiiii,"axG",@progbits,_ZN4vllm25paged_attention_v1_kernelI14__hip_bfloat16hLi32ELi8ELi128ELNS_18Fp8KVCacheDataTypeE1ELb0EEEvPT_PKS3_PKT0_S9_ifPKiSB_iPKfiiiSD_SD_iiiii,comdat
	.protected	_ZN4vllm25paged_attention_v1_kernelI14__hip_bfloat16hLi32ELi8ELi128ELNS_18Fp8KVCacheDataTypeE1ELb0EEEvPT_PKS3_PKT0_S9_ifPKiSB_iPKfiiiSD_SD_iiiii ; -- Begin function _ZN4vllm25paged_attention_v1_kernelI14__hip_bfloat16hLi32ELi8ELi128ELNS_18Fp8KVCacheDataTypeE1ELb0EEEvPT_PKS3_PKT0_S9_ifPKiSB_iPKfiiiSD_SD_iiiii
	.globl	_ZN4vllm25paged_attention_v1_kernelI14__hip_bfloat16hLi32ELi8ELi128ELNS_18Fp8KVCacheDataTypeE1ELb0EEEvPT_PKS3_PKT0_S9_ifPKiSB_iPKfiiiSD_SD_iiiii
	.p2align	8
	.type	_ZN4vllm25paged_attention_v1_kernelI14__hip_bfloat16hLi32ELi8ELi128ELNS_18Fp8KVCacheDataTypeE1ELb0EEEvPT_PKS3_PKT0_S9_ifPKiSB_iPKfiiiSD_SD_iiiii,@function
_ZN4vllm25paged_attention_v1_kernelI14__hip_bfloat16hLi32ELi8ELi128ELNS_18Fp8KVCacheDataTypeE1ELb0EEEvPT_PKS3_PKT0_S9_ifPKiSB_iPKfiiiSD_SD_iiiii: ; @_ZN4vllm25paged_attention_v1_kernelI14__hip_bfloat16hLi32ELi8ELi128ELNS_18Fp8KVCacheDataTypeE1ELb0EEEvPT_PKS3_PKT0_S9_ifPKiSB_iPKfiiiSD_SD_iiiii
; %bb.0:
	s_clause 0x2
	s_load_dword s9, s[4:5], 0x80
	s_load_dwordx2 s[0:1], s[4:5], 0x30
	s_load_dwordx2 s[28:29], s[4:5], 0x20
	s_mov_b32 s10, s7
	s_ashr_i32 s11, s7, 31
	s_lshl_b64 s[2:3], s[10:11], 2
	s_waitcnt lgkmcnt(0)
	s_add_u32 s0, s0, s2
	s_addc_u32 s1, s1, s3
	s_abs_i32 s2, s28
	s_abs_i32 s11, s9
	v_cvt_f32_u32_e32 v1, s2
	s_sub_i32 s7, 0, s2
	v_rcp_iflag_f32_e32 v1, v1
	v_mul_f32_e32 v1, 0x4f7ffffe, v1
	v_cvt_u32_f32_e32 v1, v1
	v_readfirstlane_b32 s3, v1
	s_mul_i32 s7, s7, s3
	s_mul_hi_u32 s7, s3, s7
	s_add_i32 s3, s3, s7
	s_xor_b32 s7, s9, s28
	s_mul_hi_u32 s3, s11, s3
	s_ashr_i32 s7, s7, 31
	s_mul_i32 s12, s3, s2
	s_mov_b32 s28, 0
	s_sub_i32 s11, s11, s12
	s_add_i32 s12, s3, 1
	s_sub_i32 s13, s11, s2
	s_cmp_ge_u32 s11, s2
	s_cselect_b32 s3, s12, s3
	s_cselect_b32 s11, s13, s11
	s_add_i32 s12, s3, 1
	s_cmp_ge_u32 s11, s2
	s_cselect_b32 s2, s12, s3
	s_abs_i32 s17, s6
	s_xor_b32 s2, s2, s7
	s_sub_i32 s19, s2, s7
	s_load_dwordx2 s[2:3], s[4:5], 0x40
	s_abs_i32 s16, s19
	v_cvt_f32_u32_e32 v1, s16
	s_sub_i32 s11, 0, s16
	v_rcp_iflag_f32_e32 v1, v1
	v_mul_f32_e32 v1, 0x4f7ffffe, v1
	v_cvt_u32_f32_e32 v1, v1
	v_readfirstlane_b32 s7, v1
	s_mul_i32 s11, s11, s7
	s_mul_hi_u32 s11, s7, s11
	s_add_i32 s7, s7, s11
	s_waitcnt lgkmcnt(0)
	s_cmp_eq_u64 s[2:3], 0
	s_mul_hi_u32 s18, s17, s7
	s_cbranch_scc1 .LBB313_2
; %bb.1:
	s_ashr_i32 s7, s6, 31
	s_lshl_b64 s[12:13], s[6:7], 2
	s_add_u32 s2, s2, s12
	s_addc_u32 s3, s3, s13
	s_load_dword s28, s[2:3], 0x0
.LBB313_2:
	s_load_dword s11, s[0:1], 0x0
	s_load_dwordx4 s[12:15], s[4:5], 0x48
	v_and_b32_e32 v1, 3, v0
	s_ashr_i32 s0, s6, 31
	s_ashr_i32 s1, s19, 31
	s_lshl_b32 s6, s6, 5
	s_mov_b32 s2, exec_lo
	v_cmpx_gt_u32_e32 16, v0
	s_cbranch_execz .LBB313_4
; %bb.3:
	s_load_dwordx2 s[20:21], s[4:5], 0x8
	s_waitcnt lgkmcnt(0)
	s_mul_i32 s22, s12, s10
	v_lshlrev_b32_e32 v2, 2, v0
	s_ashr_i32 s23, s22, 31
	v_and_b32_e32 v3, 0x3fc, v0
	s_lshl_b64 s[22:23], s[22:23], 1
	v_lshl_add_u32 v3, v1, 4, v3
	s_add_u32 s3, s20, s22
	s_addc_u32 s12, s21, s23
	s_ashr_i32 s7, s6, 31
	s_lshl_b64 s[20:21], s[6:7], 1
	s_add_u32 s20, s3, s20
	s_addc_u32 s21, s12, s21
	global_load_dword v2, v2, s[20:21]
	s_waitcnt vmcnt(0)
	ds_write_b32 v3, v2
.LBB313_4:
	s_or_b32 exec_lo, exec_lo, s2
	s_waitcnt lgkmcnt(0)
	s_add_i32 s2, s11, 7
	s_clause 0x1
	s_load_dwordx2 s[22:23], s[4:5], 0x28
	s_load_dword s7, s[4:5], 0x38
	s_ashr_i32 s3, s2, 31
	s_xor_b32 s0, s0, s1
	s_lshr_b32 s3, s3, 29
	s_mul_i32 s1, s18, s16
	s_add_i32 s2, s2, s3
	s_sub_i32 s1, s17, s1
	s_ashr_i32 s12, s2, 3
	s_add_i32 s2, s18, 1
	s_sub_i32 s3, s1, s16
	s_cmp_ge_u32 s1, s16
	v_lshrrev_b32_e32 v18, 5, v0
	s_cselect_b32 s2, s2, s18
	s_cselect_b32 s1, s3, s1
	s_add_i32 s3, s2, 1
	s_cmp_ge_u32 s1, s16
	v_mbcnt_lo_u32_b32 v10, -1, 0
	s_cselect_b32 s1, s3, s2
	s_mov_b32 s2, exec_lo
	s_xor_b32 s1, s1, s0
	s_waitcnt lgkmcnt(0)
	s_mul_i32 s24, s7, s10
	s_sub_i32 s1, s1, s0
	v_cmp_gt_i32_e64 s0, s12, v18
	s_ashr_i32 s25, s24, 31
	s_barrier
	buffer_gl0_inv
                                        ; implicit-def: $vgpr2
                                        ; implicit-def: $vgpr11
	v_cmpx_le_i32_e64 s12, v18
	s_xor_b32 s2, exec_lo, s2
; %bb.5:
	v_mov_b32_e32 v2, 0
	v_mbcnt_lo_u32_b32 v10, -1, 0
	v_mov_b32_e32 v11, 32
                                        ; implicit-def: $vgpr1
; %bb.6:
	s_or_saveexec_b32 s15, s2
	s_clause 0x3
	s_load_dwordx2 s[20:21], s[4:5], 0x0
	s_load_dwordx2 s[26:27], s[4:5], 0x18
	s_load_dword s7, s[4:5], 0x88
	s_load_dwordx4 s[16:19], s[4:5], 0x58
	v_mov_b32_e32 v12, 0xff7fffff
	v_lshrrev_b32_e32 v9, 3, v0
	s_mul_i32 s14, s1, s14
	s_xor_b32 exec_lo, exec_lo, s15
	s_cbranch_execz .LBB313_76
; %bb.7:
	s_load_dwordx2 s[2:3], s[4:5], 0x10
	v_lshlrev_b32_e32 v2, 4, v1
	v_xor_b32_e32 v8, 2, v10
	v_bfe_u32 v7, v0, 2, 3
	v_xor_b32_e32 v11, 1, v10
	s_ashr_i32 s1, s14, 31
	ds_read_b128 v[3:6], v2
	v_cmp_gt_i32_e32 vcc_lo, 32, v8
	v_lshlrev_b32_e32 v13, 4, v7
	s_waitcnt lgkmcnt(0)
	s_load_dword s4, s[16:17], 0x0
	v_lshlrev_b32_e32 v12, 1, v1
	v_mov_b32_e32 v2, 0
	v_cndmask_b32_e32 v8, v10, v8, vcc_lo
	v_cmp_gt_i32_e32 vcc_lo, 32, v11
	v_mov_b32_e32 v26, 0x80
	v_mov_b32_e32 v27, 0xffff
	;; [unrolled: 1-line block ×3, first 2 shown]
	v_lshlrev_b32_e32 v22, 2, v8
	v_cndmask_b32_e32 v23, v10, v11, vcc_lo
	v_cmp_eq_u32_e32 vcc_lo, 0, v1
	s_add_u32 s2, s2, s14
	s_addc_u32 s1, s3, s1
	v_add_co_u32 v24, s2, s2, v13
	v_add_co_ci_u32_e64 v25, null, s1, 0, s2
	v_lshlrev_b32_e32 v1, 2, v7
	v_lshlrev_b32_e32 v13, 16, v3
	v_and_b32_e32 v14, 0xffff0000, v3
	v_add_co_u32 v3, s2, v24, v12
	v_lshlrev_b32_e32 v17, 16, v5
	v_and_b32_e32 v19, 0xffff0000, v5
	v_and_b32_e32 v5, 0x7c, v9
	v_lshlrev_b32_e32 v15, 16, v4
	v_and_b32_e32 v16, 0xffff0000, v4
	v_add_co_ci_u32_e64 v4, null, 0, v25, s2
	s_lshl_b64 s[2:3], s[24:25], 2
	v_lshl_or_b32 v1, v18, 5, v1
	s_sub_i32 s5, 1, s11
	s_add_u32 s2, s22, s2
	s_addc_u32 s3, s23, s3
	v_add_co_u32 v5, s2, s2, v5
	v_lshlrev_b32_e32 v20, 16, v6
	v_and_b32_e32 v21, 0xffff0000, v6
	v_mov_b32_e32 v11, 32
	v_lshlrev_b32_e32 v23, 2, v23
	v_cmp_neq_f32_e64 s1, s28, 0
	v_lshl_or_b32 v24, v18, 3, v7
	v_add_nc_u32_e32 v25, 0x60, v1
	v_add_co_ci_u32_e64 v6, null, s3, 0, s2
	v_mov_b32_e32 v12, 0xff7fffff
	s_mov_b32 s17, s13
	s_mov_b32 s16, 0
	s_branch .LBB313_9
.LBB313_8:                              ;   in Loop: Header=BB313_9 Depth=1
	s_or_b32 exec_lo, exec_lo, s3
	v_add_nc_u32_e32 v28, 4, v28
	v_add_co_u32 v5, s3, v5, 16
	v_add_nc_u32_e32 v24, 32, v24
	v_add_nc_u32_e32 v25, 0x80, v25
	v_cmp_le_i32_e64 s2, s12, v28
	v_add_co_ci_u32_e64 v6, null, 0, v6, s3
	s_or_b32 s16, s2, s16
	s_andn2_b32 exec_lo, exec_lo, s16
	s_cbranch_execz .LBB313_75
.LBB313_9:                              ; =>This Inner Loop Header: Depth=1
	global_load_dword v1, v[5:6], off
	v_mov_b32_e32 v29, 0
	s_waitcnt vmcnt(0) lgkmcnt(0)
	v_mad_i64_i32 v[7:8], null, v1, s17, v[3:4]
	global_load_ushort v1, v[7:8], off
	s_waitcnt vmcnt(0)
	v_and_b32_e32 v31, 0xffff, v1
	v_cmp_ne_u16_sdwa s2, v1, v2 src0_sel:BYTE_0 src1_sel:DWORD
	s_and_saveexec_b32 s3, s2
	s_cbranch_execz .LBB313_17
; %bb.10:                               ;   in Loop: Header=BB313_9 Depth=1
	v_cmp_ne_u16_sdwa s2, v31, v26 src0_sel:BYTE_0 src1_sel:DWORD
	v_bfrev_b32_e32 v29, 1
	s_and_saveexec_b32 s30, s2
	s_cbranch_execz .LBB313_16
; %bb.11:                               ;   in Loop: Header=BB313_9 Depth=1
	v_and_b32_e32 v30, 0x7f, v31
	v_mov_b32_e32 v29, 0x7f800001
	s_mov_b32 s31, exec_lo
	v_cmpx_ne_u32_e32 0x7f, v30
	s_cbranch_execz .LBB313_15
; %bb.12:                               ;   in Loop: Header=BB313_9 Depth=1
	v_and_b32_e32 v1, 7, v31
	v_lshrrev_b32_e32 v29, 3, v30
	s_mov_b32 s33, exec_lo
	v_cmpx_gt_u32_e32 8, v30
; %bb.13:                               ;   in Loop: Header=BB313_9 Depth=1
	v_ffbh_u32_e32 v29, v1
	v_min_u32_e32 v29, 32, v29
	v_subrev_nc_u32_e32 v30, 28, v29
	v_sub_nc_u32_e32 v29, 29, v29
	v_lshlrev_b64 v[32:33], v30, v[1:2]
	v_and_b32_e32 v1, 7, v32
; %bb.14:                               ;   in Loop: Header=BB313_9 Depth=1
	s_or_b32 exec_lo, exec_lo, s33
	v_lshlrev_b32_e32 v30, 24, v31
	v_lshlrev_b32_e32 v1, 20, v1
	v_lshl_add_u32 v29, v29, 23, 0x3c000000
	v_and_b32_e32 v30, 0x80000000, v30
	v_or3_b32 v29, v1, v30, v29
.LBB313_15:                             ;   in Loop: Header=BB313_9 Depth=1
	s_or_b32 exec_lo, exec_lo, s31
.LBB313_16:                             ;   in Loop: Header=BB313_9 Depth=1
	s_or_b32 exec_lo, exec_lo, s30
.LBB313_17:                             ;   in Loop: Header=BB313_9 Depth=1
	s_or_b32 exec_lo, exec_lo, s3
	v_cmp_ne_u16_sdwa s2, v31, v2 src0_sel:BYTE_1 src1_sel:DWORD
	v_mov_b32_e32 v30, 0
	s_and_saveexec_b32 s3, s2
	s_cbranch_execz .LBB313_25
; %bb.18:                               ;   in Loop: Header=BB313_9 Depth=1
	v_cmp_ne_u16_sdwa s2, v31, v26 src0_sel:BYTE_1 src1_sel:DWORD
	v_bfrev_b32_e32 v30, 1
	s_and_saveexec_b32 s30, s2
	s_cbranch_execz .LBB313_24
; %bb.19:                               ;   in Loop: Header=BB313_9 Depth=1
	v_and_b32_sdwa v1, v27, v31 dst_sel:DWORD dst_unused:UNUSED_PAD src0_sel:DWORD src1_sel:BYTE_1
	v_mov_b32_e32 v30, 0x7f800001
	s_mov_b32 s31, exec_lo
	v_and_b32_e32 v32, 0x7f, v1
	v_cmpx_ne_u32_e32 0x7f, v32
	s_cbranch_execz .LBB313_23
; %bb.20:                               ;   in Loop: Header=BB313_9 Depth=1
	v_and_b32_e32 v1, 7, v1
	v_lshrrev_b32_e32 v30, 3, v32
	s_mov_b32 s33, exec_lo
	v_cmpx_gt_u32_e32 8, v32
; %bb.21:                               ;   in Loop: Header=BB313_9 Depth=1
	v_ffbh_u32_e32 v30, v1
	v_min_u32_e32 v30, 32, v30
	v_subrev_nc_u32_e32 v32, 28, v30
	v_sub_nc_u32_e32 v30, 29, v30
	v_lshlrev_b64 v[32:33], v32, v[1:2]
	v_and_b32_e32 v1, 7, v32
; %bb.22:                               ;   in Loop: Header=BB313_9 Depth=1
	s_or_b32 exec_lo, exec_lo, s33
	v_lshlrev_b32_e32 v31, 16, v31
	v_lshlrev_b32_e32 v1, 20, v1
	v_lshl_add_u32 v30, v30, 23, 0x3c000000
	v_and_b32_e32 v31, 0x80000000, v31
	v_or3_b32 v30, v1, v31, v30
.LBB313_23:                             ;   in Loop: Header=BB313_9 Depth=1
	s_or_b32 exec_lo, exec_lo, s31
.LBB313_24:                             ;   in Loop: Header=BB313_9 Depth=1
	s_or_b32 exec_lo, exec_lo, s30
.LBB313_25:                             ;   in Loop: Header=BB313_9 Depth=1
	s_or_b32 exec_lo, exec_lo, s3
	global_load_ushort v1, v[7:8], off offset:8
	v_mov_b32_e32 v32, 0
	v_mov_b32_e32 v31, 0
	s_waitcnt vmcnt(0)
	v_and_b32_e32 v33, 0xffff, v1
	v_cmp_ne_u16_sdwa s2, v1, v2 src0_sel:BYTE_0 src1_sel:DWORD
	s_and_saveexec_b32 s3, s2
	s_cbranch_execz .LBB313_33
; %bb.26:                               ;   in Loop: Header=BB313_9 Depth=1
	v_cmp_ne_u16_sdwa s2, v33, v26 src0_sel:BYTE_0 src1_sel:DWORD
	v_bfrev_b32_e32 v31, 1
	s_and_saveexec_b32 s30, s2
	s_cbranch_execz .LBB313_32
; %bb.27:                               ;   in Loop: Header=BB313_9 Depth=1
	v_and_b32_e32 v34, 0x7f, v33
	v_mov_b32_e32 v31, 0x7f800001
	s_mov_b32 s31, exec_lo
	v_cmpx_ne_u32_e32 0x7f, v34
	s_cbranch_execz .LBB313_31
; %bb.28:                               ;   in Loop: Header=BB313_9 Depth=1
	v_and_b32_e32 v1, 7, v33
	v_lshrrev_b32_e32 v31, 3, v34
	s_mov_b32 s33, exec_lo
	v_cmpx_gt_u32_e32 8, v34
; %bb.29:                               ;   in Loop: Header=BB313_9 Depth=1
	v_ffbh_u32_e32 v31, v1
	v_min_u32_e32 v31, 32, v31
	v_subrev_nc_u32_e32 v34, 28, v31
	v_sub_nc_u32_e32 v31, 29, v31
	v_lshlrev_b64 v[34:35], v34, v[1:2]
	v_and_b32_e32 v1, 7, v34
; %bb.30:                               ;   in Loop: Header=BB313_9 Depth=1
	s_or_b32 exec_lo, exec_lo, s33
	v_lshlrev_b32_e32 v34, 24, v33
	v_lshlrev_b32_e32 v1, 20, v1
	v_lshl_add_u32 v31, v31, 23, 0x3c000000
	v_and_b32_e32 v34, 0x80000000, v34
	v_or3_b32 v31, v1, v34, v31
.LBB313_31:                             ;   in Loop: Header=BB313_9 Depth=1
	s_or_b32 exec_lo, exec_lo, s31
.LBB313_32:                             ;   in Loop: Header=BB313_9 Depth=1
	s_or_b32 exec_lo, exec_lo, s30
.LBB313_33:                             ;   in Loop: Header=BB313_9 Depth=1
	s_or_b32 exec_lo, exec_lo, s3
	v_cmp_ne_u16_sdwa s2, v33, v2 src0_sel:BYTE_1 src1_sel:DWORD
	s_and_saveexec_b32 s3, s2
	s_cbranch_execz .LBB313_41
; %bb.34:                               ;   in Loop: Header=BB313_9 Depth=1
	v_cmp_ne_u16_sdwa s2, v33, v26 src0_sel:BYTE_1 src1_sel:DWORD
	v_bfrev_b32_e32 v32, 1
	s_and_saveexec_b32 s30, s2
	s_cbranch_execz .LBB313_40
; %bb.35:                               ;   in Loop: Header=BB313_9 Depth=1
	v_and_b32_sdwa v1, v27, v33 dst_sel:DWORD dst_unused:UNUSED_PAD src0_sel:DWORD src1_sel:BYTE_1
	v_mov_b32_e32 v32, 0x7f800001
	s_mov_b32 s31, exec_lo
	v_and_b32_e32 v34, 0x7f, v1
	v_cmpx_ne_u32_e32 0x7f, v34
	s_cbranch_execz .LBB313_39
; %bb.36:                               ;   in Loop: Header=BB313_9 Depth=1
	v_and_b32_e32 v1, 7, v1
	v_lshrrev_b32_e32 v32, 3, v34
	s_mov_b32 s33, exec_lo
	v_cmpx_gt_u32_e32 8, v34
; %bb.37:                               ;   in Loop: Header=BB313_9 Depth=1
	v_ffbh_u32_e32 v32, v1
	v_min_u32_e32 v32, 32, v32
	v_subrev_nc_u32_e32 v34, 28, v32
	v_sub_nc_u32_e32 v32, 29, v32
	v_lshlrev_b64 v[34:35], v34, v[1:2]
	v_and_b32_e32 v1, 7, v34
; %bb.38:                               ;   in Loop: Header=BB313_9 Depth=1
	s_or_b32 exec_lo, exec_lo, s33
	v_lshlrev_b32_e32 v33, 16, v33
	v_lshlrev_b32_e32 v1, 20, v1
	v_lshl_add_u32 v32, v32, 23, 0x3c000000
	v_and_b32_e32 v33, 0x80000000, v33
	v_or3_b32 v32, v1, v33, v32
.LBB313_39:                             ;   in Loop: Header=BB313_9 Depth=1
	s_or_b32 exec_lo, exec_lo, s31
.LBB313_40:                             ;   in Loop: Header=BB313_9 Depth=1
	s_or_b32 exec_lo, exec_lo, s30
.LBB313_41:                             ;   in Loop: Header=BB313_9 Depth=1
	s_or_b32 exec_lo, exec_lo, s3
	global_load_ushort v1, v[7:8], off offset:128
	v_mov_b32_e32 v34, 0
	v_mov_b32_e32 v33, 0
	s_waitcnt vmcnt(0)
	v_and_b32_e32 v35, 0xffff, v1
	v_cmp_ne_u16_sdwa s2, v1, v2 src0_sel:BYTE_0 src1_sel:DWORD
	s_and_saveexec_b32 s3, s2
	s_cbranch_execz .LBB313_49
; %bb.42:                               ;   in Loop: Header=BB313_9 Depth=1
	v_cmp_ne_u16_sdwa s2, v35, v26 src0_sel:BYTE_0 src1_sel:DWORD
	v_bfrev_b32_e32 v33, 1
	s_and_saveexec_b32 s30, s2
	s_cbranch_execz .LBB313_48
; %bb.43:                               ;   in Loop: Header=BB313_9 Depth=1
	v_and_b32_e32 v36, 0x7f, v35
	v_mov_b32_e32 v33, 0x7f800001
	s_mov_b32 s31, exec_lo
	v_cmpx_ne_u32_e32 0x7f, v36
	s_cbranch_execz .LBB313_47
; %bb.44:                               ;   in Loop: Header=BB313_9 Depth=1
	v_and_b32_e32 v1, 7, v35
	v_lshrrev_b32_e32 v33, 3, v36
	s_mov_b32 s33, exec_lo
	v_cmpx_gt_u32_e32 8, v36
; %bb.45:                               ;   in Loop: Header=BB313_9 Depth=1
	v_ffbh_u32_e32 v33, v1
	v_min_u32_e32 v33, 32, v33
	v_subrev_nc_u32_e32 v36, 28, v33
	v_sub_nc_u32_e32 v33, 29, v33
	v_lshlrev_b64 v[36:37], v36, v[1:2]
	v_and_b32_e32 v1, 7, v36
; %bb.46:                               ;   in Loop: Header=BB313_9 Depth=1
	s_or_b32 exec_lo, exec_lo, s33
	v_lshlrev_b32_e32 v36, 24, v35
	v_lshlrev_b32_e32 v1, 20, v1
	v_lshl_add_u32 v33, v33, 23, 0x3c000000
	v_and_b32_e32 v36, 0x80000000, v36
	v_or3_b32 v33, v1, v36, v33
.LBB313_47:                             ;   in Loop: Header=BB313_9 Depth=1
	s_or_b32 exec_lo, exec_lo, s31
.LBB313_48:                             ;   in Loop: Header=BB313_9 Depth=1
	s_or_b32 exec_lo, exec_lo, s30
.LBB313_49:                             ;   in Loop: Header=BB313_9 Depth=1
	s_or_b32 exec_lo, exec_lo, s3
	v_cmp_ne_u16_sdwa s2, v35, v2 src0_sel:BYTE_1 src1_sel:DWORD
	s_and_saveexec_b32 s3, s2
	s_cbranch_execz .LBB313_57
; %bb.50:                               ;   in Loop: Header=BB313_9 Depth=1
	v_cmp_ne_u16_sdwa s2, v35, v26 src0_sel:BYTE_1 src1_sel:DWORD
	v_bfrev_b32_e32 v34, 1
	s_and_saveexec_b32 s30, s2
	s_cbranch_execz .LBB313_56
; %bb.51:                               ;   in Loop: Header=BB313_9 Depth=1
	v_and_b32_sdwa v1, v27, v35 dst_sel:DWORD dst_unused:UNUSED_PAD src0_sel:DWORD src1_sel:BYTE_1
	v_mov_b32_e32 v34, 0x7f800001
	s_mov_b32 s31, exec_lo
	v_and_b32_e32 v36, 0x7f, v1
	v_cmpx_ne_u32_e32 0x7f, v36
	s_cbranch_execz .LBB313_55
; %bb.52:                               ;   in Loop: Header=BB313_9 Depth=1
	v_and_b32_e32 v1, 7, v1
	v_lshrrev_b32_e32 v34, 3, v36
	s_mov_b32 s33, exec_lo
	v_cmpx_gt_u32_e32 8, v36
; %bb.53:                               ;   in Loop: Header=BB313_9 Depth=1
	v_ffbh_u32_e32 v34, v1
	v_min_u32_e32 v34, 32, v34
	v_subrev_nc_u32_e32 v36, 28, v34
	v_sub_nc_u32_e32 v34, 29, v34
	v_lshlrev_b64 v[36:37], v36, v[1:2]
	v_and_b32_e32 v1, 7, v36
; %bb.54:                               ;   in Loop: Header=BB313_9 Depth=1
	s_or_b32 exec_lo, exec_lo, s33
	v_lshlrev_b32_e32 v35, 16, v35
	v_lshlrev_b32_e32 v1, 20, v1
	v_lshl_add_u32 v34, v34, 23, 0x3c000000
	v_and_b32_e32 v35, 0x80000000, v35
	v_or3_b32 v34, v1, v35, v34
.LBB313_55:                             ;   in Loop: Header=BB313_9 Depth=1
	s_or_b32 exec_lo, exec_lo, s31
.LBB313_56:                             ;   in Loop: Header=BB313_9 Depth=1
	s_or_b32 exec_lo, exec_lo, s30
.LBB313_57:                             ;   in Loop: Header=BB313_9 Depth=1
	s_or_b32 exec_lo, exec_lo, s3
	global_load_ushort v1, v[7:8], off offset:136
	v_mov_b32_e32 v7, 0
	v_mov_b32_e32 v35, 0
	s_waitcnt vmcnt(0)
	v_and_b32_e32 v8, 0xffff, v1
	v_cmp_ne_u16_sdwa s2, v1, v2 src0_sel:BYTE_0 src1_sel:DWORD
	s_and_saveexec_b32 s3, s2
	s_cbranch_execz .LBB313_65
; %bb.58:                               ;   in Loop: Header=BB313_9 Depth=1
	v_cmp_ne_u16_sdwa s2, v8, v26 src0_sel:BYTE_0 src1_sel:DWORD
	v_bfrev_b32_e32 v35, 1
	s_and_saveexec_b32 s30, s2
	s_cbranch_execz .LBB313_64
; %bb.59:                               ;   in Loop: Header=BB313_9 Depth=1
	v_and_b32_e32 v36, 0x7f, v8
	v_mov_b32_e32 v35, 0x7f800001
	s_mov_b32 s31, exec_lo
	v_cmpx_ne_u32_e32 0x7f, v36
	s_cbranch_execz .LBB313_63
; %bb.60:                               ;   in Loop: Header=BB313_9 Depth=1
	v_and_b32_e32 v1, 7, v8
	v_lshrrev_b32_e32 v35, 3, v36
	s_mov_b32 s33, exec_lo
	v_cmpx_gt_u32_e32 8, v36
; %bb.61:                               ;   in Loop: Header=BB313_9 Depth=1
	v_ffbh_u32_e32 v35, v1
	v_min_u32_e32 v35, 32, v35
	v_subrev_nc_u32_e32 v36, 28, v35
	v_sub_nc_u32_e32 v35, 29, v35
	v_lshlrev_b64 v[36:37], v36, v[1:2]
	v_and_b32_e32 v1, 7, v36
; %bb.62:                               ;   in Loop: Header=BB313_9 Depth=1
	s_or_b32 exec_lo, exec_lo, s33
	v_lshlrev_b32_e32 v36, 24, v8
	v_lshlrev_b32_e32 v1, 20, v1
	v_lshl_add_u32 v35, v35, 23, 0x3c000000
	v_and_b32_e32 v36, 0x80000000, v36
	v_or3_b32 v35, v1, v36, v35
.LBB313_63:                             ;   in Loop: Header=BB313_9 Depth=1
	s_or_b32 exec_lo, exec_lo, s31
.LBB313_64:                             ;   in Loop: Header=BB313_9 Depth=1
	s_or_b32 exec_lo, exec_lo, s30
.LBB313_65:                             ;   in Loop: Header=BB313_9 Depth=1
	s_or_b32 exec_lo, exec_lo, s3
	v_cmp_ne_u16_sdwa s2, v8, v2 src0_sel:BYTE_1 src1_sel:DWORD
	s_and_saveexec_b32 s3, s2
	s_cbranch_execz .LBB313_73
; %bb.66:                               ;   in Loop: Header=BB313_9 Depth=1
	v_cmp_ne_u16_sdwa s2, v8, v26 src0_sel:BYTE_1 src1_sel:DWORD
	v_bfrev_b32_e32 v7, 1
	s_and_saveexec_b32 s30, s2
	s_cbranch_execz .LBB313_72
; %bb.67:                               ;   in Loop: Header=BB313_9 Depth=1
	v_and_b32_sdwa v1, v27, v8 dst_sel:DWORD dst_unused:UNUSED_PAD src0_sel:DWORD src1_sel:BYTE_1
	v_mov_b32_e32 v7, 0x7f800001
	s_mov_b32 s31, exec_lo
	v_and_b32_e32 v36, 0x7f, v1
	v_cmpx_ne_u32_e32 0x7f, v36
	s_cbranch_execz .LBB313_71
; %bb.68:                               ;   in Loop: Header=BB313_9 Depth=1
	v_and_b32_e32 v1, 7, v1
	v_lshrrev_b32_e32 v7, 3, v36
	s_mov_b32 s33, exec_lo
	v_cmpx_gt_u32_e32 8, v36
; %bb.69:                               ;   in Loop: Header=BB313_9 Depth=1
	v_ffbh_u32_e32 v7, v1
	v_min_u32_e32 v7, 32, v7
	v_subrev_nc_u32_e32 v36, 28, v7
	v_sub_nc_u32_e32 v7, 29, v7
	v_lshlrev_b64 v[36:37], v36, v[1:2]
	v_and_b32_e32 v1, 7, v36
; %bb.70:                               ;   in Loop: Header=BB313_9 Depth=1
	s_or_b32 exec_lo, exec_lo, s33
	v_lshlrev_b32_e32 v8, 16, v8
	v_lshlrev_b32_e32 v1, 20, v1
	v_lshl_add_u32 v7, v7, 23, 0x3c000000
	v_and_b32_e32 v8, 0x80000000, v8
	v_or3_b32 v7, v1, v8, v7
.LBB313_71:                             ;   in Loop: Header=BB313_9 Depth=1
	s_or_b32 exec_lo, exec_lo, s31
.LBB313_72:                             ;   in Loop: Header=BB313_9 Depth=1
	s_or_b32 exec_lo, exec_lo, s30
.LBB313_73:                             ;   in Loop: Header=BB313_9 Depth=1
	s_or_b32 exec_lo, exec_lo, s3
	s_waitcnt lgkmcnt(0)
	v_mul_f32_e32 v1, s4, v35
	v_mul_f32_e32 v8, s4, v34
	;; [unrolled: 1-line block ×5, first 2 shown]
	v_bfe_u32 v34, v1, 16, 1
	v_bfe_u32 v35, v8, 16, 1
	v_or_b32_e32 v36, 0x400000, v1
	v_cmp_u_f32_e64 s2, v1, v1
	v_or_b32_e32 v37, 0x400000, v8
	v_add3_u32 v34, v34, v1, 0x7fff
	v_bfe_u32 v38, v33, 16, 1
	v_add3_u32 v35, v35, v8, 0x7fff
	v_bfe_u32 v39, v32, 16, 1
	v_mul_f32_e32 v29, s4, v29
	v_cndmask_b32_e64 v1, v34, v36, s2
	v_cmp_u_f32_e64 s2, v8, v8
	v_add3_u32 v34, v38, v33, 0x7fff
	v_add3_u32 v36, v39, v32, 0x7fff
	v_bfe_u32 v38, v31, 16, 1
	v_mul_f32_e32 v30, s4, v30
	v_cndmask_b32_e64 v8, v35, v37, s2
	v_or_b32_e32 v37, 0x400000, v32
	v_cmp_u_f32_e64 s2, v32, v32
	v_bfe_u32 v39, v29, 16, 1
	v_or_b32_e32 v40, 0x400000, v29
	v_mul_f32_e32 v7, s4, v7
	v_or_b32_e32 v35, 0x400000, v33
	v_cndmask_b32_e64 v32, v36, v37, s2
	v_add3_u32 v36, v38, v31, 0x7fff
	v_or_b32_e32 v37, 0x400000, v31
	v_cmp_u_f32_e64 s2, v31, v31
	v_bfe_u32 v38, v30, 16, 1
	v_add3_u32 v39, v39, v29, 0x7fff
	v_and_b32_e32 v32, 0xffff0000, v32
	v_and_b32_e32 v8, 0xffff0000, v8
	v_cndmask_b32_e64 v31, v36, v37, s2
	v_cmp_u_f32_e64 s2, v29, v29
	v_add3_u32 v36, v38, v30, 0x7fff
	v_or_b32_e32 v37, 0x400000, v30
	v_mul_f32_e32 v32, v16, v32
	v_and_b32_e32 v31, 0xffff0000, v31
	v_cndmask_b32_e64 v29, v39, v40, s2
	v_cmp_u_f32_e64 s2, v30, v30
	v_and_b32_e32 v1, 0xffff0000, v1
	v_mul_f32_e32 v31, v15, v31
	v_and_b32_e32 v29, 0xffff0000, v29
	v_cndmask_b32_e64 v30, v36, v37, s2
	v_bfe_u32 v36, v7, 16, 1
	v_cmp_u_f32_e64 s2, v33, v33
	v_fmac_f32_e32 v31, v13, v29
	v_and_b32_e32 v30, 0xffff0000, v30
	v_cndmask_b32_e64 v33, v34, v35, s2
	v_add3_u32 v34, v36, v7, 0x7fff
	v_or_b32_e32 v35, 0x400000, v7
	v_cmp_u_f32_e64 s2, v7, v7
	v_fmac_f32_e32 v32, v14, v30
	v_and_b32_e32 v29, 0xffff0000, v33
	v_cndmask_b32_e64 v7, v34, v35, s2
	v_fmac_f32_e32 v32, v19, v8
	v_fmac_f32_e32 v31, v17, v29
	v_and_b32_e32 v7, 0xffff0000, v7
	v_fmac_f32_e32 v31, v20, v1
	v_fmac_f32_e32 v32, v21, v7
	v_add_f32_e32 v1, v31, v32
	ds_bpermute_b32 v7, v22, v1
	s_waitcnt lgkmcnt(0)
	v_add_f32_e32 v1, v1, v7
	ds_bpermute_b32 v7, v23, v1
	s_and_saveexec_b32 s3, vcc_lo
	s_cbranch_execz .LBB313_8
; %bb.74:                               ;   in Loop: Header=BB313_9 Depth=1
	v_add_nc_u32_e32 v8, s5, v24
	s_waitcnt lgkmcnt(0)
	v_add_f32_e32 v1, v1, v7
	v_cmp_gt_i32_e64 s2, s11, v24
	v_cvt_f32_i32_e32 v8, v8
	v_mul_f32_e32 v8, s28, v8
	v_cndmask_b32_e64 v7, 0, v8, s1
	v_max_f32_e32 v8, v12, v12
	v_fmac_f32_e32 v7, s29, v1
	v_max_f32_e32 v1, v8, v7
	v_cndmask_b32_e64 v7, 0, v7, s2
	v_cndmask_b32_e64 v12, v12, v1, s2
	ds_write_b32 v25, v7
	s_branch .LBB313_8
.LBB313_75:
	s_or_b32 exec_lo, exec_lo, s16
.LBB313_76:
	s_or_b32 exec_lo, exec_lo, s15
	v_xor_b32_e32 v1, 16, v10
	v_xor_b32_e32 v4, 8, v10
	v_max_f32_e32 v5, v12, v12
	v_xor_b32_e32 v6, 4, v10
	v_and_b32_e32 v19, 31, v0
	v_cmp_lt_i32_e32 vcc_lo, v1, v11
	v_cndmask_b32_e32 v1, v10, v1, vcc_lo
	v_cmp_lt_i32_e32 vcc_lo, v4, v11
	v_lshlrev_b32_e32 v3, 2, v1
	v_cndmask_b32_e32 v4, v10, v4, vcc_lo
	v_cmp_lt_i32_e32 vcc_lo, v6, v11
	ds_bpermute_b32 v1, v3, v12
	v_lshlrev_b32_e32 v4, 2, v4
	v_cndmask_b32_e32 v6, v10, v6, vcc_lo
	v_cmp_eq_u32_e32 vcc_lo, 0, v19
	s_waitcnt lgkmcnt(0)
	v_lshlrev_b32_e32 v7, 2, v6
	v_max_f32_e32 v1, v1, v1
	v_max_f32_e32 v1, v5, v1
	ds_bpermute_b32 v5, v4, v1
	s_waitcnt lgkmcnt(0)
	v_max_f32_e32 v5, v5, v5
	v_max_f32_e32 v1, v1, v5
	v_lshlrev_b32_e32 v5, 2, v18
	ds_bpermute_b32 v6, v7, v1
	s_and_saveexec_b32 s1, vcc_lo
	s_cbranch_execz .LBB313_78
; %bb.77:
	s_waitcnt lgkmcnt(0)
	v_max_f32_e32 v6, v6, v6
	v_max_f32_e32 v1, v1, v1
	;; [unrolled: 1-line block ×3, first 2 shown]
	ds_write_b32 v5, v1 offset:64
.LBB313_78:
	s_or_b32 exec_lo, exec_lo, s1
	v_cmp_gt_u32_e64 s1, 4, v19
	v_mov_b32_e32 v1, 0xff7fffff
	s_waitcnt lgkmcnt(0)
	v_lshlrev_b32_e32 v6, 2, v19
	s_barrier
	buffer_gl0_inv
	s_and_saveexec_b32 s2, s1
; %bb.79:
	ds_read_b32 v1, v6 offset:64
; %bb.80:
	s_or_b32 exec_lo, exec_lo, s2
	v_xor_b32_e32 v8, 2, v10
	v_xor_b32_e32 v13, 1, v10
	v_lshlrev_b32_e32 v2, 2, v2
	v_cmp_lt_i32_e64 s2, v8, v11
	v_cndmask_b32_e64 v8, v10, v8, s2
	v_cmp_lt_i32_e64 s2, v13, v11
	v_lshlrev_b32_e32 v8, 2, v8
	v_cndmask_b32_e64 v11, v10, v13, s2
	s_lshl_b32 s2, s12, 3
	s_min_i32 s4, s2, s11
	s_waitcnt lgkmcnt(0)
	ds_bpermute_b32 v12, v8, v1
	v_max_f32_e32 v1, v1, v1
	v_lshlrev_b32_e32 v11, 2, v11
	v_cmp_gt_i32_e64 s2, s4, v0
	s_waitcnt lgkmcnt(0)
	v_max_f32_e32 v12, v12, v12
	v_max_f32_e32 v1, v1, v12
	ds_bpermute_b32 v12, v11, v1
	s_waitcnt lgkmcnt(0)
	v_max_f32_e32 v12, v12, v12
	v_max_f32_e32 v1, v1, v12
	ds_bpermute_b32 v12, v2, v1
	v_mov_b32_e32 v2, 0
	v_lshl_add_u32 v1, v0, 2, 0x60
	s_and_saveexec_b32 s5, s2
	s_cbranch_execz .LBB313_84
; %bb.81:
	v_lshl_add_u32 v13, v0, 2, 0x60
	v_mov_b32_e32 v2, 0
	v_mov_b32_e32 v14, v0
	s_mov_b32 s15, 0
	.p2align	6
.LBB313_82:                             ; =>This Inner Loop Header: Depth=1
	ds_read_b32 v15, v13
	v_add_nc_u32_e32 v14, 0x80, v14
	v_cmp_le_i32_e64 s3, s4, v14
	s_or_b32 s15, s3, s15
	s_waitcnt lgkmcnt(0)
	v_sub_f32_e32 v15, v15, v12
	v_mul_f32_e32 v15, 0x3fb8aa3b, v15
	v_exp_f32_e32 v15, v15
	ds_write_b32 v13, v15
	v_add_f32_e32 v2, v2, v15
	v_add_nc_u32_e32 v13, 0x200, v13
	s_andn2_b32 exec_lo, exec_lo, s15
	s_cbranch_execnz .LBB313_82
; %bb.83:
	s_or_b32 exec_lo, exec_lo, s15
.LBB313_84:
	s_or_b32 exec_lo, exec_lo, s5
	ds_bpermute_b32 v3, v3, v2
	s_waitcnt lgkmcnt(0)
	v_add_f32_e32 v2, v2, v3
	ds_bpermute_b32 v3, v4, v2
	s_waitcnt lgkmcnt(0)
	v_add_f32_e32 v2, v2, v3
	;; [unrolled: 3-line block ×5, first 2 shown]
	s_and_saveexec_b32 s3, vcc_lo
; %bb.85:
	ds_write_b32 v5, v2 offset:80
; %bb.86:
	s_or_b32 exec_lo, exec_lo, s3
	s_waitcnt lgkmcnt(0)
	s_barrier
	buffer_gl0_inv
	s_and_saveexec_b32 s3, s1
; %bb.87:
	ds_read_b32 v2, v6 offset:80
; %bb.88:
	s_or_b32 exec_lo, exec_lo, s3
	s_waitcnt lgkmcnt(0)
	ds_bpermute_b32 v3, v8, v2
	v_lshlrev_b32_e32 v4, 2, v10
	s_waitcnt lgkmcnt(0)
	v_add_f32_e32 v2, v2, v3
	ds_bpermute_b32 v3, v11, v2
	s_waitcnt lgkmcnt(0)
	v_add_f32_e32 v2, v2, v3
	v_and_b32_e32 v3, 0xffffff80, v4
	ds_bpermute_b32 v2, v3, v2
	s_and_saveexec_b32 s1, s2
	s_cbranch_execz .LBB313_91
; %bb.89:
	s_waitcnt lgkmcnt(0)
	v_add_f32_e32 v2, 0x358637bd, v2
	s_mov_b32 s2, 0
	v_div_scale_f32 v3, null, v2, v2, 1.0
	v_div_scale_f32 v6, vcc_lo, 1.0, v2, 1.0
	v_rcp_f32_e32 v4, v3
	v_fma_f32 v5, -v3, v4, 1.0
	v_fmac_f32_e32 v4, v5, v4
	v_mul_f32_e32 v5, v6, v4
	v_fma_f32 v7, -v3, v5, v6
	v_fmac_f32_e32 v5, v7, v4
	v_fma_f32 v3, -v3, v5, v6
	v_div_fmas_f32 v3, v3, v4, v5
	v_div_fixup_f32 v2, v3, v2, 1.0
	v_mov_b32_e32 v3, v0
.LBB313_90:                             ; =>This Inner Loop Header: Depth=1
	ds_read_b32 v4, v1
	v_add_nc_u32_e32 v3, 0x80, v3
	v_cmp_le_i32_e32 vcc_lo, s4, v3
	s_or_b32 s2, vcc_lo, s2
	s_waitcnt lgkmcnt(0)
	v_mul_f32_e32 v4, v2, v4
	ds_write_b32 v1, v4
	v_add_nc_u32_e32 v1, 0x200, v1
	s_andn2_b32 exec_lo, exec_lo, s2
	s_cbranch_execnz .LBB313_90
.LBB313_91:
	s_or_b32 exec_lo, exec_lo, s1
	v_mov_b32_e32 v20, 0
	s_waitcnt lgkmcnt(0)
	s_barrier
	buffer_gl0_inv
	s_and_saveexec_b32 s4, s0
	s_cbranch_execz .LBB313_161
; %bb.92:
	s_mov_b32 s5, s13
	s_load_dword s13, s[18:19], 0x0
	v_lshlrev_b32_e32 v1, 3, v19
	s_ashr_i32 s0, s14, 31
	s_add_u32 s1, s26, s14
	s_addc_u32 s0, s27, s0
	s_add_i32 s14, s12, -1
	v_add_co_u32 v11, s1, s1, v1
	v_and_b32_e32 v1, 0x7c, v9
	v_add_co_ci_u32_e64 v12, null, s0, 0, s1
	s_lshl_b64 s[0:1], s[24:25], 2
	v_mov_b32_e32 v10, 0
	s_add_u32 s0, s22, s0
	s_addc_u32 s1, s23, s1
	v_add_co_u32 v13, s0, s0, v1
	v_lshl_or_b32 v21, v18, 3, 7
	v_lshl_add_u32 v22, v18, 5, 0x60
	v_add_co_ci_u32_e64 v14, null, s1, 0, s0
	v_mov_b32_e32 v23, 0x7f
	v_mov_b32_e32 v24, 0x80
	;; [unrolled: 1-line block ×4, first 2 shown]
	v_bfrev_b32_e32 v27, 1
	v_mov_b32_e32 v28, v18
	v_mov_b32_e32 v20, 0
	s_mov_b32 s2, 0
	s_mov_b32 s3, 0x1000000
	;; [unrolled: 1-line block ×3, first 2 shown]
	s_branch .LBB313_94
.LBB313_93:                             ;   in Loop: Header=BB313_94 Depth=1
	s_or_b32 exec_lo, exec_lo, s0
	v_bfe_u32 v33, v5, 16, 1
	v_or_b32_e32 v34, 0x400000, v5
	v_bfe_u32 v35, v6, 16, 1
	v_cmp_u_f32_e32 vcc_lo, v5, v5
	v_bfe_u32 v36, v7, 16, 1
	v_add3_u32 v33, v33, v5, 0x7fff
	v_or_b32_e32 v37, 0x400000, v6
	v_add3_u32 v35, v35, v6, 0x7fff
	v_or_b32_e32 v38, 0x400000, v7
	v_add3_u32 v36, v36, v7, 0x7fff
	v_cndmask_b32_e32 v5, v33, v34, vcc_lo
	v_cmp_u_f32_e32 vcc_lo, v6, v6
	v_bfe_u32 v33, v8, 16, 1
	v_bfe_u32 v34, v1, 16, 1
	v_lshlrev_b32_e32 v32, 16, v32
	v_and_b32_e32 v5, 0xffff0000, v5
	v_cndmask_b32_e32 v6, v35, v37, vcc_lo
	v_cmp_u_f32_e32 vcc_lo, v7, v7
	v_add3_u32 v33, v33, v8, 0x7fff
	v_or_b32_e32 v35, 0x400000, v8
	v_add3_u32 v34, v34, v1, 0x7fff
	v_bfe_u32 v37, v2, 16, 1
	v_cndmask_b32_e32 v7, v36, v38, vcc_lo
	v_cmp_u_f32_e32 vcc_lo, v8, v8
	v_or_b32_e32 v36, 0x400000, v1
	v_mul_f32_e32 v5, v5, v32
	v_and_b32_e32 v6, 0xffff0000, v6
	v_lshlrev_b32_e32 v31, 16, v31
	v_cndmask_b32_e32 v8, v33, v35, vcc_lo
	v_cmp_u_f32_e32 vcc_lo, v1, v1
	v_add3_u32 v33, v37, v2, 0x7fff
	v_bfe_u32 v35, v3, 16, 1
	v_mul_f32_e32 v6, v6, v31
	v_and_b32_e32 v7, 0xffff0000, v7
	v_cndmask_b32_e32 v1, v34, v36, vcc_lo
	v_or_b32_e32 v34, 0x400000, v2
	v_cmp_u_f32_e32 vcc_lo, v2, v2
	v_lshlrev_b32_e32 v30, 16, v30
	v_and_b32_e32 v8, 0xffff0000, v8
	v_lshlrev_b32_e32 v16, 16, v16
	v_and_b32_e32 v1, 0xffff0000, v1
	v_cndmask_b32_e32 v2, v33, v34, vcc_lo
	v_add3_u32 v33, v35, v3, 0x7fff
	v_or_b32_e32 v34, 0x400000, v3
	v_bfe_u32 v35, v4, 16, 1
	v_cmp_u_f32_e32 vcc_lo, v3, v3
	v_mul_f32_e32 v7, v7, v30
	v_mul_f32_e32 v8, v8, v16
	v_lshlrev_b32_e32 v15, 16, v15
	v_add3_u32 v32, v35, v4, 0x7fff
	v_cndmask_b32_e32 v3, v33, v34, vcc_lo
	v_or_b32_e32 v33, 0x400000, v4
	v_bfe_u32 v34, v5, 16, 1
	v_cmp_u_f32_e32 vcc_lo, v4, v4
	v_mul_f32_e32 v1, v1, v15
	v_and_b32_e32 v2, 0xffff0000, v2
	v_lshlrev_b32_e32 v9, 16, v9
	v_add3_u32 v31, v34, v5, 0x7fff
	v_cndmask_b32_e32 v4, v32, v33, vcc_lo
	v_or_b32_e32 v32, 0x400000, v5
	v_bfe_u32 v33, v6, 16, 1
	v_cmp_u_f32_e32 vcc_lo, v5, v5
	v_mul_f32_e32 v2, v2, v9
	v_and_b32_e32 v3, 0xffff0000, v3
	v_lshlrev_b32_e32 v9, 16, v29
	v_add3_u32 v30, v33, v6, 0x7fff
	v_cndmask_b32_e32 v5, v31, v32, vcc_lo
	v_or_b32_e32 v31, 0x400000, v6
	v_bfe_u32 v32, v7, 16, 1
	v_cmp_u_f32_e32 vcc_lo, v6, v6
	v_and_b32_e32 v4, 0xffff0000, v4
	v_lshlrev_b32_e32 v17, 16, v17
	v_mul_f32_e32 v3, v3, v9
	v_add3_u32 v16, v32, v7, 0x7fff
	v_cndmask_b32_e32 v6, v30, v31, vcc_lo
	v_or_b32_e32 v30, 0x400000, v7
	v_bfe_u32 v31, v8, 16, 1
	v_cmp_u_f32_e32 vcc_lo, v7, v7
	v_mul_f32_e32 v4, v4, v17
	v_or_b32_e32 v9, 0x400000, v1
	v_or_b32_e32 v17, 0x400000, v2
	v_add3_u32 v15, v31, v8, 0x7fff
	v_cndmask_b32_e32 v7, v16, v30, vcc_lo
	v_or_b32_e32 v16, 0x400000, v8
	v_bfe_u32 v30, v1, 16, 1
	v_cmp_u_f32_e32 vcc_lo, v8, v8
	v_bfe_u32 v29, v3, 16, 1
	v_and_b32_e32 v6, 0xffff0000, v6
	v_and_b32_e32 v5, 0xffff0000, v5
	;; [unrolled: 1-line block ×3, first 2 shown]
	v_cndmask_b32_e32 v8, v15, v16, vcc_lo
	v_bfe_u32 v15, v2, 16, 1
	v_add3_u32 v16, v30, v1, 0x7fff
	v_cmp_u_f32_e32 vcc_lo, v1, v1
	v_bfe_u32 v30, v4, 16, 1
	v_and_b32_e32 v8, 0xffff0000, v8
	v_add3_u32 v15, v15, v2, 0x7fff
	v_add_f32_e32 v5, v5, v6
	v_cndmask_b32_e32 v1, v16, v9, vcc_lo
	v_cmp_u_f32_e32 vcc_lo, v2, v2
	v_or_b32_e32 v16, 0x400000, v4
	v_add3_u32 v9, v29, v3, 0x7fff
	v_add_f32_e32 v6, v7, v8
	v_and_b32_e32 v1, 0xffff0000, v1
	v_cndmask_b32_e32 v2, v15, v17, vcc_lo
	v_add3_u32 v15, v30, v4, 0x7fff
	v_cmp_u_f32_e32 vcc_lo, v4, v4
	v_or_b32_e32 v17, 0x400000, v3
	v_add_f32_e32 v5, v6, v5
	v_and_b32_e32 v2, 0xffff0000, v2
	v_add_nc_u32_e32 v28, 4, v28
	v_cndmask_b32_e32 v4, v15, v16, vcc_lo
	v_cmp_u_f32_e32 vcc_lo, v3, v3
	v_add_co_u32 v13, s0, v13, 16
	v_add_f32_e32 v1, v1, v2
	v_and_b32_e32 v2, 0xffff0000, v4
	v_cndmask_b32_e32 v3, v9, v17, vcc_lo
	v_cmp_le_i32_e32 vcc_lo, s12, v28
	v_add_nc_u32_e32 v21, 32, v21
	v_add_f32_e32 v1, v1, v5
	v_add_nc_u32_e32 v22, 0x80, v22
	v_and_b32_e32 v3, 0xffff0000, v3
	v_add_co_ci_u32_e64 v14, null, 0, v14, s0
	s_or_b32 s15, vcc_lo, s15
	v_add_f32_e32 v2, v3, v2
	v_add_f32_e32 v1, v2, v1
	;; [unrolled: 1-line block ×3, first 2 shown]
	s_andn2_b32 exec_lo, exec_lo, s15
	s_cbranch_execz .LBB313_160
.LBB313_94:                             ; =>This Inner Loop Header: Depth=1
	global_load_dword v1, v[13:14], off
	s_mov_b32 s1, 0
	s_waitcnt vmcnt(0)
	v_mad_i64_i32 v[1:2], null, v1, s5, v[11:12]
	global_load_dwordx2 v[15:16], v[1:2], off
	ds_read2_b64 v[5:8], v22 offset1:1
	ds_read2_b64 v[1:4], v22 offset0:2 offset1:3
	s_waitcnt vmcnt(0)
	v_cmp_gt_i16_sdwa s0, v15, v23 src0_sel:BYTE_0 src1_sel:DWORD
	s_and_saveexec_b32 s16, s0
	s_xor_b32 s0, exec_lo, s16
	s_cbranch_execnz .LBB313_97
; %bb.95:                               ;   in Loop: Header=BB313_94 Depth=1
	s_or_saveexec_b32 s0, s0
	v_bfrev_b32_e32 v29, 1
	s_xor_b32 exec_lo, exec_lo, s0
	s_cbranch_execnz .LBB313_100
.LBB313_96:                             ;   in Loop: Header=BB313_94 Depth=1
	s_or_b32 exec_lo, exec_lo, s0
	s_and_saveexec_b32 s0, s1
	s_cbranch_execnz .LBB313_101
	s_branch .LBB313_104
.LBB313_97:                             ;   in Loop: Header=BB313_94 Depth=1
	v_cmp_eq_u16_sdwa s17, v15, v24 src0_sel:BYTE_0 src1_sel:DWORD
	s_mov_b32 s1, -1
	s_and_saveexec_b32 s16, s17
; %bb.98:                               ;   in Loop: Header=BB313_94 Depth=1
	s_xor_b32 s1, exec_lo, -1
; %bb.99:                               ;   in Loop: Header=BB313_94 Depth=1
	s_or_b32 exec_lo, exec_lo, s16
	s_and_b32 s1, s1, exec_lo
	s_or_saveexec_b32 s0, s0
	v_bfrev_b32_e32 v29, 1
	s_xor_b32 exec_lo, exec_lo, s0
	s_cbranch_execz .LBB313_96
.LBB313_100:                            ;   in Loop: Header=BB313_94 Depth=1
	v_cmp_ne_u16_sdwa s16, v15, v10 src0_sel:BYTE_0 src1_sel:DWORD
	v_mov_b32_e32 v29, 0
	s_andn2_b32 s1, s1, exec_lo
	s_and_b32 s16, s16, exec_lo
	s_or_b32 s1, s1, s16
	s_or_b32 exec_lo, exec_lo, s0
	s_and_saveexec_b32 s0, s1
	s_cbranch_execz .LBB313_104
.LBB313_101:                            ;   in Loop: Header=BB313_94 Depth=1
	v_and_b32_e32 v9, 0x7f, v15
	v_mov_b32_e32 v29, 0x7f800001
	s_mov_b32 s1, exec_lo
	v_cmpx_ne_u32_e32 0x7f, v9
	s_cbranch_execz .LBB313_103
; %bb.102:                              ;   in Loop: Header=BB313_94 Depth=1
	v_and_b32_e32 v17, 7, v15
	v_lshrrev_b32_e32 v29, 3, v9
	v_cmp_gt_u32_e32 vcc_lo, 8, v9
	v_ffbh_u32_e32 v17, v17
	v_min_u32_e32 v17, 32, v17
	v_subrev_nc_u32_e32 v30, 28, v17
	v_sub_nc_u32_e32 v17, 29, v17
	v_cndmask_b32_e32 v9, v29, v17, vcc_lo
	v_cndmask_b32_e32 v17, 0, v30, vcc_lo
	v_lshl_add_u32 v9, v9, 23, 0x3c000000
	v_lshlrev_b64 v[29:30], v17, v[15:16]
	v_lshlrev_b32_e32 v17, 24, v15
	v_and_b32_e32 v17, 0x80000000, v17
	v_lshlrev_b32_e32 v29, 20, v29
	v_and_b32_e32 v29, 0x700000, v29
	v_or3_b32 v29, v29, v17, v9
.LBB313_103:                            ;   in Loop: Header=BB313_94 Depth=1
	s_or_b32 exec_lo, exec_lo, s1
.LBB313_104:                            ;   in Loop: Header=BB313_94 Depth=1
	s_or_b32 exec_lo, exec_lo, s0
	v_cmp_gt_i16_sdwa s0, v15, v23 src0_sel:BYTE_1 src1_sel:DWORD
	s_mov_b32 s1, 0
	s_and_saveexec_b32 s16, s0
	s_xor_b32 s0, exec_lo, s16
	s_cbranch_execnz .LBB313_107
; %bb.105:                              ;   in Loop: Header=BB313_94 Depth=1
	s_or_saveexec_b32 s0, s0
	v_bfrev_b32_e32 v30, 1
	s_xor_b32 exec_lo, exec_lo, s0
	s_cbranch_execnz .LBB313_110
.LBB313_106:                            ;   in Loop: Header=BB313_94 Depth=1
	s_or_b32 exec_lo, exec_lo, s0
	s_and_saveexec_b32 s0, s1
	s_cbranch_execnz .LBB313_111
	s_branch .LBB313_114
.LBB313_107:                            ;   in Loop: Header=BB313_94 Depth=1
	v_cmp_eq_u16_sdwa s17, v15, v24 src0_sel:BYTE_1 src1_sel:DWORD
	s_mov_b32 s1, -1
	s_and_saveexec_b32 s16, s17
; %bb.108:                              ;   in Loop: Header=BB313_94 Depth=1
	s_xor_b32 s1, exec_lo, -1
; %bb.109:                              ;   in Loop: Header=BB313_94 Depth=1
	s_or_b32 exec_lo, exec_lo, s16
	s_and_b32 s1, s1, exec_lo
	s_or_saveexec_b32 s0, s0
	v_bfrev_b32_e32 v30, 1
	s_xor_b32 exec_lo, exec_lo, s0
	s_cbranch_execz .LBB313_106
.LBB313_110:                            ;   in Loop: Header=BB313_94 Depth=1
	v_cmp_ne_u16_sdwa s16, v15, v10 src0_sel:BYTE_1 src1_sel:DWORD
	v_mov_b32_e32 v30, 0
	s_andn2_b32 s1, s1, exec_lo
	s_and_b32 s16, s16, exec_lo
	s_or_b32 s1, s1, s16
	s_or_b32 exec_lo, exec_lo, s0
	s_and_saveexec_b32 s0, s1
	s_cbranch_execz .LBB313_114
.LBB313_111:                            ;   in Loop: Header=BB313_94 Depth=1
	v_and_b32_sdwa v9, v25, v15 dst_sel:DWORD dst_unused:UNUSED_PAD src0_sel:DWORD src1_sel:BYTE_1
	v_mov_b32_e32 v30, 0x7f800001
	s_mov_b32 s1, exec_lo
	v_and_b32_e32 v17, 0x7f, v9
	v_cmpx_ne_u32_e32 0x7f, v17
	s_cbranch_execz .LBB313_113
; %bb.112:                              ;   in Loop: Header=BB313_94 Depth=1
	v_and_b32_e32 v32, 7, v9
	v_cmp_gt_u32_e32 vcc_lo, 8, v17
	v_ffbh_u32_e32 v30, v32
	v_min_u32_e32 v33, 32, v30
	v_subrev_nc_u32_e32 v30, 28, v33
	v_lshlrev_b64 v[30:31], v30, v[9:10]
	v_lshrrev_b32_e32 v9, 3, v17
	v_sub_nc_u32_e32 v31, 29, v33
	v_and_b32_e32 v17, 7, v30
	v_lshlrev_b32_sdwa v30, v26, v15 dst_sel:DWORD dst_unused:UNUSED_PAD src0_sel:DWORD src1_sel:BYTE_1
	v_cndmask_b32_e32 v9, v9, v31, vcc_lo
	v_cndmask_b32_e32 v17, v32, v17, vcc_lo
	v_and_b32_e32 v30, 0x80000000, v30
	v_lshl_add_u32 v9, v9, 23, 0x3c000000
	v_lshlrev_b32_e32 v17, 20, v17
	v_or3_b32 v30, v17, v30, v9
.LBB313_113:                            ;   in Loop: Header=BB313_94 Depth=1
	s_or_b32 exec_lo, exec_lo, s1
.LBB313_114:                            ;   in Loop: Header=BB313_94 Depth=1
	s_or_b32 exec_lo, exec_lo, s0
	v_lshrrev_b32_e32 v9, 16, v15
	s_mov_b32 s1, 0
	v_cmp_gt_i16_sdwa s0, v9, v23 src0_sel:BYTE_0 src1_sel:DWORD
	s_and_saveexec_b32 s16, s0
	s_xor_b32 s0, exec_lo, s16
	s_cbranch_execnz .LBB313_117
; %bb.115:                              ;   in Loop: Header=BB313_94 Depth=1
	s_or_saveexec_b32 s0, s0
	v_bfrev_b32_e32 v31, 1
	s_xor_b32 exec_lo, exec_lo, s0
	s_cbranch_execnz .LBB313_120
.LBB313_116:                            ;   in Loop: Header=BB313_94 Depth=1
	s_or_b32 exec_lo, exec_lo, s0
	s_and_saveexec_b32 s0, s1
	s_cbranch_execnz .LBB313_121
	s_branch .LBB313_124
.LBB313_117:                            ;   in Loop: Header=BB313_94 Depth=1
	v_cmp_eq_u16_sdwa s17, v9, v24 src0_sel:BYTE_0 src1_sel:DWORD
	s_mov_b32 s1, -1
	s_and_saveexec_b32 s16, s17
; %bb.118:                              ;   in Loop: Header=BB313_94 Depth=1
	s_xor_b32 s1, exec_lo, -1
; %bb.119:                              ;   in Loop: Header=BB313_94 Depth=1
	s_or_b32 exec_lo, exec_lo, s16
	s_and_b32 s1, s1, exec_lo
	s_or_saveexec_b32 s0, s0
	v_bfrev_b32_e32 v31, 1
	s_xor_b32 exec_lo, exec_lo, s0
	s_cbranch_execz .LBB313_116
.LBB313_120:                            ;   in Loop: Header=BB313_94 Depth=1
	v_cmp_ne_u16_sdwa s16, v9, v10 src0_sel:BYTE_0 src1_sel:DWORD
	v_mov_b32_e32 v31, 0
	s_andn2_b32 s1, s1, exec_lo
	s_and_b32 s16, s16, exec_lo
	s_or_b32 s1, s1, s16
	s_or_b32 exec_lo, exec_lo, s0
	s_and_saveexec_b32 s0, s1
	s_cbranch_execz .LBB313_124
.LBB313_121:                            ;   in Loop: Header=BB313_94 Depth=1
	v_and_b32_e32 v17, 0x7f, v9
	v_mov_b32_e32 v31, 0x7f800001
	s_mov_b32 s1, exec_lo
	v_cmpx_ne_u32_e32 0x7f, v17
	s_cbranch_execz .LBB313_123
; %bb.122:                              ;   in Loop: Header=BB313_94 Depth=1
	v_and_b32_e32 v33, 7, v9
	v_cmp_gt_u32_e32 vcc_lo, 8, v17
	v_ffbh_u32_e32 v31, v33
	v_min_u32_e32 v34, 32, v31
	v_subrev_nc_u32_e32 v31, 28, v34
	v_sub_nc_u32_e32 v34, 29, v34
	v_lshlrev_b64 v[31:32], v31, v[9:10]
	v_lshrrev_b32_e32 v32, 3, v17
	v_lshlrev_b32_e32 v9, 24, v9
	v_and_b32_e32 v17, 7, v31
	v_cndmask_b32_e32 v31, v32, v34, vcc_lo
	v_and_b32_e32 v9, 0x80000000, v9
	v_cndmask_b32_e32 v17, v33, v17, vcc_lo
	v_lshl_add_u32 v31, v31, 23, 0x3c000000
	v_lshlrev_b32_e32 v17, 20, v17
	v_or3_b32 v31, v17, v9, v31
.LBB313_123:                            ;   in Loop: Header=BB313_94 Depth=1
	s_or_b32 exec_lo, exec_lo, s1
.LBB313_124:                            ;   in Loop: Header=BB313_94 Depth=1
	s_or_b32 exec_lo, exec_lo, s0
	v_lshrrev_b32_e32 v9, 24, v15
	v_bfe_u32 v17, v15, 24, 7
	v_cmp_gt_u32_e64 s1, 0x1000000, v15
	v_cmp_eq_u32_e32 vcc_lo, 0x80, v9
	v_cmp_eq_u32_e64 s0, 0x7f, v17
	v_cndmask_b32_e32 v32, 0x7f800001, v27, vcc_lo
	s_or_b32 s0, vcc_lo, s0
	v_cndmask_b32_e64 v32, v32, 0, s1
	s_nor_b32 s1, s1, s0
	s_and_saveexec_b32 s0, s1
	s_cbranch_execz .LBB313_126
; %bb.125:                              ;   in Loop: Header=BB313_94 Depth=1
	v_and_b32_e32 v34, 7, v9
	v_cmp_gt_u32_e32 vcc_lo, 8, v17
	v_ffbh_u32_e32 v32, v34
	v_min_u32_e32 v35, 32, v32
	v_subrev_nc_u32_e32 v32, 28, v35
	v_sub_nc_u32_e32 v35, 29, v35
	v_lshlrev_b64 v[32:33], v32, v[9:10]
	v_lshrrev_b32_e32 v33, 3, v17
	v_lshlrev_b32_e32 v9, 24, v9
	v_and_b32_e32 v17, 7, v32
	v_cndmask_b32_e32 v32, v33, v35, vcc_lo
	v_and_b32_e32 v9, 0x80000000, v9
	v_cndmask_b32_e32 v17, v34, v17, vcc_lo
	v_lshl_add_u32 v32, v32, 23, 0x3c000000
	v_lshlrev_b32_e32 v17, 20, v17
	v_or3_b32 v32, v17, v9, v32
.LBB313_126:                            ;   in Loop: Header=BB313_94 Depth=1
	s_or_b32 exec_lo, exec_lo, s0
	v_cmp_gt_i16_sdwa s0, v16, v23 src0_sel:BYTE_0 src1_sel:DWORD
	s_mov_b32 s1, 0
	s_and_saveexec_b32 s16, s0
	s_xor_b32 s0, exec_lo, s16
	s_cbranch_execnz .LBB313_129
; %bb.127:                              ;   in Loop: Header=BB313_94 Depth=1
	s_or_saveexec_b32 s0, s0
	v_bfrev_b32_e32 v33, 1
	s_xor_b32 exec_lo, exec_lo, s0
	s_cbranch_execnz .LBB313_132
.LBB313_128:                            ;   in Loop: Header=BB313_94 Depth=1
	s_or_b32 exec_lo, exec_lo, s0
	v_mov_b32_e32 v9, v16
	s_and_saveexec_b32 s0, s1
	s_cbranch_execnz .LBB313_133
	s_branch .LBB313_136
.LBB313_129:                            ;   in Loop: Header=BB313_94 Depth=1
	v_cmp_eq_u16_sdwa s17, v16, v24 src0_sel:BYTE_0 src1_sel:DWORD
	s_mov_b32 s1, -1
	s_and_saveexec_b32 s16, s17
; %bb.130:                              ;   in Loop: Header=BB313_94 Depth=1
	s_xor_b32 s1, exec_lo, -1
; %bb.131:                              ;   in Loop: Header=BB313_94 Depth=1
	s_or_b32 exec_lo, exec_lo, s16
	s_and_b32 s1, s1, exec_lo
	s_or_saveexec_b32 s0, s0
	v_bfrev_b32_e32 v33, 1
	s_xor_b32 exec_lo, exec_lo, s0
	s_cbranch_execz .LBB313_128
.LBB313_132:                            ;   in Loop: Header=BB313_94 Depth=1
	v_cmp_ne_u16_sdwa s16, v16, v10 src0_sel:BYTE_0 src1_sel:DWORD
	v_mov_b32_e32 v33, 0
	s_andn2_b32 s1, s1, exec_lo
	s_and_b32 s16, s16, exec_lo
	s_or_b32 s1, s1, s16
	s_or_b32 exec_lo, exec_lo, s0
	v_mov_b32_e32 v9, v16
	s_and_saveexec_b32 s0, s1
	s_cbranch_execz .LBB313_136
.LBB313_133:                            ;   in Loop: Header=BB313_94 Depth=1
	v_and_b32_e32 v17, 0x7f, v16
	v_mov_b32_e32 v33, 0x7f800001
	s_mov_b32 s1, exec_lo
	v_cmpx_ne_u32_e32 0x7f, v17
	s_cbranch_execz .LBB313_135
; %bb.134:                              ;   in Loop: Header=BB313_94 Depth=1
	v_and_b32_e32 v33, 7, v16
	v_lshrrev_b32_e32 v34, 3, v17
	v_cmp_gt_u32_e32 vcc_lo, 8, v17
	v_ffbh_u32_e32 v33, v33
	v_min_u32_e32 v33, 32, v33
	v_subrev_nc_u32_e32 v35, 28, v33
	v_sub_nc_u32_e32 v33, 29, v33
	v_cndmask_b32_e32 v17, v34, v33, vcc_lo
	v_cndmask_b32_e32 v33, 0, v35, vcc_lo
	v_lshl_add_u32 v17, v17, 23, 0x3c000000
	v_lshlrev_b64 v[33:34], v33, v[9:10]
	v_lshlrev_b32_e32 v34, 24, v9
	v_lshlrev_b32_e32 v33, 20, v33
	v_and_b32_e32 v34, 0x80000000, v34
	v_and_b32_e32 v33, 0x700000, v33
	v_or3_b32 v33, v33, v34, v17
.LBB313_135:                            ;   in Loop: Header=BB313_94 Depth=1
	s_or_b32 exec_lo, exec_lo, s1
.LBB313_136:                            ;   in Loop: Header=BB313_94 Depth=1
	s_or_b32 exec_lo, exec_lo, s0
	v_cmp_gt_i16_sdwa s0, v9, v23 src0_sel:BYTE_1 src1_sel:DWORD
	s_mov_b32 s1, 0
	s_and_saveexec_b32 s16, s0
	s_xor_b32 s0, exec_lo, s16
	s_cbranch_execnz .LBB313_139
; %bb.137:                              ;   in Loop: Header=BB313_94 Depth=1
	s_or_saveexec_b32 s0, s0
	v_bfrev_b32_e32 v34, 1
	s_xor_b32 exec_lo, exec_lo, s0
	s_cbranch_execnz .LBB313_142
.LBB313_138:                            ;   in Loop: Header=BB313_94 Depth=1
	s_or_b32 exec_lo, exec_lo, s0
	s_and_saveexec_b32 s0, s1
	s_cbranch_execnz .LBB313_143
	s_branch .LBB313_146
.LBB313_139:                            ;   in Loop: Header=BB313_94 Depth=1
	v_cmp_eq_u16_sdwa s17, v9, v24 src0_sel:BYTE_1 src1_sel:DWORD
	s_mov_b32 s1, -1
	s_and_saveexec_b32 s16, s17
; %bb.140:                              ;   in Loop: Header=BB313_94 Depth=1
	s_xor_b32 s1, exec_lo, -1
; %bb.141:                              ;   in Loop: Header=BB313_94 Depth=1
	s_or_b32 exec_lo, exec_lo, s16
	s_and_b32 s1, s1, exec_lo
	s_or_saveexec_b32 s0, s0
	v_bfrev_b32_e32 v34, 1
	s_xor_b32 exec_lo, exec_lo, s0
	s_cbranch_execz .LBB313_138
.LBB313_142:                            ;   in Loop: Header=BB313_94 Depth=1
	v_cmp_ne_u16_sdwa s16, v9, v10 src0_sel:BYTE_1 src1_sel:DWORD
	v_mov_b32_e32 v34, 0
	s_andn2_b32 s1, s1, exec_lo
	s_and_b32 s16, s16, exec_lo
	s_or_b32 s1, s1, s16
	s_or_b32 exec_lo, exec_lo, s0
	s_and_saveexec_b32 s0, s1
	s_cbranch_execz .LBB313_146
.LBB313_143:                            ;   in Loop: Header=BB313_94 Depth=1
	v_and_b32_sdwa v17, v25, v9 dst_sel:DWORD dst_unused:UNUSED_PAD src0_sel:DWORD src1_sel:BYTE_1
	v_mov_b32_e32 v34, 0x7f800001
	s_mov_b32 s1, exec_lo
	v_and_b32_e32 v35, 0x7f, v17
	v_cmpx_ne_u32_e32 0x7f, v35
	s_cbranch_execz .LBB313_145
; %bb.144:                              ;   in Loop: Header=BB313_94 Depth=1
	v_and_b32_e32 v34, 7, v17
	v_cmp_gt_u32_e32 vcc_lo, 8, v35
	v_lshlrev_b32_sdwa v9, v26, v9 dst_sel:DWORD dst_unused:UNUSED_PAD src0_sel:DWORD src1_sel:BYTE_1
	v_ffbh_u32_e32 v36, v34
	v_and_b32_e32 v9, 0x80000000, v9
	v_min_u32_e32 v38, 32, v36
	v_subrev_nc_u32_e32 v36, 28, v38
	v_lshlrev_b64 v[36:37], v36, v[17:18]
	v_lshrrev_b32_e32 v17, 3, v35
	v_sub_nc_u32_e32 v37, 29, v38
	v_and_b32_e32 v35, 7, v36
	v_cndmask_b32_e32 v17, v17, v37, vcc_lo
	v_cndmask_b32_e32 v34, v34, v35, vcc_lo
	v_lshl_add_u32 v17, v17, 23, 0x3c000000
	v_lshlrev_b32_e32 v34, 20, v34
	v_or3_b32 v34, v34, v9, v17
.LBB313_145:                            ;   in Loop: Header=BB313_94 Depth=1
	s_or_b32 exec_lo, exec_lo, s1
.LBB313_146:                            ;   in Loop: Header=BB313_94 Depth=1
	s_or_b32 exec_lo, exec_lo, s0
	v_lshrrev_b32_e32 v9, 16, v16
	s_mov_b32 s1, 0
	v_cmp_gt_i16_sdwa s0, v9, v23 src0_sel:BYTE_0 src1_sel:DWORD
	s_and_saveexec_b32 s16, s0
	s_xor_b32 s0, exec_lo, s16
	s_cbranch_execnz .LBB313_149
; %bb.147:                              ;   in Loop: Header=BB313_94 Depth=1
	s_or_saveexec_b32 s0, s0
	v_bfrev_b32_e32 v17, 1
	s_xor_b32 exec_lo, exec_lo, s0
	s_cbranch_execnz .LBB313_152
.LBB313_148:                            ;   in Loop: Header=BB313_94 Depth=1
	s_or_b32 exec_lo, exec_lo, s0
	s_and_saveexec_b32 s0, s1
	s_cbranch_execnz .LBB313_153
	s_branch .LBB313_156
.LBB313_149:                            ;   in Loop: Header=BB313_94 Depth=1
	v_cmp_eq_u16_sdwa s17, v9, v24 src0_sel:BYTE_0 src1_sel:DWORD
	s_mov_b32 s1, -1
	s_and_saveexec_b32 s16, s17
; %bb.150:                              ;   in Loop: Header=BB313_94 Depth=1
	s_xor_b32 s1, exec_lo, -1
; %bb.151:                              ;   in Loop: Header=BB313_94 Depth=1
	s_or_b32 exec_lo, exec_lo, s16
	s_and_b32 s1, s1, exec_lo
	s_or_saveexec_b32 s0, s0
	v_bfrev_b32_e32 v17, 1
	s_xor_b32 exec_lo, exec_lo, s0
	s_cbranch_execz .LBB313_148
.LBB313_152:                            ;   in Loop: Header=BB313_94 Depth=1
	v_cmp_ne_u16_sdwa s16, v9, v10 src0_sel:BYTE_0 src1_sel:DWORD
	v_mov_b32_e32 v17, 0
	s_andn2_b32 s1, s1, exec_lo
	s_and_b32 s16, s16, exec_lo
	s_or_b32 s1, s1, s16
	s_or_b32 exec_lo, exec_lo, s0
	s_and_saveexec_b32 s0, s1
	s_cbranch_execz .LBB313_156
.LBB313_153:                            ;   in Loop: Header=BB313_94 Depth=1
	v_and_b32_e32 v35, 0x7f, v9
	v_mov_b32_e32 v17, 0x7f800001
	s_mov_b32 s1, exec_lo
	v_cmpx_ne_u32_e32 0x7f, v35
	s_cbranch_execz .LBB313_155
; %bb.154:                              ;   in Loop: Header=BB313_94 Depth=1
	v_and_b32_e32 v17, 7, v9
	v_cmp_gt_u32_e32 vcc_lo, 8, v35
	v_ffbh_u32_e32 v36, v17
	v_min_u32_e32 v38, 32, v36
	v_subrev_nc_u32_e32 v36, 28, v38
	v_sub_nc_u32_e32 v38, 29, v38
	v_lshlrev_b64 v[36:37], v36, v[9:10]
	v_lshrrev_b32_e32 v37, 3, v35
	v_lshlrev_b32_e32 v9, 24, v9
	v_and_b32_e32 v35, 7, v36
	v_cndmask_b32_e32 v36, v37, v38, vcc_lo
	v_and_b32_e32 v9, 0x80000000, v9
	v_cndmask_b32_e32 v17, v17, v35, vcc_lo
	v_lshl_add_u32 v35, v36, 23, 0x3c000000
	v_lshlrev_b32_e32 v17, 20, v17
	v_or3_b32 v17, v17, v9, v35
.LBB313_155:                            ;   in Loop: Header=BB313_94 Depth=1
	s_or_b32 exec_lo, exec_lo, s1
.LBB313_156:                            ;   in Loop: Header=BB313_94 Depth=1
	s_or_b32 exec_lo, exec_lo, s0
	v_lshrrev_b32_e32 v9, 24, v16
	v_bfe_u32 v36, v16, 24, 7
	v_cmp_gt_u64_e64 s1, s[2:3], v[15:16]
	v_cmp_eq_u32_e32 vcc_lo, 0x80, v9
	v_cmp_eq_u32_e64 s0, 0x7f, v36
	v_cndmask_b32_e32 v35, 0x7f800001, v27, vcc_lo
	s_or_b32 s0, vcc_lo, s0
	v_cndmask_b32_e64 v35, v35, 0, s1
	s_nor_b32 s1, s1, s0
	s_and_saveexec_b32 s0, s1
	s_cbranch_execz .LBB313_158
; %bb.157:                              ;   in Loop: Header=BB313_94 Depth=1
	v_and_b32_e32 v35, 7, v9
	v_cmp_gt_u32_e32 vcc_lo, 8, v36
	v_ffbh_u32_e32 v15, v35
	v_min_u32_e32 v37, 32, v15
	v_subrev_nc_u32_e32 v15, 28, v37
	v_sub_nc_u32_e32 v37, 29, v37
	v_lshlrev_b64 v[15:16], v15, v[9:10]
	v_lshrrev_b32_e32 v16, 3, v36
	v_lshlrev_b32_e32 v9, 24, v9
	v_and_b32_e32 v15, 7, v15
	v_cndmask_b32_e32 v16, v16, v37, vcc_lo
	v_and_b32_e32 v9, 0x80000000, v9
	v_cndmask_b32_e32 v15, v35, v15, vcc_lo
	v_lshl_add_u32 v16, v16, 23, 0x3c000000
	v_lshlrev_b32_e32 v15, 20, v15
	v_or3_b32 v35, v15, v9, v16
.LBB313_158:                            ;   in Loop: Header=BB313_94 Depth=1
	s_or_b32 exec_lo, exec_lo, s0
	s_waitcnt lgkmcnt(0)
	v_mul_f32_e32 v9, s13, v34
	v_mul_f32_e32 v15, s13, v33
	;; [unrolled: 1-line block ×5, first 2 shown]
	v_bfe_u32 v32, v9, 16, 1
	v_or_b32_e32 v33, 0x400000, v9
	v_bfe_u32 v34, v15, 16, 1
	v_cmp_u_f32_e64 s0, v9, v9
	v_or_b32_e32 v36, 0x400000, v15
	v_add3_u32 v32, v32, v9, 0x7fff
	v_bfe_u32 v37, v16, 16, 1
	v_add3_u32 v34, v34, v15, 0x7fff
	v_or_b32_e32 v38, 0x400000, v16
	v_mul_f32_e32 v29, s13, v29
	v_cndmask_b32_e64 v9, v32, v33, s0
	v_cmp_u_f32_e64 s0, v15, v15
	v_bfe_u32 v32, v31, 16, 1
	v_add3_u32 v33, v37, v16, 0x7fff
	v_mul_f32_e32 v17, s13, v17
	v_cmp_eq_u32_e32 vcc_lo, s14, v28
	v_cndmask_b32_e64 v15, v34, v36, s0
	v_cmp_u_f32_e64 s0, v16, v16
	v_add3_u32 v32, v32, v31, 0x7fff
	v_bfe_u32 v34, v30, 16, 1
	v_bfe_u32 v36, v17, 16, 1
	v_or_b32_e32 v37, 0x400000, v17
	v_cndmask_b32_e64 v16, v33, v38, s0
	v_or_b32_e32 v33, 0x400000, v31
	v_cmp_u_f32_e64 s0, v31, v31
	v_add3_u32 v36, v36, v17, 0x7fff
	v_lshrrev_b32_e32 v9, 16, v9
	v_lshrrev_b32_e32 v15, 16, v15
	;; [unrolled: 1-line block ×3, first 2 shown]
	v_cndmask_b32_e64 v31, v32, v33, s0
	v_add3_u32 v32, v34, v30, 0x7fff
	v_or_b32_e32 v33, 0x400000, v30
	v_mul_f32_e32 v34, s13, v35
	v_bfe_u32 v35, v29, 16, 1
	v_cmp_u_f32_e64 s0, v30, v30
	v_bfe_u32 v30, v34, 16, 1
	v_or_b32_e32 v38, 0x400000, v34
	v_cndmask_b32_e64 v32, v32, v33, s0
	v_add3_u32 v33, v35, v29, 0x7fff
	v_or_b32_e32 v35, 0x400000, v29
	v_cmp_u_f32_e64 s0, v29, v29
	v_add3_u32 v30, v30, v34, 0x7fff
	v_cndmask_b32_e64 v29, v33, v35, s0
	v_cmp_u_f32_e64 s0, v17, v17
	v_cndmask_b32_e64 v17, v36, v37, s0
	v_cmp_u_f32_e64 s0, v34, v34
	v_cndmask_b32_e64 v33, v30, v38, s0
	v_lshrrev_b32_e32 v30, 16, v31
	v_lshrrev_b32_e32 v31, 16, v32
	;; [unrolled: 1-line block ×5, first 2 shown]
	s_and_saveexec_b32 s0, vcc_lo
	s_cbranch_execz .LBB313_93
; %bb.159:                              ;   in Loop: Header=BB313_94 Depth=1
	v_add_nc_u32_e32 v33, -7, v21
	v_add_nc_u32_e32 v34, -6, v21
	;; [unrolled: 1-line block ×3, first 2 shown]
	v_cmp_gt_i32_e32 vcc_lo, s11, v33
	v_add_nc_u32_e32 v33, -4, v21
	v_cndmask_b32_e32 v32, 0, v32, vcc_lo
	v_cmp_gt_i32_e32 vcc_lo, s11, v34
	v_add_nc_u32_e32 v34, -3, v21
	v_cndmask_b32_e32 v31, 0, v31, vcc_lo
	;; [unrolled: 3-line block ×4, first 2 shown]
	v_cmp_gt_i32_e32 vcc_lo, s11, v34
	v_cndmask_b32_e32 v15, 0, v15, vcc_lo
	v_cmp_gt_i32_e32 vcc_lo, s11, v35
	v_cndmask_b32_e32 v9, 0, v9, vcc_lo
	;; [unrolled: 2-line block ×4, first 2 shown]
	s_branch .LBB313_93
.LBB313_160:
	s_or_b32 exec_lo, exec_lo, s15
.LBB313_161:
	s_or_b32 exec_lo, exec_lo, s4
	v_and_b32_e32 v2, 0x3c0, v0
	v_lshl_add_u32 v1, v19, 2, 0x60
	s_mov_b32 s0, exec_lo
	s_barrier
	buffer_gl0_inv
	v_cmpx_eq_u32_e32 64, v2
; %bb.162:
	v_lshlrev_b32_e32 v2, 7, v18
	v_add3_u32 v2, v1, v2, 0xffffff00
	ds_write_b32 v2, v20
; %bb.163:
	s_or_b32 exec_lo, exec_lo, s0
	v_and_b32_e32 v3, 0x3e0, v0
	s_mov_b32 s0, exec_lo
	s_waitcnt lgkmcnt(0)
	s_barrier
	buffer_gl0_inv
	v_lshl_add_u32 v2, v3, 2, v1
	v_cmpx_gt_u32_e32 64, v0
	s_cbranch_execz .LBB313_165
; %bb.164:
	ds_read_b32 v4, v2
	s_waitcnt lgkmcnt(0)
	v_add_f32_e32 v20, v20, v4
.LBB313_165:
	s_or_b32 exec_lo, exec_lo, s0
	s_mov_b32 s0, exec_lo
	s_barrier
	buffer_gl0_inv
	v_cmpx_eq_u32_e32 32, v3
; %bb.166:
	ds_write_b32 v1, v20
; %bb.167:
	s_or_b32 exec_lo, exec_lo, s0
	v_cmp_gt_u32_e32 vcc_lo, 32, v0
	s_waitcnt lgkmcnt(0)
	s_barrier
	buffer_gl0_inv
	s_and_saveexec_b32 s0, vcc_lo
	s_cbranch_execz .LBB313_169
; %bb.168:
	ds_read_b32 v0, v2
	s_waitcnt lgkmcnt(0)
	v_add_f32_e32 v20, v20, v0
.LBB313_169:
	s_or_b32 exec_lo, exec_lo, s0
	s_barrier
	buffer_gl0_inv
	s_and_saveexec_b32 s0, vcc_lo
	s_cbranch_execz .LBB313_171
; %bb.170:
	s_mul_i32 s0, s10, s7
	s_mul_i32 s2, s7, s6
	;; [unrolled: 1-line block ×3, first 2 shown]
	v_bfe_u32 v0, v20, 16, 1
	s_lshl_b32 s0, s0, 5
	v_or_b32_e32 v1, 0x400000, v20
	s_ashr_i32 s1, s0, 31
	v_cmp_u_f32_e32 vcc_lo, v20, v20
	s_lshl_b64 s[0:1], s[0:1], 1
	v_add3_u32 v0, v0, v20, 0x7fff
	s_add_u32 s4, s20, s0
	s_addc_u32 s5, s21, s1
	s_ashr_i32 s3, s2, 31
	v_lshlrev_b32_e32 v2, 1, v19
	s_lshl_b64 s[0:1], s[2:3], 1
	v_cndmask_b32_e32 v0, v0, v1, vcc_lo
	s_add_u32 s2, s4, s0
	s_addc_u32 s3, s5, s1
	s_lshl_b32 s0, s8, 5
	s_ashr_i32 s1, s0, 31
	s_lshl_b64 s[0:1], s[0:1], 1
	s_add_u32 s0, s2, s0
	s_addc_u32 s1, s3, s1
	global_store_short_d16_hi v2, v0, s[0:1]
.LBB313_171:
	s_endpgm
	.section	.rodata,"a",@progbits
	.p2align	6, 0x0
	.amdhsa_kernel _ZN4vllm25paged_attention_v1_kernelI14__hip_bfloat16hLi32ELi8ELi128ELNS_18Fp8KVCacheDataTypeE1ELb0EEEvPT_PKS3_PKT0_S9_ifPKiSB_iPKfiiiSD_SD_iiiii
		.amdhsa_group_segment_fixed_size 96
		.amdhsa_private_segment_fixed_size 0
		.amdhsa_kernarg_size 384
		.amdhsa_user_sgpr_count 6
		.amdhsa_user_sgpr_private_segment_buffer 1
		.amdhsa_user_sgpr_dispatch_ptr 0
		.amdhsa_user_sgpr_queue_ptr 0
		.amdhsa_user_sgpr_kernarg_segment_ptr 1
		.amdhsa_user_sgpr_dispatch_id 0
		.amdhsa_user_sgpr_flat_scratch_init 0
		.amdhsa_user_sgpr_private_segment_size 0
		.amdhsa_wavefront_size32 1
		.amdhsa_uses_dynamic_stack 0
		.amdhsa_system_sgpr_private_segment_wavefront_offset 0
		.amdhsa_system_sgpr_workgroup_id_x 1
		.amdhsa_system_sgpr_workgroup_id_y 1
		.amdhsa_system_sgpr_workgroup_id_z 1
		.amdhsa_system_sgpr_workgroup_info 0
		.amdhsa_system_vgpr_workitem_id 0
		.amdhsa_next_free_vgpr 41
		.amdhsa_next_free_sgpr 34
		.amdhsa_reserve_vcc 1
		.amdhsa_reserve_flat_scratch 0
		.amdhsa_float_round_mode_32 0
		.amdhsa_float_round_mode_16_64 0
		.amdhsa_float_denorm_mode_32 3
		.amdhsa_float_denorm_mode_16_64 3
		.amdhsa_dx10_clamp 1
		.amdhsa_ieee_mode 1
		.amdhsa_fp16_overflow 0
		.amdhsa_workgroup_processor_mode 1
		.amdhsa_memory_ordered 1
		.amdhsa_forward_progress 1
		.amdhsa_shared_vgpr_count 0
		.amdhsa_exception_fp_ieee_invalid_op 0
		.amdhsa_exception_fp_denorm_src 0
		.amdhsa_exception_fp_ieee_div_zero 0
		.amdhsa_exception_fp_ieee_overflow 0
		.amdhsa_exception_fp_ieee_underflow 0
		.amdhsa_exception_fp_ieee_inexact 0
		.amdhsa_exception_int_div_zero 0
	.end_amdhsa_kernel
	.section	.text._ZN4vllm25paged_attention_v1_kernelI14__hip_bfloat16hLi32ELi8ELi128ELNS_18Fp8KVCacheDataTypeE1ELb0EEEvPT_PKS3_PKT0_S9_ifPKiSB_iPKfiiiSD_SD_iiiii,"axG",@progbits,_ZN4vllm25paged_attention_v1_kernelI14__hip_bfloat16hLi32ELi8ELi128ELNS_18Fp8KVCacheDataTypeE1ELb0EEEvPT_PKS3_PKT0_S9_ifPKiSB_iPKfiiiSD_SD_iiiii,comdat
.Lfunc_end313:
	.size	_ZN4vllm25paged_attention_v1_kernelI14__hip_bfloat16hLi32ELi8ELi128ELNS_18Fp8KVCacheDataTypeE1ELb0EEEvPT_PKS3_PKT0_S9_ifPKiSB_iPKfiiiSD_SD_iiiii, .Lfunc_end313-_ZN4vllm25paged_attention_v1_kernelI14__hip_bfloat16hLi32ELi8ELi128ELNS_18Fp8KVCacheDataTypeE1ELb0EEEvPT_PKS3_PKT0_S9_ifPKiSB_iPKfiiiSD_SD_iiiii
                                        ; -- End function
	.set _ZN4vllm25paged_attention_v1_kernelI14__hip_bfloat16hLi32ELi8ELi128ELNS_18Fp8KVCacheDataTypeE1ELb0EEEvPT_PKS3_PKT0_S9_ifPKiSB_iPKfiiiSD_SD_iiiii.num_vgpr, 41
	.set _ZN4vllm25paged_attention_v1_kernelI14__hip_bfloat16hLi32ELi8ELi128ELNS_18Fp8KVCacheDataTypeE1ELb0EEEvPT_PKS3_PKT0_S9_ifPKiSB_iPKfiiiSD_SD_iiiii.num_agpr, 0
	.set _ZN4vllm25paged_attention_v1_kernelI14__hip_bfloat16hLi32ELi8ELi128ELNS_18Fp8KVCacheDataTypeE1ELb0EEEvPT_PKS3_PKT0_S9_ifPKiSB_iPKfiiiSD_SD_iiiii.numbered_sgpr, 34
	.set _ZN4vllm25paged_attention_v1_kernelI14__hip_bfloat16hLi32ELi8ELi128ELNS_18Fp8KVCacheDataTypeE1ELb0EEEvPT_PKS3_PKT0_S9_ifPKiSB_iPKfiiiSD_SD_iiiii.num_named_barrier, 0
	.set _ZN4vllm25paged_attention_v1_kernelI14__hip_bfloat16hLi32ELi8ELi128ELNS_18Fp8KVCacheDataTypeE1ELb0EEEvPT_PKS3_PKT0_S9_ifPKiSB_iPKfiiiSD_SD_iiiii.private_seg_size, 0
	.set _ZN4vllm25paged_attention_v1_kernelI14__hip_bfloat16hLi32ELi8ELi128ELNS_18Fp8KVCacheDataTypeE1ELb0EEEvPT_PKS3_PKT0_S9_ifPKiSB_iPKfiiiSD_SD_iiiii.uses_vcc, 1
	.set _ZN4vllm25paged_attention_v1_kernelI14__hip_bfloat16hLi32ELi8ELi128ELNS_18Fp8KVCacheDataTypeE1ELb0EEEvPT_PKS3_PKT0_S9_ifPKiSB_iPKfiiiSD_SD_iiiii.uses_flat_scratch, 0
	.set _ZN4vllm25paged_attention_v1_kernelI14__hip_bfloat16hLi32ELi8ELi128ELNS_18Fp8KVCacheDataTypeE1ELb0EEEvPT_PKS3_PKT0_S9_ifPKiSB_iPKfiiiSD_SD_iiiii.has_dyn_sized_stack, 0
	.set _ZN4vllm25paged_attention_v1_kernelI14__hip_bfloat16hLi32ELi8ELi128ELNS_18Fp8KVCacheDataTypeE1ELb0EEEvPT_PKS3_PKT0_S9_ifPKiSB_iPKfiiiSD_SD_iiiii.has_recursion, 0
	.set _ZN4vllm25paged_attention_v1_kernelI14__hip_bfloat16hLi32ELi8ELi128ELNS_18Fp8KVCacheDataTypeE1ELb0EEEvPT_PKS3_PKT0_S9_ifPKiSB_iPKfiiiSD_SD_iiiii.has_indirect_call, 0
	.section	.AMDGPU.csdata,"",@progbits
; Kernel info:
; codeLenInByte = 7800
; TotalNumSgprs: 36
; NumVgprs: 41
; ScratchSize: 0
; MemoryBound: 0
; FloatMode: 240
; IeeeMode: 1
; LDSByteSize: 96 bytes/workgroup (compile time only)
; SGPRBlocks: 0
; VGPRBlocks: 5
; NumSGPRsForWavesPerEU: 36
; NumVGPRsForWavesPerEU: 41
; Occupancy: 16
; WaveLimiterHint : 1
; COMPUTE_PGM_RSRC2:SCRATCH_EN: 0
; COMPUTE_PGM_RSRC2:USER_SGPR: 6
; COMPUTE_PGM_RSRC2:TRAP_HANDLER: 0
; COMPUTE_PGM_RSRC2:TGID_X_EN: 1
; COMPUTE_PGM_RSRC2:TGID_Y_EN: 1
; COMPUTE_PGM_RSRC2:TGID_Z_EN: 1
; COMPUTE_PGM_RSRC2:TIDIG_COMP_CNT: 0
	.section	.text._ZN4vllm25paged_attention_v1_kernelI14__hip_bfloat16hLi64ELi8ELi128ELNS_18Fp8KVCacheDataTypeE1ELb0EEEvPT_PKS3_PKT0_S9_ifPKiSB_iPKfiiiSD_SD_iiiii,"axG",@progbits,_ZN4vllm25paged_attention_v1_kernelI14__hip_bfloat16hLi64ELi8ELi128ELNS_18Fp8KVCacheDataTypeE1ELb0EEEvPT_PKS3_PKT0_S9_ifPKiSB_iPKfiiiSD_SD_iiiii,comdat
	.protected	_ZN4vllm25paged_attention_v1_kernelI14__hip_bfloat16hLi64ELi8ELi128ELNS_18Fp8KVCacheDataTypeE1ELb0EEEvPT_PKS3_PKT0_S9_ifPKiSB_iPKfiiiSD_SD_iiiii ; -- Begin function _ZN4vllm25paged_attention_v1_kernelI14__hip_bfloat16hLi64ELi8ELi128ELNS_18Fp8KVCacheDataTypeE1ELb0EEEvPT_PKS3_PKT0_S9_ifPKiSB_iPKfiiiSD_SD_iiiii
	.globl	_ZN4vllm25paged_attention_v1_kernelI14__hip_bfloat16hLi64ELi8ELi128ELNS_18Fp8KVCacheDataTypeE1ELb0EEEvPT_PKS3_PKT0_S9_ifPKiSB_iPKfiiiSD_SD_iiiii
	.p2align	8
	.type	_ZN4vllm25paged_attention_v1_kernelI14__hip_bfloat16hLi64ELi8ELi128ELNS_18Fp8KVCacheDataTypeE1ELb0EEEvPT_PKS3_PKT0_S9_ifPKiSB_iPKfiiiSD_SD_iiiii,@function
_ZN4vllm25paged_attention_v1_kernelI14__hip_bfloat16hLi64ELi8ELi128ELNS_18Fp8KVCacheDataTypeE1ELb0EEEvPT_PKS3_PKT0_S9_ifPKiSB_iPKfiiiSD_SD_iiiii: ; @_ZN4vllm25paged_attention_v1_kernelI14__hip_bfloat16hLi64ELi8ELi128ELNS_18Fp8KVCacheDataTypeE1ELb0EEEvPT_PKS3_PKT0_S9_ifPKiSB_iPKfiiiSD_SD_iiiii
; %bb.0:
	s_clause 0x2
	s_load_dword s9, s[4:5], 0x80
	s_load_dwordx2 s[0:1], s[4:5], 0x30
	s_load_dwordx2 s[28:29], s[4:5], 0x20
	s_mov_b32 s10, s7
	s_ashr_i32 s11, s7, 31
	s_lshl_b64 s[2:3], s[10:11], 2
	s_waitcnt lgkmcnt(0)
	s_add_u32 s0, s0, s2
	s_addc_u32 s1, s1, s3
	s_abs_i32 s2, s28
	s_abs_i32 s11, s9
	v_cvt_f32_u32_e32 v1, s2
	s_sub_i32 s7, 0, s2
	v_rcp_iflag_f32_e32 v1, v1
	v_mul_f32_e32 v1, 0x4f7ffffe, v1
	v_cvt_u32_f32_e32 v1, v1
	v_readfirstlane_b32 s3, v1
	s_mul_i32 s7, s7, s3
	s_mul_hi_u32 s7, s3, s7
	s_add_i32 s3, s3, s7
	s_xor_b32 s7, s9, s28
	s_mul_hi_u32 s3, s11, s3
	s_ashr_i32 s7, s7, 31
	s_mul_i32 s12, s3, s2
	s_mov_b32 s28, 0
	s_sub_i32 s11, s11, s12
	s_add_i32 s12, s3, 1
	s_sub_i32 s13, s11, s2
	s_cmp_ge_u32 s11, s2
	s_cselect_b32 s3, s12, s3
	s_cselect_b32 s11, s13, s11
	s_add_i32 s12, s3, 1
	s_cmp_ge_u32 s11, s2
	s_cselect_b32 s2, s12, s3
	s_abs_i32 s17, s6
	s_xor_b32 s2, s2, s7
	s_sub_i32 s19, s2, s7
	s_load_dwordx2 s[2:3], s[4:5], 0x40
	s_abs_i32 s16, s19
	v_cvt_f32_u32_e32 v1, s16
	s_sub_i32 s11, 0, s16
	v_rcp_iflag_f32_e32 v1, v1
	v_mul_f32_e32 v1, 0x4f7ffffe, v1
	v_cvt_u32_f32_e32 v1, v1
	v_readfirstlane_b32 s7, v1
	s_mul_i32 s11, s11, s7
	s_mul_hi_u32 s11, s7, s11
	s_add_i32 s7, s7, s11
	s_waitcnt lgkmcnt(0)
	s_cmp_eq_u64 s[2:3], 0
	s_mul_hi_u32 s18, s17, s7
	s_cbranch_scc1 .LBB314_2
; %bb.1:
	s_ashr_i32 s7, s6, 31
	s_lshl_b64 s[12:13], s[6:7], 2
	s_add_u32 s2, s2, s12
	s_addc_u32 s3, s3, s13
	s_load_dword s28, s[2:3], 0x0
.LBB314_2:
	s_load_dword s11, s[0:1], 0x0
	s_load_dwordx4 s[12:15], s[4:5], 0x48
	v_and_b32_e32 v1, 3, v0
	v_cmp_gt_u32_e64 s0, 32, v0
	s_ashr_i32 s1, s6, 31
	s_ashr_i32 s2, s19, 31
	s_lshl_b32 s6, s6, 6
	s_and_saveexec_b32 s3, s0
	s_cbranch_execz .LBB314_4
; %bb.3:
	s_load_dwordx2 s[20:21], s[4:5], 0x8
	s_waitcnt lgkmcnt(0)
	s_mul_i32 s22, s12, s10
	v_lshlrev_b32_e32 v2, 2, v0
	s_ashr_i32 s23, s22, 31
	v_and_b32_e32 v3, 0x3fc, v0
	s_lshl_b64 s[22:23], s[22:23], 1
	v_lshl_add_u32 v3, v1, 5, v3
	s_add_u32 s12, s20, s22
	s_addc_u32 s15, s21, s23
	s_ashr_i32 s7, s6, 31
	s_lshl_b64 s[20:21], s[6:7], 1
	s_add_u32 s20, s12, s20
	s_addc_u32 s21, s15, s21
	global_load_dword v2, v2, s[20:21]
	s_waitcnt vmcnt(0)
	ds_write_b32 v3, v2
.LBB314_4:
	s_or_b32 exec_lo, exec_lo, s3
	s_waitcnt lgkmcnt(0)
	s_add_i32 s3, s11, 7
	s_clause 0x1
	s_load_dwordx2 s[22:23], s[4:5], 0x28
	s_load_dword s15, s[4:5], 0x38
	s_ashr_i32 s7, s3, 31
	s_xor_b32 s1, s1, s2
	s_lshr_b32 s7, s7, 29
	s_mul_i32 s2, s18, s16
	s_add_i32 s3, s3, s7
	s_sub_i32 s2, s17, s2
	s_ashr_i32 s12, s3, 3
	s_add_i32 s3, s18, 1
	s_sub_i32 s7, s2, s16
	s_cmp_ge_u32 s2, s16
	v_lshrrev_b32_e32 v21, 5, v0
	s_cselect_b32 s3, s3, s18
	s_cselect_b32 s2, s7, s2
	s_add_i32 s7, s3, 1
	s_cmp_ge_u32 s2, s16
	v_mbcnt_lo_u32_b32 v10, -1, 0
	s_cselect_b32 s2, s7, s3
	s_mov_b32 s3, exec_lo
	s_xor_b32 s2, s2, s1
	s_waitcnt lgkmcnt(0)
	s_mul_i32 s24, s15, s10
	s_sub_i32 s2, s2, s1
	v_cmp_gt_i32_e64 s1, s12, v21
	s_ashr_i32 s25, s24, 31
	s_barrier
	buffer_gl0_inv
                                        ; implicit-def: $vgpr2
                                        ; implicit-def: $vgpr11
	v_cmpx_le_i32_e64 s12, v21
	s_xor_b32 s3, exec_lo, s3
; %bb.5:
	v_mov_b32_e32 v2, 0
	v_mbcnt_lo_u32_b32 v10, -1, 0
	v_mov_b32_e32 v11, 32
                                        ; implicit-def: $vgpr1
; %bb.6:
	s_or_saveexec_b32 s15, s3
	s_clause 0x3
	s_load_dwordx2 s[20:21], s[4:5], 0x0
	s_load_dwordx2 s[26:27], s[4:5], 0x18
	s_load_dword s7, s[4:5], 0x88
	s_load_dwordx4 s[16:19], s[4:5], 0x58
	v_mov_b32_e32 v25, 0xff7fffff
	v_lshrrev_b32_e32 v9, 3, v0
	s_mul_i32 s14, s2, s14
	s_xor_b32 exec_lo, exec_lo, s15
	s_cbranch_execz .LBB314_140
; %bb.7:
	v_lshlrev_b32_e32 v2, 5, v1
	s_load_dwordx2 s[2:3], s[4:5], 0x10
	v_bfe_u32 v7, v0, 2, 3
	s_waitcnt lgkmcnt(0)
	s_load_dword s5, s[16:17], 0x0
	s_ashr_i32 s4, s14, 31
	ds_read_b128 v[3:6], v2
	ds_read_b128 v[26:29], v2 offset:16
	v_lshlrev_b32_e32 v8, 4, v7
	v_lshlrev_b32_e32 v25, 1, v1
	v_mov_b32_e32 v2, 0
	v_mov_b32_e32 v11, 32
	;; [unrolled: 1-line block ×5, first 2 shown]
	s_mov_b32 s17, 0
	s_add_u32 s2, s2, s14
	s_addc_u32 s3, s3, s4
	v_add_co_u32 v8, s2, s2, v8
	s_waitcnt lgkmcnt(0)
	v_lshlrev_b32_e32 v12, 16, v3
	v_and_b32_e32 v13, 0xffff0000, v3
	v_xor_b32_e32 v3, 2, v10
	v_lshlrev_b32_e32 v14, 16, v4
	v_and_b32_e32 v15, 0xffff0000, v4
	v_xor_b32_e32 v4, 1, v10
	v_add_co_ci_u32_e64 v32, null, s3, 0, s2
	v_cmp_gt_i32_e32 vcc_lo, 32, v3
	v_lshlrev_b32_e32 v16, 16, v5
	v_and_b32_e32 v17, 0xffff0000, v5
	v_and_b32_e32 v5, 0x7c, v9
	s_lshl_b64 s[30:31], s[24:25], 2
	v_cndmask_b32_e32 v3, v10, v3, vcc_lo
	v_cmp_gt_i32_e32 vcc_lo, 32, v4
	s_sub_i32 s16, 1, s11
	v_lshlrev_b32_e32 v18, 16, v6
	v_and_b32_e32 v19, 0xffff0000, v6
	v_lshlrev_b32_e32 v30, 2, v3
	v_cndmask_b32_e32 v4, v10, v4, vcc_lo
	v_cmp_eq_u32_e32 vcc_lo, 0, v1
	v_lshlrev_b32_e32 v1, 2, v7
	v_add_co_u32 v3, s3, v8, v25
	v_lshlrev_b32_e32 v31, 2, v4
	v_add_co_ci_u32_e64 v4, null, 0, v32, s3
	v_lshl_or_b32 v1, v21, 5, v1
	s_add_u32 s3, s22, s30
	s_addc_u32 s4, s23, s31
	v_add_co_u32 v5, s3, s3, v5
	v_lshlrev_b32_e32 v20, 16, v26
	v_and_b32_e32 v22, 0xffff0000, v26
	v_lshlrev_b32_e32 v23, 16, v27
	v_and_b32_e32 v24, 0xffff0000, v27
	;; [unrolled: 2-line block ×4, first 2 shown]
	v_cmp_neq_f32_e64 s2, s28, 0
	v_lshl_or_b32 v32, v21, 3, v7
	v_add_nc_u32_e32 v33, 0xa0, v1
	v_add_co_ci_u32_e64 v6, null, s4, 0, s3
	v_mov_b32_e32 v25, 0xff7fffff
	s_mov_b32 s30, s13
	s_branch .LBB314_9
.LBB314_8:                              ;   in Loop: Header=BB314_9 Depth=1
	s_or_b32 exec_lo, exec_lo, s4
	v_add_nc_u32_e32 v36, 4, v36
	v_add_co_u32 v5, s4, v5, 16
	v_add_nc_u32_e32 v32, 32, v32
	v_add_nc_u32_e32 v33, 0x80, v33
	v_cmp_le_i32_e64 s3, s12, v36
	v_add_co_ci_u32_e64 v6, null, 0, v6, s4
	s_or_b32 s17, s3, s17
	s_andn2_b32 exec_lo, exec_lo, s17
	s_cbranch_execz .LBB314_139
.LBB314_9:                              ; =>This Inner Loop Header: Depth=1
	global_load_dword v1, v[5:6], off
	v_mov_b32_e32 v37, 0
	s_waitcnt vmcnt(0) lgkmcnt(0)
	v_mad_i64_i32 v[7:8], null, v1, s30, v[3:4]
	global_load_ushort v1, v[7:8], off
	s_waitcnt vmcnt(0)
	v_and_b32_e32 v39, 0xffff, v1
	v_cmp_ne_u16_sdwa s3, v1, v2 src0_sel:BYTE_0 src1_sel:DWORD
	s_and_saveexec_b32 s4, s3
	s_cbranch_execz .LBB314_17
; %bb.10:                               ;   in Loop: Header=BB314_9 Depth=1
	v_cmp_ne_u16_sdwa s3, v39, v34 src0_sel:BYTE_0 src1_sel:DWORD
	v_bfrev_b32_e32 v37, 1
	s_and_saveexec_b32 s31, s3
	s_cbranch_execz .LBB314_16
; %bb.11:                               ;   in Loop: Header=BB314_9 Depth=1
	v_and_b32_e32 v38, 0x7f, v39
	v_mov_b32_e32 v37, 0x7f800001
	s_mov_b32 s33, exec_lo
	v_cmpx_ne_u32_e32 0x7f, v38
	s_cbranch_execz .LBB314_15
; %bb.12:                               ;   in Loop: Header=BB314_9 Depth=1
	v_and_b32_e32 v1, 7, v39
	v_lshrrev_b32_e32 v37, 3, v38
	s_mov_b32 s34, exec_lo
	v_cmpx_gt_u32_e32 8, v38
; %bb.13:                               ;   in Loop: Header=BB314_9 Depth=1
	v_ffbh_u32_e32 v37, v1
	v_min_u32_e32 v37, 32, v37
	v_subrev_nc_u32_e32 v38, 28, v37
	v_sub_nc_u32_e32 v37, 29, v37
	v_lshlrev_b64 v[40:41], v38, v[1:2]
	v_and_b32_e32 v1, 7, v40
; %bb.14:                               ;   in Loop: Header=BB314_9 Depth=1
	s_or_b32 exec_lo, exec_lo, s34
	v_lshlrev_b32_e32 v38, 24, v39
	v_lshlrev_b32_e32 v1, 20, v1
	v_lshl_add_u32 v37, v37, 23, 0x3c000000
	v_and_b32_e32 v38, 0x80000000, v38
	v_or3_b32 v37, v1, v38, v37
.LBB314_15:                             ;   in Loop: Header=BB314_9 Depth=1
	s_or_b32 exec_lo, exec_lo, s33
.LBB314_16:                             ;   in Loop: Header=BB314_9 Depth=1
	s_or_b32 exec_lo, exec_lo, s31
.LBB314_17:                             ;   in Loop: Header=BB314_9 Depth=1
	s_or_b32 exec_lo, exec_lo, s4
	v_cmp_ne_u16_sdwa s3, v39, v2 src0_sel:BYTE_1 src1_sel:DWORD
	v_mov_b32_e32 v38, 0
	s_and_saveexec_b32 s4, s3
	s_cbranch_execz .LBB314_25
; %bb.18:                               ;   in Loop: Header=BB314_9 Depth=1
	v_cmp_ne_u16_sdwa s3, v39, v34 src0_sel:BYTE_1 src1_sel:DWORD
	v_bfrev_b32_e32 v38, 1
	s_and_saveexec_b32 s31, s3
	s_cbranch_execz .LBB314_24
; %bb.19:                               ;   in Loop: Header=BB314_9 Depth=1
	v_and_b32_sdwa v1, v35, v39 dst_sel:DWORD dst_unused:UNUSED_PAD src0_sel:DWORD src1_sel:BYTE_1
	v_mov_b32_e32 v38, 0x7f800001
	s_mov_b32 s33, exec_lo
	v_and_b32_e32 v40, 0x7f, v1
	v_cmpx_ne_u32_e32 0x7f, v40
	s_cbranch_execz .LBB314_23
; %bb.20:                               ;   in Loop: Header=BB314_9 Depth=1
	v_and_b32_e32 v1, 7, v1
	v_lshrrev_b32_e32 v38, 3, v40
	s_mov_b32 s34, exec_lo
	v_cmpx_gt_u32_e32 8, v40
; %bb.21:                               ;   in Loop: Header=BB314_9 Depth=1
	v_ffbh_u32_e32 v38, v1
	v_min_u32_e32 v38, 32, v38
	v_subrev_nc_u32_e32 v40, 28, v38
	v_sub_nc_u32_e32 v38, 29, v38
	v_lshlrev_b64 v[40:41], v40, v[1:2]
	v_and_b32_e32 v1, 7, v40
; %bb.22:                               ;   in Loop: Header=BB314_9 Depth=1
	s_or_b32 exec_lo, exec_lo, s34
	v_lshlrev_b32_e32 v39, 16, v39
	v_lshlrev_b32_e32 v1, 20, v1
	v_lshl_add_u32 v38, v38, 23, 0x3c000000
	v_and_b32_e32 v39, 0x80000000, v39
	v_or3_b32 v38, v1, v39, v38
.LBB314_23:                             ;   in Loop: Header=BB314_9 Depth=1
	s_or_b32 exec_lo, exec_lo, s33
.LBB314_24:                             ;   in Loop: Header=BB314_9 Depth=1
	s_or_b32 exec_lo, exec_lo, s31
.LBB314_25:                             ;   in Loop: Header=BB314_9 Depth=1
	s_or_b32 exec_lo, exec_lo, s4
	global_load_ushort v1, v[7:8], off offset:8
	v_mov_b32_e32 v40, 0
	v_mov_b32_e32 v39, 0
	s_waitcnt vmcnt(0)
	v_and_b32_e32 v41, 0xffff, v1
	v_cmp_ne_u16_sdwa s3, v1, v2 src0_sel:BYTE_0 src1_sel:DWORD
	s_and_saveexec_b32 s4, s3
	s_cbranch_execz .LBB314_33
; %bb.26:                               ;   in Loop: Header=BB314_9 Depth=1
	v_cmp_ne_u16_sdwa s3, v41, v34 src0_sel:BYTE_0 src1_sel:DWORD
	v_bfrev_b32_e32 v39, 1
	s_and_saveexec_b32 s31, s3
	s_cbranch_execz .LBB314_32
; %bb.27:                               ;   in Loop: Header=BB314_9 Depth=1
	v_and_b32_e32 v42, 0x7f, v41
	v_mov_b32_e32 v39, 0x7f800001
	s_mov_b32 s33, exec_lo
	v_cmpx_ne_u32_e32 0x7f, v42
	s_cbranch_execz .LBB314_31
; %bb.28:                               ;   in Loop: Header=BB314_9 Depth=1
	v_and_b32_e32 v1, 7, v41
	v_lshrrev_b32_e32 v39, 3, v42
	s_mov_b32 s34, exec_lo
	v_cmpx_gt_u32_e32 8, v42
; %bb.29:                               ;   in Loop: Header=BB314_9 Depth=1
	v_ffbh_u32_e32 v39, v1
	v_min_u32_e32 v39, 32, v39
	v_subrev_nc_u32_e32 v42, 28, v39
	v_sub_nc_u32_e32 v39, 29, v39
	v_lshlrev_b64 v[42:43], v42, v[1:2]
	v_and_b32_e32 v1, 7, v42
; %bb.30:                               ;   in Loop: Header=BB314_9 Depth=1
	s_or_b32 exec_lo, exec_lo, s34
	v_lshlrev_b32_e32 v42, 24, v41
	v_lshlrev_b32_e32 v1, 20, v1
	v_lshl_add_u32 v39, v39, 23, 0x3c000000
	v_and_b32_e32 v42, 0x80000000, v42
	v_or3_b32 v39, v1, v42, v39
.LBB314_31:                             ;   in Loop: Header=BB314_9 Depth=1
	s_or_b32 exec_lo, exec_lo, s33
.LBB314_32:                             ;   in Loop: Header=BB314_9 Depth=1
	s_or_b32 exec_lo, exec_lo, s31
.LBB314_33:                             ;   in Loop: Header=BB314_9 Depth=1
	s_or_b32 exec_lo, exec_lo, s4
	v_cmp_ne_u16_sdwa s3, v41, v2 src0_sel:BYTE_1 src1_sel:DWORD
	s_and_saveexec_b32 s4, s3
	s_cbranch_execz .LBB314_41
; %bb.34:                               ;   in Loop: Header=BB314_9 Depth=1
	v_cmp_ne_u16_sdwa s3, v41, v34 src0_sel:BYTE_1 src1_sel:DWORD
	v_bfrev_b32_e32 v40, 1
	s_and_saveexec_b32 s31, s3
	s_cbranch_execz .LBB314_40
; %bb.35:                               ;   in Loop: Header=BB314_9 Depth=1
	v_and_b32_sdwa v1, v35, v41 dst_sel:DWORD dst_unused:UNUSED_PAD src0_sel:DWORD src1_sel:BYTE_1
	v_mov_b32_e32 v40, 0x7f800001
	s_mov_b32 s33, exec_lo
	v_and_b32_e32 v42, 0x7f, v1
	v_cmpx_ne_u32_e32 0x7f, v42
	s_cbranch_execz .LBB314_39
; %bb.36:                               ;   in Loop: Header=BB314_9 Depth=1
	v_and_b32_e32 v1, 7, v1
	v_lshrrev_b32_e32 v40, 3, v42
	s_mov_b32 s34, exec_lo
	v_cmpx_gt_u32_e32 8, v42
; %bb.37:                               ;   in Loop: Header=BB314_9 Depth=1
	v_ffbh_u32_e32 v40, v1
	v_min_u32_e32 v40, 32, v40
	v_subrev_nc_u32_e32 v42, 28, v40
	v_sub_nc_u32_e32 v40, 29, v40
	v_lshlrev_b64 v[42:43], v42, v[1:2]
	v_and_b32_e32 v1, 7, v42
; %bb.38:                               ;   in Loop: Header=BB314_9 Depth=1
	s_or_b32 exec_lo, exec_lo, s34
	v_lshlrev_b32_e32 v41, 16, v41
	v_lshlrev_b32_e32 v1, 20, v1
	v_lshl_add_u32 v40, v40, 23, 0x3c000000
	v_and_b32_e32 v41, 0x80000000, v41
	v_or3_b32 v40, v1, v41, v40
.LBB314_39:                             ;   in Loop: Header=BB314_9 Depth=1
	s_or_b32 exec_lo, exec_lo, s33
.LBB314_40:                             ;   in Loop: Header=BB314_9 Depth=1
	s_or_b32 exec_lo, exec_lo, s31
.LBB314_41:                             ;   in Loop: Header=BB314_9 Depth=1
	s_or_b32 exec_lo, exec_lo, s4
	global_load_ushort v1, v[7:8], off offset:128
	v_mov_b32_e32 v42, 0
	v_mov_b32_e32 v41, 0
	s_waitcnt vmcnt(0)
	v_and_b32_e32 v43, 0xffff, v1
	v_cmp_ne_u16_sdwa s3, v1, v2 src0_sel:BYTE_0 src1_sel:DWORD
	s_and_saveexec_b32 s4, s3
	s_cbranch_execz .LBB314_49
; %bb.42:                               ;   in Loop: Header=BB314_9 Depth=1
	v_cmp_ne_u16_sdwa s3, v43, v34 src0_sel:BYTE_0 src1_sel:DWORD
	v_bfrev_b32_e32 v41, 1
	s_and_saveexec_b32 s31, s3
	s_cbranch_execz .LBB314_48
; %bb.43:                               ;   in Loop: Header=BB314_9 Depth=1
	v_and_b32_e32 v44, 0x7f, v43
	v_mov_b32_e32 v41, 0x7f800001
	s_mov_b32 s33, exec_lo
	v_cmpx_ne_u32_e32 0x7f, v44
	s_cbranch_execz .LBB314_47
; %bb.44:                               ;   in Loop: Header=BB314_9 Depth=1
	v_and_b32_e32 v1, 7, v43
	v_lshrrev_b32_e32 v41, 3, v44
	s_mov_b32 s34, exec_lo
	v_cmpx_gt_u32_e32 8, v44
; %bb.45:                               ;   in Loop: Header=BB314_9 Depth=1
	v_ffbh_u32_e32 v41, v1
	v_min_u32_e32 v41, 32, v41
	v_subrev_nc_u32_e32 v44, 28, v41
	v_sub_nc_u32_e32 v41, 29, v41
	v_lshlrev_b64 v[44:45], v44, v[1:2]
	v_and_b32_e32 v1, 7, v44
; %bb.46:                               ;   in Loop: Header=BB314_9 Depth=1
	s_or_b32 exec_lo, exec_lo, s34
	v_lshlrev_b32_e32 v44, 24, v43
	v_lshlrev_b32_e32 v1, 20, v1
	v_lshl_add_u32 v41, v41, 23, 0x3c000000
	v_and_b32_e32 v44, 0x80000000, v44
	v_or3_b32 v41, v1, v44, v41
.LBB314_47:                             ;   in Loop: Header=BB314_9 Depth=1
	s_or_b32 exec_lo, exec_lo, s33
.LBB314_48:                             ;   in Loop: Header=BB314_9 Depth=1
	s_or_b32 exec_lo, exec_lo, s31
.LBB314_49:                             ;   in Loop: Header=BB314_9 Depth=1
	s_or_b32 exec_lo, exec_lo, s4
	v_cmp_ne_u16_sdwa s3, v43, v2 src0_sel:BYTE_1 src1_sel:DWORD
	s_and_saveexec_b32 s4, s3
	s_cbranch_execz .LBB314_57
; %bb.50:                               ;   in Loop: Header=BB314_9 Depth=1
	v_cmp_ne_u16_sdwa s3, v43, v34 src0_sel:BYTE_1 src1_sel:DWORD
	v_bfrev_b32_e32 v42, 1
	s_and_saveexec_b32 s31, s3
	s_cbranch_execz .LBB314_56
; %bb.51:                               ;   in Loop: Header=BB314_9 Depth=1
	v_and_b32_sdwa v1, v35, v43 dst_sel:DWORD dst_unused:UNUSED_PAD src0_sel:DWORD src1_sel:BYTE_1
	v_mov_b32_e32 v42, 0x7f800001
	s_mov_b32 s33, exec_lo
	v_and_b32_e32 v44, 0x7f, v1
	v_cmpx_ne_u32_e32 0x7f, v44
	s_cbranch_execz .LBB314_55
; %bb.52:                               ;   in Loop: Header=BB314_9 Depth=1
	v_and_b32_e32 v1, 7, v1
	v_lshrrev_b32_e32 v42, 3, v44
	s_mov_b32 s34, exec_lo
	v_cmpx_gt_u32_e32 8, v44
; %bb.53:                               ;   in Loop: Header=BB314_9 Depth=1
	v_ffbh_u32_e32 v42, v1
	v_min_u32_e32 v42, 32, v42
	v_subrev_nc_u32_e32 v44, 28, v42
	v_sub_nc_u32_e32 v42, 29, v42
	v_lshlrev_b64 v[44:45], v44, v[1:2]
	v_and_b32_e32 v1, 7, v44
; %bb.54:                               ;   in Loop: Header=BB314_9 Depth=1
	s_or_b32 exec_lo, exec_lo, s34
	v_lshlrev_b32_e32 v43, 16, v43
	v_lshlrev_b32_e32 v1, 20, v1
	v_lshl_add_u32 v42, v42, 23, 0x3c000000
	v_and_b32_e32 v43, 0x80000000, v43
	v_or3_b32 v42, v1, v43, v42
.LBB314_55:                             ;   in Loop: Header=BB314_9 Depth=1
	s_or_b32 exec_lo, exec_lo, s33
.LBB314_56:                             ;   in Loop: Header=BB314_9 Depth=1
	s_or_b32 exec_lo, exec_lo, s31
.LBB314_57:                             ;   in Loop: Header=BB314_9 Depth=1
	s_or_b32 exec_lo, exec_lo, s4
	global_load_ushort v1, v[7:8], off offset:136
	v_mov_b32_e32 v44, 0
	v_mov_b32_e32 v43, 0
	s_waitcnt vmcnt(0)
	v_and_b32_e32 v45, 0xffff, v1
	v_cmp_ne_u16_sdwa s3, v1, v2 src0_sel:BYTE_0 src1_sel:DWORD
	s_and_saveexec_b32 s4, s3
	s_cbranch_execz .LBB314_65
; %bb.58:                               ;   in Loop: Header=BB314_9 Depth=1
	v_cmp_ne_u16_sdwa s3, v45, v34 src0_sel:BYTE_0 src1_sel:DWORD
	v_bfrev_b32_e32 v43, 1
	s_and_saveexec_b32 s31, s3
	s_cbranch_execz .LBB314_64
; %bb.59:                               ;   in Loop: Header=BB314_9 Depth=1
	v_and_b32_e32 v46, 0x7f, v45
	v_mov_b32_e32 v43, 0x7f800001
	s_mov_b32 s33, exec_lo
	v_cmpx_ne_u32_e32 0x7f, v46
	s_cbranch_execz .LBB314_63
; %bb.60:                               ;   in Loop: Header=BB314_9 Depth=1
	v_and_b32_e32 v1, 7, v45
	v_lshrrev_b32_e32 v43, 3, v46
	s_mov_b32 s34, exec_lo
	v_cmpx_gt_u32_e32 8, v46
; %bb.61:                               ;   in Loop: Header=BB314_9 Depth=1
	v_ffbh_u32_e32 v43, v1
	v_min_u32_e32 v43, 32, v43
	v_subrev_nc_u32_e32 v46, 28, v43
	v_sub_nc_u32_e32 v43, 29, v43
	v_lshlrev_b64 v[46:47], v46, v[1:2]
	v_and_b32_e32 v1, 7, v46
; %bb.62:                               ;   in Loop: Header=BB314_9 Depth=1
	s_or_b32 exec_lo, exec_lo, s34
	v_lshlrev_b32_e32 v46, 24, v45
	v_lshlrev_b32_e32 v1, 20, v1
	v_lshl_add_u32 v43, v43, 23, 0x3c000000
	v_and_b32_e32 v46, 0x80000000, v46
	v_or3_b32 v43, v1, v46, v43
.LBB314_63:                             ;   in Loop: Header=BB314_9 Depth=1
	s_or_b32 exec_lo, exec_lo, s33
.LBB314_64:                             ;   in Loop: Header=BB314_9 Depth=1
	s_or_b32 exec_lo, exec_lo, s31
.LBB314_65:                             ;   in Loop: Header=BB314_9 Depth=1
	s_or_b32 exec_lo, exec_lo, s4
	v_cmp_ne_u16_sdwa s3, v45, v2 src0_sel:BYTE_1 src1_sel:DWORD
	s_and_saveexec_b32 s4, s3
	s_cbranch_execz .LBB314_73
; %bb.66:                               ;   in Loop: Header=BB314_9 Depth=1
	v_cmp_ne_u16_sdwa s3, v45, v34 src0_sel:BYTE_1 src1_sel:DWORD
	v_bfrev_b32_e32 v44, 1
	s_and_saveexec_b32 s31, s3
	s_cbranch_execz .LBB314_72
; %bb.67:                               ;   in Loop: Header=BB314_9 Depth=1
	v_and_b32_sdwa v1, v35, v45 dst_sel:DWORD dst_unused:UNUSED_PAD src0_sel:DWORD src1_sel:BYTE_1
	v_mov_b32_e32 v44, 0x7f800001
	s_mov_b32 s33, exec_lo
	v_and_b32_e32 v46, 0x7f, v1
	v_cmpx_ne_u32_e32 0x7f, v46
	s_cbranch_execz .LBB314_71
; %bb.68:                               ;   in Loop: Header=BB314_9 Depth=1
	v_and_b32_e32 v1, 7, v1
	v_lshrrev_b32_e32 v44, 3, v46
	s_mov_b32 s34, exec_lo
	v_cmpx_gt_u32_e32 8, v46
; %bb.69:                               ;   in Loop: Header=BB314_9 Depth=1
	v_ffbh_u32_e32 v44, v1
	v_min_u32_e32 v44, 32, v44
	v_subrev_nc_u32_e32 v46, 28, v44
	v_sub_nc_u32_e32 v44, 29, v44
	v_lshlrev_b64 v[46:47], v46, v[1:2]
	v_and_b32_e32 v1, 7, v46
; %bb.70:                               ;   in Loop: Header=BB314_9 Depth=1
	s_or_b32 exec_lo, exec_lo, s34
	v_lshlrev_b32_e32 v45, 16, v45
	v_lshlrev_b32_e32 v1, 20, v1
	v_lshl_add_u32 v44, v44, 23, 0x3c000000
	v_and_b32_e32 v45, 0x80000000, v45
	v_or3_b32 v44, v1, v45, v44
.LBB314_71:                             ;   in Loop: Header=BB314_9 Depth=1
	s_or_b32 exec_lo, exec_lo, s33
.LBB314_72:                             ;   in Loop: Header=BB314_9 Depth=1
	s_or_b32 exec_lo, exec_lo, s31
.LBB314_73:                             ;   in Loop: Header=BB314_9 Depth=1
	s_or_b32 exec_lo, exec_lo, s4
	global_load_ushort v1, v[7:8], off offset:256
	v_mov_b32_e32 v46, 0
	v_mov_b32_e32 v45, 0
	s_waitcnt vmcnt(0)
	v_and_b32_e32 v47, 0xffff, v1
	v_cmp_ne_u16_sdwa s3, v1, v2 src0_sel:BYTE_0 src1_sel:DWORD
	s_and_saveexec_b32 s4, s3
	s_cbranch_execz .LBB314_81
; %bb.74:                               ;   in Loop: Header=BB314_9 Depth=1
	v_cmp_ne_u16_sdwa s3, v47, v34 src0_sel:BYTE_0 src1_sel:DWORD
	v_bfrev_b32_e32 v45, 1
	s_and_saveexec_b32 s31, s3
	s_cbranch_execz .LBB314_80
; %bb.75:                               ;   in Loop: Header=BB314_9 Depth=1
	v_and_b32_e32 v48, 0x7f, v47
	v_mov_b32_e32 v45, 0x7f800001
	s_mov_b32 s33, exec_lo
	v_cmpx_ne_u32_e32 0x7f, v48
	s_cbranch_execz .LBB314_79
; %bb.76:                               ;   in Loop: Header=BB314_9 Depth=1
	v_and_b32_e32 v1, 7, v47
	v_lshrrev_b32_e32 v45, 3, v48
	s_mov_b32 s34, exec_lo
	v_cmpx_gt_u32_e32 8, v48
; %bb.77:                               ;   in Loop: Header=BB314_9 Depth=1
	v_ffbh_u32_e32 v45, v1
	v_min_u32_e32 v45, 32, v45
	v_subrev_nc_u32_e32 v48, 28, v45
	v_sub_nc_u32_e32 v45, 29, v45
	v_lshlrev_b64 v[48:49], v48, v[1:2]
	v_and_b32_e32 v1, 7, v48
; %bb.78:                               ;   in Loop: Header=BB314_9 Depth=1
	s_or_b32 exec_lo, exec_lo, s34
	v_lshlrev_b32_e32 v48, 24, v47
	v_lshlrev_b32_e32 v1, 20, v1
	v_lshl_add_u32 v45, v45, 23, 0x3c000000
	v_and_b32_e32 v48, 0x80000000, v48
	v_or3_b32 v45, v1, v48, v45
.LBB314_79:                             ;   in Loop: Header=BB314_9 Depth=1
	s_or_b32 exec_lo, exec_lo, s33
.LBB314_80:                             ;   in Loop: Header=BB314_9 Depth=1
	s_or_b32 exec_lo, exec_lo, s31
.LBB314_81:                             ;   in Loop: Header=BB314_9 Depth=1
	s_or_b32 exec_lo, exec_lo, s4
	v_cmp_ne_u16_sdwa s3, v47, v2 src0_sel:BYTE_1 src1_sel:DWORD
	s_and_saveexec_b32 s4, s3
	s_cbranch_execz .LBB314_89
; %bb.82:                               ;   in Loop: Header=BB314_9 Depth=1
	v_cmp_ne_u16_sdwa s3, v47, v34 src0_sel:BYTE_1 src1_sel:DWORD
	v_bfrev_b32_e32 v46, 1
	s_and_saveexec_b32 s31, s3
	s_cbranch_execz .LBB314_88
; %bb.83:                               ;   in Loop: Header=BB314_9 Depth=1
	v_and_b32_sdwa v1, v35, v47 dst_sel:DWORD dst_unused:UNUSED_PAD src0_sel:DWORD src1_sel:BYTE_1
	v_mov_b32_e32 v46, 0x7f800001
	s_mov_b32 s33, exec_lo
	v_and_b32_e32 v48, 0x7f, v1
	v_cmpx_ne_u32_e32 0x7f, v48
	s_cbranch_execz .LBB314_87
; %bb.84:                               ;   in Loop: Header=BB314_9 Depth=1
	v_and_b32_e32 v1, 7, v1
	v_lshrrev_b32_e32 v46, 3, v48
	s_mov_b32 s34, exec_lo
	v_cmpx_gt_u32_e32 8, v48
; %bb.85:                               ;   in Loop: Header=BB314_9 Depth=1
	v_ffbh_u32_e32 v46, v1
	v_min_u32_e32 v46, 32, v46
	v_subrev_nc_u32_e32 v48, 28, v46
	v_sub_nc_u32_e32 v46, 29, v46
	v_lshlrev_b64 v[48:49], v48, v[1:2]
	v_and_b32_e32 v1, 7, v48
; %bb.86:                               ;   in Loop: Header=BB314_9 Depth=1
	s_or_b32 exec_lo, exec_lo, s34
	v_lshlrev_b32_e32 v47, 16, v47
	v_lshlrev_b32_e32 v1, 20, v1
	v_lshl_add_u32 v46, v46, 23, 0x3c000000
	v_and_b32_e32 v47, 0x80000000, v47
	v_or3_b32 v46, v1, v47, v46
.LBB314_87:                             ;   in Loop: Header=BB314_9 Depth=1
	s_or_b32 exec_lo, exec_lo, s33
.LBB314_88:                             ;   in Loop: Header=BB314_9 Depth=1
	s_or_b32 exec_lo, exec_lo, s31
.LBB314_89:                             ;   in Loop: Header=BB314_9 Depth=1
	s_or_b32 exec_lo, exec_lo, s4
	global_load_ushort v1, v[7:8], off offset:264
	v_mov_b32_e32 v48, 0
	v_mov_b32_e32 v47, 0
	s_waitcnt vmcnt(0)
	v_and_b32_e32 v49, 0xffff, v1
	v_cmp_ne_u16_sdwa s3, v1, v2 src0_sel:BYTE_0 src1_sel:DWORD
	s_and_saveexec_b32 s4, s3
	s_cbranch_execz .LBB314_97
; %bb.90:                               ;   in Loop: Header=BB314_9 Depth=1
	v_cmp_ne_u16_sdwa s3, v49, v34 src0_sel:BYTE_0 src1_sel:DWORD
	v_bfrev_b32_e32 v47, 1
	s_and_saveexec_b32 s31, s3
	s_cbranch_execz .LBB314_96
; %bb.91:                               ;   in Loop: Header=BB314_9 Depth=1
	v_and_b32_e32 v50, 0x7f, v49
	v_mov_b32_e32 v47, 0x7f800001
	s_mov_b32 s33, exec_lo
	v_cmpx_ne_u32_e32 0x7f, v50
	s_cbranch_execz .LBB314_95
; %bb.92:                               ;   in Loop: Header=BB314_9 Depth=1
	v_and_b32_e32 v1, 7, v49
	v_lshrrev_b32_e32 v47, 3, v50
	s_mov_b32 s34, exec_lo
	v_cmpx_gt_u32_e32 8, v50
; %bb.93:                               ;   in Loop: Header=BB314_9 Depth=1
	v_ffbh_u32_e32 v47, v1
	v_min_u32_e32 v47, 32, v47
	v_subrev_nc_u32_e32 v50, 28, v47
	v_sub_nc_u32_e32 v47, 29, v47
	v_lshlrev_b64 v[50:51], v50, v[1:2]
	v_and_b32_e32 v1, 7, v50
; %bb.94:                               ;   in Loop: Header=BB314_9 Depth=1
	s_or_b32 exec_lo, exec_lo, s34
	v_lshlrev_b32_e32 v50, 24, v49
	v_lshlrev_b32_e32 v1, 20, v1
	v_lshl_add_u32 v47, v47, 23, 0x3c000000
	v_and_b32_e32 v50, 0x80000000, v50
	v_or3_b32 v47, v1, v50, v47
.LBB314_95:                             ;   in Loop: Header=BB314_9 Depth=1
	s_or_b32 exec_lo, exec_lo, s33
.LBB314_96:                             ;   in Loop: Header=BB314_9 Depth=1
	s_or_b32 exec_lo, exec_lo, s31
.LBB314_97:                             ;   in Loop: Header=BB314_9 Depth=1
	s_or_b32 exec_lo, exec_lo, s4
	v_cmp_ne_u16_sdwa s3, v49, v2 src0_sel:BYTE_1 src1_sel:DWORD
	s_and_saveexec_b32 s4, s3
	s_cbranch_execz .LBB314_105
; %bb.98:                               ;   in Loop: Header=BB314_9 Depth=1
	v_cmp_ne_u16_sdwa s3, v49, v34 src0_sel:BYTE_1 src1_sel:DWORD
	v_bfrev_b32_e32 v48, 1
	s_and_saveexec_b32 s31, s3
	s_cbranch_execz .LBB314_104
; %bb.99:                               ;   in Loop: Header=BB314_9 Depth=1
	v_and_b32_sdwa v1, v35, v49 dst_sel:DWORD dst_unused:UNUSED_PAD src0_sel:DWORD src1_sel:BYTE_1
	v_mov_b32_e32 v48, 0x7f800001
	s_mov_b32 s33, exec_lo
	v_and_b32_e32 v50, 0x7f, v1
	v_cmpx_ne_u32_e32 0x7f, v50
	s_cbranch_execz .LBB314_103
; %bb.100:                              ;   in Loop: Header=BB314_9 Depth=1
	v_and_b32_e32 v1, 7, v1
	v_lshrrev_b32_e32 v48, 3, v50
	s_mov_b32 s34, exec_lo
	v_cmpx_gt_u32_e32 8, v50
; %bb.101:                              ;   in Loop: Header=BB314_9 Depth=1
	v_ffbh_u32_e32 v48, v1
	v_min_u32_e32 v48, 32, v48
	v_subrev_nc_u32_e32 v50, 28, v48
	v_sub_nc_u32_e32 v48, 29, v48
	v_lshlrev_b64 v[50:51], v50, v[1:2]
	v_and_b32_e32 v1, 7, v50
; %bb.102:                              ;   in Loop: Header=BB314_9 Depth=1
	s_or_b32 exec_lo, exec_lo, s34
	v_lshlrev_b32_e32 v49, 16, v49
	v_lshlrev_b32_e32 v1, 20, v1
	v_lshl_add_u32 v48, v48, 23, 0x3c000000
	v_and_b32_e32 v49, 0x80000000, v49
	v_or3_b32 v48, v1, v49, v48
.LBB314_103:                            ;   in Loop: Header=BB314_9 Depth=1
	s_or_b32 exec_lo, exec_lo, s33
.LBB314_104:                            ;   in Loop: Header=BB314_9 Depth=1
	s_or_b32 exec_lo, exec_lo, s31
.LBB314_105:                            ;   in Loop: Header=BB314_9 Depth=1
	s_or_b32 exec_lo, exec_lo, s4
	global_load_ushort v1, v[7:8], off offset:384
	v_mov_b32_e32 v50, 0
	v_mov_b32_e32 v49, 0
	s_waitcnt vmcnt(0)
	v_and_b32_e32 v51, 0xffff, v1
	v_cmp_ne_u16_sdwa s3, v1, v2 src0_sel:BYTE_0 src1_sel:DWORD
	s_and_saveexec_b32 s4, s3
	s_cbranch_execz .LBB314_113
; %bb.106:                              ;   in Loop: Header=BB314_9 Depth=1
	v_cmp_ne_u16_sdwa s3, v51, v34 src0_sel:BYTE_0 src1_sel:DWORD
	v_bfrev_b32_e32 v49, 1
	s_and_saveexec_b32 s31, s3
	s_cbranch_execz .LBB314_112
; %bb.107:                              ;   in Loop: Header=BB314_9 Depth=1
	v_and_b32_e32 v52, 0x7f, v51
	v_mov_b32_e32 v49, 0x7f800001
	s_mov_b32 s33, exec_lo
	v_cmpx_ne_u32_e32 0x7f, v52
	s_cbranch_execz .LBB314_111
; %bb.108:                              ;   in Loop: Header=BB314_9 Depth=1
	v_and_b32_e32 v1, 7, v51
	v_lshrrev_b32_e32 v49, 3, v52
	s_mov_b32 s34, exec_lo
	v_cmpx_gt_u32_e32 8, v52
; %bb.109:                              ;   in Loop: Header=BB314_9 Depth=1
	v_ffbh_u32_e32 v49, v1
	v_min_u32_e32 v49, 32, v49
	v_subrev_nc_u32_e32 v52, 28, v49
	v_sub_nc_u32_e32 v49, 29, v49
	v_lshlrev_b64 v[52:53], v52, v[1:2]
	v_and_b32_e32 v1, 7, v52
; %bb.110:                              ;   in Loop: Header=BB314_9 Depth=1
	s_or_b32 exec_lo, exec_lo, s34
	v_lshlrev_b32_e32 v52, 24, v51
	v_lshlrev_b32_e32 v1, 20, v1
	v_lshl_add_u32 v49, v49, 23, 0x3c000000
	v_and_b32_e32 v52, 0x80000000, v52
	v_or3_b32 v49, v1, v52, v49
.LBB314_111:                            ;   in Loop: Header=BB314_9 Depth=1
	s_or_b32 exec_lo, exec_lo, s33
.LBB314_112:                            ;   in Loop: Header=BB314_9 Depth=1
	s_or_b32 exec_lo, exec_lo, s31
.LBB314_113:                            ;   in Loop: Header=BB314_9 Depth=1
	s_or_b32 exec_lo, exec_lo, s4
	v_cmp_ne_u16_sdwa s3, v51, v2 src0_sel:BYTE_1 src1_sel:DWORD
	s_and_saveexec_b32 s4, s3
	s_cbranch_execz .LBB314_121
; %bb.114:                              ;   in Loop: Header=BB314_9 Depth=1
	v_cmp_ne_u16_sdwa s3, v51, v34 src0_sel:BYTE_1 src1_sel:DWORD
	v_bfrev_b32_e32 v50, 1
	s_and_saveexec_b32 s31, s3
	s_cbranch_execz .LBB314_120
; %bb.115:                              ;   in Loop: Header=BB314_9 Depth=1
	v_and_b32_sdwa v1, v35, v51 dst_sel:DWORD dst_unused:UNUSED_PAD src0_sel:DWORD src1_sel:BYTE_1
	v_mov_b32_e32 v50, 0x7f800001
	s_mov_b32 s33, exec_lo
	v_and_b32_e32 v52, 0x7f, v1
	v_cmpx_ne_u32_e32 0x7f, v52
	s_cbranch_execz .LBB314_119
; %bb.116:                              ;   in Loop: Header=BB314_9 Depth=1
	v_and_b32_e32 v1, 7, v1
	v_lshrrev_b32_e32 v50, 3, v52
	s_mov_b32 s34, exec_lo
	v_cmpx_gt_u32_e32 8, v52
; %bb.117:                              ;   in Loop: Header=BB314_9 Depth=1
	v_ffbh_u32_e32 v50, v1
	v_min_u32_e32 v50, 32, v50
	v_subrev_nc_u32_e32 v52, 28, v50
	v_sub_nc_u32_e32 v50, 29, v50
	v_lshlrev_b64 v[52:53], v52, v[1:2]
	v_and_b32_e32 v1, 7, v52
; %bb.118:                              ;   in Loop: Header=BB314_9 Depth=1
	s_or_b32 exec_lo, exec_lo, s34
	v_lshlrev_b32_e32 v51, 16, v51
	v_lshlrev_b32_e32 v1, 20, v1
	v_lshl_add_u32 v50, v50, 23, 0x3c000000
	v_and_b32_e32 v51, 0x80000000, v51
	v_or3_b32 v50, v1, v51, v50
.LBB314_119:                            ;   in Loop: Header=BB314_9 Depth=1
	s_or_b32 exec_lo, exec_lo, s33
.LBB314_120:                            ;   in Loop: Header=BB314_9 Depth=1
	s_or_b32 exec_lo, exec_lo, s31
.LBB314_121:                            ;   in Loop: Header=BB314_9 Depth=1
	s_or_b32 exec_lo, exec_lo, s4
	global_load_ushort v1, v[7:8], off offset:392
	v_mov_b32_e32 v7, 0
	v_mov_b32_e32 v51, 0
	s_waitcnt vmcnt(0)
	v_and_b32_e32 v8, 0xffff, v1
	v_cmp_ne_u16_sdwa s3, v1, v2 src0_sel:BYTE_0 src1_sel:DWORD
	s_and_saveexec_b32 s4, s3
	s_cbranch_execz .LBB314_129
; %bb.122:                              ;   in Loop: Header=BB314_9 Depth=1
	v_cmp_ne_u16_sdwa s3, v8, v34 src0_sel:BYTE_0 src1_sel:DWORD
	v_bfrev_b32_e32 v51, 1
	s_and_saveexec_b32 s31, s3
	s_cbranch_execz .LBB314_128
; %bb.123:                              ;   in Loop: Header=BB314_9 Depth=1
	v_and_b32_e32 v52, 0x7f, v8
	v_mov_b32_e32 v51, 0x7f800001
	s_mov_b32 s33, exec_lo
	v_cmpx_ne_u32_e32 0x7f, v52
	s_cbranch_execz .LBB314_127
; %bb.124:                              ;   in Loop: Header=BB314_9 Depth=1
	v_and_b32_e32 v1, 7, v8
	v_lshrrev_b32_e32 v51, 3, v52
	s_mov_b32 s34, exec_lo
	v_cmpx_gt_u32_e32 8, v52
; %bb.125:                              ;   in Loop: Header=BB314_9 Depth=1
	v_ffbh_u32_e32 v51, v1
	v_min_u32_e32 v51, 32, v51
	v_subrev_nc_u32_e32 v52, 28, v51
	v_sub_nc_u32_e32 v51, 29, v51
	v_lshlrev_b64 v[52:53], v52, v[1:2]
	v_and_b32_e32 v1, 7, v52
; %bb.126:                              ;   in Loop: Header=BB314_9 Depth=1
	s_or_b32 exec_lo, exec_lo, s34
	v_lshlrev_b32_e32 v52, 24, v8
	v_lshlrev_b32_e32 v1, 20, v1
	v_lshl_add_u32 v51, v51, 23, 0x3c000000
	v_and_b32_e32 v52, 0x80000000, v52
	v_or3_b32 v51, v1, v52, v51
.LBB314_127:                            ;   in Loop: Header=BB314_9 Depth=1
	s_or_b32 exec_lo, exec_lo, s33
.LBB314_128:                            ;   in Loop: Header=BB314_9 Depth=1
	s_or_b32 exec_lo, exec_lo, s31
.LBB314_129:                            ;   in Loop: Header=BB314_9 Depth=1
	s_or_b32 exec_lo, exec_lo, s4
	v_cmp_ne_u16_sdwa s3, v8, v2 src0_sel:BYTE_1 src1_sel:DWORD
	s_and_saveexec_b32 s4, s3
	s_cbranch_execz .LBB314_137
; %bb.130:                              ;   in Loop: Header=BB314_9 Depth=1
	v_cmp_ne_u16_sdwa s3, v8, v34 src0_sel:BYTE_1 src1_sel:DWORD
	v_bfrev_b32_e32 v7, 1
	s_and_saveexec_b32 s31, s3
	s_cbranch_execz .LBB314_136
; %bb.131:                              ;   in Loop: Header=BB314_9 Depth=1
	v_and_b32_sdwa v1, v35, v8 dst_sel:DWORD dst_unused:UNUSED_PAD src0_sel:DWORD src1_sel:BYTE_1
	v_mov_b32_e32 v7, 0x7f800001
	s_mov_b32 s33, exec_lo
	v_and_b32_e32 v52, 0x7f, v1
	v_cmpx_ne_u32_e32 0x7f, v52
	s_cbranch_execz .LBB314_135
; %bb.132:                              ;   in Loop: Header=BB314_9 Depth=1
	v_and_b32_e32 v1, 7, v1
	v_lshrrev_b32_e32 v7, 3, v52
	s_mov_b32 s34, exec_lo
	v_cmpx_gt_u32_e32 8, v52
; %bb.133:                              ;   in Loop: Header=BB314_9 Depth=1
	v_ffbh_u32_e32 v7, v1
	v_min_u32_e32 v7, 32, v7
	v_subrev_nc_u32_e32 v52, 28, v7
	v_sub_nc_u32_e32 v7, 29, v7
	v_lshlrev_b64 v[52:53], v52, v[1:2]
	v_and_b32_e32 v1, 7, v52
; %bb.134:                              ;   in Loop: Header=BB314_9 Depth=1
	s_or_b32 exec_lo, exec_lo, s34
	v_lshlrev_b32_e32 v8, 16, v8
	v_lshlrev_b32_e32 v1, 20, v1
	v_lshl_add_u32 v7, v7, 23, 0x3c000000
	v_and_b32_e32 v8, 0x80000000, v8
	v_or3_b32 v7, v1, v8, v7
.LBB314_135:                            ;   in Loop: Header=BB314_9 Depth=1
	s_or_b32 exec_lo, exec_lo, s33
.LBB314_136:                            ;   in Loop: Header=BB314_9 Depth=1
	s_or_b32 exec_lo, exec_lo, s31
.LBB314_137:                            ;   in Loop: Header=BB314_9 Depth=1
	s_or_b32 exec_lo, exec_lo, s4
	v_mul_f32_e32 v1, s5, v51
	v_mul_f32_e32 v8, s5, v50
	;; [unrolled: 1-line block ×5, first 2 shown]
	v_bfe_u32 v50, v1, 16, 1
	v_bfe_u32 v51, v8, 16, 1
	v_or_b32_e32 v52, 0x400000, v1
	v_cmp_u_f32_e64 s3, v1, v1
	v_or_b32_e32 v53, 0x400000, v8
	v_add3_u32 v50, v50, v1, 0x7fff
	v_add3_u32 v51, v51, v8, 0x7fff
	v_bfe_u32 v55, v48, 16, 1
	v_bfe_u32 v56, v46, 16, 1
	v_mul_f32_e32 v44, s5, v44
	v_cndmask_b32_e64 v1, v50, v52, s3
	v_cmp_u_f32_e64 s3, v8, v8
	v_bfe_u32 v52, v47, 16, 1
	v_mul_f32_e32 v40, s5, v40
	v_or_b32_e32 v59, 0x400000, v44
	v_mul_f32_e32 v39, s5, v39
	v_cndmask_b32_e64 v8, v51, v53, s3
	v_add3_u32 v53, v55, v48, 0x7fff
	v_add3_u32 v52, v52, v47, 0x7fff
	v_or_b32_e32 v55, 0x400000, v47
	v_cmp_u_f32_e64 s3, v47, v47
	v_bfe_u32 v62, v40, 16, 1
	v_mul_f32_e32 v38, s5, v38
	v_or_b32_e32 v64, 0x400000, v40
	v_bfe_u32 v65, v39, 16, 1
	v_cndmask_b32_e64 v47, v52, v55, s3
	v_add3_u32 v52, v56, v46, 0x7fff
	v_bfe_u32 v56, v44, 16, 1
	v_cmp_u_f32_e64 s3, v44, v44
	v_add3_u32 v62, v62, v40, 0x7fff
	v_mul_f32_e32 v37, s5, v37
	v_bfe_u32 v66, v38, 16, 1
	v_add3_u32 v56, v56, v44, 0x7fff
	v_mul_f32_e32 v41, s5, v41
	v_or_b32_e32 v67, 0x400000, v38
	v_mul_f32_e32 v43, s5, v43
	v_add3_u32 v66, v66, v38, 0x7fff
	v_cndmask_b32_e64 v44, v56, v59, s3
	v_cmp_u_f32_e64 s3, v40, v40
	v_mul_f32_e32 v42, s5, v42
	v_bfe_u32 v56, v41, 16, 1
	v_or_b32_e32 v68, 0x400000, v37
	v_bfe_u32 v60, v43, 16, 1
	v_cndmask_b32_e64 v40, v62, v64, s3
	v_add3_u32 v64, v65, v39, 0x7fff
	v_or_b32_e32 v65, 0x400000, v39
	v_cmp_u_f32_e64 s3, v39, v39
	v_bfe_u32 v62, v37, 16, 1
	v_bfe_u32 v61, v42, 16, 1
	v_add3_u32 v56, v56, v41, 0x7fff
	v_or_b32_e32 v63, 0x400000, v41
	v_cndmask_b32_e64 v39, v64, v65, s3
	v_cmp_u_f32_e64 s3, v38, v38
	v_add3_u32 v62, v62, v37, 0x7fff
	v_mul_f32_e32 v45, s5, v45
	v_add3_u32 v59, v60, v43, 0x7fff
	v_add3_u32 v60, v61, v42, 0x7fff
	v_cndmask_b32_e64 v38, v66, v67, s3
	v_cmp_u_f32_e64 s3, v37, v37
	v_or_b32_e32 v61, 0x400000, v42
	v_and_b32_e32 v39, 0xffff0000, v39
	v_bfe_u32 v57, v45, 16, 1
	v_and_b32_e32 v40, 0xffff0000, v40
	v_cndmask_b32_e64 v37, v62, v68, s3
	v_cmp_u_f32_e64 s3, v41, v41
	v_mul_f32_e32 v39, v14, v39
	v_mul_f32_e32 v49, s5, v49
	v_add3_u32 v57, v57, v45, 0x7fff
	v_and_b32_e32 v37, 0xffff0000, v37
	v_cndmask_b32_e64 v41, v56, v63, s3
	v_cmp_u_f32_e64 s3, v42, v42
	v_or_b32_e32 v56, 0x400000, v43
	v_or_b32_e32 v58, 0x400000, v45
	v_and_b32_e32 v38, 0xffff0000, v38
	v_mul_f32_e32 v40, v15, v40
	v_cndmask_b32_e64 v42, v60, v61, s3
	v_cmp_u_f32_e64 s3, v43, v43
	v_fmac_f32_e32 v39, v12, v37
	v_and_b32_e32 v37, 0xffff0000, v41
	v_bfe_u32 v54, v49, 16, 1
	v_or_b32_e32 v55, 0x400000, v46
	v_cndmask_b32_e64 v41, v59, v56, s3
	v_cmp_u_f32_e64 s3, v45, v45
	v_fmac_f32_e32 v40, v13, v38
	v_and_b32_e32 v38, 0xffff0000, v42
	v_add3_u32 v50, v54, v49, 0x7fff
	v_or_b32_e32 v54, 0x400000, v48
	v_cndmask_b32_e64 v42, v57, v58, s3
	v_cmp_u_f32_e64 s3, v46, v46
	v_fmac_f32_e32 v39, v16, v37
	v_fmac_f32_e32 v40, v17, v38
	v_and_b32_e32 v37, 0xffff0000, v41
	v_and_b32_e32 v38, 0xffff0000, v44
	v_cndmask_b32_e64 v41, v52, v55, s3
	v_mul_f32_e32 v7, s5, v7
	v_cmp_u_f32_e64 s3, v48, v48
	v_or_b32_e32 v51, 0x400000, v49
	v_fmac_f32_e32 v39, v18, v37
	v_fmac_f32_e32 v40, v19, v38
	v_and_b32_e32 v37, 0xffff0000, v42
	v_and_b32_e32 v38, 0xffff0000, v41
	v_cndmask_b32_e64 v41, v53, v54, s3
	v_bfe_u32 v42, v7, 16, 1
	v_cmp_u_f32_e64 s3, v49, v49
	v_fmac_f32_e32 v39, v20, v37
	v_fmac_f32_e32 v40, v22, v38
	v_and_b32_e32 v37, 0xffff0000, v47
	v_and_b32_e32 v38, 0xffff0000, v41
	v_cndmask_b32_e64 v41, v50, v51, s3
	v_add3_u32 v42, v42, v7, 0x7fff
	v_or_b32_e32 v43, 0x400000, v7
	v_cmp_u_f32_e64 s3, v7, v7
	v_fmac_f32_e32 v39, v23, v37
	v_fmac_f32_e32 v40, v24, v38
	v_and_b32_e32 v37, 0xffff0000, v41
	v_and_b32_e32 v8, 0xffff0000, v8
	v_cndmask_b32_e64 v7, v42, v43, s3
	v_and_b32_e32 v1, 0xffff0000, v1
	v_fmac_f32_e32 v39, v26, v37
	v_fmac_f32_e32 v40, v27, v8
	v_and_b32_e32 v7, 0xffff0000, v7
	v_fmac_f32_e32 v39, v28, v1
	v_fmac_f32_e32 v40, v29, v7
	v_add_f32_e32 v1, v39, v40
	ds_bpermute_b32 v7, v30, v1
	s_waitcnt lgkmcnt(0)
	v_add_f32_e32 v1, v1, v7
	ds_bpermute_b32 v7, v31, v1
	s_and_saveexec_b32 s4, vcc_lo
	s_cbranch_execz .LBB314_8
; %bb.138:                              ;   in Loop: Header=BB314_9 Depth=1
	v_add_nc_u32_e32 v8, s16, v32
	s_waitcnt lgkmcnt(0)
	v_add_f32_e32 v1, v1, v7
	v_cmp_gt_i32_e64 s3, s11, v32
	v_cvt_f32_i32_e32 v8, v8
	v_mul_f32_e32 v8, s28, v8
	v_cndmask_b32_e64 v7, 0, v8, s2
	v_max_f32_e32 v8, v25, v25
	v_fmac_f32_e32 v7, s29, v1
	v_max_f32_e32 v1, v8, v7
	v_cndmask_b32_e64 v7, 0, v7, s3
	v_cndmask_b32_e64 v25, v25, v1, s3
	ds_write_b32 v33, v7
	s_branch .LBB314_8
.LBB314_139:
	s_or_b32 exec_lo, exec_lo, s17
.LBB314_140:
	s_or_b32 exec_lo, exec_lo, s15
	v_xor_b32_e32 v1, 16, v10
	v_xor_b32_e32 v4, 8, v10
	v_max_f32_e32 v5, v25, v25
	v_xor_b32_e32 v6, 4, v10
	v_and_b32_e32 v22, 31, v0
	v_cmp_lt_i32_e32 vcc_lo, v1, v11
	v_cndmask_b32_e32 v1, v10, v1, vcc_lo
	v_cmp_lt_i32_e32 vcc_lo, v4, v11
	v_lshlrev_b32_e32 v3, 2, v1
	v_cndmask_b32_e32 v4, v10, v4, vcc_lo
	v_cmp_lt_i32_e32 vcc_lo, v6, v11
	ds_bpermute_b32 v1, v3, v25
	v_lshlrev_b32_e32 v4, 2, v4
	v_cndmask_b32_e32 v6, v10, v6, vcc_lo
	v_cmp_eq_u32_e32 vcc_lo, 0, v22
	s_waitcnt lgkmcnt(0)
	v_lshlrev_b32_e32 v7, 2, v6
	v_max_f32_e32 v1, v1, v1
	v_max_f32_e32 v1, v5, v1
	ds_bpermute_b32 v5, v4, v1
	s_waitcnt lgkmcnt(0)
	v_max_f32_e32 v5, v5, v5
	v_max_f32_e32 v1, v1, v5
	v_lshlrev_b32_e32 v5, 2, v21
	ds_bpermute_b32 v6, v7, v1
	s_and_saveexec_b32 s2, vcc_lo
	s_cbranch_execz .LBB314_142
; %bb.141:
	s_waitcnt lgkmcnt(0)
	v_max_f32_e32 v6, v6, v6
	v_max_f32_e32 v1, v1, v1
	;; [unrolled: 1-line block ×3, first 2 shown]
	ds_write_b32 v5, v1 offset:128
.LBB314_142:
	s_or_b32 exec_lo, exec_lo, s2
	v_cmp_gt_u32_e64 s2, 4, v22
	v_mov_b32_e32 v1, 0xff7fffff
	s_waitcnt lgkmcnt(0)
	v_lshlrev_b32_e32 v6, 2, v22
	s_barrier
	buffer_gl0_inv
	s_and_saveexec_b32 s3, s2
; %bb.143:
	ds_read_b32 v1, v6 offset:128
; %bb.144:
	s_or_b32 exec_lo, exec_lo, s3
	v_xor_b32_e32 v8, 2, v10
	v_xor_b32_e32 v13, 1, v10
	v_lshlrev_b32_e32 v2, 2, v2
	v_cmp_lt_i32_e64 s3, v8, v11
	v_cndmask_b32_e64 v8, v10, v8, s3
	v_cmp_lt_i32_e64 s3, v13, v11
	v_lshlrev_b32_e32 v8, 2, v8
	v_cndmask_b32_e64 v11, v10, v13, s3
	s_lshl_b32 s3, s12, 3
	s_min_i32 s5, s3, s11
	s_waitcnt lgkmcnt(0)
	ds_bpermute_b32 v12, v8, v1
	v_max_f32_e32 v1, v1, v1
	v_lshlrev_b32_e32 v11, 2, v11
	v_cmp_gt_i32_e64 s3, s5, v0
	s_waitcnt lgkmcnt(0)
	v_max_f32_e32 v12, v12, v12
	v_max_f32_e32 v1, v1, v12
	ds_bpermute_b32 v12, v11, v1
	s_waitcnt lgkmcnt(0)
	v_max_f32_e32 v12, v12, v12
	v_max_f32_e32 v1, v1, v12
	ds_bpermute_b32 v12, v2, v1
	v_mov_b32_e32 v2, 0
	v_lshl_add_u32 v1, v0, 2, 0xa0
	s_and_saveexec_b32 s15, s3
	s_cbranch_execz .LBB314_148
; %bb.145:
	v_lshl_add_u32 v13, v0, 2, 0xa0
	v_mov_b32_e32 v2, 0
	v_mov_b32_e32 v14, v0
	s_mov_b32 s16, 0
	.p2align	6
.LBB314_146:                            ; =>This Inner Loop Header: Depth=1
	ds_read_b32 v15, v13
	v_add_nc_u32_e32 v14, 0x80, v14
	v_cmp_le_i32_e64 s4, s5, v14
	s_or_b32 s16, s4, s16
	s_waitcnt lgkmcnt(0)
	v_sub_f32_e32 v15, v15, v12
	v_mul_f32_e32 v15, 0x3fb8aa3b, v15
	v_exp_f32_e32 v15, v15
	ds_write_b32 v13, v15
	v_add_f32_e32 v2, v2, v15
	v_add_nc_u32_e32 v13, 0x200, v13
	s_andn2_b32 exec_lo, exec_lo, s16
	s_cbranch_execnz .LBB314_146
; %bb.147:
	s_or_b32 exec_lo, exec_lo, s16
.LBB314_148:
	s_or_b32 exec_lo, exec_lo, s15
	ds_bpermute_b32 v3, v3, v2
	s_waitcnt lgkmcnt(0)
	v_add_f32_e32 v2, v2, v3
	ds_bpermute_b32 v3, v4, v2
	s_waitcnt lgkmcnt(0)
	v_add_f32_e32 v2, v2, v3
	;; [unrolled: 3-line block ×5, first 2 shown]
	s_and_saveexec_b32 s4, vcc_lo
; %bb.149:
	ds_write_b32 v5, v2 offset:144
; %bb.150:
	s_or_b32 exec_lo, exec_lo, s4
	s_waitcnt lgkmcnt(0)
	s_barrier
	buffer_gl0_inv
	s_and_saveexec_b32 s4, s2
; %bb.151:
	ds_read_b32 v2, v6 offset:144
; %bb.152:
	s_or_b32 exec_lo, exec_lo, s4
	s_waitcnt lgkmcnt(0)
	ds_bpermute_b32 v3, v8, v2
	v_lshlrev_b32_e32 v4, 2, v10
	s_waitcnt lgkmcnt(0)
	v_add_f32_e32 v2, v2, v3
	ds_bpermute_b32 v3, v11, v2
	s_waitcnt lgkmcnt(0)
	v_add_f32_e32 v2, v2, v3
	v_and_b32_e32 v3, 0xffffff80, v4
	ds_bpermute_b32 v2, v3, v2
	s_and_saveexec_b32 s2, s3
	s_cbranch_execz .LBB314_155
; %bb.153:
	s_waitcnt lgkmcnt(0)
	v_add_f32_e32 v2, 0x358637bd, v2
	s_mov_b32 s3, 0
	v_div_scale_f32 v3, null, v2, v2, 1.0
	v_div_scale_f32 v6, vcc_lo, 1.0, v2, 1.0
	v_rcp_f32_e32 v4, v3
	v_fma_f32 v5, -v3, v4, 1.0
	v_fmac_f32_e32 v4, v5, v4
	v_mul_f32_e32 v5, v6, v4
	v_fma_f32 v7, -v3, v5, v6
	v_fmac_f32_e32 v5, v7, v4
	v_fma_f32 v3, -v3, v5, v6
	v_div_fmas_f32 v3, v3, v4, v5
	v_div_fixup_f32 v2, v3, v2, 1.0
	v_mov_b32_e32 v3, v0
.LBB314_154:                            ; =>This Inner Loop Header: Depth=1
	ds_read_b32 v4, v1
	v_add_nc_u32_e32 v3, 0x80, v3
	v_cmp_le_i32_e32 vcc_lo, s5, v3
	s_or_b32 s3, vcc_lo, s3
	s_waitcnt lgkmcnt(0)
	v_mul_f32_e32 v4, v2, v4
	ds_write_b32 v1, v4
	v_add_nc_u32_e32 v1, 0x200, v1
	s_andn2_b32 exec_lo, exec_lo, s3
	s_cbranch_execnz .LBB314_154
.LBB314_155:
	s_or_b32 exec_lo, exec_lo, s2
	v_mov_b32_e32 v23, 0
	v_mov_b32_e32 v24, 0
	s_waitcnt lgkmcnt(0)
	s_barrier
	buffer_gl0_inv
	s_and_saveexec_b32 s4, s1
	s_cbranch_execz .LBB314_283
; %bb.156:
	s_mov_b32 s5, s13
	s_load_dword s13, s[18:19], 0x0
	v_lshlrev_b32_e32 v1, 3, v22
	s_ashr_i32 s1, s14, 31
	s_add_u32 s2, s26, s14
	s_addc_u32 s1, s27, s1
	s_add_i32 s14, s12, -1
	v_add_co_u32 v11, s2, s2, v1
	v_and_b32_e32 v1, 0x7c, v9
	v_add_co_ci_u32_e64 v12, null, s1, 0, s2
	s_lshl_b64 s[2:3], s[24:25], 2
	v_mov_b32_e32 v10, 0
	s_add_u32 s1, s22, s2
	s_addc_u32 s2, s23, s3
	v_add_co_u32 v13, s1, s1, v1
	v_lshl_or_b32 v25, v21, 3, 7
	v_lshl_add_u32 v26, v21, 5, 0xa0
	v_add_co_ci_u32_e64 v14, null, s2, 0, s1
	v_mov_b32_e32 v27, 0x80
	v_mov_b32_e32 v28, 0xffff
	;; [unrolled: 1-line block ×8, first 2 shown]
	s_mov_b32 s2, -1
	s_mov_b32 s3, 0xffffff
	s_mov_b32 s15, 0
	s_branch .LBB314_158
.LBB314_157:                            ;   in Loop: Header=BB314_158 Depth=1
	s_or_b32 exec_lo, exec_lo, s1
	v_bfe_u32 v38, v5, 16, 1
	v_or_b32_e32 v40, 0x400000, v5
	v_bfe_u32 v41, v6, 16, 1
	v_cmp_u_f32_e32 vcc_lo, v5, v5
	v_bfe_u32 v42, v7, 16, 1
	v_add3_u32 v38, v38, v5, 0x7fff
	v_or_b32_e32 v43, 0x400000, v6
	v_add3_u32 v41, v41, v6, 0x7fff
	v_or_b32_e32 v44, 0x400000, v7
	v_add3_u32 v42, v42, v7, 0x7fff
	v_cndmask_b32_e32 v5, v38, v40, vcc_lo
	v_cmp_u_f32_e32 vcc_lo, v6, v6
	v_bfe_u32 v38, v8, 16, 1
	v_bfe_u32 v40, v1, 16, 1
	v_lshlrev_b32_e32 v39, 16, v39
	v_and_b32_e32 v5, 0xffff0000, v5
	v_cndmask_b32_e32 v6, v41, v43, vcc_lo
	v_cmp_u_f32_e32 vcc_lo, v7, v7
	v_add3_u32 v38, v38, v8, 0x7fff
	v_or_b32_e32 v41, 0x400000, v8
	v_add3_u32 v40, v40, v1, 0x7fff
	v_bfe_u32 v43, v2, 16, 1
	v_cndmask_b32_e32 v7, v42, v44, vcc_lo
	v_cmp_u_f32_e32 vcc_lo, v8, v8
	v_or_b32_e32 v42, 0x400000, v1
	v_mul_f32_e32 v39, v5, v39
	v_and_b32_e32 v6, 0xffff0000, v6
	v_lshlrev_b32_e32 v37, 16, v37
	v_cndmask_b32_e32 v8, v38, v41, vcc_lo
	v_cmp_u_f32_e32 vcc_lo, v1, v1
	v_add3_u32 v38, v43, v2, 0x7fff
	v_bfe_u32 v41, v3, 16, 1
	v_mul_f32_e32 v37, v6, v37
	v_and_b32_e32 v7, 0xffff0000, v7
	v_cndmask_b32_e32 v1, v40, v42, vcc_lo
	v_or_b32_e32 v40, 0x400000, v2
	v_cmp_u_f32_e32 vcc_lo, v2, v2
	v_lshlrev_b32_e32 v36, 16, v36
	v_and_b32_e32 v8, 0xffff0000, v8
	v_lshlrev_b32_e32 v34, 16, v34
	v_and_b32_e32 v1, 0xffff0000, v1
	v_cndmask_b32_e32 v2, v38, v40, vcc_lo
	v_add3_u32 v38, v41, v3, 0x7fff
	v_or_b32_e32 v40, 0x400000, v3
	v_bfe_u32 v41, v4, 16, 1
	v_cmp_u_f32_e32 vcc_lo, v3, v3
	v_mul_f32_e32 v36, v7, v36
	v_mul_f32_e32 v34, v8, v34
	v_lshlrev_b32_e32 v20, 16, v20
	v_and_b32_e32 v2, 0xffff0000, v2
	v_cndmask_b32_e32 v3, v38, v40, vcc_lo
	v_add3_u32 v38, v41, v4, 0x7fff
	v_or_b32_e32 v40, 0x400000, v4
	v_bfe_u32 v41, v39, 16, 1
	v_cmp_u_f32_e32 vcc_lo, v4, v4
	v_or_b32_e32 v42, 0x400000, v36
	v_bfe_u32 v43, v34, 16, 1
	v_mul_f32_e32 v20, v1, v20
	v_lshlrev_b32_e32 v19, 16, v19
	v_cndmask_b32_e32 v4, v38, v40, vcc_lo
	v_add3_u32 v38, v41, v39, 0x7fff
	v_or_b32_e32 v40, 0x400000, v39
	v_bfe_u32 v41, v37, 16, 1
	v_cmp_u_f32_e32 vcc_lo, v39, v39
	v_mul_f32_e32 v19, v2, v19
	v_and_b32_e32 v3, 0xffff0000, v3
	v_lshlrev_b32_e32 v35, 16, v35
	v_add3_u32 v39, v41, v37, 0x7fff
	v_cndmask_b32_e32 v38, v38, v40, vcc_lo
	v_bfe_u32 v40, v36, 16, 1
	v_or_b32_e32 v41, 0x400000, v37
	v_cmp_u_f32_e32 vcc_lo, v37, v37
	v_mul_f32_e32 v35, v3, v35
	v_and_b32_e32 v4, 0xffff0000, v4
	v_add3_u32 v40, v40, v36, 0x7fff
	v_lshlrev_b32_e32 v33, 16, v33
	v_cndmask_b32_e32 v37, v39, v41, vcc_lo
	v_cmp_u_f32_e32 vcc_lo, v36, v36
	v_add3_u32 v39, v43, v34, 0x7fff
	v_or_b32_e32 v41, 0x400000, v34
	v_mul_f32_e32 v33, v4, v33
	v_and_b32_e32 v37, 0xffff0000, v37
	v_cndmask_b32_e32 v36, v40, v42, vcc_lo
	v_bfe_u32 v40, v20, 16, 1
	v_cmp_u_f32_e32 vcc_lo, v34, v34
	v_or_b32_e32 v42, 0x400000, v20
	v_and_b32_e32 v38, 0xffff0000, v38
	v_and_b32_e32 v36, 0xffff0000, v36
	v_add3_u32 v40, v40, v20, 0x7fff
	v_cndmask_b32_e32 v34, v39, v41, vcc_lo
	v_bfe_u32 v39, v19, 16, 1
	v_cmp_u_f32_e32 vcc_lo, v20, v20
	v_or_b32_e32 v41, 0x400000, v19
	v_add_f32_e32 v37, v38, v37
	v_and_b32_e32 v34, 0xffff0000, v34
	v_add3_u32 v39, v39, v19, 0x7fff
	v_cndmask_b32_e32 v20, v40, v42, vcc_lo
	v_cmp_u_f32_e32 vcc_lo, v19, v19
	v_bfe_u32 v40, v35, 16, 1
	v_or_b32_e32 v42, 0x400000, v35
	v_add_f32_e32 v34, v36, v34
	v_and_b32_e32 v20, 0xffff0000, v20
	v_cndmask_b32_e32 v19, v39, v41, vcc_lo
	v_lshlrev_b32_e32 v41, 16, v48
	v_add3_u32 v40, v40, v35, 0x7fff
	v_cmp_u_f32_e32 vcc_lo, v35, v35
	v_bfe_u32 v39, v33, 16, 1
	v_and_b32_e32 v19, 0xffff0000, v19
	v_mul_f32_e32 v5, v5, v41
	v_lshlrev_b32_e32 v36, 16, v47
	v_cndmask_b32_e32 v35, v40, v42, vcc_lo
	v_add3_u32 v39, v39, v33, 0x7fff
	v_or_b32_e32 v40, 0x400000, v33
	v_cmp_u_f32_e32 vcc_lo, v33, v33
	v_add_f32_e32 v34, v34, v37
	v_bfe_u32 v37, v5, 16, 1
	v_add_f32_e32 v19, v20, v19
	v_mul_f32_e32 v6, v6, v36
	v_lshlrev_b32_e32 v20, 16, v46
	v_cndmask_b32_e32 v33, v39, v40, vcc_lo
	v_add3_u32 v36, v37, v5, 0x7fff
	v_or_b32_e32 v37, 0x400000, v5
	v_bfe_u32 v38, v6, 16, 1
	v_mul_f32_e32 v7, v7, v20
	v_lshlrev_b32_e32 v16, 16, v16
	v_cmp_u_f32_e32 vcc_lo, v5, v5
	v_lshlrev_b32_e32 v15, 16, v15
	v_add3_u32 v20, v38, v6, 0x7fff
	v_lshlrev_b32_e32 v9, 16, v9
	v_mul_f32_e32 v8, v8, v16
	v_cndmask_b32_e32 v5, v36, v37, vcc_lo
	v_or_b32_e32 v36, 0x400000, v6
	v_bfe_u32 v37, v7, 16, 1
	v_cmp_u_f32_e32 vcc_lo, v6, v6
	v_mul_f32_e32 v1, v1, v15
	v_mul_f32_e32 v2, v2, v9
	v_lshlrev_b32_e32 v9, 16, v18
	v_add3_u32 v16, v37, v7, 0x7fff
	v_cndmask_b32_e32 v6, v20, v36, vcc_lo
	v_or_b32_e32 v20, 0x400000, v7
	v_bfe_u32 v36, v8, 16, 1
	v_cmp_u_f32_e32 vcc_lo, v7, v7
	v_lshlrev_b32_e32 v17, 16, v17
	v_mul_f32_e32 v3, v3, v9
	v_or_b32_e32 v9, 0x400000, v1
	v_add3_u32 v15, v36, v8, 0x7fff
	v_cndmask_b32_e32 v7, v16, v20, vcc_lo
	v_or_b32_e32 v16, 0x400000, v8
	v_bfe_u32 v20, v1, 16, 1
	v_cmp_u_f32_e32 vcc_lo, v8, v8
	v_mul_f32_e32 v4, v4, v17
	v_or_b32_e32 v17, 0x400000, v2
	v_bfe_u32 v18, v3, 16, 1
	v_and_b32_e32 v6, 0xffff0000, v6
	v_cndmask_b32_e32 v8, v15, v16, vcc_lo
	v_bfe_u32 v15, v2, 16, 1
	v_add3_u32 v16, v20, v1, 0x7fff
	v_cmp_u_f32_e32 vcc_lo, v1, v1
	v_bfe_u32 v20, v4, 16, 1
	v_and_b32_e32 v5, 0xffff0000, v5
	v_add3_u32 v15, v15, v2, 0x7fff
	v_and_b32_e32 v8, 0xffff0000, v8
	v_cndmask_b32_e32 v1, v16, v9, vcc_lo
	v_cmp_u_f32_e32 vcc_lo, v2, v2
	v_or_b32_e32 v16, 0x400000, v4
	v_add3_u32 v9, v18, v3, 0x7fff
	v_and_b32_e32 v7, 0xffff0000, v7
	v_add_f32_e32 v5, v5, v6
	v_cndmask_b32_e32 v2, v15, v17, vcc_lo
	v_add3_u32 v15, v20, v4, 0x7fff
	v_cmp_u_f32_e32 vcc_lo, v4, v4
	v_or_b32_e32 v17, 0x400000, v3
	v_add_f32_e32 v6, v7, v8
	v_and_b32_e32 v2, 0xffff0000, v2
	v_and_b32_e32 v1, 0xffff0000, v1
	v_cndmask_b32_e32 v4, v15, v16, vcc_lo
	v_cmp_u_f32_e32 vcc_lo, v3, v3
	v_and_b32_e32 v33, 0xffff0000, v33
	v_and_b32_e32 v7, 0xffff0000, v35
	v_add_f32_e32 v5, v6, v5
	v_add_f32_e32 v1, v1, v2
	v_cndmask_b32_e32 v3, v9, v17, vcc_lo
	v_and_b32_e32 v2, 0xffff0000, v4
	v_add_f32_e32 v4, v19, v34
	v_add_f32_e32 v6, v7, v33
	v_add_f32_e32 v1, v1, v5
	v_and_b32_e32 v3, 0xffff0000, v3
	v_add_nc_u32_e32 v32, 4, v32
	v_add_co_u32 v13, s1, v13, 16
	v_add_nc_u32_e32 v25, 32, v25
	v_add_f32_e32 v2, v3, v2
	v_add_f32_e32 v3, v6, v4
	v_cmp_le_i32_e32 vcc_lo, s12, v32
	v_add_nc_u32_e32 v26, 0x80, v26
	v_add_co_ci_u32_e64 v14, null, 0, v14, s1
	v_add_f32_e32 v1, v2, v1
	v_add_f32_e32 v24, v24, v3
	s_or_b32 s15, vcc_lo, s15
	v_add_f32_e32 v23, v23, v1
	s_andn2_b32 exec_lo, exec_lo, s15
	s_cbranch_execz .LBB314_282
.LBB314_158:                            ; =>This Inner Loop Header: Depth=1
	global_load_dword v1, v[13:14], off
	v_mov_b32_e32 v33, 0
	s_waitcnt vmcnt(0)
	v_mad_i64_i32 v[15:16], null, v1, s5, v[11:12]
	global_load_dwordx2 v[17:18], v[15:16], off
	ds_read2_b64 v[5:8], v26 offset1:1
	ds_read2_b64 v[1:4], v26 offset0:2 offset1:3
	s_waitcnt vmcnt(0)
	v_cmp_ne_u16_sdwa s16, v17, v10 src0_sel:BYTE_0 src1_sel:DWORD
	s_and_saveexec_b32 s1, s16
	s_cbranch_execz .LBB314_164
; %bb.159:                              ;   in Loop: Header=BB314_158 Depth=1
	v_cmp_ne_u16_sdwa s17, v17, v27 src0_sel:BYTE_0 src1_sel:DWORD
	v_bfrev_b32_e32 v33, 1
	s_and_saveexec_b32 s16, s17
	s_cbranch_execz .LBB314_163
; %bb.160:                              ;   in Loop: Header=BB314_158 Depth=1
	v_and_b32_e32 v9, 0x7f, v17
	v_mov_b32_e32 v33, 0x7f800001
	s_mov_b32 s17, exec_lo
	v_cmpx_ne_u32_e32 0x7f, v9
	s_cbranch_execz .LBB314_162
; %bb.161:                              ;   in Loop: Header=BB314_158 Depth=1
	v_and_b32_e32 v19, 7, v17
	v_lshrrev_b32_e32 v20, 3, v9
	v_cmp_gt_u32_e32 vcc_lo, 8, v9
	v_ffbh_u32_e32 v19, v19
	v_min_u32_e32 v19, 32, v19
	v_subrev_nc_u32_e32 v33, 28, v19
	v_sub_nc_u32_e32 v19, 29, v19
	v_cndmask_b32_e32 v9, v20, v19, vcc_lo
	v_cndmask_b32_e32 v19, 0, v33, vcc_lo
	v_lshl_add_u32 v9, v9, 23, 0x3c000000
	v_lshlrev_b64 v[19:20], v19, v[17:18]
	v_lshlrev_b32_e32 v20, 24, v17
	v_lshlrev_b32_e32 v19, 20, v19
	v_and_b32_e32 v20, 0x80000000, v20
	v_and_b32_e32 v19, 0x700000, v19
	v_or3_b32 v33, v19, v20, v9
.LBB314_162:                            ;   in Loop: Header=BB314_158 Depth=1
	s_or_b32 exec_lo, exec_lo, s17
.LBB314_163:                            ;   in Loop: Header=BB314_158 Depth=1
	s_or_b32 exec_lo, exec_lo, s16
.LBB314_164:                            ;   in Loop: Header=BB314_158 Depth=1
	s_or_b32 exec_lo, exec_lo, s1
	v_cmp_ne_u16_sdwa s16, v17, v10 src0_sel:BYTE_1 src1_sel:DWORD
	v_mov_b32_e32 v35, 0
	v_mov_b32_e32 v34, 0
	s_and_saveexec_b32 s1, s16
	s_cbranch_execz .LBB314_172
; %bb.165:                              ;   in Loop: Header=BB314_158 Depth=1
	v_cmp_ne_u16_sdwa s17, v17, v27 src0_sel:BYTE_1 src1_sel:DWORD
	v_bfrev_b32_e32 v34, 1
	s_and_saveexec_b32 s16, s17
	s_cbranch_execz .LBB314_171
; %bb.166:                              ;   in Loop: Header=BB314_158 Depth=1
	v_and_b32_sdwa v9, v28, v17 dst_sel:DWORD dst_unused:UNUSED_PAD src0_sel:DWORD src1_sel:BYTE_1
	v_mov_b32_e32 v34, 0x7f800001
	s_mov_b32 s17, exec_lo
	v_and_b32_e32 v20, 0x7f, v9
	v_cmpx_ne_u32_e32 0x7f, v20
	s_cbranch_execz .LBB314_170
; %bb.167:                              ;   in Loop: Header=BB314_158 Depth=1
	v_and_b32_e32 v9, 7, v9
	v_lshrrev_b32_e32 v19, 3, v20
	s_mov_b32 s18, exec_lo
	v_cmpx_gt_u32_e32 8, v20
; %bb.168:                              ;   in Loop: Header=BB314_158 Depth=1
	v_ffbh_u32_e32 v19, v9
	v_min_u32_e32 v19, 32, v19
	v_subrev_nc_u32_e32 v20, 28, v19
	v_sub_nc_u32_e32 v19, 29, v19
	v_lshlrev_b64 v[36:37], v20, v[9:10]
	v_and_b32_e32 v9, 7, v36
; %bb.169:                              ;   in Loop: Header=BB314_158 Depth=1
	s_or_b32 exec_lo, exec_lo, s18
	v_lshlrev_b32_e32 v20, 16, v17
	v_lshlrev_b32_e32 v9, 20, v9
	v_lshl_add_u32 v19, v19, 23, 0x3c000000
	v_and_b32_e32 v20, 0x80000000, v20
	v_or3_b32 v34, v9, v20, v19
.LBB314_170:                            ;   in Loop: Header=BB314_158 Depth=1
	s_or_b32 exec_lo, exec_lo, s17
.LBB314_171:                            ;   in Loop: Header=BB314_158 Depth=1
	s_or_b32 exec_lo, exec_lo, s16
.LBB314_172:                            ;   in Loop: Header=BB314_158 Depth=1
	s_or_b32 exec_lo, exec_lo, s1
	v_and_b32_sdwa v9, v17, v29 dst_sel:DWORD dst_unused:UNUSED_PAD src0_sel:WORD_1 src1_sel:DWORD
	s_mov_b32 s1, exec_lo
	v_cmpx_ne_u16_e32 0, v9
	s_cbranch_execz .LBB314_180
; %bb.173:                              ;   in Loop: Header=BB314_158 Depth=1
	v_bfrev_b32_e32 v35, 1
	s_mov_b32 s16, exec_lo
	v_cmpx_ne_u16_e32 0x80, v9
	s_cbranch_execz .LBB314_179
; %bb.174:                              ;   in Loop: Header=BB314_158 Depth=1
	v_bfe_u32 v20, v17, 16, 7
	v_mov_b32_e32 v35, 0x7f800001
	s_mov_b32 s17, exec_lo
	v_cmpx_ne_u32_e32 0x7f, v20
	s_cbranch_execz .LBB314_178
; %bb.175:                              ;   in Loop: Header=BB314_158 Depth=1
	v_and_b32_sdwa v9, v17, v30 dst_sel:DWORD dst_unused:UNUSED_PAD src0_sel:WORD_1 src1_sel:DWORD
	v_lshrrev_b32_e32 v19, 3, v20
	s_mov_b32 s18, exec_lo
	v_cmpx_gt_u32_e32 8, v20
; %bb.176:                              ;   in Loop: Header=BB314_158 Depth=1
	v_ffbh_u32_e32 v19, v9
	v_min_u32_e32 v19, 32, v19
	v_subrev_nc_u32_e32 v20, 28, v19
	v_sub_nc_u32_e32 v19, 29, v19
	v_lshlrev_b64 v[35:36], v20, v[9:10]
	v_and_b32_e32 v9, 7, v35
; %bb.177:                              ;   in Loop: Header=BB314_158 Depth=1
	s_or_b32 exec_lo, exec_lo, s18
	v_lshlrev_b32_sdwa v20, v31, v17 dst_sel:DWORD dst_unused:UNUSED_PAD src0_sel:DWORD src1_sel:WORD_1
	v_lshlrev_b32_e32 v9, 20, v9
	v_lshl_add_u32 v19, v19, 23, 0x3c000000
	v_and_b32_e32 v20, 0x80000000, v20
	v_or3_b32 v35, v9, v20, v19
.LBB314_178:                            ;   in Loop: Header=BB314_158 Depth=1
	s_or_b32 exec_lo, exec_lo, s17
.LBB314_179:                            ;   in Loop: Header=BB314_158 Depth=1
	s_or_b32 exec_lo, exec_lo, s16
.LBB314_180:                            ;   in Loop: Header=BB314_158 Depth=1
	s_or_b32 exec_lo, exec_lo, s1
	v_mov_b32_e32 v36, 0
	v_mov_b32_e32 v37, 0
	s_mov_b32 s1, exec_lo
	v_cmpx_lt_u32_e32 0xffffff, v17
	s_cbranch_execz .LBB314_188
; %bb.181:                              ;   in Loop: Header=BB314_158 Depth=1
	v_cmp_ne_u32_sdwa s17, v17, v27 src0_sel:BYTE_3 src1_sel:DWORD
	v_bfrev_b32_e32 v37, 1
	s_and_saveexec_b32 s16, s17
	s_cbranch_execz .LBB314_187
; %bb.182:                              ;   in Loop: Header=BB314_158 Depth=1
	v_bfe_u32 v20, v17, 24, 7
	v_mov_b32_e32 v37, 0x7f800001
	s_mov_b32 s17, exec_lo
	v_cmpx_ne_u32_e32 0x7f, v20
	s_cbranch_execz .LBB314_186
; %bb.183:                              ;   in Loop: Header=BB314_158 Depth=1
	v_and_b32_sdwa v9, v17, v30 dst_sel:DWORD dst_unused:UNUSED_PAD src0_sel:BYTE_3 src1_sel:DWORD
	v_lshrrev_b32_e32 v19, 3, v20
	s_mov_b32 s18, exec_lo
	v_cmpx_gt_u32_e32 8, v20
; %bb.184:                              ;   in Loop: Header=BB314_158 Depth=1
	v_ffbh_u32_e32 v19, v9
	v_min_u32_e32 v19, 32, v19
	v_subrev_nc_u32_e32 v20, 28, v19
	v_sub_nc_u32_e32 v19, 29, v19
	v_lshlrev_b64 v[37:38], v20, v[9:10]
	v_and_b32_e32 v9, 7, v37
; %bb.185:                              ;   in Loop: Header=BB314_158 Depth=1
	s_or_b32 exec_lo, exec_lo, s18
	v_lshlrev_b32_sdwa v20, v31, v17 dst_sel:DWORD dst_unused:UNUSED_PAD src0_sel:DWORD src1_sel:BYTE_3
	v_lshlrev_b32_e32 v9, 20, v9
	v_lshl_add_u32 v19, v19, 23, 0x3c000000
	v_and_b32_e32 v20, 0x80000000, v20
	v_or3_b32 v37, v9, v20, v19
.LBB314_186:                            ;   in Loop: Header=BB314_158 Depth=1
	s_or_b32 exec_lo, exec_lo, s17
.LBB314_187:                            ;   in Loop: Header=BB314_158 Depth=1
	s_or_b32 exec_lo, exec_lo, s16
.LBB314_188:                            ;   in Loop: Header=BB314_158 Depth=1
	s_or_b32 exec_lo, exec_lo, s1
	v_mov_b32_e32 v9, v18
	v_cmp_ne_u16_sdwa s16, v18, v10 src0_sel:BYTE_0 src1_sel:DWORD
	s_and_saveexec_b32 s1, s16
	s_cbranch_execz .LBB314_194
; %bb.189:                              ;   in Loop: Header=BB314_158 Depth=1
	v_cmp_ne_u16_sdwa s17, v18, v27 src0_sel:BYTE_0 src1_sel:DWORD
	v_bfrev_b32_e32 v36, 1
	s_and_saveexec_b32 s16, s17
	s_cbranch_execz .LBB314_193
; %bb.190:                              ;   in Loop: Header=BB314_158 Depth=1
	v_and_b32_e32 v19, 0x7f, v18
	v_mov_b32_e32 v36, 0x7f800001
	s_mov_b32 s17, exec_lo
	v_cmpx_ne_u32_e32 0x7f, v19
	s_cbranch_execz .LBB314_192
; %bb.191:                              ;   in Loop: Header=BB314_158 Depth=1
	v_and_b32_e32 v20, 7, v18
	v_cmp_gt_u32_e32 vcc_lo, 8, v19
	v_lshrrev_b32_e32 v36, 3, v19
	v_ffbh_u32_e32 v20, v20
	v_min_u32_e32 v20, 32, v20
	v_subrev_nc_u32_e32 v38, 28, v20
	v_sub_nc_u32_e32 v20, 29, v20
	v_cndmask_b32_e32 v19, 0, v38, vcc_lo
	v_cndmask_b32_e32 v36, v36, v20, vcc_lo
	v_lshlrev_b64 v[19:20], v19, v[9:10]
	v_lshlrev_b32_e32 v20, 24, v9
	v_lshl_add_u32 v36, v36, 23, 0x3c000000
	v_lshlrev_b32_e32 v19, 20, v19
	v_and_b32_e32 v20, 0x80000000, v20
	v_and_b32_e32 v19, 0x700000, v19
	v_or3_b32 v36, v19, v20, v36
.LBB314_192:                            ;   in Loop: Header=BB314_158 Depth=1
	s_or_b32 exec_lo, exec_lo, s17
.LBB314_193:                            ;   in Loop: Header=BB314_158 Depth=1
	s_or_b32 exec_lo, exec_lo, s16
.LBB314_194:                            ;   in Loop: Header=BB314_158 Depth=1
	s_or_b32 exec_lo, exec_lo, s1
	v_cmp_ne_u16_sdwa s16, v9, v10 src0_sel:BYTE_1 src1_sel:DWORD
	v_mov_b32_e32 v39, 0
	v_mov_b32_e32 v19, 0
	s_and_saveexec_b32 s1, s16
	s_cbranch_execz .LBB314_202
; %bb.195:                              ;   in Loop: Header=BB314_158 Depth=1
	v_cmp_ne_u16_sdwa s17, v9, v27 src0_sel:BYTE_1 src1_sel:DWORD
	v_bfrev_b32_e32 v19, 1
	s_and_saveexec_b32 s16, s17
	s_cbranch_execz .LBB314_201
; %bb.196:                              ;   in Loop: Header=BB314_158 Depth=1
	v_and_b32_sdwa v20, v28, v9 dst_sel:DWORD dst_unused:UNUSED_PAD src0_sel:DWORD src1_sel:BYTE_1
	v_mov_b32_e32 v19, 0x7f800001
	s_mov_b32 s17, exec_lo
	v_and_b32_e32 v40, 0x7f, v20
	v_cmpx_ne_u32_e32 0x7f, v40
	s_cbranch_execz .LBB314_200
; %bb.197:                              ;   in Loop: Header=BB314_158 Depth=1
	v_and_b32_e32 v19, 7, v20
	v_mov_b32_e32 v20, v10
	v_lshrrev_b32_e32 v38, 3, v40
	s_mov_b32 s18, exec_lo
	v_cmpx_gt_u32_e32 8, v40
; %bb.198:                              ;   in Loop: Header=BB314_158 Depth=1
	v_ffbh_u32_e32 v38, v19
	v_min_u32_e32 v38, 32, v38
	v_subrev_nc_u32_e32 v40, 28, v38
	v_sub_nc_u32_e32 v38, 29, v38
	v_lshlrev_b64 v[19:20], v40, v[19:20]
	v_and_b32_e32 v19, 7, v19
; %bb.199:                              ;   in Loop: Header=BB314_158 Depth=1
	s_or_b32 exec_lo, exec_lo, s18
	v_lshlrev_b32_e32 v9, 16, v9
	v_lshlrev_b32_e32 v19, 20, v19
	v_lshl_add_u32 v20, v38, 23, 0x3c000000
	v_and_b32_e32 v9, 0x80000000, v9
	v_or3_b32 v19, v19, v9, v20
.LBB314_200:                            ;   in Loop: Header=BB314_158 Depth=1
	s_or_b32 exec_lo, exec_lo, s17
.LBB314_201:                            ;   in Loop: Header=BB314_158 Depth=1
	s_or_b32 exec_lo, exec_lo, s16
.LBB314_202:                            ;   in Loop: Header=BB314_158 Depth=1
	s_or_b32 exec_lo, exec_lo, s1
	v_and_b32_sdwa v9, v18, v29 dst_sel:DWORD dst_unused:UNUSED_PAD src0_sel:WORD_1 src1_sel:DWORD
	s_mov_b32 s1, exec_lo
	v_cmpx_ne_u16_e32 0, v9
	s_cbranch_execz .LBB314_210
; %bb.203:                              ;   in Loop: Header=BB314_158 Depth=1
	v_bfrev_b32_e32 v39, 1
	s_mov_b32 s16, exec_lo
	v_cmpx_ne_u16_e32 0x80, v9
	s_cbranch_execz .LBB314_209
; %bb.204:                              ;   in Loop: Header=BB314_158 Depth=1
	v_bfe_u32 v38, v18, 16, 7
	v_mov_b32_e32 v39, 0x7f800001
	s_mov_b32 s17, exec_lo
	v_cmpx_ne_u32_e32 0x7f, v38
	s_cbranch_execz .LBB314_208
; %bb.205:                              ;   in Loop: Header=BB314_158 Depth=1
	v_and_b32_sdwa v9, v18, v30 dst_sel:DWORD dst_unused:UNUSED_PAD src0_sel:WORD_1 src1_sel:DWORD
	v_lshrrev_b32_e32 v20, 3, v38
	s_mov_b32 s18, exec_lo
	v_cmpx_gt_u32_e32 8, v38
; %bb.206:                              ;   in Loop: Header=BB314_158 Depth=1
	v_ffbh_u32_e32 v20, v9
	v_min_u32_e32 v20, 32, v20
	v_subrev_nc_u32_e32 v38, 28, v20
	v_sub_nc_u32_e32 v20, 29, v20
	v_lshlrev_b64 v[38:39], v38, v[9:10]
	v_and_b32_e32 v9, 7, v38
; %bb.207:                              ;   in Loop: Header=BB314_158 Depth=1
	s_or_b32 exec_lo, exec_lo, s18
	v_lshlrev_b32_sdwa v38, v31, v18 dst_sel:DWORD dst_unused:UNUSED_PAD src0_sel:DWORD src1_sel:WORD_1
	v_lshlrev_b32_e32 v9, 20, v9
	v_lshl_add_u32 v20, v20, 23, 0x3c000000
	v_and_b32_e32 v38, 0x80000000, v38
	v_or3_b32 v39, v9, v38, v20
.LBB314_208:                            ;   in Loop: Header=BB314_158 Depth=1
	s_or_b32 exec_lo, exec_lo, s17
.LBB314_209:                            ;   in Loop: Header=BB314_158 Depth=1
	s_or_b32 exec_lo, exec_lo, s16
.LBB314_210:                            ;   in Loop: Header=BB314_158 Depth=1
	s_or_b32 exec_lo, exec_lo, s1
	v_mov_b32_e32 v9, 0
	s_mov_b32 s1, exec_lo
	v_cmpx_lt_u64_e64 s[2:3], v[17:18]
	s_cbranch_execz .LBB314_218
; %bb.211:                              ;   in Loop: Header=BB314_158 Depth=1
	v_cmp_ne_u32_sdwa s17, v18, v27 src0_sel:BYTE_3 src1_sel:DWORD
	v_bfrev_b32_e32 v9, 1
	s_and_saveexec_b32 s16, s17
	s_cbranch_execz .LBB314_217
; %bb.212:                              ;   in Loop: Header=BB314_158 Depth=1
	v_bfe_u32 v20, v18, 24, 7
	v_mov_b32_e32 v9, 0x7f800001
	s_mov_b32 s17, exec_lo
	v_cmpx_ne_u32_e32 0x7f, v20
	s_cbranch_execz .LBB314_216
; %bb.213:                              ;   in Loop: Header=BB314_158 Depth=1
	v_and_b32_sdwa v9, v18, v30 dst_sel:DWORD dst_unused:UNUSED_PAD src0_sel:BYTE_3 src1_sel:DWORD
	v_lshrrev_b32_e32 v17, 3, v20
	s_mov_b32 s18, exec_lo
	v_cmpx_gt_u32_e32 8, v20
; %bb.214:                              ;   in Loop: Header=BB314_158 Depth=1
	v_ffbh_u32_e32 v17, v9
	v_min_u32_e32 v17, 32, v17
	v_subrev_nc_u32_e32 v20, 28, v17
	v_sub_nc_u32_e32 v17, 29, v17
	v_lshlrev_b64 v[40:41], v20, v[9:10]
	v_and_b32_e32 v9, 7, v40
; %bb.215:                              ;   in Loop: Header=BB314_158 Depth=1
	s_or_b32 exec_lo, exec_lo, s18
	v_lshlrev_b32_sdwa v18, v31, v18 dst_sel:DWORD dst_unused:UNUSED_PAD src0_sel:DWORD src1_sel:BYTE_3
	v_lshlrev_b32_e32 v9, 20, v9
	v_lshl_add_u32 v17, v17, 23, 0x3c000000
	v_and_b32_e32 v18, 0x80000000, v18
	v_or3_b32 v9, v9, v18, v17
.LBB314_216:                            ;   in Loop: Header=BB314_158 Depth=1
	s_or_b32 exec_lo, exec_lo, s17
.LBB314_217:                            ;   in Loop: Header=BB314_158 Depth=1
	s_or_b32 exec_lo, exec_lo, s16
.LBB314_218:                            ;   in Loop: Header=BB314_158 Depth=1
	s_or_b32 exec_lo, exec_lo, s1
	s_waitcnt lgkmcnt(0)
	v_mul_f32_e32 v17, s13, v19
	v_mul_f32_e32 v18, s13, v36
	;; [unrolled: 1-line block ×5, first 2 shown]
	v_bfe_u32 v19, v17, 16, 1
	v_or_b32_e32 v36, 0x400000, v17
	v_bfe_u32 v37, v18, 16, 1
	v_cmp_u_f32_e64 s1, v17, v17
	v_or_b32_e32 v40, 0x400000, v18
	v_add3_u32 v19, v19, v17, 0x7fff
	v_bfe_u32 v41, v20, 16, 1
	v_add3_u32 v37, v37, v18, 0x7fff
	v_or_b32_e32 v42, 0x400000, v20
	v_mul_f32_e32 v9, s13, v9
	v_cndmask_b32_e64 v17, v19, v36, s1
	v_cmp_u_f32_e64 s1, v18, v18
	v_add3_u32 v41, v41, v20, 0x7fff
	v_bfe_u32 v36, v35, 16, 1
	v_add_nc_u32_e32 v38, -7, v25
	v_lshrrev_b32_e32 v19, 16, v17
	v_cndmask_b32_e64 v18, v37, v40, s1
	v_cmp_u_f32_e64 s1, v20, v20
	v_mul_f32_e32 v37, s13, v34
	v_add3_u32 v36, v36, v35, 0x7fff
	v_or_b32_e32 v40, 0x400000, v35
	v_lshrrev_b32_e32 v20, 16, v18
	v_cndmask_b32_e64 v17, v41, v42, s1
	v_cmp_u_f32_e64 s1, v35, v35
	v_mul_f32_e32 v35, s13, v39
	v_bfe_u32 v39, v33, 16, 1
	v_or_b32_e32 v42, 0x400000, v9
	v_lshrrev_b32_e32 v34, 16, v17
	v_bfe_u32 v17, v37, 16, 1
	v_cndmask_b32_e64 v18, v36, v40, s1
	v_or_b32_e32 v36, 0x400000, v37
	v_cmp_u_f32_e64 s1, v37, v37
	v_bfe_u32 v40, v35, 16, 1
	v_add3_u32 v17, v17, v37, 0x7fff
	v_add3_u32 v37, v39, v33, 0x7fff
	v_or_b32_e32 v39, 0x400000, v33
	v_or_b32_e32 v41, 0x400000, v35
	v_add3_u32 v40, v40, v35, 0x7fff
	v_cndmask_b32_e64 v17, v17, v36, s1
	v_cmp_u_f32_e64 s1, v33, v33
	v_bfe_u32 v36, v9, 16, 1
	v_cmp_eq_u32_e32 vcc_lo, s14, v32
	v_add_nc_u32_e32 v45, -6, v25
	v_add_nc_u32_e32 v44, -5, v25
	v_cndmask_b32_e64 v33, v37, v39, s1
	v_cmp_u_f32_e64 s1, v35, v35
	v_add3_u32 v36, v36, v9, 0x7fff
	v_lshrrev_b32_e32 v37, 16, v17
	v_add_nc_u32_e32 v43, -4, v25
	v_lshrrev_b32_e32 v39, 16, v33
	v_cndmask_b32_e64 v35, v40, v41, s1
	v_cmp_u_f32_e64 s1, v9, v9
	v_add_nc_u32_e32 v41, -2, v25
	v_add_nc_u32_e32 v40, -1, v25
	v_lshrrev_b32_e32 v35, 16, v35
	v_cndmask_b32_e64 v9, v36, v42, s1
	v_lshrrev_b32_e32 v36, 16, v18
	v_add_nc_u32_e32 v42, -3, v25
	v_lshrrev_b32_e32 v33, 16, v9
	s_and_saveexec_b32 s16, vcc_lo
	s_cbranch_execz .LBB314_220
; %bb.219:                              ;   in Loop: Header=BB314_158 Depth=1
	v_cmp_gt_i32_e64 s1, s11, v38
	v_cndmask_b32_e64 v39, 0, v39, s1
	v_cmp_gt_i32_e64 s1, s11, v45
	v_cndmask_b32_e64 v37, 0, v37, s1
	;; [unrolled: 2-line block ×8, first 2 shown]
.LBB314_220:                            ;   in Loop: Header=BB314_158 Depth=1
	s_or_b32 exec_lo, exec_lo, s16
	global_load_dwordx2 v[15:16], v[15:16], off offset:256
	v_mov_b32_e32 v47, 0
	v_mov_b32_e32 v46, 0
	s_waitcnt vmcnt(0)
	v_cmp_ne_u16_sdwa s1, v15, v10 src0_sel:BYTE_0 src1_sel:DWORD
	s_and_saveexec_b32 s16, s1
	s_cbranch_execz .LBB314_226
; %bb.221:                              ;   in Loop: Header=BB314_158 Depth=1
	v_cmp_ne_u16_sdwa s1, v15, v27 src0_sel:BYTE_0 src1_sel:DWORD
	v_bfrev_b32_e32 v46, 1
	s_and_saveexec_b32 s17, s1
	s_cbranch_execz .LBB314_225
; %bb.222:                              ;   in Loop: Header=BB314_158 Depth=1
	v_and_b32_e32 v9, 0x7f, v15
	v_mov_b32_e32 v46, 0x7f800001
	s_mov_b32 s18, exec_lo
	v_cmpx_ne_u32_e32 0x7f, v9
	s_cbranch_execz .LBB314_224
; %bb.223:                              ;   in Loop: Header=BB314_158 Depth=1
	v_and_b32_e32 v17, 7, v15
	v_lshrrev_b32_e32 v18, 3, v9
	v_cmp_gt_u32_e64 s1, 8, v9
	v_ffbh_u32_e32 v17, v17
	v_min_u32_e32 v17, 32, v17
	v_subrev_nc_u32_e32 v46, 28, v17
	v_sub_nc_u32_e32 v17, 29, v17
	v_cndmask_b32_e64 v9, v18, v17, s1
	v_cndmask_b32_e64 v17, 0, v46, s1
	v_lshl_add_u32 v9, v9, 23, 0x3c000000
	v_lshlrev_b64 v[17:18], v17, v[15:16]
	v_lshlrev_b32_e32 v18, 24, v15
	v_lshlrev_b32_e32 v17, 20, v17
	v_and_b32_e32 v18, 0x80000000, v18
	v_and_b32_e32 v17, 0x700000, v17
	v_or3_b32 v46, v17, v18, v9
.LBB314_224:                            ;   in Loop: Header=BB314_158 Depth=1
	s_or_b32 exec_lo, exec_lo, s18
.LBB314_225:                            ;   in Loop: Header=BB314_158 Depth=1
	s_or_b32 exec_lo, exec_lo, s17
.LBB314_226:                            ;   in Loop: Header=BB314_158 Depth=1
	s_or_b32 exec_lo, exec_lo, s16
	v_cmp_ne_u16_sdwa s1, v15, v10 src0_sel:BYTE_1 src1_sel:DWORD
	s_and_saveexec_b32 s16, s1
	s_cbranch_execz .LBB314_234
; %bb.227:                              ;   in Loop: Header=BB314_158 Depth=1
	v_cmp_ne_u16_sdwa s1, v15, v27 src0_sel:BYTE_1 src1_sel:DWORD
	v_bfrev_b32_e32 v47, 1
	s_and_saveexec_b32 s17, s1
	s_cbranch_execz .LBB314_233
; %bb.228:                              ;   in Loop: Header=BB314_158 Depth=1
	v_and_b32_sdwa v9, v28, v15 dst_sel:DWORD dst_unused:UNUSED_PAD src0_sel:DWORD src1_sel:BYTE_1
	v_mov_b32_e32 v47, 0x7f800001
	s_mov_b32 s18, exec_lo
	v_and_b32_e32 v18, 0x7f, v9
	v_cmpx_ne_u32_e32 0x7f, v18
	s_cbranch_execz .LBB314_232
; %bb.229:                              ;   in Loop: Header=BB314_158 Depth=1
	v_and_b32_e32 v9, 7, v9
	v_lshrrev_b32_e32 v17, 3, v18
	s_mov_b32 s19, exec_lo
	v_cmpx_gt_u32_e32 8, v18
; %bb.230:                              ;   in Loop: Header=BB314_158 Depth=1
	v_ffbh_u32_e32 v17, v9
	v_min_u32_e32 v17, 32, v17
	v_subrev_nc_u32_e32 v18, 28, v17
	v_sub_nc_u32_e32 v17, 29, v17
	v_lshlrev_b64 v[47:48], v18, v[9:10]
	v_and_b32_e32 v9, 7, v47
; %bb.231:                              ;   in Loop: Header=BB314_158 Depth=1
	s_or_b32 exec_lo, exec_lo, s19
	v_lshlrev_b32_e32 v18, 16, v15
	v_lshlrev_b32_e32 v9, 20, v9
	v_lshl_add_u32 v17, v17, 23, 0x3c000000
	v_and_b32_e32 v18, 0x80000000, v18
	v_or3_b32 v47, v9, v18, v17
.LBB314_232:                            ;   in Loop: Header=BB314_158 Depth=1
	s_or_b32 exec_lo, exec_lo, s18
.LBB314_233:                            ;   in Loop: Header=BB314_158 Depth=1
	s_or_b32 exec_lo, exec_lo, s17
.LBB314_234:                            ;   in Loop: Header=BB314_158 Depth=1
	s_or_b32 exec_lo, exec_lo, s16
	v_and_b32_sdwa v9, v15, v29 dst_sel:DWORD dst_unused:UNUSED_PAD src0_sel:WORD_1 src1_sel:DWORD
	v_mov_b32_e32 v49, 0
	v_mov_b32_e32 v48, 0
	s_mov_b32 s16, exec_lo
	v_cmpx_ne_u16_e32 0, v9
	s_cbranch_execz .LBB314_242
; %bb.235:                              ;   in Loop: Header=BB314_158 Depth=1
	v_bfrev_b32_e32 v48, 1
	s_mov_b32 s17, exec_lo
	v_cmpx_ne_u16_e32 0x80, v9
	s_cbranch_execz .LBB314_241
; %bb.236:                              ;   in Loop: Header=BB314_158 Depth=1
	v_bfe_u32 v18, v15, 16, 7
	v_mov_b32_e32 v48, 0x7f800001
	s_mov_b32 s18, exec_lo
	v_cmpx_ne_u32_e32 0x7f, v18
	s_cbranch_execz .LBB314_240
; %bb.237:                              ;   in Loop: Header=BB314_158 Depth=1
	v_and_b32_sdwa v9, v15, v30 dst_sel:DWORD dst_unused:UNUSED_PAD src0_sel:WORD_1 src1_sel:DWORD
	v_lshrrev_b32_e32 v17, 3, v18
	s_mov_b32 s19, exec_lo
	v_cmpx_gt_u32_e32 8, v18
; %bb.238:                              ;   in Loop: Header=BB314_158 Depth=1
	v_ffbh_u32_e32 v17, v9
	v_min_u32_e32 v17, 32, v17
	v_subrev_nc_u32_e32 v18, 28, v17
	v_sub_nc_u32_e32 v17, 29, v17
	v_lshlrev_b64 v[50:51], v18, v[9:10]
	v_and_b32_e32 v9, 7, v50
; %bb.239:                              ;   in Loop: Header=BB314_158 Depth=1
	s_or_b32 exec_lo, exec_lo, s19
	v_lshlrev_b32_sdwa v18, v31, v15 dst_sel:DWORD dst_unused:UNUSED_PAD src0_sel:DWORD src1_sel:WORD_1
	v_lshlrev_b32_e32 v9, 20, v9
	v_lshl_add_u32 v17, v17, 23, 0x3c000000
	v_and_b32_e32 v18, 0x80000000, v18
	v_or3_b32 v48, v9, v18, v17
.LBB314_240:                            ;   in Loop: Header=BB314_158 Depth=1
	s_or_b32 exec_lo, exec_lo, s18
.LBB314_241:                            ;   in Loop: Header=BB314_158 Depth=1
	s_or_b32 exec_lo, exec_lo, s17
.LBB314_242:                            ;   in Loop: Header=BB314_158 Depth=1
	s_or_b32 exec_lo, exec_lo, s16
	s_mov_b32 s16, exec_lo
	v_cmpx_lt_u32_e32 0xffffff, v15
	s_cbranch_execz .LBB314_250
; %bb.243:                              ;   in Loop: Header=BB314_158 Depth=1
	v_cmp_ne_u32_sdwa s1, v15, v27 src0_sel:BYTE_3 src1_sel:DWORD
	v_bfrev_b32_e32 v49, 1
	s_and_saveexec_b32 s17, s1
	s_cbranch_execz .LBB314_249
; %bb.244:                              ;   in Loop: Header=BB314_158 Depth=1
	v_bfe_u32 v18, v15, 24, 7
	v_mov_b32_e32 v49, 0x7f800001
	s_mov_b32 s18, exec_lo
	v_cmpx_ne_u32_e32 0x7f, v18
	s_cbranch_execz .LBB314_248
; %bb.245:                              ;   in Loop: Header=BB314_158 Depth=1
	v_and_b32_sdwa v9, v15, v30 dst_sel:DWORD dst_unused:UNUSED_PAD src0_sel:BYTE_3 src1_sel:DWORD
	v_lshrrev_b32_e32 v17, 3, v18
	s_mov_b32 s19, exec_lo
	v_cmpx_gt_u32_e32 8, v18
; %bb.246:                              ;   in Loop: Header=BB314_158 Depth=1
	v_ffbh_u32_e32 v17, v9
	v_min_u32_e32 v17, 32, v17
	v_subrev_nc_u32_e32 v18, 28, v17
	v_sub_nc_u32_e32 v17, 29, v17
	v_lshlrev_b64 v[49:50], v18, v[9:10]
	v_and_b32_e32 v9, 7, v49
; %bb.247:                              ;   in Loop: Header=BB314_158 Depth=1
	s_or_b32 exec_lo, exec_lo, s19
	v_lshlrev_b32_sdwa v18, v31, v15 dst_sel:DWORD dst_unused:UNUSED_PAD src0_sel:DWORD src1_sel:BYTE_3
	v_lshlrev_b32_e32 v9, 20, v9
	v_lshl_add_u32 v17, v17, 23, 0x3c000000
	v_and_b32_e32 v18, 0x80000000, v18
	v_or3_b32 v49, v9, v18, v17
.LBB314_248:                            ;   in Loop: Header=BB314_158 Depth=1
	s_or_b32 exec_lo, exec_lo, s18
.LBB314_249:                            ;   in Loop: Header=BB314_158 Depth=1
	s_or_b32 exec_lo, exec_lo, s17
.LBB314_250:                            ;   in Loop: Header=BB314_158 Depth=1
	s_or_b32 exec_lo, exec_lo, s16
	v_mov_b32_e32 v9, v16
	v_cmp_ne_u16_sdwa s1, v16, v10 src0_sel:BYTE_0 src1_sel:DWORD
	v_mov_b32_e32 v17, 0
	v_mov_b32_e32 v50, 0
	s_and_saveexec_b32 s16, s1
	s_cbranch_execz .LBB314_256
; %bb.251:                              ;   in Loop: Header=BB314_158 Depth=1
	v_cmp_ne_u16_sdwa s1, v16, v27 src0_sel:BYTE_0 src1_sel:DWORD
	v_bfrev_b32_e32 v50, 1
	s_and_saveexec_b32 s17, s1
	s_cbranch_execz .LBB314_255
; %bb.252:                              ;   in Loop: Header=BB314_158 Depth=1
	v_and_b32_e32 v18, 0x7f, v16
	v_mov_b32_e32 v50, 0x7f800001
	s_mov_b32 s18, exec_lo
	v_cmpx_ne_u32_e32 0x7f, v18
	s_cbranch_execz .LBB314_254
; %bb.253:                              ;   in Loop: Header=BB314_158 Depth=1
	v_and_b32_e32 v50, 7, v16
	v_lshrrev_b32_e32 v51, 3, v18
	v_cmp_gt_u32_e64 s1, 8, v18
	v_ffbh_u32_e32 v50, v50
	v_min_u32_e32 v50, 32, v50
	v_subrev_nc_u32_e32 v52, 28, v50
	v_sub_nc_u32_e32 v50, 29, v50
	v_cndmask_b32_e64 v18, v51, v50, s1
	v_cndmask_b32_e64 v50, 0, v52, s1
	v_lshl_add_u32 v18, v18, 23, 0x3c000000
	v_lshlrev_b64 v[50:51], v50, v[9:10]
	v_lshlrev_b32_e32 v51, 24, v9
	v_lshlrev_b32_e32 v50, 20, v50
	v_and_b32_e32 v51, 0x80000000, v51
	v_and_b32_e32 v50, 0x700000, v50
	v_or3_b32 v50, v50, v51, v18
.LBB314_254:                            ;   in Loop: Header=BB314_158 Depth=1
	s_or_b32 exec_lo, exec_lo, s18
.LBB314_255:                            ;   in Loop: Header=BB314_158 Depth=1
	s_or_b32 exec_lo, exec_lo, s17
.LBB314_256:                            ;   in Loop: Header=BB314_158 Depth=1
	s_or_b32 exec_lo, exec_lo, s16
	v_cmp_ne_u16_sdwa s1, v9, v10 src0_sel:BYTE_1 src1_sel:DWORD
	s_and_saveexec_b32 s16, s1
	s_cbranch_execz .LBB314_264
; %bb.257:                              ;   in Loop: Header=BB314_158 Depth=1
	v_cmp_ne_u16_sdwa s1, v9, v27 src0_sel:BYTE_1 src1_sel:DWORD
	v_bfrev_b32_e32 v17, 1
	s_and_saveexec_b32 s17, s1
	s_cbranch_execz .LBB314_263
; %bb.258:                              ;   in Loop: Header=BB314_158 Depth=1
	v_and_b32_sdwa v18, v28, v9 dst_sel:DWORD dst_unused:UNUSED_PAD src0_sel:DWORD src1_sel:BYTE_1
	v_mov_b32_e32 v17, 0x7f800001
	s_mov_b32 s18, exec_lo
	v_and_b32_e32 v52, 0x7f, v18
	v_cmpx_ne_u32_e32 0x7f, v52
	s_cbranch_execz .LBB314_262
; %bb.259:                              ;   in Loop: Header=BB314_158 Depth=1
	v_and_b32_e32 v17, 7, v18
	v_mov_b32_e32 v18, v10
	v_lshrrev_b32_e32 v51, 3, v52
	s_mov_b32 s19, exec_lo
	v_cmpx_gt_u32_e32 8, v52
; %bb.260:                              ;   in Loop: Header=BB314_158 Depth=1
	v_ffbh_u32_e32 v51, v17
	v_min_u32_e32 v51, 32, v51
	v_subrev_nc_u32_e32 v52, 28, v51
	v_sub_nc_u32_e32 v51, 29, v51
	v_lshlrev_b64 v[17:18], v52, v[17:18]
	v_and_b32_e32 v17, 7, v17
; %bb.261:                              ;   in Loop: Header=BB314_158 Depth=1
	s_or_b32 exec_lo, exec_lo, s19
	v_lshlrev_b32_e32 v9, 16, v9
	v_lshlrev_b32_e32 v17, 20, v17
	v_lshl_add_u32 v18, v51, 23, 0x3c000000
	v_and_b32_e32 v9, 0x80000000, v9
	v_or3_b32 v17, v17, v9, v18
.LBB314_262:                            ;   in Loop: Header=BB314_158 Depth=1
	s_or_b32 exec_lo, exec_lo, s18
.LBB314_263:                            ;   in Loop: Header=BB314_158 Depth=1
	s_or_b32 exec_lo, exec_lo, s17
.LBB314_264:                            ;   in Loop: Header=BB314_158 Depth=1
	s_or_b32 exec_lo, exec_lo, s16
	v_and_b32_sdwa v9, v16, v29 dst_sel:DWORD dst_unused:UNUSED_PAD src0_sel:WORD_1 src1_sel:DWORD
	v_mov_b32_e32 v18, 0
	v_mov_b32_e32 v51, 0
	s_mov_b32 s16, exec_lo
	v_cmpx_ne_u16_e32 0, v9
	s_cbranch_execz .LBB314_272
; %bb.265:                              ;   in Loop: Header=BB314_158 Depth=1
	v_bfrev_b32_e32 v51, 1
	s_mov_b32 s17, exec_lo
	v_cmpx_ne_u16_e32 0x80, v9
	s_cbranch_execz .LBB314_271
; %bb.266:                              ;   in Loop: Header=BB314_158 Depth=1
	v_bfe_u32 v52, v16, 16, 7
	v_mov_b32_e32 v51, 0x7f800001
	s_mov_b32 s18, exec_lo
	v_cmpx_ne_u32_e32 0x7f, v52
	s_cbranch_execz .LBB314_270
; %bb.267:                              ;   in Loop: Header=BB314_158 Depth=1
	v_and_b32_sdwa v9, v16, v30 dst_sel:DWORD dst_unused:UNUSED_PAD src0_sel:WORD_1 src1_sel:DWORD
	v_lshrrev_b32_e32 v51, 3, v52
	s_mov_b32 s19, exec_lo
	v_cmpx_gt_u32_e32 8, v52
; %bb.268:                              ;   in Loop: Header=BB314_158 Depth=1
	v_ffbh_u32_e32 v51, v9
	v_min_u32_e32 v51, 32, v51
	v_subrev_nc_u32_e32 v52, 28, v51
	v_sub_nc_u32_e32 v51, 29, v51
	v_lshlrev_b64 v[52:53], v52, v[9:10]
	v_and_b32_e32 v9, 7, v52
; %bb.269:                              ;   in Loop: Header=BB314_158 Depth=1
	s_or_b32 exec_lo, exec_lo, s19
	v_lshlrev_b32_sdwa v52, v31, v16 dst_sel:DWORD dst_unused:UNUSED_PAD src0_sel:DWORD src1_sel:WORD_1
	v_lshlrev_b32_e32 v9, 20, v9
	v_lshl_add_u32 v51, v51, 23, 0x3c000000
	v_and_b32_e32 v52, 0x80000000, v52
	v_or3_b32 v51, v9, v52, v51
.LBB314_270:                            ;   in Loop: Header=BB314_158 Depth=1
	s_or_b32 exec_lo, exec_lo, s18
.LBB314_271:                            ;   in Loop: Header=BB314_158 Depth=1
	s_or_b32 exec_lo, exec_lo, s17
.LBB314_272:                            ;   in Loop: Header=BB314_158 Depth=1
	s_or_b32 exec_lo, exec_lo, s16
	s_mov_b32 s16, exec_lo
	v_cmpx_lt_u64_e64 s[2:3], v[15:16]
	s_cbranch_execz .LBB314_280
; %bb.273:                              ;   in Loop: Header=BB314_158 Depth=1
	v_cmp_ne_u32_sdwa s1, v16, v27 src0_sel:BYTE_3 src1_sel:DWORD
	v_bfrev_b32_e32 v18, 1
	s_and_saveexec_b32 s17, s1
	s_cbranch_execz .LBB314_279
; %bb.274:                              ;   in Loop: Header=BB314_158 Depth=1
	v_bfe_u32 v52, v16, 24, 7
	v_mov_b32_e32 v18, 0x7f800001
	s_mov_b32 s18, exec_lo
	v_cmpx_ne_u32_e32 0x7f, v52
	s_cbranch_execz .LBB314_278
; %bb.275:                              ;   in Loop: Header=BB314_158 Depth=1
	v_and_b32_sdwa v9, v16, v30 dst_sel:DWORD dst_unused:UNUSED_PAD src0_sel:BYTE_3 src1_sel:DWORD
	v_lshrrev_b32_e32 v15, 3, v52
	s_mov_b32 s19, exec_lo
	v_cmpx_gt_u32_e32 8, v52
; %bb.276:                              ;   in Loop: Header=BB314_158 Depth=1
	v_ffbh_u32_e32 v15, v9
	v_min_u32_e32 v15, 32, v15
	v_subrev_nc_u32_e32 v18, 28, v15
	v_sub_nc_u32_e32 v15, 29, v15
	v_lshlrev_b64 v[52:53], v18, v[9:10]
	v_and_b32_e32 v9, 7, v52
; %bb.277:                              ;   in Loop: Header=BB314_158 Depth=1
	s_or_b32 exec_lo, exec_lo, s19
	v_lshlrev_b32_sdwa v16, v31, v16 dst_sel:DWORD dst_unused:UNUSED_PAD src0_sel:DWORD src1_sel:BYTE_3
	v_lshlrev_b32_e32 v9, 20, v9
	v_lshl_add_u32 v15, v15, 23, 0x3c000000
	v_and_b32_e32 v16, 0x80000000, v16
	v_or3_b32 v18, v9, v16, v15
.LBB314_278:                            ;   in Loop: Header=BB314_158 Depth=1
	s_or_b32 exec_lo, exec_lo, s18
.LBB314_279:                            ;   in Loop: Header=BB314_158 Depth=1
	s_or_b32 exec_lo, exec_lo, s17
.LBB314_280:                            ;   in Loop: Header=BB314_158 Depth=1
	s_or_b32 exec_lo, exec_lo, s16
	v_mul_f32_e32 v9, s13, v17
	v_mul_f32_e32 v15, s13, v50
	;; [unrolled: 1-line block ×5, first 2 shown]
	v_bfe_u32 v48, v9, 16, 1
	v_or_b32_e32 v49, 0x400000, v9
	v_bfe_u32 v50, v15, 16, 1
	v_cmp_u_f32_e64 s1, v9, v9
	v_or_b32_e32 v52, 0x400000, v15
	v_add3_u32 v48, v48, v9, 0x7fff
	v_bfe_u32 v53, v16, 16, 1
	v_add3_u32 v50, v50, v15, 0x7fff
	v_or_b32_e32 v54, 0x400000, v16
	v_bfe_u32 v55, v17, 16, 1
	v_cndmask_b32_e64 v9, v48, v49, s1
	v_cmp_u_f32_e64 s1, v15, v15
	v_add3_u32 v53, v53, v16, 0x7fff
	v_or_b32_e32 v49, 0x400000, v17
	v_add3_u32 v48, v55, v17, 0x7fff
	v_mul_f32_e32 v46, s13, v46
	v_cndmask_b32_e64 v15, v50, v52, s1
	v_cmp_u_f32_e64 s1, v16, v16
	v_bfe_u32 v50, v47, 16, 1
	v_mul_f32_e32 v18, s13, v18
	v_lshrrev_b32_e32 v9, 16, v9
	v_lshrrev_b32_e32 v15, 16, v15
	v_cndmask_b32_e64 v16, v53, v54, s1
	v_cmp_u_f32_e64 s1, v17, v17
	v_or_b32_e32 v54, 0x400000, v18
	v_lshrrev_b32_e32 v16, 16, v16
	v_cndmask_b32_e64 v17, v48, v49, s1
	v_mul_f32_e32 v48, s13, v51
	v_add3_u32 v49, v50, v47, 0x7fff
	v_or_b32_e32 v50, 0x400000, v47
	v_bfe_u32 v51, v46, 16, 1
	v_cmp_u_f32_e64 s1, v47, v47
	v_bfe_u32 v52, v48, 16, 1
	v_or_b32_e32 v53, 0x400000, v48
	v_cndmask_b32_e64 v47, v49, v50, s1
	v_add3_u32 v50, v51, v46, 0x7fff
	v_or_b32_e32 v51, 0x400000, v46
	v_cmp_u_f32_e64 s1, v46, v46
	v_bfe_u32 v49, v18, 16, 1
	v_add3_u32 v52, v52, v48, 0x7fff
	v_lshrrev_b32_e32 v46, 16, v17
	v_lshrrev_b32_e32 v47, 16, v47
	v_cndmask_b32_e64 v50, v50, v51, s1
	v_cmp_u_f32_e64 s1, v48, v48
	v_add3_u32 v49, v49, v18, 0x7fff
	v_lshrrev_b32_e32 v48, 16, v50
	v_cndmask_b32_e64 v51, v52, v53, s1
	v_cmp_u_f32_e64 s1, v18, v18
	v_lshrrev_b32_e32 v18, 16, v51
	v_cndmask_b32_e64 v49, v49, v54, s1
	v_lshrrev_b32_e32 v17, 16, v49
	s_and_saveexec_b32 s1, vcc_lo
	s_cbranch_execz .LBB314_157
; %bb.281:                              ;   in Loop: Header=BB314_158 Depth=1
	v_cmp_gt_i32_e32 vcc_lo, s11, v38
	v_cndmask_b32_e32 v48, 0, v48, vcc_lo
	v_cmp_gt_i32_e32 vcc_lo, s11, v45
	v_cndmask_b32_e32 v47, 0, v47, vcc_lo
	;; [unrolled: 2-line block ×8, first 2 shown]
	s_branch .LBB314_157
.LBB314_282:
	s_or_b32 exec_lo, exec_lo, s15
.LBB314_283:
	s_or_b32 exec_lo, exec_lo, s4
	v_lshl_add_u32 v2, v22, 2, 0xa0
	v_and_b32_e32 v3, 0x3c0, v0
	s_mov_b32 s1, exec_lo
	s_barrier
	v_lshl_add_u32 v1, v21, 8, v2
	buffer_gl0_inv
	v_cmpx_eq_u32_e32 64, v3
	s_cbranch_execz .LBB314_285
; %bb.284:
	v_add_nc_u32_e32 v3, 0xfffffe00, v1
	v_add_nc_u32_e32 v4, 0xfffffe80, v1
	ds_write_b32 v3, v24
	ds_write_b32 v4, v23
.LBB314_285:
	s_or_b32 exec_lo, exec_lo, s1
	s_mov_b32 s1, exec_lo
	s_waitcnt lgkmcnt(0)
	s_barrier
	buffer_gl0_inv
	v_cmpx_gt_u32_e32 64, v0
	s_cbranch_execz .LBB314_287
; %bb.286:
	ds_read2_b32 v[3:4], v1 offset1:32
	s_waitcnt lgkmcnt(0)
	v_add_f32_e32 v24, v24, v3
	v_add_f32_e32 v23, v23, v4
.LBB314_287:
	s_or_b32 exec_lo, exec_lo, s1
	v_and_b32_e32 v3, 0x3e0, v0
	s_mov_b32 s1, exec_lo
	s_barrier
	buffer_gl0_inv
	v_cmpx_eq_u32_e32 32, v3
; %bb.288:
	ds_write2_b32 v2, v24, v23 offset1:32
; %bb.289:
	s_or_b32 exec_lo, exec_lo, s1
	s_waitcnt lgkmcnt(0)
	s_barrier
	buffer_gl0_inv
	s_and_saveexec_b32 s1, s0
	s_cbranch_execz .LBB314_291
; %bb.290:
	ds_read2_b32 v[1:2], v1 offset1:32
	s_waitcnt lgkmcnt(0)
	v_add_f32_e32 v24, v24, v1
	v_add_f32_e32 v23, v23, v2
.LBB314_291:
	s_or_b32 exec_lo, exec_lo, s1
	s_barrier
	buffer_gl0_inv
	s_and_saveexec_b32 s1, s0
	s_cbranch_execz .LBB314_293
; %bb.292:
	s_mul_i32 s0, s10, s7
	v_bfe_u32 v1, v24, 16, 1
	s_mul_i32 s0, s0, s9
	s_mul_i32 s2, s7, s6
	s_lshl_b32 s0, s0, 6
	v_or_b32_e32 v2, 0x400000, v24
	s_ashr_i32 s1, s0, 31
	v_bfe_u32 v3, v23, 16, 1
	s_lshl_b64 s[0:1], s[0:1], 1
	v_add3_u32 v1, v1, v24, 0x7fff
	s_add_u32 s4, s20, s0
	s_addc_u32 s5, s21, s1
	s_ashr_i32 s3, s2, 31
	v_cmp_u_f32_e32 vcc_lo, v24, v24
	s_lshl_b64 s[0:1], s[2:3], 1
	v_or_b32_e32 v4, 0x400000, v23
	s_add_u32 s2, s4, s0
	s_addc_u32 s3, s5, s1
	s_lshl_b32 s0, s8, 6
	v_add3_u32 v3, v3, v23, 0x7fff
	v_cndmask_b32_e32 v1, v1, v2, vcc_lo
	v_cmp_u_f32_e32 vcc_lo, v23, v23
	s_ashr_i32 s1, s0, 31
	v_lshlrev_b32_e32 v0, 1, v0
	s_lshl_b64 s[0:1], s[0:1], 1
	v_cndmask_b32_e32 v2, v3, v4, vcc_lo
	s_add_u32 s0, s2, s0
	s_addc_u32 s1, s3, s1
	global_store_short_d16_hi v0, v1, s[0:1]
	global_store_short_d16_hi v0, v2, s[0:1] offset:64
.LBB314_293:
	s_endpgm
	.section	.rodata,"a",@progbits
	.p2align	6, 0x0
	.amdhsa_kernel _ZN4vllm25paged_attention_v1_kernelI14__hip_bfloat16hLi64ELi8ELi128ELNS_18Fp8KVCacheDataTypeE1ELb0EEEvPT_PKS3_PKT0_S9_ifPKiSB_iPKfiiiSD_SD_iiiii
		.amdhsa_group_segment_fixed_size 160
		.amdhsa_private_segment_fixed_size 0
		.amdhsa_kernarg_size 384
		.amdhsa_user_sgpr_count 6
		.amdhsa_user_sgpr_private_segment_buffer 1
		.amdhsa_user_sgpr_dispatch_ptr 0
		.amdhsa_user_sgpr_queue_ptr 0
		.amdhsa_user_sgpr_kernarg_segment_ptr 1
		.amdhsa_user_sgpr_dispatch_id 0
		.amdhsa_user_sgpr_flat_scratch_init 0
		.amdhsa_user_sgpr_private_segment_size 0
		.amdhsa_wavefront_size32 1
		.amdhsa_uses_dynamic_stack 0
		.amdhsa_system_sgpr_private_segment_wavefront_offset 0
		.amdhsa_system_sgpr_workgroup_id_x 1
		.amdhsa_system_sgpr_workgroup_id_y 1
		.amdhsa_system_sgpr_workgroup_id_z 1
		.amdhsa_system_sgpr_workgroup_info 0
		.amdhsa_system_vgpr_workitem_id 0
		.amdhsa_next_free_vgpr 69
		.amdhsa_next_free_sgpr 35
		.amdhsa_reserve_vcc 1
		.amdhsa_reserve_flat_scratch 0
		.amdhsa_float_round_mode_32 0
		.amdhsa_float_round_mode_16_64 0
		.amdhsa_float_denorm_mode_32 3
		.amdhsa_float_denorm_mode_16_64 3
		.amdhsa_dx10_clamp 1
		.amdhsa_ieee_mode 1
		.amdhsa_fp16_overflow 0
		.amdhsa_workgroup_processor_mode 1
		.amdhsa_memory_ordered 1
		.amdhsa_forward_progress 1
		.amdhsa_shared_vgpr_count 0
		.amdhsa_exception_fp_ieee_invalid_op 0
		.amdhsa_exception_fp_denorm_src 0
		.amdhsa_exception_fp_ieee_div_zero 0
		.amdhsa_exception_fp_ieee_overflow 0
		.amdhsa_exception_fp_ieee_underflow 0
		.amdhsa_exception_fp_ieee_inexact 0
		.amdhsa_exception_int_div_zero 0
	.end_amdhsa_kernel
	.section	.text._ZN4vllm25paged_attention_v1_kernelI14__hip_bfloat16hLi64ELi8ELi128ELNS_18Fp8KVCacheDataTypeE1ELb0EEEvPT_PKS3_PKT0_S9_ifPKiSB_iPKfiiiSD_SD_iiiii,"axG",@progbits,_ZN4vllm25paged_attention_v1_kernelI14__hip_bfloat16hLi64ELi8ELi128ELNS_18Fp8KVCacheDataTypeE1ELb0EEEvPT_PKS3_PKT0_S9_ifPKiSB_iPKfiiiSD_SD_iiiii,comdat
.Lfunc_end314:
	.size	_ZN4vllm25paged_attention_v1_kernelI14__hip_bfloat16hLi64ELi8ELi128ELNS_18Fp8KVCacheDataTypeE1ELb0EEEvPT_PKS3_PKT0_S9_ifPKiSB_iPKfiiiSD_SD_iiiii, .Lfunc_end314-_ZN4vllm25paged_attention_v1_kernelI14__hip_bfloat16hLi64ELi8ELi128ELNS_18Fp8KVCacheDataTypeE1ELb0EEEvPT_PKS3_PKT0_S9_ifPKiSB_iPKfiiiSD_SD_iiiii
                                        ; -- End function
	.set _ZN4vllm25paged_attention_v1_kernelI14__hip_bfloat16hLi64ELi8ELi128ELNS_18Fp8KVCacheDataTypeE1ELb0EEEvPT_PKS3_PKT0_S9_ifPKiSB_iPKfiiiSD_SD_iiiii.num_vgpr, 69
	.set _ZN4vllm25paged_attention_v1_kernelI14__hip_bfloat16hLi64ELi8ELi128ELNS_18Fp8KVCacheDataTypeE1ELb0EEEvPT_PKS3_PKT0_S9_ifPKiSB_iPKfiiiSD_SD_iiiii.num_agpr, 0
	.set _ZN4vllm25paged_attention_v1_kernelI14__hip_bfloat16hLi64ELi8ELi128ELNS_18Fp8KVCacheDataTypeE1ELb0EEEvPT_PKS3_PKT0_S9_ifPKiSB_iPKfiiiSD_SD_iiiii.numbered_sgpr, 35
	.set _ZN4vllm25paged_attention_v1_kernelI14__hip_bfloat16hLi64ELi8ELi128ELNS_18Fp8KVCacheDataTypeE1ELb0EEEvPT_PKS3_PKT0_S9_ifPKiSB_iPKfiiiSD_SD_iiiii.num_named_barrier, 0
	.set _ZN4vllm25paged_attention_v1_kernelI14__hip_bfloat16hLi64ELi8ELi128ELNS_18Fp8KVCacheDataTypeE1ELb0EEEvPT_PKS3_PKT0_S9_ifPKiSB_iPKfiiiSD_SD_iiiii.private_seg_size, 0
	.set _ZN4vllm25paged_attention_v1_kernelI14__hip_bfloat16hLi64ELi8ELi128ELNS_18Fp8KVCacheDataTypeE1ELb0EEEvPT_PKS3_PKT0_S9_ifPKiSB_iPKfiiiSD_SD_iiiii.uses_vcc, 1
	.set _ZN4vllm25paged_attention_v1_kernelI14__hip_bfloat16hLi64ELi8ELi128ELNS_18Fp8KVCacheDataTypeE1ELb0EEEvPT_PKS3_PKT0_S9_ifPKiSB_iPKfiiiSD_SD_iiiii.uses_flat_scratch, 0
	.set _ZN4vllm25paged_attention_v1_kernelI14__hip_bfloat16hLi64ELi8ELi128ELNS_18Fp8KVCacheDataTypeE1ELb0EEEvPT_PKS3_PKT0_S9_ifPKiSB_iPKfiiiSD_SD_iiiii.has_dyn_sized_stack, 0
	.set _ZN4vllm25paged_attention_v1_kernelI14__hip_bfloat16hLi64ELi8ELi128ELNS_18Fp8KVCacheDataTypeE1ELb0EEEvPT_PKS3_PKT0_S9_ifPKiSB_iPKfiiiSD_SD_iiiii.has_recursion, 0
	.set _ZN4vllm25paged_attention_v1_kernelI14__hip_bfloat16hLi64ELi8ELi128ELNS_18Fp8KVCacheDataTypeE1ELb0EEEvPT_PKS3_PKT0_S9_ifPKiSB_iPKfiiiSD_SD_iiiii.has_indirect_call, 0
	.section	.AMDGPU.csdata,"",@progbits
; Kernel info:
; codeLenInByte = 11792
; TotalNumSgprs: 37
; NumVgprs: 69
; ScratchSize: 0
; MemoryBound: 0
; FloatMode: 240
; IeeeMode: 1
; LDSByteSize: 160 bytes/workgroup (compile time only)
; SGPRBlocks: 0
; VGPRBlocks: 8
; NumSGPRsForWavesPerEU: 37
; NumVGPRsForWavesPerEU: 69
; Occupancy: 12
; WaveLimiterHint : 1
; COMPUTE_PGM_RSRC2:SCRATCH_EN: 0
; COMPUTE_PGM_RSRC2:USER_SGPR: 6
; COMPUTE_PGM_RSRC2:TRAP_HANDLER: 0
; COMPUTE_PGM_RSRC2:TGID_X_EN: 1
; COMPUTE_PGM_RSRC2:TGID_Y_EN: 1
; COMPUTE_PGM_RSRC2:TGID_Z_EN: 1
; COMPUTE_PGM_RSRC2:TIDIG_COMP_CNT: 0
	.section	.text._ZN4vllm25paged_attention_v1_kernelI14__hip_bfloat16hLi80ELi8ELi128ELNS_18Fp8KVCacheDataTypeE1ELb0EEEvPT_PKS3_PKT0_S9_ifPKiSB_iPKfiiiSD_SD_iiiii,"axG",@progbits,_ZN4vllm25paged_attention_v1_kernelI14__hip_bfloat16hLi80ELi8ELi128ELNS_18Fp8KVCacheDataTypeE1ELb0EEEvPT_PKS3_PKT0_S9_ifPKiSB_iPKfiiiSD_SD_iiiii,comdat
	.protected	_ZN4vllm25paged_attention_v1_kernelI14__hip_bfloat16hLi80ELi8ELi128ELNS_18Fp8KVCacheDataTypeE1ELb0EEEvPT_PKS3_PKT0_S9_ifPKiSB_iPKfiiiSD_SD_iiiii ; -- Begin function _ZN4vllm25paged_attention_v1_kernelI14__hip_bfloat16hLi80ELi8ELi128ELNS_18Fp8KVCacheDataTypeE1ELb0EEEvPT_PKS3_PKT0_S9_ifPKiSB_iPKfiiiSD_SD_iiiii
	.globl	_ZN4vllm25paged_attention_v1_kernelI14__hip_bfloat16hLi80ELi8ELi128ELNS_18Fp8KVCacheDataTypeE1ELb0EEEvPT_PKS3_PKT0_S9_ifPKiSB_iPKfiiiSD_SD_iiiii
	.p2align	8
	.type	_ZN4vllm25paged_attention_v1_kernelI14__hip_bfloat16hLi80ELi8ELi128ELNS_18Fp8KVCacheDataTypeE1ELb0EEEvPT_PKS3_PKT0_S9_ifPKiSB_iPKfiiiSD_SD_iiiii,@function
_ZN4vllm25paged_attention_v1_kernelI14__hip_bfloat16hLi80ELi8ELi128ELNS_18Fp8KVCacheDataTypeE1ELb0EEEvPT_PKS3_PKT0_S9_ifPKiSB_iPKfiiiSD_SD_iiiii: ; @_ZN4vllm25paged_attention_v1_kernelI14__hip_bfloat16hLi80ELi8ELi128ELNS_18Fp8KVCacheDataTypeE1ELb0EEEvPT_PKS3_PKT0_S9_ifPKiSB_iPKfiiiSD_SD_iiiii
; %bb.0:
	s_clause 0x2
	s_load_dword s9, s[4:5], 0x80
	s_load_dwordx2 s[0:1], s[4:5], 0x30
	s_load_dwordx2 s[28:29], s[4:5], 0x20
	s_mov_b32 s10, s7
	s_ashr_i32 s11, s7, 31
	s_lshl_b64 s[2:3], s[10:11], 2
	s_waitcnt lgkmcnt(0)
	s_add_u32 s0, s0, s2
	s_addc_u32 s1, s1, s3
	s_abs_i32 s2, s28
	s_abs_i32 s11, s9
	v_cvt_f32_u32_e32 v1, s2
	s_sub_i32 s7, 0, s2
	v_rcp_iflag_f32_e32 v1, v1
	v_mul_f32_e32 v1, 0x4f7ffffe, v1
	v_cvt_u32_f32_e32 v1, v1
	v_readfirstlane_b32 s3, v1
	s_mul_i32 s7, s7, s3
	s_mul_hi_u32 s7, s3, s7
	s_add_i32 s3, s3, s7
	s_xor_b32 s7, s9, s28
	s_mul_hi_u32 s3, s11, s3
	s_ashr_i32 s7, s7, 31
	s_mul_i32 s12, s3, s2
	s_mov_b32 s28, 0
	s_sub_i32 s11, s11, s12
	s_add_i32 s12, s3, 1
	s_sub_i32 s13, s11, s2
	s_cmp_ge_u32 s11, s2
	s_cselect_b32 s3, s12, s3
	s_cselect_b32 s11, s13, s11
	s_add_i32 s12, s3, 1
	s_cmp_ge_u32 s11, s2
	s_cselect_b32 s2, s12, s3
	s_abs_i32 s17, s6
	s_xor_b32 s2, s2, s7
	s_sub_i32 s19, s2, s7
	s_load_dwordx2 s[2:3], s[4:5], 0x40
	s_abs_i32 s16, s19
	v_cvt_f32_u32_e32 v1, s16
	s_sub_i32 s11, 0, s16
	v_rcp_iflag_f32_e32 v1, v1
	v_mul_f32_e32 v1, 0x4f7ffffe, v1
	v_cvt_u32_f32_e32 v1, v1
	v_readfirstlane_b32 s7, v1
	s_mul_i32 s11, s11, s7
	s_mul_hi_u32 s11, s7, s11
	s_add_i32 s7, s7, s11
	s_waitcnt lgkmcnt(0)
	s_cmp_eq_u64 s[2:3], 0
	s_mul_hi_u32 s18, s17, s7
	s_cbranch_scc1 .LBB315_2
; %bb.1:
	s_ashr_i32 s7, s6, 31
	s_lshl_b64 s[12:13], s[6:7], 2
	s_add_u32 s2, s2, s12
	s_addc_u32 s3, s3, s13
	s_load_dword s28, s[2:3], 0x0
.LBB315_2:
	s_load_dword s11, s[0:1], 0x0
	s_load_dwordx4 s[12:15], s[4:5], 0x48
	v_and_b32_e32 v1, 3, v0
	s_ashr_i32 s0, s6, 31
	s_ashr_i32 s1, s19, 31
	s_mulk_i32 s6, 0x50
	s_mov_b32 s2, exec_lo
	v_cmpx_gt_u32_e32 40, v0
	s_cbranch_execz .LBB315_4
; %bb.3:
	s_load_dwordx2 s[20:21], s[4:5], 0x8
	s_waitcnt lgkmcnt(0)
	s_mul_i32 s22, s12, s10
	v_lshlrev_b32_e32 v2, 2, v0
	s_ashr_i32 s23, s22, 31
	v_and_b32_e32 v3, 0x3fc, v0
	s_lshl_b64 s[22:23], s[22:23], 1
	v_mad_u32_u24 v3, v1, 40, v3
	s_add_u32 s3, s20, s22
	s_addc_u32 s12, s21, s23
	s_ashr_i32 s7, s6, 31
	s_lshl_b64 s[20:21], s[6:7], 1
	s_add_u32 s20, s3, s20
	s_addc_u32 s21, s12, s21
	global_load_dword v2, v2, s[20:21]
	s_waitcnt vmcnt(0)
	ds_write_b32 v3, v2
.LBB315_4:
	s_or_b32 exec_lo, exec_lo, s2
	s_waitcnt lgkmcnt(0)
	s_add_i32 s2, s11, 7
	s_clause 0x1
	s_load_dwordx2 s[22:23], s[4:5], 0x28
	s_load_dword s7, s[4:5], 0x38
	s_ashr_i32 s3, s2, 31
	s_xor_b32 s0, s0, s1
	s_lshr_b32 s3, s3, 29
	s_mul_i32 s1, s18, s16
	s_add_i32 s2, s2, s3
	s_sub_i32 s1, s17, s1
	s_ashr_i32 s12, s2, 3
	s_add_i32 s2, s18, 1
	s_sub_i32 s3, s1, s16
	s_cmp_ge_u32 s1, s16
	v_lshrrev_b32_e32 v21, 5, v0
	s_cselect_b32 s2, s2, s18
	s_cselect_b32 s1, s3, s1
	s_add_i32 s3, s2, 1
	s_cmp_ge_u32 s1, s16
	v_mbcnt_lo_u32_b32 v10, -1, 0
	s_cselect_b32 s1, s3, s2
	s_waitcnt lgkmcnt(0)
	s_xor_b32 s1, s1, s0
	s_mul_i32 s24, s7, s10
	s_sub_i32 s15, s1, s0
	v_cmp_gt_i32_e64 s0, s12, v21
	s_ashr_i32 s25, s24, 31
	s_mov_b32 s1, exec_lo
	s_barrier
	buffer_gl0_inv
                                        ; implicit-def: $vgpr2
                                        ; implicit-def: $vgpr11
	v_cmpx_le_i32_e64 s12, v21
	s_xor_b32 s1, exec_lo, s1
; %bb.5:
	v_mov_b32_e32 v2, 0
	v_mbcnt_lo_u32_b32 v10, -1, 0
	v_mov_b32_e32 v11, 32
                                        ; implicit-def: $vgpr1
; %bb.6:
	s_or_saveexec_b32 s30, s1
	s_clause 0x3
	s_load_dwordx2 s[20:21], s[4:5], 0x0
	s_load_dwordx2 s[26:27], s[4:5], 0x18
	s_load_dword s7, s[4:5], 0x88
	s_load_dwordx4 s[16:19], s[4:5], 0x58
	v_mov_b32_e32 v29, 0xff7fffff
	v_lshrrev_b32_e32 v9, 3, v0
	s_mul_i32 s15, s15, s14
	s_xor_b32 exec_lo, exec_lo, s30
	s_cbranch_execz .LBB315_172
; %bb.7:
	v_mul_u32_u24_e32 v7, 40, v1
	s_load_dwordx2 s[2:3], s[4:5], 0x10
	v_bfe_u32 v29, v0, 2, 3
	s_ashr_i32 s1, s15, 31
	s_waitcnt lgkmcnt(0)
	s_load_dword s4, s[16:17], 0x0
	ds_read2_b64 v[3:6], v7 offset1:1
	ds_read2_b64 v[25:28], v7 offset0:2 offset1:3
	ds_read_b64 v[7:8], v7 offset:32
	v_lshlrev_b32_e32 v11, 4, v29
	v_lshlrev_b32_e32 v36, 1, v1
	v_mov_b32_e32 v2, 0
	v_mov_b32_e32 v39, 0xffff
	;; [unrolled: 1-line block ×3, first 2 shown]
	s_mov_b32 s16, s13
	s_mov_b32 s14, 0
	s_add_u32 s2, s2, s15
	s_addc_u32 s1, s3, s1
	v_add_co_u32 v37, s2, s2, v11
	s_waitcnt lgkmcnt(0)
	v_lshlrev_b32_e32 v12, 16, v3
	v_and_b32_e32 v13, 0xffff0000, v3
	v_xor_b32_e32 v3, 2, v10
	v_lshlrev_b32_e32 v14, 16, v4
	v_and_b32_e32 v15, 0xffff0000, v4
	v_xor_b32_e32 v4, 1, v10
	v_add_co_ci_u32_e64 v38, null, s1, 0, s2
	v_cmp_gt_i32_e32 vcc_lo, 32, v3
	v_lshlrev_b32_e32 v16, 16, v5
	v_and_b32_e32 v17, 0xffff0000, v5
	v_and_b32_e32 v5, 0x7c, v9
	s_sub_i32 s5, 1, s11
	v_cndmask_b32_e32 v3, v10, v3, vcc_lo
	v_cmp_gt_i32_e32 vcc_lo, 32, v4
	v_lshlrev_b32_e32 v18, 16, v6
	v_and_b32_e32 v19, 0xffff0000, v6
	v_lshlrev_b32_e32 v20, 16, v25
	v_lshlrev_b32_e32 v34, 2, v3
	v_cndmask_b32_e32 v4, v10, v4, vcc_lo
	v_cmp_eq_u32_e32 vcc_lo, 0, v1
	v_lshlrev_b32_e32 v1, 2, v29
	v_add_co_u32 v3, s2, v37, v36
	v_lshlrev_b32_e32 v35, 2, v4
	v_add_co_ci_u32_e64 v4, null, 0, v38, s2
	s_lshl_b64 s[2:3], s[24:25], 2
	v_lshl_or_b32 v1, v21, 5, v1
	s_add_u32 s2, s22, s2
	s_addc_u32 s3, s23, s3
	v_add_co_u32 v5, s2, s2, v5
	v_and_b32_e32 v22, 0xffff0000, v25
	v_lshlrev_b32_e32 v23, 16, v26
	v_and_b32_e32 v24, 0xffff0000, v26
	v_lshlrev_b32_e32 v25, 16, v27
	;; [unrolled: 2-line block ×5, first 2 shown]
	v_and_b32_e32 v33, 0xffff0000, v8
	v_mov_b32_e32 v11, 32
	v_cmp_neq_f32_e64 s1, s28, 0
	v_lshl_or_b32 v36, v21, 3, v29
	v_add_nc_u32_e32 v37, 0xc0, v1
	v_add_co_ci_u32_e64 v6, null, s3, 0, s2
	v_mov_b32_e32 v29, 0xff7fffff
	v_mov_b32_e32 v38, 0x80
	s_branch .LBB315_9
.LBB315_8:                              ;   in Loop: Header=BB315_9 Depth=1
	s_or_b32 exec_lo, exec_lo, s3
	v_add_nc_u32_e32 v40, 4, v40
	v_add_co_u32 v5, s3, v5, 16
	v_add_nc_u32_e32 v36, 32, v36
	v_add_nc_u32_e32 v37, 0x80, v37
	v_cmp_le_i32_e64 s2, s12, v40
	v_add_co_ci_u32_e64 v6, null, 0, v6, s3
	s_or_b32 s14, s2, s14
	s_andn2_b32 exec_lo, exec_lo, s14
	s_cbranch_execz .LBB315_171
.LBB315_9:                              ; =>This Inner Loop Header: Depth=1
	global_load_dword v1, v[5:6], off
	v_mov_b32_e32 v41, 0
	s_waitcnt vmcnt(0) lgkmcnt(0)
	v_mad_i64_i32 v[7:8], null, v1, s16, v[3:4]
	global_load_ushort v1, v[7:8], off
	s_waitcnt vmcnt(0)
	v_and_b32_e32 v43, 0xffff, v1
	v_cmp_ne_u16_sdwa s2, v1, v2 src0_sel:BYTE_0 src1_sel:DWORD
	s_and_saveexec_b32 s3, s2
	s_cbranch_execz .LBB315_17
; %bb.10:                               ;   in Loop: Header=BB315_9 Depth=1
	v_cmp_ne_u16_sdwa s2, v43, v38 src0_sel:BYTE_0 src1_sel:DWORD
	v_bfrev_b32_e32 v41, 1
	s_and_saveexec_b32 s17, s2
	s_cbranch_execz .LBB315_16
; %bb.11:                               ;   in Loop: Header=BB315_9 Depth=1
	v_and_b32_e32 v42, 0x7f, v43
	v_mov_b32_e32 v41, 0x7f800001
	s_mov_b32 s31, exec_lo
	v_cmpx_ne_u32_e32 0x7f, v42
	s_cbranch_execz .LBB315_15
; %bb.12:                               ;   in Loop: Header=BB315_9 Depth=1
	v_and_b32_e32 v1, 7, v43
	v_lshrrev_b32_e32 v41, 3, v42
	s_mov_b32 s33, exec_lo
	v_cmpx_gt_u32_e32 8, v42
; %bb.13:                               ;   in Loop: Header=BB315_9 Depth=1
	v_ffbh_u32_e32 v41, v1
	v_min_u32_e32 v41, 32, v41
	v_subrev_nc_u32_e32 v42, 28, v41
	v_sub_nc_u32_e32 v41, 29, v41
	v_lshlrev_b64 v[44:45], v42, v[1:2]
	v_and_b32_e32 v1, 7, v44
; %bb.14:                               ;   in Loop: Header=BB315_9 Depth=1
	s_or_b32 exec_lo, exec_lo, s33
	v_lshlrev_b32_e32 v42, 24, v43
	v_lshlrev_b32_e32 v1, 20, v1
	v_lshl_add_u32 v41, v41, 23, 0x3c000000
	v_and_b32_e32 v42, 0x80000000, v42
	v_or3_b32 v41, v1, v42, v41
.LBB315_15:                             ;   in Loop: Header=BB315_9 Depth=1
	s_or_b32 exec_lo, exec_lo, s31
.LBB315_16:                             ;   in Loop: Header=BB315_9 Depth=1
	s_or_b32 exec_lo, exec_lo, s17
.LBB315_17:                             ;   in Loop: Header=BB315_9 Depth=1
	s_or_b32 exec_lo, exec_lo, s3
	v_cmp_ne_u16_sdwa s2, v43, v2 src0_sel:BYTE_1 src1_sel:DWORD
	v_mov_b32_e32 v42, 0
	s_and_saveexec_b32 s3, s2
	s_cbranch_execz .LBB315_25
; %bb.18:                               ;   in Loop: Header=BB315_9 Depth=1
	v_cmp_ne_u16_sdwa s2, v43, v38 src0_sel:BYTE_1 src1_sel:DWORD
	v_bfrev_b32_e32 v42, 1
	s_and_saveexec_b32 s17, s2
	s_cbranch_execz .LBB315_24
; %bb.19:                               ;   in Loop: Header=BB315_9 Depth=1
	v_and_b32_sdwa v1, v39, v43 dst_sel:DWORD dst_unused:UNUSED_PAD src0_sel:DWORD src1_sel:BYTE_1
	v_mov_b32_e32 v42, 0x7f800001
	s_mov_b32 s31, exec_lo
	v_and_b32_e32 v44, 0x7f, v1
	v_cmpx_ne_u32_e32 0x7f, v44
	s_cbranch_execz .LBB315_23
; %bb.20:                               ;   in Loop: Header=BB315_9 Depth=1
	v_and_b32_e32 v1, 7, v1
	v_lshrrev_b32_e32 v42, 3, v44
	s_mov_b32 s33, exec_lo
	v_cmpx_gt_u32_e32 8, v44
; %bb.21:                               ;   in Loop: Header=BB315_9 Depth=1
	v_ffbh_u32_e32 v42, v1
	v_min_u32_e32 v42, 32, v42
	v_subrev_nc_u32_e32 v44, 28, v42
	v_sub_nc_u32_e32 v42, 29, v42
	v_lshlrev_b64 v[44:45], v44, v[1:2]
	v_and_b32_e32 v1, 7, v44
; %bb.22:                               ;   in Loop: Header=BB315_9 Depth=1
	s_or_b32 exec_lo, exec_lo, s33
	v_lshlrev_b32_e32 v43, 16, v43
	v_lshlrev_b32_e32 v1, 20, v1
	v_lshl_add_u32 v42, v42, 23, 0x3c000000
	v_and_b32_e32 v43, 0x80000000, v43
	v_or3_b32 v42, v1, v43, v42
.LBB315_23:                             ;   in Loop: Header=BB315_9 Depth=1
	s_or_b32 exec_lo, exec_lo, s31
.LBB315_24:                             ;   in Loop: Header=BB315_9 Depth=1
	s_or_b32 exec_lo, exec_lo, s17
.LBB315_25:                             ;   in Loop: Header=BB315_9 Depth=1
	s_or_b32 exec_lo, exec_lo, s3
	global_load_ushort v1, v[7:8], off offset:8
	v_mov_b32_e32 v44, 0
	v_mov_b32_e32 v43, 0
	s_waitcnt vmcnt(0)
	v_and_b32_e32 v45, 0xffff, v1
	v_cmp_ne_u16_sdwa s2, v1, v2 src0_sel:BYTE_0 src1_sel:DWORD
	s_and_saveexec_b32 s3, s2
	s_cbranch_execz .LBB315_33
; %bb.26:                               ;   in Loop: Header=BB315_9 Depth=1
	v_cmp_ne_u16_sdwa s2, v45, v38 src0_sel:BYTE_0 src1_sel:DWORD
	v_bfrev_b32_e32 v43, 1
	s_and_saveexec_b32 s17, s2
	s_cbranch_execz .LBB315_32
; %bb.27:                               ;   in Loop: Header=BB315_9 Depth=1
	v_and_b32_e32 v46, 0x7f, v45
	v_mov_b32_e32 v43, 0x7f800001
	s_mov_b32 s31, exec_lo
	v_cmpx_ne_u32_e32 0x7f, v46
	s_cbranch_execz .LBB315_31
; %bb.28:                               ;   in Loop: Header=BB315_9 Depth=1
	v_and_b32_e32 v1, 7, v45
	v_lshrrev_b32_e32 v43, 3, v46
	s_mov_b32 s33, exec_lo
	v_cmpx_gt_u32_e32 8, v46
; %bb.29:                               ;   in Loop: Header=BB315_9 Depth=1
	v_ffbh_u32_e32 v43, v1
	v_min_u32_e32 v43, 32, v43
	v_subrev_nc_u32_e32 v46, 28, v43
	v_sub_nc_u32_e32 v43, 29, v43
	v_lshlrev_b64 v[46:47], v46, v[1:2]
	v_and_b32_e32 v1, 7, v46
; %bb.30:                               ;   in Loop: Header=BB315_9 Depth=1
	s_or_b32 exec_lo, exec_lo, s33
	v_lshlrev_b32_e32 v46, 24, v45
	v_lshlrev_b32_e32 v1, 20, v1
	v_lshl_add_u32 v43, v43, 23, 0x3c000000
	v_and_b32_e32 v46, 0x80000000, v46
	v_or3_b32 v43, v1, v46, v43
.LBB315_31:                             ;   in Loop: Header=BB315_9 Depth=1
	s_or_b32 exec_lo, exec_lo, s31
.LBB315_32:                             ;   in Loop: Header=BB315_9 Depth=1
	s_or_b32 exec_lo, exec_lo, s17
.LBB315_33:                             ;   in Loop: Header=BB315_9 Depth=1
	s_or_b32 exec_lo, exec_lo, s3
	v_cmp_ne_u16_sdwa s2, v45, v2 src0_sel:BYTE_1 src1_sel:DWORD
	s_and_saveexec_b32 s3, s2
	s_cbranch_execz .LBB315_41
; %bb.34:                               ;   in Loop: Header=BB315_9 Depth=1
	v_cmp_ne_u16_sdwa s2, v45, v38 src0_sel:BYTE_1 src1_sel:DWORD
	v_bfrev_b32_e32 v44, 1
	s_and_saveexec_b32 s17, s2
	s_cbranch_execz .LBB315_40
; %bb.35:                               ;   in Loop: Header=BB315_9 Depth=1
	v_and_b32_sdwa v1, v39, v45 dst_sel:DWORD dst_unused:UNUSED_PAD src0_sel:DWORD src1_sel:BYTE_1
	v_mov_b32_e32 v44, 0x7f800001
	s_mov_b32 s31, exec_lo
	v_and_b32_e32 v46, 0x7f, v1
	v_cmpx_ne_u32_e32 0x7f, v46
	s_cbranch_execz .LBB315_39
; %bb.36:                               ;   in Loop: Header=BB315_9 Depth=1
	v_and_b32_e32 v1, 7, v1
	v_lshrrev_b32_e32 v44, 3, v46
	s_mov_b32 s33, exec_lo
	v_cmpx_gt_u32_e32 8, v46
; %bb.37:                               ;   in Loop: Header=BB315_9 Depth=1
	v_ffbh_u32_e32 v44, v1
	v_min_u32_e32 v44, 32, v44
	v_subrev_nc_u32_e32 v46, 28, v44
	v_sub_nc_u32_e32 v44, 29, v44
	v_lshlrev_b64 v[46:47], v46, v[1:2]
	v_and_b32_e32 v1, 7, v46
; %bb.38:                               ;   in Loop: Header=BB315_9 Depth=1
	s_or_b32 exec_lo, exec_lo, s33
	v_lshlrev_b32_e32 v45, 16, v45
	v_lshlrev_b32_e32 v1, 20, v1
	v_lshl_add_u32 v44, v44, 23, 0x3c000000
	v_and_b32_e32 v45, 0x80000000, v45
	v_or3_b32 v44, v1, v45, v44
.LBB315_39:                             ;   in Loop: Header=BB315_9 Depth=1
	s_or_b32 exec_lo, exec_lo, s31
.LBB315_40:                             ;   in Loop: Header=BB315_9 Depth=1
	s_or_b32 exec_lo, exec_lo, s17
.LBB315_41:                             ;   in Loop: Header=BB315_9 Depth=1
	s_or_b32 exec_lo, exec_lo, s3
	global_load_ushort v1, v[7:8], off offset:128
	v_mov_b32_e32 v45, 0
	v_mov_b32_e32 v46, 0
	s_waitcnt vmcnt(0)
	v_and_b32_e32 v47, 0xffff, v1
	v_cmp_ne_u16_sdwa s2, v1, v2 src0_sel:BYTE_0 src1_sel:DWORD
	s_and_saveexec_b32 s3, s2
	s_cbranch_execz .LBB315_49
; %bb.42:                               ;   in Loop: Header=BB315_9 Depth=1
	v_cmp_ne_u16_sdwa s2, v47, v38 src0_sel:BYTE_0 src1_sel:DWORD
	v_bfrev_b32_e32 v46, 1
	s_and_saveexec_b32 s17, s2
	s_cbranch_execz .LBB315_48
; %bb.43:                               ;   in Loop: Header=BB315_9 Depth=1
	v_and_b32_e32 v48, 0x7f, v47
	v_mov_b32_e32 v46, 0x7f800001
	s_mov_b32 s31, exec_lo
	v_cmpx_ne_u32_e32 0x7f, v48
	s_cbranch_execz .LBB315_47
; %bb.44:                               ;   in Loop: Header=BB315_9 Depth=1
	v_and_b32_e32 v1, 7, v47
	v_lshrrev_b32_e32 v46, 3, v48
	s_mov_b32 s33, exec_lo
	v_cmpx_gt_u32_e32 8, v48
; %bb.45:                               ;   in Loop: Header=BB315_9 Depth=1
	v_ffbh_u32_e32 v46, v1
	v_min_u32_e32 v46, 32, v46
	v_subrev_nc_u32_e32 v48, 28, v46
	v_sub_nc_u32_e32 v46, 29, v46
	v_lshlrev_b64 v[48:49], v48, v[1:2]
	v_and_b32_e32 v1, 7, v48
; %bb.46:                               ;   in Loop: Header=BB315_9 Depth=1
	s_or_b32 exec_lo, exec_lo, s33
	v_lshlrev_b32_e32 v48, 24, v47
	v_lshlrev_b32_e32 v1, 20, v1
	v_lshl_add_u32 v46, v46, 23, 0x3c000000
	v_and_b32_e32 v48, 0x80000000, v48
	v_or3_b32 v46, v1, v48, v46
.LBB315_47:                             ;   in Loop: Header=BB315_9 Depth=1
	s_or_b32 exec_lo, exec_lo, s31
.LBB315_48:                             ;   in Loop: Header=BB315_9 Depth=1
	s_or_b32 exec_lo, exec_lo, s17
.LBB315_49:                             ;   in Loop: Header=BB315_9 Depth=1
	s_or_b32 exec_lo, exec_lo, s3
	v_cmp_ne_u16_sdwa s2, v47, v2 src0_sel:BYTE_1 src1_sel:DWORD
	s_and_saveexec_b32 s3, s2
	s_cbranch_execz .LBB315_57
; %bb.50:                               ;   in Loop: Header=BB315_9 Depth=1
	v_cmp_ne_u16_sdwa s2, v47, v38 src0_sel:BYTE_1 src1_sel:DWORD
	v_bfrev_b32_e32 v45, 1
	s_and_saveexec_b32 s17, s2
	s_cbranch_execz .LBB315_56
; %bb.51:                               ;   in Loop: Header=BB315_9 Depth=1
	v_and_b32_sdwa v1, v39, v47 dst_sel:DWORD dst_unused:UNUSED_PAD src0_sel:DWORD src1_sel:BYTE_1
	v_mov_b32_e32 v45, 0x7f800001
	s_mov_b32 s31, exec_lo
	v_and_b32_e32 v48, 0x7f, v1
	v_cmpx_ne_u32_e32 0x7f, v48
	s_cbranch_execz .LBB315_55
; %bb.52:                               ;   in Loop: Header=BB315_9 Depth=1
	v_and_b32_e32 v1, 7, v1
	v_lshrrev_b32_e32 v45, 3, v48
	s_mov_b32 s33, exec_lo
	v_cmpx_gt_u32_e32 8, v48
; %bb.53:                               ;   in Loop: Header=BB315_9 Depth=1
	v_ffbh_u32_e32 v45, v1
	v_min_u32_e32 v45, 32, v45
	v_subrev_nc_u32_e32 v48, 28, v45
	v_sub_nc_u32_e32 v45, 29, v45
	v_lshlrev_b64 v[48:49], v48, v[1:2]
	v_and_b32_e32 v1, 7, v48
; %bb.54:                               ;   in Loop: Header=BB315_9 Depth=1
	s_or_b32 exec_lo, exec_lo, s33
	v_lshlrev_b32_e32 v47, 16, v47
	v_lshlrev_b32_e32 v1, 20, v1
	v_lshl_add_u32 v45, v45, 23, 0x3c000000
	v_and_b32_e32 v47, 0x80000000, v47
	v_or3_b32 v45, v1, v47, v45
.LBB315_55:                             ;   in Loop: Header=BB315_9 Depth=1
	s_or_b32 exec_lo, exec_lo, s31
.LBB315_56:                             ;   in Loop: Header=BB315_9 Depth=1
	s_or_b32 exec_lo, exec_lo, s17
.LBB315_57:                             ;   in Loop: Header=BB315_9 Depth=1
	s_or_b32 exec_lo, exec_lo, s3
	global_load_ushort v1, v[7:8], off offset:136
	v_mov_b32_e32 v48, 0
	v_mov_b32_e32 v47, 0
	s_waitcnt vmcnt(0)
	v_and_b32_e32 v49, 0xffff, v1
	v_cmp_ne_u16_sdwa s2, v1, v2 src0_sel:BYTE_0 src1_sel:DWORD
	s_and_saveexec_b32 s3, s2
	s_cbranch_execz .LBB315_65
; %bb.58:                               ;   in Loop: Header=BB315_9 Depth=1
	v_cmp_ne_u16_sdwa s2, v49, v38 src0_sel:BYTE_0 src1_sel:DWORD
	v_bfrev_b32_e32 v47, 1
	s_and_saveexec_b32 s17, s2
	s_cbranch_execz .LBB315_64
; %bb.59:                               ;   in Loop: Header=BB315_9 Depth=1
	v_and_b32_e32 v50, 0x7f, v49
	v_mov_b32_e32 v47, 0x7f800001
	s_mov_b32 s31, exec_lo
	v_cmpx_ne_u32_e32 0x7f, v50
	s_cbranch_execz .LBB315_63
; %bb.60:                               ;   in Loop: Header=BB315_9 Depth=1
	v_and_b32_e32 v1, 7, v49
	v_lshrrev_b32_e32 v47, 3, v50
	s_mov_b32 s33, exec_lo
	v_cmpx_gt_u32_e32 8, v50
; %bb.61:                               ;   in Loop: Header=BB315_9 Depth=1
	v_ffbh_u32_e32 v47, v1
	v_min_u32_e32 v47, 32, v47
	v_subrev_nc_u32_e32 v50, 28, v47
	v_sub_nc_u32_e32 v47, 29, v47
	v_lshlrev_b64 v[50:51], v50, v[1:2]
	v_and_b32_e32 v1, 7, v50
; %bb.62:                               ;   in Loop: Header=BB315_9 Depth=1
	s_or_b32 exec_lo, exec_lo, s33
	v_lshlrev_b32_e32 v50, 24, v49
	v_lshlrev_b32_e32 v1, 20, v1
	v_lshl_add_u32 v47, v47, 23, 0x3c000000
	v_and_b32_e32 v50, 0x80000000, v50
	v_or3_b32 v47, v1, v50, v47
.LBB315_63:                             ;   in Loop: Header=BB315_9 Depth=1
	s_or_b32 exec_lo, exec_lo, s31
.LBB315_64:                             ;   in Loop: Header=BB315_9 Depth=1
	s_or_b32 exec_lo, exec_lo, s17
.LBB315_65:                             ;   in Loop: Header=BB315_9 Depth=1
	s_or_b32 exec_lo, exec_lo, s3
	v_cmp_ne_u16_sdwa s2, v49, v2 src0_sel:BYTE_1 src1_sel:DWORD
	s_and_saveexec_b32 s3, s2
	s_cbranch_execz .LBB315_73
; %bb.66:                               ;   in Loop: Header=BB315_9 Depth=1
	v_cmp_ne_u16_sdwa s2, v49, v38 src0_sel:BYTE_1 src1_sel:DWORD
	v_bfrev_b32_e32 v48, 1
	s_and_saveexec_b32 s17, s2
	s_cbranch_execz .LBB315_72
; %bb.67:                               ;   in Loop: Header=BB315_9 Depth=1
	v_and_b32_sdwa v1, v39, v49 dst_sel:DWORD dst_unused:UNUSED_PAD src0_sel:DWORD src1_sel:BYTE_1
	v_mov_b32_e32 v48, 0x7f800001
	s_mov_b32 s31, exec_lo
	v_and_b32_e32 v50, 0x7f, v1
	v_cmpx_ne_u32_e32 0x7f, v50
	s_cbranch_execz .LBB315_71
; %bb.68:                               ;   in Loop: Header=BB315_9 Depth=1
	v_and_b32_e32 v1, 7, v1
	v_lshrrev_b32_e32 v48, 3, v50
	s_mov_b32 s33, exec_lo
	v_cmpx_gt_u32_e32 8, v50
; %bb.69:                               ;   in Loop: Header=BB315_9 Depth=1
	v_ffbh_u32_e32 v48, v1
	v_min_u32_e32 v48, 32, v48
	v_subrev_nc_u32_e32 v50, 28, v48
	v_sub_nc_u32_e32 v48, 29, v48
	v_lshlrev_b64 v[50:51], v50, v[1:2]
	v_and_b32_e32 v1, 7, v50
; %bb.70:                               ;   in Loop: Header=BB315_9 Depth=1
	s_or_b32 exec_lo, exec_lo, s33
	v_lshlrev_b32_e32 v49, 16, v49
	v_lshlrev_b32_e32 v1, 20, v1
	v_lshl_add_u32 v48, v48, 23, 0x3c000000
	v_and_b32_e32 v49, 0x80000000, v49
	v_or3_b32 v48, v1, v49, v48
.LBB315_71:                             ;   in Loop: Header=BB315_9 Depth=1
	s_or_b32 exec_lo, exec_lo, s31
.LBB315_72:                             ;   in Loop: Header=BB315_9 Depth=1
	s_or_b32 exec_lo, exec_lo, s17
.LBB315_73:                             ;   in Loop: Header=BB315_9 Depth=1
	s_or_b32 exec_lo, exec_lo, s3
	global_load_ushort v1, v[7:8], off offset:256
	v_mov_b32_e32 v50, 0
	v_mov_b32_e32 v49, 0
	s_waitcnt vmcnt(0)
	v_and_b32_e32 v51, 0xffff, v1
	v_cmp_ne_u16_sdwa s2, v1, v2 src0_sel:BYTE_0 src1_sel:DWORD
	s_and_saveexec_b32 s3, s2
	s_cbranch_execz .LBB315_81
; %bb.74:                               ;   in Loop: Header=BB315_9 Depth=1
	v_cmp_ne_u16_sdwa s2, v51, v38 src0_sel:BYTE_0 src1_sel:DWORD
	v_bfrev_b32_e32 v49, 1
	s_and_saveexec_b32 s17, s2
	s_cbranch_execz .LBB315_80
; %bb.75:                               ;   in Loop: Header=BB315_9 Depth=1
	v_and_b32_e32 v52, 0x7f, v51
	v_mov_b32_e32 v49, 0x7f800001
	s_mov_b32 s31, exec_lo
	v_cmpx_ne_u32_e32 0x7f, v52
	s_cbranch_execz .LBB315_79
; %bb.76:                               ;   in Loop: Header=BB315_9 Depth=1
	v_and_b32_e32 v1, 7, v51
	v_lshrrev_b32_e32 v49, 3, v52
	s_mov_b32 s33, exec_lo
	v_cmpx_gt_u32_e32 8, v52
; %bb.77:                               ;   in Loop: Header=BB315_9 Depth=1
	v_ffbh_u32_e32 v49, v1
	v_min_u32_e32 v49, 32, v49
	v_subrev_nc_u32_e32 v52, 28, v49
	v_sub_nc_u32_e32 v49, 29, v49
	v_lshlrev_b64 v[52:53], v52, v[1:2]
	v_and_b32_e32 v1, 7, v52
; %bb.78:                               ;   in Loop: Header=BB315_9 Depth=1
	s_or_b32 exec_lo, exec_lo, s33
	v_lshlrev_b32_e32 v52, 24, v51
	v_lshlrev_b32_e32 v1, 20, v1
	v_lshl_add_u32 v49, v49, 23, 0x3c000000
	v_and_b32_e32 v52, 0x80000000, v52
	v_or3_b32 v49, v1, v52, v49
.LBB315_79:                             ;   in Loop: Header=BB315_9 Depth=1
	s_or_b32 exec_lo, exec_lo, s31
.LBB315_80:                             ;   in Loop: Header=BB315_9 Depth=1
	s_or_b32 exec_lo, exec_lo, s17
.LBB315_81:                             ;   in Loop: Header=BB315_9 Depth=1
	s_or_b32 exec_lo, exec_lo, s3
	v_cmp_ne_u16_sdwa s2, v51, v2 src0_sel:BYTE_1 src1_sel:DWORD
	s_and_saveexec_b32 s3, s2
	s_cbranch_execz .LBB315_89
; %bb.82:                               ;   in Loop: Header=BB315_9 Depth=1
	v_cmp_ne_u16_sdwa s2, v51, v38 src0_sel:BYTE_1 src1_sel:DWORD
	v_bfrev_b32_e32 v50, 1
	s_and_saveexec_b32 s17, s2
	s_cbranch_execz .LBB315_88
; %bb.83:                               ;   in Loop: Header=BB315_9 Depth=1
	v_and_b32_sdwa v1, v39, v51 dst_sel:DWORD dst_unused:UNUSED_PAD src0_sel:DWORD src1_sel:BYTE_1
	v_mov_b32_e32 v50, 0x7f800001
	s_mov_b32 s31, exec_lo
	v_and_b32_e32 v52, 0x7f, v1
	v_cmpx_ne_u32_e32 0x7f, v52
	s_cbranch_execz .LBB315_87
; %bb.84:                               ;   in Loop: Header=BB315_9 Depth=1
	v_and_b32_e32 v1, 7, v1
	v_lshrrev_b32_e32 v50, 3, v52
	s_mov_b32 s33, exec_lo
	v_cmpx_gt_u32_e32 8, v52
; %bb.85:                               ;   in Loop: Header=BB315_9 Depth=1
	v_ffbh_u32_e32 v50, v1
	v_min_u32_e32 v50, 32, v50
	v_subrev_nc_u32_e32 v52, 28, v50
	v_sub_nc_u32_e32 v50, 29, v50
	v_lshlrev_b64 v[52:53], v52, v[1:2]
	v_and_b32_e32 v1, 7, v52
; %bb.86:                               ;   in Loop: Header=BB315_9 Depth=1
	s_or_b32 exec_lo, exec_lo, s33
	v_lshlrev_b32_e32 v51, 16, v51
	v_lshlrev_b32_e32 v1, 20, v1
	v_lshl_add_u32 v50, v50, 23, 0x3c000000
	v_and_b32_e32 v51, 0x80000000, v51
	v_or3_b32 v50, v1, v51, v50
.LBB315_87:                             ;   in Loop: Header=BB315_9 Depth=1
	s_or_b32 exec_lo, exec_lo, s31
.LBB315_88:                             ;   in Loop: Header=BB315_9 Depth=1
	s_or_b32 exec_lo, exec_lo, s17
.LBB315_89:                             ;   in Loop: Header=BB315_9 Depth=1
	s_or_b32 exec_lo, exec_lo, s3
	global_load_ushort v1, v[7:8], off offset:264
	v_mov_b32_e32 v52, 0
	v_mov_b32_e32 v51, 0
	s_waitcnt vmcnt(0)
	v_and_b32_e32 v53, 0xffff, v1
	v_cmp_ne_u16_sdwa s2, v1, v2 src0_sel:BYTE_0 src1_sel:DWORD
	s_and_saveexec_b32 s3, s2
	s_cbranch_execz .LBB315_97
; %bb.90:                               ;   in Loop: Header=BB315_9 Depth=1
	v_cmp_ne_u16_sdwa s2, v53, v38 src0_sel:BYTE_0 src1_sel:DWORD
	v_bfrev_b32_e32 v51, 1
	s_and_saveexec_b32 s17, s2
	s_cbranch_execz .LBB315_96
; %bb.91:                               ;   in Loop: Header=BB315_9 Depth=1
	v_and_b32_e32 v54, 0x7f, v53
	v_mov_b32_e32 v51, 0x7f800001
	s_mov_b32 s31, exec_lo
	v_cmpx_ne_u32_e32 0x7f, v54
	s_cbranch_execz .LBB315_95
; %bb.92:                               ;   in Loop: Header=BB315_9 Depth=1
	v_and_b32_e32 v1, 7, v53
	v_lshrrev_b32_e32 v51, 3, v54
	s_mov_b32 s33, exec_lo
	v_cmpx_gt_u32_e32 8, v54
; %bb.93:                               ;   in Loop: Header=BB315_9 Depth=1
	v_ffbh_u32_e32 v51, v1
	v_min_u32_e32 v51, 32, v51
	v_subrev_nc_u32_e32 v54, 28, v51
	v_sub_nc_u32_e32 v51, 29, v51
	v_lshlrev_b64 v[54:55], v54, v[1:2]
	v_and_b32_e32 v1, 7, v54
; %bb.94:                               ;   in Loop: Header=BB315_9 Depth=1
	s_or_b32 exec_lo, exec_lo, s33
	v_lshlrev_b32_e32 v54, 24, v53
	v_lshlrev_b32_e32 v1, 20, v1
	v_lshl_add_u32 v51, v51, 23, 0x3c000000
	v_and_b32_e32 v54, 0x80000000, v54
	v_or3_b32 v51, v1, v54, v51
.LBB315_95:                             ;   in Loop: Header=BB315_9 Depth=1
	s_or_b32 exec_lo, exec_lo, s31
.LBB315_96:                             ;   in Loop: Header=BB315_9 Depth=1
	s_or_b32 exec_lo, exec_lo, s17
.LBB315_97:                             ;   in Loop: Header=BB315_9 Depth=1
	s_or_b32 exec_lo, exec_lo, s3
	v_cmp_ne_u16_sdwa s2, v53, v2 src0_sel:BYTE_1 src1_sel:DWORD
	s_and_saveexec_b32 s3, s2
	s_cbranch_execz .LBB315_105
; %bb.98:                               ;   in Loop: Header=BB315_9 Depth=1
	v_cmp_ne_u16_sdwa s2, v53, v38 src0_sel:BYTE_1 src1_sel:DWORD
	v_bfrev_b32_e32 v52, 1
	s_and_saveexec_b32 s17, s2
	s_cbranch_execz .LBB315_104
; %bb.99:                               ;   in Loop: Header=BB315_9 Depth=1
	v_and_b32_sdwa v1, v39, v53 dst_sel:DWORD dst_unused:UNUSED_PAD src0_sel:DWORD src1_sel:BYTE_1
	v_mov_b32_e32 v52, 0x7f800001
	s_mov_b32 s31, exec_lo
	v_and_b32_e32 v54, 0x7f, v1
	v_cmpx_ne_u32_e32 0x7f, v54
	s_cbranch_execz .LBB315_103
; %bb.100:                              ;   in Loop: Header=BB315_9 Depth=1
	v_and_b32_e32 v1, 7, v1
	v_lshrrev_b32_e32 v52, 3, v54
	s_mov_b32 s33, exec_lo
	v_cmpx_gt_u32_e32 8, v54
; %bb.101:                              ;   in Loop: Header=BB315_9 Depth=1
	v_ffbh_u32_e32 v52, v1
	v_min_u32_e32 v52, 32, v52
	v_subrev_nc_u32_e32 v54, 28, v52
	v_sub_nc_u32_e32 v52, 29, v52
	v_lshlrev_b64 v[54:55], v54, v[1:2]
	v_and_b32_e32 v1, 7, v54
; %bb.102:                              ;   in Loop: Header=BB315_9 Depth=1
	s_or_b32 exec_lo, exec_lo, s33
	v_lshlrev_b32_e32 v53, 16, v53
	v_lshlrev_b32_e32 v1, 20, v1
	v_lshl_add_u32 v52, v52, 23, 0x3c000000
	v_and_b32_e32 v53, 0x80000000, v53
	v_or3_b32 v52, v1, v53, v52
.LBB315_103:                            ;   in Loop: Header=BB315_9 Depth=1
	s_or_b32 exec_lo, exec_lo, s31
.LBB315_104:                            ;   in Loop: Header=BB315_9 Depth=1
	s_or_b32 exec_lo, exec_lo, s17
.LBB315_105:                            ;   in Loop: Header=BB315_9 Depth=1
	s_or_b32 exec_lo, exec_lo, s3
	global_load_ushort v1, v[7:8], off offset:384
	v_mov_b32_e32 v54, 0
	v_mov_b32_e32 v53, 0
	s_waitcnt vmcnt(0)
	v_and_b32_e32 v55, 0xffff, v1
	v_cmp_ne_u16_sdwa s2, v1, v2 src0_sel:BYTE_0 src1_sel:DWORD
	s_and_saveexec_b32 s3, s2
	s_cbranch_execz .LBB315_113
; %bb.106:                              ;   in Loop: Header=BB315_9 Depth=1
	v_cmp_ne_u16_sdwa s2, v55, v38 src0_sel:BYTE_0 src1_sel:DWORD
	v_bfrev_b32_e32 v53, 1
	s_and_saveexec_b32 s17, s2
	s_cbranch_execz .LBB315_112
; %bb.107:                              ;   in Loop: Header=BB315_9 Depth=1
	v_and_b32_e32 v56, 0x7f, v55
	v_mov_b32_e32 v53, 0x7f800001
	s_mov_b32 s31, exec_lo
	v_cmpx_ne_u32_e32 0x7f, v56
	s_cbranch_execz .LBB315_111
; %bb.108:                              ;   in Loop: Header=BB315_9 Depth=1
	v_and_b32_e32 v1, 7, v55
	v_lshrrev_b32_e32 v53, 3, v56
	s_mov_b32 s33, exec_lo
	v_cmpx_gt_u32_e32 8, v56
; %bb.109:                              ;   in Loop: Header=BB315_9 Depth=1
	v_ffbh_u32_e32 v53, v1
	v_min_u32_e32 v53, 32, v53
	v_subrev_nc_u32_e32 v56, 28, v53
	v_sub_nc_u32_e32 v53, 29, v53
	v_lshlrev_b64 v[56:57], v56, v[1:2]
	v_and_b32_e32 v1, 7, v56
; %bb.110:                              ;   in Loop: Header=BB315_9 Depth=1
	s_or_b32 exec_lo, exec_lo, s33
	v_lshlrev_b32_e32 v56, 24, v55
	v_lshlrev_b32_e32 v1, 20, v1
	v_lshl_add_u32 v53, v53, 23, 0x3c000000
	v_and_b32_e32 v56, 0x80000000, v56
	v_or3_b32 v53, v1, v56, v53
.LBB315_111:                            ;   in Loop: Header=BB315_9 Depth=1
	s_or_b32 exec_lo, exec_lo, s31
.LBB315_112:                            ;   in Loop: Header=BB315_9 Depth=1
	s_or_b32 exec_lo, exec_lo, s17
.LBB315_113:                            ;   in Loop: Header=BB315_9 Depth=1
	s_or_b32 exec_lo, exec_lo, s3
	v_cmp_ne_u16_sdwa s2, v55, v2 src0_sel:BYTE_1 src1_sel:DWORD
	s_and_saveexec_b32 s3, s2
	s_cbranch_execz .LBB315_121
; %bb.114:                              ;   in Loop: Header=BB315_9 Depth=1
	v_cmp_ne_u16_sdwa s2, v55, v38 src0_sel:BYTE_1 src1_sel:DWORD
	v_bfrev_b32_e32 v54, 1
	s_and_saveexec_b32 s17, s2
	s_cbranch_execz .LBB315_120
; %bb.115:                              ;   in Loop: Header=BB315_9 Depth=1
	v_and_b32_sdwa v1, v39, v55 dst_sel:DWORD dst_unused:UNUSED_PAD src0_sel:DWORD src1_sel:BYTE_1
	v_mov_b32_e32 v54, 0x7f800001
	s_mov_b32 s31, exec_lo
	v_and_b32_e32 v56, 0x7f, v1
	v_cmpx_ne_u32_e32 0x7f, v56
	s_cbranch_execz .LBB315_119
; %bb.116:                              ;   in Loop: Header=BB315_9 Depth=1
	v_and_b32_e32 v1, 7, v1
	v_lshrrev_b32_e32 v54, 3, v56
	s_mov_b32 s33, exec_lo
	v_cmpx_gt_u32_e32 8, v56
; %bb.117:                              ;   in Loop: Header=BB315_9 Depth=1
	v_ffbh_u32_e32 v54, v1
	v_min_u32_e32 v54, 32, v54
	v_subrev_nc_u32_e32 v56, 28, v54
	v_sub_nc_u32_e32 v54, 29, v54
	v_lshlrev_b64 v[56:57], v56, v[1:2]
	v_and_b32_e32 v1, 7, v56
; %bb.118:                              ;   in Loop: Header=BB315_9 Depth=1
	s_or_b32 exec_lo, exec_lo, s33
	v_lshlrev_b32_e32 v55, 16, v55
	v_lshlrev_b32_e32 v1, 20, v1
	v_lshl_add_u32 v54, v54, 23, 0x3c000000
	v_and_b32_e32 v55, 0x80000000, v55
	v_or3_b32 v54, v1, v55, v54
.LBB315_119:                            ;   in Loop: Header=BB315_9 Depth=1
	s_or_b32 exec_lo, exec_lo, s31
.LBB315_120:                            ;   in Loop: Header=BB315_9 Depth=1
	s_or_b32 exec_lo, exec_lo, s17
.LBB315_121:                            ;   in Loop: Header=BB315_9 Depth=1
	s_or_b32 exec_lo, exec_lo, s3
	global_load_ushort v1, v[7:8], off offset:392
	v_mov_b32_e32 v56, 0
	v_mov_b32_e32 v55, 0
	s_waitcnt vmcnt(0)
	v_and_b32_e32 v57, 0xffff, v1
	v_cmp_ne_u16_sdwa s2, v1, v2 src0_sel:BYTE_0 src1_sel:DWORD
	s_and_saveexec_b32 s3, s2
	s_cbranch_execz .LBB315_129
; %bb.122:                              ;   in Loop: Header=BB315_9 Depth=1
	v_cmp_ne_u16_sdwa s2, v57, v38 src0_sel:BYTE_0 src1_sel:DWORD
	v_bfrev_b32_e32 v55, 1
	s_and_saveexec_b32 s17, s2
	s_cbranch_execz .LBB315_128
; %bb.123:                              ;   in Loop: Header=BB315_9 Depth=1
	v_and_b32_e32 v58, 0x7f, v57
	v_mov_b32_e32 v55, 0x7f800001
	s_mov_b32 s31, exec_lo
	v_cmpx_ne_u32_e32 0x7f, v58
	s_cbranch_execz .LBB315_127
; %bb.124:                              ;   in Loop: Header=BB315_9 Depth=1
	v_and_b32_e32 v1, 7, v57
	v_lshrrev_b32_e32 v55, 3, v58
	s_mov_b32 s33, exec_lo
	v_cmpx_gt_u32_e32 8, v58
; %bb.125:                              ;   in Loop: Header=BB315_9 Depth=1
	v_ffbh_u32_e32 v55, v1
	v_min_u32_e32 v55, 32, v55
	v_subrev_nc_u32_e32 v58, 28, v55
	v_sub_nc_u32_e32 v55, 29, v55
	v_lshlrev_b64 v[58:59], v58, v[1:2]
	v_and_b32_e32 v1, 7, v58
; %bb.126:                              ;   in Loop: Header=BB315_9 Depth=1
	s_or_b32 exec_lo, exec_lo, s33
	v_lshlrev_b32_e32 v58, 24, v57
	v_lshlrev_b32_e32 v1, 20, v1
	v_lshl_add_u32 v55, v55, 23, 0x3c000000
	v_and_b32_e32 v58, 0x80000000, v58
	v_or3_b32 v55, v1, v58, v55
.LBB315_127:                            ;   in Loop: Header=BB315_9 Depth=1
	s_or_b32 exec_lo, exec_lo, s31
.LBB315_128:                            ;   in Loop: Header=BB315_9 Depth=1
	s_or_b32 exec_lo, exec_lo, s17
.LBB315_129:                            ;   in Loop: Header=BB315_9 Depth=1
	s_or_b32 exec_lo, exec_lo, s3
	v_cmp_ne_u16_sdwa s2, v57, v2 src0_sel:BYTE_1 src1_sel:DWORD
	s_and_saveexec_b32 s3, s2
	s_cbranch_execz .LBB315_137
; %bb.130:                              ;   in Loop: Header=BB315_9 Depth=1
	v_cmp_ne_u16_sdwa s2, v57, v38 src0_sel:BYTE_1 src1_sel:DWORD
	v_bfrev_b32_e32 v56, 1
	s_and_saveexec_b32 s17, s2
	s_cbranch_execz .LBB315_136
; %bb.131:                              ;   in Loop: Header=BB315_9 Depth=1
	v_and_b32_sdwa v1, v39, v57 dst_sel:DWORD dst_unused:UNUSED_PAD src0_sel:DWORD src1_sel:BYTE_1
	v_mov_b32_e32 v56, 0x7f800001
	s_mov_b32 s31, exec_lo
	v_and_b32_e32 v58, 0x7f, v1
	v_cmpx_ne_u32_e32 0x7f, v58
	s_cbranch_execz .LBB315_135
; %bb.132:                              ;   in Loop: Header=BB315_9 Depth=1
	v_and_b32_e32 v1, 7, v1
	v_lshrrev_b32_e32 v56, 3, v58
	s_mov_b32 s33, exec_lo
	v_cmpx_gt_u32_e32 8, v58
; %bb.133:                              ;   in Loop: Header=BB315_9 Depth=1
	v_ffbh_u32_e32 v56, v1
	v_min_u32_e32 v56, 32, v56
	v_subrev_nc_u32_e32 v58, 28, v56
	v_sub_nc_u32_e32 v56, 29, v56
	v_lshlrev_b64 v[58:59], v58, v[1:2]
	v_and_b32_e32 v1, 7, v58
; %bb.134:                              ;   in Loop: Header=BB315_9 Depth=1
	s_or_b32 exec_lo, exec_lo, s33
	v_lshlrev_b32_e32 v57, 16, v57
	v_lshlrev_b32_e32 v1, 20, v1
	v_lshl_add_u32 v56, v56, 23, 0x3c000000
	v_and_b32_e32 v57, 0x80000000, v57
	v_or3_b32 v56, v1, v57, v56
.LBB315_135:                            ;   in Loop: Header=BB315_9 Depth=1
	s_or_b32 exec_lo, exec_lo, s31
.LBB315_136:                            ;   in Loop: Header=BB315_9 Depth=1
	s_or_b32 exec_lo, exec_lo, s17
.LBB315_137:                            ;   in Loop: Header=BB315_9 Depth=1
	s_or_b32 exec_lo, exec_lo, s3
	global_load_ushort v1, v[7:8], off offset:512
	v_mov_b32_e32 v58, 0
	v_mov_b32_e32 v57, 0
	s_waitcnt vmcnt(0)
	v_and_b32_e32 v59, 0xffff, v1
	v_cmp_ne_u16_sdwa s2, v1, v2 src0_sel:BYTE_0 src1_sel:DWORD
	s_and_saveexec_b32 s3, s2
	s_cbranch_execz .LBB315_145
; %bb.138:                              ;   in Loop: Header=BB315_9 Depth=1
	v_cmp_ne_u16_sdwa s2, v59, v38 src0_sel:BYTE_0 src1_sel:DWORD
	v_bfrev_b32_e32 v57, 1
	s_and_saveexec_b32 s17, s2
	s_cbranch_execz .LBB315_144
; %bb.139:                              ;   in Loop: Header=BB315_9 Depth=1
	v_and_b32_e32 v60, 0x7f, v59
	v_mov_b32_e32 v57, 0x7f800001
	s_mov_b32 s31, exec_lo
	v_cmpx_ne_u32_e32 0x7f, v60
	s_cbranch_execz .LBB315_143
; %bb.140:                              ;   in Loop: Header=BB315_9 Depth=1
	v_and_b32_e32 v1, 7, v59
	v_lshrrev_b32_e32 v57, 3, v60
	s_mov_b32 s33, exec_lo
	v_cmpx_gt_u32_e32 8, v60
; %bb.141:                              ;   in Loop: Header=BB315_9 Depth=1
	v_ffbh_u32_e32 v57, v1
	v_min_u32_e32 v57, 32, v57
	v_subrev_nc_u32_e32 v60, 28, v57
	v_sub_nc_u32_e32 v57, 29, v57
	v_lshlrev_b64 v[60:61], v60, v[1:2]
	v_and_b32_e32 v1, 7, v60
; %bb.142:                              ;   in Loop: Header=BB315_9 Depth=1
	s_or_b32 exec_lo, exec_lo, s33
	v_lshlrev_b32_e32 v60, 24, v59
	v_lshlrev_b32_e32 v1, 20, v1
	v_lshl_add_u32 v57, v57, 23, 0x3c000000
	v_and_b32_e32 v60, 0x80000000, v60
	v_or3_b32 v57, v1, v60, v57
.LBB315_143:                            ;   in Loop: Header=BB315_9 Depth=1
	s_or_b32 exec_lo, exec_lo, s31
.LBB315_144:                            ;   in Loop: Header=BB315_9 Depth=1
	s_or_b32 exec_lo, exec_lo, s17
.LBB315_145:                            ;   in Loop: Header=BB315_9 Depth=1
	s_or_b32 exec_lo, exec_lo, s3
	v_cmp_ne_u16_sdwa s2, v59, v2 src0_sel:BYTE_1 src1_sel:DWORD
	s_and_saveexec_b32 s3, s2
	s_cbranch_execz .LBB315_153
; %bb.146:                              ;   in Loop: Header=BB315_9 Depth=1
	v_cmp_ne_u16_sdwa s2, v59, v38 src0_sel:BYTE_1 src1_sel:DWORD
	v_bfrev_b32_e32 v58, 1
	s_and_saveexec_b32 s17, s2
	s_cbranch_execz .LBB315_152
; %bb.147:                              ;   in Loop: Header=BB315_9 Depth=1
	v_and_b32_sdwa v1, v39, v59 dst_sel:DWORD dst_unused:UNUSED_PAD src0_sel:DWORD src1_sel:BYTE_1
	v_mov_b32_e32 v58, 0x7f800001
	s_mov_b32 s31, exec_lo
	v_and_b32_e32 v60, 0x7f, v1
	v_cmpx_ne_u32_e32 0x7f, v60
	s_cbranch_execz .LBB315_151
; %bb.148:                              ;   in Loop: Header=BB315_9 Depth=1
	v_and_b32_e32 v1, 7, v1
	v_lshrrev_b32_e32 v58, 3, v60
	s_mov_b32 s33, exec_lo
	v_cmpx_gt_u32_e32 8, v60
; %bb.149:                              ;   in Loop: Header=BB315_9 Depth=1
	v_ffbh_u32_e32 v58, v1
	v_min_u32_e32 v58, 32, v58
	v_subrev_nc_u32_e32 v60, 28, v58
	v_sub_nc_u32_e32 v58, 29, v58
	v_lshlrev_b64 v[60:61], v60, v[1:2]
	v_and_b32_e32 v1, 7, v60
; %bb.150:                              ;   in Loop: Header=BB315_9 Depth=1
	s_or_b32 exec_lo, exec_lo, s33
	v_lshlrev_b32_e32 v59, 16, v59
	v_lshlrev_b32_e32 v1, 20, v1
	v_lshl_add_u32 v58, v58, 23, 0x3c000000
	v_and_b32_e32 v59, 0x80000000, v59
	v_or3_b32 v58, v1, v59, v58
.LBB315_151:                            ;   in Loop: Header=BB315_9 Depth=1
	s_or_b32 exec_lo, exec_lo, s31
.LBB315_152:                            ;   in Loop: Header=BB315_9 Depth=1
	s_or_b32 exec_lo, exec_lo, s17
.LBB315_153:                            ;   in Loop: Header=BB315_9 Depth=1
	s_or_b32 exec_lo, exec_lo, s3
	global_load_ushort v1, v[7:8], off offset:520
	v_mov_b32_e32 v7, 0
	v_mov_b32_e32 v59, 0
	s_waitcnt vmcnt(0)
	v_and_b32_e32 v8, 0xffff, v1
	v_cmp_ne_u16_sdwa s2, v1, v2 src0_sel:BYTE_0 src1_sel:DWORD
	s_and_saveexec_b32 s3, s2
	s_cbranch_execz .LBB315_161
; %bb.154:                              ;   in Loop: Header=BB315_9 Depth=1
	v_cmp_ne_u16_sdwa s2, v8, v38 src0_sel:BYTE_0 src1_sel:DWORD
	v_bfrev_b32_e32 v59, 1
	s_and_saveexec_b32 s17, s2
	s_cbranch_execz .LBB315_160
; %bb.155:                              ;   in Loop: Header=BB315_9 Depth=1
	v_and_b32_e32 v60, 0x7f, v8
	v_mov_b32_e32 v59, 0x7f800001
	s_mov_b32 s31, exec_lo
	v_cmpx_ne_u32_e32 0x7f, v60
	s_cbranch_execz .LBB315_159
; %bb.156:                              ;   in Loop: Header=BB315_9 Depth=1
	v_and_b32_e32 v1, 7, v8
	v_lshrrev_b32_e32 v59, 3, v60
	s_mov_b32 s33, exec_lo
	v_cmpx_gt_u32_e32 8, v60
; %bb.157:                              ;   in Loop: Header=BB315_9 Depth=1
	v_ffbh_u32_e32 v59, v1
	v_min_u32_e32 v59, 32, v59
	v_subrev_nc_u32_e32 v60, 28, v59
	v_sub_nc_u32_e32 v59, 29, v59
	v_lshlrev_b64 v[60:61], v60, v[1:2]
	v_and_b32_e32 v1, 7, v60
; %bb.158:                              ;   in Loop: Header=BB315_9 Depth=1
	s_or_b32 exec_lo, exec_lo, s33
	v_lshlrev_b32_e32 v60, 24, v8
	v_lshlrev_b32_e32 v1, 20, v1
	v_lshl_add_u32 v59, v59, 23, 0x3c000000
	v_and_b32_e32 v60, 0x80000000, v60
	v_or3_b32 v59, v1, v60, v59
.LBB315_159:                            ;   in Loop: Header=BB315_9 Depth=1
	s_or_b32 exec_lo, exec_lo, s31
.LBB315_160:                            ;   in Loop: Header=BB315_9 Depth=1
	s_or_b32 exec_lo, exec_lo, s17
.LBB315_161:                            ;   in Loop: Header=BB315_9 Depth=1
	s_or_b32 exec_lo, exec_lo, s3
	v_cmp_ne_u16_sdwa s2, v8, v2 src0_sel:BYTE_1 src1_sel:DWORD
	s_and_saveexec_b32 s3, s2
	s_cbranch_execz .LBB315_169
; %bb.162:                              ;   in Loop: Header=BB315_9 Depth=1
	v_cmp_ne_u16_sdwa s2, v8, v38 src0_sel:BYTE_1 src1_sel:DWORD
	v_bfrev_b32_e32 v7, 1
	s_and_saveexec_b32 s17, s2
	s_cbranch_execz .LBB315_168
; %bb.163:                              ;   in Loop: Header=BB315_9 Depth=1
	v_and_b32_sdwa v1, v39, v8 dst_sel:DWORD dst_unused:UNUSED_PAD src0_sel:DWORD src1_sel:BYTE_1
	v_mov_b32_e32 v7, 0x7f800001
	s_mov_b32 s31, exec_lo
	v_and_b32_e32 v60, 0x7f, v1
	v_cmpx_ne_u32_e32 0x7f, v60
	s_cbranch_execz .LBB315_167
; %bb.164:                              ;   in Loop: Header=BB315_9 Depth=1
	v_and_b32_e32 v1, 7, v1
	v_lshrrev_b32_e32 v7, 3, v60
	s_mov_b32 s33, exec_lo
	v_cmpx_gt_u32_e32 8, v60
; %bb.165:                              ;   in Loop: Header=BB315_9 Depth=1
	v_ffbh_u32_e32 v7, v1
	v_min_u32_e32 v7, 32, v7
	v_subrev_nc_u32_e32 v60, 28, v7
	v_sub_nc_u32_e32 v7, 29, v7
	v_lshlrev_b64 v[60:61], v60, v[1:2]
	v_and_b32_e32 v1, 7, v60
; %bb.166:                              ;   in Loop: Header=BB315_9 Depth=1
	s_or_b32 exec_lo, exec_lo, s33
	v_lshlrev_b32_e32 v8, 16, v8
	v_lshlrev_b32_e32 v1, 20, v1
	v_lshl_add_u32 v7, v7, 23, 0x3c000000
	v_and_b32_e32 v8, 0x80000000, v8
	v_or3_b32 v7, v1, v8, v7
.LBB315_167:                            ;   in Loop: Header=BB315_9 Depth=1
	s_or_b32 exec_lo, exec_lo, s31
.LBB315_168:                            ;   in Loop: Header=BB315_9 Depth=1
	s_or_b32 exec_lo, exec_lo, s17
.LBB315_169:                            ;   in Loop: Header=BB315_9 Depth=1
	s_or_b32 exec_lo, exec_lo, s3
	v_mul_f32_e32 v58, s4, v58
	v_mul_f32_e32 v8, s4, v57
	;; [unrolled: 1-line block ×5, first 2 shown]
	v_bfe_u32 v56, v58, 16, 1
	v_or_b32_e32 v61, 0x400000, v58
	v_cmp_u_f32_e64 s2, v58, v58
	v_mul_f32_e32 v65, s4, v52
	v_bfe_u32 v66, v54, 16, 1
	v_add3_u32 v63, v56, v58, 0x7fff
	v_mul_f32_e32 v48, s4, v48
	v_mul_f32_e32 v44, s4, v44
	v_bfe_u32 v67, v65, 16, 1
	v_mul_f32_e32 v43, s4, v43
	v_cndmask_b32_e64 v58, v63, v61, s2
	v_bfe_u32 v63, v62, 16, 1
	v_cmp_u_f32_e64 s2, v62, v62
	v_bfe_u32 v69, v48, 16, 1
	v_bfe_u32 v70, v44, 16, 1
	v_mul_f32_e32 v42, s4, v42
	v_add3_u32 v52, v63, v62, 0x7fff
	v_or_b32_e32 v63, 0x400000, v62
	v_add3_u32 v62, v66, v54, 0x7fff
	v_add3_u32 v66, v67, v65, 0x7fff
	v_or_b32_e32 v67, 0x400000, v65
	v_add3_u32 v70, v70, v44, 0x7fff
	v_cndmask_b32_e64 v52, v52, v63, s2
	v_cmp_u_f32_e64 s2, v65, v65
	v_or_b32_e32 v71, 0x400000, v44
	v_mul_f32_e32 v41, s4, v41
	v_mul_f32_e32 v46, s4, v46
	;; [unrolled: 1-line block ×3, first 2 shown]
	v_cndmask_b32_e64 v65, v66, v67, s2
	v_add3_u32 v66, v69, v48, 0x7fff
	v_or_b32_e32 v67, 0x400000, v48
	v_cmp_u_f32_e64 s2, v48, v48
	v_bfe_u32 v69, v43, 16, 1
	v_mul_f32_e32 v47, s4, v47
	v_mul_f32_e32 v49, s4, v49
	;; [unrolled: 1-line block ×3, first 2 shown]
	v_cndmask_b32_e64 v48, v66, v67, s2
	v_cmp_u_f32_e64 s2, v44, v44
	v_add3_u32 v66, v69, v43, 0x7fff
	v_bfe_u32 v67, v42, 16, 1
	v_or_b32_e32 v69, 0x400000, v43
	v_bfe_u32 v64, v57, 16, 1
	v_cndmask_b32_e64 v44, v70, v71, s2
	v_cmp_u_f32_e64 s2, v43, v43
	v_add3_u32 v67, v67, v42, 0x7fff
	v_or_b32_e32 v70, 0x400000, v42
	v_bfe_u32 v71, v41, 16, 1
	v_and_b32_e32 v44, 0xffff0000, v44
	v_cndmask_b32_e64 v43, v66, v69, s2
	v_cmp_u_f32_e64 s2, v42, v42
	v_or_b32_e32 v69, 0x400000, v41
	v_bfe_u32 v66, v46, 16, 1
	v_mul_f32_e32 v44, v15, v44
	v_and_b32_e32 v43, 0xffff0000, v43
	v_cndmask_b32_e64 v42, v67, v70, s2
	v_add3_u32 v67, v71, v41, 0x7fff
	v_cmp_u_f32_e64 s2, v41, v41
	v_add3_u32 v66, v66, v46, 0x7fff
	v_or_b32_e32 v70, 0x400000, v46
	v_mul_f32_e32 v43, v14, v43
	v_and_b32_e32 v42, 0xffff0000, v42
	v_cndmask_b32_e64 v41, v67, v69, s2
	v_bfe_u32 v67, v45, 16, 1
	v_cmp_u_f32_e64 s2, v46, v46
	v_or_b32_e32 v69, 0x400000, v45
	v_fmac_f32_e32 v44, v13, v42
	v_and_b32_e32 v41, 0xffff0000, v41
	v_add3_u32 v67, v67, v45, 0x7fff
	v_cndmask_b32_e64 v46, v66, v70, s2
	v_cmp_u_f32_e64 s2, v45, v45
	v_bfe_u32 v42, v49, 16, 1
	v_fmac_f32_e32 v43, v12, v41
	v_bfe_u32 v41, v47, 16, 1
	v_mul_f32_e32 v51, s4, v51
	v_cndmask_b32_e64 v45, v67, v69, s2
	v_or_b32_e32 v69, 0x400000, v47
	v_cmp_u_f32_e64 s2, v47, v47
	v_add3_u32 v41, v41, v47, 0x7fff
	v_bfe_u32 v67, v50, 16, 1
	v_add3_u32 v42, v42, v49, 0x7fff
	v_or_b32_e32 v70, 0x400000, v49
	v_add3_u32 v61, v64, v57, 0x7fff
	v_cndmask_b32_e64 v41, v41, v69, s2
	v_cmp_u_f32_e64 s2, v49, v49
	v_mul_f32_e32 v64, s4, v53
	v_bfe_u32 v66, v51, 16, 1
	v_add3_u32 v67, v67, v50, 0x7fff
	v_and_b32_e32 v46, 0xffff0000, v46
	v_or_b32_e32 v47, 0x400000, v50
	v_and_b32_e32 v45, 0xffff0000, v45
	v_cndmask_b32_e64 v42, v42, v70, s2
	v_cmp_u_f32_e64 s2, v50, v50
	v_bfe_u32 v68, v64, 16, 1
	v_add3_u32 v66, v66, v51, 0x7fff
	v_fmac_f32_e32 v43, v16, v46
	v_fmac_f32_e32 v44, v17, v45
	v_and_b32_e32 v45, 0xffff0000, v48
	v_cndmask_b32_e64 v46, v67, v47, s2
	v_or_b32_e32 v47, 0x400000, v51
	v_cmp_u_f32_e64 s2, v51, v51
	v_add3_u32 v68, v68, v64, 0x7fff
	v_or_b32_e32 v71, 0x400000, v64
	v_and_b32_e32 v41, 0xffff0000, v41
	v_fmac_f32_e32 v44, v19, v45
	v_cndmask_b32_e64 v45, v66, v47, s2
	v_cmp_u_f32_e64 s2, v64, v64
	v_mul_f32_e32 v1, s4, v59
	v_or_b32_e32 v63, 0x400000, v54
	v_fmac_f32_e32 v43, v18, v41
	v_and_b32_e32 v41, 0xffff0000, v42
	v_and_b32_e32 v42, 0xffff0000, v46
	v_cndmask_b32_e64 v46, v68, v71, s2
	v_cmp_u_f32_e64 s2, v54, v54
	v_bfe_u32 v59, v1, 16, 1
	v_bfe_u32 v60, v8, 16, 1
	v_or_b32_e32 v53, 0x400000, v57
	v_fmac_f32_e32 v43, v20, v41
	v_fmac_f32_e32 v44, v22, v42
	v_and_b32_e32 v41, 0xffff0000, v45
	v_and_b32_e32 v42, 0xffff0000, v65
	v_cndmask_b32_e64 v45, v62, v63, s2
	v_cmp_u_f32_e64 s2, v57, v57
	v_add3_u32 v56, v59, v1, 0x7fff
	v_add3_u32 v59, v60, v8, 0x7fff
	v_or_b32_e32 v60, 0x400000, v8
	v_mul_f32_e32 v7, s4, v7
	v_fmac_f32_e32 v44, v24, v42
	v_and_b32_e32 v42, 0xffff0000, v45
	v_cndmask_b32_e64 v45, v61, v53, s2
	v_cmp_u_f32_e64 s2, v8, v8
	v_or_b32_e32 v55, 0x400000, v1
	v_fmac_f32_e32 v43, v23, v41
	v_and_b32_e32 v41, 0xffff0000, v46
	v_bfe_u32 v46, v7, 16, 1
	v_cndmask_b32_e64 v8, v59, v60, s2
	v_cmp_u_f32_e64 s2, v1, v1
	v_fmac_f32_e32 v44, v26, v42
	v_fmac_f32_e32 v43, v25, v41
	v_and_b32_e32 v41, 0xffff0000, v52
	v_and_b32_e32 v42, 0xffff0000, v45
	v_add3_u32 v45, v46, v7, 0x7fff
	v_or_b32_e32 v46, 0x400000, v7
	v_cndmask_b32_e64 v1, v56, v55, s2
	v_cmp_u_f32_e64 s2, v7, v7
	v_fmac_f32_e32 v43, v27, v41
	v_fmac_f32_e32 v44, v28, v42
	v_and_b32_e32 v8, 0xffff0000, v8
	v_and_b32_e32 v41, 0xffff0000, v58
	v_cndmask_b32_e64 v7, v45, v46, s2
	v_and_b32_e32 v1, 0xffff0000, v1
	v_fmac_f32_e32 v43, v30, v8
	v_fmac_f32_e32 v44, v31, v41
	v_and_b32_e32 v7, 0xffff0000, v7
	v_fmac_f32_e32 v43, v32, v1
	v_fmac_f32_e32 v44, v33, v7
	v_add_f32_e32 v1, v43, v44
	ds_bpermute_b32 v7, v34, v1
	s_waitcnt lgkmcnt(0)
	v_add_f32_e32 v1, v1, v7
	ds_bpermute_b32 v7, v35, v1
	s_and_saveexec_b32 s3, vcc_lo
	s_cbranch_execz .LBB315_8
; %bb.170:                              ;   in Loop: Header=BB315_9 Depth=1
	v_add_nc_u32_e32 v8, s5, v36
	s_waitcnt lgkmcnt(0)
	v_add_f32_e32 v1, v1, v7
	v_cmp_gt_i32_e64 s2, s11, v36
	v_cvt_f32_i32_e32 v8, v8
	v_mul_f32_e32 v8, s28, v8
	v_cndmask_b32_e64 v7, 0, v8, s1
	v_max_f32_e32 v8, v29, v29
	v_fmac_f32_e32 v7, s29, v1
	v_max_f32_e32 v1, v8, v7
	v_cndmask_b32_e64 v7, 0, v7, s2
	v_cndmask_b32_e64 v29, v29, v1, s2
	ds_write_b32 v37, v7
	s_branch .LBB315_8
.LBB315_171:
	s_or_b32 exec_lo, exec_lo, s14
.LBB315_172:
	s_or_b32 exec_lo, exec_lo, s30
	v_xor_b32_e32 v1, 16, v10
	v_xor_b32_e32 v4, 8, v10
	v_max_f32_e32 v5, v29, v29
	v_and_b32_e32 v22, 31, v0
	v_cmp_lt_i32_e32 vcc_lo, v1, v11
	v_cndmask_b32_e32 v1, v10, v1, vcc_lo
	v_cmp_lt_i32_e32 vcc_lo, v4, v11
	v_lshlrev_b32_e32 v1, 2, v1
	v_cndmask_b32_e32 v4, v10, v4, vcc_lo
	ds_bpermute_b32 v3, v1, v29
	s_waitcnt lgkmcnt(0)
	v_max_f32_e32 v6, v3, v3
	v_lshlrev_b32_e32 v3, 2, v4
	v_max_f32_e32 v4, v5, v6
	v_xor_b32_e32 v6, 4, v10
	ds_bpermute_b32 v5, v3, v4
	v_cmp_lt_i32_e32 vcc_lo, v6, v11
	v_cndmask_b32_e32 v6, v10, v6, vcc_lo
	v_cmp_eq_u32_e32 vcc_lo, 0, v22
	v_lshlrev_b32_e32 v6, 2, v6
	s_waitcnt lgkmcnt(0)
	v_max_f32_e32 v5, v5, v5
	v_max_f32_e32 v5, v4, v5
	v_lshlrev_b32_e32 v4, 2, v21
	ds_bpermute_b32 v7, v6, v5
	s_and_saveexec_b32 s1, vcc_lo
	s_cbranch_execz .LBB315_174
; %bb.173:
	s_waitcnt lgkmcnt(0)
	v_max_f32_e32 v7, v7, v7
	v_max_f32_e32 v5, v5, v5
	;; [unrolled: 1-line block ×3, first 2 shown]
	ds_write_b32 v4, v5 offset:160
.LBB315_174:
	s_or_b32 exec_lo, exec_lo, s1
	v_cmp_gt_u32_e64 s1, 4, v22
	v_mov_b32_e32 v8, 0xff7fffff
	v_lshlrev_b32_e32 v5, 2, v22
	s_waitcnt lgkmcnt(0)
	s_barrier
	buffer_gl0_inv
	s_and_saveexec_b32 s2, s1
; %bb.175:
	ds_read_b32 v8, v5 offset:160
; %bb.176:
	s_or_b32 exec_lo, exec_lo, s2
	v_xor_b32_e32 v7, 2, v10
	v_xor_b32_e32 v13, 1, v10
	s_waitcnt lgkmcnt(0)
	v_max_f32_e32 v14, v8, v8
	v_lshlrev_b32_e32 v2, 2, v2
	v_lshl_add_u32 v23, v0, 2, 0xc0
	v_cmp_lt_i32_e64 s2, v7, v11
	v_cndmask_b32_e64 v7, v10, v7, s2
	v_cmp_lt_i32_e64 s2, v13, v11
	v_lshlrev_b32_e32 v7, 2, v7
	ds_bpermute_b32 v12, v7, v8
	v_cndmask_b32_e64 v8, v10, v13, s2
	s_lshl_b32 s2, s12, 3
	s_min_i32 s4, s2, s11
	v_lshlrev_b32_e32 v8, 2, v8
	v_cmp_gt_i32_e64 s2, s4, v0
	s_waitcnt lgkmcnt(0)
	v_max_f32_e32 v11, v12, v12
	v_max_f32_e32 v11, v14, v11
	ds_bpermute_b32 v12, v8, v11
	s_waitcnt lgkmcnt(0)
	v_max_f32_e32 v12, v12, v12
	v_max_f32_e32 v11, v11, v12
	ds_bpermute_b32 v11, v2, v11
	v_mov_b32_e32 v2, 0
	s_and_saveexec_b32 s5, s2
	s_cbranch_execz .LBB315_180
; %bb.177:
	v_lshl_add_u32 v12, v0, 2, 0xc0
	v_mov_b32_e32 v2, 0
	v_mov_b32_e32 v13, v0
	s_mov_b32 s14, 0
	.p2align	6
.LBB315_178:                            ; =>This Inner Loop Header: Depth=1
	ds_read_b32 v14, v12
	v_add_nc_u32_e32 v13, 0x80, v13
	v_cmp_le_i32_e64 s3, s4, v13
	s_or_b32 s14, s3, s14
	s_waitcnt lgkmcnt(0)
	v_sub_f32_e32 v14, v14, v11
	v_mul_f32_e32 v14, 0x3fb8aa3b, v14
	v_exp_f32_e32 v14, v14
	ds_write_b32 v12, v14
	v_add_f32_e32 v2, v2, v14
	v_add_nc_u32_e32 v12, 0x200, v12
	s_andn2_b32 exec_lo, exec_lo, s14
	s_cbranch_execnz .LBB315_178
; %bb.179:
	s_or_b32 exec_lo, exec_lo, s14
.LBB315_180:
	s_or_b32 exec_lo, exec_lo, s5
	ds_bpermute_b32 v1, v1, v2
	s_waitcnt lgkmcnt(0)
	v_add_f32_e32 v1, v2, v1
	ds_bpermute_b32 v2, v3, v1
	s_waitcnt lgkmcnt(0)
	v_add_f32_e32 v1, v1, v2
	;; [unrolled: 3-line block ×5, first 2 shown]
	s_and_saveexec_b32 s3, vcc_lo
; %bb.181:
	ds_write_b32 v4, v1 offset:176
; %bb.182:
	s_or_b32 exec_lo, exec_lo, s3
	s_waitcnt lgkmcnt(0)
	s_barrier
	buffer_gl0_inv
	s_and_saveexec_b32 s3, s1
; %bb.183:
	ds_read_b32 v1, v5 offset:176
; %bb.184:
	s_or_b32 exec_lo, exec_lo, s3
	s_waitcnt lgkmcnt(0)
	ds_bpermute_b32 v2, v7, v1
	v_lshlrev_b32_e32 v3, 2, v10
	s_waitcnt lgkmcnt(0)
	v_add_f32_e32 v1, v1, v2
	ds_bpermute_b32 v2, v8, v1
	s_waitcnt lgkmcnt(0)
	v_add_f32_e32 v1, v1, v2
	v_and_b32_e32 v2, 0xffffff80, v3
	ds_bpermute_b32 v1, v2, v1
	s_and_saveexec_b32 s1, s2
	s_cbranch_execz .LBB315_187
; %bb.185:
	s_waitcnt lgkmcnt(0)
	v_add_f32_e32 v2, 0x358637bd, v1
	s_mov_b32 s2, 0
	v_div_scale_f32 v1, null, v2, v2, 1.0
	v_div_scale_f32 v5, vcc_lo, 1.0, v2, 1.0
	v_rcp_f32_e32 v3, v1
	v_fma_f32 v4, -v1, v3, 1.0
	v_fmac_f32_e32 v3, v4, v3
	v_mul_f32_e32 v4, v5, v3
	v_fma_f32 v6, -v1, v4, v5
	v_fmac_f32_e32 v4, v6, v3
	v_fma_f32 v1, -v1, v4, v5
	v_div_fmas_f32 v3, v1, v3, v4
	v_mov_b32_e32 v1, v23
	v_div_fixup_f32 v2, v3, v2, 1.0
	v_mov_b32_e32 v3, v0
.LBB315_186:                            ; =>This Inner Loop Header: Depth=1
	ds_read_b32 v4, v1
	v_add_nc_u32_e32 v3, 0x80, v3
	v_cmp_le_i32_e32 vcc_lo, s4, v3
	s_or_b32 s2, vcc_lo, s2
	s_waitcnt lgkmcnt(0)
	v_mul_f32_e32 v4, v2, v4
	ds_write_b32 v1, v4
	v_add_nc_u32_e32 v1, 0x200, v1
	s_andn2_b32 exec_lo, exec_lo, s2
	s_cbranch_execnz .LBB315_186
.LBB315_187:
	s_or_b32 exec_lo, exec_lo, s1
	v_mov_b32_e32 v26, 0
	v_or_b32_e32 v27, 64, v22
	v_mov_b32_e32 v25, 0
	v_mov_b32_e32 v24, 0
	s_waitcnt lgkmcnt(0)
	s_barrier
	buffer_gl0_inv
	s_and_saveexec_b32 s14, s0
	s_cbranch_execz .LBB315_379
; %bb.188:
	s_load_dword s16, s[18:19], 0x0
	s_ashr_i32 s0, s15, 31
	s_add_u32 s2, s26, s15
	v_and_b32_e32 v1, 0x7c, v9
	s_addc_u32 s3, s27, s0
	s_lshl_b64 s[0:1], s[24:25], 2
	s_add_i32 s15, s12, -1
	s_add_u32 s0, s22, s0
	s_addc_u32 s1, s23, s1
	v_add_co_u32 v11, s0, s0, v1
	v_lshlrev_b32_e32 v28, 3, v22
	v_mov_b32_e32 v10, 0
	v_lshlrev_b32_e32 v29, 3, v27
	v_lshl_or_b32 v30, v21, 3, 7
	v_lshl_add_u32 v31, v21, 5, 0xc0
	v_add_co_ci_u32_e64 v12, null, s1, 0, s0
	v_mov_b32_e32 v32, 0x80
	v_mov_b32_e32 v33, 0xffff
	;; [unrolled: 1-line block ×9, first 2 shown]
	s_mov_b32 s4, -1
	s_mov_b32 s5, 0xffffff
	s_mov_b32 s17, 0
	v_cmp_gt_u32_e32 vcc_lo, 0x50, v27
	s_branch .LBB315_191
.LBB315_189:                            ;   in Loop: Header=BB315_191 Depth=1
	s_or_b32 exec_lo, exec_lo, s1
	v_and_b32_e32 v44, 0xffff0000, v8
	v_lshlrev_b32_e32 v49, 16, v49
	v_lshlrev_b32_e32 v50, 16, v8
	;; [unrolled: 1-line block ×3, first 2 shown]
	v_and_b32_e32 v51, 0xffff0000, v7
	v_lshlrev_b32_e32 v9, 16, v9
	v_mul_f32_e32 v44, v44, v49
	v_lshlrev_b32_e32 v49, 16, v7
	v_lshlrev_b32_e32 v13, 16, v13
	v_mul_f32_e32 v14, v50, v14
	v_mul_f32_e32 v9, v51, v9
	v_bfe_u32 v50, v44, 16, 1
	v_or_b32_e32 v51, 0x400000, v44
	v_mul_f32_e32 v13, v49, v13
	v_bfe_u32 v49, v14, 16, 1
	v_cmp_u_f32_e64 s0, v44, v44
	v_add3_u32 v50, v50, v44, 0x7fff
	v_or_b32_e32 v52, 0x400000, v14
	v_bfe_u32 v53, v9, 16, 1
	v_add3_u32 v49, v49, v14, 0x7fff
	v_lshlrev_b32_e32 v2, 16, v2
	v_cndmask_b32_e64 v44, v50, v51, s0
	v_and_b32_e32 v50, 0xffff0000, v6
	v_cmp_u_f32_e64 s0, v14, v14
	v_or_b32_e32 v51, 0x400000, v9
	v_lshlrev_b32_e32 v1, 16, v1
	v_lshlrev_b32_e32 v4, 16, v4
	v_mul_f32_e32 v2, v50, v2
	v_cndmask_b32_e64 v14, v49, v52, s0
	v_add3_u32 v49, v53, v9, 0x7fff
	v_bfe_u32 v52, v13, 16, 1
	v_lshlrev_b32_e32 v50, 16, v6
	v_cmp_u_f32_e64 s0, v9, v9
	v_lshlrev_b32_e32 v53, 16, v5
	v_lshlrev_b32_e32 v3, 16, v3
	v_and_b32_e32 v14, 0xffff0000, v14
	v_mul_f32_e32 v1, v50, v1
	v_cndmask_b32_e64 v9, v49, v51, s0
	v_add3_u32 v49, v52, v13, 0x7fff
	v_or_b32_e32 v51, 0x400000, v13
	v_bfe_u32 v52, v2, 16, 1
	v_and_b32_e32 v50, 0xffff0000, v5
	v_cmp_u_f32_e64 s0, v13, v13
	v_mul_f32_e32 v3, v53, v3
	v_and_b32_e32 v44, 0xffff0000, v44
	v_and_b32_e32 v9, 0xffff0000, v9
	v_mul_f32_e32 v4, v50, v4
	v_cndmask_b32_e64 v13, v49, v51, s0
	v_bfe_u32 v49, v1, 16, 1
	v_add3_u32 v51, v52, v2, 0x7fff
	v_or_b32_e32 v50, 0x400000, v2
	v_cmp_u_f32_e64 s0, v2, v2
	v_or_b32_e32 v52, 0x400000, v1
	v_add3_u32 v49, v49, v1, 0x7fff
	v_bfe_u32 v54, v3, 16, 1
	v_bfe_u32 v53, v4, 16, 1
	v_cndmask_b32_e64 v2, v51, v50, s0
	v_cmp_u_f32_e64 s0, v1, v1
	v_or_b32_e32 v51, 0x400000, v3
	v_add3_u32 v50, v54, v3, 0x7fff
	v_and_b32_e32 v13, 0xffff0000, v13
	v_add_f32_e32 v14, v14, v44
	v_cndmask_b32_e64 v1, v49, v52, s0
	v_cmp_u_f32_e64 s0, v3, v3
	v_add3_u32 v49, v53, v4, 0x7fff
	v_or_b32_e32 v52, 0x400000, v4
	v_add_f32_e32 v9, v13, v9
	v_and_b32_e32 v1, 0xffff0000, v1
	v_cndmask_b32_e64 v3, v50, v51, s0
	v_cmp_u_f32_e64 s0, v4, v4
	v_and_b32_e32 v2, 0xffff0000, v2
	v_add_f32_e32 v9, v9, v14
	v_cndmask_b32_e64 v4, v49, v52, s0
	v_add_f32_e32 v1, v1, v2
	v_and_b32_e32 v2, 0xffff0000, v3
	v_and_b32_e32 v3, 0xffff0000, v4
	v_add_f32_e32 v1, v1, v9
	v_add_f32_e32 v2, v2, v3
	;; [unrolled: 1-line block ×4, first 2 shown]
.LBB315_190:                            ;   in Loop: Header=BB315_191 Depth=1
	s_or_b32 exec_lo, exec_lo, s18
	v_and_b32_e32 v1, 0xffff0000, v8
	v_lshlrev_b32_e32 v2, 16, v48
	v_lshlrev_b32_e32 v3, 16, v8
	;; [unrolled: 1-line block ×3, first 2 shown]
	v_and_b32_e32 v8, 0xffff0000, v7
	v_lshlrev_b32_e32 v9, 16, v45
	v_mul_f32_e32 v2, v1, v2
	v_lshlrev_b32_e32 v7, 16, v7
	v_mul_f32_e32 v4, v3, v4
	;; [unrolled: 2-line block ×3, first 2 shown]
	v_bfe_u32 v14, v2, 16, 1
	v_or_b32_e32 v46, 0x400000, v2
	v_bfe_u32 v45, v4, 16, 1
	v_cmp_u_f32_e64 s0, v2, v2
	v_and_b32_e32 v44, 0xffff0000, v6
	v_add3_u32 v14, v14, v2, 0x7fff
	v_mul_f32_e32 v13, v7, v13
	v_bfe_u32 v47, v9, 16, 1
	v_add3_u32 v45, v45, v4, 0x7fff
	v_lshlrev_b32_e32 v6, 16, v6
	v_cndmask_b32_e64 v2, v14, v46, s0
	v_lshlrev_b32_e32 v14, 16, v16
	v_or_b32_e32 v16, 0x400000, v4
	v_cmp_u_f32_e64 s0, v4, v4
	v_add3_u32 v46, v47, v9, 0x7fff
	v_or_b32_e32 v47, 0x400000, v9
	v_bfe_u32 v48, v13, 16, 1
	v_mul_f32_e32 v14, v44, v14
	v_cndmask_b32_e64 v4, v45, v16, s0
	v_cmp_u_f32_e64 s0, v9, v9
	v_lshlrev_b32_e32 v15, 16, v15
	v_add3_u32 v16, v48, v13, 0x7fff
	v_bfe_u32 v45, v14, 16, 1
	v_lshlrev_b32_e32 v18, 16, v18
	v_cndmask_b32_e64 v9, v46, v47, s0
	v_and_b32_e32 v46, 0xffff0000, v5
	v_or_b32_e32 v47, 0x400000, v13
	v_mul_f32_e32 v15, v6, v15
	v_cmp_u_f32_e64 s0, v13, v13
	v_add3_u32 v45, v45, v14, 0x7fff
	v_or_b32_e32 v48, 0x400000, v14
	v_mul_f32_e32 v18, v46, v18
	v_lshlrev_b32_e32 v5, 16, v5
	v_cndmask_b32_e64 v13, v16, v47, s0
	v_bfe_u32 v16, v15, 16, 1
	v_cmp_u_f32_e64 s0, v14, v14
	v_lshlrev_b32_e32 v17, 16, v17
	v_or_b32_e32 v47, 0x400000, v15
	v_and_b32_e32 v4, 0xffff0000, v4
	v_add3_u32 v16, v16, v15, 0x7fff
	v_cndmask_b32_e64 v14, v45, v48, s0
	v_bfe_u32 v45, v18, 16, 1
	v_mul_f32_e32 v17, v5, v17
	v_cmp_u_f32_e64 s0, v15, v15
	v_or_b32_e32 v48, 0x400000, v18
	v_and_b32_e32 v2, 0xffff0000, v2
	v_add3_u32 v45, v45, v18, 0x7fff
	v_and_b32_e32 v13, 0xffff0000, v13
	v_cndmask_b32_e64 v15, v16, v47, s0
	v_cmp_u_f32_e64 s0, v18, v18
	v_bfe_u32 v18, v17, 16, 1
	v_and_b32_e32 v9, 0xffff0000, v9
	v_lshlrev_b32_e32 v43, 16, v43
	v_add_f32_e32 v2, v4, v2
	v_cndmask_b32_e64 v16, v45, v48, s0
	v_add3_u32 v18, v18, v17, 0x7fff
	v_or_b32_e32 v45, 0x400000, v17
	v_add_f32_e32 v4, v13, v9
	v_and_b32_e32 v9, 0xffff0000, v15
	v_and_b32_e32 v13, 0xffff0000, v14
	v_mul_f32_e32 v1, v1, v43
	v_lshlrev_b32_e32 v14, 16, v42
	v_cmp_u_f32_e64 s0, v17, v17
	v_add_f32_e32 v2, v4, v2
	v_add_f32_e32 v9, v9, v13
	v_bfe_u32 v4, v1, 16, 1
	v_mul_f32_e32 v3, v3, v14
	v_cndmask_b32_e64 v15, v18, v45, s0
	v_lshlrev_b32_e32 v13, 16, v39
	v_cmp_u_f32_e64 s0, v1, v1
	v_add3_u32 v4, v4, v1, 0x7fff
	v_bfe_u32 v17, v3, 16, 1
	v_and_b32_e32 v14, 0xffff0000, v15
	v_or_b32_e32 v15, 0x400000, v1
	v_mul_f32_e32 v8, v8, v13
	v_lshlrev_b32_e32 v13, 16, v41
	v_lshlrev_b32_e32 v18, 16, v20
	v_add_f32_e32 v2, v9, v2
	v_cndmask_b32_e64 v1, v4, v15, s0
	v_add3_u32 v4, v17, v3, 0x7fff
	v_or_b32_e32 v15, 0x400000, v3
	v_bfe_u32 v17, v8, 16, 1
	v_mul_f32_e32 v7, v7, v13
	v_lshlrev_b32_e32 v13, 16, v19
	v_cmp_u_f32_e64 s0, v3, v3
	v_mul_f32_e32 v6, v6, v18
	v_lshlrev_b32_e32 v18, 16, v40
	v_lshlrev_b32_e32 v19, 16, v38
	v_mul_f32_e32 v13, v44, v13
	v_cndmask_b32_e64 v3, v4, v15, s0
	v_add3_u32 v4, v17, v8, 0x7fff
	v_or_b32_e32 v15, 0x400000, v8
	v_bfe_u32 v17, v7, 16, 1
	v_cmp_u_f32_e64 s0, v8, v8
	v_mul_f32_e32 v5, v5, v19
	v_or_b32_e32 v19, 0x400000, v6
	v_and_b32_e32 v3, 0xffff0000, v3
	v_add3_u32 v8, v17, v7, 0x7fff
	v_cndmask_b32_e64 v4, v4, v15, s0
	v_or_b32_e32 v15, 0x400000, v7
	v_bfe_u32 v17, v13, 16, 1
	v_cmp_u_f32_e64 s0, v7, v7
	v_bfe_u32 v38, v5, 16, 1
	v_and_b32_e32 v1, 0xffff0000, v1
	v_and_b32_e32 v4, 0xffff0000, v4
	v_add_nc_u32_e32 v37, 4, v37
	v_cndmask_b32_e64 v7, v8, v15, s0
	v_bfe_u32 v8, v6, 16, 1
	v_add3_u32 v15, v17, v13, 0x7fff
	v_mul_f32_e32 v17, v46, v18
	v_or_b32_e32 v18, 0x400000, v13
	v_cmp_u_f32_e64 s0, v13, v13
	v_add3_u32 v8, v8, v6, 0x7fff
	v_and_b32_e32 v7, 0xffff0000, v7
	v_bfe_u32 v20, v17, 16, 1
	v_add_f32_e32 v1, v3, v1
	v_cndmask_b32_e64 v13, v15, v18, s0
	v_cmp_u_f32_e64 s0, v6, v6
	v_add3_u32 v15, v38, v5, 0x7fff
	v_or_b32_e32 v18, 0x400000, v5
	v_add_f32_e32 v3, v7, v4
	v_add_co_u32 v11, s1, v11, 16
	v_cndmask_b32_e64 v6, v8, v19, s0
	v_cmp_u_f32_e64 s0, v5, v5
	v_add3_u32 v8, v20, v17, 0x7fff
	v_or_b32_e32 v19, 0x400000, v17
	v_add_f32_e32 v1, v3, v1
	v_and_b32_e32 v4, 0xffff0000, v6
	v_cndmask_b32_e64 v5, v15, v18, s0
	v_cmp_u_f32_e64 s0, v17, v17
	v_and_b32_e32 v6, 0xffff0000, v13
	v_add_nc_u32_e32 v30, 32, v30
	v_add_nc_u32_e32 v31, 0x80, v31
	v_add_co_ci_u32_e64 v12, null, 0, v12, s1
	v_cndmask_b32_e64 v7, v8, v19, s0
	v_and_b32_e32 v8, 0xffff0000, v16
	v_add_f32_e32 v3, v4, v6
	v_and_b32_e32 v4, 0xffff0000, v5
	v_cmp_le_i32_e64 s0, s12, v37
	v_and_b32_e32 v5, 0xffff0000, v7
	v_add_f32_e32 v6, v14, v8
	v_add_f32_e32 v1, v3, v1
	s_or_b32 s17, s0, s17
	v_add_f32_e32 v3, v4, v5
	v_add_f32_e32 v2, v6, v2
	;; [unrolled: 1-line block ×5, first 2 shown]
	s_andn2_b32 exec_lo, exec_lo, s17
	s_cbranch_execz .LBB315_378
.LBB315_191:                            ; =>This Inner Loop Header: Depth=1
	global_load_dword v1, v[11:12], off
	v_mov_b32_e32 v38, 0
	s_waitcnt vmcnt(0)
	v_mad_i64_i32 v[13:14], null, v1, s13, s[2:3]
	v_add_co_u32 v15, s0, v13, v28
	v_add_co_ci_u32_e64 v16, null, 0, v14, s0
	global_load_dwordx2 v[17:18], v[15:16], off
	ds_read2_b64 v[5:8], v31 offset1:1
	ds_read2_b64 v[1:4], v31 offset0:2 offset1:3
	s_waitcnt vmcnt(0)
	v_cmp_ne_u16_sdwa s0, v17, v10 src0_sel:BYTE_0 src1_sel:DWORD
	s_and_saveexec_b32 s1, s0
	s_cbranch_execz .LBB315_197
; %bb.192:                              ;   in Loop: Header=BB315_191 Depth=1
	v_cmp_ne_u16_sdwa s0, v17, v32 src0_sel:BYTE_0 src1_sel:DWORD
	v_bfrev_b32_e32 v38, 1
	s_and_saveexec_b32 s18, s0
	s_cbranch_execz .LBB315_196
; %bb.193:                              ;   in Loop: Header=BB315_191 Depth=1
	v_and_b32_e32 v9, 0x7f, v17
	v_mov_b32_e32 v38, 0x7f800001
	s_mov_b32 s19, exec_lo
	v_cmpx_ne_u32_e32 0x7f, v9
	s_cbranch_execz .LBB315_195
; %bb.194:                              ;   in Loop: Header=BB315_191 Depth=1
	v_and_b32_e32 v19, 7, v17
	v_lshrrev_b32_e32 v20, 3, v9
	v_cmp_gt_u32_e64 s0, 8, v9
	v_ffbh_u32_e32 v19, v19
	v_min_u32_e32 v19, 32, v19
	v_subrev_nc_u32_e32 v38, 28, v19
	v_sub_nc_u32_e32 v19, 29, v19
	v_cndmask_b32_e64 v9, v20, v19, s0
	v_cndmask_b32_e64 v19, 0, v38, s0
	v_lshl_add_u32 v9, v9, 23, 0x3c000000
	v_lshlrev_b64 v[19:20], v19, v[17:18]
	v_lshlrev_b32_e32 v20, 24, v17
	v_lshlrev_b32_e32 v19, 20, v19
	v_and_b32_e32 v20, 0x80000000, v20
	v_and_b32_e32 v19, 0x700000, v19
	v_or3_b32 v38, v19, v20, v9
.LBB315_195:                            ;   in Loop: Header=BB315_191 Depth=1
	s_or_b32 exec_lo, exec_lo, s19
.LBB315_196:                            ;   in Loop: Header=BB315_191 Depth=1
	s_or_b32 exec_lo, exec_lo, s18
.LBB315_197:                            ;   in Loop: Header=BB315_191 Depth=1
	s_or_b32 exec_lo, exec_lo, s1
	v_cmp_ne_u16_sdwa s0, v17, v10 src0_sel:BYTE_1 src1_sel:DWORD
	v_mov_b32_e32 v40, 0
	v_mov_b32_e32 v39, 0
	s_and_saveexec_b32 s1, s0
	s_cbranch_execz .LBB315_205
; %bb.198:                              ;   in Loop: Header=BB315_191 Depth=1
	v_cmp_ne_u16_sdwa s0, v17, v32 src0_sel:BYTE_1 src1_sel:DWORD
	v_bfrev_b32_e32 v39, 1
	s_and_saveexec_b32 s18, s0
	s_cbranch_execz .LBB315_204
; %bb.199:                              ;   in Loop: Header=BB315_191 Depth=1
	v_and_b32_sdwa v9, v33, v17 dst_sel:DWORD dst_unused:UNUSED_PAD src0_sel:DWORD src1_sel:BYTE_1
	v_mov_b32_e32 v39, 0x7f800001
	s_mov_b32 s19, exec_lo
	v_and_b32_e32 v20, 0x7f, v9
	v_cmpx_ne_u32_e32 0x7f, v20
	s_cbranch_execz .LBB315_203
; %bb.200:                              ;   in Loop: Header=BB315_191 Depth=1
	v_and_b32_e32 v9, 7, v9
	v_lshrrev_b32_e32 v19, 3, v20
	s_mov_b32 s22, exec_lo
	v_cmpx_gt_u32_e32 8, v20
; %bb.201:                              ;   in Loop: Header=BB315_191 Depth=1
	v_ffbh_u32_e32 v19, v9
	v_min_u32_e32 v19, 32, v19
	v_subrev_nc_u32_e32 v20, 28, v19
	v_sub_nc_u32_e32 v19, 29, v19
	v_lshlrev_b64 v[41:42], v20, v[9:10]
	v_and_b32_e32 v9, 7, v41
; %bb.202:                              ;   in Loop: Header=BB315_191 Depth=1
	s_or_b32 exec_lo, exec_lo, s22
	v_lshlrev_b32_e32 v20, 16, v17
	v_lshlrev_b32_e32 v9, 20, v9
	v_lshl_add_u32 v19, v19, 23, 0x3c000000
	v_and_b32_e32 v20, 0x80000000, v20
	v_or3_b32 v39, v9, v20, v19
.LBB315_203:                            ;   in Loop: Header=BB315_191 Depth=1
	s_or_b32 exec_lo, exec_lo, s19
.LBB315_204:                            ;   in Loop: Header=BB315_191 Depth=1
	s_or_b32 exec_lo, exec_lo, s18
.LBB315_205:                            ;   in Loop: Header=BB315_191 Depth=1
	s_or_b32 exec_lo, exec_lo, s1
	v_and_b32_sdwa v9, v17, v34 dst_sel:DWORD dst_unused:UNUSED_PAD src0_sel:WORD_1 src1_sel:DWORD
	s_mov_b32 s1, exec_lo
	v_cmpx_ne_u16_e32 0, v9
	s_cbranch_execz .LBB315_213
; %bb.206:                              ;   in Loop: Header=BB315_191 Depth=1
	v_bfrev_b32_e32 v40, 1
	s_mov_b32 s18, exec_lo
	v_cmpx_ne_u16_e32 0x80, v9
	s_cbranch_execz .LBB315_212
; %bb.207:                              ;   in Loop: Header=BB315_191 Depth=1
	v_bfe_u32 v20, v17, 16, 7
	v_mov_b32_e32 v40, 0x7f800001
	s_mov_b32 s19, exec_lo
	v_cmpx_ne_u32_e32 0x7f, v20
	s_cbranch_execz .LBB315_211
; %bb.208:                              ;   in Loop: Header=BB315_191 Depth=1
	v_and_b32_sdwa v9, v17, v35 dst_sel:DWORD dst_unused:UNUSED_PAD src0_sel:WORD_1 src1_sel:DWORD
	v_lshrrev_b32_e32 v19, 3, v20
	s_mov_b32 s22, exec_lo
	v_cmpx_gt_u32_e32 8, v20
; %bb.209:                              ;   in Loop: Header=BB315_191 Depth=1
	v_ffbh_u32_e32 v19, v9
	v_min_u32_e32 v19, 32, v19
	v_subrev_nc_u32_e32 v20, 28, v19
	v_sub_nc_u32_e32 v19, 29, v19
	v_lshlrev_b64 v[40:41], v20, v[9:10]
	v_and_b32_e32 v9, 7, v40
; %bb.210:                              ;   in Loop: Header=BB315_191 Depth=1
	s_or_b32 exec_lo, exec_lo, s22
	v_lshlrev_b32_sdwa v20, v36, v17 dst_sel:DWORD dst_unused:UNUSED_PAD src0_sel:DWORD src1_sel:WORD_1
	v_lshlrev_b32_e32 v9, 20, v9
	v_lshl_add_u32 v19, v19, 23, 0x3c000000
	v_and_b32_e32 v20, 0x80000000, v20
	v_or3_b32 v40, v9, v20, v19
.LBB315_211:                            ;   in Loop: Header=BB315_191 Depth=1
	s_or_b32 exec_lo, exec_lo, s19
.LBB315_212:                            ;   in Loop: Header=BB315_191 Depth=1
	s_or_b32 exec_lo, exec_lo, s18
.LBB315_213:                            ;   in Loop: Header=BB315_191 Depth=1
	s_or_b32 exec_lo, exec_lo, s1
	v_mov_b32_e32 v41, 0
	v_mov_b32_e32 v42, 0
	s_mov_b32 s1, exec_lo
	v_cmpx_lt_u32_e32 0xffffff, v17
	s_cbranch_execz .LBB315_221
; %bb.214:                              ;   in Loop: Header=BB315_191 Depth=1
	v_cmp_ne_u32_sdwa s0, v17, v32 src0_sel:BYTE_3 src1_sel:DWORD
	v_bfrev_b32_e32 v42, 1
	s_and_saveexec_b32 s18, s0
	s_cbranch_execz .LBB315_220
; %bb.215:                              ;   in Loop: Header=BB315_191 Depth=1
	v_bfe_u32 v20, v17, 24, 7
	v_mov_b32_e32 v42, 0x7f800001
	s_mov_b32 s19, exec_lo
	v_cmpx_ne_u32_e32 0x7f, v20
	s_cbranch_execz .LBB315_219
; %bb.216:                              ;   in Loop: Header=BB315_191 Depth=1
	v_and_b32_sdwa v9, v17, v35 dst_sel:DWORD dst_unused:UNUSED_PAD src0_sel:BYTE_3 src1_sel:DWORD
	v_lshrrev_b32_e32 v19, 3, v20
	s_mov_b32 s22, exec_lo
	v_cmpx_gt_u32_e32 8, v20
; %bb.217:                              ;   in Loop: Header=BB315_191 Depth=1
	v_ffbh_u32_e32 v19, v9
	v_min_u32_e32 v19, 32, v19
	v_subrev_nc_u32_e32 v20, 28, v19
	v_sub_nc_u32_e32 v19, 29, v19
	v_lshlrev_b64 v[42:43], v20, v[9:10]
	v_and_b32_e32 v9, 7, v42
; %bb.218:                              ;   in Loop: Header=BB315_191 Depth=1
	s_or_b32 exec_lo, exec_lo, s22
	v_lshlrev_b32_sdwa v20, v36, v17 dst_sel:DWORD dst_unused:UNUSED_PAD src0_sel:DWORD src1_sel:BYTE_3
	v_lshlrev_b32_e32 v9, 20, v9
	v_lshl_add_u32 v19, v19, 23, 0x3c000000
	v_and_b32_e32 v20, 0x80000000, v20
	v_or3_b32 v42, v9, v20, v19
.LBB315_219:                            ;   in Loop: Header=BB315_191 Depth=1
	s_or_b32 exec_lo, exec_lo, s19
.LBB315_220:                            ;   in Loop: Header=BB315_191 Depth=1
	s_or_b32 exec_lo, exec_lo, s18
.LBB315_221:                            ;   in Loop: Header=BB315_191 Depth=1
	s_or_b32 exec_lo, exec_lo, s1
	v_mov_b32_e32 v9, v18
	v_cmp_ne_u16_sdwa s0, v18, v10 src0_sel:BYTE_0 src1_sel:DWORD
	s_and_saveexec_b32 s1, s0
	s_cbranch_execz .LBB315_227
; %bb.222:                              ;   in Loop: Header=BB315_191 Depth=1
	v_cmp_ne_u16_sdwa s0, v18, v32 src0_sel:BYTE_0 src1_sel:DWORD
	v_bfrev_b32_e32 v41, 1
	s_and_saveexec_b32 s18, s0
	s_cbranch_execz .LBB315_226
; %bb.223:                              ;   in Loop: Header=BB315_191 Depth=1
	v_and_b32_e32 v19, 0x7f, v18
	v_mov_b32_e32 v41, 0x7f800001
	s_mov_b32 s19, exec_lo
	v_cmpx_ne_u32_e32 0x7f, v19
	s_cbranch_execz .LBB315_225
; %bb.224:                              ;   in Loop: Header=BB315_191 Depth=1
	v_and_b32_e32 v20, 7, v18
	v_cmp_gt_u32_e64 s0, 8, v19
	v_lshrrev_b32_e32 v41, 3, v19
	v_ffbh_u32_e32 v20, v20
	v_min_u32_e32 v20, 32, v20
	v_subrev_nc_u32_e32 v43, 28, v20
	v_sub_nc_u32_e32 v20, 29, v20
	v_cndmask_b32_e64 v19, 0, v43, s0
	v_cndmask_b32_e64 v41, v41, v20, s0
	v_lshlrev_b64 v[19:20], v19, v[9:10]
	v_lshlrev_b32_e32 v20, 24, v9
	v_lshl_add_u32 v41, v41, 23, 0x3c000000
	v_lshlrev_b32_e32 v19, 20, v19
	v_and_b32_e32 v20, 0x80000000, v20
	v_and_b32_e32 v19, 0x700000, v19
	v_or3_b32 v41, v19, v20, v41
.LBB315_225:                            ;   in Loop: Header=BB315_191 Depth=1
	s_or_b32 exec_lo, exec_lo, s19
.LBB315_226:                            ;   in Loop: Header=BB315_191 Depth=1
	s_or_b32 exec_lo, exec_lo, s18
.LBB315_227:                            ;   in Loop: Header=BB315_191 Depth=1
	s_or_b32 exec_lo, exec_lo, s1
	v_cmp_ne_u16_sdwa s0, v9, v10 src0_sel:BYTE_1 src1_sel:DWORD
	v_mov_b32_e32 v43, 0
	v_mov_b32_e32 v19, 0
	s_and_saveexec_b32 s1, s0
	s_cbranch_execz .LBB315_235
; %bb.228:                              ;   in Loop: Header=BB315_191 Depth=1
	v_cmp_ne_u16_sdwa s0, v9, v32 src0_sel:BYTE_1 src1_sel:DWORD
	v_bfrev_b32_e32 v19, 1
	s_and_saveexec_b32 s18, s0
	s_cbranch_execz .LBB315_234
; %bb.229:                              ;   in Loop: Header=BB315_191 Depth=1
	v_and_b32_sdwa v20, v33, v9 dst_sel:DWORD dst_unused:UNUSED_PAD src0_sel:DWORD src1_sel:BYTE_1
	v_mov_b32_e32 v19, 0x7f800001
	s_mov_b32 s19, exec_lo
	v_and_b32_e32 v45, 0x7f, v20
	v_cmpx_ne_u32_e32 0x7f, v45
	s_cbranch_execz .LBB315_233
; %bb.230:                              ;   in Loop: Header=BB315_191 Depth=1
	v_and_b32_e32 v19, 7, v20
	v_mov_b32_e32 v20, v10
	v_lshrrev_b32_e32 v44, 3, v45
	s_mov_b32 s22, exec_lo
	v_cmpx_gt_u32_e32 8, v45
; %bb.231:                              ;   in Loop: Header=BB315_191 Depth=1
	v_ffbh_u32_e32 v44, v19
	v_min_u32_e32 v44, 32, v44
	v_subrev_nc_u32_e32 v45, 28, v44
	v_sub_nc_u32_e32 v44, 29, v44
	v_lshlrev_b64 v[19:20], v45, v[19:20]
	v_and_b32_e32 v19, 7, v19
; %bb.232:                              ;   in Loop: Header=BB315_191 Depth=1
	s_or_b32 exec_lo, exec_lo, s22
	v_lshlrev_b32_e32 v9, 16, v9
	v_lshlrev_b32_e32 v19, 20, v19
	v_lshl_add_u32 v20, v44, 23, 0x3c000000
	v_and_b32_e32 v9, 0x80000000, v9
	v_or3_b32 v19, v19, v9, v20
.LBB315_233:                            ;   in Loop: Header=BB315_191 Depth=1
	s_or_b32 exec_lo, exec_lo, s19
.LBB315_234:                            ;   in Loop: Header=BB315_191 Depth=1
	s_or_b32 exec_lo, exec_lo, s18
.LBB315_235:                            ;   in Loop: Header=BB315_191 Depth=1
	s_or_b32 exec_lo, exec_lo, s1
	v_and_b32_sdwa v9, v18, v34 dst_sel:DWORD dst_unused:UNUSED_PAD src0_sel:WORD_1 src1_sel:DWORD
	s_mov_b32 s1, exec_lo
	v_cmpx_ne_u16_e32 0, v9
	s_cbranch_execz .LBB315_243
; %bb.236:                              ;   in Loop: Header=BB315_191 Depth=1
	v_bfrev_b32_e32 v43, 1
	s_mov_b32 s18, exec_lo
	v_cmpx_ne_u16_e32 0x80, v9
	s_cbranch_execz .LBB315_242
; %bb.237:                              ;   in Loop: Header=BB315_191 Depth=1
	v_bfe_u32 v44, v18, 16, 7
	v_mov_b32_e32 v43, 0x7f800001
	s_mov_b32 s19, exec_lo
	v_cmpx_ne_u32_e32 0x7f, v44
	s_cbranch_execz .LBB315_241
; %bb.238:                              ;   in Loop: Header=BB315_191 Depth=1
	v_and_b32_sdwa v9, v18, v35 dst_sel:DWORD dst_unused:UNUSED_PAD src0_sel:WORD_1 src1_sel:DWORD
	v_lshrrev_b32_e32 v20, 3, v44
	s_mov_b32 s22, exec_lo
	v_cmpx_gt_u32_e32 8, v44
; %bb.239:                              ;   in Loop: Header=BB315_191 Depth=1
	v_ffbh_u32_e32 v20, v9
	v_min_u32_e32 v20, 32, v20
	v_subrev_nc_u32_e32 v43, 28, v20
	v_sub_nc_u32_e32 v20, 29, v20
	v_lshlrev_b64 v[43:44], v43, v[9:10]
	v_and_b32_e32 v9, 7, v43
; %bb.240:                              ;   in Loop: Header=BB315_191 Depth=1
	s_or_b32 exec_lo, exec_lo, s22
	v_lshlrev_b32_sdwa v43, v36, v18 dst_sel:DWORD dst_unused:UNUSED_PAD src0_sel:DWORD src1_sel:WORD_1
	v_lshlrev_b32_e32 v9, 20, v9
	v_lshl_add_u32 v20, v20, 23, 0x3c000000
	v_and_b32_e32 v43, 0x80000000, v43
	v_or3_b32 v43, v9, v43, v20
.LBB315_241:                            ;   in Loop: Header=BB315_191 Depth=1
	s_or_b32 exec_lo, exec_lo, s19
.LBB315_242:                            ;   in Loop: Header=BB315_191 Depth=1
	s_or_b32 exec_lo, exec_lo, s18
.LBB315_243:                            ;   in Loop: Header=BB315_191 Depth=1
	s_or_b32 exec_lo, exec_lo, s1
	v_mov_b32_e32 v9, 0
	s_mov_b32 s1, exec_lo
	v_cmpx_lt_u64_e64 s[4:5], v[17:18]
	s_cbranch_execz .LBB315_251
; %bb.244:                              ;   in Loop: Header=BB315_191 Depth=1
	v_cmp_ne_u32_sdwa s0, v18, v32 src0_sel:BYTE_3 src1_sel:DWORD
	v_bfrev_b32_e32 v9, 1
	s_and_saveexec_b32 s18, s0
	s_cbranch_execz .LBB315_250
; %bb.245:                              ;   in Loop: Header=BB315_191 Depth=1
	v_bfe_u32 v20, v18, 24, 7
	v_mov_b32_e32 v9, 0x7f800001
	s_mov_b32 s19, exec_lo
	v_cmpx_ne_u32_e32 0x7f, v20
	s_cbranch_execz .LBB315_249
; %bb.246:                              ;   in Loop: Header=BB315_191 Depth=1
	v_and_b32_sdwa v9, v18, v35 dst_sel:DWORD dst_unused:UNUSED_PAD src0_sel:BYTE_3 src1_sel:DWORD
	v_lshrrev_b32_e32 v17, 3, v20
	s_mov_b32 s22, exec_lo
	v_cmpx_gt_u32_e32 8, v20
; %bb.247:                              ;   in Loop: Header=BB315_191 Depth=1
	v_ffbh_u32_e32 v17, v9
	v_min_u32_e32 v17, 32, v17
	v_subrev_nc_u32_e32 v20, 28, v17
	v_sub_nc_u32_e32 v17, 29, v17
	v_lshlrev_b64 v[44:45], v20, v[9:10]
	v_and_b32_e32 v9, 7, v44
; %bb.248:                              ;   in Loop: Header=BB315_191 Depth=1
	s_or_b32 exec_lo, exec_lo, s22
	v_lshlrev_b32_sdwa v18, v36, v18 dst_sel:DWORD dst_unused:UNUSED_PAD src0_sel:DWORD src1_sel:BYTE_3
	v_lshlrev_b32_e32 v9, 20, v9
	v_lshl_add_u32 v17, v17, 23, 0x3c000000
	v_and_b32_e32 v18, 0x80000000, v18
	v_or3_b32 v9, v9, v18, v17
.LBB315_249:                            ;   in Loop: Header=BB315_191 Depth=1
	s_or_b32 exec_lo, exec_lo, s19
.LBB315_250:                            ;   in Loop: Header=BB315_191 Depth=1
	s_or_b32 exec_lo, exec_lo, s18
.LBB315_251:                            ;   in Loop: Header=BB315_191 Depth=1
	s_or_b32 exec_lo, exec_lo, s1
	s_waitcnt lgkmcnt(0)
	v_mul_f32_e32 v17, s16, v19
	v_mul_f32_e32 v18, s16, v41
	;; [unrolled: 1-line block ×5, first 2 shown]
	v_bfe_u32 v19, v17, 16, 1
	v_or_b32_e32 v41, 0x400000, v17
	v_bfe_u32 v42, v18, 16, 1
	v_cmp_u_f32_e64 s1, v17, v17
	v_or_b32_e32 v45, 0x400000, v18
	v_add3_u32 v19, v19, v17, 0x7fff
	v_bfe_u32 v46, v20, 16, 1
	v_add3_u32 v42, v42, v18, 0x7fff
	v_or_b32_e32 v47, 0x400000, v20
	v_mul_f32_e32 v9, s16, v9
	v_cndmask_b32_e64 v17, v19, v41, s1
	v_cmp_u_f32_e64 s1, v18, v18
	v_add3_u32 v46, v46, v20, 0x7fff
	v_bfe_u32 v41, v40, 16, 1
	v_add_nc_u32_e32 v44, -7, v30
	v_lshrrev_b32_e32 v19, 16, v17
	v_cndmask_b32_e64 v18, v42, v45, s1
	v_cmp_u_f32_e64 s1, v20, v20
	v_mul_f32_e32 v42, s16, v39
	v_add3_u32 v41, v41, v40, 0x7fff
	v_or_b32_e32 v45, 0x400000, v40
	v_lshrrev_b32_e32 v20, 16, v18
	v_cndmask_b32_e64 v17, v46, v47, s1
	v_cmp_u_f32_e64 s1, v40, v40
	v_mul_f32_e32 v40, s16, v43
	v_bfe_u32 v43, v38, 16, 1
	v_or_b32_e32 v47, 0x400000, v9
	v_lshrrev_b32_e32 v39, 16, v17
	v_bfe_u32 v17, v42, 16, 1
	v_cndmask_b32_e64 v18, v41, v45, s1
	v_or_b32_e32 v41, 0x400000, v42
	v_cmp_u_f32_e64 s1, v42, v42
	v_bfe_u32 v45, v40, 16, 1
	v_add3_u32 v17, v17, v42, 0x7fff
	v_add3_u32 v42, v43, v38, 0x7fff
	v_or_b32_e32 v43, 0x400000, v38
	v_or_b32_e32 v46, 0x400000, v40
	v_add3_u32 v45, v45, v40, 0x7fff
	v_cndmask_b32_e64 v17, v17, v41, s1
	v_cmp_u_f32_e64 s1, v38, v38
	v_bfe_u32 v41, v9, 16, 1
	v_cmp_eq_u32_e64 s0, s15, v37
	v_cndmask_b32_e64 v38, v42, v43, s1
	v_cmp_u_f32_e64 s1, v40, v40
	v_add3_u32 v41, v41, v9, 0x7fff
	v_lshrrev_b32_e32 v43, 16, v17
	v_lshrrev_b32_e32 v42, 16, v38
	v_cndmask_b32_e64 v40, v45, v46, s1
	v_cmp_u_f32_e64 s1, v9, v9
	v_lshrrev_b32_e32 v38, 16, v40
	v_cndmask_b32_e64 v9, v41, v47, s1
	v_lshrrev_b32_e32 v41, 16, v18
	v_lshrrev_b32_e32 v40, 16, v9
	s_and_saveexec_b32 s18, s0
	s_cbranch_execz .LBB315_253
; %bb.252:                              ;   in Loop: Header=BB315_191 Depth=1
	v_add_nc_u32_e32 v9, -6, v30
	v_cmp_gt_i32_e64 s1, s11, v44
	v_add_nc_u32_e32 v17, -5, v30
	v_add_nc_u32_e32 v18, -2, v30
	v_cndmask_b32_e64 v42, 0, v42, s1
	v_cmp_gt_i32_e64 s1, s11, v9
	v_add_nc_u32_e32 v9, -4, v30
	v_cndmask_b32_e64 v43, 0, v43, s1
	v_cmp_gt_i32_e64 s1, s11, v17
	;; [unrolled: 3-line block ×4, first 2 shown]
	v_cndmask_b32_e64 v20, 0, v20, s1
	v_cmp_gt_i32_e64 s1, s11, v18
	v_cndmask_b32_e64 v19, 0, v19, s1
	v_cmp_gt_i32_e64 s1, s11, v9
	;; [unrolled: 2-line block ×3, first 2 shown]
	v_cndmask_b32_e64 v40, 0, v40, s1
.LBB315_253:                            ;   in Loop: Header=BB315_191 Depth=1
	s_or_b32 exec_lo, exec_lo, s18
	global_load_dwordx2 v[15:16], v[15:16], off offset:256
	v_mov_b32_e32 v45, 0
	v_mov_b32_e32 v46, 0
	s_waitcnt vmcnt(0)
	v_cmp_ne_u16_sdwa s1, v15, v10 src0_sel:BYTE_0 src1_sel:DWORD
	s_and_saveexec_b32 s18, s1
	s_cbranch_execz .LBB315_259
; %bb.254:                              ;   in Loop: Header=BB315_191 Depth=1
	v_cmp_ne_u16_sdwa s1, v15, v32 src0_sel:BYTE_0 src1_sel:DWORD
	v_bfrev_b32_e32 v46, 1
	s_and_saveexec_b32 s19, s1
	s_cbranch_execz .LBB315_258
; %bb.255:                              ;   in Loop: Header=BB315_191 Depth=1
	v_and_b32_e32 v9, 0x7f, v15
	v_mov_b32_e32 v46, 0x7f800001
	s_mov_b32 s22, exec_lo
	v_cmpx_ne_u32_e32 0x7f, v9
	s_cbranch_execz .LBB315_257
; %bb.256:                              ;   in Loop: Header=BB315_191 Depth=1
	v_and_b32_e32 v17, 7, v15
	v_lshrrev_b32_e32 v18, 3, v9
	v_cmp_gt_u32_e64 s1, 8, v9
	v_ffbh_u32_e32 v17, v17
	v_min_u32_e32 v17, 32, v17
	v_subrev_nc_u32_e32 v46, 28, v17
	v_sub_nc_u32_e32 v17, 29, v17
	v_cndmask_b32_e64 v9, v18, v17, s1
	v_cndmask_b32_e64 v17, 0, v46, s1
	v_lshl_add_u32 v9, v9, 23, 0x3c000000
	v_lshlrev_b64 v[17:18], v17, v[15:16]
	v_lshlrev_b32_e32 v18, 24, v15
	v_lshlrev_b32_e32 v17, 20, v17
	v_and_b32_e32 v18, 0x80000000, v18
	v_and_b32_e32 v17, 0x700000, v17
	v_or3_b32 v46, v17, v18, v9
.LBB315_257:                            ;   in Loop: Header=BB315_191 Depth=1
	s_or_b32 exec_lo, exec_lo, s22
.LBB315_258:                            ;   in Loop: Header=BB315_191 Depth=1
	s_or_b32 exec_lo, exec_lo, s19
.LBB315_259:                            ;   in Loop: Header=BB315_191 Depth=1
	s_or_b32 exec_lo, exec_lo, s18
	v_cmp_ne_u16_sdwa s1, v15, v10 src0_sel:BYTE_1 src1_sel:DWORD
	s_and_saveexec_b32 s18, s1
	s_cbranch_execz .LBB315_267
; %bb.260:                              ;   in Loop: Header=BB315_191 Depth=1
	v_cmp_ne_u16_sdwa s1, v15, v32 src0_sel:BYTE_1 src1_sel:DWORD
	v_bfrev_b32_e32 v45, 1
	s_and_saveexec_b32 s19, s1
	s_cbranch_execz .LBB315_266
; %bb.261:                              ;   in Loop: Header=BB315_191 Depth=1
	v_and_b32_sdwa v9, v33, v15 dst_sel:DWORD dst_unused:UNUSED_PAD src0_sel:DWORD src1_sel:BYTE_1
	v_mov_b32_e32 v45, 0x7f800001
	s_mov_b32 s22, exec_lo
	v_and_b32_e32 v18, 0x7f, v9
	v_cmpx_ne_u32_e32 0x7f, v18
	s_cbranch_execz .LBB315_265
; %bb.262:                              ;   in Loop: Header=BB315_191 Depth=1
	v_and_b32_e32 v9, 7, v9
	v_lshrrev_b32_e32 v17, 3, v18
	s_mov_b32 s23, exec_lo
	v_cmpx_gt_u32_e32 8, v18
; %bb.263:                              ;   in Loop: Header=BB315_191 Depth=1
	v_ffbh_u32_e32 v17, v9
	v_min_u32_e32 v17, 32, v17
	v_subrev_nc_u32_e32 v18, 28, v17
	v_sub_nc_u32_e32 v17, 29, v17
	v_lshlrev_b64 v[47:48], v18, v[9:10]
	v_and_b32_e32 v9, 7, v47
; %bb.264:                              ;   in Loop: Header=BB315_191 Depth=1
	s_or_b32 exec_lo, exec_lo, s23
	v_lshlrev_b32_e32 v18, 16, v15
	v_lshlrev_b32_e32 v9, 20, v9
	v_lshl_add_u32 v17, v17, 23, 0x3c000000
	v_and_b32_e32 v18, 0x80000000, v18
	v_or3_b32 v45, v9, v18, v17
.LBB315_265:                            ;   in Loop: Header=BB315_191 Depth=1
	s_or_b32 exec_lo, exec_lo, s22
.LBB315_266:                            ;   in Loop: Header=BB315_191 Depth=1
	s_or_b32 exec_lo, exec_lo, s19
.LBB315_267:                            ;   in Loop: Header=BB315_191 Depth=1
	s_or_b32 exec_lo, exec_lo, s18
	v_and_b32_sdwa v9, v15, v34 dst_sel:DWORD dst_unused:UNUSED_PAD src0_sel:WORD_1 src1_sel:DWORD
	v_mov_b32_e32 v48, 0
	v_mov_b32_e32 v47, 0
	s_mov_b32 s18, exec_lo
	v_cmpx_ne_u16_e32 0, v9
	s_cbranch_execz .LBB315_275
; %bb.268:                              ;   in Loop: Header=BB315_191 Depth=1
	v_bfrev_b32_e32 v47, 1
	s_mov_b32 s19, exec_lo
	v_cmpx_ne_u16_e32 0x80, v9
	s_cbranch_execz .LBB315_274
; %bb.269:                              ;   in Loop: Header=BB315_191 Depth=1
	v_bfe_u32 v18, v15, 16, 7
	v_mov_b32_e32 v47, 0x7f800001
	s_mov_b32 s22, exec_lo
	v_cmpx_ne_u32_e32 0x7f, v18
	s_cbranch_execz .LBB315_273
; %bb.270:                              ;   in Loop: Header=BB315_191 Depth=1
	v_and_b32_sdwa v9, v15, v35 dst_sel:DWORD dst_unused:UNUSED_PAD src0_sel:WORD_1 src1_sel:DWORD
	v_lshrrev_b32_e32 v17, 3, v18
	s_mov_b32 s23, exec_lo
	v_cmpx_gt_u32_e32 8, v18
; %bb.271:                              ;   in Loop: Header=BB315_191 Depth=1
	v_ffbh_u32_e32 v17, v9
	v_min_u32_e32 v17, 32, v17
	v_subrev_nc_u32_e32 v18, 28, v17
	v_sub_nc_u32_e32 v17, 29, v17
	v_lshlrev_b64 v[49:50], v18, v[9:10]
	v_and_b32_e32 v9, 7, v49
; %bb.272:                              ;   in Loop: Header=BB315_191 Depth=1
	s_or_b32 exec_lo, exec_lo, s23
	v_lshlrev_b32_sdwa v18, v36, v15 dst_sel:DWORD dst_unused:UNUSED_PAD src0_sel:DWORD src1_sel:WORD_1
	v_lshlrev_b32_e32 v9, 20, v9
	v_lshl_add_u32 v17, v17, 23, 0x3c000000
	v_and_b32_e32 v18, 0x80000000, v18
	v_or3_b32 v47, v9, v18, v17
.LBB315_273:                            ;   in Loop: Header=BB315_191 Depth=1
	s_or_b32 exec_lo, exec_lo, s22
.LBB315_274:                            ;   in Loop: Header=BB315_191 Depth=1
	s_or_b32 exec_lo, exec_lo, s19
.LBB315_275:                            ;   in Loop: Header=BB315_191 Depth=1
	s_or_b32 exec_lo, exec_lo, s18
	s_mov_b32 s18, exec_lo
	v_cmpx_lt_u32_e32 0xffffff, v15
	s_cbranch_execz .LBB315_283
; %bb.276:                              ;   in Loop: Header=BB315_191 Depth=1
	v_cmp_ne_u32_sdwa s1, v15, v32 src0_sel:BYTE_3 src1_sel:DWORD
	v_bfrev_b32_e32 v48, 1
	s_and_saveexec_b32 s19, s1
	s_cbranch_execz .LBB315_282
; %bb.277:                              ;   in Loop: Header=BB315_191 Depth=1
	v_bfe_u32 v18, v15, 24, 7
	v_mov_b32_e32 v48, 0x7f800001
	s_mov_b32 s22, exec_lo
	v_cmpx_ne_u32_e32 0x7f, v18
	s_cbranch_execz .LBB315_281
; %bb.278:                              ;   in Loop: Header=BB315_191 Depth=1
	v_and_b32_sdwa v9, v15, v35 dst_sel:DWORD dst_unused:UNUSED_PAD src0_sel:BYTE_3 src1_sel:DWORD
	v_lshrrev_b32_e32 v17, 3, v18
	s_mov_b32 s23, exec_lo
	v_cmpx_gt_u32_e32 8, v18
; %bb.279:                              ;   in Loop: Header=BB315_191 Depth=1
	v_ffbh_u32_e32 v17, v9
	v_min_u32_e32 v17, 32, v17
	v_subrev_nc_u32_e32 v18, 28, v17
	v_sub_nc_u32_e32 v17, 29, v17
	v_lshlrev_b64 v[48:49], v18, v[9:10]
	v_and_b32_e32 v9, 7, v48
; %bb.280:                              ;   in Loop: Header=BB315_191 Depth=1
	s_or_b32 exec_lo, exec_lo, s23
	v_lshlrev_b32_sdwa v18, v36, v15 dst_sel:DWORD dst_unused:UNUSED_PAD src0_sel:DWORD src1_sel:BYTE_3
	v_lshlrev_b32_e32 v9, 20, v9
	v_lshl_add_u32 v17, v17, 23, 0x3c000000
	v_and_b32_e32 v18, 0x80000000, v18
	v_or3_b32 v48, v9, v18, v17
.LBB315_281:                            ;   in Loop: Header=BB315_191 Depth=1
	s_or_b32 exec_lo, exec_lo, s22
.LBB315_282:                            ;   in Loop: Header=BB315_191 Depth=1
	s_or_b32 exec_lo, exec_lo, s19
.LBB315_283:                            ;   in Loop: Header=BB315_191 Depth=1
	s_or_b32 exec_lo, exec_lo, s18
	v_mov_b32_e32 v9, v16
	v_cmp_ne_u16_sdwa s1, v16, v10 src0_sel:BYTE_0 src1_sel:DWORD
	v_mov_b32_e32 v17, 0
	v_mov_b32_e32 v49, 0
	s_and_saveexec_b32 s18, s1
	s_cbranch_execz .LBB315_289
; %bb.284:                              ;   in Loop: Header=BB315_191 Depth=1
	v_cmp_ne_u16_sdwa s1, v16, v32 src0_sel:BYTE_0 src1_sel:DWORD
	v_bfrev_b32_e32 v49, 1
	s_and_saveexec_b32 s19, s1
	s_cbranch_execz .LBB315_288
; %bb.285:                              ;   in Loop: Header=BB315_191 Depth=1
	v_and_b32_e32 v18, 0x7f, v16
	v_mov_b32_e32 v49, 0x7f800001
	s_mov_b32 s22, exec_lo
	v_cmpx_ne_u32_e32 0x7f, v18
	s_cbranch_execz .LBB315_287
; %bb.286:                              ;   in Loop: Header=BB315_191 Depth=1
	v_and_b32_e32 v49, 7, v16
	v_lshrrev_b32_e32 v50, 3, v18
	v_cmp_gt_u32_e64 s1, 8, v18
	v_ffbh_u32_e32 v49, v49
	v_min_u32_e32 v49, 32, v49
	v_subrev_nc_u32_e32 v51, 28, v49
	v_sub_nc_u32_e32 v49, 29, v49
	v_cndmask_b32_e64 v18, v50, v49, s1
	v_cndmask_b32_e64 v49, 0, v51, s1
	v_lshl_add_u32 v18, v18, 23, 0x3c000000
	v_lshlrev_b64 v[49:50], v49, v[9:10]
	v_lshlrev_b32_e32 v50, 24, v9
	v_lshlrev_b32_e32 v49, 20, v49
	v_and_b32_e32 v50, 0x80000000, v50
	v_and_b32_e32 v49, 0x700000, v49
	v_or3_b32 v49, v49, v50, v18
.LBB315_287:                            ;   in Loop: Header=BB315_191 Depth=1
	s_or_b32 exec_lo, exec_lo, s22
.LBB315_288:                            ;   in Loop: Header=BB315_191 Depth=1
	s_or_b32 exec_lo, exec_lo, s19
.LBB315_289:                            ;   in Loop: Header=BB315_191 Depth=1
	s_or_b32 exec_lo, exec_lo, s18
	v_cmp_ne_u16_sdwa s1, v9, v10 src0_sel:BYTE_1 src1_sel:DWORD
	s_and_saveexec_b32 s18, s1
	s_cbranch_execz .LBB315_297
; %bb.290:                              ;   in Loop: Header=BB315_191 Depth=1
	v_cmp_ne_u16_sdwa s1, v9, v32 src0_sel:BYTE_1 src1_sel:DWORD
	v_bfrev_b32_e32 v17, 1
	s_and_saveexec_b32 s19, s1
	s_cbranch_execz .LBB315_296
; %bb.291:                              ;   in Loop: Header=BB315_191 Depth=1
	v_and_b32_sdwa v18, v33, v9 dst_sel:DWORD dst_unused:UNUSED_PAD src0_sel:DWORD src1_sel:BYTE_1
	v_mov_b32_e32 v17, 0x7f800001
	s_mov_b32 s22, exec_lo
	v_and_b32_e32 v51, 0x7f, v18
	v_cmpx_ne_u32_e32 0x7f, v51
	s_cbranch_execz .LBB315_295
; %bb.292:                              ;   in Loop: Header=BB315_191 Depth=1
	v_and_b32_e32 v17, 7, v18
	v_mov_b32_e32 v18, v10
	v_lshrrev_b32_e32 v50, 3, v51
	s_mov_b32 s23, exec_lo
	v_cmpx_gt_u32_e32 8, v51
; %bb.293:                              ;   in Loop: Header=BB315_191 Depth=1
	v_ffbh_u32_e32 v50, v17
	v_min_u32_e32 v50, 32, v50
	v_subrev_nc_u32_e32 v51, 28, v50
	v_sub_nc_u32_e32 v50, 29, v50
	v_lshlrev_b64 v[17:18], v51, v[17:18]
	v_and_b32_e32 v17, 7, v17
; %bb.294:                              ;   in Loop: Header=BB315_191 Depth=1
	s_or_b32 exec_lo, exec_lo, s23
	v_lshlrev_b32_e32 v9, 16, v9
	v_lshlrev_b32_e32 v17, 20, v17
	v_lshl_add_u32 v18, v50, 23, 0x3c000000
	v_and_b32_e32 v9, 0x80000000, v9
	v_or3_b32 v17, v17, v9, v18
.LBB315_295:                            ;   in Loop: Header=BB315_191 Depth=1
	s_or_b32 exec_lo, exec_lo, s22
.LBB315_296:                            ;   in Loop: Header=BB315_191 Depth=1
	s_or_b32 exec_lo, exec_lo, s19
.LBB315_297:                            ;   in Loop: Header=BB315_191 Depth=1
	s_or_b32 exec_lo, exec_lo, s18
	v_and_b32_sdwa v9, v16, v34 dst_sel:DWORD dst_unused:UNUSED_PAD src0_sel:WORD_1 src1_sel:DWORD
	v_mov_b32_e32 v18, 0
	v_mov_b32_e32 v50, 0
	s_mov_b32 s18, exec_lo
	v_cmpx_ne_u16_e32 0, v9
	s_cbranch_execz .LBB315_305
; %bb.298:                              ;   in Loop: Header=BB315_191 Depth=1
	v_bfrev_b32_e32 v50, 1
	s_mov_b32 s19, exec_lo
	v_cmpx_ne_u16_e32 0x80, v9
	s_cbranch_execz .LBB315_304
; %bb.299:                              ;   in Loop: Header=BB315_191 Depth=1
	v_bfe_u32 v51, v16, 16, 7
	v_mov_b32_e32 v50, 0x7f800001
	s_mov_b32 s22, exec_lo
	v_cmpx_ne_u32_e32 0x7f, v51
	s_cbranch_execz .LBB315_303
; %bb.300:                              ;   in Loop: Header=BB315_191 Depth=1
	v_and_b32_sdwa v9, v16, v35 dst_sel:DWORD dst_unused:UNUSED_PAD src0_sel:WORD_1 src1_sel:DWORD
	v_lshrrev_b32_e32 v50, 3, v51
	s_mov_b32 s23, exec_lo
	v_cmpx_gt_u32_e32 8, v51
; %bb.301:                              ;   in Loop: Header=BB315_191 Depth=1
	v_ffbh_u32_e32 v50, v9
	v_min_u32_e32 v50, 32, v50
	v_subrev_nc_u32_e32 v51, 28, v50
	v_sub_nc_u32_e32 v50, 29, v50
	v_lshlrev_b64 v[51:52], v51, v[9:10]
	v_and_b32_e32 v9, 7, v51
; %bb.302:                              ;   in Loop: Header=BB315_191 Depth=1
	s_or_b32 exec_lo, exec_lo, s23
	v_lshlrev_b32_sdwa v51, v36, v16 dst_sel:DWORD dst_unused:UNUSED_PAD src0_sel:DWORD src1_sel:WORD_1
	v_lshlrev_b32_e32 v9, 20, v9
	v_lshl_add_u32 v50, v50, 23, 0x3c000000
	v_and_b32_e32 v51, 0x80000000, v51
	v_or3_b32 v50, v9, v51, v50
.LBB315_303:                            ;   in Loop: Header=BB315_191 Depth=1
	s_or_b32 exec_lo, exec_lo, s22
.LBB315_304:                            ;   in Loop: Header=BB315_191 Depth=1
	s_or_b32 exec_lo, exec_lo, s19
.LBB315_305:                            ;   in Loop: Header=BB315_191 Depth=1
	s_or_b32 exec_lo, exec_lo, s18
	s_mov_b32 s18, exec_lo
	v_cmpx_lt_u64_e64 s[4:5], v[15:16]
	s_cbranch_execz .LBB315_313
; %bb.306:                              ;   in Loop: Header=BB315_191 Depth=1
	v_cmp_ne_u32_sdwa s1, v16, v32 src0_sel:BYTE_3 src1_sel:DWORD
	v_bfrev_b32_e32 v18, 1
	s_and_saveexec_b32 s19, s1
	s_cbranch_execz .LBB315_312
; %bb.307:                              ;   in Loop: Header=BB315_191 Depth=1
	v_bfe_u32 v51, v16, 24, 7
	v_mov_b32_e32 v18, 0x7f800001
	s_mov_b32 s22, exec_lo
	v_cmpx_ne_u32_e32 0x7f, v51
	s_cbranch_execz .LBB315_311
; %bb.308:                              ;   in Loop: Header=BB315_191 Depth=1
	v_and_b32_sdwa v9, v16, v35 dst_sel:DWORD dst_unused:UNUSED_PAD src0_sel:BYTE_3 src1_sel:DWORD
	v_lshrrev_b32_e32 v15, 3, v51
	s_mov_b32 s23, exec_lo
	v_cmpx_gt_u32_e32 8, v51
; %bb.309:                              ;   in Loop: Header=BB315_191 Depth=1
	v_ffbh_u32_e32 v15, v9
	v_min_u32_e32 v15, 32, v15
	v_subrev_nc_u32_e32 v18, 28, v15
	v_sub_nc_u32_e32 v15, 29, v15
	v_lshlrev_b64 v[51:52], v18, v[9:10]
	v_and_b32_e32 v9, 7, v51
; %bb.310:                              ;   in Loop: Header=BB315_191 Depth=1
	s_or_b32 exec_lo, exec_lo, s23
	v_lshlrev_b32_sdwa v16, v36, v16 dst_sel:DWORD dst_unused:UNUSED_PAD src0_sel:DWORD src1_sel:BYTE_3
	v_lshlrev_b32_e32 v9, 20, v9
	v_lshl_add_u32 v15, v15, 23, 0x3c000000
	v_and_b32_e32 v16, 0x80000000, v16
	v_or3_b32 v18, v9, v16, v15
.LBB315_311:                            ;   in Loop: Header=BB315_191 Depth=1
	s_or_b32 exec_lo, exec_lo, s22
.LBB315_312:                            ;   in Loop: Header=BB315_191 Depth=1
	s_or_b32 exec_lo, exec_lo, s19
.LBB315_313:                            ;   in Loop: Header=BB315_191 Depth=1
	s_or_b32 exec_lo, exec_lo, s18
	v_mul_f32_e32 v9, s16, v17
	v_mul_f32_e32 v15, s16, v49
	;; [unrolled: 1-line block ×5, first 2 shown]
	v_bfe_u32 v47, v9, 16, 1
	v_or_b32_e32 v48, 0x400000, v9
	v_bfe_u32 v49, v15, 16, 1
	v_cmp_u_f32_e64 s1, v9, v9
	v_or_b32_e32 v51, 0x400000, v15
	v_add3_u32 v47, v47, v9, 0x7fff
	v_bfe_u32 v52, v16, 16, 1
	v_add3_u32 v49, v49, v15, 0x7fff
	v_or_b32_e32 v53, 0x400000, v16
	v_bfe_u32 v54, v17, 16, 1
	v_cndmask_b32_e64 v9, v47, v48, s1
	v_cmp_u_f32_e64 s1, v15, v15
	v_add3_u32 v52, v52, v16, 0x7fff
	v_mul_f32_e32 v18, s16, v18
	v_add3_u32 v48, v54, v17, 0x7fff
	v_cndmask_b32_e64 v15, v49, v51, s1
	v_cmp_u_f32_e64 s1, v16, v16
	v_lshrrev_b32_e32 v16, 16, v9
	v_mul_f32_e32 v9, s16, v45
	v_or_b32_e32 v49, 0x400000, v17
	v_lshrrev_b32_e32 v15, 16, v15
	v_cndmask_b32_e64 v47, v52, v53, s1
	v_cmp_u_f32_e64 s1, v17, v17
	v_or_b32_e32 v53, 0x400000, v18
	v_lshrrev_b32_e32 v45, 16, v47
	v_bfe_u32 v47, v9, 16, 1
	v_cndmask_b32_e64 v17, v48, v49, s1
	v_mul_f32_e32 v48, s16, v50
	v_or_b32_e32 v49, 0x400000, v9
	v_bfe_u32 v50, v46, 16, 1
	v_add3_u32 v47, v47, v9, 0x7fff
	v_cmp_u_f32_e64 s1, v9, v9
	v_bfe_u32 v51, v48, 16, 1
	v_or_b32_e32 v52, 0x400000, v48
	v_cndmask_b32_e64 v9, v47, v49, s1
	v_add3_u32 v49, v50, v46, 0x7fff
	v_or_b32_e32 v50, 0x400000, v46
	v_cmp_u_f32_e64 s1, v46, v46
	v_bfe_u32 v47, v18, 16, 1
	v_add3_u32 v51, v51, v48, 0x7fff
	v_lshrrev_b32_e32 v46, 16, v17
	v_cndmask_b32_e64 v49, v49, v50, s1
	v_cmp_u_f32_e64 s1, v48, v48
	v_add3_u32 v47, v47, v18, 0x7fff
	v_lshrrev_b32_e32 v48, 16, v9
	v_cndmask_b32_e64 v50, v51, v52, s1
	v_cmp_u_f32_e64 s1, v18, v18
	v_lshrrev_b32_e32 v17, 16, v50
	v_cndmask_b32_e64 v18, v47, v53, s1
	v_lshrrev_b32_e32 v47, 16, v49
	v_lshrrev_b32_e32 v18, 16, v18
	s_and_saveexec_b32 s18, s0
	s_cbranch_execz .LBB315_315
; %bb.314:                              ;   in Loop: Header=BB315_191 Depth=1
	v_add_nc_u32_e32 v9, -6, v30
	v_cmp_gt_i32_e64 s1, s11, v44
	v_add_nc_u32_e32 v49, -5, v30
	v_add_nc_u32_e32 v50, -2, v30
	v_cndmask_b32_e64 v47, 0, v47, s1
	v_cmp_gt_i32_e64 s1, s11, v9
	v_add_nc_u32_e32 v9, -4, v30
	v_cndmask_b32_e64 v48, 0, v48, s1
	v_cmp_gt_i32_e64 s1, s11, v49
	;; [unrolled: 3-line block ×4, first 2 shown]
	v_cndmask_b32_e64 v15, 0, v15, s1
	v_cmp_gt_i32_e64 s1, s11, v50
	v_cndmask_b32_e64 v16, 0, v16, s1
	v_cmp_gt_i32_e64 s1, s11, v9
	;; [unrolled: 2-line block ×3, first 2 shown]
	v_cndmask_b32_e64 v18, 0, v18, s1
.LBB315_315:                            ;   in Loop: Header=BB315_191 Depth=1
	s_or_b32 exec_lo, exec_lo, s18
	v_bfe_u32 v9, v5, 16, 1
	v_bfe_u32 v49, v6, 16, 1
	v_or_b32_e32 v50, 0x400000, v5
	v_cmp_u_f32_e64 s1, v5, v5
	v_or_b32_e32 v51, 0x400000, v6
	v_add3_u32 v9, v9, v5, 0x7fff
	v_bfe_u32 v52, v7, 16, 1
	v_add3_u32 v49, v49, v6, 0x7fff
	v_bfe_u32 v53, v8, 16, 1
	v_cndmask_b32_e64 v5, v9, v50, s1
	v_cmp_u_f32_e64 s1, v6, v6
	v_add3_u32 v9, v52, v7, 0x7fff
	v_bfe_u32 v50, v1, 16, 1
	v_or_b32_e32 v52, 0x400000, v8
	v_cndmask_b32_e64 v6, v49, v51, s1
	v_or_b32_e32 v49, 0x400000, v7
	v_cmp_u_f32_e64 s1, v7, v7
	v_add3_u32 v51, v53, v8, 0x7fff
	v_or_b32_e32 v53, 0x400000, v4
	v_cndmask_b32_e64 v7, v9, v49, s1
	v_cmp_u_f32_e64 s1, v8, v8
	v_add3_u32 v9, v50, v1, 0x7fff
	v_or_b32_e32 v49, 0x400000, v1
	v_bfe_u32 v8, v2, 16, 1
	v_cndmask_b32_e64 v50, v51, v52, s1
	v_cmp_u_f32_e64 s1, v1, v1
	v_bfe_u32 v51, v3, 16, 1
	v_add3_u32 v8, v8, v2, 0x7fff
	v_or_b32_e32 v52, 0x400000, v3
	v_perm_b32 v7, v50, v7, 0x7060302
	v_cndmask_b32_e64 v1, v9, v49, s1
	v_or_b32_e32 v49, 0x400000, v2
	v_cmp_u_f32_e64 s1, v2, v2
	v_bfe_u32 v9, v4, 16, 1
	v_add3_u32 v51, v51, v3, 0x7fff
	v_cndmask_b32_e64 v2, v8, v49, s1
	v_cmp_u_f32_e64 s1, v3, v3
	v_add3_u32 v9, v9, v4, 0x7fff
	v_perm_b32 v8, v6, v5, 0x7060302
	v_perm_b32 v6, v2, v1, 0x7060302
	v_cndmask_b32_e64 v3, v51, v52, s1
	v_cmp_u_f32_e64 s1, v4, v4
	v_cndmask_b32_e64 v4, v9, v53, s1
	v_perm_b32 v5, v4, v3, 0x7060302
	s_and_saveexec_b32 s18, vcc_lo
	s_cbranch_execz .LBB315_190
; %bb.316:                              ;   in Loop: Header=BB315_191 Depth=1
	v_add_co_u32 v1, s1, v13, v29
	v_add_co_ci_u32_e64 v2, null, 0, v14, s1
	v_mov_b32_e32 v14, 0
	v_mov_b32_e32 v13, 0
	global_load_dwordx2 v[1:2], v[1:2], off
	s_waitcnt vmcnt(0)
	v_cmp_ne_u16_sdwa s1, v1, v10 src0_sel:BYTE_0 src1_sel:DWORD
	s_and_saveexec_b32 s19, s1
	s_cbranch_execz .LBB315_322
; %bb.317:                              ;   in Loop: Header=BB315_191 Depth=1
	v_cmp_ne_u16_sdwa s1, v1, v32 src0_sel:BYTE_0 src1_sel:DWORD
	v_bfrev_b32_e32 v13, 1
	s_and_saveexec_b32 s22, s1
	s_cbranch_execz .LBB315_321
; %bb.318:                              ;   in Loop: Header=BB315_191 Depth=1
	v_and_b32_e32 v3, 0x7f, v1
	v_mov_b32_e32 v13, 0x7f800001
	s_mov_b32 s23, exec_lo
	v_cmpx_ne_u32_e32 0x7f, v3
	s_cbranch_execz .LBB315_320
; %bb.319:                              ;   in Loop: Header=BB315_191 Depth=1
	v_and_b32_e32 v4, 7, v1
	v_cmp_gt_u32_e64 s1, 8, v3
	v_lshrrev_b32_e32 v9, 3, v3
	v_ffbh_u32_e32 v4, v4
	v_min_u32_e32 v4, 32, v4
	v_subrev_nc_u32_e32 v13, 28, v4
	v_sub_nc_u32_e32 v4, 29, v4
	v_cndmask_b32_e64 v3, 0, v13, s1
	v_cndmask_b32_e64 v9, v9, v4, s1
	v_lshlrev_b64 v[3:4], v3, v[1:2]
	v_lshlrev_b32_e32 v4, 24, v1
	v_lshl_add_u32 v9, v9, 23, 0x3c000000
	v_lshlrev_b32_e32 v3, 20, v3
	v_and_b32_e32 v4, 0x80000000, v4
	v_and_b32_e32 v3, 0x700000, v3
	v_or3_b32 v13, v3, v4, v9
.LBB315_320:                            ;   in Loop: Header=BB315_191 Depth=1
	s_or_b32 exec_lo, exec_lo, s23
.LBB315_321:                            ;   in Loop: Header=BB315_191 Depth=1
	s_or_b32 exec_lo, exec_lo, s22
.LBB315_322:                            ;   in Loop: Header=BB315_191 Depth=1
	s_or_b32 exec_lo, exec_lo, s19
	v_cmp_ne_u16_sdwa s1, v1, v10 src0_sel:BYTE_1 src1_sel:DWORD
	s_and_saveexec_b32 s19, s1
	s_cbranch_execz .LBB315_330
; %bb.323:                              ;   in Loop: Header=BB315_191 Depth=1
	v_cmp_ne_u16_sdwa s1, v1, v32 src0_sel:BYTE_1 src1_sel:DWORD
	v_bfrev_b32_e32 v14, 1
	s_and_saveexec_b32 s22, s1
	s_cbranch_execz .LBB315_329
; %bb.324:                              ;   in Loop: Header=BB315_191 Depth=1
	v_and_b32_sdwa v3, v33, v1 dst_sel:DWORD dst_unused:UNUSED_PAD src0_sel:DWORD src1_sel:BYTE_1
	v_mov_b32_e32 v14, 0x7f800001
	s_mov_b32 s23, exec_lo
	v_and_b32_e32 v4, 0x7f, v3
	v_cmpx_ne_u32_e32 0x7f, v4
	s_cbranch_execz .LBB315_328
; %bb.325:                              ;   in Loop: Header=BB315_191 Depth=1
	v_and_b32_e32 v9, 7, v3
	v_lshrrev_b32_e32 v3, 3, v4
	s_mov_b32 s24, exec_lo
	v_cmpx_gt_u32_e32 8, v4
; %bb.326:                              ;   in Loop: Header=BB315_191 Depth=1
	v_ffbh_u32_e32 v3, v9
	v_min_u32_e32 v3, 32, v3
	v_subrev_nc_u32_e32 v4, 28, v3
	v_sub_nc_u32_e32 v3, 29, v3
	v_lshlrev_b64 v[49:50], v4, v[9:10]
	v_and_b32_e32 v9, 7, v49
; %bb.327:                              ;   in Loop: Header=BB315_191 Depth=1
	s_or_b32 exec_lo, exec_lo, s24
	v_lshlrev_b32_e32 v4, 16, v1
	v_lshlrev_b32_e32 v9, 20, v9
	v_lshl_add_u32 v3, v3, 23, 0x3c000000
	v_and_b32_e32 v4, 0x80000000, v4
	v_or3_b32 v14, v9, v4, v3
.LBB315_328:                            ;   in Loop: Header=BB315_191 Depth=1
	s_or_b32 exec_lo, exec_lo, s23
.LBB315_329:                            ;   in Loop: Header=BB315_191 Depth=1
	s_or_b32 exec_lo, exec_lo, s22
.LBB315_330:                            ;   in Loop: Header=BB315_191 Depth=1
	s_or_b32 exec_lo, exec_lo, s19
	v_and_b32_sdwa v3, v1, v34 dst_sel:DWORD dst_unused:UNUSED_PAD src0_sel:WORD_1 src1_sel:DWORD
	v_mov_b32_e32 v50, 0
	v_mov_b32_e32 v49, 0
	s_mov_b32 s19, exec_lo
	v_cmpx_ne_u16_e32 0, v3
	s_cbranch_execz .LBB315_338
; %bb.331:                              ;   in Loop: Header=BB315_191 Depth=1
	v_bfrev_b32_e32 v49, 1
	s_mov_b32 s22, exec_lo
	v_cmpx_ne_u16_e32 0x80, v3
	s_cbranch_execz .LBB315_337
; %bb.332:                              ;   in Loop: Header=BB315_191 Depth=1
	v_bfe_u32 v4, v1, 16, 7
	v_mov_b32_e32 v49, 0x7f800001
	s_mov_b32 s23, exec_lo
	v_cmpx_ne_u32_e32 0x7f, v4
	s_cbranch_execz .LBB315_336
; %bb.333:                              ;   in Loop: Header=BB315_191 Depth=1
	v_and_b32_sdwa v9, v1, v35 dst_sel:DWORD dst_unused:UNUSED_PAD src0_sel:WORD_1 src1_sel:DWORD
	v_lshrrev_b32_e32 v3, 3, v4
	s_mov_b32 s24, exec_lo
	v_cmpx_gt_u32_e32 8, v4
; %bb.334:                              ;   in Loop: Header=BB315_191 Depth=1
	v_ffbh_u32_e32 v3, v9
	v_min_u32_e32 v3, 32, v3
	v_subrev_nc_u32_e32 v4, 28, v3
	v_sub_nc_u32_e32 v3, 29, v3
	v_lshlrev_b64 v[51:52], v4, v[9:10]
	v_and_b32_e32 v9, 7, v51
; %bb.335:                              ;   in Loop: Header=BB315_191 Depth=1
	s_or_b32 exec_lo, exec_lo, s24
	v_lshlrev_b32_sdwa v4, v36, v1 dst_sel:DWORD dst_unused:UNUSED_PAD src0_sel:DWORD src1_sel:WORD_1
	v_lshlrev_b32_e32 v9, 20, v9
	v_lshl_add_u32 v3, v3, 23, 0x3c000000
	v_and_b32_e32 v4, 0x80000000, v4
	v_or3_b32 v49, v9, v4, v3
.LBB315_336:                            ;   in Loop: Header=BB315_191 Depth=1
	s_or_b32 exec_lo, exec_lo, s23
.LBB315_337:                            ;   in Loop: Header=BB315_191 Depth=1
	s_or_b32 exec_lo, exec_lo, s22
.LBB315_338:                            ;   in Loop: Header=BB315_191 Depth=1
	s_or_b32 exec_lo, exec_lo, s19
	s_mov_b32 s19, exec_lo
	v_cmpx_lt_u32_e32 0xffffff, v1
	s_cbranch_execz .LBB315_346
; %bb.339:                              ;   in Loop: Header=BB315_191 Depth=1
	v_cmp_ne_u32_sdwa s1, v1, v32 src0_sel:BYTE_3 src1_sel:DWORD
	v_bfrev_b32_e32 v50, 1
	s_and_saveexec_b32 s22, s1
	s_cbranch_execz .LBB315_345
; %bb.340:                              ;   in Loop: Header=BB315_191 Depth=1
	v_bfe_u32 v4, v1, 24, 7
	v_mov_b32_e32 v50, 0x7f800001
	s_mov_b32 s23, exec_lo
	v_cmpx_ne_u32_e32 0x7f, v4
	s_cbranch_execz .LBB315_344
; %bb.341:                              ;   in Loop: Header=BB315_191 Depth=1
	v_and_b32_sdwa v9, v1, v35 dst_sel:DWORD dst_unused:UNUSED_PAD src0_sel:BYTE_3 src1_sel:DWORD
	v_lshrrev_b32_e32 v3, 3, v4
	s_mov_b32 s24, exec_lo
	v_cmpx_gt_u32_e32 8, v4
; %bb.342:                              ;   in Loop: Header=BB315_191 Depth=1
	v_ffbh_u32_e32 v3, v9
	v_min_u32_e32 v3, 32, v3
	v_subrev_nc_u32_e32 v4, 28, v3
	v_sub_nc_u32_e32 v3, 29, v3
	v_lshlrev_b64 v[50:51], v4, v[9:10]
	v_and_b32_e32 v9, 7, v50
; %bb.343:                              ;   in Loop: Header=BB315_191 Depth=1
	s_or_b32 exec_lo, exec_lo, s24
	v_lshlrev_b32_sdwa v4, v36, v1 dst_sel:DWORD dst_unused:UNUSED_PAD src0_sel:DWORD src1_sel:BYTE_3
	v_lshlrev_b32_e32 v9, 20, v9
	v_lshl_add_u32 v3, v3, 23, 0x3c000000
	v_and_b32_e32 v4, 0x80000000, v4
	v_or3_b32 v50, v9, v4, v3
.LBB315_344:                            ;   in Loop: Header=BB315_191 Depth=1
	s_or_b32 exec_lo, exec_lo, s23
.LBB315_345:                            ;   in Loop: Header=BB315_191 Depth=1
	s_or_b32 exec_lo, exec_lo, s22
.LBB315_346:                            ;   in Loop: Header=BB315_191 Depth=1
	s_or_b32 exec_lo, exec_lo, s19
	v_mov_b32_e32 v9, v2
	v_cmp_ne_u16_sdwa s1, v2, v10 src0_sel:BYTE_0 src1_sel:DWORD
	v_mov_b32_e32 v3, 0
	v_mov_b32_e32 v51, 0
	s_and_saveexec_b32 s19, s1
	s_cbranch_execz .LBB315_352
; %bb.347:                              ;   in Loop: Header=BB315_191 Depth=1
	v_cmp_ne_u16_sdwa s1, v2, v32 src0_sel:BYTE_0 src1_sel:DWORD
	v_bfrev_b32_e32 v51, 1
	s_and_saveexec_b32 s22, s1
	s_cbranch_execz .LBB315_351
; %bb.348:                              ;   in Loop: Header=BB315_191 Depth=1
	v_and_b32_e32 v4, 0x7f, v2
	v_mov_b32_e32 v51, 0x7f800001
	s_mov_b32 s23, exec_lo
	v_cmpx_ne_u32_e32 0x7f, v4
	s_cbranch_execz .LBB315_350
; %bb.349:                              ;   in Loop: Header=BB315_191 Depth=1
	v_and_b32_e32 v51, 7, v2
	v_lshrrev_b32_e32 v52, 3, v4
	v_cmp_gt_u32_e64 s1, 8, v4
	v_ffbh_u32_e32 v51, v51
	v_min_u32_e32 v51, 32, v51
	v_subrev_nc_u32_e32 v53, 28, v51
	v_sub_nc_u32_e32 v51, 29, v51
	v_cndmask_b32_e64 v4, v52, v51, s1
	v_cndmask_b32_e64 v51, 0, v53, s1
	v_lshl_add_u32 v4, v4, 23, 0x3c000000
	v_lshlrev_b64 v[51:52], v51, v[9:10]
	v_lshlrev_b32_e32 v52, 24, v9
	v_lshlrev_b32_e32 v51, 20, v51
	v_and_b32_e32 v52, 0x80000000, v52
	v_and_b32_e32 v51, 0x700000, v51
	v_or3_b32 v51, v51, v52, v4
.LBB315_350:                            ;   in Loop: Header=BB315_191 Depth=1
	s_or_b32 exec_lo, exec_lo, s23
.LBB315_351:                            ;   in Loop: Header=BB315_191 Depth=1
	s_or_b32 exec_lo, exec_lo, s22
.LBB315_352:                            ;   in Loop: Header=BB315_191 Depth=1
	s_or_b32 exec_lo, exec_lo, s19
	v_cmp_ne_u16_sdwa s1, v9, v10 src0_sel:BYTE_1 src1_sel:DWORD
	s_and_saveexec_b32 s19, s1
	s_cbranch_execz .LBB315_360
; %bb.353:                              ;   in Loop: Header=BB315_191 Depth=1
	v_cmp_ne_u16_sdwa s1, v9, v32 src0_sel:BYTE_1 src1_sel:DWORD
	v_bfrev_b32_e32 v3, 1
	s_and_saveexec_b32 s22, s1
	s_cbranch_execz .LBB315_359
; %bb.354:                              ;   in Loop: Header=BB315_191 Depth=1
	v_and_b32_sdwa v4, v33, v9 dst_sel:DWORD dst_unused:UNUSED_PAD src0_sel:DWORD src1_sel:BYTE_1
	v_mov_b32_e32 v3, 0x7f800001
	s_mov_b32 s23, exec_lo
	v_and_b32_e32 v53, 0x7f, v4
	v_cmpx_ne_u32_e32 0x7f, v53
	s_cbranch_execz .LBB315_358
; %bb.355:                              ;   in Loop: Header=BB315_191 Depth=1
	v_and_b32_e32 v3, 7, v4
	v_mov_b32_e32 v4, v10
	v_lshrrev_b32_e32 v52, 3, v53
	s_mov_b32 s24, exec_lo
	v_cmpx_gt_u32_e32 8, v53
; %bb.356:                              ;   in Loop: Header=BB315_191 Depth=1
	v_ffbh_u32_e32 v52, v3
	v_min_u32_e32 v52, 32, v52
	v_subrev_nc_u32_e32 v53, 28, v52
	v_sub_nc_u32_e32 v52, 29, v52
	v_lshlrev_b64 v[3:4], v53, v[3:4]
	v_and_b32_e32 v3, 7, v3
; %bb.357:                              ;   in Loop: Header=BB315_191 Depth=1
	s_or_b32 exec_lo, exec_lo, s24
	v_lshlrev_b32_e32 v4, 16, v9
	v_lshlrev_b32_e32 v3, 20, v3
	v_lshl_add_u32 v9, v52, 23, 0x3c000000
	v_and_b32_e32 v4, 0x80000000, v4
	v_or3_b32 v3, v3, v4, v9
.LBB315_358:                            ;   in Loop: Header=BB315_191 Depth=1
	s_or_b32 exec_lo, exec_lo, s23
.LBB315_359:                            ;   in Loop: Header=BB315_191 Depth=1
	s_or_b32 exec_lo, exec_lo, s22
.LBB315_360:                            ;   in Loop: Header=BB315_191 Depth=1
	s_or_b32 exec_lo, exec_lo, s19
	v_and_b32_sdwa v9, v2, v34 dst_sel:DWORD dst_unused:UNUSED_PAD src0_sel:WORD_1 src1_sel:DWORD
	v_mov_b32_e32 v4, 0
	v_mov_b32_e32 v52, 0
	s_mov_b32 s19, exec_lo
	v_cmpx_ne_u16_e32 0, v9
	s_cbranch_execz .LBB315_368
; %bb.361:                              ;   in Loop: Header=BB315_191 Depth=1
	v_bfrev_b32_e32 v52, 1
	s_mov_b32 s22, exec_lo
	v_cmpx_ne_u16_e32 0x80, v9
	s_cbranch_execz .LBB315_367
; %bb.362:                              ;   in Loop: Header=BB315_191 Depth=1
	v_bfe_u32 v53, v2, 16, 7
	v_mov_b32_e32 v52, 0x7f800001
	s_mov_b32 s23, exec_lo
	v_cmpx_ne_u32_e32 0x7f, v53
	s_cbranch_execz .LBB315_366
; %bb.363:                              ;   in Loop: Header=BB315_191 Depth=1
	v_and_b32_sdwa v9, v2, v35 dst_sel:DWORD dst_unused:UNUSED_PAD src0_sel:WORD_1 src1_sel:DWORD
	v_lshrrev_b32_e32 v52, 3, v53
	s_mov_b32 s24, exec_lo
	v_cmpx_gt_u32_e32 8, v53
; %bb.364:                              ;   in Loop: Header=BB315_191 Depth=1
	v_ffbh_u32_e32 v52, v9
	v_min_u32_e32 v52, 32, v52
	v_subrev_nc_u32_e32 v53, 28, v52
	v_sub_nc_u32_e32 v52, 29, v52
	v_lshlrev_b64 v[53:54], v53, v[9:10]
	v_and_b32_e32 v9, 7, v53
; %bb.365:                              ;   in Loop: Header=BB315_191 Depth=1
	s_or_b32 exec_lo, exec_lo, s24
	v_lshlrev_b32_sdwa v53, v36, v2 dst_sel:DWORD dst_unused:UNUSED_PAD src0_sel:DWORD src1_sel:WORD_1
	v_lshlrev_b32_e32 v9, 20, v9
	v_lshl_add_u32 v52, v52, 23, 0x3c000000
	v_and_b32_e32 v53, 0x80000000, v53
	v_or3_b32 v52, v9, v53, v52
.LBB315_366:                            ;   in Loop: Header=BB315_191 Depth=1
	s_or_b32 exec_lo, exec_lo, s23
.LBB315_367:                            ;   in Loop: Header=BB315_191 Depth=1
	s_or_b32 exec_lo, exec_lo, s22
.LBB315_368:                            ;   in Loop: Header=BB315_191 Depth=1
	s_or_b32 exec_lo, exec_lo, s19
	s_mov_b32 s19, exec_lo
	v_cmpx_lt_u64_e64 s[4:5], v[1:2]
	s_cbranch_execz .LBB315_376
; %bb.369:                              ;   in Loop: Header=BB315_191 Depth=1
	v_cmp_ne_u32_sdwa s1, v2, v32 src0_sel:BYTE_3 src1_sel:DWORD
	v_bfrev_b32_e32 v4, 1
	s_and_saveexec_b32 s22, s1
	s_cbranch_execz .LBB315_375
; %bb.370:                              ;   in Loop: Header=BB315_191 Depth=1
	v_bfe_u32 v53, v2, 24, 7
	v_mov_b32_e32 v4, 0x7f800001
	s_mov_b32 s23, exec_lo
	v_cmpx_ne_u32_e32 0x7f, v53
	s_cbranch_execz .LBB315_374
; %bb.371:                              ;   in Loop: Header=BB315_191 Depth=1
	v_and_b32_sdwa v9, v2, v35 dst_sel:DWORD dst_unused:UNUSED_PAD src0_sel:BYTE_3 src1_sel:DWORD
	v_lshrrev_b32_e32 v1, 3, v53
	s_mov_b32 s24, exec_lo
	v_cmpx_gt_u32_e32 8, v53
; %bb.372:                              ;   in Loop: Header=BB315_191 Depth=1
	v_ffbh_u32_e32 v1, v9
	v_min_u32_e32 v1, 32, v1
	v_subrev_nc_u32_e32 v4, 28, v1
	v_sub_nc_u32_e32 v1, 29, v1
	v_lshlrev_b64 v[53:54], v4, v[9:10]
	v_and_b32_e32 v9, 7, v53
; %bb.373:                              ;   in Loop: Header=BB315_191 Depth=1
	s_or_b32 exec_lo, exec_lo, s24
	v_lshlrev_b32_sdwa v2, v36, v2 dst_sel:DWORD dst_unused:UNUSED_PAD src0_sel:DWORD src1_sel:BYTE_3
	v_lshlrev_b32_e32 v4, 20, v9
	v_lshl_add_u32 v1, v1, 23, 0x3c000000
	v_and_b32_e32 v2, 0x80000000, v2
	v_or3_b32 v4, v4, v2, v1
.LBB315_374:                            ;   in Loop: Header=BB315_191 Depth=1
	s_or_b32 exec_lo, exec_lo, s23
.LBB315_375:                            ;   in Loop: Header=BB315_191 Depth=1
	s_or_b32 exec_lo, exec_lo, s22
.LBB315_376:                            ;   in Loop: Header=BB315_191 Depth=1
	s_or_b32 exec_lo, exec_lo, s19
	v_mul_f32_e32 v1, s16, v3
	v_mul_f32_e32 v2, s16, v51
	;; [unrolled: 1-line block ×5, first 2 shown]
	v_bfe_u32 v9, v1, 16, 1
	v_or_b32_e32 v50, 0x400000, v1
	v_bfe_u32 v51, v2, 16, 1
	v_cmp_u_f32_e64 s1, v1, v1
	v_or_b32_e32 v53, 0x400000, v2
	v_add3_u32 v9, v9, v1, 0x7fff
	v_bfe_u32 v54, v3, 16, 1
	v_add3_u32 v51, v51, v2, 0x7fff
	v_or_b32_e32 v55, 0x400000, v3
	v_bfe_u32 v56, v49, 16, 1
	v_cndmask_b32_e64 v1, v9, v50, s1
	v_cmp_u_f32_e64 s1, v2, v2
	v_add3_u32 v54, v54, v3, 0x7fff
	v_mul_f32_e32 v13, s16, v13
	v_add3_u32 v50, v56, v49, 0x7fff
	v_lshrrev_b32_e32 v2, 16, v1
	v_cndmask_b32_e64 v9, v51, v53, s1
	v_cmp_u_f32_e64 s1, v3, v3
	v_or_b32_e32 v51, 0x400000, v49
	v_mul_f32_e32 v4, s16, v4
	v_lshrrev_b32_e32 v1, 16, v9
	v_cndmask_b32_e64 v3, v54, v55, s1
	v_cmp_u_f32_e64 s1, v49, v49
	v_or_b32_e32 v55, 0x400000, v4
	v_lshrrev_b32_e32 v9, 16, v3
	v_bfe_u32 v3, v14, 16, 1
	v_cndmask_b32_e64 v49, v50, v51, s1
	v_mul_f32_e32 v50, s16, v52
	v_or_b32_e32 v51, 0x400000, v14
	v_bfe_u32 v52, v13, 16, 1
	v_add3_u32 v3, v3, v14, 0x7fff
	v_cmp_u_f32_e64 s1, v14, v14
	v_bfe_u32 v53, v50, 16, 1
	v_bfe_u32 v14, v4, 16, 1
	v_or_b32_e32 v54, 0x400000, v50
	v_cndmask_b32_e64 v3, v3, v51, s1
	v_add3_u32 v51, v52, v13, 0x7fff
	v_or_b32_e32 v52, 0x400000, v13
	v_cmp_u_f32_e64 s1, v13, v13
	v_add3_u32 v53, v53, v50, 0x7fff
	v_add3_u32 v14, v14, v4, 0x7fff
	v_lshrrev_b32_e32 v13, 16, v49
	v_lshrrev_b32_e32 v49, 16, v3
	v_cndmask_b32_e64 v51, v51, v52, s1
	v_cmp_u_f32_e64 s1, v50, v50
	v_cndmask_b32_e64 v50, v53, v54, s1
	v_cmp_u_f32_e64 s1, v4, v4
	v_lshrrev_b32_e32 v3, 16, v50
	v_cndmask_b32_e64 v4, v14, v55, s1
	v_lshrrev_b32_e32 v14, 16, v51
	v_lshrrev_b32_e32 v4, 16, v4
	s_and_saveexec_b32 s1, s0
	s_cbranch_execz .LBB315_189
; %bb.377:                              ;   in Loop: Header=BB315_191 Depth=1
	v_add_nc_u32_e32 v50, -6, v30
	v_cmp_gt_i32_e64 s0, s11, v44
	v_add_nc_u32_e32 v51, -5, v30
	v_add_nc_u32_e32 v44, -4, v30
	v_cndmask_b32_e64 v14, 0, v14, s0
	v_cmp_gt_i32_e64 s0, s11, v50
	v_add_nc_u32_e32 v50, -3, v30
	v_cndmask_b32_e64 v49, 0, v49, s0
	v_cmp_gt_i32_e64 s0, s11, v51
	;; [unrolled: 3-line block ×4, first 2 shown]
	v_cndmask_b32_e64 v1, 0, v1, s0
	v_cmp_gt_i32_e64 s0, s11, v51
	v_cndmask_b32_e64 v2, 0, v2, s0
	v_cmp_gt_i32_e64 s0, s11, v44
	;; [unrolled: 2-line block ×3, first 2 shown]
	v_cndmask_b32_e64 v4, 0, v4, s0
	s_branch .LBB315_189
.LBB315_378:
	s_or_b32 exec_lo, exec_lo, s17
.LBB315_379:
	s_or_b32 exec_lo, exec_lo, s14
	s_movk_i32 s0, 0x140
	v_and_b32_e32 v2, 0x3c0, v0
	v_mad_u32_u24 v1, v21, s0, 0xc0
	s_mov_b32 s0, exec_lo
	s_barrier
	buffer_gl0_inv
	v_cmpx_eq_u32_e32 64, v2
	s_cbranch_execz .LBB315_382
; %bb.380:
	v_add_nc_u32_e32 v2, 0xfffffd80, v1
	v_cmp_gt_u32_e32 vcc_lo, 0x50, v27
	v_lshl_add_u32 v3, v22, 2, v2
	ds_write2_b32 v3, v26, v25 offset1:32
	s_and_b32 exec_lo, exec_lo, vcc_lo
; %bb.381:
	v_lshl_add_u32 v2, v27, 2, v2
	ds_write_b32 v2, v24
.LBB315_382:
	s_or_b32 exec_lo, exec_lo, s0
	v_lshl_add_u32 v3, v22, 2, v1
	s_mov_b32 s0, exec_lo
	s_waitcnt lgkmcnt(0)
	s_barrier
	buffer_gl0_inv
	v_cmpx_gt_u32_e32 64, v0
	s_cbranch_execz .LBB315_386
; %bb.383:
	v_lshl_or_b32 v2, v0, 2, 0x80
	s_mov_b32 s1, exec_lo
	v_add_nc_u32_e32 v4, v1, v2
	ds_read_b32 v2, v3
	ds_read_b32 v4, v4
	v_cmpx_gt_u32_e32 0x50, v27
	s_cbranch_execz .LBB315_385
; %bb.384:
	ds_read_b32 v5, v3 offset:256
	s_waitcnt lgkmcnt(0)
	v_add_f32_e32 v24, v24, v5
.LBB315_385:
	s_or_b32 exec_lo, exec_lo, s1
	s_waitcnt lgkmcnt(1)
	v_add_f32_e32 v26, v26, v2
	s_waitcnt lgkmcnt(0)
	v_add_f32_e32 v25, v25, v4
.LBB315_386:
	s_or_b32 exec_lo, exec_lo, s0
	v_and_b32_e32 v2, 0x3e0, v0
	s_mov_b32 s0, exec_lo
	s_barrier
	buffer_gl0_inv
	v_cmpx_eq_u32_e32 32, v2
	s_cbranch_execz .LBB315_389
; %bb.387:
	v_lshl_add_u32 v2, v22, 2, 0xc0
	v_cmp_gt_u32_e32 vcc_lo, 0x50, v27
	ds_write_b32 v2, v26
	ds_write_b32 v23, v25
	s_and_b32 exec_lo, exec_lo, vcc_lo
; %bb.388:
	ds_write_b32 v2, v24 offset:256
.LBB315_389:
	s_or_b32 exec_lo, exec_lo, s0
	v_cmp_gt_u32_e32 vcc_lo, 32, v0
	v_or_b32_e32 v2, 64, v0
	s_waitcnt lgkmcnt(0)
	s_barrier
	buffer_gl0_inv
	s_and_saveexec_b32 s1, vcc_lo
	s_cbranch_execz .LBB315_393
; %bb.390:
	v_lshl_add_u32 v4, v0, 2, v1
	s_mov_b32 s2, exec_lo
	ds_read_b32 v1, v3
	ds_read_b32 v3, v4 offset:128
	v_cmpx_gt_u32_e32 0x50, v2
	s_cbranch_execz .LBB315_392
; %bb.391:
	ds_read_b32 v4, v4 offset:256
	s_waitcnt lgkmcnt(0)
	v_add_f32_e32 v24, v24, v4
.LBB315_392:
	s_or_b32 exec_lo, exec_lo, s2
	s_waitcnt lgkmcnt(1)
	v_add_f32_e32 v26, v26, v1
	s_waitcnt lgkmcnt(0)
	v_add_f32_e32 v25, v25, v3
.LBB315_393:
	s_or_b32 exec_lo, exec_lo, s1
	s_barrier
	buffer_gl0_inv
	s_and_saveexec_b32 s0, vcc_lo
	s_cbranch_execz .LBB315_396
; %bb.394:
	s_mul_i32 s0, s10, s7
	v_bfe_u32 v1, v26, 16, 1
	s_mul_i32 s0, s0, s9
	v_or_b32_e32 v3, 0x400000, v26
	s_mulk_i32 s0, 0x50
	v_bfe_u32 v4, v25, 16, 1
	s_ashr_i32 s1, s0, 31
	v_add3_u32 v1, v1, v26, 0x7fff
	s_lshl_b64 s[0:1], s[0:1], 1
	v_cmp_u_f32_e32 vcc_lo, v26, v26
	s_mul_i32 s2, s7, s6
	s_add_u32 s5, s20, s0
	s_addc_u32 s6, s21, s1
	s_ashr_i32 s3, s2, 31
	v_add3_u32 v4, v4, v25, 0x7fff
	s_lshl_b64 s[0:1], s[2:3], 1
	v_or_b32_e32 v5, 0x400000, v25
	v_cndmask_b32_e32 v1, v1, v3, vcc_lo
	v_cmp_u_f32_e32 vcc_lo, v25, v25
	s_mul_i32 s4, s8, 0x50
	s_add_u32 s2, s5, s0
	s_addc_u32 s3, s6, s1
	s_ashr_i32 s5, s4, 31
	v_lshlrev_b32_e32 v0, 1, v0
	s_lshl_b64 s[0:1], s[4:5], 1
	v_cndmask_b32_e32 v3, v4, v5, vcc_lo
	v_cmp_gt_u32_e32 vcc_lo, 0x50, v2
	s_add_u32 s0, s2, s0
	s_addc_u32 s1, s3, s1
	global_store_short_d16_hi v0, v1, s[0:1]
	global_store_short_d16_hi v0, v3, s[0:1] offset:64
	s_and_b32 exec_lo, exec_lo, vcc_lo
	s_cbranch_execz .LBB315_396
; %bb.395:
	v_bfe_u32 v1, v24, 16, 1
	v_or_b32_e32 v2, 0x400000, v24
	v_cmp_u_f32_e32 vcc_lo, v24, v24
	v_add_co_u32 v0, s0, s0, v0
	v_add3_u32 v3, v1, v24, 0x7fff
	v_add_co_ci_u32_e64 v1, null, s1, 0, s0
	v_cndmask_b32_e32 v2, v3, v2, vcc_lo
	global_store_short_d16_hi v[0:1], v2, off offset:128
.LBB315_396:
	s_endpgm
	.section	.rodata,"a",@progbits
	.p2align	6, 0x0
	.amdhsa_kernel _ZN4vllm25paged_attention_v1_kernelI14__hip_bfloat16hLi80ELi8ELi128ELNS_18Fp8KVCacheDataTypeE1ELb0EEEvPT_PKS3_PKT0_S9_ifPKiSB_iPKfiiiSD_SD_iiiii
		.amdhsa_group_segment_fixed_size 192
		.amdhsa_private_segment_fixed_size 0
		.amdhsa_kernarg_size 384
		.amdhsa_user_sgpr_count 6
		.amdhsa_user_sgpr_private_segment_buffer 1
		.amdhsa_user_sgpr_dispatch_ptr 0
		.amdhsa_user_sgpr_queue_ptr 0
		.amdhsa_user_sgpr_kernarg_segment_ptr 1
		.amdhsa_user_sgpr_dispatch_id 0
		.amdhsa_user_sgpr_flat_scratch_init 0
		.amdhsa_user_sgpr_private_segment_size 0
		.amdhsa_wavefront_size32 1
		.amdhsa_uses_dynamic_stack 0
		.amdhsa_system_sgpr_private_segment_wavefront_offset 0
		.amdhsa_system_sgpr_workgroup_id_x 1
		.amdhsa_system_sgpr_workgroup_id_y 1
		.amdhsa_system_sgpr_workgroup_id_z 1
		.amdhsa_system_sgpr_workgroup_info 0
		.amdhsa_system_vgpr_workitem_id 0
		.amdhsa_next_free_vgpr 72
		.amdhsa_next_free_sgpr 34
		.amdhsa_reserve_vcc 1
		.amdhsa_reserve_flat_scratch 0
		.amdhsa_float_round_mode_32 0
		.amdhsa_float_round_mode_16_64 0
		.amdhsa_float_denorm_mode_32 3
		.amdhsa_float_denorm_mode_16_64 3
		.amdhsa_dx10_clamp 1
		.amdhsa_ieee_mode 1
		.amdhsa_fp16_overflow 0
		.amdhsa_workgroup_processor_mode 1
		.amdhsa_memory_ordered 1
		.amdhsa_forward_progress 1
		.amdhsa_shared_vgpr_count 0
		.amdhsa_exception_fp_ieee_invalid_op 0
		.amdhsa_exception_fp_denorm_src 0
		.amdhsa_exception_fp_ieee_div_zero 0
		.amdhsa_exception_fp_ieee_overflow 0
		.amdhsa_exception_fp_ieee_underflow 0
		.amdhsa_exception_fp_ieee_inexact 0
		.amdhsa_exception_int_div_zero 0
	.end_amdhsa_kernel
	.section	.text._ZN4vllm25paged_attention_v1_kernelI14__hip_bfloat16hLi80ELi8ELi128ELNS_18Fp8KVCacheDataTypeE1ELb0EEEvPT_PKS3_PKT0_S9_ifPKiSB_iPKfiiiSD_SD_iiiii,"axG",@progbits,_ZN4vllm25paged_attention_v1_kernelI14__hip_bfloat16hLi80ELi8ELi128ELNS_18Fp8KVCacheDataTypeE1ELb0EEEvPT_PKS3_PKT0_S9_ifPKiSB_iPKfiiiSD_SD_iiiii,comdat
.Lfunc_end315:
	.size	_ZN4vllm25paged_attention_v1_kernelI14__hip_bfloat16hLi80ELi8ELi128ELNS_18Fp8KVCacheDataTypeE1ELb0EEEvPT_PKS3_PKT0_S9_ifPKiSB_iPKfiiiSD_SD_iiiii, .Lfunc_end315-_ZN4vllm25paged_attention_v1_kernelI14__hip_bfloat16hLi80ELi8ELi128ELNS_18Fp8KVCacheDataTypeE1ELb0EEEvPT_PKS3_PKT0_S9_ifPKiSB_iPKfiiiSD_SD_iiiii
                                        ; -- End function
	.set _ZN4vllm25paged_attention_v1_kernelI14__hip_bfloat16hLi80ELi8ELi128ELNS_18Fp8KVCacheDataTypeE1ELb0EEEvPT_PKS3_PKT0_S9_ifPKiSB_iPKfiiiSD_SD_iiiii.num_vgpr, 72
	.set _ZN4vllm25paged_attention_v1_kernelI14__hip_bfloat16hLi80ELi8ELi128ELNS_18Fp8KVCacheDataTypeE1ELb0EEEvPT_PKS3_PKT0_S9_ifPKiSB_iPKfiiiSD_SD_iiiii.num_agpr, 0
	.set _ZN4vllm25paged_attention_v1_kernelI14__hip_bfloat16hLi80ELi8ELi128ELNS_18Fp8KVCacheDataTypeE1ELb0EEEvPT_PKS3_PKT0_S9_ifPKiSB_iPKfiiiSD_SD_iiiii.numbered_sgpr, 34
	.set _ZN4vllm25paged_attention_v1_kernelI14__hip_bfloat16hLi80ELi8ELi128ELNS_18Fp8KVCacheDataTypeE1ELb0EEEvPT_PKS3_PKT0_S9_ifPKiSB_iPKfiiiSD_SD_iiiii.num_named_barrier, 0
	.set _ZN4vllm25paged_attention_v1_kernelI14__hip_bfloat16hLi80ELi8ELi128ELNS_18Fp8KVCacheDataTypeE1ELb0EEEvPT_PKS3_PKT0_S9_ifPKiSB_iPKfiiiSD_SD_iiiii.private_seg_size, 0
	.set _ZN4vllm25paged_attention_v1_kernelI14__hip_bfloat16hLi80ELi8ELi128ELNS_18Fp8KVCacheDataTypeE1ELb0EEEvPT_PKS3_PKT0_S9_ifPKiSB_iPKfiiiSD_SD_iiiii.uses_vcc, 1
	.set _ZN4vllm25paged_attention_v1_kernelI14__hip_bfloat16hLi80ELi8ELi128ELNS_18Fp8KVCacheDataTypeE1ELb0EEEvPT_PKS3_PKT0_S9_ifPKiSB_iPKfiiiSD_SD_iiiii.uses_flat_scratch, 0
	.set _ZN4vllm25paged_attention_v1_kernelI14__hip_bfloat16hLi80ELi8ELi128ELNS_18Fp8KVCacheDataTypeE1ELb0EEEvPT_PKS3_PKT0_S9_ifPKiSB_iPKfiiiSD_SD_iiiii.has_dyn_sized_stack, 0
	.set _ZN4vllm25paged_attention_v1_kernelI14__hip_bfloat16hLi80ELi8ELi128ELNS_18Fp8KVCacheDataTypeE1ELb0EEEvPT_PKS3_PKT0_S9_ifPKiSB_iPKfiiiSD_SD_iiiii.has_recursion, 0
	.set _ZN4vllm25paged_attention_v1_kernelI14__hip_bfloat16hLi80ELi8ELi128ELNS_18Fp8KVCacheDataTypeE1ELb0EEEvPT_PKS3_PKT0_S9_ifPKiSB_iPKfiiiSD_SD_iiiii.has_indirect_call, 0
	.section	.AMDGPU.csdata,"",@progbits
; Kernel info:
; codeLenInByte = 16080
; TotalNumSgprs: 36
; NumVgprs: 72
; ScratchSize: 0
; MemoryBound: 0
; FloatMode: 240
; IeeeMode: 1
; LDSByteSize: 192 bytes/workgroup (compile time only)
; SGPRBlocks: 0
; VGPRBlocks: 8
; NumSGPRsForWavesPerEU: 36
; NumVGPRsForWavesPerEU: 72
; Occupancy: 12
; WaveLimiterHint : 1
; COMPUTE_PGM_RSRC2:SCRATCH_EN: 0
; COMPUTE_PGM_RSRC2:USER_SGPR: 6
; COMPUTE_PGM_RSRC2:TRAP_HANDLER: 0
; COMPUTE_PGM_RSRC2:TGID_X_EN: 1
; COMPUTE_PGM_RSRC2:TGID_Y_EN: 1
; COMPUTE_PGM_RSRC2:TGID_Z_EN: 1
; COMPUTE_PGM_RSRC2:TIDIG_COMP_CNT: 0
	.section	.text._ZN4vllm25paged_attention_v1_kernelI14__hip_bfloat16hLi96ELi8ELi128ELNS_18Fp8KVCacheDataTypeE1ELb0EEEvPT_PKS3_PKT0_S9_ifPKiSB_iPKfiiiSD_SD_iiiii,"axG",@progbits,_ZN4vllm25paged_attention_v1_kernelI14__hip_bfloat16hLi96ELi8ELi128ELNS_18Fp8KVCacheDataTypeE1ELb0EEEvPT_PKS3_PKT0_S9_ifPKiSB_iPKfiiiSD_SD_iiiii,comdat
	.protected	_ZN4vllm25paged_attention_v1_kernelI14__hip_bfloat16hLi96ELi8ELi128ELNS_18Fp8KVCacheDataTypeE1ELb0EEEvPT_PKS3_PKT0_S9_ifPKiSB_iPKfiiiSD_SD_iiiii ; -- Begin function _ZN4vllm25paged_attention_v1_kernelI14__hip_bfloat16hLi96ELi8ELi128ELNS_18Fp8KVCacheDataTypeE1ELb0EEEvPT_PKS3_PKT0_S9_ifPKiSB_iPKfiiiSD_SD_iiiii
	.globl	_ZN4vllm25paged_attention_v1_kernelI14__hip_bfloat16hLi96ELi8ELi128ELNS_18Fp8KVCacheDataTypeE1ELb0EEEvPT_PKS3_PKT0_S9_ifPKiSB_iPKfiiiSD_SD_iiiii
	.p2align	8
	.type	_ZN4vllm25paged_attention_v1_kernelI14__hip_bfloat16hLi96ELi8ELi128ELNS_18Fp8KVCacheDataTypeE1ELb0EEEvPT_PKS3_PKT0_S9_ifPKiSB_iPKfiiiSD_SD_iiiii,@function
_ZN4vllm25paged_attention_v1_kernelI14__hip_bfloat16hLi96ELi8ELi128ELNS_18Fp8KVCacheDataTypeE1ELb0EEEvPT_PKS3_PKT0_S9_ifPKiSB_iPKfiiiSD_SD_iiiii: ; @_ZN4vllm25paged_attention_v1_kernelI14__hip_bfloat16hLi96ELi8ELi128ELNS_18Fp8KVCacheDataTypeE1ELb0EEEvPT_PKS3_PKT0_S9_ifPKiSB_iPKfiiiSD_SD_iiiii
; %bb.0:
	s_clause 0x2
	s_load_dword s9, s[4:5], 0x80
	s_load_dwordx2 s[0:1], s[4:5], 0x30
	s_load_dwordx2 s[28:29], s[4:5], 0x20
	s_mov_b32 s10, s7
	s_ashr_i32 s11, s7, 31
	s_lshl_b64 s[2:3], s[10:11], 2
	s_waitcnt lgkmcnt(0)
	s_add_u32 s0, s0, s2
	s_addc_u32 s1, s1, s3
	s_abs_i32 s2, s28
	s_abs_i32 s11, s9
	v_cvt_f32_u32_e32 v1, s2
	s_sub_i32 s7, 0, s2
	v_rcp_iflag_f32_e32 v1, v1
	v_mul_f32_e32 v1, 0x4f7ffffe, v1
	v_cvt_u32_f32_e32 v1, v1
	v_readfirstlane_b32 s3, v1
	s_mul_i32 s7, s7, s3
	s_mul_hi_u32 s7, s3, s7
	s_add_i32 s3, s3, s7
	s_xor_b32 s7, s9, s28
	s_mul_hi_u32 s3, s11, s3
	s_ashr_i32 s7, s7, 31
	s_mul_i32 s12, s3, s2
	s_mov_b32 s28, 0
	s_sub_i32 s11, s11, s12
	s_add_i32 s12, s3, 1
	s_sub_i32 s13, s11, s2
	s_cmp_ge_u32 s11, s2
	s_cselect_b32 s3, s12, s3
	s_cselect_b32 s11, s13, s11
	s_add_i32 s12, s3, 1
	s_cmp_ge_u32 s11, s2
	s_cselect_b32 s2, s12, s3
	s_abs_i32 s17, s6
	s_xor_b32 s2, s2, s7
	s_sub_i32 s19, s2, s7
	s_load_dwordx2 s[2:3], s[4:5], 0x40
	s_abs_i32 s16, s19
	v_cvt_f32_u32_e32 v1, s16
	s_sub_i32 s11, 0, s16
	v_rcp_iflag_f32_e32 v1, v1
	v_mul_f32_e32 v1, 0x4f7ffffe, v1
	v_cvt_u32_f32_e32 v1, v1
	v_readfirstlane_b32 s7, v1
	s_mul_i32 s11, s11, s7
	s_mul_hi_u32 s11, s7, s11
	s_add_i32 s7, s7, s11
	s_waitcnt lgkmcnt(0)
	s_cmp_eq_u64 s[2:3], 0
	s_mul_hi_u32 s18, s17, s7
	s_cbranch_scc1 .LBB316_2
; %bb.1:
	s_ashr_i32 s7, s6, 31
	s_lshl_b64 s[12:13], s[6:7], 2
	s_add_u32 s2, s2, s12
	s_addc_u32 s3, s3, s13
	s_load_dword s28, s[2:3], 0x0
.LBB316_2:
	s_load_dword s11, s[0:1], 0x0
	s_load_dwordx4 s[12:15], s[4:5], 0x48
	v_and_b32_e32 v1, 3, v0
	s_ashr_i32 s0, s6, 31
	s_ashr_i32 s1, s19, 31
	s_mulk_i32 s6, 0x60
	s_mov_b32 s2, exec_lo
	v_cmpx_gt_u32_e32 48, v0
	s_cbranch_execz .LBB316_4
; %bb.3:
	s_load_dwordx2 s[20:21], s[4:5], 0x8
	s_waitcnt lgkmcnt(0)
	s_mul_i32 s22, s12, s10
	v_lshlrev_b32_e32 v2, 2, v0
	s_ashr_i32 s23, s22, 31
	v_and_b32_e32 v3, 0x3fc, v0
	s_lshl_b64 s[22:23], s[22:23], 1
	v_mad_u32_u24 v3, v1, 48, v3
	s_add_u32 s3, s20, s22
	s_addc_u32 s12, s21, s23
	s_ashr_i32 s7, s6, 31
	s_lshl_b64 s[20:21], s[6:7], 1
	s_add_u32 s20, s3, s20
	s_addc_u32 s21, s12, s21
	global_load_dword v2, v2, s[20:21]
	s_waitcnt vmcnt(0)
	ds_write_b32 v3, v2
.LBB316_4:
	s_or_b32 exec_lo, exec_lo, s2
	s_waitcnt lgkmcnt(0)
	s_add_i32 s2, s11, 7
	s_clause 0x1
	s_load_dwordx2 s[22:23], s[4:5], 0x28
	s_load_dword s7, s[4:5], 0x38
	s_ashr_i32 s3, s2, 31
	s_xor_b32 s0, s0, s1
	s_lshr_b32 s3, s3, 29
	s_mul_i32 s1, s18, s16
	s_add_i32 s2, s2, s3
	s_sub_i32 s1, s17, s1
	s_ashr_i32 s12, s2, 3
	s_add_i32 s2, s18, 1
	s_sub_i32 s3, s1, s16
	s_cmp_ge_u32 s1, s16
	v_lshrrev_b32_e32 v21, 5, v0
	s_cselect_b32 s2, s2, s18
	s_cselect_b32 s1, s3, s1
	s_add_i32 s3, s2, 1
	s_cmp_ge_u32 s1, s16
	v_mbcnt_lo_u32_b32 v10, -1, 0
	s_cselect_b32 s1, s3, s2
	s_mov_b32 s2, exec_lo
	s_xor_b32 s1, s1, s0
	s_waitcnt lgkmcnt(0)
	s_mul_i32 s24, s7, s10
	s_sub_i32 s1, s1, s0
	v_cmp_gt_i32_e64 s0, s12, v21
	s_ashr_i32 s25, s24, 31
	s_barrier
	buffer_gl0_inv
                                        ; implicit-def: $vgpr2
                                        ; implicit-def: $vgpr11
	v_cmpx_le_i32_e64 s12, v21
	s_xor_b32 s2, exec_lo, s2
; %bb.5:
	v_mov_b32_e32 v2, 0
	v_mbcnt_lo_u32_b32 v10, -1, 0
	v_mov_b32_e32 v11, 32
                                        ; implicit-def: $vgpr1
; %bb.6:
	s_or_saveexec_b32 s15, s2
	s_clause 0x3
	s_load_dwordx2 s[20:21], s[4:5], 0x0
	s_load_dwordx2 s[26:27], s[4:5], 0x18
	s_load_dword s7, s[4:5], 0x88
	s_load_dwordx4 s[16:19], s[4:5], 0x58
	v_mov_b32_e32 v33, 0xff7fffff
	v_lshrrev_b32_e32 v9, 3, v0
	s_mul_i32 s14, s1, s14
	s_xor_b32 exec_lo, exec_lo, s15
	s_cbranch_execz .LBB316_204
; %bb.7:
	v_mul_u32_u24_e32 v7, 48, v1
	s_load_dwordx2 s[2:3], s[4:5], 0x10
	v_bfe_u32 v8, v0, 2, 3
	s_ashr_i32 s1, s14, 31
	s_waitcnt lgkmcnt(0)
	s_load_dword s4, s[16:17], 0x0
	ds_read_b128 v[3:6], v7
	ds_read_b128 v[25:28], v7 offset:16
	ds_read_b128 v[34:37], v7 offset:32
	v_lshlrev_b32_e32 v11, 4, v8
	v_lshlrev_b32_e32 v33, 1, v1
	v_mov_b32_e32 v2, 0
	v_mov_b32_e32 v42, 0x80
	;; [unrolled: 1-line block ×4, first 2 shown]
	s_mov_b32 s17, s13
	s_mov_b32 s16, 0
	s_add_u32 s2, s2, s14
	s_addc_u32 s1, s3, s1
	v_add_co_u32 v7, s2, s2, v11
	s_waitcnt lgkmcnt(0)
	v_lshlrev_b32_e32 v12, 16, v3
	v_and_b32_e32 v13, 0xffff0000, v3
	v_xor_b32_e32 v3, 2, v10
	v_lshlrev_b32_e32 v14, 16, v4
	v_and_b32_e32 v15, 0xffff0000, v4
	v_xor_b32_e32 v4, 1, v10
	v_add_co_ci_u32_e64 v40, null, s1, 0, s2
	v_cmp_gt_i32_e32 vcc_lo, 32, v3
	v_lshlrev_b32_e32 v16, 16, v5
	v_and_b32_e32 v17, 0xffff0000, v5
	v_and_b32_e32 v5, 0x7c, v9
	s_sub_i32 s5, 1, s11
	v_cndmask_b32_e32 v3, v10, v3, vcc_lo
	v_cmp_gt_i32_e32 vcc_lo, 32, v4
	v_lshlrev_b32_e32 v18, 16, v6
	v_and_b32_e32 v19, 0xffff0000, v6
	v_lshlrev_b32_e32 v20, 16, v25
	v_lshlrev_b32_e32 v38, 2, v3
	v_cndmask_b32_e32 v4, v10, v4, vcc_lo
	v_cmp_eq_u32_e32 vcc_lo, 0, v1
	v_lshlrev_b32_e32 v1, 2, v8
	v_add_co_u32 v3, s2, v7, v33
	v_lshlrev_b32_e32 v39, 2, v4
	v_add_co_ci_u32_e64 v4, null, 0, v40, s2
	s_lshl_b64 s[2:3], s[24:25], 2
	v_lshl_or_b32 v1, v21, 5, v1
	s_add_u32 s2, s22, s2
	s_addc_u32 s3, s23, s3
	v_add_co_u32 v5, s2, s2, v5
	v_and_b32_e32 v22, 0xffff0000, v25
	v_lshlrev_b32_e32 v23, 16, v26
	v_and_b32_e32 v24, 0xffff0000, v26
	v_lshlrev_b32_e32 v25, 16, v27
	;; [unrolled: 2-line block ×7, first 2 shown]
	v_and_b32_e32 v37, 0xffff0000, v37
	v_mov_b32_e32 v11, 32
	v_cmp_neq_f32_e64 s1, s28, 0
	v_lshl_or_b32 v40, v21, 3, v8
	v_add_nc_u32_e32 v41, 0xe0, v1
	v_add_co_ci_u32_e64 v6, null, s3, 0, s2
	v_mov_b32_e32 v33, 0xff7fffff
	s_branch .LBB316_9
.LBB316_8:                              ;   in Loop: Header=BB316_9 Depth=1
	s_or_b32 exec_lo, exec_lo, s3
	v_add_nc_u32_e32 v44, 4, v44
	v_add_co_u32 v5, s3, v5, 16
	v_add_nc_u32_e32 v40, 32, v40
	v_add_nc_u32_e32 v41, 0x80, v41
	v_cmp_le_i32_e64 s2, s12, v44
	v_add_co_ci_u32_e64 v6, null, 0, v6, s3
	s_or_b32 s16, s2, s16
	s_andn2_b32 exec_lo, exec_lo, s16
	s_cbranch_execz .LBB316_203
.LBB316_9:                              ; =>This Inner Loop Header: Depth=1
	global_load_dword v1, v[5:6], off
	v_mov_b32_e32 v45, 0
	s_waitcnt vmcnt(0) lgkmcnt(0)
	v_mad_i64_i32 v[7:8], null, v1, s17, v[3:4]
	global_load_ushort v1, v[7:8], off
	s_waitcnt vmcnt(0)
	v_and_b32_e32 v47, 0xffff, v1
	v_cmp_ne_u16_sdwa s2, v1, v2 src0_sel:BYTE_0 src1_sel:DWORD
	s_and_saveexec_b32 s3, s2
	s_cbranch_execz .LBB316_17
; %bb.10:                               ;   in Loop: Header=BB316_9 Depth=1
	v_cmp_ne_u16_sdwa s2, v47, v42 src0_sel:BYTE_0 src1_sel:DWORD
	v_bfrev_b32_e32 v45, 1
	s_and_saveexec_b32 s30, s2
	s_cbranch_execz .LBB316_16
; %bb.11:                               ;   in Loop: Header=BB316_9 Depth=1
	v_and_b32_e32 v46, 0x7f, v47
	v_mov_b32_e32 v45, 0x7f800001
	s_mov_b32 s31, exec_lo
	v_cmpx_ne_u32_e32 0x7f, v46
	s_cbranch_execz .LBB316_15
; %bb.12:                               ;   in Loop: Header=BB316_9 Depth=1
	v_and_b32_e32 v1, 7, v47
	v_lshrrev_b32_e32 v45, 3, v46
	s_mov_b32 s33, exec_lo
	v_cmpx_gt_u32_e32 8, v46
; %bb.13:                               ;   in Loop: Header=BB316_9 Depth=1
	v_ffbh_u32_e32 v45, v1
	v_min_u32_e32 v45, 32, v45
	v_subrev_nc_u32_e32 v46, 28, v45
	v_sub_nc_u32_e32 v45, 29, v45
	v_lshlrev_b64 v[48:49], v46, v[1:2]
	v_and_b32_e32 v1, 7, v48
; %bb.14:                               ;   in Loop: Header=BB316_9 Depth=1
	s_or_b32 exec_lo, exec_lo, s33
	v_lshlrev_b32_e32 v46, 24, v47
	v_lshlrev_b32_e32 v1, 20, v1
	v_lshl_add_u32 v45, v45, 23, 0x3c000000
	v_and_b32_e32 v46, 0x80000000, v46
	v_or3_b32 v45, v1, v46, v45
.LBB316_15:                             ;   in Loop: Header=BB316_9 Depth=1
	s_or_b32 exec_lo, exec_lo, s31
.LBB316_16:                             ;   in Loop: Header=BB316_9 Depth=1
	s_or_b32 exec_lo, exec_lo, s30
.LBB316_17:                             ;   in Loop: Header=BB316_9 Depth=1
	s_or_b32 exec_lo, exec_lo, s3
	v_cmp_ne_u16_sdwa s2, v47, v2 src0_sel:BYTE_1 src1_sel:DWORD
	v_mov_b32_e32 v46, 0
	s_and_saveexec_b32 s3, s2
	s_cbranch_execz .LBB316_25
; %bb.18:                               ;   in Loop: Header=BB316_9 Depth=1
	v_cmp_ne_u16_sdwa s2, v47, v42 src0_sel:BYTE_1 src1_sel:DWORD
	v_bfrev_b32_e32 v46, 1
	s_and_saveexec_b32 s30, s2
	s_cbranch_execz .LBB316_24
; %bb.19:                               ;   in Loop: Header=BB316_9 Depth=1
	v_and_b32_sdwa v1, v43, v47 dst_sel:DWORD dst_unused:UNUSED_PAD src0_sel:DWORD src1_sel:BYTE_1
	v_mov_b32_e32 v46, 0x7f800001
	s_mov_b32 s31, exec_lo
	v_and_b32_e32 v48, 0x7f, v1
	v_cmpx_ne_u32_e32 0x7f, v48
	s_cbranch_execz .LBB316_23
; %bb.20:                               ;   in Loop: Header=BB316_9 Depth=1
	v_and_b32_e32 v1, 7, v1
	v_lshrrev_b32_e32 v46, 3, v48
	s_mov_b32 s33, exec_lo
	v_cmpx_gt_u32_e32 8, v48
; %bb.21:                               ;   in Loop: Header=BB316_9 Depth=1
	v_ffbh_u32_e32 v46, v1
	v_min_u32_e32 v46, 32, v46
	v_subrev_nc_u32_e32 v48, 28, v46
	v_sub_nc_u32_e32 v46, 29, v46
	v_lshlrev_b64 v[48:49], v48, v[1:2]
	v_and_b32_e32 v1, 7, v48
; %bb.22:                               ;   in Loop: Header=BB316_9 Depth=1
	s_or_b32 exec_lo, exec_lo, s33
	v_lshlrev_b32_e32 v47, 16, v47
	v_lshlrev_b32_e32 v1, 20, v1
	v_lshl_add_u32 v46, v46, 23, 0x3c000000
	v_and_b32_e32 v47, 0x80000000, v47
	v_or3_b32 v46, v1, v47, v46
.LBB316_23:                             ;   in Loop: Header=BB316_9 Depth=1
	s_or_b32 exec_lo, exec_lo, s31
.LBB316_24:                             ;   in Loop: Header=BB316_9 Depth=1
	s_or_b32 exec_lo, exec_lo, s30
.LBB316_25:                             ;   in Loop: Header=BB316_9 Depth=1
	s_or_b32 exec_lo, exec_lo, s3
	global_load_ushort v1, v[7:8], off offset:8
	v_mov_b32_e32 v48, 0
	v_mov_b32_e32 v47, 0
	s_waitcnt vmcnt(0)
	v_and_b32_e32 v49, 0xffff, v1
	v_cmp_ne_u16_sdwa s2, v1, v2 src0_sel:BYTE_0 src1_sel:DWORD
	s_and_saveexec_b32 s3, s2
	s_cbranch_execz .LBB316_33
; %bb.26:                               ;   in Loop: Header=BB316_9 Depth=1
	v_cmp_ne_u16_sdwa s2, v49, v42 src0_sel:BYTE_0 src1_sel:DWORD
	v_bfrev_b32_e32 v47, 1
	s_and_saveexec_b32 s30, s2
	s_cbranch_execz .LBB316_32
; %bb.27:                               ;   in Loop: Header=BB316_9 Depth=1
	v_and_b32_e32 v50, 0x7f, v49
	v_mov_b32_e32 v47, 0x7f800001
	s_mov_b32 s31, exec_lo
	v_cmpx_ne_u32_e32 0x7f, v50
	s_cbranch_execz .LBB316_31
; %bb.28:                               ;   in Loop: Header=BB316_9 Depth=1
	v_and_b32_e32 v1, 7, v49
	v_lshrrev_b32_e32 v47, 3, v50
	s_mov_b32 s33, exec_lo
	v_cmpx_gt_u32_e32 8, v50
; %bb.29:                               ;   in Loop: Header=BB316_9 Depth=1
	v_ffbh_u32_e32 v47, v1
	v_min_u32_e32 v47, 32, v47
	v_subrev_nc_u32_e32 v50, 28, v47
	v_sub_nc_u32_e32 v47, 29, v47
	v_lshlrev_b64 v[50:51], v50, v[1:2]
	v_and_b32_e32 v1, 7, v50
; %bb.30:                               ;   in Loop: Header=BB316_9 Depth=1
	s_or_b32 exec_lo, exec_lo, s33
	v_lshlrev_b32_e32 v50, 24, v49
	v_lshlrev_b32_e32 v1, 20, v1
	v_lshl_add_u32 v47, v47, 23, 0x3c000000
	v_and_b32_e32 v50, 0x80000000, v50
	v_or3_b32 v47, v1, v50, v47
.LBB316_31:                             ;   in Loop: Header=BB316_9 Depth=1
	s_or_b32 exec_lo, exec_lo, s31
.LBB316_32:                             ;   in Loop: Header=BB316_9 Depth=1
	s_or_b32 exec_lo, exec_lo, s30
.LBB316_33:                             ;   in Loop: Header=BB316_9 Depth=1
	s_or_b32 exec_lo, exec_lo, s3
	v_cmp_ne_u16_sdwa s2, v49, v2 src0_sel:BYTE_1 src1_sel:DWORD
	s_and_saveexec_b32 s3, s2
	s_cbranch_execz .LBB316_41
; %bb.34:                               ;   in Loop: Header=BB316_9 Depth=1
	v_cmp_ne_u16_sdwa s2, v49, v42 src0_sel:BYTE_1 src1_sel:DWORD
	v_bfrev_b32_e32 v48, 1
	s_and_saveexec_b32 s30, s2
	s_cbranch_execz .LBB316_40
; %bb.35:                               ;   in Loop: Header=BB316_9 Depth=1
	v_and_b32_sdwa v1, v43, v49 dst_sel:DWORD dst_unused:UNUSED_PAD src0_sel:DWORD src1_sel:BYTE_1
	v_mov_b32_e32 v48, 0x7f800001
	s_mov_b32 s31, exec_lo
	v_and_b32_e32 v50, 0x7f, v1
	v_cmpx_ne_u32_e32 0x7f, v50
	s_cbranch_execz .LBB316_39
; %bb.36:                               ;   in Loop: Header=BB316_9 Depth=1
	v_and_b32_e32 v1, 7, v1
	v_lshrrev_b32_e32 v48, 3, v50
	s_mov_b32 s33, exec_lo
	v_cmpx_gt_u32_e32 8, v50
; %bb.37:                               ;   in Loop: Header=BB316_9 Depth=1
	v_ffbh_u32_e32 v48, v1
	v_min_u32_e32 v48, 32, v48
	v_subrev_nc_u32_e32 v50, 28, v48
	v_sub_nc_u32_e32 v48, 29, v48
	v_lshlrev_b64 v[50:51], v50, v[1:2]
	v_and_b32_e32 v1, 7, v50
; %bb.38:                               ;   in Loop: Header=BB316_9 Depth=1
	s_or_b32 exec_lo, exec_lo, s33
	v_lshlrev_b32_e32 v49, 16, v49
	v_lshlrev_b32_e32 v1, 20, v1
	v_lshl_add_u32 v48, v48, 23, 0x3c000000
	v_and_b32_e32 v49, 0x80000000, v49
	v_or3_b32 v48, v1, v49, v48
.LBB316_39:                             ;   in Loop: Header=BB316_9 Depth=1
	s_or_b32 exec_lo, exec_lo, s31
.LBB316_40:                             ;   in Loop: Header=BB316_9 Depth=1
	s_or_b32 exec_lo, exec_lo, s30
.LBB316_41:                             ;   in Loop: Header=BB316_9 Depth=1
	s_or_b32 exec_lo, exec_lo, s3
	global_load_ushort v1, v[7:8], off offset:128
	v_mov_b32_e32 v49, 0
	v_mov_b32_e32 v50, 0
	s_waitcnt vmcnt(0)
	v_and_b32_e32 v51, 0xffff, v1
	v_cmp_ne_u16_sdwa s2, v1, v2 src0_sel:BYTE_0 src1_sel:DWORD
	s_and_saveexec_b32 s3, s2
	s_cbranch_execz .LBB316_49
; %bb.42:                               ;   in Loop: Header=BB316_9 Depth=1
	v_cmp_ne_u16_sdwa s2, v51, v42 src0_sel:BYTE_0 src1_sel:DWORD
	v_bfrev_b32_e32 v50, 1
	s_and_saveexec_b32 s30, s2
	s_cbranch_execz .LBB316_48
; %bb.43:                               ;   in Loop: Header=BB316_9 Depth=1
	v_and_b32_e32 v52, 0x7f, v51
	v_mov_b32_e32 v50, 0x7f800001
	s_mov_b32 s31, exec_lo
	v_cmpx_ne_u32_e32 0x7f, v52
	s_cbranch_execz .LBB316_47
; %bb.44:                               ;   in Loop: Header=BB316_9 Depth=1
	v_and_b32_e32 v1, 7, v51
	v_lshrrev_b32_e32 v50, 3, v52
	s_mov_b32 s33, exec_lo
	v_cmpx_gt_u32_e32 8, v52
; %bb.45:                               ;   in Loop: Header=BB316_9 Depth=1
	v_ffbh_u32_e32 v50, v1
	v_min_u32_e32 v50, 32, v50
	v_subrev_nc_u32_e32 v52, 28, v50
	v_sub_nc_u32_e32 v50, 29, v50
	v_lshlrev_b64 v[52:53], v52, v[1:2]
	v_and_b32_e32 v1, 7, v52
; %bb.46:                               ;   in Loop: Header=BB316_9 Depth=1
	s_or_b32 exec_lo, exec_lo, s33
	v_lshlrev_b32_e32 v52, 24, v51
	v_lshlrev_b32_e32 v1, 20, v1
	v_lshl_add_u32 v50, v50, 23, 0x3c000000
	v_and_b32_e32 v52, 0x80000000, v52
	v_or3_b32 v50, v1, v52, v50
.LBB316_47:                             ;   in Loop: Header=BB316_9 Depth=1
	s_or_b32 exec_lo, exec_lo, s31
.LBB316_48:                             ;   in Loop: Header=BB316_9 Depth=1
	s_or_b32 exec_lo, exec_lo, s30
.LBB316_49:                             ;   in Loop: Header=BB316_9 Depth=1
	s_or_b32 exec_lo, exec_lo, s3
	v_cmp_ne_u16_sdwa s2, v51, v2 src0_sel:BYTE_1 src1_sel:DWORD
	s_and_saveexec_b32 s3, s2
	s_cbranch_execz .LBB316_57
; %bb.50:                               ;   in Loop: Header=BB316_9 Depth=1
	v_cmp_ne_u16_sdwa s2, v51, v42 src0_sel:BYTE_1 src1_sel:DWORD
	v_bfrev_b32_e32 v49, 1
	s_and_saveexec_b32 s30, s2
	s_cbranch_execz .LBB316_56
; %bb.51:                               ;   in Loop: Header=BB316_9 Depth=1
	v_and_b32_sdwa v1, v43, v51 dst_sel:DWORD dst_unused:UNUSED_PAD src0_sel:DWORD src1_sel:BYTE_1
	v_mov_b32_e32 v49, 0x7f800001
	s_mov_b32 s31, exec_lo
	v_and_b32_e32 v52, 0x7f, v1
	v_cmpx_ne_u32_e32 0x7f, v52
	s_cbranch_execz .LBB316_55
; %bb.52:                               ;   in Loop: Header=BB316_9 Depth=1
	v_and_b32_e32 v1, 7, v1
	v_lshrrev_b32_e32 v49, 3, v52
	s_mov_b32 s33, exec_lo
	v_cmpx_gt_u32_e32 8, v52
; %bb.53:                               ;   in Loop: Header=BB316_9 Depth=1
	v_ffbh_u32_e32 v49, v1
	v_min_u32_e32 v49, 32, v49
	v_subrev_nc_u32_e32 v52, 28, v49
	v_sub_nc_u32_e32 v49, 29, v49
	v_lshlrev_b64 v[52:53], v52, v[1:2]
	v_and_b32_e32 v1, 7, v52
; %bb.54:                               ;   in Loop: Header=BB316_9 Depth=1
	s_or_b32 exec_lo, exec_lo, s33
	v_lshlrev_b32_e32 v51, 16, v51
	v_lshlrev_b32_e32 v1, 20, v1
	v_lshl_add_u32 v49, v49, 23, 0x3c000000
	v_and_b32_e32 v51, 0x80000000, v51
	v_or3_b32 v49, v1, v51, v49
.LBB316_55:                             ;   in Loop: Header=BB316_9 Depth=1
	s_or_b32 exec_lo, exec_lo, s31
.LBB316_56:                             ;   in Loop: Header=BB316_9 Depth=1
	s_or_b32 exec_lo, exec_lo, s30
.LBB316_57:                             ;   in Loop: Header=BB316_9 Depth=1
	s_or_b32 exec_lo, exec_lo, s3
	global_load_ushort v1, v[7:8], off offset:136
	v_mov_b32_e32 v52, 0
	v_mov_b32_e32 v51, 0
	s_waitcnt vmcnt(0)
	v_and_b32_e32 v53, 0xffff, v1
	v_cmp_ne_u16_sdwa s2, v1, v2 src0_sel:BYTE_0 src1_sel:DWORD
	s_and_saveexec_b32 s3, s2
	s_cbranch_execz .LBB316_65
; %bb.58:                               ;   in Loop: Header=BB316_9 Depth=1
	v_cmp_ne_u16_sdwa s2, v53, v42 src0_sel:BYTE_0 src1_sel:DWORD
	v_bfrev_b32_e32 v51, 1
	s_and_saveexec_b32 s30, s2
	s_cbranch_execz .LBB316_64
; %bb.59:                               ;   in Loop: Header=BB316_9 Depth=1
	v_and_b32_e32 v54, 0x7f, v53
	v_mov_b32_e32 v51, 0x7f800001
	s_mov_b32 s31, exec_lo
	v_cmpx_ne_u32_e32 0x7f, v54
	s_cbranch_execz .LBB316_63
; %bb.60:                               ;   in Loop: Header=BB316_9 Depth=1
	v_and_b32_e32 v1, 7, v53
	v_lshrrev_b32_e32 v51, 3, v54
	s_mov_b32 s33, exec_lo
	v_cmpx_gt_u32_e32 8, v54
; %bb.61:                               ;   in Loop: Header=BB316_9 Depth=1
	v_ffbh_u32_e32 v51, v1
	v_min_u32_e32 v51, 32, v51
	v_subrev_nc_u32_e32 v54, 28, v51
	v_sub_nc_u32_e32 v51, 29, v51
	v_lshlrev_b64 v[54:55], v54, v[1:2]
	v_and_b32_e32 v1, 7, v54
; %bb.62:                               ;   in Loop: Header=BB316_9 Depth=1
	s_or_b32 exec_lo, exec_lo, s33
	v_lshlrev_b32_e32 v54, 24, v53
	v_lshlrev_b32_e32 v1, 20, v1
	v_lshl_add_u32 v51, v51, 23, 0x3c000000
	v_and_b32_e32 v54, 0x80000000, v54
	v_or3_b32 v51, v1, v54, v51
.LBB316_63:                             ;   in Loop: Header=BB316_9 Depth=1
	s_or_b32 exec_lo, exec_lo, s31
.LBB316_64:                             ;   in Loop: Header=BB316_9 Depth=1
	s_or_b32 exec_lo, exec_lo, s30
.LBB316_65:                             ;   in Loop: Header=BB316_9 Depth=1
	s_or_b32 exec_lo, exec_lo, s3
	v_cmp_ne_u16_sdwa s2, v53, v2 src0_sel:BYTE_1 src1_sel:DWORD
	s_and_saveexec_b32 s3, s2
	s_cbranch_execz .LBB316_73
; %bb.66:                               ;   in Loop: Header=BB316_9 Depth=1
	v_cmp_ne_u16_sdwa s2, v53, v42 src0_sel:BYTE_1 src1_sel:DWORD
	v_bfrev_b32_e32 v52, 1
	s_and_saveexec_b32 s30, s2
	s_cbranch_execz .LBB316_72
; %bb.67:                               ;   in Loop: Header=BB316_9 Depth=1
	v_and_b32_sdwa v1, v43, v53 dst_sel:DWORD dst_unused:UNUSED_PAD src0_sel:DWORD src1_sel:BYTE_1
	v_mov_b32_e32 v52, 0x7f800001
	s_mov_b32 s31, exec_lo
	v_and_b32_e32 v54, 0x7f, v1
	v_cmpx_ne_u32_e32 0x7f, v54
	s_cbranch_execz .LBB316_71
; %bb.68:                               ;   in Loop: Header=BB316_9 Depth=1
	v_and_b32_e32 v1, 7, v1
	v_lshrrev_b32_e32 v52, 3, v54
	s_mov_b32 s33, exec_lo
	v_cmpx_gt_u32_e32 8, v54
; %bb.69:                               ;   in Loop: Header=BB316_9 Depth=1
	v_ffbh_u32_e32 v52, v1
	v_min_u32_e32 v52, 32, v52
	v_subrev_nc_u32_e32 v54, 28, v52
	v_sub_nc_u32_e32 v52, 29, v52
	v_lshlrev_b64 v[54:55], v54, v[1:2]
	v_and_b32_e32 v1, 7, v54
; %bb.70:                               ;   in Loop: Header=BB316_9 Depth=1
	s_or_b32 exec_lo, exec_lo, s33
	v_lshlrev_b32_e32 v53, 16, v53
	v_lshlrev_b32_e32 v1, 20, v1
	v_lshl_add_u32 v52, v52, 23, 0x3c000000
	v_and_b32_e32 v53, 0x80000000, v53
	v_or3_b32 v52, v1, v53, v52
.LBB316_71:                             ;   in Loop: Header=BB316_9 Depth=1
	s_or_b32 exec_lo, exec_lo, s31
.LBB316_72:                             ;   in Loop: Header=BB316_9 Depth=1
	s_or_b32 exec_lo, exec_lo, s30
.LBB316_73:                             ;   in Loop: Header=BB316_9 Depth=1
	s_or_b32 exec_lo, exec_lo, s3
	global_load_ushort v1, v[7:8], off offset:256
	v_mov_b32_e32 v54, 0
	v_mov_b32_e32 v53, 0
	s_waitcnt vmcnt(0)
	v_and_b32_e32 v55, 0xffff, v1
	v_cmp_ne_u16_sdwa s2, v1, v2 src0_sel:BYTE_0 src1_sel:DWORD
	s_and_saveexec_b32 s3, s2
	s_cbranch_execz .LBB316_81
; %bb.74:                               ;   in Loop: Header=BB316_9 Depth=1
	v_cmp_ne_u16_sdwa s2, v55, v42 src0_sel:BYTE_0 src1_sel:DWORD
	v_bfrev_b32_e32 v53, 1
	s_and_saveexec_b32 s30, s2
	s_cbranch_execz .LBB316_80
; %bb.75:                               ;   in Loop: Header=BB316_9 Depth=1
	v_and_b32_e32 v56, 0x7f, v55
	v_mov_b32_e32 v53, 0x7f800001
	s_mov_b32 s31, exec_lo
	v_cmpx_ne_u32_e32 0x7f, v56
	s_cbranch_execz .LBB316_79
; %bb.76:                               ;   in Loop: Header=BB316_9 Depth=1
	v_and_b32_e32 v1, 7, v55
	v_lshrrev_b32_e32 v53, 3, v56
	s_mov_b32 s33, exec_lo
	v_cmpx_gt_u32_e32 8, v56
; %bb.77:                               ;   in Loop: Header=BB316_9 Depth=1
	v_ffbh_u32_e32 v53, v1
	v_min_u32_e32 v53, 32, v53
	v_subrev_nc_u32_e32 v56, 28, v53
	v_sub_nc_u32_e32 v53, 29, v53
	v_lshlrev_b64 v[56:57], v56, v[1:2]
	v_and_b32_e32 v1, 7, v56
; %bb.78:                               ;   in Loop: Header=BB316_9 Depth=1
	s_or_b32 exec_lo, exec_lo, s33
	v_lshlrev_b32_e32 v56, 24, v55
	v_lshlrev_b32_e32 v1, 20, v1
	v_lshl_add_u32 v53, v53, 23, 0x3c000000
	v_and_b32_e32 v56, 0x80000000, v56
	v_or3_b32 v53, v1, v56, v53
.LBB316_79:                             ;   in Loop: Header=BB316_9 Depth=1
	s_or_b32 exec_lo, exec_lo, s31
.LBB316_80:                             ;   in Loop: Header=BB316_9 Depth=1
	s_or_b32 exec_lo, exec_lo, s30
.LBB316_81:                             ;   in Loop: Header=BB316_9 Depth=1
	s_or_b32 exec_lo, exec_lo, s3
	v_cmp_ne_u16_sdwa s2, v55, v2 src0_sel:BYTE_1 src1_sel:DWORD
	s_and_saveexec_b32 s3, s2
	s_cbranch_execz .LBB316_89
; %bb.82:                               ;   in Loop: Header=BB316_9 Depth=1
	v_cmp_ne_u16_sdwa s2, v55, v42 src0_sel:BYTE_1 src1_sel:DWORD
	v_bfrev_b32_e32 v54, 1
	s_and_saveexec_b32 s30, s2
	s_cbranch_execz .LBB316_88
; %bb.83:                               ;   in Loop: Header=BB316_9 Depth=1
	v_and_b32_sdwa v1, v43, v55 dst_sel:DWORD dst_unused:UNUSED_PAD src0_sel:DWORD src1_sel:BYTE_1
	v_mov_b32_e32 v54, 0x7f800001
	s_mov_b32 s31, exec_lo
	v_and_b32_e32 v56, 0x7f, v1
	v_cmpx_ne_u32_e32 0x7f, v56
	s_cbranch_execz .LBB316_87
; %bb.84:                               ;   in Loop: Header=BB316_9 Depth=1
	v_and_b32_e32 v1, 7, v1
	v_lshrrev_b32_e32 v54, 3, v56
	s_mov_b32 s33, exec_lo
	v_cmpx_gt_u32_e32 8, v56
; %bb.85:                               ;   in Loop: Header=BB316_9 Depth=1
	v_ffbh_u32_e32 v54, v1
	v_min_u32_e32 v54, 32, v54
	v_subrev_nc_u32_e32 v56, 28, v54
	v_sub_nc_u32_e32 v54, 29, v54
	v_lshlrev_b64 v[56:57], v56, v[1:2]
	v_and_b32_e32 v1, 7, v56
; %bb.86:                               ;   in Loop: Header=BB316_9 Depth=1
	s_or_b32 exec_lo, exec_lo, s33
	v_lshlrev_b32_e32 v55, 16, v55
	v_lshlrev_b32_e32 v1, 20, v1
	v_lshl_add_u32 v54, v54, 23, 0x3c000000
	v_and_b32_e32 v55, 0x80000000, v55
	v_or3_b32 v54, v1, v55, v54
.LBB316_87:                             ;   in Loop: Header=BB316_9 Depth=1
	s_or_b32 exec_lo, exec_lo, s31
.LBB316_88:                             ;   in Loop: Header=BB316_9 Depth=1
	s_or_b32 exec_lo, exec_lo, s30
.LBB316_89:                             ;   in Loop: Header=BB316_9 Depth=1
	s_or_b32 exec_lo, exec_lo, s3
	global_load_ushort v1, v[7:8], off offset:264
	v_mov_b32_e32 v56, 0
	v_mov_b32_e32 v55, 0
	s_waitcnt vmcnt(0)
	v_and_b32_e32 v57, 0xffff, v1
	v_cmp_ne_u16_sdwa s2, v1, v2 src0_sel:BYTE_0 src1_sel:DWORD
	s_and_saveexec_b32 s3, s2
	s_cbranch_execz .LBB316_97
; %bb.90:                               ;   in Loop: Header=BB316_9 Depth=1
	v_cmp_ne_u16_sdwa s2, v57, v42 src0_sel:BYTE_0 src1_sel:DWORD
	v_bfrev_b32_e32 v55, 1
	s_and_saveexec_b32 s30, s2
	s_cbranch_execz .LBB316_96
; %bb.91:                               ;   in Loop: Header=BB316_9 Depth=1
	v_and_b32_e32 v58, 0x7f, v57
	v_mov_b32_e32 v55, 0x7f800001
	s_mov_b32 s31, exec_lo
	v_cmpx_ne_u32_e32 0x7f, v58
	s_cbranch_execz .LBB316_95
; %bb.92:                               ;   in Loop: Header=BB316_9 Depth=1
	v_and_b32_e32 v1, 7, v57
	v_lshrrev_b32_e32 v55, 3, v58
	s_mov_b32 s33, exec_lo
	v_cmpx_gt_u32_e32 8, v58
; %bb.93:                               ;   in Loop: Header=BB316_9 Depth=1
	v_ffbh_u32_e32 v55, v1
	v_min_u32_e32 v55, 32, v55
	v_subrev_nc_u32_e32 v58, 28, v55
	v_sub_nc_u32_e32 v55, 29, v55
	v_lshlrev_b64 v[58:59], v58, v[1:2]
	v_and_b32_e32 v1, 7, v58
; %bb.94:                               ;   in Loop: Header=BB316_9 Depth=1
	s_or_b32 exec_lo, exec_lo, s33
	v_lshlrev_b32_e32 v58, 24, v57
	v_lshlrev_b32_e32 v1, 20, v1
	v_lshl_add_u32 v55, v55, 23, 0x3c000000
	v_and_b32_e32 v58, 0x80000000, v58
	v_or3_b32 v55, v1, v58, v55
.LBB316_95:                             ;   in Loop: Header=BB316_9 Depth=1
	s_or_b32 exec_lo, exec_lo, s31
.LBB316_96:                             ;   in Loop: Header=BB316_9 Depth=1
	s_or_b32 exec_lo, exec_lo, s30
.LBB316_97:                             ;   in Loop: Header=BB316_9 Depth=1
	s_or_b32 exec_lo, exec_lo, s3
	v_cmp_ne_u16_sdwa s2, v57, v2 src0_sel:BYTE_1 src1_sel:DWORD
	s_and_saveexec_b32 s3, s2
	s_cbranch_execz .LBB316_105
; %bb.98:                               ;   in Loop: Header=BB316_9 Depth=1
	v_cmp_ne_u16_sdwa s2, v57, v42 src0_sel:BYTE_1 src1_sel:DWORD
	v_bfrev_b32_e32 v56, 1
	s_and_saveexec_b32 s30, s2
	s_cbranch_execz .LBB316_104
; %bb.99:                               ;   in Loop: Header=BB316_9 Depth=1
	v_and_b32_sdwa v1, v43, v57 dst_sel:DWORD dst_unused:UNUSED_PAD src0_sel:DWORD src1_sel:BYTE_1
	v_mov_b32_e32 v56, 0x7f800001
	s_mov_b32 s31, exec_lo
	v_and_b32_e32 v58, 0x7f, v1
	v_cmpx_ne_u32_e32 0x7f, v58
	s_cbranch_execz .LBB316_103
; %bb.100:                              ;   in Loop: Header=BB316_9 Depth=1
	v_and_b32_e32 v1, 7, v1
	v_lshrrev_b32_e32 v56, 3, v58
	s_mov_b32 s33, exec_lo
	v_cmpx_gt_u32_e32 8, v58
; %bb.101:                              ;   in Loop: Header=BB316_9 Depth=1
	v_ffbh_u32_e32 v56, v1
	v_min_u32_e32 v56, 32, v56
	v_subrev_nc_u32_e32 v58, 28, v56
	v_sub_nc_u32_e32 v56, 29, v56
	v_lshlrev_b64 v[58:59], v58, v[1:2]
	v_and_b32_e32 v1, 7, v58
; %bb.102:                              ;   in Loop: Header=BB316_9 Depth=1
	s_or_b32 exec_lo, exec_lo, s33
	v_lshlrev_b32_e32 v57, 16, v57
	v_lshlrev_b32_e32 v1, 20, v1
	v_lshl_add_u32 v56, v56, 23, 0x3c000000
	v_and_b32_e32 v57, 0x80000000, v57
	v_or3_b32 v56, v1, v57, v56
.LBB316_103:                            ;   in Loop: Header=BB316_9 Depth=1
	s_or_b32 exec_lo, exec_lo, s31
.LBB316_104:                            ;   in Loop: Header=BB316_9 Depth=1
	s_or_b32 exec_lo, exec_lo, s30
.LBB316_105:                            ;   in Loop: Header=BB316_9 Depth=1
	s_or_b32 exec_lo, exec_lo, s3
	global_load_ushort v1, v[7:8], off offset:384
	v_mov_b32_e32 v58, 0
	v_mov_b32_e32 v57, 0
	s_waitcnt vmcnt(0)
	v_and_b32_e32 v59, 0xffff, v1
	v_cmp_ne_u16_sdwa s2, v1, v2 src0_sel:BYTE_0 src1_sel:DWORD
	s_and_saveexec_b32 s3, s2
	s_cbranch_execz .LBB316_113
; %bb.106:                              ;   in Loop: Header=BB316_9 Depth=1
	v_cmp_ne_u16_sdwa s2, v59, v42 src0_sel:BYTE_0 src1_sel:DWORD
	v_bfrev_b32_e32 v57, 1
	s_and_saveexec_b32 s30, s2
	s_cbranch_execz .LBB316_112
; %bb.107:                              ;   in Loop: Header=BB316_9 Depth=1
	v_and_b32_e32 v60, 0x7f, v59
	v_mov_b32_e32 v57, 0x7f800001
	s_mov_b32 s31, exec_lo
	v_cmpx_ne_u32_e32 0x7f, v60
	s_cbranch_execz .LBB316_111
; %bb.108:                              ;   in Loop: Header=BB316_9 Depth=1
	v_and_b32_e32 v1, 7, v59
	v_lshrrev_b32_e32 v57, 3, v60
	s_mov_b32 s33, exec_lo
	v_cmpx_gt_u32_e32 8, v60
; %bb.109:                              ;   in Loop: Header=BB316_9 Depth=1
	v_ffbh_u32_e32 v57, v1
	v_min_u32_e32 v57, 32, v57
	v_subrev_nc_u32_e32 v60, 28, v57
	v_sub_nc_u32_e32 v57, 29, v57
	v_lshlrev_b64 v[60:61], v60, v[1:2]
	v_and_b32_e32 v1, 7, v60
; %bb.110:                              ;   in Loop: Header=BB316_9 Depth=1
	s_or_b32 exec_lo, exec_lo, s33
	v_lshlrev_b32_e32 v60, 24, v59
	v_lshlrev_b32_e32 v1, 20, v1
	v_lshl_add_u32 v57, v57, 23, 0x3c000000
	v_and_b32_e32 v60, 0x80000000, v60
	v_or3_b32 v57, v1, v60, v57
.LBB316_111:                            ;   in Loop: Header=BB316_9 Depth=1
	s_or_b32 exec_lo, exec_lo, s31
.LBB316_112:                            ;   in Loop: Header=BB316_9 Depth=1
	s_or_b32 exec_lo, exec_lo, s30
.LBB316_113:                            ;   in Loop: Header=BB316_9 Depth=1
	s_or_b32 exec_lo, exec_lo, s3
	v_cmp_ne_u16_sdwa s2, v59, v2 src0_sel:BYTE_1 src1_sel:DWORD
	s_and_saveexec_b32 s3, s2
	s_cbranch_execz .LBB316_121
; %bb.114:                              ;   in Loop: Header=BB316_9 Depth=1
	v_cmp_ne_u16_sdwa s2, v59, v42 src0_sel:BYTE_1 src1_sel:DWORD
	v_bfrev_b32_e32 v58, 1
	s_and_saveexec_b32 s30, s2
	s_cbranch_execz .LBB316_120
; %bb.115:                              ;   in Loop: Header=BB316_9 Depth=1
	v_and_b32_sdwa v1, v43, v59 dst_sel:DWORD dst_unused:UNUSED_PAD src0_sel:DWORD src1_sel:BYTE_1
	v_mov_b32_e32 v58, 0x7f800001
	s_mov_b32 s31, exec_lo
	v_and_b32_e32 v60, 0x7f, v1
	v_cmpx_ne_u32_e32 0x7f, v60
	s_cbranch_execz .LBB316_119
; %bb.116:                              ;   in Loop: Header=BB316_9 Depth=1
	v_and_b32_e32 v1, 7, v1
	v_lshrrev_b32_e32 v58, 3, v60
	s_mov_b32 s33, exec_lo
	v_cmpx_gt_u32_e32 8, v60
; %bb.117:                              ;   in Loop: Header=BB316_9 Depth=1
	v_ffbh_u32_e32 v58, v1
	v_min_u32_e32 v58, 32, v58
	v_subrev_nc_u32_e32 v60, 28, v58
	v_sub_nc_u32_e32 v58, 29, v58
	v_lshlrev_b64 v[60:61], v60, v[1:2]
	v_and_b32_e32 v1, 7, v60
; %bb.118:                              ;   in Loop: Header=BB316_9 Depth=1
	s_or_b32 exec_lo, exec_lo, s33
	v_lshlrev_b32_e32 v59, 16, v59
	v_lshlrev_b32_e32 v1, 20, v1
	v_lshl_add_u32 v58, v58, 23, 0x3c000000
	v_and_b32_e32 v59, 0x80000000, v59
	v_or3_b32 v58, v1, v59, v58
.LBB316_119:                            ;   in Loop: Header=BB316_9 Depth=1
	s_or_b32 exec_lo, exec_lo, s31
.LBB316_120:                            ;   in Loop: Header=BB316_9 Depth=1
	s_or_b32 exec_lo, exec_lo, s30
.LBB316_121:                            ;   in Loop: Header=BB316_9 Depth=1
	s_or_b32 exec_lo, exec_lo, s3
	global_load_ushort v1, v[7:8], off offset:392
	v_mov_b32_e32 v60, 0
	v_mov_b32_e32 v59, 0
	s_waitcnt vmcnt(0)
	v_and_b32_e32 v61, 0xffff, v1
	v_cmp_ne_u16_sdwa s2, v1, v2 src0_sel:BYTE_0 src1_sel:DWORD
	s_and_saveexec_b32 s3, s2
	s_cbranch_execz .LBB316_129
; %bb.122:                              ;   in Loop: Header=BB316_9 Depth=1
	v_cmp_ne_u16_sdwa s2, v61, v42 src0_sel:BYTE_0 src1_sel:DWORD
	v_bfrev_b32_e32 v59, 1
	s_and_saveexec_b32 s30, s2
	s_cbranch_execz .LBB316_128
; %bb.123:                              ;   in Loop: Header=BB316_9 Depth=1
	v_and_b32_e32 v62, 0x7f, v61
	v_mov_b32_e32 v59, 0x7f800001
	s_mov_b32 s31, exec_lo
	v_cmpx_ne_u32_e32 0x7f, v62
	s_cbranch_execz .LBB316_127
; %bb.124:                              ;   in Loop: Header=BB316_9 Depth=1
	v_and_b32_e32 v1, 7, v61
	v_lshrrev_b32_e32 v59, 3, v62
	s_mov_b32 s33, exec_lo
	v_cmpx_gt_u32_e32 8, v62
; %bb.125:                              ;   in Loop: Header=BB316_9 Depth=1
	v_ffbh_u32_e32 v59, v1
	v_min_u32_e32 v59, 32, v59
	v_subrev_nc_u32_e32 v62, 28, v59
	v_sub_nc_u32_e32 v59, 29, v59
	v_lshlrev_b64 v[62:63], v62, v[1:2]
	v_and_b32_e32 v1, 7, v62
; %bb.126:                              ;   in Loop: Header=BB316_9 Depth=1
	s_or_b32 exec_lo, exec_lo, s33
	v_lshlrev_b32_e32 v62, 24, v61
	v_lshlrev_b32_e32 v1, 20, v1
	v_lshl_add_u32 v59, v59, 23, 0x3c000000
	v_and_b32_e32 v62, 0x80000000, v62
	v_or3_b32 v59, v1, v62, v59
.LBB316_127:                            ;   in Loop: Header=BB316_9 Depth=1
	s_or_b32 exec_lo, exec_lo, s31
.LBB316_128:                            ;   in Loop: Header=BB316_9 Depth=1
	s_or_b32 exec_lo, exec_lo, s30
.LBB316_129:                            ;   in Loop: Header=BB316_9 Depth=1
	s_or_b32 exec_lo, exec_lo, s3
	v_cmp_ne_u16_sdwa s2, v61, v2 src0_sel:BYTE_1 src1_sel:DWORD
	s_and_saveexec_b32 s3, s2
	s_cbranch_execz .LBB316_137
; %bb.130:                              ;   in Loop: Header=BB316_9 Depth=1
	v_cmp_ne_u16_sdwa s2, v61, v42 src0_sel:BYTE_1 src1_sel:DWORD
	v_bfrev_b32_e32 v60, 1
	s_and_saveexec_b32 s30, s2
	s_cbranch_execz .LBB316_136
; %bb.131:                              ;   in Loop: Header=BB316_9 Depth=1
	v_and_b32_sdwa v1, v43, v61 dst_sel:DWORD dst_unused:UNUSED_PAD src0_sel:DWORD src1_sel:BYTE_1
	v_mov_b32_e32 v60, 0x7f800001
	s_mov_b32 s31, exec_lo
	v_and_b32_e32 v62, 0x7f, v1
	v_cmpx_ne_u32_e32 0x7f, v62
	s_cbranch_execz .LBB316_135
; %bb.132:                              ;   in Loop: Header=BB316_9 Depth=1
	v_and_b32_e32 v1, 7, v1
	v_lshrrev_b32_e32 v60, 3, v62
	s_mov_b32 s33, exec_lo
	v_cmpx_gt_u32_e32 8, v62
; %bb.133:                              ;   in Loop: Header=BB316_9 Depth=1
	v_ffbh_u32_e32 v60, v1
	v_min_u32_e32 v60, 32, v60
	v_subrev_nc_u32_e32 v62, 28, v60
	v_sub_nc_u32_e32 v60, 29, v60
	v_lshlrev_b64 v[62:63], v62, v[1:2]
	v_and_b32_e32 v1, 7, v62
; %bb.134:                              ;   in Loop: Header=BB316_9 Depth=1
	s_or_b32 exec_lo, exec_lo, s33
	v_lshlrev_b32_e32 v61, 16, v61
	v_lshlrev_b32_e32 v1, 20, v1
	v_lshl_add_u32 v60, v60, 23, 0x3c000000
	v_and_b32_e32 v61, 0x80000000, v61
	v_or3_b32 v60, v1, v61, v60
.LBB316_135:                            ;   in Loop: Header=BB316_9 Depth=1
	s_or_b32 exec_lo, exec_lo, s31
.LBB316_136:                            ;   in Loop: Header=BB316_9 Depth=1
	s_or_b32 exec_lo, exec_lo, s30
.LBB316_137:                            ;   in Loop: Header=BB316_9 Depth=1
	s_or_b32 exec_lo, exec_lo, s3
	global_load_ushort v1, v[7:8], off offset:512
	v_mov_b32_e32 v62, 0
	v_mov_b32_e32 v61, 0
	s_waitcnt vmcnt(0)
	v_and_b32_e32 v63, 0xffff, v1
	v_cmp_ne_u16_sdwa s2, v1, v2 src0_sel:BYTE_0 src1_sel:DWORD
	s_and_saveexec_b32 s3, s2
	s_cbranch_execz .LBB316_145
; %bb.138:                              ;   in Loop: Header=BB316_9 Depth=1
	v_cmp_ne_u16_sdwa s2, v63, v42 src0_sel:BYTE_0 src1_sel:DWORD
	v_bfrev_b32_e32 v61, 1
	s_and_saveexec_b32 s30, s2
	s_cbranch_execz .LBB316_144
; %bb.139:                              ;   in Loop: Header=BB316_9 Depth=1
	v_and_b32_e32 v64, 0x7f, v63
	v_mov_b32_e32 v61, 0x7f800001
	s_mov_b32 s31, exec_lo
	v_cmpx_ne_u32_e32 0x7f, v64
	s_cbranch_execz .LBB316_143
; %bb.140:                              ;   in Loop: Header=BB316_9 Depth=1
	v_and_b32_e32 v1, 7, v63
	v_lshrrev_b32_e32 v61, 3, v64
	s_mov_b32 s33, exec_lo
	v_cmpx_gt_u32_e32 8, v64
; %bb.141:                              ;   in Loop: Header=BB316_9 Depth=1
	v_ffbh_u32_e32 v61, v1
	v_min_u32_e32 v61, 32, v61
	v_subrev_nc_u32_e32 v64, 28, v61
	v_sub_nc_u32_e32 v61, 29, v61
	v_lshlrev_b64 v[64:65], v64, v[1:2]
	v_and_b32_e32 v1, 7, v64
; %bb.142:                              ;   in Loop: Header=BB316_9 Depth=1
	s_or_b32 exec_lo, exec_lo, s33
	v_lshlrev_b32_e32 v64, 24, v63
	v_lshlrev_b32_e32 v1, 20, v1
	v_lshl_add_u32 v61, v61, 23, 0x3c000000
	v_and_b32_e32 v64, 0x80000000, v64
	v_or3_b32 v61, v1, v64, v61
.LBB316_143:                            ;   in Loop: Header=BB316_9 Depth=1
	s_or_b32 exec_lo, exec_lo, s31
.LBB316_144:                            ;   in Loop: Header=BB316_9 Depth=1
	s_or_b32 exec_lo, exec_lo, s30
.LBB316_145:                            ;   in Loop: Header=BB316_9 Depth=1
	s_or_b32 exec_lo, exec_lo, s3
	v_cmp_ne_u16_sdwa s2, v63, v2 src0_sel:BYTE_1 src1_sel:DWORD
	s_and_saveexec_b32 s3, s2
	s_cbranch_execz .LBB316_153
; %bb.146:                              ;   in Loop: Header=BB316_9 Depth=1
	v_cmp_ne_u16_sdwa s2, v63, v42 src0_sel:BYTE_1 src1_sel:DWORD
	v_bfrev_b32_e32 v62, 1
	s_and_saveexec_b32 s30, s2
	s_cbranch_execz .LBB316_152
; %bb.147:                              ;   in Loop: Header=BB316_9 Depth=1
	v_and_b32_sdwa v1, v43, v63 dst_sel:DWORD dst_unused:UNUSED_PAD src0_sel:DWORD src1_sel:BYTE_1
	v_mov_b32_e32 v62, 0x7f800001
	s_mov_b32 s31, exec_lo
	v_and_b32_e32 v64, 0x7f, v1
	v_cmpx_ne_u32_e32 0x7f, v64
	s_cbranch_execz .LBB316_151
; %bb.148:                              ;   in Loop: Header=BB316_9 Depth=1
	v_and_b32_e32 v1, 7, v1
	v_lshrrev_b32_e32 v62, 3, v64
	s_mov_b32 s33, exec_lo
	v_cmpx_gt_u32_e32 8, v64
; %bb.149:                              ;   in Loop: Header=BB316_9 Depth=1
	v_ffbh_u32_e32 v62, v1
	v_min_u32_e32 v62, 32, v62
	v_subrev_nc_u32_e32 v64, 28, v62
	v_sub_nc_u32_e32 v62, 29, v62
	v_lshlrev_b64 v[64:65], v64, v[1:2]
	v_and_b32_e32 v1, 7, v64
; %bb.150:                              ;   in Loop: Header=BB316_9 Depth=1
	s_or_b32 exec_lo, exec_lo, s33
	v_lshlrev_b32_e32 v63, 16, v63
	v_lshlrev_b32_e32 v1, 20, v1
	v_lshl_add_u32 v62, v62, 23, 0x3c000000
	v_and_b32_e32 v63, 0x80000000, v63
	v_or3_b32 v62, v1, v63, v62
.LBB316_151:                            ;   in Loop: Header=BB316_9 Depth=1
	s_or_b32 exec_lo, exec_lo, s31
.LBB316_152:                            ;   in Loop: Header=BB316_9 Depth=1
	s_or_b32 exec_lo, exec_lo, s30
.LBB316_153:                            ;   in Loop: Header=BB316_9 Depth=1
	s_or_b32 exec_lo, exec_lo, s3
	global_load_ushort v1, v[7:8], off offset:520
	v_mov_b32_e32 v64, 0
	v_mov_b32_e32 v63, 0
	s_waitcnt vmcnt(0)
	v_and_b32_e32 v65, 0xffff, v1
	v_cmp_ne_u16_sdwa s2, v1, v2 src0_sel:BYTE_0 src1_sel:DWORD
	s_and_saveexec_b32 s3, s2
	s_cbranch_execz .LBB316_161
; %bb.154:                              ;   in Loop: Header=BB316_9 Depth=1
	v_cmp_ne_u16_sdwa s2, v65, v42 src0_sel:BYTE_0 src1_sel:DWORD
	v_bfrev_b32_e32 v63, 1
	s_and_saveexec_b32 s30, s2
	s_cbranch_execz .LBB316_160
; %bb.155:                              ;   in Loop: Header=BB316_9 Depth=1
	v_and_b32_e32 v66, 0x7f, v65
	v_mov_b32_e32 v63, 0x7f800001
	s_mov_b32 s31, exec_lo
	v_cmpx_ne_u32_e32 0x7f, v66
	s_cbranch_execz .LBB316_159
; %bb.156:                              ;   in Loop: Header=BB316_9 Depth=1
	v_and_b32_e32 v1, 7, v65
	v_lshrrev_b32_e32 v63, 3, v66
	s_mov_b32 s33, exec_lo
	v_cmpx_gt_u32_e32 8, v66
; %bb.157:                              ;   in Loop: Header=BB316_9 Depth=1
	v_ffbh_u32_e32 v63, v1
	v_min_u32_e32 v63, 32, v63
	v_subrev_nc_u32_e32 v66, 28, v63
	v_sub_nc_u32_e32 v63, 29, v63
	v_lshlrev_b64 v[66:67], v66, v[1:2]
	v_and_b32_e32 v1, 7, v66
; %bb.158:                              ;   in Loop: Header=BB316_9 Depth=1
	s_or_b32 exec_lo, exec_lo, s33
	v_lshlrev_b32_e32 v66, 24, v65
	v_lshlrev_b32_e32 v1, 20, v1
	v_lshl_add_u32 v63, v63, 23, 0x3c000000
	v_and_b32_e32 v66, 0x80000000, v66
	v_or3_b32 v63, v1, v66, v63
.LBB316_159:                            ;   in Loop: Header=BB316_9 Depth=1
	s_or_b32 exec_lo, exec_lo, s31
.LBB316_160:                            ;   in Loop: Header=BB316_9 Depth=1
	s_or_b32 exec_lo, exec_lo, s30
.LBB316_161:                            ;   in Loop: Header=BB316_9 Depth=1
	s_or_b32 exec_lo, exec_lo, s3
	v_cmp_ne_u16_sdwa s2, v65, v2 src0_sel:BYTE_1 src1_sel:DWORD
	s_and_saveexec_b32 s3, s2
	s_cbranch_execz .LBB316_169
; %bb.162:                              ;   in Loop: Header=BB316_9 Depth=1
	v_cmp_ne_u16_sdwa s2, v65, v42 src0_sel:BYTE_1 src1_sel:DWORD
	v_bfrev_b32_e32 v64, 1
	s_and_saveexec_b32 s30, s2
	s_cbranch_execz .LBB316_168
; %bb.163:                              ;   in Loop: Header=BB316_9 Depth=1
	v_and_b32_sdwa v1, v43, v65 dst_sel:DWORD dst_unused:UNUSED_PAD src0_sel:DWORD src1_sel:BYTE_1
	v_mov_b32_e32 v64, 0x7f800001
	s_mov_b32 s31, exec_lo
	v_and_b32_e32 v66, 0x7f, v1
	v_cmpx_ne_u32_e32 0x7f, v66
	s_cbranch_execz .LBB316_167
; %bb.164:                              ;   in Loop: Header=BB316_9 Depth=1
	v_and_b32_e32 v1, 7, v1
	v_lshrrev_b32_e32 v64, 3, v66
	s_mov_b32 s33, exec_lo
	v_cmpx_gt_u32_e32 8, v66
; %bb.165:                              ;   in Loop: Header=BB316_9 Depth=1
	v_ffbh_u32_e32 v64, v1
	v_min_u32_e32 v64, 32, v64
	v_subrev_nc_u32_e32 v66, 28, v64
	v_sub_nc_u32_e32 v64, 29, v64
	v_lshlrev_b64 v[66:67], v66, v[1:2]
	v_and_b32_e32 v1, 7, v66
; %bb.166:                              ;   in Loop: Header=BB316_9 Depth=1
	s_or_b32 exec_lo, exec_lo, s33
	v_lshlrev_b32_e32 v65, 16, v65
	v_lshlrev_b32_e32 v1, 20, v1
	v_lshl_add_u32 v64, v64, 23, 0x3c000000
	v_and_b32_e32 v65, 0x80000000, v65
	v_or3_b32 v64, v1, v65, v64
.LBB316_167:                            ;   in Loop: Header=BB316_9 Depth=1
	s_or_b32 exec_lo, exec_lo, s31
.LBB316_168:                            ;   in Loop: Header=BB316_9 Depth=1
	s_or_b32 exec_lo, exec_lo, s30
.LBB316_169:                            ;   in Loop: Header=BB316_9 Depth=1
	s_or_b32 exec_lo, exec_lo, s3
	global_load_ushort v1, v[7:8], off offset:640
	v_mov_b32_e32 v66, 0
	v_mov_b32_e32 v65, 0
	s_waitcnt vmcnt(0)
	v_and_b32_e32 v67, 0xffff, v1
	v_cmp_ne_u16_sdwa s2, v1, v2 src0_sel:BYTE_0 src1_sel:DWORD
	s_and_saveexec_b32 s3, s2
	s_cbranch_execz .LBB316_177
; %bb.170:                              ;   in Loop: Header=BB316_9 Depth=1
	v_cmp_ne_u16_sdwa s2, v67, v42 src0_sel:BYTE_0 src1_sel:DWORD
	v_bfrev_b32_e32 v65, 1
	s_and_saveexec_b32 s30, s2
	s_cbranch_execz .LBB316_176
; %bb.171:                              ;   in Loop: Header=BB316_9 Depth=1
	v_and_b32_e32 v68, 0x7f, v67
	v_mov_b32_e32 v65, 0x7f800001
	s_mov_b32 s31, exec_lo
	v_cmpx_ne_u32_e32 0x7f, v68
	s_cbranch_execz .LBB316_175
; %bb.172:                              ;   in Loop: Header=BB316_9 Depth=1
	v_and_b32_e32 v1, 7, v67
	v_lshrrev_b32_e32 v65, 3, v68
	s_mov_b32 s33, exec_lo
	v_cmpx_gt_u32_e32 8, v68
; %bb.173:                              ;   in Loop: Header=BB316_9 Depth=1
	v_ffbh_u32_e32 v65, v1
	v_min_u32_e32 v65, 32, v65
	v_subrev_nc_u32_e32 v68, 28, v65
	v_sub_nc_u32_e32 v65, 29, v65
	v_lshlrev_b64 v[68:69], v68, v[1:2]
	v_and_b32_e32 v1, 7, v68
; %bb.174:                              ;   in Loop: Header=BB316_9 Depth=1
	s_or_b32 exec_lo, exec_lo, s33
	v_lshlrev_b32_e32 v68, 24, v67
	v_lshlrev_b32_e32 v1, 20, v1
	v_lshl_add_u32 v65, v65, 23, 0x3c000000
	v_and_b32_e32 v68, 0x80000000, v68
	v_or3_b32 v65, v1, v68, v65
.LBB316_175:                            ;   in Loop: Header=BB316_9 Depth=1
	s_or_b32 exec_lo, exec_lo, s31
.LBB316_176:                            ;   in Loop: Header=BB316_9 Depth=1
	s_or_b32 exec_lo, exec_lo, s30
.LBB316_177:                            ;   in Loop: Header=BB316_9 Depth=1
	s_or_b32 exec_lo, exec_lo, s3
	v_cmp_ne_u16_sdwa s2, v67, v2 src0_sel:BYTE_1 src1_sel:DWORD
	s_and_saveexec_b32 s3, s2
	s_cbranch_execz .LBB316_185
; %bb.178:                              ;   in Loop: Header=BB316_9 Depth=1
	v_cmp_ne_u16_sdwa s2, v67, v42 src0_sel:BYTE_1 src1_sel:DWORD
	v_bfrev_b32_e32 v66, 1
	s_and_saveexec_b32 s30, s2
	s_cbranch_execz .LBB316_184
; %bb.179:                              ;   in Loop: Header=BB316_9 Depth=1
	v_and_b32_sdwa v1, v43, v67 dst_sel:DWORD dst_unused:UNUSED_PAD src0_sel:DWORD src1_sel:BYTE_1
	v_mov_b32_e32 v66, 0x7f800001
	s_mov_b32 s31, exec_lo
	v_and_b32_e32 v68, 0x7f, v1
	v_cmpx_ne_u32_e32 0x7f, v68
	s_cbranch_execz .LBB316_183
; %bb.180:                              ;   in Loop: Header=BB316_9 Depth=1
	v_and_b32_e32 v1, 7, v1
	v_lshrrev_b32_e32 v66, 3, v68
	s_mov_b32 s33, exec_lo
	v_cmpx_gt_u32_e32 8, v68
; %bb.181:                              ;   in Loop: Header=BB316_9 Depth=1
	v_ffbh_u32_e32 v66, v1
	v_min_u32_e32 v66, 32, v66
	v_subrev_nc_u32_e32 v68, 28, v66
	v_sub_nc_u32_e32 v66, 29, v66
	v_lshlrev_b64 v[68:69], v68, v[1:2]
	v_and_b32_e32 v1, 7, v68
; %bb.182:                              ;   in Loop: Header=BB316_9 Depth=1
	s_or_b32 exec_lo, exec_lo, s33
	v_lshlrev_b32_e32 v67, 16, v67
	v_lshlrev_b32_e32 v1, 20, v1
	v_lshl_add_u32 v66, v66, 23, 0x3c000000
	v_and_b32_e32 v67, 0x80000000, v67
	v_or3_b32 v66, v1, v67, v66
.LBB316_183:                            ;   in Loop: Header=BB316_9 Depth=1
	s_or_b32 exec_lo, exec_lo, s31
.LBB316_184:                            ;   in Loop: Header=BB316_9 Depth=1
	s_or_b32 exec_lo, exec_lo, s30
.LBB316_185:                            ;   in Loop: Header=BB316_9 Depth=1
	s_or_b32 exec_lo, exec_lo, s3
	global_load_ushort v1, v[7:8], off offset:648
	v_mov_b32_e32 v7, 0
	v_mov_b32_e32 v67, 0
	s_waitcnt vmcnt(0)
	v_and_b32_e32 v8, 0xffff, v1
	v_cmp_ne_u16_sdwa s2, v1, v2 src0_sel:BYTE_0 src1_sel:DWORD
	s_and_saveexec_b32 s3, s2
	s_cbranch_execz .LBB316_193
; %bb.186:                              ;   in Loop: Header=BB316_9 Depth=1
	v_cmp_ne_u16_sdwa s2, v8, v42 src0_sel:BYTE_0 src1_sel:DWORD
	v_bfrev_b32_e32 v67, 1
	s_and_saveexec_b32 s30, s2
	s_cbranch_execz .LBB316_192
; %bb.187:                              ;   in Loop: Header=BB316_9 Depth=1
	v_and_b32_e32 v68, 0x7f, v8
	v_mov_b32_e32 v67, 0x7f800001
	s_mov_b32 s31, exec_lo
	v_cmpx_ne_u32_e32 0x7f, v68
	s_cbranch_execz .LBB316_191
; %bb.188:                              ;   in Loop: Header=BB316_9 Depth=1
	v_and_b32_e32 v1, 7, v8
	v_lshrrev_b32_e32 v67, 3, v68
	s_mov_b32 s33, exec_lo
	v_cmpx_gt_u32_e32 8, v68
; %bb.189:                              ;   in Loop: Header=BB316_9 Depth=1
	v_ffbh_u32_e32 v67, v1
	v_min_u32_e32 v67, 32, v67
	v_subrev_nc_u32_e32 v68, 28, v67
	v_sub_nc_u32_e32 v67, 29, v67
	v_lshlrev_b64 v[68:69], v68, v[1:2]
	v_and_b32_e32 v1, 7, v68
; %bb.190:                              ;   in Loop: Header=BB316_9 Depth=1
	s_or_b32 exec_lo, exec_lo, s33
	v_lshlrev_b32_e32 v68, 24, v8
	v_lshlrev_b32_e32 v1, 20, v1
	v_lshl_add_u32 v67, v67, 23, 0x3c000000
	v_and_b32_e32 v68, 0x80000000, v68
	v_or3_b32 v67, v1, v68, v67
.LBB316_191:                            ;   in Loop: Header=BB316_9 Depth=1
	s_or_b32 exec_lo, exec_lo, s31
.LBB316_192:                            ;   in Loop: Header=BB316_9 Depth=1
	s_or_b32 exec_lo, exec_lo, s30
.LBB316_193:                            ;   in Loop: Header=BB316_9 Depth=1
	s_or_b32 exec_lo, exec_lo, s3
	v_cmp_ne_u16_sdwa s2, v8, v2 src0_sel:BYTE_1 src1_sel:DWORD
	s_and_saveexec_b32 s3, s2
	s_cbranch_execz .LBB316_201
; %bb.194:                              ;   in Loop: Header=BB316_9 Depth=1
	v_cmp_ne_u16_sdwa s2, v8, v42 src0_sel:BYTE_1 src1_sel:DWORD
	v_bfrev_b32_e32 v7, 1
	s_and_saveexec_b32 s30, s2
	s_cbranch_execz .LBB316_200
; %bb.195:                              ;   in Loop: Header=BB316_9 Depth=1
	v_and_b32_sdwa v1, v43, v8 dst_sel:DWORD dst_unused:UNUSED_PAD src0_sel:DWORD src1_sel:BYTE_1
	v_mov_b32_e32 v7, 0x7f800001
	s_mov_b32 s31, exec_lo
	v_and_b32_e32 v68, 0x7f, v1
	v_cmpx_ne_u32_e32 0x7f, v68
	s_cbranch_execz .LBB316_199
; %bb.196:                              ;   in Loop: Header=BB316_9 Depth=1
	v_and_b32_e32 v1, 7, v1
	v_lshrrev_b32_e32 v7, 3, v68
	s_mov_b32 s33, exec_lo
	v_cmpx_gt_u32_e32 8, v68
; %bb.197:                              ;   in Loop: Header=BB316_9 Depth=1
	v_ffbh_u32_e32 v7, v1
	v_min_u32_e32 v7, 32, v7
	v_subrev_nc_u32_e32 v68, 28, v7
	v_sub_nc_u32_e32 v7, 29, v7
	v_lshlrev_b64 v[68:69], v68, v[1:2]
	v_and_b32_e32 v1, 7, v68
; %bb.198:                              ;   in Loop: Header=BB316_9 Depth=1
	s_or_b32 exec_lo, exec_lo, s33
	v_lshlrev_b32_e32 v8, 16, v8
	v_lshlrev_b32_e32 v1, 20, v1
	v_lshl_add_u32 v7, v7, 23, 0x3c000000
	v_and_b32_e32 v8, 0x80000000, v8
	v_or3_b32 v7, v1, v8, v7
.LBB316_199:                            ;   in Loop: Header=BB316_9 Depth=1
	s_or_b32 exec_lo, exec_lo, s31
.LBB316_200:                            ;   in Loop: Header=BB316_9 Depth=1
	s_or_b32 exec_lo, exec_lo, s30
.LBB316_201:                            ;   in Loop: Header=BB316_9 Depth=1
	s_or_b32 exec_lo, exec_lo, s3
	v_mul_f32_e32 v66, s4, v66
	v_mul_f32_e32 v8, s4, v65
	;; [unrolled: 1-line block ×5, first 2 shown]
	v_bfe_u32 v64, v66, 16, 1
	v_or_b32_e32 v69, 0x400000, v66
	v_cmp_u_f32_e64 s2, v66, v66
	v_bfe_u32 v72, v65, 16, 1
	v_bfe_u32 v73, v71, 16, 1
	v_add3_u32 v70, v64, v66, 0x7fff
	v_bfe_u32 v77, v75, 16, 1
	v_mul_f32_e32 v78, s4, v57
	v_mul_f32_e32 v52, s4, v52
	;; [unrolled: 1-line block ×3, first 2 shown]
	v_cndmask_b32_e64 v66, v70, v69, s2
	v_mul_f32_e32 v69, s4, v62
	v_mul_f32_e32 v70, s4, v61
	v_add3_u32 v62, v72, v65, 0x7fff
	v_add3_u32 v72, v73, v71, 0x7fff
	v_or_b32_e32 v73, 0x400000, v71
	v_bfe_u32 v74, v69, 16, 1
	v_bfe_u32 v76, v70, 16, 1
	v_cmp_u_f32_e64 s2, v71, v71
	v_bfe_u32 v83, v52, 16, 1
	v_or_b32_e32 v86, 0x400000, v52
	v_add3_u32 v71, v74, v69, 0x7fff
	v_mul_f32_e32 v74, s4, v58
	v_cndmask_b32_e64 v60, v72, v73, s2
	v_add3_u32 v73, v76, v70, 0x7fff
	v_add3_u32 v76, v77, v75, 0x7fff
	v_or_b32_e32 v77, 0x400000, v75
	v_bfe_u32 v80, v74, 16, 1
	v_cmp_u_f32_e64 s2, v75, v75
	v_mul_f32_e32 v75, s4, v56
	v_add3_u32 v83, v83, v52, 0x7fff
	v_mul_f32_e32 v47, s4, v47
	v_bfe_u32 v87, v48, 16, 1
	v_cndmask_b32_e64 v57, v76, v77, s2
	v_add3_u32 v77, v80, v74, 0x7fff
	v_bfe_u32 v80, v75, 16, 1
	v_or_b32_e32 v82, 0x400000, v75
	v_cmp_u_f32_e64 s2, v75, v75
	v_mul_f32_e32 v46, s4, v46
	v_mul_f32_e32 v45, s4, v45
	v_add3_u32 v80, v80, v75, 0x7fff
	v_mul_f32_e32 v50, s4, v50
	v_mul_f32_e32 v49, s4, v49
	;; [unrolled: 1-line block ×4, first 2 shown]
	v_cndmask_b32_e64 v75, v80, v82, s2
	v_cmp_u_f32_e64 s2, v52, v52
	v_bfe_u32 v80, v47, 16, 1
	v_add3_u32 v82, v87, v48, 0x7fff
	v_bfe_u32 v87, v46, 16, 1
	v_mul_f32_e32 v54, s4, v54
	v_cndmask_b32_e64 v52, v83, v86, s2
	v_or_b32_e32 v83, 0x400000, v48
	v_cmp_u_f32_e64 s2, v48, v48
	v_add3_u32 v80, v80, v47, 0x7fff
	v_or_b32_e32 v86, 0x400000, v47
	v_mul_f32_e32 v55, s4, v55
	v_bfe_u32 v85, v54, 16, 1
	v_cndmask_b32_e64 v48, v82, v83, s2
	v_cmp_u_f32_e64 s2, v47, v47
	v_add3_u32 v83, v87, v46, 0x7fff
	v_bfe_u32 v82, v50, 16, 1
	v_bfe_u32 v87, v53, 16, 1
	v_and_b32_e32 v48, 0xffff0000, v48
	v_cndmask_b32_e64 v47, v80, v86, s2
	v_bfe_u32 v80, v45, 16, 1
	v_or_b32_e32 v86, 0x400000, v46
	v_cmp_u_f32_e64 s2, v46, v46
	v_add3_u32 v82, v82, v50, 0x7fff
	v_and_b32_e32 v47, 0xffff0000, v47
	v_add3_u32 v80, v80, v45, 0x7fff
	v_mul_f32_e32 v48, v15, v48
	v_cndmask_b32_e64 v46, v83, v86, s2
	v_or_b32_e32 v83, 0x400000, v45
	v_cmp_u_f32_e64 s2, v45, v45
	v_or_b32_e32 v86, 0x400000, v50
	v_mul_f32_e32 v47, v14, v47
	v_and_b32_e32 v46, 0xffff0000, v46
	v_bfe_u32 v84, v55, 16, 1
	v_cndmask_b32_e64 v45, v80, v83, s2
	v_bfe_u32 v80, v49, 16, 1
	v_cmp_u_f32_e64 s2, v50, v50
	v_or_b32_e32 v83, 0x400000, v49
	v_fmac_f32_e32 v48, v13, v46
	v_and_b32_e32 v45, 0xffff0000, v45
	v_add3_u32 v80, v80, v49, 0x7fff
	v_cndmask_b32_e64 v50, v82, v86, s2
	v_cmp_u_f32_e64 s2, v49, v49
	v_add3_u32 v86, v87, v53, 0x7fff
	v_fmac_f32_e32 v47, v12, v45
	v_or_b32_e32 v45, 0x400000, v53
	v_and_b32_e32 v46, 0xffff0000, v50
	v_cndmask_b32_e64 v49, v80, v83, s2
	v_bfe_u32 v80, v51, 16, 1
	v_or_b32_e32 v83, 0x400000, v51
	v_cmp_u_f32_e64 s2, v51, v51
	v_add3_u32 v85, v85, v54, 0x7fff
	v_or_b32_e32 v82, 0x400000, v54
	v_add3_u32 v80, v80, v51, 0x7fff
	v_mul_f32_e32 v59, s4, v59
	v_bfe_u32 v76, v78, 16, 1
	v_add3_u32 v84, v84, v55, 0x7fff
	v_and_b32_e32 v49, 0xffff0000, v49
	v_cndmask_b32_e64 v50, v80, v83, s2
	v_cmp_u_f32_e64 s2, v53, v53
	v_fmac_f32_e32 v47, v16, v46
	v_or_b32_e32 v51, 0x400000, v55
	v_bfe_u32 v79, v59, 16, 1
	v_and_b32_e32 v46, 0xffff0000, v50
	v_cndmask_b32_e64 v45, v86, v45, s2
	v_cmp_u_f32_e64 s2, v54, v54
	v_add3_u32 v76, v76, v78, 0x7fff
	v_or_b32_e32 v81, 0x400000, v78
	v_fmac_f32_e32 v48, v17, v49
	v_and_b32_e32 v49, 0xffff0000, v52
	v_cndmask_b32_e64 v50, v85, v82, s2
	v_cmp_u_f32_e64 s2, v55, v55
	v_fmac_f32_e32 v47, v18, v46
	v_add3_u32 v56, v79, v59, 0x7fff
	v_or_b32_e32 v79, 0x400000, v74
	v_fmac_f32_e32 v48, v19, v49
	v_cndmask_b32_e64 v46, v84, v51, s2
	v_cmp_u_f32_e64 s2, v78, v78
	v_and_b32_e32 v45, 0xffff0000, v45
	v_and_b32_e32 v49, 0xffff0000, v50
	v_or_b32_e32 v51, 0x400000, v59
	v_or_b32_e32 v58, 0x400000, v70
	v_cndmask_b32_e64 v50, v76, v81, s2
	v_cmp_u_f32_e64 s2, v74, v74
	v_fmac_f32_e32 v47, v20, v45
	v_and_b32_e32 v45, 0xffff0000, v46
	v_fmac_f32_e32 v48, v22, v49
	v_and_b32_e32 v46, 0xffff0000, v75
	v_cndmask_b32_e64 v49, v77, v79, s2
	v_cmp_u_f32_e64 s2, v59, v59
	v_mul_f32_e32 v1, s4, v67
	v_or_b32_e32 v72, 0x400000, v69
	v_fmac_f32_e32 v48, v24, v46
	v_and_b32_e32 v46, 0xffff0000, v49
	v_cndmask_b32_e64 v49, v56, v51, s2
	v_cmp_u_f32_e64 s2, v70, v70
	v_fmac_f32_e32 v47, v23, v45
	v_and_b32_e32 v45, 0xffff0000, v50
	v_bfe_u32 v67, v1, 16, 1
	v_bfe_u32 v68, v8, 16, 1
	v_cndmask_b32_e64 v50, v73, v58, s2
	v_cmp_u_f32_e64 s2, v69, v69
	v_or_b32_e32 v61, 0x400000, v65
	v_fmac_f32_e32 v47, v25, v45
	v_fmac_f32_e32 v48, v26, v46
	v_and_b32_e32 v45, 0xffff0000, v49
	v_and_b32_e32 v46, 0xffff0000, v57
	v_cndmask_b32_e64 v49, v71, v72, s2
	v_cmp_u_f32_e64 s2, v65, v65
	v_add3_u32 v64, v67, v1, 0x7fff
	v_add3_u32 v67, v68, v8, 0x7fff
	v_or_b32_e32 v68, 0x400000, v8
	v_mul_f32_e32 v7, s4, v7
	v_fmac_f32_e32 v48, v28, v46
	v_and_b32_e32 v46, 0xffff0000, v49
	v_cndmask_b32_e64 v49, v62, v61, s2
	v_cmp_u_f32_e64 s2, v8, v8
	v_or_b32_e32 v63, 0x400000, v1
	v_fmac_f32_e32 v47, v27, v45
	v_and_b32_e32 v45, 0xffff0000, v50
	v_bfe_u32 v50, v7, 16, 1
	v_cndmask_b32_e64 v8, v67, v68, s2
	v_cmp_u_f32_e64 s2, v1, v1
	v_fmac_f32_e32 v48, v30, v46
	v_fmac_f32_e32 v47, v29, v45
	v_and_b32_e32 v45, 0xffff0000, v60
	v_and_b32_e32 v46, 0xffff0000, v49
	v_add3_u32 v49, v50, v7, 0x7fff
	v_or_b32_e32 v50, 0x400000, v7
	v_cndmask_b32_e64 v1, v64, v63, s2
	v_cmp_u_f32_e64 s2, v7, v7
	v_fmac_f32_e32 v47, v31, v45
	v_fmac_f32_e32 v48, v32, v46
	v_and_b32_e32 v8, 0xffff0000, v8
	v_and_b32_e32 v45, 0xffff0000, v66
	v_cndmask_b32_e64 v7, v49, v50, s2
	v_and_b32_e32 v1, 0xffff0000, v1
	v_fmac_f32_e32 v47, v34, v8
	v_fmac_f32_e32 v48, v35, v45
	v_and_b32_e32 v7, 0xffff0000, v7
	v_fmac_f32_e32 v47, v36, v1
	v_fmac_f32_e32 v48, v37, v7
	v_add_f32_e32 v1, v47, v48
	ds_bpermute_b32 v7, v38, v1
	s_waitcnt lgkmcnt(0)
	v_add_f32_e32 v1, v1, v7
	ds_bpermute_b32 v7, v39, v1
	s_and_saveexec_b32 s3, vcc_lo
	s_cbranch_execz .LBB316_8
; %bb.202:                              ;   in Loop: Header=BB316_9 Depth=1
	v_add_nc_u32_e32 v8, s5, v40
	s_waitcnt lgkmcnt(0)
	v_add_f32_e32 v1, v1, v7
	v_cmp_gt_i32_e64 s2, s11, v40
	v_cvt_f32_i32_e32 v8, v8
	v_mul_f32_e32 v8, s28, v8
	v_cndmask_b32_e64 v7, 0, v8, s1
	v_max_f32_e32 v8, v33, v33
	v_fmac_f32_e32 v7, s29, v1
	v_max_f32_e32 v1, v8, v7
	v_cndmask_b32_e64 v7, 0, v7, s2
	v_cndmask_b32_e64 v33, v33, v1, s2
	ds_write_b32 v41, v7
	s_branch .LBB316_8
.LBB316_203:
	s_or_b32 exec_lo, exec_lo, s16
.LBB316_204:
	s_or_b32 exec_lo, exec_lo, s15
	v_xor_b32_e32 v1, 16, v10
	v_xor_b32_e32 v4, 8, v10
	v_max_f32_e32 v5, v33, v33
	v_xor_b32_e32 v6, 4, v10
	v_and_b32_e32 v22, 31, v0
	v_cmp_lt_i32_e32 vcc_lo, v1, v11
	v_cndmask_b32_e32 v1, v10, v1, vcc_lo
	v_cmp_lt_i32_e32 vcc_lo, v4, v11
	v_lshlrev_b32_e32 v3, 2, v1
	v_cndmask_b32_e32 v4, v10, v4, vcc_lo
	v_cmp_lt_i32_e32 vcc_lo, v6, v11
	ds_bpermute_b32 v1, v3, v33
	v_lshlrev_b32_e32 v4, 2, v4
	v_cndmask_b32_e32 v6, v10, v6, vcc_lo
	v_cmp_eq_u32_e32 vcc_lo, 0, v22
	s_waitcnt lgkmcnt(0)
	v_lshlrev_b32_e32 v7, 2, v6
	v_max_f32_e32 v1, v1, v1
	v_max_f32_e32 v1, v5, v1
	ds_bpermute_b32 v5, v4, v1
	s_waitcnt lgkmcnt(0)
	v_max_f32_e32 v5, v5, v5
	v_max_f32_e32 v1, v1, v5
	v_lshlrev_b32_e32 v5, 2, v21
	ds_bpermute_b32 v6, v7, v1
	s_and_saveexec_b32 s1, vcc_lo
	s_cbranch_execz .LBB316_206
; %bb.205:
	s_waitcnt lgkmcnt(0)
	v_max_f32_e32 v6, v6, v6
	v_max_f32_e32 v1, v1, v1
	;; [unrolled: 1-line block ×3, first 2 shown]
	ds_write_b32 v5, v1 offset:192
.LBB316_206:
	s_or_b32 exec_lo, exec_lo, s1
	v_cmp_gt_u32_e64 s1, 4, v22
	v_mov_b32_e32 v1, 0xff7fffff
	s_waitcnt lgkmcnt(0)
	v_lshlrev_b32_e32 v6, 2, v22
	s_barrier
	buffer_gl0_inv
	s_and_saveexec_b32 s2, s1
; %bb.207:
	ds_read_b32 v1, v6 offset:192
; %bb.208:
	s_or_b32 exec_lo, exec_lo, s2
	v_xor_b32_e32 v8, 2, v10
	v_xor_b32_e32 v13, 1, v10
	v_lshlrev_b32_e32 v2, 2, v2
	v_cmp_lt_i32_e64 s2, v8, v11
	v_cndmask_b32_e64 v8, v10, v8, s2
	v_cmp_lt_i32_e64 s2, v13, v11
	v_lshlrev_b32_e32 v8, 2, v8
	v_cndmask_b32_e64 v11, v10, v13, s2
	s_lshl_b32 s2, s12, 3
	s_min_i32 s4, s2, s11
	s_waitcnt lgkmcnt(0)
	ds_bpermute_b32 v12, v8, v1
	v_max_f32_e32 v1, v1, v1
	v_lshlrev_b32_e32 v11, 2, v11
	v_cmp_gt_i32_e64 s2, s4, v0
	s_waitcnt lgkmcnt(0)
	v_max_f32_e32 v12, v12, v12
	v_max_f32_e32 v1, v1, v12
	ds_bpermute_b32 v12, v11, v1
	s_waitcnt lgkmcnt(0)
	v_max_f32_e32 v12, v12, v12
	v_max_f32_e32 v1, v1, v12
	ds_bpermute_b32 v12, v2, v1
	v_mov_b32_e32 v2, 0
	v_lshl_add_u32 v1, v0, 2, 0xe0
	s_and_saveexec_b32 s5, s2
	s_cbranch_execz .LBB316_212
; %bb.209:
	v_lshl_add_u32 v13, v0, 2, 0xe0
	v_mov_b32_e32 v2, 0
	v_mov_b32_e32 v14, v0
	s_mov_b32 s15, 0
	.p2align	6
.LBB316_210:                            ; =>This Inner Loop Header: Depth=1
	ds_read_b32 v15, v13
	v_add_nc_u32_e32 v14, 0x80, v14
	v_cmp_le_i32_e64 s3, s4, v14
	s_or_b32 s15, s3, s15
	s_waitcnt lgkmcnt(0)
	v_sub_f32_e32 v15, v15, v12
	v_mul_f32_e32 v15, 0x3fb8aa3b, v15
	v_exp_f32_e32 v15, v15
	ds_write_b32 v13, v15
	v_add_f32_e32 v2, v2, v15
	v_add_nc_u32_e32 v13, 0x200, v13
	s_andn2_b32 exec_lo, exec_lo, s15
	s_cbranch_execnz .LBB316_210
; %bb.211:
	s_or_b32 exec_lo, exec_lo, s15
.LBB316_212:
	s_or_b32 exec_lo, exec_lo, s5
	ds_bpermute_b32 v3, v3, v2
	s_waitcnt lgkmcnt(0)
	v_add_f32_e32 v2, v2, v3
	ds_bpermute_b32 v3, v4, v2
	s_waitcnt lgkmcnt(0)
	v_add_f32_e32 v2, v2, v3
	;; [unrolled: 3-line block ×5, first 2 shown]
	s_and_saveexec_b32 s3, vcc_lo
; %bb.213:
	ds_write_b32 v5, v2 offset:208
; %bb.214:
	s_or_b32 exec_lo, exec_lo, s3
	s_waitcnt lgkmcnt(0)
	s_barrier
	buffer_gl0_inv
	s_and_saveexec_b32 s3, s1
; %bb.215:
	ds_read_b32 v2, v6 offset:208
; %bb.216:
	s_or_b32 exec_lo, exec_lo, s3
	s_waitcnt lgkmcnt(0)
	ds_bpermute_b32 v3, v8, v2
	v_lshlrev_b32_e32 v4, 2, v10
	s_waitcnt lgkmcnt(0)
	v_add_f32_e32 v2, v2, v3
	ds_bpermute_b32 v3, v11, v2
	s_waitcnt lgkmcnt(0)
	v_add_f32_e32 v2, v2, v3
	v_and_b32_e32 v3, 0xffffff80, v4
	ds_bpermute_b32 v2, v3, v2
	s_and_saveexec_b32 s1, s2
	s_cbranch_execz .LBB316_219
; %bb.217:
	s_waitcnt lgkmcnt(0)
	v_add_f32_e32 v2, 0x358637bd, v2
	s_mov_b32 s2, 0
	v_div_scale_f32 v3, null, v2, v2, 1.0
	v_div_scale_f32 v6, vcc_lo, 1.0, v2, 1.0
	v_rcp_f32_e32 v4, v3
	v_fma_f32 v5, -v3, v4, 1.0
	v_fmac_f32_e32 v4, v5, v4
	v_mul_f32_e32 v5, v6, v4
	v_fma_f32 v7, -v3, v5, v6
	v_fmac_f32_e32 v5, v7, v4
	v_fma_f32 v3, -v3, v5, v6
	v_div_fmas_f32 v3, v3, v4, v5
	v_div_fixup_f32 v2, v3, v2, 1.0
	v_mov_b32_e32 v3, v0
.LBB316_218:                            ; =>This Inner Loop Header: Depth=1
	ds_read_b32 v4, v1
	v_add_nc_u32_e32 v3, 0x80, v3
	v_cmp_le_i32_e32 vcc_lo, s4, v3
	s_or_b32 s2, vcc_lo, s2
	s_waitcnt lgkmcnt(0)
	v_mul_f32_e32 v4, v2, v4
	ds_write_b32 v1, v4
	v_add_nc_u32_e32 v1, 0x200, v1
	s_andn2_b32 exec_lo, exec_lo, s2
	s_cbranch_execnz .LBB316_218
.LBB316_219:
	s_or_b32 exec_lo, exec_lo, s1
	v_mov_b32_e32 v25, 0
	v_mov_b32_e32 v24, 0
	;; [unrolled: 1-line block ×3, first 2 shown]
	s_waitcnt lgkmcnt(0)
	s_barrier
	buffer_gl0_inv
	s_and_saveexec_b32 s1, s0
	s_cbranch_execz .LBB316_409
; %bb.220:
	s_load_dword s5, s[18:19], 0x0
	v_lshlrev_b32_e32 v1, 3, v22
	s_ashr_i32 s0, s14, 31
	s_add_u32 s2, s26, s14
	s_addc_u32 s0, s27, s0
	s_mov_b32 s4, s13
	v_add_co_u32 v11, s2, s2, v1
	v_and_b32_e32 v1, 0x7c, v9
	v_add_co_ci_u32_e64 v12, null, s0, 0, s2
	s_lshl_b64 s[2:3], s[24:25], 2
	s_add_i32 s13, s12, -1
	s_add_u32 s0, s22, s2
	s_addc_u32 s2, s23, s3
	v_add_co_u32 v13, s0, s0, v1
	v_mov_b32_e32 v10, 0
	v_lshl_or_b32 v26, v21, 3, 7
	v_lshl_add_u32 v27, v21, 5, 0xe0
	v_add_co_ci_u32_e64 v14, null, s2, 0, s0
	v_mov_b32_e32 v28, 0x80
	v_mov_b32_e32 v29, 0xffff
	;; [unrolled: 1-line block ×9, first 2 shown]
	s_mov_b32 s2, -1
	s_mov_b32 s3, 0xffffff
	s_mov_b32 s14, 0
	s_branch .LBB316_222
.LBB316_221:                            ;   in Loop: Header=BB316_222 Depth=1
	s_or_b32 exec_lo, exec_lo, s0
	v_bfe_u32 v42, v5, 16, 1
	v_bfe_u32 v43, v6, 16, 1
	v_or_b32_e32 v44, 0x400000, v5
	v_cmp_u_f32_e32 vcc_lo, v5, v5
	v_or_b32_e32 v45, 0x400000, v6
	v_add3_u32 v42, v42, v5, 0x7fff
	v_bfe_u32 v46, v7, 16, 1
	v_add3_u32 v43, v43, v6, 0x7fff
	v_bfe_u32 v47, v8, 16, 1
	v_lshlrev_b32_e32 v20, 16, v20
	v_cndmask_b32_e32 v5, v42, v44, vcc_lo
	v_cmp_u_f32_e32 vcc_lo, v6, v6
	v_add3_u32 v42, v46, v7, 0x7fff
	v_bfe_u32 v44, v1, 16, 1
	v_or_b32_e32 v46, 0x400000, v8
	v_and_b32_e32 v5, 0xffff0000, v5
	v_cndmask_b32_e32 v6, v43, v45, vcc_lo
	v_or_b32_e32 v43, 0x400000, v7
	v_cmp_u_f32_e32 vcc_lo, v7, v7
	v_add3_u32 v45, v47, v8, 0x7fff
	v_lshlrev_b32_e32 v19, 16, v19
	v_lshlrev_b32_e32 v50, 16, v50
	;; [unrolled: 1-line block ×3, first 2 shown]
	v_cndmask_b32_e32 v7, v42, v43, vcc_lo
	v_cmp_u_f32_e32 vcc_lo, v8, v8
	v_add3_u32 v42, v44, v1, 0x7fff
	v_or_b32_e32 v43, 0x400000, v1
	v_bfe_u32 v44, v2, 16, 1
	v_and_b32_e32 v7, 0xffff0000, v7
	v_cndmask_b32_e32 v8, v45, v46, vcc_lo
	v_cmp_u_f32_e32 vcc_lo, v1, v1
	v_and_b32_e32 v1, 0xffff0000, v6
	v_lshlrev_b32_e32 v6, 16, v54
	v_add3_u32 v44, v44, v2, 0x7fff
	v_or_b32_e32 v45, 0x400000, v2
	v_cndmask_b32_e32 v42, v42, v43, vcc_lo
	v_bfe_u32 v43, v3, 16, 1
	v_mul_f32_e32 v6, v1, v6
	v_cmp_u_f32_e32 vcc_lo, v2, v2
	v_or_b32_e32 v46, 0x400000, v3
	v_and_b32_e32 v42, 0xffff0000, v42
	v_add3_u32 v43, v43, v3, 0x7fff
	v_or_b32_e32 v48, 0x400000, v6
	v_cndmask_b32_e32 v2, v44, v45, vcc_lo
	v_bfe_u32 v44, v4, 16, 1
	v_cmp_u_f32_e32 vcc_lo, v3, v3
	v_bfe_u32 v3, v6, 16, 1
	v_lshlrev_b32_e32 v45, 16, v53
	v_and_b32_e32 v2, 0xffff0000, v2
	v_add3_u32 v44, v44, v4, 0x7fff
	v_cndmask_b32_e32 v43, v43, v46, vcc_lo
	v_or_b32_e32 v46, 0x400000, v4
	v_add3_u32 v47, v3, v6, 0x7fff
	v_mul_f32_e32 v45, v5, v45
	v_and_b32_e32 v3, 0xffff0000, v8
	v_lshlrev_b32_e32 v8, 16, v51
	v_cmp_u_f32_e32 vcc_lo, v4, v4
	v_mul_f32_e32 v20, v2, v20
	v_mul_f32_e32 v19, v42, v19
	v_and_b32_e32 v43, 0xffff0000, v43
	v_mul_f32_e32 v8, v3, v8
	v_cndmask_b32_e32 v4, v44, v46, vcc_lo
	v_cmp_u_f32_e32 vcc_lo, v6, v6
	v_bfe_u32 v44, v45, 16, 1
	v_lshlrev_b32_e32 v46, 16, v52
	v_bfe_u32 v51, v20, 16, 1
	v_and_b32_e32 v4, 0xffff0000, v4
	v_cndmask_b32_e32 v6, v47, v48, vcc_lo
	v_add3_u32 v44, v44, v45, 0x7fff
	v_or_b32_e32 v47, 0x400000, v45
	v_bfe_u32 v48, v8, 16, 1
	v_mul_f32_e32 v46, v7, v46
	v_cmp_u_f32_e32 vcc_lo, v45, v45
	v_bfe_u32 v52, v19, 16, 1
	v_and_b32_e32 v6, 0xffff0000, v6
	v_add3_u32 v45, v48, v8, 0x7fff
	v_bfe_u32 v48, v46, 16, 1
	v_cndmask_b32_e32 v44, v44, v47, vcc_lo
	v_or_b32_e32 v47, 0x400000, v8
	v_cmp_u_f32_e32 vcc_lo, v8, v8
	v_mul_f32_e32 v49, v43, v49
	v_lshlrev_b32_e32 v41, 16, v41
	v_and_b32_e32 v44, 0xffff0000, v44
	v_lshlrev_b32_e32 v40, 16, v40
	v_cndmask_b32_e32 v8, v45, v47, vcc_lo
	v_add3_u32 v45, v48, v46, 0x7fff
	v_or_b32_e32 v47, 0x400000, v46
	v_cmp_u_f32_e32 vcc_lo, v46, v46
	v_add3_u32 v48, v51, v20, 0x7fff
	v_or_b32_e32 v51, 0x400000, v20
	v_mul_f32_e32 v46, v4, v50
	v_and_b32_e32 v8, 0xffff0000, v8
	v_cndmask_b32_e32 v45, v45, v47, vcc_lo
	v_cmp_u_f32_e32 vcc_lo, v20, v20
	v_add3_u32 v47, v52, v19, 0x7fff
	v_bfe_u32 v50, v46, 16, 1
	v_add_f32_e32 v6, v44, v6
	v_and_b32_e32 v45, 0xffff0000, v45
	v_cndmask_b32_e32 v20, v48, v51, vcc_lo
	v_or_b32_e32 v48, 0x400000, v19
	v_cmp_u_f32_e32 vcc_lo, v19, v19
	v_lshlrev_b32_e32 v39, 16, v39
	v_add_f32_e32 v8, v45, v8
	v_and_b32_e32 v20, 0xffff0000, v20
	v_or_b32_e32 v45, 0x400000, v49
	v_cndmask_b32_e32 v19, v47, v48, vcc_lo
	v_add3_u32 v47, v50, v46, 0x7fff
	v_or_b32_e32 v48, 0x400000, v46
	v_cmp_u_f32_e32 vcc_lo, v46, v46
	v_add_f32_e32 v6, v8, v6
	v_and_b32_e32 v19, 0xffff0000, v19
	v_mul_f32_e32 v8, v1, v41
	v_lshlrev_b32_e32 v35, 16, v35
	v_cndmask_b32_e32 v46, v47, v48, vcc_lo
	v_bfe_u32 v47, v49, 16, 1
	v_add_f32_e32 v19, v19, v20
	v_cmp_u_f32_e32 vcc_lo, v49, v49
	v_bfe_u32 v41, v8, 16, 1
	v_mul_f32_e32 v39, v7, v39
	v_add3_u32 v44, v47, v49, 0x7fff
	v_add_f32_e32 v6, v19, v6
	v_lshlrev_b32_e32 v19, 16, v37
	v_mul_f32_e32 v37, v5, v40
	v_add3_u32 v40, v41, v8, 0x7fff
	v_cndmask_b32_e32 v20, v44, v45, vcc_lo
	v_or_b32_e32 v41, 0x400000, v8
	v_mul_f32_e32 v19, v3, v19
	v_bfe_u32 v45, v37, 16, 1
	v_cmp_u_f32_e32 vcc_lo, v8, v8
	v_and_b32_e32 v44, 0xffff0000, v46
	v_mul_f32_e32 v35, v2, v35
	v_or_b32_e32 v46, 0x400000, v19
	v_lshlrev_b32_e32 v34, 16, v34
	v_cndmask_b32_e32 v8, v40, v41, vcc_lo
	v_bfe_u32 v40, v19, 16, 1
	v_add3_u32 v41, v45, v37, 0x7fff
	v_or_b32_e32 v45, 0x400000, v37
	v_cmp_u_f32_e32 vcc_lo, v37, v37
	v_lshlrev_b32_e32 v38, 16, v38
	v_add3_u32 v40, v40, v19, 0x7fff
	v_mul_f32_e32 v34, v42, v34
	v_lshlrev_b32_e32 v36, 16, v36
	v_cndmask_b32_e32 v37, v41, v45, vcc_lo
	v_bfe_u32 v41, v39, 16, 1
	v_cmp_u_f32_e32 vcc_lo, v19, v19
	v_or_b32_e32 v45, 0x400000, v39
	v_mul_f32_e32 v38, v4, v38
	v_mul_f32_e32 v36, v43, v36
	v_add3_u32 v41, v41, v39, 0x7fff
	v_cndmask_b32_e32 v19, v40, v46, vcc_lo
	v_bfe_u32 v40, v35, 16, 1
	v_cmp_u_f32_e32 vcc_lo, v39, v39
	v_or_b32_e32 v46, 0x400000, v35
	v_and_b32_e32 v37, 0xffff0000, v37
	v_and_b32_e32 v8, 0xffff0000, v8
	v_add3_u32 v40, v40, v35, 0x7fff
	v_cndmask_b32_e32 v39, v41, v45, vcc_lo
	v_bfe_u32 v41, v34, 16, 1
	v_cmp_u_f32_e32 vcc_lo, v35, v35
	v_bfe_u32 v45, v38, 16, 1
	v_and_b32_e32 v19, 0xffff0000, v19
	v_and_b32_e32 v39, 0xffff0000, v39
	v_add_f32_e32 v8, v37, v8
	v_cndmask_b32_e32 v35, v40, v46, vcc_lo
	v_add3_u32 v40, v41, v34, 0x7fff
	v_or_b32_e32 v41, 0x400000, v34
	v_cmp_u_f32_e32 vcc_lo, v34, v34
	v_add3_u32 v45, v45, v38, 0x7fff
	v_or_b32_e32 v46, 0x400000, v38
	v_add_f32_e32 v19, v39, v19
	v_and_b32_e32 v35, 0xffff0000, v35
	v_cndmask_b32_e32 v34, v40, v41, vcc_lo
	v_cmp_u_f32_e32 vcc_lo, v38, v38
	v_bfe_u32 v40, v36, 16, 1
	v_lshlrev_b32_e32 v37, 16, v56
	v_or_b32_e32 v41, 0x400000, v36
	v_and_b32_e32 v34, 0xffff0000, v34
	v_cndmask_b32_e32 v38, v45, v46, vcc_lo
	v_lshlrev_b32_e32 v45, 16, v57
	v_add3_u32 v40, v40, v36, 0x7fff
	v_cmp_u_f32_e32 vcc_lo, v36, v36
	v_add_f32_e32 v8, v19, v8
	v_add_f32_e32 v34, v34, v35
	v_mul_f32_e32 v5, v5, v45
	v_mul_f32_e32 v1, v1, v37
	v_lshlrev_b32_e32 v35, 16, v55
	v_cndmask_b32_e32 v36, v40, v41, vcc_lo
	v_lshlrev_b32_e32 v16, 16, v16
	v_bfe_u32 v19, v5, 16, 1
	v_or_b32_e32 v37, 0x400000, v5
	v_bfe_u32 v39, v1, 16, 1
	v_mul_f32_e32 v7, v7, v35
	v_cmp_u_f32_e32 vcc_lo, v5, v5
	v_add3_u32 v19, v19, v5, 0x7fff
	v_or_b32_e32 v35, 0x400000, v1
	v_mul_f32_e32 v3, v3, v16
	v_lshlrev_b32_e32 v15, 16, v15
	v_lshlrev_b32_e32 v9, 16, v9
	v_cndmask_b32_e32 v5, v19, v37, vcc_lo
	v_add3_u32 v19, v39, v1, 0x7fff
	v_bfe_u32 v37, v7, 16, 1
	v_cmp_u_f32_e32 vcc_lo, v1, v1
	v_mul_f32_e32 v15, v42, v15
	v_mul_f32_e32 v2, v2, v9
	v_lshlrev_b32_e32 v17, 16, v17
	v_add3_u32 v16, v37, v7, 0x7fff
	v_cndmask_b32_e32 v1, v19, v35, vcc_lo
	v_or_b32_e32 v19, 0x400000, v7
	v_bfe_u32 v35, v3, 16, 1
	v_cmp_u_f32_e32 vcc_lo, v7, v7
	v_lshlrev_b32_e32 v9, 16, v18
	v_mul_f32_e32 v4, v4, v17
	v_or_b32_e32 v17, 0x400000, v15
	v_and_b32_e32 v1, 0xffff0000, v1
	v_cndmask_b32_e32 v7, v16, v19, vcc_lo
	v_add3_u32 v16, v35, v3, 0x7fff
	v_or_b32_e32 v19, 0x400000, v3
	v_bfe_u32 v35, v15, 16, 1
	v_cmp_u_f32_e32 vcc_lo, v3, v3
	v_mul_f32_e32 v9, v43, v9
	v_bfe_u32 v37, v4, 16, 1
	v_and_b32_e32 v5, 0xffff0000, v5
	v_add3_u32 v18, v35, v15, 0x7fff
	v_cndmask_b32_e32 v3, v16, v19, vcc_lo
	v_bfe_u32 v16, v2, 16, 1
	v_cmp_u_f32_e32 vcc_lo, v15, v15
	v_or_b32_e32 v19, 0x400000, v2
	v_bfe_u32 v35, v9, 16, 1
	v_and_b32_e32 v3, 0xffff0000, v3
	v_add3_u32 v16, v16, v2, 0x7fff
	v_cndmask_b32_e32 v15, v18, v17, vcc_lo
	v_cmp_u_f32_e32 vcc_lo, v2, v2
	v_add3_u32 v17, v37, v4, 0x7fff
	v_or_b32_e32 v18, 0x400000, v4
	v_and_b32_e32 v7, 0xffff0000, v7
	v_add_f32_e32 v1, v5, v1
	v_cndmask_b32_e32 v2, v16, v19, vcc_lo
	v_cmp_u_f32_e32 vcc_lo, v4, v4
	v_add3_u32 v16, v35, v9, 0x7fff
	v_or_b32_e32 v19, 0x400000, v9
	v_add_f32_e32 v3, v7, v3
	v_and_b32_e32 v2, 0xffff0000, v2
	v_cndmask_b32_e32 v4, v17, v18, vcc_lo
	v_cmp_u_f32_e32 vcc_lo, v9, v9
	v_and_b32_e32 v5, 0xffff0000, v15
	v_and_b32_e32 v20, 0xffff0000, v20
	;; [unrolled: 1-line block ×4, first 2 shown]
	v_cndmask_b32_e32 v7, v16, v19, vcc_lo
	v_add_f32_e32 v1, v3, v1
	v_add_f32_e32 v2, v5, v2
	v_and_b32_e32 v3, 0xffff0000, v4
	v_add_f32_e32 v5, v20, v44
	v_and_b32_e32 v4, 0xffff0000, v7
	v_add_f32_e32 v7, v34, v8
	v_add_f32_e32 v8, v36, v9
	;; [unrolled: 1-line block ×3, first 2 shown]
	v_add_nc_u32_e32 v33, 4, v33
	v_add_f32_e32 v2, v4, v3
	v_add_f32_e32 v3, v5, v6
	;; [unrolled: 1-line block ×3, first 2 shown]
	v_add_co_u32 v13, s0, v13, 16
	v_add_f32_e32 v1, v2, v1
	v_cmp_le_i32_e32 vcc_lo, s12, v33
	v_add_f32_e32 v24, v24, v3
	v_add_f32_e32 v25, v25, v4
	v_add_nc_u32_e32 v26, 32, v26
	v_add_f32_e32 v23, v23, v1
	v_add_nc_u32_e32 v27, 0x80, v27
	v_add_co_ci_u32_e64 v14, null, 0, v14, s0
	s_or_b32 s14, vcc_lo, s14
	s_andn2_b32 exec_lo, exec_lo, s14
	s_cbranch_execz .LBB316_408
.LBB316_222:                            ; =>This Inner Loop Header: Depth=1
	global_load_dword v1, v[13:14], off
	v_mov_b32_e32 v36, 0
	s_waitcnt vmcnt(0)
	v_mad_i64_i32 v[15:16], null, v1, s4, v[11:12]
	global_load_dwordx2 v[17:18], v[15:16], off
	ds_read2_b64 v[5:8], v27 offset1:1
	ds_read2_b64 v[1:4], v27 offset0:2 offset1:3
	s_waitcnt vmcnt(0)
	v_cmp_ne_u16_sdwa s15, v17, v10 src0_sel:BYTE_0 src1_sel:DWORD
	s_and_saveexec_b32 s0, s15
	s_cbranch_execz .LBB316_228
; %bb.223:                              ;   in Loop: Header=BB316_222 Depth=1
	v_cmp_ne_u16_sdwa s16, v17, v28 src0_sel:BYTE_0 src1_sel:DWORD
	v_bfrev_b32_e32 v36, 1
	s_and_saveexec_b32 s15, s16
	s_cbranch_execz .LBB316_227
; %bb.224:                              ;   in Loop: Header=BB316_222 Depth=1
	v_and_b32_e32 v9, 0x7f, v17
	v_mov_b32_e32 v36, 0x7f800001
	s_mov_b32 s16, exec_lo
	v_cmpx_ne_u32_e32 0x7f, v9
	s_cbranch_execz .LBB316_226
; %bb.225:                              ;   in Loop: Header=BB316_222 Depth=1
	v_and_b32_e32 v19, 7, v17
	v_lshrrev_b32_e32 v20, 3, v9
	v_cmp_gt_u32_e32 vcc_lo, 8, v9
	v_ffbh_u32_e32 v19, v19
	v_min_u32_e32 v19, 32, v19
	v_subrev_nc_u32_e32 v34, 28, v19
	v_sub_nc_u32_e32 v19, 29, v19
	v_cndmask_b32_e32 v9, v20, v19, vcc_lo
	v_cndmask_b32_e32 v19, 0, v34, vcc_lo
	v_lshl_add_u32 v9, v9, 23, 0x3c000000
	v_lshlrev_b64 v[19:20], v19, v[17:18]
	v_lshlrev_b32_e32 v20, 24, v17
	v_lshlrev_b32_e32 v19, 20, v19
	v_and_b32_e32 v20, 0x80000000, v20
	v_and_b32_e32 v19, 0x700000, v19
	v_or3_b32 v36, v19, v20, v9
.LBB316_226:                            ;   in Loop: Header=BB316_222 Depth=1
	s_or_b32 exec_lo, exec_lo, s16
.LBB316_227:                            ;   in Loop: Header=BB316_222 Depth=1
	s_or_b32 exec_lo, exec_lo, s15
.LBB316_228:                            ;   in Loop: Header=BB316_222 Depth=1
	s_or_b32 exec_lo, exec_lo, s0
	v_cmp_ne_u16_sdwa s15, v17, v10 src0_sel:BYTE_1 src1_sel:DWORD
	v_mov_b32_e32 v35, 0
	v_mov_b32_e32 v34, 0
	s_and_saveexec_b32 s0, s15
	s_cbranch_execz .LBB316_236
; %bb.229:                              ;   in Loop: Header=BB316_222 Depth=1
	v_cmp_ne_u16_sdwa s16, v17, v28 src0_sel:BYTE_1 src1_sel:DWORD
	v_bfrev_b32_e32 v34, 1
	s_and_saveexec_b32 s15, s16
	s_cbranch_execz .LBB316_235
; %bb.230:                              ;   in Loop: Header=BB316_222 Depth=1
	v_and_b32_sdwa v9, v29, v17 dst_sel:DWORD dst_unused:UNUSED_PAD src0_sel:DWORD src1_sel:BYTE_1
	v_mov_b32_e32 v34, 0x7f800001
	s_mov_b32 s16, exec_lo
	v_and_b32_e32 v20, 0x7f, v9
	v_cmpx_ne_u32_e32 0x7f, v20
	s_cbranch_execz .LBB316_234
; %bb.231:                              ;   in Loop: Header=BB316_222 Depth=1
	v_and_b32_e32 v9, 7, v9
	v_lshrrev_b32_e32 v19, 3, v20
	s_mov_b32 s17, exec_lo
	v_cmpx_gt_u32_e32 8, v20
; %bb.232:                              ;   in Loop: Header=BB316_222 Depth=1
	v_ffbh_u32_e32 v19, v9
	v_min_u32_e32 v19, 32, v19
	v_subrev_nc_u32_e32 v20, 28, v19
	v_sub_nc_u32_e32 v19, 29, v19
	v_lshlrev_b64 v[37:38], v20, v[9:10]
	v_and_b32_e32 v9, 7, v37
; %bb.233:                              ;   in Loop: Header=BB316_222 Depth=1
	s_or_b32 exec_lo, exec_lo, s17
	v_lshlrev_b32_e32 v20, 16, v17
	v_lshlrev_b32_e32 v9, 20, v9
	v_lshl_add_u32 v19, v19, 23, 0x3c000000
	v_and_b32_e32 v20, 0x80000000, v20
	v_or3_b32 v34, v9, v20, v19
.LBB316_234:                            ;   in Loop: Header=BB316_222 Depth=1
	s_or_b32 exec_lo, exec_lo, s16
.LBB316_235:                            ;   in Loop: Header=BB316_222 Depth=1
	s_or_b32 exec_lo, exec_lo, s15
.LBB316_236:                            ;   in Loop: Header=BB316_222 Depth=1
	s_or_b32 exec_lo, exec_lo, s0
	v_and_b32_sdwa v9, v17, v30 dst_sel:DWORD dst_unused:UNUSED_PAD src0_sel:WORD_1 src1_sel:DWORD
	s_mov_b32 s0, exec_lo
	v_cmpx_ne_u16_e32 0, v9
	s_cbranch_execz .LBB316_244
; %bb.237:                              ;   in Loop: Header=BB316_222 Depth=1
	v_bfrev_b32_e32 v35, 1
	s_mov_b32 s15, exec_lo
	v_cmpx_ne_u16_e32 0x80, v9
	s_cbranch_execz .LBB316_243
; %bb.238:                              ;   in Loop: Header=BB316_222 Depth=1
	v_bfe_u32 v20, v17, 16, 7
	v_mov_b32_e32 v35, 0x7f800001
	s_mov_b32 s16, exec_lo
	v_cmpx_ne_u32_e32 0x7f, v20
	s_cbranch_execz .LBB316_242
; %bb.239:                              ;   in Loop: Header=BB316_222 Depth=1
	v_and_b32_sdwa v9, v17, v31 dst_sel:DWORD dst_unused:UNUSED_PAD src0_sel:WORD_1 src1_sel:DWORD
	v_lshrrev_b32_e32 v19, 3, v20
	s_mov_b32 s17, exec_lo
	v_cmpx_gt_u32_e32 8, v20
; %bb.240:                              ;   in Loop: Header=BB316_222 Depth=1
	v_ffbh_u32_e32 v19, v9
	v_min_u32_e32 v19, 32, v19
	v_subrev_nc_u32_e32 v20, 28, v19
	v_sub_nc_u32_e32 v19, 29, v19
	v_lshlrev_b64 v[37:38], v20, v[9:10]
	v_and_b32_e32 v9, 7, v37
; %bb.241:                              ;   in Loop: Header=BB316_222 Depth=1
	s_or_b32 exec_lo, exec_lo, s17
	v_lshlrev_b32_sdwa v20, v32, v17 dst_sel:DWORD dst_unused:UNUSED_PAD src0_sel:DWORD src1_sel:WORD_1
	v_lshlrev_b32_e32 v9, 20, v9
	v_lshl_add_u32 v19, v19, 23, 0x3c000000
	v_and_b32_e32 v20, 0x80000000, v20
	v_or3_b32 v35, v9, v20, v19
.LBB316_242:                            ;   in Loop: Header=BB316_222 Depth=1
	s_or_b32 exec_lo, exec_lo, s16
.LBB316_243:                            ;   in Loop: Header=BB316_222 Depth=1
	s_or_b32 exec_lo, exec_lo, s15
.LBB316_244:                            ;   in Loop: Header=BB316_222 Depth=1
	s_or_b32 exec_lo, exec_lo, s0
	v_mov_b32_e32 v37, 0
	v_mov_b32_e32 v38, 0
	s_mov_b32 s0, exec_lo
	v_cmpx_lt_u32_e32 0xffffff, v17
	s_cbranch_execz .LBB316_252
; %bb.245:                              ;   in Loop: Header=BB316_222 Depth=1
	v_cmp_ne_u32_sdwa s16, v17, v28 src0_sel:BYTE_3 src1_sel:DWORD
	v_bfrev_b32_e32 v38, 1
	s_and_saveexec_b32 s15, s16
	s_cbranch_execz .LBB316_251
; %bb.246:                              ;   in Loop: Header=BB316_222 Depth=1
	v_bfe_u32 v20, v17, 24, 7
	v_mov_b32_e32 v38, 0x7f800001
	s_mov_b32 s16, exec_lo
	v_cmpx_ne_u32_e32 0x7f, v20
	s_cbranch_execz .LBB316_250
; %bb.247:                              ;   in Loop: Header=BB316_222 Depth=1
	v_and_b32_sdwa v9, v17, v31 dst_sel:DWORD dst_unused:UNUSED_PAD src0_sel:BYTE_3 src1_sel:DWORD
	v_lshrrev_b32_e32 v19, 3, v20
	s_mov_b32 s17, exec_lo
	v_cmpx_gt_u32_e32 8, v20
; %bb.248:                              ;   in Loop: Header=BB316_222 Depth=1
	v_ffbh_u32_e32 v19, v9
	v_min_u32_e32 v19, 32, v19
	v_subrev_nc_u32_e32 v20, 28, v19
	v_sub_nc_u32_e32 v19, 29, v19
	v_lshlrev_b64 v[38:39], v20, v[9:10]
	v_and_b32_e32 v9, 7, v38
; %bb.249:                              ;   in Loop: Header=BB316_222 Depth=1
	s_or_b32 exec_lo, exec_lo, s17
	v_lshlrev_b32_sdwa v20, v32, v17 dst_sel:DWORD dst_unused:UNUSED_PAD src0_sel:DWORD src1_sel:BYTE_3
	v_lshlrev_b32_e32 v9, 20, v9
	v_lshl_add_u32 v19, v19, 23, 0x3c000000
	v_and_b32_e32 v20, 0x80000000, v20
	v_or3_b32 v38, v9, v20, v19
.LBB316_250:                            ;   in Loop: Header=BB316_222 Depth=1
	s_or_b32 exec_lo, exec_lo, s16
.LBB316_251:                            ;   in Loop: Header=BB316_222 Depth=1
	s_or_b32 exec_lo, exec_lo, s15
.LBB316_252:                            ;   in Loop: Header=BB316_222 Depth=1
	s_or_b32 exec_lo, exec_lo, s0
	v_mov_b32_e32 v9, v18
	v_cmp_ne_u16_sdwa s15, v18, v10 src0_sel:BYTE_0 src1_sel:DWORD
	s_and_saveexec_b32 s0, s15
	s_cbranch_execz .LBB316_258
; %bb.253:                              ;   in Loop: Header=BB316_222 Depth=1
	v_cmp_ne_u16_sdwa s16, v18, v28 src0_sel:BYTE_0 src1_sel:DWORD
	v_bfrev_b32_e32 v37, 1
	s_and_saveexec_b32 s15, s16
	s_cbranch_execz .LBB316_257
; %bb.254:                              ;   in Loop: Header=BB316_222 Depth=1
	v_and_b32_e32 v19, 0x7f, v18
	v_mov_b32_e32 v37, 0x7f800001
	s_mov_b32 s16, exec_lo
	v_cmpx_ne_u32_e32 0x7f, v19
	s_cbranch_execz .LBB316_256
; %bb.255:                              ;   in Loop: Header=BB316_222 Depth=1
	v_and_b32_e32 v20, 7, v18
	v_cmp_gt_u32_e32 vcc_lo, 8, v19
	v_lshrrev_b32_e32 v37, 3, v19
	v_ffbh_u32_e32 v20, v20
	v_min_u32_e32 v20, 32, v20
	v_subrev_nc_u32_e32 v39, 28, v20
	v_sub_nc_u32_e32 v20, 29, v20
	v_cndmask_b32_e32 v19, 0, v39, vcc_lo
	v_cndmask_b32_e32 v37, v37, v20, vcc_lo
	v_lshlrev_b64 v[19:20], v19, v[9:10]
	v_lshlrev_b32_e32 v20, 24, v9
	v_lshl_add_u32 v37, v37, 23, 0x3c000000
	v_lshlrev_b32_e32 v19, 20, v19
	v_and_b32_e32 v20, 0x80000000, v20
	v_and_b32_e32 v19, 0x700000, v19
	v_or3_b32 v37, v19, v20, v37
.LBB316_256:                            ;   in Loop: Header=BB316_222 Depth=1
	s_or_b32 exec_lo, exec_lo, s16
.LBB316_257:                            ;   in Loop: Header=BB316_222 Depth=1
	s_or_b32 exec_lo, exec_lo, s15
.LBB316_258:                            ;   in Loop: Header=BB316_222 Depth=1
	s_or_b32 exec_lo, exec_lo, s0
	v_cmp_ne_u16_sdwa s15, v9, v10 src0_sel:BYTE_1 src1_sel:DWORD
	v_mov_b32_e32 v39, 0
	v_mov_b32_e32 v19, 0
	s_and_saveexec_b32 s0, s15
	s_cbranch_execz .LBB316_266
; %bb.259:                              ;   in Loop: Header=BB316_222 Depth=1
	v_cmp_ne_u16_sdwa s16, v9, v28 src0_sel:BYTE_1 src1_sel:DWORD
	v_bfrev_b32_e32 v19, 1
	s_and_saveexec_b32 s15, s16
	s_cbranch_execz .LBB316_265
; %bb.260:                              ;   in Loop: Header=BB316_222 Depth=1
	v_and_b32_sdwa v20, v29, v9 dst_sel:DWORD dst_unused:UNUSED_PAD src0_sel:DWORD src1_sel:BYTE_1
	v_mov_b32_e32 v19, 0x7f800001
	s_mov_b32 s16, exec_lo
	v_and_b32_e32 v41, 0x7f, v20
	v_cmpx_ne_u32_e32 0x7f, v41
	s_cbranch_execz .LBB316_264
; %bb.261:                              ;   in Loop: Header=BB316_222 Depth=1
	v_and_b32_e32 v19, 7, v20
	v_mov_b32_e32 v20, v10
	v_lshrrev_b32_e32 v40, 3, v41
	s_mov_b32 s17, exec_lo
	v_cmpx_gt_u32_e32 8, v41
; %bb.262:                              ;   in Loop: Header=BB316_222 Depth=1
	v_ffbh_u32_e32 v40, v19
	v_min_u32_e32 v40, 32, v40
	v_subrev_nc_u32_e32 v41, 28, v40
	v_sub_nc_u32_e32 v40, 29, v40
	v_lshlrev_b64 v[19:20], v41, v[19:20]
	v_and_b32_e32 v19, 7, v19
; %bb.263:                              ;   in Loop: Header=BB316_222 Depth=1
	s_or_b32 exec_lo, exec_lo, s17
	v_lshlrev_b32_e32 v9, 16, v9
	v_lshlrev_b32_e32 v19, 20, v19
	v_lshl_add_u32 v20, v40, 23, 0x3c000000
	v_and_b32_e32 v9, 0x80000000, v9
	v_or3_b32 v19, v19, v9, v20
.LBB316_264:                            ;   in Loop: Header=BB316_222 Depth=1
	s_or_b32 exec_lo, exec_lo, s16
.LBB316_265:                            ;   in Loop: Header=BB316_222 Depth=1
	s_or_b32 exec_lo, exec_lo, s15
.LBB316_266:                            ;   in Loop: Header=BB316_222 Depth=1
	s_or_b32 exec_lo, exec_lo, s0
	v_and_b32_sdwa v9, v18, v30 dst_sel:DWORD dst_unused:UNUSED_PAD src0_sel:WORD_1 src1_sel:DWORD
	s_mov_b32 s0, exec_lo
	v_cmpx_ne_u16_e32 0, v9
	s_cbranch_execz .LBB316_274
; %bb.267:                              ;   in Loop: Header=BB316_222 Depth=1
	v_bfrev_b32_e32 v39, 1
	s_mov_b32 s15, exec_lo
	v_cmpx_ne_u16_e32 0x80, v9
	s_cbranch_execz .LBB316_273
; %bb.268:                              ;   in Loop: Header=BB316_222 Depth=1
	v_bfe_u32 v40, v18, 16, 7
	v_mov_b32_e32 v39, 0x7f800001
	s_mov_b32 s16, exec_lo
	v_cmpx_ne_u32_e32 0x7f, v40
	s_cbranch_execz .LBB316_272
; %bb.269:                              ;   in Loop: Header=BB316_222 Depth=1
	v_and_b32_sdwa v9, v18, v31 dst_sel:DWORD dst_unused:UNUSED_PAD src0_sel:WORD_1 src1_sel:DWORD
	v_lshrrev_b32_e32 v20, 3, v40
	s_mov_b32 s17, exec_lo
	v_cmpx_gt_u32_e32 8, v40
; %bb.270:                              ;   in Loop: Header=BB316_222 Depth=1
	v_ffbh_u32_e32 v20, v9
	v_min_u32_e32 v20, 32, v20
	v_subrev_nc_u32_e32 v39, 28, v20
	v_sub_nc_u32_e32 v20, 29, v20
	v_lshlrev_b64 v[39:40], v39, v[9:10]
	v_and_b32_e32 v9, 7, v39
; %bb.271:                              ;   in Loop: Header=BB316_222 Depth=1
	s_or_b32 exec_lo, exec_lo, s17
	v_lshlrev_b32_sdwa v39, v32, v18 dst_sel:DWORD dst_unused:UNUSED_PAD src0_sel:DWORD src1_sel:WORD_1
	v_lshlrev_b32_e32 v9, 20, v9
	v_lshl_add_u32 v20, v20, 23, 0x3c000000
	v_and_b32_e32 v39, 0x80000000, v39
	v_or3_b32 v39, v9, v39, v20
.LBB316_272:                            ;   in Loop: Header=BB316_222 Depth=1
	s_or_b32 exec_lo, exec_lo, s16
.LBB316_273:                            ;   in Loop: Header=BB316_222 Depth=1
	s_or_b32 exec_lo, exec_lo, s15
.LBB316_274:                            ;   in Loop: Header=BB316_222 Depth=1
	s_or_b32 exec_lo, exec_lo, s0
	v_mov_b32_e32 v9, 0
	s_mov_b32 s0, exec_lo
	v_cmpx_lt_u64_e64 s[2:3], v[17:18]
	s_cbranch_execz .LBB316_282
; %bb.275:                              ;   in Loop: Header=BB316_222 Depth=1
	v_cmp_ne_u32_sdwa s16, v18, v28 src0_sel:BYTE_3 src1_sel:DWORD
	v_bfrev_b32_e32 v9, 1
	s_and_saveexec_b32 s15, s16
	s_cbranch_execz .LBB316_281
; %bb.276:                              ;   in Loop: Header=BB316_222 Depth=1
	v_bfe_u32 v20, v18, 24, 7
	v_mov_b32_e32 v9, 0x7f800001
	s_mov_b32 s16, exec_lo
	v_cmpx_ne_u32_e32 0x7f, v20
	s_cbranch_execz .LBB316_280
; %bb.277:                              ;   in Loop: Header=BB316_222 Depth=1
	v_and_b32_sdwa v9, v18, v31 dst_sel:DWORD dst_unused:UNUSED_PAD src0_sel:BYTE_3 src1_sel:DWORD
	v_lshrrev_b32_e32 v17, 3, v20
	s_mov_b32 s17, exec_lo
	v_cmpx_gt_u32_e32 8, v20
; %bb.278:                              ;   in Loop: Header=BB316_222 Depth=1
	v_ffbh_u32_e32 v17, v9
	v_min_u32_e32 v17, 32, v17
	v_subrev_nc_u32_e32 v20, 28, v17
	v_sub_nc_u32_e32 v17, 29, v17
	v_lshlrev_b64 v[40:41], v20, v[9:10]
	v_and_b32_e32 v9, 7, v40
; %bb.279:                              ;   in Loop: Header=BB316_222 Depth=1
	s_or_b32 exec_lo, exec_lo, s17
	v_lshlrev_b32_sdwa v18, v32, v18 dst_sel:DWORD dst_unused:UNUSED_PAD src0_sel:DWORD src1_sel:BYTE_3
	v_lshlrev_b32_e32 v9, 20, v9
	v_lshl_add_u32 v17, v17, 23, 0x3c000000
	v_and_b32_e32 v18, 0x80000000, v18
	v_or3_b32 v9, v9, v18, v17
.LBB316_280:                            ;   in Loop: Header=BB316_222 Depth=1
	s_or_b32 exec_lo, exec_lo, s16
.LBB316_281:                            ;   in Loop: Header=BB316_222 Depth=1
	s_or_b32 exec_lo, exec_lo, s15
.LBB316_282:                            ;   in Loop: Header=BB316_222 Depth=1
	s_or_b32 exec_lo, exec_lo, s0
	s_waitcnt lgkmcnt(0)
	v_mul_f32_e32 v17, s5, v19
	v_mul_f32_e32 v18, s5, v37
	;; [unrolled: 1-line block ×5, first 2 shown]
	v_bfe_u32 v20, v17, 16, 1
	v_or_b32_e32 v35, 0x400000, v17
	v_bfe_u32 v37, v18, 16, 1
	v_cmp_u_f32_e64 s0, v17, v17
	v_or_b32_e32 v40, 0x400000, v18
	v_add3_u32 v20, v20, v17, 0x7fff
	v_bfe_u32 v41, v19, 16, 1
	v_add3_u32 v37, v37, v18, 0x7fff
	v_or_b32_e32 v43, 0x400000, v19
	v_add_nc_u32_e32 v42, -7, v26
	v_cndmask_b32_e64 v17, v20, v35, s0
	v_cmp_u_f32_e64 s0, v18, v18
	v_bfe_u32 v20, v38, 16, 1
	v_add3_u32 v41, v41, v19, 0x7fff
	v_cmp_eq_u32_e32 vcc_lo, s13, v33
	v_lshrrev_b32_e32 v35, 16, v17
	v_cndmask_b32_e64 v18, v37, v40, s0
	v_cmp_u_f32_e64 s0, v19, v19
	v_mul_f32_e32 v19, s5, v34
	v_add3_u32 v20, v20, v38, 0x7fff
	v_or_b32_e32 v40, 0x400000, v38
	v_lshrrev_b32_e32 v34, 16, v18
	v_cndmask_b32_e64 v17, v41, v43, s0
	v_cmp_u_f32_e64 s0, v38, v38
	v_or_b32_e32 v38, 0x400000, v19
	v_or_b32_e32 v43, 0x400000, v9
	v_add_nc_u32_e32 v48, -6, v26
	v_lshrrev_b32_e32 v37, 16, v17
	v_bfe_u32 v17, v19, 16, 1
	v_cndmask_b32_e64 v18, v20, v40, s0
	v_mul_f32_e32 v20, s5, v36
	v_mul_f32_e32 v36, s5, v39
	v_cmp_u_f32_e64 s0, v19, v19
	v_add3_u32 v17, v17, v19, 0x7fff
	v_bfe_u32 v19, v9, 16, 1
	v_bfe_u32 v39, v20, 16, 1
	;; [unrolled: 1-line block ×3, first 2 shown]
	v_or_b32_e32 v41, 0x400000, v36
	v_cndmask_b32_e64 v17, v17, v38, s0
	v_cmp_u_f32_e64 s0, v20, v20
	v_add3_u32 v38, v39, v20, 0x7fff
	v_or_b32_e32 v39, 0x400000, v20
	v_add3_u32 v40, v40, v36, 0x7fff
	v_add3_u32 v19, v19, v9, 0x7fff
	v_add_nc_u32_e32 v47, -5, v26
	v_add_nc_u32_e32 v46, -4, v26
	v_cndmask_b32_e64 v20, v38, v39, s0
	v_cmp_u_f32_e64 s0, v36, v36
	v_lshrrev_b32_e32 v39, 16, v18
	v_add_nc_u32_e32 v45, -3, v26
	v_add_nc_u32_e32 v44, -2, v26
	v_cndmask_b32_e64 v36, v40, v41, s0
	v_cmp_u_f32_e64 s0, v9, v9
	v_lshrrev_b32_e32 v41, 16, v17
	v_lshrrev_b32_e32 v40, 16, v20
	;; [unrolled: 1-line block ×3, first 2 shown]
	v_cndmask_b32_e64 v9, v19, v43, s0
	v_add_nc_u32_e32 v43, -1, v26
	v_lshrrev_b32_e32 v38, 16, v9
	s_and_saveexec_b32 s15, vcc_lo
	s_cbranch_execz .LBB316_284
; %bb.283:                              ;   in Loop: Header=BB316_222 Depth=1
	v_cmp_gt_i32_e64 s0, s11, v42
	v_cndmask_b32_e64 v40, 0, v40, s0
	v_cmp_gt_i32_e64 s0, s11, v48
	v_cndmask_b32_e64 v41, 0, v41, s0
	;; [unrolled: 2-line block ×8, first 2 shown]
.LBB316_284:                            ;   in Loop: Header=BB316_222 Depth=1
	s_or_b32 exec_lo, exec_lo, s15
	global_load_dwordx2 v[17:18], v[15:16], off offset:256
	v_mov_b32_e32 v50, 0
	v_mov_b32_e32 v49, 0
	s_waitcnt vmcnt(0)
	v_cmp_ne_u16_sdwa s0, v17, v10 src0_sel:BYTE_0 src1_sel:DWORD
	s_and_saveexec_b32 s15, s0
	s_cbranch_execz .LBB316_290
; %bb.285:                              ;   in Loop: Header=BB316_222 Depth=1
	v_cmp_ne_u16_sdwa s0, v17, v28 src0_sel:BYTE_0 src1_sel:DWORD
	v_bfrev_b32_e32 v49, 1
	s_and_saveexec_b32 s16, s0
	s_cbranch_execz .LBB316_289
; %bb.286:                              ;   in Loop: Header=BB316_222 Depth=1
	v_and_b32_e32 v9, 0x7f, v17
	v_mov_b32_e32 v49, 0x7f800001
	s_mov_b32 s17, exec_lo
	v_cmpx_ne_u32_e32 0x7f, v9
	s_cbranch_execz .LBB316_288
; %bb.287:                              ;   in Loop: Header=BB316_222 Depth=1
	v_and_b32_e32 v19, 7, v17
	v_lshrrev_b32_e32 v20, 3, v9
	v_cmp_gt_u32_e64 s0, 8, v9
	v_ffbh_u32_e32 v19, v19
	v_min_u32_e32 v19, 32, v19
	v_subrev_nc_u32_e32 v49, 28, v19
	v_sub_nc_u32_e32 v19, 29, v19
	v_cndmask_b32_e64 v9, v20, v19, s0
	v_cndmask_b32_e64 v19, 0, v49, s0
	v_lshl_add_u32 v9, v9, 23, 0x3c000000
	v_lshlrev_b64 v[19:20], v19, v[17:18]
	v_lshlrev_b32_e32 v20, 24, v17
	v_lshlrev_b32_e32 v19, 20, v19
	v_and_b32_e32 v20, 0x80000000, v20
	v_and_b32_e32 v19, 0x700000, v19
	v_or3_b32 v49, v19, v20, v9
.LBB316_288:                            ;   in Loop: Header=BB316_222 Depth=1
	s_or_b32 exec_lo, exec_lo, s17
.LBB316_289:                            ;   in Loop: Header=BB316_222 Depth=1
	s_or_b32 exec_lo, exec_lo, s16
.LBB316_290:                            ;   in Loop: Header=BB316_222 Depth=1
	s_or_b32 exec_lo, exec_lo, s15
	v_cmp_ne_u16_sdwa s0, v17, v10 src0_sel:BYTE_1 src1_sel:DWORD
	s_and_saveexec_b32 s15, s0
	s_cbranch_execz .LBB316_298
; %bb.291:                              ;   in Loop: Header=BB316_222 Depth=1
	v_cmp_ne_u16_sdwa s0, v17, v28 src0_sel:BYTE_1 src1_sel:DWORD
	v_bfrev_b32_e32 v50, 1
	s_and_saveexec_b32 s16, s0
	s_cbranch_execz .LBB316_297
; %bb.292:                              ;   in Loop: Header=BB316_222 Depth=1
	v_and_b32_sdwa v9, v29, v17 dst_sel:DWORD dst_unused:UNUSED_PAD src0_sel:DWORD src1_sel:BYTE_1
	v_mov_b32_e32 v50, 0x7f800001
	s_mov_b32 s17, exec_lo
	v_and_b32_e32 v20, 0x7f, v9
	v_cmpx_ne_u32_e32 0x7f, v20
	s_cbranch_execz .LBB316_296
; %bb.293:                              ;   in Loop: Header=BB316_222 Depth=1
	v_and_b32_e32 v9, 7, v9
	v_lshrrev_b32_e32 v19, 3, v20
	s_mov_b32 s18, exec_lo
	v_cmpx_gt_u32_e32 8, v20
; %bb.294:                              ;   in Loop: Header=BB316_222 Depth=1
	v_ffbh_u32_e32 v19, v9
	v_min_u32_e32 v19, 32, v19
	v_subrev_nc_u32_e32 v20, 28, v19
	v_sub_nc_u32_e32 v19, 29, v19
	v_lshlrev_b64 v[50:51], v20, v[9:10]
	v_and_b32_e32 v9, 7, v50
; %bb.295:                              ;   in Loop: Header=BB316_222 Depth=1
	s_or_b32 exec_lo, exec_lo, s18
	v_lshlrev_b32_e32 v20, 16, v17
	v_lshlrev_b32_e32 v9, 20, v9
	v_lshl_add_u32 v19, v19, 23, 0x3c000000
	v_and_b32_e32 v20, 0x80000000, v20
	v_or3_b32 v50, v9, v20, v19
.LBB316_296:                            ;   in Loop: Header=BB316_222 Depth=1
	s_or_b32 exec_lo, exec_lo, s17
.LBB316_297:                            ;   in Loop: Header=BB316_222 Depth=1
	s_or_b32 exec_lo, exec_lo, s16
.LBB316_298:                            ;   in Loop: Header=BB316_222 Depth=1
	s_or_b32 exec_lo, exec_lo, s15
	v_and_b32_sdwa v9, v17, v30 dst_sel:DWORD dst_unused:UNUSED_PAD src0_sel:WORD_1 src1_sel:DWORD
	v_mov_b32_e32 v52, 0
	v_mov_b32_e32 v51, 0
	s_mov_b32 s15, exec_lo
	v_cmpx_ne_u16_e32 0, v9
	s_cbranch_execz .LBB316_306
; %bb.299:                              ;   in Loop: Header=BB316_222 Depth=1
	v_bfrev_b32_e32 v51, 1
	s_mov_b32 s16, exec_lo
	v_cmpx_ne_u16_e32 0x80, v9
	s_cbranch_execz .LBB316_305
; %bb.300:                              ;   in Loop: Header=BB316_222 Depth=1
	v_bfe_u32 v20, v17, 16, 7
	v_mov_b32_e32 v51, 0x7f800001
	s_mov_b32 s17, exec_lo
	v_cmpx_ne_u32_e32 0x7f, v20
	s_cbranch_execz .LBB316_304
; %bb.301:                              ;   in Loop: Header=BB316_222 Depth=1
	v_and_b32_sdwa v9, v17, v31 dst_sel:DWORD dst_unused:UNUSED_PAD src0_sel:WORD_1 src1_sel:DWORD
	v_lshrrev_b32_e32 v19, 3, v20
	s_mov_b32 s18, exec_lo
	v_cmpx_gt_u32_e32 8, v20
; %bb.302:                              ;   in Loop: Header=BB316_222 Depth=1
	v_ffbh_u32_e32 v19, v9
	v_min_u32_e32 v19, 32, v19
	v_subrev_nc_u32_e32 v20, 28, v19
	v_sub_nc_u32_e32 v19, 29, v19
	v_lshlrev_b64 v[53:54], v20, v[9:10]
	v_and_b32_e32 v9, 7, v53
; %bb.303:                              ;   in Loop: Header=BB316_222 Depth=1
	s_or_b32 exec_lo, exec_lo, s18
	v_lshlrev_b32_sdwa v20, v32, v17 dst_sel:DWORD dst_unused:UNUSED_PAD src0_sel:DWORD src1_sel:WORD_1
	v_lshlrev_b32_e32 v9, 20, v9
	v_lshl_add_u32 v19, v19, 23, 0x3c000000
	v_and_b32_e32 v20, 0x80000000, v20
	v_or3_b32 v51, v9, v20, v19
.LBB316_304:                            ;   in Loop: Header=BB316_222 Depth=1
	s_or_b32 exec_lo, exec_lo, s17
.LBB316_305:                            ;   in Loop: Header=BB316_222 Depth=1
	s_or_b32 exec_lo, exec_lo, s16
.LBB316_306:                            ;   in Loop: Header=BB316_222 Depth=1
	s_or_b32 exec_lo, exec_lo, s15
	s_mov_b32 s15, exec_lo
	v_cmpx_lt_u32_e32 0xffffff, v17
	s_cbranch_execz .LBB316_314
; %bb.307:                              ;   in Loop: Header=BB316_222 Depth=1
	v_cmp_ne_u32_sdwa s0, v17, v28 src0_sel:BYTE_3 src1_sel:DWORD
	v_bfrev_b32_e32 v52, 1
	s_and_saveexec_b32 s16, s0
	s_cbranch_execz .LBB316_313
; %bb.308:                              ;   in Loop: Header=BB316_222 Depth=1
	v_bfe_u32 v20, v17, 24, 7
	v_mov_b32_e32 v52, 0x7f800001
	s_mov_b32 s17, exec_lo
	v_cmpx_ne_u32_e32 0x7f, v20
	s_cbranch_execz .LBB316_312
; %bb.309:                              ;   in Loop: Header=BB316_222 Depth=1
	v_and_b32_sdwa v9, v17, v31 dst_sel:DWORD dst_unused:UNUSED_PAD src0_sel:BYTE_3 src1_sel:DWORD
	v_lshrrev_b32_e32 v19, 3, v20
	s_mov_b32 s18, exec_lo
	v_cmpx_gt_u32_e32 8, v20
; %bb.310:                              ;   in Loop: Header=BB316_222 Depth=1
	v_ffbh_u32_e32 v19, v9
	v_min_u32_e32 v19, 32, v19
	v_subrev_nc_u32_e32 v20, 28, v19
	v_sub_nc_u32_e32 v19, 29, v19
	v_lshlrev_b64 v[52:53], v20, v[9:10]
	v_and_b32_e32 v9, 7, v52
; %bb.311:                              ;   in Loop: Header=BB316_222 Depth=1
	s_or_b32 exec_lo, exec_lo, s18
	v_lshlrev_b32_sdwa v20, v32, v17 dst_sel:DWORD dst_unused:UNUSED_PAD src0_sel:DWORD src1_sel:BYTE_3
	v_lshlrev_b32_e32 v9, 20, v9
	v_lshl_add_u32 v19, v19, 23, 0x3c000000
	v_and_b32_e32 v20, 0x80000000, v20
	v_or3_b32 v52, v9, v20, v19
.LBB316_312:                            ;   in Loop: Header=BB316_222 Depth=1
	s_or_b32 exec_lo, exec_lo, s17
.LBB316_313:                            ;   in Loop: Header=BB316_222 Depth=1
	s_or_b32 exec_lo, exec_lo, s16
.LBB316_314:                            ;   in Loop: Header=BB316_222 Depth=1
	s_or_b32 exec_lo, exec_lo, s15
	v_mov_b32_e32 v9, v18
	v_cmp_ne_u16_sdwa s0, v18, v10 src0_sel:BYTE_0 src1_sel:DWORD
	v_mov_b32_e32 v19, 0
	v_mov_b32_e32 v53, 0
	s_and_saveexec_b32 s15, s0
	s_cbranch_execz .LBB316_320
; %bb.315:                              ;   in Loop: Header=BB316_222 Depth=1
	v_cmp_ne_u16_sdwa s0, v18, v28 src0_sel:BYTE_0 src1_sel:DWORD
	v_bfrev_b32_e32 v53, 1
	s_and_saveexec_b32 s16, s0
	s_cbranch_execz .LBB316_319
; %bb.316:                              ;   in Loop: Header=BB316_222 Depth=1
	v_and_b32_e32 v20, 0x7f, v18
	v_mov_b32_e32 v53, 0x7f800001
	s_mov_b32 s17, exec_lo
	v_cmpx_ne_u32_e32 0x7f, v20
	s_cbranch_execz .LBB316_318
; %bb.317:                              ;   in Loop: Header=BB316_222 Depth=1
	v_and_b32_e32 v53, 7, v18
	v_lshrrev_b32_e32 v54, 3, v20
	v_cmp_gt_u32_e64 s0, 8, v20
	v_ffbh_u32_e32 v53, v53
	v_min_u32_e32 v53, 32, v53
	v_subrev_nc_u32_e32 v55, 28, v53
	v_sub_nc_u32_e32 v53, 29, v53
	v_cndmask_b32_e64 v20, v54, v53, s0
	v_cndmask_b32_e64 v53, 0, v55, s0
	v_lshl_add_u32 v20, v20, 23, 0x3c000000
	v_lshlrev_b64 v[53:54], v53, v[9:10]
	v_lshlrev_b32_e32 v54, 24, v9
	v_lshlrev_b32_e32 v53, 20, v53
	v_and_b32_e32 v54, 0x80000000, v54
	v_and_b32_e32 v53, 0x700000, v53
	v_or3_b32 v53, v53, v54, v20
.LBB316_318:                            ;   in Loop: Header=BB316_222 Depth=1
	s_or_b32 exec_lo, exec_lo, s17
.LBB316_319:                            ;   in Loop: Header=BB316_222 Depth=1
	s_or_b32 exec_lo, exec_lo, s16
.LBB316_320:                            ;   in Loop: Header=BB316_222 Depth=1
	s_or_b32 exec_lo, exec_lo, s15
	v_cmp_ne_u16_sdwa s0, v9, v10 src0_sel:BYTE_1 src1_sel:DWORD
	s_and_saveexec_b32 s15, s0
	s_cbranch_execz .LBB316_328
; %bb.321:                              ;   in Loop: Header=BB316_222 Depth=1
	v_cmp_ne_u16_sdwa s0, v9, v28 src0_sel:BYTE_1 src1_sel:DWORD
	v_bfrev_b32_e32 v19, 1
	s_and_saveexec_b32 s16, s0
	s_cbranch_execz .LBB316_327
; %bb.322:                              ;   in Loop: Header=BB316_222 Depth=1
	v_and_b32_sdwa v20, v29, v9 dst_sel:DWORD dst_unused:UNUSED_PAD src0_sel:DWORD src1_sel:BYTE_1
	v_mov_b32_e32 v19, 0x7f800001
	s_mov_b32 s17, exec_lo
	v_and_b32_e32 v55, 0x7f, v20
	v_cmpx_ne_u32_e32 0x7f, v55
	s_cbranch_execz .LBB316_326
; %bb.323:                              ;   in Loop: Header=BB316_222 Depth=1
	v_and_b32_e32 v19, 7, v20
	v_mov_b32_e32 v20, v10
	v_lshrrev_b32_e32 v54, 3, v55
	s_mov_b32 s18, exec_lo
	v_cmpx_gt_u32_e32 8, v55
; %bb.324:                              ;   in Loop: Header=BB316_222 Depth=1
	v_ffbh_u32_e32 v54, v19
	v_min_u32_e32 v54, 32, v54
	v_subrev_nc_u32_e32 v55, 28, v54
	v_sub_nc_u32_e32 v54, 29, v54
	v_lshlrev_b64 v[19:20], v55, v[19:20]
	v_and_b32_e32 v19, 7, v19
; %bb.325:                              ;   in Loop: Header=BB316_222 Depth=1
	s_or_b32 exec_lo, exec_lo, s18
	v_lshlrev_b32_e32 v9, 16, v9
	v_lshlrev_b32_e32 v19, 20, v19
	v_lshl_add_u32 v20, v54, 23, 0x3c000000
	v_and_b32_e32 v9, 0x80000000, v9
	v_or3_b32 v19, v19, v9, v20
.LBB316_326:                            ;   in Loop: Header=BB316_222 Depth=1
	s_or_b32 exec_lo, exec_lo, s17
.LBB316_327:                            ;   in Loop: Header=BB316_222 Depth=1
	s_or_b32 exec_lo, exec_lo, s16
.LBB316_328:                            ;   in Loop: Header=BB316_222 Depth=1
	s_or_b32 exec_lo, exec_lo, s15
	v_and_b32_sdwa v9, v18, v30 dst_sel:DWORD dst_unused:UNUSED_PAD src0_sel:WORD_1 src1_sel:DWORD
	v_mov_b32_e32 v54, 0
	v_mov_b32_e32 v55, 0
	s_mov_b32 s15, exec_lo
	v_cmpx_ne_u16_e32 0, v9
	s_cbranch_execz .LBB316_336
; %bb.329:                              ;   in Loop: Header=BB316_222 Depth=1
	v_bfrev_b32_e32 v55, 1
	s_mov_b32 s16, exec_lo
	v_cmpx_ne_u16_e32 0x80, v9
	s_cbranch_execz .LBB316_335
; %bb.330:                              ;   in Loop: Header=BB316_222 Depth=1
	v_bfe_u32 v56, v18, 16, 7
	v_mov_b32_e32 v55, 0x7f800001
	s_mov_b32 s17, exec_lo
	v_cmpx_ne_u32_e32 0x7f, v56
	s_cbranch_execz .LBB316_334
; %bb.331:                              ;   in Loop: Header=BB316_222 Depth=1
	v_and_b32_sdwa v9, v18, v31 dst_sel:DWORD dst_unused:UNUSED_PAD src0_sel:WORD_1 src1_sel:DWORD
	v_lshrrev_b32_e32 v20, 3, v56
	s_mov_b32 s18, exec_lo
	v_cmpx_gt_u32_e32 8, v56
; %bb.332:                              ;   in Loop: Header=BB316_222 Depth=1
	v_ffbh_u32_e32 v20, v9
	v_min_u32_e32 v20, 32, v20
	v_subrev_nc_u32_e32 v55, 28, v20
	v_sub_nc_u32_e32 v20, 29, v20
	v_lshlrev_b64 v[55:56], v55, v[9:10]
	v_and_b32_e32 v9, 7, v55
; %bb.333:                              ;   in Loop: Header=BB316_222 Depth=1
	s_or_b32 exec_lo, exec_lo, s18
	v_lshlrev_b32_sdwa v55, v32, v18 dst_sel:DWORD dst_unused:UNUSED_PAD src0_sel:DWORD src1_sel:WORD_1
	v_lshlrev_b32_e32 v9, 20, v9
	v_lshl_add_u32 v20, v20, 23, 0x3c000000
	v_and_b32_e32 v55, 0x80000000, v55
	v_or3_b32 v55, v9, v55, v20
.LBB316_334:                            ;   in Loop: Header=BB316_222 Depth=1
	s_or_b32 exec_lo, exec_lo, s17
.LBB316_335:                            ;   in Loop: Header=BB316_222 Depth=1
	s_or_b32 exec_lo, exec_lo, s16
.LBB316_336:                            ;   in Loop: Header=BB316_222 Depth=1
	s_or_b32 exec_lo, exec_lo, s15
	s_mov_b32 s15, exec_lo
	v_cmpx_lt_u64_e64 s[2:3], v[17:18]
	s_cbranch_execz .LBB316_344
; %bb.337:                              ;   in Loop: Header=BB316_222 Depth=1
	v_cmp_ne_u32_sdwa s0, v18, v28 src0_sel:BYTE_3 src1_sel:DWORD
	v_bfrev_b32_e32 v54, 1
	s_and_saveexec_b32 s16, s0
	s_cbranch_execz .LBB316_343
; %bb.338:                              ;   in Loop: Header=BB316_222 Depth=1
	v_bfe_u32 v20, v18, 24, 7
	v_mov_b32_e32 v54, 0x7f800001
	s_mov_b32 s17, exec_lo
	v_cmpx_ne_u32_e32 0x7f, v20
	s_cbranch_execz .LBB316_342
; %bb.339:                              ;   in Loop: Header=BB316_222 Depth=1
	v_and_b32_sdwa v9, v18, v31 dst_sel:DWORD dst_unused:UNUSED_PAD src0_sel:BYTE_3 src1_sel:DWORD
	v_lshrrev_b32_e32 v17, 3, v20
	s_mov_b32 s18, exec_lo
	v_cmpx_gt_u32_e32 8, v20
; %bb.340:                              ;   in Loop: Header=BB316_222 Depth=1
	v_ffbh_u32_e32 v17, v9
	v_min_u32_e32 v17, 32, v17
	v_subrev_nc_u32_e32 v20, 28, v17
	v_sub_nc_u32_e32 v17, 29, v17
	v_lshlrev_b64 v[56:57], v20, v[9:10]
	v_and_b32_e32 v9, 7, v56
; %bb.341:                              ;   in Loop: Header=BB316_222 Depth=1
	s_or_b32 exec_lo, exec_lo, s18
	v_lshlrev_b32_sdwa v18, v32, v18 dst_sel:DWORD dst_unused:UNUSED_PAD src0_sel:DWORD src1_sel:BYTE_3
	v_lshlrev_b32_e32 v9, 20, v9
	v_lshl_add_u32 v17, v17, 23, 0x3c000000
	v_and_b32_e32 v18, 0x80000000, v18
	v_or3_b32 v54, v9, v18, v17
.LBB316_342:                            ;   in Loop: Header=BB316_222 Depth=1
	s_or_b32 exec_lo, exec_lo, s17
.LBB316_343:                            ;   in Loop: Header=BB316_222 Depth=1
	s_or_b32 exec_lo, exec_lo, s16
.LBB316_344:                            ;   in Loop: Header=BB316_222 Depth=1
	s_or_b32 exec_lo, exec_lo, s15
	v_mul_f32_e32 v9, s5, v19
	v_mul_f32_e32 v17, s5, v53
	;; [unrolled: 1-line block ×5, first 2 shown]
	v_bfe_u32 v19, v9, 16, 1
	v_or_b32_e32 v20, 0x400000, v9
	v_bfe_u32 v51, v17, 16, 1
	v_cmp_u_f32_e64 s0, v9, v9
	v_or_b32_e32 v53, 0x400000, v17
	v_add3_u32 v19, v19, v9, 0x7fff
	v_bfe_u32 v56, v18, 16, 1
	v_add3_u32 v51, v51, v17, 0x7fff
	v_or_b32_e32 v57, 0x400000, v18
	v_bfe_u32 v58, v52, 16, 1
	v_cndmask_b32_e64 v9, v19, v20, s0
	v_cmp_u_f32_e64 s0, v17, v17
	v_add3_u32 v56, v56, v18, 0x7fff
	v_lshrrev_b32_e32 v20, 16, v9
	v_cndmask_b32_e64 v17, v51, v53, s0
	v_cmp_u_f32_e64 s0, v18, v18
	v_mul_f32_e32 v9, s5, v50
	v_add3_u32 v50, v58, v52, 0x7fff
	v_or_b32_e32 v53, 0x400000, v52
	v_lshrrev_b32_e32 v19, 16, v17
	v_cndmask_b32_e64 v18, v56, v57, s0
	v_bfe_u32 v17, v9, 16, 1
	v_cmp_u_f32_e64 s0, v52, v52
	v_or_b32_e32 v52, 0x400000, v9
	v_lshrrev_b32_e32 v51, 16, v18
	v_add3_u32 v17, v17, v9, 0x7fff
	v_cndmask_b32_e64 v18, v50, v53, s0
	v_mul_f32_e32 v50, s5, v55
	v_mul_f32_e32 v53, s5, v54
	v_bfe_u32 v54, v49, 16, 1
	v_cmp_u_f32_e64 s0, v9, v9
	v_bfe_u32 v55, v50, 16, 1
	v_or_b32_e32 v56, 0x400000, v50
	v_or_b32_e32 v57, 0x400000, v53
	v_cndmask_b32_e64 v9, v17, v52, s0
	v_add3_u32 v52, v54, v49, 0x7fff
	v_or_b32_e32 v54, 0x400000, v49
	v_cmp_u_f32_e64 s0, v49, v49
	v_bfe_u32 v17, v53, 16, 1
	v_add3_u32 v55, v55, v50, 0x7fff
	v_cndmask_b32_e64 v49, v52, v54, s0
	v_cmp_u_f32_e64 s0, v50, v50
	v_add3_u32 v17, v17, v53, 0x7fff
	v_lshrrev_b32_e32 v52, 16, v18
	v_lshrrev_b32_e32 v54, 16, v9
	v_cndmask_b32_e64 v50, v55, v56, s0
	v_cmp_u_f32_e64 s0, v53, v53
	v_lshrrev_b32_e32 v53, 16, v49
	v_lshrrev_b32_e32 v49, 16, v50
	v_cndmask_b32_e64 v17, v17, v57, s0
	v_lshrrev_b32_e32 v50, 16, v17
	s_and_saveexec_b32 s15, vcc_lo
	s_cbranch_execz .LBB316_346
; %bb.345:                              ;   in Loop: Header=BB316_222 Depth=1
	v_cmp_gt_i32_e64 s0, s11, v42
	v_cndmask_b32_e64 v53, 0, v53, s0
	v_cmp_gt_i32_e64 s0, s11, v48
	v_cndmask_b32_e64 v54, 0, v54, s0
	v_cmp_gt_i32_e64 s0, s11, v47
	v_cndmask_b32_e64 v52, 0, v52, s0
	v_cmp_gt_i32_e64 s0, s11, v46
	v_cndmask_b32_e64 v51, 0, v51, s0
	v_cmp_gt_i32_e64 s0, s11, v45
	v_cndmask_b32_e64 v19, 0, v19, s0
	v_cmp_gt_i32_e64 s0, s11, v44
	v_cndmask_b32_e64 v20, 0, v20, s0
	v_cmp_gt_i32_e64 s0, s11, v43
	v_cndmask_b32_e64 v49, 0, v49, s0
	v_cmp_gt_i32_e64 s0, s11, v26
	v_cndmask_b32_e64 v50, 0, v50, s0
.LBB316_346:                            ;   in Loop: Header=BB316_222 Depth=1
	s_or_b32 exec_lo, exec_lo, s15
	global_load_dwordx2 v[15:16], v[15:16], off offset:512
	v_mov_b32_e32 v56, 0
	v_mov_b32_e32 v55, 0
	s_waitcnt vmcnt(0)
	v_cmp_ne_u16_sdwa s0, v15, v10 src0_sel:BYTE_0 src1_sel:DWORD
	s_and_saveexec_b32 s15, s0
	s_cbranch_execz .LBB316_352
; %bb.347:                              ;   in Loop: Header=BB316_222 Depth=1
	v_cmp_ne_u16_sdwa s0, v15, v28 src0_sel:BYTE_0 src1_sel:DWORD
	v_bfrev_b32_e32 v55, 1
	s_and_saveexec_b32 s16, s0
	s_cbranch_execz .LBB316_351
; %bb.348:                              ;   in Loop: Header=BB316_222 Depth=1
	v_and_b32_e32 v9, 0x7f, v15
	v_mov_b32_e32 v55, 0x7f800001
	s_mov_b32 s17, exec_lo
	v_cmpx_ne_u32_e32 0x7f, v9
	s_cbranch_execz .LBB316_350
; %bb.349:                              ;   in Loop: Header=BB316_222 Depth=1
	v_and_b32_e32 v17, 7, v15
	v_lshrrev_b32_e32 v18, 3, v9
	v_cmp_gt_u32_e64 s0, 8, v9
	v_ffbh_u32_e32 v17, v17
	v_min_u32_e32 v17, 32, v17
	v_subrev_nc_u32_e32 v55, 28, v17
	v_sub_nc_u32_e32 v17, 29, v17
	v_cndmask_b32_e64 v9, v18, v17, s0
	v_cndmask_b32_e64 v17, 0, v55, s0
	v_lshl_add_u32 v9, v9, 23, 0x3c000000
	v_lshlrev_b64 v[17:18], v17, v[15:16]
	v_lshlrev_b32_e32 v18, 24, v15
	v_lshlrev_b32_e32 v17, 20, v17
	v_and_b32_e32 v18, 0x80000000, v18
	v_and_b32_e32 v17, 0x700000, v17
	v_or3_b32 v55, v17, v18, v9
.LBB316_350:                            ;   in Loop: Header=BB316_222 Depth=1
	s_or_b32 exec_lo, exec_lo, s17
.LBB316_351:                            ;   in Loop: Header=BB316_222 Depth=1
	s_or_b32 exec_lo, exec_lo, s16
.LBB316_352:                            ;   in Loop: Header=BB316_222 Depth=1
	s_or_b32 exec_lo, exec_lo, s15
	v_cmp_ne_u16_sdwa s0, v15, v10 src0_sel:BYTE_1 src1_sel:DWORD
	s_and_saveexec_b32 s15, s0
	s_cbranch_execz .LBB316_360
; %bb.353:                              ;   in Loop: Header=BB316_222 Depth=1
	v_cmp_ne_u16_sdwa s0, v15, v28 src0_sel:BYTE_1 src1_sel:DWORD
	v_bfrev_b32_e32 v56, 1
	s_and_saveexec_b32 s16, s0
	s_cbranch_execz .LBB316_359
; %bb.354:                              ;   in Loop: Header=BB316_222 Depth=1
	v_and_b32_sdwa v9, v29, v15 dst_sel:DWORD dst_unused:UNUSED_PAD src0_sel:DWORD src1_sel:BYTE_1
	v_mov_b32_e32 v56, 0x7f800001
	s_mov_b32 s17, exec_lo
	v_and_b32_e32 v18, 0x7f, v9
	v_cmpx_ne_u32_e32 0x7f, v18
	s_cbranch_execz .LBB316_358
; %bb.355:                              ;   in Loop: Header=BB316_222 Depth=1
	v_and_b32_e32 v9, 7, v9
	v_lshrrev_b32_e32 v17, 3, v18
	s_mov_b32 s18, exec_lo
	v_cmpx_gt_u32_e32 8, v18
; %bb.356:                              ;   in Loop: Header=BB316_222 Depth=1
	v_ffbh_u32_e32 v17, v9
	v_min_u32_e32 v17, 32, v17
	v_subrev_nc_u32_e32 v18, 28, v17
	v_sub_nc_u32_e32 v17, 29, v17
	v_lshlrev_b64 v[56:57], v18, v[9:10]
	v_and_b32_e32 v9, 7, v56
; %bb.357:                              ;   in Loop: Header=BB316_222 Depth=1
	s_or_b32 exec_lo, exec_lo, s18
	v_lshlrev_b32_e32 v18, 16, v15
	v_lshlrev_b32_e32 v9, 20, v9
	v_lshl_add_u32 v17, v17, 23, 0x3c000000
	v_and_b32_e32 v18, 0x80000000, v18
	v_or3_b32 v56, v9, v18, v17
.LBB316_358:                            ;   in Loop: Header=BB316_222 Depth=1
	s_or_b32 exec_lo, exec_lo, s17
.LBB316_359:                            ;   in Loop: Header=BB316_222 Depth=1
	s_or_b32 exec_lo, exec_lo, s16
.LBB316_360:                            ;   in Loop: Header=BB316_222 Depth=1
	s_or_b32 exec_lo, exec_lo, s15
	v_and_b32_sdwa v9, v15, v30 dst_sel:DWORD dst_unused:UNUSED_PAD src0_sel:WORD_1 src1_sel:DWORD
	v_mov_b32_e32 v58, 0
	v_mov_b32_e32 v57, 0
	s_mov_b32 s15, exec_lo
	v_cmpx_ne_u16_e32 0, v9
	s_cbranch_execz .LBB316_368
; %bb.361:                              ;   in Loop: Header=BB316_222 Depth=1
	v_bfrev_b32_e32 v57, 1
	s_mov_b32 s16, exec_lo
	v_cmpx_ne_u16_e32 0x80, v9
	s_cbranch_execz .LBB316_367
; %bb.362:                              ;   in Loop: Header=BB316_222 Depth=1
	v_bfe_u32 v18, v15, 16, 7
	v_mov_b32_e32 v57, 0x7f800001
	s_mov_b32 s17, exec_lo
	v_cmpx_ne_u32_e32 0x7f, v18
	s_cbranch_execz .LBB316_366
; %bb.363:                              ;   in Loop: Header=BB316_222 Depth=1
	v_and_b32_sdwa v9, v15, v31 dst_sel:DWORD dst_unused:UNUSED_PAD src0_sel:WORD_1 src1_sel:DWORD
	v_lshrrev_b32_e32 v17, 3, v18
	s_mov_b32 s18, exec_lo
	v_cmpx_gt_u32_e32 8, v18
; %bb.364:                              ;   in Loop: Header=BB316_222 Depth=1
	v_ffbh_u32_e32 v17, v9
	v_min_u32_e32 v17, 32, v17
	v_subrev_nc_u32_e32 v18, 28, v17
	v_sub_nc_u32_e32 v17, 29, v17
	v_lshlrev_b64 v[59:60], v18, v[9:10]
	v_and_b32_e32 v9, 7, v59
; %bb.365:                              ;   in Loop: Header=BB316_222 Depth=1
	s_or_b32 exec_lo, exec_lo, s18
	v_lshlrev_b32_sdwa v18, v32, v15 dst_sel:DWORD dst_unused:UNUSED_PAD src0_sel:DWORD src1_sel:WORD_1
	v_lshlrev_b32_e32 v9, 20, v9
	v_lshl_add_u32 v17, v17, 23, 0x3c000000
	v_and_b32_e32 v18, 0x80000000, v18
	v_or3_b32 v57, v9, v18, v17
.LBB316_366:                            ;   in Loop: Header=BB316_222 Depth=1
	s_or_b32 exec_lo, exec_lo, s17
.LBB316_367:                            ;   in Loop: Header=BB316_222 Depth=1
	s_or_b32 exec_lo, exec_lo, s16
.LBB316_368:                            ;   in Loop: Header=BB316_222 Depth=1
	s_or_b32 exec_lo, exec_lo, s15
	s_mov_b32 s15, exec_lo
	v_cmpx_lt_u32_e32 0xffffff, v15
	s_cbranch_execz .LBB316_376
; %bb.369:                              ;   in Loop: Header=BB316_222 Depth=1
	v_cmp_ne_u32_sdwa s0, v15, v28 src0_sel:BYTE_3 src1_sel:DWORD
	v_bfrev_b32_e32 v58, 1
	s_and_saveexec_b32 s16, s0
	s_cbranch_execz .LBB316_375
; %bb.370:                              ;   in Loop: Header=BB316_222 Depth=1
	v_bfe_u32 v18, v15, 24, 7
	v_mov_b32_e32 v58, 0x7f800001
	s_mov_b32 s17, exec_lo
	v_cmpx_ne_u32_e32 0x7f, v18
	s_cbranch_execz .LBB316_374
; %bb.371:                              ;   in Loop: Header=BB316_222 Depth=1
	v_and_b32_sdwa v9, v15, v31 dst_sel:DWORD dst_unused:UNUSED_PAD src0_sel:BYTE_3 src1_sel:DWORD
	v_lshrrev_b32_e32 v17, 3, v18
	s_mov_b32 s18, exec_lo
	v_cmpx_gt_u32_e32 8, v18
; %bb.372:                              ;   in Loop: Header=BB316_222 Depth=1
	v_ffbh_u32_e32 v17, v9
	v_min_u32_e32 v17, 32, v17
	v_subrev_nc_u32_e32 v18, 28, v17
	v_sub_nc_u32_e32 v17, 29, v17
	v_lshlrev_b64 v[58:59], v18, v[9:10]
	v_and_b32_e32 v9, 7, v58
; %bb.373:                              ;   in Loop: Header=BB316_222 Depth=1
	s_or_b32 exec_lo, exec_lo, s18
	v_lshlrev_b32_sdwa v18, v32, v15 dst_sel:DWORD dst_unused:UNUSED_PAD src0_sel:DWORD src1_sel:BYTE_3
	v_lshlrev_b32_e32 v9, 20, v9
	v_lshl_add_u32 v17, v17, 23, 0x3c000000
	v_and_b32_e32 v18, 0x80000000, v18
	v_or3_b32 v58, v9, v18, v17
.LBB316_374:                            ;   in Loop: Header=BB316_222 Depth=1
	s_or_b32 exec_lo, exec_lo, s17
.LBB316_375:                            ;   in Loop: Header=BB316_222 Depth=1
	s_or_b32 exec_lo, exec_lo, s16
.LBB316_376:                            ;   in Loop: Header=BB316_222 Depth=1
	s_or_b32 exec_lo, exec_lo, s15
	v_mov_b32_e32 v9, v16
	v_cmp_ne_u16_sdwa s0, v16, v10 src0_sel:BYTE_0 src1_sel:DWORD
	v_mov_b32_e32 v17, 0
	v_mov_b32_e32 v59, 0
	s_and_saveexec_b32 s15, s0
	s_cbranch_execz .LBB316_382
; %bb.377:                              ;   in Loop: Header=BB316_222 Depth=1
	v_cmp_ne_u16_sdwa s0, v16, v28 src0_sel:BYTE_0 src1_sel:DWORD
	v_bfrev_b32_e32 v59, 1
	s_and_saveexec_b32 s16, s0
	s_cbranch_execz .LBB316_381
; %bb.378:                              ;   in Loop: Header=BB316_222 Depth=1
	v_and_b32_e32 v18, 0x7f, v16
	v_mov_b32_e32 v59, 0x7f800001
	s_mov_b32 s17, exec_lo
	v_cmpx_ne_u32_e32 0x7f, v18
	s_cbranch_execz .LBB316_380
; %bb.379:                              ;   in Loop: Header=BB316_222 Depth=1
	v_and_b32_e32 v59, 7, v16
	v_lshrrev_b32_e32 v60, 3, v18
	v_cmp_gt_u32_e64 s0, 8, v18
	v_ffbh_u32_e32 v59, v59
	v_min_u32_e32 v59, 32, v59
	v_subrev_nc_u32_e32 v61, 28, v59
	v_sub_nc_u32_e32 v59, 29, v59
	v_cndmask_b32_e64 v18, v60, v59, s0
	v_cndmask_b32_e64 v59, 0, v61, s0
	v_lshl_add_u32 v18, v18, 23, 0x3c000000
	v_lshlrev_b64 v[59:60], v59, v[9:10]
	v_lshlrev_b32_e32 v60, 24, v9
	v_lshlrev_b32_e32 v59, 20, v59
	v_and_b32_e32 v60, 0x80000000, v60
	v_and_b32_e32 v59, 0x700000, v59
	v_or3_b32 v59, v59, v60, v18
.LBB316_380:                            ;   in Loop: Header=BB316_222 Depth=1
	s_or_b32 exec_lo, exec_lo, s17
.LBB316_381:                            ;   in Loop: Header=BB316_222 Depth=1
	s_or_b32 exec_lo, exec_lo, s16
.LBB316_382:                            ;   in Loop: Header=BB316_222 Depth=1
	s_or_b32 exec_lo, exec_lo, s15
	v_cmp_ne_u16_sdwa s0, v9, v10 src0_sel:BYTE_1 src1_sel:DWORD
	s_and_saveexec_b32 s15, s0
	s_cbranch_execz .LBB316_390
; %bb.383:                              ;   in Loop: Header=BB316_222 Depth=1
	v_cmp_ne_u16_sdwa s0, v9, v28 src0_sel:BYTE_1 src1_sel:DWORD
	v_bfrev_b32_e32 v17, 1
	s_and_saveexec_b32 s16, s0
	s_cbranch_execz .LBB316_389
; %bb.384:                              ;   in Loop: Header=BB316_222 Depth=1
	v_and_b32_sdwa v18, v29, v9 dst_sel:DWORD dst_unused:UNUSED_PAD src0_sel:DWORD src1_sel:BYTE_1
	v_mov_b32_e32 v17, 0x7f800001
	s_mov_b32 s17, exec_lo
	v_and_b32_e32 v61, 0x7f, v18
	v_cmpx_ne_u32_e32 0x7f, v61
	s_cbranch_execz .LBB316_388
; %bb.385:                              ;   in Loop: Header=BB316_222 Depth=1
	v_and_b32_e32 v17, 7, v18
	v_mov_b32_e32 v18, v10
	v_lshrrev_b32_e32 v60, 3, v61
	s_mov_b32 s18, exec_lo
	v_cmpx_gt_u32_e32 8, v61
; %bb.386:                              ;   in Loop: Header=BB316_222 Depth=1
	v_ffbh_u32_e32 v60, v17
	v_min_u32_e32 v60, 32, v60
	v_subrev_nc_u32_e32 v61, 28, v60
	v_sub_nc_u32_e32 v60, 29, v60
	v_lshlrev_b64 v[17:18], v61, v[17:18]
	v_and_b32_e32 v17, 7, v17
; %bb.387:                              ;   in Loop: Header=BB316_222 Depth=1
	s_or_b32 exec_lo, exec_lo, s18
	v_lshlrev_b32_e32 v9, 16, v9
	v_lshlrev_b32_e32 v17, 20, v17
	v_lshl_add_u32 v18, v60, 23, 0x3c000000
	v_and_b32_e32 v9, 0x80000000, v9
	v_or3_b32 v17, v17, v9, v18
.LBB316_388:                            ;   in Loop: Header=BB316_222 Depth=1
	s_or_b32 exec_lo, exec_lo, s17
.LBB316_389:                            ;   in Loop: Header=BB316_222 Depth=1
	s_or_b32 exec_lo, exec_lo, s16
.LBB316_390:                            ;   in Loop: Header=BB316_222 Depth=1
	s_or_b32 exec_lo, exec_lo, s15
	v_and_b32_sdwa v9, v16, v30 dst_sel:DWORD dst_unused:UNUSED_PAD src0_sel:WORD_1 src1_sel:DWORD
	v_mov_b32_e32 v18, 0
	v_mov_b32_e32 v60, 0
	s_mov_b32 s15, exec_lo
	v_cmpx_ne_u16_e32 0, v9
	s_cbranch_execz .LBB316_398
; %bb.391:                              ;   in Loop: Header=BB316_222 Depth=1
	v_bfrev_b32_e32 v60, 1
	s_mov_b32 s16, exec_lo
	v_cmpx_ne_u16_e32 0x80, v9
	s_cbranch_execz .LBB316_397
; %bb.392:                              ;   in Loop: Header=BB316_222 Depth=1
	v_bfe_u32 v61, v16, 16, 7
	v_mov_b32_e32 v60, 0x7f800001
	s_mov_b32 s17, exec_lo
	v_cmpx_ne_u32_e32 0x7f, v61
	s_cbranch_execz .LBB316_396
; %bb.393:                              ;   in Loop: Header=BB316_222 Depth=1
	v_and_b32_sdwa v9, v16, v31 dst_sel:DWORD dst_unused:UNUSED_PAD src0_sel:WORD_1 src1_sel:DWORD
	v_lshrrev_b32_e32 v60, 3, v61
	s_mov_b32 s18, exec_lo
	v_cmpx_gt_u32_e32 8, v61
; %bb.394:                              ;   in Loop: Header=BB316_222 Depth=1
	v_ffbh_u32_e32 v60, v9
	v_min_u32_e32 v60, 32, v60
	v_subrev_nc_u32_e32 v61, 28, v60
	v_sub_nc_u32_e32 v60, 29, v60
	v_lshlrev_b64 v[61:62], v61, v[9:10]
	v_and_b32_e32 v9, 7, v61
; %bb.395:                              ;   in Loop: Header=BB316_222 Depth=1
	s_or_b32 exec_lo, exec_lo, s18
	v_lshlrev_b32_sdwa v61, v32, v16 dst_sel:DWORD dst_unused:UNUSED_PAD src0_sel:DWORD src1_sel:WORD_1
	v_lshlrev_b32_e32 v9, 20, v9
	v_lshl_add_u32 v60, v60, 23, 0x3c000000
	v_and_b32_e32 v61, 0x80000000, v61
	v_or3_b32 v60, v9, v61, v60
.LBB316_396:                            ;   in Loop: Header=BB316_222 Depth=1
	s_or_b32 exec_lo, exec_lo, s17
.LBB316_397:                            ;   in Loop: Header=BB316_222 Depth=1
	s_or_b32 exec_lo, exec_lo, s16
.LBB316_398:                            ;   in Loop: Header=BB316_222 Depth=1
	s_or_b32 exec_lo, exec_lo, s15
	s_mov_b32 s15, exec_lo
	v_cmpx_lt_u64_e64 s[2:3], v[15:16]
	s_cbranch_execz .LBB316_406
; %bb.399:                              ;   in Loop: Header=BB316_222 Depth=1
	v_cmp_ne_u32_sdwa s0, v16, v28 src0_sel:BYTE_3 src1_sel:DWORD
	v_bfrev_b32_e32 v18, 1
	s_and_saveexec_b32 s16, s0
	s_cbranch_execz .LBB316_405
; %bb.400:                              ;   in Loop: Header=BB316_222 Depth=1
	v_bfe_u32 v61, v16, 24, 7
	v_mov_b32_e32 v18, 0x7f800001
	s_mov_b32 s17, exec_lo
	v_cmpx_ne_u32_e32 0x7f, v61
	s_cbranch_execz .LBB316_404
; %bb.401:                              ;   in Loop: Header=BB316_222 Depth=1
	v_and_b32_sdwa v9, v16, v31 dst_sel:DWORD dst_unused:UNUSED_PAD src0_sel:BYTE_3 src1_sel:DWORD
	v_lshrrev_b32_e32 v15, 3, v61
	s_mov_b32 s18, exec_lo
	v_cmpx_gt_u32_e32 8, v61
; %bb.402:                              ;   in Loop: Header=BB316_222 Depth=1
	v_ffbh_u32_e32 v15, v9
	v_min_u32_e32 v15, 32, v15
	v_subrev_nc_u32_e32 v18, 28, v15
	v_sub_nc_u32_e32 v15, 29, v15
	v_lshlrev_b64 v[61:62], v18, v[9:10]
	v_and_b32_e32 v9, 7, v61
; %bb.403:                              ;   in Loop: Header=BB316_222 Depth=1
	s_or_b32 exec_lo, exec_lo, s18
	v_lshlrev_b32_sdwa v16, v32, v16 dst_sel:DWORD dst_unused:UNUSED_PAD src0_sel:DWORD src1_sel:BYTE_3
	v_lshlrev_b32_e32 v9, 20, v9
	v_lshl_add_u32 v15, v15, 23, 0x3c000000
	v_and_b32_e32 v16, 0x80000000, v16
	v_or3_b32 v18, v9, v16, v15
.LBB316_404:                            ;   in Loop: Header=BB316_222 Depth=1
	s_or_b32 exec_lo, exec_lo, s17
.LBB316_405:                            ;   in Loop: Header=BB316_222 Depth=1
	s_or_b32 exec_lo, exec_lo, s16
.LBB316_406:                            ;   in Loop: Header=BB316_222 Depth=1
	s_or_b32 exec_lo, exec_lo, s15
	v_mul_f32_e32 v9, s5, v17
	v_mul_f32_e32 v15, s5, v59
	;; [unrolled: 1-line block ×5, first 2 shown]
	v_bfe_u32 v57, v9, 16, 1
	v_or_b32_e32 v58, 0x400000, v9
	v_bfe_u32 v59, v15, 16, 1
	v_cmp_u_f32_e64 s0, v9, v9
	v_or_b32_e32 v61, 0x400000, v15
	v_add3_u32 v57, v57, v9, 0x7fff
	v_bfe_u32 v62, v16, 16, 1
	v_add3_u32 v59, v59, v15, 0x7fff
	v_or_b32_e32 v63, 0x400000, v16
	v_bfe_u32 v64, v17, 16, 1
	v_cndmask_b32_e64 v9, v57, v58, s0
	v_cmp_u_f32_e64 s0, v15, v15
	v_add3_u32 v62, v62, v16, 0x7fff
	v_or_b32_e32 v58, 0x400000, v17
	v_add3_u32 v57, v64, v17, 0x7fff
	v_mul_f32_e32 v55, s5, v55
	v_cndmask_b32_e64 v15, v59, v61, s0
	v_cmp_u_f32_e64 s0, v16, v16
	v_bfe_u32 v59, v56, 16, 1
	v_mul_f32_e32 v18, s5, v18
	v_lshrrev_b32_e32 v9, 16, v9
	v_lshrrev_b32_e32 v15, 16, v15
	v_cndmask_b32_e64 v16, v62, v63, s0
	v_cmp_u_f32_e64 s0, v17, v17
	v_or_b32_e32 v63, 0x400000, v18
	v_lshrrev_b32_e32 v16, 16, v16
	v_cndmask_b32_e64 v17, v57, v58, s0
	v_mul_f32_e32 v57, s5, v60
	v_add3_u32 v58, v59, v56, 0x7fff
	v_or_b32_e32 v59, 0x400000, v56
	v_bfe_u32 v60, v55, 16, 1
	v_cmp_u_f32_e64 s0, v56, v56
	v_bfe_u32 v61, v57, 16, 1
	v_or_b32_e32 v62, 0x400000, v57
	v_cndmask_b32_e64 v56, v58, v59, s0
	v_add3_u32 v59, v60, v55, 0x7fff
	v_or_b32_e32 v60, 0x400000, v55
	v_cmp_u_f32_e64 s0, v55, v55
	v_bfe_u32 v58, v18, 16, 1
	v_add3_u32 v61, v61, v57, 0x7fff
	v_lshrrev_b32_e32 v55, 16, v17
	v_lshrrev_b32_e32 v56, 16, v56
	v_cndmask_b32_e64 v59, v59, v60, s0
	v_cmp_u_f32_e64 s0, v57, v57
	v_add3_u32 v58, v58, v18, 0x7fff
	v_lshrrev_b32_e32 v57, 16, v59
	v_cndmask_b32_e64 v60, v61, v62, s0
	v_cmp_u_f32_e64 s0, v18, v18
	v_lshrrev_b32_e32 v18, 16, v60
	v_cndmask_b32_e64 v58, v58, v63, s0
	v_lshrrev_b32_e32 v17, 16, v58
	s_and_saveexec_b32 s0, vcc_lo
	s_cbranch_execz .LBB316_221
; %bb.407:                              ;   in Loop: Header=BB316_222 Depth=1
	v_cmp_gt_i32_e32 vcc_lo, s11, v42
	v_cndmask_b32_e32 v57, 0, v57, vcc_lo
	v_cmp_gt_i32_e32 vcc_lo, s11, v48
	v_cndmask_b32_e32 v56, 0, v56, vcc_lo
	;; [unrolled: 2-line block ×8, first 2 shown]
	s_branch .LBB316_221
.LBB316_408:
	s_or_b32 exec_lo, exec_lo, s14
.LBB316_409:
	s_or_b32 exec_lo, exec_lo, s1
	v_lshl_add_u32 v2, v22, 2, 0xe0
	v_and_b32_e32 v3, 0x3c0, v0
	s_mov_b32 s0, exec_lo
	s_barrier
	v_mad_u32_u24 v1, 0x180, v21, v2
	buffer_gl0_inv
	v_cmpx_eq_u32_e32 64, v3
	s_cbranch_execz .LBB316_411
; %bb.410:
	v_add_nc_u32_e32 v3, 0xfffffd00, v1
	v_add_nc_u32_e32 v4, 0xfffffd80, v1
	v_add_nc_u32_e32 v5, 0xfffffe00, v1
	ds_write_b32 v3, v25
	ds_write_b32 v4, v24
	;; [unrolled: 1-line block ×3, first 2 shown]
.LBB316_411:
	s_or_b32 exec_lo, exec_lo, s0
	s_mov_b32 s0, exec_lo
	s_waitcnt lgkmcnt(0)
	s_barrier
	buffer_gl0_inv
	v_cmpx_gt_u32_e32 64, v0
	s_cbranch_execz .LBB316_413
; %bb.412:
	ds_read2_b32 v[3:4], v1 offset1:32
	ds_read_b32 v5, v1 offset:256
	s_waitcnt lgkmcnt(1)
	v_add_f32_e32 v25, v25, v3
	v_add_f32_e32 v24, v24, v4
	s_waitcnt lgkmcnt(0)
	v_add_f32_e32 v23, v23, v5
.LBB316_413:
	s_or_b32 exec_lo, exec_lo, s0
	v_and_b32_e32 v3, 0x3e0, v0
	s_mov_b32 s0, exec_lo
	s_barrier
	buffer_gl0_inv
	v_cmpx_eq_u32_e32 32, v3
	s_cbranch_execz .LBB316_415
; %bb.414:
	ds_write2_b32 v2, v25, v24 offset1:32
	ds_write_b32 v2, v23 offset:256
.LBB316_415:
	s_or_b32 exec_lo, exec_lo, s0
	v_cmp_gt_u32_e32 vcc_lo, 32, v0
	s_waitcnt lgkmcnt(0)
	s_barrier
	buffer_gl0_inv
	s_and_saveexec_b32 s0, vcc_lo
	s_cbranch_execz .LBB316_417
; %bb.416:
	ds_read2_b32 v[2:3], v1 offset1:32
	ds_read_b32 v1, v1 offset:256
	s_waitcnt lgkmcnt(1)
	v_add_f32_e32 v25, v25, v2
	v_add_f32_e32 v24, v24, v3
	s_waitcnt lgkmcnt(0)
	v_add_f32_e32 v23, v23, v1
.LBB316_417:
	s_or_b32 exec_lo, exec_lo, s0
	s_barrier
	buffer_gl0_inv
	s_and_saveexec_b32 s0, vcc_lo
	s_cbranch_execz .LBB316_419
; %bb.418:
	s_mul_i32 s0, s10, s7
	v_bfe_u32 v1, v25, 16, 1
	s_mul_i32 s0, s0, s9
	v_bfe_u32 v2, v24, 16, 1
	s_mulk_i32 s0, 0x60
	v_or_b32_e32 v4, 0x400000, v25
	v_add3_u32 v1, v1, v25, 0x7fff
	v_cmp_u_f32_e32 vcc_lo, v25, v25
	s_ashr_i32 s1, s0, 31
	s_mul_i32 s2, s7, s6
	s_lshl_b64 s[0:1], s[0:1], 1
	v_bfe_u32 v3, v23, 16, 1
	s_add_u32 s5, s20, s0
	v_add3_u32 v2, v2, v24, 0x7fff
	v_or_b32_e32 v5, 0x400000, v24
	v_cndmask_b32_e32 v1, v1, v4, vcc_lo
	v_cmp_u_f32_e32 vcc_lo, v24, v24
	s_addc_u32 s6, s21, s1
	s_ashr_i32 s3, s2, 31
	s_mul_i32 s4, s8, 0x60
	s_lshl_b64 s[0:1], s[2:3], 1
	v_add3_u32 v3, v3, v23, 0x7fff
	s_add_u32 s2, s5, s0
	v_or_b32_e32 v6, 0x400000, v23
	v_cndmask_b32_e32 v2, v2, v5, vcc_lo
	v_cmp_u_f32_e32 vcc_lo, v23, v23
	s_addc_u32 s3, s6, s1
	s_ashr_i32 s5, s4, 31
	v_lshlrev_b32_e32 v0, 1, v0
	s_lshl_b64 s[0:1], s[4:5], 1
	v_cndmask_b32_e32 v3, v3, v6, vcc_lo
	s_add_u32 s0, s2, s0
	s_addc_u32 s1, s3, s1
	global_store_short_d16_hi v0, v1, s[0:1]
	global_store_short_d16_hi v0, v2, s[0:1] offset:64
	global_store_short_d16_hi v0, v3, s[0:1] offset:128
.LBB316_419:
	s_endpgm
	.section	.rodata,"a",@progbits
	.p2align	6, 0x0
	.amdhsa_kernel _ZN4vllm25paged_attention_v1_kernelI14__hip_bfloat16hLi96ELi8ELi128ELNS_18Fp8KVCacheDataTypeE1ELb0EEEvPT_PKS3_PKT0_S9_ifPKiSB_iPKfiiiSD_SD_iiiii
		.amdhsa_group_segment_fixed_size 224
		.amdhsa_private_segment_fixed_size 0
		.amdhsa_kernarg_size 384
		.amdhsa_user_sgpr_count 6
		.amdhsa_user_sgpr_private_segment_buffer 1
		.amdhsa_user_sgpr_dispatch_ptr 0
		.amdhsa_user_sgpr_queue_ptr 0
		.amdhsa_user_sgpr_kernarg_segment_ptr 1
		.amdhsa_user_sgpr_dispatch_id 0
		.amdhsa_user_sgpr_flat_scratch_init 0
		.amdhsa_user_sgpr_private_segment_size 0
		.amdhsa_wavefront_size32 1
		.amdhsa_uses_dynamic_stack 0
		.amdhsa_system_sgpr_private_segment_wavefront_offset 0
		.amdhsa_system_sgpr_workgroup_id_x 1
		.amdhsa_system_sgpr_workgroup_id_y 1
		.amdhsa_system_sgpr_workgroup_id_z 1
		.amdhsa_system_sgpr_workgroup_info 0
		.amdhsa_system_vgpr_workitem_id 0
		.amdhsa_next_free_vgpr 88
		.amdhsa_next_free_sgpr 34
		.amdhsa_reserve_vcc 1
		.amdhsa_reserve_flat_scratch 0
		.amdhsa_float_round_mode_32 0
		.amdhsa_float_round_mode_16_64 0
		.amdhsa_float_denorm_mode_32 3
		.amdhsa_float_denorm_mode_16_64 3
		.amdhsa_dx10_clamp 1
		.amdhsa_ieee_mode 1
		.amdhsa_fp16_overflow 0
		.amdhsa_workgroup_processor_mode 1
		.amdhsa_memory_ordered 1
		.amdhsa_forward_progress 1
		.amdhsa_shared_vgpr_count 0
		.amdhsa_exception_fp_ieee_invalid_op 0
		.amdhsa_exception_fp_denorm_src 0
		.amdhsa_exception_fp_ieee_div_zero 0
		.amdhsa_exception_fp_ieee_overflow 0
		.amdhsa_exception_fp_ieee_underflow 0
		.amdhsa_exception_fp_ieee_inexact 0
		.amdhsa_exception_int_div_zero 0
	.end_amdhsa_kernel
	.section	.text._ZN4vllm25paged_attention_v1_kernelI14__hip_bfloat16hLi96ELi8ELi128ELNS_18Fp8KVCacheDataTypeE1ELb0EEEvPT_PKS3_PKT0_S9_ifPKiSB_iPKfiiiSD_SD_iiiii,"axG",@progbits,_ZN4vllm25paged_attention_v1_kernelI14__hip_bfloat16hLi96ELi8ELi128ELNS_18Fp8KVCacheDataTypeE1ELb0EEEvPT_PKS3_PKT0_S9_ifPKiSB_iPKfiiiSD_SD_iiiii,comdat
.Lfunc_end316:
	.size	_ZN4vllm25paged_attention_v1_kernelI14__hip_bfloat16hLi96ELi8ELi128ELNS_18Fp8KVCacheDataTypeE1ELb0EEEvPT_PKS3_PKT0_S9_ifPKiSB_iPKfiiiSD_SD_iiiii, .Lfunc_end316-_ZN4vllm25paged_attention_v1_kernelI14__hip_bfloat16hLi96ELi8ELi128ELNS_18Fp8KVCacheDataTypeE1ELb0EEEvPT_PKS3_PKT0_S9_ifPKiSB_iPKfiiiSD_SD_iiiii
                                        ; -- End function
	.set _ZN4vllm25paged_attention_v1_kernelI14__hip_bfloat16hLi96ELi8ELi128ELNS_18Fp8KVCacheDataTypeE1ELb0EEEvPT_PKS3_PKT0_S9_ifPKiSB_iPKfiiiSD_SD_iiiii.num_vgpr, 88
	.set _ZN4vllm25paged_attention_v1_kernelI14__hip_bfloat16hLi96ELi8ELi128ELNS_18Fp8KVCacheDataTypeE1ELb0EEEvPT_PKS3_PKT0_S9_ifPKiSB_iPKfiiiSD_SD_iiiii.num_agpr, 0
	.set _ZN4vllm25paged_attention_v1_kernelI14__hip_bfloat16hLi96ELi8ELi128ELNS_18Fp8KVCacheDataTypeE1ELb0EEEvPT_PKS3_PKT0_S9_ifPKiSB_iPKfiiiSD_SD_iiiii.numbered_sgpr, 34
	.set _ZN4vllm25paged_attention_v1_kernelI14__hip_bfloat16hLi96ELi8ELi128ELNS_18Fp8KVCacheDataTypeE1ELb0EEEvPT_PKS3_PKT0_S9_ifPKiSB_iPKfiiiSD_SD_iiiii.num_named_barrier, 0
	.set _ZN4vllm25paged_attention_v1_kernelI14__hip_bfloat16hLi96ELi8ELi128ELNS_18Fp8KVCacheDataTypeE1ELb0EEEvPT_PKS3_PKT0_S9_ifPKiSB_iPKfiiiSD_SD_iiiii.private_seg_size, 0
	.set _ZN4vllm25paged_attention_v1_kernelI14__hip_bfloat16hLi96ELi8ELi128ELNS_18Fp8KVCacheDataTypeE1ELb0EEEvPT_PKS3_PKT0_S9_ifPKiSB_iPKfiiiSD_SD_iiiii.uses_vcc, 1
	.set _ZN4vllm25paged_attention_v1_kernelI14__hip_bfloat16hLi96ELi8ELi128ELNS_18Fp8KVCacheDataTypeE1ELb0EEEvPT_PKS3_PKT0_S9_ifPKiSB_iPKfiiiSD_SD_iiiii.uses_flat_scratch, 0
	.set _ZN4vllm25paged_attention_v1_kernelI14__hip_bfloat16hLi96ELi8ELi128ELNS_18Fp8KVCacheDataTypeE1ELb0EEEvPT_PKS3_PKT0_S9_ifPKiSB_iPKfiiiSD_SD_iiiii.has_dyn_sized_stack, 0
	.set _ZN4vllm25paged_attention_v1_kernelI14__hip_bfloat16hLi96ELi8ELi128ELNS_18Fp8KVCacheDataTypeE1ELb0EEEvPT_PKS3_PKT0_S9_ifPKiSB_iPKfiiiSD_SD_iiiii.has_recursion, 0
	.set _ZN4vllm25paged_attention_v1_kernelI14__hip_bfloat16hLi96ELi8ELi128ELNS_18Fp8KVCacheDataTypeE1ELb0EEEvPT_PKS3_PKT0_S9_ifPKiSB_iPKfiiiSD_SD_iiiii.has_indirect_call, 0
	.section	.AMDGPU.csdata,"",@progbits
; Kernel info:
; codeLenInByte = 16356
; TotalNumSgprs: 36
; NumVgprs: 88
; ScratchSize: 0
; MemoryBound: 0
; FloatMode: 240
; IeeeMode: 1
; LDSByteSize: 224 bytes/workgroup (compile time only)
; SGPRBlocks: 0
; VGPRBlocks: 10
; NumSGPRsForWavesPerEU: 36
; NumVGPRsForWavesPerEU: 88
; Occupancy: 10
; WaveLimiterHint : 1
; COMPUTE_PGM_RSRC2:SCRATCH_EN: 0
; COMPUTE_PGM_RSRC2:USER_SGPR: 6
; COMPUTE_PGM_RSRC2:TRAP_HANDLER: 0
; COMPUTE_PGM_RSRC2:TGID_X_EN: 1
; COMPUTE_PGM_RSRC2:TGID_Y_EN: 1
; COMPUTE_PGM_RSRC2:TGID_Z_EN: 1
; COMPUTE_PGM_RSRC2:TIDIG_COMP_CNT: 0
	.section	.text._ZN4vllm25paged_attention_v1_kernelI14__hip_bfloat16hLi112ELi8ELi128ELNS_18Fp8KVCacheDataTypeE1ELb0EEEvPT_PKS3_PKT0_S9_ifPKiSB_iPKfiiiSD_SD_iiiii,"axG",@progbits,_ZN4vllm25paged_attention_v1_kernelI14__hip_bfloat16hLi112ELi8ELi128ELNS_18Fp8KVCacheDataTypeE1ELb0EEEvPT_PKS3_PKT0_S9_ifPKiSB_iPKfiiiSD_SD_iiiii,comdat
	.protected	_ZN4vllm25paged_attention_v1_kernelI14__hip_bfloat16hLi112ELi8ELi128ELNS_18Fp8KVCacheDataTypeE1ELb0EEEvPT_PKS3_PKT0_S9_ifPKiSB_iPKfiiiSD_SD_iiiii ; -- Begin function _ZN4vllm25paged_attention_v1_kernelI14__hip_bfloat16hLi112ELi8ELi128ELNS_18Fp8KVCacheDataTypeE1ELb0EEEvPT_PKS3_PKT0_S9_ifPKiSB_iPKfiiiSD_SD_iiiii
	.globl	_ZN4vllm25paged_attention_v1_kernelI14__hip_bfloat16hLi112ELi8ELi128ELNS_18Fp8KVCacheDataTypeE1ELb0EEEvPT_PKS3_PKT0_S9_ifPKiSB_iPKfiiiSD_SD_iiiii
	.p2align	8
	.type	_ZN4vllm25paged_attention_v1_kernelI14__hip_bfloat16hLi112ELi8ELi128ELNS_18Fp8KVCacheDataTypeE1ELb0EEEvPT_PKS3_PKT0_S9_ifPKiSB_iPKfiiiSD_SD_iiiii,@function
_ZN4vllm25paged_attention_v1_kernelI14__hip_bfloat16hLi112ELi8ELi128ELNS_18Fp8KVCacheDataTypeE1ELb0EEEvPT_PKS3_PKT0_S9_ifPKiSB_iPKfiiiSD_SD_iiiii: ; @_ZN4vllm25paged_attention_v1_kernelI14__hip_bfloat16hLi112ELi8ELi128ELNS_18Fp8KVCacheDataTypeE1ELb0EEEvPT_PKS3_PKT0_S9_ifPKiSB_iPKfiiiSD_SD_iiiii
; %bb.0:
	s_clause 0x2
	s_load_dword s9, s[4:5], 0x80
	s_load_dwordx2 s[0:1], s[4:5], 0x30
	s_load_dwordx2 s[28:29], s[4:5], 0x20
	s_mov_b32 s10, s7
	s_ashr_i32 s11, s7, 31
	s_lshl_b64 s[2:3], s[10:11], 2
	s_waitcnt lgkmcnt(0)
	s_add_u32 s0, s0, s2
	s_addc_u32 s1, s1, s3
	s_abs_i32 s2, s28
	s_abs_i32 s11, s9
	v_cvt_f32_u32_e32 v1, s2
	s_sub_i32 s7, 0, s2
	v_rcp_iflag_f32_e32 v1, v1
	v_mul_f32_e32 v1, 0x4f7ffffe, v1
	v_cvt_u32_f32_e32 v1, v1
	v_readfirstlane_b32 s3, v1
	s_mul_i32 s7, s7, s3
	s_mul_hi_u32 s7, s3, s7
	s_add_i32 s3, s3, s7
	s_xor_b32 s7, s9, s28
	s_mul_hi_u32 s3, s11, s3
	s_ashr_i32 s7, s7, 31
	s_mul_i32 s12, s3, s2
	s_mov_b32 s28, 0
	s_sub_i32 s11, s11, s12
	s_add_i32 s12, s3, 1
	s_sub_i32 s13, s11, s2
	s_cmp_ge_u32 s11, s2
	s_cselect_b32 s3, s12, s3
	s_cselect_b32 s11, s13, s11
	s_add_i32 s12, s3, 1
	s_cmp_ge_u32 s11, s2
	s_cselect_b32 s2, s12, s3
	s_abs_i32 s17, s6
	s_xor_b32 s2, s2, s7
	s_sub_i32 s19, s2, s7
	s_load_dwordx2 s[2:3], s[4:5], 0x40
	s_abs_i32 s16, s19
	v_cvt_f32_u32_e32 v1, s16
	s_sub_i32 s11, 0, s16
	v_rcp_iflag_f32_e32 v1, v1
	v_mul_f32_e32 v1, 0x4f7ffffe, v1
	v_cvt_u32_f32_e32 v1, v1
	v_readfirstlane_b32 s7, v1
	s_mul_i32 s11, s11, s7
	s_mul_hi_u32 s11, s7, s11
	s_add_i32 s7, s7, s11
	s_waitcnt lgkmcnt(0)
	s_cmp_eq_u64 s[2:3], 0
	s_mul_hi_u32 s18, s17, s7
	s_cbranch_scc1 .LBB317_2
; %bb.1:
	s_ashr_i32 s7, s6, 31
	s_lshl_b64 s[12:13], s[6:7], 2
	s_add_u32 s2, s2, s12
	s_addc_u32 s3, s3, s13
	s_load_dword s28, s[2:3], 0x0
.LBB317_2:
	s_load_dword s11, s[0:1], 0x0
	s_load_dwordx4 s[12:15], s[4:5], 0x48
	v_and_b32_e32 v1, 3, v0
	s_ashr_i32 s0, s6, 31
	s_ashr_i32 s1, s19, 31
	s_mulk_i32 s6, 0x70
	s_mov_b32 s2, exec_lo
	v_cmpx_gt_u32_e32 56, v0
	s_cbranch_execz .LBB317_4
; %bb.3:
	s_load_dwordx2 s[20:21], s[4:5], 0x8
	s_waitcnt lgkmcnt(0)
	s_mul_i32 s22, s12, s10
	v_lshlrev_b32_e32 v2, 2, v0
	s_ashr_i32 s23, s22, 31
	v_and_b32_e32 v3, 0x3fc, v0
	s_lshl_b64 s[22:23], s[22:23], 1
	v_mad_u32_u24 v3, v1, 56, v3
	s_add_u32 s3, s20, s22
	s_addc_u32 s12, s21, s23
	s_ashr_i32 s7, s6, 31
	s_lshl_b64 s[20:21], s[6:7], 1
	s_add_u32 s20, s3, s20
	s_addc_u32 s21, s12, s21
	global_load_dword v2, v2, s[20:21]
	s_waitcnt vmcnt(0)
	ds_write_b32 v3, v2
.LBB317_4:
	s_or_b32 exec_lo, exec_lo, s2
	s_waitcnt lgkmcnt(0)
	s_add_i32 s2, s11, 7
	s_clause 0x1
	s_load_dwordx2 s[22:23], s[4:5], 0x28
	s_load_dword s7, s[4:5], 0x38
	s_ashr_i32 s3, s2, 31
	s_xor_b32 s0, s0, s1
	s_lshr_b32 s3, s3, 29
	s_mul_i32 s1, s18, s16
	s_add_i32 s2, s2, s3
	s_sub_i32 s1, s17, s1
	s_ashr_i32 s12, s2, 3
	s_add_i32 s2, s18, 1
	s_sub_i32 s3, s1, s16
	s_cmp_ge_u32 s1, s16
	v_lshrrev_b32_e32 v21, 5, v0
	s_cselect_b32 s2, s2, s18
	s_cselect_b32 s1, s3, s1
	s_add_i32 s3, s2, 1
	s_cmp_ge_u32 s1, s16
	v_mbcnt_lo_u32_b32 v10, -1, 0
	s_cselect_b32 s1, s3, s2
	s_waitcnt lgkmcnt(0)
	s_xor_b32 s1, s1, s0
	s_mul_i32 s24, s7, s10
	s_sub_i32 s15, s1, s0
	v_cmp_gt_i32_e64 s0, s12, v21
	s_ashr_i32 s25, s24, 31
	s_mov_b32 s1, exec_lo
	s_barrier
	buffer_gl0_inv
                                        ; implicit-def: $vgpr2
                                        ; implicit-def: $vgpr11
	v_cmpx_le_i32_e64 s12, v21
	s_xor_b32 s1, exec_lo, s1
; %bb.5:
	v_mov_b32_e32 v2, 0
	v_mbcnt_lo_u32_b32 v10, -1, 0
	v_mov_b32_e32 v11, 32
                                        ; implicit-def: $vgpr1
; %bb.6:
	s_or_saveexec_b32 s30, s1
	s_clause 0x3
	s_load_dwordx2 s[20:21], s[4:5], 0x0
	s_load_dwordx2 s[26:27], s[4:5], 0x18
	s_load_dword s7, s[4:5], 0x88
	s_load_dwordx4 s[16:19], s[4:5], 0x58
	v_mov_b32_e32 v37, 0xff7fffff
	v_lshrrev_b32_e32 v9, 3, v0
	s_mul_i32 s15, s15, s14
	s_xor_b32 exec_lo, exec_lo, s30
	s_cbranch_execz .LBB317_236
; %bb.7:
	v_mul_u32_u24_e32 v7, 56, v1
	s_load_dwordx2 s[2:3], s[4:5], 0x10
	v_bfe_u32 v37, v0, 2, 3
	s_ashr_i32 s1, s15, 31
	v_lshlrev_b32_e32 v44, 1, v1
	ds_read2_b64 v[3:6], v7 offset1:1
	ds_read2_b64 v[25:28], v7 offset0:2 offset1:3
	ds_read2_b64 v[33:36], v7 offset0:4 offset1:5
	ds_read_b64 v[7:8], v7 offset:48
	v_lshlrev_b32_e32 v11, 4, v37
	s_waitcnt lgkmcnt(0)
	s_load_dword s4, s[16:17], 0x0
	v_mov_b32_e32 v2, 0
	v_mov_b32_e32 v47, 0xffff
	;; [unrolled: 1-line block ×3, first 2 shown]
	s_mov_b32 s16, s13
	s_mov_b32 s14, 0
	s_add_u32 s2, s2, s15
	s_addc_u32 s1, s3, s1
	v_add_co_u32 v45, s2, s2, v11
	v_lshlrev_b32_e32 v12, 16, v3
	v_and_b32_e32 v13, 0xffff0000, v3
	v_xor_b32_e32 v3, 2, v10
	v_lshlrev_b32_e32 v14, 16, v4
	v_and_b32_e32 v15, 0xffff0000, v4
	v_xor_b32_e32 v4, 1, v10
	v_add_co_ci_u32_e64 v46, null, s1, 0, s2
	v_cmp_gt_i32_e32 vcc_lo, 32, v3
	v_lshlrev_b32_e32 v16, 16, v5
	v_and_b32_e32 v17, 0xffff0000, v5
	v_and_b32_e32 v5, 0x7c, v9
	s_sub_i32 s5, 1, s11
	v_cndmask_b32_e32 v3, v10, v3, vcc_lo
	v_cmp_gt_i32_e32 vcc_lo, 32, v4
	v_lshlrev_b32_e32 v18, 16, v6
	v_and_b32_e32 v19, 0xffff0000, v6
	v_lshlrev_b32_e32 v20, 16, v25
	v_lshlrev_b32_e32 v42, 2, v3
	v_cndmask_b32_e32 v4, v10, v4, vcc_lo
	v_cmp_eq_u32_e32 vcc_lo, 0, v1
	v_lshlrev_b32_e32 v1, 2, v37
	v_add_co_u32 v3, s2, v45, v44
	v_lshlrev_b32_e32 v43, 2, v4
	v_add_co_ci_u32_e64 v4, null, 0, v46, s2
	s_lshl_b64 s[2:3], s[24:25], 2
	v_lshl_or_b32 v1, v21, 5, v1
	s_add_u32 s2, s22, s2
	s_addc_u32 s3, s23, s3
	v_add_co_u32 v5, s2, s2, v5
	v_and_b32_e32 v22, 0xffff0000, v25
	v_lshlrev_b32_e32 v23, 16, v26
	v_and_b32_e32 v24, 0xffff0000, v26
	v_lshlrev_b32_e32 v25, 16, v27
	;; [unrolled: 2-line block ×9, first 2 shown]
	v_and_b32_e32 v41, 0xffff0000, v8
	v_mov_b32_e32 v11, 32
	v_cmp_neq_f32_e64 s1, s28, 0
	v_lshl_or_b32 v44, v21, 3, v37
	v_add_nc_u32_e32 v45, 0x100, v1
	v_add_co_ci_u32_e64 v6, null, s3, 0, s2
	v_mov_b32_e32 v37, 0xff7fffff
	v_mov_b32_e32 v46, 0x80
	s_branch .LBB317_9
.LBB317_8:                              ;   in Loop: Header=BB317_9 Depth=1
	s_or_b32 exec_lo, exec_lo, s3
	v_add_nc_u32_e32 v48, 4, v48
	v_add_co_u32 v5, s3, v5, 16
	v_add_nc_u32_e32 v44, 32, v44
	v_add_nc_u32_e32 v45, 0x80, v45
	v_cmp_le_i32_e64 s2, s12, v48
	v_add_co_ci_u32_e64 v6, null, 0, v6, s3
	s_or_b32 s14, s2, s14
	s_andn2_b32 exec_lo, exec_lo, s14
	s_cbranch_execz .LBB317_235
.LBB317_9:                              ; =>This Inner Loop Header: Depth=1
	global_load_dword v1, v[5:6], off
	v_mov_b32_e32 v49, 0
	s_waitcnt vmcnt(0) lgkmcnt(0)
	v_mad_i64_i32 v[7:8], null, v1, s16, v[3:4]
	global_load_ushort v1, v[7:8], off
	s_waitcnt vmcnt(0)
	v_and_b32_e32 v51, 0xffff, v1
	v_cmp_ne_u16_sdwa s2, v1, v2 src0_sel:BYTE_0 src1_sel:DWORD
	s_and_saveexec_b32 s3, s2
	s_cbranch_execz .LBB317_17
; %bb.10:                               ;   in Loop: Header=BB317_9 Depth=1
	v_cmp_ne_u16_sdwa s2, v51, v46 src0_sel:BYTE_0 src1_sel:DWORD
	v_bfrev_b32_e32 v49, 1
	s_and_saveexec_b32 s17, s2
	s_cbranch_execz .LBB317_16
; %bb.11:                               ;   in Loop: Header=BB317_9 Depth=1
	v_and_b32_e32 v50, 0x7f, v51
	v_mov_b32_e32 v49, 0x7f800001
	s_mov_b32 s31, exec_lo
	v_cmpx_ne_u32_e32 0x7f, v50
	s_cbranch_execz .LBB317_15
; %bb.12:                               ;   in Loop: Header=BB317_9 Depth=1
	v_and_b32_e32 v1, 7, v51
	v_lshrrev_b32_e32 v49, 3, v50
	s_mov_b32 s33, exec_lo
	v_cmpx_gt_u32_e32 8, v50
; %bb.13:                               ;   in Loop: Header=BB317_9 Depth=1
	v_ffbh_u32_e32 v49, v1
	v_min_u32_e32 v49, 32, v49
	v_subrev_nc_u32_e32 v50, 28, v49
	v_sub_nc_u32_e32 v49, 29, v49
	v_lshlrev_b64 v[52:53], v50, v[1:2]
	v_and_b32_e32 v1, 7, v52
; %bb.14:                               ;   in Loop: Header=BB317_9 Depth=1
	s_or_b32 exec_lo, exec_lo, s33
	v_lshlrev_b32_e32 v50, 24, v51
	v_lshlrev_b32_e32 v1, 20, v1
	v_lshl_add_u32 v49, v49, 23, 0x3c000000
	v_and_b32_e32 v50, 0x80000000, v50
	v_or3_b32 v49, v1, v50, v49
.LBB317_15:                             ;   in Loop: Header=BB317_9 Depth=1
	s_or_b32 exec_lo, exec_lo, s31
.LBB317_16:                             ;   in Loop: Header=BB317_9 Depth=1
	s_or_b32 exec_lo, exec_lo, s17
.LBB317_17:                             ;   in Loop: Header=BB317_9 Depth=1
	s_or_b32 exec_lo, exec_lo, s3
	v_cmp_ne_u16_sdwa s2, v51, v2 src0_sel:BYTE_1 src1_sel:DWORD
	v_mov_b32_e32 v50, 0
	s_and_saveexec_b32 s3, s2
	s_cbranch_execz .LBB317_25
; %bb.18:                               ;   in Loop: Header=BB317_9 Depth=1
	v_cmp_ne_u16_sdwa s2, v51, v46 src0_sel:BYTE_1 src1_sel:DWORD
	v_bfrev_b32_e32 v50, 1
	s_and_saveexec_b32 s17, s2
	s_cbranch_execz .LBB317_24
; %bb.19:                               ;   in Loop: Header=BB317_9 Depth=1
	v_and_b32_sdwa v1, v47, v51 dst_sel:DWORD dst_unused:UNUSED_PAD src0_sel:DWORD src1_sel:BYTE_1
	v_mov_b32_e32 v50, 0x7f800001
	s_mov_b32 s31, exec_lo
	v_and_b32_e32 v52, 0x7f, v1
	v_cmpx_ne_u32_e32 0x7f, v52
	s_cbranch_execz .LBB317_23
; %bb.20:                               ;   in Loop: Header=BB317_9 Depth=1
	v_and_b32_e32 v1, 7, v1
	v_lshrrev_b32_e32 v50, 3, v52
	s_mov_b32 s33, exec_lo
	v_cmpx_gt_u32_e32 8, v52
; %bb.21:                               ;   in Loop: Header=BB317_9 Depth=1
	v_ffbh_u32_e32 v50, v1
	v_min_u32_e32 v50, 32, v50
	v_subrev_nc_u32_e32 v52, 28, v50
	v_sub_nc_u32_e32 v50, 29, v50
	v_lshlrev_b64 v[52:53], v52, v[1:2]
	v_and_b32_e32 v1, 7, v52
; %bb.22:                               ;   in Loop: Header=BB317_9 Depth=1
	s_or_b32 exec_lo, exec_lo, s33
	v_lshlrev_b32_e32 v51, 16, v51
	v_lshlrev_b32_e32 v1, 20, v1
	v_lshl_add_u32 v50, v50, 23, 0x3c000000
	v_and_b32_e32 v51, 0x80000000, v51
	v_or3_b32 v50, v1, v51, v50
.LBB317_23:                             ;   in Loop: Header=BB317_9 Depth=1
	s_or_b32 exec_lo, exec_lo, s31
.LBB317_24:                             ;   in Loop: Header=BB317_9 Depth=1
	s_or_b32 exec_lo, exec_lo, s17
.LBB317_25:                             ;   in Loop: Header=BB317_9 Depth=1
	s_or_b32 exec_lo, exec_lo, s3
	global_load_ushort v1, v[7:8], off offset:8
	v_mov_b32_e32 v52, 0
	v_mov_b32_e32 v51, 0
	s_waitcnt vmcnt(0)
	v_and_b32_e32 v53, 0xffff, v1
	v_cmp_ne_u16_sdwa s2, v1, v2 src0_sel:BYTE_0 src1_sel:DWORD
	s_and_saveexec_b32 s3, s2
	s_cbranch_execz .LBB317_33
; %bb.26:                               ;   in Loop: Header=BB317_9 Depth=1
	v_cmp_ne_u16_sdwa s2, v53, v46 src0_sel:BYTE_0 src1_sel:DWORD
	v_bfrev_b32_e32 v51, 1
	s_and_saveexec_b32 s17, s2
	s_cbranch_execz .LBB317_32
; %bb.27:                               ;   in Loop: Header=BB317_9 Depth=1
	v_and_b32_e32 v54, 0x7f, v53
	v_mov_b32_e32 v51, 0x7f800001
	s_mov_b32 s31, exec_lo
	v_cmpx_ne_u32_e32 0x7f, v54
	s_cbranch_execz .LBB317_31
; %bb.28:                               ;   in Loop: Header=BB317_9 Depth=1
	v_and_b32_e32 v1, 7, v53
	v_lshrrev_b32_e32 v51, 3, v54
	s_mov_b32 s33, exec_lo
	v_cmpx_gt_u32_e32 8, v54
; %bb.29:                               ;   in Loop: Header=BB317_9 Depth=1
	v_ffbh_u32_e32 v51, v1
	v_min_u32_e32 v51, 32, v51
	v_subrev_nc_u32_e32 v54, 28, v51
	v_sub_nc_u32_e32 v51, 29, v51
	v_lshlrev_b64 v[54:55], v54, v[1:2]
	v_and_b32_e32 v1, 7, v54
; %bb.30:                               ;   in Loop: Header=BB317_9 Depth=1
	s_or_b32 exec_lo, exec_lo, s33
	v_lshlrev_b32_e32 v54, 24, v53
	v_lshlrev_b32_e32 v1, 20, v1
	v_lshl_add_u32 v51, v51, 23, 0x3c000000
	v_and_b32_e32 v54, 0x80000000, v54
	v_or3_b32 v51, v1, v54, v51
.LBB317_31:                             ;   in Loop: Header=BB317_9 Depth=1
	s_or_b32 exec_lo, exec_lo, s31
.LBB317_32:                             ;   in Loop: Header=BB317_9 Depth=1
	s_or_b32 exec_lo, exec_lo, s17
.LBB317_33:                             ;   in Loop: Header=BB317_9 Depth=1
	s_or_b32 exec_lo, exec_lo, s3
	v_cmp_ne_u16_sdwa s2, v53, v2 src0_sel:BYTE_1 src1_sel:DWORD
	s_and_saveexec_b32 s3, s2
	s_cbranch_execz .LBB317_41
; %bb.34:                               ;   in Loop: Header=BB317_9 Depth=1
	v_cmp_ne_u16_sdwa s2, v53, v46 src0_sel:BYTE_1 src1_sel:DWORD
	v_bfrev_b32_e32 v52, 1
	s_and_saveexec_b32 s17, s2
	s_cbranch_execz .LBB317_40
; %bb.35:                               ;   in Loop: Header=BB317_9 Depth=1
	v_and_b32_sdwa v1, v47, v53 dst_sel:DWORD dst_unused:UNUSED_PAD src0_sel:DWORD src1_sel:BYTE_1
	v_mov_b32_e32 v52, 0x7f800001
	s_mov_b32 s31, exec_lo
	v_and_b32_e32 v54, 0x7f, v1
	v_cmpx_ne_u32_e32 0x7f, v54
	s_cbranch_execz .LBB317_39
; %bb.36:                               ;   in Loop: Header=BB317_9 Depth=1
	v_and_b32_e32 v1, 7, v1
	v_lshrrev_b32_e32 v52, 3, v54
	s_mov_b32 s33, exec_lo
	v_cmpx_gt_u32_e32 8, v54
; %bb.37:                               ;   in Loop: Header=BB317_9 Depth=1
	v_ffbh_u32_e32 v52, v1
	v_min_u32_e32 v52, 32, v52
	v_subrev_nc_u32_e32 v54, 28, v52
	v_sub_nc_u32_e32 v52, 29, v52
	v_lshlrev_b64 v[54:55], v54, v[1:2]
	v_and_b32_e32 v1, 7, v54
; %bb.38:                               ;   in Loop: Header=BB317_9 Depth=1
	s_or_b32 exec_lo, exec_lo, s33
	v_lshlrev_b32_e32 v53, 16, v53
	v_lshlrev_b32_e32 v1, 20, v1
	v_lshl_add_u32 v52, v52, 23, 0x3c000000
	v_and_b32_e32 v53, 0x80000000, v53
	v_or3_b32 v52, v1, v53, v52
.LBB317_39:                             ;   in Loop: Header=BB317_9 Depth=1
	s_or_b32 exec_lo, exec_lo, s31
.LBB317_40:                             ;   in Loop: Header=BB317_9 Depth=1
	s_or_b32 exec_lo, exec_lo, s17
.LBB317_41:                             ;   in Loop: Header=BB317_9 Depth=1
	s_or_b32 exec_lo, exec_lo, s3
	global_load_ushort v1, v[7:8], off offset:128
	v_mov_b32_e32 v54, 0
	v_mov_b32_e32 v53, 0
	s_waitcnt vmcnt(0)
	v_and_b32_e32 v55, 0xffff, v1
	v_cmp_ne_u16_sdwa s2, v1, v2 src0_sel:BYTE_0 src1_sel:DWORD
	s_and_saveexec_b32 s3, s2
	s_cbranch_execz .LBB317_49
; %bb.42:                               ;   in Loop: Header=BB317_9 Depth=1
	v_cmp_ne_u16_sdwa s2, v55, v46 src0_sel:BYTE_0 src1_sel:DWORD
	v_bfrev_b32_e32 v53, 1
	s_and_saveexec_b32 s17, s2
	s_cbranch_execz .LBB317_48
; %bb.43:                               ;   in Loop: Header=BB317_9 Depth=1
	v_and_b32_e32 v56, 0x7f, v55
	v_mov_b32_e32 v53, 0x7f800001
	s_mov_b32 s31, exec_lo
	v_cmpx_ne_u32_e32 0x7f, v56
	s_cbranch_execz .LBB317_47
; %bb.44:                               ;   in Loop: Header=BB317_9 Depth=1
	v_and_b32_e32 v1, 7, v55
	v_lshrrev_b32_e32 v53, 3, v56
	s_mov_b32 s33, exec_lo
	v_cmpx_gt_u32_e32 8, v56
; %bb.45:                               ;   in Loop: Header=BB317_9 Depth=1
	v_ffbh_u32_e32 v53, v1
	v_min_u32_e32 v53, 32, v53
	v_subrev_nc_u32_e32 v56, 28, v53
	v_sub_nc_u32_e32 v53, 29, v53
	v_lshlrev_b64 v[56:57], v56, v[1:2]
	v_and_b32_e32 v1, 7, v56
; %bb.46:                               ;   in Loop: Header=BB317_9 Depth=1
	s_or_b32 exec_lo, exec_lo, s33
	v_lshlrev_b32_e32 v56, 24, v55
	v_lshlrev_b32_e32 v1, 20, v1
	v_lshl_add_u32 v53, v53, 23, 0x3c000000
	v_and_b32_e32 v56, 0x80000000, v56
	v_or3_b32 v53, v1, v56, v53
.LBB317_47:                             ;   in Loop: Header=BB317_9 Depth=1
	s_or_b32 exec_lo, exec_lo, s31
.LBB317_48:                             ;   in Loop: Header=BB317_9 Depth=1
	s_or_b32 exec_lo, exec_lo, s17
.LBB317_49:                             ;   in Loop: Header=BB317_9 Depth=1
	s_or_b32 exec_lo, exec_lo, s3
	v_cmp_ne_u16_sdwa s2, v55, v2 src0_sel:BYTE_1 src1_sel:DWORD
	s_and_saveexec_b32 s3, s2
	s_cbranch_execz .LBB317_57
; %bb.50:                               ;   in Loop: Header=BB317_9 Depth=1
	v_cmp_ne_u16_sdwa s2, v55, v46 src0_sel:BYTE_1 src1_sel:DWORD
	v_bfrev_b32_e32 v54, 1
	s_and_saveexec_b32 s17, s2
	s_cbranch_execz .LBB317_56
; %bb.51:                               ;   in Loop: Header=BB317_9 Depth=1
	v_and_b32_sdwa v1, v47, v55 dst_sel:DWORD dst_unused:UNUSED_PAD src0_sel:DWORD src1_sel:BYTE_1
	v_mov_b32_e32 v54, 0x7f800001
	s_mov_b32 s31, exec_lo
	v_and_b32_e32 v56, 0x7f, v1
	v_cmpx_ne_u32_e32 0x7f, v56
	s_cbranch_execz .LBB317_55
; %bb.52:                               ;   in Loop: Header=BB317_9 Depth=1
	v_and_b32_e32 v1, 7, v1
	v_lshrrev_b32_e32 v54, 3, v56
	s_mov_b32 s33, exec_lo
	v_cmpx_gt_u32_e32 8, v56
; %bb.53:                               ;   in Loop: Header=BB317_9 Depth=1
	v_ffbh_u32_e32 v54, v1
	v_min_u32_e32 v54, 32, v54
	v_subrev_nc_u32_e32 v56, 28, v54
	v_sub_nc_u32_e32 v54, 29, v54
	v_lshlrev_b64 v[56:57], v56, v[1:2]
	v_and_b32_e32 v1, 7, v56
; %bb.54:                               ;   in Loop: Header=BB317_9 Depth=1
	s_or_b32 exec_lo, exec_lo, s33
	v_lshlrev_b32_e32 v55, 16, v55
	v_lshlrev_b32_e32 v1, 20, v1
	v_lshl_add_u32 v54, v54, 23, 0x3c000000
	v_and_b32_e32 v55, 0x80000000, v55
	v_or3_b32 v54, v1, v55, v54
.LBB317_55:                             ;   in Loop: Header=BB317_9 Depth=1
	s_or_b32 exec_lo, exec_lo, s31
.LBB317_56:                             ;   in Loop: Header=BB317_9 Depth=1
	s_or_b32 exec_lo, exec_lo, s17
.LBB317_57:                             ;   in Loop: Header=BB317_9 Depth=1
	s_or_b32 exec_lo, exec_lo, s3
	global_load_ushort v1, v[7:8], off offset:136
	v_mov_b32_e32 v57, 0
	v_mov_b32_e32 v55, 0
	s_waitcnt vmcnt(0)
	v_and_b32_e32 v56, 0xffff, v1
	v_cmp_ne_u16_sdwa s2, v1, v2 src0_sel:BYTE_0 src1_sel:DWORD
	s_and_saveexec_b32 s3, s2
	s_cbranch_execz .LBB317_65
; %bb.58:                               ;   in Loop: Header=BB317_9 Depth=1
	v_cmp_ne_u16_sdwa s2, v56, v46 src0_sel:BYTE_0 src1_sel:DWORD
	v_bfrev_b32_e32 v55, 1
	s_and_saveexec_b32 s17, s2
	s_cbranch_execz .LBB317_64
; %bb.59:                               ;   in Loop: Header=BB317_9 Depth=1
	v_and_b32_e32 v58, 0x7f, v56
	v_mov_b32_e32 v55, 0x7f800001
	s_mov_b32 s31, exec_lo
	v_cmpx_ne_u32_e32 0x7f, v58
	s_cbranch_execz .LBB317_63
; %bb.60:                               ;   in Loop: Header=BB317_9 Depth=1
	v_and_b32_e32 v1, 7, v56
	v_lshrrev_b32_e32 v55, 3, v58
	s_mov_b32 s33, exec_lo
	v_cmpx_gt_u32_e32 8, v58
; %bb.61:                               ;   in Loop: Header=BB317_9 Depth=1
	v_ffbh_u32_e32 v55, v1
	v_min_u32_e32 v55, 32, v55
	v_subrev_nc_u32_e32 v58, 28, v55
	v_sub_nc_u32_e32 v55, 29, v55
	v_lshlrev_b64 v[58:59], v58, v[1:2]
	v_and_b32_e32 v1, 7, v58
; %bb.62:                               ;   in Loop: Header=BB317_9 Depth=1
	s_or_b32 exec_lo, exec_lo, s33
	v_lshlrev_b32_e32 v58, 24, v56
	v_lshlrev_b32_e32 v1, 20, v1
	v_lshl_add_u32 v55, v55, 23, 0x3c000000
	v_and_b32_e32 v58, 0x80000000, v58
	v_or3_b32 v55, v1, v58, v55
.LBB317_63:                             ;   in Loop: Header=BB317_9 Depth=1
	s_or_b32 exec_lo, exec_lo, s31
.LBB317_64:                             ;   in Loop: Header=BB317_9 Depth=1
	s_or_b32 exec_lo, exec_lo, s17
.LBB317_65:                             ;   in Loop: Header=BB317_9 Depth=1
	s_or_b32 exec_lo, exec_lo, s3
	v_cmp_ne_u16_sdwa s2, v56, v2 src0_sel:BYTE_1 src1_sel:DWORD
	s_and_saveexec_b32 s3, s2
	s_cbranch_execz .LBB317_73
; %bb.66:                               ;   in Loop: Header=BB317_9 Depth=1
	v_cmp_ne_u16_sdwa s2, v56, v46 src0_sel:BYTE_1 src1_sel:DWORD
	v_bfrev_b32_e32 v57, 1
	s_and_saveexec_b32 s17, s2
	s_cbranch_execz .LBB317_72
; %bb.67:                               ;   in Loop: Header=BB317_9 Depth=1
	v_and_b32_sdwa v1, v47, v56 dst_sel:DWORD dst_unused:UNUSED_PAD src0_sel:DWORD src1_sel:BYTE_1
	v_mov_b32_e32 v57, 0x7f800001
	s_mov_b32 s31, exec_lo
	v_and_b32_e32 v58, 0x7f, v1
	v_cmpx_ne_u32_e32 0x7f, v58
	s_cbranch_execz .LBB317_71
; %bb.68:                               ;   in Loop: Header=BB317_9 Depth=1
	v_and_b32_e32 v1, 7, v1
	v_lshrrev_b32_e32 v57, 3, v58
	s_mov_b32 s33, exec_lo
	v_cmpx_gt_u32_e32 8, v58
; %bb.69:                               ;   in Loop: Header=BB317_9 Depth=1
	v_ffbh_u32_e32 v57, v1
	v_min_u32_e32 v57, 32, v57
	v_subrev_nc_u32_e32 v58, 28, v57
	v_sub_nc_u32_e32 v57, 29, v57
	v_lshlrev_b64 v[58:59], v58, v[1:2]
	v_and_b32_e32 v1, 7, v58
; %bb.70:                               ;   in Loop: Header=BB317_9 Depth=1
	s_or_b32 exec_lo, exec_lo, s33
	v_lshlrev_b32_e32 v56, 16, v56
	v_lshlrev_b32_e32 v1, 20, v1
	v_lshl_add_u32 v57, v57, 23, 0x3c000000
	v_and_b32_e32 v56, 0x80000000, v56
	v_or3_b32 v57, v1, v56, v57
.LBB317_71:                             ;   in Loop: Header=BB317_9 Depth=1
	s_or_b32 exec_lo, exec_lo, s31
.LBB317_72:                             ;   in Loop: Header=BB317_9 Depth=1
	s_or_b32 exec_lo, exec_lo, s17
.LBB317_73:                             ;   in Loop: Header=BB317_9 Depth=1
	s_or_b32 exec_lo, exec_lo, s3
	global_load_ushort v1, v[7:8], off offset:256
	v_mov_b32_e32 v56, 0
	v_mov_b32_e32 v59, 0
	s_waitcnt vmcnt(0)
	v_and_b32_e32 v58, 0xffff, v1
	v_cmp_ne_u16_sdwa s2, v1, v2 src0_sel:BYTE_0 src1_sel:DWORD
	s_and_saveexec_b32 s3, s2
	s_cbranch_execz .LBB317_81
; %bb.74:                               ;   in Loop: Header=BB317_9 Depth=1
	v_cmp_ne_u16_sdwa s2, v58, v46 src0_sel:BYTE_0 src1_sel:DWORD
	v_bfrev_b32_e32 v59, 1
	s_and_saveexec_b32 s17, s2
	s_cbranch_execz .LBB317_80
; %bb.75:                               ;   in Loop: Header=BB317_9 Depth=1
	v_and_b32_e32 v60, 0x7f, v58
	v_mov_b32_e32 v59, 0x7f800001
	s_mov_b32 s31, exec_lo
	v_cmpx_ne_u32_e32 0x7f, v60
	s_cbranch_execz .LBB317_79
; %bb.76:                               ;   in Loop: Header=BB317_9 Depth=1
	v_and_b32_e32 v1, 7, v58
	v_lshrrev_b32_e32 v59, 3, v60
	s_mov_b32 s33, exec_lo
	v_cmpx_gt_u32_e32 8, v60
; %bb.77:                               ;   in Loop: Header=BB317_9 Depth=1
	v_ffbh_u32_e32 v59, v1
	v_min_u32_e32 v59, 32, v59
	v_subrev_nc_u32_e32 v60, 28, v59
	v_sub_nc_u32_e32 v59, 29, v59
	v_lshlrev_b64 v[60:61], v60, v[1:2]
	v_and_b32_e32 v1, 7, v60
; %bb.78:                               ;   in Loop: Header=BB317_9 Depth=1
	s_or_b32 exec_lo, exec_lo, s33
	v_lshlrev_b32_e32 v60, 24, v58
	v_lshlrev_b32_e32 v1, 20, v1
	v_lshl_add_u32 v59, v59, 23, 0x3c000000
	v_and_b32_e32 v60, 0x80000000, v60
	v_or3_b32 v59, v1, v60, v59
.LBB317_79:                             ;   in Loop: Header=BB317_9 Depth=1
	s_or_b32 exec_lo, exec_lo, s31
.LBB317_80:                             ;   in Loop: Header=BB317_9 Depth=1
	s_or_b32 exec_lo, exec_lo, s17
.LBB317_81:                             ;   in Loop: Header=BB317_9 Depth=1
	s_or_b32 exec_lo, exec_lo, s3
	v_cmp_ne_u16_sdwa s2, v58, v2 src0_sel:BYTE_1 src1_sel:DWORD
	s_and_saveexec_b32 s3, s2
	s_cbranch_execz .LBB317_89
; %bb.82:                               ;   in Loop: Header=BB317_9 Depth=1
	v_cmp_ne_u16_sdwa s2, v58, v46 src0_sel:BYTE_1 src1_sel:DWORD
	v_bfrev_b32_e32 v56, 1
	s_and_saveexec_b32 s17, s2
	s_cbranch_execz .LBB317_88
; %bb.83:                               ;   in Loop: Header=BB317_9 Depth=1
	v_and_b32_sdwa v1, v47, v58 dst_sel:DWORD dst_unused:UNUSED_PAD src0_sel:DWORD src1_sel:BYTE_1
	v_mov_b32_e32 v56, 0x7f800001
	s_mov_b32 s31, exec_lo
	v_and_b32_e32 v60, 0x7f, v1
	v_cmpx_ne_u32_e32 0x7f, v60
	s_cbranch_execz .LBB317_87
; %bb.84:                               ;   in Loop: Header=BB317_9 Depth=1
	v_and_b32_e32 v1, 7, v1
	v_lshrrev_b32_e32 v56, 3, v60
	s_mov_b32 s33, exec_lo
	v_cmpx_gt_u32_e32 8, v60
; %bb.85:                               ;   in Loop: Header=BB317_9 Depth=1
	v_ffbh_u32_e32 v56, v1
	v_min_u32_e32 v56, 32, v56
	v_subrev_nc_u32_e32 v60, 28, v56
	v_sub_nc_u32_e32 v56, 29, v56
	v_lshlrev_b64 v[60:61], v60, v[1:2]
	v_and_b32_e32 v1, 7, v60
; %bb.86:                               ;   in Loop: Header=BB317_9 Depth=1
	s_or_b32 exec_lo, exec_lo, s33
	v_lshlrev_b32_e32 v58, 16, v58
	v_lshlrev_b32_e32 v1, 20, v1
	v_lshl_add_u32 v56, v56, 23, 0x3c000000
	v_and_b32_e32 v58, 0x80000000, v58
	v_or3_b32 v56, v1, v58, v56
.LBB317_87:                             ;   in Loop: Header=BB317_9 Depth=1
	s_or_b32 exec_lo, exec_lo, s31
.LBB317_88:                             ;   in Loop: Header=BB317_9 Depth=1
	s_or_b32 exec_lo, exec_lo, s17
.LBB317_89:                             ;   in Loop: Header=BB317_9 Depth=1
	s_or_b32 exec_lo, exec_lo, s3
	global_load_ushort v1, v[7:8], off offset:264
	v_mov_b32_e32 v62, 0
	v_mov_b32_e32 v58, 0
	s_waitcnt vmcnt(0)
	v_and_b32_e32 v60, 0xffff, v1
	v_cmp_ne_u16_sdwa s2, v1, v2 src0_sel:BYTE_0 src1_sel:DWORD
	s_and_saveexec_b32 s3, s2
	s_cbranch_execz .LBB317_97
; %bb.90:                               ;   in Loop: Header=BB317_9 Depth=1
	v_cmp_ne_u16_sdwa s2, v60, v46 src0_sel:BYTE_0 src1_sel:DWORD
	v_bfrev_b32_e32 v58, 1
	s_and_saveexec_b32 s17, s2
	s_cbranch_execz .LBB317_96
; %bb.91:                               ;   in Loop: Header=BB317_9 Depth=1
	v_and_b32_e32 v61, 0x7f, v60
	v_mov_b32_e32 v58, 0x7f800001
	s_mov_b32 s31, exec_lo
	v_cmpx_ne_u32_e32 0x7f, v61
	s_cbranch_execz .LBB317_95
; %bb.92:                               ;   in Loop: Header=BB317_9 Depth=1
	v_and_b32_e32 v1, 7, v60
	v_lshrrev_b32_e32 v58, 3, v61
	s_mov_b32 s33, exec_lo
	v_cmpx_gt_u32_e32 8, v61
; %bb.93:                               ;   in Loop: Header=BB317_9 Depth=1
	v_ffbh_u32_e32 v58, v1
	v_min_u32_e32 v58, 32, v58
	v_subrev_nc_u32_e32 v61, 28, v58
	v_sub_nc_u32_e32 v58, 29, v58
	v_lshlrev_b64 v[63:64], v61, v[1:2]
	v_and_b32_e32 v1, 7, v63
; %bb.94:                               ;   in Loop: Header=BB317_9 Depth=1
	s_or_b32 exec_lo, exec_lo, s33
	v_lshlrev_b32_e32 v61, 24, v60
	v_lshlrev_b32_e32 v1, 20, v1
	v_lshl_add_u32 v58, v58, 23, 0x3c000000
	v_and_b32_e32 v61, 0x80000000, v61
	v_or3_b32 v58, v1, v61, v58
.LBB317_95:                             ;   in Loop: Header=BB317_9 Depth=1
	s_or_b32 exec_lo, exec_lo, s31
.LBB317_96:                             ;   in Loop: Header=BB317_9 Depth=1
	s_or_b32 exec_lo, exec_lo, s17
.LBB317_97:                             ;   in Loop: Header=BB317_9 Depth=1
	s_or_b32 exec_lo, exec_lo, s3
	v_cmp_ne_u16_sdwa s2, v60, v2 src0_sel:BYTE_1 src1_sel:DWORD
	s_and_saveexec_b32 s3, s2
	s_cbranch_execz .LBB317_105
; %bb.98:                               ;   in Loop: Header=BB317_9 Depth=1
	v_cmp_ne_u16_sdwa s2, v60, v46 src0_sel:BYTE_1 src1_sel:DWORD
	v_bfrev_b32_e32 v62, 1
	s_and_saveexec_b32 s17, s2
	s_cbranch_execz .LBB317_104
; %bb.99:                               ;   in Loop: Header=BB317_9 Depth=1
	v_and_b32_sdwa v1, v47, v60 dst_sel:DWORD dst_unused:UNUSED_PAD src0_sel:DWORD src1_sel:BYTE_1
	v_mov_b32_e32 v62, 0x7f800001
	s_mov_b32 s31, exec_lo
	v_and_b32_e32 v63, 0x7f, v1
	v_cmpx_ne_u32_e32 0x7f, v63
	s_cbranch_execz .LBB317_103
; %bb.100:                              ;   in Loop: Header=BB317_9 Depth=1
	v_and_b32_e32 v1, 7, v1
	v_lshrrev_b32_e32 v61, 3, v63
	s_mov_b32 s33, exec_lo
	v_cmpx_gt_u32_e32 8, v63
; %bb.101:                              ;   in Loop: Header=BB317_9 Depth=1
	v_ffbh_u32_e32 v61, v1
	v_min_u32_e32 v61, 32, v61
	v_subrev_nc_u32_e32 v62, 28, v61
	v_sub_nc_u32_e32 v61, 29, v61
	v_lshlrev_b64 v[62:63], v62, v[1:2]
	v_and_b32_e32 v1, 7, v62
; %bb.102:                              ;   in Loop: Header=BB317_9 Depth=1
	s_or_b32 exec_lo, exec_lo, s33
	v_lshlrev_b32_e32 v60, 16, v60
	v_lshlrev_b32_e32 v1, 20, v1
	v_lshl_add_u32 v61, v61, 23, 0x3c000000
	v_and_b32_e32 v60, 0x80000000, v60
	v_or3_b32 v62, v1, v60, v61
.LBB317_103:                            ;   in Loop: Header=BB317_9 Depth=1
	s_or_b32 exec_lo, exec_lo, s31
.LBB317_104:                            ;   in Loop: Header=BB317_9 Depth=1
	s_or_b32 exec_lo, exec_lo, s17
.LBB317_105:                            ;   in Loop: Header=BB317_9 Depth=1
	s_or_b32 exec_lo, exec_lo, s3
	global_load_ushort v1, v[7:8], off offset:384
	v_mov_b32_e32 v61, 0
	v_mov_b32_e32 v60, 0
	s_waitcnt vmcnt(0)
	v_and_b32_e32 v63, 0xffff, v1
	v_cmp_ne_u16_sdwa s2, v1, v2 src0_sel:BYTE_0 src1_sel:DWORD
	s_and_saveexec_b32 s3, s2
	s_cbranch_execz .LBB317_113
; %bb.106:                              ;   in Loop: Header=BB317_9 Depth=1
	v_cmp_ne_u16_sdwa s2, v63, v46 src0_sel:BYTE_0 src1_sel:DWORD
	v_bfrev_b32_e32 v60, 1
	s_and_saveexec_b32 s17, s2
	s_cbranch_execz .LBB317_112
; %bb.107:                              ;   in Loop: Header=BB317_9 Depth=1
	v_and_b32_e32 v64, 0x7f, v63
	v_mov_b32_e32 v60, 0x7f800001
	s_mov_b32 s31, exec_lo
	v_cmpx_ne_u32_e32 0x7f, v64
	s_cbranch_execz .LBB317_111
; %bb.108:                              ;   in Loop: Header=BB317_9 Depth=1
	v_and_b32_e32 v1, 7, v63
	v_lshrrev_b32_e32 v60, 3, v64
	s_mov_b32 s33, exec_lo
	v_cmpx_gt_u32_e32 8, v64
; %bb.109:                              ;   in Loop: Header=BB317_9 Depth=1
	v_ffbh_u32_e32 v60, v1
	v_min_u32_e32 v60, 32, v60
	v_subrev_nc_u32_e32 v64, 28, v60
	v_sub_nc_u32_e32 v60, 29, v60
	v_lshlrev_b64 v[64:65], v64, v[1:2]
	v_and_b32_e32 v1, 7, v64
; %bb.110:                              ;   in Loop: Header=BB317_9 Depth=1
	s_or_b32 exec_lo, exec_lo, s33
	v_lshlrev_b32_e32 v64, 24, v63
	v_lshlrev_b32_e32 v1, 20, v1
	v_lshl_add_u32 v60, v60, 23, 0x3c000000
	v_and_b32_e32 v64, 0x80000000, v64
	v_or3_b32 v60, v1, v64, v60
.LBB317_111:                            ;   in Loop: Header=BB317_9 Depth=1
	s_or_b32 exec_lo, exec_lo, s31
.LBB317_112:                            ;   in Loop: Header=BB317_9 Depth=1
	s_or_b32 exec_lo, exec_lo, s17
.LBB317_113:                            ;   in Loop: Header=BB317_9 Depth=1
	s_or_b32 exec_lo, exec_lo, s3
	v_cmp_ne_u16_sdwa s2, v63, v2 src0_sel:BYTE_1 src1_sel:DWORD
	s_and_saveexec_b32 s3, s2
	s_cbranch_execz .LBB317_121
; %bb.114:                              ;   in Loop: Header=BB317_9 Depth=1
	v_cmp_ne_u16_sdwa s2, v63, v46 src0_sel:BYTE_1 src1_sel:DWORD
	v_bfrev_b32_e32 v61, 1
	s_and_saveexec_b32 s17, s2
	s_cbranch_execz .LBB317_120
; %bb.115:                              ;   in Loop: Header=BB317_9 Depth=1
	v_and_b32_sdwa v1, v47, v63 dst_sel:DWORD dst_unused:UNUSED_PAD src0_sel:DWORD src1_sel:BYTE_1
	v_mov_b32_e32 v61, 0x7f800001
	s_mov_b32 s31, exec_lo
	v_and_b32_e32 v64, 0x7f, v1
	v_cmpx_ne_u32_e32 0x7f, v64
	s_cbranch_execz .LBB317_119
; %bb.116:                              ;   in Loop: Header=BB317_9 Depth=1
	v_and_b32_e32 v1, 7, v1
	v_lshrrev_b32_e32 v61, 3, v64
	s_mov_b32 s33, exec_lo
	v_cmpx_gt_u32_e32 8, v64
; %bb.117:                              ;   in Loop: Header=BB317_9 Depth=1
	v_ffbh_u32_e32 v61, v1
	v_min_u32_e32 v61, 32, v61
	v_subrev_nc_u32_e32 v64, 28, v61
	v_sub_nc_u32_e32 v61, 29, v61
	v_lshlrev_b64 v[64:65], v64, v[1:2]
	v_and_b32_e32 v1, 7, v64
; %bb.118:                              ;   in Loop: Header=BB317_9 Depth=1
	s_or_b32 exec_lo, exec_lo, s33
	v_lshlrev_b32_e32 v63, 16, v63
	v_lshlrev_b32_e32 v1, 20, v1
	v_lshl_add_u32 v61, v61, 23, 0x3c000000
	v_and_b32_e32 v63, 0x80000000, v63
	v_or3_b32 v61, v1, v63, v61
.LBB317_119:                            ;   in Loop: Header=BB317_9 Depth=1
	s_or_b32 exec_lo, exec_lo, s31
.LBB317_120:                            ;   in Loop: Header=BB317_9 Depth=1
	s_or_b32 exec_lo, exec_lo, s17
.LBB317_121:                            ;   in Loop: Header=BB317_9 Depth=1
	s_or_b32 exec_lo, exec_lo, s3
	global_load_ushort v1, v[7:8], off offset:392
	v_mov_b32_e32 v66, 0
	v_mov_b32_e32 v63, 0
	s_waitcnt vmcnt(0)
	v_and_b32_e32 v64, 0xffff, v1
	v_cmp_ne_u16_sdwa s2, v1, v2 src0_sel:BYTE_0 src1_sel:DWORD
	s_and_saveexec_b32 s3, s2
	s_cbranch_execz .LBB317_129
; %bb.122:                              ;   in Loop: Header=BB317_9 Depth=1
	v_cmp_ne_u16_sdwa s2, v64, v46 src0_sel:BYTE_0 src1_sel:DWORD
	v_bfrev_b32_e32 v63, 1
	s_and_saveexec_b32 s17, s2
	s_cbranch_execz .LBB317_128
; %bb.123:                              ;   in Loop: Header=BB317_9 Depth=1
	v_and_b32_e32 v65, 0x7f, v64
	v_mov_b32_e32 v63, 0x7f800001
	s_mov_b32 s31, exec_lo
	v_cmpx_ne_u32_e32 0x7f, v65
	s_cbranch_execz .LBB317_127
; %bb.124:                              ;   in Loop: Header=BB317_9 Depth=1
	v_and_b32_e32 v1, 7, v64
	v_lshrrev_b32_e32 v63, 3, v65
	s_mov_b32 s33, exec_lo
	v_cmpx_gt_u32_e32 8, v65
; %bb.125:                              ;   in Loop: Header=BB317_9 Depth=1
	v_ffbh_u32_e32 v63, v1
	v_min_u32_e32 v63, 32, v63
	v_subrev_nc_u32_e32 v65, 28, v63
	v_sub_nc_u32_e32 v63, 29, v63
	v_lshlrev_b64 v[67:68], v65, v[1:2]
	v_and_b32_e32 v1, 7, v67
; %bb.126:                              ;   in Loop: Header=BB317_9 Depth=1
	s_or_b32 exec_lo, exec_lo, s33
	v_lshlrev_b32_e32 v65, 24, v64
	v_lshlrev_b32_e32 v1, 20, v1
	v_lshl_add_u32 v63, v63, 23, 0x3c000000
	v_and_b32_e32 v65, 0x80000000, v65
	v_or3_b32 v63, v1, v65, v63
.LBB317_127:                            ;   in Loop: Header=BB317_9 Depth=1
	s_or_b32 exec_lo, exec_lo, s31
.LBB317_128:                            ;   in Loop: Header=BB317_9 Depth=1
	s_or_b32 exec_lo, exec_lo, s17
.LBB317_129:                            ;   in Loop: Header=BB317_9 Depth=1
	s_or_b32 exec_lo, exec_lo, s3
	v_cmp_ne_u16_sdwa s2, v64, v2 src0_sel:BYTE_1 src1_sel:DWORD
	s_and_saveexec_b32 s3, s2
	s_cbranch_execz .LBB317_137
; %bb.130:                              ;   in Loop: Header=BB317_9 Depth=1
	v_cmp_ne_u16_sdwa s2, v64, v46 src0_sel:BYTE_1 src1_sel:DWORD
	v_bfrev_b32_e32 v66, 1
	s_and_saveexec_b32 s17, s2
	s_cbranch_execz .LBB317_136
; %bb.131:                              ;   in Loop: Header=BB317_9 Depth=1
	v_and_b32_sdwa v1, v47, v64 dst_sel:DWORD dst_unused:UNUSED_PAD src0_sel:DWORD src1_sel:BYTE_1
	v_mov_b32_e32 v66, 0x7f800001
	s_mov_b32 s31, exec_lo
	v_and_b32_e32 v67, 0x7f, v1
	v_cmpx_ne_u32_e32 0x7f, v67
	s_cbranch_execz .LBB317_135
; %bb.132:                              ;   in Loop: Header=BB317_9 Depth=1
	v_and_b32_e32 v1, 7, v1
	v_lshrrev_b32_e32 v65, 3, v67
	s_mov_b32 s33, exec_lo
	v_cmpx_gt_u32_e32 8, v67
; %bb.133:                              ;   in Loop: Header=BB317_9 Depth=1
	v_ffbh_u32_e32 v65, v1
	v_min_u32_e32 v65, 32, v65
	v_subrev_nc_u32_e32 v66, 28, v65
	v_sub_nc_u32_e32 v65, 29, v65
	v_lshlrev_b64 v[66:67], v66, v[1:2]
	v_and_b32_e32 v1, 7, v66
; %bb.134:                              ;   in Loop: Header=BB317_9 Depth=1
	s_or_b32 exec_lo, exec_lo, s33
	v_lshlrev_b32_e32 v64, 16, v64
	v_lshlrev_b32_e32 v1, 20, v1
	v_lshl_add_u32 v65, v65, 23, 0x3c000000
	v_and_b32_e32 v64, 0x80000000, v64
	v_or3_b32 v66, v1, v64, v65
.LBB317_135:                            ;   in Loop: Header=BB317_9 Depth=1
	s_or_b32 exec_lo, exec_lo, s31
.LBB317_136:                            ;   in Loop: Header=BB317_9 Depth=1
	s_or_b32 exec_lo, exec_lo, s17
.LBB317_137:                            ;   in Loop: Header=BB317_9 Depth=1
	s_or_b32 exec_lo, exec_lo, s3
	global_load_ushort v1, v[7:8], off offset:512
	v_mov_b32_e32 v65, 0
	v_mov_b32_e32 v64, 0
	s_waitcnt vmcnt(0)
	v_and_b32_e32 v67, 0xffff, v1
	v_cmp_ne_u16_sdwa s2, v1, v2 src0_sel:BYTE_0 src1_sel:DWORD
	s_and_saveexec_b32 s3, s2
	s_cbranch_execz .LBB317_145
; %bb.138:                              ;   in Loop: Header=BB317_9 Depth=1
	v_cmp_ne_u16_sdwa s2, v67, v46 src0_sel:BYTE_0 src1_sel:DWORD
	v_bfrev_b32_e32 v64, 1
	s_and_saveexec_b32 s17, s2
	s_cbranch_execz .LBB317_144
; %bb.139:                              ;   in Loop: Header=BB317_9 Depth=1
	v_and_b32_e32 v68, 0x7f, v67
	v_mov_b32_e32 v64, 0x7f800001
	s_mov_b32 s31, exec_lo
	v_cmpx_ne_u32_e32 0x7f, v68
	s_cbranch_execz .LBB317_143
; %bb.140:                              ;   in Loop: Header=BB317_9 Depth=1
	v_and_b32_e32 v1, 7, v67
	v_lshrrev_b32_e32 v64, 3, v68
	s_mov_b32 s33, exec_lo
	v_cmpx_gt_u32_e32 8, v68
; %bb.141:                              ;   in Loop: Header=BB317_9 Depth=1
	v_ffbh_u32_e32 v64, v1
	v_min_u32_e32 v64, 32, v64
	v_subrev_nc_u32_e32 v68, 28, v64
	v_sub_nc_u32_e32 v64, 29, v64
	v_lshlrev_b64 v[68:69], v68, v[1:2]
	v_and_b32_e32 v1, 7, v68
; %bb.142:                              ;   in Loop: Header=BB317_9 Depth=1
	s_or_b32 exec_lo, exec_lo, s33
	v_lshlrev_b32_e32 v68, 24, v67
	v_lshlrev_b32_e32 v1, 20, v1
	v_lshl_add_u32 v64, v64, 23, 0x3c000000
	v_and_b32_e32 v68, 0x80000000, v68
	v_or3_b32 v64, v1, v68, v64
.LBB317_143:                            ;   in Loop: Header=BB317_9 Depth=1
	s_or_b32 exec_lo, exec_lo, s31
.LBB317_144:                            ;   in Loop: Header=BB317_9 Depth=1
	s_or_b32 exec_lo, exec_lo, s17
.LBB317_145:                            ;   in Loop: Header=BB317_9 Depth=1
	s_or_b32 exec_lo, exec_lo, s3
	v_cmp_ne_u16_sdwa s2, v67, v2 src0_sel:BYTE_1 src1_sel:DWORD
	s_and_saveexec_b32 s3, s2
	s_cbranch_execz .LBB317_153
; %bb.146:                              ;   in Loop: Header=BB317_9 Depth=1
	v_cmp_ne_u16_sdwa s2, v67, v46 src0_sel:BYTE_1 src1_sel:DWORD
	v_bfrev_b32_e32 v65, 1
	s_and_saveexec_b32 s17, s2
	s_cbranch_execz .LBB317_152
; %bb.147:                              ;   in Loop: Header=BB317_9 Depth=1
	v_and_b32_sdwa v1, v47, v67 dst_sel:DWORD dst_unused:UNUSED_PAD src0_sel:DWORD src1_sel:BYTE_1
	v_mov_b32_e32 v65, 0x7f800001
	s_mov_b32 s31, exec_lo
	v_and_b32_e32 v68, 0x7f, v1
	v_cmpx_ne_u32_e32 0x7f, v68
	s_cbranch_execz .LBB317_151
; %bb.148:                              ;   in Loop: Header=BB317_9 Depth=1
	v_and_b32_e32 v1, 7, v1
	v_lshrrev_b32_e32 v65, 3, v68
	s_mov_b32 s33, exec_lo
	v_cmpx_gt_u32_e32 8, v68
; %bb.149:                              ;   in Loop: Header=BB317_9 Depth=1
	v_ffbh_u32_e32 v65, v1
	v_min_u32_e32 v65, 32, v65
	v_subrev_nc_u32_e32 v68, 28, v65
	v_sub_nc_u32_e32 v65, 29, v65
	v_lshlrev_b64 v[68:69], v68, v[1:2]
	v_and_b32_e32 v1, 7, v68
; %bb.150:                              ;   in Loop: Header=BB317_9 Depth=1
	s_or_b32 exec_lo, exec_lo, s33
	v_lshlrev_b32_e32 v67, 16, v67
	v_lshlrev_b32_e32 v1, 20, v1
	v_lshl_add_u32 v65, v65, 23, 0x3c000000
	v_and_b32_e32 v67, 0x80000000, v67
	v_or3_b32 v65, v1, v67, v65
.LBB317_151:                            ;   in Loop: Header=BB317_9 Depth=1
	s_or_b32 exec_lo, exec_lo, s31
.LBB317_152:                            ;   in Loop: Header=BB317_9 Depth=1
	s_or_b32 exec_lo, exec_lo, s17
.LBB317_153:                            ;   in Loop: Header=BB317_9 Depth=1
	s_or_b32 exec_lo, exec_lo, s3
	global_load_ushort v1, v[7:8], off offset:520
	v_mov_b32_e32 v68, 0
	v_mov_b32_e32 v67, 0
	s_waitcnt vmcnt(0)
	v_and_b32_e32 v69, 0xffff, v1
	v_cmp_ne_u16_sdwa s2, v1, v2 src0_sel:BYTE_0 src1_sel:DWORD
	s_and_saveexec_b32 s3, s2
	s_cbranch_execz .LBB317_161
; %bb.154:                              ;   in Loop: Header=BB317_9 Depth=1
	v_cmp_ne_u16_sdwa s2, v69, v46 src0_sel:BYTE_0 src1_sel:DWORD
	v_bfrev_b32_e32 v67, 1
	s_and_saveexec_b32 s17, s2
	s_cbranch_execz .LBB317_160
; %bb.155:                              ;   in Loop: Header=BB317_9 Depth=1
	v_and_b32_e32 v70, 0x7f, v69
	v_mov_b32_e32 v67, 0x7f800001
	s_mov_b32 s31, exec_lo
	v_cmpx_ne_u32_e32 0x7f, v70
	s_cbranch_execz .LBB317_159
; %bb.156:                              ;   in Loop: Header=BB317_9 Depth=1
	v_and_b32_e32 v1, 7, v69
	v_lshrrev_b32_e32 v67, 3, v70
	s_mov_b32 s33, exec_lo
	v_cmpx_gt_u32_e32 8, v70
; %bb.157:                              ;   in Loop: Header=BB317_9 Depth=1
	v_ffbh_u32_e32 v67, v1
	v_min_u32_e32 v67, 32, v67
	v_subrev_nc_u32_e32 v70, 28, v67
	v_sub_nc_u32_e32 v67, 29, v67
	v_lshlrev_b64 v[70:71], v70, v[1:2]
	v_and_b32_e32 v1, 7, v70
; %bb.158:                              ;   in Loop: Header=BB317_9 Depth=1
	s_or_b32 exec_lo, exec_lo, s33
	v_lshlrev_b32_e32 v70, 24, v69
	v_lshlrev_b32_e32 v1, 20, v1
	v_lshl_add_u32 v67, v67, 23, 0x3c000000
	v_and_b32_e32 v70, 0x80000000, v70
	v_or3_b32 v67, v1, v70, v67
.LBB317_159:                            ;   in Loop: Header=BB317_9 Depth=1
	s_or_b32 exec_lo, exec_lo, s31
.LBB317_160:                            ;   in Loop: Header=BB317_9 Depth=1
	s_or_b32 exec_lo, exec_lo, s17
.LBB317_161:                            ;   in Loop: Header=BB317_9 Depth=1
	s_or_b32 exec_lo, exec_lo, s3
	v_cmp_ne_u16_sdwa s2, v69, v2 src0_sel:BYTE_1 src1_sel:DWORD
	s_and_saveexec_b32 s3, s2
	s_cbranch_execz .LBB317_169
; %bb.162:                              ;   in Loop: Header=BB317_9 Depth=1
	v_cmp_ne_u16_sdwa s2, v69, v46 src0_sel:BYTE_1 src1_sel:DWORD
	v_bfrev_b32_e32 v68, 1
	s_and_saveexec_b32 s17, s2
	s_cbranch_execz .LBB317_168
; %bb.163:                              ;   in Loop: Header=BB317_9 Depth=1
	v_and_b32_sdwa v1, v47, v69 dst_sel:DWORD dst_unused:UNUSED_PAD src0_sel:DWORD src1_sel:BYTE_1
	v_mov_b32_e32 v68, 0x7f800001
	s_mov_b32 s31, exec_lo
	v_and_b32_e32 v70, 0x7f, v1
	v_cmpx_ne_u32_e32 0x7f, v70
	s_cbranch_execz .LBB317_167
; %bb.164:                              ;   in Loop: Header=BB317_9 Depth=1
	v_and_b32_e32 v1, 7, v1
	v_lshrrev_b32_e32 v68, 3, v70
	s_mov_b32 s33, exec_lo
	v_cmpx_gt_u32_e32 8, v70
; %bb.165:                              ;   in Loop: Header=BB317_9 Depth=1
	v_ffbh_u32_e32 v68, v1
	v_min_u32_e32 v68, 32, v68
	v_subrev_nc_u32_e32 v70, 28, v68
	v_sub_nc_u32_e32 v68, 29, v68
	v_lshlrev_b64 v[70:71], v70, v[1:2]
	v_and_b32_e32 v1, 7, v70
; %bb.166:                              ;   in Loop: Header=BB317_9 Depth=1
	s_or_b32 exec_lo, exec_lo, s33
	v_lshlrev_b32_e32 v69, 16, v69
	v_lshlrev_b32_e32 v1, 20, v1
	v_lshl_add_u32 v68, v68, 23, 0x3c000000
	v_and_b32_e32 v69, 0x80000000, v69
	v_or3_b32 v68, v1, v69, v68
.LBB317_167:                            ;   in Loop: Header=BB317_9 Depth=1
	s_or_b32 exec_lo, exec_lo, s31
.LBB317_168:                            ;   in Loop: Header=BB317_9 Depth=1
	s_or_b32 exec_lo, exec_lo, s17
.LBB317_169:                            ;   in Loop: Header=BB317_9 Depth=1
	s_or_b32 exec_lo, exec_lo, s3
	global_load_ushort v1, v[7:8], off offset:640
	v_mov_b32_e32 v70, 0
	v_mov_b32_e32 v69, 0
	s_waitcnt vmcnt(0)
	v_and_b32_e32 v71, 0xffff, v1
	v_cmp_ne_u16_sdwa s2, v1, v2 src0_sel:BYTE_0 src1_sel:DWORD
	s_and_saveexec_b32 s3, s2
	s_cbranch_execz .LBB317_177
; %bb.170:                              ;   in Loop: Header=BB317_9 Depth=1
	v_cmp_ne_u16_sdwa s2, v71, v46 src0_sel:BYTE_0 src1_sel:DWORD
	v_bfrev_b32_e32 v69, 1
	s_and_saveexec_b32 s17, s2
	s_cbranch_execz .LBB317_176
; %bb.171:                              ;   in Loop: Header=BB317_9 Depth=1
	v_and_b32_e32 v72, 0x7f, v71
	v_mov_b32_e32 v69, 0x7f800001
	s_mov_b32 s31, exec_lo
	v_cmpx_ne_u32_e32 0x7f, v72
	s_cbranch_execz .LBB317_175
; %bb.172:                              ;   in Loop: Header=BB317_9 Depth=1
	v_and_b32_e32 v1, 7, v71
	v_lshrrev_b32_e32 v69, 3, v72
	s_mov_b32 s33, exec_lo
	v_cmpx_gt_u32_e32 8, v72
; %bb.173:                              ;   in Loop: Header=BB317_9 Depth=1
	v_ffbh_u32_e32 v69, v1
	v_min_u32_e32 v69, 32, v69
	v_subrev_nc_u32_e32 v72, 28, v69
	v_sub_nc_u32_e32 v69, 29, v69
	v_lshlrev_b64 v[72:73], v72, v[1:2]
	v_and_b32_e32 v1, 7, v72
; %bb.174:                              ;   in Loop: Header=BB317_9 Depth=1
	s_or_b32 exec_lo, exec_lo, s33
	v_lshlrev_b32_e32 v72, 24, v71
	v_lshlrev_b32_e32 v1, 20, v1
	v_lshl_add_u32 v69, v69, 23, 0x3c000000
	v_and_b32_e32 v72, 0x80000000, v72
	v_or3_b32 v69, v1, v72, v69
.LBB317_175:                            ;   in Loop: Header=BB317_9 Depth=1
	s_or_b32 exec_lo, exec_lo, s31
.LBB317_176:                            ;   in Loop: Header=BB317_9 Depth=1
	s_or_b32 exec_lo, exec_lo, s17
.LBB317_177:                            ;   in Loop: Header=BB317_9 Depth=1
	s_or_b32 exec_lo, exec_lo, s3
	v_cmp_ne_u16_sdwa s2, v71, v2 src0_sel:BYTE_1 src1_sel:DWORD
	s_and_saveexec_b32 s3, s2
	s_cbranch_execz .LBB317_185
; %bb.178:                              ;   in Loop: Header=BB317_9 Depth=1
	v_cmp_ne_u16_sdwa s2, v71, v46 src0_sel:BYTE_1 src1_sel:DWORD
	v_bfrev_b32_e32 v70, 1
	s_and_saveexec_b32 s17, s2
	s_cbranch_execz .LBB317_184
; %bb.179:                              ;   in Loop: Header=BB317_9 Depth=1
	v_and_b32_sdwa v1, v47, v71 dst_sel:DWORD dst_unused:UNUSED_PAD src0_sel:DWORD src1_sel:BYTE_1
	v_mov_b32_e32 v70, 0x7f800001
	s_mov_b32 s31, exec_lo
	v_and_b32_e32 v72, 0x7f, v1
	v_cmpx_ne_u32_e32 0x7f, v72
	s_cbranch_execz .LBB317_183
; %bb.180:                              ;   in Loop: Header=BB317_9 Depth=1
	v_and_b32_e32 v1, 7, v1
	v_lshrrev_b32_e32 v70, 3, v72
	s_mov_b32 s33, exec_lo
	v_cmpx_gt_u32_e32 8, v72
; %bb.181:                              ;   in Loop: Header=BB317_9 Depth=1
	v_ffbh_u32_e32 v70, v1
	v_min_u32_e32 v70, 32, v70
	v_subrev_nc_u32_e32 v72, 28, v70
	v_sub_nc_u32_e32 v70, 29, v70
	v_lshlrev_b64 v[72:73], v72, v[1:2]
	v_and_b32_e32 v1, 7, v72
; %bb.182:                              ;   in Loop: Header=BB317_9 Depth=1
	s_or_b32 exec_lo, exec_lo, s33
	v_lshlrev_b32_e32 v71, 16, v71
	v_lshlrev_b32_e32 v1, 20, v1
	v_lshl_add_u32 v70, v70, 23, 0x3c000000
	v_and_b32_e32 v71, 0x80000000, v71
	v_or3_b32 v70, v1, v71, v70
.LBB317_183:                            ;   in Loop: Header=BB317_9 Depth=1
	s_or_b32 exec_lo, exec_lo, s31
.LBB317_184:                            ;   in Loop: Header=BB317_9 Depth=1
	s_or_b32 exec_lo, exec_lo, s17
.LBB317_185:                            ;   in Loop: Header=BB317_9 Depth=1
	s_or_b32 exec_lo, exec_lo, s3
	global_load_ushort v1, v[7:8], off offset:648
	v_mov_b32_e32 v72, 0
	v_mov_b32_e32 v71, 0
	s_waitcnt vmcnt(0)
	v_and_b32_e32 v73, 0xffff, v1
	v_cmp_ne_u16_sdwa s2, v1, v2 src0_sel:BYTE_0 src1_sel:DWORD
	s_and_saveexec_b32 s3, s2
	s_cbranch_execz .LBB317_193
; %bb.186:                              ;   in Loop: Header=BB317_9 Depth=1
	v_cmp_ne_u16_sdwa s2, v73, v46 src0_sel:BYTE_0 src1_sel:DWORD
	v_bfrev_b32_e32 v71, 1
	s_and_saveexec_b32 s17, s2
	s_cbranch_execz .LBB317_192
; %bb.187:                              ;   in Loop: Header=BB317_9 Depth=1
	v_and_b32_e32 v74, 0x7f, v73
	v_mov_b32_e32 v71, 0x7f800001
	s_mov_b32 s31, exec_lo
	v_cmpx_ne_u32_e32 0x7f, v74
	s_cbranch_execz .LBB317_191
; %bb.188:                              ;   in Loop: Header=BB317_9 Depth=1
	v_and_b32_e32 v1, 7, v73
	v_lshrrev_b32_e32 v71, 3, v74
	s_mov_b32 s33, exec_lo
	v_cmpx_gt_u32_e32 8, v74
; %bb.189:                              ;   in Loop: Header=BB317_9 Depth=1
	v_ffbh_u32_e32 v71, v1
	v_min_u32_e32 v71, 32, v71
	v_subrev_nc_u32_e32 v74, 28, v71
	v_sub_nc_u32_e32 v71, 29, v71
	v_lshlrev_b64 v[74:75], v74, v[1:2]
	v_and_b32_e32 v1, 7, v74
; %bb.190:                              ;   in Loop: Header=BB317_9 Depth=1
	s_or_b32 exec_lo, exec_lo, s33
	v_lshlrev_b32_e32 v74, 24, v73
	v_lshlrev_b32_e32 v1, 20, v1
	v_lshl_add_u32 v71, v71, 23, 0x3c000000
	v_and_b32_e32 v74, 0x80000000, v74
	v_or3_b32 v71, v1, v74, v71
.LBB317_191:                            ;   in Loop: Header=BB317_9 Depth=1
	s_or_b32 exec_lo, exec_lo, s31
.LBB317_192:                            ;   in Loop: Header=BB317_9 Depth=1
	s_or_b32 exec_lo, exec_lo, s17
.LBB317_193:                            ;   in Loop: Header=BB317_9 Depth=1
	s_or_b32 exec_lo, exec_lo, s3
	v_cmp_ne_u16_sdwa s2, v73, v2 src0_sel:BYTE_1 src1_sel:DWORD
	s_and_saveexec_b32 s3, s2
	s_cbranch_execz .LBB317_201
; %bb.194:                              ;   in Loop: Header=BB317_9 Depth=1
	v_cmp_ne_u16_sdwa s2, v73, v46 src0_sel:BYTE_1 src1_sel:DWORD
	v_bfrev_b32_e32 v72, 1
	s_and_saveexec_b32 s17, s2
	s_cbranch_execz .LBB317_200
; %bb.195:                              ;   in Loop: Header=BB317_9 Depth=1
	v_and_b32_sdwa v1, v47, v73 dst_sel:DWORD dst_unused:UNUSED_PAD src0_sel:DWORD src1_sel:BYTE_1
	v_mov_b32_e32 v72, 0x7f800001
	s_mov_b32 s31, exec_lo
	v_and_b32_e32 v74, 0x7f, v1
	v_cmpx_ne_u32_e32 0x7f, v74
	s_cbranch_execz .LBB317_199
; %bb.196:                              ;   in Loop: Header=BB317_9 Depth=1
	v_and_b32_e32 v1, 7, v1
	v_lshrrev_b32_e32 v72, 3, v74
	s_mov_b32 s33, exec_lo
	v_cmpx_gt_u32_e32 8, v74
; %bb.197:                              ;   in Loop: Header=BB317_9 Depth=1
	v_ffbh_u32_e32 v72, v1
	v_min_u32_e32 v72, 32, v72
	v_subrev_nc_u32_e32 v74, 28, v72
	v_sub_nc_u32_e32 v72, 29, v72
	v_lshlrev_b64 v[74:75], v74, v[1:2]
	v_and_b32_e32 v1, 7, v74
; %bb.198:                              ;   in Loop: Header=BB317_9 Depth=1
	s_or_b32 exec_lo, exec_lo, s33
	v_lshlrev_b32_e32 v73, 16, v73
	v_lshlrev_b32_e32 v1, 20, v1
	v_lshl_add_u32 v72, v72, 23, 0x3c000000
	v_and_b32_e32 v73, 0x80000000, v73
	v_or3_b32 v72, v1, v73, v72
.LBB317_199:                            ;   in Loop: Header=BB317_9 Depth=1
	s_or_b32 exec_lo, exec_lo, s31
.LBB317_200:                            ;   in Loop: Header=BB317_9 Depth=1
	s_or_b32 exec_lo, exec_lo, s17
.LBB317_201:                            ;   in Loop: Header=BB317_9 Depth=1
	s_or_b32 exec_lo, exec_lo, s3
	global_load_ushort v1, v[7:8], off offset:768
	v_mov_b32_e32 v74, 0
	v_mov_b32_e32 v73, 0
	s_waitcnt vmcnt(0)
	v_and_b32_e32 v75, 0xffff, v1
	v_cmp_ne_u16_sdwa s2, v1, v2 src0_sel:BYTE_0 src1_sel:DWORD
	s_and_saveexec_b32 s3, s2
	s_cbranch_execz .LBB317_209
; %bb.202:                              ;   in Loop: Header=BB317_9 Depth=1
	v_cmp_ne_u16_sdwa s2, v75, v46 src0_sel:BYTE_0 src1_sel:DWORD
	v_bfrev_b32_e32 v73, 1
	s_and_saveexec_b32 s17, s2
	s_cbranch_execz .LBB317_208
; %bb.203:                              ;   in Loop: Header=BB317_9 Depth=1
	v_and_b32_e32 v76, 0x7f, v75
	v_mov_b32_e32 v73, 0x7f800001
	s_mov_b32 s31, exec_lo
	v_cmpx_ne_u32_e32 0x7f, v76
	s_cbranch_execz .LBB317_207
; %bb.204:                              ;   in Loop: Header=BB317_9 Depth=1
	v_and_b32_e32 v1, 7, v75
	v_lshrrev_b32_e32 v73, 3, v76
	s_mov_b32 s33, exec_lo
	v_cmpx_gt_u32_e32 8, v76
; %bb.205:                              ;   in Loop: Header=BB317_9 Depth=1
	v_ffbh_u32_e32 v73, v1
	v_min_u32_e32 v73, 32, v73
	v_subrev_nc_u32_e32 v76, 28, v73
	v_sub_nc_u32_e32 v73, 29, v73
	v_lshlrev_b64 v[76:77], v76, v[1:2]
	v_and_b32_e32 v1, 7, v76
; %bb.206:                              ;   in Loop: Header=BB317_9 Depth=1
	s_or_b32 exec_lo, exec_lo, s33
	v_lshlrev_b32_e32 v76, 24, v75
	v_lshlrev_b32_e32 v1, 20, v1
	v_lshl_add_u32 v73, v73, 23, 0x3c000000
	v_and_b32_e32 v76, 0x80000000, v76
	v_or3_b32 v73, v1, v76, v73
.LBB317_207:                            ;   in Loop: Header=BB317_9 Depth=1
	s_or_b32 exec_lo, exec_lo, s31
.LBB317_208:                            ;   in Loop: Header=BB317_9 Depth=1
	s_or_b32 exec_lo, exec_lo, s17
.LBB317_209:                            ;   in Loop: Header=BB317_9 Depth=1
	s_or_b32 exec_lo, exec_lo, s3
	v_cmp_ne_u16_sdwa s2, v75, v2 src0_sel:BYTE_1 src1_sel:DWORD
	s_and_saveexec_b32 s3, s2
	s_cbranch_execz .LBB317_217
; %bb.210:                              ;   in Loop: Header=BB317_9 Depth=1
	v_cmp_ne_u16_sdwa s2, v75, v46 src0_sel:BYTE_1 src1_sel:DWORD
	v_bfrev_b32_e32 v74, 1
	s_and_saveexec_b32 s17, s2
	s_cbranch_execz .LBB317_216
; %bb.211:                              ;   in Loop: Header=BB317_9 Depth=1
	v_and_b32_sdwa v1, v47, v75 dst_sel:DWORD dst_unused:UNUSED_PAD src0_sel:DWORD src1_sel:BYTE_1
	v_mov_b32_e32 v74, 0x7f800001
	s_mov_b32 s31, exec_lo
	v_and_b32_e32 v76, 0x7f, v1
	v_cmpx_ne_u32_e32 0x7f, v76
	s_cbranch_execz .LBB317_215
; %bb.212:                              ;   in Loop: Header=BB317_9 Depth=1
	v_and_b32_e32 v1, 7, v1
	v_lshrrev_b32_e32 v74, 3, v76
	s_mov_b32 s33, exec_lo
	v_cmpx_gt_u32_e32 8, v76
; %bb.213:                              ;   in Loop: Header=BB317_9 Depth=1
	v_ffbh_u32_e32 v74, v1
	v_min_u32_e32 v74, 32, v74
	v_subrev_nc_u32_e32 v76, 28, v74
	v_sub_nc_u32_e32 v74, 29, v74
	v_lshlrev_b64 v[76:77], v76, v[1:2]
	v_and_b32_e32 v1, 7, v76
; %bb.214:                              ;   in Loop: Header=BB317_9 Depth=1
	s_or_b32 exec_lo, exec_lo, s33
	v_lshlrev_b32_e32 v75, 16, v75
	v_lshlrev_b32_e32 v1, 20, v1
	v_lshl_add_u32 v74, v74, 23, 0x3c000000
	v_and_b32_e32 v75, 0x80000000, v75
	v_or3_b32 v74, v1, v75, v74
.LBB317_215:                            ;   in Loop: Header=BB317_9 Depth=1
	s_or_b32 exec_lo, exec_lo, s31
.LBB317_216:                            ;   in Loop: Header=BB317_9 Depth=1
	s_or_b32 exec_lo, exec_lo, s17
.LBB317_217:                            ;   in Loop: Header=BB317_9 Depth=1
	s_or_b32 exec_lo, exec_lo, s3
	global_load_ushort v1, v[7:8], off offset:776
	v_mov_b32_e32 v7, 0
	v_mov_b32_e32 v75, 0
	s_waitcnt vmcnt(0)
	v_and_b32_e32 v8, 0xffff, v1
	v_cmp_ne_u16_sdwa s2, v1, v2 src0_sel:BYTE_0 src1_sel:DWORD
	s_and_saveexec_b32 s3, s2
	s_cbranch_execz .LBB317_225
; %bb.218:                              ;   in Loop: Header=BB317_9 Depth=1
	v_cmp_ne_u16_sdwa s2, v8, v46 src0_sel:BYTE_0 src1_sel:DWORD
	v_bfrev_b32_e32 v75, 1
	s_and_saveexec_b32 s17, s2
	s_cbranch_execz .LBB317_224
; %bb.219:                              ;   in Loop: Header=BB317_9 Depth=1
	v_and_b32_e32 v76, 0x7f, v8
	v_mov_b32_e32 v75, 0x7f800001
	s_mov_b32 s31, exec_lo
	v_cmpx_ne_u32_e32 0x7f, v76
	s_cbranch_execz .LBB317_223
; %bb.220:                              ;   in Loop: Header=BB317_9 Depth=1
	v_and_b32_e32 v1, 7, v8
	v_lshrrev_b32_e32 v75, 3, v76
	s_mov_b32 s33, exec_lo
	v_cmpx_gt_u32_e32 8, v76
; %bb.221:                              ;   in Loop: Header=BB317_9 Depth=1
	v_ffbh_u32_e32 v75, v1
	v_min_u32_e32 v75, 32, v75
	v_subrev_nc_u32_e32 v76, 28, v75
	v_sub_nc_u32_e32 v75, 29, v75
	v_lshlrev_b64 v[76:77], v76, v[1:2]
	v_and_b32_e32 v1, 7, v76
; %bb.222:                              ;   in Loop: Header=BB317_9 Depth=1
	s_or_b32 exec_lo, exec_lo, s33
	v_lshlrev_b32_e32 v76, 24, v8
	v_lshlrev_b32_e32 v1, 20, v1
	v_lshl_add_u32 v75, v75, 23, 0x3c000000
	v_and_b32_e32 v76, 0x80000000, v76
	v_or3_b32 v75, v1, v76, v75
.LBB317_223:                            ;   in Loop: Header=BB317_9 Depth=1
	s_or_b32 exec_lo, exec_lo, s31
.LBB317_224:                            ;   in Loop: Header=BB317_9 Depth=1
	s_or_b32 exec_lo, exec_lo, s17
.LBB317_225:                            ;   in Loop: Header=BB317_9 Depth=1
	s_or_b32 exec_lo, exec_lo, s3
	v_cmp_ne_u16_sdwa s2, v8, v2 src0_sel:BYTE_1 src1_sel:DWORD
	s_and_saveexec_b32 s3, s2
	s_cbranch_execz .LBB317_233
; %bb.226:                              ;   in Loop: Header=BB317_9 Depth=1
	v_cmp_ne_u16_sdwa s2, v8, v46 src0_sel:BYTE_1 src1_sel:DWORD
	v_bfrev_b32_e32 v7, 1
	s_and_saveexec_b32 s17, s2
	s_cbranch_execz .LBB317_232
; %bb.227:                              ;   in Loop: Header=BB317_9 Depth=1
	v_and_b32_sdwa v1, v47, v8 dst_sel:DWORD dst_unused:UNUSED_PAD src0_sel:DWORD src1_sel:BYTE_1
	v_mov_b32_e32 v7, 0x7f800001
	s_mov_b32 s31, exec_lo
	v_and_b32_e32 v76, 0x7f, v1
	v_cmpx_ne_u32_e32 0x7f, v76
	s_cbranch_execz .LBB317_231
; %bb.228:                              ;   in Loop: Header=BB317_9 Depth=1
	v_and_b32_e32 v1, 7, v1
	v_lshrrev_b32_e32 v7, 3, v76
	s_mov_b32 s33, exec_lo
	v_cmpx_gt_u32_e32 8, v76
; %bb.229:                              ;   in Loop: Header=BB317_9 Depth=1
	v_ffbh_u32_e32 v7, v1
	v_min_u32_e32 v7, 32, v7
	v_subrev_nc_u32_e32 v76, 28, v7
	v_sub_nc_u32_e32 v7, 29, v7
	v_lshlrev_b64 v[76:77], v76, v[1:2]
	v_and_b32_e32 v1, 7, v76
; %bb.230:                              ;   in Loop: Header=BB317_9 Depth=1
	s_or_b32 exec_lo, exec_lo, s33
	v_lshlrev_b32_e32 v8, 16, v8
	v_lshlrev_b32_e32 v1, 20, v1
	v_lshl_add_u32 v7, v7, 23, 0x3c000000
	v_and_b32_e32 v8, 0x80000000, v8
	v_or3_b32 v7, v1, v8, v7
.LBB317_231:                            ;   in Loop: Header=BB317_9 Depth=1
	s_or_b32 exec_lo, exec_lo, s31
.LBB317_232:                            ;   in Loop: Header=BB317_9 Depth=1
	s_or_b32 exec_lo, exec_lo, s17
.LBB317_233:                            ;   in Loop: Header=BB317_9 Depth=1
	s_or_b32 exec_lo, exec_lo, s3
	s_waitcnt lgkmcnt(0)
	v_mul_f32_e32 v74, s4, v74
	v_mul_f32_e32 v8, s4, v73
	;; [unrolled: 1-line block ×5, first 2 shown]
	v_bfe_u32 v72, v74, 16, 1
	v_or_b32_e32 v77, 0x400000, v74
	v_cmp_u_f32_e64 s2, v74, v74
	v_bfe_u32 v80, v73, 16, 1
	v_bfe_u32 v81, v79, 16, 1
	v_add3_u32 v78, v72, v74, 0x7fff
	v_mul_f32_e32 v62, s4, v62
	v_or_b32_e32 v85, 0x400000, v83
	v_mul_f32_e32 v87, s4, v59
	v_mul_f32_e32 v89, s4, v57
	v_cndmask_b32_e64 v74, v78, v77, s2
	v_mul_f32_e32 v77, s4, v70
	v_add3_u32 v70, v80, v73, 0x7fff
	v_mul_f32_e32 v78, s4, v69
	v_add3_u32 v80, v81, v79, 0x7fff
	v_or_b32_e32 v81, 0x400000, v79
	v_bfe_u32 v82, v77, 16, 1
	v_cmp_u_f32_e64 s2, v79, v79
	v_bfe_u32 v84, v78, 16, 1
	v_bfe_u32 v88, v62, 16, 1
	v_mul_f32_e32 v55, s4, v55
	v_mul_f32_e32 v54, s4, v54
	v_cndmask_b32_e64 v68, v80, v81, s2
	v_mul_f32_e32 v81, s4, v66
	v_add3_u32 v66, v82, v77, 0x7fff
	v_bfe_u32 v82, v83, 16, 1
	v_add3_u32 v80, v84, v78, 0x7fff
	v_cmp_u_f32_e64 s2, v83, v83
	v_bfe_u32 v84, v81, 16, 1
	v_or_b32_e32 v86, 0x400000, v81
	v_add3_u32 v82, v82, v83, 0x7fff
	v_add3_u32 v83, v88, v62, 0x7fff
	v_mul_f32_e32 v52, s4, v52
	v_add3_u32 v84, v84, v81, 0x7fff
	v_mul_f32_e32 v51, s4, v51
	v_cndmask_b32_e64 v57, v82, v85, s2
	v_cmp_u_f32_e64 s2, v81, v81
	v_bfe_u32 v82, v87, 16, 1
	v_bfe_u32 v81, v89, 16, 1
	v_or_b32_e32 v85, 0x400000, v87
	v_mul_f32_e32 v50, s4, v50
	v_cndmask_b32_e64 v59, v84, v86, s2
	v_or_b32_e32 v84, 0x400000, v62
	v_cmp_u_f32_e64 s2, v62, v62
	v_add3_u32 v82, v82, v87, 0x7fff
	v_add3_u32 v81, v81, v89, 0x7fff
	v_or_b32_e32 v86, 0x400000, v89
	v_mul_f32_e32 v49, s4, v49
	v_cndmask_b32_e64 v62, v83, v84, s2
	v_cmp_u_f32_e64 s2, v87, v87
	v_bfe_u32 v83, v55, 16, 1
	v_bfe_u32 v84, v54, 16, 1
	;; [unrolled: 1-line block ×3, first 2 shown]
	v_mul_f32_e32 v53, s4, v53
	v_cndmask_b32_e64 v82, v82, v85, s2
	v_cmp_u_f32_e64 s2, v89, v89
	v_add3_u32 v83, v83, v55, 0x7fff
	v_or_b32_e32 v85, 0x400000, v55
	v_add3_u32 v84, v84, v54, 0x7fff
	v_or_b32_e32 v88, 0x400000, v53
	v_cndmask_b32_e64 v81, v81, v86, s2
	v_cmp_u_f32_e64 s2, v55, v55
	v_or_b32_e32 v86, 0x400000, v54
	v_mul_f32_e32 v56, s4, v56
	v_mul_f32_e32 v58, s4, v58
	;; [unrolled: 1-line block ×3, first 2 shown]
	v_cndmask_b32_e64 v55, v83, v85, s2
	v_cmp_u_f32_e64 s2, v54, v54
	v_bfe_u32 v85, v51, 16, 1
	v_bfe_u32 v83, v53, 16, 1
	v_mul_f32_e32 v61, s4, v61
	v_and_b32_e32 v55, 0xffff0000, v55
	v_cndmask_b32_e64 v54, v84, v86, s2
	v_add3_u32 v84, v87, v52, 0x7fff
	v_or_b32_e32 v86, 0x400000, v52
	v_cmp_u_f32_e64 s2, v52, v52
	v_add3_u32 v85, v85, v51, 0x7fff
	v_or_b32_e32 v87, 0x400000, v51
	v_add3_u32 v83, v83, v53, 0x7fff
	v_and_b32_e32 v54, 0xffff0000, v54
	v_cndmask_b32_e64 v52, v84, v86, s2
	v_bfe_u32 v84, v50, 16, 1
	v_cmp_u_f32_e64 s2, v51, v51
	v_bfe_u32 v86, v49, 16, 1
	v_mul_f32_e32 v63, s4, v63
	v_and_b32_e32 v52, 0xffff0000, v52
	v_add3_u32 v84, v84, v50, 0x7fff
	v_cndmask_b32_e64 v51, v85, v87, s2
	v_or_b32_e32 v85, 0x400000, v50
	v_cmp_u_f32_e64 s2, v50, v50
	v_add3_u32 v86, v86, v49, 0x7fff
	v_or_b32_e32 v87, 0x400000, v49
	v_and_b32_e32 v51, 0xffff0000, v51
	v_mul_f32_e32 v52, v15, v52
	v_cndmask_b32_e64 v50, v84, v85, s2
	v_cmp_u_f32_e64 s2, v49, v49
	v_and_b32_e32 v81, 0xffff0000, v81
	v_mul_f32_e32 v51, v14, v51
	v_mul_f32_e32 v64, s4, v64
	v_and_b32_e32 v50, 0xffff0000, v50
	v_cndmask_b32_e64 v49, v86, v87, s2
	v_cmp_u_f32_e64 s2, v53, v53
	v_or_b32_e32 v86, 0x400000, v56
	v_bfe_u32 v87, v61, 16, 1
	v_fmac_f32_e32 v52, v13, v50
	v_and_b32_e32 v49, 0xffff0000, v49
	v_cndmask_b32_e64 v53, v83, v88, s2
	v_bfe_u32 v50, v56, 16, 1
	v_cmp_u_f32_e64 s2, v56, v56
	v_fmac_f32_e32 v52, v17, v54
	v_fmac_f32_e32 v51, v12, v49
	v_and_b32_e32 v49, 0xffff0000, v53
	v_add3_u32 v50, v50, v56, 0x7fff
	v_bfe_u32 v56, v58, 16, 1
	v_fmac_f32_e32 v52, v19, v81
	v_bfe_u32 v81, v63, 16, 1
	v_fmac_f32_e32 v51, v16, v49
	v_cndmask_b32_e64 v50, v50, v86, s2
	v_add3_u32 v56, v56, v58, 0x7fff
	v_or_b32_e32 v86, 0x400000, v58
	v_cmp_u_f32_e64 s2, v58, v58
	v_fmac_f32_e32 v51, v18, v55
	v_bfe_u32 v55, v60, 16, 1
	v_or_b32_e32 v58, 0x400000, v60
	v_and_b32_e32 v82, 0xffff0000, v82
	v_cndmask_b32_e64 v56, v56, v86, s2
	v_cmp_u_f32_e64 s2, v60, v60
	v_add3_u32 v55, v55, v60, 0x7fff
	v_add3_u32 v86, v87, v61, 0x7fff
	v_and_b32_e32 v50, 0xffff0000, v50
	v_mul_f32_e32 v65, s4, v65
	v_bfe_u32 v53, v64, 16, 1
	v_cndmask_b32_e64 v55, v55, v58, s2
	v_or_b32_e32 v58, 0x400000, v61
	v_cmp_u_f32_e64 s2, v61, v61
	v_add3_u32 v81, v81, v63, 0x7fff
	v_fmac_f32_e32 v51, v20, v82
	v_fmac_f32_e32 v52, v22, v50
	v_and_b32_e32 v50, 0xffff0000, v56
	v_cndmask_b32_e64 v58, v86, v58, s2
	v_or_b32_e32 v60, 0x400000, v63
	v_cmp_u_f32_e64 s2, v63, v63
	v_mul_f32_e32 v67, s4, v67
	v_bfe_u32 v83, v65, 16, 1
	v_add3_u32 v53, v53, v64, 0x7fff
	v_or_b32_e32 v54, 0x400000, v64
	v_fmac_f32_e32 v51, v23, v50
	v_and_b32_e32 v50, 0xffff0000, v55
	v_cndmask_b32_e64 v55, v81, v60, s2
	v_cmp_u_f32_e64 s2, v64, v64
	v_bfe_u32 v85, v67, 16, 1
	v_add3_u32 v83, v83, v65, 0x7fff
	v_or_b32_e32 v49, 0x400000, v65
	v_and_b32_e32 v56, 0xffff0000, v62
	v_cndmask_b32_e64 v53, v53, v54, s2
	v_cmp_u_f32_e64 s2, v65, v65
	v_add3_u32 v85, v85, v67, 0x7fff
	v_fmac_f32_e32 v51, v25, v50
	v_fmac_f32_e32 v52, v24, v56
	v_and_b32_e32 v56, 0xffff0000, v58
	v_and_b32_e32 v50, 0xffff0000, v55
	v_cndmask_b32_e64 v49, v83, v49, s2
	v_or_b32_e32 v55, 0x400000, v67
	v_cmp_u_f32_e64 s2, v67, v67
	v_or_b32_e32 v84, 0x400000, v78
	v_fmac_f32_e32 v52, v26, v56
	v_and_b32_e32 v54, 0xffff0000, v59
	v_fmac_f32_e32 v51, v27, v50
	v_and_b32_e32 v50, 0xffff0000, v53
	v_cndmask_b32_e64 v53, v85, v55, s2
	v_cmp_u_f32_e64 s2, v78, v78
	v_mul_f32_e32 v1, s4, v75
	v_or_b32_e32 v79, 0x400000, v77
	v_fmac_f32_e32 v52, v28, v54
	v_and_b32_e32 v49, 0xffff0000, v49
	v_cndmask_b32_e64 v54, v80, v84, s2
	v_cmp_u_f32_e64 s2, v77, v77
	v_bfe_u32 v75, v1, 16, 1
	v_bfe_u32 v76, v8, 16, 1
	v_or_b32_e32 v69, 0x400000, v73
	v_fmac_f32_e32 v51, v29, v50
	v_fmac_f32_e32 v52, v30, v49
	v_and_b32_e32 v49, 0xffff0000, v53
	v_and_b32_e32 v50, 0xffff0000, v57
	v_cndmask_b32_e64 v53, v66, v79, s2
	v_cmp_u_f32_e64 s2, v73, v73
	v_add3_u32 v72, v75, v1, 0x7fff
	v_add3_u32 v75, v76, v8, 0x7fff
	v_or_b32_e32 v76, 0x400000, v8
	v_mul_f32_e32 v7, s4, v7
	v_fmac_f32_e32 v52, v32, v50
	v_and_b32_e32 v50, 0xffff0000, v53
	v_cndmask_b32_e64 v53, v70, v69, s2
	v_cmp_u_f32_e64 s2, v8, v8
	v_or_b32_e32 v71, 0x400000, v1
	v_fmac_f32_e32 v51, v31, v49
	v_and_b32_e32 v49, 0xffff0000, v54
	v_bfe_u32 v54, v7, 16, 1
	v_cndmask_b32_e64 v8, v75, v76, s2
	v_cmp_u_f32_e64 s2, v1, v1
	v_fmac_f32_e32 v52, v34, v50
	v_fmac_f32_e32 v51, v33, v49
	v_and_b32_e32 v49, 0xffff0000, v68
	v_and_b32_e32 v50, 0xffff0000, v53
	v_add3_u32 v53, v54, v7, 0x7fff
	v_or_b32_e32 v54, 0x400000, v7
	v_cndmask_b32_e64 v1, v72, v71, s2
	v_cmp_u_f32_e64 s2, v7, v7
	v_fmac_f32_e32 v51, v35, v49
	v_fmac_f32_e32 v52, v36, v50
	v_and_b32_e32 v8, 0xffff0000, v8
	v_and_b32_e32 v49, 0xffff0000, v74
	v_cndmask_b32_e64 v7, v53, v54, s2
	v_and_b32_e32 v1, 0xffff0000, v1
	v_fmac_f32_e32 v51, v38, v8
	v_fmac_f32_e32 v52, v39, v49
	v_and_b32_e32 v7, 0xffff0000, v7
	v_fmac_f32_e32 v51, v40, v1
	v_fmac_f32_e32 v52, v41, v7
	v_add_f32_e32 v1, v51, v52
	ds_bpermute_b32 v7, v42, v1
	s_waitcnt lgkmcnt(0)
	v_add_f32_e32 v1, v1, v7
	ds_bpermute_b32 v7, v43, v1
	s_and_saveexec_b32 s3, vcc_lo
	s_cbranch_execz .LBB317_8
; %bb.234:                              ;   in Loop: Header=BB317_9 Depth=1
	v_add_nc_u32_e32 v8, s5, v44
	s_waitcnt lgkmcnt(0)
	v_add_f32_e32 v1, v1, v7
	v_cmp_gt_i32_e64 s2, s11, v44
	v_cvt_f32_i32_e32 v8, v8
	v_mul_f32_e32 v8, s28, v8
	v_cndmask_b32_e64 v7, 0, v8, s1
	v_max_f32_e32 v8, v37, v37
	v_fmac_f32_e32 v7, s29, v1
	v_max_f32_e32 v1, v8, v7
	v_cndmask_b32_e64 v7, 0, v7, s2
	v_cndmask_b32_e64 v37, v37, v1, s2
	ds_write_b32 v45, v7
	s_branch .LBB317_8
.LBB317_235:
	s_or_b32 exec_lo, exec_lo, s14
.LBB317_236:
	s_or_b32 exec_lo, exec_lo, s30
	v_xor_b32_e32 v1, 16, v10
	v_xor_b32_e32 v4, 8, v10
	v_max_f32_e32 v5, v37, v37
	v_and_b32_e32 v22, 31, v0
	v_cmp_lt_i32_e32 vcc_lo, v1, v11
	v_cndmask_b32_e32 v1, v10, v1, vcc_lo
	v_cmp_lt_i32_e32 vcc_lo, v4, v11
	v_lshlrev_b32_e32 v1, 2, v1
	v_cndmask_b32_e32 v4, v10, v4, vcc_lo
	ds_bpermute_b32 v3, v1, v37
	s_waitcnt lgkmcnt(0)
	v_max_f32_e32 v6, v3, v3
	v_lshlrev_b32_e32 v3, 2, v4
	v_max_f32_e32 v4, v5, v6
	v_xor_b32_e32 v6, 4, v10
	ds_bpermute_b32 v5, v3, v4
	v_cmp_lt_i32_e32 vcc_lo, v6, v11
	v_cndmask_b32_e32 v6, v10, v6, vcc_lo
	v_cmp_eq_u32_e32 vcc_lo, 0, v22
	v_lshlrev_b32_e32 v6, 2, v6
	s_waitcnt lgkmcnt(0)
	v_max_f32_e32 v5, v5, v5
	v_max_f32_e32 v5, v4, v5
	v_lshlrev_b32_e32 v4, 2, v21
	ds_bpermute_b32 v7, v6, v5
	s_and_saveexec_b32 s1, vcc_lo
	s_cbranch_execz .LBB317_238
; %bb.237:
	s_waitcnt lgkmcnt(0)
	v_max_f32_e32 v7, v7, v7
	v_max_f32_e32 v5, v5, v5
	;; [unrolled: 1-line block ×3, first 2 shown]
	ds_write_b32 v4, v5 offset:224
.LBB317_238:
	s_or_b32 exec_lo, exec_lo, s1
	v_cmp_gt_u32_e64 s1, 4, v22
	v_mov_b32_e32 v8, 0xff7fffff
	v_lshlrev_b32_e32 v5, 2, v22
	s_waitcnt lgkmcnt(0)
	s_barrier
	buffer_gl0_inv
	s_and_saveexec_b32 s2, s1
; %bb.239:
	ds_read_b32 v8, v5 offset:224
; %bb.240:
	s_or_b32 exec_lo, exec_lo, s2
	v_xor_b32_e32 v7, 2, v10
	v_xor_b32_e32 v13, 1, v10
	s_waitcnt lgkmcnt(0)
	v_max_f32_e32 v14, v8, v8
	v_lshlrev_b32_e32 v2, 2, v2
	v_lshl_add_u32 v23, v0, 2, 0x100
	v_cmp_lt_i32_e64 s2, v7, v11
	v_cndmask_b32_e64 v7, v10, v7, s2
	v_cmp_lt_i32_e64 s2, v13, v11
	v_lshlrev_b32_e32 v7, 2, v7
	ds_bpermute_b32 v12, v7, v8
	v_cndmask_b32_e64 v8, v10, v13, s2
	s_lshl_b32 s2, s12, 3
	s_min_i32 s4, s2, s11
	v_lshlrev_b32_e32 v8, 2, v8
	v_cmp_gt_i32_e64 s2, s4, v0
	s_waitcnt lgkmcnt(0)
	v_max_f32_e32 v11, v12, v12
	v_max_f32_e32 v11, v14, v11
	ds_bpermute_b32 v12, v8, v11
	s_waitcnt lgkmcnt(0)
	v_max_f32_e32 v12, v12, v12
	v_max_f32_e32 v11, v11, v12
	ds_bpermute_b32 v11, v2, v11
	v_mov_b32_e32 v2, 0
	s_and_saveexec_b32 s5, s2
	s_cbranch_execz .LBB317_244
; %bb.241:
	v_lshl_add_u32 v12, v0, 2, 0x100
	v_mov_b32_e32 v2, 0
	v_mov_b32_e32 v13, v0
	s_mov_b32 s14, 0
	.p2align	6
.LBB317_242:                            ; =>This Inner Loop Header: Depth=1
	ds_read_b32 v14, v12
	v_add_nc_u32_e32 v13, 0x80, v13
	v_cmp_le_i32_e64 s3, s4, v13
	s_or_b32 s14, s3, s14
	s_waitcnt lgkmcnt(0)
	v_sub_f32_e32 v14, v14, v11
	v_mul_f32_e32 v14, 0x3fb8aa3b, v14
	v_exp_f32_e32 v14, v14
	ds_write_b32 v12, v14
	v_add_f32_e32 v2, v2, v14
	v_add_nc_u32_e32 v12, 0x200, v12
	s_andn2_b32 exec_lo, exec_lo, s14
	s_cbranch_execnz .LBB317_242
; %bb.243:
	s_or_b32 exec_lo, exec_lo, s14
.LBB317_244:
	s_or_b32 exec_lo, exec_lo, s5
	ds_bpermute_b32 v1, v1, v2
	s_waitcnt lgkmcnt(0)
	v_add_f32_e32 v1, v2, v1
	ds_bpermute_b32 v2, v3, v1
	s_waitcnt lgkmcnt(0)
	v_add_f32_e32 v1, v1, v2
	ds_bpermute_b32 v2, v6, v1
	s_waitcnt lgkmcnt(0)
	v_add_f32_e32 v1, v1, v2
	ds_bpermute_b32 v2, v7, v1
	s_waitcnt lgkmcnt(0)
	v_add_f32_e32 v1, v1, v2
	ds_bpermute_b32 v2, v8, v1
	s_waitcnt lgkmcnt(0)
	v_add_f32_e32 v1, v1, v2
	s_and_saveexec_b32 s3, vcc_lo
; %bb.245:
	ds_write_b32 v4, v1 offset:240
; %bb.246:
	s_or_b32 exec_lo, exec_lo, s3
	s_waitcnt lgkmcnt(0)
	s_barrier
	buffer_gl0_inv
	s_and_saveexec_b32 s3, s1
; %bb.247:
	ds_read_b32 v1, v5 offset:240
; %bb.248:
	s_or_b32 exec_lo, exec_lo, s3
	s_waitcnt lgkmcnt(0)
	ds_bpermute_b32 v2, v7, v1
	v_lshlrev_b32_e32 v3, 2, v10
	s_waitcnt lgkmcnt(0)
	v_add_f32_e32 v1, v1, v2
	ds_bpermute_b32 v2, v8, v1
	s_waitcnt lgkmcnt(0)
	v_add_f32_e32 v1, v1, v2
	v_and_b32_e32 v2, 0xffffff80, v3
	ds_bpermute_b32 v1, v2, v1
	s_and_saveexec_b32 s1, s2
	s_cbranch_execz .LBB317_251
; %bb.249:
	s_waitcnt lgkmcnt(0)
	v_add_f32_e32 v2, 0x358637bd, v1
	s_mov_b32 s2, 0
	v_div_scale_f32 v1, null, v2, v2, 1.0
	v_div_scale_f32 v5, vcc_lo, 1.0, v2, 1.0
	v_rcp_f32_e32 v3, v1
	v_fma_f32 v4, -v1, v3, 1.0
	v_fmac_f32_e32 v3, v4, v3
	v_mul_f32_e32 v4, v5, v3
	v_fma_f32 v6, -v1, v4, v5
	v_fmac_f32_e32 v4, v6, v3
	v_fma_f32 v1, -v1, v4, v5
	v_div_fmas_f32 v3, v1, v3, v4
	v_mov_b32_e32 v1, v23
	v_div_fixup_f32 v2, v3, v2, 1.0
	v_mov_b32_e32 v3, v0
.LBB317_250:                            ; =>This Inner Loop Header: Depth=1
	ds_read_b32 v4, v1
	v_add_nc_u32_e32 v3, 0x80, v3
	v_cmp_le_i32_e32 vcc_lo, s4, v3
	s_or_b32 s2, vcc_lo, s2
	s_waitcnt lgkmcnt(0)
	v_mul_f32_e32 v4, v2, v4
	ds_write_b32 v1, v4
	v_add_nc_u32_e32 v1, 0x200, v1
	s_andn2_b32 exec_lo, exec_lo, s2
	s_cbranch_execnz .LBB317_250
.LBB317_251:
	s_or_b32 exec_lo, exec_lo, s1
	v_mov_b32_e32 v27, 0
	v_mov_b32_e32 v26, 0
	;; [unrolled: 1-line block ×4, first 2 shown]
	s_waitcnt lgkmcnt(0)
	s_barrier
	buffer_gl0_inv
	s_and_saveexec_b32 s14, s0
	s_cbranch_execz .LBB317_505
; %bb.252:
	s_load_dword s16, s[18:19], 0x0
	v_or_b32_e32 v1, 0x60, v22
	s_ashr_i32 s0, s15, 31
	s_add_u32 s2, s26, s15
	s_addc_u32 s3, s27, s0
	s_lshl_b64 s[0:1], s[24:25], 2
	v_cmp_gt_u32_e32 vcc_lo, 0x70, v1
	v_lshlrev_b32_e32 v29, 3, v1
	v_and_b32_e32 v1, 0x7c, v9
	s_add_i32 s15, s12, -1
	s_add_u32 s0, s22, s0
	s_addc_u32 s1, s23, s1
	v_lshlrev_b32_e32 v28, 3, v22
	v_add_co_u32 v11, s0, s0, v1
	v_mov_b32_e32 v10, 0
	v_lshl_or_b32 v30, v21, 3, 7
	v_lshl_add_u32 v31, v21, 5, 0x100
	v_add_co_ci_u32_e64 v12, null, s1, 0, s0
	v_mov_b32_e32 v32, 0x80
	v_mov_b32_e32 v33, 0xffff
	;; [unrolled: 1-line block ×10, first 2 shown]
	s_mov_b32 s4, -1
	s_mov_b32 s5, 0xffffff
	s_mov_b32 s17, 0
	s_branch .LBB317_255
.LBB317_253:                            ;   in Loop: Header=BB317_255 Depth=1
	s_or_b32 exec_lo, exec_lo, s1
	v_and_b32_e32 v46, 0xffff0000, v8
	v_lshlrev_b32_e32 v57, 16, v57
	v_lshlrev_b32_e32 v58, 16, v8
	;; [unrolled: 1-line block ×3, first 2 shown]
	v_and_b32_e32 v59, 0xffff0000, v7
	v_lshlrev_b32_e32 v9, 16, v9
	v_mul_f32_e32 v46, v46, v57
	v_lshlrev_b32_e32 v57, 16, v7
	v_lshlrev_b32_e32 v13, 16, v13
	v_mul_f32_e32 v14, v58, v14
	v_mul_f32_e32 v9, v59, v9
	v_bfe_u32 v58, v46, 16, 1
	v_or_b32_e32 v59, 0x400000, v46
	v_mul_f32_e32 v13, v57, v13
	v_bfe_u32 v57, v14, 16, 1
	v_cmp_u_f32_e64 s0, v46, v46
	v_add3_u32 v58, v58, v46, 0x7fff
	v_or_b32_e32 v60, 0x400000, v14
	v_bfe_u32 v61, v9, 16, 1
	v_add3_u32 v57, v57, v14, 0x7fff
	v_lshlrev_b32_e32 v2, 16, v2
	v_cndmask_b32_e64 v46, v58, v59, s0
	v_and_b32_e32 v58, 0xffff0000, v6
	v_cmp_u_f32_e64 s0, v14, v14
	v_or_b32_e32 v59, 0x400000, v9
	v_lshlrev_b32_e32 v1, 16, v1
	v_lshlrev_b32_e32 v4, 16, v4
	v_mul_f32_e32 v2, v58, v2
	v_cndmask_b32_e64 v14, v57, v60, s0
	v_add3_u32 v57, v61, v9, 0x7fff
	v_bfe_u32 v60, v13, 16, 1
	v_lshlrev_b32_e32 v58, 16, v6
	v_cmp_u_f32_e64 s0, v9, v9
	v_lshlrev_b32_e32 v61, 16, v5
	v_lshlrev_b32_e32 v3, 16, v3
	v_and_b32_e32 v14, 0xffff0000, v14
	v_mul_f32_e32 v1, v58, v1
	v_cndmask_b32_e64 v9, v57, v59, s0
	v_add3_u32 v57, v60, v13, 0x7fff
	v_or_b32_e32 v59, 0x400000, v13
	v_bfe_u32 v60, v2, 16, 1
	v_and_b32_e32 v58, 0xffff0000, v5
	v_cmp_u_f32_e64 s0, v13, v13
	v_mul_f32_e32 v3, v61, v3
	v_and_b32_e32 v46, 0xffff0000, v46
	v_and_b32_e32 v9, 0xffff0000, v9
	v_mul_f32_e32 v4, v58, v4
	v_cndmask_b32_e64 v13, v57, v59, s0
	v_bfe_u32 v57, v1, 16, 1
	v_add3_u32 v59, v60, v2, 0x7fff
	v_or_b32_e32 v58, 0x400000, v2
	v_cmp_u_f32_e64 s0, v2, v2
	v_or_b32_e32 v60, 0x400000, v1
	v_add3_u32 v57, v57, v1, 0x7fff
	v_bfe_u32 v62, v3, 16, 1
	v_bfe_u32 v61, v4, 16, 1
	v_cndmask_b32_e64 v2, v59, v58, s0
	v_cmp_u_f32_e64 s0, v1, v1
	v_or_b32_e32 v59, 0x400000, v3
	v_add3_u32 v58, v62, v3, 0x7fff
	v_and_b32_e32 v13, 0xffff0000, v13
	v_add_f32_e32 v14, v14, v46
	v_cndmask_b32_e64 v1, v57, v60, s0
	v_cmp_u_f32_e64 s0, v3, v3
	v_add3_u32 v57, v61, v4, 0x7fff
	v_or_b32_e32 v60, 0x400000, v4
	v_add_f32_e32 v9, v13, v9
	v_and_b32_e32 v1, 0xffff0000, v1
	v_cndmask_b32_e64 v3, v58, v59, s0
	v_cmp_u_f32_e64 s0, v4, v4
	v_and_b32_e32 v2, 0xffff0000, v2
	v_add_f32_e32 v9, v9, v14
	v_cndmask_b32_e64 v4, v57, v60, s0
	v_add_f32_e32 v1, v1, v2
	v_and_b32_e32 v2, 0xffff0000, v3
	v_and_b32_e32 v3, 0xffff0000, v4
	v_add_f32_e32 v1, v1, v9
	v_add_f32_e32 v2, v2, v3
	;; [unrolled: 1-line block ×4, first 2 shown]
.LBB317_254:                            ;   in Loop: Header=BB317_255 Depth=1
	s_or_b32 exec_lo, exec_lo, s18
	v_and_b32_e32 v1, 0xffff0000, v8
	v_lshlrev_b32_e32 v2, 16, v56
	v_lshlrev_b32_e32 v3, 16, v8
	;; [unrolled: 1-line block ×3, first 2 shown]
	v_and_b32_e32 v8, 0xffff0000, v7
	v_lshlrev_b32_e32 v9, 16, v53
	v_mul_f32_e32 v2, v1, v2
	v_lshlrev_b32_e32 v7, 16, v7
	v_mul_f32_e32 v4, v3, v4
	v_lshlrev_b32_e32 v13, 16, v54
	v_and_b32_e32 v46, 0xffff0000, v6
	v_bfe_u32 v14, v2, 16, 1
	v_lshlrev_b32_e32 v16, 16, v16
	v_bfe_u32 v53, v4, 16, 1
	v_or_b32_e32 v54, 0x400000, v2
	v_mul_f32_e32 v9, v8, v9
	v_add3_u32 v14, v14, v2, 0x7fff
	v_cmp_u_f32_e64 s0, v2, v2
	v_or_b32_e32 v55, 0x400000, v4
	v_add3_u32 v53, v53, v4, 0x7fff
	v_mul_f32_e32 v13, v7, v13
	v_mul_f32_e32 v16, v46, v16
	v_cndmask_b32_e64 v2, v14, v54, s0
	v_bfe_u32 v14, v9, 16, 1
	v_cmp_u_f32_e64 s0, v4, v4
	v_bfe_u32 v54, v13, 16, 1
	v_lshlrev_b32_e32 v6, 16, v6
	v_lshlrev_b32_e32 v15, 16, v15
	v_add3_u32 v14, v14, v9, 0x7fff
	v_cndmask_b32_e64 v4, v53, v55, s0
	v_or_b32_e32 v53, 0x400000, v9
	v_bfe_u32 v55, v16, 16, 1
	v_cmp_u_f32_e64 s0, v9, v9
	v_mul_f32_e32 v15, v6, v15
	v_lshlrev_b32_e32 v18, 16, v18
	v_or_b32_e32 v56, 0x400000, v16
	v_lshlrev_b32_e32 v17, 16, v17
	v_cndmask_b32_e64 v9, v14, v53, s0
	v_add3_u32 v14, v54, v13, 0x7fff
	v_or_b32_e32 v53, 0x400000, v13
	v_add3_u32 v54, v55, v16, 0x7fff
	v_and_b32_e32 v55, 0xffff0000, v5
	v_cmp_u_f32_e64 s0, v13, v13
	v_bfe_u32 v57, v15, 16, 1
	v_lshlrev_b32_e32 v5, 16, v5
	v_and_b32_e32 v4, 0xffff0000, v4
	v_and_b32_e32 v2, 0xffff0000, v2
	v_cndmask_b32_e64 v13, v14, v53, s0
	v_mul_f32_e32 v14, v55, v18
	v_cmp_u_f32_e64 s0, v16, v16
	v_add3_u32 v18, v57, v15, 0x7fff
	v_or_b32_e32 v53, 0x400000, v15
	v_mul_f32_e32 v17, v5, v17
	v_and_b32_e32 v13, 0xffff0000, v13
	v_cndmask_b32_e64 v16, v54, v56, s0
	v_bfe_u32 v54, v14, 16, 1
	v_cmp_u_f32_e64 s0, v15, v15
	v_and_b32_e32 v9, 0xffff0000, v9
	v_add_f32_e32 v2, v4, v2
	v_lshlrev_b32_e32 v20, 16, v20
	v_lshlrev_b32_e32 v19, 16, v19
	v_cndmask_b32_e64 v15, v18, v53, s0
	v_add3_u32 v18, v54, v14, 0x7fff
	v_or_b32_e32 v53, 0x400000, v14
	v_cmp_u_f32_e64 s0, v14, v14
	v_add_f32_e32 v4, v13, v9
	v_lshlrev_b32_e32 v13, 16, v52
	v_and_b32_e32 v9, 0xffff0000, v15
	v_and_b32_e32 v15, 0xffff0000, v16
	v_cndmask_b32_e64 v14, v18, v53, s0
	v_bfe_u32 v18, v17, 16, 1
	v_add_f32_e32 v2, v4, v2
	v_mul_f32_e32 v4, v1, v13
	v_cmp_u_f32_e64 s0, v17, v17
	v_add_f32_e32 v9, v9, v15
	v_add3_u32 v16, v18, v17, 0x7fff
	v_or_b32_e32 v18, 0x400000, v17
	v_lshlrev_b32_e32 v15, 16, v51
	v_or_b32_e32 v17, 0x400000, v4
	v_add_f32_e32 v2, v9, v2
	v_lshlrev_b32_e32 v9, 16, v48
	v_cndmask_b32_e64 v13, v16, v18, s0
	v_bfe_u32 v16, v4, 16, 1
	v_mul_f32_e32 v15, v3, v15
	v_cmp_u_f32_e64 s0, v4, v4
	v_mul_f32_e32 v9, v8, v9
	v_mul_f32_e32 v20, v46, v20
	v_add3_u32 v16, v16, v4, 0x7fff
	v_bfe_u32 v18, v15, 16, 1
	v_or_b32_e32 v48, 0x400000, v15
	v_mul_f32_e32 v19, v6, v19
	v_lshlrev_b32_e32 v45, 16, v45
	v_cndmask_b32_e64 v4, v16, v17, s0
	v_lshlrev_b32_e32 v17, 16, v50
	v_bfe_u32 v16, v9, 16, 1
	v_add3_u32 v18, v18, v15, 0x7fff
	v_cmp_u_f32_e64 s0, v15, v15
	v_or_b32_e32 v50, 0x400000, v9
	v_mul_f32_e32 v17, v7, v17
	v_add3_u32 v16, v16, v9, 0x7fff
	v_and_b32_e32 v4, 0xffff0000, v4
	v_cndmask_b32_e64 v15, v18, v48, s0
	v_cmp_u_f32_e64 s0, v9, v9
	v_bfe_u32 v18, v17, 16, 1
	v_lshlrev_b32_e32 v48, 16, v49
	v_or_b32_e32 v49, 0x400000, v17
	v_and_b32_e32 v15, 0xffff0000, v15
	v_cndmask_b32_e64 v9, v16, v50, s0
	v_bfe_u32 v16, v20, 16, 1
	v_add3_u32 v18, v18, v17, 0x7fff
	v_cmp_u_f32_e64 s0, v17, v17
	v_mul_f32_e32 v48, v55, v48
	v_or_b32_e32 v50, 0x400000, v20
	v_add3_u32 v16, v16, v20, 0x7fff
	v_and_b32_e32 v9, 0xffff0000, v9
	v_cndmask_b32_e64 v17, v18, v49, s0
	v_bfe_u32 v18, v19, 16, 1
	v_cmp_u_f32_e64 s0, v20, v20
	v_lshlrev_b32_e32 v20, 16, v47
	v_bfe_u32 v49, v48, 16, 1
	v_or_b32_e32 v47, 0x400000, v19
	v_add3_u32 v18, v18, v19, 0x7fff
	v_cndmask_b32_e64 v16, v16, v50, s0
	v_mul_f32_e32 v20, v5, v20
	v_cmp_u_f32_e64 s0, v19, v19
	v_add3_u32 v49, v49, v48, 0x7fff
	v_or_b32_e32 v50, 0x400000, v48
	v_and_b32_e32 v17, 0xffff0000, v17
	v_add_f32_e32 v4, v15, v4
	v_cndmask_b32_e64 v18, v18, v47, s0
	v_cmp_u_f32_e64 s0, v48, v48
	v_bfe_u32 v47, v20, 16, 1
	v_or_b32_e32 v48, 0x400000, v20
	v_add_f32_e32 v9, v17, v9
	v_and_b32_e32 v15, 0xffff0000, v18
	v_cndmask_b32_e64 v19, v49, v50, s0
	v_add3_u32 v47, v47, v20, 0x7fff
	v_and_b32_e32 v16, 0xffff0000, v16
	v_mul_f32_e32 v1, v1, v45
	v_lshlrev_b32_e32 v17, 16, v44
	v_cmp_u_f32_e64 s0, v20, v20
	v_add_f32_e32 v4, v9, v4
	v_add_f32_e32 v15, v15, v16
	v_bfe_u32 v9, v1, 16, 1
	v_mul_f32_e32 v3, v3, v17
	v_cndmask_b32_e64 v18, v47, v48, s0
	v_lshlrev_b32_e32 v16, 16, v41
	v_cmp_u_f32_e64 s0, v1, v1
	v_add3_u32 v9, v9, v1, 0x7fff
	v_bfe_u32 v20, v3, 16, 1
	v_and_b32_e32 v17, 0xffff0000, v18
	v_or_b32_e32 v18, 0x400000, v1
	v_mul_f32_e32 v8, v8, v16
	v_lshlrev_b32_e32 v16, 16, v43
	v_and_b32_e32 v13, 0xffff0000, v13
	v_and_b32_e32 v14, 0xffff0000, v14
	v_cndmask_b32_e64 v1, v9, v18, s0
	v_add3_u32 v9, v20, v3, 0x7fff
	v_or_b32_e32 v18, 0x400000, v3
	v_bfe_u32 v20, v8, 16, 1
	v_mul_f32_e32 v7, v7, v16
	v_lshlrev_b32_e32 v16, 16, v38
	v_cmp_u_f32_e64 s0, v3, v3
	v_lshlrev_b32_e32 v38, 16, v39
	v_lshlrev_b32_e32 v39, 16, v40
	v_and_b32_e32 v1, 0xffff0000, v1
	v_mul_f32_e32 v16, v46, v16
	v_cndmask_b32_e64 v3, v9, v18, s0
	v_add3_u32 v9, v20, v8, 0x7fff
	v_or_b32_e32 v18, 0x400000, v8
	v_bfe_u32 v20, v7, 16, 1
	v_cmp_u_f32_e64 s0, v8, v8
	v_mul_f32_e32 v6, v6, v38
	v_lshlrev_b32_e32 v38, 16, v42
	v_mul_f32_e32 v5, v5, v39
	v_and_b32_e32 v3, 0xffff0000, v3
	v_cndmask_b32_e64 v8, v9, v18, s0
	v_add3_u32 v9, v20, v7, 0x7fff
	v_or_b32_e32 v18, 0x400000, v7
	v_bfe_u32 v20, v16, 16, 1
	v_cmp_u_f32_e64 s0, v7, v7
	v_or_b32_e32 v39, 0x400000, v6
	v_bfe_u32 v41, v5, 16, 1
	v_and_b32_e32 v8, 0xffff0000, v8
	v_add_f32_e32 v1, v3, v1
	v_cndmask_b32_e64 v7, v9, v18, s0
	v_bfe_u32 v9, v6, 16, 1
	v_add3_u32 v18, v20, v16, 0x7fff
	v_mul_f32_e32 v20, v55, v38
	v_or_b32_e32 v38, 0x400000, v16
	v_cmp_u_f32_e64 s0, v16, v16
	v_add3_u32 v9, v9, v6, 0x7fff
	v_and_b32_e32 v7, 0xffff0000, v7
	v_bfe_u32 v40, v20, 16, 1
	v_add_f32_e32 v4, v15, v4
	v_cndmask_b32_e64 v16, v18, v38, s0
	v_cmp_u_f32_e64 s0, v6, v6
	v_add3_u32 v18, v41, v5, 0x7fff
	v_or_b32_e32 v38, 0x400000, v5
	v_add_f32_e32 v3, v7, v8
	v_and_b32_e32 v7, 0xffff0000, v16
	v_cndmask_b32_e64 v6, v9, v39, s0
	v_cmp_u_f32_e64 s0, v5, v5
	v_add3_u32 v9, v40, v20, 0x7fff
	v_or_b32_e32 v39, 0x400000, v20
	v_add_f32_e32 v1, v3, v1
	v_and_b32_e32 v6, 0xffff0000, v6
	v_cndmask_b32_e64 v5, v18, v38, s0
	v_cmp_u_f32_e64 s0, v20, v20
	v_add_nc_u32_e32 v37, 4, v37
	v_add_co_u32 v11, s1, v11, 16
	v_add_f32_e32 v3, v6, v7
	v_cndmask_b32_e64 v8, v9, v39, s0
	v_and_b32_e32 v9, 0xffff0000, v19
	v_and_b32_e32 v5, 0xffff0000, v5
	v_add_f32_e32 v7, v13, v14
	v_add_f32_e32 v1, v3, v1
	v_and_b32_e32 v6, 0xffff0000, v8
	v_add_f32_e32 v8, v17, v9
	v_cmp_le_i32_e64 s0, s12, v37
	v_add_f32_e32 v2, v7, v2
	v_add_nc_u32_e32 v30, 32, v30
	v_add_f32_e32 v3, v5, v6
	v_add_f32_e32 v4, v8, v4
	v_add_nc_u32_e32 v31, 0x80, v31
	v_add_f32_e32 v25, v25, v2
	v_add_co_ci_u32_e64 v12, null, 0, v12, s1
	v_add_f32_e32 v1, v3, v1
	v_add_f32_e32 v26, v26, v4
	s_or_b32 s17, s0, s17
	v_add_f32_e32 v27, v27, v1
	s_andn2_b32 exec_lo, exec_lo, s17
	s_cbranch_execz .LBB317_504
.LBB317_255:                            ; =>This Inner Loop Header: Depth=1
	global_load_dword v1, v[11:12], off
	v_mov_b32_e32 v40, 0
	s_waitcnt vmcnt(0)
	v_mad_i64_i32 v[13:14], null, v1, s13, s[2:3]
	v_add_co_u32 v15, s0, v13, v28
	v_add_co_ci_u32_e64 v16, null, 0, v14, s0
	global_load_dwordx2 v[17:18], v[15:16], off
	ds_read2_b64 v[5:8], v31 offset1:1
	ds_read2_b64 v[1:4], v31 offset0:2 offset1:3
	s_waitcnt vmcnt(0)
	v_cmp_ne_u16_sdwa s0, v17, v10 src0_sel:BYTE_0 src1_sel:DWORD
	s_and_saveexec_b32 s1, s0
	s_cbranch_execz .LBB317_261
; %bb.256:                              ;   in Loop: Header=BB317_255 Depth=1
	v_cmp_ne_u16_sdwa s0, v17, v32 src0_sel:BYTE_0 src1_sel:DWORD
	v_bfrev_b32_e32 v40, 1
	s_and_saveexec_b32 s18, s0
	s_cbranch_execz .LBB317_260
; %bb.257:                              ;   in Loop: Header=BB317_255 Depth=1
	v_and_b32_e32 v9, 0x7f, v17
	v_mov_b32_e32 v40, 0x7f800001
	s_mov_b32 s19, exec_lo
	v_cmpx_ne_u32_e32 0x7f, v9
	s_cbranch_execz .LBB317_259
; %bb.258:                              ;   in Loop: Header=BB317_255 Depth=1
	v_and_b32_e32 v19, 7, v17
	v_lshrrev_b32_e32 v20, 3, v9
	v_cmp_gt_u32_e64 s0, 8, v9
	v_ffbh_u32_e32 v19, v19
	v_min_u32_e32 v19, 32, v19
	v_subrev_nc_u32_e32 v38, 28, v19
	v_sub_nc_u32_e32 v19, 29, v19
	v_cndmask_b32_e64 v9, v20, v19, s0
	v_cndmask_b32_e64 v19, 0, v38, s0
	v_lshl_add_u32 v9, v9, 23, 0x3c000000
	v_lshlrev_b64 v[19:20], v19, v[17:18]
	v_lshlrev_b32_e32 v20, 24, v17
	v_lshlrev_b32_e32 v19, 20, v19
	v_and_b32_e32 v20, 0x80000000, v20
	v_and_b32_e32 v19, 0x700000, v19
	v_or3_b32 v40, v19, v20, v9
.LBB317_259:                            ;   in Loop: Header=BB317_255 Depth=1
	s_or_b32 exec_lo, exec_lo, s19
.LBB317_260:                            ;   in Loop: Header=BB317_255 Depth=1
	s_or_b32 exec_lo, exec_lo, s18
.LBB317_261:                            ;   in Loop: Header=BB317_255 Depth=1
	s_or_b32 exec_lo, exec_lo, s1
	v_cmp_ne_u16_sdwa s0, v17, v10 src0_sel:BYTE_1 src1_sel:DWORD
	v_mov_b32_e32 v38, 0
	v_mov_b32_e32 v39, 0
	s_and_saveexec_b32 s1, s0
	s_cbranch_execz .LBB317_269
; %bb.262:                              ;   in Loop: Header=BB317_255 Depth=1
	v_cmp_ne_u16_sdwa s0, v17, v32 src0_sel:BYTE_1 src1_sel:DWORD
	v_bfrev_b32_e32 v39, 1
	s_and_saveexec_b32 s18, s0
	s_cbranch_execz .LBB317_268
; %bb.263:                              ;   in Loop: Header=BB317_255 Depth=1
	v_and_b32_sdwa v9, v33, v17 dst_sel:DWORD dst_unused:UNUSED_PAD src0_sel:DWORD src1_sel:BYTE_1
	v_mov_b32_e32 v39, 0x7f800001
	s_mov_b32 s19, exec_lo
	v_and_b32_e32 v20, 0x7f, v9
	v_cmpx_ne_u32_e32 0x7f, v20
	s_cbranch_execz .LBB317_267
; %bb.264:                              ;   in Loop: Header=BB317_255 Depth=1
	v_and_b32_e32 v9, 7, v9
	v_lshrrev_b32_e32 v19, 3, v20
	s_mov_b32 s22, exec_lo
	v_cmpx_gt_u32_e32 8, v20
; %bb.265:                              ;   in Loop: Header=BB317_255 Depth=1
	v_ffbh_u32_e32 v19, v9
	v_min_u32_e32 v19, 32, v19
	v_subrev_nc_u32_e32 v20, 28, v19
	v_sub_nc_u32_e32 v19, 29, v19
	v_lshlrev_b64 v[41:42], v20, v[9:10]
	v_and_b32_e32 v9, 7, v41
; %bb.266:                              ;   in Loop: Header=BB317_255 Depth=1
	s_or_b32 exec_lo, exec_lo, s22
	v_lshlrev_b32_e32 v20, 16, v17
	v_lshlrev_b32_e32 v9, 20, v9
	v_lshl_add_u32 v19, v19, 23, 0x3c000000
	v_and_b32_e32 v20, 0x80000000, v20
	v_or3_b32 v39, v9, v20, v19
.LBB317_267:                            ;   in Loop: Header=BB317_255 Depth=1
	s_or_b32 exec_lo, exec_lo, s19
.LBB317_268:                            ;   in Loop: Header=BB317_255 Depth=1
	s_or_b32 exec_lo, exec_lo, s18
.LBB317_269:                            ;   in Loop: Header=BB317_255 Depth=1
	s_or_b32 exec_lo, exec_lo, s1
	v_and_b32_sdwa v9, v17, v34 dst_sel:DWORD dst_unused:UNUSED_PAD src0_sel:WORD_1 src1_sel:DWORD
	s_mov_b32 s1, exec_lo
	v_cmpx_ne_u16_e32 0, v9
	s_cbranch_execz .LBB317_277
; %bb.270:                              ;   in Loop: Header=BB317_255 Depth=1
	v_bfrev_b32_e32 v38, 1
	s_mov_b32 s18, exec_lo
	v_cmpx_ne_u16_e32 0x80, v9
	s_cbranch_execz .LBB317_276
; %bb.271:                              ;   in Loop: Header=BB317_255 Depth=1
	v_bfe_u32 v20, v17, 16, 7
	v_mov_b32_e32 v38, 0x7f800001
	s_mov_b32 s19, exec_lo
	v_cmpx_ne_u32_e32 0x7f, v20
	s_cbranch_execz .LBB317_275
; %bb.272:                              ;   in Loop: Header=BB317_255 Depth=1
	v_and_b32_sdwa v9, v17, v35 dst_sel:DWORD dst_unused:UNUSED_PAD src0_sel:WORD_1 src1_sel:DWORD
	v_lshrrev_b32_e32 v19, 3, v20
	s_mov_b32 s22, exec_lo
	v_cmpx_gt_u32_e32 8, v20
; %bb.273:                              ;   in Loop: Header=BB317_255 Depth=1
	v_ffbh_u32_e32 v19, v9
	v_min_u32_e32 v19, 32, v19
	v_subrev_nc_u32_e32 v20, 28, v19
	v_sub_nc_u32_e32 v19, 29, v19
	v_lshlrev_b64 v[41:42], v20, v[9:10]
	v_and_b32_e32 v9, 7, v41
; %bb.274:                              ;   in Loop: Header=BB317_255 Depth=1
	s_or_b32 exec_lo, exec_lo, s22
	v_lshlrev_b32_sdwa v20, v36, v17 dst_sel:DWORD dst_unused:UNUSED_PAD src0_sel:DWORD src1_sel:WORD_1
	v_lshlrev_b32_e32 v9, 20, v9
	v_lshl_add_u32 v19, v19, 23, 0x3c000000
	v_and_b32_e32 v20, 0x80000000, v20
	v_or3_b32 v38, v9, v20, v19
.LBB317_275:                            ;   in Loop: Header=BB317_255 Depth=1
	s_or_b32 exec_lo, exec_lo, s19
.LBB317_276:                            ;   in Loop: Header=BB317_255 Depth=1
	s_or_b32 exec_lo, exec_lo, s18
.LBB317_277:                            ;   in Loop: Header=BB317_255 Depth=1
	s_or_b32 exec_lo, exec_lo, s1
	v_mov_b32_e32 v41, 0
	v_mov_b32_e32 v42, 0
	s_mov_b32 s1, exec_lo
	v_cmpx_lt_u32_e32 0xffffff, v17
	s_cbranch_execz .LBB317_285
; %bb.278:                              ;   in Loop: Header=BB317_255 Depth=1
	v_cmp_ne_u32_sdwa s0, v17, v32 src0_sel:BYTE_3 src1_sel:DWORD
	v_bfrev_b32_e32 v42, 1
	s_and_saveexec_b32 s18, s0
	s_cbranch_execz .LBB317_284
; %bb.279:                              ;   in Loop: Header=BB317_255 Depth=1
	v_bfe_u32 v20, v17, 24, 7
	v_mov_b32_e32 v42, 0x7f800001
	s_mov_b32 s19, exec_lo
	v_cmpx_ne_u32_e32 0x7f, v20
	s_cbranch_execz .LBB317_283
; %bb.280:                              ;   in Loop: Header=BB317_255 Depth=1
	v_and_b32_sdwa v9, v17, v35 dst_sel:DWORD dst_unused:UNUSED_PAD src0_sel:BYTE_3 src1_sel:DWORD
	v_lshrrev_b32_e32 v19, 3, v20
	s_mov_b32 s22, exec_lo
	v_cmpx_gt_u32_e32 8, v20
; %bb.281:                              ;   in Loop: Header=BB317_255 Depth=1
	v_ffbh_u32_e32 v19, v9
	v_min_u32_e32 v19, 32, v19
	v_subrev_nc_u32_e32 v20, 28, v19
	v_sub_nc_u32_e32 v19, 29, v19
	v_lshlrev_b64 v[42:43], v20, v[9:10]
	v_and_b32_e32 v9, 7, v42
; %bb.282:                              ;   in Loop: Header=BB317_255 Depth=1
	s_or_b32 exec_lo, exec_lo, s22
	v_lshlrev_b32_sdwa v20, v36, v17 dst_sel:DWORD dst_unused:UNUSED_PAD src0_sel:DWORD src1_sel:BYTE_3
	v_lshlrev_b32_e32 v9, 20, v9
	v_lshl_add_u32 v19, v19, 23, 0x3c000000
	v_and_b32_e32 v20, 0x80000000, v20
	v_or3_b32 v42, v9, v20, v19
.LBB317_283:                            ;   in Loop: Header=BB317_255 Depth=1
	s_or_b32 exec_lo, exec_lo, s19
.LBB317_284:                            ;   in Loop: Header=BB317_255 Depth=1
	s_or_b32 exec_lo, exec_lo, s18
.LBB317_285:                            ;   in Loop: Header=BB317_255 Depth=1
	s_or_b32 exec_lo, exec_lo, s1
	v_mov_b32_e32 v9, v18
	v_cmp_ne_u16_sdwa s0, v18, v10 src0_sel:BYTE_0 src1_sel:DWORD
	s_and_saveexec_b32 s1, s0
	s_cbranch_execz .LBB317_291
; %bb.286:                              ;   in Loop: Header=BB317_255 Depth=1
	v_cmp_ne_u16_sdwa s0, v18, v32 src0_sel:BYTE_0 src1_sel:DWORD
	v_bfrev_b32_e32 v41, 1
	s_and_saveexec_b32 s18, s0
	s_cbranch_execz .LBB317_290
; %bb.287:                              ;   in Loop: Header=BB317_255 Depth=1
	v_and_b32_e32 v19, 0x7f, v18
	v_mov_b32_e32 v41, 0x7f800001
	s_mov_b32 s19, exec_lo
	v_cmpx_ne_u32_e32 0x7f, v19
	s_cbranch_execz .LBB317_289
; %bb.288:                              ;   in Loop: Header=BB317_255 Depth=1
	v_and_b32_e32 v20, 7, v18
	v_cmp_gt_u32_e64 s0, 8, v19
	v_lshrrev_b32_e32 v41, 3, v19
	v_ffbh_u32_e32 v20, v20
	v_min_u32_e32 v20, 32, v20
	v_subrev_nc_u32_e32 v43, 28, v20
	v_sub_nc_u32_e32 v20, 29, v20
	v_cndmask_b32_e64 v19, 0, v43, s0
	v_cndmask_b32_e64 v41, v41, v20, s0
	v_lshlrev_b64 v[19:20], v19, v[9:10]
	v_lshlrev_b32_e32 v20, 24, v9
	v_lshl_add_u32 v41, v41, 23, 0x3c000000
	v_lshlrev_b32_e32 v19, 20, v19
	v_and_b32_e32 v20, 0x80000000, v20
	v_and_b32_e32 v19, 0x700000, v19
	v_or3_b32 v41, v19, v20, v41
.LBB317_289:                            ;   in Loop: Header=BB317_255 Depth=1
	s_or_b32 exec_lo, exec_lo, s19
.LBB317_290:                            ;   in Loop: Header=BB317_255 Depth=1
	s_or_b32 exec_lo, exec_lo, s18
.LBB317_291:                            ;   in Loop: Header=BB317_255 Depth=1
	s_or_b32 exec_lo, exec_lo, s1
	v_cmp_ne_u16_sdwa s0, v9, v10 src0_sel:BYTE_1 src1_sel:DWORD
	v_mov_b32_e32 v43, 0
	v_mov_b32_e32 v19, 0
	s_and_saveexec_b32 s1, s0
	s_cbranch_execz .LBB317_299
; %bb.292:                              ;   in Loop: Header=BB317_255 Depth=1
	v_cmp_ne_u16_sdwa s0, v9, v32 src0_sel:BYTE_1 src1_sel:DWORD
	v_bfrev_b32_e32 v19, 1
	s_and_saveexec_b32 s18, s0
	s_cbranch_execz .LBB317_298
; %bb.293:                              ;   in Loop: Header=BB317_255 Depth=1
	v_and_b32_sdwa v20, v33, v9 dst_sel:DWORD dst_unused:UNUSED_PAD src0_sel:DWORD src1_sel:BYTE_1
	v_mov_b32_e32 v19, 0x7f800001
	s_mov_b32 s19, exec_lo
	v_and_b32_e32 v45, 0x7f, v20
	v_cmpx_ne_u32_e32 0x7f, v45
	s_cbranch_execz .LBB317_297
; %bb.294:                              ;   in Loop: Header=BB317_255 Depth=1
	v_and_b32_e32 v19, 7, v20
	v_mov_b32_e32 v20, v10
	v_lshrrev_b32_e32 v44, 3, v45
	s_mov_b32 s22, exec_lo
	v_cmpx_gt_u32_e32 8, v45
; %bb.295:                              ;   in Loop: Header=BB317_255 Depth=1
	v_ffbh_u32_e32 v44, v19
	v_min_u32_e32 v44, 32, v44
	v_subrev_nc_u32_e32 v45, 28, v44
	v_sub_nc_u32_e32 v44, 29, v44
	v_lshlrev_b64 v[19:20], v45, v[19:20]
	v_and_b32_e32 v19, 7, v19
; %bb.296:                              ;   in Loop: Header=BB317_255 Depth=1
	s_or_b32 exec_lo, exec_lo, s22
	v_lshlrev_b32_e32 v9, 16, v9
	v_lshlrev_b32_e32 v19, 20, v19
	v_lshl_add_u32 v20, v44, 23, 0x3c000000
	v_and_b32_e32 v9, 0x80000000, v9
	v_or3_b32 v19, v19, v9, v20
.LBB317_297:                            ;   in Loop: Header=BB317_255 Depth=1
	s_or_b32 exec_lo, exec_lo, s19
.LBB317_298:                            ;   in Loop: Header=BB317_255 Depth=1
	s_or_b32 exec_lo, exec_lo, s18
.LBB317_299:                            ;   in Loop: Header=BB317_255 Depth=1
	s_or_b32 exec_lo, exec_lo, s1
	v_and_b32_sdwa v9, v18, v34 dst_sel:DWORD dst_unused:UNUSED_PAD src0_sel:WORD_1 src1_sel:DWORD
	s_mov_b32 s1, exec_lo
	v_cmpx_ne_u16_e32 0, v9
	s_cbranch_execz .LBB317_307
; %bb.300:                              ;   in Loop: Header=BB317_255 Depth=1
	v_bfrev_b32_e32 v43, 1
	s_mov_b32 s18, exec_lo
	v_cmpx_ne_u16_e32 0x80, v9
	s_cbranch_execz .LBB317_306
; %bb.301:                              ;   in Loop: Header=BB317_255 Depth=1
	v_bfe_u32 v44, v18, 16, 7
	v_mov_b32_e32 v43, 0x7f800001
	s_mov_b32 s19, exec_lo
	v_cmpx_ne_u32_e32 0x7f, v44
	s_cbranch_execz .LBB317_305
; %bb.302:                              ;   in Loop: Header=BB317_255 Depth=1
	v_and_b32_sdwa v9, v18, v35 dst_sel:DWORD dst_unused:UNUSED_PAD src0_sel:WORD_1 src1_sel:DWORD
	v_lshrrev_b32_e32 v20, 3, v44
	s_mov_b32 s22, exec_lo
	v_cmpx_gt_u32_e32 8, v44
; %bb.303:                              ;   in Loop: Header=BB317_255 Depth=1
	v_ffbh_u32_e32 v20, v9
	v_min_u32_e32 v20, 32, v20
	v_subrev_nc_u32_e32 v43, 28, v20
	v_sub_nc_u32_e32 v20, 29, v20
	v_lshlrev_b64 v[43:44], v43, v[9:10]
	v_and_b32_e32 v9, 7, v43
; %bb.304:                              ;   in Loop: Header=BB317_255 Depth=1
	s_or_b32 exec_lo, exec_lo, s22
	v_lshlrev_b32_sdwa v43, v36, v18 dst_sel:DWORD dst_unused:UNUSED_PAD src0_sel:DWORD src1_sel:WORD_1
	v_lshlrev_b32_e32 v9, 20, v9
	v_lshl_add_u32 v20, v20, 23, 0x3c000000
	v_and_b32_e32 v43, 0x80000000, v43
	v_or3_b32 v43, v9, v43, v20
.LBB317_305:                            ;   in Loop: Header=BB317_255 Depth=1
	s_or_b32 exec_lo, exec_lo, s19
.LBB317_306:                            ;   in Loop: Header=BB317_255 Depth=1
	s_or_b32 exec_lo, exec_lo, s18
.LBB317_307:                            ;   in Loop: Header=BB317_255 Depth=1
	s_or_b32 exec_lo, exec_lo, s1
	v_mov_b32_e32 v9, 0
	s_mov_b32 s1, exec_lo
	v_cmpx_lt_u64_e64 s[4:5], v[17:18]
	s_cbranch_execz .LBB317_315
; %bb.308:                              ;   in Loop: Header=BB317_255 Depth=1
	v_cmp_ne_u32_sdwa s0, v18, v32 src0_sel:BYTE_3 src1_sel:DWORD
	v_bfrev_b32_e32 v9, 1
	s_and_saveexec_b32 s18, s0
	s_cbranch_execz .LBB317_314
; %bb.309:                              ;   in Loop: Header=BB317_255 Depth=1
	v_bfe_u32 v20, v18, 24, 7
	v_mov_b32_e32 v9, 0x7f800001
	s_mov_b32 s19, exec_lo
	v_cmpx_ne_u32_e32 0x7f, v20
	s_cbranch_execz .LBB317_313
; %bb.310:                              ;   in Loop: Header=BB317_255 Depth=1
	v_and_b32_sdwa v9, v18, v35 dst_sel:DWORD dst_unused:UNUSED_PAD src0_sel:BYTE_3 src1_sel:DWORD
	v_lshrrev_b32_e32 v17, 3, v20
	s_mov_b32 s22, exec_lo
	v_cmpx_gt_u32_e32 8, v20
; %bb.311:                              ;   in Loop: Header=BB317_255 Depth=1
	v_ffbh_u32_e32 v17, v9
	v_min_u32_e32 v17, 32, v17
	v_subrev_nc_u32_e32 v20, 28, v17
	v_sub_nc_u32_e32 v17, 29, v17
	v_lshlrev_b64 v[44:45], v20, v[9:10]
	v_and_b32_e32 v9, 7, v44
; %bb.312:                              ;   in Loop: Header=BB317_255 Depth=1
	s_or_b32 exec_lo, exec_lo, s22
	v_lshlrev_b32_sdwa v18, v36, v18 dst_sel:DWORD dst_unused:UNUSED_PAD src0_sel:DWORD src1_sel:BYTE_3
	v_lshlrev_b32_e32 v9, 20, v9
	v_lshl_add_u32 v17, v17, 23, 0x3c000000
	v_and_b32_e32 v18, 0x80000000, v18
	v_or3_b32 v9, v9, v18, v17
.LBB317_313:                            ;   in Loop: Header=BB317_255 Depth=1
	s_or_b32 exec_lo, exec_lo, s19
.LBB317_314:                            ;   in Loop: Header=BB317_255 Depth=1
	s_or_b32 exec_lo, exec_lo, s18
.LBB317_315:                            ;   in Loop: Header=BB317_255 Depth=1
	s_or_b32 exec_lo, exec_lo, s1
	s_waitcnt lgkmcnt(0)
	v_mul_f32_e32 v17, s16, v19
	v_mul_f32_e32 v18, s16, v41
	;; [unrolled: 1-line block ×5, first 2 shown]
	v_bfe_u32 v20, v17, 16, 1
	v_or_b32_e32 v38, 0x400000, v17
	v_bfe_u32 v41, v18, 16, 1
	v_cmp_u_f32_e64 s1, v17, v17
	v_or_b32_e32 v44, 0x400000, v18
	v_add3_u32 v20, v20, v17, 0x7fff
	v_bfe_u32 v45, v19, 16, 1
	v_add3_u32 v41, v41, v18, 0x7fff
	v_or_b32_e32 v47, 0x400000, v19
	v_add_nc_u32_e32 v46, -7, v30
	v_cndmask_b32_e64 v17, v20, v38, s1
	v_cmp_u_f32_e64 s1, v18, v18
	v_bfe_u32 v20, v42, 16, 1
	v_add3_u32 v45, v45, v19, 0x7fff
	v_cmp_eq_u32_e64 s0, s15, v37
	v_lshrrev_b32_e32 v38, 16, v17
	v_cndmask_b32_e64 v18, v41, v44, s1
	v_cmp_u_f32_e64 s1, v19, v19
	v_mul_f32_e32 v19, s16, v39
	v_add3_u32 v20, v20, v42, 0x7fff
	v_or_b32_e32 v44, 0x400000, v42
	v_lshrrev_b32_e32 v39, 16, v18
	v_cndmask_b32_e64 v17, v45, v47, s1
	v_cmp_u_f32_e64 s1, v42, v42
	v_or_b32_e32 v42, 0x400000, v19
	v_or_b32_e32 v47, 0x400000, v9
	v_lshrrev_b32_e32 v41, 16, v17
	v_bfe_u32 v17, v19, 16, 1
	v_cndmask_b32_e64 v18, v20, v44, s1
	v_mul_f32_e32 v20, s16, v40
	v_mul_f32_e32 v40, s16, v43
	v_cmp_u_f32_e64 s1, v19, v19
	v_add3_u32 v17, v17, v19, 0x7fff
	v_bfe_u32 v19, v9, 16, 1
	v_bfe_u32 v43, v20, 16, 1
	;; [unrolled: 1-line block ×3, first 2 shown]
	v_or_b32_e32 v45, 0x400000, v40
	v_cndmask_b32_e64 v17, v17, v42, s1
	v_cmp_u_f32_e64 s1, v20, v20
	v_add3_u32 v42, v43, v20, 0x7fff
	v_or_b32_e32 v43, 0x400000, v20
	v_add3_u32 v44, v44, v40, 0x7fff
	v_add3_u32 v19, v19, v9, 0x7fff
	v_cndmask_b32_e64 v20, v42, v43, s1
	v_cmp_u_f32_e64 s1, v40, v40
	v_lshrrev_b32_e32 v43, 16, v18
	v_cndmask_b32_e64 v40, v44, v45, s1
	v_cmp_u_f32_e64 s1, v9, v9
	v_lshrrev_b32_e32 v45, 16, v17
	v_lshrrev_b32_e32 v44, 16, v20
	;; [unrolled: 1-line block ×3, first 2 shown]
	v_cndmask_b32_e64 v9, v19, v47, s1
	v_lshrrev_b32_e32 v42, 16, v9
	s_and_saveexec_b32 s18, s0
	s_cbranch_execz .LBB317_317
; %bb.316:                              ;   in Loop: Header=BB317_255 Depth=1
	v_add_nc_u32_e32 v9, -6, v30
	v_cmp_gt_i32_e64 s1, s11, v46
	v_add_nc_u32_e32 v17, -5, v30
	v_add_nc_u32_e32 v18, -2, v30
	v_cndmask_b32_e64 v44, 0, v44, s1
	v_cmp_gt_i32_e64 s1, s11, v9
	v_add_nc_u32_e32 v9, -4, v30
	v_cndmask_b32_e64 v45, 0, v45, s1
	v_cmp_gt_i32_e64 s1, s11, v17
	;; [unrolled: 3-line block ×4, first 2 shown]
	v_cndmask_b32_e64 v39, 0, v39, s1
	v_cmp_gt_i32_e64 s1, s11, v18
	v_cndmask_b32_e64 v38, 0, v38, s1
	v_cmp_gt_i32_e64 s1, s11, v9
	;; [unrolled: 2-line block ×3, first 2 shown]
	v_cndmask_b32_e64 v42, 0, v42, s1
.LBB317_317:                            ;   in Loop: Header=BB317_255 Depth=1
	s_or_b32 exec_lo, exec_lo, s18
	global_load_dwordx2 v[17:18], v[15:16], off offset:256
	v_mov_b32_e32 v48, 0
	v_mov_b32_e32 v47, 0
	s_waitcnt vmcnt(0)
	v_cmp_ne_u16_sdwa s1, v17, v10 src0_sel:BYTE_0 src1_sel:DWORD
	s_and_saveexec_b32 s18, s1
	s_cbranch_execz .LBB317_323
; %bb.318:                              ;   in Loop: Header=BB317_255 Depth=1
	v_cmp_ne_u16_sdwa s1, v17, v32 src0_sel:BYTE_0 src1_sel:DWORD
	v_bfrev_b32_e32 v47, 1
	s_and_saveexec_b32 s19, s1
	s_cbranch_execz .LBB317_322
; %bb.319:                              ;   in Loop: Header=BB317_255 Depth=1
	v_and_b32_e32 v9, 0x7f, v17
	v_mov_b32_e32 v47, 0x7f800001
	s_mov_b32 s22, exec_lo
	v_cmpx_ne_u32_e32 0x7f, v9
	s_cbranch_execz .LBB317_321
; %bb.320:                              ;   in Loop: Header=BB317_255 Depth=1
	v_and_b32_e32 v19, 7, v17
	v_lshrrev_b32_e32 v20, 3, v9
	v_cmp_gt_u32_e64 s1, 8, v9
	v_ffbh_u32_e32 v19, v19
	v_min_u32_e32 v19, 32, v19
	v_subrev_nc_u32_e32 v47, 28, v19
	v_sub_nc_u32_e32 v19, 29, v19
	v_cndmask_b32_e64 v9, v20, v19, s1
	v_cndmask_b32_e64 v19, 0, v47, s1
	v_lshl_add_u32 v9, v9, 23, 0x3c000000
	v_lshlrev_b64 v[19:20], v19, v[17:18]
	v_lshlrev_b32_e32 v20, 24, v17
	v_lshlrev_b32_e32 v19, 20, v19
	v_and_b32_e32 v20, 0x80000000, v20
	v_and_b32_e32 v19, 0x700000, v19
	v_or3_b32 v47, v19, v20, v9
.LBB317_321:                            ;   in Loop: Header=BB317_255 Depth=1
	s_or_b32 exec_lo, exec_lo, s22
.LBB317_322:                            ;   in Loop: Header=BB317_255 Depth=1
	s_or_b32 exec_lo, exec_lo, s19
.LBB317_323:                            ;   in Loop: Header=BB317_255 Depth=1
	s_or_b32 exec_lo, exec_lo, s18
	v_cmp_ne_u16_sdwa s1, v17, v10 src0_sel:BYTE_1 src1_sel:DWORD
	s_and_saveexec_b32 s18, s1
	s_cbranch_execz .LBB317_331
; %bb.324:                              ;   in Loop: Header=BB317_255 Depth=1
	v_cmp_ne_u16_sdwa s1, v17, v32 src0_sel:BYTE_1 src1_sel:DWORD
	v_bfrev_b32_e32 v48, 1
	s_and_saveexec_b32 s19, s1
	s_cbranch_execz .LBB317_330
; %bb.325:                              ;   in Loop: Header=BB317_255 Depth=1
	v_and_b32_sdwa v9, v33, v17 dst_sel:DWORD dst_unused:UNUSED_PAD src0_sel:DWORD src1_sel:BYTE_1
	v_mov_b32_e32 v48, 0x7f800001
	s_mov_b32 s22, exec_lo
	v_and_b32_e32 v20, 0x7f, v9
	v_cmpx_ne_u32_e32 0x7f, v20
	s_cbranch_execz .LBB317_329
; %bb.326:                              ;   in Loop: Header=BB317_255 Depth=1
	v_and_b32_e32 v9, 7, v9
	v_lshrrev_b32_e32 v19, 3, v20
	s_mov_b32 s23, exec_lo
	v_cmpx_gt_u32_e32 8, v20
; %bb.327:                              ;   in Loop: Header=BB317_255 Depth=1
	v_ffbh_u32_e32 v19, v9
	v_min_u32_e32 v19, 32, v19
	v_subrev_nc_u32_e32 v20, 28, v19
	v_sub_nc_u32_e32 v19, 29, v19
	v_lshlrev_b64 v[48:49], v20, v[9:10]
	v_and_b32_e32 v9, 7, v48
; %bb.328:                              ;   in Loop: Header=BB317_255 Depth=1
	s_or_b32 exec_lo, exec_lo, s23
	v_lshlrev_b32_e32 v20, 16, v17
	v_lshlrev_b32_e32 v9, 20, v9
	v_lshl_add_u32 v19, v19, 23, 0x3c000000
	v_and_b32_e32 v20, 0x80000000, v20
	v_or3_b32 v48, v9, v20, v19
.LBB317_329:                            ;   in Loop: Header=BB317_255 Depth=1
	s_or_b32 exec_lo, exec_lo, s22
.LBB317_330:                            ;   in Loop: Header=BB317_255 Depth=1
	s_or_b32 exec_lo, exec_lo, s19
.LBB317_331:                            ;   in Loop: Header=BB317_255 Depth=1
	s_or_b32 exec_lo, exec_lo, s18
	v_and_b32_sdwa v9, v17, v34 dst_sel:DWORD dst_unused:UNUSED_PAD src0_sel:WORD_1 src1_sel:DWORD
	v_mov_b32_e32 v50, 0
	v_mov_b32_e32 v49, 0
	s_mov_b32 s18, exec_lo
	v_cmpx_ne_u16_e32 0, v9
	s_cbranch_execz .LBB317_339
; %bb.332:                              ;   in Loop: Header=BB317_255 Depth=1
	v_bfrev_b32_e32 v49, 1
	s_mov_b32 s19, exec_lo
	v_cmpx_ne_u16_e32 0x80, v9
	s_cbranch_execz .LBB317_338
; %bb.333:                              ;   in Loop: Header=BB317_255 Depth=1
	v_bfe_u32 v20, v17, 16, 7
	v_mov_b32_e32 v49, 0x7f800001
	s_mov_b32 s22, exec_lo
	v_cmpx_ne_u32_e32 0x7f, v20
	s_cbranch_execz .LBB317_337
; %bb.334:                              ;   in Loop: Header=BB317_255 Depth=1
	v_and_b32_sdwa v9, v17, v35 dst_sel:DWORD dst_unused:UNUSED_PAD src0_sel:WORD_1 src1_sel:DWORD
	v_lshrrev_b32_e32 v19, 3, v20
	s_mov_b32 s23, exec_lo
	v_cmpx_gt_u32_e32 8, v20
; %bb.335:                              ;   in Loop: Header=BB317_255 Depth=1
	v_ffbh_u32_e32 v19, v9
	v_min_u32_e32 v19, 32, v19
	v_subrev_nc_u32_e32 v20, 28, v19
	v_sub_nc_u32_e32 v19, 29, v19
	v_lshlrev_b64 v[51:52], v20, v[9:10]
	v_and_b32_e32 v9, 7, v51
; %bb.336:                              ;   in Loop: Header=BB317_255 Depth=1
	s_or_b32 exec_lo, exec_lo, s23
	v_lshlrev_b32_sdwa v20, v36, v17 dst_sel:DWORD dst_unused:UNUSED_PAD src0_sel:DWORD src1_sel:WORD_1
	v_lshlrev_b32_e32 v9, 20, v9
	v_lshl_add_u32 v19, v19, 23, 0x3c000000
	v_and_b32_e32 v20, 0x80000000, v20
	v_or3_b32 v49, v9, v20, v19
.LBB317_337:                            ;   in Loop: Header=BB317_255 Depth=1
	s_or_b32 exec_lo, exec_lo, s22
.LBB317_338:                            ;   in Loop: Header=BB317_255 Depth=1
	s_or_b32 exec_lo, exec_lo, s19
.LBB317_339:                            ;   in Loop: Header=BB317_255 Depth=1
	s_or_b32 exec_lo, exec_lo, s18
	s_mov_b32 s18, exec_lo
	v_cmpx_lt_u32_e32 0xffffff, v17
	s_cbranch_execz .LBB317_347
; %bb.340:                              ;   in Loop: Header=BB317_255 Depth=1
	v_cmp_ne_u32_sdwa s1, v17, v32 src0_sel:BYTE_3 src1_sel:DWORD
	v_bfrev_b32_e32 v50, 1
	s_and_saveexec_b32 s19, s1
	s_cbranch_execz .LBB317_346
; %bb.341:                              ;   in Loop: Header=BB317_255 Depth=1
	v_bfe_u32 v20, v17, 24, 7
	v_mov_b32_e32 v50, 0x7f800001
	s_mov_b32 s22, exec_lo
	v_cmpx_ne_u32_e32 0x7f, v20
	s_cbranch_execz .LBB317_345
; %bb.342:                              ;   in Loop: Header=BB317_255 Depth=1
	v_and_b32_sdwa v9, v17, v35 dst_sel:DWORD dst_unused:UNUSED_PAD src0_sel:BYTE_3 src1_sel:DWORD
	v_lshrrev_b32_e32 v19, 3, v20
	s_mov_b32 s23, exec_lo
	v_cmpx_gt_u32_e32 8, v20
; %bb.343:                              ;   in Loop: Header=BB317_255 Depth=1
	v_ffbh_u32_e32 v19, v9
	v_min_u32_e32 v19, 32, v19
	v_subrev_nc_u32_e32 v20, 28, v19
	v_sub_nc_u32_e32 v19, 29, v19
	v_lshlrev_b64 v[50:51], v20, v[9:10]
	v_and_b32_e32 v9, 7, v50
; %bb.344:                              ;   in Loop: Header=BB317_255 Depth=1
	s_or_b32 exec_lo, exec_lo, s23
	v_lshlrev_b32_sdwa v20, v36, v17 dst_sel:DWORD dst_unused:UNUSED_PAD src0_sel:DWORD src1_sel:BYTE_3
	v_lshlrev_b32_e32 v9, 20, v9
	v_lshl_add_u32 v19, v19, 23, 0x3c000000
	v_and_b32_e32 v20, 0x80000000, v20
	v_or3_b32 v50, v9, v20, v19
.LBB317_345:                            ;   in Loop: Header=BB317_255 Depth=1
	s_or_b32 exec_lo, exec_lo, s22
.LBB317_346:                            ;   in Loop: Header=BB317_255 Depth=1
	s_or_b32 exec_lo, exec_lo, s19
.LBB317_347:                            ;   in Loop: Header=BB317_255 Depth=1
	s_or_b32 exec_lo, exec_lo, s18
	v_mov_b32_e32 v9, v18
	v_cmp_ne_u16_sdwa s1, v18, v10 src0_sel:BYTE_0 src1_sel:DWORD
	v_mov_b32_e32 v19, 0
	v_mov_b32_e32 v51, 0
	s_and_saveexec_b32 s18, s1
	s_cbranch_execz .LBB317_353
; %bb.348:                              ;   in Loop: Header=BB317_255 Depth=1
	v_cmp_ne_u16_sdwa s1, v18, v32 src0_sel:BYTE_0 src1_sel:DWORD
	v_bfrev_b32_e32 v51, 1
	s_and_saveexec_b32 s19, s1
	s_cbranch_execz .LBB317_352
; %bb.349:                              ;   in Loop: Header=BB317_255 Depth=1
	v_and_b32_e32 v20, 0x7f, v18
	v_mov_b32_e32 v51, 0x7f800001
	s_mov_b32 s22, exec_lo
	v_cmpx_ne_u32_e32 0x7f, v20
	s_cbranch_execz .LBB317_351
; %bb.350:                              ;   in Loop: Header=BB317_255 Depth=1
	v_and_b32_e32 v51, 7, v18
	v_lshrrev_b32_e32 v52, 3, v20
	v_cmp_gt_u32_e64 s1, 8, v20
	v_ffbh_u32_e32 v51, v51
	v_min_u32_e32 v51, 32, v51
	v_subrev_nc_u32_e32 v53, 28, v51
	v_sub_nc_u32_e32 v51, 29, v51
	v_cndmask_b32_e64 v20, v52, v51, s1
	v_cndmask_b32_e64 v51, 0, v53, s1
	v_lshl_add_u32 v20, v20, 23, 0x3c000000
	v_lshlrev_b64 v[51:52], v51, v[9:10]
	v_lshlrev_b32_e32 v52, 24, v9
	v_lshlrev_b32_e32 v51, 20, v51
	v_and_b32_e32 v52, 0x80000000, v52
	v_and_b32_e32 v51, 0x700000, v51
	v_or3_b32 v51, v51, v52, v20
.LBB317_351:                            ;   in Loop: Header=BB317_255 Depth=1
	s_or_b32 exec_lo, exec_lo, s22
.LBB317_352:                            ;   in Loop: Header=BB317_255 Depth=1
	s_or_b32 exec_lo, exec_lo, s19
.LBB317_353:                            ;   in Loop: Header=BB317_255 Depth=1
	s_or_b32 exec_lo, exec_lo, s18
	v_cmp_ne_u16_sdwa s1, v9, v10 src0_sel:BYTE_1 src1_sel:DWORD
	s_and_saveexec_b32 s18, s1
	s_cbranch_execz .LBB317_361
; %bb.354:                              ;   in Loop: Header=BB317_255 Depth=1
	v_cmp_ne_u16_sdwa s1, v9, v32 src0_sel:BYTE_1 src1_sel:DWORD
	v_bfrev_b32_e32 v19, 1
	s_and_saveexec_b32 s19, s1
	s_cbranch_execz .LBB317_360
; %bb.355:                              ;   in Loop: Header=BB317_255 Depth=1
	v_and_b32_sdwa v20, v33, v9 dst_sel:DWORD dst_unused:UNUSED_PAD src0_sel:DWORD src1_sel:BYTE_1
	v_mov_b32_e32 v19, 0x7f800001
	s_mov_b32 s22, exec_lo
	v_and_b32_e32 v53, 0x7f, v20
	v_cmpx_ne_u32_e32 0x7f, v53
	s_cbranch_execz .LBB317_359
; %bb.356:                              ;   in Loop: Header=BB317_255 Depth=1
	v_and_b32_e32 v19, 7, v20
	v_mov_b32_e32 v20, v10
	v_lshrrev_b32_e32 v52, 3, v53
	s_mov_b32 s23, exec_lo
	v_cmpx_gt_u32_e32 8, v53
; %bb.357:                              ;   in Loop: Header=BB317_255 Depth=1
	v_ffbh_u32_e32 v52, v19
	v_min_u32_e32 v52, 32, v52
	v_subrev_nc_u32_e32 v53, 28, v52
	v_sub_nc_u32_e32 v52, 29, v52
	v_lshlrev_b64 v[19:20], v53, v[19:20]
	v_and_b32_e32 v19, 7, v19
; %bb.358:                              ;   in Loop: Header=BB317_255 Depth=1
	s_or_b32 exec_lo, exec_lo, s23
	v_lshlrev_b32_e32 v9, 16, v9
	v_lshlrev_b32_e32 v19, 20, v19
	v_lshl_add_u32 v20, v52, 23, 0x3c000000
	v_and_b32_e32 v9, 0x80000000, v9
	v_or3_b32 v19, v19, v9, v20
.LBB317_359:                            ;   in Loop: Header=BB317_255 Depth=1
	s_or_b32 exec_lo, exec_lo, s22
.LBB317_360:                            ;   in Loop: Header=BB317_255 Depth=1
	s_or_b32 exec_lo, exec_lo, s19
.LBB317_361:                            ;   in Loop: Header=BB317_255 Depth=1
	s_or_b32 exec_lo, exec_lo, s18
	v_and_b32_sdwa v9, v18, v34 dst_sel:DWORD dst_unused:UNUSED_PAD src0_sel:WORD_1 src1_sel:DWORD
	v_mov_b32_e32 v52, 0
	v_mov_b32_e32 v53, 0
	s_mov_b32 s18, exec_lo
	v_cmpx_ne_u16_e32 0, v9
	s_cbranch_execz .LBB317_369
; %bb.362:                              ;   in Loop: Header=BB317_255 Depth=1
	v_bfrev_b32_e32 v53, 1
	s_mov_b32 s19, exec_lo
	v_cmpx_ne_u16_e32 0x80, v9
	s_cbranch_execz .LBB317_368
; %bb.363:                              ;   in Loop: Header=BB317_255 Depth=1
	v_bfe_u32 v54, v18, 16, 7
	v_mov_b32_e32 v53, 0x7f800001
	s_mov_b32 s22, exec_lo
	v_cmpx_ne_u32_e32 0x7f, v54
	s_cbranch_execz .LBB317_367
; %bb.364:                              ;   in Loop: Header=BB317_255 Depth=1
	v_and_b32_sdwa v9, v18, v35 dst_sel:DWORD dst_unused:UNUSED_PAD src0_sel:WORD_1 src1_sel:DWORD
	v_lshrrev_b32_e32 v20, 3, v54
	s_mov_b32 s23, exec_lo
	v_cmpx_gt_u32_e32 8, v54
; %bb.365:                              ;   in Loop: Header=BB317_255 Depth=1
	v_ffbh_u32_e32 v20, v9
	v_min_u32_e32 v20, 32, v20
	v_subrev_nc_u32_e32 v53, 28, v20
	v_sub_nc_u32_e32 v20, 29, v20
	v_lshlrev_b64 v[53:54], v53, v[9:10]
	v_and_b32_e32 v9, 7, v53
; %bb.366:                              ;   in Loop: Header=BB317_255 Depth=1
	s_or_b32 exec_lo, exec_lo, s23
	v_lshlrev_b32_sdwa v53, v36, v18 dst_sel:DWORD dst_unused:UNUSED_PAD src0_sel:DWORD src1_sel:WORD_1
	v_lshlrev_b32_e32 v9, 20, v9
	v_lshl_add_u32 v20, v20, 23, 0x3c000000
	v_and_b32_e32 v53, 0x80000000, v53
	v_or3_b32 v53, v9, v53, v20
.LBB317_367:                            ;   in Loop: Header=BB317_255 Depth=1
	s_or_b32 exec_lo, exec_lo, s22
.LBB317_368:                            ;   in Loop: Header=BB317_255 Depth=1
	s_or_b32 exec_lo, exec_lo, s19
.LBB317_369:                            ;   in Loop: Header=BB317_255 Depth=1
	s_or_b32 exec_lo, exec_lo, s18
	s_mov_b32 s18, exec_lo
	v_cmpx_lt_u64_e64 s[4:5], v[17:18]
	s_cbranch_execz .LBB317_377
; %bb.370:                              ;   in Loop: Header=BB317_255 Depth=1
	v_cmp_ne_u32_sdwa s1, v18, v32 src0_sel:BYTE_3 src1_sel:DWORD
	v_bfrev_b32_e32 v52, 1
	s_and_saveexec_b32 s19, s1
	s_cbranch_execz .LBB317_376
; %bb.371:                              ;   in Loop: Header=BB317_255 Depth=1
	v_bfe_u32 v20, v18, 24, 7
	v_mov_b32_e32 v52, 0x7f800001
	s_mov_b32 s22, exec_lo
	v_cmpx_ne_u32_e32 0x7f, v20
	s_cbranch_execz .LBB317_375
; %bb.372:                              ;   in Loop: Header=BB317_255 Depth=1
	v_and_b32_sdwa v9, v18, v35 dst_sel:DWORD dst_unused:UNUSED_PAD src0_sel:BYTE_3 src1_sel:DWORD
	v_lshrrev_b32_e32 v17, 3, v20
	s_mov_b32 s23, exec_lo
	v_cmpx_gt_u32_e32 8, v20
; %bb.373:                              ;   in Loop: Header=BB317_255 Depth=1
	v_ffbh_u32_e32 v17, v9
	v_min_u32_e32 v17, 32, v17
	v_subrev_nc_u32_e32 v20, 28, v17
	v_sub_nc_u32_e32 v17, 29, v17
	v_lshlrev_b64 v[54:55], v20, v[9:10]
	v_and_b32_e32 v9, 7, v54
; %bb.374:                              ;   in Loop: Header=BB317_255 Depth=1
	s_or_b32 exec_lo, exec_lo, s23
	v_lshlrev_b32_sdwa v18, v36, v18 dst_sel:DWORD dst_unused:UNUSED_PAD src0_sel:DWORD src1_sel:BYTE_3
	v_lshlrev_b32_e32 v9, 20, v9
	v_lshl_add_u32 v17, v17, 23, 0x3c000000
	v_and_b32_e32 v18, 0x80000000, v18
	v_or3_b32 v52, v9, v18, v17
.LBB317_375:                            ;   in Loop: Header=BB317_255 Depth=1
	s_or_b32 exec_lo, exec_lo, s22
.LBB317_376:                            ;   in Loop: Header=BB317_255 Depth=1
	s_or_b32 exec_lo, exec_lo, s19
.LBB317_377:                            ;   in Loop: Header=BB317_255 Depth=1
	s_or_b32 exec_lo, exec_lo, s18
	v_mul_f32_e32 v9, s16, v19
	v_mul_f32_e32 v17, s16, v51
	;; [unrolled: 1-line block ×5, first 2 shown]
	v_bfe_u32 v19, v9, 16, 1
	v_or_b32_e32 v20, 0x400000, v9
	v_bfe_u32 v50, v17, 16, 1
	v_cmp_u_f32_e64 s1, v9, v9
	v_or_b32_e32 v51, 0x400000, v17
	v_add3_u32 v19, v19, v9, 0x7fff
	v_bfe_u32 v54, v18, 16, 1
	v_add3_u32 v50, v50, v17, 0x7fff
	v_or_b32_e32 v55, 0x400000, v18
	v_bfe_u32 v56, v49, 16, 1
	v_cndmask_b32_e64 v9, v19, v20, s1
	v_cmp_u_f32_e64 s1, v17, v17
	v_add3_u32 v54, v54, v18, 0x7fff
	v_lshrrev_b32_e32 v20, 16, v9
	v_cndmask_b32_e64 v17, v50, v51, s1
	v_cmp_u_f32_e64 s1, v18, v18
	v_mul_f32_e32 v9, s16, v48
	v_add3_u32 v50, v56, v49, 0x7fff
	v_or_b32_e32 v51, 0x400000, v49
	v_lshrrev_b32_e32 v19, 16, v17
	v_cndmask_b32_e64 v18, v54, v55, s1
	v_bfe_u32 v17, v9, 16, 1
	v_cmp_u_f32_e64 s1, v49, v49
	v_mul_f32_e32 v49, s16, v53
	v_lshrrev_b32_e32 v48, 16, v18
	v_add3_u32 v17, v17, v9, 0x7fff
	v_cndmask_b32_e64 v18, v50, v51, s1
	v_or_b32_e32 v50, 0x400000, v9
	v_mul_f32_e32 v51, s16, v52
	v_bfe_u32 v52, v47, 16, 1
	v_cmp_u_f32_e64 s1, v9, v9
	v_bfe_u32 v53, v49, 16, 1
	v_or_b32_e32 v54, 0x400000, v49
	v_or_b32_e32 v55, 0x400000, v51
	v_cndmask_b32_e64 v9, v17, v50, s1
	v_add3_u32 v50, v52, v47, 0x7fff
	v_or_b32_e32 v52, 0x400000, v47
	v_cmp_u_f32_e64 s1, v47, v47
	v_bfe_u32 v17, v51, 16, 1
	v_add3_u32 v53, v53, v49, 0x7fff
	v_cndmask_b32_e64 v47, v50, v52, s1
	v_cmp_u_f32_e64 s1, v49, v49
	v_add3_u32 v17, v17, v51, 0x7fff
	v_lshrrev_b32_e32 v50, 16, v18
	v_lshrrev_b32_e32 v52, 16, v9
	v_cndmask_b32_e64 v49, v53, v54, s1
	v_cmp_u_f32_e64 s1, v51, v51
	v_lshrrev_b32_e32 v51, 16, v47
	v_lshrrev_b32_e32 v47, 16, v49
	v_cndmask_b32_e64 v17, v17, v55, s1
	v_lshrrev_b32_e32 v49, 16, v17
	s_and_saveexec_b32 s18, s0
	s_cbranch_execz .LBB317_379
; %bb.378:                              ;   in Loop: Header=BB317_255 Depth=1
	v_add_nc_u32_e32 v9, -6, v30
	v_cmp_gt_i32_e64 s1, s11, v46
	v_add_nc_u32_e32 v17, -5, v30
	v_add_nc_u32_e32 v18, -2, v30
	v_cndmask_b32_e64 v51, 0, v51, s1
	v_cmp_gt_i32_e64 s1, s11, v9
	v_add_nc_u32_e32 v9, -4, v30
	v_cndmask_b32_e64 v52, 0, v52, s1
	v_cmp_gt_i32_e64 s1, s11, v17
	;; [unrolled: 3-line block ×4, first 2 shown]
	v_cndmask_b32_e64 v19, 0, v19, s1
	v_cmp_gt_i32_e64 s1, s11, v18
	v_cndmask_b32_e64 v20, 0, v20, s1
	v_cmp_gt_i32_e64 s1, s11, v9
	;; [unrolled: 2-line block ×3, first 2 shown]
	v_cndmask_b32_e64 v49, 0, v49, s1
.LBB317_379:                            ;   in Loop: Header=BB317_255 Depth=1
	s_or_b32 exec_lo, exec_lo, s18
	global_load_dwordx2 v[15:16], v[15:16], off offset:512
	v_mov_b32_e32 v53, 0
	v_mov_b32_e32 v54, 0
	s_waitcnt vmcnt(0)
	v_cmp_ne_u16_sdwa s1, v15, v10 src0_sel:BYTE_0 src1_sel:DWORD
	s_and_saveexec_b32 s18, s1
	s_cbranch_execz .LBB317_385
; %bb.380:                              ;   in Loop: Header=BB317_255 Depth=1
	v_cmp_ne_u16_sdwa s1, v15, v32 src0_sel:BYTE_0 src1_sel:DWORD
	v_bfrev_b32_e32 v54, 1
	s_and_saveexec_b32 s19, s1
	s_cbranch_execz .LBB317_384
; %bb.381:                              ;   in Loop: Header=BB317_255 Depth=1
	v_and_b32_e32 v9, 0x7f, v15
	v_mov_b32_e32 v54, 0x7f800001
	s_mov_b32 s22, exec_lo
	v_cmpx_ne_u32_e32 0x7f, v9
	s_cbranch_execz .LBB317_383
; %bb.382:                              ;   in Loop: Header=BB317_255 Depth=1
	v_and_b32_e32 v17, 7, v15
	v_lshrrev_b32_e32 v18, 3, v9
	v_cmp_gt_u32_e64 s1, 8, v9
	v_ffbh_u32_e32 v17, v17
	v_min_u32_e32 v17, 32, v17
	v_subrev_nc_u32_e32 v54, 28, v17
	v_sub_nc_u32_e32 v17, 29, v17
	v_cndmask_b32_e64 v9, v18, v17, s1
	v_cndmask_b32_e64 v17, 0, v54, s1
	v_lshl_add_u32 v9, v9, 23, 0x3c000000
	v_lshlrev_b64 v[17:18], v17, v[15:16]
	v_lshlrev_b32_e32 v18, 24, v15
	v_lshlrev_b32_e32 v17, 20, v17
	v_and_b32_e32 v18, 0x80000000, v18
	v_and_b32_e32 v17, 0x700000, v17
	v_or3_b32 v54, v17, v18, v9
.LBB317_383:                            ;   in Loop: Header=BB317_255 Depth=1
	s_or_b32 exec_lo, exec_lo, s22
.LBB317_384:                            ;   in Loop: Header=BB317_255 Depth=1
	s_or_b32 exec_lo, exec_lo, s19
.LBB317_385:                            ;   in Loop: Header=BB317_255 Depth=1
	s_or_b32 exec_lo, exec_lo, s18
	v_cmp_ne_u16_sdwa s1, v15, v10 src0_sel:BYTE_1 src1_sel:DWORD
	s_and_saveexec_b32 s18, s1
	s_cbranch_execz .LBB317_393
; %bb.386:                              ;   in Loop: Header=BB317_255 Depth=1
	v_cmp_ne_u16_sdwa s1, v15, v32 src0_sel:BYTE_1 src1_sel:DWORD
	v_bfrev_b32_e32 v53, 1
	s_and_saveexec_b32 s19, s1
	s_cbranch_execz .LBB317_392
; %bb.387:                              ;   in Loop: Header=BB317_255 Depth=1
	v_and_b32_sdwa v9, v33, v15 dst_sel:DWORD dst_unused:UNUSED_PAD src0_sel:DWORD src1_sel:BYTE_1
	v_mov_b32_e32 v53, 0x7f800001
	s_mov_b32 s22, exec_lo
	v_and_b32_e32 v18, 0x7f, v9
	v_cmpx_ne_u32_e32 0x7f, v18
	s_cbranch_execz .LBB317_391
; %bb.388:                              ;   in Loop: Header=BB317_255 Depth=1
	v_and_b32_e32 v9, 7, v9
	v_lshrrev_b32_e32 v17, 3, v18
	s_mov_b32 s23, exec_lo
	v_cmpx_gt_u32_e32 8, v18
; %bb.389:                              ;   in Loop: Header=BB317_255 Depth=1
	v_ffbh_u32_e32 v17, v9
	v_min_u32_e32 v17, 32, v17
	v_subrev_nc_u32_e32 v18, 28, v17
	v_sub_nc_u32_e32 v17, 29, v17
	v_lshlrev_b64 v[55:56], v18, v[9:10]
	v_and_b32_e32 v9, 7, v55
; %bb.390:                              ;   in Loop: Header=BB317_255 Depth=1
	s_or_b32 exec_lo, exec_lo, s23
	v_lshlrev_b32_e32 v18, 16, v15
	v_lshlrev_b32_e32 v9, 20, v9
	v_lshl_add_u32 v17, v17, 23, 0x3c000000
	v_and_b32_e32 v18, 0x80000000, v18
	v_or3_b32 v53, v9, v18, v17
.LBB317_391:                            ;   in Loop: Header=BB317_255 Depth=1
	s_or_b32 exec_lo, exec_lo, s22
.LBB317_392:                            ;   in Loop: Header=BB317_255 Depth=1
	s_or_b32 exec_lo, exec_lo, s19
.LBB317_393:                            ;   in Loop: Header=BB317_255 Depth=1
	s_or_b32 exec_lo, exec_lo, s18
	v_and_b32_sdwa v9, v15, v34 dst_sel:DWORD dst_unused:UNUSED_PAD src0_sel:WORD_1 src1_sel:DWORD
	v_mov_b32_e32 v56, 0
	v_mov_b32_e32 v55, 0
	s_mov_b32 s18, exec_lo
	v_cmpx_ne_u16_e32 0, v9
	s_cbranch_execz .LBB317_401
; %bb.394:                              ;   in Loop: Header=BB317_255 Depth=1
	v_bfrev_b32_e32 v55, 1
	s_mov_b32 s19, exec_lo
	v_cmpx_ne_u16_e32 0x80, v9
	s_cbranch_execz .LBB317_400
; %bb.395:                              ;   in Loop: Header=BB317_255 Depth=1
	v_bfe_u32 v18, v15, 16, 7
	v_mov_b32_e32 v55, 0x7f800001
	s_mov_b32 s22, exec_lo
	v_cmpx_ne_u32_e32 0x7f, v18
	s_cbranch_execz .LBB317_399
; %bb.396:                              ;   in Loop: Header=BB317_255 Depth=1
	v_and_b32_sdwa v9, v15, v35 dst_sel:DWORD dst_unused:UNUSED_PAD src0_sel:WORD_1 src1_sel:DWORD
	v_lshrrev_b32_e32 v17, 3, v18
	s_mov_b32 s23, exec_lo
	v_cmpx_gt_u32_e32 8, v18
; %bb.397:                              ;   in Loop: Header=BB317_255 Depth=1
	v_ffbh_u32_e32 v17, v9
	v_min_u32_e32 v17, 32, v17
	v_subrev_nc_u32_e32 v18, 28, v17
	v_sub_nc_u32_e32 v17, 29, v17
	v_lshlrev_b64 v[57:58], v18, v[9:10]
	v_and_b32_e32 v9, 7, v57
; %bb.398:                              ;   in Loop: Header=BB317_255 Depth=1
	s_or_b32 exec_lo, exec_lo, s23
	v_lshlrev_b32_sdwa v18, v36, v15 dst_sel:DWORD dst_unused:UNUSED_PAD src0_sel:DWORD src1_sel:WORD_1
	v_lshlrev_b32_e32 v9, 20, v9
	v_lshl_add_u32 v17, v17, 23, 0x3c000000
	v_and_b32_e32 v18, 0x80000000, v18
	v_or3_b32 v55, v9, v18, v17
.LBB317_399:                            ;   in Loop: Header=BB317_255 Depth=1
	s_or_b32 exec_lo, exec_lo, s22
.LBB317_400:                            ;   in Loop: Header=BB317_255 Depth=1
	s_or_b32 exec_lo, exec_lo, s19
.LBB317_401:                            ;   in Loop: Header=BB317_255 Depth=1
	s_or_b32 exec_lo, exec_lo, s18
	s_mov_b32 s18, exec_lo
	v_cmpx_lt_u32_e32 0xffffff, v15
	s_cbranch_execz .LBB317_409
; %bb.402:                              ;   in Loop: Header=BB317_255 Depth=1
	v_cmp_ne_u32_sdwa s1, v15, v32 src0_sel:BYTE_3 src1_sel:DWORD
	v_bfrev_b32_e32 v56, 1
	s_and_saveexec_b32 s19, s1
	s_cbranch_execz .LBB317_408
; %bb.403:                              ;   in Loop: Header=BB317_255 Depth=1
	v_bfe_u32 v18, v15, 24, 7
	v_mov_b32_e32 v56, 0x7f800001
	s_mov_b32 s22, exec_lo
	v_cmpx_ne_u32_e32 0x7f, v18
	s_cbranch_execz .LBB317_407
; %bb.404:                              ;   in Loop: Header=BB317_255 Depth=1
	v_and_b32_sdwa v9, v15, v35 dst_sel:DWORD dst_unused:UNUSED_PAD src0_sel:BYTE_3 src1_sel:DWORD
	v_lshrrev_b32_e32 v17, 3, v18
	s_mov_b32 s23, exec_lo
	v_cmpx_gt_u32_e32 8, v18
; %bb.405:                              ;   in Loop: Header=BB317_255 Depth=1
	v_ffbh_u32_e32 v17, v9
	v_min_u32_e32 v17, 32, v17
	v_subrev_nc_u32_e32 v18, 28, v17
	v_sub_nc_u32_e32 v17, 29, v17
	v_lshlrev_b64 v[56:57], v18, v[9:10]
	v_and_b32_e32 v9, 7, v56
; %bb.406:                              ;   in Loop: Header=BB317_255 Depth=1
	s_or_b32 exec_lo, exec_lo, s23
	v_lshlrev_b32_sdwa v18, v36, v15 dst_sel:DWORD dst_unused:UNUSED_PAD src0_sel:DWORD src1_sel:BYTE_3
	v_lshlrev_b32_e32 v9, 20, v9
	v_lshl_add_u32 v17, v17, 23, 0x3c000000
	v_and_b32_e32 v18, 0x80000000, v18
	v_or3_b32 v56, v9, v18, v17
.LBB317_407:                            ;   in Loop: Header=BB317_255 Depth=1
	s_or_b32 exec_lo, exec_lo, s22
.LBB317_408:                            ;   in Loop: Header=BB317_255 Depth=1
	s_or_b32 exec_lo, exec_lo, s19
.LBB317_409:                            ;   in Loop: Header=BB317_255 Depth=1
	s_or_b32 exec_lo, exec_lo, s18
	v_mov_b32_e32 v9, v16
	v_cmp_ne_u16_sdwa s1, v16, v10 src0_sel:BYTE_0 src1_sel:DWORD
	v_mov_b32_e32 v17, 0
	v_mov_b32_e32 v57, 0
	s_and_saveexec_b32 s18, s1
	s_cbranch_execz .LBB317_415
; %bb.410:                              ;   in Loop: Header=BB317_255 Depth=1
	v_cmp_ne_u16_sdwa s1, v16, v32 src0_sel:BYTE_0 src1_sel:DWORD
	v_bfrev_b32_e32 v57, 1
	s_and_saveexec_b32 s19, s1
	s_cbranch_execz .LBB317_414
; %bb.411:                              ;   in Loop: Header=BB317_255 Depth=1
	v_and_b32_e32 v18, 0x7f, v16
	v_mov_b32_e32 v57, 0x7f800001
	s_mov_b32 s22, exec_lo
	v_cmpx_ne_u32_e32 0x7f, v18
	s_cbranch_execz .LBB317_413
; %bb.412:                              ;   in Loop: Header=BB317_255 Depth=1
	v_and_b32_e32 v57, 7, v16
	v_lshrrev_b32_e32 v58, 3, v18
	v_cmp_gt_u32_e64 s1, 8, v18
	v_ffbh_u32_e32 v57, v57
	v_min_u32_e32 v57, 32, v57
	v_subrev_nc_u32_e32 v59, 28, v57
	v_sub_nc_u32_e32 v57, 29, v57
	v_cndmask_b32_e64 v18, v58, v57, s1
	v_cndmask_b32_e64 v57, 0, v59, s1
	v_lshl_add_u32 v18, v18, 23, 0x3c000000
	v_lshlrev_b64 v[57:58], v57, v[9:10]
	v_lshlrev_b32_e32 v58, 24, v9
	v_lshlrev_b32_e32 v57, 20, v57
	v_and_b32_e32 v58, 0x80000000, v58
	v_and_b32_e32 v57, 0x700000, v57
	v_or3_b32 v57, v57, v58, v18
.LBB317_413:                            ;   in Loop: Header=BB317_255 Depth=1
	s_or_b32 exec_lo, exec_lo, s22
.LBB317_414:                            ;   in Loop: Header=BB317_255 Depth=1
	s_or_b32 exec_lo, exec_lo, s19
.LBB317_415:                            ;   in Loop: Header=BB317_255 Depth=1
	s_or_b32 exec_lo, exec_lo, s18
	v_cmp_ne_u16_sdwa s1, v9, v10 src0_sel:BYTE_1 src1_sel:DWORD
	s_and_saveexec_b32 s18, s1
	s_cbranch_execz .LBB317_423
; %bb.416:                              ;   in Loop: Header=BB317_255 Depth=1
	v_cmp_ne_u16_sdwa s1, v9, v32 src0_sel:BYTE_1 src1_sel:DWORD
	v_bfrev_b32_e32 v17, 1
	s_and_saveexec_b32 s19, s1
	s_cbranch_execz .LBB317_422
; %bb.417:                              ;   in Loop: Header=BB317_255 Depth=1
	v_and_b32_sdwa v18, v33, v9 dst_sel:DWORD dst_unused:UNUSED_PAD src0_sel:DWORD src1_sel:BYTE_1
	v_mov_b32_e32 v17, 0x7f800001
	s_mov_b32 s22, exec_lo
	v_and_b32_e32 v59, 0x7f, v18
	v_cmpx_ne_u32_e32 0x7f, v59
	s_cbranch_execz .LBB317_421
; %bb.418:                              ;   in Loop: Header=BB317_255 Depth=1
	v_and_b32_e32 v17, 7, v18
	v_mov_b32_e32 v18, v10
	v_lshrrev_b32_e32 v58, 3, v59
	s_mov_b32 s23, exec_lo
	v_cmpx_gt_u32_e32 8, v59
; %bb.419:                              ;   in Loop: Header=BB317_255 Depth=1
	v_ffbh_u32_e32 v58, v17
	v_min_u32_e32 v58, 32, v58
	v_subrev_nc_u32_e32 v59, 28, v58
	v_sub_nc_u32_e32 v58, 29, v58
	v_lshlrev_b64 v[17:18], v59, v[17:18]
	v_and_b32_e32 v17, 7, v17
; %bb.420:                              ;   in Loop: Header=BB317_255 Depth=1
	s_or_b32 exec_lo, exec_lo, s23
	v_lshlrev_b32_e32 v9, 16, v9
	v_lshlrev_b32_e32 v17, 20, v17
	v_lshl_add_u32 v18, v58, 23, 0x3c000000
	v_and_b32_e32 v9, 0x80000000, v9
	v_or3_b32 v17, v17, v9, v18
.LBB317_421:                            ;   in Loop: Header=BB317_255 Depth=1
	s_or_b32 exec_lo, exec_lo, s22
.LBB317_422:                            ;   in Loop: Header=BB317_255 Depth=1
	s_or_b32 exec_lo, exec_lo, s19
.LBB317_423:                            ;   in Loop: Header=BB317_255 Depth=1
	s_or_b32 exec_lo, exec_lo, s18
	v_and_b32_sdwa v9, v16, v34 dst_sel:DWORD dst_unused:UNUSED_PAD src0_sel:WORD_1 src1_sel:DWORD
	v_mov_b32_e32 v18, 0
	v_mov_b32_e32 v58, 0
	s_mov_b32 s18, exec_lo
	v_cmpx_ne_u16_e32 0, v9
	s_cbranch_execz .LBB317_431
; %bb.424:                              ;   in Loop: Header=BB317_255 Depth=1
	v_bfrev_b32_e32 v58, 1
	s_mov_b32 s19, exec_lo
	v_cmpx_ne_u16_e32 0x80, v9
	s_cbranch_execz .LBB317_430
; %bb.425:                              ;   in Loop: Header=BB317_255 Depth=1
	v_bfe_u32 v59, v16, 16, 7
	v_mov_b32_e32 v58, 0x7f800001
	s_mov_b32 s22, exec_lo
	v_cmpx_ne_u32_e32 0x7f, v59
	s_cbranch_execz .LBB317_429
; %bb.426:                              ;   in Loop: Header=BB317_255 Depth=1
	v_and_b32_sdwa v9, v16, v35 dst_sel:DWORD dst_unused:UNUSED_PAD src0_sel:WORD_1 src1_sel:DWORD
	v_lshrrev_b32_e32 v58, 3, v59
	s_mov_b32 s23, exec_lo
	v_cmpx_gt_u32_e32 8, v59
; %bb.427:                              ;   in Loop: Header=BB317_255 Depth=1
	v_ffbh_u32_e32 v58, v9
	v_min_u32_e32 v58, 32, v58
	v_subrev_nc_u32_e32 v59, 28, v58
	v_sub_nc_u32_e32 v58, 29, v58
	v_lshlrev_b64 v[59:60], v59, v[9:10]
	v_and_b32_e32 v9, 7, v59
; %bb.428:                              ;   in Loop: Header=BB317_255 Depth=1
	s_or_b32 exec_lo, exec_lo, s23
	v_lshlrev_b32_sdwa v59, v36, v16 dst_sel:DWORD dst_unused:UNUSED_PAD src0_sel:DWORD src1_sel:WORD_1
	v_lshlrev_b32_e32 v9, 20, v9
	v_lshl_add_u32 v58, v58, 23, 0x3c000000
	v_and_b32_e32 v59, 0x80000000, v59
	v_or3_b32 v58, v9, v59, v58
.LBB317_429:                            ;   in Loop: Header=BB317_255 Depth=1
	s_or_b32 exec_lo, exec_lo, s22
.LBB317_430:                            ;   in Loop: Header=BB317_255 Depth=1
	s_or_b32 exec_lo, exec_lo, s19
.LBB317_431:                            ;   in Loop: Header=BB317_255 Depth=1
	s_or_b32 exec_lo, exec_lo, s18
	s_mov_b32 s18, exec_lo
	v_cmpx_lt_u64_e64 s[4:5], v[15:16]
	s_cbranch_execz .LBB317_439
; %bb.432:                              ;   in Loop: Header=BB317_255 Depth=1
	v_cmp_ne_u32_sdwa s1, v16, v32 src0_sel:BYTE_3 src1_sel:DWORD
	v_bfrev_b32_e32 v18, 1
	s_and_saveexec_b32 s19, s1
	s_cbranch_execz .LBB317_438
; %bb.433:                              ;   in Loop: Header=BB317_255 Depth=1
	v_bfe_u32 v59, v16, 24, 7
	v_mov_b32_e32 v18, 0x7f800001
	s_mov_b32 s22, exec_lo
	v_cmpx_ne_u32_e32 0x7f, v59
	s_cbranch_execz .LBB317_437
; %bb.434:                              ;   in Loop: Header=BB317_255 Depth=1
	v_and_b32_sdwa v9, v16, v35 dst_sel:DWORD dst_unused:UNUSED_PAD src0_sel:BYTE_3 src1_sel:DWORD
	v_lshrrev_b32_e32 v15, 3, v59
	s_mov_b32 s23, exec_lo
	v_cmpx_gt_u32_e32 8, v59
; %bb.435:                              ;   in Loop: Header=BB317_255 Depth=1
	v_ffbh_u32_e32 v15, v9
	v_min_u32_e32 v15, 32, v15
	v_subrev_nc_u32_e32 v18, 28, v15
	v_sub_nc_u32_e32 v15, 29, v15
	v_lshlrev_b64 v[59:60], v18, v[9:10]
	v_and_b32_e32 v9, 7, v59
; %bb.436:                              ;   in Loop: Header=BB317_255 Depth=1
	s_or_b32 exec_lo, exec_lo, s23
	v_lshlrev_b32_sdwa v16, v36, v16 dst_sel:DWORD dst_unused:UNUSED_PAD src0_sel:DWORD src1_sel:BYTE_3
	v_lshlrev_b32_e32 v9, 20, v9
	v_lshl_add_u32 v15, v15, 23, 0x3c000000
	v_and_b32_e32 v16, 0x80000000, v16
	v_or3_b32 v18, v9, v16, v15
.LBB317_437:                            ;   in Loop: Header=BB317_255 Depth=1
	s_or_b32 exec_lo, exec_lo, s22
.LBB317_438:                            ;   in Loop: Header=BB317_255 Depth=1
	s_or_b32 exec_lo, exec_lo, s19
.LBB317_439:                            ;   in Loop: Header=BB317_255 Depth=1
	s_or_b32 exec_lo, exec_lo, s18
	v_mul_f32_e32 v9, s16, v17
	v_mul_f32_e32 v15, s16, v57
	;; [unrolled: 1-line block ×5, first 2 shown]
	v_bfe_u32 v55, v9, 16, 1
	v_or_b32_e32 v56, 0x400000, v9
	v_bfe_u32 v57, v15, 16, 1
	v_cmp_u_f32_e64 s1, v9, v9
	v_or_b32_e32 v59, 0x400000, v15
	v_add3_u32 v55, v55, v9, 0x7fff
	v_bfe_u32 v60, v16, 16, 1
	v_add3_u32 v57, v57, v15, 0x7fff
	v_or_b32_e32 v61, 0x400000, v16
	v_bfe_u32 v62, v17, 16, 1
	v_cndmask_b32_e64 v9, v55, v56, s1
	v_cmp_u_f32_e64 s1, v15, v15
	v_add3_u32 v60, v60, v16, 0x7fff
	v_mul_f32_e32 v18, s16, v18
	v_add3_u32 v56, v62, v17, 0x7fff
	v_cndmask_b32_e64 v15, v57, v59, s1
	v_cmp_u_f32_e64 s1, v16, v16
	v_lshrrev_b32_e32 v16, 16, v9
	v_mul_f32_e32 v9, s16, v53
	v_or_b32_e32 v57, 0x400000, v17
	v_lshrrev_b32_e32 v15, 16, v15
	v_cndmask_b32_e64 v55, v60, v61, s1
	v_cmp_u_f32_e64 s1, v17, v17
	v_or_b32_e32 v61, 0x400000, v18
	v_lshrrev_b32_e32 v53, 16, v55
	v_bfe_u32 v55, v9, 16, 1
	v_cndmask_b32_e64 v17, v56, v57, s1
	v_mul_f32_e32 v56, s16, v58
	v_or_b32_e32 v57, 0x400000, v9
	v_bfe_u32 v58, v54, 16, 1
	v_add3_u32 v55, v55, v9, 0x7fff
	v_cmp_u_f32_e64 s1, v9, v9
	v_bfe_u32 v59, v56, 16, 1
	v_or_b32_e32 v60, 0x400000, v56
	v_cndmask_b32_e64 v9, v55, v57, s1
	v_add3_u32 v57, v58, v54, 0x7fff
	v_or_b32_e32 v58, 0x400000, v54
	v_cmp_u_f32_e64 s1, v54, v54
	v_bfe_u32 v55, v18, 16, 1
	v_add3_u32 v59, v59, v56, 0x7fff
	v_lshrrev_b32_e32 v54, 16, v17
	v_cndmask_b32_e64 v57, v57, v58, s1
	v_cmp_u_f32_e64 s1, v56, v56
	v_add3_u32 v55, v55, v18, 0x7fff
	v_lshrrev_b32_e32 v56, 16, v9
	v_cndmask_b32_e64 v58, v59, v60, s1
	v_cmp_u_f32_e64 s1, v18, v18
	v_lshrrev_b32_e32 v17, 16, v58
	v_cndmask_b32_e64 v18, v55, v61, s1
	v_lshrrev_b32_e32 v55, 16, v57
	v_lshrrev_b32_e32 v18, 16, v18
	s_and_saveexec_b32 s18, s0
	s_cbranch_execz .LBB317_441
; %bb.440:                              ;   in Loop: Header=BB317_255 Depth=1
	v_add_nc_u32_e32 v9, -6, v30
	v_cmp_gt_i32_e64 s1, s11, v46
	v_add_nc_u32_e32 v57, -5, v30
	v_add_nc_u32_e32 v58, -2, v30
	v_cndmask_b32_e64 v55, 0, v55, s1
	v_cmp_gt_i32_e64 s1, s11, v9
	v_add_nc_u32_e32 v9, -4, v30
	v_cndmask_b32_e64 v56, 0, v56, s1
	v_cmp_gt_i32_e64 s1, s11, v57
	;; [unrolled: 3-line block ×4, first 2 shown]
	v_cndmask_b32_e64 v15, 0, v15, s1
	v_cmp_gt_i32_e64 s1, s11, v58
	v_cndmask_b32_e64 v16, 0, v16, s1
	v_cmp_gt_i32_e64 s1, s11, v9
	;; [unrolled: 2-line block ×3, first 2 shown]
	v_cndmask_b32_e64 v18, 0, v18, s1
.LBB317_441:                            ;   in Loop: Header=BB317_255 Depth=1
	s_or_b32 exec_lo, exec_lo, s18
	v_bfe_u32 v9, v5, 16, 1
	v_bfe_u32 v57, v6, 16, 1
	v_or_b32_e32 v58, 0x400000, v5
	v_cmp_u_f32_e64 s1, v5, v5
	v_or_b32_e32 v59, 0x400000, v6
	v_add3_u32 v9, v9, v5, 0x7fff
	v_bfe_u32 v60, v7, 16, 1
	v_add3_u32 v57, v57, v6, 0x7fff
	v_bfe_u32 v61, v8, 16, 1
	v_cndmask_b32_e64 v5, v9, v58, s1
	v_cmp_u_f32_e64 s1, v6, v6
	v_add3_u32 v9, v60, v7, 0x7fff
	v_bfe_u32 v58, v1, 16, 1
	v_or_b32_e32 v60, 0x400000, v8
	v_cndmask_b32_e64 v6, v57, v59, s1
	v_or_b32_e32 v57, 0x400000, v7
	v_cmp_u_f32_e64 s1, v7, v7
	v_add3_u32 v59, v61, v8, 0x7fff
	v_or_b32_e32 v61, 0x400000, v4
	v_cndmask_b32_e64 v7, v9, v57, s1
	v_cmp_u_f32_e64 s1, v8, v8
	v_add3_u32 v9, v58, v1, 0x7fff
	v_or_b32_e32 v57, 0x400000, v1
	v_bfe_u32 v8, v2, 16, 1
	v_cndmask_b32_e64 v58, v59, v60, s1
	v_cmp_u_f32_e64 s1, v1, v1
	v_bfe_u32 v59, v3, 16, 1
	v_add3_u32 v8, v8, v2, 0x7fff
	v_or_b32_e32 v60, 0x400000, v3
	v_perm_b32 v7, v58, v7, 0x7060302
	v_cndmask_b32_e64 v1, v9, v57, s1
	v_or_b32_e32 v57, 0x400000, v2
	v_cmp_u_f32_e64 s1, v2, v2
	v_bfe_u32 v9, v4, 16, 1
	v_add3_u32 v59, v59, v3, 0x7fff
	v_cndmask_b32_e64 v2, v8, v57, s1
	v_cmp_u_f32_e64 s1, v3, v3
	v_add3_u32 v9, v9, v4, 0x7fff
	v_perm_b32 v8, v6, v5, 0x7060302
	v_perm_b32 v6, v2, v1, 0x7060302
	v_cndmask_b32_e64 v3, v59, v60, s1
	v_cmp_u_f32_e64 s1, v4, v4
	v_cndmask_b32_e64 v4, v9, v61, s1
	v_perm_b32 v5, v4, v3, 0x7060302
	s_and_saveexec_b32 s18, vcc_lo
	s_cbranch_execz .LBB317_254
; %bb.442:                              ;   in Loop: Header=BB317_255 Depth=1
	v_add_co_u32 v1, s1, v13, v29
	v_add_co_ci_u32_e64 v2, null, 0, v14, s1
	v_mov_b32_e32 v14, 0
	v_mov_b32_e32 v13, 0
	global_load_dwordx2 v[1:2], v[1:2], off
	s_waitcnt vmcnt(0)
	v_cmp_ne_u16_sdwa s1, v1, v10 src0_sel:BYTE_0 src1_sel:DWORD
	s_and_saveexec_b32 s19, s1
	s_cbranch_execz .LBB317_448
; %bb.443:                              ;   in Loop: Header=BB317_255 Depth=1
	v_cmp_ne_u16_sdwa s1, v1, v32 src0_sel:BYTE_0 src1_sel:DWORD
	v_bfrev_b32_e32 v13, 1
	s_and_saveexec_b32 s22, s1
	s_cbranch_execz .LBB317_447
; %bb.444:                              ;   in Loop: Header=BB317_255 Depth=1
	v_and_b32_e32 v3, 0x7f, v1
	v_mov_b32_e32 v13, 0x7f800001
	s_mov_b32 s23, exec_lo
	v_cmpx_ne_u32_e32 0x7f, v3
	s_cbranch_execz .LBB317_446
; %bb.445:                              ;   in Loop: Header=BB317_255 Depth=1
	v_and_b32_e32 v4, 7, v1
	v_cmp_gt_u32_e64 s1, 8, v3
	v_lshrrev_b32_e32 v9, 3, v3
	v_ffbh_u32_e32 v4, v4
	v_min_u32_e32 v4, 32, v4
	v_subrev_nc_u32_e32 v13, 28, v4
	v_sub_nc_u32_e32 v4, 29, v4
	v_cndmask_b32_e64 v3, 0, v13, s1
	v_cndmask_b32_e64 v9, v9, v4, s1
	v_lshlrev_b64 v[3:4], v3, v[1:2]
	v_lshlrev_b32_e32 v4, 24, v1
	v_lshl_add_u32 v9, v9, 23, 0x3c000000
	v_lshlrev_b32_e32 v3, 20, v3
	v_and_b32_e32 v4, 0x80000000, v4
	v_and_b32_e32 v3, 0x700000, v3
	v_or3_b32 v13, v3, v4, v9
.LBB317_446:                            ;   in Loop: Header=BB317_255 Depth=1
	s_or_b32 exec_lo, exec_lo, s23
.LBB317_447:                            ;   in Loop: Header=BB317_255 Depth=1
	s_or_b32 exec_lo, exec_lo, s22
.LBB317_448:                            ;   in Loop: Header=BB317_255 Depth=1
	s_or_b32 exec_lo, exec_lo, s19
	v_cmp_ne_u16_sdwa s1, v1, v10 src0_sel:BYTE_1 src1_sel:DWORD
	s_and_saveexec_b32 s19, s1
	s_cbranch_execz .LBB317_456
; %bb.449:                              ;   in Loop: Header=BB317_255 Depth=1
	v_cmp_ne_u16_sdwa s1, v1, v32 src0_sel:BYTE_1 src1_sel:DWORD
	v_bfrev_b32_e32 v14, 1
	s_and_saveexec_b32 s22, s1
	s_cbranch_execz .LBB317_455
; %bb.450:                              ;   in Loop: Header=BB317_255 Depth=1
	v_and_b32_sdwa v3, v33, v1 dst_sel:DWORD dst_unused:UNUSED_PAD src0_sel:DWORD src1_sel:BYTE_1
	v_mov_b32_e32 v14, 0x7f800001
	s_mov_b32 s23, exec_lo
	v_and_b32_e32 v4, 0x7f, v3
	v_cmpx_ne_u32_e32 0x7f, v4
	s_cbranch_execz .LBB317_454
; %bb.451:                              ;   in Loop: Header=BB317_255 Depth=1
	v_and_b32_e32 v9, 7, v3
	v_lshrrev_b32_e32 v3, 3, v4
	s_mov_b32 s24, exec_lo
	v_cmpx_gt_u32_e32 8, v4
; %bb.452:                              ;   in Loop: Header=BB317_255 Depth=1
	v_ffbh_u32_e32 v3, v9
	v_min_u32_e32 v3, 32, v3
	v_subrev_nc_u32_e32 v4, 28, v3
	v_sub_nc_u32_e32 v3, 29, v3
	v_lshlrev_b64 v[57:58], v4, v[9:10]
	v_and_b32_e32 v9, 7, v57
; %bb.453:                              ;   in Loop: Header=BB317_255 Depth=1
	s_or_b32 exec_lo, exec_lo, s24
	v_lshlrev_b32_e32 v4, 16, v1
	v_lshlrev_b32_e32 v9, 20, v9
	v_lshl_add_u32 v3, v3, 23, 0x3c000000
	v_and_b32_e32 v4, 0x80000000, v4
	v_or3_b32 v14, v9, v4, v3
.LBB317_454:                            ;   in Loop: Header=BB317_255 Depth=1
	s_or_b32 exec_lo, exec_lo, s23
.LBB317_455:                            ;   in Loop: Header=BB317_255 Depth=1
	s_or_b32 exec_lo, exec_lo, s22
.LBB317_456:                            ;   in Loop: Header=BB317_255 Depth=1
	s_or_b32 exec_lo, exec_lo, s19
	v_and_b32_sdwa v3, v1, v34 dst_sel:DWORD dst_unused:UNUSED_PAD src0_sel:WORD_1 src1_sel:DWORD
	v_mov_b32_e32 v58, 0
	v_mov_b32_e32 v57, 0
	s_mov_b32 s19, exec_lo
	v_cmpx_ne_u16_e32 0, v3
	s_cbranch_execz .LBB317_464
; %bb.457:                              ;   in Loop: Header=BB317_255 Depth=1
	v_bfrev_b32_e32 v57, 1
	s_mov_b32 s22, exec_lo
	v_cmpx_ne_u16_e32 0x80, v3
	s_cbranch_execz .LBB317_463
; %bb.458:                              ;   in Loop: Header=BB317_255 Depth=1
	v_bfe_u32 v4, v1, 16, 7
	v_mov_b32_e32 v57, 0x7f800001
	s_mov_b32 s23, exec_lo
	v_cmpx_ne_u32_e32 0x7f, v4
	s_cbranch_execz .LBB317_462
; %bb.459:                              ;   in Loop: Header=BB317_255 Depth=1
	v_and_b32_sdwa v9, v1, v35 dst_sel:DWORD dst_unused:UNUSED_PAD src0_sel:WORD_1 src1_sel:DWORD
	v_lshrrev_b32_e32 v3, 3, v4
	s_mov_b32 s24, exec_lo
	v_cmpx_gt_u32_e32 8, v4
; %bb.460:                              ;   in Loop: Header=BB317_255 Depth=1
	v_ffbh_u32_e32 v3, v9
	v_min_u32_e32 v3, 32, v3
	v_subrev_nc_u32_e32 v4, 28, v3
	v_sub_nc_u32_e32 v3, 29, v3
	v_lshlrev_b64 v[59:60], v4, v[9:10]
	v_and_b32_e32 v9, 7, v59
; %bb.461:                              ;   in Loop: Header=BB317_255 Depth=1
	s_or_b32 exec_lo, exec_lo, s24
	v_lshlrev_b32_sdwa v4, v36, v1 dst_sel:DWORD dst_unused:UNUSED_PAD src0_sel:DWORD src1_sel:WORD_1
	v_lshlrev_b32_e32 v9, 20, v9
	v_lshl_add_u32 v3, v3, 23, 0x3c000000
	v_and_b32_e32 v4, 0x80000000, v4
	v_or3_b32 v57, v9, v4, v3
.LBB317_462:                            ;   in Loop: Header=BB317_255 Depth=1
	s_or_b32 exec_lo, exec_lo, s23
.LBB317_463:                            ;   in Loop: Header=BB317_255 Depth=1
	s_or_b32 exec_lo, exec_lo, s22
.LBB317_464:                            ;   in Loop: Header=BB317_255 Depth=1
	s_or_b32 exec_lo, exec_lo, s19
	s_mov_b32 s19, exec_lo
	v_cmpx_lt_u32_e32 0xffffff, v1
	s_cbranch_execz .LBB317_472
; %bb.465:                              ;   in Loop: Header=BB317_255 Depth=1
	v_cmp_ne_u32_sdwa s1, v1, v32 src0_sel:BYTE_3 src1_sel:DWORD
	v_bfrev_b32_e32 v58, 1
	s_and_saveexec_b32 s22, s1
	s_cbranch_execz .LBB317_471
; %bb.466:                              ;   in Loop: Header=BB317_255 Depth=1
	v_bfe_u32 v4, v1, 24, 7
	v_mov_b32_e32 v58, 0x7f800001
	s_mov_b32 s23, exec_lo
	v_cmpx_ne_u32_e32 0x7f, v4
	s_cbranch_execz .LBB317_470
; %bb.467:                              ;   in Loop: Header=BB317_255 Depth=1
	v_and_b32_sdwa v9, v1, v35 dst_sel:DWORD dst_unused:UNUSED_PAD src0_sel:BYTE_3 src1_sel:DWORD
	v_lshrrev_b32_e32 v3, 3, v4
	s_mov_b32 s24, exec_lo
	v_cmpx_gt_u32_e32 8, v4
; %bb.468:                              ;   in Loop: Header=BB317_255 Depth=1
	v_ffbh_u32_e32 v3, v9
	v_min_u32_e32 v3, 32, v3
	v_subrev_nc_u32_e32 v4, 28, v3
	v_sub_nc_u32_e32 v3, 29, v3
	v_lshlrev_b64 v[58:59], v4, v[9:10]
	v_and_b32_e32 v9, 7, v58
; %bb.469:                              ;   in Loop: Header=BB317_255 Depth=1
	s_or_b32 exec_lo, exec_lo, s24
	v_lshlrev_b32_sdwa v4, v36, v1 dst_sel:DWORD dst_unused:UNUSED_PAD src0_sel:DWORD src1_sel:BYTE_3
	v_lshlrev_b32_e32 v9, 20, v9
	v_lshl_add_u32 v3, v3, 23, 0x3c000000
	v_and_b32_e32 v4, 0x80000000, v4
	v_or3_b32 v58, v9, v4, v3
.LBB317_470:                            ;   in Loop: Header=BB317_255 Depth=1
	s_or_b32 exec_lo, exec_lo, s23
.LBB317_471:                            ;   in Loop: Header=BB317_255 Depth=1
	s_or_b32 exec_lo, exec_lo, s22
.LBB317_472:                            ;   in Loop: Header=BB317_255 Depth=1
	s_or_b32 exec_lo, exec_lo, s19
	v_mov_b32_e32 v9, v2
	v_cmp_ne_u16_sdwa s1, v2, v10 src0_sel:BYTE_0 src1_sel:DWORD
	v_mov_b32_e32 v3, 0
	v_mov_b32_e32 v59, 0
	s_and_saveexec_b32 s19, s1
	s_cbranch_execz .LBB317_478
; %bb.473:                              ;   in Loop: Header=BB317_255 Depth=1
	v_cmp_ne_u16_sdwa s1, v2, v32 src0_sel:BYTE_0 src1_sel:DWORD
	v_bfrev_b32_e32 v59, 1
	s_and_saveexec_b32 s22, s1
	s_cbranch_execz .LBB317_477
; %bb.474:                              ;   in Loop: Header=BB317_255 Depth=1
	v_and_b32_e32 v4, 0x7f, v2
	v_mov_b32_e32 v59, 0x7f800001
	s_mov_b32 s23, exec_lo
	v_cmpx_ne_u32_e32 0x7f, v4
	s_cbranch_execz .LBB317_476
; %bb.475:                              ;   in Loop: Header=BB317_255 Depth=1
	v_and_b32_e32 v59, 7, v2
	v_lshrrev_b32_e32 v60, 3, v4
	v_cmp_gt_u32_e64 s1, 8, v4
	v_ffbh_u32_e32 v59, v59
	v_min_u32_e32 v59, 32, v59
	v_subrev_nc_u32_e32 v61, 28, v59
	v_sub_nc_u32_e32 v59, 29, v59
	v_cndmask_b32_e64 v4, v60, v59, s1
	v_cndmask_b32_e64 v59, 0, v61, s1
	v_lshl_add_u32 v4, v4, 23, 0x3c000000
	v_lshlrev_b64 v[59:60], v59, v[9:10]
	v_lshlrev_b32_e32 v60, 24, v9
	v_lshlrev_b32_e32 v59, 20, v59
	v_and_b32_e32 v60, 0x80000000, v60
	v_and_b32_e32 v59, 0x700000, v59
	v_or3_b32 v59, v59, v60, v4
.LBB317_476:                            ;   in Loop: Header=BB317_255 Depth=1
	s_or_b32 exec_lo, exec_lo, s23
.LBB317_477:                            ;   in Loop: Header=BB317_255 Depth=1
	s_or_b32 exec_lo, exec_lo, s22
.LBB317_478:                            ;   in Loop: Header=BB317_255 Depth=1
	s_or_b32 exec_lo, exec_lo, s19
	v_cmp_ne_u16_sdwa s1, v9, v10 src0_sel:BYTE_1 src1_sel:DWORD
	s_and_saveexec_b32 s19, s1
	s_cbranch_execz .LBB317_486
; %bb.479:                              ;   in Loop: Header=BB317_255 Depth=1
	v_cmp_ne_u16_sdwa s1, v9, v32 src0_sel:BYTE_1 src1_sel:DWORD
	v_bfrev_b32_e32 v3, 1
	s_and_saveexec_b32 s22, s1
	s_cbranch_execz .LBB317_485
; %bb.480:                              ;   in Loop: Header=BB317_255 Depth=1
	v_and_b32_sdwa v4, v33, v9 dst_sel:DWORD dst_unused:UNUSED_PAD src0_sel:DWORD src1_sel:BYTE_1
	v_mov_b32_e32 v3, 0x7f800001
	s_mov_b32 s23, exec_lo
	v_and_b32_e32 v61, 0x7f, v4
	v_cmpx_ne_u32_e32 0x7f, v61
	s_cbranch_execz .LBB317_484
; %bb.481:                              ;   in Loop: Header=BB317_255 Depth=1
	v_and_b32_e32 v3, 7, v4
	v_mov_b32_e32 v4, v10
	v_lshrrev_b32_e32 v60, 3, v61
	s_mov_b32 s24, exec_lo
	v_cmpx_gt_u32_e32 8, v61
; %bb.482:                              ;   in Loop: Header=BB317_255 Depth=1
	v_ffbh_u32_e32 v60, v3
	v_min_u32_e32 v60, 32, v60
	v_subrev_nc_u32_e32 v61, 28, v60
	v_sub_nc_u32_e32 v60, 29, v60
	v_lshlrev_b64 v[3:4], v61, v[3:4]
	v_and_b32_e32 v3, 7, v3
; %bb.483:                              ;   in Loop: Header=BB317_255 Depth=1
	s_or_b32 exec_lo, exec_lo, s24
	v_lshlrev_b32_e32 v4, 16, v9
	v_lshlrev_b32_e32 v3, 20, v3
	v_lshl_add_u32 v9, v60, 23, 0x3c000000
	v_and_b32_e32 v4, 0x80000000, v4
	v_or3_b32 v3, v3, v4, v9
.LBB317_484:                            ;   in Loop: Header=BB317_255 Depth=1
	s_or_b32 exec_lo, exec_lo, s23
.LBB317_485:                            ;   in Loop: Header=BB317_255 Depth=1
	s_or_b32 exec_lo, exec_lo, s22
.LBB317_486:                            ;   in Loop: Header=BB317_255 Depth=1
	s_or_b32 exec_lo, exec_lo, s19
	v_and_b32_sdwa v9, v2, v34 dst_sel:DWORD dst_unused:UNUSED_PAD src0_sel:WORD_1 src1_sel:DWORD
	v_mov_b32_e32 v4, 0
	v_mov_b32_e32 v60, 0
	s_mov_b32 s19, exec_lo
	v_cmpx_ne_u16_e32 0, v9
	s_cbranch_execz .LBB317_494
; %bb.487:                              ;   in Loop: Header=BB317_255 Depth=1
	v_bfrev_b32_e32 v60, 1
	s_mov_b32 s22, exec_lo
	v_cmpx_ne_u16_e32 0x80, v9
	s_cbranch_execz .LBB317_493
; %bb.488:                              ;   in Loop: Header=BB317_255 Depth=1
	v_bfe_u32 v61, v2, 16, 7
	v_mov_b32_e32 v60, 0x7f800001
	s_mov_b32 s23, exec_lo
	v_cmpx_ne_u32_e32 0x7f, v61
	s_cbranch_execz .LBB317_492
; %bb.489:                              ;   in Loop: Header=BB317_255 Depth=1
	v_and_b32_sdwa v9, v2, v35 dst_sel:DWORD dst_unused:UNUSED_PAD src0_sel:WORD_1 src1_sel:DWORD
	v_lshrrev_b32_e32 v60, 3, v61
	s_mov_b32 s24, exec_lo
	v_cmpx_gt_u32_e32 8, v61
; %bb.490:                              ;   in Loop: Header=BB317_255 Depth=1
	v_ffbh_u32_e32 v60, v9
	v_min_u32_e32 v60, 32, v60
	v_subrev_nc_u32_e32 v61, 28, v60
	v_sub_nc_u32_e32 v60, 29, v60
	v_lshlrev_b64 v[61:62], v61, v[9:10]
	v_and_b32_e32 v9, 7, v61
; %bb.491:                              ;   in Loop: Header=BB317_255 Depth=1
	s_or_b32 exec_lo, exec_lo, s24
	v_lshlrev_b32_sdwa v61, v36, v2 dst_sel:DWORD dst_unused:UNUSED_PAD src0_sel:DWORD src1_sel:WORD_1
	v_lshlrev_b32_e32 v9, 20, v9
	v_lshl_add_u32 v60, v60, 23, 0x3c000000
	v_and_b32_e32 v61, 0x80000000, v61
	v_or3_b32 v60, v9, v61, v60
.LBB317_492:                            ;   in Loop: Header=BB317_255 Depth=1
	s_or_b32 exec_lo, exec_lo, s23
.LBB317_493:                            ;   in Loop: Header=BB317_255 Depth=1
	s_or_b32 exec_lo, exec_lo, s22
.LBB317_494:                            ;   in Loop: Header=BB317_255 Depth=1
	s_or_b32 exec_lo, exec_lo, s19
	s_mov_b32 s19, exec_lo
	v_cmpx_lt_u64_e64 s[4:5], v[1:2]
	s_cbranch_execz .LBB317_502
; %bb.495:                              ;   in Loop: Header=BB317_255 Depth=1
	v_cmp_ne_u32_sdwa s1, v2, v32 src0_sel:BYTE_3 src1_sel:DWORD
	v_bfrev_b32_e32 v4, 1
	s_and_saveexec_b32 s22, s1
	s_cbranch_execz .LBB317_501
; %bb.496:                              ;   in Loop: Header=BB317_255 Depth=1
	v_bfe_u32 v61, v2, 24, 7
	v_mov_b32_e32 v4, 0x7f800001
	s_mov_b32 s23, exec_lo
	v_cmpx_ne_u32_e32 0x7f, v61
	s_cbranch_execz .LBB317_500
; %bb.497:                              ;   in Loop: Header=BB317_255 Depth=1
	v_and_b32_sdwa v9, v2, v35 dst_sel:DWORD dst_unused:UNUSED_PAD src0_sel:BYTE_3 src1_sel:DWORD
	v_lshrrev_b32_e32 v1, 3, v61
	s_mov_b32 s24, exec_lo
	v_cmpx_gt_u32_e32 8, v61
; %bb.498:                              ;   in Loop: Header=BB317_255 Depth=1
	v_ffbh_u32_e32 v1, v9
	v_min_u32_e32 v1, 32, v1
	v_subrev_nc_u32_e32 v4, 28, v1
	v_sub_nc_u32_e32 v1, 29, v1
	v_lshlrev_b64 v[61:62], v4, v[9:10]
	v_and_b32_e32 v9, 7, v61
; %bb.499:                              ;   in Loop: Header=BB317_255 Depth=1
	s_or_b32 exec_lo, exec_lo, s24
	v_lshlrev_b32_sdwa v2, v36, v2 dst_sel:DWORD dst_unused:UNUSED_PAD src0_sel:DWORD src1_sel:BYTE_3
	v_lshlrev_b32_e32 v4, 20, v9
	v_lshl_add_u32 v1, v1, 23, 0x3c000000
	v_and_b32_e32 v2, 0x80000000, v2
	v_or3_b32 v4, v4, v2, v1
.LBB317_500:                            ;   in Loop: Header=BB317_255 Depth=1
	s_or_b32 exec_lo, exec_lo, s23
.LBB317_501:                            ;   in Loop: Header=BB317_255 Depth=1
	s_or_b32 exec_lo, exec_lo, s22
.LBB317_502:                            ;   in Loop: Header=BB317_255 Depth=1
	s_or_b32 exec_lo, exec_lo, s19
	v_mul_f32_e32 v1, s16, v3
	v_mul_f32_e32 v2, s16, v59
	v_mul_f32_e32 v3, s16, v58
	v_mul_f32_e32 v57, s16, v57
	v_mul_f32_e32 v14, s16, v14
	v_bfe_u32 v9, v1, 16, 1
	v_or_b32_e32 v58, 0x400000, v1
	v_bfe_u32 v59, v2, 16, 1
	v_cmp_u_f32_e64 s1, v1, v1
	v_or_b32_e32 v61, 0x400000, v2
	v_add3_u32 v9, v9, v1, 0x7fff
	v_bfe_u32 v62, v3, 16, 1
	v_add3_u32 v59, v59, v2, 0x7fff
	v_or_b32_e32 v63, 0x400000, v3
	v_bfe_u32 v64, v57, 16, 1
	v_cndmask_b32_e64 v1, v9, v58, s1
	v_cmp_u_f32_e64 s1, v2, v2
	v_add3_u32 v62, v62, v3, 0x7fff
	v_mul_f32_e32 v13, s16, v13
	v_add3_u32 v58, v64, v57, 0x7fff
	v_lshrrev_b32_e32 v2, 16, v1
	v_cndmask_b32_e64 v9, v59, v61, s1
	v_cmp_u_f32_e64 s1, v3, v3
	v_or_b32_e32 v59, 0x400000, v57
	v_mul_f32_e32 v4, s16, v4
	v_lshrrev_b32_e32 v1, 16, v9
	v_cndmask_b32_e64 v3, v62, v63, s1
	v_cmp_u_f32_e64 s1, v57, v57
	v_or_b32_e32 v63, 0x400000, v4
	v_lshrrev_b32_e32 v9, 16, v3
	v_bfe_u32 v3, v14, 16, 1
	v_cndmask_b32_e64 v57, v58, v59, s1
	v_mul_f32_e32 v58, s16, v60
	v_or_b32_e32 v59, 0x400000, v14
	v_bfe_u32 v60, v13, 16, 1
	v_add3_u32 v3, v3, v14, 0x7fff
	v_cmp_u_f32_e64 s1, v14, v14
	v_bfe_u32 v61, v58, 16, 1
	v_bfe_u32 v14, v4, 16, 1
	v_or_b32_e32 v62, 0x400000, v58
	v_cndmask_b32_e64 v3, v3, v59, s1
	v_add3_u32 v59, v60, v13, 0x7fff
	v_or_b32_e32 v60, 0x400000, v13
	v_cmp_u_f32_e64 s1, v13, v13
	v_add3_u32 v61, v61, v58, 0x7fff
	v_add3_u32 v14, v14, v4, 0x7fff
	v_lshrrev_b32_e32 v13, 16, v57
	v_lshrrev_b32_e32 v57, 16, v3
	v_cndmask_b32_e64 v59, v59, v60, s1
	v_cmp_u_f32_e64 s1, v58, v58
	v_cndmask_b32_e64 v58, v61, v62, s1
	v_cmp_u_f32_e64 s1, v4, v4
	v_lshrrev_b32_e32 v3, 16, v58
	v_cndmask_b32_e64 v4, v14, v63, s1
	v_lshrrev_b32_e32 v14, 16, v59
	v_lshrrev_b32_e32 v4, 16, v4
	s_and_saveexec_b32 s1, s0
	s_cbranch_execz .LBB317_253
; %bb.503:                              ;   in Loop: Header=BB317_255 Depth=1
	v_add_nc_u32_e32 v58, -6, v30
	v_cmp_gt_i32_e64 s0, s11, v46
	v_add_nc_u32_e32 v59, -5, v30
	v_add_nc_u32_e32 v46, -4, v30
	v_cndmask_b32_e64 v14, 0, v14, s0
	v_cmp_gt_i32_e64 s0, s11, v58
	v_add_nc_u32_e32 v58, -3, v30
	v_cndmask_b32_e64 v57, 0, v57, s0
	v_cmp_gt_i32_e64 s0, s11, v59
	;; [unrolled: 3-line block ×4, first 2 shown]
	v_cndmask_b32_e64 v1, 0, v1, s0
	v_cmp_gt_i32_e64 s0, s11, v59
	v_cndmask_b32_e64 v2, 0, v2, s0
	v_cmp_gt_i32_e64 s0, s11, v46
	;; [unrolled: 2-line block ×3, first 2 shown]
	v_cndmask_b32_e64 v4, 0, v4, s0
	s_branch .LBB317_253
.LBB317_504:
	s_or_b32 exec_lo, exec_lo, s17
.LBB317_505:
	s_or_b32 exec_lo, exec_lo, s14
	s_movk_i32 s0, 0x1c0
	v_and_b32_e32 v1, 0x3c0, v0
	v_mad_u32_u24 v4, v21, s0, 0x100
	v_or_b32_e32 v3, 0x60, v0
	s_mov_b32 s0, exec_lo
	s_barrier
	buffer_gl0_inv
	v_cmpx_eq_u32_e32 64, v1
	s_cbranch_execz .LBB317_508
; %bb.506:
	v_add_nc_u32_e32 v1, 0xfffffc80, v4
	v_cmp_gt_u32_e32 vcc_lo, 0x70, v3
	v_lshl_add_u32 v2, v22, 2, v1
	ds_write2_b32 v2, v27, v26 offset1:32
	ds_write_b32 v2, v25 offset:256
	s_and_b32 exec_lo, exec_lo, vcc_lo
; %bb.507:
	v_lshl_add_u32 v1, v3, 2, v1
	ds_write_b32 v1, v24
.LBB317_508:
	s_or_b32 exec_lo, exec_lo, s0
	v_lshl_add_u32 v5, v22, 2, v4
	s_mov_b32 s0, exec_lo
	s_waitcnt lgkmcnt(0)
	s_barrier
	buffer_gl0_inv
	v_cmpx_gt_u32_e32 64, v0
	s_cbranch_execz .LBB317_512
; %bb.509:
	v_lshl_or_b32 v1, v0, 2, 0x80
	s_mov_b32 s1, exec_lo
	v_add_nc_u32_e32 v6, v4, v1
	ds_read2st64_b32 v[1:2], v5 offset1:1
	ds_read_b32 v6, v6
	v_cmpx_gt_u32_e32 0x70, v3
	s_cbranch_execz .LBB317_511
; %bb.510:
	v_lshl_add_u32 v7, v3, 2, v4
	ds_read_b32 v7, v7
	s_waitcnt lgkmcnt(0)
	v_add_f32_e32 v24, v24, v7
.LBB317_511:
	s_or_b32 exec_lo, exec_lo, s1
	s_waitcnt lgkmcnt(1)
	v_add_f32_e32 v27, v27, v1
	s_waitcnt lgkmcnt(0)
	v_add_f32_e32 v26, v26, v6
	v_add_f32_e32 v25, v25, v2
.LBB317_512:
	s_or_b32 exec_lo, exec_lo, s0
	v_and_b32_e32 v1, 0x3e0, v0
	s_mov_b32 s0, exec_lo
	s_barrier
	buffer_gl0_inv
	v_cmpx_eq_u32_e32 32, v1
	s_cbranch_execz .LBB317_515
; %bb.513:
	v_lshl_add_u32 v1, v22, 2, 0x100
	v_cmp_gt_u32_e32 vcc_lo, 0x70, v3
	ds_write_b32 v1, v27
	ds_write_b32 v23, v26
	ds_write_b32 v1, v25 offset:256
	s_and_b32 exec_lo, exec_lo, vcc_lo
; %bb.514:
	v_lshl_add_u32 v1, v3, 2, 0x100
	ds_write_b32 v1, v24
.LBB317_515:
	s_or_b32 exec_lo, exec_lo, s0
	v_cmp_gt_u32_e32 vcc_lo, 32, v0
	s_waitcnt lgkmcnt(0)
	s_barrier
	buffer_gl0_inv
	s_and_saveexec_b32 s1, vcc_lo
	s_cbranch_execz .LBB317_519
; %bb.516:
	v_lshl_add_u32 v6, v0, 2, v4
	s_mov_b32 s2, exec_lo
	ds_read_b32 v4, v5
	ds_read2_b32 v[1:2], v6 offset0:32 offset1:64
	v_cmpx_gt_u32_e32 0x70, v3
	s_cbranch_execz .LBB317_518
; %bb.517:
	ds_read_b32 v5, v6 offset:384
	s_waitcnt lgkmcnt(0)
	v_add_f32_e32 v24, v24, v5
.LBB317_518:
	s_or_b32 exec_lo, exec_lo, s2
	s_waitcnt lgkmcnt(1)
	v_add_f32_e32 v27, v27, v4
	s_waitcnt lgkmcnt(0)
	v_add_f32_e32 v26, v26, v1
	v_add_f32_e32 v25, v25, v2
.LBB317_519:
	s_or_b32 exec_lo, exec_lo, s1
	s_barrier
	buffer_gl0_inv
	s_and_saveexec_b32 s0, vcc_lo
	s_cbranch_execz .LBB317_522
; %bb.520:
	v_bfe_u32 v1, v27, 16, 1
	s_mul_i32 s0, s10, s7
	v_bfe_u32 v2, v26, 16, 1
	s_mul_i32 s0, s0, s9
	v_or_b32_e32 v5, 0x400000, v27
	v_add3_u32 v1, v1, v27, 0x7fff
	v_cmp_u_f32_e32 vcc_lo, v27, v27
	s_mulk_i32 s0, 0x70
	v_bfe_u32 v4, v25, 16, 1
	s_ashr_i32 s1, s0, 31
	v_add3_u32 v2, v2, v26, 0x7fff
	s_lshl_b64 s[0:1], s[0:1], 1
	v_or_b32_e32 v6, 0x400000, v26
	v_cndmask_b32_e32 v1, v1, v5, vcc_lo
	v_cmp_u_f32_e32 vcc_lo, v26, v26
	s_mul_i32 s2, s7, s6
	s_add_u32 s5, s20, s0
	s_addc_u32 s6, s21, s1
	s_ashr_i32 s3, s2, 31
	v_add3_u32 v4, v4, v25, 0x7fff
	s_lshl_b64 s[0:1], s[2:3], 1
	v_or_b32_e32 v7, 0x400000, v25
	v_cndmask_b32_e32 v2, v2, v6, vcc_lo
	v_cmp_u_f32_e32 vcc_lo, v25, v25
	s_mul_i32 s4, s8, 0x70
	s_add_u32 s2, s5, s0
	s_addc_u32 s3, s6, s1
	s_ashr_i32 s5, s4, 31
	v_lshlrev_b32_e32 v0, 1, v0
	s_lshl_b64 s[0:1], s[4:5], 1
	v_cndmask_b32_e32 v4, v4, v7, vcc_lo
	v_cmp_gt_u32_e32 vcc_lo, 0x70, v3
	s_add_u32 s0, s2, s0
	s_addc_u32 s1, s3, s1
	global_store_short_d16_hi v0, v1, s[0:1]
	global_store_short_d16_hi v0, v2, s[0:1] offset:64
	global_store_short_d16_hi v0, v4, s[0:1] offset:128
	s_and_b32 exec_lo, exec_lo, vcc_lo
	s_cbranch_execz .LBB317_522
; %bb.521:
	v_bfe_u32 v1, v24, 16, 1
	v_or_b32_e32 v2, 0x400000, v24
	v_cmp_u_f32_e32 vcc_lo, v24, v24
	v_add_co_u32 v0, s0, s0, v0
	v_add3_u32 v3, v1, v24, 0x7fff
	v_add_co_ci_u32_e64 v1, null, s1, 0, s0
	v_cndmask_b32_e32 v2, v3, v2, vcc_lo
	global_store_short_d16_hi v[0:1], v2, off offset:192
.LBB317_522:
	s_endpgm
	.section	.rodata,"a",@progbits
	.p2align	6, 0x0
	.amdhsa_kernel _ZN4vllm25paged_attention_v1_kernelI14__hip_bfloat16hLi112ELi8ELi128ELNS_18Fp8KVCacheDataTypeE1ELb0EEEvPT_PKS3_PKT0_S9_ifPKiSB_iPKfiiiSD_SD_iiiii
		.amdhsa_group_segment_fixed_size 256
		.amdhsa_private_segment_fixed_size 0
		.amdhsa_kernarg_size 384
		.amdhsa_user_sgpr_count 6
		.amdhsa_user_sgpr_private_segment_buffer 1
		.amdhsa_user_sgpr_dispatch_ptr 0
		.amdhsa_user_sgpr_queue_ptr 0
		.amdhsa_user_sgpr_kernarg_segment_ptr 1
		.amdhsa_user_sgpr_dispatch_id 0
		.amdhsa_user_sgpr_flat_scratch_init 0
		.amdhsa_user_sgpr_private_segment_size 0
		.amdhsa_wavefront_size32 1
		.amdhsa_uses_dynamic_stack 0
		.amdhsa_system_sgpr_private_segment_wavefront_offset 0
		.amdhsa_system_sgpr_workgroup_id_x 1
		.amdhsa_system_sgpr_workgroup_id_y 1
		.amdhsa_system_sgpr_workgroup_id_z 1
		.amdhsa_system_sgpr_workgroup_info 0
		.amdhsa_system_vgpr_workitem_id 0
		.amdhsa_next_free_vgpr 90
		.amdhsa_next_free_sgpr 34
		.amdhsa_reserve_vcc 1
		.amdhsa_reserve_flat_scratch 0
		.amdhsa_float_round_mode_32 0
		.amdhsa_float_round_mode_16_64 0
		.amdhsa_float_denorm_mode_32 3
		.amdhsa_float_denorm_mode_16_64 3
		.amdhsa_dx10_clamp 1
		.amdhsa_ieee_mode 1
		.amdhsa_fp16_overflow 0
		.amdhsa_workgroup_processor_mode 1
		.amdhsa_memory_ordered 1
		.amdhsa_forward_progress 1
		.amdhsa_shared_vgpr_count 0
		.amdhsa_exception_fp_ieee_invalid_op 0
		.amdhsa_exception_fp_denorm_src 0
		.amdhsa_exception_fp_ieee_div_zero 0
		.amdhsa_exception_fp_ieee_overflow 0
		.amdhsa_exception_fp_ieee_underflow 0
		.amdhsa_exception_fp_ieee_inexact 0
		.amdhsa_exception_int_div_zero 0
	.end_amdhsa_kernel
	.section	.text._ZN4vllm25paged_attention_v1_kernelI14__hip_bfloat16hLi112ELi8ELi128ELNS_18Fp8KVCacheDataTypeE1ELb0EEEvPT_PKS3_PKT0_S9_ifPKiSB_iPKfiiiSD_SD_iiiii,"axG",@progbits,_ZN4vllm25paged_attention_v1_kernelI14__hip_bfloat16hLi112ELi8ELi128ELNS_18Fp8KVCacheDataTypeE1ELb0EEEvPT_PKS3_PKT0_S9_ifPKiSB_iPKfiiiSD_SD_iiiii,comdat
.Lfunc_end317:
	.size	_ZN4vllm25paged_attention_v1_kernelI14__hip_bfloat16hLi112ELi8ELi128ELNS_18Fp8KVCacheDataTypeE1ELb0EEEvPT_PKS3_PKT0_S9_ifPKiSB_iPKfiiiSD_SD_iiiii, .Lfunc_end317-_ZN4vllm25paged_attention_v1_kernelI14__hip_bfloat16hLi112ELi8ELi128ELNS_18Fp8KVCacheDataTypeE1ELb0EEEvPT_PKS3_PKT0_S9_ifPKiSB_iPKfiiiSD_SD_iiiii
                                        ; -- End function
	.set _ZN4vllm25paged_attention_v1_kernelI14__hip_bfloat16hLi112ELi8ELi128ELNS_18Fp8KVCacheDataTypeE1ELb0EEEvPT_PKS3_PKT0_S9_ifPKiSB_iPKfiiiSD_SD_iiiii.num_vgpr, 90
	.set _ZN4vllm25paged_attention_v1_kernelI14__hip_bfloat16hLi112ELi8ELi128ELNS_18Fp8KVCacheDataTypeE1ELb0EEEvPT_PKS3_PKT0_S9_ifPKiSB_iPKfiiiSD_SD_iiiii.num_agpr, 0
	.set _ZN4vllm25paged_attention_v1_kernelI14__hip_bfloat16hLi112ELi8ELi128ELNS_18Fp8KVCacheDataTypeE1ELb0EEEvPT_PKS3_PKT0_S9_ifPKiSB_iPKfiiiSD_SD_iiiii.numbered_sgpr, 34
	.set _ZN4vllm25paged_attention_v1_kernelI14__hip_bfloat16hLi112ELi8ELi128ELNS_18Fp8KVCacheDataTypeE1ELb0EEEvPT_PKS3_PKT0_S9_ifPKiSB_iPKfiiiSD_SD_iiiii.num_named_barrier, 0
	.set _ZN4vllm25paged_attention_v1_kernelI14__hip_bfloat16hLi112ELi8ELi128ELNS_18Fp8KVCacheDataTypeE1ELb0EEEvPT_PKS3_PKT0_S9_ifPKiSB_iPKfiiiSD_SD_iiiii.private_seg_size, 0
	.set _ZN4vllm25paged_attention_v1_kernelI14__hip_bfloat16hLi112ELi8ELi128ELNS_18Fp8KVCacheDataTypeE1ELb0EEEvPT_PKS3_PKT0_S9_ifPKiSB_iPKfiiiSD_SD_iiiii.uses_vcc, 1
	.set _ZN4vllm25paged_attention_v1_kernelI14__hip_bfloat16hLi112ELi8ELi128ELNS_18Fp8KVCacheDataTypeE1ELb0EEEvPT_PKS3_PKT0_S9_ifPKiSB_iPKfiiiSD_SD_iiiii.uses_flat_scratch, 0
	.set _ZN4vllm25paged_attention_v1_kernelI14__hip_bfloat16hLi112ELi8ELi128ELNS_18Fp8KVCacheDataTypeE1ELb0EEEvPT_PKS3_PKT0_S9_ifPKiSB_iPKfiiiSD_SD_iiiii.has_dyn_sized_stack, 0
	.set _ZN4vllm25paged_attention_v1_kernelI14__hip_bfloat16hLi112ELi8ELi128ELNS_18Fp8KVCacheDataTypeE1ELb0EEEvPT_PKS3_PKT0_S9_ifPKiSB_iPKfiiiSD_SD_iiiii.has_recursion, 0
	.set _ZN4vllm25paged_attention_v1_kernelI14__hip_bfloat16hLi112ELi8ELi128ELNS_18Fp8KVCacheDataTypeE1ELb0EEEvPT_PKS3_PKT0_S9_ifPKiSB_iPKfiiiSD_SD_iiiii.has_indirect_call, 0
	.section	.AMDGPU.csdata,"",@progbits
; Kernel info:
; codeLenInByte = 20712
; TotalNumSgprs: 36
; NumVgprs: 90
; ScratchSize: 0
; MemoryBound: 0
; FloatMode: 240
; IeeeMode: 1
; LDSByteSize: 256 bytes/workgroup (compile time only)
; SGPRBlocks: 0
; VGPRBlocks: 11
; NumSGPRsForWavesPerEU: 36
; NumVGPRsForWavesPerEU: 90
; Occupancy: 10
; WaveLimiterHint : 1
; COMPUTE_PGM_RSRC2:SCRATCH_EN: 0
; COMPUTE_PGM_RSRC2:USER_SGPR: 6
; COMPUTE_PGM_RSRC2:TRAP_HANDLER: 0
; COMPUTE_PGM_RSRC2:TGID_X_EN: 1
; COMPUTE_PGM_RSRC2:TGID_Y_EN: 1
; COMPUTE_PGM_RSRC2:TGID_Z_EN: 1
; COMPUTE_PGM_RSRC2:TIDIG_COMP_CNT: 0
	.section	.text._ZN4vllm25paged_attention_v1_kernelI14__hip_bfloat16hLi120ELi8ELi128ELNS_18Fp8KVCacheDataTypeE1ELb0EEEvPT_PKS3_PKT0_S9_ifPKiSB_iPKfiiiSD_SD_iiiii,"axG",@progbits,_ZN4vllm25paged_attention_v1_kernelI14__hip_bfloat16hLi120ELi8ELi128ELNS_18Fp8KVCacheDataTypeE1ELb0EEEvPT_PKS3_PKT0_S9_ifPKiSB_iPKfiiiSD_SD_iiiii,comdat
	.protected	_ZN4vllm25paged_attention_v1_kernelI14__hip_bfloat16hLi120ELi8ELi128ELNS_18Fp8KVCacheDataTypeE1ELb0EEEvPT_PKS3_PKT0_S9_ifPKiSB_iPKfiiiSD_SD_iiiii ; -- Begin function _ZN4vllm25paged_attention_v1_kernelI14__hip_bfloat16hLi120ELi8ELi128ELNS_18Fp8KVCacheDataTypeE1ELb0EEEvPT_PKS3_PKT0_S9_ifPKiSB_iPKfiiiSD_SD_iiiii
	.globl	_ZN4vllm25paged_attention_v1_kernelI14__hip_bfloat16hLi120ELi8ELi128ELNS_18Fp8KVCacheDataTypeE1ELb0EEEvPT_PKS3_PKT0_S9_ifPKiSB_iPKfiiiSD_SD_iiiii
	.p2align	8
	.type	_ZN4vllm25paged_attention_v1_kernelI14__hip_bfloat16hLi120ELi8ELi128ELNS_18Fp8KVCacheDataTypeE1ELb0EEEvPT_PKS3_PKT0_S9_ifPKiSB_iPKfiiiSD_SD_iiiii,@function
_ZN4vllm25paged_attention_v1_kernelI14__hip_bfloat16hLi120ELi8ELi128ELNS_18Fp8KVCacheDataTypeE1ELb0EEEvPT_PKS3_PKT0_S9_ifPKiSB_iPKfiiiSD_SD_iiiii: ; @_ZN4vllm25paged_attention_v1_kernelI14__hip_bfloat16hLi120ELi8ELi128ELNS_18Fp8KVCacheDataTypeE1ELb0EEEvPT_PKS3_PKT0_S9_ifPKiSB_iPKfiiiSD_SD_iiiii
; %bb.0:
	s_clause 0x2
	s_load_dword s9, s[4:5], 0x80
	s_load_dwordx2 s[0:1], s[4:5], 0x30
	s_load_dwordx2 s[28:29], s[4:5], 0x20
	s_mov_b32 s10, s7
	s_ashr_i32 s11, s7, 31
	s_lshl_b64 s[2:3], s[10:11], 2
	s_waitcnt lgkmcnt(0)
	s_add_u32 s0, s0, s2
	s_addc_u32 s1, s1, s3
	s_abs_i32 s2, s28
	s_abs_i32 s11, s9
	v_cvt_f32_u32_e32 v1, s2
	s_sub_i32 s7, 0, s2
	v_rcp_iflag_f32_e32 v1, v1
	v_mul_f32_e32 v1, 0x4f7ffffe, v1
	v_cvt_u32_f32_e32 v1, v1
	v_readfirstlane_b32 s3, v1
	s_mul_i32 s7, s7, s3
	s_mul_hi_u32 s7, s3, s7
	s_add_i32 s3, s3, s7
	s_xor_b32 s7, s9, s28
	s_mul_hi_u32 s3, s11, s3
	s_ashr_i32 s7, s7, 31
	s_mul_i32 s12, s3, s2
	s_mov_b32 s28, 0
	s_sub_i32 s11, s11, s12
	s_add_i32 s12, s3, 1
	s_sub_i32 s13, s11, s2
	s_cmp_ge_u32 s11, s2
	s_cselect_b32 s3, s12, s3
	s_cselect_b32 s11, s13, s11
	s_add_i32 s12, s3, 1
	s_cmp_ge_u32 s11, s2
	s_cselect_b32 s2, s12, s3
	s_abs_i32 s17, s6
	s_xor_b32 s2, s2, s7
	s_sub_i32 s19, s2, s7
	s_load_dwordx2 s[2:3], s[4:5], 0x40
	s_abs_i32 s16, s19
	v_cvt_f32_u32_e32 v1, s16
	s_sub_i32 s11, 0, s16
	v_rcp_iflag_f32_e32 v1, v1
	v_mul_f32_e32 v1, 0x4f7ffffe, v1
	v_cvt_u32_f32_e32 v1, v1
	v_readfirstlane_b32 s7, v1
	s_mul_i32 s11, s11, s7
	s_mul_hi_u32 s11, s7, s11
	s_add_i32 s7, s7, s11
	s_waitcnt lgkmcnt(0)
	s_cmp_eq_u64 s[2:3], 0
	s_mul_hi_u32 s18, s17, s7
	s_cbranch_scc1 .LBB318_2
; %bb.1:
	s_ashr_i32 s7, s6, 31
	s_lshl_b64 s[12:13], s[6:7], 2
	s_add_u32 s2, s2, s12
	s_addc_u32 s3, s3, s13
	s_load_dword s28, s[2:3], 0x0
.LBB318_2:
	s_load_dword s11, s[0:1], 0x0
	s_load_dwordx4 s[12:15], s[4:5], 0x48
	v_and_b32_e32 v1, 3, v0
	s_ashr_i32 s0, s6, 31
	s_ashr_i32 s1, s19, 31
	s_mulk_i32 s6, 0x78
	s_mov_b32 s2, exec_lo
	v_cmpx_gt_u32_e32 60, v0
	s_cbranch_execz .LBB318_4
; %bb.3:
	s_load_dwordx2 s[20:21], s[4:5], 0x8
	s_waitcnt lgkmcnt(0)
	s_mul_i32 s22, s12, s10
	v_lshlrev_b32_e32 v2, 2, v0
	s_ashr_i32 s23, s22, 31
	v_and_b32_e32 v3, 0x3fc, v0
	s_lshl_b64 s[22:23], s[22:23], 1
	v_mad_u32_u24 v3, v1, 60, v3
	s_add_u32 s3, s20, s22
	s_addc_u32 s12, s21, s23
	s_ashr_i32 s7, s6, 31
	s_lshl_b64 s[20:21], s[6:7], 1
	s_add_u32 s20, s3, s20
	s_addc_u32 s21, s12, s21
	global_load_dword v2, v2, s[20:21]
	s_waitcnt vmcnt(0)
	ds_write_b32 v3, v2
.LBB318_4:
	s_or_b32 exec_lo, exec_lo, s2
	s_waitcnt lgkmcnt(0)
	s_add_i32 s2, s11, 7
	s_clause 0x1
	s_load_dwordx2 s[22:23], s[4:5], 0x28
	s_load_dword s7, s[4:5], 0x38
	s_ashr_i32 s3, s2, 31
	s_xor_b32 s0, s0, s1
	s_lshr_b32 s3, s3, 29
	s_mul_i32 s1, s18, s16
	s_add_i32 s2, s2, s3
	s_sub_i32 s1, s17, s1
	s_ashr_i32 s12, s2, 3
	s_add_i32 s2, s18, 1
	s_sub_i32 s3, s1, s16
	s_cmp_ge_u32 s1, s16
	v_lshrrev_b32_e32 v21, 5, v0
	s_cselect_b32 s2, s2, s18
	s_cselect_b32 s1, s3, s1
	s_add_i32 s3, s2, 1
	s_cmp_ge_u32 s1, s16
	v_mbcnt_lo_u32_b32 v10, -1, 0
	s_cselect_b32 s1, s3, s2
	s_waitcnt lgkmcnt(0)
	s_xor_b32 s1, s1, s0
	s_mul_i32 s24, s7, s10
	s_sub_i32 s15, s1, s0
	v_cmp_gt_i32_e64 s0, s12, v21
	s_ashr_i32 s25, s24, 31
	s_mov_b32 s1, exec_lo
	s_barrier
	buffer_gl0_inv
                                        ; implicit-def: $vgpr2
                                        ; implicit-def: $vgpr11
	v_cmpx_le_i32_e64 s12, v21
	s_xor_b32 s1, exec_lo, s1
; %bb.5:
	v_mov_b32_e32 v2, 0
	v_mbcnt_lo_u32_b32 v10, -1, 0
	v_mov_b32_e32 v11, 32
                                        ; implicit-def: $vgpr1
; %bb.6:
	s_or_saveexec_b32 s30, s1
	s_clause 0x3
	s_load_dwordx2 s[20:21], s[4:5], 0x0
	s_load_dwordx2 s[26:27], s[4:5], 0x18
	s_load_dword s7, s[4:5], 0x88
	s_load_dwordx4 s[16:19], s[4:5], 0x58
	v_mov_b32_e32 v39, 0xff7fffff
	v_lshrrev_b32_e32 v9, 3, v0
	s_mul_i32 s15, s15, s14
	s_xor_b32 exec_lo, exec_lo, s30
	s_cbranch_execz .LBB318_252
; %bb.7:
	v_mul_u32_u24_e32 v11, 60, v1
	s_load_dwordx2 s[2:3], s[4:5], 0x10
	v_bfe_u32 v46, v0, 2, 3
	s_ashr_i32 s1, s15, 31
	v_lshlrev_b32_e32 v47, 1, v1
	ds_read2_b32 v[3:4], v11 offset1:1
	ds_read2_b32 v[5:6], v11 offset0:2 offset1:3
	ds_read2_b32 v[7:8], v11 offset0:4 offset1:5
	v_lshlrev_b32_e32 v12, 4, v46
	ds_read2_b32 v[27:28], v11 offset0:6 offset1:7
	ds_read2_b32 v[31:32], v11 offset0:8 offset1:9
	;; [unrolled: 1-line block ×4, first 2 shown]
	s_waitcnt lgkmcnt(0)
	s_load_dword s4, s[16:17], 0x0
	v_mov_b32_e32 v2, 0
	v_mov_b32_e32 v50, v21
	s_mov_b32 s16, s13
	s_mov_b32 s14, 0
	s_add_u32 s2, s2, s15
	s_addc_u32 s1, s3, s1
	v_add_co_u32 v48, s2, s2, v12
	v_lshlrev_b32_e32 v12, 16, v3
	v_and_b32_e32 v13, 0xffff0000, v3
	ds_read_b32 v3, v11 offset:56
	v_lshlrev_b32_e32 v14, 16, v4
	v_and_b32_e32 v15, 0xffff0000, v4
	v_xor_b32_e32 v4, 2, v10
	v_lshlrev_b32_e32 v16, 16, v5
	v_and_b32_e32 v17, 0xffff0000, v5
	v_xor_b32_e32 v5, 1, v10
	v_add_co_ci_u32_e64 v49, null, s1, 0, s2
	v_cmp_gt_i32_e32 vcc_lo, 32, v4
	s_sub_i32 s5, 1, s11
	v_lshlrev_b32_e32 v18, 16, v6
	v_and_b32_e32 v19, 0xffff0000, v6
	v_lshlrev_b32_e32 v20, 16, v7
	v_cndmask_b32_e32 v4, v10, v4, vcc_lo
	v_cmp_gt_i32_e32 vcc_lo, 32, v5
	v_and_b32_e32 v22, 0xffff0000, v7
	v_lshlrev_b32_e32 v23, 16, v8
	v_and_b32_e32 v24, 0xffff0000, v8
	v_lshlrev_b32_e32 v44, 2, v4
	v_cndmask_b32_e32 v5, v10, v5, vcc_lo
	v_cmp_eq_u32_e32 vcc_lo, 0, v1
	v_lshlrev_b32_e32 v1, 2, v46
	s_waitcnt lgkmcnt(0)
	v_lshlrev_b32_e32 v42, 16, v3
	v_and_b32_e32 v43, 0xffff0000, v3
	v_add_co_u32 v3, s2, v48, v47
	v_lshlrev_b32_e32 v45, 2, v5
	v_and_b32_e32 v5, 0x7c, v9
	v_add_co_ci_u32_e64 v4, null, 0, v49, s2
	s_lshl_b64 s[2:3], s[24:25], 2
	v_lshl_or_b32 v1, v21, 5, v1
	s_add_u32 s2, s22, s2
	s_addc_u32 s3, s23, s3
	v_add_co_u32 v5, s2, s2, v5
	v_lshlrev_b32_e32 v25, 16, v27
	v_and_b32_e32 v26, 0xffff0000, v27
	v_lshlrev_b32_e32 v27, 16, v28
	v_and_b32_e32 v28, 0xffff0000, v28
	;; [unrolled: 2-line block ×8, first 2 shown]
	v_mov_b32_e32 v11, 32
	v_cmp_neq_f32_e64 s1, s28, 0
	v_lshl_or_b32 v46, v21, 3, v46
	v_add_nc_u32_e32 v47, 0x110, v1
	v_add_co_ci_u32_e64 v6, null, s3, 0, s2
	v_mov_b32_e32 v39, 0xff7fffff
	v_mov_b32_e32 v48, 0x80
	;; [unrolled: 1-line block ×3, first 2 shown]
	s_branch .LBB318_9
.LBB318_8:                              ;   in Loop: Header=BB318_9 Depth=1
	s_or_b32 exec_lo, exec_lo, s3
	v_add_nc_u32_e32 v50, 4, v50
	v_add_co_u32 v5, s3, v5, 16
	v_add_nc_u32_e32 v46, 32, v46
	v_add_nc_u32_e32 v47, 0x80, v47
	v_cmp_le_i32_e64 s2, s12, v50
	v_add_co_ci_u32_e64 v6, null, 0, v6, s3
	s_or_b32 s14, s2, s14
	s_andn2_b32 exec_lo, exec_lo, s14
	s_cbranch_execz .LBB318_251
.LBB318_9:                              ; =>This Inner Loop Header: Depth=1
	global_load_dword v1, v[5:6], off
	v_mov_b32_e32 v51, 0
	s_waitcnt vmcnt(0) lgkmcnt(0)
	v_mad_i64_i32 v[7:8], null, v1, s16, v[3:4]
	global_load_ushort v1, v[7:8], off
	s_waitcnt vmcnt(0)
	v_and_b32_e32 v53, 0xffff, v1
	v_cmp_ne_u16_sdwa s2, v1, v2 src0_sel:BYTE_0 src1_sel:DWORD
	s_and_saveexec_b32 s3, s2
	s_cbranch_execz .LBB318_17
; %bb.10:                               ;   in Loop: Header=BB318_9 Depth=1
	v_cmp_ne_u16_sdwa s2, v53, v48 src0_sel:BYTE_0 src1_sel:DWORD
	v_bfrev_b32_e32 v51, 1
	s_and_saveexec_b32 s17, s2
	s_cbranch_execz .LBB318_16
; %bb.11:                               ;   in Loop: Header=BB318_9 Depth=1
	v_and_b32_e32 v52, 0x7f, v53
	v_mov_b32_e32 v51, 0x7f800001
	s_mov_b32 s31, exec_lo
	v_cmpx_ne_u32_e32 0x7f, v52
	s_cbranch_execz .LBB318_15
; %bb.12:                               ;   in Loop: Header=BB318_9 Depth=1
	v_and_b32_e32 v1, 7, v53
	v_lshrrev_b32_e32 v51, 3, v52
	s_mov_b32 s33, exec_lo
	v_cmpx_gt_u32_e32 8, v52
; %bb.13:                               ;   in Loop: Header=BB318_9 Depth=1
	v_ffbh_u32_e32 v51, v1
	v_min_u32_e32 v51, 32, v51
	v_subrev_nc_u32_e32 v52, 28, v51
	v_sub_nc_u32_e32 v51, 29, v51
	v_lshlrev_b64 v[54:55], v52, v[1:2]
	v_and_b32_e32 v1, 7, v54
; %bb.14:                               ;   in Loop: Header=BB318_9 Depth=1
	s_or_b32 exec_lo, exec_lo, s33
	v_lshlrev_b32_e32 v52, 24, v53
	v_lshlrev_b32_e32 v1, 20, v1
	v_lshl_add_u32 v51, v51, 23, 0x3c000000
	v_and_b32_e32 v52, 0x80000000, v52
	v_or3_b32 v51, v1, v52, v51
.LBB318_15:                             ;   in Loop: Header=BB318_9 Depth=1
	s_or_b32 exec_lo, exec_lo, s31
.LBB318_16:                             ;   in Loop: Header=BB318_9 Depth=1
	s_or_b32 exec_lo, exec_lo, s17
.LBB318_17:                             ;   in Loop: Header=BB318_9 Depth=1
	s_or_b32 exec_lo, exec_lo, s3
	v_cmp_ne_u16_sdwa s2, v53, v2 src0_sel:BYTE_1 src1_sel:DWORD
	v_mov_b32_e32 v52, 0
	s_and_saveexec_b32 s3, s2
	s_cbranch_execz .LBB318_25
; %bb.18:                               ;   in Loop: Header=BB318_9 Depth=1
	v_cmp_ne_u16_sdwa s2, v53, v48 src0_sel:BYTE_1 src1_sel:DWORD
	v_bfrev_b32_e32 v52, 1
	s_and_saveexec_b32 s17, s2
	s_cbranch_execz .LBB318_24
; %bb.19:                               ;   in Loop: Header=BB318_9 Depth=1
	v_and_b32_sdwa v1, v49, v53 dst_sel:DWORD dst_unused:UNUSED_PAD src0_sel:DWORD src1_sel:BYTE_1
	v_mov_b32_e32 v52, 0x7f800001
	s_mov_b32 s31, exec_lo
	v_and_b32_e32 v54, 0x7f, v1
	v_cmpx_ne_u32_e32 0x7f, v54
	s_cbranch_execz .LBB318_23
; %bb.20:                               ;   in Loop: Header=BB318_9 Depth=1
	v_and_b32_e32 v1, 7, v1
	v_lshrrev_b32_e32 v52, 3, v54
	s_mov_b32 s33, exec_lo
	v_cmpx_gt_u32_e32 8, v54
; %bb.21:                               ;   in Loop: Header=BB318_9 Depth=1
	v_ffbh_u32_e32 v52, v1
	v_min_u32_e32 v52, 32, v52
	v_subrev_nc_u32_e32 v54, 28, v52
	v_sub_nc_u32_e32 v52, 29, v52
	v_lshlrev_b64 v[54:55], v54, v[1:2]
	v_and_b32_e32 v1, 7, v54
; %bb.22:                               ;   in Loop: Header=BB318_9 Depth=1
	s_or_b32 exec_lo, exec_lo, s33
	v_lshlrev_b32_e32 v53, 16, v53
	v_lshlrev_b32_e32 v1, 20, v1
	v_lshl_add_u32 v52, v52, 23, 0x3c000000
	v_and_b32_e32 v53, 0x80000000, v53
	v_or3_b32 v52, v1, v53, v52
.LBB318_23:                             ;   in Loop: Header=BB318_9 Depth=1
	s_or_b32 exec_lo, exec_lo, s31
.LBB318_24:                             ;   in Loop: Header=BB318_9 Depth=1
	s_or_b32 exec_lo, exec_lo, s17
.LBB318_25:                             ;   in Loop: Header=BB318_9 Depth=1
	s_or_b32 exec_lo, exec_lo, s3
	global_load_ushort v1, v[7:8], off offset:8
	v_mov_b32_e32 v54, 0
	v_mov_b32_e32 v53, 0
	s_waitcnt vmcnt(0)
	v_and_b32_e32 v55, 0xffff, v1
	v_cmp_ne_u16_sdwa s2, v1, v2 src0_sel:BYTE_0 src1_sel:DWORD
	s_and_saveexec_b32 s3, s2
	s_cbranch_execz .LBB318_33
; %bb.26:                               ;   in Loop: Header=BB318_9 Depth=1
	v_cmp_ne_u16_sdwa s2, v55, v48 src0_sel:BYTE_0 src1_sel:DWORD
	v_bfrev_b32_e32 v53, 1
	s_and_saveexec_b32 s17, s2
	s_cbranch_execz .LBB318_32
; %bb.27:                               ;   in Loop: Header=BB318_9 Depth=1
	v_and_b32_e32 v56, 0x7f, v55
	v_mov_b32_e32 v53, 0x7f800001
	s_mov_b32 s31, exec_lo
	v_cmpx_ne_u32_e32 0x7f, v56
	s_cbranch_execz .LBB318_31
; %bb.28:                               ;   in Loop: Header=BB318_9 Depth=1
	v_and_b32_e32 v1, 7, v55
	v_lshrrev_b32_e32 v53, 3, v56
	s_mov_b32 s33, exec_lo
	v_cmpx_gt_u32_e32 8, v56
; %bb.29:                               ;   in Loop: Header=BB318_9 Depth=1
	v_ffbh_u32_e32 v53, v1
	v_min_u32_e32 v53, 32, v53
	v_subrev_nc_u32_e32 v56, 28, v53
	v_sub_nc_u32_e32 v53, 29, v53
	v_lshlrev_b64 v[56:57], v56, v[1:2]
	v_and_b32_e32 v1, 7, v56
; %bb.30:                               ;   in Loop: Header=BB318_9 Depth=1
	s_or_b32 exec_lo, exec_lo, s33
	v_lshlrev_b32_e32 v56, 24, v55
	v_lshlrev_b32_e32 v1, 20, v1
	v_lshl_add_u32 v53, v53, 23, 0x3c000000
	v_and_b32_e32 v56, 0x80000000, v56
	v_or3_b32 v53, v1, v56, v53
.LBB318_31:                             ;   in Loop: Header=BB318_9 Depth=1
	s_or_b32 exec_lo, exec_lo, s31
.LBB318_32:                             ;   in Loop: Header=BB318_9 Depth=1
	s_or_b32 exec_lo, exec_lo, s17
.LBB318_33:                             ;   in Loop: Header=BB318_9 Depth=1
	s_or_b32 exec_lo, exec_lo, s3
	v_cmp_ne_u16_sdwa s2, v55, v2 src0_sel:BYTE_1 src1_sel:DWORD
	s_and_saveexec_b32 s3, s2
	s_cbranch_execz .LBB318_41
; %bb.34:                               ;   in Loop: Header=BB318_9 Depth=1
	v_cmp_ne_u16_sdwa s2, v55, v48 src0_sel:BYTE_1 src1_sel:DWORD
	v_bfrev_b32_e32 v54, 1
	s_and_saveexec_b32 s17, s2
	s_cbranch_execz .LBB318_40
; %bb.35:                               ;   in Loop: Header=BB318_9 Depth=1
	v_and_b32_sdwa v1, v49, v55 dst_sel:DWORD dst_unused:UNUSED_PAD src0_sel:DWORD src1_sel:BYTE_1
	v_mov_b32_e32 v54, 0x7f800001
	s_mov_b32 s31, exec_lo
	v_and_b32_e32 v56, 0x7f, v1
	v_cmpx_ne_u32_e32 0x7f, v56
	s_cbranch_execz .LBB318_39
; %bb.36:                               ;   in Loop: Header=BB318_9 Depth=1
	v_and_b32_e32 v1, 7, v1
	v_lshrrev_b32_e32 v54, 3, v56
	s_mov_b32 s33, exec_lo
	v_cmpx_gt_u32_e32 8, v56
; %bb.37:                               ;   in Loop: Header=BB318_9 Depth=1
	v_ffbh_u32_e32 v54, v1
	v_min_u32_e32 v54, 32, v54
	v_subrev_nc_u32_e32 v56, 28, v54
	v_sub_nc_u32_e32 v54, 29, v54
	v_lshlrev_b64 v[56:57], v56, v[1:2]
	v_and_b32_e32 v1, 7, v56
; %bb.38:                               ;   in Loop: Header=BB318_9 Depth=1
	s_or_b32 exec_lo, exec_lo, s33
	v_lshlrev_b32_e32 v55, 16, v55
	v_lshlrev_b32_e32 v1, 20, v1
	v_lshl_add_u32 v54, v54, 23, 0x3c000000
	v_and_b32_e32 v55, 0x80000000, v55
	v_or3_b32 v54, v1, v55, v54
.LBB318_39:                             ;   in Loop: Header=BB318_9 Depth=1
	s_or_b32 exec_lo, exec_lo, s31
.LBB318_40:                             ;   in Loop: Header=BB318_9 Depth=1
	s_or_b32 exec_lo, exec_lo, s17
.LBB318_41:                             ;   in Loop: Header=BB318_9 Depth=1
	s_or_b32 exec_lo, exec_lo, s3
	global_load_ushort v1, v[7:8], off offset:128
	v_mov_b32_e32 v56, 0
	v_mov_b32_e32 v55, 0
	s_waitcnt vmcnt(0)
	v_and_b32_e32 v57, 0xffff, v1
	v_cmp_ne_u16_sdwa s2, v1, v2 src0_sel:BYTE_0 src1_sel:DWORD
	s_and_saveexec_b32 s3, s2
	s_cbranch_execz .LBB318_49
; %bb.42:                               ;   in Loop: Header=BB318_9 Depth=1
	v_cmp_ne_u16_sdwa s2, v57, v48 src0_sel:BYTE_0 src1_sel:DWORD
	v_bfrev_b32_e32 v55, 1
	s_and_saveexec_b32 s17, s2
	s_cbranch_execz .LBB318_48
; %bb.43:                               ;   in Loop: Header=BB318_9 Depth=1
	v_and_b32_e32 v58, 0x7f, v57
	v_mov_b32_e32 v55, 0x7f800001
	s_mov_b32 s31, exec_lo
	v_cmpx_ne_u32_e32 0x7f, v58
	s_cbranch_execz .LBB318_47
; %bb.44:                               ;   in Loop: Header=BB318_9 Depth=1
	v_and_b32_e32 v1, 7, v57
	v_lshrrev_b32_e32 v55, 3, v58
	s_mov_b32 s33, exec_lo
	v_cmpx_gt_u32_e32 8, v58
; %bb.45:                               ;   in Loop: Header=BB318_9 Depth=1
	v_ffbh_u32_e32 v55, v1
	v_min_u32_e32 v55, 32, v55
	v_subrev_nc_u32_e32 v58, 28, v55
	v_sub_nc_u32_e32 v55, 29, v55
	v_lshlrev_b64 v[58:59], v58, v[1:2]
	v_and_b32_e32 v1, 7, v58
; %bb.46:                               ;   in Loop: Header=BB318_9 Depth=1
	s_or_b32 exec_lo, exec_lo, s33
	v_lshlrev_b32_e32 v58, 24, v57
	v_lshlrev_b32_e32 v1, 20, v1
	v_lshl_add_u32 v55, v55, 23, 0x3c000000
	v_and_b32_e32 v58, 0x80000000, v58
	v_or3_b32 v55, v1, v58, v55
.LBB318_47:                             ;   in Loop: Header=BB318_9 Depth=1
	s_or_b32 exec_lo, exec_lo, s31
.LBB318_48:                             ;   in Loop: Header=BB318_9 Depth=1
	s_or_b32 exec_lo, exec_lo, s17
.LBB318_49:                             ;   in Loop: Header=BB318_9 Depth=1
	s_or_b32 exec_lo, exec_lo, s3
	v_cmp_ne_u16_sdwa s2, v57, v2 src0_sel:BYTE_1 src1_sel:DWORD
	s_and_saveexec_b32 s3, s2
	s_cbranch_execz .LBB318_57
; %bb.50:                               ;   in Loop: Header=BB318_9 Depth=1
	v_cmp_ne_u16_sdwa s2, v57, v48 src0_sel:BYTE_1 src1_sel:DWORD
	v_bfrev_b32_e32 v56, 1
	s_and_saveexec_b32 s17, s2
	s_cbranch_execz .LBB318_56
; %bb.51:                               ;   in Loop: Header=BB318_9 Depth=1
	v_and_b32_sdwa v1, v49, v57 dst_sel:DWORD dst_unused:UNUSED_PAD src0_sel:DWORD src1_sel:BYTE_1
	v_mov_b32_e32 v56, 0x7f800001
	s_mov_b32 s31, exec_lo
	v_and_b32_e32 v58, 0x7f, v1
	v_cmpx_ne_u32_e32 0x7f, v58
	s_cbranch_execz .LBB318_55
; %bb.52:                               ;   in Loop: Header=BB318_9 Depth=1
	v_and_b32_e32 v1, 7, v1
	v_lshrrev_b32_e32 v56, 3, v58
	s_mov_b32 s33, exec_lo
	v_cmpx_gt_u32_e32 8, v58
; %bb.53:                               ;   in Loop: Header=BB318_9 Depth=1
	v_ffbh_u32_e32 v56, v1
	v_min_u32_e32 v56, 32, v56
	v_subrev_nc_u32_e32 v58, 28, v56
	v_sub_nc_u32_e32 v56, 29, v56
	v_lshlrev_b64 v[58:59], v58, v[1:2]
	v_and_b32_e32 v1, 7, v58
; %bb.54:                               ;   in Loop: Header=BB318_9 Depth=1
	s_or_b32 exec_lo, exec_lo, s33
	v_lshlrev_b32_e32 v57, 16, v57
	v_lshlrev_b32_e32 v1, 20, v1
	v_lshl_add_u32 v56, v56, 23, 0x3c000000
	v_and_b32_e32 v57, 0x80000000, v57
	v_or3_b32 v56, v1, v57, v56
.LBB318_55:                             ;   in Loop: Header=BB318_9 Depth=1
	s_or_b32 exec_lo, exec_lo, s31
.LBB318_56:                             ;   in Loop: Header=BB318_9 Depth=1
	s_or_b32 exec_lo, exec_lo, s17
.LBB318_57:                             ;   in Loop: Header=BB318_9 Depth=1
	s_or_b32 exec_lo, exec_lo, s3
	global_load_ushort v1, v[7:8], off offset:136
	v_mov_b32_e32 v57, 0
	v_mov_b32_e32 v58, 0
	s_waitcnt vmcnt(0)
	v_and_b32_e32 v59, 0xffff, v1
	v_cmp_ne_u16_sdwa s2, v1, v2 src0_sel:BYTE_0 src1_sel:DWORD
	s_and_saveexec_b32 s3, s2
	s_cbranch_execz .LBB318_65
; %bb.58:                               ;   in Loop: Header=BB318_9 Depth=1
	v_cmp_ne_u16_sdwa s2, v59, v48 src0_sel:BYTE_0 src1_sel:DWORD
	v_bfrev_b32_e32 v58, 1
	s_and_saveexec_b32 s17, s2
	s_cbranch_execz .LBB318_64
; %bb.59:                               ;   in Loop: Header=BB318_9 Depth=1
	v_and_b32_e32 v60, 0x7f, v59
	v_mov_b32_e32 v58, 0x7f800001
	s_mov_b32 s31, exec_lo
	v_cmpx_ne_u32_e32 0x7f, v60
	s_cbranch_execz .LBB318_63
; %bb.60:                               ;   in Loop: Header=BB318_9 Depth=1
	v_and_b32_e32 v1, 7, v59
	v_lshrrev_b32_e32 v58, 3, v60
	s_mov_b32 s33, exec_lo
	v_cmpx_gt_u32_e32 8, v60
; %bb.61:                               ;   in Loop: Header=BB318_9 Depth=1
	v_ffbh_u32_e32 v58, v1
	v_min_u32_e32 v58, 32, v58
	v_subrev_nc_u32_e32 v60, 28, v58
	v_sub_nc_u32_e32 v58, 29, v58
	v_lshlrev_b64 v[60:61], v60, v[1:2]
	v_and_b32_e32 v1, 7, v60
; %bb.62:                               ;   in Loop: Header=BB318_9 Depth=1
	s_or_b32 exec_lo, exec_lo, s33
	v_lshlrev_b32_e32 v60, 24, v59
	v_lshlrev_b32_e32 v1, 20, v1
	v_lshl_add_u32 v58, v58, 23, 0x3c000000
	v_and_b32_e32 v60, 0x80000000, v60
	v_or3_b32 v58, v1, v60, v58
.LBB318_63:                             ;   in Loop: Header=BB318_9 Depth=1
	s_or_b32 exec_lo, exec_lo, s31
.LBB318_64:                             ;   in Loop: Header=BB318_9 Depth=1
	s_or_b32 exec_lo, exec_lo, s17
.LBB318_65:                             ;   in Loop: Header=BB318_9 Depth=1
	s_or_b32 exec_lo, exec_lo, s3
	v_cmp_ne_u16_sdwa s2, v59, v2 src0_sel:BYTE_1 src1_sel:DWORD
	s_and_saveexec_b32 s3, s2
	s_cbranch_execz .LBB318_73
; %bb.66:                               ;   in Loop: Header=BB318_9 Depth=1
	v_cmp_ne_u16_sdwa s2, v59, v48 src0_sel:BYTE_1 src1_sel:DWORD
	v_bfrev_b32_e32 v57, 1
	s_and_saveexec_b32 s17, s2
	s_cbranch_execz .LBB318_72
; %bb.67:                               ;   in Loop: Header=BB318_9 Depth=1
	v_and_b32_sdwa v1, v49, v59 dst_sel:DWORD dst_unused:UNUSED_PAD src0_sel:DWORD src1_sel:BYTE_1
	v_mov_b32_e32 v57, 0x7f800001
	s_mov_b32 s31, exec_lo
	v_and_b32_e32 v60, 0x7f, v1
	v_cmpx_ne_u32_e32 0x7f, v60
	s_cbranch_execz .LBB318_71
; %bb.68:                               ;   in Loop: Header=BB318_9 Depth=1
	v_and_b32_e32 v1, 7, v1
	v_lshrrev_b32_e32 v57, 3, v60
	s_mov_b32 s33, exec_lo
	v_cmpx_gt_u32_e32 8, v60
; %bb.69:                               ;   in Loop: Header=BB318_9 Depth=1
	v_ffbh_u32_e32 v57, v1
	v_min_u32_e32 v57, 32, v57
	v_subrev_nc_u32_e32 v60, 28, v57
	v_sub_nc_u32_e32 v57, 29, v57
	v_lshlrev_b64 v[60:61], v60, v[1:2]
	v_and_b32_e32 v1, 7, v60
; %bb.70:                               ;   in Loop: Header=BB318_9 Depth=1
	s_or_b32 exec_lo, exec_lo, s33
	v_lshlrev_b32_e32 v59, 16, v59
	v_lshlrev_b32_e32 v1, 20, v1
	v_lshl_add_u32 v57, v57, 23, 0x3c000000
	v_and_b32_e32 v59, 0x80000000, v59
	v_or3_b32 v57, v1, v59, v57
.LBB318_71:                             ;   in Loop: Header=BB318_9 Depth=1
	s_or_b32 exec_lo, exec_lo, s31
.LBB318_72:                             ;   in Loop: Header=BB318_9 Depth=1
	s_or_b32 exec_lo, exec_lo, s17
.LBB318_73:                             ;   in Loop: Header=BB318_9 Depth=1
	s_or_b32 exec_lo, exec_lo, s3
	global_load_ushort v1, v[7:8], off offset:256
	v_mov_b32_e32 v60, 0
	v_mov_b32_e32 v59, 0
	s_waitcnt vmcnt(0)
	v_and_b32_e32 v61, 0xffff, v1
	v_cmp_ne_u16_sdwa s2, v1, v2 src0_sel:BYTE_0 src1_sel:DWORD
	s_and_saveexec_b32 s3, s2
	s_cbranch_execz .LBB318_81
; %bb.74:                               ;   in Loop: Header=BB318_9 Depth=1
	v_cmp_ne_u16_sdwa s2, v61, v48 src0_sel:BYTE_0 src1_sel:DWORD
	v_bfrev_b32_e32 v59, 1
	s_and_saveexec_b32 s17, s2
	s_cbranch_execz .LBB318_80
; %bb.75:                               ;   in Loop: Header=BB318_9 Depth=1
	v_and_b32_e32 v62, 0x7f, v61
	v_mov_b32_e32 v59, 0x7f800001
	s_mov_b32 s31, exec_lo
	v_cmpx_ne_u32_e32 0x7f, v62
	s_cbranch_execz .LBB318_79
; %bb.76:                               ;   in Loop: Header=BB318_9 Depth=1
	v_and_b32_e32 v1, 7, v61
	v_lshrrev_b32_e32 v59, 3, v62
	s_mov_b32 s33, exec_lo
	v_cmpx_gt_u32_e32 8, v62
; %bb.77:                               ;   in Loop: Header=BB318_9 Depth=1
	v_ffbh_u32_e32 v59, v1
	v_min_u32_e32 v59, 32, v59
	v_subrev_nc_u32_e32 v62, 28, v59
	v_sub_nc_u32_e32 v59, 29, v59
	v_lshlrev_b64 v[62:63], v62, v[1:2]
	v_and_b32_e32 v1, 7, v62
; %bb.78:                               ;   in Loop: Header=BB318_9 Depth=1
	s_or_b32 exec_lo, exec_lo, s33
	v_lshlrev_b32_e32 v62, 24, v61
	v_lshlrev_b32_e32 v1, 20, v1
	v_lshl_add_u32 v59, v59, 23, 0x3c000000
	v_and_b32_e32 v62, 0x80000000, v62
	v_or3_b32 v59, v1, v62, v59
.LBB318_79:                             ;   in Loop: Header=BB318_9 Depth=1
	s_or_b32 exec_lo, exec_lo, s31
.LBB318_80:                             ;   in Loop: Header=BB318_9 Depth=1
	s_or_b32 exec_lo, exec_lo, s17
.LBB318_81:                             ;   in Loop: Header=BB318_9 Depth=1
	s_or_b32 exec_lo, exec_lo, s3
	v_cmp_ne_u16_sdwa s2, v61, v2 src0_sel:BYTE_1 src1_sel:DWORD
	s_and_saveexec_b32 s3, s2
	s_cbranch_execz .LBB318_89
; %bb.82:                               ;   in Loop: Header=BB318_9 Depth=1
	v_cmp_ne_u16_sdwa s2, v61, v48 src0_sel:BYTE_1 src1_sel:DWORD
	v_bfrev_b32_e32 v60, 1
	s_and_saveexec_b32 s17, s2
	s_cbranch_execz .LBB318_88
; %bb.83:                               ;   in Loop: Header=BB318_9 Depth=1
	v_and_b32_sdwa v1, v49, v61 dst_sel:DWORD dst_unused:UNUSED_PAD src0_sel:DWORD src1_sel:BYTE_1
	v_mov_b32_e32 v60, 0x7f800001
	s_mov_b32 s31, exec_lo
	v_and_b32_e32 v62, 0x7f, v1
	v_cmpx_ne_u32_e32 0x7f, v62
	s_cbranch_execz .LBB318_87
; %bb.84:                               ;   in Loop: Header=BB318_9 Depth=1
	v_and_b32_e32 v1, 7, v1
	v_lshrrev_b32_e32 v60, 3, v62
	s_mov_b32 s33, exec_lo
	v_cmpx_gt_u32_e32 8, v62
; %bb.85:                               ;   in Loop: Header=BB318_9 Depth=1
	v_ffbh_u32_e32 v60, v1
	v_min_u32_e32 v60, 32, v60
	v_subrev_nc_u32_e32 v62, 28, v60
	v_sub_nc_u32_e32 v60, 29, v60
	v_lshlrev_b64 v[62:63], v62, v[1:2]
	v_and_b32_e32 v1, 7, v62
; %bb.86:                               ;   in Loop: Header=BB318_9 Depth=1
	s_or_b32 exec_lo, exec_lo, s33
	v_lshlrev_b32_e32 v61, 16, v61
	v_lshlrev_b32_e32 v1, 20, v1
	v_lshl_add_u32 v60, v60, 23, 0x3c000000
	v_and_b32_e32 v61, 0x80000000, v61
	v_or3_b32 v60, v1, v61, v60
.LBB318_87:                             ;   in Loop: Header=BB318_9 Depth=1
	s_or_b32 exec_lo, exec_lo, s31
.LBB318_88:                             ;   in Loop: Header=BB318_9 Depth=1
	s_or_b32 exec_lo, exec_lo, s17
.LBB318_89:                             ;   in Loop: Header=BB318_9 Depth=1
	s_or_b32 exec_lo, exec_lo, s3
	global_load_ushort v1, v[7:8], off offset:264
	v_mov_b32_e32 v62, 0
	v_mov_b32_e32 v61, 0
	s_waitcnt vmcnt(0)
	v_and_b32_e32 v63, 0xffff, v1
	v_cmp_ne_u16_sdwa s2, v1, v2 src0_sel:BYTE_0 src1_sel:DWORD
	s_and_saveexec_b32 s3, s2
	s_cbranch_execz .LBB318_97
; %bb.90:                               ;   in Loop: Header=BB318_9 Depth=1
	v_cmp_ne_u16_sdwa s2, v63, v48 src0_sel:BYTE_0 src1_sel:DWORD
	v_bfrev_b32_e32 v61, 1
	s_and_saveexec_b32 s17, s2
	s_cbranch_execz .LBB318_96
; %bb.91:                               ;   in Loop: Header=BB318_9 Depth=1
	v_and_b32_e32 v64, 0x7f, v63
	v_mov_b32_e32 v61, 0x7f800001
	s_mov_b32 s31, exec_lo
	v_cmpx_ne_u32_e32 0x7f, v64
	s_cbranch_execz .LBB318_95
; %bb.92:                               ;   in Loop: Header=BB318_9 Depth=1
	v_and_b32_e32 v1, 7, v63
	v_lshrrev_b32_e32 v61, 3, v64
	s_mov_b32 s33, exec_lo
	v_cmpx_gt_u32_e32 8, v64
; %bb.93:                               ;   in Loop: Header=BB318_9 Depth=1
	v_ffbh_u32_e32 v61, v1
	v_min_u32_e32 v61, 32, v61
	v_subrev_nc_u32_e32 v64, 28, v61
	v_sub_nc_u32_e32 v61, 29, v61
	v_lshlrev_b64 v[64:65], v64, v[1:2]
	v_and_b32_e32 v1, 7, v64
; %bb.94:                               ;   in Loop: Header=BB318_9 Depth=1
	s_or_b32 exec_lo, exec_lo, s33
	v_lshlrev_b32_e32 v64, 24, v63
	v_lshlrev_b32_e32 v1, 20, v1
	v_lshl_add_u32 v61, v61, 23, 0x3c000000
	v_and_b32_e32 v64, 0x80000000, v64
	v_or3_b32 v61, v1, v64, v61
.LBB318_95:                             ;   in Loop: Header=BB318_9 Depth=1
	s_or_b32 exec_lo, exec_lo, s31
.LBB318_96:                             ;   in Loop: Header=BB318_9 Depth=1
	s_or_b32 exec_lo, exec_lo, s17
.LBB318_97:                             ;   in Loop: Header=BB318_9 Depth=1
	s_or_b32 exec_lo, exec_lo, s3
	v_cmp_ne_u16_sdwa s2, v63, v2 src0_sel:BYTE_1 src1_sel:DWORD
	s_and_saveexec_b32 s3, s2
	s_cbranch_execz .LBB318_105
; %bb.98:                               ;   in Loop: Header=BB318_9 Depth=1
	v_cmp_ne_u16_sdwa s2, v63, v48 src0_sel:BYTE_1 src1_sel:DWORD
	v_bfrev_b32_e32 v62, 1
	s_and_saveexec_b32 s17, s2
	s_cbranch_execz .LBB318_104
; %bb.99:                               ;   in Loop: Header=BB318_9 Depth=1
	v_and_b32_sdwa v1, v49, v63 dst_sel:DWORD dst_unused:UNUSED_PAD src0_sel:DWORD src1_sel:BYTE_1
	v_mov_b32_e32 v62, 0x7f800001
	s_mov_b32 s31, exec_lo
	v_and_b32_e32 v64, 0x7f, v1
	v_cmpx_ne_u32_e32 0x7f, v64
	s_cbranch_execz .LBB318_103
; %bb.100:                              ;   in Loop: Header=BB318_9 Depth=1
	v_and_b32_e32 v1, 7, v1
	v_lshrrev_b32_e32 v62, 3, v64
	s_mov_b32 s33, exec_lo
	v_cmpx_gt_u32_e32 8, v64
; %bb.101:                              ;   in Loop: Header=BB318_9 Depth=1
	v_ffbh_u32_e32 v62, v1
	v_min_u32_e32 v62, 32, v62
	v_subrev_nc_u32_e32 v64, 28, v62
	v_sub_nc_u32_e32 v62, 29, v62
	v_lshlrev_b64 v[64:65], v64, v[1:2]
	v_and_b32_e32 v1, 7, v64
; %bb.102:                              ;   in Loop: Header=BB318_9 Depth=1
	s_or_b32 exec_lo, exec_lo, s33
	v_lshlrev_b32_e32 v63, 16, v63
	v_lshlrev_b32_e32 v1, 20, v1
	v_lshl_add_u32 v62, v62, 23, 0x3c000000
	v_and_b32_e32 v63, 0x80000000, v63
	v_or3_b32 v62, v1, v63, v62
.LBB318_103:                            ;   in Loop: Header=BB318_9 Depth=1
	s_or_b32 exec_lo, exec_lo, s31
.LBB318_104:                            ;   in Loop: Header=BB318_9 Depth=1
	s_or_b32 exec_lo, exec_lo, s17
.LBB318_105:                            ;   in Loop: Header=BB318_9 Depth=1
	s_or_b32 exec_lo, exec_lo, s3
	global_load_ushort v1, v[7:8], off offset:384
	v_mov_b32_e32 v64, 0
	v_mov_b32_e32 v63, 0
	s_waitcnt vmcnt(0)
	v_and_b32_e32 v65, 0xffff, v1
	v_cmp_ne_u16_sdwa s2, v1, v2 src0_sel:BYTE_0 src1_sel:DWORD
	s_and_saveexec_b32 s3, s2
	s_cbranch_execz .LBB318_113
; %bb.106:                              ;   in Loop: Header=BB318_9 Depth=1
	v_cmp_ne_u16_sdwa s2, v65, v48 src0_sel:BYTE_0 src1_sel:DWORD
	v_bfrev_b32_e32 v63, 1
	s_and_saveexec_b32 s17, s2
	s_cbranch_execz .LBB318_112
; %bb.107:                              ;   in Loop: Header=BB318_9 Depth=1
	v_and_b32_e32 v66, 0x7f, v65
	v_mov_b32_e32 v63, 0x7f800001
	s_mov_b32 s31, exec_lo
	v_cmpx_ne_u32_e32 0x7f, v66
	s_cbranch_execz .LBB318_111
; %bb.108:                              ;   in Loop: Header=BB318_9 Depth=1
	v_and_b32_e32 v1, 7, v65
	v_lshrrev_b32_e32 v63, 3, v66
	s_mov_b32 s33, exec_lo
	v_cmpx_gt_u32_e32 8, v66
; %bb.109:                              ;   in Loop: Header=BB318_9 Depth=1
	v_ffbh_u32_e32 v63, v1
	v_min_u32_e32 v63, 32, v63
	v_subrev_nc_u32_e32 v66, 28, v63
	v_sub_nc_u32_e32 v63, 29, v63
	v_lshlrev_b64 v[66:67], v66, v[1:2]
	v_and_b32_e32 v1, 7, v66
; %bb.110:                              ;   in Loop: Header=BB318_9 Depth=1
	s_or_b32 exec_lo, exec_lo, s33
	v_lshlrev_b32_e32 v66, 24, v65
	v_lshlrev_b32_e32 v1, 20, v1
	v_lshl_add_u32 v63, v63, 23, 0x3c000000
	v_and_b32_e32 v66, 0x80000000, v66
	v_or3_b32 v63, v1, v66, v63
.LBB318_111:                            ;   in Loop: Header=BB318_9 Depth=1
	s_or_b32 exec_lo, exec_lo, s31
.LBB318_112:                            ;   in Loop: Header=BB318_9 Depth=1
	s_or_b32 exec_lo, exec_lo, s17
.LBB318_113:                            ;   in Loop: Header=BB318_9 Depth=1
	s_or_b32 exec_lo, exec_lo, s3
	v_cmp_ne_u16_sdwa s2, v65, v2 src0_sel:BYTE_1 src1_sel:DWORD
	s_and_saveexec_b32 s3, s2
	s_cbranch_execz .LBB318_121
; %bb.114:                              ;   in Loop: Header=BB318_9 Depth=1
	v_cmp_ne_u16_sdwa s2, v65, v48 src0_sel:BYTE_1 src1_sel:DWORD
	v_bfrev_b32_e32 v64, 1
	s_and_saveexec_b32 s17, s2
	s_cbranch_execz .LBB318_120
; %bb.115:                              ;   in Loop: Header=BB318_9 Depth=1
	v_and_b32_sdwa v1, v49, v65 dst_sel:DWORD dst_unused:UNUSED_PAD src0_sel:DWORD src1_sel:BYTE_1
	v_mov_b32_e32 v64, 0x7f800001
	s_mov_b32 s31, exec_lo
	v_and_b32_e32 v66, 0x7f, v1
	v_cmpx_ne_u32_e32 0x7f, v66
	s_cbranch_execz .LBB318_119
; %bb.116:                              ;   in Loop: Header=BB318_9 Depth=1
	v_and_b32_e32 v1, 7, v1
	v_lshrrev_b32_e32 v64, 3, v66
	s_mov_b32 s33, exec_lo
	v_cmpx_gt_u32_e32 8, v66
; %bb.117:                              ;   in Loop: Header=BB318_9 Depth=1
	v_ffbh_u32_e32 v64, v1
	v_min_u32_e32 v64, 32, v64
	v_subrev_nc_u32_e32 v66, 28, v64
	v_sub_nc_u32_e32 v64, 29, v64
	v_lshlrev_b64 v[66:67], v66, v[1:2]
	v_and_b32_e32 v1, 7, v66
; %bb.118:                              ;   in Loop: Header=BB318_9 Depth=1
	s_or_b32 exec_lo, exec_lo, s33
	v_lshlrev_b32_e32 v65, 16, v65
	v_lshlrev_b32_e32 v1, 20, v1
	v_lshl_add_u32 v64, v64, 23, 0x3c000000
	v_and_b32_e32 v65, 0x80000000, v65
	v_or3_b32 v64, v1, v65, v64
.LBB318_119:                            ;   in Loop: Header=BB318_9 Depth=1
	s_or_b32 exec_lo, exec_lo, s31
.LBB318_120:                            ;   in Loop: Header=BB318_9 Depth=1
	s_or_b32 exec_lo, exec_lo, s17
.LBB318_121:                            ;   in Loop: Header=BB318_9 Depth=1
	s_or_b32 exec_lo, exec_lo, s3
	global_load_ushort v1, v[7:8], off offset:392
	v_mov_b32_e32 v66, 0
	v_mov_b32_e32 v65, 0
	s_waitcnt vmcnt(0)
	v_and_b32_e32 v67, 0xffff, v1
	v_cmp_ne_u16_sdwa s2, v1, v2 src0_sel:BYTE_0 src1_sel:DWORD
	s_and_saveexec_b32 s3, s2
	s_cbranch_execz .LBB318_129
; %bb.122:                              ;   in Loop: Header=BB318_9 Depth=1
	v_cmp_ne_u16_sdwa s2, v67, v48 src0_sel:BYTE_0 src1_sel:DWORD
	v_bfrev_b32_e32 v65, 1
	s_and_saveexec_b32 s17, s2
	s_cbranch_execz .LBB318_128
; %bb.123:                              ;   in Loop: Header=BB318_9 Depth=1
	v_and_b32_e32 v68, 0x7f, v67
	v_mov_b32_e32 v65, 0x7f800001
	s_mov_b32 s31, exec_lo
	v_cmpx_ne_u32_e32 0x7f, v68
	s_cbranch_execz .LBB318_127
; %bb.124:                              ;   in Loop: Header=BB318_9 Depth=1
	v_and_b32_e32 v1, 7, v67
	v_lshrrev_b32_e32 v65, 3, v68
	s_mov_b32 s33, exec_lo
	v_cmpx_gt_u32_e32 8, v68
; %bb.125:                              ;   in Loop: Header=BB318_9 Depth=1
	v_ffbh_u32_e32 v65, v1
	v_min_u32_e32 v65, 32, v65
	v_subrev_nc_u32_e32 v68, 28, v65
	v_sub_nc_u32_e32 v65, 29, v65
	v_lshlrev_b64 v[68:69], v68, v[1:2]
	v_and_b32_e32 v1, 7, v68
; %bb.126:                              ;   in Loop: Header=BB318_9 Depth=1
	s_or_b32 exec_lo, exec_lo, s33
	v_lshlrev_b32_e32 v68, 24, v67
	v_lshlrev_b32_e32 v1, 20, v1
	v_lshl_add_u32 v65, v65, 23, 0x3c000000
	v_and_b32_e32 v68, 0x80000000, v68
	v_or3_b32 v65, v1, v68, v65
.LBB318_127:                            ;   in Loop: Header=BB318_9 Depth=1
	s_or_b32 exec_lo, exec_lo, s31
.LBB318_128:                            ;   in Loop: Header=BB318_9 Depth=1
	s_or_b32 exec_lo, exec_lo, s17
.LBB318_129:                            ;   in Loop: Header=BB318_9 Depth=1
	s_or_b32 exec_lo, exec_lo, s3
	v_cmp_ne_u16_sdwa s2, v67, v2 src0_sel:BYTE_1 src1_sel:DWORD
	s_and_saveexec_b32 s3, s2
	s_cbranch_execz .LBB318_137
; %bb.130:                              ;   in Loop: Header=BB318_9 Depth=1
	v_cmp_ne_u16_sdwa s2, v67, v48 src0_sel:BYTE_1 src1_sel:DWORD
	v_bfrev_b32_e32 v66, 1
	s_and_saveexec_b32 s17, s2
	s_cbranch_execz .LBB318_136
; %bb.131:                              ;   in Loop: Header=BB318_9 Depth=1
	v_and_b32_sdwa v1, v49, v67 dst_sel:DWORD dst_unused:UNUSED_PAD src0_sel:DWORD src1_sel:BYTE_1
	v_mov_b32_e32 v66, 0x7f800001
	s_mov_b32 s31, exec_lo
	v_and_b32_e32 v68, 0x7f, v1
	v_cmpx_ne_u32_e32 0x7f, v68
	s_cbranch_execz .LBB318_135
; %bb.132:                              ;   in Loop: Header=BB318_9 Depth=1
	v_and_b32_e32 v1, 7, v1
	v_lshrrev_b32_e32 v66, 3, v68
	s_mov_b32 s33, exec_lo
	v_cmpx_gt_u32_e32 8, v68
; %bb.133:                              ;   in Loop: Header=BB318_9 Depth=1
	v_ffbh_u32_e32 v66, v1
	v_min_u32_e32 v66, 32, v66
	v_subrev_nc_u32_e32 v68, 28, v66
	v_sub_nc_u32_e32 v66, 29, v66
	v_lshlrev_b64 v[68:69], v68, v[1:2]
	v_and_b32_e32 v1, 7, v68
; %bb.134:                              ;   in Loop: Header=BB318_9 Depth=1
	s_or_b32 exec_lo, exec_lo, s33
	v_lshlrev_b32_e32 v67, 16, v67
	v_lshlrev_b32_e32 v1, 20, v1
	v_lshl_add_u32 v66, v66, 23, 0x3c000000
	v_and_b32_e32 v67, 0x80000000, v67
	v_or3_b32 v66, v1, v67, v66
.LBB318_135:                            ;   in Loop: Header=BB318_9 Depth=1
	s_or_b32 exec_lo, exec_lo, s31
.LBB318_136:                            ;   in Loop: Header=BB318_9 Depth=1
	s_or_b32 exec_lo, exec_lo, s17
.LBB318_137:                            ;   in Loop: Header=BB318_9 Depth=1
	s_or_b32 exec_lo, exec_lo, s3
	global_load_ushort v1, v[7:8], off offset:512
	v_mov_b32_e32 v68, 0
	v_mov_b32_e32 v67, 0
	s_waitcnt vmcnt(0)
	v_and_b32_e32 v69, 0xffff, v1
	v_cmp_ne_u16_sdwa s2, v1, v2 src0_sel:BYTE_0 src1_sel:DWORD
	s_and_saveexec_b32 s3, s2
	s_cbranch_execz .LBB318_145
; %bb.138:                              ;   in Loop: Header=BB318_9 Depth=1
	v_cmp_ne_u16_sdwa s2, v69, v48 src0_sel:BYTE_0 src1_sel:DWORD
	v_bfrev_b32_e32 v67, 1
	s_and_saveexec_b32 s17, s2
	s_cbranch_execz .LBB318_144
; %bb.139:                              ;   in Loop: Header=BB318_9 Depth=1
	v_and_b32_e32 v70, 0x7f, v69
	v_mov_b32_e32 v67, 0x7f800001
	s_mov_b32 s31, exec_lo
	v_cmpx_ne_u32_e32 0x7f, v70
	s_cbranch_execz .LBB318_143
; %bb.140:                              ;   in Loop: Header=BB318_9 Depth=1
	v_and_b32_e32 v1, 7, v69
	v_lshrrev_b32_e32 v67, 3, v70
	s_mov_b32 s33, exec_lo
	v_cmpx_gt_u32_e32 8, v70
; %bb.141:                              ;   in Loop: Header=BB318_9 Depth=1
	v_ffbh_u32_e32 v67, v1
	v_min_u32_e32 v67, 32, v67
	v_subrev_nc_u32_e32 v70, 28, v67
	v_sub_nc_u32_e32 v67, 29, v67
	v_lshlrev_b64 v[70:71], v70, v[1:2]
	v_and_b32_e32 v1, 7, v70
; %bb.142:                              ;   in Loop: Header=BB318_9 Depth=1
	s_or_b32 exec_lo, exec_lo, s33
	v_lshlrev_b32_e32 v70, 24, v69
	v_lshlrev_b32_e32 v1, 20, v1
	v_lshl_add_u32 v67, v67, 23, 0x3c000000
	v_and_b32_e32 v70, 0x80000000, v70
	v_or3_b32 v67, v1, v70, v67
.LBB318_143:                            ;   in Loop: Header=BB318_9 Depth=1
	s_or_b32 exec_lo, exec_lo, s31
.LBB318_144:                            ;   in Loop: Header=BB318_9 Depth=1
	s_or_b32 exec_lo, exec_lo, s17
.LBB318_145:                            ;   in Loop: Header=BB318_9 Depth=1
	s_or_b32 exec_lo, exec_lo, s3
	v_cmp_ne_u16_sdwa s2, v69, v2 src0_sel:BYTE_1 src1_sel:DWORD
	s_and_saveexec_b32 s3, s2
	s_cbranch_execz .LBB318_153
; %bb.146:                              ;   in Loop: Header=BB318_9 Depth=1
	v_cmp_ne_u16_sdwa s2, v69, v48 src0_sel:BYTE_1 src1_sel:DWORD
	v_bfrev_b32_e32 v68, 1
	s_and_saveexec_b32 s17, s2
	s_cbranch_execz .LBB318_152
; %bb.147:                              ;   in Loop: Header=BB318_9 Depth=1
	v_and_b32_sdwa v1, v49, v69 dst_sel:DWORD dst_unused:UNUSED_PAD src0_sel:DWORD src1_sel:BYTE_1
	v_mov_b32_e32 v68, 0x7f800001
	s_mov_b32 s31, exec_lo
	v_and_b32_e32 v70, 0x7f, v1
	v_cmpx_ne_u32_e32 0x7f, v70
	s_cbranch_execz .LBB318_151
; %bb.148:                              ;   in Loop: Header=BB318_9 Depth=1
	v_and_b32_e32 v1, 7, v1
	v_lshrrev_b32_e32 v68, 3, v70
	s_mov_b32 s33, exec_lo
	v_cmpx_gt_u32_e32 8, v70
; %bb.149:                              ;   in Loop: Header=BB318_9 Depth=1
	v_ffbh_u32_e32 v68, v1
	v_min_u32_e32 v68, 32, v68
	v_subrev_nc_u32_e32 v70, 28, v68
	v_sub_nc_u32_e32 v68, 29, v68
	v_lshlrev_b64 v[70:71], v70, v[1:2]
	v_and_b32_e32 v1, 7, v70
; %bb.150:                              ;   in Loop: Header=BB318_9 Depth=1
	s_or_b32 exec_lo, exec_lo, s33
	v_lshlrev_b32_e32 v69, 16, v69
	v_lshlrev_b32_e32 v1, 20, v1
	v_lshl_add_u32 v68, v68, 23, 0x3c000000
	v_and_b32_e32 v69, 0x80000000, v69
	v_or3_b32 v68, v1, v69, v68
.LBB318_151:                            ;   in Loop: Header=BB318_9 Depth=1
	s_or_b32 exec_lo, exec_lo, s31
.LBB318_152:                            ;   in Loop: Header=BB318_9 Depth=1
	s_or_b32 exec_lo, exec_lo, s17
.LBB318_153:                            ;   in Loop: Header=BB318_9 Depth=1
	s_or_b32 exec_lo, exec_lo, s3
	global_load_ushort v1, v[7:8], off offset:520
	v_mov_b32_e32 v70, 0
	v_mov_b32_e32 v69, 0
	s_waitcnt vmcnt(0)
	v_and_b32_e32 v71, 0xffff, v1
	v_cmp_ne_u16_sdwa s2, v1, v2 src0_sel:BYTE_0 src1_sel:DWORD
	s_and_saveexec_b32 s3, s2
	s_cbranch_execz .LBB318_161
; %bb.154:                              ;   in Loop: Header=BB318_9 Depth=1
	v_cmp_ne_u16_sdwa s2, v71, v48 src0_sel:BYTE_0 src1_sel:DWORD
	v_bfrev_b32_e32 v69, 1
	s_and_saveexec_b32 s17, s2
	s_cbranch_execz .LBB318_160
; %bb.155:                              ;   in Loop: Header=BB318_9 Depth=1
	v_and_b32_e32 v72, 0x7f, v71
	v_mov_b32_e32 v69, 0x7f800001
	s_mov_b32 s31, exec_lo
	v_cmpx_ne_u32_e32 0x7f, v72
	s_cbranch_execz .LBB318_159
; %bb.156:                              ;   in Loop: Header=BB318_9 Depth=1
	v_and_b32_e32 v1, 7, v71
	v_lshrrev_b32_e32 v69, 3, v72
	s_mov_b32 s33, exec_lo
	v_cmpx_gt_u32_e32 8, v72
; %bb.157:                              ;   in Loop: Header=BB318_9 Depth=1
	v_ffbh_u32_e32 v69, v1
	v_min_u32_e32 v69, 32, v69
	v_subrev_nc_u32_e32 v72, 28, v69
	v_sub_nc_u32_e32 v69, 29, v69
	v_lshlrev_b64 v[72:73], v72, v[1:2]
	v_and_b32_e32 v1, 7, v72
; %bb.158:                              ;   in Loop: Header=BB318_9 Depth=1
	s_or_b32 exec_lo, exec_lo, s33
	v_lshlrev_b32_e32 v72, 24, v71
	v_lshlrev_b32_e32 v1, 20, v1
	v_lshl_add_u32 v69, v69, 23, 0x3c000000
	v_and_b32_e32 v72, 0x80000000, v72
	v_or3_b32 v69, v1, v72, v69
.LBB318_159:                            ;   in Loop: Header=BB318_9 Depth=1
	s_or_b32 exec_lo, exec_lo, s31
.LBB318_160:                            ;   in Loop: Header=BB318_9 Depth=1
	s_or_b32 exec_lo, exec_lo, s17
.LBB318_161:                            ;   in Loop: Header=BB318_9 Depth=1
	s_or_b32 exec_lo, exec_lo, s3
	v_cmp_ne_u16_sdwa s2, v71, v2 src0_sel:BYTE_1 src1_sel:DWORD
	s_and_saveexec_b32 s3, s2
	s_cbranch_execz .LBB318_169
; %bb.162:                              ;   in Loop: Header=BB318_9 Depth=1
	v_cmp_ne_u16_sdwa s2, v71, v48 src0_sel:BYTE_1 src1_sel:DWORD
	v_bfrev_b32_e32 v70, 1
	s_and_saveexec_b32 s17, s2
	s_cbranch_execz .LBB318_168
; %bb.163:                              ;   in Loop: Header=BB318_9 Depth=1
	v_and_b32_sdwa v1, v49, v71 dst_sel:DWORD dst_unused:UNUSED_PAD src0_sel:DWORD src1_sel:BYTE_1
	v_mov_b32_e32 v70, 0x7f800001
	s_mov_b32 s31, exec_lo
	v_and_b32_e32 v72, 0x7f, v1
	v_cmpx_ne_u32_e32 0x7f, v72
	s_cbranch_execz .LBB318_167
; %bb.164:                              ;   in Loop: Header=BB318_9 Depth=1
	v_and_b32_e32 v1, 7, v1
	v_lshrrev_b32_e32 v70, 3, v72
	s_mov_b32 s33, exec_lo
	v_cmpx_gt_u32_e32 8, v72
; %bb.165:                              ;   in Loop: Header=BB318_9 Depth=1
	v_ffbh_u32_e32 v70, v1
	v_min_u32_e32 v70, 32, v70
	v_subrev_nc_u32_e32 v72, 28, v70
	v_sub_nc_u32_e32 v70, 29, v70
	v_lshlrev_b64 v[72:73], v72, v[1:2]
	v_and_b32_e32 v1, 7, v72
; %bb.166:                              ;   in Loop: Header=BB318_9 Depth=1
	s_or_b32 exec_lo, exec_lo, s33
	v_lshlrev_b32_e32 v71, 16, v71
	v_lshlrev_b32_e32 v1, 20, v1
	v_lshl_add_u32 v70, v70, 23, 0x3c000000
	v_and_b32_e32 v71, 0x80000000, v71
	v_or3_b32 v70, v1, v71, v70
.LBB318_167:                            ;   in Loop: Header=BB318_9 Depth=1
	s_or_b32 exec_lo, exec_lo, s31
.LBB318_168:                            ;   in Loop: Header=BB318_9 Depth=1
	s_or_b32 exec_lo, exec_lo, s17
.LBB318_169:                            ;   in Loop: Header=BB318_9 Depth=1
	s_or_b32 exec_lo, exec_lo, s3
	global_load_ushort v1, v[7:8], off offset:640
	v_mov_b32_e32 v72, 0
	v_mov_b32_e32 v71, 0
	s_waitcnt vmcnt(0)
	v_and_b32_e32 v73, 0xffff, v1
	v_cmp_ne_u16_sdwa s2, v1, v2 src0_sel:BYTE_0 src1_sel:DWORD
	s_and_saveexec_b32 s3, s2
	s_cbranch_execz .LBB318_177
; %bb.170:                              ;   in Loop: Header=BB318_9 Depth=1
	v_cmp_ne_u16_sdwa s2, v73, v48 src0_sel:BYTE_0 src1_sel:DWORD
	v_bfrev_b32_e32 v71, 1
	s_and_saveexec_b32 s17, s2
	s_cbranch_execz .LBB318_176
; %bb.171:                              ;   in Loop: Header=BB318_9 Depth=1
	v_and_b32_e32 v74, 0x7f, v73
	v_mov_b32_e32 v71, 0x7f800001
	s_mov_b32 s31, exec_lo
	v_cmpx_ne_u32_e32 0x7f, v74
	s_cbranch_execz .LBB318_175
; %bb.172:                              ;   in Loop: Header=BB318_9 Depth=1
	v_and_b32_e32 v1, 7, v73
	v_lshrrev_b32_e32 v71, 3, v74
	s_mov_b32 s33, exec_lo
	v_cmpx_gt_u32_e32 8, v74
; %bb.173:                              ;   in Loop: Header=BB318_9 Depth=1
	v_ffbh_u32_e32 v71, v1
	v_min_u32_e32 v71, 32, v71
	v_subrev_nc_u32_e32 v74, 28, v71
	v_sub_nc_u32_e32 v71, 29, v71
	v_lshlrev_b64 v[74:75], v74, v[1:2]
	v_and_b32_e32 v1, 7, v74
; %bb.174:                              ;   in Loop: Header=BB318_9 Depth=1
	s_or_b32 exec_lo, exec_lo, s33
	v_lshlrev_b32_e32 v74, 24, v73
	v_lshlrev_b32_e32 v1, 20, v1
	v_lshl_add_u32 v71, v71, 23, 0x3c000000
	v_and_b32_e32 v74, 0x80000000, v74
	v_or3_b32 v71, v1, v74, v71
.LBB318_175:                            ;   in Loop: Header=BB318_9 Depth=1
	s_or_b32 exec_lo, exec_lo, s31
.LBB318_176:                            ;   in Loop: Header=BB318_9 Depth=1
	s_or_b32 exec_lo, exec_lo, s17
.LBB318_177:                            ;   in Loop: Header=BB318_9 Depth=1
	s_or_b32 exec_lo, exec_lo, s3
	v_cmp_ne_u16_sdwa s2, v73, v2 src0_sel:BYTE_1 src1_sel:DWORD
	s_and_saveexec_b32 s3, s2
	s_cbranch_execz .LBB318_185
; %bb.178:                              ;   in Loop: Header=BB318_9 Depth=1
	v_cmp_ne_u16_sdwa s2, v73, v48 src0_sel:BYTE_1 src1_sel:DWORD
	v_bfrev_b32_e32 v72, 1
	s_and_saveexec_b32 s17, s2
	s_cbranch_execz .LBB318_184
; %bb.179:                              ;   in Loop: Header=BB318_9 Depth=1
	v_and_b32_sdwa v1, v49, v73 dst_sel:DWORD dst_unused:UNUSED_PAD src0_sel:DWORD src1_sel:BYTE_1
	v_mov_b32_e32 v72, 0x7f800001
	s_mov_b32 s31, exec_lo
	v_and_b32_e32 v74, 0x7f, v1
	v_cmpx_ne_u32_e32 0x7f, v74
	s_cbranch_execz .LBB318_183
; %bb.180:                              ;   in Loop: Header=BB318_9 Depth=1
	v_and_b32_e32 v1, 7, v1
	v_lshrrev_b32_e32 v72, 3, v74
	s_mov_b32 s33, exec_lo
	v_cmpx_gt_u32_e32 8, v74
; %bb.181:                              ;   in Loop: Header=BB318_9 Depth=1
	v_ffbh_u32_e32 v72, v1
	v_min_u32_e32 v72, 32, v72
	v_subrev_nc_u32_e32 v74, 28, v72
	v_sub_nc_u32_e32 v72, 29, v72
	v_lshlrev_b64 v[74:75], v74, v[1:2]
	v_and_b32_e32 v1, 7, v74
; %bb.182:                              ;   in Loop: Header=BB318_9 Depth=1
	s_or_b32 exec_lo, exec_lo, s33
	v_lshlrev_b32_e32 v73, 16, v73
	v_lshlrev_b32_e32 v1, 20, v1
	v_lshl_add_u32 v72, v72, 23, 0x3c000000
	v_and_b32_e32 v73, 0x80000000, v73
	v_or3_b32 v72, v1, v73, v72
.LBB318_183:                            ;   in Loop: Header=BB318_9 Depth=1
	s_or_b32 exec_lo, exec_lo, s31
.LBB318_184:                            ;   in Loop: Header=BB318_9 Depth=1
	s_or_b32 exec_lo, exec_lo, s17
.LBB318_185:                            ;   in Loop: Header=BB318_9 Depth=1
	s_or_b32 exec_lo, exec_lo, s3
	global_load_ushort v1, v[7:8], off offset:648
	v_mov_b32_e32 v74, 0
	v_mov_b32_e32 v73, 0
	s_waitcnt vmcnt(0)
	v_and_b32_e32 v75, 0xffff, v1
	v_cmp_ne_u16_sdwa s2, v1, v2 src0_sel:BYTE_0 src1_sel:DWORD
	s_and_saveexec_b32 s3, s2
	s_cbranch_execz .LBB318_193
; %bb.186:                              ;   in Loop: Header=BB318_9 Depth=1
	v_cmp_ne_u16_sdwa s2, v75, v48 src0_sel:BYTE_0 src1_sel:DWORD
	v_bfrev_b32_e32 v73, 1
	s_and_saveexec_b32 s17, s2
	s_cbranch_execz .LBB318_192
; %bb.187:                              ;   in Loop: Header=BB318_9 Depth=1
	v_and_b32_e32 v76, 0x7f, v75
	v_mov_b32_e32 v73, 0x7f800001
	s_mov_b32 s31, exec_lo
	v_cmpx_ne_u32_e32 0x7f, v76
	s_cbranch_execz .LBB318_191
; %bb.188:                              ;   in Loop: Header=BB318_9 Depth=1
	v_and_b32_e32 v1, 7, v75
	v_lshrrev_b32_e32 v73, 3, v76
	s_mov_b32 s33, exec_lo
	v_cmpx_gt_u32_e32 8, v76
; %bb.189:                              ;   in Loop: Header=BB318_9 Depth=1
	v_ffbh_u32_e32 v73, v1
	v_min_u32_e32 v73, 32, v73
	v_subrev_nc_u32_e32 v76, 28, v73
	v_sub_nc_u32_e32 v73, 29, v73
	v_lshlrev_b64 v[76:77], v76, v[1:2]
	v_and_b32_e32 v1, 7, v76
; %bb.190:                              ;   in Loop: Header=BB318_9 Depth=1
	s_or_b32 exec_lo, exec_lo, s33
	v_lshlrev_b32_e32 v76, 24, v75
	v_lshlrev_b32_e32 v1, 20, v1
	v_lshl_add_u32 v73, v73, 23, 0x3c000000
	v_and_b32_e32 v76, 0x80000000, v76
	v_or3_b32 v73, v1, v76, v73
.LBB318_191:                            ;   in Loop: Header=BB318_9 Depth=1
	s_or_b32 exec_lo, exec_lo, s31
.LBB318_192:                            ;   in Loop: Header=BB318_9 Depth=1
	s_or_b32 exec_lo, exec_lo, s17
.LBB318_193:                            ;   in Loop: Header=BB318_9 Depth=1
	s_or_b32 exec_lo, exec_lo, s3
	v_cmp_ne_u16_sdwa s2, v75, v2 src0_sel:BYTE_1 src1_sel:DWORD
	s_and_saveexec_b32 s3, s2
	s_cbranch_execz .LBB318_201
; %bb.194:                              ;   in Loop: Header=BB318_9 Depth=1
	v_cmp_ne_u16_sdwa s2, v75, v48 src0_sel:BYTE_1 src1_sel:DWORD
	v_bfrev_b32_e32 v74, 1
	s_and_saveexec_b32 s17, s2
	s_cbranch_execz .LBB318_200
; %bb.195:                              ;   in Loop: Header=BB318_9 Depth=1
	v_and_b32_sdwa v1, v49, v75 dst_sel:DWORD dst_unused:UNUSED_PAD src0_sel:DWORD src1_sel:BYTE_1
	v_mov_b32_e32 v74, 0x7f800001
	s_mov_b32 s31, exec_lo
	v_and_b32_e32 v76, 0x7f, v1
	v_cmpx_ne_u32_e32 0x7f, v76
	s_cbranch_execz .LBB318_199
; %bb.196:                              ;   in Loop: Header=BB318_9 Depth=1
	v_and_b32_e32 v1, 7, v1
	v_lshrrev_b32_e32 v74, 3, v76
	s_mov_b32 s33, exec_lo
	v_cmpx_gt_u32_e32 8, v76
; %bb.197:                              ;   in Loop: Header=BB318_9 Depth=1
	v_ffbh_u32_e32 v74, v1
	v_min_u32_e32 v74, 32, v74
	v_subrev_nc_u32_e32 v76, 28, v74
	v_sub_nc_u32_e32 v74, 29, v74
	v_lshlrev_b64 v[76:77], v76, v[1:2]
	v_and_b32_e32 v1, 7, v76
; %bb.198:                              ;   in Loop: Header=BB318_9 Depth=1
	s_or_b32 exec_lo, exec_lo, s33
	v_lshlrev_b32_e32 v75, 16, v75
	v_lshlrev_b32_e32 v1, 20, v1
	v_lshl_add_u32 v74, v74, 23, 0x3c000000
	v_and_b32_e32 v75, 0x80000000, v75
	v_or3_b32 v74, v1, v75, v74
.LBB318_199:                            ;   in Loop: Header=BB318_9 Depth=1
	s_or_b32 exec_lo, exec_lo, s31
.LBB318_200:                            ;   in Loop: Header=BB318_9 Depth=1
	s_or_b32 exec_lo, exec_lo, s17
.LBB318_201:                            ;   in Loop: Header=BB318_9 Depth=1
	s_or_b32 exec_lo, exec_lo, s3
	global_load_ushort v1, v[7:8], off offset:768
	v_mov_b32_e32 v76, 0
	v_mov_b32_e32 v75, 0
	s_waitcnt vmcnt(0)
	v_and_b32_e32 v77, 0xffff, v1
	v_cmp_ne_u16_sdwa s2, v1, v2 src0_sel:BYTE_0 src1_sel:DWORD
	s_and_saveexec_b32 s3, s2
	s_cbranch_execz .LBB318_209
; %bb.202:                              ;   in Loop: Header=BB318_9 Depth=1
	v_cmp_ne_u16_sdwa s2, v77, v48 src0_sel:BYTE_0 src1_sel:DWORD
	v_bfrev_b32_e32 v75, 1
	s_and_saveexec_b32 s17, s2
	s_cbranch_execz .LBB318_208
; %bb.203:                              ;   in Loop: Header=BB318_9 Depth=1
	v_and_b32_e32 v78, 0x7f, v77
	v_mov_b32_e32 v75, 0x7f800001
	s_mov_b32 s31, exec_lo
	v_cmpx_ne_u32_e32 0x7f, v78
	s_cbranch_execz .LBB318_207
; %bb.204:                              ;   in Loop: Header=BB318_9 Depth=1
	v_and_b32_e32 v1, 7, v77
	v_lshrrev_b32_e32 v75, 3, v78
	s_mov_b32 s33, exec_lo
	v_cmpx_gt_u32_e32 8, v78
; %bb.205:                              ;   in Loop: Header=BB318_9 Depth=1
	v_ffbh_u32_e32 v75, v1
	v_min_u32_e32 v75, 32, v75
	v_subrev_nc_u32_e32 v78, 28, v75
	v_sub_nc_u32_e32 v75, 29, v75
	v_lshlrev_b64 v[78:79], v78, v[1:2]
	v_and_b32_e32 v1, 7, v78
; %bb.206:                              ;   in Loop: Header=BB318_9 Depth=1
	s_or_b32 exec_lo, exec_lo, s33
	v_lshlrev_b32_e32 v78, 24, v77
	v_lshlrev_b32_e32 v1, 20, v1
	v_lshl_add_u32 v75, v75, 23, 0x3c000000
	v_and_b32_e32 v78, 0x80000000, v78
	v_or3_b32 v75, v1, v78, v75
.LBB318_207:                            ;   in Loop: Header=BB318_9 Depth=1
	s_or_b32 exec_lo, exec_lo, s31
.LBB318_208:                            ;   in Loop: Header=BB318_9 Depth=1
	s_or_b32 exec_lo, exec_lo, s17
.LBB318_209:                            ;   in Loop: Header=BB318_9 Depth=1
	s_or_b32 exec_lo, exec_lo, s3
	v_cmp_ne_u16_sdwa s2, v77, v2 src0_sel:BYTE_1 src1_sel:DWORD
	s_and_saveexec_b32 s3, s2
	s_cbranch_execz .LBB318_217
; %bb.210:                              ;   in Loop: Header=BB318_9 Depth=1
	v_cmp_ne_u16_sdwa s2, v77, v48 src0_sel:BYTE_1 src1_sel:DWORD
	v_bfrev_b32_e32 v76, 1
	s_and_saveexec_b32 s17, s2
	s_cbranch_execz .LBB318_216
; %bb.211:                              ;   in Loop: Header=BB318_9 Depth=1
	v_and_b32_sdwa v1, v49, v77 dst_sel:DWORD dst_unused:UNUSED_PAD src0_sel:DWORD src1_sel:BYTE_1
	v_mov_b32_e32 v76, 0x7f800001
	s_mov_b32 s31, exec_lo
	v_and_b32_e32 v78, 0x7f, v1
	v_cmpx_ne_u32_e32 0x7f, v78
	s_cbranch_execz .LBB318_215
; %bb.212:                              ;   in Loop: Header=BB318_9 Depth=1
	v_and_b32_e32 v1, 7, v1
	v_lshrrev_b32_e32 v76, 3, v78
	s_mov_b32 s33, exec_lo
	v_cmpx_gt_u32_e32 8, v78
; %bb.213:                              ;   in Loop: Header=BB318_9 Depth=1
	v_ffbh_u32_e32 v76, v1
	v_min_u32_e32 v76, 32, v76
	v_subrev_nc_u32_e32 v78, 28, v76
	v_sub_nc_u32_e32 v76, 29, v76
	v_lshlrev_b64 v[78:79], v78, v[1:2]
	v_and_b32_e32 v1, 7, v78
; %bb.214:                              ;   in Loop: Header=BB318_9 Depth=1
	s_or_b32 exec_lo, exec_lo, s33
	v_lshlrev_b32_e32 v77, 16, v77
	v_lshlrev_b32_e32 v1, 20, v1
	v_lshl_add_u32 v76, v76, 23, 0x3c000000
	v_and_b32_e32 v77, 0x80000000, v77
	v_or3_b32 v76, v1, v77, v76
.LBB318_215:                            ;   in Loop: Header=BB318_9 Depth=1
	s_or_b32 exec_lo, exec_lo, s31
.LBB318_216:                            ;   in Loop: Header=BB318_9 Depth=1
	s_or_b32 exec_lo, exec_lo, s17
.LBB318_217:                            ;   in Loop: Header=BB318_9 Depth=1
	s_or_b32 exec_lo, exec_lo, s3
	global_load_ushort v1, v[7:8], off offset:776
	v_mov_b32_e32 v78, 0
	v_mov_b32_e32 v77, 0
	s_waitcnt vmcnt(0)
	v_and_b32_e32 v79, 0xffff, v1
	v_cmp_ne_u16_sdwa s2, v1, v2 src0_sel:BYTE_0 src1_sel:DWORD
	s_and_saveexec_b32 s3, s2
	s_cbranch_execz .LBB318_225
; %bb.218:                              ;   in Loop: Header=BB318_9 Depth=1
	v_cmp_ne_u16_sdwa s2, v79, v48 src0_sel:BYTE_0 src1_sel:DWORD
	v_bfrev_b32_e32 v77, 1
	s_and_saveexec_b32 s17, s2
	s_cbranch_execz .LBB318_224
; %bb.219:                              ;   in Loop: Header=BB318_9 Depth=1
	v_and_b32_e32 v80, 0x7f, v79
	v_mov_b32_e32 v77, 0x7f800001
	s_mov_b32 s31, exec_lo
	v_cmpx_ne_u32_e32 0x7f, v80
	s_cbranch_execz .LBB318_223
; %bb.220:                              ;   in Loop: Header=BB318_9 Depth=1
	v_and_b32_e32 v1, 7, v79
	v_lshrrev_b32_e32 v77, 3, v80
	s_mov_b32 s33, exec_lo
	v_cmpx_gt_u32_e32 8, v80
; %bb.221:                              ;   in Loop: Header=BB318_9 Depth=1
	v_ffbh_u32_e32 v77, v1
	v_min_u32_e32 v77, 32, v77
	v_subrev_nc_u32_e32 v80, 28, v77
	v_sub_nc_u32_e32 v77, 29, v77
	v_lshlrev_b64 v[80:81], v80, v[1:2]
	v_and_b32_e32 v1, 7, v80
; %bb.222:                              ;   in Loop: Header=BB318_9 Depth=1
	s_or_b32 exec_lo, exec_lo, s33
	v_lshlrev_b32_e32 v80, 24, v79
	v_lshlrev_b32_e32 v1, 20, v1
	v_lshl_add_u32 v77, v77, 23, 0x3c000000
	v_and_b32_e32 v80, 0x80000000, v80
	v_or3_b32 v77, v1, v80, v77
.LBB318_223:                            ;   in Loop: Header=BB318_9 Depth=1
	s_or_b32 exec_lo, exec_lo, s31
.LBB318_224:                            ;   in Loop: Header=BB318_9 Depth=1
	s_or_b32 exec_lo, exec_lo, s17
.LBB318_225:                            ;   in Loop: Header=BB318_9 Depth=1
	s_or_b32 exec_lo, exec_lo, s3
	v_cmp_ne_u16_sdwa s2, v79, v2 src0_sel:BYTE_1 src1_sel:DWORD
	s_and_saveexec_b32 s3, s2
	s_cbranch_execz .LBB318_233
; %bb.226:                              ;   in Loop: Header=BB318_9 Depth=1
	v_cmp_ne_u16_sdwa s2, v79, v48 src0_sel:BYTE_1 src1_sel:DWORD
	v_bfrev_b32_e32 v78, 1
	s_and_saveexec_b32 s17, s2
	s_cbranch_execz .LBB318_232
; %bb.227:                              ;   in Loop: Header=BB318_9 Depth=1
	v_and_b32_sdwa v1, v49, v79 dst_sel:DWORD dst_unused:UNUSED_PAD src0_sel:DWORD src1_sel:BYTE_1
	v_mov_b32_e32 v78, 0x7f800001
	s_mov_b32 s31, exec_lo
	v_and_b32_e32 v80, 0x7f, v1
	v_cmpx_ne_u32_e32 0x7f, v80
	s_cbranch_execz .LBB318_231
; %bb.228:                              ;   in Loop: Header=BB318_9 Depth=1
	v_and_b32_e32 v1, 7, v1
	v_lshrrev_b32_e32 v78, 3, v80
	s_mov_b32 s33, exec_lo
	v_cmpx_gt_u32_e32 8, v80
; %bb.229:                              ;   in Loop: Header=BB318_9 Depth=1
	v_ffbh_u32_e32 v78, v1
	v_min_u32_e32 v78, 32, v78
	v_subrev_nc_u32_e32 v80, 28, v78
	v_sub_nc_u32_e32 v78, 29, v78
	v_lshlrev_b64 v[80:81], v80, v[1:2]
	v_and_b32_e32 v1, 7, v80
; %bb.230:                              ;   in Loop: Header=BB318_9 Depth=1
	s_or_b32 exec_lo, exec_lo, s33
	v_lshlrev_b32_e32 v79, 16, v79
	v_lshlrev_b32_e32 v1, 20, v1
	v_lshl_add_u32 v78, v78, 23, 0x3c000000
	v_and_b32_e32 v79, 0x80000000, v79
	v_or3_b32 v78, v1, v79, v78
.LBB318_231:                            ;   in Loop: Header=BB318_9 Depth=1
	s_or_b32 exec_lo, exec_lo, s31
.LBB318_232:                            ;   in Loop: Header=BB318_9 Depth=1
	s_or_b32 exec_lo, exec_lo, s17
.LBB318_233:                            ;   in Loop: Header=BB318_9 Depth=1
	s_or_b32 exec_lo, exec_lo, s3
	global_load_ushort v1, v[7:8], off offset:896
	v_mov_b32_e32 v7, 0
	v_mov_b32_e32 v79, 0
	s_waitcnt vmcnt(0)
	v_and_b32_e32 v8, 0xffff, v1
	v_cmp_ne_u16_sdwa s2, v1, v2 src0_sel:BYTE_0 src1_sel:DWORD
	s_and_saveexec_b32 s3, s2
	s_cbranch_execz .LBB318_241
; %bb.234:                              ;   in Loop: Header=BB318_9 Depth=1
	v_cmp_ne_u16_sdwa s2, v8, v48 src0_sel:BYTE_0 src1_sel:DWORD
	v_bfrev_b32_e32 v79, 1
	s_and_saveexec_b32 s17, s2
	s_cbranch_execz .LBB318_240
; %bb.235:                              ;   in Loop: Header=BB318_9 Depth=1
	v_and_b32_e32 v80, 0x7f, v8
	v_mov_b32_e32 v79, 0x7f800001
	s_mov_b32 s31, exec_lo
	v_cmpx_ne_u32_e32 0x7f, v80
	s_cbranch_execz .LBB318_239
; %bb.236:                              ;   in Loop: Header=BB318_9 Depth=1
	v_and_b32_e32 v1, 7, v8
	v_lshrrev_b32_e32 v79, 3, v80
	s_mov_b32 s33, exec_lo
	v_cmpx_gt_u32_e32 8, v80
; %bb.237:                              ;   in Loop: Header=BB318_9 Depth=1
	v_ffbh_u32_e32 v79, v1
	v_min_u32_e32 v79, 32, v79
	v_subrev_nc_u32_e32 v80, 28, v79
	v_sub_nc_u32_e32 v79, 29, v79
	v_lshlrev_b64 v[80:81], v80, v[1:2]
	v_and_b32_e32 v1, 7, v80
; %bb.238:                              ;   in Loop: Header=BB318_9 Depth=1
	s_or_b32 exec_lo, exec_lo, s33
	v_lshlrev_b32_e32 v80, 24, v8
	v_lshlrev_b32_e32 v1, 20, v1
	v_lshl_add_u32 v79, v79, 23, 0x3c000000
	v_and_b32_e32 v80, 0x80000000, v80
	v_or3_b32 v79, v1, v80, v79
.LBB318_239:                            ;   in Loop: Header=BB318_9 Depth=1
	s_or_b32 exec_lo, exec_lo, s31
.LBB318_240:                            ;   in Loop: Header=BB318_9 Depth=1
	s_or_b32 exec_lo, exec_lo, s17
.LBB318_241:                            ;   in Loop: Header=BB318_9 Depth=1
	s_or_b32 exec_lo, exec_lo, s3
	v_cmp_ne_u16_sdwa s2, v8, v2 src0_sel:BYTE_1 src1_sel:DWORD
	s_and_saveexec_b32 s3, s2
	s_cbranch_execz .LBB318_249
; %bb.242:                              ;   in Loop: Header=BB318_9 Depth=1
	v_cmp_ne_u16_sdwa s2, v8, v48 src0_sel:BYTE_1 src1_sel:DWORD
	v_bfrev_b32_e32 v7, 1
	s_and_saveexec_b32 s17, s2
	s_cbranch_execz .LBB318_248
; %bb.243:                              ;   in Loop: Header=BB318_9 Depth=1
	v_and_b32_sdwa v1, v49, v8 dst_sel:DWORD dst_unused:UNUSED_PAD src0_sel:DWORD src1_sel:BYTE_1
	v_mov_b32_e32 v7, 0x7f800001
	s_mov_b32 s31, exec_lo
	v_and_b32_e32 v80, 0x7f, v1
	v_cmpx_ne_u32_e32 0x7f, v80
	s_cbranch_execz .LBB318_247
; %bb.244:                              ;   in Loop: Header=BB318_9 Depth=1
	v_and_b32_e32 v1, 7, v1
	v_lshrrev_b32_e32 v7, 3, v80
	s_mov_b32 s33, exec_lo
	v_cmpx_gt_u32_e32 8, v80
; %bb.245:                              ;   in Loop: Header=BB318_9 Depth=1
	v_ffbh_u32_e32 v7, v1
	v_min_u32_e32 v7, 32, v7
	v_subrev_nc_u32_e32 v80, 28, v7
	v_sub_nc_u32_e32 v7, 29, v7
	v_lshlrev_b64 v[80:81], v80, v[1:2]
	v_and_b32_e32 v1, 7, v80
; %bb.246:                              ;   in Loop: Header=BB318_9 Depth=1
	s_or_b32 exec_lo, exec_lo, s33
	v_lshlrev_b32_e32 v8, 16, v8
	v_lshlrev_b32_e32 v1, 20, v1
	v_lshl_add_u32 v7, v7, 23, 0x3c000000
	v_and_b32_e32 v8, 0x80000000, v8
	v_or3_b32 v7, v1, v8, v7
.LBB318_247:                            ;   in Loop: Header=BB318_9 Depth=1
	s_or_b32 exec_lo, exec_lo, s31
.LBB318_248:                            ;   in Loop: Header=BB318_9 Depth=1
	s_or_b32 exec_lo, exec_lo, s17
.LBB318_249:                            ;   in Loop: Header=BB318_9 Depth=1
	s_or_b32 exec_lo, exec_lo, s3
	v_mul_f32_e32 v78, s4, v78
	v_mul_f32_e32 v8, s4, v77
	;; [unrolled: 1-line block ×5, first 2 shown]
	v_bfe_u32 v76, v78, 16, 1
	v_or_b32_e32 v81, 0x400000, v78
	v_bfe_u32 v84, v77, 16, 1
	v_cmp_u_f32_e64 s2, v78, v78
	v_bfe_u32 v85, v83, 16, 1
	v_add3_u32 v82, v76, v78, 0x7fff
	v_mul_f32_e32 v70, s4, v70
	v_bfe_u32 v89, v87, 16, 1
	v_or_b32_e32 v90, 0x400000, v87
	v_mul_f32_e32 v92, s4, v68
	v_cndmask_b32_e64 v78, v82, v81, s2
	v_mul_f32_e32 v81, s4, v74
	v_add3_u32 v74, v84, v77, 0x7fff
	v_add3_u32 v84, v85, v83, 0x7fff
	v_or_b32_e32 v85, 0x400000, v83
	v_cmp_u_f32_e64 s2, v83, v83
	v_bfe_u32 v91, v70, 16, 1
	v_add3_u32 v89, v89, v87, 0x7fff
	v_bfe_u32 v93, v92, 16, 1
	v_mul_f32_e32 v98, s4, v64
	v_cndmask_b32_e64 v72, v84, v85, s2
	v_cmp_u_f32_e64 s2, v87, v87
	v_add3_u32 v87, v91, v70, 0x7fff
	v_mul_f32_e32 v91, s4, v66
	v_add3_u32 v93, v93, v92, 0x7fff
	v_or_b32_e32 v95, 0x400000, v92
	v_cndmask_b32_e64 v68, v89, v90, s2
	v_cmp_u_f32_e64 s2, v92, v92
	v_bfe_u32 v97, v91, 16, 1
	v_mul_f32_e32 v60, s4, v60
	v_mul_f32_e32 v94, s4, v65
	;; [unrolled: 1-line block ×3, first 2 shown]
	v_cndmask_b32_e64 v65, v93, v95, s2
	v_add3_u32 v92, v97, v91, 0x7fff
	v_bfe_u32 v97, v98, 16, 1
	v_or_b32_e32 v99, 0x400000, v98
	v_bfe_u32 v100, v60, 16, 1
	v_cmp_u_f32_e64 s2, v98, v98
	v_bfe_u32 v102, v56, 16, 1
	v_add3_u32 v97, v97, v98, 0x7fff
	v_mul_f32_e32 v54, s4, v54
	v_add3_u32 v98, v100, v60, 0x7fff
	v_mul_f32_e32 v53, s4, v53
	v_add3_u32 v100, v102, v56, 0x7fff
	v_cndmask_b32_e64 v97, v97, v99, s2
	v_or_b32_e32 v99, 0x400000, v60
	v_cmp_u_f32_e64 s2, v60, v60
	v_or_b32_e32 v102, 0x400000, v56
	v_bfe_u32 v103, v54, 16, 1
	v_mul_f32_e32 v51, s4, v51
	v_mul_f32_e32 v52, s4, v52
	v_cndmask_b32_e64 v60, v98, v99, s2
	v_cmp_u_f32_e64 s2, v56, v56
	v_bfe_u32 v98, v53, 16, 1
	v_add3_u32 v99, v103, v54, 0x7fff
	v_bfe_u32 v103, v52, 16, 1
	v_mul_f32_e32 v55, s4, v55
	v_cndmask_b32_e64 v56, v100, v102, s2
	v_or_b32_e32 v100, 0x400000, v54
	v_cmp_u_f32_e64 s2, v54, v54
	v_add3_u32 v98, v98, v53, 0x7fff
	v_or_b32_e32 v102, 0x400000, v53
	v_mul_f32_e32 v58, s4, v58
	v_or_b32_e32 v104, 0x400000, v55
	v_cndmask_b32_e64 v54, v99, v100, s2
	v_bfe_u32 v99, v51, 16, 1
	v_cmp_u_f32_e64 s2, v53, v53
	v_add3_u32 v100, v103, v52, 0x7fff
	v_or_b32_e32 v103, 0x400000, v52
	v_mul_f32_e32 v57, s4, v57
	v_add3_u32 v99, v99, v51, 0x7fff
	v_cndmask_b32_e64 v53, v98, v102, s2
	v_or_b32_e32 v102, 0x400000, v51
	v_cmp_u_f32_e64 s2, v51, v51
	v_bfe_u32 v98, v55, 16, 1
	v_and_b32_e32 v54, 0xffff0000, v54
	v_and_b32_e32 v53, 0xffff0000, v53
	v_mul_f32_e32 v59, s4, v59
	v_cndmask_b32_e64 v51, v99, v102, s2
	v_cmp_u_f32_e64 s2, v52, v52
	v_add3_u32 v98, v98, v55, 0x7fff
	v_bfe_u32 v99, v58, 16, 1
	v_or_b32_e32 v102, 0x400000, v58
	v_and_b32_e32 v51, 0xffff0000, v51
	v_cndmask_b32_e64 v52, v100, v103, s2
	v_cmp_u_f32_e64 s2, v55, v55
	v_add3_u32 v99, v99, v58, 0x7fff
	v_mul_f32_e32 v53, v14, v53
	v_mul_f32_e32 v54, v15, v54
	v_and_b32_e32 v52, 0xffff0000, v52
	v_cndmask_b32_e64 v55, v98, v104, s2
	v_cmp_u_f32_e64 s2, v58, v58
	v_mul_f32_e32 v67, s4, v67
	v_mul_f32_e32 v61, s4, v61
	v_fmac_f32_e32 v53, v12, v51
	v_or_b32_e32 v51, 0x400000, v57
	v_cndmask_b32_e64 v58, v99, v102, s2
	v_bfe_u32 v99, v57, 16, 1
	v_fmac_f32_e32 v54, v13, v52
	v_bfe_u32 v52, v59, 16, 1
	v_cmp_u_f32_e64 s2, v57, v57
	v_bfe_u32 v96, v67, 16, 1
	v_add3_u32 v99, v99, v57, 0x7fff
	v_mul_f32_e32 v62, s4, v62
	v_bfe_u32 v98, v61, 16, 1
	v_add3_u32 v52, v52, v59, 0x7fff
	v_add3_u32 v64, v96, v67, 0x7fff
	v_cndmask_b32_e64 v51, v99, v51, s2
	v_or_b32_e32 v99, 0x400000, v59
	v_cmp_u_f32_e64 s2, v59, v59
	v_mul_f32_e32 v96, s4, v63
	v_bfe_u32 v100, v62, 16, 1
	v_add3_u32 v98, v98, v61, 0x7fff
	v_and_b32_e32 v55, 0xffff0000, v55
	v_and_b32_e32 v56, 0xffff0000, v56
	v_or_b32_e32 v57, 0x400000, v61
	v_cndmask_b32_e64 v52, v52, v99, s2
	v_cmp_u_f32_e64 s2, v61, v61
	v_bfe_u32 v101, v96, 16, 1
	v_add3_u32 v100, v100, v62, 0x7fff
	v_or_b32_e32 v102, 0x400000, v62
	v_fmac_f32_e32 v53, v16, v55
	v_fmac_f32_e32 v54, v17, v56
	v_and_b32_e32 v55, 0xffff0000, v58
	v_cndmask_b32_e64 v56, v98, v57, s2
	v_cmp_u_f32_e64 s2, v62, v62
	v_mul_f32_e32 v82, s4, v73
	v_bfe_u32 v95, v94, 16, 1
	v_add3_u32 v101, v101, v96, 0x7fff
	v_and_b32_e32 v51, 0xffff0000, v51
	v_fmac_f32_e32 v53, v18, v55
	v_and_b32_e32 v52, 0xffff0000, v52
	v_cndmask_b32_e64 v55, v100, v102, s2
	v_or_b32_e32 v57, 0x400000, v96
	v_cmp_u_f32_e64 s2, v96, v96
	v_bfe_u32 v88, v82, 16, 1
	v_add3_u32 v95, v95, v94, 0x7fff
	v_or_b32_e32 v63, 0x400000, v94
	v_fmac_f32_e32 v54, v19, v51
	v_and_b32_e32 v51, 0xffff0000, v60
	v_fmac_f32_e32 v53, v20, v52
	v_and_b32_e32 v52, 0xffff0000, v55
	v_cndmask_b32_e64 v55, v101, v57, s2
	v_cmp_u_f32_e64 s2, v94, v94
	v_add3_u32 v85, v88, v82, 0x7fff
	v_mul_f32_e32 v88, s4, v69
	v_or_b32_e32 v93, 0x400000, v91
	v_fmac_f32_e32 v54, v22, v51
	v_and_b32_e32 v51, 0xffff0000, v56
	v_cndmask_b32_e64 v56, v95, v63, s2
	v_cmp_u_f32_e64 s2, v91, v91
	v_bfe_u32 v86, v81, 16, 1
	v_bfe_u32 v90, v88, 16, 1
	v_fmac_f32_e32 v53, v23, v51
	v_fmac_f32_e32 v54, v24, v52
	v_and_b32_e32 v51, 0xffff0000, v55
	v_and_b32_e32 v52, 0xffff0000, v97
	v_cndmask_b32_e64 v55, v92, v93, s2
	v_or_b32_e32 v57, 0x400000, v67
	v_cmp_u_f32_e64 s2, v67, v67
	v_add3_u32 v83, v86, v81, 0x7fff
	v_mul_f32_e32 v86, s4, v71
	v_add3_u32 v90, v90, v88, 0x7fff
	v_or_b32_e32 v66, 0x400000, v88
	v_fmac_f32_e32 v54, v26, v52
	v_cndmask_b32_e64 v52, v64, v57, s2
	v_cmp_u_f32_e64 s2, v88, v88
	v_bfe_u32 v69, v86, 16, 1
	v_or_b32_e32 v89, 0x400000, v70
	v_fmac_f32_e32 v53, v25, v51
	v_and_b32_e32 v51, 0xffff0000, v56
	v_and_b32_e32 v55, 0xffff0000, v55
	v_cndmask_b32_e64 v56, v90, v66, s2
	v_cmp_u_f32_e64 s2, v70, v70
	v_add3_u32 v69, v69, v86, 0x7fff
	v_fmac_f32_e32 v53, v27, v51
	v_and_b32_e32 v51, 0xffff0000, v52
	v_fmac_f32_e32 v54, v28, v55
	v_and_b32_e32 v52, 0xffff0000, v65
	v_cndmask_b32_e64 v55, v87, v89, s2
	v_or_b32_e32 v57, 0x400000, v86
	v_cmp_u_f32_e64 s2, v86, v86
	v_or_b32_e32 v71, 0x400000, v82
	v_fmac_f32_e32 v54, v30, v52
	v_and_b32_e32 v52, 0xffff0000, v55
	v_mul_f32_e32 v1, s4, v79
	v_cndmask_b32_e64 v55, v69, v57, s2
	v_cmp_u_f32_e64 s2, v82, v82
	v_or_b32_e32 v84, 0x400000, v81
	v_fmac_f32_e32 v53, v29, v51
	v_and_b32_e32 v51, 0xffff0000, v56
	v_bfe_u32 v79, v1, 16, 1
	v_cndmask_b32_e64 v56, v85, v71, s2
	v_cmp_u_f32_e64 s2, v81, v81
	v_bfe_u32 v80, v8, 16, 1
	v_or_b32_e32 v73, 0x400000, v77
	v_fmac_f32_e32 v53, v31, v51
	v_fmac_f32_e32 v54, v32, v52
	v_and_b32_e32 v51, 0xffff0000, v55
	v_and_b32_e32 v52, 0xffff0000, v68
	v_cndmask_b32_e64 v55, v83, v84, s2
	v_cmp_u_f32_e64 s2, v77, v77
	v_add3_u32 v76, v79, v1, 0x7fff
	v_add3_u32 v79, v80, v8, 0x7fff
	v_or_b32_e32 v80, 0x400000, v8
	v_mul_f32_e32 v7, s4, v7
	v_fmac_f32_e32 v54, v34, v52
	v_and_b32_e32 v52, 0xffff0000, v55
	v_cndmask_b32_e64 v55, v74, v73, s2
	v_cmp_u_f32_e64 s2, v8, v8
	v_or_b32_e32 v75, 0x400000, v1
	v_fmac_f32_e32 v53, v33, v51
	v_and_b32_e32 v51, 0xffff0000, v56
	v_bfe_u32 v56, v7, 16, 1
	v_cndmask_b32_e64 v8, v79, v80, s2
	v_cmp_u_f32_e64 s2, v1, v1
	v_fmac_f32_e32 v54, v36, v52
	v_fmac_f32_e32 v53, v35, v51
	v_and_b32_e32 v51, 0xffff0000, v72
	v_and_b32_e32 v52, 0xffff0000, v55
	v_add3_u32 v55, v56, v7, 0x7fff
	v_or_b32_e32 v56, 0x400000, v7
	v_cndmask_b32_e64 v1, v76, v75, s2
	v_cmp_u_f32_e64 s2, v7, v7
	v_fmac_f32_e32 v53, v37, v51
	v_fmac_f32_e32 v54, v38, v52
	v_and_b32_e32 v8, 0xffff0000, v8
	v_and_b32_e32 v51, 0xffff0000, v78
	v_cndmask_b32_e64 v7, v55, v56, s2
	v_and_b32_e32 v1, 0xffff0000, v1
	v_fmac_f32_e32 v53, v40, v8
	v_fmac_f32_e32 v54, v41, v51
	v_and_b32_e32 v7, 0xffff0000, v7
	v_fmac_f32_e32 v53, v42, v1
	v_fmac_f32_e32 v54, v43, v7
	v_add_f32_e32 v1, v53, v54
	ds_bpermute_b32 v7, v44, v1
	s_waitcnt lgkmcnt(0)
	v_add_f32_e32 v1, v1, v7
	ds_bpermute_b32 v7, v45, v1
	s_and_saveexec_b32 s3, vcc_lo
	s_cbranch_execz .LBB318_8
; %bb.250:                              ;   in Loop: Header=BB318_9 Depth=1
	v_add_nc_u32_e32 v8, s5, v46
	s_waitcnt lgkmcnt(0)
	v_add_f32_e32 v1, v1, v7
	v_cmp_gt_i32_e64 s2, s11, v46
	v_cvt_f32_i32_e32 v8, v8
	v_mul_f32_e32 v8, s28, v8
	v_cndmask_b32_e64 v7, 0, v8, s1
	v_max_f32_e32 v8, v39, v39
	v_fmac_f32_e32 v7, s29, v1
	v_max_f32_e32 v1, v8, v7
	v_cndmask_b32_e64 v7, 0, v7, s2
	v_cndmask_b32_e64 v39, v39, v1, s2
	ds_write_b32 v47, v7
	s_branch .LBB318_8
.LBB318_251:
	s_or_b32 exec_lo, exec_lo, s14
.LBB318_252:
	s_or_b32 exec_lo, exec_lo, s30
	v_xor_b32_e32 v1, 16, v10
	v_xor_b32_e32 v4, 8, v10
	v_max_f32_e32 v5, v39, v39
	v_and_b32_e32 v22, 31, v0
	v_cmp_lt_i32_e32 vcc_lo, v1, v11
	v_cndmask_b32_e32 v1, v10, v1, vcc_lo
	v_cmp_lt_i32_e32 vcc_lo, v4, v11
	v_lshlrev_b32_e32 v1, 2, v1
	v_cndmask_b32_e32 v4, v10, v4, vcc_lo
	ds_bpermute_b32 v3, v1, v39
	s_waitcnt lgkmcnt(0)
	v_max_f32_e32 v6, v3, v3
	v_lshlrev_b32_e32 v3, 2, v4
	v_max_f32_e32 v4, v5, v6
	v_xor_b32_e32 v6, 4, v10
	ds_bpermute_b32 v5, v3, v4
	v_cmp_lt_i32_e32 vcc_lo, v6, v11
	v_cndmask_b32_e32 v6, v10, v6, vcc_lo
	v_cmp_eq_u32_e32 vcc_lo, 0, v22
	v_lshlrev_b32_e32 v6, 2, v6
	s_waitcnt lgkmcnt(0)
	v_max_f32_e32 v5, v5, v5
	v_max_f32_e32 v5, v4, v5
	v_lshlrev_b32_e32 v4, 2, v21
	ds_bpermute_b32 v7, v6, v5
	s_and_saveexec_b32 s1, vcc_lo
	s_cbranch_execz .LBB318_254
; %bb.253:
	s_waitcnt lgkmcnt(0)
	v_max_f32_e32 v7, v7, v7
	v_max_f32_e32 v5, v5, v5
	v_max_f32_e32 v5, v5, v7
	ds_write_b32 v4, v5 offset:240
.LBB318_254:
	s_or_b32 exec_lo, exec_lo, s1
	v_cmp_gt_u32_e64 s1, 4, v22
	v_mov_b32_e32 v8, 0xff7fffff
	v_lshlrev_b32_e32 v5, 2, v22
	s_waitcnt lgkmcnt(0)
	s_barrier
	buffer_gl0_inv
	s_and_saveexec_b32 s2, s1
; %bb.255:
	ds_read_b32 v8, v5 offset:240
; %bb.256:
	s_or_b32 exec_lo, exec_lo, s2
	v_xor_b32_e32 v7, 2, v10
	v_xor_b32_e32 v13, 1, v10
	s_waitcnt lgkmcnt(0)
	v_max_f32_e32 v14, v8, v8
	v_lshlrev_b32_e32 v2, 2, v2
	v_lshl_add_u32 v23, v0, 2, 0x110
	v_cmp_lt_i32_e64 s2, v7, v11
	v_cndmask_b32_e64 v7, v10, v7, s2
	v_cmp_lt_i32_e64 s2, v13, v11
	v_lshlrev_b32_e32 v7, 2, v7
	ds_bpermute_b32 v12, v7, v8
	v_cndmask_b32_e64 v8, v10, v13, s2
	s_lshl_b32 s2, s12, 3
	s_min_i32 s4, s2, s11
	v_lshlrev_b32_e32 v8, 2, v8
	v_cmp_gt_i32_e64 s2, s4, v0
	s_waitcnt lgkmcnt(0)
	v_max_f32_e32 v11, v12, v12
	v_max_f32_e32 v11, v14, v11
	ds_bpermute_b32 v12, v8, v11
	s_waitcnt lgkmcnt(0)
	v_max_f32_e32 v12, v12, v12
	v_max_f32_e32 v11, v11, v12
	ds_bpermute_b32 v11, v2, v11
	v_mov_b32_e32 v2, 0
	s_and_saveexec_b32 s5, s2
	s_cbranch_execz .LBB318_260
; %bb.257:
	v_lshl_add_u32 v12, v0, 2, 0x110
	v_mov_b32_e32 v2, 0
	v_mov_b32_e32 v13, v0
	s_mov_b32 s14, 0
	.p2align	6
.LBB318_258:                            ; =>This Inner Loop Header: Depth=1
	ds_read_b32 v14, v12
	v_add_nc_u32_e32 v13, 0x80, v13
	v_cmp_le_i32_e64 s3, s4, v13
	s_or_b32 s14, s3, s14
	s_waitcnt lgkmcnt(0)
	v_sub_f32_e32 v14, v14, v11
	v_mul_f32_e32 v14, 0x3fb8aa3b, v14
	v_exp_f32_e32 v14, v14
	ds_write_b32 v12, v14
	v_add_f32_e32 v2, v2, v14
	v_add_nc_u32_e32 v12, 0x200, v12
	s_andn2_b32 exec_lo, exec_lo, s14
	s_cbranch_execnz .LBB318_258
; %bb.259:
	s_or_b32 exec_lo, exec_lo, s14
.LBB318_260:
	s_or_b32 exec_lo, exec_lo, s5
	ds_bpermute_b32 v1, v1, v2
	s_waitcnt lgkmcnt(0)
	v_add_f32_e32 v1, v2, v1
	ds_bpermute_b32 v2, v3, v1
	s_waitcnt lgkmcnt(0)
	v_add_f32_e32 v1, v1, v2
	;; [unrolled: 3-line block ×5, first 2 shown]
	s_and_saveexec_b32 s3, vcc_lo
; %bb.261:
	ds_write_b32 v4, v1 offset:256
; %bb.262:
	s_or_b32 exec_lo, exec_lo, s3
	s_waitcnt lgkmcnt(0)
	s_barrier
	buffer_gl0_inv
	s_and_saveexec_b32 s3, s1
; %bb.263:
	ds_read_b32 v1, v5 offset:256
; %bb.264:
	s_or_b32 exec_lo, exec_lo, s3
	s_waitcnt lgkmcnt(0)
	ds_bpermute_b32 v2, v7, v1
	v_lshlrev_b32_e32 v3, 2, v10
	s_waitcnt lgkmcnt(0)
	v_add_f32_e32 v1, v1, v2
	ds_bpermute_b32 v2, v8, v1
	s_waitcnt lgkmcnt(0)
	v_add_f32_e32 v1, v1, v2
	v_and_b32_e32 v2, 0xffffff80, v3
	ds_bpermute_b32 v1, v2, v1
	s_and_saveexec_b32 s1, s2
	s_cbranch_execz .LBB318_267
; %bb.265:
	s_waitcnt lgkmcnt(0)
	v_add_f32_e32 v2, 0x358637bd, v1
	s_mov_b32 s2, 0
	v_div_scale_f32 v1, null, v2, v2, 1.0
	v_div_scale_f32 v5, vcc_lo, 1.0, v2, 1.0
	v_rcp_f32_e32 v3, v1
	v_fma_f32 v4, -v1, v3, 1.0
	v_fmac_f32_e32 v3, v4, v3
	v_mul_f32_e32 v4, v5, v3
	v_fma_f32 v6, -v1, v4, v5
	v_fmac_f32_e32 v4, v6, v3
	v_fma_f32 v1, -v1, v4, v5
	v_div_fmas_f32 v3, v1, v3, v4
	v_mov_b32_e32 v1, v23
	v_div_fixup_f32 v2, v3, v2, 1.0
	v_mov_b32_e32 v3, v0
.LBB318_266:                            ; =>This Inner Loop Header: Depth=1
	ds_read_b32 v4, v1
	v_add_nc_u32_e32 v3, 0x80, v3
	v_cmp_le_i32_e32 vcc_lo, s4, v3
	s_or_b32 s2, vcc_lo, s2
	s_waitcnt lgkmcnt(0)
	v_mul_f32_e32 v4, v2, v4
	ds_write_b32 v1, v4
	v_add_nc_u32_e32 v1, 0x200, v1
	s_andn2_b32 exec_lo, exec_lo, s2
	s_cbranch_execnz .LBB318_266
.LBB318_267:
	s_or_b32 exec_lo, exec_lo, s1
	v_mov_b32_e32 v27, 0
	v_mov_b32_e32 v26, 0
	;; [unrolled: 1-line block ×4, first 2 shown]
	s_waitcnt lgkmcnt(0)
	s_barrier
	buffer_gl0_inv
	s_and_saveexec_b32 s14, s0
	s_cbranch_execz .LBB318_521
; %bb.268:
	s_load_dword s16, s[18:19], 0x0
	v_or_b32_e32 v1, 0x60, v22
	s_ashr_i32 s0, s15, 31
	s_add_u32 s2, s26, s15
	s_addc_u32 s3, s27, s0
	s_lshl_b64 s[0:1], s[24:25], 2
	v_cmp_gt_u32_e32 vcc_lo, 0x78, v1
	v_lshlrev_b32_e32 v29, 3, v1
	v_and_b32_e32 v1, 0x7c, v9
	s_add_i32 s15, s12, -1
	s_add_u32 s0, s22, s0
	s_addc_u32 s1, s23, s1
	v_lshlrev_b32_e32 v28, 3, v22
	v_add_co_u32 v11, s0, s0, v1
	v_mov_b32_e32 v10, 0
	v_lshl_or_b32 v30, v21, 3, 7
	v_lshl_add_u32 v31, v21, 5, 0x110
	v_add_co_ci_u32_e64 v12, null, s1, 0, s0
	v_mov_b32_e32 v32, 0x80
	v_mov_b32_e32 v33, 0xffff
	v_mov_b32_e32 v34, 0xff
	v_mov_b32_e32 v35, 7
	v_mov_b32_e32 v36, 24
	v_mov_b32_e32 v24, 0
	v_mov_b32_e32 v25, 0
	v_mov_b32_e32 v26, 0
	v_mov_b32_e32 v27, 0
	v_mov_b32_e32 v37, v21
	s_mov_b32 s4, -1
	s_mov_b32 s5, 0xffffff
	s_mov_b32 s17, 0
	s_branch .LBB318_271
.LBB318_269:                            ;   in Loop: Header=BB318_271 Depth=1
	s_or_b32 exec_lo, exec_lo, s1
	v_and_b32_e32 v46, 0xffff0000, v8
	v_lshlrev_b32_e32 v57, 16, v57
	v_lshlrev_b32_e32 v58, 16, v8
	;; [unrolled: 1-line block ×3, first 2 shown]
	v_and_b32_e32 v59, 0xffff0000, v7
	v_lshlrev_b32_e32 v9, 16, v9
	v_mul_f32_e32 v46, v46, v57
	v_lshlrev_b32_e32 v57, 16, v7
	v_lshlrev_b32_e32 v13, 16, v13
	v_mul_f32_e32 v14, v58, v14
	v_mul_f32_e32 v9, v59, v9
	v_bfe_u32 v58, v46, 16, 1
	v_or_b32_e32 v59, 0x400000, v46
	v_mul_f32_e32 v13, v57, v13
	v_bfe_u32 v57, v14, 16, 1
	v_cmp_u_f32_e64 s0, v46, v46
	v_add3_u32 v58, v58, v46, 0x7fff
	v_or_b32_e32 v60, 0x400000, v14
	v_bfe_u32 v61, v9, 16, 1
	v_add3_u32 v57, v57, v14, 0x7fff
	v_lshlrev_b32_e32 v2, 16, v2
	v_cndmask_b32_e64 v46, v58, v59, s0
	v_and_b32_e32 v58, 0xffff0000, v6
	v_cmp_u_f32_e64 s0, v14, v14
	v_or_b32_e32 v59, 0x400000, v9
	v_lshlrev_b32_e32 v1, 16, v1
	v_lshlrev_b32_e32 v4, 16, v4
	v_mul_f32_e32 v2, v58, v2
	v_cndmask_b32_e64 v14, v57, v60, s0
	v_add3_u32 v57, v61, v9, 0x7fff
	v_bfe_u32 v60, v13, 16, 1
	v_lshlrev_b32_e32 v58, 16, v6
	v_cmp_u_f32_e64 s0, v9, v9
	v_lshlrev_b32_e32 v61, 16, v5
	v_lshlrev_b32_e32 v3, 16, v3
	v_and_b32_e32 v14, 0xffff0000, v14
	v_mul_f32_e32 v1, v58, v1
	v_cndmask_b32_e64 v9, v57, v59, s0
	v_add3_u32 v57, v60, v13, 0x7fff
	v_or_b32_e32 v59, 0x400000, v13
	v_bfe_u32 v60, v2, 16, 1
	v_and_b32_e32 v58, 0xffff0000, v5
	v_cmp_u_f32_e64 s0, v13, v13
	v_mul_f32_e32 v3, v61, v3
	v_and_b32_e32 v46, 0xffff0000, v46
	v_and_b32_e32 v9, 0xffff0000, v9
	v_mul_f32_e32 v4, v58, v4
	v_cndmask_b32_e64 v13, v57, v59, s0
	v_bfe_u32 v57, v1, 16, 1
	v_add3_u32 v59, v60, v2, 0x7fff
	v_or_b32_e32 v58, 0x400000, v2
	v_cmp_u_f32_e64 s0, v2, v2
	v_or_b32_e32 v60, 0x400000, v1
	v_add3_u32 v57, v57, v1, 0x7fff
	v_bfe_u32 v62, v3, 16, 1
	v_bfe_u32 v61, v4, 16, 1
	v_cndmask_b32_e64 v2, v59, v58, s0
	v_cmp_u_f32_e64 s0, v1, v1
	v_or_b32_e32 v59, 0x400000, v3
	v_add3_u32 v58, v62, v3, 0x7fff
	v_and_b32_e32 v13, 0xffff0000, v13
	v_add_f32_e32 v14, v14, v46
	v_cndmask_b32_e64 v1, v57, v60, s0
	v_cmp_u_f32_e64 s0, v3, v3
	v_add3_u32 v57, v61, v4, 0x7fff
	v_or_b32_e32 v60, 0x400000, v4
	v_add_f32_e32 v9, v13, v9
	v_and_b32_e32 v1, 0xffff0000, v1
	v_cndmask_b32_e64 v3, v58, v59, s0
	v_cmp_u_f32_e64 s0, v4, v4
	v_and_b32_e32 v2, 0xffff0000, v2
	v_add_f32_e32 v9, v9, v14
	v_cndmask_b32_e64 v4, v57, v60, s0
	v_add_f32_e32 v1, v1, v2
	v_and_b32_e32 v2, 0xffff0000, v3
	v_and_b32_e32 v3, 0xffff0000, v4
	v_add_f32_e32 v1, v1, v9
	v_add_f32_e32 v2, v2, v3
	;; [unrolled: 1-line block ×4, first 2 shown]
.LBB318_270:                            ;   in Loop: Header=BB318_271 Depth=1
	s_or_b32 exec_lo, exec_lo, s18
	v_and_b32_e32 v1, 0xffff0000, v8
	v_lshlrev_b32_e32 v2, 16, v56
	v_lshlrev_b32_e32 v3, 16, v8
	;; [unrolled: 1-line block ×3, first 2 shown]
	v_and_b32_e32 v8, 0xffff0000, v7
	v_lshlrev_b32_e32 v9, 16, v53
	v_mul_f32_e32 v2, v1, v2
	v_lshlrev_b32_e32 v7, 16, v7
	v_mul_f32_e32 v4, v3, v4
	v_lshlrev_b32_e32 v13, 16, v54
	v_and_b32_e32 v46, 0xffff0000, v6
	v_bfe_u32 v14, v2, 16, 1
	v_lshlrev_b32_e32 v16, 16, v16
	v_bfe_u32 v53, v4, 16, 1
	v_or_b32_e32 v54, 0x400000, v2
	v_mul_f32_e32 v9, v8, v9
	v_add3_u32 v14, v14, v2, 0x7fff
	v_cmp_u_f32_e64 s0, v2, v2
	v_or_b32_e32 v55, 0x400000, v4
	v_add3_u32 v53, v53, v4, 0x7fff
	v_mul_f32_e32 v13, v7, v13
	v_mul_f32_e32 v16, v46, v16
	v_cndmask_b32_e64 v2, v14, v54, s0
	v_bfe_u32 v14, v9, 16, 1
	v_cmp_u_f32_e64 s0, v4, v4
	v_bfe_u32 v54, v13, 16, 1
	v_lshlrev_b32_e32 v6, 16, v6
	v_lshlrev_b32_e32 v15, 16, v15
	v_add3_u32 v14, v14, v9, 0x7fff
	v_cndmask_b32_e64 v4, v53, v55, s0
	v_or_b32_e32 v53, 0x400000, v9
	v_bfe_u32 v55, v16, 16, 1
	v_cmp_u_f32_e64 s0, v9, v9
	v_mul_f32_e32 v15, v6, v15
	v_lshlrev_b32_e32 v18, 16, v18
	v_or_b32_e32 v56, 0x400000, v16
	v_lshlrev_b32_e32 v17, 16, v17
	v_cndmask_b32_e64 v9, v14, v53, s0
	v_add3_u32 v14, v54, v13, 0x7fff
	v_or_b32_e32 v53, 0x400000, v13
	v_add3_u32 v54, v55, v16, 0x7fff
	v_and_b32_e32 v55, 0xffff0000, v5
	v_cmp_u_f32_e64 s0, v13, v13
	v_bfe_u32 v57, v15, 16, 1
	v_lshlrev_b32_e32 v5, 16, v5
	v_and_b32_e32 v4, 0xffff0000, v4
	v_and_b32_e32 v2, 0xffff0000, v2
	v_cndmask_b32_e64 v13, v14, v53, s0
	v_mul_f32_e32 v14, v55, v18
	v_cmp_u_f32_e64 s0, v16, v16
	v_add3_u32 v18, v57, v15, 0x7fff
	v_or_b32_e32 v53, 0x400000, v15
	v_mul_f32_e32 v17, v5, v17
	v_and_b32_e32 v13, 0xffff0000, v13
	v_cndmask_b32_e64 v16, v54, v56, s0
	v_bfe_u32 v54, v14, 16, 1
	v_cmp_u_f32_e64 s0, v15, v15
	v_and_b32_e32 v9, 0xffff0000, v9
	v_add_f32_e32 v2, v4, v2
	v_lshlrev_b32_e32 v20, 16, v20
	v_lshlrev_b32_e32 v19, 16, v19
	v_cndmask_b32_e64 v15, v18, v53, s0
	v_add3_u32 v18, v54, v14, 0x7fff
	v_or_b32_e32 v53, 0x400000, v14
	v_cmp_u_f32_e64 s0, v14, v14
	v_add_f32_e32 v4, v13, v9
	v_lshlrev_b32_e32 v13, 16, v52
	v_and_b32_e32 v9, 0xffff0000, v15
	v_and_b32_e32 v15, 0xffff0000, v16
	v_cndmask_b32_e64 v14, v18, v53, s0
	v_bfe_u32 v18, v17, 16, 1
	v_add_f32_e32 v2, v4, v2
	v_mul_f32_e32 v4, v1, v13
	v_cmp_u_f32_e64 s0, v17, v17
	v_add_f32_e32 v9, v9, v15
	v_add3_u32 v16, v18, v17, 0x7fff
	v_or_b32_e32 v18, 0x400000, v17
	v_lshlrev_b32_e32 v15, 16, v51
	v_or_b32_e32 v17, 0x400000, v4
	v_add_f32_e32 v2, v9, v2
	v_lshlrev_b32_e32 v9, 16, v48
	v_cndmask_b32_e64 v13, v16, v18, s0
	v_bfe_u32 v16, v4, 16, 1
	v_mul_f32_e32 v15, v3, v15
	v_cmp_u_f32_e64 s0, v4, v4
	v_mul_f32_e32 v9, v8, v9
	v_mul_f32_e32 v20, v46, v20
	v_add3_u32 v16, v16, v4, 0x7fff
	v_bfe_u32 v18, v15, 16, 1
	v_or_b32_e32 v48, 0x400000, v15
	v_mul_f32_e32 v19, v6, v19
	v_lshlrev_b32_e32 v45, 16, v45
	v_cndmask_b32_e64 v4, v16, v17, s0
	v_lshlrev_b32_e32 v17, 16, v50
	v_bfe_u32 v16, v9, 16, 1
	v_add3_u32 v18, v18, v15, 0x7fff
	v_cmp_u_f32_e64 s0, v15, v15
	v_or_b32_e32 v50, 0x400000, v9
	v_mul_f32_e32 v17, v7, v17
	v_add3_u32 v16, v16, v9, 0x7fff
	v_and_b32_e32 v4, 0xffff0000, v4
	v_cndmask_b32_e64 v15, v18, v48, s0
	v_cmp_u_f32_e64 s0, v9, v9
	v_bfe_u32 v18, v17, 16, 1
	v_lshlrev_b32_e32 v48, 16, v49
	v_or_b32_e32 v49, 0x400000, v17
	v_and_b32_e32 v15, 0xffff0000, v15
	v_cndmask_b32_e64 v9, v16, v50, s0
	v_bfe_u32 v16, v20, 16, 1
	v_add3_u32 v18, v18, v17, 0x7fff
	v_cmp_u_f32_e64 s0, v17, v17
	v_mul_f32_e32 v48, v55, v48
	v_or_b32_e32 v50, 0x400000, v20
	v_add3_u32 v16, v16, v20, 0x7fff
	v_and_b32_e32 v9, 0xffff0000, v9
	v_cndmask_b32_e64 v17, v18, v49, s0
	v_bfe_u32 v18, v19, 16, 1
	v_cmp_u_f32_e64 s0, v20, v20
	v_lshlrev_b32_e32 v20, 16, v47
	v_bfe_u32 v49, v48, 16, 1
	v_or_b32_e32 v47, 0x400000, v19
	v_add3_u32 v18, v18, v19, 0x7fff
	v_cndmask_b32_e64 v16, v16, v50, s0
	v_mul_f32_e32 v20, v5, v20
	v_cmp_u_f32_e64 s0, v19, v19
	v_add3_u32 v49, v49, v48, 0x7fff
	v_or_b32_e32 v50, 0x400000, v48
	v_and_b32_e32 v17, 0xffff0000, v17
	v_add_f32_e32 v4, v15, v4
	v_cndmask_b32_e64 v18, v18, v47, s0
	v_cmp_u_f32_e64 s0, v48, v48
	v_bfe_u32 v47, v20, 16, 1
	v_or_b32_e32 v48, 0x400000, v20
	v_add_f32_e32 v9, v17, v9
	v_and_b32_e32 v15, 0xffff0000, v18
	v_cndmask_b32_e64 v19, v49, v50, s0
	v_add3_u32 v47, v47, v20, 0x7fff
	v_and_b32_e32 v16, 0xffff0000, v16
	v_mul_f32_e32 v1, v1, v45
	v_lshlrev_b32_e32 v17, 16, v44
	v_cmp_u_f32_e64 s0, v20, v20
	v_add_f32_e32 v4, v9, v4
	v_add_f32_e32 v15, v15, v16
	v_bfe_u32 v9, v1, 16, 1
	v_mul_f32_e32 v3, v3, v17
	v_cndmask_b32_e64 v18, v47, v48, s0
	v_lshlrev_b32_e32 v16, 16, v41
	v_cmp_u_f32_e64 s0, v1, v1
	v_add3_u32 v9, v9, v1, 0x7fff
	v_bfe_u32 v20, v3, 16, 1
	v_and_b32_e32 v17, 0xffff0000, v18
	v_or_b32_e32 v18, 0x400000, v1
	v_mul_f32_e32 v8, v8, v16
	v_lshlrev_b32_e32 v16, 16, v43
	v_and_b32_e32 v13, 0xffff0000, v13
	v_and_b32_e32 v14, 0xffff0000, v14
	v_cndmask_b32_e64 v1, v9, v18, s0
	v_add3_u32 v9, v20, v3, 0x7fff
	v_or_b32_e32 v18, 0x400000, v3
	v_bfe_u32 v20, v8, 16, 1
	v_mul_f32_e32 v7, v7, v16
	v_lshlrev_b32_e32 v16, 16, v38
	v_cmp_u_f32_e64 s0, v3, v3
	v_lshlrev_b32_e32 v38, 16, v39
	v_lshlrev_b32_e32 v39, 16, v40
	v_and_b32_e32 v1, 0xffff0000, v1
	v_mul_f32_e32 v16, v46, v16
	v_cndmask_b32_e64 v3, v9, v18, s0
	v_add3_u32 v9, v20, v8, 0x7fff
	v_or_b32_e32 v18, 0x400000, v8
	v_bfe_u32 v20, v7, 16, 1
	v_cmp_u_f32_e64 s0, v8, v8
	v_mul_f32_e32 v6, v6, v38
	v_lshlrev_b32_e32 v38, 16, v42
	v_mul_f32_e32 v5, v5, v39
	v_and_b32_e32 v3, 0xffff0000, v3
	v_cndmask_b32_e64 v8, v9, v18, s0
	v_add3_u32 v9, v20, v7, 0x7fff
	v_or_b32_e32 v18, 0x400000, v7
	v_bfe_u32 v20, v16, 16, 1
	v_cmp_u_f32_e64 s0, v7, v7
	v_or_b32_e32 v39, 0x400000, v6
	v_bfe_u32 v41, v5, 16, 1
	v_and_b32_e32 v8, 0xffff0000, v8
	v_add_f32_e32 v1, v3, v1
	v_cndmask_b32_e64 v7, v9, v18, s0
	v_bfe_u32 v9, v6, 16, 1
	v_add3_u32 v18, v20, v16, 0x7fff
	v_mul_f32_e32 v20, v55, v38
	v_or_b32_e32 v38, 0x400000, v16
	v_cmp_u_f32_e64 s0, v16, v16
	v_add3_u32 v9, v9, v6, 0x7fff
	v_and_b32_e32 v7, 0xffff0000, v7
	v_bfe_u32 v40, v20, 16, 1
	v_add_f32_e32 v4, v15, v4
	v_cndmask_b32_e64 v16, v18, v38, s0
	v_cmp_u_f32_e64 s0, v6, v6
	v_add3_u32 v18, v41, v5, 0x7fff
	v_or_b32_e32 v38, 0x400000, v5
	v_add_f32_e32 v3, v7, v8
	v_and_b32_e32 v7, 0xffff0000, v16
	v_cndmask_b32_e64 v6, v9, v39, s0
	v_cmp_u_f32_e64 s0, v5, v5
	v_add3_u32 v9, v40, v20, 0x7fff
	v_or_b32_e32 v39, 0x400000, v20
	v_add_f32_e32 v1, v3, v1
	v_and_b32_e32 v6, 0xffff0000, v6
	v_cndmask_b32_e64 v5, v18, v38, s0
	v_cmp_u_f32_e64 s0, v20, v20
	v_add_nc_u32_e32 v37, 4, v37
	v_add_co_u32 v11, s1, v11, 16
	v_add_f32_e32 v3, v6, v7
	v_cndmask_b32_e64 v8, v9, v39, s0
	v_and_b32_e32 v9, 0xffff0000, v19
	v_and_b32_e32 v5, 0xffff0000, v5
	v_add_f32_e32 v7, v13, v14
	v_add_f32_e32 v1, v3, v1
	v_and_b32_e32 v6, 0xffff0000, v8
	v_add_f32_e32 v8, v17, v9
	v_cmp_le_i32_e64 s0, s12, v37
	v_add_f32_e32 v2, v7, v2
	v_add_nc_u32_e32 v30, 32, v30
	v_add_f32_e32 v3, v5, v6
	v_add_f32_e32 v4, v8, v4
	v_add_nc_u32_e32 v31, 0x80, v31
	v_add_f32_e32 v25, v25, v2
	v_add_co_ci_u32_e64 v12, null, 0, v12, s1
	v_add_f32_e32 v1, v3, v1
	v_add_f32_e32 v26, v26, v4
	s_or_b32 s17, s0, s17
	v_add_f32_e32 v27, v27, v1
	s_andn2_b32 exec_lo, exec_lo, s17
	s_cbranch_execz .LBB318_520
.LBB318_271:                            ; =>This Inner Loop Header: Depth=1
	global_load_dword v1, v[11:12], off
	v_mov_b32_e32 v40, 0
	s_waitcnt vmcnt(0)
	v_mad_i64_i32 v[13:14], null, v1, s13, s[2:3]
	v_add_co_u32 v15, s0, v13, v28
	v_add_co_ci_u32_e64 v16, null, 0, v14, s0
	global_load_dwordx2 v[17:18], v[15:16], off
	ds_read2_b64 v[5:8], v31 offset1:1
	ds_read2_b64 v[1:4], v31 offset0:2 offset1:3
	s_waitcnt vmcnt(0)
	v_cmp_ne_u16_sdwa s0, v17, v10 src0_sel:BYTE_0 src1_sel:DWORD
	s_and_saveexec_b32 s1, s0
	s_cbranch_execz .LBB318_277
; %bb.272:                              ;   in Loop: Header=BB318_271 Depth=1
	v_cmp_ne_u16_sdwa s0, v17, v32 src0_sel:BYTE_0 src1_sel:DWORD
	v_bfrev_b32_e32 v40, 1
	s_and_saveexec_b32 s18, s0
	s_cbranch_execz .LBB318_276
; %bb.273:                              ;   in Loop: Header=BB318_271 Depth=1
	v_and_b32_e32 v9, 0x7f, v17
	v_mov_b32_e32 v40, 0x7f800001
	s_mov_b32 s19, exec_lo
	v_cmpx_ne_u32_e32 0x7f, v9
	s_cbranch_execz .LBB318_275
; %bb.274:                              ;   in Loop: Header=BB318_271 Depth=1
	v_and_b32_e32 v19, 7, v17
	v_lshrrev_b32_e32 v20, 3, v9
	v_cmp_gt_u32_e64 s0, 8, v9
	v_ffbh_u32_e32 v19, v19
	v_min_u32_e32 v19, 32, v19
	v_subrev_nc_u32_e32 v38, 28, v19
	v_sub_nc_u32_e32 v19, 29, v19
	v_cndmask_b32_e64 v9, v20, v19, s0
	v_cndmask_b32_e64 v19, 0, v38, s0
	v_lshl_add_u32 v9, v9, 23, 0x3c000000
	v_lshlrev_b64 v[19:20], v19, v[17:18]
	v_lshlrev_b32_e32 v20, 24, v17
	v_lshlrev_b32_e32 v19, 20, v19
	v_and_b32_e32 v20, 0x80000000, v20
	v_and_b32_e32 v19, 0x700000, v19
	v_or3_b32 v40, v19, v20, v9
.LBB318_275:                            ;   in Loop: Header=BB318_271 Depth=1
	s_or_b32 exec_lo, exec_lo, s19
.LBB318_276:                            ;   in Loop: Header=BB318_271 Depth=1
	s_or_b32 exec_lo, exec_lo, s18
.LBB318_277:                            ;   in Loop: Header=BB318_271 Depth=1
	s_or_b32 exec_lo, exec_lo, s1
	v_cmp_ne_u16_sdwa s0, v17, v10 src0_sel:BYTE_1 src1_sel:DWORD
	v_mov_b32_e32 v38, 0
	v_mov_b32_e32 v39, 0
	s_and_saveexec_b32 s1, s0
	s_cbranch_execz .LBB318_285
; %bb.278:                              ;   in Loop: Header=BB318_271 Depth=1
	v_cmp_ne_u16_sdwa s0, v17, v32 src0_sel:BYTE_1 src1_sel:DWORD
	v_bfrev_b32_e32 v39, 1
	s_and_saveexec_b32 s18, s0
	s_cbranch_execz .LBB318_284
; %bb.279:                              ;   in Loop: Header=BB318_271 Depth=1
	v_and_b32_sdwa v9, v33, v17 dst_sel:DWORD dst_unused:UNUSED_PAD src0_sel:DWORD src1_sel:BYTE_1
	v_mov_b32_e32 v39, 0x7f800001
	s_mov_b32 s19, exec_lo
	v_and_b32_e32 v20, 0x7f, v9
	v_cmpx_ne_u32_e32 0x7f, v20
	s_cbranch_execz .LBB318_283
; %bb.280:                              ;   in Loop: Header=BB318_271 Depth=1
	v_and_b32_e32 v9, 7, v9
	v_lshrrev_b32_e32 v19, 3, v20
	s_mov_b32 s22, exec_lo
	v_cmpx_gt_u32_e32 8, v20
; %bb.281:                              ;   in Loop: Header=BB318_271 Depth=1
	v_ffbh_u32_e32 v19, v9
	v_min_u32_e32 v19, 32, v19
	v_subrev_nc_u32_e32 v20, 28, v19
	v_sub_nc_u32_e32 v19, 29, v19
	v_lshlrev_b64 v[41:42], v20, v[9:10]
	v_and_b32_e32 v9, 7, v41
; %bb.282:                              ;   in Loop: Header=BB318_271 Depth=1
	s_or_b32 exec_lo, exec_lo, s22
	v_lshlrev_b32_e32 v20, 16, v17
	v_lshlrev_b32_e32 v9, 20, v9
	v_lshl_add_u32 v19, v19, 23, 0x3c000000
	v_and_b32_e32 v20, 0x80000000, v20
	v_or3_b32 v39, v9, v20, v19
.LBB318_283:                            ;   in Loop: Header=BB318_271 Depth=1
	s_or_b32 exec_lo, exec_lo, s19
.LBB318_284:                            ;   in Loop: Header=BB318_271 Depth=1
	s_or_b32 exec_lo, exec_lo, s18
.LBB318_285:                            ;   in Loop: Header=BB318_271 Depth=1
	s_or_b32 exec_lo, exec_lo, s1
	v_and_b32_sdwa v9, v17, v34 dst_sel:DWORD dst_unused:UNUSED_PAD src0_sel:WORD_1 src1_sel:DWORD
	s_mov_b32 s1, exec_lo
	v_cmpx_ne_u16_e32 0, v9
	s_cbranch_execz .LBB318_293
; %bb.286:                              ;   in Loop: Header=BB318_271 Depth=1
	v_bfrev_b32_e32 v38, 1
	s_mov_b32 s18, exec_lo
	v_cmpx_ne_u16_e32 0x80, v9
	s_cbranch_execz .LBB318_292
; %bb.287:                              ;   in Loop: Header=BB318_271 Depth=1
	v_bfe_u32 v20, v17, 16, 7
	v_mov_b32_e32 v38, 0x7f800001
	s_mov_b32 s19, exec_lo
	v_cmpx_ne_u32_e32 0x7f, v20
	s_cbranch_execz .LBB318_291
; %bb.288:                              ;   in Loop: Header=BB318_271 Depth=1
	v_and_b32_sdwa v9, v17, v35 dst_sel:DWORD dst_unused:UNUSED_PAD src0_sel:WORD_1 src1_sel:DWORD
	v_lshrrev_b32_e32 v19, 3, v20
	s_mov_b32 s22, exec_lo
	v_cmpx_gt_u32_e32 8, v20
; %bb.289:                              ;   in Loop: Header=BB318_271 Depth=1
	v_ffbh_u32_e32 v19, v9
	v_min_u32_e32 v19, 32, v19
	v_subrev_nc_u32_e32 v20, 28, v19
	v_sub_nc_u32_e32 v19, 29, v19
	v_lshlrev_b64 v[41:42], v20, v[9:10]
	v_and_b32_e32 v9, 7, v41
; %bb.290:                              ;   in Loop: Header=BB318_271 Depth=1
	s_or_b32 exec_lo, exec_lo, s22
	v_lshlrev_b32_sdwa v20, v36, v17 dst_sel:DWORD dst_unused:UNUSED_PAD src0_sel:DWORD src1_sel:WORD_1
	v_lshlrev_b32_e32 v9, 20, v9
	v_lshl_add_u32 v19, v19, 23, 0x3c000000
	v_and_b32_e32 v20, 0x80000000, v20
	v_or3_b32 v38, v9, v20, v19
.LBB318_291:                            ;   in Loop: Header=BB318_271 Depth=1
	s_or_b32 exec_lo, exec_lo, s19
.LBB318_292:                            ;   in Loop: Header=BB318_271 Depth=1
	s_or_b32 exec_lo, exec_lo, s18
.LBB318_293:                            ;   in Loop: Header=BB318_271 Depth=1
	s_or_b32 exec_lo, exec_lo, s1
	v_mov_b32_e32 v41, 0
	v_mov_b32_e32 v42, 0
	s_mov_b32 s1, exec_lo
	v_cmpx_lt_u32_e32 0xffffff, v17
	s_cbranch_execz .LBB318_301
; %bb.294:                              ;   in Loop: Header=BB318_271 Depth=1
	v_cmp_ne_u32_sdwa s0, v17, v32 src0_sel:BYTE_3 src1_sel:DWORD
	v_bfrev_b32_e32 v42, 1
	s_and_saveexec_b32 s18, s0
	s_cbranch_execz .LBB318_300
; %bb.295:                              ;   in Loop: Header=BB318_271 Depth=1
	v_bfe_u32 v20, v17, 24, 7
	v_mov_b32_e32 v42, 0x7f800001
	s_mov_b32 s19, exec_lo
	v_cmpx_ne_u32_e32 0x7f, v20
	s_cbranch_execz .LBB318_299
; %bb.296:                              ;   in Loop: Header=BB318_271 Depth=1
	v_and_b32_sdwa v9, v17, v35 dst_sel:DWORD dst_unused:UNUSED_PAD src0_sel:BYTE_3 src1_sel:DWORD
	v_lshrrev_b32_e32 v19, 3, v20
	s_mov_b32 s22, exec_lo
	v_cmpx_gt_u32_e32 8, v20
; %bb.297:                              ;   in Loop: Header=BB318_271 Depth=1
	v_ffbh_u32_e32 v19, v9
	v_min_u32_e32 v19, 32, v19
	v_subrev_nc_u32_e32 v20, 28, v19
	v_sub_nc_u32_e32 v19, 29, v19
	v_lshlrev_b64 v[42:43], v20, v[9:10]
	v_and_b32_e32 v9, 7, v42
; %bb.298:                              ;   in Loop: Header=BB318_271 Depth=1
	s_or_b32 exec_lo, exec_lo, s22
	v_lshlrev_b32_sdwa v20, v36, v17 dst_sel:DWORD dst_unused:UNUSED_PAD src0_sel:DWORD src1_sel:BYTE_3
	v_lshlrev_b32_e32 v9, 20, v9
	v_lshl_add_u32 v19, v19, 23, 0x3c000000
	v_and_b32_e32 v20, 0x80000000, v20
	v_or3_b32 v42, v9, v20, v19
.LBB318_299:                            ;   in Loop: Header=BB318_271 Depth=1
	s_or_b32 exec_lo, exec_lo, s19
.LBB318_300:                            ;   in Loop: Header=BB318_271 Depth=1
	s_or_b32 exec_lo, exec_lo, s18
.LBB318_301:                            ;   in Loop: Header=BB318_271 Depth=1
	s_or_b32 exec_lo, exec_lo, s1
	v_mov_b32_e32 v9, v18
	v_cmp_ne_u16_sdwa s0, v18, v10 src0_sel:BYTE_0 src1_sel:DWORD
	s_and_saveexec_b32 s1, s0
	s_cbranch_execz .LBB318_307
; %bb.302:                              ;   in Loop: Header=BB318_271 Depth=1
	v_cmp_ne_u16_sdwa s0, v18, v32 src0_sel:BYTE_0 src1_sel:DWORD
	v_bfrev_b32_e32 v41, 1
	s_and_saveexec_b32 s18, s0
	s_cbranch_execz .LBB318_306
; %bb.303:                              ;   in Loop: Header=BB318_271 Depth=1
	v_and_b32_e32 v19, 0x7f, v18
	v_mov_b32_e32 v41, 0x7f800001
	s_mov_b32 s19, exec_lo
	v_cmpx_ne_u32_e32 0x7f, v19
	s_cbranch_execz .LBB318_305
; %bb.304:                              ;   in Loop: Header=BB318_271 Depth=1
	v_and_b32_e32 v20, 7, v18
	v_cmp_gt_u32_e64 s0, 8, v19
	v_lshrrev_b32_e32 v41, 3, v19
	v_ffbh_u32_e32 v20, v20
	v_min_u32_e32 v20, 32, v20
	v_subrev_nc_u32_e32 v43, 28, v20
	v_sub_nc_u32_e32 v20, 29, v20
	v_cndmask_b32_e64 v19, 0, v43, s0
	v_cndmask_b32_e64 v41, v41, v20, s0
	v_lshlrev_b64 v[19:20], v19, v[9:10]
	v_lshlrev_b32_e32 v20, 24, v9
	v_lshl_add_u32 v41, v41, 23, 0x3c000000
	v_lshlrev_b32_e32 v19, 20, v19
	v_and_b32_e32 v20, 0x80000000, v20
	v_and_b32_e32 v19, 0x700000, v19
	v_or3_b32 v41, v19, v20, v41
.LBB318_305:                            ;   in Loop: Header=BB318_271 Depth=1
	s_or_b32 exec_lo, exec_lo, s19
.LBB318_306:                            ;   in Loop: Header=BB318_271 Depth=1
	s_or_b32 exec_lo, exec_lo, s18
.LBB318_307:                            ;   in Loop: Header=BB318_271 Depth=1
	s_or_b32 exec_lo, exec_lo, s1
	v_cmp_ne_u16_sdwa s0, v9, v10 src0_sel:BYTE_1 src1_sel:DWORD
	v_mov_b32_e32 v43, 0
	v_mov_b32_e32 v19, 0
	s_and_saveexec_b32 s1, s0
	s_cbranch_execz .LBB318_315
; %bb.308:                              ;   in Loop: Header=BB318_271 Depth=1
	v_cmp_ne_u16_sdwa s0, v9, v32 src0_sel:BYTE_1 src1_sel:DWORD
	v_bfrev_b32_e32 v19, 1
	s_and_saveexec_b32 s18, s0
	s_cbranch_execz .LBB318_314
; %bb.309:                              ;   in Loop: Header=BB318_271 Depth=1
	v_and_b32_sdwa v20, v33, v9 dst_sel:DWORD dst_unused:UNUSED_PAD src0_sel:DWORD src1_sel:BYTE_1
	v_mov_b32_e32 v19, 0x7f800001
	s_mov_b32 s19, exec_lo
	v_and_b32_e32 v45, 0x7f, v20
	v_cmpx_ne_u32_e32 0x7f, v45
	s_cbranch_execz .LBB318_313
; %bb.310:                              ;   in Loop: Header=BB318_271 Depth=1
	v_and_b32_e32 v19, 7, v20
	v_mov_b32_e32 v20, v10
	v_lshrrev_b32_e32 v44, 3, v45
	s_mov_b32 s22, exec_lo
	v_cmpx_gt_u32_e32 8, v45
; %bb.311:                              ;   in Loop: Header=BB318_271 Depth=1
	v_ffbh_u32_e32 v44, v19
	v_min_u32_e32 v44, 32, v44
	v_subrev_nc_u32_e32 v45, 28, v44
	v_sub_nc_u32_e32 v44, 29, v44
	v_lshlrev_b64 v[19:20], v45, v[19:20]
	v_and_b32_e32 v19, 7, v19
; %bb.312:                              ;   in Loop: Header=BB318_271 Depth=1
	s_or_b32 exec_lo, exec_lo, s22
	v_lshlrev_b32_e32 v9, 16, v9
	v_lshlrev_b32_e32 v19, 20, v19
	v_lshl_add_u32 v20, v44, 23, 0x3c000000
	v_and_b32_e32 v9, 0x80000000, v9
	v_or3_b32 v19, v19, v9, v20
.LBB318_313:                            ;   in Loop: Header=BB318_271 Depth=1
	s_or_b32 exec_lo, exec_lo, s19
.LBB318_314:                            ;   in Loop: Header=BB318_271 Depth=1
	s_or_b32 exec_lo, exec_lo, s18
.LBB318_315:                            ;   in Loop: Header=BB318_271 Depth=1
	s_or_b32 exec_lo, exec_lo, s1
	v_and_b32_sdwa v9, v18, v34 dst_sel:DWORD dst_unused:UNUSED_PAD src0_sel:WORD_1 src1_sel:DWORD
	s_mov_b32 s1, exec_lo
	v_cmpx_ne_u16_e32 0, v9
	s_cbranch_execz .LBB318_323
; %bb.316:                              ;   in Loop: Header=BB318_271 Depth=1
	v_bfrev_b32_e32 v43, 1
	s_mov_b32 s18, exec_lo
	v_cmpx_ne_u16_e32 0x80, v9
	s_cbranch_execz .LBB318_322
; %bb.317:                              ;   in Loop: Header=BB318_271 Depth=1
	v_bfe_u32 v44, v18, 16, 7
	v_mov_b32_e32 v43, 0x7f800001
	s_mov_b32 s19, exec_lo
	v_cmpx_ne_u32_e32 0x7f, v44
	s_cbranch_execz .LBB318_321
; %bb.318:                              ;   in Loop: Header=BB318_271 Depth=1
	v_and_b32_sdwa v9, v18, v35 dst_sel:DWORD dst_unused:UNUSED_PAD src0_sel:WORD_1 src1_sel:DWORD
	v_lshrrev_b32_e32 v20, 3, v44
	s_mov_b32 s22, exec_lo
	v_cmpx_gt_u32_e32 8, v44
; %bb.319:                              ;   in Loop: Header=BB318_271 Depth=1
	v_ffbh_u32_e32 v20, v9
	v_min_u32_e32 v20, 32, v20
	v_subrev_nc_u32_e32 v43, 28, v20
	v_sub_nc_u32_e32 v20, 29, v20
	v_lshlrev_b64 v[43:44], v43, v[9:10]
	v_and_b32_e32 v9, 7, v43
; %bb.320:                              ;   in Loop: Header=BB318_271 Depth=1
	s_or_b32 exec_lo, exec_lo, s22
	v_lshlrev_b32_sdwa v43, v36, v18 dst_sel:DWORD dst_unused:UNUSED_PAD src0_sel:DWORD src1_sel:WORD_1
	v_lshlrev_b32_e32 v9, 20, v9
	v_lshl_add_u32 v20, v20, 23, 0x3c000000
	v_and_b32_e32 v43, 0x80000000, v43
	v_or3_b32 v43, v9, v43, v20
.LBB318_321:                            ;   in Loop: Header=BB318_271 Depth=1
	s_or_b32 exec_lo, exec_lo, s19
.LBB318_322:                            ;   in Loop: Header=BB318_271 Depth=1
	s_or_b32 exec_lo, exec_lo, s18
.LBB318_323:                            ;   in Loop: Header=BB318_271 Depth=1
	s_or_b32 exec_lo, exec_lo, s1
	v_mov_b32_e32 v9, 0
	s_mov_b32 s1, exec_lo
	v_cmpx_lt_u64_e64 s[4:5], v[17:18]
	s_cbranch_execz .LBB318_331
; %bb.324:                              ;   in Loop: Header=BB318_271 Depth=1
	v_cmp_ne_u32_sdwa s0, v18, v32 src0_sel:BYTE_3 src1_sel:DWORD
	v_bfrev_b32_e32 v9, 1
	s_and_saveexec_b32 s18, s0
	s_cbranch_execz .LBB318_330
; %bb.325:                              ;   in Loop: Header=BB318_271 Depth=1
	v_bfe_u32 v20, v18, 24, 7
	v_mov_b32_e32 v9, 0x7f800001
	s_mov_b32 s19, exec_lo
	v_cmpx_ne_u32_e32 0x7f, v20
	s_cbranch_execz .LBB318_329
; %bb.326:                              ;   in Loop: Header=BB318_271 Depth=1
	v_and_b32_sdwa v9, v18, v35 dst_sel:DWORD dst_unused:UNUSED_PAD src0_sel:BYTE_3 src1_sel:DWORD
	v_lshrrev_b32_e32 v17, 3, v20
	s_mov_b32 s22, exec_lo
	v_cmpx_gt_u32_e32 8, v20
; %bb.327:                              ;   in Loop: Header=BB318_271 Depth=1
	v_ffbh_u32_e32 v17, v9
	v_min_u32_e32 v17, 32, v17
	v_subrev_nc_u32_e32 v20, 28, v17
	v_sub_nc_u32_e32 v17, 29, v17
	v_lshlrev_b64 v[44:45], v20, v[9:10]
	v_and_b32_e32 v9, 7, v44
; %bb.328:                              ;   in Loop: Header=BB318_271 Depth=1
	s_or_b32 exec_lo, exec_lo, s22
	v_lshlrev_b32_sdwa v18, v36, v18 dst_sel:DWORD dst_unused:UNUSED_PAD src0_sel:DWORD src1_sel:BYTE_3
	v_lshlrev_b32_e32 v9, 20, v9
	v_lshl_add_u32 v17, v17, 23, 0x3c000000
	v_and_b32_e32 v18, 0x80000000, v18
	v_or3_b32 v9, v9, v18, v17
.LBB318_329:                            ;   in Loop: Header=BB318_271 Depth=1
	s_or_b32 exec_lo, exec_lo, s19
.LBB318_330:                            ;   in Loop: Header=BB318_271 Depth=1
	s_or_b32 exec_lo, exec_lo, s18
.LBB318_331:                            ;   in Loop: Header=BB318_271 Depth=1
	s_or_b32 exec_lo, exec_lo, s1
	s_waitcnt lgkmcnt(0)
	v_mul_f32_e32 v17, s16, v19
	v_mul_f32_e32 v18, s16, v41
	;; [unrolled: 1-line block ×5, first 2 shown]
	v_bfe_u32 v20, v17, 16, 1
	v_or_b32_e32 v38, 0x400000, v17
	v_bfe_u32 v41, v18, 16, 1
	v_cmp_u_f32_e64 s1, v17, v17
	v_or_b32_e32 v44, 0x400000, v18
	v_add3_u32 v20, v20, v17, 0x7fff
	v_bfe_u32 v45, v19, 16, 1
	v_add3_u32 v41, v41, v18, 0x7fff
	v_or_b32_e32 v47, 0x400000, v19
	v_add_nc_u32_e32 v46, -7, v30
	v_cndmask_b32_e64 v17, v20, v38, s1
	v_cmp_u_f32_e64 s1, v18, v18
	v_bfe_u32 v20, v42, 16, 1
	v_add3_u32 v45, v45, v19, 0x7fff
	v_cmp_eq_u32_e64 s0, s15, v37
	v_lshrrev_b32_e32 v38, 16, v17
	v_cndmask_b32_e64 v18, v41, v44, s1
	v_cmp_u_f32_e64 s1, v19, v19
	v_mul_f32_e32 v19, s16, v39
	v_add3_u32 v20, v20, v42, 0x7fff
	v_or_b32_e32 v44, 0x400000, v42
	v_lshrrev_b32_e32 v39, 16, v18
	v_cndmask_b32_e64 v17, v45, v47, s1
	v_cmp_u_f32_e64 s1, v42, v42
	v_or_b32_e32 v42, 0x400000, v19
	v_or_b32_e32 v47, 0x400000, v9
	v_lshrrev_b32_e32 v41, 16, v17
	v_bfe_u32 v17, v19, 16, 1
	v_cndmask_b32_e64 v18, v20, v44, s1
	v_mul_f32_e32 v20, s16, v40
	v_mul_f32_e32 v40, s16, v43
	v_cmp_u_f32_e64 s1, v19, v19
	v_add3_u32 v17, v17, v19, 0x7fff
	v_bfe_u32 v19, v9, 16, 1
	v_bfe_u32 v43, v20, 16, 1
	;; [unrolled: 1-line block ×3, first 2 shown]
	v_or_b32_e32 v45, 0x400000, v40
	v_cndmask_b32_e64 v17, v17, v42, s1
	v_cmp_u_f32_e64 s1, v20, v20
	v_add3_u32 v42, v43, v20, 0x7fff
	v_or_b32_e32 v43, 0x400000, v20
	v_add3_u32 v44, v44, v40, 0x7fff
	v_add3_u32 v19, v19, v9, 0x7fff
	v_cndmask_b32_e64 v20, v42, v43, s1
	v_cmp_u_f32_e64 s1, v40, v40
	v_lshrrev_b32_e32 v43, 16, v18
	v_cndmask_b32_e64 v40, v44, v45, s1
	v_cmp_u_f32_e64 s1, v9, v9
	v_lshrrev_b32_e32 v45, 16, v17
	v_lshrrev_b32_e32 v44, 16, v20
	;; [unrolled: 1-line block ×3, first 2 shown]
	v_cndmask_b32_e64 v9, v19, v47, s1
	v_lshrrev_b32_e32 v42, 16, v9
	s_and_saveexec_b32 s18, s0
	s_cbranch_execz .LBB318_333
; %bb.332:                              ;   in Loop: Header=BB318_271 Depth=1
	v_add_nc_u32_e32 v9, -6, v30
	v_cmp_gt_i32_e64 s1, s11, v46
	v_add_nc_u32_e32 v17, -5, v30
	v_add_nc_u32_e32 v18, -2, v30
	v_cndmask_b32_e64 v44, 0, v44, s1
	v_cmp_gt_i32_e64 s1, s11, v9
	v_add_nc_u32_e32 v9, -4, v30
	v_cndmask_b32_e64 v45, 0, v45, s1
	v_cmp_gt_i32_e64 s1, s11, v17
	;; [unrolled: 3-line block ×4, first 2 shown]
	v_cndmask_b32_e64 v39, 0, v39, s1
	v_cmp_gt_i32_e64 s1, s11, v18
	v_cndmask_b32_e64 v38, 0, v38, s1
	v_cmp_gt_i32_e64 s1, s11, v9
	;; [unrolled: 2-line block ×3, first 2 shown]
	v_cndmask_b32_e64 v42, 0, v42, s1
.LBB318_333:                            ;   in Loop: Header=BB318_271 Depth=1
	s_or_b32 exec_lo, exec_lo, s18
	global_load_dwordx2 v[17:18], v[15:16], off offset:256
	v_mov_b32_e32 v48, 0
	v_mov_b32_e32 v47, 0
	s_waitcnt vmcnt(0)
	v_cmp_ne_u16_sdwa s1, v17, v10 src0_sel:BYTE_0 src1_sel:DWORD
	s_and_saveexec_b32 s18, s1
	s_cbranch_execz .LBB318_339
; %bb.334:                              ;   in Loop: Header=BB318_271 Depth=1
	v_cmp_ne_u16_sdwa s1, v17, v32 src0_sel:BYTE_0 src1_sel:DWORD
	v_bfrev_b32_e32 v47, 1
	s_and_saveexec_b32 s19, s1
	s_cbranch_execz .LBB318_338
; %bb.335:                              ;   in Loop: Header=BB318_271 Depth=1
	v_and_b32_e32 v9, 0x7f, v17
	v_mov_b32_e32 v47, 0x7f800001
	s_mov_b32 s22, exec_lo
	v_cmpx_ne_u32_e32 0x7f, v9
	s_cbranch_execz .LBB318_337
; %bb.336:                              ;   in Loop: Header=BB318_271 Depth=1
	v_and_b32_e32 v19, 7, v17
	v_lshrrev_b32_e32 v20, 3, v9
	v_cmp_gt_u32_e64 s1, 8, v9
	v_ffbh_u32_e32 v19, v19
	v_min_u32_e32 v19, 32, v19
	v_subrev_nc_u32_e32 v47, 28, v19
	v_sub_nc_u32_e32 v19, 29, v19
	v_cndmask_b32_e64 v9, v20, v19, s1
	v_cndmask_b32_e64 v19, 0, v47, s1
	v_lshl_add_u32 v9, v9, 23, 0x3c000000
	v_lshlrev_b64 v[19:20], v19, v[17:18]
	v_lshlrev_b32_e32 v20, 24, v17
	v_lshlrev_b32_e32 v19, 20, v19
	v_and_b32_e32 v20, 0x80000000, v20
	v_and_b32_e32 v19, 0x700000, v19
	v_or3_b32 v47, v19, v20, v9
.LBB318_337:                            ;   in Loop: Header=BB318_271 Depth=1
	s_or_b32 exec_lo, exec_lo, s22
.LBB318_338:                            ;   in Loop: Header=BB318_271 Depth=1
	s_or_b32 exec_lo, exec_lo, s19
.LBB318_339:                            ;   in Loop: Header=BB318_271 Depth=1
	s_or_b32 exec_lo, exec_lo, s18
	v_cmp_ne_u16_sdwa s1, v17, v10 src0_sel:BYTE_1 src1_sel:DWORD
	s_and_saveexec_b32 s18, s1
	s_cbranch_execz .LBB318_347
; %bb.340:                              ;   in Loop: Header=BB318_271 Depth=1
	v_cmp_ne_u16_sdwa s1, v17, v32 src0_sel:BYTE_1 src1_sel:DWORD
	v_bfrev_b32_e32 v48, 1
	s_and_saveexec_b32 s19, s1
	s_cbranch_execz .LBB318_346
; %bb.341:                              ;   in Loop: Header=BB318_271 Depth=1
	v_and_b32_sdwa v9, v33, v17 dst_sel:DWORD dst_unused:UNUSED_PAD src0_sel:DWORD src1_sel:BYTE_1
	v_mov_b32_e32 v48, 0x7f800001
	s_mov_b32 s22, exec_lo
	v_and_b32_e32 v20, 0x7f, v9
	v_cmpx_ne_u32_e32 0x7f, v20
	s_cbranch_execz .LBB318_345
; %bb.342:                              ;   in Loop: Header=BB318_271 Depth=1
	v_and_b32_e32 v9, 7, v9
	v_lshrrev_b32_e32 v19, 3, v20
	s_mov_b32 s23, exec_lo
	v_cmpx_gt_u32_e32 8, v20
; %bb.343:                              ;   in Loop: Header=BB318_271 Depth=1
	v_ffbh_u32_e32 v19, v9
	v_min_u32_e32 v19, 32, v19
	v_subrev_nc_u32_e32 v20, 28, v19
	v_sub_nc_u32_e32 v19, 29, v19
	v_lshlrev_b64 v[48:49], v20, v[9:10]
	v_and_b32_e32 v9, 7, v48
; %bb.344:                              ;   in Loop: Header=BB318_271 Depth=1
	s_or_b32 exec_lo, exec_lo, s23
	v_lshlrev_b32_e32 v20, 16, v17
	v_lshlrev_b32_e32 v9, 20, v9
	v_lshl_add_u32 v19, v19, 23, 0x3c000000
	v_and_b32_e32 v20, 0x80000000, v20
	v_or3_b32 v48, v9, v20, v19
.LBB318_345:                            ;   in Loop: Header=BB318_271 Depth=1
	s_or_b32 exec_lo, exec_lo, s22
.LBB318_346:                            ;   in Loop: Header=BB318_271 Depth=1
	s_or_b32 exec_lo, exec_lo, s19
.LBB318_347:                            ;   in Loop: Header=BB318_271 Depth=1
	s_or_b32 exec_lo, exec_lo, s18
	v_and_b32_sdwa v9, v17, v34 dst_sel:DWORD dst_unused:UNUSED_PAD src0_sel:WORD_1 src1_sel:DWORD
	v_mov_b32_e32 v50, 0
	v_mov_b32_e32 v49, 0
	s_mov_b32 s18, exec_lo
	v_cmpx_ne_u16_e32 0, v9
	s_cbranch_execz .LBB318_355
; %bb.348:                              ;   in Loop: Header=BB318_271 Depth=1
	v_bfrev_b32_e32 v49, 1
	s_mov_b32 s19, exec_lo
	v_cmpx_ne_u16_e32 0x80, v9
	s_cbranch_execz .LBB318_354
; %bb.349:                              ;   in Loop: Header=BB318_271 Depth=1
	v_bfe_u32 v20, v17, 16, 7
	v_mov_b32_e32 v49, 0x7f800001
	s_mov_b32 s22, exec_lo
	v_cmpx_ne_u32_e32 0x7f, v20
	s_cbranch_execz .LBB318_353
; %bb.350:                              ;   in Loop: Header=BB318_271 Depth=1
	v_and_b32_sdwa v9, v17, v35 dst_sel:DWORD dst_unused:UNUSED_PAD src0_sel:WORD_1 src1_sel:DWORD
	v_lshrrev_b32_e32 v19, 3, v20
	s_mov_b32 s23, exec_lo
	v_cmpx_gt_u32_e32 8, v20
; %bb.351:                              ;   in Loop: Header=BB318_271 Depth=1
	v_ffbh_u32_e32 v19, v9
	v_min_u32_e32 v19, 32, v19
	v_subrev_nc_u32_e32 v20, 28, v19
	v_sub_nc_u32_e32 v19, 29, v19
	v_lshlrev_b64 v[51:52], v20, v[9:10]
	v_and_b32_e32 v9, 7, v51
; %bb.352:                              ;   in Loop: Header=BB318_271 Depth=1
	s_or_b32 exec_lo, exec_lo, s23
	v_lshlrev_b32_sdwa v20, v36, v17 dst_sel:DWORD dst_unused:UNUSED_PAD src0_sel:DWORD src1_sel:WORD_1
	v_lshlrev_b32_e32 v9, 20, v9
	v_lshl_add_u32 v19, v19, 23, 0x3c000000
	v_and_b32_e32 v20, 0x80000000, v20
	v_or3_b32 v49, v9, v20, v19
.LBB318_353:                            ;   in Loop: Header=BB318_271 Depth=1
	s_or_b32 exec_lo, exec_lo, s22
.LBB318_354:                            ;   in Loop: Header=BB318_271 Depth=1
	s_or_b32 exec_lo, exec_lo, s19
.LBB318_355:                            ;   in Loop: Header=BB318_271 Depth=1
	s_or_b32 exec_lo, exec_lo, s18
	s_mov_b32 s18, exec_lo
	v_cmpx_lt_u32_e32 0xffffff, v17
	s_cbranch_execz .LBB318_363
; %bb.356:                              ;   in Loop: Header=BB318_271 Depth=1
	v_cmp_ne_u32_sdwa s1, v17, v32 src0_sel:BYTE_3 src1_sel:DWORD
	v_bfrev_b32_e32 v50, 1
	s_and_saveexec_b32 s19, s1
	s_cbranch_execz .LBB318_362
; %bb.357:                              ;   in Loop: Header=BB318_271 Depth=1
	v_bfe_u32 v20, v17, 24, 7
	v_mov_b32_e32 v50, 0x7f800001
	s_mov_b32 s22, exec_lo
	v_cmpx_ne_u32_e32 0x7f, v20
	s_cbranch_execz .LBB318_361
; %bb.358:                              ;   in Loop: Header=BB318_271 Depth=1
	v_and_b32_sdwa v9, v17, v35 dst_sel:DWORD dst_unused:UNUSED_PAD src0_sel:BYTE_3 src1_sel:DWORD
	v_lshrrev_b32_e32 v19, 3, v20
	s_mov_b32 s23, exec_lo
	v_cmpx_gt_u32_e32 8, v20
; %bb.359:                              ;   in Loop: Header=BB318_271 Depth=1
	v_ffbh_u32_e32 v19, v9
	v_min_u32_e32 v19, 32, v19
	v_subrev_nc_u32_e32 v20, 28, v19
	v_sub_nc_u32_e32 v19, 29, v19
	v_lshlrev_b64 v[50:51], v20, v[9:10]
	v_and_b32_e32 v9, 7, v50
; %bb.360:                              ;   in Loop: Header=BB318_271 Depth=1
	s_or_b32 exec_lo, exec_lo, s23
	v_lshlrev_b32_sdwa v20, v36, v17 dst_sel:DWORD dst_unused:UNUSED_PAD src0_sel:DWORD src1_sel:BYTE_3
	v_lshlrev_b32_e32 v9, 20, v9
	v_lshl_add_u32 v19, v19, 23, 0x3c000000
	v_and_b32_e32 v20, 0x80000000, v20
	v_or3_b32 v50, v9, v20, v19
.LBB318_361:                            ;   in Loop: Header=BB318_271 Depth=1
	s_or_b32 exec_lo, exec_lo, s22
.LBB318_362:                            ;   in Loop: Header=BB318_271 Depth=1
	s_or_b32 exec_lo, exec_lo, s19
.LBB318_363:                            ;   in Loop: Header=BB318_271 Depth=1
	s_or_b32 exec_lo, exec_lo, s18
	v_mov_b32_e32 v9, v18
	v_cmp_ne_u16_sdwa s1, v18, v10 src0_sel:BYTE_0 src1_sel:DWORD
	v_mov_b32_e32 v19, 0
	v_mov_b32_e32 v51, 0
	s_and_saveexec_b32 s18, s1
	s_cbranch_execz .LBB318_369
; %bb.364:                              ;   in Loop: Header=BB318_271 Depth=1
	v_cmp_ne_u16_sdwa s1, v18, v32 src0_sel:BYTE_0 src1_sel:DWORD
	v_bfrev_b32_e32 v51, 1
	s_and_saveexec_b32 s19, s1
	s_cbranch_execz .LBB318_368
; %bb.365:                              ;   in Loop: Header=BB318_271 Depth=1
	v_and_b32_e32 v20, 0x7f, v18
	v_mov_b32_e32 v51, 0x7f800001
	s_mov_b32 s22, exec_lo
	v_cmpx_ne_u32_e32 0x7f, v20
	s_cbranch_execz .LBB318_367
; %bb.366:                              ;   in Loop: Header=BB318_271 Depth=1
	v_and_b32_e32 v51, 7, v18
	v_lshrrev_b32_e32 v52, 3, v20
	v_cmp_gt_u32_e64 s1, 8, v20
	v_ffbh_u32_e32 v51, v51
	v_min_u32_e32 v51, 32, v51
	v_subrev_nc_u32_e32 v53, 28, v51
	v_sub_nc_u32_e32 v51, 29, v51
	v_cndmask_b32_e64 v20, v52, v51, s1
	v_cndmask_b32_e64 v51, 0, v53, s1
	v_lshl_add_u32 v20, v20, 23, 0x3c000000
	v_lshlrev_b64 v[51:52], v51, v[9:10]
	v_lshlrev_b32_e32 v52, 24, v9
	v_lshlrev_b32_e32 v51, 20, v51
	v_and_b32_e32 v52, 0x80000000, v52
	v_and_b32_e32 v51, 0x700000, v51
	v_or3_b32 v51, v51, v52, v20
.LBB318_367:                            ;   in Loop: Header=BB318_271 Depth=1
	s_or_b32 exec_lo, exec_lo, s22
.LBB318_368:                            ;   in Loop: Header=BB318_271 Depth=1
	s_or_b32 exec_lo, exec_lo, s19
.LBB318_369:                            ;   in Loop: Header=BB318_271 Depth=1
	s_or_b32 exec_lo, exec_lo, s18
	v_cmp_ne_u16_sdwa s1, v9, v10 src0_sel:BYTE_1 src1_sel:DWORD
	s_and_saveexec_b32 s18, s1
	s_cbranch_execz .LBB318_377
; %bb.370:                              ;   in Loop: Header=BB318_271 Depth=1
	v_cmp_ne_u16_sdwa s1, v9, v32 src0_sel:BYTE_1 src1_sel:DWORD
	v_bfrev_b32_e32 v19, 1
	s_and_saveexec_b32 s19, s1
	s_cbranch_execz .LBB318_376
; %bb.371:                              ;   in Loop: Header=BB318_271 Depth=1
	v_and_b32_sdwa v20, v33, v9 dst_sel:DWORD dst_unused:UNUSED_PAD src0_sel:DWORD src1_sel:BYTE_1
	v_mov_b32_e32 v19, 0x7f800001
	s_mov_b32 s22, exec_lo
	v_and_b32_e32 v53, 0x7f, v20
	v_cmpx_ne_u32_e32 0x7f, v53
	s_cbranch_execz .LBB318_375
; %bb.372:                              ;   in Loop: Header=BB318_271 Depth=1
	v_and_b32_e32 v19, 7, v20
	v_mov_b32_e32 v20, v10
	v_lshrrev_b32_e32 v52, 3, v53
	s_mov_b32 s23, exec_lo
	v_cmpx_gt_u32_e32 8, v53
; %bb.373:                              ;   in Loop: Header=BB318_271 Depth=1
	v_ffbh_u32_e32 v52, v19
	v_min_u32_e32 v52, 32, v52
	v_subrev_nc_u32_e32 v53, 28, v52
	v_sub_nc_u32_e32 v52, 29, v52
	v_lshlrev_b64 v[19:20], v53, v[19:20]
	v_and_b32_e32 v19, 7, v19
; %bb.374:                              ;   in Loop: Header=BB318_271 Depth=1
	s_or_b32 exec_lo, exec_lo, s23
	v_lshlrev_b32_e32 v9, 16, v9
	v_lshlrev_b32_e32 v19, 20, v19
	v_lshl_add_u32 v20, v52, 23, 0x3c000000
	v_and_b32_e32 v9, 0x80000000, v9
	v_or3_b32 v19, v19, v9, v20
.LBB318_375:                            ;   in Loop: Header=BB318_271 Depth=1
	s_or_b32 exec_lo, exec_lo, s22
.LBB318_376:                            ;   in Loop: Header=BB318_271 Depth=1
	s_or_b32 exec_lo, exec_lo, s19
.LBB318_377:                            ;   in Loop: Header=BB318_271 Depth=1
	s_or_b32 exec_lo, exec_lo, s18
	v_and_b32_sdwa v9, v18, v34 dst_sel:DWORD dst_unused:UNUSED_PAD src0_sel:WORD_1 src1_sel:DWORD
	v_mov_b32_e32 v52, 0
	v_mov_b32_e32 v53, 0
	s_mov_b32 s18, exec_lo
	v_cmpx_ne_u16_e32 0, v9
	s_cbranch_execz .LBB318_385
; %bb.378:                              ;   in Loop: Header=BB318_271 Depth=1
	v_bfrev_b32_e32 v53, 1
	s_mov_b32 s19, exec_lo
	v_cmpx_ne_u16_e32 0x80, v9
	s_cbranch_execz .LBB318_384
; %bb.379:                              ;   in Loop: Header=BB318_271 Depth=1
	v_bfe_u32 v54, v18, 16, 7
	v_mov_b32_e32 v53, 0x7f800001
	s_mov_b32 s22, exec_lo
	v_cmpx_ne_u32_e32 0x7f, v54
	s_cbranch_execz .LBB318_383
; %bb.380:                              ;   in Loop: Header=BB318_271 Depth=1
	v_and_b32_sdwa v9, v18, v35 dst_sel:DWORD dst_unused:UNUSED_PAD src0_sel:WORD_1 src1_sel:DWORD
	v_lshrrev_b32_e32 v20, 3, v54
	s_mov_b32 s23, exec_lo
	v_cmpx_gt_u32_e32 8, v54
; %bb.381:                              ;   in Loop: Header=BB318_271 Depth=1
	v_ffbh_u32_e32 v20, v9
	v_min_u32_e32 v20, 32, v20
	v_subrev_nc_u32_e32 v53, 28, v20
	v_sub_nc_u32_e32 v20, 29, v20
	v_lshlrev_b64 v[53:54], v53, v[9:10]
	v_and_b32_e32 v9, 7, v53
; %bb.382:                              ;   in Loop: Header=BB318_271 Depth=1
	s_or_b32 exec_lo, exec_lo, s23
	v_lshlrev_b32_sdwa v53, v36, v18 dst_sel:DWORD dst_unused:UNUSED_PAD src0_sel:DWORD src1_sel:WORD_1
	v_lshlrev_b32_e32 v9, 20, v9
	v_lshl_add_u32 v20, v20, 23, 0x3c000000
	v_and_b32_e32 v53, 0x80000000, v53
	v_or3_b32 v53, v9, v53, v20
.LBB318_383:                            ;   in Loop: Header=BB318_271 Depth=1
	s_or_b32 exec_lo, exec_lo, s22
.LBB318_384:                            ;   in Loop: Header=BB318_271 Depth=1
	s_or_b32 exec_lo, exec_lo, s19
.LBB318_385:                            ;   in Loop: Header=BB318_271 Depth=1
	s_or_b32 exec_lo, exec_lo, s18
	s_mov_b32 s18, exec_lo
	v_cmpx_lt_u64_e64 s[4:5], v[17:18]
	s_cbranch_execz .LBB318_393
; %bb.386:                              ;   in Loop: Header=BB318_271 Depth=1
	v_cmp_ne_u32_sdwa s1, v18, v32 src0_sel:BYTE_3 src1_sel:DWORD
	v_bfrev_b32_e32 v52, 1
	s_and_saveexec_b32 s19, s1
	s_cbranch_execz .LBB318_392
; %bb.387:                              ;   in Loop: Header=BB318_271 Depth=1
	v_bfe_u32 v20, v18, 24, 7
	v_mov_b32_e32 v52, 0x7f800001
	s_mov_b32 s22, exec_lo
	v_cmpx_ne_u32_e32 0x7f, v20
	s_cbranch_execz .LBB318_391
; %bb.388:                              ;   in Loop: Header=BB318_271 Depth=1
	v_and_b32_sdwa v9, v18, v35 dst_sel:DWORD dst_unused:UNUSED_PAD src0_sel:BYTE_3 src1_sel:DWORD
	v_lshrrev_b32_e32 v17, 3, v20
	s_mov_b32 s23, exec_lo
	v_cmpx_gt_u32_e32 8, v20
; %bb.389:                              ;   in Loop: Header=BB318_271 Depth=1
	v_ffbh_u32_e32 v17, v9
	v_min_u32_e32 v17, 32, v17
	v_subrev_nc_u32_e32 v20, 28, v17
	v_sub_nc_u32_e32 v17, 29, v17
	v_lshlrev_b64 v[54:55], v20, v[9:10]
	v_and_b32_e32 v9, 7, v54
; %bb.390:                              ;   in Loop: Header=BB318_271 Depth=1
	s_or_b32 exec_lo, exec_lo, s23
	v_lshlrev_b32_sdwa v18, v36, v18 dst_sel:DWORD dst_unused:UNUSED_PAD src0_sel:DWORD src1_sel:BYTE_3
	v_lshlrev_b32_e32 v9, 20, v9
	v_lshl_add_u32 v17, v17, 23, 0x3c000000
	v_and_b32_e32 v18, 0x80000000, v18
	v_or3_b32 v52, v9, v18, v17
.LBB318_391:                            ;   in Loop: Header=BB318_271 Depth=1
	s_or_b32 exec_lo, exec_lo, s22
.LBB318_392:                            ;   in Loop: Header=BB318_271 Depth=1
	s_or_b32 exec_lo, exec_lo, s19
.LBB318_393:                            ;   in Loop: Header=BB318_271 Depth=1
	s_or_b32 exec_lo, exec_lo, s18
	v_mul_f32_e32 v9, s16, v19
	v_mul_f32_e32 v17, s16, v51
	;; [unrolled: 1-line block ×5, first 2 shown]
	v_bfe_u32 v19, v9, 16, 1
	v_or_b32_e32 v20, 0x400000, v9
	v_bfe_u32 v50, v17, 16, 1
	v_cmp_u_f32_e64 s1, v9, v9
	v_or_b32_e32 v51, 0x400000, v17
	v_add3_u32 v19, v19, v9, 0x7fff
	v_bfe_u32 v54, v18, 16, 1
	v_add3_u32 v50, v50, v17, 0x7fff
	v_or_b32_e32 v55, 0x400000, v18
	v_bfe_u32 v56, v49, 16, 1
	v_cndmask_b32_e64 v9, v19, v20, s1
	v_cmp_u_f32_e64 s1, v17, v17
	v_add3_u32 v54, v54, v18, 0x7fff
	v_lshrrev_b32_e32 v20, 16, v9
	v_cndmask_b32_e64 v17, v50, v51, s1
	v_cmp_u_f32_e64 s1, v18, v18
	v_mul_f32_e32 v9, s16, v48
	v_add3_u32 v50, v56, v49, 0x7fff
	v_or_b32_e32 v51, 0x400000, v49
	v_lshrrev_b32_e32 v19, 16, v17
	v_cndmask_b32_e64 v18, v54, v55, s1
	v_bfe_u32 v17, v9, 16, 1
	v_cmp_u_f32_e64 s1, v49, v49
	v_mul_f32_e32 v49, s16, v53
	v_lshrrev_b32_e32 v48, 16, v18
	v_add3_u32 v17, v17, v9, 0x7fff
	v_cndmask_b32_e64 v18, v50, v51, s1
	v_or_b32_e32 v50, 0x400000, v9
	v_mul_f32_e32 v51, s16, v52
	v_bfe_u32 v52, v47, 16, 1
	v_cmp_u_f32_e64 s1, v9, v9
	v_bfe_u32 v53, v49, 16, 1
	v_or_b32_e32 v54, 0x400000, v49
	v_or_b32_e32 v55, 0x400000, v51
	v_cndmask_b32_e64 v9, v17, v50, s1
	v_add3_u32 v50, v52, v47, 0x7fff
	v_or_b32_e32 v52, 0x400000, v47
	v_cmp_u_f32_e64 s1, v47, v47
	v_bfe_u32 v17, v51, 16, 1
	v_add3_u32 v53, v53, v49, 0x7fff
	v_cndmask_b32_e64 v47, v50, v52, s1
	v_cmp_u_f32_e64 s1, v49, v49
	v_add3_u32 v17, v17, v51, 0x7fff
	v_lshrrev_b32_e32 v50, 16, v18
	v_lshrrev_b32_e32 v52, 16, v9
	v_cndmask_b32_e64 v49, v53, v54, s1
	v_cmp_u_f32_e64 s1, v51, v51
	v_lshrrev_b32_e32 v51, 16, v47
	v_lshrrev_b32_e32 v47, 16, v49
	v_cndmask_b32_e64 v17, v17, v55, s1
	v_lshrrev_b32_e32 v49, 16, v17
	s_and_saveexec_b32 s18, s0
	s_cbranch_execz .LBB318_395
; %bb.394:                              ;   in Loop: Header=BB318_271 Depth=1
	v_add_nc_u32_e32 v9, -6, v30
	v_cmp_gt_i32_e64 s1, s11, v46
	v_add_nc_u32_e32 v17, -5, v30
	v_add_nc_u32_e32 v18, -2, v30
	v_cndmask_b32_e64 v51, 0, v51, s1
	v_cmp_gt_i32_e64 s1, s11, v9
	v_add_nc_u32_e32 v9, -4, v30
	v_cndmask_b32_e64 v52, 0, v52, s1
	v_cmp_gt_i32_e64 s1, s11, v17
	;; [unrolled: 3-line block ×4, first 2 shown]
	v_cndmask_b32_e64 v19, 0, v19, s1
	v_cmp_gt_i32_e64 s1, s11, v18
	v_cndmask_b32_e64 v20, 0, v20, s1
	v_cmp_gt_i32_e64 s1, s11, v9
	;; [unrolled: 2-line block ×3, first 2 shown]
	v_cndmask_b32_e64 v49, 0, v49, s1
.LBB318_395:                            ;   in Loop: Header=BB318_271 Depth=1
	s_or_b32 exec_lo, exec_lo, s18
	global_load_dwordx2 v[15:16], v[15:16], off offset:512
	v_mov_b32_e32 v53, 0
	v_mov_b32_e32 v54, 0
	s_waitcnt vmcnt(0)
	v_cmp_ne_u16_sdwa s1, v15, v10 src0_sel:BYTE_0 src1_sel:DWORD
	s_and_saveexec_b32 s18, s1
	s_cbranch_execz .LBB318_401
; %bb.396:                              ;   in Loop: Header=BB318_271 Depth=1
	v_cmp_ne_u16_sdwa s1, v15, v32 src0_sel:BYTE_0 src1_sel:DWORD
	v_bfrev_b32_e32 v54, 1
	s_and_saveexec_b32 s19, s1
	s_cbranch_execz .LBB318_400
; %bb.397:                              ;   in Loop: Header=BB318_271 Depth=1
	v_and_b32_e32 v9, 0x7f, v15
	v_mov_b32_e32 v54, 0x7f800001
	s_mov_b32 s22, exec_lo
	v_cmpx_ne_u32_e32 0x7f, v9
	s_cbranch_execz .LBB318_399
; %bb.398:                              ;   in Loop: Header=BB318_271 Depth=1
	v_and_b32_e32 v17, 7, v15
	v_lshrrev_b32_e32 v18, 3, v9
	v_cmp_gt_u32_e64 s1, 8, v9
	v_ffbh_u32_e32 v17, v17
	v_min_u32_e32 v17, 32, v17
	v_subrev_nc_u32_e32 v54, 28, v17
	v_sub_nc_u32_e32 v17, 29, v17
	v_cndmask_b32_e64 v9, v18, v17, s1
	v_cndmask_b32_e64 v17, 0, v54, s1
	v_lshl_add_u32 v9, v9, 23, 0x3c000000
	v_lshlrev_b64 v[17:18], v17, v[15:16]
	v_lshlrev_b32_e32 v18, 24, v15
	v_lshlrev_b32_e32 v17, 20, v17
	v_and_b32_e32 v18, 0x80000000, v18
	v_and_b32_e32 v17, 0x700000, v17
	v_or3_b32 v54, v17, v18, v9
.LBB318_399:                            ;   in Loop: Header=BB318_271 Depth=1
	s_or_b32 exec_lo, exec_lo, s22
.LBB318_400:                            ;   in Loop: Header=BB318_271 Depth=1
	s_or_b32 exec_lo, exec_lo, s19
.LBB318_401:                            ;   in Loop: Header=BB318_271 Depth=1
	s_or_b32 exec_lo, exec_lo, s18
	v_cmp_ne_u16_sdwa s1, v15, v10 src0_sel:BYTE_1 src1_sel:DWORD
	s_and_saveexec_b32 s18, s1
	s_cbranch_execz .LBB318_409
; %bb.402:                              ;   in Loop: Header=BB318_271 Depth=1
	v_cmp_ne_u16_sdwa s1, v15, v32 src0_sel:BYTE_1 src1_sel:DWORD
	v_bfrev_b32_e32 v53, 1
	s_and_saveexec_b32 s19, s1
	s_cbranch_execz .LBB318_408
; %bb.403:                              ;   in Loop: Header=BB318_271 Depth=1
	v_and_b32_sdwa v9, v33, v15 dst_sel:DWORD dst_unused:UNUSED_PAD src0_sel:DWORD src1_sel:BYTE_1
	v_mov_b32_e32 v53, 0x7f800001
	s_mov_b32 s22, exec_lo
	v_and_b32_e32 v18, 0x7f, v9
	v_cmpx_ne_u32_e32 0x7f, v18
	s_cbranch_execz .LBB318_407
; %bb.404:                              ;   in Loop: Header=BB318_271 Depth=1
	v_and_b32_e32 v9, 7, v9
	v_lshrrev_b32_e32 v17, 3, v18
	s_mov_b32 s23, exec_lo
	v_cmpx_gt_u32_e32 8, v18
; %bb.405:                              ;   in Loop: Header=BB318_271 Depth=1
	v_ffbh_u32_e32 v17, v9
	v_min_u32_e32 v17, 32, v17
	v_subrev_nc_u32_e32 v18, 28, v17
	v_sub_nc_u32_e32 v17, 29, v17
	v_lshlrev_b64 v[55:56], v18, v[9:10]
	v_and_b32_e32 v9, 7, v55
; %bb.406:                              ;   in Loop: Header=BB318_271 Depth=1
	s_or_b32 exec_lo, exec_lo, s23
	v_lshlrev_b32_e32 v18, 16, v15
	v_lshlrev_b32_e32 v9, 20, v9
	v_lshl_add_u32 v17, v17, 23, 0x3c000000
	v_and_b32_e32 v18, 0x80000000, v18
	v_or3_b32 v53, v9, v18, v17
.LBB318_407:                            ;   in Loop: Header=BB318_271 Depth=1
	s_or_b32 exec_lo, exec_lo, s22
.LBB318_408:                            ;   in Loop: Header=BB318_271 Depth=1
	s_or_b32 exec_lo, exec_lo, s19
.LBB318_409:                            ;   in Loop: Header=BB318_271 Depth=1
	s_or_b32 exec_lo, exec_lo, s18
	v_and_b32_sdwa v9, v15, v34 dst_sel:DWORD dst_unused:UNUSED_PAD src0_sel:WORD_1 src1_sel:DWORD
	v_mov_b32_e32 v56, 0
	v_mov_b32_e32 v55, 0
	s_mov_b32 s18, exec_lo
	v_cmpx_ne_u16_e32 0, v9
	s_cbranch_execz .LBB318_417
; %bb.410:                              ;   in Loop: Header=BB318_271 Depth=1
	v_bfrev_b32_e32 v55, 1
	s_mov_b32 s19, exec_lo
	v_cmpx_ne_u16_e32 0x80, v9
	s_cbranch_execz .LBB318_416
; %bb.411:                              ;   in Loop: Header=BB318_271 Depth=1
	v_bfe_u32 v18, v15, 16, 7
	v_mov_b32_e32 v55, 0x7f800001
	s_mov_b32 s22, exec_lo
	v_cmpx_ne_u32_e32 0x7f, v18
	s_cbranch_execz .LBB318_415
; %bb.412:                              ;   in Loop: Header=BB318_271 Depth=1
	v_and_b32_sdwa v9, v15, v35 dst_sel:DWORD dst_unused:UNUSED_PAD src0_sel:WORD_1 src1_sel:DWORD
	v_lshrrev_b32_e32 v17, 3, v18
	s_mov_b32 s23, exec_lo
	v_cmpx_gt_u32_e32 8, v18
; %bb.413:                              ;   in Loop: Header=BB318_271 Depth=1
	v_ffbh_u32_e32 v17, v9
	v_min_u32_e32 v17, 32, v17
	v_subrev_nc_u32_e32 v18, 28, v17
	v_sub_nc_u32_e32 v17, 29, v17
	v_lshlrev_b64 v[57:58], v18, v[9:10]
	v_and_b32_e32 v9, 7, v57
; %bb.414:                              ;   in Loop: Header=BB318_271 Depth=1
	s_or_b32 exec_lo, exec_lo, s23
	v_lshlrev_b32_sdwa v18, v36, v15 dst_sel:DWORD dst_unused:UNUSED_PAD src0_sel:DWORD src1_sel:WORD_1
	v_lshlrev_b32_e32 v9, 20, v9
	v_lshl_add_u32 v17, v17, 23, 0x3c000000
	v_and_b32_e32 v18, 0x80000000, v18
	v_or3_b32 v55, v9, v18, v17
.LBB318_415:                            ;   in Loop: Header=BB318_271 Depth=1
	s_or_b32 exec_lo, exec_lo, s22
.LBB318_416:                            ;   in Loop: Header=BB318_271 Depth=1
	s_or_b32 exec_lo, exec_lo, s19
.LBB318_417:                            ;   in Loop: Header=BB318_271 Depth=1
	s_or_b32 exec_lo, exec_lo, s18
	s_mov_b32 s18, exec_lo
	v_cmpx_lt_u32_e32 0xffffff, v15
	s_cbranch_execz .LBB318_425
; %bb.418:                              ;   in Loop: Header=BB318_271 Depth=1
	v_cmp_ne_u32_sdwa s1, v15, v32 src0_sel:BYTE_3 src1_sel:DWORD
	v_bfrev_b32_e32 v56, 1
	s_and_saveexec_b32 s19, s1
	s_cbranch_execz .LBB318_424
; %bb.419:                              ;   in Loop: Header=BB318_271 Depth=1
	v_bfe_u32 v18, v15, 24, 7
	v_mov_b32_e32 v56, 0x7f800001
	s_mov_b32 s22, exec_lo
	v_cmpx_ne_u32_e32 0x7f, v18
	s_cbranch_execz .LBB318_423
; %bb.420:                              ;   in Loop: Header=BB318_271 Depth=1
	v_and_b32_sdwa v9, v15, v35 dst_sel:DWORD dst_unused:UNUSED_PAD src0_sel:BYTE_3 src1_sel:DWORD
	v_lshrrev_b32_e32 v17, 3, v18
	s_mov_b32 s23, exec_lo
	v_cmpx_gt_u32_e32 8, v18
; %bb.421:                              ;   in Loop: Header=BB318_271 Depth=1
	v_ffbh_u32_e32 v17, v9
	v_min_u32_e32 v17, 32, v17
	v_subrev_nc_u32_e32 v18, 28, v17
	v_sub_nc_u32_e32 v17, 29, v17
	v_lshlrev_b64 v[56:57], v18, v[9:10]
	v_and_b32_e32 v9, 7, v56
; %bb.422:                              ;   in Loop: Header=BB318_271 Depth=1
	s_or_b32 exec_lo, exec_lo, s23
	v_lshlrev_b32_sdwa v18, v36, v15 dst_sel:DWORD dst_unused:UNUSED_PAD src0_sel:DWORD src1_sel:BYTE_3
	v_lshlrev_b32_e32 v9, 20, v9
	v_lshl_add_u32 v17, v17, 23, 0x3c000000
	v_and_b32_e32 v18, 0x80000000, v18
	v_or3_b32 v56, v9, v18, v17
.LBB318_423:                            ;   in Loop: Header=BB318_271 Depth=1
	s_or_b32 exec_lo, exec_lo, s22
.LBB318_424:                            ;   in Loop: Header=BB318_271 Depth=1
	s_or_b32 exec_lo, exec_lo, s19
.LBB318_425:                            ;   in Loop: Header=BB318_271 Depth=1
	s_or_b32 exec_lo, exec_lo, s18
	v_mov_b32_e32 v9, v16
	v_cmp_ne_u16_sdwa s1, v16, v10 src0_sel:BYTE_0 src1_sel:DWORD
	v_mov_b32_e32 v17, 0
	v_mov_b32_e32 v57, 0
	s_and_saveexec_b32 s18, s1
	s_cbranch_execz .LBB318_431
; %bb.426:                              ;   in Loop: Header=BB318_271 Depth=1
	v_cmp_ne_u16_sdwa s1, v16, v32 src0_sel:BYTE_0 src1_sel:DWORD
	v_bfrev_b32_e32 v57, 1
	s_and_saveexec_b32 s19, s1
	s_cbranch_execz .LBB318_430
; %bb.427:                              ;   in Loop: Header=BB318_271 Depth=1
	v_and_b32_e32 v18, 0x7f, v16
	v_mov_b32_e32 v57, 0x7f800001
	s_mov_b32 s22, exec_lo
	v_cmpx_ne_u32_e32 0x7f, v18
	s_cbranch_execz .LBB318_429
; %bb.428:                              ;   in Loop: Header=BB318_271 Depth=1
	v_and_b32_e32 v57, 7, v16
	v_lshrrev_b32_e32 v58, 3, v18
	v_cmp_gt_u32_e64 s1, 8, v18
	v_ffbh_u32_e32 v57, v57
	v_min_u32_e32 v57, 32, v57
	v_subrev_nc_u32_e32 v59, 28, v57
	v_sub_nc_u32_e32 v57, 29, v57
	v_cndmask_b32_e64 v18, v58, v57, s1
	v_cndmask_b32_e64 v57, 0, v59, s1
	v_lshl_add_u32 v18, v18, 23, 0x3c000000
	v_lshlrev_b64 v[57:58], v57, v[9:10]
	v_lshlrev_b32_e32 v58, 24, v9
	v_lshlrev_b32_e32 v57, 20, v57
	v_and_b32_e32 v58, 0x80000000, v58
	v_and_b32_e32 v57, 0x700000, v57
	v_or3_b32 v57, v57, v58, v18
.LBB318_429:                            ;   in Loop: Header=BB318_271 Depth=1
	s_or_b32 exec_lo, exec_lo, s22
.LBB318_430:                            ;   in Loop: Header=BB318_271 Depth=1
	s_or_b32 exec_lo, exec_lo, s19
.LBB318_431:                            ;   in Loop: Header=BB318_271 Depth=1
	s_or_b32 exec_lo, exec_lo, s18
	v_cmp_ne_u16_sdwa s1, v9, v10 src0_sel:BYTE_1 src1_sel:DWORD
	s_and_saveexec_b32 s18, s1
	s_cbranch_execz .LBB318_439
; %bb.432:                              ;   in Loop: Header=BB318_271 Depth=1
	v_cmp_ne_u16_sdwa s1, v9, v32 src0_sel:BYTE_1 src1_sel:DWORD
	v_bfrev_b32_e32 v17, 1
	s_and_saveexec_b32 s19, s1
	s_cbranch_execz .LBB318_438
; %bb.433:                              ;   in Loop: Header=BB318_271 Depth=1
	v_and_b32_sdwa v18, v33, v9 dst_sel:DWORD dst_unused:UNUSED_PAD src0_sel:DWORD src1_sel:BYTE_1
	v_mov_b32_e32 v17, 0x7f800001
	s_mov_b32 s22, exec_lo
	v_and_b32_e32 v59, 0x7f, v18
	v_cmpx_ne_u32_e32 0x7f, v59
	s_cbranch_execz .LBB318_437
; %bb.434:                              ;   in Loop: Header=BB318_271 Depth=1
	v_and_b32_e32 v17, 7, v18
	v_mov_b32_e32 v18, v10
	v_lshrrev_b32_e32 v58, 3, v59
	s_mov_b32 s23, exec_lo
	v_cmpx_gt_u32_e32 8, v59
; %bb.435:                              ;   in Loop: Header=BB318_271 Depth=1
	v_ffbh_u32_e32 v58, v17
	v_min_u32_e32 v58, 32, v58
	v_subrev_nc_u32_e32 v59, 28, v58
	v_sub_nc_u32_e32 v58, 29, v58
	v_lshlrev_b64 v[17:18], v59, v[17:18]
	v_and_b32_e32 v17, 7, v17
; %bb.436:                              ;   in Loop: Header=BB318_271 Depth=1
	s_or_b32 exec_lo, exec_lo, s23
	v_lshlrev_b32_e32 v9, 16, v9
	v_lshlrev_b32_e32 v17, 20, v17
	v_lshl_add_u32 v18, v58, 23, 0x3c000000
	v_and_b32_e32 v9, 0x80000000, v9
	v_or3_b32 v17, v17, v9, v18
.LBB318_437:                            ;   in Loop: Header=BB318_271 Depth=1
	s_or_b32 exec_lo, exec_lo, s22
.LBB318_438:                            ;   in Loop: Header=BB318_271 Depth=1
	s_or_b32 exec_lo, exec_lo, s19
.LBB318_439:                            ;   in Loop: Header=BB318_271 Depth=1
	s_or_b32 exec_lo, exec_lo, s18
	v_and_b32_sdwa v9, v16, v34 dst_sel:DWORD dst_unused:UNUSED_PAD src0_sel:WORD_1 src1_sel:DWORD
	v_mov_b32_e32 v18, 0
	v_mov_b32_e32 v58, 0
	s_mov_b32 s18, exec_lo
	v_cmpx_ne_u16_e32 0, v9
	s_cbranch_execz .LBB318_447
; %bb.440:                              ;   in Loop: Header=BB318_271 Depth=1
	v_bfrev_b32_e32 v58, 1
	s_mov_b32 s19, exec_lo
	v_cmpx_ne_u16_e32 0x80, v9
	s_cbranch_execz .LBB318_446
; %bb.441:                              ;   in Loop: Header=BB318_271 Depth=1
	v_bfe_u32 v59, v16, 16, 7
	v_mov_b32_e32 v58, 0x7f800001
	s_mov_b32 s22, exec_lo
	v_cmpx_ne_u32_e32 0x7f, v59
	s_cbranch_execz .LBB318_445
; %bb.442:                              ;   in Loop: Header=BB318_271 Depth=1
	v_and_b32_sdwa v9, v16, v35 dst_sel:DWORD dst_unused:UNUSED_PAD src0_sel:WORD_1 src1_sel:DWORD
	v_lshrrev_b32_e32 v58, 3, v59
	s_mov_b32 s23, exec_lo
	v_cmpx_gt_u32_e32 8, v59
; %bb.443:                              ;   in Loop: Header=BB318_271 Depth=1
	v_ffbh_u32_e32 v58, v9
	v_min_u32_e32 v58, 32, v58
	v_subrev_nc_u32_e32 v59, 28, v58
	v_sub_nc_u32_e32 v58, 29, v58
	v_lshlrev_b64 v[59:60], v59, v[9:10]
	v_and_b32_e32 v9, 7, v59
; %bb.444:                              ;   in Loop: Header=BB318_271 Depth=1
	s_or_b32 exec_lo, exec_lo, s23
	v_lshlrev_b32_sdwa v59, v36, v16 dst_sel:DWORD dst_unused:UNUSED_PAD src0_sel:DWORD src1_sel:WORD_1
	v_lshlrev_b32_e32 v9, 20, v9
	v_lshl_add_u32 v58, v58, 23, 0x3c000000
	v_and_b32_e32 v59, 0x80000000, v59
	v_or3_b32 v58, v9, v59, v58
.LBB318_445:                            ;   in Loop: Header=BB318_271 Depth=1
	s_or_b32 exec_lo, exec_lo, s22
.LBB318_446:                            ;   in Loop: Header=BB318_271 Depth=1
	s_or_b32 exec_lo, exec_lo, s19
.LBB318_447:                            ;   in Loop: Header=BB318_271 Depth=1
	s_or_b32 exec_lo, exec_lo, s18
	s_mov_b32 s18, exec_lo
	v_cmpx_lt_u64_e64 s[4:5], v[15:16]
	s_cbranch_execz .LBB318_455
; %bb.448:                              ;   in Loop: Header=BB318_271 Depth=1
	v_cmp_ne_u32_sdwa s1, v16, v32 src0_sel:BYTE_3 src1_sel:DWORD
	v_bfrev_b32_e32 v18, 1
	s_and_saveexec_b32 s19, s1
	s_cbranch_execz .LBB318_454
; %bb.449:                              ;   in Loop: Header=BB318_271 Depth=1
	v_bfe_u32 v59, v16, 24, 7
	v_mov_b32_e32 v18, 0x7f800001
	s_mov_b32 s22, exec_lo
	v_cmpx_ne_u32_e32 0x7f, v59
	s_cbranch_execz .LBB318_453
; %bb.450:                              ;   in Loop: Header=BB318_271 Depth=1
	v_and_b32_sdwa v9, v16, v35 dst_sel:DWORD dst_unused:UNUSED_PAD src0_sel:BYTE_3 src1_sel:DWORD
	v_lshrrev_b32_e32 v15, 3, v59
	s_mov_b32 s23, exec_lo
	v_cmpx_gt_u32_e32 8, v59
; %bb.451:                              ;   in Loop: Header=BB318_271 Depth=1
	v_ffbh_u32_e32 v15, v9
	v_min_u32_e32 v15, 32, v15
	v_subrev_nc_u32_e32 v18, 28, v15
	v_sub_nc_u32_e32 v15, 29, v15
	v_lshlrev_b64 v[59:60], v18, v[9:10]
	v_and_b32_e32 v9, 7, v59
; %bb.452:                              ;   in Loop: Header=BB318_271 Depth=1
	s_or_b32 exec_lo, exec_lo, s23
	v_lshlrev_b32_sdwa v16, v36, v16 dst_sel:DWORD dst_unused:UNUSED_PAD src0_sel:DWORD src1_sel:BYTE_3
	v_lshlrev_b32_e32 v9, 20, v9
	v_lshl_add_u32 v15, v15, 23, 0x3c000000
	v_and_b32_e32 v16, 0x80000000, v16
	v_or3_b32 v18, v9, v16, v15
.LBB318_453:                            ;   in Loop: Header=BB318_271 Depth=1
	s_or_b32 exec_lo, exec_lo, s22
.LBB318_454:                            ;   in Loop: Header=BB318_271 Depth=1
	s_or_b32 exec_lo, exec_lo, s19
.LBB318_455:                            ;   in Loop: Header=BB318_271 Depth=1
	s_or_b32 exec_lo, exec_lo, s18
	v_mul_f32_e32 v9, s16, v17
	v_mul_f32_e32 v15, s16, v57
	;; [unrolled: 1-line block ×5, first 2 shown]
	v_bfe_u32 v55, v9, 16, 1
	v_or_b32_e32 v56, 0x400000, v9
	v_bfe_u32 v57, v15, 16, 1
	v_cmp_u_f32_e64 s1, v9, v9
	v_or_b32_e32 v59, 0x400000, v15
	v_add3_u32 v55, v55, v9, 0x7fff
	v_bfe_u32 v60, v16, 16, 1
	v_add3_u32 v57, v57, v15, 0x7fff
	v_or_b32_e32 v61, 0x400000, v16
	v_bfe_u32 v62, v17, 16, 1
	v_cndmask_b32_e64 v9, v55, v56, s1
	v_cmp_u_f32_e64 s1, v15, v15
	v_add3_u32 v60, v60, v16, 0x7fff
	v_mul_f32_e32 v18, s16, v18
	v_add3_u32 v56, v62, v17, 0x7fff
	v_cndmask_b32_e64 v15, v57, v59, s1
	v_cmp_u_f32_e64 s1, v16, v16
	v_lshrrev_b32_e32 v16, 16, v9
	v_mul_f32_e32 v9, s16, v53
	v_or_b32_e32 v57, 0x400000, v17
	v_lshrrev_b32_e32 v15, 16, v15
	v_cndmask_b32_e64 v55, v60, v61, s1
	v_cmp_u_f32_e64 s1, v17, v17
	v_or_b32_e32 v61, 0x400000, v18
	v_lshrrev_b32_e32 v53, 16, v55
	v_bfe_u32 v55, v9, 16, 1
	v_cndmask_b32_e64 v17, v56, v57, s1
	v_mul_f32_e32 v56, s16, v58
	v_or_b32_e32 v57, 0x400000, v9
	v_bfe_u32 v58, v54, 16, 1
	v_add3_u32 v55, v55, v9, 0x7fff
	v_cmp_u_f32_e64 s1, v9, v9
	v_bfe_u32 v59, v56, 16, 1
	v_or_b32_e32 v60, 0x400000, v56
	v_cndmask_b32_e64 v9, v55, v57, s1
	v_add3_u32 v57, v58, v54, 0x7fff
	v_or_b32_e32 v58, 0x400000, v54
	v_cmp_u_f32_e64 s1, v54, v54
	v_bfe_u32 v55, v18, 16, 1
	v_add3_u32 v59, v59, v56, 0x7fff
	v_lshrrev_b32_e32 v54, 16, v17
	v_cndmask_b32_e64 v57, v57, v58, s1
	v_cmp_u_f32_e64 s1, v56, v56
	v_add3_u32 v55, v55, v18, 0x7fff
	v_lshrrev_b32_e32 v56, 16, v9
	v_cndmask_b32_e64 v58, v59, v60, s1
	v_cmp_u_f32_e64 s1, v18, v18
	v_lshrrev_b32_e32 v17, 16, v58
	v_cndmask_b32_e64 v18, v55, v61, s1
	v_lshrrev_b32_e32 v55, 16, v57
	v_lshrrev_b32_e32 v18, 16, v18
	s_and_saveexec_b32 s18, s0
	s_cbranch_execz .LBB318_457
; %bb.456:                              ;   in Loop: Header=BB318_271 Depth=1
	v_add_nc_u32_e32 v9, -6, v30
	v_cmp_gt_i32_e64 s1, s11, v46
	v_add_nc_u32_e32 v57, -5, v30
	v_add_nc_u32_e32 v58, -2, v30
	v_cndmask_b32_e64 v55, 0, v55, s1
	v_cmp_gt_i32_e64 s1, s11, v9
	v_add_nc_u32_e32 v9, -4, v30
	v_cndmask_b32_e64 v56, 0, v56, s1
	v_cmp_gt_i32_e64 s1, s11, v57
	;; [unrolled: 3-line block ×4, first 2 shown]
	v_cndmask_b32_e64 v15, 0, v15, s1
	v_cmp_gt_i32_e64 s1, s11, v58
	v_cndmask_b32_e64 v16, 0, v16, s1
	v_cmp_gt_i32_e64 s1, s11, v9
	;; [unrolled: 2-line block ×3, first 2 shown]
	v_cndmask_b32_e64 v18, 0, v18, s1
.LBB318_457:                            ;   in Loop: Header=BB318_271 Depth=1
	s_or_b32 exec_lo, exec_lo, s18
	v_bfe_u32 v9, v5, 16, 1
	v_bfe_u32 v57, v6, 16, 1
	v_or_b32_e32 v58, 0x400000, v5
	v_cmp_u_f32_e64 s1, v5, v5
	v_or_b32_e32 v59, 0x400000, v6
	v_add3_u32 v9, v9, v5, 0x7fff
	v_bfe_u32 v60, v7, 16, 1
	v_add3_u32 v57, v57, v6, 0x7fff
	v_bfe_u32 v61, v8, 16, 1
	v_cndmask_b32_e64 v5, v9, v58, s1
	v_cmp_u_f32_e64 s1, v6, v6
	v_add3_u32 v9, v60, v7, 0x7fff
	v_bfe_u32 v58, v1, 16, 1
	v_or_b32_e32 v60, 0x400000, v8
	v_cndmask_b32_e64 v6, v57, v59, s1
	v_or_b32_e32 v57, 0x400000, v7
	v_cmp_u_f32_e64 s1, v7, v7
	v_add3_u32 v59, v61, v8, 0x7fff
	v_or_b32_e32 v61, 0x400000, v4
	v_cndmask_b32_e64 v7, v9, v57, s1
	v_cmp_u_f32_e64 s1, v8, v8
	v_add3_u32 v9, v58, v1, 0x7fff
	v_or_b32_e32 v57, 0x400000, v1
	v_bfe_u32 v8, v2, 16, 1
	v_cndmask_b32_e64 v58, v59, v60, s1
	v_cmp_u_f32_e64 s1, v1, v1
	v_bfe_u32 v59, v3, 16, 1
	v_add3_u32 v8, v8, v2, 0x7fff
	v_or_b32_e32 v60, 0x400000, v3
	v_perm_b32 v7, v58, v7, 0x7060302
	v_cndmask_b32_e64 v1, v9, v57, s1
	v_or_b32_e32 v57, 0x400000, v2
	v_cmp_u_f32_e64 s1, v2, v2
	v_bfe_u32 v9, v4, 16, 1
	v_add3_u32 v59, v59, v3, 0x7fff
	v_cndmask_b32_e64 v2, v8, v57, s1
	v_cmp_u_f32_e64 s1, v3, v3
	v_add3_u32 v9, v9, v4, 0x7fff
	v_perm_b32 v8, v6, v5, 0x7060302
	v_perm_b32 v6, v2, v1, 0x7060302
	v_cndmask_b32_e64 v3, v59, v60, s1
	v_cmp_u_f32_e64 s1, v4, v4
	v_cndmask_b32_e64 v4, v9, v61, s1
	v_perm_b32 v5, v4, v3, 0x7060302
	s_and_saveexec_b32 s18, vcc_lo
	s_cbranch_execz .LBB318_270
; %bb.458:                              ;   in Loop: Header=BB318_271 Depth=1
	v_add_co_u32 v1, s1, v13, v29
	v_add_co_ci_u32_e64 v2, null, 0, v14, s1
	v_mov_b32_e32 v14, 0
	v_mov_b32_e32 v13, 0
	global_load_dwordx2 v[1:2], v[1:2], off
	s_waitcnt vmcnt(0)
	v_cmp_ne_u16_sdwa s1, v1, v10 src0_sel:BYTE_0 src1_sel:DWORD
	s_and_saveexec_b32 s19, s1
	s_cbranch_execz .LBB318_464
; %bb.459:                              ;   in Loop: Header=BB318_271 Depth=1
	v_cmp_ne_u16_sdwa s1, v1, v32 src0_sel:BYTE_0 src1_sel:DWORD
	v_bfrev_b32_e32 v13, 1
	s_and_saveexec_b32 s22, s1
	s_cbranch_execz .LBB318_463
; %bb.460:                              ;   in Loop: Header=BB318_271 Depth=1
	v_and_b32_e32 v3, 0x7f, v1
	v_mov_b32_e32 v13, 0x7f800001
	s_mov_b32 s23, exec_lo
	v_cmpx_ne_u32_e32 0x7f, v3
	s_cbranch_execz .LBB318_462
; %bb.461:                              ;   in Loop: Header=BB318_271 Depth=1
	v_and_b32_e32 v4, 7, v1
	v_cmp_gt_u32_e64 s1, 8, v3
	v_lshrrev_b32_e32 v9, 3, v3
	v_ffbh_u32_e32 v4, v4
	v_min_u32_e32 v4, 32, v4
	v_subrev_nc_u32_e32 v13, 28, v4
	v_sub_nc_u32_e32 v4, 29, v4
	v_cndmask_b32_e64 v3, 0, v13, s1
	v_cndmask_b32_e64 v9, v9, v4, s1
	v_lshlrev_b64 v[3:4], v3, v[1:2]
	v_lshlrev_b32_e32 v4, 24, v1
	v_lshl_add_u32 v9, v9, 23, 0x3c000000
	v_lshlrev_b32_e32 v3, 20, v3
	v_and_b32_e32 v4, 0x80000000, v4
	v_and_b32_e32 v3, 0x700000, v3
	v_or3_b32 v13, v3, v4, v9
.LBB318_462:                            ;   in Loop: Header=BB318_271 Depth=1
	s_or_b32 exec_lo, exec_lo, s23
.LBB318_463:                            ;   in Loop: Header=BB318_271 Depth=1
	s_or_b32 exec_lo, exec_lo, s22
.LBB318_464:                            ;   in Loop: Header=BB318_271 Depth=1
	s_or_b32 exec_lo, exec_lo, s19
	v_cmp_ne_u16_sdwa s1, v1, v10 src0_sel:BYTE_1 src1_sel:DWORD
	s_and_saveexec_b32 s19, s1
	s_cbranch_execz .LBB318_472
; %bb.465:                              ;   in Loop: Header=BB318_271 Depth=1
	v_cmp_ne_u16_sdwa s1, v1, v32 src0_sel:BYTE_1 src1_sel:DWORD
	v_bfrev_b32_e32 v14, 1
	s_and_saveexec_b32 s22, s1
	s_cbranch_execz .LBB318_471
; %bb.466:                              ;   in Loop: Header=BB318_271 Depth=1
	v_and_b32_sdwa v3, v33, v1 dst_sel:DWORD dst_unused:UNUSED_PAD src0_sel:DWORD src1_sel:BYTE_1
	v_mov_b32_e32 v14, 0x7f800001
	s_mov_b32 s23, exec_lo
	v_and_b32_e32 v4, 0x7f, v3
	v_cmpx_ne_u32_e32 0x7f, v4
	s_cbranch_execz .LBB318_470
; %bb.467:                              ;   in Loop: Header=BB318_271 Depth=1
	v_and_b32_e32 v9, 7, v3
	v_lshrrev_b32_e32 v3, 3, v4
	s_mov_b32 s24, exec_lo
	v_cmpx_gt_u32_e32 8, v4
; %bb.468:                              ;   in Loop: Header=BB318_271 Depth=1
	v_ffbh_u32_e32 v3, v9
	v_min_u32_e32 v3, 32, v3
	v_subrev_nc_u32_e32 v4, 28, v3
	v_sub_nc_u32_e32 v3, 29, v3
	v_lshlrev_b64 v[57:58], v4, v[9:10]
	v_and_b32_e32 v9, 7, v57
; %bb.469:                              ;   in Loop: Header=BB318_271 Depth=1
	s_or_b32 exec_lo, exec_lo, s24
	v_lshlrev_b32_e32 v4, 16, v1
	v_lshlrev_b32_e32 v9, 20, v9
	v_lshl_add_u32 v3, v3, 23, 0x3c000000
	v_and_b32_e32 v4, 0x80000000, v4
	v_or3_b32 v14, v9, v4, v3
.LBB318_470:                            ;   in Loop: Header=BB318_271 Depth=1
	s_or_b32 exec_lo, exec_lo, s23
.LBB318_471:                            ;   in Loop: Header=BB318_271 Depth=1
	s_or_b32 exec_lo, exec_lo, s22
.LBB318_472:                            ;   in Loop: Header=BB318_271 Depth=1
	s_or_b32 exec_lo, exec_lo, s19
	v_and_b32_sdwa v3, v1, v34 dst_sel:DWORD dst_unused:UNUSED_PAD src0_sel:WORD_1 src1_sel:DWORD
	v_mov_b32_e32 v58, 0
	v_mov_b32_e32 v57, 0
	s_mov_b32 s19, exec_lo
	v_cmpx_ne_u16_e32 0, v3
	s_cbranch_execz .LBB318_480
; %bb.473:                              ;   in Loop: Header=BB318_271 Depth=1
	v_bfrev_b32_e32 v57, 1
	s_mov_b32 s22, exec_lo
	v_cmpx_ne_u16_e32 0x80, v3
	s_cbranch_execz .LBB318_479
; %bb.474:                              ;   in Loop: Header=BB318_271 Depth=1
	v_bfe_u32 v4, v1, 16, 7
	v_mov_b32_e32 v57, 0x7f800001
	s_mov_b32 s23, exec_lo
	v_cmpx_ne_u32_e32 0x7f, v4
	s_cbranch_execz .LBB318_478
; %bb.475:                              ;   in Loop: Header=BB318_271 Depth=1
	v_and_b32_sdwa v9, v1, v35 dst_sel:DWORD dst_unused:UNUSED_PAD src0_sel:WORD_1 src1_sel:DWORD
	v_lshrrev_b32_e32 v3, 3, v4
	s_mov_b32 s24, exec_lo
	v_cmpx_gt_u32_e32 8, v4
; %bb.476:                              ;   in Loop: Header=BB318_271 Depth=1
	v_ffbh_u32_e32 v3, v9
	v_min_u32_e32 v3, 32, v3
	v_subrev_nc_u32_e32 v4, 28, v3
	v_sub_nc_u32_e32 v3, 29, v3
	v_lshlrev_b64 v[59:60], v4, v[9:10]
	v_and_b32_e32 v9, 7, v59
; %bb.477:                              ;   in Loop: Header=BB318_271 Depth=1
	s_or_b32 exec_lo, exec_lo, s24
	v_lshlrev_b32_sdwa v4, v36, v1 dst_sel:DWORD dst_unused:UNUSED_PAD src0_sel:DWORD src1_sel:WORD_1
	v_lshlrev_b32_e32 v9, 20, v9
	v_lshl_add_u32 v3, v3, 23, 0x3c000000
	v_and_b32_e32 v4, 0x80000000, v4
	v_or3_b32 v57, v9, v4, v3
.LBB318_478:                            ;   in Loop: Header=BB318_271 Depth=1
	s_or_b32 exec_lo, exec_lo, s23
.LBB318_479:                            ;   in Loop: Header=BB318_271 Depth=1
	s_or_b32 exec_lo, exec_lo, s22
.LBB318_480:                            ;   in Loop: Header=BB318_271 Depth=1
	s_or_b32 exec_lo, exec_lo, s19
	s_mov_b32 s19, exec_lo
	v_cmpx_lt_u32_e32 0xffffff, v1
	s_cbranch_execz .LBB318_488
; %bb.481:                              ;   in Loop: Header=BB318_271 Depth=1
	v_cmp_ne_u32_sdwa s1, v1, v32 src0_sel:BYTE_3 src1_sel:DWORD
	v_bfrev_b32_e32 v58, 1
	s_and_saveexec_b32 s22, s1
	s_cbranch_execz .LBB318_487
; %bb.482:                              ;   in Loop: Header=BB318_271 Depth=1
	v_bfe_u32 v4, v1, 24, 7
	v_mov_b32_e32 v58, 0x7f800001
	s_mov_b32 s23, exec_lo
	v_cmpx_ne_u32_e32 0x7f, v4
	s_cbranch_execz .LBB318_486
; %bb.483:                              ;   in Loop: Header=BB318_271 Depth=1
	v_and_b32_sdwa v9, v1, v35 dst_sel:DWORD dst_unused:UNUSED_PAD src0_sel:BYTE_3 src1_sel:DWORD
	v_lshrrev_b32_e32 v3, 3, v4
	s_mov_b32 s24, exec_lo
	v_cmpx_gt_u32_e32 8, v4
; %bb.484:                              ;   in Loop: Header=BB318_271 Depth=1
	v_ffbh_u32_e32 v3, v9
	v_min_u32_e32 v3, 32, v3
	v_subrev_nc_u32_e32 v4, 28, v3
	v_sub_nc_u32_e32 v3, 29, v3
	v_lshlrev_b64 v[58:59], v4, v[9:10]
	v_and_b32_e32 v9, 7, v58
; %bb.485:                              ;   in Loop: Header=BB318_271 Depth=1
	s_or_b32 exec_lo, exec_lo, s24
	v_lshlrev_b32_sdwa v4, v36, v1 dst_sel:DWORD dst_unused:UNUSED_PAD src0_sel:DWORD src1_sel:BYTE_3
	v_lshlrev_b32_e32 v9, 20, v9
	v_lshl_add_u32 v3, v3, 23, 0x3c000000
	v_and_b32_e32 v4, 0x80000000, v4
	v_or3_b32 v58, v9, v4, v3
.LBB318_486:                            ;   in Loop: Header=BB318_271 Depth=1
	s_or_b32 exec_lo, exec_lo, s23
.LBB318_487:                            ;   in Loop: Header=BB318_271 Depth=1
	s_or_b32 exec_lo, exec_lo, s22
.LBB318_488:                            ;   in Loop: Header=BB318_271 Depth=1
	s_or_b32 exec_lo, exec_lo, s19
	v_mov_b32_e32 v9, v2
	v_cmp_ne_u16_sdwa s1, v2, v10 src0_sel:BYTE_0 src1_sel:DWORD
	v_mov_b32_e32 v3, 0
	v_mov_b32_e32 v59, 0
	s_and_saveexec_b32 s19, s1
	s_cbranch_execz .LBB318_494
; %bb.489:                              ;   in Loop: Header=BB318_271 Depth=1
	v_cmp_ne_u16_sdwa s1, v2, v32 src0_sel:BYTE_0 src1_sel:DWORD
	v_bfrev_b32_e32 v59, 1
	s_and_saveexec_b32 s22, s1
	s_cbranch_execz .LBB318_493
; %bb.490:                              ;   in Loop: Header=BB318_271 Depth=1
	v_and_b32_e32 v4, 0x7f, v2
	v_mov_b32_e32 v59, 0x7f800001
	s_mov_b32 s23, exec_lo
	v_cmpx_ne_u32_e32 0x7f, v4
	s_cbranch_execz .LBB318_492
; %bb.491:                              ;   in Loop: Header=BB318_271 Depth=1
	v_and_b32_e32 v59, 7, v2
	v_lshrrev_b32_e32 v60, 3, v4
	v_cmp_gt_u32_e64 s1, 8, v4
	v_ffbh_u32_e32 v59, v59
	v_min_u32_e32 v59, 32, v59
	v_subrev_nc_u32_e32 v61, 28, v59
	v_sub_nc_u32_e32 v59, 29, v59
	v_cndmask_b32_e64 v4, v60, v59, s1
	v_cndmask_b32_e64 v59, 0, v61, s1
	v_lshl_add_u32 v4, v4, 23, 0x3c000000
	v_lshlrev_b64 v[59:60], v59, v[9:10]
	v_lshlrev_b32_e32 v60, 24, v9
	v_lshlrev_b32_e32 v59, 20, v59
	v_and_b32_e32 v60, 0x80000000, v60
	v_and_b32_e32 v59, 0x700000, v59
	v_or3_b32 v59, v59, v60, v4
.LBB318_492:                            ;   in Loop: Header=BB318_271 Depth=1
	s_or_b32 exec_lo, exec_lo, s23
.LBB318_493:                            ;   in Loop: Header=BB318_271 Depth=1
	s_or_b32 exec_lo, exec_lo, s22
.LBB318_494:                            ;   in Loop: Header=BB318_271 Depth=1
	s_or_b32 exec_lo, exec_lo, s19
	v_cmp_ne_u16_sdwa s1, v9, v10 src0_sel:BYTE_1 src1_sel:DWORD
	s_and_saveexec_b32 s19, s1
	s_cbranch_execz .LBB318_502
; %bb.495:                              ;   in Loop: Header=BB318_271 Depth=1
	v_cmp_ne_u16_sdwa s1, v9, v32 src0_sel:BYTE_1 src1_sel:DWORD
	v_bfrev_b32_e32 v3, 1
	s_and_saveexec_b32 s22, s1
	s_cbranch_execz .LBB318_501
; %bb.496:                              ;   in Loop: Header=BB318_271 Depth=1
	v_and_b32_sdwa v4, v33, v9 dst_sel:DWORD dst_unused:UNUSED_PAD src0_sel:DWORD src1_sel:BYTE_1
	v_mov_b32_e32 v3, 0x7f800001
	s_mov_b32 s23, exec_lo
	v_and_b32_e32 v61, 0x7f, v4
	v_cmpx_ne_u32_e32 0x7f, v61
	s_cbranch_execz .LBB318_500
; %bb.497:                              ;   in Loop: Header=BB318_271 Depth=1
	v_and_b32_e32 v3, 7, v4
	v_mov_b32_e32 v4, v10
	v_lshrrev_b32_e32 v60, 3, v61
	s_mov_b32 s24, exec_lo
	v_cmpx_gt_u32_e32 8, v61
; %bb.498:                              ;   in Loop: Header=BB318_271 Depth=1
	v_ffbh_u32_e32 v60, v3
	v_min_u32_e32 v60, 32, v60
	v_subrev_nc_u32_e32 v61, 28, v60
	v_sub_nc_u32_e32 v60, 29, v60
	v_lshlrev_b64 v[3:4], v61, v[3:4]
	v_and_b32_e32 v3, 7, v3
; %bb.499:                              ;   in Loop: Header=BB318_271 Depth=1
	s_or_b32 exec_lo, exec_lo, s24
	v_lshlrev_b32_e32 v4, 16, v9
	v_lshlrev_b32_e32 v3, 20, v3
	v_lshl_add_u32 v9, v60, 23, 0x3c000000
	v_and_b32_e32 v4, 0x80000000, v4
	v_or3_b32 v3, v3, v4, v9
.LBB318_500:                            ;   in Loop: Header=BB318_271 Depth=1
	s_or_b32 exec_lo, exec_lo, s23
.LBB318_501:                            ;   in Loop: Header=BB318_271 Depth=1
	s_or_b32 exec_lo, exec_lo, s22
.LBB318_502:                            ;   in Loop: Header=BB318_271 Depth=1
	s_or_b32 exec_lo, exec_lo, s19
	v_and_b32_sdwa v9, v2, v34 dst_sel:DWORD dst_unused:UNUSED_PAD src0_sel:WORD_1 src1_sel:DWORD
	v_mov_b32_e32 v4, 0
	v_mov_b32_e32 v60, 0
	s_mov_b32 s19, exec_lo
	v_cmpx_ne_u16_e32 0, v9
	s_cbranch_execz .LBB318_510
; %bb.503:                              ;   in Loop: Header=BB318_271 Depth=1
	v_bfrev_b32_e32 v60, 1
	s_mov_b32 s22, exec_lo
	v_cmpx_ne_u16_e32 0x80, v9
	s_cbranch_execz .LBB318_509
; %bb.504:                              ;   in Loop: Header=BB318_271 Depth=1
	v_bfe_u32 v61, v2, 16, 7
	v_mov_b32_e32 v60, 0x7f800001
	s_mov_b32 s23, exec_lo
	v_cmpx_ne_u32_e32 0x7f, v61
	s_cbranch_execz .LBB318_508
; %bb.505:                              ;   in Loop: Header=BB318_271 Depth=1
	v_and_b32_sdwa v9, v2, v35 dst_sel:DWORD dst_unused:UNUSED_PAD src0_sel:WORD_1 src1_sel:DWORD
	v_lshrrev_b32_e32 v60, 3, v61
	s_mov_b32 s24, exec_lo
	v_cmpx_gt_u32_e32 8, v61
; %bb.506:                              ;   in Loop: Header=BB318_271 Depth=1
	v_ffbh_u32_e32 v60, v9
	v_min_u32_e32 v60, 32, v60
	v_subrev_nc_u32_e32 v61, 28, v60
	v_sub_nc_u32_e32 v60, 29, v60
	v_lshlrev_b64 v[61:62], v61, v[9:10]
	v_and_b32_e32 v9, 7, v61
; %bb.507:                              ;   in Loop: Header=BB318_271 Depth=1
	s_or_b32 exec_lo, exec_lo, s24
	v_lshlrev_b32_sdwa v61, v36, v2 dst_sel:DWORD dst_unused:UNUSED_PAD src0_sel:DWORD src1_sel:WORD_1
	v_lshlrev_b32_e32 v9, 20, v9
	v_lshl_add_u32 v60, v60, 23, 0x3c000000
	v_and_b32_e32 v61, 0x80000000, v61
	v_or3_b32 v60, v9, v61, v60
.LBB318_508:                            ;   in Loop: Header=BB318_271 Depth=1
	s_or_b32 exec_lo, exec_lo, s23
.LBB318_509:                            ;   in Loop: Header=BB318_271 Depth=1
	s_or_b32 exec_lo, exec_lo, s22
.LBB318_510:                            ;   in Loop: Header=BB318_271 Depth=1
	s_or_b32 exec_lo, exec_lo, s19
	s_mov_b32 s19, exec_lo
	v_cmpx_lt_u64_e64 s[4:5], v[1:2]
	s_cbranch_execz .LBB318_518
; %bb.511:                              ;   in Loop: Header=BB318_271 Depth=1
	v_cmp_ne_u32_sdwa s1, v2, v32 src0_sel:BYTE_3 src1_sel:DWORD
	v_bfrev_b32_e32 v4, 1
	s_and_saveexec_b32 s22, s1
	s_cbranch_execz .LBB318_517
; %bb.512:                              ;   in Loop: Header=BB318_271 Depth=1
	v_bfe_u32 v61, v2, 24, 7
	v_mov_b32_e32 v4, 0x7f800001
	s_mov_b32 s23, exec_lo
	v_cmpx_ne_u32_e32 0x7f, v61
	s_cbranch_execz .LBB318_516
; %bb.513:                              ;   in Loop: Header=BB318_271 Depth=1
	v_and_b32_sdwa v9, v2, v35 dst_sel:DWORD dst_unused:UNUSED_PAD src0_sel:BYTE_3 src1_sel:DWORD
	v_lshrrev_b32_e32 v1, 3, v61
	s_mov_b32 s24, exec_lo
	v_cmpx_gt_u32_e32 8, v61
; %bb.514:                              ;   in Loop: Header=BB318_271 Depth=1
	v_ffbh_u32_e32 v1, v9
	v_min_u32_e32 v1, 32, v1
	v_subrev_nc_u32_e32 v4, 28, v1
	v_sub_nc_u32_e32 v1, 29, v1
	v_lshlrev_b64 v[61:62], v4, v[9:10]
	v_and_b32_e32 v9, 7, v61
; %bb.515:                              ;   in Loop: Header=BB318_271 Depth=1
	s_or_b32 exec_lo, exec_lo, s24
	v_lshlrev_b32_sdwa v2, v36, v2 dst_sel:DWORD dst_unused:UNUSED_PAD src0_sel:DWORD src1_sel:BYTE_3
	v_lshlrev_b32_e32 v4, 20, v9
	v_lshl_add_u32 v1, v1, 23, 0x3c000000
	v_and_b32_e32 v2, 0x80000000, v2
	v_or3_b32 v4, v4, v2, v1
.LBB318_516:                            ;   in Loop: Header=BB318_271 Depth=1
	s_or_b32 exec_lo, exec_lo, s23
.LBB318_517:                            ;   in Loop: Header=BB318_271 Depth=1
	s_or_b32 exec_lo, exec_lo, s22
.LBB318_518:                            ;   in Loop: Header=BB318_271 Depth=1
	s_or_b32 exec_lo, exec_lo, s19
	v_mul_f32_e32 v1, s16, v3
	v_mul_f32_e32 v2, s16, v59
	v_mul_f32_e32 v3, s16, v58
	v_mul_f32_e32 v57, s16, v57
	v_mul_f32_e32 v14, s16, v14
	v_bfe_u32 v9, v1, 16, 1
	v_or_b32_e32 v58, 0x400000, v1
	v_bfe_u32 v59, v2, 16, 1
	v_cmp_u_f32_e64 s1, v1, v1
	v_or_b32_e32 v61, 0x400000, v2
	v_add3_u32 v9, v9, v1, 0x7fff
	v_bfe_u32 v62, v3, 16, 1
	v_add3_u32 v59, v59, v2, 0x7fff
	v_or_b32_e32 v63, 0x400000, v3
	v_bfe_u32 v64, v57, 16, 1
	v_cndmask_b32_e64 v1, v9, v58, s1
	v_cmp_u_f32_e64 s1, v2, v2
	v_add3_u32 v62, v62, v3, 0x7fff
	v_mul_f32_e32 v13, s16, v13
	v_add3_u32 v58, v64, v57, 0x7fff
	v_lshrrev_b32_e32 v2, 16, v1
	v_cndmask_b32_e64 v9, v59, v61, s1
	v_cmp_u_f32_e64 s1, v3, v3
	v_or_b32_e32 v59, 0x400000, v57
	v_mul_f32_e32 v4, s16, v4
	v_lshrrev_b32_e32 v1, 16, v9
	v_cndmask_b32_e64 v3, v62, v63, s1
	v_cmp_u_f32_e64 s1, v57, v57
	v_or_b32_e32 v63, 0x400000, v4
	v_lshrrev_b32_e32 v9, 16, v3
	v_bfe_u32 v3, v14, 16, 1
	v_cndmask_b32_e64 v57, v58, v59, s1
	v_mul_f32_e32 v58, s16, v60
	v_or_b32_e32 v59, 0x400000, v14
	v_bfe_u32 v60, v13, 16, 1
	v_add3_u32 v3, v3, v14, 0x7fff
	v_cmp_u_f32_e64 s1, v14, v14
	v_bfe_u32 v61, v58, 16, 1
	v_bfe_u32 v14, v4, 16, 1
	v_or_b32_e32 v62, 0x400000, v58
	v_cndmask_b32_e64 v3, v3, v59, s1
	v_add3_u32 v59, v60, v13, 0x7fff
	v_or_b32_e32 v60, 0x400000, v13
	v_cmp_u_f32_e64 s1, v13, v13
	v_add3_u32 v61, v61, v58, 0x7fff
	v_add3_u32 v14, v14, v4, 0x7fff
	v_lshrrev_b32_e32 v13, 16, v57
	v_lshrrev_b32_e32 v57, 16, v3
	v_cndmask_b32_e64 v59, v59, v60, s1
	v_cmp_u_f32_e64 s1, v58, v58
	v_cndmask_b32_e64 v58, v61, v62, s1
	v_cmp_u_f32_e64 s1, v4, v4
	v_lshrrev_b32_e32 v3, 16, v58
	v_cndmask_b32_e64 v4, v14, v63, s1
	v_lshrrev_b32_e32 v14, 16, v59
	v_lshrrev_b32_e32 v4, 16, v4
	s_and_saveexec_b32 s1, s0
	s_cbranch_execz .LBB318_269
; %bb.519:                              ;   in Loop: Header=BB318_271 Depth=1
	v_add_nc_u32_e32 v58, -6, v30
	v_cmp_gt_i32_e64 s0, s11, v46
	v_add_nc_u32_e32 v59, -5, v30
	v_add_nc_u32_e32 v46, -4, v30
	v_cndmask_b32_e64 v14, 0, v14, s0
	v_cmp_gt_i32_e64 s0, s11, v58
	v_add_nc_u32_e32 v58, -3, v30
	v_cndmask_b32_e64 v57, 0, v57, s0
	v_cmp_gt_i32_e64 s0, s11, v59
	;; [unrolled: 3-line block ×4, first 2 shown]
	v_cndmask_b32_e64 v1, 0, v1, s0
	v_cmp_gt_i32_e64 s0, s11, v59
	v_cndmask_b32_e64 v2, 0, v2, s0
	v_cmp_gt_i32_e64 s0, s11, v46
	;; [unrolled: 2-line block ×3, first 2 shown]
	v_cndmask_b32_e64 v4, 0, v4, s0
	s_branch .LBB318_269
.LBB318_520:
	s_or_b32 exec_lo, exec_lo, s17
.LBB318_521:
	s_or_b32 exec_lo, exec_lo, s14
	s_movk_i32 s0, 0x1e0
	v_and_b32_e32 v1, 0x3c0, v0
	v_mad_u32_u24 v4, v21, s0, 0x110
	v_or_b32_e32 v3, 0x60, v0
	s_mov_b32 s0, exec_lo
	s_barrier
	buffer_gl0_inv
	v_cmpx_eq_u32_e32 64, v1
	s_cbranch_execz .LBB318_524
; %bb.522:
	v_add_nc_u32_e32 v1, 0xfffffc40, v4
	v_cmp_gt_u32_e32 vcc_lo, 0x78, v3
	v_lshl_add_u32 v2, v22, 2, v1
	ds_write2_b32 v2, v27, v26 offset1:32
	ds_write_b32 v2, v25 offset:256
	s_and_b32 exec_lo, exec_lo, vcc_lo
; %bb.523:
	v_lshl_add_u32 v1, v3, 2, v1
	ds_write_b32 v1, v24
.LBB318_524:
	s_or_b32 exec_lo, exec_lo, s0
	v_lshl_add_u32 v5, v22, 2, v4
	s_mov_b32 s0, exec_lo
	s_waitcnt lgkmcnt(0)
	s_barrier
	buffer_gl0_inv
	v_cmpx_gt_u32_e32 64, v0
	s_cbranch_execz .LBB318_528
; %bb.525:
	v_lshl_or_b32 v1, v0, 2, 0x80
	s_mov_b32 s1, exec_lo
	v_add_nc_u32_e32 v6, v4, v1
	ds_read2st64_b32 v[1:2], v5 offset1:1
	ds_read_b32 v6, v6
	v_cmpx_gt_u32_e32 0x78, v3
	s_cbranch_execz .LBB318_527
; %bb.526:
	v_lshl_add_u32 v7, v3, 2, v4
	ds_read_b32 v7, v7
	s_waitcnt lgkmcnt(0)
	v_add_f32_e32 v24, v24, v7
.LBB318_527:
	s_or_b32 exec_lo, exec_lo, s1
	s_waitcnt lgkmcnt(1)
	v_add_f32_e32 v27, v27, v1
	s_waitcnt lgkmcnt(0)
	v_add_f32_e32 v26, v26, v6
	v_add_f32_e32 v25, v25, v2
.LBB318_528:
	s_or_b32 exec_lo, exec_lo, s0
	v_and_b32_e32 v1, 0x3e0, v0
	s_mov_b32 s0, exec_lo
	s_barrier
	buffer_gl0_inv
	v_cmpx_eq_u32_e32 32, v1
	s_cbranch_execz .LBB318_531
; %bb.529:
	v_lshl_add_u32 v1, v22, 2, 0x110
	v_cmp_gt_u32_e32 vcc_lo, 0x78, v3
	ds_write_b32 v1, v27
	ds_write_b32 v23, v26
	ds_write_b32 v1, v25 offset:256
	s_and_b32 exec_lo, exec_lo, vcc_lo
; %bb.530:
	v_lshl_add_u32 v1, v3, 2, 0x110
	ds_write_b32 v1, v24
.LBB318_531:
	s_or_b32 exec_lo, exec_lo, s0
	v_cmp_gt_u32_e32 vcc_lo, 32, v0
	s_waitcnt lgkmcnt(0)
	s_barrier
	buffer_gl0_inv
	s_and_saveexec_b32 s1, vcc_lo
	s_cbranch_execz .LBB318_535
; %bb.532:
	v_lshl_add_u32 v6, v0, 2, v4
	s_mov_b32 s2, exec_lo
	ds_read_b32 v4, v5
	ds_read2_b32 v[1:2], v6 offset0:32 offset1:64
	v_cmpx_gt_u32_e32 0x78, v3
	s_cbranch_execz .LBB318_534
; %bb.533:
	ds_read_b32 v5, v6 offset:384
	s_waitcnt lgkmcnt(0)
	v_add_f32_e32 v24, v24, v5
.LBB318_534:
	s_or_b32 exec_lo, exec_lo, s2
	s_waitcnt lgkmcnt(1)
	v_add_f32_e32 v27, v27, v4
	s_waitcnt lgkmcnt(0)
	v_add_f32_e32 v26, v26, v1
	v_add_f32_e32 v25, v25, v2
.LBB318_535:
	s_or_b32 exec_lo, exec_lo, s1
	s_barrier
	buffer_gl0_inv
	s_and_saveexec_b32 s0, vcc_lo
	s_cbranch_execz .LBB318_538
; %bb.536:
	v_bfe_u32 v1, v27, 16, 1
	s_mul_i32 s0, s10, s7
	v_bfe_u32 v2, v26, 16, 1
	s_mul_i32 s0, s0, s9
	v_or_b32_e32 v5, 0x400000, v27
	v_add3_u32 v1, v1, v27, 0x7fff
	v_cmp_u_f32_e32 vcc_lo, v27, v27
	s_mulk_i32 s0, 0x78
	v_bfe_u32 v4, v25, 16, 1
	s_ashr_i32 s1, s0, 31
	v_add3_u32 v2, v2, v26, 0x7fff
	s_lshl_b64 s[0:1], s[0:1], 1
	v_or_b32_e32 v6, 0x400000, v26
	v_cndmask_b32_e32 v1, v1, v5, vcc_lo
	v_cmp_u_f32_e32 vcc_lo, v26, v26
	s_mul_i32 s2, s7, s6
	s_add_u32 s5, s20, s0
	s_addc_u32 s6, s21, s1
	s_ashr_i32 s3, s2, 31
	v_add3_u32 v4, v4, v25, 0x7fff
	s_lshl_b64 s[0:1], s[2:3], 1
	v_or_b32_e32 v7, 0x400000, v25
	v_cndmask_b32_e32 v2, v2, v6, vcc_lo
	v_cmp_u_f32_e32 vcc_lo, v25, v25
	s_mul_i32 s4, s8, 0x78
	s_add_u32 s2, s5, s0
	s_addc_u32 s3, s6, s1
	s_ashr_i32 s5, s4, 31
	v_lshlrev_b32_e32 v0, 1, v0
	s_lshl_b64 s[0:1], s[4:5], 1
	v_cndmask_b32_e32 v4, v4, v7, vcc_lo
	v_cmp_gt_u32_e32 vcc_lo, 0x78, v3
	s_add_u32 s0, s2, s0
	s_addc_u32 s1, s3, s1
	global_store_short_d16_hi v0, v1, s[0:1]
	global_store_short_d16_hi v0, v2, s[0:1] offset:64
	global_store_short_d16_hi v0, v4, s[0:1] offset:128
	s_and_b32 exec_lo, exec_lo, vcc_lo
	s_cbranch_execz .LBB318_538
; %bb.537:
	v_bfe_u32 v1, v24, 16, 1
	v_or_b32_e32 v2, 0x400000, v24
	v_cmp_u_f32_e32 vcc_lo, v24, v24
	v_add_co_u32 v0, s0, s0, v0
	v_add3_u32 v3, v1, v24, 0x7fff
	v_add_co_ci_u32_e64 v1, null, s1, 0, s0
	v_cndmask_b32_e32 v2, v3, v2, vcc_lo
	global_store_short_d16_hi v[0:1], v2, off offset:192
.LBB318_538:
	s_endpgm
	.section	.rodata,"a",@progbits
	.p2align	6, 0x0
	.amdhsa_kernel _ZN4vllm25paged_attention_v1_kernelI14__hip_bfloat16hLi120ELi8ELi128ELNS_18Fp8KVCacheDataTypeE1ELb0EEEvPT_PKS3_PKT0_S9_ifPKiSB_iPKfiiiSD_SD_iiiii
		.amdhsa_group_segment_fixed_size 272
		.amdhsa_private_segment_fixed_size 0
		.amdhsa_kernarg_size 384
		.amdhsa_user_sgpr_count 6
		.amdhsa_user_sgpr_private_segment_buffer 1
		.amdhsa_user_sgpr_dispatch_ptr 0
		.amdhsa_user_sgpr_queue_ptr 0
		.amdhsa_user_sgpr_kernarg_segment_ptr 1
		.amdhsa_user_sgpr_dispatch_id 0
		.amdhsa_user_sgpr_flat_scratch_init 0
		.amdhsa_user_sgpr_private_segment_size 0
		.amdhsa_wavefront_size32 1
		.amdhsa_uses_dynamic_stack 0
		.amdhsa_system_sgpr_private_segment_wavefront_offset 0
		.amdhsa_system_sgpr_workgroup_id_x 1
		.amdhsa_system_sgpr_workgroup_id_y 1
		.amdhsa_system_sgpr_workgroup_id_z 1
		.amdhsa_system_sgpr_workgroup_info 0
		.amdhsa_system_vgpr_workitem_id 0
		.amdhsa_next_free_vgpr 105
		.amdhsa_next_free_sgpr 34
		.amdhsa_reserve_vcc 1
		.amdhsa_reserve_flat_scratch 0
		.amdhsa_float_round_mode_32 0
		.amdhsa_float_round_mode_16_64 0
		.amdhsa_float_denorm_mode_32 3
		.amdhsa_float_denorm_mode_16_64 3
		.amdhsa_dx10_clamp 1
		.amdhsa_ieee_mode 1
		.amdhsa_fp16_overflow 0
		.amdhsa_workgroup_processor_mode 1
		.amdhsa_memory_ordered 1
		.amdhsa_forward_progress 1
		.amdhsa_shared_vgpr_count 0
		.amdhsa_exception_fp_ieee_invalid_op 0
		.amdhsa_exception_fp_denorm_src 0
		.amdhsa_exception_fp_ieee_div_zero 0
		.amdhsa_exception_fp_ieee_overflow 0
		.amdhsa_exception_fp_ieee_underflow 0
		.amdhsa_exception_fp_ieee_inexact 0
		.amdhsa_exception_int_div_zero 0
	.end_amdhsa_kernel
	.section	.text._ZN4vllm25paged_attention_v1_kernelI14__hip_bfloat16hLi120ELi8ELi128ELNS_18Fp8KVCacheDataTypeE1ELb0EEEvPT_PKS3_PKT0_S9_ifPKiSB_iPKfiiiSD_SD_iiiii,"axG",@progbits,_ZN4vllm25paged_attention_v1_kernelI14__hip_bfloat16hLi120ELi8ELi128ELNS_18Fp8KVCacheDataTypeE1ELb0EEEvPT_PKS3_PKT0_S9_ifPKiSB_iPKfiiiSD_SD_iiiii,comdat
.Lfunc_end318:
	.size	_ZN4vllm25paged_attention_v1_kernelI14__hip_bfloat16hLi120ELi8ELi128ELNS_18Fp8KVCacheDataTypeE1ELb0EEEvPT_PKS3_PKT0_S9_ifPKiSB_iPKfiiiSD_SD_iiiii, .Lfunc_end318-_ZN4vllm25paged_attention_v1_kernelI14__hip_bfloat16hLi120ELi8ELi128ELNS_18Fp8KVCacheDataTypeE1ELb0EEEvPT_PKS3_PKT0_S9_ifPKiSB_iPKfiiiSD_SD_iiiii
                                        ; -- End function
	.set _ZN4vllm25paged_attention_v1_kernelI14__hip_bfloat16hLi120ELi8ELi128ELNS_18Fp8KVCacheDataTypeE1ELb0EEEvPT_PKS3_PKT0_S9_ifPKiSB_iPKfiiiSD_SD_iiiii.num_vgpr, 105
	.set _ZN4vllm25paged_attention_v1_kernelI14__hip_bfloat16hLi120ELi8ELi128ELNS_18Fp8KVCacheDataTypeE1ELb0EEEvPT_PKS3_PKT0_S9_ifPKiSB_iPKfiiiSD_SD_iiiii.num_agpr, 0
	.set _ZN4vllm25paged_attention_v1_kernelI14__hip_bfloat16hLi120ELi8ELi128ELNS_18Fp8KVCacheDataTypeE1ELb0EEEvPT_PKS3_PKT0_S9_ifPKiSB_iPKfiiiSD_SD_iiiii.numbered_sgpr, 34
	.set _ZN4vllm25paged_attention_v1_kernelI14__hip_bfloat16hLi120ELi8ELi128ELNS_18Fp8KVCacheDataTypeE1ELb0EEEvPT_PKS3_PKT0_S9_ifPKiSB_iPKfiiiSD_SD_iiiii.num_named_barrier, 0
	.set _ZN4vllm25paged_attention_v1_kernelI14__hip_bfloat16hLi120ELi8ELi128ELNS_18Fp8KVCacheDataTypeE1ELb0EEEvPT_PKS3_PKT0_S9_ifPKiSB_iPKfiiiSD_SD_iiiii.private_seg_size, 0
	.set _ZN4vllm25paged_attention_v1_kernelI14__hip_bfloat16hLi120ELi8ELi128ELNS_18Fp8KVCacheDataTypeE1ELb0EEEvPT_PKS3_PKT0_S9_ifPKiSB_iPKfiiiSD_SD_iiiii.uses_vcc, 1
	.set _ZN4vllm25paged_attention_v1_kernelI14__hip_bfloat16hLi120ELi8ELi128ELNS_18Fp8KVCacheDataTypeE1ELb0EEEvPT_PKS3_PKT0_S9_ifPKiSB_iPKfiiiSD_SD_iiiii.uses_flat_scratch, 0
	.set _ZN4vllm25paged_attention_v1_kernelI14__hip_bfloat16hLi120ELi8ELi128ELNS_18Fp8KVCacheDataTypeE1ELb0EEEvPT_PKS3_PKT0_S9_ifPKiSB_iPKfiiiSD_SD_iiiii.has_dyn_sized_stack, 0
	.set _ZN4vllm25paged_attention_v1_kernelI14__hip_bfloat16hLi120ELi8ELi128ELNS_18Fp8KVCacheDataTypeE1ELb0EEEvPT_PKS3_PKT0_S9_ifPKiSB_iPKfiiiSD_SD_iiiii.has_recursion, 0
	.set _ZN4vllm25paged_attention_v1_kernelI14__hip_bfloat16hLi120ELi8ELi128ELNS_18Fp8KVCacheDataTypeE1ELb0EEEvPT_PKS3_PKT0_S9_ifPKiSB_iPKfiiiSD_SD_iiiii.has_indirect_call, 0
	.section	.AMDGPU.csdata,"",@progbits
; Kernel info:
; codeLenInByte = 21224
; TotalNumSgprs: 36
; NumVgprs: 105
; ScratchSize: 0
; MemoryBound: 0
; FloatMode: 240
; IeeeMode: 1
; LDSByteSize: 272 bytes/workgroup (compile time only)
; SGPRBlocks: 0
; VGPRBlocks: 13
; NumSGPRsForWavesPerEU: 36
; NumVGPRsForWavesPerEU: 105
; Occupancy: 9
; WaveLimiterHint : 1
; COMPUTE_PGM_RSRC2:SCRATCH_EN: 0
; COMPUTE_PGM_RSRC2:USER_SGPR: 6
; COMPUTE_PGM_RSRC2:TRAP_HANDLER: 0
; COMPUTE_PGM_RSRC2:TGID_X_EN: 1
; COMPUTE_PGM_RSRC2:TGID_Y_EN: 1
; COMPUTE_PGM_RSRC2:TGID_Z_EN: 1
; COMPUTE_PGM_RSRC2:TIDIG_COMP_CNT: 0
	.section	.text._ZN4vllm25paged_attention_v1_kernelI14__hip_bfloat16hLi128ELi8ELi128ELNS_18Fp8KVCacheDataTypeE1ELb0EEEvPT_PKS3_PKT0_S9_ifPKiSB_iPKfiiiSD_SD_iiiii,"axG",@progbits,_ZN4vllm25paged_attention_v1_kernelI14__hip_bfloat16hLi128ELi8ELi128ELNS_18Fp8KVCacheDataTypeE1ELb0EEEvPT_PKS3_PKT0_S9_ifPKiSB_iPKfiiiSD_SD_iiiii,comdat
	.protected	_ZN4vllm25paged_attention_v1_kernelI14__hip_bfloat16hLi128ELi8ELi128ELNS_18Fp8KVCacheDataTypeE1ELb0EEEvPT_PKS3_PKT0_S9_ifPKiSB_iPKfiiiSD_SD_iiiii ; -- Begin function _ZN4vllm25paged_attention_v1_kernelI14__hip_bfloat16hLi128ELi8ELi128ELNS_18Fp8KVCacheDataTypeE1ELb0EEEvPT_PKS3_PKT0_S9_ifPKiSB_iPKfiiiSD_SD_iiiii
	.globl	_ZN4vllm25paged_attention_v1_kernelI14__hip_bfloat16hLi128ELi8ELi128ELNS_18Fp8KVCacheDataTypeE1ELb0EEEvPT_PKS3_PKT0_S9_ifPKiSB_iPKfiiiSD_SD_iiiii
	.p2align	8
	.type	_ZN4vllm25paged_attention_v1_kernelI14__hip_bfloat16hLi128ELi8ELi128ELNS_18Fp8KVCacheDataTypeE1ELb0EEEvPT_PKS3_PKT0_S9_ifPKiSB_iPKfiiiSD_SD_iiiii,@function
_ZN4vllm25paged_attention_v1_kernelI14__hip_bfloat16hLi128ELi8ELi128ELNS_18Fp8KVCacheDataTypeE1ELb0EEEvPT_PKS3_PKT0_S9_ifPKiSB_iPKfiiiSD_SD_iiiii: ; @_ZN4vllm25paged_attention_v1_kernelI14__hip_bfloat16hLi128ELi8ELi128ELNS_18Fp8KVCacheDataTypeE1ELb0EEEvPT_PKS3_PKT0_S9_ifPKiSB_iPKfiiiSD_SD_iiiii
; %bb.0:
	s_clause 0x2
	s_load_dword s9, s[4:5], 0x80
	s_load_dwordx2 s[0:1], s[4:5], 0x30
	s_load_dwordx2 s[28:29], s[4:5], 0x20
	s_mov_b32 s10, s7
	s_ashr_i32 s11, s7, 31
	s_lshl_b64 s[2:3], s[10:11], 2
	s_waitcnt lgkmcnt(0)
	s_add_u32 s0, s0, s2
	s_addc_u32 s1, s1, s3
	s_abs_i32 s2, s28
	s_abs_i32 s11, s9
	v_cvt_f32_u32_e32 v1, s2
	s_sub_i32 s7, 0, s2
	v_rcp_iflag_f32_e32 v1, v1
	v_mul_f32_e32 v1, 0x4f7ffffe, v1
	v_cvt_u32_f32_e32 v1, v1
	v_readfirstlane_b32 s3, v1
	s_mul_i32 s7, s7, s3
	s_mul_hi_u32 s7, s3, s7
	s_add_i32 s3, s3, s7
	s_xor_b32 s7, s9, s28
	s_mul_hi_u32 s3, s11, s3
	s_ashr_i32 s7, s7, 31
	s_mul_i32 s12, s3, s2
	s_mov_b32 s28, 0
	s_sub_i32 s11, s11, s12
	s_add_i32 s12, s3, 1
	s_sub_i32 s13, s11, s2
	s_cmp_ge_u32 s11, s2
	s_cselect_b32 s3, s12, s3
	s_cselect_b32 s11, s13, s11
	s_add_i32 s12, s3, 1
	s_cmp_ge_u32 s11, s2
	s_cselect_b32 s2, s12, s3
	s_abs_i32 s17, s6
	s_xor_b32 s2, s2, s7
	s_sub_i32 s19, s2, s7
	s_load_dwordx2 s[2:3], s[4:5], 0x40
	s_abs_i32 s16, s19
	v_cvt_f32_u32_e32 v1, s16
	s_sub_i32 s11, 0, s16
	v_rcp_iflag_f32_e32 v1, v1
	v_mul_f32_e32 v1, 0x4f7ffffe, v1
	v_cvt_u32_f32_e32 v1, v1
	v_readfirstlane_b32 s7, v1
	s_mul_i32 s11, s11, s7
	s_mul_hi_u32 s11, s7, s11
	s_add_i32 s7, s7, s11
	s_waitcnt lgkmcnt(0)
	s_cmp_eq_u64 s[2:3], 0
	s_mul_hi_u32 s18, s17, s7
	s_cbranch_scc1 .LBB319_2
; %bb.1:
	s_ashr_i32 s7, s6, 31
	s_lshl_b64 s[12:13], s[6:7], 2
	s_add_u32 s2, s2, s12
	s_addc_u32 s3, s3, s13
	s_load_dword s28, s[2:3], 0x0
.LBB319_2:
	s_load_dword s11, s[0:1], 0x0
	s_load_dwordx4 s[12:15], s[4:5], 0x48
	v_and_b32_e32 v1, 3, v0
	v_cmp_gt_u32_e64 s0, 64, v0
	s_ashr_i32 s1, s6, 31
	s_ashr_i32 s2, s19, 31
	s_lshl_b32 s6, s6, 7
	s_and_saveexec_b32 s3, s0
	s_cbranch_execz .LBB319_4
; %bb.3:
	s_load_dwordx2 s[20:21], s[4:5], 0x8
	s_waitcnt lgkmcnt(0)
	s_mul_i32 s22, s12, s10
	v_lshlrev_b32_e32 v2, 2, v0
	s_ashr_i32 s23, s22, 31
	v_and_b32_e32 v3, 0x3fc, v0
	s_lshl_b64 s[22:23], s[22:23], 1
	v_lshl_add_u32 v3, v1, 6, v3
	s_add_u32 s12, s20, s22
	s_addc_u32 s15, s21, s23
	s_ashr_i32 s7, s6, 31
	s_lshl_b64 s[20:21], s[6:7], 1
	s_add_u32 s20, s12, s20
	s_addc_u32 s21, s15, s21
	global_load_dword v2, v2, s[20:21]
	s_waitcnt vmcnt(0)
	ds_write_b32 v3, v2
.LBB319_4:
	s_or_b32 exec_lo, exec_lo, s3
	s_waitcnt lgkmcnt(0)
	s_add_i32 s3, s11, 7
	s_clause 0x1
	s_load_dwordx2 s[22:23], s[4:5], 0x28
	s_load_dword s15, s[4:5], 0x38
	s_ashr_i32 s7, s3, 31
	s_xor_b32 s1, s1, s2
	s_lshr_b32 s7, s7, 29
	s_mul_i32 s2, s18, s16
	s_add_i32 s3, s3, s7
	s_sub_i32 s2, s17, s2
	s_ashr_i32 s12, s3, 3
	s_add_i32 s3, s18, 1
	s_sub_i32 s7, s2, s16
	s_cmp_ge_u32 s2, s16
	v_lshrrev_b32_e32 v21, 5, v0
	s_cselect_b32 s3, s3, s18
	s_cselect_b32 s2, s7, s2
	s_add_i32 s7, s3, 1
	s_cmp_ge_u32 s2, s16
	v_mbcnt_lo_u32_b32 v10, -1, 0
	s_cselect_b32 s2, s7, s3
	s_mov_b32 s3, exec_lo
	s_xor_b32 s2, s2, s1
	s_waitcnt lgkmcnt(0)
	s_mul_i32 s24, s15, s10
	s_sub_i32 s2, s2, s1
	v_cmp_gt_i32_e64 s1, s12, v21
	s_ashr_i32 s25, s24, 31
	s_barrier
	buffer_gl0_inv
                                        ; implicit-def: $vgpr2
                                        ; implicit-def: $vgpr11
	v_cmpx_le_i32_e64 s12, v21
	s_xor_b32 s3, exec_lo, s3
; %bb.5:
	v_mov_b32_e32 v2, 0
	v_mbcnt_lo_u32_b32 v10, -1, 0
	v_mov_b32_e32 v11, 32
                                        ; implicit-def: $vgpr1
; %bb.6:
	s_or_saveexec_b32 s15, s3
	s_clause 0x3
	s_load_dwordx2 s[20:21], s[4:5], 0x0
	s_load_dwordx2 s[26:27], s[4:5], 0x18
	s_load_dword s7, s[4:5], 0x88
	s_load_dwordx4 s[16:19], s[4:5], 0x58
	v_mov_b32_e32 v41, 0xff7fffff
	v_lshrrev_b32_e32 v9, 3, v0
	s_mul_i32 s14, s2, s14
	s_xor_b32 exec_lo, exec_lo, s15
	s_cbranch_execz .LBB319_268
; %bb.7:
	v_lshlrev_b32_e32 v7, 6, v1
	s_load_dwordx2 s[2:3], s[4:5], 0x10
	v_bfe_u32 v8, v0, 2, 3
	s_ashr_i32 s4, s14, 31
	v_lshlrev_b32_e32 v41, 1, v1
	ds_read_b128 v[3:6], v7
	ds_read_b128 v[25:28], v7 offset:16
	ds_read_b128 v[33:36], v7 offset:32
	;; [unrolled: 1-line block ×3, first 2 shown]
	v_lshlrev_b32_e32 v11, 4, v8
	s_waitcnt lgkmcnt(0)
	s_load_dword s5, s[16:17], 0x0
	v_mov_b32_e32 v2, 0
	v_mov_b32_e32 v50, 0x80
	;; [unrolled: 1-line block ×4, first 2 shown]
	s_mov_b32 s17, 0
	s_add_u32 s2, s2, s14
	s_addc_u32 s3, s3, s4
	v_add_co_u32 v7, s2, s2, v11
	v_lshlrev_b32_e32 v12, 16, v3
	v_and_b32_e32 v13, 0xffff0000, v3
	v_xor_b32_e32 v3, 2, v10
	v_lshlrev_b32_e32 v14, 16, v4
	v_and_b32_e32 v15, 0xffff0000, v4
	v_xor_b32_e32 v4, 1, v10
	v_add_co_ci_u32_e64 v48, null, s3, 0, s2
	v_cmp_gt_i32_e32 vcc_lo, 32, v3
	v_lshlrev_b32_e32 v16, 16, v5
	v_and_b32_e32 v17, 0xffff0000, v5
	v_and_b32_e32 v5, 0x7c, v9
	s_lshl_b64 s[30:31], s[24:25], 2
	v_cndmask_b32_e32 v3, v10, v3, vcc_lo
	v_cmp_gt_i32_e32 vcc_lo, 32, v4
	s_sub_i32 s16, 1, s11
	v_lshlrev_b32_e32 v18, 16, v6
	v_and_b32_e32 v19, 0xffff0000, v6
	v_lshlrev_b32_e32 v46, 2, v3
	v_cndmask_b32_e32 v4, v10, v4, vcc_lo
	v_cmp_eq_u32_e32 vcc_lo, 0, v1
	v_lshlrev_b32_e32 v1, 2, v8
	v_add_co_u32 v3, s3, v7, v41
	v_lshlrev_b32_e32 v47, 2, v4
	v_add_co_ci_u32_e64 v4, null, 0, v48, s3
	v_lshl_or_b32 v1, v21, 5, v1
	s_add_u32 s3, s22, s30
	s_addc_u32 s4, s23, s31
	v_add_co_u32 v5, s3, s3, v5
	v_lshlrev_b32_e32 v20, 16, v25
	v_and_b32_e32 v22, 0xffff0000, v25
	v_lshlrev_b32_e32 v23, 16, v26
	v_and_b32_e32 v24, 0xffff0000, v26
	;; [unrolled: 2-line block ×12, first 2 shown]
	v_mov_b32_e32 v11, 32
	v_cmp_neq_f32_e64 s2, s28, 0
	v_lshl_or_b32 v48, v21, 3, v8
	v_add_nc_u32_e32 v49, 0x120, v1
	v_add_co_ci_u32_e64 v6, null, s4, 0, s3
	v_mov_b32_e32 v41, 0xff7fffff
	s_mov_b32 s30, s13
	s_branch .LBB319_9
.LBB319_8:                              ;   in Loop: Header=BB319_9 Depth=1
	s_or_b32 exec_lo, exec_lo, s4
	v_add_nc_u32_e32 v52, 4, v52
	v_add_co_u32 v5, s4, v5, 16
	v_add_nc_u32_e32 v48, 32, v48
	v_add_nc_u32_e32 v49, 0x80, v49
	v_cmp_le_i32_e64 s3, s12, v52
	v_add_co_ci_u32_e64 v6, null, 0, v6, s4
	s_or_b32 s17, s3, s17
	s_andn2_b32 exec_lo, exec_lo, s17
	s_cbranch_execz .LBB319_267
.LBB319_9:                              ; =>This Inner Loop Header: Depth=1
	global_load_dword v1, v[5:6], off
	v_mov_b32_e32 v53, 0
	s_waitcnt vmcnt(0) lgkmcnt(0)
	v_mad_i64_i32 v[7:8], null, v1, s30, v[3:4]
	global_load_ushort v1, v[7:8], off
	s_waitcnt vmcnt(0)
	v_and_b32_e32 v55, 0xffff, v1
	v_cmp_ne_u16_sdwa s3, v1, v2 src0_sel:BYTE_0 src1_sel:DWORD
	s_and_saveexec_b32 s4, s3
	s_cbranch_execz .LBB319_17
; %bb.10:                               ;   in Loop: Header=BB319_9 Depth=1
	v_cmp_ne_u16_sdwa s3, v55, v50 src0_sel:BYTE_0 src1_sel:DWORD
	v_bfrev_b32_e32 v53, 1
	s_and_saveexec_b32 s31, s3
	s_cbranch_execz .LBB319_16
; %bb.11:                               ;   in Loop: Header=BB319_9 Depth=1
	v_and_b32_e32 v54, 0x7f, v55
	v_mov_b32_e32 v53, 0x7f800001
	s_mov_b32 s33, exec_lo
	v_cmpx_ne_u32_e32 0x7f, v54
	s_cbranch_execz .LBB319_15
; %bb.12:                               ;   in Loop: Header=BB319_9 Depth=1
	v_and_b32_e32 v1, 7, v55
	v_lshrrev_b32_e32 v53, 3, v54
	s_mov_b32 s34, exec_lo
	v_cmpx_gt_u32_e32 8, v54
; %bb.13:                               ;   in Loop: Header=BB319_9 Depth=1
	v_ffbh_u32_e32 v53, v1
	v_min_u32_e32 v53, 32, v53
	v_subrev_nc_u32_e32 v54, 28, v53
	v_sub_nc_u32_e32 v53, 29, v53
	v_lshlrev_b64 v[56:57], v54, v[1:2]
	v_and_b32_e32 v1, 7, v56
; %bb.14:                               ;   in Loop: Header=BB319_9 Depth=1
	s_or_b32 exec_lo, exec_lo, s34
	v_lshlrev_b32_e32 v54, 24, v55
	v_lshlrev_b32_e32 v1, 20, v1
	v_lshl_add_u32 v53, v53, 23, 0x3c000000
	v_and_b32_e32 v54, 0x80000000, v54
	v_or3_b32 v53, v1, v54, v53
.LBB319_15:                             ;   in Loop: Header=BB319_9 Depth=1
	s_or_b32 exec_lo, exec_lo, s33
.LBB319_16:                             ;   in Loop: Header=BB319_9 Depth=1
	s_or_b32 exec_lo, exec_lo, s31
.LBB319_17:                             ;   in Loop: Header=BB319_9 Depth=1
	s_or_b32 exec_lo, exec_lo, s4
	v_cmp_ne_u16_sdwa s3, v55, v2 src0_sel:BYTE_1 src1_sel:DWORD
	v_mov_b32_e32 v54, 0
	s_and_saveexec_b32 s4, s3
	s_cbranch_execz .LBB319_25
; %bb.18:                               ;   in Loop: Header=BB319_9 Depth=1
	v_cmp_ne_u16_sdwa s3, v55, v50 src0_sel:BYTE_1 src1_sel:DWORD
	v_bfrev_b32_e32 v54, 1
	s_and_saveexec_b32 s31, s3
	s_cbranch_execz .LBB319_24
; %bb.19:                               ;   in Loop: Header=BB319_9 Depth=1
	v_and_b32_sdwa v1, v51, v55 dst_sel:DWORD dst_unused:UNUSED_PAD src0_sel:DWORD src1_sel:BYTE_1
	v_mov_b32_e32 v54, 0x7f800001
	s_mov_b32 s33, exec_lo
	v_and_b32_e32 v56, 0x7f, v1
	v_cmpx_ne_u32_e32 0x7f, v56
	s_cbranch_execz .LBB319_23
; %bb.20:                               ;   in Loop: Header=BB319_9 Depth=1
	v_and_b32_e32 v1, 7, v1
	v_lshrrev_b32_e32 v54, 3, v56
	s_mov_b32 s34, exec_lo
	v_cmpx_gt_u32_e32 8, v56
; %bb.21:                               ;   in Loop: Header=BB319_9 Depth=1
	v_ffbh_u32_e32 v54, v1
	v_min_u32_e32 v54, 32, v54
	v_subrev_nc_u32_e32 v56, 28, v54
	v_sub_nc_u32_e32 v54, 29, v54
	v_lshlrev_b64 v[56:57], v56, v[1:2]
	v_and_b32_e32 v1, 7, v56
; %bb.22:                               ;   in Loop: Header=BB319_9 Depth=1
	s_or_b32 exec_lo, exec_lo, s34
	v_lshlrev_b32_e32 v55, 16, v55
	v_lshlrev_b32_e32 v1, 20, v1
	v_lshl_add_u32 v54, v54, 23, 0x3c000000
	v_and_b32_e32 v55, 0x80000000, v55
	v_or3_b32 v54, v1, v55, v54
.LBB319_23:                             ;   in Loop: Header=BB319_9 Depth=1
	s_or_b32 exec_lo, exec_lo, s33
.LBB319_24:                             ;   in Loop: Header=BB319_9 Depth=1
	s_or_b32 exec_lo, exec_lo, s31
.LBB319_25:                             ;   in Loop: Header=BB319_9 Depth=1
	s_or_b32 exec_lo, exec_lo, s4
	global_load_ushort v1, v[7:8], off offset:8
	v_mov_b32_e32 v56, 0
	v_mov_b32_e32 v55, 0
	s_waitcnt vmcnt(0)
	v_and_b32_e32 v57, 0xffff, v1
	v_cmp_ne_u16_sdwa s3, v1, v2 src0_sel:BYTE_0 src1_sel:DWORD
	s_and_saveexec_b32 s4, s3
	s_cbranch_execz .LBB319_33
; %bb.26:                               ;   in Loop: Header=BB319_9 Depth=1
	v_cmp_ne_u16_sdwa s3, v57, v50 src0_sel:BYTE_0 src1_sel:DWORD
	v_bfrev_b32_e32 v55, 1
	s_and_saveexec_b32 s31, s3
	s_cbranch_execz .LBB319_32
; %bb.27:                               ;   in Loop: Header=BB319_9 Depth=1
	v_and_b32_e32 v58, 0x7f, v57
	v_mov_b32_e32 v55, 0x7f800001
	s_mov_b32 s33, exec_lo
	v_cmpx_ne_u32_e32 0x7f, v58
	s_cbranch_execz .LBB319_31
; %bb.28:                               ;   in Loop: Header=BB319_9 Depth=1
	v_and_b32_e32 v1, 7, v57
	v_lshrrev_b32_e32 v55, 3, v58
	s_mov_b32 s34, exec_lo
	v_cmpx_gt_u32_e32 8, v58
; %bb.29:                               ;   in Loop: Header=BB319_9 Depth=1
	v_ffbh_u32_e32 v55, v1
	v_min_u32_e32 v55, 32, v55
	v_subrev_nc_u32_e32 v58, 28, v55
	v_sub_nc_u32_e32 v55, 29, v55
	v_lshlrev_b64 v[58:59], v58, v[1:2]
	v_and_b32_e32 v1, 7, v58
; %bb.30:                               ;   in Loop: Header=BB319_9 Depth=1
	s_or_b32 exec_lo, exec_lo, s34
	v_lshlrev_b32_e32 v58, 24, v57
	v_lshlrev_b32_e32 v1, 20, v1
	v_lshl_add_u32 v55, v55, 23, 0x3c000000
	v_and_b32_e32 v58, 0x80000000, v58
	v_or3_b32 v55, v1, v58, v55
.LBB319_31:                             ;   in Loop: Header=BB319_9 Depth=1
	s_or_b32 exec_lo, exec_lo, s33
.LBB319_32:                             ;   in Loop: Header=BB319_9 Depth=1
	s_or_b32 exec_lo, exec_lo, s31
.LBB319_33:                             ;   in Loop: Header=BB319_9 Depth=1
	s_or_b32 exec_lo, exec_lo, s4
	v_cmp_ne_u16_sdwa s3, v57, v2 src0_sel:BYTE_1 src1_sel:DWORD
	s_and_saveexec_b32 s4, s3
	s_cbranch_execz .LBB319_41
; %bb.34:                               ;   in Loop: Header=BB319_9 Depth=1
	v_cmp_ne_u16_sdwa s3, v57, v50 src0_sel:BYTE_1 src1_sel:DWORD
	v_bfrev_b32_e32 v56, 1
	s_and_saveexec_b32 s31, s3
	s_cbranch_execz .LBB319_40
; %bb.35:                               ;   in Loop: Header=BB319_9 Depth=1
	v_and_b32_sdwa v1, v51, v57 dst_sel:DWORD dst_unused:UNUSED_PAD src0_sel:DWORD src1_sel:BYTE_1
	v_mov_b32_e32 v56, 0x7f800001
	s_mov_b32 s33, exec_lo
	v_and_b32_e32 v58, 0x7f, v1
	v_cmpx_ne_u32_e32 0x7f, v58
	s_cbranch_execz .LBB319_39
; %bb.36:                               ;   in Loop: Header=BB319_9 Depth=1
	v_and_b32_e32 v1, 7, v1
	v_lshrrev_b32_e32 v56, 3, v58
	s_mov_b32 s34, exec_lo
	v_cmpx_gt_u32_e32 8, v58
; %bb.37:                               ;   in Loop: Header=BB319_9 Depth=1
	v_ffbh_u32_e32 v56, v1
	v_min_u32_e32 v56, 32, v56
	v_subrev_nc_u32_e32 v58, 28, v56
	v_sub_nc_u32_e32 v56, 29, v56
	v_lshlrev_b64 v[58:59], v58, v[1:2]
	v_and_b32_e32 v1, 7, v58
; %bb.38:                               ;   in Loop: Header=BB319_9 Depth=1
	s_or_b32 exec_lo, exec_lo, s34
	v_lshlrev_b32_e32 v57, 16, v57
	v_lshlrev_b32_e32 v1, 20, v1
	v_lshl_add_u32 v56, v56, 23, 0x3c000000
	v_and_b32_e32 v57, 0x80000000, v57
	v_or3_b32 v56, v1, v57, v56
.LBB319_39:                             ;   in Loop: Header=BB319_9 Depth=1
	s_or_b32 exec_lo, exec_lo, s33
.LBB319_40:                             ;   in Loop: Header=BB319_9 Depth=1
	s_or_b32 exec_lo, exec_lo, s31
.LBB319_41:                             ;   in Loop: Header=BB319_9 Depth=1
	s_or_b32 exec_lo, exec_lo, s4
	global_load_ushort v1, v[7:8], off offset:128
	v_mov_b32_e32 v58, 0
	v_mov_b32_e32 v57, 0
	s_waitcnt vmcnt(0)
	v_and_b32_e32 v59, 0xffff, v1
	v_cmp_ne_u16_sdwa s3, v1, v2 src0_sel:BYTE_0 src1_sel:DWORD
	s_and_saveexec_b32 s4, s3
	s_cbranch_execz .LBB319_49
; %bb.42:                               ;   in Loop: Header=BB319_9 Depth=1
	v_cmp_ne_u16_sdwa s3, v59, v50 src0_sel:BYTE_0 src1_sel:DWORD
	v_bfrev_b32_e32 v57, 1
	s_and_saveexec_b32 s31, s3
	s_cbranch_execz .LBB319_48
; %bb.43:                               ;   in Loop: Header=BB319_9 Depth=1
	v_and_b32_e32 v60, 0x7f, v59
	v_mov_b32_e32 v57, 0x7f800001
	s_mov_b32 s33, exec_lo
	v_cmpx_ne_u32_e32 0x7f, v60
	s_cbranch_execz .LBB319_47
; %bb.44:                               ;   in Loop: Header=BB319_9 Depth=1
	v_and_b32_e32 v1, 7, v59
	v_lshrrev_b32_e32 v57, 3, v60
	s_mov_b32 s34, exec_lo
	v_cmpx_gt_u32_e32 8, v60
; %bb.45:                               ;   in Loop: Header=BB319_9 Depth=1
	v_ffbh_u32_e32 v57, v1
	v_min_u32_e32 v57, 32, v57
	v_subrev_nc_u32_e32 v60, 28, v57
	v_sub_nc_u32_e32 v57, 29, v57
	v_lshlrev_b64 v[60:61], v60, v[1:2]
	v_and_b32_e32 v1, 7, v60
; %bb.46:                               ;   in Loop: Header=BB319_9 Depth=1
	s_or_b32 exec_lo, exec_lo, s34
	v_lshlrev_b32_e32 v60, 24, v59
	v_lshlrev_b32_e32 v1, 20, v1
	v_lshl_add_u32 v57, v57, 23, 0x3c000000
	v_and_b32_e32 v60, 0x80000000, v60
	v_or3_b32 v57, v1, v60, v57
.LBB319_47:                             ;   in Loop: Header=BB319_9 Depth=1
	s_or_b32 exec_lo, exec_lo, s33
.LBB319_48:                             ;   in Loop: Header=BB319_9 Depth=1
	s_or_b32 exec_lo, exec_lo, s31
.LBB319_49:                             ;   in Loop: Header=BB319_9 Depth=1
	s_or_b32 exec_lo, exec_lo, s4
	v_cmp_ne_u16_sdwa s3, v59, v2 src0_sel:BYTE_1 src1_sel:DWORD
	s_and_saveexec_b32 s4, s3
	s_cbranch_execz .LBB319_57
; %bb.50:                               ;   in Loop: Header=BB319_9 Depth=1
	v_cmp_ne_u16_sdwa s3, v59, v50 src0_sel:BYTE_1 src1_sel:DWORD
	v_bfrev_b32_e32 v58, 1
	s_and_saveexec_b32 s31, s3
	s_cbranch_execz .LBB319_56
; %bb.51:                               ;   in Loop: Header=BB319_9 Depth=1
	v_and_b32_sdwa v1, v51, v59 dst_sel:DWORD dst_unused:UNUSED_PAD src0_sel:DWORD src1_sel:BYTE_1
	v_mov_b32_e32 v58, 0x7f800001
	s_mov_b32 s33, exec_lo
	v_and_b32_e32 v60, 0x7f, v1
	v_cmpx_ne_u32_e32 0x7f, v60
	s_cbranch_execz .LBB319_55
; %bb.52:                               ;   in Loop: Header=BB319_9 Depth=1
	v_and_b32_e32 v1, 7, v1
	v_lshrrev_b32_e32 v58, 3, v60
	s_mov_b32 s34, exec_lo
	v_cmpx_gt_u32_e32 8, v60
; %bb.53:                               ;   in Loop: Header=BB319_9 Depth=1
	v_ffbh_u32_e32 v58, v1
	v_min_u32_e32 v58, 32, v58
	v_subrev_nc_u32_e32 v60, 28, v58
	v_sub_nc_u32_e32 v58, 29, v58
	v_lshlrev_b64 v[60:61], v60, v[1:2]
	v_and_b32_e32 v1, 7, v60
; %bb.54:                               ;   in Loop: Header=BB319_9 Depth=1
	s_or_b32 exec_lo, exec_lo, s34
	v_lshlrev_b32_e32 v59, 16, v59
	v_lshlrev_b32_e32 v1, 20, v1
	v_lshl_add_u32 v58, v58, 23, 0x3c000000
	v_and_b32_e32 v59, 0x80000000, v59
	v_or3_b32 v58, v1, v59, v58
.LBB319_55:                             ;   in Loop: Header=BB319_9 Depth=1
	s_or_b32 exec_lo, exec_lo, s33
.LBB319_56:                             ;   in Loop: Header=BB319_9 Depth=1
	s_or_b32 exec_lo, exec_lo, s31
.LBB319_57:                             ;   in Loop: Header=BB319_9 Depth=1
	s_or_b32 exec_lo, exec_lo, s4
	global_load_ushort v1, v[7:8], off offset:136
	v_mov_b32_e32 v61, 0
	v_mov_b32_e32 v60, 0
	s_waitcnt vmcnt(0)
	v_and_b32_e32 v59, 0xffff, v1
	v_cmp_ne_u16_sdwa s3, v1, v2 src0_sel:BYTE_0 src1_sel:DWORD
	s_and_saveexec_b32 s4, s3
	s_cbranch_execz .LBB319_65
; %bb.58:                               ;   in Loop: Header=BB319_9 Depth=1
	v_cmp_ne_u16_sdwa s3, v59, v50 src0_sel:BYTE_0 src1_sel:DWORD
	v_bfrev_b32_e32 v60, 1
	s_and_saveexec_b32 s31, s3
	s_cbranch_execz .LBB319_64
; %bb.59:                               ;   in Loop: Header=BB319_9 Depth=1
	v_and_b32_e32 v62, 0x7f, v59
	v_mov_b32_e32 v60, 0x7f800001
	s_mov_b32 s33, exec_lo
	v_cmpx_ne_u32_e32 0x7f, v62
	s_cbranch_execz .LBB319_63
; %bb.60:                               ;   in Loop: Header=BB319_9 Depth=1
	v_and_b32_e32 v1, 7, v59
	v_lshrrev_b32_e32 v60, 3, v62
	s_mov_b32 s34, exec_lo
	v_cmpx_gt_u32_e32 8, v62
; %bb.61:                               ;   in Loop: Header=BB319_9 Depth=1
	v_ffbh_u32_e32 v60, v1
	v_min_u32_e32 v60, 32, v60
	v_subrev_nc_u32_e32 v62, 28, v60
	v_sub_nc_u32_e32 v60, 29, v60
	v_lshlrev_b64 v[62:63], v62, v[1:2]
	v_and_b32_e32 v1, 7, v62
; %bb.62:                               ;   in Loop: Header=BB319_9 Depth=1
	s_or_b32 exec_lo, exec_lo, s34
	v_lshlrev_b32_e32 v62, 24, v59
	v_lshlrev_b32_e32 v1, 20, v1
	v_lshl_add_u32 v60, v60, 23, 0x3c000000
	v_and_b32_e32 v62, 0x80000000, v62
	v_or3_b32 v60, v1, v62, v60
.LBB319_63:                             ;   in Loop: Header=BB319_9 Depth=1
	s_or_b32 exec_lo, exec_lo, s33
.LBB319_64:                             ;   in Loop: Header=BB319_9 Depth=1
	s_or_b32 exec_lo, exec_lo, s31
.LBB319_65:                             ;   in Loop: Header=BB319_9 Depth=1
	s_or_b32 exec_lo, exec_lo, s4
	v_cmp_ne_u16_sdwa s3, v59, v2 src0_sel:BYTE_1 src1_sel:DWORD
	s_and_saveexec_b32 s4, s3
	s_cbranch_execz .LBB319_73
; %bb.66:                               ;   in Loop: Header=BB319_9 Depth=1
	v_cmp_ne_u16_sdwa s3, v59, v50 src0_sel:BYTE_1 src1_sel:DWORD
	v_bfrev_b32_e32 v61, 1
	s_and_saveexec_b32 s31, s3
	s_cbranch_execz .LBB319_72
; %bb.67:                               ;   in Loop: Header=BB319_9 Depth=1
	v_and_b32_sdwa v1, v51, v59 dst_sel:DWORD dst_unused:UNUSED_PAD src0_sel:DWORD src1_sel:BYTE_1
	v_mov_b32_e32 v61, 0x7f800001
	s_mov_b32 s33, exec_lo
	v_and_b32_e32 v62, 0x7f, v1
	v_cmpx_ne_u32_e32 0x7f, v62
	s_cbranch_execz .LBB319_71
; %bb.68:                               ;   in Loop: Header=BB319_9 Depth=1
	v_and_b32_e32 v1, 7, v1
	v_lshrrev_b32_e32 v61, 3, v62
	s_mov_b32 s34, exec_lo
	v_cmpx_gt_u32_e32 8, v62
; %bb.69:                               ;   in Loop: Header=BB319_9 Depth=1
	v_ffbh_u32_e32 v61, v1
	v_min_u32_e32 v61, 32, v61
	v_subrev_nc_u32_e32 v62, 28, v61
	v_sub_nc_u32_e32 v61, 29, v61
	v_lshlrev_b64 v[62:63], v62, v[1:2]
	v_and_b32_e32 v1, 7, v62
; %bb.70:                               ;   in Loop: Header=BB319_9 Depth=1
	s_or_b32 exec_lo, exec_lo, s34
	v_lshlrev_b32_e32 v59, 16, v59
	v_lshlrev_b32_e32 v1, 20, v1
	v_lshl_add_u32 v61, v61, 23, 0x3c000000
	v_and_b32_e32 v59, 0x80000000, v59
	v_or3_b32 v61, v1, v59, v61
.LBB319_71:                             ;   in Loop: Header=BB319_9 Depth=1
	s_or_b32 exec_lo, exec_lo, s33
.LBB319_72:                             ;   in Loop: Header=BB319_9 Depth=1
	s_or_b32 exec_lo, exec_lo, s31
.LBB319_73:                             ;   in Loop: Header=BB319_9 Depth=1
	s_or_b32 exec_lo, exec_lo, s4
	global_load_ushort v1, v[7:8], off offset:256
	v_mov_b32_e32 v59, 0
	v_mov_b32_e32 v62, 0
	s_waitcnt vmcnt(0)
	v_and_b32_e32 v63, 0xffff, v1
	v_cmp_ne_u16_sdwa s3, v1, v2 src0_sel:BYTE_0 src1_sel:DWORD
	s_and_saveexec_b32 s4, s3
	s_cbranch_execz .LBB319_81
; %bb.74:                               ;   in Loop: Header=BB319_9 Depth=1
	v_cmp_ne_u16_sdwa s3, v63, v50 src0_sel:BYTE_0 src1_sel:DWORD
	v_bfrev_b32_e32 v62, 1
	s_and_saveexec_b32 s31, s3
	s_cbranch_execz .LBB319_80
; %bb.75:                               ;   in Loop: Header=BB319_9 Depth=1
	v_and_b32_e32 v64, 0x7f, v63
	v_mov_b32_e32 v62, 0x7f800001
	s_mov_b32 s33, exec_lo
	v_cmpx_ne_u32_e32 0x7f, v64
	s_cbranch_execz .LBB319_79
; %bb.76:                               ;   in Loop: Header=BB319_9 Depth=1
	v_and_b32_e32 v1, 7, v63
	v_lshrrev_b32_e32 v62, 3, v64
	s_mov_b32 s34, exec_lo
	v_cmpx_gt_u32_e32 8, v64
; %bb.77:                               ;   in Loop: Header=BB319_9 Depth=1
	v_ffbh_u32_e32 v62, v1
	v_min_u32_e32 v62, 32, v62
	v_subrev_nc_u32_e32 v64, 28, v62
	v_sub_nc_u32_e32 v62, 29, v62
	v_lshlrev_b64 v[64:65], v64, v[1:2]
	v_and_b32_e32 v1, 7, v64
; %bb.78:                               ;   in Loop: Header=BB319_9 Depth=1
	s_or_b32 exec_lo, exec_lo, s34
	v_lshlrev_b32_e32 v64, 24, v63
	v_lshlrev_b32_e32 v1, 20, v1
	v_lshl_add_u32 v62, v62, 23, 0x3c000000
	v_and_b32_e32 v64, 0x80000000, v64
	v_or3_b32 v62, v1, v64, v62
.LBB319_79:                             ;   in Loop: Header=BB319_9 Depth=1
	s_or_b32 exec_lo, exec_lo, s33
.LBB319_80:                             ;   in Loop: Header=BB319_9 Depth=1
	s_or_b32 exec_lo, exec_lo, s31
.LBB319_81:                             ;   in Loop: Header=BB319_9 Depth=1
	s_or_b32 exec_lo, exec_lo, s4
	v_cmp_ne_u16_sdwa s3, v63, v2 src0_sel:BYTE_1 src1_sel:DWORD
	s_and_saveexec_b32 s4, s3
	s_cbranch_execz .LBB319_89
; %bb.82:                               ;   in Loop: Header=BB319_9 Depth=1
	v_cmp_ne_u16_sdwa s3, v63, v50 src0_sel:BYTE_1 src1_sel:DWORD
	v_bfrev_b32_e32 v59, 1
	s_and_saveexec_b32 s31, s3
	s_cbranch_execz .LBB319_88
; %bb.83:                               ;   in Loop: Header=BB319_9 Depth=1
	v_and_b32_sdwa v1, v51, v63 dst_sel:DWORD dst_unused:UNUSED_PAD src0_sel:DWORD src1_sel:BYTE_1
	v_mov_b32_e32 v59, 0x7f800001
	s_mov_b32 s33, exec_lo
	v_and_b32_e32 v64, 0x7f, v1
	v_cmpx_ne_u32_e32 0x7f, v64
	s_cbranch_execz .LBB319_87
; %bb.84:                               ;   in Loop: Header=BB319_9 Depth=1
	v_and_b32_e32 v1, 7, v1
	v_lshrrev_b32_e32 v59, 3, v64
	s_mov_b32 s34, exec_lo
	v_cmpx_gt_u32_e32 8, v64
; %bb.85:                               ;   in Loop: Header=BB319_9 Depth=1
	v_ffbh_u32_e32 v59, v1
	v_min_u32_e32 v59, 32, v59
	v_subrev_nc_u32_e32 v64, 28, v59
	v_sub_nc_u32_e32 v59, 29, v59
	v_lshlrev_b64 v[64:65], v64, v[1:2]
	v_and_b32_e32 v1, 7, v64
; %bb.86:                               ;   in Loop: Header=BB319_9 Depth=1
	s_or_b32 exec_lo, exec_lo, s34
	v_lshlrev_b32_e32 v63, 16, v63
	v_lshlrev_b32_e32 v1, 20, v1
	v_lshl_add_u32 v59, v59, 23, 0x3c000000
	v_and_b32_e32 v63, 0x80000000, v63
	v_or3_b32 v59, v1, v63, v59
.LBB319_87:                             ;   in Loop: Header=BB319_9 Depth=1
	s_or_b32 exec_lo, exec_lo, s33
.LBB319_88:                             ;   in Loop: Header=BB319_9 Depth=1
	s_or_b32 exec_lo, exec_lo, s31
.LBB319_89:                             ;   in Loop: Header=BB319_9 Depth=1
	s_or_b32 exec_lo, exec_lo, s4
	global_load_ushort v1, v[7:8], off offset:264
	v_mov_b32_e32 v66, 0
	v_mov_b32_e32 v63, 0
	s_waitcnt vmcnt(0)
	v_and_b32_e32 v64, 0xffff, v1
	v_cmp_ne_u16_sdwa s3, v1, v2 src0_sel:BYTE_0 src1_sel:DWORD
	s_and_saveexec_b32 s4, s3
	s_cbranch_execz .LBB319_97
; %bb.90:                               ;   in Loop: Header=BB319_9 Depth=1
	v_cmp_ne_u16_sdwa s3, v64, v50 src0_sel:BYTE_0 src1_sel:DWORD
	v_bfrev_b32_e32 v63, 1
	s_and_saveexec_b32 s31, s3
	s_cbranch_execz .LBB319_96
; %bb.91:                               ;   in Loop: Header=BB319_9 Depth=1
	v_and_b32_e32 v65, 0x7f, v64
	v_mov_b32_e32 v63, 0x7f800001
	s_mov_b32 s33, exec_lo
	v_cmpx_ne_u32_e32 0x7f, v65
	s_cbranch_execz .LBB319_95
; %bb.92:                               ;   in Loop: Header=BB319_9 Depth=1
	v_and_b32_e32 v1, 7, v64
	v_lshrrev_b32_e32 v63, 3, v65
	s_mov_b32 s34, exec_lo
	v_cmpx_gt_u32_e32 8, v65
; %bb.93:                               ;   in Loop: Header=BB319_9 Depth=1
	v_ffbh_u32_e32 v63, v1
	v_min_u32_e32 v63, 32, v63
	v_subrev_nc_u32_e32 v65, 28, v63
	v_sub_nc_u32_e32 v63, 29, v63
	v_lshlrev_b64 v[67:68], v65, v[1:2]
	v_and_b32_e32 v1, 7, v67
; %bb.94:                               ;   in Loop: Header=BB319_9 Depth=1
	s_or_b32 exec_lo, exec_lo, s34
	v_lshlrev_b32_e32 v65, 24, v64
	v_lshlrev_b32_e32 v1, 20, v1
	v_lshl_add_u32 v63, v63, 23, 0x3c000000
	v_and_b32_e32 v65, 0x80000000, v65
	v_or3_b32 v63, v1, v65, v63
.LBB319_95:                             ;   in Loop: Header=BB319_9 Depth=1
	s_or_b32 exec_lo, exec_lo, s33
.LBB319_96:                             ;   in Loop: Header=BB319_9 Depth=1
	s_or_b32 exec_lo, exec_lo, s31
.LBB319_97:                             ;   in Loop: Header=BB319_9 Depth=1
	s_or_b32 exec_lo, exec_lo, s4
	v_cmp_ne_u16_sdwa s3, v64, v2 src0_sel:BYTE_1 src1_sel:DWORD
	s_and_saveexec_b32 s4, s3
	s_cbranch_execz .LBB319_105
; %bb.98:                               ;   in Loop: Header=BB319_9 Depth=1
	v_cmp_ne_u16_sdwa s3, v64, v50 src0_sel:BYTE_1 src1_sel:DWORD
	v_bfrev_b32_e32 v66, 1
	s_and_saveexec_b32 s31, s3
	s_cbranch_execz .LBB319_104
; %bb.99:                               ;   in Loop: Header=BB319_9 Depth=1
	v_and_b32_sdwa v1, v51, v64 dst_sel:DWORD dst_unused:UNUSED_PAD src0_sel:DWORD src1_sel:BYTE_1
	v_mov_b32_e32 v66, 0x7f800001
	s_mov_b32 s33, exec_lo
	v_and_b32_e32 v67, 0x7f, v1
	v_cmpx_ne_u32_e32 0x7f, v67
	s_cbranch_execz .LBB319_103
; %bb.100:                              ;   in Loop: Header=BB319_9 Depth=1
	v_and_b32_e32 v1, 7, v1
	v_lshrrev_b32_e32 v65, 3, v67
	s_mov_b32 s34, exec_lo
	v_cmpx_gt_u32_e32 8, v67
; %bb.101:                              ;   in Loop: Header=BB319_9 Depth=1
	v_ffbh_u32_e32 v65, v1
	v_min_u32_e32 v65, 32, v65
	v_subrev_nc_u32_e32 v66, 28, v65
	v_sub_nc_u32_e32 v65, 29, v65
	v_lshlrev_b64 v[66:67], v66, v[1:2]
	v_and_b32_e32 v1, 7, v66
; %bb.102:                              ;   in Loop: Header=BB319_9 Depth=1
	s_or_b32 exec_lo, exec_lo, s34
	v_lshlrev_b32_e32 v64, 16, v64
	v_lshlrev_b32_e32 v1, 20, v1
	v_lshl_add_u32 v65, v65, 23, 0x3c000000
	v_and_b32_e32 v64, 0x80000000, v64
	v_or3_b32 v66, v1, v64, v65
.LBB319_103:                            ;   in Loop: Header=BB319_9 Depth=1
	s_or_b32 exec_lo, exec_lo, s33
.LBB319_104:                            ;   in Loop: Header=BB319_9 Depth=1
	s_or_b32 exec_lo, exec_lo, s31
.LBB319_105:                            ;   in Loop: Header=BB319_9 Depth=1
	s_or_b32 exec_lo, exec_lo, s4
	global_load_ushort v1, v[7:8], off offset:384
	v_mov_b32_e32 v65, 0
	v_mov_b32_e32 v64, 0
	s_waitcnt vmcnt(0)
	v_and_b32_e32 v67, 0xffff, v1
	v_cmp_ne_u16_sdwa s3, v1, v2 src0_sel:BYTE_0 src1_sel:DWORD
	s_and_saveexec_b32 s4, s3
	s_cbranch_execz .LBB319_113
; %bb.106:                              ;   in Loop: Header=BB319_9 Depth=1
	v_cmp_ne_u16_sdwa s3, v67, v50 src0_sel:BYTE_0 src1_sel:DWORD
	v_bfrev_b32_e32 v64, 1
	s_and_saveexec_b32 s31, s3
	s_cbranch_execz .LBB319_112
; %bb.107:                              ;   in Loop: Header=BB319_9 Depth=1
	v_and_b32_e32 v68, 0x7f, v67
	v_mov_b32_e32 v64, 0x7f800001
	s_mov_b32 s33, exec_lo
	v_cmpx_ne_u32_e32 0x7f, v68
	s_cbranch_execz .LBB319_111
; %bb.108:                              ;   in Loop: Header=BB319_9 Depth=1
	v_and_b32_e32 v1, 7, v67
	v_lshrrev_b32_e32 v64, 3, v68
	s_mov_b32 s34, exec_lo
	v_cmpx_gt_u32_e32 8, v68
; %bb.109:                              ;   in Loop: Header=BB319_9 Depth=1
	v_ffbh_u32_e32 v64, v1
	v_min_u32_e32 v64, 32, v64
	v_subrev_nc_u32_e32 v68, 28, v64
	v_sub_nc_u32_e32 v64, 29, v64
	v_lshlrev_b64 v[68:69], v68, v[1:2]
	v_and_b32_e32 v1, 7, v68
; %bb.110:                              ;   in Loop: Header=BB319_9 Depth=1
	s_or_b32 exec_lo, exec_lo, s34
	v_lshlrev_b32_e32 v68, 24, v67
	v_lshlrev_b32_e32 v1, 20, v1
	v_lshl_add_u32 v64, v64, 23, 0x3c000000
	v_and_b32_e32 v68, 0x80000000, v68
	v_or3_b32 v64, v1, v68, v64
.LBB319_111:                            ;   in Loop: Header=BB319_9 Depth=1
	s_or_b32 exec_lo, exec_lo, s33
.LBB319_112:                            ;   in Loop: Header=BB319_9 Depth=1
	s_or_b32 exec_lo, exec_lo, s31
.LBB319_113:                            ;   in Loop: Header=BB319_9 Depth=1
	s_or_b32 exec_lo, exec_lo, s4
	v_cmp_ne_u16_sdwa s3, v67, v2 src0_sel:BYTE_1 src1_sel:DWORD
	s_and_saveexec_b32 s4, s3
	s_cbranch_execz .LBB319_121
; %bb.114:                              ;   in Loop: Header=BB319_9 Depth=1
	v_cmp_ne_u16_sdwa s3, v67, v50 src0_sel:BYTE_1 src1_sel:DWORD
	v_bfrev_b32_e32 v65, 1
	s_and_saveexec_b32 s31, s3
	s_cbranch_execz .LBB319_120
; %bb.115:                              ;   in Loop: Header=BB319_9 Depth=1
	v_and_b32_sdwa v1, v51, v67 dst_sel:DWORD dst_unused:UNUSED_PAD src0_sel:DWORD src1_sel:BYTE_1
	v_mov_b32_e32 v65, 0x7f800001
	s_mov_b32 s33, exec_lo
	v_and_b32_e32 v68, 0x7f, v1
	v_cmpx_ne_u32_e32 0x7f, v68
	s_cbranch_execz .LBB319_119
; %bb.116:                              ;   in Loop: Header=BB319_9 Depth=1
	v_and_b32_e32 v1, 7, v1
	v_lshrrev_b32_e32 v65, 3, v68
	s_mov_b32 s34, exec_lo
	v_cmpx_gt_u32_e32 8, v68
; %bb.117:                              ;   in Loop: Header=BB319_9 Depth=1
	v_ffbh_u32_e32 v65, v1
	v_min_u32_e32 v65, 32, v65
	v_subrev_nc_u32_e32 v68, 28, v65
	v_sub_nc_u32_e32 v65, 29, v65
	v_lshlrev_b64 v[68:69], v68, v[1:2]
	v_and_b32_e32 v1, 7, v68
; %bb.118:                              ;   in Loop: Header=BB319_9 Depth=1
	s_or_b32 exec_lo, exec_lo, s34
	v_lshlrev_b32_e32 v67, 16, v67
	v_lshlrev_b32_e32 v1, 20, v1
	v_lshl_add_u32 v65, v65, 23, 0x3c000000
	v_and_b32_e32 v67, 0x80000000, v67
	v_or3_b32 v65, v1, v67, v65
.LBB319_119:                            ;   in Loop: Header=BB319_9 Depth=1
	s_or_b32 exec_lo, exec_lo, s33
.LBB319_120:                            ;   in Loop: Header=BB319_9 Depth=1
	s_or_b32 exec_lo, exec_lo, s31
.LBB319_121:                            ;   in Loop: Header=BB319_9 Depth=1
	s_or_b32 exec_lo, exec_lo, s4
	global_load_ushort v1, v[7:8], off offset:392
	v_mov_b32_e32 v68, 0
	v_mov_b32_e32 v67, 0
	s_waitcnt vmcnt(0)
	v_and_b32_e32 v69, 0xffff, v1
	v_cmp_ne_u16_sdwa s3, v1, v2 src0_sel:BYTE_0 src1_sel:DWORD
	s_and_saveexec_b32 s4, s3
	s_cbranch_execz .LBB319_129
; %bb.122:                              ;   in Loop: Header=BB319_9 Depth=1
	v_cmp_ne_u16_sdwa s3, v69, v50 src0_sel:BYTE_0 src1_sel:DWORD
	v_bfrev_b32_e32 v67, 1
	s_and_saveexec_b32 s31, s3
	s_cbranch_execz .LBB319_128
; %bb.123:                              ;   in Loop: Header=BB319_9 Depth=1
	v_and_b32_e32 v70, 0x7f, v69
	v_mov_b32_e32 v67, 0x7f800001
	s_mov_b32 s33, exec_lo
	v_cmpx_ne_u32_e32 0x7f, v70
	s_cbranch_execz .LBB319_127
; %bb.124:                              ;   in Loop: Header=BB319_9 Depth=1
	v_and_b32_e32 v1, 7, v69
	v_lshrrev_b32_e32 v67, 3, v70
	s_mov_b32 s34, exec_lo
	v_cmpx_gt_u32_e32 8, v70
; %bb.125:                              ;   in Loop: Header=BB319_9 Depth=1
	v_ffbh_u32_e32 v67, v1
	v_min_u32_e32 v67, 32, v67
	v_subrev_nc_u32_e32 v70, 28, v67
	v_sub_nc_u32_e32 v67, 29, v67
	v_lshlrev_b64 v[70:71], v70, v[1:2]
	v_and_b32_e32 v1, 7, v70
; %bb.126:                              ;   in Loop: Header=BB319_9 Depth=1
	s_or_b32 exec_lo, exec_lo, s34
	v_lshlrev_b32_e32 v70, 24, v69
	v_lshlrev_b32_e32 v1, 20, v1
	v_lshl_add_u32 v67, v67, 23, 0x3c000000
	v_and_b32_e32 v70, 0x80000000, v70
	v_or3_b32 v67, v1, v70, v67
.LBB319_127:                            ;   in Loop: Header=BB319_9 Depth=1
	s_or_b32 exec_lo, exec_lo, s33
.LBB319_128:                            ;   in Loop: Header=BB319_9 Depth=1
	s_or_b32 exec_lo, exec_lo, s31
.LBB319_129:                            ;   in Loop: Header=BB319_9 Depth=1
	s_or_b32 exec_lo, exec_lo, s4
	v_cmp_ne_u16_sdwa s3, v69, v2 src0_sel:BYTE_1 src1_sel:DWORD
	s_and_saveexec_b32 s4, s3
	s_cbranch_execz .LBB319_137
; %bb.130:                              ;   in Loop: Header=BB319_9 Depth=1
	v_cmp_ne_u16_sdwa s3, v69, v50 src0_sel:BYTE_1 src1_sel:DWORD
	v_bfrev_b32_e32 v68, 1
	s_and_saveexec_b32 s31, s3
	s_cbranch_execz .LBB319_136
; %bb.131:                              ;   in Loop: Header=BB319_9 Depth=1
	v_and_b32_sdwa v1, v51, v69 dst_sel:DWORD dst_unused:UNUSED_PAD src0_sel:DWORD src1_sel:BYTE_1
	v_mov_b32_e32 v68, 0x7f800001
	s_mov_b32 s33, exec_lo
	v_and_b32_e32 v70, 0x7f, v1
	v_cmpx_ne_u32_e32 0x7f, v70
	s_cbranch_execz .LBB319_135
; %bb.132:                              ;   in Loop: Header=BB319_9 Depth=1
	v_and_b32_e32 v1, 7, v1
	v_lshrrev_b32_e32 v68, 3, v70
	s_mov_b32 s34, exec_lo
	v_cmpx_gt_u32_e32 8, v70
; %bb.133:                              ;   in Loop: Header=BB319_9 Depth=1
	v_ffbh_u32_e32 v68, v1
	v_min_u32_e32 v68, 32, v68
	v_subrev_nc_u32_e32 v70, 28, v68
	v_sub_nc_u32_e32 v68, 29, v68
	v_lshlrev_b64 v[70:71], v70, v[1:2]
	v_and_b32_e32 v1, 7, v70
; %bb.134:                              ;   in Loop: Header=BB319_9 Depth=1
	s_or_b32 exec_lo, exec_lo, s34
	v_lshlrev_b32_e32 v69, 16, v69
	v_lshlrev_b32_e32 v1, 20, v1
	v_lshl_add_u32 v68, v68, 23, 0x3c000000
	v_and_b32_e32 v69, 0x80000000, v69
	v_or3_b32 v68, v1, v69, v68
.LBB319_135:                            ;   in Loop: Header=BB319_9 Depth=1
	s_or_b32 exec_lo, exec_lo, s33
.LBB319_136:                            ;   in Loop: Header=BB319_9 Depth=1
	s_or_b32 exec_lo, exec_lo, s31
.LBB319_137:                            ;   in Loop: Header=BB319_9 Depth=1
	s_or_b32 exec_lo, exec_lo, s4
	global_load_ushort v1, v[7:8], off offset:512
	v_mov_b32_e32 v70, 0
	v_mov_b32_e32 v69, 0
	s_waitcnt vmcnt(0)
	v_and_b32_e32 v71, 0xffff, v1
	v_cmp_ne_u16_sdwa s3, v1, v2 src0_sel:BYTE_0 src1_sel:DWORD
	s_and_saveexec_b32 s4, s3
	s_cbranch_execz .LBB319_145
; %bb.138:                              ;   in Loop: Header=BB319_9 Depth=1
	v_cmp_ne_u16_sdwa s3, v71, v50 src0_sel:BYTE_0 src1_sel:DWORD
	v_bfrev_b32_e32 v69, 1
	s_and_saveexec_b32 s31, s3
	s_cbranch_execz .LBB319_144
; %bb.139:                              ;   in Loop: Header=BB319_9 Depth=1
	v_and_b32_e32 v72, 0x7f, v71
	v_mov_b32_e32 v69, 0x7f800001
	s_mov_b32 s33, exec_lo
	v_cmpx_ne_u32_e32 0x7f, v72
	s_cbranch_execz .LBB319_143
; %bb.140:                              ;   in Loop: Header=BB319_9 Depth=1
	v_and_b32_e32 v1, 7, v71
	v_lshrrev_b32_e32 v69, 3, v72
	s_mov_b32 s34, exec_lo
	v_cmpx_gt_u32_e32 8, v72
; %bb.141:                              ;   in Loop: Header=BB319_9 Depth=1
	v_ffbh_u32_e32 v69, v1
	v_min_u32_e32 v69, 32, v69
	v_subrev_nc_u32_e32 v72, 28, v69
	v_sub_nc_u32_e32 v69, 29, v69
	v_lshlrev_b64 v[72:73], v72, v[1:2]
	v_and_b32_e32 v1, 7, v72
; %bb.142:                              ;   in Loop: Header=BB319_9 Depth=1
	s_or_b32 exec_lo, exec_lo, s34
	v_lshlrev_b32_e32 v72, 24, v71
	v_lshlrev_b32_e32 v1, 20, v1
	v_lshl_add_u32 v69, v69, 23, 0x3c000000
	v_and_b32_e32 v72, 0x80000000, v72
	v_or3_b32 v69, v1, v72, v69
.LBB319_143:                            ;   in Loop: Header=BB319_9 Depth=1
	s_or_b32 exec_lo, exec_lo, s33
.LBB319_144:                            ;   in Loop: Header=BB319_9 Depth=1
	s_or_b32 exec_lo, exec_lo, s31
.LBB319_145:                            ;   in Loop: Header=BB319_9 Depth=1
	s_or_b32 exec_lo, exec_lo, s4
	v_cmp_ne_u16_sdwa s3, v71, v2 src0_sel:BYTE_1 src1_sel:DWORD
	s_and_saveexec_b32 s4, s3
	s_cbranch_execz .LBB319_153
; %bb.146:                              ;   in Loop: Header=BB319_9 Depth=1
	v_cmp_ne_u16_sdwa s3, v71, v50 src0_sel:BYTE_1 src1_sel:DWORD
	v_bfrev_b32_e32 v70, 1
	s_and_saveexec_b32 s31, s3
	s_cbranch_execz .LBB319_152
; %bb.147:                              ;   in Loop: Header=BB319_9 Depth=1
	v_and_b32_sdwa v1, v51, v71 dst_sel:DWORD dst_unused:UNUSED_PAD src0_sel:DWORD src1_sel:BYTE_1
	v_mov_b32_e32 v70, 0x7f800001
	s_mov_b32 s33, exec_lo
	v_and_b32_e32 v72, 0x7f, v1
	v_cmpx_ne_u32_e32 0x7f, v72
	s_cbranch_execz .LBB319_151
; %bb.148:                              ;   in Loop: Header=BB319_9 Depth=1
	v_and_b32_e32 v1, 7, v1
	v_lshrrev_b32_e32 v70, 3, v72
	s_mov_b32 s34, exec_lo
	v_cmpx_gt_u32_e32 8, v72
; %bb.149:                              ;   in Loop: Header=BB319_9 Depth=1
	v_ffbh_u32_e32 v70, v1
	v_min_u32_e32 v70, 32, v70
	v_subrev_nc_u32_e32 v72, 28, v70
	v_sub_nc_u32_e32 v70, 29, v70
	v_lshlrev_b64 v[72:73], v72, v[1:2]
	v_and_b32_e32 v1, 7, v72
; %bb.150:                              ;   in Loop: Header=BB319_9 Depth=1
	s_or_b32 exec_lo, exec_lo, s34
	v_lshlrev_b32_e32 v71, 16, v71
	v_lshlrev_b32_e32 v1, 20, v1
	v_lshl_add_u32 v70, v70, 23, 0x3c000000
	v_and_b32_e32 v71, 0x80000000, v71
	v_or3_b32 v70, v1, v71, v70
.LBB319_151:                            ;   in Loop: Header=BB319_9 Depth=1
	s_or_b32 exec_lo, exec_lo, s33
.LBB319_152:                            ;   in Loop: Header=BB319_9 Depth=1
	s_or_b32 exec_lo, exec_lo, s31
.LBB319_153:                            ;   in Loop: Header=BB319_9 Depth=1
	s_or_b32 exec_lo, exec_lo, s4
	global_load_ushort v1, v[7:8], off offset:520
	v_mov_b32_e32 v72, 0
	v_mov_b32_e32 v71, 0
	s_waitcnt vmcnt(0)
	v_and_b32_e32 v73, 0xffff, v1
	v_cmp_ne_u16_sdwa s3, v1, v2 src0_sel:BYTE_0 src1_sel:DWORD
	s_and_saveexec_b32 s4, s3
	s_cbranch_execz .LBB319_161
; %bb.154:                              ;   in Loop: Header=BB319_9 Depth=1
	v_cmp_ne_u16_sdwa s3, v73, v50 src0_sel:BYTE_0 src1_sel:DWORD
	v_bfrev_b32_e32 v71, 1
	s_and_saveexec_b32 s31, s3
	s_cbranch_execz .LBB319_160
; %bb.155:                              ;   in Loop: Header=BB319_9 Depth=1
	v_and_b32_e32 v74, 0x7f, v73
	v_mov_b32_e32 v71, 0x7f800001
	s_mov_b32 s33, exec_lo
	v_cmpx_ne_u32_e32 0x7f, v74
	s_cbranch_execz .LBB319_159
; %bb.156:                              ;   in Loop: Header=BB319_9 Depth=1
	v_and_b32_e32 v1, 7, v73
	v_lshrrev_b32_e32 v71, 3, v74
	s_mov_b32 s34, exec_lo
	v_cmpx_gt_u32_e32 8, v74
; %bb.157:                              ;   in Loop: Header=BB319_9 Depth=1
	v_ffbh_u32_e32 v71, v1
	v_min_u32_e32 v71, 32, v71
	v_subrev_nc_u32_e32 v74, 28, v71
	v_sub_nc_u32_e32 v71, 29, v71
	v_lshlrev_b64 v[74:75], v74, v[1:2]
	v_and_b32_e32 v1, 7, v74
; %bb.158:                              ;   in Loop: Header=BB319_9 Depth=1
	s_or_b32 exec_lo, exec_lo, s34
	v_lshlrev_b32_e32 v74, 24, v73
	v_lshlrev_b32_e32 v1, 20, v1
	v_lshl_add_u32 v71, v71, 23, 0x3c000000
	v_and_b32_e32 v74, 0x80000000, v74
	v_or3_b32 v71, v1, v74, v71
.LBB319_159:                            ;   in Loop: Header=BB319_9 Depth=1
	s_or_b32 exec_lo, exec_lo, s33
.LBB319_160:                            ;   in Loop: Header=BB319_9 Depth=1
	s_or_b32 exec_lo, exec_lo, s31
.LBB319_161:                            ;   in Loop: Header=BB319_9 Depth=1
	s_or_b32 exec_lo, exec_lo, s4
	v_cmp_ne_u16_sdwa s3, v73, v2 src0_sel:BYTE_1 src1_sel:DWORD
	s_and_saveexec_b32 s4, s3
	s_cbranch_execz .LBB319_169
; %bb.162:                              ;   in Loop: Header=BB319_9 Depth=1
	v_cmp_ne_u16_sdwa s3, v73, v50 src0_sel:BYTE_1 src1_sel:DWORD
	v_bfrev_b32_e32 v72, 1
	s_and_saveexec_b32 s31, s3
	s_cbranch_execz .LBB319_168
; %bb.163:                              ;   in Loop: Header=BB319_9 Depth=1
	v_and_b32_sdwa v1, v51, v73 dst_sel:DWORD dst_unused:UNUSED_PAD src0_sel:DWORD src1_sel:BYTE_1
	v_mov_b32_e32 v72, 0x7f800001
	s_mov_b32 s33, exec_lo
	v_and_b32_e32 v74, 0x7f, v1
	v_cmpx_ne_u32_e32 0x7f, v74
	s_cbranch_execz .LBB319_167
; %bb.164:                              ;   in Loop: Header=BB319_9 Depth=1
	v_and_b32_e32 v1, 7, v1
	v_lshrrev_b32_e32 v72, 3, v74
	s_mov_b32 s34, exec_lo
	v_cmpx_gt_u32_e32 8, v74
; %bb.165:                              ;   in Loop: Header=BB319_9 Depth=1
	v_ffbh_u32_e32 v72, v1
	v_min_u32_e32 v72, 32, v72
	v_subrev_nc_u32_e32 v74, 28, v72
	v_sub_nc_u32_e32 v72, 29, v72
	v_lshlrev_b64 v[74:75], v74, v[1:2]
	v_and_b32_e32 v1, 7, v74
; %bb.166:                              ;   in Loop: Header=BB319_9 Depth=1
	s_or_b32 exec_lo, exec_lo, s34
	v_lshlrev_b32_e32 v73, 16, v73
	v_lshlrev_b32_e32 v1, 20, v1
	v_lshl_add_u32 v72, v72, 23, 0x3c000000
	v_and_b32_e32 v73, 0x80000000, v73
	v_or3_b32 v72, v1, v73, v72
.LBB319_167:                            ;   in Loop: Header=BB319_9 Depth=1
	s_or_b32 exec_lo, exec_lo, s33
.LBB319_168:                            ;   in Loop: Header=BB319_9 Depth=1
	s_or_b32 exec_lo, exec_lo, s31
.LBB319_169:                            ;   in Loop: Header=BB319_9 Depth=1
	s_or_b32 exec_lo, exec_lo, s4
	global_load_ushort v1, v[7:8], off offset:640
	v_mov_b32_e32 v74, 0
	v_mov_b32_e32 v73, 0
	s_waitcnt vmcnt(0)
	v_and_b32_e32 v75, 0xffff, v1
	v_cmp_ne_u16_sdwa s3, v1, v2 src0_sel:BYTE_0 src1_sel:DWORD
	s_and_saveexec_b32 s4, s3
	s_cbranch_execz .LBB319_177
; %bb.170:                              ;   in Loop: Header=BB319_9 Depth=1
	v_cmp_ne_u16_sdwa s3, v75, v50 src0_sel:BYTE_0 src1_sel:DWORD
	v_bfrev_b32_e32 v73, 1
	s_and_saveexec_b32 s31, s3
	s_cbranch_execz .LBB319_176
; %bb.171:                              ;   in Loop: Header=BB319_9 Depth=1
	v_and_b32_e32 v76, 0x7f, v75
	v_mov_b32_e32 v73, 0x7f800001
	s_mov_b32 s33, exec_lo
	v_cmpx_ne_u32_e32 0x7f, v76
	s_cbranch_execz .LBB319_175
; %bb.172:                              ;   in Loop: Header=BB319_9 Depth=1
	v_and_b32_e32 v1, 7, v75
	v_lshrrev_b32_e32 v73, 3, v76
	s_mov_b32 s34, exec_lo
	v_cmpx_gt_u32_e32 8, v76
; %bb.173:                              ;   in Loop: Header=BB319_9 Depth=1
	v_ffbh_u32_e32 v73, v1
	v_min_u32_e32 v73, 32, v73
	v_subrev_nc_u32_e32 v76, 28, v73
	v_sub_nc_u32_e32 v73, 29, v73
	v_lshlrev_b64 v[76:77], v76, v[1:2]
	v_and_b32_e32 v1, 7, v76
; %bb.174:                              ;   in Loop: Header=BB319_9 Depth=1
	s_or_b32 exec_lo, exec_lo, s34
	v_lshlrev_b32_e32 v76, 24, v75
	v_lshlrev_b32_e32 v1, 20, v1
	v_lshl_add_u32 v73, v73, 23, 0x3c000000
	v_and_b32_e32 v76, 0x80000000, v76
	v_or3_b32 v73, v1, v76, v73
.LBB319_175:                            ;   in Loop: Header=BB319_9 Depth=1
	s_or_b32 exec_lo, exec_lo, s33
.LBB319_176:                            ;   in Loop: Header=BB319_9 Depth=1
	s_or_b32 exec_lo, exec_lo, s31
.LBB319_177:                            ;   in Loop: Header=BB319_9 Depth=1
	s_or_b32 exec_lo, exec_lo, s4
	v_cmp_ne_u16_sdwa s3, v75, v2 src0_sel:BYTE_1 src1_sel:DWORD
	s_and_saveexec_b32 s4, s3
	s_cbranch_execz .LBB319_185
; %bb.178:                              ;   in Loop: Header=BB319_9 Depth=1
	v_cmp_ne_u16_sdwa s3, v75, v50 src0_sel:BYTE_1 src1_sel:DWORD
	v_bfrev_b32_e32 v74, 1
	s_and_saveexec_b32 s31, s3
	s_cbranch_execz .LBB319_184
; %bb.179:                              ;   in Loop: Header=BB319_9 Depth=1
	v_and_b32_sdwa v1, v51, v75 dst_sel:DWORD dst_unused:UNUSED_PAD src0_sel:DWORD src1_sel:BYTE_1
	v_mov_b32_e32 v74, 0x7f800001
	s_mov_b32 s33, exec_lo
	v_and_b32_e32 v76, 0x7f, v1
	v_cmpx_ne_u32_e32 0x7f, v76
	s_cbranch_execz .LBB319_183
; %bb.180:                              ;   in Loop: Header=BB319_9 Depth=1
	v_and_b32_e32 v1, 7, v1
	v_lshrrev_b32_e32 v74, 3, v76
	s_mov_b32 s34, exec_lo
	v_cmpx_gt_u32_e32 8, v76
; %bb.181:                              ;   in Loop: Header=BB319_9 Depth=1
	v_ffbh_u32_e32 v74, v1
	v_min_u32_e32 v74, 32, v74
	v_subrev_nc_u32_e32 v76, 28, v74
	v_sub_nc_u32_e32 v74, 29, v74
	v_lshlrev_b64 v[76:77], v76, v[1:2]
	v_and_b32_e32 v1, 7, v76
; %bb.182:                              ;   in Loop: Header=BB319_9 Depth=1
	s_or_b32 exec_lo, exec_lo, s34
	v_lshlrev_b32_e32 v75, 16, v75
	v_lshlrev_b32_e32 v1, 20, v1
	v_lshl_add_u32 v74, v74, 23, 0x3c000000
	v_and_b32_e32 v75, 0x80000000, v75
	v_or3_b32 v74, v1, v75, v74
.LBB319_183:                            ;   in Loop: Header=BB319_9 Depth=1
	s_or_b32 exec_lo, exec_lo, s33
.LBB319_184:                            ;   in Loop: Header=BB319_9 Depth=1
	s_or_b32 exec_lo, exec_lo, s31
.LBB319_185:                            ;   in Loop: Header=BB319_9 Depth=1
	s_or_b32 exec_lo, exec_lo, s4
	global_load_ushort v1, v[7:8], off offset:648
	v_mov_b32_e32 v76, 0
	v_mov_b32_e32 v75, 0
	s_waitcnt vmcnt(0)
	v_and_b32_e32 v77, 0xffff, v1
	v_cmp_ne_u16_sdwa s3, v1, v2 src0_sel:BYTE_0 src1_sel:DWORD
	s_and_saveexec_b32 s4, s3
	s_cbranch_execz .LBB319_193
; %bb.186:                              ;   in Loop: Header=BB319_9 Depth=1
	v_cmp_ne_u16_sdwa s3, v77, v50 src0_sel:BYTE_0 src1_sel:DWORD
	v_bfrev_b32_e32 v75, 1
	s_and_saveexec_b32 s31, s3
	s_cbranch_execz .LBB319_192
; %bb.187:                              ;   in Loop: Header=BB319_9 Depth=1
	v_and_b32_e32 v78, 0x7f, v77
	v_mov_b32_e32 v75, 0x7f800001
	s_mov_b32 s33, exec_lo
	v_cmpx_ne_u32_e32 0x7f, v78
	s_cbranch_execz .LBB319_191
; %bb.188:                              ;   in Loop: Header=BB319_9 Depth=1
	v_and_b32_e32 v1, 7, v77
	v_lshrrev_b32_e32 v75, 3, v78
	s_mov_b32 s34, exec_lo
	v_cmpx_gt_u32_e32 8, v78
; %bb.189:                              ;   in Loop: Header=BB319_9 Depth=1
	v_ffbh_u32_e32 v75, v1
	v_min_u32_e32 v75, 32, v75
	v_subrev_nc_u32_e32 v78, 28, v75
	v_sub_nc_u32_e32 v75, 29, v75
	v_lshlrev_b64 v[78:79], v78, v[1:2]
	v_and_b32_e32 v1, 7, v78
; %bb.190:                              ;   in Loop: Header=BB319_9 Depth=1
	s_or_b32 exec_lo, exec_lo, s34
	v_lshlrev_b32_e32 v78, 24, v77
	v_lshlrev_b32_e32 v1, 20, v1
	v_lshl_add_u32 v75, v75, 23, 0x3c000000
	v_and_b32_e32 v78, 0x80000000, v78
	v_or3_b32 v75, v1, v78, v75
.LBB319_191:                            ;   in Loop: Header=BB319_9 Depth=1
	s_or_b32 exec_lo, exec_lo, s33
.LBB319_192:                            ;   in Loop: Header=BB319_9 Depth=1
	s_or_b32 exec_lo, exec_lo, s31
.LBB319_193:                            ;   in Loop: Header=BB319_9 Depth=1
	s_or_b32 exec_lo, exec_lo, s4
	v_cmp_ne_u16_sdwa s3, v77, v2 src0_sel:BYTE_1 src1_sel:DWORD
	s_and_saveexec_b32 s4, s3
	s_cbranch_execz .LBB319_201
; %bb.194:                              ;   in Loop: Header=BB319_9 Depth=1
	v_cmp_ne_u16_sdwa s3, v77, v50 src0_sel:BYTE_1 src1_sel:DWORD
	v_bfrev_b32_e32 v76, 1
	s_and_saveexec_b32 s31, s3
	s_cbranch_execz .LBB319_200
; %bb.195:                              ;   in Loop: Header=BB319_9 Depth=1
	v_and_b32_sdwa v1, v51, v77 dst_sel:DWORD dst_unused:UNUSED_PAD src0_sel:DWORD src1_sel:BYTE_1
	v_mov_b32_e32 v76, 0x7f800001
	s_mov_b32 s33, exec_lo
	v_and_b32_e32 v78, 0x7f, v1
	v_cmpx_ne_u32_e32 0x7f, v78
	s_cbranch_execz .LBB319_199
; %bb.196:                              ;   in Loop: Header=BB319_9 Depth=1
	v_and_b32_e32 v1, 7, v1
	v_lshrrev_b32_e32 v76, 3, v78
	s_mov_b32 s34, exec_lo
	v_cmpx_gt_u32_e32 8, v78
; %bb.197:                              ;   in Loop: Header=BB319_9 Depth=1
	v_ffbh_u32_e32 v76, v1
	v_min_u32_e32 v76, 32, v76
	v_subrev_nc_u32_e32 v78, 28, v76
	v_sub_nc_u32_e32 v76, 29, v76
	v_lshlrev_b64 v[78:79], v78, v[1:2]
	v_and_b32_e32 v1, 7, v78
; %bb.198:                              ;   in Loop: Header=BB319_9 Depth=1
	s_or_b32 exec_lo, exec_lo, s34
	v_lshlrev_b32_e32 v77, 16, v77
	v_lshlrev_b32_e32 v1, 20, v1
	v_lshl_add_u32 v76, v76, 23, 0x3c000000
	v_and_b32_e32 v77, 0x80000000, v77
	v_or3_b32 v76, v1, v77, v76
.LBB319_199:                            ;   in Loop: Header=BB319_9 Depth=1
	s_or_b32 exec_lo, exec_lo, s33
.LBB319_200:                            ;   in Loop: Header=BB319_9 Depth=1
	s_or_b32 exec_lo, exec_lo, s31
.LBB319_201:                            ;   in Loop: Header=BB319_9 Depth=1
	s_or_b32 exec_lo, exec_lo, s4
	global_load_ushort v1, v[7:8], off offset:768
	v_mov_b32_e32 v78, 0
	v_mov_b32_e32 v77, 0
	s_waitcnt vmcnt(0)
	v_and_b32_e32 v79, 0xffff, v1
	v_cmp_ne_u16_sdwa s3, v1, v2 src0_sel:BYTE_0 src1_sel:DWORD
	s_and_saveexec_b32 s4, s3
	s_cbranch_execz .LBB319_209
; %bb.202:                              ;   in Loop: Header=BB319_9 Depth=1
	v_cmp_ne_u16_sdwa s3, v79, v50 src0_sel:BYTE_0 src1_sel:DWORD
	v_bfrev_b32_e32 v77, 1
	s_and_saveexec_b32 s31, s3
	s_cbranch_execz .LBB319_208
; %bb.203:                              ;   in Loop: Header=BB319_9 Depth=1
	v_and_b32_e32 v80, 0x7f, v79
	v_mov_b32_e32 v77, 0x7f800001
	s_mov_b32 s33, exec_lo
	v_cmpx_ne_u32_e32 0x7f, v80
	s_cbranch_execz .LBB319_207
; %bb.204:                              ;   in Loop: Header=BB319_9 Depth=1
	v_and_b32_e32 v1, 7, v79
	v_lshrrev_b32_e32 v77, 3, v80
	s_mov_b32 s34, exec_lo
	v_cmpx_gt_u32_e32 8, v80
; %bb.205:                              ;   in Loop: Header=BB319_9 Depth=1
	v_ffbh_u32_e32 v77, v1
	v_min_u32_e32 v77, 32, v77
	v_subrev_nc_u32_e32 v80, 28, v77
	v_sub_nc_u32_e32 v77, 29, v77
	v_lshlrev_b64 v[80:81], v80, v[1:2]
	v_and_b32_e32 v1, 7, v80
; %bb.206:                              ;   in Loop: Header=BB319_9 Depth=1
	s_or_b32 exec_lo, exec_lo, s34
	v_lshlrev_b32_e32 v80, 24, v79
	v_lshlrev_b32_e32 v1, 20, v1
	v_lshl_add_u32 v77, v77, 23, 0x3c000000
	v_and_b32_e32 v80, 0x80000000, v80
	v_or3_b32 v77, v1, v80, v77
.LBB319_207:                            ;   in Loop: Header=BB319_9 Depth=1
	s_or_b32 exec_lo, exec_lo, s33
.LBB319_208:                            ;   in Loop: Header=BB319_9 Depth=1
	s_or_b32 exec_lo, exec_lo, s31
.LBB319_209:                            ;   in Loop: Header=BB319_9 Depth=1
	s_or_b32 exec_lo, exec_lo, s4
	v_cmp_ne_u16_sdwa s3, v79, v2 src0_sel:BYTE_1 src1_sel:DWORD
	s_and_saveexec_b32 s4, s3
	s_cbranch_execz .LBB319_217
; %bb.210:                              ;   in Loop: Header=BB319_9 Depth=1
	v_cmp_ne_u16_sdwa s3, v79, v50 src0_sel:BYTE_1 src1_sel:DWORD
	v_bfrev_b32_e32 v78, 1
	s_and_saveexec_b32 s31, s3
	s_cbranch_execz .LBB319_216
; %bb.211:                              ;   in Loop: Header=BB319_9 Depth=1
	v_and_b32_sdwa v1, v51, v79 dst_sel:DWORD dst_unused:UNUSED_PAD src0_sel:DWORD src1_sel:BYTE_1
	v_mov_b32_e32 v78, 0x7f800001
	s_mov_b32 s33, exec_lo
	v_and_b32_e32 v80, 0x7f, v1
	v_cmpx_ne_u32_e32 0x7f, v80
	s_cbranch_execz .LBB319_215
; %bb.212:                              ;   in Loop: Header=BB319_9 Depth=1
	v_and_b32_e32 v1, 7, v1
	v_lshrrev_b32_e32 v78, 3, v80
	s_mov_b32 s34, exec_lo
	v_cmpx_gt_u32_e32 8, v80
; %bb.213:                              ;   in Loop: Header=BB319_9 Depth=1
	v_ffbh_u32_e32 v78, v1
	v_min_u32_e32 v78, 32, v78
	v_subrev_nc_u32_e32 v80, 28, v78
	v_sub_nc_u32_e32 v78, 29, v78
	v_lshlrev_b64 v[80:81], v80, v[1:2]
	v_and_b32_e32 v1, 7, v80
; %bb.214:                              ;   in Loop: Header=BB319_9 Depth=1
	s_or_b32 exec_lo, exec_lo, s34
	v_lshlrev_b32_e32 v79, 16, v79
	v_lshlrev_b32_e32 v1, 20, v1
	v_lshl_add_u32 v78, v78, 23, 0x3c000000
	v_and_b32_e32 v79, 0x80000000, v79
	v_or3_b32 v78, v1, v79, v78
.LBB319_215:                            ;   in Loop: Header=BB319_9 Depth=1
	s_or_b32 exec_lo, exec_lo, s33
.LBB319_216:                            ;   in Loop: Header=BB319_9 Depth=1
	s_or_b32 exec_lo, exec_lo, s31
.LBB319_217:                            ;   in Loop: Header=BB319_9 Depth=1
	s_or_b32 exec_lo, exec_lo, s4
	global_load_ushort v1, v[7:8], off offset:776
	v_mov_b32_e32 v80, 0
	v_mov_b32_e32 v79, 0
	s_waitcnt vmcnt(0)
	v_and_b32_e32 v81, 0xffff, v1
	v_cmp_ne_u16_sdwa s3, v1, v2 src0_sel:BYTE_0 src1_sel:DWORD
	s_and_saveexec_b32 s4, s3
	s_cbranch_execz .LBB319_225
; %bb.218:                              ;   in Loop: Header=BB319_9 Depth=1
	v_cmp_ne_u16_sdwa s3, v81, v50 src0_sel:BYTE_0 src1_sel:DWORD
	v_bfrev_b32_e32 v79, 1
	s_and_saveexec_b32 s31, s3
	s_cbranch_execz .LBB319_224
; %bb.219:                              ;   in Loop: Header=BB319_9 Depth=1
	v_and_b32_e32 v82, 0x7f, v81
	v_mov_b32_e32 v79, 0x7f800001
	s_mov_b32 s33, exec_lo
	v_cmpx_ne_u32_e32 0x7f, v82
	s_cbranch_execz .LBB319_223
; %bb.220:                              ;   in Loop: Header=BB319_9 Depth=1
	v_and_b32_e32 v1, 7, v81
	v_lshrrev_b32_e32 v79, 3, v82
	s_mov_b32 s34, exec_lo
	v_cmpx_gt_u32_e32 8, v82
; %bb.221:                              ;   in Loop: Header=BB319_9 Depth=1
	v_ffbh_u32_e32 v79, v1
	v_min_u32_e32 v79, 32, v79
	v_subrev_nc_u32_e32 v82, 28, v79
	v_sub_nc_u32_e32 v79, 29, v79
	v_lshlrev_b64 v[82:83], v82, v[1:2]
	v_and_b32_e32 v1, 7, v82
; %bb.222:                              ;   in Loop: Header=BB319_9 Depth=1
	s_or_b32 exec_lo, exec_lo, s34
	v_lshlrev_b32_e32 v82, 24, v81
	v_lshlrev_b32_e32 v1, 20, v1
	v_lshl_add_u32 v79, v79, 23, 0x3c000000
	v_and_b32_e32 v82, 0x80000000, v82
	v_or3_b32 v79, v1, v82, v79
.LBB319_223:                            ;   in Loop: Header=BB319_9 Depth=1
	s_or_b32 exec_lo, exec_lo, s33
.LBB319_224:                            ;   in Loop: Header=BB319_9 Depth=1
	s_or_b32 exec_lo, exec_lo, s31
.LBB319_225:                            ;   in Loop: Header=BB319_9 Depth=1
	s_or_b32 exec_lo, exec_lo, s4
	v_cmp_ne_u16_sdwa s3, v81, v2 src0_sel:BYTE_1 src1_sel:DWORD
	s_and_saveexec_b32 s4, s3
	s_cbranch_execz .LBB319_233
; %bb.226:                              ;   in Loop: Header=BB319_9 Depth=1
	v_cmp_ne_u16_sdwa s3, v81, v50 src0_sel:BYTE_1 src1_sel:DWORD
	v_bfrev_b32_e32 v80, 1
	s_and_saveexec_b32 s31, s3
	s_cbranch_execz .LBB319_232
; %bb.227:                              ;   in Loop: Header=BB319_9 Depth=1
	v_and_b32_sdwa v1, v51, v81 dst_sel:DWORD dst_unused:UNUSED_PAD src0_sel:DWORD src1_sel:BYTE_1
	v_mov_b32_e32 v80, 0x7f800001
	s_mov_b32 s33, exec_lo
	v_and_b32_e32 v82, 0x7f, v1
	v_cmpx_ne_u32_e32 0x7f, v82
	s_cbranch_execz .LBB319_231
; %bb.228:                              ;   in Loop: Header=BB319_9 Depth=1
	v_and_b32_e32 v1, 7, v1
	v_lshrrev_b32_e32 v80, 3, v82
	s_mov_b32 s34, exec_lo
	v_cmpx_gt_u32_e32 8, v82
; %bb.229:                              ;   in Loop: Header=BB319_9 Depth=1
	v_ffbh_u32_e32 v80, v1
	v_min_u32_e32 v80, 32, v80
	v_subrev_nc_u32_e32 v82, 28, v80
	v_sub_nc_u32_e32 v80, 29, v80
	v_lshlrev_b64 v[82:83], v82, v[1:2]
	v_and_b32_e32 v1, 7, v82
; %bb.230:                              ;   in Loop: Header=BB319_9 Depth=1
	s_or_b32 exec_lo, exec_lo, s34
	v_lshlrev_b32_e32 v81, 16, v81
	v_lshlrev_b32_e32 v1, 20, v1
	v_lshl_add_u32 v80, v80, 23, 0x3c000000
	v_and_b32_e32 v81, 0x80000000, v81
	v_or3_b32 v80, v1, v81, v80
.LBB319_231:                            ;   in Loop: Header=BB319_9 Depth=1
	s_or_b32 exec_lo, exec_lo, s33
.LBB319_232:                            ;   in Loop: Header=BB319_9 Depth=1
	s_or_b32 exec_lo, exec_lo, s31
.LBB319_233:                            ;   in Loop: Header=BB319_9 Depth=1
	s_or_b32 exec_lo, exec_lo, s4
	global_load_ushort v1, v[7:8], off offset:896
	v_mov_b32_e32 v82, 0
	v_mov_b32_e32 v81, 0
	s_waitcnt vmcnt(0)
	v_and_b32_e32 v83, 0xffff, v1
	v_cmp_ne_u16_sdwa s3, v1, v2 src0_sel:BYTE_0 src1_sel:DWORD
	s_and_saveexec_b32 s4, s3
	s_cbranch_execz .LBB319_241
; %bb.234:                              ;   in Loop: Header=BB319_9 Depth=1
	v_cmp_ne_u16_sdwa s3, v83, v50 src0_sel:BYTE_0 src1_sel:DWORD
	v_bfrev_b32_e32 v81, 1
	s_and_saveexec_b32 s31, s3
	s_cbranch_execz .LBB319_240
; %bb.235:                              ;   in Loop: Header=BB319_9 Depth=1
	v_and_b32_e32 v84, 0x7f, v83
	v_mov_b32_e32 v81, 0x7f800001
	s_mov_b32 s33, exec_lo
	v_cmpx_ne_u32_e32 0x7f, v84
	s_cbranch_execz .LBB319_239
; %bb.236:                              ;   in Loop: Header=BB319_9 Depth=1
	v_and_b32_e32 v1, 7, v83
	v_lshrrev_b32_e32 v81, 3, v84
	s_mov_b32 s34, exec_lo
	v_cmpx_gt_u32_e32 8, v84
; %bb.237:                              ;   in Loop: Header=BB319_9 Depth=1
	v_ffbh_u32_e32 v81, v1
	v_min_u32_e32 v81, 32, v81
	v_subrev_nc_u32_e32 v84, 28, v81
	v_sub_nc_u32_e32 v81, 29, v81
	v_lshlrev_b64 v[84:85], v84, v[1:2]
	v_and_b32_e32 v1, 7, v84
; %bb.238:                              ;   in Loop: Header=BB319_9 Depth=1
	s_or_b32 exec_lo, exec_lo, s34
	v_lshlrev_b32_e32 v84, 24, v83
	v_lshlrev_b32_e32 v1, 20, v1
	v_lshl_add_u32 v81, v81, 23, 0x3c000000
	v_and_b32_e32 v84, 0x80000000, v84
	v_or3_b32 v81, v1, v84, v81
.LBB319_239:                            ;   in Loop: Header=BB319_9 Depth=1
	s_or_b32 exec_lo, exec_lo, s33
.LBB319_240:                            ;   in Loop: Header=BB319_9 Depth=1
	s_or_b32 exec_lo, exec_lo, s31
.LBB319_241:                            ;   in Loop: Header=BB319_9 Depth=1
	s_or_b32 exec_lo, exec_lo, s4
	v_cmp_ne_u16_sdwa s3, v83, v2 src0_sel:BYTE_1 src1_sel:DWORD
	s_and_saveexec_b32 s4, s3
	s_cbranch_execz .LBB319_249
; %bb.242:                              ;   in Loop: Header=BB319_9 Depth=1
	v_cmp_ne_u16_sdwa s3, v83, v50 src0_sel:BYTE_1 src1_sel:DWORD
	v_bfrev_b32_e32 v82, 1
	s_and_saveexec_b32 s31, s3
	s_cbranch_execz .LBB319_248
; %bb.243:                              ;   in Loop: Header=BB319_9 Depth=1
	v_and_b32_sdwa v1, v51, v83 dst_sel:DWORD dst_unused:UNUSED_PAD src0_sel:DWORD src1_sel:BYTE_1
	v_mov_b32_e32 v82, 0x7f800001
	s_mov_b32 s33, exec_lo
	v_and_b32_e32 v84, 0x7f, v1
	v_cmpx_ne_u32_e32 0x7f, v84
	s_cbranch_execz .LBB319_247
; %bb.244:                              ;   in Loop: Header=BB319_9 Depth=1
	v_and_b32_e32 v1, 7, v1
	v_lshrrev_b32_e32 v82, 3, v84
	s_mov_b32 s34, exec_lo
	v_cmpx_gt_u32_e32 8, v84
; %bb.245:                              ;   in Loop: Header=BB319_9 Depth=1
	v_ffbh_u32_e32 v82, v1
	v_min_u32_e32 v82, 32, v82
	v_subrev_nc_u32_e32 v84, 28, v82
	v_sub_nc_u32_e32 v82, 29, v82
	v_lshlrev_b64 v[84:85], v84, v[1:2]
	v_and_b32_e32 v1, 7, v84
; %bb.246:                              ;   in Loop: Header=BB319_9 Depth=1
	s_or_b32 exec_lo, exec_lo, s34
	v_lshlrev_b32_e32 v83, 16, v83
	v_lshlrev_b32_e32 v1, 20, v1
	v_lshl_add_u32 v82, v82, 23, 0x3c000000
	v_and_b32_e32 v83, 0x80000000, v83
	v_or3_b32 v82, v1, v83, v82
.LBB319_247:                            ;   in Loop: Header=BB319_9 Depth=1
	s_or_b32 exec_lo, exec_lo, s33
.LBB319_248:                            ;   in Loop: Header=BB319_9 Depth=1
	s_or_b32 exec_lo, exec_lo, s31
.LBB319_249:                            ;   in Loop: Header=BB319_9 Depth=1
	s_or_b32 exec_lo, exec_lo, s4
	global_load_ushort v1, v[7:8], off offset:904
	v_mov_b32_e32 v7, 0
	v_mov_b32_e32 v83, 0
	s_waitcnt vmcnt(0)
	v_and_b32_e32 v8, 0xffff, v1
	v_cmp_ne_u16_sdwa s3, v1, v2 src0_sel:BYTE_0 src1_sel:DWORD
	s_and_saveexec_b32 s4, s3
	s_cbranch_execz .LBB319_257
; %bb.250:                              ;   in Loop: Header=BB319_9 Depth=1
	v_cmp_ne_u16_sdwa s3, v8, v50 src0_sel:BYTE_0 src1_sel:DWORD
	v_bfrev_b32_e32 v83, 1
	s_and_saveexec_b32 s31, s3
	s_cbranch_execz .LBB319_256
; %bb.251:                              ;   in Loop: Header=BB319_9 Depth=1
	v_and_b32_e32 v84, 0x7f, v8
	v_mov_b32_e32 v83, 0x7f800001
	s_mov_b32 s33, exec_lo
	v_cmpx_ne_u32_e32 0x7f, v84
	s_cbranch_execz .LBB319_255
; %bb.252:                              ;   in Loop: Header=BB319_9 Depth=1
	v_and_b32_e32 v1, 7, v8
	v_lshrrev_b32_e32 v83, 3, v84
	s_mov_b32 s34, exec_lo
	v_cmpx_gt_u32_e32 8, v84
; %bb.253:                              ;   in Loop: Header=BB319_9 Depth=1
	v_ffbh_u32_e32 v83, v1
	v_min_u32_e32 v83, 32, v83
	v_subrev_nc_u32_e32 v84, 28, v83
	v_sub_nc_u32_e32 v83, 29, v83
	v_lshlrev_b64 v[84:85], v84, v[1:2]
	v_and_b32_e32 v1, 7, v84
; %bb.254:                              ;   in Loop: Header=BB319_9 Depth=1
	s_or_b32 exec_lo, exec_lo, s34
	v_lshlrev_b32_e32 v84, 24, v8
	v_lshlrev_b32_e32 v1, 20, v1
	v_lshl_add_u32 v83, v83, 23, 0x3c000000
	v_and_b32_e32 v84, 0x80000000, v84
	v_or3_b32 v83, v1, v84, v83
.LBB319_255:                            ;   in Loop: Header=BB319_9 Depth=1
	s_or_b32 exec_lo, exec_lo, s33
.LBB319_256:                            ;   in Loop: Header=BB319_9 Depth=1
	s_or_b32 exec_lo, exec_lo, s31
.LBB319_257:                            ;   in Loop: Header=BB319_9 Depth=1
	s_or_b32 exec_lo, exec_lo, s4
	v_cmp_ne_u16_sdwa s3, v8, v2 src0_sel:BYTE_1 src1_sel:DWORD
	s_and_saveexec_b32 s4, s3
	s_cbranch_execz .LBB319_265
; %bb.258:                              ;   in Loop: Header=BB319_9 Depth=1
	v_cmp_ne_u16_sdwa s3, v8, v50 src0_sel:BYTE_1 src1_sel:DWORD
	v_bfrev_b32_e32 v7, 1
	s_and_saveexec_b32 s31, s3
	s_cbranch_execz .LBB319_264
; %bb.259:                              ;   in Loop: Header=BB319_9 Depth=1
	v_and_b32_sdwa v1, v51, v8 dst_sel:DWORD dst_unused:UNUSED_PAD src0_sel:DWORD src1_sel:BYTE_1
	v_mov_b32_e32 v7, 0x7f800001
	s_mov_b32 s33, exec_lo
	v_and_b32_e32 v84, 0x7f, v1
	v_cmpx_ne_u32_e32 0x7f, v84
	s_cbranch_execz .LBB319_263
; %bb.260:                              ;   in Loop: Header=BB319_9 Depth=1
	v_and_b32_e32 v1, 7, v1
	v_lshrrev_b32_e32 v7, 3, v84
	s_mov_b32 s34, exec_lo
	v_cmpx_gt_u32_e32 8, v84
; %bb.261:                              ;   in Loop: Header=BB319_9 Depth=1
	v_ffbh_u32_e32 v7, v1
	v_min_u32_e32 v7, 32, v7
	v_subrev_nc_u32_e32 v84, 28, v7
	v_sub_nc_u32_e32 v7, 29, v7
	v_lshlrev_b64 v[84:85], v84, v[1:2]
	v_and_b32_e32 v1, 7, v84
; %bb.262:                              ;   in Loop: Header=BB319_9 Depth=1
	s_or_b32 exec_lo, exec_lo, s34
	v_lshlrev_b32_e32 v8, 16, v8
	v_lshlrev_b32_e32 v1, 20, v1
	v_lshl_add_u32 v7, v7, 23, 0x3c000000
	v_and_b32_e32 v8, 0x80000000, v8
	v_or3_b32 v7, v1, v8, v7
.LBB319_263:                            ;   in Loop: Header=BB319_9 Depth=1
	s_or_b32 exec_lo, exec_lo, s33
.LBB319_264:                            ;   in Loop: Header=BB319_9 Depth=1
	s_or_b32 exec_lo, exec_lo, s31
.LBB319_265:                            ;   in Loop: Header=BB319_9 Depth=1
	s_or_b32 exec_lo, exec_lo, s4
	s_waitcnt lgkmcnt(0)
	v_mul_f32_e32 v82, s5, v82
	v_mul_f32_e32 v8, s5, v81
	;; [unrolled: 1-line block ×5, first 2 shown]
	v_bfe_u32 v80, v82, 16, 1
	v_or_b32_e32 v85, 0x400000, v82
	v_cmp_u_f32_e64 s3, v82, v82
	v_bfe_u32 v88, v81, 16, 1
	v_bfe_u32 v89, v87, 16, 1
	v_add3_u32 v86, v80, v82, 0x7fff
	v_mul_f32_e32 v75, s5, v75
	v_bfe_u32 v93, v91, 16, 1
	v_mul_f32_e32 v97, s5, v72
	v_or_b32_e32 v94, 0x400000, v91
	v_cndmask_b32_e64 v82, v86, v85, s3
	v_mul_f32_e32 v85, s5, v78
	v_add3_u32 v78, v88, v81, 0x7fff
	v_mul_f32_e32 v86, s5, v77
	v_add3_u32 v88, v89, v87, 0x7fff
	v_or_b32_e32 v89, 0x400000, v87
	v_bfe_u32 v90, v85, 16, 1
	v_cmp_u_f32_e64 s3, v87, v87
	v_bfe_u32 v92, v86, 16, 1
	v_bfe_u32 v95, v75, 16, 1
	v_mul_f32_e32 v98, s5, v66
	v_add3_u32 v87, v90, v85, 0x7fff
	v_mul_f32_e32 v90, s5, v74
	v_cndmask_b32_e64 v76, v88, v89, s3
	v_add3_u32 v89, v92, v86, 0x7fff
	v_add3_u32 v92, v93, v91, 0x7fff
	v_cmp_u_f32_e64 s3, v91, v91
	v_bfe_u32 v96, v90, 16, 1
	v_add3_u32 v72, v95, v75, 0x7fff
	v_bfe_u32 v95, v97, 16, 1
	v_mul_f32_e32 v93, s5, v73
	v_cndmask_b32_e64 v73, v92, v94, s3
	v_add3_u32 v91, v96, v90, 0x7fff
	v_mul_f32_e32 v96, s5, v68
	v_add3_u32 v95, v95, v97, 0x7fff
	v_or_b32_e32 v100, 0x400000, v97
	v_cmp_u_f32_e64 s3, v97, v97
	v_bfe_u32 v102, v98, 16, 1
	v_bfe_u32 v99, v96, 16, 1
	v_mul_f32_e32 v66, s5, v69
	v_mul_f32_e32 v61, s5, v61
	;; [unrolled: 1-line block ×3, first 2 shown]
	v_cndmask_b32_e64 v60, v95, v100, s3
	v_add3_u32 v69, v99, v96, 0x7fff
	v_or_b32_e32 v99, 0x400000, v96
	v_cmp_u_f32_e64 s3, v96, v96
	v_add3_u32 v102, v102, v98, 0x7fff
	v_or_b32_e32 v103, 0x400000, v98
	v_bfe_u32 v105, v61, 16, 1
	v_bfe_u32 v95, v104, 16, 1
	v_cndmask_b32_e64 v69, v69, v99, s3
	v_cmp_u_f32_e64 s3, v98, v98
	v_mul_f32_e32 v58, s5, v58
	v_add3_u32 v97, v105, v61, 0x7fff
	v_or_b32_e32 v98, 0x400000, v61
	v_add3_u32 v95, v95, v104, 0x7fff
	v_cndmask_b32_e64 v96, v102, v103, s3
	v_cmp_u_f32_e64 s3, v61, v61
	v_mul_f32_e32 v57, s5, v57
	v_bfe_u32 v99, v58, 16, 1
	v_or_b32_e32 v100, 0x400000, v104
	v_mul_f32_e32 v56, s5, v56
	v_cndmask_b32_e64 v61, v97, v98, s3
	v_cmp_u_f32_e64 s3, v104, v104
	v_bfe_u32 v97, v57, 16, 1
	v_add3_u32 v98, v99, v58, 0x7fff
	v_or_b32_e32 v99, 0x400000, v58
	v_mul_f32_e32 v55, s5, v55
	v_cndmask_b32_e64 v95, v95, v100, s3
	v_cmp_u_f32_e64 s3, v58, v58
	v_add3_u32 v97, v97, v57, 0x7fff
	v_bfe_u32 v100, v56, 16, 1
	v_mul_f32_e32 v53, s5, v53
	v_mul_f32_e32 v54, s5, v54
	v_cndmask_b32_e64 v58, v98, v99, s3
	v_or_b32_e32 v98, 0x400000, v57
	v_cmp_u_f32_e64 s3, v57, v57
	v_add3_u32 v99, v100, v56, 0x7fff
	v_or_b32_e32 v100, 0x400000, v56
	v_bfe_u32 v103, v53, 16, 1
	v_mul_f32_e32 v62, s5, v62
	v_cndmask_b32_e64 v57, v97, v98, s3
	v_bfe_u32 v97, v55, 16, 1
	v_cmp_u_f32_e64 s3, v56, v56
	v_mul_f32_e32 v59, s5, v59
	v_mul_f32_e32 v63, s5, v63
	v_mul_f32_e32 v64, s5, v64
	v_add3_u32 v97, v97, v55, 0x7fff
	v_cndmask_b32_e64 v56, v99, v100, s3
	v_or_b32_e32 v99, 0x400000, v55
	v_cmp_u_f32_e64 s3, v55, v55
	v_add3_u32 v100, v103, v53, 0x7fff
	v_or_b32_e32 v103, 0x400000, v53
	v_and_b32_e32 v56, 0xffff0000, v56
	v_and_b32_e32 v58, 0xffff0000, v58
	v_cndmask_b32_e64 v55, v97, v99, s3
	v_bfe_u32 v97, v54, 16, 1
	v_cmp_u_f32_e64 s3, v53, v53
	v_mul_f32_e32 v56, v15, v56
	v_mul_f32_e32 v65, s5, v65
	v_and_b32_e32 v55, 0xffff0000, v55
	v_add3_u32 v97, v97, v54, 0x7fff
	v_cndmask_b32_e64 v53, v100, v103, s3
	v_or_b32_e32 v100, 0x400000, v54
	v_cmp_u_f32_e64 s3, v54, v54
	v_mul_f32_e32 v55, v14, v55
	v_and_b32_e32 v57, 0xffff0000, v57
	v_and_b32_e32 v53, 0xffff0000, v53
	v_and_b32_e32 v61, 0xffff0000, v61
	v_cndmask_b32_e64 v54, v97, v100, s3
	v_bfe_u32 v97, v62, 16, 1
	v_or_b32_e32 v100, 0x400000, v62
	v_cmp_u_f32_e64 s3, v62, v62
	v_fmac_f32_e32 v55, v12, v53
	v_and_b32_e32 v54, 0xffff0000, v54
	v_add3_u32 v97, v97, v62, 0x7fff
	v_mul_f32_e32 v67, s5, v67
	v_or_b32_e32 v103, 0x400000, v64
	v_fmac_f32_e32 v55, v16, v57
	v_fmac_f32_e32 v56, v13, v54
	v_cndmask_b32_e64 v62, v97, v100, s3
	v_bfe_u32 v97, v59, 16, 1
	v_or_b32_e32 v100, 0x400000, v59
	v_cmp_u_f32_e64 s3, v59, v59
	v_fmac_f32_e32 v56, v17, v58
	v_and_b32_e32 v58, 0xffff0000, v95
	v_add3_u32 v97, v97, v59, 0x7fff
	v_bfe_u32 v95, v64, 16, 1
	v_bfe_u32 v57, v65, 16, 1
	v_fmac_f32_e32 v56, v19, v61
	v_and_b32_e32 v61, 0xffff0000, v62
	v_cndmask_b32_e64 v59, v97, v100, s3
	v_bfe_u32 v97, v63, 16, 1
	v_or_b32_e32 v100, 0x400000, v63
	v_cmp_u_f32_e64 s3, v63, v63
	v_add3_u32 v95, v95, v64, 0x7fff
	v_bfe_u32 v54, v67, 16, 1
	v_add3_u32 v97, v97, v63, 0x7fff
	v_add3_u32 v57, v57, v65, 0x7fff
	v_fmac_f32_e32 v55, v18, v58
	v_or_b32_e32 v58, 0x400000, v65
	v_mul_f32_e32 v70, s5, v70
	v_cndmask_b32_e64 v62, v97, v100, s3
	v_cmp_u_f32_e64 s3, v64, v64
	v_bfe_u32 v98, v66, 16, 1
	v_add3_u32 v54, v54, v67, 0x7fff
	v_and_b32_e32 v59, 0xffff0000, v59
	v_mul_f32_e32 v71, s5, v71
	v_cndmask_b32_e64 v63, v95, v103, s3
	v_cmp_u_f32_e64 s3, v65, v65
	v_bfe_u32 v102, v70, 16, 1
	v_add3_u32 v98, v98, v66, 0x7fff
	v_or_b32_e32 v53, 0x400000, v66
	v_fmac_f32_e32 v55, v20, v61
	v_cndmask_b32_e64 v57, v57, v58, s3
	v_or_b32_e32 v58, 0x400000, v67
	v_cmp_u_f32_e64 s3, v67, v67
	v_and_b32_e32 v61, 0xffff0000, v62
	v_fmac_f32_e32 v56, v22, v59
	v_and_b32_e32 v59, 0xffff0000, v96
	v_bfe_u32 v101, v71, 16, 1
	v_cndmask_b32_e64 v54, v54, v58, s3
	v_cmp_u_f32_e64 s3, v66, v66
	v_add3_u32 v102, v102, v70, 0x7fff
	v_or_b32_e32 v99, 0x400000, v70
	v_fmac_f32_e32 v55, v23, v61
	v_fmac_f32_e32 v56, v24, v59
	v_and_b32_e32 v59, 0xffff0000, v63
	v_cndmask_b32_e64 v53, v98, v53, s3
	v_cmp_u_f32_e64 s3, v70, v70
	v_bfe_u32 v94, v93, 16, 1
	v_add3_u32 v101, v101, v71, 0x7fff
	v_and_b32_e32 v57, 0xffff0000, v57
	v_fmac_f32_e32 v55, v25, v59
	v_and_b32_e32 v54, 0xffff0000, v54
	v_cndmask_b32_e64 v58, v102, v99, s3
	v_or_b32_e32 v59, 0x400000, v71
	v_cmp_u_f32_e64 s3, v71, v71
	v_add3_u32 v94, v94, v93, 0x7fff
	v_or_b32_e32 v68, 0x400000, v93
	v_fmac_f32_e32 v56, v26, v57
	v_and_b32_e32 v57, 0xffff0000, v69
	v_fmac_f32_e32 v55, v27, v54
	v_cndmask_b32_e64 v54, v101, v59, s3
	v_cmp_u_f32_e64 s3, v93, v93
	v_or_b32_e32 v92, 0x400000, v90
	v_fmac_f32_e32 v56, v28, v57
	v_and_b32_e32 v53, 0xffff0000, v53
	v_and_b32_e32 v57, 0xffff0000, v58
	v_cndmask_b32_e64 v58, v94, v68, s3
	v_cmp_u_f32_e64 s3, v90, v90
	v_or_b32_e32 v59, 0x400000, v75
	v_fmac_f32_e32 v55, v29, v53
	v_and_b32_e32 v53, 0xffff0000, v54
	v_fmac_f32_e32 v56, v30, v57
	v_and_b32_e32 v54, 0xffff0000, v60
	v_cndmask_b32_e64 v57, v91, v92, s3
	v_cmp_u_f32_e64 s3, v75, v75
	v_or_b32_e32 v74, 0x400000, v86
	v_mul_f32_e32 v1, s5, v83
	v_fmac_f32_e32 v56, v32, v54
	v_and_b32_e32 v54, 0xffff0000, v57
	v_cndmask_b32_e64 v57, v72, v59, s3
	v_cmp_u_f32_e64 s3, v86, v86
	v_or_b32_e32 v88, 0x400000, v85
	v_fmac_f32_e32 v55, v31, v53
	v_and_b32_e32 v53, 0xffff0000, v58
	v_bfe_u32 v83, v1, 16, 1
	v_cndmask_b32_e64 v58, v89, v74, s3
	v_cmp_u_f32_e64 s3, v85, v85
	v_bfe_u32 v84, v8, 16, 1
	v_or_b32_e32 v77, 0x400000, v81
	v_fmac_f32_e32 v55, v33, v53
	v_fmac_f32_e32 v56, v34, v54
	v_and_b32_e32 v53, 0xffff0000, v57
	v_and_b32_e32 v54, 0xffff0000, v73
	v_cndmask_b32_e64 v57, v87, v88, s3
	v_cmp_u_f32_e64 s3, v81, v81
	v_add3_u32 v80, v83, v1, 0x7fff
	v_add3_u32 v83, v84, v8, 0x7fff
	v_or_b32_e32 v84, 0x400000, v8
	v_mul_f32_e32 v7, s5, v7
	v_fmac_f32_e32 v56, v36, v54
	v_and_b32_e32 v54, 0xffff0000, v57
	v_cndmask_b32_e64 v57, v78, v77, s3
	v_cmp_u_f32_e64 s3, v8, v8
	v_or_b32_e32 v79, 0x400000, v1
	v_fmac_f32_e32 v55, v35, v53
	v_and_b32_e32 v53, 0xffff0000, v58
	v_bfe_u32 v58, v7, 16, 1
	v_cndmask_b32_e64 v8, v83, v84, s3
	v_cmp_u_f32_e64 s3, v1, v1
	v_fmac_f32_e32 v56, v38, v54
	v_fmac_f32_e32 v55, v37, v53
	v_and_b32_e32 v53, 0xffff0000, v76
	v_and_b32_e32 v54, 0xffff0000, v57
	v_add3_u32 v57, v58, v7, 0x7fff
	v_or_b32_e32 v58, 0x400000, v7
	v_cndmask_b32_e64 v1, v80, v79, s3
	v_cmp_u_f32_e64 s3, v7, v7
	v_fmac_f32_e32 v55, v39, v53
	v_fmac_f32_e32 v56, v40, v54
	v_and_b32_e32 v8, 0xffff0000, v8
	v_and_b32_e32 v53, 0xffff0000, v82
	v_cndmask_b32_e64 v7, v57, v58, s3
	v_and_b32_e32 v1, 0xffff0000, v1
	v_fmac_f32_e32 v55, v42, v8
	v_fmac_f32_e32 v56, v43, v53
	v_and_b32_e32 v7, 0xffff0000, v7
	v_fmac_f32_e32 v55, v44, v1
	v_fmac_f32_e32 v56, v45, v7
	v_add_f32_e32 v1, v55, v56
	ds_bpermute_b32 v7, v46, v1
	s_waitcnt lgkmcnt(0)
	v_add_f32_e32 v1, v1, v7
	ds_bpermute_b32 v7, v47, v1
	s_and_saveexec_b32 s4, vcc_lo
	s_cbranch_execz .LBB319_8
; %bb.266:                              ;   in Loop: Header=BB319_9 Depth=1
	v_add_nc_u32_e32 v8, s16, v48
	s_waitcnt lgkmcnt(0)
	v_add_f32_e32 v1, v1, v7
	v_cmp_gt_i32_e64 s3, s11, v48
	v_cvt_f32_i32_e32 v8, v8
	v_mul_f32_e32 v8, s28, v8
	v_cndmask_b32_e64 v7, 0, v8, s2
	v_max_f32_e32 v8, v41, v41
	v_fmac_f32_e32 v7, s29, v1
	v_max_f32_e32 v1, v8, v7
	v_cndmask_b32_e64 v7, 0, v7, s3
	v_cndmask_b32_e64 v41, v41, v1, s3
	ds_write_b32 v49, v7
	s_branch .LBB319_8
.LBB319_267:
	s_or_b32 exec_lo, exec_lo, s17
.LBB319_268:
	s_or_b32 exec_lo, exec_lo, s15
	v_xor_b32_e32 v1, 16, v10
	v_xor_b32_e32 v4, 8, v10
	v_max_f32_e32 v5, v41, v41
	v_xor_b32_e32 v6, 4, v10
	v_and_b32_e32 v22, 31, v0
	v_cmp_lt_i32_e32 vcc_lo, v1, v11
	v_cndmask_b32_e32 v1, v10, v1, vcc_lo
	v_cmp_lt_i32_e32 vcc_lo, v4, v11
	v_lshlrev_b32_e32 v3, 2, v1
	v_cndmask_b32_e32 v4, v10, v4, vcc_lo
	v_cmp_lt_i32_e32 vcc_lo, v6, v11
	ds_bpermute_b32 v1, v3, v41
	v_lshlrev_b32_e32 v4, 2, v4
	v_cndmask_b32_e32 v6, v10, v6, vcc_lo
	v_cmp_eq_u32_e32 vcc_lo, 0, v22
	s_waitcnt lgkmcnt(0)
	v_lshlrev_b32_e32 v7, 2, v6
	v_max_f32_e32 v1, v1, v1
	v_max_f32_e32 v1, v5, v1
	ds_bpermute_b32 v5, v4, v1
	s_waitcnt lgkmcnt(0)
	v_max_f32_e32 v5, v5, v5
	v_max_f32_e32 v1, v1, v5
	v_lshlrev_b32_e32 v5, 2, v21
	ds_bpermute_b32 v6, v7, v1
	s_and_saveexec_b32 s2, vcc_lo
	s_cbranch_execz .LBB319_270
; %bb.269:
	s_waitcnt lgkmcnt(0)
	v_max_f32_e32 v6, v6, v6
	v_max_f32_e32 v1, v1, v1
	;; [unrolled: 1-line block ×3, first 2 shown]
	ds_write_b32 v5, v1 offset:256
.LBB319_270:
	s_or_b32 exec_lo, exec_lo, s2
	v_cmp_gt_u32_e64 s2, 4, v22
	v_mov_b32_e32 v1, 0xff7fffff
	s_waitcnt lgkmcnt(0)
	v_lshlrev_b32_e32 v6, 2, v22
	s_barrier
	buffer_gl0_inv
	s_and_saveexec_b32 s3, s2
; %bb.271:
	ds_read_b32 v1, v6 offset:256
; %bb.272:
	s_or_b32 exec_lo, exec_lo, s3
	v_xor_b32_e32 v8, 2, v10
	v_xor_b32_e32 v13, 1, v10
	v_lshlrev_b32_e32 v2, 2, v2
	v_cmp_lt_i32_e64 s3, v8, v11
	v_cndmask_b32_e64 v8, v10, v8, s3
	v_cmp_lt_i32_e64 s3, v13, v11
	v_lshlrev_b32_e32 v8, 2, v8
	v_cndmask_b32_e64 v11, v10, v13, s3
	s_lshl_b32 s3, s12, 3
	s_min_i32 s5, s3, s11
	s_waitcnt lgkmcnt(0)
	ds_bpermute_b32 v12, v8, v1
	v_max_f32_e32 v1, v1, v1
	v_lshlrev_b32_e32 v11, 2, v11
	v_cmp_gt_i32_e64 s3, s5, v0
	s_waitcnt lgkmcnt(0)
	v_max_f32_e32 v12, v12, v12
	v_max_f32_e32 v1, v1, v12
	ds_bpermute_b32 v12, v11, v1
	s_waitcnt lgkmcnt(0)
	v_max_f32_e32 v12, v12, v12
	v_max_f32_e32 v1, v1, v12
	ds_bpermute_b32 v12, v2, v1
	v_mov_b32_e32 v2, 0
	v_lshl_add_u32 v1, v0, 2, 0x120
	s_and_saveexec_b32 s15, s3
	s_cbranch_execz .LBB319_276
; %bb.273:
	v_lshl_add_u32 v13, v0, 2, 0x120
	v_mov_b32_e32 v2, 0
	v_mov_b32_e32 v14, v0
	s_mov_b32 s16, 0
	.p2align	6
.LBB319_274:                            ; =>This Inner Loop Header: Depth=1
	ds_read_b32 v15, v13
	v_add_nc_u32_e32 v14, 0x80, v14
	v_cmp_le_i32_e64 s4, s5, v14
	s_or_b32 s16, s4, s16
	s_waitcnt lgkmcnt(0)
	v_sub_f32_e32 v15, v15, v12
	v_mul_f32_e32 v15, 0x3fb8aa3b, v15
	v_exp_f32_e32 v15, v15
	ds_write_b32 v13, v15
	v_add_f32_e32 v2, v2, v15
	v_add_nc_u32_e32 v13, 0x200, v13
	s_andn2_b32 exec_lo, exec_lo, s16
	s_cbranch_execnz .LBB319_274
; %bb.275:
	s_or_b32 exec_lo, exec_lo, s16
.LBB319_276:
	s_or_b32 exec_lo, exec_lo, s15
	ds_bpermute_b32 v3, v3, v2
	s_waitcnt lgkmcnt(0)
	v_add_f32_e32 v2, v2, v3
	ds_bpermute_b32 v3, v4, v2
	s_waitcnt lgkmcnt(0)
	v_add_f32_e32 v2, v2, v3
	;; [unrolled: 3-line block ×5, first 2 shown]
	s_and_saveexec_b32 s4, vcc_lo
; %bb.277:
	ds_write_b32 v5, v2 offset:272
; %bb.278:
	s_or_b32 exec_lo, exec_lo, s4
	s_waitcnt lgkmcnt(0)
	s_barrier
	buffer_gl0_inv
	s_and_saveexec_b32 s4, s2
; %bb.279:
	ds_read_b32 v2, v6 offset:272
; %bb.280:
	s_or_b32 exec_lo, exec_lo, s4
	s_waitcnt lgkmcnt(0)
	ds_bpermute_b32 v3, v8, v2
	v_lshlrev_b32_e32 v4, 2, v10
	s_waitcnt lgkmcnt(0)
	v_add_f32_e32 v2, v2, v3
	ds_bpermute_b32 v3, v11, v2
	s_waitcnt lgkmcnt(0)
	v_add_f32_e32 v2, v2, v3
	v_and_b32_e32 v3, 0xffffff80, v4
	ds_bpermute_b32 v2, v3, v2
	s_and_saveexec_b32 s2, s3
	s_cbranch_execz .LBB319_283
; %bb.281:
	s_waitcnt lgkmcnt(0)
	v_add_f32_e32 v2, 0x358637bd, v2
	s_mov_b32 s3, 0
	v_div_scale_f32 v3, null, v2, v2, 1.0
	v_div_scale_f32 v6, vcc_lo, 1.0, v2, 1.0
	v_rcp_f32_e32 v4, v3
	v_fma_f32 v5, -v3, v4, 1.0
	v_fmac_f32_e32 v4, v5, v4
	v_mul_f32_e32 v5, v6, v4
	v_fma_f32 v7, -v3, v5, v6
	v_fmac_f32_e32 v5, v7, v4
	v_fma_f32 v3, -v3, v5, v6
	v_div_fmas_f32 v3, v3, v4, v5
	v_div_fixup_f32 v2, v3, v2, 1.0
	v_mov_b32_e32 v3, v0
.LBB319_282:                            ; =>This Inner Loop Header: Depth=1
	ds_read_b32 v4, v1
	v_add_nc_u32_e32 v3, 0x80, v3
	v_cmp_le_i32_e32 vcc_lo, s5, v3
	s_or_b32 s3, vcc_lo, s3
	s_waitcnt lgkmcnt(0)
	v_mul_f32_e32 v4, v2, v4
	ds_write_b32 v1, v4
	v_add_nc_u32_e32 v1, 0x200, v1
	s_andn2_b32 exec_lo, exec_lo, s3
	s_cbranch_execnz .LBB319_282
.LBB319_283:
	s_or_b32 exec_lo, exec_lo, s2
	v_mov_b32_e32 v26, 0
	v_mov_b32_e32 v25, 0
	;; [unrolled: 1-line block ×4, first 2 shown]
	s_waitcnt lgkmcnt(0)
	s_barrier
	buffer_gl0_inv
	s_and_saveexec_b32 s4, s1
	s_cbranch_execz .LBB319_535
; %bb.284:
	s_mov_b32 s5, s13
	s_load_dword s13, s[18:19], 0x0
	v_lshlrev_b32_e32 v1, 3, v22
	s_ashr_i32 s1, s14, 31
	s_add_u32 s2, s26, s14
	s_addc_u32 s1, s27, s1
	s_add_i32 s14, s12, -1
	v_add_co_u32 v11, s2, s2, v1
	v_and_b32_e32 v1, 0x7c, v9
	v_add_co_ci_u32_e64 v12, null, s1, 0, s2
	s_lshl_b64 s[2:3], s[24:25], 2
	v_mov_b32_e32 v10, 0
	s_add_u32 s1, s22, s2
	s_addc_u32 s2, s23, s3
	v_add_co_u32 v13, s1, s1, v1
	v_lshl_or_b32 v27, v21, 3, 7
	v_lshl_add_u32 v28, v21, 5, 0x120
	v_add_co_ci_u32_e64 v14, null, s2, 0, s1
	v_mov_b32_e32 v29, 0x80
	v_mov_b32_e32 v30, 0xffff
	v_mov_b32_e32 v31, 0xff
	v_mov_b32_e32 v32, 7
	v_mov_b32_e32 v33, 24
	v_mov_b32_e32 v23, 0
	v_mov_b32_e32 v24, 0
	v_mov_b32_e32 v25, 0
	v_mov_b32_e32 v26, 0
	v_mov_b32_e32 v34, v21
	s_mov_b32 s2, -1
	s_mov_b32 s3, 0xffffff
	s_mov_b32 s15, 0
	s_branch .LBB319_286
.LBB319_285:                            ;   in Loop: Header=BB319_286 Depth=1
	s_or_b32 exec_lo, exec_lo, s1
	v_bfe_u32 v43, v5, 16, 1
	v_bfe_u32 v44, v6, 16, 1
	v_or_b32_e32 v45, 0x400000, v5
	v_cmp_u_f32_e32 vcc_lo, v5, v5
	v_or_b32_e32 v46, 0x400000, v6
	v_add3_u32 v43, v43, v5, 0x7fff
	v_bfe_u32 v47, v7, 16, 1
	v_add3_u32 v44, v44, v6, 0x7fff
	v_bfe_u32 v48, v8, 16, 1
	v_lshlrev_b32_e32 v19, 16, v19
	v_cndmask_b32_e32 v5, v43, v45, vcc_lo
	v_cmp_u_f32_e32 vcc_lo, v6, v6
	v_add3_u32 v43, v47, v7, 0x7fff
	v_add3_u32 v45, v48, v8, 0x7fff
	v_bfe_u32 v47, v1, 16, 1
	v_and_b32_e32 v5, 0xffff0000, v5
	v_cndmask_b32_e32 v6, v44, v46, vcc_lo
	v_or_b32_e32 v44, 0x400000, v7
	v_cmp_u_f32_e32 vcc_lo, v7, v7
	v_or_b32_e32 v46, 0x400000, v8
	v_or_b32_e32 v48, 0x400000, v4
	v_lshlrev_b32_e32 v20, 16, v20
	v_lshlrev_b32_e32 v59, 16, v59
	v_cndmask_b32_e32 v7, v43, v44, vcc_lo
	v_cmp_u_f32_e32 vcc_lo, v8, v8
	v_bfe_u32 v43, v2, 16, 1
	v_add3_u32 v44, v47, v1, 0x7fff
	v_bfe_u32 v47, v3, 16, 1
	v_lshlrev_b32_e32 v55, 16, v55
	v_cndmask_b32_e32 v8, v45, v46, vcc_lo
	v_or_b32_e32 v45, 0x400000, v1
	v_cmp_u_f32_e32 vcc_lo, v1, v1
	v_add3_u32 v43, v43, v2, 0x7fff
	v_or_b32_e32 v46, 0x400000, v2
	v_and_b32_e32 v1, 0xffff0000, v6
	v_lshlrev_b32_e32 v6, 16, v63
	v_cndmask_b32_e32 v44, v44, v45, vcc_lo
	v_cmp_u_f32_e32 vcc_lo, v2, v2
	v_add3_u32 v2, v47, v3, 0x7fff
	v_bfe_u32 v45, v4, 16, 1
	v_or_b32_e32 v47, 0x400000, v3
	v_mul_f32_e32 v6, v1, v6
	v_cndmask_b32_e32 v43, v43, v46, vcc_lo
	v_lshlrev_b32_e32 v46, 16, v62
	v_cmp_u_f32_e32 vcc_lo, v3, v3
	v_add3_u32 v45, v45, v4, 0x7fff
	v_bfe_u32 v3, v6, 16, 1
	v_lshlrev_b32_e32 v42, 16, v42
	v_mul_f32_e32 v46, v5, v46
	v_cndmask_b32_e32 v47, v2, v47, vcc_lo
	v_cmp_u_f32_e32 vcc_lo, v4, v4
	v_and_b32_e32 v2, 0xffff0000, v8
	v_lshlrev_b32_e32 v8, 16, v60
	v_add3_u32 v3, v3, v6, 0x7fff
	v_or_b32_e32 v49, 0x400000, v46
	v_cndmask_b32_e32 v4, v45, v48, vcc_lo
	v_bfe_u32 v45, v46, 16, 1
	v_or_b32_e32 v48, 0x400000, v6
	v_mul_f32_e32 v60, v2, v8
	v_and_b32_e32 v8, 0xffff0000, v7
	v_lshlrev_b32_e32 v7, 16, v61
	v_cmp_u_f32_e32 vcc_lo, v6, v6
	v_add3_u32 v45, v45, v46, 0x7fff
	v_and_b32_e32 v6, 0xffff0000, v44
	v_or_b32_e32 v44, 0x400000, v60
	v_mul_f32_e32 v7, v8, v7
	v_cndmask_b32_e32 v48, v3, v48, vcc_lo
	v_cmp_u_f32_e32 vcc_lo, v46, v46
	v_bfe_u32 v46, v60, 16, 1
	v_and_b32_e32 v3, 0xffff0000, v43
	v_mul_f32_e32 v20, v6, v20
	v_and_b32_e32 v4, 0xffff0000, v4
	v_cndmask_b32_e32 v45, v45, v49, vcc_lo
	v_add3_u32 v43, v46, v60, 0x7fff
	v_bfe_u32 v46, v7, 16, 1
	v_mul_f32_e32 v19, v3, v19
	v_cmp_u_f32_e32 vcc_lo, v60, v60
	v_bfe_u32 v60, v20, 16, 1
	v_mul_f32_e32 v59, v4, v59
	v_and_b32_e32 v45, 0xffff0000, v45
	v_bfe_u32 v49, v19, 16, 1
	v_cndmask_b32_e32 v43, v43, v44, vcc_lo
	v_add3_u32 v44, v46, v7, 0x7fff
	v_or_b32_e32 v46, 0x400000, v7
	v_cmp_u_f32_e32 vcc_lo, v7, v7
	v_and_b32_e32 v7, 0xffff0000, v47
	v_lshlrev_b32_e32 v47, 16, v58
	v_add3_u32 v60, v60, v20, 0x7fff
	v_or_b32_e32 v58, 0x400000, v20
	v_cndmask_b32_e32 v44, v44, v46, vcc_lo
	v_add3_u32 v46, v49, v19, 0x7fff
	v_or_b32_e32 v49, 0x400000, v19
	v_cmp_u_f32_e32 vcc_lo, v19, v19
	v_bfe_u32 v61, v59, 16, 1
	v_and_b32_e32 v44, 0xffff0000, v44
	v_and_b32_e32 v43, 0xffff0000, v43
	v_and_b32_e32 v48, 0xffff0000, v48
	v_cndmask_b32_e32 v19, v46, v49, vcc_lo
	v_mul_f32_e32 v46, v7, v47
	v_cmp_u_f32_e32 vcc_lo, v20, v20
	v_add3_u32 v47, v61, v59, 0x7fff
	v_or_b32_e32 v49, 0x400000, v59
	v_add_f32_e32 v43, v44, v43
	v_lshlrev_b32_e32 v44, 16, v57
	v_cndmask_b32_e32 v20, v60, v58, vcc_lo
	v_bfe_u32 v58, v46, 16, 1
	v_cmp_u_f32_e32 vcc_lo, v59, v59
	v_add_f32_e32 v45, v45, v48
	v_and_b32_e32 v19, 0xffff0000, v19
	v_and_b32_e32 v20, 0xffff0000, v20
	v_lshlrev_b32_e32 v48, 16, v56
	v_cndmask_b32_e32 v47, v47, v49, vcc_lo
	v_add3_u32 v49, v58, v46, 0x7fff
	v_or_b32_e32 v58, 0x400000, v46
	v_cmp_u_f32_e32 vcc_lo, v46, v46
	v_mul_f32_e32 v44, v1, v44
	v_add_f32_e32 v43, v43, v45
	v_add_f32_e32 v19, v20, v19
	v_mul_f32_e32 v45, v5, v48
	v_cndmask_b32_e32 v46, v49, v58, vcc_lo
	v_bfe_u32 v48, v44, 16, 1
	v_cmp_u_f32_e32 vcc_lo, v44, v44
	v_add_f32_e32 v19, v19, v43
	v_bfe_u32 v43, v45, 16, 1
	v_and_b32_e32 v20, 0xffff0000, v46
	v_and_b32_e32 v46, 0xffff0000, v47
	v_lshlrev_b32_e32 v47, 16, v53
	v_or_b32_e32 v49, 0x400000, v45
	v_add3_u32 v43, v43, v45, 0x7fff
	v_mul_f32_e32 v42, v1, v42
	v_add_f32_e32 v20, v20, v46
	v_mul_f32_e32 v46, v2, v47
	v_add3_u32 v47, v48, v44, 0x7fff
	v_or_b32_e32 v48, 0x400000, v44
	v_lshlrev_b32_e32 v41, 16, v41
	v_lshlrev_b32_e32 v38, 16, v38
	v_bfe_u32 v53, v46, 16, 1
	v_lshlrev_b32_e32 v40, 16, v40
	v_cndmask_b32_e32 v44, v47, v48, vcc_lo
	v_cmp_u_f32_e32 vcc_lo, v45, v45
	v_mul_f32_e32 v45, v8, v55
	v_add3_u32 v47, v53, v46, 0x7fff
	v_or_b32_e32 v48, 0x400000, v46
	v_and_b32_e32 v44, 0xffff0000, v44
	v_cndmask_b32_e32 v43, v43, v49, vcc_lo
	v_lshlrev_b32_e32 v49, 16, v50
	v_cmp_u_f32_e32 vcc_lo, v46, v46
	v_lshlrev_b32_e32 v50, 16, v51
	v_bfe_u32 v51, v45, 16, 1
	v_and_b32_e32 v43, 0xffff0000, v43
	v_mul_f32_e32 v41, v5, v41
	v_cndmask_b32_e32 v46, v47, v48, vcc_lo
	v_mul_f32_e32 v47, v3, v49
	v_mul_f32_e32 v48, v6, v50
	v_add3_u32 v49, v51, v45, 0x7fff
	v_or_b32_e32 v50, 0x400000, v45
	v_lshlrev_b32_e32 v51, 16, v54
	v_bfe_u32 v53, v47, 16, 1
	v_cmp_u_f32_e32 vcc_lo, v45, v45
	v_bfe_u32 v54, v48, 16, 1
	v_and_b32_e32 v46, 0xffff0000, v46
	v_add_f32_e32 v43, v43, v44
	v_mul_f32_e32 v38, v2, v38
	v_cndmask_b32_e32 v45, v49, v50, vcc_lo
	v_mul_f32_e32 v49, v4, v51
	v_add3_u32 v50, v53, v47, 0x7fff
	v_or_b32_e32 v51, 0x400000, v47
	v_cmp_u_f32_e32 vcc_lo, v47, v47
	v_add3_u32 v53, v54, v48, 0x7fff
	v_or_b32_e32 v54, 0x400000, v48
	v_bfe_u32 v55, v49, 16, 1
	v_and_b32_e32 v45, 0xffff0000, v45
	v_cndmask_b32_e32 v47, v50, v51, vcc_lo
	v_lshlrev_b32_e32 v50, 16, v52
	v_cmp_u_f32_e32 vcc_lo, v48, v48
	v_add3_u32 v51, v55, v49, 0x7fff
	v_or_b32_e32 v52, 0x400000, v49
	v_add_f32_e32 v44, v45, v46
	v_mul_f32_e32 v50, v7, v50
	v_cndmask_b32_e32 v48, v53, v54, vcc_lo
	v_cmp_u_f32_e32 vcc_lo, v49, v49
	v_and_b32_e32 v46, 0xffff0000, v47
	v_add_f32_e32 v43, v44, v43
	v_lshlrev_b32_e32 v36, 16, v36
	v_and_b32_e32 v45, 0xffff0000, v48
	v_cndmask_b32_e32 v49, v51, v52, vcc_lo
	v_bfe_u32 v51, v50, 16, 1
	v_or_b32_e32 v48, 0x400000, v50
	v_cmp_u_f32_e32 vcc_lo, v50, v50
	v_add_f32_e32 v44, v45, v46
	v_bfe_u32 v46, v42, 16, 1
	v_add3_u32 v47, v51, v50, 0x7fff
	v_mul_f32_e32 v40, v8, v40
	v_mul_f32_e32 v36, v3, v36
	v_add_f32_e32 v43, v44, v43
	v_lshlrev_b32_e32 v35, 16, v35
	v_cndmask_b32_e32 v45, v47, v48, vcc_lo
	v_bfe_u32 v48, v41, 16, 1
	v_cmp_u_f32_e32 vcc_lo, v42, v42
	v_and_b32_e32 v47, 0xffff0000, v49
	v_or_b32_e32 v49, 0x400000, v38
	v_and_b32_e32 v44, 0xffff0000, v45
	v_add3_u32 v45, v46, v42, 0x7fff
	v_or_b32_e32 v46, 0x400000, v42
	v_lshlrev_b32_e32 v39, 16, v39
	v_mul_f32_e32 v35, v6, v35
	v_lshlrev_b32_e32 v37, 16, v37
	v_lshlrev_b32_e32 v16, 16, v16
	v_cndmask_b32_e32 v42, v45, v46, vcc_lo
	v_bfe_u32 v45, v38, 16, 1
	v_add3_u32 v46, v48, v41, 0x7fff
	v_or_b32_e32 v48, 0x400000, v41
	v_cmp_u_f32_e32 vcc_lo, v41, v41
	v_mul_f32_e32 v39, v4, v39
	v_add3_u32 v45, v45, v38, 0x7fff
	v_mul_f32_e32 v37, v7, v37
	v_and_b32_e32 v42, 0xffff0000, v42
	v_cndmask_b32_e32 v41, v46, v48, vcc_lo
	v_bfe_u32 v46, v40, 16, 1
	v_cmp_u_f32_e32 vcc_lo, v38, v38
	v_or_b32_e32 v48, 0x400000, v40
	v_mul_f32_e32 v2, v2, v16
	v_and_b32_e32 v41, 0xffff0000, v41
	v_add3_u32 v46, v46, v40, 0x7fff
	v_cndmask_b32_e32 v38, v45, v49, vcc_lo
	v_bfe_u32 v45, v36, 16, 1
	v_cmp_u_f32_e32 vcc_lo, v40, v40
	v_or_b32_e32 v49, 0x400000, v36
	v_add_f32_e32 v41, v41, v42
	v_and_b32_e32 v38, 0xffff0000, v38
	v_add3_u32 v45, v45, v36, 0x7fff
	v_cndmask_b32_e32 v40, v46, v48, vcc_lo
	v_bfe_u32 v46, v35, 16, 1
	v_cmp_u_f32_e32 vcc_lo, v36, v36
	v_bfe_u32 v48, v39, 16, 1
	v_lshlrev_b32_e32 v15, 16, v15
	v_and_b32_e32 v40, 0xffff0000, v40
	v_lshlrev_b32_e32 v9, 16, v9
	v_cndmask_b32_e32 v36, v45, v49, vcc_lo
	v_add3_u32 v45, v46, v35, 0x7fff
	v_or_b32_e32 v46, 0x400000, v35
	v_cmp_u_f32_e32 vcc_lo, v35, v35
	v_add3_u32 v48, v48, v39, 0x7fff
	v_or_b32_e32 v49, 0x400000, v39
	v_add_f32_e32 v38, v40, v38
	v_and_b32_e32 v36, 0xffff0000, v36
	v_cndmask_b32_e32 v35, v45, v46, vcc_lo
	v_cmp_u_f32_e32 vcc_lo, v39, v39
	v_bfe_u32 v45, v37, 16, 1
	v_lshlrev_b32_e32 v40, 16, v65
	v_or_b32_e32 v46, 0x400000, v37
	v_and_b32_e32 v35, 0xffff0000, v35
	v_cndmask_b32_e32 v39, v48, v49, vcc_lo
	v_lshlrev_b32_e32 v48, 16, v66
	v_add3_u32 v45, v45, v37, 0x7fff
	v_cmp_u_f32_e32 vcc_lo, v37, v37
	v_add_f32_e32 v38, v38, v41
	v_add_f32_e32 v35, v35, v36
	v_mul_f32_e32 v5, v5, v48
	v_mul_f32_e32 v1, v1, v40
	v_lshlrev_b32_e32 v36, 16, v64
	v_cndmask_b32_e32 v37, v45, v46, vcc_lo
	v_mul_f32_e32 v6, v6, v15
	v_bfe_u32 v41, v5, 16, 1
	v_bfe_u32 v42, v1, 16, 1
	v_mul_f32_e32 v8, v8, v36
	v_cmp_u_f32_e32 vcc_lo, v5, v5
	v_mul_f32_e32 v3, v3, v9
	v_add3_u32 v40, v41, v5, 0x7fff
	v_or_b32_e32 v41, 0x400000, v5
	v_add3_u32 v36, v42, v1, 0x7fff
	v_lshlrev_b32_e32 v9, 16, v18
	v_lshlrev_b32_e32 v17, 16, v17
	v_and_b32_e32 v37, 0xffff0000, v37
	v_cndmask_b32_e32 v5, v40, v41, vcc_lo
	v_or_b32_e32 v40, 0x400000, v1
	v_bfe_u32 v41, v8, 16, 1
	v_cmp_u_f32_e32 vcc_lo, v1, v1
	v_mul_f32_e32 v7, v7, v9
	v_mul_f32_e32 v4, v4, v17
	v_or_b32_e32 v9, 0x400000, v6
	v_add3_u32 v16, v41, v8, 0x7fff
	v_cndmask_b32_e32 v1, v36, v40, vcc_lo
	v_or_b32_e32 v36, 0x400000, v8
	v_bfe_u32 v40, v2, 16, 1
	v_cmp_u_f32_e32 vcc_lo, v8, v8
	v_or_b32_e32 v17, 0x400000, v3
	v_bfe_u32 v18, v7, 16, 1
	v_and_b32_e32 v1, 0xffff0000, v1
	v_add3_u32 v15, v40, v2, 0x7fff
	v_cndmask_b32_e32 v8, v16, v36, vcc_lo
	v_or_b32_e32 v16, 0x400000, v2
	v_bfe_u32 v36, v6, 16, 1
	v_cmp_u_f32_e32 vcc_lo, v2, v2
	v_and_b32_e32 v5, 0xffff0000, v5
	v_and_b32_e32 v8, 0xffff0000, v8
	v_add_nc_u32_e32 v34, 4, v34
	v_add_co_u32 v13, s1, v13, 16
	v_cndmask_b32_e32 v2, v15, v16, vcc_lo
	v_bfe_u32 v15, v3, 16, 1
	v_add3_u32 v16, v36, v6, 0x7fff
	v_cmp_u_f32_e32 vcc_lo, v6, v6
	v_bfe_u32 v36, v4, 16, 1
	v_and_b32_e32 v2, 0xffff0000, v2
	v_add3_u32 v15, v15, v3, 0x7fff
	v_add_f32_e32 v1, v5, v1
	v_cndmask_b32_e32 v6, v16, v9, vcc_lo
	v_cmp_u_f32_e32 vcc_lo, v3, v3
	v_or_b32_e32 v16, 0x400000, v4
	v_add3_u32 v9, v18, v7, 0x7fff
	v_add_f32_e32 v2, v8, v2
	v_and_b32_e32 v5, 0xffff0000, v6
	v_cndmask_b32_e32 v3, v15, v17, vcc_lo
	v_add3_u32 v15, v36, v4, 0x7fff
	v_cmp_u_f32_e32 vcc_lo, v4, v4
	v_or_b32_e32 v17, 0x400000, v7
	v_add_f32_e32 v1, v2, v1
	v_and_b32_e32 v3, 0xffff0000, v3
	v_add_nc_u32_e32 v27, 32, v27
	v_cndmask_b32_e32 v4, v15, v16, vcc_lo
	v_cmp_u_f32_e32 vcc_lo, v7, v7
	v_and_b32_e32 v7, 0xffff0000, v39
	v_add_f32_e32 v2, v5, v3
	v_add_f32_e32 v5, v44, v47
	v_and_b32_e32 v3, 0xffff0000, v4
	v_cndmask_b32_e32 v6, v9, v17, vcc_lo
	v_add_f32_e32 v7, v37, v7
	v_add_f32_e32 v1, v2, v1
	v_cmp_le_i32_e32 vcc_lo, s12, v34
	v_add_nc_u32_e32 v28, 0x80, v28
	v_and_b32_e32 v4, 0xffff0000, v6
	v_add_f32_e32 v6, v35, v38
	v_add_co_ci_u32_e64 v14, null, 0, v14, s1
	s_or_b32 s15, vcc_lo, s15
	v_add_f32_e32 v2, v4, v3
	v_add_f32_e32 v3, v20, v19
	;; [unrolled: 1-line block ×9, first 2 shown]
	s_andn2_b32 exec_lo, exec_lo, s15
	s_cbranch_execz .LBB319_534
.LBB319_286:                            ; =>This Inner Loop Header: Depth=1
	global_load_dword v1, v[13:14], off
	v_mov_b32_e32 v37, 0
	s_waitcnt vmcnt(0)
	v_mad_i64_i32 v[15:16], null, v1, s5, v[11:12]
	global_load_dwordx2 v[17:18], v[15:16], off
	ds_read2_b64 v[5:8], v28 offset1:1
	ds_read2_b64 v[1:4], v28 offset0:2 offset1:3
	s_waitcnt vmcnt(0)
	v_cmp_ne_u16_sdwa s16, v17, v10 src0_sel:BYTE_0 src1_sel:DWORD
	s_and_saveexec_b32 s1, s16
	s_cbranch_execz .LBB319_292
; %bb.287:                              ;   in Loop: Header=BB319_286 Depth=1
	v_cmp_ne_u16_sdwa s17, v17, v29 src0_sel:BYTE_0 src1_sel:DWORD
	v_bfrev_b32_e32 v37, 1
	s_and_saveexec_b32 s16, s17
	s_cbranch_execz .LBB319_291
; %bb.288:                              ;   in Loop: Header=BB319_286 Depth=1
	v_and_b32_e32 v9, 0x7f, v17
	v_mov_b32_e32 v37, 0x7f800001
	s_mov_b32 s17, exec_lo
	v_cmpx_ne_u32_e32 0x7f, v9
	s_cbranch_execz .LBB319_290
; %bb.289:                              ;   in Loop: Header=BB319_286 Depth=1
	v_and_b32_e32 v19, 7, v17
	v_lshrrev_b32_e32 v20, 3, v9
	v_cmp_gt_u32_e32 vcc_lo, 8, v9
	v_ffbh_u32_e32 v19, v19
	v_min_u32_e32 v19, 32, v19
	v_subrev_nc_u32_e32 v35, 28, v19
	v_sub_nc_u32_e32 v19, 29, v19
	v_cndmask_b32_e32 v9, v20, v19, vcc_lo
	v_cndmask_b32_e32 v19, 0, v35, vcc_lo
	v_lshl_add_u32 v9, v9, 23, 0x3c000000
	v_lshlrev_b64 v[19:20], v19, v[17:18]
	v_lshlrev_b32_e32 v20, 24, v17
	v_lshlrev_b32_e32 v19, 20, v19
	v_and_b32_e32 v20, 0x80000000, v20
	v_and_b32_e32 v19, 0x700000, v19
	v_or3_b32 v37, v19, v20, v9
.LBB319_290:                            ;   in Loop: Header=BB319_286 Depth=1
	s_or_b32 exec_lo, exec_lo, s17
.LBB319_291:                            ;   in Loop: Header=BB319_286 Depth=1
	s_or_b32 exec_lo, exec_lo, s16
.LBB319_292:                            ;   in Loop: Header=BB319_286 Depth=1
	s_or_b32 exec_lo, exec_lo, s1
	v_cmp_ne_u16_sdwa s16, v17, v10 src0_sel:BYTE_1 src1_sel:DWORD
	v_mov_b32_e32 v36, 0
	v_mov_b32_e32 v35, 0
	s_and_saveexec_b32 s1, s16
	s_cbranch_execz .LBB319_300
; %bb.293:                              ;   in Loop: Header=BB319_286 Depth=1
	v_cmp_ne_u16_sdwa s17, v17, v29 src0_sel:BYTE_1 src1_sel:DWORD
	v_bfrev_b32_e32 v35, 1
	s_and_saveexec_b32 s16, s17
	s_cbranch_execz .LBB319_299
; %bb.294:                              ;   in Loop: Header=BB319_286 Depth=1
	v_and_b32_sdwa v9, v30, v17 dst_sel:DWORD dst_unused:UNUSED_PAD src0_sel:DWORD src1_sel:BYTE_1
	v_mov_b32_e32 v35, 0x7f800001
	s_mov_b32 s17, exec_lo
	v_and_b32_e32 v20, 0x7f, v9
	v_cmpx_ne_u32_e32 0x7f, v20
	s_cbranch_execz .LBB319_298
; %bb.295:                              ;   in Loop: Header=BB319_286 Depth=1
	v_and_b32_e32 v9, 7, v9
	v_lshrrev_b32_e32 v19, 3, v20
	s_mov_b32 s18, exec_lo
	v_cmpx_gt_u32_e32 8, v20
; %bb.296:                              ;   in Loop: Header=BB319_286 Depth=1
	v_ffbh_u32_e32 v19, v9
	v_min_u32_e32 v19, 32, v19
	v_subrev_nc_u32_e32 v20, 28, v19
	v_sub_nc_u32_e32 v19, 29, v19
	v_lshlrev_b64 v[38:39], v20, v[9:10]
	v_and_b32_e32 v9, 7, v38
; %bb.297:                              ;   in Loop: Header=BB319_286 Depth=1
	s_or_b32 exec_lo, exec_lo, s18
	v_lshlrev_b32_e32 v20, 16, v17
	v_lshlrev_b32_e32 v9, 20, v9
	v_lshl_add_u32 v19, v19, 23, 0x3c000000
	v_and_b32_e32 v20, 0x80000000, v20
	v_or3_b32 v35, v9, v20, v19
.LBB319_298:                            ;   in Loop: Header=BB319_286 Depth=1
	s_or_b32 exec_lo, exec_lo, s17
.LBB319_299:                            ;   in Loop: Header=BB319_286 Depth=1
	s_or_b32 exec_lo, exec_lo, s16
.LBB319_300:                            ;   in Loop: Header=BB319_286 Depth=1
	s_or_b32 exec_lo, exec_lo, s1
	v_and_b32_sdwa v9, v17, v31 dst_sel:DWORD dst_unused:UNUSED_PAD src0_sel:WORD_1 src1_sel:DWORD
	s_mov_b32 s1, exec_lo
	v_cmpx_ne_u16_e32 0, v9
	s_cbranch_execz .LBB319_308
; %bb.301:                              ;   in Loop: Header=BB319_286 Depth=1
	v_bfrev_b32_e32 v36, 1
	s_mov_b32 s16, exec_lo
	v_cmpx_ne_u16_e32 0x80, v9
	s_cbranch_execz .LBB319_307
; %bb.302:                              ;   in Loop: Header=BB319_286 Depth=1
	v_bfe_u32 v20, v17, 16, 7
	v_mov_b32_e32 v36, 0x7f800001
	s_mov_b32 s17, exec_lo
	v_cmpx_ne_u32_e32 0x7f, v20
	s_cbranch_execz .LBB319_306
; %bb.303:                              ;   in Loop: Header=BB319_286 Depth=1
	v_and_b32_sdwa v9, v17, v32 dst_sel:DWORD dst_unused:UNUSED_PAD src0_sel:WORD_1 src1_sel:DWORD
	v_lshrrev_b32_e32 v19, 3, v20
	s_mov_b32 s18, exec_lo
	v_cmpx_gt_u32_e32 8, v20
; %bb.304:                              ;   in Loop: Header=BB319_286 Depth=1
	v_ffbh_u32_e32 v19, v9
	v_min_u32_e32 v19, 32, v19
	v_subrev_nc_u32_e32 v20, 28, v19
	v_sub_nc_u32_e32 v19, 29, v19
	v_lshlrev_b64 v[38:39], v20, v[9:10]
	v_and_b32_e32 v9, 7, v38
; %bb.305:                              ;   in Loop: Header=BB319_286 Depth=1
	s_or_b32 exec_lo, exec_lo, s18
	v_lshlrev_b32_sdwa v20, v33, v17 dst_sel:DWORD dst_unused:UNUSED_PAD src0_sel:DWORD src1_sel:WORD_1
	v_lshlrev_b32_e32 v9, 20, v9
	v_lshl_add_u32 v19, v19, 23, 0x3c000000
	v_and_b32_e32 v20, 0x80000000, v20
	v_or3_b32 v36, v9, v20, v19
.LBB319_306:                            ;   in Loop: Header=BB319_286 Depth=1
	s_or_b32 exec_lo, exec_lo, s17
.LBB319_307:                            ;   in Loop: Header=BB319_286 Depth=1
	s_or_b32 exec_lo, exec_lo, s16
.LBB319_308:                            ;   in Loop: Header=BB319_286 Depth=1
	s_or_b32 exec_lo, exec_lo, s1
	v_mov_b32_e32 v38, 0
	v_mov_b32_e32 v39, 0
	s_mov_b32 s1, exec_lo
	v_cmpx_lt_u32_e32 0xffffff, v17
	s_cbranch_execz .LBB319_316
; %bb.309:                              ;   in Loop: Header=BB319_286 Depth=1
	v_cmp_ne_u32_sdwa s17, v17, v29 src0_sel:BYTE_3 src1_sel:DWORD
	v_bfrev_b32_e32 v39, 1
	s_and_saveexec_b32 s16, s17
	s_cbranch_execz .LBB319_315
; %bb.310:                              ;   in Loop: Header=BB319_286 Depth=1
	v_bfe_u32 v20, v17, 24, 7
	v_mov_b32_e32 v39, 0x7f800001
	s_mov_b32 s17, exec_lo
	v_cmpx_ne_u32_e32 0x7f, v20
	s_cbranch_execz .LBB319_314
; %bb.311:                              ;   in Loop: Header=BB319_286 Depth=1
	v_and_b32_sdwa v9, v17, v32 dst_sel:DWORD dst_unused:UNUSED_PAD src0_sel:BYTE_3 src1_sel:DWORD
	v_lshrrev_b32_e32 v19, 3, v20
	s_mov_b32 s18, exec_lo
	v_cmpx_gt_u32_e32 8, v20
; %bb.312:                              ;   in Loop: Header=BB319_286 Depth=1
	v_ffbh_u32_e32 v19, v9
	v_min_u32_e32 v19, 32, v19
	v_subrev_nc_u32_e32 v20, 28, v19
	v_sub_nc_u32_e32 v19, 29, v19
	v_lshlrev_b64 v[39:40], v20, v[9:10]
	v_and_b32_e32 v9, 7, v39
; %bb.313:                              ;   in Loop: Header=BB319_286 Depth=1
	s_or_b32 exec_lo, exec_lo, s18
	v_lshlrev_b32_sdwa v20, v33, v17 dst_sel:DWORD dst_unused:UNUSED_PAD src0_sel:DWORD src1_sel:BYTE_3
	v_lshlrev_b32_e32 v9, 20, v9
	v_lshl_add_u32 v19, v19, 23, 0x3c000000
	v_and_b32_e32 v20, 0x80000000, v20
	v_or3_b32 v39, v9, v20, v19
.LBB319_314:                            ;   in Loop: Header=BB319_286 Depth=1
	s_or_b32 exec_lo, exec_lo, s17
.LBB319_315:                            ;   in Loop: Header=BB319_286 Depth=1
	s_or_b32 exec_lo, exec_lo, s16
.LBB319_316:                            ;   in Loop: Header=BB319_286 Depth=1
	s_or_b32 exec_lo, exec_lo, s1
	v_mov_b32_e32 v9, v18
	v_cmp_ne_u16_sdwa s16, v18, v10 src0_sel:BYTE_0 src1_sel:DWORD
	s_and_saveexec_b32 s1, s16
	s_cbranch_execz .LBB319_322
; %bb.317:                              ;   in Loop: Header=BB319_286 Depth=1
	v_cmp_ne_u16_sdwa s17, v18, v29 src0_sel:BYTE_0 src1_sel:DWORD
	v_bfrev_b32_e32 v38, 1
	s_and_saveexec_b32 s16, s17
	s_cbranch_execz .LBB319_321
; %bb.318:                              ;   in Loop: Header=BB319_286 Depth=1
	v_and_b32_e32 v19, 0x7f, v18
	v_mov_b32_e32 v38, 0x7f800001
	s_mov_b32 s17, exec_lo
	v_cmpx_ne_u32_e32 0x7f, v19
	s_cbranch_execz .LBB319_320
; %bb.319:                              ;   in Loop: Header=BB319_286 Depth=1
	v_and_b32_e32 v20, 7, v18
	v_cmp_gt_u32_e32 vcc_lo, 8, v19
	v_lshrrev_b32_e32 v38, 3, v19
	v_ffbh_u32_e32 v20, v20
	v_min_u32_e32 v20, 32, v20
	v_subrev_nc_u32_e32 v40, 28, v20
	v_sub_nc_u32_e32 v20, 29, v20
	v_cndmask_b32_e32 v19, 0, v40, vcc_lo
	v_cndmask_b32_e32 v38, v38, v20, vcc_lo
	v_lshlrev_b64 v[19:20], v19, v[9:10]
	v_lshlrev_b32_e32 v20, 24, v9
	v_lshl_add_u32 v38, v38, 23, 0x3c000000
	v_lshlrev_b32_e32 v19, 20, v19
	v_and_b32_e32 v20, 0x80000000, v20
	v_and_b32_e32 v19, 0x700000, v19
	v_or3_b32 v38, v19, v20, v38
.LBB319_320:                            ;   in Loop: Header=BB319_286 Depth=1
	s_or_b32 exec_lo, exec_lo, s17
.LBB319_321:                            ;   in Loop: Header=BB319_286 Depth=1
	s_or_b32 exec_lo, exec_lo, s16
.LBB319_322:                            ;   in Loop: Header=BB319_286 Depth=1
	s_or_b32 exec_lo, exec_lo, s1
	v_cmp_ne_u16_sdwa s16, v9, v10 src0_sel:BYTE_1 src1_sel:DWORD
	v_mov_b32_e32 v40, 0
	v_mov_b32_e32 v19, 0
	s_and_saveexec_b32 s1, s16
	s_cbranch_execz .LBB319_330
; %bb.323:                              ;   in Loop: Header=BB319_286 Depth=1
	v_cmp_ne_u16_sdwa s17, v9, v29 src0_sel:BYTE_1 src1_sel:DWORD
	v_bfrev_b32_e32 v19, 1
	s_and_saveexec_b32 s16, s17
	s_cbranch_execz .LBB319_329
; %bb.324:                              ;   in Loop: Header=BB319_286 Depth=1
	v_and_b32_sdwa v20, v30, v9 dst_sel:DWORD dst_unused:UNUSED_PAD src0_sel:DWORD src1_sel:BYTE_1
	v_mov_b32_e32 v19, 0x7f800001
	s_mov_b32 s17, exec_lo
	v_and_b32_e32 v42, 0x7f, v20
	v_cmpx_ne_u32_e32 0x7f, v42
	s_cbranch_execz .LBB319_328
; %bb.325:                              ;   in Loop: Header=BB319_286 Depth=1
	v_and_b32_e32 v19, 7, v20
	v_mov_b32_e32 v20, v10
	v_lshrrev_b32_e32 v41, 3, v42
	s_mov_b32 s18, exec_lo
	v_cmpx_gt_u32_e32 8, v42
; %bb.326:                              ;   in Loop: Header=BB319_286 Depth=1
	v_ffbh_u32_e32 v41, v19
	v_min_u32_e32 v41, 32, v41
	v_subrev_nc_u32_e32 v42, 28, v41
	v_sub_nc_u32_e32 v41, 29, v41
	v_lshlrev_b64 v[19:20], v42, v[19:20]
	v_and_b32_e32 v19, 7, v19
; %bb.327:                              ;   in Loop: Header=BB319_286 Depth=1
	s_or_b32 exec_lo, exec_lo, s18
	v_lshlrev_b32_e32 v9, 16, v9
	v_lshlrev_b32_e32 v19, 20, v19
	v_lshl_add_u32 v20, v41, 23, 0x3c000000
	v_and_b32_e32 v9, 0x80000000, v9
	v_or3_b32 v19, v19, v9, v20
.LBB319_328:                            ;   in Loop: Header=BB319_286 Depth=1
	s_or_b32 exec_lo, exec_lo, s17
.LBB319_329:                            ;   in Loop: Header=BB319_286 Depth=1
	s_or_b32 exec_lo, exec_lo, s16
.LBB319_330:                            ;   in Loop: Header=BB319_286 Depth=1
	s_or_b32 exec_lo, exec_lo, s1
	v_and_b32_sdwa v9, v18, v31 dst_sel:DWORD dst_unused:UNUSED_PAD src0_sel:WORD_1 src1_sel:DWORD
	s_mov_b32 s1, exec_lo
	v_cmpx_ne_u16_e32 0, v9
	s_cbranch_execz .LBB319_338
; %bb.331:                              ;   in Loop: Header=BB319_286 Depth=1
	v_bfrev_b32_e32 v40, 1
	s_mov_b32 s16, exec_lo
	v_cmpx_ne_u16_e32 0x80, v9
	s_cbranch_execz .LBB319_337
; %bb.332:                              ;   in Loop: Header=BB319_286 Depth=1
	v_bfe_u32 v41, v18, 16, 7
	v_mov_b32_e32 v40, 0x7f800001
	s_mov_b32 s17, exec_lo
	v_cmpx_ne_u32_e32 0x7f, v41
	s_cbranch_execz .LBB319_336
; %bb.333:                              ;   in Loop: Header=BB319_286 Depth=1
	v_and_b32_sdwa v9, v18, v32 dst_sel:DWORD dst_unused:UNUSED_PAD src0_sel:WORD_1 src1_sel:DWORD
	v_lshrrev_b32_e32 v20, 3, v41
	s_mov_b32 s18, exec_lo
	v_cmpx_gt_u32_e32 8, v41
; %bb.334:                              ;   in Loop: Header=BB319_286 Depth=1
	v_ffbh_u32_e32 v20, v9
	v_min_u32_e32 v20, 32, v20
	v_subrev_nc_u32_e32 v40, 28, v20
	v_sub_nc_u32_e32 v20, 29, v20
	v_lshlrev_b64 v[40:41], v40, v[9:10]
	v_and_b32_e32 v9, 7, v40
; %bb.335:                              ;   in Loop: Header=BB319_286 Depth=1
	s_or_b32 exec_lo, exec_lo, s18
	v_lshlrev_b32_sdwa v40, v33, v18 dst_sel:DWORD dst_unused:UNUSED_PAD src0_sel:DWORD src1_sel:WORD_1
	v_lshlrev_b32_e32 v9, 20, v9
	v_lshl_add_u32 v20, v20, 23, 0x3c000000
	v_and_b32_e32 v40, 0x80000000, v40
	v_or3_b32 v40, v9, v40, v20
.LBB319_336:                            ;   in Loop: Header=BB319_286 Depth=1
	s_or_b32 exec_lo, exec_lo, s17
.LBB319_337:                            ;   in Loop: Header=BB319_286 Depth=1
	s_or_b32 exec_lo, exec_lo, s16
.LBB319_338:                            ;   in Loop: Header=BB319_286 Depth=1
	s_or_b32 exec_lo, exec_lo, s1
	v_mov_b32_e32 v9, 0
	s_mov_b32 s1, exec_lo
	v_cmpx_lt_u64_e64 s[2:3], v[17:18]
	s_cbranch_execz .LBB319_346
; %bb.339:                              ;   in Loop: Header=BB319_286 Depth=1
	v_cmp_ne_u32_sdwa s17, v18, v29 src0_sel:BYTE_3 src1_sel:DWORD
	v_bfrev_b32_e32 v9, 1
	s_and_saveexec_b32 s16, s17
	s_cbranch_execz .LBB319_345
; %bb.340:                              ;   in Loop: Header=BB319_286 Depth=1
	v_bfe_u32 v20, v18, 24, 7
	v_mov_b32_e32 v9, 0x7f800001
	s_mov_b32 s17, exec_lo
	v_cmpx_ne_u32_e32 0x7f, v20
	s_cbranch_execz .LBB319_344
; %bb.341:                              ;   in Loop: Header=BB319_286 Depth=1
	v_and_b32_sdwa v9, v18, v32 dst_sel:DWORD dst_unused:UNUSED_PAD src0_sel:BYTE_3 src1_sel:DWORD
	v_lshrrev_b32_e32 v17, 3, v20
	s_mov_b32 s18, exec_lo
	v_cmpx_gt_u32_e32 8, v20
; %bb.342:                              ;   in Loop: Header=BB319_286 Depth=1
	v_ffbh_u32_e32 v17, v9
	v_min_u32_e32 v17, 32, v17
	v_subrev_nc_u32_e32 v20, 28, v17
	v_sub_nc_u32_e32 v17, 29, v17
	v_lshlrev_b64 v[41:42], v20, v[9:10]
	v_and_b32_e32 v9, 7, v41
; %bb.343:                              ;   in Loop: Header=BB319_286 Depth=1
	s_or_b32 exec_lo, exec_lo, s18
	v_lshlrev_b32_sdwa v18, v33, v18 dst_sel:DWORD dst_unused:UNUSED_PAD src0_sel:DWORD src1_sel:BYTE_3
	v_lshlrev_b32_e32 v9, 20, v9
	v_lshl_add_u32 v17, v17, 23, 0x3c000000
	v_and_b32_e32 v18, 0x80000000, v18
	v_or3_b32 v9, v9, v18, v17
.LBB319_344:                            ;   in Loop: Header=BB319_286 Depth=1
	s_or_b32 exec_lo, exec_lo, s17
.LBB319_345:                            ;   in Loop: Header=BB319_286 Depth=1
	s_or_b32 exec_lo, exec_lo, s16
.LBB319_346:                            ;   in Loop: Header=BB319_286 Depth=1
	s_or_b32 exec_lo, exec_lo, s1
	s_waitcnt lgkmcnt(0)
	v_mul_f32_e32 v17, s13, v19
	v_mul_f32_e32 v18, s13, v38
	;; [unrolled: 1-line block ×5, first 2 shown]
	v_bfe_u32 v20, v17, 16, 1
	v_or_b32_e32 v36, 0x400000, v17
	v_bfe_u32 v38, v18, 16, 1
	v_cmp_u_f32_e64 s1, v17, v17
	v_or_b32_e32 v41, 0x400000, v18
	v_add3_u32 v20, v20, v17, 0x7fff
	v_bfe_u32 v42, v19, 16, 1
	v_add3_u32 v38, v38, v18, 0x7fff
	v_or_b32_e32 v44, 0x400000, v19
	v_add_nc_u32_e32 v43, -7, v27
	v_cndmask_b32_e64 v17, v20, v36, s1
	v_cmp_u_f32_e64 s1, v18, v18
	v_bfe_u32 v20, v39, 16, 1
	v_add3_u32 v42, v42, v19, 0x7fff
	v_cmp_eq_u32_e32 vcc_lo, s14, v34
	v_lshrrev_b32_e32 v36, 16, v17
	v_cndmask_b32_e64 v18, v38, v41, s1
	v_cmp_u_f32_e64 s1, v19, v19
	v_mul_f32_e32 v19, s13, v35
	v_add3_u32 v20, v20, v39, 0x7fff
	v_or_b32_e32 v41, 0x400000, v39
	v_lshrrev_b32_e32 v35, 16, v18
	v_cndmask_b32_e64 v17, v42, v44, s1
	v_cmp_u_f32_e64 s1, v39, v39
	v_or_b32_e32 v39, 0x400000, v19
	v_or_b32_e32 v44, 0x400000, v9
	v_add_nc_u32_e32 v49, -6, v27
	v_lshrrev_b32_e32 v38, 16, v17
	v_bfe_u32 v17, v19, 16, 1
	v_cndmask_b32_e64 v18, v20, v41, s1
	v_mul_f32_e32 v20, s13, v37
	v_mul_f32_e32 v37, s13, v40
	v_cmp_u_f32_e64 s1, v19, v19
	v_add3_u32 v17, v17, v19, 0x7fff
	v_bfe_u32 v19, v9, 16, 1
	v_bfe_u32 v40, v20, 16, 1
	;; [unrolled: 1-line block ×3, first 2 shown]
	v_or_b32_e32 v42, 0x400000, v37
	v_cndmask_b32_e64 v17, v17, v39, s1
	v_cmp_u_f32_e64 s1, v20, v20
	v_add3_u32 v39, v40, v20, 0x7fff
	v_or_b32_e32 v40, 0x400000, v20
	v_add3_u32 v41, v41, v37, 0x7fff
	v_add3_u32 v19, v19, v9, 0x7fff
	v_add_nc_u32_e32 v48, -5, v27
	v_add_nc_u32_e32 v47, -4, v27
	v_cndmask_b32_e64 v20, v39, v40, s1
	v_cmp_u_f32_e64 s1, v37, v37
	v_lshrrev_b32_e32 v40, 16, v18
	v_add_nc_u32_e32 v46, -3, v27
	v_add_nc_u32_e32 v45, -2, v27
	v_cndmask_b32_e64 v37, v41, v42, s1
	v_cmp_u_f32_e64 s1, v9, v9
	v_lshrrev_b32_e32 v42, 16, v17
	v_lshrrev_b32_e32 v41, 16, v20
	;; [unrolled: 1-line block ×3, first 2 shown]
	v_cndmask_b32_e64 v9, v19, v44, s1
	v_add_nc_u32_e32 v44, -1, v27
	v_lshrrev_b32_e32 v39, 16, v9
	s_and_saveexec_b32 s16, vcc_lo
	s_cbranch_execz .LBB319_348
; %bb.347:                              ;   in Loop: Header=BB319_286 Depth=1
	v_cmp_gt_i32_e64 s1, s11, v43
	v_cndmask_b32_e64 v41, 0, v41, s1
	v_cmp_gt_i32_e64 s1, s11, v49
	v_cndmask_b32_e64 v42, 0, v42, s1
	;; [unrolled: 2-line block ×8, first 2 shown]
.LBB319_348:                            ;   in Loop: Header=BB319_286 Depth=1
	s_or_b32 exec_lo, exec_lo, s16
	global_load_dwordx2 v[17:18], v[15:16], off offset:256
	v_mov_b32_e32 v51, 0
	v_mov_b32_e32 v52, 0
	s_waitcnt vmcnt(0)
	v_cmp_ne_u16_sdwa s1, v17, v10 src0_sel:BYTE_0 src1_sel:DWORD
	s_and_saveexec_b32 s16, s1
	s_cbranch_execz .LBB319_354
; %bb.349:                              ;   in Loop: Header=BB319_286 Depth=1
	v_cmp_ne_u16_sdwa s1, v17, v29 src0_sel:BYTE_0 src1_sel:DWORD
	v_bfrev_b32_e32 v52, 1
	s_and_saveexec_b32 s17, s1
	s_cbranch_execz .LBB319_353
; %bb.350:                              ;   in Loop: Header=BB319_286 Depth=1
	v_and_b32_e32 v9, 0x7f, v17
	v_mov_b32_e32 v52, 0x7f800001
	s_mov_b32 s18, exec_lo
	v_cmpx_ne_u32_e32 0x7f, v9
	s_cbranch_execz .LBB319_352
; %bb.351:                              ;   in Loop: Header=BB319_286 Depth=1
	v_and_b32_e32 v19, 7, v17
	v_lshrrev_b32_e32 v20, 3, v9
	v_cmp_gt_u32_e64 s1, 8, v9
	v_ffbh_u32_e32 v19, v19
	v_min_u32_e32 v19, 32, v19
	v_subrev_nc_u32_e32 v50, 28, v19
	v_sub_nc_u32_e32 v19, 29, v19
	v_cndmask_b32_e64 v9, v20, v19, s1
	v_cndmask_b32_e64 v19, 0, v50, s1
	v_lshl_add_u32 v9, v9, 23, 0x3c000000
	v_lshlrev_b64 v[19:20], v19, v[17:18]
	v_lshlrev_b32_e32 v20, 24, v17
	v_lshlrev_b32_e32 v19, 20, v19
	v_and_b32_e32 v20, 0x80000000, v20
	v_and_b32_e32 v19, 0x700000, v19
	v_or3_b32 v52, v19, v20, v9
.LBB319_352:                            ;   in Loop: Header=BB319_286 Depth=1
	s_or_b32 exec_lo, exec_lo, s18
.LBB319_353:                            ;   in Loop: Header=BB319_286 Depth=1
	s_or_b32 exec_lo, exec_lo, s17
.LBB319_354:                            ;   in Loop: Header=BB319_286 Depth=1
	s_or_b32 exec_lo, exec_lo, s16
	v_cmp_ne_u16_sdwa s1, v17, v10 src0_sel:BYTE_1 src1_sel:DWORD
	s_and_saveexec_b32 s16, s1
	s_cbranch_execz .LBB319_362
; %bb.355:                              ;   in Loop: Header=BB319_286 Depth=1
	v_cmp_ne_u16_sdwa s1, v17, v29 src0_sel:BYTE_1 src1_sel:DWORD
	v_bfrev_b32_e32 v51, 1
	s_and_saveexec_b32 s17, s1
	s_cbranch_execz .LBB319_361
; %bb.356:                              ;   in Loop: Header=BB319_286 Depth=1
	v_and_b32_sdwa v9, v30, v17 dst_sel:DWORD dst_unused:UNUSED_PAD src0_sel:DWORD src1_sel:BYTE_1
	v_mov_b32_e32 v51, 0x7f800001
	s_mov_b32 s18, exec_lo
	v_and_b32_e32 v20, 0x7f, v9
	v_cmpx_ne_u32_e32 0x7f, v20
	s_cbranch_execz .LBB319_360
; %bb.357:                              ;   in Loop: Header=BB319_286 Depth=1
	v_and_b32_e32 v9, 7, v9
	v_lshrrev_b32_e32 v19, 3, v20
	s_mov_b32 s19, exec_lo
	v_cmpx_gt_u32_e32 8, v20
; %bb.358:                              ;   in Loop: Header=BB319_286 Depth=1
	v_ffbh_u32_e32 v19, v9
	v_min_u32_e32 v19, 32, v19
	v_subrev_nc_u32_e32 v20, 28, v19
	v_sub_nc_u32_e32 v19, 29, v19
	v_lshlrev_b64 v[50:51], v20, v[9:10]
	v_and_b32_e32 v9, 7, v50
; %bb.359:                              ;   in Loop: Header=BB319_286 Depth=1
	s_or_b32 exec_lo, exec_lo, s19
	v_lshlrev_b32_e32 v20, 16, v17
	v_lshlrev_b32_e32 v9, 20, v9
	v_lshl_add_u32 v19, v19, 23, 0x3c000000
	v_and_b32_e32 v20, 0x80000000, v20
	v_or3_b32 v51, v9, v20, v19
.LBB319_360:                            ;   in Loop: Header=BB319_286 Depth=1
	s_or_b32 exec_lo, exec_lo, s18
.LBB319_361:                            ;   in Loop: Header=BB319_286 Depth=1
	s_or_b32 exec_lo, exec_lo, s17
.LBB319_362:                            ;   in Loop: Header=BB319_286 Depth=1
	s_or_b32 exec_lo, exec_lo, s16
	v_and_b32_sdwa v9, v17, v31 dst_sel:DWORD dst_unused:UNUSED_PAD src0_sel:WORD_1 src1_sel:DWORD
	v_mov_b32_e32 v53, 0
	v_mov_b32_e32 v50, 0
	s_mov_b32 s16, exec_lo
	v_cmpx_ne_u16_e32 0, v9
	s_cbranch_execz .LBB319_370
; %bb.363:                              ;   in Loop: Header=BB319_286 Depth=1
	v_bfrev_b32_e32 v50, 1
	s_mov_b32 s17, exec_lo
	v_cmpx_ne_u16_e32 0x80, v9
	s_cbranch_execz .LBB319_369
; %bb.364:                              ;   in Loop: Header=BB319_286 Depth=1
	v_bfe_u32 v20, v17, 16, 7
	v_mov_b32_e32 v50, 0x7f800001
	s_mov_b32 s18, exec_lo
	v_cmpx_ne_u32_e32 0x7f, v20
	s_cbranch_execz .LBB319_368
; %bb.365:                              ;   in Loop: Header=BB319_286 Depth=1
	v_and_b32_sdwa v9, v17, v32 dst_sel:DWORD dst_unused:UNUSED_PAD src0_sel:WORD_1 src1_sel:DWORD
	v_lshrrev_b32_e32 v19, 3, v20
	s_mov_b32 s19, exec_lo
	v_cmpx_gt_u32_e32 8, v20
; %bb.366:                              ;   in Loop: Header=BB319_286 Depth=1
	v_ffbh_u32_e32 v19, v9
	v_min_u32_e32 v19, 32, v19
	v_subrev_nc_u32_e32 v20, 28, v19
	v_sub_nc_u32_e32 v19, 29, v19
	v_lshlrev_b64 v[54:55], v20, v[9:10]
	v_and_b32_e32 v9, 7, v54
; %bb.367:                              ;   in Loop: Header=BB319_286 Depth=1
	s_or_b32 exec_lo, exec_lo, s19
	v_lshlrev_b32_sdwa v20, v33, v17 dst_sel:DWORD dst_unused:UNUSED_PAD src0_sel:DWORD src1_sel:WORD_1
	v_lshlrev_b32_e32 v9, 20, v9
	v_lshl_add_u32 v19, v19, 23, 0x3c000000
	v_and_b32_e32 v20, 0x80000000, v20
	v_or3_b32 v50, v9, v20, v19
.LBB319_368:                            ;   in Loop: Header=BB319_286 Depth=1
	s_or_b32 exec_lo, exec_lo, s18
.LBB319_369:                            ;   in Loop: Header=BB319_286 Depth=1
	s_or_b32 exec_lo, exec_lo, s17
.LBB319_370:                            ;   in Loop: Header=BB319_286 Depth=1
	s_or_b32 exec_lo, exec_lo, s16
	s_mov_b32 s16, exec_lo
	v_cmpx_lt_u32_e32 0xffffff, v17
	s_cbranch_execz .LBB319_378
; %bb.371:                              ;   in Loop: Header=BB319_286 Depth=1
	v_cmp_ne_u32_sdwa s1, v17, v29 src0_sel:BYTE_3 src1_sel:DWORD
	v_bfrev_b32_e32 v53, 1
	s_and_saveexec_b32 s17, s1
	s_cbranch_execz .LBB319_377
; %bb.372:                              ;   in Loop: Header=BB319_286 Depth=1
	v_bfe_u32 v20, v17, 24, 7
	v_mov_b32_e32 v53, 0x7f800001
	s_mov_b32 s18, exec_lo
	v_cmpx_ne_u32_e32 0x7f, v20
	s_cbranch_execz .LBB319_376
; %bb.373:                              ;   in Loop: Header=BB319_286 Depth=1
	v_and_b32_sdwa v9, v17, v32 dst_sel:DWORD dst_unused:UNUSED_PAD src0_sel:BYTE_3 src1_sel:DWORD
	v_lshrrev_b32_e32 v19, 3, v20
	s_mov_b32 s19, exec_lo
	v_cmpx_gt_u32_e32 8, v20
; %bb.374:                              ;   in Loop: Header=BB319_286 Depth=1
	v_ffbh_u32_e32 v19, v9
	v_min_u32_e32 v19, 32, v19
	v_subrev_nc_u32_e32 v20, 28, v19
	v_sub_nc_u32_e32 v19, 29, v19
	v_lshlrev_b64 v[53:54], v20, v[9:10]
	v_and_b32_e32 v9, 7, v53
; %bb.375:                              ;   in Loop: Header=BB319_286 Depth=1
	s_or_b32 exec_lo, exec_lo, s19
	v_lshlrev_b32_sdwa v20, v33, v17 dst_sel:DWORD dst_unused:UNUSED_PAD src0_sel:DWORD src1_sel:BYTE_3
	v_lshlrev_b32_e32 v9, 20, v9
	v_lshl_add_u32 v19, v19, 23, 0x3c000000
	v_and_b32_e32 v20, 0x80000000, v20
	v_or3_b32 v53, v9, v20, v19
.LBB319_376:                            ;   in Loop: Header=BB319_286 Depth=1
	s_or_b32 exec_lo, exec_lo, s18
.LBB319_377:                            ;   in Loop: Header=BB319_286 Depth=1
	s_or_b32 exec_lo, exec_lo, s17
.LBB319_378:                            ;   in Loop: Header=BB319_286 Depth=1
	s_or_b32 exec_lo, exec_lo, s16
	v_mov_b32_e32 v9, v18
	v_cmp_ne_u16_sdwa s1, v18, v10 src0_sel:BYTE_0 src1_sel:DWORD
	v_mov_b32_e32 v19, 0
	v_mov_b32_e32 v54, 0
	s_and_saveexec_b32 s16, s1
	s_cbranch_execz .LBB319_384
; %bb.379:                              ;   in Loop: Header=BB319_286 Depth=1
	v_cmp_ne_u16_sdwa s1, v18, v29 src0_sel:BYTE_0 src1_sel:DWORD
	v_bfrev_b32_e32 v54, 1
	s_and_saveexec_b32 s17, s1
	s_cbranch_execz .LBB319_383
; %bb.380:                              ;   in Loop: Header=BB319_286 Depth=1
	v_and_b32_e32 v20, 0x7f, v18
	v_mov_b32_e32 v54, 0x7f800001
	s_mov_b32 s18, exec_lo
	v_cmpx_ne_u32_e32 0x7f, v20
	s_cbranch_execz .LBB319_382
; %bb.381:                              ;   in Loop: Header=BB319_286 Depth=1
	v_and_b32_e32 v54, 7, v18
	v_lshrrev_b32_e32 v55, 3, v20
	v_cmp_gt_u32_e64 s1, 8, v20
	v_ffbh_u32_e32 v54, v54
	v_min_u32_e32 v54, 32, v54
	v_subrev_nc_u32_e32 v56, 28, v54
	v_sub_nc_u32_e32 v54, 29, v54
	v_cndmask_b32_e64 v20, v55, v54, s1
	v_cndmask_b32_e64 v54, 0, v56, s1
	v_lshl_add_u32 v20, v20, 23, 0x3c000000
	v_lshlrev_b64 v[54:55], v54, v[9:10]
	v_lshlrev_b32_e32 v55, 24, v9
	v_lshlrev_b32_e32 v54, 20, v54
	v_and_b32_e32 v55, 0x80000000, v55
	v_and_b32_e32 v54, 0x700000, v54
	v_or3_b32 v54, v54, v55, v20
.LBB319_382:                            ;   in Loop: Header=BB319_286 Depth=1
	s_or_b32 exec_lo, exec_lo, s18
.LBB319_383:                            ;   in Loop: Header=BB319_286 Depth=1
	s_or_b32 exec_lo, exec_lo, s17
.LBB319_384:                            ;   in Loop: Header=BB319_286 Depth=1
	s_or_b32 exec_lo, exec_lo, s16
	v_cmp_ne_u16_sdwa s1, v9, v10 src0_sel:BYTE_1 src1_sel:DWORD
	s_and_saveexec_b32 s16, s1
	s_cbranch_execz .LBB319_392
; %bb.385:                              ;   in Loop: Header=BB319_286 Depth=1
	v_cmp_ne_u16_sdwa s1, v9, v29 src0_sel:BYTE_1 src1_sel:DWORD
	v_bfrev_b32_e32 v19, 1
	s_and_saveexec_b32 s17, s1
	s_cbranch_execz .LBB319_391
; %bb.386:                              ;   in Loop: Header=BB319_286 Depth=1
	v_and_b32_sdwa v20, v30, v9 dst_sel:DWORD dst_unused:UNUSED_PAD src0_sel:DWORD src1_sel:BYTE_1
	v_mov_b32_e32 v19, 0x7f800001
	s_mov_b32 s18, exec_lo
	v_and_b32_e32 v56, 0x7f, v20
	v_cmpx_ne_u32_e32 0x7f, v56
	s_cbranch_execz .LBB319_390
; %bb.387:                              ;   in Loop: Header=BB319_286 Depth=1
	v_and_b32_e32 v19, 7, v20
	v_mov_b32_e32 v20, v10
	v_lshrrev_b32_e32 v55, 3, v56
	s_mov_b32 s19, exec_lo
	v_cmpx_gt_u32_e32 8, v56
; %bb.388:                              ;   in Loop: Header=BB319_286 Depth=1
	v_ffbh_u32_e32 v55, v19
	v_min_u32_e32 v55, 32, v55
	v_subrev_nc_u32_e32 v56, 28, v55
	v_sub_nc_u32_e32 v55, 29, v55
	v_lshlrev_b64 v[19:20], v56, v[19:20]
	v_and_b32_e32 v19, 7, v19
; %bb.389:                              ;   in Loop: Header=BB319_286 Depth=1
	s_or_b32 exec_lo, exec_lo, s19
	v_lshlrev_b32_e32 v9, 16, v9
	v_lshlrev_b32_e32 v19, 20, v19
	v_lshl_add_u32 v20, v55, 23, 0x3c000000
	v_and_b32_e32 v9, 0x80000000, v9
	v_or3_b32 v19, v19, v9, v20
.LBB319_390:                            ;   in Loop: Header=BB319_286 Depth=1
	s_or_b32 exec_lo, exec_lo, s18
.LBB319_391:                            ;   in Loop: Header=BB319_286 Depth=1
	s_or_b32 exec_lo, exec_lo, s17
.LBB319_392:                            ;   in Loop: Header=BB319_286 Depth=1
	s_or_b32 exec_lo, exec_lo, s16
	v_and_b32_sdwa v9, v18, v31 dst_sel:DWORD dst_unused:UNUSED_PAD src0_sel:WORD_1 src1_sel:DWORD
	v_mov_b32_e32 v20, 0
	v_mov_b32_e32 v55, 0
	s_mov_b32 s16, exec_lo
	v_cmpx_ne_u16_e32 0, v9
	s_cbranch_execz .LBB319_400
; %bb.393:                              ;   in Loop: Header=BB319_286 Depth=1
	v_bfrev_b32_e32 v55, 1
	s_mov_b32 s17, exec_lo
	v_cmpx_ne_u16_e32 0x80, v9
	s_cbranch_execz .LBB319_399
; %bb.394:                              ;   in Loop: Header=BB319_286 Depth=1
	v_bfe_u32 v56, v18, 16, 7
	v_mov_b32_e32 v55, 0x7f800001
	s_mov_b32 s18, exec_lo
	v_cmpx_ne_u32_e32 0x7f, v56
	s_cbranch_execz .LBB319_398
; %bb.395:                              ;   in Loop: Header=BB319_286 Depth=1
	v_and_b32_sdwa v9, v18, v32 dst_sel:DWORD dst_unused:UNUSED_PAD src0_sel:WORD_1 src1_sel:DWORD
	v_lshrrev_b32_e32 v55, 3, v56
	s_mov_b32 s19, exec_lo
	v_cmpx_gt_u32_e32 8, v56
; %bb.396:                              ;   in Loop: Header=BB319_286 Depth=1
	v_ffbh_u32_e32 v55, v9
	v_min_u32_e32 v55, 32, v55
	v_subrev_nc_u32_e32 v56, 28, v55
	v_sub_nc_u32_e32 v55, 29, v55
	v_lshlrev_b64 v[56:57], v56, v[9:10]
	v_and_b32_e32 v9, 7, v56
; %bb.397:                              ;   in Loop: Header=BB319_286 Depth=1
	s_or_b32 exec_lo, exec_lo, s19
	v_lshlrev_b32_sdwa v56, v33, v18 dst_sel:DWORD dst_unused:UNUSED_PAD src0_sel:DWORD src1_sel:WORD_1
	v_lshlrev_b32_e32 v9, 20, v9
	v_lshl_add_u32 v55, v55, 23, 0x3c000000
	v_and_b32_e32 v56, 0x80000000, v56
	v_or3_b32 v55, v9, v56, v55
.LBB319_398:                            ;   in Loop: Header=BB319_286 Depth=1
	s_or_b32 exec_lo, exec_lo, s18
.LBB319_399:                            ;   in Loop: Header=BB319_286 Depth=1
	s_or_b32 exec_lo, exec_lo, s17
.LBB319_400:                            ;   in Loop: Header=BB319_286 Depth=1
	s_or_b32 exec_lo, exec_lo, s16
	s_mov_b32 s16, exec_lo
	v_cmpx_lt_u64_e64 s[2:3], v[17:18]
	s_cbranch_execz .LBB319_408
; %bb.401:                              ;   in Loop: Header=BB319_286 Depth=1
	v_cmp_ne_u32_sdwa s1, v18, v29 src0_sel:BYTE_3 src1_sel:DWORD
	v_bfrev_b32_e32 v20, 1
	s_and_saveexec_b32 s17, s1
	s_cbranch_execz .LBB319_407
; %bb.402:                              ;   in Loop: Header=BB319_286 Depth=1
	v_bfe_u32 v56, v18, 24, 7
	v_mov_b32_e32 v20, 0x7f800001
	s_mov_b32 s18, exec_lo
	v_cmpx_ne_u32_e32 0x7f, v56
	s_cbranch_execz .LBB319_406
; %bb.403:                              ;   in Loop: Header=BB319_286 Depth=1
	v_and_b32_sdwa v9, v18, v32 dst_sel:DWORD dst_unused:UNUSED_PAD src0_sel:BYTE_3 src1_sel:DWORD
	v_lshrrev_b32_e32 v17, 3, v56
	s_mov_b32 s19, exec_lo
	v_cmpx_gt_u32_e32 8, v56
; %bb.404:                              ;   in Loop: Header=BB319_286 Depth=1
	v_ffbh_u32_e32 v17, v9
	v_min_u32_e32 v17, 32, v17
	v_subrev_nc_u32_e32 v20, 28, v17
	v_sub_nc_u32_e32 v17, 29, v17
	v_lshlrev_b64 v[56:57], v20, v[9:10]
	v_and_b32_e32 v9, 7, v56
; %bb.405:                              ;   in Loop: Header=BB319_286 Depth=1
	s_or_b32 exec_lo, exec_lo, s19
	v_lshlrev_b32_sdwa v18, v33, v18 dst_sel:DWORD dst_unused:UNUSED_PAD src0_sel:DWORD src1_sel:BYTE_3
	v_lshlrev_b32_e32 v9, 20, v9
	v_lshl_add_u32 v17, v17, 23, 0x3c000000
	v_and_b32_e32 v18, 0x80000000, v18
	v_or3_b32 v20, v9, v18, v17
.LBB319_406:                            ;   in Loop: Header=BB319_286 Depth=1
	s_or_b32 exec_lo, exec_lo, s18
.LBB319_407:                            ;   in Loop: Header=BB319_286 Depth=1
	s_or_b32 exec_lo, exec_lo, s17
.LBB319_408:                            ;   in Loop: Header=BB319_286 Depth=1
	s_or_b32 exec_lo, exec_lo, s16
	v_mul_f32_e32 v9, s13, v19
	v_mul_f32_e32 v17, s13, v54
	;; [unrolled: 1-line block ×5, first 2 shown]
	v_bfe_u32 v50, v9, 16, 1
	v_or_b32_e32 v53, 0x400000, v9
	v_bfe_u32 v54, v17, 16, 1
	v_cmp_u_f32_e64 s1, v9, v9
	v_or_b32_e32 v56, 0x400000, v17
	v_add3_u32 v50, v50, v9, 0x7fff
	v_bfe_u32 v57, v18, 16, 1
	v_add3_u32 v54, v54, v17, 0x7fff
	v_or_b32_e32 v58, 0x400000, v18
	v_bfe_u32 v59, v19, 16, 1
	v_cndmask_b32_e64 v9, v50, v53, s1
	v_cmp_u_f32_e64 s1, v17, v17
	v_add3_u32 v57, v57, v18, 0x7fff
	v_lshrrev_b32_e32 v50, 16, v9
	v_cndmask_b32_e64 v17, v54, v56, s1
	v_cmp_u_f32_e64 s1, v18, v18
	v_mul_f32_e32 v9, s13, v51
	v_add3_u32 v54, v59, v19, 0x7fff
	v_or_b32_e32 v56, 0x400000, v19
	v_lshrrev_b32_e32 v51, 16, v17
	v_cndmask_b32_e64 v18, v57, v58, s1
	v_bfe_u32 v17, v9, 16, 1
	v_cmp_u_f32_e64 s1, v19, v19
	v_mul_f32_e32 v19, s13, v52
	v_mul_f32_e32 v52, s13, v55
	v_lshrrev_b32_e32 v53, 16, v18
	v_add3_u32 v17, v17, v9, 0x7fff
	v_cndmask_b32_e64 v18, v54, v56, s1
	v_or_b32_e32 v54, 0x400000, v9
	v_bfe_u32 v55, v19, 16, 1
	v_cmp_u_f32_e64 s1, v9, v9
	v_bfe_u32 v56, v52, 16, 1
	v_or_b32_e32 v57, 0x400000, v52
	v_or_b32_e32 v58, 0x400000, v20
	v_cndmask_b32_e64 v9, v17, v54, s1
	v_add3_u32 v54, v55, v19, 0x7fff
	v_or_b32_e32 v55, 0x400000, v19
	v_cmp_u_f32_e64 s1, v19, v19
	v_bfe_u32 v17, v20, 16, 1
	v_add3_u32 v56, v56, v52, 0x7fff
	v_cndmask_b32_e64 v19, v54, v55, s1
	v_cmp_u_f32_e64 s1, v52, v52
	v_add3_u32 v17, v17, v20, 0x7fff
	v_lshrrev_b32_e32 v55, 16, v18
	v_cndmask_b32_e64 v52, v56, v57, s1
	v_cmp_u_f32_e64 s1, v20, v20
	v_lshrrev_b32_e32 v57, 16, v9
	v_lshrrev_b32_e32 v56, 16, v19
	;; [unrolled: 1-line block ×3, first 2 shown]
	v_cndmask_b32_e64 v17, v17, v58, s1
	v_lshrrev_b32_e32 v54, 16, v17
	s_and_saveexec_b32 s16, vcc_lo
	s_cbranch_execz .LBB319_410
; %bb.409:                              ;   in Loop: Header=BB319_286 Depth=1
	v_cmp_gt_i32_e64 s1, s11, v43
	v_cndmask_b32_e64 v56, 0, v56, s1
	v_cmp_gt_i32_e64 s1, s11, v49
	v_cndmask_b32_e64 v57, 0, v57, s1
	;; [unrolled: 2-line block ×8, first 2 shown]
.LBB319_410:                            ;   in Loop: Header=BB319_286 Depth=1
	s_or_b32 exec_lo, exec_lo, s16
	global_load_dwordx2 v[17:18], v[15:16], off offset:512
	v_mov_b32_e32 v59, 0
	v_mov_b32_e32 v58, 0
	s_waitcnt vmcnt(0)
	v_cmp_ne_u16_sdwa s1, v17, v10 src0_sel:BYTE_0 src1_sel:DWORD
	s_and_saveexec_b32 s16, s1
	s_cbranch_execz .LBB319_416
; %bb.411:                              ;   in Loop: Header=BB319_286 Depth=1
	v_cmp_ne_u16_sdwa s1, v17, v29 src0_sel:BYTE_0 src1_sel:DWORD
	v_bfrev_b32_e32 v58, 1
	s_and_saveexec_b32 s17, s1
	s_cbranch_execz .LBB319_415
; %bb.412:                              ;   in Loop: Header=BB319_286 Depth=1
	v_and_b32_e32 v9, 0x7f, v17
	v_mov_b32_e32 v58, 0x7f800001
	s_mov_b32 s18, exec_lo
	v_cmpx_ne_u32_e32 0x7f, v9
	s_cbranch_execz .LBB319_414
; %bb.413:                              ;   in Loop: Header=BB319_286 Depth=1
	v_and_b32_e32 v19, 7, v17
	v_lshrrev_b32_e32 v20, 3, v9
	v_cmp_gt_u32_e64 s1, 8, v9
	v_ffbh_u32_e32 v19, v19
	v_min_u32_e32 v19, 32, v19
	v_subrev_nc_u32_e32 v58, 28, v19
	v_sub_nc_u32_e32 v19, 29, v19
	v_cndmask_b32_e64 v9, v20, v19, s1
	v_cndmask_b32_e64 v19, 0, v58, s1
	v_lshl_add_u32 v9, v9, 23, 0x3c000000
	v_lshlrev_b64 v[19:20], v19, v[17:18]
	v_lshlrev_b32_e32 v20, 24, v17
	v_lshlrev_b32_e32 v19, 20, v19
	v_and_b32_e32 v20, 0x80000000, v20
	v_and_b32_e32 v19, 0x700000, v19
	v_or3_b32 v58, v19, v20, v9
.LBB319_414:                            ;   in Loop: Header=BB319_286 Depth=1
	s_or_b32 exec_lo, exec_lo, s18
.LBB319_415:                            ;   in Loop: Header=BB319_286 Depth=1
	s_or_b32 exec_lo, exec_lo, s17
.LBB319_416:                            ;   in Loop: Header=BB319_286 Depth=1
	s_or_b32 exec_lo, exec_lo, s16
	v_cmp_ne_u16_sdwa s1, v17, v10 src0_sel:BYTE_1 src1_sel:DWORD
	s_and_saveexec_b32 s16, s1
	s_cbranch_execz .LBB319_424
; %bb.417:                              ;   in Loop: Header=BB319_286 Depth=1
	v_cmp_ne_u16_sdwa s1, v17, v29 src0_sel:BYTE_1 src1_sel:DWORD
	v_bfrev_b32_e32 v59, 1
	s_and_saveexec_b32 s17, s1
	s_cbranch_execz .LBB319_423
; %bb.418:                              ;   in Loop: Header=BB319_286 Depth=1
	v_and_b32_sdwa v9, v30, v17 dst_sel:DWORD dst_unused:UNUSED_PAD src0_sel:DWORD src1_sel:BYTE_1
	v_mov_b32_e32 v59, 0x7f800001
	s_mov_b32 s18, exec_lo
	v_and_b32_e32 v20, 0x7f, v9
	v_cmpx_ne_u32_e32 0x7f, v20
	s_cbranch_execz .LBB319_422
; %bb.419:                              ;   in Loop: Header=BB319_286 Depth=1
	v_and_b32_e32 v9, 7, v9
	v_lshrrev_b32_e32 v19, 3, v20
	s_mov_b32 s19, exec_lo
	v_cmpx_gt_u32_e32 8, v20
; %bb.420:                              ;   in Loop: Header=BB319_286 Depth=1
	v_ffbh_u32_e32 v19, v9
	v_min_u32_e32 v19, 32, v19
	v_subrev_nc_u32_e32 v20, 28, v19
	v_sub_nc_u32_e32 v19, 29, v19
	v_lshlrev_b64 v[59:60], v20, v[9:10]
	v_and_b32_e32 v9, 7, v59
; %bb.421:                              ;   in Loop: Header=BB319_286 Depth=1
	s_or_b32 exec_lo, exec_lo, s19
	v_lshlrev_b32_e32 v20, 16, v17
	v_lshlrev_b32_e32 v9, 20, v9
	v_lshl_add_u32 v19, v19, 23, 0x3c000000
	v_and_b32_e32 v20, 0x80000000, v20
	v_or3_b32 v59, v9, v20, v19
.LBB319_422:                            ;   in Loop: Header=BB319_286 Depth=1
	s_or_b32 exec_lo, exec_lo, s18
.LBB319_423:                            ;   in Loop: Header=BB319_286 Depth=1
	s_or_b32 exec_lo, exec_lo, s17
.LBB319_424:                            ;   in Loop: Header=BB319_286 Depth=1
	s_or_b32 exec_lo, exec_lo, s16
	v_and_b32_sdwa v9, v17, v31 dst_sel:DWORD dst_unused:UNUSED_PAD src0_sel:WORD_1 src1_sel:DWORD
	v_mov_b32_e32 v61, 0
	v_mov_b32_e32 v60, 0
	s_mov_b32 s16, exec_lo
	v_cmpx_ne_u16_e32 0, v9
	s_cbranch_execz .LBB319_432
; %bb.425:                              ;   in Loop: Header=BB319_286 Depth=1
	v_bfrev_b32_e32 v60, 1
	s_mov_b32 s17, exec_lo
	v_cmpx_ne_u16_e32 0x80, v9
	s_cbranch_execz .LBB319_431
; %bb.426:                              ;   in Loop: Header=BB319_286 Depth=1
	v_bfe_u32 v20, v17, 16, 7
	v_mov_b32_e32 v60, 0x7f800001
	s_mov_b32 s18, exec_lo
	v_cmpx_ne_u32_e32 0x7f, v20
	s_cbranch_execz .LBB319_430
; %bb.427:                              ;   in Loop: Header=BB319_286 Depth=1
	v_and_b32_sdwa v9, v17, v32 dst_sel:DWORD dst_unused:UNUSED_PAD src0_sel:WORD_1 src1_sel:DWORD
	v_lshrrev_b32_e32 v19, 3, v20
	s_mov_b32 s19, exec_lo
	v_cmpx_gt_u32_e32 8, v20
; %bb.428:                              ;   in Loop: Header=BB319_286 Depth=1
	v_ffbh_u32_e32 v19, v9
	v_min_u32_e32 v19, 32, v19
	v_subrev_nc_u32_e32 v20, 28, v19
	v_sub_nc_u32_e32 v19, 29, v19
	v_lshlrev_b64 v[62:63], v20, v[9:10]
	v_and_b32_e32 v9, 7, v62
; %bb.429:                              ;   in Loop: Header=BB319_286 Depth=1
	s_or_b32 exec_lo, exec_lo, s19
	v_lshlrev_b32_sdwa v20, v33, v17 dst_sel:DWORD dst_unused:UNUSED_PAD src0_sel:DWORD src1_sel:WORD_1
	v_lshlrev_b32_e32 v9, 20, v9
	v_lshl_add_u32 v19, v19, 23, 0x3c000000
	v_and_b32_e32 v20, 0x80000000, v20
	v_or3_b32 v60, v9, v20, v19
.LBB319_430:                            ;   in Loop: Header=BB319_286 Depth=1
	s_or_b32 exec_lo, exec_lo, s18
.LBB319_431:                            ;   in Loop: Header=BB319_286 Depth=1
	s_or_b32 exec_lo, exec_lo, s17
.LBB319_432:                            ;   in Loop: Header=BB319_286 Depth=1
	s_or_b32 exec_lo, exec_lo, s16
	s_mov_b32 s16, exec_lo
	v_cmpx_lt_u32_e32 0xffffff, v17
	s_cbranch_execz .LBB319_440
; %bb.433:                              ;   in Loop: Header=BB319_286 Depth=1
	v_cmp_ne_u32_sdwa s1, v17, v29 src0_sel:BYTE_3 src1_sel:DWORD
	v_bfrev_b32_e32 v61, 1
	s_and_saveexec_b32 s17, s1
	s_cbranch_execz .LBB319_439
; %bb.434:                              ;   in Loop: Header=BB319_286 Depth=1
	v_bfe_u32 v20, v17, 24, 7
	v_mov_b32_e32 v61, 0x7f800001
	s_mov_b32 s18, exec_lo
	v_cmpx_ne_u32_e32 0x7f, v20
	s_cbranch_execz .LBB319_438
; %bb.435:                              ;   in Loop: Header=BB319_286 Depth=1
	v_and_b32_sdwa v9, v17, v32 dst_sel:DWORD dst_unused:UNUSED_PAD src0_sel:BYTE_3 src1_sel:DWORD
	v_lshrrev_b32_e32 v19, 3, v20
	s_mov_b32 s19, exec_lo
	v_cmpx_gt_u32_e32 8, v20
; %bb.436:                              ;   in Loop: Header=BB319_286 Depth=1
	v_ffbh_u32_e32 v19, v9
	v_min_u32_e32 v19, 32, v19
	v_subrev_nc_u32_e32 v20, 28, v19
	v_sub_nc_u32_e32 v19, 29, v19
	v_lshlrev_b64 v[61:62], v20, v[9:10]
	v_and_b32_e32 v9, 7, v61
; %bb.437:                              ;   in Loop: Header=BB319_286 Depth=1
	s_or_b32 exec_lo, exec_lo, s19
	v_lshlrev_b32_sdwa v20, v33, v17 dst_sel:DWORD dst_unused:UNUSED_PAD src0_sel:DWORD src1_sel:BYTE_3
	v_lshlrev_b32_e32 v9, 20, v9
	v_lshl_add_u32 v19, v19, 23, 0x3c000000
	v_and_b32_e32 v20, 0x80000000, v20
	v_or3_b32 v61, v9, v20, v19
.LBB319_438:                            ;   in Loop: Header=BB319_286 Depth=1
	s_or_b32 exec_lo, exec_lo, s18
.LBB319_439:                            ;   in Loop: Header=BB319_286 Depth=1
	s_or_b32 exec_lo, exec_lo, s17
.LBB319_440:                            ;   in Loop: Header=BB319_286 Depth=1
	s_or_b32 exec_lo, exec_lo, s16
	v_mov_b32_e32 v9, v18
	v_cmp_ne_u16_sdwa s1, v18, v10 src0_sel:BYTE_0 src1_sel:DWORD
	v_mov_b32_e32 v19, 0
	v_mov_b32_e32 v62, 0
	s_and_saveexec_b32 s16, s1
	s_cbranch_execz .LBB319_446
; %bb.441:                              ;   in Loop: Header=BB319_286 Depth=1
	v_cmp_ne_u16_sdwa s1, v18, v29 src0_sel:BYTE_0 src1_sel:DWORD
	v_bfrev_b32_e32 v62, 1
	s_and_saveexec_b32 s17, s1
	s_cbranch_execz .LBB319_445
; %bb.442:                              ;   in Loop: Header=BB319_286 Depth=1
	v_and_b32_e32 v20, 0x7f, v18
	v_mov_b32_e32 v62, 0x7f800001
	s_mov_b32 s18, exec_lo
	v_cmpx_ne_u32_e32 0x7f, v20
	s_cbranch_execz .LBB319_444
; %bb.443:                              ;   in Loop: Header=BB319_286 Depth=1
	v_and_b32_e32 v62, 7, v18
	v_lshrrev_b32_e32 v63, 3, v20
	v_cmp_gt_u32_e64 s1, 8, v20
	v_ffbh_u32_e32 v62, v62
	v_min_u32_e32 v62, 32, v62
	v_subrev_nc_u32_e32 v64, 28, v62
	v_sub_nc_u32_e32 v62, 29, v62
	v_cndmask_b32_e64 v20, v63, v62, s1
	v_cndmask_b32_e64 v62, 0, v64, s1
	v_lshl_add_u32 v20, v20, 23, 0x3c000000
	v_lshlrev_b64 v[62:63], v62, v[9:10]
	v_lshlrev_b32_e32 v63, 24, v9
	v_lshlrev_b32_e32 v62, 20, v62
	v_and_b32_e32 v63, 0x80000000, v63
	v_and_b32_e32 v62, 0x700000, v62
	v_or3_b32 v62, v62, v63, v20
.LBB319_444:                            ;   in Loop: Header=BB319_286 Depth=1
	s_or_b32 exec_lo, exec_lo, s18
.LBB319_445:                            ;   in Loop: Header=BB319_286 Depth=1
	s_or_b32 exec_lo, exec_lo, s17
.LBB319_446:                            ;   in Loop: Header=BB319_286 Depth=1
	s_or_b32 exec_lo, exec_lo, s16
	v_cmp_ne_u16_sdwa s1, v9, v10 src0_sel:BYTE_1 src1_sel:DWORD
	s_and_saveexec_b32 s16, s1
	s_cbranch_execz .LBB319_454
; %bb.447:                              ;   in Loop: Header=BB319_286 Depth=1
	v_cmp_ne_u16_sdwa s1, v9, v29 src0_sel:BYTE_1 src1_sel:DWORD
	v_bfrev_b32_e32 v19, 1
	s_and_saveexec_b32 s17, s1
	s_cbranch_execz .LBB319_453
; %bb.448:                              ;   in Loop: Header=BB319_286 Depth=1
	v_and_b32_sdwa v20, v30, v9 dst_sel:DWORD dst_unused:UNUSED_PAD src0_sel:DWORD src1_sel:BYTE_1
	v_mov_b32_e32 v19, 0x7f800001
	s_mov_b32 s18, exec_lo
	v_and_b32_e32 v64, 0x7f, v20
	v_cmpx_ne_u32_e32 0x7f, v64
	s_cbranch_execz .LBB319_452
; %bb.449:                              ;   in Loop: Header=BB319_286 Depth=1
	v_and_b32_e32 v19, 7, v20
	v_mov_b32_e32 v20, v10
	v_lshrrev_b32_e32 v63, 3, v64
	s_mov_b32 s19, exec_lo
	v_cmpx_gt_u32_e32 8, v64
; %bb.450:                              ;   in Loop: Header=BB319_286 Depth=1
	v_ffbh_u32_e32 v63, v19
	v_min_u32_e32 v63, 32, v63
	v_subrev_nc_u32_e32 v64, 28, v63
	v_sub_nc_u32_e32 v63, 29, v63
	v_lshlrev_b64 v[19:20], v64, v[19:20]
	v_and_b32_e32 v19, 7, v19
; %bb.451:                              ;   in Loop: Header=BB319_286 Depth=1
	s_or_b32 exec_lo, exec_lo, s19
	v_lshlrev_b32_e32 v9, 16, v9
	v_lshlrev_b32_e32 v19, 20, v19
	v_lshl_add_u32 v20, v63, 23, 0x3c000000
	v_and_b32_e32 v9, 0x80000000, v9
	v_or3_b32 v19, v19, v9, v20
.LBB319_452:                            ;   in Loop: Header=BB319_286 Depth=1
	s_or_b32 exec_lo, exec_lo, s18
.LBB319_453:                            ;   in Loop: Header=BB319_286 Depth=1
	s_or_b32 exec_lo, exec_lo, s17
.LBB319_454:                            ;   in Loop: Header=BB319_286 Depth=1
	s_or_b32 exec_lo, exec_lo, s16
	v_and_b32_sdwa v9, v18, v31 dst_sel:DWORD dst_unused:UNUSED_PAD src0_sel:WORD_1 src1_sel:DWORD
	v_mov_b32_e32 v63, 0
	v_mov_b32_e32 v64, 0
	s_mov_b32 s16, exec_lo
	v_cmpx_ne_u16_e32 0, v9
	s_cbranch_execz .LBB319_462
; %bb.455:                              ;   in Loop: Header=BB319_286 Depth=1
	v_bfrev_b32_e32 v64, 1
	s_mov_b32 s17, exec_lo
	v_cmpx_ne_u16_e32 0x80, v9
	s_cbranch_execz .LBB319_461
; %bb.456:                              ;   in Loop: Header=BB319_286 Depth=1
	v_bfe_u32 v65, v18, 16, 7
	v_mov_b32_e32 v64, 0x7f800001
	s_mov_b32 s18, exec_lo
	v_cmpx_ne_u32_e32 0x7f, v65
	s_cbranch_execz .LBB319_460
; %bb.457:                              ;   in Loop: Header=BB319_286 Depth=1
	v_and_b32_sdwa v9, v18, v32 dst_sel:DWORD dst_unused:UNUSED_PAD src0_sel:WORD_1 src1_sel:DWORD
	v_lshrrev_b32_e32 v20, 3, v65
	s_mov_b32 s19, exec_lo
	v_cmpx_gt_u32_e32 8, v65
; %bb.458:                              ;   in Loop: Header=BB319_286 Depth=1
	v_ffbh_u32_e32 v20, v9
	v_min_u32_e32 v20, 32, v20
	v_subrev_nc_u32_e32 v64, 28, v20
	v_sub_nc_u32_e32 v20, 29, v20
	v_lshlrev_b64 v[64:65], v64, v[9:10]
	v_and_b32_e32 v9, 7, v64
; %bb.459:                              ;   in Loop: Header=BB319_286 Depth=1
	s_or_b32 exec_lo, exec_lo, s19
	v_lshlrev_b32_sdwa v64, v33, v18 dst_sel:DWORD dst_unused:UNUSED_PAD src0_sel:DWORD src1_sel:WORD_1
	v_lshlrev_b32_e32 v9, 20, v9
	v_lshl_add_u32 v20, v20, 23, 0x3c000000
	v_and_b32_e32 v64, 0x80000000, v64
	v_or3_b32 v64, v9, v64, v20
.LBB319_460:                            ;   in Loop: Header=BB319_286 Depth=1
	s_or_b32 exec_lo, exec_lo, s18
.LBB319_461:                            ;   in Loop: Header=BB319_286 Depth=1
	s_or_b32 exec_lo, exec_lo, s17
.LBB319_462:                            ;   in Loop: Header=BB319_286 Depth=1
	s_or_b32 exec_lo, exec_lo, s16
	s_mov_b32 s16, exec_lo
	v_cmpx_lt_u64_e64 s[2:3], v[17:18]
	s_cbranch_execz .LBB319_470
; %bb.463:                              ;   in Loop: Header=BB319_286 Depth=1
	v_cmp_ne_u32_sdwa s1, v18, v29 src0_sel:BYTE_3 src1_sel:DWORD
	v_bfrev_b32_e32 v63, 1
	s_and_saveexec_b32 s17, s1
	s_cbranch_execz .LBB319_469
; %bb.464:                              ;   in Loop: Header=BB319_286 Depth=1
	v_bfe_u32 v20, v18, 24, 7
	v_mov_b32_e32 v63, 0x7f800001
	s_mov_b32 s18, exec_lo
	v_cmpx_ne_u32_e32 0x7f, v20
	s_cbranch_execz .LBB319_468
; %bb.465:                              ;   in Loop: Header=BB319_286 Depth=1
	v_and_b32_sdwa v9, v18, v32 dst_sel:DWORD dst_unused:UNUSED_PAD src0_sel:BYTE_3 src1_sel:DWORD
	v_lshrrev_b32_e32 v17, 3, v20
	s_mov_b32 s19, exec_lo
	v_cmpx_gt_u32_e32 8, v20
; %bb.466:                              ;   in Loop: Header=BB319_286 Depth=1
	v_ffbh_u32_e32 v17, v9
	v_min_u32_e32 v17, 32, v17
	v_subrev_nc_u32_e32 v20, 28, v17
	v_sub_nc_u32_e32 v17, 29, v17
	v_lshlrev_b64 v[65:66], v20, v[9:10]
	v_and_b32_e32 v9, 7, v65
; %bb.467:                              ;   in Loop: Header=BB319_286 Depth=1
	s_or_b32 exec_lo, exec_lo, s19
	v_lshlrev_b32_sdwa v18, v33, v18 dst_sel:DWORD dst_unused:UNUSED_PAD src0_sel:DWORD src1_sel:BYTE_3
	v_lshlrev_b32_e32 v9, 20, v9
	v_lshl_add_u32 v17, v17, 23, 0x3c000000
	v_and_b32_e32 v18, 0x80000000, v18
	v_or3_b32 v63, v9, v18, v17
.LBB319_468:                            ;   in Loop: Header=BB319_286 Depth=1
	s_or_b32 exec_lo, exec_lo, s18
.LBB319_469:                            ;   in Loop: Header=BB319_286 Depth=1
	s_or_b32 exec_lo, exec_lo, s17
.LBB319_470:                            ;   in Loop: Header=BB319_286 Depth=1
	s_or_b32 exec_lo, exec_lo, s16
	v_mul_f32_e32 v9, s13, v19
	v_mul_f32_e32 v17, s13, v62
	v_mul_f32_e32 v18, s13, v61
	v_mul_f32_e32 v61, s13, v60
	v_mul_f32_e32 v58, s13, v58
	v_bfe_u32 v19, v9, 16, 1
	v_or_b32_e32 v20, 0x400000, v9
	v_bfe_u32 v60, v17, 16, 1
	v_cmp_u_f32_e64 s1, v9, v9
	v_or_b32_e32 v62, 0x400000, v17
	v_add3_u32 v19, v19, v9, 0x7fff
	v_bfe_u32 v65, v18, 16, 1
	v_add3_u32 v60, v60, v17, 0x7fff
	v_or_b32_e32 v66, 0x400000, v18
	v_bfe_u32 v67, v61, 16, 1
	v_cndmask_b32_e64 v9, v19, v20, s1
	v_cmp_u_f32_e64 s1, v17, v17
	v_add3_u32 v65, v65, v18, 0x7fff
	v_lshrrev_b32_e32 v19, 16, v9
	v_cndmask_b32_e64 v17, v60, v62, s1
	v_cmp_u_f32_e64 s1, v18, v18
	v_mul_f32_e32 v9, s13, v59
	v_add3_u32 v59, v67, v61, 0x7fff
	v_or_b32_e32 v62, 0x400000, v61
	v_lshrrev_b32_e32 v20, 16, v17
	v_cndmask_b32_e64 v18, v65, v66, s1
	v_bfe_u32 v17, v9, 16, 1
	v_cmp_u_f32_e64 s1, v61, v61
	v_or_b32_e32 v61, 0x400000, v9
	v_lshrrev_b32_e32 v60, 16, v18
	v_add3_u32 v17, v17, v9, 0x7fff
	v_cndmask_b32_e64 v18, v59, v62, s1
	v_mul_f32_e32 v59, s13, v64
	v_mul_f32_e32 v62, s13, v63
	v_bfe_u32 v63, v58, 16, 1
	v_cmp_u_f32_e64 s1, v9, v9
	v_bfe_u32 v64, v59, 16, 1
	v_or_b32_e32 v65, 0x400000, v59
	v_or_b32_e32 v66, 0x400000, v62
	v_cndmask_b32_e64 v9, v17, v61, s1
	v_add3_u32 v61, v63, v58, 0x7fff
	v_or_b32_e32 v63, 0x400000, v58
	v_cmp_u_f32_e64 s1, v58, v58
	v_bfe_u32 v17, v62, 16, 1
	v_add3_u32 v64, v64, v59, 0x7fff
	v_cndmask_b32_e64 v58, v61, v63, s1
	v_cmp_u_f32_e64 s1, v59, v59
	v_add3_u32 v17, v17, v62, 0x7fff
	v_lshrrev_b32_e32 v61, 16, v18
	v_lshrrev_b32_e32 v63, 16, v9
	v_cndmask_b32_e64 v59, v64, v65, s1
	v_cmp_u_f32_e64 s1, v62, v62
	v_lshrrev_b32_e32 v62, 16, v58
	v_lshrrev_b32_e32 v58, 16, v59
	v_cndmask_b32_e64 v17, v17, v66, s1
	v_lshrrev_b32_e32 v59, 16, v17
	s_and_saveexec_b32 s16, vcc_lo
	s_cbranch_execz .LBB319_472
; %bb.471:                              ;   in Loop: Header=BB319_286 Depth=1
	v_cmp_gt_i32_e64 s1, s11, v43
	v_cndmask_b32_e64 v62, 0, v62, s1
	v_cmp_gt_i32_e64 s1, s11, v49
	v_cndmask_b32_e64 v63, 0, v63, s1
	;; [unrolled: 2-line block ×8, first 2 shown]
.LBB319_472:                            ;   in Loop: Header=BB319_286 Depth=1
	s_or_b32 exec_lo, exec_lo, s16
	global_load_dwordx2 v[15:16], v[15:16], off offset:768
	v_mov_b32_e32 v65, 0
	v_mov_b32_e32 v64, 0
	s_waitcnt vmcnt(0)
	v_cmp_ne_u16_sdwa s1, v15, v10 src0_sel:BYTE_0 src1_sel:DWORD
	s_and_saveexec_b32 s16, s1
	s_cbranch_execz .LBB319_478
; %bb.473:                              ;   in Loop: Header=BB319_286 Depth=1
	v_cmp_ne_u16_sdwa s1, v15, v29 src0_sel:BYTE_0 src1_sel:DWORD
	v_bfrev_b32_e32 v64, 1
	s_and_saveexec_b32 s17, s1
	s_cbranch_execz .LBB319_477
; %bb.474:                              ;   in Loop: Header=BB319_286 Depth=1
	v_and_b32_e32 v9, 0x7f, v15
	v_mov_b32_e32 v64, 0x7f800001
	s_mov_b32 s18, exec_lo
	v_cmpx_ne_u32_e32 0x7f, v9
	s_cbranch_execz .LBB319_476
; %bb.475:                              ;   in Loop: Header=BB319_286 Depth=1
	v_and_b32_e32 v17, 7, v15
	v_lshrrev_b32_e32 v18, 3, v9
	v_cmp_gt_u32_e64 s1, 8, v9
	v_ffbh_u32_e32 v17, v17
	v_min_u32_e32 v17, 32, v17
	v_subrev_nc_u32_e32 v64, 28, v17
	v_sub_nc_u32_e32 v17, 29, v17
	v_cndmask_b32_e64 v9, v18, v17, s1
	v_cndmask_b32_e64 v17, 0, v64, s1
	v_lshl_add_u32 v9, v9, 23, 0x3c000000
	v_lshlrev_b64 v[17:18], v17, v[15:16]
	v_lshlrev_b32_e32 v18, 24, v15
	v_lshlrev_b32_e32 v17, 20, v17
	v_and_b32_e32 v18, 0x80000000, v18
	v_and_b32_e32 v17, 0x700000, v17
	v_or3_b32 v64, v17, v18, v9
.LBB319_476:                            ;   in Loop: Header=BB319_286 Depth=1
	s_or_b32 exec_lo, exec_lo, s18
.LBB319_477:                            ;   in Loop: Header=BB319_286 Depth=1
	s_or_b32 exec_lo, exec_lo, s17
.LBB319_478:                            ;   in Loop: Header=BB319_286 Depth=1
	s_or_b32 exec_lo, exec_lo, s16
	v_cmp_ne_u16_sdwa s1, v15, v10 src0_sel:BYTE_1 src1_sel:DWORD
	s_and_saveexec_b32 s16, s1
	s_cbranch_execz .LBB319_486
; %bb.479:                              ;   in Loop: Header=BB319_286 Depth=1
	v_cmp_ne_u16_sdwa s1, v15, v29 src0_sel:BYTE_1 src1_sel:DWORD
	v_bfrev_b32_e32 v65, 1
	s_and_saveexec_b32 s17, s1
	s_cbranch_execz .LBB319_485
; %bb.480:                              ;   in Loop: Header=BB319_286 Depth=1
	v_and_b32_sdwa v9, v30, v15 dst_sel:DWORD dst_unused:UNUSED_PAD src0_sel:DWORD src1_sel:BYTE_1
	v_mov_b32_e32 v65, 0x7f800001
	s_mov_b32 s18, exec_lo
	v_and_b32_e32 v18, 0x7f, v9
	v_cmpx_ne_u32_e32 0x7f, v18
	s_cbranch_execz .LBB319_484
; %bb.481:                              ;   in Loop: Header=BB319_286 Depth=1
	v_and_b32_e32 v9, 7, v9
	v_lshrrev_b32_e32 v17, 3, v18
	s_mov_b32 s19, exec_lo
	v_cmpx_gt_u32_e32 8, v18
; %bb.482:                              ;   in Loop: Header=BB319_286 Depth=1
	v_ffbh_u32_e32 v17, v9
	v_min_u32_e32 v17, 32, v17
	v_subrev_nc_u32_e32 v18, 28, v17
	v_sub_nc_u32_e32 v17, 29, v17
	v_lshlrev_b64 v[65:66], v18, v[9:10]
	v_and_b32_e32 v9, 7, v65
; %bb.483:                              ;   in Loop: Header=BB319_286 Depth=1
	s_or_b32 exec_lo, exec_lo, s19
	v_lshlrev_b32_e32 v18, 16, v15
	v_lshlrev_b32_e32 v9, 20, v9
	v_lshl_add_u32 v17, v17, 23, 0x3c000000
	v_and_b32_e32 v18, 0x80000000, v18
	v_or3_b32 v65, v9, v18, v17
.LBB319_484:                            ;   in Loop: Header=BB319_286 Depth=1
	s_or_b32 exec_lo, exec_lo, s18
.LBB319_485:                            ;   in Loop: Header=BB319_286 Depth=1
	s_or_b32 exec_lo, exec_lo, s17
.LBB319_486:                            ;   in Loop: Header=BB319_286 Depth=1
	s_or_b32 exec_lo, exec_lo, s16
	v_and_b32_sdwa v9, v15, v31 dst_sel:DWORD dst_unused:UNUSED_PAD src0_sel:WORD_1 src1_sel:DWORD
	v_mov_b32_e32 v67, 0
	v_mov_b32_e32 v66, 0
	s_mov_b32 s16, exec_lo
	v_cmpx_ne_u16_e32 0, v9
	s_cbranch_execz .LBB319_494
; %bb.487:                              ;   in Loop: Header=BB319_286 Depth=1
	v_bfrev_b32_e32 v66, 1
	s_mov_b32 s17, exec_lo
	v_cmpx_ne_u16_e32 0x80, v9
	s_cbranch_execz .LBB319_493
; %bb.488:                              ;   in Loop: Header=BB319_286 Depth=1
	v_bfe_u32 v18, v15, 16, 7
	v_mov_b32_e32 v66, 0x7f800001
	s_mov_b32 s18, exec_lo
	v_cmpx_ne_u32_e32 0x7f, v18
	s_cbranch_execz .LBB319_492
; %bb.489:                              ;   in Loop: Header=BB319_286 Depth=1
	v_and_b32_sdwa v9, v15, v32 dst_sel:DWORD dst_unused:UNUSED_PAD src0_sel:WORD_1 src1_sel:DWORD
	v_lshrrev_b32_e32 v17, 3, v18
	s_mov_b32 s19, exec_lo
	v_cmpx_gt_u32_e32 8, v18
; %bb.490:                              ;   in Loop: Header=BB319_286 Depth=1
	v_ffbh_u32_e32 v17, v9
	v_min_u32_e32 v17, 32, v17
	v_subrev_nc_u32_e32 v18, 28, v17
	v_sub_nc_u32_e32 v17, 29, v17
	v_lshlrev_b64 v[68:69], v18, v[9:10]
	v_and_b32_e32 v9, 7, v68
; %bb.491:                              ;   in Loop: Header=BB319_286 Depth=1
	s_or_b32 exec_lo, exec_lo, s19
	v_lshlrev_b32_sdwa v18, v33, v15 dst_sel:DWORD dst_unused:UNUSED_PAD src0_sel:DWORD src1_sel:WORD_1
	v_lshlrev_b32_e32 v9, 20, v9
	v_lshl_add_u32 v17, v17, 23, 0x3c000000
	v_and_b32_e32 v18, 0x80000000, v18
	v_or3_b32 v66, v9, v18, v17
.LBB319_492:                            ;   in Loop: Header=BB319_286 Depth=1
	s_or_b32 exec_lo, exec_lo, s18
.LBB319_493:                            ;   in Loop: Header=BB319_286 Depth=1
	s_or_b32 exec_lo, exec_lo, s17
.LBB319_494:                            ;   in Loop: Header=BB319_286 Depth=1
	s_or_b32 exec_lo, exec_lo, s16
	s_mov_b32 s16, exec_lo
	v_cmpx_lt_u32_e32 0xffffff, v15
	s_cbranch_execz .LBB319_502
; %bb.495:                              ;   in Loop: Header=BB319_286 Depth=1
	v_cmp_ne_u32_sdwa s1, v15, v29 src0_sel:BYTE_3 src1_sel:DWORD
	v_bfrev_b32_e32 v67, 1
	s_and_saveexec_b32 s17, s1
	s_cbranch_execz .LBB319_501
; %bb.496:                              ;   in Loop: Header=BB319_286 Depth=1
	v_bfe_u32 v18, v15, 24, 7
	v_mov_b32_e32 v67, 0x7f800001
	s_mov_b32 s18, exec_lo
	v_cmpx_ne_u32_e32 0x7f, v18
	s_cbranch_execz .LBB319_500
; %bb.497:                              ;   in Loop: Header=BB319_286 Depth=1
	v_and_b32_sdwa v9, v15, v32 dst_sel:DWORD dst_unused:UNUSED_PAD src0_sel:BYTE_3 src1_sel:DWORD
	v_lshrrev_b32_e32 v17, 3, v18
	s_mov_b32 s19, exec_lo
	v_cmpx_gt_u32_e32 8, v18
; %bb.498:                              ;   in Loop: Header=BB319_286 Depth=1
	v_ffbh_u32_e32 v17, v9
	v_min_u32_e32 v17, 32, v17
	v_subrev_nc_u32_e32 v18, 28, v17
	v_sub_nc_u32_e32 v17, 29, v17
	v_lshlrev_b64 v[67:68], v18, v[9:10]
	v_and_b32_e32 v9, 7, v67
; %bb.499:                              ;   in Loop: Header=BB319_286 Depth=1
	s_or_b32 exec_lo, exec_lo, s19
	v_lshlrev_b32_sdwa v18, v33, v15 dst_sel:DWORD dst_unused:UNUSED_PAD src0_sel:DWORD src1_sel:BYTE_3
	v_lshlrev_b32_e32 v9, 20, v9
	v_lshl_add_u32 v17, v17, 23, 0x3c000000
	v_and_b32_e32 v18, 0x80000000, v18
	v_or3_b32 v67, v9, v18, v17
.LBB319_500:                            ;   in Loop: Header=BB319_286 Depth=1
	s_or_b32 exec_lo, exec_lo, s18
.LBB319_501:                            ;   in Loop: Header=BB319_286 Depth=1
	s_or_b32 exec_lo, exec_lo, s17
.LBB319_502:                            ;   in Loop: Header=BB319_286 Depth=1
	s_or_b32 exec_lo, exec_lo, s16
	v_mov_b32_e32 v9, v16
	v_cmp_ne_u16_sdwa s1, v16, v10 src0_sel:BYTE_0 src1_sel:DWORD
	v_mov_b32_e32 v17, 0
	v_mov_b32_e32 v68, 0
	s_and_saveexec_b32 s16, s1
	s_cbranch_execz .LBB319_508
; %bb.503:                              ;   in Loop: Header=BB319_286 Depth=1
	v_cmp_ne_u16_sdwa s1, v16, v29 src0_sel:BYTE_0 src1_sel:DWORD
	v_bfrev_b32_e32 v68, 1
	s_and_saveexec_b32 s17, s1
	s_cbranch_execz .LBB319_507
; %bb.504:                              ;   in Loop: Header=BB319_286 Depth=1
	v_and_b32_e32 v18, 0x7f, v16
	v_mov_b32_e32 v68, 0x7f800001
	s_mov_b32 s18, exec_lo
	v_cmpx_ne_u32_e32 0x7f, v18
	s_cbranch_execz .LBB319_506
; %bb.505:                              ;   in Loop: Header=BB319_286 Depth=1
	v_and_b32_e32 v68, 7, v16
	v_lshrrev_b32_e32 v69, 3, v18
	v_cmp_gt_u32_e64 s1, 8, v18
	v_ffbh_u32_e32 v68, v68
	v_min_u32_e32 v68, 32, v68
	v_subrev_nc_u32_e32 v70, 28, v68
	v_sub_nc_u32_e32 v68, 29, v68
	v_cndmask_b32_e64 v18, v69, v68, s1
	v_cndmask_b32_e64 v68, 0, v70, s1
	v_lshl_add_u32 v18, v18, 23, 0x3c000000
	v_lshlrev_b64 v[68:69], v68, v[9:10]
	v_lshlrev_b32_e32 v69, 24, v9
	v_lshlrev_b32_e32 v68, 20, v68
	v_and_b32_e32 v69, 0x80000000, v69
	v_and_b32_e32 v68, 0x700000, v68
	v_or3_b32 v68, v68, v69, v18
.LBB319_506:                            ;   in Loop: Header=BB319_286 Depth=1
	s_or_b32 exec_lo, exec_lo, s18
.LBB319_507:                            ;   in Loop: Header=BB319_286 Depth=1
	s_or_b32 exec_lo, exec_lo, s17
.LBB319_508:                            ;   in Loop: Header=BB319_286 Depth=1
	s_or_b32 exec_lo, exec_lo, s16
	v_cmp_ne_u16_sdwa s1, v9, v10 src0_sel:BYTE_1 src1_sel:DWORD
	s_and_saveexec_b32 s16, s1
	s_cbranch_execz .LBB319_516
; %bb.509:                              ;   in Loop: Header=BB319_286 Depth=1
	v_cmp_ne_u16_sdwa s1, v9, v29 src0_sel:BYTE_1 src1_sel:DWORD
	v_bfrev_b32_e32 v17, 1
	s_and_saveexec_b32 s17, s1
	s_cbranch_execz .LBB319_515
; %bb.510:                              ;   in Loop: Header=BB319_286 Depth=1
	v_and_b32_sdwa v18, v30, v9 dst_sel:DWORD dst_unused:UNUSED_PAD src0_sel:DWORD src1_sel:BYTE_1
	v_mov_b32_e32 v17, 0x7f800001
	s_mov_b32 s18, exec_lo
	v_and_b32_e32 v70, 0x7f, v18
	v_cmpx_ne_u32_e32 0x7f, v70
	s_cbranch_execz .LBB319_514
; %bb.511:                              ;   in Loop: Header=BB319_286 Depth=1
	v_and_b32_e32 v17, 7, v18
	v_mov_b32_e32 v18, v10
	v_lshrrev_b32_e32 v69, 3, v70
	s_mov_b32 s19, exec_lo
	v_cmpx_gt_u32_e32 8, v70
; %bb.512:                              ;   in Loop: Header=BB319_286 Depth=1
	v_ffbh_u32_e32 v69, v17
	v_min_u32_e32 v69, 32, v69
	v_subrev_nc_u32_e32 v70, 28, v69
	v_sub_nc_u32_e32 v69, 29, v69
	v_lshlrev_b64 v[17:18], v70, v[17:18]
	v_and_b32_e32 v17, 7, v17
; %bb.513:                              ;   in Loop: Header=BB319_286 Depth=1
	s_or_b32 exec_lo, exec_lo, s19
	v_lshlrev_b32_e32 v9, 16, v9
	v_lshlrev_b32_e32 v17, 20, v17
	v_lshl_add_u32 v18, v69, 23, 0x3c000000
	v_and_b32_e32 v9, 0x80000000, v9
	v_or3_b32 v17, v17, v9, v18
.LBB319_514:                            ;   in Loop: Header=BB319_286 Depth=1
	s_or_b32 exec_lo, exec_lo, s18
.LBB319_515:                            ;   in Loop: Header=BB319_286 Depth=1
	s_or_b32 exec_lo, exec_lo, s17
.LBB319_516:                            ;   in Loop: Header=BB319_286 Depth=1
	s_or_b32 exec_lo, exec_lo, s16
	v_and_b32_sdwa v9, v16, v31 dst_sel:DWORD dst_unused:UNUSED_PAD src0_sel:WORD_1 src1_sel:DWORD
	v_mov_b32_e32 v18, 0
	v_mov_b32_e32 v69, 0
	s_mov_b32 s16, exec_lo
	v_cmpx_ne_u16_e32 0, v9
	s_cbranch_execz .LBB319_524
; %bb.517:                              ;   in Loop: Header=BB319_286 Depth=1
	v_bfrev_b32_e32 v69, 1
	s_mov_b32 s17, exec_lo
	v_cmpx_ne_u16_e32 0x80, v9
	s_cbranch_execz .LBB319_523
; %bb.518:                              ;   in Loop: Header=BB319_286 Depth=1
	v_bfe_u32 v70, v16, 16, 7
	v_mov_b32_e32 v69, 0x7f800001
	s_mov_b32 s18, exec_lo
	v_cmpx_ne_u32_e32 0x7f, v70
	s_cbranch_execz .LBB319_522
; %bb.519:                              ;   in Loop: Header=BB319_286 Depth=1
	v_and_b32_sdwa v9, v16, v32 dst_sel:DWORD dst_unused:UNUSED_PAD src0_sel:WORD_1 src1_sel:DWORD
	v_lshrrev_b32_e32 v69, 3, v70
	s_mov_b32 s19, exec_lo
	v_cmpx_gt_u32_e32 8, v70
; %bb.520:                              ;   in Loop: Header=BB319_286 Depth=1
	v_ffbh_u32_e32 v69, v9
	v_min_u32_e32 v69, 32, v69
	v_subrev_nc_u32_e32 v70, 28, v69
	v_sub_nc_u32_e32 v69, 29, v69
	v_lshlrev_b64 v[70:71], v70, v[9:10]
	v_and_b32_e32 v9, 7, v70
; %bb.521:                              ;   in Loop: Header=BB319_286 Depth=1
	s_or_b32 exec_lo, exec_lo, s19
	v_lshlrev_b32_sdwa v70, v33, v16 dst_sel:DWORD dst_unused:UNUSED_PAD src0_sel:DWORD src1_sel:WORD_1
	v_lshlrev_b32_e32 v9, 20, v9
	v_lshl_add_u32 v69, v69, 23, 0x3c000000
	v_and_b32_e32 v70, 0x80000000, v70
	v_or3_b32 v69, v9, v70, v69
.LBB319_522:                            ;   in Loop: Header=BB319_286 Depth=1
	s_or_b32 exec_lo, exec_lo, s18
.LBB319_523:                            ;   in Loop: Header=BB319_286 Depth=1
	s_or_b32 exec_lo, exec_lo, s17
.LBB319_524:                            ;   in Loop: Header=BB319_286 Depth=1
	s_or_b32 exec_lo, exec_lo, s16
	s_mov_b32 s16, exec_lo
	v_cmpx_lt_u64_e64 s[2:3], v[15:16]
	s_cbranch_execz .LBB319_532
; %bb.525:                              ;   in Loop: Header=BB319_286 Depth=1
	v_cmp_ne_u32_sdwa s1, v16, v29 src0_sel:BYTE_3 src1_sel:DWORD
	v_bfrev_b32_e32 v18, 1
	s_and_saveexec_b32 s17, s1
	s_cbranch_execz .LBB319_531
; %bb.526:                              ;   in Loop: Header=BB319_286 Depth=1
	v_bfe_u32 v70, v16, 24, 7
	v_mov_b32_e32 v18, 0x7f800001
	s_mov_b32 s18, exec_lo
	v_cmpx_ne_u32_e32 0x7f, v70
	s_cbranch_execz .LBB319_530
; %bb.527:                              ;   in Loop: Header=BB319_286 Depth=1
	v_and_b32_sdwa v9, v16, v32 dst_sel:DWORD dst_unused:UNUSED_PAD src0_sel:BYTE_3 src1_sel:DWORD
	v_lshrrev_b32_e32 v15, 3, v70
	s_mov_b32 s19, exec_lo
	v_cmpx_gt_u32_e32 8, v70
; %bb.528:                              ;   in Loop: Header=BB319_286 Depth=1
	v_ffbh_u32_e32 v15, v9
	v_min_u32_e32 v15, 32, v15
	v_subrev_nc_u32_e32 v18, 28, v15
	v_sub_nc_u32_e32 v15, 29, v15
	v_lshlrev_b64 v[70:71], v18, v[9:10]
	v_and_b32_e32 v9, 7, v70
; %bb.529:                              ;   in Loop: Header=BB319_286 Depth=1
	s_or_b32 exec_lo, exec_lo, s19
	v_lshlrev_b32_sdwa v16, v33, v16 dst_sel:DWORD dst_unused:UNUSED_PAD src0_sel:DWORD src1_sel:BYTE_3
	v_lshlrev_b32_e32 v9, 20, v9
	v_lshl_add_u32 v15, v15, 23, 0x3c000000
	v_and_b32_e32 v16, 0x80000000, v16
	v_or3_b32 v18, v9, v16, v15
.LBB319_530:                            ;   in Loop: Header=BB319_286 Depth=1
	s_or_b32 exec_lo, exec_lo, s18
.LBB319_531:                            ;   in Loop: Header=BB319_286 Depth=1
	s_or_b32 exec_lo, exec_lo, s17
.LBB319_532:                            ;   in Loop: Header=BB319_286 Depth=1
	s_or_b32 exec_lo, exec_lo, s16
	v_mul_f32_e32 v9, s13, v17
	v_mul_f32_e32 v15, s13, v68
	;; [unrolled: 1-line block ×5, first 2 shown]
	v_bfe_u32 v66, v9, 16, 1
	v_or_b32_e32 v67, 0x400000, v9
	v_bfe_u32 v68, v15, 16, 1
	v_cmp_u_f32_e64 s1, v9, v9
	v_or_b32_e32 v70, 0x400000, v15
	v_add3_u32 v66, v66, v9, 0x7fff
	v_bfe_u32 v71, v16, 16, 1
	v_add3_u32 v68, v68, v15, 0x7fff
	v_or_b32_e32 v72, 0x400000, v16
	v_bfe_u32 v73, v17, 16, 1
	v_cndmask_b32_e64 v9, v66, v67, s1
	v_cmp_u_f32_e64 s1, v15, v15
	v_add3_u32 v71, v71, v16, 0x7fff
	v_or_b32_e32 v67, 0x400000, v17
	v_add3_u32 v66, v73, v17, 0x7fff
	v_mul_f32_e32 v64, s13, v64
	v_cndmask_b32_e64 v15, v68, v70, s1
	v_cmp_u_f32_e64 s1, v16, v16
	v_bfe_u32 v68, v65, 16, 1
	v_mul_f32_e32 v18, s13, v18
	v_lshrrev_b32_e32 v9, 16, v9
	v_lshrrev_b32_e32 v15, 16, v15
	v_cndmask_b32_e64 v16, v71, v72, s1
	v_cmp_u_f32_e64 s1, v17, v17
	v_or_b32_e32 v72, 0x400000, v18
	v_lshrrev_b32_e32 v16, 16, v16
	v_cndmask_b32_e64 v17, v66, v67, s1
	v_mul_f32_e32 v66, s13, v69
	v_add3_u32 v67, v68, v65, 0x7fff
	v_or_b32_e32 v68, 0x400000, v65
	v_bfe_u32 v69, v64, 16, 1
	v_cmp_u_f32_e64 s1, v65, v65
	v_bfe_u32 v70, v66, 16, 1
	v_or_b32_e32 v71, 0x400000, v66
	v_cndmask_b32_e64 v65, v67, v68, s1
	v_add3_u32 v68, v69, v64, 0x7fff
	v_or_b32_e32 v69, 0x400000, v64
	v_cmp_u_f32_e64 s1, v64, v64
	v_bfe_u32 v67, v18, 16, 1
	v_add3_u32 v70, v70, v66, 0x7fff
	v_lshrrev_b32_e32 v64, 16, v17
	v_lshrrev_b32_e32 v65, 16, v65
	v_cndmask_b32_e64 v68, v68, v69, s1
	v_cmp_u_f32_e64 s1, v66, v66
	v_add3_u32 v67, v67, v18, 0x7fff
	v_lshrrev_b32_e32 v66, 16, v68
	v_cndmask_b32_e64 v69, v70, v71, s1
	v_cmp_u_f32_e64 s1, v18, v18
	v_lshrrev_b32_e32 v18, 16, v69
	v_cndmask_b32_e64 v67, v67, v72, s1
	v_lshrrev_b32_e32 v17, 16, v67
	s_and_saveexec_b32 s1, vcc_lo
	s_cbranch_execz .LBB319_285
; %bb.533:                              ;   in Loop: Header=BB319_286 Depth=1
	v_cmp_gt_i32_e32 vcc_lo, s11, v43
	v_cndmask_b32_e32 v66, 0, v66, vcc_lo
	v_cmp_gt_i32_e32 vcc_lo, s11, v49
	v_cndmask_b32_e32 v65, 0, v65, vcc_lo
	;; [unrolled: 2-line block ×8, first 2 shown]
	s_branch .LBB319_285
.LBB319_534:
	s_or_b32 exec_lo, exec_lo, s15
.LBB319_535:
	s_or_b32 exec_lo, exec_lo, s4
	v_lshl_add_u32 v2, v22, 2, 0x120
	v_and_b32_e32 v3, 0x3c0, v0
	s_mov_b32 s1, exec_lo
	s_barrier
	v_lshl_add_u32 v1, v21, 9, v2
	buffer_gl0_inv
	v_cmpx_eq_u32_e32 64, v3
	s_cbranch_execz .LBB319_537
; %bb.536:
	v_add_nc_u32_e32 v3, 0xfffffc00, v1
	v_add_nc_u32_e32 v4, 0xfffffc80, v1
	;; [unrolled: 1-line block ×4, first 2 shown]
	ds_write_b32 v3, v26
	ds_write_b32 v4, v25
	;; [unrolled: 1-line block ×4, first 2 shown]
.LBB319_537:
	s_or_b32 exec_lo, exec_lo, s1
	s_waitcnt lgkmcnt(0)
	s_barrier
	buffer_gl0_inv
	s_and_saveexec_b32 s1, s0
	s_cbranch_execz .LBB319_539
; %bb.538:
	ds_read2_b32 v[3:4], v1 offset1:32
	ds_read2_b32 v[5:6], v1 offset0:64 offset1:96
	s_waitcnt lgkmcnt(1)
	v_add_f32_e32 v26, v26, v3
	v_add_f32_e32 v25, v25, v4
	s_waitcnt lgkmcnt(0)
	v_add_f32_e32 v24, v24, v5
	v_add_f32_e32 v23, v23, v6
.LBB319_539:
	s_or_b32 exec_lo, exec_lo, s1
	v_and_b32_e32 v3, 0x3e0, v0
	s_mov_b32 s0, exec_lo
	s_barrier
	buffer_gl0_inv
	v_cmpx_eq_u32_e32 32, v3
	s_cbranch_execz .LBB319_541
; %bb.540:
	ds_write2_b32 v2, v26, v25 offset1:32
	ds_write2_b32 v2, v24, v23 offset0:64 offset1:96
.LBB319_541:
	s_or_b32 exec_lo, exec_lo, s0
	v_cmp_gt_u32_e32 vcc_lo, 32, v0
	s_waitcnt lgkmcnt(0)
	s_barrier
	buffer_gl0_inv
	s_and_saveexec_b32 s0, vcc_lo
	s_cbranch_execz .LBB319_543
; %bb.542:
	ds_read2_b32 v[2:3], v1 offset1:32
	ds_read2_b32 v[4:5], v1 offset0:64 offset1:96
	s_waitcnt lgkmcnt(1)
	v_add_f32_e32 v26, v26, v2
	v_add_f32_e32 v25, v25, v3
	s_waitcnt lgkmcnt(0)
	v_add_f32_e32 v24, v24, v4
	v_add_f32_e32 v23, v23, v5
.LBB319_543:
	s_or_b32 exec_lo, exec_lo, s0
	s_barrier
	buffer_gl0_inv
	s_and_saveexec_b32 s0, vcc_lo
	s_cbranch_execz .LBB319_545
; %bb.544:
	v_bfe_u32 v1, v26, 16, 1
	s_mul_i32 s0, s10, s7
	v_or_b32_e32 v2, 0x400000, v26
	s_mul_i32 s0, s0, s9
	v_bfe_u32 v3, v25, 16, 1
	v_add3_u32 v1, v1, v26, 0x7fff
	v_cmp_u_f32_e32 vcc_lo, v26, v26
	s_lshl_b32 s0, s0, 7
	v_bfe_u32 v4, v24, 16, 1
	s_ashr_i32 s1, s0, 31
	v_add3_u32 v3, v3, v25, 0x7fff
	s_lshl_b64 s[0:1], s[0:1], 1
	v_cndmask_b32_e32 v1, v1, v2, vcc_lo
	v_or_b32_e32 v5, 0x400000, v25
	v_cmp_u_f32_e32 vcc_lo, v25, v25
	s_mul_i32 s2, s7, s6
	s_add_u32 s4, s20, s0
	s_addc_u32 s5, s21, s1
	s_ashr_i32 s3, s2, 31
	v_bfe_u32 v2, v23, 16, 1
	s_lshl_b64 s[0:1], s[2:3], 1
	v_add3_u32 v4, v4, v24, 0x7fff
	v_or_b32_e32 v6, 0x400000, v24
	v_cndmask_b32_e32 v3, v3, v5, vcc_lo
	v_cmp_u_f32_e32 vcc_lo, v24, v24
	s_add_u32 s2, s4, s0
	s_addc_u32 s3, s5, s1
	s_lshl_b32 s0, s8, 7
	v_add3_u32 v2, v2, v23, 0x7fff
	s_ashr_i32 s1, s0, 31
	v_or_b32_e32 v7, 0x400000, v23
	v_cndmask_b32_e32 v4, v4, v6, vcc_lo
	v_cmp_u_f32_e32 vcc_lo, v23, v23
	v_lshlrev_b32_e32 v0, 1, v0
	s_lshl_b64 s[0:1], s[0:1], 1
	s_add_u32 s0, s2, s0
	s_addc_u32 s1, s3, s1
	v_cndmask_b32_e32 v2, v2, v7, vcc_lo
	global_store_short_d16_hi v0, v1, s[0:1]
	global_store_short_d16_hi v0, v3, s[0:1] offset:64
	global_store_short_d16_hi v0, v4, s[0:1] offset:128
	;; [unrolled: 1-line block ×3, first 2 shown]
.LBB319_545:
	s_endpgm
	.section	.rodata,"a",@progbits
	.p2align	6, 0x0
	.amdhsa_kernel _ZN4vllm25paged_attention_v1_kernelI14__hip_bfloat16hLi128ELi8ELi128ELNS_18Fp8KVCacheDataTypeE1ELb0EEEvPT_PKS3_PKT0_S9_ifPKiSB_iPKfiiiSD_SD_iiiii
		.amdhsa_group_segment_fixed_size 288
		.amdhsa_private_segment_fixed_size 0
		.amdhsa_kernarg_size 384
		.amdhsa_user_sgpr_count 6
		.amdhsa_user_sgpr_private_segment_buffer 1
		.amdhsa_user_sgpr_dispatch_ptr 0
		.amdhsa_user_sgpr_queue_ptr 0
		.amdhsa_user_sgpr_kernarg_segment_ptr 1
		.amdhsa_user_sgpr_dispatch_id 0
		.amdhsa_user_sgpr_flat_scratch_init 0
		.amdhsa_user_sgpr_private_segment_size 0
		.amdhsa_wavefront_size32 1
		.amdhsa_uses_dynamic_stack 0
		.amdhsa_system_sgpr_private_segment_wavefront_offset 0
		.amdhsa_system_sgpr_workgroup_id_x 1
		.amdhsa_system_sgpr_workgroup_id_y 1
		.amdhsa_system_sgpr_workgroup_id_z 1
		.amdhsa_system_sgpr_workgroup_info 0
		.amdhsa_system_vgpr_workitem_id 0
		.amdhsa_next_free_vgpr 106
		.amdhsa_next_free_sgpr 35
		.amdhsa_reserve_vcc 1
		.amdhsa_reserve_flat_scratch 0
		.amdhsa_float_round_mode_32 0
		.amdhsa_float_round_mode_16_64 0
		.amdhsa_float_denorm_mode_32 3
		.amdhsa_float_denorm_mode_16_64 3
		.amdhsa_dx10_clamp 1
		.amdhsa_ieee_mode 1
		.amdhsa_fp16_overflow 0
		.amdhsa_workgroup_processor_mode 1
		.amdhsa_memory_ordered 1
		.amdhsa_forward_progress 1
		.amdhsa_shared_vgpr_count 0
		.amdhsa_exception_fp_ieee_invalid_op 0
		.amdhsa_exception_fp_denorm_src 0
		.amdhsa_exception_fp_ieee_div_zero 0
		.amdhsa_exception_fp_ieee_overflow 0
		.amdhsa_exception_fp_ieee_underflow 0
		.amdhsa_exception_fp_ieee_inexact 0
		.amdhsa_exception_int_div_zero 0
	.end_amdhsa_kernel
	.section	.text._ZN4vllm25paged_attention_v1_kernelI14__hip_bfloat16hLi128ELi8ELi128ELNS_18Fp8KVCacheDataTypeE1ELb0EEEvPT_PKS3_PKT0_S9_ifPKiSB_iPKfiiiSD_SD_iiiii,"axG",@progbits,_ZN4vllm25paged_attention_v1_kernelI14__hip_bfloat16hLi128ELi8ELi128ELNS_18Fp8KVCacheDataTypeE1ELb0EEEvPT_PKS3_PKT0_S9_ifPKiSB_iPKfiiiSD_SD_iiiii,comdat
.Lfunc_end319:
	.size	_ZN4vllm25paged_attention_v1_kernelI14__hip_bfloat16hLi128ELi8ELi128ELNS_18Fp8KVCacheDataTypeE1ELb0EEEvPT_PKS3_PKT0_S9_ifPKiSB_iPKfiiiSD_SD_iiiii, .Lfunc_end319-_ZN4vllm25paged_attention_v1_kernelI14__hip_bfloat16hLi128ELi8ELi128ELNS_18Fp8KVCacheDataTypeE1ELb0EEEvPT_PKS3_PKT0_S9_ifPKiSB_iPKfiiiSD_SD_iiiii
                                        ; -- End function
	.set _ZN4vllm25paged_attention_v1_kernelI14__hip_bfloat16hLi128ELi8ELi128ELNS_18Fp8KVCacheDataTypeE1ELb0EEEvPT_PKS3_PKT0_S9_ifPKiSB_iPKfiiiSD_SD_iiiii.num_vgpr, 106
	.set _ZN4vllm25paged_attention_v1_kernelI14__hip_bfloat16hLi128ELi8ELi128ELNS_18Fp8KVCacheDataTypeE1ELb0EEEvPT_PKS3_PKT0_S9_ifPKiSB_iPKfiiiSD_SD_iiiii.num_agpr, 0
	.set _ZN4vllm25paged_attention_v1_kernelI14__hip_bfloat16hLi128ELi8ELi128ELNS_18Fp8KVCacheDataTypeE1ELb0EEEvPT_PKS3_PKT0_S9_ifPKiSB_iPKfiiiSD_SD_iiiii.numbered_sgpr, 35
	.set _ZN4vllm25paged_attention_v1_kernelI14__hip_bfloat16hLi128ELi8ELi128ELNS_18Fp8KVCacheDataTypeE1ELb0EEEvPT_PKS3_PKT0_S9_ifPKiSB_iPKfiiiSD_SD_iiiii.num_named_barrier, 0
	.set _ZN4vllm25paged_attention_v1_kernelI14__hip_bfloat16hLi128ELi8ELi128ELNS_18Fp8KVCacheDataTypeE1ELb0EEEvPT_PKS3_PKT0_S9_ifPKiSB_iPKfiiiSD_SD_iiiii.private_seg_size, 0
	.set _ZN4vllm25paged_attention_v1_kernelI14__hip_bfloat16hLi128ELi8ELi128ELNS_18Fp8KVCacheDataTypeE1ELb0EEEvPT_PKS3_PKT0_S9_ifPKiSB_iPKfiiiSD_SD_iiiii.uses_vcc, 1
	.set _ZN4vllm25paged_attention_v1_kernelI14__hip_bfloat16hLi128ELi8ELi128ELNS_18Fp8KVCacheDataTypeE1ELb0EEEvPT_PKS3_PKT0_S9_ifPKiSB_iPKfiiiSD_SD_iiiii.uses_flat_scratch, 0
	.set _ZN4vllm25paged_attention_v1_kernelI14__hip_bfloat16hLi128ELi8ELi128ELNS_18Fp8KVCacheDataTypeE1ELb0EEEvPT_PKS3_PKT0_S9_ifPKiSB_iPKfiiiSD_SD_iiiii.has_dyn_sized_stack, 0
	.set _ZN4vllm25paged_attention_v1_kernelI14__hip_bfloat16hLi128ELi8ELi128ELNS_18Fp8KVCacheDataTypeE1ELb0EEEvPT_PKS3_PKT0_S9_ifPKiSB_iPKfiiiSD_SD_iiiii.has_recursion, 0
	.set _ZN4vllm25paged_attention_v1_kernelI14__hip_bfloat16hLi128ELi8ELi128ELNS_18Fp8KVCacheDataTypeE1ELb0EEEvPT_PKS3_PKT0_S9_ifPKiSB_iPKfiiiSD_SD_iiiii.has_indirect_call, 0
	.section	.AMDGPU.csdata,"",@progbits
; Kernel info:
; codeLenInByte = 20924
; TotalNumSgprs: 37
; NumVgprs: 106
; ScratchSize: 0
; MemoryBound: 0
; FloatMode: 240
; IeeeMode: 1
; LDSByteSize: 288 bytes/workgroup (compile time only)
; SGPRBlocks: 0
; VGPRBlocks: 13
; NumSGPRsForWavesPerEU: 37
; NumVGPRsForWavesPerEU: 106
; Occupancy: 9
; WaveLimiterHint : 1
; COMPUTE_PGM_RSRC2:SCRATCH_EN: 0
; COMPUTE_PGM_RSRC2:USER_SGPR: 6
; COMPUTE_PGM_RSRC2:TRAP_HANDLER: 0
; COMPUTE_PGM_RSRC2:TGID_X_EN: 1
; COMPUTE_PGM_RSRC2:TGID_Y_EN: 1
; COMPUTE_PGM_RSRC2:TGID_Z_EN: 1
; COMPUTE_PGM_RSRC2:TIDIG_COMP_CNT: 0
	.section	.text._ZN4vllm25paged_attention_v1_kernelI14__hip_bfloat16hLi192ELi8ELi128ELNS_18Fp8KVCacheDataTypeE1ELb0EEEvPT_PKS3_PKT0_S9_ifPKiSB_iPKfiiiSD_SD_iiiii,"axG",@progbits,_ZN4vllm25paged_attention_v1_kernelI14__hip_bfloat16hLi192ELi8ELi128ELNS_18Fp8KVCacheDataTypeE1ELb0EEEvPT_PKS3_PKT0_S9_ifPKiSB_iPKfiiiSD_SD_iiiii,comdat
	.protected	_ZN4vllm25paged_attention_v1_kernelI14__hip_bfloat16hLi192ELi8ELi128ELNS_18Fp8KVCacheDataTypeE1ELb0EEEvPT_PKS3_PKT0_S9_ifPKiSB_iPKfiiiSD_SD_iiiii ; -- Begin function _ZN4vllm25paged_attention_v1_kernelI14__hip_bfloat16hLi192ELi8ELi128ELNS_18Fp8KVCacheDataTypeE1ELb0EEEvPT_PKS3_PKT0_S9_ifPKiSB_iPKfiiiSD_SD_iiiii
	.globl	_ZN4vllm25paged_attention_v1_kernelI14__hip_bfloat16hLi192ELi8ELi128ELNS_18Fp8KVCacheDataTypeE1ELb0EEEvPT_PKS3_PKT0_S9_ifPKiSB_iPKfiiiSD_SD_iiiii
	.p2align	8
	.type	_ZN4vllm25paged_attention_v1_kernelI14__hip_bfloat16hLi192ELi8ELi128ELNS_18Fp8KVCacheDataTypeE1ELb0EEEvPT_PKS3_PKT0_S9_ifPKiSB_iPKfiiiSD_SD_iiiii,@function
_ZN4vllm25paged_attention_v1_kernelI14__hip_bfloat16hLi192ELi8ELi128ELNS_18Fp8KVCacheDataTypeE1ELb0EEEvPT_PKS3_PKT0_S9_ifPKiSB_iPKfiiiSD_SD_iiiii: ; @_ZN4vllm25paged_attention_v1_kernelI14__hip_bfloat16hLi192ELi8ELi128ELNS_18Fp8KVCacheDataTypeE1ELb0EEEvPT_PKS3_PKT0_S9_ifPKiSB_iPKfiiiSD_SD_iiiii
; %bb.0:
	s_clause 0x2
	s_load_dword s9, s[4:5], 0x80
	s_load_dwordx2 s[0:1], s[4:5], 0x30
	s_load_dwordx2 s[28:29], s[4:5], 0x20
	s_mov_b32 s10, s7
	s_ashr_i32 s11, s7, 31
	s_lshl_b64 s[2:3], s[10:11], 2
	s_waitcnt lgkmcnt(0)
	s_add_u32 s0, s0, s2
	s_addc_u32 s1, s1, s3
	s_abs_i32 s2, s28
	s_abs_i32 s11, s9
	v_cvt_f32_u32_e32 v1, s2
	s_sub_i32 s7, 0, s2
	v_rcp_iflag_f32_e32 v1, v1
	v_mul_f32_e32 v1, 0x4f7ffffe, v1
	v_cvt_u32_f32_e32 v1, v1
	v_readfirstlane_b32 s3, v1
	s_mul_i32 s7, s7, s3
	s_mul_hi_u32 s7, s3, s7
	s_add_i32 s3, s3, s7
	s_xor_b32 s7, s9, s28
	s_mul_hi_u32 s3, s11, s3
	s_ashr_i32 s7, s7, 31
	s_mul_i32 s12, s3, s2
	s_mov_b32 s28, 0
	s_sub_i32 s11, s11, s12
	s_add_i32 s12, s3, 1
	s_sub_i32 s13, s11, s2
	s_cmp_ge_u32 s11, s2
	s_cselect_b32 s3, s12, s3
	s_cselect_b32 s11, s13, s11
	s_add_i32 s12, s3, 1
	s_cmp_ge_u32 s11, s2
	s_cselect_b32 s2, s12, s3
	s_abs_i32 s17, s6
	s_xor_b32 s2, s2, s7
	s_sub_i32 s19, s2, s7
	s_load_dwordx2 s[2:3], s[4:5], 0x40
	s_abs_i32 s16, s19
	v_cvt_f32_u32_e32 v1, s16
	s_sub_i32 s11, 0, s16
	v_rcp_iflag_f32_e32 v1, v1
	v_mul_f32_e32 v1, 0x4f7ffffe, v1
	v_cvt_u32_f32_e32 v1, v1
	v_readfirstlane_b32 s7, v1
	s_mul_i32 s11, s11, s7
	s_mul_hi_u32 s11, s7, s11
	s_add_i32 s7, s7, s11
	s_waitcnt lgkmcnt(0)
	s_cmp_eq_u64 s[2:3], 0
	s_mul_hi_u32 s18, s17, s7
	s_cbranch_scc1 .LBB320_2
; %bb.1:
	s_ashr_i32 s7, s6, 31
	s_lshl_b64 s[12:13], s[6:7], 2
	s_add_u32 s2, s2, s12
	s_addc_u32 s3, s3, s13
	s_load_dword s28, s[2:3], 0x0
.LBB320_2:
	s_load_dword s11, s[0:1], 0x0
	s_load_dwordx4 s[12:15], s[4:5], 0x48
	v_and_b32_e32 v1, 3, v0
	s_ashr_i32 s0, s6, 31
	s_ashr_i32 s1, s19, 31
	s_mulk_i32 s6, 0xc0
	s_mov_b32 s2, exec_lo
	v_cmpx_gt_u32_e32 0x60, v0
	s_cbranch_execz .LBB320_4
; %bb.3:
	s_load_dwordx2 s[20:21], s[4:5], 0x8
	s_waitcnt lgkmcnt(0)
	s_mul_i32 s22, s12, s10
	v_lshlrev_b32_e32 v2, 2, v0
	s_ashr_i32 s23, s22, 31
	v_and_b32_e32 v3, 0x3fc, v0
	s_lshl_b64 s[22:23], s[22:23], 1
	v_mad_u32_u24 v3, 0x60, v1, v3
	s_add_u32 s3, s20, s22
	s_addc_u32 s12, s21, s23
	s_ashr_i32 s7, s6, 31
	s_lshl_b64 s[20:21], s[6:7], 1
	s_add_u32 s20, s3, s20
	s_addc_u32 s21, s12, s21
	global_load_dword v2, v2, s[20:21]
	s_waitcnt vmcnt(0)
	ds_write_b32 v3, v2
.LBB320_4:
	s_or_b32 exec_lo, exec_lo, s2
	s_waitcnt lgkmcnt(0)
	s_add_i32 s2, s11, 7
	s_clause 0x1
	s_load_dwordx2 s[22:23], s[4:5], 0x28
	s_load_dword s7, s[4:5], 0x38
	s_ashr_i32 s3, s2, 31
	s_xor_b32 s0, s0, s1
	s_lshr_b32 s3, s3, 29
	s_mul_i32 s1, s18, s16
	s_add_i32 s2, s2, s3
	s_sub_i32 s1, s17, s1
	s_ashr_i32 s12, s2, 3
	s_add_i32 s2, s18, 1
	s_sub_i32 s3, s1, s16
	s_cmp_ge_u32 s1, s16
	v_lshrrev_b32_e32 v21, 5, v0
	s_cselect_b32 s2, s2, s18
	s_cselect_b32 s1, s3, s1
	s_add_i32 s3, s2, 1
	s_cmp_ge_u32 s1, s16
	v_mbcnt_lo_u32_b32 v10, -1, 0
	s_cselect_b32 s1, s3, s2
	s_mov_b32 s2, exec_lo
	s_xor_b32 s1, s1, s0
	s_waitcnt lgkmcnt(0)
	s_mul_i32 s24, s7, s10
	s_sub_i32 s1, s1, s0
	v_cmp_gt_i32_e64 s0, s12, v21
	s_ashr_i32 s25, s24, 31
	s_barrier
	buffer_gl0_inv
                                        ; implicit-def: $vgpr2
                                        ; implicit-def: $vgpr11
	v_cmpx_le_i32_e64 s12, v21
	s_xor_b32 s2, exec_lo, s2
; %bb.5:
	v_mov_b32_e32 v2, 0
	v_mbcnt_lo_u32_b32 v10, -1, 0
	v_mov_b32_e32 v11, 32
                                        ; implicit-def: $vgpr1
; %bb.6:
	s_or_saveexec_b32 s15, s2
	s_clause 0x3
	s_load_dwordx2 s[20:21], s[4:5], 0x0
	s_load_dwordx2 s[26:27], s[4:5], 0x18
	s_load_dword s7, s[4:5], 0x88
	s_load_dwordx4 s[16:19], s[4:5], 0x58
	v_mov_b32_e32 v60, 0xff7fffff
	v_lshrrev_b32_e32 v9, 3, v0
	s_mul_i32 s14, s1, s14
	s_xor_b32 exec_lo, exec_lo, s15
	s_cbranch_execz .LBB320_396
; %bb.7:
	v_mul_u32_u24_e32 v6, 0x60, v1
	s_load_dwordx2 s[2:3], s[4:5], 0x10
	v_bfe_u32 v7, v0, 2, 3
	s_ashr_i32 s1, s14, 31
	v_mov_b32_e32 v11, 32
	ds_read_b128 v[2:5], v6
	ds_read_b128 v[25:28], v6 offset:16
	ds_read_b128 v[33:36], v6 offset:32
	;; [unrolled: 1-line block ×4, first 2 shown]
	v_lshlrev_b32_e32 v8, 4, v7
	s_waitcnt lgkmcnt(0)
	s_load_dword s4, s[16:17], 0x0
	v_lshl_or_b32 v64, v21, 3, v7
	v_mov_b32_e32 v60, 0xff7fffff
	v_mov_b32_e32 v66, 0x80
	;; [unrolled: 1-line block ×4, first 2 shown]
	s_mov_b32 s17, s13
	s_mov_b32 s16, 0
	s_add_u32 s2, s2, s14
	s_addc_u32 s1, s3, s1
	s_sub_i32 s5, 1, s11
	v_lshlrev_b32_e32 v12, 16, v2
	v_and_b32_e32 v13, 0xffff0000, v2
	v_lshlrev_b32_e32 v14, 16, v3
	v_and_b32_e32 v15, 0xffff0000, v3
	;; [unrolled: 2-line block ×4, first 2 shown]
	ds_read_b128 v[2:5], v6 offset:80
	v_lshlrev_b32_e32 v6, 1, v1
	v_lshlrev_b32_e32 v20, 16, v25
	v_and_b32_e32 v22, 0xffff0000, v25
	v_lshlrev_b32_e32 v23, 16, v26
	v_and_b32_e32 v24, 0xffff0000, v26
	;; [unrolled: 2-line block ×9, first 2 shown]
	s_waitcnt lgkmcnt(0)
	v_lshlrev_b32_e32 v53, 16, v2
	v_and_b32_e32 v54, 0xffff0000, v2
	v_xor_b32_e32 v2, 2, v10
	v_lshlrev_b32_e32 v55, 16, v3
	v_and_b32_e32 v56, 0xffff0000, v3
	v_xor_b32_e32 v3, 1, v10
	v_lshlrev_b32_e32 v57, 16, v4
	v_cmp_gt_i32_e32 vcc_lo, 32, v2
	v_and_b32_e32 v58, 0xffff0000, v4
	v_add_co_u32 v4, s2, s2, v8
	v_lshlrev_b32_e32 v59, 16, v5
	v_cndmask_b32_e32 v2, v10, v2, vcc_lo
	v_cmp_gt_i32_e32 vcc_lo, 32, v3
	v_and_b32_e32 v61, 0xffff0000, v5
	v_add_co_ci_u32_e64 v5, null, s1, 0, s2
	v_lshlrev_b32_e32 v62, 2, v2
	v_cndmask_b32_e32 v3, v10, v3, vcc_lo
	v_cmp_eq_u32_e32 vcc_lo, 0, v1
	v_lshlrev_b32_e32 v1, 2, v7
	v_and_b32_e32 v2, 0x7c, v9
	v_lshlrev_b32_e32 v39, 16, v42
	v_lshlrev_b32_e32 v63, 2, v3
	v_add_co_u32 v3, s2, v4, v6
	v_add_co_ci_u32_e64 v4, null, 0, v5, s2
	s_lshl_b64 s[2:3], s[24:25], 2
	v_lshl_or_b32 v1, v21, 5, v1
	s_add_u32 s2, s22, s2
	s_addc_u32 s3, s23, s3
	v_add_co_u32 v5, s2, s2, v2
	v_and_b32_e32 v40, 0xffff0000, v42
	v_lshlrev_b32_e32 v41, 16, v43
	v_and_b32_e32 v42, 0xffff0000, v43
	v_lshlrev_b32_e32 v43, 16, v44
	;; [unrolled: 2-line block ×6, first 2 shown]
	v_and_b32_e32 v52, 0xffff0000, v52
	v_cmp_neq_f32_e64 s1, s28, 0
	v_add_nc_u32_e32 v65, 0x1a0, v1
	v_add_co_ci_u32_e64 v6, null, s3, 0, s2
	v_mov_b32_e32 v2, 0
	s_branch .LBB320_9
.LBB320_8:                              ;   in Loop: Header=BB320_9 Depth=1
	s_or_b32 exec_lo, exec_lo, s3
	v_add_nc_u32_e32 v68, 4, v68
	v_add_co_u32 v5, s3, v5, 16
	v_add_nc_u32_e32 v64, 32, v64
	v_add_nc_u32_e32 v65, 0x80, v65
	v_cmp_le_i32_e64 s2, s12, v68
	v_add_co_ci_u32_e64 v6, null, 0, v6, s3
	s_or_b32 s16, s2, s16
	s_andn2_b32 exec_lo, exec_lo, s16
	s_cbranch_execz .LBB320_395
.LBB320_9:                              ; =>This Inner Loop Header: Depth=1
	global_load_dword v1, v[5:6], off
	v_mov_b32_e32 v69, 0
	s_waitcnt vmcnt(0) lgkmcnt(0)
	v_mad_i64_i32 v[7:8], null, v1, s17, v[3:4]
	global_load_ushort v1, v[7:8], off
	s_waitcnt vmcnt(0)
	v_and_b32_e32 v71, 0xffff, v1
	v_cmp_ne_u16_sdwa s2, v1, v2 src0_sel:BYTE_0 src1_sel:DWORD
	s_and_saveexec_b32 s3, s2
	s_cbranch_execz .LBB320_17
; %bb.10:                               ;   in Loop: Header=BB320_9 Depth=1
	v_cmp_ne_u16_sdwa s2, v71, v66 src0_sel:BYTE_0 src1_sel:DWORD
	v_bfrev_b32_e32 v69, 1
	s_and_saveexec_b32 s30, s2
	s_cbranch_execz .LBB320_16
; %bb.11:                               ;   in Loop: Header=BB320_9 Depth=1
	v_and_b32_e32 v70, 0x7f, v71
	v_mov_b32_e32 v69, 0x7f800001
	s_mov_b32 s31, exec_lo
	v_cmpx_ne_u32_e32 0x7f, v70
	s_cbranch_execz .LBB320_15
; %bb.12:                               ;   in Loop: Header=BB320_9 Depth=1
	v_and_b32_e32 v1, 7, v71
	v_lshrrev_b32_e32 v69, 3, v70
	s_mov_b32 s33, exec_lo
	v_cmpx_gt_u32_e32 8, v70
; %bb.13:                               ;   in Loop: Header=BB320_9 Depth=1
	v_ffbh_u32_e32 v69, v1
	v_min_u32_e32 v69, 32, v69
	v_subrev_nc_u32_e32 v70, 28, v69
	v_sub_nc_u32_e32 v69, 29, v69
	v_lshlrev_b64 v[72:73], v70, v[1:2]
	v_and_b32_e32 v1, 7, v72
; %bb.14:                               ;   in Loop: Header=BB320_9 Depth=1
	s_or_b32 exec_lo, exec_lo, s33
	v_lshlrev_b32_e32 v70, 24, v71
	v_lshlrev_b32_e32 v1, 20, v1
	v_lshl_add_u32 v69, v69, 23, 0x3c000000
	v_and_b32_e32 v70, 0x80000000, v70
	v_or3_b32 v69, v1, v70, v69
.LBB320_15:                             ;   in Loop: Header=BB320_9 Depth=1
	s_or_b32 exec_lo, exec_lo, s31
.LBB320_16:                             ;   in Loop: Header=BB320_9 Depth=1
	s_or_b32 exec_lo, exec_lo, s30
.LBB320_17:                             ;   in Loop: Header=BB320_9 Depth=1
	s_or_b32 exec_lo, exec_lo, s3
	v_cmp_ne_u16_sdwa s2, v71, v2 src0_sel:BYTE_1 src1_sel:DWORD
	v_mov_b32_e32 v70, 0
	s_and_saveexec_b32 s3, s2
	s_cbranch_execz .LBB320_25
; %bb.18:                               ;   in Loop: Header=BB320_9 Depth=1
	v_cmp_ne_u16_sdwa s2, v71, v66 src0_sel:BYTE_1 src1_sel:DWORD
	v_bfrev_b32_e32 v70, 1
	s_and_saveexec_b32 s30, s2
	s_cbranch_execz .LBB320_24
; %bb.19:                               ;   in Loop: Header=BB320_9 Depth=1
	v_and_b32_sdwa v1, v67, v71 dst_sel:DWORD dst_unused:UNUSED_PAD src0_sel:DWORD src1_sel:BYTE_1
	v_mov_b32_e32 v70, 0x7f800001
	s_mov_b32 s31, exec_lo
	v_and_b32_e32 v72, 0x7f, v1
	v_cmpx_ne_u32_e32 0x7f, v72
	s_cbranch_execz .LBB320_23
; %bb.20:                               ;   in Loop: Header=BB320_9 Depth=1
	v_and_b32_e32 v1, 7, v1
	v_lshrrev_b32_e32 v70, 3, v72
	s_mov_b32 s33, exec_lo
	v_cmpx_gt_u32_e32 8, v72
; %bb.21:                               ;   in Loop: Header=BB320_9 Depth=1
	v_ffbh_u32_e32 v70, v1
	v_min_u32_e32 v70, 32, v70
	v_subrev_nc_u32_e32 v72, 28, v70
	v_sub_nc_u32_e32 v70, 29, v70
	v_lshlrev_b64 v[72:73], v72, v[1:2]
	v_and_b32_e32 v1, 7, v72
; %bb.22:                               ;   in Loop: Header=BB320_9 Depth=1
	s_or_b32 exec_lo, exec_lo, s33
	v_lshlrev_b32_e32 v71, 16, v71
	v_lshlrev_b32_e32 v1, 20, v1
	v_lshl_add_u32 v70, v70, 23, 0x3c000000
	v_and_b32_e32 v71, 0x80000000, v71
	v_or3_b32 v70, v1, v71, v70
.LBB320_23:                             ;   in Loop: Header=BB320_9 Depth=1
	s_or_b32 exec_lo, exec_lo, s31
.LBB320_24:                             ;   in Loop: Header=BB320_9 Depth=1
	s_or_b32 exec_lo, exec_lo, s30
.LBB320_25:                             ;   in Loop: Header=BB320_9 Depth=1
	s_or_b32 exec_lo, exec_lo, s3
	global_load_ushort v1, v[7:8], off offset:8
	v_mov_b32_e32 v72, 0
	v_mov_b32_e32 v71, 0
	s_waitcnt vmcnt(0)
	v_and_b32_e32 v73, 0xffff, v1
	v_cmp_ne_u16_sdwa s2, v1, v2 src0_sel:BYTE_0 src1_sel:DWORD
	s_and_saveexec_b32 s3, s2
	s_cbranch_execz .LBB320_33
; %bb.26:                               ;   in Loop: Header=BB320_9 Depth=1
	v_cmp_ne_u16_sdwa s2, v73, v66 src0_sel:BYTE_0 src1_sel:DWORD
	v_bfrev_b32_e32 v71, 1
	s_and_saveexec_b32 s30, s2
	s_cbranch_execz .LBB320_32
; %bb.27:                               ;   in Loop: Header=BB320_9 Depth=1
	v_and_b32_e32 v74, 0x7f, v73
	v_mov_b32_e32 v71, 0x7f800001
	s_mov_b32 s31, exec_lo
	v_cmpx_ne_u32_e32 0x7f, v74
	s_cbranch_execz .LBB320_31
; %bb.28:                               ;   in Loop: Header=BB320_9 Depth=1
	v_and_b32_e32 v1, 7, v73
	v_lshrrev_b32_e32 v71, 3, v74
	s_mov_b32 s33, exec_lo
	v_cmpx_gt_u32_e32 8, v74
; %bb.29:                               ;   in Loop: Header=BB320_9 Depth=1
	v_ffbh_u32_e32 v71, v1
	v_min_u32_e32 v71, 32, v71
	v_subrev_nc_u32_e32 v74, 28, v71
	v_sub_nc_u32_e32 v71, 29, v71
	v_lshlrev_b64 v[74:75], v74, v[1:2]
	v_and_b32_e32 v1, 7, v74
; %bb.30:                               ;   in Loop: Header=BB320_9 Depth=1
	s_or_b32 exec_lo, exec_lo, s33
	v_lshlrev_b32_e32 v74, 24, v73
	v_lshlrev_b32_e32 v1, 20, v1
	v_lshl_add_u32 v71, v71, 23, 0x3c000000
	v_and_b32_e32 v74, 0x80000000, v74
	v_or3_b32 v71, v1, v74, v71
.LBB320_31:                             ;   in Loop: Header=BB320_9 Depth=1
	s_or_b32 exec_lo, exec_lo, s31
.LBB320_32:                             ;   in Loop: Header=BB320_9 Depth=1
	s_or_b32 exec_lo, exec_lo, s30
.LBB320_33:                             ;   in Loop: Header=BB320_9 Depth=1
	s_or_b32 exec_lo, exec_lo, s3
	v_cmp_ne_u16_sdwa s2, v73, v2 src0_sel:BYTE_1 src1_sel:DWORD
	s_and_saveexec_b32 s3, s2
	s_cbranch_execz .LBB320_41
; %bb.34:                               ;   in Loop: Header=BB320_9 Depth=1
	v_cmp_ne_u16_sdwa s2, v73, v66 src0_sel:BYTE_1 src1_sel:DWORD
	v_bfrev_b32_e32 v72, 1
	s_and_saveexec_b32 s30, s2
	s_cbranch_execz .LBB320_40
; %bb.35:                               ;   in Loop: Header=BB320_9 Depth=1
	v_and_b32_sdwa v1, v67, v73 dst_sel:DWORD dst_unused:UNUSED_PAD src0_sel:DWORD src1_sel:BYTE_1
	v_mov_b32_e32 v72, 0x7f800001
	s_mov_b32 s31, exec_lo
	v_and_b32_e32 v74, 0x7f, v1
	v_cmpx_ne_u32_e32 0x7f, v74
	s_cbranch_execz .LBB320_39
; %bb.36:                               ;   in Loop: Header=BB320_9 Depth=1
	v_and_b32_e32 v1, 7, v1
	v_lshrrev_b32_e32 v72, 3, v74
	s_mov_b32 s33, exec_lo
	v_cmpx_gt_u32_e32 8, v74
; %bb.37:                               ;   in Loop: Header=BB320_9 Depth=1
	v_ffbh_u32_e32 v72, v1
	v_min_u32_e32 v72, 32, v72
	v_subrev_nc_u32_e32 v74, 28, v72
	v_sub_nc_u32_e32 v72, 29, v72
	v_lshlrev_b64 v[74:75], v74, v[1:2]
	v_and_b32_e32 v1, 7, v74
; %bb.38:                               ;   in Loop: Header=BB320_9 Depth=1
	s_or_b32 exec_lo, exec_lo, s33
	v_lshlrev_b32_e32 v73, 16, v73
	v_lshlrev_b32_e32 v1, 20, v1
	v_lshl_add_u32 v72, v72, 23, 0x3c000000
	v_and_b32_e32 v73, 0x80000000, v73
	v_or3_b32 v72, v1, v73, v72
.LBB320_39:                             ;   in Loop: Header=BB320_9 Depth=1
	s_or_b32 exec_lo, exec_lo, s31
.LBB320_40:                             ;   in Loop: Header=BB320_9 Depth=1
	s_or_b32 exec_lo, exec_lo, s30
.LBB320_41:                             ;   in Loop: Header=BB320_9 Depth=1
	s_or_b32 exec_lo, exec_lo, s3
	global_load_ushort v1, v[7:8], off offset:128
	v_mov_b32_e32 v74, 0
	v_mov_b32_e32 v73, 0
	s_waitcnt vmcnt(0)
	v_and_b32_e32 v75, 0xffff, v1
	v_cmp_ne_u16_sdwa s2, v1, v2 src0_sel:BYTE_0 src1_sel:DWORD
	s_and_saveexec_b32 s3, s2
	s_cbranch_execz .LBB320_49
; %bb.42:                               ;   in Loop: Header=BB320_9 Depth=1
	v_cmp_ne_u16_sdwa s2, v75, v66 src0_sel:BYTE_0 src1_sel:DWORD
	v_bfrev_b32_e32 v73, 1
	s_and_saveexec_b32 s30, s2
	s_cbranch_execz .LBB320_48
; %bb.43:                               ;   in Loop: Header=BB320_9 Depth=1
	v_and_b32_e32 v76, 0x7f, v75
	v_mov_b32_e32 v73, 0x7f800001
	s_mov_b32 s31, exec_lo
	v_cmpx_ne_u32_e32 0x7f, v76
	s_cbranch_execz .LBB320_47
; %bb.44:                               ;   in Loop: Header=BB320_9 Depth=1
	v_and_b32_e32 v1, 7, v75
	v_lshrrev_b32_e32 v73, 3, v76
	s_mov_b32 s33, exec_lo
	v_cmpx_gt_u32_e32 8, v76
; %bb.45:                               ;   in Loop: Header=BB320_9 Depth=1
	v_ffbh_u32_e32 v73, v1
	v_min_u32_e32 v73, 32, v73
	v_subrev_nc_u32_e32 v76, 28, v73
	v_sub_nc_u32_e32 v73, 29, v73
	v_lshlrev_b64 v[76:77], v76, v[1:2]
	v_and_b32_e32 v1, 7, v76
; %bb.46:                               ;   in Loop: Header=BB320_9 Depth=1
	s_or_b32 exec_lo, exec_lo, s33
	v_lshlrev_b32_e32 v76, 24, v75
	v_lshlrev_b32_e32 v1, 20, v1
	v_lshl_add_u32 v73, v73, 23, 0x3c000000
	v_and_b32_e32 v76, 0x80000000, v76
	v_or3_b32 v73, v1, v76, v73
.LBB320_47:                             ;   in Loop: Header=BB320_9 Depth=1
	s_or_b32 exec_lo, exec_lo, s31
.LBB320_48:                             ;   in Loop: Header=BB320_9 Depth=1
	s_or_b32 exec_lo, exec_lo, s30
.LBB320_49:                             ;   in Loop: Header=BB320_9 Depth=1
	s_or_b32 exec_lo, exec_lo, s3
	v_cmp_ne_u16_sdwa s2, v75, v2 src0_sel:BYTE_1 src1_sel:DWORD
	s_and_saveexec_b32 s3, s2
	s_cbranch_execz .LBB320_57
; %bb.50:                               ;   in Loop: Header=BB320_9 Depth=1
	v_cmp_ne_u16_sdwa s2, v75, v66 src0_sel:BYTE_1 src1_sel:DWORD
	v_bfrev_b32_e32 v74, 1
	s_and_saveexec_b32 s30, s2
	s_cbranch_execz .LBB320_56
; %bb.51:                               ;   in Loop: Header=BB320_9 Depth=1
	v_and_b32_sdwa v1, v67, v75 dst_sel:DWORD dst_unused:UNUSED_PAD src0_sel:DWORD src1_sel:BYTE_1
	v_mov_b32_e32 v74, 0x7f800001
	s_mov_b32 s31, exec_lo
	v_and_b32_e32 v76, 0x7f, v1
	v_cmpx_ne_u32_e32 0x7f, v76
	s_cbranch_execz .LBB320_55
; %bb.52:                               ;   in Loop: Header=BB320_9 Depth=1
	v_and_b32_e32 v1, 7, v1
	v_lshrrev_b32_e32 v74, 3, v76
	s_mov_b32 s33, exec_lo
	v_cmpx_gt_u32_e32 8, v76
; %bb.53:                               ;   in Loop: Header=BB320_9 Depth=1
	v_ffbh_u32_e32 v74, v1
	v_min_u32_e32 v74, 32, v74
	v_subrev_nc_u32_e32 v76, 28, v74
	v_sub_nc_u32_e32 v74, 29, v74
	v_lshlrev_b64 v[76:77], v76, v[1:2]
	v_and_b32_e32 v1, 7, v76
; %bb.54:                               ;   in Loop: Header=BB320_9 Depth=1
	s_or_b32 exec_lo, exec_lo, s33
	v_lshlrev_b32_e32 v75, 16, v75
	v_lshlrev_b32_e32 v1, 20, v1
	v_lshl_add_u32 v74, v74, 23, 0x3c000000
	v_and_b32_e32 v75, 0x80000000, v75
	v_or3_b32 v74, v1, v75, v74
.LBB320_55:                             ;   in Loop: Header=BB320_9 Depth=1
	s_or_b32 exec_lo, exec_lo, s31
.LBB320_56:                             ;   in Loop: Header=BB320_9 Depth=1
	s_or_b32 exec_lo, exec_lo, s30
.LBB320_57:                             ;   in Loop: Header=BB320_9 Depth=1
	s_or_b32 exec_lo, exec_lo, s3
	global_load_ushort v1, v[7:8], off offset:136
	v_mov_b32_e32 v76, 0
	v_mov_b32_e32 v75, 0
	s_waitcnt vmcnt(0)
	v_and_b32_e32 v77, 0xffff, v1
	v_cmp_ne_u16_sdwa s2, v1, v2 src0_sel:BYTE_0 src1_sel:DWORD
	s_and_saveexec_b32 s3, s2
	s_cbranch_execz .LBB320_65
; %bb.58:                               ;   in Loop: Header=BB320_9 Depth=1
	v_cmp_ne_u16_sdwa s2, v77, v66 src0_sel:BYTE_0 src1_sel:DWORD
	v_bfrev_b32_e32 v75, 1
	s_and_saveexec_b32 s30, s2
	s_cbranch_execz .LBB320_64
; %bb.59:                               ;   in Loop: Header=BB320_9 Depth=1
	v_and_b32_e32 v78, 0x7f, v77
	v_mov_b32_e32 v75, 0x7f800001
	s_mov_b32 s31, exec_lo
	v_cmpx_ne_u32_e32 0x7f, v78
	s_cbranch_execz .LBB320_63
; %bb.60:                               ;   in Loop: Header=BB320_9 Depth=1
	v_and_b32_e32 v1, 7, v77
	v_lshrrev_b32_e32 v75, 3, v78
	s_mov_b32 s33, exec_lo
	v_cmpx_gt_u32_e32 8, v78
; %bb.61:                               ;   in Loop: Header=BB320_9 Depth=1
	v_ffbh_u32_e32 v75, v1
	v_min_u32_e32 v75, 32, v75
	v_subrev_nc_u32_e32 v78, 28, v75
	v_sub_nc_u32_e32 v75, 29, v75
	v_lshlrev_b64 v[78:79], v78, v[1:2]
	v_and_b32_e32 v1, 7, v78
; %bb.62:                               ;   in Loop: Header=BB320_9 Depth=1
	s_or_b32 exec_lo, exec_lo, s33
	v_lshlrev_b32_e32 v78, 24, v77
	v_lshlrev_b32_e32 v1, 20, v1
	v_lshl_add_u32 v75, v75, 23, 0x3c000000
	v_and_b32_e32 v78, 0x80000000, v78
	v_or3_b32 v75, v1, v78, v75
.LBB320_63:                             ;   in Loop: Header=BB320_9 Depth=1
	s_or_b32 exec_lo, exec_lo, s31
.LBB320_64:                             ;   in Loop: Header=BB320_9 Depth=1
	s_or_b32 exec_lo, exec_lo, s30
.LBB320_65:                             ;   in Loop: Header=BB320_9 Depth=1
	s_or_b32 exec_lo, exec_lo, s3
	v_cmp_ne_u16_sdwa s2, v77, v2 src0_sel:BYTE_1 src1_sel:DWORD
	s_and_saveexec_b32 s3, s2
	s_cbranch_execz .LBB320_73
; %bb.66:                               ;   in Loop: Header=BB320_9 Depth=1
	v_cmp_ne_u16_sdwa s2, v77, v66 src0_sel:BYTE_1 src1_sel:DWORD
	v_bfrev_b32_e32 v76, 1
	s_and_saveexec_b32 s30, s2
	s_cbranch_execz .LBB320_72
; %bb.67:                               ;   in Loop: Header=BB320_9 Depth=1
	v_and_b32_sdwa v1, v67, v77 dst_sel:DWORD dst_unused:UNUSED_PAD src0_sel:DWORD src1_sel:BYTE_1
	v_mov_b32_e32 v76, 0x7f800001
	s_mov_b32 s31, exec_lo
	v_and_b32_e32 v78, 0x7f, v1
	v_cmpx_ne_u32_e32 0x7f, v78
	s_cbranch_execz .LBB320_71
; %bb.68:                               ;   in Loop: Header=BB320_9 Depth=1
	v_and_b32_e32 v1, 7, v1
	v_lshrrev_b32_e32 v76, 3, v78
	s_mov_b32 s33, exec_lo
	v_cmpx_gt_u32_e32 8, v78
; %bb.69:                               ;   in Loop: Header=BB320_9 Depth=1
	v_ffbh_u32_e32 v76, v1
	v_min_u32_e32 v76, 32, v76
	v_subrev_nc_u32_e32 v78, 28, v76
	v_sub_nc_u32_e32 v76, 29, v76
	v_lshlrev_b64 v[78:79], v78, v[1:2]
	v_and_b32_e32 v1, 7, v78
; %bb.70:                               ;   in Loop: Header=BB320_9 Depth=1
	s_or_b32 exec_lo, exec_lo, s33
	v_lshlrev_b32_e32 v77, 16, v77
	v_lshlrev_b32_e32 v1, 20, v1
	v_lshl_add_u32 v76, v76, 23, 0x3c000000
	v_and_b32_e32 v77, 0x80000000, v77
	v_or3_b32 v76, v1, v77, v76
.LBB320_71:                             ;   in Loop: Header=BB320_9 Depth=1
	s_or_b32 exec_lo, exec_lo, s31
.LBB320_72:                             ;   in Loop: Header=BB320_9 Depth=1
	s_or_b32 exec_lo, exec_lo, s30
.LBB320_73:                             ;   in Loop: Header=BB320_9 Depth=1
	s_or_b32 exec_lo, exec_lo, s3
	global_load_ushort v1, v[7:8], off offset:256
	v_mov_b32_e32 v78, 0
	v_mov_b32_e32 v77, 0
	s_waitcnt vmcnt(0)
	v_and_b32_e32 v79, 0xffff, v1
	v_cmp_ne_u16_sdwa s2, v1, v2 src0_sel:BYTE_0 src1_sel:DWORD
	s_and_saveexec_b32 s3, s2
	s_cbranch_execz .LBB320_81
; %bb.74:                               ;   in Loop: Header=BB320_9 Depth=1
	v_cmp_ne_u16_sdwa s2, v79, v66 src0_sel:BYTE_0 src1_sel:DWORD
	v_bfrev_b32_e32 v77, 1
	s_and_saveexec_b32 s30, s2
	s_cbranch_execz .LBB320_80
; %bb.75:                               ;   in Loop: Header=BB320_9 Depth=1
	v_and_b32_e32 v80, 0x7f, v79
	v_mov_b32_e32 v77, 0x7f800001
	s_mov_b32 s31, exec_lo
	v_cmpx_ne_u32_e32 0x7f, v80
	s_cbranch_execz .LBB320_79
; %bb.76:                               ;   in Loop: Header=BB320_9 Depth=1
	v_and_b32_e32 v1, 7, v79
	v_lshrrev_b32_e32 v77, 3, v80
	s_mov_b32 s33, exec_lo
	v_cmpx_gt_u32_e32 8, v80
; %bb.77:                               ;   in Loop: Header=BB320_9 Depth=1
	v_ffbh_u32_e32 v77, v1
	v_min_u32_e32 v77, 32, v77
	v_subrev_nc_u32_e32 v80, 28, v77
	v_sub_nc_u32_e32 v77, 29, v77
	v_lshlrev_b64 v[80:81], v80, v[1:2]
	v_and_b32_e32 v1, 7, v80
; %bb.78:                               ;   in Loop: Header=BB320_9 Depth=1
	s_or_b32 exec_lo, exec_lo, s33
	v_lshlrev_b32_e32 v80, 24, v79
	v_lshlrev_b32_e32 v1, 20, v1
	v_lshl_add_u32 v77, v77, 23, 0x3c000000
	v_and_b32_e32 v80, 0x80000000, v80
	v_or3_b32 v77, v1, v80, v77
.LBB320_79:                             ;   in Loop: Header=BB320_9 Depth=1
	s_or_b32 exec_lo, exec_lo, s31
.LBB320_80:                             ;   in Loop: Header=BB320_9 Depth=1
	s_or_b32 exec_lo, exec_lo, s30
.LBB320_81:                             ;   in Loop: Header=BB320_9 Depth=1
	s_or_b32 exec_lo, exec_lo, s3
	v_cmp_ne_u16_sdwa s2, v79, v2 src0_sel:BYTE_1 src1_sel:DWORD
	s_and_saveexec_b32 s3, s2
	s_cbranch_execz .LBB320_89
; %bb.82:                               ;   in Loop: Header=BB320_9 Depth=1
	v_cmp_ne_u16_sdwa s2, v79, v66 src0_sel:BYTE_1 src1_sel:DWORD
	v_bfrev_b32_e32 v78, 1
	s_and_saveexec_b32 s30, s2
	s_cbranch_execz .LBB320_88
; %bb.83:                               ;   in Loop: Header=BB320_9 Depth=1
	v_and_b32_sdwa v1, v67, v79 dst_sel:DWORD dst_unused:UNUSED_PAD src0_sel:DWORD src1_sel:BYTE_1
	v_mov_b32_e32 v78, 0x7f800001
	s_mov_b32 s31, exec_lo
	v_and_b32_e32 v80, 0x7f, v1
	v_cmpx_ne_u32_e32 0x7f, v80
	s_cbranch_execz .LBB320_87
; %bb.84:                               ;   in Loop: Header=BB320_9 Depth=1
	v_and_b32_e32 v1, 7, v1
	v_lshrrev_b32_e32 v78, 3, v80
	s_mov_b32 s33, exec_lo
	v_cmpx_gt_u32_e32 8, v80
; %bb.85:                               ;   in Loop: Header=BB320_9 Depth=1
	v_ffbh_u32_e32 v78, v1
	v_min_u32_e32 v78, 32, v78
	v_subrev_nc_u32_e32 v80, 28, v78
	v_sub_nc_u32_e32 v78, 29, v78
	v_lshlrev_b64 v[80:81], v80, v[1:2]
	v_and_b32_e32 v1, 7, v80
; %bb.86:                               ;   in Loop: Header=BB320_9 Depth=1
	s_or_b32 exec_lo, exec_lo, s33
	v_lshlrev_b32_e32 v79, 16, v79
	v_lshlrev_b32_e32 v1, 20, v1
	v_lshl_add_u32 v78, v78, 23, 0x3c000000
	v_and_b32_e32 v79, 0x80000000, v79
	v_or3_b32 v78, v1, v79, v78
.LBB320_87:                             ;   in Loop: Header=BB320_9 Depth=1
	s_or_b32 exec_lo, exec_lo, s31
.LBB320_88:                             ;   in Loop: Header=BB320_9 Depth=1
	s_or_b32 exec_lo, exec_lo, s30
.LBB320_89:                             ;   in Loop: Header=BB320_9 Depth=1
	s_or_b32 exec_lo, exec_lo, s3
	global_load_ushort v1, v[7:8], off offset:264
	v_mov_b32_e32 v80, 0
	v_mov_b32_e32 v79, 0
	s_waitcnt vmcnt(0)
	v_and_b32_e32 v81, 0xffff, v1
	v_cmp_ne_u16_sdwa s2, v1, v2 src0_sel:BYTE_0 src1_sel:DWORD
	s_and_saveexec_b32 s3, s2
	s_cbranch_execz .LBB320_97
; %bb.90:                               ;   in Loop: Header=BB320_9 Depth=1
	v_cmp_ne_u16_sdwa s2, v81, v66 src0_sel:BYTE_0 src1_sel:DWORD
	v_bfrev_b32_e32 v79, 1
	s_and_saveexec_b32 s30, s2
	s_cbranch_execz .LBB320_96
; %bb.91:                               ;   in Loop: Header=BB320_9 Depth=1
	v_and_b32_e32 v82, 0x7f, v81
	v_mov_b32_e32 v79, 0x7f800001
	s_mov_b32 s31, exec_lo
	v_cmpx_ne_u32_e32 0x7f, v82
	s_cbranch_execz .LBB320_95
; %bb.92:                               ;   in Loop: Header=BB320_9 Depth=1
	v_and_b32_e32 v1, 7, v81
	v_lshrrev_b32_e32 v79, 3, v82
	s_mov_b32 s33, exec_lo
	v_cmpx_gt_u32_e32 8, v82
; %bb.93:                               ;   in Loop: Header=BB320_9 Depth=1
	v_ffbh_u32_e32 v79, v1
	v_min_u32_e32 v79, 32, v79
	v_subrev_nc_u32_e32 v82, 28, v79
	v_sub_nc_u32_e32 v79, 29, v79
	v_lshlrev_b64 v[82:83], v82, v[1:2]
	v_and_b32_e32 v1, 7, v82
; %bb.94:                               ;   in Loop: Header=BB320_9 Depth=1
	s_or_b32 exec_lo, exec_lo, s33
	v_lshlrev_b32_e32 v82, 24, v81
	v_lshlrev_b32_e32 v1, 20, v1
	v_lshl_add_u32 v79, v79, 23, 0x3c000000
	v_and_b32_e32 v82, 0x80000000, v82
	v_or3_b32 v79, v1, v82, v79
.LBB320_95:                             ;   in Loop: Header=BB320_9 Depth=1
	s_or_b32 exec_lo, exec_lo, s31
.LBB320_96:                             ;   in Loop: Header=BB320_9 Depth=1
	s_or_b32 exec_lo, exec_lo, s30
.LBB320_97:                             ;   in Loop: Header=BB320_9 Depth=1
	s_or_b32 exec_lo, exec_lo, s3
	v_cmp_ne_u16_sdwa s2, v81, v2 src0_sel:BYTE_1 src1_sel:DWORD
	s_and_saveexec_b32 s3, s2
	s_cbranch_execz .LBB320_105
; %bb.98:                               ;   in Loop: Header=BB320_9 Depth=1
	v_cmp_ne_u16_sdwa s2, v81, v66 src0_sel:BYTE_1 src1_sel:DWORD
	v_bfrev_b32_e32 v80, 1
	s_and_saveexec_b32 s30, s2
	s_cbranch_execz .LBB320_104
; %bb.99:                               ;   in Loop: Header=BB320_9 Depth=1
	v_and_b32_sdwa v1, v67, v81 dst_sel:DWORD dst_unused:UNUSED_PAD src0_sel:DWORD src1_sel:BYTE_1
	v_mov_b32_e32 v80, 0x7f800001
	s_mov_b32 s31, exec_lo
	v_and_b32_e32 v82, 0x7f, v1
	v_cmpx_ne_u32_e32 0x7f, v82
	s_cbranch_execz .LBB320_103
; %bb.100:                              ;   in Loop: Header=BB320_9 Depth=1
	v_and_b32_e32 v1, 7, v1
	v_lshrrev_b32_e32 v80, 3, v82
	s_mov_b32 s33, exec_lo
	v_cmpx_gt_u32_e32 8, v82
; %bb.101:                              ;   in Loop: Header=BB320_9 Depth=1
	v_ffbh_u32_e32 v80, v1
	v_min_u32_e32 v80, 32, v80
	v_subrev_nc_u32_e32 v82, 28, v80
	v_sub_nc_u32_e32 v80, 29, v80
	v_lshlrev_b64 v[82:83], v82, v[1:2]
	v_and_b32_e32 v1, 7, v82
; %bb.102:                              ;   in Loop: Header=BB320_9 Depth=1
	s_or_b32 exec_lo, exec_lo, s33
	v_lshlrev_b32_e32 v81, 16, v81
	v_lshlrev_b32_e32 v1, 20, v1
	v_lshl_add_u32 v80, v80, 23, 0x3c000000
	v_and_b32_e32 v81, 0x80000000, v81
	v_or3_b32 v80, v1, v81, v80
.LBB320_103:                            ;   in Loop: Header=BB320_9 Depth=1
	s_or_b32 exec_lo, exec_lo, s31
.LBB320_104:                            ;   in Loop: Header=BB320_9 Depth=1
	s_or_b32 exec_lo, exec_lo, s30
.LBB320_105:                            ;   in Loop: Header=BB320_9 Depth=1
	s_or_b32 exec_lo, exec_lo, s3
	global_load_ushort v1, v[7:8], off offset:384
	v_mov_b32_e32 v82, 0
	v_mov_b32_e32 v81, 0
	s_waitcnt vmcnt(0)
	v_and_b32_e32 v83, 0xffff, v1
	v_cmp_ne_u16_sdwa s2, v1, v2 src0_sel:BYTE_0 src1_sel:DWORD
	s_and_saveexec_b32 s3, s2
	s_cbranch_execz .LBB320_113
; %bb.106:                              ;   in Loop: Header=BB320_9 Depth=1
	v_cmp_ne_u16_sdwa s2, v83, v66 src0_sel:BYTE_0 src1_sel:DWORD
	v_bfrev_b32_e32 v81, 1
	s_and_saveexec_b32 s30, s2
	s_cbranch_execz .LBB320_112
; %bb.107:                              ;   in Loop: Header=BB320_9 Depth=1
	v_and_b32_e32 v84, 0x7f, v83
	v_mov_b32_e32 v81, 0x7f800001
	s_mov_b32 s31, exec_lo
	v_cmpx_ne_u32_e32 0x7f, v84
	s_cbranch_execz .LBB320_111
; %bb.108:                              ;   in Loop: Header=BB320_9 Depth=1
	v_and_b32_e32 v1, 7, v83
	v_lshrrev_b32_e32 v81, 3, v84
	s_mov_b32 s33, exec_lo
	v_cmpx_gt_u32_e32 8, v84
; %bb.109:                              ;   in Loop: Header=BB320_9 Depth=1
	v_ffbh_u32_e32 v81, v1
	v_min_u32_e32 v81, 32, v81
	v_subrev_nc_u32_e32 v84, 28, v81
	v_sub_nc_u32_e32 v81, 29, v81
	v_lshlrev_b64 v[84:85], v84, v[1:2]
	v_and_b32_e32 v1, 7, v84
; %bb.110:                              ;   in Loop: Header=BB320_9 Depth=1
	s_or_b32 exec_lo, exec_lo, s33
	v_lshlrev_b32_e32 v84, 24, v83
	v_lshlrev_b32_e32 v1, 20, v1
	v_lshl_add_u32 v81, v81, 23, 0x3c000000
	v_and_b32_e32 v84, 0x80000000, v84
	v_or3_b32 v81, v1, v84, v81
.LBB320_111:                            ;   in Loop: Header=BB320_9 Depth=1
	s_or_b32 exec_lo, exec_lo, s31
.LBB320_112:                            ;   in Loop: Header=BB320_9 Depth=1
	s_or_b32 exec_lo, exec_lo, s30
.LBB320_113:                            ;   in Loop: Header=BB320_9 Depth=1
	s_or_b32 exec_lo, exec_lo, s3
	v_cmp_ne_u16_sdwa s2, v83, v2 src0_sel:BYTE_1 src1_sel:DWORD
	s_and_saveexec_b32 s3, s2
	s_cbranch_execz .LBB320_121
; %bb.114:                              ;   in Loop: Header=BB320_9 Depth=1
	v_cmp_ne_u16_sdwa s2, v83, v66 src0_sel:BYTE_1 src1_sel:DWORD
	v_bfrev_b32_e32 v82, 1
	s_and_saveexec_b32 s30, s2
	s_cbranch_execz .LBB320_120
; %bb.115:                              ;   in Loop: Header=BB320_9 Depth=1
	v_and_b32_sdwa v1, v67, v83 dst_sel:DWORD dst_unused:UNUSED_PAD src0_sel:DWORD src1_sel:BYTE_1
	v_mov_b32_e32 v82, 0x7f800001
	s_mov_b32 s31, exec_lo
	v_and_b32_e32 v84, 0x7f, v1
	v_cmpx_ne_u32_e32 0x7f, v84
	s_cbranch_execz .LBB320_119
; %bb.116:                              ;   in Loop: Header=BB320_9 Depth=1
	v_and_b32_e32 v1, 7, v1
	v_lshrrev_b32_e32 v82, 3, v84
	s_mov_b32 s33, exec_lo
	v_cmpx_gt_u32_e32 8, v84
; %bb.117:                              ;   in Loop: Header=BB320_9 Depth=1
	v_ffbh_u32_e32 v82, v1
	v_min_u32_e32 v82, 32, v82
	v_subrev_nc_u32_e32 v84, 28, v82
	v_sub_nc_u32_e32 v82, 29, v82
	v_lshlrev_b64 v[84:85], v84, v[1:2]
	v_and_b32_e32 v1, 7, v84
; %bb.118:                              ;   in Loop: Header=BB320_9 Depth=1
	s_or_b32 exec_lo, exec_lo, s33
	v_lshlrev_b32_e32 v83, 16, v83
	v_lshlrev_b32_e32 v1, 20, v1
	v_lshl_add_u32 v82, v82, 23, 0x3c000000
	v_and_b32_e32 v83, 0x80000000, v83
	v_or3_b32 v82, v1, v83, v82
.LBB320_119:                            ;   in Loop: Header=BB320_9 Depth=1
	s_or_b32 exec_lo, exec_lo, s31
.LBB320_120:                            ;   in Loop: Header=BB320_9 Depth=1
	s_or_b32 exec_lo, exec_lo, s30
.LBB320_121:                            ;   in Loop: Header=BB320_9 Depth=1
	s_or_b32 exec_lo, exec_lo, s3
	global_load_ushort v1, v[7:8], off offset:392
	v_mov_b32_e32 v84, 0
	v_mov_b32_e32 v83, 0
	s_waitcnt vmcnt(0)
	v_and_b32_e32 v85, 0xffff, v1
	v_cmp_ne_u16_sdwa s2, v1, v2 src0_sel:BYTE_0 src1_sel:DWORD
	s_and_saveexec_b32 s3, s2
	s_cbranch_execz .LBB320_129
; %bb.122:                              ;   in Loop: Header=BB320_9 Depth=1
	v_cmp_ne_u16_sdwa s2, v85, v66 src0_sel:BYTE_0 src1_sel:DWORD
	v_bfrev_b32_e32 v83, 1
	s_and_saveexec_b32 s30, s2
	s_cbranch_execz .LBB320_128
; %bb.123:                              ;   in Loop: Header=BB320_9 Depth=1
	v_and_b32_e32 v86, 0x7f, v85
	v_mov_b32_e32 v83, 0x7f800001
	s_mov_b32 s31, exec_lo
	v_cmpx_ne_u32_e32 0x7f, v86
	s_cbranch_execz .LBB320_127
; %bb.124:                              ;   in Loop: Header=BB320_9 Depth=1
	v_and_b32_e32 v1, 7, v85
	v_lshrrev_b32_e32 v83, 3, v86
	s_mov_b32 s33, exec_lo
	v_cmpx_gt_u32_e32 8, v86
; %bb.125:                              ;   in Loop: Header=BB320_9 Depth=1
	v_ffbh_u32_e32 v83, v1
	v_min_u32_e32 v83, 32, v83
	v_subrev_nc_u32_e32 v86, 28, v83
	v_sub_nc_u32_e32 v83, 29, v83
	v_lshlrev_b64 v[86:87], v86, v[1:2]
	v_and_b32_e32 v1, 7, v86
; %bb.126:                              ;   in Loop: Header=BB320_9 Depth=1
	s_or_b32 exec_lo, exec_lo, s33
	v_lshlrev_b32_e32 v86, 24, v85
	v_lshlrev_b32_e32 v1, 20, v1
	v_lshl_add_u32 v83, v83, 23, 0x3c000000
	v_and_b32_e32 v86, 0x80000000, v86
	v_or3_b32 v83, v1, v86, v83
.LBB320_127:                            ;   in Loop: Header=BB320_9 Depth=1
	s_or_b32 exec_lo, exec_lo, s31
.LBB320_128:                            ;   in Loop: Header=BB320_9 Depth=1
	s_or_b32 exec_lo, exec_lo, s30
.LBB320_129:                            ;   in Loop: Header=BB320_9 Depth=1
	s_or_b32 exec_lo, exec_lo, s3
	v_cmp_ne_u16_sdwa s2, v85, v2 src0_sel:BYTE_1 src1_sel:DWORD
	s_and_saveexec_b32 s3, s2
	s_cbranch_execz .LBB320_137
; %bb.130:                              ;   in Loop: Header=BB320_9 Depth=1
	v_cmp_ne_u16_sdwa s2, v85, v66 src0_sel:BYTE_1 src1_sel:DWORD
	v_bfrev_b32_e32 v84, 1
	s_and_saveexec_b32 s30, s2
	s_cbranch_execz .LBB320_136
; %bb.131:                              ;   in Loop: Header=BB320_9 Depth=1
	v_and_b32_sdwa v1, v67, v85 dst_sel:DWORD dst_unused:UNUSED_PAD src0_sel:DWORD src1_sel:BYTE_1
	v_mov_b32_e32 v84, 0x7f800001
	s_mov_b32 s31, exec_lo
	v_and_b32_e32 v86, 0x7f, v1
	v_cmpx_ne_u32_e32 0x7f, v86
	s_cbranch_execz .LBB320_135
; %bb.132:                              ;   in Loop: Header=BB320_9 Depth=1
	v_and_b32_e32 v1, 7, v1
	v_lshrrev_b32_e32 v84, 3, v86
	s_mov_b32 s33, exec_lo
	v_cmpx_gt_u32_e32 8, v86
; %bb.133:                              ;   in Loop: Header=BB320_9 Depth=1
	v_ffbh_u32_e32 v84, v1
	v_min_u32_e32 v84, 32, v84
	v_subrev_nc_u32_e32 v86, 28, v84
	v_sub_nc_u32_e32 v84, 29, v84
	v_lshlrev_b64 v[86:87], v86, v[1:2]
	v_and_b32_e32 v1, 7, v86
; %bb.134:                              ;   in Loop: Header=BB320_9 Depth=1
	s_or_b32 exec_lo, exec_lo, s33
	v_lshlrev_b32_e32 v85, 16, v85
	v_lshlrev_b32_e32 v1, 20, v1
	v_lshl_add_u32 v84, v84, 23, 0x3c000000
	v_and_b32_e32 v85, 0x80000000, v85
	v_or3_b32 v84, v1, v85, v84
.LBB320_135:                            ;   in Loop: Header=BB320_9 Depth=1
	s_or_b32 exec_lo, exec_lo, s31
.LBB320_136:                            ;   in Loop: Header=BB320_9 Depth=1
	s_or_b32 exec_lo, exec_lo, s30
.LBB320_137:                            ;   in Loop: Header=BB320_9 Depth=1
	s_or_b32 exec_lo, exec_lo, s3
	global_load_ushort v1, v[7:8], off offset:512
	v_mov_b32_e32 v86, 0
	v_mov_b32_e32 v85, 0
	s_waitcnt vmcnt(0)
	v_and_b32_e32 v87, 0xffff, v1
	v_cmp_ne_u16_sdwa s2, v1, v2 src0_sel:BYTE_0 src1_sel:DWORD
	s_and_saveexec_b32 s3, s2
	s_cbranch_execz .LBB320_145
; %bb.138:                              ;   in Loop: Header=BB320_9 Depth=1
	v_cmp_ne_u16_sdwa s2, v87, v66 src0_sel:BYTE_0 src1_sel:DWORD
	v_bfrev_b32_e32 v85, 1
	s_and_saveexec_b32 s30, s2
	s_cbranch_execz .LBB320_144
; %bb.139:                              ;   in Loop: Header=BB320_9 Depth=1
	v_and_b32_e32 v88, 0x7f, v87
	v_mov_b32_e32 v85, 0x7f800001
	s_mov_b32 s31, exec_lo
	v_cmpx_ne_u32_e32 0x7f, v88
	s_cbranch_execz .LBB320_143
; %bb.140:                              ;   in Loop: Header=BB320_9 Depth=1
	v_and_b32_e32 v1, 7, v87
	v_lshrrev_b32_e32 v85, 3, v88
	s_mov_b32 s33, exec_lo
	v_cmpx_gt_u32_e32 8, v88
; %bb.141:                              ;   in Loop: Header=BB320_9 Depth=1
	v_ffbh_u32_e32 v85, v1
	v_min_u32_e32 v85, 32, v85
	v_subrev_nc_u32_e32 v88, 28, v85
	v_sub_nc_u32_e32 v85, 29, v85
	v_lshlrev_b64 v[88:89], v88, v[1:2]
	v_and_b32_e32 v1, 7, v88
; %bb.142:                              ;   in Loop: Header=BB320_9 Depth=1
	s_or_b32 exec_lo, exec_lo, s33
	v_lshlrev_b32_e32 v88, 24, v87
	v_lshlrev_b32_e32 v1, 20, v1
	v_lshl_add_u32 v85, v85, 23, 0x3c000000
	v_and_b32_e32 v88, 0x80000000, v88
	v_or3_b32 v85, v1, v88, v85
.LBB320_143:                            ;   in Loop: Header=BB320_9 Depth=1
	s_or_b32 exec_lo, exec_lo, s31
.LBB320_144:                            ;   in Loop: Header=BB320_9 Depth=1
	s_or_b32 exec_lo, exec_lo, s30
.LBB320_145:                            ;   in Loop: Header=BB320_9 Depth=1
	s_or_b32 exec_lo, exec_lo, s3
	v_cmp_ne_u16_sdwa s2, v87, v2 src0_sel:BYTE_1 src1_sel:DWORD
	s_and_saveexec_b32 s3, s2
	s_cbranch_execz .LBB320_153
; %bb.146:                              ;   in Loop: Header=BB320_9 Depth=1
	v_cmp_ne_u16_sdwa s2, v87, v66 src0_sel:BYTE_1 src1_sel:DWORD
	v_bfrev_b32_e32 v86, 1
	s_and_saveexec_b32 s30, s2
	s_cbranch_execz .LBB320_152
; %bb.147:                              ;   in Loop: Header=BB320_9 Depth=1
	v_and_b32_sdwa v1, v67, v87 dst_sel:DWORD dst_unused:UNUSED_PAD src0_sel:DWORD src1_sel:BYTE_1
	v_mov_b32_e32 v86, 0x7f800001
	s_mov_b32 s31, exec_lo
	v_and_b32_e32 v88, 0x7f, v1
	v_cmpx_ne_u32_e32 0x7f, v88
	s_cbranch_execz .LBB320_151
; %bb.148:                              ;   in Loop: Header=BB320_9 Depth=1
	v_and_b32_e32 v1, 7, v1
	v_lshrrev_b32_e32 v86, 3, v88
	s_mov_b32 s33, exec_lo
	v_cmpx_gt_u32_e32 8, v88
; %bb.149:                              ;   in Loop: Header=BB320_9 Depth=1
	v_ffbh_u32_e32 v86, v1
	v_min_u32_e32 v86, 32, v86
	v_subrev_nc_u32_e32 v88, 28, v86
	v_sub_nc_u32_e32 v86, 29, v86
	v_lshlrev_b64 v[88:89], v88, v[1:2]
	v_and_b32_e32 v1, 7, v88
; %bb.150:                              ;   in Loop: Header=BB320_9 Depth=1
	s_or_b32 exec_lo, exec_lo, s33
	v_lshlrev_b32_e32 v87, 16, v87
	v_lshlrev_b32_e32 v1, 20, v1
	v_lshl_add_u32 v86, v86, 23, 0x3c000000
	v_and_b32_e32 v87, 0x80000000, v87
	v_or3_b32 v86, v1, v87, v86
.LBB320_151:                            ;   in Loop: Header=BB320_9 Depth=1
	s_or_b32 exec_lo, exec_lo, s31
.LBB320_152:                            ;   in Loop: Header=BB320_9 Depth=1
	s_or_b32 exec_lo, exec_lo, s30
.LBB320_153:                            ;   in Loop: Header=BB320_9 Depth=1
	s_or_b32 exec_lo, exec_lo, s3
	global_load_ushort v1, v[7:8], off offset:520
	v_mov_b32_e32 v88, 0
	v_mov_b32_e32 v87, 0
	s_waitcnt vmcnt(0)
	v_and_b32_e32 v89, 0xffff, v1
	v_cmp_ne_u16_sdwa s2, v1, v2 src0_sel:BYTE_0 src1_sel:DWORD
	s_and_saveexec_b32 s3, s2
	s_cbranch_execz .LBB320_161
; %bb.154:                              ;   in Loop: Header=BB320_9 Depth=1
	v_cmp_ne_u16_sdwa s2, v89, v66 src0_sel:BYTE_0 src1_sel:DWORD
	v_bfrev_b32_e32 v87, 1
	s_and_saveexec_b32 s30, s2
	s_cbranch_execz .LBB320_160
; %bb.155:                              ;   in Loop: Header=BB320_9 Depth=1
	v_and_b32_e32 v90, 0x7f, v89
	v_mov_b32_e32 v87, 0x7f800001
	s_mov_b32 s31, exec_lo
	v_cmpx_ne_u32_e32 0x7f, v90
	s_cbranch_execz .LBB320_159
; %bb.156:                              ;   in Loop: Header=BB320_9 Depth=1
	v_and_b32_e32 v1, 7, v89
	v_lshrrev_b32_e32 v87, 3, v90
	s_mov_b32 s33, exec_lo
	v_cmpx_gt_u32_e32 8, v90
; %bb.157:                              ;   in Loop: Header=BB320_9 Depth=1
	v_ffbh_u32_e32 v87, v1
	v_min_u32_e32 v87, 32, v87
	v_subrev_nc_u32_e32 v90, 28, v87
	v_sub_nc_u32_e32 v87, 29, v87
	v_lshlrev_b64 v[90:91], v90, v[1:2]
	v_and_b32_e32 v1, 7, v90
; %bb.158:                              ;   in Loop: Header=BB320_9 Depth=1
	s_or_b32 exec_lo, exec_lo, s33
	v_lshlrev_b32_e32 v90, 24, v89
	v_lshlrev_b32_e32 v1, 20, v1
	v_lshl_add_u32 v87, v87, 23, 0x3c000000
	v_and_b32_e32 v90, 0x80000000, v90
	v_or3_b32 v87, v1, v90, v87
.LBB320_159:                            ;   in Loop: Header=BB320_9 Depth=1
	s_or_b32 exec_lo, exec_lo, s31
.LBB320_160:                            ;   in Loop: Header=BB320_9 Depth=1
	s_or_b32 exec_lo, exec_lo, s30
.LBB320_161:                            ;   in Loop: Header=BB320_9 Depth=1
	s_or_b32 exec_lo, exec_lo, s3
	v_cmp_ne_u16_sdwa s2, v89, v2 src0_sel:BYTE_1 src1_sel:DWORD
	s_and_saveexec_b32 s3, s2
	s_cbranch_execz .LBB320_169
; %bb.162:                              ;   in Loop: Header=BB320_9 Depth=1
	v_cmp_ne_u16_sdwa s2, v89, v66 src0_sel:BYTE_1 src1_sel:DWORD
	v_bfrev_b32_e32 v88, 1
	s_and_saveexec_b32 s30, s2
	s_cbranch_execz .LBB320_168
; %bb.163:                              ;   in Loop: Header=BB320_9 Depth=1
	v_and_b32_sdwa v1, v67, v89 dst_sel:DWORD dst_unused:UNUSED_PAD src0_sel:DWORD src1_sel:BYTE_1
	v_mov_b32_e32 v88, 0x7f800001
	s_mov_b32 s31, exec_lo
	v_and_b32_e32 v90, 0x7f, v1
	v_cmpx_ne_u32_e32 0x7f, v90
	s_cbranch_execz .LBB320_167
; %bb.164:                              ;   in Loop: Header=BB320_9 Depth=1
	v_and_b32_e32 v1, 7, v1
	v_lshrrev_b32_e32 v88, 3, v90
	s_mov_b32 s33, exec_lo
	v_cmpx_gt_u32_e32 8, v90
; %bb.165:                              ;   in Loop: Header=BB320_9 Depth=1
	v_ffbh_u32_e32 v88, v1
	v_min_u32_e32 v88, 32, v88
	v_subrev_nc_u32_e32 v90, 28, v88
	v_sub_nc_u32_e32 v88, 29, v88
	v_lshlrev_b64 v[90:91], v90, v[1:2]
	v_and_b32_e32 v1, 7, v90
; %bb.166:                              ;   in Loop: Header=BB320_9 Depth=1
	s_or_b32 exec_lo, exec_lo, s33
	v_lshlrev_b32_e32 v89, 16, v89
	v_lshlrev_b32_e32 v1, 20, v1
	v_lshl_add_u32 v88, v88, 23, 0x3c000000
	v_and_b32_e32 v89, 0x80000000, v89
	v_or3_b32 v88, v1, v89, v88
.LBB320_167:                            ;   in Loop: Header=BB320_9 Depth=1
	s_or_b32 exec_lo, exec_lo, s31
.LBB320_168:                            ;   in Loop: Header=BB320_9 Depth=1
	s_or_b32 exec_lo, exec_lo, s30
.LBB320_169:                            ;   in Loop: Header=BB320_9 Depth=1
	s_or_b32 exec_lo, exec_lo, s3
	global_load_ushort v1, v[7:8], off offset:640
	v_mov_b32_e32 v90, 0
	v_mov_b32_e32 v89, 0
	s_waitcnt vmcnt(0)
	v_and_b32_e32 v91, 0xffff, v1
	v_cmp_ne_u16_sdwa s2, v1, v2 src0_sel:BYTE_0 src1_sel:DWORD
	s_and_saveexec_b32 s3, s2
	s_cbranch_execz .LBB320_177
; %bb.170:                              ;   in Loop: Header=BB320_9 Depth=1
	v_cmp_ne_u16_sdwa s2, v91, v66 src0_sel:BYTE_0 src1_sel:DWORD
	v_bfrev_b32_e32 v89, 1
	s_and_saveexec_b32 s30, s2
	s_cbranch_execz .LBB320_176
; %bb.171:                              ;   in Loop: Header=BB320_9 Depth=1
	v_and_b32_e32 v92, 0x7f, v91
	v_mov_b32_e32 v89, 0x7f800001
	s_mov_b32 s31, exec_lo
	v_cmpx_ne_u32_e32 0x7f, v92
	s_cbranch_execz .LBB320_175
; %bb.172:                              ;   in Loop: Header=BB320_9 Depth=1
	v_and_b32_e32 v1, 7, v91
	v_lshrrev_b32_e32 v89, 3, v92
	s_mov_b32 s33, exec_lo
	v_cmpx_gt_u32_e32 8, v92
; %bb.173:                              ;   in Loop: Header=BB320_9 Depth=1
	v_ffbh_u32_e32 v89, v1
	v_min_u32_e32 v89, 32, v89
	v_subrev_nc_u32_e32 v92, 28, v89
	v_sub_nc_u32_e32 v89, 29, v89
	v_lshlrev_b64 v[92:93], v92, v[1:2]
	v_and_b32_e32 v1, 7, v92
; %bb.174:                              ;   in Loop: Header=BB320_9 Depth=1
	s_or_b32 exec_lo, exec_lo, s33
	v_lshlrev_b32_e32 v92, 24, v91
	v_lshlrev_b32_e32 v1, 20, v1
	v_lshl_add_u32 v89, v89, 23, 0x3c000000
	v_and_b32_e32 v92, 0x80000000, v92
	v_or3_b32 v89, v1, v92, v89
.LBB320_175:                            ;   in Loop: Header=BB320_9 Depth=1
	s_or_b32 exec_lo, exec_lo, s31
.LBB320_176:                            ;   in Loop: Header=BB320_9 Depth=1
	s_or_b32 exec_lo, exec_lo, s30
.LBB320_177:                            ;   in Loop: Header=BB320_9 Depth=1
	s_or_b32 exec_lo, exec_lo, s3
	v_cmp_ne_u16_sdwa s2, v91, v2 src0_sel:BYTE_1 src1_sel:DWORD
	s_and_saveexec_b32 s3, s2
	s_cbranch_execz .LBB320_185
; %bb.178:                              ;   in Loop: Header=BB320_9 Depth=1
	v_cmp_ne_u16_sdwa s2, v91, v66 src0_sel:BYTE_1 src1_sel:DWORD
	v_bfrev_b32_e32 v90, 1
	s_and_saveexec_b32 s30, s2
	s_cbranch_execz .LBB320_184
; %bb.179:                              ;   in Loop: Header=BB320_9 Depth=1
	v_and_b32_sdwa v1, v67, v91 dst_sel:DWORD dst_unused:UNUSED_PAD src0_sel:DWORD src1_sel:BYTE_1
	v_mov_b32_e32 v90, 0x7f800001
	s_mov_b32 s31, exec_lo
	v_and_b32_e32 v92, 0x7f, v1
	v_cmpx_ne_u32_e32 0x7f, v92
	s_cbranch_execz .LBB320_183
; %bb.180:                              ;   in Loop: Header=BB320_9 Depth=1
	v_and_b32_e32 v1, 7, v1
	v_lshrrev_b32_e32 v90, 3, v92
	s_mov_b32 s33, exec_lo
	v_cmpx_gt_u32_e32 8, v92
; %bb.181:                              ;   in Loop: Header=BB320_9 Depth=1
	v_ffbh_u32_e32 v90, v1
	v_min_u32_e32 v90, 32, v90
	v_subrev_nc_u32_e32 v92, 28, v90
	v_sub_nc_u32_e32 v90, 29, v90
	v_lshlrev_b64 v[92:93], v92, v[1:2]
	v_and_b32_e32 v1, 7, v92
; %bb.182:                              ;   in Loop: Header=BB320_9 Depth=1
	s_or_b32 exec_lo, exec_lo, s33
	v_lshlrev_b32_e32 v91, 16, v91
	v_lshlrev_b32_e32 v1, 20, v1
	v_lshl_add_u32 v90, v90, 23, 0x3c000000
	v_and_b32_e32 v91, 0x80000000, v91
	v_or3_b32 v90, v1, v91, v90
.LBB320_183:                            ;   in Loop: Header=BB320_9 Depth=1
	s_or_b32 exec_lo, exec_lo, s31
.LBB320_184:                            ;   in Loop: Header=BB320_9 Depth=1
	s_or_b32 exec_lo, exec_lo, s30
.LBB320_185:                            ;   in Loop: Header=BB320_9 Depth=1
	s_or_b32 exec_lo, exec_lo, s3
	global_load_ushort v1, v[7:8], off offset:648
	v_mov_b32_e32 v92, 0
	v_mov_b32_e32 v91, 0
	s_waitcnt vmcnt(0)
	v_and_b32_e32 v93, 0xffff, v1
	v_cmp_ne_u16_sdwa s2, v1, v2 src0_sel:BYTE_0 src1_sel:DWORD
	s_and_saveexec_b32 s3, s2
	s_cbranch_execz .LBB320_193
; %bb.186:                              ;   in Loop: Header=BB320_9 Depth=1
	v_cmp_ne_u16_sdwa s2, v93, v66 src0_sel:BYTE_0 src1_sel:DWORD
	v_bfrev_b32_e32 v91, 1
	s_and_saveexec_b32 s30, s2
	s_cbranch_execz .LBB320_192
; %bb.187:                              ;   in Loop: Header=BB320_9 Depth=1
	v_and_b32_e32 v94, 0x7f, v93
	v_mov_b32_e32 v91, 0x7f800001
	s_mov_b32 s31, exec_lo
	v_cmpx_ne_u32_e32 0x7f, v94
	s_cbranch_execz .LBB320_191
; %bb.188:                              ;   in Loop: Header=BB320_9 Depth=1
	v_and_b32_e32 v1, 7, v93
	v_lshrrev_b32_e32 v91, 3, v94
	s_mov_b32 s33, exec_lo
	v_cmpx_gt_u32_e32 8, v94
; %bb.189:                              ;   in Loop: Header=BB320_9 Depth=1
	v_ffbh_u32_e32 v91, v1
	v_min_u32_e32 v91, 32, v91
	v_subrev_nc_u32_e32 v94, 28, v91
	v_sub_nc_u32_e32 v91, 29, v91
	v_lshlrev_b64 v[94:95], v94, v[1:2]
	v_and_b32_e32 v1, 7, v94
; %bb.190:                              ;   in Loop: Header=BB320_9 Depth=1
	s_or_b32 exec_lo, exec_lo, s33
	v_lshlrev_b32_e32 v94, 24, v93
	v_lshlrev_b32_e32 v1, 20, v1
	v_lshl_add_u32 v91, v91, 23, 0x3c000000
	v_and_b32_e32 v94, 0x80000000, v94
	v_or3_b32 v91, v1, v94, v91
.LBB320_191:                            ;   in Loop: Header=BB320_9 Depth=1
	s_or_b32 exec_lo, exec_lo, s31
.LBB320_192:                            ;   in Loop: Header=BB320_9 Depth=1
	s_or_b32 exec_lo, exec_lo, s30
.LBB320_193:                            ;   in Loop: Header=BB320_9 Depth=1
	s_or_b32 exec_lo, exec_lo, s3
	v_cmp_ne_u16_sdwa s2, v93, v2 src0_sel:BYTE_1 src1_sel:DWORD
	s_and_saveexec_b32 s3, s2
	s_cbranch_execz .LBB320_201
; %bb.194:                              ;   in Loop: Header=BB320_9 Depth=1
	v_cmp_ne_u16_sdwa s2, v93, v66 src0_sel:BYTE_1 src1_sel:DWORD
	v_bfrev_b32_e32 v92, 1
	s_and_saveexec_b32 s30, s2
	s_cbranch_execz .LBB320_200
; %bb.195:                              ;   in Loop: Header=BB320_9 Depth=1
	v_and_b32_sdwa v1, v67, v93 dst_sel:DWORD dst_unused:UNUSED_PAD src0_sel:DWORD src1_sel:BYTE_1
	v_mov_b32_e32 v92, 0x7f800001
	s_mov_b32 s31, exec_lo
	v_and_b32_e32 v94, 0x7f, v1
	v_cmpx_ne_u32_e32 0x7f, v94
	s_cbranch_execz .LBB320_199
; %bb.196:                              ;   in Loop: Header=BB320_9 Depth=1
	v_and_b32_e32 v1, 7, v1
	v_lshrrev_b32_e32 v92, 3, v94
	s_mov_b32 s33, exec_lo
	v_cmpx_gt_u32_e32 8, v94
; %bb.197:                              ;   in Loop: Header=BB320_9 Depth=1
	v_ffbh_u32_e32 v92, v1
	v_min_u32_e32 v92, 32, v92
	v_subrev_nc_u32_e32 v94, 28, v92
	v_sub_nc_u32_e32 v92, 29, v92
	v_lshlrev_b64 v[94:95], v94, v[1:2]
	v_and_b32_e32 v1, 7, v94
; %bb.198:                              ;   in Loop: Header=BB320_9 Depth=1
	s_or_b32 exec_lo, exec_lo, s33
	v_lshlrev_b32_e32 v93, 16, v93
	v_lshlrev_b32_e32 v1, 20, v1
	v_lshl_add_u32 v92, v92, 23, 0x3c000000
	v_and_b32_e32 v93, 0x80000000, v93
	v_or3_b32 v92, v1, v93, v92
.LBB320_199:                            ;   in Loop: Header=BB320_9 Depth=1
	s_or_b32 exec_lo, exec_lo, s31
.LBB320_200:                            ;   in Loop: Header=BB320_9 Depth=1
	s_or_b32 exec_lo, exec_lo, s30
.LBB320_201:                            ;   in Loop: Header=BB320_9 Depth=1
	s_or_b32 exec_lo, exec_lo, s3
	global_load_ushort v1, v[7:8], off offset:768
	v_mov_b32_e32 v94, 0
	v_mov_b32_e32 v93, 0
	s_waitcnt vmcnt(0)
	v_and_b32_e32 v95, 0xffff, v1
	v_cmp_ne_u16_sdwa s2, v1, v2 src0_sel:BYTE_0 src1_sel:DWORD
	s_and_saveexec_b32 s3, s2
	s_cbranch_execz .LBB320_209
; %bb.202:                              ;   in Loop: Header=BB320_9 Depth=1
	v_cmp_ne_u16_sdwa s2, v95, v66 src0_sel:BYTE_0 src1_sel:DWORD
	v_bfrev_b32_e32 v93, 1
	s_and_saveexec_b32 s30, s2
	s_cbranch_execz .LBB320_208
; %bb.203:                              ;   in Loop: Header=BB320_9 Depth=1
	v_and_b32_e32 v96, 0x7f, v95
	v_mov_b32_e32 v93, 0x7f800001
	s_mov_b32 s31, exec_lo
	v_cmpx_ne_u32_e32 0x7f, v96
	s_cbranch_execz .LBB320_207
; %bb.204:                              ;   in Loop: Header=BB320_9 Depth=1
	v_and_b32_e32 v1, 7, v95
	v_lshrrev_b32_e32 v93, 3, v96
	s_mov_b32 s33, exec_lo
	v_cmpx_gt_u32_e32 8, v96
; %bb.205:                              ;   in Loop: Header=BB320_9 Depth=1
	v_ffbh_u32_e32 v93, v1
	v_min_u32_e32 v93, 32, v93
	v_subrev_nc_u32_e32 v96, 28, v93
	v_sub_nc_u32_e32 v93, 29, v93
	v_lshlrev_b64 v[96:97], v96, v[1:2]
	v_and_b32_e32 v1, 7, v96
; %bb.206:                              ;   in Loop: Header=BB320_9 Depth=1
	s_or_b32 exec_lo, exec_lo, s33
	v_lshlrev_b32_e32 v96, 24, v95
	v_lshlrev_b32_e32 v1, 20, v1
	v_lshl_add_u32 v93, v93, 23, 0x3c000000
	v_and_b32_e32 v96, 0x80000000, v96
	v_or3_b32 v93, v1, v96, v93
.LBB320_207:                            ;   in Loop: Header=BB320_9 Depth=1
	s_or_b32 exec_lo, exec_lo, s31
.LBB320_208:                            ;   in Loop: Header=BB320_9 Depth=1
	s_or_b32 exec_lo, exec_lo, s30
.LBB320_209:                            ;   in Loop: Header=BB320_9 Depth=1
	s_or_b32 exec_lo, exec_lo, s3
	v_cmp_ne_u16_sdwa s2, v95, v2 src0_sel:BYTE_1 src1_sel:DWORD
	s_and_saveexec_b32 s3, s2
	s_cbranch_execz .LBB320_217
; %bb.210:                              ;   in Loop: Header=BB320_9 Depth=1
	v_cmp_ne_u16_sdwa s2, v95, v66 src0_sel:BYTE_1 src1_sel:DWORD
	v_bfrev_b32_e32 v94, 1
	s_and_saveexec_b32 s30, s2
	s_cbranch_execz .LBB320_216
; %bb.211:                              ;   in Loop: Header=BB320_9 Depth=1
	v_and_b32_sdwa v1, v67, v95 dst_sel:DWORD dst_unused:UNUSED_PAD src0_sel:DWORD src1_sel:BYTE_1
	v_mov_b32_e32 v94, 0x7f800001
	s_mov_b32 s31, exec_lo
	v_and_b32_e32 v96, 0x7f, v1
	v_cmpx_ne_u32_e32 0x7f, v96
	s_cbranch_execz .LBB320_215
; %bb.212:                              ;   in Loop: Header=BB320_9 Depth=1
	v_and_b32_e32 v1, 7, v1
	v_lshrrev_b32_e32 v94, 3, v96
	s_mov_b32 s33, exec_lo
	v_cmpx_gt_u32_e32 8, v96
; %bb.213:                              ;   in Loop: Header=BB320_9 Depth=1
	v_ffbh_u32_e32 v94, v1
	v_min_u32_e32 v94, 32, v94
	v_subrev_nc_u32_e32 v96, 28, v94
	v_sub_nc_u32_e32 v94, 29, v94
	v_lshlrev_b64 v[96:97], v96, v[1:2]
	v_and_b32_e32 v1, 7, v96
; %bb.214:                              ;   in Loop: Header=BB320_9 Depth=1
	s_or_b32 exec_lo, exec_lo, s33
	v_lshlrev_b32_e32 v95, 16, v95
	v_lshlrev_b32_e32 v1, 20, v1
	v_lshl_add_u32 v94, v94, 23, 0x3c000000
	v_and_b32_e32 v95, 0x80000000, v95
	v_or3_b32 v94, v1, v95, v94
.LBB320_215:                            ;   in Loop: Header=BB320_9 Depth=1
	s_or_b32 exec_lo, exec_lo, s31
.LBB320_216:                            ;   in Loop: Header=BB320_9 Depth=1
	s_or_b32 exec_lo, exec_lo, s30
.LBB320_217:                            ;   in Loop: Header=BB320_9 Depth=1
	s_or_b32 exec_lo, exec_lo, s3
	global_load_ushort v1, v[7:8], off offset:776
	v_mov_b32_e32 v96, 0
	v_mov_b32_e32 v95, 0
	s_waitcnt vmcnt(0)
	v_and_b32_e32 v97, 0xffff, v1
	v_cmp_ne_u16_sdwa s2, v1, v2 src0_sel:BYTE_0 src1_sel:DWORD
	s_and_saveexec_b32 s3, s2
	s_cbranch_execz .LBB320_225
; %bb.218:                              ;   in Loop: Header=BB320_9 Depth=1
	v_cmp_ne_u16_sdwa s2, v97, v66 src0_sel:BYTE_0 src1_sel:DWORD
	v_bfrev_b32_e32 v95, 1
	s_and_saveexec_b32 s30, s2
	s_cbranch_execz .LBB320_224
; %bb.219:                              ;   in Loop: Header=BB320_9 Depth=1
	v_and_b32_e32 v98, 0x7f, v97
	v_mov_b32_e32 v95, 0x7f800001
	s_mov_b32 s31, exec_lo
	v_cmpx_ne_u32_e32 0x7f, v98
	s_cbranch_execz .LBB320_223
; %bb.220:                              ;   in Loop: Header=BB320_9 Depth=1
	v_and_b32_e32 v1, 7, v97
	v_lshrrev_b32_e32 v95, 3, v98
	s_mov_b32 s33, exec_lo
	v_cmpx_gt_u32_e32 8, v98
; %bb.221:                              ;   in Loop: Header=BB320_9 Depth=1
	v_ffbh_u32_e32 v95, v1
	v_min_u32_e32 v95, 32, v95
	v_subrev_nc_u32_e32 v98, 28, v95
	v_sub_nc_u32_e32 v95, 29, v95
	v_lshlrev_b64 v[98:99], v98, v[1:2]
	v_and_b32_e32 v1, 7, v98
; %bb.222:                              ;   in Loop: Header=BB320_9 Depth=1
	s_or_b32 exec_lo, exec_lo, s33
	v_lshlrev_b32_e32 v98, 24, v97
	v_lshlrev_b32_e32 v1, 20, v1
	v_lshl_add_u32 v95, v95, 23, 0x3c000000
	v_and_b32_e32 v98, 0x80000000, v98
	v_or3_b32 v95, v1, v98, v95
.LBB320_223:                            ;   in Loop: Header=BB320_9 Depth=1
	s_or_b32 exec_lo, exec_lo, s31
.LBB320_224:                            ;   in Loop: Header=BB320_9 Depth=1
	s_or_b32 exec_lo, exec_lo, s30
.LBB320_225:                            ;   in Loop: Header=BB320_9 Depth=1
	s_or_b32 exec_lo, exec_lo, s3
	v_cmp_ne_u16_sdwa s2, v97, v2 src0_sel:BYTE_1 src1_sel:DWORD
	s_and_saveexec_b32 s3, s2
	s_cbranch_execz .LBB320_233
; %bb.226:                              ;   in Loop: Header=BB320_9 Depth=1
	v_cmp_ne_u16_sdwa s2, v97, v66 src0_sel:BYTE_1 src1_sel:DWORD
	v_bfrev_b32_e32 v96, 1
	s_and_saveexec_b32 s30, s2
	s_cbranch_execz .LBB320_232
; %bb.227:                              ;   in Loop: Header=BB320_9 Depth=1
	v_and_b32_sdwa v1, v67, v97 dst_sel:DWORD dst_unused:UNUSED_PAD src0_sel:DWORD src1_sel:BYTE_1
	v_mov_b32_e32 v96, 0x7f800001
	s_mov_b32 s31, exec_lo
	v_and_b32_e32 v98, 0x7f, v1
	v_cmpx_ne_u32_e32 0x7f, v98
	s_cbranch_execz .LBB320_231
; %bb.228:                              ;   in Loop: Header=BB320_9 Depth=1
	v_and_b32_e32 v1, 7, v1
	v_lshrrev_b32_e32 v96, 3, v98
	s_mov_b32 s33, exec_lo
	v_cmpx_gt_u32_e32 8, v98
; %bb.229:                              ;   in Loop: Header=BB320_9 Depth=1
	v_ffbh_u32_e32 v96, v1
	v_min_u32_e32 v96, 32, v96
	v_subrev_nc_u32_e32 v98, 28, v96
	v_sub_nc_u32_e32 v96, 29, v96
	v_lshlrev_b64 v[98:99], v98, v[1:2]
	v_and_b32_e32 v1, 7, v98
; %bb.230:                              ;   in Loop: Header=BB320_9 Depth=1
	s_or_b32 exec_lo, exec_lo, s33
	v_lshlrev_b32_e32 v97, 16, v97
	v_lshlrev_b32_e32 v1, 20, v1
	v_lshl_add_u32 v96, v96, 23, 0x3c000000
	v_and_b32_e32 v97, 0x80000000, v97
	v_or3_b32 v96, v1, v97, v96
.LBB320_231:                            ;   in Loop: Header=BB320_9 Depth=1
	s_or_b32 exec_lo, exec_lo, s31
.LBB320_232:                            ;   in Loop: Header=BB320_9 Depth=1
	s_or_b32 exec_lo, exec_lo, s30
.LBB320_233:                            ;   in Loop: Header=BB320_9 Depth=1
	s_or_b32 exec_lo, exec_lo, s3
	global_load_ushort v1, v[7:8], off offset:896
	v_mov_b32_e32 v98, 0
	v_mov_b32_e32 v97, 0
	s_waitcnt vmcnt(0)
	v_and_b32_e32 v99, 0xffff, v1
	v_cmp_ne_u16_sdwa s2, v1, v2 src0_sel:BYTE_0 src1_sel:DWORD
	s_and_saveexec_b32 s3, s2
	s_cbranch_execz .LBB320_241
; %bb.234:                              ;   in Loop: Header=BB320_9 Depth=1
	v_cmp_ne_u16_sdwa s2, v99, v66 src0_sel:BYTE_0 src1_sel:DWORD
	v_bfrev_b32_e32 v97, 1
	s_and_saveexec_b32 s30, s2
	s_cbranch_execz .LBB320_240
; %bb.235:                              ;   in Loop: Header=BB320_9 Depth=1
	v_and_b32_e32 v100, 0x7f, v99
	v_mov_b32_e32 v97, 0x7f800001
	s_mov_b32 s31, exec_lo
	v_cmpx_ne_u32_e32 0x7f, v100
	s_cbranch_execz .LBB320_239
; %bb.236:                              ;   in Loop: Header=BB320_9 Depth=1
	v_and_b32_e32 v1, 7, v99
	v_lshrrev_b32_e32 v97, 3, v100
	s_mov_b32 s33, exec_lo
	v_cmpx_gt_u32_e32 8, v100
; %bb.237:                              ;   in Loop: Header=BB320_9 Depth=1
	v_ffbh_u32_e32 v97, v1
	v_min_u32_e32 v97, 32, v97
	v_subrev_nc_u32_e32 v100, 28, v97
	v_sub_nc_u32_e32 v97, 29, v97
	v_lshlrev_b64 v[100:101], v100, v[1:2]
	v_and_b32_e32 v1, 7, v100
; %bb.238:                              ;   in Loop: Header=BB320_9 Depth=1
	s_or_b32 exec_lo, exec_lo, s33
	v_lshlrev_b32_e32 v100, 24, v99
	v_lshlrev_b32_e32 v1, 20, v1
	v_lshl_add_u32 v97, v97, 23, 0x3c000000
	v_and_b32_e32 v100, 0x80000000, v100
	v_or3_b32 v97, v1, v100, v97
.LBB320_239:                            ;   in Loop: Header=BB320_9 Depth=1
	s_or_b32 exec_lo, exec_lo, s31
.LBB320_240:                            ;   in Loop: Header=BB320_9 Depth=1
	s_or_b32 exec_lo, exec_lo, s30
.LBB320_241:                            ;   in Loop: Header=BB320_9 Depth=1
	s_or_b32 exec_lo, exec_lo, s3
	v_cmp_ne_u16_sdwa s2, v99, v2 src0_sel:BYTE_1 src1_sel:DWORD
	s_and_saveexec_b32 s3, s2
	s_cbranch_execz .LBB320_249
; %bb.242:                              ;   in Loop: Header=BB320_9 Depth=1
	v_cmp_ne_u16_sdwa s2, v99, v66 src0_sel:BYTE_1 src1_sel:DWORD
	v_bfrev_b32_e32 v98, 1
	s_and_saveexec_b32 s30, s2
	s_cbranch_execz .LBB320_248
; %bb.243:                              ;   in Loop: Header=BB320_9 Depth=1
	v_and_b32_sdwa v1, v67, v99 dst_sel:DWORD dst_unused:UNUSED_PAD src0_sel:DWORD src1_sel:BYTE_1
	v_mov_b32_e32 v98, 0x7f800001
	s_mov_b32 s31, exec_lo
	v_and_b32_e32 v100, 0x7f, v1
	v_cmpx_ne_u32_e32 0x7f, v100
	s_cbranch_execz .LBB320_247
; %bb.244:                              ;   in Loop: Header=BB320_9 Depth=1
	v_and_b32_e32 v1, 7, v1
	v_lshrrev_b32_e32 v98, 3, v100
	s_mov_b32 s33, exec_lo
	v_cmpx_gt_u32_e32 8, v100
; %bb.245:                              ;   in Loop: Header=BB320_9 Depth=1
	v_ffbh_u32_e32 v98, v1
	v_min_u32_e32 v98, 32, v98
	v_subrev_nc_u32_e32 v100, 28, v98
	v_sub_nc_u32_e32 v98, 29, v98
	v_lshlrev_b64 v[100:101], v100, v[1:2]
	v_and_b32_e32 v1, 7, v100
; %bb.246:                              ;   in Loop: Header=BB320_9 Depth=1
	s_or_b32 exec_lo, exec_lo, s33
	v_lshlrev_b32_e32 v99, 16, v99
	v_lshlrev_b32_e32 v1, 20, v1
	v_lshl_add_u32 v98, v98, 23, 0x3c000000
	v_and_b32_e32 v99, 0x80000000, v99
	v_or3_b32 v98, v1, v99, v98
.LBB320_247:                            ;   in Loop: Header=BB320_9 Depth=1
	s_or_b32 exec_lo, exec_lo, s31
.LBB320_248:                            ;   in Loop: Header=BB320_9 Depth=1
	s_or_b32 exec_lo, exec_lo, s30
.LBB320_249:                            ;   in Loop: Header=BB320_9 Depth=1
	s_or_b32 exec_lo, exec_lo, s3
	global_load_ushort v1, v[7:8], off offset:904
	v_mov_b32_e32 v100, 0
	v_mov_b32_e32 v99, 0
	s_waitcnt vmcnt(0)
	v_and_b32_e32 v101, 0xffff, v1
	v_cmp_ne_u16_sdwa s2, v1, v2 src0_sel:BYTE_0 src1_sel:DWORD
	s_and_saveexec_b32 s3, s2
	s_cbranch_execz .LBB320_257
; %bb.250:                              ;   in Loop: Header=BB320_9 Depth=1
	v_cmp_ne_u16_sdwa s2, v101, v66 src0_sel:BYTE_0 src1_sel:DWORD
	v_bfrev_b32_e32 v99, 1
	s_and_saveexec_b32 s30, s2
	s_cbranch_execz .LBB320_256
; %bb.251:                              ;   in Loop: Header=BB320_9 Depth=1
	v_and_b32_e32 v102, 0x7f, v101
	v_mov_b32_e32 v99, 0x7f800001
	s_mov_b32 s31, exec_lo
	v_cmpx_ne_u32_e32 0x7f, v102
	s_cbranch_execz .LBB320_255
; %bb.252:                              ;   in Loop: Header=BB320_9 Depth=1
	v_and_b32_e32 v1, 7, v101
	v_lshrrev_b32_e32 v99, 3, v102
	s_mov_b32 s33, exec_lo
	v_cmpx_gt_u32_e32 8, v102
; %bb.253:                              ;   in Loop: Header=BB320_9 Depth=1
	v_ffbh_u32_e32 v99, v1
	v_min_u32_e32 v99, 32, v99
	v_subrev_nc_u32_e32 v102, 28, v99
	v_sub_nc_u32_e32 v99, 29, v99
	v_lshlrev_b64 v[102:103], v102, v[1:2]
	v_and_b32_e32 v1, 7, v102
; %bb.254:                              ;   in Loop: Header=BB320_9 Depth=1
	s_or_b32 exec_lo, exec_lo, s33
	v_lshlrev_b32_e32 v102, 24, v101
	v_lshlrev_b32_e32 v1, 20, v1
	v_lshl_add_u32 v99, v99, 23, 0x3c000000
	v_and_b32_e32 v102, 0x80000000, v102
	v_or3_b32 v99, v1, v102, v99
.LBB320_255:                            ;   in Loop: Header=BB320_9 Depth=1
	s_or_b32 exec_lo, exec_lo, s31
.LBB320_256:                            ;   in Loop: Header=BB320_9 Depth=1
	s_or_b32 exec_lo, exec_lo, s30
.LBB320_257:                            ;   in Loop: Header=BB320_9 Depth=1
	s_or_b32 exec_lo, exec_lo, s3
	v_cmp_ne_u16_sdwa s2, v101, v2 src0_sel:BYTE_1 src1_sel:DWORD
	s_and_saveexec_b32 s3, s2
	s_cbranch_execz .LBB320_265
; %bb.258:                              ;   in Loop: Header=BB320_9 Depth=1
	v_cmp_ne_u16_sdwa s2, v101, v66 src0_sel:BYTE_1 src1_sel:DWORD
	v_bfrev_b32_e32 v100, 1
	s_and_saveexec_b32 s30, s2
	s_cbranch_execz .LBB320_264
; %bb.259:                              ;   in Loop: Header=BB320_9 Depth=1
	v_and_b32_sdwa v1, v67, v101 dst_sel:DWORD dst_unused:UNUSED_PAD src0_sel:DWORD src1_sel:BYTE_1
	v_mov_b32_e32 v100, 0x7f800001
	s_mov_b32 s31, exec_lo
	v_and_b32_e32 v102, 0x7f, v1
	v_cmpx_ne_u32_e32 0x7f, v102
	s_cbranch_execz .LBB320_263
; %bb.260:                              ;   in Loop: Header=BB320_9 Depth=1
	v_and_b32_e32 v1, 7, v1
	v_lshrrev_b32_e32 v100, 3, v102
	s_mov_b32 s33, exec_lo
	v_cmpx_gt_u32_e32 8, v102
; %bb.261:                              ;   in Loop: Header=BB320_9 Depth=1
	v_ffbh_u32_e32 v100, v1
	v_min_u32_e32 v100, 32, v100
	v_subrev_nc_u32_e32 v102, 28, v100
	v_sub_nc_u32_e32 v100, 29, v100
	v_lshlrev_b64 v[102:103], v102, v[1:2]
	v_and_b32_e32 v1, 7, v102
; %bb.262:                              ;   in Loop: Header=BB320_9 Depth=1
	s_or_b32 exec_lo, exec_lo, s33
	v_lshlrev_b32_e32 v101, 16, v101
	v_lshlrev_b32_e32 v1, 20, v1
	v_lshl_add_u32 v100, v100, 23, 0x3c000000
	v_and_b32_e32 v101, 0x80000000, v101
	v_or3_b32 v100, v1, v101, v100
.LBB320_263:                            ;   in Loop: Header=BB320_9 Depth=1
	s_or_b32 exec_lo, exec_lo, s31
.LBB320_264:                            ;   in Loop: Header=BB320_9 Depth=1
	s_or_b32 exec_lo, exec_lo, s30
.LBB320_265:                            ;   in Loop: Header=BB320_9 Depth=1
	s_or_b32 exec_lo, exec_lo, s3
	global_load_ushort v1, v[7:8], off offset:1024
	v_mov_b32_e32 v102, 0
	v_mov_b32_e32 v101, 0
	s_waitcnt vmcnt(0)
	v_and_b32_e32 v103, 0xffff, v1
	v_cmp_ne_u16_sdwa s2, v1, v2 src0_sel:BYTE_0 src1_sel:DWORD
	s_and_saveexec_b32 s3, s2
	s_cbranch_execz .LBB320_273
; %bb.266:                              ;   in Loop: Header=BB320_9 Depth=1
	v_cmp_ne_u16_sdwa s2, v103, v66 src0_sel:BYTE_0 src1_sel:DWORD
	v_bfrev_b32_e32 v101, 1
	s_and_saveexec_b32 s30, s2
	s_cbranch_execz .LBB320_272
; %bb.267:                              ;   in Loop: Header=BB320_9 Depth=1
	v_and_b32_e32 v104, 0x7f, v103
	v_mov_b32_e32 v101, 0x7f800001
	s_mov_b32 s31, exec_lo
	v_cmpx_ne_u32_e32 0x7f, v104
	s_cbranch_execz .LBB320_271
; %bb.268:                              ;   in Loop: Header=BB320_9 Depth=1
	v_and_b32_e32 v1, 7, v103
	v_lshrrev_b32_e32 v101, 3, v104
	s_mov_b32 s33, exec_lo
	v_cmpx_gt_u32_e32 8, v104
; %bb.269:                              ;   in Loop: Header=BB320_9 Depth=1
	v_ffbh_u32_e32 v101, v1
	v_min_u32_e32 v101, 32, v101
	v_subrev_nc_u32_e32 v104, 28, v101
	v_sub_nc_u32_e32 v101, 29, v101
	v_lshlrev_b64 v[104:105], v104, v[1:2]
	v_and_b32_e32 v1, 7, v104
; %bb.270:                              ;   in Loop: Header=BB320_9 Depth=1
	s_or_b32 exec_lo, exec_lo, s33
	v_lshlrev_b32_e32 v104, 24, v103
	v_lshlrev_b32_e32 v1, 20, v1
	v_lshl_add_u32 v101, v101, 23, 0x3c000000
	v_and_b32_e32 v104, 0x80000000, v104
	v_or3_b32 v101, v1, v104, v101
.LBB320_271:                            ;   in Loop: Header=BB320_9 Depth=1
	s_or_b32 exec_lo, exec_lo, s31
.LBB320_272:                            ;   in Loop: Header=BB320_9 Depth=1
	s_or_b32 exec_lo, exec_lo, s30
.LBB320_273:                            ;   in Loop: Header=BB320_9 Depth=1
	s_or_b32 exec_lo, exec_lo, s3
	v_cmp_ne_u16_sdwa s2, v103, v2 src0_sel:BYTE_1 src1_sel:DWORD
	s_and_saveexec_b32 s3, s2
	s_cbranch_execz .LBB320_281
; %bb.274:                              ;   in Loop: Header=BB320_9 Depth=1
	v_cmp_ne_u16_sdwa s2, v103, v66 src0_sel:BYTE_1 src1_sel:DWORD
	v_bfrev_b32_e32 v102, 1
	s_and_saveexec_b32 s30, s2
	s_cbranch_execz .LBB320_280
; %bb.275:                              ;   in Loop: Header=BB320_9 Depth=1
	v_and_b32_sdwa v1, v67, v103 dst_sel:DWORD dst_unused:UNUSED_PAD src0_sel:DWORD src1_sel:BYTE_1
	v_mov_b32_e32 v102, 0x7f800001
	s_mov_b32 s31, exec_lo
	v_and_b32_e32 v104, 0x7f, v1
	v_cmpx_ne_u32_e32 0x7f, v104
	s_cbranch_execz .LBB320_279
; %bb.276:                              ;   in Loop: Header=BB320_9 Depth=1
	v_and_b32_e32 v1, 7, v1
	v_lshrrev_b32_e32 v102, 3, v104
	s_mov_b32 s33, exec_lo
	v_cmpx_gt_u32_e32 8, v104
; %bb.277:                              ;   in Loop: Header=BB320_9 Depth=1
	v_ffbh_u32_e32 v102, v1
	v_min_u32_e32 v102, 32, v102
	v_subrev_nc_u32_e32 v104, 28, v102
	v_sub_nc_u32_e32 v102, 29, v102
	v_lshlrev_b64 v[104:105], v104, v[1:2]
	v_and_b32_e32 v1, 7, v104
; %bb.278:                              ;   in Loop: Header=BB320_9 Depth=1
	s_or_b32 exec_lo, exec_lo, s33
	v_lshlrev_b32_e32 v103, 16, v103
	v_lshlrev_b32_e32 v1, 20, v1
	v_lshl_add_u32 v102, v102, 23, 0x3c000000
	v_and_b32_e32 v103, 0x80000000, v103
	v_or3_b32 v102, v1, v103, v102
.LBB320_279:                            ;   in Loop: Header=BB320_9 Depth=1
	s_or_b32 exec_lo, exec_lo, s31
.LBB320_280:                            ;   in Loop: Header=BB320_9 Depth=1
	s_or_b32 exec_lo, exec_lo, s30
.LBB320_281:                            ;   in Loop: Header=BB320_9 Depth=1
	s_or_b32 exec_lo, exec_lo, s3
	global_load_ushort v1, v[7:8], off offset:1032
	v_mov_b32_e32 v104, 0
	v_mov_b32_e32 v103, 0
	s_waitcnt vmcnt(0)
	v_and_b32_e32 v105, 0xffff, v1
	v_cmp_ne_u16_sdwa s2, v1, v2 src0_sel:BYTE_0 src1_sel:DWORD
	s_and_saveexec_b32 s3, s2
	s_cbranch_execz .LBB320_289
; %bb.282:                              ;   in Loop: Header=BB320_9 Depth=1
	v_cmp_ne_u16_sdwa s2, v105, v66 src0_sel:BYTE_0 src1_sel:DWORD
	v_bfrev_b32_e32 v103, 1
	s_and_saveexec_b32 s30, s2
	s_cbranch_execz .LBB320_288
; %bb.283:                              ;   in Loop: Header=BB320_9 Depth=1
	v_and_b32_e32 v106, 0x7f, v105
	v_mov_b32_e32 v103, 0x7f800001
	s_mov_b32 s31, exec_lo
	v_cmpx_ne_u32_e32 0x7f, v106
	s_cbranch_execz .LBB320_287
; %bb.284:                              ;   in Loop: Header=BB320_9 Depth=1
	v_and_b32_e32 v1, 7, v105
	v_lshrrev_b32_e32 v103, 3, v106
	s_mov_b32 s33, exec_lo
	v_cmpx_gt_u32_e32 8, v106
; %bb.285:                              ;   in Loop: Header=BB320_9 Depth=1
	v_ffbh_u32_e32 v103, v1
	v_min_u32_e32 v103, 32, v103
	v_subrev_nc_u32_e32 v106, 28, v103
	v_sub_nc_u32_e32 v103, 29, v103
	v_lshlrev_b64 v[106:107], v106, v[1:2]
	v_and_b32_e32 v1, 7, v106
; %bb.286:                              ;   in Loop: Header=BB320_9 Depth=1
	s_or_b32 exec_lo, exec_lo, s33
	v_lshlrev_b32_e32 v106, 24, v105
	v_lshlrev_b32_e32 v1, 20, v1
	v_lshl_add_u32 v103, v103, 23, 0x3c000000
	v_and_b32_e32 v106, 0x80000000, v106
	v_or3_b32 v103, v1, v106, v103
.LBB320_287:                            ;   in Loop: Header=BB320_9 Depth=1
	s_or_b32 exec_lo, exec_lo, s31
.LBB320_288:                            ;   in Loop: Header=BB320_9 Depth=1
	s_or_b32 exec_lo, exec_lo, s30
.LBB320_289:                            ;   in Loop: Header=BB320_9 Depth=1
	s_or_b32 exec_lo, exec_lo, s3
	v_cmp_ne_u16_sdwa s2, v105, v2 src0_sel:BYTE_1 src1_sel:DWORD
	s_and_saveexec_b32 s3, s2
	s_cbranch_execz .LBB320_297
; %bb.290:                              ;   in Loop: Header=BB320_9 Depth=1
	v_cmp_ne_u16_sdwa s2, v105, v66 src0_sel:BYTE_1 src1_sel:DWORD
	v_bfrev_b32_e32 v104, 1
	s_and_saveexec_b32 s30, s2
	s_cbranch_execz .LBB320_296
; %bb.291:                              ;   in Loop: Header=BB320_9 Depth=1
	v_and_b32_sdwa v1, v67, v105 dst_sel:DWORD dst_unused:UNUSED_PAD src0_sel:DWORD src1_sel:BYTE_1
	v_mov_b32_e32 v104, 0x7f800001
	s_mov_b32 s31, exec_lo
	v_and_b32_e32 v106, 0x7f, v1
	v_cmpx_ne_u32_e32 0x7f, v106
	s_cbranch_execz .LBB320_295
; %bb.292:                              ;   in Loop: Header=BB320_9 Depth=1
	v_and_b32_e32 v1, 7, v1
	v_lshrrev_b32_e32 v104, 3, v106
	s_mov_b32 s33, exec_lo
	v_cmpx_gt_u32_e32 8, v106
; %bb.293:                              ;   in Loop: Header=BB320_9 Depth=1
	v_ffbh_u32_e32 v104, v1
	v_min_u32_e32 v104, 32, v104
	v_subrev_nc_u32_e32 v106, 28, v104
	v_sub_nc_u32_e32 v104, 29, v104
	v_lshlrev_b64 v[106:107], v106, v[1:2]
	v_and_b32_e32 v1, 7, v106
; %bb.294:                              ;   in Loop: Header=BB320_9 Depth=1
	s_or_b32 exec_lo, exec_lo, s33
	v_lshlrev_b32_e32 v105, 16, v105
	v_lshlrev_b32_e32 v1, 20, v1
	v_lshl_add_u32 v104, v104, 23, 0x3c000000
	v_and_b32_e32 v105, 0x80000000, v105
	v_or3_b32 v104, v1, v105, v104
.LBB320_295:                            ;   in Loop: Header=BB320_9 Depth=1
	s_or_b32 exec_lo, exec_lo, s31
.LBB320_296:                            ;   in Loop: Header=BB320_9 Depth=1
	s_or_b32 exec_lo, exec_lo, s30
.LBB320_297:                            ;   in Loop: Header=BB320_9 Depth=1
	s_or_b32 exec_lo, exec_lo, s3
	global_load_ushort v1, v[7:8], off offset:1152
	v_mov_b32_e32 v106, 0
	v_mov_b32_e32 v105, 0
	s_waitcnt vmcnt(0)
	v_and_b32_e32 v107, 0xffff, v1
	v_cmp_ne_u16_sdwa s2, v1, v2 src0_sel:BYTE_0 src1_sel:DWORD
	s_and_saveexec_b32 s3, s2
	s_cbranch_execz .LBB320_305
; %bb.298:                              ;   in Loop: Header=BB320_9 Depth=1
	v_cmp_ne_u16_sdwa s2, v107, v66 src0_sel:BYTE_0 src1_sel:DWORD
	v_bfrev_b32_e32 v105, 1
	s_and_saveexec_b32 s30, s2
	s_cbranch_execz .LBB320_304
; %bb.299:                              ;   in Loop: Header=BB320_9 Depth=1
	v_and_b32_e32 v108, 0x7f, v107
	v_mov_b32_e32 v105, 0x7f800001
	s_mov_b32 s31, exec_lo
	v_cmpx_ne_u32_e32 0x7f, v108
	s_cbranch_execz .LBB320_303
; %bb.300:                              ;   in Loop: Header=BB320_9 Depth=1
	v_and_b32_e32 v1, 7, v107
	v_lshrrev_b32_e32 v105, 3, v108
	s_mov_b32 s33, exec_lo
	v_cmpx_gt_u32_e32 8, v108
; %bb.301:                              ;   in Loop: Header=BB320_9 Depth=1
	v_ffbh_u32_e32 v105, v1
	v_min_u32_e32 v105, 32, v105
	v_subrev_nc_u32_e32 v108, 28, v105
	v_sub_nc_u32_e32 v105, 29, v105
	v_lshlrev_b64 v[108:109], v108, v[1:2]
	v_and_b32_e32 v1, 7, v108
; %bb.302:                              ;   in Loop: Header=BB320_9 Depth=1
	s_or_b32 exec_lo, exec_lo, s33
	v_lshlrev_b32_e32 v108, 24, v107
	v_lshlrev_b32_e32 v1, 20, v1
	v_lshl_add_u32 v105, v105, 23, 0x3c000000
	v_and_b32_e32 v108, 0x80000000, v108
	v_or3_b32 v105, v1, v108, v105
.LBB320_303:                            ;   in Loop: Header=BB320_9 Depth=1
	s_or_b32 exec_lo, exec_lo, s31
.LBB320_304:                            ;   in Loop: Header=BB320_9 Depth=1
	s_or_b32 exec_lo, exec_lo, s30
.LBB320_305:                            ;   in Loop: Header=BB320_9 Depth=1
	s_or_b32 exec_lo, exec_lo, s3
	v_cmp_ne_u16_sdwa s2, v107, v2 src0_sel:BYTE_1 src1_sel:DWORD
	s_and_saveexec_b32 s3, s2
	s_cbranch_execz .LBB320_313
; %bb.306:                              ;   in Loop: Header=BB320_9 Depth=1
	v_cmp_ne_u16_sdwa s2, v107, v66 src0_sel:BYTE_1 src1_sel:DWORD
	v_bfrev_b32_e32 v106, 1
	s_and_saveexec_b32 s30, s2
	s_cbranch_execz .LBB320_312
; %bb.307:                              ;   in Loop: Header=BB320_9 Depth=1
	v_and_b32_sdwa v1, v67, v107 dst_sel:DWORD dst_unused:UNUSED_PAD src0_sel:DWORD src1_sel:BYTE_1
	v_mov_b32_e32 v106, 0x7f800001
	s_mov_b32 s31, exec_lo
	v_and_b32_e32 v108, 0x7f, v1
	v_cmpx_ne_u32_e32 0x7f, v108
	s_cbranch_execz .LBB320_311
; %bb.308:                              ;   in Loop: Header=BB320_9 Depth=1
	v_and_b32_e32 v1, 7, v1
	v_lshrrev_b32_e32 v106, 3, v108
	s_mov_b32 s33, exec_lo
	v_cmpx_gt_u32_e32 8, v108
; %bb.309:                              ;   in Loop: Header=BB320_9 Depth=1
	v_ffbh_u32_e32 v106, v1
	v_min_u32_e32 v106, 32, v106
	v_subrev_nc_u32_e32 v108, 28, v106
	v_sub_nc_u32_e32 v106, 29, v106
	v_lshlrev_b64 v[108:109], v108, v[1:2]
	v_and_b32_e32 v1, 7, v108
; %bb.310:                              ;   in Loop: Header=BB320_9 Depth=1
	s_or_b32 exec_lo, exec_lo, s33
	v_lshlrev_b32_e32 v107, 16, v107
	v_lshlrev_b32_e32 v1, 20, v1
	v_lshl_add_u32 v106, v106, 23, 0x3c000000
	v_and_b32_e32 v107, 0x80000000, v107
	v_or3_b32 v106, v1, v107, v106
.LBB320_311:                            ;   in Loop: Header=BB320_9 Depth=1
	s_or_b32 exec_lo, exec_lo, s31
.LBB320_312:                            ;   in Loop: Header=BB320_9 Depth=1
	s_or_b32 exec_lo, exec_lo, s30
.LBB320_313:                            ;   in Loop: Header=BB320_9 Depth=1
	s_or_b32 exec_lo, exec_lo, s3
	global_load_ushort v1, v[7:8], off offset:1160
	v_mov_b32_e32 v111, 0
	v_mov_b32_e32 v112, 0
	s_waitcnt vmcnt(0)
	v_and_b32_e32 v107, 0xffff, v1
	v_cmp_ne_u16_sdwa s2, v1, v2 src0_sel:BYTE_0 src1_sel:DWORD
	s_and_saveexec_b32 s3, s2
	s_cbranch_execz .LBB320_321
; %bb.314:                              ;   in Loop: Header=BB320_9 Depth=1
	v_cmp_ne_u16_sdwa s2, v107, v66 src0_sel:BYTE_0 src1_sel:DWORD
	v_bfrev_b32_e32 v112, 1
	s_and_saveexec_b32 s30, s2
	s_cbranch_execz .LBB320_320
; %bb.315:                              ;   in Loop: Header=BB320_9 Depth=1
	v_and_b32_e32 v109, 0x7f, v107
	v_mov_b32_e32 v112, 0x7f800001
	s_mov_b32 s31, exec_lo
	v_cmpx_ne_u32_e32 0x7f, v109
	s_cbranch_execz .LBB320_319
; %bb.316:                              ;   in Loop: Header=BB320_9 Depth=1
	v_and_b32_e32 v1, 7, v107
	v_lshrrev_b32_e32 v108, 3, v109
	s_mov_b32 s33, exec_lo
	v_cmpx_gt_u32_e32 8, v109
; %bb.317:                              ;   in Loop: Header=BB320_9 Depth=1
	v_ffbh_u32_e32 v108, v1
	v_min_u32_e32 v108, 32, v108
	v_subrev_nc_u32_e32 v109, 28, v108
	v_sub_nc_u32_e32 v108, 29, v108
	v_lshlrev_b64 v[109:110], v109, v[1:2]
	v_and_b32_e32 v1, 7, v109
; %bb.318:                              ;   in Loop: Header=BB320_9 Depth=1
	s_or_b32 exec_lo, exec_lo, s33
	v_lshlrev_b32_e32 v109, 24, v107
	v_lshlrev_b32_e32 v1, 20, v1
	v_lshl_add_u32 v108, v108, 23, 0x3c000000
	v_and_b32_e32 v109, 0x80000000, v109
	v_or3_b32 v112, v1, v109, v108
.LBB320_319:                            ;   in Loop: Header=BB320_9 Depth=1
	s_or_b32 exec_lo, exec_lo, s31
.LBB320_320:                            ;   in Loop: Header=BB320_9 Depth=1
	s_or_b32 exec_lo, exec_lo, s30
.LBB320_321:                            ;   in Loop: Header=BB320_9 Depth=1
	s_or_b32 exec_lo, exec_lo, s3
	v_cmp_ne_u16_sdwa s2, v107, v2 src0_sel:BYTE_1 src1_sel:DWORD
	s_and_saveexec_b32 s3, s2
	s_cbranch_execz .LBB320_329
; %bb.322:                              ;   in Loop: Header=BB320_9 Depth=1
	v_cmp_ne_u16_sdwa s2, v107, v66 src0_sel:BYTE_1 src1_sel:DWORD
	v_bfrev_b32_e32 v111, 1
	s_and_saveexec_b32 s30, s2
	s_cbranch_execz .LBB320_328
; %bb.323:                              ;   in Loop: Header=BB320_9 Depth=1
	v_and_b32_sdwa v1, v67, v107 dst_sel:DWORD dst_unused:UNUSED_PAD src0_sel:DWORD src1_sel:BYTE_1
	v_mov_b32_e32 v111, 0x7f800001
	s_mov_b32 s31, exec_lo
	v_and_b32_e32 v109, 0x7f, v1
	v_cmpx_ne_u32_e32 0x7f, v109
	s_cbranch_execz .LBB320_327
; %bb.324:                              ;   in Loop: Header=BB320_9 Depth=1
	v_and_b32_e32 v1, 7, v1
	v_lshrrev_b32_e32 v108, 3, v109
	s_mov_b32 s33, exec_lo
	v_cmpx_gt_u32_e32 8, v109
; %bb.325:                              ;   in Loop: Header=BB320_9 Depth=1
	v_ffbh_u32_e32 v108, v1
	v_min_u32_e32 v108, 32, v108
	v_subrev_nc_u32_e32 v109, 28, v108
	v_sub_nc_u32_e32 v108, 29, v108
	v_lshlrev_b64 v[109:110], v109, v[1:2]
	v_and_b32_e32 v1, 7, v109
; %bb.326:                              ;   in Loop: Header=BB320_9 Depth=1
	s_or_b32 exec_lo, exec_lo, s33
	v_lshlrev_b32_e32 v107, 16, v107
	v_lshlrev_b32_e32 v1, 20, v1
	v_lshl_add_u32 v108, v108, 23, 0x3c000000
	v_and_b32_e32 v107, 0x80000000, v107
	v_or3_b32 v111, v1, v107, v108
.LBB320_327:                            ;   in Loop: Header=BB320_9 Depth=1
	s_or_b32 exec_lo, exec_lo, s31
.LBB320_328:                            ;   in Loop: Header=BB320_9 Depth=1
	s_or_b32 exec_lo, exec_lo, s30
.LBB320_329:                            ;   in Loop: Header=BB320_9 Depth=1
	s_or_b32 exec_lo, exec_lo, s3
	global_load_ushort v1, v[7:8], off offset:1280
	v_mov_b32_e32 v109, 0
	v_mov_b32_e32 v110, 0
	s_waitcnt vmcnt(0)
	v_and_b32_e32 v107, 0xffff, v1
	v_cmp_ne_u16_sdwa s2, v1, v2 src0_sel:BYTE_0 src1_sel:DWORD
	s_and_saveexec_b32 s3, s2
	s_cbranch_execz .LBB320_337
; %bb.330:                              ;   in Loop: Header=BB320_9 Depth=1
	v_cmp_ne_u16_sdwa s2, v107, v66 src0_sel:BYTE_0 src1_sel:DWORD
	v_bfrev_b32_e32 v110, 1
	s_and_saveexec_b32 s30, s2
	s_cbranch_execz .LBB320_336
; %bb.331:                              ;   in Loop: Header=BB320_9 Depth=1
	v_and_b32_e32 v113, 0x7f, v107
	v_mov_b32_e32 v110, 0x7f800001
	s_mov_b32 s31, exec_lo
	v_cmpx_ne_u32_e32 0x7f, v113
	s_cbranch_execz .LBB320_335
; %bb.332:                              ;   in Loop: Header=BB320_9 Depth=1
	v_and_b32_e32 v1, 7, v107
	v_lshrrev_b32_e32 v108, 3, v113
	s_mov_b32 s33, exec_lo
	v_cmpx_gt_u32_e32 8, v113
; %bb.333:                              ;   in Loop: Header=BB320_9 Depth=1
	v_ffbh_u32_e32 v108, v1
	v_min_u32_e32 v108, 32, v108
	v_subrev_nc_u32_e32 v110, 28, v108
	v_sub_nc_u32_e32 v108, 29, v108
	v_lshlrev_b64 v[113:114], v110, v[1:2]
	v_and_b32_e32 v1, 7, v113
; %bb.334:                              ;   in Loop: Header=BB320_9 Depth=1
	s_or_b32 exec_lo, exec_lo, s33
	v_lshlrev_b32_e32 v110, 24, v107
	v_lshlrev_b32_e32 v1, 20, v1
	v_lshl_add_u32 v108, v108, 23, 0x3c000000
	v_and_b32_e32 v110, 0x80000000, v110
	v_or3_b32 v110, v1, v110, v108
.LBB320_335:                            ;   in Loop: Header=BB320_9 Depth=1
	s_or_b32 exec_lo, exec_lo, s31
.LBB320_336:                            ;   in Loop: Header=BB320_9 Depth=1
	s_or_b32 exec_lo, exec_lo, s30
.LBB320_337:                            ;   in Loop: Header=BB320_9 Depth=1
	s_or_b32 exec_lo, exec_lo, s3
	v_cmp_ne_u16_sdwa s2, v107, v2 src0_sel:BYTE_1 src1_sel:DWORD
	s_and_saveexec_b32 s3, s2
	s_cbranch_execz .LBB320_345
; %bb.338:                              ;   in Loop: Header=BB320_9 Depth=1
	v_cmp_ne_u16_sdwa s2, v107, v66 src0_sel:BYTE_1 src1_sel:DWORD
	v_bfrev_b32_e32 v109, 1
	s_and_saveexec_b32 s30, s2
	s_cbranch_execz .LBB320_344
; %bb.339:                              ;   in Loop: Header=BB320_9 Depth=1
	v_and_b32_sdwa v1, v67, v107 dst_sel:DWORD dst_unused:UNUSED_PAD src0_sel:DWORD src1_sel:BYTE_1
	v_mov_b32_e32 v109, 0x7f800001
	s_mov_b32 s31, exec_lo
	v_and_b32_e32 v113, 0x7f, v1
	v_cmpx_ne_u32_e32 0x7f, v113
	s_cbranch_execz .LBB320_343
; %bb.340:                              ;   in Loop: Header=BB320_9 Depth=1
	v_and_b32_e32 v1, 7, v1
	v_lshrrev_b32_e32 v108, 3, v113
	s_mov_b32 s33, exec_lo
	v_cmpx_gt_u32_e32 8, v113
; %bb.341:                              ;   in Loop: Header=BB320_9 Depth=1
	v_ffbh_u32_e32 v108, v1
	v_min_u32_e32 v108, 32, v108
	v_subrev_nc_u32_e32 v109, 28, v108
	v_sub_nc_u32_e32 v108, 29, v108
	v_lshlrev_b64 v[113:114], v109, v[1:2]
	v_and_b32_e32 v1, 7, v113
; %bb.342:                              ;   in Loop: Header=BB320_9 Depth=1
	s_or_b32 exec_lo, exec_lo, s33
	v_lshlrev_b32_e32 v107, 16, v107
	v_lshlrev_b32_e32 v1, 20, v1
	v_lshl_add_u32 v108, v108, 23, 0x3c000000
	v_and_b32_e32 v107, 0x80000000, v107
	v_or3_b32 v109, v1, v107, v108
.LBB320_343:                            ;   in Loop: Header=BB320_9 Depth=1
	s_or_b32 exec_lo, exec_lo, s31
.LBB320_344:                            ;   in Loop: Header=BB320_9 Depth=1
	s_or_b32 exec_lo, exec_lo, s30
.LBB320_345:                            ;   in Loop: Header=BB320_9 Depth=1
	s_or_b32 exec_lo, exec_lo, s3
	global_load_ushort v1, v[7:8], off offset:1288
	v_mov_b32_e32 v107, 0
	v_mov_b32_e32 v108, 0
	s_waitcnt vmcnt(0)
	v_and_b32_e32 v113, 0xffff, v1
	v_cmp_ne_u16_sdwa s2, v1, v2 src0_sel:BYTE_0 src1_sel:DWORD
	s_and_saveexec_b32 s3, s2
	s_cbranch_execz .LBB320_353
; %bb.346:                              ;   in Loop: Header=BB320_9 Depth=1
	v_cmp_ne_u16_sdwa s2, v113, v66 src0_sel:BYTE_0 src1_sel:DWORD
	v_bfrev_b32_e32 v108, 1
	s_and_saveexec_b32 s30, s2
	s_cbranch_execz .LBB320_352
; %bb.347:                              ;   in Loop: Header=BB320_9 Depth=1
	v_and_b32_e32 v114, 0x7f, v113
	v_mov_b32_e32 v108, 0x7f800001
	s_mov_b32 s31, exec_lo
	v_cmpx_ne_u32_e32 0x7f, v114
	s_cbranch_execz .LBB320_351
; %bb.348:                              ;   in Loop: Header=BB320_9 Depth=1
	v_and_b32_e32 v1, 7, v113
	v_lshrrev_b32_e32 v108, 3, v114
	s_mov_b32 s33, exec_lo
	v_cmpx_gt_u32_e32 8, v114
; %bb.349:                              ;   in Loop: Header=BB320_9 Depth=1
	v_ffbh_u32_e32 v108, v1
	v_min_u32_e32 v108, 32, v108
	v_subrev_nc_u32_e32 v114, 28, v108
	v_sub_nc_u32_e32 v108, 29, v108
	v_lshlrev_b64 v[114:115], v114, v[1:2]
	v_and_b32_e32 v1, 7, v114
; %bb.350:                              ;   in Loop: Header=BB320_9 Depth=1
	s_or_b32 exec_lo, exec_lo, s33
	v_lshlrev_b32_e32 v114, 24, v113
	v_lshlrev_b32_e32 v1, 20, v1
	v_lshl_add_u32 v108, v108, 23, 0x3c000000
	v_and_b32_e32 v114, 0x80000000, v114
	v_or3_b32 v108, v1, v114, v108
.LBB320_351:                            ;   in Loop: Header=BB320_9 Depth=1
	s_or_b32 exec_lo, exec_lo, s31
.LBB320_352:                            ;   in Loop: Header=BB320_9 Depth=1
	s_or_b32 exec_lo, exec_lo, s30
.LBB320_353:                            ;   in Loop: Header=BB320_9 Depth=1
	s_or_b32 exec_lo, exec_lo, s3
	v_cmp_ne_u16_sdwa s2, v113, v2 src0_sel:BYTE_1 src1_sel:DWORD
	s_and_saveexec_b32 s3, s2
	s_cbranch_execz .LBB320_361
; %bb.354:                              ;   in Loop: Header=BB320_9 Depth=1
	v_cmp_ne_u16_sdwa s2, v113, v66 src0_sel:BYTE_1 src1_sel:DWORD
	v_bfrev_b32_e32 v107, 1
	s_and_saveexec_b32 s30, s2
	s_cbranch_execz .LBB320_360
; %bb.355:                              ;   in Loop: Header=BB320_9 Depth=1
	v_and_b32_sdwa v1, v67, v113 dst_sel:DWORD dst_unused:UNUSED_PAD src0_sel:DWORD src1_sel:BYTE_1
	v_mov_b32_e32 v107, 0x7f800001
	s_mov_b32 s31, exec_lo
	v_and_b32_e32 v114, 0x7f, v1
	v_cmpx_ne_u32_e32 0x7f, v114
	s_cbranch_execz .LBB320_359
; %bb.356:                              ;   in Loop: Header=BB320_9 Depth=1
	v_and_b32_e32 v1, 7, v1
	v_lshrrev_b32_e32 v107, 3, v114
	s_mov_b32 s33, exec_lo
	v_cmpx_gt_u32_e32 8, v114
; %bb.357:                              ;   in Loop: Header=BB320_9 Depth=1
	v_ffbh_u32_e32 v107, v1
	v_min_u32_e32 v107, 32, v107
	v_subrev_nc_u32_e32 v114, 28, v107
	v_sub_nc_u32_e32 v107, 29, v107
	v_lshlrev_b64 v[114:115], v114, v[1:2]
	v_and_b32_e32 v1, 7, v114
; %bb.358:                              ;   in Loop: Header=BB320_9 Depth=1
	s_or_b32 exec_lo, exec_lo, s33
	v_lshlrev_b32_e32 v113, 16, v113
	v_lshlrev_b32_e32 v1, 20, v1
	v_lshl_add_u32 v107, v107, 23, 0x3c000000
	v_and_b32_e32 v113, 0x80000000, v113
	v_or3_b32 v107, v1, v113, v107
.LBB320_359:                            ;   in Loop: Header=BB320_9 Depth=1
	s_or_b32 exec_lo, exec_lo, s31
.LBB320_360:                            ;   in Loop: Header=BB320_9 Depth=1
	s_or_b32 exec_lo, exec_lo, s30
.LBB320_361:                            ;   in Loop: Header=BB320_9 Depth=1
	s_or_b32 exec_lo, exec_lo, s3
	global_load_ushort v1, v[7:8], off offset:1408
	v_mov_b32_e32 v115, 0
	v_mov_b32_e32 v114, 0
	s_waitcnt vmcnt(0)
	v_and_b32_e32 v113, 0xffff, v1
	v_cmp_ne_u16_sdwa s2, v1, v2 src0_sel:BYTE_0 src1_sel:DWORD
	s_and_saveexec_b32 s3, s2
	s_cbranch_execz .LBB320_369
; %bb.362:                              ;   in Loop: Header=BB320_9 Depth=1
	v_cmp_ne_u16_sdwa s2, v113, v66 src0_sel:BYTE_0 src1_sel:DWORD
	v_bfrev_b32_e32 v114, 1
	s_and_saveexec_b32 s30, s2
	s_cbranch_execz .LBB320_368
; %bb.363:                              ;   in Loop: Header=BB320_9 Depth=1
	v_and_b32_e32 v116, 0x7f, v113
	v_mov_b32_e32 v114, 0x7f800001
	s_mov_b32 s31, exec_lo
	v_cmpx_ne_u32_e32 0x7f, v116
	s_cbranch_execz .LBB320_367
; %bb.364:                              ;   in Loop: Header=BB320_9 Depth=1
	v_and_b32_e32 v1, 7, v113
	v_lshrrev_b32_e32 v114, 3, v116
	s_mov_b32 s33, exec_lo
	v_cmpx_gt_u32_e32 8, v116
; %bb.365:                              ;   in Loop: Header=BB320_9 Depth=1
	v_ffbh_u32_e32 v114, v1
	v_min_u32_e32 v114, 32, v114
	v_subrev_nc_u32_e32 v116, 28, v114
	v_sub_nc_u32_e32 v114, 29, v114
	v_lshlrev_b64 v[116:117], v116, v[1:2]
	v_and_b32_e32 v1, 7, v116
; %bb.366:                              ;   in Loop: Header=BB320_9 Depth=1
	s_or_b32 exec_lo, exec_lo, s33
	v_lshlrev_b32_e32 v116, 24, v113
	v_lshlrev_b32_e32 v1, 20, v1
	v_lshl_add_u32 v114, v114, 23, 0x3c000000
	v_and_b32_e32 v116, 0x80000000, v116
	v_or3_b32 v114, v1, v116, v114
.LBB320_367:                            ;   in Loop: Header=BB320_9 Depth=1
	s_or_b32 exec_lo, exec_lo, s31
.LBB320_368:                            ;   in Loop: Header=BB320_9 Depth=1
	s_or_b32 exec_lo, exec_lo, s30
.LBB320_369:                            ;   in Loop: Header=BB320_9 Depth=1
	s_or_b32 exec_lo, exec_lo, s3
	v_cmp_ne_u16_sdwa s2, v113, v2 src0_sel:BYTE_1 src1_sel:DWORD
	s_and_saveexec_b32 s3, s2
	s_cbranch_execz .LBB320_377
; %bb.370:                              ;   in Loop: Header=BB320_9 Depth=1
	v_cmp_ne_u16_sdwa s2, v113, v66 src0_sel:BYTE_1 src1_sel:DWORD
	v_bfrev_b32_e32 v115, 1
	s_and_saveexec_b32 s30, s2
	s_cbranch_execz .LBB320_376
; %bb.371:                              ;   in Loop: Header=BB320_9 Depth=1
	v_and_b32_sdwa v1, v67, v113 dst_sel:DWORD dst_unused:UNUSED_PAD src0_sel:DWORD src1_sel:BYTE_1
	v_mov_b32_e32 v115, 0x7f800001
	s_mov_b32 s31, exec_lo
	v_and_b32_e32 v116, 0x7f, v1
	v_cmpx_ne_u32_e32 0x7f, v116
	s_cbranch_execz .LBB320_375
; %bb.372:                              ;   in Loop: Header=BB320_9 Depth=1
	v_and_b32_e32 v1, 7, v1
	v_lshrrev_b32_e32 v115, 3, v116
	s_mov_b32 s33, exec_lo
	v_cmpx_gt_u32_e32 8, v116
; %bb.373:                              ;   in Loop: Header=BB320_9 Depth=1
	v_ffbh_u32_e32 v115, v1
	v_min_u32_e32 v115, 32, v115
	v_subrev_nc_u32_e32 v116, 28, v115
	v_sub_nc_u32_e32 v115, 29, v115
	v_lshlrev_b64 v[116:117], v116, v[1:2]
	v_and_b32_e32 v1, 7, v116
; %bb.374:                              ;   in Loop: Header=BB320_9 Depth=1
	s_or_b32 exec_lo, exec_lo, s33
	v_lshlrev_b32_e32 v113, 16, v113
	v_lshlrev_b32_e32 v1, 20, v1
	v_lshl_add_u32 v115, v115, 23, 0x3c000000
	v_and_b32_e32 v113, 0x80000000, v113
	v_or3_b32 v115, v1, v113, v115
.LBB320_375:                            ;   in Loop: Header=BB320_9 Depth=1
	s_or_b32 exec_lo, exec_lo, s31
.LBB320_376:                            ;   in Loop: Header=BB320_9 Depth=1
	s_or_b32 exec_lo, exec_lo, s30
.LBB320_377:                            ;   in Loop: Header=BB320_9 Depth=1
	s_or_b32 exec_lo, exec_lo, s3
	global_load_ushort v1, v[7:8], off offset:1416
	v_mov_b32_e32 v113, 0
	v_mov_b32_e32 v8, 0
	s_waitcnt vmcnt(0)
	v_and_b32_e32 v7, 0xffff, v1
	v_cmp_ne_u16_sdwa s2, v1, v2 src0_sel:BYTE_0 src1_sel:DWORD
	s_and_saveexec_b32 s3, s2
	s_cbranch_execz .LBB320_385
; %bb.378:                              ;   in Loop: Header=BB320_9 Depth=1
	v_cmp_ne_u16_sdwa s2, v7, v66 src0_sel:BYTE_0 src1_sel:DWORD
	v_bfrev_b32_e32 v8, 1
	s_and_saveexec_b32 s30, s2
	s_cbranch_execz .LBB320_384
; %bb.379:                              ;   in Loop: Header=BB320_9 Depth=1
	v_and_b32_e32 v116, 0x7f, v7
	v_mov_b32_e32 v8, 0x7f800001
	s_mov_b32 s31, exec_lo
	v_cmpx_ne_u32_e32 0x7f, v116
	s_cbranch_execz .LBB320_383
; %bb.380:                              ;   in Loop: Header=BB320_9 Depth=1
	v_and_b32_e32 v1, 7, v7
	v_lshrrev_b32_e32 v8, 3, v116
	s_mov_b32 s33, exec_lo
	v_cmpx_gt_u32_e32 8, v116
; %bb.381:                              ;   in Loop: Header=BB320_9 Depth=1
	v_ffbh_u32_e32 v8, v1
	v_min_u32_e32 v8, 32, v8
	v_subrev_nc_u32_e32 v116, 28, v8
	v_sub_nc_u32_e32 v8, 29, v8
	v_lshlrev_b64 v[116:117], v116, v[1:2]
	v_and_b32_e32 v1, 7, v116
; %bb.382:                              ;   in Loop: Header=BB320_9 Depth=1
	s_or_b32 exec_lo, exec_lo, s33
	v_lshlrev_b32_e32 v116, 24, v7
	v_lshlrev_b32_e32 v1, 20, v1
	v_lshl_add_u32 v8, v8, 23, 0x3c000000
	v_and_b32_e32 v116, 0x80000000, v116
	v_or3_b32 v8, v1, v116, v8
.LBB320_383:                            ;   in Loop: Header=BB320_9 Depth=1
	s_or_b32 exec_lo, exec_lo, s31
.LBB320_384:                            ;   in Loop: Header=BB320_9 Depth=1
	s_or_b32 exec_lo, exec_lo, s30
.LBB320_385:                            ;   in Loop: Header=BB320_9 Depth=1
	s_or_b32 exec_lo, exec_lo, s3
	v_cmp_ne_u16_sdwa s2, v7, v2 src0_sel:BYTE_1 src1_sel:DWORD
	s_and_saveexec_b32 s3, s2
	s_cbranch_execz .LBB320_393
; %bb.386:                              ;   in Loop: Header=BB320_9 Depth=1
	v_cmp_ne_u16_sdwa s2, v7, v66 src0_sel:BYTE_1 src1_sel:DWORD
	v_bfrev_b32_e32 v113, 1
	s_and_saveexec_b32 s30, s2
	s_cbranch_execz .LBB320_392
; %bb.387:                              ;   in Loop: Header=BB320_9 Depth=1
	v_and_b32_sdwa v1, v67, v7 dst_sel:DWORD dst_unused:UNUSED_PAD src0_sel:DWORD src1_sel:BYTE_1
	v_mov_b32_e32 v113, 0x7f800001
	s_mov_b32 s31, exec_lo
	v_and_b32_e32 v116, 0x7f, v1
	v_cmpx_ne_u32_e32 0x7f, v116
	s_cbranch_execz .LBB320_391
; %bb.388:                              ;   in Loop: Header=BB320_9 Depth=1
	v_and_b32_e32 v1, 7, v1
	v_lshrrev_b32_e32 v113, 3, v116
	s_mov_b32 s33, exec_lo
	v_cmpx_gt_u32_e32 8, v116
; %bb.389:                              ;   in Loop: Header=BB320_9 Depth=1
	v_ffbh_u32_e32 v113, v1
	v_min_u32_e32 v113, 32, v113
	v_subrev_nc_u32_e32 v116, 28, v113
	v_sub_nc_u32_e32 v113, 29, v113
	v_lshlrev_b64 v[116:117], v116, v[1:2]
	v_and_b32_e32 v1, 7, v116
; %bb.390:                              ;   in Loop: Header=BB320_9 Depth=1
	s_or_b32 exec_lo, exec_lo, s33
	v_lshlrev_b32_e32 v7, 16, v7
	v_lshlrev_b32_e32 v1, 20, v1
	v_lshl_add_u32 v113, v113, 23, 0x3c000000
	v_and_b32_e32 v7, 0x80000000, v7
	v_or3_b32 v113, v1, v7, v113
.LBB320_391:                            ;   in Loop: Header=BB320_9 Depth=1
	s_or_b32 exec_lo, exec_lo, s31
.LBB320_392:                            ;   in Loop: Header=BB320_9 Depth=1
	s_or_b32 exec_lo, exec_lo, s30
.LBB320_393:                            ;   in Loop: Header=BB320_9 Depth=1
	s_or_b32 exec_lo, exec_lo, s3
	v_mul_f32_e32 v1, s4, v8
	v_mul_f32_e32 v107, s4, v107
	v_mul_f32_e32 v108, s4, v108
	v_mul_f32_e32 v109, s4, v109
	v_mul_f32_e32 v110, s4, v110
	v_bfe_u32 v7, v1, 16, 1
	v_or_b32_e32 v8, 0x400000, v1
	v_cmp_u_f32_e64 s2, v1, v1
	v_mul_f32_e32 v111, s4, v111
	v_mul_f32_e32 v112, s4, v112
	v_add3_u32 v7, v7, v1, 0x7fff
	v_mul_f32_e32 v106, s4, v106
	v_mul_f32_e32 v105, s4, v105
	v_mul_f32_e32 v104, s4, v104
	v_mul_f32_e32 v103, s4, v103
	v_cndmask_b32_e64 v1, v7, v8, s2
	v_mul_f32_e32 v7, s4, v115
	v_mul_f32_e32 v102, s4, v102
	v_mul_f32_e32 v101, s4, v101
	v_mul_f32_e32 v100, s4, v100
	v_mul_f32_e32 v99, s4, v99
	v_bfe_u32 v8, v7, 16, 1
	v_or_b32_e32 v115, 0x400000, v7
	v_cmp_u_f32_e64 s2, v7, v7
	v_mul_f32_e32 v98, s4, v98
	v_mul_f32_e32 v97, s4, v97
	v_add3_u32 v8, v8, v7, 0x7fff
	v_mul_f32_e32 v96, s4, v96
	v_mul_f32_e32 v95, s4, v95
	v_mul_f32_e32 v94, s4, v94
	v_mul_f32_e32 v93, s4, v93
	v_cndmask_b32_e64 v7, v8, v115, s2
	;; [unrolled: 16-line block ×3, first 2 shown]
	v_bfe_u32 v114, v107, 16, 1
	v_or_b32_e32 v115, 0x400000, v107
	v_cmp_u_f32_e64 s2, v107, v107
	v_mul_f32_e32 v82, s4, v82
	v_mul_f32_e32 v81, s4, v81
	v_add3_u32 v114, v114, v107, 0x7fff
	v_mul_f32_e32 v80, s4, v80
	v_mul_f32_e32 v79, s4, v79
	;; [unrolled: 1-line block ×4, first 2 shown]
	v_cndmask_b32_e64 v107, v114, v115, s2
	v_bfe_u32 v114, v108, 16, 1
	v_or_b32_e32 v115, 0x400000, v108
	v_cmp_u_f32_e64 s2, v108, v108
	v_mul_f32_e32 v76, s4, v76
	v_mul_f32_e32 v75, s4, v75
	v_add3_u32 v114, v114, v108, 0x7fff
	v_mul_f32_e32 v74, s4, v74
	v_mul_f32_e32 v73, s4, v73
	;; [unrolled: 1-line block ×4, first 2 shown]
	v_cndmask_b32_e64 v108, v114, v115, s2
	v_bfe_u32 v114, v109, 16, 1
	v_or_b32_e32 v115, 0x400000, v109
	v_cmp_u_f32_e64 s2, v109, v109
	v_mul_f32_e32 v70, s4, v70
	v_mul_f32_e32 v69, s4, v69
	v_add3_u32 v114, v114, v109, 0x7fff
	v_and_b32_e32 v8, 0xffff0000, v8
	v_and_b32_e32 v7, 0xffff0000, v7
	;; [unrolled: 1-line block ×3, first 2 shown]
	v_cndmask_b32_e64 v109, v114, v115, s2
	v_bfe_u32 v114, v110, 16, 1
	v_or_b32_e32 v115, 0x400000, v110
	v_cmp_u_f32_e64 s2, v110, v110
	v_add3_u32 v114, v114, v110, 0x7fff
	v_cndmask_b32_e64 v110, v114, v115, s2
	v_bfe_u32 v114, v111, 16, 1
	v_or_b32_e32 v115, 0x400000, v111
	v_cmp_u_f32_e64 s2, v111, v111
	v_add3_u32 v114, v114, v111, 0x7fff
	;; [unrolled: 5-line block ×39, first 2 shown]
	v_cndmask_b32_e64 v71, v114, v115, s2
	v_bfe_u32 v114, v70, 16, 1
	v_or_b32_e32 v115, 0x400000, v70
	v_cmp_u_f32_e64 s2, v70, v70
	v_and_b32_e32 v71, 0xffff0000, v71
	v_add3_u32 v114, v114, v70, 0x7fff
	v_bfe_u32 v70, v69, 16, 1
	v_cndmask_b32_e64 v114, v114, v115, s2
	v_add3_u32 v70, v70, v69, 0x7fff
	v_or_b32_e32 v115, 0x400000, v69
	v_cmp_u_f32_e64 s2, v69, v69
	v_mul_f32_e32 v69, s4, v113
	v_cndmask_b32_e64 v70, v70, v115, s2
	v_bfe_u32 v113, v69, 16, 1
	v_or_b32_e32 v115, 0x400000, v69
	v_cmp_u_f32_e64 s2, v69, v69
	v_add3_u32 v113, v113, v69, 0x7fff
	v_cndmask_b32_e64 v69, v113, v115, s2
	v_and_b32_e32 v113, 0xffff0000, v70
	v_mul_f32_e32 v70, v14, v71
	v_and_b32_e32 v71, 0xffff0000, v72
	v_and_b32_e32 v72, 0xffff0000, v114
	v_fmac_f32_e32 v70, v12, v113
	v_mul_f32_e32 v71, v15, v71
	v_fmac_f32_e32 v71, v13, v72
	v_and_b32_e32 v72, 0xffff0000, v73
	v_fmac_f32_e32 v70, v16, v72
	v_and_b32_e32 v72, 0xffff0000, v74
	;; [unrolled: 2-line block ×40, first 2 shown]
	v_fmac_f32_e32 v70, v57, v8
	v_fmac_f32_e32 v71, v56, v72
	v_fmac_f32_e32 v70, v59, v1
	v_fmac_f32_e32 v71, v58, v7
	v_and_b32_e32 v1, 0xffff0000, v69
	v_fmac_f32_e32 v71, v61, v1
	v_add_f32_e32 v1, v70, v71
	ds_bpermute_b32 v7, v62, v1
	s_waitcnt lgkmcnt(0)
	v_add_f32_e32 v1, v1, v7
	ds_bpermute_b32 v7, v63, v1
	s_and_saveexec_b32 s3, vcc_lo
	s_cbranch_execz .LBB320_8
; %bb.394:                              ;   in Loop: Header=BB320_9 Depth=1
	v_add_nc_u32_e32 v8, s5, v64
	s_waitcnt lgkmcnt(0)
	v_add_f32_e32 v1, v1, v7
	v_cmp_gt_i32_e64 s2, s11, v64
	v_cvt_f32_i32_e32 v8, v8
	v_mul_f32_e32 v8, s28, v8
	v_cndmask_b32_e64 v7, 0, v8, s1
	v_max_f32_e32 v8, v60, v60
	v_fmac_f32_e32 v7, s29, v1
	v_max_f32_e32 v1, v8, v7
	v_cndmask_b32_e64 v7, 0, v7, s2
	v_cndmask_b32_e64 v60, v60, v1, s2
	ds_write_b32 v65, v7
	s_branch .LBB320_8
.LBB320_395:
	s_or_b32 exec_lo, exec_lo, s16
.LBB320_396:
	s_or_b32 exec_lo, exec_lo, s15
	v_xor_b32_e32 v1, 16, v10
	v_xor_b32_e32 v4, 8, v10
	v_max_f32_e32 v5, v60, v60
	v_xor_b32_e32 v6, 4, v10
	v_and_b32_e32 v22, 31, v0
	v_cmp_lt_i32_e32 vcc_lo, v1, v11
	v_cndmask_b32_e32 v1, v10, v1, vcc_lo
	v_cmp_lt_i32_e32 vcc_lo, v4, v11
	v_lshlrev_b32_e32 v3, 2, v1
	v_cndmask_b32_e32 v4, v10, v4, vcc_lo
	v_cmp_lt_i32_e32 vcc_lo, v6, v11
	ds_bpermute_b32 v1, v3, v60
	v_lshlrev_b32_e32 v4, 2, v4
	v_cndmask_b32_e32 v6, v10, v6, vcc_lo
	v_cmp_eq_u32_e32 vcc_lo, 0, v22
	s_waitcnt lgkmcnt(0)
	v_lshlrev_b32_e32 v7, 2, v6
	v_max_f32_e32 v1, v1, v1
	v_max_f32_e32 v1, v5, v1
	ds_bpermute_b32 v5, v4, v1
	s_waitcnt lgkmcnt(0)
	v_max_f32_e32 v5, v5, v5
	v_max_f32_e32 v1, v1, v5
	v_lshlrev_b32_e32 v5, 2, v21
	ds_bpermute_b32 v6, v7, v1
	s_and_saveexec_b32 s1, vcc_lo
	s_cbranch_execz .LBB320_398
; %bb.397:
	s_waitcnt lgkmcnt(0)
	v_max_f32_e32 v6, v6, v6
	v_max_f32_e32 v1, v1, v1
	v_max_f32_e32 v1, v1, v6
	ds_write_b32 v5, v1 offset:384
.LBB320_398:
	s_or_b32 exec_lo, exec_lo, s1
	v_cmp_gt_u32_e64 s1, 4, v22
	v_mov_b32_e32 v1, 0xff7fffff
	s_waitcnt lgkmcnt(0)
	v_lshlrev_b32_e32 v6, 2, v22
	s_barrier
	buffer_gl0_inv
	s_and_saveexec_b32 s2, s1
; %bb.399:
	ds_read_b32 v1, v6 offset:384
; %bb.400:
	s_or_b32 exec_lo, exec_lo, s2
	v_xor_b32_e32 v8, 2, v10
	v_xor_b32_e32 v13, 1, v10
	v_lshlrev_b32_e32 v2, 2, v2
	v_cmp_lt_i32_e64 s2, v8, v11
	v_cndmask_b32_e64 v8, v10, v8, s2
	v_cmp_lt_i32_e64 s2, v13, v11
	v_lshlrev_b32_e32 v8, 2, v8
	v_cndmask_b32_e64 v11, v10, v13, s2
	s_lshl_b32 s2, s12, 3
	s_min_i32 s4, s2, s11
	s_waitcnt lgkmcnt(0)
	ds_bpermute_b32 v12, v8, v1
	v_max_f32_e32 v1, v1, v1
	v_lshlrev_b32_e32 v11, 2, v11
	v_cmp_gt_i32_e64 s2, s4, v0
	s_waitcnt lgkmcnt(0)
	v_max_f32_e32 v12, v12, v12
	v_max_f32_e32 v1, v1, v12
	ds_bpermute_b32 v12, v11, v1
	s_waitcnt lgkmcnt(0)
	v_max_f32_e32 v12, v12, v12
	v_max_f32_e32 v1, v1, v12
	ds_bpermute_b32 v12, v2, v1
	v_mov_b32_e32 v2, 0
	v_lshl_add_u32 v1, v0, 2, 0x1a0
	s_and_saveexec_b32 s5, s2
	s_cbranch_execz .LBB320_404
; %bb.401:
	v_lshl_add_u32 v13, v0, 2, 0x1a0
	v_mov_b32_e32 v2, 0
	v_mov_b32_e32 v14, v0
	s_mov_b32 s15, 0
	.p2align	6
.LBB320_402:                            ; =>This Inner Loop Header: Depth=1
	ds_read_b32 v15, v13
	v_add_nc_u32_e32 v14, 0x80, v14
	v_cmp_le_i32_e64 s3, s4, v14
	s_or_b32 s15, s3, s15
	s_waitcnt lgkmcnt(0)
	v_sub_f32_e32 v15, v15, v12
	v_mul_f32_e32 v15, 0x3fb8aa3b, v15
	v_exp_f32_e32 v15, v15
	ds_write_b32 v13, v15
	v_add_f32_e32 v2, v2, v15
	v_add_nc_u32_e32 v13, 0x200, v13
	s_andn2_b32 exec_lo, exec_lo, s15
	s_cbranch_execnz .LBB320_402
; %bb.403:
	s_or_b32 exec_lo, exec_lo, s15
.LBB320_404:
	s_or_b32 exec_lo, exec_lo, s5
	ds_bpermute_b32 v3, v3, v2
	s_waitcnt lgkmcnt(0)
	v_add_f32_e32 v2, v2, v3
	ds_bpermute_b32 v3, v4, v2
	s_waitcnt lgkmcnt(0)
	v_add_f32_e32 v2, v2, v3
	;; [unrolled: 3-line block ×5, first 2 shown]
	s_and_saveexec_b32 s3, vcc_lo
; %bb.405:
	ds_write_b32 v5, v2 offset:400
; %bb.406:
	s_or_b32 exec_lo, exec_lo, s3
	s_waitcnt lgkmcnt(0)
	s_barrier
	buffer_gl0_inv
	s_and_saveexec_b32 s3, s1
; %bb.407:
	ds_read_b32 v2, v6 offset:400
; %bb.408:
	s_or_b32 exec_lo, exec_lo, s3
	s_waitcnt lgkmcnt(0)
	ds_bpermute_b32 v3, v8, v2
	v_lshlrev_b32_e32 v4, 2, v10
	s_waitcnt lgkmcnt(0)
	v_add_f32_e32 v2, v2, v3
	ds_bpermute_b32 v3, v11, v2
	s_waitcnt lgkmcnt(0)
	v_add_f32_e32 v2, v2, v3
	v_and_b32_e32 v3, 0xffffff80, v4
	ds_bpermute_b32 v2, v3, v2
	s_and_saveexec_b32 s1, s2
	s_cbranch_execz .LBB320_411
; %bb.409:
	s_waitcnt lgkmcnt(0)
	v_add_f32_e32 v2, 0x358637bd, v2
	s_mov_b32 s2, 0
	v_div_scale_f32 v3, null, v2, v2, 1.0
	v_div_scale_f32 v6, vcc_lo, 1.0, v2, 1.0
	v_rcp_f32_e32 v4, v3
	v_fma_f32 v5, -v3, v4, 1.0
	v_fmac_f32_e32 v4, v5, v4
	v_mul_f32_e32 v5, v6, v4
	v_fma_f32 v7, -v3, v5, v6
	v_fmac_f32_e32 v5, v7, v4
	v_fma_f32 v3, -v3, v5, v6
	v_div_fmas_f32 v3, v3, v4, v5
	v_div_fixup_f32 v2, v3, v2, 1.0
	v_mov_b32_e32 v3, v0
.LBB320_410:                            ; =>This Inner Loop Header: Depth=1
	ds_read_b32 v4, v1
	v_add_nc_u32_e32 v3, 0x80, v3
	v_cmp_le_i32_e32 vcc_lo, s4, v3
	s_or_b32 s2, vcc_lo, s2
	s_waitcnt lgkmcnt(0)
	v_mul_f32_e32 v4, v2, v4
	ds_write_b32 v1, v4
	v_add_nc_u32_e32 v1, 0x200, v1
	s_andn2_b32 exec_lo, exec_lo, s2
	s_cbranch_execnz .LBB320_410
.LBB320_411:
	s_or_b32 exec_lo, exec_lo, s1
	v_mov_b32_e32 v28, 0
	v_mov_b32_e32 v27, 0
	;; [unrolled: 1-line block ×6, first 2 shown]
	s_waitcnt lgkmcnt(0)
	s_barrier
	buffer_gl0_inv
	s_and_saveexec_b32 s1, s0
	s_cbranch_execz .LBB320_787
; %bb.412:
	s_load_dword s5, s[18:19], 0x0
	v_lshlrev_b32_e32 v1, 3, v22
	s_ashr_i32 s0, s14, 31
	s_add_u32 s2, s26, s14
	s_addc_u32 s0, s27, s0
	s_mov_b32 s4, s13
	v_add_co_u32 v11, s2, s2, v1
	v_and_b32_e32 v1, 0x7c, v9
	v_add_co_ci_u32_e64 v12, null, s0, 0, s2
	s_lshl_b64 s[2:3], s[24:25], 2
	s_add_i32 s13, s12, -1
	s_add_u32 s0, s22, s2
	s_addc_u32 s2, s23, s3
	v_add_co_u32 v13, s0, s0, v1
	v_mov_b32_e32 v10, 0
	v_lshl_or_b32 v29, v21, 3, 7
	v_lshl_add_u32 v30, v21, 5, 0x1a0
	v_add_co_ci_u32_e64 v14, null, s2, 0, s0
	v_mov_b32_e32 v31, 0x80
	v_mov_b32_e32 v32, 0xffff
	;; [unrolled: 1-line block ×12, first 2 shown]
	s_mov_b32 s2, -1
	s_mov_b32 s3, 0xffffff
	s_mov_b32 s14, 0
	s_branch .LBB320_414
.LBB320_413:                            ;   in Loop: Header=BB320_414 Depth=1
	s_or_b32 exec_lo, exec_lo, s0
	v_bfe_u32 v45, v5, 16, 1
	v_bfe_u32 v46, v6, 16, 1
	v_or_b32_e32 v47, 0x400000, v5
	v_cmp_u_f32_e32 vcc_lo, v5, v5
	v_or_b32_e32 v48, 0x400000, v6
	v_add3_u32 v45, v45, v5, 0x7fff
	v_bfe_u32 v49, v7, 16, 1
	v_add3_u32 v46, v46, v6, 0x7fff
	v_bfe_u32 v50, v8, 16, 1
	v_lshlrev_b32_e32 v19, 16, v19
	v_cndmask_b32_e32 v5, v45, v47, vcc_lo
	v_cmp_u_f32_e32 vcc_lo, v6, v6
	v_add3_u32 v45, v49, v7, 0x7fff
	v_add3_u32 v47, v50, v8, 0x7fff
	v_bfe_u32 v49, v1, 16, 1
	v_and_b32_e32 v5, 0xffff0000, v5
	v_cndmask_b32_e32 v6, v46, v48, vcc_lo
	v_or_b32_e32 v46, 0x400000, v7
	v_cmp_u_f32_e32 vcc_lo, v7, v7
	v_or_b32_e32 v48, 0x400000, v8
	v_or_b32_e32 v50, 0x400000, v4
	v_lshlrev_b32_e32 v20, 16, v20
	v_lshlrev_b32_e32 v77, 16, v77
	v_cndmask_b32_e32 v7, v45, v46, vcc_lo
	v_cmp_u_f32_e32 vcc_lo, v8, v8
	v_bfe_u32 v45, v2, 16, 1
	v_add3_u32 v46, v49, v1, 0x7fff
	v_bfe_u32 v49, v3, 16, 1
	v_lshlrev_b32_e32 v70, 16, v70
	v_cndmask_b32_e32 v8, v47, v48, vcc_lo
	v_or_b32_e32 v47, 0x400000, v1
	v_cmp_u_f32_e32 vcc_lo, v1, v1
	v_add3_u32 v45, v45, v2, 0x7fff
	v_or_b32_e32 v48, 0x400000, v2
	v_and_b32_e32 v1, 0xffff0000, v6
	v_lshlrev_b32_e32 v6, 16, v81
	v_cndmask_b32_e32 v46, v46, v47, vcc_lo
	v_cmp_u_f32_e32 vcc_lo, v2, v2
	v_add3_u32 v2, v49, v3, 0x7fff
	v_bfe_u32 v47, v4, 16, 1
	v_or_b32_e32 v49, 0x400000, v3
	v_mul_f32_e32 v6, v1, v6
	v_cndmask_b32_e32 v45, v45, v48, vcc_lo
	v_lshlrev_b32_e32 v48, 16, v80
	v_cmp_u_f32_e32 vcc_lo, v3, v3
	v_add3_u32 v47, v47, v4, 0x7fff
	v_bfe_u32 v3, v6, 16, 1
	v_lshlrev_b32_e32 v62, 16, v62
	v_mul_f32_e32 v48, v5, v48
	v_cndmask_b32_e32 v49, v2, v49, vcc_lo
	v_cmp_u_f32_e32 vcc_lo, v4, v4
	v_and_b32_e32 v2, 0xffff0000, v8
	v_lshlrev_b32_e32 v8, 16, v78
	v_add3_u32 v3, v3, v6, 0x7fff
	v_or_b32_e32 v51, 0x400000, v48
	v_cndmask_b32_e32 v4, v47, v50, vcc_lo
	v_bfe_u32 v47, v48, 16, 1
	v_or_b32_e32 v50, 0x400000, v6
	v_mul_f32_e32 v78, v2, v8
	v_and_b32_e32 v8, 0xffff0000, v7
	v_lshlrev_b32_e32 v7, 16, v79
	v_cmp_u_f32_e32 vcc_lo, v6, v6
	v_add3_u32 v47, v47, v48, 0x7fff
	v_and_b32_e32 v6, 0xffff0000, v46
	v_or_b32_e32 v46, 0x400000, v78
	v_mul_f32_e32 v7, v8, v7
	v_cndmask_b32_e32 v50, v3, v50, vcc_lo
	v_cmp_u_f32_e32 vcc_lo, v48, v48
	v_bfe_u32 v48, v78, 16, 1
	v_and_b32_e32 v3, 0xffff0000, v45
	v_mul_f32_e32 v20, v6, v20
	v_and_b32_e32 v4, 0xffff0000, v4
	v_cndmask_b32_e32 v47, v47, v51, vcc_lo
	v_add3_u32 v45, v48, v78, 0x7fff
	v_bfe_u32 v48, v7, 16, 1
	v_mul_f32_e32 v19, v3, v19
	v_cmp_u_f32_e32 vcc_lo, v78, v78
	v_bfe_u32 v78, v20, 16, 1
	v_mul_f32_e32 v77, v4, v77
	v_and_b32_e32 v47, 0xffff0000, v47
	v_bfe_u32 v51, v19, 16, 1
	v_cndmask_b32_e32 v45, v45, v46, vcc_lo
	v_add3_u32 v46, v48, v7, 0x7fff
	v_or_b32_e32 v48, 0x400000, v7
	v_cmp_u_f32_e32 vcc_lo, v7, v7
	v_and_b32_e32 v7, 0xffff0000, v49
	v_lshlrev_b32_e32 v49, 16, v76
	v_add3_u32 v78, v78, v20, 0x7fff
	v_or_b32_e32 v76, 0x400000, v20
	v_cndmask_b32_e32 v46, v46, v48, vcc_lo
	v_add3_u32 v48, v51, v19, 0x7fff
	v_or_b32_e32 v51, 0x400000, v19
	v_cmp_u_f32_e32 vcc_lo, v19, v19
	v_bfe_u32 v79, v77, 16, 1
	v_and_b32_e32 v46, 0xffff0000, v46
	v_and_b32_e32 v45, 0xffff0000, v45
	;; [unrolled: 1-line block ×3, first 2 shown]
	v_cndmask_b32_e32 v19, v48, v51, vcc_lo
	v_mul_f32_e32 v48, v7, v49
	v_cmp_u_f32_e32 vcc_lo, v20, v20
	v_add3_u32 v49, v79, v77, 0x7fff
	v_or_b32_e32 v51, 0x400000, v77
	v_add_f32_e32 v45, v46, v45
	v_lshlrev_b32_e32 v46, 16, v75
	v_cndmask_b32_e32 v20, v78, v76, vcc_lo
	v_bfe_u32 v76, v48, 16, 1
	v_cmp_u_f32_e32 vcc_lo, v77, v77
	v_add_f32_e32 v47, v47, v50
	v_and_b32_e32 v19, 0xffff0000, v19
	v_and_b32_e32 v20, 0xffff0000, v20
	v_lshlrev_b32_e32 v50, 16, v74
	v_cndmask_b32_e32 v49, v49, v51, vcc_lo
	v_add3_u32 v51, v76, v48, 0x7fff
	v_or_b32_e32 v76, 0x400000, v48
	v_cmp_u_f32_e32 vcc_lo, v48, v48
	v_mul_f32_e32 v46, v1, v46
	v_add_f32_e32 v45, v45, v47
	v_add_f32_e32 v19, v20, v19
	v_mul_f32_e32 v20, v5, v50
	v_cndmask_b32_e32 v48, v51, v76, vcc_lo
	v_lshlrev_b32_e32 v50, 16, v71
	v_cmp_u_f32_e32 vcc_lo, v46, v46
	v_add_f32_e32 v19, v19, v45
	v_bfe_u32 v45, v20, 16, 1
	v_and_b32_e32 v47, 0xffff0000, v48
	v_and_b32_e32 v48, 0xffff0000, v49
	v_bfe_u32 v49, v46, 16, 1
	v_mul_f32_e32 v50, v2, v50
	v_add3_u32 v45, v45, v20, 0x7fff
	v_or_b32_e32 v51, 0x400000, v20
	v_add_f32_e32 v47, v47, v48
	v_add3_u32 v48, v49, v46, 0x7fff
	v_or_b32_e32 v49, 0x400000, v46
	v_lshlrev_b32_e32 v71, 16, v73
	v_lshlrev_b32_e32 v57, 16, v57
	v_add_f32_e32 v19, v47, v19
	v_lshlrev_b32_e32 v52, 16, v52
	v_cndmask_b32_e32 v46, v48, v49, vcc_lo
	v_cmp_u_f32_e32 vcc_lo, v20, v20
	v_bfe_u32 v48, v50, 16, 1
	v_lshlrev_b32_e32 v49, 16, v68
	v_lshlrev_b32_e32 v68, 16, v69
	v_and_b32_e32 v46, 0xffff0000, v46
	v_cndmask_b32_e32 v20, v45, v51, vcc_lo
	v_mul_f32_e32 v45, v8, v71
	v_add3_u32 v48, v48, v50, 0x7fff
	v_or_b32_e32 v51, 0x400000, v50
	v_mul_f32_e32 v49, v3, v49
	v_cmp_u_f32_e32 vcc_lo, v50, v50
	v_bfe_u32 v69, v45, 16, 1
	v_mul_f32_e32 v50, v6, v68
	v_or_b32_e32 v68, 0x400000, v45
	v_lshlrev_b32_e32 v71, 16, v72
	v_cndmask_b32_e32 v48, v48, v51, vcc_lo
	v_add3_u32 v51, v69, v45, 0x7fff
	v_bfe_u32 v69, v49, 16, 1
	v_cmp_u_f32_e32 vcc_lo, v45, v45
	v_bfe_u32 v72, v50, 16, 1
	v_and_b32_e32 v20, 0xffff0000, v20
	v_and_b32_e32 v48, 0xffff0000, v48
	v_add_f32_e32 v24, v24, v19
	v_cndmask_b32_e32 v45, v51, v68, vcc_lo
	v_add3_u32 v51, v69, v49, 0x7fff
	v_mul_f32_e32 v68, v4, v71
	v_or_b32_e32 v69, 0x400000, v49
	v_cmp_u_f32_e32 vcc_lo, v49, v49
	v_add3_u32 v71, v72, v50, 0x7fff
	v_or_b32_e32 v72, 0x400000, v50
	v_bfe_u32 v73, v68, 16, 1
	v_and_b32_e32 v45, 0xffff0000, v45
	v_cndmask_b32_e32 v49, v51, v69, vcc_lo
	v_mul_f32_e32 v51, v7, v70
	v_cmp_u_f32_e32 vcc_lo, v50, v50
	v_add3_u32 v69, v73, v68, 0x7fff
	v_or_b32_e32 v70, 0x400000, v68
	v_add_f32_e32 v20, v20, v46
	v_add_f32_e32 v45, v45, v48
	v_cndmask_b32_e32 v50, v71, v72, vcc_lo
	v_bfe_u32 v71, v51, 16, 1
	v_cmp_u_f32_e32 vcc_lo, v68, v68
	v_and_b32_e32 v48, 0xffff0000, v49
	v_add_f32_e32 v20, v45, v20
	v_and_b32_e32 v46, 0xffff0000, v50
	v_lshlrev_b32_e32 v45, 16, v67
	v_cndmask_b32_e32 v68, v69, v70, vcc_lo
	v_add3_u32 v69, v71, v51, 0x7fff
	v_or_b32_e32 v70, 0x400000, v51
	v_cmp_u_f32_e32 vcc_lo, v51, v51
	v_add_f32_e32 v46, v46, v48
	v_lshlrev_b32_e32 v48, 16, v66
	v_and_b32_e32 v50, 0xffff0000, v68
	v_mul_f32_e32 v45, v1, v45
	v_cndmask_b32_e32 v49, v69, v70, vcc_lo
	v_add_f32_e32 v20, v46, v20
	v_mul_f32_e32 v47, v5, v48
	v_lshlrev_b32_e32 v51, 16, v65
	v_bfe_u32 v48, v45, 16, 1
	v_and_b32_e32 v49, 0xffff0000, v49
	v_cmp_u_f32_e32 vcc_lo, v45, v45
	v_lshlrev_b32_e32 v53, 16, v53
	v_lshlrev_b32_e32 v44, 16, v44
	;; [unrolled: 1-line block ×3, first 2 shown]
	v_add_f32_e32 v46, v49, v50
	v_bfe_u32 v49, v47, 16, 1
	v_lshlrev_b32_e32 v50, 16, v63
	v_mul_f32_e32 v44, v1, v44
	v_lshlrev_b32_e32 v40, 16, v40
	v_add_f32_e32 v19, v46, v20
	v_add3_u32 v20, v48, v45, 0x7fff
	v_or_b32_e32 v46, 0x400000, v45
	v_add3_u32 v48, v49, v47, 0x7fff
	v_mul_f32_e32 v49, v2, v50
	v_or_b32_e32 v50, 0x400000, v47
	v_mul_f32_e32 v43, v5, v43
	v_cndmask_b32_e32 v20, v20, v46, vcc_lo
	v_cmp_u_f32_e32 vcc_lo, v47, v47
	v_bfe_u32 v45, v49, 16, 1
	v_mul_f32_e32 v47, v8, v51
	v_lshlrev_b32_e32 v51, 16, v61
	v_lshlrev_b32_e32 v61, 16, v64
	v_cndmask_b32_e32 v46, v48, v50, vcc_lo
	v_lshlrev_b32_e32 v48, 16, v60
	v_add3_u32 v45, v45, v49, 0x7fff
	v_or_b32_e32 v50, 0x400000, v49
	v_bfe_u32 v60, v47, 16, 1
	v_cmp_u_f32_e32 vcc_lo, v49, v49
	v_mul_f32_e32 v48, v3, v48
	v_mul_f32_e32 v49, v6, v51
	v_or_b32_e32 v51, 0x400000, v47
	v_and_b32_e32 v46, 0xffff0000, v46
	v_cndmask_b32_e32 v45, v45, v50, vcc_lo
	v_add3_u32 v50, v60, v47, 0x7fff
	v_bfe_u32 v60, v48, 16, 1
	v_cmp_u_f32_e32 vcc_lo, v47, v47
	v_bfe_u32 v63, v49, 16, 1
	v_and_b32_e32 v20, 0xffff0000, v20
	v_and_b32_e32 v45, 0xffff0000, v45
	v_mul_f32_e32 v40, v2, v40
	v_cndmask_b32_e32 v47, v50, v51, vcc_lo
	v_add3_u32 v50, v60, v48, 0x7fff
	v_mul_f32_e32 v51, v4, v61
	v_or_b32_e32 v60, 0x400000, v48
	v_cmp_u_f32_e32 vcc_lo, v48, v48
	v_add3_u32 v61, v63, v49, 0x7fff
	v_or_b32_e32 v63, 0x400000, v49
	v_bfe_u32 v64, v51, 16, 1
	v_and_b32_e32 v47, 0xffff0000, v47
	v_cndmask_b32_e32 v48, v50, v60, vcc_lo
	v_mul_f32_e32 v50, v7, v62
	v_cmp_u_f32_e32 vcc_lo, v49, v49
	v_add3_u32 v60, v64, v51, 0x7fff
	v_add_f32_e32 v20, v46, v20
	v_add_f32_e32 v45, v47, v45
	v_bfe_u32 v62, v50, 16, 1
	v_cndmask_b32_e32 v49, v61, v63, vcc_lo
	v_or_b32_e32 v61, 0x400000, v51
	v_cmp_u_f32_e32 vcc_lo, v51, v51
	v_and_b32_e32 v47, 0xffff0000, v48
	v_lshlrev_b32_e32 v48, 16, v59
	v_and_b32_e32 v46, 0xffff0000, v49
	v_add_f32_e32 v20, v45, v20
	v_cndmask_b32_e32 v51, v60, v61, vcc_lo
	v_add3_u32 v60, v62, v50, 0x7fff
	v_or_b32_e32 v61, 0x400000, v50
	v_cmp_u_f32_e32 vcc_lo, v50, v50
	v_lshlrev_b32_e32 v50, 16, v58
	v_add_f32_e32 v45, v46, v47
	v_mul_f32_e32 v46, v1, v48
	v_lshlrev_b32_e32 v42, 16, v42
	v_cndmask_b32_e32 v49, v60, v61, vcc_lo
	v_mul_f32_e32 v48, v5, v50
	v_lshlrev_b32_e32 v50, 16, v55
	v_add_f32_e32 v20, v45, v20
	v_cmp_u_f32_e32 vcc_lo, v46, v46
	v_and_b32_e32 v47, 0xffff0000, v49
	v_and_b32_e32 v49, 0xffff0000, v51
	v_bfe_u32 v51, v46, 16, 1
	v_bfe_u32 v55, v48, 16, 1
	v_lshlrev_b32_e32 v38, 16, v38
	v_mul_f32_e32 v42, v8, v42
	v_add_f32_e32 v45, v47, v49
	v_mul_f32_e32 v47, v2, v50
	v_add3_u32 v49, v51, v46, 0x7fff
	v_or_b32_e32 v50, 0x400000, v46
	v_add3_u32 v51, v55, v48, 0x7fff
	v_or_b32_e32 v55, 0x400000, v48
	v_bfe_u32 v58, v47, 16, 1
	v_mul_f32_e32 v38, v3, v38
	v_cndmask_b32_e32 v46, v49, v50, vcc_lo
	v_cmp_u_f32_e32 vcc_lo, v48, v48
	v_mul_f32_e32 v49, v8, v57
	v_add3_u32 v50, v58, v47, 0x7fff
	v_lshlrev_b32_e32 v37, 16, v37
	v_and_b32_e32 v46, 0xffff0000, v46
	v_cndmask_b32_e32 v48, v51, v55, vcc_lo
	v_or_b32_e32 v51, 0x400000, v47
	v_cmp_u_f32_e32 vcc_lo, v47, v47
	v_bfe_u32 v55, v49, 16, 1
	v_lshlrev_b32_e32 v41, 16, v41
	v_and_b32_e32 v48, 0xffff0000, v48
	v_mul_f32_e32 v37, v6, v37
	v_cndmask_b32_e32 v47, v50, v51, vcc_lo
	v_mul_f32_e32 v50, v3, v52
	v_mul_f32_e32 v51, v6, v53
	v_add3_u32 v52, v55, v49, 0x7fff
	v_or_b32_e32 v53, 0x400000, v49
	v_lshlrev_b32_e32 v55, 16, v56
	v_bfe_u32 v56, v50, 16, 1
	v_cmp_u_f32_e32 vcc_lo, v49, v49
	v_bfe_u32 v57, v51, 16, 1
	v_and_b32_e32 v47, 0xffff0000, v47
	v_add_f32_e32 v46, v48, v46
	v_mul_f32_e32 v41, v4, v41
	v_cndmask_b32_e32 v49, v52, v53, vcc_lo
	v_mul_f32_e32 v52, v4, v55
	v_add3_u32 v53, v56, v50, 0x7fff
	v_or_b32_e32 v55, 0x400000, v50
	v_cmp_u_f32_e32 vcc_lo, v50, v50
	v_add3_u32 v56, v57, v51, 0x7fff
	v_or_b32_e32 v57, 0x400000, v51
	v_bfe_u32 v58, v52, 16, 1
	v_and_b32_e32 v49, 0xffff0000, v49
	v_cndmask_b32_e32 v50, v53, v55, vcc_lo
	v_lshlrev_b32_e32 v53, 16, v54
	v_cmp_u_f32_e32 vcc_lo, v51, v51
	v_add3_u32 v54, v58, v52, 0x7fff
	v_or_b32_e32 v55, 0x400000, v52
	v_add_f32_e32 v47, v49, v47
	v_mul_f32_e32 v53, v7, v53
	v_cndmask_b32_e32 v51, v56, v57, vcc_lo
	v_cmp_u_f32_e32 vcc_lo, v52, v52
	v_and_b32_e32 v49, 0xffff0000, v50
	v_add_f32_e32 v46, v47, v46
	v_lshlrev_b32_e32 v39, 16, v39
	v_and_b32_e32 v48, 0xffff0000, v51
	v_cndmask_b32_e32 v52, v54, v55, vcc_lo
	v_bfe_u32 v54, v53, 16, 1
	v_or_b32_e32 v51, 0x400000, v53
	v_cmp_u_f32_e32 vcc_lo, v53, v53
	v_add_f32_e32 v47, v48, v49
	v_bfe_u32 v49, v44, 16, 1
	v_add3_u32 v50, v54, v53, 0x7fff
	v_mul_f32_e32 v39, v7, v39
	v_lshlrev_b32_e32 v16, 16, v16
	v_add_f32_e32 v46, v47, v46
	v_lshlrev_b32_e32 v15, 16, v15
	v_cndmask_b32_e32 v48, v50, v51, vcc_lo
	v_bfe_u32 v51, v43, 16, 1
	v_cmp_u_f32_e32 vcc_lo, v44, v44
	v_and_b32_e32 v50, 0xffff0000, v52
	v_or_b32_e32 v52, 0x400000, v40
	v_and_b32_e32 v47, 0xffff0000, v48
	v_add3_u32 v48, v49, v44, 0x7fff
	v_or_b32_e32 v49, 0x400000, v44
	v_mul_f32_e32 v2, v2, v16
	v_mul_f32_e32 v6, v6, v15
	v_lshlrev_b32_e32 v9, 16, v9
	v_lshlrev_b32_e32 v17, 16, v17
	v_cndmask_b32_e32 v44, v48, v49, vcc_lo
	v_bfe_u32 v48, v40, 16, 1
	v_add3_u32 v49, v51, v43, 0x7fff
	v_or_b32_e32 v51, 0x400000, v43
	v_cmp_u_f32_e32 vcc_lo, v43, v43
	v_and_b32_e32 v44, 0xffff0000, v44
	v_add3_u32 v48, v48, v40, 0x7fff
	v_mul_f32_e32 v3, v3, v9
	v_lshlrev_b32_e32 v9, 16, v18
	v_cndmask_b32_e32 v43, v49, v51, vcc_lo
	v_bfe_u32 v49, v42, 16, 1
	v_cmp_u_f32_e32 vcc_lo, v40, v40
	v_or_b32_e32 v51, 0x400000, v42
	v_mul_f32_e32 v7, v7, v9
	v_and_b32_e32 v43, 0xffff0000, v43
	v_add3_u32 v49, v49, v42, 0x7fff
	v_cndmask_b32_e32 v40, v48, v52, vcc_lo
	v_bfe_u32 v48, v38, 16, 1
	v_cmp_u_f32_e32 vcc_lo, v42, v42
	v_or_b32_e32 v52, 0x400000, v38
	v_add_f32_e32 v43, v43, v44
	v_and_b32_e32 v40, 0xffff0000, v40
	v_add3_u32 v48, v48, v38, 0x7fff
	v_cndmask_b32_e32 v42, v49, v51, vcc_lo
	v_bfe_u32 v49, v37, 16, 1
	v_cmp_u_f32_e32 vcc_lo, v38, v38
	v_bfe_u32 v51, v41, 16, 1
	v_mul_f32_e32 v4, v4, v17
	v_and_b32_e32 v42, 0xffff0000, v42
	v_or_b32_e32 v9, 0x400000, v6
	v_cndmask_b32_e32 v38, v48, v52, vcc_lo
	v_add3_u32 v48, v49, v37, 0x7fff
	v_or_b32_e32 v49, 0x400000, v37
	v_cmp_u_f32_e32 vcc_lo, v37, v37
	v_add3_u32 v51, v51, v41, 0x7fff
	v_or_b32_e32 v52, 0x400000, v41
	v_add_f32_e32 v40, v42, v40
	v_and_b32_e32 v38, 0xffff0000, v38
	v_cndmask_b32_e32 v37, v48, v49, vcc_lo
	v_cmp_u_f32_e32 vcc_lo, v41, v41
	v_bfe_u32 v48, v39, 16, 1
	v_lshlrev_b32_e32 v42, 16, v83
	v_or_b32_e32 v49, 0x400000, v39
	v_and_b32_e32 v37, 0xffff0000, v37
	v_cndmask_b32_e32 v41, v51, v52, vcc_lo
	v_lshlrev_b32_e32 v51, 16, v84
	v_add3_u32 v48, v48, v39, 0x7fff
	v_cmp_u_f32_e32 vcc_lo, v39, v39
	v_add_f32_e32 v40, v40, v43
	v_add_f32_e32 v37, v37, v38
	v_mul_f32_e32 v5, v5, v51
	v_mul_f32_e32 v1, v1, v42
	v_lshlrev_b32_e32 v38, 16, v82
	v_cndmask_b32_e32 v39, v48, v49, vcc_lo
	v_or_b32_e32 v17, 0x400000, v3
	v_bfe_u32 v43, v5, 16, 1
	v_bfe_u32 v44, v1, 16, 1
	v_mul_f32_e32 v8, v8, v38
	v_cmp_u_f32_e32 vcc_lo, v5, v5
	v_bfe_u32 v18, v7, 16, 1
	v_add3_u32 v42, v43, v5, 0x7fff
	v_or_b32_e32 v43, 0x400000, v5
	v_add3_u32 v38, v44, v1, 0x7fff
	v_and_b32_e32 v39, 0xffff0000, v39
	v_add_nc_u32_e32 v36, 4, v36
	v_add_co_u32 v13, s0, v13, 16
	v_cndmask_b32_e32 v5, v42, v43, vcc_lo
	v_or_b32_e32 v42, 0x400000, v1
	v_bfe_u32 v43, v8, 16, 1
	v_cmp_u_f32_e32 vcc_lo, v1, v1
	v_add_f32_e32 v25, v25, v19
	v_and_b32_e32 v5, 0xffff0000, v5
	v_add_nc_u32_e32 v29, 32, v29
	v_add3_u32 v16, v43, v8, 0x7fff
	v_cndmask_b32_e32 v1, v38, v42, vcc_lo
	v_or_b32_e32 v38, 0x400000, v8
	v_bfe_u32 v42, v2, 16, 1
	v_cmp_u_f32_e32 vcc_lo, v8, v8
	v_add_nc_u32_e32 v30, 0x80, v30
	v_and_b32_e32 v1, 0xffff0000, v1
	v_add_co_ci_u32_e64 v14, null, 0, v14, s0
	v_cndmask_b32_e32 v8, v16, v38, vcc_lo
	v_add3_u32 v15, v42, v2, 0x7fff
	v_or_b32_e32 v16, 0x400000, v2
	v_bfe_u32 v38, v6, 16, 1
	v_cmp_u_f32_e32 vcc_lo, v2, v2
	v_and_b32_e32 v8, 0xffff0000, v8
	v_add_f32_e32 v1, v5, v1
	v_cndmask_b32_e32 v2, v15, v16, vcc_lo
	v_bfe_u32 v15, v3, 16, 1
	v_add3_u32 v16, v38, v6, 0x7fff
	v_cmp_u_f32_e32 vcc_lo, v6, v6
	v_bfe_u32 v38, v4, 16, 1
	v_and_b32_e32 v2, 0xffff0000, v2
	v_add3_u32 v15, v15, v3, 0x7fff
	v_cndmask_b32_e32 v6, v16, v9, vcc_lo
	v_cmp_u_f32_e32 vcc_lo, v3, v3
	v_or_b32_e32 v16, 0x400000, v4
	v_add3_u32 v9, v18, v7, 0x7fff
	v_add_f32_e32 v2, v8, v2
	v_and_b32_e32 v5, 0xffff0000, v6
	v_cndmask_b32_e32 v3, v15, v17, vcc_lo
	v_add3_u32 v15, v38, v4, 0x7fff
	v_cmp_u_f32_e32 vcc_lo, v4, v4
	v_or_b32_e32 v17, 0x400000, v7
	v_add_f32_e32 v1, v2, v1
	v_and_b32_e32 v3, 0xffff0000, v3
	v_cndmask_b32_e32 v4, v15, v16, vcc_lo
	v_cmp_u_f32_e32 vcc_lo, v7, v7
	v_and_b32_e32 v7, 0xffff0000, v41
	v_add_f32_e32 v2, v5, v3
	v_add_f32_e32 v5, v47, v50
	v_and_b32_e32 v3, 0xffff0000, v4
	v_cndmask_b32_e32 v6, v9, v17, vcc_lo
	v_add_f32_e32 v7, v39, v7
	v_add_f32_e32 v1, v2, v1
	v_cmp_le_i32_e32 vcc_lo, s12, v36
	v_and_b32_e32 v4, 0xffff0000, v6
	v_add_f32_e32 v6, v37, v40
	s_or_b32 s14, vcc_lo, s14
	v_add_f32_e32 v2, v4, v3
	v_add_f32_e32 v3, v45, v20
	;; [unrolled: 1-line block ×9, first 2 shown]
	s_andn2_b32 exec_lo, exec_lo, s14
	s_cbranch_execz .LBB320_786
.LBB320_414:                            ; =>This Inner Loop Header: Depth=1
	global_load_dword v1, v[13:14], off
	v_mov_b32_e32 v39, 0
	s_waitcnt vmcnt(0)
	v_mad_i64_i32 v[15:16], null, v1, s4, v[11:12]
	global_load_dwordx2 v[17:18], v[15:16], off
	ds_read2_b64 v[5:8], v30 offset1:1
	ds_read2_b64 v[1:4], v30 offset0:2 offset1:3
	s_waitcnt vmcnt(0)
	v_cmp_ne_u16_sdwa s15, v17, v10 src0_sel:BYTE_0 src1_sel:DWORD
	s_and_saveexec_b32 s0, s15
	s_cbranch_execz .LBB320_420
; %bb.415:                              ;   in Loop: Header=BB320_414 Depth=1
	v_cmp_ne_u16_sdwa s16, v17, v31 src0_sel:BYTE_0 src1_sel:DWORD
	v_bfrev_b32_e32 v39, 1
	s_and_saveexec_b32 s15, s16
	s_cbranch_execz .LBB320_419
; %bb.416:                              ;   in Loop: Header=BB320_414 Depth=1
	v_and_b32_e32 v9, 0x7f, v17
	v_mov_b32_e32 v39, 0x7f800001
	s_mov_b32 s16, exec_lo
	v_cmpx_ne_u32_e32 0x7f, v9
	s_cbranch_execz .LBB320_418
; %bb.417:                              ;   in Loop: Header=BB320_414 Depth=1
	v_and_b32_e32 v19, 7, v17
	v_lshrrev_b32_e32 v20, 3, v9
	v_cmp_gt_u32_e32 vcc_lo, 8, v9
	v_ffbh_u32_e32 v19, v19
	v_min_u32_e32 v19, 32, v19
	v_subrev_nc_u32_e32 v37, 28, v19
	v_sub_nc_u32_e32 v19, 29, v19
	v_cndmask_b32_e32 v9, v20, v19, vcc_lo
	v_cndmask_b32_e32 v19, 0, v37, vcc_lo
	v_lshl_add_u32 v9, v9, 23, 0x3c000000
	v_lshlrev_b64 v[19:20], v19, v[17:18]
	v_lshlrev_b32_e32 v20, 24, v17
	v_lshlrev_b32_e32 v19, 20, v19
	v_and_b32_e32 v20, 0x80000000, v20
	v_and_b32_e32 v19, 0x700000, v19
	v_or3_b32 v39, v19, v20, v9
.LBB320_418:                            ;   in Loop: Header=BB320_414 Depth=1
	s_or_b32 exec_lo, exec_lo, s16
.LBB320_419:                            ;   in Loop: Header=BB320_414 Depth=1
	s_or_b32 exec_lo, exec_lo, s15
.LBB320_420:                            ;   in Loop: Header=BB320_414 Depth=1
	s_or_b32 exec_lo, exec_lo, s0
	v_cmp_ne_u16_sdwa s15, v17, v10 src0_sel:BYTE_1 src1_sel:DWORD
	v_mov_b32_e32 v38, 0
	v_mov_b32_e32 v37, 0
	s_and_saveexec_b32 s0, s15
	s_cbranch_execz .LBB320_428
; %bb.421:                              ;   in Loop: Header=BB320_414 Depth=1
	v_cmp_ne_u16_sdwa s16, v17, v31 src0_sel:BYTE_1 src1_sel:DWORD
	v_bfrev_b32_e32 v37, 1
	s_and_saveexec_b32 s15, s16
	s_cbranch_execz .LBB320_427
; %bb.422:                              ;   in Loop: Header=BB320_414 Depth=1
	v_and_b32_sdwa v9, v32, v17 dst_sel:DWORD dst_unused:UNUSED_PAD src0_sel:DWORD src1_sel:BYTE_1
	v_mov_b32_e32 v37, 0x7f800001
	s_mov_b32 s16, exec_lo
	v_and_b32_e32 v20, 0x7f, v9
	v_cmpx_ne_u32_e32 0x7f, v20
	s_cbranch_execz .LBB320_426
; %bb.423:                              ;   in Loop: Header=BB320_414 Depth=1
	v_and_b32_e32 v9, 7, v9
	v_lshrrev_b32_e32 v19, 3, v20
	s_mov_b32 s17, exec_lo
	v_cmpx_gt_u32_e32 8, v20
; %bb.424:                              ;   in Loop: Header=BB320_414 Depth=1
	v_ffbh_u32_e32 v19, v9
	v_min_u32_e32 v19, 32, v19
	v_subrev_nc_u32_e32 v20, 28, v19
	v_sub_nc_u32_e32 v19, 29, v19
	v_lshlrev_b64 v[40:41], v20, v[9:10]
	v_and_b32_e32 v9, 7, v40
; %bb.425:                              ;   in Loop: Header=BB320_414 Depth=1
	s_or_b32 exec_lo, exec_lo, s17
	v_lshlrev_b32_e32 v20, 16, v17
	v_lshlrev_b32_e32 v9, 20, v9
	v_lshl_add_u32 v19, v19, 23, 0x3c000000
	v_and_b32_e32 v20, 0x80000000, v20
	v_or3_b32 v37, v9, v20, v19
.LBB320_426:                            ;   in Loop: Header=BB320_414 Depth=1
	s_or_b32 exec_lo, exec_lo, s16
.LBB320_427:                            ;   in Loop: Header=BB320_414 Depth=1
	s_or_b32 exec_lo, exec_lo, s15
.LBB320_428:                            ;   in Loop: Header=BB320_414 Depth=1
	s_or_b32 exec_lo, exec_lo, s0
	v_and_b32_sdwa v9, v17, v33 dst_sel:DWORD dst_unused:UNUSED_PAD src0_sel:WORD_1 src1_sel:DWORD
	s_mov_b32 s0, exec_lo
	v_cmpx_ne_u16_e32 0, v9
	s_cbranch_execz .LBB320_436
; %bb.429:                              ;   in Loop: Header=BB320_414 Depth=1
	v_bfrev_b32_e32 v38, 1
	s_mov_b32 s15, exec_lo
	v_cmpx_ne_u16_e32 0x80, v9
	s_cbranch_execz .LBB320_435
; %bb.430:                              ;   in Loop: Header=BB320_414 Depth=1
	v_bfe_u32 v20, v17, 16, 7
	v_mov_b32_e32 v38, 0x7f800001
	s_mov_b32 s16, exec_lo
	v_cmpx_ne_u32_e32 0x7f, v20
	s_cbranch_execz .LBB320_434
; %bb.431:                              ;   in Loop: Header=BB320_414 Depth=1
	v_and_b32_sdwa v9, v17, v34 dst_sel:DWORD dst_unused:UNUSED_PAD src0_sel:WORD_1 src1_sel:DWORD
	v_lshrrev_b32_e32 v19, 3, v20
	s_mov_b32 s17, exec_lo
	v_cmpx_gt_u32_e32 8, v20
; %bb.432:                              ;   in Loop: Header=BB320_414 Depth=1
	v_ffbh_u32_e32 v19, v9
	v_min_u32_e32 v19, 32, v19
	v_subrev_nc_u32_e32 v20, 28, v19
	v_sub_nc_u32_e32 v19, 29, v19
	v_lshlrev_b64 v[40:41], v20, v[9:10]
	v_and_b32_e32 v9, 7, v40
; %bb.433:                              ;   in Loop: Header=BB320_414 Depth=1
	s_or_b32 exec_lo, exec_lo, s17
	v_lshlrev_b32_sdwa v20, v35, v17 dst_sel:DWORD dst_unused:UNUSED_PAD src0_sel:DWORD src1_sel:WORD_1
	v_lshlrev_b32_e32 v9, 20, v9
	v_lshl_add_u32 v19, v19, 23, 0x3c000000
	v_and_b32_e32 v20, 0x80000000, v20
	v_or3_b32 v38, v9, v20, v19
.LBB320_434:                            ;   in Loop: Header=BB320_414 Depth=1
	s_or_b32 exec_lo, exec_lo, s16
.LBB320_435:                            ;   in Loop: Header=BB320_414 Depth=1
	s_or_b32 exec_lo, exec_lo, s15
.LBB320_436:                            ;   in Loop: Header=BB320_414 Depth=1
	s_or_b32 exec_lo, exec_lo, s0
	v_mov_b32_e32 v40, 0
	v_mov_b32_e32 v41, 0
	s_mov_b32 s0, exec_lo
	v_cmpx_lt_u32_e32 0xffffff, v17
	s_cbranch_execz .LBB320_444
; %bb.437:                              ;   in Loop: Header=BB320_414 Depth=1
	v_cmp_ne_u32_sdwa s16, v17, v31 src0_sel:BYTE_3 src1_sel:DWORD
	v_bfrev_b32_e32 v41, 1
	s_and_saveexec_b32 s15, s16
	s_cbranch_execz .LBB320_443
; %bb.438:                              ;   in Loop: Header=BB320_414 Depth=1
	v_bfe_u32 v20, v17, 24, 7
	v_mov_b32_e32 v41, 0x7f800001
	s_mov_b32 s16, exec_lo
	v_cmpx_ne_u32_e32 0x7f, v20
	s_cbranch_execz .LBB320_442
; %bb.439:                              ;   in Loop: Header=BB320_414 Depth=1
	v_and_b32_sdwa v9, v17, v34 dst_sel:DWORD dst_unused:UNUSED_PAD src0_sel:BYTE_3 src1_sel:DWORD
	v_lshrrev_b32_e32 v19, 3, v20
	s_mov_b32 s17, exec_lo
	v_cmpx_gt_u32_e32 8, v20
; %bb.440:                              ;   in Loop: Header=BB320_414 Depth=1
	v_ffbh_u32_e32 v19, v9
	v_min_u32_e32 v19, 32, v19
	v_subrev_nc_u32_e32 v20, 28, v19
	v_sub_nc_u32_e32 v19, 29, v19
	v_lshlrev_b64 v[41:42], v20, v[9:10]
	v_and_b32_e32 v9, 7, v41
; %bb.441:                              ;   in Loop: Header=BB320_414 Depth=1
	s_or_b32 exec_lo, exec_lo, s17
	v_lshlrev_b32_sdwa v20, v35, v17 dst_sel:DWORD dst_unused:UNUSED_PAD src0_sel:DWORD src1_sel:BYTE_3
	v_lshlrev_b32_e32 v9, 20, v9
	v_lshl_add_u32 v19, v19, 23, 0x3c000000
	v_and_b32_e32 v20, 0x80000000, v20
	v_or3_b32 v41, v9, v20, v19
.LBB320_442:                            ;   in Loop: Header=BB320_414 Depth=1
	s_or_b32 exec_lo, exec_lo, s16
.LBB320_443:                            ;   in Loop: Header=BB320_414 Depth=1
	s_or_b32 exec_lo, exec_lo, s15
.LBB320_444:                            ;   in Loop: Header=BB320_414 Depth=1
	s_or_b32 exec_lo, exec_lo, s0
	v_mov_b32_e32 v9, v18
	v_cmp_ne_u16_sdwa s15, v18, v10 src0_sel:BYTE_0 src1_sel:DWORD
	s_and_saveexec_b32 s0, s15
	s_cbranch_execz .LBB320_450
; %bb.445:                              ;   in Loop: Header=BB320_414 Depth=1
	v_cmp_ne_u16_sdwa s16, v18, v31 src0_sel:BYTE_0 src1_sel:DWORD
	v_bfrev_b32_e32 v40, 1
	s_and_saveexec_b32 s15, s16
	s_cbranch_execz .LBB320_449
; %bb.446:                              ;   in Loop: Header=BB320_414 Depth=1
	v_and_b32_e32 v19, 0x7f, v18
	v_mov_b32_e32 v40, 0x7f800001
	s_mov_b32 s16, exec_lo
	v_cmpx_ne_u32_e32 0x7f, v19
	s_cbranch_execz .LBB320_448
; %bb.447:                              ;   in Loop: Header=BB320_414 Depth=1
	v_and_b32_e32 v20, 7, v18
	v_cmp_gt_u32_e32 vcc_lo, 8, v19
	v_lshrrev_b32_e32 v40, 3, v19
	v_ffbh_u32_e32 v20, v20
	v_min_u32_e32 v20, 32, v20
	v_subrev_nc_u32_e32 v42, 28, v20
	v_sub_nc_u32_e32 v20, 29, v20
	v_cndmask_b32_e32 v19, 0, v42, vcc_lo
	v_cndmask_b32_e32 v40, v40, v20, vcc_lo
	v_lshlrev_b64 v[19:20], v19, v[9:10]
	v_lshlrev_b32_e32 v20, 24, v9
	v_lshl_add_u32 v40, v40, 23, 0x3c000000
	v_lshlrev_b32_e32 v19, 20, v19
	v_and_b32_e32 v20, 0x80000000, v20
	v_and_b32_e32 v19, 0x700000, v19
	v_or3_b32 v40, v19, v20, v40
.LBB320_448:                            ;   in Loop: Header=BB320_414 Depth=1
	s_or_b32 exec_lo, exec_lo, s16
.LBB320_449:                            ;   in Loop: Header=BB320_414 Depth=1
	s_or_b32 exec_lo, exec_lo, s15
.LBB320_450:                            ;   in Loop: Header=BB320_414 Depth=1
	s_or_b32 exec_lo, exec_lo, s0
	v_cmp_ne_u16_sdwa s15, v9, v10 src0_sel:BYTE_1 src1_sel:DWORD
	v_mov_b32_e32 v42, 0
	v_mov_b32_e32 v19, 0
	s_and_saveexec_b32 s0, s15
	s_cbranch_execz .LBB320_458
; %bb.451:                              ;   in Loop: Header=BB320_414 Depth=1
	v_cmp_ne_u16_sdwa s16, v9, v31 src0_sel:BYTE_1 src1_sel:DWORD
	v_bfrev_b32_e32 v19, 1
	s_and_saveexec_b32 s15, s16
	s_cbranch_execz .LBB320_457
; %bb.452:                              ;   in Loop: Header=BB320_414 Depth=1
	v_and_b32_sdwa v20, v32, v9 dst_sel:DWORD dst_unused:UNUSED_PAD src0_sel:DWORD src1_sel:BYTE_1
	v_mov_b32_e32 v19, 0x7f800001
	s_mov_b32 s16, exec_lo
	v_and_b32_e32 v44, 0x7f, v20
	v_cmpx_ne_u32_e32 0x7f, v44
	s_cbranch_execz .LBB320_456
; %bb.453:                              ;   in Loop: Header=BB320_414 Depth=1
	v_and_b32_e32 v19, 7, v20
	v_mov_b32_e32 v20, v10
	v_lshrrev_b32_e32 v43, 3, v44
	s_mov_b32 s17, exec_lo
	v_cmpx_gt_u32_e32 8, v44
; %bb.454:                              ;   in Loop: Header=BB320_414 Depth=1
	v_ffbh_u32_e32 v43, v19
	v_min_u32_e32 v43, 32, v43
	v_subrev_nc_u32_e32 v44, 28, v43
	v_sub_nc_u32_e32 v43, 29, v43
	v_lshlrev_b64 v[19:20], v44, v[19:20]
	v_and_b32_e32 v19, 7, v19
; %bb.455:                              ;   in Loop: Header=BB320_414 Depth=1
	s_or_b32 exec_lo, exec_lo, s17
	v_lshlrev_b32_e32 v9, 16, v9
	v_lshlrev_b32_e32 v19, 20, v19
	v_lshl_add_u32 v20, v43, 23, 0x3c000000
	v_and_b32_e32 v9, 0x80000000, v9
	v_or3_b32 v19, v19, v9, v20
.LBB320_456:                            ;   in Loop: Header=BB320_414 Depth=1
	s_or_b32 exec_lo, exec_lo, s16
.LBB320_457:                            ;   in Loop: Header=BB320_414 Depth=1
	s_or_b32 exec_lo, exec_lo, s15
.LBB320_458:                            ;   in Loop: Header=BB320_414 Depth=1
	s_or_b32 exec_lo, exec_lo, s0
	v_and_b32_sdwa v9, v18, v33 dst_sel:DWORD dst_unused:UNUSED_PAD src0_sel:WORD_1 src1_sel:DWORD
	s_mov_b32 s0, exec_lo
	v_cmpx_ne_u16_e32 0, v9
	s_cbranch_execz .LBB320_466
; %bb.459:                              ;   in Loop: Header=BB320_414 Depth=1
	v_bfrev_b32_e32 v42, 1
	s_mov_b32 s15, exec_lo
	v_cmpx_ne_u16_e32 0x80, v9
	s_cbranch_execz .LBB320_465
; %bb.460:                              ;   in Loop: Header=BB320_414 Depth=1
	v_bfe_u32 v43, v18, 16, 7
	v_mov_b32_e32 v42, 0x7f800001
	s_mov_b32 s16, exec_lo
	v_cmpx_ne_u32_e32 0x7f, v43
	s_cbranch_execz .LBB320_464
; %bb.461:                              ;   in Loop: Header=BB320_414 Depth=1
	v_and_b32_sdwa v9, v18, v34 dst_sel:DWORD dst_unused:UNUSED_PAD src0_sel:WORD_1 src1_sel:DWORD
	v_lshrrev_b32_e32 v20, 3, v43
	s_mov_b32 s17, exec_lo
	v_cmpx_gt_u32_e32 8, v43
; %bb.462:                              ;   in Loop: Header=BB320_414 Depth=1
	v_ffbh_u32_e32 v20, v9
	v_min_u32_e32 v20, 32, v20
	v_subrev_nc_u32_e32 v42, 28, v20
	v_sub_nc_u32_e32 v20, 29, v20
	v_lshlrev_b64 v[42:43], v42, v[9:10]
	v_and_b32_e32 v9, 7, v42
; %bb.463:                              ;   in Loop: Header=BB320_414 Depth=1
	s_or_b32 exec_lo, exec_lo, s17
	v_lshlrev_b32_sdwa v42, v35, v18 dst_sel:DWORD dst_unused:UNUSED_PAD src0_sel:DWORD src1_sel:WORD_1
	v_lshlrev_b32_e32 v9, 20, v9
	v_lshl_add_u32 v20, v20, 23, 0x3c000000
	v_and_b32_e32 v42, 0x80000000, v42
	v_or3_b32 v42, v9, v42, v20
.LBB320_464:                            ;   in Loop: Header=BB320_414 Depth=1
	s_or_b32 exec_lo, exec_lo, s16
.LBB320_465:                            ;   in Loop: Header=BB320_414 Depth=1
	s_or_b32 exec_lo, exec_lo, s15
.LBB320_466:                            ;   in Loop: Header=BB320_414 Depth=1
	s_or_b32 exec_lo, exec_lo, s0
	v_mov_b32_e32 v9, 0
	s_mov_b32 s0, exec_lo
	v_cmpx_lt_u64_e64 s[2:3], v[17:18]
	s_cbranch_execz .LBB320_474
; %bb.467:                              ;   in Loop: Header=BB320_414 Depth=1
	v_cmp_ne_u32_sdwa s16, v18, v31 src0_sel:BYTE_3 src1_sel:DWORD
	v_bfrev_b32_e32 v9, 1
	s_and_saveexec_b32 s15, s16
	s_cbranch_execz .LBB320_473
; %bb.468:                              ;   in Loop: Header=BB320_414 Depth=1
	v_bfe_u32 v20, v18, 24, 7
	v_mov_b32_e32 v9, 0x7f800001
	s_mov_b32 s16, exec_lo
	v_cmpx_ne_u32_e32 0x7f, v20
	s_cbranch_execz .LBB320_472
; %bb.469:                              ;   in Loop: Header=BB320_414 Depth=1
	v_and_b32_sdwa v9, v18, v34 dst_sel:DWORD dst_unused:UNUSED_PAD src0_sel:BYTE_3 src1_sel:DWORD
	v_lshrrev_b32_e32 v17, 3, v20
	s_mov_b32 s17, exec_lo
	v_cmpx_gt_u32_e32 8, v20
; %bb.470:                              ;   in Loop: Header=BB320_414 Depth=1
	v_ffbh_u32_e32 v17, v9
	v_min_u32_e32 v17, 32, v17
	v_subrev_nc_u32_e32 v20, 28, v17
	v_sub_nc_u32_e32 v17, 29, v17
	v_lshlrev_b64 v[43:44], v20, v[9:10]
	v_and_b32_e32 v9, 7, v43
; %bb.471:                              ;   in Loop: Header=BB320_414 Depth=1
	s_or_b32 exec_lo, exec_lo, s17
	v_lshlrev_b32_sdwa v18, v35, v18 dst_sel:DWORD dst_unused:UNUSED_PAD src0_sel:DWORD src1_sel:BYTE_3
	v_lshlrev_b32_e32 v9, 20, v9
	v_lshl_add_u32 v17, v17, 23, 0x3c000000
	v_and_b32_e32 v18, 0x80000000, v18
	v_or3_b32 v9, v9, v18, v17
.LBB320_472:                            ;   in Loop: Header=BB320_414 Depth=1
	s_or_b32 exec_lo, exec_lo, s16
.LBB320_473:                            ;   in Loop: Header=BB320_414 Depth=1
	s_or_b32 exec_lo, exec_lo, s15
.LBB320_474:                            ;   in Loop: Header=BB320_414 Depth=1
	s_or_b32 exec_lo, exec_lo, s0
	s_waitcnt lgkmcnt(0)
	v_mul_f32_e32 v17, s5, v19
	v_mul_f32_e32 v18, s5, v40
	;; [unrolled: 1-line block ×5, first 2 shown]
	v_bfe_u32 v20, v17, 16, 1
	v_or_b32_e32 v38, 0x400000, v17
	v_bfe_u32 v40, v18, 16, 1
	v_cmp_u_f32_e64 s0, v17, v17
	v_or_b32_e32 v43, 0x400000, v18
	v_add3_u32 v20, v20, v17, 0x7fff
	v_bfe_u32 v44, v19, 16, 1
	v_add3_u32 v40, v40, v18, 0x7fff
	v_or_b32_e32 v46, 0x400000, v19
	v_add_nc_u32_e32 v45, -7, v29
	v_cndmask_b32_e64 v17, v20, v38, s0
	v_cmp_u_f32_e64 s0, v18, v18
	v_bfe_u32 v20, v41, 16, 1
	v_add3_u32 v44, v44, v19, 0x7fff
	v_cmp_eq_u32_e32 vcc_lo, s13, v36
	v_lshrrev_b32_e32 v38, 16, v17
	v_cndmask_b32_e64 v18, v40, v43, s0
	v_cmp_u_f32_e64 s0, v19, v19
	v_mul_f32_e32 v19, s5, v37
	v_add3_u32 v20, v20, v41, 0x7fff
	v_or_b32_e32 v43, 0x400000, v41
	v_lshrrev_b32_e32 v37, 16, v18
	v_cndmask_b32_e64 v17, v44, v46, s0
	v_cmp_u_f32_e64 s0, v41, v41
	v_or_b32_e32 v41, 0x400000, v19
	v_or_b32_e32 v46, 0x400000, v9
	v_add_nc_u32_e32 v51, -6, v29
	v_lshrrev_b32_e32 v40, 16, v17
	v_bfe_u32 v17, v19, 16, 1
	v_cndmask_b32_e64 v18, v20, v43, s0
	v_mul_f32_e32 v20, s5, v39
	v_mul_f32_e32 v39, s5, v42
	v_cmp_u_f32_e64 s0, v19, v19
	v_add3_u32 v17, v17, v19, 0x7fff
	v_bfe_u32 v19, v9, 16, 1
	v_bfe_u32 v42, v20, 16, 1
	;; [unrolled: 1-line block ×3, first 2 shown]
	v_or_b32_e32 v44, 0x400000, v39
	v_cndmask_b32_e64 v17, v17, v41, s0
	v_cmp_u_f32_e64 s0, v20, v20
	v_add3_u32 v41, v42, v20, 0x7fff
	v_or_b32_e32 v42, 0x400000, v20
	v_add3_u32 v43, v43, v39, 0x7fff
	v_add3_u32 v19, v19, v9, 0x7fff
	v_add_nc_u32_e32 v50, -5, v29
	v_add_nc_u32_e32 v49, -4, v29
	v_cndmask_b32_e64 v20, v41, v42, s0
	v_cmp_u_f32_e64 s0, v39, v39
	v_lshrrev_b32_e32 v42, 16, v18
	v_add_nc_u32_e32 v48, -3, v29
	v_add_nc_u32_e32 v47, -2, v29
	v_cndmask_b32_e64 v39, v43, v44, s0
	v_cmp_u_f32_e64 s0, v9, v9
	v_lshrrev_b32_e32 v44, 16, v17
	v_lshrrev_b32_e32 v43, 16, v20
	;; [unrolled: 1-line block ×3, first 2 shown]
	v_cndmask_b32_e64 v9, v19, v46, s0
	v_add_nc_u32_e32 v46, -1, v29
	v_lshrrev_b32_e32 v41, 16, v9
	s_and_saveexec_b32 s15, vcc_lo
	s_cbranch_execz .LBB320_476
; %bb.475:                              ;   in Loop: Header=BB320_414 Depth=1
	v_cmp_gt_i32_e64 s0, s11, v45
	v_cndmask_b32_e64 v43, 0, v43, s0
	v_cmp_gt_i32_e64 s0, s11, v51
	v_cndmask_b32_e64 v44, 0, v44, s0
	v_cmp_gt_i32_e64 s0, s11, v50
	v_cndmask_b32_e64 v42, 0, v42, s0
	v_cmp_gt_i32_e64 s0, s11, v49
	v_cndmask_b32_e64 v40, 0, v40, s0
	v_cmp_gt_i32_e64 s0, s11, v48
	v_cndmask_b32_e64 v37, 0, v37, s0
	v_cmp_gt_i32_e64 s0, s11, v47
	v_cndmask_b32_e64 v38, 0, v38, s0
	v_cmp_gt_i32_e64 s0, s11, v46
	v_cndmask_b32_e64 v39, 0, v39, s0
	v_cmp_gt_i32_e64 s0, s11, v29
	v_cndmask_b32_e64 v41, 0, v41, s0
.LBB320_476:                            ;   in Loop: Header=BB320_414 Depth=1
	s_or_b32 exec_lo, exec_lo, s15
	global_load_dwordx2 v[17:18], v[15:16], off offset:256
	v_mov_b32_e32 v53, 0
	v_mov_b32_e32 v54, 0
	s_waitcnt vmcnt(0)
	v_cmp_ne_u16_sdwa s0, v17, v10 src0_sel:BYTE_0 src1_sel:DWORD
	s_and_saveexec_b32 s15, s0
	s_cbranch_execz .LBB320_482
; %bb.477:                              ;   in Loop: Header=BB320_414 Depth=1
	v_cmp_ne_u16_sdwa s0, v17, v31 src0_sel:BYTE_0 src1_sel:DWORD
	v_bfrev_b32_e32 v54, 1
	s_and_saveexec_b32 s16, s0
	s_cbranch_execz .LBB320_481
; %bb.478:                              ;   in Loop: Header=BB320_414 Depth=1
	v_and_b32_e32 v9, 0x7f, v17
	v_mov_b32_e32 v54, 0x7f800001
	s_mov_b32 s17, exec_lo
	v_cmpx_ne_u32_e32 0x7f, v9
	s_cbranch_execz .LBB320_480
; %bb.479:                              ;   in Loop: Header=BB320_414 Depth=1
	v_and_b32_e32 v19, 7, v17
	v_lshrrev_b32_e32 v20, 3, v9
	v_cmp_gt_u32_e64 s0, 8, v9
	v_ffbh_u32_e32 v19, v19
	v_min_u32_e32 v19, 32, v19
	v_subrev_nc_u32_e32 v52, 28, v19
	v_sub_nc_u32_e32 v19, 29, v19
	v_cndmask_b32_e64 v9, v20, v19, s0
	v_cndmask_b32_e64 v19, 0, v52, s0
	v_lshl_add_u32 v9, v9, 23, 0x3c000000
	v_lshlrev_b64 v[19:20], v19, v[17:18]
	v_lshlrev_b32_e32 v20, 24, v17
	v_lshlrev_b32_e32 v19, 20, v19
	v_and_b32_e32 v20, 0x80000000, v20
	v_and_b32_e32 v19, 0x700000, v19
	v_or3_b32 v54, v19, v20, v9
.LBB320_480:                            ;   in Loop: Header=BB320_414 Depth=1
	s_or_b32 exec_lo, exec_lo, s17
.LBB320_481:                            ;   in Loop: Header=BB320_414 Depth=1
	s_or_b32 exec_lo, exec_lo, s16
.LBB320_482:                            ;   in Loop: Header=BB320_414 Depth=1
	s_or_b32 exec_lo, exec_lo, s15
	v_cmp_ne_u16_sdwa s0, v17, v10 src0_sel:BYTE_1 src1_sel:DWORD
	s_and_saveexec_b32 s15, s0
	s_cbranch_execz .LBB320_490
; %bb.483:                              ;   in Loop: Header=BB320_414 Depth=1
	v_cmp_ne_u16_sdwa s0, v17, v31 src0_sel:BYTE_1 src1_sel:DWORD
	v_bfrev_b32_e32 v53, 1
	s_and_saveexec_b32 s16, s0
	s_cbranch_execz .LBB320_489
; %bb.484:                              ;   in Loop: Header=BB320_414 Depth=1
	v_and_b32_sdwa v9, v32, v17 dst_sel:DWORD dst_unused:UNUSED_PAD src0_sel:DWORD src1_sel:BYTE_1
	v_mov_b32_e32 v53, 0x7f800001
	s_mov_b32 s17, exec_lo
	v_and_b32_e32 v20, 0x7f, v9
	v_cmpx_ne_u32_e32 0x7f, v20
	s_cbranch_execz .LBB320_488
; %bb.485:                              ;   in Loop: Header=BB320_414 Depth=1
	v_and_b32_e32 v9, 7, v9
	v_lshrrev_b32_e32 v19, 3, v20
	s_mov_b32 s18, exec_lo
	v_cmpx_gt_u32_e32 8, v20
; %bb.486:                              ;   in Loop: Header=BB320_414 Depth=1
	v_ffbh_u32_e32 v19, v9
	v_min_u32_e32 v19, 32, v19
	v_subrev_nc_u32_e32 v20, 28, v19
	v_sub_nc_u32_e32 v19, 29, v19
	v_lshlrev_b64 v[52:53], v20, v[9:10]
	v_and_b32_e32 v9, 7, v52
; %bb.487:                              ;   in Loop: Header=BB320_414 Depth=1
	s_or_b32 exec_lo, exec_lo, s18
	v_lshlrev_b32_e32 v20, 16, v17
	v_lshlrev_b32_e32 v9, 20, v9
	v_lshl_add_u32 v19, v19, 23, 0x3c000000
	v_and_b32_e32 v20, 0x80000000, v20
	v_or3_b32 v53, v9, v20, v19
.LBB320_488:                            ;   in Loop: Header=BB320_414 Depth=1
	s_or_b32 exec_lo, exec_lo, s17
.LBB320_489:                            ;   in Loop: Header=BB320_414 Depth=1
	s_or_b32 exec_lo, exec_lo, s16
.LBB320_490:                            ;   in Loop: Header=BB320_414 Depth=1
	s_or_b32 exec_lo, exec_lo, s15
	v_and_b32_sdwa v9, v17, v33 dst_sel:DWORD dst_unused:UNUSED_PAD src0_sel:WORD_1 src1_sel:DWORD
	v_mov_b32_e32 v55, 0
	v_mov_b32_e32 v52, 0
	s_mov_b32 s15, exec_lo
	v_cmpx_ne_u16_e32 0, v9
	s_cbranch_execz .LBB320_498
; %bb.491:                              ;   in Loop: Header=BB320_414 Depth=1
	v_bfrev_b32_e32 v52, 1
	s_mov_b32 s16, exec_lo
	v_cmpx_ne_u16_e32 0x80, v9
	s_cbranch_execz .LBB320_497
; %bb.492:                              ;   in Loop: Header=BB320_414 Depth=1
	v_bfe_u32 v20, v17, 16, 7
	v_mov_b32_e32 v52, 0x7f800001
	s_mov_b32 s17, exec_lo
	v_cmpx_ne_u32_e32 0x7f, v20
	s_cbranch_execz .LBB320_496
; %bb.493:                              ;   in Loop: Header=BB320_414 Depth=1
	v_and_b32_sdwa v9, v17, v34 dst_sel:DWORD dst_unused:UNUSED_PAD src0_sel:WORD_1 src1_sel:DWORD
	v_lshrrev_b32_e32 v19, 3, v20
	s_mov_b32 s18, exec_lo
	v_cmpx_gt_u32_e32 8, v20
; %bb.494:                              ;   in Loop: Header=BB320_414 Depth=1
	v_ffbh_u32_e32 v19, v9
	v_min_u32_e32 v19, 32, v19
	v_subrev_nc_u32_e32 v20, 28, v19
	v_sub_nc_u32_e32 v19, 29, v19
	v_lshlrev_b64 v[56:57], v20, v[9:10]
	v_and_b32_e32 v9, 7, v56
; %bb.495:                              ;   in Loop: Header=BB320_414 Depth=1
	s_or_b32 exec_lo, exec_lo, s18
	v_lshlrev_b32_sdwa v20, v35, v17 dst_sel:DWORD dst_unused:UNUSED_PAD src0_sel:DWORD src1_sel:WORD_1
	v_lshlrev_b32_e32 v9, 20, v9
	v_lshl_add_u32 v19, v19, 23, 0x3c000000
	v_and_b32_e32 v20, 0x80000000, v20
	v_or3_b32 v52, v9, v20, v19
.LBB320_496:                            ;   in Loop: Header=BB320_414 Depth=1
	s_or_b32 exec_lo, exec_lo, s17
.LBB320_497:                            ;   in Loop: Header=BB320_414 Depth=1
	s_or_b32 exec_lo, exec_lo, s16
.LBB320_498:                            ;   in Loop: Header=BB320_414 Depth=1
	s_or_b32 exec_lo, exec_lo, s15
	s_mov_b32 s15, exec_lo
	v_cmpx_lt_u32_e32 0xffffff, v17
	s_cbranch_execz .LBB320_506
; %bb.499:                              ;   in Loop: Header=BB320_414 Depth=1
	v_cmp_ne_u32_sdwa s0, v17, v31 src0_sel:BYTE_3 src1_sel:DWORD
	v_bfrev_b32_e32 v55, 1
	s_and_saveexec_b32 s16, s0
	s_cbranch_execz .LBB320_505
; %bb.500:                              ;   in Loop: Header=BB320_414 Depth=1
	v_bfe_u32 v20, v17, 24, 7
	v_mov_b32_e32 v55, 0x7f800001
	s_mov_b32 s17, exec_lo
	v_cmpx_ne_u32_e32 0x7f, v20
	s_cbranch_execz .LBB320_504
; %bb.501:                              ;   in Loop: Header=BB320_414 Depth=1
	v_and_b32_sdwa v9, v17, v34 dst_sel:DWORD dst_unused:UNUSED_PAD src0_sel:BYTE_3 src1_sel:DWORD
	v_lshrrev_b32_e32 v19, 3, v20
	s_mov_b32 s18, exec_lo
	v_cmpx_gt_u32_e32 8, v20
; %bb.502:                              ;   in Loop: Header=BB320_414 Depth=1
	v_ffbh_u32_e32 v19, v9
	v_min_u32_e32 v19, 32, v19
	v_subrev_nc_u32_e32 v20, 28, v19
	v_sub_nc_u32_e32 v19, 29, v19
	v_lshlrev_b64 v[55:56], v20, v[9:10]
	v_and_b32_e32 v9, 7, v55
; %bb.503:                              ;   in Loop: Header=BB320_414 Depth=1
	s_or_b32 exec_lo, exec_lo, s18
	v_lshlrev_b32_sdwa v20, v35, v17 dst_sel:DWORD dst_unused:UNUSED_PAD src0_sel:DWORD src1_sel:BYTE_3
	v_lshlrev_b32_e32 v9, 20, v9
	v_lshl_add_u32 v19, v19, 23, 0x3c000000
	v_and_b32_e32 v20, 0x80000000, v20
	v_or3_b32 v55, v9, v20, v19
.LBB320_504:                            ;   in Loop: Header=BB320_414 Depth=1
	s_or_b32 exec_lo, exec_lo, s17
.LBB320_505:                            ;   in Loop: Header=BB320_414 Depth=1
	s_or_b32 exec_lo, exec_lo, s16
.LBB320_506:                            ;   in Loop: Header=BB320_414 Depth=1
	s_or_b32 exec_lo, exec_lo, s15
	v_mov_b32_e32 v9, v18
	v_cmp_ne_u16_sdwa s0, v18, v10 src0_sel:BYTE_0 src1_sel:DWORD
	v_mov_b32_e32 v19, 0
	v_mov_b32_e32 v56, 0
	s_and_saveexec_b32 s15, s0
	s_cbranch_execz .LBB320_512
; %bb.507:                              ;   in Loop: Header=BB320_414 Depth=1
	v_cmp_ne_u16_sdwa s0, v18, v31 src0_sel:BYTE_0 src1_sel:DWORD
	v_bfrev_b32_e32 v56, 1
	s_and_saveexec_b32 s16, s0
	s_cbranch_execz .LBB320_511
; %bb.508:                              ;   in Loop: Header=BB320_414 Depth=1
	v_and_b32_e32 v20, 0x7f, v18
	v_mov_b32_e32 v56, 0x7f800001
	s_mov_b32 s17, exec_lo
	v_cmpx_ne_u32_e32 0x7f, v20
	s_cbranch_execz .LBB320_510
; %bb.509:                              ;   in Loop: Header=BB320_414 Depth=1
	v_and_b32_e32 v56, 7, v18
	v_lshrrev_b32_e32 v57, 3, v20
	v_cmp_gt_u32_e64 s0, 8, v20
	v_ffbh_u32_e32 v56, v56
	v_min_u32_e32 v56, 32, v56
	v_subrev_nc_u32_e32 v58, 28, v56
	v_sub_nc_u32_e32 v56, 29, v56
	v_cndmask_b32_e64 v20, v57, v56, s0
	v_cndmask_b32_e64 v56, 0, v58, s0
	v_lshl_add_u32 v20, v20, 23, 0x3c000000
	v_lshlrev_b64 v[56:57], v56, v[9:10]
	v_lshlrev_b32_e32 v57, 24, v9
	v_lshlrev_b32_e32 v56, 20, v56
	v_and_b32_e32 v57, 0x80000000, v57
	v_and_b32_e32 v56, 0x700000, v56
	v_or3_b32 v56, v56, v57, v20
.LBB320_510:                            ;   in Loop: Header=BB320_414 Depth=1
	s_or_b32 exec_lo, exec_lo, s17
.LBB320_511:                            ;   in Loop: Header=BB320_414 Depth=1
	s_or_b32 exec_lo, exec_lo, s16
.LBB320_512:                            ;   in Loop: Header=BB320_414 Depth=1
	s_or_b32 exec_lo, exec_lo, s15
	v_cmp_ne_u16_sdwa s0, v9, v10 src0_sel:BYTE_1 src1_sel:DWORD
	s_and_saveexec_b32 s15, s0
	s_cbranch_execz .LBB320_520
; %bb.513:                              ;   in Loop: Header=BB320_414 Depth=1
	v_cmp_ne_u16_sdwa s0, v9, v31 src0_sel:BYTE_1 src1_sel:DWORD
	v_bfrev_b32_e32 v19, 1
	s_and_saveexec_b32 s16, s0
	s_cbranch_execz .LBB320_519
; %bb.514:                              ;   in Loop: Header=BB320_414 Depth=1
	v_and_b32_sdwa v20, v32, v9 dst_sel:DWORD dst_unused:UNUSED_PAD src0_sel:DWORD src1_sel:BYTE_1
	v_mov_b32_e32 v19, 0x7f800001
	s_mov_b32 s17, exec_lo
	v_and_b32_e32 v58, 0x7f, v20
	v_cmpx_ne_u32_e32 0x7f, v58
	s_cbranch_execz .LBB320_518
; %bb.515:                              ;   in Loop: Header=BB320_414 Depth=1
	v_and_b32_e32 v19, 7, v20
	v_mov_b32_e32 v20, v10
	v_lshrrev_b32_e32 v57, 3, v58
	s_mov_b32 s18, exec_lo
	v_cmpx_gt_u32_e32 8, v58
; %bb.516:                              ;   in Loop: Header=BB320_414 Depth=1
	v_ffbh_u32_e32 v57, v19
	v_min_u32_e32 v57, 32, v57
	v_subrev_nc_u32_e32 v58, 28, v57
	v_sub_nc_u32_e32 v57, 29, v57
	v_lshlrev_b64 v[19:20], v58, v[19:20]
	v_and_b32_e32 v19, 7, v19
; %bb.517:                              ;   in Loop: Header=BB320_414 Depth=1
	s_or_b32 exec_lo, exec_lo, s18
	v_lshlrev_b32_e32 v9, 16, v9
	v_lshlrev_b32_e32 v19, 20, v19
	v_lshl_add_u32 v20, v57, 23, 0x3c000000
	v_and_b32_e32 v9, 0x80000000, v9
	v_or3_b32 v19, v19, v9, v20
.LBB320_518:                            ;   in Loop: Header=BB320_414 Depth=1
	s_or_b32 exec_lo, exec_lo, s17
.LBB320_519:                            ;   in Loop: Header=BB320_414 Depth=1
	s_or_b32 exec_lo, exec_lo, s16
.LBB320_520:                            ;   in Loop: Header=BB320_414 Depth=1
	s_or_b32 exec_lo, exec_lo, s15
	v_and_b32_sdwa v9, v18, v33 dst_sel:DWORD dst_unused:UNUSED_PAD src0_sel:WORD_1 src1_sel:DWORD
	v_mov_b32_e32 v20, 0
	v_mov_b32_e32 v57, 0
	s_mov_b32 s15, exec_lo
	v_cmpx_ne_u16_e32 0, v9
	s_cbranch_execz .LBB320_528
; %bb.521:                              ;   in Loop: Header=BB320_414 Depth=1
	v_bfrev_b32_e32 v57, 1
	s_mov_b32 s16, exec_lo
	v_cmpx_ne_u16_e32 0x80, v9
	s_cbranch_execz .LBB320_527
; %bb.522:                              ;   in Loop: Header=BB320_414 Depth=1
	v_bfe_u32 v58, v18, 16, 7
	v_mov_b32_e32 v57, 0x7f800001
	s_mov_b32 s17, exec_lo
	v_cmpx_ne_u32_e32 0x7f, v58
	s_cbranch_execz .LBB320_526
; %bb.523:                              ;   in Loop: Header=BB320_414 Depth=1
	v_and_b32_sdwa v9, v18, v34 dst_sel:DWORD dst_unused:UNUSED_PAD src0_sel:WORD_1 src1_sel:DWORD
	v_lshrrev_b32_e32 v57, 3, v58
	s_mov_b32 s18, exec_lo
	v_cmpx_gt_u32_e32 8, v58
; %bb.524:                              ;   in Loop: Header=BB320_414 Depth=1
	v_ffbh_u32_e32 v57, v9
	v_min_u32_e32 v57, 32, v57
	v_subrev_nc_u32_e32 v58, 28, v57
	v_sub_nc_u32_e32 v57, 29, v57
	v_lshlrev_b64 v[58:59], v58, v[9:10]
	v_and_b32_e32 v9, 7, v58
; %bb.525:                              ;   in Loop: Header=BB320_414 Depth=1
	s_or_b32 exec_lo, exec_lo, s18
	v_lshlrev_b32_sdwa v58, v35, v18 dst_sel:DWORD dst_unused:UNUSED_PAD src0_sel:DWORD src1_sel:WORD_1
	v_lshlrev_b32_e32 v9, 20, v9
	v_lshl_add_u32 v57, v57, 23, 0x3c000000
	v_and_b32_e32 v58, 0x80000000, v58
	v_or3_b32 v57, v9, v58, v57
.LBB320_526:                            ;   in Loop: Header=BB320_414 Depth=1
	s_or_b32 exec_lo, exec_lo, s17
.LBB320_527:                            ;   in Loop: Header=BB320_414 Depth=1
	s_or_b32 exec_lo, exec_lo, s16
.LBB320_528:                            ;   in Loop: Header=BB320_414 Depth=1
	s_or_b32 exec_lo, exec_lo, s15
	s_mov_b32 s15, exec_lo
	v_cmpx_lt_u64_e64 s[2:3], v[17:18]
	s_cbranch_execz .LBB320_536
; %bb.529:                              ;   in Loop: Header=BB320_414 Depth=1
	v_cmp_ne_u32_sdwa s0, v18, v31 src0_sel:BYTE_3 src1_sel:DWORD
	v_bfrev_b32_e32 v20, 1
	s_and_saveexec_b32 s16, s0
	s_cbranch_execz .LBB320_535
; %bb.530:                              ;   in Loop: Header=BB320_414 Depth=1
	v_bfe_u32 v58, v18, 24, 7
	v_mov_b32_e32 v20, 0x7f800001
	s_mov_b32 s17, exec_lo
	v_cmpx_ne_u32_e32 0x7f, v58
	s_cbranch_execz .LBB320_534
; %bb.531:                              ;   in Loop: Header=BB320_414 Depth=1
	v_and_b32_sdwa v9, v18, v34 dst_sel:DWORD dst_unused:UNUSED_PAD src0_sel:BYTE_3 src1_sel:DWORD
	v_lshrrev_b32_e32 v17, 3, v58
	s_mov_b32 s18, exec_lo
	v_cmpx_gt_u32_e32 8, v58
; %bb.532:                              ;   in Loop: Header=BB320_414 Depth=1
	v_ffbh_u32_e32 v17, v9
	v_min_u32_e32 v17, 32, v17
	v_subrev_nc_u32_e32 v20, 28, v17
	v_sub_nc_u32_e32 v17, 29, v17
	v_lshlrev_b64 v[58:59], v20, v[9:10]
	v_and_b32_e32 v9, 7, v58
; %bb.533:                              ;   in Loop: Header=BB320_414 Depth=1
	s_or_b32 exec_lo, exec_lo, s18
	v_lshlrev_b32_sdwa v18, v35, v18 dst_sel:DWORD dst_unused:UNUSED_PAD src0_sel:DWORD src1_sel:BYTE_3
	v_lshlrev_b32_e32 v9, 20, v9
	v_lshl_add_u32 v17, v17, 23, 0x3c000000
	v_and_b32_e32 v18, 0x80000000, v18
	v_or3_b32 v20, v9, v18, v17
.LBB320_534:                            ;   in Loop: Header=BB320_414 Depth=1
	s_or_b32 exec_lo, exec_lo, s17
.LBB320_535:                            ;   in Loop: Header=BB320_414 Depth=1
	s_or_b32 exec_lo, exec_lo, s16
.LBB320_536:                            ;   in Loop: Header=BB320_414 Depth=1
	s_or_b32 exec_lo, exec_lo, s15
	v_mul_f32_e32 v9, s5, v19
	v_mul_f32_e32 v17, s5, v56
	;; [unrolled: 1-line block ×5, first 2 shown]
	v_bfe_u32 v52, v9, 16, 1
	v_or_b32_e32 v55, 0x400000, v9
	v_bfe_u32 v56, v17, 16, 1
	v_cmp_u_f32_e64 s0, v9, v9
	v_or_b32_e32 v58, 0x400000, v17
	v_add3_u32 v52, v52, v9, 0x7fff
	v_bfe_u32 v59, v18, 16, 1
	v_add3_u32 v56, v56, v17, 0x7fff
	v_or_b32_e32 v60, 0x400000, v18
	v_bfe_u32 v61, v19, 16, 1
	v_cndmask_b32_e64 v9, v52, v55, s0
	v_cmp_u_f32_e64 s0, v17, v17
	v_add3_u32 v59, v59, v18, 0x7fff
	v_lshrrev_b32_e32 v52, 16, v9
	v_cndmask_b32_e64 v17, v56, v58, s0
	v_cmp_u_f32_e64 s0, v18, v18
	v_mul_f32_e32 v9, s5, v53
	v_add3_u32 v56, v61, v19, 0x7fff
	v_or_b32_e32 v58, 0x400000, v19
	v_lshrrev_b32_e32 v53, 16, v17
	v_cndmask_b32_e64 v18, v59, v60, s0
	v_bfe_u32 v17, v9, 16, 1
	v_cmp_u_f32_e64 s0, v19, v19
	v_mul_f32_e32 v19, s5, v54
	v_mul_f32_e32 v54, s5, v57
	v_lshrrev_b32_e32 v55, 16, v18
	v_add3_u32 v17, v17, v9, 0x7fff
	v_cndmask_b32_e64 v18, v56, v58, s0
	v_or_b32_e32 v56, 0x400000, v9
	v_bfe_u32 v57, v19, 16, 1
	v_cmp_u_f32_e64 s0, v9, v9
	v_bfe_u32 v58, v54, 16, 1
	v_or_b32_e32 v59, 0x400000, v54
	v_or_b32_e32 v60, 0x400000, v20
	v_cndmask_b32_e64 v9, v17, v56, s0
	v_add3_u32 v56, v57, v19, 0x7fff
	v_or_b32_e32 v57, 0x400000, v19
	v_cmp_u_f32_e64 s0, v19, v19
	v_bfe_u32 v17, v20, 16, 1
	v_add3_u32 v58, v58, v54, 0x7fff
	v_cndmask_b32_e64 v19, v56, v57, s0
	v_cmp_u_f32_e64 s0, v54, v54
	v_add3_u32 v17, v17, v20, 0x7fff
	v_lshrrev_b32_e32 v57, 16, v18
	v_cndmask_b32_e64 v54, v58, v59, s0
	v_cmp_u_f32_e64 s0, v20, v20
	v_lshrrev_b32_e32 v59, 16, v9
	v_lshrrev_b32_e32 v58, 16, v19
	;; [unrolled: 1-line block ×3, first 2 shown]
	v_cndmask_b32_e64 v17, v17, v60, s0
	v_lshrrev_b32_e32 v56, 16, v17
	s_and_saveexec_b32 s15, vcc_lo
	s_cbranch_execz .LBB320_538
; %bb.537:                              ;   in Loop: Header=BB320_414 Depth=1
	v_cmp_gt_i32_e64 s0, s11, v45
	v_cndmask_b32_e64 v58, 0, v58, s0
	v_cmp_gt_i32_e64 s0, s11, v51
	v_cndmask_b32_e64 v59, 0, v59, s0
	;; [unrolled: 2-line block ×8, first 2 shown]
.LBB320_538:                            ;   in Loop: Header=BB320_414 Depth=1
	s_or_b32 exec_lo, exec_lo, s15
	global_load_dwordx2 v[17:18], v[15:16], off offset:512
	v_mov_b32_e32 v61, 0
	v_mov_b32_e32 v62, 0
	s_waitcnt vmcnt(0)
	v_cmp_ne_u16_sdwa s0, v17, v10 src0_sel:BYTE_0 src1_sel:DWORD
	s_and_saveexec_b32 s15, s0
	s_cbranch_execz .LBB320_544
; %bb.539:                              ;   in Loop: Header=BB320_414 Depth=1
	v_cmp_ne_u16_sdwa s0, v17, v31 src0_sel:BYTE_0 src1_sel:DWORD
	v_bfrev_b32_e32 v62, 1
	s_and_saveexec_b32 s16, s0
	s_cbranch_execz .LBB320_543
; %bb.540:                              ;   in Loop: Header=BB320_414 Depth=1
	v_and_b32_e32 v9, 0x7f, v17
	v_mov_b32_e32 v62, 0x7f800001
	s_mov_b32 s17, exec_lo
	v_cmpx_ne_u32_e32 0x7f, v9
	s_cbranch_execz .LBB320_542
; %bb.541:                              ;   in Loop: Header=BB320_414 Depth=1
	v_and_b32_e32 v19, 7, v17
	v_lshrrev_b32_e32 v20, 3, v9
	v_cmp_gt_u32_e64 s0, 8, v9
	v_ffbh_u32_e32 v19, v19
	v_min_u32_e32 v19, 32, v19
	v_subrev_nc_u32_e32 v60, 28, v19
	v_sub_nc_u32_e32 v19, 29, v19
	v_cndmask_b32_e64 v9, v20, v19, s0
	v_cndmask_b32_e64 v19, 0, v60, s0
	v_lshl_add_u32 v9, v9, 23, 0x3c000000
	v_lshlrev_b64 v[19:20], v19, v[17:18]
	v_lshlrev_b32_e32 v20, 24, v17
	v_lshlrev_b32_e32 v19, 20, v19
	v_and_b32_e32 v20, 0x80000000, v20
	v_and_b32_e32 v19, 0x700000, v19
	v_or3_b32 v62, v19, v20, v9
.LBB320_542:                            ;   in Loop: Header=BB320_414 Depth=1
	s_or_b32 exec_lo, exec_lo, s17
.LBB320_543:                            ;   in Loop: Header=BB320_414 Depth=1
	s_or_b32 exec_lo, exec_lo, s16
.LBB320_544:                            ;   in Loop: Header=BB320_414 Depth=1
	s_or_b32 exec_lo, exec_lo, s15
	v_cmp_ne_u16_sdwa s0, v17, v10 src0_sel:BYTE_1 src1_sel:DWORD
	s_and_saveexec_b32 s15, s0
	s_cbranch_execz .LBB320_552
; %bb.545:                              ;   in Loop: Header=BB320_414 Depth=1
	v_cmp_ne_u16_sdwa s0, v17, v31 src0_sel:BYTE_1 src1_sel:DWORD
	v_bfrev_b32_e32 v61, 1
	s_and_saveexec_b32 s16, s0
	s_cbranch_execz .LBB320_551
; %bb.546:                              ;   in Loop: Header=BB320_414 Depth=1
	v_and_b32_sdwa v9, v32, v17 dst_sel:DWORD dst_unused:UNUSED_PAD src0_sel:DWORD src1_sel:BYTE_1
	v_mov_b32_e32 v61, 0x7f800001
	s_mov_b32 s17, exec_lo
	v_and_b32_e32 v20, 0x7f, v9
	v_cmpx_ne_u32_e32 0x7f, v20
	s_cbranch_execz .LBB320_550
; %bb.547:                              ;   in Loop: Header=BB320_414 Depth=1
	v_and_b32_e32 v9, 7, v9
	v_lshrrev_b32_e32 v19, 3, v20
	s_mov_b32 s18, exec_lo
	v_cmpx_gt_u32_e32 8, v20
; %bb.548:                              ;   in Loop: Header=BB320_414 Depth=1
	v_ffbh_u32_e32 v19, v9
	v_min_u32_e32 v19, 32, v19
	v_subrev_nc_u32_e32 v20, 28, v19
	v_sub_nc_u32_e32 v19, 29, v19
	v_lshlrev_b64 v[60:61], v20, v[9:10]
	v_and_b32_e32 v9, 7, v60
; %bb.549:                              ;   in Loop: Header=BB320_414 Depth=1
	s_or_b32 exec_lo, exec_lo, s18
	v_lshlrev_b32_e32 v20, 16, v17
	v_lshlrev_b32_e32 v9, 20, v9
	v_lshl_add_u32 v19, v19, 23, 0x3c000000
	v_and_b32_e32 v20, 0x80000000, v20
	v_or3_b32 v61, v9, v20, v19
.LBB320_550:                            ;   in Loop: Header=BB320_414 Depth=1
	s_or_b32 exec_lo, exec_lo, s17
.LBB320_551:                            ;   in Loop: Header=BB320_414 Depth=1
	s_or_b32 exec_lo, exec_lo, s16
.LBB320_552:                            ;   in Loop: Header=BB320_414 Depth=1
	s_or_b32 exec_lo, exec_lo, s15
	v_and_b32_sdwa v9, v17, v33 dst_sel:DWORD dst_unused:UNUSED_PAD src0_sel:WORD_1 src1_sel:DWORD
	v_mov_b32_e32 v63, 0
	v_mov_b32_e32 v60, 0
	s_mov_b32 s15, exec_lo
	v_cmpx_ne_u16_e32 0, v9
	s_cbranch_execz .LBB320_560
; %bb.553:                              ;   in Loop: Header=BB320_414 Depth=1
	v_bfrev_b32_e32 v60, 1
	s_mov_b32 s16, exec_lo
	v_cmpx_ne_u16_e32 0x80, v9
	s_cbranch_execz .LBB320_559
; %bb.554:                              ;   in Loop: Header=BB320_414 Depth=1
	v_bfe_u32 v20, v17, 16, 7
	v_mov_b32_e32 v60, 0x7f800001
	s_mov_b32 s17, exec_lo
	v_cmpx_ne_u32_e32 0x7f, v20
	s_cbranch_execz .LBB320_558
; %bb.555:                              ;   in Loop: Header=BB320_414 Depth=1
	v_and_b32_sdwa v9, v17, v34 dst_sel:DWORD dst_unused:UNUSED_PAD src0_sel:WORD_1 src1_sel:DWORD
	v_lshrrev_b32_e32 v19, 3, v20
	s_mov_b32 s18, exec_lo
	v_cmpx_gt_u32_e32 8, v20
; %bb.556:                              ;   in Loop: Header=BB320_414 Depth=1
	v_ffbh_u32_e32 v19, v9
	v_min_u32_e32 v19, 32, v19
	v_subrev_nc_u32_e32 v20, 28, v19
	v_sub_nc_u32_e32 v19, 29, v19
	v_lshlrev_b64 v[64:65], v20, v[9:10]
	v_and_b32_e32 v9, 7, v64
; %bb.557:                              ;   in Loop: Header=BB320_414 Depth=1
	s_or_b32 exec_lo, exec_lo, s18
	v_lshlrev_b32_sdwa v20, v35, v17 dst_sel:DWORD dst_unused:UNUSED_PAD src0_sel:DWORD src1_sel:WORD_1
	v_lshlrev_b32_e32 v9, 20, v9
	v_lshl_add_u32 v19, v19, 23, 0x3c000000
	v_and_b32_e32 v20, 0x80000000, v20
	v_or3_b32 v60, v9, v20, v19
.LBB320_558:                            ;   in Loop: Header=BB320_414 Depth=1
	s_or_b32 exec_lo, exec_lo, s17
.LBB320_559:                            ;   in Loop: Header=BB320_414 Depth=1
	s_or_b32 exec_lo, exec_lo, s16
.LBB320_560:                            ;   in Loop: Header=BB320_414 Depth=1
	s_or_b32 exec_lo, exec_lo, s15
	s_mov_b32 s15, exec_lo
	v_cmpx_lt_u32_e32 0xffffff, v17
	s_cbranch_execz .LBB320_568
; %bb.561:                              ;   in Loop: Header=BB320_414 Depth=1
	v_cmp_ne_u32_sdwa s0, v17, v31 src0_sel:BYTE_3 src1_sel:DWORD
	v_bfrev_b32_e32 v63, 1
	s_and_saveexec_b32 s16, s0
	s_cbranch_execz .LBB320_567
; %bb.562:                              ;   in Loop: Header=BB320_414 Depth=1
	v_bfe_u32 v20, v17, 24, 7
	v_mov_b32_e32 v63, 0x7f800001
	s_mov_b32 s17, exec_lo
	v_cmpx_ne_u32_e32 0x7f, v20
	s_cbranch_execz .LBB320_566
; %bb.563:                              ;   in Loop: Header=BB320_414 Depth=1
	v_and_b32_sdwa v9, v17, v34 dst_sel:DWORD dst_unused:UNUSED_PAD src0_sel:BYTE_3 src1_sel:DWORD
	v_lshrrev_b32_e32 v19, 3, v20
	s_mov_b32 s18, exec_lo
	v_cmpx_gt_u32_e32 8, v20
; %bb.564:                              ;   in Loop: Header=BB320_414 Depth=1
	v_ffbh_u32_e32 v19, v9
	v_min_u32_e32 v19, 32, v19
	v_subrev_nc_u32_e32 v20, 28, v19
	v_sub_nc_u32_e32 v19, 29, v19
	v_lshlrev_b64 v[63:64], v20, v[9:10]
	v_and_b32_e32 v9, 7, v63
; %bb.565:                              ;   in Loop: Header=BB320_414 Depth=1
	s_or_b32 exec_lo, exec_lo, s18
	v_lshlrev_b32_sdwa v20, v35, v17 dst_sel:DWORD dst_unused:UNUSED_PAD src0_sel:DWORD src1_sel:BYTE_3
	v_lshlrev_b32_e32 v9, 20, v9
	v_lshl_add_u32 v19, v19, 23, 0x3c000000
	v_and_b32_e32 v20, 0x80000000, v20
	v_or3_b32 v63, v9, v20, v19
.LBB320_566:                            ;   in Loop: Header=BB320_414 Depth=1
	s_or_b32 exec_lo, exec_lo, s17
.LBB320_567:                            ;   in Loop: Header=BB320_414 Depth=1
	s_or_b32 exec_lo, exec_lo, s16
.LBB320_568:                            ;   in Loop: Header=BB320_414 Depth=1
	s_or_b32 exec_lo, exec_lo, s15
	v_mov_b32_e32 v9, v18
	v_cmp_ne_u16_sdwa s0, v18, v10 src0_sel:BYTE_0 src1_sel:DWORD
	v_mov_b32_e32 v19, 0
	v_mov_b32_e32 v64, 0
	s_and_saveexec_b32 s15, s0
	s_cbranch_execz .LBB320_574
; %bb.569:                              ;   in Loop: Header=BB320_414 Depth=1
	v_cmp_ne_u16_sdwa s0, v18, v31 src0_sel:BYTE_0 src1_sel:DWORD
	v_bfrev_b32_e32 v64, 1
	s_and_saveexec_b32 s16, s0
	s_cbranch_execz .LBB320_573
; %bb.570:                              ;   in Loop: Header=BB320_414 Depth=1
	v_and_b32_e32 v20, 0x7f, v18
	v_mov_b32_e32 v64, 0x7f800001
	s_mov_b32 s17, exec_lo
	v_cmpx_ne_u32_e32 0x7f, v20
	s_cbranch_execz .LBB320_572
; %bb.571:                              ;   in Loop: Header=BB320_414 Depth=1
	v_and_b32_e32 v64, 7, v18
	v_lshrrev_b32_e32 v65, 3, v20
	v_cmp_gt_u32_e64 s0, 8, v20
	v_ffbh_u32_e32 v64, v64
	v_min_u32_e32 v64, 32, v64
	v_subrev_nc_u32_e32 v66, 28, v64
	v_sub_nc_u32_e32 v64, 29, v64
	v_cndmask_b32_e64 v20, v65, v64, s0
	v_cndmask_b32_e64 v64, 0, v66, s0
	v_lshl_add_u32 v20, v20, 23, 0x3c000000
	v_lshlrev_b64 v[64:65], v64, v[9:10]
	v_lshlrev_b32_e32 v65, 24, v9
	v_lshlrev_b32_e32 v64, 20, v64
	v_and_b32_e32 v65, 0x80000000, v65
	v_and_b32_e32 v64, 0x700000, v64
	v_or3_b32 v64, v64, v65, v20
.LBB320_572:                            ;   in Loop: Header=BB320_414 Depth=1
	s_or_b32 exec_lo, exec_lo, s17
.LBB320_573:                            ;   in Loop: Header=BB320_414 Depth=1
	s_or_b32 exec_lo, exec_lo, s16
.LBB320_574:                            ;   in Loop: Header=BB320_414 Depth=1
	s_or_b32 exec_lo, exec_lo, s15
	v_cmp_ne_u16_sdwa s0, v9, v10 src0_sel:BYTE_1 src1_sel:DWORD
	s_and_saveexec_b32 s15, s0
	s_cbranch_execz .LBB320_582
; %bb.575:                              ;   in Loop: Header=BB320_414 Depth=1
	v_cmp_ne_u16_sdwa s0, v9, v31 src0_sel:BYTE_1 src1_sel:DWORD
	v_bfrev_b32_e32 v19, 1
	s_and_saveexec_b32 s16, s0
	s_cbranch_execz .LBB320_581
; %bb.576:                              ;   in Loop: Header=BB320_414 Depth=1
	v_and_b32_sdwa v20, v32, v9 dst_sel:DWORD dst_unused:UNUSED_PAD src0_sel:DWORD src1_sel:BYTE_1
	v_mov_b32_e32 v19, 0x7f800001
	s_mov_b32 s17, exec_lo
	v_and_b32_e32 v66, 0x7f, v20
	v_cmpx_ne_u32_e32 0x7f, v66
	s_cbranch_execz .LBB320_580
; %bb.577:                              ;   in Loop: Header=BB320_414 Depth=1
	v_and_b32_e32 v19, 7, v20
	v_mov_b32_e32 v20, v10
	v_lshrrev_b32_e32 v65, 3, v66
	s_mov_b32 s18, exec_lo
	v_cmpx_gt_u32_e32 8, v66
; %bb.578:                              ;   in Loop: Header=BB320_414 Depth=1
	v_ffbh_u32_e32 v65, v19
	v_min_u32_e32 v65, 32, v65
	v_subrev_nc_u32_e32 v66, 28, v65
	v_sub_nc_u32_e32 v65, 29, v65
	v_lshlrev_b64 v[19:20], v66, v[19:20]
	v_and_b32_e32 v19, 7, v19
; %bb.579:                              ;   in Loop: Header=BB320_414 Depth=1
	s_or_b32 exec_lo, exec_lo, s18
	v_lshlrev_b32_e32 v9, 16, v9
	v_lshlrev_b32_e32 v19, 20, v19
	v_lshl_add_u32 v20, v65, 23, 0x3c000000
	v_and_b32_e32 v9, 0x80000000, v9
	v_or3_b32 v19, v19, v9, v20
.LBB320_580:                            ;   in Loop: Header=BB320_414 Depth=1
	s_or_b32 exec_lo, exec_lo, s17
.LBB320_581:                            ;   in Loop: Header=BB320_414 Depth=1
	s_or_b32 exec_lo, exec_lo, s16
.LBB320_582:                            ;   in Loop: Header=BB320_414 Depth=1
	s_or_b32 exec_lo, exec_lo, s15
	v_and_b32_sdwa v9, v18, v33 dst_sel:DWORD dst_unused:UNUSED_PAD src0_sel:WORD_1 src1_sel:DWORD
	v_mov_b32_e32 v20, 0
	v_mov_b32_e32 v65, 0
	s_mov_b32 s15, exec_lo
	v_cmpx_ne_u16_e32 0, v9
	s_cbranch_execz .LBB320_590
; %bb.583:                              ;   in Loop: Header=BB320_414 Depth=1
	v_bfrev_b32_e32 v65, 1
	s_mov_b32 s16, exec_lo
	v_cmpx_ne_u16_e32 0x80, v9
	s_cbranch_execz .LBB320_589
; %bb.584:                              ;   in Loop: Header=BB320_414 Depth=1
	v_bfe_u32 v66, v18, 16, 7
	v_mov_b32_e32 v65, 0x7f800001
	s_mov_b32 s17, exec_lo
	v_cmpx_ne_u32_e32 0x7f, v66
	s_cbranch_execz .LBB320_588
; %bb.585:                              ;   in Loop: Header=BB320_414 Depth=1
	v_and_b32_sdwa v9, v18, v34 dst_sel:DWORD dst_unused:UNUSED_PAD src0_sel:WORD_1 src1_sel:DWORD
	v_lshrrev_b32_e32 v65, 3, v66
	s_mov_b32 s18, exec_lo
	v_cmpx_gt_u32_e32 8, v66
; %bb.586:                              ;   in Loop: Header=BB320_414 Depth=1
	v_ffbh_u32_e32 v65, v9
	v_min_u32_e32 v65, 32, v65
	v_subrev_nc_u32_e32 v66, 28, v65
	v_sub_nc_u32_e32 v65, 29, v65
	v_lshlrev_b64 v[66:67], v66, v[9:10]
	v_and_b32_e32 v9, 7, v66
; %bb.587:                              ;   in Loop: Header=BB320_414 Depth=1
	s_or_b32 exec_lo, exec_lo, s18
	v_lshlrev_b32_sdwa v66, v35, v18 dst_sel:DWORD dst_unused:UNUSED_PAD src0_sel:DWORD src1_sel:WORD_1
	v_lshlrev_b32_e32 v9, 20, v9
	v_lshl_add_u32 v65, v65, 23, 0x3c000000
	v_and_b32_e32 v66, 0x80000000, v66
	v_or3_b32 v65, v9, v66, v65
.LBB320_588:                            ;   in Loop: Header=BB320_414 Depth=1
	s_or_b32 exec_lo, exec_lo, s17
.LBB320_589:                            ;   in Loop: Header=BB320_414 Depth=1
	s_or_b32 exec_lo, exec_lo, s16
.LBB320_590:                            ;   in Loop: Header=BB320_414 Depth=1
	s_or_b32 exec_lo, exec_lo, s15
	s_mov_b32 s15, exec_lo
	v_cmpx_lt_u64_e64 s[2:3], v[17:18]
	s_cbranch_execz .LBB320_598
; %bb.591:                              ;   in Loop: Header=BB320_414 Depth=1
	v_cmp_ne_u32_sdwa s0, v18, v31 src0_sel:BYTE_3 src1_sel:DWORD
	v_bfrev_b32_e32 v20, 1
	s_and_saveexec_b32 s16, s0
	s_cbranch_execz .LBB320_597
; %bb.592:                              ;   in Loop: Header=BB320_414 Depth=1
	v_bfe_u32 v66, v18, 24, 7
	v_mov_b32_e32 v20, 0x7f800001
	s_mov_b32 s17, exec_lo
	v_cmpx_ne_u32_e32 0x7f, v66
	s_cbranch_execz .LBB320_596
; %bb.593:                              ;   in Loop: Header=BB320_414 Depth=1
	v_and_b32_sdwa v9, v18, v34 dst_sel:DWORD dst_unused:UNUSED_PAD src0_sel:BYTE_3 src1_sel:DWORD
	v_lshrrev_b32_e32 v17, 3, v66
	s_mov_b32 s18, exec_lo
	v_cmpx_gt_u32_e32 8, v66
; %bb.594:                              ;   in Loop: Header=BB320_414 Depth=1
	v_ffbh_u32_e32 v17, v9
	v_min_u32_e32 v17, 32, v17
	v_subrev_nc_u32_e32 v20, 28, v17
	v_sub_nc_u32_e32 v17, 29, v17
	v_lshlrev_b64 v[66:67], v20, v[9:10]
	v_and_b32_e32 v9, 7, v66
; %bb.595:                              ;   in Loop: Header=BB320_414 Depth=1
	s_or_b32 exec_lo, exec_lo, s18
	v_lshlrev_b32_sdwa v18, v35, v18 dst_sel:DWORD dst_unused:UNUSED_PAD src0_sel:DWORD src1_sel:BYTE_3
	v_lshlrev_b32_e32 v9, 20, v9
	v_lshl_add_u32 v17, v17, 23, 0x3c000000
	v_and_b32_e32 v18, 0x80000000, v18
	v_or3_b32 v20, v9, v18, v17
.LBB320_596:                            ;   in Loop: Header=BB320_414 Depth=1
	s_or_b32 exec_lo, exec_lo, s17
.LBB320_597:                            ;   in Loop: Header=BB320_414 Depth=1
	s_or_b32 exec_lo, exec_lo, s16
.LBB320_598:                            ;   in Loop: Header=BB320_414 Depth=1
	s_or_b32 exec_lo, exec_lo, s15
	v_mul_f32_e32 v9, s5, v19
	v_mul_f32_e32 v17, s5, v64
	v_mul_f32_e32 v19, s5, v60
	v_mul_f32_e32 v18, s5, v63
	v_mul_f32_e32 v20, s5, v20
	v_bfe_u32 v60, v9, 16, 1
	v_or_b32_e32 v63, 0x400000, v9
	v_bfe_u32 v64, v17, 16, 1
	v_cmp_u_f32_e64 s0, v9, v9
	v_or_b32_e32 v66, 0x400000, v17
	v_add3_u32 v60, v60, v9, 0x7fff
	v_bfe_u32 v67, v18, 16, 1
	v_add3_u32 v64, v64, v17, 0x7fff
	v_or_b32_e32 v68, 0x400000, v18
	v_bfe_u32 v69, v19, 16, 1
	v_cndmask_b32_e64 v9, v60, v63, s0
	v_cmp_u_f32_e64 s0, v17, v17
	v_add3_u32 v67, v67, v18, 0x7fff
	v_lshrrev_b32_e32 v60, 16, v9
	v_cndmask_b32_e64 v17, v64, v66, s0
	v_cmp_u_f32_e64 s0, v18, v18
	v_mul_f32_e32 v9, s5, v61
	v_add3_u32 v64, v69, v19, 0x7fff
	v_or_b32_e32 v66, 0x400000, v19
	v_lshrrev_b32_e32 v61, 16, v17
	v_cndmask_b32_e64 v18, v67, v68, s0
	v_bfe_u32 v17, v9, 16, 1
	v_cmp_u_f32_e64 s0, v19, v19
	v_mul_f32_e32 v19, s5, v62
	v_mul_f32_e32 v62, s5, v65
	v_lshrrev_b32_e32 v63, 16, v18
	v_add3_u32 v17, v17, v9, 0x7fff
	v_cndmask_b32_e64 v18, v64, v66, s0
	v_or_b32_e32 v64, 0x400000, v9
	v_bfe_u32 v65, v19, 16, 1
	v_cmp_u_f32_e64 s0, v9, v9
	v_bfe_u32 v66, v62, 16, 1
	v_or_b32_e32 v67, 0x400000, v62
	v_or_b32_e32 v68, 0x400000, v20
	v_cndmask_b32_e64 v9, v17, v64, s0
	v_add3_u32 v64, v65, v19, 0x7fff
	v_or_b32_e32 v65, 0x400000, v19
	v_cmp_u_f32_e64 s0, v19, v19
	v_bfe_u32 v17, v20, 16, 1
	v_add3_u32 v66, v66, v62, 0x7fff
	v_cndmask_b32_e64 v19, v64, v65, s0
	v_cmp_u_f32_e64 s0, v62, v62
	v_add3_u32 v17, v17, v20, 0x7fff
	v_lshrrev_b32_e32 v65, 16, v18
	v_cndmask_b32_e64 v62, v66, v67, s0
	v_cmp_u_f32_e64 s0, v20, v20
	v_lshrrev_b32_e32 v67, 16, v9
	v_lshrrev_b32_e32 v66, 16, v19
	;; [unrolled: 1-line block ×3, first 2 shown]
	v_cndmask_b32_e64 v17, v17, v68, s0
	v_lshrrev_b32_e32 v64, 16, v17
	s_and_saveexec_b32 s15, vcc_lo
	s_cbranch_execz .LBB320_600
; %bb.599:                              ;   in Loop: Header=BB320_414 Depth=1
	v_cmp_gt_i32_e64 s0, s11, v45
	v_cndmask_b32_e64 v66, 0, v66, s0
	v_cmp_gt_i32_e64 s0, s11, v51
	v_cndmask_b32_e64 v67, 0, v67, s0
	;; [unrolled: 2-line block ×8, first 2 shown]
.LBB320_600:                            ;   in Loop: Header=BB320_414 Depth=1
	s_or_b32 exec_lo, exec_lo, s15
	global_load_dwordx2 v[17:18], v[15:16], off offset:768
	v_mov_b32_e32 v69, 0
	v_mov_b32_e32 v70, 0
	s_waitcnt vmcnt(0)
	v_cmp_ne_u16_sdwa s0, v17, v10 src0_sel:BYTE_0 src1_sel:DWORD
	s_and_saveexec_b32 s15, s0
	s_cbranch_execz .LBB320_606
; %bb.601:                              ;   in Loop: Header=BB320_414 Depth=1
	v_cmp_ne_u16_sdwa s0, v17, v31 src0_sel:BYTE_0 src1_sel:DWORD
	v_bfrev_b32_e32 v70, 1
	s_and_saveexec_b32 s16, s0
	s_cbranch_execz .LBB320_605
; %bb.602:                              ;   in Loop: Header=BB320_414 Depth=1
	v_and_b32_e32 v9, 0x7f, v17
	v_mov_b32_e32 v70, 0x7f800001
	s_mov_b32 s17, exec_lo
	v_cmpx_ne_u32_e32 0x7f, v9
	s_cbranch_execz .LBB320_604
; %bb.603:                              ;   in Loop: Header=BB320_414 Depth=1
	v_and_b32_e32 v19, 7, v17
	v_lshrrev_b32_e32 v20, 3, v9
	v_cmp_gt_u32_e64 s0, 8, v9
	v_ffbh_u32_e32 v19, v19
	v_min_u32_e32 v19, 32, v19
	v_subrev_nc_u32_e32 v68, 28, v19
	v_sub_nc_u32_e32 v19, 29, v19
	v_cndmask_b32_e64 v9, v20, v19, s0
	v_cndmask_b32_e64 v19, 0, v68, s0
	v_lshl_add_u32 v9, v9, 23, 0x3c000000
	v_lshlrev_b64 v[19:20], v19, v[17:18]
	v_lshlrev_b32_e32 v20, 24, v17
	v_lshlrev_b32_e32 v19, 20, v19
	v_and_b32_e32 v20, 0x80000000, v20
	v_and_b32_e32 v19, 0x700000, v19
	v_or3_b32 v70, v19, v20, v9
.LBB320_604:                            ;   in Loop: Header=BB320_414 Depth=1
	s_or_b32 exec_lo, exec_lo, s17
.LBB320_605:                            ;   in Loop: Header=BB320_414 Depth=1
	s_or_b32 exec_lo, exec_lo, s16
.LBB320_606:                            ;   in Loop: Header=BB320_414 Depth=1
	s_or_b32 exec_lo, exec_lo, s15
	v_cmp_ne_u16_sdwa s0, v17, v10 src0_sel:BYTE_1 src1_sel:DWORD
	s_and_saveexec_b32 s15, s0
	s_cbranch_execz .LBB320_614
; %bb.607:                              ;   in Loop: Header=BB320_414 Depth=1
	v_cmp_ne_u16_sdwa s0, v17, v31 src0_sel:BYTE_1 src1_sel:DWORD
	v_bfrev_b32_e32 v69, 1
	s_and_saveexec_b32 s16, s0
	s_cbranch_execz .LBB320_613
; %bb.608:                              ;   in Loop: Header=BB320_414 Depth=1
	v_and_b32_sdwa v9, v32, v17 dst_sel:DWORD dst_unused:UNUSED_PAD src0_sel:DWORD src1_sel:BYTE_1
	v_mov_b32_e32 v69, 0x7f800001
	s_mov_b32 s17, exec_lo
	v_and_b32_e32 v20, 0x7f, v9
	v_cmpx_ne_u32_e32 0x7f, v20
	s_cbranch_execz .LBB320_612
; %bb.609:                              ;   in Loop: Header=BB320_414 Depth=1
	v_and_b32_e32 v9, 7, v9
	v_lshrrev_b32_e32 v19, 3, v20
	s_mov_b32 s18, exec_lo
	v_cmpx_gt_u32_e32 8, v20
; %bb.610:                              ;   in Loop: Header=BB320_414 Depth=1
	v_ffbh_u32_e32 v19, v9
	v_min_u32_e32 v19, 32, v19
	v_subrev_nc_u32_e32 v20, 28, v19
	v_sub_nc_u32_e32 v19, 29, v19
	v_lshlrev_b64 v[68:69], v20, v[9:10]
	v_and_b32_e32 v9, 7, v68
; %bb.611:                              ;   in Loop: Header=BB320_414 Depth=1
	s_or_b32 exec_lo, exec_lo, s18
	v_lshlrev_b32_e32 v20, 16, v17
	v_lshlrev_b32_e32 v9, 20, v9
	v_lshl_add_u32 v19, v19, 23, 0x3c000000
	v_and_b32_e32 v20, 0x80000000, v20
	v_or3_b32 v69, v9, v20, v19
.LBB320_612:                            ;   in Loop: Header=BB320_414 Depth=1
	s_or_b32 exec_lo, exec_lo, s17
.LBB320_613:                            ;   in Loop: Header=BB320_414 Depth=1
	s_or_b32 exec_lo, exec_lo, s16
.LBB320_614:                            ;   in Loop: Header=BB320_414 Depth=1
	s_or_b32 exec_lo, exec_lo, s15
	v_and_b32_sdwa v9, v17, v33 dst_sel:DWORD dst_unused:UNUSED_PAD src0_sel:WORD_1 src1_sel:DWORD
	v_mov_b32_e32 v71, 0
	v_mov_b32_e32 v68, 0
	s_mov_b32 s15, exec_lo
	v_cmpx_ne_u16_e32 0, v9
	s_cbranch_execz .LBB320_622
; %bb.615:                              ;   in Loop: Header=BB320_414 Depth=1
	v_bfrev_b32_e32 v68, 1
	s_mov_b32 s16, exec_lo
	v_cmpx_ne_u16_e32 0x80, v9
	s_cbranch_execz .LBB320_621
; %bb.616:                              ;   in Loop: Header=BB320_414 Depth=1
	v_bfe_u32 v20, v17, 16, 7
	v_mov_b32_e32 v68, 0x7f800001
	s_mov_b32 s17, exec_lo
	v_cmpx_ne_u32_e32 0x7f, v20
	s_cbranch_execz .LBB320_620
; %bb.617:                              ;   in Loop: Header=BB320_414 Depth=1
	v_and_b32_sdwa v9, v17, v34 dst_sel:DWORD dst_unused:UNUSED_PAD src0_sel:WORD_1 src1_sel:DWORD
	v_lshrrev_b32_e32 v19, 3, v20
	s_mov_b32 s18, exec_lo
	v_cmpx_gt_u32_e32 8, v20
; %bb.618:                              ;   in Loop: Header=BB320_414 Depth=1
	v_ffbh_u32_e32 v19, v9
	v_min_u32_e32 v19, 32, v19
	v_subrev_nc_u32_e32 v20, 28, v19
	v_sub_nc_u32_e32 v19, 29, v19
	v_lshlrev_b64 v[72:73], v20, v[9:10]
	v_and_b32_e32 v9, 7, v72
; %bb.619:                              ;   in Loop: Header=BB320_414 Depth=1
	s_or_b32 exec_lo, exec_lo, s18
	v_lshlrev_b32_sdwa v20, v35, v17 dst_sel:DWORD dst_unused:UNUSED_PAD src0_sel:DWORD src1_sel:WORD_1
	v_lshlrev_b32_e32 v9, 20, v9
	v_lshl_add_u32 v19, v19, 23, 0x3c000000
	v_and_b32_e32 v20, 0x80000000, v20
	v_or3_b32 v68, v9, v20, v19
.LBB320_620:                            ;   in Loop: Header=BB320_414 Depth=1
	s_or_b32 exec_lo, exec_lo, s17
.LBB320_621:                            ;   in Loop: Header=BB320_414 Depth=1
	s_or_b32 exec_lo, exec_lo, s16
.LBB320_622:                            ;   in Loop: Header=BB320_414 Depth=1
	s_or_b32 exec_lo, exec_lo, s15
	s_mov_b32 s15, exec_lo
	v_cmpx_lt_u32_e32 0xffffff, v17
	s_cbranch_execz .LBB320_630
; %bb.623:                              ;   in Loop: Header=BB320_414 Depth=1
	v_cmp_ne_u32_sdwa s0, v17, v31 src0_sel:BYTE_3 src1_sel:DWORD
	v_bfrev_b32_e32 v71, 1
	s_and_saveexec_b32 s16, s0
	s_cbranch_execz .LBB320_629
; %bb.624:                              ;   in Loop: Header=BB320_414 Depth=1
	v_bfe_u32 v20, v17, 24, 7
	v_mov_b32_e32 v71, 0x7f800001
	s_mov_b32 s17, exec_lo
	v_cmpx_ne_u32_e32 0x7f, v20
	s_cbranch_execz .LBB320_628
; %bb.625:                              ;   in Loop: Header=BB320_414 Depth=1
	v_and_b32_sdwa v9, v17, v34 dst_sel:DWORD dst_unused:UNUSED_PAD src0_sel:BYTE_3 src1_sel:DWORD
	v_lshrrev_b32_e32 v19, 3, v20
	s_mov_b32 s18, exec_lo
	v_cmpx_gt_u32_e32 8, v20
; %bb.626:                              ;   in Loop: Header=BB320_414 Depth=1
	v_ffbh_u32_e32 v19, v9
	v_min_u32_e32 v19, 32, v19
	v_subrev_nc_u32_e32 v20, 28, v19
	v_sub_nc_u32_e32 v19, 29, v19
	v_lshlrev_b64 v[71:72], v20, v[9:10]
	v_and_b32_e32 v9, 7, v71
; %bb.627:                              ;   in Loop: Header=BB320_414 Depth=1
	s_or_b32 exec_lo, exec_lo, s18
	v_lshlrev_b32_sdwa v20, v35, v17 dst_sel:DWORD dst_unused:UNUSED_PAD src0_sel:DWORD src1_sel:BYTE_3
	v_lshlrev_b32_e32 v9, 20, v9
	v_lshl_add_u32 v19, v19, 23, 0x3c000000
	v_and_b32_e32 v20, 0x80000000, v20
	v_or3_b32 v71, v9, v20, v19
.LBB320_628:                            ;   in Loop: Header=BB320_414 Depth=1
	s_or_b32 exec_lo, exec_lo, s17
.LBB320_629:                            ;   in Loop: Header=BB320_414 Depth=1
	s_or_b32 exec_lo, exec_lo, s16
.LBB320_630:                            ;   in Loop: Header=BB320_414 Depth=1
	s_or_b32 exec_lo, exec_lo, s15
	v_mov_b32_e32 v9, v18
	v_cmp_ne_u16_sdwa s0, v18, v10 src0_sel:BYTE_0 src1_sel:DWORD
	v_mov_b32_e32 v19, 0
	v_mov_b32_e32 v72, 0
	s_and_saveexec_b32 s15, s0
	s_cbranch_execz .LBB320_636
; %bb.631:                              ;   in Loop: Header=BB320_414 Depth=1
	v_cmp_ne_u16_sdwa s0, v18, v31 src0_sel:BYTE_0 src1_sel:DWORD
	v_bfrev_b32_e32 v72, 1
	s_and_saveexec_b32 s16, s0
	s_cbranch_execz .LBB320_635
; %bb.632:                              ;   in Loop: Header=BB320_414 Depth=1
	v_and_b32_e32 v20, 0x7f, v18
	v_mov_b32_e32 v72, 0x7f800001
	s_mov_b32 s17, exec_lo
	v_cmpx_ne_u32_e32 0x7f, v20
	s_cbranch_execz .LBB320_634
; %bb.633:                              ;   in Loop: Header=BB320_414 Depth=1
	v_and_b32_e32 v72, 7, v18
	v_lshrrev_b32_e32 v73, 3, v20
	v_cmp_gt_u32_e64 s0, 8, v20
	v_ffbh_u32_e32 v72, v72
	v_min_u32_e32 v72, 32, v72
	v_subrev_nc_u32_e32 v74, 28, v72
	v_sub_nc_u32_e32 v72, 29, v72
	v_cndmask_b32_e64 v20, v73, v72, s0
	v_cndmask_b32_e64 v72, 0, v74, s0
	v_lshl_add_u32 v20, v20, 23, 0x3c000000
	v_lshlrev_b64 v[72:73], v72, v[9:10]
	v_lshlrev_b32_e32 v73, 24, v9
	v_lshlrev_b32_e32 v72, 20, v72
	v_and_b32_e32 v73, 0x80000000, v73
	v_and_b32_e32 v72, 0x700000, v72
	v_or3_b32 v72, v72, v73, v20
.LBB320_634:                            ;   in Loop: Header=BB320_414 Depth=1
	s_or_b32 exec_lo, exec_lo, s17
.LBB320_635:                            ;   in Loop: Header=BB320_414 Depth=1
	s_or_b32 exec_lo, exec_lo, s16
.LBB320_636:                            ;   in Loop: Header=BB320_414 Depth=1
	s_or_b32 exec_lo, exec_lo, s15
	v_cmp_ne_u16_sdwa s0, v9, v10 src0_sel:BYTE_1 src1_sel:DWORD
	s_and_saveexec_b32 s15, s0
	s_cbranch_execz .LBB320_644
; %bb.637:                              ;   in Loop: Header=BB320_414 Depth=1
	v_cmp_ne_u16_sdwa s0, v9, v31 src0_sel:BYTE_1 src1_sel:DWORD
	v_bfrev_b32_e32 v19, 1
	s_and_saveexec_b32 s16, s0
	s_cbranch_execz .LBB320_643
; %bb.638:                              ;   in Loop: Header=BB320_414 Depth=1
	v_and_b32_sdwa v20, v32, v9 dst_sel:DWORD dst_unused:UNUSED_PAD src0_sel:DWORD src1_sel:BYTE_1
	v_mov_b32_e32 v19, 0x7f800001
	s_mov_b32 s17, exec_lo
	v_and_b32_e32 v74, 0x7f, v20
	v_cmpx_ne_u32_e32 0x7f, v74
	s_cbranch_execz .LBB320_642
; %bb.639:                              ;   in Loop: Header=BB320_414 Depth=1
	v_and_b32_e32 v19, 7, v20
	v_mov_b32_e32 v20, v10
	v_lshrrev_b32_e32 v73, 3, v74
	s_mov_b32 s18, exec_lo
	v_cmpx_gt_u32_e32 8, v74
; %bb.640:                              ;   in Loop: Header=BB320_414 Depth=1
	v_ffbh_u32_e32 v73, v19
	v_min_u32_e32 v73, 32, v73
	v_subrev_nc_u32_e32 v74, 28, v73
	v_sub_nc_u32_e32 v73, 29, v73
	v_lshlrev_b64 v[19:20], v74, v[19:20]
	v_and_b32_e32 v19, 7, v19
; %bb.641:                              ;   in Loop: Header=BB320_414 Depth=1
	s_or_b32 exec_lo, exec_lo, s18
	v_lshlrev_b32_e32 v9, 16, v9
	v_lshlrev_b32_e32 v19, 20, v19
	v_lshl_add_u32 v20, v73, 23, 0x3c000000
	v_and_b32_e32 v9, 0x80000000, v9
	v_or3_b32 v19, v19, v9, v20
.LBB320_642:                            ;   in Loop: Header=BB320_414 Depth=1
	s_or_b32 exec_lo, exec_lo, s17
.LBB320_643:                            ;   in Loop: Header=BB320_414 Depth=1
	s_or_b32 exec_lo, exec_lo, s16
.LBB320_644:                            ;   in Loop: Header=BB320_414 Depth=1
	s_or_b32 exec_lo, exec_lo, s15
	v_and_b32_sdwa v9, v18, v33 dst_sel:DWORD dst_unused:UNUSED_PAD src0_sel:WORD_1 src1_sel:DWORD
	v_mov_b32_e32 v20, 0
	v_mov_b32_e32 v73, 0
	s_mov_b32 s15, exec_lo
	v_cmpx_ne_u16_e32 0, v9
	s_cbranch_execz .LBB320_652
; %bb.645:                              ;   in Loop: Header=BB320_414 Depth=1
	v_bfrev_b32_e32 v73, 1
	s_mov_b32 s16, exec_lo
	v_cmpx_ne_u16_e32 0x80, v9
	s_cbranch_execz .LBB320_651
; %bb.646:                              ;   in Loop: Header=BB320_414 Depth=1
	v_bfe_u32 v74, v18, 16, 7
	v_mov_b32_e32 v73, 0x7f800001
	s_mov_b32 s17, exec_lo
	v_cmpx_ne_u32_e32 0x7f, v74
	s_cbranch_execz .LBB320_650
; %bb.647:                              ;   in Loop: Header=BB320_414 Depth=1
	v_and_b32_sdwa v9, v18, v34 dst_sel:DWORD dst_unused:UNUSED_PAD src0_sel:WORD_1 src1_sel:DWORD
	v_lshrrev_b32_e32 v73, 3, v74
	s_mov_b32 s18, exec_lo
	v_cmpx_gt_u32_e32 8, v74
; %bb.648:                              ;   in Loop: Header=BB320_414 Depth=1
	v_ffbh_u32_e32 v73, v9
	v_min_u32_e32 v73, 32, v73
	v_subrev_nc_u32_e32 v74, 28, v73
	v_sub_nc_u32_e32 v73, 29, v73
	v_lshlrev_b64 v[74:75], v74, v[9:10]
	v_and_b32_e32 v9, 7, v74
; %bb.649:                              ;   in Loop: Header=BB320_414 Depth=1
	s_or_b32 exec_lo, exec_lo, s18
	v_lshlrev_b32_sdwa v74, v35, v18 dst_sel:DWORD dst_unused:UNUSED_PAD src0_sel:DWORD src1_sel:WORD_1
	v_lshlrev_b32_e32 v9, 20, v9
	v_lshl_add_u32 v73, v73, 23, 0x3c000000
	v_and_b32_e32 v74, 0x80000000, v74
	v_or3_b32 v73, v9, v74, v73
.LBB320_650:                            ;   in Loop: Header=BB320_414 Depth=1
	s_or_b32 exec_lo, exec_lo, s17
.LBB320_651:                            ;   in Loop: Header=BB320_414 Depth=1
	s_or_b32 exec_lo, exec_lo, s16
.LBB320_652:                            ;   in Loop: Header=BB320_414 Depth=1
	s_or_b32 exec_lo, exec_lo, s15
	s_mov_b32 s15, exec_lo
	v_cmpx_lt_u64_e64 s[2:3], v[17:18]
	s_cbranch_execz .LBB320_660
; %bb.653:                              ;   in Loop: Header=BB320_414 Depth=1
	v_cmp_ne_u32_sdwa s0, v18, v31 src0_sel:BYTE_3 src1_sel:DWORD
	v_bfrev_b32_e32 v20, 1
	s_and_saveexec_b32 s16, s0
	s_cbranch_execz .LBB320_659
; %bb.654:                              ;   in Loop: Header=BB320_414 Depth=1
	v_bfe_u32 v74, v18, 24, 7
	v_mov_b32_e32 v20, 0x7f800001
	s_mov_b32 s17, exec_lo
	v_cmpx_ne_u32_e32 0x7f, v74
	s_cbranch_execz .LBB320_658
; %bb.655:                              ;   in Loop: Header=BB320_414 Depth=1
	v_and_b32_sdwa v9, v18, v34 dst_sel:DWORD dst_unused:UNUSED_PAD src0_sel:BYTE_3 src1_sel:DWORD
	v_lshrrev_b32_e32 v17, 3, v74
	s_mov_b32 s18, exec_lo
	v_cmpx_gt_u32_e32 8, v74
; %bb.656:                              ;   in Loop: Header=BB320_414 Depth=1
	v_ffbh_u32_e32 v17, v9
	v_min_u32_e32 v17, 32, v17
	v_subrev_nc_u32_e32 v20, 28, v17
	v_sub_nc_u32_e32 v17, 29, v17
	v_lshlrev_b64 v[74:75], v20, v[9:10]
	v_and_b32_e32 v9, 7, v74
; %bb.657:                              ;   in Loop: Header=BB320_414 Depth=1
	s_or_b32 exec_lo, exec_lo, s18
	v_lshlrev_b32_sdwa v18, v35, v18 dst_sel:DWORD dst_unused:UNUSED_PAD src0_sel:DWORD src1_sel:BYTE_3
	v_lshlrev_b32_e32 v9, 20, v9
	v_lshl_add_u32 v17, v17, 23, 0x3c000000
	v_and_b32_e32 v18, 0x80000000, v18
	v_or3_b32 v20, v9, v18, v17
.LBB320_658:                            ;   in Loop: Header=BB320_414 Depth=1
	s_or_b32 exec_lo, exec_lo, s17
.LBB320_659:                            ;   in Loop: Header=BB320_414 Depth=1
	s_or_b32 exec_lo, exec_lo, s16
.LBB320_660:                            ;   in Loop: Header=BB320_414 Depth=1
	s_or_b32 exec_lo, exec_lo, s15
	v_mul_f32_e32 v9, s5, v19
	v_mul_f32_e32 v17, s5, v72
	;; [unrolled: 1-line block ×5, first 2 shown]
	v_bfe_u32 v68, v9, 16, 1
	v_or_b32_e32 v71, 0x400000, v9
	v_bfe_u32 v72, v17, 16, 1
	v_cmp_u_f32_e64 s0, v9, v9
	v_or_b32_e32 v74, 0x400000, v17
	v_add3_u32 v68, v68, v9, 0x7fff
	v_bfe_u32 v75, v18, 16, 1
	v_add3_u32 v72, v72, v17, 0x7fff
	v_or_b32_e32 v76, 0x400000, v18
	v_bfe_u32 v77, v19, 16, 1
	v_cndmask_b32_e64 v9, v68, v71, s0
	v_cmp_u_f32_e64 s0, v17, v17
	v_add3_u32 v75, v75, v18, 0x7fff
	v_lshrrev_b32_e32 v68, 16, v9
	v_cndmask_b32_e64 v17, v72, v74, s0
	v_cmp_u_f32_e64 s0, v18, v18
	v_mul_f32_e32 v9, s5, v69
	v_add3_u32 v72, v77, v19, 0x7fff
	v_or_b32_e32 v74, 0x400000, v19
	v_lshrrev_b32_e32 v69, 16, v17
	v_cndmask_b32_e64 v18, v75, v76, s0
	v_bfe_u32 v17, v9, 16, 1
	v_cmp_u_f32_e64 s0, v19, v19
	v_mul_f32_e32 v19, s5, v70
	v_mul_f32_e32 v70, s5, v73
	v_lshrrev_b32_e32 v71, 16, v18
	v_add3_u32 v17, v17, v9, 0x7fff
	v_cndmask_b32_e64 v18, v72, v74, s0
	v_or_b32_e32 v72, 0x400000, v9
	v_bfe_u32 v73, v19, 16, 1
	v_cmp_u_f32_e64 s0, v9, v9
	v_bfe_u32 v74, v70, 16, 1
	v_or_b32_e32 v75, 0x400000, v70
	v_or_b32_e32 v76, 0x400000, v20
	v_cndmask_b32_e64 v9, v17, v72, s0
	v_add3_u32 v72, v73, v19, 0x7fff
	v_or_b32_e32 v73, 0x400000, v19
	v_cmp_u_f32_e64 s0, v19, v19
	v_bfe_u32 v17, v20, 16, 1
	v_add3_u32 v74, v74, v70, 0x7fff
	v_cndmask_b32_e64 v19, v72, v73, s0
	v_cmp_u_f32_e64 s0, v70, v70
	v_add3_u32 v17, v17, v20, 0x7fff
	v_lshrrev_b32_e32 v73, 16, v18
	v_cndmask_b32_e64 v70, v74, v75, s0
	v_cmp_u_f32_e64 s0, v20, v20
	v_lshrrev_b32_e32 v75, 16, v9
	v_lshrrev_b32_e32 v74, 16, v19
	;; [unrolled: 1-line block ×3, first 2 shown]
	v_cndmask_b32_e64 v17, v17, v76, s0
	v_lshrrev_b32_e32 v72, 16, v17
	s_and_saveexec_b32 s15, vcc_lo
	s_cbranch_execz .LBB320_662
; %bb.661:                              ;   in Loop: Header=BB320_414 Depth=1
	v_cmp_gt_i32_e64 s0, s11, v45
	v_cndmask_b32_e64 v74, 0, v74, s0
	v_cmp_gt_i32_e64 s0, s11, v51
	v_cndmask_b32_e64 v75, 0, v75, s0
	;; [unrolled: 2-line block ×8, first 2 shown]
.LBB320_662:                            ;   in Loop: Header=BB320_414 Depth=1
	s_or_b32 exec_lo, exec_lo, s15
	global_load_dwordx2 v[17:18], v[15:16], off offset:1024
	v_mov_b32_e32 v77, 0
	v_mov_b32_e32 v76, 0
	s_waitcnt vmcnt(0)
	v_cmp_ne_u16_sdwa s0, v17, v10 src0_sel:BYTE_0 src1_sel:DWORD
	s_and_saveexec_b32 s15, s0
	s_cbranch_execz .LBB320_668
; %bb.663:                              ;   in Loop: Header=BB320_414 Depth=1
	v_cmp_ne_u16_sdwa s0, v17, v31 src0_sel:BYTE_0 src1_sel:DWORD
	v_bfrev_b32_e32 v76, 1
	s_and_saveexec_b32 s16, s0
	s_cbranch_execz .LBB320_667
; %bb.664:                              ;   in Loop: Header=BB320_414 Depth=1
	v_and_b32_e32 v9, 0x7f, v17
	v_mov_b32_e32 v76, 0x7f800001
	s_mov_b32 s17, exec_lo
	v_cmpx_ne_u32_e32 0x7f, v9
	s_cbranch_execz .LBB320_666
; %bb.665:                              ;   in Loop: Header=BB320_414 Depth=1
	v_and_b32_e32 v19, 7, v17
	v_lshrrev_b32_e32 v20, 3, v9
	v_cmp_gt_u32_e64 s0, 8, v9
	v_ffbh_u32_e32 v19, v19
	v_min_u32_e32 v19, 32, v19
	v_subrev_nc_u32_e32 v76, 28, v19
	v_sub_nc_u32_e32 v19, 29, v19
	v_cndmask_b32_e64 v9, v20, v19, s0
	v_cndmask_b32_e64 v19, 0, v76, s0
	v_lshl_add_u32 v9, v9, 23, 0x3c000000
	v_lshlrev_b64 v[19:20], v19, v[17:18]
	v_lshlrev_b32_e32 v20, 24, v17
	v_lshlrev_b32_e32 v19, 20, v19
	v_and_b32_e32 v20, 0x80000000, v20
	v_and_b32_e32 v19, 0x700000, v19
	v_or3_b32 v76, v19, v20, v9
.LBB320_666:                            ;   in Loop: Header=BB320_414 Depth=1
	s_or_b32 exec_lo, exec_lo, s17
.LBB320_667:                            ;   in Loop: Header=BB320_414 Depth=1
	s_or_b32 exec_lo, exec_lo, s16
.LBB320_668:                            ;   in Loop: Header=BB320_414 Depth=1
	s_or_b32 exec_lo, exec_lo, s15
	v_cmp_ne_u16_sdwa s0, v17, v10 src0_sel:BYTE_1 src1_sel:DWORD
	s_and_saveexec_b32 s15, s0
	s_cbranch_execz .LBB320_676
; %bb.669:                              ;   in Loop: Header=BB320_414 Depth=1
	v_cmp_ne_u16_sdwa s0, v17, v31 src0_sel:BYTE_1 src1_sel:DWORD
	v_bfrev_b32_e32 v77, 1
	s_and_saveexec_b32 s16, s0
	s_cbranch_execz .LBB320_675
; %bb.670:                              ;   in Loop: Header=BB320_414 Depth=1
	v_and_b32_sdwa v9, v32, v17 dst_sel:DWORD dst_unused:UNUSED_PAD src0_sel:DWORD src1_sel:BYTE_1
	v_mov_b32_e32 v77, 0x7f800001
	s_mov_b32 s17, exec_lo
	v_and_b32_e32 v20, 0x7f, v9
	v_cmpx_ne_u32_e32 0x7f, v20
	s_cbranch_execz .LBB320_674
; %bb.671:                              ;   in Loop: Header=BB320_414 Depth=1
	v_and_b32_e32 v9, 7, v9
	v_lshrrev_b32_e32 v19, 3, v20
	s_mov_b32 s18, exec_lo
	v_cmpx_gt_u32_e32 8, v20
; %bb.672:                              ;   in Loop: Header=BB320_414 Depth=1
	v_ffbh_u32_e32 v19, v9
	v_min_u32_e32 v19, 32, v19
	v_subrev_nc_u32_e32 v20, 28, v19
	v_sub_nc_u32_e32 v19, 29, v19
	v_lshlrev_b64 v[77:78], v20, v[9:10]
	v_and_b32_e32 v9, 7, v77
; %bb.673:                              ;   in Loop: Header=BB320_414 Depth=1
	s_or_b32 exec_lo, exec_lo, s18
	v_lshlrev_b32_e32 v20, 16, v17
	v_lshlrev_b32_e32 v9, 20, v9
	v_lshl_add_u32 v19, v19, 23, 0x3c000000
	v_and_b32_e32 v20, 0x80000000, v20
	v_or3_b32 v77, v9, v20, v19
.LBB320_674:                            ;   in Loop: Header=BB320_414 Depth=1
	s_or_b32 exec_lo, exec_lo, s17
.LBB320_675:                            ;   in Loop: Header=BB320_414 Depth=1
	s_or_b32 exec_lo, exec_lo, s16
.LBB320_676:                            ;   in Loop: Header=BB320_414 Depth=1
	s_or_b32 exec_lo, exec_lo, s15
	v_and_b32_sdwa v9, v17, v33 dst_sel:DWORD dst_unused:UNUSED_PAD src0_sel:WORD_1 src1_sel:DWORD
	v_mov_b32_e32 v79, 0
	v_mov_b32_e32 v78, 0
	s_mov_b32 s15, exec_lo
	v_cmpx_ne_u16_e32 0, v9
	s_cbranch_execz .LBB320_684
; %bb.677:                              ;   in Loop: Header=BB320_414 Depth=1
	v_bfrev_b32_e32 v78, 1
	s_mov_b32 s16, exec_lo
	v_cmpx_ne_u16_e32 0x80, v9
	s_cbranch_execz .LBB320_683
; %bb.678:                              ;   in Loop: Header=BB320_414 Depth=1
	v_bfe_u32 v20, v17, 16, 7
	v_mov_b32_e32 v78, 0x7f800001
	s_mov_b32 s17, exec_lo
	v_cmpx_ne_u32_e32 0x7f, v20
	s_cbranch_execz .LBB320_682
; %bb.679:                              ;   in Loop: Header=BB320_414 Depth=1
	v_and_b32_sdwa v9, v17, v34 dst_sel:DWORD dst_unused:UNUSED_PAD src0_sel:WORD_1 src1_sel:DWORD
	v_lshrrev_b32_e32 v19, 3, v20
	s_mov_b32 s18, exec_lo
	v_cmpx_gt_u32_e32 8, v20
; %bb.680:                              ;   in Loop: Header=BB320_414 Depth=1
	v_ffbh_u32_e32 v19, v9
	v_min_u32_e32 v19, 32, v19
	v_subrev_nc_u32_e32 v20, 28, v19
	v_sub_nc_u32_e32 v19, 29, v19
	v_lshlrev_b64 v[80:81], v20, v[9:10]
	v_and_b32_e32 v9, 7, v80
; %bb.681:                              ;   in Loop: Header=BB320_414 Depth=1
	s_or_b32 exec_lo, exec_lo, s18
	v_lshlrev_b32_sdwa v20, v35, v17 dst_sel:DWORD dst_unused:UNUSED_PAD src0_sel:DWORD src1_sel:WORD_1
	v_lshlrev_b32_e32 v9, 20, v9
	v_lshl_add_u32 v19, v19, 23, 0x3c000000
	v_and_b32_e32 v20, 0x80000000, v20
	v_or3_b32 v78, v9, v20, v19
.LBB320_682:                            ;   in Loop: Header=BB320_414 Depth=1
	s_or_b32 exec_lo, exec_lo, s17
.LBB320_683:                            ;   in Loop: Header=BB320_414 Depth=1
	s_or_b32 exec_lo, exec_lo, s16
.LBB320_684:                            ;   in Loop: Header=BB320_414 Depth=1
	s_or_b32 exec_lo, exec_lo, s15
	s_mov_b32 s15, exec_lo
	v_cmpx_lt_u32_e32 0xffffff, v17
	s_cbranch_execz .LBB320_692
; %bb.685:                              ;   in Loop: Header=BB320_414 Depth=1
	v_cmp_ne_u32_sdwa s0, v17, v31 src0_sel:BYTE_3 src1_sel:DWORD
	v_bfrev_b32_e32 v79, 1
	s_and_saveexec_b32 s16, s0
	s_cbranch_execz .LBB320_691
; %bb.686:                              ;   in Loop: Header=BB320_414 Depth=1
	v_bfe_u32 v20, v17, 24, 7
	v_mov_b32_e32 v79, 0x7f800001
	s_mov_b32 s17, exec_lo
	v_cmpx_ne_u32_e32 0x7f, v20
	s_cbranch_execz .LBB320_690
; %bb.687:                              ;   in Loop: Header=BB320_414 Depth=1
	v_and_b32_sdwa v9, v17, v34 dst_sel:DWORD dst_unused:UNUSED_PAD src0_sel:BYTE_3 src1_sel:DWORD
	v_lshrrev_b32_e32 v19, 3, v20
	s_mov_b32 s18, exec_lo
	v_cmpx_gt_u32_e32 8, v20
; %bb.688:                              ;   in Loop: Header=BB320_414 Depth=1
	v_ffbh_u32_e32 v19, v9
	v_min_u32_e32 v19, 32, v19
	v_subrev_nc_u32_e32 v20, 28, v19
	v_sub_nc_u32_e32 v19, 29, v19
	v_lshlrev_b64 v[79:80], v20, v[9:10]
	v_and_b32_e32 v9, 7, v79
; %bb.689:                              ;   in Loop: Header=BB320_414 Depth=1
	s_or_b32 exec_lo, exec_lo, s18
	v_lshlrev_b32_sdwa v20, v35, v17 dst_sel:DWORD dst_unused:UNUSED_PAD src0_sel:DWORD src1_sel:BYTE_3
	v_lshlrev_b32_e32 v9, 20, v9
	v_lshl_add_u32 v19, v19, 23, 0x3c000000
	v_and_b32_e32 v20, 0x80000000, v20
	v_or3_b32 v79, v9, v20, v19
.LBB320_690:                            ;   in Loop: Header=BB320_414 Depth=1
	s_or_b32 exec_lo, exec_lo, s17
.LBB320_691:                            ;   in Loop: Header=BB320_414 Depth=1
	s_or_b32 exec_lo, exec_lo, s16
.LBB320_692:                            ;   in Loop: Header=BB320_414 Depth=1
	s_or_b32 exec_lo, exec_lo, s15
	v_mov_b32_e32 v9, v18
	v_cmp_ne_u16_sdwa s0, v18, v10 src0_sel:BYTE_0 src1_sel:DWORD
	v_mov_b32_e32 v19, 0
	v_mov_b32_e32 v80, 0
	s_and_saveexec_b32 s15, s0
	s_cbranch_execz .LBB320_698
; %bb.693:                              ;   in Loop: Header=BB320_414 Depth=1
	v_cmp_ne_u16_sdwa s0, v18, v31 src0_sel:BYTE_0 src1_sel:DWORD
	v_bfrev_b32_e32 v80, 1
	s_and_saveexec_b32 s16, s0
	s_cbranch_execz .LBB320_697
; %bb.694:                              ;   in Loop: Header=BB320_414 Depth=1
	v_and_b32_e32 v20, 0x7f, v18
	v_mov_b32_e32 v80, 0x7f800001
	s_mov_b32 s17, exec_lo
	v_cmpx_ne_u32_e32 0x7f, v20
	s_cbranch_execz .LBB320_696
; %bb.695:                              ;   in Loop: Header=BB320_414 Depth=1
	v_and_b32_e32 v80, 7, v18
	v_lshrrev_b32_e32 v81, 3, v20
	v_cmp_gt_u32_e64 s0, 8, v20
	v_ffbh_u32_e32 v80, v80
	v_min_u32_e32 v80, 32, v80
	v_subrev_nc_u32_e32 v82, 28, v80
	v_sub_nc_u32_e32 v80, 29, v80
	v_cndmask_b32_e64 v20, v81, v80, s0
	v_cndmask_b32_e64 v80, 0, v82, s0
	v_lshl_add_u32 v20, v20, 23, 0x3c000000
	v_lshlrev_b64 v[80:81], v80, v[9:10]
	v_lshlrev_b32_e32 v81, 24, v9
	v_lshlrev_b32_e32 v80, 20, v80
	v_and_b32_e32 v81, 0x80000000, v81
	v_and_b32_e32 v80, 0x700000, v80
	v_or3_b32 v80, v80, v81, v20
.LBB320_696:                            ;   in Loop: Header=BB320_414 Depth=1
	s_or_b32 exec_lo, exec_lo, s17
.LBB320_697:                            ;   in Loop: Header=BB320_414 Depth=1
	s_or_b32 exec_lo, exec_lo, s16
.LBB320_698:                            ;   in Loop: Header=BB320_414 Depth=1
	s_or_b32 exec_lo, exec_lo, s15
	v_cmp_ne_u16_sdwa s0, v9, v10 src0_sel:BYTE_1 src1_sel:DWORD
	s_and_saveexec_b32 s15, s0
	s_cbranch_execz .LBB320_706
; %bb.699:                              ;   in Loop: Header=BB320_414 Depth=1
	v_cmp_ne_u16_sdwa s0, v9, v31 src0_sel:BYTE_1 src1_sel:DWORD
	v_bfrev_b32_e32 v19, 1
	s_and_saveexec_b32 s16, s0
	s_cbranch_execz .LBB320_705
; %bb.700:                              ;   in Loop: Header=BB320_414 Depth=1
	v_and_b32_sdwa v20, v32, v9 dst_sel:DWORD dst_unused:UNUSED_PAD src0_sel:DWORD src1_sel:BYTE_1
	v_mov_b32_e32 v19, 0x7f800001
	s_mov_b32 s17, exec_lo
	v_and_b32_e32 v82, 0x7f, v20
	v_cmpx_ne_u32_e32 0x7f, v82
	s_cbranch_execz .LBB320_704
; %bb.701:                              ;   in Loop: Header=BB320_414 Depth=1
	v_and_b32_e32 v19, 7, v20
	v_mov_b32_e32 v20, v10
	v_lshrrev_b32_e32 v81, 3, v82
	s_mov_b32 s18, exec_lo
	v_cmpx_gt_u32_e32 8, v82
; %bb.702:                              ;   in Loop: Header=BB320_414 Depth=1
	v_ffbh_u32_e32 v81, v19
	v_min_u32_e32 v81, 32, v81
	v_subrev_nc_u32_e32 v82, 28, v81
	v_sub_nc_u32_e32 v81, 29, v81
	v_lshlrev_b64 v[19:20], v82, v[19:20]
	v_and_b32_e32 v19, 7, v19
; %bb.703:                              ;   in Loop: Header=BB320_414 Depth=1
	s_or_b32 exec_lo, exec_lo, s18
	v_lshlrev_b32_e32 v9, 16, v9
	v_lshlrev_b32_e32 v19, 20, v19
	v_lshl_add_u32 v20, v81, 23, 0x3c000000
	v_and_b32_e32 v9, 0x80000000, v9
	v_or3_b32 v19, v19, v9, v20
.LBB320_704:                            ;   in Loop: Header=BB320_414 Depth=1
	s_or_b32 exec_lo, exec_lo, s17
.LBB320_705:                            ;   in Loop: Header=BB320_414 Depth=1
	s_or_b32 exec_lo, exec_lo, s16
.LBB320_706:                            ;   in Loop: Header=BB320_414 Depth=1
	s_or_b32 exec_lo, exec_lo, s15
	v_and_b32_sdwa v9, v18, v33 dst_sel:DWORD dst_unused:UNUSED_PAD src0_sel:WORD_1 src1_sel:DWORD
	v_mov_b32_e32 v81, 0
	v_mov_b32_e32 v82, 0
	s_mov_b32 s15, exec_lo
	v_cmpx_ne_u16_e32 0, v9
	s_cbranch_execz .LBB320_714
; %bb.707:                              ;   in Loop: Header=BB320_414 Depth=1
	v_bfrev_b32_e32 v82, 1
	s_mov_b32 s16, exec_lo
	v_cmpx_ne_u16_e32 0x80, v9
	s_cbranch_execz .LBB320_713
; %bb.708:                              ;   in Loop: Header=BB320_414 Depth=1
	v_bfe_u32 v83, v18, 16, 7
	v_mov_b32_e32 v82, 0x7f800001
	s_mov_b32 s17, exec_lo
	v_cmpx_ne_u32_e32 0x7f, v83
	s_cbranch_execz .LBB320_712
; %bb.709:                              ;   in Loop: Header=BB320_414 Depth=1
	v_and_b32_sdwa v9, v18, v34 dst_sel:DWORD dst_unused:UNUSED_PAD src0_sel:WORD_1 src1_sel:DWORD
	v_lshrrev_b32_e32 v20, 3, v83
	s_mov_b32 s18, exec_lo
	v_cmpx_gt_u32_e32 8, v83
; %bb.710:                              ;   in Loop: Header=BB320_414 Depth=1
	v_ffbh_u32_e32 v20, v9
	v_min_u32_e32 v20, 32, v20
	v_subrev_nc_u32_e32 v82, 28, v20
	v_sub_nc_u32_e32 v20, 29, v20
	v_lshlrev_b64 v[82:83], v82, v[9:10]
	v_and_b32_e32 v9, 7, v82
; %bb.711:                              ;   in Loop: Header=BB320_414 Depth=1
	s_or_b32 exec_lo, exec_lo, s18
	v_lshlrev_b32_sdwa v82, v35, v18 dst_sel:DWORD dst_unused:UNUSED_PAD src0_sel:DWORD src1_sel:WORD_1
	v_lshlrev_b32_e32 v9, 20, v9
	v_lshl_add_u32 v20, v20, 23, 0x3c000000
	v_and_b32_e32 v82, 0x80000000, v82
	v_or3_b32 v82, v9, v82, v20
.LBB320_712:                            ;   in Loop: Header=BB320_414 Depth=1
	s_or_b32 exec_lo, exec_lo, s17
.LBB320_713:                            ;   in Loop: Header=BB320_414 Depth=1
	s_or_b32 exec_lo, exec_lo, s16
.LBB320_714:                            ;   in Loop: Header=BB320_414 Depth=1
	s_or_b32 exec_lo, exec_lo, s15
	s_mov_b32 s15, exec_lo
	v_cmpx_lt_u64_e64 s[2:3], v[17:18]
	s_cbranch_execz .LBB320_722
; %bb.715:                              ;   in Loop: Header=BB320_414 Depth=1
	v_cmp_ne_u32_sdwa s0, v18, v31 src0_sel:BYTE_3 src1_sel:DWORD
	v_bfrev_b32_e32 v81, 1
	s_and_saveexec_b32 s16, s0
	s_cbranch_execz .LBB320_721
; %bb.716:                              ;   in Loop: Header=BB320_414 Depth=1
	v_bfe_u32 v20, v18, 24, 7
	v_mov_b32_e32 v81, 0x7f800001
	s_mov_b32 s17, exec_lo
	v_cmpx_ne_u32_e32 0x7f, v20
	s_cbranch_execz .LBB320_720
; %bb.717:                              ;   in Loop: Header=BB320_414 Depth=1
	v_and_b32_sdwa v9, v18, v34 dst_sel:DWORD dst_unused:UNUSED_PAD src0_sel:BYTE_3 src1_sel:DWORD
	v_lshrrev_b32_e32 v17, 3, v20
	s_mov_b32 s18, exec_lo
	v_cmpx_gt_u32_e32 8, v20
; %bb.718:                              ;   in Loop: Header=BB320_414 Depth=1
	v_ffbh_u32_e32 v17, v9
	v_min_u32_e32 v17, 32, v17
	v_subrev_nc_u32_e32 v20, 28, v17
	v_sub_nc_u32_e32 v17, 29, v17
	v_lshlrev_b64 v[83:84], v20, v[9:10]
	v_and_b32_e32 v9, 7, v83
; %bb.719:                              ;   in Loop: Header=BB320_414 Depth=1
	s_or_b32 exec_lo, exec_lo, s18
	v_lshlrev_b32_sdwa v18, v35, v18 dst_sel:DWORD dst_unused:UNUSED_PAD src0_sel:DWORD src1_sel:BYTE_3
	v_lshlrev_b32_e32 v9, 20, v9
	v_lshl_add_u32 v17, v17, 23, 0x3c000000
	v_and_b32_e32 v18, 0x80000000, v18
	v_or3_b32 v81, v9, v18, v17
.LBB320_720:                            ;   in Loop: Header=BB320_414 Depth=1
	s_or_b32 exec_lo, exec_lo, s17
.LBB320_721:                            ;   in Loop: Header=BB320_414 Depth=1
	s_or_b32 exec_lo, exec_lo, s16
.LBB320_722:                            ;   in Loop: Header=BB320_414 Depth=1
	s_or_b32 exec_lo, exec_lo, s15
	v_mul_f32_e32 v9, s5, v19
	v_mul_f32_e32 v17, s5, v80
	;; [unrolled: 1-line block ×5, first 2 shown]
	v_bfe_u32 v19, v9, 16, 1
	v_or_b32_e32 v20, 0x400000, v9
	v_bfe_u32 v78, v17, 16, 1
	v_cmp_u_f32_e64 s0, v9, v9
	v_or_b32_e32 v80, 0x400000, v17
	v_add3_u32 v19, v19, v9, 0x7fff
	v_bfe_u32 v83, v18, 16, 1
	v_add3_u32 v78, v78, v17, 0x7fff
	v_or_b32_e32 v84, 0x400000, v18
	v_bfe_u32 v85, v79, 16, 1
	v_cndmask_b32_e64 v9, v19, v20, s0
	v_cmp_u_f32_e64 s0, v17, v17
	v_add3_u32 v83, v83, v18, 0x7fff
	v_lshrrev_b32_e32 v19, 16, v9
	v_cndmask_b32_e64 v17, v78, v80, s0
	v_cmp_u_f32_e64 s0, v18, v18
	v_mul_f32_e32 v9, s5, v77
	v_add3_u32 v77, v85, v79, 0x7fff
	v_or_b32_e32 v80, 0x400000, v79
	v_lshrrev_b32_e32 v20, 16, v17
	v_cndmask_b32_e64 v18, v83, v84, s0
	v_bfe_u32 v17, v9, 16, 1
	v_cmp_u_f32_e64 s0, v79, v79
	v_or_b32_e32 v79, 0x400000, v9
	v_lshrrev_b32_e32 v78, 16, v18
	v_add3_u32 v17, v17, v9, 0x7fff
	v_cndmask_b32_e64 v18, v77, v80, s0
	v_mul_f32_e32 v77, s5, v82
	v_mul_f32_e32 v80, s5, v81
	v_bfe_u32 v81, v76, 16, 1
	v_cmp_u_f32_e64 s0, v9, v9
	v_bfe_u32 v82, v77, 16, 1
	v_or_b32_e32 v83, 0x400000, v77
	v_or_b32_e32 v84, 0x400000, v80
	v_cndmask_b32_e64 v9, v17, v79, s0
	v_add3_u32 v79, v81, v76, 0x7fff
	v_or_b32_e32 v81, 0x400000, v76
	v_cmp_u_f32_e64 s0, v76, v76
	v_bfe_u32 v17, v80, 16, 1
	v_add3_u32 v82, v82, v77, 0x7fff
	v_cndmask_b32_e64 v76, v79, v81, s0
	v_cmp_u_f32_e64 s0, v77, v77
	v_add3_u32 v17, v17, v80, 0x7fff
	v_lshrrev_b32_e32 v79, 16, v18
	v_lshrrev_b32_e32 v81, 16, v9
	v_cndmask_b32_e64 v77, v82, v83, s0
	v_cmp_u_f32_e64 s0, v80, v80
	v_lshrrev_b32_e32 v80, 16, v76
	v_lshrrev_b32_e32 v76, 16, v77
	v_cndmask_b32_e64 v17, v17, v84, s0
	v_lshrrev_b32_e32 v77, 16, v17
	s_and_saveexec_b32 s15, vcc_lo
	s_cbranch_execz .LBB320_724
; %bb.723:                              ;   in Loop: Header=BB320_414 Depth=1
	v_cmp_gt_i32_e64 s0, s11, v45
	v_cndmask_b32_e64 v80, 0, v80, s0
	v_cmp_gt_i32_e64 s0, s11, v51
	v_cndmask_b32_e64 v81, 0, v81, s0
	;; [unrolled: 2-line block ×8, first 2 shown]
.LBB320_724:                            ;   in Loop: Header=BB320_414 Depth=1
	s_or_b32 exec_lo, exec_lo, s15
	global_load_dwordx2 v[15:16], v[15:16], off offset:1280
	v_mov_b32_e32 v83, 0
	v_mov_b32_e32 v82, 0
	s_waitcnt vmcnt(0)
	v_cmp_ne_u16_sdwa s0, v15, v10 src0_sel:BYTE_0 src1_sel:DWORD
	s_and_saveexec_b32 s15, s0
	s_cbranch_execz .LBB320_730
; %bb.725:                              ;   in Loop: Header=BB320_414 Depth=1
	v_cmp_ne_u16_sdwa s0, v15, v31 src0_sel:BYTE_0 src1_sel:DWORD
	v_bfrev_b32_e32 v82, 1
	s_and_saveexec_b32 s16, s0
	s_cbranch_execz .LBB320_729
; %bb.726:                              ;   in Loop: Header=BB320_414 Depth=1
	v_and_b32_e32 v9, 0x7f, v15
	v_mov_b32_e32 v82, 0x7f800001
	s_mov_b32 s17, exec_lo
	v_cmpx_ne_u32_e32 0x7f, v9
	s_cbranch_execz .LBB320_728
; %bb.727:                              ;   in Loop: Header=BB320_414 Depth=1
	v_and_b32_e32 v17, 7, v15
	v_lshrrev_b32_e32 v18, 3, v9
	v_cmp_gt_u32_e64 s0, 8, v9
	v_ffbh_u32_e32 v17, v17
	v_min_u32_e32 v17, 32, v17
	v_subrev_nc_u32_e32 v82, 28, v17
	v_sub_nc_u32_e32 v17, 29, v17
	v_cndmask_b32_e64 v9, v18, v17, s0
	v_cndmask_b32_e64 v17, 0, v82, s0
	v_lshl_add_u32 v9, v9, 23, 0x3c000000
	v_lshlrev_b64 v[17:18], v17, v[15:16]
	v_lshlrev_b32_e32 v18, 24, v15
	v_lshlrev_b32_e32 v17, 20, v17
	v_and_b32_e32 v18, 0x80000000, v18
	v_and_b32_e32 v17, 0x700000, v17
	v_or3_b32 v82, v17, v18, v9
.LBB320_728:                            ;   in Loop: Header=BB320_414 Depth=1
	s_or_b32 exec_lo, exec_lo, s17
.LBB320_729:                            ;   in Loop: Header=BB320_414 Depth=1
	s_or_b32 exec_lo, exec_lo, s16
.LBB320_730:                            ;   in Loop: Header=BB320_414 Depth=1
	s_or_b32 exec_lo, exec_lo, s15
	v_cmp_ne_u16_sdwa s0, v15, v10 src0_sel:BYTE_1 src1_sel:DWORD
	s_and_saveexec_b32 s15, s0
	s_cbranch_execz .LBB320_738
; %bb.731:                              ;   in Loop: Header=BB320_414 Depth=1
	v_cmp_ne_u16_sdwa s0, v15, v31 src0_sel:BYTE_1 src1_sel:DWORD
	v_bfrev_b32_e32 v83, 1
	s_and_saveexec_b32 s16, s0
	s_cbranch_execz .LBB320_737
; %bb.732:                              ;   in Loop: Header=BB320_414 Depth=1
	v_and_b32_sdwa v9, v32, v15 dst_sel:DWORD dst_unused:UNUSED_PAD src0_sel:DWORD src1_sel:BYTE_1
	v_mov_b32_e32 v83, 0x7f800001
	s_mov_b32 s17, exec_lo
	v_and_b32_e32 v18, 0x7f, v9
	v_cmpx_ne_u32_e32 0x7f, v18
	s_cbranch_execz .LBB320_736
; %bb.733:                              ;   in Loop: Header=BB320_414 Depth=1
	v_and_b32_e32 v9, 7, v9
	v_lshrrev_b32_e32 v17, 3, v18
	s_mov_b32 s18, exec_lo
	v_cmpx_gt_u32_e32 8, v18
; %bb.734:                              ;   in Loop: Header=BB320_414 Depth=1
	v_ffbh_u32_e32 v17, v9
	v_min_u32_e32 v17, 32, v17
	v_subrev_nc_u32_e32 v18, 28, v17
	v_sub_nc_u32_e32 v17, 29, v17
	v_lshlrev_b64 v[83:84], v18, v[9:10]
	v_and_b32_e32 v9, 7, v83
; %bb.735:                              ;   in Loop: Header=BB320_414 Depth=1
	s_or_b32 exec_lo, exec_lo, s18
	v_lshlrev_b32_e32 v18, 16, v15
	v_lshlrev_b32_e32 v9, 20, v9
	v_lshl_add_u32 v17, v17, 23, 0x3c000000
	v_and_b32_e32 v18, 0x80000000, v18
	v_or3_b32 v83, v9, v18, v17
.LBB320_736:                            ;   in Loop: Header=BB320_414 Depth=1
	s_or_b32 exec_lo, exec_lo, s17
.LBB320_737:                            ;   in Loop: Header=BB320_414 Depth=1
	s_or_b32 exec_lo, exec_lo, s16
.LBB320_738:                            ;   in Loop: Header=BB320_414 Depth=1
	s_or_b32 exec_lo, exec_lo, s15
	v_and_b32_sdwa v9, v15, v33 dst_sel:DWORD dst_unused:UNUSED_PAD src0_sel:WORD_1 src1_sel:DWORD
	v_mov_b32_e32 v85, 0
	v_mov_b32_e32 v84, 0
	s_mov_b32 s15, exec_lo
	v_cmpx_ne_u16_e32 0, v9
	s_cbranch_execz .LBB320_746
; %bb.739:                              ;   in Loop: Header=BB320_414 Depth=1
	v_bfrev_b32_e32 v84, 1
	s_mov_b32 s16, exec_lo
	v_cmpx_ne_u16_e32 0x80, v9
	s_cbranch_execz .LBB320_745
; %bb.740:                              ;   in Loop: Header=BB320_414 Depth=1
	v_bfe_u32 v18, v15, 16, 7
	v_mov_b32_e32 v84, 0x7f800001
	s_mov_b32 s17, exec_lo
	v_cmpx_ne_u32_e32 0x7f, v18
	s_cbranch_execz .LBB320_744
; %bb.741:                              ;   in Loop: Header=BB320_414 Depth=1
	v_and_b32_sdwa v9, v15, v34 dst_sel:DWORD dst_unused:UNUSED_PAD src0_sel:WORD_1 src1_sel:DWORD
	v_lshrrev_b32_e32 v17, 3, v18
	s_mov_b32 s18, exec_lo
	v_cmpx_gt_u32_e32 8, v18
; %bb.742:                              ;   in Loop: Header=BB320_414 Depth=1
	v_ffbh_u32_e32 v17, v9
	v_min_u32_e32 v17, 32, v17
	v_subrev_nc_u32_e32 v18, 28, v17
	v_sub_nc_u32_e32 v17, 29, v17
	v_lshlrev_b64 v[86:87], v18, v[9:10]
	v_and_b32_e32 v9, 7, v86
; %bb.743:                              ;   in Loop: Header=BB320_414 Depth=1
	s_or_b32 exec_lo, exec_lo, s18
	v_lshlrev_b32_sdwa v18, v35, v15 dst_sel:DWORD dst_unused:UNUSED_PAD src0_sel:DWORD src1_sel:WORD_1
	v_lshlrev_b32_e32 v9, 20, v9
	v_lshl_add_u32 v17, v17, 23, 0x3c000000
	v_and_b32_e32 v18, 0x80000000, v18
	v_or3_b32 v84, v9, v18, v17
.LBB320_744:                            ;   in Loop: Header=BB320_414 Depth=1
	s_or_b32 exec_lo, exec_lo, s17
.LBB320_745:                            ;   in Loop: Header=BB320_414 Depth=1
	s_or_b32 exec_lo, exec_lo, s16
.LBB320_746:                            ;   in Loop: Header=BB320_414 Depth=1
	s_or_b32 exec_lo, exec_lo, s15
	s_mov_b32 s15, exec_lo
	v_cmpx_lt_u32_e32 0xffffff, v15
	s_cbranch_execz .LBB320_754
; %bb.747:                              ;   in Loop: Header=BB320_414 Depth=1
	v_cmp_ne_u32_sdwa s0, v15, v31 src0_sel:BYTE_3 src1_sel:DWORD
	v_bfrev_b32_e32 v85, 1
	s_and_saveexec_b32 s16, s0
	s_cbranch_execz .LBB320_753
; %bb.748:                              ;   in Loop: Header=BB320_414 Depth=1
	v_bfe_u32 v18, v15, 24, 7
	v_mov_b32_e32 v85, 0x7f800001
	s_mov_b32 s17, exec_lo
	v_cmpx_ne_u32_e32 0x7f, v18
	s_cbranch_execz .LBB320_752
; %bb.749:                              ;   in Loop: Header=BB320_414 Depth=1
	v_and_b32_sdwa v9, v15, v34 dst_sel:DWORD dst_unused:UNUSED_PAD src0_sel:BYTE_3 src1_sel:DWORD
	v_lshrrev_b32_e32 v17, 3, v18
	s_mov_b32 s18, exec_lo
	v_cmpx_gt_u32_e32 8, v18
; %bb.750:                              ;   in Loop: Header=BB320_414 Depth=1
	v_ffbh_u32_e32 v17, v9
	v_min_u32_e32 v17, 32, v17
	v_subrev_nc_u32_e32 v18, 28, v17
	v_sub_nc_u32_e32 v17, 29, v17
	v_lshlrev_b64 v[85:86], v18, v[9:10]
	v_and_b32_e32 v9, 7, v85
; %bb.751:                              ;   in Loop: Header=BB320_414 Depth=1
	s_or_b32 exec_lo, exec_lo, s18
	v_lshlrev_b32_sdwa v18, v35, v15 dst_sel:DWORD dst_unused:UNUSED_PAD src0_sel:DWORD src1_sel:BYTE_3
	v_lshlrev_b32_e32 v9, 20, v9
	v_lshl_add_u32 v17, v17, 23, 0x3c000000
	v_and_b32_e32 v18, 0x80000000, v18
	v_or3_b32 v85, v9, v18, v17
.LBB320_752:                            ;   in Loop: Header=BB320_414 Depth=1
	s_or_b32 exec_lo, exec_lo, s17
.LBB320_753:                            ;   in Loop: Header=BB320_414 Depth=1
	s_or_b32 exec_lo, exec_lo, s16
.LBB320_754:                            ;   in Loop: Header=BB320_414 Depth=1
	s_or_b32 exec_lo, exec_lo, s15
	v_mov_b32_e32 v9, v16
	v_cmp_ne_u16_sdwa s0, v16, v10 src0_sel:BYTE_0 src1_sel:DWORD
	v_mov_b32_e32 v17, 0
	v_mov_b32_e32 v86, 0
	s_and_saveexec_b32 s15, s0
	s_cbranch_execz .LBB320_760
; %bb.755:                              ;   in Loop: Header=BB320_414 Depth=1
	v_cmp_ne_u16_sdwa s0, v16, v31 src0_sel:BYTE_0 src1_sel:DWORD
	v_bfrev_b32_e32 v86, 1
	s_and_saveexec_b32 s16, s0
	s_cbranch_execz .LBB320_759
; %bb.756:                              ;   in Loop: Header=BB320_414 Depth=1
	v_and_b32_e32 v18, 0x7f, v16
	v_mov_b32_e32 v86, 0x7f800001
	s_mov_b32 s17, exec_lo
	v_cmpx_ne_u32_e32 0x7f, v18
	s_cbranch_execz .LBB320_758
; %bb.757:                              ;   in Loop: Header=BB320_414 Depth=1
	v_and_b32_e32 v86, 7, v16
	v_lshrrev_b32_e32 v87, 3, v18
	v_cmp_gt_u32_e64 s0, 8, v18
	v_ffbh_u32_e32 v86, v86
	v_min_u32_e32 v86, 32, v86
	v_subrev_nc_u32_e32 v88, 28, v86
	v_sub_nc_u32_e32 v86, 29, v86
	v_cndmask_b32_e64 v18, v87, v86, s0
	v_cndmask_b32_e64 v86, 0, v88, s0
	v_lshl_add_u32 v18, v18, 23, 0x3c000000
	v_lshlrev_b64 v[86:87], v86, v[9:10]
	v_lshlrev_b32_e32 v87, 24, v9
	v_lshlrev_b32_e32 v86, 20, v86
	v_and_b32_e32 v87, 0x80000000, v87
	v_and_b32_e32 v86, 0x700000, v86
	v_or3_b32 v86, v86, v87, v18
.LBB320_758:                            ;   in Loop: Header=BB320_414 Depth=1
	s_or_b32 exec_lo, exec_lo, s17
.LBB320_759:                            ;   in Loop: Header=BB320_414 Depth=1
	s_or_b32 exec_lo, exec_lo, s16
.LBB320_760:                            ;   in Loop: Header=BB320_414 Depth=1
	s_or_b32 exec_lo, exec_lo, s15
	v_cmp_ne_u16_sdwa s0, v9, v10 src0_sel:BYTE_1 src1_sel:DWORD
	s_and_saveexec_b32 s15, s0
	s_cbranch_execz .LBB320_768
; %bb.761:                              ;   in Loop: Header=BB320_414 Depth=1
	v_cmp_ne_u16_sdwa s0, v9, v31 src0_sel:BYTE_1 src1_sel:DWORD
	v_bfrev_b32_e32 v17, 1
	s_and_saveexec_b32 s16, s0
	s_cbranch_execz .LBB320_767
; %bb.762:                              ;   in Loop: Header=BB320_414 Depth=1
	v_and_b32_sdwa v18, v32, v9 dst_sel:DWORD dst_unused:UNUSED_PAD src0_sel:DWORD src1_sel:BYTE_1
	v_mov_b32_e32 v17, 0x7f800001
	s_mov_b32 s17, exec_lo
	v_and_b32_e32 v88, 0x7f, v18
	v_cmpx_ne_u32_e32 0x7f, v88
	s_cbranch_execz .LBB320_766
; %bb.763:                              ;   in Loop: Header=BB320_414 Depth=1
	v_and_b32_e32 v17, 7, v18
	v_mov_b32_e32 v18, v10
	v_lshrrev_b32_e32 v87, 3, v88
	s_mov_b32 s18, exec_lo
	v_cmpx_gt_u32_e32 8, v88
; %bb.764:                              ;   in Loop: Header=BB320_414 Depth=1
	v_ffbh_u32_e32 v87, v17
	v_min_u32_e32 v87, 32, v87
	v_subrev_nc_u32_e32 v88, 28, v87
	v_sub_nc_u32_e32 v87, 29, v87
	v_lshlrev_b64 v[17:18], v88, v[17:18]
	v_and_b32_e32 v17, 7, v17
; %bb.765:                              ;   in Loop: Header=BB320_414 Depth=1
	s_or_b32 exec_lo, exec_lo, s18
	v_lshlrev_b32_e32 v9, 16, v9
	v_lshlrev_b32_e32 v17, 20, v17
	v_lshl_add_u32 v18, v87, 23, 0x3c000000
	v_and_b32_e32 v9, 0x80000000, v9
	v_or3_b32 v17, v17, v9, v18
.LBB320_766:                            ;   in Loop: Header=BB320_414 Depth=1
	s_or_b32 exec_lo, exec_lo, s17
.LBB320_767:                            ;   in Loop: Header=BB320_414 Depth=1
	s_or_b32 exec_lo, exec_lo, s16
.LBB320_768:                            ;   in Loop: Header=BB320_414 Depth=1
	s_or_b32 exec_lo, exec_lo, s15
	v_and_b32_sdwa v9, v16, v33 dst_sel:DWORD dst_unused:UNUSED_PAD src0_sel:WORD_1 src1_sel:DWORD
	v_mov_b32_e32 v18, 0
	v_mov_b32_e32 v87, 0
	s_mov_b32 s15, exec_lo
	v_cmpx_ne_u16_e32 0, v9
	s_cbranch_execz .LBB320_776
; %bb.769:                              ;   in Loop: Header=BB320_414 Depth=1
	v_bfrev_b32_e32 v87, 1
	s_mov_b32 s16, exec_lo
	v_cmpx_ne_u16_e32 0x80, v9
	s_cbranch_execz .LBB320_775
; %bb.770:                              ;   in Loop: Header=BB320_414 Depth=1
	v_bfe_u32 v88, v16, 16, 7
	v_mov_b32_e32 v87, 0x7f800001
	s_mov_b32 s17, exec_lo
	v_cmpx_ne_u32_e32 0x7f, v88
	s_cbranch_execz .LBB320_774
; %bb.771:                              ;   in Loop: Header=BB320_414 Depth=1
	v_and_b32_sdwa v9, v16, v34 dst_sel:DWORD dst_unused:UNUSED_PAD src0_sel:WORD_1 src1_sel:DWORD
	v_lshrrev_b32_e32 v87, 3, v88
	s_mov_b32 s18, exec_lo
	v_cmpx_gt_u32_e32 8, v88
; %bb.772:                              ;   in Loop: Header=BB320_414 Depth=1
	v_ffbh_u32_e32 v87, v9
	v_min_u32_e32 v87, 32, v87
	v_subrev_nc_u32_e32 v88, 28, v87
	v_sub_nc_u32_e32 v87, 29, v87
	v_lshlrev_b64 v[88:89], v88, v[9:10]
	v_and_b32_e32 v9, 7, v88
; %bb.773:                              ;   in Loop: Header=BB320_414 Depth=1
	s_or_b32 exec_lo, exec_lo, s18
	v_lshlrev_b32_sdwa v88, v35, v16 dst_sel:DWORD dst_unused:UNUSED_PAD src0_sel:DWORD src1_sel:WORD_1
	v_lshlrev_b32_e32 v9, 20, v9
	v_lshl_add_u32 v87, v87, 23, 0x3c000000
	v_and_b32_e32 v88, 0x80000000, v88
	v_or3_b32 v87, v9, v88, v87
.LBB320_774:                            ;   in Loop: Header=BB320_414 Depth=1
	s_or_b32 exec_lo, exec_lo, s17
.LBB320_775:                            ;   in Loop: Header=BB320_414 Depth=1
	s_or_b32 exec_lo, exec_lo, s16
.LBB320_776:                            ;   in Loop: Header=BB320_414 Depth=1
	s_or_b32 exec_lo, exec_lo, s15
	s_mov_b32 s15, exec_lo
	v_cmpx_lt_u64_e64 s[2:3], v[15:16]
	s_cbranch_execz .LBB320_784
; %bb.777:                              ;   in Loop: Header=BB320_414 Depth=1
	v_cmp_ne_u32_sdwa s0, v16, v31 src0_sel:BYTE_3 src1_sel:DWORD
	v_bfrev_b32_e32 v18, 1
	s_and_saveexec_b32 s16, s0
	s_cbranch_execz .LBB320_783
; %bb.778:                              ;   in Loop: Header=BB320_414 Depth=1
	v_bfe_u32 v88, v16, 24, 7
	v_mov_b32_e32 v18, 0x7f800001
	s_mov_b32 s17, exec_lo
	v_cmpx_ne_u32_e32 0x7f, v88
	s_cbranch_execz .LBB320_782
; %bb.779:                              ;   in Loop: Header=BB320_414 Depth=1
	v_and_b32_sdwa v9, v16, v34 dst_sel:DWORD dst_unused:UNUSED_PAD src0_sel:BYTE_3 src1_sel:DWORD
	v_lshrrev_b32_e32 v15, 3, v88
	s_mov_b32 s18, exec_lo
	v_cmpx_gt_u32_e32 8, v88
; %bb.780:                              ;   in Loop: Header=BB320_414 Depth=1
	v_ffbh_u32_e32 v15, v9
	v_min_u32_e32 v15, 32, v15
	v_subrev_nc_u32_e32 v18, 28, v15
	v_sub_nc_u32_e32 v15, 29, v15
	v_lshlrev_b64 v[88:89], v18, v[9:10]
	v_and_b32_e32 v9, 7, v88
; %bb.781:                              ;   in Loop: Header=BB320_414 Depth=1
	s_or_b32 exec_lo, exec_lo, s18
	v_lshlrev_b32_sdwa v16, v35, v16 dst_sel:DWORD dst_unused:UNUSED_PAD src0_sel:DWORD src1_sel:BYTE_3
	v_lshlrev_b32_e32 v9, 20, v9
	v_lshl_add_u32 v15, v15, 23, 0x3c000000
	v_and_b32_e32 v16, 0x80000000, v16
	v_or3_b32 v18, v9, v16, v15
.LBB320_782:                            ;   in Loop: Header=BB320_414 Depth=1
	s_or_b32 exec_lo, exec_lo, s17
.LBB320_783:                            ;   in Loop: Header=BB320_414 Depth=1
	s_or_b32 exec_lo, exec_lo, s16
.LBB320_784:                            ;   in Loop: Header=BB320_414 Depth=1
	s_or_b32 exec_lo, exec_lo, s15
	v_mul_f32_e32 v9, s5, v17
	v_mul_f32_e32 v15, s5, v86
	;; [unrolled: 1-line block ×5, first 2 shown]
	v_bfe_u32 v84, v9, 16, 1
	v_or_b32_e32 v85, 0x400000, v9
	v_bfe_u32 v86, v15, 16, 1
	v_cmp_u_f32_e64 s0, v9, v9
	v_or_b32_e32 v88, 0x400000, v15
	v_add3_u32 v84, v84, v9, 0x7fff
	v_bfe_u32 v89, v16, 16, 1
	v_add3_u32 v86, v86, v15, 0x7fff
	v_or_b32_e32 v90, 0x400000, v16
	v_bfe_u32 v91, v17, 16, 1
	v_cndmask_b32_e64 v9, v84, v85, s0
	v_cmp_u_f32_e64 s0, v15, v15
	v_add3_u32 v89, v89, v16, 0x7fff
	v_or_b32_e32 v85, 0x400000, v17
	v_add3_u32 v84, v91, v17, 0x7fff
	v_mul_f32_e32 v82, s5, v82
	v_cndmask_b32_e64 v15, v86, v88, s0
	v_cmp_u_f32_e64 s0, v16, v16
	v_bfe_u32 v86, v83, 16, 1
	v_mul_f32_e32 v18, s5, v18
	v_lshrrev_b32_e32 v9, 16, v9
	v_lshrrev_b32_e32 v15, 16, v15
	v_cndmask_b32_e64 v16, v89, v90, s0
	v_cmp_u_f32_e64 s0, v17, v17
	v_or_b32_e32 v90, 0x400000, v18
	v_lshrrev_b32_e32 v16, 16, v16
	v_cndmask_b32_e64 v17, v84, v85, s0
	v_mul_f32_e32 v84, s5, v87
	v_add3_u32 v85, v86, v83, 0x7fff
	v_or_b32_e32 v86, 0x400000, v83
	v_bfe_u32 v87, v82, 16, 1
	v_cmp_u_f32_e64 s0, v83, v83
	v_bfe_u32 v88, v84, 16, 1
	v_or_b32_e32 v89, 0x400000, v84
	v_cndmask_b32_e64 v83, v85, v86, s0
	v_add3_u32 v86, v87, v82, 0x7fff
	v_or_b32_e32 v87, 0x400000, v82
	v_cmp_u_f32_e64 s0, v82, v82
	v_bfe_u32 v85, v18, 16, 1
	v_add3_u32 v88, v88, v84, 0x7fff
	v_lshrrev_b32_e32 v82, 16, v17
	v_lshrrev_b32_e32 v83, 16, v83
	v_cndmask_b32_e64 v86, v86, v87, s0
	v_cmp_u_f32_e64 s0, v84, v84
	v_add3_u32 v85, v85, v18, 0x7fff
	v_lshrrev_b32_e32 v84, 16, v86
	v_cndmask_b32_e64 v87, v88, v89, s0
	v_cmp_u_f32_e64 s0, v18, v18
	v_lshrrev_b32_e32 v18, 16, v87
	v_cndmask_b32_e64 v85, v85, v90, s0
	v_lshrrev_b32_e32 v17, 16, v85
	s_and_saveexec_b32 s0, vcc_lo
	s_cbranch_execz .LBB320_413
; %bb.785:                              ;   in Loop: Header=BB320_414 Depth=1
	v_cmp_gt_i32_e32 vcc_lo, s11, v45
	v_cndmask_b32_e32 v84, 0, v84, vcc_lo
	v_cmp_gt_i32_e32 vcc_lo, s11, v51
	v_cndmask_b32_e32 v83, 0, v83, vcc_lo
	;; [unrolled: 2-line block ×8, first 2 shown]
	s_branch .LBB320_413
.LBB320_786:
	s_or_b32 exec_lo, exec_lo, s14
.LBB320_787:
	s_or_b32 exec_lo, exec_lo, s1
	v_lshl_add_u32 v2, v22, 2, 0x1a0
	v_and_b32_e32 v3, 0x3c0, v0
	s_mov_b32 s0, exec_lo
	s_barrier
	v_mad_u32_u24 v1, 0x300, v21, v2
	buffer_gl0_inv
	v_cmpx_eq_u32_e32 64, v3
	s_cbranch_execz .LBB320_789
; %bb.788:
	v_add_nc_u32_e32 v3, 0xfffffa00, v1
	v_add_nc_u32_e32 v4, 0xfffffa80, v1
	;; [unrolled: 1-line block ×5, first 2 shown]
	ds_write_b32 v3, v28
	v_add_nc_u32_e32 v3, 0xfffffc80, v1
	ds_write_b32 v4, v27
	ds_write_b32 v5, v26
	ds_write_b32 v6, v25
	ds_write_b32 v7, v24
	ds_write_b32 v3, v23
.LBB320_789:
	s_or_b32 exec_lo, exec_lo, s0
	s_mov_b32 s0, exec_lo
	s_waitcnt lgkmcnt(0)
	s_barrier
	buffer_gl0_inv
	v_cmpx_gt_u32_e32 64, v0
	s_cbranch_execz .LBB320_791
; %bb.790:
	ds_read2_b32 v[3:4], v1 offset1:32
	ds_read2_b32 v[5:6], v1 offset0:64 offset1:96
	ds_read2_b32 v[7:8], v1 offset0:128 offset1:160
	s_waitcnt lgkmcnt(2)
	v_add_f32_e32 v28, v28, v3
	v_add_f32_e32 v27, v27, v4
	s_waitcnt lgkmcnt(1)
	v_add_f32_e32 v26, v26, v5
	v_add_f32_e32 v25, v25, v6
	;; [unrolled: 3-line block ×3, first 2 shown]
.LBB320_791:
	s_or_b32 exec_lo, exec_lo, s0
	v_and_b32_e32 v3, 0x3e0, v0
	s_mov_b32 s0, exec_lo
	s_barrier
	buffer_gl0_inv
	v_cmpx_eq_u32_e32 32, v3
	s_cbranch_execz .LBB320_793
; %bb.792:
	ds_write2_b32 v2, v28, v27 offset1:32
	ds_write2_b32 v2, v26, v25 offset0:64 offset1:96
	ds_write2_b32 v2, v24, v23 offset0:128 offset1:160
.LBB320_793:
	s_or_b32 exec_lo, exec_lo, s0
	v_cmp_gt_u32_e32 vcc_lo, 32, v0
	s_waitcnt lgkmcnt(0)
	s_barrier
	buffer_gl0_inv
	s_and_saveexec_b32 s0, vcc_lo
	s_cbranch_execz .LBB320_795
; %bb.794:
	ds_read2_b32 v[2:3], v1 offset1:32
	ds_read2_b32 v[4:5], v1 offset0:64 offset1:96
	ds_read2_b32 v[6:7], v1 offset0:128 offset1:160
	s_waitcnt lgkmcnt(2)
	v_add_f32_e32 v28, v28, v2
	v_add_f32_e32 v27, v27, v3
	s_waitcnt lgkmcnt(1)
	v_add_f32_e32 v26, v26, v4
	v_add_f32_e32 v25, v25, v5
	;; [unrolled: 3-line block ×3, first 2 shown]
.LBB320_795:
	s_or_b32 exec_lo, exec_lo, s0
	s_barrier
	buffer_gl0_inv
	s_and_saveexec_b32 s0, vcc_lo
	s_cbranch_execz .LBB320_797
; %bb.796:
	s_mul_i32 s0, s10, s7
	v_bfe_u32 v1, v28, 16, 1
	s_mul_i32 s0, s0, s9
	s_mul_i32 s2, s7, s6
	s_mulk_i32 s0, 0xc0
	v_or_b32_e32 v2, 0x400000, v28
	s_ashr_i32 s1, s0, 31
	v_add3_u32 v1, v1, v28, 0x7fff
	s_lshl_b64 s[0:1], s[0:1], 1
	v_bfe_u32 v3, v27, 16, 1
	s_add_u32 s5, s20, s0
	s_addc_u32 s6, s21, s1
	s_ashr_i32 s3, s2, 31
	v_cmp_u_f32_e32 vcc_lo, v28, v28
	s_lshl_b64 s[0:1], s[2:3], 1
	s_mul_i32 s4, s8, 0xc0
	s_add_u32 s2, s5, s0
	s_addc_u32 s3, s6, s1
	s_ashr_i32 s5, s4, 31
	v_lshlrev_b32_e32 v0, 1, v0
	s_lshl_b64 s[0:1], s[4:5], 1
	v_cndmask_b32_e32 v1, v1, v2, vcc_lo
	v_bfe_u32 v2, v26, 16, 1
	v_add3_u32 v3, v3, v27, 0x7fff
	v_or_b32_e32 v4, 0x400000, v27
	v_cmp_u_f32_e32 vcc_lo, v27, v27
	s_add_u32 s0, s2, s0
	s_addc_u32 s1, s3, s1
	v_bfe_u32 v5, v24, 16, 1
	global_store_short_d16_hi v0, v1, s[0:1]
	v_add3_u32 v1, v2, v26, 0x7fff
	v_or_b32_e32 v2, 0x400000, v26
	v_cndmask_b32_e32 v3, v3, v4, vcc_lo
	v_bfe_u32 v4, v25, 16, 1
	v_cmp_u_f32_e32 vcc_lo, v26, v26
	v_or_b32_e32 v6, 0x400000, v25
	v_add3_u32 v5, v5, v24, 0x7fff
	v_or_b32_e32 v7, 0x400000, v24
	v_add3_u32 v4, v4, v25, 0x7fff
	v_cndmask_b32_e32 v1, v1, v2, vcc_lo
	v_cmp_u_f32_e32 vcc_lo, v25, v25
	v_bfe_u32 v2, v23, 16, 1
	v_or_b32_e32 v8, 0x400000, v23
	v_cndmask_b32_e32 v4, v4, v6, vcc_lo
	v_cmp_u_f32_e32 vcc_lo, v24, v24
	v_add3_u32 v2, v2, v23, 0x7fff
	v_cndmask_b32_e32 v5, v5, v7, vcc_lo
	v_cmp_u_f32_e32 vcc_lo, v23, v23
	v_cndmask_b32_e32 v2, v2, v8, vcc_lo
	global_store_short_d16_hi v0, v3, s[0:1] offset:64
	global_store_short_d16_hi v0, v1, s[0:1] offset:128
	global_store_short_d16_hi v0, v4, s[0:1] offset:192
	global_store_short_d16_hi v0, v5, s[0:1] offset:256
	global_store_short_d16_hi v0, v2, s[0:1] offset:320
.LBB320_797:
	s_endpgm
	.section	.rodata,"a",@progbits
	.p2align	6, 0x0
	.amdhsa_kernel _ZN4vllm25paged_attention_v1_kernelI14__hip_bfloat16hLi192ELi8ELi128ELNS_18Fp8KVCacheDataTypeE1ELb0EEEvPT_PKS3_PKT0_S9_ifPKiSB_iPKfiiiSD_SD_iiiii
		.amdhsa_group_segment_fixed_size 416
		.amdhsa_private_segment_fixed_size 0
		.amdhsa_kernarg_size 384
		.amdhsa_user_sgpr_count 6
		.amdhsa_user_sgpr_private_segment_buffer 1
		.amdhsa_user_sgpr_dispatch_ptr 0
		.amdhsa_user_sgpr_queue_ptr 0
		.amdhsa_user_sgpr_kernarg_segment_ptr 1
		.amdhsa_user_sgpr_dispatch_id 0
		.amdhsa_user_sgpr_flat_scratch_init 0
		.amdhsa_user_sgpr_private_segment_size 0
		.amdhsa_wavefront_size32 1
		.amdhsa_uses_dynamic_stack 0
		.amdhsa_system_sgpr_private_segment_wavefront_offset 0
		.amdhsa_system_sgpr_workgroup_id_x 1
		.amdhsa_system_sgpr_workgroup_id_y 1
		.amdhsa_system_sgpr_workgroup_id_z 1
		.amdhsa_system_sgpr_workgroup_info 0
		.amdhsa_system_vgpr_workitem_id 0
		.amdhsa_next_free_vgpr 118
		.amdhsa_next_free_sgpr 34
		.amdhsa_reserve_vcc 1
		.amdhsa_reserve_flat_scratch 0
		.amdhsa_float_round_mode_32 0
		.amdhsa_float_round_mode_16_64 0
		.amdhsa_float_denorm_mode_32 3
		.amdhsa_float_denorm_mode_16_64 3
		.amdhsa_dx10_clamp 1
		.amdhsa_ieee_mode 1
		.amdhsa_fp16_overflow 0
		.amdhsa_workgroup_processor_mode 1
		.amdhsa_memory_ordered 1
		.amdhsa_forward_progress 1
		.amdhsa_shared_vgpr_count 0
		.amdhsa_exception_fp_ieee_invalid_op 0
		.amdhsa_exception_fp_denorm_src 0
		.amdhsa_exception_fp_ieee_div_zero 0
		.amdhsa_exception_fp_ieee_overflow 0
		.amdhsa_exception_fp_ieee_underflow 0
		.amdhsa_exception_fp_ieee_inexact 0
		.amdhsa_exception_int_div_zero 0
	.end_amdhsa_kernel
	.section	.text._ZN4vllm25paged_attention_v1_kernelI14__hip_bfloat16hLi192ELi8ELi128ELNS_18Fp8KVCacheDataTypeE1ELb0EEEvPT_PKS3_PKT0_S9_ifPKiSB_iPKfiiiSD_SD_iiiii,"axG",@progbits,_ZN4vllm25paged_attention_v1_kernelI14__hip_bfloat16hLi192ELi8ELi128ELNS_18Fp8KVCacheDataTypeE1ELb0EEEvPT_PKS3_PKT0_S9_ifPKiSB_iPKfiiiSD_SD_iiiii,comdat
.Lfunc_end320:
	.size	_ZN4vllm25paged_attention_v1_kernelI14__hip_bfloat16hLi192ELi8ELi128ELNS_18Fp8KVCacheDataTypeE1ELb0EEEvPT_PKS3_PKT0_S9_ifPKiSB_iPKfiiiSD_SD_iiiii, .Lfunc_end320-_ZN4vllm25paged_attention_v1_kernelI14__hip_bfloat16hLi192ELi8ELi128ELNS_18Fp8KVCacheDataTypeE1ELb0EEEvPT_PKS3_PKT0_S9_ifPKiSB_iPKfiiiSD_SD_iiiii
                                        ; -- End function
	.set _ZN4vllm25paged_attention_v1_kernelI14__hip_bfloat16hLi192ELi8ELi128ELNS_18Fp8KVCacheDataTypeE1ELb0EEEvPT_PKS3_PKT0_S9_ifPKiSB_iPKfiiiSD_SD_iiiii.num_vgpr, 118
	.set _ZN4vllm25paged_attention_v1_kernelI14__hip_bfloat16hLi192ELi8ELi128ELNS_18Fp8KVCacheDataTypeE1ELb0EEEvPT_PKS3_PKT0_S9_ifPKiSB_iPKfiiiSD_SD_iiiii.num_agpr, 0
	.set _ZN4vllm25paged_attention_v1_kernelI14__hip_bfloat16hLi192ELi8ELi128ELNS_18Fp8KVCacheDataTypeE1ELb0EEEvPT_PKS3_PKT0_S9_ifPKiSB_iPKfiiiSD_SD_iiiii.numbered_sgpr, 34
	.set _ZN4vllm25paged_attention_v1_kernelI14__hip_bfloat16hLi192ELi8ELi128ELNS_18Fp8KVCacheDataTypeE1ELb0EEEvPT_PKS3_PKT0_S9_ifPKiSB_iPKfiiiSD_SD_iiiii.num_named_barrier, 0
	.set _ZN4vllm25paged_attention_v1_kernelI14__hip_bfloat16hLi192ELi8ELi128ELNS_18Fp8KVCacheDataTypeE1ELb0EEEvPT_PKS3_PKT0_S9_ifPKiSB_iPKfiiiSD_SD_iiiii.private_seg_size, 0
	.set _ZN4vllm25paged_attention_v1_kernelI14__hip_bfloat16hLi192ELi8ELi128ELNS_18Fp8KVCacheDataTypeE1ELb0EEEvPT_PKS3_PKT0_S9_ifPKiSB_iPKfiiiSD_SD_iiiii.uses_vcc, 1
	.set _ZN4vllm25paged_attention_v1_kernelI14__hip_bfloat16hLi192ELi8ELi128ELNS_18Fp8KVCacheDataTypeE1ELb0EEEvPT_PKS3_PKT0_S9_ifPKiSB_iPKfiiiSD_SD_iiiii.uses_flat_scratch, 0
	.set _ZN4vllm25paged_attention_v1_kernelI14__hip_bfloat16hLi192ELi8ELi128ELNS_18Fp8KVCacheDataTypeE1ELb0EEEvPT_PKS3_PKT0_S9_ifPKiSB_iPKfiiiSD_SD_iiiii.has_dyn_sized_stack, 0
	.set _ZN4vllm25paged_attention_v1_kernelI14__hip_bfloat16hLi192ELi8ELi128ELNS_18Fp8KVCacheDataTypeE1ELb0EEEvPT_PKS3_PKT0_S9_ifPKiSB_iPKfiiiSD_SD_iiiii.has_recursion, 0
	.set _ZN4vllm25paged_attention_v1_kernelI14__hip_bfloat16hLi192ELi8ELi128ELNS_18Fp8KVCacheDataTypeE1ELb0EEEvPT_PKS3_PKT0_S9_ifPKiSB_iPKfiiiSD_SD_iiiii.has_indirect_call, 0
	.section	.AMDGPU.csdata,"",@progbits
; Kernel info:
; codeLenInByte = 30000
; TotalNumSgprs: 36
; NumVgprs: 118
; ScratchSize: 0
; MemoryBound: 0
; FloatMode: 240
; IeeeMode: 1
; LDSByteSize: 416 bytes/workgroup (compile time only)
; SGPRBlocks: 0
; VGPRBlocks: 14
; NumSGPRsForWavesPerEU: 36
; NumVGPRsForWavesPerEU: 118
; Occupancy: 8
; WaveLimiterHint : 1
; COMPUTE_PGM_RSRC2:SCRATCH_EN: 0
; COMPUTE_PGM_RSRC2:USER_SGPR: 6
; COMPUTE_PGM_RSRC2:TRAP_HANDLER: 0
; COMPUTE_PGM_RSRC2:TGID_X_EN: 1
; COMPUTE_PGM_RSRC2:TGID_Y_EN: 1
; COMPUTE_PGM_RSRC2:TGID_Z_EN: 1
; COMPUTE_PGM_RSRC2:TIDIG_COMP_CNT: 0
	.section	.text._ZN4vllm25paged_attention_v1_kernelI14__hip_bfloat16hLi256ELi8ELi128ELNS_18Fp8KVCacheDataTypeE1ELb0EEEvPT_PKS3_PKT0_S9_ifPKiSB_iPKfiiiSD_SD_iiiii,"axG",@progbits,_ZN4vllm25paged_attention_v1_kernelI14__hip_bfloat16hLi256ELi8ELi128ELNS_18Fp8KVCacheDataTypeE1ELb0EEEvPT_PKS3_PKT0_S9_ifPKiSB_iPKfiiiSD_SD_iiiii,comdat
	.protected	_ZN4vllm25paged_attention_v1_kernelI14__hip_bfloat16hLi256ELi8ELi128ELNS_18Fp8KVCacheDataTypeE1ELb0EEEvPT_PKS3_PKT0_S9_ifPKiSB_iPKfiiiSD_SD_iiiii ; -- Begin function _ZN4vllm25paged_attention_v1_kernelI14__hip_bfloat16hLi256ELi8ELi128ELNS_18Fp8KVCacheDataTypeE1ELb0EEEvPT_PKS3_PKT0_S9_ifPKiSB_iPKfiiiSD_SD_iiiii
	.globl	_ZN4vllm25paged_attention_v1_kernelI14__hip_bfloat16hLi256ELi8ELi128ELNS_18Fp8KVCacheDataTypeE1ELb0EEEvPT_PKS3_PKT0_S9_ifPKiSB_iPKfiiiSD_SD_iiiii
	.p2align	8
	.type	_ZN4vllm25paged_attention_v1_kernelI14__hip_bfloat16hLi256ELi8ELi128ELNS_18Fp8KVCacheDataTypeE1ELb0EEEvPT_PKS3_PKT0_S9_ifPKiSB_iPKfiiiSD_SD_iiiii,@function
_ZN4vllm25paged_attention_v1_kernelI14__hip_bfloat16hLi256ELi8ELi128ELNS_18Fp8KVCacheDataTypeE1ELb0EEEvPT_PKS3_PKT0_S9_ifPKiSB_iPKfiiiSD_SD_iiiii: ; @_ZN4vllm25paged_attention_v1_kernelI14__hip_bfloat16hLi256ELi8ELi128ELNS_18Fp8KVCacheDataTypeE1ELb0EEEvPT_PKS3_PKT0_S9_ifPKiSB_iPKfiiiSD_SD_iiiii
; %bb.0:
	s_mov_b64 s[38:39], s[2:3]
	s_mov_b64 s[36:37], s[0:1]
	s_mov_b32 s10, s7
	s_add_u32 s36, s36, s9
	s_clause 0x2
	s_load_dword s9, s[4:5], 0x80
	s_load_dwordx2 s[0:1], s[4:5], 0x30
	s_load_dwordx2 s[28:29], s[4:5], 0x20
	s_addc_u32 s37, s37, 0
	s_ashr_i32 s11, s7, 31
	v_mov_b32_e32 v31, v0
	s_lshl_b64 s[2:3], s[10:11], 2
	s_waitcnt lgkmcnt(0)
	s_add_u32 s0, s0, s2
	s_addc_u32 s1, s1, s3
	s_abs_i32 s2, s28
	s_abs_i32 s11, s9
	v_cvt_f32_u32_e32 v0, s2
	s_sub_i32 s7, 0, s2
	v_rcp_iflag_f32_e32 v0, v0
	v_mul_f32_e32 v0, 0x4f7ffffe, v0
	v_cvt_u32_f32_e32 v0, v0
	v_readfirstlane_b32 s3, v0
	s_mul_i32 s7, s7, s3
	s_mul_hi_u32 s7, s3, s7
	s_add_i32 s3, s3, s7
	s_xor_b32 s7, s9, s28
	s_mul_hi_u32 s3, s11, s3
	s_ashr_i32 s7, s7, 31
	s_mul_i32 s12, s3, s2
	s_mov_b32 s28, 0
	s_sub_i32 s11, s11, s12
	s_add_i32 s12, s3, 1
	s_sub_i32 s13, s11, s2
	s_cmp_ge_u32 s11, s2
	s_cselect_b32 s3, s12, s3
	s_cselect_b32 s11, s13, s11
	s_add_i32 s12, s3, 1
	s_cmp_ge_u32 s11, s2
	s_cselect_b32 s2, s12, s3
	s_abs_i32 s17, s6
	s_xor_b32 s2, s2, s7
	s_sub_i32 s19, s2, s7
	s_load_dwordx2 s[2:3], s[4:5], 0x40
	s_abs_i32 s16, s19
	v_cvt_f32_u32_e32 v0, s16
	s_sub_i32 s11, 0, s16
	v_rcp_iflag_f32_e32 v0, v0
	v_mul_f32_e32 v0, 0x4f7ffffe, v0
	v_cvt_u32_f32_e32 v0, v0
	v_readfirstlane_b32 s7, v0
	s_mul_i32 s11, s11, s7
	s_mul_hi_u32 s11, s7, s11
	s_add_i32 s7, s7, s11
	s_waitcnt lgkmcnt(0)
	s_cmp_eq_u64 s[2:3], 0
	s_mul_hi_u32 s18, s17, s7
	s_cbranch_scc1 .LBB321_2
; %bb.1:
	s_ashr_i32 s7, s6, 31
	s_lshl_b64 s[12:13], s[6:7], 2
	s_add_u32 s2, s2, s12
	s_addc_u32 s3, s3, s13
	s_load_dword s28, s[2:3], 0x0
.LBB321_2:
	s_load_dword s11, s[0:1], 0x0
	s_load_dwordx4 s[12:15], s[4:5], 0x48
	v_and_b32_e32 v0, 3, v31
	s_ashr_i32 s0, s6, 31
	s_ashr_i32 s1, s19, 31
	s_lshl_b32 s6, s6, 8
	s_mov_b32 s2, exec_lo
	v_cmpx_gt_u32_e32 0x80, v31
	s_cbranch_execz .LBB321_4
; %bb.3:
	s_load_dwordx2 s[20:21], s[4:5], 0x8
	s_waitcnt lgkmcnt(0)
	s_mul_i32 s22, s12, s10
	v_lshlrev_b32_e32 v1, 2, v31
	s_ashr_i32 s23, s22, 31
	v_and_b32_e32 v2, 0x3fc, v31
	s_lshl_b64 s[22:23], s[22:23], 1
	v_lshl_add_u32 v2, v0, 7, v2
	s_add_u32 s3, s20, s22
	s_addc_u32 s12, s21, s23
	s_ashr_i32 s7, s6, 31
	s_lshl_b64 s[20:21], s[6:7], 1
	s_add_u32 s20, s3, s20
	s_addc_u32 s21, s12, s21
	global_load_dword v1, v1, s[20:21]
	s_waitcnt vmcnt(0)
	ds_write_b32 v2, v1
.LBB321_4:
	s_or_b32 exec_lo, exec_lo, s2
	s_waitcnt lgkmcnt(0)
	s_add_i32 s2, s11, 7
	s_clause 0x1
	s_load_dwordx2 s[22:23], s[4:5], 0x28
	s_load_dword s7, s[4:5], 0x38
	s_ashr_i32 s3, s2, 31
	s_xor_b32 s0, s0, s1
	s_lshr_b32 s3, s3, 29
	s_mul_i32 s1, s18, s16
	s_add_i32 s2, s2, s3
	s_sub_i32 s1, s17, s1
	s_ashr_i32 s12, s2, 3
	s_add_i32 s2, s18, 1
	s_sub_i32 s3, s1, s16
	s_cmp_ge_u32 s1, s16
	v_lshrrev_b32_e32 v86, 5, v31
	s_cselect_b32 s2, s2, s18
	s_cselect_b32 s1, s3, s1
	s_add_i32 s3, s2, 1
	s_cmp_ge_u32 s1, s16
	v_mbcnt_lo_u32_b32 v23, -1, 0
	s_cselect_b32 s1, s3, s2
	s_mov_b32 s2, exec_lo
	s_xor_b32 s1, s1, s0
	s_waitcnt lgkmcnt(0)
	s_mul_i32 s24, s7, s10
	s_sub_i32 s1, s1, s0
	v_cmp_gt_i32_e64 s0, s12, v86
	s_ashr_i32 s25, s24, 31
	s_barrier
	buffer_gl0_inv
                                        ; implicit-def: $vgpr2
                                        ; implicit-def: $vgpr10
	v_cmpx_le_i32_e64 s12, v86
	s_xor_b32 s2, exec_lo, s2
; %bb.5:
	v_mov_b32_e32 v2, 0
	v_mbcnt_lo_u32_b32 v23, -1, 0
	v_mov_b32_e32 v10, 32
                                        ; implicit-def: $vgpr0
; %bb.6:
	s_or_saveexec_b32 s15, s2
	s_clause 0x3
	s_load_dwordx2 s[20:21], s[4:5], 0x0
	s_load_dwordx2 s[26:27], s[4:5], 0x18
	s_load_dword s7, s[4:5], 0x88
	s_load_dwordx4 s[16:19], s[4:5], 0x58
	v_mov_b32_e32 v79, 0xff7fffff
	v_lshrrev_b32_e32 v45, 3, v31
	s_mul_i32 s14, s1, s14
	s_xor_b32 exec_lo, exec_lo, s15
	s_cbranch_execz .LBB321_524
; %bb.7:
	v_lshlrev_b32_e32 v21, 7, v0
	s_load_dwordx2 s[2:3], s[4:5], 0x10
	s_ashr_i32 s1, s14, 31
	v_cmp_eq_u32_e32 vcc_lo, 0, v0
	v_lshlrev_b32_e32 v0, 1, v0
	ds_read_b128 v[1:4], v21
	ds_read_b128 v[5:8], v21 offset:16
	ds_read_b128 v[9:12], v21 offset:32
	;; [unrolled: 1-line block ×4, first 2 shown]
	s_waitcnt lgkmcnt(0)
	s_load_dword s4, s[16:17], 0x0
	v_mov_b32_e32 v79, 0xff7fffff
	v_mov_b32_e32 v84, 0x80
	;; [unrolled: 1-line block ×3, first 2 shown]
	s_mov_b32 s17, s13
	s_mov_b32 s16, 0
	buffer_store_dword v23, off, s[36:39], 0 offset:80 ; 4-byte Folded Spill
	buffer_store_dword v45, off, s[36:39], 0 offset:76 ; 4-byte Folded Spill
	;; [unrolled: 1-line block ×3, first 2 shown]
	s_add_u32 s2, s2, s14
	v_lshlrev_b32_e32 v22, 16, v1
	v_and_b32_e32 v1, 0xffff0000, v1
	v_lshlrev_b32_e32 v32, 16, v10
	v_and_b32_e32 v33, 0xffff0000, v10
	v_lshlrev_b32_e32 v34, 16, v11
	buffer_store_dword v22, off, s[36:39], 0 ; 4-byte Folded Spill
	buffer_store_dword v1, off, s[36:39], 0 offset:4 ; 4-byte Folded Spill
	v_lshlrev_b32_e32 v1, 16, v2
	v_mov_b32_e32 v22, v31
	v_and_b32_e32 v31, 0xffff0000, v9
	v_and_b32_e32 v35, 0xffff0000, v11
	v_lshlrev_b32_e32 v36, 16, v12
	buffer_store_dword v1, off, s[36:39], 0 offset:8 ; 4-byte Folded Spill
	v_and_b32_e32 v1, 0xffff0000, v2
	v_and_b32_e32 v37, 0xffff0000, v12
	s_addc_u32 s1, s3, s1
	s_sub_i32 s5, 1, s11
	v_lshlrev_b32_e32 v38, 16, v13
	buffer_store_dword v1, off, s[36:39], 0 offset:12 ; 4-byte Folded Spill
	v_lshlrev_b32_e32 v1, 16, v3
	v_and_b32_e32 v39, 0xffff0000, v13
	v_lshlrev_b32_e32 v40, 16, v14
	v_and_b32_e32 v41, 0xffff0000, v14
	v_lshlrev_b32_e32 v42, 16, v15
	buffer_store_dword v1, off, s[36:39], 0 offset:16 ; 4-byte Folded Spill
	v_and_b32_e32 v1, 0xffff0000, v3
	v_and_b32_e32 v43, 0xffff0000, v15
	v_lshlrev_b32_e32 v44, 16, v16
	v_and_b32_e32 v46, 0xffff0000, v16
	v_lshlrev_b32_e32 v47, 16, v17
	buffer_store_dword v1, off, s[36:39], 0 offset:20 ; 4-byte Folded Spill
	v_lshlrev_b32_e32 v1, 16, v4
	v_and_b32_e32 v48, 0xffff0000, v17
	v_lshlrev_b32_e32 v49, 16, v18
	v_and_b32_e32 v50, 0xffff0000, v18
	v_lshlrev_b32_e32 v51, 16, v19
	buffer_store_dword v1, off, s[36:39], 0 offset:24 ; 4-byte Folded Spill
	v_and_b32_e32 v1, 0xffff0000, v4
	v_and_b32_e32 v52, 0xffff0000, v19
	v_lshlrev_b32_e32 v53, 16, v20
	v_and_b32_e32 v54, 0xffff0000, v20
	buffer_store_dword v22, off, s[36:39], 0 offset:68 ; 4-byte Folded Spill
	buffer_store_dword v1, off, s[36:39], 0 offset:28 ; 4-byte Folded Spill
	v_lshlrev_b32_e32 v1, 16, v5
	buffer_store_dword v1, off, s[36:39], 0 offset:32 ; 4-byte Folded Spill
	v_and_b32_e32 v1, 0xffff0000, v5
	buffer_store_dword v1, off, s[36:39], 0 offset:36 ; 4-byte Folded Spill
	v_lshlrev_b32_e32 v1, 16, v6
	buffer_store_dword v1, off, s[36:39], 0 offset:40 ; 4-byte Folded Spill
	v_and_b32_e32 v1, 0xffff0000, v6
	;; [unrolled: 4-line block ×4, first 2 shown]
	ds_read_b128 v[5:8], v21 offset:96
	buffer_store_dword v1, off, s[36:39], 0 offset:60 ; 4-byte Folded Spill
	v_lshlrev_b32_e32 v1, 16, v9
	ds_read_b128 v[9:12], v21 offset:112
	buffer_store_dword v1, off, s[36:39], 0 offset:64 ; 4-byte Folded Spill
	ds_read_b128 v[1:4], v21 offset:80
	s_waitcnt lgkmcnt(0)
	v_lshlrev_b32_e32 v63, 16, v5
	v_and_b32_e32 v64, 0xffff0000, v5
	v_lshlrev_b32_e32 v65, 16, v6
	v_and_b32_e32 v66, 0xffff0000, v6
	;; [unrolled: 2-line block ×5, first 2 shown]
	v_lshlrev_b32_e32 v73, 16, v10
	v_lshlrev_b32_e32 v55, 16, v1
	v_and_b32_e32 v56, 0xffff0000, v1
	v_bfe_u32 v1, v22, 2, 3
	v_lshlrev_b32_e32 v57, 16, v2
	v_and_b32_e32 v58, 0xffff0000, v2
	v_lshlrev_b32_e32 v59, 16, v3
	v_and_b32_e32 v60, 0xffff0000, v3
	v_lshlrev_b32_e32 v2, 4, v1
	v_xor_b32_e32 v3, 2, v23
	v_lshlrev_b32_e32 v61, 16, v4
	v_and_b32_e32 v62, 0xffff0000, v4
	v_xor_b32_e32 v4, 1, v23
	v_add_co_u32 v2, s2, s2, v2
	v_add_co_ci_u32_e64 v5, null, s1, 0, s2
	v_cmp_gt_i32_e64 s1, 32, v3
	v_lshlrev_b32_e32 v8, 2, v1
	v_lshl_or_b32 v82, v86, 3, v1
	v_and_b32_e32 v1, 0x7c, v45
	s_lshl_b64 s[2:3], s[24:25], 2
	v_cndmask_b32_e64 v6, v23, v3, s1
	v_cmp_gt_i32_e64 s1, 32, v4
	s_add_u32 s2, s22, s2
	s_addc_u32 s3, s23, s3
	v_and_b32_e32 v74, 0xffff0000, v10
	v_lshlrev_b32_e32 v75, 16, v11
	v_cndmask_b32_e64 v7, v23, v4, s1
	v_add_co_u32 v3, s1, v2, v0
	v_lshl_or_b32 v0, v86, 5, v8
	v_add_co_ci_u32_e64 v4, null, 0, v5, s1
	v_add_co_u32 v5, s2, s2, v1
	v_and_b32_e32 v76, 0xffff0000, v11
	v_lshlrev_b32_e32 v77, 16, v12
	v_and_b32_e32 v78, 0xffff0000, v12
	v_lshlrev_b32_e32 v80, 2, v6
	v_lshlrev_b32_e32 v81, 2, v7
	v_cmp_neq_f32_e64 s1, s28, 0
	v_add_nc_u32_e32 v83, 0x220, v0
	v_add_co_ci_u32_e64 v6, null, s3, 0, s2
	v_mov_b32_e32 v2, 0
	s_branch .LBB321_9
.LBB321_8:                              ;   in Loop: Header=BB321_9 Depth=1
	s_or_b32 exec_lo, exec_lo, s3
	v_add_nc_u32_e32 v86, 4, v86
	v_add_co_u32 v5, s3, v5, 16
	v_add_nc_u32_e32 v82, 32, v82
	v_add_nc_u32_e32 v83, 0x80, v83
	v_cmp_le_i32_e64 s2, s12, v86
	v_add_co_ci_u32_e64 v6, null, 0, v6, s3
	s_or_b32 s16, s2, s16
	s_andn2_b32 exec_lo, exec_lo, s16
	s_cbranch_execz .LBB321_523
.LBB321_9:                              ; =>This Inner Loop Header: Depth=1
	global_load_dword v0, v[5:6], off
	v_mov_b32_e32 v87, 0
	s_waitcnt vmcnt(0)
	v_mad_i64_i32 v[7:8], null, v0, s17, v[3:4]
	s_waitcnt lgkmcnt(0)
	global_load_ushort v1, v[7:8], off
	s_waitcnt vmcnt(0)
	v_and_b32_e32 v0, 0xffff, v1
	v_cmp_ne_u16_sdwa s2, v1, v2 src0_sel:BYTE_0 src1_sel:DWORD
	s_and_saveexec_b32 s3, s2
	s_cbranch_execz .LBB321_17
; %bb.10:                               ;   in Loop: Header=BB321_9 Depth=1
	v_cmp_ne_u16_sdwa s2, v0, v84 src0_sel:BYTE_0 src1_sel:DWORD
	v_bfrev_b32_e32 v87, 1
	s_and_saveexec_b32 s30, s2
	s_cbranch_execz .LBB321_16
; %bb.11:                               ;   in Loop: Header=BB321_9 Depth=1
	v_and_b32_e32 v10, 0x7f, v0
	v_mov_b32_e32 v87, 0x7f800001
	s_mov_b32 s31, exec_lo
	v_cmpx_ne_u32_e32 0x7f, v10
	s_cbranch_execz .LBB321_15
; %bb.12:                               ;   in Loop: Header=BB321_9 Depth=1
	v_and_b32_e32 v1, 7, v0
	v_lshrrev_b32_e32 v9, 3, v10
	s_mov_b32 s33, exec_lo
	v_cmpx_gt_u32_e32 8, v10
; %bb.13:                               ;   in Loop: Header=BB321_9 Depth=1
	v_ffbh_u32_e32 v9, v1
	v_min_u32_e32 v9, 32, v9
	v_subrev_nc_u32_e32 v10, 28, v9
	v_sub_nc_u32_e32 v9, 29, v9
	v_lshlrev_b64 v[10:11], v10, v[1:2]
	v_and_b32_e32 v1, 7, v10
; %bb.14:                               ;   in Loop: Header=BB321_9 Depth=1
	s_or_b32 exec_lo, exec_lo, s33
	v_lshlrev_b32_e32 v10, 24, v0
	v_lshlrev_b32_e32 v1, 20, v1
	v_lshl_add_u32 v9, v9, 23, 0x3c000000
	v_and_b32_e32 v10, 0x80000000, v10
	v_or3_b32 v87, v1, v10, v9
.LBB321_15:                             ;   in Loop: Header=BB321_9 Depth=1
	s_or_b32 exec_lo, exec_lo, s31
.LBB321_16:                             ;   in Loop: Header=BB321_9 Depth=1
	s_or_b32 exec_lo, exec_lo, s30
.LBB321_17:                             ;   in Loop: Header=BB321_9 Depth=1
	s_or_b32 exec_lo, exec_lo, s3
	v_cmp_ne_u16_sdwa s2, v0, v2 src0_sel:BYTE_1 src1_sel:DWORD
	v_mov_b32_e32 v88, 0
	s_and_saveexec_b32 s3, s2
	s_cbranch_execz .LBB321_25
; %bb.18:                               ;   in Loop: Header=BB321_9 Depth=1
	v_cmp_ne_u16_sdwa s2, v0, v84 src0_sel:BYTE_1 src1_sel:DWORD
	v_bfrev_b32_e32 v88, 1
	s_and_saveexec_b32 s30, s2
	s_cbranch_execz .LBB321_24
; %bb.19:                               ;   in Loop: Header=BB321_9 Depth=1
	v_and_b32_sdwa v1, v85, v0 dst_sel:DWORD dst_unused:UNUSED_PAD src0_sel:DWORD src1_sel:BYTE_1
	v_mov_b32_e32 v88, 0x7f800001
	s_mov_b32 s31, exec_lo
	v_and_b32_e32 v10, 0x7f, v1
	v_cmpx_ne_u32_e32 0x7f, v10
	s_cbranch_execz .LBB321_23
; %bb.20:                               ;   in Loop: Header=BB321_9 Depth=1
	v_and_b32_e32 v1, 7, v1
	v_lshrrev_b32_e32 v9, 3, v10
	s_mov_b32 s33, exec_lo
	v_cmpx_gt_u32_e32 8, v10
; %bb.21:                               ;   in Loop: Header=BB321_9 Depth=1
	v_ffbh_u32_e32 v9, v1
	v_min_u32_e32 v9, 32, v9
	v_subrev_nc_u32_e32 v10, 28, v9
	v_sub_nc_u32_e32 v9, 29, v9
	v_lshlrev_b64 v[10:11], v10, v[1:2]
	v_and_b32_e32 v1, 7, v10
; %bb.22:                               ;   in Loop: Header=BB321_9 Depth=1
	s_or_b32 exec_lo, exec_lo, s33
	v_lshlrev_b32_e32 v0, 16, v0
	v_lshlrev_b32_e32 v1, 20, v1
	v_lshl_add_u32 v9, v9, 23, 0x3c000000
	v_and_b32_e32 v0, 0x80000000, v0
	v_or3_b32 v88, v1, v0, v9
.LBB321_23:                             ;   in Loop: Header=BB321_9 Depth=1
	s_or_b32 exec_lo, exec_lo, s31
.LBB321_24:                             ;   in Loop: Header=BB321_9 Depth=1
	s_or_b32 exec_lo, exec_lo, s30
.LBB321_25:                             ;   in Loop: Header=BB321_9 Depth=1
	s_or_b32 exec_lo, exec_lo, s3
	global_load_ushort v1, v[7:8], off offset:8
	v_mov_b32_e32 v90, 0
	v_mov_b32_e32 v89, 0
	s_waitcnt vmcnt(0)
	v_and_b32_e32 v0, 0xffff, v1
	v_cmp_ne_u16_sdwa s2, v1, v2 src0_sel:BYTE_0 src1_sel:DWORD
	s_and_saveexec_b32 s3, s2
	s_cbranch_execz .LBB321_33
; %bb.26:                               ;   in Loop: Header=BB321_9 Depth=1
	v_cmp_ne_u16_sdwa s2, v0, v84 src0_sel:BYTE_0 src1_sel:DWORD
	v_bfrev_b32_e32 v89, 1
	s_and_saveexec_b32 s30, s2
	s_cbranch_execz .LBB321_32
; %bb.27:                               ;   in Loop: Header=BB321_9 Depth=1
	v_and_b32_e32 v10, 0x7f, v0
	v_mov_b32_e32 v89, 0x7f800001
	s_mov_b32 s31, exec_lo
	v_cmpx_ne_u32_e32 0x7f, v10
	s_cbranch_execz .LBB321_31
; %bb.28:                               ;   in Loop: Header=BB321_9 Depth=1
	v_and_b32_e32 v1, 7, v0
	v_lshrrev_b32_e32 v9, 3, v10
	s_mov_b32 s33, exec_lo
	v_cmpx_gt_u32_e32 8, v10
; %bb.29:                               ;   in Loop: Header=BB321_9 Depth=1
	v_ffbh_u32_e32 v9, v1
	v_min_u32_e32 v9, 32, v9
	v_subrev_nc_u32_e32 v10, 28, v9
	v_sub_nc_u32_e32 v9, 29, v9
	v_lshlrev_b64 v[10:11], v10, v[1:2]
	v_and_b32_e32 v1, 7, v10
; %bb.30:                               ;   in Loop: Header=BB321_9 Depth=1
	s_or_b32 exec_lo, exec_lo, s33
	v_lshlrev_b32_e32 v10, 24, v0
	v_lshlrev_b32_e32 v1, 20, v1
	v_lshl_add_u32 v9, v9, 23, 0x3c000000
	v_and_b32_e32 v10, 0x80000000, v10
	v_or3_b32 v89, v1, v10, v9
.LBB321_31:                             ;   in Loop: Header=BB321_9 Depth=1
	s_or_b32 exec_lo, exec_lo, s31
.LBB321_32:                             ;   in Loop: Header=BB321_9 Depth=1
	s_or_b32 exec_lo, exec_lo, s30
.LBB321_33:                             ;   in Loop: Header=BB321_9 Depth=1
	s_or_b32 exec_lo, exec_lo, s3
	v_cmp_ne_u16_sdwa s2, v0, v2 src0_sel:BYTE_1 src1_sel:DWORD
	s_and_saveexec_b32 s3, s2
	s_cbranch_execz .LBB321_41
; %bb.34:                               ;   in Loop: Header=BB321_9 Depth=1
	v_cmp_ne_u16_sdwa s2, v0, v84 src0_sel:BYTE_1 src1_sel:DWORD
	v_bfrev_b32_e32 v90, 1
	s_and_saveexec_b32 s30, s2
	s_cbranch_execz .LBB321_40
; %bb.35:                               ;   in Loop: Header=BB321_9 Depth=1
	v_and_b32_sdwa v1, v85, v0 dst_sel:DWORD dst_unused:UNUSED_PAD src0_sel:DWORD src1_sel:BYTE_1
	v_mov_b32_e32 v90, 0x7f800001
	s_mov_b32 s31, exec_lo
	v_and_b32_e32 v10, 0x7f, v1
	v_cmpx_ne_u32_e32 0x7f, v10
	s_cbranch_execz .LBB321_39
; %bb.36:                               ;   in Loop: Header=BB321_9 Depth=1
	v_and_b32_e32 v1, 7, v1
	v_lshrrev_b32_e32 v9, 3, v10
	s_mov_b32 s33, exec_lo
	v_cmpx_gt_u32_e32 8, v10
; %bb.37:                               ;   in Loop: Header=BB321_9 Depth=1
	v_ffbh_u32_e32 v9, v1
	v_min_u32_e32 v9, 32, v9
	v_subrev_nc_u32_e32 v10, 28, v9
	v_sub_nc_u32_e32 v9, 29, v9
	v_lshlrev_b64 v[10:11], v10, v[1:2]
	v_and_b32_e32 v1, 7, v10
; %bb.38:                               ;   in Loop: Header=BB321_9 Depth=1
	s_or_b32 exec_lo, exec_lo, s33
	v_lshlrev_b32_e32 v0, 16, v0
	v_lshlrev_b32_e32 v1, 20, v1
	v_lshl_add_u32 v9, v9, 23, 0x3c000000
	v_and_b32_e32 v0, 0x80000000, v0
	v_or3_b32 v90, v1, v0, v9
.LBB321_39:                             ;   in Loop: Header=BB321_9 Depth=1
	s_or_b32 exec_lo, exec_lo, s31
.LBB321_40:                             ;   in Loop: Header=BB321_9 Depth=1
	s_or_b32 exec_lo, exec_lo, s30
.LBB321_41:                             ;   in Loop: Header=BB321_9 Depth=1
	s_or_b32 exec_lo, exec_lo, s3
	global_load_ushort v1, v[7:8], off offset:128
	v_mov_b32_e32 v92, 0
	v_mov_b32_e32 v91, 0
	s_waitcnt vmcnt(0)
	v_and_b32_e32 v0, 0xffff, v1
	v_cmp_ne_u16_sdwa s2, v1, v2 src0_sel:BYTE_0 src1_sel:DWORD
	s_and_saveexec_b32 s3, s2
	s_cbranch_execz .LBB321_49
; %bb.42:                               ;   in Loop: Header=BB321_9 Depth=1
	v_cmp_ne_u16_sdwa s2, v0, v84 src0_sel:BYTE_0 src1_sel:DWORD
	v_bfrev_b32_e32 v91, 1
	s_and_saveexec_b32 s30, s2
	s_cbranch_execz .LBB321_48
; %bb.43:                               ;   in Loop: Header=BB321_9 Depth=1
	v_and_b32_e32 v10, 0x7f, v0
	v_mov_b32_e32 v91, 0x7f800001
	s_mov_b32 s31, exec_lo
	v_cmpx_ne_u32_e32 0x7f, v10
	s_cbranch_execz .LBB321_47
; %bb.44:                               ;   in Loop: Header=BB321_9 Depth=1
	v_and_b32_e32 v1, 7, v0
	v_lshrrev_b32_e32 v9, 3, v10
	s_mov_b32 s33, exec_lo
	v_cmpx_gt_u32_e32 8, v10
; %bb.45:                               ;   in Loop: Header=BB321_9 Depth=1
	v_ffbh_u32_e32 v9, v1
	v_min_u32_e32 v9, 32, v9
	v_subrev_nc_u32_e32 v10, 28, v9
	v_sub_nc_u32_e32 v9, 29, v9
	v_lshlrev_b64 v[10:11], v10, v[1:2]
	v_and_b32_e32 v1, 7, v10
; %bb.46:                               ;   in Loop: Header=BB321_9 Depth=1
	s_or_b32 exec_lo, exec_lo, s33
	v_lshlrev_b32_e32 v10, 24, v0
	v_lshlrev_b32_e32 v1, 20, v1
	v_lshl_add_u32 v9, v9, 23, 0x3c000000
	v_and_b32_e32 v10, 0x80000000, v10
	v_or3_b32 v91, v1, v10, v9
.LBB321_47:                             ;   in Loop: Header=BB321_9 Depth=1
	s_or_b32 exec_lo, exec_lo, s31
.LBB321_48:                             ;   in Loop: Header=BB321_9 Depth=1
	s_or_b32 exec_lo, exec_lo, s30
.LBB321_49:                             ;   in Loop: Header=BB321_9 Depth=1
	s_or_b32 exec_lo, exec_lo, s3
	v_cmp_ne_u16_sdwa s2, v0, v2 src0_sel:BYTE_1 src1_sel:DWORD
	s_and_saveexec_b32 s3, s2
	s_cbranch_execz .LBB321_57
; %bb.50:                               ;   in Loop: Header=BB321_9 Depth=1
	v_cmp_ne_u16_sdwa s2, v0, v84 src0_sel:BYTE_1 src1_sel:DWORD
	v_bfrev_b32_e32 v92, 1
	s_and_saveexec_b32 s30, s2
	s_cbranch_execz .LBB321_56
; %bb.51:                               ;   in Loop: Header=BB321_9 Depth=1
	v_and_b32_sdwa v1, v85, v0 dst_sel:DWORD dst_unused:UNUSED_PAD src0_sel:DWORD src1_sel:BYTE_1
	v_mov_b32_e32 v92, 0x7f800001
	s_mov_b32 s31, exec_lo
	v_and_b32_e32 v10, 0x7f, v1
	v_cmpx_ne_u32_e32 0x7f, v10
	s_cbranch_execz .LBB321_55
; %bb.52:                               ;   in Loop: Header=BB321_9 Depth=1
	v_and_b32_e32 v1, 7, v1
	v_lshrrev_b32_e32 v9, 3, v10
	s_mov_b32 s33, exec_lo
	v_cmpx_gt_u32_e32 8, v10
; %bb.53:                               ;   in Loop: Header=BB321_9 Depth=1
	v_ffbh_u32_e32 v9, v1
	v_min_u32_e32 v9, 32, v9
	v_subrev_nc_u32_e32 v10, 28, v9
	v_sub_nc_u32_e32 v9, 29, v9
	v_lshlrev_b64 v[10:11], v10, v[1:2]
	v_and_b32_e32 v1, 7, v10
; %bb.54:                               ;   in Loop: Header=BB321_9 Depth=1
	s_or_b32 exec_lo, exec_lo, s33
	v_lshlrev_b32_e32 v0, 16, v0
	v_lshlrev_b32_e32 v1, 20, v1
	v_lshl_add_u32 v9, v9, 23, 0x3c000000
	v_and_b32_e32 v0, 0x80000000, v0
	v_or3_b32 v92, v1, v0, v9
.LBB321_55:                             ;   in Loop: Header=BB321_9 Depth=1
	s_or_b32 exec_lo, exec_lo, s31
.LBB321_56:                             ;   in Loop: Header=BB321_9 Depth=1
	s_or_b32 exec_lo, exec_lo, s30
.LBB321_57:                             ;   in Loop: Header=BB321_9 Depth=1
	s_or_b32 exec_lo, exec_lo, s3
	global_load_ushort v1, v[7:8], off offset:136
	v_mov_b32_e32 v94, 0
	v_mov_b32_e32 v93, 0
	s_waitcnt vmcnt(0)
	v_and_b32_e32 v0, 0xffff, v1
	v_cmp_ne_u16_sdwa s2, v1, v2 src0_sel:BYTE_0 src1_sel:DWORD
	s_and_saveexec_b32 s3, s2
	s_cbranch_execz .LBB321_65
; %bb.58:                               ;   in Loop: Header=BB321_9 Depth=1
	v_cmp_ne_u16_sdwa s2, v0, v84 src0_sel:BYTE_0 src1_sel:DWORD
	v_bfrev_b32_e32 v93, 1
	s_and_saveexec_b32 s30, s2
	s_cbranch_execz .LBB321_64
; %bb.59:                               ;   in Loop: Header=BB321_9 Depth=1
	v_and_b32_e32 v10, 0x7f, v0
	v_mov_b32_e32 v93, 0x7f800001
	s_mov_b32 s31, exec_lo
	v_cmpx_ne_u32_e32 0x7f, v10
	s_cbranch_execz .LBB321_63
; %bb.60:                               ;   in Loop: Header=BB321_9 Depth=1
	v_and_b32_e32 v1, 7, v0
	v_lshrrev_b32_e32 v9, 3, v10
	s_mov_b32 s33, exec_lo
	v_cmpx_gt_u32_e32 8, v10
; %bb.61:                               ;   in Loop: Header=BB321_9 Depth=1
	v_ffbh_u32_e32 v9, v1
	v_min_u32_e32 v9, 32, v9
	v_subrev_nc_u32_e32 v10, 28, v9
	v_sub_nc_u32_e32 v9, 29, v9
	v_lshlrev_b64 v[10:11], v10, v[1:2]
	v_and_b32_e32 v1, 7, v10
; %bb.62:                               ;   in Loop: Header=BB321_9 Depth=1
	s_or_b32 exec_lo, exec_lo, s33
	v_lshlrev_b32_e32 v10, 24, v0
	v_lshlrev_b32_e32 v1, 20, v1
	v_lshl_add_u32 v9, v9, 23, 0x3c000000
	v_and_b32_e32 v10, 0x80000000, v10
	v_or3_b32 v93, v1, v10, v9
.LBB321_63:                             ;   in Loop: Header=BB321_9 Depth=1
	s_or_b32 exec_lo, exec_lo, s31
.LBB321_64:                             ;   in Loop: Header=BB321_9 Depth=1
	s_or_b32 exec_lo, exec_lo, s30
.LBB321_65:                             ;   in Loop: Header=BB321_9 Depth=1
	s_or_b32 exec_lo, exec_lo, s3
	v_cmp_ne_u16_sdwa s2, v0, v2 src0_sel:BYTE_1 src1_sel:DWORD
	s_and_saveexec_b32 s3, s2
	s_cbranch_execz .LBB321_73
; %bb.66:                               ;   in Loop: Header=BB321_9 Depth=1
	v_cmp_ne_u16_sdwa s2, v0, v84 src0_sel:BYTE_1 src1_sel:DWORD
	v_bfrev_b32_e32 v94, 1
	s_and_saveexec_b32 s30, s2
	s_cbranch_execz .LBB321_72
; %bb.67:                               ;   in Loop: Header=BB321_9 Depth=1
	v_and_b32_sdwa v1, v85, v0 dst_sel:DWORD dst_unused:UNUSED_PAD src0_sel:DWORD src1_sel:BYTE_1
	v_mov_b32_e32 v94, 0x7f800001
	s_mov_b32 s31, exec_lo
	v_and_b32_e32 v10, 0x7f, v1
	v_cmpx_ne_u32_e32 0x7f, v10
	s_cbranch_execz .LBB321_71
; %bb.68:                               ;   in Loop: Header=BB321_9 Depth=1
	v_and_b32_e32 v1, 7, v1
	v_lshrrev_b32_e32 v9, 3, v10
	s_mov_b32 s33, exec_lo
	v_cmpx_gt_u32_e32 8, v10
; %bb.69:                               ;   in Loop: Header=BB321_9 Depth=1
	v_ffbh_u32_e32 v9, v1
	v_min_u32_e32 v9, 32, v9
	v_subrev_nc_u32_e32 v10, 28, v9
	v_sub_nc_u32_e32 v9, 29, v9
	v_lshlrev_b64 v[10:11], v10, v[1:2]
	v_and_b32_e32 v1, 7, v10
; %bb.70:                               ;   in Loop: Header=BB321_9 Depth=1
	s_or_b32 exec_lo, exec_lo, s33
	v_lshlrev_b32_e32 v0, 16, v0
	v_lshlrev_b32_e32 v1, 20, v1
	v_lshl_add_u32 v9, v9, 23, 0x3c000000
	v_and_b32_e32 v0, 0x80000000, v0
	v_or3_b32 v94, v1, v0, v9
.LBB321_71:                             ;   in Loop: Header=BB321_9 Depth=1
	s_or_b32 exec_lo, exec_lo, s31
.LBB321_72:                             ;   in Loop: Header=BB321_9 Depth=1
	s_or_b32 exec_lo, exec_lo, s30
.LBB321_73:                             ;   in Loop: Header=BB321_9 Depth=1
	s_or_b32 exec_lo, exec_lo, s3
	global_load_ushort v1, v[7:8], off offset:256
	v_mov_b32_e32 v96, 0
	v_mov_b32_e32 v95, 0
	s_waitcnt vmcnt(0)
	v_and_b32_e32 v0, 0xffff, v1
	v_cmp_ne_u16_sdwa s2, v1, v2 src0_sel:BYTE_0 src1_sel:DWORD
	s_and_saveexec_b32 s3, s2
	s_cbranch_execz .LBB321_81
; %bb.74:                               ;   in Loop: Header=BB321_9 Depth=1
	v_cmp_ne_u16_sdwa s2, v0, v84 src0_sel:BYTE_0 src1_sel:DWORD
	v_bfrev_b32_e32 v95, 1
	s_and_saveexec_b32 s30, s2
	s_cbranch_execz .LBB321_80
; %bb.75:                               ;   in Loop: Header=BB321_9 Depth=1
	v_and_b32_e32 v10, 0x7f, v0
	v_mov_b32_e32 v95, 0x7f800001
	s_mov_b32 s31, exec_lo
	v_cmpx_ne_u32_e32 0x7f, v10
	s_cbranch_execz .LBB321_79
; %bb.76:                               ;   in Loop: Header=BB321_9 Depth=1
	v_and_b32_e32 v1, 7, v0
	v_lshrrev_b32_e32 v9, 3, v10
	s_mov_b32 s33, exec_lo
	v_cmpx_gt_u32_e32 8, v10
; %bb.77:                               ;   in Loop: Header=BB321_9 Depth=1
	v_ffbh_u32_e32 v9, v1
	v_min_u32_e32 v9, 32, v9
	v_subrev_nc_u32_e32 v10, 28, v9
	v_sub_nc_u32_e32 v9, 29, v9
	v_lshlrev_b64 v[10:11], v10, v[1:2]
	v_and_b32_e32 v1, 7, v10
; %bb.78:                               ;   in Loop: Header=BB321_9 Depth=1
	s_or_b32 exec_lo, exec_lo, s33
	v_lshlrev_b32_e32 v10, 24, v0
	v_lshlrev_b32_e32 v1, 20, v1
	v_lshl_add_u32 v9, v9, 23, 0x3c000000
	v_and_b32_e32 v10, 0x80000000, v10
	v_or3_b32 v95, v1, v10, v9
.LBB321_79:                             ;   in Loop: Header=BB321_9 Depth=1
	s_or_b32 exec_lo, exec_lo, s31
.LBB321_80:                             ;   in Loop: Header=BB321_9 Depth=1
	s_or_b32 exec_lo, exec_lo, s30
.LBB321_81:                             ;   in Loop: Header=BB321_9 Depth=1
	s_or_b32 exec_lo, exec_lo, s3
	v_cmp_ne_u16_sdwa s2, v0, v2 src0_sel:BYTE_1 src1_sel:DWORD
	s_and_saveexec_b32 s3, s2
	s_cbranch_execz .LBB321_89
; %bb.82:                               ;   in Loop: Header=BB321_9 Depth=1
	v_cmp_ne_u16_sdwa s2, v0, v84 src0_sel:BYTE_1 src1_sel:DWORD
	v_bfrev_b32_e32 v96, 1
	s_and_saveexec_b32 s30, s2
	s_cbranch_execz .LBB321_88
; %bb.83:                               ;   in Loop: Header=BB321_9 Depth=1
	v_and_b32_sdwa v1, v85, v0 dst_sel:DWORD dst_unused:UNUSED_PAD src0_sel:DWORD src1_sel:BYTE_1
	v_mov_b32_e32 v96, 0x7f800001
	s_mov_b32 s31, exec_lo
	v_and_b32_e32 v10, 0x7f, v1
	v_cmpx_ne_u32_e32 0x7f, v10
	s_cbranch_execz .LBB321_87
; %bb.84:                               ;   in Loop: Header=BB321_9 Depth=1
	v_and_b32_e32 v1, 7, v1
	v_lshrrev_b32_e32 v9, 3, v10
	s_mov_b32 s33, exec_lo
	v_cmpx_gt_u32_e32 8, v10
; %bb.85:                               ;   in Loop: Header=BB321_9 Depth=1
	v_ffbh_u32_e32 v9, v1
	v_min_u32_e32 v9, 32, v9
	v_subrev_nc_u32_e32 v10, 28, v9
	v_sub_nc_u32_e32 v9, 29, v9
	v_lshlrev_b64 v[10:11], v10, v[1:2]
	v_and_b32_e32 v1, 7, v10
; %bb.86:                               ;   in Loop: Header=BB321_9 Depth=1
	s_or_b32 exec_lo, exec_lo, s33
	v_lshlrev_b32_e32 v0, 16, v0
	v_lshlrev_b32_e32 v1, 20, v1
	v_lshl_add_u32 v9, v9, 23, 0x3c000000
	v_and_b32_e32 v0, 0x80000000, v0
	v_or3_b32 v96, v1, v0, v9
.LBB321_87:                             ;   in Loop: Header=BB321_9 Depth=1
	s_or_b32 exec_lo, exec_lo, s31
.LBB321_88:                             ;   in Loop: Header=BB321_9 Depth=1
	s_or_b32 exec_lo, exec_lo, s30
.LBB321_89:                             ;   in Loop: Header=BB321_9 Depth=1
	s_or_b32 exec_lo, exec_lo, s3
	global_load_ushort v1, v[7:8], off offset:264
	v_mov_b32_e32 v98, 0
	v_mov_b32_e32 v97, 0
	s_waitcnt vmcnt(0)
	v_and_b32_e32 v0, 0xffff, v1
	v_cmp_ne_u16_sdwa s2, v1, v2 src0_sel:BYTE_0 src1_sel:DWORD
	s_and_saveexec_b32 s3, s2
	s_cbranch_execz .LBB321_97
; %bb.90:                               ;   in Loop: Header=BB321_9 Depth=1
	v_cmp_ne_u16_sdwa s2, v0, v84 src0_sel:BYTE_0 src1_sel:DWORD
	v_bfrev_b32_e32 v97, 1
	s_and_saveexec_b32 s30, s2
	s_cbranch_execz .LBB321_96
; %bb.91:                               ;   in Loop: Header=BB321_9 Depth=1
	v_and_b32_e32 v10, 0x7f, v0
	v_mov_b32_e32 v97, 0x7f800001
	s_mov_b32 s31, exec_lo
	v_cmpx_ne_u32_e32 0x7f, v10
	s_cbranch_execz .LBB321_95
; %bb.92:                               ;   in Loop: Header=BB321_9 Depth=1
	v_and_b32_e32 v1, 7, v0
	v_lshrrev_b32_e32 v9, 3, v10
	s_mov_b32 s33, exec_lo
	v_cmpx_gt_u32_e32 8, v10
; %bb.93:                               ;   in Loop: Header=BB321_9 Depth=1
	v_ffbh_u32_e32 v9, v1
	v_min_u32_e32 v9, 32, v9
	v_subrev_nc_u32_e32 v10, 28, v9
	v_sub_nc_u32_e32 v9, 29, v9
	v_lshlrev_b64 v[10:11], v10, v[1:2]
	v_and_b32_e32 v1, 7, v10
; %bb.94:                               ;   in Loop: Header=BB321_9 Depth=1
	s_or_b32 exec_lo, exec_lo, s33
	v_lshlrev_b32_e32 v10, 24, v0
	v_lshlrev_b32_e32 v1, 20, v1
	v_lshl_add_u32 v9, v9, 23, 0x3c000000
	v_and_b32_e32 v10, 0x80000000, v10
	v_or3_b32 v97, v1, v10, v9
.LBB321_95:                             ;   in Loop: Header=BB321_9 Depth=1
	s_or_b32 exec_lo, exec_lo, s31
.LBB321_96:                             ;   in Loop: Header=BB321_9 Depth=1
	s_or_b32 exec_lo, exec_lo, s30
.LBB321_97:                             ;   in Loop: Header=BB321_9 Depth=1
	s_or_b32 exec_lo, exec_lo, s3
	v_cmp_ne_u16_sdwa s2, v0, v2 src0_sel:BYTE_1 src1_sel:DWORD
	s_and_saveexec_b32 s3, s2
	s_cbranch_execz .LBB321_105
; %bb.98:                               ;   in Loop: Header=BB321_9 Depth=1
	v_cmp_ne_u16_sdwa s2, v0, v84 src0_sel:BYTE_1 src1_sel:DWORD
	v_bfrev_b32_e32 v98, 1
	s_and_saveexec_b32 s30, s2
	s_cbranch_execz .LBB321_104
; %bb.99:                               ;   in Loop: Header=BB321_9 Depth=1
	v_and_b32_sdwa v1, v85, v0 dst_sel:DWORD dst_unused:UNUSED_PAD src0_sel:DWORD src1_sel:BYTE_1
	v_mov_b32_e32 v98, 0x7f800001
	s_mov_b32 s31, exec_lo
	v_and_b32_e32 v10, 0x7f, v1
	v_cmpx_ne_u32_e32 0x7f, v10
	s_cbranch_execz .LBB321_103
; %bb.100:                              ;   in Loop: Header=BB321_9 Depth=1
	v_and_b32_e32 v1, 7, v1
	v_lshrrev_b32_e32 v9, 3, v10
	s_mov_b32 s33, exec_lo
	v_cmpx_gt_u32_e32 8, v10
; %bb.101:                              ;   in Loop: Header=BB321_9 Depth=1
	v_ffbh_u32_e32 v9, v1
	v_min_u32_e32 v9, 32, v9
	v_subrev_nc_u32_e32 v10, 28, v9
	v_sub_nc_u32_e32 v9, 29, v9
	v_lshlrev_b64 v[10:11], v10, v[1:2]
	v_and_b32_e32 v1, 7, v10
; %bb.102:                              ;   in Loop: Header=BB321_9 Depth=1
	s_or_b32 exec_lo, exec_lo, s33
	v_lshlrev_b32_e32 v0, 16, v0
	v_lshlrev_b32_e32 v1, 20, v1
	v_lshl_add_u32 v9, v9, 23, 0x3c000000
	v_and_b32_e32 v0, 0x80000000, v0
	v_or3_b32 v98, v1, v0, v9
.LBB321_103:                            ;   in Loop: Header=BB321_9 Depth=1
	s_or_b32 exec_lo, exec_lo, s31
.LBB321_104:                            ;   in Loop: Header=BB321_9 Depth=1
	s_or_b32 exec_lo, exec_lo, s30
.LBB321_105:                            ;   in Loop: Header=BB321_9 Depth=1
	s_or_b32 exec_lo, exec_lo, s3
	global_load_ushort v1, v[7:8], off offset:384
	v_mov_b32_e32 v100, 0
	v_mov_b32_e32 v99, 0
	s_waitcnt vmcnt(0)
	v_and_b32_e32 v0, 0xffff, v1
	v_cmp_ne_u16_sdwa s2, v1, v2 src0_sel:BYTE_0 src1_sel:DWORD
	s_and_saveexec_b32 s3, s2
	s_cbranch_execz .LBB321_113
; %bb.106:                              ;   in Loop: Header=BB321_9 Depth=1
	v_cmp_ne_u16_sdwa s2, v0, v84 src0_sel:BYTE_0 src1_sel:DWORD
	v_bfrev_b32_e32 v99, 1
	s_and_saveexec_b32 s30, s2
	s_cbranch_execz .LBB321_112
; %bb.107:                              ;   in Loop: Header=BB321_9 Depth=1
	v_and_b32_e32 v10, 0x7f, v0
	v_mov_b32_e32 v99, 0x7f800001
	s_mov_b32 s31, exec_lo
	v_cmpx_ne_u32_e32 0x7f, v10
	s_cbranch_execz .LBB321_111
; %bb.108:                              ;   in Loop: Header=BB321_9 Depth=1
	v_and_b32_e32 v1, 7, v0
	v_lshrrev_b32_e32 v9, 3, v10
	s_mov_b32 s33, exec_lo
	v_cmpx_gt_u32_e32 8, v10
; %bb.109:                              ;   in Loop: Header=BB321_9 Depth=1
	v_ffbh_u32_e32 v9, v1
	v_min_u32_e32 v9, 32, v9
	v_subrev_nc_u32_e32 v10, 28, v9
	v_sub_nc_u32_e32 v9, 29, v9
	v_lshlrev_b64 v[10:11], v10, v[1:2]
	v_and_b32_e32 v1, 7, v10
; %bb.110:                              ;   in Loop: Header=BB321_9 Depth=1
	s_or_b32 exec_lo, exec_lo, s33
	v_lshlrev_b32_e32 v10, 24, v0
	v_lshlrev_b32_e32 v1, 20, v1
	v_lshl_add_u32 v9, v9, 23, 0x3c000000
	v_and_b32_e32 v10, 0x80000000, v10
	v_or3_b32 v99, v1, v10, v9
.LBB321_111:                            ;   in Loop: Header=BB321_9 Depth=1
	s_or_b32 exec_lo, exec_lo, s31
.LBB321_112:                            ;   in Loop: Header=BB321_9 Depth=1
	s_or_b32 exec_lo, exec_lo, s30
.LBB321_113:                            ;   in Loop: Header=BB321_9 Depth=1
	s_or_b32 exec_lo, exec_lo, s3
	v_cmp_ne_u16_sdwa s2, v0, v2 src0_sel:BYTE_1 src1_sel:DWORD
	s_and_saveexec_b32 s3, s2
	s_cbranch_execz .LBB321_121
; %bb.114:                              ;   in Loop: Header=BB321_9 Depth=1
	v_cmp_ne_u16_sdwa s2, v0, v84 src0_sel:BYTE_1 src1_sel:DWORD
	v_bfrev_b32_e32 v100, 1
	s_and_saveexec_b32 s30, s2
	s_cbranch_execz .LBB321_120
; %bb.115:                              ;   in Loop: Header=BB321_9 Depth=1
	v_and_b32_sdwa v1, v85, v0 dst_sel:DWORD dst_unused:UNUSED_PAD src0_sel:DWORD src1_sel:BYTE_1
	v_mov_b32_e32 v100, 0x7f800001
	s_mov_b32 s31, exec_lo
	v_and_b32_e32 v10, 0x7f, v1
	v_cmpx_ne_u32_e32 0x7f, v10
	s_cbranch_execz .LBB321_119
; %bb.116:                              ;   in Loop: Header=BB321_9 Depth=1
	v_and_b32_e32 v1, 7, v1
	v_lshrrev_b32_e32 v9, 3, v10
	s_mov_b32 s33, exec_lo
	v_cmpx_gt_u32_e32 8, v10
; %bb.117:                              ;   in Loop: Header=BB321_9 Depth=1
	v_ffbh_u32_e32 v9, v1
	v_min_u32_e32 v9, 32, v9
	v_subrev_nc_u32_e32 v10, 28, v9
	v_sub_nc_u32_e32 v9, 29, v9
	v_lshlrev_b64 v[10:11], v10, v[1:2]
	v_and_b32_e32 v1, 7, v10
; %bb.118:                              ;   in Loop: Header=BB321_9 Depth=1
	s_or_b32 exec_lo, exec_lo, s33
	v_lshlrev_b32_e32 v0, 16, v0
	v_lshlrev_b32_e32 v1, 20, v1
	v_lshl_add_u32 v9, v9, 23, 0x3c000000
	v_and_b32_e32 v0, 0x80000000, v0
	v_or3_b32 v100, v1, v0, v9
.LBB321_119:                            ;   in Loop: Header=BB321_9 Depth=1
	s_or_b32 exec_lo, exec_lo, s31
.LBB321_120:                            ;   in Loop: Header=BB321_9 Depth=1
	s_or_b32 exec_lo, exec_lo, s30
.LBB321_121:                            ;   in Loop: Header=BB321_9 Depth=1
	s_or_b32 exec_lo, exec_lo, s3
	global_load_ushort v1, v[7:8], off offset:392
	v_mov_b32_e32 v102, 0
	v_mov_b32_e32 v101, 0
	s_waitcnt vmcnt(0)
	v_and_b32_e32 v0, 0xffff, v1
	v_cmp_ne_u16_sdwa s2, v1, v2 src0_sel:BYTE_0 src1_sel:DWORD
	s_and_saveexec_b32 s3, s2
	s_cbranch_execz .LBB321_129
; %bb.122:                              ;   in Loop: Header=BB321_9 Depth=1
	v_cmp_ne_u16_sdwa s2, v0, v84 src0_sel:BYTE_0 src1_sel:DWORD
	v_bfrev_b32_e32 v101, 1
	s_and_saveexec_b32 s30, s2
	s_cbranch_execz .LBB321_128
; %bb.123:                              ;   in Loop: Header=BB321_9 Depth=1
	v_and_b32_e32 v10, 0x7f, v0
	v_mov_b32_e32 v101, 0x7f800001
	s_mov_b32 s31, exec_lo
	v_cmpx_ne_u32_e32 0x7f, v10
	s_cbranch_execz .LBB321_127
; %bb.124:                              ;   in Loop: Header=BB321_9 Depth=1
	v_and_b32_e32 v1, 7, v0
	v_lshrrev_b32_e32 v9, 3, v10
	s_mov_b32 s33, exec_lo
	v_cmpx_gt_u32_e32 8, v10
; %bb.125:                              ;   in Loop: Header=BB321_9 Depth=1
	v_ffbh_u32_e32 v9, v1
	v_min_u32_e32 v9, 32, v9
	v_subrev_nc_u32_e32 v10, 28, v9
	v_sub_nc_u32_e32 v9, 29, v9
	v_lshlrev_b64 v[10:11], v10, v[1:2]
	v_and_b32_e32 v1, 7, v10
; %bb.126:                              ;   in Loop: Header=BB321_9 Depth=1
	s_or_b32 exec_lo, exec_lo, s33
	v_lshlrev_b32_e32 v10, 24, v0
	v_lshlrev_b32_e32 v1, 20, v1
	v_lshl_add_u32 v9, v9, 23, 0x3c000000
	v_and_b32_e32 v10, 0x80000000, v10
	v_or3_b32 v101, v1, v10, v9
.LBB321_127:                            ;   in Loop: Header=BB321_9 Depth=1
	s_or_b32 exec_lo, exec_lo, s31
.LBB321_128:                            ;   in Loop: Header=BB321_9 Depth=1
	s_or_b32 exec_lo, exec_lo, s30
.LBB321_129:                            ;   in Loop: Header=BB321_9 Depth=1
	s_or_b32 exec_lo, exec_lo, s3
	v_cmp_ne_u16_sdwa s2, v0, v2 src0_sel:BYTE_1 src1_sel:DWORD
	s_and_saveexec_b32 s3, s2
	s_cbranch_execz .LBB321_137
; %bb.130:                              ;   in Loop: Header=BB321_9 Depth=1
	v_cmp_ne_u16_sdwa s2, v0, v84 src0_sel:BYTE_1 src1_sel:DWORD
	v_bfrev_b32_e32 v102, 1
	s_and_saveexec_b32 s30, s2
	s_cbranch_execz .LBB321_136
; %bb.131:                              ;   in Loop: Header=BB321_9 Depth=1
	v_and_b32_sdwa v1, v85, v0 dst_sel:DWORD dst_unused:UNUSED_PAD src0_sel:DWORD src1_sel:BYTE_1
	v_mov_b32_e32 v102, 0x7f800001
	s_mov_b32 s31, exec_lo
	v_and_b32_e32 v10, 0x7f, v1
	v_cmpx_ne_u32_e32 0x7f, v10
	s_cbranch_execz .LBB321_135
; %bb.132:                              ;   in Loop: Header=BB321_9 Depth=1
	v_and_b32_e32 v1, 7, v1
	v_lshrrev_b32_e32 v9, 3, v10
	s_mov_b32 s33, exec_lo
	v_cmpx_gt_u32_e32 8, v10
; %bb.133:                              ;   in Loop: Header=BB321_9 Depth=1
	v_ffbh_u32_e32 v9, v1
	v_min_u32_e32 v9, 32, v9
	v_subrev_nc_u32_e32 v10, 28, v9
	v_sub_nc_u32_e32 v9, 29, v9
	v_lshlrev_b64 v[10:11], v10, v[1:2]
	v_and_b32_e32 v1, 7, v10
; %bb.134:                              ;   in Loop: Header=BB321_9 Depth=1
	s_or_b32 exec_lo, exec_lo, s33
	v_lshlrev_b32_e32 v0, 16, v0
	v_lshlrev_b32_e32 v1, 20, v1
	v_lshl_add_u32 v9, v9, 23, 0x3c000000
	v_and_b32_e32 v0, 0x80000000, v0
	v_or3_b32 v102, v1, v0, v9
.LBB321_135:                            ;   in Loop: Header=BB321_9 Depth=1
	s_or_b32 exec_lo, exec_lo, s31
.LBB321_136:                            ;   in Loop: Header=BB321_9 Depth=1
	s_or_b32 exec_lo, exec_lo, s30
.LBB321_137:                            ;   in Loop: Header=BB321_9 Depth=1
	s_or_b32 exec_lo, exec_lo, s3
	global_load_ushort v1, v[7:8], off offset:512
	v_mov_b32_e32 v104, 0
	v_mov_b32_e32 v103, 0
	s_waitcnt vmcnt(0)
	v_and_b32_e32 v0, 0xffff, v1
	v_cmp_ne_u16_sdwa s2, v1, v2 src0_sel:BYTE_0 src1_sel:DWORD
	s_and_saveexec_b32 s3, s2
	s_cbranch_execz .LBB321_145
; %bb.138:                              ;   in Loop: Header=BB321_9 Depth=1
	v_cmp_ne_u16_sdwa s2, v0, v84 src0_sel:BYTE_0 src1_sel:DWORD
	v_bfrev_b32_e32 v103, 1
	s_and_saveexec_b32 s30, s2
	s_cbranch_execz .LBB321_144
; %bb.139:                              ;   in Loop: Header=BB321_9 Depth=1
	v_and_b32_e32 v10, 0x7f, v0
	v_mov_b32_e32 v103, 0x7f800001
	s_mov_b32 s31, exec_lo
	v_cmpx_ne_u32_e32 0x7f, v10
	s_cbranch_execz .LBB321_143
; %bb.140:                              ;   in Loop: Header=BB321_9 Depth=1
	v_and_b32_e32 v1, 7, v0
	v_lshrrev_b32_e32 v9, 3, v10
	s_mov_b32 s33, exec_lo
	v_cmpx_gt_u32_e32 8, v10
; %bb.141:                              ;   in Loop: Header=BB321_9 Depth=1
	v_ffbh_u32_e32 v9, v1
	v_min_u32_e32 v9, 32, v9
	v_subrev_nc_u32_e32 v10, 28, v9
	v_sub_nc_u32_e32 v9, 29, v9
	v_lshlrev_b64 v[10:11], v10, v[1:2]
	v_and_b32_e32 v1, 7, v10
; %bb.142:                              ;   in Loop: Header=BB321_9 Depth=1
	s_or_b32 exec_lo, exec_lo, s33
	v_lshlrev_b32_e32 v10, 24, v0
	v_lshlrev_b32_e32 v1, 20, v1
	v_lshl_add_u32 v9, v9, 23, 0x3c000000
	v_and_b32_e32 v10, 0x80000000, v10
	v_or3_b32 v103, v1, v10, v9
.LBB321_143:                            ;   in Loop: Header=BB321_9 Depth=1
	s_or_b32 exec_lo, exec_lo, s31
.LBB321_144:                            ;   in Loop: Header=BB321_9 Depth=1
	s_or_b32 exec_lo, exec_lo, s30
.LBB321_145:                            ;   in Loop: Header=BB321_9 Depth=1
	s_or_b32 exec_lo, exec_lo, s3
	v_cmp_ne_u16_sdwa s2, v0, v2 src0_sel:BYTE_1 src1_sel:DWORD
	s_and_saveexec_b32 s3, s2
	s_cbranch_execz .LBB321_153
; %bb.146:                              ;   in Loop: Header=BB321_9 Depth=1
	v_cmp_ne_u16_sdwa s2, v0, v84 src0_sel:BYTE_1 src1_sel:DWORD
	v_bfrev_b32_e32 v104, 1
	s_and_saveexec_b32 s30, s2
	s_cbranch_execz .LBB321_152
; %bb.147:                              ;   in Loop: Header=BB321_9 Depth=1
	v_and_b32_sdwa v1, v85, v0 dst_sel:DWORD dst_unused:UNUSED_PAD src0_sel:DWORD src1_sel:BYTE_1
	v_mov_b32_e32 v104, 0x7f800001
	s_mov_b32 s31, exec_lo
	v_and_b32_e32 v10, 0x7f, v1
	v_cmpx_ne_u32_e32 0x7f, v10
	s_cbranch_execz .LBB321_151
; %bb.148:                              ;   in Loop: Header=BB321_9 Depth=1
	v_and_b32_e32 v1, 7, v1
	v_lshrrev_b32_e32 v9, 3, v10
	s_mov_b32 s33, exec_lo
	v_cmpx_gt_u32_e32 8, v10
; %bb.149:                              ;   in Loop: Header=BB321_9 Depth=1
	v_ffbh_u32_e32 v9, v1
	v_min_u32_e32 v9, 32, v9
	v_subrev_nc_u32_e32 v10, 28, v9
	v_sub_nc_u32_e32 v9, 29, v9
	v_lshlrev_b64 v[10:11], v10, v[1:2]
	v_and_b32_e32 v1, 7, v10
; %bb.150:                              ;   in Loop: Header=BB321_9 Depth=1
	s_or_b32 exec_lo, exec_lo, s33
	v_lshlrev_b32_e32 v0, 16, v0
	v_lshlrev_b32_e32 v1, 20, v1
	v_lshl_add_u32 v9, v9, 23, 0x3c000000
	v_and_b32_e32 v0, 0x80000000, v0
	v_or3_b32 v104, v1, v0, v9
.LBB321_151:                            ;   in Loop: Header=BB321_9 Depth=1
	s_or_b32 exec_lo, exec_lo, s31
.LBB321_152:                            ;   in Loop: Header=BB321_9 Depth=1
	s_or_b32 exec_lo, exec_lo, s30
.LBB321_153:                            ;   in Loop: Header=BB321_9 Depth=1
	s_or_b32 exec_lo, exec_lo, s3
	global_load_ushort v1, v[7:8], off offset:520
	v_mov_b32_e32 v106, 0
	v_mov_b32_e32 v105, 0
	s_waitcnt vmcnt(0)
	v_and_b32_e32 v0, 0xffff, v1
	v_cmp_ne_u16_sdwa s2, v1, v2 src0_sel:BYTE_0 src1_sel:DWORD
	s_and_saveexec_b32 s3, s2
	s_cbranch_execz .LBB321_161
; %bb.154:                              ;   in Loop: Header=BB321_9 Depth=1
	v_cmp_ne_u16_sdwa s2, v0, v84 src0_sel:BYTE_0 src1_sel:DWORD
	v_bfrev_b32_e32 v105, 1
	s_and_saveexec_b32 s30, s2
	s_cbranch_execz .LBB321_160
; %bb.155:                              ;   in Loop: Header=BB321_9 Depth=1
	v_and_b32_e32 v10, 0x7f, v0
	v_mov_b32_e32 v105, 0x7f800001
	s_mov_b32 s31, exec_lo
	v_cmpx_ne_u32_e32 0x7f, v10
	s_cbranch_execz .LBB321_159
; %bb.156:                              ;   in Loop: Header=BB321_9 Depth=1
	v_and_b32_e32 v1, 7, v0
	v_lshrrev_b32_e32 v9, 3, v10
	s_mov_b32 s33, exec_lo
	v_cmpx_gt_u32_e32 8, v10
; %bb.157:                              ;   in Loop: Header=BB321_9 Depth=1
	v_ffbh_u32_e32 v9, v1
	v_min_u32_e32 v9, 32, v9
	v_subrev_nc_u32_e32 v10, 28, v9
	v_sub_nc_u32_e32 v9, 29, v9
	v_lshlrev_b64 v[10:11], v10, v[1:2]
	v_and_b32_e32 v1, 7, v10
; %bb.158:                              ;   in Loop: Header=BB321_9 Depth=1
	s_or_b32 exec_lo, exec_lo, s33
	v_lshlrev_b32_e32 v10, 24, v0
	v_lshlrev_b32_e32 v1, 20, v1
	v_lshl_add_u32 v9, v9, 23, 0x3c000000
	v_and_b32_e32 v10, 0x80000000, v10
	v_or3_b32 v105, v1, v10, v9
.LBB321_159:                            ;   in Loop: Header=BB321_9 Depth=1
	s_or_b32 exec_lo, exec_lo, s31
.LBB321_160:                            ;   in Loop: Header=BB321_9 Depth=1
	s_or_b32 exec_lo, exec_lo, s30
.LBB321_161:                            ;   in Loop: Header=BB321_9 Depth=1
	s_or_b32 exec_lo, exec_lo, s3
	v_cmp_ne_u16_sdwa s2, v0, v2 src0_sel:BYTE_1 src1_sel:DWORD
	s_and_saveexec_b32 s3, s2
	s_cbranch_execz .LBB321_169
; %bb.162:                              ;   in Loop: Header=BB321_9 Depth=1
	v_cmp_ne_u16_sdwa s2, v0, v84 src0_sel:BYTE_1 src1_sel:DWORD
	v_bfrev_b32_e32 v106, 1
	s_and_saveexec_b32 s30, s2
	s_cbranch_execz .LBB321_168
; %bb.163:                              ;   in Loop: Header=BB321_9 Depth=1
	v_and_b32_sdwa v1, v85, v0 dst_sel:DWORD dst_unused:UNUSED_PAD src0_sel:DWORD src1_sel:BYTE_1
	v_mov_b32_e32 v106, 0x7f800001
	s_mov_b32 s31, exec_lo
	v_and_b32_e32 v10, 0x7f, v1
	v_cmpx_ne_u32_e32 0x7f, v10
	s_cbranch_execz .LBB321_167
; %bb.164:                              ;   in Loop: Header=BB321_9 Depth=1
	v_and_b32_e32 v1, 7, v1
	v_lshrrev_b32_e32 v9, 3, v10
	s_mov_b32 s33, exec_lo
	v_cmpx_gt_u32_e32 8, v10
; %bb.165:                              ;   in Loop: Header=BB321_9 Depth=1
	v_ffbh_u32_e32 v9, v1
	v_min_u32_e32 v9, 32, v9
	v_subrev_nc_u32_e32 v10, 28, v9
	v_sub_nc_u32_e32 v9, 29, v9
	v_lshlrev_b64 v[10:11], v10, v[1:2]
	v_and_b32_e32 v1, 7, v10
; %bb.166:                              ;   in Loop: Header=BB321_9 Depth=1
	s_or_b32 exec_lo, exec_lo, s33
	v_lshlrev_b32_e32 v0, 16, v0
	v_lshlrev_b32_e32 v1, 20, v1
	v_lshl_add_u32 v9, v9, 23, 0x3c000000
	v_and_b32_e32 v0, 0x80000000, v0
	v_or3_b32 v106, v1, v0, v9
.LBB321_167:                            ;   in Loop: Header=BB321_9 Depth=1
	s_or_b32 exec_lo, exec_lo, s31
.LBB321_168:                            ;   in Loop: Header=BB321_9 Depth=1
	s_or_b32 exec_lo, exec_lo, s30
.LBB321_169:                            ;   in Loop: Header=BB321_9 Depth=1
	s_or_b32 exec_lo, exec_lo, s3
	global_load_ushort v1, v[7:8], off offset:640
	v_mov_b32_e32 v108, 0
	v_mov_b32_e32 v107, 0
	s_waitcnt vmcnt(0)
	v_and_b32_e32 v0, 0xffff, v1
	v_cmp_ne_u16_sdwa s2, v1, v2 src0_sel:BYTE_0 src1_sel:DWORD
	s_and_saveexec_b32 s3, s2
	s_cbranch_execz .LBB321_177
; %bb.170:                              ;   in Loop: Header=BB321_9 Depth=1
	v_cmp_ne_u16_sdwa s2, v0, v84 src0_sel:BYTE_0 src1_sel:DWORD
	v_bfrev_b32_e32 v107, 1
	s_and_saveexec_b32 s30, s2
	s_cbranch_execz .LBB321_176
; %bb.171:                              ;   in Loop: Header=BB321_9 Depth=1
	v_and_b32_e32 v10, 0x7f, v0
	v_mov_b32_e32 v107, 0x7f800001
	s_mov_b32 s31, exec_lo
	v_cmpx_ne_u32_e32 0x7f, v10
	s_cbranch_execz .LBB321_175
; %bb.172:                              ;   in Loop: Header=BB321_9 Depth=1
	v_and_b32_e32 v1, 7, v0
	v_lshrrev_b32_e32 v9, 3, v10
	s_mov_b32 s33, exec_lo
	v_cmpx_gt_u32_e32 8, v10
; %bb.173:                              ;   in Loop: Header=BB321_9 Depth=1
	v_ffbh_u32_e32 v9, v1
	v_min_u32_e32 v9, 32, v9
	v_subrev_nc_u32_e32 v10, 28, v9
	v_sub_nc_u32_e32 v9, 29, v9
	v_lshlrev_b64 v[10:11], v10, v[1:2]
	v_and_b32_e32 v1, 7, v10
; %bb.174:                              ;   in Loop: Header=BB321_9 Depth=1
	s_or_b32 exec_lo, exec_lo, s33
	v_lshlrev_b32_e32 v10, 24, v0
	v_lshlrev_b32_e32 v1, 20, v1
	v_lshl_add_u32 v9, v9, 23, 0x3c000000
	v_and_b32_e32 v10, 0x80000000, v10
	v_or3_b32 v107, v1, v10, v9
.LBB321_175:                            ;   in Loop: Header=BB321_9 Depth=1
	s_or_b32 exec_lo, exec_lo, s31
.LBB321_176:                            ;   in Loop: Header=BB321_9 Depth=1
	s_or_b32 exec_lo, exec_lo, s30
.LBB321_177:                            ;   in Loop: Header=BB321_9 Depth=1
	s_or_b32 exec_lo, exec_lo, s3
	v_cmp_ne_u16_sdwa s2, v0, v2 src0_sel:BYTE_1 src1_sel:DWORD
	s_and_saveexec_b32 s3, s2
	s_cbranch_execz .LBB321_185
; %bb.178:                              ;   in Loop: Header=BB321_9 Depth=1
	v_cmp_ne_u16_sdwa s2, v0, v84 src0_sel:BYTE_1 src1_sel:DWORD
	v_bfrev_b32_e32 v108, 1
	s_and_saveexec_b32 s30, s2
	s_cbranch_execz .LBB321_184
; %bb.179:                              ;   in Loop: Header=BB321_9 Depth=1
	v_and_b32_sdwa v1, v85, v0 dst_sel:DWORD dst_unused:UNUSED_PAD src0_sel:DWORD src1_sel:BYTE_1
	v_mov_b32_e32 v108, 0x7f800001
	s_mov_b32 s31, exec_lo
	v_and_b32_e32 v10, 0x7f, v1
	v_cmpx_ne_u32_e32 0x7f, v10
	s_cbranch_execz .LBB321_183
; %bb.180:                              ;   in Loop: Header=BB321_9 Depth=1
	v_and_b32_e32 v1, 7, v1
	v_lshrrev_b32_e32 v9, 3, v10
	s_mov_b32 s33, exec_lo
	v_cmpx_gt_u32_e32 8, v10
; %bb.181:                              ;   in Loop: Header=BB321_9 Depth=1
	v_ffbh_u32_e32 v9, v1
	v_min_u32_e32 v9, 32, v9
	v_subrev_nc_u32_e32 v10, 28, v9
	v_sub_nc_u32_e32 v9, 29, v9
	v_lshlrev_b64 v[10:11], v10, v[1:2]
	v_and_b32_e32 v1, 7, v10
; %bb.182:                              ;   in Loop: Header=BB321_9 Depth=1
	s_or_b32 exec_lo, exec_lo, s33
	v_lshlrev_b32_e32 v0, 16, v0
	v_lshlrev_b32_e32 v1, 20, v1
	v_lshl_add_u32 v9, v9, 23, 0x3c000000
	v_and_b32_e32 v0, 0x80000000, v0
	v_or3_b32 v108, v1, v0, v9
.LBB321_183:                            ;   in Loop: Header=BB321_9 Depth=1
	s_or_b32 exec_lo, exec_lo, s31
.LBB321_184:                            ;   in Loop: Header=BB321_9 Depth=1
	s_or_b32 exec_lo, exec_lo, s30
.LBB321_185:                            ;   in Loop: Header=BB321_9 Depth=1
	s_or_b32 exec_lo, exec_lo, s3
	global_load_ushort v1, v[7:8], off offset:648
	v_mov_b32_e32 v110, 0
	v_mov_b32_e32 v109, 0
	s_waitcnt vmcnt(0)
	v_and_b32_e32 v0, 0xffff, v1
	v_cmp_ne_u16_sdwa s2, v1, v2 src0_sel:BYTE_0 src1_sel:DWORD
	s_and_saveexec_b32 s3, s2
	s_cbranch_execz .LBB321_193
; %bb.186:                              ;   in Loop: Header=BB321_9 Depth=1
	v_cmp_ne_u16_sdwa s2, v0, v84 src0_sel:BYTE_0 src1_sel:DWORD
	v_bfrev_b32_e32 v109, 1
	s_and_saveexec_b32 s30, s2
	s_cbranch_execz .LBB321_192
; %bb.187:                              ;   in Loop: Header=BB321_9 Depth=1
	v_and_b32_e32 v10, 0x7f, v0
	v_mov_b32_e32 v109, 0x7f800001
	s_mov_b32 s31, exec_lo
	v_cmpx_ne_u32_e32 0x7f, v10
	s_cbranch_execz .LBB321_191
; %bb.188:                              ;   in Loop: Header=BB321_9 Depth=1
	v_and_b32_e32 v1, 7, v0
	v_lshrrev_b32_e32 v9, 3, v10
	s_mov_b32 s33, exec_lo
	v_cmpx_gt_u32_e32 8, v10
; %bb.189:                              ;   in Loop: Header=BB321_9 Depth=1
	v_ffbh_u32_e32 v9, v1
	v_min_u32_e32 v9, 32, v9
	v_subrev_nc_u32_e32 v10, 28, v9
	v_sub_nc_u32_e32 v9, 29, v9
	v_lshlrev_b64 v[10:11], v10, v[1:2]
	v_and_b32_e32 v1, 7, v10
; %bb.190:                              ;   in Loop: Header=BB321_9 Depth=1
	s_or_b32 exec_lo, exec_lo, s33
	v_lshlrev_b32_e32 v10, 24, v0
	v_lshlrev_b32_e32 v1, 20, v1
	v_lshl_add_u32 v9, v9, 23, 0x3c000000
	v_and_b32_e32 v10, 0x80000000, v10
	v_or3_b32 v109, v1, v10, v9
.LBB321_191:                            ;   in Loop: Header=BB321_9 Depth=1
	s_or_b32 exec_lo, exec_lo, s31
.LBB321_192:                            ;   in Loop: Header=BB321_9 Depth=1
	s_or_b32 exec_lo, exec_lo, s30
.LBB321_193:                            ;   in Loop: Header=BB321_9 Depth=1
	s_or_b32 exec_lo, exec_lo, s3
	v_cmp_ne_u16_sdwa s2, v0, v2 src0_sel:BYTE_1 src1_sel:DWORD
	s_and_saveexec_b32 s3, s2
	s_cbranch_execz .LBB321_201
; %bb.194:                              ;   in Loop: Header=BB321_9 Depth=1
	v_cmp_ne_u16_sdwa s2, v0, v84 src0_sel:BYTE_1 src1_sel:DWORD
	v_bfrev_b32_e32 v110, 1
	s_and_saveexec_b32 s30, s2
	s_cbranch_execz .LBB321_200
; %bb.195:                              ;   in Loop: Header=BB321_9 Depth=1
	v_and_b32_sdwa v1, v85, v0 dst_sel:DWORD dst_unused:UNUSED_PAD src0_sel:DWORD src1_sel:BYTE_1
	v_mov_b32_e32 v110, 0x7f800001
	s_mov_b32 s31, exec_lo
	v_and_b32_e32 v10, 0x7f, v1
	v_cmpx_ne_u32_e32 0x7f, v10
	s_cbranch_execz .LBB321_199
; %bb.196:                              ;   in Loop: Header=BB321_9 Depth=1
	v_and_b32_e32 v1, 7, v1
	v_lshrrev_b32_e32 v9, 3, v10
	s_mov_b32 s33, exec_lo
	v_cmpx_gt_u32_e32 8, v10
; %bb.197:                              ;   in Loop: Header=BB321_9 Depth=1
	v_ffbh_u32_e32 v9, v1
	v_min_u32_e32 v9, 32, v9
	v_subrev_nc_u32_e32 v10, 28, v9
	v_sub_nc_u32_e32 v9, 29, v9
	v_lshlrev_b64 v[10:11], v10, v[1:2]
	v_and_b32_e32 v1, 7, v10
; %bb.198:                              ;   in Loop: Header=BB321_9 Depth=1
	s_or_b32 exec_lo, exec_lo, s33
	v_lshlrev_b32_e32 v0, 16, v0
	v_lshlrev_b32_e32 v1, 20, v1
	v_lshl_add_u32 v9, v9, 23, 0x3c000000
	v_and_b32_e32 v0, 0x80000000, v0
	v_or3_b32 v110, v1, v0, v9
.LBB321_199:                            ;   in Loop: Header=BB321_9 Depth=1
	s_or_b32 exec_lo, exec_lo, s31
.LBB321_200:                            ;   in Loop: Header=BB321_9 Depth=1
	s_or_b32 exec_lo, exec_lo, s30
.LBB321_201:                            ;   in Loop: Header=BB321_9 Depth=1
	s_or_b32 exec_lo, exec_lo, s3
	global_load_ushort v1, v[7:8], off offset:768
	v_mov_b32_e32 v112, 0
	v_mov_b32_e32 v111, 0
	s_waitcnt vmcnt(0)
	v_and_b32_e32 v0, 0xffff, v1
	v_cmp_ne_u16_sdwa s2, v1, v2 src0_sel:BYTE_0 src1_sel:DWORD
	s_and_saveexec_b32 s3, s2
	s_cbranch_execz .LBB321_209
; %bb.202:                              ;   in Loop: Header=BB321_9 Depth=1
	v_cmp_ne_u16_sdwa s2, v0, v84 src0_sel:BYTE_0 src1_sel:DWORD
	v_bfrev_b32_e32 v111, 1
	s_and_saveexec_b32 s30, s2
	s_cbranch_execz .LBB321_208
; %bb.203:                              ;   in Loop: Header=BB321_9 Depth=1
	v_and_b32_e32 v10, 0x7f, v0
	v_mov_b32_e32 v111, 0x7f800001
	s_mov_b32 s31, exec_lo
	v_cmpx_ne_u32_e32 0x7f, v10
	s_cbranch_execz .LBB321_207
; %bb.204:                              ;   in Loop: Header=BB321_9 Depth=1
	v_and_b32_e32 v1, 7, v0
	v_lshrrev_b32_e32 v9, 3, v10
	s_mov_b32 s33, exec_lo
	v_cmpx_gt_u32_e32 8, v10
; %bb.205:                              ;   in Loop: Header=BB321_9 Depth=1
	v_ffbh_u32_e32 v9, v1
	v_min_u32_e32 v9, 32, v9
	v_subrev_nc_u32_e32 v10, 28, v9
	v_sub_nc_u32_e32 v9, 29, v9
	v_lshlrev_b64 v[10:11], v10, v[1:2]
	v_and_b32_e32 v1, 7, v10
; %bb.206:                              ;   in Loop: Header=BB321_9 Depth=1
	s_or_b32 exec_lo, exec_lo, s33
	v_lshlrev_b32_e32 v10, 24, v0
	v_lshlrev_b32_e32 v1, 20, v1
	v_lshl_add_u32 v9, v9, 23, 0x3c000000
	v_and_b32_e32 v10, 0x80000000, v10
	v_or3_b32 v111, v1, v10, v9
.LBB321_207:                            ;   in Loop: Header=BB321_9 Depth=1
	s_or_b32 exec_lo, exec_lo, s31
.LBB321_208:                            ;   in Loop: Header=BB321_9 Depth=1
	s_or_b32 exec_lo, exec_lo, s30
.LBB321_209:                            ;   in Loop: Header=BB321_9 Depth=1
	s_or_b32 exec_lo, exec_lo, s3
	v_cmp_ne_u16_sdwa s2, v0, v2 src0_sel:BYTE_1 src1_sel:DWORD
	s_and_saveexec_b32 s3, s2
	s_cbranch_execz .LBB321_217
; %bb.210:                              ;   in Loop: Header=BB321_9 Depth=1
	v_cmp_ne_u16_sdwa s2, v0, v84 src0_sel:BYTE_1 src1_sel:DWORD
	v_bfrev_b32_e32 v112, 1
	s_and_saveexec_b32 s30, s2
	s_cbranch_execz .LBB321_216
; %bb.211:                              ;   in Loop: Header=BB321_9 Depth=1
	v_and_b32_sdwa v1, v85, v0 dst_sel:DWORD dst_unused:UNUSED_PAD src0_sel:DWORD src1_sel:BYTE_1
	v_mov_b32_e32 v112, 0x7f800001
	s_mov_b32 s31, exec_lo
	v_and_b32_e32 v10, 0x7f, v1
	v_cmpx_ne_u32_e32 0x7f, v10
	s_cbranch_execz .LBB321_215
; %bb.212:                              ;   in Loop: Header=BB321_9 Depth=1
	v_and_b32_e32 v1, 7, v1
	v_lshrrev_b32_e32 v9, 3, v10
	s_mov_b32 s33, exec_lo
	v_cmpx_gt_u32_e32 8, v10
; %bb.213:                              ;   in Loop: Header=BB321_9 Depth=1
	v_ffbh_u32_e32 v9, v1
	v_min_u32_e32 v9, 32, v9
	v_subrev_nc_u32_e32 v10, 28, v9
	v_sub_nc_u32_e32 v9, 29, v9
	v_lshlrev_b64 v[10:11], v10, v[1:2]
	v_and_b32_e32 v1, 7, v10
; %bb.214:                              ;   in Loop: Header=BB321_9 Depth=1
	s_or_b32 exec_lo, exec_lo, s33
	v_lshlrev_b32_e32 v0, 16, v0
	v_lshlrev_b32_e32 v1, 20, v1
	v_lshl_add_u32 v9, v9, 23, 0x3c000000
	v_and_b32_e32 v0, 0x80000000, v0
	v_or3_b32 v112, v1, v0, v9
.LBB321_215:                            ;   in Loop: Header=BB321_9 Depth=1
	s_or_b32 exec_lo, exec_lo, s31
.LBB321_216:                            ;   in Loop: Header=BB321_9 Depth=1
	s_or_b32 exec_lo, exec_lo, s30
.LBB321_217:                            ;   in Loop: Header=BB321_9 Depth=1
	s_or_b32 exec_lo, exec_lo, s3
	global_load_ushort v1, v[7:8], off offset:776
	v_mov_b32_e32 v114, 0
	v_mov_b32_e32 v113, 0
	s_waitcnt vmcnt(0)
	v_and_b32_e32 v0, 0xffff, v1
	v_cmp_ne_u16_sdwa s2, v1, v2 src0_sel:BYTE_0 src1_sel:DWORD
	s_and_saveexec_b32 s3, s2
	s_cbranch_execz .LBB321_225
; %bb.218:                              ;   in Loop: Header=BB321_9 Depth=1
	v_cmp_ne_u16_sdwa s2, v0, v84 src0_sel:BYTE_0 src1_sel:DWORD
	v_bfrev_b32_e32 v113, 1
	s_and_saveexec_b32 s30, s2
	s_cbranch_execz .LBB321_224
; %bb.219:                              ;   in Loop: Header=BB321_9 Depth=1
	v_and_b32_e32 v10, 0x7f, v0
	v_mov_b32_e32 v113, 0x7f800001
	s_mov_b32 s31, exec_lo
	v_cmpx_ne_u32_e32 0x7f, v10
	s_cbranch_execz .LBB321_223
; %bb.220:                              ;   in Loop: Header=BB321_9 Depth=1
	v_and_b32_e32 v1, 7, v0
	v_lshrrev_b32_e32 v9, 3, v10
	s_mov_b32 s33, exec_lo
	v_cmpx_gt_u32_e32 8, v10
; %bb.221:                              ;   in Loop: Header=BB321_9 Depth=1
	v_ffbh_u32_e32 v9, v1
	v_min_u32_e32 v9, 32, v9
	v_subrev_nc_u32_e32 v10, 28, v9
	v_sub_nc_u32_e32 v9, 29, v9
	v_lshlrev_b64 v[10:11], v10, v[1:2]
	v_and_b32_e32 v1, 7, v10
; %bb.222:                              ;   in Loop: Header=BB321_9 Depth=1
	s_or_b32 exec_lo, exec_lo, s33
	v_lshlrev_b32_e32 v10, 24, v0
	v_lshlrev_b32_e32 v1, 20, v1
	v_lshl_add_u32 v9, v9, 23, 0x3c000000
	v_and_b32_e32 v10, 0x80000000, v10
	v_or3_b32 v113, v1, v10, v9
.LBB321_223:                            ;   in Loop: Header=BB321_9 Depth=1
	s_or_b32 exec_lo, exec_lo, s31
.LBB321_224:                            ;   in Loop: Header=BB321_9 Depth=1
	s_or_b32 exec_lo, exec_lo, s30
.LBB321_225:                            ;   in Loop: Header=BB321_9 Depth=1
	s_or_b32 exec_lo, exec_lo, s3
	v_cmp_ne_u16_sdwa s2, v0, v2 src0_sel:BYTE_1 src1_sel:DWORD
	s_and_saveexec_b32 s3, s2
	s_cbranch_execz .LBB321_233
; %bb.226:                              ;   in Loop: Header=BB321_9 Depth=1
	v_cmp_ne_u16_sdwa s2, v0, v84 src0_sel:BYTE_1 src1_sel:DWORD
	v_bfrev_b32_e32 v114, 1
	s_and_saveexec_b32 s30, s2
	s_cbranch_execz .LBB321_232
; %bb.227:                              ;   in Loop: Header=BB321_9 Depth=1
	v_and_b32_sdwa v1, v85, v0 dst_sel:DWORD dst_unused:UNUSED_PAD src0_sel:DWORD src1_sel:BYTE_1
	v_mov_b32_e32 v114, 0x7f800001
	s_mov_b32 s31, exec_lo
	v_and_b32_e32 v10, 0x7f, v1
	v_cmpx_ne_u32_e32 0x7f, v10
	s_cbranch_execz .LBB321_231
; %bb.228:                              ;   in Loop: Header=BB321_9 Depth=1
	v_and_b32_e32 v1, 7, v1
	v_lshrrev_b32_e32 v9, 3, v10
	s_mov_b32 s33, exec_lo
	v_cmpx_gt_u32_e32 8, v10
; %bb.229:                              ;   in Loop: Header=BB321_9 Depth=1
	v_ffbh_u32_e32 v9, v1
	v_min_u32_e32 v9, 32, v9
	v_subrev_nc_u32_e32 v10, 28, v9
	v_sub_nc_u32_e32 v9, 29, v9
	v_lshlrev_b64 v[10:11], v10, v[1:2]
	v_and_b32_e32 v1, 7, v10
; %bb.230:                              ;   in Loop: Header=BB321_9 Depth=1
	s_or_b32 exec_lo, exec_lo, s33
	v_lshlrev_b32_e32 v0, 16, v0
	v_lshlrev_b32_e32 v1, 20, v1
	v_lshl_add_u32 v9, v9, 23, 0x3c000000
	v_and_b32_e32 v0, 0x80000000, v0
	v_or3_b32 v114, v1, v0, v9
.LBB321_231:                            ;   in Loop: Header=BB321_9 Depth=1
	s_or_b32 exec_lo, exec_lo, s31
.LBB321_232:                            ;   in Loop: Header=BB321_9 Depth=1
	s_or_b32 exec_lo, exec_lo, s30
.LBB321_233:                            ;   in Loop: Header=BB321_9 Depth=1
	s_or_b32 exec_lo, exec_lo, s3
	global_load_ushort v1, v[7:8], off offset:896
	v_mov_b32_e32 v116, 0
	v_mov_b32_e32 v115, 0
	s_waitcnt vmcnt(0)
	v_and_b32_e32 v0, 0xffff, v1
	v_cmp_ne_u16_sdwa s2, v1, v2 src0_sel:BYTE_0 src1_sel:DWORD
	s_and_saveexec_b32 s3, s2
	s_cbranch_execz .LBB321_241
; %bb.234:                              ;   in Loop: Header=BB321_9 Depth=1
	v_cmp_ne_u16_sdwa s2, v0, v84 src0_sel:BYTE_0 src1_sel:DWORD
	v_bfrev_b32_e32 v115, 1
	s_and_saveexec_b32 s30, s2
	s_cbranch_execz .LBB321_240
; %bb.235:                              ;   in Loop: Header=BB321_9 Depth=1
	v_and_b32_e32 v10, 0x7f, v0
	v_mov_b32_e32 v115, 0x7f800001
	s_mov_b32 s31, exec_lo
	v_cmpx_ne_u32_e32 0x7f, v10
	s_cbranch_execz .LBB321_239
; %bb.236:                              ;   in Loop: Header=BB321_9 Depth=1
	v_and_b32_e32 v1, 7, v0
	v_lshrrev_b32_e32 v9, 3, v10
	s_mov_b32 s33, exec_lo
	v_cmpx_gt_u32_e32 8, v10
; %bb.237:                              ;   in Loop: Header=BB321_9 Depth=1
	v_ffbh_u32_e32 v9, v1
	v_min_u32_e32 v9, 32, v9
	v_subrev_nc_u32_e32 v10, 28, v9
	v_sub_nc_u32_e32 v9, 29, v9
	v_lshlrev_b64 v[10:11], v10, v[1:2]
	v_and_b32_e32 v1, 7, v10
; %bb.238:                              ;   in Loop: Header=BB321_9 Depth=1
	s_or_b32 exec_lo, exec_lo, s33
	v_lshlrev_b32_e32 v10, 24, v0
	v_lshlrev_b32_e32 v1, 20, v1
	v_lshl_add_u32 v9, v9, 23, 0x3c000000
	v_and_b32_e32 v10, 0x80000000, v10
	v_or3_b32 v115, v1, v10, v9
.LBB321_239:                            ;   in Loop: Header=BB321_9 Depth=1
	s_or_b32 exec_lo, exec_lo, s31
.LBB321_240:                            ;   in Loop: Header=BB321_9 Depth=1
	s_or_b32 exec_lo, exec_lo, s30
.LBB321_241:                            ;   in Loop: Header=BB321_9 Depth=1
	s_or_b32 exec_lo, exec_lo, s3
	v_cmp_ne_u16_sdwa s2, v0, v2 src0_sel:BYTE_1 src1_sel:DWORD
	s_and_saveexec_b32 s3, s2
	s_cbranch_execz .LBB321_249
; %bb.242:                              ;   in Loop: Header=BB321_9 Depth=1
	v_cmp_ne_u16_sdwa s2, v0, v84 src0_sel:BYTE_1 src1_sel:DWORD
	v_bfrev_b32_e32 v116, 1
	s_and_saveexec_b32 s30, s2
	s_cbranch_execz .LBB321_248
; %bb.243:                              ;   in Loop: Header=BB321_9 Depth=1
	v_and_b32_sdwa v1, v85, v0 dst_sel:DWORD dst_unused:UNUSED_PAD src0_sel:DWORD src1_sel:BYTE_1
	v_mov_b32_e32 v116, 0x7f800001
	s_mov_b32 s31, exec_lo
	v_and_b32_e32 v10, 0x7f, v1
	v_cmpx_ne_u32_e32 0x7f, v10
	s_cbranch_execz .LBB321_247
; %bb.244:                              ;   in Loop: Header=BB321_9 Depth=1
	v_and_b32_e32 v1, 7, v1
	v_lshrrev_b32_e32 v9, 3, v10
	s_mov_b32 s33, exec_lo
	v_cmpx_gt_u32_e32 8, v10
; %bb.245:                              ;   in Loop: Header=BB321_9 Depth=1
	v_ffbh_u32_e32 v9, v1
	v_min_u32_e32 v9, 32, v9
	v_subrev_nc_u32_e32 v10, 28, v9
	v_sub_nc_u32_e32 v9, 29, v9
	v_lshlrev_b64 v[10:11], v10, v[1:2]
	v_and_b32_e32 v1, 7, v10
; %bb.246:                              ;   in Loop: Header=BB321_9 Depth=1
	s_or_b32 exec_lo, exec_lo, s33
	v_lshlrev_b32_e32 v0, 16, v0
	v_lshlrev_b32_e32 v1, 20, v1
	v_lshl_add_u32 v9, v9, 23, 0x3c000000
	v_and_b32_e32 v0, 0x80000000, v0
	v_or3_b32 v116, v1, v0, v9
.LBB321_247:                            ;   in Loop: Header=BB321_9 Depth=1
	s_or_b32 exec_lo, exec_lo, s31
.LBB321_248:                            ;   in Loop: Header=BB321_9 Depth=1
	s_or_b32 exec_lo, exec_lo, s30
.LBB321_249:                            ;   in Loop: Header=BB321_9 Depth=1
	s_or_b32 exec_lo, exec_lo, s3
	global_load_ushort v1, v[7:8], off offset:904
	v_mov_b32_e32 v118, 0
	v_mov_b32_e32 v117, 0
	s_waitcnt vmcnt(0)
	v_and_b32_e32 v0, 0xffff, v1
	v_cmp_ne_u16_sdwa s2, v1, v2 src0_sel:BYTE_0 src1_sel:DWORD
	s_and_saveexec_b32 s3, s2
	s_cbranch_execz .LBB321_257
; %bb.250:                              ;   in Loop: Header=BB321_9 Depth=1
	v_cmp_ne_u16_sdwa s2, v0, v84 src0_sel:BYTE_0 src1_sel:DWORD
	v_bfrev_b32_e32 v117, 1
	s_and_saveexec_b32 s30, s2
	s_cbranch_execz .LBB321_256
; %bb.251:                              ;   in Loop: Header=BB321_9 Depth=1
	v_and_b32_e32 v10, 0x7f, v0
	v_mov_b32_e32 v117, 0x7f800001
	s_mov_b32 s31, exec_lo
	v_cmpx_ne_u32_e32 0x7f, v10
	s_cbranch_execz .LBB321_255
; %bb.252:                              ;   in Loop: Header=BB321_9 Depth=1
	v_and_b32_e32 v1, 7, v0
	v_lshrrev_b32_e32 v9, 3, v10
	s_mov_b32 s33, exec_lo
	v_cmpx_gt_u32_e32 8, v10
; %bb.253:                              ;   in Loop: Header=BB321_9 Depth=1
	v_ffbh_u32_e32 v9, v1
	v_min_u32_e32 v9, 32, v9
	v_subrev_nc_u32_e32 v10, 28, v9
	v_sub_nc_u32_e32 v9, 29, v9
	v_lshlrev_b64 v[10:11], v10, v[1:2]
	v_and_b32_e32 v1, 7, v10
; %bb.254:                              ;   in Loop: Header=BB321_9 Depth=1
	s_or_b32 exec_lo, exec_lo, s33
	v_lshlrev_b32_e32 v10, 24, v0
	v_lshlrev_b32_e32 v1, 20, v1
	v_lshl_add_u32 v9, v9, 23, 0x3c000000
	v_and_b32_e32 v10, 0x80000000, v10
	v_or3_b32 v117, v1, v10, v9
.LBB321_255:                            ;   in Loop: Header=BB321_9 Depth=1
	s_or_b32 exec_lo, exec_lo, s31
.LBB321_256:                            ;   in Loop: Header=BB321_9 Depth=1
	s_or_b32 exec_lo, exec_lo, s30
.LBB321_257:                            ;   in Loop: Header=BB321_9 Depth=1
	s_or_b32 exec_lo, exec_lo, s3
	v_cmp_ne_u16_sdwa s2, v0, v2 src0_sel:BYTE_1 src1_sel:DWORD
	s_and_saveexec_b32 s3, s2
	s_cbranch_execz .LBB321_265
; %bb.258:                              ;   in Loop: Header=BB321_9 Depth=1
	v_cmp_ne_u16_sdwa s2, v0, v84 src0_sel:BYTE_1 src1_sel:DWORD
	v_bfrev_b32_e32 v118, 1
	s_and_saveexec_b32 s30, s2
	s_cbranch_execz .LBB321_264
; %bb.259:                              ;   in Loop: Header=BB321_9 Depth=1
	v_and_b32_sdwa v1, v85, v0 dst_sel:DWORD dst_unused:UNUSED_PAD src0_sel:DWORD src1_sel:BYTE_1
	v_mov_b32_e32 v118, 0x7f800001
	s_mov_b32 s31, exec_lo
	v_and_b32_e32 v10, 0x7f, v1
	v_cmpx_ne_u32_e32 0x7f, v10
	s_cbranch_execz .LBB321_263
; %bb.260:                              ;   in Loop: Header=BB321_9 Depth=1
	v_and_b32_e32 v1, 7, v1
	v_lshrrev_b32_e32 v9, 3, v10
	s_mov_b32 s33, exec_lo
	v_cmpx_gt_u32_e32 8, v10
; %bb.261:                              ;   in Loop: Header=BB321_9 Depth=1
	v_ffbh_u32_e32 v9, v1
	v_min_u32_e32 v9, 32, v9
	v_subrev_nc_u32_e32 v10, 28, v9
	v_sub_nc_u32_e32 v9, 29, v9
	v_lshlrev_b64 v[10:11], v10, v[1:2]
	v_and_b32_e32 v1, 7, v10
; %bb.262:                              ;   in Loop: Header=BB321_9 Depth=1
	s_or_b32 exec_lo, exec_lo, s33
	v_lshlrev_b32_e32 v0, 16, v0
	v_lshlrev_b32_e32 v1, 20, v1
	v_lshl_add_u32 v9, v9, 23, 0x3c000000
	v_and_b32_e32 v0, 0x80000000, v0
	v_or3_b32 v118, v1, v0, v9
.LBB321_263:                            ;   in Loop: Header=BB321_9 Depth=1
	s_or_b32 exec_lo, exec_lo, s31
.LBB321_264:                            ;   in Loop: Header=BB321_9 Depth=1
	s_or_b32 exec_lo, exec_lo, s30
.LBB321_265:                            ;   in Loop: Header=BB321_9 Depth=1
	s_or_b32 exec_lo, exec_lo, s3
	global_load_ushort v1, v[7:8], off offset:1024
	v_mov_b32_e32 v120, 0
	v_mov_b32_e32 v119, 0
	s_waitcnt vmcnt(0)
	v_and_b32_e32 v0, 0xffff, v1
	v_cmp_ne_u16_sdwa s2, v1, v2 src0_sel:BYTE_0 src1_sel:DWORD
	s_and_saveexec_b32 s3, s2
	s_cbranch_execz .LBB321_273
; %bb.266:                              ;   in Loop: Header=BB321_9 Depth=1
	v_cmp_ne_u16_sdwa s2, v0, v84 src0_sel:BYTE_0 src1_sel:DWORD
	v_bfrev_b32_e32 v119, 1
	s_and_saveexec_b32 s30, s2
	s_cbranch_execz .LBB321_272
; %bb.267:                              ;   in Loop: Header=BB321_9 Depth=1
	v_and_b32_e32 v10, 0x7f, v0
	v_mov_b32_e32 v119, 0x7f800001
	s_mov_b32 s31, exec_lo
	v_cmpx_ne_u32_e32 0x7f, v10
	s_cbranch_execz .LBB321_271
; %bb.268:                              ;   in Loop: Header=BB321_9 Depth=1
	v_and_b32_e32 v1, 7, v0
	v_lshrrev_b32_e32 v9, 3, v10
	s_mov_b32 s33, exec_lo
	v_cmpx_gt_u32_e32 8, v10
; %bb.269:                              ;   in Loop: Header=BB321_9 Depth=1
	v_ffbh_u32_e32 v9, v1
	v_min_u32_e32 v9, 32, v9
	v_subrev_nc_u32_e32 v10, 28, v9
	v_sub_nc_u32_e32 v9, 29, v9
	v_lshlrev_b64 v[10:11], v10, v[1:2]
	v_and_b32_e32 v1, 7, v10
; %bb.270:                              ;   in Loop: Header=BB321_9 Depth=1
	s_or_b32 exec_lo, exec_lo, s33
	v_lshlrev_b32_e32 v10, 24, v0
	v_lshlrev_b32_e32 v1, 20, v1
	v_lshl_add_u32 v9, v9, 23, 0x3c000000
	v_and_b32_e32 v10, 0x80000000, v10
	v_or3_b32 v119, v1, v10, v9
.LBB321_271:                            ;   in Loop: Header=BB321_9 Depth=1
	s_or_b32 exec_lo, exec_lo, s31
.LBB321_272:                            ;   in Loop: Header=BB321_9 Depth=1
	s_or_b32 exec_lo, exec_lo, s30
.LBB321_273:                            ;   in Loop: Header=BB321_9 Depth=1
	s_or_b32 exec_lo, exec_lo, s3
	v_cmp_ne_u16_sdwa s2, v0, v2 src0_sel:BYTE_1 src1_sel:DWORD
	s_and_saveexec_b32 s3, s2
	s_cbranch_execz .LBB321_281
; %bb.274:                              ;   in Loop: Header=BB321_9 Depth=1
	v_cmp_ne_u16_sdwa s2, v0, v84 src0_sel:BYTE_1 src1_sel:DWORD
	v_bfrev_b32_e32 v120, 1
	s_and_saveexec_b32 s30, s2
	s_cbranch_execz .LBB321_280
; %bb.275:                              ;   in Loop: Header=BB321_9 Depth=1
	v_and_b32_sdwa v1, v85, v0 dst_sel:DWORD dst_unused:UNUSED_PAD src0_sel:DWORD src1_sel:BYTE_1
	v_mov_b32_e32 v120, 0x7f800001
	s_mov_b32 s31, exec_lo
	v_and_b32_e32 v10, 0x7f, v1
	v_cmpx_ne_u32_e32 0x7f, v10
	s_cbranch_execz .LBB321_279
; %bb.276:                              ;   in Loop: Header=BB321_9 Depth=1
	v_and_b32_e32 v1, 7, v1
	v_lshrrev_b32_e32 v9, 3, v10
	s_mov_b32 s33, exec_lo
	v_cmpx_gt_u32_e32 8, v10
; %bb.277:                              ;   in Loop: Header=BB321_9 Depth=1
	v_ffbh_u32_e32 v9, v1
	v_min_u32_e32 v9, 32, v9
	v_subrev_nc_u32_e32 v10, 28, v9
	v_sub_nc_u32_e32 v9, 29, v9
	v_lshlrev_b64 v[10:11], v10, v[1:2]
	v_and_b32_e32 v1, 7, v10
; %bb.278:                              ;   in Loop: Header=BB321_9 Depth=1
	s_or_b32 exec_lo, exec_lo, s33
	v_lshlrev_b32_e32 v0, 16, v0
	v_lshlrev_b32_e32 v1, 20, v1
	v_lshl_add_u32 v9, v9, 23, 0x3c000000
	v_and_b32_e32 v0, 0x80000000, v0
	v_or3_b32 v120, v1, v0, v9
.LBB321_279:                            ;   in Loop: Header=BB321_9 Depth=1
	s_or_b32 exec_lo, exec_lo, s31
.LBB321_280:                            ;   in Loop: Header=BB321_9 Depth=1
	s_or_b32 exec_lo, exec_lo, s30
.LBB321_281:                            ;   in Loop: Header=BB321_9 Depth=1
	s_or_b32 exec_lo, exec_lo, s3
	global_load_ushort v1, v[7:8], off offset:1032
	v_mov_b32_e32 v122, 0
	v_mov_b32_e32 v121, 0
	s_waitcnt vmcnt(0)
	v_and_b32_e32 v0, 0xffff, v1
	v_cmp_ne_u16_sdwa s2, v1, v2 src0_sel:BYTE_0 src1_sel:DWORD
	s_and_saveexec_b32 s3, s2
	s_cbranch_execz .LBB321_289
; %bb.282:                              ;   in Loop: Header=BB321_9 Depth=1
	v_cmp_ne_u16_sdwa s2, v0, v84 src0_sel:BYTE_0 src1_sel:DWORD
	v_bfrev_b32_e32 v121, 1
	s_and_saveexec_b32 s30, s2
	s_cbranch_execz .LBB321_288
; %bb.283:                              ;   in Loop: Header=BB321_9 Depth=1
	v_and_b32_e32 v10, 0x7f, v0
	v_mov_b32_e32 v121, 0x7f800001
	s_mov_b32 s31, exec_lo
	v_cmpx_ne_u32_e32 0x7f, v10
	s_cbranch_execz .LBB321_287
; %bb.284:                              ;   in Loop: Header=BB321_9 Depth=1
	v_and_b32_e32 v1, 7, v0
	v_lshrrev_b32_e32 v9, 3, v10
	s_mov_b32 s33, exec_lo
	v_cmpx_gt_u32_e32 8, v10
; %bb.285:                              ;   in Loop: Header=BB321_9 Depth=1
	v_ffbh_u32_e32 v9, v1
	v_min_u32_e32 v9, 32, v9
	v_subrev_nc_u32_e32 v10, 28, v9
	v_sub_nc_u32_e32 v9, 29, v9
	v_lshlrev_b64 v[10:11], v10, v[1:2]
	v_and_b32_e32 v1, 7, v10
; %bb.286:                              ;   in Loop: Header=BB321_9 Depth=1
	s_or_b32 exec_lo, exec_lo, s33
	v_lshlrev_b32_e32 v10, 24, v0
	v_lshlrev_b32_e32 v1, 20, v1
	v_lshl_add_u32 v9, v9, 23, 0x3c000000
	v_and_b32_e32 v10, 0x80000000, v10
	v_or3_b32 v121, v1, v10, v9
.LBB321_287:                            ;   in Loop: Header=BB321_9 Depth=1
	s_or_b32 exec_lo, exec_lo, s31
.LBB321_288:                            ;   in Loop: Header=BB321_9 Depth=1
	s_or_b32 exec_lo, exec_lo, s30
.LBB321_289:                            ;   in Loop: Header=BB321_9 Depth=1
	s_or_b32 exec_lo, exec_lo, s3
	v_cmp_ne_u16_sdwa s2, v0, v2 src0_sel:BYTE_1 src1_sel:DWORD
	s_and_saveexec_b32 s3, s2
	s_cbranch_execz .LBB321_297
; %bb.290:                              ;   in Loop: Header=BB321_9 Depth=1
	v_cmp_ne_u16_sdwa s2, v0, v84 src0_sel:BYTE_1 src1_sel:DWORD
	v_bfrev_b32_e32 v122, 1
	s_and_saveexec_b32 s30, s2
	s_cbranch_execz .LBB321_296
; %bb.291:                              ;   in Loop: Header=BB321_9 Depth=1
	v_and_b32_sdwa v1, v85, v0 dst_sel:DWORD dst_unused:UNUSED_PAD src0_sel:DWORD src1_sel:BYTE_1
	v_mov_b32_e32 v122, 0x7f800001
	s_mov_b32 s31, exec_lo
	v_and_b32_e32 v10, 0x7f, v1
	v_cmpx_ne_u32_e32 0x7f, v10
	s_cbranch_execz .LBB321_295
; %bb.292:                              ;   in Loop: Header=BB321_9 Depth=1
	v_and_b32_e32 v1, 7, v1
	v_lshrrev_b32_e32 v9, 3, v10
	s_mov_b32 s33, exec_lo
	v_cmpx_gt_u32_e32 8, v10
; %bb.293:                              ;   in Loop: Header=BB321_9 Depth=1
	v_ffbh_u32_e32 v9, v1
	v_min_u32_e32 v9, 32, v9
	v_subrev_nc_u32_e32 v10, 28, v9
	v_sub_nc_u32_e32 v9, 29, v9
	v_lshlrev_b64 v[10:11], v10, v[1:2]
	v_and_b32_e32 v1, 7, v10
; %bb.294:                              ;   in Loop: Header=BB321_9 Depth=1
	s_or_b32 exec_lo, exec_lo, s33
	v_lshlrev_b32_e32 v0, 16, v0
	v_lshlrev_b32_e32 v1, 20, v1
	v_lshl_add_u32 v9, v9, 23, 0x3c000000
	v_and_b32_e32 v0, 0x80000000, v0
	v_or3_b32 v122, v1, v0, v9
.LBB321_295:                            ;   in Loop: Header=BB321_9 Depth=1
	s_or_b32 exec_lo, exec_lo, s31
.LBB321_296:                            ;   in Loop: Header=BB321_9 Depth=1
	s_or_b32 exec_lo, exec_lo, s30
.LBB321_297:                            ;   in Loop: Header=BB321_9 Depth=1
	s_or_b32 exec_lo, exec_lo, s3
	global_load_ushort v1, v[7:8], off offset:1152
	v_mov_b32_e32 v124, 0
	v_mov_b32_e32 v123, 0
	s_waitcnt vmcnt(0)
	v_and_b32_e32 v0, 0xffff, v1
	v_cmp_ne_u16_sdwa s2, v1, v2 src0_sel:BYTE_0 src1_sel:DWORD
	s_and_saveexec_b32 s3, s2
	s_cbranch_execz .LBB321_305
; %bb.298:                              ;   in Loop: Header=BB321_9 Depth=1
	v_cmp_ne_u16_sdwa s2, v0, v84 src0_sel:BYTE_0 src1_sel:DWORD
	v_bfrev_b32_e32 v123, 1
	s_and_saveexec_b32 s30, s2
	s_cbranch_execz .LBB321_304
; %bb.299:                              ;   in Loop: Header=BB321_9 Depth=1
	v_and_b32_e32 v10, 0x7f, v0
	v_mov_b32_e32 v123, 0x7f800001
	s_mov_b32 s31, exec_lo
	v_cmpx_ne_u32_e32 0x7f, v10
	s_cbranch_execz .LBB321_303
; %bb.300:                              ;   in Loop: Header=BB321_9 Depth=1
	v_and_b32_e32 v1, 7, v0
	v_lshrrev_b32_e32 v9, 3, v10
	s_mov_b32 s33, exec_lo
	v_cmpx_gt_u32_e32 8, v10
; %bb.301:                              ;   in Loop: Header=BB321_9 Depth=1
	v_ffbh_u32_e32 v9, v1
	v_min_u32_e32 v9, 32, v9
	v_subrev_nc_u32_e32 v10, 28, v9
	v_sub_nc_u32_e32 v9, 29, v9
	v_lshlrev_b64 v[10:11], v10, v[1:2]
	v_and_b32_e32 v1, 7, v10
; %bb.302:                              ;   in Loop: Header=BB321_9 Depth=1
	s_or_b32 exec_lo, exec_lo, s33
	v_lshlrev_b32_e32 v10, 24, v0
	v_lshlrev_b32_e32 v1, 20, v1
	v_lshl_add_u32 v9, v9, 23, 0x3c000000
	v_and_b32_e32 v10, 0x80000000, v10
	v_or3_b32 v123, v1, v10, v9
.LBB321_303:                            ;   in Loop: Header=BB321_9 Depth=1
	s_or_b32 exec_lo, exec_lo, s31
.LBB321_304:                            ;   in Loop: Header=BB321_9 Depth=1
	s_or_b32 exec_lo, exec_lo, s30
.LBB321_305:                            ;   in Loop: Header=BB321_9 Depth=1
	s_or_b32 exec_lo, exec_lo, s3
	v_cmp_ne_u16_sdwa s2, v0, v2 src0_sel:BYTE_1 src1_sel:DWORD
	s_and_saveexec_b32 s3, s2
	s_cbranch_execz .LBB321_313
; %bb.306:                              ;   in Loop: Header=BB321_9 Depth=1
	v_cmp_ne_u16_sdwa s2, v0, v84 src0_sel:BYTE_1 src1_sel:DWORD
	v_bfrev_b32_e32 v124, 1
	s_and_saveexec_b32 s30, s2
	s_cbranch_execz .LBB321_312
; %bb.307:                              ;   in Loop: Header=BB321_9 Depth=1
	v_and_b32_sdwa v1, v85, v0 dst_sel:DWORD dst_unused:UNUSED_PAD src0_sel:DWORD src1_sel:BYTE_1
	v_mov_b32_e32 v124, 0x7f800001
	s_mov_b32 s31, exec_lo
	v_and_b32_e32 v10, 0x7f, v1
	v_cmpx_ne_u32_e32 0x7f, v10
	s_cbranch_execz .LBB321_311
; %bb.308:                              ;   in Loop: Header=BB321_9 Depth=1
	v_and_b32_e32 v1, 7, v1
	v_lshrrev_b32_e32 v9, 3, v10
	s_mov_b32 s33, exec_lo
	v_cmpx_gt_u32_e32 8, v10
; %bb.309:                              ;   in Loop: Header=BB321_9 Depth=1
	v_ffbh_u32_e32 v9, v1
	v_min_u32_e32 v9, 32, v9
	v_subrev_nc_u32_e32 v10, 28, v9
	v_sub_nc_u32_e32 v9, 29, v9
	v_lshlrev_b64 v[10:11], v10, v[1:2]
	v_and_b32_e32 v1, 7, v10
; %bb.310:                              ;   in Loop: Header=BB321_9 Depth=1
	s_or_b32 exec_lo, exec_lo, s33
	v_lshlrev_b32_e32 v0, 16, v0
	v_lshlrev_b32_e32 v1, 20, v1
	v_lshl_add_u32 v9, v9, 23, 0x3c000000
	v_and_b32_e32 v0, 0x80000000, v0
	v_or3_b32 v124, v1, v0, v9
.LBB321_311:                            ;   in Loop: Header=BB321_9 Depth=1
	s_or_b32 exec_lo, exec_lo, s31
.LBB321_312:                            ;   in Loop: Header=BB321_9 Depth=1
	s_or_b32 exec_lo, exec_lo, s30
.LBB321_313:                            ;   in Loop: Header=BB321_9 Depth=1
	s_or_b32 exec_lo, exec_lo, s3
	global_load_ushort v1, v[7:8], off offset:1160
	v_mov_b32_e32 v126, 0
	v_mov_b32_e32 v125, 0
	s_waitcnt vmcnt(0)
	v_and_b32_e32 v0, 0xffff, v1
	v_cmp_ne_u16_sdwa s2, v1, v2 src0_sel:BYTE_0 src1_sel:DWORD
	s_and_saveexec_b32 s3, s2
	s_cbranch_execz .LBB321_321
; %bb.314:                              ;   in Loop: Header=BB321_9 Depth=1
	v_cmp_ne_u16_sdwa s2, v0, v84 src0_sel:BYTE_0 src1_sel:DWORD
	v_bfrev_b32_e32 v125, 1
	s_and_saveexec_b32 s30, s2
	s_cbranch_execz .LBB321_320
; %bb.315:                              ;   in Loop: Header=BB321_9 Depth=1
	v_and_b32_e32 v10, 0x7f, v0
	v_mov_b32_e32 v125, 0x7f800001
	s_mov_b32 s31, exec_lo
	v_cmpx_ne_u32_e32 0x7f, v10
	s_cbranch_execz .LBB321_319
; %bb.316:                              ;   in Loop: Header=BB321_9 Depth=1
	v_and_b32_e32 v1, 7, v0
	v_lshrrev_b32_e32 v9, 3, v10
	s_mov_b32 s33, exec_lo
	v_cmpx_gt_u32_e32 8, v10
; %bb.317:                              ;   in Loop: Header=BB321_9 Depth=1
	v_ffbh_u32_e32 v9, v1
	v_min_u32_e32 v9, 32, v9
	v_subrev_nc_u32_e32 v10, 28, v9
	v_sub_nc_u32_e32 v9, 29, v9
	v_lshlrev_b64 v[10:11], v10, v[1:2]
	v_and_b32_e32 v1, 7, v10
; %bb.318:                              ;   in Loop: Header=BB321_9 Depth=1
	s_or_b32 exec_lo, exec_lo, s33
	v_lshlrev_b32_e32 v10, 24, v0
	v_lshlrev_b32_e32 v1, 20, v1
	v_lshl_add_u32 v9, v9, 23, 0x3c000000
	v_and_b32_e32 v10, 0x80000000, v10
	v_or3_b32 v125, v1, v10, v9
.LBB321_319:                            ;   in Loop: Header=BB321_9 Depth=1
	s_or_b32 exec_lo, exec_lo, s31
.LBB321_320:                            ;   in Loop: Header=BB321_9 Depth=1
	s_or_b32 exec_lo, exec_lo, s30
.LBB321_321:                            ;   in Loop: Header=BB321_9 Depth=1
	s_or_b32 exec_lo, exec_lo, s3
	v_cmp_ne_u16_sdwa s2, v0, v2 src0_sel:BYTE_1 src1_sel:DWORD
	s_and_saveexec_b32 s3, s2
	s_cbranch_execz .LBB321_329
; %bb.322:                              ;   in Loop: Header=BB321_9 Depth=1
	v_cmp_ne_u16_sdwa s2, v0, v84 src0_sel:BYTE_1 src1_sel:DWORD
	v_bfrev_b32_e32 v126, 1
	s_and_saveexec_b32 s30, s2
	s_cbranch_execz .LBB321_328
; %bb.323:                              ;   in Loop: Header=BB321_9 Depth=1
	v_and_b32_sdwa v1, v85, v0 dst_sel:DWORD dst_unused:UNUSED_PAD src0_sel:DWORD src1_sel:BYTE_1
	v_mov_b32_e32 v126, 0x7f800001
	s_mov_b32 s31, exec_lo
	v_and_b32_e32 v10, 0x7f, v1
	v_cmpx_ne_u32_e32 0x7f, v10
	s_cbranch_execz .LBB321_327
; %bb.324:                              ;   in Loop: Header=BB321_9 Depth=1
	v_and_b32_e32 v1, 7, v1
	v_lshrrev_b32_e32 v9, 3, v10
	s_mov_b32 s33, exec_lo
	v_cmpx_gt_u32_e32 8, v10
; %bb.325:                              ;   in Loop: Header=BB321_9 Depth=1
	v_ffbh_u32_e32 v9, v1
	v_min_u32_e32 v9, 32, v9
	v_subrev_nc_u32_e32 v10, 28, v9
	v_sub_nc_u32_e32 v9, 29, v9
	v_lshlrev_b64 v[10:11], v10, v[1:2]
	v_and_b32_e32 v1, 7, v10
; %bb.326:                              ;   in Loop: Header=BB321_9 Depth=1
	s_or_b32 exec_lo, exec_lo, s33
	v_lshlrev_b32_e32 v0, 16, v0
	v_lshlrev_b32_e32 v1, 20, v1
	v_lshl_add_u32 v9, v9, 23, 0x3c000000
	v_and_b32_e32 v0, 0x80000000, v0
	v_or3_b32 v126, v1, v0, v9
.LBB321_327:                            ;   in Loop: Header=BB321_9 Depth=1
	s_or_b32 exec_lo, exec_lo, s31
.LBB321_328:                            ;   in Loop: Header=BB321_9 Depth=1
	s_or_b32 exec_lo, exec_lo, s30
.LBB321_329:                            ;   in Loop: Header=BB321_9 Depth=1
	s_or_b32 exec_lo, exec_lo, s3
	global_load_ushort v1, v[7:8], off offset:1280
	v_mov_b32_e32 v13, 0
	v_mov_b32_e32 v127, 0
	s_waitcnt vmcnt(0)
	v_and_b32_e32 v0, 0xffff, v1
	v_cmp_ne_u16_sdwa s2, v1, v2 src0_sel:BYTE_0 src1_sel:DWORD
	s_and_saveexec_b32 s3, s2
	s_cbranch_execz .LBB321_337
; %bb.330:                              ;   in Loop: Header=BB321_9 Depth=1
	v_cmp_ne_u16_sdwa s2, v0, v84 src0_sel:BYTE_0 src1_sel:DWORD
	v_bfrev_b32_e32 v127, 1
	s_and_saveexec_b32 s30, s2
	s_cbranch_execz .LBB321_336
; %bb.331:                              ;   in Loop: Header=BB321_9 Depth=1
	v_and_b32_e32 v10, 0x7f, v0
	v_mov_b32_e32 v127, 0x7f800001
	s_mov_b32 s31, exec_lo
	v_cmpx_ne_u32_e32 0x7f, v10
	s_cbranch_execz .LBB321_335
; %bb.332:                              ;   in Loop: Header=BB321_9 Depth=1
	v_and_b32_e32 v1, 7, v0
	v_lshrrev_b32_e32 v9, 3, v10
	s_mov_b32 s33, exec_lo
	v_cmpx_gt_u32_e32 8, v10
; %bb.333:                              ;   in Loop: Header=BB321_9 Depth=1
	v_ffbh_u32_e32 v9, v1
	v_min_u32_e32 v9, 32, v9
	v_subrev_nc_u32_e32 v10, 28, v9
	v_sub_nc_u32_e32 v9, 29, v9
	v_lshlrev_b64 v[10:11], v10, v[1:2]
	v_and_b32_e32 v1, 7, v10
; %bb.334:                              ;   in Loop: Header=BB321_9 Depth=1
	s_or_b32 exec_lo, exec_lo, s33
	v_lshlrev_b32_e32 v10, 24, v0
	v_lshlrev_b32_e32 v1, 20, v1
	v_lshl_add_u32 v9, v9, 23, 0x3c000000
	v_and_b32_e32 v10, 0x80000000, v10
	v_or3_b32 v127, v1, v10, v9
.LBB321_335:                            ;   in Loop: Header=BB321_9 Depth=1
	s_or_b32 exec_lo, exec_lo, s31
.LBB321_336:                            ;   in Loop: Header=BB321_9 Depth=1
	s_or_b32 exec_lo, exec_lo, s30
.LBB321_337:                            ;   in Loop: Header=BB321_9 Depth=1
	s_or_b32 exec_lo, exec_lo, s3
	v_cmp_ne_u16_sdwa s2, v0, v2 src0_sel:BYTE_1 src1_sel:DWORD
	s_and_saveexec_b32 s3, s2
	s_cbranch_execz .LBB321_345
; %bb.338:                              ;   in Loop: Header=BB321_9 Depth=1
	v_cmp_ne_u16_sdwa s2, v0, v84 src0_sel:BYTE_1 src1_sel:DWORD
	v_bfrev_b32_e32 v13, 1
	s_and_saveexec_b32 s30, s2
	s_cbranch_execz .LBB321_344
; %bb.339:                              ;   in Loop: Header=BB321_9 Depth=1
	v_and_b32_sdwa v1, v85, v0 dst_sel:DWORD dst_unused:UNUSED_PAD src0_sel:DWORD src1_sel:BYTE_1
	v_mov_b32_e32 v13, 0x7f800001
	s_mov_b32 s31, exec_lo
	v_and_b32_e32 v10, 0x7f, v1
	v_cmpx_ne_u32_e32 0x7f, v10
	s_cbranch_execz .LBB321_343
; %bb.340:                              ;   in Loop: Header=BB321_9 Depth=1
	v_and_b32_e32 v1, 7, v1
	v_lshrrev_b32_e32 v9, 3, v10
	s_mov_b32 s33, exec_lo
	v_cmpx_gt_u32_e32 8, v10
; %bb.341:                              ;   in Loop: Header=BB321_9 Depth=1
	v_ffbh_u32_e32 v9, v1
	v_min_u32_e32 v9, 32, v9
	v_subrev_nc_u32_e32 v10, 28, v9
	v_sub_nc_u32_e32 v9, 29, v9
	v_lshlrev_b64 v[10:11], v10, v[1:2]
	v_and_b32_e32 v1, 7, v10
; %bb.342:                              ;   in Loop: Header=BB321_9 Depth=1
	s_or_b32 exec_lo, exec_lo, s33
	v_lshlrev_b32_e32 v0, 16, v0
	v_lshlrev_b32_e32 v1, 20, v1
	v_lshl_add_u32 v9, v9, 23, 0x3c000000
	v_and_b32_e32 v0, 0x80000000, v0
	v_or3_b32 v13, v1, v0, v9
.LBB321_343:                            ;   in Loop: Header=BB321_9 Depth=1
	s_or_b32 exec_lo, exec_lo, s31
.LBB321_344:                            ;   in Loop: Header=BB321_9 Depth=1
	s_or_b32 exec_lo, exec_lo, s30
.LBB321_345:                            ;   in Loop: Header=BB321_9 Depth=1
	s_or_b32 exec_lo, exec_lo, s3
	global_load_ushort v1, v[7:8], off offset:1288
	v_mov_b32_e32 v45, 0
	v_mov_b32_e32 v21, 0
	s_waitcnt vmcnt(0)
	v_and_b32_e32 v0, 0xffff, v1
	v_cmp_ne_u16_sdwa s2, v1, v2 src0_sel:BYTE_0 src1_sel:DWORD
	s_and_saveexec_b32 s3, s2
	s_cbranch_execz .LBB321_353
; %bb.346:                              ;   in Loop: Header=BB321_9 Depth=1
	v_cmp_ne_u16_sdwa s2, v0, v84 src0_sel:BYTE_0 src1_sel:DWORD
	v_bfrev_b32_e32 v21, 1
	s_and_saveexec_b32 s30, s2
	s_cbranch_execz .LBB321_352
; %bb.347:                              ;   in Loop: Header=BB321_9 Depth=1
	v_and_b32_e32 v10, 0x7f, v0
	v_mov_b32_e32 v21, 0x7f800001
	s_mov_b32 s31, exec_lo
	v_cmpx_ne_u32_e32 0x7f, v10
	s_cbranch_execz .LBB321_351
; %bb.348:                              ;   in Loop: Header=BB321_9 Depth=1
	v_and_b32_e32 v1, 7, v0
	v_lshrrev_b32_e32 v9, 3, v10
	s_mov_b32 s33, exec_lo
	v_cmpx_gt_u32_e32 8, v10
; %bb.349:                              ;   in Loop: Header=BB321_9 Depth=1
	v_ffbh_u32_e32 v9, v1
	v_min_u32_e32 v9, 32, v9
	v_subrev_nc_u32_e32 v10, 28, v9
	v_sub_nc_u32_e32 v9, 29, v9
	v_lshlrev_b64 v[10:11], v10, v[1:2]
	v_and_b32_e32 v1, 7, v10
; %bb.350:                              ;   in Loop: Header=BB321_9 Depth=1
	s_or_b32 exec_lo, exec_lo, s33
	v_lshlrev_b32_e32 v10, 24, v0
	v_lshlrev_b32_e32 v1, 20, v1
	v_lshl_add_u32 v9, v9, 23, 0x3c000000
	v_and_b32_e32 v10, 0x80000000, v10
	v_or3_b32 v21, v1, v10, v9
.LBB321_351:                            ;   in Loop: Header=BB321_9 Depth=1
	s_or_b32 exec_lo, exec_lo, s31
.LBB321_352:                            ;   in Loop: Header=BB321_9 Depth=1
	s_or_b32 exec_lo, exec_lo, s30
.LBB321_353:                            ;   in Loop: Header=BB321_9 Depth=1
	s_or_b32 exec_lo, exec_lo, s3
	v_cmp_ne_u16_sdwa s2, v0, v2 src0_sel:BYTE_1 src1_sel:DWORD
	s_and_saveexec_b32 s3, s2
	s_cbranch_execz .LBB321_361
; %bb.354:                              ;   in Loop: Header=BB321_9 Depth=1
	v_cmp_ne_u16_sdwa s2, v0, v84 src0_sel:BYTE_1 src1_sel:DWORD
	v_bfrev_b32_e32 v45, 1
	s_and_saveexec_b32 s30, s2
	s_cbranch_execz .LBB321_360
; %bb.355:                              ;   in Loop: Header=BB321_9 Depth=1
	v_and_b32_sdwa v1, v85, v0 dst_sel:DWORD dst_unused:UNUSED_PAD src0_sel:DWORD src1_sel:BYTE_1
	v_mov_b32_e32 v45, 0x7f800001
	s_mov_b32 s31, exec_lo
	v_and_b32_e32 v10, 0x7f, v1
	v_cmpx_ne_u32_e32 0x7f, v10
	s_cbranch_execz .LBB321_359
; %bb.356:                              ;   in Loop: Header=BB321_9 Depth=1
	v_and_b32_e32 v1, 7, v1
	v_lshrrev_b32_e32 v9, 3, v10
	s_mov_b32 s33, exec_lo
	v_cmpx_gt_u32_e32 8, v10
; %bb.357:                              ;   in Loop: Header=BB321_9 Depth=1
	v_ffbh_u32_e32 v9, v1
	v_min_u32_e32 v9, 32, v9
	v_subrev_nc_u32_e32 v10, 28, v9
	v_sub_nc_u32_e32 v9, 29, v9
	v_lshlrev_b64 v[10:11], v10, v[1:2]
	v_and_b32_e32 v1, 7, v10
; %bb.358:                              ;   in Loop: Header=BB321_9 Depth=1
	s_or_b32 exec_lo, exec_lo, s33
	v_lshlrev_b32_e32 v0, 16, v0
	v_lshlrev_b32_e32 v1, 20, v1
	v_lshl_add_u32 v9, v9, 23, 0x3c000000
	v_and_b32_e32 v0, 0x80000000, v0
	v_or3_b32 v45, v1, v0, v9
.LBB321_359:                            ;   in Loop: Header=BB321_9 Depth=1
	s_or_b32 exec_lo, exec_lo, s31
.LBB321_360:                            ;   in Loop: Header=BB321_9 Depth=1
	s_or_b32 exec_lo, exec_lo, s30
.LBB321_361:                            ;   in Loop: Header=BB321_9 Depth=1
	s_or_b32 exec_lo, exec_lo, s3
	global_load_ushort v1, v[7:8], off offset:1408
	v_mov_b32_e32 v0, 0
	v_mov_b32_e32 v11, 0
	s_waitcnt vmcnt(0)
	v_and_b32_e32 v9, 0xffff, v1
	v_cmp_ne_u16_sdwa s2, v1, v2 src0_sel:BYTE_0 src1_sel:DWORD
	s_and_saveexec_b32 s3, s2
	s_cbranch_execz .LBB321_369
; %bb.362:                              ;   in Loop: Header=BB321_9 Depth=1
	v_cmp_ne_u16_sdwa s2, v9, v84 src0_sel:BYTE_0 src1_sel:DWORD
	v_bfrev_b32_e32 v11, 1
	s_and_saveexec_b32 s30, s2
	s_cbranch_execz .LBB321_368
; %bb.363:                              ;   in Loop: Header=BB321_9 Depth=1
	v_and_b32_e32 v12, 0x7f, v9
	v_mov_b32_e32 v11, 0x7f800001
	s_mov_b32 s31, exec_lo
	v_cmpx_ne_u32_e32 0x7f, v12
	s_cbranch_execz .LBB321_367
; %bb.364:                              ;   in Loop: Header=BB321_9 Depth=1
	v_and_b32_e32 v1, 7, v9
	v_lshrrev_b32_e32 v10, 3, v12
	s_mov_b32 s33, exec_lo
	v_cmpx_gt_u32_e32 8, v12
; %bb.365:                              ;   in Loop: Header=BB321_9 Depth=1
	v_ffbh_u32_e32 v10, v1
	v_min_u32_e32 v10, 32, v10
	v_subrev_nc_u32_e32 v11, 28, v10
	v_sub_nc_u32_e32 v10, 29, v10
	v_lshlrev_b64 v[11:12], v11, v[1:2]
	v_and_b32_e32 v1, 7, v11
; %bb.366:                              ;   in Loop: Header=BB321_9 Depth=1
	s_or_b32 exec_lo, exec_lo, s33
	v_lshlrev_b32_e32 v11, 24, v9
	v_lshlrev_b32_e32 v1, 20, v1
	v_lshl_add_u32 v10, v10, 23, 0x3c000000
	v_and_b32_e32 v11, 0x80000000, v11
	v_or3_b32 v11, v1, v11, v10
.LBB321_367:                            ;   in Loop: Header=BB321_9 Depth=1
	s_or_b32 exec_lo, exec_lo, s31
.LBB321_368:                            ;   in Loop: Header=BB321_9 Depth=1
	s_or_b32 exec_lo, exec_lo, s30
.LBB321_369:                            ;   in Loop: Header=BB321_9 Depth=1
	s_or_b32 exec_lo, exec_lo, s3
	v_cmp_ne_u16_sdwa s2, v9, v2 src0_sel:BYTE_1 src1_sel:DWORD
	s_and_saveexec_b32 s3, s2
	s_cbranch_execz .LBB321_377
; %bb.370:                              ;   in Loop: Header=BB321_9 Depth=1
	v_cmp_ne_u16_sdwa s2, v9, v84 src0_sel:BYTE_1 src1_sel:DWORD
	v_bfrev_b32_e32 v0, 1
	s_and_saveexec_b32 s30, s2
	s_cbranch_execz .LBB321_376
; %bb.371:                              ;   in Loop: Header=BB321_9 Depth=1
	v_and_b32_sdwa v1, v85, v9 dst_sel:DWORD dst_unused:UNUSED_PAD src0_sel:DWORD src1_sel:BYTE_1
	v_mov_b32_e32 v0, 0x7f800001
	s_mov_b32 s31, exec_lo
	v_and_b32_e32 v10, 0x7f, v1
	v_cmpx_ne_u32_e32 0x7f, v10
	s_cbranch_execz .LBB321_375
; %bb.372:                              ;   in Loop: Header=BB321_9 Depth=1
	v_and_b32_e32 v1, 7, v1
	v_lshrrev_b32_e32 v0, 3, v10
	s_mov_b32 s33, exec_lo
	v_cmpx_gt_u32_e32 8, v10
; %bb.373:                              ;   in Loop: Header=BB321_9 Depth=1
	v_ffbh_u32_e32 v0, v1
	v_min_u32_e32 v0, 32, v0
	v_subrev_nc_u32_e32 v10, 28, v0
	v_sub_nc_u32_e32 v0, 29, v0
	v_lshlrev_b64 v[14:15], v10, v[1:2]
	v_and_b32_e32 v1, 7, v14
; %bb.374:                              ;   in Loop: Header=BB321_9 Depth=1
	s_or_b32 exec_lo, exec_lo, s33
	v_lshlrev_b32_e32 v9, 16, v9
	v_lshlrev_b32_e32 v1, 20, v1
	v_lshl_add_u32 v0, v0, 23, 0x3c000000
	v_and_b32_e32 v9, 0x80000000, v9
	v_or3_b32 v0, v1, v9, v0
.LBB321_375:                            ;   in Loop: Header=BB321_9 Depth=1
	s_or_b32 exec_lo, exec_lo, s31
.LBB321_376:                            ;   in Loop: Header=BB321_9 Depth=1
	s_or_b32 exec_lo, exec_lo, s30
.LBB321_377:                            ;   in Loop: Header=BB321_9 Depth=1
	s_or_b32 exec_lo, exec_lo, s3
	global_load_ushort v1, v[7:8], off offset:1416
	v_mov_b32_e32 v14, 0
	v_mov_b32_e32 v12, 0
	s_waitcnt vmcnt(0)
	v_and_b32_e32 v9, 0xffff, v1
	v_cmp_ne_u16_sdwa s2, v1, v2 src0_sel:BYTE_0 src1_sel:DWORD
	s_and_saveexec_b32 s3, s2
	s_cbranch_execz .LBB321_385
; %bb.378:                              ;   in Loop: Header=BB321_9 Depth=1
	v_cmp_ne_u16_sdwa s2, v9, v84 src0_sel:BYTE_0 src1_sel:DWORD
	v_bfrev_b32_e32 v12, 1
	s_and_saveexec_b32 s30, s2
	s_cbranch_execz .LBB321_384
; %bb.379:                              ;   in Loop: Header=BB321_9 Depth=1
	v_and_b32_e32 v15, 0x7f, v9
	v_mov_b32_e32 v12, 0x7f800001
	s_mov_b32 s31, exec_lo
	v_cmpx_ne_u32_e32 0x7f, v15
	s_cbranch_execz .LBB321_383
; %bb.380:                              ;   in Loop: Header=BB321_9 Depth=1
	v_and_b32_e32 v1, 7, v9
	v_lshrrev_b32_e32 v10, 3, v15
	s_mov_b32 s33, exec_lo
	v_cmpx_gt_u32_e32 8, v15
; %bb.381:                              ;   in Loop: Header=BB321_9 Depth=1
	v_ffbh_u32_e32 v10, v1
	v_min_u32_e32 v10, 32, v10
	v_subrev_nc_u32_e32 v12, 28, v10
	v_sub_nc_u32_e32 v10, 29, v10
	v_lshlrev_b64 v[15:16], v12, v[1:2]
	v_and_b32_e32 v1, 7, v15
; %bb.382:                              ;   in Loop: Header=BB321_9 Depth=1
	s_or_b32 exec_lo, exec_lo, s33
	v_lshlrev_b32_e32 v12, 24, v9
	v_lshlrev_b32_e32 v1, 20, v1
	v_lshl_add_u32 v10, v10, 23, 0x3c000000
	v_and_b32_e32 v12, 0x80000000, v12
	v_or3_b32 v12, v1, v12, v10
.LBB321_383:                            ;   in Loop: Header=BB321_9 Depth=1
	s_or_b32 exec_lo, exec_lo, s31
.LBB321_384:                            ;   in Loop: Header=BB321_9 Depth=1
	s_or_b32 exec_lo, exec_lo, s30
.LBB321_385:                            ;   in Loop: Header=BB321_9 Depth=1
	s_or_b32 exec_lo, exec_lo, s3
	v_cmp_ne_u16_sdwa s2, v9, v2 src0_sel:BYTE_1 src1_sel:DWORD
	s_and_saveexec_b32 s3, s2
	s_cbranch_execz .LBB321_393
; %bb.386:                              ;   in Loop: Header=BB321_9 Depth=1
	v_cmp_ne_u16_sdwa s2, v9, v84 src0_sel:BYTE_1 src1_sel:DWORD
	v_bfrev_b32_e32 v14, 1
	s_and_saveexec_b32 s30, s2
	s_cbranch_execz .LBB321_392
; %bb.387:                              ;   in Loop: Header=BB321_9 Depth=1
	v_and_b32_sdwa v1, v85, v9 dst_sel:DWORD dst_unused:UNUSED_PAD src0_sel:DWORD src1_sel:BYTE_1
	v_mov_b32_e32 v14, 0x7f800001
	s_mov_b32 s31, exec_lo
	v_and_b32_e32 v15, 0x7f, v1
	v_cmpx_ne_u32_e32 0x7f, v15
	s_cbranch_execz .LBB321_391
; %bb.388:                              ;   in Loop: Header=BB321_9 Depth=1
	v_and_b32_e32 v1, 7, v1
	v_lshrrev_b32_e32 v10, 3, v15
	s_mov_b32 s33, exec_lo
	v_cmpx_gt_u32_e32 8, v15
; %bb.389:                              ;   in Loop: Header=BB321_9 Depth=1
	v_ffbh_u32_e32 v10, v1
	v_min_u32_e32 v10, 32, v10
	v_subrev_nc_u32_e32 v14, 28, v10
	v_sub_nc_u32_e32 v10, 29, v10
	v_lshlrev_b64 v[14:15], v14, v[1:2]
	v_and_b32_e32 v1, 7, v14
; %bb.390:                              ;   in Loop: Header=BB321_9 Depth=1
	s_or_b32 exec_lo, exec_lo, s33
	v_lshlrev_b32_e32 v9, 16, v9
	v_lshlrev_b32_e32 v1, 20, v1
	v_lshl_add_u32 v10, v10, 23, 0x3c000000
	v_and_b32_e32 v9, 0x80000000, v9
	v_or3_b32 v14, v1, v9, v10
.LBB321_391:                            ;   in Loop: Header=BB321_9 Depth=1
	s_or_b32 exec_lo, exec_lo, s31
.LBB321_392:                            ;   in Loop: Header=BB321_9 Depth=1
	s_or_b32 exec_lo, exec_lo, s30
.LBB321_393:                            ;   in Loop: Header=BB321_9 Depth=1
	s_or_b32 exec_lo, exec_lo, s3
	global_load_ushort v1, v[7:8], off offset:1536
	v_mov_b32_e32 v16, 0
	v_mov_b32_e32 v15, 0
	s_waitcnt vmcnt(0)
	v_and_b32_e32 v9, 0xffff, v1
	v_cmp_ne_u16_sdwa s2, v1, v2 src0_sel:BYTE_0 src1_sel:DWORD
	s_and_saveexec_b32 s3, s2
	s_cbranch_execz .LBB321_401
; %bb.394:                              ;   in Loop: Header=BB321_9 Depth=1
	v_cmp_ne_u16_sdwa s2, v9, v84 src0_sel:BYTE_0 src1_sel:DWORD
	v_bfrev_b32_e32 v15, 1
	s_and_saveexec_b32 s30, s2
	s_cbranch_execz .LBB321_400
; %bb.395:                              ;   in Loop: Header=BB321_9 Depth=1
	v_and_b32_e32 v17, 0x7f, v9
	v_mov_b32_e32 v15, 0x7f800001
	s_mov_b32 s31, exec_lo
	v_cmpx_ne_u32_e32 0x7f, v17
	s_cbranch_execz .LBB321_399
; %bb.396:                              ;   in Loop: Header=BB321_9 Depth=1
	v_and_b32_e32 v1, 7, v9
	v_lshrrev_b32_e32 v10, 3, v17
	s_mov_b32 s33, exec_lo
	v_cmpx_gt_u32_e32 8, v17
; %bb.397:                              ;   in Loop: Header=BB321_9 Depth=1
	v_ffbh_u32_e32 v10, v1
	v_min_u32_e32 v10, 32, v10
	v_subrev_nc_u32_e32 v15, 28, v10
	v_sub_nc_u32_e32 v10, 29, v10
	v_lshlrev_b64 v[17:18], v15, v[1:2]
	v_and_b32_e32 v1, 7, v17
; %bb.398:                              ;   in Loop: Header=BB321_9 Depth=1
	s_or_b32 exec_lo, exec_lo, s33
	v_lshlrev_b32_e32 v15, 24, v9
	v_lshlrev_b32_e32 v1, 20, v1
	v_lshl_add_u32 v10, v10, 23, 0x3c000000
	v_and_b32_e32 v15, 0x80000000, v15
	v_or3_b32 v15, v1, v15, v10
.LBB321_399:                            ;   in Loop: Header=BB321_9 Depth=1
	s_or_b32 exec_lo, exec_lo, s31
.LBB321_400:                            ;   in Loop: Header=BB321_9 Depth=1
	s_or_b32 exec_lo, exec_lo, s30
.LBB321_401:                            ;   in Loop: Header=BB321_9 Depth=1
	s_or_b32 exec_lo, exec_lo, s3
	v_cmp_ne_u16_sdwa s2, v9, v2 src0_sel:BYTE_1 src1_sel:DWORD
	s_and_saveexec_b32 s3, s2
	s_cbranch_execz .LBB321_409
; %bb.402:                              ;   in Loop: Header=BB321_9 Depth=1
	v_cmp_ne_u16_sdwa s2, v9, v84 src0_sel:BYTE_1 src1_sel:DWORD
	v_bfrev_b32_e32 v16, 1
	s_and_saveexec_b32 s30, s2
	s_cbranch_execz .LBB321_408
; %bb.403:                              ;   in Loop: Header=BB321_9 Depth=1
	v_and_b32_sdwa v1, v85, v9 dst_sel:DWORD dst_unused:UNUSED_PAD src0_sel:DWORD src1_sel:BYTE_1
	v_mov_b32_e32 v16, 0x7f800001
	s_mov_b32 s31, exec_lo
	v_and_b32_e32 v17, 0x7f, v1
	v_cmpx_ne_u32_e32 0x7f, v17
	s_cbranch_execz .LBB321_407
; %bb.404:                              ;   in Loop: Header=BB321_9 Depth=1
	v_and_b32_e32 v1, 7, v1
	v_lshrrev_b32_e32 v10, 3, v17
	s_mov_b32 s33, exec_lo
	v_cmpx_gt_u32_e32 8, v17
; %bb.405:                              ;   in Loop: Header=BB321_9 Depth=1
	v_ffbh_u32_e32 v10, v1
	v_min_u32_e32 v10, 32, v10
	v_subrev_nc_u32_e32 v16, 28, v10
	v_sub_nc_u32_e32 v10, 29, v10
	v_lshlrev_b64 v[16:17], v16, v[1:2]
	v_and_b32_e32 v1, 7, v16
; %bb.406:                              ;   in Loop: Header=BB321_9 Depth=1
	s_or_b32 exec_lo, exec_lo, s33
	v_lshlrev_b32_e32 v9, 16, v9
	v_lshlrev_b32_e32 v1, 20, v1
	v_lshl_add_u32 v10, v10, 23, 0x3c000000
	v_and_b32_e32 v9, 0x80000000, v9
	v_or3_b32 v16, v1, v9, v10
.LBB321_407:                            ;   in Loop: Header=BB321_9 Depth=1
	s_or_b32 exec_lo, exec_lo, s31
.LBB321_408:                            ;   in Loop: Header=BB321_9 Depth=1
	s_or_b32 exec_lo, exec_lo, s30
.LBB321_409:                            ;   in Loop: Header=BB321_9 Depth=1
	s_or_b32 exec_lo, exec_lo, s3
	global_load_ushort v1, v[7:8], off offset:1544
	v_mov_b32_e32 v18, 0
	v_mov_b32_e32 v17, 0
	s_waitcnt vmcnt(0)
	v_and_b32_e32 v9, 0xffff, v1
	v_cmp_ne_u16_sdwa s2, v1, v2 src0_sel:BYTE_0 src1_sel:DWORD
	s_and_saveexec_b32 s3, s2
	s_cbranch_execz .LBB321_417
; %bb.410:                              ;   in Loop: Header=BB321_9 Depth=1
	v_cmp_ne_u16_sdwa s2, v9, v84 src0_sel:BYTE_0 src1_sel:DWORD
	v_bfrev_b32_e32 v17, 1
	s_and_saveexec_b32 s30, s2
	s_cbranch_execz .LBB321_416
; %bb.411:                              ;   in Loop: Header=BB321_9 Depth=1
	v_and_b32_e32 v19, 0x7f, v9
	v_mov_b32_e32 v17, 0x7f800001
	s_mov_b32 s31, exec_lo
	v_cmpx_ne_u32_e32 0x7f, v19
	s_cbranch_execz .LBB321_415
; %bb.412:                              ;   in Loop: Header=BB321_9 Depth=1
	v_and_b32_e32 v1, 7, v9
	v_lshrrev_b32_e32 v10, 3, v19
	s_mov_b32 s33, exec_lo
	v_cmpx_gt_u32_e32 8, v19
; %bb.413:                              ;   in Loop: Header=BB321_9 Depth=1
	v_ffbh_u32_e32 v10, v1
	v_min_u32_e32 v10, 32, v10
	v_subrev_nc_u32_e32 v17, 28, v10
	v_sub_nc_u32_e32 v10, 29, v10
	v_lshlrev_b64 v[19:20], v17, v[1:2]
	v_and_b32_e32 v1, 7, v19
; %bb.414:                              ;   in Loop: Header=BB321_9 Depth=1
	s_or_b32 exec_lo, exec_lo, s33
	v_lshlrev_b32_e32 v17, 24, v9
	v_lshlrev_b32_e32 v1, 20, v1
	v_lshl_add_u32 v10, v10, 23, 0x3c000000
	v_and_b32_e32 v17, 0x80000000, v17
	v_or3_b32 v17, v1, v17, v10
.LBB321_415:                            ;   in Loop: Header=BB321_9 Depth=1
	s_or_b32 exec_lo, exec_lo, s31
.LBB321_416:                            ;   in Loop: Header=BB321_9 Depth=1
	s_or_b32 exec_lo, exec_lo, s30
.LBB321_417:                            ;   in Loop: Header=BB321_9 Depth=1
	s_or_b32 exec_lo, exec_lo, s3
	v_cmp_ne_u16_sdwa s2, v9, v2 src0_sel:BYTE_1 src1_sel:DWORD
	s_and_saveexec_b32 s3, s2
	s_cbranch_execz .LBB321_425
; %bb.418:                              ;   in Loop: Header=BB321_9 Depth=1
	v_cmp_ne_u16_sdwa s2, v9, v84 src0_sel:BYTE_1 src1_sel:DWORD
	v_bfrev_b32_e32 v18, 1
	s_and_saveexec_b32 s30, s2
	s_cbranch_execz .LBB321_424
; %bb.419:                              ;   in Loop: Header=BB321_9 Depth=1
	v_and_b32_sdwa v1, v85, v9 dst_sel:DWORD dst_unused:UNUSED_PAD src0_sel:DWORD src1_sel:BYTE_1
	v_mov_b32_e32 v18, 0x7f800001
	s_mov_b32 s31, exec_lo
	v_and_b32_e32 v19, 0x7f, v1
	v_cmpx_ne_u32_e32 0x7f, v19
	s_cbranch_execz .LBB321_423
; %bb.420:                              ;   in Loop: Header=BB321_9 Depth=1
	v_and_b32_e32 v1, 7, v1
	v_lshrrev_b32_e32 v10, 3, v19
	s_mov_b32 s33, exec_lo
	v_cmpx_gt_u32_e32 8, v19
; %bb.421:                              ;   in Loop: Header=BB321_9 Depth=1
	v_ffbh_u32_e32 v10, v1
	v_min_u32_e32 v10, 32, v10
	v_subrev_nc_u32_e32 v18, 28, v10
	v_sub_nc_u32_e32 v10, 29, v10
	v_lshlrev_b64 v[18:19], v18, v[1:2]
	v_and_b32_e32 v1, 7, v18
; %bb.422:                              ;   in Loop: Header=BB321_9 Depth=1
	s_or_b32 exec_lo, exec_lo, s33
	v_lshlrev_b32_e32 v9, 16, v9
	v_lshlrev_b32_e32 v1, 20, v1
	v_lshl_add_u32 v10, v10, 23, 0x3c000000
	v_and_b32_e32 v9, 0x80000000, v9
	v_or3_b32 v18, v1, v9, v10
.LBB321_423:                            ;   in Loop: Header=BB321_9 Depth=1
	s_or_b32 exec_lo, exec_lo, s31
.LBB321_424:                            ;   in Loop: Header=BB321_9 Depth=1
	s_or_b32 exec_lo, exec_lo, s30
.LBB321_425:                            ;   in Loop: Header=BB321_9 Depth=1
	s_or_b32 exec_lo, exec_lo, s3
	global_load_ushort v1, v[7:8], off offset:1664
	v_mov_b32_e32 v20, 0
	v_mov_b32_e32 v19, 0
	s_waitcnt vmcnt(0)
	v_and_b32_e32 v9, 0xffff, v1
	v_cmp_ne_u16_sdwa s2, v1, v2 src0_sel:BYTE_0 src1_sel:DWORD
	s_and_saveexec_b32 s3, s2
	s_cbranch_execz .LBB321_433
; %bb.426:                              ;   in Loop: Header=BB321_9 Depth=1
	v_cmp_ne_u16_sdwa s2, v9, v84 src0_sel:BYTE_0 src1_sel:DWORD
	v_bfrev_b32_e32 v19, 1
	s_and_saveexec_b32 s30, s2
	s_cbranch_execz .LBB321_432
; %bb.427:                              ;   in Loop: Header=BB321_9 Depth=1
	v_and_b32_e32 v22, 0x7f, v9
	v_mov_b32_e32 v19, 0x7f800001
	s_mov_b32 s31, exec_lo
	v_cmpx_ne_u32_e32 0x7f, v22
	s_cbranch_execz .LBB321_431
; %bb.428:                              ;   in Loop: Header=BB321_9 Depth=1
	v_and_b32_e32 v1, 7, v9
	v_lshrrev_b32_e32 v10, 3, v22
	s_mov_b32 s33, exec_lo
	v_cmpx_gt_u32_e32 8, v22
; %bb.429:                              ;   in Loop: Header=BB321_9 Depth=1
	v_ffbh_u32_e32 v10, v1
	v_min_u32_e32 v10, 32, v10
	v_subrev_nc_u32_e32 v19, 28, v10
	v_sub_nc_u32_e32 v10, 29, v10
	v_lshlrev_b64 v[22:23], v19, v[1:2]
	v_and_b32_e32 v1, 7, v22
; %bb.430:                              ;   in Loop: Header=BB321_9 Depth=1
	s_or_b32 exec_lo, exec_lo, s33
	v_lshlrev_b32_e32 v19, 24, v9
	v_lshlrev_b32_e32 v1, 20, v1
	v_lshl_add_u32 v10, v10, 23, 0x3c000000
	v_and_b32_e32 v19, 0x80000000, v19
	v_or3_b32 v19, v1, v19, v10
.LBB321_431:                            ;   in Loop: Header=BB321_9 Depth=1
	s_or_b32 exec_lo, exec_lo, s31
.LBB321_432:                            ;   in Loop: Header=BB321_9 Depth=1
	s_or_b32 exec_lo, exec_lo, s30
.LBB321_433:                            ;   in Loop: Header=BB321_9 Depth=1
	s_or_b32 exec_lo, exec_lo, s3
	v_cmp_ne_u16_sdwa s2, v9, v2 src0_sel:BYTE_1 src1_sel:DWORD
	s_and_saveexec_b32 s3, s2
	s_cbranch_execz .LBB321_441
; %bb.434:                              ;   in Loop: Header=BB321_9 Depth=1
	v_cmp_ne_u16_sdwa s2, v9, v84 src0_sel:BYTE_1 src1_sel:DWORD
	v_bfrev_b32_e32 v20, 1
	s_and_saveexec_b32 s30, s2
	s_cbranch_execz .LBB321_440
; %bb.435:                              ;   in Loop: Header=BB321_9 Depth=1
	v_and_b32_sdwa v1, v85, v9 dst_sel:DWORD dst_unused:UNUSED_PAD src0_sel:DWORD src1_sel:BYTE_1
	v_mov_b32_e32 v20, 0x7f800001
	s_mov_b32 s31, exec_lo
	v_and_b32_e32 v22, 0x7f, v1
	v_cmpx_ne_u32_e32 0x7f, v22
	s_cbranch_execz .LBB321_439
; %bb.436:                              ;   in Loop: Header=BB321_9 Depth=1
	v_and_b32_e32 v1, 7, v1
	v_lshrrev_b32_e32 v10, 3, v22
	s_mov_b32 s33, exec_lo
	v_cmpx_gt_u32_e32 8, v22
; %bb.437:                              ;   in Loop: Header=BB321_9 Depth=1
	v_ffbh_u32_e32 v10, v1
	v_min_u32_e32 v10, 32, v10
	v_subrev_nc_u32_e32 v20, 28, v10
	v_sub_nc_u32_e32 v10, 29, v10
	v_lshlrev_b64 v[22:23], v20, v[1:2]
	v_and_b32_e32 v1, 7, v22
; %bb.438:                              ;   in Loop: Header=BB321_9 Depth=1
	s_or_b32 exec_lo, exec_lo, s33
	v_lshlrev_b32_e32 v9, 16, v9
	v_lshlrev_b32_e32 v1, 20, v1
	v_lshl_add_u32 v10, v10, 23, 0x3c000000
	v_and_b32_e32 v9, 0x80000000, v9
	v_or3_b32 v20, v1, v9, v10
.LBB321_439:                            ;   in Loop: Header=BB321_9 Depth=1
	s_or_b32 exec_lo, exec_lo, s31
.LBB321_440:                            ;   in Loop: Header=BB321_9 Depth=1
	s_or_b32 exec_lo, exec_lo, s30
.LBB321_441:                            ;   in Loop: Header=BB321_9 Depth=1
	s_or_b32 exec_lo, exec_lo, s3
	global_load_ushort v1, v[7:8], off offset:1672
	v_mov_b32_e32 v24, 0
	v_mov_b32_e32 v25, 0
	s_waitcnt vmcnt(0)
	v_and_b32_e32 v9, 0xffff, v1
	v_cmp_ne_u16_sdwa s2, v1, v2 src0_sel:BYTE_0 src1_sel:DWORD
	s_and_saveexec_b32 s3, s2
	s_cbranch_execz .LBB321_449
; %bb.442:                              ;   in Loop: Header=BB321_9 Depth=1
	v_cmp_ne_u16_sdwa s2, v9, v84 src0_sel:BYTE_0 src1_sel:DWORD
	v_bfrev_b32_e32 v25, 1
	s_and_saveexec_b32 s30, s2
	s_cbranch_execz .LBB321_448
; %bb.443:                              ;   in Loop: Header=BB321_9 Depth=1
	v_and_b32_e32 v22, 0x7f, v9
	v_mov_b32_e32 v25, 0x7f800001
	s_mov_b32 s31, exec_lo
	v_cmpx_ne_u32_e32 0x7f, v22
	s_cbranch_execz .LBB321_447
; %bb.444:                              ;   in Loop: Header=BB321_9 Depth=1
	v_and_b32_e32 v1, 7, v9
	v_lshrrev_b32_e32 v10, 3, v22
	s_mov_b32 s33, exec_lo
	v_cmpx_gt_u32_e32 8, v22
; %bb.445:                              ;   in Loop: Header=BB321_9 Depth=1
	v_ffbh_u32_e32 v10, v1
	v_min_u32_e32 v10, 32, v10
	v_subrev_nc_u32_e32 v22, 28, v10
	v_sub_nc_u32_e32 v10, 29, v10
	v_lshlrev_b64 v[22:23], v22, v[1:2]
	v_and_b32_e32 v1, 7, v22
; %bb.446:                              ;   in Loop: Header=BB321_9 Depth=1
	s_or_b32 exec_lo, exec_lo, s33
	v_lshlrev_b32_e32 v22, 24, v9
	v_lshlrev_b32_e32 v1, 20, v1
	v_lshl_add_u32 v10, v10, 23, 0x3c000000
	v_and_b32_e32 v22, 0x80000000, v22
	v_or3_b32 v25, v1, v22, v10
.LBB321_447:                            ;   in Loop: Header=BB321_9 Depth=1
	s_or_b32 exec_lo, exec_lo, s31
.LBB321_448:                            ;   in Loop: Header=BB321_9 Depth=1
	s_or_b32 exec_lo, exec_lo, s30
.LBB321_449:                            ;   in Loop: Header=BB321_9 Depth=1
	s_or_b32 exec_lo, exec_lo, s3
	v_cmp_ne_u16_sdwa s2, v9, v2 src0_sel:BYTE_1 src1_sel:DWORD
	s_and_saveexec_b32 s3, s2
	s_cbranch_execz .LBB321_457
; %bb.450:                              ;   in Loop: Header=BB321_9 Depth=1
	v_cmp_ne_u16_sdwa s2, v9, v84 src0_sel:BYTE_1 src1_sel:DWORD
	v_bfrev_b32_e32 v24, 1
	s_and_saveexec_b32 s30, s2
	s_cbranch_execz .LBB321_456
; %bb.451:                              ;   in Loop: Header=BB321_9 Depth=1
	v_and_b32_sdwa v1, v85, v9 dst_sel:DWORD dst_unused:UNUSED_PAD src0_sel:DWORD src1_sel:BYTE_1
	v_mov_b32_e32 v24, 0x7f800001
	s_mov_b32 s31, exec_lo
	v_and_b32_e32 v22, 0x7f, v1
	v_cmpx_ne_u32_e32 0x7f, v22
	s_cbranch_execz .LBB321_455
; %bb.452:                              ;   in Loop: Header=BB321_9 Depth=1
	v_and_b32_e32 v1, 7, v1
	v_lshrrev_b32_e32 v10, 3, v22
	s_mov_b32 s33, exec_lo
	v_cmpx_gt_u32_e32 8, v22
; %bb.453:                              ;   in Loop: Header=BB321_9 Depth=1
	v_ffbh_u32_e32 v10, v1
	v_min_u32_e32 v10, 32, v10
	v_subrev_nc_u32_e32 v22, 28, v10
	v_sub_nc_u32_e32 v10, 29, v10
	v_lshlrev_b64 v[22:23], v22, v[1:2]
	v_and_b32_e32 v1, 7, v22
; %bb.454:                              ;   in Loop: Header=BB321_9 Depth=1
	s_or_b32 exec_lo, exec_lo, s33
	v_lshlrev_b32_e32 v9, 16, v9
	v_lshlrev_b32_e32 v1, 20, v1
	v_lshl_add_u32 v10, v10, 23, 0x3c000000
	v_and_b32_e32 v9, 0x80000000, v9
	v_or3_b32 v24, v1, v9, v10
.LBB321_455:                            ;   in Loop: Header=BB321_9 Depth=1
	s_or_b32 exec_lo, exec_lo, s31
.LBB321_456:                            ;   in Loop: Header=BB321_9 Depth=1
	s_or_b32 exec_lo, exec_lo, s30
.LBB321_457:                            ;   in Loop: Header=BB321_9 Depth=1
	s_or_b32 exec_lo, exec_lo, s3
	global_load_ushort v1, v[7:8], off offset:1792
	v_mov_b32_e32 v22, 0
	v_mov_b32_e32 v23, 0
	s_waitcnt vmcnt(0)
	v_and_b32_e32 v9, 0xffff, v1
	v_cmp_ne_u16_sdwa s2, v1, v2 src0_sel:BYTE_0 src1_sel:DWORD
	s_and_saveexec_b32 s3, s2
	s_cbranch_execz .LBB321_465
; %bb.458:                              ;   in Loop: Header=BB321_9 Depth=1
	v_cmp_ne_u16_sdwa s2, v9, v84 src0_sel:BYTE_0 src1_sel:DWORD
	v_bfrev_b32_e32 v23, 1
	s_and_saveexec_b32 s30, s2
	s_cbranch_execz .LBB321_464
; %bb.459:                              ;   in Loop: Header=BB321_9 Depth=1
	v_and_b32_e32 v26, 0x7f, v9
	v_mov_b32_e32 v23, 0x7f800001
	s_mov_b32 s31, exec_lo
	v_cmpx_ne_u32_e32 0x7f, v26
	s_cbranch_execz .LBB321_463
; %bb.460:                              ;   in Loop: Header=BB321_9 Depth=1
	v_and_b32_e32 v1, 7, v9
	v_lshrrev_b32_e32 v10, 3, v26
	s_mov_b32 s33, exec_lo
	v_cmpx_gt_u32_e32 8, v26
; %bb.461:                              ;   in Loop: Header=BB321_9 Depth=1
	v_ffbh_u32_e32 v10, v1
	v_min_u32_e32 v10, 32, v10
	v_subrev_nc_u32_e32 v23, 28, v10
	v_sub_nc_u32_e32 v10, 29, v10
	v_lshlrev_b64 v[26:27], v23, v[1:2]
	v_and_b32_e32 v1, 7, v26
; %bb.462:                              ;   in Loop: Header=BB321_9 Depth=1
	s_or_b32 exec_lo, exec_lo, s33
	v_lshlrev_b32_e32 v23, 24, v9
	v_lshlrev_b32_e32 v1, 20, v1
	v_lshl_add_u32 v10, v10, 23, 0x3c000000
	v_and_b32_e32 v23, 0x80000000, v23
	v_or3_b32 v23, v1, v23, v10
.LBB321_463:                            ;   in Loop: Header=BB321_9 Depth=1
	s_or_b32 exec_lo, exec_lo, s31
.LBB321_464:                            ;   in Loop: Header=BB321_9 Depth=1
	s_or_b32 exec_lo, exec_lo, s30
.LBB321_465:                            ;   in Loop: Header=BB321_9 Depth=1
	s_or_b32 exec_lo, exec_lo, s3
	v_cmp_ne_u16_sdwa s2, v9, v2 src0_sel:BYTE_1 src1_sel:DWORD
	s_and_saveexec_b32 s3, s2
	s_cbranch_execz .LBB321_473
; %bb.466:                              ;   in Loop: Header=BB321_9 Depth=1
	v_cmp_ne_u16_sdwa s2, v9, v84 src0_sel:BYTE_1 src1_sel:DWORD
	v_bfrev_b32_e32 v22, 1
	s_and_saveexec_b32 s30, s2
	s_cbranch_execz .LBB321_472
; %bb.467:                              ;   in Loop: Header=BB321_9 Depth=1
	v_and_b32_sdwa v1, v85, v9 dst_sel:DWORD dst_unused:UNUSED_PAD src0_sel:DWORD src1_sel:BYTE_1
	v_mov_b32_e32 v22, 0x7f800001
	s_mov_b32 s31, exec_lo
	v_and_b32_e32 v26, 0x7f, v1
	v_cmpx_ne_u32_e32 0x7f, v26
	s_cbranch_execz .LBB321_471
; %bb.468:                              ;   in Loop: Header=BB321_9 Depth=1
	v_and_b32_e32 v1, 7, v1
	v_lshrrev_b32_e32 v10, 3, v26
	s_mov_b32 s33, exec_lo
	v_cmpx_gt_u32_e32 8, v26
; %bb.469:                              ;   in Loop: Header=BB321_9 Depth=1
	v_ffbh_u32_e32 v10, v1
	v_min_u32_e32 v10, 32, v10
	v_subrev_nc_u32_e32 v22, 28, v10
	v_sub_nc_u32_e32 v10, 29, v10
	v_lshlrev_b64 v[26:27], v22, v[1:2]
	v_and_b32_e32 v1, 7, v26
; %bb.470:                              ;   in Loop: Header=BB321_9 Depth=1
	s_or_b32 exec_lo, exec_lo, s33
	v_lshlrev_b32_e32 v9, 16, v9
	v_lshlrev_b32_e32 v1, 20, v1
	v_lshl_add_u32 v10, v10, 23, 0x3c000000
	v_and_b32_e32 v9, 0x80000000, v9
	v_or3_b32 v22, v1, v9, v10
.LBB321_471:                            ;   in Loop: Header=BB321_9 Depth=1
	s_or_b32 exec_lo, exec_lo, s31
.LBB321_472:                            ;   in Loop: Header=BB321_9 Depth=1
	s_or_b32 exec_lo, exec_lo, s30
.LBB321_473:                            ;   in Loop: Header=BB321_9 Depth=1
	s_or_b32 exec_lo, exec_lo, s3
	global_load_ushort v1, v[7:8], off offset:1800
	v_mov_b32_e32 v28, 0
	v_mov_b32_e32 v27, 0
	s_waitcnt vmcnt(0)
	v_and_b32_e32 v9, 0xffff, v1
	v_cmp_ne_u16_sdwa s2, v1, v2 src0_sel:BYTE_0 src1_sel:DWORD
	s_and_saveexec_b32 s3, s2
	s_cbranch_execz .LBB321_481
; %bb.474:                              ;   in Loop: Header=BB321_9 Depth=1
	v_cmp_ne_u16_sdwa s2, v9, v84 src0_sel:BYTE_0 src1_sel:DWORD
	v_bfrev_b32_e32 v27, 1
	s_and_saveexec_b32 s30, s2
	s_cbranch_execz .LBB321_480
; %bb.475:                              ;   in Loop: Header=BB321_9 Depth=1
	v_and_b32_e32 v26, 0x7f, v9
	v_mov_b32_e32 v27, 0x7f800001
	s_mov_b32 s31, exec_lo
	v_cmpx_ne_u32_e32 0x7f, v26
	s_cbranch_execz .LBB321_479
; %bb.476:                              ;   in Loop: Header=BB321_9 Depth=1
	v_and_b32_e32 v1, 7, v9
	v_lshrrev_b32_e32 v10, 3, v26
	s_mov_b32 s33, exec_lo
	v_cmpx_gt_u32_e32 8, v26
; %bb.477:                              ;   in Loop: Header=BB321_9 Depth=1
	v_ffbh_u32_e32 v10, v1
	v_min_u32_e32 v10, 32, v10
	v_subrev_nc_u32_e32 v26, 28, v10
	v_sub_nc_u32_e32 v10, 29, v10
	v_lshlrev_b64 v[26:27], v26, v[1:2]
	v_and_b32_e32 v1, 7, v26
; %bb.478:                              ;   in Loop: Header=BB321_9 Depth=1
	s_or_b32 exec_lo, exec_lo, s33
	v_lshlrev_b32_e32 v26, 24, v9
	v_lshlrev_b32_e32 v1, 20, v1
	v_lshl_add_u32 v10, v10, 23, 0x3c000000
	v_and_b32_e32 v26, 0x80000000, v26
	v_or3_b32 v27, v1, v26, v10
.LBB321_479:                            ;   in Loop: Header=BB321_9 Depth=1
	s_or_b32 exec_lo, exec_lo, s31
.LBB321_480:                            ;   in Loop: Header=BB321_9 Depth=1
	s_or_b32 exec_lo, exec_lo, s30
.LBB321_481:                            ;   in Loop: Header=BB321_9 Depth=1
	s_or_b32 exec_lo, exec_lo, s3
	v_cmp_ne_u16_sdwa s2, v9, v2 src0_sel:BYTE_1 src1_sel:DWORD
	s_and_saveexec_b32 s3, s2
	s_cbranch_execz .LBB321_489
; %bb.482:                              ;   in Loop: Header=BB321_9 Depth=1
	v_cmp_ne_u16_sdwa s2, v9, v84 src0_sel:BYTE_1 src1_sel:DWORD
	v_bfrev_b32_e32 v28, 1
	s_and_saveexec_b32 s30, s2
	s_cbranch_execz .LBB321_488
; %bb.483:                              ;   in Loop: Header=BB321_9 Depth=1
	v_and_b32_sdwa v1, v85, v9 dst_sel:DWORD dst_unused:UNUSED_PAD src0_sel:DWORD src1_sel:BYTE_1
	v_mov_b32_e32 v28, 0x7f800001
	s_mov_b32 s31, exec_lo
	v_and_b32_e32 v26, 0x7f, v1
	v_cmpx_ne_u32_e32 0x7f, v26
	s_cbranch_execz .LBB321_487
; %bb.484:                              ;   in Loop: Header=BB321_9 Depth=1
	v_and_b32_e32 v1, 7, v1
	v_lshrrev_b32_e32 v10, 3, v26
	s_mov_b32 s33, exec_lo
	v_cmpx_gt_u32_e32 8, v26
; %bb.485:                              ;   in Loop: Header=BB321_9 Depth=1
	v_ffbh_u32_e32 v10, v1
	v_min_u32_e32 v10, 32, v10
	v_subrev_nc_u32_e32 v26, 28, v10
	v_sub_nc_u32_e32 v10, 29, v10
	v_lshlrev_b64 v[28:29], v26, v[1:2]
	v_and_b32_e32 v1, 7, v28
; %bb.486:                              ;   in Loop: Header=BB321_9 Depth=1
	s_or_b32 exec_lo, exec_lo, s33
	v_lshlrev_b32_e32 v9, 16, v9
	v_lshlrev_b32_e32 v1, 20, v1
	v_lshl_add_u32 v10, v10, 23, 0x3c000000
	v_and_b32_e32 v9, 0x80000000, v9
	v_or3_b32 v28, v1, v9, v10
.LBB321_487:                            ;   in Loop: Header=BB321_9 Depth=1
	s_or_b32 exec_lo, exec_lo, s31
.LBB321_488:                            ;   in Loop: Header=BB321_9 Depth=1
	s_or_b32 exec_lo, exec_lo, s30
.LBB321_489:                            ;   in Loop: Header=BB321_9 Depth=1
	s_or_b32 exec_lo, exec_lo, s3
	global_load_ushort v1, v[7:8], off offset:1920
	v_mov_b32_e32 v9, 0
	v_mov_b32_e32 v29, 0
	s_waitcnt vmcnt(0)
	v_and_b32_e32 v26, 0xffff, v1
	v_cmp_ne_u16_sdwa s2, v1, v2 src0_sel:BYTE_0 src1_sel:DWORD
	s_and_saveexec_b32 s3, s2
	s_cbranch_execz .LBB321_497
; %bb.490:                              ;   in Loop: Header=BB321_9 Depth=1
	v_cmp_ne_u16_sdwa s2, v26, v84 src0_sel:BYTE_0 src1_sel:DWORD
	v_bfrev_b32_e32 v29, 1
	s_and_saveexec_b32 s30, s2
	s_cbranch_execz .LBB321_496
; %bb.491:                              ;   in Loop: Header=BB321_9 Depth=1
	v_and_b32_e32 v30, 0x7f, v26
	v_mov_b32_e32 v29, 0x7f800001
	s_mov_b32 s31, exec_lo
	v_cmpx_ne_u32_e32 0x7f, v30
	s_cbranch_execz .LBB321_495
; %bb.492:                              ;   in Loop: Header=BB321_9 Depth=1
	v_and_b32_e32 v1, 7, v26
	v_lshrrev_b32_e32 v10, 3, v30
	s_mov_b32 s33, exec_lo
	v_cmpx_gt_u32_e32 8, v30
; %bb.493:                              ;   in Loop: Header=BB321_9 Depth=1
	v_ffbh_u32_e32 v10, v1
	v_min_u32_e32 v10, 32, v10
	v_subrev_nc_u32_e32 v29, 28, v10
	v_sub_nc_u32_e32 v10, 29, v10
	v_lshlrev_b64 v[29:30], v29, v[1:2]
	v_and_b32_e32 v1, 7, v29
; %bb.494:                              ;   in Loop: Header=BB321_9 Depth=1
	s_or_b32 exec_lo, exec_lo, s33
	v_lshlrev_b32_e32 v29, 24, v26
	v_lshlrev_b32_e32 v1, 20, v1
	v_lshl_add_u32 v10, v10, 23, 0x3c000000
	v_and_b32_e32 v29, 0x80000000, v29
	v_or3_b32 v29, v1, v29, v10
.LBB321_495:                            ;   in Loop: Header=BB321_9 Depth=1
	s_or_b32 exec_lo, exec_lo, s31
.LBB321_496:                            ;   in Loop: Header=BB321_9 Depth=1
	s_or_b32 exec_lo, exec_lo, s30
.LBB321_497:                            ;   in Loop: Header=BB321_9 Depth=1
	s_or_b32 exec_lo, exec_lo, s3
	v_cmp_ne_u16_sdwa s2, v26, v2 src0_sel:BYTE_1 src1_sel:DWORD
	s_and_saveexec_b32 s3, s2
	s_cbranch_execz .LBB321_505
; %bb.498:                              ;   in Loop: Header=BB321_9 Depth=1
	v_cmp_ne_u16_sdwa s2, v26, v84 src0_sel:BYTE_1 src1_sel:DWORD
	v_bfrev_b32_e32 v9, 1
	s_and_saveexec_b32 s30, s2
	s_cbranch_execz .LBB321_504
; %bb.499:                              ;   in Loop: Header=BB321_9 Depth=1
	v_and_b32_sdwa v1, v85, v26 dst_sel:DWORD dst_unused:UNUSED_PAD src0_sel:DWORD src1_sel:BYTE_1
	v_mov_b32_e32 v9, 0x7f800001
	s_mov_b32 s31, exec_lo
	v_and_b32_e32 v10, 0x7f, v1
	v_cmpx_ne_u32_e32 0x7f, v10
	s_cbranch_execz .LBB321_503
; %bb.500:                              ;   in Loop: Header=BB321_9 Depth=1
	v_and_b32_e32 v1, 7, v1
	v_lshrrev_b32_e32 v30, 3, v10
	v_cmp_gt_u32_e64 s2, 8, v10
	v_mov_b32_e32 v10, v2
	v_mov_b32_e32 v9, v1
	s_and_saveexec_b32 s33, s2
; %bb.501:                              ;   in Loop: Header=BB321_9 Depth=1
	v_ffbh_u32_e32 v9, v1
	v_min_u32_e32 v30, 32, v9
	v_subrev_nc_u32_e32 v9, 28, v30
	v_sub_nc_u32_e32 v30, 29, v30
	v_lshlrev_b64 v[9:10], v9, v[1:2]
	v_and_b32_e32 v9, 7, v9
; %bb.502:                              ;   in Loop: Header=BB321_9 Depth=1
	s_or_b32 exec_lo, exec_lo, s33
	v_lshlrev_b32_e32 v1, 16, v26
	v_lshlrev_b32_e32 v9, 20, v9
	v_lshl_add_u32 v10, v30, 23, 0x3c000000
	v_and_b32_e32 v1, 0x80000000, v1
	v_or3_b32 v9, v9, v1, v10
.LBB321_503:                            ;   in Loop: Header=BB321_9 Depth=1
	s_or_b32 exec_lo, exec_lo, s31
.LBB321_504:                            ;   in Loop: Header=BB321_9 Depth=1
	s_or_b32 exec_lo, exec_lo, s30
.LBB321_505:                            ;   in Loop: Header=BB321_9 Depth=1
	s_or_b32 exec_lo, exec_lo, s3
	global_load_ushort v1, v[7:8], off offset:1928
	v_mov_b32_e32 v26, 0
	v_mov_b32_e32 v30, 0
	s_waitcnt vmcnt(0)
	v_and_b32_e32 v10, 0xffff, v1
	v_cmp_ne_u16_sdwa s2, v1, v2 src0_sel:BYTE_0 src1_sel:DWORD
	s_and_saveexec_b32 s3, s2
	s_cbranch_execz .LBB321_513
; %bb.506:                              ;   in Loop: Header=BB321_9 Depth=1
	v_cmp_ne_u16_sdwa s2, v10, v84 src0_sel:BYTE_0 src1_sel:DWORD
	v_bfrev_b32_e32 v30, 1
	s_and_saveexec_b32 s30, s2
	s_cbranch_execz .LBB321_512
; %bb.507:                              ;   in Loop: Header=BB321_9 Depth=1
	v_and_b32_e32 v7, 0x7f, v10
	v_mov_b32_e32 v30, 0x7f800001
	s_mov_b32 s31, exec_lo
	v_cmpx_ne_u32_e32 0x7f, v7
	s_cbranch_execz .LBB321_511
; %bb.508:                              ;   in Loop: Header=BB321_9 Depth=1
	v_and_b32_e32 v1, 7, v10
	v_lshrrev_b32_e32 v30, 3, v7
	v_cmp_gt_u32_e64 s2, 8, v7
	v_mov_b32_e32 v8, v2
	v_mov_b32_e32 v7, v1
	s_and_saveexec_b32 s33, s2
; %bb.509:                              ;   in Loop: Header=BB321_9 Depth=1
	v_ffbh_u32_e32 v7, v1
	v_min_u32_e32 v30, 32, v7
	v_subrev_nc_u32_e32 v7, 28, v30
	v_sub_nc_u32_e32 v30, 29, v30
	v_lshlrev_b64 v[7:8], v7, v[1:2]
	v_and_b32_e32 v7, 7, v7
; %bb.510:                              ;   in Loop: Header=BB321_9 Depth=1
	s_or_b32 exec_lo, exec_lo, s33
	v_lshlrev_b32_e32 v1, 24, v10
	v_lshlrev_b32_e32 v7, 20, v7
	v_lshl_add_u32 v8, v30, 23, 0x3c000000
	v_and_b32_e32 v1, 0x80000000, v1
	v_or3_b32 v30, v7, v1, v8
.LBB321_511:                            ;   in Loop: Header=BB321_9 Depth=1
	s_or_b32 exec_lo, exec_lo, s31
.LBB321_512:                            ;   in Loop: Header=BB321_9 Depth=1
	s_or_b32 exec_lo, exec_lo, s30
.LBB321_513:                            ;   in Loop: Header=BB321_9 Depth=1
	s_or_b32 exec_lo, exec_lo, s3
	v_cmp_ne_u16_sdwa s2, v10, v2 src0_sel:BYTE_1 src1_sel:DWORD
	s_and_saveexec_b32 s3, s2
	s_cbranch_execz .LBB321_521
; %bb.514:                              ;   in Loop: Header=BB321_9 Depth=1
	v_cmp_ne_u16_sdwa s2, v10, v84 src0_sel:BYTE_1 src1_sel:DWORD
	v_bfrev_b32_e32 v26, 1
	s_and_saveexec_b32 s30, s2
	s_cbranch_execz .LBB321_520
; %bb.515:                              ;   in Loop: Header=BB321_9 Depth=1
	v_and_b32_sdwa v1, v85, v10 dst_sel:DWORD dst_unused:UNUSED_PAD src0_sel:DWORD src1_sel:BYTE_1
	v_mov_b32_e32 v26, 0x7f800001
	s_mov_b32 s31, exec_lo
	v_and_b32_e32 v7, 0x7f, v1
	v_cmpx_ne_u32_e32 0x7f, v7
	s_cbranch_execz .LBB321_519
; %bb.516:                              ;   in Loop: Header=BB321_9 Depth=1
	v_and_b32_e32 v1, 7, v1
	v_lshrrev_b32_e32 v26, 3, v7
	v_cmp_gt_u32_e64 s2, 8, v7
	v_mov_b32_e32 v8, v2
	v_mov_b32_e32 v7, v1
	s_and_saveexec_b32 s33, s2
; %bb.517:                              ;   in Loop: Header=BB321_9 Depth=1
	v_ffbh_u32_e32 v7, v1
	v_min_u32_e32 v26, 32, v7
	v_subrev_nc_u32_e32 v7, 28, v26
	v_sub_nc_u32_e32 v26, 29, v26
	v_lshlrev_b64 v[7:8], v7, v[1:2]
	v_and_b32_e32 v7, 7, v7
; %bb.518:                              ;   in Loop: Header=BB321_9 Depth=1
	s_or_b32 exec_lo, exec_lo, s33
	v_lshlrev_b32_e32 v1, 16, v10
	v_lshlrev_b32_e32 v7, 20, v7
	v_lshl_add_u32 v8, v26, 23, 0x3c000000
	v_and_b32_e32 v1, 0x80000000, v1
	v_or3_b32 v26, v7, v1, v8
.LBB321_519:                            ;   in Loop: Header=BB321_9 Depth=1
	s_or_b32 exec_lo, exec_lo, s31
.LBB321_520:                            ;   in Loop: Header=BB321_9 Depth=1
	s_or_b32 exec_lo, exec_lo, s30
.LBB321_521:                            ;   in Loop: Header=BB321_9 Depth=1
	s_or_b32 exec_lo, exec_lo, s3
	v_mul_f32_e32 v1, s4, v30
	v_mul_f32_e32 v22, s4, v22
	v_mul_f32_e32 v23, s4, v23
	v_mul_f32_e32 v24, s4, v24
	v_mul_f32_e32 v25, s4, v25
	v_bfe_u32 v7, v1, 16, 1
	v_or_b32_e32 v8, 0x400000, v1
	v_cmp_u_f32_e64 s2, v1, v1
	v_mul_f32_e32 v20, s4, v20
	v_mul_f32_e32 v19, s4, v19
	v_add3_u32 v7, v7, v1, 0x7fff
	v_mul_f32_e32 v18, s4, v18
	v_mul_f32_e32 v17, s4, v17
	v_mul_f32_e32 v16, s4, v16
	v_mul_f32_e32 v15, s4, v15
	v_cndmask_b32_e64 v1, v7, v8, s2
	v_mul_f32_e32 v7, s4, v9
	v_mul_f32_e32 v14, s4, v14
	v_mul_f32_e32 v12, s4, v12
	v_mul_f32_e32 v0, s4, v0
	v_mul_f32_e32 v11, s4, v11
	v_bfe_u32 v8, v7, 16, 1
	v_or_b32_e32 v9, 0x400000, v7
	v_cmp_u_f32_e64 s2, v7, v7
	v_mul_f32_e32 v21, s4, v21
	v_mul_f32_e32 v13, s4, v13
	v_add3_u32 v8, v8, v7, 0x7fff
	v_mul_f32_e32 v102, s4, v102
	v_mul_f32_e32 v101, s4, v101
	v_mul_f32_e32 v100, s4, v100
	v_mul_f32_e32 v99, s4, v99
	v_cndmask_b32_e64 v7, v8, v9, s2
	;; [unrolled: 16-line block ×3, first 2 shown]
	v_mul_f32_e32 v9, s4, v28
	v_mul_f32_e32 v88, s4, v88
	;; [unrolled: 1-line block ×4, first 2 shown]
	v_bfe_u32 v10, v9, 16, 1
	v_or_b32_e32 v28, 0x400000, v9
	v_cmp_u_f32_e64 s2, v9, v9
	v_add3_u32 v10, v10, v9, 0x7fff
	v_cndmask_b32_e64 v9, v10, v28, s2
	v_mul_f32_e32 v10, s4, v27
	v_bfe_u32 v27, v10, 16, 1
	v_or_b32_e32 v28, 0x400000, v10
	v_cmp_u_f32_e64 s2, v10, v10
	v_add3_u32 v27, v27, v10, 0x7fff
	v_cndmask_b32_e64 v10, v27, v28, s2
	v_bfe_u32 v27, v22, 16, 1
	v_or_b32_e32 v28, 0x400000, v22
	v_cmp_u_f32_e64 s2, v22, v22
	v_add3_u32 v27, v27, v22, 0x7fff
	v_cndmask_b32_e64 v22, v27, v28, s2
	;; [unrolled: 5-line block ×14, first 2 shown]
	v_bfe_u32 v27, v11, 16, 1
	v_or_b32_e32 v28, 0x400000, v11
	v_cmp_u_f32_e64 s2, v11, v11
	v_and_b32_e32 v0, 0xffff0000, v0
	v_add3_u32 v27, v27, v11, 0x7fff
	v_cndmask_b32_e64 v11, v27, v28, s2
	v_mul_f32_e32 v27, s4, v45
	v_and_b32_e32 v11, 0xffff0000, v11
	v_bfe_u32 v28, v27, 16, 1
	v_or_b32_e32 v29, 0x400000, v27
	v_cmp_u_f32_e64 s2, v27, v27
	v_add3_u32 v28, v28, v27, 0x7fff
	v_bfe_u32 v27, v21, 16, 1
	v_cndmask_b32_e64 v45, v28, v29, s2
	v_add3_u32 v27, v27, v21, 0x7fff
	v_or_b32_e32 v28, 0x400000, v21
	v_cmp_u_f32_e64 s2, v21, v21
	v_cndmask_b32_e64 v21, v27, v28, s2
	v_bfe_u32 v27, v13, 16, 1
	v_or_b32_e32 v28, 0x400000, v13
	v_cmp_u_f32_e64 s2, v13, v13
	v_add3_u32 v27, v27, v13, 0x7fff
	v_cndmask_b32_e64 v13, v27, v28, s2
	v_mul_f32_e32 v27, s4, v127
	v_and_b32_e32 v13, 0xffff0000, v13
	v_bfe_u32 v28, v27, 16, 1
	v_or_b32_e32 v29, 0x400000, v27
	v_cmp_u_f32_e64 s2, v27, v27
	v_add3_u32 v28, v28, v27, 0x7fff
	v_mul_f32_e32 v27, s4, v126
	v_cndmask_b32_e64 v127, v28, v29, s2
	v_bfe_u32 v28, v27, 16, 1
	v_or_b32_e32 v29, 0x400000, v27
	v_cmp_u_f32_e64 s2, v27, v27
	v_add3_u32 v28, v28, v27, 0x7fff
	v_mul_f32_e32 v27, s4, v125
	v_cndmask_b32_e64 v126, v28, v29, s2
	;; [unrolled: 6-line block ×9, first 2 shown]
	v_bfe_u32 v28, v27, 16, 1
	v_or_b32_e32 v29, 0x400000, v27
	v_cmp_u_f32_e64 s2, v27, v27
	v_add3_u32 v28, v28, v27, 0x7fff
	v_cndmask_b32_e64 v27, v28, v29, s2
	v_mul_f32_e32 v28, s4, v117
	v_and_b32_e32 v27, 0xffff0000, v27
	v_bfe_u32 v29, v28, 16, 1
	v_or_b32_e32 v30, 0x400000, v28
	v_cmp_u_f32_e64 s2, v28, v28
	v_add3_u32 v29, v29, v28, 0x7fff
	v_cndmask_b32_e64 v28, v29, v30, s2
	v_mul_f32_e32 v29, s4, v116
	v_and_b32_e32 v28, 0xffff0000, v28
	v_bfe_u32 v30, v29, 16, 1
	v_or_b32_e32 v116, 0x400000, v29
	v_cmp_u_f32_e64 s2, v29, v29
	v_add3_u32 v30, v30, v29, 0x7fff
	v_mul_f32_e32 v29, s4, v115
	v_cndmask_b32_e64 v116, v30, v116, s2
	v_bfe_u32 v30, v29, 16, 1
	v_or_b32_e32 v115, 0x400000, v29
	v_cmp_u_f32_e64 s2, v29, v29
	v_add3_u32 v30, v30, v29, 0x7fff
	v_mul_f32_e32 v29, s4, v114
	v_cndmask_b32_e64 v115, v30, v115, s2
	;; [unrolled: 6-line block ×11, first 2 shown]
	v_bfe_u32 v30, v29, 16, 1
	v_or_b32_e32 v105, 0x400000, v29
	v_cmp_u_f32_e64 s2, v29, v29
	v_add3_u32 v30, v30, v29, 0x7fff
	v_cndmask_b32_e64 v29, v30, v105, s2
	v_mul_f32_e32 v30, s4, v104
	v_and_b32_e32 v29, 0xffff0000, v29
	v_bfe_u32 v104, v30, 16, 1
	v_or_b32_e32 v105, 0x400000, v30
	v_cmp_u_f32_e64 s2, v30, v30
	v_add3_u32 v104, v104, v30, 0x7fff
	v_mul_f32_e32 v30, s4, v103
	v_cndmask_b32_e64 v104, v104, v105, s2
	v_bfe_u32 v103, v30, 16, 1
	v_or_b32_e32 v105, 0x400000, v30
	v_cmp_u_f32_e64 s2, v30, v30
	v_add3_u32 v103, v103, v30, 0x7fff
	v_cndmask_b32_e64 v30, v103, v105, s2
	v_bfe_u32 v103, v102, 16, 1
	v_or_b32_e32 v105, 0x400000, v102
	v_cmp_u_f32_e64 s2, v102, v102
	v_and_b32_e32 v30, 0xffff0000, v30
	v_add3_u32 v103, v103, v102, 0x7fff
	v_cndmask_b32_e64 v102, v103, v105, s2
	v_bfe_u32 v103, v101, 16, 1
	v_or_b32_e32 v105, 0x400000, v101
	v_cmp_u_f32_e64 s2, v101, v101
	v_add3_u32 v103, v103, v101, 0x7fff
	v_cndmask_b32_e64 v101, v103, v105, s2
	v_bfe_u32 v103, v100, 16, 1
	v_or_b32_e32 v105, 0x400000, v100
	v_cmp_u_f32_e64 s2, v100, v100
	;; [unrolled: 5-line block ×14, first 2 shown]
	v_and_b32_e32 v89, 0xffff0000, v89
	v_add3_u32 v103, v103, v88, 0x7fff
	v_cndmask_b32_e64 v88, v103, v105, s2
	v_bfe_u32 v103, v87, 16, 1
	v_or_b32_e32 v105, 0x400000, v87
	v_cmp_u_f32_e64 s2, v87, v87
	v_add3_u32 v103, v103, v87, 0x7fff
	v_cndmask_b32_e64 v87, v103, v105, s2
	v_bfe_u32 v103, v26, 16, 1
	v_or_b32_e32 v105, 0x400000, v26
	v_cmp_u_f32_e64 s2, v26, v26
	v_add3_u32 v103, v103, v26, 0x7fff
	v_cndmask_b32_e64 v26, v103, v105, s2
	v_and_b32_e32 v103, 0xffff0000, v87
	buffer_load_dword v87, off, s[36:39], 0 offset:8 ; 4-byte Folded Reload
	s_waitcnt vmcnt(0)
	v_mul_f32_e32 v87, v87, v89
	buffer_load_dword v89, off, s[36:39], 0 ; 4-byte Folded Reload
	s_waitcnt vmcnt(0)
	v_fmac_f32_e32 v87, v89, v103
	v_and_b32_e32 v89, 0xffff0000, v90
	v_and_b32_e32 v90, 0xffff0000, v88
	buffer_load_dword v88, off, s[36:39], 0 offset:12 ; 4-byte Folded Reload
	s_waitcnt vmcnt(0)
	v_mul_f32_e32 v88, v88, v89
	buffer_load_dword v89, off, s[36:39], 0 offset:4 ; 4-byte Folded Reload
	s_waitcnt vmcnt(0)
	v_fmac_f32_e32 v88, v89, v90
	buffer_load_dword v90, off, s[36:39], 0 offset:16 ; 4-byte Folded Reload
	v_and_b32_e32 v89, 0xffff0000, v91
	s_waitcnt vmcnt(0)
	v_fmac_f32_e32 v87, v90, v89
	buffer_load_dword v90, off, s[36:39], 0 offset:20 ; 4-byte Folded Reload
	v_and_b32_e32 v89, 0xffff0000, v92
	;; [unrolled: 4-line block ×12, first 2 shown]
	s_waitcnt vmcnt(0)
	v_fmac_f32_e32 v88, v90, v89
	buffer_load_dword v89, off, s[36:39], 0 offset:64 ; 4-byte Folded Reload
	s_waitcnt vmcnt(0)
	v_fmac_f32_e32 v87, v89, v30
	v_and_b32_e32 v30, 0xffff0000, v104
	v_fmac_f32_e32 v87, v32, v29
	v_fmac_f32_e32 v88, v31, v30
	v_and_b32_e32 v29, 0xffff0000, v106
	v_fmac_f32_e32 v88, v33, v29
	v_and_b32_e32 v29, 0xffff0000, v107
	;; [unrolled: 2-line block ×11, first 2 shown]
	v_fmac_f32_e32 v87, v44, v28
	v_fmac_f32_e32 v88, v43, v29
	;; [unrolled: 1-line block ×3, first 2 shown]
	v_and_b32_e32 v27, 0xffff0000, v119
	v_fmac_f32_e32 v87, v47, v27
	v_and_b32_e32 v27, 0xffff0000, v120
	v_fmac_f32_e32 v88, v48, v27
	;; [unrolled: 2-line block ×9, first 2 shown]
	v_fmac_f32_e32 v87, v55, v27
	v_and_b32_e32 v13, 0xffff0000, v21
	v_fmac_f32_e32 v87, v57, v13
	v_and_b32_e32 v13, 0xffff0000, v45
	v_fmac_f32_e32 v87, v59, v11
	v_fmac_f32_e32 v88, v58, v13
	;; [unrolled: 1-line block ×3, first 2 shown]
	v_and_b32_e32 v0, 0xffff0000, v12
	v_fmac_f32_e32 v87, v61, v0
	v_and_b32_e32 v0, 0xffff0000, v14
	v_fmac_f32_e32 v88, v62, v0
	;; [unrolled: 2-line block ×18, first 2 shown]
	v_add_f32_e32 v0, v87, v88
	ds_bpermute_b32 v1, v80, v0
	s_waitcnt lgkmcnt(0)
	v_add_f32_e32 v0, v0, v1
	ds_bpermute_b32 v1, v81, v0
	s_and_saveexec_b32 s3, vcc_lo
	s_cbranch_execz .LBB321_8
; %bb.522:                              ;   in Loop: Header=BB321_9 Depth=1
	v_add_nc_u32_e32 v7, s5, v82
	s_waitcnt lgkmcnt(0)
	v_add_f32_e32 v0, v0, v1
	v_cmp_gt_i32_e64 s2, s11, v82
	v_cvt_f32_i32_e32 v7, v7
	v_mul_f32_e32 v7, s28, v7
	v_cndmask_b32_e64 v1, 0, v7, s1
	v_max_f32_e32 v7, v79, v79
	v_fmac_f32_e32 v1, s29, v0
	v_max_f32_e32 v0, v7, v1
	v_cndmask_b32_e64 v1, 0, v1, s2
	v_cndmask_b32_e64 v79, v79, v0, s2
	ds_write_b32 v83, v1
	s_branch .LBB321_8
.LBB321_523:
	s_or_b32 exec_lo, exec_lo, s16
	s_clause 0x3
	buffer_load_dword v31, off, s[36:39], 0 offset:68
	buffer_load_dword v86, off, s[36:39], 0 offset:72
	;; [unrolled: 1-line block ×4, first 2 shown]
	v_mov_b32_e32 v10, 32
.LBB321_524:
	s_or_b32 exec_lo, exec_lo, s15
	s_waitcnt vmcnt(0)
	v_xor_b32_e32 v0, 16, v23
	v_xor_b32_e32 v3, 8, v23
	v_max_f32_e32 v4, v79, v79
	v_xor_b32_e32 v5, 4, v23
	v_and_b32_e32 v27, 31, v31
	v_cmp_lt_i32_e32 vcc_lo, v0, v10
	v_cndmask_b32_e32 v0, v23, v0, vcc_lo
	v_cmp_lt_i32_e32 vcc_lo, v3, v10
	s_waitcnt lgkmcnt(0)
	v_lshlrev_b32_e32 v1, 2, v0
	v_cndmask_b32_e32 v3, v23, v3, vcc_lo
	v_cmp_lt_i32_e32 vcc_lo, v5, v10
	ds_bpermute_b32 v0, v1, v79
	v_lshlrev_b32_e32 v3, 2, v3
	v_cndmask_b32_e32 v5, v23, v5, vcc_lo
	v_cmp_eq_u32_e32 vcc_lo, 0, v27
	v_lshlrev_b32_e32 v6, 2, v5
	s_waitcnt lgkmcnt(0)
	v_max_f32_e32 v0, v0, v0
	v_max_f32_e32 v0, v4, v0
	ds_bpermute_b32 v4, v3, v0
	s_waitcnt lgkmcnt(0)
	v_max_f32_e32 v4, v4, v4
	v_max_f32_e32 v0, v0, v4
	v_lshlrev_b32_e32 v4, 2, v86
	ds_bpermute_b32 v5, v6, v0
	s_and_saveexec_b32 s1, vcc_lo
	s_cbranch_execz .LBB321_526
; %bb.525:
	s_waitcnt lgkmcnt(0)
	v_max_f32_e32 v5, v5, v5
	v_max_f32_e32 v0, v0, v0
	v_max_f32_e32 v0, v0, v5
	ds_write_b32 v4, v0 offset:512
.LBB321_526:
	s_or_b32 exec_lo, exec_lo, s1
	v_cmp_gt_u32_e64 s1, 4, v27
	v_mov_b32_e32 v0, 0xff7fffff
	s_waitcnt lgkmcnt(0)
	v_lshlrev_b32_e32 v5, 2, v27
	s_waitcnt_vscnt null, 0x0
	s_barrier
	buffer_gl0_inv
	s_and_saveexec_b32 s2, s1
; %bb.527:
	ds_read_b32 v0, v5 offset:512
; %bb.528:
	s_or_b32 exec_lo, exec_lo, s2
	v_xor_b32_e32 v7, 2, v23
	v_xor_b32_e32 v9, 1, v23
	v_lshlrev_b32_e32 v2, 2, v2
	v_cmp_lt_i32_e64 s2, v7, v10
	v_cndmask_b32_e64 v7, v23, v7, s2
	v_cmp_lt_i32_e64 s2, v9, v10
	v_lshlrev_b32_e32 v7, 2, v7
	v_cndmask_b32_e64 v9, v23, v9, s2
	s_lshl_b32 s2, s12, 3
	s_min_i32 s4, s2, s11
	s_waitcnt lgkmcnt(0)
	ds_bpermute_b32 v8, v7, v0
	v_max_f32_e32 v0, v0, v0
	v_cmp_gt_i32_e64 s2, s4, v31
	s_waitcnt lgkmcnt(0)
	v_max_f32_e32 v10, v8, v8
	v_lshlrev_b32_e32 v8, 2, v9
	v_max_f32_e32 v0, v0, v10
	ds_bpermute_b32 v9, v8, v0
	s_waitcnt lgkmcnt(0)
	v_max_f32_e32 v9, v9, v9
	v_max_f32_e32 v0, v0, v9
	ds_bpermute_b32 v9, v2, v0
	v_mov_b32_e32 v2, 0
	v_lshl_add_u32 v0, v31, 2, 0x220
	s_and_saveexec_b32 s5, s2
	s_cbranch_execz .LBB321_532
; %bb.529:
	v_lshl_add_u32 v10, v31, 2, 0x220
	v_mov_b32_e32 v2, 0
	v_mov_b32_e32 v11, v31
	s_mov_b32 s15, 0
	.p2align	6
.LBB321_530:                            ; =>This Inner Loop Header: Depth=1
	ds_read_b32 v12, v10
	v_add_nc_u32_e32 v11, 0x80, v11
	v_cmp_le_i32_e64 s3, s4, v11
	s_or_b32 s15, s3, s15
	s_waitcnt lgkmcnt(0)
	v_sub_f32_e32 v12, v12, v9
	v_mul_f32_e32 v12, 0x3fb8aa3b, v12
	v_exp_f32_e32 v12, v12
	ds_write_b32 v10, v12
	v_add_f32_e32 v2, v2, v12
	v_add_nc_u32_e32 v10, 0x200, v10
	s_andn2_b32 exec_lo, exec_lo, s15
	s_cbranch_execnz .LBB321_530
; %bb.531:
	s_or_b32 exec_lo, exec_lo, s15
.LBB321_532:
	s_or_b32 exec_lo, exec_lo, s5
	ds_bpermute_b32 v1, v1, v2
	s_waitcnt lgkmcnt(0)
	v_add_f32_e32 v1, v2, v1
	ds_bpermute_b32 v2, v3, v1
	s_waitcnt lgkmcnt(0)
	v_add_f32_e32 v1, v1, v2
	;; [unrolled: 3-line block ×5, first 2 shown]
	s_and_saveexec_b32 s3, vcc_lo
; %bb.533:
	ds_write_b32 v4, v1 offset:528
; %bb.534:
	s_or_b32 exec_lo, exec_lo, s3
	s_waitcnt lgkmcnt(0)
	s_barrier
	buffer_gl0_inv
	s_and_saveexec_b32 s3, s1
; %bb.535:
	ds_read_b32 v1, v5 offset:528
; %bb.536:
	s_or_b32 exec_lo, exec_lo, s3
	s_waitcnt lgkmcnt(0)
	ds_bpermute_b32 v2, v7, v1
	v_lshlrev_b32_e32 v3, 2, v23
	s_waitcnt lgkmcnt(0)
	v_add_f32_e32 v1, v1, v2
	ds_bpermute_b32 v2, v8, v1
	s_waitcnt lgkmcnt(0)
	v_add_f32_e32 v1, v1, v2
	v_and_b32_e32 v2, 0xffffff80, v3
	ds_bpermute_b32 v1, v2, v1
	s_and_saveexec_b32 s1, s2
	s_cbranch_execz .LBB321_539
; %bb.537:
	s_waitcnt lgkmcnt(0)
	v_add_f32_e32 v1, 0x358637bd, v1
	s_mov_b32 s2, 0
	v_div_scale_f32 v2, null, v1, v1, 1.0
	v_div_scale_f32 v5, vcc_lo, 1.0, v1, 1.0
	v_rcp_f32_e32 v3, v2
	v_fma_f32 v4, -v2, v3, 1.0
	v_fmac_f32_e32 v3, v4, v3
	v_mul_f32_e32 v4, v5, v3
	v_fma_f32 v6, -v2, v4, v5
	v_fmac_f32_e32 v4, v6, v3
	v_fma_f32 v2, -v2, v4, v5
	v_div_fmas_f32 v2, v2, v3, v4
	v_div_fixup_f32 v1, v2, v1, 1.0
	v_mov_b32_e32 v2, v31
.LBB321_538:                            ; =>This Inner Loop Header: Depth=1
	ds_read_b32 v3, v0
	v_add_nc_u32_e32 v2, 0x80, v2
	v_cmp_le_i32_e32 vcc_lo, s4, v2
	s_or_b32 s2, vcc_lo, s2
	s_waitcnt lgkmcnt(0)
	v_mul_f32_e32 v3, v1, v3
	ds_write_b32 v0, v3
	v_add_nc_u32_e32 v0, 0x200, v0
	s_andn2_b32 exec_lo, exec_lo, s2
	s_cbranch_execnz .LBB321_538
.LBB321_539:
	s_or_b32 exec_lo, exec_lo, s1
	v_mov_b32_e32 v30, 0
	v_mov_b32_e32 v29, 0
	;; [unrolled: 1-line block ×8, first 2 shown]
	s_waitcnt lgkmcnt(0)
	s_barrier
	buffer_gl0_inv
	s_and_saveexec_b32 s1, s0
	s_cbranch_execz .LBB321_1039
; %bb.540:
	s_load_dword s5, s[18:19], 0x0
	v_lshlrev_b32_e32 v0, 3, v27
	s_ashr_i32 s0, s14, 31
	s_add_u32 s2, s26, s14
	s_addc_u32 s0, s27, s0
	s_mov_b32 s4, s13
	v_add_co_u32 v11, s2, s2, v0
	v_and_b32_e32 v0, 0x7c, v45
	v_add_co_ci_u32_e64 v12, null, s0, 0, s2
	s_lshl_b64 s[2:3], s[24:25], 2
	s_add_i32 s13, s12, -1
	s_add_u32 s0, s22, s2
	s_addc_u32 s2, s23, s3
	v_add_co_u32 v13, s0, s0, v0
	v_mov_b32_e32 v108, v31
	v_mov_b32_e32 v10, 0
	v_lshl_or_b32 v31, v86, 3, 7
	v_lshl_add_u32 v32, v86, 5, 0x220
	v_add_co_ci_u32_e64 v14, null, s2, 0, s0
	v_mov_b32_e32 v33, 0x80
	v_mov_b32_e32 v34, 0xffff
	;; [unrolled: 1-line block ×15, first 2 shown]
	s_mov_b32 s2, -1
	s_mov_b32 s3, 0xffffff
	s_mov_b32 s14, 0
	s_branch .LBB321_542
.LBB321_541:                            ;   in Loop: Header=BB321_542 Depth=1
	s_or_b32 exec_lo, exec_lo, s0
	v_bfe_u32 v47, v5, 16, 1
	v_bfe_u32 v53, v6, 16, 1
	v_or_b32_e32 v54, 0x400000, v5
	v_cmp_u_f32_e32 vcc_lo, v5, v5
	v_or_b32_e32 v55, 0x400000, v6
	v_add3_u32 v47, v47, v5, 0x7fff
	v_bfe_u32 v56, v7, 16, 1
	v_add3_u32 v53, v53, v6, 0x7fff
	v_bfe_u32 v57, v8, 16, 1
	v_lshlrev_b32_e32 v20, 16, v20
	v_cndmask_b32_e32 v5, v47, v54, vcc_lo
	v_cmp_u_f32_e32 vcc_lo, v6, v6
	v_add3_u32 v47, v56, v7, 0x7fff
	v_bfe_u32 v54, v1, 16, 1
	v_or_b32_e32 v56, 0x400000, v8
	v_and_b32_e32 v5, 0xffff0000, v5
	v_cndmask_b32_e32 v6, v53, v55, vcc_lo
	v_or_b32_e32 v53, 0x400000, v7
	v_cmp_u_f32_e32 vcc_lo, v7, v7
	v_add3_u32 v55, v57, v8, 0x7fff
	v_lshlrev_b32_e32 v0, 16, v0
	v_lshlrev_b32_e32 v86, 16, v86
	;; [unrolled: 1-line block ×3, first 2 shown]
	v_cndmask_b32_e32 v7, v47, v53, vcc_lo
	v_cmp_u_f32_e32 vcc_lo, v8, v8
	v_add3_u32 v47, v54, v1, 0x7fff
	v_or_b32_e32 v53, 0x400000, v1
	v_bfe_u32 v54, v2, 16, 1
	v_mul_f32_e32 v0, v5, v0
	v_cndmask_b32_e32 v8, v55, v56, vcc_lo
	v_cmp_u_f32_e32 vcc_lo, v1, v1
	v_and_b32_e32 v1, 0xffff0000, v6
	v_lshlrev_b32_e32 v6, 16, v100
	v_add3_u32 v54, v54, v2, 0x7fff
	v_or_b32_e32 v55, 0x400000, v2
	v_cndmask_b32_e32 v47, v47, v53, vcc_lo
	v_bfe_u32 v53, v3, 16, 1
	v_cmp_u_f32_e32 vcc_lo, v2, v2
	v_or_b32_e32 v56, 0x400000, v3
	v_mul_f32_e32 v6, v1, v6
	v_lshlrev_b32_e32 v89, 16, v89
	v_add3_u32 v53, v53, v3, 0x7fff
	v_cndmask_b32_e32 v2, v54, v55, vcc_lo
	v_bfe_u32 v54, v4, 16, 1
	v_cmp_u_f32_e32 vcc_lo, v3, v3
	v_bfe_u32 v3, v6, 16, 1
	v_lshlrev_b32_e32 v55, 16, v99
	v_or_b32_e32 v58, 0x400000, v6
	v_add3_u32 v54, v54, v4, 0x7fff
	v_cndmask_b32_e32 v53, v53, v56, vcc_lo
	v_or_b32_e32 v56, 0x400000, v4
	v_cmp_u_f32_e32 vcc_lo, v4, v4
	v_add3_u32 v57, v3, v6, 0x7fff
	v_mul_f32_e32 v55, v5, v55
	v_and_b32_e32 v3, 0xffff0000, v8
	v_lshlrev_b32_e32 v8, 16, v97
	v_cndmask_b32_e32 v4, v54, v56, vcc_lo
	v_cmp_u_f32_e32 vcc_lo, v6, v6
	v_bfe_u32 v56, v55, 16, 1
	v_and_b32_e32 v6, 0xffff0000, v7
	v_lshlrev_b32_e32 v7, 16, v98
	v_and_b32_e32 v2, 0xffff0000, v2
	v_cndmask_b32_e32 v54, v57, v58, vcc_lo
	v_mul_f32_e32 v57, v3, v8
	v_lshlrev_b32_e32 v8, 16, v93
	v_add3_u32 v56, v56, v55, 0x7fff
	v_or_b32_e32 v58, 0x400000, v55
	v_mul_f32_e32 v7, v6, v7
	v_bfe_u32 v93, v57, 16, 1
	v_cmp_u_f32_e32 vcc_lo, v55, v55
	v_mul_f32_e32 v97, v2, v8
	v_and_b32_e32 v8, 0xffff0000, v47
	v_and_b32_e32 v4, 0xffff0000, v4
	;; [unrolled: 1-line block ×3, first 2 shown]
	v_cndmask_b32_e32 v55, v56, v58, vcc_lo
	v_add3_u32 v56, v93, v57, 0x7fff
	v_or_b32_e32 v58, 0x400000, v57
	v_bfe_u32 v93, v7, 16, 1
	v_cmp_u_f32_e32 vcc_lo, v57, v57
	v_bfe_u32 v98, v97, 16, 1
	v_or_b32_e32 v57, 0x400000, v7
	v_mul_f32_e32 v20, v8, v20
	v_and_b32_e32 v55, 0xffff0000, v55
	v_cndmask_b32_e32 v47, v56, v58, vcc_lo
	v_add3_u32 v56, v93, v7, 0x7fff
	v_cmp_u_f32_e32 vcc_lo, v7, v7
	v_add3_u32 v58, v98, v97, 0x7fff
	v_lshlrev_b32_e32 v93, 16, v96
	v_or_b32_e32 v96, 0x400000, v97
	v_bfe_u32 v98, v20, 16, 1
	v_cndmask_b32_e32 v56, v56, v57, vcc_lo
	v_cmp_u_f32_e32 vcc_lo, v97, v97
	v_mul_f32_e32 v57, v4, v93
	v_and_b32_e32 v7, 0xffff0000, v53
	v_add3_u32 v93, v98, v20, 0x7fff
	v_lshlrev_b32_e32 v53, 16, v95
	v_cndmask_b32_e32 v58, v58, v96, vcc_lo
	v_or_b32_e32 v96, 0x400000, v20
	v_cmp_u_f32_e32 vcc_lo, v20, v20
	v_bfe_u32 v97, v57, 16, 1
	v_and_b32_e32 v56, 0xffff0000, v56
	v_and_b32_e32 v47, 0xffff0000, v47
	v_or_b32_e32 v95, 0x400000, v57
	v_cndmask_b32_e32 v20, v93, v96, vcc_lo
	v_add3_u32 v93, v97, v57, 0x7fff
	v_mul_f32_e32 v53, v7, v53
	v_cmp_u_f32_e32 vcc_lo, v57, v57
	v_add_f32_e32 v54, v55, v54
	v_add_f32_e32 v47, v56, v47
	v_and_b32_e32 v20, 0xffff0000, v20
	v_lshlrev_b32_e32 v55, 16, v91
	v_and_b32_e32 v56, 0xffff0000, v58
	v_cndmask_b32_e32 v57, v93, v95, vcc_lo
	v_bfe_u32 v93, v53, 16, 1
	v_add_f32_e32 v47, v47, v54
	v_mul_f32_e32 v54, v1, v55
	v_add_f32_e32 v20, v20, v56
	v_or_b32_e32 v91, 0x400000, v53
	v_add3_u32 v58, v93, v53, 0x7fff
	v_cmp_u_f32_e32 vcc_lo, v53, v53
	v_bfe_u32 v55, v54, 16, 1
	v_add_f32_e32 v20, v20, v47
	v_lshlrev_b32_e32 v47, 16, v88
	v_or_b32_e32 v56, 0x400000, v54
	v_cndmask_b32_e32 v53, v58, v91, vcc_lo
	v_add3_u32 v55, v55, v54, 0x7fff
	v_bfe_u32 v58, v0, 16, 1
	v_mul_f32_e32 v47, v3, v47
	v_lshlrev_b32_e32 v88, 16, v90
	v_cmp_u_f32_e32 vcc_lo, v54, v54
	v_mul_f32_e32 v86, v2, v86
	v_mul_f32_e32 v21, v8, v21
	v_lshlrev_b32_e32 v87, 16, v87
	v_mul_f32_e32 v88, v6, v88
	v_cndmask_b32_e32 v54, v55, v56, vcc_lo
	v_add3_u32 v55, v58, v0, 0x7fff
	v_or_b32_e32 v56, 0x400000, v0
	v_bfe_u32 v58, v47, 16, 1
	v_cmp_u_f32_e32 vcc_lo, v0, v0
	v_mul_f32_e32 v87, v7, v87
	v_or_b32_e32 v90, 0x400000, v21
	v_and_b32_e32 v54, 0xffff0000, v54
	v_and_b32_e32 v53, 0xffff0000, v53
	v_cndmask_b32_e32 v0, v55, v56, vcc_lo
	v_add3_u32 v55, v58, v47, 0x7fff
	v_or_b32_e32 v56, 0x400000, v47
	v_bfe_u32 v58, v88, 16, 1
	v_cmp_u_f32_e32 vcc_lo, v47, v47
	v_bfe_u32 v93, v87, 16, 1
	v_and_b32_e32 v0, 0xffff0000, v0
	v_lshlrev_b32_e32 v72, 16, v72
	v_lshlrev_b32_e32 v51, 16, v51
	v_cndmask_b32_e32 v47, v55, v56, vcc_lo
	v_add3_u32 v55, v58, v88, 0x7fff
	v_or_b32_e32 v56, 0x400000, v88
	v_bfe_u32 v58, v86, 16, 1
	v_cmp_u_f32_e32 vcc_lo, v88, v88
	v_mul_f32_e32 v88, v4, v89
	v_or_b32_e32 v89, 0x400000, v86
	v_and_b32_e32 v47, 0xffff0000, v47
	v_add3_u32 v58, v58, v86, 0x7fff
	v_cndmask_b32_e32 v55, v55, v56, vcc_lo
	v_bfe_u32 v56, v21, 16, 1
	v_cmp_u_f32_e32 vcc_lo, v86, v86
	v_bfe_u32 v91, v88, 16, 1
	v_add3_u32 v86, v93, v87, 0x7fff
	v_and_b32_e32 v55, 0xffff0000, v55
	v_add3_u32 v56, v56, v21, 0x7fff
	v_cndmask_b32_e32 v58, v58, v89, vcc_lo
	v_cmp_u_f32_e32 vcc_lo, v21, v21
	v_or_b32_e32 v89, 0x400000, v87
	v_add_f32_e32 v0, v0, v54
	v_add_f32_e32 v47, v55, v47
	v_and_b32_e32 v54, 0xffff0000, v58
	v_cndmask_b32_e32 v21, v56, v90, vcc_lo
	v_cmp_u_f32_e32 vcc_lo, v87, v87
	v_add3_u32 v56, v91, v88, 0x7fff
	v_or_b32_e32 v90, 0x400000, v88
	v_add_f32_e32 v0, v47, v0
	v_and_b32_e32 v21, 0xffff0000, v21
	v_cndmask_b32_e32 v86, v86, v89, vcc_lo
	v_cmp_u_f32_e32 vcc_lo, v88, v88
	v_lshlrev_b32_e32 v58, 16, v82
	v_mul_f32_e32 v51, v3, v51
	v_add_f32_e32 v21, v21, v54
	v_and_b32_e32 v47, 0xffff0000, v86
	v_cndmask_b32_e32 v55, v56, v90, vcc_lo
	v_and_b32_e32 v56, 0xffff0000, v57
	v_lshlrev_b32_e32 v59, 16, v59
	v_add_f32_e32 v0, v21, v0
	v_lshlrev_b32_e32 v48, 16, v48
	v_and_b32_e32 v54, 0xffff0000, v55
	v_lshlrev_b32_e32 v55, 16, v85
	v_add_f32_e32 v53, v53, v56
	v_lshlrev_b32_e32 v56, 16, v84
	v_lshlrev_b32_e32 v49, 16, v49
	v_add_f32_e32 v21, v47, v54
	v_mul_f32_e32 v47, v1, v55
	v_add_f32_e32 v20, v53, v20
	v_mul_f32_e32 v53, v5, v56
	v_lshlrev_b32_e32 v54, 16, v81
	v_add_f32_e32 v0, v21, v0
	v_bfe_u32 v21, v47, 16, 1
	v_add_f32_e32 v23, v23, v20
	v_bfe_u32 v20, v53, 16, 1
	v_mul_f32_e32 v54, v3, v54
	v_add_f32_e32 v24, v24, v0
	v_add3_u32 v0, v21, v47, 0x7fff
	v_or_b32_e32 v21, 0x400000, v47
	v_lshlrev_b32_e32 v56, 16, v83
	v_cmp_u_f32_e32 vcc_lo, v47, v47
	v_add3_u32 v20, v20, v53, 0x7fff
	v_or_b32_e32 v55, 0x400000, v53
	v_mul_f32_e32 v48, v2, v48
	v_mul_f32_e32 v47, v6, v56
	v_cndmask_b32_e32 v0, v0, v21, vcc_lo
	v_bfe_u32 v21, v54, 16, 1
	v_cmp_u_f32_e32 vcc_lo, v53, v53
	v_lshlrev_b32_e32 v53, 16, v78
	v_lshlrev_b32_e32 v56, 16, v79
	v_bfe_u32 v57, v47, 16, 1
	v_add3_u32 v21, v21, v54, 0x7fff
	v_cndmask_b32_e32 v20, v20, v55, vcc_lo
	v_or_b32_e32 v55, 0x400000, v54
	v_mul_f32_e32 v53, v2, v53
	v_cmp_u_f32_e32 vcc_lo, v54, v54
	v_mul_f32_e32 v54, v8, v56
	v_or_b32_e32 v56, 0x400000, v47
	v_and_b32_e32 v20, 0xffff0000, v20
	v_and_b32_e32 v0, 0xffff0000, v0
	v_cndmask_b32_e32 v21, v21, v55, vcc_lo
	v_add3_u32 v55, v57, v47, 0x7fff
	v_bfe_u32 v57, v53, 16, 1
	v_bfe_u32 v78, v54, 16, 1
	v_cmp_u_f32_e32 vcc_lo, v47, v47
	v_or_b32_e32 v79, 0x400000, v54
	v_and_b32_e32 v21, 0xffff0000, v21
	v_add_f32_e32 v0, v20, v0
	v_mul_f32_e32 v49, v8, v49
	v_cndmask_b32_e32 v47, v55, v56, vcc_lo
	v_add3_u32 v55, v57, v53, 0x7fff
	v_mul_f32_e32 v56, v4, v58
	v_or_b32_e32 v57, 0x400000, v53
	v_add3_u32 v58, v78, v54, 0x7fff
	v_lshlrev_b32_e32 v78, 16, v80
	v_cmp_u_f32_e32 vcc_lo, v53, v53
	v_bfe_u32 v80, v56, 16, 1
	v_and_b32_e32 v47, 0xffff0000, v47
	v_lshlrev_b32_e32 v52, 16, v52
	v_lshlrev_b32_e32 v50, 16, v50
	v_cndmask_b32_e32 v53, v55, v57, vcc_lo
	v_mul_f32_e32 v55, v7, v78
	v_cmp_u_f32_e32 vcc_lo, v54, v54
	v_add3_u32 v57, v80, v56, 0x7fff
	v_add_f32_e32 v20, v47, v21
	v_and_b32_e32 v47, 0xffff0000, v53
	v_bfe_u32 v78, v55, 16, 1
	v_cndmask_b32_e32 v54, v58, v79, vcc_lo
	v_or_b32_e32 v58, 0x400000, v56
	v_cmp_u_f32_e32 vcc_lo, v56, v56
	v_lshlrev_b32_e32 v53, 16, v77
	v_add_f32_e32 v0, v20, v0
	v_and_b32_e32 v21, 0xffff0000, v54
	v_lshlrev_b32_e32 v54, 16, v76
	v_cndmask_b32_e32 v56, v57, v58, vcc_lo
	v_add3_u32 v57, v78, v55, 0x7fff
	v_or_b32_e32 v58, 0x400000, v55
	v_cmp_u_f32_e32 vcc_lo, v55, v55
	v_mul_f32_e32 v20, v1, v53
	v_add_f32_e32 v21, v21, v47
	v_mul_f32_e32 v47, v5, v54
	v_and_b32_e32 v54, 0xffff0000, v56
	v_cndmask_b32_e32 v55, v57, v58, vcc_lo
	v_lshlrev_b32_e32 v56, 16, v73
	v_add_f32_e32 v0, v21, v0
	v_bfe_u32 v21, v47, 16, 1
	v_lshlrev_b32_e32 v58, 16, v75
	v_and_b32_e32 v53, 0xffff0000, v55
	v_bfe_u32 v55, v20, 16, 1
	v_mul_f32_e32 v56, v3, v56
	v_cmp_u_f32_e32 vcc_lo, v20, v20
	v_add3_u32 v21, v21, v47, 0x7fff
	v_add_f32_e32 v53, v53, v54
	v_add3_u32 v54, v55, v20, 0x7fff
	v_or_b32_e32 v55, 0x400000, v20
	v_or_b32_e32 v57, 0x400000, v47
	v_mul_f32_e32 v52, v4, v52
	v_add_f32_e32 v0, v53, v0
	v_mul_f32_e32 v50, v7, v50
	v_cndmask_b32_e32 v20, v54, v55, vcc_lo
	v_bfe_u32 v54, v56, 16, 1
	v_cmp_u_f32_e32 vcc_lo, v47, v47
	v_mul_f32_e32 v47, v6, v58
	v_lshlrev_b32_e32 v55, 16, v70
	v_lshlrev_b32_e32 v58, 16, v71
	v_add3_u32 v54, v54, v56, 0x7fff
	v_cndmask_b32_e32 v21, v21, v57, vcc_lo
	v_or_b32_e32 v57, 0x400000, v56
	v_bfe_u32 v70, v47, 16, 1
	v_mul_f32_e32 v55, v2, v55
	v_cmp_u_f32_e32 vcc_lo, v56, v56
	v_mul_f32_e32 v56, v8, v58
	v_or_b32_e32 v58, 0x400000, v47
	v_lshlrev_b32_e32 v71, 16, v74
	v_and_b32_e32 v21, 0xffff0000, v21
	v_cndmask_b32_e32 v54, v54, v57, vcc_lo
	v_add3_u32 v57, v70, v47, 0x7fff
	v_bfe_u32 v70, v55, 16, 1
	v_cmp_u_f32_e32 vcc_lo, v47, v47
	v_bfe_u32 v73, v56, 16, 1
	v_and_b32_e32 v20, 0xffff0000, v20
	v_and_b32_e32 v54, 0xffff0000, v54
	v_add_f32_e32 v25, v25, v0
	v_cndmask_b32_e32 v47, v57, v58, vcc_lo
	v_add3_u32 v57, v70, v55, 0x7fff
	v_mul_f32_e32 v58, v4, v71
	v_or_b32_e32 v70, 0x400000, v55
	v_cmp_u_f32_e32 vcc_lo, v55, v55
	v_add3_u32 v71, v73, v56, 0x7fff
	v_or_b32_e32 v73, 0x400000, v56
	v_bfe_u32 v74, v58, 16, 1
	v_and_b32_e32 v47, 0xffff0000, v47
	v_cndmask_b32_e32 v55, v57, v70, vcc_lo
	v_mul_f32_e32 v57, v7, v72
	v_cmp_u_f32_e32 vcc_lo, v56, v56
	v_add3_u32 v70, v74, v58, 0x7fff
	v_add_f32_e32 v20, v21, v20
	v_add_f32_e32 v21, v47, v54
	v_bfe_u32 v72, v57, 16, 1
	v_cndmask_b32_e32 v56, v71, v73, vcc_lo
	v_or_b32_e32 v71, 0x400000, v58
	v_cmp_u_f32_e32 vcc_lo, v58, v58
	v_and_b32_e32 v54, 0xffff0000, v55
	v_add_f32_e32 v20, v21, v20
	v_and_b32_e32 v47, 0xffff0000, v56
	v_lshlrev_b32_e32 v21, 16, v69
	v_cndmask_b32_e32 v58, v70, v71, vcc_lo
	v_add3_u32 v70, v72, v57, 0x7fff
	v_or_b32_e32 v71, 0x400000, v57
	v_cmp_u_f32_e32 vcc_lo, v57, v57
	v_add_f32_e32 v47, v47, v54
	v_lshlrev_b32_e32 v54, 16, v68
	v_and_b32_e32 v56, 0xffff0000, v58
	v_mul_f32_e32 v21, v1, v21
	v_cndmask_b32_e32 v55, v70, v71, vcc_lo
	v_add_f32_e32 v20, v47, v20
	v_mul_f32_e32 v53, v5, v54
	v_lshlrev_b32_e32 v57, 16, v67
	v_bfe_u32 v54, v21, 16, 1
	v_and_b32_e32 v55, 0xffff0000, v55
	v_cmp_u_f32_e32 vcc_lo, v21, v21
	v_lshlrev_b32_e32 v46, 16, v46
	v_lshlrev_b32_e32 v45, 16, v45
	;; [unrolled: 1-line block ×3, first 2 shown]
	v_add_f32_e32 v47, v55, v56
	v_bfe_u32 v55, v53, 16, 1
	v_lshlrev_b32_e32 v56, 16, v65
	v_mul_f32_e32 v46, v1, v46
	v_mul_f32_e32 v45, v5, v45
	v_add_f32_e32 v0, v47, v20
	v_add3_u32 v20, v54, v21, 0x7fff
	v_or_b32_e32 v47, 0x400000, v21
	v_add3_u32 v54, v55, v53, 0x7fff
	v_mul_f32_e32 v55, v3, v56
	v_or_b32_e32 v56, 0x400000, v53
	v_mul_f32_e32 v42, v3, v42
	v_cndmask_b32_e32 v20, v20, v47, vcc_lo
	v_cmp_u_f32_e32 vcc_lo, v53, v53
	v_bfe_u32 v21, v55, 16, 1
	v_mul_f32_e32 v53, v6, v57
	v_lshlrev_b32_e32 v57, 16, v63
	v_and_b32_e32 v20, 0xffff0000, v20
	v_cndmask_b32_e32 v47, v54, v56, vcc_lo
	v_lshlrev_b32_e32 v54, 16, v62
	v_add3_u32 v21, v21, v55, 0x7fff
	v_or_b32_e32 v56, 0x400000, v55
	v_bfe_u32 v58, v53, 16, 1
	v_cmp_u_f32_e32 vcc_lo, v55, v55
	v_mul_f32_e32 v54, v2, v54
	v_mul_f32_e32 v55, v8, v57
	v_or_b32_e32 v57, 0x400000, v53
	v_lshlrev_b32_e32 v62, 16, v66
	v_cndmask_b32_e32 v21, v21, v56, vcc_lo
	v_add3_u32 v56, v58, v53, 0x7fff
	v_bfe_u32 v58, v54, 16, 1
	v_bfe_u32 v63, v55, 16, 1
	v_cmp_u_f32_e32 vcc_lo, v53, v53
	v_and_b32_e32 v47, 0xffff0000, v47
	v_and_b32_e32 v21, 0xffff0000, v21
	v_lshlrev_b32_e32 v44, 16, v44
	v_lshlrev_b32_e32 v40, 16, v40
	v_cndmask_b32_e32 v53, v56, v57, vcc_lo
	v_add3_u32 v56, v58, v54, 0x7fff
	v_mul_f32_e32 v57, v4, v62
	v_or_b32_e32 v58, 0x400000, v54
	v_add3_u32 v62, v63, v55, 0x7fff
	v_lshlrev_b32_e32 v63, 16, v64
	v_cmp_u_f32_e32 vcc_lo, v54, v54
	v_or_b32_e32 v64, 0x400000, v55
	v_bfe_u32 v65, v57, 16, 1
	v_and_b32_e32 v53, 0xffff0000, v53
	v_add_f32_e32 v20, v47, v20
	v_cndmask_b32_e32 v54, v56, v58, vcc_lo
	v_mul_f32_e32 v56, v7, v63
	v_cmp_u_f32_e32 vcc_lo, v55, v55
	v_add3_u32 v58, v65, v57, 0x7fff
	v_add_f32_e32 v21, v53, v21
	v_and_b32_e32 v53, 0xffff0000, v54
	v_bfe_u32 v63, v56, 16, 1
	v_cndmask_b32_e32 v55, v62, v64, vcc_lo
	v_or_b32_e32 v62, 0x400000, v57
	v_cmp_u_f32_e32 vcc_lo, v57, v57
	v_lshlrev_b32_e32 v54, 16, v61
	v_add_f32_e32 v20, v21, v20
	v_and_b32_e32 v47, 0xffff0000, v55
	v_mul_f32_e32 v44, v6, v44
	v_cndmask_b32_e32 v57, v58, v62, vcc_lo
	v_add3_u32 v58, v63, v56, 0x7fff
	v_or_b32_e32 v62, 0x400000, v56
	v_cmp_u_f32_e32 vcc_lo, v56, v56
	v_lshlrev_b32_e32 v56, 16, v60
	v_add_f32_e32 v21, v47, v53
	v_mul_f32_e32 v47, v1, v54
	v_mul_f32_e32 v40, v2, v40
	v_cndmask_b32_e32 v55, v58, v62, vcc_lo
	v_mul_f32_e32 v54, v5, v56
	v_add_f32_e32 v20, v21, v20
	v_bfe_u32 v56, v47, 16, 1
	v_cmp_u_f32_e32 vcc_lo, v47, v47
	v_and_b32_e32 v53, 0xffff0000, v55
	v_and_b32_e32 v55, 0xffff0000, v57
	v_bfe_u32 v57, v54, 16, 1
	v_bfe_u32 v58, v51, 16, 1
	v_lshlrev_b32_e32 v39, 16, v39
	v_lshlrev_b32_e32 v43, 16, v43
	v_add_f32_e32 v21, v53, v55
	v_add3_u32 v53, v56, v47, 0x7fff
	v_or_b32_e32 v55, 0x400000, v47
	v_add3_u32 v56, v57, v54, 0x7fff
	v_or_b32_e32 v57, 0x400000, v54
	v_mul_f32_e32 v39, v8, v39
	v_mul_f32_e32 v43, v4, v43
	v_cndmask_b32_e32 v47, v53, v55, vcc_lo
	v_cmp_u_f32_e32 vcc_lo, v54, v54
	v_mul_f32_e32 v54, v6, v59
	v_add3_u32 v55, v58, v51, 0x7fff
	v_bfe_u32 v58, v49, 16, 1
	v_bfe_u32 v59, v52, 16, 1
	v_cndmask_b32_e32 v53, v56, v57, vcc_lo
	v_or_b32_e32 v56, 0x400000, v51
	v_bfe_u32 v57, v54, 16, 1
	v_cmp_u_f32_e32 vcc_lo, v51, v51
	v_and_b32_e32 v47, 0xffff0000, v47
	v_and_b32_e32 v53, 0xffff0000, v53
	v_lshlrev_b32_e32 v41, 16, v41
	v_lshlrev_b32_e32 v19, 16, v19
	v_cndmask_b32_e32 v51, v55, v56, vcc_lo
	v_add3_u32 v55, v57, v54, 0x7fff
	v_or_b32_e32 v56, 0x400000, v54
	v_bfe_u32 v57, v48, 16, 1
	v_cmp_u_f32_e32 vcc_lo, v54, v54
	v_and_b32_e32 v51, 0xffff0000, v51
	v_add_f32_e32 v47, v53, v47
	v_mul_f32_e32 v41, v7, v41
	v_mul_f32_e32 v6, v6, v19
	v_cndmask_b32_e32 v54, v55, v56, vcc_lo
	v_add3_u32 v55, v57, v48, 0x7fff
	v_or_b32_e32 v56, 0x400000, v48
	v_cmp_u_f32_e32 vcc_lo, v48, v48
	v_add3_u32 v57, v58, v49, 0x7fff
	v_or_b32_e32 v58, 0x400000, v49
	v_and_b32_e32 v54, 0xffff0000, v54
	v_lshlrev_b32_e32 v16, 16, v16
	v_cndmask_b32_e32 v48, v55, v56, vcc_lo
	v_cmp_u_f32_e32 vcc_lo, v49, v49
	v_add3_u32 v55, v59, v52, 0x7fff
	v_or_b32_e32 v56, 0x400000, v52
	v_add_f32_e32 v51, v54, v51
	v_and_b32_e32 v48, 0xffff0000, v48
	v_cndmask_b32_e32 v49, v57, v58, vcc_lo
	v_cmp_u_f32_e32 vcc_lo, v52, v52
	v_or_b32_e32 v54, 0x400000, v50
	v_add_f32_e32 v47, v51, v47
	v_mul_f32_e32 v3, v3, v16
	v_and_b32_e32 v49, 0xffff0000, v49
	v_cndmask_b32_e32 v52, v55, v56, vcc_lo
	v_bfe_u32 v55, v50, 16, 1
	v_cmp_u_f32_e32 vcc_lo, v50, v50
	v_lshlrev_b32_e32 v15, 16, v15
	v_add_f32_e32 v48, v49, v48
	v_and_b32_e32 v51, 0xffff0000, v52
	v_add3_u32 v53, v55, v50, 0x7fff
	v_bfe_u32 v50, v46, 16, 1
	v_bfe_u32 v52, v45, 16, 1
	v_add_f32_e32 v47, v48, v47
	v_mul_f32_e32 v8, v8, v15
	v_cndmask_b32_e32 v49, v53, v54, vcc_lo
	v_cmp_u_f32_e32 vcc_lo, v46, v46
	v_or_b32_e32 v53, 0x400000, v42
	v_lshlrev_b32_e32 v9, 16, v9
	v_lshlrev_b32_e32 v17, 16, v17
	v_and_b32_e32 v48, 0xffff0000, v49
	v_add3_u32 v49, v50, v46, 0x7fff
	v_or_b32_e32 v50, 0x400000, v46
	v_mul_f32_e32 v2, v2, v9
	v_lshlrev_b32_e32 v9, 16, v18
	v_mul_f32_e32 v4, v4, v17
	v_add_nc_u32_e32 v38, 4, v38
	v_cndmask_b32_e32 v46, v49, v50, vcc_lo
	v_bfe_u32 v49, v42, 16, 1
	v_add3_u32 v50, v52, v45, 0x7fff
	v_or_b32_e32 v52, 0x400000, v45
	v_cmp_u_f32_e32 vcc_lo, v45, v45
	v_and_b32_e32 v46, 0xffff0000, v46
	v_add3_u32 v49, v49, v42, 0x7fff
	v_mul_f32_e32 v7, v7, v9
	v_or_b32_e32 v9, 0x400000, v8
	v_cndmask_b32_e32 v45, v50, v52, vcc_lo
	v_bfe_u32 v50, v44, 16, 1
	v_cmp_u_f32_e32 vcc_lo, v42, v42
	v_or_b32_e32 v52, 0x400000, v44
	v_or_b32_e32 v17, 0x400000, v2
	v_and_b32_e32 v45, 0xffff0000, v45
	v_add3_u32 v50, v50, v44, 0x7fff
	v_cndmask_b32_e32 v42, v49, v53, vcc_lo
	v_bfe_u32 v49, v40, 16, 1
	v_cmp_u_f32_e32 vcc_lo, v44, v44
	v_or_b32_e32 v53, 0x400000, v40
	v_add_f32_e32 v45, v45, v46
	v_and_b32_e32 v42, 0xffff0000, v42
	v_add3_u32 v49, v49, v40, 0x7fff
	v_cndmask_b32_e32 v44, v50, v52, vcc_lo
	v_bfe_u32 v50, v39, 16, 1
	v_cmp_u_f32_e32 vcc_lo, v40, v40
	v_bfe_u32 v52, v43, 16, 1
	v_bfe_u32 v18, v7, 16, 1
	v_and_b32_e32 v44, 0xffff0000, v44
	v_add_f32_e32 v26, v26, v0
	v_cndmask_b32_e32 v40, v49, v53, vcc_lo
	v_add3_u32 v49, v50, v39, 0x7fff
	v_or_b32_e32 v50, 0x400000, v39
	v_cmp_u_f32_e32 vcc_lo, v39, v39
	v_add3_u32 v52, v52, v43, 0x7fff
	v_or_b32_e32 v53, 0x400000, v43
	v_add_f32_e32 v42, v44, v42
	v_lshlrev_b32_e32 v44, 16, v92
	v_cndmask_b32_e32 v39, v49, v50, vcc_lo
	v_cmp_u_f32_e32 vcc_lo, v43, v43
	v_bfe_u32 v49, v41, 16, 1
	v_or_b32_e32 v50, 0x400000, v41
	v_and_b32_e32 v40, 0xffff0000, v40
	v_and_b32_e32 v39, 0xffff0000, v39
	v_cndmask_b32_e32 v43, v52, v53, vcc_lo
	v_lshlrev_b32_e32 v52, 16, v94
	v_add3_u32 v49, v49, v41, 0x7fff
	v_cmp_u_f32_e32 vcc_lo, v41, v41
	v_add_f32_e32 v42, v42, v45
	v_mul_f32_e32 v1, v1, v44
	v_mul_f32_e32 v5, v5, v52
	v_add_f32_e32 v39, v39, v40
	v_cndmask_b32_e32 v41, v49, v50, vcc_lo
	v_add_co_u32 v13, s0, v13, 16
	v_bfe_u32 v45, v5, 16, 1
	v_or_b32_e32 v44, 0x400000, v5
	v_and_b32_e32 v40, 0xffff0000, v41
	v_cmp_u_f32_e32 vcc_lo, v5, v5
	v_add_nc_u32_e32 v31, 32, v31
	v_add3_u32 v41, v45, v5, 0x7fff
	v_bfe_u32 v45, v1, 16, 1
	v_add_nc_u32_e32 v32, 0x80, v32
	v_add_co_ci_u32_e64 v14, null, 0, v14, s0
	v_cndmask_b32_e32 v5, v41, v44, vcc_lo
	v_add3_u32 v19, v45, v1, 0x7fff
	v_or_b32_e32 v41, 0x400000, v1
	v_bfe_u32 v44, v6, 16, 1
	v_cmp_u_f32_e32 vcc_lo, v1, v1
	v_and_b32_e32 v5, 0xffff0000, v5
	v_add3_u32 v16, v44, v6, 0x7fff
	v_cndmask_b32_e32 v1, v19, v41, vcc_lo
	v_or_b32_e32 v19, 0x400000, v6
	v_bfe_u32 v41, v3, 16, 1
	v_cmp_u_f32_e32 vcc_lo, v6, v6
	v_and_b32_e32 v1, 0xffff0000, v1
	v_add3_u32 v15, v41, v3, 0x7fff
	v_cndmask_b32_e32 v6, v16, v19, vcc_lo
	v_or_b32_e32 v16, 0x400000, v3
	v_bfe_u32 v19, v8, 16, 1
	v_cmp_u_f32_e32 vcc_lo, v3, v3
	v_add_f32_e32 v1, v5, v1
	v_and_b32_e32 v6, 0xffff0000, v6
	v_cndmask_b32_e32 v3, v15, v16, vcc_lo
	v_bfe_u32 v15, v2, 16, 1
	v_add3_u32 v16, v19, v8, 0x7fff
	v_cmp_u_f32_e32 vcc_lo, v8, v8
	v_bfe_u32 v19, v4, 16, 1
	v_and_b32_e32 v3, 0xffff0000, v3
	v_add3_u32 v15, v15, v2, 0x7fff
	v_cndmask_b32_e32 v8, v16, v9, vcc_lo
	v_cmp_u_f32_e32 vcc_lo, v2, v2
	v_or_b32_e32 v16, 0x400000, v4
	v_add3_u32 v9, v18, v7, 0x7fff
	v_add_f32_e32 v3, v6, v3
	v_and_b32_e32 v5, 0xffff0000, v8
	v_cndmask_b32_e32 v2, v15, v17, vcc_lo
	v_add3_u32 v15, v19, v4, 0x7fff
	v_cmp_u_f32_e32 vcc_lo, v4, v4
	v_or_b32_e32 v17, 0x400000, v7
	v_add_f32_e32 v1, v3, v1
	v_and_b32_e32 v2, 0xffff0000, v2
	v_cndmask_b32_e32 v4, v15, v16, vcc_lo
	v_cmp_u_f32_e32 vcc_lo, v7, v7
	v_and_b32_e32 v7, 0xffff0000, v43
	v_add_f32_e32 v2, v5, v2
	v_add_f32_e32 v5, v48, v51
	v_and_b32_e32 v3, 0xffff0000, v4
	v_cndmask_b32_e32 v6, v9, v17, vcc_lo
	v_add_f32_e32 v7, v40, v7
	v_add_f32_e32 v1, v2, v1
	v_cmp_le_i32_e32 vcc_lo, s12, v38
	v_and_b32_e32 v4, 0xffff0000, v6
	v_add_f32_e32 v6, v39, v42
	s_or_b32 s14, vcc_lo, s14
	v_add_f32_e32 v2, v4, v3
	v_add_f32_e32 v3, v21, v20
	;; [unrolled: 1-line block ×9, first 2 shown]
	s_andn2_b32 exec_lo, exec_lo, s14
	s_cbranch_execz .LBB321_1038
.LBB321_542:                            ; =>This Inner Loop Header: Depth=1
	global_load_dword v0, v[13:14], off
	s_waitcnt vmcnt(0)
	v_mad_i64_i32 v[15:16], null, v0, s4, v[11:12]
	v_mov_b32_e32 v0, 0
	global_load_dwordx2 v[17:18], v[15:16], off
	ds_read2_b64 v[5:8], v32 offset1:1
	ds_read2_b64 v[1:4], v32 offset0:2 offset1:3
	s_waitcnt vmcnt(0)
	v_cmp_ne_u16_sdwa s15, v17, v10 src0_sel:BYTE_0 src1_sel:DWORD
	s_and_saveexec_b32 s0, s15
	s_cbranch_execz .LBB321_548
; %bb.543:                              ;   in Loop: Header=BB321_542 Depth=1
	v_cmp_ne_u16_sdwa s16, v17, v33 src0_sel:BYTE_0 src1_sel:DWORD
	v_bfrev_b32_e32 v0, 1
	s_and_saveexec_b32 s15, s16
	s_cbranch_execz .LBB321_547
; %bb.544:                              ;   in Loop: Header=BB321_542 Depth=1
	v_and_b32_e32 v9, 0x7f, v17
	v_mov_b32_e32 v0, 0x7f800001
	s_mov_b32 s16, exec_lo
	v_cmpx_ne_u32_e32 0x7f, v9
	s_cbranch_execz .LBB321_546
; %bb.545:                              ;   in Loop: Header=BB321_542 Depth=1
	v_and_b32_e32 v0, 7, v17
	v_cmp_gt_u32_e32 vcc_lo, 8, v9
	v_lshrrev_b32_e32 v19, 3, v9
	v_ffbh_u32_e32 v0, v0
	v_min_u32_e32 v0, 32, v0
	v_subrev_nc_u32_e32 v20, 28, v0
	v_sub_nc_u32_e32 v0, 29, v0
	v_cndmask_b32_e32 v9, 0, v20, vcc_lo
	v_cndmask_b32_e32 v0, v19, v0, vcc_lo
	v_lshlrev_b64 v[19:20], v9, v[17:18]
	v_lshlrev_b32_e32 v9, 24, v17
	v_lshl_add_u32 v0, v0, 23, 0x3c000000
	v_and_b32_e32 v9, 0x80000000, v9
	v_lshlrev_b32_e32 v19, 20, v19
	v_and_b32_e32 v19, 0x700000, v19
	v_or3_b32 v0, v19, v9, v0
.LBB321_546:                            ;   in Loop: Header=BB321_542 Depth=1
	s_or_b32 exec_lo, exec_lo, s16
.LBB321_547:                            ;   in Loop: Header=BB321_542 Depth=1
	s_or_b32 exec_lo, exec_lo, s15
.LBB321_548:                            ;   in Loop: Header=BB321_542 Depth=1
	s_or_b32 exec_lo, exec_lo, s0
	v_cmp_ne_u16_sdwa s15, v17, v10 src0_sel:BYTE_1 src1_sel:DWORD
	v_mov_b32_e32 v39, 0
	v_mov_b32_e32 v21, 0
	s_and_saveexec_b32 s0, s15
	s_cbranch_execz .LBB321_556
; %bb.549:                              ;   in Loop: Header=BB321_542 Depth=1
	v_cmp_ne_u16_sdwa s16, v17, v33 src0_sel:BYTE_1 src1_sel:DWORD
	v_bfrev_b32_e32 v21, 1
	s_and_saveexec_b32 s15, s16
	s_cbranch_execz .LBB321_555
; %bb.550:                              ;   in Loop: Header=BB321_542 Depth=1
	v_and_b32_sdwa v9, v34, v17 dst_sel:DWORD dst_unused:UNUSED_PAD src0_sel:DWORD src1_sel:BYTE_1
	v_mov_b32_e32 v21, 0x7f800001
	s_mov_b32 s16, exec_lo
	v_and_b32_e32 v20, 0x7f, v9
	v_cmpx_ne_u32_e32 0x7f, v20
	s_cbranch_execz .LBB321_554
; %bb.551:                              ;   in Loop: Header=BB321_542 Depth=1
	v_and_b32_e32 v9, 7, v9
	v_lshrrev_b32_e32 v19, 3, v20
	s_mov_b32 s17, exec_lo
	v_cmpx_gt_u32_e32 8, v20
; %bb.552:                              ;   in Loop: Header=BB321_542 Depth=1
	v_ffbh_u32_e32 v19, v9
	v_min_u32_e32 v19, 32, v19
	v_subrev_nc_u32_e32 v20, 28, v19
	v_sub_nc_u32_e32 v19, 29, v19
	v_lshlrev_b64 v[20:21], v20, v[9:10]
	v_and_b32_e32 v9, 7, v20
; %bb.553:                              ;   in Loop: Header=BB321_542 Depth=1
	s_or_b32 exec_lo, exec_lo, s17
	v_lshlrev_b32_e32 v20, 16, v17
	v_lshlrev_b32_e32 v9, 20, v9
	v_lshl_add_u32 v19, v19, 23, 0x3c000000
	v_and_b32_e32 v20, 0x80000000, v20
	v_or3_b32 v21, v9, v20, v19
.LBB321_554:                            ;   in Loop: Header=BB321_542 Depth=1
	s_or_b32 exec_lo, exec_lo, s16
.LBB321_555:                            ;   in Loop: Header=BB321_542 Depth=1
	s_or_b32 exec_lo, exec_lo, s15
.LBB321_556:                            ;   in Loop: Header=BB321_542 Depth=1
	s_or_b32 exec_lo, exec_lo, s0
	v_and_b32_sdwa v9, v17, v35 dst_sel:DWORD dst_unused:UNUSED_PAD src0_sel:WORD_1 src1_sel:DWORD
	s_mov_b32 s0, exec_lo
	v_cmpx_ne_u16_e32 0, v9
	s_cbranch_execz .LBB321_564
; %bb.557:                              ;   in Loop: Header=BB321_542 Depth=1
	v_bfrev_b32_e32 v39, 1
	s_mov_b32 s15, exec_lo
	v_cmpx_ne_u16_e32 0x80, v9
	s_cbranch_execz .LBB321_563
; %bb.558:                              ;   in Loop: Header=BB321_542 Depth=1
	v_bfe_u32 v20, v17, 16, 7
	v_mov_b32_e32 v39, 0x7f800001
	s_mov_b32 s16, exec_lo
	v_cmpx_ne_u32_e32 0x7f, v20
	s_cbranch_execz .LBB321_562
; %bb.559:                              ;   in Loop: Header=BB321_542 Depth=1
	v_and_b32_sdwa v9, v17, v36 dst_sel:DWORD dst_unused:UNUSED_PAD src0_sel:WORD_1 src1_sel:DWORD
	v_lshrrev_b32_e32 v19, 3, v20
	s_mov_b32 s17, exec_lo
	v_cmpx_gt_u32_e32 8, v20
; %bb.560:                              ;   in Loop: Header=BB321_542 Depth=1
	v_ffbh_u32_e32 v19, v9
	v_min_u32_e32 v19, 32, v19
	v_subrev_nc_u32_e32 v20, 28, v19
	v_sub_nc_u32_e32 v19, 29, v19
	v_lshlrev_b64 v[39:40], v20, v[9:10]
	v_and_b32_e32 v9, 7, v39
; %bb.561:                              ;   in Loop: Header=BB321_542 Depth=1
	s_or_b32 exec_lo, exec_lo, s17
	v_lshlrev_b32_sdwa v20, v37, v17 dst_sel:DWORD dst_unused:UNUSED_PAD src0_sel:DWORD src1_sel:WORD_1
	v_lshlrev_b32_e32 v9, 20, v9
	v_lshl_add_u32 v19, v19, 23, 0x3c000000
	v_and_b32_e32 v20, 0x80000000, v20
	v_or3_b32 v39, v9, v20, v19
.LBB321_562:                            ;   in Loop: Header=BB321_542 Depth=1
	s_or_b32 exec_lo, exec_lo, s16
.LBB321_563:                            ;   in Loop: Header=BB321_542 Depth=1
	s_or_b32 exec_lo, exec_lo, s15
.LBB321_564:                            ;   in Loop: Header=BB321_542 Depth=1
	s_or_b32 exec_lo, exec_lo, s0
	v_mov_b32_e32 v40, 0
	v_mov_b32_e32 v41, 0
	s_mov_b32 s0, exec_lo
	v_cmpx_lt_u32_e32 0xffffff, v17
	s_cbranch_execz .LBB321_572
; %bb.565:                              ;   in Loop: Header=BB321_542 Depth=1
	v_cmp_ne_u32_sdwa s16, v17, v33 src0_sel:BYTE_3 src1_sel:DWORD
	v_bfrev_b32_e32 v41, 1
	s_and_saveexec_b32 s15, s16
	s_cbranch_execz .LBB321_571
; %bb.566:                              ;   in Loop: Header=BB321_542 Depth=1
	v_bfe_u32 v20, v17, 24, 7
	v_mov_b32_e32 v41, 0x7f800001
	s_mov_b32 s16, exec_lo
	v_cmpx_ne_u32_e32 0x7f, v20
	s_cbranch_execz .LBB321_570
; %bb.567:                              ;   in Loop: Header=BB321_542 Depth=1
	v_and_b32_sdwa v9, v17, v36 dst_sel:DWORD dst_unused:UNUSED_PAD src0_sel:BYTE_3 src1_sel:DWORD
	v_lshrrev_b32_e32 v19, 3, v20
	s_mov_b32 s17, exec_lo
	v_cmpx_gt_u32_e32 8, v20
; %bb.568:                              ;   in Loop: Header=BB321_542 Depth=1
	v_ffbh_u32_e32 v19, v9
	v_min_u32_e32 v19, 32, v19
	v_subrev_nc_u32_e32 v20, 28, v19
	v_sub_nc_u32_e32 v19, 29, v19
	v_lshlrev_b64 v[41:42], v20, v[9:10]
	v_and_b32_e32 v9, 7, v41
; %bb.569:                              ;   in Loop: Header=BB321_542 Depth=1
	s_or_b32 exec_lo, exec_lo, s17
	v_lshlrev_b32_sdwa v20, v37, v17 dst_sel:DWORD dst_unused:UNUSED_PAD src0_sel:DWORD src1_sel:BYTE_3
	v_lshlrev_b32_e32 v9, 20, v9
	v_lshl_add_u32 v19, v19, 23, 0x3c000000
	v_and_b32_e32 v20, 0x80000000, v20
	v_or3_b32 v41, v9, v20, v19
.LBB321_570:                            ;   in Loop: Header=BB321_542 Depth=1
	s_or_b32 exec_lo, exec_lo, s16
.LBB321_571:                            ;   in Loop: Header=BB321_542 Depth=1
	s_or_b32 exec_lo, exec_lo, s15
.LBB321_572:                            ;   in Loop: Header=BB321_542 Depth=1
	s_or_b32 exec_lo, exec_lo, s0
	v_mov_b32_e32 v9, v18
	v_cmp_ne_u16_sdwa s15, v18, v10 src0_sel:BYTE_0 src1_sel:DWORD
	s_and_saveexec_b32 s0, s15
	s_cbranch_execz .LBB321_578
; %bb.573:                              ;   in Loop: Header=BB321_542 Depth=1
	v_cmp_ne_u16_sdwa s16, v18, v33 src0_sel:BYTE_0 src1_sel:DWORD
	v_bfrev_b32_e32 v40, 1
	s_and_saveexec_b32 s15, s16
	s_cbranch_execz .LBB321_577
; %bb.574:                              ;   in Loop: Header=BB321_542 Depth=1
	v_and_b32_e32 v19, 0x7f, v18
	v_mov_b32_e32 v40, 0x7f800001
	s_mov_b32 s16, exec_lo
	v_cmpx_ne_u32_e32 0x7f, v19
	s_cbranch_execz .LBB321_576
; %bb.575:                              ;   in Loop: Header=BB321_542 Depth=1
	v_and_b32_e32 v20, 7, v18
	v_cmp_gt_u32_e32 vcc_lo, 8, v19
	v_lshrrev_b32_e32 v40, 3, v19
	v_ffbh_u32_e32 v20, v20
	v_min_u32_e32 v20, 32, v20
	v_subrev_nc_u32_e32 v42, 28, v20
	v_sub_nc_u32_e32 v20, 29, v20
	v_cndmask_b32_e32 v19, 0, v42, vcc_lo
	v_cndmask_b32_e32 v40, v40, v20, vcc_lo
	v_lshlrev_b64 v[19:20], v19, v[9:10]
	v_lshlrev_b32_e32 v20, 24, v9
	v_lshl_add_u32 v40, v40, 23, 0x3c000000
	v_lshlrev_b32_e32 v19, 20, v19
	v_and_b32_e32 v20, 0x80000000, v20
	v_and_b32_e32 v19, 0x700000, v19
	v_or3_b32 v40, v19, v20, v40
.LBB321_576:                            ;   in Loop: Header=BB321_542 Depth=1
	s_or_b32 exec_lo, exec_lo, s16
.LBB321_577:                            ;   in Loop: Header=BB321_542 Depth=1
	s_or_b32 exec_lo, exec_lo, s15
.LBB321_578:                            ;   in Loop: Header=BB321_542 Depth=1
	s_or_b32 exec_lo, exec_lo, s0
	v_cmp_ne_u16_sdwa s15, v9, v10 src0_sel:BYTE_1 src1_sel:DWORD
	v_mov_b32_e32 v43, 0
	v_mov_b32_e32 v19, 0
	s_and_saveexec_b32 s0, s15
	s_cbranch_execz .LBB321_586
; %bb.579:                              ;   in Loop: Header=BB321_542 Depth=1
	v_cmp_ne_u16_sdwa s16, v9, v33 src0_sel:BYTE_1 src1_sel:DWORD
	v_bfrev_b32_e32 v19, 1
	s_and_saveexec_b32 s15, s16
	s_cbranch_execz .LBB321_585
; %bb.580:                              ;   in Loop: Header=BB321_542 Depth=1
	v_and_b32_sdwa v20, v34, v9 dst_sel:DWORD dst_unused:UNUSED_PAD src0_sel:DWORD src1_sel:BYTE_1
	v_mov_b32_e32 v19, 0x7f800001
	s_mov_b32 s16, exec_lo
	v_and_b32_e32 v44, 0x7f, v20
	v_cmpx_ne_u32_e32 0x7f, v44
	s_cbranch_execz .LBB321_584
; %bb.581:                              ;   in Loop: Header=BB321_542 Depth=1
	v_and_b32_e32 v19, 7, v20
	v_mov_b32_e32 v20, v10
	v_lshrrev_b32_e32 v42, 3, v44
	s_mov_b32 s17, exec_lo
	v_cmpx_gt_u32_e32 8, v44
; %bb.582:                              ;   in Loop: Header=BB321_542 Depth=1
	v_ffbh_u32_e32 v42, v19
	v_min_u32_e32 v42, 32, v42
	v_subrev_nc_u32_e32 v44, 28, v42
	v_sub_nc_u32_e32 v42, 29, v42
	v_lshlrev_b64 v[19:20], v44, v[19:20]
	v_and_b32_e32 v19, 7, v19
; %bb.583:                              ;   in Loop: Header=BB321_542 Depth=1
	s_or_b32 exec_lo, exec_lo, s17
	v_lshlrev_b32_e32 v9, 16, v9
	v_lshlrev_b32_e32 v19, 20, v19
	v_lshl_add_u32 v20, v42, 23, 0x3c000000
	v_and_b32_e32 v9, 0x80000000, v9
	v_or3_b32 v19, v19, v9, v20
.LBB321_584:                            ;   in Loop: Header=BB321_542 Depth=1
	s_or_b32 exec_lo, exec_lo, s16
.LBB321_585:                            ;   in Loop: Header=BB321_542 Depth=1
	s_or_b32 exec_lo, exec_lo, s15
.LBB321_586:                            ;   in Loop: Header=BB321_542 Depth=1
	s_or_b32 exec_lo, exec_lo, s0
	v_and_b32_sdwa v9, v18, v35 dst_sel:DWORD dst_unused:UNUSED_PAD src0_sel:WORD_1 src1_sel:DWORD
	s_mov_b32 s0, exec_lo
	v_cmpx_ne_u16_e32 0, v9
	s_cbranch_execz .LBB321_594
; %bb.587:                              ;   in Loop: Header=BB321_542 Depth=1
	v_bfrev_b32_e32 v43, 1
	s_mov_b32 s15, exec_lo
	v_cmpx_ne_u16_e32 0x80, v9
	s_cbranch_execz .LBB321_593
; %bb.588:                              ;   in Loop: Header=BB321_542 Depth=1
	v_bfe_u32 v42, v18, 16, 7
	v_mov_b32_e32 v43, 0x7f800001
	s_mov_b32 s16, exec_lo
	v_cmpx_ne_u32_e32 0x7f, v42
	s_cbranch_execz .LBB321_592
; %bb.589:                              ;   in Loop: Header=BB321_542 Depth=1
	v_and_b32_sdwa v9, v18, v36 dst_sel:DWORD dst_unused:UNUSED_PAD src0_sel:WORD_1 src1_sel:DWORD
	v_lshrrev_b32_e32 v20, 3, v42
	s_mov_b32 s17, exec_lo
	v_cmpx_gt_u32_e32 8, v42
; %bb.590:                              ;   in Loop: Header=BB321_542 Depth=1
	v_ffbh_u32_e32 v20, v9
	v_min_u32_e32 v20, 32, v20
	v_subrev_nc_u32_e32 v42, 28, v20
	v_sub_nc_u32_e32 v20, 29, v20
	v_lshlrev_b64 v[42:43], v42, v[9:10]
	v_and_b32_e32 v9, 7, v42
; %bb.591:                              ;   in Loop: Header=BB321_542 Depth=1
	s_or_b32 exec_lo, exec_lo, s17
	v_lshlrev_b32_sdwa v42, v37, v18 dst_sel:DWORD dst_unused:UNUSED_PAD src0_sel:DWORD src1_sel:WORD_1
	v_lshlrev_b32_e32 v9, 20, v9
	v_lshl_add_u32 v20, v20, 23, 0x3c000000
	v_and_b32_e32 v42, 0x80000000, v42
	v_or3_b32 v43, v9, v42, v20
.LBB321_592:                            ;   in Loop: Header=BB321_542 Depth=1
	s_or_b32 exec_lo, exec_lo, s16
.LBB321_593:                            ;   in Loop: Header=BB321_542 Depth=1
	s_or_b32 exec_lo, exec_lo, s15
.LBB321_594:                            ;   in Loop: Header=BB321_542 Depth=1
	s_or_b32 exec_lo, exec_lo, s0
	v_mov_b32_e32 v9, 0
	s_mov_b32 s0, exec_lo
	v_cmpx_lt_u64_e64 s[2:3], v[17:18]
	s_cbranch_execz .LBB321_602
; %bb.595:                              ;   in Loop: Header=BB321_542 Depth=1
	v_cmp_ne_u32_sdwa s16, v18, v33 src0_sel:BYTE_3 src1_sel:DWORD
	v_bfrev_b32_e32 v9, 1
	s_and_saveexec_b32 s15, s16
	s_cbranch_execz .LBB321_601
; %bb.596:                              ;   in Loop: Header=BB321_542 Depth=1
	v_bfe_u32 v20, v18, 24, 7
	v_mov_b32_e32 v9, 0x7f800001
	s_mov_b32 s16, exec_lo
	v_cmpx_ne_u32_e32 0x7f, v20
	s_cbranch_execz .LBB321_600
; %bb.597:                              ;   in Loop: Header=BB321_542 Depth=1
	v_and_b32_sdwa v9, v18, v36 dst_sel:DWORD dst_unused:UNUSED_PAD src0_sel:BYTE_3 src1_sel:DWORD
	v_lshrrev_b32_e32 v17, 3, v20
	s_mov_b32 s17, exec_lo
	v_cmpx_gt_u32_e32 8, v20
; %bb.598:                              ;   in Loop: Header=BB321_542 Depth=1
	v_ffbh_u32_e32 v17, v9
	v_min_u32_e32 v17, 32, v17
	v_subrev_nc_u32_e32 v20, 28, v17
	v_sub_nc_u32_e32 v17, 29, v17
	v_lshlrev_b64 v[44:45], v20, v[9:10]
	v_and_b32_e32 v9, 7, v44
; %bb.599:                              ;   in Loop: Header=BB321_542 Depth=1
	s_or_b32 exec_lo, exec_lo, s17
	v_lshlrev_b32_sdwa v18, v37, v18 dst_sel:DWORD dst_unused:UNUSED_PAD src0_sel:DWORD src1_sel:BYTE_3
	v_lshlrev_b32_e32 v9, 20, v9
	v_lshl_add_u32 v17, v17, 23, 0x3c000000
	v_and_b32_e32 v18, 0x80000000, v18
	v_or3_b32 v9, v9, v18, v17
.LBB321_600:                            ;   in Loop: Header=BB321_542 Depth=1
	s_or_b32 exec_lo, exec_lo, s16
.LBB321_601:                            ;   in Loop: Header=BB321_542 Depth=1
	s_or_b32 exec_lo, exec_lo, s15
.LBB321_602:                            ;   in Loop: Header=BB321_542 Depth=1
	s_or_b32 exec_lo, exec_lo, s0
	s_waitcnt lgkmcnt(0)
	v_mul_f32_e32 v17, s5, v19
	v_mul_f32_e32 v18, s5, v40
	;; [unrolled: 1-line block ×5, first 2 shown]
	v_bfe_u32 v20, v17, 16, 1
	v_or_b32_e32 v39, 0x400000, v17
	v_bfe_u32 v40, v18, 16, 1
	v_cmp_u_f32_e64 s0, v17, v17
	v_or_b32_e32 v42, 0x400000, v18
	v_add3_u32 v20, v20, v17, 0x7fff
	v_bfe_u32 v44, v19, 16, 1
	v_add3_u32 v40, v40, v18, 0x7fff
	v_or_b32_e32 v45, 0x400000, v19
	v_mul_f32_e32 v9, s5, v9
	v_cndmask_b32_e64 v17, v20, v39, s0
	v_cmp_u_f32_e64 s0, v18, v18
	v_add3_u32 v39, v44, v19, 0x7fff
	v_bfe_u32 v20, v41, 16, 1
	v_add_nc_u32_e32 v47, -7, v31
	v_cmp_eq_u32_e32 vcc_lo, s13, v38
	v_cndmask_b32_e64 v18, v40, v42, s0
	v_cmp_u_f32_e64 s0, v19, v19
	v_lshrrev_b32_e32 v40, 16, v17
	v_mul_f32_e32 v19, s5, v21
	v_add3_u32 v20, v20, v41, 0x7fff
	v_or_b32_e32 v21, 0x400000, v41
	v_cndmask_b32_e64 v17, v39, v45, s0
	v_cmp_u_f32_e64 s0, v41, v41
	v_lshrrev_b32_e32 v39, 16, v18
	v_bfe_u32 v41, v0, 16, 1
	v_or_b32_e32 v45, 0x400000, v9
	v_lshrrev_b32_e32 v42, 16, v17
	v_bfe_u32 v17, v19, 16, 1
	v_cndmask_b32_e64 v18, v20, v21, s0
	v_mul_f32_e32 v20, s5, v43
	v_or_b32_e32 v21, 0x400000, v19
	v_cmp_u_f32_e64 s0, v19, v19
	v_add3_u32 v17, v17, v19, 0x7fff
	v_bfe_u32 v19, v9, 16, 1
	v_bfe_u32 v43, v20, 16, 1
	v_or_b32_e32 v44, 0x400000, v20
	v_add_nc_u32_e32 v58, -6, v31
	v_cndmask_b32_e64 v17, v17, v21, s0
	v_add3_u32 v21, v41, v0, 0x7fff
	v_or_b32_e32 v41, 0x400000, v0
	v_cmp_u_f32_e64 s0, v0, v0
	v_add3_u32 v43, v43, v20, 0x7fff
	v_add3_u32 v19, v19, v9, 0x7fff
	v_lshrrev_b32_e32 v46, 16, v17
	v_add_nc_u32_e32 v57, -5, v31
	v_cndmask_b32_e64 v0, v21, v41, s0
	v_cmp_u_f32_e64 s0, v20, v20
	v_add_nc_u32_e32 v56, -4, v31
	v_add_nc_u32_e32 v55, -3, v31
	;; [unrolled: 1-line block ×4, first 2 shown]
	v_cndmask_b32_e64 v20, v43, v44, s0
	v_cmp_u_f32_e64 s0, v9, v9
	v_lshrrev_b32_e32 v44, 16, v18
	v_lshrrev_b32_e32 v41, 16, v20
	v_cndmask_b32_e64 v9, v19, v45, s0
	v_lshrrev_b32_e32 v45, 16, v0
	v_lshrrev_b32_e32 v43, 16, v9
	s_and_saveexec_b32 s15, vcc_lo
	s_cbranch_execz .LBB321_604
; %bb.603:                              ;   in Loop: Header=BB321_542 Depth=1
	v_cmp_gt_i32_e64 s0, s11, v47
	v_cndmask_b32_e64 v45, 0, v45, s0
	v_cmp_gt_i32_e64 s0, s11, v58
	v_cndmask_b32_e64 v46, 0, v46, s0
	;; [unrolled: 2-line block ×8, first 2 shown]
.LBB321_604:                            ;   in Loop: Header=BB321_542 Depth=1
	s_or_b32 exec_lo, exec_lo, s15
	global_load_dwordx2 v[17:18], v[15:16], off offset:256
	v_mov_b32_e32 v21, 0
	v_mov_b32_e32 v0, 0
	s_waitcnt vmcnt(0)
	v_cmp_ne_u16_sdwa s0, v17, v10 src0_sel:BYTE_0 src1_sel:DWORD
	s_and_saveexec_b32 s15, s0
	s_cbranch_execz .LBB321_610
; %bb.605:                              ;   in Loop: Header=BB321_542 Depth=1
	v_cmp_ne_u16_sdwa s0, v17, v33 src0_sel:BYTE_0 src1_sel:DWORD
	v_bfrev_b32_e32 v0, 1
	s_and_saveexec_b32 s16, s0
	s_cbranch_execz .LBB321_609
; %bb.606:                              ;   in Loop: Header=BB321_542 Depth=1
	v_and_b32_e32 v9, 0x7f, v17
	v_mov_b32_e32 v0, 0x7f800001
	s_mov_b32 s17, exec_lo
	v_cmpx_ne_u32_e32 0x7f, v9
	s_cbranch_execz .LBB321_608
; %bb.607:                              ;   in Loop: Header=BB321_542 Depth=1
	v_and_b32_e32 v0, 7, v17
	v_cmp_gt_u32_e64 s0, 8, v9
	v_lshrrev_b32_e32 v19, 3, v9
	v_ffbh_u32_e32 v0, v0
	v_min_u32_e32 v0, 32, v0
	v_subrev_nc_u32_e32 v20, 28, v0
	v_sub_nc_u32_e32 v0, 29, v0
	v_cndmask_b32_e64 v9, 0, v20, s0
	v_cndmask_b32_e64 v0, v19, v0, s0
	v_lshlrev_b64 v[19:20], v9, v[17:18]
	v_lshlrev_b32_e32 v9, 24, v17
	v_lshl_add_u32 v0, v0, 23, 0x3c000000
	v_and_b32_e32 v9, 0x80000000, v9
	v_lshlrev_b32_e32 v19, 20, v19
	v_and_b32_e32 v19, 0x700000, v19
	v_or3_b32 v0, v19, v9, v0
.LBB321_608:                            ;   in Loop: Header=BB321_542 Depth=1
	s_or_b32 exec_lo, exec_lo, s17
.LBB321_609:                            ;   in Loop: Header=BB321_542 Depth=1
	s_or_b32 exec_lo, exec_lo, s16
.LBB321_610:                            ;   in Loop: Header=BB321_542 Depth=1
	s_or_b32 exec_lo, exec_lo, s15
	v_cmp_ne_u16_sdwa s0, v17, v10 src0_sel:BYTE_1 src1_sel:DWORD
	s_and_saveexec_b32 s15, s0
	s_cbranch_execz .LBB321_618
; %bb.611:                              ;   in Loop: Header=BB321_542 Depth=1
	v_cmp_ne_u16_sdwa s0, v17, v33 src0_sel:BYTE_1 src1_sel:DWORD
	v_bfrev_b32_e32 v21, 1
	s_and_saveexec_b32 s16, s0
	s_cbranch_execz .LBB321_617
; %bb.612:                              ;   in Loop: Header=BB321_542 Depth=1
	v_and_b32_sdwa v9, v34, v17 dst_sel:DWORD dst_unused:UNUSED_PAD src0_sel:DWORD src1_sel:BYTE_1
	v_mov_b32_e32 v21, 0x7f800001
	s_mov_b32 s17, exec_lo
	v_and_b32_e32 v20, 0x7f, v9
	v_cmpx_ne_u32_e32 0x7f, v20
	s_cbranch_execz .LBB321_616
; %bb.613:                              ;   in Loop: Header=BB321_542 Depth=1
	v_and_b32_e32 v9, 7, v9
	v_lshrrev_b32_e32 v19, 3, v20
	s_mov_b32 s18, exec_lo
	v_cmpx_gt_u32_e32 8, v20
; %bb.614:                              ;   in Loop: Header=BB321_542 Depth=1
	v_ffbh_u32_e32 v19, v9
	v_min_u32_e32 v19, 32, v19
	v_subrev_nc_u32_e32 v20, 28, v19
	v_sub_nc_u32_e32 v19, 29, v19
	v_lshlrev_b64 v[20:21], v20, v[9:10]
	v_and_b32_e32 v9, 7, v20
; %bb.615:                              ;   in Loop: Header=BB321_542 Depth=1
	s_or_b32 exec_lo, exec_lo, s18
	v_lshlrev_b32_e32 v20, 16, v17
	v_lshlrev_b32_e32 v9, 20, v9
	v_lshl_add_u32 v19, v19, 23, 0x3c000000
	v_and_b32_e32 v20, 0x80000000, v20
	v_or3_b32 v21, v9, v20, v19
.LBB321_616:                            ;   in Loop: Header=BB321_542 Depth=1
	s_or_b32 exec_lo, exec_lo, s17
.LBB321_617:                            ;   in Loop: Header=BB321_542 Depth=1
	s_or_b32 exec_lo, exec_lo, s16
.LBB321_618:                            ;   in Loop: Header=BB321_542 Depth=1
	s_or_b32 exec_lo, exec_lo, s15
	v_and_b32_sdwa v9, v17, v35 dst_sel:DWORD dst_unused:UNUSED_PAD src0_sel:WORD_1 src1_sel:DWORD
	v_mov_b32_e32 v49, 0
	v_mov_b32_e32 v48, 0
	s_mov_b32 s15, exec_lo
	v_cmpx_ne_u16_e32 0, v9
	s_cbranch_execz .LBB321_626
; %bb.619:                              ;   in Loop: Header=BB321_542 Depth=1
	v_bfrev_b32_e32 v48, 1
	s_mov_b32 s16, exec_lo
	v_cmpx_ne_u16_e32 0x80, v9
	s_cbranch_execz .LBB321_625
; %bb.620:                              ;   in Loop: Header=BB321_542 Depth=1
	v_bfe_u32 v20, v17, 16, 7
	v_mov_b32_e32 v48, 0x7f800001
	s_mov_b32 s17, exec_lo
	v_cmpx_ne_u32_e32 0x7f, v20
	s_cbranch_execz .LBB321_624
; %bb.621:                              ;   in Loop: Header=BB321_542 Depth=1
	v_and_b32_sdwa v9, v17, v36 dst_sel:DWORD dst_unused:UNUSED_PAD src0_sel:WORD_1 src1_sel:DWORD
	v_lshrrev_b32_e32 v19, 3, v20
	s_mov_b32 s18, exec_lo
	v_cmpx_gt_u32_e32 8, v20
; %bb.622:                              ;   in Loop: Header=BB321_542 Depth=1
	v_ffbh_u32_e32 v19, v9
	v_min_u32_e32 v19, 32, v19
	v_subrev_nc_u32_e32 v20, 28, v19
	v_sub_nc_u32_e32 v19, 29, v19
	v_lshlrev_b64 v[50:51], v20, v[9:10]
	v_and_b32_e32 v9, 7, v50
; %bb.623:                              ;   in Loop: Header=BB321_542 Depth=1
	s_or_b32 exec_lo, exec_lo, s18
	v_lshlrev_b32_sdwa v20, v37, v17 dst_sel:DWORD dst_unused:UNUSED_PAD src0_sel:DWORD src1_sel:WORD_1
	v_lshlrev_b32_e32 v9, 20, v9
	v_lshl_add_u32 v19, v19, 23, 0x3c000000
	v_and_b32_e32 v20, 0x80000000, v20
	v_or3_b32 v48, v9, v20, v19
.LBB321_624:                            ;   in Loop: Header=BB321_542 Depth=1
	s_or_b32 exec_lo, exec_lo, s17
.LBB321_625:                            ;   in Loop: Header=BB321_542 Depth=1
	s_or_b32 exec_lo, exec_lo, s16
.LBB321_626:                            ;   in Loop: Header=BB321_542 Depth=1
	s_or_b32 exec_lo, exec_lo, s15
	s_mov_b32 s15, exec_lo
	v_cmpx_lt_u32_e32 0xffffff, v17
	s_cbranch_execz .LBB321_634
; %bb.627:                              ;   in Loop: Header=BB321_542 Depth=1
	v_cmp_ne_u32_sdwa s0, v17, v33 src0_sel:BYTE_3 src1_sel:DWORD
	v_bfrev_b32_e32 v49, 1
	s_and_saveexec_b32 s16, s0
	s_cbranch_execz .LBB321_633
; %bb.628:                              ;   in Loop: Header=BB321_542 Depth=1
	v_bfe_u32 v20, v17, 24, 7
	v_mov_b32_e32 v49, 0x7f800001
	s_mov_b32 s17, exec_lo
	v_cmpx_ne_u32_e32 0x7f, v20
	s_cbranch_execz .LBB321_632
; %bb.629:                              ;   in Loop: Header=BB321_542 Depth=1
	v_and_b32_sdwa v9, v17, v36 dst_sel:DWORD dst_unused:UNUSED_PAD src0_sel:BYTE_3 src1_sel:DWORD
	v_lshrrev_b32_e32 v19, 3, v20
	s_mov_b32 s18, exec_lo
	v_cmpx_gt_u32_e32 8, v20
; %bb.630:                              ;   in Loop: Header=BB321_542 Depth=1
	v_ffbh_u32_e32 v19, v9
	v_min_u32_e32 v19, 32, v19
	v_subrev_nc_u32_e32 v20, 28, v19
	v_sub_nc_u32_e32 v19, 29, v19
	v_lshlrev_b64 v[49:50], v20, v[9:10]
	v_and_b32_e32 v9, 7, v49
; %bb.631:                              ;   in Loop: Header=BB321_542 Depth=1
	s_or_b32 exec_lo, exec_lo, s18
	v_lshlrev_b32_sdwa v20, v37, v17 dst_sel:DWORD dst_unused:UNUSED_PAD src0_sel:DWORD src1_sel:BYTE_3
	v_lshlrev_b32_e32 v9, 20, v9
	v_lshl_add_u32 v19, v19, 23, 0x3c000000
	v_and_b32_e32 v20, 0x80000000, v20
	v_or3_b32 v49, v9, v20, v19
.LBB321_632:                            ;   in Loop: Header=BB321_542 Depth=1
	s_or_b32 exec_lo, exec_lo, s17
.LBB321_633:                            ;   in Loop: Header=BB321_542 Depth=1
	s_or_b32 exec_lo, exec_lo, s16
.LBB321_634:                            ;   in Loop: Header=BB321_542 Depth=1
	s_or_b32 exec_lo, exec_lo, s15
	v_mov_b32_e32 v9, v18
	v_cmp_ne_u16_sdwa s0, v18, v10 src0_sel:BYTE_0 src1_sel:DWORD
	v_mov_b32_e32 v19, 0
	v_mov_b32_e32 v50, 0
	s_and_saveexec_b32 s15, s0
	s_cbranch_execz .LBB321_640
; %bb.635:                              ;   in Loop: Header=BB321_542 Depth=1
	v_cmp_ne_u16_sdwa s0, v18, v33 src0_sel:BYTE_0 src1_sel:DWORD
	v_bfrev_b32_e32 v50, 1
	s_and_saveexec_b32 s16, s0
	s_cbranch_execz .LBB321_639
; %bb.636:                              ;   in Loop: Header=BB321_542 Depth=1
	v_and_b32_e32 v20, 0x7f, v18
	v_mov_b32_e32 v50, 0x7f800001
	s_mov_b32 s17, exec_lo
	v_cmpx_ne_u32_e32 0x7f, v20
	s_cbranch_execz .LBB321_638
; %bb.637:                              ;   in Loop: Header=BB321_542 Depth=1
	v_and_b32_e32 v50, 7, v18
	v_lshrrev_b32_e32 v51, 3, v20
	v_cmp_gt_u32_e64 s0, 8, v20
	v_ffbh_u32_e32 v50, v50
	v_min_u32_e32 v50, 32, v50
	v_subrev_nc_u32_e32 v52, 28, v50
	v_sub_nc_u32_e32 v50, 29, v50
	v_cndmask_b32_e64 v20, v51, v50, s0
	v_cndmask_b32_e64 v50, 0, v52, s0
	v_lshl_add_u32 v20, v20, 23, 0x3c000000
	v_lshlrev_b64 v[50:51], v50, v[9:10]
	v_lshlrev_b32_e32 v51, 24, v9
	v_lshlrev_b32_e32 v50, 20, v50
	v_and_b32_e32 v51, 0x80000000, v51
	v_and_b32_e32 v50, 0x700000, v50
	v_or3_b32 v50, v50, v51, v20
.LBB321_638:                            ;   in Loop: Header=BB321_542 Depth=1
	s_or_b32 exec_lo, exec_lo, s17
.LBB321_639:                            ;   in Loop: Header=BB321_542 Depth=1
	s_or_b32 exec_lo, exec_lo, s16
.LBB321_640:                            ;   in Loop: Header=BB321_542 Depth=1
	s_or_b32 exec_lo, exec_lo, s15
	v_cmp_ne_u16_sdwa s0, v9, v10 src0_sel:BYTE_1 src1_sel:DWORD
	s_and_saveexec_b32 s15, s0
	s_cbranch_execz .LBB321_648
; %bb.641:                              ;   in Loop: Header=BB321_542 Depth=1
	v_cmp_ne_u16_sdwa s0, v9, v33 src0_sel:BYTE_1 src1_sel:DWORD
	v_bfrev_b32_e32 v19, 1
	s_and_saveexec_b32 s16, s0
	s_cbranch_execz .LBB321_647
; %bb.642:                              ;   in Loop: Header=BB321_542 Depth=1
	v_and_b32_sdwa v20, v34, v9 dst_sel:DWORD dst_unused:UNUSED_PAD src0_sel:DWORD src1_sel:BYTE_1
	v_mov_b32_e32 v19, 0x7f800001
	s_mov_b32 s17, exec_lo
	v_and_b32_e32 v52, 0x7f, v20
	v_cmpx_ne_u32_e32 0x7f, v52
	s_cbranch_execz .LBB321_646
; %bb.643:                              ;   in Loop: Header=BB321_542 Depth=1
	v_and_b32_e32 v19, 7, v20
	v_mov_b32_e32 v20, v10
	v_lshrrev_b32_e32 v51, 3, v52
	s_mov_b32 s18, exec_lo
	v_cmpx_gt_u32_e32 8, v52
; %bb.644:                              ;   in Loop: Header=BB321_542 Depth=1
	v_ffbh_u32_e32 v51, v19
	v_min_u32_e32 v51, 32, v51
	v_subrev_nc_u32_e32 v52, 28, v51
	v_sub_nc_u32_e32 v51, 29, v51
	v_lshlrev_b64 v[19:20], v52, v[19:20]
	v_and_b32_e32 v19, 7, v19
; %bb.645:                              ;   in Loop: Header=BB321_542 Depth=1
	s_or_b32 exec_lo, exec_lo, s18
	v_lshlrev_b32_e32 v9, 16, v9
	v_lshlrev_b32_e32 v19, 20, v19
	v_lshl_add_u32 v20, v51, 23, 0x3c000000
	v_and_b32_e32 v9, 0x80000000, v9
	v_or3_b32 v19, v19, v9, v20
.LBB321_646:                            ;   in Loop: Header=BB321_542 Depth=1
	s_or_b32 exec_lo, exec_lo, s17
.LBB321_647:                            ;   in Loop: Header=BB321_542 Depth=1
	s_or_b32 exec_lo, exec_lo, s16
.LBB321_648:                            ;   in Loop: Header=BB321_542 Depth=1
	s_or_b32 exec_lo, exec_lo, s15
	v_and_b32_sdwa v9, v18, v35 dst_sel:DWORD dst_unused:UNUSED_PAD src0_sel:WORD_1 src1_sel:DWORD
	v_mov_b32_e32 v20, 0
	v_mov_b32_e32 v52, 0
	s_mov_b32 s15, exec_lo
	v_cmpx_ne_u16_e32 0, v9
	s_cbranch_execz .LBB321_656
; %bb.649:                              ;   in Loop: Header=BB321_542 Depth=1
	v_bfrev_b32_e32 v52, 1
	s_mov_b32 s16, exec_lo
	v_cmpx_ne_u16_e32 0x80, v9
	s_cbranch_execz .LBB321_655
; %bb.650:                              ;   in Loop: Header=BB321_542 Depth=1
	v_bfe_u32 v59, v18, 16, 7
	v_mov_b32_e32 v52, 0x7f800001
	s_mov_b32 s17, exec_lo
	v_cmpx_ne_u32_e32 0x7f, v59
	s_cbranch_execz .LBB321_654
; %bb.651:                              ;   in Loop: Header=BB321_542 Depth=1
	v_and_b32_sdwa v9, v18, v36 dst_sel:DWORD dst_unused:UNUSED_PAD src0_sel:WORD_1 src1_sel:DWORD
	v_lshrrev_b32_e32 v51, 3, v59
	s_mov_b32 s18, exec_lo
	v_cmpx_gt_u32_e32 8, v59
; %bb.652:                              ;   in Loop: Header=BB321_542 Depth=1
	v_ffbh_u32_e32 v51, v9
	v_min_u32_e32 v51, 32, v51
	v_subrev_nc_u32_e32 v52, 28, v51
	v_sub_nc_u32_e32 v51, 29, v51
	v_lshlrev_b64 v[59:60], v52, v[9:10]
	v_and_b32_e32 v9, 7, v59
; %bb.653:                              ;   in Loop: Header=BB321_542 Depth=1
	s_or_b32 exec_lo, exec_lo, s18
	v_lshlrev_b32_sdwa v52, v37, v18 dst_sel:DWORD dst_unused:UNUSED_PAD src0_sel:DWORD src1_sel:WORD_1
	v_lshlrev_b32_e32 v9, 20, v9
	v_lshl_add_u32 v51, v51, 23, 0x3c000000
	v_and_b32_e32 v52, 0x80000000, v52
	v_or3_b32 v52, v9, v52, v51
.LBB321_654:                            ;   in Loop: Header=BB321_542 Depth=1
	s_or_b32 exec_lo, exec_lo, s17
.LBB321_655:                            ;   in Loop: Header=BB321_542 Depth=1
	s_or_b32 exec_lo, exec_lo, s16
.LBB321_656:                            ;   in Loop: Header=BB321_542 Depth=1
	s_or_b32 exec_lo, exec_lo, s15
	s_mov_b32 s15, exec_lo
	v_cmpx_lt_u64_e64 s[2:3], v[17:18]
	s_cbranch_execz .LBB321_664
; %bb.657:                              ;   in Loop: Header=BB321_542 Depth=1
	v_cmp_ne_u32_sdwa s0, v18, v33 src0_sel:BYTE_3 src1_sel:DWORD
	v_bfrev_b32_e32 v20, 1
	s_and_saveexec_b32 s16, s0
	s_cbranch_execz .LBB321_663
; %bb.658:                              ;   in Loop: Header=BB321_542 Depth=1
	v_bfe_u32 v51, v18, 24, 7
	v_mov_b32_e32 v20, 0x7f800001
	s_mov_b32 s17, exec_lo
	v_cmpx_ne_u32_e32 0x7f, v51
	s_cbranch_execz .LBB321_662
; %bb.659:                              ;   in Loop: Header=BB321_542 Depth=1
	v_and_b32_sdwa v9, v18, v36 dst_sel:DWORD dst_unused:UNUSED_PAD src0_sel:BYTE_3 src1_sel:DWORD
	v_lshrrev_b32_e32 v17, 3, v51
	s_mov_b32 s18, exec_lo
	v_cmpx_gt_u32_e32 8, v51
; %bb.660:                              ;   in Loop: Header=BB321_542 Depth=1
	v_ffbh_u32_e32 v17, v9
	v_min_u32_e32 v17, 32, v17
	v_subrev_nc_u32_e32 v20, 28, v17
	v_sub_nc_u32_e32 v17, 29, v17
	v_lshlrev_b64 v[59:60], v20, v[9:10]
	v_and_b32_e32 v9, 7, v59
; %bb.661:                              ;   in Loop: Header=BB321_542 Depth=1
	s_or_b32 exec_lo, exec_lo, s18
	v_lshlrev_b32_sdwa v18, v37, v18 dst_sel:DWORD dst_unused:UNUSED_PAD src0_sel:DWORD src1_sel:BYTE_3
	v_lshlrev_b32_e32 v9, 20, v9
	v_lshl_add_u32 v17, v17, 23, 0x3c000000
	v_and_b32_e32 v18, 0x80000000, v18
	v_or3_b32 v20, v9, v18, v17
.LBB321_662:                            ;   in Loop: Header=BB321_542 Depth=1
	s_or_b32 exec_lo, exec_lo, s17
.LBB321_663:                            ;   in Loop: Header=BB321_542 Depth=1
	s_or_b32 exec_lo, exec_lo, s16
.LBB321_664:                            ;   in Loop: Header=BB321_542 Depth=1
	s_or_b32 exec_lo, exec_lo, s15
	v_mul_f32_e32 v9, s5, v19
	v_mul_f32_e32 v17, s5, v50
	;; [unrolled: 1-line block ×5, first 2 shown]
	v_bfe_u32 v48, v9, 16, 1
	v_or_b32_e32 v49, 0x400000, v9
	v_bfe_u32 v50, v17, 16, 1
	v_cmp_u_f32_e64 s0, v9, v9
	v_or_b32_e32 v51, 0x400000, v17
	v_add3_u32 v48, v48, v9, 0x7fff
	v_bfe_u32 v59, v18, 16, 1
	v_add3_u32 v50, v50, v17, 0x7fff
	v_or_b32_e32 v60, 0x400000, v18
	v_bfe_u32 v61, v19, 16, 1
	v_cndmask_b32_e64 v9, v48, v49, s0
	v_cmp_u_f32_e64 s0, v17, v17
	v_add3_u32 v59, v59, v18, 0x7fff
	v_mul_f32_e32 v20, s5, v20
	v_lshrrev_b32_e32 v48, 16, v9
	v_cndmask_b32_e64 v17, v50, v51, s0
	v_cmp_u_f32_e64 s0, v18, v18
	v_mul_f32_e32 v9, s5, v21
	v_add3_u32 v21, v61, v19, 0x7fff
	v_or_b32_e32 v50, 0x400000, v19
	v_lshrrev_b32_e32 v49, 16, v17
	v_cndmask_b32_e64 v18, v59, v60, s0
	v_bfe_u32 v17, v9, 16, 1
	v_cmp_u_f32_e64 s0, v19, v19
	v_mul_f32_e32 v19, s5, v52
	v_or_b32_e32 v60, 0x400000, v20
	v_lshrrev_b32_e32 v51, 16, v18
	v_add3_u32 v17, v17, v9, 0x7fff
	v_cndmask_b32_e64 v18, v21, v50, s0
	v_or_b32_e32 v21, 0x400000, v9
	v_bfe_u32 v50, v0, 16, 1
	v_cmp_u_f32_e64 s0, v9, v9
	v_bfe_u32 v52, v19, 16, 1
	v_or_b32_e32 v59, 0x400000, v19
	v_cndmask_b32_e64 v9, v17, v21, s0
	v_add3_u32 v21, v50, v0, 0x7fff
	v_or_b32_e32 v50, 0x400000, v0
	v_cmp_u_f32_e64 s0, v0, v0
	v_bfe_u32 v17, v20, 16, 1
	v_add3_u32 v52, v52, v19, 0x7fff
	v_lshrrev_b32_e32 v61, 16, v9
	v_cndmask_b32_e64 v0, v21, v50, s0
	v_cmp_u_f32_e64 s0, v19, v19
	v_add3_u32 v17, v17, v20, 0x7fff
	v_cndmask_b32_e64 v19, v52, v59, s0
	v_cmp_u_f32_e64 s0, v20, v20
	v_lshrrev_b32_e32 v59, 16, v18
	v_lshrrev_b32_e32 v50, 16, v19
	v_cndmask_b32_e64 v17, v17, v60, s0
	v_lshrrev_b32_e32 v60, 16, v0
	v_lshrrev_b32_e32 v52, 16, v17
	s_and_saveexec_b32 s15, vcc_lo
	s_cbranch_execz .LBB321_666
; %bb.665:                              ;   in Loop: Header=BB321_542 Depth=1
	v_cmp_gt_i32_e64 s0, s11, v47
	v_cndmask_b32_e64 v60, 0, v60, s0
	v_cmp_gt_i32_e64 s0, s11, v58
	v_cndmask_b32_e64 v61, 0, v61, s0
	v_cmp_gt_i32_e64 s0, s11, v57
	v_cndmask_b32_e64 v59, 0, v59, s0
	v_cmp_gt_i32_e64 s0, s11, v56
	v_cndmask_b32_e64 v51, 0, v51, s0
	v_cmp_gt_i32_e64 s0, s11, v55
	v_cndmask_b32_e64 v49, 0, v49, s0
	v_cmp_gt_i32_e64 s0, s11, v54
	v_cndmask_b32_e64 v48, 0, v48, s0
	v_cmp_gt_i32_e64 s0, s11, v53
	v_cndmask_b32_e64 v50, 0, v50, s0
	v_cmp_gt_i32_e64 s0, s11, v31
	v_cndmask_b32_e64 v52, 0, v52, s0
.LBB321_666:                            ;   in Loop: Header=BB321_542 Depth=1
	s_or_b32 exec_lo, exec_lo, s15
	global_load_dwordx2 v[17:18], v[15:16], off offset:512
	v_mov_b32_e32 v21, 0
	v_mov_b32_e32 v0, 0
	s_waitcnt vmcnt(0)
	v_cmp_ne_u16_sdwa s0, v17, v10 src0_sel:BYTE_0 src1_sel:DWORD
	s_and_saveexec_b32 s15, s0
	s_cbranch_execz .LBB321_672
; %bb.667:                              ;   in Loop: Header=BB321_542 Depth=1
	v_cmp_ne_u16_sdwa s0, v17, v33 src0_sel:BYTE_0 src1_sel:DWORD
	v_bfrev_b32_e32 v0, 1
	s_and_saveexec_b32 s16, s0
	s_cbranch_execz .LBB321_671
; %bb.668:                              ;   in Loop: Header=BB321_542 Depth=1
	v_and_b32_e32 v9, 0x7f, v17
	v_mov_b32_e32 v0, 0x7f800001
	s_mov_b32 s17, exec_lo
	v_cmpx_ne_u32_e32 0x7f, v9
	s_cbranch_execz .LBB321_670
; %bb.669:                              ;   in Loop: Header=BB321_542 Depth=1
	v_and_b32_e32 v0, 7, v17
	v_cmp_gt_u32_e64 s0, 8, v9
	v_lshrrev_b32_e32 v19, 3, v9
	v_ffbh_u32_e32 v0, v0
	v_min_u32_e32 v0, 32, v0
	v_subrev_nc_u32_e32 v20, 28, v0
	v_sub_nc_u32_e32 v0, 29, v0
	v_cndmask_b32_e64 v9, 0, v20, s0
	v_cndmask_b32_e64 v0, v19, v0, s0
	v_lshlrev_b64 v[19:20], v9, v[17:18]
	v_lshlrev_b32_e32 v9, 24, v17
	v_lshl_add_u32 v0, v0, 23, 0x3c000000
	v_and_b32_e32 v9, 0x80000000, v9
	v_lshlrev_b32_e32 v19, 20, v19
	v_and_b32_e32 v19, 0x700000, v19
	v_or3_b32 v0, v19, v9, v0
.LBB321_670:                            ;   in Loop: Header=BB321_542 Depth=1
	s_or_b32 exec_lo, exec_lo, s17
.LBB321_671:                            ;   in Loop: Header=BB321_542 Depth=1
	s_or_b32 exec_lo, exec_lo, s16
.LBB321_672:                            ;   in Loop: Header=BB321_542 Depth=1
	s_or_b32 exec_lo, exec_lo, s15
	v_cmp_ne_u16_sdwa s0, v17, v10 src0_sel:BYTE_1 src1_sel:DWORD
	s_and_saveexec_b32 s15, s0
	s_cbranch_execz .LBB321_680
; %bb.673:                              ;   in Loop: Header=BB321_542 Depth=1
	v_cmp_ne_u16_sdwa s0, v17, v33 src0_sel:BYTE_1 src1_sel:DWORD
	v_bfrev_b32_e32 v21, 1
	s_and_saveexec_b32 s16, s0
	s_cbranch_execz .LBB321_679
; %bb.674:                              ;   in Loop: Header=BB321_542 Depth=1
	v_and_b32_sdwa v9, v34, v17 dst_sel:DWORD dst_unused:UNUSED_PAD src0_sel:DWORD src1_sel:BYTE_1
	v_mov_b32_e32 v21, 0x7f800001
	s_mov_b32 s17, exec_lo
	v_and_b32_e32 v20, 0x7f, v9
	v_cmpx_ne_u32_e32 0x7f, v20
	s_cbranch_execz .LBB321_678
; %bb.675:                              ;   in Loop: Header=BB321_542 Depth=1
	v_and_b32_e32 v9, 7, v9
	v_lshrrev_b32_e32 v19, 3, v20
	s_mov_b32 s18, exec_lo
	v_cmpx_gt_u32_e32 8, v20
; %bb.676:                              ;   in Loop: Header=BB321_542 Depth=1
	v_ffbh_u32_e32 v19, v9
	v_min_u32_e32 v19, 32, v19
	v_subrev_nc_u32_e32 v20, 28, v19
	v_sub_nc_u32_e32 v19, 29, v19
	v_lshlrev_b64 v[20:21], v20, v[9:10]
	v_and_b32_e32 v9, 7, v20
; %bb.677:                              ;   in Loop: Header=BB321_542 Depth=1
	s_or_b32 exec_lo, exec_lo, s18
	v_lshlrev_b32_e32 v20, 16, v17
	v_lshlrev_b32_e32 v9, 20, v9
	v_lshl_add_u32 v19, v19, 23, 0x3c000000
	v_and_b32_e32 v20, 0x80000000, v20
	v_or3_b32 v21, v9, v20, v19
.LBB321_678:                            ;   in Loop: Header=BB321_542 Depth=1
	s_or_b32 exec_lo, exec_lo, s17
.LBB321_679:                            ;   in Loop: Header=BB321_542 Depth=1
	s_or_b32 exec_lo, exec_lo, s16
.LBB321_680:                            ;   in Loop: Header=BB321_542 Depth=1
	s_or_b32 exec_lo, exec_lo, s15
	v_and_b32_sdwa v9, v17, v35 dst_sel:DWORD dst_unused:UNUSED_PAD src0_sel:WORD_1 src1_sel:DWORD
	v_mov_b32_e32 v63, 0
	v_mov_b32_e32 v62, 0
	s_mov_b32 s15, exec_lo
	v_cmpx_ne_u16_e32 0, v9
	s_cbranch_execz .LBB321_688
; %bb.681:                              ;   in Loop: Header=BB321_542 Depth=1
	v_bfrev_b32_e32 v62, 1
	s_mov_b32 s16, exec_lo
	v_cmpx_ne_u16_e32 0x80, v9
	s_cbranch_execz .LBB321_687
; %bb.682:                              ;   in Loop: Header=BB321_542 Depth=1
	v_bfe_u32 v20, v17, 16, 7
	v_mov_b32_e32 v62, 0x7f800001
	s_mov_b32 s17, exec_lo
	v_cmpx_ne_u32_e32 0x7f, v20
	s_cbranch_execz .LBB321_686
; %bb.683:                              ;   in Loop: Header=BB321_542 Depth=1
	v_and_b32_sdwa v9, v17, v36 dst_sel:DWORD dst_unused:UNUSED_PAD src0_sel:WORD_1 src1_sel:DWORD
	v_lshrrev_b32_e32 v19, 3, v20
	s_mov_b32 s18, exec_lo
	v_cmpx_gt_u32_e32 8, v20
; %bb.684:                              ;   in Loop: Header=BB321_542 Depth=1
	v_ffbh_u32_e32 v19, v9
	v_min_u32_e32 v19, 32, v19
	v_subrev_nc_u32_e32 v20, 28, v19
	v_sub_nc_u32_e32 v19, 29, v19
	v_lshlrev_b64 v[64:65], v20, v[9:10]
	v_and_b32_e32 v9, 7, v64
; %bb.685:                              ;   in Loop: Header=BB321_542 Depth=1
	s_or_b32 exec_lo, exec_lo, s18
	v_lshlrev_b32_sdwa v20, v37, v17 dst_sel:DWORD dst_unused:UNUSED_PAD src0_sel:DWORD src1_sel:WORD_1
	v_lshlrev_b32_e32 v9, 20, v9
	v_lshl_add_u32 v19, v19, 23, 0x3c000000
	v_and_b32_e32 v20, 0x80000000, v20
	v_or3_b32 v62, v9, v20, v19
.LBB321_686:                            ;   in Loop: Header=BB321_542 Depth=1
	s_or_b32 exec_lo, exec_lo, s17
.LBB321_687:                            ;   in Loop: Header=BB321_542 Depth=1
	s_or_b32 exec_lo, exec_lo, s16
.LBB321_688:                            ;   in Loop: Header=BB321_542 Depth=1
	s_or_b32 exec_lo, exec_lo, s15
	s_mov_b32 s15, exec_lo
	v_cmpx_lt_u32_e32 0xffffff, v17
	s_cbranch_execz .LBB321_696
; %bb.689:                              ;   in Loop: Header=BB321_542 Depth=1
	v_cmp_ne_u32_sdwa s0, v17, v33 src0_sel:BYTE_3 src1_sel:DWORD
	v_bfrev_b32_e32 v63, 1
	s_and_saveexec_b32 s16, s0
	s_cbranch_execz .LBB321_695
; %bb.690:                              ;   in Loop: Header=BB321_542 Depth=1
	v_bfe_u32 v20, v17, 24, 7
	v_mov_b32_e32 v63, 0x7f800001
	s_mov_b32 s17, exec_lo
	v_cmpx_ne_u32_e32 0x7f, v20
	s_cbranch_execz .LBB321_694
; %bb.691:                              ;   in Loop: Header=BB321_542 Depth=1
	v_and_b32_sdwa v9, v17, v36 dst_sel:DWORD dst_unused:UNUSED_PAD src0_sel:BYTE_3 src1_sel:DWORD
	v_lshrrev_b32_e32 v19, 3, v20
	s_mov_b32 s18, exec_lo
	v_cmpx_gt_u32_e32 8, v20
; %bb.692:                              ;   in Loop: Header=BB321_542 Depth=1
	v_ffbh_u32_e32 v19, v9
	v_min_u32_e32 v19, 32, v19
	v_subrev_nc_u32_e32 v20, 28, v19
	v_sub_nc_u32_e32 v19, 29, v19
	v_lshlrev_b64 v[63:64], v20, v[9:10]
	v_and_b32_e32 v9, 7, v63
; %bb.693:                              ;   in Loop: Header=BB321_542 Depth=1
	s_or_b32 exec_lo, exec_lo, s18
	v_lshlrev_b32_sdwa v20, v37, v17 dst_sel:DWORD dst_unused:UNUSED_PAD src0_sel:DWORD src1_sel:BYTE_3
	v_lshlrev_b32_e32 v9, 20, v9
	v_lshl_add_u32 v19, v19, 23, 0x3c000000
	v_and_b32_e32 v20, 0x80000000, v20
	v_or3_b32 v63, v9, v20, v19
.LBB321_694:                            ;   in Loop: Header=BB321_542 Depth=1
	s_or_b32 exec_lo, exec_lo, s17
.LBB321_695:                            ;   in Loop: Header=BB321_542 Depth=1
	s_or_b32 exec_lo, exec_lo, s16
.LBB321_696:                            ;   in Loop: Header=BB321_542 Depth=1
	s_or_b32 exec_lo, exec_lo, s15
	v_mov_b32_e32 v9, v18
	v_cmp_ne_u16_sdwa s0, v18, v10 src0_sel:BYTE_0 src1_sel:DWORD
	v_mov_b32_e32 v19, 0
	v_mov_b32_e32 v64, 0
	s_and_saveexec_b32 s15, s0
	s_cbranch_execz .LBB321_702
; %bb.697:                              ;   in Loop: Header=BB321_542 Depth=1
	v_cmp_ne_u16_sdwa s0, v18, v33 src0_sel:BYTE_0 src1_sel:DWORD
	v_bfrev_b32_e32 v64, 1
	s_and_saveexec_b32 s16, s0
	s_cbranch_execz .LBB321_701
; %bb.698:                              ;   in Loop: Header=BB321_542 Depth=1
	v_and_b32_e32 v20, 0x7f, v18
	v_mov_b32_e32 v64, 0x7f800001
	s_mov_b32 s17, exec_lo
	v_cmpx_ne_u32_e32 0x7f, v20
	s_cbranch_execz .LBB321_700
; %bb.699:                              ;   in Loop: Header=BB321_542 Depth=1
	v_and_b32_e32 v64, 7, v18
	v_lshrrev_b32_e32 v65, 3, v20
	v_cmp_gt_u32_e64 s0, 8, v20
	v_ffbh_u32_e32 v64, v64
	v_min_u32_e32 v64, 32, v64
	v_subrev_nc_u32_e32 v66, 28, v64
	v_sub_nc_u32_e32 v64, 29, v64
	v_cndmask_b32_e64 v20, v65, v64, s0
	v_cndmask_b32_e64 v64, 0, v66, s0
	v_lshl_add_u32 v20, v20, 23, 0x3c000000
	v_lshlrev_b64 v[64:65], v64, v[9:10]
	v_lshlrev_b32_e32 v65, 24, v9
	v_lshlrev_b32_e32 v64, 20, v64
	v_and_b32_e32 v65, 0x80000000, v65
	v_and_b32_e32 v64, 0x700000, v64
	v_or3_b32 v64, v64, v65, v20
.LBB321_700:                            ;   in Loop: Header=BB321_542 Depth=1
	s_or_b32 exec_lo, exec_lo, s17
.LBB321_701:                            ;   in Loop: Header=BB321_542 Depth=1
	s_or_b32 exec_lo, exec_lo, s16
.LBB321_702:                            ;   in Loop: Header=BB321_542 Depth=1
	s_or_b32 exec_lo, exec_lo, s15
	v_cmp_ne_u16_sdwa s0, v9, v10 src0_sel:BYTE_1 src1_sel:DWORD
	s_and_saveexec_b32 s15, s0
	s_cbranch_execz .LBB321_710
; %bb.703:                              ;   in Loop: Header=BB321_542 Depth=1
	v_cmp_ne_u16_sdwa s0, v9, v33 src0_sel:BYTE_1 src1_sel:DWORD
	v_bfrev_b32_e32 v19, 1
	s_and_saveexec_b32 s16, s0
	s_cbranch_execz .LBB321_709
; %bb.704:                              ;   in Loop: Header=BB321_542 Depth=1
	v_and_b32_sdwa v20, v34, v9 dst_sel:DWORD dst_unused:UNUSED_PAD src0_sel:DWORD src1_sel:BYTE_1
	v_mov_b32_e32 v19, 0x7f800001
	s_mov_b32 s17, exec_lo
	v_and_b32_e32 v66, 0x7f, v20
	v_cmpx_ne_u32_e32 0x7f, v66
	s_cbranch_execz .LBB321_708
; %bb.705:                              ;   in Loop: Header=BB321_542 Depth=1
	v_and_b32_e32 v19, 7, v20
	v_mov_b32_e32 v20, v10
	v_lshrrev_b32_e32 v65, 3, v66
	s_mov_b32 s18, exec_lo
	v_cmpx_gt_u32_e32 8, v66
; %bb.706:                              ;   in Loop: Header=BB321_542 Depth=1
	v_ffbh_u32_e32 v65, v19
	v_min_u32_e32 v65, 32, v65
	v_subrev_nc_u32_e32 v66, 28, v65
	v_sub_nc_u32_e32 v65, 29, v65
	v_lshlrev_b64 v[19:20], v66, v[19:20]
	v_and_b32_e32 v19, 7, v19
; %bb.707:                              ;   in Loop: Header=BB321_542 Depth=1
	s_or_b32 exec_lo, exec_lo, s18
	v_lshlrev_b32_e32 v9, 16, v9
	v_lshlrev_b32_e32 v19, 20, v19
	v_lshl_add_u32 v20, v65, 23, 0x3c000000
	v_and_b32_e32 v9, 0x80000000, v9
	v_or3_b32 v19, v19, v9, v20
.LBB321_708:                            ;   in Loop: Header=BB321_542 Depth=1
	s_or_b32 exec_lo, exec_lo, s17
.LBB321_709:                            ;   in Loop: Header=BB321_542 Depth=1
	s_or_b32 exec_lo, exec_lo, s16
.LBB321_710:                            ;   in Loop: Header=BB321_542 Depth=1
	s_or_b32 exec_lo, exec_lo, s15
	v_and_b32_sdwa v9, v18, v35 dst_sel:DWORD dst_unused:UNUSED_PAD src0_sel:WORD_1 src1_sel:DWORD
	v_mov_b32_e32 v20, 0
	v_mov_b32_e32 v66, 0
	s_mov_b32 s15, exec_lo
	v_cmpx_ne_u16_e32 0, v9
	s_cbranch_execz .LBB321_718
; %bb.711:                              ;   in Loop: Header=BB321_542 Depth=1
	v_bfrev_b32_e32 v66, 1
	s_mov_b32 s16, exec_lo
	v_cmpx_ne_u16_e32 0x80, v9
	s_cbranch_execz .LBB321_717
; %bb.712:                              ;   in Loop: Header=BB321_542 Depth=1
	v_bfe_u32 v67, v18, 16, 7
	v_mov_b32_e32 v66, 0x7f800001
	s_mov_b32 s17, exec_lo
	v_cmpx_ne_u32_e32 0x7f, v67
	s_cbranch_execz .LBB321_716
; %bb.713:                              ;   in Loop: Header=BB321_542 Depth=1
	v_and_b32_sdwa v9, v18, v36 dst_sel:DWORD dst_unused:UNUSED_PAD src0_sel:WORD_1 src1_sel:DWORD
	v_lshrrev_b32_e32 v65, 3, v67
	s_mov_b32 s18, exec_lo
	v_cmpx_gt_u32_e32 8, v67
; %bb.714:                              ;   in Loop: Header=BB321_542 Depth=1
	v_ffbh_u32_e32 v65, v9
	v_min_u32_e32 v65, 32, v65
	v_subrev_nc_u32_e32 v66, 28, v65
	v_sub_nc_u32_e32 v65, 29, v65
	v_lshlrev_b64 v[66:67], v66, v[9:10]
	v_and_b32_e32 v9, 7, v66
; %bb.715:                              ;   in Loop: Header=BB321_542 Depth=1
	s_or_b32 exec_lo, exec_lo, s18
	v_lshlrev_b32_sdwa v66, v37, v18 dst_sel:DWORD dst_unused:UNUSED_PAD src0_sel:DWORD src1_sel:WORD_1
	v_lshlrev_b32_e32 v9, 20, v9
	v_lshl_add_u32 v65, v65, 23, 0x3c000000
	v_and_b32_e32 v66, 0x80000000, v66
	v_or3_b32 v66, v9, v66, v65
.LBB321_716:                            ;   in Loop: Header=BB321_542 Depth=1
	s_or_b32 exec_lo, exec_lo, s17
.LBB321_717:                            ;   in Loop: Header=BB321_542 Depth=1
	s_or_b32 exec_lo, exec_lo, s16
.LBB321_718:                            ;   in Loop: Header=BB321_542 Depth=1
	s_or_b32 exec_lo, exec_lo, s15
	s_mov_b32 s15, exec_lo
	v_cmpx_lt_u64_e64 s[2:3], v[17:18]
	s_cbranch_execz .LBB321_726
; %bb.719:                              ;   in Loop: Header=BB321_542 Depth=1
	v_cmp_ne_u32_sdwa s0, v18, v33 src0_sel:BYTE_3 src1_sel:DWORD
	v_bfrev_b32_e32 v20, 1
	s_and_saveexec_b32 s16, s0
	s_cbranch_execz .LBB321_725
; %bb.720:                              ;   in Loop: Header=BB321_542 Depth=1
	v_bfe_u32 v65, v18, 24, 7
	v_mov_b32_e32 v20, 0x7f800001
	s_mov_b32 s17, exec_lo
	v_cmpx_ne_u32_e32 0x7f, v65
	s_cbranch_execz .LBB321_724
; %bb.721:                              ;   in Loop: Header=BB321_542 Depth=1
	v_and_b32_sdwa v9, v18, v36 dst_sel:DWORD dst_unused:UNUSED_PAD src0_sel:BYTE_3 src1_sel:DWORD
	v_lshrrev_b32_e32 v17, 3, v65
	s_mov_b32 s18, exec_lo
	v_cmpx_gt_u32_e32 8, v65
; %bb.722:                              ;   in Loop: Header=BB321_542 Depth=1
	v_ffbh_u32_e32 v17, v9
	v_min_u32_e32 v17, 32, v17
	v_subrev_nc_u32_e32 v20, 28, v17
	v_sub_nc_u32_e32 v17, 29, v17
	v_lshlrev_b64 v[67:68], v20, v[9:10]
	v_and_b32_e32 v9, 7, v67
; %bb.723:                              ;   in Loop: Header=BB321_542 Depth=1
	s_or_b32 exec_lo, exec_lo, s18
	v_lshlrev_b32_sdwa v18, v37, v18 dst_sel:DWORD dst_unused:UNUSED_PAD src0_sel:DWORD src1_sel:BYTE_3
	v_lshlrev_b32_e32 v9, 20, v9
	v_lshl_add_u32 v17, v17, 23, 0x3c000000
	v_and_b32_e32 v18, 0x80000000, v18
	v_or3_b32 v20, v9, v18, v17
.LBB321_724:                            ;   in Loop: Header=BB321_542 Depth=1
	s_or_b32 exec_lo, exec_lo, s17
.LBB321_725:                            ;   in Loop: Header=BB321_542 Depth=1
	s_or_b32 exec_lo, exec_lo, s16
.LBB321_726:                            ;   in Loop: Header=BB321_542 Depth=1
	s_or_b32 exec_lo, exec_lo, s15
	v_mul_f32_e32 v9, s5, v19
	v_mul_f32_e32 v17, s5, v64
	;; [unrolled: 1-line block ×5, first 2 shown]
	v_bfe_u32 v62, v9, 16, 1
	v_or_b32_e32 v63, 0x400000, v9
	v_bfe_u32 v64, v17, 16, 1
	v_cmp_u_f32_e64 s0, v9, v9
	v_or_b32_e32 v65, 0x400000, v17
	v_add3_u32 v62, v62, v9, 0x7fff
	v_bfe_u32 v67, v18, 16, 1
	v_add3_u32 v64, v64, v17, 0x7fff
	v_or_b32_e32 v68, 0x400000, v18
	v_bfe_u32 v69, v19, 16, 1
	v_cndmask_b32_e64 v9, v62, v63, s0
	v_cmp_u_f32_e64 s0, v17, v17
	v_add3_u32 v67, v67, v18, 0x7fff
	v_mul_f32_e32 v20, s5, v20
	v_lshrrev_b32_e32 v62, 16, v9
	v_cndmask_b32_e64 v17, v64, v65, s0
	v_cmp_u_f32_e64 s0, v18, v18
	v_mul_f32_e32 v9, s5, v21
	v_add3_u32 v21, v69, v19, 0x7fff
	v_or_b32_e32 v64, 0x400000, v19
	v_lshrrev_b32_e32 v63, 16, v17
	v_cndmask_b32_e64 v18, v67, v68, s0
	v_bfe_u32 v17, v9, 16, 1
	v_cmp_u_f32_e64 s0, v19, v19
	v_mul_f32_e32 v19, s5, v66
	v_or_b32_e32 v68, 0x400000, v20
	v_lshrrev_b32_e32 v65, 16, v18
	v_add3_u32 v17, v17, v9, 0x7fff
	v_cndmask_b32_e64 v18, v21, v64, s0
	v_or_b32_e32 v21, 0x400000, v9
	v_bfe_u32 v64, v0, 16, 1
	v_cmp_u_f32_e64 s0, v9, v9
	v_bfe_u32 v66, v19, 16, 1
	v_or_b32_e32 v67, 0x400000, v19
	v_cndmask_b32_e64 v9, v17, v21, s0
	v_add3_u32 v21, v64, v0, 0x7fff
	v_or_b32_e32 v64, 0x400000, v0
	v_cmp_u_f32_e64 s0, v0, v0
	v_bfe_u32 v17, v20, 16, 1
	v_add3_u32 v66, v66, v19, 0x7fff
	v_lshrrev_b32_e32 v69, 16, v9
	v_cndmask_b32_e64 v0, v21, v64, s0
	v_cmp_u_f32_e64 s0, v19, v19
	v_add3_u32 v17, v17, v20, 0x7fff
	v_cndmask_b32_e64 v19, v66, v67, s0
	v_cmp_u_f32_e64 s0, v20, v20
	v_lshrrev_b32_e32 v67, 16, v18
	v_lshrrev_b32_e32 v64, 16, v19
	v_cndmask_b32_e64 v17, v17, v68, s0
	v_lshrrev_b32_e32 v68, 16, v0
	v_lshrrev_b32_e32 v66, 16, v17
	s_and_saveexec_b32 s15, vcc_lo
	s_cbranch_execz .LBB321_728
; %bb.727:                              ;   in Loop: Header=BB321_542 Depth=1
	v_cmp_gt_i32_e64 s0, s11, v47
	v_cndmask_b32_e64 v68, 0, v68, s0
	v_cmp_gt_i32_e64 s0, s11, v58
	v_cndmask_b32_e64 v69, 0, v69, s0
	;; [unrolled: 2-line block ×8, first 2 shown]
.LBB321_728:                            ;   in Loop: Header=BB321_542 Depth=1
	s_or_b32 exec_lo, exec_lo, s15
	global_load_dwordx2 v[17:18], v[15:16], off offset:768
	v_mov_b32_e32 v21, 0
	v_mov_b32_e32 v0, 0
	s_waitcnt vmcnt(0)
	v_cmp_ne_u16_sdwa s0, v17, v10 src0_sel:BYTE_0 src1_sel:DWORD
	s_and_saveexec_b32 s15, s0
	s_cbranch_execz .LBB321_734
; %bb.729:                              ;   in Loop: Header=BB321_542 Depth=1
	v_cmp_ne_u16_sdwa s0, v17, v33 src0_sel:BYTE_0 src1_sel:DWORD
	v_bfrev_b32_e32 v0, 1
	s_and_saveexec_b32 s16, s0
	s_cbranch_execz .LBB321_733
; %bb.730:                              ;   in Loop: Header=BB321_542 Depth=1
	v_and_b32_e32 v9, 0x7f, v17
	v_mov_b32_e32 v0, 0x7f800001
	s_mov_b32 s17, exec_lo
	v_cmpx_ne_u32_e32 0x7f, v9
	s_cbranch_execz .LBB321_732
; %bb.731:                              ;   in Loop: Header=BB321_542 Depth=1
	v_and_b32_e32 v0, 7, v17
	v_cmp_gt_u32_e64 s0, 8, v9
	v_lshrrev_b32_e32 v19, 3, v9
	v_ffbh_u32_e32 v0, v0
	v_min_u32_e32 v0, 32, v0
	v_subrev_nc_u32_e32 v20, 28, v0
	v_sub_nc_u32_e32 v0, 29, v0
	v_cndmask_b32_e64 v9, 0, v20, s0
	v_cndmask_b32_e64 v0, v19, v0, s0
	v_lshlrev_b64 v[19:20], v9, v[17:18]
	v_lshlrev_b32_e32 v9, 24, v17
	v_lshl_add_u32 v0, v0, 23, 0x3c000000
	v_and_b32_e32 v9, 0x80000000, v9
	v_lshlrev_b32_e32 v19, 20, v19
	v_and_b32_e32 v19, 0x700000, v19
	v_or3_b32 v0, v19, v9, v0
.LBB321_732:                            ;   in Loop: Header=BB321_542 Depth=1
	s_or_b32 exec_lo, exec_lo, s17
.LBB321_733:                            ;   in Loop: Header=BB321_542 Depth=1
	s_or_b32 exec_lo, exec_lo, s16
.LBB321_734:                            ;   in Loop: Header=BB321_542 Depth=1
	s_or_b32 exec_lo, exec_lo, s15
	v_cmp_ne_u16_sdwa s0, v17, v10 src0_sel:BYTE_1 src1_sel:DWORD
	s_and_saveexec_b32 s15, s0
	s_cbranch_execz .LBB321_742
; %bb.735:                              ;   in Loop: Header=BB321_542 Depth=1
	v_cmp_ne_u16_sdwa s0, v17, v33 src0_sel:BYTE_1 src1_sel:DWORD
	v_bfrev_b32_e32 v21, 1
	s_and_saveexec_b32 s16, s0
	s_cbranch_execz .LBB321_741
; %bb.736:                              ;   in Loop: Header=BB321_542 Depth=1
	v_and_b32_sdwa v9, v34, v17 dst_sel:DWORD dst_unused:UNUSED_PAD src0_sel:DWORD src1_sel:BYTE_1
	v_mov_b32_e32 v21, 0x7f800001
	s_mov_b32 s17, exec_lo
	v_and_b32_e32 v20, 0x7f, v9
	v_cmpx_ne_u32_e32 0x7f, v20
	s_cbranch_execz .LBB321_740
; %bb.737:                              ;   in Loop: Header=BB321_542 Depth=1
	v_and_b32_e32 v9, 7, v9
	v_lshrrev_b32_e32 v19, 3, v20
	s_mov_b32 s18, exec_lo
	v_cmpx_gt_u32_e32 8, v20
; %bb.738:                              ;   in Loop: Header=BB321_542 Depth=1
	v_ffbh_u32_e32 v19, v9
	v_min_u32_e32 v19, 32, v19
	v_subrev_nc_u32_e32 v20, 28, v19
	v_sub_nc_u32_e32 v19, 29, v19
	v_lshlrev_b64 v[20:21], v20, v[9:10]
	v_and_b32_e32 v9, 7, v20
; %bb.739:                              ;   in Loop: Header=BB321_542 Depth=1
	s_or_b32 exec_lo, exec_lo, s18
	v_lshlrev_b32_e32 v20, 16, v17
	v_lshlrev_b32_e32 v9, 20, v9
	v_lshl_add_u32 v19, v19, 23, 0x3c000000
	v_and_b32_e32 v20, 0x80000000, v20
	v_or3_b32 v21, v9, v20, v19
.LBB321_740:                            ;   in Loop: Header=BB321_542 Depth=1
	s_or_b32 exec_lo, exec_lo, s17
.LBB321_741:                            ;   in Loop: Header=BB321_542 Depth=1
	s_or_b32 exec_lo, exec_lo, s16
.LBB321_742:                            ;   in Loop: Header=BB321_542 Depth=1
	s_or_b32 exec_lo, exec_lo, s15
	v_and_b32_sdwa v9, v17, v35 dst_sel:DWORD dst_unused:UNUSED_PAD src0_sel:WORD_1 src1_sel:DWORD
	v_mov_b32_e32 v71, 0
	v_mov_b32_e32 v70, 0
	s_mov_b32 s15, exec_lo
	v_cmpx_ne_u16_e32 0, v9
	s_cbranch_execz .LBB321_750
; %bb.743:                              ;   in Loop: Header=BB321_542 Depth=1
	v_bfrev_b32_e32 v70, 1
	s_mov_b32 s16, exec_lo
	v_cmpx_ne_u16_e32 0x80, v9
	s_cbranch_execz .LBB321_749
; %bb.744:                              ;   in Loop: Header=BB321_542 Depth=1
	v_bfe_u32 v20, v17, 16, 7
	v_mov_b32_e32 v70, 0x7f800001
	s_mov_b32 s17, exec_lo
	v_cmpx_ne_u32_e32 0x7f, v20
	s_cbranch_execz .LBB321_748
; %bb.745:                              ;   in Loop: Header=BB321_542 Depth=1
	v_and_b32_sdwa v9, v17, v36 dst_sel:DWORD dst_unused:UNUSED_PAD src0_sel:WORD_1 src1_sel:DWORD
	v_lshrrev_b32_e32 v19, 3, v20
	s_mov_b32 s18, exec_lo
	v_cmpx_gt_u32_e32 8, v20
; %bb.746:                              ;   in Loop: Header=BB321_542 Depth=1
	v_ffbh_u32_e32 v19, v9
	v_min_u32_e32 v19, 32, v19
	v_subrev_nc_u32_e32 v20, 28, v19
	v_sub_nc_u32_e32 v19, 29, v19
	v_lshlrev_b64 v[72:73], v20, v[9:10]
	v_and_b32_e32 v9, 7, v72
; %bb.747:                              ;   in Loop: Header=BB321_542 Depth=1
	s_or_b32 exec_lo, exec_lo, s18
	v_lshlrev_b32_sdwa v20, v37, v17 dst_sel:DWORD dst_unused:UNUSED_PAD src0_sel:DWORD src1_sel:WORD_1
	v_lshlrev_b32_e32 v9, 20, v9
	v_lshl_add_u32 v19, v19, 23, 0x3c000000
	v_and_b32_e32 v20, 0x80000000, v20
	v_or3_b32 v70, v9, v20, v19
.LBB321_748:                            ;   in Loop: Header=BB321_542 Depth=1
	s_or_b32 exec_lo, exec_lo, s17
.LBB321_749:                            ;   in Loop: Header=BB321_542 Depth=1
	s_or_b32 exec_lo, exec_lo, s16
.LBB321_750:                            ;   in Loop: Header=BB321_542 Depth=1
	s_or_b32 exec_lo, exec_lo, s15
	s_mov_b32 s15, exec_lo
	v_cmpx_lt_u32_e32 0xffffff, v17
	s_cbranch_execz .LBB321_758
; %bb.751:                              ;   in Loop: Header=BB321_542 Depth=1
	v_cmp_ne_u32_sdwa s0, v17, v33 src0_sel:BYTE_3 src1_sel:DWORD
	v_bfrev_b32_e32 v71, 1
	s_and_saveexec_b32 s16, s0
	s_cbranch_execz .LBB321_757
; %bb.752:                              ;   in Loop: Header=BB321_542 Depth=1
	v_bfe_u32 v20, v17, 24, 7
	v_mov_b32_e32 v71, 0x7f800001
	s_mov_b32 s17, exec_lo
	v_cmpx_ne_u32_e32 0x7f, v20
	s_cbranch_execz .LBB321_756
; %bb.753:                              ;   in Loop: Header=BB321_542 Depth=1
	v_and_b32_sdwa v9, v17, v36 dst_sel:DWORD dst_unused:UNUSED_PAD src0_sel:BYTE_3 src1_sel:DWORD
	v_lshrrev_b32_e32 v19, 3, v20
	s_mov_b32 s18, exec_lo
	v_cmpx_gt_u32_e32 8, v20
; %bb.754:                              ;   in Loop: Header=BB321_542 Depth=1
	v_ffbh_u32_e32 v19, v9
	v_min_u32_e32 v19, 32, v19
	v_subrev_nc_u32_e32 v20, 28, v19
	v_sub_nc_u32_e32 v19, 29, v19
	v_lshlrev_b64 v[71:72], v20, v[9:10]
	v_and_b32_e32 v9, 7, v71
; %bb.755:                              ;   in Loop: Header=BB321_542 Depth=1
	s_or_b32 exec_lo, exec_lo, s18
	v_lshlrev_b32_sdwa v20, v37, v17 dst_sel:DWORD dst_unused:UNUSED_PAD src0_sel:DWORD src1_sel:BYTE_3
	v_lshlrev_b32_e32 v9, 20, v9
	v_lshl_add_u32 v19, v19, 23, 0x3c000000
	v_and_b32_e32 v20, 0x80000000, v20
	v_or3_b32 v71, v9, v20, v19
.LBB321_756:                            ;   in Loop: Header=BB321_542 Depth=1
	s_or_b32 exec_lo, exec_lo, s17
.LBB321_757:                            ;   in Loop: Header=BB321_542 Depth=1
	s_or_b32 exec_lo, exec_lo, s16
.LBB321_758:                            ;   in Loop: Header=BB321_542 Depth=1
	s_or_b32 exec_lo, exec_lo, s15
	v_mov_b32_e32 v9, v18
	v_cmp_ne_u16_sdwa s0, v18, v10 src0_sel:BYTE_0 src1_sel:DWORD
	v_mov_b32_e32 v19, 0
	v_mov_b32_e32 v72, 0
	s_and_saveexec_b32 s15, s0
	s_cbranch_execz .LBB321_764
; %bb.759:                              ;   in Loop: Header=BB321_542 Depth=1
	v_cmp_ne_u16_sdwa s0, v18, v33 src0_sel:BYTE_0 src1_sel:DWORD
	v_bfrev_b32_e32 v72, 1
	s_and_saveexec_b32 s16, s0
	s_cbranch_execz .LBB321_763
; %bb.760:                              ;   in Loop: Header=BB321_542 Depth=1
	v_and_b32_e32 v20, 0x7f, v18
	v_mov_b32_e32 v72, 0x7f800001
	s_mov_b32 s17, exec_lo
	v_cmpx_ne_u32_e32 0x7f, v20
	s_cbranch_execz .LBB321_762
; %bb.761:                              ;   in Loop: Header=BB321_542 Depth=1
	v_and_b32_e32 v72, 7, v18
	v_lshrrev_b32_e32 v73, 3, v20
	v_cmp_gt_u32_e64 s0, 8, v20
	v_ffbh_u32_e32 v72, v72
	v_min_u32_e32 v72, 32, v72
	v_subrev_nc_u32_e32 v74, 28, v72
	v_sub_nc_u32_e32 v72, 29, v72
	v_cndmask_b32_e64 v20, v73, v72, s0
	v_cndmask_b32_e64 v72, 0, v74, s0
	v_lshl_add_u32 v20, v20, 23, 0x3c000000
	v_lshlrev_b64 v[72:73], v72, v[9:10]
	v_lshlrev_b32_e32 v73, 24, v9
	v_lshlrev_b32_e32 v72, 20, v72
	v_and_b32_e32 v73, 0x80000000, v73
	v_and_b32_e32 v72, 0x700000, v72
	v_or3_b32 v72, v72, v73, v20
.LBB321_762:                            ;   in Loop: Header=BB321_542 Depth=1
	s_or_b32 exec_lo, exec_lo, s17
.LBB321_763:                            ;   in Loop: Header=BB321_542 Depth=1
	s_or_b32 exec_lo, exec_lo, s16
.LBB321_764:                            ;   in Loop: Header=BB321_542 Depth=1
	s_or_b32 exec_lo, exec_lo, s15
	v_cmp_ne_u16_sdwa s0, v9, v10 src0_sel:BYTE_1 src1_sel:DWORD
	s_and_saveexec_b32 s15, s0
	s_cbranch_execz .LBB321_772
; %bb.765:                              ;   in Loop: Header=BB321_542 Depth=1
	v_cmp_ne_u16_sdwa s0, v9, v33 src0_sel:BYTE_1 src1_sel:DWORD
	v_bfrev_b32_e32 v19, 1
	s_and_saveexec_b32 s16, s0
	s_cbranch_execz .LBB321_771
; %bb.766:                              ;   in Loop: Header=BB321_542 Depth=1
	v_and_b32_sdwa v20, v34, v9 dst_sel:DWORD dst_unused:UNUSED_PAD src0_sel:DWORD src1_sel:BYTE_1
	v_mov_b32_e32 v19, 0x7f800001
	s_mov_b32 s17, exec_lo
	v_and_b32_e32 v74, 0x7f, v20
	v_cmpx_ne_u32_e32 0x7f, v74
	s_cbranch_execz .LBB321_770
; %bb.767:                              ;   in Loop: Header=BB321_542 Depth=1
	v_and_b32_e32 v19, 7, v20
	v_mov_b32_e32 v20, v10
	v_lshrrev_b32_e32 v73, 3, v74
	s_mov_b32 s18, exec_lo
	v_cmpx_gt_u32_e32 8, v74
; %bb.768:                              ;   in Loop: Header=BB321_542 Depth=1
	v_ffbh_u32_e32 v73, v19
	v_min_u32_e32 v73, 32, v73
	v_subrev_nc_u32_e32 v74, 28, v73
	v_sub_nc_u32_e32 v73, 29, v73
	v_lshlrev_b64 v[19:20], v74, v[19:20]
	v_and_b32_e32 v19, 7, v19
; %bb.769:                              ;   in Loop: Header=BB321_542 Depth=1
	s_or_b32 exec_lo, exec_lo, s18
	v_lshlrev_b32_e32 v9, 16, v9
	v_lshlrev_b32_e32 v19, 20, v19
	v_lshl_add_u32 v20, v73, 23, 0x3c000000
	v_and_b32_e32 v9, 0x80000000, v9
	v_or3_b32 v19, v19, v9, v20
.LBB321_770:                            ;   in Loop: Header=BB321_542 Depth=1
	s_or_b32 exec_lo, exec_lo, s17
.LBB321_771:                            ;   in Loop: Header=BB321_542 Depth=1
	s_or_b32 exec_lo, exec_lo, s16
.LBB321_772:                            ;   in Loop: Header=BB321_542 Depth=1
	s_or_b32 exec_lo, exec_lo, s15
	v_and_b32_sdwa v9, v18, v35 dst_sel:DWORD dst_unused:UNUSED_PAD src0_sel:WORD_1 src1_sel:DWORD
	v_mov_b32_e32 v20, 0
	v_mov_b32_e32 v74, 0
	s_mov_b32 s15, exec_lo
	v_cmpx_ne_u16_e32 0, v9
	s_cbranch_execz .LBB321_780
; %bb.773:                              ;   in Loop: Header=BB321_542 Depth=1
	v_bfrev_b32_e32 v74, 1
	s_mov_b32 s16, exec_lo
	v_cmpx_ne_u16_e32 0x80, v9
	s_cbranch_execz .LBB321_779
; %bb.774:                              ;   in Loop: Header=BB321_542 Depth=1
	v_bfe_u32 v75, v18, 16, 7
	v_mov_b32_e32 v74, 0x7f800001
	s_mov_b32 s17, exec_lo
	v_cmpx_ne_u32_e32 0x7f, v75
	s_cbranch_execz .LBB321_778
; %bb.775:                              ;   in Loop: Header=BB321_542 Depth=1
	v_and_b32_sdwa v9, v18, v36 dst_sel:DWORD dst_unused:UNUSED_PAD src0_sel:WORD_1 src1_sel:DWORD
	v_lshrrev_b32_e32 v73, 3, v75
	s_mov_b32 s18, exec_lo
	v_cmpx_gt_u32_e32 8, v75
; %bb.776:                              ;   in Loop: Header=BB321_542 Depth=1
	v_ffbh_u32_e32 v73, v9
	v_min_u32_e32 v73, 32, v73
	v_subrev_nc_u32_e32 v74, 28, v73
	v_sub_nc_u32_e32 v73, 29, v73
	v_lshlrev_b64 v[74:75], v74, v[9:10]
	v_and_b32_e32 v9, 7, v74
; %bb.777:                              ;   in Loop: Header=BB321_542 Depth=1
	s_or_b32 exec_lo, exec_lo, s18
	v_lshlrev_b32_sdwa v74, v37, v18 dst_sel:DWORD dst_unused:UNUSED_PAD src0_sel:DWORD src1_sel:WORD_1
	v_lshlrev_b32_e32 v9, 20, v9
	v_lshl_add_u32 v73, v73, 23, 0x3c000000
	v_and_b32_e32 v74, 0x80000000, v74
	v_or3_b32 v74, v9, v74, v73
.LBB321_778:                            ;   in Loop: Header=BB321_542 Depth=1
	s_or_b32 exec_lo, exec_lo, s17
.LBB321_779:                            ;   in Loop: Header=BB321_542 Depth=1
	s_or_b32 exec_lo, exec_lo, s16
.LBB321_780:                            ;   in Loop: Header=BB321_542 Depth=1
	s_or_b32 exec_lo, exec_lo, s15
	s_mov_b32 s15, exec_lo
	v_cmpx_lt_u64_e64 s[2:3], v[17:18]
	s_cbranch_execz .LBB321_788
; %bb.781:                              ;   in Loop: Header=BB321_542 Depth=1
	v_cmp_ne_u32_sdwa s0, v18, v33 src0_sel:BYTE_3 src1_sel:DWORD
	v_bfrev_b32_e32 v20, 1
	s_and_saveexec_b32 s16, s0
	s_cbranch_execz .LBB321_787
; %bb.782:                              ;   in Loop: Header=BB321_542 Depth=1
	v_bfe_u32 v73, v18, 24, 7
	v_mov_b32_e32 v20, 0x7f800001
	s_mov_b32 s17, exec_lo
	v_cmpx_ne_u32_e32 0x7f, v73
	s_cbranch_execz .LBB321_786
; %bb.783:                              ;   in Loop: Header=BB321_542 Depth=1
	v_and_b32_sdwa v9, v18, v36 dst_sel:DWORD dst_unused:UNUSED_PAD src0_sel:BYTE_3 src1_sel:DWORD
	v_lshrrev_b32_e32 v17, 3, v73
	s_mov_b32 s18, exec_lo
	v_cmpx_gt_u32_e32 8, v73
; %bb.784:                              ;   in Loop: Header=BB321_542 Depth=1
	v_ffbh_u32_e32 v17, v9
	v_min_u32_e32 v17, 32, v17
	v_subrev_nc_u32_e32 v20, 28, v17
	v_sub_nc_u32_e32 v17, 29, v17
	v_lshlrev_b64 v[75:76], v20, v[9:10]
	v_and_b32_e32 v9, 7, v75
; %bb.785:                              ;   in Loop: Header=BB321_542 Depth=1
	s_or_b32 exec_lo, exec_lo, s18
	v_lshlrev_b32_sdwa v18, v37, v18 dst_sel:DWORD dst_unused:UNUSED_PAD src0_sel:DWORD src1_sel:BYTE_3
	v_lshlrev_b32_e32 v9, 20, v9
	v_lshl_add_u32 v17, v17, 23, 0x3c000000
	v_and_b32_e32 v18, 0x80000000, v18
	v_or3_b32 v20, v9, v18, v17
.LBB321_786:                            ;   in Loop: Header=BB321_542 Depth=1
	s_or_b32 exec_lo, exec_lo, s17
.LBB321_787:                            ;   in Loop: Header=BB321_542 Depth=1
	s_or_b32 exec_lo, exec_lo, s16
.LBB321_788:                            ;   in Loop: Header=BB321_542 Depth=1
	s_or_b32 exec_lo, exec_lo, s15
	v_mul_f32_e32 v9, s5, v19
	v_mul_f32_e32 v17, s5, v72
	;; [unrolled: 1-line block ×5, first 2 shown]
	v_bfe_u32 v70, v9, 16, 1
	v_or_b32_e32 v71, 0x400000, v9
	v_bfe_u32 v72, v17, 16, 1
	v_cmp_u_f32_e64 s0, v9, v9
	v_or_b32_e32 v73, 0x400000, v17
	v_add3_u32 v70, v70, v9, 0x7fff
	v_bfe_u32 v75, v18, 16, 1
	v_add3_u32 v72, v72, v17, 0x7fff
	v_or_b32_e32 v76, 0x400000, v18
	v_bfe_u32 v77, v19, 16, 1
	v_cndmask_b32_e64 v9, v70, v71, s0
	v_cmp_u_f32_e64 s0, v17, v17
	v_add3_u32 v75, v75, v18, 0x7fff
	v_mul_f32_e32 v20, s5, v20
	v_lshrrev_b32_e32 v70, 16, v9
	v_cndmask_b32_e64 v17, v72, v73, s0
	v_cmp_u_f32_e64 s0, v18, v18
	v_mul_f32_e32 v9, s5, v21
	v_add3_u32 v21, v77, v19, 0x7fff
	v_or_b32_e32 v72, 0x400000, v19
	v_lshrrev_b32_e32 v71, 16, v17
	v_cndmask_b32_e64 v18, v75, v76, s0
	v_bfe_u32 v17, v9, 16, 1
	v_cmp_u_f32_e64 s0, v19, v19
	v_mul_f32_e32 v19, s5, v74
	v_or_b32_e32 v76, 0x400000, v20
	v_lshrrev_b32_e32 v73, 16, v18
	v_add3_u32 v17, v17, v9, 0x7fff
	v_cndmask_b32_e64 v18, v21, v72, s0
	v_or_b32_e32 v21, 0x400000, v9
	v_bfe_u32 v72, v0, 16, 1
	v_cmp_u_f32_e64 s0, v9, v9
	v_bfe_u32 v74, v19, 16, 1
	v_or_b32_e32 v75, 0x400000, v19
	v_cndmask_b32_e64 v9, v17, v21, s0
	v_add3_u32 v21, v72, v0, 0x7fff
	v_or_b32_e32 v72, 0x400000, v0
	v_cmp_u_f32_e64 s0, v0, v0
	v_bfe_u32 v17, v20, 16, 1
	v_add3_u32 v74, v74, v19, 0x7fff
	v_lshrrev_b32_e32 v77, 16, v9
	v_cndmask_b32_e64 v0, v21, v72, s0
	v_cmp_u_f32_e64 s0, v19, v19
	v_add3_u32 v17, v17, v20, 0x7fff
	v_cndmask_b32_e64 v19, v74, v75, s0
	v_cmp_u_f32_e64 s0, v20, v20
	v_lshrrev_b32_e32 v75, 16, v18
	v_lshrrev_b32_e32 v72, 16, v19
	v_cndmask_b32_e64 v17, v17, v76, s0
	v_lshrrev_b32_e32 v76, 16, v0
	v_lshrrev_b32_e32 v74, 16, v17
	s_and_saveexec_b32 s15, vcc_lo
	s_cbranch_execz .LBB321_790
; %bb.789:                              ;   in Loop: Header=BB321_542 Depth=1
	v_cmp_gt_i32_e64 s0, s11, v47
	v_cndmask_b32_e64 v76, 0, v76, s0
	v_cmp_gt_i32_e64 s0, s11, v58
	v_cndmask_b32_e64 v77, 0, v77, s0
	;; [unrolled: 2-line block ×8, first 2 shown]
.LBB321_790:                            ;   in Loop: Header=BB321_542 Depth=1
	s_or_b32 exec_lo, exec_lo, s15
	global_load_dwordx2 v[17:18], v[15:16], off offset:1024
	v_mov_b32_e32 v21, 0
	v_mov_b32_e32 v0, 0
	s_waitcnt vmcnt(0)
	v_cmp_ne_u16_sdwa s0, v17, v10 src0_sel:BYTE_0 src1_sel:DWORD
	s_and_saveexec_b32 s15, s0
	s_cbranch_execz .LBB321_796
; %bb.791:                              ;   in Loop: Header=BB321_542 Depth=1
	v_cmp_ne_u16_sdwa s0, v17, v33 src0_sel:BYTE_0 src1_sel:DWORD
	v_bfrev_b32_e32 v0, 1
	s_and_saveexec_b32 s16, s0
	s_cbranch_execz .LBB321_795
; %bb.792:                              ;   in Loop: Header=BB321_542 Depth=1
	v_and_b32_e32 v9, 0x7f, v17
	v_mov_b32_e32 v0, 0x7f800001
	s_mov_b32 s17, exec_lo
	v_cmpx_ne_u32_e32 0x7f, v9
	s_cbranch_execz .LBB321_794
; %bb.793:                              ;   in Loop: Header=BB321_542 Depth=1
	v_and_b32_e32 v0, 7, v17
	v_cmp_gt_u32_e64 s0, 8, v9
	v_lshrrev_b32_e32 v19, 3, v9
	v_ffbh_u32_e32 v0, v0
	v_min_u32_e32 v0, 32, v0
	v_subrev_nc_u32_e32 v20, 28, v0
	v_sub_nc_u32_e32 v0, 29, v0
	v_cndmask_b32_e64 v9, 0, v20, s0
	v_cndmask_b32_e64 v0, v19, v0, s0
	v_lshlrev_b64 v[19:20], v9, v[17:18]
	v_lshlrev_b32_e32 v9, 24, v17
	v_lshl_add_u32 v0, v0, 23, 0x3c000000
	v_and_b32_e32 v9, 0x80000000, v9
	v_lshlrev_b32_e32 v19, 20, v19
	v_and_b32_e32 v19, 0x700000, v19
	v_or3_b32 v0, v19, v9, v0
.LBB321_794:                            ;   in Loop: Header=BB321_542 Depth=1
	s_or_b32 exec_lo, exec_lo, s17
.LBB321_795:                            ;   in Loop: Header=BB321_542 Depth=1
	s_or_b32 exec_lo, exec_lo, s16
.LBB321_796:                            ;   in Loop: Header=BB321_542 Depth=1
	s_or_b32 exec_lo, exec_lo, s15
	v_cmp_ne_u16_sdwa s0, v17, v10 src0_sel:BYTE_1 src1_sel:DWORD
	s_and_saveexec_b32 s15, s0
	s_cbranch_execz .LBB321_804
; %bb.797:                              ;   in Loop: Header=BB321_542 Depth=1
	v_cmp_ne_u16_sdwa s0, v17, v33 src0_sel:BYTE_1 src1_sel:DWORD
	v_bfrev_b32_e32 v21, 1
	s_and_saveexec_b32 s16, s0
	s_cbranch_execz .LBB321_803
; %bb.798:                              ;   in Loop: Header=BB321_542 Depth=1
	v_and_b32_sdwa v9, v34, v17 dst_sel:DWORD dst_unused:UNUSED_PAD src0_sel:DWORD src1_sel:BYTE_1
	v_mov_b32_e32 v21, 0x7f800001
	s_mov_b32 s17, exec_lo
	v_and_b32_e32 v20, 0x7f, v9
	v_cmpx_ne_u32_e32 0x7f, v20
	s_cbranch_execz .LBB321_802
; %bb.799:                              ;   in Loop: Header=BB321_542 Depth=1
	v_and_b32_e32 v9, 7, v9
	v_lshrrev_b32_e32 v19, 3, v20
	s_mov_b32 s18, exec_lo
	v_cmpx_gt_u32_e32 8, v20
; %bb.800:                              ;   in Loop: Header=BB321_542 Depth=1
	v_ffbh_u32_e32 v19, v9
	v_min_u32_e32 v19, 32, v19
	v_subrev_nc_u32_e32 v20, 28, v19
	v_sub_nc_u32_e32 v19, 29, v19
	v_lshlrev_b64 v[20:21], v20, v[9:10]
	v_and_b32_e32 v9, 7, v20
; %bb.801:                              ;   in Loop: Header=BB321_542 Depth=1
	s_or_b32 exec_lo, exec_lo, s18
	v_lshlrev_b32_e32 v20, 16, v17
	v_lshlrev_b32_e32 v9, 20, v9
	v_lshl_add_u32 v19, v19, 23, 0x3c000000
	v_and_b32_e32 v20, 0x80000000, v20
	v_or3_b32 v21, v9, v20, v19
.LBB321_802:                            ;   in Loop: Header=BB321_542 Depth=1
	s_or_b32 exec_lo, exec_lo, s17
.LBB321_803:                            ;   in Loop: Header=BB321_542 Depth=1
	s_or_b32 exec_lo, exec_lo, s16
.LBB321_804:                            ;   in Loop: Header=BB321_542 Depth=1
	s_or_b32 exec_lo, exec_lo, s15
	v_and_b32_sdwa v9, v17, v35 dst_sel:DWORD dst_unused:UNUSED_PAD src0_sel:WORD_1 src1_sel:DWORD
	v_mov_b32_e32 v79, 0
	v_mov_b32_e32 v78, 0
	s_mov_b32 s15, exec_lo
	v_cmpx_ne_u16_e32 0, v9
	s_cbranch_execz .LBB321_812
; %bb.805:                              ;   in Loop: Header=BB321_542 Depth=1
	v_bfrev_b32_e32 v78, 1
	s_mov_b32 s16, exec_lo
	v_cmpx_ne_u16_e32 0x80, v9
	s_cbranch_execz .LBB321_811
; %bb.806:                              ;   in Loop: Header=BB321_542 Depth=1
	v_bfe_u32 v20, v17, 16, 7
	v_mov_b32_e32 v78, 0x7f800001
	s_mov_b32 s17, exec_lo
	v_cmpx_ne_u32_e32 0x7f, v20
	s_cbranch_execz .LBB321_810
; %bb.807:                              ;   in Loop: Header=BB321_542 Depth=1
	v_and_b32_sdwa v9, v17, v36 dst_sel:DWORD dst_unused:UNUSED_PAD src0_sel:WORD_1 src1_sel:DWORD
	v_lshrrev_b32_e32 v19, 3, v20
	s_mov_b32 s18, exec_lo
	v_cmpx_gt_u32_e32 8, v20
; %bb.808:                              ;   in Loop: Header=BB321_542 Depth=1
	v_ffbh_u32_e32 v19, v9
	v_min_u32_e32 v19, 32, v19
	v_subrev_nc_u32_e32 v20, 28, v19
	v_sub_nc_u32_e32 v19, 29, v19
	v_lshlrev_b64 v[80:81], v20, v[9:10]
	v_and_b32_e32 v9, 7, v80
; %bb.809:                              ;   in Loop: Header=BB321_542 Depth=1
	s_or_b32 exec_lo, exec_lo, s18
	v_lshlrev_b32_sdwa v20, v37, v17 dst_sel:DWORD dst_unused:UNUSED_PAD src0_sel:DWORD src1_sel:WORD_1
	v_lshlrev_b32_e32 v9, 20, v9
	v_lshl_add_u32 v19, v19, 23, 0x3c000000
	v_and_b32_e32 v20, 0x80000000, v20
	v_or3_b32 v78, v9, v20, v19
.LBB321_810:                            ;   in Loop: Header=BB321_542 Depth=1
	s_or_b32 exec_lo, exec_lo, s17
.LBB321_811:                            ;   in Loop: Header=BB321_542 Depth=1
	s_or_b32 exec_lo, exec_lo, s16
.LBB321_812:                            ;   in Loop: Header=BB321_542 Depth=1
	s_or_b32 exec_lo, exec_lo, s15
	s_mov_b32 s15, exec_lo
	v_cmpx_lt_u32_e32 0xffffff, v17
	s_cbranch_execz .LBB321_820
; %bb.813:                              ;   in Loop: Header=BB321_542 Depth=1
	v_cmp_ne_u32_sdwa s0, v17, v33 src0_sel:BYTE_3 src1_sel:DWORD
	v_bfrev_b32_e32 v79, 1
	s_and_saveexec_b32 s16, s0
	s_cbranch_execz .LBB321_819
; %bb.814:                              ;   in Loop: Header=BB321_542 Depth=1
	v_bfe_u32 v20, v17, 24, 7
	v_mov_b32_e32 v79, 0x7f800001
	s_mov_b32 s17, exec_lo
	v_cmpx_ne_u32_e32 0x7f, v20
	s_cbranch_execz .LBB321_818
; %bb.815:                              ;   in Loop: Header=BB321_542 Depth=1
	v_and_b32_sdwa v9, v17, v36 dst_sel:DWORD dst_unused:UNUSED_PAD src0_sel:BYTE_3 src1_sel:DWORD
	v_lshrrev_b32_e32 v19, 3, v20
	s_mov_b32 s18, exec_lo
	v_cmpx_gt_u32_e32 8, v20
; %bb.816:                              ;   in Loop: Header=BB321_542 Depth=1
	v_ffbh_u32_e32 v19, v9
	v_min_u32_e32 v19, 32, v19
	v_subrev_nc_u32_e32 v20, 28, v19
	v_sub_nc_u32_e32 v19, 29, v19
	v_lshlrev_b64 v[79:80], v20, v[9:10]
	v_and_b32_e32 v9, 7, v79
; %bb.817:                              ;   in Loop: Header=BB321_542 Depth=1
	s_or_b32 exec_lo, exec_lo, s18
	v_lshlrev_b32_sdwa v20, v37, v17 dst_sel:DWORD dst_unused:UNUSED_PAD src0_sel:DWORD src1_sel:BYTE_3
	v_lshlrev_b32_e32 v9, 20, v9
	v_lshl_add_u32 v19, v19, 23, 0x3c000000
	v_and_b32_e32 v20, 0x80000000, v20
	v_or3_b32 v79, v9, v20, v19
.LBB321_818:                            ;   in Loop: Header=BB321_542 Depth=1
	s_or_b32 exec_lo, exec_lo, s17
.LBB321_819:                            ;   in Loop: Header=BB321_542 Depth=1
	s_or_b32 exec_lo, exec_lo, s16
.LBB321_820:                            ;   in Loop: Header=BB321_542 Depth=1
	s_or_b32 exec_lo, exec_lo, s15
	v_mov_b32_e32 v9, v18
	v_cmp_ne_u16_sdwa s0, v18, v10 src0_sel:BYTE_0 src1_sel:DWORD
	v_mov_b32_e32 v19, 0
	v_mov_b32_e32 v80, 0
	s_and_saveexec_b32 s15, s0
	s_cbranch_execz .LBB321_826
; %bb.821:                              ;   in Loop: Header=BB321_542 Depth=1
	v_cmp_ne_u16_sdwa s0, v18, v33 src0_sel:BYTE_0 src1_sel:DWORD
	v_bfrev_b32_e32 v80, 1
	s_and_saveexec_b32 s16, s0
	s_cbranch_execz .LBB321_825
; %bb.822:                              ;   in Loop: Header=BB321_542 Depth=1
	v_and_b32_e32 v20, 0x7f, v18
	v_mov_b32_e32 v80, 0x7f800001
	s_mov_b32 s17, exec_lo
	v_cmpx_ne_u32_e32 0x7f, v20
	s_cbranch_execz .LBB321_824
; %bb.823:                              ;   in Loop: Header=BB321_542 Depth=1
	v_and_b32_e32 v80, 7, v18
	v_lshrrev_b32_e32 v81, 3, v20
	v_cmp_gt_u32_e64 s0, 8, v20
	v_ffbh_u32_e32 v80, v80
	v_min_u32_e32 v80, 32, v80
	v_subrev_nc_u32_e32 v82, 28, v80
	v_sub_nc_u32_e32 v80, 29, v80
	v_cndmask_b32_e64 v20, v81, v80, s0
	v_cndmask_b32_e64 v80, 0, v82, s0
	v_lshl_add_u32 v20, v20, 23, 0x3c000000
	v_lshlrev_b64 v[80:81], v80, v[9:10]
	v_lshlrev_b32_e32 v81, 24, v9
	v_lshlrev_b32_e32 v80, 20, v80
	v_and_b32_e32 v81, 0x80000000, v81
	v_and_b32_e32 v80, 0x700000, v80
	v_or3_b32 v80, v80, v81, v20
.LBB321_824:                            ;   in Loop: Header=BB321_542 Depth=1
	s_or_b32 exec_lo, exec_lo, s17
.LBB321_825:                            ;   in Loop: Header=BB321_542 Depth=1
	s_or_b32 exec_lo, exec_lo, s16
.LBB321_826:                            ;   in Loop: Header=BB321_542 Depth=1
	s_or_b32 exec_lo, exec_lo, s15
	v_cmp_ne_u16_sdwa s0, v9, v10 src0_sel:BYTE_1 src1_sel:DWORD
	s_and_saveexec_b32 s15, s0
	s_cbranch_execz .LBB321_834
; %bb.827:                              ;   in Loop: Header=BB321_542 Depth=1
	v_cmp_ne_u16_sdwa s0, v9, v33 src0_sel:BYTE_1 src1_sel:DWORD
	v_bfrev_b32_e32 v19, 1
	s_and_saveexec_b32 s16, s0
	s_cbranch_execz .LBB321_833
; %bb.828:                              ;   in Loop: Header=BB321_542 Depth=1
	v_and_b32_sdwa v20, v34, v9 dst_sel:DWORD dst_unused:UNUSED_PAD src0_sel:DWORD src1_sel:BYTE_1
	v_mov_b32_e32 v19, 0x7f800001
	s_mov_b32 s17, exec_lo
	v_and_b32_e32 v82, 0x7f, v20
	v_cmpx_ne_u32_e32 0x7f, v82
	s_cbranch_execz .LBB321_832
; %bb.829:                              ;   in Loop: Header=BB321_542 Depth=1
	v_and_b32_e32 v19, 7, v20
	v_mov_b32_e32 v20, v10
	v_lshrrev_b32_e32 v81, 3, v82
	s_mov_b32 s18, exec_lo
	v_cmpx_gt_u32_e32 8, v82
; %bb.830:                              ;   in Loop: Header=BB321_542 Depth=1
	v_ffbh_u32_e32 v81, v19
	v_min_u32_e32 v81, 32, v81
	v_subrev_nc_u32_e32 v82, 28, v81
	v_sub_nc_u32_e32 v81, 29, v81
	v_lshlrev_b64 v[19:20], v82, v[19:20]
	v_and_b32_e32 v19, 7, v19
; %bb.831:                              ;   in Loop: Header=BB321_542 Depth=1
	s_or_b32 exec_lo, exec_lo, s18
	v_lshlrev_b32_e32 v9, 16, v9
	v_lshlrev_b32_e32 v19, 20, v19
	v_lshl_add_u32 v20, v81, 23, 0x3c000000
	v_and_b32_e32 v9, 0x80000000, v9
	v_or3_b32 v19, v19, v9, v20
.LBB321_832:                            ;   in Loop: Header=BB321_542 Depth=1
	s_or_b32 exec_lo, exec_lo, s17
.LBB321_833:                            ;   in Loop: Header=BB321_542 Depth=1
	s_or_b32 exec_lo, exec_lo, s16
.LBB321_834:                            ;   in Loop: Header=BB321_542 Depth=1
	s_or_b32 exec_lo, exec_lo, s15
	v_and_b32_sdwa v9, v18, v35 dst_sel:DWORD dst_unused:UNUSED_PAD src0_sel:WORD_1 src1_sel:DWORD
	v_mov_b32_e32 v20, 0
	v_mov_b32_e32 v82, 0
	s_mov_b32 s15, exec_lo
	v_cmpx_ne_u16_e32 0, v9
	s_cbranch_execz .LBB321_842
; %bb.835:                              ;   in Loop: Header=BB321_542 Depth=1
	v_bfrev_b32_e32 v82, 1
	s_mov_b32 s16, exec_lo
	v_cmpx_ne_u16_e32 0x80, v9
	s_cbranch_execz .LBB321_841
; %bb.836:                              ;   in Loop: Header=BB321_542 Depth=1
	v_bfe_u32 v83, v18, 16, 7
	v_mov_b32_e32 v82, 0x7f800001
	s_mov_b32 s17, exec_lo
	v_cmpx_ne_u32_e32 0x7f, v83
	s_cbranch_execz .LBB321_840
; %bb.837:                              ;   in Loop: Header=BB321_542 Depth=1
	v_and_b32_sdwa v9, v18, v36 dst_sel:DWORD dst_unused:UNUSED_PAD src0_sel:WORD_1 src1_sel:DWORD
	v_lshrrev_b32_e32 v81, 3, v83
	s_mov_b32 s18, exec_lo
	v_cmpx_gt_u32_e32 8, v83
; %bb.838:                              ;   in Loop: Header=BB321_542 Depth=1
	v_ffbh_u32_e32 v81, v9
	v_min_u32_e32 v81, 32, v81
	v_subrev_nc_u32_e32 v82, 28, v81
	v_sub_nc_u32_e32 v81, 29, v81
	v_lshlrev_b64 v[82:83], v82, v[9:10]
	v_and_b32_e32 v9, 7, v82
; %bb.839:                              ;   in Loop: Header=BB321_542 Depth=1
	s_or_b32 exec_lo, exec_lo, s18
	v_lshlrev_b32_sdwa v82, v37, v18 dst_sel:DWORD dst_unused:UNUSED_PAD src0_sel:DWORD src1_sel:WORD_1
	v_lshlrev_b32_e32 v9, 20, v9
	v_lshl_add_u32 v81, v81, 23, 0x3c000000
	v_and_b32_e32 v82, 0x80000000, v82
	v_or3_b32 v82, v9, v82, v81
.LBB321_840:                            ;   in Loop: Header=BB321_542 Depth=1
	s_or_b32 exec_lo, exec_lo, s17
.LBB321_841:                            ;   in Loop: Header=BB321_542 Depth=1
	s_or_b32 exec_lo, exec_lo, s16
.LBB321_842:                            ;   in Loop: Header=BB321_542 Depth=1
	s_or_b32 exec_lo, exec_lo, s15
	s_mov_b32 s15, exec_lo
	v_cmpx_lt_u64_e64 s[2:3], v[17:18]
	s_cbranch_execz .LBB321_850
; %bb.843:                              ;   in Loop: Header=BB321_542 Depth=1
	v_cmp_ne_u32_sdwa s0, v18, v33 src0_sel:BYTE_3 src1_sel:DWORD
	v_bfrev_b32_e32 v20, 1
	s_and_saveexec_b32 s16, s0
	s_cbranch_execz .LBB321_849
; %bb.844:                              ;   in Loop: Header=BB321_542 Depth=1
	v_bfe_u32 v81, v18, 24, 7
	v_mov_b32_e32 v20, 0x7f800001
	s_mov_b32 s17, exec_lo
	v_cmpx_ne_u32_e32 0x7f, v81
	s_cbranch_execz .LBB321_848
; %bb.845:                              ;   in Loop: Header=BB321_542 Depth=1
	v_and_b32_sdwa v9, v18, v36 dst_sel:DWORD dst_unused:UNUSED_PAD src0_sel:BYTE_3 src1_sel:DWORD
	v_lshrrev_b32_e32 v17, 3, v81
	s_mov_b32 s18, exec_lo
	v_cmpx_gt_u32_e32 8, v81
; %bb.846:                              ;   in Loop: Header=BB321_542 Depth=1
	v_ffbh_u32_e32 v17, v9
	v_min_u32_e32 v17, 32, v17
	v_subrev_nc_u32_e32 v20, 28, v17
	v_sub_nc_u32_e32 v17, 29, v17
	v_lshlrev_b64 v[83:84], v20, v[9:10]
	v_and_b32_e32 v9, 7, v83
; %bb.847:                              ;   in Loop: Header=BB321_542 Depth=1
	s_or_b32 exec_lo, exec_lo, s18
	v_lshlrev_b32_sdwa v18, v37, v18 dst_sel:DWORD dst_unused:UNUSED_PAD src0_sel:DWORD src1_sel:BYTE_3
	v_lshlrev_b32_e32 v9, 20, v9
	v_lshl_add_u32 v17, v17, 23, 0x3c000000
	v_and_b32_e32 v18, 0x80000000, v18
	v_or3_b32 v20, v9, v18, v17
.LBB321_848:                            ;   in Loop: Header=BB321_542 Depth=1
	s_or_b32 exec_lo, exec_lo, s17
.LBB321_849:                            ;   in Loop: Header=BB321_542 Depth=1
	s_or_b32 exec_lo, exec_lo, s16
.LBB321_850:                            ;   in Loop: Header=BB321_542 Depth=1
	s_or_b32 exec_lo, exec_lo, s15
	v_mul_f32_e32 v9, s5, v19
	v_mul_f32_e32 v17, s5, v80
	v_mul_f32_e32 v19, s5, v78
	v_mul_f32_e32 v18, s5, v79
	v_mul_f32_e32 v0, s5, v0
	v_bfe_u32 v78, v9, 16, 1
	v_or_b32_e32 v79, 0x400000, v9
	v_bfe_u32 v80, v17, 16, 1
	v_cmp_u_f32_e64 s0, v9, v9
	v_or_b32_e32 v81, 0x400000, v17
	v_add3_u32 v78, v78, v9, 0x7fff
	v_bfe_u32 v83, v18, 16, 1
	v_add3_u32 v80, v80, v17, 0x7fff
	v_or_b32_e32 v84, 0x400000, v18
	v_bfe_u32 v85, v19, 16, 1
	v_cndmask_b32_e64 v9, v78, v79, s0
	v_cmp_u_f32_e64 s0, v17, v17
	v_add3_u32 v83, v83, v18, 0x7fff
	v_mul_f32_e32 v20, s5, v20
	v_lshrrev_b32_e32 v78, 16, v9
	v_cndmask_b32_e64 v17, v80, v81, s0
	v_cmp_u_f32_e64 s0, v18, v18
	v_mul_f32_e32 v9, s5, v21
	v_add3_u32 v21, v85, v19, 0x7fff
	v_or_b32_e32 v80, 0x400000, v19
	v_lshrrev_b32_e32 v79, 16, v17
	v_cndmask_b32_e64 v18, v83, v84, s0
	v_bfe_u32 v17, v9, 16, 1
	v_cmp_u_f32_e64 s0, v19, v19
	v_mul_f32_e32 v19, s5, v82
	v_or_b32_e32 v84, 0x400000, v20
	v_lshrrev_b32_e32 v81, 16, v18
	v_add3_u32 v17, v17, v9, 0x7fff
	v_cndmask_b32_e64 v18, v21, v80, s0
	v_or_b32_e32 v21, 0x400000, v9
	v_bfe_u32 v80, v0, 16, 1
	v_cmp_u_f32_e64 s0, v9, v9
	v_bfe_u32 v82, v19, 16, 1
	v_or_b32_e32 v83, 0x400000, v19
	v_cndmask_b32_e64 v9, v17, v21, s0
	v_add3_u32 v21, v80, v0, 0x7fff
	v_or_b32_e32 v80, 0x400000, v0
	v_cmp_u_f32_e64 s0, v0, v0
	v_bfe_u32 v17, v20, 16, 1
	v_add3_u32 v82, v82, v19, 0x7fff
	v_lshrrev_b32_e32 v85, 16, v9
	v_cndmask_b32_e64 v0, v21, v80, s0
	v_cmp_u_f32_e64 s0, v19, v19
	v_add3_u32 v17, v17, v20, 0x7fff
	v_cndmask_b32_e64 v19, v82, v83, s0
	v_cmp_u_f32_e64 s0, v20, v20
	v_lshrrev_b32_e32 v83, 16, v18
	v_lshrrev_b32_e32 v80, 16, v19
	v_cndmask_b32_e64 v17, v17, v84, s0
	v_lshrrev_b32_e32 v84, 16, v0
	v_lshrrev_b32_e32 v82, 16, v17
	s_and_saveexec_b32 s15, vcc_lo
	s_cbranch_execz .LBB321_852
; %bb.851:                              ;   in Loop: Header=BB321_542 Depth=1
	v_cmp_gt_i32_e64 s0, s11, v47
	v_cndmask_b32_e64 v84, 0, v84, s0
	v_cmp_gt_i32_e64 s0, s11, v58
	v_cndmask_b32_e64 v85, 0, v85, s0
	;; [unrolled: 2-line block ×8, first 2 shown]
.LBB321_852:                            ;   in Loop: Header=BB321_542 Depth=1
	s_or_b32 exec_lo, exec_lo, s15
	global_load_dwordx2 v[17:18], v[15:16], off offset:1280
	v_mov_b32_e32 v21, 0
	v_mov_b32_e32 v0, 0
	s_waitcnt vmcnt(0)
	v_cmp_ne_u16_sdwa s0, v17, v10 src0_sel:BYTE_0 src1_sel:DWORD
	s_and_saveexec_b32 s15, s0
	s_cbranch_execz .LBB321_858
; %bb.853:                              ;   in Loop: Header=BB321_542 Depth=1
	v_cmp_ne_u16_sdwa s0, v17, v33 src0_sel:BYTE_0 src1_sel:DWORD
	v_bfrev_b32_e32 v0, 1
	s_and_saveexec_b32 s16, s0
	s_cbranch_execz .LBB321_857
; %bb.854:                              ;   in Loop: Header=BB321_542 Depth=1
	v_and_b32_e32 v9, 0x7f, v17
	v_mov_b32_e32 v0, 0x7f800001
	s_mov_b32 s17, exec_lo
	v_cmpx_ne_u32_e32 0x7f, v9
	s_cbranch_execz .LBB321_856
; %bb.855:                              ;   in Loop: Header=BB321_542 Depth=1
	v_and_b32_e32 v0, 7, v17
	v_cmp_gt_u32_e64 s0, 8, v9
	v_lshrrev_b32_e32 v19, 3, v9
	v_ffbh_u32_e32 v0, v0
	v_min_u32_e32 v0, 32, v0
	v_subrev_nc_u32_e32 v20, 28, v0
	v_sub_nc_u32_e32 v0, 29, v0
	v_cndmask_b32_e64 v9, 0, v20, s0
	v_cndmask_b32_e64 v0, v19, v0, s0
	v_lshlrev_b64 v[19:20], v9, v[17:18]
	v_lshlrev_b32_e32 v9, 24, v17
	v_lshl_add_u32 v0, v0, 23, 0x3c000000
	v_and_b32_e32 v9, 0x80000000, v9
	v_lshlrev_b32_e32 v19, 20, v19
	v_and_b32_e32 v19, 0x700000, v19
	v_or3_b32 v0, v19, v9, v0
.LBB321_856:                            ;   in Loop: Header=BB321_542 Depth=1
	s_or_b32 exec_lo, exec_lo, s17
.LBB321_857:                            ;   in Loop: Header=BB321_542 Depth=1
	s_or_b32 exec_lo, exec_lo, s16
.LBB321_858:                            ;   in Loop: Header=BB321_542 Depth=1
	s_or_b32 exec_lo, exec_lo, s15
	v_cmp_ne_u16_sdwa s0, v17, v10 src0_sel:BYTE_1 src1_sel:DWORD
	s_and_saveexec_b32 s15, s0
	s_cbranch_execz .LBB321_866
; %bb.859:                              ;   in Loop: Header=BB321_542 Depth=1
	v_cmp_ne_u16_sdwa s0, v17, v33 src0_sel:BYTE_1 src1_sel:DWORD
	v_bfrev_b32_e32 v21, 1
	s_and_saveexec_b32 s16, s0
	s_cbranch_execz .LBB321_865
; %bb.860:                              ;   in Loop: Header=BB321_542 Depth=1
	v_and_b32_sdwa v9, v34, v17 dst_sel:DWORD dst_unused:UNUSED_PAD src0_sel:DWORD src1_sel:BYTE_1
	v_mov_b32_e32 v21, 0x7f800001
	s_mov_b32 s17, exec_lo
	v_and_b32_e32 v20, 0x7f, v9
	v_cmpx_ne_u32_e32 0x7f, v20
	s_cbranch_execz .LBB321_864
; %bb.861:                              ;   in Loop: Header=BB321_542 Depth=1
	v_and_b32_e32 v9, 7, v9
	v_lshrrev_b32_e32 v19, 3, v20
	s_mov_b32 s18, exec_lo
	v_cmpx_gt_u32_e32 8, v20
; %bb.862:                              ;   in Loop: Header=BB321_542 Depth=1
	v_ffbh_u32_e32 v19, v9
	v_min_u32_e32 v19, 32, v19
	v_subrev_nc_u32_e32 v20, 28, v19
	v_sub_nc_u32_e32 v19, 29, v19
	v_lshlrev_b64 v[20:21], v20, v[9:10]
	v_and_b32_e32 v9, 7, v20
; %bb.863:                              ;   in Loop: Header=BB321_542 Depth=1
	s_or_b32 exec_lo, exec_lo, s18
	v_lshlrev_b32_e32 v20, 16, v17
	v_lshlrev_b32_e32 v9, 20, v9
	v_lshl_add_u32 v19, v19, 23, 0x3c000000
	v_and_b32_e32 v20, 0x80000000, v20
	v_or3_b32 v21, v9, v20, v19
.LBB321_864:                            ;   in Loop: Header=BB321_542 Depth=1
	s_or_b32 exec_lo, exec_lo, s17
.LBB321_865:                            ;   in Loop: Header=BB321_542 Depth=1
	s_or_b32 exec_lo, exec_lo, s16
.LBB321_866:                            ;   in Loop: Header=BB321_542 Depth=1
	s_or_b32 exec_lo, exec_lo, s15
	v_and_b32_sdwa v9, v17, v35 dst_sel:DWORD dst_unused:UNUSED_PAD src0_sel:WORD_1 src1_sel:DWORD
	v_mov_b32_e32 v87, 0
	v_mov_b32_e32 v86, 0
	s_mov_b32 s15, exec_lo
	v_cmpx_ne_u16_e32 0, v9
	s_cbranch_execz .LBB321_874
; %bb.867:                              ;   in Loop: Header=BB321_542 Depth=1
	v_bfrev_b32_e32 v86, 1
	s_mov_b32 s16, exec_lo
	v_cmpx_ne_u16_e32 0x80, v9
	s_cbranch_execz .LBB321_873
; %bb.868:                              ;   in Loop: Header=BB321_542 Depth=1
	v_bfe_u32 v20, v17, 16, 7
	v_mov_b32_e32 v86, 0x7f800001
	s_mov_b32 s17, exec_lo
	v_cmpx_ne_u32_e32 0x7f, v20
	s_cbranch_execz .LBB321_872
; %bb.869:                              ;   in Loop: Header=BB321_542 Depth=1
	v_and_b32_sdwa v9, v17, v36 dst_sel:DWORD dst_unused:UNUSED_PAD src0_sel:WORD_1 src1_sel:DWORD
	v_lshrrev_b32_e32 v19, 3, v20
	s_mov_b32 s18, exec_lo
	v_cmpx_gt_u32_e32 8, v20
; %bb.870:                              ;   in Loop: Header=BB321_542 Depth=1
	v_ffbh_u32_e32 v19, v9
	v_min_u32_e32 v19, 32, v19
	v_subrev_nc_u32_e32 v20, 28, v19
	v_sub_nc_u32_e32 v19, 29, v19
	v_lshlrev_b64 v[88:89], v20, v[9:10]
	v_and_b32_e32 v9, 7, v88
; %bb.871:                              ;   in Loop: Header=BB321_542 Depth=1
	s_or_b32 exec_lo, exec_lo, s18
	v_lshlrev_b32_sdwa v20, v37, v17 dst_sel:DWORD dst_unused:UNUSED_PAD src0_sel:DWORD src1_sel:WORD_1
	v_lshlrev_b32_e32 v9, 20, v9
	v_lshl_add_u32 v19, v19, 23, 0x3c000000
	v_and_b32_e32 v20, 0x80000000, v20
	v_or3_b32 v86, v9, v20, v19
.LBB321_872:                            ;   in Loop: Header=BB321_542 Depth=1
	s_or_b32 exec_lo, exec_lo, s17
.LBB321_873:                            ;   in Loop: Header=BB321_542 Depth=1
	s_or_b32 exec_lo, exec_lo, s16
.LBB321_874:                            ;   in Loop: Header=BB321_542 Depth=1
	s_or_b32 exec_lo, exec_lo, s15
	s_mov_b32 s15, exec_lo
	v_cmpx_lt_u32_e32 0xffffff, v17
	s_cbranch_execz .LBB321_882
; %bb.875:                              ;   in Loop: Header=BB321_542 Depth=1
	v_cmp_ne_u32_sdwa s0, v17, v33 src0_sel:BYTE_3 src1_sel:DWORD
	v_bfrev_b32_e32 v87, 1
	s_and_saveexec_b32 s16, s0
	s_cbranch_execz .LBB321_881
; %bb.876:                              ;   in Loop: Header=BB321_542 Depth=1
	v_bfe_u32 v20, v17, 24, 7
	v_mov_b32_e32 v87, 0x7f800001
	s_mov_b32 s17, exec_lo
	v_cmpx_ne_u32_e32 0x7f, v20
	s_cbranch_execz .LBB321_880
; %bb.877:                              ;   in Loop: Header=BB321_542 Depth=1
	v_and_b32_sdwa v9, v17, v36 dst_sel:DWORD dst_unused:UNUSED_PAD src0_sel:BYTE_3 src1_sel:DWORD
	v_lshrrev_b32_e32 v19, 3, v20
	s_mov_b32 s18, exec_lo
	v_cmpx_gt_u32_e32 8, v20
; %bb.878:                              ;   in Loop: Header=BB321_542 Depth=1
	v_ffbh_u32_e32 v19, v9
	v_min_u32_e32 v19, 32, v19
	v_subrev_nc_u32_e32 v20, 28, v19
	v_sub_nc_u32_e32 v19, 29, v19
	v_lshlrev_b64 v[87:88], v20, v[9:10]
	v_and_b32_e32 v9, 7, v87
; %bb.879:                              ;   in Loop: Header=BB321_542 Depth=1
	s_or_b32 exec_lo, exec_lo, s18
	v_lshlrev_b32_sdwa v20, v37, v17 dst_sel:DWORD dst_unused:UNUSED_PAD src0_sel:DWORD src1_sel:BYTE_3
	v_lshlrev_b32_e32 v9, 20, v9
	v_lshl_add_u32 v19, v19, 23, 0x3c000000
	v_and_b32_e32 v20, 0x80000000, v20
	v_or3_b32 v87, v9, v20, v19
.LBB321_880:                            ;   in Loop: Header=BB321_542 Depth=1
	s_or_b32 exec_lo, exec_lo, s17
.LBB321_881:                            ;   in Loop: Header=BB321_542 Depth=1
	s_or_b32 exec_lo, exec_lo, s16
.LBB321_882:                            ;   in Loop: Header=BB321_542 Depth=1
	s_or_b32 exec_lo, exec_lo, s15
	v_mov_b32_e32 v9, v18
	v_cmp_ne_u16_sdwa s0, v18, v10 src0_sel:BYTE_0 src1_sel:DWORD
	v_mov_b32_e32 v19, 0
	v_mov_b32_e32 v88, 0
	s_and_saveexec_b32 s15, s0
	s_cbranch_execz .LBB321_888
; %bb.883:                              ;   in Loop: Header=BB321_542 Depth=1
	v_cmp_ne_u16_sdwa s0, v18, v33 src0_sel:BYTE_0 src1_sel:DWORD
	v_bfrev_b32_e32 v88, 1
	s_and_saveexec_b32 s16, s0
	s_cbranch_execz .LBB321_887
; %bb.884:                              ;   in Loop: Header=BB321_542 Depth=1
	v_and_b32_e32 v20, 0x7f, v18
	v_mov_b32_e32 v88, 0x7f800001
	s_mov_b32 s17, exec_lo
	v_cmpx_ne_u32_e32 0x7f, v20
	s_cbranch_execz .LBB321_886
; %bb.885:                              ;   in Loop: Header=BB321_542 Depth=1
	v_and_b32_e32 v88, 7, v18
	v_lshrrev_b32_e32 v89, 3, v20
	v_cmp_gt_u32_e64 s0, 8, v20
	v_ffbh_u32_e32 v88, v88
	v_min_u32_e32 v88, 32, v88
	v_subrev_nc_u32_e32 v90, 28, v88
	v_sub_nc_u32_e32 v88, 29, v88
	v_cndmask_b32_e64 v20, v89, v88, s0
	v_cndmask_b32_e64 v88, 0, v90, s0
	v_lshl_add_u32 v20, v20, 23, 0x3c000000
	v_lshlrev_b64 v[88:89], v88, v[9:10]
	v_lshlrev_b32_e32 v89, 24, v9
	v_lshlrev_b32_e32 v88, 20, v88
	v_and_b32_e32 v89, 0x80000000, v89
	v_and_b32_e32 v88, 0x700000, v88
	v_or3_b32 v88, v88, v89, v20
.LBB321_886:                            ;   in Loop: Header=BB321_542 Depth=1
	s_or_b32 exec_lo, exec_lo, s17
.LBB321_887:                            ;   in Loop: Header=BB321_542 Depth=1
	s_or_b32 exec_lo, exec_lo, s16
.LBB321_888:                            ;   in Loop: Header=BB321_542 Depth=1
	s_or_b32 exec_lo, exec_lo, s15
	v_cmp_ne_u16_sdwa s0, v9, v10 src0_sel:BYTE_1 src1_sel:DWORD
	s_and_saveexec_b32 s15, s0
	s_cbranch_execz .LBB321_896
; %bb.889:                              ;   in Loop: Header=BB321_542 Depth=1
	v_cmp_ne_u16_sdwa s0, v9, v33 src0_sel:BYTE_1 src1_sel:DWORD
	v_bfrev_b32_e32 v19, 1
	s_and_saveexec_b32 s16, s0
	s_cbranch_execz .LBB321_895
; %bb.890:                              ;   in Loop: Header=BB321_542 Depth=1
	v_and_b32_sdwa v20, v34, v9 dst_sel:DWORD dst_unused:UNUSED_PAD src0_sel:DWORD src1_sel:BYTE_1
	v_mov_b32_e32 v19, 0x7f800001
	s_mov_b32 s17, exec_lo
	v_and_b32_e32 v90, 0x7f, v20
	v_cmpx_ne_u32_e32 0x7f, v90
	s_cbranch_execz .LBB321_894
; %bb.891:                              ;   in Loop: Header=BB321_542 Depth=1
	v_and_b32_e32 v19, 7, v20
	v_mov_b32_e32 v20, v10
	v_lshrrev_b32_e32 v89, 3, v90
	s_mov_b32 s18, exec_lo
	v_cmpx_gt_u32_e32 8, v90
; %bb.892:                              ;   in Loop: Header=BB321_542 Depth=1
	v_ffbh_u32_e32 v89, v19
	v_min_u32_e32 v89, 32, v89
	v_subrev_nc_u32_e32 v90, 28, v89
	v_sub_nc_u32_e32 v89, 29, v89
	v_lshlrev_b64 v[19:20], v90, v[19:20]
	v_and_b32_e32 v19, 7, v19
; %bb.893:                              ;   in Loop: Header=BB321_542 Depth=1
	s_or_b32 exec_lo, exec_lo, s18
	v_lshlrev_b32_e32 v9, 16, v9
	v_lshlrev_b32_e32 v19, 20, v19
	v_lshl_add_u32 v20, v89, 23, 0x3c000000
	v_and_b32_e32 v9, 0x80000000, v9
	v_or3_b32 v19, v19, v9, v20
.LBB321_894:                            ;   in Loop: Header=BB321_542 Depth=1
	s_or_b32 exec_lo, exec_lo, s17
.LBB321_895:                            ;   in Loop: Header=BB321_542 Depth=1
	s_or_b32 exec_lo, exec_lo, s16
.LBB321_896:                            ;   in Loop: Header=BB321_542 Depth=1
	s_or_b32 exec_lo, exec_lo, s15
	v_and_b32_sdwa v9, v18, v35 dst_sel:DWORD dst_unused:UNUSED_PAD src0_sel:WORD_1 src1_sel:DWORD
	v_mov_b32_e32 v20, 0
	v_mov_b32_e32 v89, 0
	s_mov_b32 s15, exec_lo
	v_cmpx_ne_u16_e32 0, v9
	s_cbranch_execz .LBB321_904
; %bb.897:                              ;   in Loop: Header=BB321_542 Depth=1
	v_bfrev_b32_e32 v89, 1
	s_mov_b32 s16, exec_lo
	v_cmpx_ne_u16_e32 0x80, v9
	s_cbranch_execz .LBB321_903
; %bb.898:                              ;   in Loop: Header=BB321_542 Depth=1
	v_bfe_u32 v90, v18, 16, 7
	v_mov_b32_e32 v89, 0x7f800001
	s_mov_b32 s17, exec_lo
	v_cmpx_ne_u32_e32 0x7f, v90
	s_cbranch_execz .LBB321_902
; %bb.899:                              ;   in Loop: Header=BB321_542 Depth=1
	v_and_b32_sdwa v9, v18, v36 dst_sel:DWORD dst_unused:UNUSED_PAD src0_sel:WORD_1 src1_sel:DWORD
	v_lshrrev_b32_e32 v89, 3, v90
	s_mov_b32 s18, exec_lo
	v_cmpx_gt_u32_e32 8, v90
; %bb.900:                              ;   in Loop: Header=BB321_542 Depth=1
	v_ffbh_u32_e32 v89, v9
	v_min_u32_e32 v89, 32, v89
	v_subrev_nc_u32_e32 v90, 28, v89
	v_sub_nc_u32_e32 v89, 29, v89
	v_lshlrev_b64 v[90:91], v90, v[9:10]
	v_and_b32_e32 v9, 7, v90
; %bb.901:                              ;   in Loop: Header=BB321_542 Depth=1
	s_or_b32 exec_lo, exec_lo, s18
	v_lshlrev_b32_sdwa v90, v37, v18 dst_sel:DWORD dst_unused:UNUSED_PAD src0_sel:DWORD src1_sel:WORD_1
	v_lshlrev_b32_e32 v9, 20, v9
	v_lshl_add_u32 v89, v89, 23, 0x3c000000
	v_and_b32_e32 v90, 0x80000000, v90
	v_or3_b32 v89, v9, v90, v89
.LBB321_902:                            ;   in Loop: Header=BB321_542 Depth=1
	s_or_b32 exec_lo, exec_lo, s17
.LBB321_903:                            ;   in Loop: Header=BB321_542 Depth=1
	s_or_b32 exec_lo, exec_lo, s16
.LBB321_904:                            ;   in Loop: Header=BB321_542 Depth=1
	s_or_b32 exec_lo, exec_lo, s15
	s_mov_b32 s15, exec_lo
	v_cmpx_lt_u64_e64 s[2:3], v[17:18]
	s_cbranch_execz .LBB321_912
; %bb.905:                              ;   in Loop: Header=BB321_542 Depth=1
	v_cmp_ne_u32_sdwa s0, v18, v33 src0_sel:BYTE_3 src1_sel:DWORD
	v_bfrev_b32_e32 v20, 1
	s_and_saveexec_b32 s16, s0
	s_cbranch_execz .LBB321_911
; %bb.906:                              ;   in Loop: Header=BB321_542 Depth=1
	v_bfe_u32 v90, v18, 24, 7
	v_mov_b32_e32 v20, 0x7f800001
	s_mov_b32 s17, exec_lo
	v_cmpx_ne_u32_e32 0x7f, v90
	s_cbranch_execz .LBB321_910
; %bb.907:                              ;   in Loop: Header=BB321_542 Depth=1
	v_and_b32_sdwa v9, v18, v36 dst_sel:DWORD dst_unused:UNUSED_PAD src0_sel:BYTE_3 src1_sel:DWORD
	v_lshrrev_b32_e32 v17, 3, v90
	s_mov_b32 s18, exec_lo
	v_cmpx_gt_u32_e32 8, v90
; %bb.908:                              ;   in Loop: Header=BB321_542 Depth=1
	v_ffbh_u32_e32 v17, v9
	v_min_u32_e32 v17, 32, v17
	v_subrev_nc_u32_e32 v20, 28, v17
	v_sub_nc_u32_e32 v17, 29, v17
	v_lshlrev_b64 v[90:91], v20, v[9:10]
	v_and_b32_e32 v9, 7, v90
; %bb.909:                              ;   in Loop: Header=BB321_542 Depth=1
	s_or_b32 exec_lo, exec_lo, s18
	v_lshlrev_b32_sdwa v18, v37, v18 dst_sel:DWORD dst_unused:UNUSED_PAD src0_sel:DWORD src1_sel:BYTE_3
	v_lshlrev_b32_e32 v9, 20, v9
	v_lshl_add_u32 v17, v17, 23, 0x3c000000
	v_and_b32_e32 v18, 0x80000000, v18
	v_or3_b32 v20, v9, v18, v17
.LBB321_910:                            ;   in Loop: Header=BB321_542 Depth=1
	s_or_b32 exec_lo, exec_lo, s17
.LBB321_911:                            ;   in Loop: Header=BB321_542 Depth=1
	s_or_b32 exec_lo, exec_lo, s16
.LBB321_912:                            ;   in Loop: Header=BB321_542 Depth=1
	s_or_b32 exec_lo, exec_lo, s15
	v_mul_f32_e32 v9, s5, v19
	v_mul_f32_e32 v17, s5, v88
	;; [unrolled: 1-line block ×5, first 2 shown]
	v_bfe_u32 v86, v9, 16, 1
	v_or_b32_e32 v87, 0x400000, v9
	v_bfe_u32 v88, v17, 16, 1
	v_cmp_u_f32_e64 s0, v9, v9
	v_or_b32_e32 v90, 0x400000, v17
	v_add3_u32 v86, v86, v9, 0x7fff
	v_bfe_u32 v91, v18, 16, 1
	v_add3_u32 v88, v88, v17, 0x7fff
	v_or_b32_e32 v92, 0x400000, v18
	v_bfe_u32 v93, v19, 16, 1
	v_cndmask_b32_e64 v9, v86, v87, s0
	v_cmp_u_f32_e64 s0, v17, v17
	v_add3_u32 v91, v91, v18, 0x7fff
	v_mul_f32_e32 v20, s5, v20
	v_add3_u32 v87, v93, v19, 0x7fff
	v_lshrrev_b32_e32 v86, 16, v9
	v_cndmask_b32_e64 v17, v88, v90, s0
	v_cmp_u_f32_e64 s0, v18, v18
	v_mul_f32_e32 v9, s5, v21
	v_or_b32_e32 v90, 0x400000, v19
	v_lshrrev_b32_e32 v21, 16, v17
	v_cndmask_b32_e64 v18, v91, v92, s0
	v_bfe_u32 v17, v9, 16, 1
	v_cmp_u_f32_e64 s0, v19, v19
	v_mul_f32_e32 v19, s5, v89
	v_bfe_u32 v89, v0, 16, 1
	v_lshrrev_b32_e32 v88, 16, v18
	v_add3_u32 v17, v17, v9, 0x7fff
	v_cndmask_b32_e64 v18, v87, v90, s0
	v_or_b32_e32 v87, 0x400000, v9
	v_cmp_u_f32_e64 s0, v9, v9
	v_bfe_u32 v90, v19, 16, 1
	v_or_b32_e32 v91, 0x400000, v19
	v_or_b32_e32 v92, 0x400000, v20
	v_cndmask_b32_e64 v9, v17, v87, s0
	v_add3_u32 v87, v89, v0, 0x7fff
	v_or_b32_e32 v89, 0x400000, v0
	v_cmp_u_f32_e64 s0, v0, v0
	v_bfe_u32 v17, v20, 16, 1
	v_add3_u32 v90, v90, v19, 0x7fff
	v_cndmask_b32_e64 v0, v87, v89, s0
	v_cmp_u_f32_e64 s0, v19, v19
	v_add3_u32 v17, v17, v20, 0x7fff
	v_lshrrev_b32_e32 v0, 16, v0
	v_cndmask_b32_e64 v19, v90, v91, s0
	v_cmp_u_f32_e64 s0, v20, v20
	v_lshrrev_b32_e32 v90, 16, v18
	v_lshrrev_b32_e32 v91, 16, v9
	;; [unrolled: 1-line block ×3, first 2 shown]
	v_cndmask_b32_e64 v17, v17, v92, s0
	v_lshrrev_b32_e32 v89, 16, v17
	s_and_saveexec_b32 s15, vcc_lo
	s_cbranch_execz .LBB321_914
; %bb.913:                              ;   in Loop: Header=BB321_542 Depth=1
	v_cmp_gt_i32_e64 s0, s11, v47
	v_cndmask_b32_e64 v0, 0, v0, s0
	v_cmp_gt_i32_e64 s0, s11, v58
	v_cndmask_b32_e64 v91, 0, v91, s0
	;; [unrolled: 2-line block ×8, first 2 shown]
.LBB321_914:                            ;   in Loop: Header=BB321_542 Depth=1
	s_or_b32 exec_lo, exec_lo, s15
	global_load_dwordx2 v[17:18], v[15:16], off offset:1536
	v_mov_b32_e32 v94, 0
	v_mov_b32_e32 v92, 0
	s_waitcnt vmcnt(0)
	v_cmp_ne_u16_sdwa s0, v17, v10 src0_sel:BYTE_0 src1_sel:DWORD
	s_and_saveexec_b32 s15, s0
	s_cbranch_execz .LBB321_920
; %bb.915:                              ;   in Loop: Header=BB321_542 Depth=1
	v_cmp_ne_u16_sdwa s0, v17, v33 src0_sel:BYTE_0 src1_sel:DWORD
	v_bfrev_b32_e32 v92, 1
	s_and_saveexec_b32 s16, s0
	s_cbranch_execz .LBB321_919
; %bb.916:                              ;   in Loop: Header=BB321_542 Depth=1
	v_and_b32_e32 v9, 0x7f, v17
	v_mov_b32_e32 v92, 0x7f800001
	s_mov_b32 s17, exec_lo
	v_cmpx_ne_u32_e32 0x7f, v9
	s_cbranch_execz .LBB321_918
; %bb.917:                              ;   in Loop: Header=BB321_542 Depth=1
	v_and_b32_e32 v19, 7, v17
	v_lshrrev_b32_e32 v20, 3, v9
	v_cmp_gt_u32_e64 s0, 8, v9
	v_ffbh_u32_e32 v19, v19
	v_min_u32_e32 v19, 32, v19
	v_subrev_nc_u32_e32 v92, 28, v19
	v_sub_nc_u32_e32 v19, 29, v19
	v_cndmask_b32_e64 v9, v20, v19, s0
	v_cndmask_b32_e64 v19, 0, v92, s0
	v_lshl_add_u32 v9, v9, 23, 0x3c000000
	v_lshlrev_b64 v[19:20], v19, v[17:18]
	v_lshlrev_b32_e32 v20, 24, v17
	v_lshlrev_b32_e32 v19, 20, v19
	v_and_b32_e32 v20, 0x80000000, v20
	v_and_b32_e32 v19, 0x700000, v19
	v_or3_b32 v92, v19, v20, v9
.LBB321_918:                            ;   in Loop: Header=BB321_542 Depth=1
	s_or_b32 exec_lo, exec_lo, s17
.LBB321_919:                            ;   in Loop: Header=BB321_542 Depth=1
	s_or_b32 exec_lo, exec_lo, s16
.LBB321_920:                            ;   in Loop: Header=BB321_542 Depth=1
	s_or_b32 exec_lo, exec_lo, s15
	v_cmp_ne_u16_sdwa s0, v17, v10 src0_sel:BYTE_1 src1_sel:DWORD
	s_and_saveexec_b32 s15, s0
	s_cbranch_execz .LBB321_928
; %bb.921:                              ;   in Loop: Header=BB321_542 Depth=1
	v_cmp_ne_u16_sdwa s0, v17, v33 src0_sel:BYTE_1 src1_sel:DWORD
	v_bfrev_b32_e32 v94, 1
	s_and_saveexec_b32 s16, s0
	s_cbranch_execz .LBB321_927
; %bb.922:                              ;   in Loop: Header=BB321_542 Depth=1
	v_and_b32_sdwa v9, v34, v17 dst_sel:DWORD dst_unused:UNUSED_PAD src0_sel:DWORD src1_sel:BYTE_1
	v_mov_b32_e32 v94, 0x7f800001
	s_mov_b32 s17, exec_lo
	v_and_b32_e32 v20, 0x7f, v9
	v_cmpx_ne_u32_e32 0x7f, v20
	s_cbranch_execz .LBB321_926
; %bb.923:                              ;   in Loop: Header=BB321_542 Depth=1
	v_and_b32_e32 v9, 7, v9
	v_lshrrev_b32_e32 v19, 3, v20
	s_mov_b32 s18, exec_lo
	v_cmpx_gt_u32_e32 8, v20
; %bb.924:                              ;   in Loop: Header=BB321_542 Depth=1
	v_ffbh_u32_e32 v19, v9
	v_min_u32_e32 v19, 32, v19
	v_subrev_nc_u32_e32 v20, 28, v19
	v_sub_nc_u32_e32 v19, 29, v19
	v_lshlrev_b64 v[93:94], v20, v[9:10]
	v_and_b32_e32 v9, 7, v93
; %bb.925:                              ;   in Loop: Header=BB321_542 Depth=1
	s_or_b32 exec_lo, exec_lo, s18
	v_lshlrev_b32_e32 v20, 16, v17
	v_lshlrev_b32_e32 v9, 20, v9
	v_lshl_add_u32 v19, v19, 23, 0x3c000000
	v_and_b32_e32 v20, 0x80000000, v20
	v_or3_b32 v94, v9, v20, v19
.LBB321_926:                            ;   in Loop: Header=BB321_542 Depth=1
	s_or_b32 exec_lo, exec_lo, s17
.LBB321_927:                            ;   in Loop: Header=BB321_542 Depth=1
	s_or_b32 exec_lo, exec_lo, s16
.LBB321_928:                            ;   in Loop: Header=BB321_542 Depth=1
	s_or_b32 exec_lo, exec_lo, s15
	v_and_b32_sdwa v9, v17, v35 dst_sel:DWORD dst_unused:UNUSED_PAD src0_sel:WORD_1 src1_sel:DWORD
	v_mov_b32_e32 v95, 0
	v_mov_b32_e32 v93, 0
	s_mov_b32 s15, exec_lo
	v_cmpx_ne_u16_e32 0, v9
	s_cbranch_execz .LBB321_936
; %bb.929:                              ;   in Loop: Header=BB321_542 Depth=1
	v_bfrev_b32_e32 v93, 1
	s_mov_b32 s16, exec_lo
	v_cmpx_ne_u16_e32 0x80, v9
	s_cbranch_execz .LBB321_935
; %bb.930:                              ;   in Loop: Header=BB321_542 Depth=1
	v_bfe_u32 v20, v17, 16, 7
	v_mov_b32_e32 v93, 0x7f800001
	s_mov_b32 s17, exec_lo
	v_cmpx_ne_u32_e32 0x7f, v20
	s_cbranch_execz .LBB321_934
; %bb.931:                              ;   in Loop: Header=BB321_542 Depth=1
	v_and_b32_sdwa v9, v17, v36 dst_sel:DWORD dst_unused:UNUSED_PAD src0_sel:WORD_1 src1_sel:DWORD
	v_lshrrev_b32_e32 v19, 3, v20
	s_mov_b32 s18, exec_lo
	v_cmpx_gt_u32_e32 8, v20
; %bb.932:                              ;   in Loop: Header=BB321_542 Depth=1
	v_ffbh_u32_e32 v19, v9
	v_min_u32_e32 v19, 32, v19
	v_subrev_nc_u32_e32 v20, 28, v19
	v_sub_nc_u32_e32 v19, 29, v19
	v_lshlrev_b64 v[96:97], v20, v[9:10]
	v_and_b32_e32 v9, 7, v96
; %bb.933:                              ;   in Loop: Header=BB321_542 Depth=1
	s_or_b32 exec_lo, exec_lo, s18
	v_lshlrev_b32_sdwa v20, v37, v17 dst_sel:DWORD dst_unused:UNUSED_PAD src0_sel:DWORD src1_sel:WORD_1
	v_lshlrev_b32_e32 v9, 20, v9
	v_lshl_add_u32 v19, v19, 23, 0x3c000000
	v_and_b32_e32 v20, 0x80000000, v20
	v_or3_b32 v93, v9, v20, v19
.LBB321_934:                            ;   in Loop: Header=BB321_542 Depth=1
	s_or_b32 exec_lo, exec_lo, s17
.LBB321_935:                            ;   in Loop: Header=BB321_542 Depth=1
	s_or_b32 exec_lo, exec_lo, s16
.LBB321_936:                            ;   in Loop: Header=BB321_542 Depth=1
	s_or_b32 exec_lo, exec_lo, s15
	s_mov_b32 s15, exec_lo
	v_cmpx_lt_u32_e32 0xffffff, v17
	s_cbranch_execz .LBB321_944
; %bb.937:                              ;   in Loop: Header=BB321_542 Depth=1
	v_cmp_ne_u32_sdwa s0, v17, v33 src0_sel:BYTE_3 src1_sel:DWORD
	v_bfrev_b32_e32 v95, 1
	s_and_saveexec_b32 s16, s0
	s_cbranch_execz .LBB321_943
; %bb.938:                              ;   in Loop: Header=BB321_542 Depth=1
	v_bfe_u32 v20, v17, 24, 7
	v_mov_b32_e32 v95, 0x7f800001
	s_mov_b32 s17, exec_lo
	v_cmpx_ne_u32_e32 0x7f, v20
	s_cbranch_execz .LBB321_942
; %bb.939:                              ;   in Loop: Header=BB321_542 Depth=1
	v_and_b32_sdwa v9, v17, v36 dst_sel:DWORD dst_unused:UNUSED_PAD src0_sel:BYTE_3 src1_sel:DWORD
	v_lshrrev_b32_e32 v19, 3, v20
	s_mov_b32 s18, exec_lo
	v_cmpx_gt_u32_e32 8, v20
; %bb.940:                              ;   in Loop: Header=BB321_542 Depth=1
	v_ffbh_u32_e32 v19, v9
	v_min_u32_e32 v19, 32, v19
	v_subrev_nc_u32_e32 v20, 28, v19
	v_sub_nc_u32_e32 v19, 29, v19
	v_lshlrev_b64 v[95:96], v20, v[9:10]
	v_and_b32_e32 v9, 7, v95
; %bb.941:                              ;   in Loop: Header=BB321_542 Depth=1
	s_or_b32 exec_lo, exec_lo, s18
	v_lshlrev_b32_sdwa v20, v37, v17 dst_sel:DWORD dst_unused:UNUSED_PAD src0_sel:DWORD src1_sel:BYTE_3
	v_lshlrev_b32_e32 v9, 20, v9
	v_lshl_add_u32 v19, v19, 23, 0x3c000000
	v_and_b32_e32 v20, 0x80000000, v20
	v_or3_b32 v95, v9, v20, v19
.LBB321_942:                            ;   in Loop: Header=BB321_542 Depth=1
	s_or_b32 exec_lo, exec_lo, s17
.LBB321_943:                            ;   in Loop: Header=BB321_542 Depth=1
	s_or_b32 exec_lo, exec_lo, s16
.LBB321_944:                            ;   in Loop: Header=BB321_542 Depth=1
	s_or_b32 exec_lo, exec_lo, s15
	v_mov_b32_e32 v9, v18
	v_cmp_ne_u16_sdwa s0, v18, v10 src0_sel:BYTE_0 src1_sel:DWORD
	v_mov_b32_e32 v19, 0
	v_mov_b32_e32 v96, 0
	s_and_saveexec_b32 s15, s0
	s_cbranch_execz .LBB321_950
; %bb.945:                              ;   in Loop: Header=BB321_542 Depth=1
	v_cmp_ne_u16_sdwa s0, v18, v33 src0_sel:BYTE_0 src1_sel:DWORD
	v_bfrev_b32_e32 v96, 1
	s_and_saveexec_b32 s16, s0
	s_cbranch_execz .LBB321_949
; %bb.946:                              ;   in Loop: Header=BB321_542 Depth=1
	v_and_b32_e32 v20, 0x7f, v18
	v_mov_b32_e32 v96, 0x7f800001
	s_mov_b32 s17, exec_lo
	v_cmpx_ne_u32_e32 0x7f, v20
	s_cbranch_execz .LBB321_948
; %bb.947:                              ;   in Loop: Header=BB321_542 Depth=1
	v_and_b32_e32 v96, 7, v18
	v_lshrrev_b32_e32 v97, 3, v20
	v_cmp_gt_u32_e64 s0, 8, v20
	v_ffbh_u32_e32 v96, v96
	v_min_u32_e32 v96, 32, v96
	v_subrev_nc_u32_e32 v98, 28, v96
	v_sub_nc_u32_e32 v96, 29, v96
	v_cndmask_b32_e64 v20, v97, v96, s0
	v_cndmask_b32_e64 v96, 0, v98, s0
	v_lshl_add_u32 v20, v20, 23, 0x3c000000
	v_lshlrev_b64 v[96:97], v96, v[9:10]
	v_lshlrev_b32_e32 v97, 24, v9
	v_lshlrev_b32_e32 v96, 20, v96
	v_and_b32_e32 v97, 0x80000000, v97
	v_and_b32_e32 v96, 0x700000, v96
	v_or3_b32 v96, v96, v97, v20
.LBB321_948:                            ;   in Loop: Header=BB321_542 Depth=1
	s_or_b32 exec_lo, exec_lo, s17
.LBB321_949:                            ;   in Loop: Header=BB321_542 Depth=1
	s_or_b32 exec_lo, exec_lo, s16
.LBB321_950:                            ;   in Loop: Header=BB321_542 Depth=1
	s_or_b32 exec_lo, exec_lo, s15
	v_cmp_ne_u16_sdwa s0, v9, v10 src0_sel:BYTE_1 src1_sel:DWORD
	s_and_saveexec_b32 s15, s0
	s_cbranch_execz .LBB321_958
; %bb.951:                              ;   in Loop: Header=BB321_542 Depth=1
	v_cmp_ne_u16_sdwa s0, v9, v33 src0_sel:BYTE_1 src1_sel:DWORD
	v_bfrev_b32_e32 v19, 1
	s_and_saveexec_b32 s16, s0
	s_cbranch_execz .LBB321_957
; %bb.952:                              ;   in Loop: Header=BB321_542 Depth=1
	v_and_b32_sdwa v20, v34, v9 dst_sel:DWORD dst_unused:UNUSED_PAD src0_sel:DWORD src1_sel:BYTE_1
	v_mov_b32_e32 v19, 0x7f800001
	s_mov_b32 s17, exec_lo
	v_and_b32_e32 v98, 0x7f, v20
	v_cmpx_ne_u32_e32 0x7f, v98
	s_cbranch_execz .LBB321_956
; %bb.953:                              ;   in Loop: Header=BB321_542 Depth=1
	v_and_b32_e32 v19, 7, v20
	v_mov_b32_e32 v20, v10
	v_lshrrev_b32_e32 v97, 3, v98
	s_mov_b32 s18, exec_lo
	v_cmpx_gt_u32_e32 8, v98
; %bb.954:                              ;   in Loop: Header=BB321_542 Depth=1
	v_ffbh_u32_e32 v97, v19
	v_min_u32_e32 v97, 32, v97
	v_subrev_nc_u32_e32 v98, 28, v97
	v_sub_nc_u32_e32 v97, 29, v97
	v_lshlrev_b64 v[19:20], v98, v[19:20]
	v_and_b32_e32 v19, 7, v19
; %bb.955:                              ;   in Loop: Header=BB321_542 Depth=1
	s_or_b32 exec_lo, exec_lo, s18
	v_lshlrev_b32_e32 v9, 16, v9
	v_lshlrev_b32_e32 v19, 20, v19
	v_lshl_add_u32 v20, v97, 23, 0x3c000000
	v_and_b32_e32 v9, 0x80000000, v9
	v_or3_b32 v19, v19, v9, v20
.LBB321_956:                            ;   in Loop: Header=BB321_542 Depth=1
	s_or_b32 exec_lo, exec_lo, s17
.LBB321_957:                            ;   in Loop: Header=BB321_542 Depth=1
	s_or_b32 exec_lo, exec_lo, s16
.LBB321_958:                            ;   in Loop: Header=BB321_542 Depth=1
	s_or_b32 exec_lo, exec_lo, s15
	v_and_b32_sdwa v9, v18, v35 dst_sel:DWORD dst_unused:UNUSED_PAD src0_sel:WORD_1 src1_sel:DWORD
	v_mov_b32_e32 v98, 0
	v_mov_b32_e32 v99, 0
	s_mov_b32 s15, exec_lo
	v_cmpx_ne_u16_e32 0, v9
	s_cbranch_execz .LBB321_966
; %bb.959:                              ;   in Loop: Header=BB321_542 Depth=1
	v_bfrev_b32_e32 v99, 1
	s_mov_b32 s16, exec_lo
	v_cmpx_ne_u16_e32 0x80, v9
	s_cbranch_execz .LBB321_965
; %bb.960:                              ;   in Loop: Header=BB321_542 Depth=1
	v_bfe_u32 v97, v18, 16, 7
	v_mov_b32_e32 v99, 0x7f800001
	s_mov_b32 s17, exec_lo
	v_cmpx_ne_u32_e32 0x7f, v97
	s_cbranch_execz .LBB321_964
; %bb.961:                              ;   in Loop: Header=BB321_542 Depth=1
	v_and_b32_sdwa v9, v18, v36 dst_sel:DWORD dst_unused:UNUSED_PAD src0_sel:WORD_1 src1_sel:DWORD
	v_lshrrev_b32_e32 v20, 3, v97
	s_mov_b32 s18, exec_lo
	v_cmpx_gt_u32_e32 8, v97
; %bb.962:                              ;   in Loop: Header=BB321_542 Depth=1
	v_ffbh_u32_e32 v20, v9
	v_min_u32_e32 v20, 32, v20
	v_subrev_nc_u32_e32 v97, 28, v20
	v_sub_nc_u32_e32 v20, 29, v20
	v_lshlrev_b64 v[99:100], v97, v[9:10]
	v_and_b32_e32 v9, 7, v99
; %bb.963:                              ;   in Loop: Header=BB321_542 Depth=1
	s_or_b32 exec_lo, exec_lo, s18
	v_lshlrev_b32_sdwa v97, v37, v18 dst_sel:DWORD dst_unused:UNUSED_PAD src0_sel:DWORD src1_sel:WORD_1
	v_lshlrev_b32_e32 v9, 20, v9
	v_lshl_add_u32 v20, v20, 23, 0x3c000000
	v_and_b32_e32 v97, 0x80000000, v97
	v_or3_b32 v99, v9, v97, v20
.LBB321_964:                            ;   in Loop: Header=BB321_542 Depth=1
	s_or_b32 exec_lo, exec_lo, s17
.LBB321_965:                            ;   in Loop: Header=BB321_542 Depth=1
	s_or_b32 exec_lo, exec_lo, s16
.LBB321_966:                            ;   in Loop: Header=BB321_542 Depth=1
	s_or_b32 exec_lo, exec_lo, s15
	s_mov_b32 s15, exec_lo
	v_cmpx_lt_u64_e64 s[2:3], v[17:18]
	s_cbranch_execz .LBB321_974
; %bb.967:                              ;   in Loop: Header=BB321_542 Depth=1
	v_cmp_ne_u32_sdwa s0, v18, v33 src0_sel:BYTE_3 src1_sel:DWORD
	v_bfrev_b32_e32 v98, 1
	s_and_saveexec_b32 s16, s0
	s_cbranch_execz .LBB321_973
; %bb.968:                              ;   in Loop: Header=BB321_542 Depth=1
	v_bfe_u32 v20, v18, 24, 7
	v_mov_b32_e32 v98, 0x7f800001
	s_mov_b32 s17, exec_lo
	v_cmpx_ne_u32_e32 0x7f, v20
	s_cbranch_execz .LBB321_972
; %bb.969:                              ;   in Loop: Header=BB321_542 Depth=1
	v_and_b32_sdwa v9, v18, v36 dst_sel:DWORD dst_unused:UNUSED_PAD src0_sel:BYTE_3 src1_sel:DWORD
	v_lshrrev_b32_e32 v17, 3, v20
	s_mov_b32 s18, exec_lo
	v_cmpx_gt_u32_e32 8, v20
; %bb.970:                              ;   in Loop: Header=BB321_542 Depth=1
	v_ffbh_u32_e32 v17, v9
	v_min_u32_e32 v17, 32, v17
	v_subrev_nc_u32_e32 v20, 28, v17
	v_sub_nc_u32_e32 v17, 29, v17
	v_lshlrev_b64 v[97:98], v20, v[9:10]
	v_and_b32_e32 v9, 7, v97
; %bb.971:                              ;   in Loop: Header=BB321_542 Depth=1
	s_or_b32 exec_lo, exec_lo, s18
	v_lshlrev_b32_sdwa v18, v37, v18 dst_sel:DWORD dst_unused:UNUSED_PAD src0_sel:DWORD src1_sel:BYTE_3
	v_lshlrev_b32_e32 v9, 20, v9
	v_lshl_add_u32 v17, v17, 23, 0x3c000000
	v_and_b32_e32 v18, 0x80000000, v18
	v_or3_b32 v98, v9, v18, v17
.LBB321_972:                            ;   in Loop: Header=BB321_542 Depth=1
	s_or_b32 exec_lo, exec_lo, s17
.LBB321_973:                            ;   in Loop: Header=BB321_542 Depth=1
	s_or_b32 exec_lo, exec_lo, s16
.LBB321_974:                            ;   in Loop: Header=BB321_542 Depth=1
	s_or_b32 exec_lo, exec_lo, s15
	v_mul_f32_e32 v9, s5, v19
	v_mul_f32_e32 v17, s5, v96
	;; [unrolled: 1-line block ×4, first 2 shown]
	v_bfe_u32 v20, v9, 16, 1
	v_or_b32_e32 v93, 0x400000, v9
	v_bfe_u32 v95, v17, 16, 1
	v_cmp_u_f32_e64 s0, v9, v9
	v_or_b32_e32 v96, 0x400000, v17
	v_add3_u32 v20, v20, v9, 0x7fff
	v_bfe_u32 v97, v18, 16, 1
	v_add3_u32 v95, v95, v17, 0x7fff
	v_or_b32_e32 v100, 0x400000, v18
	v_bfe_u32 v101, v19, 16, 1
	v_cndmask_b32_e64 v9, v20, v93, s0
	v_cmp_u_f32_e64 s0, v17, v17
	v_add3_u32 v97, v97, v18, 0x7fff
	v_lshrrev_b32_e32 v93, 16, v9
	v_cndmask_b32_e64 v17, v95, v96, s0
	v_cmp_u_f32_e64 s0, v18, v18
	v_mul_f32_e32 v9, s5, v94
	v_add3_u32 v94, v101, v19, 0x7fff
	v_or_b32_e32 v95, 0x400000, v19
	v_lshrrev_b32_e32 v20, 16, v17
	v_cndmask_b32_e64 v18, v97, v100, s0
	v_bfe_u32 v17, v9, 16, 1
	v_cmp_u_f32_e64 s0, v19, v19
	v_mul_f32_e32 v19, s5, v92
	v_mul_f32_e32 v92, s5, v99
	v_lshrrev_b32_e32 v97, 16, v18
	v_add3_u32 v17, v17, v9, 0x7fff
	v_cndmask_b32_e64 v18, v94, v95, s0
	v_or_b32_e32 v94, 0x400000, v9
	v_bfe_u32 v96, v19, 16, 1
	v_cmp_u_f32_e64 s0, v9, v9
	v_mul_f32_e32 v95, s5, v98
	v_bfe_u32 v98, v92, 16, 1
	v_or_b32_e32 v99, 0x400000, v92
	v_cndmask_b32_e64 v9, v17, v94, s0
	v_add3_u32 v94, v96, v19, 0x7fff
	v_or_b32_e32 v96, 0x400000, v19
	v_cmp_u_f32_e64 s0, v19, v19
	v_bfe_u32 v17, v95, 16, 1
	v_add3_u32 v98, v98, v92, 0x7fff
	v_or_b32_e32 v100, 0x400000, v95
	v_cndmask_b32_e64 v19, v94, v96, s0
	v_cmp_u_f32_e64 s0, v92, v92
	v_add3_u32 v17, v17, v95, 0x7fff
	v_cndmask_b32_e64 v92, v98, v99, s0
	v_cmp_u_f32_e64 s0, v95, v95
	v_lshrrev_b32_e32 v98, 16, v18
	v_lshrrev_b32_e32 v99, 16, v19
	;; [unrolled: 1-line block ×3, first 2 shown]
	v_cndmask_b32_e64 v17, v17, v100, s0
	v_lshrrev_b32_e32 v100, 16, v9
	v_lshrrev_b32_e32 v96, 16, v17
	s_and_saveexec_b32 s15, vcc_lo
	s_cbranch_execz .LBB321_976
; %bb.975:                              ;   in Loop: Header=BB321_542 Depth=1
	v_cmp_gt_i32_e64 s0, s11, v47
	v_cndmask_b32_e64 v99, 0, v99, s0
	v_cmp_gt_i32_e64 s0, s11, v58
	v_cndmask_b32_e64 v100, 0, v100, s0
	;; [unrolled: 2-line block ×8, first 2 shown]
.LBB321_976:                            ;   in Loop: Header=BB321_542 Depth=1
	s_or_b32 exec_lo, exec_lo, s15
	global_load_dwordx2 v[15:16], v[15:16], off offset:1792
	v_mov_b32_e32 v92, 0
	v_mov_b32_e32 v19, 0
	s_waitcnt vmcnt(0)
	v_cmp_ne_u16_sdwa s0, v15, v10 src0_sel:BYTE_0 src1_sel:DWORD
	s_and_saveexec_b32 s15, s0
	s_cbranch_execz .LBB321_982
; %bb.977:                              ;   in Loop: Header=BB321_542 Depth=1
	v_cmp_ne_u16_sdwa s0, v15, v33 src0_sel:BYTE_0 src1_sel:DWORD
	v_bfrev_b32_e32 v19, 1
	s_and_saveexec_b32 s16, s0
	s_cbranch_execz .LBB321_981
; %bb.978:                              ;   in Loop: Header=BB321_542 Depth=1
	v_and_b32_e32 v9, 0x7f, v15
	v_mov_b32_e32 v19, 0x7f800001
	s_mov_b32 s17, exec_lo
	v_cmpx_ne_u32_e32 0x7f, v9
	s_cbranch_execz .LBB321_980
; %bb.979:                              ;   in Loop: Header=BB321_542 Depth=1
	v_and_b32_e32 v17, 7, v15
	v_lshrrev_b32_e32 v18, 3, v9
	v_cmp_gt_u32_e64 s0, 8, v9
	v_ffbh_u32_e32 v17, v17
	v_min_u32_e32 v17, 32, v17
	v_subrev_nc_u32_e32 v19, 28, v17
	v_sub_nc_u32_e32 v17, 29, v17
	v_cndmask_b32_e64 v9, v18, v17, s0
	v_cndmask_b32_e64 v17, 0, v19, s0
	v_lshl_add_u32 v9, v9, 23, 0x3c000000
	v_lshlrev_b64 v[17:18], v17, v[15:16]
	v_lshlrev_b32_e32 v18, 24, v15
	v_lshlrev_b32_e32 v17, 20, v17
	v_and_b32_e32 v18, 0x80000000, v18
	v_and_b32_e32 v17, 0x700000, v17
	v_or3_b32 v19, v17, v18, v9
.LBB321_980:                            ;   in Loop: Header=BB321_542 Depth=1
	s_or_b32 exec_lo, exec_lo, s17
.LBB321_981:                            ;   in Loop: Header=BB321_542 Depth=1
	s_or_b32 exec_lo, exec_lo, s16
.LBB321_982:                            ;   in Loop: Header=BB321_542 Depth=1
	s_or_b32 exec_lo, exec_lo, s15
	v_cmp_ne_u16_sdwa s0, v15, v10 src0_sel:BYTE_1 src1_sel:DWORD
	s_and_saveexec_b32 s15, s0
	s_cbranch_execz .LBB321_990
; %bb.983:                              ;   in Loop: Header=BB321_542 Depth=1
	v_cmp_ne_u16_sdwa s0, v15, v33 src0_sel:BYTE_1 src1_sel:DWORD
	v_bfrev_b32_e32 v92, 1
	s_and_saveexec_b32 s16, s0
	s_cbranch_execz .LBB321_989
; %bb.984:                              ;   in Loop: Header=BB321_542 Depth=1
	v_and_b32_sdwa v9, v34, v15 dst_sel:DWORD dst_unused:UNUSED_PAD src0_sel:DWORD src1_sel:BYTE_1
	v_mov_b32_e32 v92, 0x7f800001
	s_mov_b32 s17, exec_lo
	v_and_b32_e32 v18, 0x7f, v9
	v_cmpx_ne_u32_e32 0x7f, v18
	s_cbranch_execz .LBB321_988
; %bb.985:                              ;   in Loop: Header=BB321_542 Depth=1
	v_and_b32_e32 v9, 7, v9
	v_lshrrev_b32_e32 v17, 3, v18
	s_mov_b32 s18, exec_lo
	v_cmpx_gt_u32_e32 8, v18
; %bb.986:                              ;   in Loop: Header=BB321_542 Depth=1
	v_ffbh_u32_e32 v17, v9
	v_min_u32_e32 v17, 32, v17
	v_subrev_nc_u32_e32 v18, 28, v17
	v_sub_nc_u32_e32 v17, 29, v17
	v_lshlrev_b64 v[101:102], v18, v[9:10]
	v_and_b32_e32 v9, 7, v101
; %bb.987:                              ;   in Loop: Header=BB321_542 Depth=1
	s_or_b32 exec_lo, exec_lo, s18
	v_lshlrev_b32_e32 v18, 16, v15
	v_lshlrev_b32_e32 v9, 20, v9
	v_lshl_add_u32 v17, v17, 23, 0x3c000000
	v_and_b32_e32 v18, 0x80000000, v18
	v_or3_b32 v92, v9, v18, v17
.LBB321_988:                            ;   in Loop: Header=BB321_542 Depth=1
	s_or_b32 exec_lo, exec_lo, s17
.LBB321_989:                            ;   in Loop: Header=BB321_542 Depth=1
	s_or_b32 exec_lo, exec_lo, s16
.LBB321_990:                            ;   in Loop: Header=BB321_542 Depth=1
	s_or_b32 exec_lo, exec_lo, s15
	v_and_b32_sdwa v9, v15, v35 dst_sel:DWORD dst_unused:UNUSED_PAD src0_sel:WORD_1 src1_sel:DWORD
	v_mov_b32_e32 v101, 0
	v_mov_b32_e32 v94, 0
	s_mov_b32 s15, exec_lo
	v_cmpx_ne_u16_e32 0, v9
	s_cbranch_execz .LBB321_998
; %bb.991:                              ;   in Loop: Header=BB321_542 Depth=1
	v_bfrev_b32_e32 v94, 1
	s_mov_b32 s16, exec_lo
	v_cmpx_ne_u16_e32 0x80, v9
	s_cbranch_execz .LBB321_997
; %bb.992:                              ;   in Loop: Header=BB321_542 Depth=1
	v_bfe_u32 v18, v15, 16, 7
	v_mov_b32_e32 v94, 0x7f800001
	s_mov_b32 s17, exec_lo
	v_cmpx_ne_u32_e32 0x7f, v18
	s_cbranch_execz .LBB321_996
; %bb.993:                              ;   in Loop: Header=BB321_542 Depth=1
	v_and_b32_sdwa v9, v15, v36 dst_sel:DWORD dst_unused:UNUSED_PAD src0_sel:WORD_1 src1_sel:DWORD
	v_lshrrev_b32_e32 v17, 3, v18
	s_mov_b32 s18, exec_lo
	v_cmpx_gt_u32_e32 8, v18
; %bb.994:                              ;   in Loop: Header=BB321_542 Depth=1
	v_ffbh_u32_e32 v17, v9
	v_min_u32_e32 v17, 32, v17
	v_subrev_nc_u32_e32 v18, 28, v17
	v_sub_nc_u32_e32 v17, 29, v17
	v_lshlrev_b64 v[102:103], v18, v[9:10]
	v_and_b32_e32 v9, 7, v102
; %bb.995:                              ;   in Loop: Header=BB321_542 Depth=1
	s_or_b32 exec_lo, exec_lo, s18
	v_lshlrev_b32_sdwa v18, v37, v15 dst_sel:DWORD dst_unused:UNUSED_PAD src0_sel:DWORD src1_sel:WORD_1
	v_lshlrev_b32_e32 v9, 20, v9
	v_lshl_add_u32 v17, v17, 23, 0x3c000000
	v_and_b32_e32 v18, 0x80000000, v18
	v_or3_b32 v94, v9, v18, v17
.LBB321_996:                            ;   in Loop: Header=BB321_542 Depth=1
	s_or_b32 exec_lo, exec_lo, s17
.LBB321_997:                            ;   in Loop: Header=BB321_542 Depth=1
	s_or_b32 exec_lo, exec_lo, s16
.LBB321_998:                            ;   in Loop: Header=BB321_542 Depth=1
	s_or_b32 exec_lo, exec_lo, s15
	s_mov_b32 s15, exec_lo
	v_cmpx_lt_u32_e32 0xffffff, v15
	s_cbranch_execz .LBB321_1006
; %bb.999:                              ;   in Loop: Header=BB321_542 Depth=1
	v_cmp_ne_u32_sdwa s0, v15, v33 src0_sel:BYTE_3 src1_sel:DWORD
	v_bfrev_b32_e32 v101, 1
	s_and_saveexec_b32 s16, s0
	s_cbranch_execz .LBB321_1005
; %bb.1000:                             ;   in Loop: Header=BB321_542 Depth=1
	v_bfe_u32 v18, v15, 24, 7
	v_mov_b32_e32 v101, 0x7f800001
	s_mov_b32 s17, exec_lo
	v_cmpx_ne_u32_e32 0x7f, v18
	s_cbranch_execz .LBB321_1004
; %bb.1001:                             ;   in Loop: Header=BB321_542 Depth=1
	v_and_b32_sdwa v9, v15, v36 dst_sel:DWORD dst_unused:UNUSED_PAD src0_sel:BYTE_3 src1_sel:DWORD
	v_lshrrev_b32_e32 v17, 3, v18
	s_mov_b32 s18, exec_lo
	v_cmpx_gt_u32_e32 8, v18
; %bb.1002:                             ;   in Loop: Header=BB321_542 Depth=1
	v_ffbh_u32_e32 v17, v9
	v_min_u32_e32 v17, 32, v17
	v_subrev_nc_u32_e32 v18, 28, v17
	v_sub_nc_u32_e32 v17, 29, v17
	v_lshlrev_b64 v[101:102], v18, v[9:10]
	v_and_b32_e32 v9, 7, v101
; %bb.1003:                             ;   in Loop: Header=BB321_542 Depth=1
	s_or_b32 exec_lo, exec_lo, s18
	v_lshlrev_b32_sdwa v18, v37, v15 dst_sel:DWORD dst_unused:UNUSED_PAD src0_sel:DWORD src1_sel:BYTE_3
	v_lshlrev_b32_e32 v9, 20, v9
	v_lshl_add_u32 v17, v17, 23, 0x3c000000
	v_and_b32_e32 v18, 0x80000000, v18
	v_or3_b32 v101, v9, v18, v17
.LBB321_1004:                           ;   in Loop: Header=BB321_542 Depth=1
	s_or_b32 exec_lo, exec_lo, s17
.LBB321_1005:                           ;   in Loop: Header=BB321_542 Depth=1
	s_or_b32 exec_lo, exec_lo, s16
.LBB321_1006:                           ;   in Loop: Header=BB321_542 Depth=1
	s_or_b32 exec_lo, exec_lo, s15
	v_mov_b32_e32 v9, v16
	v_cmp_ne_u16_sdwa s0, v16, v10 src0_sel:BYTE_0 src1_sel:DWORD
	v_mov_b32_e32 v17, 0
	v_mov_b32_e32 v102, 0
	s_and_saveexec_b32 s15, s0
	s_cbranch_execz .LBB321_1012
; %bb.1007:                             ;   in Loop: Header=BB321_542 Depth=1
	v_cmp_ne_u16_sdwa s0, v16, v33 src0_sel:BYTE_0 src1_sel:DWORD
	v_bfrev_b32_e32 v102, 1
	s_and_saveexec_b32 s16, s0
	s_cbranch_execz .LBB321_1011
; %bb.1008:                             ;   in Loop: Header=BB321_542 Depth=1
	v_and_b32_e32 v18, 0x7f, v16
	v_mov_b32_e32 v102, 0x7f800001
	s_mov_b32 s17, exec_lo
	v_cmpx_ne_u32_e32 0x7f, v18
	s_cbranch_execz .LBB321_1010
; %bb.1009:                             ;   in Loop: Header=BB321_542 Depth=1
	v_and_b32_e32 v102, 7, v16
	v_lshrrev_b32_e32 v103, 3, v18
	v_cmp_gt_u32_e64 s0, 8, v18
	v_ffbh_u32_e32 v102, v102
	v_min_u32_e32 v102, 32, v102
	v_subrev_nc_u32_e32 v104, 28, v102
	v_sub_nc_u32_e32 v102, 29, v102
	v_cndmask_b32_e64 v18, v103, v102, s0
	v_cndmask_b32_e64 v102, 0, v104, s0
	v_lshl_add_u32 v18, v18, 23, 0x3c000000
	v_lshlrev_b64 v[102:103], v102, v[9:10]
	v_lshlrev_b32_e32 v103, 24, v9
	v_lshlrev_b32_e32 v102, 20, v102
	v_and_b32_e32 v103, 0x80000000, v103
	v_and_b32_e32 v102, 0x700000, v102
	v_or3_b32 v102, v102, v103, v18
.LBB321_1010:                           ;   in Loop: Header=BB321_542 Depth=1
	s_or_b32 exec_lo, exec_lo, s17
.LBB321_1011:                           ;   in Loop: Header=BB321_542 Depth=1
	s_or_b32 exec_lo, exec_lo, s16
.LBB321_1012:                           ;   in Loop: Header=BB321_542 Depth=1
	s_or_b32 exec_lo, exec_lo, s15
	v_cmp_ne_u16_sdwa s0, v9, v10 src0_sel:BYTE_1 src1_sel:DWORD
	s_and_saveexec_b32 s15, s0
	s_cbranch_execz .LBB321_1020
; %bb.1013:                             ;   in Loop: Header=BB321_542 Depth=1
	v_cmp_ne_u16_sdwa s0, v9, v33 src0_sel:BYTE_1 src1_sel:DWORD
	v_bfrev_b32_e32 v17, 1
	s_and_saveexec_b32 s16, s0
	s_cbranch_execz .LBB321_1019
; %bb.1014:                             ;   in Loop: Header=BB321_542 Depth=1
	v_and_b32_sdwa v18, v34, v9 dst_sel:DWORD dst_unused:UNUSED_PAD src0_sel:DWORD src1_sel:BYTE_1
	v_mov_b32_e32 v17, 0x7f800001
	s_mov_b32 s17, exec_lo
	v_and_b32_e32 v104, 0x7f, v18
	v_cmpx_ne_u32_e32 0x7f, v104
	s_cbranch_execz .LBB321_1018
; %bb.1015:                             ;   in Loop: Header=BB321_542 Depth=1
	v_and_b32_e32 v17, 7, v18
	v_mov_b32_e32 v18, v10
	v_lshrrev_b32_e32 v103, 3, v104
	s_mov_b32 s18, exec_lo
	v_cmpx_gt_u32_e32 8, v104
; %bb.1016:                             ;   in Loop: Header=BB321_542 Depth=1
	v_ffbh_u32_e32 v103, v17
	v_min_u32_e32 v103, 32, v103
	v_subrev_nc_u32_e32 v104, 28, v103
	v_sub_nc_u32_e32 v103, 29, v103
	v_lshlrev_b64 v[17:18], v104, v[17:18]
	v_and_b32_e32 v17, 7, v17
; %bb.1017:                             ;   in Loop: Header=BB321_542 Depth=1
	s_or_b32 exec_lo, exec_lo, s18
	v_lshlrev_b32_e32 v9, 16, v9
	v_lshlrev_b32_e32 v17, 20, v17
	v_lshl_add_u32 v18, v103, 23, 0x3c000000
	v_and_b32_e32 v9, 0x80000000, v9
	v_or3_b32 v17, v17, v9, v18
.LBB321_1018:                           ;   in Loop: Header=BB321_542 Depth=1
	s_or_b32 exec_lo, exec_lo, s17
.LBB321_1019:                           ;   in Loop: Header=BB321_542 Depth=1
	s_or_b32 exec_lo, exec_lo, s16
.LBB321_1020:                           ;   in Loop: Header=BB321_542 Depth=1
	s_or_b32 exec_lo, exec_lo, s15
	v_and_b32_sdwa v9, v16, v35 dst_sel:DWORD dst_unused:UNUSED_PAD src0_sel:WORD_1 src1_sel:DWORD
	v_mov_b32_e32 v18, 0
	v_mov_b32_e32 v103, 0
	s_mov_b32 s15, exec_lo
	v_cmpx_ne_u16_e32 0, v9
	s_cbranch_execz .LBB321_1028
; %bb.1021:                             ;   in Loop: Header=BB321_542 Depth=1
	v_bfrev_b32_e32 v103, 1
	s_mov_b32 s16, exec_lo
	v_cmpx_ne_u16_e32 0x80, v9
	s_cbranch_execz .LBB321_1027
; %bb.1022:                             ;   in Loop: Header=BB321_542 Depth=1
	v_bfe_u32 v104, v16, 16, 7
	v_mov_b32_e32 v103, 0x7f800001
	s_mov_b32 s17, exec_lo
	v_cmpx_ne_u32_e32 0x7f, v104
	s_cbranch_execz .LBB321_1026
; %bb.1023:                             ;   in Loop: Header=BB321_542 Depth=1
	v_and_b32_sdwa v9, v16, v36 dst_sel:DWORD dst_unused:UNUSED_PAD src0_sel:WORD_1 src1_sel:DWORD
	v_lshrrev_b32_e32 v103, 3, v104
	s_mov_b32 s18, exec_lo
	v_cmpx_gt_u32_e32 8, v104
; %bb.1024:                             ;   in Loop: Header=BB321_542 Depth=1
	v_ffbh_u32_e32 v103, v9
	v_min_u32_e32 v103, 32, v103
	v_subrev_nc_u32_e32 v104, 28, v103
	v_sub_nc_u32_e32 v103, 29, v103
	v_lshlrev_b64 v[104:105], v104, v[9:10]
	v_and_b32_e32 v9, 7, v104
; %bb.1025:                             ;   in Loop: Header=BB321_542 Depth=1
	s_or_b32 exec_lo, exec_lo, s18
	v_lshlrev_b32_sdwa v104, v37, v16 dst_sel:DWORD dst_unused:UNUSED_PAD src0_sel:DWORD src1_sel:WORD_1
	v_lshlrev_b32_e32 v9, 20, v9
	v_lshl_add_u32 v103, v103, 23, 0x3c000000
	v_and_b32_e32 v104, 0x80000000, v104
	v_or3_b32 v103, v9, v104, v103
.LBB321_1026:                           ;   in Loop: Header=BB321_542 Depth=1
	s_or_b32 exec_lo, exec_lo, s17
.LBB321_1027:                           ;   in Loop: Header=BB321_542 Depth=1
	s_or_b32 exec_lo, exec_lo, s16
.LBB321_1028:                           ;   in Loop: Header=BB321_542 Depth=1
	s_or_b32 exec_lo, exec_lo, s15
	s_mov_b32 s15, exec_lo
	v_cmpx_lt_u64_e64 s[2:3], v[15:16]
	s_cbranch_execz .LBB321_1036
; %bb.1029:                             ;   in Loop: Header=BB321_542 Depth=1
	v_cmp_ne_u32_sdwa s0, v16, v33 src0_sel:BYTE_3 src1_sel:DWORD
	v_bfrev_b32_e32 v18, 1
	s_and_saveexec_b32 s16, s0
	s_cbranch_execz .LBB321_1035
; %bb.1030:                             ;   in Loop: Header=BB321_542 Depth=1
	v_bfe_u32 v104, v16, 24, 7
	v_mov_b32_e32 v18, 0x7f800001
	s_mov_b32 s17, exec_lo
	v_cmpx_ne_u32_e32 0x7f, v104
	s_cbranch_execz .LBB321_1034
; %bb.1031:                             ;   in Loop: Header=BB321_542 Depth=1
	v_and_b32_sdwa v9, v16, v36 dst_sel:DWORD dst_unused:UNUSED_PAD src0_sel:BYTE_3 src1_sel:DWORD
	v_lshrrev_b32_e32 v15, 3, v104
	s_mov_b32 s18, exec_lo
	v_cmpx_gt_u32_e32 8, v104
; %bb.1032:                             ;   in Loop: Header=BB321_542 Depth=1
	v_ffbh_u32_e32 v15, v9
	v_min_u32_e32 v15, 32, v15
	v_subrev_nc_u32_e32 v18, 28, v15
	v_sub_nc_u32_e32 v15, 29, v15
	v_lshlrev_b64 v[104:105], v18, v[9:10]
	v_and_b32_e32 v9, 7, v104
; %bb.1033:                             ;   in Loop: Header=BB321_542 Depth=1
	s_or_b32 exec_lo, exec_lo, s18
	v_lshlrev_b32_sdwa v16, v37, v16 dst_sel:DWORD dst_unused:UNUSED_PAD src0_sel:DWORD src1_sel:BYTE_3
	v_lshlrev_b32_e32 v9, 20, v9
	v_lshl_add_u32 v15, v15, 23, 0x3c000000
	v_and_b32_e32 v16, 0x80000000, v16
	v_or3_b32 v18, v9, v16, v15
.LBB321_1034:                           ;   in Loop: Header=BB321_542 Depth=1
	s_or_b32 exec_lo, exec_lo, s17
.LBB321_1035:                           ;   in Loop: Header=BB321_542 Depth=1
	s_or_b32 exec_lo, exec_lo, s16
.LBB321_1036:                           ;   in Loop: Header=BB321_542 Depth=1
	s_or_b32 exec_lo, exec_lo, s15
	v_mul_f32_e32 v9, s5, v17
	v_mul_f32_e32 v15, s5, v102
	;; [unrolled: 1-line block ×5, first 2 shown]
	v_bfe_u32 v94, v9, 16, 1
	v_or_b32_e32 v101, 0x400000, v9
	v_bfe_u32 v102, v15, 16, 1
	v_cmp_u_f32_e64 s0, v9, v9
	v_or_b32_e32 v104, 0x400000, v15
	v_add3_u32 v94, v94, v9, 0x7fff
	v_bfe_u32 v105, v16, 16, 1
	v_add3_u32 v102, v102, v15, 0x7fff
	v_or_b32_e32 v106, 0x400000, v16
	v_bfe_u32 v107, v17, 16, 1
	v_cndmask_b32_e64 v9, v94, v101, s0
	v_cmp_u_f32_e64 s0, v15, v15
	v_add3_u32 v105, v105, v16, 0x7fff
	v_or_b32_e32 v101, 0x400000, v17
	v_add3_u32 v94, v107, v17, 0x7fff
	v_mul_f32_e32 v19, s5, v19
	v_cndmask_b32_e64 v15, v102, v104, s0
	v_cmp_u_f32_e64 s0, v16, v16
	v_bfe_u32 v102, v92, 16, 1
	v_mul_f32_e32 v18, s5, v18
	v_lshrrev_b32_e32 v9, 16, v9
	v_lshrrev_b32_e32 v15, 16, v15
	v_cndmask_b32_e64 v16, v105, v106, s0
	v_cmp_u_f32_e64 s0, v17, v17
	v_or_b32_e32 v106, 0x400000, v18
	v_lshrrev_b32_e32 v16, 16, v16
	v_cndmask_b32_e64 v17, v94, v101, s0
	v_mul_f32_e32 v94, s5, v103
	v_add3_u32 v101, v102, v92, 0x7fff
	v_or_b32_e32 v102, 0x400000, v92
	v_bfe_u32 v103, v19, 16, 1
	v_cmp_u_f32_e64 s0, v92, v92
	v_bfe_u32 v104, v94, 16, 1
	v_or_b32_e32 v105, 0x400000, v94
	v_cndmask_b32_e64 v92, v101, v102, s0
	v_add3_u32 v102, v103, v19, 0x7fff
	v_or_b32_e32 v103, 0x400000, v19
	v_cmp_u_f32_e64 s0, v19, v19
	v_bfe_u32 v101, v18, 16, 1
	v_add3_u32 v104, v104, v94, 0x7fff
	v_lshrrev_b32_e32 v19, 16, v17
	v_lshrrev_b32_e32 v92, 16, v92
	v_cndmask_b32_e64 v102, v102, v103, s0
	v_cmp_u_f32_e64 s0, v94, v94
	v_add3_u32 v101, v101, v18, 0x7fff
	v_lshrrev_b32_e32 v94, 16, v102
	v_cndmask_b32_e64 v103, v104, v105, s0
	v_cmp_u_f32_e64 s0, v18, v18
	v_lshrrev_b32_e32 v18, 16, v103
	v_cndmask_b32_e64 v101, v101, v106, s0
	v_lshrrev_b32_e32 v17, 16, v101
	s_and_saveexec_b32 s0, vcc_lo
	s_cbranch_execz .LBB321_541
; %bb.1037:                             ;   in Loop: Header=BB321_542 Depth=1
	v_cmp_gt_i32_e32 vcc_lo, s11, v47
	v_cndmask_b32_e32 v94, 0, v94, vcc_lo
	v_cmp_gt_i32_e32 vcc_lo, s11, v58
	v_cndmask_b32_e32 v92, 0, v92, vcc_lo
	;; [unrolled: 2-line block ×8, first 2 shown]
	s_branch .LBB321_541
.LBB321_1038:
	s_or_b32 exec_lo, exec_lo, s14
	v_mov_b32_e32 v31, v108
	v_mov_b32_e32 v86, v109
.LBB321_1039:
	s_or_b32 exec_lo, exec_lo, s1
	v_lshl_add_u32 v1, v27, 2, 0x220
	v_and_b32_e32 v2, 0x3c0, v31
	s_mov_b32 s0, exec_lo
	s_barrier
	v_lshl_add_u32 v0, v86, 10, v1
	buffer_gl0_inv
	v_cmpx_eq_u32_e32 64, v2
	s_cbranch_execz .LBB321_1041
; %bb.1040:
	v_add_nc_u32_e32 v2, 0xfffff800, v0
	v_add_nc_u32_e32 v3, 0xfffff880, v0
	;; [unrolled: 1-line block ×5, first 2 shown]
	ds_write_b32 v2, v30
	ds_write_b32 v3, v29
	;; [unrolled: 1-line block ×3, first 2 shown]
	v_add_nc_u32_e32 v2, 0xfffff980, v0
	v_add_nc_u32_e32 v3, 0xfffffa00, v0
	;; [unrolled: 1-line block ×3, first 2 shown]
	ds_write_b32 v2, v26
	ds_write_b32 v3, v25
	;; [unrolled: 1-line block ×5, first 2 shown]
.LBB321_1041:
	s_or_b32 exec_lo, exec_lo, s0
	s_mov_b32 s0, exec_lo
	s_waitcnt lgkmcnt(0)
	s_barrier
	buffer_gl0_inv
	v_cmpx_gt_u32_e32 64, v31
	s_cbranch_execz .LBB321_1043
; %bb.1042:
	ds_read2_b32 v[2:3], v0 offset1:32
	ds_read2_b32 v[4:5], v0 offset0:64 offset1:96
	ds_read2_b32 v[6:7], v0 offset0:128 offset1:160
	;; [unrolled: 1-line block ×3, first 2 shown]
	s_waitcnt lgkmcnt(3)
	v_add_f32_e32 v30, v30, v2
	v_add_f32_e32 v29, v29, v3
	s_waitcnt lgkmcnt(2)
	v_add_f32_e32 v28, v28, v4
	v_add_f32_e32 v26, v26, v5
	;; [unrolled: 3-line block ×4, first 2 shown]
.LBB321_1043:
	s_or_b32 exec_lo, exec_lo, s0
	v_and_b32_e32 v2, 0x3e0, v31
	s_mov_b32 s0, exec_lo
	s_barrier
	buffer_gl0_inv
	v_cmpx_eq_u32_e32 32, v2
	s_cbranch_execz .LBB321_1045
; %bb.1044:
	ds_write2_b32 v1, v30, v29 offset1:32
	ds_write2_b32 v1, v28, v26 offset0:64 offset1:96
	ds_write2_b32 v1, v25, v24 offset0:128 offset1:160
	;; [unrolled: 1-line block ×3, first 2 shown]
.LBB321_1045:
	s_or_b32 exec_lo, exec_lo, s0
	v_cmp_gt_u32_e32 vcc_lo, 32, v31
	s_waitcnt lgkmcnt(0)
	s_barrier
	buffer_gl0_inv
	s_and_saveexec_b32 s0, vcc_lo
	s_cbranch_execz .LBB321_1047
; %bb.1046:
	ds_read2_b32 v[1:2], v0 offset1:32
	ds_read2_b32 v[3:4], v0 offset0:64 offset1:96
	ds_read2_b32 v[5:6], v0 offset0:128 offset1:160
	;; [unrolled: 1-line block ×3, first 2 shown]
	s_waitcnt lgkmcnt(3)
	v_add_f32_e32 v30, v30, v1
	v_add_f32_e32 v29, v29, v2
	s_waitcnt lgkmcnt(2)
	v_add_f32_e32 v28, v28, v3
	v_add_f32_e32 v26, v26, v4
	;; [unrolled: 3-line block ×4, first 2 shown]
.LBB321_1047:
	s_or_b32 exec_lo, exec_lo, s0
	s_barrier
	buffer_gl0_inv
	s_and_saveexec_b32 s0, vcc_lo
	s_cbranch_execz .LBB321_1049
; %bb.1048:
	s_mul_i32 s0, s10, s7
	s_mul_i32 s2, s7, s6
	;; [unrolled: 1-line block ×3, first 2 shown]
	v_bfe_u32 v1, v30, 16, 1
	s_lshl_b32 s0, s0, 8
	v_or_b32_e32 v2, 0x400000, v30
	s_ashr_i32 s1, s0, 31
	v_bfe_u32 v3, v29, 16, 1
	s_lshl_b64 s[0:1], s[0:1], 1
	v_add3_u32 v1, v1, v30, 0x7fff
	s_add_u32 s4, s20, s0
	s_addc_u32 s5, s21, s1
	s_ashr_i32 s3, s2, 31
	v_cmp_u_f32_e32 vcc_lo, v30, v30
	s_lshl_b64 s[0:1], s[2:3], 1
	v_lshlrev_b32_e32 v0, 1, v31
	s_add_u32 s2, s4, s0
	s_addc_u32 s3, s5, s1
	s_lshl_b32 s0, s8, 8
	v_cndmask_b32_e32 v1, v1, v2, vcc_lo
	s_ashr_i32 s1, s0, 31
	v_bfe_u32 v2, v28, 16, 1
	s_lshl_b64 s[0:1], s[0:1], 1
	v_add3_u32 v3, v3, v29, 0x7fff
	v_or_b32_e32 v4, 0x400000, v29
	v_cmp_u_f32_e32 vcc_lo, v29, v29
	s_add_u32 s0, s2, s0
	s_addc_u32 s1, s3, s1
	v_bfe_u32 v5, v23, 16, 1
	global_store_short_d16_hi v0, v1, s[0:1]
	v_add3_u32 v1, v2, v28, 0x7fff
	v_or_b32_e32 v2, 0x400000, v28
	v_cndmask_b32_e32 v3, v3, v4, vcc_lo
	v_bfe_u32 v4, v26, 16, 1
	v_cmp_u_f32_e32 vcc_lo, v28, v28
	v_or_b32_e32 v6, 0x400000, v24
	v_add3_u32 v5, v5, v23, 0x7fff
	global_store_short_d16_hi v0, v3, s[0:1] offset:64
	v_add3_u32 v3, v4, v26, 0x7fff
	v_cndmask_b32_e32 v1, v1, v2, vcc_lo
	v_bfe_u32 v2, v25, 16, 1
	v_or_b32_e32 v4, 0x400000, v26
	v_cmp_u_f32_e32 vcc_lo, v26, v26
	v_or_b32_e32 v7, 0x400000, v23
	global_store_short_d16_hi v0, v1, s[0:1] offset:128
	v_add3_u32 v1, v2, v25, 0x7fff
	v_or_b32_e32 v2, 0x400000, v25
	v_cndmask_b32_e32 v3, v3, v4, vcc_lo
	v_bfe_u32 v4, v24, 16, 1
	v_cmp_u_f32_e32 vcc_lo, v25, v25
	v_or_b32_e32 v8, 0x400000, v22
	v_add3_u32 v4, v4, v24, 0x7fff
	v_cndmask_b32_e32 v1, v1, v2, vcc_lo
	v_cmp_u_f32_e32 vcc_lo, v24, v24
	v_bfe_u32 v2, v22, 16, 1
	v_cndmask_b32_e32 v4, v4, v6, vcc_lo
	v_cmp_u_f32_e32 vcc_lo, v23, v23
	v_add3_u32 v2, v2, v22, 0x7fff
	v_cndmask_b32_e32 v5, v5, v7, vcc_lo
	v_cmp_u_f32_e32 vcc_lo, v22, v22
	v_cndmask_b32_e32 v2, v2, v8, vcc_lo
	global_store_short_d16_hi v0, v3, s[0:1] offset:192
	global_store_short_d16_hi v0, v1, s[0:1] offset:256
	;; [unrolled: 1-line block ×5, first 2 shown]
.LBB321_1049:
	s_endpgm
	.section	.rodata,"a",@progbits
	.p2align	6, 0x0
	.amdhsa_kernel _ZN4vllm25paged_attention_v1_kernelI14__hip_bfloat16hLi256ELi8ELi128ELNS_18Fp8KVCacheDataTypeE1ELb0EEEvPT_PKS3_PKT0_S9_ifPKiSB_iPKfiiiSD_SD_iiiii
		.amdhsa_group_segment_fixed_size 544
		.amdhsa_private_segment_fixed_size 88
		.amdhsa_kernarg_size 384
		.amdhsa_user_sgpr_count 6
		.amdhsa_user_sgpr_private_segment_buffer 1
		.amdhsa_user_sgpr_dispatch_ptr 0
		.amdhsa_user_sgpr_queue_ptr 0
		.amdhsa_user_sgpr_kernarg_segment_ptr 1
		.amdhsa_user_sgpr_dispatch_id 0
		.amdhsa_user_sgpr_flat_scratch_init 0
		.amdhsa_user_sgpr_private_segment_size 0
		.amdhsa_wavefront_size32 1
		.amdhsa_uses_dynamic_stack 0
		.amdhsa_system_sgpr_private_segment_wavefront_offset 1
		.amdhsa_system_sgpr_workgroup_id_x 1
		.amdhsa_system_sgpr_workgroup_id_y 1
		.amdhsa_system_sgpr_workgroup_id_z 1
		.amdhsa_system_sgpr_workgroup_info 0
		.amdhsa_system_vgpr_workitem_id 0
		.amdhsa_next_free_vgpr 128
		.amdhsa_next_free_sgpr 40
		.amdhsa_reserve_vcc 1
		.amdhsa_reserve_flat_scratch 0
		.amdhsa_float_round_mode_32 0
		.amdhsa_float_round_mode_16_64 0
		.amdhsa_float_denorm_mode_32 3
		.amdhsa_float_denorm_mode_16_64 3
		.amdhsa_dx10_clamp 1
		.amdhsa_ieee_mode 1
		.amdhsa_fp16_overflow 0
		.amdhsa_workgroup_processor_mode 1
		.amdhsa_memory_ordered 1
		.amdhsa_forward_progress 1
		.amdhsa_shared_vgpr_count 0
		.amdhsa_exception_fp_ieee_invalid_op 0
		.amdhsa_exception_fp_denorm_src 0
		.amdhsa_exception_fp_ieee_div_zero 0
		.amdhsa_exception_fp_ieee_overflow 0
		.amdhsa_exception_fp_ieee_underflow 0
		.amdhsa_exception_fp_ieee_inexact 0
		.amdhsa_exception_int_div_zero 0
	.end_amdhsa_kernel
	.section	.text._ZN4vllm25paged_attention_v1_kernelI14__hip_bfloat16hLi256ELi8ELi128ELNS_18Fp8KVCacheDataTypeE1ELb0EEEvPT_PKS3_PKT0_S9_ifPKiSB_iPKfiiiSD_SD_iiiii,"axG",@progbits,_ZN4vllm25paged_attention_v1_kernelI14__hip_bfloat16hLi256ELi8ELi128ELNS_18Fp8KVCacheDataTypeE1ELb0EEEvPT_PKS3_PKT0_S9_ifPKiSB_iPKfiiiSD_SD_iiiii,comdat
.Lfunc_end321:
	.size	_ZN4vllm25paged_attention_v1_kernelI14__hip_bfloat16hLi256ELi8ELi128ELNS_18Fp8KVCacheDataTypeE1ELb0EEEvPT_PKS3_PKT0_S9_ifPKiSB_iPKfiiiSD_SD_iiiii, .Lfunc_end321-_ZN4vllm25paged_attention_v1_kernelI14__hip_bfloat16hLi256ELi8ELi128ELNS_18Fp8KVCacheDataTypeE1ELb0EEEvPT_PKS3_PKT0_S9_ifPKiSB_iPKfiiiSD_SD_iiiii
                                        ; -- End function
	.set _ZN4vllm25paged_attention_v1_kernelI14__hip_bfloat16hLi256ELi8ELi128ELNS_18Fp8KVCacheDataTypeE1ELb0EEEvPT_PKS3_PKT0_S9_ifPKiSB_iPKfiiiSD_SD_iiiii.num_vgpr, 128
	.set _ZN4vllm25paged_attention_v1_kernelI14__hip_bfloat16hLi256ELi8ELi128ELNS_18Fp8KVCacheDataTypeE1ELb0EEEvPT_PKS3_PKT0_S9_ifPKiSB_iPKfiiiSD_SD_iiiii.num_agpr, 0
	.set _ZN4vllm25paged_attention_v1_kernelI14__hip_bfloat16hLi256ELi8ELi128ELNS_18Fp8KVCacheDataTypeE1ELb0EEEvPT_PKS3_PKT0_S9_ifPKiSB_iPKfiiiSD_SD_iiiii.numbered_sgpr, 40
	.set _ZN4vllm25paged_attention_v1_kernelI14__hip_bfloat16hLi256ELi8ELi128ELNS_18Fp8KVCacheDataTypeE1ELb0EEEvPT_PKS3_PKT0_S9_ifPKiSB_iPKfiiiSD_SD_iiiii.num_named_barrier, 0
	.set _ZN4vllm25paged_attention_v1_kernelI14__hip_bfloat16hLi256ELi8ELi128ELNS_18Fp8KVCacheDataTypeE1ELb0EEEvPT_PKS3_PKT0_S9_ifPKiSB_iPKfiiiSD_SD_iiiii.private_seg_size, 88
	.set _ZN4vllm25paged_attention_v1_kernelI14__hip_bfloat16hLi256ELi8ELi128ELNS_18Fp8KVCacheDataTypeE1ELb0EEEvPT_PKS3_PKT0_S9_ifPKiSB_iPKfiiiSD_SD_iiiii.uses_vcc, 1
	.set _ZN4vllm25paged_attention_v1_kernelI14__hip_bfloat16hLi256ELi8ELi128ELNS_18Fp8KVCacheDataTypeE1ELb0EEEvPT_PKS3_PKT0_S9_ifPKiSB_iPKfiiiSD_SD_iiiii.uses_flat_scratch, 0
	.set _ZN4vllm25paged_attention_v1_kernelI14__hip_bfloat16hLi256ELi8ELi128ELNS_18Fp8KVCacheDataTypeE1ELb0EEEvPT_PKS3_PKT0_S9_ifPKiSB_iPKfiiiSD_SD_iiiii.has_dyn_sized_stack, 0
	.set _ZN4vllm25paged_attention_v1_kernelI14__hip_bfloat16hLi256ELi8ELi128ELNS_18Fp8KVCacheDataTypeE1ELb0EEEvPT_PKS3_PKT0_S9_ifPKiSB_iPKfiiiSD_SD_iiiii.has_recursion, 0
	.set _ZN4vllm25paged_attention_v1_kernelI14__hip_bfloat16hLi256ELi8ELi128ELNS_18Fp8KVCacheDataTypeE1ELb0EEEvPT_PKS3_PKT0_S9_ifPKiSB_iPKfiiiSD_SD_iiiii.has_indirect_call, 0
	.section	.AMDGPU.csdata,"",@progbits
; Kernel info:
; codeLenInByte = 39584
; TotalNumSgprs: 42
; NumVgprs: 128
; ScratchSize: 88
; MemoryBound: 0
; FloatMode: 240
; IeeeMode: 1
; LDSByteSize: 544 bytes/workgroup (compile time only)
; SGPRBlocks: 0
; VGPRBlocks: 15
; NumSGPRsForWavesPerEU: 42
; NumVGPRsForWavesPerEU: 128
; Occupancy: 8
; WaveLimiterHint : 1
; COMPUTE_PGM_RSRC2:SCRATCH_EN: 1
; COMPUTE_PGM_RSRC2:USER_SGPR: 6
; COMPUTE_PGM_RSRC2:TRAP_HANDLER: 0
; COMPUTE_PGM_RSRC2:TGID_X_EN: 1
; COMPUTE_PGM_RSRC2:TGID_Y_EN: 1
; COMPUTE_PGM_RSRC2:TGID_Z_EN: 1
; COMPUTE_PGM_RSRC2:TIDIG_COMP_CNT: 0
	.section	.text._ZN4vllm25paged_attention_v1_kernelI14__hip_bfloat16hLi32ELi16ELi128ELNS_18Fp8KVCacheDataTypeE1ELb1EEEvPT_PKS3_PKT0_S9_ifPKiSB_iPKfiiiSD_SD_iiiii,"axG",@progbits,_ZN4vllm25paged_attention_v1_kernelI14__hip_bfloat16hLi32ELi16ELi128ELNS_18Fp8KVCacheDataTypeE1ELb1EEEvPT_PKS3_PKT0_S9_ifPKiSB_iPKfiiiSD_SD_iiiii,comdat
	.protected	_ZN4vllm25paged_attention_v1_kernelI14__hip_bfloat16hLi32ELi16ELi128ELNS_18Fp8KVCacheDataTypeE1ELb1EEEvPT_PKS3_PKT0_S9_ifPKiSB_iPKfiiiSD_SD_iiiii ; -- Begin function _ZN4vllm25paged_attention_v1_kernelI14__hip_bfloat16hLi32ELi16ELi128ELNS_18Fp8KVCacheDataTypeE1ELb1EEEvPT_PKS3_PKT0_S9_ifPKiSB_iPKfiiiSD_SD_iiiii
	.globl	_ZN4vllm25paged_attention_v1_kernelI14__hip_bfloat16hLi32ELi16ELi128ELNS_18Fp8KVCacheDataTypeE1ELb1EEEvPT_PKS3_PKT0_S9_ifPKiSB_iPKfiiiSD_SD_iiiii
	.p2align	8
	.type	_ZN4vllm25paged_attention_v1_kernelI14__hip_bfloat16hLi32ELi16ELi128ELNS_18Fp8KVCacheDataTypeE1ELb1EEEvPT_PKS3_PKT0_S9_ifPKiSB_iPKfiiiSD_SD_iiiii,@function
_ZN4vllm25paged_attention_v1_kernelI14__hip_bfloat16hLi32ELi16ELi128ELNS_18Fp8KVCacheDataTypeE1ELb1EEEvPT_PKS3_PKT0_S9_ifPKiSB_iPKfiiiSD_SD_iiiii: ; @_ZN4vllm25paged_attention_v1_kernelI14__hip_bfloat16hLi32ELi16ELi128ELNS_18Fp8KVCacheDataTypeE1ELb1EEEvPT_PKS3_PKT0_S9_ifPKiSB_iPKfiiiSD_SD_iiiii
; %bb.0:
	s_clause 0x2
	s_load_dword s9, s[4:5], 0x80
	s_load_dwordx2 s[0:1], s[4:5], 0x30
	s_load_dwordx2 s[34:35], s[4:5], 0x20
	s_mov_b32 s10, s7
	s_ashr_i32 s11, s7, 31
	s_mov_b32 s36, 0
	s_lshl_b64 s[2:3], s[10:11], 2
	s_waitcnt lgkmcnt(0)
	s_add_u32 s0, s0, s2
	s_addc_u32 s1, s1, s3
	s_abs_i32 s2, s34
	s_abs_i32 s11, s9
	v_cvt_f32_u32_e32 v1, s2
	s_sub_i32 s7, 0, s2
	v_rcp_iflag_f32_e32 v1, v1
	v_mul_f32_e32 v1, 0x4f7ffffe, v1
	v_cvt_u32_f32_e32 v1, v1
	v_readfirstlane_b32 s3, v1
	s_mul_i32 s7, s7, s3
	s_mul_hi_u32 s7, s3, s7
	s_add_i32 s3, s3, s7
	s_xor_b32 s7, s9, s34
	s_mul_hi_u32 s3, s11, s3
	s_ashr_i32 s7, s7, 31
	s_mul_i32 s12, s3, s2
	s_sub_i32 s11, s11, s12
	s_add_i32 s12, s3, 1
	s_sub_i32 s13, s11, s2
	s_cmp_ge_u32 s11, s2
	s_cselect_b32 s3, s12, s3
	s_cselect_b32 s11, s13, s11
	s_add_i32 s12, s3, 1
	s_cmp_ge_u32 s11, s2
	s_cselect_b32 s2, s12, s3
	s_xor_b32 s2, s2, s7
	s_sub_i32 s14, s2, s7
	s_load_dwordx2 s[2:3], s[4:5], 0x40
	s_abs_i32 s11, s14
	v_cvt_f32_u32_e32 v1, s11
	s_sub_i32 s12, 0, s11
	v_rcp_iflag_f32_e32 v1, v1
	v_mul_f32_e32 v1, 0x4f7ffffe, v1
	v_cvt_u32_f32_e32 v1, v1
	v_readfirstlane_b32 s7, v1
	s_mul_i32 s12, s12, s7
	s_mul_hi_u32 s13, s7, s12
	s_abs_i32 s12, s6
	s_add_i32 s7, s7, s13
	s_waitcnt lgkmcnt(0)
	s_cmp_eq_u64 s[2:3], 0
	s_mul_hi_u32 s13, s12, s7
	s_cbranch_scc1 .LBB322_2
; %bb.1:
	s_ashr_i32 s7, s6, 31
	s_lshl_b64 s[16:17], s[6:7], 2
	s_add_u32 s2, s2, s16
	s_addc_u32 s3, s3, s17
	s_load_dword s36, s[2:3], 0x0
.LBB322_2:
	s_load_dword s33, s[0:1], 0x0
	s_load_dwordx4 s[16:19], s[4:5], 0x48
	v_lshrrev_b32_e32 v21, 1, v0
	v_and_b32_e32 v22, 1, v0
	v_lshlrev_b32_e32 v17, 3, v0
	s_ashr_i32 s0, s6, 31
	s_ashr_i32 s1, s14, 31
	s_lshl_b32 s24, s6, 5
	s_mov_b32 s2, exec_lo
	v_cmpx_gt_u32_e32 8, v0
	s_cbranch_execz .LBB322_4
; %bb.3:
	s_load_dwordx2 s[14:15], s[4:5], 0x8
	s_waitcnt lgkmcnt(0)
	s_mul_i32 s20, s16, s10
	v_lshlrev_b32_e32 v3, 3, v21
	s_ashr_i32 s21, s20, 31
	s_lshl_b64 s[20:21], s[20:21], 1
	v_lshl_add_u32 v3, v22, 5, v3
	s_add_u32 s3, s14, s20
	s_addc_u32 s7, s15, s21
	s_ashr_i32 s25, s24, 31
	s_lshl_b64 s[14:15], s[24:25], 1
	s_add_u32 s14, s3, s14
	s_addc_u32 s15, s7, s15
	global_load_dwordx2 v[1:2], v17, s[14:15]
	s_waitcnt vmcnt(0)
	ds_write_b64 v3, v[1:2]
.LBB322_4:
	s_or_b32 exec_lo, exec_lo, s2
	s_load_dwordx4 s[20:23], s[4:5], 0x68
	s_mul_i32 s2, s13, s11
	s_xor_b32 s1, s0, s1
	s_sub_i32 s0, s12, s2
	s_add_i32 s2, s13, 1
	s_sub_i32 s3, s0, s11
	s_cmp_ge_u32 s0, s11
	s_mov_b32 s12, -1
	s_cselect_b32 s2, s2, s13
	s_cselect_b32 s0, s3, s0
	s_add_i32 s3, s2, 1
	s_cmp_ge_u32 s0, s11
	s_load_dword s0, s[4:5], 0x78
	s_cselect_b32 s2, s3, s2
	s_waitcnt lgkmcnt(0)
	s_add_i32 s7, s33, -1
	s_xor_b32 s2, s2, s1
	s_abs_i32 s3, s7
	s_sub_i32 s1, s2, s1
	s_barrier
	s_abs_i32 s16, s23
	buffer_gl0_inv
	v_cvt_f32_u32_e32 v1, s16
	s_sub_i32 s2, 0, s16
                                        ; implicit-def: $sgpr25
	v_rcp_iflag_f32_e32 v1, v1
	v_mul_f32_e32 v1, 0x4f7ffffe, v1
	v_cvt_u32_f32_e32 v1, v1
	v_readfirstlane_b32 s19, v1
	s_mul_i32 s2, s2, s19
	s_mul_hi_u32 s2, s19, s2
	s_add_i32 s19, s19, s2
	s_cmp_lt_i32 s0, 0
	s_mul_hi_u32 s2, s3, s19
	s_cbranch_scc0 .LBB322_6
; %bb.5:
	s_mul_i32 s11, s20, s34
	s_mov_b32 s12, 0
	s_add_i32 s11, s1, s11
	s_mul_i32 s11, s11, s0
	s_sub_i32 s25, 1, s11
.LBB322_6:
	s_load_dwordx2 s[26:27], s[4:5], 0x28
	s_ashr_i32 s11, s7, 31
	s_andn2_b32 vcc_lo, exec_lo, s12
	s_ashr_i32 s23, s23, 31
	s_cbranch_vccnz .LBB322_8
; %bb.7:
	s_mul_i32 s7, s9, s20
	s_add_i32 s6, s7, s6
	s_mul_i32 s0, s6, s0
	s_add_i32 s25, s0, 1
.LBB322_8:
	s_clause 0x2
	s_load_dword s0, s[4:5], 0x38
	s_load_dwordx2 s[6:7], s[4:5], 0x0
	s_load_dwordx2 s[30:31], s[4:5], 0x18
	s_xor_b32 s34, s11, s23
	s_mul_i32 s11, s2, s16
	s_add_i32 s20, s2, 1
	s_sub_i32 s3, s3, s11
	s_clause 0x1
	s_load_dword s11, s[4:5], 0x88
	s_load_dwordx4 s[12:15], s[4:5], 0x58
	v_lshrrev_b32_e32 v23, 5, v0
	v_mov_b32_e32 v26, 0xff7fffff
	v_lshrrev_b32_e32 v18, 3, v0
	v_mbcnt_lo_u32_b32 v19, -1, 0
	s_mul_i32 s18, s1, s18
	v_lshlrev_b32_e32 v24, 4, v23
	s_waitcnt lgkmcnt(0)
	s_mul_i32 s28, s0, s10
	s_sub_i32 s0, s3, s16
	s_ashr_i32 s29, s28, 31
	s_cmp_ge_u32 s3, s16
	s_cselect_b32 s2, s20, s2
	s_cselect_b32 s0, s0, s3
	s_add_i32 s3, s2, 1
	s_cmp_ge_u32 s0, s16
	s_cselect_b32 s0, s3, s2
	s_add_i32 s2, s33, 15
	s_ashr_i32 s3, s2, 31
	s_lshr_b32 s3, s3, 28
	s_add_i32 s2, s2, s3
	s_ashr_i32 s20, s2, 4
	s_xor_b32 s2, s0, s34
	v_cmp_gt_i32_e64 s0, s20, v23
	s_sub_i32 s34, s2, s34
	s_and_saveexec_b32 s37, s0
	s_cbranch_execz .LBB322_148
; %bb.9:
	s_load_dwordx2 s[2:3], s[4:5], 0x10
	s_sub_i32 s4, s34, s21
	s_ashr_i32 s1, s18, 31
	v_bfe_u32 v20, v0, 1, 4
	v_and_b32_e32 v3, 0x7c, v18
	v_lshlrev_b32_e32 v2, 2, v22
	v_mov_b32_e32 v10, 0
	v_lshlrev_b32_e32 v25, 5, v22
	v_lshlrev_b32_e32 v4, 2, v20
	v_subrev_nc_u32_e32 v5, s33, v20
	v_lshlrev_b32_e32 v6, 4, v20
	v_lshlrev_b32_e32 v27, 4, v23
	v_mov_b32_e32 v28, 0xff7fffff
	v_lshl_or_b32 v4, v23, 6, v4
	v_add_nc_u32_e32 v34, 1, v5
	v_mov_b32_e32 v29, 0x80
	v_mov_b32_e32 v30, 0xffff
	;; [unrolled: 1-line block ×3, first 2 shown]
	v_add_nc_u32_e32 v35, 0x60, v4
	v_mov_b32_e32 v32, 7
	s_waitcnt lgkmcnt(0)
	s_add_u32 s38, s2, s18
	s_addc_u32 s39, s3, s1
	s_abs_i32 s5, s22
	v_add_co_u32 v5, s38, s38, v6
	v_cvt_f32_u32_e32 v1, s5
	s_sub_i32 s2, 0, s5
	v_add_co_ci_u32_e64 v6, null, s39, 0, s38
	v_cmp_neq_f32_e64 s1, s36, 0
	v_rcp_iflag_f32_e32 v1, v1
	v_mov_b32_e32 v33, 24
	v_mov_b32_e32 v26, 0xff7fffff
	;; [unrolled: 1-line block ×3, first 2 shown]
	s_mov_b32 s38, 0
	s_mov_b32 s39, s17
	v_cmp_eq_u32_e32 vcc_lo, 0, v22
	v_mul_f32_e32 v1, 0x4f7ffffe, v1
	v_cvt_u32_f32_e32 v1, v1
	v_mul_lo_u32 v4, s2, v1
	s_lshl_b64 s[2:3], s[28:29], 2
	s_add_u32 s2, s26, s2
	s_addc_u32 s3, s27, s3
	v_add_co_u32 v11, s2, s2, v3
	v_add_co_ci_u32_e64 v12, null, s3, 0, s2
	v_mul_hi_u32 v4, v1, v4
	v_add_co_u32 v13, s2, v5, v2
	v_add_co_ci_u32_e64 v14, null, 0, v6, s2
	v_add_nc_u32_e32 v36, v1, v4
	s_branch .LBB322_12
.LBB322_10:                             ;   in Loop: Header=BB322_12 Depth=1
	s_or_b32 exec_lo, exec_lo, s40
.LBB322_11:                             ;   in Loop: Header=BB322_12 Depth=1
	s_or_b32 exec_lo, exec_lo, s3
	v_add_nc_u32_e32 v37, 4, v37
	v_add_co_u32 v11, s3, v11, 16
	v_add_co_ci_u32_e64 v12, null, 0, v12, s3
	v_cmp_le_i32_e64 s2, s20, v37
	v_add_nc_u32_e32 v27, 64, v27
	v_add_nc_u32_e32 v35, 0x100, v35
	s_or_b32 s38, s2, s38
	s_andn2_b32 exec_lo, exec_lo, s38
	s_cbranch_execz .LBB322_147
.LBB322_12:                             ; =>This Inner Loop Header: Depth=1
	v_mul_hi_u32 v1, v27, s19
	s_waitcnt lgkmcnt(0)
	v_mul_lo_u32 v2, v1, s16
	v_add_nc_u32_e32 v3, 1, v1
	v_sub_nc_u32_e32 v2, v27, v2
	v_subrev_nc_u32_e32 v4, s16, v2
	v_cmp_le_u32_e64 s2, s16, v2
	v_cndmask_b32_e64 v1, v1, v3, s2
	v_cndmask_b32_e64 v2, v2, v4, s2
	v_add_nc_u32_e32 v3, 1, v1
	v_cmp_le_u32_e64 s2, s16, v2
	v_cndmask_b32_e64 v1, v1, v3, s2
	v_xor_b32_e32 v1, s23, v1
	v_subrev_nc_u32_e32 v1, s23, v1
	v_add_nc_u32_e32 v2, s25, v1
	v_cmp_ge_i32_e64 s3, s4, v1
	v_sub_nc_u32_e32 v3, 0, v2
	v_max_i32_e32 v3, v2, v3
	v_ashrrev_i32_e32 v2, 31, v2
	v_mul_hi_u32 v4, v3, v36
	v_mul_lo_u32 v4, v4, s5
	v_sub_nc_u32_e32 v3, v3, v4
	v_subrev_nc_u32_e32 v4, s5, v3
	v_cmp_le_u32_e64 s2, s5, v3
	v_cndmask_b32_e64 v3, v3, v4, s2
	v_subrev_nc_u32_e32 v4, s5, v3
	v_cmp_le_u32_e64 s2, s5, v3
	v_cndmask_b32_e64 v3, v3, v4, s2
	v_xor_b32_e32 v3, v3, v2
	v_sub_nc_u32_e32 v2, v3, v2
	v_cmp_ne_u32_e64 s2, 0, v2
	s_and_b32 s2, s2, s3
	s_and_saveexec_b32 s3, s2
	s_xor_b32 s2, exec_lo, s3
	s_cbranch_execz .LBB322_16
; %bb.13:                               ;   in Loop: Header=BB322_12 Depth=1
	s_and_saveexec_b32 s3, vcc_lo
; %bb.14:                               ;   in Loop: Header=BB322_12 Depth=1
	ds_write_b32 v35, v28
; %bb.15:                               ;   in Loop: Header=BB322_12 Depth=1
	s_or_b32 exec_lo, exec_lo, s3
.LBB322_16:                             ;   in Loop: Header=BB322_12 Depth=1
	s_andn2_saveexec_b32 s3, s2
	s_cbranch_execz .LBB322_11
; %bb.17:                               ;   in Loop: Header=BB322_12 Depth=1
	global_load_dword v1, v[11:12], off
	v_mov_b32_e32 v39, 0
	v_mov_b32_e32 v38, 0
	s_waitcnt vmcnt(0)
	v_mad_i64_i32 v[15:16], null, v1, s39, v[13:14]
	global_load_dword v42, v[15:16], off
	ds_read_b128 v[5:8], v25
	ds_read_b128 v[1:4], v25 offset:16
	s_load_dword s40, s[12:13], 0x0
	s_waitcnt vmcnt(0)
	v_cmp_ne_u16_sdwa s2, v42, v10 src0_sel:BYTE_0 src1_sel:DWORD
	s_and_saveexec_b32 s41, s2
	s_cbranch_execz .LBB322_25
; %bb.18:                               ;   in Loop: Header=BB322_12 Depth=1
	v_cmp_ne_u16_sdwa s2, v42, v29 src0_sel:BYTE_0 src1_sel:DWORD
	v_bfrev_b32_e32 v38, 1
	s_and_saveexec_b32 s42, s2
	s_cbranch_execz .LBB322_24
; %bb.19:                               ;   in Loop: Header=BB322_12 Depth=1
	v_and_b32_e32 v40, 0x7f, v42
	v_mov_b32_e32 v38, 0x7f800001
	s_mov_b32 s43, exec_lo
	v_cmpx_ne_u32_e32 0x7f, v40
	s_cbranch_execz .LBB322_23
; %bb.20:                               ;   in Loop: Header=BB322_12 Depth=1
	v_and_b32_e32 v9, 7, v42
	v_lshrrev_b32_e32 v38, 3, v40
	s_mov_b32 s44, exec_lo
	v_cmpx_gt_u32_e32 8, v40
; %bb.21:                               ;   in Loop: Header=BB322_12 Depth=1
	v_ffbh_u32_e32 v38, v9
	v_min_u32_e32 v38, 32, v38
	v_subrev_nc_u32_e32 v40, 28, v38
	v_sub_nc_u32_e32 v38, 29, v38
	v_lshlrev_b64 v[40:41], v40, v[9:10]
	v_and_b32_e32 v9, 7, v40
; %bb.22:                               ;   in Loop: Header=BB322_12 Depth=1
	s_or_b32 exec_lo, exec_lo, s44
	v_lshlrev_b32_e32 v40, 24, v42
	v_lshlrev_b32_e32 v9, 20, v9
	v_lshl_add_u32 v38, v38, 23, 0x3c000000
	v_and_b32_e32 v40, 0x80000000, v40
	v_or3_b32 v38, v9, v40, v38
.LBB322_23:                             ;   in Loop: Header=BB322_12 Depth=1
	s_or_b32 exec_lo, exec_lo, s43
.LBB322_24:                             ;   in Loop: Header=BB322_12 Depth=1
	s_or_b32 exec_lo, exec_lo, s42
.LBB322_25:                             ;   in Loop: Header=BB322_12 Depth=1
	s_or_b32 exec_lo, exec_lo, s41
	v_cmp_ne_u16_sdwa s2, v42, v10 src0_sel:BYTE_1 src1_sel:DWORD
	s_and_saveexec_b32 s41, s2
	s_cbranch_execz .LBB322_33
; %bb.26:                               ;   in Loop: Header=BB322_12 Depth=1
	v_cmp_ne_u16_sdwa s2, v42, v29 src0_sel:BYTE_1 src1_sel:DWORD
	v_bfrev_b32_e32 v39, 1
	s_and_saveexec_b32 s42, s2
	s_cbranch_execz .LBB322_32
; %bb.27:                               ;   in Loop: Header=BB322_12 Depth=1
	v_and_b32_sdwa v9, v30, v42 dst_sel:DWORD dst_unused:UNUSED_PAD src0_sel:DWORD src1_sel:BYTE_1
	v_mov_b32_e32 v39, 0x7f800001
	s_mov_b32 s43, exec_lo
	v_and_b32_e32 v40, 0x7f, v9
	v_cmpx_ne_u32_e32 0x7f, v40
	s_cbranch_execz .LBB322_31
; %bb.28:                               ;   in Loop: Header=BB322_12 Depth=1
	v_and_b32_e32 v9, 7, v9
	v_lshrrev_b32_e32 v39, 3, v40
	s_mov_b32 s44, exec_lo
	v_cmpx_gt_u32_e32 8, v40
; %bb.29:                               ;   in Loop: Header=BB322_12 Depth=1
	v_ffbh_u32_e32 v39, v9
	v_min_u32_e32 v39, 32, v39
	v_subrev_nc_u32_e32 v40, 28, v39
	v_sub_nc_u32_e32 v39, 29, v39
	v_lshlrev_b64 v[40:41], v40, v[9:10]
	v_and_b32_e32 v9, 7, v40
; %bb.30:                               ;   in Loop: Header=BB322_12 Depth=1
	s_or_b32 exec_lo, exec_lo, s44
	v_lshlrev_b32_e32 v40, 16, v42
	v_lshlrev_b32_e32 v9, 20, v9
	v_lshl_add_u32 v39, v39, 23, 0x3c000000
	v_and_b32_e32 v40, 0x80000000, v40
	v_or3_b32 v39, v9, v40, v39
.LBB322_31:                             ;   in Loop: Header=BB322_12 Depth=1
	s_or_b32 exec_lo, exec_lo, s43
.LBB322_32:                             ;   in Loop: Header=BB322_12 Depth=1
	s_or_b32 exec_lo, exec_lo, s42
.LBB322_33:                             ;   in Loop: Header=BB322_12 Depth=1
	s_or_b32 exec_lo, exec_lo, s41
	v_and_b32_sdwa v9, v42, v31 dst_sel:DWORD dst_unused:UNUSED_PAD src0_sel:WORD_1 src1_sel:DWORD
	v_mov_b32_e32 v40, 0
	v_mov_b32_e32 v41, 0
	s_mov_b32 s41, exec_lo
	v_cmpx_ne_u16_e32 0, v9
	s_cbranch_execz .LBB322_41
; %bb.34:                               ;   in Loop: Header=BB322_12 Depth=1
	v_bfrev_b32_e32 v41, 1
	s_mov_b32 s42, exec_lo
	v_cmpx_ne_u16_e32 0x80, v9
	s_cbranch_execz .LBB322_40
; %bb.35:                               ;   in Loop: Header=BB322_12 Depth=1
	v_bfe_u32 v43, v42, 16, 7
	v_mov_b32_e32 v41, 0x7f800001
	s_mov_b32 s43, exec_lo
	v_cmpx_ne_u32_e32 0x7f, v43
	s_cbranch_execz .LBB322_39
; %bb.36:                               ;   in Loop: Header=BB322_12 Depth=1
	v_and_b32_sdwa v9, v42, v32 dst_sel:DWORD dst_unused:UNUSED_PAD src0_sel:WORD_1 src1_sel:DWORD
	v_lshrrev_b32_e32 v41, 3, v43
	s_mov_b32 s44, exec_lo
	v_cmpx_gt_u32_e32 8, v43
; %bb.37:                               ;   in Loop: Header=BB322_12 Depth=1
	v_ffbh_u32_e32 v41, v9
	v_min_u32_e32 v41, 32, v41
	v_subrev_nc_u32_e32 v43, 28, v41
	v_sub_nc_u32_e32 v41, 29, v41
	v_lshlrev_b64 v[43:44], v43, v[9:10]
	v_and_b32_e32 v9, 7, v43
; %bb.38:                               ;   in Loop: Header=BB322_12 Depth=1
	s_or_b32 exec_lo, exec_lo, s44
	v_lshlrev_b32_sdwa v43, v33, v42 dst_sel:DWORD dst_unused:UNUSED_PAD src0_sel:DWORD src1_sel:WORD_1
	v_lshlrev_b32_e32 v9, 20, v9
	v_lshl_add_u32 v41, v41, 23, 0x3c000000
	v_and_b32_e32 v43, 0x80000000, v43
	v_or3_b32 v41, v9, v43, v41
.LBB322_39:                             ;   in Loop: Header=BB322_12 Depth=1
	s_or_b32 exec_lo, exec_lo, s43
.LBB322_40:                             ;   in Loop: Header=BB322_12 Depth=1
	s_or_b32 exec_lo, exec_lo, s42
.LBB322_41:                             ;   in Loop: Header=BB322_12 Depth=1
	s_or_b32 exec_lo, exec_lo, s41
	s_mov_b32 s41, exec_lo
	v_cmpx_lt_u32_e32 0xffffff, v42
	s_cbranch_execz .LBB322_49
; %bb.42:                               ;   in Loop: Header=BB322_12 Depth=1
	v_cmp_ne_u32_sdwa s2, v42, v29 src0_sel:BYTE_3 src1_sel:DWORD
	v_bfrev_b32_e32 v40, 1
	s_and_saveexec_b32 s42, s2
	s_cbranch_execz .LBB322_48
; %bb.43:                               ;   in Loop: Header=BB322_12 Depth=1
	v_bfe_u32 v43, v42, 24, 7
	v_mov_b32_e32 v40, 0x7f800001
	s_mov_b32 s43, exec_lo
	v_cmpx_ne_u32_e32 0x7f, v43
	s_cbranch_execz .LBB322_47
; %bb.44:                               ;   in Loop: Header=BB322_12 Depth=1
	v_and_b32_sdwa v9, v42, v32 dst_sel:DWORD dst_unused:UNUSED_PAD src0_sel:BYTE_3 src1_sel:DWORD
	v_lshrrev_b32_e32 v40, 3, v43
	s_mov_b32 s44, exec_lo
	v_cmpx_gt_u32_e32 8, v43
; %bb.45:                               ;   in Loop: Header=BB322_12 Depth=1
	v_ffbh_u32_e32 v40, v9
	v_min_u32_e32 v40, 32, v40
	v_subrev_nc_u32_e32 v43, 28, v40
	v_sub_nc_u32_e32 v40, 29, v40
	v_lshlrev_b64 v[43:44], v43, v[9:10]
	v_and_b32_e32 v9, 7, v43
; %bb.46:                               ;   in Loop: Header=BB322_12 Depth=1
	s_or_b32 exec_lo, exec_lo, s44
	v_lshlrev_b32_sdwa v42, v33, v42 dst_sel:DWORD dst_unused:UNUSED_PAD src0_sel:DWORD src1_sel:BYTE_3
	v_lshlrev_b32_e32 v9, 20, v9
	v_lshl_add_u32 v40, v40, 23, 0x3c000000
	v_and_b32_e32 v42, 0x80000000, v42
	v_or3_b32 v40, v9, v42, v40
.LBB322_47:                             ;   in Loop: Header=BB322_12 Depth=1
	s_or_b32 exec_lo, exec_lo, s43
.LBB322_48:                             ;   in Loop: Header=BB322_12 Depth=1
	s_or_b32 exec_lo, exec_lo, s42
.LBB322_49:                             ;   in Loop: Header=BB322_12 Depth=1
	s_or_b32 exec_lo, exec_lo, s41
	global_load_dword v46, v[15:16], off offset:8
	v_mov_b32_e32 v43, 0
	v_mov_b32_e32 v42, 0
	s_waitcnt vmcnt(0)
	v_cmp_ne_u16_sdwa s2, v46, v10 src0_sel:BYTE_0 src1_sel:DWORD
	s_and_saveexec_b32 s41, s2
	s_cbranch_execz .LBB322_57
; %bb.50:                               ;   in Loop: Header=BB322_12 Depth=1
	v_cmp_ne_u16_sdwa s2, v46, v29 src0_sel:BYTE_0 src1_sel:DWORD
	v_bfrev_b32_e32 v42, 1
	s_and_saveexec_b32 s42, s2
	s_cbranch_execz .LBB322_56
; %bb.51:                               ;   in Loop: Header=BB322_12 Depth=1
	v_and_b32_e32 v44, 0x7f, v46
	v_mov_b32_e32 v42, 0x7f800001
	s_mov_b32 s43, exec_lo
	v_cmpx_ne_u32_e32 0x7f, v44
	s_cbranch_execz .LBB322_55
; %bb.52:                               ;   in Loop: Header=BB322_12 Depth=1
	v_and_b32_e32 v9, 7, v46
	v_lshrrev_b32_e32 v42, 3, v44
	s_mov_b32 s44, exec_lo
	v_cmpx_gt_u32_e32 8, v44
; %bb.53:                               ;   in Loop: Header=BB322_12 Depth=1
	v_ffbh_u32_e32 v42, v9
	v_min_u32_e32 v42, 32, v42
	v_subrev_nc_u32_e32 v44, 28, v42
	v_sub_nc_u32_e32 v42, 29, v42
	v_lshlrev_b64 v[44:45], v44, v[9:10]
	v_and_b32_e32 v9, 7, v44
; %bb.54:                               ;   in Loop: Header=BB322_12 Depth=1
	s_or_b32 exec_lo, exec_lo, s44
	v_lshlrev_b32_e32 v44, 24, v46
	v_lshlrev_b32_e32 v9, 20, v9
	v_lshl_add_u32 v42, v42, 23, 0x3c000000
	v_and_b32_e32 v44, 0x80000000, v44
	v_or3_b32 v42, v9, v44, v42
.LBB322_55:                             ;   in Loop: Header=BB322_12 Depth=1
	s_or_b32 exec_lo, exec_lo, s43
.LBB322_56:                             ;   in Loop: Header=BB322_12 Depth=1
	s_or_b32 exec_lo, exec_lo, s42
.LBB322_57:                             ;   in Loop: Header=BB322_12 Depth=1
	s_or_b32 exec_lo, exec_lo, s41
	v_cmp_ne_u16_sdwa s2, v46, v10 src0_sel:BYTE_1 src1_sel:DWORD
	s_and_saveexec_b32 s41, s2
	s_cbranch_execz .LBB322_65
; %bb.58:                               ;   in Loop: Header=BB322_12 Depth=1
	v_cmp_ne_u16_sdwa s2, v46, v29 src0_sel:BYTE_1 src1_sel:DWORD
	v_bfrev_b32_e32 v43, 1
	s_and_saveexec_b32 s42, s2
	s_cbranch_execz .LBB322_64
; %bb.59:                               ;   in Loop: Header=BB322_12 Depth=1
	v_and_b32_sdwa v9, v30, v46 dst_sel:DWORD dst_unused:UNUSED_PAD src0_sel:DWORD src1_sel:BYTE_1
	v_mov_b32_e32 v43, 0x7f800001
	s_mov_b32 s43, exec_lo
	v_and_b32_e32 v44, 0x7f, v9
	v_cmpx_ne_u32_e32 0x7f, v44
	s_cbranch_execz .LBB322_63
; %bb.60:                               ;   in Loop: Header=BB322_12 Depth=1
	v_and_b32_e32 v9, 7, v9
	v_lshrrev_b32_e32 v43, 3, v44
	s_mov_b32 s44, exec_lo
	v_cmpx_gt_u32_e32 8, v44
; %bb.61:                               ;   in Loop: Header=BB322_12 Depth=1
	v_ffbh_u32_e32 v43, v9
	v_min_u32_e32 v43, 32, v43
	v_subrev_nc_u32_e32 v44, 28, v43
	v_sub_nc_u32_e32 v43, 29, v43
	v_lshlrev_b64 v[44:45], v44, v[9:10]
	v_and_b32_e32 v9, 7, v44
; %bb.62:                               ;   in Loop: Header=BB322_12 Depth=1
	s_or_b32 exec_lo, exec_lo, s44
	v_lshlrev_b32_e32 v44, 16, v46
	v_lshlrev_b32_e32 v9, 20, v9
	v_lshl_add_u32 v43, v43, 23, 0x3c000000
	v_and_b32_e32 v44, 0x80000000, v44
	v_or3_b32 v43, v9, v44, v43
.LBB322_63:                             ;   in Loop: Header=BB322_12 Depth=1
	s_or_b32 exec_lo, exec_lo, s43
.LBB322_64:                             ;   in Loop: Header=BB322_12 Depth=1
	s_or_b32 exec_lo, exec_lo, s42
.LBB322_65:                             ;   in Loop: Header=BB322_12 Depth=1
	s_or_b32 exec_lo, exec_lo, s41
	v_and_b32_sdwa v9, v46, v31 dst_sel:DWORD dst_unused:UNUSED_PAD src0_sel:WORD_1 src1_sel:DWORD
	v_mov_b32_e32 v44, 0
	v_mov_b32_e32 v45, 0
	s_mov_b32 s41, exec_lo
	v_cmpx_ne_u16_e32 0, v9
	s_cbranch_execz .LBB322_73
; %bb.66:                               ;   in Loop: Header=BB322_12 Depth=1
	v_bfrev_b32_e32 v45, 1
	s_mov_b32 s42, exec_lo
	v_cmpx_ne_u16_e32 0x80, v9
	s_cbranch_execz .LBB322_72
; %bb.67:                               ;   in Loop: Header=BB322_12 Depth=1
	v_bfe_u32 v47, v46, 16, 7
	v_mov_b32_e32 v45, 0x7f800001
	s_mov_b32 s43, exec_lo
	v_cmpx_ne_u32_e32 0x7f, v47
	s_cbranch_execz .LBB322_71
; %bb.68:                               ;   in Loop: Header=BB322_12 Depth=1
	v_and_b32_sdwa v9, v46, v32 dst_sel:DWORD dst_unused:UNUSED_PAD src0_sel:WORD_1 src1_sel:DWORD
	v_lshrrev_b32_e32 v45, 3, v47
	s_mov_b32 s44, exec_lo
	v_cmpx_gt_u32_e32 8, v47
; %bb.69:                               ;   in Loop: Header=BB322_12 Depth=1
	v_ffbh_u32_e32 v45, v9
	v_min_u32_e32 v45, 32, v45
	v_subrev_nc_u32_e32 v47, 28, v45
	v_sub_nc_u32_e32 v45, 29, v45
	v_lshlrev_b64 v[47:48], v47, v[9:10]
	v_and_b32_e32 v9, 7, v47
; %bb.70:                               ;   in Loop: Header=BB322_12 Depth=1
	s_or_b32 exec_lo, exec_lo, s44
	v_lshlrev_b32_sdwa v47, v33, v46 dst_sel:DWORD dst_unused:UNUSED_PAD src0_sel:DWORD src1_sel:WORD_1
	v_lshlrev_b32_e32 v9, 20, v9
	v_lshl_add_u32 v45, v45, 23, 0x3c000000
	v_and_b32_e32 v47, 0x80000000, v47
	v_or3_b32 v45, v9, v47, v45
.LBB322_71:                             ;   in Loop: Header=BB322_12 Depth=1
	s_or_b32 exec_lo, exec_lo, s43
.LBB322_72:                             ;   in Loop: Header=BB322_12 Depth=1
	s_or_b32 exec_lo, exec_lo, s42
.LBB322_73:                             ;   in Loop: Header=BB322_12 Depth=1
	s_or_b32 exec_lo, exec_lo, s41
	s_mov_b32 s41, exec_lo
	v_cmpx_lt_u32_e32 0xffffff, v46
	s_cbranch_execz .LBB322_81
; %bb.74:                               ;   in Loop: Header=BB322_12 Depth=1
	v_cmp_ne_u32_sdwa s2, v46, v29 src0_sel:BYTE_3 src1_sel:DWORD
	v_bfrev_b32_e32 v44, 1
	s_and_saveexec_b32 s42, s2
	s_cbranch_execz .LBB322_80
; %bb.75:                               ;   in Loop: Header=BB322_12 Depth=1
	v_bfe_u32 v47, v46, 24, 7
	v_mov_b32_e32 v44, 0x7f800001
	s_mov_b32 s43, exec_lo
	v_cmpx_ne_u32_e32 0x7f, v47
	s_cbranch_execz .LBB322_79
; %bb.76:                               ;   in Loop: Header=BB322_12 Depth=1
	v_and_b32_sdwa v9, v46, v32 dst_sel:DWORD dst_unused:UNUSED_PAD src0_sel:BYTE_3 src1_sel:DWORD
	v_lshrrev_b32_e32 v44, 3, v47
	s_mov_b32 s44, exec_lo
	v_cmpx_gt_u32_e32 8, v47
; %bb.77:                               ;   in Loop: Header=BB322_12 Depth=1
	v_ffbh_u32_e32 v44, v9
	v_min_u32_e32 v44, 32, v44
	v_subrev_nc_u32_e32 v47, 28, v44
	v_sub_nc_u32_e32 v44, 29, v44
	v_lshlrev_b64 v[47:48], v47, v[9:10]
	v_and_b32_e32 v9, 7, v47
; %bb.78:                               ;   in Loop: Header=BB322_12 Depth=1
	s_or_b32 exec_lo, exec_lo, s44
	v_lshlrev_b32_sdwa v46, v33, v46 dst_sel:DWORD dst_unused:UNUSED_PAD src0_sel:DWORD src1_sel:BYTE_3
	v_lshlrev_b32_e32 v9, 20, v9
	v_lshl_add_u32 v44, v44, 23, 0x3c000000
	v_and_b32_e32 v46, 0x80000000, v46
	v_or3_b32 v44, v9, v46, v44
.LBB322_79:                             ;   in Loop: Header=BB322_12 Depth=1
	s_or_b32 exec_lo, exec_lo, s43
.LBB322_80:                             ;   in Loop: Header=BB322_12 Depth=1
	s_or_b32 exec_lo, exec_lo, s42
.LBB322_81:                             ;   in Loop: Header=BB322_12 Depth=1
	s_or_b32 exec_lo, exec_lo, s41
	global_load_dword v50, v[15:16], off offset:256
	v_mov_b32_e32 v47, 0
	v_mov_b32_e32 v46, 0
	s_waitcnt vmcnt(0)
	v_cmp_ne_u16_sdwa s2, v50, v10 src0_sel:BYTE_0 src1_sel:DWORD
	s_and_saveexec_b32 s41, s2
	s_cbranch_execz .LBB322_89
; %bb.82:                               ;   in Loop: Header=BB322_12 Depth=1
	v_cmp_ne_u16_sdwa s2, v50, v29 src0_sel:BYTE_0 src1_sel:DWORD
	v_bfrev_b32_e32 v46, 1
	s_and_saveexec_b32 s42, s2
	s_cbranch_execz .LBB322_88
; %bb.83:                               ;   in Loop: Header=BB322_12 Depth=1
	v_and_b32_e32 v48, 0x7f, v50
	v_mov_b32_e32 v46, 0x7f800001
	s_mov_b32 s43, exec_lo
	v_cmpx_ne_u32_e32 0x7f, v48
	s_cbranch_execz .LBB322_87
; %bb.84:                               ;   in Loop: Header=BB322_12 Depth=1
	v_and_b32_e32 v9, 7, v50
	v_lshrrev_b32_e32 v46, 3, v48
	s_mov_b32 s44, exec_lo
	v_cmpx_gt_u32_e32 8, v48
; %bb.85:                               ;   in Loop: Header=BB322_12 Depth=1
	v_ffbh_u32_e32 v46, v9
	v_min_u32_e32 v46, 32, v46
	v_subrev_nc_u32_e32 v48, 28, v46
	v_sub_nc_u32_e32 v46, 29, v46
	v_lshlrev_b64 v[48:49], v48, v[9:10]
	v_and_b32_e32 v9, 7, v48
; %bb.86:                               ;   in Loop: Header=BB322_12 Depth=1
	s_or_b32 exec_lo, exec_lo, s44
	v_lshlrev_b32_e32 v48, 24, v50
	v_lshlrev_b32_e32 v9, 20, v9
	v_lshl_add_u32 v46, v46, 23, 0x3c000000
	v_and_b32_e32 v48, 0x80000000, v48
	v_or3_b32 v46, v9, v48, v46
.LBB322_87:                             ;   in Loop: Header=BB322_12 Depth=1
	s_or_b32 exec_lo, exec_lo, s43
.LBB322_88:                             ;   in Loop: Header=BB322_12 Depth=1
	s_or_b32 exec_lo, exec_lo, s42
.LBB322_89:                             ;   in Loop: Header=BB322_12 Depth=1
	s_or_b32 exec_lo, exec_lo, s41
	v_cmp_ne_u16_sdwa s2, v50, v10 src0_sel:BYTE_1 src1_sel:DWORD
	s_and_saveexec_b32 s41, s2
	s_cbranch_execz .LBB322_97
; %bb.90:                               ;   in Loop: Header=BB322_12 Depth=1
	v_cmp_ne_u16_sdwa s2, v50, v29 src0_sel:BYTE_1 src1_sel:DWORD
	v_bfrev_b32_e32 v47, 1
	s_and_saveexec_b32 s42, s2
	s_cbranch_execz .LBB322_96
; %bb.91:                               ;   in Loop: Header=BB322_12 Depth=1
	v_and_b32_sdwa v9, v30, v50 dst_sel:DWORD dst_unused:UNUSED_PAD src0_sel:DWORD src1_sel:BYTE_1
	v_mov_b32_e32 v47, 0x7f800001
	s_mov_b32 s43, exec_lo
	v_and_b32_e32 v48, 0x7f, v9
	v_cmpx_ne_u32_e32 0x7f, v48
	s_cbranch_execz .LBB322_95
; %bb.92:                               ;   in Loop: Header=BB322_12 Depth=1
	v_and_b32_e32 v9, 7, v9
	v_lshrrev_b32_e32 v47, 3, v48
	s_mov_b32 s44, exec_lo
	v_cmpx_gt_u32_e32 8, v48
; %bb.93:                               ;   in Loop: Header=BB322_12 Depth=1
	v_ffbh_u32_e32 v47, v9
	v_min_u32_e32 v47, 32, v47
	v_subrev_nc_u32_e32 v48, 28, v47
	v_sub_nc_u32_e32 v47, 29, v47
	v_lshlrev_b64 v[48:49], v48, v[9:10]
	v_and_b32_e32 v9, 7, v48
; %bb.94:                               ;   in Loop: Header=BB322_12 Depth=1
	s_or_b32 exec_lo, exec_lo, s44
	v_lshlrev_b32_e32 v48, 16, v50
	v_lshlrev_b32_e32 v9, 20, v9
	v_lshl_add_u32 v47, v47, 23, 0x3c000000
	v_and_b32_e32 v48, 0x80000000, v48
	v_or3_b32 v47, v9, v48, v47
.LBB322_95:                             ;   in Loop: Header=BB322_12 Depth=1
	s_or_b32 exec_lo, exec_lo, s43
.LBB322_96:                             ;   in Loop: Header=BB322_12 Depth=1
	s_or_b32 exec_lo, exec_lo, s42
.LBB322_97:                             ;   in Loop: Header=BB322_12 Depth=1
	s_or_b32 exec_lo, exec_lo, s41
	v_and_b32_sdwa v9, v50, v31 dst_sel:DWORD dst_unused:UNUSED_PAD src0_sel:WORD_1 src1_sel:DWORD
	v_mov_b32_e32 v48, 0
	v_mov_b32_e32 v49, 0
	s_mov_b32 s41, exec_lo
	v_cmpx_ne_u16_e32 0, v9
	s_cbranch_execz .LBB322_105
; %bb.98:                               ;   in Loop: Header=BB322_12 Depth=1
	v_bfrev_b32_e32 v49, 1
	s_mov_b32 s42, exec_lo
	v_cmpx_ne_u16_e32 0x80, v9
	s_cbranch_execz .LBB322_104
; %bb.99:                               ;   in Loop: Header=BB322_12 Depth=1
	v_bfe_u32 v51, v50, 16, 7
	v_mov_b32_e32 v49, 0x7f800001
	s_mov_b32 s43, exec_lo
	v_cmpx_ne_u32_e32 0x7f, v51
	s_cbranch_execz .LBB322_103
; %bb.100:                              ;   in Loop: Header=BB322_12 Depth=1
	v_and_b32_sdwa v9, v50, v32 dst_sel:DWORD dst_unused:UNUSED_PAD src0_sel:WORD_1 src1_sel:DWORD
	v_lshrrev_b32_e32 v49, 3, v51
	s_mov_b32 s44, exec_lo
	v_cmpx_gt_u32_e32 8, v51
; %bb.101:                              ;   in Loop: Header=BB322_12 Depth=1
	v_ffbh_u32_e32 v49, v9
	v_min_u32_e32 v49, 32, v49
	v_subrev_nc_u32_e32 v51, 28, v49
	v_sub_nc_u32_e32 v49, 29, v49
	v_lshlrev_b64 v[51:52], v51, v[9:10]
	v_and_b32_e32 v9, 7, v51
; %bb.102:                              ;   in Loop: Header=BB322_12 Depth=1
	s_or_b32 exec_lo, exec_lo, s44
	v_lshlrev_b32_sdwa v51, v33, v50 dst_sel:DWORD dst_unused:UNUSED_PAD src0_sel:DWORD src1_sel:WORD_1
	v_lshlrev_b32_e32 v9, 20, v9
	v_lshl_add_u32 v49, v49, 23, 0x3c000000
	v_and_b32_e32 v51, 0x80000000, v51
	v_or3_b32 v49, v9, v51, v49
.LBB322_103:                            ;   in Loop: Header=BB322_12 Depth=1
	s_or_b32 exec_lo, exec_lo, s43
.LBB322_104:                            ;   in Loop: Header=BB322_12 Depth=1
	s_or_b32 exec_lo, exec_lo, s42
.LBB322_105:                            ;   in Loop: Header=BB322_12 Depth=1
	s_or_b32 exec_lo, exec_lo, s41
	s_mov_b32 s41, exec_lo
	v_cmpx_lt_u32_e32 0xffffff, v50
	s_cbranch_execz .LBB322_113
; %bb.106:                              ;   in Loop: Header=BB322_12 Depth=1
	v_cmp_ne_u32_sdwa s2, v50, v29 src0_sel:BYTE_3 src1_sel:DWORD
	v_bfrev_b32_e32 v48, 1
	s_and_saveexec_b32 s42, s2
	s_cbranch_execz .LBB322_112
; %bb.107:                              ;   in Loop: Header=BB322_12 Depth=1
	v_bfe_u32 v51, v50, 24, 7
	v_mov_b32_e32 v48, 0x7f800001
	s_mov_b32 s43, exec_lo
	v_cmpx_ne_u32_e32 0x7f, v51
	s_cbranch_execz .LBB322_111
; %bb.108:                              ;   in Loop: Header=BB322_12 Depth=1
	v_and_b32_sdwa v9, v50, v32 dst_sel:DWORD dst_unused:UNUSED_PAD src0_sel:BYTE_3 src1_sel:DWORD
	v_lshrrev_b32_e32 v48, 3, v51
	s_mov_b32 s44, exec_lo
	v_cmpx_gt_u32_e32 8, v51
; %bb.109:                              ;   in Loop: Header=BB322_12 Depth=1
	v_ffbh_u32_e32 v48, v9
	v_min_u32_e32 v48, 32, v48
	v_subrev_nc_u32_e32 v51, 28, v48
	v_sub_nc_u32_e32 v48, 29, v48
	v_lshlrev_b64 v[51:52], v51, v[9:10]
	v_and_b32_e32 v9, 7, v51
; %bb.110:                              ;   in Loop: Header=BB322_12 Depth=1
	s_or_b32 exec_lo, exec_lo, s44
	v_lshlrev_b32_sdwa v50, v33, v50 dst_sel:DWORD dst_unused:UNUSED_PAD src0_sel:DWORD src1_sel:BYTE_3
	v_lshlrev_b32_e32 v9, 20, v9
	v_lshl_add_u32 v48, v48, 23, 0x3c000000
	v_and_b32_e32 v50, 0x80000000, v50
	v_or3_b32 v48, v9, v50, v48
.LBB322_111:                            ;   in Loop: Header=BB322_12 Depth=1
	s_or_b32 exec_lo, exec_lo, s43
.LBB322_112:                            ;   in Loop: Header=BB322_12 Depth=1
	s_or_b32 exec_lo, exec_lo, s42
.LBB322_113:                            ;   in Loop: Header=BB322_12 Depth=1
	s_or_b32 exec_lo, exec_lo, s41
	global_load_dword v15, v[15:16], off offset:264
	v_mov_b32_e32 v51, 0
	v_mov_b32_e32 v50, 0
	s_waitcnt vmcnt(0)
	v_cmp_ne_u16_sdwa s2, v15, v10 src0_sel:BYTE_0 src1_sel:DWORD
	s_and_saveexec_b32 s41, s2
	s_cbranch_execz .LBB322_121
; %bb.114:                              ;   in Loop: Header=BB322_12 Depth=1
	v_cmp_ne_u16_sdwa s2, v15, v29 src0_sel:BYTE_0 src1_sel:DWORD
	v_bfrev_b32_e32 v50, 1
	s_and_saveexec_b32 s42, s2
	s_cbranch_execz .LBB322_120
; %bb.115:                              ;   in Loop: Header=BB322_12 Depth=1
	v_and_b32_e32 v52, 0x7f, v15
	v_mov_b32_e32 v50, 0x7f800001
	s_mov_b32 s43, exec_lo
	v_cmpx_ne_u32_e32 0x7f, v52
	s_cbranch_execz .LBB322_119
; %bb.116:                              ;   in Loop: Header=BB322_12 Depth=1
	v_and_b32_e32 v9, 7, v15
	v_lshrrev_b32_e32 v16, 3, v52
	s_mov_b32 s44, exec_lo
	v_cmpx_gt_u32_e32 8, v52
; %bb.117:                              ;   in Loop: Header=BB322_12 Depth=1
	v_ffbh_u32_e32 v16, v9
	v_min_u32_e32 v16, 32, v16
	v_subrev_nc_u32_e32 v50, 28, v16
	v_sub_nc_u32_e32 v16, 29, v16
	v_lshlrev_b64 v[52:53], v50, v[9:10]
	v_and_b32_e32 v9, 7, v52
; %bb.118:                              ;   in Loop: Header=BB322_12 Depth=1
	s_or_b32 exec_lo, exec_lo, s44
	v_lshlrev_b32_e32 v50, 24, v15
	v_lshlrev_b32_e32 v9, 20, v9
	v_lshl_add_u32 v16, v16, 23, 0x3c000000
	v_and_b32_e32 v50, 0x80000000, v50
	v_or3_b32 v50, v9, v50, v16
.LBB322_119:                            ;   in Loop: Header=BB322_12 Depth=1
	s_or_b32 exec_lo, exec_lo, s43
.LBB322_120:                            ;   in Loop: Header=BB322_12 Depth=1
	s_or_b32 exec_lo, exec_lo, s42
.LBB322_121:                            ;   in Loop: Header=BB322_12 Depth=1
	s_or_b32 exec_lo, exec_lo, s41
	v_cmp_ne_u16_sdwa s2, v15, v10 src0_sel:BYTE_1 src1_sel:DWORD
	s_and_saveexec_b32 s41, s2
	s_cbranch_execz .LBB322_129
; %bb.122:                              ;   in Loop: Header=BB322_12 Depth=1
	v_cmp_ne_u16_sdwa s2, v15, v29 src0_sel:BYTE_1 src1_sel:DWORD
	v_bfrev_b32_e32 v51, 1
	s_and_saveexec_b32 s42, s2
	s_cbranch_execz .LBB322_128
; %bb.123:                              ;   in Loop: Header=BB322_12 Depth=1
	v_and_b32_sdwa v9, v30, v15 dst_sel:DWORD dst_unused:UNUSED_PAD src0_sel:DWORD src1_sel:BYTE_1
	v_mov_b32_e32 v51, 0x7f800001
	s_mov_b32 s43, exec_lo
	v_and_b32_e32 v52, 0x7f, v9
	v_cmpx_ne_u32_e32 0x7f, v52
	s_cbranch_execz .LBB322_127
; %bb.124:                              ;   in Loop: Header=BB322_12 Depth=1
	v_and_b32_e32 v9, 7, v9
	v_lshrrev_b32_e32 v16, 3, v52
	s_mov_b32 s44, exec_lo
	v_cmpx_gt_u32_e32 8, v52
; %bb.125:                              ;   in Loop: Header=BB322_12 Depth=1
	v_ffbh_u32_e32 v16, v9
	v_min_u32_e32 v16, 32, v16
	v_subrev_nc_u32_e32 v51, 28, v16
	v_sub_nc_u32_e32 v16, 29, v16
	v_lshlrev_b64 v[51:52], v51, v[9:10]
	v_and_b32_e32 v9, 7, v51
; %bb.126:                              ;   in Loop: Header=BB322_12 Depth=1
	s_or_b32 exec_lo, exec_lo, s44
	v_lshlrev_b32_e32 v51, 16, v15
	v_lshlrev_b32_e32 v9, 20, v9
	v_lshl_add_u32 v16, v16, 23, 0x3c000000
	v_and_b32_e32 v51, 0x80000000, v51
	v_or3_b32 v51, v9, v51, v16
.LBB322_127:                            ;   in Loop: Header=BB322_12 Depth=1
	s_or_b32 exec_lo, exec_lo, s43
.LBB322_128:                            ;   in Loop: Header=BB322_12 Depth=1
	s_or_b32 exec_lo, exec_lo, s42
.LBB322_129:                            ;   in Loop: Header=BB322_12 Depth=1
	s_or_b32 exec_lo, exec_lo, s41
	v_and_b32_sdwa v9, v15, v31 dst_sel:DWORD dst_unused:UNUSED_PAD src0_sel:WORD_1 src1_sel:DWORD
	v_mov_b32_e32 v16, 0
	v_mov_b32_e32 v52, 0
	s_mov_b32 s41, exec_lo
	v_cmpx_ne_u16_e32 0, v9
	s_cbranch_execz .LBB322_137
; %bb.130:                              ;   in Loop: Header=BB322_12 Depth=1
	v_bfrev_b32_e32 v52, 1
	s_mov_b32 s42, exec_lo
	v_cmpx_ne_u16_e32 0x80, v9
	s_cbranch_execz .LBB322_136
; %bb.131:                              ;   in Loop: Header=BB322_12 Depth=1
	v_bfe_u32 v53, v15, 16, 7
	v_mov_b32_e32 v52, 0x7f800001
	s_mov_b32 s43, exec_lo
	v_cmpx_ne_u32_e32 0x7f, v53
	s_cbranch_execz .LBB322_135
; %bb.132:                              ;   in Loop: Header=BB322_12 Depth=1
	v_and_b32_sdwa v9, v15, v32 dst_sel:DWORD dst_unused:UNUSED_PAD src0_sel:WORD_1 src1_sel:DWORD
	v_lshrrev_b32_e32 v52, 3, v53
	s_mov_b32 s44, exec_lo
	v_cmpx_gt_u32_e32 8, v53
; %bb.133:                              ;   in Loop: Header=BB322_12 Depth=1
	v_ffbh_u32_e32 v52, v9
	v_min_u32_e32 v52, 32, v52
	v_subrev_nc_u32_e32 v53, 28, v52
	v_sub_nc_u32_e32 v52, 29, v52
	v_lshlrev_b64 v[53:54], v53, v[9:10]
	v_and_b32_e32 v9, 7, v53
; %bb.134:                              ;   in Loop: Header=BB322_12 Depth=1
	s_or_b32 exec_lo, exec_lo, s44
	v_lshlrev_b32_sdwa v53, v33, v15 dst_sel:DWORD dst_unused:UNUSED_PAD src0_sel:DWORD src1_sel:WORD_1
	v_lshlrev_b32_e32 v9, 20, v9
	v_lshl_add_u32 v52, v52, 23, 0x3c000000
	v_and_b32_e32 v53, 0x80000000, v53
	v_or3_b32 v52, v9, v53, v52
.LBB322_135:                            ;   in Loop: Header=BB322_12 Depth=1
	s_or_b32 exec_lo, exec_lo, s43
.LBB322_136:                            ;   in Loop: Header=BB322_12 Depth=1
	s_or_b32 exec_lo, exec_lo, s42
.LBB322_137:                            ;   in Loop: Header=BB322_12 Depth=1
	s_or_b32 exec_lo, exec_lo, s41
	s_mov_b32 s41, exec_lo
	v_cmpx_lt_u32_e32 0xffffff, v15
	s_cbranch_execz .LBB322_145
; %bb.138:                              ;   in Loop: Header=BB322_12 Depth=1
	v_cmp_ne_u32_sdwa s2, v15, v29 src0_sel:BYTE_3 src1_sel:DWORD
	v_bfrev_b32_e32 v16, 1
	s_and_saveexec_b32 s42, s2
	s_cbranch_execz .LBB322_144
; %bb.139:                              ;   in Loop: Header=BB322_12 Depth=1
	v_bfe_u32 v53, v15, 24, 7
	v_mov_b32_e32 v16, 0x7f800001
	s_mov_b32 s43, exec_lo
	v_cmpx_ne_u32_e32 0x7f, v53
	s_cbranch_execz .LBB322_143
; %bb.140:                              ;   in Loop: Header=BB322_12 Depth=1
	v_and_b32_sdwa v9, v15, v32 dst_sel:DWORD dst_unused:UNUSED_PAD src0_sel:BYTE_3 src1_sel:DWORD
	v_lshrrev_b32_e32 v16, 3, v53
	s_mov_b32 s44, exec_lo
	v_cmpx_gt_u32_e32 8, v53
; %bb.141:                              ;   in Loop: Header=BB322_12 Depth=1
	v_ffbh_u32_e32 v16, v9
	v_min_u32_e32 v16, 32, v16
	v_subrev_nc_u32_e32 v53, 28, v16
	v_sub_nc_u32_e32 v16, 29, v16
	v_lshlrev_b64 v[53:54], v53, v[9:10]
	v_and_b32_e32 v9, 7, v53
; %bb.142:                              ;   in Loop: Header=BB322_12 Depth=1
	s_or_b32 exec_lo, exec_lo, s44
	v_lshlrev_b32_sdwa v15, v33, v15 dst_sel:DWORD dst_unused:UNUSED_PAD src0_sel:DWORD src1_sel:BYTE_3
	v_lshlrev_b32_e32 v9, 20, v9
	v_lshl_add_u32 v16, v16, 23, 0x3c000000
	v_and_b32_e32 v15, 0x80000000, v15
	v_or3_b32 v16, v9, v15, v16
.LBB322_143:                            ;   in Loop: Header=BB322_12 Depth=1
	s_or_b32 exec_lo, exec_lo, s43
.LBB322_144:                            ;   in Loop: Header=BB322_12 Depth=1
	s_or_b32 exec_lo, exec_lo, s42
.LBB322_145:                            ;   in Loop: Header=BB322_12 Depth=1
	s_or_b32 exec_lo, exec_lo, s41
	s_waitcnt lgkmcnt(0)
	v_mul_f32_e32 v9, s40, v51
	v_mul_f32_e32 v15, s40, v50
	;; [unrolled: 1-line block ×5, first 2 shown]
	v_bfe_u32 v50, v9, 16, 1
	v_bfe_u32 v51, v15, 16, 1
	v_or_b32_e32 v53, 0x400000, v9
	v_cmp_u_f32_e64 s2, v9, v9
	v_or_b32_e32 v54, 0x400000, v15
	v_add3_u32 v50, v50, v9, 0x7fff
	v_bfe_u32 v55, v49, 16, 1
	v_add3_u32 v51, v51, v15, 0x7fff
	v_bfe_u32 v56, v48, 16, 1
	v_mul_f32_e32 v46, s40, v46
	v_cndmask_b32_e64 v9, v50, v53, s2
	v_cmp_u_f32_e64 s2, v15, v15
	v_add3_u32 v50, v55, v49, 0x7fff
	v_add3_u32 v53, v56, v48, 0x7fff
	v_bfe_u32 v55, v47, 16, 1
	v_mul_f32_e32 v45, s40, v45
	v_cndmask_b32_e64 v15, v51, v54, s2
	v_or_b32_e32 v51, 0x400000, v49
	v_cmp_u_f32_e64 s2, v49, v49
	v_or_b32_e32 v54, 0x400000, v48
	v_mul_f32_e32 v44, s40, v44
	v_mul_f32_e32 v43, s40, v43
	;; [unrolled: 1-line block ×3, first 2 shown]
	v_cndmask_b32_e64 v49, v50, v51, s2
	v_cmp_u_f32_e64 s2, v48, v48
	v_bfe_u32 v50, v46, 16, 1
	v_add3_u32 v51, v55, v47, 0x7fff
	v_bfe_u32 v55, v45, 16, 1
	v_mul_f32_e32 v41, s40, v41
	v_cndmask_b32_e64 v48, v53, v54, s2
	v_or_b32_e32 v53, 0x400000, v47
	v_cmp_u_f32_e64 s2, v47, v47
	v_add3_u32 v50, v50, v46, 0x7fff
	v_or_b32_e32 v54, 0x400000, v46
	v_mul_f32_e32 v40, s40, v40
	v_mul_f32_e32 v39, s40, v39
	v_cndmask_b32_e64 v47, v51, v53, s2
	v_cmp_u_f32_e64 s2, v46, v46
	v_bfe_u32 v51, v44, 16, 1
	v_or_b32_e32 v53, 0x400000, v45
	v_mul_f32_e32 v38, s40, v38
	v_mul_f32_e32 v52, s40, v52
	v_cndmask_b32_e64 v46, v50, v54, s2
	v_add3_u32 v50, v55, v45, 0x7fff
	v_cmp_u_f32_e64 s2, v45, v45
	v_add3_u32 v51, v51, v44, 0x7fff
	v_or_b32_e32 v54, 0x400000, v44
	v_bfe_u32 v55, v43, 16, 1
	v_or_b32_e32 v56, 0x400000, v38
	v_cndmask_b32_e64 v45, v50, v53, s2
	v_cmp_u_f32_e64 s2, v44, v44
	v_bfe_u32 v50, v42, 16, 1
	v_or_b32_e32 v53, 0x400000, v43
	v_mul_f32_e32 v16, s40, v16
	v_and_b32_e32 v45, 0xffff0000, v45
	v_cndmask_b32_e64 v44, v51, v54, s2
	v_add3_u32 v51, v55, v43, 0x7fff
	v_cmp_u_f32_e64 s2, v43, v43
	v_add3_u32 v50, v50, v42, 0x7fff
	v_or_b32_e32 v54, 0x400000, v42
	v_or_b32_e32 v55, 0x400000, v39
	v_and_b32_e32 v44, 0xffff0000, v44
	v_cndmask_b32_e64 v43, v51, v53, s2
	v_bfe_u32 v51, v41, 16, 1
	v_cmp_u_f32_e64 s2, v42, v42
	v_bfe_u32 v53, v40, 16, 1
	v_bfe_u32 v58, v16, 16, 1
	v_and_b32_e32 v43, 0xffff0000, v43
	v_or_b32_e32 v61, 0x400000, v52
	v_cndmask_b32_e64 v42, v50, v54, s2
	v_add3_u32 v50, v51, v41, 0x7fff
	v_or_b32_e32 v51, 0x400000, v41
	v_cmp_u_f32_e64 s2, v41, v41
	v_bfe_u32 v54, v39, 16, 1
	v_and_b32_e32 v42, 0xffff0000, v42
	v_lshlrev_b32_e32 v57, 16, v2
	v_lshlrev_b32_e32 v59, 16, v3
	v_cndmask_b32_e64 v41, v50, v51, s2
	v_add3_u32 v51, v53, v40, 0x7fff
	v_or_b32_e32 v53, 0x400000, v40
	v_cmp_u_f32_e64 s2, v40, v40
	v_bfe_u32 v50, v38, 16, 1
	v_add3_u32 v54, v54, v39, 0x7fff
	v_and_b32_e32 v41, 0xffff0000, v41
	v_add3_u32 v58, v58, v16, 0x7fff
	v_cndmask_b32_e64 v40, v51, v53, s2
	v_cmp_u_f32_e64 s2, v39, v39
	v_add3_u32 v50, v50, v38, 0x7fff
	v_lshlrev_b32_e32 v53, 16, v7
	v_and_b32_e32 v7, 0xffff0000, v7
	v_lshlrev_b32_e32 v51, 16, v6
	v_cndmask_b32_e64 v39, v54, v55, s2
	v_cmp_u_f32_e64 s2, v38, v38
	v_lshlrev_b32_e32 v54, 16, v8
	v_and_b32_e32 v8, 0xffff0000, v8
	v_mul_f32_e32 v42, v53, v42
	v_and_b32_e32 v39, 0xffff0000, v39
	v_cndmask_b32_e64 v38, v50, v56, s2
	v_lshlrev_b32_e32 v50, 16, v5
	v_bfe_u32 v56, v52, 16, 1
	v_and_b32_e32 v5, 0xffff0000, v5
	v_mul_f32_e32 v7, v7, v43
	v_and_b32_e32 v38, 0xffff0000, v38
	v_lshlrev_b32_e32 v55, 16, v1
	v_add3_u32 v56, v56, v52, 0x7fff
	v_cmp_u_f32_e64 s2, v52, v52
	v_and_b32_e32 v6, 0xffff0000, v6
	v_and_b32_e32 v1, 0xffff0000, v1
	;; [unrolled: 1-line block ×3, first 2 shown]
	v_mul_f32_e32 v43, v54, v45
	v_fmac_f32_e32 v42, v50, v38
	v_mul_f32_e32 v8, v8, v44
	v_and_b32_e32 v38, 0xffff0000, v46
	v_fmac_f32_e32 v7, v5, v39
	v_and_b32_e32 v5, 0xffff0000, v47
	v_or_b32_e32 v62, 0x400000, v16
	v_cndmask_b32_e64 v52, v56, v61, s2
	v_cmp_u_f32_e64 s2, v16, v16
	v_and_b32_e32 v3, 0xffff0000, v3
	v_fmac_f32_e32 v43, v51, v41
	v_fmac_f32_e32 v8, v6, v40
	;; [unrolled: 1-line block ×3, first 2 shown]
	v_and_b32_e32 v6, 0xffff0000, v49
	v_and_b32_e32 v15, 0xffff0000, v15
	v_fmac_f32_e32 v7, v1, v5
	v_and_b32_e32 v1, 0xffff0000, v9
	v_lshlrev_b32_e32 v60, 16, v4
	v_xor_b32_e32 v63, 1, v19
	v_cndmask_b32_e64 v16, v58, v62, s2
	v_and_b32_e32 v2, 0xffff0000, v2
	v_and_b32_e32 v5, 0xffff0000, v48
	v_fmac_f32_e32 v43, v57, v6
	v_fmac_f32_e32 v42, v59, v15
	v_and_b32_e32 v6, 0xffff0000, v52
	v_fmac_f32_e32 v7, v3, v1
	v_and_b32_e32 v1, 0xffff0000, v4
	;; [unrolled: 2-line block ×3, first 2 shown]
	v_fmac_f32_e32 v43, v60, v6
	v_add_f32_e32 v3, v42, v7
	v_cmp_gt_i32_e64 s2, 32, v63
	v_fmac_f32_e32 v8, v1, v2
	v_add_f32_e32 v1, v3, v43
	v_cndmask_b32_e64 v4, v19, v63, s2
	v_add_f32_e32 v1, v1, v8
	v_lshlrev_b32_e32 v2, 2, v4
	ds_bpermute_b32 v2, v2, v1
	s_and_saveexec_b32 s40, vcc_lo
	s_cbranch_execz .LBB322_10
; %bb.146:                              ;   in Loop: Header=BB322_12 Depth=1
	v_add_nc_u32_e32 v3, v34, v27
	s_waitcnt lgkmcnt(0)
	v_add_f32_e32 v1, v1, v2
	v_cvt_f32_i32_e32 v3, v3
	v_mul_f32_e32 v3, s36, v3
	v_cndmask_b32_e64 v2, 0, v3, s1
	v_max_f32_e32 v3, v26, v26
	v_fmac_f32_e32 v2, s35, v1
	v_add_nc_u32_e32 v1, v20, v27
	v_max_f32_e32 v3, v3, v2
	v_cmp_gt_i32_e64 s2, s33, v1
	v_cndmask_b32_e64 v1, 0, v2, s2
	v_cndmask_b32_e64 v26, v26, v3, s2
	ds_write_b32 v35, v1
	s_branch .LBB322_10
.LBB322_147:
	s_or_b32 exec_lo, exec_lo, s38
.LBB322_148:
	s_or_b32 exec_lo, exec_lo, s37
	v_xor_b32_e32 v1, 16, v19
	v_xor_b32_e32 v3, 8, v19
	v_max_f32_e32 v5, v26, v26
	v_xor_b32_e32 v6, 2, v19
	v_and_b32_e32 v25, 31, v0
	v_cmp_gt_i32_e32 vcc_lo, 32, v1
	v_cndmask_b32_e32 v1, v19, v1, vcc_lo
	v_cmp_gt_i32_e32 vcc_lo, 32, v3
	s_waitcnt lgkmcnt(0)
	v_lshlrev_b32_e32 v2, 2, v1
	v_cndmask_b32_e32 v3, v19, v3, vcc_lo
	ds_bpermute_b32 v1, v2, v26
	v_lshlrev_b32_e32 v4, 2, v3
	s_waitcnt lgkmcnt(0)
	v_max_f32_e32 v1, v1, v1
	v_max_f32_e32 v1, v5, v1
	v_xor_b32_e32 v5, 4, v19
	ds_bpermute_b32 v3, v4, v1
	v_cmp_gt_i32_e32 vcc_lo, 32, v5
	v_cndmask_b32_e32 v5, v19, v5, vcc_lo
	v_cmp_gt_i32_e32 vcc_lo, 32, v6
	v_lshlrev_b32_e32 v5, 2, v5
	v_cndmask_b32_e32 v6, v19, v6, vcc_lo
	v_cmp_eq_u32_e32 vcc_lo, 0, v25
	s_waitcnt lgkmcnt(0)
	v_max_f32_e32 v3, v3, v3
	v_max_f32_e32 v1, v1, v3
	ds_bpermute_b32 v3, v5, v1
	s_waitcnt lgkmcnt(0)
	v_max_f32_e32 v3, v3, v3
	v_max_f32_e32 v3, v1, v3
	v_lshlrev_b32_e32 v1, 2, v6
	v_lshlrev_b32_e32 v6, 2, v23
	ds_bpermute_b32 v7, v1, v3
	s_and_saveexec_b32 s1, vcc_lo
	s_cbranch_execz .LBB322_150
; %bb.149:
	s_waitcnt lgkmcnt(0)
	v_max_f32_e32 v7, v7, v7
	v_max_f32_e32 v3, v3, v3
	;; [unrolled: 1-line block ×3, first 2 shown]
	ds_write_b32 v6, v3 offset:64
.LBB322_150:
	s_or_b32 exec_lo, exec_lo, s1
	v_cmp_gt_u32_e64 s1, 4, v25
	v_mov_b32_e32 v3, 0xff7fffff
	s_waitcnt lgkmcnt(0)
	v_lshlrev_b32_e32 v7, 2, v25
	s_barrier
	buffer_gl0_inv
	s_and_saveexec_b32 s2, s1
; %bb.151:
	ds_read_b32 v3, v7 offset:64
; %bb.152:
	s_or_b32 exec_lo, exec_lo, s2
	s_waitcnt lgkmcnt(0)
	ds_bpermute_b32 v8, v1, v3
	v_xor_b32_e32 v9, 1, v19
	v_max_f32_e32 v3, v3, v3
	v_cmp_gt_i32_e64 s2, 32, v9
	v_cndmask_b32_e64 v9, v19, v9, s2
	s_lshl_b32 s2, s20, 4
	s_min_i32 s4, s2, s33
	v_lshlrev_b32_e32 v26, 2, v9
	v_cmp_gt_i32_e64 s2, s4, v0
	s_waitcnt lgkmcnt(0)
	v_max_f32_e32 v8, v8, v8
	v_max_f32_e32 v3, v3, v8
	ds_bpermute_b32 v8, v26, v3
	s_waitcnt lgkmcnt(0)
	v_max_f32_e32 v8, v8, v8
	v_max_f32_e32 v3, v3, v8
	v_mov_b32_e32 v8, 0
	ds_bpermute_b32 v9, v8, v3
	v_lshl_add_u32 v3, v0, 2, 0x60
	s_and_saveexec_b32 s5, s2
	s_cbranch_execz .LBB322_156
; %bb.153:
	v_lshl_add_u32 v10, v0, 2, 0x60
	v_mov_b32_e32 v8, 0
	v_mov_b32_e32 v11, v0
	s_mov_b32 s12, 0
	.p2align	6
.LBB322_154:                            ; =>This Inner Loop Header: Depth=1
	ds_read_b32 v12, v10
	v_add_nc_u32_e32 v11, 0x80, v11
	v_cmp_le_i32_e64 s3, s4, v11
	s_or_b32 s12, s3, s12
	s_waitcnt lgkmcnt(0)
	v_sub_f32_e32 v12, v12, v9
	v_mul_f32_e32 v12, 0x3fb8aa3b, v12
	v_exp_f32_e32 v12, v12
	ds_write_b32 v10, v12
	v_add_f32_e32 v8, v8, v12
	v_add_nc_u32_e32 v10, 0x200, v10
	s_andn2_b32 exec_lo, exec_lo, s12
	s_cbranch_execnz .LBB322_154
; %bb.155:
	s_or_b32 exec_lo, exec_lo, s12
.LBB322_156:
	s_or_b32 exec_lo, exec_lo, s5
	ds_bpermute_b32 v2, v2, v8
	s_waitcnt lgkmcnt(0)
	v_add_f32_e32 v2, v8, v2
	ds_bpermute_b32 v4, v4, v2
	s_waitcnt lgkmcnt(0)
	v_add_f32_e32 v2, v2, v4
	;; [unrolled: 3-line block ×5, first 2 shown]
	s_and_saveexec_b32 s3, vcc_lo
; %bb.157:
	ds_write_b32 v6, v2 offset:80
; %bb.158:
	s_or_b32 exec_lo, exec_lo, s3
	s_waitcnt lgkmcnt(0)
	s_barrier
	buffer_gl0_inv
	s_and_saveexec_b32 s3, s1
; %bb.159:
	ds_read_b32 v2, v7 offset:80
; %bb.160:
	s_or_b32 exec_lo, exec_lo, s3
	s_waitcnt lgkmcnt(0)
	ds_bpermute_b32 v1, v1, v2
	s_waitcnt lgkmcnt(0)
	v_add_f32_e32 v1, v2, v1
	ds_bpermute_b32 v2, v26, v1
	s_waitcnt lgkmcnt(0)
	v_add_f32_e32 v1, v1, v2
	v_mov_b32_e32 v2, 0
	ds_bpermute_b32 v1, v2, v1
	s_and_saveexec_b32 s1, s2
	s_cbranch_execz .LBB322_163
; %bb.161:
	s_waitcnt lgkmcnt(0)
	v_add_f32_e32 v1, 0x358637bd, v1
	s_mov_b32 s2, 0
	v_div_scale_f32 v2, null, v1, v1, 1.0
	v_div_scale_f32 v6, vcc_lo, 1.0, v1, 1.0
	v_rcp_f32_e32 v4, v2
	v_fma_f32 v5, -v2, v4, 1.0
	v_fmac_f32_e32 v4, v5, v4
	v_mul_f32_e32 v5, v6, v4
	v_fma_f32 v7, -v2, v5, v6
	v_fmac_f32_e32 v5, v7, v4
	v_fma_f32 v2, -v2, v5, v6
	v_div_fmas_f32 v2, v2, v4, v5
	v_div_fixup_f32 v1, v2, v1, 1.0
	v_mov_b32_e32 v2, v0
.LBB322_162:                            ; =>This Inner Loop Header: Depth=1
	ds_read_b32 v4, v3
	v_add_nc_u32_e32 v2, 0x80, v2
	v_cmp_le_i32_e32 vcc_lo, s4, v2
	s_or_b32 s2, vcc_lo, s2
	s_waitcnt lgkmcnt(0)
	v_mul_f32_e32 v4, v1, v4
	ds_write_b32 v3, v4
	v_add_nc_u32_e32 v3, 0x200, v3
	s_andn2_b32 exec_lo, exec_lo, s2
	s_cbranch_execnz .LBB322_162
.LBB322_163:
	s_or_b32 exec_lo, exec_lo, s1
	v_mov_b32_e32 v29, 0
	v_mov_b32_e32 v28, 0
	s_waitcnt lgkmcnt(0)
	s_barrier
	buffer_gl0_inv
	s_and_saveexec_b32 s1, s0
	s_cbranch_execz .LBB322_293
; %bb.164:
	s_sub_i32 s4, s34, s21
	s_ashr_i32 s0, s18, 31
	s_add_u32 s18, s30, s18
	s_addc_u32 s0, s31, s0
	s_abs_i32 s5, s22
	v_and_b32_e32 v2, 0xf8, v17
	v_cvt_f32_u32_e32 v1, s5
	s_sub_i32 s2, 0, s5
	v_lshlrev_b32_e32 v4, 5, v22
	s_mov_b32 s12, s17
	v_add_co_u32 v11, s17, s18, v2
	v_rcp_iflag_f32_e32 v1, v1
	v_and_b32_e32 v3, 0x7c, v18
	s_add_i32 s13, s20, -1
	v_lshl_or_b32 v4, v23, 6, v4
	v_add_co_ci_u32_e64 v12, null, s0, 0, s17
	v_and_b32_e32 v27, 8, v17
	v_mov_b32_e32 v10, 0
	v_mov_b32_e32 v30, 0x80
	;; [unrolled: 1-line block ×3, first 2 shown]
	v_mul_f32_e32 v1, 0x4f7ffffe, v1
	v_mov_b32_e32 v32, 0xff
	v_mov_b32_e32 v33, 7
	;; [unrolled: 1-line block ×4, first 2 shown]
	v_cvt_u32_f32_e32 v1, v1
	v_mov_b32_e32 v28, 0
	v_add_nc_u32_e32 v36, 0x60, v4
	v_mov_b32_e32 v29, 0
	s_mov_b32 s17, 0
	v_mul_lo_u32 v5, s2, v1
	s_lshl_b64 s[2:3], s[28:29], 2
	s_add_u32 s0, s26, s2
	s_addc_u32 s2, s27, s3
	v_add_co_u32 v13, s0, s0, v3
	v_add_co_ci_u32_e64 v14, null, s2, 0, s0
	v_mul_hi_u32 v2, v1, v5
	s_mov_b32 s2, -1
	s_mov_b32 s3, 0xffffff
	v_add_nc_u32_e32 v37, v1, v2
	s_branch .LBB322_167
.LBB322_165:                            ;   in Loop: Header=BB322_167 Depth=1
	s_or_b32 exec_lo, exec_lo, s0
	v_bfe_u32 v43, v5, 16, 1
	v_or_b32_e32 v45, 0x400000, v5
	v_bfe_u32 v46, v6, 16, 1
	v_cmp_u_f32_e32 vcc_lo, v5, v5
	v_bfe_u32 v47, v7, 16, 1
	v_add3_u32 v43, v43, v5, 0x7fff
	v_or_b32_e32 v48, 0x400000, v6
	v_add3_u32 v46, v46, v6, 0x7fff
	v_or_b32_e32 v49, 0x400000, v7
	v_add3_u32 v47, v47, v7, 0x7fff
	v_cndmask_b32_e32 v5, v43, v45, vcc_lo
	v_cmp_u_f32_e32 vcc_lo, v6, v6
	v_bfe_u32 v43, v8, 16, 1
	v_bfe_u32 v45, v1, 16, 1
	v_lshlrev_b32_e32 v44, 16, v44
	v_and_b32_e32 v5, 0xffff0000, v5
	v_cndmask_b32_e32 v6, v46, v48, vcc_lo
	v_cmp_u_f32_e32 vcc_lo, v7, v7
	v_add3_u32 v43, v43, v8, 0x7fff
	v_or_b32_e32 v46, 0x400000, v8
	v_add3_u32 v45, v45, v1, 0x7fff
	v_bfe_u32 v48, v2, 16, 1
	v_cndmask_b32_e32 v7, v47, v49, vcc_lo
	v_cmp_u_f32_e32 vcc_lo, v8, v8
	v_or_b32_e32 v47, 0x400000, v1
	v_mul_f32_e32 v44, v5, v44
	v_and_b32_e32 v6, 0xffff0000, v6
	v_lshlrev_b32_e32 v42, 16, v42
	v_cndmask_b32_e32 v8, v43, v46, vcc_lo
	v_cmp_u_f32_e32 vcc_lo, v1, v1
	v_add3_u32 v43, v48, v2, 0x7fff
	v_bfe_u32 v46, v3, 16, 1
	v_mul_f32_e32 v42, v6, v42
	v_and_b32_e32 v7, 0xffff0000, v7
	v_cndmask_b32_e32 v1, v45, v47, vcc_lo
	v_or_b32_e32 v45, 0x400000, v2
	v_cmp_u_f32_e32 vcc_lo, v2, v2
	v_lshlrev_b32_e32 v41, 16, v41
	v_and_b32_e32 v8, 0xffff0000, v8
	v_lshlrev_b32_e32 v39, 16, v39
	v_and_b32_e32 v1, 0xffff0000, v1
	v_cndmask_b32_e32 v2, v43, v45, vcc_lo
	v_add3_u32 v43, v46, v3, 0x7fff
	v_or_b32_e32 v45, 0x400000, v3
	v_bfe_u32 v46, v4, 16, 1
	v_cmp_u_f32_e32 vcc_lo, v3, v3
	v_mul_f32_e32 v41, v7, v41
	v_mul_f32_e32 v39, v8, v39
	v_lshlrev_b32_e32 v20, 16, v20
	v_and_b32_e32 v2, 0xffff0000, v2
	v_cndmask_b32_e32 v3, v43, v45, vcc_lo
	v_add3_u32 v43, v46, v4, 0x7fff
	v_or_b32_e32 v45, 0x400000, v4
	v_bfe_u32 v46, v44, 16, 1
	v_cmp_u_f32_e32 vcc_lo, v4, v4
	v_or_b32_e32 v47, 0x400000, v41
	v_bfe_u32 v48, v39, 16, 1
	v_mul_f32_e32 v20, v1, v20
	v_lshlrev_b32_e32 v19, 16, v19
	v_cndmask_b32_e32 v4, v43, v45, vcc_lo
	v_add3_u32 v43, v46, v44, 0x7fff
	v_or_b32_e32 v45, 0x400000, v44
	v_bfe_u32 v46, v42, 16, 1
	v_cmp_u_f32_e32 vcc_lo, v44, v44
	v_mul_f32_e32 v19, v2, v19
	v_and_b32_e32 v3, 0xffff0000, v3
	v_lshlrev_b32_e32 v40, 16, v40
	v_add3_u32 v44, v46, v42, 0x7fff
	v_cndmask_b32_e32 v43, v43, v45, vcc_lo
	v_bfe_u32 v45, v41, 16, 1
	v_or_b32_e32 v46, 0x400000, v42
	v_cmp_u_f32_e32 vcc_lo, v42, v42
	v_mul_f32_e32 v40, v3, v40
	v_and_b32_e32 v4, 0xffff0000, v4
	v_add3_u32 v45, v45, v41, 0x7fff
	v_lshlrev_b32_e32 v38, 16, v38
	v_cndmask_b32_e32 v42, v44, v46, vcc_lo
	v_cmp_u_f32_e32 vcc_lo, v41, v41
	v_add3_u32 v44, v48, v39, 0x7fff
	v_or_b32_e32 v46, 0x400000, v39
	v_mul_f32_e32 v38, v4, v38
	v_and_b32_e32 v42, 0xffff0000, v42
	v_cndmask_b32_e32 v41, v45, v47, vcc_lo
	v_bfe_u32 v45, v20, 16, 1
	v_cmp_u_f32_e32 vcc_lo, v39, v39
	v_or_b32_e32 v47, 0x400000, v20
	v_and_b32_e32 v43, 0xffff0000, v43
	v_and_b32_e32 v41, 0xffff0000, v41
	v_add3_u32 v45, v45, v20, 0x7fff
	v_cndmask_b32_e32 v39, v44, v46, vcc_lo
	v_bfe_u32 v44, v19, 16, 1
	v_cmp_u_f32_e32 vcc_lo, v20, v20
	v_or_b32_e32 v46, 0x400000, v19
	v_add_f32_e32 v42, v43, v42
	v_and_b32_e32 v39, 0xffff0000, v39
	v_add3_u32 v44, v44, v19, 0x7fff
	v_cndmask_b32_e32 v20, v45, v47, vcc_lo
	v_cmp_u_f32_e32 vcc_lo, v19, v19
	v_bfe_u32 v45, v40, 16, 1
	v_or_b32_e32 v47, 0x400000, v40
	v_add_f32_e32 v39, v41, v39
	v_and_b32_e32 v20, 0xffff0000, v20
	v_cndmask_b32_e32 v19, v44, v46, vcc_lo
	v_lshlrev_b32_e32 v46, 16, v54
	v_add3_u32 v45, v45, v40, 0x7fff
	v_cmp_u_f32_e32 vcc_lo, v40, v40
	v_bfe_u32 v44, v38, 16, 1
	v_and_b32_e32 v19, 0xffff0000, v19
	v_mul_f32_e32 v5, v5, v46
	v_lshlrev_b32_e32 v41, 16, v53
	v_cndmask_b32_e32 v40, v45, v47, vcc_lo
	v_add3_u32 v44, v44, v38, 0x7fff
	v_or_b32_e32 v45, 0x400000, v38
	v_cmp_u_f32_e32 vcc_lo, v38, v38
	v_add_f32_e32 v39, v39, v42
	v_bfe_u32 v42, v5, 16, 1
	v_add_f32_e32 v19, v20, v19
	v_mul_f32_e32 v6, v6, v41
	v_lshlrev_b32_e32 v20, 16, v52
	v_cndmask_b32_e32 v38, v44, v45, vcc_lo
	v_add3_u32 v41, v42, v5, 0x7fff
	v_or_b32_e32 v42, 0x400000, v5
	v_bfe_u32 v43, v6, 16, 1
	v_mul_f32_e32 v7, v7, v20
	v_lshlrev_b32_e32 v16, 16, v16
	v_cmp_u_f32_e32 vcc_lo, v5, v5
	v_lshlrev_b32_e32 v15, 16, v15
	v_add3_u32 v20, v43, v6, 0x7fff
	v_lshlrev_b32_e32 v9, 16, v9
	v_mul_f32_e32 v8, v8, v16
	v_cndmask_b32_e32 v5, v41, v42, vcc_lo
	v_or_b32_e32 v41, 0x400000, v6
	v_bfe_u32 v42, v7, 16, 1
	v_cmp_u_f32_e32 vcc_lo, v6, v6
	v_mul_f32_e32 v1, v1, v15
	v_mul_f32_e32 v2, v2, v9
	v_lshlrev_b32_e32 v9, 16, v18
	v_add3_u32 v16, v42, v7, 0x7fff
	v_cndmask_b32_e32 v6, v20, v41, vcc_lo
	v_or_b32_e32 v20, 0x400000, v7
	v_bfe_u32 v41, v8, 16, 1
	v_cmp_u_f32_e32 vcc_lo, v7, v7
	v_lshlrev_b32_e32 v17, 16, v17
	v_mul_f32_e32 v3, v3, v9
	v_or_b32_e32 v9, 0x400000, v1
	v_add3_u32 v15, v41, v8, 0x7fff
	v_cndmask_b32_e32 v7, v16, v20, vcc_lo
	v_or_b32_e32 v16, 0x400000, v8
	v_bfe_u32 v20, v1, 16, 1
	v_cmp_u_f32_e32 vcc_lo, v8, v8
	v_mul_f32_e32 v4, v4, v17
	v_or_b32_e32 v17, 0x400000, v2
	v_bfe_u32 v18, v3, 16, 1
	v_and_b32_e32 v6, 0xffff0000, v6
	v_cndmask_b32_e32 v8, v15, v16, vcc_lo
	v_bfe_u32 v15, v2, 16, 1
	v_add3_u32 v16, v20, v1, 0x7fff
	v_cmp_u_f32_e32 vcc_lo, v1, v1
	v_bfe_u32 v20, v4, 16, 1
	v_and_b32_e32 v5, 0xffff0000, v5
	v_add3_u32 v15, v15, v2, 0x7fff
	v_and_b32_e32 v8, 0xffff0000, v8
	v_cndmask_b32_e32 v1, v16, v9, vcc_lo
	v_cmp_u_f32_e32 vcc_lo, v2, v2
	v_or_b32_e32 v16, 0x400000, v4
	v_add3_u32 v9, v18, v3, 0x7fff
	v_and_b32_e32 v7, 0xffff0000, v7
	v_add_f32_e32 v5, v5, v6
	v_cndmask_b32_e32 v2, v15, v17, vcc_lo
	v_add3_u32 v15, v20, v4, 0x7fff
	v_cmp_u_f32_e32 vcc_lo, v4, v4
	v_or_b32_e32 v17, 0x400000, v3
	v_add_f32_e32 v6, v7, v8
	v_and_b32_e32 v2, 0xffff0000, v2
	v_and_b32_e32 v1, 0xffff0000, v1
	v_cndmask_b32_e32 v4, v15, v16, vcc_lo
	v_cmp_u_f32_e32 vcc_lo, v3, v3
	v_and_b32_e32 v38, 0xffff0000, v38
	v_and_b32_e32 v7, 0xffff0000, v40
	v_add_f32_e32 v5, v6, v5
	v_add_f32_e32 v1, v1, v2
	v_cndmask_b32_e32 v3, v9, v17, vcc_lo
	v_and_b32_e32 v2, 0xffff0000, v4
	v_add_f32_e32 v4, v19, v39
	v_add_f32_e32 v6, v7, v38
	;; [unrolled: 1-line block ×3, first 2 shown]
	v_and_b32_e32 v3, 0xffff0000, v3
	v_add_f32_e32 v2, v3, v2
	v_add_f32_e32 v3, v6, v4
	v_add_f32_e32 v1, v2, v1
	v_add_f32_e32 v28, v28, v3
	v_add_f32_e32 v29, v29, v1
.LBB322_166:                            ;   in Loop: Header=BB322_167 Depth=1
	s_or_b32 exec_lo, exec_lo, s18
	v_add_nc_u32_e32 v35, 4, v35
	v_add_co_u32 v13, s0, v13, 16
	v_add_co_ci_u32_e64 v14, null, 0, v14, s0
	v_cmp_le_i32_e32 vcc_lo, s20, v35
	v_add_nc_u32_e32 v24, 64, v24
	v_add_nc_u32_e32 v36, 0x100, v36
	s_or_b32 s17, vcc_lo, s17
	s_andn2_b32 exec_lo, exec_lo, s17
	s_cbranch_execz .LBB322_292
.LBB322_167:                            ; =>This Inner Loop Header: Depth=1
	v_mul_hi_u32 v1, v24, s19
	v_mul_lo_u32 v2, v1, s16
	v_add_nc_u32_e32 v3, 1, v1
	v_sub_nc_u32_e32 v2, v24, v2
	v_subrev_nc_u32_e32 v4, s16, v2
	v_cmp_le_u32_e32 vcc_lo, s16, v2
	v_cndmask_b32_e32 v1, v1, v3, vcc_lo
	v_cndmask_b32_e32 v2, v2, v4, vcc_lo
	v_add_nc_u32_e32 v3, 1, v1
	v_cmp_le_u32_e32 vcc_lo, s16, v2
	v_cndmask_b32_e32 v1, v1, v3, vcc_lo
	v_xor_b32_e32 v1, s23, v1
	v_subrev_nc_u32_e32 v1, s23, v1
	v_add_nc_u32_e32 v2, s25, v1
	v_cmp_lt_i32_e64 s0, s4, v1
	v_sub_nc_u32_e32 v3, 0, v2
	v_max_i32_e32 v3, v2, v3
	v_ashrrev_i32_e32 v2, 31, v2
	v_mul_hi_u32 v4, v3, v37
	v_mul_lo_u32 v4, v4, s5
	v_sub_nc_u32_e32 v3, v3, v4
	v_subrev_nc_u32_e32 v4, s5, v3
	v_cmp_le_u32_e32 vcc_lo, s5, v3
	v_cndmask_b32_e32 v3, v3, v4, vcc_lo
	v_subrev_nc_u32_e32 v4, s5, v3
	v_cmp_le_u32_e32 vcc_lo, s5, v3
	v_cndmask_b32_e32 v3, v3, v4, vcc_lo
	v_xor_b32_e32 v3, v3, v2
	v_sub_nc_u32_e32 v2, v3, v2
	v_cmp_eq_u32_e32 vcc_lo, 0, v2
	s_or_b32 s0, vcc_lo, s0
	s_and_saveexec_b32 s18, s0
	s_cbranch_execz .LBB322_166
; %bb.168:                              ;   in Loop: Header=BB322_167 Depth=1
	global_load_dword v1, v[13:14], off
	v_mov_b32_e32 v39, 0
	v_mov_b32_e32 v38, 0
	s_waitcnt vmcnt(0)
	v_mad_i64_i32 v[15:16], null, v1, s12, v[11:12]
	global_load_dwordx2 v[17:18], v[15:16], off
	ds_read2_b64 v[5:8], v36 offset1:1
	ds_read2_b64 v[1:4], v36 offset0:2 offset1:3
	s_load_dword s21, s[14:15], 0x0
	s_waitcnt vmcnt(0)
	v_cmp_ne_u16_sdwa s22, v17, v10 src0_sel:BYTE_0 src1_sel:DWORD
	s_and_saveexec_b32 s0, s22
	s_cbranch_execz .LBB322_174
; %bb.169:                              ;   in Loop: Header=BB322_167 Depth=1
	v_cmp_ne_u16_sdwa s26, v17, v30 src0_sel:BYTE_0 src1_sel:DWORD
	v_bfrev_b32_e32 v38, 1
	s_and_saveexec_b32 s22, s26
	s_cbranch_execz .LBB322_173
; %bb.170:                              ;   in Loop: Header=BB322_167 Depth=1
	v_and_b32_e32 v9, 0x7f, v17
	v_mov_b32_e32 v38, 0x7f800001
	s_mov_b32 s26, exec_lo
	v_cmpx_ne_u32_e32 0x7f, v9
	s_cbranch_execz .LBB322_172
; %bb.171:                              ;   in Loop: Header=BB322_167 Depth=1
	v_and_b32_e32 v19, 7, v17
	v_lshrrev_b32_e32 v20, 3, v9
	v_cmp_gt_u32_e32 vcc_lo, 8, v9
	v_ffbh_u32_e32 v19, v19
	v_min_u32_e32 v19, 32, v19
	v_subrev_nc_u32_e32 v38, 28, v19
	v_sub_nc_u32_e32 v19, 29, v19
	v_cndmask_b32_e32 v9, v20, v19, vcc_lo
	v_cndmask_b32_e32 v19, 0, v38, vcc_lo
	v_lshl_add_u32 v9, v9, 23, 0x3c000000
	v_lshlrev_b64 v[19:20], v19, v[17:18]
	v_lshlrev_b32_e32 v20, 24, v17
	v_lshlrev_b32_e32 v19, 20, v19
	v_and_b32_e32 v20, 0x80000000, v20
	v_and_b32_e32 v19, 0x700000, v19
	v_or3_b32 v38, v19, v20, v9
.LBB322_172:                            ;   in Loop: Header=BB322_167 Depth=1
	s_or_b32 exec_lo, exec_lo, s26
.LBB322_173:                            ;   in Loop: Header=BB322_167 Depth=1
	s_or_b32 exec_lo, exec_lo, s22
.LBB322_174:                            ;   in Loop: Header=BB322_167 Depth=1
	s_or_b32 exec_lo, exec_lo, s0
	v_cmp_ne_u16_sdwa s22, v17, v10 src0_sel:BYTE_1 src1_sel:DWORD
	s_and_saveexec_b32 s0, s22
	s_cbranch_execz .LBB322_182
; %bb.175:                              ;   in Loop: Header=BB322_167 Depth=1
	v_cmp_ne_u16_sdwa s26, v17, v30 src0_sel:BYTE_1 src1_sel:DWORD
	v_bfrev_b32_e32 v39, 1
	s_and_saveexec_b32 s22, s26
	s_cbranch_execz .LBB322_181
; %bb.176:                              ;   in Loop: Header=BB322_167 Depth=1
	v_and_b32_sdwa v9, v31, v17 dst_sel:DWORD dst_unused:UNUSED_PAD src0_sel:DWORD src1_sel:BYTE_1
	v_mov_b32_e32 v39, 0x7f800001
	s_mov_b32 s26, exec_lo
	v_and_b32_e32 v20, 0x7f, v9
	v_cmpx_ne_u32_e32 0x7f, v20
	s_cbranch_execz .LBB322_180
; %bb.177:                              ;   in Loop: Header=BB322_167 Depth=1
	v_and_b32_e32 v9, 7, v9
	v_lshrrev_b32_e32 v19, 3, v20
	s_mov_b32 s27, exec_lo
	v_cmpx_gt_u32_e32 8, v20
; %bb.178:                              ;   in Loop: Header=BB322_167 Depth=1
	v_ffbh_u32_e32 v19, v9
	v_min_u32_e32 v19, 32, v19
	v_subrev_nc_u32_e32 v20, 28, v19
	v_sub_nc_u32_e32 v19, 29, v19
	v_lshlrev_b64 v[39:40], v20, v[9:10]
	v_and_b32_e32 v9, 7, v39
; %bb.179:                              ;   in Loop: Header=BB322_167 Depth=1
	s_or_b32 exec_lo, exec_lo, s27
	v_lshlrev_b32_e32 v20, 16, v17
	v_lshlrev_b32_e32 v9, 20, v9
	v_lshl_add_u32 v19, v19, 23, 0x3c000000
	v_and_b32_e32 v20, 0x80000000, v20
	v_or3_b32 v39, v9, v20, v19
.LBB322_180:                            ;   in Loop: Header=BB322_167 Depth=1
	s_or_b32 exec_lo, exec_lo, s26
.LBB322_181:                            ;   in Loop: Header=BB322_167 Depth=1
	s_or_b32 exec_lo, exec_lo, s22
.LBB322_182:                            ;   in Loop: Header=BB322_167 Depth=1
	s_or_b32 exec_lo, exec_lo, s0
	v_and_b32_sdwa v9, v17, v32 dst_sel:DWORD dst_unused:UNUSED_PAD src0_sel:WORD_1 src1_sel:DWORD
	v_mov_b32_e32 v41, 0
	v_mov_b32_e32 v40, 0
	s_mov_b32 s0, exec_lo
	v_cmpx_ne_u16_e32 0, v9
	s_cbranch_execz .LBB322_190
; %bb.183:                              ;   in Loop: Header=BB322_167 Depth=1
	v_bfrev_b32_e32 v40, 1
	s_mov_b32 s22, exec_lo
	v_cmpx_ne_u16_e32 0x80, v9
	s_cbranch_execz .LBB322_189
; %bb.184:                              ;   in Loop: Header=BB322_167 Depth=1
	v_bfe_u32 v20, v17, 16, 7
	v_mov_b32_e32 v40, 0x7f800001
	s_mov_b32 s26, exec_lo
	v_cmpx_ne_u32_e32 0x7f, v20
	s_cbranch_execz .LBB322_188
; %bb.185:                              ;   in Loop: Header=BB322_167 Depth=1
	v_and_b32_sdwa v9, v17, v33 dst_sel:DWORD dst_unused:UNUSED_PAD src0_sel:WORD_1 src1_sel:DWORD
	v_lshrrev_b32_e32 v19, 3, v20
	s_mov_b32 s27, exec_lo
	v_cmpx_gt_u32_e32 8, v20
; %bb.186:                              ;   in Loop: Header=BB322_167 Depth=1
	v_ffbh_u32_e32 v19, v9
	v_min_u32_e32 v19, 32, v19
	v_subrev_nc_u32_e32 v20, 28, v19
	v_sub_nc_u32_e32 v19, 29, v19
	v_lshlrev_b64 v[42:43], v20, v[9:10]
	v_and_b32_e32 v9, 7, v42
; %bb.187:                              ;   in Loop: Header=BB322_167 Depth=1
	s_or_b32 exec_lo, exec_lo, s27
	v_lshlrev_b32_sdwa v20, v34, v17 dst_sel:DWORD dst_unused:UNUSED_PAD src0_sel:DWORD src1_sel:WORD_1
	v_lshlrev_b32_e32 v9, 20, v9
	v_lshl_add_u32 v19, v19, 23, 0x3c000000
	v_and_b32_e32 v20, 0x80000000, v20
	v_or3_b32 v40, v9, v20, v19
.LBB322_188:                            ;   in Loop: Header=BB322_167 Depth=1
	s_or_b32 exec_lo, exec_lo, s26
.LBB322_189:                            ;   in Loop: Header=BB322_167 Depth=1
	s_or_b32 exec_lo, exec_lo, s22
.LBB322_190:                            ;   in Loop: Header=BB322_167 Depth=1
	s_or_b32 exec_lo, exec_lo, s0
	s_mov_b32 s0, exec_lo
	v_cmpx_lt_u32_e32 0xffffff, v17
	s_cbranch_execz .LBB322_198
; %bb.191:                              ;   in Loop: Header=BB322_167 Depth=1
	v_cmp_ne_u32_sdwa s26, v17, v30 src0_sel:BYTE_3 src1_sel:DWORD
	v_bfrev_b32_e32 v41, 1
	s_and_saveexec_b32 s22, s26
	s_cbranch_execz .LBB322_197
; %bb.192:                              ;   in Loop: Header=BB322_167 Depth=1
	v_bfe_u32 v20, v17, 24, 7
	v_mov_b32_e32 v41, 0x7f800001
	s_mov_b32 s26, exec_lo
	v_cmpx_ne_u32_e32 0x7f, v20
	s_cbranch_execz .LBB322_196
; %bb.193:                              ;   in Loop: Header=BB322_167 Depth=1
	v_and_b32_sdwa v9, v17, v33 dst_sel:DWORD dst_unused:UNUSED_PAD src0_sel:BYTE_3 src1_sel:DWORD
	v_lshrrev_b32_e32 v19, 3, v20
	s_mov_b32 s27, exec_lo
	v_cmpx_gt_u32_e32 8, v20
; %bb.194:                              ;   in Loop: Header=BB322_167 Depth=1
	v_ffbh_u32_e32 v19, v9
	v_min_u32_e32 v19, 32, v19
	v_subrev_nc_u32_e32 v20, 28, v19
	v_sub_nc_u32_e32 v19, 29, v19
	v_lshlrev_b64 v[41:42], v20, v[9:10]
	v_and_b32_e32 v9, 7, v41
; %bb.195:                              ;   in Loop: Header=BB322_167 Depth=1
	s_or_b32 exec_lo, exec_lo, s27
	v_lshlrev_b32_sdwa v20, v34, v17 dst_sel:DWORD dst_unused:UNUSED_PAD src0_sel:DWORD src1_sel:BYTE_3
	v_lshlrev_b32_e32 v9, 20, v9
	v_lshl_add_u32 v19, v19, 23, 0x3c000000
	v_and_b32_e32 v20, 0x80000000, v20
	v_or3_b32 v41, v9, v20, v19
.LBB322_196:                            ;   in Loop: Header=BB322_167 Depth=1
	s_or_b32 exec_lo, exec_lo, s26
.LBB322_197:                            ;   in Loop: Header=BB322_167 Depth=1
	s_or_b32 exec_lo, exec_lo, s22
.LBB322_198:                            ;   in Loop: Header=BB322_167 Depth=1
	s_or_b32 exec_lo, exec_lo, s0
	v_mov_b32_e32 v9, v18
	v_cmp_ne_u16_sdwa s22, v18, v10 src0_sel:BYTE_0 src1_sel:DWORD
	v_mov_b32_e32 v19, 0
	v_mov_b32_e32 v42, 0
	s_and_saveexec_b32 s0, s22
	s_cbranch_execz .LBB322_204
; %bb.199:                              ;   in Loop: Header=BB322_167 Depth=1
	v_cmp_ne_u16_sdwa s26, v18, v30 src0_sel:BYTE_0 src1_sel:DWORD
	v_bfrev_b32_e32 v42, 1
	s_and_saveexec_b32 s22, s26
	s_cbranch_execz .LBB322_203
; %bb.200:                              ;   in Loop: Header=BB322_167 Depth=1
	v_and_b32_e32 v20, 0x7f, v18
	v_mov_b32_e32 v42, 0x7f800001
	s_mov_b32 s26, exec_lo
	v_cmpx_ne_u32_e32 0x7f, v20
	s_cbranch_execz .LBB322_202
; %bb.201:                              ;   in Loop: Header=BB322_167 Depth=1
	v_and_b32_e32 v42, 7, v18
	v_lshrrev_b32_e32 v43, 3, v20
	v_cmp_gt_u32_e32 vcc_lo, 8, v20
	v_ffbh_u32_e32 v42, v42
	v_min_u32_e32 v42, 32, v42
	v_subrev_nc_u32_e32 v44, 28, v42
	v_sub_nc_u32_e32 v42, 29, v42
	v_cndmask_b32_e32 v20, v43, v42, vcc_lo
	v_cndmask_b32_e32 v42, 0, v44, vcc_lo
	v_lshl_add_u32 v20, v20, 23, 0x3c000000
	v_lshlrev_b64 v[42:43], v42, v[9:10]
	v_lshlrev_b32_e32 v43, 24, v9
	v_lshlrev_b32_e32 v42, 20, v42
	v_and_b32_e32 v43, 0x80000000, v43
	v_and_b32_e32 v42, 0x700000, v42
	v_or3_b32 v42, v42, v43, v20
.LBB322_202:                            ;   in Loop: Header=BB322_167 Depth=1
	s_or_b32 exec_lo, exec_lo, s26
.LBB322_203:                            ;   in Loop: Header=BB322_167 Depth=1
	s_or_b32 exec_lo, exec_lo, s22
.LBB322_204:                            ;   in Loop: Header=BB322_167 Depth=1
	s_or_b32 exec_lo, exec_lo, s0
	v_cmp_ne_u16_sdwa s22, v9, v10 src0_sel:BYTE_1 src1_sel:DWORD
	s_and_saveexec_b32 s0, s22
	s_cbranch_execz .LBB322_212
; %bb.205:                              ;   in Loop: Header=BB322_167 Depth=1
	v_cmp_ne_u16_sdwa s26, v9, v30 src0_sel:BYTE_1 src1_sel:DWORD
	v_bfrev_b32_e32 v19, 1
	s_and_saveexec_b32 s22, s26
	s_cbranch_execz .LBB322_211
; %bb.206:                              ;   in Loop: Header=BB322_167 Depth=1
	v_and_b32_sdwa v20, v31, v9 dst_sel:DWORD dst_unused:UNUSED_PAD src0_sel:DWORD src1_sel:BYTE_1
	v_mov_b32_e32 v19, 0x7f800001
	s_mov_b32 s26, exec_lo
	v_and_b32_e32 v44, 0x7f, v20
	v_cmpx_ne_u32_e32 0x7f, v44
	s_cbranch_execz .LBB322_210
; %bb.207:                              ;   in Loop: Header=BB322_167 Depth=1
	v_and_b32_e32 v19, 7, v20
	v_mov_b32_e32 v20, v10
	v_lshrrev_b32_e32 v43, 3, v44
	s_mov_b32 s27, exec_lo
	v_cmpx_gt_u32_e32 8, v44
; %bb.208:                              ;   in Loop: Header=BB322_167 Depth=1
	v_ffbh_u32_e32 v43, v19
	v_min_u32_e32 v43, 32, v43
	v_subrev_nc_u32_e32 v44, 28, v43
	v_sub_nc_u32_e32 v43, 29, v43
	v_lshlrev_b64 v[19:20], v44, v[19:20]
	v_and_b32_e32 v19, 7, v19
; %bb.209:                              ;   in Loop: Header=BB322_167 Depth=1
	s_or_b32 exec_lo, exec_lo, s27
	v_lshlrev_b32_e32 v9, 16, v9
	v_lshlrev_b32_e32 v19, 20, v19
	v_lshl_add_u32 v20, v43, 23, 0x3c000000
	v_and_b32_e32 v9, 0x80000000, v9
	v_or3_b32 v19, v19, v9, v20
.LBB322_210:                            ;   in Loop: Header=BB322_167 Depth=1
	s_or_b32 exec_lo, exec_lo, s26
.LBB322_211:                            ;   in Loop: Header=BB322_167 Depth=1
	s_or_b32 exec_lo, exec_lo, s22
.LBB322_212:                            ;   in Loop: Header=BB322_167 Depth=1
	s_or_b32 exec_lo, exec_lo, s0
	v_and_b32_sdwa v9, v18, v32 dst_sel:DWORD dst_unused:UNUSED_PAD src0_sel:WORD_1 src1_sel:DWORD
	v_mov_b32_e32 v44, 0
	v_mov_b32_e32 v45, 0
	s_mov_b32 s0, exec_lo
	v_cmpx_ne_u16_e32 0, v9
	s_cbranch_execz .LBB322_220
; %bb.213:                              ;   in Loop: Header=BB322_167 Depth=1
	v_bfrev_b32_e32 v45, 1
	s_mov_b32 s22, exec_lo
	v_cmpx_ne_u16_e32 0x80, v9
	s_cbranch_execz .LBB322_219
; %bb.214:                              ;   in Loop: Header=BB322_167 Depth=1
	v_bfe_u32 v43, v18, 16, 7
	v_mov_b32_e32 v45, 0x7f800001
	s_mov_b32 s26, exec_lo
	v_cmpx_ne_u32_e32 0x7f, v43
	s_cbranch_execz .LBB322_218
; %bb.215:                              ;   in Loop: Header=BB322_167 Depth=1
	v_and_b32_sdwa v9, v18, v33 dst_sel:DWORD dst_unused:UNUSED_PAD src0_sel:WORD_1 src1_sel:DWORD
	v_lshrrev_b32_e32 v20, 3, v43
	s_mov_b32 s27, exec_lo
	v_cmpx_gt_u32_e32 8, v43
; %bb.216:                              ;   in Loop: Header=BB322_167 Depth=1
	v_ffbh_u32_e32 v20, v9
	v_min_u32_e32 v20, 32, v20
	v_subrev_nc_u32_e32 v43, 28, v20
	v_sub_nc_u32_e32 v20, 29, v20
	v_lshlrev_b64 v[45:46], v43, v[9:10]
	v_and_b32_e32 v9, 7, v45
; %bb.217:                              ;   in Loop: Header=BB322_167 Depth=1
	s_or_b32 exec_lo, exec_lo, s27
	v_lshlrev_b32_sdwa v43, v34, v18 dst_sel:DWORD dst_unused:UNUSED_PAD src0_sel:DWORD src1_sel:WORD_1
	v_lshlrev_b32_e32 v9, 20, v9
	v_lshl_add_u32 v20, v20, 23, 0x3c000000
	v_and_b32_e32 v43, 0x80000000, v43
	v_or3_b32 v45, v9, v43, v20
.LBB322_218:                            ;   in Loop: Header=BB322_167 Depth=1
	s_or_b32 exec_lo, exec_lo, s26
.LBB322_219:                            ;   in Loop: Header=BB322_167 Depth=1
	s_or_b32 exec_lo, exec_lo, s22
.LBB322_220:                            ;   in Loop: Header=BB322_167 Depth=1
	s_or_b32 exec_lo, exec_lo, s0
	s_mov_b32 s0, exec_lo
	v_cmpx_lt_u64_e64 s[2:3], v[17:18]
	s_cbranch_execz .LBB322_228
; %bb.221:                              ;   in Loop: Header=BB322_167 Depth=1
	v_cmp_ne_u32_sdwa s26, v18, v30 src0_sel:BYTE_3 src1_sel:DWORD
	v_bfrev_b32_e32 v44, 1
	s_and_saveexec_b32 s22, s26
	s_cbranch_execz .LBB322_227
; %bb.222:                              ;   in Loop: Header=BB322_167 Depth=1
	v_bfe_u32 v20, v18, 24, 7
	v_mov_b32_e32 v44, 0x7f800001
	s_mov_b32 s26, exec_lo
	v_cmpx_ne_u32_e32 0x7f, v20
	s_cbranch_execz .LBB322_226
; %bb.223:                              ;   in Loop: Header=BB322_167 Depth=1
	v_and_b32_sdwa v9, v18, v33 dst_sel:DWORD dst_unused:UNUSED_PAD src0_sel:BYTE_3 src1_sel:DWORD
	v_lshrrev_b32_e32 v17, 3, v20
	s_mov_b32 s27, exec_lo
	v_cmpx_gt_u32_e32 8, v20
; %bb.224:                              ;   in Loop: Header=BB322_167 Depth=1
	v_ffbh_u32_e32 v17, v9
	v_min_u32_e32 v17, 32, v17
	v_subrev_nc_u32_e32 v20, 28, v17
	v_sub_nc_u32_e32 v17, 29, v17
	v_lshlrev_b64 v[43:44], v20, v[9:10]
	v_and_b32_e32 v9, 7, v43
; %bb.225:                              ;   in Loop: Header=BB322_167 Depth=1
	s_or_b32 exec_lo, exec_lo, s27
	v_lshlrev_b32_sdwa v18, v34, v18 dst_sel:DWORD dst_unused:UNUSED_PAD src0_sel:DWORD src1_sel:BYTE_3
	v_lshlrev_b32_e32 v9, 20, v9
	v_lshl_add_u32 v17, v17, 23, 0x3c000000
	v_and_b32_e32 v18, 0x80000000, v18
	v_or3_b32 v44, v9, v18, v17
.LBB322_226:                            ;   in Loop: Header=BB322_167 Depth=1
	s_or_b32 exec_lo, exec_lo, s26
.LBB322_227:                            ;   in Loop: Header=BB322_167 Depth=1
	s_or_b32 exec_lo, exec_lo, s22
.LBB322_228:                            ;   in Loop: Header=BB322_167 Depth=1
	s_or_b32 exec_lo, exec_lo, s0
	s_waitcnt lgkmcnt(0)
	v_mul_f32_e32 v9, s21, v19
	v_mul_f32_e32 v17, s21, v42
	;; [unrolled: 1-line block ×5, first 2 shown]
	v_bfe_u32 v19, v9, 16, 1
	v_or_b32_e32 v20, 0x400000, v9
	v_bfe_u32 v41, v17, 16, 1
	v_cmp_u_f32_e64 s0, v9, v9
	v_or_b32_e32 v42, 0x400000, v17
	v_add3_u32 v19, v19, v9, 0x7fff
	v_bfe_u32 v46, v18, 16, 1
	v_add3_u32 v41, v41, v17, 0x7fff
	v_or_b32_e32 v47, 0x400000, v18
	v_add_nc_u32_e32 v43, v27, v24
	v_cndmask_b32_e64 v9, v19, v20, s0
	v_cmp_u_f32_e64 s0, v17, v17
	v_add3_u32 v46, v46, v18, 0x7fff
	v_bfe_u32 v20, v40, 16, 1
	v_cmp_eq_u32_e32 vcc_lo, s13, v35
	v_lshrrev_b32_e32 v19, 16, v9
	v_cndmask_b32_e64 v17, v41, v42, s0
	v_cmp_u_f32_e64 s0, v18, v18
	v_mul_f32_e32 v18, s21, v39
	v_add3_u32 v41, v20, v40, 0x7fff
	v_or_b32_e32 v42, 0x400000, v40
	v_lshrrev_b32_e32 v20, 16, v17
	v_cndmask_b32_e64 v9, v46, v47, s0
	v_cmp_u_f32_e64 s0, v40, v40
	v_mul_f32_e32 v40, s21, v45
	v_add_nc_u32_e32 v51, 1, v43
	v_add_nc_u32_e32 v50, 2, v43
	v_lshrrev_b32_e32 v39, 16, v9
	v_bfe_u32 v9, v18, 16, 1
	v_cndmask_b32_e64 v17, v41, v42, s0
	v_or_b32_e32 v41, 0x400000, v18
	v_mul_f32_e32 v42, s21, v44
	v_bfe_u32 v44, v38, 16, 1
	v_add3_u32 v9, v9, v18, 0x7fff
	v_cmp_u_f32_e64 s0, v18, v18
	v_bfe_u32 v45, v40, 16, 1
	v_bfe_u32 v18, v42, 16, 1
	v_or_b32_e32 v46, 0x400000, v40
	v_or_b32_e32 v47, 0x400000, v42
	v_cndmask_b32_e64 v9, v9, v41, s0
	v_add3_u32 v41, v44, v38, 0x7fff
	v_or_b32_e32 v44, 0x400000, v38
	v_cmp_u_f32_e64 s0, v38, v38
	v_add3_u32 v45, v45, v40, 0x7fff
	v_add3_u32 v18, v18, v42, 0x7fff
	v_add_nc_u32_e32 v49, 3, v43
	v_add_nc_u32_e32 v48, 4, v43
	v_cndmask_b32_e64 v38, v41, v44, s0
	v_cmp_u_f32_e64 s0, v40, v40
	v_lshrrev_b32_e32 v41, 16, v17
	v_lshrrev_b32_e32 v44, 16, v38
	v_cndmask_b32_e64 v40, v45, v46, s0
	v_cmp_u_f32_e64 s0, v42, v42
	v_lshrrev_b32_e32 v42, 16, v9
	v_add_nc_u32_e32 v46, 6, v43
	v_add_nc_u32_e32 v45, 7, v43
	v_lshrrev_b32_e32 v40, 16, v40
	v_cndmask_b32_e64 v18, v18, v47, s0
	v_add_nc_u32_e32 v47, 5, v43
	v_lshrrev_b32_e32 v38, 16, v18
	s_and_saveexec_b32 s22, vcc_lo
	s_cbranch_execz .LBB322_230
; %bb.229:                              ;   in Loop: Header=BB322_167 Depth=1
	v_cmp_gt_i32_e64 s0, s33, v43
	v_cndmask_b32_e64 v44, 0, v44, s0
	v_cmp_gt_i32_e64 s0, s33, v51
	v_cndmask_b32_e64 v42, 0, v42, s0
	;; [unrolled: 2-line block ×8, first 2 shown]
.LBB322_230:                            ;   in Loop: Header=BB322_167 Depth=1
	s_or_b32 exec_lo, exec_lo, s22
	global_load_dwordx2 v[15:16], v[15:16], off offset:256
	v_mov_b32_e32 v53, 0
	v_mov_b32_e32 v52, 0
	s_waitcnt vmcnt(0)
	v_cmp_ne_u16_sdwa s0, v15, v10 src0_sel:BYTE_0 src1_sel:DWORD
	s_and_saveexec_b32 s22, s0
	s_cbranch_execz .LBB322_236
; %bb.231:                              ;   in Loop: Header=BB322_167 Depth=1
	v_cmp_ne_u16_sdwa s0, v15, v30 src0_sel:BYTE_0 src1_sel:DWORD
	v_bfrev_b32_e32 v52, 1
	s_and_saveexec_b32 s26, s0
	s_cbranch_execz .LBB322_235
; %bb.232:                              ;   in Loop: Header=BB322_167 Depth=1
	v_and_b32_e32 v9, 0x7f, v15
	v_mov_b32_e32 v52, 0x7f800001
	s_mov_b32 s27, exec_lo
	v_cmpx_ne_u32_e32 0x7f, v9
	s_cbranch_execz .LBB322_234
; %bb.233:                              ;   in Loop: Header=BB322_167 Depth=1
	v_and_b32_e32 v17, 7, v15
	v_lshrrev_b32_e32 v18, 3, v9
	v_cmp_gt_u32_e64 s0, 8, v9
	v_ffbh_u32_e32 v17, v17
	v_min_u32_e32 v17, 32, v17
	v_subrev_nc_u32_e32 v52, 28, v17
	v_sub_nc_u32_e32 v17, 29, v17
	v_cndmask_b32_e64 v9, v18, v17, s0
	v_cndmask_b32_e64 v17, 0, v52, s0
	v_lshl_add_u32 v9, v9, 23, 0x3c000000
	v_lshlrev_b64 v[17:18], v17, v[15:16]
	v_lshlrev_b32_e32 v18, 24, v15
	v_lshlrev_b32_e32 v17, 20, v17
	v_and_b32_e32 v18, 0x80000000, v18
	v_and_b32_e32 v17, 0x700000, v17
	v_or3_b32 v52, v17, v18, v9
.LBB322_234:                            ;   in Loop: Header=BB322_167 Depth=1
	s_or_b32 exec_lo, exec_lo, s27
.LBB322_235:                            ;   in Loop: Header=BB322_167 Depth=1
	s_or_b32 exec_lo, exec_lo, s26
.LBB322_236:                            ;   in Loop: Header=BB322_167 Depth=1
	s_or_b32 exec_lo, exec_lo, s22
	v_cmp_ne_u16_sdwa s0, v15, v10 src0_sel:BYTE_1 src1_sel:DWORD
	s_and_saveexec_b32 s22, s0
	s_cbranch_execz .LBB322_244
; %bb.237:                              ;   in Loop: Header=BB322_167 Depth=1
	v_cmp_ne_u16_sdwa s0, v15, v30 src0_sel:BYTE_1 src1_sel:DWORD
	v_bfrev_b32_e32 v53, 1
	s_and_saveexec_b32 s26, s0
	s_cbranch_execz .LBB322_243
; %bb.238:                              ;   in Loop: Header=BB322_167 Depth=1
	v_and_b32_sdwa v9, v31, v15 dst_sel:DWORD dst_unused:UNUSED_PAD src0_sel:DWORD src1_sel:BYTE_1
	v_mov_b32_e32 v53, 0x7f800001
	s_mov_b32 s27, exec_lo
	v_and_b32_e32 v18, 0x7f, v9
	v_cmpx_ne_u32_e32 0x7f, v18
	s_cbranch_execz .LBB322_242
; %bb.239:                              ;   in Loop: Header=BB322_167 Depth=1
	v_and_b32_e32 v9, 7, v9
	v_lshrrev_b32_e32 v17, 3, v18
	s_mov_b32 s28, exec_lo
	v_cmpx_gt_u32_e32 8, v18
; %bb.240:                              ;   in Loop: Header=BB322_167 Depth=1
	v_ffbh_u32_e32 v17, v9
	v_min_u32_e32 v17, 32, v17
	v_subrev_nc_u32_e32 v18, 28, v17
	v_sub_nc_u32_e32 v17, 29, v17
	v_lshlrev_b64 v[53:54], v18, v[9:10]
	v_and_b32_e32 v9, 7, v53
; %bb.241:                              ;   in Loop: Header=BB322_167 Depth=1
	s_or_b32 exec_lo, exec_lo, s28
	v_lshlrev_b32_e32 v18, 16, v15
	v_lshlrev_b32_e32 v9, 20, v9
	v_lshl_add_u32 v17, v17, 23, 0x3c000000
	v_and_b32_e32 v18, 0x80000000, v18
	v_or3_b32 v53, v9, v18, v17
.LBB322_242:                            ;   in Loop: Header=BB322_167 Depth=1
	s_or_b32 exec_lo, exec_lo, s27
.LBB322_243:                            ;   in Loop: Header=BB322_167 Depth=1
	s_or_b32 exec_lo, exec_lo, s26
.LBB322_244:                            ;   in Loop: Header=BB322_167 Depth=1
	s_or_b32 exec_lo, exec_lo, s22
	v_and_b32_sdwa v9, v15, v32 dst_sel:DWORD dst_unused:UNUSED_PAD src0_sel:WORD_1 src1_sel:DWORD
	v_mov_b32_e32 v55, 0
	v_mov_b32_e32 v54, 0
	s_mov_b32 s22, exec_lo
	v_cmpx_ne_u16_e32 0, v9
	s_cbranch_execz .LBB322_252
; %bb.245:                              ;   in Loop: Header=BB322_167 Depth=1
	v_bfrev_b32_e32 v54, 1
	s_mov_b32 s26, exec_lo
	v_cmpx_ne_u16_e32 0x80, v9
	s_cbranch_execz .LBB322_251
; %bb.246:                              ;   in Loop: Header=BB322_167 Depth=1
	v_bfe_u32 v18, v15, 16, 7
	v_mov_b32_e32 v54, 0x7f800001
	s_mov_b32 s27, exec_lo
	v_cmpx_ne_u32_e32 0x7f, v18
	s_cbranch_execz .LBB322_250
; %bb.247:                              ;   in Loop: Header=BB322_167 Depth=1
	v_and_b32_sdwa v9, v15, v33 dst_sel:DWORD dst_unused:UNUSED_PAD src0_sel:WORD_1 src1_sel:DWORD
	v_lshrrev_b32_e32 v17, 3, v18
	s_mov_b32 s28, exec_lo
	v_cmpx_gt_u32_e32 8, v18
; %bb.248:                              ;   in Loop: Header=BB322_167 Depth=1
	v_ffbh_u32_e32 v17, v9
	v_min_u32_e32 v17, 32, v17
	v_subrev_nc_u32_e32 v18, 28, v17
	v_sub_nc_u32_e32 v17, 29, v17
	v_lshlrev_b64 v[56:57], v18, v[9:10]
	v_and_b32_e32 v9, 7, v56
; %bb.249:                              ;   in Loop: Header=BB322_167 Depth=1
	s_or_b32 exec_lo, exec_lo, s28
	v_lshlrev_b32_sdwa v18, v34, v15 dst_sel:DWORD dst_unused:UNUSED_PAD src0_sel:DWORD src1_sel:WORD_1
	v_lshlrev_b32_e32 v9, 20, v9
	v_lshl_add_u32 v17, v17, 23, 0x3c000000
	v_and_b32_e32 v18, 0x80000000, v18
	v_or3_b32 v54, v9, v18, v17
.LBB322_250:                            ;   in Loop: Header=BB322_167 Depth=1
	s_or_b32 exec_lo, exec_lo, s27
.LBB322_251:                            ;   in Loop: Header=BB322_167 Depth=1
	s_or_b32 exec_lo, exec_lo, s26
.LBB322_252:                            ;   in Loop: Header=BB322_167 Depth=1
	s_or_b32 exec_lo, exec_lo, s22
	s_mov_b32 s22, exec_lo
	v_cmpx_lt_u32_e32 0xffffff, v15
	s_cbranch_execz .LBB322_260
; %bb.253:                              ;   in Loop: Header=BB322_167 Depth=1
	v_cmp_ne_u32_sdwa s0, v15, v30 src0_sel:BYTE_3 src1_sel:DWORD
	v_bfrev_b32_e32 v55, 1
	s_and_saveexec_b32 s26, s0
	s_cbranch_execz .LBB322_259
; %bb.254:                              ;   in Loop: Header=BB322_167 Depth=1
	v_bfe_u32 v18, v15, 24, 7
	v_mov_b32_e32 v55, 0x7f800001
	s_mov_b32 s27, exec_lo
	v_cmpx_ne_u32_e32 0x7f, v18
	s_cbranch_execz .LBB322_258
; %bb.255:                              ;   in Loop: Header=BB322_167 Depth=1
	v_and_b32_sdwa v9, v15, v33 dst_sel:DWORD dst_unused:UNUSED_PAD src0_sel:BYTE_3 src1_sel:DWORD
	v_lshrrev_b32_e32 v17, 3, v18
	s_mov_b32 s28, exec_lo
	v_cmpx_gt_u32_e32 8, v18
; %bb.256:                              ;   in Loop: Header=BB322_167 Depth=1
	v_ffbh_u32_e32 v17, v9
	v_min_u32_e32 v17, 32, v17
	v_subrev_nc_u32_e32 v18, 28, v17
	v_sub_nc_u32_e32 v17, 29, v17
	v_lshlrev_b64 v[55:56], v18, v[9:10]
	v_and_b32_e32 v9, 7, v55
; %bb.257:                              ;   in Loop: Header=BB322_167 Depth=1
	s_or_b32 exec_lo, exec_lo, s28
	v_lshlrev_b32_sdwa v18, v34, v15 dst_sel:DWORD dst_unused:UNUSED_PAD src0_sel:DWORD src1_sel:BYTE_3
	v_lshlrev_b32_e32 v9, 20, v9
	v_lshl_add_u32 v17, v17, 23, 0x3c000000
	v_and_b32_e32 v18, 0x80000000, v18
	v_or3_b32 v55, v9, v18, v17
.LBB322_258:                            ;   in Loop: Header=BB322_167 Depth=1
	s_or_b32 exec_lo, exec_lo, s27
.LBB322_259:                            ;   in Loop: Header=BB322_167 Depth=1
	s_or_b32 exec_lo, exec_lo, s26
.LBB322_260:                            ;   in Loop: Header=BB322_167 Depth=1
	s_or_b32 exec_lo, exec_lo, s22
	v_mov_b32_e32 v9, v16
	v_cmp_ne_u16_sdwa s0, v16, v10 src0_sel:BYTE_0 src1_sel:DWORD
	v_mov_b32_e32 v17, 0
	v_mov_b32_e32 v56, 0
	s_and_saveexec_b32 s22, s0
	s_cbranch_execz .LBB322_266
; %bb.261:                              ;   in Loop: Header=BB322_167 Depth=1
	v_cmp_ne_u16_sdwa s0, v16, v30 src0_sel:BYTE_0 src1_sel:DWORD
	v_bfrev_b32_e32 v56, 1
	s_and_saveexec_b32 s26, s0
	s_cbranch_execz .LBB322_265
; %bb.262:                              ;   in Loop: Header=BB322_167 Depth=1
	v_and_b32_e32 v18, 0x7f, v16
	v_mov_b32_e32 v56, 0x7f800001
	s_mov_b32 s27, exec_lo
	v_cmpx_ne_u32_e32 0x7f, v18
	s_cbranch_execz .LBB322_264
; %bb.263:                              ;   in Loop: Header=BB322_167 Depth=1
	v_and_b32_e32 v56, 7, v16
	v_lshrrev_b32_e32 v57, 3, v18
	v_cmp_gt_u32_e64 s0, 8, v18
	v_ffbh_u32_e32 v56, v56
	v_min_u32_e32 v56, 32, v56
	v_subrev_nc_u32_e32 v58, 28, v56
	v_sub_nc_u32_e32 v56, 29, v56
	v_cndmask_b32_e64 v18, v57, v56, s0
	v_cndmask_b32_e64 v56, 0, v58, s0
	v_lshl_add_u32 v18, v18, 23, 0x3c000000
	v_lshlrev_b64 v[56:57], v56, v[9:10]
	v_lshlrev_b32_e32 v57, 24, v9
	v_lshlrev_b32_e32 v56, 20, v56
	v_and_b32_e32 v57, 0x80000000, v57
	v_and_b32_e32 v56, 0x700000, v56
	v_or3_b32 v56, v56, v57, v18
.LBB322_264:                            ;   in Loop: Header=BB322_167 Depth=1
	s_or_b32 exec_lo, exec_lo, s27
.LBB322_265:                            ;   in Loop: Header=BB322_167 Depth=1
	s_or_b32 exec_lo, exec_lo, s26
.LBB322_266:                            ;   in Loop: Header=BB322_167 Depth=1
	s_or_b32 exec_lo, exec_lo, s22
	v_cmp_ne_u16_sdwa s0, v9, v10 src0_sel:BYTE_1 src1_sel:DWORD
	s_and_saveexec_b32 s22, s0
	s_cbranch_execz .LBB322_274
; %bb.267:                              ;   in Loop: Header=BB322_167 Depth=1
	v_cmp_ne_u16_sdwa s0, v9, v30 src0_sel:BYTE_1 src1_sel:DWORD
	v_bfrev_b32_e32 v17, 1
	s_and_saveexec_b32 s26, s0
	s_cbranch_execz .LBB322_273
; %bb.268:                              ;   in Loop: Header=BB322_167 Depth=1
	v_and_b32_sdwa v18, v31, v9 dst_sel:DWORD dst_unused:UNUSED_PAD src0_sel:DWORD src1_sel:BYTE_1
	v_mov_b32_e32 v17, 0x7f800001
	s_mov_b32 s27, exec_lo
	v_and_b32_e32 v58, 0x7f, v18
	v_cmpx_ne_u32_e32 0x7f, v58
	s_cbranch_execz .LBB322_272
; %bb.269:                              ;   in Loop: Header=BB322_167 Depth=1
	v_and_b32_e32 v17, 7, v18
	v_mov_b32_e32 v18, v10
	v_lshrrev_b32_e32 v57, 3, v58
	s_mov_b32 s28, exec_lo
	v_cmpx_gt_u32_e32 8, v58
; %bb.270:                              ;   in Loop: Header=BB322_167 Depth=1
	v_ffbh_u32_e32 v57, v17
	v_min_u32_e32 v57, 32, v57
	v_subrev_nc_u32_e32 v58, 28, v57
	v_sub_nc_u32_e32 v57, 29, v57
	v_lshlrev_b64 v[17:18], v58, v[17:18]
	v_and_b32_e32 v17, 7, v17
; %bb.271:                              ;   in Loop: Header=BB322_167 Depth=1
	s_or_b32 exec_lo, exec_lo, s28
	v_lshlrev_b32_e32 v9, 16, v9
	v_lshlrev_b32_e32 v17, 20, v17
	v_lshl_add_u32 v18, v57, 23, 0x3c000000
	v_and_b32_e32 v9, 0x80000000, v9
	v_or3_b32 v17, v17, v9, v18
.LBB322_272:                            ;   in Loop: Header=BB322_167 Depth=1
	s_or_b32 exec_lo, exec_lo, s27
.LBB322_273:                            ;   in Loop: Header=BB322_167 Depth=1
	s_or_b32 exec_lo, exec_lo, s26
.LBB322_274:                            ;   in Loop: Header=BB322_167 Depth=1
	s_or_b32 exec_lo, exec_lo, s22
	v_and_b32_sdwa v9, v16, v32 dst_sel:DWORD dst_unused:UNUSED_PAD src0_sel:WORD_1 src1_sel:DWORD
	v_mov_b32_e32 v18, 0
	v_mov_b32_e32 v57, 0
	s_mov_b32 s22, exec_lo
	v_cmpx_ne_u16_e32 0, v9
	s_cbranch_execz .LBB322_282
; %bb.275:                              ;   in Loop: Header=BB322_167 Depth=1
	v_bfrev_b32_e32 v57, 1
	s_mov_b32 s26, exec_lo
	v_cmpx_ne_u16_e32 0x80, v9
	s_cbranch_execz .LBB322_281
; %bb.276:                              ;   in Loop: Header=BB322_167 Depth=1
	v_bfe_u32 v58, v16, 16, 7
	v_mov_b32_e32 v57, 0x7f800001
	s_mov_b32 s27, exec_lo
	v_cmpx_ne_u32_e32 0x7f, v58
	s_cbranch_execz .LBB322_280
; %bb.277:                              ;   in Loop: Header=BB322_167 Depth=1
	v_and_b32_sdwa v9, v16, v33 dst_sel:DWORD dst_unused:UNUSED_PAD src0_sel:WORD_1 src1_sel:DWORD
	v_lshrrev_b32_e32 v57, 3, v58
	s_mov_b32 s28, exec_lo
	v_cmpx_gt_u32_e32 8, v58
; %bb.278:                              ;   in Loop: Header=BB322_167 Depth=1
	v_ffbh_u32_e32 v57, v9
	v_min_u32_e32 v57, 32, v57
	v_subrev_nc_u32_e32 v58, 28, v57
	v_sub_nc_u32_e32 v57, 29, v57
	v_lshlrev_b64 v[58:59], v58, v[9:10]
	v_and_b32_e32 v9, 7, v58
; %bb.279:                              ;   in Loop: Header=BB322_167 Depth=1
	s_or_b32 exec_lo, exec_lo, s28
	v_lshlrev_b32_sdwa v58, v34, v16 dst_sel:DWORD dst_unused:UNUSED_PAD src0_sel:DWORD src1_sel:WORD_1
	v_lshlrev_b32_e32 v9, 20, v9
	v_lshl_add_u32 v57, v57, 23, 0x3c000000
	v_and_b32_e32 v58, 0x80000000, v58
	v_or3_b32 v57, v9, v58, v57
.LBB322_280:                            ;   in Loop: Header=BB322_167 Depth=1
	s_or_b32 exec_lo, exec_lo, s27
.LBB322_281:                            ;   in Loop: Header=BB322_167 Depth=1
	s_or_b32 exec_lo, exec_lo, s26
.LBB322_282:                            ;   in Loop: Header=BB322_167 Depth=1
	s_or_b32 exec_lo, exec_lo, s22
	s_mov_b32 s22, exec_lo
	v_cmpx_lt_u64_e64 s[2:3], v[15:16]
	s_cbranch_execz .LBB322_290
; %bb.283:                              ;   in Loop: Header=BB322_167 Depth=1
	v_cmp_ne_u32_sdwa s0, v16, v30 src0_sel:BYTE_3 src1_sel:DWORD
	v_bfrev_b32_e32 v18, 1
	s_and_saveexec_b32 s26, s0
	s_cbranch_execz .LBB322_289
; %bb.284:                              ;   in Loop: Header=BB322_167 Depth=1
	v_bfe_u32 v58, v16, 24, 7
	v_mov_b32_e32 v18, 0x7f800001
	s_mov_b32 s27, exec_lo
	v_cmpx_ne_u32_e32 0x7f, v58
	s_cbranch_execz .LBB322_288
; %bb.285:                              ;   in Loop: Header=BB322_167 Depth=1
	v_and_b32_sdwa v9, v16, v33 dst_sel:DWORD dst_unused:UNUSED_PAD src0_sel:BYTE_3 src1_sel:DWORD
	v_lshrrev_b32_e32 v15, 3, v58
	s_mov_b32 s28, exec_lo
	v_cmpx_gt_u32_e32 8, v58
; %bb.286:                              ;   in Loop: Header=BB322_167 Depth=1
	v_ffbh_u32_e32 v15, v9
	v_min_u32_e32 v15, 32, v15
	v_subrev_nc_u32_e32 v18, 28, v15
	v_sub_nc_u32_e32 v15, 29, v15
	v_lshlrev_b64 v[58:59], v18, v[9:10]
	v_and_b32_e32 v9, 7, v58
; %bb.287:                              ;   in Loop: Header=BB322_167 Depth=1
	s_or_b32 exec_lo, exec_lo, s28
	v_lshlrev_b32_sdwa v16, v34, v16 dst_sel:DWORD dst_unused:UNUSED_PAD src0_sel:DWORD src1_sel:BYTE_3
	v_lshlrev_b32_e32 v9, 20, v9
	v_lshl_add_u32 v15, v15, 23, 0x3c000000
	v_and_b32_e32 v16, 0x80000000, v16
	v_or3_b32 v18, v9, v16, v15
.LBB322_288:                            ;   in Loop: Header=BB322_167 Depth=1
	s_or_b32 exec_lo, exec_lo, s27
.LBB322_289:                            ;   in Loop: Header=BB322_167 Depth=1
	s_or_b32 exec_lo, exec_lo, s26
.LBB322_290:                            ;   in Loop: Header=BB322_167 Depth=1
	s_or_b32 exec_lo, exec_lo, s22
	v_mul_f32_e32 v9, s21, v17
	v_mul_f32_e32 v15, s21, v56
	v_mul_f32_e32 v17, s21, v54
	v_mul_f32_e32 v16, s21, v55
	v_mul_f32_e32 v53, s21, v53
	v_bfe_u32 v54, v9, 16, 1
	v_or_b32_e32 v55, 0x400000, v9
	v_bfe_u32 v56, v15, 16, 1
	v_cmp_u_f32_e64 s0, v9, v9
	v_or_b32_e32 v58, 0x400000, v15
	v_add3_u32 v54, v54, v9, 0x7fff
	v_bfe_u32 v59, v16, 16, 1
	v_add3_u32 v56, v56, v15, 0x7fff
	v_or_b32_e32 v60, 0x400000, v16
	v_bfe_u32 v61, v17, 16, 1
	v_cndmask_b32_e64 v9, v54, v55, s0
	v_cmp_u_f32_e64 s0, v15, v15
	v_add3_u32 v59, v59, v16, 0x7fff
	v_or_b32_e32 v55, 0x400000, v17
	v_add3_u32 v54, v61, v17, 0x7fff
	v_mul_f32_e32 v52, s21, v52
	v_cndmask_b32_e64 v15, v56, v58, s0
	v_cmp_u_f32_e64 s0, v16, v16
	v_bfe_u32 v56, v53, 16, 1
	v_mul_f32_e32 v18, s21, v18
	v_lshrrev_b32_e32 v9, 16, v9
	v_lshrrev_b32_e32 v15, 16, v15
	v_cndmask_b32_e64 v16, v59, v60, s0
	v_cmp_u_f32_e64 s0, v17, v17
	v_or_b32_e32 v60, 0x400000, v18
	v_lshrrev_b32_e32 v16, 16, v16
	v_cndmask_b32_e64 v17, v54, v55, s0
	v_mul_f32_e32 v54, s21, v57
	v_add3_u32 v55, v56, v53, 0x7fff
	v_or_b32_e32 v56, 0x400000, v53
	v_bfe_u32 v57, v52, 16, 1
	v_cmp_u_f32_e64 s0, v53, v53
	v_bfe_u32 v58, v54, 16, 1
	v_or_b32_e32 v59, 0x400000, v54
	v_cndmask_b32_e64 v53, v55, v56, s0
	v_add3_u32 v56, v57, v52, 0x7fff
	v_or_b32_e32 v57, 0x400000, v52
	v_cmp_u_f32_e64 s0, v52, v52
	v_bfe_u32 v55, v18, 16, 1
	v_add3_u32 v58, v58, v54, 0x7fff
	v_lshrrev_b32_e32 v52, 16, v17
	v_lshrrev_b32_e32 v53, 16, v53
	v_cndmask_b32_e64 v56, v56, v57, s0
	v_cmp_u_f32_e64 s0, v54, v54
	v_add3_u32 v55, v55, v18, 0x7fff
	v_lshrrev_b32_e32 v54, 16, v56
	v_cndmask_b32_e64 v57, v58, v59, s0
	v_cmp_u_f32_e64 s0, v18, v18
	v_lshrrev_b32_e32 v18, 16, v57
	v_cndmask_b32_e64 v55, v55, v60, s0
	v_lshrrev_b32_e32 v17, 16, v55
	s_and_saveexec_b32 s0, vcc_lo
	s_cbranch_execz .LBB322_165
; %bb.291:                              ;   in Loop: Header=BB322_167 Depth=1
	v_cmp_gt_i32_e32 vcc_lo, s33, v43
	v_cndmask_b32_e32 v54, 0, v54, vcc_lo
	v_cmp_gt_i32_e32 vcc_lo, s33, v51
	v_cndmask_b32_e32 v53, 0, v53, vcc_lo
	;; [unrolled: 2-line block ×8, first 2 shown]
	s_branch .LBB322_165
.LBB322_292:
	s_or_b32 exec_lo, exec_lo, s17
.LBB322_293:
	s_or_b32 exec_lo, exec_lo, s1
	ds_bpermute_b32 v1, v26, v28
	ds_bpermute_b32 v5, v26, v29
	v_lshrrev_b32_e32 v3, 1, v25
	v_and_b32_e32 v6, 0x3c1, v0
	s_mov_b32 s0, exec_lo
	s_waitcnt lgkmcnt(0)
	s_barrier
	v_lshl_add_u32 v4, v3, 2, 0x60
	buffer_gl0_inv
	v_add_f32_e32 v2, v28, v1
	v_add_f32_e32 v1, v29, v5
	v_cmpx_eq_u32_e32 64, v6
	s_cbranch_execz .LBB322_295
; %bb.294:
	v_lshl_add_u32 v5, v23, 7, v4
	v_add_nc_u32_e32 v6, 0xffffff00, v5
	v_add_nc_u32_e32 v5, 0xffffff40, v5
	ds_write_b32 v6, v2
	ds_write_b32 v5, v1
.LBB322_295:
	s_or_b32 exec_lo, exec_lo, s0
	v_and_b32_e32 v5, 0x3e0, v0
	v_lshlrev_b32_e32 v3, 2, v3
	s_mov_b32 s1, exec_lo
	v_cmp_eq_u32_e32 vcc_lo, 0, v22
	s_waitcnt lgkmcnt(0)
	v_lshlrev_b32_e32 v5, 2, v5
	s_barrier
	buffer_gl0_inv
	v_add3_u32 v3, 0x60, v5, v3
	v_cmpx_gt_u32_e32 64, v0
	s_cbranch_execz .LBB322_301
; %bb.296:
	s_and_saveexec_b32 s0, vcc_lo
	s_cbranch_execz .LBB322_298
; %bb.297:
	ds_read_b32 v5, v3
	s_waitcnt lgkmcnt(0)
	v_add_f32_e32 v2, v2, v5
.LBB322_298:
	s_or_b32 exec_lo, exec_lo, s0
	s_and_saveexec_b32 s0, vcc_lo
	s_cbranch_execz .LBB322_300
; %bb.299:
	ds_read_b32 v5, v3 offset:64
	s_waitcnt lgkmcnt(0)
	v_add_f32_e32 v1, v1, v5
.LBB322_300:
	s_or_b32 exec_lo, exec_lo, s0
.LBB322_301:
	s_or_b32 exec_lo, exec_lo, s1
	v_and_b32_e32 v5, 0x3e1, v0
	s_mov_b32 s1, exec_lo
	s_barrier
	buffer_gl0_inv
	v_cmpx_eq_u32_e32 32, v5
; %bb.302:
	ds_write2_b32 v4, v2, v1 offset1:16
; %bb.303:
	s_or_b32 exec_lo, exec_lo, s1
	s_mov_b32 s1, exec_lo
	s_waitcnt lgkmcnt(0)
	s_barrier
	buffer_gl0_inv
	v_cmpx_gt_u32_e32 32, v0
	s_cbranch_execz .LBB322_309
; %bb.304:
	s_and_saveexec_b32 s0, vcc_lo
	s_cbranch_execz .LBB322_306
; %bb.305:
	ds_read_b32 v0, v3
	s_waitcnt lgkmcnt(0)
	v_add_f32_e32 v2, v2, v0
.LBB322_306:
	s_or_b32 exec_lo, exec_lo, s0
	s_and_saveexec_b32 s0, vcc_lo
	s_cbranch_execz .LBB322_308
; %bb.307:
	ds_read_b32 v0, v3 offset:64
	s_waitcnt lgkmcnt(0)
	v_add_f32_e32 v1, v1, v0
.LBB322_308:
	s_or_b32 exec_lo, exec_lo, s0
.LBB322_309:
	s_or_b32 exec_lo, exec_lo, s1
	s_barrier
	buffer_gl0_inv
	s_mov_b32 s0, exec_lo
	v_cmpx_eq_u32_e32 0, v5
	s_cbranch_execz .LBB322_311
; %bb.310:
	s_mul_i32 s0, s10, s11
	v_bfe_u32 v0, v2, 16, 1
	s_mul_i32 s0, s0, s9
	s_mul_i32 s2, s11, s24
	s_lshl_b32 s0, s0, 5
	v_or_b32_e32 v3, 0x400000, v2
	s_ashr_i32 s1, s0, 31
	v_bfe_u32 v4, v1, 16, 1
	s_lshl_b64 s[0:1], s[0:1], 1
	v_add3_u32 v0, v0, v2, 0x7fff
	s_add_u32 s4, s6, s0
	s_addc_u32 s5, s7, s1
	s_ashr_i32 s3, s2, 31
	v_cmp_u_f32_e32 vcc_lo, v2, v2
	s_lshl_b64 s[0:1], s[2:3], 1
	v_or_b32_e32 v5, 0x400000, v1
	s_add_u32 s2, s4, s0
	s_addc_u32 s3, s5, s1
	s_lshl_b32 s0, s8, 5
	v_add3_u32 v4, v4, v1, 0x7fff
	v_cndmask_b32_e32 v0, v0, v3, vcc_lo
	v_cmp_u_f32_e32 vcc_lo, v1, v1
	s_ashr_i32 s1, s0, 31
	v_lshlrev_b32_e32 v2, 1, v21
	s_lshl_b64 s[0:1], s[0:1], 1
	v_cndmask_b32_e32 v1, v4, v5, vcc_lo
	s_add_u32 s0, s2, s0
	s_addc_u32 s1, s3, s1
	global_store_short_d16_hi v2, v0, s[0:1]
	global_store_short_d16_hi v2, v1, s[0:1] offset:32
.LBB322_311:
	s_endpgm
	.section	.rodata,"a",@progbits
	.p2align	6, 0x0
	.amdhsa_kernel _ZN4vllm25paged_attention_v1_kernelI14__hip_bfloat16hLi32ELi16ELi128ELNS_18Fp8KVCacheDataTypeE1ELb1EEEvPT_PKS3_PKT0_S9_ifPKiSB_iPKfiiiSD_SD_iiiii
		.amdhsa_group_segment_fixed_size 96
		.amdhsa_private_segment_fixed_size 0
		.amdhsa_kernarg_size 384
		.amdhsa_user_sgpr_count 6
		.amdhsa_user_sgpr_private_segment_buffer 1
		.amdhsa_user_sgpr_dispatch_ptr 0
		.amdhsa_user_sgpr_queue_ptr 0
		.amdhsa_user_sgpr_kernarg_segment_ptr 1
		.amdhsa_user_sgpr_dispatch_id 0
		.amdhsa_user_sgpr_flat_scratch_init 0
		.amdhsa_user_sgpr_private_segment_size 0
		.amdhsa_wavefront_size32 1
		.amdhsa_uses_dynamic_stack 0
		.amdhsa_system_sgpr_private_segment_wavefront_offset 0
		.amdhsa_system_sgpr_workgroup_id_x 1
		.amdhsa_system_sgpr_workgroup_id_y 1
		.amdhsa_system_sgpr_workgroup_id_z 1
		.amdhsa_system_sgpr_workgroup_info 0
		.amdhsa_system_vgpr_workitem_id 0
		.amdhsa_next_free_vgpr 64
		.amdhsa_next_free_sgpr 45
		.amdhsa_reserve_vcc 1
		.amdhsa_reserve_flat_scratch 0
		.amdhsa_float_round_mode_32 0
		.amdhsa_float_round_mode_16_64 0
		.amdhsa_float_denorm_mode_32 3
		.amdhsa_float_denorm_mode_16_64 3
		.amdhsa_dx10_clamp 1
		.amdhsa_ieee_mode 1
		.amdhsa_fp16_overflow 0
		.amdhsa_workgroup_processor_mode 1
		.amdhsa_memory_ordered 1
		.amdhsa_forward_progress 1
		.amdhsa_shared_vgpr_count 0
		.amdhsa_exception_fp_ieee_invalid_op 0
		.amdhsa_exception_fp_denorm_src 0
		.amdhsa_exception_fp_ieee_div_zero 0
		.amdhsa_exception_fp_ieee_overflow 0
		.amdhsa_exception_fp_ieee_underflow 0
		.amdhsa_exception_fp_ieee_inexact 0
		.amdhsa_exception_int_div_zero 0
	.end_amdhsa_kernel
	.section	.text._ZN4vllm25paged_attention_v1_kernelI14__hip_bfloat16hLi32ELi16ELi128ELNS_18Fp8KVCacheDataTypeE1ELb1EEEvPT_PKS3_PKT0_S9_ifPKiSB_iPKfiiiSD_SD_iiiii,"axG",@progbits,_ZN4vllm25paged_attention_v1_kernelI14__hip_bfloat16hLi32ELi16ELi128ELNS_18Fp8KVCacheDataTypeE1ELb1EEEvPT_PKS3_PKT0_S9_ifPKiSB_iPKfiiiSD_SD_iiiii,comdat
.Lfunc_end322:
	.size	_ZN4vllm25paged_attention_v1_kernelI14__hip_bfloat16hLi32ELi16ELi128ELNS_18Fp8KVCacheDataTypeE1ELb1EEEvPT_PKS3_PKT0_S9_ifPKiSB_iPKfiiiSD_SD_iiiii, .Lfunc_end322-_ZN4vllm25paged_attention_v1_kernelI14__hip_bfloat16hLi32ELi16ELi128ELNS_18Fp8KVCacheDataTypeE1ELb1EEEvPT_PKS3_PKT0_S9_ifPKiSB_iPKfiiiSD_SD_iiiii
                                        ; -- End function
	.set _ZN4vllm25paged_attention_v1_kernelI14__hip_bfloat16hLi32ELi16ELi128ELNS_18Fp8KVCacheDataTypeE1ELb1EEEvPT_PKS3_PKT0_S9_ifPKiSB_iPKfiiiSD_SD_iiiii.num_vgpr, 64
	.set _ZN4vllm25paged_attention_v1_kernelI14__hip_bfloat16hLi32ELi16ELi128ELNS_18Fp8KVCacheDataTypeE1ELb1EEEvPT_PKS3_PKT0_S9_ifPKiSB_iPKfiiiSD_SD_iiiii.num_agpr, 0
	.set _ZN4vllm25paged_attention_v1_kernelI14__hip_bfloat16hLi32ELi16ELi128ELNS_18Fp8KVCacheDataTypeE1ELb1EEEvPT_PKS3_PKT0_S9_ifPKiSB_iPKfiiiSD_SD_iiiii.numbered_sgpr, 45
	.set _ZN4vllm25paged_attention_v1_kernelI14__hip_bfloat16hLi32ELi16ELi128ELNS_18Fp8KVCacheDataTypeE1ELb1EEEvPT_PKS3_PKT0_S9_ifPKiSB_iPKfiiiSD_SD_iiiii.num_named_barrier, 0
	.set _ZN4vllm25paged_attention_v1_kernelI14__hip_bfloat16hLi32ELi16ELi128ELNS_18Fp8KVCacheDataTypeE1ELb1EEEvPT_PKS3_PKT0_S9_ifPKiSB_iPKfiiiSD_SD_iiiii.private_seg_size, 0
	.set _ZN4vllm25paged_attention_v1_kernelI14__hip_bfloat16hLi32ELi16ELi128ELNS_18Fp8KVCacheDataTypeE1ELb1EEEvPT_PKS3_PKT0_S9_ifPKiSB_iPKfiiiSD_SD_iiiii.uses_vcc, 1
	.set _ZN4vllm25paged_attention_v1_kernelI14__hip_bfloat16hLi32ELi16ELi128ELNS_18Fp8KVCacheDataTypeE1ELb1EEEvPT_PKS3_PKT0_S9_ifPKiSB_iPKfiiiSD_SD_iiiii.uses_flat_scratch, 0
	.set _ZN4vllm25paged_attention_v1_kernelI14__hip_bfloat16hLi32ELi16ELi128ELNS_18Fp8KVCacheDataTypeE1ELb1EEEvPT_PKS3_PKT0_S9_ifPKiSB_iPKfiiiSD_SD_iiiii.has_dyn_sized_stack, 0
	.set _ZN4vllm25paged_attention_v1_kernelI14__hip_bfloat16hLi32ELi16ELi128ELNS_18Fp8KVCacheDataTypeE1ELb1EEEvPT_PKS3_PKT0_S9_ifPKiSB_iPKfiiiSD_SD_iiiii.has_recursion, 0
	.set _ZN4vllm25paged_attention_v1_kernelI14__hip_bfloat16hLi32ELi16ELi128ELNS_18Fp8KVCacheDataTypeE1ELb1EEEvPT_PKS3_PKT0_S9_ifPKiSB_iPKfiiiSD_SD_iiiii.has_indirect_call, 0
	.section	.AMDGPU.csdata,"",@progbits
; Kernel info:
; codeLenInByte = 12532
; TotalNumSgprs: 47
; NumVgprs: 64
; ScratchSize: 0
; MemoryBound: 0
; FloatMode: 240
; IeeeMode: 1
; LDSByteSize: 96 bytes/workgroup (compile time only)
; SGPRBlocks: 0
; VGPRBlocks: 7
; NumSGPRsForWavesPerEU: 47
; NumVGPRsForWavesPerEU: 64
; Occupancy: 16
; WaveLimiterHint : 1
; COMPUTE_PGM_RSRC2:SCRATCH_EN: 0
; COMPUTE_PGM_RSRC2:USER_SGPR: 6
; COMPUTE_PGM_RSRC2:TRAP_HANDLER: 0
; COMPUTE_PGM_RSRC2:TGID_X_EN: 1
; COMPUTE_PGM_RSRC2:TGID_Y_EN: 1
; COMPUTE_PGM_RSRC2:TGID_Z_EN: 1
; COMPUTE_PGM_RSRC2:TIDIG_COMP_CNT: 0
	.section	.text._ZN4vllm25paged_attention_v1_kernelI14__hip_bfloat16hLi64ELi16ELi128ELNS_18Fp8KVCacheDataTypeE1ELb1EEEvPT_PKS3_PKT0_S9_ifPKiSB_iPKfiiiSD_SD_iiiii,"axG",@progbits,_ZN4vllm25paged_attention_v1_kernelI14__hip_bfloat16hLi64ELi16ELi128ELNS_18Fp8KVCacheDataTypeE1ELb1EEEvPT_PKS3_PKT0_S9_ifPKiSB_iPKfiiiSD_SD_iiiii,comdat
	.protected	_ZN4vllm25paged_attention_v1_kernelI14__hip_bfloat16hLi64ELi16ELi128ELNS_18Fp8KVCacheDataTypeE1ELb1EEEvPT_PKS3_PKT0_S9_ifPKiSB_iPKfiiiSD_SD_iiiii ; -- Begin function _ZN4vllm25paged_attention_v1_kernelI14__hip_bfloat16hLi64ELi16ELi128ELNS_18Fp8KVCacheDataTypeE1ELb1EEEvPT_PKS3_PKT0_S9_ifPKiSB_iPKfiiiSD_SD_iiiii
	.globl	_ZN4vllm25paged_attention_v1_kernelI14__hip_bfloat16hLi64ELi16ELi128ELNS_18Fp8KVCacheDataTypeE1ELb1EEEvPT_PKS3_PKT0_S9_ifPKiSB_iPKfiiiSD_SD_iiiii
	.p2align	8
	.type	_ZN4vllm25paged_attention_v1_kernelI14__hip_bfloat16hLi64ELi16ELi128ELNS_18Fp8KVCacheDataTypeE1ELb1EEEvPT_PKS3_PKT0_S9_ifPKiSB_iPKfiiiSD_SD_iiiii,@function
_ZN4vllm25paged_attention_v1_kernelI14__hip_bfloat16hLi64ELi16ELi128ELNS_18Fp8KVCacheDataTypeE1ELb1EEEvPT_PKS3_PKT0_S9_ifPKiSB_iPKfiiiSD_SD_iiiii: ; @_ZN4vllm25paged_attention_v1_kernelI14__hip_bfloat16hLi64ELi16ELi128ELNS_18Fp8KVCacheDataTypeE1ELb1EEEvPT_PKS3_PKT0_S9_ifPKiSB_iPKfiiiSD_SD_iiiii
; %bb.0:
	s_clause 0x2
	s_load_dword s9, s[4:5], 0x80
	s_load_dwordx2 s[0:1], s[4:5], 0x30
	s_load_dwordx2 s[34:35], s[4:5], 0x20
	s_mov_b32 s10, s7
	s_ashr_i32 s11, s7, 31
	s_mov_b32 s36, 0
	s_lshl_b64 s[2:3], s[10:11], 2
	s_waitcnt lgkmcnt(0)
	s_add_u32 s0, s0, s2
	s_addc_u32 s1, s1, s3
	s_abs_i32 s2, s34
	s_abs_i32 s11, s9
	v_cvt_f32_u32_e32 v1, s2
	s_sub_i32 s7, 0, s2
	v_rcp_iflag_f32_e32 v1, v1
	v_mul_f32_e32 v1, 0x4f7ffffe, v1
	v_cvt_u32_f32_e32 v1, v1
	v_readfirstlane_b32 s3, v1
	s_mul_i32 s7, s7, s3
	s_mul_hi_u32 s7, s3, s7
	s_add_i32 s3, s3, s7
	s_xor_b32 s7, s9, s34
	s_mul_hi_u32 s3, s11, s3
	s_ashr_i32 s7, s7, 31
	s_mul_i32 s12, s3, s2
	s_sub_i32 s11, s11, s12
	s_add_i32 s12, s3, 1
	s_sub_i32 s13, s11, s2
	s_cmp_ge_u32 s11, s2
	s_cselect_b32 s3, s12, s3
	s_cselect_b32 s11, s13, s11
	s_add_i32 s12, s3, 1
	s_cmp_ge_u32 s11, s2
	s_cselect_b32 s2, s12, s3
	s_xor_b32 s2, s2, s7
	s_sub_i32 s14, s2, s7
	s_load_dwordx2 s[2:3], s[4:5], 0x40
	s_abs_i32 s11, s14
	v_cvt_f32_u32_e32 v1, s11
	s_sub_i32 s12, 0, s11
	v_rcp_iflag_f32_e32 v1, v1
	v_mul_f32_e32 v1, 0x4f7ffffe, v1
	v_cvt_u32_f32_e32 v1, v1
	v_readfirstlane_b32 s7, v1
	s_mul_i32 s12, s12, s7
	s_mul_hi_u32 s13, s7, s12
	s_abs_i32 s12, s6
	s_add_i32 s7, s7, s13
	s_waitcnt lgkmcnt(0)
	s_cmp_eq_u64 s[2:3], 0
	s_mul_hi_u32 s13, s12, s7
	s_cbranch_scc1 .LBB323_2
; %bb.1:
	s_ashr_i32 s7, s6, 31
	s_lshl_b64 s[16:17], s[6:7], 2
	s_add_u32 s2, s2, s16
	s_addc_u32 s3, s3, s17
	s_load_dword s36, s[2:3], 0x0
.LBB323_2:
	s_load_dword s33, s[0:1], 0x0
	s_load_dwordx4 s[16:19], s[4:5], 0x48
	v_lshrrev_b32_e32 v25, 1, v0
	v_and_b32_e32 v26, 1, v0
	v_lshlrev_b32_e32 v32, 3, v0
	s_ashr_i32 s0, s6, 31
	s_ashr_i32 s1, s14, 31
	s_lshl_b32 s24, s6, 6
	s_mov_b32 s2, exec_lo
	v_cmpx_gt_u32_e32 16, v0
	s_cbranch_execz .LBB323_4
; %bb.3:
	s_load_dwordx2 s[14:15], s[4:5], 0x8
	s_waitcnt lgkmcnt(0)
	s_mul_i32 s20, s16, s10
	v_lshlrev_b32_e32 v3, 3, v25
	s_ashr_i32 s21, s20, 31
	s_lshl_b64 s[20:21], s[20:21], 1
	v_lshl_add_u32 v3, v26, 6, v3
	s_add_u32 s3, s14, s20
	s_addc_u32 s7, s15, s21
	s_ashr_i32 s25, s24, 31
	s_lshl_b64 s[14:15], s[24:25], 1
	s_add_u32 s14, s3, s14
	s_addc_u32 s15, s7, s15
	global_load_dwordx2 v[1:2], v32, s[14:15]
	s_waitcnt vmcnt(0)
	ds_write_b64 v3, v[1:2]
.LBB323_4:
	s_or_b32 exec_lo, exec_lo, s2
	s_load_dwordx4 s[20:23], s[4:5], 0x68
	s_mul_i32 s2, s13, s11
	s_xor_b32 s1, s0, s1
	s_sub_i32 s0, s12, s2
	s_add_i32 s2, s13, 1
	s_sub_i32 s3, s0, s11
	s_cmp_ge_u32 s0, s11
	s_mov_b32 s12, -1
	s_cselect_b32 s2, s2, s13
	s_cselect_b32 s0, s3, s0
	s_add_i32 s3, s2, 1
	s_cmp_ge_u32 s0, s11
	s_load_dword s0, s[4:5], 0x78
	s_cselect_b32 s2, s3, s2
	s_waitcnt lgkmcnt(0)
	s_add_i32 s7, s33, -1
	s_xor_b32 s2, s2, s1
	s_abs_i32 s3, s7
	s_sub_i32 s1, s2, s1
	s_barrier
	s_abs_i32 s16, s23
	buffer_gl0_inv
	v_cvt_f32_u32_e32 v1, s16
	s_sub_i32 s2, 0, s16
                                        ; implicit-def: $sgpr25
	v_rcp_iflag_f32_e32 v1, v1
	v_mul_f32_e32 v1, 0x4f7ffffe, v1
	v_cvt_u32_f32_e32 v1, v1
	v_readfirstlane_b32 s19, v1
	s_mul_i32 s2, s2, s19
	s_mul_hi_u32 s2, s19, s2
	s_add_i32 s19, s19, s2
	s_cmp_lt_i32 s0, 0
	s_mul_hi_u32 s2, s3, s19
	s_cbranch_scc0 .LBB323_6
; %bb.5:
	s_mul_i32 s11, s20, s34
	s_mov_b32 s12, 0
	s_add_i32 s11, s1, s11
	s_mul_i32 s11, s11, s0
	s_sub_i32 s25, 1, s11
.LBB323_6:
	s_load_dwordx2 s[26:27], s[4:5], 0x28
	s_ashr_i32 s11, s7, 31
	s_andn2_b32 vcc_lo, exec_lo, s12
	s_ashr_i32 s23, s23, 31
	s_cbranch_vccnz .LBB323_8
; %bb.7:
	s_mul_i32 s7, s9, s20
	s_add_i32 s6, s7, s6
	s_mul_i32 s0, s6, s0
	s_add_i32 s25, s0, 1
.LBB323_8:
	s_clause 0x2
	s_load_dword s0, s[4:5], 0x38
	s_load_dwordx2 s[6:7], s[4:5], 0x0
	s_load_dwordx2 s[30:31], s[4:5], 0x18
	s_xor_b32 s34, s11, s23
	s_mul_i32 s11, s2, s16
	s_add_i32 s20, s2, 1
	s_sub_i32 s3, s3, s11
	s_clause 0x1
	s_load_dword s11, s[4:5], 0x88
	s_load_dwordx4 s[12:15], s[4:5], 0x58
	v_lshrrev_b32_e32 v27, 5, v0
	v_mov_b32_e32 v34, 0xff7fffff
	v_lshrrev_b32_e32 v33, 3, v0
	v_mbcnt_lo_u32_b32 v29, -1, 0
	s_mul_i32 s18, s1, s18
	v_lshlrev_b32_e32 v28, 4, v27
	s_waitcnt lgkmcnt(0)
	s_mul_i32 s28, s0, s10
	s_sub_i32 s0, s3, s16
	s_ashr_i32 s29, s28, 31
	s_cmp_ge_u32 s3, s16
	s_cselect_b32 s2, s20, s2
	s_cselect_b32 s0, s0, s3
	s_add_i32 s3, s2, 1
	s_cmp_ge_u32 s0, s16
	s_cselect_b32 s0, s3, s2
	s_add_i32 s2, s33, 15
	s_ashr_i32 s3, s2, 31
	s_lshr_b32 s3, s3, 28
	s_add_i32 s2, s2, s3
	s_ashr_i32 s20, s2, 4
	s_xor_b32 s2, s0, s34
	v_cmp_gt_i32_e64 s0, s20, v27
	s_sub_i32 s34, s2, s34
	s_and_saveexec_b32 s37, s0
	s_cbranch_execz .LBB323_276
; %bb.9:
	s_load_dwordx2 s[2:3], s[4:5], 0x10
	s_sub_i32 s4, s34, s21
	s_ashr_i32 s1, s18, 31
	v_bfe_u32 v30, v0, 1, 4
	v_and_b32_e32 v3, 0x7c, v33
	v_lshlrev_b32_e32 v2, 2, v26
	v_mov_b32_e32 v18, 0
	v_lshlrev_b32_e32 v31, 6, v26
	v_lshlrev_b32_e32 v4, 2, v30
	v_subrev_nc_u32_e32 v5, s33, v30
	v_lshlrev_b32_e32 v6, 4, v30
	v_lshlrev_b32_e32 v35, 4, v27
	v_mov_b32_e32 v36, 0xff7fffff
	v_lshl_or_b32 v4, v27, 6, v4
	v_add_nc_u32_e32 v42, 1, v5
	v_mov_b32_e32 v37, 0x80
	v_mov_b32_e32 v38, 0xffff
	;; [unrolled: 1-line block ×3, first 2 shown]
	v_add_nc_u32_e32 v43, 0xa0, v4
	v_mov_b32_e32 v40, 7
	s_waitcnt lgkmcnt(0)
	s_add_u32 s38, s2, s18
	s_addc_u32 s39, s3, s1
	s_abs_i32 s5, s22
	v_add_co_u32 v5, s38, s38, v6
	v_cvt_f32_u32_e32 v1, s5
	s_sub_i32 s2, 0, s5
	v_add_co_ci_u32_e64 v6, null, s39, 0, s38
	v_cmp_neq_f32_e64 s1, s36, 0
	v_rcp_iflag_f32_e32 v1, v1
	v_mov_b32_e32 v41, 24
	v_mov_b32_e32 v34, 0xff7fffff
	;; [unrolled: 1-line block ×3, first 2 shown]
	s_mov_b32 s38, 0
	s_mov_b32 s39, s17
	v_cmp_eq_u32_e32 vcc_lo, 0, v26
	v_mul_f32_e32 v1, 0x4f7ffffe, v1
	v_cvt_u32_f32_e32 v1, v1
	v_mul_lo_u32 v4, s2, v1
	s_lshl_b64 s[2:3], s[28:29], 2
	s_add_u32 s2, s26, s2
	s_addc_u32 s3, s27, s3
	v_add_co_u32 v19, s2, s2, v3
	v_add_co_ci_u32_e64 v20, null, s3, 0, s2
	v_mul_hi_u32 v4, v1, v4
	v_add_co_u32 v21, s2, v5, v2
	v_add_co_ci_u32_e64 v22, null, 0, v6, s2
	v_add_nc_u32_e32 v44, v1, v4
	s_branch .LBB323_12
.LBB323_10:                             ;   in Loop: Header=BB323_12 Depth=1
	s_or_b32 exec_lo, exec_lo, s40
.LBB323_11:                             ;   in Loop: Header=BB323_12 Depth=1
	s_or_b32 exec_lo, exec_lo, s3
	v_add_nc_u32_e32 v45, 4, v45
	v_add_co_u32 v19, s3, v19, 16
	v_add_co_ci_u32_e64 v20, null, 0, v20, s3
	v_cmp_le_i32_e64 s2, s20, v45
	v_add_nc_u32_e32 v35, 64, v35
	v_add_nc_u32_e32 v43, 0x100, v43
	s_or_b32 s38, s2, s38
	s_andn2_b32 exec_lo, exec_lo, s38
	s_cbranch_execz .LBB323_275
.LBB323_12:                             ; =>This Inner Loop Header: Depth=1
	v_mul_hi_u32 v1, v35, s19
	s_waitcnt lgkmcnt(0)
	v_mul_lo_u32 v2, v1, s16
	v_add_nc_u32_e32 v3, 1, v1
	v_sub_nc_u32_e32 v2, v35, v2
	v_subrev_nc_u32_e32 v4, s16, v2
	v_cmp_le_u32_e64 s2, s16, v2
	v_cndmask_b32_e64 v1, v1, v3, s2
	v_cndmask_b32_e64 v2, v2, v4, s2
	v_add_nc_u32_e32 v3, 1, v1
	v_cmp_le_u32_e64 s2, s16, v2
	v_cndmask_b32_e64 v1, v1, v3, s2
	v_xor_b32_e32 v1, s23, v1
	v_subrev_nc_u32_e32 v1, s23, v1
	v_add_nc_u32_e32 v2, s25, v1
	v_cmp_ge_i32_e64 s3, s4, v1
	v_sub_nc_u32_e32 v3, 0, v2
	v_max_i32_e32 v3, v2, v3
	v_ashrrev_i32_e32 v2, 31, v2
	v_mul_hi_u32 v4, v3, v44
	v_mul_lo_u32 v4, v4, s5
	v_sub_nc_u32_e32 v3, v3, v4
	v_subrev_nc_u32_e32 v4, s5, v3
	v_cmp_le_u32_e64 s2, s5, v3
	v_cndmask_b32_e64 v3, v3, v4, s2
	v_subrev_nc_u32_e32 v4, s5, v3
	v_cmp_le_u32_e64 s2, s5, v3
	v_cndmask_b32_e64 v3, v3, v4, s2
	v_xor_b32_e32 v3, v3, v2
	v_sub_nc_u32_e32 v2, v3, v2
	v_cmp_ne_u32_e64 s2, 0, v2
	s_and_b32 s2, s2, s3
	s_and_saveexec_b32 s3, s2
	s_xor_b32 s2, exec_lo, s3
	s_cbranch_execz .LBB323_16
; %bb.13:                               ;   in Loop: Header=BB323_12 Depth=1
	s_and_saveexec_b32 s3, vcc_lo
; %bb.14:                               ;   in Loop: Header=BB323_12 Depth=1
	ds_write_b32 v43, v36
; %bb.15:                               ;   in Loop: Header=BB323_12 Depth=1
	s_or_b32 exec_lo, exec_lo, s3
.LBB323_16:                             ;   in Loop: Header=BB323_12 Depth=1
	s_andn2_saveexec_b32 s3, s2
	s_cbranch_execz .LBB323_11
; %bb.17:                               ;   in Loop: Header=BB323_12 Depth=1
	global_load_dword v1, v[19:20], off
	v_mov_b32_e32 v47, 0
	v_mov_b32_e32 v46, 0
	s_waitcnt vmcnt(0)
	v_mad_i64_i32 v[23:24], null, v1, s39, v[21:22]
	global_load_dword v50, v[23:24], off
	ds_read_b128 v[13:16], v31
	ds_read_b128 v[9:12], v31 offset:16
	ds_read_b128 v[5:8], v31 offset:32
	;; [unrolled: 1-line block ×3, first 2 shown]
	s_load_dword s40, s[12:13], 0x0
	s_waitcnt vmcnt(0)
	v_cmp_ne_u16_sdwa s2, v50, v18 src0_sel:BYTE_0 src1_sel:DWORD
	s_and_saveexec_b32 s41, s2
	s_cbranch_execz .LBB323_25
; %bb.18:                               ;   in Loop: Header=BB323_12 Depth=1
	v_cmp_ne_u16_sdwa s2, v50, v37 src0_sel:BYTE_0 src1_sel:DWORD
	v_bfrev_b32_e32 v46, 1
	s_and_saveexec_b32 s42, s2
	s_cbranch_execz .LBB323_24
; %bb.19:                               ;   in Loop: Header=BB323_12 Depth=1
	v_and_b32_e32 v48, 0x7f, v50
	v_mov_b32_e32 v46, 0x7f800001
	s_mov_b32 s43, exec_lo
	v_cmpx_ne_u32_e32 0x7f, v48
	s_cbranch_execz .LBB323_23
; %bb.20:                               ;   in Loop: Header=BB323_12 Depth=1
	v_and_b32_e32 v17, 7, v50
	v_lshrrev_b32_e32 v46, 3, v48
	s_mov_b32 s44, exec_lo
	v_cmpx_gt_u32_e32 8, v48
; %bb.21:                               ;   in Loop: Header=BB323_12 Depth=1
	v_ffbh_u32_e32 v46, v17
	v_min_u32_e32 v46, 32, v46
	v_subrev_nc_u32_e32 v48, 28, v46
	v_sub_nc_u32_e32 v46, 29, v46
	v_lshlrev_b64 v[48:49], v48, v[17:18]
	v_and_b32_e32 v17, 7, v48
; %bb.22:                               ;   in Loop: Header=BB323_12 Depth=1
	s_or_b32 exec_lo, exec_lo, s44
	v_lshlrev_b32_e32 v48, 24, v50
	v_lshlrev_b32_e32 v17, 20, v17
	v_lshl_add_u32 v46, v46, 23, 0x3c000000
	v_and_b32_e32 v48, 0x80000000, v48
	v_or3_b32 v46, v17, v48, v46
.LBB323_23:                             ;   in Loop: Header=BB323_12 Depth=1
	s_or_b32 exec_lo, exec_lo, s43
.LBB323_24:                             ;   in Loop: Header=BB323_12 Depth=1
	s_or_b32 exec_lo, exec_lo, s42
.LBB323_25:                             ;   in Loop: Header=BB323_12 Depth=1
	s_or_b32 exec_lo, exec_lo, s41
	v_cmp_ne_u16_sdwa s2, v50, v18 src0_sel:BYTE_1 src1_sel:DWORD
	s_and_saveexec_b32 s41, s2
	s_cbranch_execz .LBB323_33
; %bb.26:                               ;   in Loop: Header=BB323_12 Depth=1
	v_cmp_ne_u16_sdwa s2, v50, v37 src0_sel:BYTE_1 src1_sel:DWORD
	v_bfrev_b32_e32 v47, 1
	s_and_saveexec_b32 s42, s2
	s_cbranch_execz .LBB323_32
; %bb.27:                               ;   in Loop: Header=BB323_12 Depth=1
	v_and_b32_sdwa v17, v38, v50 dst_sel:DWORD dst_unused:UNUSED_PAD src0_sel:DWORD src1_sel:BYTE_1
	v_mov_b32_e32 v47, 0x7f800001
	s_mov_b32 s43, exec_lo
	v_and_b32_e32 v48, 0x7f, v17
	v_cmpx_ne_u32_e32 0x7f, v48
	s_cbranch_execz .LBB323_31
; %bb.28:                               ;   in Loop: Header=BB323_12 Depth=1
	v_and_b32_e32 v17, 7, v17
	v_lshrrev_b32_e32 v47, 3, v48
	s_mov_b32 s44, exec_lo
	v_cmpx_gt_u32_e32 8, v48
; %bb.29:                               ;   in Loop: Header=BB323_12 Depth=1
	v_ffbh_u32_e32 v47, v17
	v_min_u32_e32 v47, 32, v47
	v_subrev_nc_u32_e32 v48, 28, v47
	v_sub_nc_u32_e32 v47, 29, v47
	v_lshlrev_b64 v[48:49], v48, v[17:18]
	v_and_b32_e32 v17, 7, v48
; %bb.30:                               ;   in Loop: Header=BB323_12 Depth=1
	s_or_b32 exec_lo, exec_lo, s44
	v_lshlrev_b32_e32 v48, 16, v50
	v_lshlrev_b32_e32 v17, 20, v17
	v_lshl_add_u32 v47, v47, 23, 0x3c000000
	v_and_b32_e32 v48, 0x80000000, v48
	v_or3_b32 v47, v17, v48, v47
.LBB323_31:                             ;   in Loop: Header=BB323_12 Depth=1
	s_or_b32 exec_lo, exec_lo, s43
.LBB323_32:                             ;   in Loop: Header=BB323_12 Depth=1
	s_or_b32 exec_lo, exec_lo, s42
.LBB323_33:                             ;   in Loop: Header=BB323_12 Depth=1
	s_or_b32 exec_lo, exec_lo, s41
	v_and_b32_sdwa v17, v50, v39 dst_sel:DWORD dst_unused:UNUSED_PAD src0_sel:WORD_1 src1_sel:DWORD
	v_mov_b32_e32 v48, 0
	v_mov_b32_e32 v49, 0
	s_mov_b32 s41, exec_lo
	v_cmpx_ne_u16_e32 0, v17
	s_cbranch_execz .LBB323_41
; %bb.34:                               ;   in Loop: Header=BB323_12 Depth=1
	v_bfrev_b32_e32 v49, 1
	s_mov_b32 s42, exec_lo
	v_cmpx_ne_u16_e32 0x80, v17
	s_cbranch_execz .LBB323_40
; %bb.35:                               ;   in Loop: Header=BB323_12 Depth=1
	v_bfe_u32 v51, v50, 16, 7
	v_mov_b32_e32 v49, 0x7f800001
	s_mov_b32 s43, exec_lo
	v_cmpx_ne_u32_e32 0x7f, v51
	s_cbranch_execz .LBB323_39
; %bb.36:                               ;   in Loop: Header=BB323_12 Depth=1
	v_and_b32_sdwa v17, v50, v40 dst_sel:DWORD dst_unused:UNUSED_PAD src0_sel:WORD_1 src1_sel:DWORD
	v_lshrrev_b32_e32 v49, 3, v51
	s_mov_b32 s44, exec_lo
	v_cmpx_gt_u32_e32 8, v51
; %bb.37:                               ;   in Loop: Header=BB323_12 Depth=1
	v_ffbh_u32_e32 v49, v17
	v_min_u32_e32 v49, 32, v49
	v_subrev_nc_u32_e32 v51, 28, v49
	v_sub_nc_u32_e32 v49, 29, v49
	v_lshlrev_b64 v[51:52], v51, v[17:18]
	v_and_b32_e32 v17, 7, v51
; %bb.38:                               ;   in Loop: Header=BB323_12 Depth=1
	s_or_b32 exec_lo, exec_lo, s44
	v_lshlrev_b32_sdwa v51, v41, v50 dst_sel:DWORD dst_unused:UNUSED_PAD src0_sel:DWORD src1_sel:WORD_1
	v_lshlrev_b32_e32 v17, 20, v17
	v_lshl_add_u32 v49, v49, 23, 0x3c000000
	v_and_b32_e32 v51, 0x80000000, v51
	v_or3_b32 v49, v17, v51, v49
.LBB323_39:                             ;   in Loop: Header=BB323_12 Depth=1
	s_or_b32 exec_lo, exec_lo, s43
.LBB323_40:                             ;   in Loop: Header=BB323_12 Depth=1
	s_or_b32 exec_lo, exec_lo, s42
.LBB323_41:                             ;   in Loop: Header=BB323_12 Depth=1
	s_or_b32 exec_lo, exec_lo, s41
	s_mov_b32 s41, exec_lo
	v_cmpx_lt_u32_e32 0xffffff, v50
	s_cbranch_execz .LBB323_49
; %bb.42:                               ;   in Loop: Header=BB323_12 Depth=1
	v_cmp_ne_u32_sdwa s2, v50, v37 src0_sel:BYTE_3 src1_sel:DWORD
	v_bfrev_b32_e32 v48, 1
	s_and_saveexec_b32 s42, s2
	s_cbranch_execz .LBB323_48
; %bb.43:                               ;   in Loop: Header=BB323_12 Depth=1
	v_bfe_u32 v51, v50, 24, 7
	v_mov_b32_e32 v48, 0x7f800001
	s_mov_b32 s43, exec_lo
	v_cmpx_ne_u32_e32 0x7f, v51
	s_cbranch_execz .LBB323_47
; %bb.44:                               ;   in Loop: Header=BB323_12 Depth=1
	v_and_b32_sdwa v17, v50, v40 dst_sel:DWORD dst_unused:UNUSED_PAD src0_sel:BYTE_3 src1_sel:DWORD
	v_lshrrev_b32_e32 v48, 3, v51
	s_mov_b32 s44, exec_lo
	v_cmpx_gt_u32_e32 8, v51
; %bb.45:                               ;   in Loop: Header=BB323_12 Depth=1
	v_ffbh_u32_e32 v48, v17
	v_min_u32_e32 v48, 32, v48
	v_subrev_nc_u32_e32 v51, 28, v48
	v_sub_nc_u32_e32 v48, 29, v48
	v_lshlrev_b64 v[51:52], v51, v[17:18]
	v_and_b32_e32 v17, 7, v51
; %bb.46:                               ;   in Loop: Header=BB323_12 Depth=1
	s_or_b32 exec_lo, exec_lo, s44
	v_lshlrev_b32_sdwa v50, v41, v50 dst_sel:DWORD dst_unused:UNUSED_PAD src0_sel:DWORD src1_sel:BYTE_3
	v_lshlrev_b32_e32 v17, 20, v17
	v_lshl_add_u32 v48, v48, 23, 0x3c000000
	v_and_b32_e32 v50, 0x80000000, v50
	v_or3_b32 v48, v17, v50, v48
.LBB323_47:                             ;   in Loop: Header=BB323_12 Depth=1
	s_or_b32 exec_lo, exec_lo, s43
.LBB323_48:                             ;   in Loop: Header=BB323_12 Depth=1
	s_or_b32 exec_lo, exec_lo, s42
.LBB323_49:                             ;   in Loop: Header=BB323_12 Depth=1
	s_or_b32 exec_lo, exec_lo, s41
	global_load_dword v54, v[23:24], off offset:8
	v_mov_b32_e32 v51, 0
	v_mov_b32_e32 v50, 0
	s_waitcnt vmcnt(0)
	v_cmp_ne_u16_sdwa s2, v54, v18 src0_sel:BYTE_0 src1_sel:DWORD
	s_and_saveexec_b32 s41, s2
	s_cbranch_execz .LBB323_57
; %bb.50:                               ;   in Loop: Header=BB323_12 Depth=1
	v_cmp_ne_u16_sdwa s2, v54, v37 src0_sel:BYTE_0 src1_sel:DWORD
	v_bfrev_b32_e32 v50, 1
	s_and_saveexec_b32 s42, s2
	s_cbranch_execz .LBB323_56
; %bb.51:                               ;   in Loop: Header=BB323_12 Depth=1
	v_and_b32_e32 v52, 0x7f, v54
	v_mov_b32_e32 v50, 0x7f800001
	s_mov_b32 s43, exec_lo
	v_cmpx_ne_u32_e32 0x7f, v52
	s_cbranch_execz .LBB323_55
; %bb.52:                               ;   in Loop: Header=BB323_12 Depth=1
	v_and_b32_e32 v17, 7, v54
	v_lshrrev_b32_e32 v50, 3, v52
	s_mov_b32 s44, exec_lo
	v_cmpx_gt_u32_e32 8, v52
; %bb.53:                               ;   in Loop: Header=BB323_12 Depth=1
	v_ffbh_u32_e32 v50, v17
	v_min_u32_e32 v50, 32, v50
	v_subrev_nc_u32_e32 v52, 28, v50
	v_sub_nc_u32_e32 v50, 29, v50
	v_lshlrev_b64 v[52:53], v52, v[17:18]
	v_and_b32_e32 v17, 7, v52
; %bb.54:                               ;   in Loop: Header=BB323_12 Depth=1
	s_or_b32 exec_lo, exec_lo, s44
	v_lshlrev_b32_e32 v52, 24, v54
	v_lshlrev_b32_e32 v17, 20, v17
	v_lshl_add_u32 v50, v50, 23, 0x3c000000
	v_and_b32_e32 v52, 0x80000000, v52
	v_or3_b32 v50, v17, v52, v50
.LBB323_55:                             ;   in Loop: Header=BB323_12 Depth=1
	s_or_b32 exec_lo, exec_lo, s43
.LBB323_56:                             ;   in Loop: Header=BB323_12 Depth=1
	s_or_b32 exec_lo, exec_lo, s42
.LBB323_57:                             ;   in Loop: Header=BB323_12 Depth=1
	s_or_b32 exec_lo, exec_lo, s41
	v_cmp_ne_u16_sdwa s2, v54, v18 src0_sel:BYTE_1 src1_sel:DWORD
	s_and_saveexec_b32 s41, s2
	s_cbranch_execz .LBB323_65
; %bb.58:                               ;   in Loop: Header=BB323_12 Depth=1
	v_cmp_ne_u16_sdwa s2, v54, v37 src0_sel:BYTE_1 src1_sel:DWORD
	v_bfrev_b32_e32 v51, 1
	s_and_saveexec_b32 s42, s2
	s_cbranch_execz .LBB323_64
; %bb.59:                               ;   in Loop: Header=BB323_12 Depth=1
	v_and_b32_sdwa v17, v38, v54 dst_sel:DWORD dst_unused:UNUSED_PAD src0_sel:DWORD src1_sel:BYTE_1
	v_mov_b32_e32 v51, 0x7f800001
	s_mov_b32 s43, exec_lo
	v_and_b32_e32 v52, 0x7f, v17
	v_cmpx_ne_u32_e32 0x7f, v52
	s_cbranch_execz .LBB323_63
; %bb.60:                               ;   in Loop: Header=BB323_12 Depth=1
	v_and_b32_e32 v17, 7, v17
	v_lshrrev_b32_e32 v51, 3, v52
	s_mov_b32 s44, exec_lo
	v_cmpx_gt_u32_e32 8, v52
; %bb.61:                               ;   in Loop: Header=BB323_12 Depth=1
	v_ffbh_u32_e32 v51, v17
	v_min_u32_e32 v51, 32, v51
	v_subrev_nc_u32_e32 v52, 28, v51
	v_sub_nc_u32_e32 v51, 29, v51
	v_lshlrev_b64 v[52:53], v52, v[17:18]
	v_and_b32_e32 v17, 7, v52
; %bb.62:                               ;   in Loop: Header=BB323_12 Depth=1
	s_or_b32 exec_lo, exec_lo, s44
	v_lshlrev_b32_e32 v52, 16, v54
	v_lshlrev_b32_e32 v17, 20, v17
	v_lshl_add_u32 v51, v51, 23, 0x3c000000
	v_and_b32_e32 v52, 0x80000000, v52
	v_or3_b32 v51, v17, v52, v51
.LBB323_63:                             ;   in Loop: Header=BB323_12 Depth=1
	s_or_b32 exec_lo, exec_lo, s43
.LBB323_64:                             ;   in Loop: Header=BB323_12 Depth=1
	s_or_b32 exec_lo, exec_lo, s42
.LBB323_65:                             ;   in Loop: Header=BB323_12 Depth=1
	s_or_b32 exec_lo, exec_lo, s41
	v_and_b32_sdwa v17, v54, v39 dst_sel:DWORD dst_unused:UNUSED_PAD src0_sel:WORD_1 src1_sel:DWORD
	v_mov_b32_e32 v52, 0
	v_mov_b32_e32 v53, 0
	s_mov_b32 s41, exec_lo
	v_cmpx_ne_u16_e32 0, v17
	s_cbranch_execz .LBB323_73
; %bb.66:                               ;   in Loop: Header=BB323_12 Depth=1
	v_bfrev_b32_e32 v53, 1
	s_mov_b32 s42, exec_lo
	v_cmpx_ne_u16_e32 0x80, v17
	s_cbranch_execz .LBB323_72
; %bb.67:                               ;   in Loop: Header=BB323_12 Depth=1
	v_bfe_u32 v55, v54, 16, 7
	v_mov_b32_e32 v53, 0x7f800001
	s_mov_b32 s43, exec_lo
	v_cmpx_ne_u32_e32 0x7f, v55
	s_cbranch_execz .LBB323_71
; %bb.68:                               ;   in Loop: Header=BB323_12 Depth=1
	v_and_b32_sdwa v17, v54, v40 dst_sel:DWORD dst_unused:UNUSED_PAD src0_sel:WORD_1 src1_sel:DWORD
	v_lshrrev_b32_e32 v53, 3, v55
	s_mov_b32 s44, exec_lo
	v_cmpx_gt_u32_e32 8, v55
; %bb.69:                               ;   in Loop: Header=BB323_12 Depth=1
	v_ffbh_u32_e32 v53, v17
	v_min_u32_e32 v53, 32, v53
	v_subrev_nc_u32_e32 v55, 28, v53
	v_sub_nc_u32_e32 v53, 29, v53
	v_lshlrev_b64 v[55:56], v55, v[17:18]
	v_and_b32_e32 v17, 7, v55
; %bb.70:                               ;   in Loop: Header=BB323_12 Depth=1
	s_or_b32 exec_lo, exec_lo, s44
	v_lshlrev_b32_sdwa v55, v41, v54 dst_sel:DWORD dst_unused:UNUSED_PAD src0_sel:DWORD src1_sel:WORD_1
	v_lshlrev_b32_e32 v17, 20, v17
	v_lshl_add_u32 v53, v53, 23, 0x3c000000
	v_and_b32_e32 v55, 0x80000000, v55
	v_or3_b32 v53, v17, v55, v53
.LBB323_71:                             ;   in Loop: Header=BB323_12 Depth=1
	s_or_b32 exec_lo, exec_lo, s43
.LBB323_72:                             ;   in Loop: Header=BB323_12 Depth=1
	s_or_b32 exec_lo, exec_lo, s42
.LBB323_73:                             ;   in Loop: Header=BB323_12 Depth=1
	s_or_b32 exec_lo, exec_lo, s41
	s_mov_b32 s41, exec_lo
	v_cmpx_lt_u32_e32 0xffffff, v54
	s_cbranch_execz .LBB323_81
; %bb.74:                               ;   in Loop: Header=BB323_12 Depth=1
	v_cmp_ne_u32_sdwa s2, v54, v37 src0_sel:BYTE_3 src1_sel:DWORD
	v_bfrev_b32_e32 v52, 1
	s_and_saveexec_b32 s42, s2
	s_cbranch_execz .LBB323_80
; %bb.75:                               ;   in Loop: Header=BB323_12 Depth=1
	v_bfe_u32 v55, v54, 24, 7
	v_mov_b32_e32 v52, 0x7f800001
	s_mov_b32 s43, exec_lo
	v_cmpx_ne_u32_e32 0x7f, v55
	s_cbranch_execz .LBB323_79
; %bb.76:                               ;   in Loop: Header=BB323_12 Depth=1
	v_and_b32_sdwa v17, v54, v40 dst_sel:DWORD dst_unused:UNUSED_PAD src0_sel:BYTE_3 src1_sel:DWORD
	v_lshrrev_b32_e32 v52, 3, v55
	s_mov_b32 s44, exec_lo
	v_cmpx_gt_u32_e32 8, v55
; %bb.77:                               ;   in Loop: Header=BB323_12 Depth=1
	v_ffbh_u32_e32 v52, v17
	v_min_u32_e32 v52, 32, v52
	v_subrev_nc_u32_e32 v55, 28, v52
	v_sub_nc_u32_e32 v52, 29, v52
	v_lshlrev_b64 v[55:56], v55, v[17:18]
	v_and_b32_e32 v17, 7, v55
; %bb.78:                               ;   in Loop: Header=BB323_12 Depth=1
	s_or_b32 exec_lo, exec_lo, s44
	v_lshlrev_b32_sdwa v54, v41, v54 dst_sel:DWORD dst_unused:UNUSED_PAD src0_sel:DWORD src1_sel:BYTE_3
	v_lshlrev_b32_e32 v17, 20, v17
	v_lshl_add_u32 v52, v52, 23, 0x3c000000
	v_and_b32_e32 v54, 0x80000000, v54
	v_or3_b32 v52, v17, v54, v52
.LBB323_79:                             ;   in Loop: Header=BB323_12 Depth=1
	s_or_b32 exec_lo, exec_lo, s43
.LBB323_80:                             ;   in Loop: Header=BB323_12 Depth=1
	s_or_b32 exec_lo, exec_lo, s42
.LBB323_81:                             ;   in Loop: Header=BB323_12 Depth=1
	s_or_b32 exec_lo, exec_lo, s41
	global_load_dword v58, v[23:24], off offset:256
	v_mov_b32_e32 v55, 0
	v_mov_b32_e32 v54, 0
	s_waitcnt vmcnt(0)
	v_cmp_ne_u16_sdwa s2, v58, v18 src0_sel:BYTE_0 src1_sel:DWORD
	s_and_saveexec_b32 s41, s2
	s_cbranch_execz .LBB323_89
; %bb.82:                               ;   in Loop: Header=BB323_12 Depth=1
	v_cmp_ne_u16_sdwa s2, v58, v37 src0_sel:BYTE_0 src1_sel:DWORD
	v_bfrev_b32_e32 v54, 1
	s_and_saveexec_b32 s42, s2
	s_cbranch_execz .LBB323_88
; %bb.83:                               ;   in Loop: Header=BB323_12 Depth=1
	v_and_b32_e32 v56, 0x7f, v58
	v_mov_b32_e32 v54, 0x7f800001
	s_mov_b32 s43, exec_lo
	v_cmpx_ne_u32_e32 0x7f, v56
	s_cbranch_execz .LBB323_87
; %bb.84:                               ;   in Loop: Header=BB323_12 Depth=1
	v_and_b32_e32 v17, 7, v58
	v_lshrrev_b32_e32 v54, 3, v56
	s_mov_b32 s44, exec_lo
	v_cmpx_gt_u32_e32 8, v56
; %bb.85:                               ;   in Loop: Header=BB323_12 Depth=1
	v_ffbh_u32_e32 v54, v17
	v_min_u32_e32 v54, 32, v54
	v_subrev_nc_u32_e32 v56, 28, v54
	v_sub_nc_u32_e32 v54, 29, v54
	v_lshlrev_b64 v[56:57], v56, v[17:18]
	v_and_b32_e32 v17, 7, v56
; %bb.86:                               ;   in Loop: Header=BB323_12 Depth=1
	s_or_b32 exec_lo, exec_lo, s44
	v_lshlrev_b32_e32 v56, 24, v58
	v_lshlrev_b32_e32 v17, 20, v17
	v_lshl_add_u32 v54, v54, 23, 0x3c000000
	v_and_b32_e32 v56, 0x80000000, v56
	v_or3_b32 v54, v17, v56, v54
.LBB323_87:                             ;   in Loop: Header=BB323_12 Depth=1
	s_or_b32 exec_lo, exec_lo, s43
.LBB323_88:                             ;   in Loop: Header=BB323_12 Depth=1
	s_or_b32 exec_lo, exec_lo, s42
.LBB323_89:                             ;   in Loop: Header=BB323_12 Depth=1
	s_or_b32 exec_lo, exec_lo, s41
	v_cmp_ne_u16_sdwa s2, v58, v18 src0_sel:BYTE_1 src1_sel:DWORD
	s_and_saveexec_b32 s41, s2
	s_cbranch_execz .LBB323_97
; %bb.90:                               ;   in Loop: Header=BB323_12 Depth=1
	v_cmp_ne_u16_sdwa s2, v58, v37 src0_sel:BYTE_1 src1_sel:DWORD
	v_bfrev_b32_e32 v55, 1
	s_and_saveexec_b32 s42, s2
	s_cbranch_execz .LBB323_96
; %bb.91:                               ;   in Loop: Header=BB323_12 Depth=1
	v_and_b32_sdwa v17, v38, v58 dst_sel:DWORD dst_unused:UNUSED_PAD src0_sel:DWORD src1_sel:BYTE_1
	v_mov_b32_e32 v55, 0x7f800001
	s_mov_b32 s43, exec_lo
	v_and_b32_e32 v56, 0x7f, v17
	v_cmpx_ne_u32_e32 0x7f, v56
	s_cbranch_execz .LBB323_95
; %bb.92:                               ;   in Loop: Header=BB323_12 Depth=1
	v_and_b32_e32 v17, 7, v17
	v_lshrrev_b32_e32 v55, 3, v56
	s_mov_b32 s44, exec_lo
	v_cmpx_gt_u32_e32 8, v56
; %bb.93:                               ;   in Loop: Header=BB323_12 Depth=1
	v_ffbh_u32_e32 v55, v17
	v_min_u32_e32 v55, 32, v55
	v_subrev_nc_u32_e32 v56, 28, v55
	v_sub_nc_u32_e32 v55, 29, v55
	v_lshlrev_b64 v[56:57], v56, v[17:18]
	v_and_b32_e32 v17, 7, v56
; %bb.94:                               ;   in Loop: Header=BB323_12 Depth=1
	s_or_b32 exec_lo, exec_lo, s44
	v_lshlrev_b32_e32 v56, 16, v58
	v_lshlrev_b32_e32 v17, 20, v17
	v_lshl_add_u32 v55, v55, 23, 0x3c000000
	v_and_b32_e32 v56, 0x80000000, v56
	v_or3_b32 v55, v17, v56, v55
.LBB323_95:                             ;   in Loop: Header=BB323_12 Depth=1
	s_or_b32 exec_lo, exec_lo, s43
.LBB323_96:                             ;   in Loop: Header=BB323_12 Depth=1
	s_or_b32 exec_lo, exec_lo, s42
.LBB323_97:                             ;   in Loop: Header=BB323_12 Depth=1
	s_or_b32 exec_lo, exec_lo, s41
	v_and_b32_sdwa v17, v58, v39 dst_sel:DWORD dst_unused:UNUSED_PAD src0_sel:WORD_1 src1_sel:DWORD
	v_mov_b32_e32 v56, 0
	v_mov_b32_e32 v57, 0
	s_mov_b32 s41, exec_lo
	v_cmpx_ne_u16_e32 0, v17
	s_cbranch_execz .LBB323_105
; %bb.98:                               ;   in Loop: Header=BB323_12 Depth=1
	v_bfrev_b32_e32 v57, 1
	s_mov_b32 s42, exec_lo
	v_cmpx_ne_u16_e32 0x80, v17
	s_cbranch_execz .LBB323_104
; %bb.99:                               ;   in Loop: Header=BB323_12 Depth=1
	v_bfe_u32 v59, v58, 16, 7
	v_mov_b32_e32 v57, 0x7f800001
	s_mov_b32 s43, exec_lo
	v_cmpx_ne_u32_e32 0x7f, v59
	s_cbranch_execz .LBB323_103
; %bb.100:                              ;   in Loop: Header=BB323_12 Depth=1
	v_and_b32_sdwa v17, v58, v40 dst_sel:DWORD dst_unused:UNUSED_PAD src0_sel:WORD_1 src1_sel:DWORD
	v_lshrrev_b32_e32 v57, 3, v59
	s_mov_b32 s44, exec_lo
	v_cmpx_gt_u32_e32 8, v59
; %bb.101:                              ;   in Loop: Header=BB323_12 Depth=1
	v_ffbh_u32_e32 v57, v17
	v_min_u32_e32 v57, 32, v57
	v_subrev_nc_u32_e32 v59, 28, v57
	v_sub_nc_u32_e32 v57, 29, v57
	v_lshlrev_b64 v[59:60], v59, v[17:18]
	v_and_b32_e32 v17, 7, v59
; %bb.102:                              ;   in Loop: Header=BB323_12 Depth=1
	s_or_b32 exec_lo, exec_lo, s44
	v_lshlrev_b32_sdwa v59, v41, v58 dst_sel:DWORD dst_unused:UNUSED_PAD src0_sel:DWORD src1_sel:WORD_1
	v_lshlrev_b32_e32 v17, 20, v17
	v_lshl_add_u32 v57, v57, 23, 0x3c000000
	v_and_b32_e32 v59, 0x80000000, v59
	v_or3_b32 v57, v17, v59, v57
.LBB323_103:                            ;   in Loop: Header=BB323_12 Depth=1
	s_or_b32 exec_lo, exec_lo, s43
.LBB323_104:                            ;   in Loop: Header=BB323_12 Depth=1
	s_or_b32 exec_lo, exec_lo, s42
.LBB323_105:                            ;   in Loop: Header=BB323_12 Depth=1
	s_or_b32 exec_lo, exec_lo, s41
	s_mov_b32 s41, exec_lo
	v_cmpx_lt_u32_e32 0xffffff, v58
	s_cbranch_execz .LBB323_113
; %bb.106:                              ;   in Loop: Header=BB323_12 Depth=1
	v_cmp_ne_u32_sdwa s2, v58, v37 src0_sel:BYTE_3 src1_sel:DWORD
	v_bfrev_b32_e32 v56, 1
	s_and_saveexec_b32 s42, s2
	s_cbranch_execz .LBB323_112
; %bb.107:                              ;   in Loop: Header=BB323_12 Depth=1
	v_bfe_u32 v59, v58, 24, 7
	v_mov_b32_e32 v56, 0x7f800001
	s_mov_b32 s43, exec_lo
	v_cmpx_ne_u32_e32 0x7f, v59
	s_cbranch_execz .LBB323_111
; %bb.108:                              ;   in Loop: Header=BB323_12 Depth=1
	v_and_b32_sdwa v17, v58, v40 dst_sel:DWORD dst_unused:UNUSED_PAD src0_sel:BYTE_3 src1_sel:DWORD
	v_lshrrev_b32_e32 v56, 3, v59
	s_mov_b32 s44, exec_lo
	v_cmpx_gt_u32_e32 8, v59
; %bb.109:                              ;   in Loop: Header=BB323_12 Depth=1
	v_ffbh_u32_e32 v56, v17
	v_min_u32_e32 v56, 32, v56
	v_subrev_nc_u32_e32 v59, 28, v56
	v_sub_nc_u32_e32 v56, 29, v56
	v_lshlrev_b64 v[59:60], v59, v[17:18]
	v_and_b32_e32 v17, 7, v59
; %bb.110:                              ;   in Loop: Header=BB323_12 Depth=1
	s_or_b32 exec_lo, exec_lo, s44
	v_lshlrev_b32_sdwa v58, v41, v58 dst_sel:DWORD dst_unused:UNUSED_PAD src0_sel:DWORD src1_sel:BYTE_3
	v_lshlrev_b32_e32 v17, 20, v17
	v_lshl_add_u32 v56, v56, 23, 0x3c000000
	v_and_b32_e32 v58, 0x80000000, v58
	v_or3_b32 v56, v17, v58, v56
.LBB323_111:                            ;   in Loop: Header=BB323_12 Depth=1
	s_or_b32 exec_lo, exec_lo, s43
.LBB323_112:                            ;   in Loop: Header=BB323_12 Depth=1
	s_or_b32 exec_lo, exec_lo, s42
.LBB323_113:                            ;   in Loop: Header=BB323_12 Depth=1
	s_or_b32 exec_lo, exec_lo, s41
	global_load_dword v62, v[23:24], off offset:264
	v_mov_b32_e32 v59, 0
	v_mov_b32_e32 v58, 0
	s_waitcnt vmcnt(0)
	v_cmp_ne_u16_sdwa s2, v62, v18 src0_sel:BYTE_0 src1_sel:DWORD
	s_and_saveexec_b32 s41, s2
	s_cbranch_execz .LBB323_121
; %bb.114:                              ;   in Loop: Header=BB323_12 Depth=1
	v_cmp_ne_u16_sdwa s2, v62, v37 src0_sel:BYTE_0 src1_sel:DWORD
	v_bfrev_b32_e32 v58, 1
	s_and_saveexec_b32 s42, s2
	s_cbranch_execz .LBB323_120
; %bb.115:                              ;   in Loop: Header=BB323_12 Depth=1
	v_and_b32_e32 v60, 0x7f, v62
	v_mov_b32_e32 v58, 0x7f800001
	s_mov_b32 s43, exec_lo
	v_cmpx_ne_u32_e32 0x7f, v60
	s_cbranch_execz .LBB323_119
; %bb.116:                              ;   in Loop: Header=BB323_12 Depth=1
	v_and_b32_e32 v17, 7, v62
	v_lshrrev_b32_e32 v58, 3, v60
	s_mov_b32 s44, exec_lo
	v_cmpx_gt_u32_e32 8, v60
; %bb.117:                              ;   in Loop: Header=BB323_12 Depth=1
	v_ffbh_u32_e32 v58, v17
	v_min_u32_e32 v58, 32, v58
	v_subrev_nc_u32_e32 v60, 28, v58
	v_sub_nc_u32_e32 v58, 29, v58
	v_lshlrev_b64 v[60:61], v60, v[17:18]
	v_and_b32_e32 v17, 7, v60
; %bb.118:                              ;   in Loop: Header=BB323_12 Depth=1
	s_or_b32 exec_lo, exec_lo, s44
	v_lshlrev_b32_e32 v60, 24, v62
	v_lshlrev_b32_e32 v17, 20, v17
	v_lshl_add_u32 v58, v58, 23, 0x3c000000
	v_and_b32_e32 v60, 0x80000000, v60
	v_or3_b32 v58, v17, v60, v58
.LBB323_119:                            ;   in Loop: Header=BB323_12 Depth=1
	s_or_b32 exec_lo, exec_lo, s43
.LBB323_120:                            ;   in Loop: Header=BB323_12 Depth=1
	s_or_b32 exec_lo, exec_lo, s42
.LBB323_121:                            ;   in Loop: Header=BB323_12 Depth=1
	s_or_b32 exec_lo, exec_lo, s41
	v_cmp_ne_u16_sdwa s2, v62, v18 src0_sel:BYTE_1 src1_sel:DWORD
	s_and_saveexec_b32 s41, s2
	s_cbranch_execz .LBB323_129
; %bb.122:                              ;   in Loop: Header=BB323_12 Depth=1
	v_cmp_ne_u16_sdwa s2, v62, v37 src0_sel:BYTE_1 src1_sel:DWORD
	v_bfrev_b32_e32 v59, 1
	s_and_saveexec_b32 s42, s2
	s_cbranch_execz .LBB323_128
; %bb.123:                              ;   in Loop: Header=BB323_12 Depth=1
	v_and_b32_sdwa v17, v38, v62 dst_sel:DWORD dst_unused:UNUSED_PAD src0_sel:DWORD src1_sel:BYTE_1
	v_mov_b32_e32 v59, 0x7f800001
	s_mov_b32 s43, exec_lo
	v_and_b32_e32 v60, 0x7f, v17
	v_cmpx_ne_u32_e32 0x7f, v60
	s_cbranch_execz .LBB323_127
; %bb.124:                              ;   in Loop: Header=BB323_12 Depth=1
	v_and_b32_e32 v17, 7, v17
	v_lshrrev_b32_e32 v59, 3, v60
	s_mov_b32 s44, exec_lo
	v_cmpx_gt_u32_e32 8, v60
; %bb.125:                              ;   in Loop: Header=BB323_12 Depth=1
	v_ffbh_u32_e32 v59, v17
	v_min_u32_e32 v59, 32, v59
	v_subrev_nc_u32_e32 v60, 28, v59
	v_sub_nc_u32_e32 v59, 29, v59
	v_lshlrev_b64 v[60:61], v60, v[17:18]
	v_and_b32_e32 v17, 7, v60
; %bb.126:                              ;   in Loop: Header=BB323_12 Depth=1
	s_or_b32 exec_lo, exec_lo, s44
	v_lshlrev_b32_e32 v60, 16, v62
	v_lshlrev_b32_e32 v17, 20, v17
	v_lshl_add_u32 v59, v59, 23, 0x3c000000
	v_and_b32_e32 v60, 0x80000000, v60
	v_or3_b32 v59, v17, v60, v59
.LBB323_127:                            ;   in Loop: Header=BB323_12 Depth=1
	s_or_b32 exec_lo, exec_lo, s43
.LBB323_128:                            ;   in Loop: Header=BB323_12 Depth=1
	s_or_b32 exec_lo, exec_lo, s42
.LBB323_129:                            ;   in Loop: Header=BB323_12 Depth=1
	s_or_b32 exec_lo, exec_lo, s41
	v_and_b32_sdwa v17, v62, v39 dst_sel:DWORD dst_unused:UNUSED_PAD src0_sel:WORD_1 src1_sel:DWORD
	v_mov_b32_e32 v60, 0
	v_mov_b32_e32 v61, 0
	s_mov_b32 s41, exec_lo
	v_cmpx_ne_u16_e32 0, v17
	s_cbranch_execz .LBB323_137
; %bb.130:                              ;   in Loop: Header=BB323_12 Depth=1
	v_bfrev_b32_e32 v61, 1
	s_mov_b32 s42, exec_lo
	v_cmpx_ne_u16_e32 0x80, v17
	s_cbranch_execz .LBB323_136
; %bb.131:                              ;   in Loop: Header=BB323_12 Depth=1
	v_bfe_u32 v63, v62, 16, 7
	v_mov_b32_e32 v61, 0x7f800001
	s_mov_b32 s43, exec_lo
	v_cmpx_ne_u32_e32 0x7f, v63
	s_cbranch_execz .LBB323_135
; %bb.132:                              ;   in Loop: Header=BB323_12 Depth=1
	v_and_b32_sdwa v17, v62, v40 dst_sel:DWORD dst_unused:UNUSED_PAD src0_sel:WORD_1 src1_sel:DWORD
	v_lshrrev_b32_e32 v61, 3, v63
	s_mov_b32 s44, exec_lo
	v_cmpx_gt_u32_e32 8, v63
; %bb.133:                              ;   in Loop: Header=BB323_12 Depth=1
	v_ffbh_u32_e32 v61, v17
	v_min_u32_e32 v61, 32, v61
	v_subrev_nc_u32_e32 v63, 28, v61
	v_sub_nc_u32_e32 v61, 29, v61
	v_lshlrev_b64 v[63:64], v63, v[17:18]
	v_and_b32_e32 v17, 7, v63
; %bb.134:                              ;   in Loop: Header=BB323_12 Depth=1
	s_or_b32 exec_lo, exec_lo, s44
	v_lshlrev_b32_sdwa v63, v41, v62 dst_sel:DWORD dst_unused:UNUSED_PAD src0_sel:DWORD src1_sel:WORD_1
	v_lshlrev_b32_e32 v17, 20, v17
	v_lshl_add_u32 v61, v61, 23, 0x3c000000
	v_and_b32_e32 v63, 0x80000000, v63
	v_or3_b32 v61, v17, v63, v61
.LBB323_135:                            ;   in Loop: Header=BB323_12 Depth=1
	s_or_b32 exec_lo, exec_lo, s43
.LBB323_136:                            ;   in Loop: Header=BB323_12 Depth=1
	s_or_b32 exec_lo, exec_lo, s42
.LBB323_137:                            ;   in Loop: Header=BB323_12 Depth=1
	s_or_b32 exec_lo, exec_lo, s41
	s_mov_b32 s41, exec_lo
	v_cmpx_lt_u32_e32 0xffffff, v62
	s_cbranch_execz .LBB323_145
; %bb.138:                              ;   in Loop: Header=BB323_12 Depth=1
	v_cmp_ne_u32_sdwa s2, v62, v37 src0_sel:BYTE_3 src1_sel:DWORD
	v_bfrev_b32_e32 v60, 1
	s_and_saveexec_b32 s42, s2
	s_cbranch_execz .LBB323_144
; %bb.139:                              ;   in Loop: Header=BB323_12 Depth=1
	v_bfe_u32 v63, v62, 24, 7
	v_mov_b32_e32 v60, 0x7f800001
	s_mov_b32 s43, exec_lo
	v_cmpx_ne_u32_e32 0x7f, v63
	s_cbranch_execz .LBB323_143
; %bb.140:                              ;   in Loop: Header=BB323_12 Depth=1
	v_and_b32_sdwa v17, v62, v40 dst_sel:DWORD dst_unused:UNUSED_PAD src0_sel:BYTE_3 src1_sel:DWORD
	v_lshrrev_b32_e32 v60, 3, v63
	s_mov_b32 s44, exec_lo
	v_cmpx_gt_u32_e32 8, v63
; %bb.141:                              ;   in Loop: Header=BB323_12 Depth=1
	v_ffbh_u32_e32 v60, v17
	v_min_u32_e32 v60, 32, v60
	v_subrev_nc_u32_e32 v63, 28, v60
	v_sub_nc_u32_e32 v60, 29, v60
	v_lshlrev_b64 v[63:64], v63, v[17:18]
	v_and_b32_e32 v17, 7, v63
; %bb.142:                              ;   in Loop: Header=BB323_12 Depth=1
	s_or_b32 exec_lo, exec_lo, s44
	v_lshlrev_b32_sdwa v62, v41, v62 dst_sel:DWORD dst_unused:UNUSED_PAD src0_sel:DWORD src1_sel:BYTE_3
	v_lshlrev_b32_e32 v17, 20, v17
	v_lshl_add_u32 v60, v60, 23, 0x3c000000
	v_and_b32_e32 v62, 0x80000000, v62
	v_or3_b32 v60, v17, v62, v60
.LBB323_143:                            ;   in Loop: Header=BB323_12 Depth=1
	s_or_b32 exec_lo, exec_lo, s43
.LBB323_144:                            ;   in Loop: Header=BB323_12 Depth=1
	s_or_b32 exec_lo, exec_lo, s42
.LBB323_145:                            ;   in Loop: Header=BB323_12 Depth=1
	s_or_b32 exec_lo, exec_lo, s41
	global_load_dword v66, v[23:24], off offset:512
	v_mov_b32_e32 v63, 0
	v_mov_b32_e32 v62, 0
	s_waitcnt vmcnt(0)
	v_cmp_ne_u16_sdwa s2, v66, v18 src0_sel:BYTE_0 src1_sel:DWORD
	s_and_saveexec_b32 s41, s2
	s_cbranch_execz .LBB323_153
; %bb.146:                              ;   in Loop: Header=BB323_12 Depth=1
	v_cmp_ne_u16_sdwa s2, v66, v37 src0_sel:BYTE_0 src1_sel:DWORD
	v_bfrev_b32_e32 v62, 1
	s_and_saveexec_b32 s42, s2
	s_cbranch_execz .LBB323_152
; %bb.147:                              ;   in Loop: Header=BB323_12 Depth=1
	v_and_b32_e32 v64, 0x7f, v66
	v_mov_b32_e32 v62, 0x7f800001
	s_mov_b32 s43, exec_lo
	v_cmpx_ne_u32_e32 0x7f, v64
	s_cbranch_execz .LBB323_151
; %bb.148:                              ;   in Loop: Header=BB323_12 Depth=1
	v_and_b32_e32 v17, 7, v66
	v_lshrrev_b32_e32 v62, 3, v64
	s_mov_b32 s44, exec_lo
	v_cmpx_gt_u32_e32 8, v64
; %bb.149:                              ;   in Loop: Header=BB323_12 Depth=1
	v_ffbh_u32_e32 v62, v17
	v_min_u32_e32 v62, 32, v62
	v_subrev_nc_u32_e32 v64, 28, v62
	v_sub_nc_u32_e32 v62, 29, v62
	v_lshlrev_b64 v[64:65], v64, v[17:18]
	v_and_b32_e32 v17, 7, v64
; %bb.150:                              ;   in Loop: Header=BB323_12 Depth=1
	s_or_b32 exec_lo, exec_lo, s44
	v_lshlrev_b32_e32 v64, 24, v66
	v_lshlrev_b32_e32 v17, 20, v17
	v_lshl_add_u32 v62, v62, 23, 0x3c000000
	v_and_b32_e32 v64, 0x80000000, v64
	v_or3_b32 v62, v17, v64, v62
.LBB323_151:                            ;   in Loop: Header=BB323_12 Depth=1
	s_or_b32 exec_lo, exec_lo, s43
.LBB323_152:                            ;   in Loop: Header=BB323_12 Depth=1
	s_or_b32 exec_lo, exec_lo, s42
.LBB323_153:                            ;   in Loop: Header=BB323_12 Depth=1
	s_or_b32 exec_lo, exec_lo, s41
	v_cmp_ne_u16_sdwa s2, v66, v18 src0_sel:BYTE_1 src1_sel:DWORD
	s_and_saveexec_b32 s41, s2
	s_cbranch_execz .LBB323_161
; %bb.154:                              ;   in Loop: Header=BB323_12 Depth=1
	v_cmp_ne_u16_sdwa s2, v66, v37 src0_sel:BYTE_1 src1_sel:DWORD
	v_bfrev_b32_e32 v63, 1
	s_and_saveexec_b32 s42, s2
	s_cbranch_execz .LBB323_160
; %bb.155:                              ;   in Loop: Header=BB323_12 Depth=1
	v_and_b32_sdwa v17, v38, v66 dst_sel:DWORD dst_unused:UNUSED_PAD src0_sel:DWORD src1_sel:BYTE_1
	v_mov_b32_e32 v63, 0x7f800001
	s_mov_b32 s43, exec_lo
	v_and_b32_e32 v64, 0x7f, v17
	v_cmpx_ne_u32_e32 0x7f, v64
	s_cbranch_execz .LBB323_159
; %bb.156:                              ;   in Loop: Header=BB323_12 Depth=1
	v_and_b32_e32 v17, 7, v17
	v_lshrrev_b32_e32 v63, 3, v64
	s_mov_b32 s44, exec_lo
	v_cmpx_gt_u32_e32 8, v64
; %bb.157:                              ;   in Loop: Header=BB323_12 Depth=1
	v_ffbh_u32_e32 v63, v17
	v_min_u32_e32 v63, 32, v63
	v_subrev_nc_u32_e32 v64, 28, v63
	v_sub_nc_u32_e32 v63, 29, v63
	v_lshlrev_b64 v[64:65], v64, v[17:18]
	v_and_b32_e32 v17, 7, v64
; %bb.158:                              ;   in Loop: Header=BB323_12 Depth=1
	s_or_b32 exec_lo, exec_lo, s44
	v_lshlrev_b32_e32 v64, 16, v66
	v_lshlrev_b32_e32 v17, 20, v17
	v_lshl_add_u32 v63, v63, 23, 0x3c000000
	v_and_b32_e32 v64, 0x80000000, v64
	v_or3_b32 v63, v17, v64, v63
.LBB323_159:                            ;   in Loop: Header=BB323_12 Depth=1
	s_or_b32 exec_lo, exec_lo, s43
.LBB323_160:                            ;   in Loop: Header=BB323_12 Depth=1
	s_or_b32 exec_lo, exec_lo, s42
.LBB323_161:                            ;   in Loop: Header=BB323_12 Depth=1
	s_or_b32 exec_lo, exec_lo, s41
	v_and_b32_sdwa v17, v66, v39 dst_sel:DWORD dst_unused:UNUSED_PAD src0_sel:WORD_1 src1_sel:DWORD
	v_mov_b32_e32 v64, 0
	v_mov_b32_e32 v65, 0
	s_mov_b32 s41, exec_lo
	v_cmpx_ne_u16_e32 0, v17
	s_cbranch_execz .LBB323_169
; %bb.162:                              ;   in Loop: Header=BB323_12 Depth=1
	v_bfrev_b32_e32 v65, 1
	s_mov_b32 s42, exec_lo
	v_cmpx_ne_u16_e32 0x80, v17
	s_cbranch_execz .LBB323_168
; %bb.163:                              ;   in Loop: Header=BB323_12 Depth=1
	v_bfe_u32 v67, v66, 16, 7
	v_mov_b32_e32 v65, 0x7f800001
	s_mov_b32 s43, exec_lo
	v_cmpx_ne_u32_e32 0x7f, v67
	s_cbranch_execz .LBB323_167
; %bb.164:                              ;   in Loop: Header=BB323_12 Depth=1
	v_and_b32_sdwa v17, v66, v40 dst_sel:DWORD dst_unused:UNUSED_PAD src0_sel:WORD_1 src1_sel:DWORD
	v_lshrrev_b32_e32 v65, 3, v67
	s_mov_b32 s44, exec_lo
	v_cmpx_gt_u32_e32 8, v67
; %bb.165:                              ;   in Loop: Header=BB323_12 Depth=1
	v_ffbh_u32_e32 v65, v17
	v_min_u32_e32 v65, 32, v65
	v_subrev_nc_u32_e32 v67, 28, v65
	v_sub_nc_u32_e32 v65, 29, v65
	v_lshlrev_b64 v[67:68], v67, v[17:18]
	v_and_b32_e32 v17, 7, v67
; %bb.166:                              ;   in Loop: Header=BB323_12 Depth=1
	s_or_b32 exec_lo, exec_lo, s44
	v_lshlrev_b32_sdwa v67, v41, v66 dst_sel:DWORD dst_unused:UNUSED_PAD src0_sel:DWORD src1_sel:WORD_1
	v_lshlrev_b32_e32 v17, 20, v17
	v_lshl_add_u32 v65, v65, 23, 0x3c000000
	v_and_b32_e32 v67, 0x80000000, v67
	v_or3_b32 v65, v17, v67, v65
.LBB323_167:                            ;   in Loop: Header=BB323_12 Depth=1
	s_or_b32 exec_lo, exec_lo, s43
.LBB323_168:                            ;   in Loop: Header=BB323_12 Depth=1
	s_or_b32 exec_lo, exec_lo, s42
.LBB323_169:                            ;   in Loop: Header=BB323_12 Depth=1
	s_or_b32 exec_lo, exec_lo, s41
	s_mov_b32 s41, exec_lo
	v_cmpx_lt_u32_e32 0xffffff, v66
	s_cbranch_execz .LBB323_177
; %bb.170:                              ;   in Loop: Header=BB323_12 Depth=1
	v_cmp_ne_u32_sdwa s2, v66, v37 src0_sel:BYTE_3 src1_sel:DWORD
	v_bfrev_b32_e32 v64, 1
	s_and_saveexec_b32 s42, s2
	s_cbranch_execz .LBB323_176
; %bb.171:                              ;   in Loop: Header=BB323_12 Depth=1
	v_bfe_u32 v67, v66, 24, 7
	v_mov_b32_e32 v64, 0x7f800001
	s_mov_b32 s43, exec_lo
	v_cmpx_ne_u32_e32 0x7f, v67
	s_cbranch_execz .LBB323_175
; %bb.172:                              ;   in Loop: Header=BB323_12 Depth=1
	v_and_b32_sdwa v17, v66, v40 dst_sel:DWORD dst_unused:UNUSED_PAD src0_sel:BYTE_3 src1_sel:DWORD
	v_lshrrev_b32_e32 v64, 3, v67
	s_mov_b32 s44, exec_lo
	v_cmpx_gt_u32_e32 8, v67
; %bb.173:                              ;   in Loop: Header=BB323_12 Depth=1
	v_ffbh_u32_e32 v64, v17
	v_min_u32_e32 v64, 32, v64
	v_subrev_nc_u32_e32 v67, 28, v64
	v_sub_nc_u32_e32 v64, 29, v64
	v_lshlrev_b64 v[67:68], v67, v[17:18]
	v_and_b32_e32 v17, 7, v67
; %bb.174:                              ;   in Loop: Header=BB323_12 Depth=1
	s_or_b32 exec_lo, exec_lo, s44
	v_lshlrev_b32_sdwa v66, v41, v66 dst_sel:DWORD dst_unused:UNUSED_PAD src0_sel:DWORD src1_sel:BYTE_3
	v_lshlrev_b32_e32 v17, 20, v17
	v_lshl_add_u32 v64, v64, 23, 0x3c000000
	v_and_b32_e32 v66, 0x80000000, v66
	v_or3_b32 v64, v17, v66, v64
.LBB323_175:                            ;   in Loop: Header=BB323_12 Depth=1
	s_or_b32 exec_lo, exec_lo, s43
.LBB323_176:                            ;   in Loop: Header=BB323_12 Depth=1
	s_or_b32 exec_lo, exec_lo, s42
.LBB323_177:                            ;   in Loop: Header=BB323_12 Depth=1
	s_or_b32 exec_lo, exec_lo, s41
	global_load_dword v70, v[23:24], off offset:520
	v_mov_b32_e32 v67, 0
	v_mov_b32_e32 v66, 0
	s_waitcnt vmcnt(0)
	v_cmp_ne_u16_sdwa s2, v70, v18 src0_sel:BYTE_0 src1_sel:DWORD
	s_and_saveexec_b32 s41, s2
	s_cbranch_execz .LBB323_185
; %bb.178:                              ;   in Loop: Header=BB323_12 Depth=1
	v_cmp_ne_u16_sdwa s2, v70, v37 src0_sel:BYTE_0 src1_sel:DWORD
	v_bfrev_b32_e32 v66, 1
	s_and_saveexec_b32 s42, s2
	s_cbranch_execz .LBB323_184
; %bb.179:                              ;   in Loop: Header=BB323_12 Depth=1
	v_and_b32_e32 v68, 0x7f, v70
	v_mov_b32_e32 v66, 0x7f800001
	s_mov_b32 s43, exec_lo
	v_cmpx_ne_u32_e32 0x7f, v68
	s_cbranch_execz .LBB323_183
; %bb.180:                              ;   in Loop: Header=BB323_12 Depth=1
	v_and_b32_e32 v17, 7, v70
	v_lshrrev_b32_e32 v66, 3, v68
	s_mov_b32 s44, exec_lo
	v_cmpx_gt_u32_e32 8, v68
; %bb.181:                              ;   in Loop: Header=BB323_12 Depth=1
	v_ffbh_u32_e32 v66, v17
	v_min_u32_e32 v66, 32, v66
	v_subrev_nc_u32_e32 v68, 28, v66
	v_sub_nc_u32_e32 v66, 29, v66
	v_lshlrev_b64 v[68:69], v68, v[17:18]
	v_and_b32_e32 v17, 7, v68
; %bb.182:                              ;   in Loop: Header=BB323_12 Depth=1
	s_or_b32 exec_lo, exec_lo, s44
	v_lshlrev_b32_e32 v68, 24, v70
	v_lshlrev_b32_e32 v17, 20, v17
	v_lshl_add_u32 v66, v66, 23, 0x3c000000
	v_and_b32_e32 v68, 0x80000000, v68
	v_or3_b32 v66, v17, v68, v66
.LBB323_183:                            ;   in Loop: Header=BB323_12 Depth=1
	s_or_b32 exec_lo, exec_lo, s43
.LBB323_184:                            ;   in Loop: Header=BB323_12 Depth=1
	s_or_b32 exec_lo, exec_lo, s42
.LBB323_185:                            ;   in Loop: Header=BB323_12 Depth=1
	s_or_b32 exec_lo, exec_lo, s41
	v_cmp_ne_u16_sdwa s2, v70, v18 src0_sel:BYTE_1 src1_sel:DWORD
	s_and_saveexec_b32 s41, s2
	s_cbranch_execz .LBB323_193
; %bb.186:                              ;   in Loop: Header=BB323_12 Depth=1
	v_cmp_ne_u16_sdwa s2, v70, v37 src0_sel:BYTE_1 src1_sel:DWORD
	v_bfrev_b32_e32 v67, 1
	s_and_saveexec_b32 s42, s2
	s_cbranch_execz .LBB323_192
; %bb.187:                              ;   in Loop: Header=BB323_12 Depth=1
	v_and_b32_sdwa v17, v38, v70 dst_sel:DWORD dst_unused:UNUSED_PAD src0_sel:DWORD src1_sel:BYTE_1
	v_mov_b32_e32 v67, 0x7f800001
	s_mov_b32 s43, exec_lo
	v_and_b32_e32 v68, 0x7f, v17
	v_cmpx_ne_u32_e32 0x7f, v68
	s_cbranch_execz .LBB323_191
; %bb.188:                              ;   in Loop: Header=BB323_12 Depth=1
	v_and_b32_e32 v17, 7, v17
	v_lshrrev_b32_e32 v67, 3, v68
	s_mov_b32 s44, exec_lo
	v_cmpx_gt_u32_e32 8, v68
; %bb.189:                              ;   in Loop: Header=BB323_12 Depth=1
	v_ffbh_u32_e32 v67, v17
	v_min_u32_e32 v67, 32, v67
	v_subrev_nc_u32_e32 v68, 28, v67
	v_sub_nc_u32_e32 v67, 29, v67
	v_lshlrev_b64 v[68:69], v68, v[17:18]
	v_and_b32_e32 v17, 7, v68
; %bb.190:                              ;   in Loop: Header=BB323_12 Depth=1
	s_or_b32 exec_lo, exec_lo, s44
	v_lshlrev_b32_e32 v68, 16, v70
	v_lshlrev_b32_e32 v17, 20, v17
	v_lshl_add_u32 v67, v67, 23, 0x3c000000
	v_and_b32_e32 v68, 0x80000000, v68
	v_or3_b32 v67, v17, v68, v67
.LBB323_191:                            ;   in Loop: Header=BB323_12 Depth=1
	s_or_b32 exec_lo, exec_lo, s43
.LBB323_192:                            ;   in Loop: Header=BB323_12 Depth=1
	s_or_b32 exec_lo, exec_lo, s42
.LBB323_193:                            ;   in Loop: Header=BB323_12 Depth=1
	s_or_b32 exec_lo, exec_lo, s41
	v_and_b32_sdwa v17, v70, v39 dst_sel:DWORD dst_unused:UNUSED_PAD src0_sel:WORD_1 src1_sel:DWORD
	v_mov_b32_e32 v68, 0
	v_mov_b32_e32 v69, 0
	s_mov_b32 s41, exec_lo
	v_cmpx_ne_u16_e32 0, v17
	s_cbranch_execz .LBB323_201
; %bb.194:                              ;   in Loop: Header=BB323_12 Depth=1
	v_bfrev_b32_e32 v69, 1
	s_mov_b32 s42, exec_lo
	v_cmpx_ne_u16_e32 0x80, v17
	s_cbranch_execz .LBB323_200
; %bb.195:                              ;   in Loop: Header=BB323_12 Depth=1
	v_bfe_u32 v71, v70, 16, 7
	v_mov_b32_e32 v69, 0x7f800001
	s_mov_b32 s43, exec_lo
	v_cmpx_ne_u32_e32 0x7f, v71
	s_cbranch_execz .LBB323_199
; %bb.196:                              ;   in Loop: Header=BB323_12 Depth=1
	v_and_b32_sdwa v17, v70, v40 dst_sel:DWORD dst_unused:UNUSED_PAD src0_sel:WORD_1 src1_sel:DWORD
	v_lshrrev_b32_e32 v69, 3, v71
	s_mov_b32 s44, exec_lo
	v_cmpx_gt_u32_e32 8, v71
; %bb.197:                              ;   in Loop: Header=BB323_12 Depth=1
	v_ffbh_u32_e32 v69, v17
	v_min_u32_e32 v69, 32, v69
	v_subrev_nc_u32_e32 v71, 28, v69
	v_sub_nc_u32_e32 v69, 29, v69
	v_lshlrev_b64 v[71:72], v71, v[17:18]
	v_and_b32_e32 v17, 7, v71
; %bb.198:                              ;   in Loop: Header=BB323_12 Depth=1
	s_or_b32 exec_lo, exec_lo, s44
	v_lshlrev_b32_sdwa v71, v41, v70 dst_sel:DWORD dst_unused:UNUSED_PAD src0_sel:DWORD src1_sel:WORD_1
	v_lshlrev_b32_e32 v17, 20, v17
	v_lshl_add_u32 v69, v69, 23, 0x3c000000
	v_and_b32_e32 v71, 0x80000000, v71
	v_or3_b32 v69, v17, v71, v69
.LBB323_199:                            ;   in Loop: Header=BB323_12 Depth=1
	s_or_b32 exec_lo, exec_lo, s43
.LBB323_200:                            ;   in Loop: Header=BB323_12 Depth=1
	s_or_b32 exec_lo, exec_lo, s42
.LBB323_201:                            ;   in Loop: Header=BB323_12 Depth=1
	s_or_b32 exec_lo, exec_lo, s41
	s_mov_b32 s41, exec_lo
	v_cmpx_lt_u32_e32 0xffffff, v70
	s_cbranch_execz .LBB323_209
; %bb.202:                              ;   in Loop: Header=BB323_12 Depth=1
	v_cmp_ne_u32_sdwa s2, v70, v37 src0_sel:BYTE_3 src1_sel:DWORD
	v_bfrev_b32_e32 v68, 1
	s_and_saveexec_b32 s42, s2
	s_cbranch_execz .LBB323_208
; %bb.203:                              ;   in Loop: Header=BB323_12 Depth=1
	v_bfe_u32 v71, v70, 24, 7
	v_mov_b32_e32 v68, 0x7f800001
	s_mov_b32 s43, exec_lo
	v_cmpx_ne_u32_e32 0x7f, v71
	s_cbranch_execz .LBB323_207
; %bb.204:                              ;   in Loop: Header=BB323_12 Depth=1
	v_and_b32_sdwa v17, v70, v40 dst_sel:DWORD dst_unused:UNUSED_PAD src0_sel:BYTE_3 src1_sel:DWORD
	v_lshrrev_b32_e32 v68, 3, v71
	s_mov_b32 s44, exec_lo
	v_cmpx_gt_u32_e32 8, v71
; %bb.205:                              ;   in Loop: Header=BB323_12 Depth=1
	v_ffbh_u32_e32 v68, v17
	v_min_u32_e32 v68, 32, v68
	v_subrev_nc_u32_e32 v71, 28, v68
	v_sub_nc_u32_e32 v68, 29, v68
	v_lshlrev_b64 v[71:72], v71, v[17:18]
	v_and_b32_e32 v17, 7, v71
; %bb.206:                              ;   in Loop: Header=BB323_12 Depth=1
	s_or_b32 exec_lo, exec_lo, s44
	v_lshlrev_b32_sdwa v70, v41, v70 dst_sel:DWORD dst_unused:UNUSED_PAD src0_sel:DWORD src1_sel:BYTE_3
	v_lshlrev_b32_e32 v17, 20, v17
	v_lshl_add_u32 v68, v68, 23, 0x3c000000
	v_and_b32_e32 v70, 0x80000000, v70
	v_or3_b32 v68, v17, v70, v68
.LBB323_207:                            ;   in Loop: Header=BB323_12 Depth=1
	s_or_b32 exec_lo, exec_lo, s43
.LBB323_208:                            ;   in Loop: Header=BB323_12 Depth=1
	s_or_b32 exec_lo, exec_lo, s42
.LBB323_209:                            ;   in Loop: Header=BB323_12 Depth=1
	s_or_b32 exec_lo, exec_lo, s41
	global_load_dword v73, v[23:24], off offset:768
	v_mov_b32_e32 v71, 0
	v_mov_b32_e32 v70, 0
	s_waitcnt vmcnt(0)
	v_cmp_ne_u16_sdwa s2, v73, v18 src0_sel:BYTE_0 src1_sel:DWORD
	s_and_saveexec_b32 s41, s2
	s_cbranch_execz .LBB323_217
; %bb.210:                              ;   in Loop: Header=BB323_12 Depth=1
	v_cmp_ne_u16_sdwa s2, v73, v37 src0_sel:BYTE_0 src1_sel:DWORD
	v_bfrev_b32_e32 v70, 1
	s_and_saveexec_b32 s42, s2
	s_cbranch_execz .LBB323_216
; %bb.211:                              ;   in Loop: Header=BB323_12 Depth=1
	v_and_b32_e32 v72, 0x7f, v73
	v_mov_b32_e32 v70, 0x7f800001
	s_mov_b32 s43, exec_lo
	v_cmpx_ne_u32_e32 0x7f, v72
	s_cbranch_execz .LBB323_215
; %bb.212:                              ;   in Loop: Header=BB323_12 Depth=1
	v_and_b32_e32 v17, 7, v73
	v_lshrrev_b32_e32 v70, 3, v72
	s_mov_b32 s44, exec_lo
	v_cmpx_gt_u32_e32 8, v72
; %bb.213:                              ;   in Loop: Header=BB323_12 Depth=1
	v_ffbh_u32_e32 v70, v17
	v_min_u32_e32 v70, 32, v70
	v_subrev_nc_u32_e32 v72, 28, v70
	v_sub_nc_u32_e32 v70, 29, v70
	v_lshlrev_b64 v[74:75], v72, v[17:18]
	v_and_b32_e32 v17, 7, v74
; %bb.214:                              ;   in Loop: Header=BB323_12 Depth=1
	s_or_b32 exec_lo, exec_lo, s44
	v_lshlrev_b32_e32 v72, 24, v73
	v_lshlrev_b32_e32 v17, 20, v17
	v_lshl_add_u32 v70, v70, 23, 0x3c000000
	v_and_b32_e32 v72, 0x80000000, v72
	v_or3_b32 v70, v17, v72, v70
.LBB323_215:                            ;   in Loop: Header=BB323_12 Depth=1
	s_or_b32 exec_lo, exec_lo, s43
.LBB323_216:                            ;   in Loop: Header=BB323_12 Depth=1
	s_or_b32 exec_lo, exec_lo, s42
.LBB323_217:                            ;   in Loop: Header=BB323_12 Depth=1
	s_or_b32 exec_lo, exec_lo, s41
	v_cmp_ne_u16_sdwa s2, v73, v18 src0_sel:BYTE_1 src1_sel:DWORD
	s_and_saveexec_b32 s41, s2
	s_cbranch_execz .LBB323_225
; %bb.218:                              ;   in Loop: Header=BB323_12 Depth=1
	v_cmp_ne_u16_sdwa s2, v73, v37 src0_sel:BYTE_1 src1_sel:DWORD
	v_bfrev_b32_e32 v71, 1
	s_and_saveexec_b32 s42, s2
	s_cbranch_execz .LBB323_224
; %bb.219:                              ;   in Loop: Header=BB323_12 Depth=1
	v_and_b32_sdwa v17, v38, v73 dst_sel:DWORD dst_unused:UNUSED_PAD src0_sel:DWORD src1_sel:BYTE_1
	v_mov_b32_e32 v71, 0x7f800001
	s_mov_b32 s43, exec_lo
	v_and_b32_e32 v72, 0x7f, v17
	v_cmpx_ne_u32_e32 0x7f, v72
	s_cbranch_execz .LBB323_223
; %bb.220:                              ;   in Loop: Header=BB323_12 Depth=1
	v_and_b32_e32 v17, 7, v17
	v_lshrrev_b32_e32 v71, 3, v72
	s_mov_b32 s44, exec_lo
	v_cmpx_gt_u32_e32 8, v72
; %bb.221:                              ;   in Loop: Header=BB323_12 Depth=1
	v_ffbh_u32_e32 v71, v17
	v_min_u32_e32 v71, 32, v71
	v_subrev_nc_u32_e32 v72, 28, v71
	v_sub_nc_u32_e32 v71, 29, v71
	v_lshlrev_b64 v[74:75], v72, v[17:18]
	v_and_b32_e32 v17, 7, v74
; %bb.222:                              ;   in Loop: Header=BB323_12 Depth=1
	s_or_b32 exec_lo, exec_lo, s44
	v_lshlrev_b32_e32 v72, 16, v73
	v_lshlrev_b32_e32 v17, 20, v17
	v_lshl_add_u32 v71, v71, 23, 0x3c000000
	v_and_b32_e32 v72, 0x80000000, v72
	v_or3_b32 v71, v17, v72, v71
.LBB323_223:                            ;   in Loop: Header=BB323_12 Depth=1
	s_or_b32 exec_lo, exec_lo, s43
.LBB323_224:                            ;   in Loop: Header=BB323_12 Depth=1
	s_or_b32 exec_lo, exec_lo, s42
.LBB323_225:                            ;   in Loop: Header=BB323_12 Depth=1
	s_or_b32 exec_lo, exec_lo, s41
	v_and_b32_sdwa v17, v73, v39 dst_sel:DWORD dst_unused:UNUSED_PAD src0_sel:WORD_1 src1_sel:DWORD
	v_mov_b32_e32 v72, 0
	v_mov_b32_e32 v74, 0
	s_mov_b32 s41, exec_lo
	v_cmpx_ne_u16_e32 0, v17
	s_cbranch_execz .LBB323_233
; %bb.226:                              ;   in Loop: Header=BB323_12 Depth=1
	v_bfrev_b32_e32 v74, 1
	s_mov_b32 s42, exec_lo
	v_cmpx_ne_u16_e32 0x80, v17
	s_cbranch_execz .LBB323_232
; %bb.227:                              ;   in Loop: Header=BB323_12 Depth=1
	v_bfe_u32 v75, v73, 16, 7
	v_mov_b32_e32 v74, 0x7f800001
	s_mov_b32 s43, exec_lo
	v_cmpx_ne_u32_e32 0x7f, v75
	s_cbranch_execz .LBB323_231
; %bb.228:                              ;   in Loop: Header=BB323_12 Depth=1
	v_and_b32_sdwa v17, v73, v40 dst_sel:DWORD dst_unused:UNUSED_PAD src0_sel:WORD_1 src1_sel:DWORD
	v_lshrrev_b32_e32 v74, 3, v75
	s_mov_b32 s44, exec_lo
	v_cmpx_gt_u32_e32 8, v75
; %bb.229:                              ;   in Loop: Header=BB323_12 Depth=1
	v_ffbh_u32_e32 v74, v17
	v_min_u32_e32 v74, 32, v74
	v_subrev_nc_u32_e32 v75, 28, v74
	v_sub_nc_u32_e32 v74, 29, v74
	v_lshlrev_b64 v[75:76], v75, v[17:18]
	v_and_b32_e32 v17, 7, v75
; %bb.230:                              ;   in Loop: Header=BB323_12 Depth=1
	s_or_b32 exec_lo, exec_lo, s44
	v_lshlrev_b32_sdwa v75, v41, v73 dst_sel:DWORD dst_unused:UNUSED_PAD src0_sel:DWORD src1_sel:WORD_1
	v_lshlrev_b32_e32 v17, 20, v17
	v_lshl_add_u32 v74, v74, 23, 0x3c000000
	v_and_b32_e32 v75, 0x80000000, v75
	v_or3_b32 v74, v17, v75, v74
.LBB323_231:                            ;   in Loop: Header=BB323_12 Depth=1
	s_or_b32 exec_lo, exec_lo, s43
.LBB323_232:                            ;   in Loop: Header=BB323_12 Depth=1
	s_or_b32 exec_lo, exec_lo, s42
.LBB323_233:                            ;   in Loop: Header=BB323_12 Depth=1
	s_or_b32 exec_lo, exec_lo, s41
	s_mov_b32 s41, exec_lo
	v_cmpx_lt_u32_e32 0xffffff, v73
	s_cbranch_execz .LBB323_241
; %bb.234:                              ;   in Loop: Header=BB323_12 Depth=1
	v_cmp_ne_u32_sdwa s2, v73, v37 src0_sel:BYTE_3 src1_sel:DWORD
	v_bfrev_b32_e32 v72, 1
	s_and_saveexec_b32 s42, s2
	s_cbranch_execz .LBB323_240
; %bb.235:                              ;   in Loop: Header=BB323_12 Depth=1
	v_bfe_u32 v75, v73, 24, 7
	v_mov_b32_e32 v72, 0x7f800001
	s_mov_b32 s43, exec_lo
	v_cmpx_ne_u32_e32 0x7f, v75
	s_cbranch_execz .LBB323_239
; %bb.236:                              ;   in Loop: Header=BB323_12 Depth=1
	v_and_b32_sdwa v17, v73, v40 dst_sel:DWORD dst_unused:UNUSED_PAD src0_sel:BYTE_3 src1_sel:DWORD
	v_lshrrev_b32_e32 v72, 3, v75
	s_mov_b32 s44, exec_lo
	v_cmpx_gt_u32_e32 8, v75
; %bb.237:                              ;   in Loop: Header=BB323_12 Depth=1
	v_ffbh_u32_e32 v72, v17
	v_min_u32_e32 v72, 32, v72
	v_subrev_nc_u32_e32 v75, 28, v72
	v_sub_nc_u32_e32 v72, 29, v72
	v_lshlrev_b64 v[75:76], v75, v[17:18]
	v_and_b32_e32 v17, 7, v75
; %bb.238:                              ;   in Loop: Header=BB323_12 Depth=1
	s_or_b32 exec_lo, exec_lo, s44
	v_lshlrev_b32_sdwa v73, v41, v73 dst_sel:DWORD dst_unused:UNUSED_PAD src0_sel:DWORD src1_sel:BYTE_3
	v_lshlrev_b32_e32 v17, 20, v17
	v_lshl_add_u32 v72, v72, 23, 0x3c000000
	v_and_b32_e32 v73, 0x80000000, v73
	v_or3_b32 v72, v17, v73, v72
.LBB323_239:                            ;   in Loop: Header=BB323_12 Depth=1
	s_or_b32 exec_lo, exec_lo, s43
.LBB323_240:                            ;   in Loop: Header=BB323_12 Depth=1
	s_or_b32 exec_lo, exec_lo, s42
.LBB323_241:                            ;   in Loop: Header=BB323_12 Depth=1
	s_or_b32 exec_lo, exec_lo, s41
	global_load_dword v24, v[23:24], off offset:776
	v_mov_b32_e32 v76, 0
	v_mov_b32_e32 v75, 0
	s_waitcnt vmcnt(0)
	v_cmp_ne_u16_sdwa s2, v24, v18 src0_sel:BYTE_0 src1_sel:DWORD
	s_and_saveexec_b32 s41, s2
	s_cbranch_execz .LBB323_249
; %bb.242:                              ;   in Loop: Header=BB323_12 Depth=1
	v_cmp_ne_u16_sdwa s2, v24, v37 src0_sel:BYTE_0 src1_sel:DWORD
	v_bfrev_b32_e32 v75, 1
	s_and_saveexec_b32 s42, s2
	s_cbranch_execz .LBB323_248
; %bb.243:                              ;   in Loop: Header=BB323_12 Depth=1
	v_and_b32_e32 v73, 0x7f, v24
	v_mov_b32_e32 v75, 0x7f800001
	s_mov_b32 s43, exec_lo
	v_cmpx_ne_u32_e32 0x7f, v73
	s_cbranch_execz .LBB323_247
; %bb.244:                              ;   in Loop: Header=BB323_12 Depth=1
	v_and_b32_e32 v17, 7, v24
	v_lshrrev_b32_e32 v23, 3, v73
	s_mov_b32 s44, exec_lo
	v_cmpx_gt_u32_e32 8, v73
; %bb.245:                              ;   in Loop: Header=BB323_12 Depth=1
	v_ffbh_u32_e32 v23, v17
	v_min_u32_e32 v23, 32, v23
	v_subrev_nc_u32_e32 v73, 28, v23
	v_sub_nc_u32_e32 v23, 29, v23
	v_lshlrev_b64 v[77:78], v73, v[17:18]
	v_and_b32_e32 v17, 7, v77
; %bb.246:                              ;   in Loop: Header=BB323_12 Depth=1
	s_or_b32 exec_lo, exec_lo, s44
	v_lshlrev_b32_e32 v73, 24, v24
	v_lshlrev_b32_e32 v17, 20, v17
	v_lshl_add_u32 v23, v23, 23, 0x3c000000
	v_and_b32_e32 v73, 0x80000000, v73
	v_or3_b32 v75, v17, v73, v23
.LBB323_247:                            ;   in Loop: Header=BB323_12 Depth=1
	s_or_b32 exec_lo, exec_lo, s43
.LBB323_248:                            ;   in Loop: Header=BB323_12 Depth=1
	s_or_b32 exec_lo, exec_lo, s42
.LBB323_249:                            ;   in Loop: Header=BB323_12 Depth=1
	s_or_b32 exec_lo, exec_lo, s41
	v_cmp_ne_u16_sdwa s2, v24, v18 src0_sel:BYTE_1 src1_sel:DWORD
	s_and_saveexec_b32 s41, s2
	s_cbranch_execz .LBB323_257
; %bb.250:                              ;   in Loop: Header=BB323_12 Depth=1
	v_cmp_ne_u16_sdwa s2, v24, v37 src0_sel:BYTE_1 src1_sel:DWORD
	v_bfrev_b32_e32 v76, 1
	s_and_saveexec_b32 s42, s2
	s_cbranch_execz .LBB323_256
; %bb.251:                              ;   in Loop: Header=BB323_12 Depth=1
	v_and_b32_sdwa v17, v38, v24 dst_sel:DWORD dst_unused:UNUSED_PAD src0_sel:DWORD src1_sel:BYTE_1
	v_mov_b32_e32 v76, 0x7f800001
	s_mov_b32 s43, exec_lo
	v_and_b32_e32 v73, 0x7f, v17
	v_cmpx_ne_u32_e32 0x7f, v73
	s_cbranch_execz .LBB323_255
; %bb.252:                              ;   in Loop: Header=BB323_12 Depth=1
	v_and_b32_e32 v17, 7, v17
	v_lshrrev_b32_e32 v23, 3, v73
	s_mov_b32 s44, exec_lo
	v_cmpx_gt_u32_e32 8, v73
; %bb.253:                              ;   in Loop: Header=BB323_12 Depth=1
	v_ffbh_u32_e32 v23, v17
	v_min_u32_e32 v23, 32, v23
	v_subrev_nc_u32_e32 v73, 28, v23
	v_sub_nc_u32_e32 v23, 29, v23
	v_lshlrev_b64 v[76:77], v73, v[17:18]
	v_and_b32_e32 v17, 7, v76
; %bb.254:                              ;   in Loop: Header=BB323_12 Depth=1
	s_or_b32 exec_lo, exec_lo, s44
	v_lshlrev_b32_e32 v73, 16, v24
	v_lshlrev_b32_e32 v17, 20, v17
	v_lshl_add_u32 v23, v23, 23, 0x3c000000
	v_and_b32_e32 v73, 0x80000000, v73
	v_or3_b32 v76, v17, v73, v23
.LBB323_255:                            ;   in Loop: Header=BB323_12 Depth=1
	s_or_b32 exec_lo, exec_lo, s43
.LBB323_256:                            ;   in Loop: Header=BB323_12 Depth=1
	s_or_b32 exec_lo, exec_lo, s42
.LBB323_257:                            ;   in Loop: Header=BB323_12 Depth=1
	s_or_b32 exec_lo, exec_lo, s41
	v_and_b32_sdwa v17, v24, v39 dst_sel:DWORD dst_unused:UNUSED_PAD src0_sel:WORD_1 src1_sel:DWORD
	v_mov_b32_e32 v23, 0
	v_mov_b32_e32 v73, 0
	s_mov_b32 s41, exec_lo
	v_cmpx_ne_u16_e32 0, v17
	s_cbranch_execz .LBB323_265
; %bb.258:                              ;   in Loop: Header=BB323_12 Depth=1
	v_bfrev_b32_e32 v73, 1
	s_mov_b32 s42, exec_lo
	v_cmpx_ne_u16_e32 0x80, v17
	s_cbranch_execz .LBB323_264
; %bb.259:                              ;   in Loop: Header=BB323_12 Depth=1
	v_bfe_u32 v77, v24, 16, 7
	v_mov_b32_e32 v73, 0x7f800001
	s_mov_b32 s43, exec_lo
	v_cmpx_ne_u32_e32 0x7f, v77
	s_cbranch_execz .LBB323_263
; %bb.260:                              ;   in Loop: Header=BB323_12 Depth=1
	v_and_b32_sdwa v17, v24, v40 dst_sel:DWORD dst_unused:UNUSED_PAD src0_sel:WORD_1 src1_sel:DWORD
	v_lshrrev_b32_e32 v73, 3, v77
	s_mov_b32 s44, exec_lo
	v_cmpx_gt_u32_e32 8, v77
; %bb.261:                              ;   in Loop: Header=BB323_12 Depth=1
	v_ffbh_u32_e32 v73, v17
	v_min_u32_e32 v73, 32, v73
	v_subrev_nc_u32_e32 v77, 28, v73
	v_sub_nc_u32_e32 v73, 29, v73
	v_lshlrev_b64 v[77:78], v77, v[17:18]
	v_and_b32_e32 v17, 7, v77
; %bb.262:                              ;   in Loop: Header=BB323_12 Depth=1
	s_or_b32 exec_lo, exec_lo, s44
	v_lshlrev_b32_sdwa v77, v41, v24 dst_sel:DWORD dst_unused:UNUSED_PAD src0_sel:DWORD src1_sel:WORD_1
	v_lshlrev_b32_e32 v17, 20, v17
	v_lshl_add_u32 v73, v73, 23, 0x3c000000
	v_and_b32_e32 v77, 0x80000000, v77
	v_or3_b32 v73, v17, v77, v73
.LBB323_263:                            ;   in Loop: Header=BB323_12 Depth=1
	s_or_b32 exec_lo, exec_lo, s43
.LBB323_264:                            ;   in Loop: Header=BB323_12 Depth=1
	s_or_b32 exec_lo, exec_lo, s42
.LBB323_265:                            ;   in Loop: Header=BB323_12 Depth=1
	s_or_b32 exec_lo, exec_lo, s41
	s_mov_b32 s41, exec_lo
	v_cmpx_lt_u32_e32 0xffffff, v24
	s_cbranch_execz .LBB323_273
; %bb.266:                              ;   in Loop: Header=BB323_12 Depth=1
	v_cmp_ne_u32_sdwa s2, v24, v37 src0_sel:BYTE_3 src1_sel:DWORD
	v_bfrev_b32_e32 v23, 1
	s_and_saveexec_b32 s42, s2
	s_cbranch_execz .LBB323_272
; %bb.267:                              ;   in Loop: Header=BB323_12 Depth=1
	v_bfe_u32 v77, v24, 24, 7
	v_mov_b32_e32 v23, 0x7f800001
	s_mov_b32 s43, exec_lo
	v_cmpx_ne_u32_e32 0x7f, v77
	s_cbranch_execz .LBB323_271
; %bb.268:                              ;   in Loop: Header=BB323_12 Depth=1
	v_and_b32_sdwa v17, v24, v40 dst_sel:DWORD dst_unused:UNUSED_PAD src0_sel:BYTE_3 src1_sel:DWORD
	v_lshrrev_b32_e32 v23, 3, v77
	s_mov_b32 s44, exec_lo
	v_cmpx_gt_u32_e32 8, v77
; %bb.269:                              ;   in Loop: Header=BB323_12 Depth=1
	v_ffbh_u32_e32 v23, v17
	v_min_u32_e32 v23, 32, v23
	v_subrev_nc_u32_e32 v77, 28, v23
	v_sub_nc_u32_e32 v23, 29, v23
	v_lshlrev_b64 v[77:78], v77, v[17:18]
	v_and_b32_e32 v17, 7, v77
; %bb.270:                              ;   in Loop: Header=BB323_12 Depth=1
	s_or_b32 exec_lo, exec_lo, s44
	v_lshlrev_b32_sdwa v24, v41, v24 dst_sel:DWORD dst_unused:UNUSED_PAD src0_sel:DWORD src1_sel:BYTE_3
	v_lshlrev_b32_e32 v17, 20, v17
	v_lshl_add_u32 v23, v23, 23, 0x3c000000
	v_and_b32_e32 v24, 0x80000000, v24
	v_or3_b32 v23, v17, v24, v23
.LBB323_271:                            ;   in Loop: Header=BB323_12 Depth=1
	s_or_b32 exec_lo, exec_lo, s43
.LBB323_272:                            ;   in Loop: Header=BB323_12 Depth=1
	s_or_b32 exec_lo, exec_lo, s42
.LBB323_273:                            ;   in Loop: Header=BB323_12 Depth=1
	s_or_b32 exec_lo, exec_lo, s41
	s_waitcnt lgkmcnt(0)
	v_mul_f32_e32 v17, s40, v76
	v_mul_f32_e32 v24, s40, v75
	;; [unrolled: 1-line block ×5, first 2 shown]
	v_bfe_u32 v75, v17, 16, 1
	v_bfe_u32 v76, v24, 16, 1
	v_or_b32_e32 v77, 0x400000, v17
	v_cmp_u_f32_e64 s2, v17, v17
	v_or_b32_e32 v78, 0x400000, v24
	v_add3_u32 v75, v75, v17, 0x7fff
	v_bfe_u32 v79, v74, 16, 1
	v_add3_u32 v76, v76, v24, 0x7fff
	v_bfe_u32 v80, v72, 16, 1
	v_mul_f32_e32 v58, s40, v58
	v_cndmask_b32_e64 v17, v75, v77, s2
	v_cmp_u_f32_e64 s2, v24, v24
	v_add3_u32 v75, v79, v74, 0x7fff
	v_add3_u32 v77, v80, v72, 0x7fff
	v_mul_f32_e32 v57, s40, v57
	v_mul_f32_e32 v56, s40, v56
	v_cndmask_b32_e64 v24, v76, v78, s2
	v_mul_f32_e32 v76, s40, v71
	v_or_b32_e32 v71, 0x400000, v74
	v_cmp_u_f32_e64 s2, v74, v74
	v_mul_f32_e32 v78, s40, v70
	v_or_b32_e32 v70, 0x400000, v72
	v_bfe_u32 v79, v76, 16, 1
	v_mul_f32_e32 v55, s40, v55
	v_cndmask_b32_e64 v71, v75, v71, s2
	v_cmp_u_f32_e64 s2, v72, v72
	v_bfe_u32 v74, v78, 16, 1
	v_add3_u32 v72, v79, v76, 0x7fff
	v_mul_f32_e32 v75, s40, v69
	v_or_b32_e32 v69, 0x400000, v76
	v_cndmask_b32_e64 v70, v77, v70, s2
	v_cmp_u_f32_e64 s2, v76, v76
	v_add3_u32 v74, v74, v78, 0x7fff
	v_mul_f32_e32 v77, s40, v68
	v_or_b32_e32 v79, 0x400000, v78
	v_bfe_u32 v80, v75, 16, 1
	v_cndmask_b32_e64 v68, v72, v69, s2
	v_cmp_u_f32_e64 s2, v78, v78
	v_bfe_u32 v72, v77, 16, 1
	v_mul_f32_e32 v76, s40, v67
	v_or_b32_e32 v67, 0x400000, v75
	v_mul_f32_e32 v78, s40, v66
	v_cndmask_b32_e64 v69, v74, v79, s2
	v_add3_u32 v74, v80, v75, 0x7fff
	v_cmp_u_f32_e64 s2, v75, v75
	v_add3_u32 v72, v72, v77, 0x7fff
	v_or_b32_e32 v79, 0x400000, v77
	v_bfe_u32 v80, v76, 16, 1
	v_mul_f32_e32 v75, s40, v65
	v_cndmask_b32_e64 v66, v74, v67, s2
	v_cmp_u_f32_e64 s2, v77, v77
	v_bfe_u32 v74, v78, 16, 1
	v_or_b32_e32 v65, 0x400000, v76
	v_mul_f32_e32 v77, s40, v64
	v_mul_f32_e32 v54, s40, v54
	v_cndmask_b32_e64 v67, v72, v79, s2
	v_add3_u32 v72, v80, v76, 0x7fff
	v_cmp_u_f32_e64 s2, v76, v76
	v_add3_u32 v74, v74, v78, 0x7fff
	v_or_b32_e32 v79, 0x400000, v78
	v_bfe_u32 v80, v75, 16, 1
	v_mul_f32_e32 v76, s40, v63
	v_cndmask_b32_e64 v64, v72, v65, s2
	v_cmp_u_f32_e64 s2, v78, v78
	v_bfe_u32 v72, v77, 16, 1
	v_or_b32_e32 v63, 0x400000, v75
	v_mul_f32_e32 v78, s40, v62
	;; [unrolled: 13-line block ×3, first 2 shown]
	v_mul_f32_e32 v52, s40, v52
	v_cndmask_b32_e64 v63, v72, v79, s2
	v_add3_u32 v72, v80, v76, 0x7fff
	v_cmp_u_f32_e64 s2, v76, v76
	v_add3_u32 v74, v74, v78, 0x7fff
	v_or_b32_e32 v79, 0x400000, v78
	v_bfe_u32 v80, v75, 16, 1
	v_or_b32_e32 v76, 0x400000, v75
	v_cndmask_b32_e64 v60, v72, v61, s2
	v_cmp_u_f32_e64 s2, v78, v78
	v_bfe_u32 v72, v77, 16, 1
	v_or_b32_e32 v78, 0x400000, v77
	v_mul_f32_e32 v51, s40, v51
	v_mul_f32_e32 v50, s40, v50
	v_cndmask_b32_e64 v61, v74, v79, s2
	v_add3_u32 v74, v80, v75, 0x7fff
	v_cmp_u_f32_e64 s2, v75, v75
	v_add3_u32 v72, v72, v77, 0x7fff
	v_bfe_u32 v79, v59, 16, 1
	v_bfe_u32 v75, v58, 16, 1
	v_mul_f32_e32 v49, s40, v49
	v_cndmask_b32_e64 v74, v74, v76, s2
	v_cmp_u_f32_e64 s2, v77, v77
	v_add3_u32 v76, v79, v59, 0x7fff
	v_or_b32_e32 v77, 0x400000, v59
	v_add3_u32 v75, v75, v58, 0x7fff
	v_bfe_u32 v79, v57, 16, 1
	v_cndmask_b32_e64 v72, v72, v78, s2
	v_cmp_u_f32_e64 s2, v59, v59
	v_or_b32_e32 v78, 0x400000, v58
	v_mul_f32_e32 v48, s40, v48
	v_mul_f32_e32 v47, s40, v47
	;; [unrolled: 1-line block ×3, first 2 shown]
	v_cndmask_b32_e64 v59, v76, v77, s2
	v_cmp_u_f32_e64 s2, v58, v58
	v_bfe_u32 v76, v56, 16, 1
	v_or_b32_e32 v77, 0x400000, v57
	v_or_b32_e32 v80, 0x400000, v46
	v_lshlrev_b32_e32 v81, 16, v11
	v_cndmask_b32_e64 v58, v75, v78, s2
	v_add3_u32 v75, v79, v57, 0x7fff
	v_cmp_u_f32_e64 s2, v57, v57
	v_add3_u32 v76, v76, v56, 0x7fff
	v_or_b32_e32 v78, 0x400000, v56
	v_bfe_u32 v79, v55, 16, 1
	v_lshlrev_b32_e32 v82, 16, v12
	v_cndmask_b32_e64 v57, v75, v77, s2
	v_cmp_u_f32_e64 s2, v56, v56
	v_bfe_u32 v75, v54, 16, 1
	v_or_b32_e32 v77, 0x400000, v55
	v_and_b32_e32 v11, 0xffff0000, v11
	v_and_b32_e32 v12, 0xffff0000, v12
	v_cndmask_b32_e64 v56, v76, v78, s2
	v_add3_u32 v76, v79, v55, 0x7fff
	v_cmp_u_f32_e64 s2, v55, v55
	v_add3_u32 v75, v75, v54, 0x7fff
	v_or_b32_e32 v78, 0x400000, v54
	v_bfe_u32 v79, v53, 16, 1
	v_lshlrev_b32_e32 v83, 16, v5
	v_cndmask_b32_e64 v55, v76, v77, s2
	v_cmp_u_f32_e64 s2, v54, v54
	v_bfe_u32 v76, v52, 16, 1
	v_or_b32_e32 v77, 0x400000, v53
	v_lshlrev_b32_e32 v84, 16, v6
	v_mul_f32_e32 v73, s40, v73
	v_cndmask_b32_e64 v54, v75, v78, s2
	v_add3_u32 v75, v79, v53, 0x7fff
	v_cmp_u_f32_e64 s2, v53, v53
	v_add3_u32 v76, v76, v52, 0x7fff
	v_or_b32_e32 v78, 0x400000, v52
	v_bfe_u32 v79, v51, 16, 1
	v_and_b32_e32 v5, 0xffff0000, v5
	v_cndmask_b32_e64 v53, v75, v77, s2
	v_cmp_u_f32_e64 s2, v52, v52
	v_bfe_u32 v75, v50, 16, 1
	v_or_b32_e32 v77, 0x400000, v51
	v_and_b32_e32 v6, 0xffff0000, v6
	v_and_b32_e32 v53, 0xffff0000, v53
	v_cndmask_b32_e64 v52, v76, v78, s2
	v_add3_u32 v76, v79, v51, 0x7fff
	v_cmp_u_f32_e64 s2, v51, v51
	v_add3_u32 v75, v75, v50, 0x7fff
	v_or_b32_e32 v78, 0x400000, v50
	v_or_b32_e32 v79, 0x400000, v47
	v_and_b32_e32 v52, 0xffff0000, v52
	v_cndmask_b32_e64 v51, v76, v77, s2
	v_bfe_u32 v76, v49, 16, 1
	v_cmp_u_f32_e64 s2, v50, v50
	v_bfe_u32 v77, v48, 16, 1
	v_lshlrev_b32_e32 v85, 16, v7
	v_and_b32_e32 v51, 0xffff0000, v51
	v_mul_f32_e32 v23, s40, v23
	v_cndmask_b32_e64 v50, v75, v78, s2
	v_add3_u32 v75, v76, v49, 0x7fff
	v_or_b32_e32 v76, 0x400000, v49
	v_cmp_u_f32_e64 s2, v49, v49
	v_bfe_u32 v78, v47, 16, 1
	v_and_b32_e32 v50, 0xffff0000, v50
	v_bfe_u32 v88, v73, 16, 1
	v_and_b32_e32 v7, 0xffff0000, v7
	v_cndmask_b32_e64 v49, v75, v76, s2
	v_add3_u32 v76, v77, v48, 0x7fff
	v_or_b32_e32 v77, 0x400000, v48
	v_cmp_u_f32_e64 s2, v48, v48
	v_bfe_u32 v75, v46, 16, 1
	v_add3_u32 v78, v78, v47, 0x7fff
	v_and_b32_e32 v49, 0xffff0000, v49
	v_lshlrev_b32_e32 v86, 16, v8
	v_cndmask_b32_e64 v48, v76, v77, s2
	v_cmp_u_f32_e64 s2, v47, v47
	v_add3_u32 v75, v75, v46, 0x7fff
	v_lshlrev_b32_e32 v77, 16, v15
	v_and_b32_e32 v15, 0xffff0000, v15
	v_lshlrev_b32_e32 v76, 16, v14
	v_cndmask_b32_e64 v47, v78, v79, s2
	v_cmp_u_f32_e64 s2, v46, v46
	v_lshlrev_b32_e32 v78, 16, v16
	v_and_b32_e32 v16, 0xffff0000, v16
	v_mul_f32_e32 v50, v77, v50
	v_and_b32_e32 v47, 0xffff0000, v47
	v_cndmask_b32_e64 v46, v75, v80, s2
	v_lshlrev_b32_e32 v75, 16, v13
	v_and_b32_e32 v13, 0xffff0000, v13
	v_mul_f32_e32 v15, v15, v51
	v_lshlrev_b32_e32 v79, 16, v9
	v_and_b32_e32 v46, 0xffff0000, v46
	v_and_b32_e32 v14, 0xffff0000, v14
	;; [unrolled: 1-line block ×4, first 2 shown]
	v_mul_f32_e32 v16, v16, v52
	v_fmac_f32_e32 v50, v75, v46
	v_mul_f32_e32 v46, v78, v53
	v_fmac_f32_e32 v15, v13, v47
	v_and_b32_e32 v47, 0xffff0000, v55
	v_lshlrev_b32_e32 v80, 16, v10
	v_and_b32_e32 v10, 0xffff0000, v10
	v_and_b32_e32 v13, 0xffff0000, v54
	v_fmac_f32_e32 v46, v76, v49
	v_fmac_f32_e32 v16, v14, v48
	v_and_b32_e32 v14, 0xffff0000, v57
	v_fmac_f32_e32 v15, v9, v47
	v_and_b32_e32 v9, 0xffff0000, v56
	;; [unrolled: 2-line block ×5, first 2 shown]
	v_and_b32_e32 v47, 0xffff0000, v74
	v_fmac_f32_e32 v50, v81, v13
	v_fmac_f32_e32 v15, v11, v14
	v_and_b32_e32 v10, 0xffff0000, v61
	v_and_b32_e32 v11, 0xffff0000, v60
	v_fmac_f32_e32 v16, v12, v9
	v_and_b32_e32 v12, 0xffff0000, v63
	v_fmac_f32_e32 v46, v82, v47
	v_and_b32_e32 v9, 0xffff0000, v62
	v_fmac_f32_e32 v50, v83, v10
	v_fmac_f32_e32 v15, v5, v11
	v_and_b32_e32 v5, 0xffff0000, v65
	v_fmac_f32_e32 v16, v6, v12
	v_and_b32_e32 v6, 0xffff0000, v64
	v_lshlrev_b32_e32 v87, 16, v1
	v_bfe_u32 v90, v23, 16, 1
	v_add3_u32 v88, v88, v73, 0x7fff
	v_or_b32_e32 v93, 0x400000, v73
	v_cmp_u_f32_e64 s2, v73, v73
	v_and_b32_e32 v8, 0xffff0000, v8
	v_and_b32_e32 v1, 0xffff0000, v1
	v_fmac_f32_e32 v46, v84, v9
	v_and_b32_e32 v9, 0xffff0000, v66
	v_fmac_f32_e32 v50, v85, v5
	v_and_b32_e32 v5, 0xffff0000, v67
	v_and_b32_e32 v10, 0xffff0000, v69
	v_fmac_f32_e32 v15, v7, v6
	v_and_b32_e32 v6, 0xffff0000, v68
	v_lshlrev_b32_e32 v89, 16, v2
	v_lshlrev_b32_e32 v91, 16, v3
	v_add3_u32 v90, v90, v23, 0x7fff
	v_or_b32_e32 v94, 0x400000, v23
	v_cndmask_b32_e64 v73, v88, v93, s2
	v_cmp_u_f32_e64 s2, v23, v23
	v_and_b32_e32 v3, 0xffff0000, v3
	v_fmac_f32_e32 v46, v86, v9
	v_fmac_f32_e32 v16, v8, v5
	;; [unrolled: 1-line block ×3, first 2 shown]
	v_and_b32_e32 v5, 0xffff0000, v71
	v_and_b32_e32 v7, 0xffff0000, v24
	v_fmac_f32_e32 v15, v1, v6
	v_and_b32_e32 v1, 0xffff0000, v17
	v_lshlrev_b32_e32 v92, 16, v4
	v_xor_b32_e32 v95, 1, v29
	v_cndmask_b32_e64 v23, v90, v94, s2
	v_and_b32_e32 v2, 0xffff0000, v2
	v_and_b32_e32 v6, 0xffff0000, v70
	v_fmac_f32_e32 v46, v89, v5
	v_fmac_f32_e32 v50, v91, v7
	v_and_b32_e32 v5, 0xffff0000, v73
	v_fmac_f32_e32 v15, v3, v1
	v_and_b32_e32 v1, 0xffff0000, v4
	;; [unrolled: 2-line block ×3, first 2 shown]
	v_fmac_f32_e32 v46, v92, v5
	v_add_f32_e32 v3, v50, v15
	v_cmp_gt_i32_e64 s2, 32, v95
	v_fmac_f32_e32 v16, v1, v2
	v_add_f32_e32 v1, v3, v46
	v_cndmask_b32_e64 v4, v29, v95, s2
	v_add_f32_e32 v1, v1, v16
	v_lshlrev_b32_e32 v2, 2, v4
	ds_bpermute_b32 v2, v2, v1
	s_and_saveexec_b32 s40, vcc_lo
	s_cbranch_execz .LBB323_10
; %bb.274:                              ;   in Loop: Header=BB323_12 Depth=1
	v_add_nc_u32_e32 v3, v42, v35
	s_waitcnt lgkmcnt(0)
	v_add_f32_e32 v1, v1, v2
	v_cvt_f32_i32_e32 v3, v3
	v_mul_f32_e32 v3, s36, v3
	v_cndmask_b32_e64 v2, 0, v3, s1
	v_max_f32_e32 v3, v34, v34
	v_fmac_f32_e32 v2, s35, v1
	v_add_nc_u32_e32 v1, v30, v35
	v_max_f32_e32 v3, v3, v2
	v_cmp_gt_i32_e64 s2, s33, v1
	v_cndmask_b32_e64 v1, 0, v2, s2
	v_cndmask_b32_e64 v34, v34, v3, s2
	ds_write_b32 v43, v1
	s_branch .LBB323_10
.LBB323_275:
	s_or_b32 exec_lo, exec_lo, s38
.LBB323_276:
	s_or_b32 exec_lo, exec_lo, s37
	v_xor_b32_e32 v1, 16, v29
	v_xor_b32_e32 v3, 8, v29
	v_max_f32_e32 v5, v34, v34
	v_xor_b32_e32 v6, 2, v29
	v_and_b32_e32 v21, 31, v0
	v_cmp_gt_i32_e32 vcc_lo, 32, v1
	v_cndmask_b32_e32 v1, v29, v1, vcc_lo
	v_cmp_gt_i32_e32 vcc_lo, 32, v3
	s_waitcnt lgkmcnt(0)
	v_lshlrev_b32_e32 v2, 2, v1
	v_cndmask_b32_e32 v3, v29, v3, vcc_lo
	ds_bpermute_b32 v1, v2, v34
	v_lshlrev_b32_e32 v4, 2, v3
	s_waitcnt lgkmcnt(0)
	v_max_f32_e32 v1, v1, v1
	v_max_f32_e32 v1, v5, v1
	v_xor_b32_e32 v5, 4, v29
	ds_bpermute_b32 v3, v4, v1
	v_cmp_gt_i32_e32 vcc_lo, 32, v5
	v_cndmask_b32_e32 v5, v29, v5, vcc_lo
	v_cmp_gt_i32_e32 vcc_lo, 32, v6
	v_lshlrev_b32_e32 v5, 2, v5
	v_cndmask_b32_e32 v6, v29, v6, vcc_lo
	v_cmp_eq_u32_e32 vcc_lo, 0, v21
	s_waitcnt lgkmcnt(0)
	v_max_f32_e32 v3, v3, v3
	v_max_f32_e32 v1, v1, v3
	ds_bpermute_b32 v3, v5, v1
	s_waitcnt lgkmcnt(0)
	v_max_f32_e32 v3, v3, v3
	v_max_f32_e32 v3, v1, v3
	v_lshlrev_b32_e32 v1, 2, v6
	v_lshlrev_b32_e32 v6, 2, v27
	ds_bpermute_b32 v7, v1, v3
	s_and_saveexec_b32 s1, vcc_lo
	s_cbranch_execz .LBB323_278
; %bb.277:
	s_waitcnt lgkmcnt(0)
	v_max_f32_e32 v7, v7, v7
	v_max_f32_e32 v3, v3, v3
	;; [unrolled: 1-line block ×3, first 2 shown]
	ds_write_b32 v6, v3 offset:128
.LBB323_278:
	s_or_b32 exec_lo, exec_lo, s1
	v_cmp_gt_u32_e64 s1, 4, v21
	v_mov_b32_e32 v3, 0xff7fffff
	s_waitcnt lgkmcnt(0)
	v_lshlrev_b32_e32 v7, 2, v21
	s_barrier
	buffer_gl0_inv
	s_and_saveexec_b32 s2, s1
; %bb.279:
	ds_read_b32 v3, v7 offset:128
; %bb.280:
	s_or_b32 exec_lo, exec_lo, s2
	s_waitcnt lgkmcnt(0)
	ds_bpermute_b32 v8, v1, v3
	v_xor_b32_e32 v9, 1, v29
	v_max_f32_e32 v3, v3, v3
	v_cmp_gt_i32_e64 s2, 32, v9
	v_cndmask_b32_e64 v9, v29, v9, s2
	s_lshl_b32 s2, s20, 4
	s_min_i32 s4, s2, s33
	v_lshlrev_b32_e32 v22, 2, v9
	v_cmp_gt_i32_e64 s2, s4, v0
	s_waitcnt lgkmcnt(0)
	v_max_f32_e32 v8, v8, v8
	v_max_f32_e32 v3, v3, v8
	ds_bpermute_b32 v8, v22, v3
	s_waitcnt lgkmcnt(0)
	v_max_f32_e32 v8, v8, v8
	v_max_f32_e32 v3, v3, v8
	v_mov_b32_e32 v8, 0
	ds_bpermute_b32 v9, v8, v3
	v_lshl_add_u32 v3, v0, 2, 0xa0
	s_and_saveexec_b32 s5, s2
	s_cbranch_execz .LBB323_284
; %bb.281:
	v_lshl_add_u32 v10, v0, 2, 0xa0
	v_mov_b32_e32 v8, 0
	v_mov_b32_e32 v11, v0
	s_mov_b32 s12, 0
	.p2align	6
.LBB323_282:                            ; =>This Inner Loop Header: Depth=1
	ds_read_b32 v12, v10
	v_add_nc_u32_e32 v11, 0x80, v11
	v_cmp_le_i32_e64 s3, s4, v11
	s_or_b32 s12, s3, s12
	s_waitcnt lgkmcnt(0)
	v_sub_f32_e32 v12, v12, v9
	v_mul_f32_e32 v12, 0x3fb8aa3b, v12
	v_exp_f32_e32 v12, v12
	ds_write_b32 v10, v12
	v_add_f32_e32 v8, v8, v12
	v_add_nc_u32_e32 v10, 0x200, v10
	s_andn2_b32 exec_lo, exec_lo, s12
	s_cbranch_execnz .LBB323_282
; %bb.283:
	s_or_b32 exec_lo, exec_lo, s12
.LBB323_284:
	s_or_b32 exec_lo, exec_lo, s5
	ds_bpermute_b32 v2, v2, v8
	s_waitcnt lgkmcnt(0)
	v_add_f32_e32 v2, v8, v2
	ds_bpermute_b32 v4, v4, v2
	s_waitcnt lgkmcnt(0)
	v_add_f32_e32 v2, v2, v4
	ds_bpermute_b32 v4, v5, v2
	s_waitcnt lgkmcnt(0)
	v_add_f32_e32 v2, v2, v4
	ds_bpermute_b32 v4, v1, v2
	s_waitcnt lgkmcnt(0)
	v_add_f32_e32 v2, v2, v4
	ds_bpermute_b32 v4, v22, v2
	s_waitcnt lgkmcnt(0)
	v_add_f32_e32 v2, v2, v4
	s_and_saveexec_b32 s3, vcc_lo
; %bb.285:
	ds_write_b32 v6, v2 offset:144
; %bb.286:
	s_or_b32 exec_lo, exec_lo, s3
	s_waitcnt lgkmcnt(0)
	s_barrier
	buffer_gl0_inv
	s_and_saveexec_b32 s3, s1
; %bb.287:
	ds_read_b32 v2, v7 offset:144
; %bb.288:
	s_or_b32 exec_lo, exec_lo, s3
	s_waitcnt lgkmcnt(0)
	ds_bpermute_b32 v1, v1, v2
	s_waitcnt lgkmcnt(0)
	v_add_f32_e32 v1, v2, v1
	ds_bpermute_b32 v2, v22, v1
	s_waitcnt lgkmcnt(0)
	v_add_f32_e32 v1, v1, v2
	v_mov_b32_e32 v2, 0
	ds_bpermute_b32 v1, v2, v1
	s_and_saveexec_b32 s1, s2
	s_cbranch_execz .LBB323_291
; %bb.289:
	s_waitcnt lgkmcnt(0)
	v_add_f32_e32 v1, 0x358637bd, v1
	s_mov_b32 s2, 0
	v_div_scale_f32 v2, null, v1, v1, 1.0
	v_div_scale_f32 v6, vcc_lo, 1.0, v1, 1.0
	v_rcp_f32_e32 v4, v2
	v_fma_f32 v5, -v2, v4, 1.0
	v_fmac_f32_e32 v4, v5, v4
	v_mul_f32_e32 v5, v6, v4
	v_fma_f32 v7, -v2, v5, v6
	v_fmac_f32_e32 v5, v7, v4
	v_fma_f32 v2, -v2, v5, v6
	v_div_fmas_f32 v2, v2, v4, v5
	v_div_fixup_f32 v1, v2, v1, 1.0
	v_mov_b32_e32 v2, v0
.LBB323_290:                            ; =>This Inner Loop Header: Depth=1
	ds_read_b32 v4, v3
	v_add_nc_u32_e32 v2, 0x80, v2
	v_cmp_le_i32_e32 vcc_lo, s4, v2
	s_or_b32 s2, vcc_lo, s2
	s_waitcnt lgkmcnt(0)
	v_mul_f32_e32 v4, v1, v4
	ds_write_b32 v3, v4
	v_add_nc_u32_e32 v3, 0x200, v3
	s_andn2_b32 exec_lo, exec_lo, s2
	s_cbranch_execnz .LBB323_290
.LBB323_291:
	s_or_b32 exec_lo, exec_lo, s1
	v_mov_b32_e32 v30, 0
	v_mov_b32_e32 v29, 0
	;; [unrolled: 1-line block ×4, first 2 shown]
	s_waitcnt lgkmcnt(0)
	s_barrier
	buffer_gl0_inv
	s_and_saveexec_b32 s1, s0
	s_cbranch_execz .LBB323_545
; %bb.292:
	s_sub_i32 s4, s34, s21
	s_ashr_i32 s0, s18, 31
	s_add_u32 s18, s30, s18
	s_addc_u32 s0, s31, s0
	s_abs_i32 s5, s22
	v_and_b32_e32 v2, 0xf8, v32
	v_cvt_f32_u32_e32 v1, s5
	s_sub_i32 s2, 0, s5
	v_lshlrev_b32_e32 v4, 5, v26
	s_mov_b32 s12, s17
	v_add_co_u32 v11, s17, s18, v2
	v_rcp_iflag_f32_e32 v1, v1
	v_and_b32_e32 v3, 0x7c, v33
	s_add_i32 s13, s20, -1
	v_lshl_or_b32 v4, v27, 6, v4
	v_add_co_ci_u32_e64 v12, null, s0, 0, s17
	v_and_b32_e32 v31, 8, v32
	v_mov_b32_e32 v10, 0
	v_mov_b32_e32 v32, 0x80
	v_mov_b32_e32 v33, 0xffff
	v_mul_f32_e32 v1, 0x4f7ffffe, v1
	v_mov_b32_e32 v34, 0xff
	v_mov_b32_e32 v35, 7
	;; [unrolled: 1-line block ×4, first 2 shown]
	v_cvt_u32_f32_e32 v1, v1
	v_mov_b32_e32 v24, 0
	v_mov_b32_e32 v29, 0
	;; [unrolled: 1-line block ×3, first 2 shown]
	v_add_nc_u32_e32 v37, 0xa0, v4
	v_mul_lo_u32 v5, s2, v1
	s_lshl_b64 s[2:3], s[28:29], 2
	v_mov_b32_e32 v39, v27
	s_add_u32 s0, s26, s2
	s_addc_u32 s2, s27, s3
	v_add_co_u32 v13, s0, s0, v3
	v_add_co_ci_u32_e64 v14, null, s2, 0, s0
	v_mul_hi_u32 v2, v1, v5
	s_mov_b32 s2, -1
	s_mov_b32 s3, 0xffffff
	s_mov_b32 s17, 0
	v_add_nc_u32_e32 v38, v1, v2
	s_branch .LBB323_295
.LBB323_293:                            ;   in Loop: Header=BB323_295 Depth=1
	s_or_b32 exec_lo, exec_lo, s0
	v_bfe_u32 v48, v5, 16, 1
	v_bfe_u32 v49, v6, 16, 1
	v_or_b32_e32 v50, 0x400000, v5
	v_cmp_u_f32_e32 vcc_lo, v5, v5
	v_or_b32_e32 v51, 0x400000, v6
	v_add3_u32 v48, v48, v5, 0x7fff
	v_bfe_u32 v52, v7, 16, 1
	v_add3_u32 v49, v49, v6, 0x7fff
	v_bfe_u32 v53, v8, 16, 1
	v_lshlrev_b32_e32 v19, 16, v19
	v_cndmask_b32_e32 v5, v48, v50, vcc_lo
	v_cmp_u_f32_e32 vcc_lo, v6, v6
	v_add3_u32 v48, v52, v7, 0x7fff
	v_add3_u32 v50, v53, v8, 0x7fff
	v_bfe_u32 v52, v1, 16, 1
	v_and_b32_e32 v5, 0xffff0000, v5
	v_cndmask_b32_e32 v6, v49, v51, vcc_lo
	v_or_b32_e32 v49, 0x400000, v7
	v_cmp_u_f32_e32 vcc_lo, v7, v7
	v_or_b32_e32 v51, 0x400000, v8
	v_or_b32_e32 v53, 0x400000, v4
	v_lshlrev_b32_e32 v20, 16, v20
	v_lshlrev_b32_e32 v65, 16, v65
	v_cndmask_b32_e32 v7, v48, v49, vcc_lo
	v_cmp_u_f32_e32 vcc_lo, v8, v8
	v_bfe_u32 v48, v2, 16, 1
	v_add3_u32 v49, v52, v1, 0x7fff
	v_bfe_u32 v52, v3, 16, 1
	v_lshlrev_b32_e32 v47, 16, v47
	v_cndmask_b32_e32 v8, v50, v51, vcc_lo
	v_or_b32_e32 v50, 0x400000, v1
	v_cmp_u_f32_e32 vcc_lo, v1, v1
	v_add3_u32 v48, v48, v2, 0x7fff
	v_or_b32_e32 v51, 0x400000, v2
	v_and_b32_e32 v1, 0xffff0000, v6
	v_lshlrev_b32_e32 v6, 16, v69
	v_cndmask_b32_e32 v49, v49, v50, vcc_lo
	v_cmp_u_f32_e32 vcc_lo, v2, v2
	v_add3_u32 v2, v52, v3, 0x7fff
	v_bfe_u32 v50, v4, 16, 1
	v_or_b32_e32 v52, 0x400000, v3
	v_mul_f32_e32 v6, v1, v6
	v_cndmask_b32_e32 v48, v48, v51, vcc_lo
	v_lshlrev_b32_e32 v51, 16, v68
	v_cmp_u_f32_e32 vcc_lo, v3, v3
	v_add3_u32 v50, v50, v4, 0x7fff
	v_bfe_u32 v3, v6, 16, 1
	v_mul_f32_e32 v47, v1, v47
	v_mul_f32_e32 v51, v5, v51
	v_cndmask_b32_e32 v52, v2, v52, vcc_lo
	v_cmp_u_f32_e32 vcc_lo, v4, v4
	v_and_b32_e32 v2, 0xffff0000, v8
	v_lshlrev_b32_e32 v8, 16, v66
	v_add3_u32 v3, v3, v6, 0x7fff
	v_or_b32_e32 v54, 0x400000, v51
	v_cndmask_b32_e32 v4, v50, v53, vcc_lo
	v_bfe_u32 v50, v51, 16, 1
	v_or_b32_e32 v53, 0x400000, v6
	v_mul_f32_e32 v55, v2, v8
	v_and_b32_e32 v8, 0xffff0000, v7
	v_lshlrev_b32_e32 v7, 16, v67
	v_cmp_u_f32_e32 vcc_lo, v6, v6
	v_add3_u32 v50, v50, v51, 0x7fff
	v_and_b32_e32 v6, 0xffff0000, v49
	v_or_b32_e32 v49, 0x400000, v55
	v_mul_f32_e32 v7, v8, v7
	v_cndmask_b32_e32 v53, v3, v53, vcc_lo
	v_cmp_u_f32_e32 vcc_lo, v51, v51
	v_bfe_u32 v51, v55, 16, 1
	v_and_b32_e32 v3, 0xffff0000, v48
	v_mul_f32_e32 v20, v6, v20
	v_and_b32_e32 v4, 0xffff0000, v4
	v_cndmask_b32_e32 v50, v50, v54, vcc_lo
	v_add3_u32 v48, v51, v55, 0x7fff
	v_bfe_u32 v51, v7, 16, 1
	v_mul_f32_e32 v19, v3, v19
	v_cmp_u_f32_e32 vcc_lo, v55, v55
	v_bfe_u32 v55, v20, 16, 1
	v_mul_f32_e32 v65, v4, v65
	v_and_b32_e32 v50, 0xffff0000, v50
	v_bfe_u32 v54, v19, 16, 1
	v_cndmask_b32_e32 v48, v48, v49, vcc_lo
	v_add3_u32 v49, v51, v7, 0x7fff
	v_or_b32_e32 v51, 0x400000, v7
	v_cmp_u_f32_e32 vcc_lo, v7, v7
	v_and_b32_e32 v7, 0xffff0000, v52
	v_lshlrev_b32_e32 v52, 16, v64
	v_add3_u32 v55, v55, v20, 0x7fff
	v_or_b32_e32 v64, 0x400000, v20
	v_cndmask_b32_e32 v49, v49, v51, vcc_lo
	v_add3_u32 v51, v54, v19, 0x7fff
	v_or_b32_e32 v54, 0x400000, v19
	v_cmp_u_f32_e32 vcc_lo, v19, v19
	v_bfe_u32 v66, v65, 16, 1
	v_and_b32_e32 v49, 0xffff0000, v49
	v_and_b32_e32 v48, 0xffff0000, v48
	;; [unrolled: 1-line block ×3, first 2 shown]
	v_cndmask_b32_e32 v19, v51, v54, vcc_lo
	v_mul_f32_e32 v51, v7, v52
	v_cmp_u_f32_e32 vcc_lo, v20, v20
	v_add3_u32 v52, v66, v65, 0x7fff
	v_or_b32_e32 v54, 0x400000, v65
	v_add_f32_e32 v48, v49, v48
	v_lshlrev_b32_e32 v49, 16, v63
	v_cndmask_b32_e32 v20, v55, v64, vcc_lo
	v_bfe_u32 v55, v51, 16, 1
	v_cmp_u_f32_e32 vcc_lo, v65, v65
	v_add_f32_e32 v50, v50, v53
	v_and_b32_e32 v19, 0xffff0000, v19
	v_and_b32_e32 v20, 0xffff0000, v20
	v_lshlrev_b32_e32 v53, 16, v62
	v_cndmask_b32_e32 v52, v52, v54, vcc_lo
	v_add3_u32 v54, v55, v51, 0x7fff
	v_or_b32_e32 v55, 0x400000, v51
	v_cmp_u_f32_e32 vcc_lo, v51, v51
	v_mul_f32_e32 v49, v1, v49
	v_add_f32_e32 v48, v48, v50
	v_add_f32_e32 v19, v20, v19
	v_mul_f32_e32 v50, v5, v53
	v_cndmask_b32_e32 v51, v54, v55, vcc_lo
	v_bfe_u32 v53, v49, 16, 1
	v_cmp_u_f32_e32 vcc_lo, v49, v49
	v_add_f32_e32 v19, v19, v48
	v_bfe_u32 v48, v50, 16, 1
	v_and_b32_e32 v20, 0xffff0000, v51
	v_and_b32_e32 v51, 0xffff0000, v52
	v_lshlrev_b32_e32 v52, 16, v59
	v_or_b32_e32 v54, 0x400000, v50
	v_add3_u32 v48, v48, v50, 0x7fff
	v_lshlrev_b32_e32 v59, 16, v61
	v_add_f32_e32 v20, v20, v51
	v_mul_f32_e32 v51, v2, v52
	v_add3_u32 v52, v53, v49, 0x7fff
	v_or_b32_e32 v53, 0x400000, v49
	v_lshlrev_b32_e32 v46, 16, v46
	v_lshlrev_b32_e32 v43, 16, v43
	v_bfe_u32 v55, v51, 16, 1
	v_lshlrev_b32_e32 v45, 16, v45
	v_cndmask_b32_e32 v49, v52, v53, vcc_lo
	v_cmp_u_f32_e32 vcc_lo, v50, v50
	v_mul_f32_e32 v50, v8, v59
	v_add3_u32 v52, v55, v51, 0x7fff
	v_or_b32_e32 v53, 0x400000, v51
	v_lshlrev_b32_e32 v55, 16, v57
	v_cndmask_b32_e32 v48, v48, v54, vcc_lo
	v_lshlrev_b32_e32 v54, 16, v56
	v_cmp_u_f32_e32 vcc_lo, v51, v51
	v_bfe_u32 v56, v50, 16, 1
	v_and_b32_e32 v49, 0xffff0000, v49
	v_and_b32_e32 v48, 0xffff0000, v48
	v_mul_f32_e32 v46, v5, v46
	v_cndmask_b32_e32 v51, v52, v53, vcc_lo
	v_mul_f32_e32 v52, v3, v54
	v_mul_f32_e32 v53, v6, v55
	v_add3_u32 v54, v56, v50, 0x7fff
	v_or_b32_e32 v55, 0x400000, v50
	v_lshlrev_b32_e32 v56, 16, v60
	v_bfe_u32 v57, v52, 16, 1
	v_cmp_u_f32_e32 vcc_lo, v50, v50
	v_bfe_u32 v59, v53, 16, 1
	v_and_b32_e32 v51, 0xffff0000, v51
	v_add_f32_e32 v48, v48, v49
	v_mul_f32_e32 v43, v2, v43
	v_cndmask_b32_e32 v50, v54, v55, vcc_lo
	v_mul_f32_e32 v54, v4, v56
	v_add3_u32 v55, v57, v52, 0x7fff
	v_or_b32_e32 v56, 0x400000, v52
	v_cmp_u_f32_e32 vcc_lo, v52, v52
	v_add3_u32 v57, v59, v53, 0x7fff
	v_or_b32_e32 v59, 0x400000, v53
	v_bfe_u32 v60, v54, 16, 1
	v_and_b32_e32 v50, 0xffff0000, v50
	v_cndmask_b32_e32 v52, v55, v56, vcc_lo
	v_lshlrev_b32_e32 v55, 16, v58
	v_cmp_u_f32_e32 vcc_lo, v53, v53
	v_add3_u32 v56, v60, v54, 0x7fff
	v_add_f32_e32 v49, v50, v51
	v_and_b32_e32 v51, 0xffff0000, v52
	v_mul_f32_e32 v55, v7, v55
	v_cndmask_b32_e32 v53, v57, v59, vcc_lo
	v_or_b32_e32 v57, 0x400000, v54
	v_cmp_u_f32_e32 vcc_lo, v54, v54
	v_add_f32_e32 v48, v49, v48
	v_lshlrev_b32_e32 v41, 16, v41
	v_and_b32_e32 v50, 0xffff0000, v53
	v_or_b32_e32 v53, 0x400000, v55
	v_cndmask_b32_e32 v54, v56, v57, vcc_lo
	v_bfe_u32 v56, v55, 16, 1
	v_cmp_u_f32_e32 vcc_lo, v55, v55
	v_add_f32_e32 v49, v50, v51
	v_bfe_u32 v51, v47, 16, 1
	v_mul_f32_e32 v45, v8, v45
	v_add3_u32 v52, v56, v55, 0x7fff
	v_mul_f32_e32 v41, v3, v41
	v_add_f32_e32 v48, v49, v48
	v_lshlrev_b32_e32 v40, 16, v40
	v_lshlrev_b32_e32 v44, 16, v44
	v_cndmask_b32_e32 v50, v52, v53, vcc_lo
	v_bfe_u32 v53, v46, 16, 1
	v_cmp_u_f32_e32 vcc_lo, v47, v47
	v_and_b32_e32 v52, 0xffff0000, v54
	v_or_b32_e32 v54, 0x400000, v43
	v_and_b32_e32 v49, 0xffff0000, v50
	v_add3_u32 v50, v51, v47, 0x7fff
	v_or_b32_e32 v51, 0x400000, v47
	v_mul_f32_e32 v40, v6, v40
	v_mul_f32_e32 v44, v4, v44
	v_lshlrev_b32_e32 v42, 16, v42
	v_lshlrev_b32_e32 v16, 16, v16
	v_cndmask_b32_e32 v47, v50, v51, vcc_lo
	v_bfe_u32 v50, v43, 16, 1
	v_add3_u32 v51, v53, v46, 0x7fff
	v_or_b32_e32 v53, 0x400000, v46
	v_cmp_u_f32_e32 vcc_lo, v46, v46
	v_mul_f32_e32 v42, v7, v42
	v_add3_u32 v50, v50, v43, 0x7fff
	v_and_b32_e32 v47, 0xffff0000, v47
	v_mul_f32_e32 v2, v2, v16
	v_cndmask_b32_e32 v46, v51, v53, vcc_lo
	v_bfe_u32 v51, v45, 16, 1
	v_cmp_u_f32_e32 vcc_lo, v43, v43
	v_or_b32_e32 v53, 0x400000, v45
	v_lshlrev_b32_e32 v15, 16, v15
	v_and_b32_e32 v46, 0xffff0000, v46
	v_add3_u32 v51, v51, v45, 0x7fff
	v_cndmask_b32_e32 v43, v50, v54, vcc_lo
	v_bfe_u32 v50, v41, 16, 1
	v_cmp_u_f32_e32 vcc_lo, v45, v45
	v_or_b32_e32 v54, 0x400000, v41
	v_add_f32_e32 v46, v46, v47
	v_and_b32_e32 v43, 0xffff0000, v43
	v_add3_u32 v50, v50, v41, 0x7fff
	v_cndmask_b32_e32 v45, v51, v53, vcc_lo
	v_bfe_u32 v51, v40, 16, 1
	v_cmp_u_f32_e32 vcc_lo, v41, v41
	v_bfe_u32 v53, v44, 16, 1
	v_mul_f32_e32 v6, v6, v15
	v_and_b32_e32 v45, 0xffff0000, v45
	v_lshlrev_b32_e32 v9, 16, v9
	v_cndmask_b32_e32 v41, v50, v54, vcc_lo
	v_add3_u32 v50, v51, v40, 0x7fff
	v_or_b32_e32 v51, 0x400000, v40
	v_cmp_u_f32_e32 vcc_lo, v40, v40
	v_add3_u32 v53, v53, v44, 0x7fff
	v_or_b32_e32 v54, 0x400000, v44
	v_add_f32_e32 v43, v45, v43
	v_and_b32_e32 v41, 0xffff0000, v41
	v_cndmask_b32_e32 v40, v50, v51, vcc_lo
	v_cmp_u_f32_e32 vcc_lo, v44, v44
	v_bfe_u32 v50, v42, 16, 1
	v_lshlrev_b32_e32 v45, 16, v71
	v_or_b32_e32 v51, 0x400000, v42
	v_and_b32_e32 v40, 0xffff0000, v40
	v_cndmask_b32_e32 v44, v53, v54, vcc_lo
	v_lshlrev_b32_e32 v53, 16, v72
	v_add3_u32 v50, v50, v42, 0x7fff
	v_cmp_u_f32_e32 vcc_lo, v42, v42
	v_add_f32_e32 v43, v43, v46
	v_add_f32_e32 v40, v40, v41
	v_mul_f32_e32 v5, v5, v53
	v_mul_f32_e32 v1, v1, v45
	v_lshlrev_b32_e32 v41, 16, v70
	v_cndmask_b32_e32 v42, v50, v51, vcc_lo
	v_mul_f32_e32 v3, v3, v9
	v_bfe_u32 v46, v5, 16, 1
	v_bfe_u32 v47, v1, 16, 1
	v_mul_f32_e32 v8, v8, v41
	v_cmp_u_f32_e32 vcc_lo, v5, v5
	v_lshlrev_b32_e32 v9, 16, v18
	v_add3_u32 v45, v46, v5, 0x7fff
	v_or_b32_e32 v46, 0x400000, v5
	v_add3_u32 v41, v47, v1, 0x7fff
	v_lshlrev_b32_e32 v17, 16, v17
	v_mul_f32_e32 v7, v7, v9
	v_or_b32_e32 v9, 0x400000, v6
	v_cndmask_b32_e32 v5, v45, v46, vcc_lo
	v_or_b32_e32 v45, 0x400000, v1
	v_bfe_u32 v46, v8, 16, 1
	v_cmp_u_f32_e32 vcc_lo, v1, v1
	v_mul_f32_e32 v4, v4, v17
	v_or_b32_e32 v17, 0x400000, v3
	v_bfe_u32 v18, v7, 16, 1
	v_add3_u32 v16, v46, v8, 0x7fff
	v_cndmask_b32_e32 v1, v41, v45, vcc_lo
	v_or_b32_e32 v41, 0x400000, v8
	v_bfe_u32 v45, v2, 16, 1
	v_cmp_u_f32_e32 vcc_lo, v8, v8
	v_and_b32_e32 v5, 0xffff0000, v5
	v_and_b32_e32 v1, 0xffff0000, v1
	v_and_b32_e32 v42, 0xffff0000, v42
	v_add3_u32 v15, v45, v2, 0x7fff
	v_cndmask_b32_e32 v8, v16, v41, vcc_lo
	v_or_b32_e32 v16, 0x400000, v2
	v_bfe_u32 v41, v6, 16, 1
	v_cmp_u_f32_e32 vcc_lo, v2, v2
	v_add_f32_e32 v1, v5, v1
	v_and_b32_e32 v8, 0xffff0000, v8
	v_cndmask_b32_e32 v2, v15, v16, vcc_lo
	v_bfe_u32 v15, v3, 16, 1
	v_add3_u32 v16, v41, v6, 0x7fff
	v_cmp_u_f32_e32 vcc_lo, v6, v6
	v_bfe_u32 v41, v4, 16, 1
	v_and_b32_e32 v2, 0xffff0000, v2
	v_add3_u32 v15, v15, v3, 0x7fff
	v_cndmask_b32_e32 v6, v16, v9, vcc_lo
	v_cmp_u_f32_e32 vcc_lo, v3, v3
	v_or_b32_e32 v16, 0x400000, v4
	v_add3_u32 v9, v18, v7, 0x7fff
	v_add_f32_e32 v2, v8, v2
	v_and_b32_e32 v5, 0xffff0000, v6
	v_cndmask_b32_e32 v3, v15, v17, vcc_lo
	v_add3_u32 v15, v41, v4, 0x7fff
	v_cmp_u_f32_e32 vcc_lo, v4, v4
	v_or_b32_e32 v17, 0x400000, v7
	v_add_f32_e32 v1, v2, v1
	v_and_b32_e32 v3, 0xffff0000, v3
	v_cndmask_b32_e32 v4, v15, v16, vcc_lo
	v_cmp_u_f32_e32 vcc_lo, v7, v7
	v_and_b32_e32 v7, 0xffff0000, v44
	v_add_f32_e32 v2, v5, v3
	v_add_f32_e32 v5, v49, v52
	v_and_b32_e32 v3, 0xffff0000, v4
	v_cndmask_b32_e32 v6, v9, v17, vcc_lo
	v_add_f32_e32 v7, v42, v7
	v_add_f32_e32 v1, v2, v1
	v_and_b32_e32 v4, 0xffff0000, v6
	v_add_f32_e32 v6, v40, v43
	v_add_f32_e32 v2, v4, v3
	;; [unrolled: 1-line block ×10, first 2 shown]
.LBB323_294:                            ;   in Loop: Header=BB323_295 Depth=1
	s_or_b32 exec_lo, exec_lo, s18
	v_add_nc_u32_e32 v39, 4, v39
	v_add_co_u32 v13, s0, v13, 16
	v_add_co_ci_u32_e64 v14, null, 0, v14, s0
	v_cmp_le_i32_e32 vcc_lo, s20, v39
	v_add_nc_u32_e32 v28, 64, v28
	v_add_nc_u32_e32 v37, 0x100, v37
	s_or_b32 s17, vcc_lo, s17
	s_andn2_b32 exec_lo, exec_lo, s17
	s_cbranch_execz .LBB323_544
.LBB323_295:                            ; =>This Inner Loop Header: Depth=1
	v_mul_hi_u32 v1, v28, s19
	v_mul_lo_u32 v2, v1, s16
	v_add_nc_u32_e32 v3, 1, v1
	v_sub_nc_u32_e32 v2, v28, v2
	v_subrev_nc_u32_e32 v4, s16, v2
	v_cmp_le_u32_e32 vcc_lo, s16, v2
	v_cndmask_b32_e32 v1, v1, v3, vcc_lo
	v_cndmask_b32_e32 v2, v2, v4, vcc_lo
	v_add_nc_u32_e32 v3, 1, v1
	v_cmp_le_u32_e32 vcc_lo, s16, v2
	v_cndmask_b32_e32 v1, v1, v3, vcc_lo
	v_xor_b32_e32 v1, s23, v1
	v_subrev_nc_u32_e32 v1, s23, v1
	v_add_nc_u32_e32 v2, s25, v1
	v_cmp_lt_i32_e64 s0, s4, v1
	v_sub_nc_u32_e32 v3, 0, v2
	v_max_i32_e32 v3, v2, v3
	v_ashrrev_i32_e32 v2, 31, v2
	v_mul_hi_u32 v4, v3, v38
	v_mul_lo_u32 v4, v4, s5
	v_sub_nc_u32_e32 v3, v3, v4
	v_subrev_nc_u32_e32 v4, s5, v3
	v_cmp_le_u32_e32 vcc_lo, s5, v3
	v_cndmask_b32_e32 v3, v3, v4, vcc_lo
	v_subrev_nc_u32_e32 v4, s5, v3
	v_cmp_le_u32_e32 vcc_lo, s5, v3
	v_cndmask_b32_e32 v3, v3, v4, vcc_lo
	v_xor_b32_e32 v3, v3, v2
	v_sub_nc_u32_e32 v2, v3, v2
	v_cmp_eq_u32_e32 vcc_lo, 0, v2
	s_or_b32 s0, vcc_lo, s0
	s_and_saveexec_b32 s18, s0
	s_cbranch_execz .LBB323_294
; %bb.296:                              ;   in Loop: Header=BB323_295 Depth=1
	global_load_dword v1, v[13:14], off
	v_mov_b32_e32 v40, 0
	v_mov_b32_e32 v42, 0
	s_waitcnt vmcnt(0)
	v_mad_i64_i32 v[15:16], null, v1, s12, v[11:12]
	global_load_dwordx2 v[17:18], v[15:16], off
	ds_read2_b64 v[5:8], v37 offset1:1
	ds_read2_b64 v[1:4], v37 offset0:2 offset1:3
	s_load_dword s21, s[14:15], 0x0
	s_waitcnt vmcnt(0)
	v_cmp_ne_u16_sdwa s22, v17, v10 src0_sel:BYTE_0 src1_sel:DWORD
	s_and_saveexec_b32 s0, s22
	s_cbranch_execz .LBB323_302
; %bb.297:                              ;   in Loop: Header=BB323_295 Depth=1
	v_cmp_ne_u16_sdwa s26, v17, v32 src0_sel:BYTE_0 src1_sel:DWORD
	v_bfrev_b32_e32 v42, 1
	s_and_saveexec_b32 s22, s26
	s_cbranch_execz .LBB323_301
; %bb.298:                              ;   in Loop: Header=BB323_295 Depth=1
	v_and_b32_e32 v9, 0x7f, v17
	v_mov_b32_e32 v42, 0x7f800001
	s_mov_b32 s26, exec_lo
	v_cmpx_ne_u32_e32 0x7f, v9
	s_cbranch_execz .LBB323_300
; %bb.299:                              ;   in Loop: Header=BB323_295 Depth=1
	v_and_b32_e32 v19, 7, v17
	v_lshrrev_b32_e32 v20, 3, v9
	v_cmp_gt_u32_e32 vcc_lo, 8, v9
	v_ffbh_u32_e32 v19, v19
	v_min_u32_e32 v19, 32, v19
	v_subrev_nc_u32_e32 v41, 28, v19
	v_sub_nc_u32_e32 v19, 29, v19
	v_cndmask_b32_e32 v9, v20, v19, vcc_lo
	v_cndmask_b32_e32 v19, 0, v41, vcc_lo
	v_lshl_add_u32 v9, v9, 23, 0x3c000000
	v_lshlrev_b64 v[19:20], v19, v[17:18]
	v_lshlrev_b32_e32 v20, 24, v17
	v_lshlrev_b32_e32 v19, 20, v19
	v_and_b32_e32 v20, 0x80000000, v20
	v_and_b32_e32 v19, 0x700000, v19
	v_or3_b32 v42, v19, v20, v9
.LBB323_300:                            ;   in Loop: Header=BB323_295 Depth=1
	s_or_b32 exec_lo, exec_lo, s26
.LBB323_301:                            ;   in Loop: Header=BB323_295 Depth=1
	s_or_b32 exec_lo, exec_lo, s22
.LBB323_302:                            ;   in Loop: Header=BB323_295 Depth=1
	s_or_b32 exec_lo, exec_lo, s0
	v_cmp_ne_u16_sdwa s22, v17, v10 src0_sel:BYTE_1 src1_sel:DWORD
	s_and_saveexec_b32 s0, s22
	s_cbranch_execz .LBB323_310
; %bb.303:                              ;   in Loop: Header=BB323_295 Depth=1
	v_cmp_ne_u16_sdwa s26, v17, v32 src0_sel:BYTE_1 src1_sel:DWORD
	v_bfrev_b32_e32 v40, 1
	s_and_saveexec_b32 s22, s26
	s_cbranch_execz .LBB323_309
; %bb.304:                              ;   in Loop: Header=BB323_295 Depth=1
	v_and_b32_sdwa v9, v33, v17 dst_sel:DWORD dst_unused:UNUSED_PAD src0_sel:DWORD src1_sel:BYTE_1
	v_mov_b32_e32 v40, 0x7f800001
	s_mov_b32 s26, exec_lo
	v_and_b32_e32 v20, 0x7f, v9
	v_cmpx_ne_u32_e32 0x7f, v20
	s_cbranch_execz .LBB323_308
; %bb.305:                              ;   in Loop: Header=BB323_295 Depth=1
	v_and_b32_e32 v9, 7, v9
	v_lshrrev_b32_e32 v19, 3, v20
	s_mov_b32 s27, exec_lo
	v_cmpx_gt_u32_e32 8, v20
; %bb.306:                              ;   in Loop: Header=BB323_295 Depth=1
	v_ffbh_u32_e32 v19, v9
	v_min_u32_e32 v19, 32, v19
	v_subrev_nc_u32_e32 v20, 28, v19
	v_sub_nc_u32_e32 v19, 29, v19
	v_lshlrev_b64 v[40:41], v20, v[9:10]
	v_and_b32_e32 v9, 7, v40
; %bb.307:                              ;   in Loop: Header=BB323_295 Depth=1
	s_or_b32 exec_lo, exec_lo, s27
	v_lshlrev_b32_e32 v20, 16, v17
	v_lshlrev_b32_e32 v9, 20, v9
	v_lshl_add_u32 v19, v19, 23, 0x3c000000
	v_and_b32_e32 v20, 0x80000000, v20
	v_or3_b32 v40, v9, v20, v19
.LBB323_308:                            ;   in Loop: Header=BB323_295 Depth=1
	s_or_b32 exec_lo, exec_lo, s26
.LBB323_309:                            ;   in Loop: Header=BB323_295 Depth=1
	s_or_b32 exec_lo, exec_lo, s22
.LBB323_310:                            ;   in Loop: Header=BB323_295 Depth=1
	s_or_b32 exec_lo, exec_lo, s0
	v_and_b32_sdwa v9, v17, v34 dst_sel:DWORD dst_unused:UNUSED_PAD src0_sel:WORD_1 src1_sel:DWORD
	v_mov_b32_e32 v43, 0
	v_mov_b32_e32 v41, 0
	s_mov_b32 s0, exec_lo
	v_cmpx_ne_u16_e32 0, v9
	s_cbranch_execz .LBB323_318
; %bb.311:                              ;   in Loop: Header=BB323_295 Depth=1
	v_bfrev_b32_e32 v41, 1
	s_mov_b32 s22, exec_lo
	v_cmpx_ne_u16_e32 0x80, v9
	s_cbranch_execz .LBB323_317
; %bb.312:                              ;   in Loop: Header=BB323_295 Depth=1
	v_bfe_u32 v20, v17, 16, 7
	v_mov_b32_e32 v41, 0x7f800001
	s_mov_b32 s26, exec_lo
	v_cmpx_ne_u32_e32 0x7f, v20
	s_cbranch_execz .LBB323_316
; %bb.313:                              ;   in Loop: Header=BB323_295 Depth=1
	v_and_b32_sdwa v9, v17, v35 dst_sel:DWORD dst_unused:UNUSED_PAD src0_sel:WORD_1 src1_sel:DWORD
	v_lshrrev_b32_e32 v19, 3, v20
	s_mov_b32 s27, exec_lo
	v_cmpx_gt_u32_e32 8, v20
; %bb.314:                              ;   in Loop: Header=BB323_295 Depth=1
	v_ffbh_u32_e32 v19, v9
	v_min_u32_e32 v19, 32, v19
	v_subrev_nc_u32_e32 v20, 28, v19
	v_sub_nc_u32_e32 v19, 29, v19
	v_lshlrev_b64 v[44:45], v20, v[9:10]
	v_and_b32_e32 v9, 7, v44
; %bb.315:                              ;   in Loop: Header=BB323_295 Depth=1
	s_or_b32 exec_lo, exec_lo, s27
	v_lshlrev_b32_sdwa v20, v36, v17 dst_sel:DWORD dst_unused:UNUSED_PAD src0_sel:DWORD src1_sel:WORD_1
	v_lshlrev_b32_e32 v9, 20, v9
	v_lshl_add_u32 v19, v19, 23, 0x3c000000
	v_and_b32_e32 v20, 0x80000000, v20
	v_or3_b32 v41, v9, v20, v19
.LBB323_316:                            ;   in Loop: Header=BB323_295 Depth=1
	s_or_b32 exec_lo, exec_lo, s26
.LBB323_317:                            ;   in Loop: Header=BB323_295 Depth=1
	s_or_b32 exec_lo, exec_lo, s22
.LBB323_318:                            ;   in Loop: Header=BB323_295 Depth=1
	s_or_b32 exec_lo, exec_lo, s0
	s_mov_b32 s0, exec_lo
	v_cmpx_lt_u32_e32 0xffffff, v17
	s_cbranch_execz .LBB323_326
; %bb.319:                              ;   in Loop: Header=BB323_295 Depth=1
	v_cmp_ne_u32_sdwa s26, v17, v32 src0_sel:BYTE_3 src1_sel:DWORD
	v_bfrev_b32_e32 v43, 1
	s_and_saveexec_b32 s22, s26
	s_cbranch_execz .LBB323_325
; %bb.320:                              ;   in Loop: Header=BB323_295 Depth=1
	v_bfe_u32 v20, v17, 24, 7
	v_mov_b32_e32 v43, 0x7f800001
	s_mov_b32 s26, exec_lo
	v_cmpx_ne_u32_e32 0x7f, v20
	s_cbranch_execz .LBB323_324
; %bb.321:                              ;   in Loop: Header=BB323_295 Depth=1
	v_and_b32_sdwa v9, v17, v35 dst_sel:DWORD dst_unused:UNUSED_PAD src0_sel:BYTE_3 src1_sel:DWORD
	v_lshrrev_b32_e32 v19, 3, v20
	s_mov_b32 s27, exec_lo
	v_cmpx_gt_u32_e32 8, v20
; %bb.322:                              ;   in Loop: Header=BB323_295 Depth=1
	v_ffbh_u32_e32 v19, v9
	v_min_u32_e32 v19, 32, v19
	v_subrev_nc_u32_e32 v20, 28, v19
	v_sub_nc_u32_e32 v19, 29, v19
	v_lshlrev_b64 v[43:44], v20, v[9:10]
	v_and_b32_e32 v9, 7, v43
; %bb.323:                              ;   in Loop: Header=BB323_295 Depth=1
	s_or_b32 exec_lo, exec_lo, s27
	v_lshlrev_b32_sdwa v20, v36, v17 dst_sel:DWORD dst_unused:UNUSED_PAD src0_sel:DWORD src1_sel:BYTE_3
	v_lshlrev_b32_e32 v9, 20, v9
	v_lshl_add_u32 v19, v19, 23, 0x3c000000
	v_and_b32_e32 v20, 0x80000000, v20
	v_or3_b32 v43, v9, v20, v19
.LBB323_324:                            ;   in Loop: Header=BB323_295 Depth=1
	s_or_b32 exec_lo, exec_lo, s26
.LBB323_325:                            ;   in Loop: Header=BB323_295 Depth=1
	s_or_b32 exec_lo, exec_lo, s22
.LBB323_326:                            ;   in Loop: Header=BB323_295 Depth=1
	s_or_b32 exec_lo, exec_lo, s0
	v_mov_b32_e32 v9, v18
	v_cmp_ne_u16_sdwa s22, v18, v10 src0_sel:BYTE_0 src1_sel:DWORD
	v_mov_b32_e32 v19, 0
	v_mov_b32_e32 v44, 0
	s_and_saveexec_b32 s0, s22
	s_cbranch_execz .LBB323_332
; %bb.327:                              ;   in Loop: Header=BB323_295 Depth=1
	v_cmp_ne_u16_sdwa s26, v18, v32 src0_sel:BYTE_0 src1_sel:DWORD
	v_bfrev_b32_e32 v44, 1
	s_and_saveexec_b32 s22, s26
	s_cbranch_execz .LBB323_331
; %bb.328:                              ;   in Loop: Header=BB323_295 Depth=1
	v_and_b32_e32 v20, 0x7f, v18
	v_mov_b32_e32 v44, 0x7f800001
	s_mov_b32 s26, exec_lo
	v_cmpx_ne_u32_e32 0x7f, v20
	s_cbranch_execz .LBB323_330
; %bb.329:                              ;   in Loop: Header=BB323_295 Depth=1
	v_and_b32_e32 v44, 7, v18
	v_lshrrev_b32_e32 v45, 3, v20
	v_cmp_gt_u32_e32 vcc_lo, 8, v20
	v_ffbh_u32_e32 v44, v44
	v_min_u32_e32 v44, 32, v44
	v_subrev_nc_u32_e32 v46, 28, v44
	v_sub_nc_u32_e32 v44, 29, v44
	v_cndmask_b32_e32 v20, v45, v44, vcc_lo
	v_cndmask_b32_e32 v44, 0, v46, vcc_lo
	v_lshl_add_u32 v20, v20, 23, 0x3c000000
	v_lshlrev_b64 v[44:45], v44, v[9:10]
	v_lshlrev_b32_e32 v45, 24, v9
	v_lshlrev_b32_e32 v44, 20, v44
	v_and_b32_e32 v45, 0x80000000, v45
	v_and_b32_e32 v44, 0x700000, v44
	v_or3_b32 v44, v44, v45, v20
.LBB323_330:                            ;   in Loop: Header=BB323_295 Depth=1
	s_or_b32 exec_lo, exec_lo, s26
.LBB323_331:                            ;   in Loop: Header=BB323_295 Depth=1
	s_or_b32 exec_lo, exec_lo, s22
.LBB323_332:                            ;   in Loop: Header=BB323_295 Depth=1
	s_or_b32 exec_lo, exec_lo, s0
	v_cmp_ne_u16_sdwa s22, v9, v10 src0_sel:BYTE_1 src1_sel:DWORD
	s_and_saveexec_b32 s0, s22
	s_cbranch_execz .LBB323_340
; %bb.333:                              ;   in Loop: Header=BB323_295 Depth=1
	v_cmp_ne_u16_sdwa s26, v9, v32 src0_sel:BYTE_1 src1_sel:DWORD
	v_bfrev_b32_e32 v19, 1
	s_and_saveexec_b32 s22, s26
	s_cbranch_execz .LBB323_339
; %bb.334:                              ;   in Loop: Header=BB323_295 Depth=1
	v_and_b32_sdwa v20, v33, v9 dst_sel:DWORD dst_unused:UNUSED_PAD src0_sel:DWORD src1_sel:BYTE_1
	v_mov_b32_e32 v19, 0x7f800001
	s_mov_b32 s26, exec_lo
	v_and_b32_e32 v46, 0x7f, v20
	v_cmpx_ne_u32_e32 0x7f, v46
	s_cbranch_execz .LBB323_338
; %bb.335:                              ;   in Loop: Header=BB323_295 Depth=1
	v_and_b32_e32 v19, 7, v20
	v_mov_b32_e32 v20, v10
	v_lshrrev_b32_e32 v45, 3, v46
	s_mov_b32 s27, exec_lo
	v_cmpx_gt_u32_e32 8, v46
; %bb.336:                              ;   in Loop: Header=BB323_295 Depth=1
	v_ffbh_u32_e32 v45, v19
	v_min_u32_e32 v45, 32, v45
	v_subrev_nc_u32_e32 v46, 28, v45
	v_sub_nc_u32_e32 v45, 29, v45
	v_lshlrev_b64 v[19:20], v46, v[19:20]
	v_and_b32_e32 v19, 7, v19
; %bb.337:                              ;   in Loop: Header=BB323_295 Depth=1
	s_or_b32 exec_lo, exec_lo, s27
	v_lshlrev_b32_e32 v9, 16, v9
	v_lshlrev_b32_e32 v19, 20, v19
	v_lshl_add_u32 v20, v45, 23, 0x3c000000
	v_and_b32_e32 v9, 0x80000000, v9
	v_or3_b32 v19, v19, v9, v20
.LBB323_338:                            ;   in Loop: Header=BB323_295 Depth=1
	s_or_b32 exec_lo, exec_lo, s26
.LBB323_339:                            ;   in Loop: Header=BB323_295 Depth=1
	s_or_b32 exec_lo, exec_lo, s22
.LBB323_340:                            ;   in Loop: Header=BB323_295 Depth=1
	s_or_b32 exec_lo, exec_lo, s0
	v_and_b32_sdwa v9, v18, v34 dst_sel:DWORD dst_unused:UNUSED_PAD src0_sel:WORD_1 src1_sel:DWORD
	v_mov_b32_e32 v20, 0
	v_mov_b32_e32 v45, 0
	s_mov_b32 s0, exec_lo
	v_cmpx_ne_u16_e32 0, v9
	s_cbranch_execz .LBB323_348
; %bb.341:                              ;   in Loop: Header=BB323_295 Depth=1
	v_bfrev_b32_e32 v45, 1
	s_mov_b32 s22, exec_lo
	v_cmpx_ne_u16_e32 0x80, v9
	s_cbranch_execz .LBB323_347
; %bb.342:                              ;   in Loop: Header=BB323_295 Depth=1
	v_bfe_u32 v46, v18, 16, 7
	v_mov_b32_e32 v45, 0x7f800001
	s_mov_b32 s26, exec_lo
	v_cmpx_ne_u32_e32 0x7f, v46
	s_cbranch_execz .LBB323_346
; %bb.343:                              ;   in Loop: Header=BB323_295 Depth=1
	v_and_b32_sdwa v9, v18, v35 dst_sel:DWORD dst_unused:UNUSED_PAD src0_sel:WORD_1 src1_sel:DWORD
	v_lshrrev_b32_e32 v45, 3, v46
	s_mov_b32 s27, exec_lo
	v_cmpx_gt_u32_e32 8, v46
; %bb.344:                              ;   in Loop: Header=BB323_295 Depth=1
	v_ffbh_u32_e32 v45, v9
	v_min_u32_e32 v45, 32, v45
	v_subrev_nc_u32_e32 v46, 28, v45
	v_sub_nc_u32_e32 v45, 29, v45
	v_lshlrev_b64 v[46:47], v46, v[9:10]
	v_and_b32_e32 v9, 7, v46
; %bb.345:                              ;   in Loop: Header=BB323_295 Depth=1
	s_or_b32 exec_lo, exec_lo, s27
	v_lshlrev_b32_sdwa v46, v36, v18 dst_sel:DWORD dst_unused:UNUSED_PAD src0_sel:DWORD src1_sel:WORD_1
	v_lshlrev_b32_e32 v9, 20, v9
	v_lshl_add_u32 v45, v45, 23, 0x3c000000
	v_and_b32_e32 v46, 0x80000000, v46
	v_or3_b32 v45, v9, v46, v45
.LBB323_346:                            ;   in Loop: Header=BB323_295 Depth=1
	s_or_b32 exec_lo, exec_lo, s26
.LBB323_347:                            ;   in Loop: Header=BB323_295 Depth=1
	s_or_b32 exec_lo, exec_lo, s22
.LBB323_348:                            ;   in Loop: Header=BB323_295 Depth=1
	s_or_b32 exec_lo, exec_lo, s0
	s_mov_b32 s0, exec_lo
	v_cmpx_lt_u64_e64 s[2:3], v[17:18]
	s_cbranch_execz .LBB323_356
; %bb.349:                              ;   in Loop: Header=BB323_295 Depth=1
	v_cmp_ne_u32_sdwa s26, v18, v32 src0_sel:BYTE_3 src1_sel:DWORD
	v_bfrev_b32_e32 v20, 1
	s_and_saveexec_b32 s22, s26
	s_cbranch_execz .LBB323_355
; %bb.350:                              ;   in Loop: Header=BB323_295 Depth=1
	v_bfe_u32 v46, v18, 24, 7
	v_mov_b32_e32 v20, 0x7f800001
	s_mov_b32 s26, exec_lo
	v_cmpx_ne_u32_e32 0x7f, v46
	s_cbranch_execz .LBB323_354
; %bb.351:                              ;   in Loop: Header=BB323_295 Depth=1
	v_and_b32_sdwa v9, v18, v35 dst_sel:DWORD dst_unused:UNUSED_PAD src0_sel:BYTE_3 src1_sel:DWORD
	v_lshrrev_b32_e32 v17, 3, v46
	s_mov_b32 s27, exec_lo
	v_cmpx_gt_u32_e32 8, v46
; %bb.352:                              ;   in Loop: Header=BB323_295 Depth=1
	v_ffbh_u32_e32 v17, v9
	v_min_u32_e32 v17, 32, v17
	v_subrev_nc_u32_e32 v20, 28, v17
	v_sub_nc_u32_e32 v17, 29, v17
	v_lshlrev_b64 v[46:47], v20, v[9:10]
	v_and_b32_e32 v9, 7, v46
; %bb.353:                              ;   in Loop: Header=BB323_295 Depth=1
	s_or_b32 exec_lo, exec_lo, s27
	v_lshlrev_b32_sdwa v18, v36, v18 dst_sel:DWORD dst_unused:UNUSED_PAD src0_sel:DWORD src1_sel:BYTE_3
	v_lshlrev_b32_e32 v9, 20, v9
	v_lshl_add_u32 v17, v17, 23, 0x3c000000
	v_and_b32_e32 v18, 0x80000000, v18
	v_or3_b32 v20, v9, v18, v17
.LBB323_354:                            ;   in Loop: Header=BB323_295 Depth=1
	s_or_b32 exec_lo, exec_lo, s26
.LBB323_355:                            ;   in Loop: Header=BB323_295 Depth=1
	s_or_b32 exec_lo, exec_lo, s22
.LBB323_356:                            ;   in Loop: Header=BB323_295 Depth=1
	s_or_b32 exec_lo, exec_lo, s0
	s_waitcnt lgkmcnt(0)
	v_mul_f32_e32 v9, s21, v19
	v_mul_f32_e32 v17, s21, v44
	v_mul_f32_e32 v18, s21, v43
	v_mul_f32_e32 v44, s21, v41
	v_mul_f32_e32 v20, s21, v20
	v_bfe_u32 v19, v9, 16, 1
	v_or_b32_e32 v41, 0x400000, v9
	v_bfe_u32 v43, v17, 16, 1
	v_cmp_u_f32_e64 s0, v9, v9
	v_or_b32_e32 v46, 0x400000, v17
	v_add3_u32 v19, v19, v9, 0x7fff
	v_bfe_u32 v47, v18, 16, 1
	v_add3_u32 v43, v43, v17, 0x7fff
	v_or_b32_e32 v49, 0x400000, v18
	v_add_nc_u32_e32 v48, v31, v28
	v_cndmask_b32_e64 v9, v19, v41, s0
	v_cmp_u_f32_e64 s0, v17, v17
	v_bfe_u32 v19, v44, 16, 1
	v_add3_u32 v47, v47, v18, 0x7fff
	v_cmp_eq_u32_e32 vcc_lo, s13, v39
	v_lshrrev_b32_e32 v41, 16, v9
	v_cndmask_b32_e64 v17, v43, v46, s0
	v_cmp_u_f32_e64 s0, v18, v18
	v_mul_f32_e32 v18, s21, v40
	v_add3_u32 v19, v19, v44, 0x7fff
	v_or_b32_e32 v46, 0x400000, v44
	v_lshrrev_b32_e32 v40, 16, v17
	v_cndmask_b32_e64 v9, v47, v49, s0
	v_cmp_u_f32_e64 s0, v44, v44
	v_or_b32_e32 v44, 0x400000, v18
	v_or_b32_e32 v49, 0x400000, v20
	v_add_nc_u32_e32 v55, 1, v48
	v_lshrrev_b32_e32 v43, 16, v9
	v_bfe_u32 v9, v18, 16, 1
	v_cndmask_b32_e64 v17, v19, v46, s0
	v_mul_f32_e32 v19, s21, v42
	v_mul_f32_e32 v42, s21, v45
	v_cmp_u_f32_e64 s0, v18, v18
	v_add3_u32 v9, v9, v18, 0x7fff
	v_bfe_u32 v18, v20, 16, 1
	v_bfe_u32 v45, v19, 16, 1
	;; [unrolled: 1-line block ×3, first 2 shown]
	v_or_b32_e32 v47, 0x400000, v42
	v_cndmask_b32_e64 v9, v9, v44, s0
	v_cmp_u_f32_e64 s0, v19, v19
	v_add3_u32 v44, v45, v19, 0x7fff
	v_or_b32_e32 v45, 0x400000, v19
	v_add3_u32 v46, v46, v42, 0x7fff
	v_add3_u32 v18, v18, v20, 0x7fff
	v_add_nc_u32_e32 v54, 2, v48
	v_add_nc_u32_e32 v53, 3, v48
	v_cndmask_b32_e64 v19, v44, v45, s0
	v_cmp_u_f32_e64 s0, v42, v42
	v_lshrrev_b32_e32 v45, 16, v17
	v_add_nc_u32_e32 v52, 4, v48
	v_add_nc_u32_e32 v51, 5, v48
	;; [unrolled: 1-line block ×3, first 2 shown]
	v_cndmask_b32_e64 v42, v46, v47, s0
	v_cmp_u_f32_e64 s0, v20, v20
	v_lshrrev_b32_e32 v47, 16, v9
	v_lshrrev_b32_e32 v46, 16, v19
	;; [unrolled: 1-line block ×3, first 2 shown]
	v_cndmask_b32_e64 v18, v18, v49, s0
	v_add_nc_u32_e32 v49, 7, v48
	v_lshrrev_b32_e32 v44, 16, v18
	s_and_saveexec_b32 s22, vcc_lo
	s_cbranch_execz .LBB323_358
; %bb.357:                              ;   in Loop: Header=BB323_295 Depth=1
	v_cmp_gt_i32_e64 s0, s33, v48
	v_cndmask_b32_e64 v46, 0, v46, s0
	v_cmp_gt_i32_e64 s0, s33, v55
	v_cndmask_b32_e64 v47, 0, v47, s0
	;; [unrolled: 2-line block ×8, first 2 shown]
.LBB323_358:                            ;   in Loop: Header=BB323_295 Depth=1
	s_or_b32 exec_lo, exec_lo, s22
	global_load_dwordx2 v[17:18], v[15:16], off offset:256
	v_mov_b32_e32 v57, 0
	v_mov_b32_e32 v58, 0
	s_waitcnt vmcnt(0)
	v_cmp_ne_u16_sdwa s0, v17, v10 src0_sel:BYTE_0 src1_sel:DWORD
	s_and_saveexec_b32 s22, s0
	s_cbranch_execz .LBB323_364
; %bb.359:                              ;   in Loop: Header=BB323_295 Depth=1
	v_cmp_ne_u16_sdwa s0, v17, v32 src0_sel:BYTE_0 src1_sel:DWORD
	v_bfrev_b32_e32 v58, 1
	s_and_saveexec_b32 s26, s0
	s_cbranch_execz .LBB323_363
; %bb.360:                              ;   in Loop: Header=BB323_295 Depth=1
	v_and_b32_e32 v9, 0x7f, v17
	v_mov_b32_e32 v58, 0x7f800001
	s_mov_b32 s27, exec_lo
	v_cmpx_ne_u32_e32 0x7f, v9
	s_cbranch_execz .LBB323_362
; %bb.361:                              ;   in Loop: Header=BB323_295 Depth=1
	v_and_b32_e32 v19, 7, v17
	v_lshrrev_b32_e32 v20, 3, v9
	v_cmp_gt_u32_e64 s0, 8, v9
	v_ffbh_u32_e32 v19, v19
	v_min_u32_e32 v19, 32, v19
	v_subrev_nc_u32_e32 v56, 28, v19
	v_sub_nc_u32_e32 v19, 29, v19
	v_cndmask_b32_e64 v9, v20, v19, s0
	v_cndmask_b32_e64 v19, 0, v56, s0
	v_lshl_add_u32 v9, v9, 23, 0x3c000000
	v_lshlrev_b64 v[19:20], v19, v[17:18]
	v_lshlrev_b32_e32 v20, 24, v17
	v_lshlrev_b32_e32 v19, 20, v19
	v_and_b32_e32 v20, 0x80000000, v20
	v_and_b32_e32 v19, 0x700000, v19
	v_or3_b32 v58, v19, v20, v9
.LBB323_362:                            ;   in Loop: Header=BB323_295 Depth=1
	s_or_b32 exec_lo, exec_lo, s27
.LBB323_363:                            ;   in Loop: Header=BB323_295 Depth=1
	s_or_b32 exec_lo, exec_lo, s26
.LBB323_364:                            ;   in Loop: Header=BB323_295 Depth=1
	s_or_b32 exec_lo, exec_lo, s22
	v_cmp_ne_u16_sdwa s0, v17, v10 src0_sel:BYTE_1 src1_sel:DWORD
	s_and_saveexec_b32 s22, s0
	s_cbranch_execz .LBB323_372
; %bb.365:                              ;   in Loop: Header=BB323_295 Depth=1
	v_cmp_ne_u16_sdwa s0, v17, v32 src0_sel:BYTE_1 src1_sel:DWORD
	v_bfrev_b32_e32 v57, 1
	s_and_saveexec_b32 s26, s0
	s_cbranch_execz .LBB323_371
; %bb.366:                              ;   in Loop: Header=BB323_295 Depth=1
	v_and_b32_sdwa v9, v33, v17 dst_sel:DWORD dst_unused:UNUSED_PAD src0_sel:DWORD src1_sel:BYTE_1
	v_mov_b32_e32 v57, 0x7f800001
	s_mov_b32 s27, exec_lo
	v_and_b32_e32 v20, 0x7f, v9
	v_cmpx_ne_u32_e32 0x7f, v20
	s_cbranch_execz .LBB323_370
; %bb.367:                              ;   in Loop: Header=BB323_295 Depth=1
	v_and_b32_e32 v9, 7, v9
	v_lshrrev_b32_e32 v19, 3, v20
	s_mov_b32 s28, exec_lo
	v_cmpx_gt_u32_e32 8, v20
; %bb.368:                              ;   in Loop: Header=BB323_295 Depth=1
	v_ffbh_u32_e32 v19, v9
	v_min_u32_e32 v19, 32, v19
	v_subrev_nc_u32_e32 v20, 28, v19
	v_sub_nc_u32_e32 v19, 29, v19
	v_lshlrev_b64 v[56:57], v20, v[9:10]
	v_and_b32_e32 v9, 7, v56
; %bb.369:                              ;   in Loop: Header=BB323_295 Depth=1
	s_or_b32 exec_lo, exec_lo, s28
	v_lshlrev_b32_e32 v20, 16, v17
	v_lshlrev_b32_e32 v9, 20, v9
	v_lshl_add_u32 v19, v19, 23, 0x3c000000
	v_and_b32_e32 v20, 0x80000000, v20
	v_or3_b32 v57, v9, v20, v19
.LBB323_370:                            ;   in Loop: Header=BB323_295 Depth=1
	s_or_b32 exec_lo, exec_lo, s27
.LBB323_371:                            ;   in Loop: Header=BB323_295 Depth=1
	s_or_b32 exec_lo, exec_lo, s26
.LBB323_372:                            ;   in Loop: Header=BB323_295 Depth=1
	s_or_b32 exec_lo, exec_lo, s22
	v_and_b32_sdwa v9, v17, v34 dst_sel:DWORD dst_unused:UNUSED_PAD src0_sel:WORD_1 src1_sel:DWORD
	v_mov_b32_e32 v59, 0
	v_mov_b32_e32 v56, 0
	s_mov_b32 s22, exec_lo
	v_cmpx_ne_u16_e32 0, v9
	s_cbranch_execz .LBB323_380
; %bb.373:                              ;   in Loop: Header=BB323_295 Depth=1
	v_bfrev_b32_e32 v56, 1
	s_mov_b32 s26, exec_lo
	v_cmpx_ne_u16_e32 0x80, v9
	s_cbranch_execz .LBB323_379
; %bb.374:                              ;   in Loop: Header=BB323_295 Depth=1
	v_bfe_u32 v20, v17, 16, 7
	v_mov_b32_e32 v56, 0x7f800001
	s_mov_b32 s27, exec_lo
	v_cmpx_ne_u32_e32 0x7f, v20
	s_cbranch_execz .LBB323_378
; %bb.375:                              ;   in Loop: Header=BB323_295 Depth=1
	v_and_b32_sdwa v9, v17, v35 dst_sel:DWORD dst_unused:UNUSED_PAD src0_sel:WORD_1 src1_sel:DWORD
	v_lshrrev_b32_e32 v19, 3, v20
	s_mov_b32 s28, exec_lo
	v_cmpx_gt_u32_e32 8, v20
; %bb.376:                              ;   in Loop: Header=BB323_295 Depth=1
	v_ffbh_u32_e32 v19, v9
	v_min_u32_e32 v19, 32, v19
	v_subrev_nc_u32_e32 v20, 28, v19
	v_sub_nc_u32_e32 v19, 29, v19
	v_lshlrev_b64 v[60:61], v20, v[9:10]
	v_and_b32_e32 v9, 7, v60
; %bb.377:                              ;   in Loop: Header=BB323_295 Depth=1
	s_or_b32 exec_lo, exec_lo, s28
	v_lshlrev_b32_sdwa v20, v36, v17 dst_sel:DWORD dst_unused:UNUSED_PAD src0_sel:DWORD src1_sel:WORD_1
	v_lshlrev_b32_e32 v9, 20, v9
	v_lshl_add_u32 v19, v19, 23, 0x3c000000
	v_and_b32_e32 v20, 0x80000000, v20
	v_or3_b32 v56, v9, v20, v19
.LBB323_378:                            ;   in Loop: Header=BB323_295 Depth=1
	s_or_b32 exec_lo, exec_lo, s27
.LBB323_379:                            ;   in Loop: Header=BB323_295 Depth=1
	s_or_b32 exec_lo, exec_lo, s26
.LBB323_380:                            ;   in Loop: Header=BB323_295 Depth=1
	s_or_b32 exec_lo, exec_lo, s22
	s_mov_b32 s22, exec_lo
	v_cmpx_lt_u32_e32 0xffffff, v17
	s_cbranch_execz .LBB323_388
; %bb.381:                              ;   in Loop: Header=BB323_295 Depth=1
	v_cmp_ne_u32_sdwa s0, v17, v32 src0_sel:BYTE_3 src1_sel:DWORD
	v_bfrev_b32_e32 v59, 1
	s_and_saveexec_b32 s26, s0
	s_cbranch_execz .LBB323_387
; %bb.382:                              ;   in Loop: Header=BB323_295 Depth=1
	v_bfe_u32 v20, v17, 24, 7
	v_mov_b32_e32 v59, 0x7f800001
	s_mov_b32 s27, exec_lo
	v_cmpx_ne_u32_e32 0x7f, v20
	s_cbranch_execz .LBB323_386
; %bb.383:                              ;   in Loop: Header=BB323_295 Depth=1
	v_and_b32_sdwa v9, v17, v35 dst_sel:DWORD dst_unused:UNUSED_PAD src0_sel:BYTE_3 src1_sel:DWORD
	v_lshrrev_b32_e32 v19, 3, v20
	s_mov_b32 s28, exec_lo
	v_cmpx_gt_u32_e32 8, v20
; %bb.384:                              ;   in Loop: Header=BB323_295 Depth=1
	v_ffbh_u32_e32 v19, v9
	v_min_u32_e32 v19, 32, v19
	v_subrev_nc_u32_e32 v20, 28, v19
	v_sub_nc_u32_e32 v19, 29, v19
	v_lshlrev_b64 v[59:60], v20, v[9:10]
	v_and_b32_e32 v9, 7, v59
; %bb.385:                              ;   in Loop: Header=BB323_295 Depth=1
	s_or_b32 exec_lo, exec_lo, s28
	v_lshlrev_b32_sdwa v20, v36, v17 dst_sel:DWORD dst_unused:UNUSED_PAD src0_sel:DWORD src1_sel:BYTE_3
	v_lshlrev_b32_e32 v9, 20, v9
	v_lshl_add_u32 v19, v19, 23, 0x3c000000
	v_and_b32_e32 v20, 0x80000000, v20
	v_or3_b32 v59, v9, v20, v19
.LBB323_386:                            ;   in Loop: Header=BB323_295 Depth=1
	s_or_b32 exec_lo, exec_lo, s27
.LBB323_387:                            ;   in Loop: Header=BB323_295 Depth=1
	s_or_b32 exec_lo, exec_lo, s26
.LBB323_388:                            ;   in Loop: Header=BB323_295 Depth=1
	s_or_b32 exec_lo, exec_lo, s22
	v_mov_b32_e32 v9, v18
	v_cmp_ne_u16_sdwa s0, v18, v10 src0_sel:BYTE_0 src1_sel:DWORD
	v_mov_b32_e32 v19, 0
	v_mov_b32_e32 v60, 0
	s_and_saveexec_b32 s22, s0
	s_cbranch_execz .LBB323_394
; %bb.389:                              ;   in Loop: Header=BB323_295 Depth=1
	v_cmp_ne_u16_sdwa s0, v18, v32 src0_sel:BYTE_0 src1_sel:DWORD
	v_bfrev_b32_e32 v60, 1
	s_and_saveexec_b32 s26, s0
	s_cbranch_execz .LBB323_393
; %bb.390:                              ;   in Loop: Header=BB323_295 Depth=1
	v_and_b32_e32 v20, 0x7f, v18
	v_mov_b32_e32 v60, 0x7f800001
	s_mov_b32 s27, exec_lo
	v_cmpx_ne_u32_e32 0x7f, v20
	s_cbranch_execz .LBB323_392
; %bb.391:                              ;   in Loop: Header=BB323_295 Depth=1
	v_and_b32_e32 v60, 7, v18
	v_lshrrev_b32_e32 v61, 3, v20
	v_cmp_gt_u32_e64 s0, 8, v20
	v_ffbh_u32_e32 v60, v60
	v_min_u32_e32 v60, 32, v60
	v_subrev_nc_u32_e32 v62, 28, v60
	v_sub_nc_u32_e32 v60, 29, v60
	v_cndmask_b32_e64 v20, v61, v60, s0
	v_cndmask_b32_e64 v60, 0, v62, s0
	v_lshl_add_u32 v20, v20, 23, 0x3c000000
	v_lshlrev_b64 v[60:61], v60, v[9:10]
	v_lshlrev_b32_e32 v61, 24, v9
	v_lshlrev_b32_e32 v60, 20, v60
	v_and_b32_e32 v61, 0x80000000, v61
	v_and_b32_e32 v60, 0x700000, v60
	v_or3_b32 v60, v60, v61, v20
.LBB323_392:                            ;   in Loop: Header=BB323_295 Depth=1
	s_or_b32 exec_lo, exec_lo, s27
.LBB323_393:                            ;   in Loop: Header=BB323_295 Depth=1
	s_or_b32 exec_lo, exec_lo, s26
.LBB323_394:                            ;   in Loop: Header=BB323_295 Depth=1
	s_or_b32 exec_lo, exec_lo, s22
	v_cmp_ne_u16_sdwa s0, v9, v10 src0_sel:BYTE_1 src1_sel:DWORD
	s_and_saveexec_b32 s22, s0
	s_cbranch_execz .LBB323_402
; %bb.395:                              ;   in Loop: Header=BB323_295 Depth=1
	v_cmp_ne_u16_sdwa s0, v9, v32 src0_sel:BYTE_1 src1_sel:DWORD
	v_bfrev_b32_e32 v19, 1
	s_and_saveexec_b32 s26, s0
	s_cbranch_execz .LBB323_401
; %bb.396:                              ;   in Loop: Header=BB323_295 Depth=1
	v_and_b32_sdwa v20, v33, v9 dst_sel:DWORD dst_unused:UNUSED_PAD src0_sel:DWORD src1_sel:BYTE_1
	v_mov_b32_e32 v19, 0x7f800001
	s_mov_b32 s27, exec_lo
	v_and_b32_e32 v62, 0x7f, v20
	v_cmpx_ne_u32_e32 0x7f, v62
	s_cbranch_execz .LBB323_400
; %bb.397:                              ;   in Loop: Header=BB323_295 Depth=1
	v_and_b32_e32 v19, 7, v20
	v_mov_b32_e32 v20, v10
	v_lshrrev_b32_e32 v61, 3, v62
	s_mov_b32 s28, exec_lo
	v_cmpx_gt_u32_e32 8, v62
; %bb.398:                              ;   in Loop: Header=BB323_295 Depth=1
	v_ffbh_u32_e32 v61, v19
	v_min_u32_e32 v61, 32, v61
	v_subrev_nc_u32_e32 v62, 28, v61
	v_sub_nc_u32_e32 v61, 29, v61
	v_lshlrev_b64 v[19:20], v62, v[19:20]
	v_and_b32_e32 v19, 7, v19
; %bb.399:                              ;   in Loop: Header=BB323_295 Depth=1
	s_or_b32 exec_lo, exec_lo, s28
	v_lshlrev_b32_e32 v9, 16, v9
	v_lshlrev_b32_e32 v19, 20, v19
	v_lshl_add_u32 v20, v61, 23, 0x3c000000
	v_and_b32_e32 v9, 0x80000000, v9
	v_or3_b32 v19, v19, v9, v20
.LBB323_400:                            ;   in Loop: Header=BB323_295 Depth=1
	s_or_b32 exec_lo, exec_lo, s27
.LBB323_401:                            ;   in Loop: Header=BB323_295 Depth=1
	s_or_b32 exec_lo, exec_lo, s26
.LBB323_402:                            ;   in Loop: Header=BB323_295 Depth=1
	s_or_b32 exec_lo, exec_lo, s22
	v_and_b32_sdwa v9, v18, v34 dst_sel:DWORD dst_unused:UNUSED_PAD src0_sel:WORD_1 src1_sel:DWORD
	v_mov_b32_e32 v20, 0
	v_mov_b32_e32 v61, 0
	s_mov_b32 s22, exec_lo
	v_cmpx_ne_u16_e32 0, v9
	s_cbranch_execz .LBB323_410
; %bb.403:                              ;   in Loop: Header=BB323_295 Depth=1
	v_bfrev_b32_e32 v61, 1
	s_mov_b32 s26, exec_lo
	v_cmpx_ne_u16_e32 0x80, v9
	s_cbranch_execz .LBB323_409
; %bb.404:                              ;   in Loop: Header=BB323_295 Depth=1
	v_bfe_u32 v62, v18, 16, 7
	v_mov_b32_e32 v61, 0x7f800001
	s_mov_b32 s27, exec_lo
	v_cmpx_ne_u32_e32 0x7f, v62
	s_cbranch_execz .LBB323_408
; %bb.405:                              ;   in Loop: Header=BB323_295 Depth=1
	v_and_b32_sdwa v9, v18, v35 dst_sel:DWORD dst_unused:UNUSED_PAD src0_sel:WORD_1 src1_sel:DWORD
	v_lshrrev_b32_e32 v61, 3, v62
	s_mov_b32 s28, exec_lo
	v_cmpx_gt_u32_e32 8, v62
; %bb.406:                              ;   in Loop: Header=BB323_295 Depth=1
	v_ffbh_u32_e32 v61, v9
	v_min_u32_e32 v61, 32, v61
	v_subrev_nc_u32_e32 v62, 28, v61
	v_sub_nc_u32_e32 v61, 29, v61
	v_lshlrev_b64 v[62:63], v62, v[9:10]
	v_and_b32_e32 v9, 7, v62
; %bb.407:                              ;   in Loop: Header=BB323_295 Depth=1
	s_or_b32 exec_lo, exec_lo, s28
	v_lshlrev_b32_sdwa v62, v36, v18 dst_sel:DWORD dst_unused:UNUSED_PAD src0_sel:DWORD src1_sel:WORD_1
	v_lshlrev_b32_e32 v9, 20, v9
	v_lshl_add_u32 v61, v61, 23, 0x3c000000
	v_and_b32_e32 v62, 0x80000000, v62
	v_or3_b32 v61, v9, v62, v61
.LBB323_408:                            ;   in Loop: Header=BB323_295 Depth=1
	s_or_b32 exec_lo, exec_lo, s27
.LBB323_409:                            ;   in Loop: Header=BB323_295 Depth=1
	s_or_b32 exec_lo, exec_lo, s26
.LBB323_410:                            ;   in Loop: Header=BB323_295 Depth=1
	s_or_b32 exec_lo, exec_lo, s22
	s_mov_b32 s22, exec_lo
	v_cmpx_lt_u64_e64 s[2:3], v[17:18]
	s_cbranch_execz .LBB323_418
; %bb.411:                              ;   in Loop: Header=BB323_295 Depth=1
	v_cmp_ne_u32_sdwa s0, v18, v32 src0_sel:BYTE_3 src1_sel:DWORD
	v_bfrev_b32_e32 v20, 1
	s_and_saveexec_b32 s26, s0
	s_cbranch_execz .LBB323_417
; %bb.412:                              ;   in Loop: Header=BB323_295 Depth=1
	v_bfe_u32 v62, v18, 24, 7
	v_mov_b32_e32 v20, 0x7f800001
	s_mov_b32 s27, exec_lo
	v_cmpx_ne_u32_e32 0x7f, v62
	s_cbranch_execz .LBB323_416
; %bb.413:                              ;   in Loop: Header=BB323_295 Depth=1
	v_and_b32_sdwa v9, v18, v35 dst_sel:DWORD dst_unused:UNUSED_PAD src0_sel:BYTE_3 src1_sel:DWORD
	v_lshrrev_b32_e32 v17, 3, v62
	s_mov_b32 s28, exec_lo
	v_cmpx_gt_u32_e32 8, v62
; %bb.414:                              ;   in Loop: Header=BB323_295 Depth=1
	v_ffbh_u32_e32 v17, v9
	v_min_u32_e32 v17, 32, v17
	v_subrev_nc_u32_e32 v20, 28, v17
	v_sub_nc_u32_e32 v17, 29, v17
	v_lshlrev_b64 v[62:63], v20, v[9:10]
	v_and_b32_e32 v9, 7, v62
; %bb.415:                              ;   in Loop: Header=BB323_295 Depth=1
	s_or_b32 exec_lo, exec_lo, s28
	v_lshlrev_b32_sdwa v18, v36, v18 dst_sel:DWORD dst_unused:UNUSED_PAD src0_sel:DWORD src1_sel:BYTE_3
	v_lshlrev_b32_e32 v9, 20, v9
	v_lshl_add_u32 v17, v17, 23, 0x3c000000
	v_and_b32_e32 v18, 0x80000000, v18
	v_or3_b32 v20, v9, v18, v17
.LBB323_416:                            ;   in Loop: Header=BB323_295 Depth=1
	s_or_b32 exec_lo, exec_lo, s27
.LBB323_417:                            ;   in Loop: Header=BB323_295 Depth=1
	s_or_b32 exec_lo, exec_lo, s26
.LBB323_418:                            ;   in Loop: Header=BB323_295 Depth=1
	s_or_b32 exec_lo, exec_lo, s22
	v_mul_f32_e32 v9, s21, v19
	v_mul_f32_e32 v17, s21, v60
	v_mul_f32_e32 v19, s21, v56
	v_mul_f32_e32 v18, s21, v59
	v_mul_f32_e32 v20, s21, v20
	v_bfe_u32 v56, v9, 16, 1
	v_or_b32_e32 v59, 0x400000, v9
	v_bfe_u32 v60, v17, 16, 1
	v_cmp_u_f32_e64 s0, v9, v9
	v_or_b32_e32 v62, 0x400000, v17
	v_add3_u32 v56, v56, v9, 0x7fff
	v_bfe_u32 v63, v18, 16, 1
	v_add3_u32 v60, v60, v17, 0x7fff
	v_or_b32_e32 v64, 0x400000, v18
	v_bfe_u32 v65, v19, 16, 1
	v_cndmask_b32_e64 v9, v56, v59, s0
	v_cmp_u_f32_e64 s0, v17, v17
	v_add3_u32 v63, v63, v18, 0x7fff
	v_lshrrev_b32_e32 v56, 16, v9
	v_cndmask_b32_e64 v17, v60, v62, s0
	v_cmp_u_f32_e64 s0, v18, v18
	v_mul_f32_e32 v9, s21, v57
	v_add3_u32 v60, v65, v19, 0x7fff
	v_or_b32_e32 v62, 0x400000, v19
	v_lshrrev_b32_e32 v57, 16, v17
	v_cndmask_b32_e64 v18, v63, v64, s0
	v_bfe_u32 v17, v9, 16, 1
	v_cmp_u_f32_e64 s0, v19, v19
	v_mul_f32_e32 v19, s21, v58
	v_mul_f32_e32 v58, s21, v61
	v_lshrrev_b32_e32 v59, 16, v18
	v_add3_u32 v17, v17, v9, 0x7fff
	v_cndmask_b32_e64 v18, v60, v62, s0
	v_or_b32_e32 v60, 0x400000, v9
	v_bfe_u32 v61, v19, 16, 1
	v_cmp_u_f32_e64 s0, v9, v9
	v_bfe_u32 v62, v58, 16, 1
	v_or_b32_e32 v63, 0x400000, v58
	v_or_b32_e32 v64, 0x400000, v20
	v_cndmask_b32_e64 v9, v17, v60, s0
	v_add3_u32 v60, v61, v19, 0x7fff
	v_or_b32_e32 v61, 0x400000, v19
	v_cmp_u_f32_e64 s0, v19, v19
	v_bfe_u32 v17, v20, 16, 1
	v_add3_u32 v62, v62, v58, 0x7fff
	v_cndmask_b32_e64 v19, v60, v61, s0
	v_cmp_u_f32_e64 s0, v58, v58
	v_add3_u32 v17, v17, v20, 0x7fff
	v_lshrrev_b32_e32 v61, 16, v18
	v_cndmask_b32_e64 v58, v62, v63, s0
	v_cmp_u_f32_e64 s0, v20, v20
	v_lshrrev_b32_e32 v63, 16, v9
	v_lshrrev_b32_e32 v62, 16, v19
	v_lshrrev_b32_e32 v58, 16, v58
	v_cndmask_b32_e64 v17, v17, v64, s0
	v_lshrrev_b32_e32 v60, 16, v17
	s_and_saveexec_b32 s22, vcc_lo
	s_cbranch_execz .LBB323_420
; %bb.419:                              ;   in Loop: Header=BB323_295 Depth=1
	v_cmp_gt_i32_e64 s0, s33, v48
	v_cndmask_b32_e64 v62, 0, v62, s0
	v_cmp_gt_i32_e64 s0, s33, v55
	v_cndmask_b32_e64 v63, 0, v63, s0
	;; [unrolled: 2-line block ×8, first 2 shown]
.LBB323_420:                            ;   in Loop: Header=BB323_295 Depth=1
	s_or_b32 exec_lo, exec_lo, s22
	global_load_dwordx2 v[17:18], v[15:16], off offset:512
	v_mov_b32_e32 v65, 0
	v_mov_b32_e32 v64, 0
	s_waitcnt vmcnt(0)
	v_cmp_ne_u16_sdwa s0, v17, v10 src0_sel:BYTE_0 src1_sel:DWORD
	s_and_saveexec_b32 s22, s0
	s_cbranch_execz .LBB323_426
; %bb.421:                              ;   in Loop: Header=BB323_295 Depth=1
	v_cmp_ne_u16_sdwa s0, v17, v32 src0_sel:BYTE_0 src1_sel:DWORD
	v_bfrev_b32_e32 v64, 1
	s_and_saveexec_b32 s26, s0
	s_cbranch_execz .LBB323_425
; %bb.422:                              ;   in Loop: Header=BB323_295 Depth=1
	v_and_b32_e32 v9, 0x7f, v17
	v_mov_b32_e32 v64, 0x7f800001
	s_mov_b32 s27, exec_lo
	v_cmpx_ne_u32_e32 0x7f, v9
	s_cbranch_execz .LBB323_424
; %bb.423:                              ;   in Loop: Header=BB323_295 Depth=1
	v_and_b32_e32 v19, 7, v17
	v_lshrrev_b32_e32 v20, 3, v9
	v_cmp_gt_u32_e64 s0, 8, v9
	v_ffbh_u32_e32 v19, v19
	v_min_u32_e32 v19, 32, v19
	v_subrev_nc_u32_e32 v64, 28, v19
	v_sub_nc_u32_e32 v19, 29, v19
	v_cndmask_b32_e64 v9, v20, v19, s0
	v_cndmask_b32_e64 v19, 0, v64, s0
	v_lshl_add_u32 v9, v9, 23, 0x3c000000
	v_lshlrev_b64 v[19:20], v19, v[17:18]
	v_lshlrev_b32_e32 v20, 24, v17
	v_lshlrev_b32_e32 v19, 20, v19
	v_and_b32_e32 v20, 0x80000000, v20
	v_and_b32_e32 v19, 0x700000, v19
	v_or3_b32 v64, v19, v20, v9
.LBB323_424:                            ;   in Loop: Header=BB323_295 Depth=1
	s_or_b32 exec_lo, exec_lo, s27
.LBB323_425:                            ;   in Loop: Header=BB323_295 Depth=1
	s_or_b32 exec_lo, exec_lo, s26
.LBB323_426:                            ;   in Loop: Header=BB323_295 Depth=1
	s_or_b32 exec_lo, exec_lo, s22
	v_cmp_ne_u16_sdwa s0, v17, v10 src0_sel:BYTE_1 src1_sel:DWORD
	s_and_saveexec_b32 s22, s0
	s_cbranch_execz .LBB323_434
; %bb.427:                              ;   in Loop: Header=BB323_295 Depth=1
	v_cmp_ne_u16_sdwa s0, v17, v32 src0_sel:BYTE_1 src1_sel:DWORD
	v_bfrev_b32_e32 v65, 1
	s_and_saveexec_b32 s26, s0
	s_cbranch_execz .LBB323_433
; %bb.428:                              ;   in Loop: Header=BB323_295 Depth=1
	v_and_b32_sdwa v9, v33, v17 dst_sel:DWORD dst_unused:UNUSED_PAD src0_sel:DWORD src1_sel:BYTE_1
	v_mov_b32_e32 v65, 0x7f800001
	s_mov_b32 s27, exec_lo
	v_and_b32_e32 v20, 0x7f, v9
	v_cmpx_ne_u32_e32 0x7f, v20
	s_cbranch_execz .LBB323_432
; %bb.429:                              ;   in Loop: Header=BB323_295 Depth=1
	v_and_b32_e32 v9, 7, v9
	v_lshrrev_b32_e32 v19, 3, v20
	s_mov_b32 s28, exec_lo
	v_cmpx_gt_u32_e32 8, v20
; %bb.430:                              ;   in Loop: Header=BB323_295 Depth=1
	v_ffbh_u32_e32 v19, v9
	v_min_u32_e32 v19, 32, v19
	v_subrev_nc_u32_e32 v20, 28, v19
	v_sub_nc_u32_e32 v19, 29, v19
	v_lshlrev_b64 v[65:66], v20, v[9:10]
	v_and_b32_e32 v9, 7, v65
; %bb.431:                              ;   in Loop: Header=BB323_295 Depth=1
	s_or_b32 exec_lo, exec_lo, s28
	v_lshlrev_b32_e32 v20, 16, v17
	v_lshlrev_b32_e32 v9, 20, v9
	v_lshl_add_u32 v19, v19, 23, 0x3c000000
	v_and_b32_e32 v20, 0x80000000, v20
	v_or3_b32 v65, v9, v20, v19
.LBB323_432:                            ;   in Loop: Header=BB323_295 Depth=1
	s_or_b32 exec_lo, exec_lo, s27
.LBB323_433:                            ;   in Loop: Header=BB323_295 Depth=1
	s_or_b32 exec_lo, exec_lo, s26
.LBB323_434:                            ;   in Loop: Header=BB323_295 Depth=1
	s_or_b32 exec_lo, exec_lo, s22
	v_and_b32_sdwa v9, v17, v34 dst_sel:DWORD dst_unused:UNUSED_PAD src0_sel:WORD_1 src1_sel:DWORD
	v_mov_b32_e32 v67, 0
	v_mov_b32_e32 v66, 0
	s_mov_b32 s22, exec_lo
	v_cmpx_ne_u16_e32 0, v9
	s_cbranch_execz .LBB323_442
; %bb.435:                              ;   in Loop: Header=BB323_295 Depth=1
	v_bfrev_b32_e32 v66, 1
	s_mov_b32 s26, exec_lo
	v_cmpx_ne_u16_e32 0x80, v9
	s_cbranch_execz .LBB323_441
; %bb.436:                              ;   in Loop: Header=BB323_295 Depth=1
	v_bfe_u32 v20, v17, 16, 7
	v_mov_b32_e32 v66, 0x7f800001
	s_mov_b32 s27, exec_lo
	v_cmpx_ne_u32_e32 0x7f, v20
	s_cbranch_execz .LBB323_440
; %bb.437:                              ;   in Loop: Header=BB323_295 Depth=1
	v_and_b32_sdwa v9, v17, v35 dst_sel:DWORD dst_unused:UNUSED_PAD src0_sel:WORD_1 src1_sel:DWORD
	v_lshrrev_b32_e32 v19, 3, v20
	s_mov_b32 s28, exec_lo
	v_cmpx_gt_u32_e32 8, v20
; %bb.438:                              ;   in Loop: Header=BB323_295 Depth=1
	v_ffbh_u32_e32 v19, v9
	v_min_u32_e32 v19, 32, v19
	v_subrev_nc_u32_e32 v20, 28, v19
	v_sub_nc_u32_e32 v19, 29, v19
	v_lshlrev_b64 v[68:69], v20, v[9:10]
	v_and_b32_e32 v9, 7, v68
; %bb.439:                              ;   in Loop: Header=BB323_295 Depth=1
	s_or_b32 exec_lo, exec_lo, s28
	v_lshlrev_b32_sdwa v20, v36, v17 dst_sel:DWORD dst_unused:UNUSED_PAD src0_sel:DWORD src1_sel:WORD_1
	v_lshlrev_b32_e32 v9, 20, v9
	v_lshl_add_u32 v19, v19, 23, 0x3c000000
	v_and_b32_e32 v20, 0x80000000, v20
	v_or3_b32 v66, v9, v20, v19
.LBB323_440:                            ;   in Loop: Header=BB323_295 Depth=1
	s_or_b32 exec_lo, exec_lo, s27
.LBB323_441:                            ;   in Loop: Header=BB323_295 Depth=1
	s_or_b32 exec_lo, exec_lo, s26
.LBB323_442:                            ;   in Loop: Header=BB323_295 Depth=1
	s_or_b32 exec_lo, exec_lo, s22
	s_mov_b32 s22, exec_lo
	v_cmpx_lt_u32_e32 0xffffff, v17
	s_cbranch_execz .LBB323_450
; %bb.443:                              ;   in Loop: Header=BB323_295 Depth=1
	v_cmp_ne_u32_sdwa s0, v17, v32 src0_sel:BYTE_3 src1_sel:DWORD
	v_bfrev_b32_e32 v67, 1
	s_and_saveexec_b32 s26, s0
	s_cbranch_execz .LBB323_449
; %bb.444:                              ;   in Loop: Header=BB323_295 Depth=1
	v_bfe_u32 v20, v17, 24, 7
	v_mov_b32_e32 v67, 0x7f800001
	s_mov_b32 s27, exec_lo
	v_cmpx_ne_u32_e32 0x7f, v20
	s_cbranch_execz .LBB323_448
; %bb.445:                              ;   in Loop: Header=BB323_295 Depth=1
	v_and_b32_sdwa v9, v17, v35 dst_sel:DWORD dst_unused:UNUSED_PAD src0_sel:BYTE_3 src1_sel:DWORD
	v_lshrrev_b32_e32 v19, 3, v20
	s_mov_b32 s28, exec_lo
	v_cmpx_gt_u32_e32 8, v20
; %bb.446:                              ;   in Loop: Header=BB323_295 Depth=1
	v_ffbh_u32_e32 v19, v9
	v_min_u32_e32 v19, 32, v19
	v_subrev_nc_u32_e32 v20, 28, v19
	v_sub_nc_u32_e32 v19, 29, v19
	v_lshlrev_b64 v[67:68], v20, v[9:10]
	v_and_b32_e32 v9, 7, v67
; %bb.447:                              ;   in Loop: Header=BB323_295 Depth=1
	s_or_b32 exec_lo, exec_lo, s28
	v_lshlrev_b32_sdwa v20, v36, v17 dst_sel:DWORD dst_unused:UNUSED_PAD src0_sel:DWORD src1_sel:BYTE_3
	v_lshlrev_b32_e32 v9, 20, v9
	v_lshl_add_u32 v19, v19, 23, 0x3c000000
	v_and_b32_e32 v20, 0x80000000, v20
	v_or3_b32 v67, v9, v20, v19
.LBB323_448:                            ;   in Loop: Header=BB323_295 Depth=1
	s_or_b32 exec_lo, exec_lo, s27
.LBB323_449:                            ;   in Loop: Header=BB323_295 Depth=1
	s_or_b32 exec_lo, exec_lo, s26
.LBB323_450:                            ;   in Loop: Header=BB323_295 Depth=1
	s_or_b32 exec_lo, exec_lo, s22
	v_mov_b32_e32 v9, v18
	v_cmp_ne_u16_sdwa s0, v18, v10 src0_sel:BYTE_0 src1_sel:DWORD
	v_mov_b32_e32 v19, 0
	v_mov_b32_e32 v68, 0
	s_and_saveexec_b32 s22, s0
	s_cbranch_execz .LBB323_456
; %bb.451:                              ;   in Loop: Header=BB323_295 Depth=1
	v_cmp_ne_u16_sdwa s0, v18, v32 src0_sel:BYTE_0 src1_sel:DWORD
	v_bfrev_b32_e32 v68, 1
	s_and_saveexec_b32 s26, s0
	s_cbranch_execz .LBB323_455
; %bb.452:                              ;   in Loop: Header=BB323_295 Depth=1
	v_and_b32_e32 v20, 0x7f, v18
	v_mov_b32_e32 v68, 0x7f800001
	s_mov_b32 s27, exec_lo
	v_cmpx_ne_u32_e32 0x7f, v20
	s_cbranch_execz .LBB323_454
; %bb.453:                              ;   in Loop: Header=BB323_295 Depth=1
	v_and_b32_e32 v68, 7, v18
	v_lshrrev_b32_e32 v69, 3, v20
	v_cmp_gt_u32_e64 s0, 8, v20
	v_ffbh_u32_e32 v68, v68
	v_min_u32_e32 v68, 32, v68
	v_subrev_nc_u32_e32 v70, 28, v68
	v_sub_nc_u32_e32 v68, 29, v68
	v_cndmask_b32_e64 v20, v69, v68, s0
	v_cndmask_b32_e64 v68, 0, v70, s0
	v_lshl_add_u32 v20, v20, 23, 0x3c000000
	v_lshlrev_b64 v[68:69], v68, v[9:10]
	v_lshlrev_b32_e32 v69, 24, v9
	v_lshlrev_b32_e32 v68, 20, v68
	v_and_b32_e32 v69, 0x80000000, v69
	v_and_b32_e32 v68, 0x700000, v68
	v_or3_b32 v68, v68, v69, v20
.LBB323_454:                            ;   in Loop: Header=BB323_295 Depth=1
	s_or_b32 exec_lo, exec_lo, s27
.LBB323_455:                            ;   in Loop: Header=BB323_295 Depth=1
	s_or_b32 exec_lo, exec_lo, s26
.LBB323_456:                            ;   in Loop: Header=BB323_295 Depth=1
	s_or_b32 exec_lo, exec_lo, s22
	v_cmp_ne_u16_sdwa s0, v9, v10 src0_sel:BYTE_1 src1_sel:DWORD
	s_and_saveexec_b32 s22, s0
	s_cbranch_execz .LBB323_464
; %bb.457:                              ;   in Loop: Header=BB323_295 Depth=1
	v_cmp_ne_u16_sdwa s0, v9, v32 src0_sel:BYTE_1 src1_sel:DWORD
	v_bfrev_b32_e32 v19, 1
	s_and_saveexec_b32 s26, s0
	s_cbranch_execz .LBB323_463
; %bb.458:                              ;   in Loop: Header=BB323_295 Depth=1
	v_and_b32_sdwa v20, v33, v9 dst_sel:DWORD dst_unused:UNUSED_PAD src0_sel:DWORD src1_sel:BYTE_1
	v_mov_b32_e32 v19, 0x7f800001
	s_mov_b32 s27, exec_lo
	v_and_b32_e32 v70, 0x7f, v20
	v_cmpx_ne_u32_e32 0x7f, v70
	s_cbranch_execz .LBB323_462
; %bb.459:                              ;   in Loop: Header=BB323_295 Depth=1
	v_and_b32_e32 v19, 7, v20
	v_mov_b32_e32 v20, v10
	v_lshrrev_b32_e32 v69, 3, v70
	s_mov_b32 s28, exec_lo
	v_cmpx_gt_u32_e32 8, v70
; %bb.460:                              ;   in Loop: Header=BB323_295 Depth=1
	v_ffbh_u32_e32 v69, v19
	v_min_u32_e32 v69, 32, v69
	v_subrev_nc_u32_e32 v70, 28, v69
	v_sub_nc_u32_e32 v69, 29, v69
	v_lshlrev_b64 v[19:20], v70, v[19:20]
	v_and_b32_e32 v19, 7, v19
; %bb.461:                              ;   in Loop: Header=BB323_295 Depth=1
	s_or_b32 exec_lo, exec_lo, s28
	v_lshlrev_b32_e32 v9, 16, v9
	v_lshlrev_b32_e32 v19, 20, v19
	v_lshl_add_u32 v20, v69, 23, 0x3c000000
	v_and_b32_e32 v9, 0x80000000, v9
	v_or3_b32 v19, v19, v9, v20
.LBB323_462:                            ;   in Loop: Header=BB323_295 Depth=1
	s_or_b32 exec_lo, exec_lo, s27
.LBB323_463:                            ;   in Loop: Header=BB323_295 Depth=1
	s_or_b32 exec_lo, exec_lo, s26
.LBB323_464:                            ;   in Loop: Header=BB323_295 Depth=1
	s_or_b32 exec_lo, exec_lo, s22
	v_and_b32_sdwa v9, v18, v34 dst_sel:DWORD dst_unused:UNUSED_PAD src0_sel:WORD_1 src1_sel:DWORD
	v_mov_b32_e32 v69, 0
	v_mov_b32_e32 v70, 0
	s_mov_b32 s22, exec_lo
	v_cmpx_ne_u16_e32 0, v9
	s_cbranch_execz .LBB323_472
; %bb.465:                              ;   in Loop: Header=BB323_295 Depth=1
	v_bfrev_b32_e32 v70, 1
	s_mov_b32 s26, exec_lo
	v_cmpx_ne_u16_e32 0x80, v9
	s_cbranch_execz .LBB323_471
; %bb.466:                              ;   in Loop: Header=BB323_295 Depth=1
	v_bfe_u32 v71, v18, 16, 7
	v_mov_b32_e32 v70, 0x7f800001
	s_mov_b32 s27, exec_lo
	v_cmpx_ne_u32_e32 0x7f, v71
	s_cbranch_execz .LBB323_470
; %bb.467:                              ;   in Loop: Header=BB323_295 Depth=1
	v_and_b32_sdwa v9, v18, v35 dst_sel:DWORD dst_unused:UNUSED_PAD src0_sel:WORD_1 src1_sel:DWORD
	v_lshrrev_b32_e32 v20, 3, v71
	s_mov_b32 s28, exec_lo
	v_cmpx_gt_u32_e32 8, v71
; %bb.468:                              ;   in Loop: Header=BB323_295 Depth=1
	v_ffbh_u32_e32 v20, v9
	v_min_u32_e32 v20, 32, v20
	v_subrev_nc_u32_e32 v70, 28, v20
	v_sub_nc_u32_e32 v20, 29, v20
	v_lshlrev_b64 v[70:71], v70, v[9:10]
	v_and_b32_e32 v9, 7, v70
; %bb.469:                              ;   in Loop: Header=BB323_295 Depth=1
	s_or_b32 exec_lo, exec_lo, s28
	v_lshlrev_b32_sdwa v70, v36, v18 dst_sel:DWORD dst_unused:UNUSED_PAD src0_sel:DWORD src1_sel:WORD_1
	v_lshlrev_b32_e32 v9, 20, v9
	v_lshl_add_u32 v20, v20, 23, 0x3c000000
	v_and_b32_e32 v70, 0x80000000, v70
	v_or3_b32 v70, v9, v70, v20
.LBB323_470:                            ;   in Loop: Header=BB323_295 Depth=1
	s_or_b32 exec_lo, exec_lo, s27
.LBB323_471:                            ;   in Loop: Header=BB323_295 Depth=1
	s_or_b32 exec_lo, exec_lo, s26
.LBB323_472:                            ;   in Loop: Header=BB323_295 Depth=1
	s_or_b32 exec_lo, exec_lo, s22
	s_mov_b32 s22, exec_lo
	v_cmpx_lt_u64_e64 s[2:3], v[17:18]
	s_cbranch_execz .LBB323_480
; %bb.473:                              ;   in Loop: Header=BB323_295 Depth=1
	v_cmp_ne_u32_sdwa s0, v18, v32 src0_sel:BYTE_3 src1_sel:DWORD
	v_bfrev_b32_e32 v69, 1
	s_and_saveexec_b32 s26, s0
	s_cbranch_execz .LBB323_479
; %bb.474:                              ;   in Loop: Header=BB323_295 Depth=1
	v_bfe_u32 v20, v18, 24, 7
	v_mov_b32_e32 v69, 0x7f800001
	s_mov_b32 s27, exec_lo
	v_cmpx_ne_u32_e32 0x7f, v20
	s_cbranch_execz .LBB323_478
; %bb.475:                              ;   in Loop: Header=BB323_295 Depth=1
	v_and_b32_sdwa v9, v18, v35 dst_sel:DWORD dst_unused:UNUSED_PAD src0_sel:BYTE_3 src1_sel:DWORD
	v_lshrrev_b32_e32 v17, 3, v20
	s_mov_b32 s28, exec_lo
	v_cmpx_gt_u32_e32 8, v20
; %bb.476:                              ;   in Loop: Header=BB323_295 Depth=1
	v_ffbh_u32_e32 v17, v9
	v_min_u32_e32 v17, 32, v17
	v_subrev_nc_u32_e32 v20, 28, v17
	v_sub_nc_u32_e32 v17, 29, v17
	v_lshlrev_b64 v[71:72], v20, v[9:10]
	v_and_b32_e32 v9, 7, v71
; %bb.477:                              ;   in Loop: Header=BB323_295 Depth=1
	s_or_b32 exec_lo, exec_lo, s28
	v_lshlrev_b32_sdwa v18, v36, v18 dst_sel:DWORD dst_unused:UNUSED_PAD src0_sel:DWORD src1_sel:BYTE_3
	v_lshlrev_b32_e32 v9, 20, v9
	v_lshl_add_u32 v17, v17, 23, 0x3c000000
	v_and_b32_e32 v18, 0x80000000, v18
	v_or3_b32 v69, v9, v18, v17
.LBB323_478:                            ;   in Loop: Header=BB323_295 Depth=1
	s_or_b32 exec_lo, exec_lo, s27
.LBB323_479:                            ;   in Loop: Header=BB323_295 Depth=1
	s_or_b32 exec_lo, exec_lo, s26
.LBB323_480:                            ;   in Loop: Header=BB323_295 Depth=1
	s_or_b32 exec_lo, exec_lo, s22
	v_mul_f32_e32 v9, s21, v19
	v_mul_f32_e32 v17, s21, v68
	;; [unrolled: 1-line block ×5, first 2 shown]
	v_bfe_u32 v19, v9, 16, 1
	v_or_b32_e32 v20, 0x400000, v9
	v_bfe_u32 v66, v17, 16, 1
	v_cmp_u_f32_e64 s0, v9, v9
	v_or_b32_e32 v68, 0x400000, v17
	v_add3_u32 v19, v19, v9, 0x7fff
	v_bfe_u32 v71, v18, 16, 1
	v_add3_u32 v66, v66, v17, 0x7fff
	v_or_b32_e32 v72, 0x400000, v18
	v_bfe_u32 v73, v67, 16, 1
	v_cndmask_b32_e64 v9, v19, v20, s0
	v_cmp_u_f32_e64 s0, v17, v17
	v_add3_u32 v71, v71, v18, 0x7fff
	v_lshrrev_b32_e32 v19, 16, v9
	v_cndmask_b32_e64 v17, v66, v68, s0
	v_cmp_u_f32_e64 s0, v18, v18
	v_mul_f32_e32 v9, s21, v65
	v_add3_u32 v65, v73, v67, 0x7fff
	v_or_b32_e32 v68, 0x400000, v67
	v_lshrrev_b32_e32 v20, 16, v17
	v_cndmask_b32_e64 v18, v71, v72, s0
	v_bfe_u32 v17, v9, 16, 1
	v_cmp_u_f32_e64 s0, v67, v67
	v_or_b32_e32 v67, 0x400000, v9
	v_lshrrev_b32_e32 v66, 16, v18
	v_add3_u32 v17, v17, v9, 0x7fff
	v_cndmask_b32_e64 v18, v65, v68, s0
	v_mul_f32_e32 v65, s21, v70
	v_mul_f32_e32 v68, s21, v69
	v_bfe_u32 v69, v64, 16, 1
	v_cmp_u_f32_e64 s0, v9, v9
	v_bfe_u32 v70, v65, 16, 1
	v_or_b32_e32 v71, 0x400000, v65
	v_or_b32_e32 v72, 0x400000, v68
	v_cndmask_b32_e64 v9, v17, v67, s0
	v_add3_u32 v67, v69, v64, 0x7fff
	v_or_b32_e32 v69, 0x400000, v64
	v_cmp_u_f32_e64 s0, v64, v64
	v_bfe_u32 v17, v68, 16, 1
	v_add3_u32 v70, v70, v65, 0x7fff
	v_cndmask_b32_e64 v64, v67, v69, s0
	v_cmp_u_f32_e64 s0, v65, v65
	v_add3_u32 v17, v17, v68, 0x7fff
	v_lshrrev_b32_e32 v67, 16, v18
	v_lshrrev_b32_e32 v69, 16, v9
	v_cndmask_b32_e64 v65, v70, v71, s0
	v_cmp_u_f32_e64 s0, v68, v68
	v_lshrrev_b32_e32 v68, 16, v64
	v_lshrrev_b32_e32 v64, 16, v65
	v_cndmask_b32_e64 v17, v17, v72, s0
	v_lshrrev_b32_e32 v65, 16, v17
	s_and_saveexec_b32 s22, vcc_lo
	s_cbranch_execz .LBB323_482
; %bb.481:                              ;   in Loop: Header=BB323_295 Depth=1
	v_cmp_gt_i32_e64 s0, s33, v48
	v_cndmask_b32_e64 v68, 0, v68, s0
	v_cmp_gt_i32_e64 s0, s33, v55
	v_cndmask_b32_e64 v69, 0, v69, s0
	;; [unrolled: 2-line block ×8, first 2 shown]
.LBB323_482:                            ;   in Loop: Header=BB323_295 Depth=1
	s_or_b32 exec_lo, exec_lo, s22
	global_load_dwordx2 v[15:16], v[15:16], off offset:768
	v_mov_b32_e32 v71, 0
	v_mov_b32_e32 v70, 0
	s_waitcnt vmcnt(0)
	v_cmp_ne_u16_sdwa s0, v15, v10 src0_sel:BYTE_0 src1_sel:DWORD
	s_and_saveexec_b32 s22, s0
	s_cbranch_execz .LBB323_488
; %bb.483:                              ;   in Loop: Header=BB323_295 Depth=1
	v_cmp_ne_u16_sdwa s0, v15, v32 src0_sel:BYTE_0 src1_sel:DWORD
	v_bfrev_b32_e32 v70, 1
	s_and_saveexec_b32 s26, s0
	s_cbranch_execz .LBB323_487
; %bb.484:                              ;   in Loop: Header=BB323_295 Depth=1
	v_and_b32_e32 v9, 0x7f, v15
	v_mov_b32_e32 v70, 0x7f800001
	s_mov_b32 s27, exec_lo
	v_cmpx_ne_u32_e32 0x7f, v9
	s_cbranch_execz .LBB323_486
; %bb.485:                              ;   in Loop: Header=BB323_295 Depth=1
	v_and_b32_e32 v17, 7, v15
	v_lshrrev_b32_e32 v18, 3, v9
	v_cmp_gt_u32_e64 s0, 8, v9
	v_ffbh_u32_e32 v17, v17
	v_min_u32_e32 v17, 32, v17
	v_subrev_nc_u32_e32 v70, 28, v17
	v_sub_nc_u32_e32 v17, 29, v17
	v_cndmask_b32_e64 v9, v18, v17, s0
	v_cndmask_b32_e64 v17, 0, v70, s0
	v_lshl_add_u32 v9, v9, 23, 0x3c000000
	v_lshlrev_b64 v[17:18], v17, v[15:16]
	v_lshlrev_b32_e32 v18, 24, v15
	v_lshlrev_b32_e32 v17, 20, v17
	v_and_b32_e32 v18, 0x80000000, v18
	v_and_b32_e32 v17, 0x700000, v17
	v_or3_b32 v70, v17, v18, v9
.LBB323_486:                            ;   in Loop: Header=BB323_295 Depth=1
	s_or_b32 exec_lo, exec_lo, s27
.LBB323_487:                            ;   in Loop: Header=BB323_295 Depth=1
	s_or_b32 exec_lo, exec_lo, s26
.LBB323_488:                            ;   in Loop: Header=BB323_295 Depth=1
	s_or_b32 exec_lo, exec_lo, s22
	v_cmp_ne_u16_sdwa s0, v15, v10 src0_sel:BYTE_1 src1_sel:DWORD
	s_and_saveexec_b32 s22, s0
	s_cbranch_execz .LBB323_496
; %bb.489:                              ;   in Loop: Header=BB323_295 Depth=1
	v_cmp_ne_u16_sdwa s0, v15, v32 src0_sel:BYTE_1 src1_sel:DWORD
	v_bfrev_b32_e32 v71, 1
	s_and_saveexec_b32 s26, s0
	s_cbranch_execz .LBB323_495
; %bb.490:                              ;   in Loop: Header=BB323_295 Depth=1
	v_and_b32_sdwa v9, v33, v15 dst_sel:DWORD dst_unused:UNUSED_PAD src0_sel:DWORD src1_sel:BYTE_1
	v_mov_b32_e32 v71, 0x7f800001
	s_mov_b32 s27, exec_lo
	v_and_b32_e32 v18, 0x7f, v9
	v_cmpx_ne_u32_e32 0x7f, v18
	s_cbranch_execz .LBB323_494
; %bb.491:                              ;   in Loop: Header=BB323_295 Depth=1
	v_and_b32_e32 v9, 7, v9
	v_lshrrev_b32_e32 v17, 3, v18
	s_mov_b32 s28, exec_lo
	v_cmpx_gt_u32_e32 8, v18
; %bb.492:                              ;   in Loop: Header=BB323_295 Depth=1
	v_ffbh_u32_e32 v17, v9
	v_min_u32_e32 v17, 32, v17
	v_subrev_nc_u32_e32 v18, 28, v17
	v_sub_nc_u32_e32 v17, 29, v17
	v_lshlrev_b64 v[71:72], v18, v[9:10]
	v_and_b32_e32 v9, 7, v71
; %bb.493:                              ;   in Loop: Header=BB323_295 Depth=1
	s_or_b32 exec_lo, exec_lo, s28
	v_lshlrev_b32_e32 v18, 16, v15
	v_lshlrev_b32_e32 v9, 20, v9
	v_lshl_add_u32 v17, v17, 23, 0x3c000000
	v_and_b32_e32 v18, 0x80000000, v18
	v_or3_b32 v71, v9, v18, v17
.LBB323_494:                            ;   in Loop: Header=BB323_295 Depth=1
	s_or_b32 exec_lo, exec_lo, s27
.LBB323_495:                            ;   in Loop: Header=BB323_295 Depth=1
	s_or_b32 exec_lo, exec_lo, s26
.LBB323_496:                            ;   in Loop: Header=BB323_295 Depth=1
	s_or_b32 exec_lo, exec_lo, s22
	v_and_b32_sdwa v9, v15, v34 dst_sel:DWORD dst_unused:UNUSED_PAD src0_sel:WORD_1 src1_sel:DWORD
	v_mov_b32_e32 v73, 0
	v_mov_b32_e32 v72, 0
	s_mov_b32 s22, exec_lo
	v_cmpx_ne_u16_e32 0, v9
	s_cbranch_execz .LBB323_504
; %bb.497:                              ;   in Loop: Header=BB323_295 Depth=1
	v_bfrev_b32_e32 v72, 1
	s_mov_b32 s26, exec_lo
	v_cmpx_ne_u16_e32 0x80, v9
	s_cbranch_execz .LBB323_503
; %bb.498:                              ;   in Loop: Header=BB323_295 Depth=1
	v_bfe_u32 v18, v15, 16, 7
	v_mov_b32_e32 v72, 0x7f800001
	s_mov_b32 s27, exec_lo
	v_cmpx_ne_u32_e32 0x7f, v18
	s_cbranch_execz .LBB323_502
; %bb.499:                              ;   in Loop: Header=BB323_295 Depth=1
	v_and_b32_sdwa v9, v15, v35 dst_sel:DWORD dst_unused:UNUSED_PAD src0_sel:WORD_1 src1_sel:DWORD
	v_lshrrev_b32_e32 v17, 3, v18
	s_mov_b32 s28, exec_lo
	v_cmpx_gt_u32_e32 8, v18
; %bb.500:                              ;   in Loop: Header=BB323_295 Depth=1
	v_ffbh_u32_e32 v17, v9
	v_min_u32_e32 v17, 32, v17
	v_subrev_nc_u32_e32 v18, 28, v17
	v_sub_nc_u32_e32 v17, 29, v17
	v_lshlrev_b64 v[74:75], v18, v[9:10]
	v_and_b32_e32 v9, 7, v74
; %bb.501:                              ;   in Loop: Header=BB323_295 Depth=1
	s_or_b32 exec_lo, exec_lo, s28
	v_lshlrev_b32_sdwa v18, v36, v15 dst_sel:DWORD dst_unused:UNUSED_PAD src0_sel:DWORD src1_sel:WORD_1
	v_lshlrev_b32_e32 v9, 20, v9
	v_lshl_add_u32 v17, v17, 23, 0x3c000000
	v_and_b32_e32 v18, 0x80000000, v18
	v_or3_b32 v72, v9, v18, v17
.LBB323_502:                            ;   in Loop: Header=BB323_295 Depth=1
	s_or_b32 exec_lo, exec_lo, s27
.LBB323_503:                            ;   in Loop: Header=BB323_295 Depth=1
	s_or_b32 exec_lo, exec_lo, s26
.LBB323_504:                            ;   in Loop: Header=BB323_295 Depth=1
	s_or_b32 exec_lo, exec_lo, s22
	s_mov_b32 s22, exec_lo
	v_cmpx_lt_u32_e32 0xffffff, v15
	s_cbranch_execz .LBB323_512
; %bb.505:                              ;   in Loop: Header=BB323_295 Depth=1
	v_cmp_ne_u32_sdwa s0, v15, v32 src0_sel:BYTE_3 src1_sel:DWORD
	v_bfrev_b32_e32 v73, 1
	s_and_saveexec_b32 s26, s0
	s_cbranch_execz .LBB323_511
; %bb.506:                              ;   in Loop: Header=BB323_295 Depth=1
	v_bfe_u32 v18, v15, 24, 7
	v_mov_b32_e32 v73, 0x7f800001
	s_mov_b32 s27, exec_lo
	v_cmpx_ne_u32_e32 0x7f, v18
	s_cbranch_execz .LBB323_510
; %bb.507:                              ;   in Loop: Header=BB323_295 Depth=1
	v_and_b32_sdwa v9, v15, v35 dst_sel:DWORD dst_unused:UNUSED_PAD src0_sel:BYTE_3 src1_sel:DWORD
	v_lshrrev_b32_e32 v17, 3, v18
	s_mov_b32 s28, exec_lo
	v_cmpx_gt_u32_e32 8, v18
; %bb.508:                              ;   in Loop: Header=BB323_295 Depth=1
	v_ffbh_u32_e32 v17, v9
	v_min_u32_e32 v17, 32, v17
	v_subrev_nc_u32_e32 v18, 28, v17
	v_sub_nc_u32_e32 v17, 29, v17
	v_lshlrev_b64 v[73:74], v18, v[9:10]
	v_and_b32_e32 v9, 7, v73
; %bb.509:                              ;   in Loop: Header=BB323_295 Depth=1
	s_or_b32 exec_lo, exec_lo, s28
	v_lshlrev_b32_sdwa v18, v36, v15 dst_sel:DWORD dst_unused:UNUSED_PAD src0_sel:DWORD src1_sel:BYTE_3
	v_lshlrev_b32_e32 v9, 20, v9
	v_lshl_add_u32 v17, v17, 23, 0x3c000000
	v_and_b32_e32 v18, 0x80000000, v18
	v_or3_b32 v73, v9, v18, v17
.LBB323_510:                            ;   in Loop: Header=BB323_295 Depth=1
	s_or_b32 exec_lo, exec_lo, s27
.LBB323_511:                            ;   in Loop: Header=BB323_295 Depth=1
	s_or_b32 exec_lo, exec_lo, s26
.LBB323_512:                            ;   in Loop: Header=BB323_295 Depth=1
	s_or_b32 exec_lo, exec_lo, s22
	v_mov_b32_e32 v9, v16
	v_cmp_ne_u16_sdwa s0, v16, v10 src0_sel:BYTE_0 src1_sel:DWORD
	v_mov_b32_e32 v17, 0
	v_mov_b32_e32 v74, 0
	s_and_saveexec_b32 s22, s0
	s_cbranch_execz .LBB323_518
; %bb.513:                              ;   in Loop: Header=BB323_295 Depth=1
	v_cmp_ne_u16_sdwa s0, v16, v32 src0_sel:BYTE_0 src1_sel:DWORD
	v_bfrev_b32_e32 v74, 1
	s_and_saveexec_b32 s26, s0
	s_cbranch_execz .LBB323_517
; %bb.514:                              ;   in Loop: Header=BB323_295 Depth=1
	v_and_b32_e32 v18, 0x7f, v16
	v_mov_b32_e32 v74, 0x7f800001
	s_mov_b32 s27, exec_lo
	v_cmpx_ne_u32_e32 0x7f, v18
	s_cbranch_execz .LBB323_516
; %bb.515:                              ;   in Loop: Header=BB323_295 Depth=1
	v_and_b32_e32 v74, 7, v16
	v_lshrrev_b32_e32 v75, 3, v18
	v_cmp_gt_u32_e64 s0, 8, v18
	v_ffbh_u32_e32 v74, v74
	v_min_u32_e32 v74, 32, v74
	v_subrev_nc_u32_e32 v76, 28, v74
	v_sub_nc_u32_e32 v74, 29, v74
	v_cndmask_b32_e64 v18, v75, v74, s0
	v_cndmask_b32_e64 v74, 0, v76, s0
	v_lshl_add_u32 v18, v18, 23, 0x3c000000
	v_lshlrev_b64 v[74:75], v74, v[9:10]
	v_lshlrev_b32_e32 v75, 24, v9
	v_lshlrev_b32_e32 v74, 20, v74
	v_and_b32_e32 v75, 0x80000000, v75
	v_and_b32_e32 v74, 0x700000, v74
	v_or3_b32 v74, v74, v75, v18
.LBB323_516:                            ;   in Loop: Header=BB323_295 Depth=1
	s_or_b32 exec_lo, exec_lo, s27
.LBB323_517:                            ;   in Loop: Header=BB323_295 Depth=1
	s_or_b32 exec_lo, exec_lo, s26
.LBB323_518:                            ;   in Loop: Header=BB323_295 Depth=1
	s_or_b32 exec_lo, exec_lo, s22
	v_cmp_ne_u16_sdwa s0, v9, v10 src0_sel:BYTE_1 src1_sel:DWORD
	s_and_saveexec_b32 s22, s0
	s_cbranch_execz .LBB323_526
; %bb.519:                              ;   in Loop: Header=BB323_295 Depth=1
	v_cmp_ne_u16_sdwa s0, v9, v32 src0_sel:BYTE_1 src1_sel:DWORD
	v_bfrev_b32_e32 v17, 1
	s_and_saveexec_b32 s26, s0
	s_cbranch_execz .LBB323_525
; %bb.520:                              ;   in Loop: Header=BB323_295 Depth=1
	v_and_b32_sdwa v18, v33, v9 dst_sel:DWORD dst_unused:UNUSED_PAD src0_sel:DWORD src1_sel:BYTE_1
	v_mov_b32_e32 v17, 0x7f800001
	s_mov_b32 s27, exec_lo
	v_and_b32_e32 v76, 0x7f, v18
	v_cmpx_ne_u32_e32 0x7f, v76
	s_cbranch_execz .LBB323_524
; %bb.521:                              ;   in Loop: Header=BB323_295 Depth=1
	v_and_b32_e32 v17, 7, v18
	v_mov_b32_e32 v18, v10
	v_lshrrev_b32_e32 v75, 3, v76
	s_mov_b32 s28, exec_lo
	v_cmpx_gt_u32_e32 8, v76
; %bb.522:                              ;   in Loop: Header=BB323_295 Depth=1
	v_ffbh_u32_e32 v75, v17
	v_min_u32_e32 v75, 32, v75
	v_subrev_nc_u32_e32 v76, 28, v75
	v_sub_nc_u32_e32 v75, 29, v75
	v_lshlrev_b64 v[17:18], v76, v[17:18]
	v_and_b32_e32 v17, 7, v17
; %bb.523:                              ;   in Loop: Header=BB323_295 Depth=1
	s_or_b32 exec_lo, exec_lo, s28
	v_lshlrev_b32_e32 v9, 16, v9
	v_lshlrev_b32_e32 v17, 20, v17
	v_lshl_add_u32 v18, v75, 23, 0x3c000000
	v_and_b32_e32 v9, 0x80000000, v9
	v_or3_b32 v17, v17, v9, v18
.LBB323_524:                            ;   in Loop: Header=BB323_295 Depth=1
	s_or_b32 exec_lo, exec_lo, s27
.LBB323_525:                            ;   in Loop: Header=BB323_295 Depth=1
	s_or_b32 exec_lo, exec_lo, s26
.LBB323_526:                            ;   in Loop: Header=BB323_295 Depth=1
	s_or_b32 exec_lo, exec_lo, s22
	v_and_b32_sdwa v9, v16, v34 dst_sel:DWORD dst_unused:UNUSED_PAD src0_sel:WORD_1 src1_sel:DWORD
	v_mov_b32_e32 v18, 0
	v_mov_b32_e32 v75, 0
	s_mov_b32 s22, exec_lo
	v_cmpx_ne_u16_e32 0, v9
	s_cbranch_execz .LBB323_534
; %bb.527:                              ;   in Loop: Header=BB323_295 Depth=1
	v_bfrev_b32_e32 v75, 1
	s_mov_b32 s26, exec_lo
	v_cmpx_ne_u16_e32 0x80, v9
	s_cbranch_execz .LBB323_533
; %bb.528:                              ;   in Loop: Header=BB323_295 Depth=1
	v_bfe_u32 v76, v16, 16, 7
	v_mov_b32_e32 v75, 0x7f800001
	s_mov_b32 s27, exec_lo
	v_cmpx_ne_u32_e32 0x7f, v76
	s_cbranch_execz .LBB323_532
; %bb.529:                              ;   in Loop: Header=BB323_295 Depth=1
	v_and_b32_sdwa v9, v16, v35 dst_sel:DWORD dst_unused:UNUSED_PAD src0_sel:WORD_1 src1_sel:DWORD
	v_lshrrev_b32_e32 v75, 3, v76
	s_mov_b32 s28, exec_lo
	v_cmpx_gt_u32_e32 8, v76
; %bb.530:                              ;   in Loop: Header=BB323_295 Depth=1
	v_ffbh_u32_e32 v75, v9
	v_min_u32_e32 v75, 32, v75
	v_subrev_nc_u32_e32 v76, 28, v75
	v_sub_nc_u32_e32 v75, 29, v75
	v_lshlrev_b64 v[76:77], v76, v[9:10]
	v_and_b32_e32 v9, 7, v76
; %bb.531:                              ;   in Loop: Header=BB323_295 Depth=1
	s_or_b32 exec_lo, exec_lo, s28
	v_lshlrev_b32_sdwa v76, v36, v16 dst_sel:DWORD dst_unused:UNUSED_PAD src0_sel:DWORD src1_sel:WORD_1
	v_lshlrev_b32_e32 v9, 20, v9
	v_lshl_add_u32 v75, v75, 23, 0x3c000000
	v_and_b32_e32 v76, 0x80000000, v76
	v_or3_b32 v75, v9, v76, v75
.LBB323_532:                            ;   in Loop: Header=BB323_295 Depth=1
	s_or_b32 exec_lo, exec_lo, s27
.LBB323_533:                            ;   in Loop: Header=BB323_295 Depth=1
	s_or_b32 exec_lo, exec_lo, s26
.LBB323_534:                            ;   in Loop: Header=BB323_295 Depth=1
	s_or_b32 exec_lo, exec_lo, s22
	s_mov_b32 s22, exec_lo
	v_cmpx_lt_u64_e64 s[2:3], v[15:16]
	s_cbranch_execz .LBB323_542
; %bb.535:                              ;   in Loop: Header=BB323_295 Depth=1
	v_cmp_ne_u32_sdwa s0, v16, v32 src0_sel:BYTE_3 src1_sel:DWORD
	v_bfrev_b32_e32 v18, 1
	s_and_saveexec_b32 s26, s0
	s_cbranch_execz .LBB323_541
; %bb.536:                              ;   in Loop: Header=BB323_295 Depth=1
	v_bfe_u32 v76, v16, 24, 7
	v_mov_b32_e32 v18, 0x7f800001
	s_mov_b32 s27, exec_lo
	v_cmpx_ne_u32_e32 0x7f, v76
	s_cbranch_execz .LBB323_540
; %bb.537:                              ;   in Loop: Header=BB323_295 Depth=1
	v_and_b32_sdwa v9, v16, v35 dst_sel:DWORD dst_unused:UNUSED_PAD src0_sel:BYTE_3 src1_sel:DWORD
	v_lshrrev_b32_e32 v15, 3, v76
	s_mov_b32 s28, exec_lo
	v_cmpx_gt_u32_e32 8, v76
; %bb.538:                              ;   in Loop: Header=BB323_295 Depth=1
	v_ffbh_u32_e32 v15, v9
	v_min_u32_e32 v15, 32, v15
	v_subrev_nc_u32_e32 v18, 28, v15
	v_sub_nc_u32_e32 v15, 29, v15
	v_lshlrev_b64 v[76:77], v18, v[9:10]
	v_and_b32_e32 v9, 7, v76
; %bb.539:                              ;   in Loop: Header=BB323_295 Depth=1
	s_or_b32 exec_lo, exec_lo, s28
	v_lshlrev_b32_sdwa v16, v36, v16 dst_sel:DWORD dst_unused:UNUSED_PAD src0_sel:DWORD src1_sel:BYTE_3
	v_lshlrev_b32_e32 v9, 20, v9
	v_lshl_add_u32 v15, v15, 23, 0x3c000000
	v_and_b32_e32 v16, 0x80000000, v16
	v_or3_b32 v18, v9, v16, v15
.LBB323_540:                            ;   in Loop: Header=BB323_295 Depth=1
	s_or_b32 exec_lo, exec_lo, s27
.LBB323_541:                            ;   in Loop: Header=BB323_295 Depth=1
	s_or_b32 exec_lo, exec_lo, s26
.LBB323_542:                            ;   in Loop: Header=BB323_295 Depth=1
	s_or_b32 exec_lo, exec_lo, s22
	v_mul_f32_e32 v9, s21, v17
	v_mul_f32_e32 v15, s21, v74
	;; [unrolled: 1-line block ×5, first 2 shown]
	v_bfe_u32 v72, v9, 16, 1
	v_or_b32_e32 v73, 0x400000, v9
	v_bfe_u32 v74, v15, 16, 1
	v_cmp_u_f32_e64 s0, v9, v9
	v_or_b32_e32 v76, 0x400000, v15
	v_add3_u32 v72, v72, v9, 0x7fff
	v_bfe_u32 v77, v16, 16, 1
	v_add3_u32 v74, v74, v15, 0x7fff
	v_or_b32_e32 v78, 0x400000, v16
	v_bfe_u32 v79, v17, 16, 1
	v_cndmask_b32_e64 v9, v72, v73, s0
	v_cmp_u_f32_e64 s0, v15, v15
	v_add3_u32 v77, v77, v16, 0x7fff
	v_or_b32_e32 v73, 0x400000, v17
	v_add3_u32 v72, v79, v17, 0x7fff
	v_mul_f32_e32 v70, s21, v70
	v_cndmask_b32_e64 v15, v74, v76, s0
	v_cmp_u_f32_e64 s0, v16, v16
	v_bfe_u32 v74, v71, 16, 1
	v_mul_f32_e32 v18, s21, v18
	v_lshrrev_b32_e32 v9, 16, v9
	v_lshrrev_b32_e32 v15, 16, v15
	v_cndmask_b32_e64 v16, v77, v78, s0
	v_cmp_u_f32_e64 s0, v17, v17
	v_or_b32_e32 v78, 0x400000, v18
	v_lshrrev_b32_e32 v16, 16, v16
	v_cndmask_b32_e64 v17, v72, v73, s0
	v_mul_f32_e32 v72, s21, v75
	v_add3_u32 v73, v74, v71, 0x7fff
	v_or_b32_e32 v74, 0x400000, v71
	v_bfe_u32 v75, v70, 16, 1
	v_cmp_u_f32_e64 s0, v71, v71
	v_bfe_u32 v76, v72, 16, 1
	v_or_b32_e32 v77, 0x400000, v72
	v_cndmask_b32_e64 v71, v73, v74, s0
	v_add3_u32 v74, v75, v70, 0x7fff
	v_or_b32_e32 v75, 0x400000, v70
	v_cmp_u_f32_e64 s0, v70, v70
	v_bfe_u32 v73, v18, 16, 1
	v_add3_u32 v76, v76, v72, 0x7fff
	v_lshrrev_b32_e32 v70, 16, v17
	v_lshrrev_b32_e32 v71, 16, v71
	v_cndmask_b32_e64 v74, v74, v75, s0
	v_cmp_u_f32_e64 s0, v72, v72
	v_add3_u32 v73, v73, v18, 0x7fff
	v_lshrrev_b32_e32 v72, 16, v74
	v_cndmask_b32_e64 v75, v76, v77, s0
	v_cmp_u_f32_e64 s0, v18, v18
	v_lshrrev_b32_e32 v18, 16, v75
	v_cndmask_b32_e64 v73, v73, v78, s0
	v_lshrrev_b32_e32 v17, 16, v73
	s_and_saveexec_b32 s0, vcc_lo
	s_cbranch_execz .LBB323_293
; %bb.543:                              ;   in Loop: Header=BB323_295 Depth=1
	v_cmp_gt_i32_e32 vcc_lo, s33, v48
	v_cndmask_b32_e32 v72, 0, v72, vcc_lo
	v_cmp_gt_i32_e32 vcc_lo, s33, v55
	v_cndmask_b32_e32 v71, 0, v71, vcc_lo
	;; [unrolled: 2-line block ×8, first 2 shown]
	s_branch .LBB323_293
.LBB323_544:
	s_or_b32 exec_lo, exec_lo, s17
.LBB323_545:
	s_or_b32 exec_lo, exec_lo, s1
	ds_bpermute_b32 v1, v22, v30
	ds_bpermute_b32 v2, v22, v29
	;; [unrolled: 1-line block ×4, first 2 shown]
	v_lshrrev_b32_e32 v5, 1, v21
	v_lshlrev_b32_e32 v7, 8, v27
	v_and_b32_e32 v10, 0x3c1, v0
	s_mov_b32 s0, exec_lo
	s_waitcnt lgkmcnt(0)
	v_lshl_add_u32 v6, v5, 2, 0xa0
	s_barrier
	buffer_gl0_inv
	v_add_f32_e32 v4, v30, v1
	v_add_f32_e32 v3, v29, v2
	v_add_f32_e32 v2, v24, v8
	v_add_f32_e32 v1, v23, v9
	v_cmpx_eq_u32_e32 64, v10
	s_cbranch_execz .LBB323_547
; %bb.546:
	v_add_nc_u32_e32 v8, v6, v7
	v_add_nc_u32_e32 v9, 0xfffffe00, v8
	;; [unrolled: 1-line block ×5, first 2 shown]
	ds_write_b32 v9, v4
	ds_write_b32 v10, v3
	;; [unrolled: 1-line block ×4, first 2 shown]
.LBB323_547:
	s_or_b32 exec_lo, exec_lo, s0
	v_lshlrev_b32_e32 v5, 2, v5
	s_mov_b32 s1, exec_lo
	v_cmp_eq_u32_e32 vcc_lo, 0, v26
	s_waitcnt lgkmcnt(0)
	s_barrier
	v_add3_u32 v5, 0xa0, v7, v5
	buffer_gl0_inv
	v_cmpx_gt_u32_e32 64, v0
	s_cbranch_execz .LBB323_554
; %bb.548:
	s_and_saveexec_b32 s0, vcc_lo
	s_cbranch_execnz .LBB323_566
; %bb.549:
	s_or_b32 exec_lo, exec_lo, s0
	s_and_saveexec_b32 s0, vcc_lo
	s_cbranch_execnz .LBB323_567
.LBB323_550:
	s_or_b32 exec_lo, exec_lo, s0
	s_and_saveexec_b32 s0, vcc_lo
	s_cbranch_execnz .LBB323_568
.LBB323_551:
	s_or_b32 exec_lo, exec_lo, s0
	s_and_saveexec_b32 s0, vcc_lo
	s_cbranch_execz .LBB323_553
.LBB323_552:
	ds_read_b32 v7, v5 offset:192
	s_waitcnt lgkmcnt(0)
	v_add_f32_e32 v1, v1, v7
.LBB323_553:
	s_or_b32 exec_lo, exec_lo, s0
.LBB323_554:
	s_or_b32 exec_lo, exec_lo, s1
	v_and_b32_e32 v7, 0x3e1, v0
	s_mov_b32 s1, exec_lo
	s_barrier
	buffer_gl0_inv
	v_cmpx_eq_u32_e32 32, v7
	s_cbranch_execz .LBB323_556
; %bb.555:
	ds_write2_b32 v6, v4, v3 offset1:16
	ds_write2_b32 v6, v2, v1 offset0:32 offset1:48
.LBB323_556:
	s_or_b32 exec_lo, exec_lo, s1
	s_mov_b32 s1, exec_lo
	s_waitcnt lgkmcnt(0)
	s_barrier
	buffer_gl0_inv
	v_cmpx_gt_u32_e32 32, v0
	s_cbranch_execz .LBB323_563
; %bb.557:
	s_and_saveexec_b32 s0, vcc_lo
	s_cbranch_execnz .LBB323_569
; %bb.558:
	s_or_b32 exec_lo, exec_lo, s0
	s_and_saveexec_b32 s0, vcc_lo
	s_cbranch_execnz .LBB323_570
.LBB323_559:
	s_or_b32 exec_lo, exec_lo, s0
	s_and_saveexec_b32 s0, vcc_lo
	s_cbranch_execnz .LBB323_571
.LBB323_560:
	s_or_b32 exec_lo, exec_lo, s0
	s_and_saveexec_b32 s0, vcc_lo
	s_cbranch_execz .LBB323_562
.LBB323_561:
	ds_read_b32 v0, v5 offset:192
	s_waitcnt lgkmcnt(0)
	v_add_f32_e32 v1, v1, v0
.LBB323_562:
	s_or_b32 exec_lo, exec_lo, s0
.LBB323_563:
	s_or_b32 exec_lo, exec_lo, s1
	s_barrier
	buffer_gl0_inv
	s_mov_b32 s0, exec_lo
	v_cmpx_eq_u32_e32 0, v7
	s_cbranch_execz .LBB323_565
; %bb.564:
	v_bfe_u32 v5, v4, 16, 1
	s_mul_i32 s0, s10, s11
	v_or_b32_e32 v6, 0x400000, v4
	s_mul_i32 s0, s0, s9
	v_bfe_u32 v7, v3, 16, 1
	v_add3_u32 v5, v5, v4, 0x7fff
	v_cmp_u_f32_e32 vcc_lo, v4, v4
	s_lshl_b32 s0, s0, 6
	v_bfe_u32 v8, v2, 16, 1
	s_ashr_i32 s1, s0, 31
	s_mul_i32 s2, s11, s24
	s_lshl_b64 s[0:1], s[0:1], 1
	v_cndmask_b32_e32 v4, v5, v6, vcc_lo
	v_add3_u32 v6, v7, v3, 0x7fff
	v_or_b32_e32 v7, 0x400000, v3
	v_cmp_u_f32_e32 vcc_lo, v3, v3
	s_add_u32 s4, s6, s0
	s_addc_u32 s5, s7, s1
	s_ashr_i32 s3, s2, 31
	v_bfe_u32 v5, v1, 16, 1
	s_lshl_b64 s[0:1], s[2:3], 1
	v_add3_u32 v8, v8, v2, 0x7fff
	v_or_b32_e32 v9, 0x400000, v2
	v_cndmask_b32_e32 v3, v6, v7, vcc_lo
	v_cmp_u_f32_e32 vcc_lo, v2, v2
	s_add_u32 s2, s4, s0
	s_addc_u32 s3, s5, s1
	s_lshl_b32 s0, s8, 6
	v_add3_u32 v5, v5, v1, 0x7fff
	s_ashr_i32 s1, s0, 31
	v_or_b32_e32 v10, 0x400000, v1
	v_cndmask_b32_e32 v2, v8, v9, vcc_lo
	v_cmp_u_f32_e32 vcc_lo, v1, v1
	v_lshlrev_b32_e32 v0, 1, v25
	s_lshl_b64 s[0:1], s[0:1], 1
	s_add_u32 s0, s2, s0
	s_addc_u32 s1, s3, s1
	v_cndmask_b32_e32 v1, v5, v10, vcc_lo
	global_store_short_d16_hi v0, v4, s[0:1]
	global_store_short_d16_hi v0, v3, s[0:1] offset:32
	global_store_short_d16_hi v0, v2, s[0:1] offset:64
	;; [unrolled: 1-line block ×3, first 2 shown]
.LBB323_565:
	s_endpgm
.LBB323_566:
	ds_read_b32 v7, v5
	s_waitcnt lgkmcnt(0)
	v_add_f32_e32 v4, v4, v7
	s_or_b32 exec_lo, exec_lo, s0
	s_and_saveexec_b32 s0, vcc_lo
	s_cbranch_execz .LBB323_550
.LBB323_567:
	ds_read_b32 v7, v5 offset:64
	s_waitcnt lgkmcnt(0)
	v_add_f32_e32 v3, v3, v7
	s_or_b32 exec_lo, exec_lo, s0
	s_and_saveexec_b32 s0, vcc_lo
	s_cbranch_execz .LBB323_551
.LBB323_568:
	ds_read_b32 v7, v5 offset:128
	s_waitcnt lgkmcnt(0)
	v_add_f32_e32 v2, v2, v7
	s_or_b32 exec_lo, exec_lo, s0
	s_and_saveexec_b32 s0, vcc_lo
	s_cbranch_execnz .LBB323_552
	s_branch .LBB323_553
.LBB323_569:
	ds_read_b32 v0, v5
	s_waitcnt lgkmcnt(0)
	v_add_f32_e32 v4, v4, v0
	s_or_b32 exec_lo, exec_lo, s0
	s_and_saveexec_b32 s0, vcc_lo
	s_cbranch_execz .LBB323_559
.LBB323_570:
	ds_read_b32 v0, v5 offset:64
	s_waitcnt lgkmcnt(0)
	v_add_f32_e32 v3, v3, v0
	s_or_b32 exec_lo, exec_lo, s0
	s_and_saveexec_b32 s0, vcc_lo
	s_cbranch_execz .LBB323_560
.LBB323_571:
	ds_read_b32 v0, v5 offset:128
	s_waitcnt lgkmcnt(0)
	v_add_f32_e32 v2, v2, v0
	s_or_b32 exec_lo, exec_lo, s0
	s_and_saveexec_b32 s0, vcc_lo
	s_cbranch_execnz .LBB323_561
	s_branch .LBB323_562
	.section	.rodata,"a",@progbits
	.p2align	6, 0x0
	.amdhsa_kernel _ZN4vllm25paged_attention_v1_kernelI14__hip_bfloat16hLi64ELi16ELi128ELNS_18Fp8KVCacheDataTypeE1ELb1EEEvPT_PKS3_PKT0_S9_ifPKiSB_iPKfiiiSD_SD_iiiii
		.amdhsa_group_segment_fixed_size 160
		.amdhsa_private_segment_fixed_size 0
		.amdhsa_kernarg_size 384
		.amdhsa_user_sgpr_count 6
		.amdhsa_user_sgpr_private_segment_buffer 1
		.amdhsa_user_sgpr_dispatch_ptr 0
		.amdhsa_user_sgpr_queue_ptr 0
		.amdhsa_user_sgpr_kernarg_segment_ptr 1
		.amdhsa_user_sgpr_dispatch_id 0
		.amdhsa_user_sgpr_flat_scratch_init 0
		.amdhsa_user_sgpr_private_segment_size 0
		.amdhsa_wavefront_size32 1
		.amdhsa_uses_dynamic_stack 0
		.amdhsa_system_sgpr_private_segment_wavefront_offset 0
		.amdhsa_system_sgpr_workgroup_id_x 1
		.amdhsa_system_sgpr_workgroup_id_y 1
		.amdhsa_system_sgpr_workgroup_id_z 1
		.amdhsa_system_sgpr_workgroup_info 0
		.amdhsa_system_vgpr_workitem_id 0
		.amdhsa_next_free_vgpr 96
		.amdhsa_next_free_sgpr 45
		.amdhsa_reserve_vcc 1
		.amdhsa_reserve_flat_scratch 0
		.amdhsa_float_round_mode_32 0
		.amdhsa_float_round_mode_16_64 0
		.amdhsa_float_denorm_mode_32 3
		.amdhsa_float_denorm_mode_16_64 3
		.amdhsa_dx10_clamp 1
		.amdhsa_ieee_mode 1
		.amdhsa_fp16_overflow 0
		.amdhsa_workgroup_processor_mode 1
		.amdhsa_memory_ordered 1
		.amdhsa_forward_progress 1
		.amdhsa_shared_vgpr_count 0
		.amdhsa_exception_fp_ieee_invalid_op 0
		.amdhsa_exception_fp_denorm_src 0
		.amdhsa_exception_fp_ieee_div_zero 0
		.amdhsa_exception_fp_ieee_overflow 0
		.amdhsa_exception_fp_ieee_underflow 0
		.amdhsa_exception_fp_ieee_inexact 0
		.amdhsa_exception_int_div_zero 0
	.end_amdhsa_kernel
	.section	.text._ZN4vllm25paged_attention_v1_kernelI14__hip_bfloat16hLi64ELi16ELi128ELNS_18Fp8KVCacheDataTypeE1ELb1EEEvPT_PKS3_PKT0_S9_ifPKiSB_iPKfiiiSD_SD_iiiii,"axG",@progbits,_ZN4vllm25paged_attention_v1_kernelI14__hip_bfloat16hLi64ELi16ELi128ELNS_18Fp8KVCacheDataTypeE1ELb1EEEvPT_PKS3_PKT0_S9_ifPKiSB_iPKfiiiSD_SD_iiiii,comdat
.Lfunc_end323:
	.size	_ZN4vllm25paged_attention_v1_kernelI14__hip_bfloat16hLi64ELi16ELi128ELNS_18Fp8KVCacheDataTypeE1ELb1EEEvPT_PKS3_PKT0_S9_ifPKiSB_iPKfiiiSD_SD_iiiii, .Lfunc_end323-_ZN4vllm25paged_attention_v1_kernelI14__hip_bfloat16hLi64ELi16ELi128ELNS_18Fp8KVCacheDataTypeE1ELb1EEEvPT_PKS3_PKT0_S9_ifPKiSB_iPKfiiiSD_SD_iiiii
                                        ; -- End function
	.set _ZN4vllm25paged_attention_v1_kernelI14__hip_bfloat16hLi64ELi16ELi128ELNS_18Fp8KVCacheDataTypeE1ELb1EEEvPT_PKS3_PKT0_S9_ifPKiSB_iPKfiiiSD_SD_iiiii.num_vgpr, 96
	.set _ZN4vllm25paged_attention_v1_kernelI14__hip_bfloat16hLi64ELi16ELi128ELNS_18Fp8KVCacheDataTypeE1ELb1EEEvPT_PKS3_PKT0_S9_ifPKiSB_iPKfiiiSD_SD_iiiii.num_agpr, 0
	.set _ZN4vllm25paged_attention_v1_kernelI14__hip_bfloat16hLi64ELi16ELi128ELNS_18Fp8KVCacheDataTypeE1ELb1EEEvPT_PKS3_PKT0_S9_ifPKiSB_iPKfiiiSD_SD_iiiii.numbered_sgpr, 45
	.set _ZN4vllm25paged_attention_v1_kernelI14__hip_bfloat16hLi64ELi16ELi128ELNS_18Fp8KVCacheDataTypeE1ELb1EEEvPT_PKS3_PKT0_S9_ifPKiSB_iPKfiiiSD_SD_iiiii.num_named_barrier, 0
	.set _ZN4vllm25paged_attention_v1_kernelI14__hip_bfloat16hLi64ELi16ELi128ELNS_18Fp8KVCacheDataTypeE1ELb1EEEvPT_PKS3_PKT0_S9_ifPKiSB_iPKfiiiSD_SD_iiiii.private_seg_size, 0
	.set _ZN4vllm25paged_attention_v1_kernelI14__hip_bfloat16hLi64ELi16ELi128ELNS_18Fp8KVCacheDataTypeE1ELb1EEEvPT_PKS3_PKT0_S9_ifPKiSB_iPKfiiiSD_SD_iiiii.uses_vcc, 1
	.set _ZN4vllm25paged_attention_v1_kernelI14__hip_bfloat16hLi64ELi16ELi128ELNS_18Fp8KVCacheDataTypeE1ELb1EEEvPT_PKS3_PKT0_S9_ifPKiSB_iPKfiiiSD_SD_iiiii.uses_flat_scratch, 0
	.set _ZN4vllm25paged_attention_v1_kernelI14__hip_bfloat16hLi64ELi16ELi128ELNS_18Fp8KVCacheDataTypeE1ELb1EEEvPT_PKS3_PKT0_S9_ifPKiSB_iPKfiiiSD_SD_iiiii.has_dyn_sized_stack, 0
	.set _ZN4vllm25paged_attention_v1_kernelI14__hip_bfloat16hLi64ELi16ELi128ELNS_18Fp8KVCacheDataTypeE1ELb1EEEvPT_PKS3_PKT0_S9_ifPKiSB_iPKfiiiSD_SD_iiiii.has_recursion, 0
	.set _ZN4vllm25paged_attention_v1_kernelI14__hip_bfloat16hLi64ELi16ELi128ELNS_18Fp8KVCacheDataTypeE1ELb1EEEvPT_PKS3_PKT0_S9_ifPKiSB_iPKfiiiSD_SD_iiiii.has_indirect_call, 0
	.section	.AMDGPU.csdata,"",@progbits
; Kernel info:
; codeLenInByte = 21764
; TotalNumSgprs: 47
; NumVgprs: 96
; ScratchSize: 0
; MemoryBound: 0
; FloatMode: 240
; IeeeMode: 1
; LDSByteSize: 160 bytes/workgroup (compile time only)
; SGPRBlocks: 0
; VGPRBlocks: 11
; NumSGPRsForWavesPerEU: 47
; NumVGPRsForWavesPerEU: 96
; Occupancy: 10
; WaveLimiterHint : 1
; COMPUTE_PGM_RSRC2:SCRATCH_EN: 0
; COMPUTE_PGM_RSRC2:USER_SGPR: 6
; COMPUTE_PGM_RSRC2:TRAP_HANDLER: 0
; COMPUTE_PGM_RSRC2:TGID_X_EN: 1
; COMPUTE_PGM_RSRC2:TGID_Y_EN: 1
; COMPUTE_PGM_RSRC2:TGID_Z_EN: 1
; COMPUTE_PGM_RSRC2:TIDIG_COMP_CNT: 0
	.section	.text._ZN4vllm25paged_attention_v1_kernelI14__hip_bfloat16hLi80ELi16ELi128ELNS_18Fp8KVCacheDataTypeE1ELb1EEEvPT_PKS3_PKT0_S9_ifPKiSB_iPKfiiiSD_SD_iiiii,"axG",@progbits,_ZN4vllm25paged_attention_v1_kernelI14__hip_bfloat16hLi80ELi16ELi128ELNS_18Fp8KVCacheDataTypeE1ELb1EEEvPT_PKS3_PKT0_S9_ifPKiSB_iPKfiiiSD_SD_iiiii,comdat
	.protected	_ZN4vllm25paged_attention_v1_kernelI14__hip_bfloat16hLi80ELi16ELi128ELNS_18Fp8KVCacheDataTypeE1ELb1EEEvPT_PKS3_PKT0_S9_ifPKiSB_iPKfiiiSD_SD_iiiii ; -- Begin function _ZN4vllm25paged_attention_v1_kernelI14__hip_bfloat16hLi80ELi16ELi128ELNS_18Fp8KVCacheDataTypeE1ELb1EEEvPT_PKS3_PKT0_S9_ifPKiSB_iPKfiiiSD_SD_iiiii
	.globl	_ZN4vllm25paged_attention_v1_kernelI14__hip_bfloat16hLi80ELi16ELi128ELNS_18Fp8KVCacheDataTypeE1ELb1EEEvPT_PKS3_PKT0_S9_ifPKiSB_iPKfiiiSD_SD_iiiii
	.p2align	8
	.type	_ZN4vllm25paged_attention_v1_kernelI14__hip_bfloat16hLi80ELi16ELi128ELNS_18Fp8KVCacheDataTypeE1ELb1EEEvPT_PKS3_PKT0_S9_ifPKiSB_iPKfiiiSD_SD_iiiii,@function
_ZN4vllm25paged_attention_v1_kernelI14__hip_bfloat16hLi80ELi16ELi128ELNS_18Fp8KVCacheDataTypeE1ELb1EEEvPT_PKS3_PKT0_S9_ifPKiSB_iPKfiiiSD_SD_iiiii: ; @_ZN4vllm25paged_attention_v1_kernelI14__hip_bfloat16hLi80ELi16ELi128ELNS_18Fp8KVCacheDataTypeE1ELb1EEEvPT_PKS3_PKT0_S9_ifPKiSB_iPKfiiiSD_SD_iiiii
; %bb.0:
	s_clause 0x2
	s_load_dword s9, s[4:5], 0x80
	s_load_dwordx2 s[0:1], s[4:5], 0x30
	s_load_dwordx2 s[34:35], s[4:5], 0x20
	s_mov_b32 s10, s7
	s_ashr_i32 s11, s7, 31
	s_mov_b32 s36, 0
	s_lshl_b64 s[2:3], s[10:11], 2
	s_waitcnt lgkmcnt(0)
	s_add_u32 s0, s0, s2
	s_addc_u32 s1, s1, s3
	s_abs_i32 s2, s34
	s_abs_i32 s11, s9
	v_cvt_f32_u32_e32 v1, s2
	s_sub_i32 s7, 0, s2
	v_rcp_iflag_f32_e32 v1, v1
	v_mul_f32_e32 v1, 0x4f7ffffe, v1
	v_cvt_u32_f32_e32 v1, v1
	v_readfirstlane_b32 s3, v1
	s_mul_i32 s7, s7, s3
	s_mul_hi_u32 s7, s3, s7
	s_add_i32 s3, s3, s7
	s_xor_b32 s7, s9, s34
	s_mul_hi_u32 s3, s11, s3
	s_ashr_i32 s7, s7, 31
	s_mul_i32 s12, s3, s2
	s_sub_i32 s11, s11, s12
	s_add_i32 s12, s3, 1
	s_sub_i32 s13, s11, s2
	s_cmp_ge_u32 s11, s2
	s_cselect_b32 s3, s12, s3
	s_cselect_b32 s11, s13, s11
	s_add_i32 s12, s3, 1
	s_cmp_ge_u32 s11, s2
	s_cselect_b32 s2, s12, s3
	s_xor_b32 s2, s2, s7
	s_sub_i32 s14, s2, s7
	s_load_dwordx2 s[2:3], s[4:5], 0x40
	s_abs_i32 s11, s14
	v_cvt_f32_u32_e32 v1, s11
	s_sub_i32 s12, 0, s11
	v_rcp_iflag_f32_e32 v1, v1
	v_mul_f32_e32 v1, 0x4f7ffffe, v1
	v_cvt_u32_f32_e32 v1, v1
	v_readfirstlane_b32 s7, v1
	s_mul_i32 s12, s12, s7
	s_mul_hi_u32 s13, s7, s12
	s_abs_i32 s12, s6
	s_add_i32 s7, s7, s13
	s_waitcnt lgkmcnt(0)
	s_cmp_eq_u64 s[2:3], 0
	s_mul_hi_u32 s13, s12, s7
	s_cbranch_scc1 .LBB324_2
; %bb.1:
	s_ashr_i32 s7, s6, 31
	s_lshl_b64 s[16:17], s[6:7], 2
	s_add_u32 s2, s2, s16
	s_addc_u32 s3, s3, s17
	s_load_dword s36, s[2:3], 0x0
.LBB324_2:
	s_load_dword s33, s[0:1], 0x0
	s_load_dwordx4 s[16:19], s[4:5], 0x48
	v_lshrrev_b32_e32 v29, 1, v0
	v_and_b32_e32 v30, 1, v0
	v_lshlrev_b32_e32 v33, 3, v0
	s_ashr_i32 s0, s6, 31
	s_ashr_i32 s1, s14, 31
	s_mul_i32 s24, s6, 0x50
	s_mov_b32 s2, exec_lo
	v_cmpx_gt_u32_e32 20, v0
	s_cbranch_execz .LBB324_4
; %bb.3:
	s_load_dwordx2 s[14:15], s[4:5], 0x8
	s_waitcnt lgkmcnt(0)
	s_mul_i32 s20, s16, s10
	v_lshlrev_b32_e32 v3, 3, v29
	s_ashr_i32 s21, s20, 31
	s_lshl_b64 s[20:21], s[20:21], 1
	v_mad_u32_u24 v3, 0x50, v30, v3
	s_add_u32 s3, s14, s20
	s_addc_u32 s7, s15, s21
	s_ashr_i32 s25, s24, 31
	s_lshl_b64 s[14:15], s[24:25], 1
	s_add_u32 s14, s3, s14
	s_addc_u32 s15, s7, s15
	global_load_dwordx2 v[1:2], v33, s[14:15]
	s_waitcnt vmcnt(0)
	ds_write_b64 v3, v[1:2]
.LBB324_4:
	s_or_b32 exec_lo, exec_lo, s2
	s_load_dwordx4 s[20:23], s[4:5], 0x68
	s_mul_i32 s2, s13, s11
	s_xor_b32 s1, s0, s1
	s_sub_i32 s0, s12, s2
	s_add_i32 s2, s13, 1
	s_sub_i32 s3, s0, s11
	s_cmp_ge_u32 s0, s11
	s_mov_b32 s12, -1
	s_cselect_b32 s2, s2, s13
	s_cselect_b32 s0, s3, s0
	s_add_i32 s3, s2, 1
	s_cmp_ge_u32 s0, s11
	s_load_dword s0, s[4:5], 0x78
	s_cselect_b32 s2, s3, s2
	s_waitcnt lgkmcnt(0)
	s_add_i32 s7, s33, -1
	s_xor_b32 s2, s2, s1
	s_abs_i32 s3, s7
	s_sub_i32 s1, s2, s1
	s_barrier
	s_abs_i32 s16, s23
	buffer_gl0_inv
	v_cvt_f32_u32_e32 v1, s16
	s_sub_i32 s2, 0, s16
                                        ; implicit-def: $sgpr25
	v_rcp_iflag_f32_e32 v1, v1
	v_mul_f32_e32 v1, 0x4f7ffffe, v1
	v_cvt_u32_f32_e32 v1, v1
	v_readfirstlane_b32 s19, v1
	s_mul_i32 s2, s2, s19
	s_mul_hi_u32 s2, s19, s2
	s_add_i32 s19, s19, s2
	s_cmp_lt_i32 s0, 0
	s_mul_hi_u32 s2, s3, s19
	s_cbranch_scc0 .LBB324_6
; %bb.5:
	s_mul_i32 s11, s20, s34
	s_mov_b32 s12, 0
	s_add_i32 s11, s1, s11
	s_mul_i32 s11, s11, s0
	s_sub_i32 s25, 1, s11
.LBB324_6:
	s_load_dwordx2 s[26:27], s[4:5], 0x28
	s_ashr_i32 s11, s7, 31
	s_andn2_b32 vcc_lo, exec_lo, s12
	s_ashr_i32 s23, s23, 31
	s_cbranch_vccnz .LBB324_8
; %bb.7:
	s_mul_i32 s7, s9, s20
	s_add_i32 s6, s7, s6
	s_mul_i32 s0, s6, s0
	s_add_i32 s25, s0, 1
.LBB324_8:
	s_clause 0x2
	s_load_dword s0, s[4:5], 0x38
	s_load_dwordx2 s[6:7], s[4:5], 0x0
	s_load_dwordx2 s[30:31], s[4:5], 0x18
	s_xor_b32 s34, s11, s23
	s_mul_i32 s11, s2, s16
	s_add_i32 s20, s2, 1
	s_sub_i32 s3, s3, s11
	s_clause 0x1
	s_load_dword s11, s[4:5], 0x88
	s_load_dwordx4 s[12:15], s[4:5], 0x58
	v_lshrrev_b32_e32 v31, 5, v0
	v_mov_b32_e32 v38, 0xff7fffff
	v_lshrrev_b32_e32 v34, 3, v0
	v_mbcnt_lo_u32_b32 v35, -1, 0
	s_mul_i32 s18, s1, s18
	v_lshlrev_b32_e32 v32, 4, v31
	s_waitcnt lgkmcnt(0)
	s_mul_i32 s28, s0, s10
	s_sub_i32 s0, s3, s16
	s_ashr_i32 s29, s28, 31
	s_cmp_ge_u32 s3, s16
	s_cselect_b32 s2, s20, s2
	s_cselect_b32 s0, s0, s3
	s_add_i32 s3, s2, 1
	s_cmp_ge_u32 s0, s16
	s_cselect_b32 s0, s3, s2
	s_add_i32 s2, s33, 15
	s_ashr_i32 s3, s2, 31
	s_lshr_b32 s3, s3, 28
	s_add_i32 s2, s2, s3
	s_ashr_i32 s20, s2, 4
	s_xor_b32 s2, s0, s34
	v_cmp_gt_i32_e64 s0, s20, v31
	s_sub_i32 s34, s2, s34
	s_and_saveexec_b32 s37, s0
	s_cbranch_execz .LBB324_340
; %bb.9:
	s_load_dwordx2 s[2:3], s[4:5], 0x10
	s_sub_i32 s4, s34, s21
	s_ashr_i32 s1, s18, 31
	v_bfe_u32 v36, v0, 1, 4
	v_and_b32_e32 v3, 0x7c, v34
	v_lshlrev_b32_e32 v2, 2, v30
	v_mov_b32_e32 v22, 0
	v_mul_u32_u24_e32 v37, 0x50, v30
	v_lshlrev_b32_e32 v4, 2, v36
	v_subrev_nc_u32_e32 v5, s33, v36
	v_lshlrev_b32_e32 v6, 4, v36
	v_lshlrev_b32_e32 v39, 4, v31
	v_mov_b32_e32 v40, 0xff7fffff
	v_lshl_or_b32 v4, v31, 6, v4
	v_add_nc_u32_e32 v46, 1, v5
	v_mov_b32_e32 v41, 0x80
	v_mov_b32_e32 v42, 0xffff
	;; [unrolled: 1-line block ×3, first 2 shown]
	v_add_nc_u32_e32 v47, 0xc0, v4
	v_mov_b32_e32 v44, 7
	s_waitcnt lgkmcnt(0)
	s_add_u32 s38, s2, s18
	s_addc_u32 s39, s3, s1
	s_abs_i32 s5, s22
	v_add_co_u32 v5, s38, s38, v6
	v_cvt_f32_u32_e32 v1, s5
	s_sub_i32 s2, 0, s5
	v_add_co_ci_u32_e64 v6, null, s39, 0, s38
	v_cmp_neq_f32_e64 s1, s36, 0
	v_rcp_iflag_f32_e32 v1, v1
	v_mov_b32_e32 v45, 24
	v_mov_b32_e32 v38, 0xff7fffff
	;; [unrolled: 1-line block ×3, first 2 shown]
	s_mov_b32 s38, 0
	s_mov_b32 s39, s17
	v_cmp_eq_u32_e32 vcc_lo, 0, v30
	v_mul_f32_e32 v1, 0x4f7ffffe, v1
	v_cvt_u32_f32_e32 v1, v1
	v_mul_lo_u32 v4, s2, v1
	s_lshl_b64 s[2:3], s[28:29], 2
	s_add_u32 s2, s26, s2
	s_addc_u32 s3, s27, s3
	v_add_co_u32 v23, s2, s2, v3
	v_add_co_ci_u32_e64 v24, null, s3, 0, s2
	v_mul_hi_u32 v4, v1, v4
	v_add_co_u32 v25, s2, v5, v2
	v_add_co_ci_u32_e64 v26, null, 0, v6, s2
	v_add_nc_u32_e32 v48, v1, v4
	s_branch .LBB324_12
.LBB324_10:                             ;   in Loop: Header=BB324_12 Depth=1
	s_or_b32 exec_lo, exec_lo, s40
.LBB324_11:                             ;   in Loop: Header=BB324_12 Depth=1
	s_or_b32 exec_lo, exec_lo, s3
	v_add_nc_u32_e32 v49, 4, v49
	v_add_co_u32 v23, s3, v23, 16
	v_add_co_ci_u32_e64 v24, null, 0, v24, s3
	v_cmp_le_i32_e64 s2, s20, v49
	v_add_nc_u32_e32 v39, 64, v39
	v_add_nc_u32_e32 v47, 0x100, v47
	s_or_b32 s38, s2, s38
	s_andn2_b32 exec_lo, exec_lo, s38
	s_cbranch_execz .LBB324_339
.LBB324_12:                             ; =>This Inner Loop Header: Depth=1
	v_mul_hi_u32 v1, v39, s19
	s_waitcnt lgkmcnt(0)
	v_mul_lo_u32 v2, v1, s16
	v_add_nc_u32_e32 v3, 1, v1
	v_sub_nc_u32_e32 v2, v39, v2
	v_subrev_nc_u32_e32 v4, s16, v2
	v_cmp_le_u32_e64 s2, s16, v2
	v_cndmask_b32_e64 v1, v1, v3, s2
	v_cndmask_b32_e64 v2, v2, v4, s2
	v_add_nc_u32_e32 v3, 1, v1
	v_cmp_le_u32_e64 s2, s16, v2
	v_cndmask_b32_e64 v1, v1, v3, s2
	v_xor_b32_e32 v1, s23, v1
	v_subrev_nc_u32_e32 v1, s23, v1
	v_add_nc_u32_e32 v2, s25, v1
	v_cmp_ge_i32_e64 s3, s4, v1
	v_sub_nc_u32_e32 v3, 0, v2
	v_max_i32_e32 v3, v2, v3
	v_ashrrev_i32_e32 v2, 31, v2
	v_mul_hi_u32 v4, v3, v48
	v_mul_lo_u32 v4, v4, s5
	v_sub_nc_u32_e32 v3, v3, v4
	v_subrev_nc_u32_e32 v4, s5, v3
	v_cmp_le_u32_e64 s2, s5, v3
	v_cndmask_b32_e64 v3, v3, v4, s2
	v_subrev_nc_u32_e32 v4, s5, v3
	v_cmp_le_u32_e64 s2, s5, v3
	v_cndmask_b32_e64 v3, v3, v4, s2
	v_xor_b32_e32 v3, v3, v2
	v_sub_nc_u32_e32 v2, v3, v2
	v_cmp_ne_u32_e64 s2, 0, v2
	s_and_b32 s2, s2, s3
	s_and_saveexec_b32 s3, s2
	s_xor_b32 s2, exec_lo, s3
	s_cbranch_execz .LBB324_16
; %bb.13:                               ;   in Loop: Header=BB324_12 Depth=1
	s_and_saveexec_b32 s3, vcc_lo
; %bb.14:                               ;   in Loop: Header=BB324_12 Depth=1
	ds_write_b32 v47, v40
; %bb.15:                               ;   in Loop: Header=BB324_12 Depth=1
	s_or_b32 exec_lo, exec_lo, s3
.LBB324_16:                             ;   in Loop: Header=BB324_12 Depth=1
	s_andn2_saveexec_b32 s3, s2
	s_cbranch_execz .LBB324_11
; %bb.17:                               ;   in Loop: Header=BB324_12 Depth=1
	global_load_dword v1, v[23:24], off
	v_mov_b32_e32 v51, 0
	v_mov_b32_e32 v50, 0
	s_waitcnt vmcnt(0)
	v_mad_i64_i32 v[27:28], null, v1, s39, v[25:26]
	global_load_dword v54, v[27:28], off
	ds_read_b128 v[17:20], v37
	ds_read_b128 v[13:16], v37 offset:16
	ds_read_b128 v[9:12], v37 offset:32
	;; [unrolled: 1-line block ×4, first 2 shown]
	s_load_dword s40, s[12:13], 0x0
	s_waitcnt vmcnt(0)
	v_cmp_ne_u16_sdwa s2, v54, v22 src0_sel:BYTE_0 src1_sel:DWORD
	s_and_saveexec_b32 s41, s2
	s_cbranch_execz .LBB324_25
; %bb.18:                               ;   in Loop: Header=BB324_12 Depth=1
	v_cmp_ne_u16_sdwa s2, v54, v41 src0_sel:BYTE_0 src1_sel:DWORD
	v_bfrev_b32_e32 v50, 1
	s_and_saveexec_b32 s42, s2
	s_cbranch_execz .LBB324_24
; %bb.19:                               ;   in Loop: Header=BB324_12 Depth=1
	v_and_b32_e32 v52, 0x7f, v54
	v_mov_b32_e32 v50, 0x7f800001
	s_mov_b32 s43, exec_lo
	v_cmpx_ne_u32_e32 0x7f, v52
	s_cbranch_execz .LBB324_23
; %bb.20:                               ;   in Loop: Header=BB324_12 Depth=1
	v_and_b32_e32 v21, 7, v54
	v_lshrrev_b32_e32 v50, 3, v52
	s_mov_b32 s44, exec_lo
	v_cmpx_gt_u32_e32 8, v52
; %bb.21:                               ;   in Loop: Header=BB324_12 Depth=1
	v_ffbh_u32_e32 v50, v21
	v_min_u32_e32 v50, 32, v50
	v_subrev_nc_u32_e32 v52, 28, v50
	v_sub_nc_u32_e32 v50, 29, v50
	v_lshlrev_b64 v[52:53], v52, v[21:22]
	v_and_b32_e32 v21, 7, v52
; %bb.22:                               ;   in Loop: Header=BB324_12 Depth=1
	s_or_b32 exec_lo, exec_lo, s44
	v_lshlrev_b32_e32 v52, 24, v54
	v_lshlrev_b32_e32 v21, 20, v21
	v_lshl_add_u32 v50, v50, 23, 0x3c000000
	v_and_b32_e32 v52, 0x80000000, v52
	v_or3_b32 v50, v21, v52, v50
.LBB324_23:                             ;   in Loop: Header=BB324_12 Depth=1
	s_or_b32 exec_lo, exec_lo, s43
.LBB324_24:                             ;   in Loop: Header=BB324_12 Depth=1
	s_or_b32 exec_lo, exec_lo, s42
.LBB324_25:                             ;   in Loop: Header=BB324_12 Depth=1
	s_or_b32 exec_lo, exec_lo, s41
	v_cmp_ne_u16_sdwa s2, v54, v22 src0_sel:BYTE_1 src1_sel:DWORD
	s_and_saveexec_b32 s41, s2
	s_cbranch_execz .LBB324_33
; %bb.26:                               ;   in Loop: Header=BB324_12 Depth=1
	v_cmp_ne_u16_sdwa s2, v54, v41 src0_sel:BYTE_1 src1_sel:DWORD
	v_bfrev_b32_e32 v51, 1
	s_and_saveexec_b32 s42, s2
	s_cbranch_execz .LBB324_32
; %bb.27:                               ;   in Loop: Header=BB324_12 Depth=1
	v_and_b32_sdwa v21, v42, v54 dst_sel:DWORD dst_unused:UNUSED_PAD src0_sel:DWORD src1_sel:BYTE_1
	v_mov_b32_e32 v51, 0x7f800001
	s_mov_b32 s43, exec_lo
	v_and_b32_e32 v52, 0x7f, v21
	v_cmpx_ne_u32_e32 0x7f, v52
	s_cbranch_execz .LBB324_31
; %bb.28:                               ;   in Loop: Header=BB324_12 Depth=1
	v_and_b32_e32 v21, 7, v21
	v_lshrrev_b32_e32 v51, 3, v52
	s_mov_b32 s44, exec_lo
	v_cmpx_gt_u32_e32 8, v52
; %bb.29:                               ;   in Loop: Header=BB324_12 Depth=1
	v_ffbh_u32_e32 v51, v21
	v_min_u32_e32 v51, 32, v51
	v_subrev_nc_u32_e32 v52, 28, v51
	v_sub_nc_u32_e32 v51, 29, v51
	v_lshlrev_b64 v[52:53], v52, v[21:22]
	v_and_b32_e32 v21, 7, v52
; %bb.30:                               ;   in Loop: Header=BB324_12 Depth=1
	s_or_b32 exec_lo, exec_lo, s44
	v_lshlrev_b32_e32 v52, 16, v54
	v_lshlrev_b32_e32 v21, 20, v21
	v_lshl_add_u32 v51, v51, 23, 0x3c000000
	v_and_b32_e32 v52, 0x80000000, v52
	v_or3_b32 v51, v21, v52, v51
.LBB324_31:                             ;   in Loop: Header=BB324_12 Depth=1
	s_or_b32 exec_lo, exec_lo, s43
.LBB324_32:                             ;   in Loop: Header=BB324_12 Depth=1
	s_or_b32 exec_lo, exec_lo, s42
.LBB324_33:                             ;   in Loop: Header=BB324_12 Depth=1
	s_or_b32 exec_lo, exec_lo, s41
	v_and_b32_sdwa v21, v54, v43 dst_sel:DWORD dst_unused:UNUSED_PAD src0_sel:WORD_1 src1_sel:DWORD
	v_mov_b32_e32 v52, 0
	v_mov_b32_e32 v53, 0
	s_mov_b32 s41, exec_lo
	v_cmpx_ne_u16_e32 0, v21
	s_cbranch_execz .LBB324_41
; %bb.34:                               ;   in Loop: Header=BB324_12 Depth=1
	v_bfrev_b32_e32 v53, 1
	s_mov_b32 s42, exec_lo
	v_cmpx_ne_u16_e32 0x80, v21
	s_cbranch_execz .LBB324_40
; %bb.35:                               ;   in Loop: Header=BB324_12 Depth=1
	v_bfe_u32 v55, v54, 16, 7
	v_mov_b32_e32 v53, 0x7f800001
	s_mov_b32 s43, exec_lo
	v_cmpx_ne_u32_e32 0x7f, v55
	s_cbranch_execz .LBB324_39
; %bb.36:                               ;   in Loop: Header=BB324_12 Depth=1
	v_and_b32_sdwa v21, v54, v44 dst_sel:DWORD dst_unused:UNUSED_PAD src0_sel:WORD_1 src1_sel:DWORD
	v_lshrrev_b32_e32 v53, 3, v55
	s_mov_b32 s44, exec_lo
	v_cmpx_gt_u32_e32 8, v55
; %bb.37:                               ;   in Loop: Header=BB324_12 Depth=1
	v_ffbh_u32_e32 v53, v21
	v_min_u32_e32 v53, 32, v53
	v_subrev_nc_u32_e32 v55, 28, v53
	v_sub_nc_u32_e32 v53, 29, v53
	v_lshlrev_b64 v[55:56], v55, v[21:22]
	v_and_b32_e32 v21, 7, v55
; %bb.38:                               ;   in Loop: Header=BB324_12 Depth=1
	s_or_b32 exec_lo, exec_lo, s44
	v_lshlrev_b32_sdwa v55, v45, v54 dst_sel:DWORD dst_unused:UNUSED_PAD src0_sel:DWORD src1_sel:WORD_1
	v_lshlrev_b32_e32 v21, 20, v21
	v_lshl_add_u32 v53, v53, 23, 0x3c000000
	v_and_b32_e32 v55, 0x80000000, v55
	v_or3_b32 v53, v21, v55, v53
.LBB324_39:                             ;   in Loop: Header=BB324_12 Depth=1
	s_or_b32 exec_lo, exec_lo, s43
.LBB324_40:                             ;   in Loop: Header=BB324_12 Depth=1
	s_or_b32 exec_lo, exec_lo, s42
.LBB324_41:                             ;   in Loop: Header=BB324_12 Depth=1
	s_or_b32 exec_lo, exec_lo, s41
	s_mov_b32 s41, exec_lo
	v_cmpx_lt_u32_e32 0xffffff, v54
	s_cbranch_execz .LBB324_49
; %bb.42:                               ;   in Loop: Header=BB324_12 Depth=1
	v_cmp_ne_u32_sdwa s2, v54, v41 src0_sel:BYTE_3 src1_sel:DWORD
	v_bfrev_b32_e32 v52, 1
	s_and_saveexec_b32 s42, s2
	s_cbranch_execz .LBB324_48
; %bb.43:                               ;   in Loop: Header=BB324_12 Depth=1
	v_bfe_u32 v55, v54, 24, 7
	v_mov_b32_e32 v52, 0x7f800001
	s_mov_b32 s43, exec_lo
	v_cmpx_ne_u32_e32 0x7f, v55
	s_cbranch_execz .LBB324_47
; %bb.44:                               ;   in Loop: Header=BB324_12 Depth=1
	v_and_b32_sdwa v21, v54, v44 dst_sel:DWORD dst_unused:UNUSED_PAD src0_sel:BYTE_3 src1_sel:DWORD
	v_lshrrev_b32_e32 v52, 3, v55
	s_mov_b32 s44, exec_lo
	v_cmpx_gt_u32_e32 8, v55
; %bb.45:                               ;   in Loop: Header=BB324_12 Depth=1
	v_ffbh_u32_e32 v52, v21
	v_min_u32_e32 v52, 32, v52
	v_subrev_nc_u32_e32 v55, 28, v52
	v_sub_nc_u32_e32 v52, 29, v52
	v_lshlrev_b64 v[55:56], v55, v[21:22]
	v_and_b32_e32 v21, 7, v55
; %bb.46:                               ;   in Loop: Header=BB324_12 Depth=1
	s_or_b32 exec_lo, exec_lo, s44
	v_lshlrev_b32_sdwa v54, v45, v54 dst_sel:DWORD dst_unused:UNUSED_PAD src0_sel:DWORD src1_sel:BYTE_3
	v_lshlrev_b32_e32 v21, 20, v21
	v_lshl_add_u32 v52, v52, 23, 0x3c000000
	v_and_b32_e32 v54, 0x80000000, v54
	v_or3_b32 v52, v21, v54, v52
.LBB324_47:                             ;   in Loop: Header=BB324_12 Depth=1
	s_or_b32 exec_lo, exec_lo, s43
.LBB324_48:                             ;   in Loop: Header=BB324_12 Depth=1
	s_or_b32 exec_lo, exec_lo, s42
.LBB324_49:                             ;   in Loop: Header=BB324_12 Depth=1
	s_or_b32 exec_lo, exec_lo, s41
	global_load_dword v58, v[27:28], off offset:8
	v_mov_b32_e32 v55, 0
	v_mov_b32_e32 v54, 0
	s_waitcnt vmcnt(0)
	v_cmp_ne_u16_sdwa s2, v58, v22 src0_sel:BYTE_0 src1_sel:DWORD
	s_and_saveexec_b32 s41, s2
	s_cbranch_execz .LBB324_57
; %bb.50:                               ;   in Loop: Header=BB324_12 Depth=1
	v_cmp_ne_u16_sdwa s2, v58, v41 src0_sel:BYTE_0 src1_sel:DWORD
	v_bfrev_b32_e32 v54, 1
	s_and_saveexec_b32 s42, s2
	s_cbranch_execz .LBB324_56
; %bb.51:                               ;   in Loop: Header=BB324_12 Depth=1
	v_and_b32_e32 v56, 0x7f, v58
	v_mov_b32_e32 v54, 0x7f800001
	s_mov_b32 s43, exec_lo
	v_cmpx_ne_u32_e32 0x7f, v56
	s_cbranch_execz .LBB324_55
; %bb.52:                               ;   in Loop: Header=BB324_12 Depth=1
	v_and_b32_e32 v21, 7, v58
	v_lshrrev_b32_e32 v54, 3, v56
	s_mov_b32 s44, exec_lo
	v_cmpx_gt_u32_e32 8, v56
; %bb.53:                               ;   in Loop: Header=BB324_12 Depth=1
	v_ffbh_u32_e32 v54, v21
	v_min_u32_e32 v54, 32, v54
	v_subrev_nc_u32_e32 v56, 28, v54
	v_sub_nc_u32_e32 v54, 29, v54
	v_lshlrev_b64 v[56:57], v56, v[21:22]
	v_and_b32_e32 v21, 7, v56
; %bb.54:                               ;   in Loop: Header=BB324_12 Depth=1
	s_or_b32 exec_lo, exec_lo, s44
	v_lshlrev_b32_e32 v56, 24, v58
	v_lshlrev_b32_e32 v21, 20, v21
	v_lshl_add_u32 v54, v54, 23, 0x3c000000
	v_and_b32_e32 v56, 0x80000000, v56
	v_or3_b32 v54, v21, v56, v54
.LBB324_55:                             ;   in Loop: Header=BB324_12 Depth=1
	s_or_b32 exec_lo, exec_lo, s43
.LBB324_56:                             ;   in Loop: Header=BB324_12 Depth=1
	s_or_b32 exec_lo, exec_lo, s42
.LBB324_57:                             ;   in Loop: Header=BB324_12 Depth=1
	s_or_b32 exec_lo, exec_lo, s41
	v_cmp_ne_u16_sdwa s2, v58, v22 src0_sel:BYTE_1 src1_sel:DWORD
	s_and_saveexec_b32 s41, s2
	s_cbranch_execz .LBB324_65
; %bb.58:                               ;   in Loop: Header=BB324_12 Depth=1
	v_cmp_ne_u16_sdwa s2, v58, v41 src0_sel:BYTE_1 src1_sel:DWORD
	v_bfrev_b32_e32 v55, 1
	s_and_saveexec_b32 s42, s2
	s_cbranch_execz .LBB324_64
; %bb.59:                               ;   in Loop: Header=BB324_12 Depth=1
	v_and_b32_sdwa v21, v42, v58 dst_sel:DWORD dst_unused:UNUSED_PAD src0_sel:DWORD src1_sel:BYTE_1
	v_mov_b32_e32 v55, 0x7f800001
	s_mov_b32 s43, exec_lo
	v_and_b32_e32 v56, 0x7f, v21
	v_cmpx_ne_u32_e32 0x7f, v56
	s_cbranch_execz .LBB324_63
; %bb.60:                               ;   in Loop: Header=BB324_12 Depth=1
	v_and_b32_e32 v21, 7, v21
	v_lshrrev_b32_e32 v55, 3, v56
	s_mov_b32 s44, exec_lo
	v_cmpx_gt_u32_e32 8, v56
; %bb.61:                               ;   in Loop: Header=BB324_12 Depth=1
	v_ffbh_u32_e32 v55, v21
	v_min_u32_e32 v55, 32, v55
	v_subrev_nc_u32_e32 v56, 28, v55
	v_sub_nc_u32_e32 v55, 29, v55
	v_lshlrev_b64 v[56:57], v56, v[21:22]
	v_and_b32_e32 v21, 7, v56
; %bb.62:                               ;   in Loop: Header=BB324_12 Depth=1
	s_or_b32 exec_lo, exec_lo, s44
	v_lshlrev_b32_e32 v56, 16, v58
	v_lshlrev_b32_e32 v21, 20, v21
	v_lshl_add_u32 v55, v55, 23, 0x3c000000
	v_and_b32_e32 v56, 0x80000000, v56
	v_or3_b32 v55, v21, v56, v55
.LBB324_63:                             ;   in Loop: Header=BB324_12 Depth=1
	s_or_b32 exec_lo, exec_lo, s43
.LBB324_64:                             ;   in Loop: Header=BB324_12 Depth=1
	s_or_b32 exec_lo, exec_lo, s42
.LBB324_65:                             ;   in Loop: Header=BB324_12 Depth=1
	s_or_b32 exec_lo, exec_lo, s41
	v_and_b32_sdwa v21, v58, v43 dst_sel:DWORD dst_unused:UNUSED_PAD src0_sel:WORD_1 src1_sel:DWORD
	v_mov_b32_e32 v56, 0
	v_mov_b32_e32 v57, 0
	s_mov_b32 s41, exec_lo
	v_cmpx_ne_u16_e32 0, v21
	s_cbranch_execz .LBB324_73
; %bb.66:                               ;   in Loop: Header=BB324_12 Depth=1
	v_bfrev_b32_e32 v57, 1
	s_mov_b32 s42, exec_lo
	v_cmpx_ne_u16_e32 0x80, v21
	s_cbranch_execz .LBB324_72
; %bb.67:                               ;   in Loop: Header=BB324_12 Depth=1
	v_bfe_u32 v59, v58, 16, 7
	v_mov_b32_e32 v57, 0x7f800001
	s_mov_b32 s43, exec_lo
	v_cmpx_ne_u32_e32 0x7f, v59
	s_cbranch_execz .LBB324_71
; %bb.68:                               ;   in Loop: Header=BB324_12 Depth=1
	v_and_b32_sdwa v21, v58, v44 dst_sel:DWORD dst_unused:UNUSED_PAD src0_sel:WORD_1 src1_sel:DWORD
	v_lshrrev_b32_e32 v57, 3, v59
	s_mov_b32 s44, exec_lo
	v_cmpx_gt_u32_e32 8, v59
; %bb.69:                               ;   in Loop: Header=BB324_12 Depth=1
	v_ffbh_u32_e32 v57, v21
	v_min_u32_e32 v57, 32, v57
	v_subrev_nc_u32_e32 v59, 28, v57
	v_sub_nc_u32_e32 v57, 29, v57
	v_lshlrev_b64 v[59:60], v59, v[21:22]
	v_and_b32_e32 v21, 7, v59
; %bb.70:                               ;   in Loop: Header=BB324_12 Depth=1
	s_or_b32 exec_lo, exec_lo, s44
	v_lshlrev_b32_sdwa v59, v45, v58 dst_sel:DWORD dst_unused:UNUSED_PAD src0_sel:DWORD src1_sel:WORD_1
	v_lshlrev_b32_e32 v21, 20, v21
	v_lshl_add_u32 v57, v57, 23, 0x3c000000
	v_and_b32_e32 v59, 0x80000000, v59
	v_or3_b32 v57, v21, v59, v57
.LBB324_71:                             ;   in Loop: Header=BB324_12 Depth=1
	s_or_b32 exec_lo, exec_lo, s43
.LBB324_72:                             ;   in Loop: Header=BB324_12 Depth=1
	s_or_b32 exec_lo, exec_lo, s42
.LBB324_73:                             ;   in Loop: Header=BB324_12 Depth=1
	s_or_b32 exec_lo, exec_lo, s41
	s_mov_b32 s41, exec_lo
	v_cmpx_lt_u32_e32 0xffffff, v58
	s_cbranch_execz .LBB324_81
; %bb.74:                               ;   in Loop: Header=BB324_12 Depth=1
	v_cmp_ne_u32_sdwa s2, v58, v41 src0_sel:BYTE_3 src1_sel:DWORD
	v_bfrev_b32_e32 v56, 1
	s_and_saveexec_b32 s42, s2
	s_cbranch_execz .LBB324_80
; %bb.75:                               ;   in Loop: Header=BB324_12 Depth=1
	v_bfe_u32 v59, v58, 24, 7
	v_mov_b32_e32 v56, 0x7f800001
	s_mov_b32 s43, exec_lo
	v_cmpx_ne_u32_e32 0x7f, v59
	s_cbranch_execz .LBB324_79
; %bb.76:                               ;   in Loop: Header=BB324_12 Depth=1
	v_and_b32_sdwa v21, v58, v44 dst_sel:DWORD dst_unused:UNUSED_PAD src0_sel:BYTE_3 src1_sel:DWORD
	v_lshrrev_b32_e32 v56, 3, v59
	s_mov_b32 s44, exec_lo
	v_cmpx_gt_u32_e32 8, v59
; %bb.77:                               ;   in Loop: Header=BB324_12 Depth=1
	v_ffbh_u32_e32 v56, v21
	v_min_u32_e32 v56, 32, v56
	v_subrev_nc_u32_e32 v59, 28, v56
	v_sub_nc_u32_e32 v56, 29, v56
	v_lshlrev_b64 v[59:60], v59, v[21:22]
	v_and_b32_e32 v21, 7, v59
; %bb.78:                               ;   in Loop: Header=BB324_12 Depth=1
	s_or_b32 exec_lo, exec_lo, s44
	v_lshlrev_b32_sdwa v58, v45, v58 dst_sel:DWORD dst_unused:UNUSED_PAD src0_sel:DWORD src1_sel:BYTE_3
	v_lshlrev_b32_e32 v21, 20, v21
	v_lshl_add_u32 v56, v56, 23, 0x3c000000
	v_and_b32_e32 v58, 0x80000000, v58
	v_or3_b32 v56, v21, v58, v56
.LBB324_79:                             ;   in Loop: Header=BB324_12 Depth=1
	s_or_b32 exec_lo, exec_lo, s43
.LBB324_80:                             ;   in Loop: Header=BB324_12 Depth=1
	s_or_b32 exec_lo, exec_lo, s42
.LBB324_81:                             ;   in Loop: Header=BB324_12 Depth=1
	s_or_b32 exec_lo, exec_lo, s41
	global_load_dword v62, v[27:28], off offset:256
	v_mov_b32_e32 v59, 0
	v_mov_b32_e32 v58, 0
	s_waitcnt vmcnt(0)
	v_cmp_ne_u16_sdwa s2, v62, v22 src0_sel:BYTE_0 src1_sel:DWORD
	s_and_saveexec_b32 s41, s2
	s_cbranch_execz .LBB324_89
; %bb.82:                               ;   in Loop: Header=BB324_12 Depth=1
	v_cmp_ne_u16_sdwa s2, v62, v41 src0_sel:BYTE_0 src1_sel:DWORD
	v_bfrev_b32_e32 v58, 1
	s_and_saveexec_b32 s42, s2
	s_cbranch_execz .LBB324_88
; %bb.83:                               ;   in Loop: Header=BB324_12 Depth=1
	v_and_b32_e32 v60, 0x7f, v62
	v_mov_b32_e32 v58, 0x7f800001
	s_mov_b32 s43, exec_lo
	v_cmpx_ne_u32_e32 0x7f, v60
	s_cbranch_execz .LBB324_87
; %bb.84:                               ;   in Loop: Header=BB324_12 Depth=1
	v_and_b32_e32 v21, 7, v62
	v_lshrrev_b32_e32 v58, 3, v60
	s_mov_b32 s44, exec_lo
	v_cmpx_gt_u32_e32 8, v60
; %bb.85:                               ;   in Loop: Header=BB324_12 Depth=1
	v_ffbh_u32_e32 v58, v21
	v_min_u32_e32 v58, 32, v58
	v_subrev_nc_u32_e32 v60, 28, v58
	v_sub_nc_u32_e32 v58, 29, v58
	v_lshlrev_b64 v[60:61], v60, v[21:22]
	v_and_b32_e32 v21, 7, v60
; %bb.86:                               ;   in Loop: Header=BB324_12 Depth=1
	s_or_b32 exec_lo, exec_lo, s44
	v_lshlrev_b32_e32 v60, 24, v62
	v_lshlrev_b32_e32 v21, 20, v21
	v_lshl_add_u32 v58, v58, 23, 0x3c000000
	v_and_b32_e32 v60, 0x80000000, v60
	v_or3_b32 v58, v21, v60, v58
.LBB324_87:                             ;   in Loop: Header=BB324_12 Depth=1
	s_or_b32 exec_lo, exec_lo, s43
.LBB324_88:                             ;   in Loop: Header=BB324_12 Depth=1
	s_or_b32 exec_lo, exec_lo, s42
.LBB324_89:                             ;   in Loop: Header=BB324_12 Depth=1
	s_or_b32 exec_lo, exec_lo, s41
	v_cmp_ne_u16_sdwa s2, v62, v22 src0_sel:BYTE_1 src1_sel:DWORD
	s_and_saveexec_b32 s41, s2
	s_cbranch_execz .LBB324_97
; %bb.90:                               ;   in Loop: Header=BB324_12 Depth=1
	v_cmp_ne_u16_sdwa s2, v62, v41 src0_sel:BYTE_1 src1_sel:DWORD
	v_bfrev_b32_e32 v59, 1
	s_and_saveexec_b32 s42, s2
	s_cbranch_execz .LBB324_96
; %bb.91:                               ;   in Loop: Header=BB324_12 Depth=1
	v_and_b32_sdwa v21, v42, v62 dst_sel:DWORD dst_unused:UNUSED_PAD src0_sel:DWORD src1_sel:BYTE_1
	v_mov_b32_e32 v59, 0x7f800001
	s_mov_b32 s43, exec_lo
	v_and_b32_e32 v60, 0x7f, v21
	v_cmpx_ne_u32_e32 0x7f, v60
	s_cbranch_execz .LBB324_95
; %bb.92:                               ;   in Loop: Header=BB324_12 Depth=1
	v_and_b32_e32 v21, 7, v21
	v_lshrrev_b32_e32 v59, 3, v60
	s_mov_b32 s44, exec_lo
	v_cmpx_gt_u32_e32 8, v60
; %bb.93:                               ;   in Loop: Header=BB324_12 Depth=1
	v_ffbh_u32_e32 v59, v21
	v_min_u32_e32 v59, 32, v59
	v_subrev_nc_u32_e32 v60, 28, v59
	v_sub_nc_u32_e32 v59, 29, v59
	v_lshlrev_b64 v[60:61], v60, v[21:22]
	v_and_b32_e32 v21, 7, v60
; %bb.94:                               ;   in Loop: Header=BB324_12 Depth=1
	s_or_b32 exec_lo, exec_lo, s44
	v_lshlrev_b32_e32 v60, 16, v62
	v_lshlrev_b32_e32 v21, 20, v21
	v_lshl_add_u32 v59, v59, 23, 0x3c000000
	v_and_b32_e32 v60, 0x80000000, v60
	v_or3_b32 v59, v21, v60, v59
.LBB324_95:                             ;   in Loop: Header=BB324_12 Depth=1
	s_or_b32 exec_lo, exec_lo, s43
.LBB324_96:                             ;   in Loop: Header=BB324_12 Depth=1
	s_or_b32 exec_lo, exec_lo, s42
.LBB324_97:                             ;   in Loop: Header=BB324_12 Depth=1
	s_or_b32 exec_lo, exec_lo, s41
	v_and_b32_sdwa v21, v62, v43 dst_sel:DWORD dst_unused:UNUSED_PAD src0_sel:WORD_1 src1_sel:DWORD
	v_mov_b32_e32 v60, 0
	v_mov_b32_e32 v61, 0
	s_mov_b32 s41, exec_lo
	v_cmpx_ne_u16_e32 0, v21
	s_cbranch_execz .LBB324_105
; %bb.98:                               ;   in Loop: Header=BB324_12 Depth=1
	v_bfrev_b32_e32 v61, 1
	s_mov_b32 s42, exec_lo
	v_cmpx_ne_u16_e32 0x80, v21
	s_cbranch_execz .LBB324_104
; %bb.99:                               ;   in Loop: Header=BB324_12 Depth=1
	v_bfe_u32 v63, v62, 16, 7
	v_mov_b32_e32 v61, 0x7f800001
	s_mov_b32 s43, exec_lo
	v_cmpx_ne_u32_e32 0x7f, v63
	s_cbranch_execz .LBB324_103
; %bb.100:                              ;   in Loop: Header=BB324_12 Depth=1
	v_and_b32_sdwa v21, v62, v44 dst_sel:DWORD dst_unused:UNUSED_PAD src0_sel:WORD_1 src1_sel:DWORD
	v_lshrrev_b32_e32 v61, 3, v63
	s_mov_b32 s44, exec_lo
	v_cmpx_gt_u32_e32 8, v63
; %bb.101:                              ;   in Loop: Header=BB324_12 Depth=1
	v_ffbh_u32_e32 v61, v21
	v_min_u32_e32 v61, 32, v61
	v_subrev_nc_u32_e32 v63, 28, v61
	v_sub_nc_u32_e32 v61, 29, v61
	v_lshlrev_b64 v[63:64], v63, v[21:22]
	v_and_b32_e32 v21, 7, v63
; %bb.102:                              ;   in Loop: Header=BB324_12 Depth=1
	s_or_b32 exec_lo, exec_lo, s44
	v_lshlrev_b32_sdwa v63, v45, v62 dst_sel:DWORD dst_unused:UNUSED_PAD src0_sel:DWORD src1_sel:WORD_1
	v_lshlrev_b32_e32 v21, 20, v21
	v_lshl_add_u32 v61, v61, 23, 0x3c000000
	v_and_b32_e32 v63, 0x80000000, v63
	v_or3_b32 v61, v21, v63, v61
.LBB324_103:                            ;   in Loop: Header=BB324_12 Depth=1
	s_or_b32 exec_lo, exec_lo, s43
.LBB324_104:                            ;   in Loop: Header=BB324_12 Depth=1
	s_or_b32 exec_lo, exec_lo, s42
.LBB324_105:                            ;   in Loop: Header=BB324_12 Depth=1
	s_or_b32 exec_lo, exec_lo, s41
	s_mov_b32 s41, exec_lo
	v_cmpx_lt_u32_e32 0xffffff, v62
	s_cbranch_execz .LBB324_113
; %bb.106:                              ;   in Loop: Header=BB324_12 Depth=1
	v_cmp_ne_u32_sdwa s2, v62, v41 src0_sel:BYTE_3 src1_sel:DWORD
	v_bfrev_b32_e32 v60, 1
	s_and_saveexec_b32 s42, s2
	s_cbranch_execz .LBB324_112
; %bb.107:                              ;   in Loop: Header=BB324_12 Depth=1
	v_bfe_u32 v63, v62, 24, 7
	v_mov_b32_e32 v60, 0x7f800001
	s_mov_b32 s43, exec_lo
	v_cmpx_ne_u32_e32 0x7f, v63
	s_cbranch_execz .LBB324_111
; %bb.108:                              ;   in Loop: Header=BB324_12 Depth=1
	v_and_b32_sdwa v21, v62, v44 dst_sel:DWORD dst_unused:UNUSED_PAD src0_sel:BYTE_3 src1_sel:DWORD
	v_lshrrev_b32_e32 v60, 3, v63
	s_mov_b32 s44, exec_lo
	v_cmpx_gt_u32_e32 8, v63
; %bb.109:                              ;   in Loop: Header=BB324_12 Depth=1
	v_ffbh_u32_e32 v60, v21
	v_min_u32_e32 v60, 32, v60
	v_subrev_nc_u32_e32 v63, 28, v60
	v_sub_nc_u32_e32 v60, 29, v60
	v_lshlrev_b64 v[63:64], v63, v[21:22]
	v_and_b32_e32 v21, 7, v63
; %bb.110:                              ;   in Loop: Header=BB324_12 Depth=1
	s_or_b32 exec_lo, exec_lo, s44
	v_lshlrev_b32_sdwa v62, v45, v62 dst_sel:DWORD dst_unused:UNUSED_PAD src0_sel:DWORD src1_sel:BYTE_3
	v_lshlrev_b32_e32 v21, 20, v21
	v_lshl_add_u32 v60, v60, 23, 0x3c000000
	v_and_b32_e32 v62, 0x80000000, v62
	v_or3_b32 v60, v21, v62, v60
.LBB324_111:                            ;   in Loop: Header=BB324_12 Depth=1
	s_or_b32 exec_lo, exec_lo, s43
.LBB324_112:                            ;   in Loop: Header=BB324_12 Depth=1
	s_or_b32 exec_lo, exec_lo, s42
.LBB324_113:                            ;   in Loop: Header=BB324_12 Depth=1
	s_or_b32 exec_lo, exec_lo, s41
	global_load_dword v66, v[27:28], off offset:264
	v_mov_b32_e32 v63, 0
	v_mov_b32_e32 v62, 0
	s_waitcnt vmcnt(0)
	v_cmp_ne_u16_sdwa s2, v66, v22 src0_sel:BYTE_0 src1_sel:DWORD
	s_and_saveexec_b32 s41, s2
	s_cbranch_execz .LBB324_121
; %bb.114:                              ;   in Loop: Header=BB324_12 Depth=1
	v_cmp_ne_u16_sdwa s2, v66, v41 src0_sel:BYTE_0 src1_sel:DWORD
	v_bfrev_b32_e32 v62, 1
	s_and_saveexec_b32 s42, s2
	s_cbranch_execz .LBB324_120
; %bb.115:                              ;   in Loop: Header=BB324_12 Depth=1
	v_and_b32_e32 v64, 0x7f, v66
	v_mov_b32_e32 v62, 0x7f800001
	s_mov_b32 s43, exec_lo
	v_cmpx_ne_u32_e32 0x7f, v64
	s_cbranch_execz .LBB324_119
; %bb.116:                              ;   in Loop: Header=BB324_12 Depth=1
	v_and_b32_e32 v21, 7, v66
	v_lshrrev_b32_e32 v62, 3, v64
	s_mov_b32 s44, exec_lo
	v_cmpx_gt_u32_e32 8, v64
; %bb.117:                              ;   in Loop: Header=BB324_12 Depth=1
	v_ffbh_u32_e32 v62, v21
	v_min_u32_e32 v62, 32, v62
	v_subrev_nc_u32_e32 v64, 28, v62
	v_sub_nc_u32_e32 v62, 29, v62
	v_lshlrev_b64 v[64:65], v64, v[21:22]
	v_and_b32_e32 v21, 7, v64
; %bb.118:                              ;   in Loop: Header=BB324_12 Depth=1
	s_or_b32 exec_lo, exec_lo, s44
	v_lshlrev_b32_e32 v64, 24, v66
	v_lshlrev_b32_e32 v21, 20, v21
	v_lshl_add_u32 v62, v62, 23, 0x3c000000
	v_and_b32_e32 v64, 0x80000000, v64
	v_or3_b32 v62, v21, v64, v62
.LBB324_119:                            ;   in Loop: Header=BB324_12 Depth=1
	s_or_b32 exec_lo, exec_lo, s43
.LBB324_120:                            ;   in Loop: Header=BB324_12 Depth=1
	s_or_b32 exec_lo, exec_lo, s42
.LBB324_121:                            ;   in Loop: Header=BB324_12 Depth=1
	s_or_b32 exec_lo, exec_lo, s41
	v_cmp_ne_u16_sdwa s2, v66, v22 src0_sel:BYTE_1 src1_sel:DWORD
	s_and_saveexec_b32 s41, s2
	s_cbranch_execz .LBB324_129
; %bb.122:                              ;   in Loop: Header=BB324_12 Depth=1
	v_cmp_ne_u16_sdwa s2, v66, v41 src0_sel:BYTE_1 src1_sel:DWORD
	v_bfrev_b32_e32 v63, 1
	s_and_saveexec_b32 s42, s2
	s_cbranch_execz .LBB324_128
; %bb.123:                              ;   in Loop: Header=BB324_12 Depth=1
	v_and_b32_sdwa v21, v42, v66 dst_sel:DWORD dst_unused:UNUSED_PAD src0_sel:DWORD src1_sel:BYTE_1
	v_mov_b32_e32 v63, 0x7f800001
	s_mov_b32 s43, exec_lo
	v_and_b32_e32 v64, 0x7f, v21
	v_cmpx_ne_u32_e32 0x7f, v64
	s_cbranch_execz .LBB324_127
; %bb.124:                              ;   in Loop: Header=BB324_12 Depth=1
	v_and_b32_e32 v21, 7, v21
	v_lshrrev_b32_e32 v63, 3, v64
	s_mov_b32 s44, exec_lo
	v_cmpx_gt_u32_e32 8, v64
; %bb.125:                              ;   in Loop: Header=BB324_12 Depth=1
	v_ffbh_u32_e32 v63, v21
	v_min_u32_e32 v63, 32, v63
	v_subrev_nc_u32_e32 v64, 28, v63
	v_sub_nc_u32_e32 v63, 29, v63
	v_lshlrev_b64 v[64:65], v64, v[21:22]
	v_and_b32_e32 v21, 7, v64
; %bb.126:                              ;   in Loop: Header=BB324_12 Depth=1
	s_or_b32 exec_lo, exec_lo, s44
	v_lshlrev_b32_e32 v64, 16, v66
	v_lshlrev_b32_e32 v21, 20, v21
	v_lshl_add_u32 v63, v63, 23, 0x3c000000
	v_and_b32_e32 v64, 0x80000000, v64
	v_or3_b32 v63, v21, v64, v63
.LBB324_127:                            ;   in Loop: Header=BB324_12 Depth=1
	s_or_b32 exec_lo, exec_lo, s43
.LBB324_128:                            ;   in Loop: Header=BB324_12 Depth=1
	s_or_b32 exec_lo, exec_lo, s42
.LBB324_129:                            ;   in Loop: Header=BB324_12 Depth=1
	s_or_b32 exec_lo, exec_lo, s41
	v_and_b32_sdwa v21, v66, v43 dst_sel:DWORD dst_unused:UNUSED_PAD src0_sel:WORD_1 src1_sel:DWORD
	v_mov_b32_e32 v64, 0
	v_mov_b32_e32 v65, 0
	s_mov_b32 s41, exec_lo
	v_cmpx_ne_u16_e32 0, v21
	s_cbranch_execz .LBB324_137
; %bb.130:                              ;   in Loop: Header=BB324_12 Depth=1
	v_bfrev_b32_e32 v65, 1
	s_mov_b32 s42, exec_lo
	v_cmpx_ne_u16_e32 0x80, v21
	s_cbranch_execz .LBB324_136
; %bb.131:                              ;   in Loop: Header=BB324_12 Depth=1
	v_bfe_u32 v67, v66, 16, 7
	v_mov_b32_e32 v65, 0x7f800001
	s_mov_b32 s43, exec_lo
	v_cmpx_ne_u32_e32 0x7f, v67
	s_cbranch_execz .LBB324_135
; %bb.132:                              ;   in Loop: Header=BB324_12 Depth=1
	v_and_b32_sdwa v21, v66, v44 dst_sel:DWORD dst_unused:UNUSED_PAD src0_sel:WORD_1 src1_sel:DWORD
	v_lshrrev_b32_e32 v65, 3, v67
	s_mov_b32 s44, exec_lo
	v_cmpx_gt_u32_e32 8, v67
; %bb.133:                              ;   in Loop: Header=BB324_12 Depth=1
	v_ffbh_u32_e32 v65, v21
	v_min_u32_e32 v65, 32, v65
	v_subrev_nc_u32_e32 v67, 28, v65
	v_sub_nc_u32_e32 v65, 29, v65
	v_lshlrev_b64 v[67:68], v67, v[21:22]
	v_and_b32_e32 v21, 7, v67
; %bb.134:                              ;   in Loop: Header=BB324_12 Depth=1
	s_or_b32 exec_lo, exec_lo, s44
	v_lshlrev_b32_sdwa v67, v45, v66 dst_sel:DWORD dst_unused:UNUSED_PAD src0_sel:DWORD src1_sel:WORD_1
	v_lshlrev_b32_e32 v21, 20, v21
	v_lshl_add_u32 v65, v65, 23, 0x3c000000
	v_and_b32_e32 v67, 0x80000000, v67
	v_or3_b32 v65, v21, v67, v65
.LBB324_135:                            ;   in Loop: Header=BB324_12 Depth=1
	s_or_b32 exec_lo, exec_lo, s43
.LBB324_136:                            ;   in Loop: Header=BB324_12 Depth=1
	s_or_b32 exec_lo, exec_lo, s42
.LBB324_137:                            ;   in Loop: Header=BB324_12 Depth=1
	s_or_b32 exec_lo, exec_lo, s41
	s_mov_b32 s41, exec_lo
	v_cmpx_lt_u32_e32 0xffffff, v66
	s_cbranch_execz .LBB324_145
; %bb.138:                              ;   in Loop: Header=BB324_12 Depth=1
	v_cmp_ne_u32_sdwa s2, v66, v41 src0_sel:BYTE_3 src1_sel:DWORD
	v_bfrev_b32_e32 v64, 1
	s_and_saveexec_b32 s42, s2
	s_cbranch_execz .LBB324_144
; %bb.139:                              ;   in Loop: Header=BB324_12 Depth=1
	v_bfe_u32 v67, v66, 24, 7
	v_mov_b32_e32 v64, 0x7f800001
	s_mov_b32 s43, exec_lo
	v_cmpx_ne_u32_e32 0x7f, v67
	s_cbranch_execz .LBB324_143
; %bb.140:                              ;   in Loop: Header=BB324_12 Depth=1
	v_and_b32_sdwa v21, v66, v44 dst_sel:DWORD dst_unused:UNUSED_PAD src0_sel:BYTE_3 src1_sel:DWORD
	v_lshrrev_b32_e32 v64, 3, v67
	s_mov_b32 s44, exec_lo
	v_cmpx_gt_u32_e32 8, v67
; %bb.141:                              ;   in Loop: Header=BB324_12 Depth=1
	v_ffbh_u32_e32 v64, v21
	v_min_u32_e32 v64, 32, v64
	v_subrev_nc_u32_e32 v67, 28, v64
	v_sub_nc_u32_e32 v64, 29, v64
	v_lshlrev_b64 v[67:68], v67, v[21:22]
	v_and_b32_e32 v21, 7, v67
; %bb.142:                              ;   in Loop: Header=BB324_12 Depth=1
	s_or_b32 exec_lo, exec_lo, s44
	v_lshlrev_b32_sdwa v66, v45, v66 dst_sel:DWORD dst_unused:UNUSED_PAD src0_sel:DWORD src1_sel:BYTE_3
	v_lshlrev_b32_e32 v21, 20, v21
	v_lshl_add_u32 v64, v64, 23, 0x3c000000
	v_and_b32_e32 v66, 0x80000000, v66
	v_or3_b32 v64, v21, v66, v64
.LBB324_143:                            ;   in Loop: Header=BB324_12 Depth=1
	s_or_b32 exec_lo, exec_lo, s43
.LBB324_144:                            ;   in Loop: Header=BB324_12 Depth=1
	s_or_b32 exec_lo, exec_lo, s42
.LBB324_145:                            ;   in Loop: Header=BB324_12 Depth=1
	s_or_b32 exec_lo, exec_lo, s41
	global_load_dword v70, v[27:28], off offset:512
	v_mov_b32_e32 v67, 0
	v_mov_b32_e32 v66, 0
	s_waitcnt vmcnt(0)
	v_cmp_ne_u16_sdwa s2, v70, v22 src0_sel:BYTE_0 src1_sel:DWORD
	s_and_saveexec_b32 s41, s2
	s_cbranch_execz .LBB324_153
; %bb.146:                              ;   in Loop: Header=BB324_12 Depth=1
	v_cmp_ne_u16_sdwa s2, v70, v41 src0_sel:BYTE_0 src1_sel:DWORD
	v_bfrev_b32_e32 v66, 1
	s_and_saveexec_b32 s42, s2
	s_cbranch_execz .LBB324_152
; %bb.147:                              ;   in Loop: Header=BB324_12 Depth=1
	v_and_b32_e32 v68, 0x7f, v70
	v_mov_b32_e32 v66, 0x7f800001
	s_mov_b32 s43, exec_lo
	v_cmpx_ne_u32_e32 0x7f, v68
	s_cbranch_execz .LBB324_151
; %bb.148:                              ;   in Loop: Header=BB324_12 Depth=1
	v_and_b32_e32 v21, 7, v70
	v_lshrrev_b32_e32 v66, 3, v68
	s_mov_b32 s44, exec_lo
	v_cmpx_gt_u32_e32 8, v68
; %bb.149:                              ;   in Loop: Header=BB324_12 Depth=1
	v_ffbh_u32_e32 v66, v21
	v_min_u32_e32 v66, 32, v66
	v_subrev_nc_u32_e32 v68, 28, v66
	v_sub_nc_u32_e32 v66, 29, v66
	v_lshlrev_b64 v[68:69], v68, v[21:22]
	v_and_b32_e32 v21, 7, v68
; %bb.150:                              ;   in Loop: Header=BB324_12 Depth=1
	s_or_b32 exec_lo, exec_lo, s44
	v_lshlrev_b32_e32 v68, 24, v70
	v_lshlrev_b32_e32 v21, 20, v21
	v_lshl_add_u32 v66, v66, 23, 0x3c000000
	v_and_b32_e32 v68, 0x80000000, v68
	v_or3_b32 v66, v21, v68, v66
.LBB324_151:                            ;   in Loop: Header=BB324_12 Depth=1
	s_or_b32 exec_lo, exec_lo, s43
.LBB324_152:                            ;   in Loop: Header=BB324_12 Depth=1
	s_or_b32 exec_lo, exec_lo, s42
.LBB324_153:                            ;   in Loop: Header=BB324_12 Depth=1
	s_or_b32 exec_lo, exec_lo, s41
	v_cmp_ne_u16_sdwa s2, v70, v22 src0_sel:BYTE_1 src1_sel:DWORD
	s_and_saveexec_b32 s41, s2
	s_cbranch_execz .LBB324_161
; %bb.154:                              ;   in Loop: Header=BB324_12 Depth=1
	v_cmp_ne_u16_sdwa s2, v70, v41 src0_sel:BYTE_1 src1_sel:DWORD
	v_bfrev_b32_e32 v67, 1
	s_and_saveexec_b32 s42, s2
	s_cbranch_execz .LBB324_160
; %bb.155:                              ;   in Loop: Header=BB324_12 Depth=1
	v_and_b32_sdwa v21, v42, v70 dst_sel:DWORD dst_unused:UNUSED_PAD src0_sel:DWORD src1_sel:BYTE_1
	v_mov_b32_e32 v67, 0x7f800001
	s_mov_b32 s43, exec_lo
	v_and_b32_e32 v68, 0x7f, v21
	v_cmpx_ne_u32_e32 0x7f, v68
	s_cbranch_execz .LBB324_159
; %bb.156:                              ;   in Loop: Header=BB324_12 Depth=1
	v_and_b32_e32 v21, 7, v21
	v_lshrrev_b32_e32 v67, 3, v68
	s_mov_b32 s44, exec_lo
	v_cmpx_gt_u32_e32 8, v68
; %bb.157:                              ;   in Loop: Header=BB324_12 Depth=1
	v_ffbh_u32_e32 v67, v21
	v_min_u32_e32 v67, 32, v67
	v_subrev_nc_u32_e32 v68, 28, v67
	v_sub_nc_u32_e32 v67, 29, v67
	v_lshlrev_b64 v[68:69], v68, v[21:22]
	v_and_b32_e32 v21, 7, v68
; %bb.158:                              ;   in Loop: Header=BB324_12 Depth=1
	s_or_b32 exec_lo, exec_lo, s44
	v_lshlrev_b32_e32 v68, 16, v70
	v_lshlrev_b32_e32 v21, 20, v21
	v_lshl_add_u32 v67, v67, 23, 0x3c000000
	v_and_b32_e32 v68, 0x80000000, v68
	v_or3_b32 v67, v21, v68, v67
.LBB324_159:                            ;   in Loop: Header=BB324_12 Depth=1
	s_or_b32 exec_lo, exec_lo, s43
.LBB324_160:                            ;   in Loop: Header=BB324_12 Depth=1
	s_or_b32 exec_lo, exec_lo, s42
.LBB324_161:                            ;   in Loop: Header=BB324_12 Depth=1
	s_or_b32 exec_lo, exec_lo, s41
	v_and_b32_sdwa v21, v70, v43 dst_sel:DWORD dst_unused:UNUSED_PAD src0_sel:WORD_1 src1_sel:DWORD
	v_mov_b32_e32 v68, 0
	v_mov_b32_e32 v69, 0
	s_mov_b32 s41, exec_lo
	v_cmpx_ne_u16_e32 0, v21
	s_cbranch_execz .LBB324_169
; %bb.162:                              ;   in Loop: Header=BB324_12 Depth=1
	v_bfrev_b32_e32 v69, 1
	s_mov_b32 s42, exec_lo
	v_cmpx_ne_u16_e32 0x80, v21
	s_cbranch_execz .LBB324_168
; %bb.163:                              ;   in Loop: Header=BB324_12 Depth=1
	v_bfe_u32 v71, v70, 16, 7
	v_mov_b32_e32 v69, 0x7f800001
	s_mov_b32 s43, exec_lo
	v_cmpx_ne_u32_e32 0x7f, v71
	s_cbranch_execz .LBB324_167
; %bb.164:                              ;   in Loop: Header=BB324_12 Depth=1
	v_and_b32_sdwa v21, v70, v44 dst_sel:DWORD dst_unused:UNUSED_PAD src0_sel:WORD_1 src1_sel:DWORD
	v_lshrrev_b32_e32 v69, 3, v71
	s_mov_b32 s44, exec_lo
	v_cmpx_gt_u32_e32 8, v71
; %bb.165:                              ;   in Loop: Header=BB324_12 Depth=1
	v_ffbh_u32_e32 v69, v21
	v_min_u32_e32 v69, 32, v69
	v_subrev_nc_u32_e32 v71, 28, v69
	v_sub_nc_u32_e32 v69, 29, v69
	v_lshlrev_b64 v[71:72], v71, v[21:22]
	v_and_b32_e32 v21, 7, v71
; %bb.166:                              ;   in Loop: Header=BB324_12 Depth=1
	s_or_b32 exec_lo, exec_lo, s44
	v_lshlrev_b32_sdwa v71, v45, v70 dst_sel:DWORD dst_unused:UNUSED_PAD src0_sel:DWORD src1_sel:WORD_1
	v_lshlrev_b32_e32 v21, 20, v21
	v_lshl_add_u32 v69, v69, 23, 0x3c000000
	v_and_b32_e32 v71, 0x80000000, v71
	v_or3_b32 v69, v21, v71, v69
.LBB324_167:                            ;   in Loop: Header=BB324_12 Depth=1
	s_or_b32 exec_lo, exec_lo, s43
.LBB324_168:                            ;   in Loop: Header=BB324_12 Depth=1
	s_or_b32 exec_lo, exec_lo, s42
.LBB324_169:                            ;   in Loop: Header=BB324_12 Depth=1
	s_or_b32 exec_lo, exec_lo, s41
	s_mov_b32 s41, exec_lo
	v_cmpx_lt_u32_e32 0xffffff, v70
	s_cbranch_execz .LBB324_177
; %bb.170:                              ;   in Loop: Header=BB324_12 Depth=1
	v_cmp_ne_u32_sdwa s2, v70, v41 src0_sel:BYTE_3 src1_sel:DWORD
	v_bfrev_b32_e32 v68, 1
	s_and_saveexec_b32 s42, s2
	s_cbranch_execz .LBB324_176
; %bb.171:                              ;   in Loop: Header=BB324_12 Depth=1
	v_bfe_u32 v71, v70, 24, 7
	v_mov_b32_e32 v68, 0x7f800001
	s_mov_b32 s43, exec_lo
	v_cmpx_ne_u32_e32 0x7f, v71
	s_cbranch_execz .LBB324_175
; %bb.172:                              ;   in Loop: Header=BB324_12 Depth=1
	v_and_b32_sdwa v21, v70, v44 dst_sel:DWORD dst_unused:UNUSED_PAD src0_sel:BYTE_3 src1_sel:DWORD
	v_lshrrev_b32_e32 v68, 3, v71
	s_mov_b32 s44, exec_lo
	v_cmpx_gt_u32_e32 8, v71
; %bb.173:                              ;   in Loop: Header=BB324_12 Depth=1
	v_ffbh_u32_e32 v68, v21
	v_min_u32_e32 v68, 32, v68
	v_subrev_nc_u32_e32 v71, 28, v68
	v_sub_nc_u32_e32 v68, 29, v68
	v_lshlrev_b64 v[71:72], v71, v[21:22]
	v_and_b32_e32 v21, 7, v71
; %bb.174:                              ;   in Loop: Header=BB324_12 Depth=1
	s_or_b32 exec_lo, exec_lo, s44
	v_lshlrev_b32_sdwa v70, v45, v70 dst_sel:DWORD dst_unused:UNUSED_PAD src0_sel:DWORD src1_sel:BYTE_3
	v_lshlrev_b32_e32 v21, 20, v21
	v_lshl_add_u32 v68, v68, 23, 0x3c000000
	v_and_b32_e32 v70, 0x80000000, v70
	v_or3_b32 v68, v21, v70, v68
.LBB324_175:                            ;   in Loop: Header=BB324_12 Depth=1
	s_or_b32 exec_lo, exec_lo, s43
.LBB324_176:                            ;   in Loop: Header=BB324_12 Depth=1
	s_or_b32 exec_lo, exec_lo, s42
.LBB324_177:                            ;   in Loop: Header=BB324_12 Depth=1
	s_or_b32 exec_lo, exec_lo, s41
	global_load_dword v74, v[27:28], off offset:520
	v_mov_b32_e32 v71, 0
	v_mov_b32_e32 v70, 0
	s_waitcnt vmcnt(0)
	v_cmp_ne_u16_sdwa s2, v74, v22 src0_sel:BYTE_0 src1_sel:DWORD
	s_and_saveexec_b32 s41, s2
	s_cbranch_execz .LBB324_185
; %bb.178:                              ;   in Loop: Header=BB324_12 Depth=1
	v_cmp_ne_u16_sdwa s2, v74, v41 src0_sel:BYTE_0 src1_sel:DWORD
	v_bfrev_b32_e32 v70, 1
	s_and_saveexec_b32 s42, s2
	s_cbranch_execz .LBB324_184
; %bb.179:                              ;   in Loop: Header=BB324_12 Depth=1
	v_and_b32_e32 v72, 0x7f, v74
	v_mov_b32_e32 v70, 0x7f800001
	s_mov_b32 s43, exec_lo
	v_cmpx_ne_u32_e32 0x7f, v72
	s_cbranch_execz .LBB324_183
; %bb.180:                              ;   in Loop: Header=BB324_12 Depth=1
	v_and_b32_e32 v21, 7, v74
	v_lshrrev_b32_e32 v70, 3, v72
	s_mov_b32 s44, exec_lo
	v_cmpx_gt_u32_e32 8, v72
; %bb.181:                              ;   in Loop: Header=BB324_12 Depth=1
	v_ffbh_u32_e32 v70, v21
	v_min_u32_e32 v70, 32, v70
	v_subrev_nc_u32_e32 v72, 28, v70
	v_sub_nc_u32_e32 v70, 29, v70
	v_lshlrev_b64 v[72:73], v72, v[21:22]
	v_and_b32_e32 v21, 7, v72
; %bb.182:                              ;   in Loop: Header=BB324_12 Depth=1
	s_or_b32 exec_lo, exec_lo, s44
	v_lshlrev_b32_e32 v72, 24, v74
	v_lshlrev_b32_e32 v21, 20, v21
	v_lshl_add_u32 v70, v70, 23, 0x3c000000
	v_and_b32_e32 v72, 0x80000000, v72
	v_or3_b32 v70, v21, v72, v70
.LBB324_183:                            ;   in Loop: Header=BB324_12 Depth=1
	s_or_b32 exec_lo, exec_lo, s43
.LBB324_184:                            ;   in Loop: Header=BB324_12 Depth=1
	s_or_b32 exec_lo, exec_lo, s42
.LBB324_185:                            ;   in Loop: Header=BB324_12 Depth=1
	s_or_b32 exec_lo, exec_lo, s41
	v_cmp_ne_u16_sdwa s2, v74, v22 src0_sel:BYTE_1 src1_sel:DWORD
	s_and_saveexec_b32 s41, s2
	s_cbranch_execz .LBB324_193
; %bb.186:                              ;   in Loop: Header=BB324_12 Depth=1
	v_cmp_ne_u16_sdwa s2, v74, v41 src0_sel:BYTE_1 src1_sel:DWORD
	v_bfrev_b32_e32 v71, 1
	s_and_saveexec_b32 s42, s2
	s_cbranch_execz .LBB324_192
; %bb.187:                              ;   in Loop: Header=BB324_12 Depth=1
	v_and_b32_sdwa v21, v42, v74 dst_sel:DWORD dst_unused:UNUSED_PAD src0_sel:DWORD src1_sel:BYTE_1
	v_mov_b32_e32 v71, 0x7f800001
	s_mov_b32 s43, exec_lo
	v_and_b32_e32 v72, 0x7f, v21
	v_cmpx_ne_u32_e32 0x7f, v72
	s_cbranch_execz .LBB324_191
; %bb.188:                              ;   in Loop: Header=BB324_12 Depth=1
	v_and_b32_e32 v21, 7, v21
	v_lshrrev_b32_e32 v71, 3, v72
	s_mov_b32 s44, exec_lo
	v_cmpx_gt_u32_e32 8, v72
; %bb.189:                              ;   in Loop: Header=BB324_12 Depth=1
	v_ffbh_u32_e32 v71, v21
	v_min_u32_e32 v71, 32, v71
	v_subrev_nc_u32_e32 v72, 28, v71
	v_sub_nc_u32_e32 v71, 29, v71
	v_lshlrev_b64 v[72:73], v72, v[21:22]
	v_and_b32_e32 v21, 7, v72
; %bb.190:                              ;   in Loop: Header=BB324_12 Depth=1
	s_or_b32 exec_lo, exec_lo, s44
	v_lshlrev_b32_e32 v72, 16, v74
	v_lshlrev_b32_e32 v21, 20, v21
	v_lshl_add_u32 v71, v71, 23, 0x3c000000
	v_and_b32_e32 v72, 0x80000000, v72
	v_or3_b32 v71, v21, v72, v71
.LBB324_191:                            ;   in Loop: Header=BB324_12 Depth=1
	s_or_b32 exec_lo, exec_lo, s43
.LBB324_192:                            ;   in Loop: Header=BB324_12 Depth=1
	s_or_b32 exec_lo, exec_lo, s42
.LBB324_193:                            ;   in Loop: Header=BB324_12 Depth=1
	s_or_b32 exec_lo, exec_lo, s41
	v_and_b32_sdwa v21, v74, v43 dst_sel:DWORD dst_unused:UNUSED_PAD src0_sel:WORD_1 src1_sel:DWORD
	v_mov_b32_e32 v72, 0
	v_mov_b32_e32 v73, 0
	s_mov_b32 s41, exec_lo
	v_cmpx_ne_u16_e32 0, v21
	s_cbranch_execz .LBB324_201
; %bb.194:                              ;   in Loop: Header=BB324_12 Depth=1
	v_bfrev_b32_e32 v73, 1
	s_mov_b32 s42, exec_lo
	v_cmpx_ne_u16_e32 0x80, v21
	s_cbranch_execz .LBB324_200
; %bb.195:                              ;   in Loop: Header=BB324_12 Depth=1
	v_bfe_u32 v75, v74, 16, 7
	v_mov_b32_e32 v73, 0x7f800001
	s_mov_b32 s43, exec_lo
	v_cmpx_ne_u32_e32 0x7f, v75
	s_cbranch_execz .LBB324_199
; %bb.196:                              ;   in Loop: Header=BB324_12 Depth=1
	v_and_b32_sdwa v21, v74, v44 dst_sel:DWORD dst_unused:UNUSED_PAD src0_sel:WORD_1 src1_sel:DWORD
	v_lshrrev_b32_e32 v73, 3, v75
	s_mov_b32 s44, exec_lo
	v_cmpx_gt_u32_e32 8, v75
; %bb.197:                              ;   in Loop: Header=BB324_12 Depth=1
	v_ffbh_u32_e32 v73, v21
	v_min_u32_e32 v73, 32, v73
	v_subrev_nc_u32_e32 v75, 28, v73
	v_sub_nc_u32_e32 v73, 29, v73
	v_lshlrev_b64 v[75:76], v75, v[21:22]
	v_and_b32_e32 v21, 7, v75
; %bb.198:                              ;   in Loop: Header=BB324_12 Depth=1
	s_or_b32 exec_lo, exec_lo, s44
	v_lshlrev_b32_sdwa v75, v45, v74 dst_sel:DWORD dst_unused:UNUSED_PAD src0_sel:DWORD src1_sel:WORD_1
	v_lshlrev_b32_e32 v21, 20, v21
	v_lshl_add_u32 v73, v73, 23, 0x3c000000
	v_and_b32_e32 v75, 0x80000000, v75
	v_or3_b32 v73, v21, v75, v73
.LBB324_199:                            ;   in Loop: Header=BB324_12 Depth=1
	s_or_b32 exec_lo, exec_lo, s43
.LBB324_200:                            ;   in Loop: Header=BB324_12 Depth=1
	s_or_b32 exec_lo, exec_lo, s42
.LBB324_201:                            ;   in Loop: Header=BB324_12 Depth=1
	s_or_b32 exec_lo, exec_lo, s41
	s_mov_b32 s41, exec_lo
	v_cmpx_lt_u32_e32 0xffffff, v74
	s_cbranch_execz .LBB324_209
; %bb.202:                              ;   in Loop: Header=BB324_12 Depth=1
	v_cmp_ne_u32_sdwa s2, v74, v41 src0_sel:BYTE_3 src1_sel:DWORD
	v_bfrev_b32_e32 v72, 1
	s_and_saveexec_b32 s42, s2
	s_cbranch_execz .LBB324_208
; %bb.203:                              ;   in Loop: Header=BB324_12 Depth=1
	v_bfe_u32 v75, v74, 24, 7
	v_mov_b32_e32 v72, 0x7f800001
	s_mov_b32 s43, exec_lo
	v_cmpx_ne_u32_e32 0x7f, v75
	s_cbranch_execz .LBB324_207
; %bb.204:                              ;   in Loop: Header=BB324_12 Depth=1
	v_and_b32_sdwa v21, v74, v44 dst_sel:DWORD dst_unused:UNUSED_PAD src0_sel:BYTE_3 src1_sel:DWORD
	v_lshrrev_b32_e32 v72, 3, v75
	s_mov_b32 s44, exec_lo
	v_cmpx_gt_u32_e32 8, v75
; %bb.205:                              ;   in Loop: Header=BB324_12 Depth=1
	v_ffbh_u32_e32 v72, v21
	v_min_u32_e32 v72, 32, v72
	v_subrev_nc_u32_e32 v75, 28, v72
	v_sub_nc_u32_e32 v72, 29, v72
	v_lshlrev_b64 v[75:76], v75, v[21:22]
	v_and_b32_e32 v21, 7, v75
; %bb.206:                              ;   in Loop: Header=BB324_12 Depth=1
	s_or_b32 exec_lo, exec_lo, s44
	v_lshlrev_b32_sdwa v74, v45, v74 dst_sel:DWORD dst_unused:UNUSED_PAD src0_sel:DWORD src1_sel:BYTE_3
	v_lshlrev_b32_e32 v21, 20, v21
	v_lshl_add_u32 v72, v72, 23, 0x3c000000
	v_and_b32_e32 v74, 0x80000000, v74
	v_or3_b32 v72, v21, v74, v72
.LBB324_207:                            ;   in Loop: Header=BB324_12 Depth=1
	s_or_b32 exec_lo, exec_lo, s43
.LBB324_208:                            ;   in Loop: Header=BB324_12 Depth=1
	s_or_b32 exec_lo, exec_lo, s42
.LBB324_209:                            ;   in Loop: Header=BB324_12 Depth=1
	s_or_b32 exec_lo, exec_lo, s41
	global_load_dword v78, v[27:28], off offset:768
	v_mov_b32_e32 v75, 0
	v_mov_b32_e32 v74, 0
	s_waitcnt vmcnt(0)
	v_cmp_ne_u16_sdwa s2, v78, v22 src0_sel:BYTE_0 src1_sel:DWORD
	s_and_saveexec_b32 s41, s2
	s_cbranch_execz .LBB324_217
; %bb.210:                              ;   in Loop: Header=BB324_12 Depth=1
	v_cmp_ne_u16_sdwa s2, v78, v41 src0_sel:BYTE_0 src1_sel:DWORD
	v_bfrev_b32_e32 v74, 1
	s_and_saveexec_b32 s42, s2
	s_cbranch_execz .LBB324_216
; %bb.211:                              ;   in Loop: Header=BB324_12 Depth=1
	v_and_b32_e32 v76, 0x7f, v78
	v_mov_b32_e32 v74, 0x7f800001
	s_mov_b32 s43, exec_lo
	v_cmpx_ne_u32_e32 0x7f, v76
	s_cbranch_execz .LBB324_215
; %bb.212:                              ;   in Loop: Header=BB324_12 Depth=1
	v_and_b32_e32 v21, 7, v78
	v_lshrrev_b32_e32 v74, 3, v76
	s_mov_b32 s44, exec_lo
	v_cmpx_gt_u32_e32 8, v76
; %bb.213:                              ;   in Loop: Header=BB324_12 Depth=1
	v_ffbh_u32_e32 v74, v21
	v_min_u32_e32 v74, 32, v74
	v_subrev_nc_u32_e32 v76, 28, v74
	v_sub_nc_u32_e32 v74, 29, v74
	v_lshlrev_b64 v[76:77], v76, v[21:22]
	v_and_b32_e32 v21, 7, v76
; %bb.214:                              ;   in Loop: Header=BB324_12 Depth=1
	s_or_b32 exec_lo, exec_lo, s44
	v_lshlrev_b32_e32 v76, 24, v78
	v_lshlrev_b32_e32 v21, 20, v21
	v_lshl_add_u32 v74, v74, 23, 0x3c000000
	v_and_b32_e32 v76, 0x80000000, v76
	v_or3_b32 v74, v21, v76, v74
.LBB324_215:                            ;   in Loop: Header=BB324_12 Depth=1
	s_or_b32 exec_lo, exec_lo, s43
.LBB324_216:                            ;   in Loop: Header=BB324_12 Depth=1
	s_or_b32 exec_lo, exec_lo, s42
.LBB324_217:                            ;   in Loop: Header=BB324_12 Depth=1
	s_or_b32 exec_lo, exec_lo, s41
	v_cmp_ne_u16_sdwa s2, v78, v22 src0_sel:BYTE_1 src1_sel:DWORD
	s_and_saveexec_b32 s41, s2
	s_cbranch_execz .LBB324_225
; %bb.218:                              ;   in Loop: Header=BB324_12 Depth=1
	v_cmp_ne_u16_sdwa s2, v78, v41 src0_sel:BYTE_1 src1_sel:DWORD
	v_bfrev_b32_e32 v75, 1
	s_and_saveexec_b32 s42, s2
	s_cbranch_execz .LBB324_224
; %bb.219:                              ;   in Loop: Header=BB324_12 Depth=1
	v_and_b32_sdwa v21, v42, v78 dst_sel:DWORD dst_unused:UNUSED_PAD src0_sel:DWORD src1_sel:BYTE_1
	v_mov_b32_e32 v75, 0x7f800001
	s_mov_b32 s43, exec_lo
	v_and_b32_e32 v76, 0x7f, v21
	v_cmpx_ne_u32_e32 0x7f, v76
	s_cbranch_execz .LBB324_223
; %bb.220:                              ;   in Loop: Header=BB324_12 Depth=1
	v_and_b32_e32 v21, 7, v21
	v_lshrrev_b32_e32 v75, 3, v76
	s_mov_b32 s44, exec_lo
	v_cmpx_gt_u32_e32 8, v76
; %bb.221:                              ;   in Loop: Header=BB324_12 Depth=1
	v_ffbh_u32_e32 v75, v21
	v_min_u32_e32 v75, 32, v75
	v_subrev_nc_u32_e32 v76, 28, v75
	v_sub_nc_u32_e32 v75, 29, v75
	v_lshlrev_b64 v[76:77], v76, v[21:22]
	v_and_b32_e32 v21, 7, v76
; %bb.222:                              ;   in Loop: Header=BB324_12 Depth=1
	s_or_b32 exec_lo, exec_lo, s44
	v_lshlrev_b32_e32 v76, 16, v78
	v_lshlrev_b32_e32 v21, 20, v21
	v_lshl_add_u32 v75, v75, 23, 0x3c000000
	v_and_b32_e32 v76, 0x80000000, v76
	v_or3_b32 v75, v21, v76, v75
.LBB324_223:                            ;   in Loop: Header=BB324_12 Depth=1
	s_or_b32 exec_lo, exec_lo, s43
.LBB324_224:                            ;   in Loop: Header=BB324_12 Depth=1
	s_or_b32 exec_lo, exec_lo, s42
.LBB324_225:                            ;   in Loop: Header=BB324_12 Depth=1
	s_or_b32 exec_lo, exec_lo, s41
	v_and_b32_sdwa v21, v78, v43 dst_sel:DWORD dst_unused:UNUSED_PAD src0_sel:WORD_1 src1_sel:DWORD
	v_mov_b32_e32 v76, 0
	v_mov_b32_e32 v77, 0
	s_mov_b32 s41, exec_lo
	v_cmpx_ne_u16_e32 0, v21
	s_cbranch_execz .LBB324_233
; %bb.226:                              ;   in Loop: Header=BB324_12 Depth=1
	v_bfrev_b32_e32 v77, 1
	s_mov_b32 s42, exec_lo
	v_cmpx_ne_u16_e32 0x80, v21
	s_cbranch_execz .LBB324_232
; %bb.227:                              ;   in Loop: Header=BB324_12 Depth=1
	v_bfe_u32 v79, v78, 16, 7
	v_mov_b32_e32 v77, 0x7f800001
	s_mov_b32 s43, exec_lo
	v_cmpx_ne_u32_e32 0x7f, v79
	s_cbranch_execz .LBB324_231
; %bb.228:                              ;   in Loop: Header=BB324_12 Depth=1
	v_and_b32_sdwa v21, v78, v44 dst_sel:DWORD dst_unused:UNUSED_PAD src0_sel:WORD_1 src1_sel:DWORD
	v_lshrrev_b32_e32 v77, 3, v79
	s_mov_b32 s44, exec_lo
	v_cmpx_gt_u32_e32 8, v79
; %bb.229:                              ;   in Loop: Header=BB324_12 Depth=1
	v_ffbh_u32_e32 v77, v21
	v_min_u32_e32 v77, 32, v77
	v_subrev_nc_u32_e32 v79, 28, v77
	v_sub_nc_u32_e32 v77, 29, v77
	v_lshlrev_b64 v[79:80], v79, v[21:22]
	v_and_b32_e32 v21, 7, v79
; %bb.230:                              ;   in Loop: Header=BB324_12 Depth=1
	s_or_b32 exec_lo, exec_lo, s44
	v_lshlrev_b32_sdwa v79, v45, v78 dst_sel:DWORD dst_unused:UNUSED_PAD src0_sel:DWORD src1_sel:WORD_1
	v_lshlrev_b32_e32 v21, 20, v21
	v_lshl_add_u32 v77, v77, 23, 0x3c000000
	v_and_b32_e32 v79, 0x80000000, v79
	v_or3_b32 v77, v21, v79, v77
.LBB324_231:                            ;   in Loop: Header=BB324_12 Depth=1
	s_or_b32 exec_lo, exec_lo, s43
.LBB324_232:                            ;   in Loop: Header=BB324_12 Depth=1
	s_or_b32 exec_lo, exec_lo, s42
.LBB324_233:                            ;   in Loop: Header=BB324_12 Depth=1
	s_or_b32 exec_lo, exec_lo, s41
	s_mov_b32 s41, exec_lo
	v_cmpx_lt_u32_e32 0xffffff, v78
	s_cbranch_execz .LBB324_241
; %bb.234:                              ;   in Loop: Header=BB324_12 Depth=1
	v_cmp_ne_u32_sdwa s2, v78, v41 src0_sel:BYTE_3 src1_sel:DWORD
	v_bfrev_b32_e32 v76, 1
	s_and_saveexec_b32 s42, s2
	s_cbranch_execz .LBB324_240
; %bb.235:                              ;   in Loop: Header=BB324_12 Depth=1
	v_bfe_u32 v79, v78, 24, 7
	v_mov_b32_e32 v76, 0x7f800001
	s_mov_b32 s43, exec_lo
	v_cmpx_ne_u32_e32 0x7f, v79
	s_cbranch_execz .LBB324_239
; %bb.236:                              ;   in Loop: Header=BB324_12 Depth=1
	v_and_b32_sdwa v21, v78, v44 dst_sel:DWORD dst_unused:UNUSED_PAD src0_sel:BYTE_3 src1_sel:DWORD
	v_lshrrev_b32_e32 v76, 3, v79
	s_mov_b32 s44, exec_lo
	v_cmpx_gt_u32_e32 8, v79
; %bb.237:                              ;   in Loop: Header=BB324_12 Depth=1
	v_ffbh_u32_e32 v76, v21
	v_min_u32_e32 v76, 32, v76
	v_subrev_nc_u32_e32 v79, 28, v76
	v_sub_nc_u32_e32 v76, 29, v76
	v_lshlrev_b64 v[79:80], v79, v[21:22]
	v_and_b32_e32 v21, 7, v79
; %bb.238:                              ;   in Loop: Header=BB324_12 Depth=1
	s_or_b32 exec_lo, exec_lo, s44
	v_lshlrev_b32_sdwa v78, v45, v78 dst_sel:DWORD dst_unused:UNUSED_PAD src0_sel:DWORD src1_sel:BYTE_3
	v_lshlrev_b32_e32 v21, 20, v21
	v_lshl_add_u32 v76, v76, 23, 0x3c000000
	v_and_b32_e32 v78, 0x80000000, v78
	v_or3_b32 v76, v21, v78, v76
.LBB324_239:                            ;   in Loop: Header=BB324_12 Depth=1
	s_or_b32 exec_lo, exec_lo, s43
.LBB324_240:                            ;   in Loop: Header=BB324_12 Depth=1
	s_or_b32 exec_lo, exec_lo, s42
.LBB324_241:                            ;   in Loop: Header=BB324_12 Depth=1
	s_or_b32 exec_lo, exec_lo, s41
	global_load_dword v82, v[27:28], off offset:776
	v_mov_b32_e32 v79, 0
	v_mov_b32_e32 v78, 0
	s_waitcnt vmcnt(0)
	v_cmp_ne_u16_sdwa s2, v82, v22 src0_sel:BYTE_0 src1_sel:DWORD
	s_and_saveexec_b32 s41, s2
	s_cbranch_execz .LBB324_249
; %bb.242:                              ;   in Loop: Header=BB324_12 Depth=1
	v_cmp_ne_u16_sdwa s2, v82, v41 src0_sel:BYTE_0 src1_sel:DWORD
	v_bfrev_b32_e32 v78, 1
	s_and_saveexec_b32 s42, s2
	s_cbranch_execz .LBB324_248
; %bb.243:                              ;   in Loop: Header=BB324_12 Depth=1
	v_and_b32_e32 v80, 0x7f, v82
	v_mov_b32_e32 v78, 0x7f800001
	s_mov_b32 s43, exec_lo
	v_cmpx_ne_u32_e32 0x7f, v80
	s_cbranch_execz .LBB324_247
; %bb.244:                              ;   in Loop: Header=BB324_12 Depth=1
	v_and_b32_e32 v21, 7, v82
	v_lshrrev_b32_e32 v78, 3, v80
	s_mov_b32 s44, exec_lo
	v_cmpx_gt_u32_e32 8, v80
; %bb.245:                              ;   in Loop: Header=BB324_12 Depth=1
	v_ffbh_u32_e32 v78, v21
	v_min_u32_e32 v78, 32, v78
	v_subrev_nc_u32_e32 v80, 28, v78
	v_sub_nc_u32_e32 v78, 29, v78
	v_lshlrev_b64 v[80:81], v80, v[21:22]
	v_and_b32_e32 v21, 7, v80
; %bb.246:                              ;   in Loop: Header=BB324_12 Depth=1
	s_or_b32 exec_lo, exec_lo, s44
	v_lshlrev_b32_e32 v80, 24, v82
	v_lshlrev_b32_e32 v21, 20, v21
	v_lshl_add_u32 v78, v78, 23, 0x3c000000
	v_and_b32_e32 v80, 0x80000000, v80
	v_or3_b32 v78, v21, v80, v78
.LBB324_247:                            ;   in Loop: Header=BB324_12 Depth=1
	s_or_b32 exec_lo, exec_lo, s43
.LBB324_248:                            ;   in Loop: Header=BB324_12 Depth=1
	s_or_b32 exec_lo, exec_lo, s42
.LBB324_249:                            ;   in Loop: Header=BB324_12 Depth=1
	s_or_b32 exec_lo, exec_lo, s41
	v_cmp_ne_u16_sdwa s2, v82, v22 src0_sel:BYTE_1 src1_sel:DWORD
	s_and_saveexec_b32 s41, s2
	s_cbranch_execz .LBB324_257
; %bb.250:                              ;   in Loop: Header=BB324_12 Depth=1
	v_cmp_ne_u16_sdwa s2, v82, v41 src0_sel:BYTE_1 src1_sel:DWORD
	v_bfrev_b32_e32 v79, 1
	s_and_saveexec_b32 s42, s2
	s_cbranch_execz .LBB324_256
; %bb.251:                              ;   in Loop: Header=BB324_12 Depth=1
	v_and_b32_sdwa v21, v42, v82 dst_sel:DWORD dst_unused:UNUSED_PAD src0_sel:DWORD src1_sel:BYTE_1
	v_mov_b32_e32 v79, 0x7f800001
	s_mov_b32 s43, exec_lo
	v_and_b32_e32 v80, 0x7f, v21
	v_cmpx_ne_u32_e32 0x7f, v80
	s_cbranch_execz .LBB324_255
; %bb.252:                              ;   in Loop: Header=BB324_12 Depth=1
	v_and_b32_e32 v21, 7, v21
	v_lshrrev_b32_e32 v79, 3, v80
	s_mov_b32 s44, exec_lo
	v_cmpx_gt_u32_e32 8, v80
; %bb.253:                              ;   in Loop: Header=BB324_12 Depth=1
	v_ffbh_u32_e32 v79, v21
	v_min_u32_e32 v79, 32, v79
	v_subrev_nc_u32_e32 v80, 28, v79
	v_sub_nc_u32_e32 v79, 29, v79
	v_lshlrev_b64 v[80:81], v80, v[21:22]
	v_and_b32_e32 v21, 7, v80
; %bb.254:                              ;   in Loop: Header=BB324_12 Depth=1
	s_or_b32 exec_lo, exec_lo, s44
	v_lshlrev_b32_e32 v80, 16, v82
	v_lshlrev_b32_e32 v21, 20, v21
	v_lshl_add_u32 v79, v79, 23, 0x3c000000
	v_and_b32_e32 v80, 0x80000000, v80
	v_or3_b32 v79, v21, v80, v79
.LBB324_255:                            ;   in Loop: Header=BB324_12 Depth=1
	s_or_b32 exec_lo, exec_lo, s43
.LBB324_256:                            ;   in Loop: Header=BB324_12 Depth=1
	s_or_b32 exec_lo, exec_lo, s42
.LBB324_257:                            ;   in Loop: Header=BB324_12 Depth=1
	s_or_b32 exec_lo, exec_lo, s41
	v_and_b32_sdwa v21, v82, v43 dst_sel:DWORD dst_unused:UNUSED_PAD src0_sel:WORD_1 src1_sel:DWORD
	v_mov_b32_e32 v80, 0
	v_mov_b32_e32 v81, 0
	s_mov_b32 s41, exec_lo
	v_cmpx_ne_u16_e32 0, v21
	s_cbranch_execz .LBB324_265
; %bb.258:                              ;   in Loop: Header=BB324_12 Depth=1
	v_bfrev_b32_e32 v81, 1
	s_mov_b32 s42, exec_lo
	v_cmpx_ne_u16_e32 0x80, v21
	s_cbranch_execz .LBB324_264
; %bb.259:                              ;   in Loop: Header=BB324_12 Depth=1
	v_bfe_u32 v83, v82, 16, 7
	v_mov_b32_e32 v81, 0x7f800001
	s_mov_b32 s43, exec_lo
	v_cmpx_ne_u32_e32 0x7f, v83
	s_cbranch_execz .LBB324_263
; %bb.260:                              ;   in Loop: Header=BB324_12 Depth=1
	v_and_b32_sdwa v21, v82, v44 dst_sel:DWORD dst_unused:UNUSED_PAD src0_sel:WORD_1 src1_sel:DWORD
	v_lshrrev_b32_e32 v81, 3, v83
	s_mov_b32 s44, exec_lo
	v_cmpx_gt_u32_e32 8, v83
; %bb.261:                              ;   in Loop: Header=BB324_12 Depth=1
	v_ffbh_u32_e32 v81, v21
	v_min_u32_e32 v81, 32, v81
	v_subrev_nc_u32_e32 v83, 28, v81
	v_sub_nc_u32_e32 v81, 29, v81
	v_lshlrev_b64 v[83:84], v83, v[21:22]
	v_and_b32_e32 v21, 7, v83
; %bb.262:                              ;   in Loop: Header=BB324_12 Depth=1
	s_or_b32 exec_lo, exec_lo, s44
	v_lshlrev_b32_sdwa v83, v45, v82 dst_sel:DWORD dst_unused:UNUSED_PAD src0_sel:DWORD src1_sel:WORD_1
	v_lshlrev_b32_e32 v21, 20, v21
	v_lshl_add_u32 v81, v81, 23, 0x3c000000
	v_and_b32_e32 v83, 0x80000000, v83
	v_or3_b32 v81, v21, v83, v81
.LBB324_263:                            ;   in Loop: Header=BB324_12 Depth=1
	s_or_b32 exec_lo, exec_lo, s43
.LBB324_264:                            ;   in Loop: Header=BB324_12 Depth=1
	s_or_b32 exec_lo, exec_lo, s42
.LBB324_265:                            ;   in Loop: Header=BB324_12 Depth=1
	s_or_b32 exec_lo, exec_lo, s41
	s_mov_b32 s41, exec_lo
	v_cmpx_lt_u32_e32 0xffffff, v82
	s_cbranch_execz .LBB324_273
; %bb.266:                              ;   in Loop: Header=BB324_12 Depth=1
	v_cmp_ne_u32_sdwa s2, v82, v41 src0_sel:BYTE_3 src1_sel:DWORD
	v_bfrev_b32_e32 v80, 1
	s_and_saveexec_b32 s42, s2
	s_cbranch_execz .LBB324_272
; %bb.267:                              ;   in Loop: Header=BB324_12 Depth=1
	v_bfe_u32 v83, v82, 24, 7
	v_mov_b32_e32 v80, 0x7f800001
	s_mov_b32 s43, exec_lo
	v_cmpx_ne_u32_e32 0x7f, v83
	s_cbranch_execz .LBB324_271
; %bb.268:                              ;   in Loop: Header=BB324_12 Depth=1
	v_and_b32_sdwa v21, v82, v44 dst_sel:DWORD dst_unused:UNUSED_PAD src0_sel:BYTE_3 src1_sel:DWORD
	v_lshrrev_b32_e32 v80, 3, v83
	s_mov_b32 s44, exec_lo
	v_cmpx_gt_u32_e32 8, v83
; %bb.269:                              ;   in Loop: Header=BB324_12 Depth=1
	v_ffbh_u32_e32 v80, v21
	v_min_u32_e32 v80, 32, v80
	v_subrev_nc_u32_e32 v83, 28, v80
	v_sub_nc_u32_e32 v80, 29, v80
	v_lshlrev_b64 v[83:84], v83, v[21:22]
	v_and_b32_e32 v21, 7, v83
; %bb.270:                              ;   in Loop: Header=BB324_12 Depth=1
	s_or_b32 exec_lo, exec_lo, s44
	v_lshlrev_b32_sdwa v82, v45, v82 dst_sel:DWORD dst_unused:UNUSED_PAD src0_sel:DWORD src1_sel:BYTE_3
	v_lshlrev_b32_e32 v21, 20, v21
	v_lshl_add_u32 v80, v80, 23, 0x3c000000
	v_and_b32_e32 v82, 0x80000000, v82
	v_or3_b32 v80, v21, v82, v80
.LBB324_271:                            ;   in Loop: Header=BB324_12 Depth=1
	s_or_b32 exec_lo, exec_lo, s43
.LBB324_272:                            ;   in Loop: Header=BB324_12 Depth=1
	s_or_b32 exec_lo, exec_lo, s42
.LBB324_273:                            ;   in Loop: Header=BB324_12 Depth=1
	s_or_b32 exec_lo, exec_lo, s41
	global_load_dword v84, v[27:28], off offset:1024
	v_mov_b32_e32 v83, 0
	v_mov_b32_e32 v82, 0
	s_waitcnt vmcnt(0)
	v_cmp_ne_u16_sdwa s2, v84, v22 src0_sel:BYTE_0 src1_sel:DWORD
	s_and_saveexec_b32 s41, s2
	s_cbranch_execz .LBB324_281
; %bb.274:                              ;   in Loop: Header=BB324_12 Depth=1
	v_cmp_ne_u16_sdwa s2, v84, v41 src0_sel:BYTE_0 src1_sel:DWORD
	v_bfrev_b32_e32 v82, 1
	s_and_saveexec_b32 s42, s2
	s_cbranch_execz .LBB324_280
; %bb.275:                              ;   in Loop: Header=BB324_12 Depth=1
	v_and_b32_e32 v85, 0x7f, v84
	v_mov_b32_e32 v82, 0x7f800001
	s_mov_b32 s43, exec_lo
	v_cmpx_ne_u32_e32 0x7f, v85
	s_cbranch_execz .LBB324_279
; %bb.276:                              ;   in Loop: Header=BB324_12 Depth=1
	v_and_b32_e32 v21, 7, v84
	v_lshrrev_b32_e32 v82, 3, v85
	s_mov_b32 s44, exec_lo
	v_cmpx_gt_u32_e32 8, v85
; %bb.277:                              ;   in Loop: Header=BB324_12 Depth=1
	v_ffbh_u32_e32 v82, v21
	v_min_u32_e32 v82, 32, v82
	v_subrev_nc_u32_e32 v85, 28, v82
	v_sub_nc_u32_e32 v82, 29, v82
	v_lshlrev_b64 v[85:86], v85, v[21:22]
	v_and_b32_e32 v21, 7, v85
; %bb.278:                              ;   in Loop: Header=BB324_12 Depth=1
	s_or_b32 exec_lo, exec_lo, s44
	v_lshlrev_b32_e32 v85, 24, v84
	v_lshlrev_b32_e32 v21, 20, v21
	v_lshl_add_u32 v82, v82, 23, 0x3c000000
	v_and_b32_e32 v85, 0x80000000, v85
	v_or3_b32 v82, v21, v85, v82
.LBB324_279:                            ;   in Loop: Header=BB324_12 Depth=1
	s_or_b32 exec_lo, exec_lo, s43
.LBB324_280:                            ;   in Loop: Header=BB324_12 Depth=1
	s_or_b32 exec_lo, exec_lo, s42
.LBB324_281:                            ;   in Loop: Header=BB324_12 Depth=1
	s_or_b32 exec_lo, exec_lo, s41
	v_cmp_ne_u16_sdwa s2, v84, v22 src0_sel:BYTE_1 src1_sel:DWORD
	s_and_saveexec_b32 s41, s2
	s_cbranch_execz .LBB324_289
; %bb.282:                              ;   in Loop: Header=BB324_12 Depth=1
	v_cmp_ne_u16_sdwa s2, v84, v41 src0_sel:BYTE_1 src1_sel:DWORD
	v_bfrev_b32_e32 v83, 1
	s_and_saveexec_b32 s42, s2
	s_cbranch_execz .LBB324_288
; %bb.283:                              ;   in Loop: Header=BB324_12 Depth=1
	v_and_b32_sdwa v21, v42, v84 dst_sel:DWORD dst_unused:UNUSED_PAD src0_sel:DWORD src1_sel:BYTE_1
	v_mov_b32_e32 v83, 0x7f800001
	s_mov_b32 s43, exec_lo
	v_and_b32_e32 v85, 0x7f, v21
	v_cmpx_ne_u32_e32 0x7f, v85
	s_cbranch_execz .LBB324_287
; %bb.284:                              ;   in Loop: Header=BB324_12 Depth=1
	v_and_b32_e32 v21, 7, v21
	v_lshrrev_b32_e32 v83, 3, v85
	s_mov_b32 s44, exec_lo
	v_cmpx_gt_u32_e32 8, v85
; %bb.285:                              ;   in Loop: Header=BB324_12 Depth=1
	v_ffbh_u32_e32 v83, v21
	v_min_u32_e32 v83, 32, v83
	v_subrev_nc_u32_e32 v85, 28, v83
	v_sub_nc_u32_e32 v83, 29, v83
	v_lshlrev_b64 v[85:86], v85, v[21:22]
	v_and_b32_e32 v21, 7, v85
; %bb.286:                              ;   in Loop: Header=BB324_12 Depth=1
	s_or_b32 exec_lo, exec_lo, s44
	v_lshlrev_b32_e32 v85, 16, v84
	v_lshlrev_b32_e32 v21, 20, v21
	v_lshl_add_u32 v83, v83, 23, 0x3c000000
	v_and_b32_e32 v85, 0x80000000, v85
	v_or3_b32 v83, v21, v85, v83
.LBB324_287:                            ;   in Loop: Header=BB324_12 Depth=1
	s_or_b32 exec_lo, exec_lo, s43
.LBB324_288:                            ;   in Loop: Header=BB324_12 Depth=1
	s_or_b32 exec_lo, exec_lo, s42
.LBB324_289:                            ;   in Loop: Header=BB324_12 Depth=1
	s_or_b32 exec_lo, exec_lo, s41
	v_and_b32_sdwa v21, v84, v43 dst_sel:DWORD dst_unused:UNUSED_PAD src0_sel:WORD_1 src1_sel:DWORD
	v_mov_b32_e32 v86, 0
	v_mov_b32_e32 v87, 0
	s_mov_b32 s41, exec_lo
	v_cmpx_ne_u16_e32 0, v21
	s_cbranch_execz .LBB324_297
; %bb.290:                              ;   in Loop: Header=BB324_12 Depth=1
	v_bfrev_b32_e32 v87, 1
	s_mov_b32 s42, exec_lo
	v_cmpx_ne_u16_e32 0x80, v21
	s_cbranch_execz .LBB324_296
; %bb.291:                              ;   in Loop: Header=BB324_12 Depth=1
	v_bfe_u32 v88, v84, 16, 7
	v_mov_b32_e32 v87, 0x7f800001
	s_mov_b32 s43, exec_lo
	v_cmpx_ne_u32_e32 0x7f, v88
	s_cbranch_execz .LBB324_295
; %bb.292:                              ;   in Loop: Header=BB324_12 Depth=1
	v_and_b32_sdwa v21, v84, v44 dst_sel:DWORD dst_unused:UNUSED_PAD src0_sel:WORD_1 src1_sel:DWORD
	v_lshrrev_b32_e32 v85, 3, v88
	s_mov_b32 s44, exec_lo
	v_cmpx_gt_u32_e32 8, v88
; %bb.293:                              ;   in Loop: Header=BB324_12 Depth=1
	v_ffbh_u32_e32 v85, v21
	v_min_u32_e32 v85, 32, v85
	v_subrev_nc_u32_e32 v87, 28, v85
	v_sub_nc_u32_e32 v85, 29, v85
	v_lshlrev_b64 v[87:88], v87, v[21:22]
	v_and_b32_e32 v21, 7, v87
; %bb.294:                              ;   in Loop: Header=BB324_12 Depth=1
	s_or_b32 exec_lo, exec_lo, s44
	v_lshlrev_b32_sdwa v87, v45, v84 dst_sel:DWORD dst_unused:UNUSED_PAD src0_sel:DWORD src1_sel:WORD_1
	v_lshlrev_b32_e32 v21, 20, v21
	v_lshl_add_u32 v85, v85, 23, 0x3c000000
	v_and_b32_e32 v87, 0x80000000, v87
	v_or3_b32 v87, v21, v87, v85
.LBB324_295:                            ;   in Loop: Header=BB324_12 Depth=1
	s_or_b32 exec_lo, exec_lo, s43
.LBB324_296:                            ;   in Loop: Header=BB324_12 Depth=1
	s_or_b32 exec_lo, exec_lo, s42
.LBB324_297:                            ;   in Loop: Header=BB324_12 Depth=1
	s_or_b32 exec_lo, exec_lo, s41
	s_mov_b32 s41, exec_lo
	v_cmpx_lt_u32_e32 0xffffff, v84
	s_cbranch_execz .LBB324_305
; %bb.298:                              ;   in Loop: Header=BB324_12 Depth=1
	v_cmp_ne_u32_sdwa s2, v84, v41 src0_sel:BYTE_3 src1_sel:DWORD
	v_bfrev_b32_e32 v86, 1
	s_and_saveexec_b32 s42, s2
	s_cbranch_execz .LBB324_304
; %bb.299:                              ;   in Loop: Header=BB324_12 Depth=1
	v_bfe_u32 v88, v84, 24, 7
	v_mov_b32_e32 v86, 0x7f800001
	s_mov_b32 s43, exec_lo
	v_cmpx_ne_u32_e32 0x7f, v88
	s_cbranch_execz .LBB324_303
; %bb.300:                              ;   in Loop: Header=BB324_12 Depth=1
	v_and_b32_sdwa v21, v84, v44 dst_sel:DWORD dst_unused:UNUSED_PAD src0_sel:BYTE_3 src1_sel:DWORD
	v_lshrrev_b32_e32 v85, 3, v88
	s_mov_b32 s44, exec_lo
	v_cmpx_gt_u32_e32 8, v88
; %bb.301:                              ;   in Loop: Header=BB324_12 Depth=1
	v_ffbh_u32_e32 v85, v21
	v_min_u32_e32 v85, 32, v85
	v_subrev_nc_u32_e32 v86, 28, v85
	v_sub_nc_u32_e32 v85, 29, v85
	v_lshlrev_b64 v[88:89], v86, v[21:22]
	v_and_b32_e32 v21, 7, v88
; %bb.302:                              ;   in Loop: Header=BB324_12 Depth=1
	s_or_b32 exec_lo, exec_lo, s44
	v_lshlrev_b32_sdwa v84, v45, v84 dst_sel:DWORD dst_unused:UNUSED_PAD src0_sel:DWORD src1_sel:BYTE_3
	v_lshlrev_b32_e32 v21, 20, v21
	v_lshl_add_u32 v85, v85, 23, 0x3c000000
	v_and_b32_e32 v84, 0x80000000, v84
	v_or3_b32 v86, v21, v84, v85
.LBB324_303:                            ;   in Loop: Header=BB324_12 Depth=1
	s_or_b32 exec_lo, exec_lo, s43
.LBB324_304:                            ;   in Loop: Header=BB324_12 Depth=1
	s_or_b32 exec_lo, exec_lo, s42
.LBB324_305:                            ;   in Loop: Header=BB324_12 Depth=1
	s_or_b32 exec_lo, exec_lo, s41
	global_load_dword v27, v[27:28], off offset:1032
	v_mov_b32_e32 v88, 0
	v_mov_b32_e32 v28, 0
	s_waitcnt vmcnt(0)
	v_cmp_ne_u16_sdwa s2, v27, v22 src0_sel:BYTE_0 src1_sel:DWORD
	s_and_saveexec_b32 s41, s2
	s_cbranch_execz .LBB324_313
; %bb.306:                              ;   in Loop: Header=BB324_12 Depth=1
	v_cmp_ne_u16_sdwa s2, v27, v41 src0_sel:BYTE_0 src1_sel:DWORD
	v_bfrev_b32_e32 v28, 1
	s_and_saveexec_b32 s42, s2
	s_cbranch_execz .LBB324_312
; %bb.307:                              ;   in Loop: Header=BB324_12 Depth=1
	v_and_b32_e32 v84, 0x7f, v27
	v_mov_b32_e32 v28, 0x7f800001
	s_mov_b32 s43, exec_lo
	v_cmpx_ne_u32_e32 0x7f, v84
	s_cbranch_execz .LBB324_311
; %bb.308:                              ;   in Loop: Header=BB324_12 Depth=1
	v_and_b32_e32 v21, 7, v27
	v_lshrrev_b32_e32 v28, 3, v84
	s_mov_b32 s44, exec_lo
	v_cmpx_gt_u32_e32 8, v84
; %bb.309:                              ;   in Loop: Header=BB324_12 Depth=1
	v_ffbh_u32_e32 v28, v21
	v_min_u32_e32 v28, 32, v28
	v_subrev_nc_u32_e32 v84, 28, v28
	v_sub_nc_u32_e32 v28, 29, v28
	v_lshlrev_b64 v[84:85], v84, v[21:22]
	v_and_b32_e32 v21, 7, v84
; %bb.310:                              ;   in Loop: Header=BB324_12 Depth=1
	s_or_b32 exec_lo, exec_lo, s44
	v_lshlrev_b32_e32 v84, 24, v27
	v_lshlrev_b32_e32 v21, 20, v21
	v_lshl_add_u32 v28, v28, 23, 0x3c000000
	v_and_b32_e32 v84, 0x80000000, v84
	v_or3_b32 v28, v21, v84, v28
.LBB324_311:                            ;   in Loop: Header=BB324_12 Depth=1
	s_or_b32 exec_lo, exec_lo, s43
.LBB324_312:                            ;   in Loop: Header=BB324_12 Depth=1
	s_or_b32 exec_lo, exec_lo, s42
.LBB324_313:                            ;   in Loop: Header=BB324_12 Depth=1
	s_or_b32 exec_lo, exec_lo, s41
	v_cmp_ne_u16_sdwa s2, v27, v22 src0_sel:BYTE_1 src1_sel:DWORD
	s_and_saveexec_b32 s41, s2
	s_cbranch_execz .LBB324_321
; %bb.314:                              ;   in Loop: Header=BB324_12 Depth=1
	v_cmp_ne_u16_sdwa s2, v27, v41 src0_sel:BYTE_1 src1_sel:DWORD
	v_bfrev_b32_e32 v88, 1
	s_and_saveexec_b32 s42, s2
	s_cbranch_execz .LBB324_320
; %bb.315:                              ;   in Loop: Header=BB324_12 Depth=1
	v_and_b32_sdwa v21, v42, v27 dst_sel:DWORD dst_unused:UNUSED_PAD src0_sel:DWORD src1_sel:BYTE_1
	v_mov_b32_e32 v88, 0x7f800001
	s_mov_b32 s43, exec_lo
	v_and_b32_e32 v85, 0x7f, v21
	v_cmpx_ne_u32_e32 0x7f, v85
	s_cbranch_execz .LBB324_319
; %bb.316:                              ;   in Loop: Header=BB324_12 Depth=1
	v_and_b32_e32 v21, 7, v21
	v_lshrrev_b32_e32 v84, 3, v85
	s_mov_b32 s44, exec_lo
	v_cmpx_gt_u32_e32 8, v85
; %bb.317:                              ;   in Loop: Header=BB324_12 Depth=1
	v_ffbh_u32_e32 v84, v21
	v_min_u32_e32 v84, 32, v84
	v_subrev_nc_u32_e32 v85, 28, v84
	v_sub_nc_u32_e32 v84, 29, v84
	v_lshlrev_b64 v[88:89], v85, v[21:22]
	v_and_b32_e32 v21, 7, v88
; %bb.318:                              ;   in Loop: Header=BB324_12 Depth=1
	s_or_b32 exec_lo, exec_lo, s44
	v_lshlrev_b32_e32 v85, 16, v27
	v_lshlrev_b32_e32 v21, 20, v21
	v_lshl_add_u32 v84, v84, 23, 0x3c000000
	v_and_b32_e32 v85, 0x80000000, v85
	v_or3_b32 v88, v21, v85, v84
.LBB324_319:                            ;   in Loop: Header=BB324_12 Depth=1
	s_or_b32 exec_lo, exec_lo, s43
.LBB324_320:                            ;   in Loop: Header=BB324_12 Depth=1
	s_or_b32 exec_lo, exec_lo, s42
.LBB324_321:                            ;   in Loop: Header=BB324_12 Depth=1
	s_or_b32 exec_lo, exec_lo, s41
	v_and_b32_sdwa v21, v27, v43 dst_sel:DWORD dst_unused:UNUSED_PAD src0_sel:WORD_1 src1_sel:DWORD
	v_mov_b32_e32 v84, 0
	v_mov_b32_e32 v85, 0
	s_mov_b32 s41, exec_lo
	v_cmpx_ne_u16_e32 0, v21
	s_cbranch_execz .LBB324_329
; %bb.322:                              ;   in Loop: Header=BB324_12 Depth=1
	v_bfrev_b32_e32 v85, 1
	s_mov_b32 s42, exec_lo
	v_cmpx_ne_u16_e32 0x80, v21
	s_cbranch_execz .LBB324_328
; %bb.323:                              ;   in Loop: Header=BB324_12 Depth=1
	v_bfe_u32 v89, v27, 16, 7
	v_mov_b32_e32 v85, 0x7f800001
	s_mov_b32 s43, exec_lo
	v_cmpx_ne_u32_e32 0x7f, v89
	s_cbranch_execz .LBB324_327
; %bb.324:                              ;   in Loop: Header=BB324_12 Depth=1
	v_and_b32_sdwa v21, v27, v44 dst_sel:DWORD dst_unused:UNUSED_PAD src0_sel:WORD_1 src1_sel:DWORD
	v_lshrrev_b32_e32 v85, 3, v89
	s_mov_b32 s44, exec_lo
	v_cmpx_gt_u32_e32 8, v89
; %bb.325:                              ;   in Loop: Header=BB324_12 Depth=1
	v_ffbh_u32_e32 v85, v21
	v_min_u32_e32 v85, 32, v85
	v_subrev_nc_u32_e32 v89, 28, v85
	v_sub_nc_u32_e32 v85, 29, v85
	v_lshlrev_b64 v[89:90], v89, v[21:22]
	v_and_b32_e32 v21, 7, v89
; %bb.326:                              ;   in Loop: Header=BB324_12 Depth=1
	s_or_b32 exec_lo, exec_lo, s44
	v_lshlrev_b32_sdwa v89, v45, v27 dst_sel:DWORD dst_unused:UNUSED_PAD src0_sel:DWORD src1_sel:WORD_1
	v_lshlrev_b32_e32 v21, 20, v21
	v_lshl_add_u32 v85, v85, 23, 0x3c000000
	v_and_b32_e32 v89, 0x80000000, v89
	v_or3_b32 v85, v21, v89, v85
.LBB324_327:                            ;   in Loop: Header=BB324_12 Depth=1
	s_or_b32 exec_lo, exec_lo, s43
.LBB324_328:                            ;   in Loop: Header=BB324_12 Depth=1
	s_or_b32 exec_lo, exec_lo, s42
.LBB324_329:                            ;   in Loop: Header=BB324_12 Depth=1
	s_or_b32 exec_lo, exec_lo, s41
	s_mov_b32 s41, exec_lo
	v_cmpx_lt_u32_e32 0xffffff, v27
	s_cbranch_execz .LBB324_337
; %bb.330:                              ;   in Loop: Header=BB324_12 Depth=1
	v_cmp_ne_u32_sdwa s2, v27, v41 src0_sel:BYTE_3 src1_sel:DWORD
	v_bfrev_b32_e32 v84, 1
	s_and_saveexec_b32 s42, s2
	s_cbranch_execz .LBB324_336
; %bb.331:                              ;   in Loop: Header=BB324_12 Depth=1
	v_bfe_u32 v89, v27, 24, 7
	v_mov_b32_e32 v84, 0x7f800001
	s_mov_b32 s43, exec_lo
	v_cmpx_ne_u32_e32 0x7f, v89
	s_cbranch_execz .LBB324_335
; %bb.332:                              ;   in Loop: Header=BB324_12 Depth=1
	v_and_b32_sdwa v21, v27, v44 dst_sel:DWORD dst_unused:UNUSED_PAD src0_sel:BYTE_3 src1_sel:DWORD
	v_lshrrev_b32_e32 v84, 3, v89
	s_mov_b32 s44, exec_lo
	v_cmpx_gt_u32_e32 8, v89
; %bb.333:                              ;   in Loop: Header=BB324_12 Depth=1
	v_ffbh_u32_e32 v84, v21
	v_min_u32_e32 v84, 32, v84
	v_subrev_nc_u32_e32 v89, 28, v84
	v_sub_nc_u32_e32 v84, 29, v84
	v_lshlrev_b64 v[89:90], v89, v[21:22]
	v_and_b32_e32 v21, 7, v89
; %bb.334:                              ;   in Loop: Header=BB324_12 Depth=1
	s_or_b32 exec_lo, exec_lo, s44
	v_lshlrev_b32_sdwa v27, v45, v27 dst_sel:DWORD dst_unused:UNUSED_PAD src0_sel:DWORD src1_sel:BYTE_3
	v_lshlrev_b32_e32 v21, 20, v21
	v_lshl_add_u32 v84, v84, 23, 0x3c000000
	v_and_b32_e32 v27, 0x80000000, v27
	v_or3_b32 v84, v21, v27, v84
.LBB324_335:                            ;   in Loop: Header=BB324_12 Depth=1
	s_or_b32 exec_lo, exec_lo, s43
.LBB324_336:                            ;   in Loop: Header=BB324_12 Depth=1
	s_or_b32 exec_lo, exec_lo, s42
.LBB324_337:                            ;   in Loop: Header=BB324_12 Depth=1
	s_or_b32 exec_lo, exec_lo, s41
	s_waitcnt lgkmcnt(0)
	v_mul_f32_e32 v21, s40, v88
	v_mul_f32_e32 v27, s40, v28
	v_mul_f32_e32 v28, s40, v87
	v_mul_f32_e32 v86, s40, v86
	v_mul_f32_e32 v83, s40, v83
	v_bfe_u32 v87, v21, 16, 1
	v_bfe_u32 v88, v27, 16, 1
	v_or_b32_e32 v89, 0x400000, v21
	v_cmp_u_f32_e64 s2, v21, v21
	v_or_b32_e32 v90, 0x400000, v27
	v_add3_u32 v87, v87, v21, 0x7fff
	v_bfe_u32 v91, v28, 16, 1
	v_add3_u32 v88, v88, v27, 0x7fff
	v_bfe_u32 v92, v86, 16, 1
	v_mul_f32_e32 v63, s40, v63
	v_cndmask_b32_e64 v21, v87, v89, s2
	v_cmp_u_f32_e64 s2, v27, v27
	v_add3_u32 v87, v91, v28, 0x7fff
	v_add3_u32 v89, v92, v86, 0x7fff
	v_or_b32_e32 v91, 0x400000, v86
	v_bfe_u32 v92, v83, 16, 1
	v_cndmask_b32_e64 v27, v88, v90, s2
	v_or_b32_e32 v88, 0x400000, v28
	v_cmp_u_f32_e64 s2, v28, v28
	v_mul_f32_e32 v90, s40, v82
	v_mul_f32_e32 v62, s40, v62
	v_mul_f32_e32 v61, s40, v61
	v_mul_f32_e32 v60, s40, v60
	v_cndmask_b32_e64 v82, v87, v88, s2
	v_cmp_u_f32_e64 s2, v86, v86
	v_bfe_u32 v87, v90, 16, 1
	v_add3_u32 v86, v92, v83, 0x7fff
	v_mul_f32_e32 v88, s40, v81
	v_or_b32_e32 v81, 0x400000, v83
	v_cndmask_b32_e64 v28, v89, v91, s2
	v_cmp_u_f32_e64 s2, v83, v83
	v_add3_u32 v87, v87, v90, 0x7fff
	v_mul_f32_e32 v89, s40, v80
	v_or_b32_e32 v91, 0x400000, v90
	v_bfe_u32 v92, v88, 16, 1
	v_cndmask_b32_e64 v80, v86, v81, s2
	v_cmp_u_f32_e64 s2, v90, v90
	v_bfe_u32 v83, v89, 16, 1
	v_mul_f32_e32 v90, s40, v78
	v_add3_u32 v86, v92, v88, 0x7fff
	v_mul_f32_e32 v59, s40, v59
	v_cndmask_b32_e64 v81, v87, v91, s2
	v_mul_f32_e32 v87, s40, v79
	v_or_b32_e32 v79, 0x400000, v88
	v_cmp_u_f32_e64 s2, v88, v88
	v_add3_u32 v83, v83, v89, 0x7fff
	v_or_b32_e32 v91, 0x400000, v89
	v_bfe_u32 v92, v87, 16, 1
	v_mul_f32_e32 v88, s40, v77
	v_cndmask_b32_e64 v78, v86, v79, s2
	v_cmp_u_f32_e64 s2, v89, v89
	v_bfe_u32 v86, v90, 16, 1
	v_or_b32_e32 v77, 0x400000, v87
	v_mul_f32_e32 v89, s40, v76
	v_mul_f32_e32 v58, s40, v58
	v_cndmask_b32_e64 v79, v83, v91, s2
	v_add3_u32 v83, v92, v87, 0x7fff
	v_cmp_u_f32_e64 s2, v87, v87
	v_add3_u32 v86, v86, v90, 0x7fff
	v_or_b32_e32 v91, 0x400000, v90
	v_bfe_u32 v92, v88, 16, 1
	v_mul_f32_e32 v87, s40, v75
	v_cndmask_b32_e64 v76, v83, v77, s2
	v_cmp_u_f32_e64 s2, v90, v90
	v_bfe_u32 v83, v89, 16, 1
	v_or_b32_e32 v75, 0x400000, v88
	v_mul_f32_e32 v90, s40, v74
	v_mul_f32_e32 v57, s40, v57
	v_cndmask_b32_e64 v77, v86, v91, s2
	v_add3_u32 v86, v92, v88, 0x7fff
	v_cmp_u_f32_e64 s2, v88, v88
	v_add3_u32 v83, v83, v89, 0x7fff
	v_or_b32_e32 v91, 0x400000, v89
	v_bfe_u32 v92, v87, 16, 1
	v_mul_f32_e32 v88, s40, v73
	v_cndmask_b32_e64 v74, v86, v75, s2
	v_cmp_u_f32_e64 s2, v89, v89
	v_bfe_u32 v86, v90, 16, 1
	v_or_b32_e32 v73, 0x400000, v87
	v_mul_f32_e32 v89, s40, v72
	v_mul_f32_e32 v56, s40, v56
	v_cndmask_b32_e64 v75, v83, v91, s2
	v_add3_u32 v83, v92, v87, 0x7fff
	v_cmp_u_f32_e64 s2, v87, v87
	v_add3_u32 v86, v86, v90, 0x7fff
	v_or_b32_e32 v91, 0x400000, v90
	v_bfe_u32 v92, v88, 16, 1
	v_mul_f32_e32 v87, s40, v71
	v_cndmask_b32_e64 v72, v83, v73, s2
	v_cmp_u_f32_e64 s2, v90, v90
	v_bfe_u32 v83, v89, 16, 1
	v_or_b32_e32 v71, 0x400000, v88
	v_mul_f32_e32 v90, s40, v70
	v_mul_f32_e32 v55, s40, v55
	v_cndmask_b32_e64 v73, v86, v91, s2
	v_add3_u32 v86, v92, v88, 0x7fff
	v_cmp_u_f32_e64 s2, v88, v88
	v_add3_u32 v83, v83, v89, 0x7fff
	v_or_b32_e32 v91, 0x400000, v89
	v_bfe_u32 v92, v87, 16, 1
	v_mul_f32_e32 v88, s40, v69
	v_cndmask_b32_e64 v70, v86, v71, s2
	v_cmp_u_f32_e64 s2, v89, v89
	v_bfe_u32 v86, v90, 16, 1
	v_or_b32_e32 v69, 0x400000, v87
	v_mul_f32_e32 v89, s40, v68
	v_mul_f32_e32 v54, s40, v54
	v_cndmask_b32_e64 v71, v83, v91, s2
	v_add3_u32 v83, v92, v87, 0x7fff
	v_cmp_u_f32_e64 s2, v87, v87
	v_add3_u32 v86, v86, v90, 0x7fff
	v_or_b32_e32 v91, 0x400000, v90
	v_bfe_u32 v92, v88, 16, 1
	v_mul_f32_e32 v87, s40, v67
	v_cndmask_b32_e64 v68, v83, v69, s2
	v_cmp_u_f32_e64 s2, v90, v90
	v_bfe_u32 v83, v89, 16, 1
	v_or_b32_e32 v67, 0x400000, v88
	v_mul_f32_e32 v90, s40, v66
	v_mul_f32_e32 v53, s40, v53
	v_cndmask_b32_e64 v69, v86, v91, s2
	v_add3_u32 v86, v92, v88, 0x7fff
	v_cmp_u_f32_e64 s2, v88, v88
	v_add3_u32 v83, v83, v89, 0x7fff
	v_or_b32_e32 v91, 0x400000, v89
	v_bfe_u32 v92, v87, 16, 1
	v_mul_f32_e32 v88, s40, v65
	v_cndmask_b32_e64 v66, v86, v67, s2
	v_cmp_u_f32_e64 s2, v89, v89
	v_bfe_u32 v86, v90, 16, 1
	v_or_b32_e32 v65, 0x400000, v87
	v_mul_f32_e32 v89, s40, v64
	v_mul_f32_e32 v52, s40, v52
	v_cndmask_b32_e64 v67, v83, v91, s2
	v_add3_u32 v83, v92, v87, 0x7fff
	v_cmp_u_f32_e64 s2, v87, v87
	v_add3_u32 v86, v86, v90, 0x7fff
	v_or_b32_e32 v91, 0x400000, v90
	v_bfe_u32 v92, v88, 16, 1
	v_or_b32_e32 v87, 0x400000, v88
	v_cndmask_b32_e64 v64, v83, v65, s2
	v_cmp_u_f32_e64 s2, v90, v90
	v_bfe_u32 v83, v89, 16, 1
	v_or_b32_e32 v90, 0x400000, v89
	v_mul_f32_e32 v51, s40, v51
	v_mul_f32_e32 v50, s40, v50
	v_cndmask_b32_e64 v65, v86, v91, s2
	v_add3_u32 v86, v92, v88, 0x7fff
	v_cmp_u_f32_e64 s2, v88, v88
	v_add3_u32 v83, v83, v89, 0x7fff
	v_bfe_u32 v91, v63, 16, 1
	v_or_b32_e32 v92, 0x400000, v50
	v_lshlrev_b32_e32 v93, 16, v15
	v_cndmask_b32_e64 v86, v86, v87, s2
	v_cmp_u_f32_e64 s2, v89, v89
	v_bfe_u32 v87, v62, 16, 1
	v_add3_u32 v88, v91, v63, 0x7fff
	v_or_b32_e32 v89, 0x400000, v63
	v_bfe_u32 v91, v61, 16, 1
	v_cndmask_b32_e64 v83, v83, v90, s2
	v_cmp_u_f32_e64 s2, v63, v63
	v_add3_u32 v87, v87, v62, 0x7fff
	v_or_b32_e32 v90, 0x400000, v62
	v_and_b32_e32 v15, 0xffff0000, v15
	v_lshlrev_b32_e32 v94, 16, v16
	v_cndmask_b32_e64 v63, v88, v89, s2
	v_cmp_u_f32_e64 s2, v62, v62
	v_bfe_u32 v88, v60, 16, 1
	v_or_b32_e32 v89, 0x400000, v61
	v_lshlrev_b32_e32 v95, 16, v9
	v_and_b32_e32 v16, 0xffff0000, v16
	v_cndmask_b32_e64 v62, v87, v90, s2
	v_add3_u32 v87, v91, v61, 0x7fff
	v_cmp_u_f32_e64 s2, v61, v61
	v_add3_u32 v88, v88, v60, 0x7fff
	v_or_b32_e32 v90, 0x400000, v60
	v_bfe_u32 v91, v59, 16, 1
	v_and_b32_e32 v9, 0xffff0000, v9
	v_cndmask_b32_e64 v61, v87, v89, s2
	v_cmp_u_f32_e64 s2, v60, v60
	v_bfe_u32 v87, v58, 16, 1
	v_or_b32_e32 v89, 0x400000, v59
	v_lshlrev_b32_e32 v96, 16, v10
	v_and_b32_e32 v10, 0xffff0000, v10
	v_cndmask_b32_e64 v60, v88, v90, s2
	v_add3_u32 v88, v91, v59, 0x7fff
	v_cmp_u_f32_e64 s2, v59, v59
	v_add3_u32 v87, v87, v58, 0x7fff
	v_or_b32_e32 v90, 0x400000, v58
	v_bfe_u32 v91, v57, 16, 1
	v_lshlrev_b32_e32 v97, 16, v11
	v_cndmask_b32_e64 v59, v88, v89, s2
	v_cmp_u_f32_e64 s2, v58, v58
	v_bfe_u32 v88, v56, 16, 1
	v_or_b32_e32 v89, 0x400000, v57
	v_lshlrev_b32_e32 v98, 16, v12
	v_and_b32_e32 v11, 0xffff0000, v11
	v_cndmask_b32_e64 v58, v87, v90, s2
	v_add3_u32 v87, v91, v57, 0x7fff
	v_cmp_u_f32_e64 s2, v57, v57
	v_add3_u32 v88, v88, v56, 0x7fff
	v_or_b32_e32 v90, 0x400000, v56
	v_bfe_u32 v91, v55, 16, 1
	v_and_b32_e32 v12, 0xffff0000, v12
	v_cndmask_b32_e64 v57, v87, v89, s2
	v_cmp_u_f32_e64 s2, v56, v56
	v_bfe_u32 v87, v54, 16, 1
	v_or_b32_e32 v89, 0x400000, v55
	v_lshlrev_b32_e32 v99, 16, v5
	v_and_b32_e32 v57, 0xffff0000, v57
	v_cndmask_b32_e64 v56, v88, v90, s2
	v_add3_u32 v88, v91, v55, 0x7fff
	v_cmp_u_f32_e64 s2, v55, v55
	v_add3_u32 v87, v87, v54, 0x7fff
	v_or_b32_e32 v90, 0x400000, v54
	v_or_b32_e32 v91, 0x400000, v51
	v_and_b32_e32 v56, 0xffff0000, v56
	v_cndmask_b32_e64 v55, v88, v89, s2
	v_bfe_u32 v88, v53, 16, 1
	v_cmp_u_f32_e64 s2, v54, v54
	v_bfe_u32 v89, v52, 16, 1
	v_lshlrev_b32_e32 v100, 16, v6
	v_and_b32_e32 v55, 0xffff0000, v55
	v_mul_f32_e32 v85, s40, v85
	v_cndmask_b32_e64 v54, v87, v90, s2
	v_add3_u32 v87, v88, v53, 0x7fff
	v_or_b32_e32 v88, 0x400000, v53
	v_cmp_u_f32_e64 s2, v53, v53
	v_bfe_u32 v90, v51, 16, 1
	v_and_b32_e32 v54, 0xffff0000, v54
	v_and_b32_e32 v5, 0xffff0000, v5
	;; [unrolled: 1-line block ×3, first 2 shown]
	v_cndmask_b32_e64 v53, v87, v88, s2
	v_add3_u32 v88, v89, v52, 0x7fff
	v_or_b32_e32 v89, 0x400000, v52
	v_cmp_u_f32_e64 s2, v52, v52
	v_bfe_u32 v87, v50, 16, 1
	v_add3_u32 v90, v90, v51, 0x7fff
	v_and_b32_e32 v53, 0xffff0000, v53
	v_lshlrev_b32_e32 v101, 16, v7
	v_cndmask_b32_e64 v52, v88, v89, s2
	v_cmp_u_f32_e64 s2, v51, v51
	v_add3_u32 v87, v87, v50, 0x7fff
	v_lshlrev_b32_e32 v89, 16, v19
	v_and_b32_e32 v19, 0xffff0000, v19
	v_lshlrev_b32_e32 v88, 16, v18
	v_cndmask_b32_e64 v51, v90, v91, s2
	v_cmp_u_f32_e64 s2, v50, v50
	v_lshlrev_b32_e32 v90, 16, v20
	v_and_b32_e32 v20, 0xffff0000, v20
	v_and_b32_e32 v18, 0xffff0000, v18
	;; [unrolled: 1-line block ×3, first 2 shown]
	v_cndmask_b32_e64 v50, v87, v92, s2
	v_lshlrev_b32_e32 v87, 16, v17
	v_and_b32_e32 v17, 0xffff0000, v17
	v_mul_f32_e32 v54, v89, v54
	v_mul_f32_e32 v19, v19, v55
	v_and_b32_e32 v50, 0xffff0000, v50
	v_and_b32_e32 v52, 0xffff0000, v52
	v_mul_f32_e32 v20, v20, v56
	v_lshlrev_b32_e32 v91, 16, v13
	v_and_b32_e32 v13, 0xffff0000, v13
	v_mul_f32_e32 v55, v90, v57
	v_fmac_f32_e32 v54, v87, v50
	v_fmac_f32_e32 v19, v17, v51
	v_and_b32_e32 v17, 0xffff0000, v58
	v_fmac_f32_e32 v20, v18, v52
	v_and_b32_e32 v18, 0xffff0000, v59
	v_lshlrev_b32_e32 v92, 16, v14
	v_and_b32_e32 v14, 0xffff0000, v14
	v_fmac_f32_e32 v55, v88, v53
	v_and_b32_e32 v50, 0xffff0000, v61
	v_fmac_f32_e32 v54, v91, v17
	;; [unrolled: 2-line block ×3, first 2 shown]
	v_and_b32_e32 v13, 0xffff0000, v63
	v_and_b32_e32 v51, 0xffff0000, v62
	v_fmac_f32_e32 v55, v92, v50
	v_fmac_f32_e32 v20, v14, v17
	v_and_b32_e32 v14, 0xffff0000, v86
	v_and_b32_e32 v17, 0xffff0000, v83
	v_fmac_f32_e32 v19, v15, v13
	v_and_b32_e32 v15, 0xffff0000, v64
	v_fmac_f32_e32 v54, v93, v51
	;; [unrolled: 2-line block ×3, first 2 shown]
	v_fmac_f32_e32 v20, v16, v17
	v_and_b32_e32 v14, 0xffff0000, v66
	v_fmac_f32_e32 v19, v9, v15
	v_and_b32_e32 v9, 0xffff0000, v67
	v_fmac_f32_e32 v54, v95, v13
	v_and_b32_e32 v13, 0xffff0000, v69
	v_fmac_f32_e32 v55, v96, v14
	v_and_b32_e32 v14, 0xffff0000, v68
	v_fmac_f32_e32 v20, v10, v9
	v_and_b32_e32 v9, 0xffff0000, v71
	v_and_b32_e32 v15, 0xffff0000, v70
	v_fmac_f32_e32 v54, v97, v13
	v_fmac_f32_e32 v19, v11, v14
	v_and_b32_e32 v10, 0xffff0000, v73
	v_and_b32_e32 v11, 0xffff0000, v72
	v_fmac_f32_e32 v20, v12, v9
	v_and_b32_e32 v12, 0xffff0000, v75
	v_mul_f32_e32 v84, s40, v84
	v_bfe_u32 v104, v85, 16, 1
	v_and_b32_e32 v7, 0xffff0000, v7
	v_fmac_f32_e32 v55, v98, v15
	v_and_b32_e32 v9, 0xffff0000, v74
	v_fmac_f32_e32 v54, v99, v10
	v_fmac_f32_e32 v19, v5, v11
	v_and_b32_e32 v5, 0xffff0000, v77
	v_fmac_f32_e32 v20, v6, v12
	v_and_b32_e32 v6, 0xffff0000, v76
	v_lshlrev_b32_e32 v102, 16, v8
	v_lshlrev_b32_e32 v103, 16, v1
	v_bfe_u32 v106, v84, 16, 1
	v_add3_u32 v104, v104, v85, 0x7fff
	v_or_b32_e32 v109, 0x400000, v85
	v_cmp_u_f32_e64 s2, v85, v85
	v_and_b32_e32 v8, 0xffff0000, v8
	v_and_b32_e32 v1, 0xffff0000, v1
	v_fmac_f32_e32 v55, v100, v9
	v_and_b32_e32 v9, 0xffff0000, v78
	v_fmac_f32_e32 v54, v101, v5
	v_and_b32_e32 v5, 0xffff0000, v79
	v_and_b32_e32 v10, 0xffff0000, v81
	v_fmac_f32_e32 v19, v7, v6
	v_and_b32_e32 v6, 0xffff0000, v80
	v_lshlrev_b32_e32 v105, 16, v2
	v_lshlrev_b32_e32 v107, 16, v3
	v_add3_u32 v106, v106, v84, 0x7fff
	v_or_b32_e32 v110, 0x400000, v84
	v_cndmask_b32_e64 v85, v104, v109, s2
	v_cmp_u_f32_e64 s2, v84, v84
	v_and_b32_e32 v3, 0xffff0000, v3
	v_fmac_f32_e32 v55, v102, v9
	v_fmac_f32_e32 v20, v8, v5
	;; [unrolled: 1-line block ×3, first 2 shown]
	v_and_b32_e32 v5, 0xffff0000, v82
	v_and_b32_e32 v7, 0xffff0000, v27
	v_fmac_f32_e32 v19, v1, v6
	v_and_b32_e32 v1, 0xffff0000, v21
	v_lshlrev_b32_e32 v108, 16, v4
	v_xor_b32_e32 v111, 1, v35
	v_cndmask_b32_e64 v84, v106, v110, s2
	v_and_b32_e32 v2, 0xffff0000, v2
	v_and_b32_e32 v6, 0xffff0000, v28
	v_fmac_f32_e32 v55, v105, v5
	v_fmac_f32_e32 v54, v107, v7
	v_and_b32_e32 v5, 0xffff0000, v85
	v_fmac_f32_e32 v19, v3, v1
	v_and_b32_e32 v1, 0xffff0000, v4
	;; [unrolled: 2-line block ×3, first 2 shown]
	v_fmac_f32_e32 v55, v108, v5
	v_add_f32_e32 v3, v54, v19
	v_cmp_gt_i32_e64 s2, 32, v111
	v_fmac_f32_e32 v20, v1, v2
	v_add_f32_e32 v1, v3, v55
	v_cndmask_b32_e64 v4, v35, v111, s2
	v_add_f32_e32 v1, v1, v20
	v_lshlrev_b32_e32 v2, 2, v4
	ds_bpermute_b32 v2, v2, v1
	s_and_saveexec_b32 s40, vcc_lo
	s_cbranch_execz .LBB324_10
; %bb.338:                              ;   in Loop: Header=BB324_12 Depth=1
	v_add_nc_u32_e32 v3, v46, v39
	s_waitcnt lgkmcnt(0)
	v_add_f32_e32 v1, v1, v2
	v_cvt_f32_i32_e32 v3, v3
	v_mul_f32_e32 v3, s36, v3
	v_cndmask_b32_e64 v2, 0, v3, s1
	v_max_f32_e32 v3, v38, v38
	v_fmac_f32_e32 v2, s35, v1
	v_add_nc_u32_e32 v1, v36, v39
	v_max_f32_e32 v3, v3, v2
	v_cmp_gt_i32_e64 s2, s33, v1
	v_cndmask_b32_e64 v1, 0, v2, s2
	v_cndmask_b32_e64 v38, v38, v3, s2
	ds_write_b32 v47, v1
	s_branch .LBB324_10
.LBB324_339:
	s_or_b32 exec_lo, exec_lo, s38
.LBB324_340:
	s_or_b32 exec_lo, exec_lo, s37
	v_xor_b32_e32 v1, 16, v35
	v_xor_b32_e32 v3, 8, v35
	v_max_f32_e32 v5, v38, v38
	v_xor_b32_e32 v6, 2, v35
	v_and_b32_e32 v21, 31, v0
	v_cmp_gt_i32_e32 vcc_lo, 32, v1
	v_cndmask_b32_e32 v1, v35, v1, vcc_lo
	v_cmp_gt_i32_e32 vcc_lo, 32, v3
	s_waitcnt lgkmcnt(0)
	v_lshlrev_b32_e32 v2, 2, v1
	v_cndmask_b32_e32 v3, v35, v3, vcc_lo
	ds_bpermute_b32 v1, v2, v38
	v_lshlrev_b32_e32 v4, 2, v3
	s_waitcnt lgkmcnt(0)
	v_max_f32_e32 v1, v1, v1
	v_max_f32_e32 v1, v5, v1
	v_xor_b32_e32 v5, 4, v35
	ds_bpermute_b32 v3, v4, v1
	v_cmp_gt_i32_e32 vcc_lo, 32, v5
	v_cndmask_b32_e32 v5, v35, v5, vcc_lo
	v_cmp_gt_i32_e32 vcc_lo, 32, v6
	v_lshlrev_b32_e32 v5, 2, v5
	v_cndmask_b32_e32 v6, v35, v6, vcc_lo
	v_cmp_eq_u32_e32 vcc_lo, 0, v21
	s_waitcnt lgkmcnt(0)
	v_max_f32_e32 v3, v3, v3
	v_max_f32_e32 v1, v1, v3
	ds_bpermute_b32 v3, v5, v1
	s_waitcnt lgkmcnt(0)
	v_max_f32_e32 v3, v3, v3
	v_max_f32_e32 v3, v1, v3
	v_lshlrev_b32_e32 v1, 2, v6
	v_lshlrev_b32_e32 v6, 2, v31
	ds_bpermute_b32 v7, v1, v3
	s_and_saveexec_b32 s1, vcc_lo
	s_cbranch_execz .LBB324_342
; %bb.341:
	s_waitcnt lgkmcnt(0)
	v_max_f32_e32 v7, v7, v7
	v_max_f32_e32 v3, v3, v3
	;; [unrolled: 1-line block ×3, first 2 shown]
	ds_write_b32 v6, v3 offset:160
.LBB324_342:
	s_or_b32 exec_lo, exec_lo, s1
	v_cmp_gt_u32_e64 s1, 4, v21
	v_mov_b32_e32 v3, 0xff7fffff
	s_waitcnt lgkmcnt(0)
	v_lshlrev_b32_e32 v7, 2, v21
	s_barrier
	buffer_gl0_inv
	s_and_saveexec_b32 s2, s1
; %bb.343:
	ds_read_b32 v3, v7 offset:160
; %bb.344:
	s_or_b32 exec_lo, exec_lo, s2
	s_waitcnt lgkmcnt(0)
	ds_bpermute_b32 v8, v1, v3
	v_xor_b32_e32 v9, 1, v35
	v_max_f32_e32 v3, v3, v3
	v_cmp_gt_i32_e64 s2, 32, v9
	v_cndmask_b32_e64 v9, v35, v9, s2
	s_lshl_b32 s2, s20, 4
	s_min_i32 s4, s2, s33
	v_lshlrev_b32_e32 v22, 2, v9
	v_cmp_gt_i32_e64 s2, s4, v0
	s_waitcnt lgkmcnt(0)
	v_max_f32_e32 v8, v8, v8
	v_max_f32_e32 v3, v3, v8
	ds_bpermute_b32 v8, v22, v3
	s_waitcnt lgkmcnt(0)
	v_max_f32_e32 v8, v8, v8
	v_max_f32_e32 v3, v3, v8
	v_mov_b32_e32 v8, 0
	ds_bpermute_b32 v9, v8, v3
	v_lshl_add_u32 v3, v0, 2, 0xc0
	s_and_saveexec_b32 s5, s2
	s_cbranch_execz .LBB324_348
; %bb.345:
	v_lshl_add_u32 v10, v0, 2, 0xc0
	v_mov_b32_e32 v8, 0
	v_mov_b32_e32 v11, v0
	s_mov_b32 s12, 0
	.p2align	6
.LBB324_346:                            ; =>This Inner Loop Header: Depth=1
	ds_read_b32 v12, v10
	v_add_nc_u32_e32 v11, 0x80, v11
	v_cmp_le_i32_e64 s3, s4, v11
	s_or_b32 s12, s3, s12
	s_waitcnt lgkmcnt(0)
	v_sub_f32_e32 v12, v12, v9
	v_mul_f32_e32 v12, 0x3fb8aa3b, v12
	v_exp_f32_e32 v12, v12
	ds_write_b32 v10, v12
	v_add_f32_e32 v8, v8, v12
	v_add_nc_u32_e32 v10, 0x200, v10
	s_andn2_b32 exec_lo, exec_lo, s12
	s_cbranch_execnz .LBB324_346
; %bb.347:
	s_or_b32 exec_lo, exec_lo, s12
.LBB324_348:
	s_or_b32 exec_lo, exec_lo, s5
	ds_bpermute_b32 v2, v2, v8
	s_waitcnt lgkmcnt(0)
	v_add_f32_e32 v2, v8, v2
	ds_bpermute_b32 v4, v4, v2
	s_waitcnt lgkmcnt(0)
	v_add_f32_e32 v2, v2, v4
	;; [unrolled: 3-line block ×5, first 2 shown]
	s_and_saveexec_b32 s3, vcc_lo
; %bb.349:
	ds_write_b32 v6, v2 offset:176
; %bb.350:
	s_or_b32 exec_lo, exec_lo, s3
	s_waitcnt lgkmcnt(0)
	s_barrier
	buffer_gl0_inv
	s_and_saveexec_b32 s3, s1
; %bb.351:
	ds_read_b32 v2, v7 offset:176
; %bb.352:
	s_or_b32 exec_lo, exec_lo, s3
	s_waitcnt lgkmcnt(0)
	ds_bpermute_b32 v1, v1, v2
	s_waitcnt lgkmcnt(0)
	v_add_f32_e32 v1, v2, v1
	ds_bpermute_b32 v2, v22, v1
	s_waitcnt lgkmcnt(0)
	v_add_f32_e32 v1, v1, v2
	v_mov_b32_e32 v2, 0
	ds_bpermute_b32 v1, v2, v1
	s_and_saveexec_b32 s1, s2
	s_cbranch_execz .LBB324_355
; %bb.353:
	s_waitcnt lgkmcnt(0)
	v_add_f32_e32 v1, 0x358637bd, v1
	s_mov_b32 s2, 0
	v_div_scale_f32 v2, null, v1, v1, 1.0
	v_div_scale_f32 v6, vcc_lo, 1.0, v1, 1.0
	v_rcp_f32_e32 v4, v2
	v_fma_f32 v5, -v2, v4, 1.0
	v_fmac_f32_e32 v4, v5, v4
	v_mul_f32_e32 v5, v6, v4
	v_fma_f32 v7, -v2, v5, v6
	v_fmac_f32_e32 v5, v7, v4
	v_fma_f32 v2, -v2, v5, v6
	v_div_fmas_f32 v2, v2, v4, v5
	v_div_fixup_f32 v1, v2, v1, 1.0
	v_mov_b32_e32 v2, v0
.LBB324_354:                            ; =>This Inner Loop Header: Depth=1
	ds_read_b32 v4, v3
	v_add_nc_u32_e32 v2, 0x80, v2
	v_cmp_le_i32_e32 vcc_lo, s4, v2
	s_or_b32 s2, vcc_lo, s2
	s_waitcnt lgkmcnt(0)
	v_mul_f32_e32 v4, v1, v4
	ds_write_b32 v3, v4
	v_add_nc_u32_e32 v3, 0x200, v3
	s_andn2_b32 exec_lo, exec_lo, s2
	s_cbranch_execnz .LBB324_354
.LBB324_355:
	s_or_b32 exec_lo, exec_lo, s1
	v_mov_b32_e32 v27, 0
	v_mov_b32_e32 v26, 0
	;; [unrolled: 1-line block ×5, first 2 shown]
	s_waitcnt lgkmcnt(0)
	s_barrier
	buffer_gl0_inv
	s_and_saveexec_b32 s1, s0
	s_cbranch_execz .LBB324_671
; %bb.356:
	s_sub_i32 s4, s34, s21
	s_ashr_i32 s0, s18, 31
	s_add_u32 s18, s30, s18
	s_addc_u32 s0, s31, s0
	s_abs_i32 s5, s22
	v_and_b32_e32 v2, 0xf8, v33
	v_cvt_f32_u32_e32 v1, s5
	s_sub_i32 s2, 0, s5
	v_lshlrev_b32_e32 v4, 5, v30
	s_mov_b32 s12, s17
	v_add_co_u32 v11, s17, s18, v2
	v_rcp_iflag_f32_e32 v1, v1
	v_and_b32_e32 v3, 0x7c, v34
	s_add_i32 s13, s20, -1
	v_lshl_or_b32 v4, v31, 6, v4
	v_add_co_ci_u32_e64 v12, null, s0, 0, s17
	v_and_b32_e32 v28, 8, v33
	v_mov_b32_e32 v10, 0
	v_mov_b32_e32 v33, 0x80
	;; [unrolled: 1-line block ×3, first 2 shown]
	v_mul_f32_e32 v1, 0x4f7ffffe, v1
	v_mov_b32_e32 v35, 0xff
	v_mov_b32_e32 v36, 7
	;; [unrolled: 1-line block ×4, first 2 shown]
	v_cvt_u32_f32_e32 v1, v1
	v_mov_b32_e32 v24, 0
	v_mov_b32_e32 v25, 0
	;; [unrolled: 1-line block ×4, first 2 shown]
	v_mul_lo_u32 v5, s2, v1
	s_lshl_b64 s[2:3], s[28:29], 2
	v_add_nc_u32_e32 v38, 0xc0, v4
	s_add_u32 s0, s26, s2
	s_addc_u32 s2, s27, s3
	v_add_co_u32 v13, s0, s0, v3
	v_add_co_ci_u32_e64 v14, null, s2, 0, s0
	v_mul_hi_u32 v2, v1, v5
	v_mov_b32_e32 v40, v31
	s_mov_b32 s2, -1
	s_mov_b32 s3, 0xffffff
	s_mov_b32 s17, 0
	v_add_nc_u32_e32 v39, v1, v2
	s_branch .LBB324_359
.LBB324_357:                            ;   in Loop: Header=BB324_359 Depth=1
	s_or_b32 exec_lo, exec_lo, s0
	v_bfe_u32 v49, v5, 16, 1
	v_bfe_u32 v50, v6, 16, 1
	v_or_b32_e32 v51, 0x400000, v5
	v_cmp_u_f32_e32 vcc_lo, v5, v5
	v_or_b32_e32 v52, 0x400000, v6
	v_add3_u32 v49, v49, v5, 0x7fff
	v_bfe_u32 v53, v7, 16, 1
	v_add3_u32 v50, v50, v6, 0x7fff
	v_bfe_u32 v54, v8, 16, 1
	v_lshlrev_b32_e32 v19, 16, v19
	v_cndmask_b32_e32 v5, v49, v51, vcc_lo
	v_cmp_u_f32_e32 vcc_lo, v6, v6
	v_add3_u32 v49, v53, v7, 0x7fff
	v_add3_u32 v51, v54, v8, 0x7fff
	v_bfe_u32 v53, v1, 16, 1
	v_and_b32_e32 v5, 0xffff0000, v5
	v_cndmask_b32_e32 v6, v50, v52, vcc_lo
	v_or_b32_e32 v50, 0x400000, v7
	v_cmp_u_f32_e32 vcc_lo, v7, v7
	v_or_b32_e32 v52, 0x400000, v8
	v_or_b32_e32 v54, 0x400000, v4
	v_lshlrev_b32_e32 v20, 16, v20
	v_lshlrev_b32_e32 v74, 16, v74
	v_cndmask_b32_e32 v7, v49, v50, vcc_lo
	v_cmp_u_f32_e32 vcc_lo, v8, v8
	v_bfe_u32 v49, v2, 16, 1
	v_add3_u32 v50, v53, v1, 0x7fff
	v_bfe_u32 v53, v3, 16, 1
	v_lshlrev_b32_e32 v67, 16, v67
	v_cndmask_b32_e32 v8, v51, v52, vcc_lo
	v_or_b32_e32 v51, 0x400000, v1
	v_cmp_u_f32_e32 vcc_lo, v1, v1
	v_add3_u32 v49, v49, v2, 0x7fff
	v_or_b32_e32 v52, 0x400000, v2
	v_and_b32_e32 v1, 0xffff0000, v6
	v_lshlrev_b32_e32 v6, 16, v78
	v_cndmask_b32_e32 v50, v50, v51, vcc_lo
	v_cmp_u_f32_e32 vcc_lo, v2, v2
	v_add3_u32 v2, v53, v3, 0x7fff
	v_bfe_u32 v51, v4, 16, 1
	v_or_b32_e32 v53, 0x400000, v3
	v_mul_f32_e32 v6, v1, v6
	v_cndmask_b32_e32 v49, v49, v52, vcc_lo
	v_lshlrev_b32_e32 v52, 16, v77
	v_cmp_u_f32_e32 vcc_lo, v3, v3
	v_add3_u32 v51, v51, v4, 0x7fff
	v_bfe_u32 v3, v6, 16, 1
	v_lshlrev_b32_e32 v62, 16, v62
	v_mul_f32_e32 v52, v5, v52
	v_cndmask_b32_e32 v53, v2, v53, vcc_lo
	v_cmp_u_f32_e32 vcc_lo, v4, v4
	v_and_b32_e32 v2, 0xffff0000, v8
	v_lshlrev_b32_e32 v8, 16, v75
	v_add3_u32 v3, v3, v6, 0x7fff
	v_or_b32_e32 v55, 0x400000, v52
	v_cndmask_b32_e32 v4, v51, v54, vcc_lo
	v_bfe_u32 v51, v52, 16, 1
	v_or_b32_e32 v54, 0x400000, v6
	v_mul_f32_e32 v56, v2, v8
	v_and_b32_e32 v8, 0xffff0000, v7
	v_lshlrev_b32_e32 v7, 16, v76
	v_cmp_u_f32_e32 vcc_lo, v6, v6
	v_add3_u32 v51, v51, v52, 0x7fff
	v_and_b32_e32 v6, 0xffff0000, v50
	v_or_b32_e32 v50, 0x400000, v56
	v_mul_f32_e32 v7, v8, v7
	v_cndmask_b32_e32 v54, v3, v54, vcc_lo
	v_cmp_u_f32_e32 vcc_lo, v52, v52
	v_bfe_u32 v52, v56, 16, 1
	v_and_b32_e32 v3, 0xffff0000, v49
	v_mul_f32_e32 v20, v6, v20
	v_and_b32_e32 v4, 0xffff0000, v4
	v_cndmask_b32_e32 v51, v51, v55, vcc_lo
	v_add3_u32 v49, v52, v56, 0x7fff
	v_bfe_u32 v52, v7, 16, 1
	v_mul_f32_e32 v19, v3, v19
	v_cmp_u_f32_e32 vcc_lo, v56, v56
	v_bfe_u32 v56, v20, 16, 1
	v_mul_f32_e32 v74, v4, v74
	v_and_b32_e32 v51, 0xffff0000, v51
	v_bfe_u32 v55, v19, 16, 1
	v_cndmask_b32_e32 v49, v49, v50, vcc_lo
	v_add3_u32 v50, v52, v7, 0x7fff
	v_or_b32_e32 v52, 0x400000, v7
	v_cmp_u_f32_e32 vcc_lo, v7, v7
	v_and_b32_e32 v7, 0xffff0000, v53
	v_lshlrev_b32_e32 v53, 16, v73
	v_add3_u32 v56, v56, v20, 0x7fff
	v_or_b32_e32 v73, 0x400000, v20
	v_cndmask_b32_e32 v50, v50, v52, vcc_lo
	v_add3_u32 v52, v55, v19, 0x7fff
	v_or_b32_e32 v55, 0x400000, v19
	v_cmp_u_f32_e32 vcc_lo, v19, v19
	v_bfe_u32 v75, v74, 16, 1
	v_and_b32_e32 v50, 0xffff0000, v50
	v_and_b32_e32 v49, 0xffff0000, v49
	;; [unrolled: 1-line block ×3, first 2 shown]
	v_cndmask_b32_e32 v19, v52, v55, vcc_lo
	v_mul_f32_e32 v52, v7, v53
	v_cmp_u_f32_e32 vcc_lo, v20, v20
	v_add3_u32 v53, v75, v74, 0x7fff
	v_or_b32_e32 v55, 0x400000, v74
	v_add_f32_e32 v49, v50, v49
	v_lshlrev_b32_e32 v50, 16, v72
	v_cndmask_b32_e32 v20, v56, v73, vcc_lo
	v_bfe_u32 v56, v52, 16, 1
	v_cmp_u_f32_e32 vcc_lo, v74, v74
	v_add_f32_e32 v51, v51, v54
	v_and_b32_e32 v19, 0xffff0000, v19
	v_and_b32_e32 v20, 0xffff0000, v20
	v_lshlrev_b32_e32 v54, 16, v71
	v_cndmask_b32_e32 v53, v53, v55, vcc_lo
	v_add3_u32 v55, v56, v52, 0x7fff
	v_or_b32_e32 v56, 0x400000, v52
	v_cmp_u_f32_e32 vcc_lo, v52, v52
	v_mul_f32_e32 v50, v1, v50
	v_add_f32_e32 v49, v49, v51
	v_add_f32_e32 v19, v20, v19
	v_mul_f32_e32 v51, v5, v54
	v_cndmask_b32_e32 v52, v55, v56, vcc_lo
	v_lshlrev_b32_e32 v54, 16, v68
	v_lshlrev_b32_e32 v56, 16, v70
	v_add_f32_e32 v19, v19, v49
	v_bfe_u32 v49, v51, 16, 1
	v_and_b32_e32 v20, 0xffff0000, v52
	v_and_b32_e32 v52, 0xffff0000, v53
	v_bfe_u32 v53, v50, 16, 1
	v_mul_f32_e32 v54, v2, v54
	v_cmp_u_f32_e32 vcc_lo, v50, v50
	v_add3_u32 v49, v49, v51, 0x7fff
	v_add_f32_e32 v20, v20, v52
	v_add3_u32 v52, v53, v50, 0x7fff
	v_or_b32_e32 v53, 0x400000, v50
	v_or_b32_e32 v55, 0x400000, v51
	v_lshlrev_b32_e32 v57, 16, v57
	v_lshlrev_b32_e32 v58, 16, v58
	;; [unrolled: 1-line block ×3, first 2 shown]
	v_cndmask_b32_e32 v50, v52, v53, vcc_lo
	v_bfe_u32 v52, v54, 16, 1
	v_cmp_u_f32_e32 vcc_lo, v51, v51
	v_mul_f32_e32 v51, v8, v56
	v_lshlrev_b32_e32 v53, 16, v65
	v_lshlrev_b32_e32 v56, 16, v66
	v_add3_u32 v52, v52, v54, 0x7fff
	v_cndmask_b32_e32 v49, v49, v55, vcc_lo
	v_or_b32_e32 v55, 0x400000, v54
	v_bfe_u32 v65, v51, 16, 1
	v_mul_f32_e32 v53, v3, v53
	v_cmp_u_f32_e32 vcc_lo, v54, v54
	v_mul_f32_e32 v54, v6, v56
	v_or_b32_e32 v56, 0x400000, v51
	v_lshlrev_b32_e32 v66, 16, v69
	v_and_b32_e32 v49, 0xffff0000, v49
	v_cndmask_b32_e32 v52, v52, v55, vcc_lo
	v_add3_u32 v55, v65, v51, 0x7fff
	v_bfe_u32 v65, v53, 16, 1
	v_cmp_u_f32_e32 vcc_lo, v51, v51
	v_bfe_u32 v68, v54, 16, 1
	v_and_b32_e32 v50, 0xffff0000, v50
	v_and_b32_e32 v52, 0xffff0000, v52
	v_mul_f32_e32 v48, v1, v48
	v_cndmask_b32_e32 v51, v55, v56, vcc_lo
	v_add3_u32 v55, v65, v53, 0x7fff
	v_mul_f32_e32 v56, v4, v66
	v_or_b32_e32 v65, 0x400000, v53
	v_cmp_u_f32_e32 vcc_lo, v53, v53
	v_add3_u32 v66, v68, v54, 0x7fff
	v_or_b32_e32 v68, 0x400000, v54
	v_bfe_u32 v69, v56, 16, 1
	v_and_b32_e32 v51, 0xffff0000, v51
	v_cndmask_b32_e32 v53, v55, v65, vcc_lo
	v_mul_f32_e32 v55, v7, v67
	v_cmp_u_f32_e32 vcc_lo, v54, v54
	v_add3_u32 v65, v69, v56, 0x7fff
	v_add_f32_e32 v49, v49, v50
	v_add_f32_e32 v50, v51, v52
	v_bfe_u32 v67, v55, 16, 1
	v_cndmask_b32_e32 v54, v66, v68, vcc_lo
	v_or_b32_e32 v66, 0x400000, v56
	v_cmp_u_f32_e32 vcc_lo, v56, v56
	v_and_b32_e32 v52, 0xffff0000, v53
	v_lshlrev_b32_e32 v53, 16, v64
	v_and_b32_e32 v51, 0xffff0000, v54
	v_add_f32_e32 v49, v50, v49
	v_cndmask_b32_e32 v56, v65, v66, vcc_lo
	v_add3_u32 v65, v67, v55, 0x7fff
	v_or_b32_e32 v66, 0x400000, v55
	v_cmp_u_f32_e32 vcc_lo, v55, v55
	v_lshlrev_b32_e32 v55, 16, v63
	v_add_f32_e32 v50, v51, v52
	v_mul_f32_e32 v51, v1, v53
	v_lshlrev_b32_e32 v47, 16, v47
	v_cndmask_b32_e32 v54, v65, v66, vcc_lo
	v_mul_f32_e32 v53, v5, v55
	v_lshlrev_b32_e32 v55, 16, v60
	v_add_f32_e32 v49, v50, v49
	v_cmp_u_f32_e32 vcc_lo, v51, v51
	v_and_b32_e32 v52, 0xffff0000, v54
	v_and_b32_e32 v54, 0xffff0000, v56
	v_bfe_u32 v56, v51, 16, 1
	v_bfe_u32 v60, v53, 16, 1
	v_lshlrev_b32_e32 v44, 16, v44
	v_mul_f32_e32 v47, v5, v47
	v_add_f32_e32 v50, v52, v54
	v_mul_f32_e32 v52, v2, v55
	v_add3_u32 v54, v56, v51, 0x7fff
	v_or_b32_e32 v55, 0x400000, v51
	v_add3_u32 v56, v60, v53, 0x7fff
	v_or_b32_e32 v60, 0x400000, v53
	v_bfe_u32 v63, v52, 16, 1
	v_mul_f32_e32 v44, v2, v44
	v_cndmask_b32_e32 v51, v54, v55, vcc_lo
	v_cmp_u_f32_e32 vcc_lo, v53, v53
	v_mul_f32_e32 v54, v8, v62
	v_add3_u32 v55, v63, v52, 0x7fff
	v_lshlrev_b32_e32 v46, 16, v46
	v_and_b32_e32 v51, 0xffff0000, v51
	v_cndmask_b32_e32 v53, v56, v60, vcc_lo
	v_or_b32_e32 v56, 0x400000, v52
	v_cmp_u_f32_e32 vcc_lo, v52, v52
	v_bfe_u32 v60, v54, 16, 1
	v_lshlrev_b32_e32 v42, 16, v42
	v_and_b32_e32 v53, 0xffff0000, v53
	v_mul_f32_e32 v46, v8, v46
	v_cndmask_b32_e32 v52, v55, v56, vcc_lo
	v_mul_f32_e32 v55, v3, v57
	v_mul_f32_e32 v56, v6, v58
	v_add3_u32 v57, v60, v54, 0x7fff
	v_or_b32_e32 v58, 0x400000, v54
	v_lshlrev_b32_e32 v60, 16, v61
	v_bfe_u32 v61, v55, 16, 1
	v_cmp_u_f32_e32 vcc_lo, v54, v54
	v_bfe_u32 v62, v56, 16, 1
	v_and_b32_e32 v52, 0xffff0000, v52
	v_add_f32_e32 v51, v53, v51
	v_mul_f32_e32 v42, v3, v42
	v_cndmask_b32_e32 v54, v57, v58, vcc_lo
	v_mul_f32_e32 v57, v4, v60
	v_add3_u32 v58, v61, v55, 0x7fff
	v_or_b32_e32 v60, 0x400000, v55
	v_cmp_u_f32_e32 vcc_lo, v55, v55
	v_add3_u32 v61, v62, v56, 0x7fff
	v_or_b32_e32 v62, 0x400000, v56
	v_bfe_u32 v63, v57, 16, 1
	v_and_b32_e32 v54, 0xffff0000, v54
	v_cndmask_b32_e32 v55, v58, v60, vcc_lo
	v_lshlrev_b32_e32 v58, 16, v59
	v_cmp_u_f32_e32 vcc_lo, v56, v56
	v_add3_u32 v59, v63, v57, 0x7fff
	v_or_b32_e32 v60, 0x400000, v57
	v_add_f32_e32 v52, v54, v52
	v_mul_f32_e32 v58, v7, v58
	v_cndmask_b32_e32 v56, v61, v62, vcc_lo
	v_cmp_u_f32_e32 vcc_lo, v57, v57
	v_and_b32_e32 v54, 0xffff0000, v55
	v_add_f32_e32 v51, v52, v51
	v_lshlrev_b32_e32 v41, 16, v41
	v_and_b32_e32 v53, 0xffff0000, v56
	v_cndmask_b32_e32 v57, v59, v60, vcc_lo
	v_bfe_u32 v59, v58, 16, 1
	v_or_b32_e32 v56, 0x400000, v58
	v_cmp_u_f32_e32 vcc_lo, v58, v58
	v_add_f32_e32 v52, v53, v54
	v_bfe_u32 v54, v48, 16, 1
	v_add3_u32 v55, v59, v58, 0x7fff
	v_lshlrev_b32_e32 v45, 16, v45
	v_mul_f32_e32 v41, v6, v41
	v_add_f32_e32 v51, v52, v51
	v_lshlrev_b32_e32 v43, 16, v43
	v_cndmask_b32_e32 v53, v55, v56, vcc_lo
	v_bfe_u32 v56, v47, 16, 1
	v_cmp_u_f32_e32 vcc_lo, v48, v48
	v_and_b32_e32 v55, 0xffff0000, v57
	v_or_b32_e32 v57, 0x400000, v44
	v_and_b32_e32 v52, 0xffff0000, v53
	v_add3_u32 v53, v54, v48, 0x7fff
	v_or_b32_e32 v54, 0x400000, v48
	v_mul_f32_e32 v45, v4, v45
	v_mul_f32_e32 v43, v7, v43
	v_lshlrev_b32_e32 v16, 16, v16
	v_lshlrev_b32_e32 v15, 16, v15
	v_cndmask_b32_e32 v48, v53, v54, vcc_lo
	v_bfe_u32 v53, v44, 16, 1
	v_add3_u32 v54, v56, v47, 0x7fff
	v_or_b32_e32 v56, 0x400000, v47
	v_cmp_u_f32_e32 vcc_lo, v47, v47
	v_and_b32_e32 v48, 0xffff0000, v48
	v_add3_u32 v53, v53, v44, 0x7fff
	v_mul_f32_e32 v2, v2, v16
	v_mul_f32_e32 v6, v6, v15
	v_cndmask_b32_e32 v47, v54, v56, vcc_lo
	v_bfe_u32 v54, v46, 16, 1
	v_cmp_u_f32_e32 vcc_lo, v44, v44
	v_or_b32_e32 v56, 0x400000, v46
	v_lshlrev_b32_e32 v9, 16, v9
	v_and_b32_e32 v47, 0xffff0000, v47
	v_add3_u32 v54, v54, v46, 0x7fff
	v_cndmask_b32_e32 v44, v53, v57, vcc_lo
	v_bfe_u32 v53, v42, 16, 1
	v_cmp_u_f32_e32 vcc_lo, v46, v46
	v_or_b32_e32 v57, 0x400000, v42
	v_add_f32_e32 v47, v47, v48
	v_and_b32_e32 v44, 0xffff0000, v44
	v_add3_u32 v53, v53, v42, 0x7fff
	v_cndmask_b32_e32 v46, v54, v56, vcc_lo
	v_bfe_u32 v54, v41, 16, 1
	v_cmp_u_f32_e32 vcc_lo, v42, v42
	v_bfe_u32 v56, v45, 16, 1
	v_mul_f32_e32 v3, v3, v9
	v_and_b32_e32 v46, 0xffff0000, v46
	v_lshlrev_b32_e32 v9, 16, v18
	v_cndmask_b32_e32 v42, v53, v57, vcc_lo
	v_add3_u32 v53, v54, v41, 0x7fff
	v_or_b32_e32 v54, 0x400000, v41
	v_cmp_u_f32_e32 vcc_lo, v41, v41
	v_add3_u32 v56, v56, v45, 0x7fff
	v_or_b32_e32 v57, 0x400000, v45
	v_add_f32_e32 v44, v46, v44
	v_and_b32_e32 v42, 0xffff0000, v42
	v_cndmask_b32_e32 v41, v53, v54, vcc_lo
	v_cmp_u_f32_e32 vcc_lo, v45, v45
	v_bfe_u32 v53, v43, 16, 1
	v_lshlrev_b32_e32 v46, 16, v80
	v_or_b32_e32 v54, 0x400000, v43
	v_and_b32_e32 v41, 0xffff0000, v41
	v_cndmask_b32_e32 v45, v56, v57, vcc_lo
	v_lshlrev_b32_e32 v56, 16, v81
	v_add3_u32 v53, v53, v43, 0x7fff
	v_cmp_u_f32_e32 vcc_lo, v43, v43
	v_add_f32_e32 v44, v44, v47
	v_add_f32_e32 v41, v41, v42
	v_mul_f32_e32 v5, v5, v56
	v_mul_f32_e32 v1, v1, v46
	v_lshlrev_b32_e32 v42, 16, v79
	v_cndmask_b32_e32 v43, v53, v54, vcc_lo
	v_lshlrev_b32_e32 v17, 16, v17
	v_bfe_u32 v47, v5, 16, 1
	v_bfe_u32 v48, v1, 16, 1
	v_mul_f32_e32 v8, v8, v42
	v_cmp_u_f32_e32 vcc_lo, v5, v5
	v_mul_f32_e32 v7, v7, v9
	v_add3_u32 v46, v47, v5, 0x7fff
	v_or_b32_e32 v47, 0x400000, v5
	v_add3_u32 v42, v48, v1, 0x7fff
	v_mul_f32_e32 v4, v4, v17
	v_or_b32_e32 v9, 0x400000, v6
	v_or_b32_e32 v17, 0x400000, v3
	v_cndmask_b32_e32 v5, v46, v47, vcc_lo
	v_or_b32_e32 v46, 0x400000, v1
	v_bfe_u32 v47, v8, 16, 1
	v_cmp_u_f32_e32 vcc_lo, v1, v1
	v_bfe_u32 v18, v7, 16, 1
	v_and_b32_e32 v5, 0xffff0000, v5
	v_and_b32_e32 v43, 0xffff0000, v43
	v_add3_u32 v16, v47, v8, 0x7fff
	v_cndmask_b32_e32 v1, v42, v46, vcc_lo
	v_or_b32_e32 v42, 0x400000, v8
	v_bfe_u32 v46, v2, 16, 1
	v_cmp_u_f32_e32 vcc_lo, v8, v8
	v_and_b32_e32 v1, 0xffff0000, v1
	v_add3_u32 v15, v46, v2, 0x7fff
	v_cndmask_b32_e32 v8, v16, v42, vcc_lo
	v_or_b32_e32 v16, 0x400000, v2
	v_bfe_u32 v42, v6, 16, 1
	v_cmp_u_f32_e32 vcc_lo, v2, v2
	v_add_f32_e32 v1, v5, v1
	v_and_b32_e32 v8, 0xffff0000, v8
	v_cndmask_b32_e32 v2, v15, v16, vcc_lo
	v_bfe_u32 v15, v3, 16, 1
	v_add3_u32 v16, v42, v6, 0x7fff
	v_cmp_u_f32_e32 vcc_lo, v6, v6
	v_bfe_u32 v42, v4, 16, 1
	v_and_b32_e32 v2, 0xffff0000, v2
	v_add3_u32 v15, v15, v3, 0x7fff
	v_cndmask_b32_e32 v6, v16, v9, vcc_lo
	v_cmp_u_f32_e32 vcc_lo, v3, v3
	v_or_b32_e32 v16, 0x400000, v4
	v_add3_u32 v9, v18, v7, 0x7fff
	v_add_f32_e32 v2, v8, v2
	v_and_b32_e32 v5, 0xffff0000, v6
	v_cndmask_b32_e32 v3, v15, v17, vcc_lo
	v_add3_u32 v15, v42, v4, 0x7fff
	v_cmp_u_f32_e32 vcc_lo, v4, v4
	v_or_b32_e32 v17, 0x400000, v7
	v_add_f32_e32 v1, v2, v1
	v_and_b32_e32 v3, 0xffff0000, v3
	v_cndmask_b32_e32 v4, v15, v16, vcc_lo
	v_cmp_u_f32_e32 vcc_lo, v7, v7
	v_and_b32_e32 v7, 0xffff0000, v45
	v_add_f32_e32 v2, v5, v3
	v_add_f32_e32 v5, v52, v55
	v_and_b32_e32 v3, 0xffff0000, v4
	v_cndmask_b32_e32 v6, v9, v17, vcc_lo
	v_add_f32_e32 v7, v43, v7
	v_add_f32_e32 v1, v2, v1
	;; [unrolled: 1-line block ×3, first 2 shown]
	v_and_b32_e32 v4, 0xffff0000, v6
	v_add_f32_e32 v6, v41, v44
	v_add_f32_e32 v26, v26, v5
	;; [unrolled: 1-line block ×11, first 2 shown]
.LBB324_358:                            ;   in Loop: Header=BB324_359 Depth=1
	s_or_b32 exec_lo, exec_lo, s18
	v_add_nc_u32_e32 v40, 4, v40
	v_add_co_u32 v13, s0, v13, 16
	v_add_co_ci_u32_e64 v14, null, 0, v14, s0
	v_cmp_le_i32_e32 vcc_lo, s20, v40
	v_add_nc_u32_e32 v32, 64, v32
	v_add_nc_u32_e32 v38, 0x100, v38
	s_or_b32 s17, vcc_lo, s17
	s_andn2_b32 exec_lo, exec_lo, s17
	s_cbranch_execz .LBB324_670
.LBB324_359:                            ; =>This Inner Loop Header: Depth=1
	v_mul_hi_u32 v1, v32, s19
	v_mul_lo_u32 v2, v1, s16
	v_add_nc_u32_e32 v3, 1, v1
	v_sub_nc_u32_e32 v2, v32, v2
	v_subrev_nc_u32_e32 v4, s16, v2
	v_cmp_le_u32_e32 vcc_lo, s16, v2
	v_cndmask_b32_e32 v1, v1, v3, vcc_lo
	v_cndmask_b32_e32 v2, v2, v4, vcc_lo
	v_add_nc_u32_e32 v3, 1, v1
	v_cmp_le_u32_e32 vcc_lo, s16, v2
	v_cndmask_b32_e32 v1, v1, v3, vcc_lo
	v_xor_b32_e32 v1, s23, v1
	v_subrev_nc_u32_e32 v1, s23, v1
	v_add_nc_u32_e32 v2, s25, v1
	v_cmp_lt_i32_e64 s0, s4, v1
	v_sub_nc_u32_e32 v3, 0, v2
	v_max_i32_e32 v3, v2, v3
	v_ashrrev_i32_e32 v2, 31, v2
	v_mul_hi_u32 v4, v3, v39
	v_mul_lo_u32 v4, v4, s5
	v_sub_nc_u32_e32 v3, v3, v4
	v_subrev_nc_u32_e32 v4, s5, v3
	v_cmp_le_u32_e32 vcc_lo, s5, v3
	v_cndmask_b32_e32 v3, v3, v4, vcc_lo
	v_subrev_nc_u32_e32 v4, s5, v3
	v_cmp_le_u32_e32 vcc_lo, s5, v3
	v_cndmask_b32_e32 v3, v3, v4, vcc_lo
	v_xor_b32_e32 v3, v3, v2
	v_sub_nc_u32_e32 v2, v3, v2
	v_cmp_eq_u32_e32 vcc_lo, 0, v2
	s_or_b32 s0, vcc_lo, s0
	s_and_saveexec_b32 s18, s0
	s_cbranch_execz .LBB324_358
; %bb.360:                              ;   in Loop: Header=BB324_359 Depth=1
	global_load_dword v1, v[13:14], off
	v_mov_b32_e32 v41, 0
	v_mov_b32_e32 v43, 0
	s_waitcnt vmcnt(0)
	v_mad_i64_i32 v[15:16], null, v1, s12, v[11:12]
	global_load_dwordx2 v[17:18], v[15:16], off
	ds_read2_b64 v[5:8], v38 offset1:1
	ds_read2_b64 v[1:4], v38 offset0:2 offset1:3
	s_load_dword s21, s[14:15], 0x0
	s_waitcnt vmcnt(0)
	v_cmp_ne_u16_sdwa s22, v17, v10 src0_sel:BYTE_0 src1_sel:DWORD
	s_and_saveexec_b32 s0, s22
	s_cbranch_execz .LBB324_366
; %bb.361:                              ;   in Loop: Header=BB324_359 Depth=1
	v_cmp_ne_u16_sdwa s26, v17, v33 src0_sel:BYTE_0 src1_sel:DWORD
	v_bfrev_b32_e32 v43, 1
	s_and_saveexec_b32 s22, s26
	s_cbranch_execz .LBB324_365
; %bb.362:                              ;   in Loop: Header=BB324_359 Depth=1
	v_and_b32_e32 v9, 0x7f, v17
	v_mov_b32_e32 v43, 0x7f800001
	s_mov_b32 s26, exec_lo
	v_cmpx_ne_u32_e32 0x7f, v9
	s_cbranch_execz .LBB324_364
; %bb.363:                              ;   in Loop: Header=BB324_359 Depth=1
	v_and_b32_e32 v19, 7, v17
	v_lshrrev_b32_e32 v20, 3, v9
	v_cmp_gt_u32_e32 vcc_lo, 8, v9
	v_ffbh_u32_e32 v19, v19
	v_min_u32_e32 v19, 32, v19
	v_subrev_nc_u32_e32 v42, 28, v19
	v_sub_nc_u32_e32 v19, 29, v19
	v_cndmask_b32_e32 v9, v20, v19, vcc_lo
	v_cndmask_b32_e32 v19, 0, v42, vcc_lo
	v_lshl_add_u32 v9, v9, 23, 0x3c000000
	v_lshlrev_b64 v[19:20], v19, v[17:18]
	v_lshlrev_b32_e32 v20, 24, v17
	v_lshlrev_b32_e32 v19, 20, v19
	v_and_b32_e32 v20, 0x80000000, v20
	v_and_b32_e32 v19, 0x700000, v19
	v_or3_b32 v43, v19, v20, v9
.LBB324_364:                            ;   in Loop: Header=BB324_359 Depth=1
	s_or_b32 exec_lo, exec_lo, s26
.LBB324_365:                            ;   in Loop: Header=BB324_359 Depth=1
	s_or_b32 exec_lo, exec_lo, s22
.LBB324_366:                            ;   in Loop: Header=BB324_359 Depth=1
	s_or_b32 exec_lo, exec_lo, s0
	v_cmp_ne_u16_sdwa s22, v17, v10 src0_sel:BYTE_1 src1_sel:DWORD
	s_and_saveexec_b32 s0, s22
	s_cbranch_execz .LBB324_374
; %bb.367:                              ;   in Loop: Header=BB324_359 Depth=1
	v_cmp_ne_u16_sdwa s26, v17, v33 src0_sel:BYTE_1 src1_sel:DWORD
	v_bfrev_b32_e32 v41, 1
	s_and_saveexec_b32 s22, s26
	s_cbranch_execz .LBB324_373
; %bb.368:                              ;   in Loop: Header=BB324_359 Depth=1
	v_and_b32_sdwa v9, v34, v17 dst_sel:DWORD dst_unused:UNUSED_PAD src0_sel:DWORD src1_sel:BYTE_1
	v_mov_b32_e32 v41, 0x7f800001
	s_mov_b32 s26, exec_lo
	v_and_b32_e32 v20, 0x7f, v9
	v_cmpx_ne_u32_e32 0x7f, v20
	s_cbranch_execz .LBB324_372
; %bb.369:                              ;   in Loop: Header=BB324_359 Depth=1
	v_and_b32_e32 v9, 7, v9
	v_lshrrev_b32_e32 v19, 3, v20
	s_mov_b32 s27, exec_lo
	v_cmpx_gt_u32_e32 8, v20
; %bb.370:                              ;   in Loop: Header=BB324_359 Depth=1
	v_ffbh_u32_e32 v19, v9
	v_min_u32_e32 v19, 32, v19
	v_subrev_nc_u32_e32 v20, 28, v19
	v_sub_nc_u32_e32 v19, 29, v19
	v_lshlrev_b64 v[41:42], v20, v[9:10]
	v_and_b32_e32 v9, 7, v41
; %bb.371:                              ;   in Loop: Header=BB324_359 Depth=1
	s_or_b32 exec_lo, exec_lo, s27
	v_lshlrev_b32_e32 v20, 16, v17
	v_lshlrev_b32_e32 v9, 20, v9
	v_lshl_add_u32 v19, v19, 23, 0x3c000000
	v_and_b32_e32 v20, 0x80000000, v20
	v_or3_b32 v41, v9, v20, v19
.LBB324_372:                            ;   in Loop: Header=BB324_359 Depth=1
	s_or_b32 exec_lo, exec_lo, s26
.LBB324_373:                            ;   in Loop: Header=BB324_359 Depth=1
	s_or_b32 exec_lo, exec_lo, s22
.LBB324_374:                            ;   in Loop: Header=BB324_359 Depth=1
	s_or_b32 exec_lo, exec_lo, s0
	v_and_b32_sdwa v9, v17, v35 dst_sel:DWORD dst_unused:UNUSED_PAD src0_sel:WORD_1 src1_sel:DWORD
	v_mov_b32_e32 v44, 0
	v_mov_b32_e32 v42, 0
	s_mov_b32 s0, exec_lo
	v_cmpx_ne_u16_e32 0, v9
	s_cbranch_execz .LBB324_382
; %bb.375:                              ;   in Loop: Header=BB324_359 Depth=1
	v_bfrev_b32_e32 v42, 1
	s_mov_b32 s22, exec_lo
	v_cmpx_ne_u16_e32 0x80, v9
	s_cbranch_execz .LBB324_381
; %bb.376:                              ;   in Loop: Header=BB324_359 Depth=1
	v_bfe_u32 v20, v17, 16, 7
	v_mov_b32_e32 v42, 0x7f800001
	s_mov_b32 s26, exec_lo
	v_cmpx_ne_u32_e32 0x7f, v20
	s_cbranch_execz .LBB324_380
; %bb.377:                              ;   in Loop: Header=BB324_359 Depth=1
	v_and_b32_sdwa v9, v17, v36 dst_sel:DWORD dst_unused:UNUSED_PAD src0_sel:WORD_1 src1_sel:DWORD
	v_lshrrev_b32_e32 v19, 3, v20
	s_mov_b32 s27, exec_lo
	v_cmpx_gt_u32_e32 8, v20
; %bb.378:                              ;   in Loop: Header=BB324_359 Depth=1
	v_ffbh_u32_e32 v19, v9
	v_min_u32_e32 v19, 32, v19
	v_subrev_nc_u32_e32 v20, 28, v19
	v_sub_nc_u32_e32 v19, 29, v19
	v_lshlrev_b64 v[45:46], v20, v[9:10]
	v_and_b32_e32 v9, 7, v45
; %bb.379:                              ;   in Loop: Header=BB324_359 Depth=1
	s_or_b32 exec_lo, exec_lo, s27
	v_lshlrev_b32_sdwa v20, v37, v17 dst_sel:DWORD dst_unused:UNUSED_PAD src0_sel:DWORD src1_sel:WORD_1
	v_lshlrev_b32_e32 v9, 20, v9
	v_lshl_add_u32 v19, v19, 23, 0x3c000000
	v_and_b32_e32 v20, 0x80000000, v20
	v_or3_b32 v42, v9, v20, v19
.LBB324_380:                            ;   in Loop: Header=BB324_359 Depth=1
	s_or_b32 exec_lo, exec_lo, s26
.LBB324_381:                            ;   in Loop: Header=BB324_359 Depth=1
	s_or_b32 exec_lo, exec_lo, s22
.LBB324_382:                            ;   in Loop: Header=BB324_359 Depth=1
	s_or_b32 exec_lo, exec_lo, s0
	s_mov_b32 s0, exec_lo
	v_cmpx_lt_u32_e32 0xffffff, v17
	s_cbranch_execz .LBB324_390
; %bb.383:                              ;   in Loop: Header=BB324_359 Depth=1
	v_cmp_ne_u32_sdwa s26, v17, v33 src0_sel:BYTE_3 src1_sel:DWORD
	v_bfrev_b32_e32 v44, 1
	s_and_saveexec_b32 s22, s26
	s_cbranch_execz .LBB324_389
; %bb.384:                              ;   in Loop: Header=BB324_359 Depth=1
	v_bfe_u32 v20, v17, 24, 7
	v_mov_b32_e32 v44, 0x7f800001
	s_mov_b32 s26, exec_lo
	v_cmpx_ne_u32_e32 0x7f, v20
	s_cbranch_execz .LBB324_388
; %bb.385:                              ;   in Loop: Header=BB324_359 Depth=1
	v_and_b32_sdwa v9, v17, v36 dst_sel:DWORD dst_unused:UNUSED_PAD src0_sel:BYTE_3 src1_sel:DWORD
	v_lshrrev_b32_e32 v19, 3, v20
	s_mov_b32 s27, exec_lo
	v_cmpx_gt_u32_e32 8, v20
; %bb.386:                              ;   in Loop: Header=BB324_359 Depth=1
	v_ffbh_u32_e32 v19, v9
	v_min_u32_e32 v19, 32, v19
	v_subrev_nc_u32_e32 v20, 28, v19
	v_sub_nc_u32_e32 v19, 29, v19
	v_lshlrev_b64 v[44:45], v20, v[9:10]
	v_and_b32_e32 v9, 7, v44
; %bb.387:                              ;   in Loop: Header=BB324_359 Depth=1
	s_or_b32 exec_lo, exec_lo, s27
	v_lshlrev_b32_sdwa v20, v37, v17 dst_sel:DWORD dst_unused:UNUSED_PAD src0_sel:DWORD src1_sel:BYTE_3
	v_lshlrev_b32_e32 v9, 20, v9
	v_lshl_add_u32 v19, v19, 23, 0x3c000000
	v_and_b32_e32 v20, 0x80000000, v20
	v_or3_b32 v44, v9, v20, v19
.LBB324_388:                            ;   in Loop: Header=BB324_359 Depth=1
	s_or_b32 exec_lo, exec_lo, s26
.LBB324_389:                            ;   in Loop: Header=BB324_359 Depth=1
	s_or_b32 exec_lo, exec_lo, s22
.LBB324_390:                            ;   in Loop: Header=BB324_359 Depth=1
	s_or_b32 exec_lo, exec_lo, s0
	v_mov_b32_e32 v9, v18
	v_cmp_ne_u16_sdwa s22, v18, v10 src0_sel:BYTE_0 src1_sel:DWORD
	v_mov_b32_e32 v19, 0
	v_mov_b32_e32 v45, 0
	s_and_saveexec_b32 s0, s22
	s_cbranch_execz .LBB324_396
; %bb.391:                              ;   in Loop: Header=BB324_359 Depth=1
	v_cmp_ne_u16_sdwa s26, v18, v33 src0_sel:BYTE_0 src1_sel:DWORD
	v_bfrev_b32_e32 v45, 1
	s_and_saveexec_b32 s22, s26
	s_cbranch_execz .LBB324_395
; %bb.392:                              ;   in Loop: Header=BB324_359 Depth=1
	v_and_b32_e32 v20, 0x7f, v18
	v_mov_b32_e32 v45, 0x7f800001
	s_mov_b32 s26, exec_lo
	v_cmpx_ne_u32_e32 0x7f, v20
	s_cbranch_execz .LBB324_394
; %bb.393:                              ;   in Loop: Header=BB324_359 Depth=1
	v_and_b32_e32 v45, 7, v18
	v_lshrrev_b32_e32 v46, 3, v20
	v_cmp_gt_u32_e32 vcc_lo, 8, v20
	v_ffbh_u32_e32 v45, v45
	v_min_u32_e32 v45, 32, v45
	v_subrev_nc_u32_e32 v47, 28, v45
	v_sub_nc_u32_e32 v45, 29, v45
	v_cndmask_b32_e32 v20, v46, v45, vcc_lo
	v_cndmask_b32_e32 v45, 0, v47, vcc_lo
	v_lshl_add_u32 v20, v20, 23, 0x3c000000
	v_lshlrev_b64 v[45:46], v45, v[9:10]
	v_lshlrev_b32_e32 v46, 24, v9
	v_lshlrev_b32_e32 v45, 20, v45
	v_and_b32_e32 v46, 0x80000000, v46
	v_and_b32_e32 v45, 0x700000, v45
	v_or3_b32 v45, v45, v46, v20
.LBB324_394:                            ;   in Loop: Header=BB324_359 Depth=1
	s_or_b32 exec_lo, exec_lo, s26
.LBB324_395:                            ;   in Loop: Header=BB324_359 Depth=1
	s_or_b32 exec_lo, exec_lo, s22
.LBB324_396:                            ;   in Loop: Header=BB324_359 Depth=1
	s_or_b32 exec_lo, exec_lo, s0
	v_cmp_ne_u16_sdwa s22, v9, v10 src0_sel:BYTE_1 src1_sel:DWORD
	s_and_saveexec_b32 s0, s22
	s_cbranch_execz .LBB324_404
; %bb.397:                              ;   in Loop: Header=BB324_359 Depth=1
	v_cmp_ne_u16_sdwa s26, v9, v33 src0_sel:BYTE_1 src1_sel:DWORD
	v_bfrev_b32_e32 v19, 1
	s_and_saveexec_b32 s22, s26
	s_cbranch_execz .LBB324_403
; %bb.398:                              ;   in Loop: Header=BB324_359 Depth=1
	v_and_b32_sdwa v20, v34, v9 dst_sel:DWORD dst_unused:UNUSED_PAD src0_sel:DWORD src1_sel:BYTE_1
	v_mov_b32_e32 v19, 0x7f800001
	s_mov_b32 s26, exec_lo
	v_and_b32_e32 v47, 0x7f, v20
	v_cmpx_ne_u32_e32 0x7f, v47
	s_cbranch_execz .LBB324_402
; %bb.399:                              ;   in Loop: Header=BB324_359 Depth=1
	v_and_b32_e32 v19, 7, v20
	v_mov_b32_e32 v20, v10
	v_lshrrev_b32_e32 v46, 3, v47
	s_mov_b32 s27, exec_lo
	v_cmpx_gt_u32_e32 8, v47
; %bb.400:                              ;   in Loop: Header=BB324_359 Depth=1
	v_ffbh_u32_e32 v46, v19
	v_min_u32_e32 v46, 32, v46
	v_subrev_nc_u32_e32 v47, 28, v46
	v_sub_nc_u32_e32 v46, 29, v46
	v_lshlrev_b64 v[19:20], v47, v[19:20]
	v_and_b32_e32 v19, 7, v19
; %bb.401:                              ;   in Loop: Header=BB324_359 Depth=1
	s_or_b32 exec_lo, exec_lo, s27
	v_lshlrev_b32_e32 v9, 16, v9
	v_lshlrev_b32_e32 v19, 20, v19
	v_lshl_add_u32 v20, v46, 23, 0x3c000000
	v_and_b32_e32 v9, 0x80000000, v9
	v_or3_b32 v19, v19, v9, v20
.LBB324_402:                            ;   in Loop: Header=BB324_359 Depth=1
	s_or_b32 exec_lo, exec_lo, s26
.LBB324_403:                            ;   in Loop: Header=BB324_359 Depth=1
	s_or_b32 exec_lo, exec_lo, s22
.LBB324_404:                            ;   in Loop: Header=BB324_359 Depth=1
	s_or_b32 exec_lo, exec_lo, s0
	v_and_b32_sdwa v9, v18, v35 dst_sel:DWORD dst_unused:UNUSED_PAD src0_sel:WORD_1 src1_sel:DWORD
	v_mov_b32_e32 v20, 0
	v_mov_b32_e32 v46, 0
	s_mov_b32 s0, exec_lo
	v_cmpx_ne_u16_e32 0, v9
	s_cbranch_execz .LBB324_412
; %bb.405:                              ;   in Loop: Header=BB324_359 Depth=1
	v_bfrev_b32_e32 v46, 1
	s_mov_b32 s22, exec_lo
	v_cmpx_ne_u16_e32 0x80, v9
	s_cbranch_execz .LBB324_411
; %bb.406:                              ;   in Loop: Header=BB324_359 Depth=1
	v_bfe_u32 v47, v18, 16, 7
	v_mov_b32_e32 v46, 0x7f800001
	s_mov_b32 s26, exec_lo
	v_cmpx_ne_u32_e32 0x7f, v47
	s_cbranch_execz .LBB324_410
; %bb.407:                              ;   in Loop: Header=BB324_359 Depth=1
	v_and_b32_sdwa v9, v18, v36 dst_sel:DWORD dst_unused:UNUSED_PAD src0_sel:WORD_1 src1_sel:DWORD
	v_lshrrev_b32_e32 v46, 3, v47
	s_mov_b32 s27, exec_lo
	v_cmpx_gt_u32_e32 8, v47
; %bb.408:                              ;   in Loop: Header=BB324_359 Depth=1
	v_ffbh_u32_e32 v46, v9
	v_min_u32_e32 v46, 32, v46
	v_subrev_nc_u32_e32 v47, 28, v46
	v_sub_nc_u32_e32 v46, 29, v46
	v_lshlrev_b64 v[47:48], v47, v[9:10]
	v_and_b32_e32 v9, 7, v47
; %bb.409:                              ;   in Loop: Header=BB324_359 Depth=1
	s_or_b32 exec_lo, exec_lo, s27
	v_lshlrev_b32_sdwa v47, v37, v18 dst_sel:DWORD dst_unused:UNUSED_PAD src0_sel:DWORD src1_sel:WORD_1
	v_lshlrev_b32_e32 v9, 20, v9
	v_lshl_add_u32 v46, v46, 23, 0x3c000000
	v_and_b32_e32 v47, 0x80000000, v47
	v_or3_b32 v46, v9, v47, v46
.LBB324_410:                            ;   in Loop: Header=BB324_359 Depth=1
	s_or_b32 exec_lo, exec_lo, s26
.LBB324_411:                            ;   in Loop: Header=BB324_359 Depth=1
	s_or_b32 exec_lo, exec_lo, s22
.LBB324_412:                            ;   in Loop: Header=BB324_359 Depth=1
	s_or_b32 exec_lo, exec_lo, s0
	s_mov_b32 s0, exec_lo
	v_cmpx_lt_u64_e64 s[2:3], v[17:18]
	s_cbranch_execz .LBB324_420
; %bb.413:                              ;   in Loop: Header=BB324_359 Depth=1
	v_cmp_ne_u32_sdwa s26, v18, v33 src0_sel:BYTE_3 src1_sel:DWORD
	v_bfrev_b32_e32 v20, 1
	s_and_saveexec_b32 s22, s26
	s_cbranch_execz .LBB324_419
; %bb.414:                              ;   in Loop: Header=BB324_359 Depth=1
	v_bfe_u32 v47, v18, 24, 7
	v_mov_b32_e32 v20, 0x7f800001
	s_mov_b32 s26, exec_lo
	v_cmpx_ne_u32_e32 0x7f, v47
	s_cbranch_execz .LBB324_418
; %bb.415:                              ;   in Loop: Header=BB324_359 Depth=1
	v_and_b32_sdwa v9, v18, v36 dst_sel:DWORD dst_unused:UNUSED_PAD src0_sel:BYTE_3 src1_sel:DWORD
	v_lshrrev_b32_e32 v17, 3, v47
	s_mov_b32 s27, exec_lo
	v_cmpx_gt_u32_e32 8, v47
; %bb.416:                              ;   in Loop: Header=BB324_359 Depth=1
	v_ffbh_u32_e32 v17, v9
	v_min_u32_e32 v17, 32, v17
	v_subrev_nc_u32_e32 v20, 28, v17
	v_sub_nc_u32_e32 v17, 29, v17
	v_lshlrev_b64 v[47:48], v20, v[9:10]
	v_and_b32_e32 v9, 7, v47
; %bb.417:                              ;   in Loop: Header=BB324_359 Depth=1
	s_or_b32 exec_lo, exec_lo, s27
	v_lshlrev_b32_sdwa v18, v37, v18 dst_sel:DWORD dst_unused:UNUSED_PAD src0_sel:DWORD src1_sel:BYTE_3
	v_lshlrev_b32_e32 v9, 20, v9
	v_lshl_add_u32 v17, v17, 23, 0x3c000000
	v_and_b32_e32 v18, 0x80000000, v18
	v_or3_b32 v20, v9, v18, v17
.LBB324_418:                            ;   in Loop: Header=BB324_359 Depth=1
	s_or_b32 exec_lo, exec_lo, s26
.LBB324_419:                            ;   in Loop: Header=BB324_359 Depth=1
	s_or_b32 exec_lo, exec_lo, s22
.LBB324_420:                            ;   in Loop: Header=BB324_359 Depth=1
	s_or_b32 exec_lo, exec_lo, s0
	s_waitcnt lgkmcnt(0)
	v_mul_f32_e32 v9, s21, v19
	v_mul_f32_e32 v17, s21, v45
	;; [unrolled: 1-line block ×5, first 2 shown]
	v_bfe_u32 v19, v9, 16, 1
	v_or_b32_e32 v42, 0x400000, v9
	v_bfe_u32 v44, v17, 16, 1
	v_cmp_u_f32_e64 s0, v9, v9
	v_or_b32_e32 v47, 0x400000, v17
	v_add3_u32 v19, v19, v9, 0x7fff
	v_bfe_u32 v48, v18, 16, 1
	v_add3_u32 v44, v44, v17, 0x7fff
	v_or_b32_e32 v50, 0x400000, v18
	v_add_nc_u32_e32 v49, v28, v32
	v_cndmask_b32_e64 v9, v19, v42, s0
	v_cmp_u_f32_e64 s0, v17, v17
	v_bfe_u32 v19, v45, 16, 1
	v_add3_u32 v48, v48, v18, 0x7fff
	v_cmp_eq_u32_e32 vcc_lo, s13, v40
	v_lshrrev_b32_e32 v42, 16, v9
	v_cndmask_b32_e64 v17, v44, v47, s0
	v_cmp_u_f32_e64 s0, v18, v18
	v_mul_f32_e32 v18, s21, v41
	v_add3_u32 v19, v19, v45, 0x7fff
	v_or_b32_e32 v47, 0x400000, v45
	v_lshrrev_b32_e32 v41, 16, v17
	v_cndmask_b32_e64 v9, v48, v50, s0
	v_cmp_u_f32_e64 s0, v45, v45
	v_or_b32_e32 v45, 0x400000, v18
	v_or_b32_e32 v50, 0x400000, v20
	v_add_nc_u32_e32 v56, 1, v49
	v_lshrrev_b32_e32 v44, 16, v9
	v_bfe_u32 v9, v18, 16, 1
	v_cndmask_b32_e64 v17, v19, v47, s0
	v_mul_f32_e32 v19, s21, v43
	v_mul_f32_e32 v43, s21, v46
	v_cmp_u_f32_e64 s0, v18, v18
	v_add3_u32 v9, v9, v18, 0x7fff
	v_bfe_u32 v18, v20, 16, 1
	v_bfe_u32 v46, v19, 16, 1
	;; [unrolled: 1-line block ×3, first 2 shown]
	v_or_b32_e32 v48, 0x400000, v43
	v_cndmask_b32_e64 v9, v9, v45, s0
	v_cmp_u_f32_e64 s0, v19, v19
	v_add3_u32 v45, v46, v19, 0x7fff
	v_or_b32_e32 v46, 0x400000, v19
	v_add3_u32 v47, v47, v43, 0x7fff
	v_add3_u32 v18, v18, v20, 0x7fff
	v_add_nc_u32_e32 v55, 2, v49
	v_add_nc_u32_e32 v54, 3, v49
	v_cndmask_b32_e64 v19, v45, v46, s0
	v_cmp_u_f32_e64 s0, v43, v43
	v_lshrrev_b32_e32 v46, 16, v17
	v_add_nc_u32_e32 v53, 4, v49
	v_add_nc_u32_e32 v52, 5, v49
	;; [unrolled: 1-line block ×3, first 2 shown]
	v_cndmask_b32_e64 v43, v47, v48, s0
	v_cmp_u_f32_e64 s0, v20, v20
	v_lshrrev_b32_e32 v48, 16, v9
	v_lshrrev_b32_e32 v47, 16, v19
	;; [unrolled: 1-line block ×3, first 2 shown]
	v_cndmask_b32_e64 v18, v18, v50, s0
	v_add_nc_u32_e32 v50, 7, v49
	v_lshrrev_b32_e32 v45, 16, v18
	s_and_saveexec_b32 s22, vcc_lo
	s_cbranch_execz .LBB324_422
; %bb.421:                              ;   in Loop: Header=BB324_359 Depth=1
	v_cmp_gt_i32_e64 s0, s33, v49
	v_cndmask_b32_e64 v47, 0, v47, s0
	v_cmp_gt_i32_e64 s0, s33, v56
	v_cndmask_b32_e64 v48, 0, v48, s0
	;; [unrolled: 2-line block ×8, first 2 shown]
.LBB324_422:                            ;   in Loop: Header=BB324_359 Depth=1
	s_or_b32 exec_lo, exec_lo, s22
	global_load_dwordx2 v[17:18], v[15:16], off offset:256
	v_mov_b32_e32 v58, 0
	v_mov_b32_e32 v59, 0
	s_waitcnt vmcnt(0)
	v_cmp_ne_u16_sdwa s0, v17, v10 src0_sel:BYTE_0 src1_sel:DWORD
	s_and_saveexec_b32 s22, s0
	s_cbranch_execz .LBB324_428
; %bb.423:                              ;   in Loop: Header=BB324_359 Depth=1
	v_cmp_ne_u16_sdwa s0, v17, v33 src0_sel:BYTE_0 src1_sel:DWORD
	v_bfrev_b32_e32 v59, 1
	s_and_saveexec_b32 s26, s0
	s_cbranch_execz .LBB324_427
; %bb.424:                              ;   in Loop: Header=BB324_359 Depth=1
	v_and_b32_e32 v9, 0x7f, v17
	v_mov_b32_e32 v59, 0x7f800001
	s_mov_b32 s27, exec_lo
	v_cmpx_ne_u32_e32 0x7f, v9
	s_cbranch_execz .LBB324_426
; %bb.425:                              ;   in Loop: Header=BB324_359 Depth=1
	v_and_b32_e32 v19, 7, v17
	v_lshrrev_b32_e32 v20, 3, v9
	v_cmp_gt_u32_e64 s0, 8, v9
	v_ffbh_u32_e32 v19, v19
	v_min_u32_e32 v19, 32, v19
	v_subrev_nc_u32_e32 v57, 28, v19
	v_sub_nc_u32_e32 v19, 29, v19
	v_cndmask_b32_e64 v9, v20, v19, s0
	v_cndmask_b32_e64 v19, 0, v57, s0
	v_lshl_add_u32 v9, v9, 23, 0x3c000000
	v_lshlrev_b64 v[19:20], v19, v[17:18]
	v_lshlrev_b32_e32 v20, 24, v17
	v_lshlrev_b32_e32 v19, 20, v19
	v_and_b32_e32 v20, 0x80000000, v20
	v_and_b32_e32 v19, 0x700000, v19
	v_or3_b32 v59, v19, v20, v9
.LBB324_426:                            ;   in Loop: Header=BB324_359 Depth=1
	s_or_b32 exec_lo, exec_lo, s27
.LBB324_427:                            ;   in Loop: Header=BB324_359 Depth=1
	s_or_b32 exec_lo, exec_lo, s26
.LBB324_428:                            ;   in Loop: Header=BB324_359 Depth=1
	s_or_b32 exec_lo, exec_lo, s22
	v_cmp_ne_u16_sdwa s0, v17, v10 src0_sel:BYTE_1 src1_sel:DWORD
	s_and_saveexec_b32 s22, s0
	s_cbranch_execz .LBB324_436
; %bb.429:                              ;   in Loop: Header=BB324_359 Depth=1
	v_cmp_ne_u16_sdwa s0, v17, v33 src0_sel:BYTE_1 src1_sel:DWORD
	v_bfrev_b32_e32 v58, 1
	s_and_saveexec_b32 s26, s0
	s_cbranch_execz .LBB324_435
; %bb.430:                              ;   in Loop: Header=BB324_359 Depth=1
	v_and_b32_sdwa v9, v34, v17 dst_sel:DWORD dst_unused:UNUSED_PAD src0_sel:DWORD src1_sel:BYTE_1
	v_mov_b32_e32 v58, 0x7f800001
	s_mov_b32 s27, exec_lo
	v_and_b32_e32 v20, 0x7f, v9
	v_cmpx_ne_u32_e32 0x7f, v20
	s_cbranch_execz .LBB324_434
; %bb.431:                              ;   in Loop: Header=BB324_359 Depth=1
	v_and_b32_e32 v9, 7, v9
	v_lshrrev_b32_e32 v19, 3, v20
	s_mov_b32 s28, exec_lo
	v_cmpx_gt_u32_e32 8, v20
; %bb.432:                              ;   in Loop: Header=BB324_359 Depth=1
	v_ffbh_u32_e32 v19, v9
	v_min_u32_e32 v19, 32, v19
	v_subrev_nc_u32_e32 v20, 28, v19
	v_sub_nc_u32_e32 v19, 29, v19
	v_lshlrev_b64 v[57:58], v20, v[9:10]
	v_and_b32_e32 v9, 7, v57
; %bb.433:                              ;   in Loop: Header=BB324_359 Depth=1
	s_or_b32 exec_lo, exec_lo, s28
	v_lshlrev_b32_e32 v20, 16, v17
	v_lshlrev_b32_e32 v9, 20, v9
	v_lshl_add_u32 v19, v19, 23, 0x3c000000
	v_and_b32_e32 v20, 0x80000000, v20
	v_or3_b32 v58, v9, v20, v19
.LBB324_434:                            ;   in Loop: Header=BB324_359 Depth=1
	s_or_b32 exec_lo, exec_lo, s27
.LBB324_435:                            ;   in Loop: Header=BB324_359 Depth=1
	s_or_b32 exec_lo, exec_lo, s26
.LBB324_436:                            ;   in Loop: Header=BB324_359 Depth=1
	s_or_b32 exec_lo, exec_lo, s22
	v_and_b32_sdwa v9, v17, v35 dst_sel:DWORD dst_unused:UNUSED_PAD src0_sel:WORD_1 src1_sel:DWORD
	v_mov_b32_e32 v60, 0
	v_mov_b32_e32 v57, 0
	s_mov_b32 s22, exec_lo
	v_cmpx_ne_u16_e32 0, v9
	s_cbranch_execz .LBB324_444
; %bb.437:                              ;   in Loop: Header=BB324_359 Depth=1
	v_bfrev_b32_e32 v57, 1
	s_mov_b32 s26, exec_lo
	v_cmpx_ne_u16_e32 0x80, v9
	s_cbranch_execz .LBB324_443
; %bb.438:                              ;   in Loop: Header=BB324_359 Depth=1
	v_bfe_u32 v20, v17, 16, 7
	v_mov_b32_e32 v57, 0x7f800001
	s_mov_b32 s27, exec_lo
	v_cmpx_ne_u32_e32 0x7f, v20
	s_cbranch_execz .LBB324_442
; %bb.439:                              ;   in Loop: Header=BB324_359 Depth=1
	v_and_b32_sdwa v9, v17, v36 dst_sel:DWORD dst_unused:UNUSED_PAD src0_sel:WORD_1 src1_sel:DWORD
	v_lshrrev_b32_e32 v19, 3, v20
	s_mov_b32 s28, exec_lo
	v_cmpx_gt_u32_e32 8, v20
; %bb.440:                              ;   in Loop: Header=BB324_359 Depth=1
	v_ffbh_u32_e32 v19, v9
	v_min_u32_e32 v19, 32, v19
	v_subrev_nc_u32_e32 v20, 28, v19
	v_sub_nc_u32_e32 v19, 29, v19
	v_lshlrev_b64 v[61:62], v20, v[9:10]
	v_and_b32_e32 v9, 7, v61
; %bb.441:                              ;   in Loop: Header=BB324_359 Depth=1
	s_or_b32 exec_lo, exec_lo, s28
	v_lshlrev_b32_sdwa v20, v37, v17 dst_sel:DWORD dst_unused:UNUSED_PAD src0_sel:DWORD src1_sel:WORD_1
	v_lshlrev_b32_e32 v9, 20, v9
	v_lshl_add_u32 v19, v19, 23, 0x3c000000
	v_and_b32_e32 v20, 0x80000000, v20
	v_or3_b32 v57, v9, v20, v19
.LBB324_442:                            ;   in Loop: Header=BB324_359 Depth=1
	s_or_b32 exec_lo, exec_lo, s27
.LBB324_443:                            ;   in Loop: Header=BB324_359 Depth=1
	s_or_b32 exec_lo, exec_lo, s26
.LBB324_444:                            ;   in Loop: Header=BB324_359 Depth=1
	s_or_b32 exec_lo, exec_lo, s22
	s_mov_b32 s22, exec_lo
	v_cmpx_lt_u32_e32 0xffffff, v17
	s_cbranch_execz .LBB324_452
; %bb.445:                              ;   in Loop: Header=BB324_359 Depth=1
	v_cmp_ne_u32_sdwa s0, v17, v33 src0_sel:BYTE_3 src1_sel:DWORD
	v_bfrev_b32_e32 v60, 1
	s_and_saveexec_b32 s26, s0
	s_cbranch_execz .LBB324_451
; %bb.446:                              ;   in Loop: Header=BB324_359 Depth=1
	v_bfe_u32 v20, v17, 24, 7
	v_mov_b32_e32 v60, 0x7f800001
	s_mov_b32 s27, exec_lo
	v_cmpx_ne_u32_e32 0x7f, v20
	s_cbranch_execz .LBB324_450
; %bb.447:                              ;   in Loop: Header=BB324_359 Depth=1
	v_and_b32_sdwa v9, v17, v36 dst_sel:DWORD dst_unused:UNUSED_PAD src0_sel:BYTE_3 src1_sel:DWORD
	v_lshrrev_b32_e32 v19, 3, v20
	s_mov_b32 s28, exec_lo
	v_cmpx_gt_u32_e32 8, v20
; %bb.448:                              ;   in Loop: Header=BB324_359 Depth=1
	v_ffbh_u32_e32 v19, v9
	v_min_u32_e32 v19, 32, v19
	v_subrev_nc_u32_e32 v20, 28, v19
	v_sub_nc_u32_e32 v19, 29, v19
	v_lshlrev_b64 v[60:61], v20, v[9:10]
	v_and_b32_e32 v9, 7, v60
; %bb.449:                              ;   in Loop: Header=BB324_359 Depth=1
	s_or_b32 exec_lo, exec_lo, s28
	v_lshlrev_b32_sdwa v20, v37, v17 dst_sel:DWORD dst_unused:UNUSED_PAD src0_sel:DWORD src1_sel:BYTE_3
	v_lshlrev_b32_e32 v9, 20, v9
	v_lshl_add_u32 v19, v19, 23, 0x3c000000
	v_and_b32_e32 v20, 0x80000000, v20
	v_or3_b32 v60, v9, v20, v19
.LBB324_450:                            ;   in Loop: Header=BB324_359 Depth=1
	s_or_b32 exec_lo, exec_lo, s27
.LBB324_451:                            ;   in Loop: Header=BB324_359 Depth=1
	s_or_b32 exec_lo, exec_lo, s26
.LBB324_452:                            ;   in Loop: Header=BB324_359 Depth=1
	s_or_b32 exec_lo, exec_lo, s22
	v_mov_b32_e32 v9, v18
	v_cmp_ne_u16_sdwa s0, v18, v10 src0_sel:BYTE_0 src1_sel:DWORD
	v_mov_b32_e32 v19, 0
	v_mov_b32_e32 v61, 0
	s_and_saveexec_b32 s22, s0
	s_cbranch_execz .LBB324_458
; %bb.453:                              ;   in Loop: Header=BB324_359 Depth=1
	v_cmp_ne_u16_sdwa s0, v18, v33 src0_sel:BYTE_0 src1_sel:DWORD
	v_bfrev_b32_e32 v61, 1
	s_and_saveexec_b32 s26, s0
	s_cbranch_execz .LBB324_457
; %bb.454:                              ;   in Loop: Header=BB324_359 Depth=1
	v_and_b32_e32 v20, 0x7f, v18
	v_mov_b32_e32 v61, 0x7f800001
	s_mov_b32 s27, exec_lo
	v_cmpx_ne_u32_e32 0x7f, v20
	s_cbranch_execz .LBB324_456
; %bb.455:                              ;   in Loop: Header=BB324_359 Depth=1
	v_and_b32_e32 v61, 7, v18
	v_lshrrev_b32_e32 v62, 3, v20
	v_cmp_gt_u32_e64 s0, 8, v20
	v_ffbh_u32_e32 v61, v61
	v_min_u32_e32 v61, 32, v61
	v_subrev_nc_u32_e32 v63, 28, v61
	v_sub_nc_u32_e32 v61, 29, v61
	v_cndmask_b32_e64 v20, v62, v61, s0
	v_cndmask_b32_e64 v61, 0, v63, s0
	v_lshl_add_u32 v20, v20, 23, 0x3c000000
	v_lshlrev_b64 v[61:62], v61, v[9:10]
	v_lshlrev_b32_e32 v62, 24, v9
	v_lshlrev_b32_e32 v61, 20, v61
	v_and_b32_e32 v62, 0x80000000, v62
	v_and_b32_e32 v61, 0x700000, v61
	v_or3_b32 v61, v61, v62, v20
.LBB324_456:                            ;   in Loop: Header=BB324_359 Depth=1
	s_or_b32 exec_lo, exec_lo, s27
.LBB324_457:                            ;   in Loop: Header=BB324_359 Depth=1
	s_or_b32 exec_lo, exec_lo, s26
.LBB324_458:                            ;   in Loop: Header=BB324_359 Depth=1
	s_or_b32 exec_lo, exec_lo, s22
	v_cmp_ne_u16_sdwa s0, v9, v10 src0_sel:BYTE_1 src1_sel:DWORD
	s_and_saveexec_b32 s22, s0
	s_cbranch_execz .LBB324_466
; %bb.459:                              ;   in Loop: Header=BB324_359 Depth=1
	v_cmp_ne_u16_sdwa s0, v9, v33 src0_sel:BYTE_1 src1_sel:DWORD
	v_bfrev_b32_e32 v19, 1
	s_and_saveexec_b32 s26, s0
	s_cbranch_execz .LBB324_465
; %bb.460:                              ;   in Loop: Header=BB324_359 Depth=1
	v_and_b32_sdwa v20, v34, v9 dst_sel:DWORD dst_unused:UNUSED_PAD src0_sel:DWORD src1_sel:BYTE_1
	v_mov_b32_e32 v19, 0x7f800001
	s_mov_b32 s27, exec_lo
	v_and_b32_e32 v63, 0x7f, v20
	v_cmpx_ne_u32_e32 0x7f, v63
	s_cbranch_execz .LBB324_464
; %bb.461:                              ;   in Loop: Header=BB324_359 Depth=1
	v_and_b32_e32 v19, 7, v20
	v_mov_b32_e32 v20, v10
	v_lshrrev_b32_e32 v62, 3, v63
	s_mov_b32 s28, exec_lo
	v_cmpx_gt_u32_e32 8, v63
; %bb.462:                              ;   in Loop: Header=BB324_359 Depth=1
	v_ffbh_u32_e32 v62, v19
	v_min_u32_e32 v62, 32, v62
	v_subrev_nc_u32_e32 v63, 28, v62
	v_sub_nc_u32_e32 v62, 29, v62
	v_lshlrev_b64 v[19:20], v63, v[19:20]
	v_and_b32_e32 v19, 7, v19
; %bb.463:                              ;   in Loop: Header=BB324_359 Depth=1
	s_or_b32 exec_lo, exec_lo, s28
	v_lshlrev_b32_e32 v9, 16, v9
	v_lshlrev_b32_e32 v19, 20, v19
	v_lshl_add_u32 v20, v62, 23, 0x3c000000
	v_and_b32_e32 v9, 0x80000000, v9
	v_or3_b32 v19, v19, v9, v20
.LBB324_464:                            ;   in Loop: Header=BB324_359 Depth=1
	s_or_b32 exec_lo, exec_lo, s27
.LBB324_465:                            ;   in Loop: Header=BB324_359 Depth=1
	s_or_b32 exec_lo, exec_lo, s26
.LBB324_466:                            ;   in Loop: Header=BB324_359 Depth=1
	s_or_b32 exec_lo, exec_lo, s22
	v_and_b32_sdwa v9, v18, v35 dst_sel:DWORD dst_unused:UNUSED_PAD src0_sel:WORD_1 src1_sel:DWORD
	v_mov_b32_e32 v20, 0
	v_mov_b32_e32 v62, 0
	s_mov_b32 s22, exec_lo
	v_cmpx_ne_u16_e32 0, v9
	s_cbranch_execz .LBB324_474
; %bb.467:                              ;   in Loop: Header=BB324_359 Depth=1
	v_bfrev_b32_e32 v62, 1
	s_mov_b32 s26, exec_lo
	v_cmpx_ne_u16_e32 0x80, v9
	s_cbranch_execz .LBB324_473
; %bb.468:                              ;   in Loop: Header=BB324_359 Depth=1
	v_bfe_u32 v63, v18, 16, 7
	v_mov_b32_e32 v62, 0x7f800001
	s_mov_b32 s27, exec_lo
	v_cmpx_ne_u32_e32 0x7f, v63
	s_cbranch_execz .LBB324_472
; %bb.469:                              ;   in Loop: Header=BB324_359 Depth=1
	v_and_b32_sdwa v9, v18, v36 dst_sel:DWORD dst_unused:UNUSED_PAD src0_sel:WORD_1 src1_sel:DWORD
	v_lshrrev_b32_e32 v62, 3, v63
	s_mov_b32 s28, exec_lo
	v_cmpx_gt_u32_e32 8, v63
; %bb.470:                              ;   in Loop: Header=BB324_359 Depth=1
	v_ffbh_u32_e32 v62, v9
	v_min_u32_e32 v62, 32, v62
	v_subrev_nc_u32_e32 v63, 28, v62
	v_sub_nc_u32_e32 v62, 29, v62
	v_lshlrev_b64 v[63:64], v63, v[9:10]
	v_and_b32_e32 v9, 7, v63
; %bb.471:                              ;   in Loop: Header=BB324_359 Depth=1
	s_or_b32 exec_lo, exec_lo, s28
	v_lshlrev_b32_sdwa v63, v37, v18 dst_sel:DWORD dst_unused:UNUSED_PAD src0_sel:DWORD src1_sel:WORD_1
	v_lshlrev_b32_e32 v9, 20, v9
	v_lshl_add_u32 v62, v62, 23, 0x3c000000
	v_and_b32_e32 v63, 0x80000000, v63
	v_or3_b32 v62, v9, v63, v62
.LBB324_472:                            ;   in Loop: Header=BB324_359 Depth=1
	s_or_b32 exec_lo, exec_lo, s27
.LBB324_473:                            ;   in Loop: Header=BB324_359 Depth=1
	s_or_b32 exec_lo, exec_lo, s26
.LBB324_474:                            ;   in Loop: Header=BB324_359 Depth=1
	s_or_b32 exec_lo, exec_lo, s22
	s_mov_b32 s22, exec_lo
	v_cmpx_lt_u64_e64 s[2:3], v[17:18]
	s_cbranch_execz .LBB324_482
; %bb.475:                              ;   in Loop: Header=BB324_359 Depth=1
	v_cmp_ne_u32_sdwa s0, v18, v33 src0_sel:BYTE_3 src1_sel:DWORD
	v_bfrev_b32_e32 v20, 1
	s_and_saveexec_b32 s26, s0
	s_cbranch_execz .LBB324_481
; %bb.476:                              ;   in Loop: Header=BB324_359 Depth=1
	v_bfe_u32 v63, v18, 24, 7
	v_mov_b32_e32 v20, 0x7f800001
	s_mov_b32 s27, exec_lo
	v_cmpx_ne_u32_e32 0x7f, v63
	s_cbranch_execz .LBB324_480
; %bb.477:                              ;   in Loop: Header=BB324_359 Depth=1
	v_and_b32_sdwa v9, v18, v36 dst_sel:DWORD dst_unused:UNUSED_PAD src0_sel:BYTE_3 src1_sel:DWORD
	v_lshrrev_b32_e32 v17, 3, v63
	s_mov_b32 s28, exec_lo
	v_cmpx_gt_u32_e32 8, v63
; %bb.478:                              ;   in Loop: Header=BB324_359 Depth=1
	v_ffbh_u32_e32 v17, v9
	v_min_u32_e32 v17, 32, v17
	v_subrev_nc_u32_e32 v20, 28, v17
	v_sub_nc_u32_e32 v17, 29, v17
	v_lshlrev_b64 v[63:64], v20, v[9:10]
	v_and_b32_e32 v9, 7, v63
; %bb.479:                              ;   in Loop: Header=BB324_359 Depth=1
	s_or_b32 exec_lo, exec_lo, s28
	v_lshlrev_b32_sdwa v18, v37, v18 dst_sel:DWORD dst_unused:UNUSED_PAD src0_sel:DWORD src1_sel:BYTE_3
	v_lshlrev_b32_e32 v9, 20, v9
	v_lshl_add_u32 v17, v17, 23, 0x3c000000
	v_and_b32_e32 v18, 0x80000000, v18
	v_or3_b32 v20, v9, v18, v17
.LBB324_480:                            ;   in Loop: Header=BB324_359 Depth=1
	s_or_b32 exec_lo, exec_lo, s27
.LBB324_481:                            ;   in Loop: Header=BB324_359 Depth=1
	s_or_b32 exec_lo, exec_lo, s26
.LBB324_482:                            ;   in Loop: Header=BB324_359 Depth=1
	s_or_b32 exec_lo, exec_lo, s22
	v_mul_f32_e32 v9, s21, v19
	v_mul_f32_e32 v17, s21, v61
	;; [unrolled: 1-line block ×5, first 2 shown]
	v_bfe_u32 v57, v9, 16, 1
	v_or_b32_e32 v60, 0x400000, v9
	v_bfe_u32 v61, v17, 16, 1
	v_cmp_u_f32_e64 s0, v9, v9
	v_or_b32_e32 v63, 0x400000, v17
	v_add3_u32 v57, v57, v9, 0x7fff
	v_bfe_u32 v64, v18, 16, 1
	v_add3_u32 v61, v61, v17, 0x7fff
	v_or_b32_e32 v65, 0x400000, v18
	v_bfe_u32 v66, v19, 16, 1
	v_cndmask_b32_e64 v9, v57, v60, s0
	v_cmp_u_f32_e64 s0, v17, v17
	v_add3_u32 v64, v64, v18, 0x7fff
	v_lshrrev_b32_e32 v57, 16, v9
	v_cndmask_b32_e64 v17, v61, v63, s0
	v_cmp_u_f32_e64 s0, v18, v18
	v_mul_f32_e32 v9, s21, v58
	v_add3_u32 v61, v66, v19, 0x7fff
	v_or_b32_e32 v63, 0x400000, v19
	v_lshrrev_b32_e32 v58, 16, v17
	v_cndmask_b32_e64 v18, v64, v65, s0
	v_bfe_u32 v17, v9, 16, 1
	v_cmp_u_f32_e64 s0, v19, v19
	v_mul_f32_e32 v19, s21, v59
	v_mul_f32_e32 v59, s21, v62
	v_lshrrev_b32_e32 v60, 16, v18
	v_add3_u32 v17, v17, v9, 0x7fff
	v_cndmask_b32_e64 v18, v61, v63, s0
	v_or_b32_e32 v61, 0x400000, v9
	v_bfe_u32 v62, v19, 16, 1
	v_cmp_u_f32_e64 s0, v9, v9
	v_bfe_u32 v63, v59, 16, 1
	v_or_b32_e32 v64, 0x400000, v59
	v_or_b32_e32 v65, 0x400000, v20
	v_cndmask_b32_e64 v9, v17, v61, s0
	v_add3_u32 v61, v62, v19, 0x7fff
	v_or_b32_e32 v62, 0x400000, v19
	v_cmp_u_f32_e64 s0, v19, v19
	v_bfe_u32 v17, v20, 16, 1
	v_add3_u32 v63, v63, v59, 0x7fff
	v_cndmask_b32_e64 v19, v61, v62, s0
	v_cmp_u_f32_e64 s0, v59, v59
	v_add3_u32 v17, v17, v20, 0x7fff
	v_lshrrev_b32_e32 v62, 16, v18
	v_cndmask_b32_e64 v59, v63, v64, s0
	v_cmp_u_f32_e64 s0, v20, v20
	v_lshrrev_b32_e32 v64, 16, v9
	v_lshrrev_b32_e32 v63, 16, v19
	;; [unrolled: 1-line block ×3, first 2 shown]
	v_cndmask_b32_e64 v17, v17, v65, s0
	v_lshrrev_b32_e32 v61, 16, v17
	s_and_saveexec_b32 s22, vcc_lo
	s_cbranch_execz .LBB324_484
; %bb.483:                              ;   in Loop: Header=BB324_359 Depth=1
	v_cmp_gt_i32_e64 s0, s33, v49
	v_cndmask_b32_e64 v63, 0, v63, s0
	v_cmp_gt_i32_e64 s0, s33, v56
	v_cndmask_b32_e64 v64, 0, v64, s0
	;; [unrolled: 2-line block ×8, first 2 shown]
.LBB324_484:                            ;   in Loop: Header=BB324_359 Depth=1
	s_or_b32 exec_lo, exec_lo, s22
	global_load_dwordx2 v[17:18], v[15:16], off offset:512
	v_mov_b32_e32 v66, 0
	v_mov_b32_e32 v67, 0
	s_waitcnt vmcnt(0)
	v_cmp_ne_u16_sdwa s0, v17, v10 src0_sel:BYTE_0 src1_sel:DWORD
	s_and_saveexec_b32 s22, s0
	s_cbranch_execz .LBB324_490
; %bb.485:                              ;   in Loop: Header=BB324_359 Depth=1
	v_cmp_ne_u16_sdwa s0, v17, v33 src0_sel:BYTE_0 src1_sel:DWORD
	v_bfrev_b32_e32 v67, 1
	s_and_saveexec_b32 s26, s0
	s_cbranch_execz .LBB324_489
; %bb.486:                              ;   in Loop: Header=BB324_359 Depth=1
	v_and_b32_e32 v9, 0x7f, v17
	v_mov_b32_e32 v67, 0x7f800001
	s_mov_b32 s27, exec_lo
	v_cmpx_ne_u32_e32 0x7f, v9
	s_cbranch_execz .LBB324_488
; %bb.487:                              ;   in Loop: Header=BB324_359 Depth=1
	v_and_b32_e32 v19, 7, v17
	v_lshrrev_b32_e32 v20, 3, v9
	v_cmp_gt_u32_e64 s0, 8, v9
	v_ffbh_u32_e32 v19, v19
	v_min_u32_e32 v19, 32, v19
	v_subrev_nc_u32_e32 v65, 28, v19
	v_sub_nc_u32_e32 v19, 29, v19
	v_cndmask_b32_e64 v9, v20, v19, s0
	v_cndmask_b32_e64 v19, 0, v65, s0
	v_lshl_add_u32 v9, v9, 23, 0x3c000000
	v_lshlrev_b64 v[19:20], v19, v[17:18]
	v_lshlrev_b32_e32 v20, 24, v17
	v_lshlrev_b32_e32 v19, 20, v19
	v_and_b32_e32 v20, 0x80000000, v20
	v_and_b32_e32 v19, 0x700000, v19
	v_or3_b32 v67, v19, v20, v9
.LBB324_488:                            ;   in Loop: Header=BB324_359 Depth=1
	s_or_b32 exec_lo, exec_lo, s27
.LBB324_489:                            ;   in Loop: Header=BB324_359 Depth=1
	s_or_b32 exec_lo, exec_lo, s26
.LBB324_490:                            ;   in Loop: Header=BB324_359 Depth=1
	s_or_b32 exec_lo, exec_lo, s22
	v_cmp_ne_u16_sdwa s0, v17, v10 src0_sel:BYTE_1 src1_sel:DWORD
	s_and_saveexec_b32 s22, s0
	s_cbranch_execz .LBB324_498
; %bb.491:                              ;   in Loop: Header=BB324_359 Depth=1
	v_cmp_ne_u16_sdwa s0, v17, v33 src0_sel:BYTE_1 src1_sel:DWORD
	v_bfrev_b32_e32 v66, 1
	s_and_saveexec_b32 s26, s0
	s_cbranch_execz .LBB324_497
; %bb.492:                              ;   in Loop: Header=BB324_359 Depth=1
	v_and_b32_sdwa v9, v34, v17 dst_sel:DWORD dst_unused:UNUSED_PAD src0_sel:DWORD src1_sel:BYTE_1
	v_mov_b32_e32 v66, 0x7f800001
	s_mov_b32 s27, exec_lo
	v_and_b32_e32 v20, 0x7f, v9
	v_cmpx_ne_u32_e32 0x7f, v20
	s_cbranch_execz .LBB324_496
; %bb.493:                              ;   in Loop: Header=BB324_359 Depth=1
	v_and_b32_e32 v9, 7, v9
	v_lshrrev_b32_e32 v19, 3, v20
	s_mov_b32 s28, exec_lo
	v_cmpx_gt_u32_e32 8, v20
; %bb.494:                              ;   in Loop: Header=BB324_359 Depth=1
	v_ffbh_u32_e32 v19, v9
	v_min_u32_e32 v19, 32, v19
	v_subrev_nc_u32_e32 v20, 28, v19
	v_sub_nc_u32_e32 v19, 29, v19
	v_lshlrev_b64 v[65:66], v20, v[9:10]
	v_and_b32_e32 v9, 7, v65
; %bb.495:                              ;   in Loop: Header=BB324_359 Depth=1
	s_or_b32 exec_lo, exec_lo, s28
	v_lshlrev_b32_e32 v20, 16, v17
	v_lshlrev_b32_e32 v9, 20, v9
	v_lshl_add_u32 v19, v19, 23, 0x3c000000
	v_and_b32_e32 v20, 0x80000000, v20
	v_or3_b32 v66, v9, v20, v19
.LBB324_496:                            ;   in Loop: Header=BB324_359 Depth=1
	s_or_b32 exec_lo, exec_lo, s27
.LBB324_497:                            ;   in Loop: Header=BB324_359 Depth=1
	s_or_b32 exec_lo, exec_lo, s26
.LBB324_498:                            ;   in Loop: Header=BB324_359 Depth=1
	s_or_b32 exec_lo, exec_lo, s22
	v_and_b32_sdwa v9, v17, v35 dst_sel:DWORD dst_unused:UNUSED_PAD src0_sel:WORD_1 src1_sel:DWORD
	v_mov_b32_e32 v68, 0
	v_mov_b32_e32 v65, 0
	s_mov_b32 s22, exec_lo
	v_cmpx_ne_u16_e32 0, v9
	s_cbranch_execz .LBB324_506
; %bb.499:                              ;   in Loop: Header=BB324_359 Depth=1
	v_bfrev_b32_e32 v65, 1
	s_mov_b32 s26, exec_lo
	v_cmpx_ne_u16_e32 0x80, v9
	s_cbranch_execz .LBB324_505
; %bb.500:                              ;   in Loop: Header=BB324_359 Depth=1
	v_bfe_u32 v20, v17, 16, 7
	v_mov_b32_e32 v65, 0x7f800001
	s_mov_b32 s27, exec_lo
	v_cmpx_ne_u32_e32 0x7f, v20
	s_cbranch_execz .LBB324_504
; %bb.501:                              ;   in Loop: Header=BB324_359 Depth=1
	v_and_b32_sdwa v9, v17, v36 dst_sel:DWORD dst_unused:UNUSED_PAD src0_sel:WORD_1 src1_sel:DWORD
	v_lshrrev_b32_e32 v19, 3, v20
	s_mov_b32 s28, exec_lo
	v_cmpx_gt_u32_e32 8, v20
; %bb.502:                              ;   in Loop: Header=BB324_359 Depth=1
	v_ffbh_u32_e32 v19, v9
	v_min_u32_e32 v19, 32, v19
	v_subrev_nc_u32_e32 v20, 28, v19
	v_sub_nc_u32_e32 v19, 29, v19
	v_lshlrev_b64 v[69:70], v20, v[9:10]
	v_and_b32_e32 v9, 7, v69
; %bb.503:                              ;   in Loop: Header=BB324_359 Depth=1
	s_or_b32 exec_lo, exec_lo, s28
	v_lshlrev_b32_sdwa v20, v37, v17 dst_sel:DWORD dst_unused:UNUSED_PAD src0_sel:DWORD src1_sel:WORD_1
	v_lshlrev_b32_e32 v9, 20, v9
	v_lshl_add_u32 v19, v19, 23, 0x3c000000
	v_and_b32_e32 v20, 0x80000000, v20
	v_or3_b32 v65, v9, v20, v19
.LBB324_504:                            ;   in Loop: Header=BB324_359 Depth=1
	s_or_b32 exec_lo, exec_lo, s27
.LBB324_505:                            ;   in Loop: Header=BB324_359 Depth=1
	s_or_b32 exec_lo, exec_lo, s26
.LBB324_506:                            ;   in Loop: Header=BB324_359 Depth=1
	s_or_b32 exec_lo, exec_lo, s22
	s_mov_b32 s22, exec_lo
	v_cmpx_lt_u32_e32 0xffffff, v17
	s_cbranch_execz .LBB324_514
; %bb.507:                              ;   in Loop: Header=BB324_359 Depth=1
	v_cmp_ne_u32_sdwa s0, v17, v33 src0_sel:BYTE_3 src1_sel:DWORD
	v_bfrev_b32_e32 v68, 1
	s_and_saveexec_b32 s26, s0
	s_cbranch_execz .LBB324_513
; %bb.508:                              ;   in Loop: Header=BB324_359 Depth=1
	v_bfe_u32 v20, v17, 24, 7
	v_mov_b32_e32 v68, 0x7f800001
	s_mov_b32 s27, exec_lo
	v_cmpx_ne_u32_e32 0x7f, v20
	s_cbranch_execz .LBB324_512
; %bb.509:                              ;   in Loop: Header=BB324_359 Depth=1
	v_and_b32_sdwa v9, v17, v36 dst_sel:DWORD dst_unused:UNUSED_PAD src0_sel:BYTE_3 src1_sel:DWORD
	v_lshrrev_b32_e32 v19, 3, v20
	s_mov_b32 s28, exec_lo
	v_cmpx_gt_u32_e32 8, v20
; %bb.510:                              ;   in Loop: Header=BB324_359 Depth=1
	v_ffbh_u32_e32 v19, v9
	v_min_u32_e32 v19, 32, v19
	v_subrev_nc_u32_e32 v20, 28, v19
	v_sub_nc_u32_e32 v19, 29, v19
	v_lshlrev_b64 v[68:69], v20, v[9:10]
	v_and_b32_e32 v9, 7, v68
; %bb.511:                              ;   in Loop: Header=BB324_359 Depth=1
	s_or_b32 exec_lo, exec_lo, s28
	v_lshlrev_b32_sdwa v20, v37, v17 dst_sel:DWORD dst_unused:UNUSED_PAD src0_sel:DWORD src1_sel:BYTE_3
	v_lshlrev_b32_e32 v9, 20, v9
	v_lshl_add_u32 v19, v19, 23, 0x3c000000
	v_and_b32_e32 v20, 0x80000000, v20
	v_or3_b32 v68, v9, v20, v19
.LBB324_512:                            ;   in Loop: Header=BB324_359 Depth=1
	s_or_b32 exec_lo, exec_lo, s27
.LBB324_513:                            ;   in Loop: Header=BB324_359 Depth=1
	s_or_b32 exec_lo, exec_lo, s26
.LBB324_514:                            ;   in Loop: Header=BB324_359 Depth=1
	s_or_b32 exec_lo, exec_lo, s22
	v_mov_b32_e32 v9, v18
	v_cmp_ne_u16_sdwa s0, v18, v10 src0_sel:BYTE_0 src1_sel:DWORD
	v_mov_b32_e32 v19, 0
	v_mov_b32_e32 v69, 0
	s_and_saveexec_b32 s22, s0
	s_cbranch_execz .LBB324_520
; %bb.515:                              ;   in Loop: Header=BB324_359 Depth=1
	v_cmp_ne_u16_sdwa s0, v18, v33 src0_sel:BYTE_0 src1_sel:DWORD
	v_bfrev_b32_e32 v69, 1
	s_and_saveexec_b32 s26, s0
	s_cbranch_execz .LBB324_519
; %bb.516:                              ;   in Loop: Header=BB324_359 Depth=1
	v_and_b32_e32 v20, 0x7f, v18
	v_mov_b32_e32 v69, 0x7f800001
	s_mov_b32 s27, exec_lo
	v_cmpx_ne_u32_e32 0x7f, v20
	s_cbranch_execz .LBB324_518
; %bb.517:                              ;   in Loop: Header=BB324_359 Depth=1
	v_and_b32_e32 v69, 7, v18
	v_lshrrev_b32_e32 v70, 3, v20
	v_cmp_gt_u32_e64 s0, 8, v20
	v_ffbh_u32_e32 v69, v69
	v_min_u32_e32 v69, 32, v69
	v_subrev_nc_u32_e32 v71, 28, v69
	v_sub_nc_u32_e32 v69, 29, v69
	v_cndmask_b32_e64 v20, v70, v69, s0
	v_cndmask_b32_e64 v69, 0, v71, s0
	v_lshl_add_u32 v20, v20, 23, 0x3c000000
	v_lshlrev_b64 v[69:70], v69, v[9:10]
	v_lshlrev_b32_e32 v70, 24, v9
	v_lshlrev_b32_e32 v69, 20, v69
	v_and_b32_e32 v70, 0x80000000, v70
	v_and_b32_e32 v69, 0x700000, v69
	v_or3_b32 v69, v69, v70, v20
.LBB324_518:                            ;   in Loop: Header=BB324_359 Depth=1
	s_or_b32 exec_lo, exec_lo, s27
.LBB324_519:                            ;   in Loop: Header=BB324_359 Depth=1
	s_or_b32 exec_lo, exec_lo, s26
.LBB324_520:                            ;   in Loop: Header=BB324_359 Depth=1
	s_or_b32 exec_lo, exec_lo, s22
	v_cmp_ne_u16_sdwa s0, v9, v10 src0_sel:BYTE_1 src1_sel:DWORD
	s_and_saveexec_b32 s22, s0
	s_cbranch_execz .LBB324_528
; %bb.521:                              ;   in Loop: Header=BB324_359 Depth=1
	v_cmp_ne_u16_sdwa s0, v9, v33 src0_sel:BYTE_1 src1_sel:DWORD
	v_bfrev_b32_e32 v19, 1
	s_and_saveexec_b32 s26, s0
	s_cbranch_execz .LBB324_527
; %bb.522:                              ;   in Loop: Header=BB324_359 Depth=1
	v_and_b32_sdwa v20, v34, v9 dst_sel:DWORD dst_unused:UNUSED_PAD src0_sel:DWORD src1_sel:BYTE_1
	v_mov_b32_e32 v19, 0x7f800001
	s_mov_b32 s27, exec_lo
	v_and_b32_e32 v71, 0x7f, v20
	v_cmpx_ne_u32_e32 0x7f, v71
	s_cbranch_execz .LBB324_526
; %bb.523:                              ;   in Loop: Header=BB324_359 Depth=1
	v_and_b32_e32 v19, 7, v20
	v_mov_b32_e32 v20, v10
	v_lshrrev_b32_e32 v70, 3, v71
	s_mov_b32 s28, exec_lo
	v_cmpx_gt_u32_e32 8, v71
; %bb.524:                              ;   in Loop: Header=BB324_359 Depth=1
	v_ffbh_u32_e32 v70, v19
	v_min_u32_e32 v70, 32, v70
	v_subrev_nc_u32_e32 v71, 28, v70
	v_sub_nc_u32_e32 v70, 29, v70
	v_lshlrev_b64 v[19:20], v71, v[19:20]
	v_and_b32_e32 v19, 7, v19
; %bb.525:                              ;   in Loop: Header=BB324_359 Depth=1
	s_or_b32 exec_lo, exec_lo, s28
	v_lshlrev_b32_e32 v9, 16, v9
	v_lshlrev_b32_e32 v19, 20, v19
	v_lshl_add_u32 v20, v70, 23, 0x3c000000
	v_and_b32_e32 v9, 0x80000000, v9
	v_or3_b32 v19, v19, v9, v20
.LBB324_526:                            ;   in Loop: Header=BB324_359 Depth=1
	s_or_b32 exec_lo, exec_lo, s27
.LBB324_527:                            ;   in Loop: Header=BB324_359 Depth=1
	s_or_b32 exec_lo, exec_lo, s26
.LBB324_528:                            ;   in Loop: Header=BB324_359 Depth=1
	s_or_b32 exec_lo, exec_lo, s22
	v_and_b32_sdwa v9, v18, v35 dst_sel:DWORD dst_unused:UNUSED_PAD src0_sel:WORD_1 src1_sel:DWORD
	v_mov_b32_e32 v20, 0
	v_mov_b32_e32 v70, 0
	s_mov_b32 s22, exec_lo
	v_cmpx_ne_u16_e32 0, v9
	s_cbranch_execz .LBB324_536
; %bb.529:                              ;   in Loop: Header=BB324_359 Depth=1
	v_bfrev_b32_e32 v70, 1
	s_mov_b32 s26, exec_lo
	v_cmpx_ne_u16_e32 0x80, v9
	s_cbranch_execz .LBB324_535
; %bb.530:                              ;   in Loop: Header=BB324_359 Depth=1
	v_bfe_u32 v71, v18, 16, 7
	v_mov_b32_e32 v70, 0x7f800001
	s_mov_b32 s27, exec_lo
	v_cmpx_ne_u32_e32 0x7f, v71
	s_cbranch_execz .LBB324_534
; %bb.531:                              ;   in Loop: Header=BB324_359 Depth=1
	v_and_b32_sdwa v9, v18, v36 dst_sel:DWORD dst_unused:UNUSED_PAD src0_sel:WORD_1 src1_sel:DWORD
	v_lshrrev_b32_e32 v70, 3, v71
	s_mov_b32 s28, exec_lo
	v_cmpx_gt_u32_e32 8, v71
; %bb.532:                              ;   in Loop: Header=BB324_359 Depth=1
	v_ffbh_u32_e32 v70, v9
	v_min_u32_e32 v70, 32, v70
	v_subrev_nc_u32_e32 v71, 28, v70
	v_sub_nc_u32_e32 v70, 29, v70
	v_lshlrev_b64 v[71:72], v71, v[9:10]
	v_and_b32_e32 v9, 7, v71
; %bb.533:                              ;   in Loop: Header=BB324_359 Depth=1
	s_or_b32 exec_lo, exec_lo, s28
	v_lshlrev_b32_sdwa v71, v37, v18 dst_sel:DWORD dst_unused:UNUSED_PAD src0_sel:DWORD src1_sel:WORD_1
	v_lshlrev_b32_e32 v9, 20, v9
	v_lshl_add_u32 v70, v70, 23, 0x3c000000
	v_and_b32_e32 v71, 0x80000000, v71
	v_or3_b32 v70, v9, v71, v70
.LBB324_534:                            ;   in Loop: Header=BB324_359 Depth=1
	s_or_b32 exec_lo, exec_lo, s27
.LBB324_535:                            ;   in Loop: Header=BB324_359 Depth=1
	s_or_b32 exec_lo, exec_lo, s26
.LBB324_536:                            ;   in Loop: Header=BB324_359 Depth=1
	s_or_b32 exec_lo, exec_lo, s22
	s_mov_b32 s22, exec_lo
	v_cmpx_lt_u64_e64 s[2:3], v[17:18]
	s_cbranch_execz .LBB324_544
; %bb.537:                              ;   in Loop: Header=BB324_359 Depth=1
	v_cmp_ne_u32_sdwa s0, v18, v33 src0_sel:BYTE_3 src1_sel:DWORD
	v_bfrev_b32_e32 v20, 1
	s_and_saveexec_b32 s26, s0
	s_cbranch_execz .LBB324_543
; %bb.538:                              ;   in Loop: Header=BB324_359 Depth=1
	v_bfe_u32 v71, v18, 24, 7
	v_mov_b32_e32 v20, 0x7f800001
	s_mov_b32 s27, exec_lo
	v_cmpx_ne_u32_e32 0x7f, v71
	s_cbranch_execz .LBB324_542
; %bb.539:                              ;   in Loop: Header=BB324_359 Depth=1
	v_and_b32_sdwa v9, v18, v36 dst_sel:DWORD dst_unused:UNUSED_PAD src0_sel:BYTE_3 src1_sel:DWORD
	v_lshrrev_b32_e32 v17, 3, v71
	s_mov_b32 s28, exec_lo
	v_cmpx_gt_u32_e32 8, v71
; %bb.540:                              ;   in Loop: Header=BB324_359 Depth=1
	v_ffbh_u32_e32 v17, v9
	v_min_u32_e32 v17, 32, v17
	v_subrev_nc_u32_e32 v20, 28, v17
	v_sub_nc_u32_e32 v17, 29, v17
	v_lshlrev_b64 v[71:72], v20, v[9:10]
	v_and_b32_e32 v9, 7, v71
; %bb.541:                              ;   in Loop: Header=BB324_359 Depth=1
	s_or_b32 exec_lo, exec_lo, s28
	v_lshlrev_b32_sdwa v18, v37, v18 dst_sel:DWORD dst_unused:UNUSED_PAD src0_sel:DWORD src1_sel:BYTE_3
	v_lshlrev_b32_e32 v9, 20, v9
	v_lshl_add_u32 v17, v17, 23, 0x3c000000
	v_and_b32_e32 v18, 0x80000000, v18
	v_or3_b32 v20, v9, v18, v17
.LBB324_542:                            ;   in Loop: Header=BB324_359 Depth=1
	s_or_b32 exec_lo, exec_lo, s27
.LBB324_543:                            ;   in Loop: Header=BB324_359 Depth=1
	s_or_b32 exec_lo, exec_lo, s26
.LBB324_544:                            ;   in Loop: Header=BB324_359 Depth=1
	s_or_b32 exec_lo, exec_lo, s22
	v_mul_f32_e32 v9, s21, v19
	v_mul_f32_e32 v17, s21, v69
	;; [unrolled: 1-line block ×5, first 2 shown]
	v_bfe_u32 v65, v9, 16, 1
	v_or_b32_e32 v68, 0x400000, v9
	v_bfe_u32 v69, v17, 16, 1
	v_cmp_u_f32_e64 s0, v9, v9
	v_or_b32_e32 v71, 0x400000, v17
	v_add3_u32 v65, v65, v9, 0x7fff
	v_bfe_u32 v72, v18, 16, 1
	v_add3_u32 v69, v69, v17, 0x7fff
	v_or_b32_e32 v73, 0x400000, v18
	v_bfe_u32 v74, v19, 16, 1
	v_cndmask_b32_e64 v9, v65, v68, s0
	v_cmp_u_f32_e64 s0, v17, v17
	v_add3_u32 v72, v72, v18, 0x7fff
	v_lshrrev_b32_e32 v65, 16, v9
	v_cndmask_b32_e64 v17, v69, v71, s0
	v_cmp_u_f32_e64 s0, v18, v18
	v_mul_f32_e32 v9, s21, v66
	v_add3_u32 v69, v74, v19, 0x7fff
	v_or_b32_e32 v71, 0x400000, v19
	v_lshrrev_b32_e32 v66, 16, v17
	v_cndmask_b32_e64 v18, v72, v73, s0
	v_bfe_u32 v17, v9, 16, 1
	v_cmp_u_f32_e64 s0, v19, v19
	v_mul_f32_e32 v19, s21, v67
	v_mul_f32_e32 v67, s21, v70
	v_lshrrev_b32_e32 v68, 16, v18
	v_add3_u32 v17, v17, v9, 0x7fff
	v_cndmask_b32_e64 v18, v69, v71, s0
	v_or_b32_e32 v69, 0x400000, v9
	v_bfe_u32 v70, v19, 16, 1
	v_cmp_u_f32_e64 s0, v9, v9
	v_bfe_u32 v71, v67, 16, 1
	v_or_b32_e32 v72, 0x400000, v67
	v_or_b32_e32 v73, 0x400000, v20
	v_cndmask_b32_e64 v9, v17, v69, s0
	v_add3_u32 v69, v70, v19, 0x7fff
	v_or_b32_e32 v70, 0x400000, v19
	v_cmp_u_f32_e64 s0, v19, v19
	v_bfe_u32 v17, v20, 16, 1
	v_add3_u32 v71, v71, v67, 0x7fff
	v_cndmask_b32_e64 v19, v69, v70, s0
	v_cmp_u_f32_e64 s0, v67, v67
	v_add3_u32 v17, v17, v20, 0x7fff
	v_lshrrev_b32_e32 v70, 16, v18
	v_cndmask_b32_e64 v67, v71, v72, s0
	v_cmp_u_f32_e64 s0, v20, v20
	v_lshrrev_b32_e32 v72, 16, v9
	v_lshrrev_b32_e32 v71, 16, v19
	;; [unrolled: 1-line block ×3, first 2 shown]
	v_cndmask_b32_e64 v17, v17, v73, s0
	v_lshrrev_b32_e32 v69, 16, v17
	s_and_saveexec_b32 s22, vcc_lo
	s_cbranch_execz .LBB324_546
; %bb.545:                              ;   in Loop: Header=BB324_359 Depth=1
	v_cmp_gt_i32_e64 s0, s33, v49
	v_cndmask_b32_e64 v71, 0, v71, s0
	v_cmp_gt_i32_e64 s0, s33, v56
	v_cndmask_b32_e64 v72, 0, v72, s0
	v_cmp_gt_i32_e64 s0, s33, v55
	v_cndmask_b32_e64 v70, 0, v70, s0
	v_cmp_gt_i32_e64 s0, s33, v54
	v_cndmask_b32_e64 v68, 0, v68, s0
	v_cmp_gt_i32_e64 s0, s33, v53
	v_cndmask_b32_e64 v66, 0, v66, s0
	v_cmp_gt_i32_e64 s0, s33, v52
	v_cndmask_b32_e64 v65, 0, v65, s0
	v_cmp_gt_i32_e64 s0, s33, v51
	v_cndmask_b32_e64 v67, 0, v67, s0
	v_cmp_gt_i32_e64 s0, s33, v50
	v_cndmask_b32_e64 v69, 0, v69, s0
.LBB324_546:                            ;   in Loop: Header=BB324_359 Depth=1
	s_or_b32 exec_lo, exec_lo, s22
	global_load_dwordx2 v[17:18], v[15:16], off offset:768
	v_mov_b32_e32 v74, 0
	v_mov_b32_e32 v73, 0
	s_waitcnt vmcnt(0)
	v_cmp_ne_u16_sdwa s0, v17, v10 src0_sel:BYTE_0 src1_sel:DWORD
	s_and_saveexec_b32 s22, s0
	s_cbranch_execz .LBB324_552
; %bb.547:                              ;   in Loop: Header=BB324_359 Depth=1
	v_cmp_ne_u16_sdwa s0, v17, v33 src0_sel:BYTE_0 src1_sel:DWORD
	v_bfrev_b32_e32 v73, 1
	s_and_saveexec_b32 s26, s0
	s_cbranch_execz .LBB324_551
; %bb.548:                              ;   in Loop: Header=BB324_359 Depth=1
	v_and_b32_e32 v9, 0x7f, v17
	v_mov_b32_e32 v73, 0x7f800001
	s_mov_b32 s27, exec_lo
	v_cmpx_ne_u32_e32 0x7f, v9
	s_cbranch_execz .LBB324_550
; %bb.549:                              ;   in Loop: Header=BB324_359 Depth=1
	v_and_b32_e32 v19, 7, v17
	v_lshrrev_b32_e32 v20, 3, v9
	v_cmp_gt_u32_e64 s0, 8, v9
	v_ffbh_u32_e32 v19, v19
	v_min_u32_e32 v19, 32, v19
	v_subrev_nc_u32_e32 v73, 28, v19
	v_sub_nc_u32_e32 v19, 29, v19
	v_cndmask_b32_e64 v9, v20, v19, s0
	v_cndmask_b32_e64 v19, 0, v73, s0
	v_lshl_add_u32 v9, v9, 23, 0x3c000000
	v_lshlrev_b64 v[19:20], v19, v[17:18]
	v_lshlrev_b32_e32 v20, 24, v17
	v_lshlrev_b32_e32 v19, 20, v19
	v_and_b32_e32 v20, 0x80000000, v20
	v_and_b32_e32 v19, 0x700000, v19
	v_or3_b32 v73, v19, v20, v9
.LBB324_550:                            ;   in Loop: Header=BB324_359 Depth=1
	s_or_b32 exec_lo, exec_lo, s27
.LBB324_551:                            ;   in Loop: Header=BB324_359 Depth=1
	s_or_b32 exec_lo, exec_lo, s26
.LBB324_552:                            ;   in Loop: Header=BB324_359 Depth=1
	s_or_b32 exec_lo, exec_lo, s22
	v_cmp_ne_u16_sdwa s0, v17, v10 src0_sel:BYTE_1 src1_sel:DWORD
	s_and_saveexec_b32 s22, s0
	s_cbranch_execz .LBB324_560
; %bb.553:                              ;   in Loop: Header=BB324_359 Depth=1
	v_cmp_ne_u16_sdwa s0, v17, v33 src0_sel:BYTE_1 src1_sel:DWORD
	v_bfrev_b32_e32 v74, 1
	s_and_saveexec_b32 s26, s0
	s_cbranch_execz .LBB324_559
; %bb.554:                              ;   in Loop: Header=BB324_359 Depth=1
	v_and_b32_sdwa v9, v34, v17 dst_sel:DWORD dst_unused:UNUSED_PAD src0_sel:DWORD src1_sel:BYTE_1
	v_mov_b32_e32 v74, 0x7f800001
	s_mov_b32 s27, exec_lo
	v_and_b32_e32 v20, 0x7f, v9
	v_cmpx_ne_u32_e32 0x7f, v20
	s_cbranch_execz .LBB324_558
; %bb.555:                              ;   in Loop: Header=BB324_359 Depth=1
	v_and_b32_e32 v9, 7, v9
	v_lshrrev_b32_e32 v19, 3, v20
	s_mov_b32 s28, exec_lo
	v_cmpx_gt_u32_e32 8, v20
; %bb.556:                              ;   in Loop: Header=BB324_359 Depth=1
	v_ffbh_u32_e32 v19, v9
	v_min_u32_e32 v19, 32, v19
	v_subrev_nc_u32_e32 v20, 28, v19
	v_sub_nc_u32_e32 v19, 29, v19
	v_lshlrev_b64 v[74:75], v20, v[9:10]
	v_and_b32_e32 v9, 7, v74
; %bb.557:                              ;   in Loop: Header=BB324_359 Depth=1
	s_or_b32 exec_lo, exec_lo, s28
	v_lshlrev_b32_e32 v20, 16, v17
	v_lshlrev_b32_e32 v9, 20, v9
	v_lshl_add_u32 v19, v19, 23, 0x3c000000
	v_and_b32_e32 v20, 0x80000000, v20
	v_or3_b32 v74, v9, v20, v19
.LBB324_558:                            ;   in Loop: Header=BB324_359 Depth=1
	s_or_b32 exec_lo, exec_lo, s27
.LBB324_559:                            ;   in Loop: Header=BB324_359 Depth=1
	s_or_b32 exec_lo, exec_lo, s26
.LBB324_560:                            ;   in Loop: Header=BB324_359 Depth=1
	s_or_b32 exec_lo, exec_lo, s22
	v_and_b32_sdwa v9, v17, v35 dst_sel:DWORD dst_unused:UNUSED_PAD src0_sel:WORD_1 src1_sel:DWORD
	v_mov_b32_e32 v76, 0
	v_mov_b32_e32 v75, 0
	s_mov_b32 s22, exec_lo
	v_cmpx_ne_u16_e32 0, v9
	s_cbranch_execz .LBB324_568
; %bb.561:                              ;   in Loop: Header=BB324_359 Depth=1
	v_bfrev_b32_e32 v75, 1
	s_mov_b32 s26, exec_lo
	v_cmpx_ne_u16_e32 0x80, v9
	s_cbranch_execz .LBB324_567
; %bb.562:                              ;   in Loop: Header=BB324_359 Depth=1
	v_bfe_u32 v20, v17, 16, 7
	v_mov_b32_e32 v75, 0x7f800001
	s_mov_b32 s27, exec_lo
	v_cmpx_ne_u32_e32 0x7f, v20
	s_cbranch_execz .LBB324_566
; %bb.563:                              ;   in Loop: Header=BB324_359 Depth=1
	v_and_b32_sdwa v9, v17, v36 dst_sel:DWORD dst_unused:UNUSED_PAD src0_sel:WORD_1 src1_sel:DWORD
	v_lshrrev_b32_e32 v19, 3, v20
	s_mov_b32 s28, exec_lo
	v_cmpx_gt_u32_e32 8, v20
; %bb.564:                              ;   in Loop: Header=BB324_359 Depth=1
	v_ffbh_u32_e32 v19, v9
	v_min_u32_e32 v19, 32, v19
	v_subrev_nc_u32_e32 v20, 28, v19
	v_sub_nc_u32_e32 v19, 29, v19
	v_lshlrev_b64 v[77:78], v20, v[9:10]
	v_and_b32_e32 v9, 7, v77
; %bb.565:                              ;   in Loop: Header=BB324_359 Depth=1
	s_or_b32 exec_lo, exec_lo, s28
	v_lshlrev_b32_sdwa v20, v37, v17 dst_sel:DWORD dst_unused:UNUSED_PAD src0_sel:DWORD src1_sel:WORD_1
	v_lshlrev_b32_e32 v9, 20, v9
	v_lshl_add_u32 v19, v19, 23, 0x3c000000
	v_and_b32_e32 v20, 0x80000000, v20
	v_or3_b32 v75, v9, v20, v19
.LBB324_566:                            ;   in Loop: Header=BB324_359 Depth=1
	s_or_b32 exec_lo, exec_lo, s27
.LBB324_567:                            ;   in Loop: Header=BB324_359 Depth=1
	s_or_b32 exec_lo, exec_lo, s26
.LBB324_568:                            ;   in Loop: Header=BB324_359 Depth=1
	s_or_b32 exec_lo, exec_lo, s22
	s_mov_b32 s22, exec_lo
	v_cmpx_lt_u32_e32 0xffffff, v17
	s_cbranch_execz .LBB324_576
; %bb.569:                              ;   in Loop: Header=BB324_359 Depth=1
	v_cmp_ne_u32_sdwa s0, v17, v33 src0_sel:BYTE_3 src1_sel:DWORD
	v_bfrev_b32_e32 v76, 1
	s_and_saveexec_b32 s26, s0
	s_cbranch_execz .LBB324_575
; %bb.570:                              ;   in Loop: Header=BB324_359 Depth=1
	v_bfe_u32 v20, v17, 24, 7
	v_mov_b32_e32 v76, 0x7f800001
	s_mov_b32 s27, exec_lo
	v_cmpx_ne_u32_e32 0x7f, v20
	s_cbranch_execz .LBB324_574
; %bb.571:                              ;   in Loop: Header=BB324_359 Depth=1
	v_and_b32_sdwa v9, v17, v36 dst_sel:DWORD dst_unused:UNUSED_PAD src0_sel:BYTE_3 src1_sel:DWORD
	v_lshrrev_b32_e32 v19, 3, v20
	s_mov_b32 s28, exec_lo
	v_cmpx_gt_u32_e32 8, v20
; %bb.572:                              ;   in Loop: Header=BB324_359 Depth=1
	v_ffbh_u32_e32 v19, v9
	v_min_u32_e32 v19, 32, v19
	v_subrev_nc_u32_e32 v20, 28, v19
	v_sub_nc_u32_e32 v19, 29, v19
	v_lshlrev_b64 v[76:77], v20, v[9:10]
	v_and_b32_e32 v9, 7, v76
; %bb.573:                              ;   in Loop: Header=BB324_359 Depth=1
	s_or_b32 exec_lo, exec_lo, s28
	v_lshlrev_b32_sdwa v20, v37, v17 dst_sel:DWORD dst_unused:UNUSED_PAD src0_sel:DWORD src1_sel:BYTE_3
	v_lshlrev_b32_e32 v9, 20, v9
	v_lshl_add_u32 v19, v19, 23, 0x3c000000
	v_and_b32_e32 v20, 0x80000000, v20
	v_or3_b32 v76, v9, v20, v19
.LBB324_574:                            ;   in Loop: Header=BB324_359 Depth=1
	s_or_b32 exec_lo, exec_lo, s27
.LBB324_575:                            ;   in Loop: Header=BB324_359 Depth=1
	s_or_b32 exec_lo, exec_lo, s26
.LBB324_576:                            ;   in Loop: Header=BB324_359 Depth=1
	s_or_b32 exec_lo, exec_lo, s22
	v_mov_b32_e32 v9, v18
	v_cmp_ne_u16_sdwa s0, v18, v10 src0_sel:BYTE_0 src1_sel:DWORD
	v_mov_b32_e32 v19, 0
	v_mov_b32_e32 v77, 0
	s_and_saveexec_b32 s22, s0
	s_cbranch_execz .LBB324_582
; %bb.577:                              ;   in Loop: Header=BB324_359 Depth=1
	v_cmp_ne_u16_sdwa s0, v18, v33 src0_sel:BYTE_0 src1_sel:DWORD
	v_bfrev_b32_e32 v77, 1
	s_and_saveexec_b32 s26, s0
	s_cbranch_execz .LBB324_581
; %bb.578:                              ;   in Loop: Header=BB324_359 Depth=1
	v_and_b32_e32 v20, 0x7f, v18
	v_mov_b32_e32 v77, 0x7f800001
	s_mov_b32 s27, exec_lo
	v_cmpx_ne_u32_e32 0x7f, v20
	s_cbranch_execz .LBB324_580
; %bb.579:                              ;   in Loop: Header=BB324_359 Depth=1
	v_and_b32_e32 v77, 7, v18
	v_lshrrev_b32_e32 v78, 3, v20
	v_cmp_gt_u32_e64 s0, 8, v20
	v_ffbh_u32_e32 v77, v77
	v_min_u32_e32 v77, 32, v77
	v_subrev_nc_u32_e32 v79, 28, v77
	v_sub_nc_u32_e32 v77, 29, v77
	v_cndmask_b32_e64 v20, v78, v77, s0
	v_cndmask_b32_e64 v77, 0, v79, s0
	v_lshl_add_u32 v20, v20, 23, 0x3c000000
	v_lshlrev_b64 v[77:78], v77, v[9:10]
	v_lshlrev_b32_e32 v78, 24, v9
	v_lshlrev_b32_e32 v77, 20, v77
	v_and_b32_e32 v78, 0x80000000, v78
	v_and_b32_e32 v77, 0x700000, v77
	v_or3_b32 v77, v77, v78, v20
.LBB324_580:                            ;   in Loop: Header=BB324_359 Depth=1
	s_or_b32 exec_lo, exec_lo, s27
.LBB324_581:                            ;   in Loop: Header=BB324_359 Depth=1
	s_or_b32 exec_lo, exec_lo, s26
.LBB324_582:                            ;   in Loop: Header=BB324_359 Depth=1
	s_or_b32 exec_lo, exec_lo, s22
	v_cmp_ne_u16_sdwa s0, v9, v10 src0_sel:BYTE_1 src1_sel:DWORD
	s_and_saveexec_b32 s22, s0
	s_cbranch_execz .LBB324_590
; %bb.583:                              ;   in Loop: Header=BB324_359 Depth=1
	v_cmp_ne_u16_sdwa s0, v9, v33 src0_sel:BYTE_1 src1_sel:DWORD
	v_bfrev_b32_e32 v19, 1
	s_and_saveexec_b32 s26, s0
	s_cbranch_execz .LBB324_589
; %bb.584:                              ;   in Loop: Header=BB324_359 Depth=1
	v_and_b32_sdwa v20, v34, v9 dst_sel:DWORD dst_unused:UNUSED_PAD src0_sel:DWORD src1_sel:BYTE_1
	v_mov_b32_e32 v19, 0x7f800001
	s_mov_b32 s27, exec_lo
	v_and_b32_e32 v79, 0x7f, v20
	v_cmpx_ne_u32_e32 0x7f, v79
	s_cbranch_execz .LBB324_588
; %bb.585:                              ;   in Loop: Header=BB324_359 Depth=1
	v_and_b32_e32 v19, 7, v20
	v_mov_b32_e32 v20, v10
	v_lshrrev_b32_e32 v78, 3, v79
	s_mov_b32 s28, exec_lo
	v_cmpx_gt_u32_e32 8, v79
; %bb.586:                              ;   in Loop: Header=BB324_359 Depth=1
	v_ffbh_u32_e32 v78, v19
	v_min_u32_e32 v78, 32, v78
	v_subrev_nc_u32_e32 v79, 28, v78
	v_sub_nc_u32_e32 v78, 29, v78
	v_lshlrev_b64 v[19:20], v79, v[19:20]
	v_and_b32_e32 v19, 7, v19
; %bb.587:                              ;   in Loop: Header=BB324_359 Depth=1
	s_or_b32 exec_lo, exec_lo, s28
	v_lshlrev_b32_e32 v9, 16, v9
	v_lshlrev_b32_e32 v19, 20, v19
	v_lshl_add_u32 v20, v78, 23, 0x3c000000
	v_and_b32_e32 v9, 0x80000000, v9
	v_or3_b32 v19, v19, v9, v20
.LBB324_588:                            ;   in Loop: Header=BB324_359 Depth=1
	s_or_b32 exec_lo, exec_lo, s27
.LBB324_589:                            ;   in Loop: Header=BB324_359 Depth=1
	s_or_b32 exec_lo, exec_lo, s26
.LBB324_590:                            ;   in Loop: Header=BB324_359 Depth=1
	s_or_b32 exec_lo, exec_lo, s22
	v_and_b32_sdwa v9, v18, v35 dst_sel:DWORD dst_unused:UNUSED_PAD src0_sel:WORD_1 src1_sel:DWORD
	v_mov_b32_e32 v78, 0
	v_mov_b32_e32 v79, 0
	s_mov_b32 s22, exec_lo
	v_cmpx_ne_u16_e32 0, v9
	s_cbranch_execz .LBB324_598
; %bb.591:                              ;   in Loop: Header=BB324_359 Depth=1
	v_bfrev_b32_e32 v79, 1
	s_mov_b32 s26, exec_lo
	v_cmpx_ne_u16_e32 0x80, v9
	s_cbranch_execz .LBB324_597
; %bb.592:                              ;   in Loop: Header=BB324_359 Depth=1
	v_bfe_u32 v80, v18, 16, 7
	v_mov_b32_e32 v79, 0x7f800001
	s_mov_b32 s27, exec_lo
	v_cmpx_ne_u32_e32 0x7f, v80
	s_cbranch_execz .LBB324_596
; %bb.593:                              ;   in Loop: Header=BB324_359 Depth=1
	v_and_b32_sdwa v9, v18, v36 dst_sel:DWORD dst_unused:UNUSED_PAD src0_sel:WORD_1 src1_sel:DWORD
	v_lshrrev_b32_e32 v20, 3, v80
	s_mov_b32 s28, exec_lo
	v_cmpx_gt_u32_e32 8, v80
; %bb.594:                              ;   in Loop: Header=BB324_359 Depth=1
	v_ffbh_u32_e32 v20, v9
	v_min_u32_e32 v20, 32, v20
	v_subrev_nc_u32_e32 v79, 28, v20
	v_sub_nc_u32_e32 v20, 29, v20
	v_lshlrev_b64 v[79:80], v79, v[9:10]
	v_and_b32_e32 v9, 7, v79
; %bb.595:                              ;   in Loop: Header=BB324_359 Depth=1
	s_or_b32 exec_lo, exec_lo, s28
	v_lshlrev_b32_sdwa v79, v37, v18 dst_sel:DWORD dst_unused:UNUSED_PAD src0_sel:DWORD src1_sel:WORD_1
	v_lshlrev_b32_e32 v9, 20, v9
	v_lshl_add_u32 v20, v20, 23, 0x3c000000
	v_and_b32_e32 v79, 0x80000000, v79
	v_or3_b32 v79, v9, v79, v20
.LBB324_596:                            ;   in Loop: Header=BB324_359 Depth=1
	s_or_b32 exec_lo, exec_lo, s27
.LBB324_597:                            ;   in Loop: Header=BB324_359 Depth=1
	s_or_b32 exec_lo, exec_lo, s26
.LBB324_598:                            ;   in Loop: Header=BB324_359 Depth=1
	s_or_b32 exec_lo, exec_lo, s22
	s_mov_b32 s22, exec_lo
	v_cmpx_lt_u64_e64 s[2:3], v[17:18]
	s_cbranch_execz .LBB324_606
; %bb.599:                              ;   in Loop: Header=BB324_359 Depth=1
	v_cmp_ne_u32_sdwa s0, v18, v33 src0_sel:BYTE_3 src1_sel:DWORD
	v_bfrev_b32_e32 v78, 1
	s_and_saveexec_b32 s26, s0
	s_cbranch_execz .LBB324_605
; %bb.600:                              ;   in Loop: Header=BB324_359 Depth=1
	v_bfe_u32 v20, v18, 24, 7
	v_mov_b32_e32 v78, 0x7f800001
	s_mov_b32 s27, exec_lo
	v_cmpx_ne_u32_e32 0x7f, v20
	s_cbranch_execz .LBB324_604
; %bb.601:                              ;   in Loop: Header=BB324_359 Depth=1
	v_and_b32_sdwa v9, v18, v36 dst_sel:DWORD dst_unused:UNUSED_PAD src0_sel:BYTE_3 src1_sel:DWORD
	v_lshrrev_b32_e32 v17, 3, v20
	s_mov_b32 s28, exec_lo
	v_cmpx_gt_u32_e32 8, v20
; %bb.602:                              ;   in Loop: Header=BB324_359 Depth=1
	v_ffbh_u32_e32 v17, v9
	v_min_u32_e32 v17, 32, v17
	v_subrev_nc_u32_e32 v20, 28, v17
	v_sub_nc_u32_e32 v17, 29, v17
	v_lshlrev_b64 v[80:81], v20, v[9:10]
	v_and_b32_e32 v9, 7, v80
; %bb.603:                              ;   in Loop: Header=BB324_359 Depth=1
	s_or_b32 exec_lo, exec_lo, s28
	v_lshlrev_b32_sdwa v18, v37, v18 dst_sel:DWORD dst_unused:UNUSED_PAD src0_sel:DWORD src1_sel:BYTE_3
	v_lshlrev_b32_e32 v9, 20, v9
	v_lshl_add_u32 v17, v17, 23, 0x3c000000
	v_and_b32_e32 v18, 0x80000000, v18
	v_or3_b32 v78, v9, v18, v17
.LBB324_604:                            ;   in Loop: Header=BB324_359 Depth=1
	s_or_b32 exec_lo, exec_lo, s27
.LBB324_605:                            ;   in Loop: Header=BB324_359 Depth=1
	s_or_b32 exec_lo, exec_lo, s26
.LBB324_606:                            ;   in Loop: Header=BB324_359 Depth=1
	s_or_b32 exec_lo, exec_lo, s22
	v_mul_f32_e32 v9, s21, v19
	v_mul_f32_e32 v17, s21, v77
	;; [unrolled: 1-line block ×5, first 2 shown]
	v_bfe_u32 v19, v9, 16, 1
	v_or_b32_e32 v20, 0x400000, v9
	v_bfe_u32 v75, v17, 16, 1
	v_cmp_u_f32_e64 s0, v9, v9
	v_or_b32_e32 v77, 0x400000, v17
	v_add3_u32 v19, v19, v9, 0x7fff
	v_bfe_u32 v80, v18, 16, 1
	v_add3_u32 v75, v75, v17, 0x7fff
	v_or_b32_e32 v81, 0x400000, v18
	v_bfe_u32 v82, v76, 16, 1
	v_cndmask_b32_e64 v9, v19, v20, s0
	v_cmp_u_f32_e64 s0, v17, v17
	v_add3_u32 v80, v80, v18, 0x7fff
	v_lshrrev_b32_e32 v19, 16, v9
	v_cndmask_b32_e64 v17, v75, v77, s0
	v_cmp_u_f32_e64 s0, v18, v18
	v_mul_f32_e32 v9, s21, v74
	v_add3_u32 v74, v82, v76, 0x7fff
	v_or_b32_e32 v77, 0x400000, v76
	v_lshrrev_b32_e32 v20, 16, v17
	v_cndmask_b32_e64 v18, v80, v81, s0
	v_bfe_u32 v17, v9, 16, 1
	v_cmp_u_f32_e64 s0, v76, v76
	v_or_b32_e32 v76, 0x400000, v9
	v_lshrrev_b32_e32 v75, 16, v18
	v_add3_u32 v17, v17, v9, 0x7fff
	v_cndmask_b32_e64 v18, v74, v77, s0
	v_mul_f32_e32 v74, s21, v79
	v_mul_f32_e32 v77, s21, v78
	v_bfe_u32 v78, v73, 16, 1
	v_cmp_u_f32_e64 s0, v9, v9
	v_bfe_u32 v79, v74, 16, 1
	v_or_b32_e32 v80, 0x400000, v74
	v_or_b32_e32 v81, 0x400000, v77
	v_cndmask_b32_e64 v9, v17, v76, s0
	v_add3_u32 v76, v78, v73, 0x7fff
	v_or_b32_e32 v78, 0x400000, v73
	v_cmp_u_f32_e64 s0, v73, v73
	v_bfe_u32 v17, v77, 16, 1
	v_add3_u32 v79, v79, v74, 0x7fff
	v_cndmask_b32_e64 v73, v76, v78, s0
	v_cmp_u_f32_e64 s0, v74, v74
	v_add3_u32 v17, v17, v77, 0x7fff
	v_lshrrev_b32_e32 v76, 16, v18
	v_lshrrev_b32_e32 v78, 16, v9
	v_cndmask_b32_e64 v74, v79, v80, s0
	v_cmp_u_f32_e64 s0, v77, v77
	v_lshrrev_b32_e32 v77, 16, v73
	v_lshrrev_b32_e32 v73, 16, v74
	v_cndmask_b32_e64 v17, v17, v81, s0
	v_lshrrev_b32_e32 v74, 16, v17
	s_and_saveexec_b32 s22, vcc_lo
	s_cbranch_execz .LBB324_608
; %bb.607:                              ;   in Loop: Header=BB324_359 Depth=1
	v_cmp_gt_i32_e64 s0, s33, v49
	v_cndmask_b32_e64 v77, 0, v77, s0
	v_cmp_gt_i32_e64 s0, s33, v56
	v_cndmask_b32_e64 v78, 0, v78, s0
	;; [unrolled: 2-line block ×8, first 2 shown]
.LBB324_608:                            ;   in Loop: Header=BB324_359 Depth=1
	s_or_b32 exec_lo, exec_lo, s22
	global_load_dwordx2 v[15:16], v[15:16], off offset:1024
	v_mov_b32_e32 v80, 0
	v_mov_b32_e32 v79, 0
	s_waitcnt vmcnt(0)
	v_cmp_ne_u16_sdwa s0, v15, v10 src0_sel:BYTE_0 src1_sel:DWORD
	s_and_saveexec_b32 s22, s0
	s_cbranch_execz .LBB324_614
; %bb.609:                              ;   in Loop: Header=BB324_359 Depth=1
	v_cmp_ne_u16_sdwa s0, v15, v33 src0_sel:BYTE_0 src1_sel:DWORD
	v_bfrev_b32_e32 v79, 1
	s_and_saveexec_b32 s26, s0
	s_cbranch_execz .LBB324_613
; %bb.610:                              ;   in Loop: Header=BB324_359 Depth=1
	v_and_b32_e32 v9, 0x7f, v15
	v_mov_b32_e32 v79, 0x7f800001
	s_mov_b32 s27, exec_lo
	v_cmpx_ne_u32_e32 0x7f, v9
	s_cbranch_execz .LBB324_612
; %bb.611:                              ;   in Loop: Header=BB324_359 Depth=1
	v_and_b32_e32 v17, 7, v15
	v_lshrrev_b32_e32 v18, 3, v9
	v_cmp_gt_u32_e64 s0, 8, v9
	v_ffbh_u32_e32 v17, v17
	v_min_u32_e32 v17, 32, v17
	v_subrev_nc_u32_e32 v79, 28, v17
	v_sub_nc_u32_e32 v17, 29, v17
	v_cndmask_b32_e64 v9, v18, v17, s0
	v_cndmask_b32_e64 v17, 0, v79, s0
	v_lshl_add_u32 v9, v9, 23, 0x3c000000
	v_lshlrev_b64 v[17:18], v17, v[15:16]
	v_lshlrev_b32_e32 v18, 24, v15
	v_lshlrev_b32_e32 v17, 20, v17
	v_and_b32_e32 v18, 0x80000000, v18
	v_and_b32_e32 v17, 0x700000, v17
	v_or3_b32 v79, v17, v18, v9
.LBB324_612:                            ;   in Loop: Header=BB324_359 Depth=1
	s_or_b32 exec_lo, exec_lo, s27
.LBB324_613:                            ;   in Loop: Header=BB324_359 Depth=1
	s_or_b32 exec_lo, exec_lo, s26
.LBB324_614:                            ;   in Loop: Header=BB324_359 Depth=1
	s_or_b32 exec_lo, exec_lo, s22
	v_cmp_ne_u16_sdwa s0, v15, v10 src0_sel:BYTE_1 src1_sel:DWORD
	s_and_saveexec_b32 s22, s0
	s_cbranch_execz .LBB324_622
; %bb.615:                              ;   in Loop: Header=BB324_359 Depth=1
	v_cmp_ne_u16_sdwa s0, v15, v33 src0_sel:BYTE_1 src1_sel:DWORD
	v_bfrev_b32_e32 v80, 1
	s_and_saveexec_b32 s26, s0
	s_cbranch_execz .LBB324_621
; %bb.616:                              ;   in Loop: Header=BB324_359 Depth=1
	v_and_b32_sdwa v9, v34, v15 dst_sel:DWORD dst_unused:UNUSED_PAD src0_sel:DWORD src1_sel:BYTE_1
	v_mov_b32_e32 v80, 0x7f800001
	s_mov_b32 s27, exec_lo
	v_and_b32_e32 v18, 0x7f, v9
	v_cmpx_ne_u32_e32 0x7f, v18
	s_cbranch_execz .LBB324_620
; %bb.617:                              ;   in Loop: Header=BB324_359 Depth=1
	v_and_b32_e32 v9, 7, v9
	v_lshrrev_b32_e32 v17, 3, v18
	s_mov_b32 s28, exec_lo
	v_cmpx_gt_u32_e32 8, v18
; %bb.618:                              ;   in Loop: Header=BB324_359 Depth=1
	v_ffbh_u32_e32 v17, v9
	v_min_u32_e32 v17, 32, v17
	v_subrev_nc_u32_e32 v18, 28, v17
	v_sub_nc_u32_e32 v17, 29, v17
	v_lshlrev_b64 v[80:81], v18, v[9:10]
	v_and_b32_e32 v9, 7, v80
; %bb.619:                              ;   in Loop: Header=BB324_359 Depth=1
	s_or_b32 exec_lo, exec_lo, s28
	v_lshlrev_b32_e32 v18, 16, v15
	v_lshlrev_b32_e32 v9, 20, v9
	v_lshl_add_u32 v17, v17, 23, 0x3c000000
	v_and_b32_e32 v18, 0x80000000, v18
	v_or3_b32 v80, v9, v18, v17
.LBB324_620:                            ;   in Loop: Header=BB324_359 Depth=1
	s_or_b32 exec_lo, exec_lo, s27
.LBB324_621:                            ;   in Loop: Header=BB324_359 Depth=1
	s_or_b32 exec_lo, exec_lo, s26
.LBB324_622:                            ;   in Loop: Header=BB324_359 Depth=1
	s_or_b32 exec_lo, exec_lo, s22
	v_and_b32_sdwa v9, v15, v35 dst_sel:DWORD dst_unused:UNUSED_PAD src0_sel:WORD_1 src1_sel:DWORD
	v_mov_b32_e32 v82, 0
	v_mov_b32_e32 v81, 0
	s_mov_b32 s22, exec_lo
	v_cmpx_ne_u16_e32 0, v9
	s_cbranch_execz .LBB324_630
; %bb.623:                              ;   in Loop: Header=BB324_359 Depth=1
	v_bfrev_b32_e32 v81, 1
	s_mov_b32 s26, exec_lo
	v_cmpx_ne_u16_e32 0x80, v9
	s_cbranch_execz .LBB324_629
; %bb.624:                              ;   in Loop: Header=BB324_359 Depth=1
	v_bfe_u32 v18, v15, 16, 7
	v_mov_b32_e32 v81, 0x7f800001
	s_mov_b32 s27, exec_lo
	v_cmpx_ne_u32_e32 0x7f, v18
	s_cbranch_execz .LBB324_628
; %bb.625:                              ;   in Loop: Header=BB324_359 Depth=1
	v_and_b32_sdwa v9, v15, v36 dst_sel:DWORD dst_unused:UNUSED_PAD src0_sel:WORD_1 src1_sel:DWORD
	v_lshrrev_b32_e32 v17, 3, v18
	s_mov_b32 s28, exec_lo
	v_cmpx_gt_u32_e32 8, v18
; %bb.626:                              ;   in Loop: Header=BB324_359 Depth=1
	v_ffbh_u32_e32 v17, v9
	v_min_u32_e32 v17, 32, v17
	v_subrev_nc_u32_e32 v18, 28, v17
	v_sub_nc_u32_e32 v17, 29, v17
	v_lshlrev_b64 v[83:84], v18, v[9:10]
	v_and_b32_e32 v9, 7, v83
; %bb.627:                              ;   in Loop: Header=BB324_359 Depth=1
	s_or_b32 exec_lo, exec_lo, s28
	v_lshlrev_b32_sdwa v18, v37, v15 dst_sel:DWORD dst_unused:UNUSED_PAD src0_sel:DWORD src1_sel:WORD_1
	v_lshlrev_b32_e32 v9, 20, v9
	v_lshl_add_u32 v17, v17, 23, 0x3c000000
	v_and_b32_e32 v18, 0x80000000, v18
	v_or3_b32 v81, v9, v18, v17
.LBB324_628:                            ;   in Loop: Header=BB324_359 Depth=1
	s_or_b32 exec_lo, exec_lo, s27
.LBB324_629:                            ;   in Loop: Header=BB324_359 Depth=1
	s_or_b32 exec_lo, exec_lo, s26
.LBB324_630:                            ;   in Loop: Header=BB324_359 Depth=1
	s_or_b32 exec_lo, exec_lo, s22
	s_mov_b32 s22, exec_lo
	v_cmpx_lt_u32_e32 0xffffff, v15
	s_cbranch_execz .LBB324_638
; %bb.631:                              ;   in Loop: Header=BB324_359 Depth=1
	v_cmp_ne_u32_sdwa s0, v15, v33 src0_sel:BYTE_3 src1_sel:DWORD
	v_bfrev_b32_e32 v82, 1
	s_and_saveexec_b32 s26, s0
	s_cbranch_execz .LBB324_637
; %bb.632:                              ;   in Loop: Header=BB324_359 Depth=1
	v_bfe_u32 v18, v15, 24, 7
	v_mov_b32_e32 v82, 0x7f800001
	s_mov_b32 s27, exec_lo
	v_cmpx_ne_u32_e32 0x7f, v18
	s_cbranch_execz .LBB324_636
; %bb.633:                              ;   in Loop: Header=BB324_359 Depth=1
	v_and_b32_sdwa v9, v15, v36 dst_sel:DWORD dst_unused:UNUSED_PAD src0_sel:BYTE_3 src1_sel:DWORD
	v_lshrrev_b32_e32 v17, 3, v18
	s_mov_b32 s28, exec_lo
	v_cmpx_gt_u32_e32 8, v18
; %bb.634:                              ;   in Loop: Header=BB324_359 Depth=1
	v_ffbh_u32_e32 v17, v9
	v_min_u32_e32 v17, 32, v17
	v_subrev_nc_u32_e32 v18, 28, v17
	v_sub_nc_u32_e32 v17, 29, v17
	v_lshlrev_b64 v[82:83], v18, v[9:10]
	v_and_b32_e32 v9, 7, v82
; %bb.635:                              ;   in Loop: Header=BB324_359 Depth=1
	s_or_b32 exec_lo, exec_lo, s28
	v_lshlrev_b32_sdwa v18, v37, v15 dst_sel:DWORD dst_unused:UNUSED_PAD src0_sel:DWORD src1_sel:BYTE_3
	v_lshlrev_b32_e32 v9, 20, v9
	v_lshl_add_u32 v17, v17, 23, 0x3c000000
	v_and_b32_e32 v18, 0x80000000, v18
	v_or3_b32 v82, v9, v18, v17
.LBB324_636:                            ;   in Loop: Header=BB324_359 Depth=1
	s_or_b32 exec_lo, exec_lo, s27
.LBB324_637:                            ;   in Loop: Header=BB324_359 Depth=1
	s_or_b32 exec_lo, exec_lo, s26
.LBB324_638:                            ;   in Loop: Header=BB324_359 Depth=1
	s_or_b32 exec_lo, exec_lo, s22
	v_mov_b32_e32 v9, v16
	v_cmp_ne_u16_sdwa s0, v16, v10 src0_sel:BYTE_0 src1_sel:DWORD
	v_mov_b32_e32 v17, 0
	v_mov_b32_e32 v83, 0
	s_and_saveexec_b32 s22, s0
	s_cbranch_execz .LBB324_644
; %bb.639:                              ;   in Loop: Header=BB324_359 Depth=1
	v_cmp_ne_u16_sdwa s0, v16, v33 src0_sel:BYTE_0 src1_sel:DWORD
	v_bfrev_b32_e32 v83, 1
	s_and_saveexec_b32 s26, s0
	s_cbranch_execz .LBB324_643
; %bb.640:                              ;   in Loop: Header=BB324_359 Depth=1
	v_and_b32_e32 v18, 0x7f, v16
	v_mov_b32_e32 v83, 0x7f800001
	s_mov_b32 s27, exec_lo
	v_cmpx_ne_u32_e32 0x7f, v18
	s_cbranch_execz .LBB324_642
; %bb.641:                              ;   in Loop: Header=BB324_359 Depth=1
	v_and_b32_e32 v83, 7, v16
	v_lshrrev_b32_e32 v84, 3, v18
	v_cmp_gt_u32_e64 s0, 8, v18
	v_ffbh_u32_e32 v83, v83
	v_min_u32_e32 v83, 32, v83
	v_subrev_nc_u32_e32 v85, 28, v83
	v_sub_nc_u32_e32 v83, 29, v83
	v_cndmask_b32_e64 v18, v84, v83, s0
	v_cndmask_b32_e64 v83, 0, v85, s0
	v_lshl_add_u32 v18, v18, 23, 0x3c000000
	v_lshlrev_b64 v[83:84], v83, v[9:10]
	v_lshlrev_b32_e32 v84, 24, v9
	v_lshlrev_b32_e32 v83, 20, v83
	v_and_b32_e32 v84, 0x80000000, v84
	v_and_b32_e32 v83, 0x700000, v83
	v_or3_b32 v83, v83, v84, v18
.LBB324_642:                            ;   in Loop: Header=BB324_359 Depth=1
	s_or_b32 exec_lo, exec_lo, s27
.LBB324_643:                            ;   in Loop: Header=BB324_359 Depth=1
	s_or_b32 exec_lo, exec_lo, s26
.LBB324_644:                            ;   in Loop: Header=BB324_359 Depth=1
	s_or_b32 exec_lo, exec_lo, s22
	v_cmp_ne_u16_sdwa s0, v9, v10 src0_sel:BYTE_1 src1_sel:DWORD
	s_and_saveexec_b32 s22, s0
	s_cbranch_execz .LBB324_652
; %bb.645:                              ;   in Loop: Header=BB324_359 Depth=1
	v_cmp_ne_u16_sdwa s0, v9, v33 src0_sel:BYTE_1 src1_sel:DWORD
	v_bfrev_b32_e32 v17, 1
	s_and_saveexec_b32 s26, s0
	s_cbranch_execz .LBB324_651
; %bb.646:                              ;   in Loop: Header=BB324_359 Depth=1
	v_and_b32_sdwa v18, v34, v9 dst_sel:DWORD dst_unused:UNUSED_PAD src0_sel:DWORD src1_sel:BYTE_1
	v_mov_b32_e32 v17, 0x7f800001
	s_mov_b32 s27, exec_lo
	v_and_b32_e32 v85, 0x7f, v18
	v_cmpx_ne_u32_e32 0x7f, v85
	s_cbranch_execz .LBB324_650
; %bb.647:                              ;   in Loop: Header=BB324_359 Depth=1
	v_and_b32_e32 v17, 7, v18
	v_mov_b32_e32 v18, v10
	v_lshrrev_b32_e32 v84, 3, v85
	s_mov_b32 s28, exec_lo
	v_cmpx_gt_u32_e32 8, v85
; %bb.648:                              ;   in Loop: Header=BB324_359 Depth=1
	v_ffbh_u32_e32 v84, v17
	v_min_u32_e32 v84, 32, v84
	v_subrev_nc_u32_e32 v85, 28, v84
	v_sub_nc_u32_e32 v84, 29, v84
	v_lshlrev_b64 v[17:18], v85, v[17:18]
	v_and_b32_e32 v17, 7, v17
; %bb.649:                              ;   in Loop: Header=BB324_359 Depth=1
	s_or_b32 exec_lo, exec_lo, s28
	v_lshlrev_b32_e32 v9, 16, v9
	v_lshlrev_b32_e32 v17, 20, v17
	v_lshl_add_u32 v18, v84, 23, 0x3c000000
	v_and_b32_e32 v9, 0x80000000, v9
	v_or3_b32 v17, v17, v9, v18
.LBB324_650:                            ;   in Loop: Header=BB324_359 Depth=1
	s_or_b32 exec_lo, exec_lo, s27
.LBB324_651:                            ;   in Loop: Header=BB324_359 Depth=1
	s_or_b32 exec_lo, exec_lo, s26
.LBB324_652:                            ;   in Loop: Header=BB324_359 Depth=1
	s_or_b32 exec_lo, exec_lo, s22
	v_and_b32_sdwa v9, v16, v35 dst_sel:DWORD dst_unused:UNUSED_PAD src0_sel:WORD_1 src1_sel:DWORD
	v_mov_b32_e32 v18, 0
	v_mov_b32_e32 v84, 0
	s_mov_b32 s22, exec_lo
	v_cmpx_ne_u16_e32 0, v9
	s_cbranch_execz .LBB324_660
; %bb.653:                              ;   in Loop: Header=BB324_359 Depth=1
	v_bfrev_b32_e32 v84, 1
	s_mov_b32 s26, exec_lo
	v_cmpx_ne_u16_e32 0x80, v9
	s_cbranch_execz .LBB324_659
; %bb.654:                              ;   in Loop: Header=BB324_359 Depth=1
	v_bfe_u32 v85, v16, 16, 7
	v_mov_b32_e32 v84, 0x7f800001
	s_mov_b32 s27, exec_lo
	v_cmpx_ne_u32_e32 0x7f, v85
	s_cbranch_execz .LBB324_658
; %bb.655:                              ;   in Loop: Header=BB324_359 Depth=1
	v_and_b32_sdwa v9, v16, v36 dst_sel:DWORD dst_unused:UNUSED_PAD src0_sel:WORD_1 src1_sel:DWORD
	v_lshrrev_b32_e32 v84, 3, v85
	s_mov_b32 s28, exec_lo
	v_cmpx_gt_u32_e32 8, v85
; %bb.656:                              ;   in Loop: Header=BB324_359 Depth=1
	v_ffbh_u32_e32 v84, v9
	v_min_u32_e32 v84, 32, v84
	v_subrev_nc_u32_e32 v85, 28, v84
	v_sub_nc_u32_e32 v84, 29, v84
	v_lshlrev_b64 v[85:86], v85, v[9:10]
	v_and_b32_e32 v9, 7, v85
; %bb.657:                              ;   in Loop: Header=BB324_359 Depth=1
	s_or_b32 exec_lo, exec_lo, s28
	v_lshlrev_b32_sdwa v85, v37, v16 dst_sel:DWORD dst_unused:UNUSED_PAD src0_sel:DWORD src1_sel:WORD_1
	v_lshlrev_b32_e32 v9, 20, v9
	v_lshl_add_u32 v84, v84, 23, 0x3c000000
	v_and_b32_e32 v85, 0x80000000, v85
	v_or3_b32 v84, v9, v85, v84
.LBB324_658:                            ;   in Loop: Header=BB324_359 Depth=1
	s_or_b32 exec_lo, exec_lo, s27
.LBB324_659:                            ;   in Loop: Header=BB324_359 Depth=1
	s_or_b32 exec_lo, exec_lo, s26
.LBB324_660:                            ;   in Loop: Header=BB324_359 Depth=1
	s_or_b32 exec_lo, exec_lo, s22
	s_mov_b32 s22, exec_lo
	v_cmpx_lt_u64_e64 s[2:3], v[15:16]
	s_cbranch_execz .LBB324_668
; %bb.661:                              ;   in Loop: Header=BB324_359 Depth=1
	v_cmp_ne_u32_sdwa s0, v16, v33 src0_sel:BYTE_3 src1_sel:DWORD
	v_bfrev_b32_e32 v18, 1
	s_and_saveexec_b32 s26, s0
	s_cbranch_execz .LBB324_667
; %bb.662:                              ;   in Loop: Header=BB324_359 Depth=1
	v_bfe_u32 v85, v16, 24, 7
	v_mov_b32_e32 v18, 0x7f800001
	s_mov_b32 s27, exec_lo
	v_cmpx_ne_u32_e32 0x7f, v85
	s_cbranch_execz .LBB324_666
; %bb.663:                              ;   in Loop: Header=BB324_359 Depth=1
	v_and_b32_sdwa v9, v16, v36 dst_sel:DWORD dst_unused:UNUSED_PAD src0_sel:BYTE_3 src1_sel:DWORD
	v_lshrrev_b32_e32 v15, 3, v85
	s_mov_b32 s28, exec_lo
	v_cmpx_gt_u32_e32 8, v85
; %bb.664:                              ;   in Loop: Header=BB324_359 Depth=1
	v_ffbh_u32_e32 v15, v9
	v_min_u32_e32 v15, 32, v15
	v_subrev_nc_u32_e32 v18, 28, v15
	v_sub_nc_u32_e32 v15, 29, v15
	v_lshlrev_b64 v[85:86], v18, v[9:10]
	v_and_b32_e32 v9, 7, v85
; %bb.665:                              ;   in Loop: Header=BB324_359 Depth=1
	s_or_b32 exec_lo, exec_lo, s28
	v_lshlrev_b32_sdwa v16, v37, v16 dst_sel:DWORD dst_unused:UNUSED_PAD src0_sel:DWORD src1_sel:BYTE_3
	v_lshlrev_b32_e32 v9, 20, v9
	v_lshl_add_u32 v15, v15, 23, 0x3c000000
	v_and_b32_e32 v16, 0x80000000, v16
	v_or3_b32 v18, v9, v16, v15
.LBB324_666:                            ;   in Loop: Header=BB324_359 Depth=1
	s_or_b32 exec_lo, exec_lo, s27
.LBB324_667:                            ;   in Loop: Header=BB324_359 Depth=1
	s_or_b32 exec_lo, exec_lo, s26
.LBB324_668:                            ;   in Loop: Header=BB324_359 Depth=1
	s_or_b32 exec_lo, exec_lo, s22
	v_mul_f32_e32 v9, s21, v17
	v_mul_f32_e32 v15, s21, v83
	;; [unrolled: 1-line block ×5, first 2 shown]
	v_bfe_u32 v81, v9, 16, 1
	v_or_b32_e32 v82, 0x400000, v9
	v_bfe_u32 v83, v15, 16, 1
	v_cmp_u_f32_e64 s0, v9, v9
	v_or_b32_e32 v85, 0x400000, v15
	v_add3_u32 v81, v81, v9, 0x7fff
	v_bfe_u32 v86, v16, 16, 1
	v_add3_u32 v83, v83, v15, 0x7fff
	v_or_b32_e32 v87, 0x400000, v16
	v_bfe_u32 v88, v17, 16, 1
	v_cndmask_b32_e64 v9, v81, v82, s0
	v_cmp_u_f32_e64 s0, v15, v15
	v_add3_u32 v86, v86, v16, 0x7fff
	v_or_b32_e32 v82, 0x400000, v17
	v_add3_u32 v81, v88, v17, 0x7fff
	v_mul_f32_e32 v79, s21, v79
	v_cndmask_b32_e64 v15, v83, v85, s0
	v_cmp_u_f32_e64 s0, v16, v16
	v_bfe_u32 v83, v80, 16, 1
	v_mul_f32_e32 v18, s21, v18
	v_lshrrev_b32_e32 v9, 16, v9
	v_lshrrev_b32_e32 v15, 16, v15
	v_cndmask_b32_e64 v16, v86, v87, s0
	v_cmp_u_f32_e64 s0, v17, v17
	v_or_b32_e32 v87, 0x400000, v18
	v_lshrrev_b32_e32 v16, 16, v16
	v_cndmask_b32_e64 v17, v81, v82, s0
	v_mul_f32_e32 v81, s21, v84
	v_add3_u32 v82, v83, v80, 0x7fff
	v_or_b32_e32 v83, 0x400000, v80
	v_bfe_u32 v84, v79, 16, 1
	v_cmp_u_f32_e64 s0, v80, v80
	v_bfe_u32 v85, v81, 16, 1
	v_or_b32_e32 v86, 0x400000, v81
	v_cndmask_b32_e64 v80, v82, v83, s0
	v_add3_u32 v83, v84, v79, 0x7fff
	v_or_b32_e32 v84, 0x400000, v79
	v_cmp_u_f32_e64 s0, v79, v79
	v_bfe_u32 v82, v18, 16, 1
	v_add3_u32 v85, v85, v81, 0x7fff
	v_lshrrev_b32_e32 v79, 16, v17
	v_lshrrev_b32_e32 v80, 16, v80
	v_cndmask_b32_e64 v83, v83, v84, s0
	v_cmp_u_f32_e64 s0, v81, v81
	v_add3_u32 v82, v82, v18, 0x7fff
	v_lshrrev_b32_e32 v81, 16, v83
	v_cndmask_b32_e64 v84, v85, v86, s0
	v_cmp_u_f32_e64 s0, v18, v18
	v_lshrrev_b32_e32 v18, 16, v84
	v_cndmask_b32_e64 v82, v82, v87, s0
	v_lshrrev_b32_e32 v17, 16, v82
	s_and_saveexec_b32 s0, vcc_lo
	s_cbranch_execz .LBB324_357
; %bb.669:                              ;   in Loop: Header=BB324_359 Depth=1
	v_cmp_gt_i32_e32 vcc_lo, s33, v49
	v_cndmask_b32_e32 v81, 0, v81, vcc_lo
	v_cmp_gt_i32_e32 vcc_lo, s33, v56
	v_cndmask_b32_e32 v80, 0, v80, vcc_lo
	;; [unrolled: 2-line block ×8, first 2 shown]
	s_branch .LBB324_357
.LBB324_670:
	s_or_b32 exec_lo, exec_lo, s17
.LBB324_671:
	s_or_b32 exec_lo, exec_lo, s1
	ds_bpermute_b32 v1, v22, v27
	ds_bpermute_b32 v2, v22, v26
	;; [unrolled: 1-line block ×5, first 2 shown]
	v_lshrrev_b32_e32 v6, 1, v21
	v_mul_u32_u24_e32 v8, 0x140, v31
	v_and_b32_e32 v11, 0x3c1, v0
	s_mov_b32 s0, exec_lo
	s_waitcnt lgkmcnt(0)
	v_lshl_add_u32 v7, v6, 2, 0xc0
	s_barrier
	buffer_gl0_inv
	v_add_f32_e32 v5, v27, v1
	v_add_f32_e32 v4, v26, v2
	;; [unrolled: 1-line block ×5, first 2 shown]
	v_cmpx_eq_u32_e32 64, v11
	s_cbranch_execz .LBB324_673
; %bb.672:
	v_add_nc_u32_e32 v9, v7, v8
	v_add_nc_u32_e32 v10, 0xfffffd80, v9
	;; [unrolled: 1-line block ×6, first 2 shown]
	ds_write_b32 v10, v5
	ds_write_b32 v11, v4
	;; [unrolled: 1-line block ×5, first 2 shown]
.LBB324_673:
	s_or_b32 exec_lo, exec_lo, s0
	v_lshlrev_b32_e32 v6, 2, v6
	s_mov_b32 s1, exec_lo
	v_cmp_eq_u32_e32 vcc_lo, 0, v30
	s_waitcnt lgkmcnt(0)
	s_barrier
	v_add3_u32 v6, 0xc0, v8, v6
	buffer_gl0_inv
	v_cmpx_gt_u32_e32 64, v0
	s_cbranch_execz .LBB324_681
; %bb.674:
	s_and_saveexec_b32 s0, vcc_lo
	s_cbranch_execnz .LBB324_694
; %bb.675:
	s_or_b32 exec_lo, exec_lo, s0
	s_and_saveexec_b32 s0, vcc_lo
	s_cbranch_execnz .LBB324_695
.LBB324_676:
	s_or_b32 exec_lo, exec_lo, s0
	s_and_saveexec_b32 s0, vcc_lo
	s_cbranch_execnz .LBB324_696
.LBB324_677:
	s_or_b32 exec_lo, exec_lo, s0
	s_and_saveexec_b32 s0, vcc_lo
	s_cbranch_execnz .LBB324_697
.LBB324_678:
	s_or_b32 exec_lo, exec_lo, s0
	s_and_saveexec_b32 s0, vcc_lo
	s_cbranch_execz .LBB324_680
.LBB324_679:
	ds_read_b32 v8, v6 offset:256
	s_waitcnt lgkmcnt(0)
	v_add_f32_e32 v1, v1, v8
.LBB324_680:
	s_or_b32 exec_lo, exec_lo, s0
.LBB324_681:
	s_or_b32 exec_lo, exec_lo, s1
	v_and_b32_e32 v8, 0x3e1, v0
	s_mov_b32 s1, exec_lo
	s_barrier
	buffer_gl0_inv
	v_cmpx_eq_u32_e32 32, v8
	s_cbranch_execz .LBB324_683
; %bb.682:
	ds_write2_b32 v7, v5, v4 offset1:16
	ds_write2_b32 v7, v3, v2 offset0:32 offset1:48
	ds_write_b32 v7, v1 offset:256
.LBB324_683:
	s_or_b32 exec_lo, exec_lo, s1
	s_mov_b32 s1, exec_lo
	s_waitcnt lgkmcnt(0)
	s_barrier
	buffer_gl0_inv
	v_cmpx_gt_u32_e32 32, v0
	s_cbranch_execz .LBB324_691
; %bb.684:
	s_and_saveexec_b32 s0, vcc_lo
	s_cbranch_execnz .LBB324_698
; %bb.685:
	s_or_b32 exec_lo, exec_lo, s0
	s_and_saveexec_b32 s0, vcc_lo
	s_cbranch_execnz .LBB324_699
.LBB324_686:
	s_or_b32 exec_lo, exec_lo, s0
	s_and_saveexec_b32 s0, vcc_lo
	s_cbranch_execnz .LBB324_700
.LBB324_687:
	s_or_b32 exec_lo, exec_lo, s0
	s_and_saveexec_b32 s0, vcc_lo
	s_cbranch_execnz .LBB324_701
.LBB324_688:
	s_or_b32 exec_lo, exec_lo, s0
	s_and_saveexec_b32 s0, vcc_lo
	s_cbranch_execz .LBB324_690
.LBB324_689:
	ds_read_b32 v0, v6 offset:256
	s_waitcnt lgkmcnt(0)
	v_add_f32_e32 v1, v1, v0
.LBB324_690:
	s_or_b32 exec_lo, exec_lo, s0
.LBB324_691:
	s_or_b32 exec_lo, exec_lo, s1
	s_barrier
	buffer_gl0_inv
	s_mov_b32 s0, exec_lo
	v_cmpx_eq_u32_e32 0, v8
	s_cbranch_execz .LBB324_693
; %bb.692:
	v_bfe_u32 v6, v5, 16, 1
	v_or_b32_e32 v7, 0x400000, v5
	v_bfe_u32 v8, v4, 16, 1
	v_cmp_u_f32_e32 vcc_lo, v5, v5
	s_mul_i32 s0, s10, s11
	v_add3_u32 v6, v6, v5, 0x7fff
	s_mul_i32 s0, s0, s9
	v_add3_u32 v8, v8, v4, 0x7fff
	v_or_b32_e32 v9, 0x400000, v4
	s_mulk_i32 s0, 0x50
	v_cndmask_b32_e32 v5, v6, v7, vcc_lo
	v_bfe_u32 v6, v3, 16, 1
	v_cmp_u_f32_e32 vcc_lo, v4, v4
	s_ashr_i32 s1, s0, 31
	v_bfe_u32 v7, v2, 16, 1
	s_lshl_b64 s[0:1], s[0:1], 1
	v_add3_u32 v6, v6, v3, 0x7fff
	v_cndmask_b32_e32 v4, v8, v9, vcc_lo
	v_or_b32_e32 v9, 0x400000, v3
	v_cmp_u_f32_e32 vcc_lo, v3, v3
	s_mul_i32 s2, s11, s24
	s_add_u32 s5, s6, s0
	s_addc_u32 s6, s7, s1
	s_ashr_i32 s3, s2, 31
	v_bfe_u32 v8, v1, 16, 1
	v_add3_u32 v7, v7, v2, 0x7fff
	v_or_b32_e32 v10, 0x400000, v2
	v_cndmask_b32_e32 v3, v6, v9, vcc_lo
	v_cmp_u_f32_e32 vcc_lo, v2, v2
	s_lshl_b64 s[0:1], s[2:3], 1
	s_mul_i32 s4, s8, 0x50
	s_add_u32 s2, s5, s0
	s_addc_u32 s3, s6, s1
	s_ashr_i32 s5, s4, 31
	v_add3_u32 v8, v8, v1, 0x7fff
	v_or_b32_e32 v11, 0x400000, v1
	v_cndmask_b32_e32 v2, v7, v10, vcc_lo
	v_cmp_u_f32_e32 vcc_lo, v1, v1
	v_lshlrev_b32_e32 v0, 1, v29
	s_lshl_b64 s[0:1], s[4:5], 1
	s_add_u32 s0, s2, s0
	s_addc_u32 s1, s3, s1
	v_cndmask_b32_e32 v1, v8, v11, vcc_lo
	global_store_short_d16_hi v0, v5, s[0:1]
	global_store_short_d16_hi v0, v4, s[0:1] offset:32
	global_store_short_d16_hi v0, v3, s[0:1] offset:64
	global_store_short_d16_hi v0, v2, s[0:1] offset:96
	global_store_short_d16_hi v0, v1, s[0:1] offset:128
.LBB324_693:
	s_endpgm
.LBB324_694:
	ds_read_b32 v8, v6
	s_waitcnt lgkmcnt(0)
	v_add_f32_e32 v5, v5, v8
	s_or_b32 exec_lo, exec_lo, s0
	s_and_saveexec_b32 s0, vcc_lo
	s_cbranch_execz .LBB324_676
.LBB324_695:
	ds_read_b32 v8, v6 offset:64
	s_waitcnt lgkmcnt(0)
	v_add_f32_e32 v4, v4, v8
	s_or_b32 exec_lo, exec_lo, s0
	s_and_saveexec_b32 s0, vcc_lo
	s_cbranch_execz .LBB324_677
.LBB324_696:
	ds_read_b32 v8, v6 offset:128
	s_waitcnt lgkmcnt(0)
	v_add_f32_e32 v3, v3, v8
	s_or_b32 exec_lo, exec_lo, s0
	s_and_saveexec_b32 s0, vcc_lo
	s_cbranch_execz .LBB324_678
.LBB324_697:
	ds_read_b32 v8, v6 offset:192
	s_waitcnt lgkmcnt(0)
	v_add_f32_e32 v2, v2, v8
	s_or_b32 exec_lo, exec_lo, s0
	s_and_saveexec_b32 s0, vcc_lo
	s_cbranch_execnz .LBB324_679
	s_branch .LBB324_680
.LBB324_698:
	ds_read_b32 v0, v6
	s_waitcnt lgkmcnt(0)
	v_add_f32_e32 v5, v5, v0
	s_or_b32 exec_lo, exec_lo, s0
	s_and_saveexec_b32 s0, vcc_lo
	s_cbranch_execz .LBB324_686
.LBB324_699:
	ds_read_b32 v0, v6 offset:64
	s_waitcnt lgkmcnt(0)
	v_add_f32_e32 v4, v4, v0
	s_or_b32 exec_lo, exec_lo, s0
	s_and_saveexec_b32 s0, vcc_lo
	s_cbranch_execz .LBB324_687
.LBB324_700:
	ds_read_b32 v0, v6 offset:128
	s_waitcnt lgkmcnt(0)
	v_add_f32_e32 v3, v3, v0
	s_or_b32 exec_lo, exec_lo, s0
	s_and_saveexec_b32 s0, vcc_lo
	s_cbranch_execz .LBB324_688
.LBB324_701:
	ds_read_b32 v0, v6 offset:192
	s_waitcnt lgkmcnt(0)
	v_add_f32_e32 v2, v2, v0
	s_or_b32 exec_lo, exec_lo, s0
	s_and_saveexec_b32 s0, vcc_lo
	s_cbranch_execnz .LBB324_689
	s_branch .LBB324_690
	.section	.rodata,"a",@progbits
	.p2align	6, 0x0
	.amdhsa_kernel _ZN4vllm25paged_attention_v1_kernelI14__hip_bfloat16hLi80ELi16ELi128ELNS_18Fp8KVCacheDataTypeE1ELb1EEEvPT_PKS3_PKT0_S9_ifPKiSB_iPKfiiiSD_SD_iiiii
		.amdhsa_group_segment_fixed_size 192
		.amdhsa_private_segment_fixed_size 0
		.amdhsa_kernarg_size 384
		.amdhsa_user_sgpr_count 6
		.amdhsa_user_sgpr_private_segment_buffer 1
		.amdhsa_user_sgpr_dispatch_ptr 0
		.amdhsa_user_sgpr_queue_ptr 0
		.amdhsa_user_sgpr_kernarg_segment_ptr 1
		.amdhsa_user_sgpr_dispatch_id 0
		.amdhsa_user_sgpr_flat_scratch_init 0
		.amdhsa_user_sgpr_private_segment_size 0
		.amdhsa_wavefront_size32 1
		.amdhsa_uses_dynamic_stack 0
		.amdhsa_system_sgpr_private_segment_wavefront_offset 0
		.amdhsa_system_sgpr_workgroup_id_x 1
		.amdhsa_system_sgpr_workgroup_id_y 1
		.amdhsa_system_sgpr_workgroup_id_z 1
		.amdhsa_system_sgpr_workgroup_info 0
		.amdhsa_system_vgpr_workitem_id 0
		.amdhsa_next_free_vgpr 112
		.amdhsa_next_free_sgpr 45
		.amdhsa_reserve_vcc 1
		.amdhsa_reserve_flat_scratch 0
		.amdhsa_float_round_mode_32 0
		.amdhsa_float_round_mode_16_64 0
		.amdhsa_float_denorm_mode_32 3
		.amdhsa_float_denorm_mode_16_64 3
		.amdhsa_dx10_clamp 1
		.amdhsa_ieee_mode 1
		.amdhsa_fp16_overflow 0
		.amdhsa_workgroup_processor_mode 1
		.amdhsa_memory_ordered 1
		.amdhsa_forward_progress 1
		.amdhsa_shared_vgpr_count 0
		.amdhsa_exception_fp_ieee_invalid_op 0
		.amdhsa_exception_fp_denorm_src 0
		.amdhsa_exception_fp_ieee_div_zero 0
		.amdhsa_exception_fp_ieee_overflow 0
		.amdhsa_exception_fp_ieee_underflow 0
		.amdhsa_exception_fp_ieee_inexact 0
		.amdhsa_exception_int_div_zero 0
	.end_amdhsa_kernel
	.section	.text._ZN4vllm25paged_attention_v1_kernelI14__hip_bfloat16hLi80ELi16ELi128ELNS_18Fp8KVCacheDataTypeE1ELb1EEEvPT_PKS3_PKT0_S9_ifPKiSB_iPKfiiiSD_SD_iiiii,"axG",@progbits,_ZN4vllm25paged_attention_v1_kernelI14__hip_bfloat16hLi80ELi16ELi128ELNS_18Fp8KVCacheDataTypeE1ELb1EEEvPT_PKS3_PKT0_S9_ifPKiSB_iPKfiiiSD_SD_iiiii,comdat
.Lfunc_end324:
	.size	_ZN4vllm25paged_attention_v1_kernelI14__hip_bfloat16hLi80ELi16ELi128ELNS_18Fp8KVCacheDataTypeE1ELb1EEEvPT_PKS3_PKT0_S9_ifPKiSB_iPKfiiiSD_SD_iiiii, .Lfunc_end324-_ZN4vllm25paged_attention_v1_kernelI14__hip_bfloat16hLi80ELi16ELi128ELNS_18Fp8KVCacheDataTypeE1ELb1EEEvPT_PKS3_PKT0_S9_ifPKiSB_iPKfiiiSD_SD_iiiii
                                        ; -- End function
	.set _ZN4vllm25paged_attention_v1_kernelI14__hip_bfloat16hLi80ELi16ELi128ELNS_18Fp8KVCacheDataTypeE1ELb1EEEvPT_PKS3_PKT0_S9_ifPKiSB_iPKfiiiSD_SD_iiiii.num_vgpr, 112
	.set _ZN4vllm25paged_attention_v1_kernelI14__hip_bfloat16hLi80ELi16ELi128ELNS_18Fp8KVCacheDataTypeE1ELb1EEEvPT_PKS3_PKT0_S9_ifPKiSB_iPKfiiiSD_SD_iiiii.num_agpr, 0
	.set _ZN4vllm25paged_attention_v1_kernelI14__hip_bfloat16hLi80ELi16ELi128ELNS_18Fp8KVCacheDataTypeE1ELb1EEEvPT_PKS3_PKT0_S9_ifPKiSB_iPKfiiiSD_SD_iiiii.numbered_sgpr, 45
	.set _ZN4vllm25paged_attention_v1_kernelI14__hip_bfloat16hLi80ELi16ELi128ELNS_18Fp8KVCacheDataTypeE1ELb1EEEvPT_PKS3_PKT0_S9_ifPKiSB_iPKfiiiSD_SD_iiiii.num_named_barrier, 0
	.set _ZN4vllm25paged_attention_v1_kernelI14__hip_bfloat16hLi80ELi16ELi128ELNS_18Fp8KVCacheDataTypeE1ELb1EEEvPT_PKS3_PKT0_S9_ifPKiSB_iPKfiiiSD_SD_iiiii.private_seg_size, 0
	.set _ZN4vllm25paged_attention_v1_kernelI14__hip_bfloat16hLi80ELi16ELi128ELNS_18Fp8KVCacheDataTypeE1ELb1EEEvPT_PKS3_PKT0_S9_ifPKiSB_iPKfiiiSD_SD_iiiii.uses_vcc, 1
	.set _ZN4vllm25paged_attention_v1_kernelI14__hip_bfloat16hLi80ELi16ELi128ELNS_18Fp8KVCacheDataTypeE1ELb1EEEvPT_PKS3_PKT0_S9_ifPKiSB_iPKfiiiSD_SD_iiiii.uses_flat_scratch, 0
	.set _ZN4vllm25paged_attention_v1_kernelI14__hip_bfloat16hLi80ELi16ELi128ELNS_18Fp8KVCacheDataTypeE1ELb1EEEvPT_PKS3_PKT0_S9_ifPKiSB_iPKfiiiSD_SD_iiiii.has_dyn_sized_stack, 0
	.set _ZN4vllm25paged_attention_v1_kernelI14__hip_bfloat16hLi80ELi16ELi128ELNS_18Fp8KVCacheDataTypeE1ELb1EEEvPT_PKS3_PKT0_S9_ifPKiSB_iPKfiiiSD_SD_iiiii.has_recursion, 0
	.set _ZN4vllm25paged_attention_v1_kernelI14__hip_bfloat16hLi80ELi16ELi128ELNS_18Fp8KVCacheDataTypeE1ELb1EEEvPT_PKS3_PKT0_S9_ifPKiSB_iPKfiiiSD_SD_iiiii.has_indirect_call, 0
	.section	.AMDGPU.csdata,"",@progbits
; Kernel info:
; codeLenInByte = 26380
; TotalNumSgprs: 47
; NumVgprs: 112
; ScratchSize: 0
; MemoryBound: 0
; FloatMode: 240
; IeeeMode: 1
; LDSByteSize: 192 bytes/workgroup (compile time only)
; SGPRBlocks: 0
; VGPRBlocks: 13
; NumSGPRsForWavesPerEU: 47
; NumVGPRsForWavesPerEU: 112
; Occupancy: 9
; WaveLimiterHint : 1
; COMPUTE_PGM_RSRC2:SCRATCH_EN: 0
; COMPUTE_PGM_RSRC2:USER_SGPR: 6
; COMPUTE_PGM_RSRC2:TRAP_HANDLER: 0
; COMPUTE_PGM_RSRC2:TGID_X_EN: 1
; COMPUTE_PGM_RSRC2:TGID_Y_EN: 1
; COMPUTE_PGM_RSRC2:TGID_Z_EN: 1
; COMPUTE_PGM_RSRC2:TIDIG_COMP_CNT: 0
	.section	.text._ZN4vllm25paged_attention_v1_kernelI14__hip_bfloat16hLi96ELi16ELi128ELNS_18Fp8KVCacheDataTypeE1ELb1EEEvPT_PKS3_PKT0_S9_ifPKiSB_iPKfiiiSD_SD_iiiii,"axG",@progbits,_ZN4vllm25paged_attention_v1_kernelI14__hip_bfloat16hLi96ELi16ELi128ELNS_18Fp8KVCacheDataTypeE1ELb1EEEvPT_PKS3_PKT0_S9_ifPKiSB_iPKfiiiSD_SD_iiiii,comdat
	.protected	_ZN4vllm25paged_attention_v1_kernelI14__hip_bfloat16hLi96ELi16ELi128ELNS_18Fp8KVCacheDataTypeE1ELb1EEEvPT_PKS3_PKT0_S9_ifPKiSB_iPKfiiiSD_SD_iiiii ; -- Begin function _ZN4vllm25paged_attention_v1_kernelI14__hip_bfloat16hLi96ELi16ELi128ELNS_18Fp8KVCacheDataTypeE1ELb1EEEvPT_PKS3_PKT0_S9_ifPKiSB_iPKfiiiSD_SD_iiiii
	.globl	_ZN4vllm25paged_attention_v1_kernelI14__hip_bfloat16hLi96ELi16ELi128ELNS_18Fp8KVCacheDataTypeE1ELb1EEEvPT_PKS3_PKT0_S9_ifPKiSB_iPKfiiiSD_SD_iiiii
	.p2align	8
	.type	_ZN4vllm25paged_attention_v1_kernelI14__hip_bfloat16hLi96ELi16ELi128ELNS_18Fp8KVCacheDataTypeE1ELb1EEEvPT_PKS3_PKT0_S9_ifPKiSB_iPKfiiiSD_SD_iiiii,@function
_ZN4vllm25paged_attention_v1_kernelI14__hip_bfloat16hLi96ELi16ELi128ELNS_18Fp8KVCacheDataTypeE1ELb1EEEvPT_PKS3_PKT0_S9_ifPKiSB_iPKfiiiSD_SD_iiiii: ; @_ZN4vllm25paged_attention_v1_kernelI14__hip_bfloat16hLi96ELi16ELi128ELNS_18Fp8KVCacheDataTypeE1ELb1EEEvPT_PKS3_PKT0_S9_ifPKiSB_iPKfiiiSD_SD_iiiii
; %bb.0:
	s_clause 0x2
	s_load_dword s9, s[4:5], 0x80
	s_load_dwordx2 s[0:1], s[4:5], 0x30
	s_load_dwordx2 s[34:35], s[4:5], 0x20
	s_mov_b32 s10, s7
	s_ashr_i32 s11, s7, 31
	s_mov_b32 s36, 0
	s_lshl_b64 s[2:3], s[10:11], 2
	s_waitcnt lgkmcnt(0)
	s_add_u32 s0, s0, s2
	s_addc_u32 s1, s1, s3
	s_abs_i32 s2, s34
	s_abs_i32 s11, s9
	v_cvt_f32_u32_e32 v1, s2
	s_sub_i32 s7, 0, s2
	v_rcp_iflag_f32_e32 v1, v1
	v_mul_f32_e32 v1, 0x4f7ffffe, v1
	v_cvt_u32_f32_e32 v1, v1
	v_readfirstlane_b32 s3, v1
	s_mul_i32 s7, s7, s3
	s_mul_hi_u32 s7, s3, s7
	s_add_i32 s3, s3, s7
	s_xor_b32 s7, s9, s34
	s_mul_hi_u32 s3, s11, s3
	s_ashr_i32 s7, s7, 31
	s_mul_i32 s12, s3, s2
	s_sub_i32 s11, s11, s12
	s_add_i32 s12, s3, 1
	s_sub_i32 s13, s11, s2
	s_cmp_ge_u32 s11, s2
	s_cselect_b32 s3, s12, s3
	s_cselect_b32 s11, s13, s11
	s_add_i32 s12, s3, 1
	s_cmp_ge_u32 s11, s2
	s_cselect_b32 s2, s12, s3
	s_xor_b32 s2, s2, s7
	s_sub_i32 s14, s2, s7
	s_load_dwordx2 s[2:3], s[4:5], 0x40
	s_abs_i32 s11, s14
	v_cvt_f32_u32_e32 v1, s11
	s_sub_i32 s12, 0, s11
	v_rcp_iflag_f32_e32 v1, v1
	v_mul_f32_e32 v1, 0x4f7ffffe, v1
	v_cvt_u32_f32_e32 v1, v1
	v_readfirstlane_b32 s7, v1
	s_mul_i32 s12, s12, s7
	s_mul_hi_u32 s13, s7, s12
	s_abs_i32 s12, s6
	s_add_i32 s7, s7, s13
	s_waitcnt lgkmcnt(0)
	s_cmp_eq_u64 s[2:3], 0
	s_mul_hi_u32 s13, s12, s7
	s_cbranch_scc1 .LBB325_2
; %bb.1:
	s_ashr_i32 s7, s6, 31
	s_lshl_b64 s[16:17], s[6:7], 2
	s_add_u32 s2, s2, s16
	s_addc_u32 s3, s3, s17
	s_load_dword s36, s[2:3], 0x0
.LBB325_2:
	s_load_dword s33, s[0:1], 0x0
	s_load_dwordx4 s[16:19], s[4:5], 0x48
	v_lshrrev_b32_e32 v33, 1, v0
	v_and_b32_e32 v34, 1, v0
	v_lshlrev_b32_e32 v37, 3, v0
	s_ashr_i32 s0, s6, 31
	s_ashr_i32 s1, s14, 31
	s_mul_i32 s24, s6, 0x60
	s_mov_b32 s2, exec_lo
	v_cmpx_gt_u32_e32 24, v0
	s_cbranch_execz .LBB325_4
; %bb.3:
	s_load_dwordx2 s[14:15], s[4:5], 0x8
	s_waitcnt lgkmcnt(0)
	s_mul_i32 s20, s16, s10
	v_lshlrev_b32_e32 v3, 3, v33
	s_ashr_i32 s21, s20, 31
	s_lshl_b64 s[20:21], s[20:21], 1
	v_mad_u32_u24 v3, 0x60, v34, v3
	s_add_u32 s3, s14, s20
	s_addc_u32 s7, s15, s21
	s_ashr_i32 s25, s24, 31
	s_lshl_b64 s[14:15], s[24:25], 1
	s_add_u32 s14, s3, s14
	s_addc_u32 s15, s7, s15
	global_load_dwordx2 v[1:2], v37, s[14:15]
	s_waitcnt vmcnt(0)
	ds_write_b64 v3, v[1:2]
.LBB325_4:
	s_or_b32 exec_lo, exec_lo, s2
	s_load_dwordx4 s[20:23], s[4:5], 0x68
	s_mul_i32 s2, s13, s11
	s_xor_b32 s1, s0, s1
	s_sub_i32 s0, s12, s2
	s_add_i32 s2, s13, 1
	s_sub_i32 s3, s0, s11
	s_cmp_ge_u32 s0, s11
	s_mov_b32 s12, -1
	s_cselect_b32 s2, s2, s13
	s_cselect_b32 s0, s3, s0
	s_add_i32 s3, s2, 1
	s_cmp_ge_u32 s0, s11
	s_load_dword s0, s[4:5], 0x78
	s_cselect_b32 s2, s3, s2
	s_waitcnt lgkmcnt(0)
	s_add_i32 s7, s33, -1
	s_xor_b32 s2, s2, s1
	s_abs_i32 s3, s7
	s_sub_i32 s1, s2, s1
	s_barrier
	s_abs_i32 s16, s23
	buffer_gl0_inv
	v_cvt_f32_u32_e32 v1, s16
	s_sub_i32 s2, 0, s16
                                        ; implicit-def: $sgpr25
	v_rcp_iflag_f32_e32 v1, v1
	v_mul_f32_e32 v1, 0x4f7ffffe, v1
	v_cvt_u32_f32_e32 v1, v1
	v_readfirstlane_b32 s19, v1
	s_mul_i32 s2, s2, s19
	s_mul_hi_u32 s2, s19, s2
	s_add_i32 s19, s19, s2
	s_cmp_lt_i32 s0, 0
	s_mul_hi_u32 s2, s3, s19
	s_cbranch_scc0 .LBB325_6
; %bb.5:
	s_mul_i32 s11, s20, s34
	s_mov_b32 s12, 0
	s_add_i32 s11, s1, s11
	s_mul_i32 s11, s11, s0
	s_sub_i32 s25, 1, s11
.LBB325_6:
	s_load_dwordx2 s[26:27], s[4:5], 0x28
	s_ashr_i32 s11, s7, 31
	s_andn2_b32 vcc_lo, exec_lo, s12
	s_ashr_i32 s23, s23, 31
	s_cbranch_vccnz .LBB325_8
; %bb.7:
	s_mul_i32 s7, s9, s20
	s_add_i32 s6, s7, s6
	s_mul_i32 s0, s6, s0
	s_add_i32 s25, s0, 1
.LBB325_8:
	s_clause 0x2
	s_load_dword s0, s[4:5], 0x38
	s_load_dwordx2 s[6:7], s[4:5], 0x0
	s_load_dwordx2 s[30:31], s[4:5], 0x18
	s_xor_b32 s34, s11, s23
	s_mul_i32 s11, s2, s16
	s_add_i32 s20, s2, 1
	s_sub_i32 s3, s3, s11
	s_clause 0x1
	s_load_dword s11, s[4:5], 0x88
	s_load_dwordx4 s[12:15], s[4:5], 0x58
	v_lshrrev_b32_e32 v35, 5, v0
	v_mov_b32_e32 v42, 0xff7fffff
	v_lshrrev_b32_e32 v38, 3, v0
	v_mbcnt_lo_u32_b32 v39, -1, 0
	s_mul_i32 s18, s1, s18
	v_lshlrev_b32_e32 v36, 4, v35
	s_waitcnt lgkmcnt(0)
	s_mul_i32 s28, s0, s10
	s_sub_i32 s0, s3, s16
	s_ashr_i32 s29, s28, 31
	s_cmp_ge_u32 s3, s16
	s_cselect_b32 s2, s20, s2
	s_cselect_b32 s0, s0, s3
	s_add_i32 s3, s2, 1
	s_cmp_ge_u32 s0, s16
	s_cselect_b32 s0, s3, s2
	s_add_i32 s2, s33, 15
	s_ashr_i32 s3, s2, 31
	s_lshr_b32 s3, s3, 28
	s_add_i32 s2, s2, s3
	s_ashr_i32 s20, s2, 4
	s_xor_b32 s2, s0, s34
	v_cmp_gt_i32_e64 s0, s20, v35
	s_sub_i32 s34, s2, s34
	s_and_saveexec_b32 s37, s0
	s_cbranch_execz .LBB325_404
; %bb.9:
	s_load_dwordx2 s[2:3], s[4:5], 0x10
	s_sub_i32 s4, s34, s21
	s_ashr_i32 s1, s18, 31
	v_bfe_u32 v40, v0, 1, 4
	v_and_b32_e32 v3, 0x7c, v38
	v_lshlrev_b32_e32 v2, 2, v34
	v_mov_b32_e32 v26, 0
	v_mul_u32_u24_e32 v41, 0x60, v34
	v_lshlrev_b32_e32 v4, 2, v40
	v_subrev_nc_u32_e32 v5, s33, v40
	v_lshlrev_b32_e32 v6, 4, v40
	v_lshlrev_b32_e32 v43, 4, v35
	v_mov_b32_e32 v44, 0xff7fffff
	v_lshl_or_b32 v4, v35, 6, v4
	v_add_nc_u32_e32 v50, 1, v5
	v_mov_b32_e32 v45, 0x80
	v_mov_b32_e32 v46, 0xffff
	;; [unrolled: 1-line block ×3, first 2 shown]
	v_add_nc_u32_e32 v51, 0xe0, v4
	v_mov_b32_e32 v48, 7
	s_waitcnt lgkmcnt(0)
	s_add_u32 s38, s2, s18
	s_addc_u32 s39, s3, s1
	s_abs_i32 s5, s22
	v_add_co_u32 v5, s38, s38, v6
	v_cvt_f32_u32_e32 v1, s5
	s_sub_i32 s2, 0, s5
	v_add_co_ci_u32_e64 v6, null, s39, 0, s38
	v_cmp_neq_f32_e64 s1, s36, 0
	v_rcp_iflag_f32_e32 v1, v1
	v_mov_b32_e32 v49, 24
	v_mov_b32_e32 v42, 0xff7fffff
	v_mov_b32_e32 v53, v35
	s_mov_b32 s38, 0
	s_mov_b32 s39, s17
	v_cmp_eq_u32_e32 vcc_lo, 0, v34
	v_mul_f32_e32 v1, 0x4f7ffffe, v1
	v_cvt_u32_f32_e32 v1, v1
	v_mul_lo_u32 v4, s2, v1
	s_lshl_b64 s[2:3], s[28:29], 2
	s_add_u32 s2, s26, s2
	s_addc_u32 s3, s27, s3
	v_add_co_u32 v27, s2, s2, v3
	v_add_co_ci_u32_e64 v28, null, s3, 0, s2
	v_mul_hi_u32 v4, v1, v4
	v_add_co_u32 v29, s2, v5, v2
	v_add_co_ci_u32_e64 v30, null, 0, v6, s2
	v_add_nc_u32_e32 v52, v1, v4
	s_branch .LBB325_12
.LBB325_10:                             ;   in Loop: Header=BB325_12 Depth=1
	s_or_b32 exec_lo, exec_lo, s40
.LBB325_11:                             ;   in Loop: Header=BB325_12 Depth=1
	s_or_b32 exec_lo, exec_lo, s3
	v_add_nc_u32_e32 v53, 4, v53
	v_add_co_u32 v27, s3, v27, 16
	v_add_co_ci_u32_e64 v28, null, 0, v28, s3
	v_cmp_le_i32_e64 s2, s20, v53
	v_add_nc_u32_e32 v43, 64, v43
	v_add_nc_u32_e32 v51, 0x100, v51
	s_or_b32 s38, s2, s38
	s_andn2_b32 exec_lo, exec_lo, s38
	s_cbranch_execz .LBB325_403
.LBB325_12:                             ; =>This Inner Loop Header: Depth=1
	v_mul_hi_u32 v1, v43, s19
	s_waitcnt lgkmcnt(0)
	v_mul_lo_u32 v2, v1, s16
	v_add_nc_u32_e32 v3, 1, v1
	v_sub_nc_u32_e32 v2, v43, v2
	v_subrev_nc_u32_e32 v4, s16, v2
	v_cmp_le_u32_e64 s2, s16, v2
	v_cndmask_b32_e64 v1, v1, v3, s2
	v_cndmask_b32_e64 v2, v2, v4, s2
	v_add_nc_u32_e32 v3, 1, v1
	v_cmp_le_u32_e64 s2, s16, v2
	v_cndmask_b32_e64 v1, v1, v3, s2
	v_xor_b32_e32 v1, s23, v1
	v_subrev_nc_u32_e32 v1, s23, v1
	v_add_nc_u32_e32 v2, s25, v1
	v_cmp_ge_i32_e64 s3, s4, v1
	v_sub_nc_u32_e32 v3, 0, v2
	v_max_i32_e32 v3, v2, v3
	v_ashrrev_i32_e32 v2, 31, v2
	v_mul_hi_u32 v4, v3, v52
	v_mul_lo_u32 v4, v4, s5
	v_sub_nc_u32_e32 v3, v3, v4
	v_subrev_nc_u32_e32 v4, s5, v3
	v_cmp_le_u32_e64 s2, s5, v3
	v_cndmask_b32_e64 v3, v3, v4, s2
	v_subrev_nc_u32_e32 v4, s5, v3
	v_cmp_le_u32_e64 s2, s5, v3
	v_cndmask_b32_e64 v3, v3, v4, s2
	v_xor_b32_e32 v3, v3, v2
	v_sub_nc_u32_e32 v2, v3, v2
	v_cmp_ne_u32_e64 s2, 0, v2
	s_and_b32 s2, s2, s3
	s_and_saveexec_b32 s3, s2
	s_xor_b32 s2, exec_lo, s3
	s_cbranch_execz .LBB325_16
; %bb.13:                               ;   in Loop: Header=BB325_12 Depth=1
	s_and_saveexec_b32 s3, vcc_lo
; %bb.14:                               ;   in Loop: Header=BB325_12 Depth=1
	ds_write_b32 v51, v44
; %bb.15:                               ;   in Loop: Header=BB325_12 Depth=1
	s_or_b32 exec_lo, exec_lo, s3
.LBB325_16:                             ;   in Loop: Header=BB325_12 Depth=1
	s_andn2_saveexec_b32 s3, s2
	s_cbranch_execz .LBB325_11
; %bb.17:                               ;   in Loop: Header=BB325_12 Depth=1
	global_load_dword v1, v[27:28], off
	v_mov_b32_e32 v55, 0
	v_mov_b32_e32 v54, 0
	s_waitcnt vmcnt(0)
	v_mad_i64_i32 v[31:32], null, v1, s39, v[29:30]
	global_load_dword v58, v[31:32], off
	ds_read_b128 v[21:24], v41
	ds_read_b128 v[17:20], v41 offset:16
	ds_read_b128 v[13:16], v41 offset:32
	;; [unrolled: 1-line block ×5, first 2 shown]
	s_load_dword s40, s[12:13], 0x0
	s_waitcnt vmcnt(0)
	v_cmp_ne_u16_sdwa s2, v58, v26 src0_sel:BYTE_0 src1_sel:DWORD
	s_and_saveexec_b32 s41, s2
	s_cbranch_execz .LBB325_25
; %bb.18:                               ;   in Loop: Header=BB325_12 Depth=1
	v_cmp_ne_u16_sdwa s2, v58, v45 src0_sel:BYTE_0 src1_sel:DWORD
	v_bfrev_b32_e32 v54, 1
	s_and_saveexec_b32 s42, s2
	s_cbranch_execz .LBB325_24
; %bb.19:                               ;   in Loop: Header=BB325_12 Depth=1
	v_and_b32_e32 v56, 0x7f, v58
	v_mov_b32_e32 v54, 0x7f800001
	s_mov_b32 s43, exec_lo
	v_cmpx_ne_u32_e32 0x7f, v56
	s_cbranch_execz .LBB325_23
; %bb.20:                               ;   in Loop: Header=BB325_12 Depth=1
	v_and_b32_e32 v25, 7, v58
	v_lshrrev_b32_e32 v54, 3, v56
	s_mov_b32 s44, exec_lo
	v_cmpx_gt_u32_e32 8, v56
; %bb.21:                               ;   in Loop: Header=BB325_12 Depth=1
	v_ffbh_u32_e32 v54, v25
	v_min_u32_e32 v54, 32, v54
	v_subrev_nc_u32_e32 v56, 28, v54
	v_sub_nc_u32_e32 v54, 29, v54
	v_lshlrev_b64 v[56:57], v56, v[25:26]
	v_and_b32_e32 v25, 7, v56
; %bb.22:                               ;   in Loop: Header=BB325_12 Depth=1
	s_or_b32 exec_lo, exec_lo, s44
	v_lshlrev_b32_e32 v56, 24, v58
	v_lshlrev_b32_e32 v25, 20, v25
	v_lshl_add_u32 v54, v54, 23, 0x3c000000
	v_and_b32_e32 v56, 0x80000000, v56
	v_or3_b32 v54, v25, v56, v54
.LBB325_23:                             ;   in Loop: Header=BB325_12 Depth=1
	s_or_b32 exec_lo, exec_lo, s43
.LBB325_24:                             ;   in Loop: Header=BB325_12 Depth=1
	s_or_b32 exec_lo, exec_lo, s42
.LBB325_25:                             ;   in Loop: Header=BB325_12 Depth=1
	s_or_b32 exec_lo, exec_lo, s41
	v_cmp_ne_u16_sdwa s2, v58, v26 src0_sel:BYTE_1 src1_sel:DWORD
	s_and_saveexec_b32 s41, s2
	s_cbranch_execz .LBB325_33
; %bb.26:                               ;   in Loop: Header=BB325_12 Depth=1
	v_cmp_ne_u16_sdwa s2, v58, v45 src0_sel:BYTE_1 src1_sel:DWORD
	v_bfrev_b32_e32 v55, 1
	s_and_saveexec_b32 s42, s2
	s_cbranch_execz .LBB325_32
; %bb.27:                               ;   in Loop: Header=BB325_12 Depth=1
	v_and_b32_sdwa v25, v46, v58 dst_sel:DWORD dst_unused:UNUSED_PAD src0_sel:DWORD src1_sel:BYTE_1
	v_mov_b32_e32 v55, 0x7f800001
	s_mov_b32 s43, exec_lo
	v_and_b32_e32 v56, 0x7f, v25
	v_cmpx_ne_u32_e32 0x7f, v56
	s_cbranch_execz .LBB325_31
; %bb.28:                               ;   in Loop: Header=BB325_12 Depth=1
	v_and_b32_e32 v25, 7, v25
	v_lshrrev_b32_e32 v55, 3, v56
	s_mov_b32 s44, exec_lo
	v_cmpx_gt_u32_e32 8, v56
; %bb.29:                               ;   in Loop: Header=BB325_12 Depth=1
	v_ffbh_u32_e32 v55, v25
	v_min_u32_e32 v55, 32, v55
	v_subrev_nc_u32_e32 v56, 28, v55
	v_sub_nc_u32_e32 v55, 29, v55
	v_lshlrev_b64 v[56:57], v56, v[25:26]
	v_and_b32_e32 v25, 7, v56
; %bb.30:                               ;   in Loop: Header=BB325_12 Depth=1
	s_or_b32 exec_lo, exec_lo, s44
	v_lshlrev_b32_e32 v56, 16, v58
	v_lshlrev_b32_e32 v25, 20, v25
	v_lshl_add_u32 v55, v55, 23, 0x3c000000
	v_and_b32_e32 v56, 0x80000000, v56
	v_or3_b32 v55, v25, v56, v55
.LBB325_31:                             ;   in Loop: Header=BB325_12 Depth=1
	s_or_b32 exec_lo, exec_lo, s43
.LBB325_32:                             ;   in Loop: Header=BB325_12 Depth=1
	s_or_b32 exec_lo, exec_lo, s42
.LBB325_33:                             ;   in Loop: Header=BB325_12 Depth=1
	s_or_b32 exec_lo, exec_lo, s41
	v_and_b32_sdwa v25, v58, v47 dst_sel:DWORD dst_unused:UNUSED_PAD src0_sel:WORD_1 src1_sel:DWORD
	v_mov_b32_e32 v56, 0
	v_mov_b32_e32 v57, 0
	s_mov_b32 s41, exec_lo
	v_cmpx_ne_u16_e32 0, v25
	s_cbranch_execz .LBB325_41
; %bb.34:                               ;   in Loop: Header=BB325_12 Depth=1
	v_bfrev_b32_e32 v57, 1
	s_mov_b32 s42, exec_lo
	v_cmpx_ne_u16_e32 0x80, v25
	s_cbranch_execz .LBB325_40
; %bb.35:                               ;   in Loop: Header=BB325_12 Depth=1
	v_bfe_u32 v59, v58, 16, 7
	v_mov_b32_e32 v57, 0x7f800001
	s_mov_b32 s43, exec_lo
	v_cmpx_ne_u32_e32 0x7f, v59
	s_cbranch_execz .LBB325_39
; %bb.36:                               ;   in Loop: Header=BB325_12 Depth=1
	v_and_b32_sdwa v25, v58, v48 dst_sel:DWORD dst_unused:UNUSED_PAD src0_sel:WORD_1 src1_sel:DWORD
	v_lshrrev_b32_e32 v57, 3, v59
	s_mov_b32 s44, exec_lo
	v_cmpx_gt_u32_e32 8, v59
; %bb.37:                               ;   in Loop: Header=BB325_12 Depth=1
	v_ffbh_u32_e32 v57, v25
	v_min_u32_e32 v57, 32, v57
	v_subrev_nc_u32_e32 v59, 28, v57
	v_sub_nc_u32_e32 v57, 29, v57
	v_lshlrev_b64 v[59:60], v59, v[25:26]
	v_and_b32_e32 v25, 7, v59
; %bb.38:                               ;   in Loop: Header=BB325_12 Depth=1
	s_or_b32 exec_lo, exec_lo, s44
	v_lshlrev_b32_sdwa v59, v49, v58 dst_sel:DWORD dst_unused:UNUSED_PAD src0_sel:DWORD src1_sel:WORD_1
	v_lshlrev_b32_e32 v25, 20, v25
	v_lshl_add_u32 v57, v57, 23, 0x3c000000
	v_and_b32_e32 v59, 0x80000000, v59
	v_or3_b32 v57, v25, v59, v57
.LBB325_39:                             ;   in Loop: Header=BB325_12 Depth=1
	s_or_b32 exec_lo, exec_lo, s43
.LBB325_40:                             ;   in Loop: Header=BB325_12 Depth=1
	s_or_b32 exec_lo, exec_lo, s42
.LBB325_41:                             ;   in Loop: Header=BB325_12 Depth=1
	s_or_b32 exec_lo, exec_lo, s41
	s_mov_b32 s41, exec_lo
	v_cmpx_lt_u32_e32 0xffffff, v58
	s_cbranch_execz .LBB325_49
; %bb.42:                               ;   in Loop: Header=BB325_12 Depth=1
	v_cmp_ne_u32_sdwa s2, v58, v45 src0_sel:BYTE_3 src1_sel:DWORD
	v_bfrev_b32_e32 v56, 1
	s_and_saveexec_b32 s42, s2
	s_cbranch_execz .LBB325_48
; %bb.43:                               ;   in Loop: Header=BB325_12 Depth=1
	v_bfe_u32 v59, v58, 24, 7
	v_mov_b32_e32 v56, 0x7f800001
	s_mov_b32 s43, exec_lo
	v_cmpx_ne_u32_e32 0x7f, v59
	s_cbranch_execz .LBB325_47
; %bb.44:                               ;   in Loop: Header=BB325_12 Depth=1
	v_and_b32_sdwa v25, v58, v48 dst_sel:DWORD dst_unused:UNUSED_PAD src0_sel:BYTE_3 src1_sel:DWORD
	v_lshrrev_b32_e32 v56, 3, v59
	s_mov_b32 s44, exec_lo
	v_cmpx_gt_u32_e32 8, v59
; %bb.45:                               ;   in Loop: Header=BB325_12 Depth=1
	v_ffbh_u32_e32 v56, v25
	v_min_u32_e32 v56, 32, v56
	v_subrev_nc_u32_e32 v59, 28, v56
	v_sub_nc_u32_e32 v56, 29, v56
	v_lshlrev_b64 v[59:60], v59, v[25:26]
	v_and_b32_e32 v25, 7, v59
; %bb.46:                               ;   in Loop: Header=BB325_12 Depth=1
	s_or_b32 exec_lo, exec_lo, s44
	v_lshlrev_b32_sdwa v58, v49, v58 dst_sel:DWORD dst_unused:UNUSED_PAD src0_sel:DWORD src1_sel:BYTE_3
	v_lshlrev_b32_e32 v25, 20, v25
	v_lshl_add_u32 v56, v56, 23, 0x3c000000
	v_and_b32_e32 v58, 0x80000000, v58
	v_or3_b32 v56, v25, v58, v56
.LBB325_47:                             ;   in Loop: Header=BB325_12 Depth=1
	s_or_b32 exec_lo, exec_lo, s43
.LBB325_48:                             ;   in Loop: Header=BB325_12 Depth=1
	s_or_b32 exec_lo, exec_lo, s42
.LBB325_49:                             ;   in Loop: Header=BB325_12 Depth=1
	s_or_b32 exec_lo, exec_lo, s41
	global_load_dword v62, v[31:32], off offset:8
	v_mov_b32_e32 v59, 0
	v_mov_b32_e32 v58, 0
	s_waitcnt vmcnt(0)
	v_cmp_ne_u16_sdwa s2, v62, v26 src0_sel:BYTE_0 src1_sel:DWORD
	s_and_saveexec_b32 s41, s2
	s_cbranch_execz .LBB325_57
; %bb.50:                               ;   in Loop: Header=BB325_12 Depth=1
	v_cmp_ne_u16_sdwa s2, v62, v45 src0_sel:BYTE_0 src1_sel:DWORD
	v_bfrev_b32_e32 v58, 1
	s_and_saveexec_b32 s42, s2
	s_cbranch_execz .LBB325_56
; %bb.51:                               ;   in Loop: Header=BB325_12 Depth=1
	v_and_b32_e32 v60, 0x7f, v62
	v_mov_b32_e32 v58, 0x7f800001
	s_mov_b32 s43, exec_lo
	v_cmpx_ne_u32_e32 0x7f, v60
	s_cbranch_execz .LBB325_55
; %bb.52:                               ;   in Loop: Header=BB325_12 Depth=1
	v_and_b32_e32 v25, 7, v62
	v_lshrrev_b32_e32 v58, 3, v60
	s_mov_b32 s44, exec_lo
	v_cmpx_gt_u32_e32 8, v60
; %bb.53:                               ;   in Loop: Header=BB325_12 Depth=1
	v_ffbh_u32_e32 v58, v25
	v_min_u32_e32 v58, 32, v58
	v_subrev_nc_u32_e32 v60, 28, v58
	v_sub_nc_u32_e32 v58, 29, v58
	v_lshlrev_b64 v[60:61], v60, v[25:26]
	v_and_b32_e32 v25, 7, v60
; %bb.54:                               ;   in Loop: Header=BB325_12 Depth=1
	s_or_b32 exec_lo, exec_lo, s44
	v_lshlrev_b32_e32 v60, 24, v62
	v_lshlrev_b32_e32 v25, 20, v25
	v_lshl_add_u32 v58, v58, 23, 0x3c000000
	v_and_b32_e32 v60, 0x80000000, v60
	v_or3_b32 v58, v25, v60, v58
.LBB325_55:                             ;   in Loop: Header=BB325_12 Depth=1
	s_or_b32 exec_lo, exec_lo, s43
.LBB325_56:                             ;   in Loop: Header=BB325_12 Depth=1
	s_or_b32 exec_lo, exec_lo, s42
.LBB325_57:                             ;   in Loop: Header=BB325_12 Depth=1
	s_or_b32 exec_lo, exec_lo, s41
	v_cmp_ne_u16_sdwa s2, v62, v26 src0_sel:BYTE_1 src1_sel:DWORD
	s_and_saveexec_b32 s41, s2
	s_cbranch_execz .LBB325_65
; %bb.58:                               ;   in Loop: Header=BB325_12 Depth=1
	v_cmp_ne_u16_sdwa s2, v62, v45 src0_sel:BYTE_1 src1_sel:DWORD
	v_bfrev_b32_e32 v59, 1
	s_and_saveexec_b32 s42, s2
	s_cbranch_execz .LBB325_64
; %bb.59:                               ;   in Loop: Header=BB325_12 Depth=1
	v_and_b32_sdwa v25, v46, v62 dst_sel:DWORD dst_unused:UNUSED_PAD src0_sel:DWORD src1_sel:BYTE_1
	v_mov_b32_e32 v59, 0x7f800001
	s_mov_b32 s43, exec_lo
	v_and_b32_e32 v60, 0x7f, v25
	v_cmpx_ne_u32_e32 0x7f, v60
	s_cbranch_execz .LBB325_63
; %bb.60:                               ;   in Loop: Header=BB325_12 Depth=1
	v_and_b32_e32 v25, 7, v25
	v_lshrrev_b32_e32 v59, 3, v60
	s_mov_b32 s44, exec_lo
	v_cmpx_gt_u32_e32 8, v60
; %bb.61:                               ;   in Loop: Header=BB325_12 Depth=1
	v_ffbh_u32_e32 v59, v25
	v_min_u32_e32 v59, 32, v59
	v_subrev_nc_u32_e32 v60, 28, v59
	v_sub_nc_u32_e32 v59, 29, v59
	v_lshlrev_b64 v[60:61], v60, v[25:26]
	v_and_b32_e32 v25, 7, v60
; %bb.62:                               ;   in Loop: Header=BB325_12 Depth=1
	s_or_b32 exec_lo, exec_lo, s44
	v_lshlrev_b32_e32 v60, 16, v62
	v_lshlrev_b32_e32 v25, 20, v25
	v_lshl_add_u32 v59, v59, 23, 0x3c000000
	v_and_b32_e32 v60, 0x80000000, v60
	v_or3_b32 v59, v25, v60, v59
.LBB325_63:                             ;   in Loop: Header=BB325_12 Depth=1
	s_or_b32 exec_lo, exec_lo, s43
.LBB325_64:                             ;   in Loop: Header=BB325_12 Depth=1
	s_or_b32 exec_lo, exec_lo, s42
.LBB325_65:                             ;   in Loop: Header=BB325_12 Depth=1
	s_or_b32 exec_lo, exec_lo, s41
	v_and_b32_sdwa v25, v62, v47 dst_sel:DWORD dst_unused:UNUSED_PAD src0_sel:WORD_1 src1_sel:DWORD
	v_mov_b32_e32 v60, 0
	v_mov_b32_e32 v61, 0
	s_mov_b32 s41, exec_lo
	v_cmpx_ne_u16_e32 0, v25
	s_cbranch_execz .LBB325_73
; %bb.66:                               ;   in Loop: Header=BB325_12 Depth=1
	v_bfrev_b32_e32 v61, 1
	s_mov_b32 s42, exec_lo
	v_cmpx_ne_u16_e32 0x80, v25
	s_cbranch_execz .LBB325_72
; %bb.67:                               ;   in Loop: Header=BB325_12 Depth=1
	v_bfe_u32 v63, v62, 16, 7
	v_mov_b32_e32 v61, 0x7f800001
	s_mov_b32 s43, exec_lo
	v_cmpx_ne_u32_e32 0x7f, v63
	s_cbranch_execz .LBB325_71
; %bb.68:                               ;   in Loop: Header=BB325_12 Depth=1
	v_and_b32_sdwa v25, v62, v48 dst_sel:DWORD dst_unused:UNUSED_PAD src0_sel:WORD_1 src1_sel:DWORD
	v_lshrrev_b32_e32 v61, 3, v63
	s_mov_b32 s44, exec_lo
	v_cmpx_gt_u32_e32 8, v63
; %bb.69:                               ;   in Loop: Header=BB325_12 Depth=1
	v_ffbh_u32_e32 v61, v25
	v_min_u32_e32 v61, 32, v61
	v_subrev_nc_u32_e32 v63, 28, v61
	v_sub_nc_u32_e32 v61, 29, v61
	v_lshlrev_b64 v[63:64], v63, v[25:26]
	v_and_b32_e32 v25, 7, v63
; %bb.70:                               ;   in Loop: Header=BB325_12 Depth=1
	s_or_b32 exec_lo, exec_lo, s44
	v_lshlrev_b32_sdwa v63, v49, v62 dst_sel:DWORD dst_unused:UNUSED_PAD src0_sel:DWORD src1_sel:WORD_1
	v_lshlrev_b32_e32 v25, 20, v25
	v_lshl_add_u32 v61, v61, 23, 0x3c000000
	v_and_b32_e32 v63, 0x80000000, v63
	v_or3_b32 v61, v25, v63, v61
.LBB325_71:                             ;   in Loop: Header=BB325_12 Depth=1
	s_or_b32 exec_lo, exec_lo, s43
.LBB325_72:                             ;   in Loop: Header=BB325_12 Depth=1
	s_or_b32 exec_lo, exec_lo, s42
.LBB325_73:                             ;   in Loop: Header=BB325_12 Depth=1
	s_or_b32 exec_lo, exec_lo, s41
	s_mov_b32 s41, exec_lo
	v_cmpx_lt_u32_e32 0xffffff, v62
	s_cbranch_execz .LBB325_81
; %bb.74:                               ;   in Loop: Header=BB325_12 Depth=1
	v_cmp_ne_u32_sdwa s2, v62, v45 src0_sel:BYTE_3 src1_sel:DWORD
	v_bfrev_b32_e32 v60, 1
	s_and_saveexec_b32 s42, s2
	s_cbranch_execz .LBB325_80
; %bb.75:                               ;   in Loop: Header=BB325_12 Depth=1
	v_bfe_u32 v63, v62, 24, 7
	v_mov_b32_e32 v60, 0x7f800001
	s_mov_b32 s43, exec_lo
	v_cmpx_ne_u32_e32 0x7f, v63
	s_cbranch_execz .LBB325_79
; %bb.76:                               ;   in Loop: Header=BB325_12 Depth=1
	v_and_b32_sdwa v25, v62, v48 dst_sel:DWORD dst_unused:UNUSED_PAD src0_sel:BYTE_3 src1_sel:DWORD
	v_lshrrev_b32_e32 v60, 3, v63
	s_mov_b32 s44, exec_lo
	v_cmpx_gt_u32_e32 8, v63
; %bb.77:                               ;   in Loop: Header=BB325_12 Depth=1
	v_ffbh_u32_e32 v60, v25
	v_min_u32_e32 v60, 32, v60
	v_subrev_nc_u32_e32 v63, 28, v60
	v_sub_nc_u32_e32 v60, 29, v60
	v_lshlrev_b64 v[63:64], v63, v[25:26]
	v_and_b32_e32 v25, 7, v63
; %bb.78:                               ;   in Loop: Header=BB325_12 Depth=1
	s_or_b32 exec_lo, exec_lo, s44
	v_lshlrev_b32_sdwa v62, v49, v62 dst_sel:DWORD dst_unused:UNUSED_PAD src0_sel:DWORD src1_sel:BYTE_3
	v_lshlrev_b32_e32 v25, 20, v25
	v_lshl_add_u32 v60, v60, 23, 0x3c000000
	v_and_b32_e32 v62, 0x80000000, v62
	v_or3_b32 v60, v25, v62, v60
.LBB325_79:                             ;   in Loop: Header=BB325_12 Depth=1
	s_or_b32 exec_lo, exec_lo, s43
.LBB325_80:                             ;   in Loop: Header=BB325_12 Depth=1
	s_or_b32 exec_lo, exec_lo, s42
.LBB325_81:                             ;   in Loop: Header=BB325_12 Depth=1
	s_or_b32 exec_lo, exec_lo, s41
	global_load_dword v66, v[31:32], off offset:256
	v_mov_b32_e32 v63, 0
	v_mov_b32_e32 v62, 0
	s_waitcnt vmcnt(0)
	v_cmp_ne_u16_sdwa s2, v66, v26 src0_sel:BYTE_0 src1_sel:DWORD
	s_and_saveexec_b32 s41, s2
	s_cbranch_execz .LBB325_89
; %bb.82:                               ;   in Loop: Header=BB325_12 Depth=1
	v_cmp_ne_u16_sdwa s2, v66, v45 src0_sel:BYTE_0 src1_sel:DWORD
	v_bfrev_b32_e32 v62, 1
	s_and_saveexec_b32 s42, s2
	s_cbranch_execz .LBB325_88
; %bb.83:                               ;   in Loop: Header=BB325_12 Depth=1
	v_and_b32_e32 v64, 0x7f, v66
	v_mov_b32_e32 v62, 0x7f800001
	s_mov_b32 s43, exec_lo
	v_cmpx_ne_u32_e32 0x7f, v64
	s_cbranch_execz .LBB325_87
; %bb.84:                               ;   in Loop: Header=BB325_12 Depth=1
	v_and_b32_e32 v25, 7, v66
	v_lshrrev_b32_e32 v62, 3, v64
	s_mov_b32 s44, exec_lo
	v_cmpx_gt_u32_e32 8, v64
; %bb.85:                               ;   in Loop: Header=BB325_12 Depth=1
	v_ffbh_u32_e32 v62, v25
	v_min_u32_e32 v62, 32, v62
	v_subrev_nc_u32_e32 v64, 28, v62
	v_sub_nc_u32_e32 v62, 29, v62
	v_lshlrev_b64 v[64:65], v64, v[25:26]
	v_and_b32_e32 v25, 7, v64
; %bb.86:                               ;   in Loop: Header=BB325_12 Depth=1
	s_or_b32 exec_lo, exec_lo, s44
	v_lshlrev_b32_e32 v64, 24, v66
	v_lshlrev_b32_e32 v25, 20, v25
	v_lshl_add_u32 v62, v62, 23, 0x3c000000
	v_and_b32_e32 v64, 0x80000000, v64
	v_or3_b32 v62, v25, v64, v62
.LBB325_87:                             ;   in Loop: Header=BB325_12 Depth=1
	s_or_b32 exec_lo, exec_lo, s43
.LBB325_88:                             ;   in Loop: Header=BB325_12 Depth=1
	s_or_b32 exec_lo, exec_lo, s42
.LBB325_89:                             ;   in Loop: Header=BB325_12 Depth=1
	s_or_b32 exec_lo, exec_lo, s41
	v_cmp_ne_u16_sdwa s2, v66, v26 src0_sel:BYTE_1 src1_sel:DWORD
	s_and_saveexec_b32 s41, s2
	s_cbranch_execz .LBB325_97
; %bb.90:                               ;   in Loop: Header=BB325_12 Depth=1
	v_cmp_ne_u16_sdwa s2, v66, v45 src0_sel:BYTE_1 src1_sel:DWORD
	v_bfrev_b32_e32 v63, 1
	s_and_saveexec_b32 s42, s2
	s_cbranch_execz .LBB325_96
; %bb.91:                               ;   in Loop: Header=BB325_12 Depth=1
	v_and_b32_sdwa v25, v46, v66 dst_sel:DWORD dst_unused:UNUSED_PAD src0_sel:DWORD src1_sel:BYTE_1
	v_mov_b32_e32 v63, 0x7f800001
	s_mov_b32 s43, exec_lo
	v_and_b32_e32 v64, 0x7f, v25
	v_cmpx_ne_u32_e32 0x7f, v64
	s_cbranch_execz .LBB325_95
; %bb.92:                               ;   in Loop: Header=BB325_12 Depth=1
	v_and_b32_e32 v25, 7, v25
	v_lshrrev_b32_e32 v63, 3, v64
	s_mov_b32 s44, exec_lo
	v_cmpx_gt_u32_e32 8, v64
; %bb.93:                               ;   in Loop: Header=BB325_12 Depth=1
	v_ffbh_u32_e32 v63, v25
	v_min_u32_e32 v63, 32, v63
	v_subrev_nc_u32_e32 v64, 28, v63
	v_sub_nc_u32_e32 v63, 29, v63
	v_lshlrev_b64 v[64:65], v64, v[25:26]
	v_and_b32_e32 v25, 7, v64
; %bb.94:                               ;   in Loop: Header=BB325_12 Depth=1
	s_or_b32 exec_lo, exec_lo, s44
	v_lshlrev_b32_e32 v64, 16, v66
	v_lshlrev_b32_e32 v25, 20, v25
	v_lshl_add_u32 v63, v63, 23, 0x3c000000
	v_and_b32_e32 v64, 0x80000000, v64
	v_or3_b32 v63, v25, v64, v63
.LBB325_95:                             ;   in Loop: Header=BB325_12 Depth=1
	s_or_b32 exec_lo, exec_lo, s43
.LBB325_96:                             ;   in Loop: Header=BB325_12 Depth=1
	s_or_b32 exec_lo, exec_lo, s42
.LBB325_97:                             ;   in Loop: Header=BB325_12 Depth=1
	s_or_b32 exec_lo, exec_lo, s41
	v_and_b32_sdwa v25, v66, v47 dst_sel:DWORD dst_unused:UNUSED_PAD src0_sel:WORD_1 src1_sel:DWORD
	v_mov_b32_e32 v64, 0
	v_mov_b32_e32 v65, 0
	s_mov_b32 s41, exec_lo
	v_cmpx_ne_u16_e32 0, v25
	s_cbranch_execz .LBB325_105
; %bb.98:                               ;   in Loop: Header=BB325_12 Depth=1
	v_bfrev_b32_e32 v65, 1
	s_mov_b32 s42, exec_lo
	v_cmpx_ne_u16_e32 0x80, v25
	s_cbranch_execz .LBB325_104
; %bb.99:                               ;   in Loop: Header=BB325_12 Depth=1
	v_bfe_u32 v67, v66, 16, 7
	v_mov_b32_e32 v65, 0x7f800001
	s_mov_b32 s43, exec_lo
	v_cmpx_ne_u32_e32 0x7f, v67
	s_cbranch_execz .LBB325_103
; %bb.100:                              ;   in Loop: Header=BB325_12 Depth=1
	v_and_b32_sdwa v25, v66, v48 dst_sel:DWORD dst_unused:UNUSED_PAD src0_sel:WORD_1 src1_sel:DWORD
	v_lshrrev_b32_e32 v65, 3, v67
	s_mov_b32 s44, exec_lo
	v_cmpx_gt_u32_e32 8, v67
; %bb.101:                              ;   in Loop: Header=BB325_12 Depth=1
	v_ffbh_u32_e32 v65, v25
	v_min_u32_e32 v65, 32, v65
	v_subrev_nc_u32_e32 v67, 28, v65
	v_sub_nc_u32_e32 v65, 29, v65
	v_lshlrev_b64 v[67:68], v67, v[25:26]
	v_and_b32_e32 v25, 7, v67
; %bb.102:                              ;   in Loop: Header=BB325_12 Depth=1
	s_or_b32 exec_lo, exec_lo, s44
	v_lshlrev_b32_sdwa v67, v49, v66 dst_sel:DWORD dst_unused:UNUSED_PAD src0_sel:DWORD src1_sel:WORD_1
	v_lshlrev_b32_e32 v25, 20, v25
	v_lshl_add_u32 v65, v65, 23, 0x3c000000
	v_and_b32_e32 v67, 0x80000000, v67
	v_or3_b32 v65, v25, v67, v65
.LBB325_103:                            ;   in Loop: Header=BB325_12 Depth=1
	s_or_b32 exec_lo, exec_lo, s43
.LBB325_104:                            ;   in Loop: Header=BB325_12 Depth=1
	s_or_b32 exec_lo, exec_lo, s42
.LBB325_105:                            ;   in Loop: Header=BB325_12 Depth=1
	s_or_b32 exec_lo, exec_lo, s41
	s_mov_b32 s41, exec_lo
	v_cmpx_lt_u32_e32 0xffffff, v66
	s_cbranch_execz .LBB325_113
; %bb.106:                              ;   in Loop: Header=BB325_12 Depth=1
	v_cmp_ne_u32_sdwa s2, v66, v45 src0_sel:BYTE_3 src1_sel:DWORD
	v_bfrev_b32_e32 v64, 1
	s_and_saveexec_b32 s42, s2
	s_cbranch_execz .LBB325_112
; %bb.107:                              ;   in Loop: Header=BB325_12 Depth=1
	v_bfe_u32 v67, v66, 24, 7
	v_mov_b32_e32 v64, 0x7f800001
	s_mov_b32 s43, exec_lo
	v_cmpx_ne_u32_e32 0x7f, v67
	s_cbranch_execz .LBB325_111
; %bb.108:                              ;   in Loop: Header=BB325_12 Depth=1
	v_and_b32_sdwa v25, v66, v48 dst_sel:DWORD dst_unused:UNUSED_PAD src0_sel:BYTE_3 src1_sel:DWORD
	v_lshrrev_b32_e32 v64, 3, v67
	s_mov_b32 s44, exec_lo
	v_cmpx_gt_u32_e32 8, v67
; %bb.109:                              ;   in Loop: Header=BB325_12 Depth=1
	v_ffbh_u32_e32 v64, v25
	v_min_u32_e32 v64, 32, v64
	v_subrev_nc_u32_e32 v67, 28, v64
	v_sub_nc_u32_e32 v64, 29, v64
	v_lshlrev_b64 v[67:68], v67, v[25:26]
	v_and_b32_e32 v25, 7, v67
; %bb.110:                              ;   in Loop: Header=BB325_12 Depth=1
	s_or_b32 exec_lo, exec_lo, s44
	v_lshlrev_b32_sdwa v66, v49, v66 dst_sel:DWORD dst_unused:UNUSED_PAD src0_sel:DWORD src1_sel:BYTE_3
	v_lshlrev_b32_e32 v25, 20, v25
	v_lshl_add_u32 v64, v64, 23, 0x3c000000
	v_and_b32_e32 v66, 0x80000000, v66
	v_or3_b32 v64, v25, v66, v64
.LBB325_111:                            ;   in Loop: Header=BB325_12 Depth=1
	s_or_b32 exec_lo, exec_lo, s43
.LBB325_112:                            ;   in Loop: Header=BB325_12 Depth=1
	s_or_b32 exec_lo, exec_lo, s42
.LBB325_113:                            ;   in Loop: Header=BB325_12 Depth=1
	s_or_b32 exec_lo, exec_lo, s41
	global_load_dword v70, v[31:32], off offset:264
	v_mov_b32_e32 v67, 0
	v_mov_b32_e32 v66, 0
	s_waitcnt vmcnt(0)
	v_cmp_ne_u16_sdwa s2, v70, v26 src0_sel:BYTE_0 src1_sel:DWORD
	s_and_saveexec_b32 s41, s2
	s_cbranch_execz .LBB325_121
; %bb.114:                              ;   in Loop: Header=BB325_12 Depth=1
	v_cmp_ne_u16_sdwa s2, v70, v45 src0_sel:BYTE_0 src1_sel:DWORD
	v_bfrev_b32_e32 v66, 1
	s_and_saveexec_b32 s42, s2
	s_cbranch_execz .LBB325_120
; %bb.115:                              ;   in Loop: Header=BB325_12 Depth=1
	v_and_b32_e32 v68, 0x7f, v70
	v_mov_b32_e32 v66, 0x7f800001
	s_mov_b32 s43, exec_lo
	v_cmpx_ne_u32_e32 0x7f, v68
	s_cbranch_execz .LBB325_119
; %bb.116:                              ;   in Loop: Header=BB325_12 Depth=1
	v_and_b32_e32 v25, 7, v70
	v_lshrrev_b32_e32 v66, 3, v68
	s_mov_b32 s44, exec_lo
	v_cmpx_gt_u32_e32 8, v68
; %bb.117:                              ;   in Loop: Header=BB325_12 Depth=1
	v_ffbh_u32_e32 v66, v25
	v_min_u32_e32 v66, 32, v66
	v_subrev_nc_u32_e32 v68, 28, v66
	v_sub_nc_u32_e32 v66, 29, v66
	v_lshlrev_b64 v[68:69], v68, v[25:26]
	v_and_b32_e32 v25, 7, v68
; %bb.118:                              ;   in Loop: Header=BB325_12 Depth=1
	s_or_b32 exec_lo, exec_lo, s44
	v_lshlrev_b32_e32 v68, 24, v70
	v_lshlrev_b32_e32 v25, 20, v25
	v_lshl_add_u32 v66, v66, 23, 0x3c000000
	v_and_b32_e32 v68, 0x80000000, v68
	v_or3_b32 v66, v25, v68, v66
.LBB325_119:                            ;   in Loop: Header=BB325_12 Depth=1
	s_or_b32 exec_lo, exec_lo, s43
.LBB325_120:                            ;   in Loop: Header=BB325_12 Depth=1
	s_or_b32 exec_lo, exec_lo, s42
.LBB325_121:                            ;   in Loop: Header=BB325_12 Depth=1
	s_or_b32 exec_lo, exec_lo, s41
	v_cmp_ne_u16_sdwa s2, v70, v26 src0_sel:BYTE_1 src1_sel:DWORD
	s_and_saveexec_b32 s41, s2
	s_cbranch_execz .LBB325_129
; %bb.122:                              ;   in Loop: Header=BB325_12 Depth=1
	v_cmp_ne_u16_sdwa s2, v70, v45 src0_sel:BYTE_1 src1_sel:DWORD
	v_bfrev_b32_e32 v67, 1
	s_and_saveexec_b32 s42, s2
	s_cbranch_execz .LBB325_128
; %bb.123:                              ;   in Loop: Header=BB325_12 Depth=1
	v_and_b32_sdwa v25, v46, v70 dst_sel:DWORD dst_unused:UNUSED_PAD src0_sel:DWORD src1_sel:BYTE_1
	v_mov_b32_e32 v67, 0x7f800001
	s_mov_b32 s43, exec_lo
	v_and_b32_e32 v68, 0x7f, v25
	v_cmpx_ne_u32_e32 0x7f, v68
	s_cbranch_execz .LBB325_127
; %bb.124:                              ;   in Loop: Header=BB325_12 Depth=1
	v_and_b32_e32 v25, 7, v25
	v_lshrrev_b32_e32 v67, 3, v68
	s_mov_b32 s44, exec_lo
	v_cmpx_gt_u32_e32 8, v68
; %bb.125:                              ;   in Loop: Header=BB325_12 Depth=1
	v_ffbh_u32_e32 v67, v25
	v_min_u32_e32 v67, 32, v67
	v_subrev_nc_u32_e32 v68, 28, v67
	v_sub_nc_u32_e32 v67, 29, v67
	v_lshlrev_b64 v[68:69], v68, v[25:26]
	v_and_b32_e32 v25, 7, v68
; %bb.126:                              ;   in Loop: Header=BB325_12 Depth=1
	s_or_b32 exec_lo, exec_lo, s44
	v_lshlrev_b32_e32 v68, 16, v70
	v_lshlrev_b32_e32 v25, 20, v25
	v_lshl_add_u32 v67, v67, 23, 0x3c000000
	v_and_b32_e32 v68, 0x80000000, v68
	v_or3_b32 v67, v25, v68, v67
.LBB325_127:                            ;   in Loop: Header=BB325_12 Depth=1
	s_or_b32 exec_lo, exec_lo, s43
.LBB325_128:                            ;   in Loop: Header=BB325_12 Depth=1
	s_or_b32 exec_lo, exec_lo, s42
.LBB325_129:                            ;   in Loop: Header=BB325_12 Depth=1
	s_or_b32 exec_lo, exec_lo, s41
	v_and_b32_sdwa v25, v70, v47 dst_sel:DWORD dst_unused:UNUSED_PAD src0_sel:WORD_1 src1_sel:DWORD
	v_mov_b32_e32 v68, 0
	v_mov_b32_e32 v69, 0
	s_mov_b32 s41, exec_lo
	v_cmpx_ne_u16_e32 0, v25
	s_cbranch_execz .LBB325_137
; %bb.130:                              ;   in Loop: Header=BB325_12 Depth=1
	v_bfrev_b32_e32 v69, 1
	s_mov_b32 s42, exec_lo
	v_cmpx_ne_u16_e32 0x80, v25
	s_cbranch_execz .LBB325_136
; %bb.131:                              ;   in Loop: Header=BB325_12 Depth=1
	v_bfe_u32 v71, v70, 16, 7
	v_mov_b32_e32 v69, 0x7f800001
	s_mov_b32 s43, exec_lo
	v_cmpx_ne_u32_e32 0x7f, v71
	s_cbranch_execz .LBB325_135
; %bb.132:                              ;   in Loop: Header=BB325_12 Depth=1
	v_and_b32_sdwa v25, v70, v48 dst_sel:DWORD dst_unused:UNUSED_PAD src0_sel:WORD_1 src1_sel:DWORD
	v_lshrrev_b32_e32 v69, 3, v71
	s_mov_b32 s44, exec_lo
	v_cmpx_gt_u32_e32 8, v71
; %bb.133:                              ;   in Loop: Header=BB325_12 Depth=1
	v_ffbh_u32_e32 v69, v25
	v_min_u32_e32 v69, 32, v69
	v_subrev_nc_u32_e32 v71, 28, v69
	v_sub_nc_u32_e32 v69, 29, v69
	v_lshlrev_b64 v[71:72], v71, v[25:26]
	v_and_b32_e32 v25, 7, v71
; %bb.134:                              ;   in Loop: Header=BB325_12 Depth=1
	s_or_b32 exec_lo, exec_lo, s44
	v_lshlrev_b32_sdwa v71, v49, v70 dst_sel:DWORD dst_unused:UNUSED_PAD src0_sel:DWORD src1_sel:WORD_1
	v_lshlrev_b32_e32 v25, 20, v25
	v_lshl_add_u32 v69, v69, 23, 0x3c000000
	v_and_b32_e32 v71, 0x80000000, v71
	v_or3_b32 v69, v25, v71, v69
.LBB325_135:                            ;   in Loop: Header=BB325_12 Depth=1
	s_or_b32 exec_lo, exec_lo, s43
.LBB325_136:                            ;   in Loop: Header=BB325_12 Depth=1
	s_or_b32 exec_lo, exec_lo, s42
.LBB325_137:                            ;   in Loop: Header=BB325_12 Depth=1
	s_or_b32 exec_lo, exec_lo, s41
	s_mov_b32 s41, exec_lo
	v_cmpx_lt_u32_e32 0xffffff, v70
	s_cbranch_execz .LBB325_145
; %bb.138:                              ;   in Loop: Header=BB325_12 Depth=1
	v_cmp_ne_u32_sdwa s2, v70, v45 src0_sel:BYTE_3 src1_sel:DWORD
	v_bfrev_b32_e32 v68, 1
	s_and_saveexec_b32 s42, s2
	s_cbranch_execz .LBB325_144
; %bb.139:                              ;   in Loop: Header=BB325_12 Depth=1
	v_bfe_u32 v71, v70, 24, 7
	v_mov_b32_e32 v68, 0x7f800001
	s_mov_b32 s43, exec_lo
	v_cmpx_ne_u32_e32 0x7f, v71
	s_cbranch_execz .LBB325_143
; %bb.140:                              ;   in Loop: Header=BB325_12 Depth=1
	v_and_b32_sdwa v25, v70, v48 dst_sel:DWORD dst_unused:UNUSED_PAD src0_sel:BYTE_3 src1_sel:DWORD
	v_lshrrev_b32_e32 v68, 3, v71
	s_mov_b32 s44, exec_lo
	v_cmpx_gt_u32_e32 8, v71
; %bb.141:                              ;   in Loop: Header=BB325_12 Depth=1
	v_ffbh_u32_e32 v68, v25
	v_min_u32_e32 v68, 32, v68
	v_subrev_nc_u32_e32 v71, 28, v68
	v_sub_nc_u32_e32 v68, 29, v68
	v_lshlrev_b64 v[71:72], v71, v[25:26]
	v_and_b32_e32 v25, 7, v71
; %bb.142:                              ;   in Loop: Header=BB325_12 Depth=1
	s_or_b32 exec_lo, exec_lo, s44
	v_lshlrev_b32_sdwa v70, v49, v70 dst_sel:DWORD dst_unused:UNUSED_PAD src0_sel:DWORD src1_sel:BYTE_3
	v_lshlrev_b32_e32 v25, 20, v25
	v_lshl_add_u32 v68, v68, 23, 0x3c000000
	v_and_b32_e32 v70, 0x80000000, v70
	v_or3_b32 v68, v25, v70, v68
.LBB325_143:                            ;   in Loop: Header=BB325_12 Depth=1
	s_or_b32 exec_lo, exec_lo, s43
.LBB325_144:                            ;   in Loop: Header=BB325_12 Depth=1
	s_or_b32 exec_lo, exec_lo, s42
.LBB325_145:                            ;   in Loop: Header=BB325_12 Depth=1
	s_or_b32 exec_lo, exec_lo, s41
	global_load_dword v74, v[31:32], off offset:512
	v_mov_b32_e32 v71, 0
	v_mov_b32_e32 v70, 0
	s_waitcnt vmcnt(0)
	v_cmp_ne_u16_sdwa s2, v74, v26 src0_sel:BYTE_0 src1_sel:DWORD
	s_and_saveexec_b32 s41, s2
	s_cbranch_execz .LBB325_153
; %bb.146:                              ;   in Loop: Header=BB325_12 Depth=1
	v_cmp_ne_u16_sdwa s2, v74, v45 src0_sel:BYTE_0 src1_sel:DWORD
	v_bfrev_b32_e32 v70, 1
	s_and_saveexec_b32 s42, s2
	s_cbranch_execz .LBB325_152
; %bb.147:                              ;   in Loop: Header=BB325_12 Depth=1
	v_and_b32_e32 v72, 0x7f, v74
	v_mov_b32_e32 v70, 0x7f800001
	s_mov_b32 s43, exec_lo
	v_cmpx_ne_u32_e32 0x7f, v72
	s_cbranch_execz .LBB325_151
; %bb.148:                              ;   in Loop: Header=BB325_12 Depth=1
	v_and_b32_e32 v25, 7, v74
	v_lshrrev_b32_e32 v70, 3, v72
	s_mov_b32 s44, exec_lo
	v_cmpx_gt_u32_e32 8, v72
; %bb.149:                              ;   in Loop: Header=BB325_12 Depth=1
	v_ffbh_u32_e32 v70, v25
	v_min_u32_e32 v70, 32, v70
	v_subrev_nc_u32_e32 v72, 28, v70
	v_sub_nc_u32_e32 v70, 29, v70
	v_lshlrev_b64 v[72:73], v72, v[25:26]
	v_and_b32_e32 v25, 7, v72
; %bb.150:                              ;   in Loop: Header=BB325_12 Depth=1
	s_or_b32 exec_lo, exec_lo, s44
	v_lshlrev_b32_e32 v72, 24, v74
	v_lshlrev_b32_e32 v25, 20, v25
	v_lshl_add_u32 v70, v70, 23, 0x3c000000
	v_and_b32_e32 v72, 0x80000000, v72
	v_or3_b32 v70, v25, v72, v70
.LBB325_151:                            ;   in Loop: Header=BB325_12 Depth=1
	s_or_b32 exec_lo, exec_lo, s43
.LBB325_152:                            ;   in Loop: Header=BB325_12 Depth=1
	s_or_b32 exec_lo, exec_lo, s42
.LBB325_153:                            ;   in Loop: Header=BB325_12 Depth=1
	s_or_b32 exec_lo, exec_lo, s41
	v_cmp_ne_u16_sdwa s2, v74, v26 src0_sel:BYTE_1 src1_sel:DWORD
	s_and_saveexec_b32 s41, s2
	s_cbranch_execz .LBB325_161
; %bb.154:                              ;   in Loop: Header=BB325_12 Depth=1
	v_cmp_ne_u16_sdwa s2, v74, v45 src0_sel:BYTE_1 src1_sel:DWORD
	v_bfrev_b32_e32 v71, 1
	s_and_saveexec_b32 s42, s2
	s_cbranch_execz .LBB325_160
; %bb.155:                              ;   in Loop: Header=BB325_12 Depth=1
	v_and_b32_sdwa v25, v46, v74 dst_sel:DWORD dst_unused:UNUSED_PAD src0_sel:DWORD src1_sel:BYTE_1
	v_mov_b32_e32 v71, 0x7f800001
	s_mov_b32 s43, exec_lo
	v_and_b32_e32 v72, 0x7f, v25
	v_cmpx_ne_u32_e32 0x7f, v72
	s_cbranch_execz .LBB325_159
; %bb.156:                              ;   in Loop: Header=BB325_12 Depth=1
	v_and_b32_e32 v25, 7, v25
	v_lshrrev_b32_e32 v71, 3, v72
	s_mov_b32 s44, exec_lo
	v_cmpx_gt_u32_e32 8, v72
; %bb.157:                              ;   in Loop: Header=BB325_12 Depth=1
	v_ffbh_u32_e32 v71, v25
	v_min_u32_e32 v71, 32, v71
	v_subrev_nc_u32_e32 v72, 28, v71
	v_sub_nc_u32_e32 v71, 29, v71
	v_lshlrev_b64 v[72:73], v72, v[25:26]
	v_and_b32_e32 v25, 7, v72
; %bb.158:                              ;   in Loop: Header=BB325_12 Depth=1
	s_or_b32 exec_lo, exec_lo, s44
	v_lshlrev_b32_e32 v72, 16, v74
	v_lshlrev_b32_e32 v25, 20, v25
	v_lshl_add_u32 v71, v71, 23, 0x3c000000
	v_and_b32_e32 v72, 0x80000000, v72
	v_or3_b32 v71, v25, v72, v71
.LBB325_159:                            ;   in Loop: Header=BB325_12 Depth=1
	s_or_b32 exec_lo, exec_lo, s43
.LBB325_160:                            ;   in Loop: Header=BB325_12 Depth=1
	s_or_b32 exec_lo, exec_lo, s42
.LBB325_161:                            ;   in Loop: Header=BB325_12 Depth=1
	s_or_b32 exec_lo, exec_lo, s41
	v_and_b32_sdwa v25, v74, v47 dst_sel:DWORD dst_unused:UNUSED_PAD src0_sel:WORD_1 src1_sel:DWORD
	v_mov_b32_e32 v72, 0
	v_mov_b32_e32 v73, 0
	s_mov_b32 s41, exec_lo
	v_cmpx_ne_u16_e32 0, v25
	s_cbranch_execz .LBB325_169
; %bb.162:                              ;   in Loop: Header=BB325_12 Depth=1
	v_bfrev_b32_e32 v73, 1
	s_mov_b32 s42, exec_lo
	v_cmpx_ne_u16_e32 0x80, v25
	s_cbranch_execz .LBB325_168
; %bb.163:                              ;   in Loop: Header=BB325_12 Depth=1
	v_bfe_u32 v75, v74, 16, 7
	v_mov_b32_e32 v73, 0x7f800001
	s_mov_b32 s43, exec_lo
	v_cmpx_ne_u32_e32 0x7f, v75
	s_cbranch_execz .LBB325_167
; %bb.164:                              ;   in Loop: Header=BB325_12 Depth=1
	v_and_b32_sdwa v25, v74, v48 dst_sel:DWORD dst_unused:UNUSED_PAD src0_sel:WORD_1 src1_sel:DWORD
	v_lshrrev_b32_e32 v73, 3, v75
	s_mov_b32 s44, exec_lo
	v_cmpx_gt_u32_e32 8, v75
; %bb.165:                              ;   in Loop: Header=BB325_12 Depth=1
	v_ffbh_u32_e32 v73, v25
	v_min_u32_e32 v73, 32, v73
	v_subrev_nc_u32_e32 v75, 28, v73
	v_sub_nc_u32_e32 v73, 29, v73
	v_lshlrev_b64 v[75:76], v75, v[25:26]
	v_and_b32_e32 v25, 7, v75
; %bb.166:                              ;   in Loop: Header=BB325_12 Depth=1
	s_or_b32 exec_lo, exec_lo, s44
	v_lshlrev_b32_sdwa v75, v49, v74 dst_sel:DWORD dst_unused:UNUSED_PAD src0_sel:DWORD src1_sel:WORD_1
	v_lshlrev_b32_e32 v25, 20, v25
	v_lshl_add_u32 v73, v73, 23, 0x3c000000
	v_and_b32_e32 v75, 0x80000000, v75
	v_or3_b32 v73, v25, v75, v73
.LBB325_167:                            ;   in Loop: Header=BB325_12 Depth=1
	s_or_b32 exec_lo, exec_lo, s43
.LBB325_168:                            ;   in Loop: Header=BB325_12 Depth=1
	s_or_b32 exec_lo, exec_lo, s42
.LBB325_169:                            ;   in Loop: Header=BB325_12 Depth=1
	s_or_b32 exec_lo, exec_lo, s41
	s_mov_b32 s41, exec_lo
	v_cmpx_lt_u32_e32 0xffffff, v74
	s_cbranch_execz .LBB325_177
; %bb.170:                              ;   in Loop: Header=BB325_12 Depth=1
	v_cmp_ne_u32_sdwa s2, v74, v45 src0_sel:BYTE_3 src1_sel:DWORD
	v_bfrev_b32_e32 v72, 1
	s_and_saveexec_b32 s42, s2
	s_cbranch_execz .LBB325_176
; %bb.171:                              ;   in Loop: Header=BB325_12 Depth=1
	v_bfe_u32 v75, v74, 24, 7
	v_mov_b32_e32 v72, 0x7f800001
	s_mov_b32 s43, exec_lo
	v_cmpx_ne_u32_e32 0x7f, v75
	s_cbranch_execz .LBB325_175
; %bb.172:                              ;   in Loop: Header=BB325_12 Depth=1
	v_and_b32_sdwa v25, v74, v48 dst_sel:DWORD dst_unused:UNUSED_PAD src0_sel:BYTE_3 src1_sel:DWORD
	v_lshrrev_b32_e32 v72, 3, v75
	s_mov_b32 s44, exec_lo
	v_cmpx_gt_u32_e32 8, v75
; %bb.173:                              ;   in Loop: Header=BB325_12 Depth=1
	v_ffbh_u32_e32 v72, v25
	v_min_u32_e32 v72, 32, v72
	v_subrev_nc_u32_e32 v75, 28, v72
	v_sub_nc_u32_e32 v72, 29, v72
	v_lshlrev_b64 v[75:76], v75, v[25:26]
	v_and_b32_e32 v25, 7, v75
; %bb.174:                              ;   in Loop: Header=BB325_12 Depth=1
	s_or_b32 exec_lo, exec_lo, s44
	v_lshlrev_b32_sdwa v74, v49, v74 dst_sel:DWORD dst_unused:UNUSED_PAD src0_sel:DWORD src1_sel:BYTE_3
	v_lshlrev_b32_e32 v25, 20, v25
	v_lshl_add_u32 v72, v72, 23, 0x3c000000
	v_and_b32_e32 v74, 0x80000000, v74
	v_or3_b32 v72, v25, v74, v72
.LBB325_175:                            ;   in Loop: Header=BB325_12 Depth=1
	s_or_b32 exec_lo, exec_lo, s43
.LBB325_176:                            ;   in Loop: Header=BB325_12 Depth=1
	s_or_b32 exec_lo, exec_lo, s42
.LBB325_177:                            ;   in Loop: Header=BB325_12 Depth=1
	s_or_b32 exec_lo, exec_lo, s41
	global_load_dword v78, v[31:32], off offset:520
	v_mov_b32_e32 v75, 0
	v_mov_b32_e32 v74, 0
	s_waitcnt vmcnt(0)
	v_cmp_ne_u16_sdwa s2, v78, v26 src0_sel:BYTE_0 src1_sel:DWORD
	s_and_saveexec_b32 s41, s2
	s_cbranch_execz .LBB325_185
; %bb.178:                              ;   in Loop: Header=BB325_12 Depth=1
	v_cmp_ne_u16_sdwa s2, v78, v45 src0_sel:BYTE_0 src1_sel:DWORD
	v_bfrev_b32_e32 v74, 1
	s_and_saveexec_b32 s42, s2
	s_cbranch_execz .LBB325_184
; %bb.179:                              ;   in Loop: Header=BB325_12 Depth=1
	v_and_b32_e32 v76, 0x7f, v78
	v_mov_b32_e32 v74, 0x7f800001
	s_mov_b32 s43, exec_lo
	v_cmpx_ne_u32_e32 0x7f, v76
	s_cbranch_execz .LBB325_183
; %bb.180:                              ;   in Loop: Header=BB325_12 Depth=1
	v_and_b32_e32 v25, 7, v78
	v_lshrrev_b32_e32 v74, 3, v76
	s_mov_b32 s44, exec_lo
	v_cmpx_gt_u32_e32 8, v76
; %bb.181:                              ;   in Loop: Header=BB325_12 Depth=1
	v_ffbh_u32_e32 v74, v25
	v_min_u32_e32 v74, 32, v74
	v_subrev_nc_u32_e32 v76, 28, v74
	v_sub_nc_u32_e32 v74, 29, v74
	v_lshlrev_b64 v[76:77], v76, v[25:26]
	v_and_b32_e32 v25, 7, v76
; %bb.182:                              ;   in Loop: Header=BB325_12 Depth=1
	s_or_b32 exec_lo, exec_lo, s44
	v_lshlrev_b32_e32 v76, 24, v78
	v_lshlrev_b32_e32 v25, 20, v25
	v_lshl_add_u32 v74, v74, 23, 0x3c000000
	v_and_b32_e32 v76, 0x80000000, v76
	v_or3_b32 v74, v25, v76, v74
.LBB325_183:                            ;   in Loop: Header=BB325_12 Depth=1
	s_or_b32 exec_lo, exec_lo, s43
.LBB325_184:                            ;   in Loop: Header=BB325_12 Depth=1
	s_or_b32 exec_lo, exec_lo, s42
.LBB325_185:                            ;   in Loop: Header=BB325_12 Depth=1
	s_or_b32 exec_lo, exec_lo, s41
	v_cmp_ne_u16_sdwa s2, v78, v26 src0_sel:BYTE_1 src1_sel:DWORD
	s_and_saveexec_b32 s41, s2
	s_cbranch_execz .LBB325_193
; %bb.186:                              ;   in Loop: Header=BB325_12 Depth=1
	v_cmp_ne_u16_sdwa s2, v78, v45 src0_sel:BYTE_1 src1_sel:DWORD
	v_bfrev_b32_e32 v75, 1
	s_and_saveexec_b32 s42, s2
	s_cbranch_execz .LBB325_192
; %bb.187:                              ;   in Loop: Header=BB325_12 Depth=1
	v_and_b32_sdwa v25, v46, v78 dst_sel:DWORD dst_unused:UNUSED_PAD src0_sel:DWORD src1_sel:BYTE_1
	v_mov_b32_e32 v75, 0x7f800001
	s_mov_b32 s43, exec_lo
	v_and_b32_e32 v76, 0x7f, v25
	v_cmpx_ne_u32_e32 0x7f, v76
	s_cbranch_execz .LBB325_191
; %bb.188:                              ;   in Loop: Header=BB325_12 Depth=1
	v_and_b32_e32 v25, 7, v25
	v_lshrrev_b32_e32 v75, 3, v76
	s_mov_b32 s44, exec_lo
	v_cmpx_gt_u32_e32 8, v76
; %bb.189:                              ;   in Loop: Header=BB325_12 Depth=1
	v_ffbh_u32_e32 v75, v25
	v_min_u32_e32 v75, 32, v75
	v_subrev_nc_u32_e32 v76, 28, v75
	v_sub_nc_u32_e32 v75, 29, v75
	v_lshlrev_b64 v[76:77], v76, v[25:26]
	v_and_b32_e32 v25, 7, v76
; %bb.190:                              ;   in Loop: Header=BB325_12 Depth=1
	s_or_b32 exec_lo, exec_lo, s44
	v_lshlrev_b32_e32 v76, 16, v78
	v_lshlrev_b32_e32 v25, 20, v25
	v_lshl_add_u32 v75, v75, 23, 0x3c000000
	v_and_b32_e32 v76, 0x80000000, v76
	v_or3_b32 v75, v25, v76, v75
.LBB325_191:                            ;   in Loop: Header=BB325_12 Depth=1
	s_or_b32 exec_lo, exec_lo, s43
.LBB325_192:                            ;   in Loop: Header=BB325_12 Depth=1
	s_or_b32 exec_lo, exec_lo, s42
.LBB325_193:                            ;   in Loop: Header=BB325_12 Depth=1
	s_or_b32 exec_lo, exec_lo, s41
	v_and_b32_sdwa v25, v78, v47 dst_sel:DWORD dst_unused:UNUSED_PAD src0_sel:WORD_1 src1_sel:DWORD
	v_mov_b32_e32 v76, 0
	v_mov_b32_e32 v77, 0
	s_mov_b32 s41, exec_lo
	v_cmpx_ne_u16_e32 0, v25
	s_cbranch_execz .LBB325_201
; %bb.194:                              ;   in Loop: Header=BB325_12 Depth=1
	v_bfrev_b32_e32 v77, 1
	s_mov_b32 s42, exec_lo
	v_cmpx_ne_u16_e32 0x80, v25
	s_cbranch_execz .LBB325_200
; %bb.195:                              ;   in Loop: Header=BB325_12 Depth=1
	v_bfe_u32 v79, v78, 16, 7
	v_mov_b32_e32 v77, 0x7f800001
	s_mov_b32 s43, exec_lo
	v_cmpx_ne_u32_e32 0x7f, v79
	s_cbranch_execz .LBB325_199
; %bb.196:                              ;   in Loop: Header=BB325_12 Depth=1
	v_and_b32_sdwa v25, v78, v48 dst_sel:DWORD dst_unused:UNUSED_PAD src0_sel:WORD_1 src1_sel:DWORD
	v_lshrrev_b32_e32 v77, 3, v79
	s_mov_b32 s44, exec_lo
	v_cmpx_gt_u32_e32 8, v79
; %bb.197:                              ;   in Loop: Header=BB325_12 Depth=1
	v_ffbh_u32_e32 v77, v25
	v_min_u32_e32 v77, 32, v77
	v_subrev_nc_u32_e32 v79, 28, v77
	v_sub_nc_u32_e32 v77, 29, v77
	v_lshlrev_b64 v[79:80], v79, v[25:26]
	v_and_b32_e32 v25, 7, v79
; %bb.198:                              ;   in Loop: Header=BB325_12 Depth=1
	s_or_b32 exec_lo, exec_lo, s44
	v_lshlrev_b32_sdwa v79, v49, v78 dst_sel:DWORD dst_unused:UNUSED_PAD src0_sel:DWORD src1_sel:WORD_1
	v_lshlrev_b32_e32 v25, 20, v25
	v_lshl_add_u32 v77, v77, 23, 0x3c000000
	v_and_b32_e32 v79, 0x80000000, v79
	v_or3_b32 v77, v25, v79, v77
.LBB325_199:                            ;   in Loop: Header=BB325_12 Depth=1
	s_or_b32 exec_lo, exec_lo, s43
.LBB325_200:                            ;   in Loop: Header=BB325_12 Depth=1
	s_or_b32 exec_lo, exec_lo, s42
.LBB325_201:                            ;   in Loop: Header=BB325_12 Depth=1
	s_or_b32 exec_lo, exec_lo, s41
	s_mov_b32 s41, exec_lo
	v_cmpx_lt_u32_e32 0xffffff, v78
	s_cbranch_execz .LBB325_209
; %bb.202:                              ;   in Loop: Header=BB325_12 Depth=1
	v_cmp_ne_u32_sdwa s2, v78, v45 src0_sel:BYTE_3 src1_sel:DWORD
	v_bfrev_b32_e32 v76, 1
	s_and_saveexec_b32 s42, s2
	s_cbranch_execz .LBB325_208
; %bb.203:                              ;   in Loop: Header=BB325_12 Depth=1
	v_bfe_u32 v79, v78, 24, 7
	v_mov_b32_e32 v76, 0x7f800001
	s_mov_b32 s43, exec_lo
	v_cmpx_ne_u32_e32 0x7f, v79
	s_cbranch_execz .LBB325_207
; %bb.204:                              ;   in Loop: Header=BB325_12 Depth=1
	v_and_b32_sdwa v25, v78, v48 dst_sel:DWORD dst_unused:UNUSED_PAD src0_sel:BYTE_3 src1_sel:DWORD
	v_lshrrev_b32_e32 v76, 3, v79
	s_mov_b32 s44, exec_lo
	v_cmpx_gt_u32_e32 8, v79
; %bb.205:                              ;   in Loop: Header=BB325_12 Depth=1
	v_ffbh_u32_e32 v76, v25
	v_min_u32_e32 v76, 32, v76
	v_subrev_nc_u32_e32 v79, 28, v76
	v_sub_nc_u32_e32 v76, 29, v76
	v_lshlrev_b64 v[79:80], v79, v[25:26]
	v_and_b32_e32 v25, 7, v79
; %bb.206:                              ;   in Loop: Header=BB325_12 Depth=1
	s_or_b32 exec_lo, exec_lo, s44
	v_lshlrev_b32_sdwa v78, v49, v78 dst_sel:DWORD dst_unused:UNUSED_PAD src0_sel:DWORD src1_sel:BYTE_3
	v_lshlrev_b32_e32 v25, 20, v25
	v_lshl_add_u32 v76, v76, 23, 0x3c000000
	v_and_b32_e32 v78, 0x80000000, v78
	v_or3_b32 v76, v25, v78, v76
.LBB325_207:                            ;   in Loop: Header=BB325_12 Depth=1
	s_or_b32 exec_lo, exec_lo, s43
.LBB325_208:                            ;   in Loop: Header=BB325_12 Depth=1
	s_or_b32 exec_lo, exec_lo, s42
.LBB325_209:                            ;   in Loop: Header=BB325_12 Depth=1
	s_or_b32 exec_lo, exec_lo, s41
	global_load_dword v82, v[31:32], off offset:768
	v_mov_b32_e32 v79, 0
	v_mov_b32_e32 v78, 0
	s_waitcnt vmcnt(0)
	v_cmp_ne_u16_sdwa s2, v82, v26 src0_sel:BYTE_0 src1_sel:DWORD
	s_and_saveexec_b32 s41, s2
	s_cbranch_execz .LBB325_217
; %bb.210:                              ;   in Loop: Header=BB325_12 Depth=1
	v_cmp_ne_u16_sdwa s2, v82, v45 src0_sel:BYTE_0 src1_sel:DWORD
	v_bfrev_b32_e32 v78, 1
	s_and_saveexec_b32 s42, s2
	s_cbranch_execz .LBB325_216
; %bb.211:                              ;   in Loop: Header=BB325_12 Depth=1
	v_and_b32_e32 v80, 0x7f, v82
	v_mov_b32_e32 v78, 0x7f800001
	s_mov_b32 s43, exec_lo
	v_cmpx_ne_u32_e32 0x7f, v80
	s_cbranch_execz .LBB325_215
; %bb.212:                              ;   in Loop: Header=BB325_12 Depth=1
	v_and_b32_e32 v25, 7, v82
	v_lshrrev_b32_e32 v78, 3, v80
	s_mov_b32 s44, exec_lo
	v_cmpx_gt_u32_e32 8, v80
; %bb.213:                              ;   in Loop: Header=BB325_12 Depth=1
	v_ffbh_u32_e32 v78, v25
	v_min_u32_e32 v78, 32, v78
	v_subrev_nc_u32_e32 v80, 28, v78
	v_sub_nc_u32_e32 v78, 29, v78
	v_lshlrev_b64 v[80:81], v80, v[25:26]
	v_and_b32_e32 v25, 7, v80
; %bb.214:                              ;   in Loop: Header=BB325_12 Depth=1
	s_or_b32 exec_lo, exec_lo, s44
	v_lshlrev_b32_e32 v80, 24, v82
	v_lshlrev_b32_e32 v25, 20, v25
	v_lshl_add_u32 v78, v78, 23, 0x3c000000
	v_and_b32_e32 v80, 0x80000000, v80
	v_or3_b32 v78, v25, v80, v78
.LBB325_215:                            ;   in Loop: Header=BB325_12 Depth=1
	s_or_b32 exec_lo, exec_lo, s43
.LBB325_216:                            ;   in Loop: Header=BB325_12 Depth=1
	s_or_b32 exec_lo, exec_lo, s42
.LBB325_217:                            ;   in Loop: Header=BB325_12 Depth=1
	s_or_b32 exec_lo, exec_lo, s41
	v_cmp_ne_u16_sdwa s2, v82, v26 src0_sel:BYTE_1 src1_sel:DWORD
	s_and_saveexec_b32 s41, s2
	s_cbranch_execz .LBB325_225
; %bb.218:                              ;   in Loop: Header=BB325_12 Depth=1
	v_cmp_ne_u16_sdwa s2, v82, v45 src0_sel:BYTE_1 src1_sel:DWORD
	v_bfrev_b32_e32 v79, 1
	s_and_saveexec_b32 s42, s2
	s_cbranch_execz .LBB325_224
; %bb.219:                              ;   in Loop: Header=BB325_12 Depth=1
	v_and_b32_sdwa v25, v46, v82 dst_sel:DWORD dst_unused:UNUSED_PAD src0_sel:DWORD src1_sel:BYTE_1
	v_mov_b32_e32 v79, 0x7f800001
	s_mov_b32 s43, exec_lo
	v_and_b32_e32 v80, 0x7f, v25
	v_cmpx_ne_u32_e32 0x7f, v80
	s_cbranch_execz .LBB325_223
; %bb.220:                              ;   in Loop: Header=BB325_12 Depth=1
	v_and_b32_e32 v25, 7, v25
	v_lshrrev_b32_e32 v79, 3, v80
	s_mov_b32 s44, exec_lo
	v_cmpx_gt_u32_e32 8, v80
; %bb.221:                              ;   in Loop: Header=BB325_12 Depth=1
	v_ffbh_u32_e32 v79, v25
	v_min_u32_e32 v79, 32, v79
	v_subrev_nc_u32_e32 v80, 28, v79
	v_sub_nc_u32_e32 v79, 29, v79
	v_lshlrev_b64 v[80:81], v80, v[25:26]
	v_and_b32_e32 v25, 7, v80
; %bb.222:                              ;   in Loop: Header=BB325_12 Depth=1
	s_or_b32 exec_lo, exec_lo, s44
	v_lshlrev_b32_e32 v80, 16, v82
	v_lshlrev_b32_e32 v25, 20, v25
	v_lshl_add_u32 v79, v79, 23, 0x3c000000
	v_and_b32_e32 v80, 0x80000000, v80
	v_or3_b32 v79, v25, v80, v79
.LBB325_223:                            ;   in Loop: Header=BB325_12 Depth=1
	s_or_b32 exec_lo, exec_lo, s43
.LBB325_224:                            ;   in Loop: Header=BB325_12 Depth=1
	s_or_b32 exec_lo, exec_lo, s42
.LBB325_225:                            ;   in Loop: Header=BB325_12 Depth=1
	s_or_b32 exec_lo, exec_lo, s41
	v_and_b32_sdwa v25, v82, v47 dst_sel:DWORD dst_unused:UNUSED_PAD src0_sel:WORD_1 src1_sel:DWORD
	v_mov_b32_e32 v80, 0
	v_mov_b32_e32 v81, 0
	s_mov_b32 s41, exec_lo
	v_cmpx_ne_u16_e32 0, v25
	s_cbranch_execz .LBB325_233
; %bb.226:                              ;   in Loop: Header=BB325_12 Depth=1
	v_bfrev_b32_e32 v81, 1
	s_mov_b32 s42, exec_lo
	v_cmpx_ne_u16_e32 0x80, v25
	s_cbranch_execz .LBB325_232
; %bb.227:                              ;   in Loop: Header=BB325_12 Depth=1
	v_bfe_u32 v83, v82, 16, 7
	v_mov_b32_e32 v81, 0x7f800001
	s_mov_b32 s43, exec_lo
	v_cmpx_ne_u32_e32 0x7f, v83
	s_cbranch_execz .LBB325_231
; %bb.228:                              ;   in Loop: Header=BB325_12 Depth=1
	v_and_b32_sdwa v25, v82, v48 dst_sel:DWORD dst_unused:UNUSED_PAD src0_sel:WORD_1 src1_sel:DWORD
	v_lshrrev_b32_e32 v81, 3, v83
	s_mov_b32 s44, exec_lo
	v_cmpx_gt_u32_e32 8, v83
; %bb.229:                              ;   in Loop: Header=BB325_12 Depth=1
	v_ffbh_u32_e32 v81, v25
	v_min_u32_e32 v81, 32, v81
	v_subrev_nc_u32_e32 v83, 28, v81
	v_sub_nc_u32_e32 v81, 29, v81
	v_lshlrev_b64 v[83:84], v83, v[25:26]
	v_and_b32_e32 v25, 7, v83
; %bb.230:                              ;   in Loop: Header=BB325_12 Depth=1
	s_or_b32 exec_lo, exec_lo, s44
	v_lshlrev_b32_sdwa v83, v49, v82 dst_sel:DWORD dst_unused:UNUSED_PAD src0_sel:DWORD src1_sel:WORD_1
	v_lshlrev_b32_e32 v25, 20, v25
	v_lshl_add_u32 v81, v81, 23, 0x3c000000
	v_and_b32_e32 v83, 0x80000000, v83
	v_or3_b32 v81, v25, v83, v81
.LBB325_231:                            ;   in Loop: Header=BB325_12 Depth=1
	s_or_b32 exec_lo, exec_lo, s43
.LBB325_232:                            ;   in Loop: Header=BB325_12 Depth=1
	s_or_b32 exec_lo, exec_lo, s42
.LBB325_233:                            ;   in Loop: Header=BB325_12 Depth=1
	s_or_b32 exec_lo, exec_lo, s41
	s_mov_b32 s41, exec_lo
	v_cmpx_lt_u32_e32 0xffffff, v82
	s_cbranch_execz .LBB325_241
; %bb.234:                              ;   in Loop: Header=BB325_12 Depth=1
	v_cmp_ne_u32_sdwa s2, v82, v45 src0_sel:BYTE_3 src1_sel:DWORD
	v_bfrev_b32_e32 v80, 1
	s_and_saveexec_b32 s42, s2
	s_cbranch_execz .LBB325_240
; %bb.235:                              ;   in Loop: Header=BB325_12 Depth=1
	v_bfe_u32 v83, v82, 24, 7
	v_mov_b32_e32 v80, 0x7f800001
	s_mov_b32 s43, exec_lo
	v_cmpx_ne_u32_e32 0x7f, v83
	s_cbranch_execz .LBB325_239
; %bb.236:                              ;   in Loop: Header=BB325_12 Depth=1
	v_and_b32_sdwa v25, v82, v48 dst_sel:DWORD dst_unused:UNUSED_PAD src0_sel:BYTE_3 src1_sel:DWORD
	v_lshrrev_b32_e32 v80, 3, v83
	s_mov_b32 s44, exec_lo
	v_cmpx_gt_u32_e32 8, v83
; %bb.237:                              ;   in Loop: Header=BB325_12 Depth=1
	v_ffbh_u32_e32 v80, v25
	v_min_u32_e32 v80, 32, v80
	v_subrev_nc_u32_e32 v83, 28, v80
	v_sub_nc_u32_e32 v80, 29, v80
	v_lshlrev_b64 v[83:84], v83, v[25:26]
	v_and_b32_e32 v25, 7, v83
; %bb.238:                              ;   in Loop: Header=BB325_12 Depth=1
	s_or_b32 exec_lo, exec_lo, s44
	v_lshlrev_b32_sdwa v82, v49, v82 dst_sel:DWORD dst_unused:UNUSED_PAD src0_sel:DWORD src1_sel:BYTE_3
	v_lshlrev_b32_e32 v25, 20, v25
	v_lshl_add_u32 v80, v80, 23, 0x3c000000
	v_and_b32_e32 v82, 0x80000000, v82
	v_or3_b32 v80, v25, v82, v80
.LBB325_239:                            ;   in Loop: Header=BB325_12 Depth=1
	s_or_b32 exec_lo, exec_lo, s43
.LBB325_240:                            ;   in Loop: Header=BB325_12 Depth=1
	s_or_b32 exec_lo, exec_lo, s42
.LBB325_241:                            ;   in Loop: Header=BB325_12 Depth=1
	s_or_b32 exec_lo, exec_lo, s41
	global_load_dword v86, v[31:32], off offset:776
	v_mov_b32_e32 v83, 0
	v_mov_b32_e32 v82, 0
	s_waitcnt vmcnt(0)
	v_cmp_ne_u16_sdwa s2, v86, v26 src0_sel:BYTE_0 src1_sel:DWORD
	s_and_saveexec_b32 s41, s2
	s_cbranch_execz .LBB325_249
; %bb.242:                              ;   in Loop: Header=BB325_12 Depth=1
	v_cmp_ne_u16_sdwa s2, v86, v45 src0_sel:BYTE_0 src1_sel:DWORD
	v_bfrev_b32_e32 v82, 1
	s_and_saveexec_b32 s42, s2
	s_cbranch_execz .LBB325_248
; %bb.243:                              ;   in Loop: Header=BB325_12 Depth=1
	v_and_b32_e32 v84, 0x7f, v86
	v_mov_b32_e32 v82, 0x7f800001
	s_mov_b32 s43, exec_lo
	v_cmpx_ne_u32_e32 0x7f, v84
	s_cbranch_execz .LBB325_247
; %bb.244:                              ;   in Loop: Header=BB325_12 Depth=1
	v_and_b32_e32 v25, 7, v86
	v_lshrrev_b32_e32 v82, 3, v84
	s_mov_b32 s44, exec_lo
	v_cmpx_gt_u32_e32 8, v84
; %bb.245:                              ;   in Loop: Header=BB325_12 Depth=1
	v_ffbh_u32_e32 v82, v25
	v_min_u32_e32 v82, 32, v82
	v_subrev_nc_u32_e32 v84, 28, v82
	v_sub_nc_u32_e32 v82, 29, v82
	v_lshlrev_b64 v[84:85], v84, v[25:26]
	v_and_b32_e32 v25, 7, v84
; %bb.246:                              ;   in Loop: Header=BB325_12 Depth=1
	s_or_b32 exec_lo, exec_lo, s44
	v_lshlrev_b32_e32 v84, 24, v86
	v_lshlrev_b32_e32 v25, 20, v25
	v_lshl_add_u32 v82, v82, 23, 0x3c000000
	v_and_b32_e32 v84, 0x80000000, v84
	v_or3_b32 v82, v25, v84, v82
.LBB325_247:                            ;   in Loop: Header=BB325_12 Depth=1
	s_or_b32 exec_lo, exec_lo, s43
.LBB325_248:                            ;   in Loop: Header=BB325_12 Depth=1
	s_or_b32 exec_lo, exec_lo, s42
.LBB325_249:                            ;   in Loop: Header=BB325_12 Depth=1
	s_or_b32 exec_lo, exec_lo, s41
	v_cmp_ne_u16_sdwa s2, v86, v26 src0_sel:BYTE_1 src1_sel:DWORD
	s_and_saveexec_b32 s41, s2
	s_cbranch_execz .LBB325_257
; %bb.250:                              ;   in Loop: Header=BB325_12 Depth=1
	v_cmp_ne_u16_sdwa s2, v86, v45 src0_sel:BYTE_1 src1_sel:DWORD
	v_bfrev_b32_e32 v83, 1
	s_and_saveexec_b32 s42, s2
	s_cbranch_execz .LBB325_256
; %bb.251:                              ;   in Loop: Header=BB325_12 Depth=1
	v_and_b32_sdwa v25, v46, v86 dst_sel:DWORD dst_unused:UNUSED_PAD src0_sel:DWORD src1_sel:BYTE_1
	v_mov_b32_e32 v83, 0x7f800001
	s_mov_b32 s43, exec_lo
	v_and_b32_e32 v84, 0x7f, v25
	v_cmpx_ne_u32_e32 0x7f, v84
	s_cbranch_execz .LBB325_255
; %bb.252:                              ;   in Loop: Header=BB325_12 Depth=1
	v_and_b32_e32 v25, 7, v25
	v_lshrrev_b32_e32 v83, 3, v84
	s_mov_b32 s44, exec_lo
	v_cmpx_gt_u32_e32 8, v84
; %bb.253:                              ;   in Loop: Header=BB325_12 Depth=1
	v_ffbh_u32_e32 v83, v25
	v_min_u32_e32 v83, 32, v83
	v_subrev_nc_u32_e32 v84, 28, v83
	v_sub_nc_u32_e32 v83, 29, v83
	v_lshlrev_b64 v[84:85], v84, v[25:26]
	v_and_b32_e32 v25, 7, v84
; %bb.254:                              ;   in Loop: Header=BB325_12 Depth=1
	s_or_b32 exec_lo, exec_lo, s44
	v_lshlrev_b32_e32 v84, 16, v86
	v_lshlrev_b32_e32 v25, 20, v25
	v_lshl_add_u32 v83, v83, 23, 0x3c000000
	v_and_b32_e32 v84, 0x80000000, v84
	v_or3_b32 v83, v25, v84, v83
.LBB325_255:                            ;   in Loop: Header=BB325_12 Depth=1
	s_or_b32 exec_lo, exec_lo, s43
.LBB325_256:                            ;   in Loop: Header=BB325_12 Depth=1
	s_or_b32 exec_lo, exec_lo, s42
.LBB325_257:                            ;   in Loop: Header=BB325_12 Depth=1
	s_or_b32 exec_lo, exec_lo, s41
	v_and_b32_sdwa v25, v86, v47 dst_sel:DWORD dst_unused:UNUSED_PAD src0_sel:WORD_1 src1_sel:DWORD
	v_mov_b32_e32 v84, 0
	v_mov_b32_e32 v85, 0
	s_mov_b32 s41, exec_lo
	v_cmpx_ne_u16_e32 0, v25
	s_cbranch_execz .LBB325_265
; %bb.258:                              ;   in Loop: Header=BB325_12 Depth=1
	v_bfrev_b32_e32 v85, 1
	s_mov_b32 s42, exec_lo
	v_cmpx_ne_u16_e32 0x80, v25
	s_cbranch_execz .LBB325_264
; %bb.259:                              ;   in Loop: Header=BB325_12 Depth=1
	v_bfe_u32 v87, v86, 16, 7
	v_mov_b32_e32 v85, 0x7f800001
	s_mov_b32 s43, exec_lo
	v_cmpx_ne_u32_e32 0x7f, v87
	s_cbranch_execz .LBB325_263
; %bb.260:                              ;   in Loop: Header=BB325_12 Depth=1
	v_and_b32_sdwa v25, v86, v48 dst_sel:DWORD dst_unused:UNUSED_PAD src0_sel:WORD_1 src1_sel:DWORD
	v_lshrrev_b32_e32 v85, 3, v87
	s_mov_b32 s44, exec_lo
	v_cmpx_gt_u32_e32 8, v87
; %bb.261:                              ;   in Loop: Header=BB325_12 Depth=1
	v_ffbh_u32_e32 v85, v25
	v_min_u32_e32 v85, 32, v85
	v_subrev_nc_u32_e32 v87, 28, v85
	v_sub_nc_u32_e32 v85, 29, v85
	v_lshlrev_b64 v[87:88], v87, v[25:26]
	v_and_b32_e32 v25, 7, v87
; %bb.262:                              ;   in Loop: Header=BB325_12 Depth=1
	s_or_b32 exec_lo, exec_lo, s44
	v_lshlrev_b32_sdwa v87, v49, v86 dst_sel:DWORD dst_unused:UNUSED_PAD src0_sel:DWORD src1_sel:WORD_1
	v_lshlrev_b32_e32 v25, 20, v25
	v_lshl_add_u32 v85, v85, 23, 0x3c000000
	v_and_b32_e32 v87, 0x80000000, v87
	v_or3_b32 v85, v25, v87, v85
.LBB325_263:                            ;   in Loop: Header=BB325_12 Depth=1
	s_or_b32 exec_lo, exec_lo, s43
.LBB325_264:                            ;   in Loop: Header=BB325_12 Depth=1
	s_or_b32 exec_lo, exec_lo, s42
.LBB325_265:                            ;   in Loop: Header=BB325_12 Depth=1
	s_or_b32 exec_lo, exec_lo, s41
	s_mov_b32 s41, exec_lo
	v_cmpx_lt_u32_e32 0xffffff, v86
	s_cbranch_execz .LBB325_273
; %bb.266:                              ;   in Loop: Header=BB325_12 Depth=1
	v_cmp_ne_u32_sdwa s2, v86, v45 src0_sel:BYTE_3 src1_sel:DWORD
	v_bfrev_b32_e32 v84, 1
	s_and_saveexec_b32 s42, s2
	s_cbranch_execz .LBB325_272
; %bb.267:                              ;   in Loop: Header=BB325_12 Depth=1
	v_bfe_u32 v87, v86, 24, 7
	v_mov_b32_e32 v84, 0x7f800001
	s_mov_b32 s43, exec_lo
	v_cmpx_ne_u32_e32 0x7f, v87
	s_cbranch_execz .LBB325_271
; %bb.268:                              ;   in Loop: Header=BB325_12 Depth=1
	v_and_b32_sdwa v25, v86, v48 dst_sel:DWORD dst_unused:UNUSED_PAD src0_sel:BYTE_3 src1_sel:DWORD
	v_lshrrev_b32_e32 v84, 3, v87
	s_mov_b32 s44, exec_lo
	v_cmpx_gt_u32_e32 8, v87
; %bb.269:                              ;   in Loop: Header=BB325_12 Depth=1
	v_ffbh_u32_e32 v84, v25
	v_min_u32_e32 v84, 32, v84
	v_subrev_nc_u32_e32 v87, 28, v84
	v_sub_nc_u32_e32 v84, 29, v84
	v_lshlrev_b64 v[87:88], v87, v[25:26]
	v_and_b32_e32 v25, 7, v87
; %bb.270:                              ;   in Loop: Header=BB325_12 Depth=1
	s_or_b32 exec_lo, exec_lo, s44
	v_lshlrev_b32_sdwa v86, v49, v86 dst_sel:DWORD dst_unused:UNUSED_PAD src0_sel:DWORD src1_sel:BYTE_3
	v_lshlrev_b32_e32 v25, 20, v25
	v_lshl_add_u32 v84, v84, 23, 0x3c000000
	v_and_b32_e32 v86, 0x80000000, v86
	v_or3_b32 v84, v25, v86, v84
.LBB325_271:                            ;   in Loop: Header=BB325_12 Depth=1
	s_or_b32 exec_lo, exec_lo, s43
.LBB325_272:                            ;   in Loop: Header=BB325_12 Depth=1
	s_or_b32 exec_lo, exec_lo, s42
.LBB325_273:                            ;   in Loop: Header=BB325_12 Depth=1
	s_or_b32 exec_lo, exec_lo, s41
	global_load_dword v90, v[31:32], off offset:1024
	v_mov_b32_e32 v87, 0
	v_mov_b32_e32 v86, 0
	s_waitcnt vmcnt(0)
	v_cmp_ne_u16_sdwa s2, v90, v26 src0_sel:BYTE_0 src1_sel:DWORD
	s_and_saveexec_b32 s41, s2
	s_cbranch_execz .LBB325_281
; %bb.274:                              ;   in Loop: Header=BB325_12 Depth=1
	v_cmp_ne_u16_sdwa s2, v90, v45 src0_sel:BYTE_0 src1_sel:DWORD
	v_bfrev_b32_e32 v86, 1
	s_and_saveexec_b32 s42, s2
	s_cbranch_execz .LBB325_280
; %bb.275:                              ;   in Loop: Header=BB325_12 Depth=1
	v_and_b32_e32 v88, 0x7f, v90
	v_mov_b32_e32 v86, 0x7f800001
	s_mov_b32 s43, exec_lo
	v_cmpx_ne_u32_e32 0x7f, v88
	s_cbranch_execz .LBB325_279
; %bb.276:                              ;   in Loop: Header=BB325_12 Depth=1
	v_and_b32_e32 v25, 7, v90
	v_lshrrev_b32_e32 v86, 3, v88
	s_mov_b32 s44, exec_lo
	v_cmpx_gt_u32_e32 8, v88
; %bb.277:                              ;   in Loop: Header=BB325_12 Depth=1
	v_ffbh_u32_e32 v86, v25
	v_min_u32_e32 v86, 32, v86
	v_subrev_nc_u32_e32 v88, 28, v86
	v_sub_nc_u32_e32 v86, 29, v86
	v_lshlrev_b64 v[88:89], v88, v[25:26]
	v_and_b32_e32 v25, 7, v88
; %bb.278:                              ;   in Loop: Header=BB325_12 Depth=1
	s_or_b32 exec_lo, exec_lo, s44
	v_lshlrev_b32_e32 v88, 24, v90
	v_lshlrev_b32_e32 v25, 20, v25
	v_lshl_add_u32 v86, v86, 23, 0x3c000000
	v_and_b32_e32 v88, 0x80000000, v88
	v_or3_b32 v86, v25, v88, v86
.LBB325_279:                            ;   in Loop: Header=BB325_12 Depth=1
	s_or_b32 exec_lo, exec_lo, s43
.LBB325_280:                            ;   in Loop: Header=BB325_12 Depth=1
	s_or_b32 exec_lo, exec_lo, s42
.LBB325_281:                            ;   in Loop: Header=BB325_12 Depth=1
	s_or_b32 exec_lo, exec_lo, s41
	v_cmp_ne_u16_sdwa s2, v90, v26 src0_sel:BYTE_1 src1_sel:DWORD
	s_and_saveexec_b32 s41, s2
	s_cbranch_execz .LBB325_289
; %bb.282:                              ;   in Loop: Header=BB325_12 Depth=1
	v_cmp_ne_u16_sdwa s2, v90, v45 src0_sel:BYTE_1 src1_sel:DWORD
	v_bfrev_b32_e32 v87, 1
	s_and_saveexec_b32 s42, s2
	s_cbranch_execz .LBB325_288
; %bb.283:                              ;   in Loop: Header=BB325_12 Depth=1
	v_and_b32_sdwa v25, v46, v90 dst_sel:DWORD dst_unused:UNUSED_PAD src0_sel:DWORD src1_sel:BYTE_1
	v_mov_b32_e32 v87, 0x7f800001
	s_mov_b32 s43, exec_lo
	v_and_b32_e32 v88, 0x7f, v25
	v_cmpx_ne_u32_e32 0x7f, v88
	s_cbranch_execz .LBB325_287
; %bb.284:                              ;   in Loop: Header=BB325_12 Depth=1
	v_and_b32_e32 v25, 7, v25
	v_lshrrev_b32_e32 v87, 3, v88
	s_mov_b32 s44, exec_lo
	v_cmpx_gt_u32_e32 8, v88
; %bb.285:                              ;   in Loop: Header=BB325_12 Depth=1
	v_ffbh_u32_e32 v87, v25
	v_min_u32_e32 v87, 32, v87
	v_subrev_nc_u32_e32 v88, 28, v87
	v_sub_nc_u32_e32 v87, 29, v87
	v_lshlrev_b64 v[88:89], v88, v[25:26]
	v_and_b32_e32 v25, 7, v88
; %bb.286:                              ;   in Loop: Header=BB325_12 Depth=1
	s_or_b32 exec_lo, exec_lo, s44
	v_lshlrev_b32_e32 v88, 16, v90
	v_lshlrev_b32_e32 v25, 20, v25
	v_lshl_add_u32 v87, v87, 23, 0x3c000000
	v_and_b32_e32 v88, 0x80000000, v88
	v_or3_b32 v87, v25, v88, v87
.LBB325_287:                            ;   in Loop: Header=BB325_12 Depth=1
	s_or_b32 exec_lo, exec_lo, s43
.LBB325_288:                            ;   in Loop: Header=BB325_12 Depth=1
	s_or_b32 exec_lo, exec_lo, s42
.LBB325_289:                            ;   in Loop: Header=BB325_12 Depth=1
	s_or_b32 exec_lo, exec_lo, s41
	v_and_b32_sdwa v25, v90, v47 dst_sel:DWORD dst_unused:UNUSED_PAD src0_sel:WORD_1 src1_sel:DWORD
	v_mov_b32_e32 v88, 0
	v_mov_b32_e32 v89, 0
	s_mov_b32 s41, exec_lo
	v_cmpx_ne_u16_e32 0, v25
	s_cbranch_execz .LBB325_297
; %bb.290:                              ;   in Loop: Header=BB325_12 Depth=1
	v_bfrev_b32_e32 v89, 1
	s_mov_b32 s42, exec_lo
	v_cmpx_ne_u16_e32 0x80, v25
	s_cbranch_execz .LBB325_296
; %bb.291:                              ;   in Loop: Header=BB325_12 Depth=1
	v_bfe_u32 v91, v90, 16, 7
	v_mov_b32_e32 v89, 0x7f800001
	s_mov_b32 s43, exec_lo
	v_cmpx_ne_u32_e32 0x7f, v91
	s_cbranch_execz .LBB325_295
; %bb.292:                              ;   in Loop: Header=BB325_12 Depth=1
	v_and_b32_sdwa v25, v90, v48 dst_sel:DWORD dst_unused:UNUSED_PAD src0_sel:WORD_1 src1_sel:DWORD
	v_lshrrev_b32_e32 v89, 3, v91
	s_mov_b32 s44, exec_lo
	v_cmpx_gt_u32_e32 8, v91
; %bb.293:                              ;   in Loop: Header=BB325_12 Depth=1
	v_ffbh_u32_e32 v89, v25
	v_min_u32_e32 v89, 32, v89
	v_subrev_nc_u32_e32 v91, 28, v89
	v_sub_nc_u32_e32 v89, 29, v89
	v_lshlrev_b64 v[91:92], v91, v[25:26]
	v_and_b32_e32 v25, 7, v91
; %bb.294:                              ;   in Loop: Header=BB325_12 Depth=1
	s_or_b32 exec_lo, exec_lo, s44
	v_lshlrev_b32_sdwa v91, v49, v90 dst_sel:DWORD dst_unused:UNUSED_PAD src0_sel:DWORD src1_sel:WORD_1
	v_lshlrev_b32_e32 v25, 20, v25
	v_lshl_add_u32 v89, v89, 23, 0x3c000000
	v_and_b32_e32 v91, 0x80000000, v91
	v_or3_b32 v89, v25, v91, v89
.LBB325_295:                            ;   in Loop: Header=BB325_12 Depth=1
	s_or_b32 exec_lo, exec_lo, s43
.LBB325_296:                            ;   in Loop: Header=BB325_12 Depth=1
	s_or_b32 exec_lo, exec_lo, s42
.LBB325_297:                            ;   in Loop: Header=BB325_12 Depth=1
	s_or_b32 exec_lo, exec_lo, s41
	s_mov_b32 s41, exec_lo
	v_cmpx_lt_u32_e32 0xffffff, v90
	s_cbranch_execz .LBB325_305
; %bb.298:                              ;   in Loop: Header=BB325_12 Depth=1
	v_cmp_ne_u32_sdwa s2, v90, v45 src0_sel:BYTE_3 src1_sel:DWORD
	v_bfrev_b32_e32 v88, 1
	s_and_saveexec_b32 s42, s2
	s_cbranch_execz .LBB325_304
; %bb.299:                              ;   in Loop: Header=BB325_12 Depth=1
	v_bfe_u32 v91, v90, 24, 7
	v_mov_b32_e32 v88, 0x7f800001
	s_mov_b32 s43, exec_lo
	v_cmpx_ne_u32_e32 0x7f, v91
	s_cbranch_execz .LBB325_303
; %bb.300:                              ;   in Loop: Header=BB325_12 Depth=1
	v_and_b32_sdwa v25, v90, v48 dst_sel:DWORD dst_unused:UNUSED_PAD src0_sel:BYTE_3 src1_sel:DWORD
	v_lshrrev_b32_e32 v88, 3, v91
	s_mov_b32 s44, exec_lo
	v_cmpx_gt_u32_e32 8, v91
; %bb.301:                              ;   in Loop: Header=BB325_12 Depth=1
	v_ffbh_u32_e32 v88, v25
	v_min_u32_e32 v88, 32, v88
	v_subrev_nc_u32_e32 v91, 28, v88
	v_sub_nc_u32_e32 v88, 29, v88
	v_lshlrev_b64 v[91:92], v91, v[25:26]
	v_and_b32_e32 v25, 7, v91
; %bb.302:                              ;   in Loop: Header=BB325_12 Depth=1
	s_or_b32 exec_lo, exec_lo, s44
	v_lshlrev_b32_sdwa v90, v49, v90 dst_sel:DWORD dst_unused:UNUSED_PAD src0_sel:DWORD src1_sel:BYTE_3
	v_lshlrev_b32_e32 v25, 20, v25
	v_lshl_add_u32 v88, v88, 23, 0x3c000000
	v_and_b32_e32 v90, 0x80000000, v90
	v_or3_b32 v88, v25, v90, v88
.LBB325_303:                            ;   in Loop: Header=BB325_12 Depth=1
	s_or_b32 exec_lo, exec_lo, s43
.LBB325_304:                            ;   in Loop: Header=BB325_12 Depth=1
	s_or_b32 exec_lo, exec_lo, s42
.LBB325_305:                            ;   in Loop: Header=BB325_12 Depth=1
	s_or_b32 exec_lo, exec_lo, s41
	global_load_dword v94, v[31:32], off offset:1032
	v_mov_b32_e32 v91, 0
	v_mov_b32_e32 v90, 0
	s_waitcnt vmcnt(0)
	v_cmp_ne_u16_sdwa s2, v94, v26 src0_sel:BYTE_0 src1_sel:DWORD
	s_and_saveexec_b32 s41, s2
	s_cbranch_execz .LBB325_313
; %bb.306:                              ;   in Loop: Header=BB325_12 Depth=1
	v_cmp_ne_u16_sdwa s2, v94, v45 src0_sel:BYTE_0 src1_sel:DWORD
	v_bfrev_b32_e32 v90, 1
	s_and_saveexec_b32 s42, s2
	s_cbranch_execz .LBB325_312
; %bb.307:                              ;   in Loop: Header=BB325_12 Depth=1
	v_and_b32_e32 v92, 0x7f, v94
	v_mov_b32_e32 v90, 0x7f800001
	s_mov_b32 s43, exec_lo
	v_cmpx_ne_u32_e32 0x7f, v92
	s_cbranch_execz .LBB325_311
; %bb.308:                              ;   in Loop: Header=BB325_12 Depth=1
	v_and_b32_e32 v25, 7, v94
	v_lshrrev_b32_e32 v90, 3, v92
	s_mov_b32 s44, exec_lo
	v_cmpx_gt_u32_e32 8, v92
; %bb.309:                              ;   in Loop: Header=BB325_12 Depth=1
	v_ffbh_u32_e32 v90, v25
	v_min_u32_e32 v90, 32, v90
	v_subrev_nc_u32_e32 v92, 28, v90
	v_sub_nc_u32_e32 v90, 29, v90
	v_lshlrev_b64 v[92:93], v92, v[25:26]
	v_and_b32_e32 v25, 7, v92
; %bb.310:                              ;   in Loop: Header=BB325_12 Depth=1
	s_or_b32 exec_lo, exec_lo, s44
	v_lshlrev_b32_e32 v92, 24, v94
	v_lshlrev_b32_e32 v25, 20, v25
	v_lshl_add_u32 v90, v90, 23, 0x3c000000
	v_and_b32_e32 v92, 0x80000000, v92
	v_or3_b32 v90, v25, v92, v90
.LBB325_311:                            ;   in Loop: Header=BB325_12 Depth=1
	s_or_b32 exec_lo, exec_lo, s43
.LBB325_312:                            ;   in Loop: Header=BB325_12 Depth=1
	s_or_b32 exec_lo, exec_lo, s42
.LBB325_313:                            ;   in Loop: Header=BB325_12 Depth=1
	s_or_b32 exec_lo, exec_lo, s41
	v_cmp_ne_u16_sdwa s2, v94, v26 src0_sel:BYTE_1 src1_sel:DWORD
	s_and_saveexec_b32 s41, s2
	s_cbranch_execz .LBB325_321
; %bb.314:                              ;   in Loop: Header=BB325_12 Depth=1
	v_cmp_ne_u16_sdwa s2, v94, v45 src0_sel:BYTE_1 src1_sel:DWORD
	v_bfrev_b32_e32 v91, 1
	s_and_saveexec_b32 s42, s2
	s_cbranch_execz .LBB325_320
; %bb.315:                              ;   in Loop: Header=BB325_12 Depth=1
	v_and_b32_sdwa v25, v46, v94 dst_sel:DWORD dst_unused:UNUSED_PAD src0_sel:DWORD src1_sel:BYTE_1
	v_mov_b32_e32 v91, 0x7f800001
	s_mov_b32 s43, exec_lo
	v_and_b32_e32 v92, 0x7f, v25
	v_cmpx_ne_u32_e32 0x7f, v92
	s_cbranch_execz .LBB325_319
; %bb.316:                              ;   in Loop: Header=BB325_12 Depth=1
	v_and_b32_e32 v25, 7, v25
	v_lshrrev_b32_e32 v91, 3, v92
	s_mov_b32 s44, exec_lo
	v_cmpx_gt_u32_e32 8, v92
; %bb.317:                              ;   in Loop: Header=BB325_12 Depth=1
	v_ffbh_u32_e32 v91, v25
	v_min_u32_e32 v91, 32, v91
	v_subrev_nc_u32_e32 v92, 28, v91
	v_sub_nc_u32_e32 v91, 29, v91
	v_lshlrev_b64 v[92:93], v92, v[25:26]
	v_and_b32_e32 v25, 7, v92
; %bb.318:                              ;   in Loop: Header=BB325_12 Depth=1
	s_or_b32 exec_lo, exec_lo, s44
	v_lshlrev_b32_e32 v92, 16, v94
	v_lshlrev_b32_e32 v25, 20, v25
	v_lshl_add_u32 v91, v91, 23, 0x3c000000
	v_and_b32_e32 v92, 0x80000000, v92
	v_or3_b32 v91, v25, v92, v91
.LBB325_319:                            ;   in Loop: Header=BB325_12 Depth=1
	s_or_b32 exec_lo, exec_lo, s43
.LBB325_320:                            ;   in Loop: Header=BB325_12 Depth=1
	s_or_b32 exec_lo, exec_lo, s42
.LBB325_321:                            ;   in Loop: Header=BB325_12 Depth=1
	s_or_b32 exec_lo, exec_lo, s41
	v_and_b32_sdwa v25, v94, v47 dst_sel:DWORD dst_unused:UNUSED_PAD src0_sel:WORD_1 src1_sel:DWORD
	v_mov_b32_e32 v92, 0
	v_mov_b32_e32 v93, 0
	s_mov_b32 s41, exec_lo
	v_cmpx_ne_u16_e32 0, v25
	s_cbranch_execz .LBB325_329
; %bb.322:                              ;   in Loop: Header=BB325_12 Depth=1
	v_bfrev_b32_e32 v93, 1
	s_mov_b32 s42, exec_lo
	v_cmpx_ne_u16_e32 0x80, v25
	s_cbranch_execz .LBB325_328
; %bb.323:                              ;   in Loop: Header=BB325_12 Depth=1
	v_bfe_u32 v95, v94, 16, 7
	v_mov_b32_e32 v93, 0x7f800001
	s_mov_b32 s43, exec_lo
	v_cmpx_ne_u32_e32 0x7f, v95
	s_cbranch_execz .LBB325_327
; %bb.324:                              ;   in Loop: Header=BB325_12 Depth=1
	v_and_b32_sdwa v25, v94, v48 dst_sel:DWORD dst_unused:UNUSED_PAD src0_sel:WORD_1 src1_sel:DWORD
	v_lshrrev_b32_e32 v93, 3, v95
	s_mov_b32 s44, exec_lo
	v_cmpx_gt_u32_e32 8, v95
; %bb.325:                              ;   in Loop: Header=BB325_12 Depth=1
	v_ffbh_u32_e32 v93, v25
	v_min_u32_e32 v93, 32, v93
	v_subrev_nc_u32_e32 v95, 28, v93
	v_sub_nc_u32_e32 v93, 29, v93
	v_lshlrev_b64 v[95:96], v95, v[25:26]
	v_and_b32_e32 v25, 7, v95
; %bb.326:                              ;   in Loop: Header=BB325_12 Depth=1
	s_or_b32 exec_lo, exec_lo, s44
	v_lshlrev_b32_sdwa v95, v49, v94 dst_sel:DWORD dst_unused:UNUSED_PAD src0_sel:DWORD src1_sel:WORD_1
	v_lshlrev_b32_e32 v25, 20, v25
	v_lshl_add_u32 v93, v93, 23, 0x3c000000
	v_and_b32_e32 v95, 0x80000000, v95
	v_or3_b32 v93, v25, v95, v93
.LBB325_327:                            ;   in Loop: Header=BB325_12 Depth=1
	s_or_b32 exec_lo, exec_lo, s43
.LBB325_328:                            ;   in Loop: Header=BB325_12 Depth=1
	s_or_b32 exec_lo, exec_lo, s42
.LBB325_329:                            ;   in Loop: Header=BB325_12 Depth=1
	s_or_b32 exec_lo, exec_lo, s41
	s_mov_b32 s41, exec_lo
	v_cmpx_lt_u32_e32 0xffffff, v94
	s_cbranch_execz .LBB325_337
; %bb.330:                              ;   in Loop: Header=BB325_12 Depth=1
	v_cmp_ne_u32_sdwa s2, v94, v45 src0_sel:BYTE_3 src1_sel:DWORD
	v_bfrev_b32_e32 v92, 1
	s_and_saveexec_b32 s42, s2
	s_cbranch_execz .LBB325_336
; %bb.331:                              ;   in Loop: Header=BB325_12 Depth=1
	v_bfe_u32 v95, v94, 24, 7
	v_mov_b32_e32 v92, 0x7f800001
	s_mov_b32 s43, exec_lo
	v_cmpx_ne_u32_e32 0x7f, v95
	s_cbranch_execz .LBB325_335
; %bb.332:                              ;   in Loop: Header=BB325_12 Depth=1
	v_and_b32_sdwa v25, v94, v48 dst_sel:DWORD dst_unused:UNUSED_PAD src0_sel:BYTE_3 src1_sel:DWORD
	v_lshrrev_b32_e32 v92, 3, v95
	s_mov_b32 s44, exec_lo
	v_cmpx_gt_u32_e32 8, v95
; %bb.333:                              ;   in Loop: Header=BB325_12 Depth=1
	v_ffbh_u32_e32 v92, v25
	v_min_u32_e32 v92, 32, v92
	v_subrev_nc_u32_e32 v95, 28, v92
	v_sub_nc_u32_e32 v92, 29, v92
	v_lshlrev_b64 v[95:96], v95, v[25:26]
	v_and_b32_e32 v25, 7, v95
; %bb.334:                              ;   in Loop: Header=BB325_12 Depth=1
	s_or_b32 exec_lo, exec_lo, s44
	v_lshlrev_b32_sdwa v94, v49, v94 dst_sel:DWORD dst_unused:UNUSED_PAD src0_sel:DWORD src1_sel:BYTE_3
	v_lshlrev_b32_e32 v25, 20, v25
	v_lshl_add_u32 v92, v92, 23, 0x3c000000
	v_and_b32_e32 v94, 0x80000000, v94
	v_or3_b32 v92, v25, v94, v92
.LBB325_335:                            ;   in Loop: Header=BB325_12 Depth=1
	s_or_b32 exec_lo, exec_lo, s43
.LBB325_336:                            ;   in Loop: Header=BB325_12 Depth=1
	s_or_b32 exec_lo, exec_lo, s42
.LBB325_337:                            ;   in Loop: Header=BB325_12 Depth=1
	s_or_b32 exec_lo, exec_lo, s41
	global_load_dword v95, v[31:32], off offset:1280
	v_mov_b32_e32 v97, 0
	v_mov_b32_e32 v94, 0
	s_waitcnt vmcnt(0)
	v_cmp_ne_u16_sdwa s2, v95, v26 src0_sel:BYTE_0 src1_sel:DWORD
	s_and_saveexec_b32 s41, s2
	s_cbranch_execz .LBB325_345
; %bb.338:                              ;   in Loop: Header=BB325_12 Depth=1
	v_cmp_ne_u16_sdwa s2, v95, v45 src0_sel:BYTE_0 src1_sel:DWORD
	v_bfrev_b32_e32 v94, 1
	s_and_saveexec_b32 s42, s2
	s_cbranch_execz .LBB325_344
; %bb.339:                              ;   in Loop: Header=BB325_12 Depth=1
	v_and_b32_e32 v96, 0x7f, v95
	v_mov_b32_e32 v94, 0x7f800001
	s_mov_b32 s43, exec_lo
	v_cmpx_ne_u32_e32 0x7f, v96
	s_cbranch_execz .LBB325_343
; %bb.340:                              ;   in Loop: Header=BB325_12 Depth=1
	v_and_b32_e32 v25, 7, v95
	v_lshrrev_b32_e32 v94, 3, v96
	s_mov_b32 s44, exec_lo
	v_cmpx_gt_u32_e32 8, v96
; %bb.341:                              ;   in Loop: Header=BB325_12 Depth=1
	v_ffbh_u32_e32 v94, v25
	v_min_u32_e32 v94, 32, v94
	v_subrev_nc_u32_e32 v96, 28, v94
	v_sub_nc_u32_e32 v94, 29, v94
	v_lshlrev_b64 v[98:99], v96, v[25:26]
	v_and_b32_e32 v25, 7, v98
; %bb.342:                              ;   in Loop: Header=BB325_12 Depth=1
	s_or_b32 exec_lo, exec_lo, s44
	v_lshlrev_b32_e32 v96, 24, v95
	v_lshlrev_b32_e32 v25, 20, v25
	v_lshl_add_u32 v94, v94, 23, 0x3c000000
	v_and_b32_e32 v96, 0x80000000, v96
	v_or3_b32 v94, v25, v96, v94
.LBB325_343:                            ;   in Loop: Header=BB325_12 Depth=1
	s_or_b32 exec_lo, exec_lo, s43
.LBB325_344:                            ;   in Loop: Header=BB325_12 Depth=1
	s_or_b32 exec_lo, exec_lo, s42
.LBB325_345:                            ;   in Loop: Header=BB325_12 Depth=1
	s_or_b32 exec_lo, exec_lo, s41
	v_cmp_ne_u16_sdwa s2, v95, v26 src0_sel:BYTE_1 src1_sel:DWORD
	s_and_saveexec_b32 s41, s2
	s_cbranch_execz .LBB325_353
; %bb.346:                              ;   in Loop: Header=BB325_12 Depth=1
	v_cmp_ne_u16_sdwa s2, v95, v45 src0_sel:BYTE_1 src1_sel:DWORD
	v_bfrev_b32_e32 v97, 1
	s_and_saveexec_b32 s42, s2
	s_cbranch_execz .LBB325_352
; %bb.347:                              ;   in Loop: Header=BB325_12 Depth=1
	v_and_b32_sdwa v25, v46, v95 dst_sel:DWORD dst_unused:UNUSED_PAD src0_sel:DWORD src1_sel:BYTE_1
	v_mov_b32_e32 v97, 0x7f800001
	s_mov_b32 s43, exec_lo
	v_and_b32_e32 v98, 0x7f, v25
	v_cmpx_ne_u32_e32 0x7f, v98
	s_cbranch_execz .LBB325_351
; %bb.348:                              ;   in Loop: Header=BB325_12 Depth=1
	v_and_b32_e32 v25, 7, v25
	v_lshrrev_b32_e32 v96, 3, v98
	s_mov_b32 s44, exec_lo
	v_cmpx_gt_u32_e32 8, v98
; %bb.349:                              ;   in Loop: Header=BB325_12 Depth=1
	v_ffbh_u32_e32 v96, v25
	v_min_u32_e32 v96, 32, v96
	v_subrev_nc_u32_e32 v97, 28, v96
	v_sub_nc_u32_e32 v96, 29, v96
	v_lshlrev_b64 v[97:98], v97, v[25:26]
	v_and_b32_e32 v25, 7, v97
; %bb.350:                              ;   in Loop: Header=BB325_12 Depth=1
	s_or_b32 exec_lo, exec_lo, s44
	v_lshlrev_b32_e32 v97, 16, v95
	v_lshlrev_b32_e32 v25, 20, v25
	v_lshl_add_u32 v96, v96, 23, 0x3c000000
	v_and_b32_e32 v97, 0x80000000, v97
	v_or3_b32 v97, v25, v97, v96
.LBB325_351:                            ;   in Loop: Header=BB325_12 Depth=1
	s_or_b32 exec_lo, exec_lo, s43
.LBB325_352:                            ;   in Loop: Header=BB325_12 Depth=1
	s_or_b32 exec_lo, exec_lo, s42
.LBB325_353:                            ;   in Loop: Header=BB325_12 Depth=1
	s_or_b32 exec_lo, exec_lo, s41
	v_and_b32_sdwa v25, v95, v47 dst_sel:DWORD dst_unused:UNUSED_PAD src0_sel:WORD_1 src1_sel:DWORD
	v_mov_b32_e32 v98, 0
	v_mov_b32_e32 v99, 0
	s_mov_b32 s41, exec_lo
	v_cmpx_ne_u16_e32 0, v25
	s_cbranch_execz .LBB325_361
; %bb.354:                              ;   in Loop: Header=BB325_12 Depth=1
	v_bfrev_b32_e32 v99, 1
	s_mov_b32 s42, exec_lo
	v_cmpx_ne_u16_e32 0x80, v25
	s_cbranch_execz .LBB325_360
; %bb.355:                              ;   in Loop: Header=BB325_12 Depth=1
	v_bfe_u32 v100, v95, 16, 7
	v_mov_b32_e32 v99, 0x7f800001
	s_mov_b32 s43, exec_lo
	v_cmpx_ne_u32_e32 0x7f, v100
	s_cbranch_execz .LBB325_359
; %bb.356:                              ;   in Loop: Header=BB325_12 Depth=1
	v_and_b32_sdwa v25, v95, v48 dst_sel:DWORD dst_unused:UNUSED_PAD src0_sel:WORD_1 src1_sel:DWORD
	v_lshrrev_b32_e32 v96, 3, v100
	s_mov_b32 s44, exec_lo
	v_cmpx_gt_u32_e32 8, v100
; %bb.357:                              ;   in Loop: Header=BB325_12 Depth=1
	v_ffbh_u32_e32 v96, v25
	v_min_u32_e32 v96, 32, v96
	v_subrev_nc_u32_e32 v99, 28, v96
	v_sub_nc_u32_e32 v96, 29, v96
	v_lshlrev_b64 v[99:100], v99, v[25:26]
	v_and_b32_e32 v25, 7, v99
; %bb.358:                              ;   in Loop: Header=BB325_12 Depth=1
	s_or_b32 exec_lo, exec_lo, s44
	v_lshlrev_b32_sdwa v99, v49, v95 dst_sel:DWORD dst_unused:UNUSED_PAD src0_sel:DWORD src1_sel:WORD_1
	v_lshlrev_b32_e32 v25, 20, v25
	v_lshl_add_u32 v96, v96, 23, 0x3c000000
	v_and_b32_e32 v99, 0x80000000, v99
	v_or3_b32 v99, v25, v99, v96
.LBB325_359:                            ;   in Loop: Header=BB325_12 Depth=1
	s_or_b32 exec_lo, exec_lo, s43
.LBB325_360:                            ;   in Loop: Header=BB325_12 Depth=1
	s_or_b32 exec_lo, exec_lo, s42
.LBB325_361:                            ;   in Loop: Header=BB325_12 Depth=1
	s_or_b32 exec_lo, exec_lo, s41
	s_mov_b32 s41, exec_lo
	v_cmpx_lt_u32_e32 0xffffff, v95
	s_cbranch_execz .LBB325_369
; %bb.362:                              ;   in Loop: Header=BB325_12 Depth=1
	v_cmp_ne_u32_sdwa s2, v95, v45 src0_sel:BYTE_3 src1_sel:DWORD
	v_bfrev_b32_e32 v98, 1
	s_and_saveexec_b32 s42, s2
	s_cbranch_execz .LBB325_368
; %bb.363:                              ;   in Loop: Header=BB325_12 Depth=1
	v_bfe_u32 v100, v95, 24, 7
	v_mov_b32_e32 v98, 0x7f800001
	s_mov_b32 s43, exec_lo
	v_cmpx_ne_u32_e32 0x7f, v100
	s_cbranch_execz .LBB325_367
; %bb.364:                              ;   in Loop: Header=BB325_12 Depth=1
	v_and_b32_sdwa v25, v95, v48 dst_sel:DWORD dst_unused:UNUSED_PAD src0_sel:BYTE_3 src1_sel:DWORD
	v_lshrrev_b32_e32 v96, 3, v100
	s_mov_b32 s44, exec_lo
	v_cmpx_gt_u32_e32 8, v100
; %bb.365:                              ;   in Loop: Header=BB325_12 Depth=1
	v_ffbh_u32_e32 v96, v25
	v_min_u32_e32 v96, 32, v96
	v_subrev_nc_u32_e32 v98, 28, v96
	v_sub_nc_u32_e32 v96, 29, v96
	v_lshlrev_b64 v[100:101], v98, v[25:26]
	v_and_b32_e32 v25, 7, v100
; %bb.366:                              ;   in Loop: Header=BB325_12 Depth=1
	s_or_b32 exec_lo, exec_lo, s44
	v_lshlrev_b32_sdwa v95, v49, v95 dst_sel:DWORD dst_unused:UNUSED_PAD src0_sel:DWORD src1_sel:BYTE_3
	v_lshlrev_b32_e32 v25, 20, v25
	v_lshl_add_u32 v96, v96, 23, 0x3c000000
	v_and_b32_e32 v95, 0x80000000, v95
	v_or3_b32 v98, v25, v95, v96
.LBB325_367:                            ;   in Loop: Header=BB325_12 Depth=1
	s_or_b32 exec_lo, exec_lo, s43
.LBB325_368:                            ;   in Loop: Header=BB325_12 Depth=1
	s_or_b32 exec_lo, exec_lo, s42
.LBB325_369:                            ;   in Loop: Header=BB325_12 Depth=1
	s_or_b32 exec_lo, exec_lo, s41
	global_load_dword v31, v[31:32], off offset:1288
	v_mov_b32_e32 v100, 0
	v_mov_b32_e32 v32, 0
	s_waitcnt vmcnt(0)
	v_cmp_ne_u16_sdwa s2, v31, v26 src0_sel:BYTE_0 src1_sel:DWORD
	s_and_saveexec_b32 s41, s2
	s_cbranch_execz .LBB325_377
; %bb.370:                              ;   in Loop: Header=BB325_12 Depth=1
	v_cmp_ne_u16_sdwa s2, v31, v45 src0_sel:BYTE_0 src1_sel:DWORD
	v_bfrev_b32_e32 v32, 1
	s_and_saveexec_b32 s42, s2
	s_cbranch_execz .LBB325_376
; %bb.371:                              ;   in Loop: Header=BB325_12 Depth=1
	v_and_b32_e32 v95, 0x7f, v31
	v_mov_b32_e32 v32, 0x7f800001
	s_mov_b32 s43, exec_lo
	v_cmpx_ne_u32_e32 0x7f, v95
	s_cbranch_execz .LBB325_375
; %bb.372:                              ;   in Loop: Header=BB325_12 Depth=1
	v_and_b32_e32 v25, 7, v31
	v_lshrrev_b32_e32 v32, 3, v95
	s_mov_b32 s44, exec_lo
	v_cmpx_gt_u32_e32 8, v95
; %bb.373:                              ;   in Loop: Header=BB325_12 Depth=1
	v_ffbh_u32_e32 v32, v25
	v_min_u32_e32 v32, 32, v32
	v_subrev_nc_u32_e32 v95, 28, v32
	v_sub_nc_u32_e32 v32, 29, v32
	v_lshlrev_b64 v[95:96], v95, v[25:26]
	v_and_b32_e32 v25, 7, v95
; %bb.374:                              ;   in Loop: Header=BB325_12 Depth=1
	s_or_b32 exec_lo, exec_lo, s44
	v_lshlrev_b32_e32 v95, 24, v31
	v_lshlrev_b32_e32 v25, 20, v25
	v_lshl_add_u32 v32, v32, 23, 0x3c000000
	v_and_b32_e32 v95, 0x80000000, v95
	v_or3_b32 v32, v25, v95, v32
.LBB325_375:                            ;   in Loop: Header=BB325_12 Depth=1
	s_or_b32 exec_lo, exec_lo, s43
.LBB325_376:                            ;   in Loop: Header=BB325_12 Depth=1
	s_or_b32 exec_lo, exec_lo, s42
.LBB325_377:                            ;   in Loop: Header=BB325_12 Depth=1
	s_or_b32 exec_lo, exec_lo, s41
	v_cmp_ne_u16_sdwa s2, v31, v26 src0_sel:BYTE_1 src1_sel:DWORD
	s_and_saveexec_b32 s41, s2
	s_cbranch_execz .LBB325_385
; %bb.378:                              ;   in Loop: Header=BB325_12 Depth=1
	v_cmp_ne_u16_sdwa s2, v31, v45 src0_sel:BYTE_1 src1_sel:DWORD
	v_bfrev_b32_e32 v100, 1
	s_and_saveexec_b32 s42, s2
	s_cbranch_execz .LBB325_384
; %bb.379:                              ;   in Loop: Header=BB325_12 Depth=1
	v_and_b32_sdwa v25, v46, v31 dst_sel:DWORD dst_unused:UNUSED_PAD src0_sel:DWORD src1_sel:BYTE_1
	v_mov_b32_e32 v100, 0x7f800001
	s_mov_b32 s43, exec_lo
	v_and_b32_e32 v96, 0x7f, v25
	v_cmpx_ne_u32_e32 0x7f, v96
	s_cbranch_execz .LBB325_383
; %bb.380:                              ;   in Loop: Header=BB325_12 Depth=1
	v_and_b32_e32 v25, 7, v25
	v_lshrrev_b32_e32 v95, 3, v96
	s_mov_b32 s44, exec_lo
	v_cmpx_gt_u32_e32 8, v96
; %bb.381:                              ;   in Loop: Header=BB325_12 Depth=1
	v_ffbh_u32_e32 v95, v25
	v_min_u32_e32 v95, 32, v95
	v_subrev_nc_u32_e32 v96, 28, v95
	v_sub_nc_u32_e32 v95, 29, v95
	v_lshlrev_b64 v[100:101], v96, v[25:26]
	v_and_b32_e32 v25, 7, v100
; %bb.382:                              ;   in Loop: Header=BB325_12 Depth=1
	s_or_b32 exec_lo, exec_lo, s44
	v_lshlrev_b32_e32 v96, 16, v31
	v_lshlrev_b32_e32 v25, 20, v25
	v_lshl_add_u32 v95, v95, 23, 0x3c000000
	v_and_b32_e32 v96, 0x80000000, v96
	v_or3_b32 v100, v25, v96, v95
.LBB325_383:                            ;   in Loop: Header=BB325_12 Depth=1
	s_or_b32 exec_lo, exec_lo, s43
.LBB325_384:                            ;   in Loop: Header=BB325_12 Depth=1
	s_or_b32 exec_lo, exec_lo, s42
.LBB325_385:                            ;   in Loop: Header=BB325_12 Depth=1
	s_or_b32 exec_lo, exec_lo, s41
	v_and_b32_sdwa v25, v31, v47 dst_sel:DWORD dst_unused:UNUSED_PAD src0_sel:WORD_1 src1_sel:DWORD
	v_mov_b32_e32 v95, 0
	v_mov_b32_e32 v96, 0
	s_mov_b32 s41, exec_lo
	v_cmpx_ne_u16_e32 0, v25
	s_cbranch_execz .LBB325_393
; %bb.386:                              ;   in Loop: Header=BB325_12 Depth=1
	v_bfrev_b32_e32 v96, 1
	s_mov_b32 s42, exec_lo
	v_cmpx_ne_u16_e32 0x80, v25
	s_cbranch_execz .LBB325_392
; %bb.387:                              ;   in Loop: Header=BB325_12 Depth=1
	v_bfe_u32 v101, v31, 16, 7
	v_mov_b32_e32 v96, 0x7f800001
	s_mov_b32 s43, exec_lo
	v_cmpx_ne_u32_e32 0x7f, v101
	s_cbranch_execz .LBB325_391
; %bb.388:                              ;   in Loop: Header=BB325_12 Depth=1
	v_and_b32_sdwa v25, v31, v48 dst_sel:DWORD dst_unused:UNUSED_PAD src0_sel:WORD_1 src1_sel:DWORD
	v_lshrrev_b32_e32 v96, 3, v101
	s_mov_b32 s44, exec_lo
	v_cmpx_gt_u32_e32 8, v101
; %bb.389:                              ;   in Loop: Header=BB325_12 Depth=1
	v_ffbh_u32_e32 v96, v25
	v_min_u32_e32 v96, 32, v96
	v_subrev_nc_u32_e32 v101, 28, v96
	v_sub_nc_u32_e32 v96, 29, v96
	v_lshlrev_b64 v[101:102], v101, v[25:26]
	v_and_b32_e32 v25, 7, v101
; %bb.390:                              ;   in Loop: Header=BB325_12 Depth=1
	s_or_b32 exec_lo, exec_lo, s44
	v_lshlrev_b32_sdwa v101, v49, v31 dst_sel:DWORD dst_unused:UNUSED_PAD src0_sel:DWORD src1_sel:WORD_1
	v_lshlrev_b32_e32 v25, 20, v25
	v_lshl_add_u32 v96, v96, 23, 0x3c000000
	v_and_b32_e32 v101, 0x80000000, v101
	v_or3_b32 v96, v25, v101, v96
.LBB325_391:                            ;   in Loop: Header=BB325_12 Depth=1
	s_or_b32 exec_lo, exec_lo, s43
.LBB325_392:                            ;   in Loop: Header=BB325_12 Depth=1
	s_or_b32 exec_lo, exec_lo, s42
.LBB325_393:                            ;   in Loop: Header=BB325_12 Depth=1
	s_or_b32 exec_lo, exec_lo, s41
	s_mov_b32 s41, exec_lo
	v_cmpx_lt_u32_e32 0xffffff, v31
	s_cbranch_execz .LBB325_401
; %bb.394:                              ;   in Loop: Header=BB325_12 Depth=1
	v_cmp_ne_u32_sdwa s2, v31, v45 src0_sel:BYTE_3 src1_sel:DWORD
	v_bfrev_b32_e32 v95, 1
	s_and_saveexec_b32 s42, s2
	s_cbranch_execz .LBB325_400
; %bb.395:                              ;   in Loop: Header=BB325_12 Depth=1
	v_bfe_u32 v101, v31, 24, 7
	v_mov_b32_e32 v95, 0x7f800001
	s_mov_b32 s43, exec_lo
	v_cmpx_ne_u32_e32 0x7f, v101
	s_cbranch_execz .LBB325_399
; %bb.396:                              ;   in Loop: Header=BB325_12 Depth=1
	v_and_b32_sdwa v25, v31, v48 dst_sel:DWORD dst_unused:UNUSED_PAD src0_sel:BYTE_3 src1_sel:DWORD
	v_lshrrev_b32_e32 v95, 3, v101
	s_mov_b32 s44, exec_lo
	v_cmpx_gt_u32_e32 8, v101
; %bb.397:                              ;   in Loop: Header=BB325_12 Depth=1
	v_ffbh_u32_e32 v95, v25
	v_min_u32_e32 v95, 32, v95
	v_subrev_nc_u32_e32 v101, 28, v95
	v_sub_nc_u32_e32 v95, 29, v95
	v_lshlrev_b64 v[101:102], v101, v[25:26]
	v_and_b32_e32 v25, 7, v101
; %bb.398:                              ;   in Loop: Header=BB325_12 Depth=1
	s_or_b32 exec_lo, exec_lo, s44
	v_lshlrev_b32_sdwa v31, v49, v31 dst_sel:DWORD dst_unused:UNUSED_PAD src0_sel:DWORD src1_sel:BYTE_3
	v_lshlrev_b32_e32 v25, 20, v25
	v_lshl_add_u32 v95, v95, 23, 0x3c000000
	v_and_b32_e32 v31, 0x80000000, v31
	v_or3_b32 v95, v25, v31, v95
.LBB325_399:                            ;   in Loop: Header=BB325_12 Depth=1
	s_or_b32 exec_lo, exec_lo, s43
.LBB325_400:                            ;   in Loop: Header=BB325_12 Depth=1
	s_or_b32 exec_lo, exec_lo, s42
.LBB325_401:                            ;   in Loop: Header=BB325_12 Depth=1
	s_or_b32 exec_lo, exec_lo, s41
	s_waitcnt lgkmcnt(0)
	v_mul_f32_e32 v25, s40, v100
	v_mul_f32_e32 v31, s40, v32
	;; [unrolled: 1-line block ×5, first 2 shown]
	v_bfe_u32 v99, v25, 16, 1
	v_bfe_u32 v100, v31, 16, 1
	v_or_b32_e32 v101, 0x400000, v25
	v_cmp_u_f32_e64 s2, v25, v25
	v_or_b32_e32 v102, 0x400000, v31
	v_add3_u32 v99, v99, v25, 0x7fff
	v_bfe_u32 v103, v32, 16, 1
	v_add3_u32 v100, v100, v31, 0x7fff
	v_bfe_u32 v104, v98, 16, 1
	v_mul_f32_e32 v65, s40, v65
	v_cndmask_b32_e64 v25, v99, v101, s2
	v_cmp_u_f32_e64 s2, v31, v31
	v_add3_u32 v99, v103, v32, 0x7fff
	v_add3_u32 v101, v104, v98, 0x7fff
	v_or_b32_e32 v103, 0x400000, v98
	v_bfe_u32 v104, v97, 16, 1
	v_cndmask_b32_e64 v31, v100, v102, s2
	v_or_b32_e32 v100, 0x400000, v32
	v_cmp_u_f32_e64 s2, v32, v32
	v_mul_f32_e32 v102, s40, v94
	v_mul_f32_e32 v64, s40, v64
	;; [unrolled: 1-line block ×4, first 2 shown]
	v_cndmask_b32_e64 v94, v99, v100, s2
	v_cmp_u_f32_e64 s2, v98, v98
	v_bfe_u32 v99, v102, 16, 1
	v_add3_u32 v98, v104, v97, 0x7fff
	v_mul_f32_e32 v100, s40, v93
	v_or_b32_e32 v93, 0x400000, v97
	v_cndmask_b32_e64 v32, v101, v103, s2
	v_cmp_u_f32_e64 s2, v97, v97
	v_add3_u32 v99, v99, v102, 0x7fff
	v_mul_f32_e32 v101, s40, v92
	v_or_b32_e32 v103, 0x400000, v102
	v_bfe_u32 v104, v100, 16, 1
	v_cndmask_b32_e64 v92, v98, v93, s2
	v_cmp_u_f32_e64 s2, v102, v102
	v_bfe_u32 v97, v101, 16, 1
	v_mul_f32_e32 v102, s40, v90
	v_add3_u32 v98, v104, v100, 0x7fff
	v_mul_f32_e32 v61, s40, v61
	v_cndmask_b32_e64 v93, v99, v103, s2
	v_mul_f32_e32 v99, s40, v91
	v_or_b32_e32 v91, 0x400000, v100
	v_cmp_u_f32_e64 s2, v100, v100
	v_add3_u32 v97, v97, v101, 0x7fff
	v_or_b32_e32 v103, 0x400000, v101
	v_bfe_u32 v104, v99, 16, 1
	v_mul_f32_e32 v100, s40, v89
	v_cndmask_b32_e64 v90, v98, v91, s2
	v_cmp_u_f32_e64 s2, v101, v101
	v_bfe_u32 v98, v102, 16, 1
	v_or_b32_e32 v89, 0x400000, v99
	v_mul_f32_e32 v101, s40, v88
	v_mul_f32_e32 v60, s40, v60
	v_cndmask_b32_e64 v91, v97, v103, s2
	v_add3_u32 v97, v104, v99, 0x7fff
	v_cmp_u_f32_e64 s2, v99, v99
	v_add3_u32 v98, v98, v102, 0x7fff
	v_or_b32_e32 v103, 0x400000, v102
	v_bfe_u32 v104, v100, 16, 1
	v_mul_f32_e32 v99, s40, v87
	v_cndmask_b32_e64 v88, v97, v89, s2
	v_cmp_u_f32_e64 s2, v102, v102
	v_bfe_u32 v97, v101, 16, 1
	v_or_b32_e32 v87, 0x400000, v100
	v_mul_f32_e32 v102, s40, v86
	v_mul_f32_e32 v59, s40, v59
	v_cndmask_b32_e64 v89, v98, v103, s2
	v_add3_u32 v98, v104, v100, 0x7fff
	;; [unrolled: 13-line block ×7, first 2 shown]
	v_cmp_u_f32_e64 s2, v99, v99
	v_add3_u32 v98, v98, v102, 0x7fff
	v_or_b32_e32 v103, 0x400000, v102
	v_bfe_u32 v104, v100, 16, 1
	v_mul_f32_e32 v99, s40, v75
	v_cndmask_b32_e64 v76, v97, v77, s2
	v_cmp_u_f32_e64 s2, v102, v102
	v_bfe_u32 v97, v101, 16, 1
	v_or_b32_e32 v75, 0x400000, v100
	v_mul_f32_e32 v102, s40, v74
	v_lshlrev_b32_e32 v105, 16, v19
	v_cndmask_b32_e64 v77, v98, v103, s2
	v_add3_u32 v98, v104, v100, 0x7fff
	v_cmp_u_f32_e64 s2, v100, v100
	v_add3_u32 v97, v97, v101, 0x7fff
	v_or_b32_e32 v103, 0x400000, v101
	v_bfe_u32 v104, v99, 16, 1
	v_mul_f32_e32 v100, s40, v73
	v_cndmask_b32_e64 v74, v98, v75, s2
	v_cmp_u_f32_e64 s2, v101, v101
	v_bfe_u32 v98, v102, 16, 1
	v_or_b32_e32 v73, 0x400000, v99
	v_mul_f32_e32 v101, s40, v72
	v_lshlrev_b32_e32 v106, 16, v20
	v_cndmask_b32_e64 v75, v97, v103, s2
	v_add3_u32 v97, v104, v99, 0x7fff
	v_cmp_u_f32_e64 s2, v99, v99
	v_add3_u32 v98, v98, v102, 0x7fff
	v_or_b32_e32 v103, 0x400000, v102
	v_bfe_u32 v104, v100, 16, 1
	v_mul_f32_e32 v99, s40, v71
	v_cndmask_b32_e64 v72, v97, v73, s2
	v_cmp_u_f32_e64 s2, v102, v102
	v_bfe_u32 v97, v101, 16, 1
	v_or_b32_e32 v71, 0x400000, v100
	v_mul_f32_e32 v102, s40, v70
	v_and_b32_e32 v19, 0xffff0000, v19
	v_cndmask_b32_e64 v73, v98, v103, s2
	v_add3_u32 v98, v104, v100, 0x7fff
	v_cmp_u_f32_e64 s2, v100, v100
	v_add3_u32 v97, v97, v101, 0x7fff
	v_or_b32_e32 v103, 0x400000, v101
	v_bfe_u32 v104, v99, 16, 1
	v_mul_f32_e32 v100, s40, v69
	v_cndmask_b32_e64 v70, v98, v71, s2
	v_cmp_u_f32_e64 s2, v101, v101
	v_bfe_u32 v98, v102, 16, 1
	v_or_b32_e32 v69, 0x400000, v99
	v_mul_f32_e32 v101, s40, v68
	v_lshlrev_b32_e32 v107, 16, v13
	v_cndmask_b32_e64 v71, v97, v103, s2
	v_add3_u32 v97, v104, v99, 0x7fff
	v_cmp_u_f32_e64 s2, v99, v99
	v_add3_u32 v98, v98, v102, 0x7fff
	v_or_b32_e32 v103, 0x400000, v102
	v_bfe_u32 v104, v100, 16, 1
	v_mul_f32_e32 v99, s40, v67
	v_cndmask_b32_e64 v68, v97, v69, s2
	v_cmp_u_f32_e64 s2, v102, v102
	v_bfe_u32 v97, v101, 16, 1
	v_or_b32_e32 v67, 0x400000, v100
	v_mul_f32_e32 v102, s40, v66
	v_and_b32_e32 v20, 0xffff0000, v20
	v_cndmask_b32_e64 v69, v98, v103, s2
	v_add3_u32 v98, v104, v100, 0x7fff
	v_cmp_u_f32_e64 s2, v100, v100
	v_add3_u32 v97, v97, v101, 0x7fff
	v_or_b32_e32 v103, 0x400000, v101
	v_bfe_u32 v104, v99, 16, 1
	v_or_b32_e32 v100, 0x400000, v99
	v_cndmask_b32_e64 v66, v98, v67, s2
	v_cmp_u_f32_e64 s2, v101, v101
	v_bfe_u32 v98, v102, 16, 1
	v_or_b32_e32 v101, 0x400000, v102
	v_and_b32_e32 v13, 0xffff0000, v13
	v_lshlrev_b32_e32 v108, 16, v14
	v_cndmask_b32_e64 v67, v97, v103, s2
	v_add3_u32 v97, v104, v99, 0x7fff
	v_cmp_u_f32_e64 s2, v99, v99
	v_add3_u32 v98, v98, v102, 0x7fff
	v_bfe_u32 v103, v65, 16, 1
	v_bfe_u32 v99, v64, 16, 1
	v_or_b32_e32 v104, 0x400000, v54
	v_cndmask_b32_e64 v97, v97, v100, s2
	v_cmp_u_f32_e64 s2, v102, v102
	v_add3_u32 v100, v103, v65, 0x7fff
	v_add3_u32 v99, v99, v64, 0x7fff
	v_or_b32_e32 v102, 0x400000, v64
	v_bfe_u32 v103, v63, 16, 1
	v_cndmask_b32_e64 v98, v98, v101, s2
	v_or_b32_e32 v101, 0x400000, v65
	v_cmp_u_f32_e64 s2, v65, v65
	v_lshlrev_b32_e32 v109, 16, v15
	v_and_b32_e32 v14, 0xffff0000, v14
	v_and_b32_e32 v15, 0xffff0000, v15
	v_lshlrev_b32_e32 v110, 16, v16
	v_cndmask_b32_e64 v65, v100, v101, s2
	v_cmp_u_f32_e64 s2, v64, v64
	v_bfe_u32 v100, v62, 16, 1
	v_or_b32_e32 v101, 0x400000, v63
	v_lshlrev_b32_e32 v111, 16, v9
	v_and_b32_e32 v16, 0xffff0000, v16
	v_cndmask_b32_e64 v64, v99, v102, s2
	v_add3_u32 v99, v103, v63, 0x7fff
	v_cmp_u_f32_e64 s2, v63, v63
	v_add3_u32 v100, v100, v62, 0x7fff
	v_or_b32_e32 v102, 0x400000, v62
	v_bfe_u32 v103, v61, 16, 1
	v_and_b32_e32 v9, 0xffff0000, v9
	v_cndmask_b32_e64 v63, v99, v101, s2
	v_cmp_u_f32_e64 s2, v62, v62
	v_bfe_u32 v99, v60, 16, 1
	v_or_b32_e32 v101, 0x400000, v61
	v_lshlrev_b32_e32 v112, 16, v10
	v_and_b32_e32 v10, 0xffff0000, v10
	v_cndmask_b32_e64 v62, v100, v102, s2
	v_add3_u32 v100, v103, v61, 0x7fff
	v_cmp_u_f32_e64 s2, v61, v61
	v_add3_u32 v99, v99, v60, 0x7fff
	v_or_b32_e32 v102, 0x400000, v60
	v_bfe_u32 v103, v59, 16, 1
	v_lshlrev_b32_e32 v113, 16, v11
	v_cndmask_b32_e64 v61, v100, v101, s2
	v_cmp_u_f32_e64 s2, v60, v60
	v_bfe_u32 v100, v58, 16, 1
	v_or_b32_e32 v101, 0x400000, v59
	v_lshlrev_b32_e32 v114, 16, v12
	v_and_b32_e32 v61, 0xffff0000, v61
	v_cndmask_b32_e64 v60, v99, v102, s2
	v_add3_u32 v99, v103, v59, 0x7fff
	v_cmp_u_f32_e64 s2, v59, v59
	v_add3_u32 v100, v100, v58, 0x7fff
	v_or_b32_e32 v102, 0x400000, v58
	v_or_b32_e32 v103, 0x400000, v55
	v_and_b32_e32 v11, 0xffff0000, v11
	v_cndmask_b32_e64 v59, v99, v101, s2
	v_bfe_u32 v99, v57, 16, 1
	v_cmp_u_f32_e64 s2, v58, v58
	v_bfe_u32 v101, v56, 16, 1
	v_and_b32_e32 v12, 0xffff0000, v12
	v_and_b32_e32 v59, 0xffff0000, v59
	v_add3_u32 v99, v99, v57, 0x7fff
	v_cndmask_b32_e64 v58, v100, v102, s2
	v_or_b32_e32 v100, 0x400000, v57
	v_cmp_u_f32_e64 s2, v57, v57
	v_bfe_u32 v102, v55, 16, 1
	v_lshlrev_b32_e32 v115, 16, v5
	v_and_b32_e32 v58, 0xffff0000, v58
	v_lshlrev_b32_e32 v116, 16, v6
	v_cndmask_b32_e64 v57, v99, v100, s2
	v_add3_u32 v100, v101, v56, 0x7fff
	v_or_b32_e32 v101, 0x400000, v56
	v_cmp_u_f32_e64 s2, v56, v56
	v_bfe_u32 v99, v54, 16, 1
	v_add3_u32 v102, v102, v55, 0x7fff
	v_and_b32_e32 v57, 0xffff0000, v57
	v_mul_f32_e32 v96, s40, v96
	v_cndmask_b32_e64 v56, v100, v101, s2
	v_cmp_u_f32_e64 s2, v55, v55
	v_add3_u32 v99, v99, v54, 0x7fff
	v_lshlrev_b32_e32 v101, 16, v23
	v_and_b32_e32 v23, 0xffff0000, v23
	v_lshlrev_b32_e32 v100, 16, v22
	v_cndmask_b32_e64 v55, v102, v103, s2
	v_cmp_u_f32_e64 s2, v54, v54
	v_lshlrev_b32_e32 v102, 16, v24
	v_and_b32_e32 v24, 0xffff0000, v24
	v_mul_f32_e32 v23, v23, v59
	v_and_b32_e32 v55, 0xffff0000, v55
	v_cndmask_b32_e64 v54, v99, v104, s2
	v_lshlrev_b32_e32 v99, 16, v21
	v_and_b32_e32 v21, 0xffff0000, v21
	v_and_b32_e32 v59, 0xffff0000, v60
	;; [unrolled: 1-line block ×4, first 2 shown]
	v_mul_f32_e32 v58, v101, v58
	v_and_b32_e32 v56, 0xffff0000, v56
	v_mul_f32_e32 v60, v102, v61
	v_fmac_f32_e32 v23, v21, v55
	v_mul_f32_e32 v21, v24, v59
	v_lshlrev_b32_e32 v103, 16, v17
	v_lshlrev_b32_e32 v104, 16, v18
	v_and_b32_e32 v17, 0xffff0000, v17
	v_and_b32_e32 v18, 0xffff0000, v18
	v_fmac_f32_e32 v58, v99, v54
	v_and_b32_e32 v24, 0xffff0000, v62
	v_fmac_f32_e32 v60, v100, v57
	v_and_b32_e32 v54, 0xffff0000, v63
	v_and_b32_e32 v55, 0xffff0000, v65
	v_fmac_f32_e32 v21, v22, v56
	v_and_b32_e32 v22, 0xffff0000, v64
	v_fmac_f32_e32 v58, v103, v24
	v_fmac_f32_e32 v23, v17, v54
	;; [unrolled: 1-line block ×3, first 2 shown]
	v_and_b32_e32 v17, 0xffff0000, v98
	v_and_b32_e32 v24, 0xffff0000, v97
	v_fmac_f32_e32 v21, v18, v22
	v_and_b32_e32 v18, 0xffff0000, v66
	v_and_b32_e32 v22, 0xffff0000, v67
	v_fmac_f32_e32 v58, v105, v17
	v_fmac_f32_e32 v23, v19, v24
	v_and_b32_e32 v17, 0xffff0000, v69
	v_fmac_f32_e32 v60, v106, v18
	v_and_b32_e32 v18, 0xffff0000, v68
	v_fmac_f32_e32 v21, v20, v22
	v_and_b32_e32 v19, 0xffff0000, v70
	v_fmac_f32_e32 v58, v107, v17
	v_and_b32_e32 v17, 0xffff0000, v71
	v_fmac_f32_e32 v23, v13, v18
	v_and_b32_e32 v13, 0xffff0000, v72
	v_and_b32_e32 v20, 0xffff0000, v73
	v_fmac_f32_e32 v60, v108, v19
	v_fmac_f32_e32 v21, v14, v17
	v_and_b32_e32 v14, 0xffff0000, v74
	v_and_b32_e32 v17, 0xffff0000, v75
	v_fmac_f32_e32 v23, v15, v13
	v_and_b32_e32 v15, 0xffff0000, v76
	v_fmac_f32_e32 v58, v109, v20
	;; [unrolled: 2-line block ×3, first 2 shown]
	v_fmac_f32_e32 v21, v16, v17
	v_and_b32_e32 v14, 0xffff0000, v78
	v_fmac_f32_e32 v23, v9, v15
	v_and_b32_e32 v9, 0xffff0000, v79
	;; [unrolled: 2-line block ×5, first 2 shown]
	v_and_b32_e32 v5, 0xffff0000, v5
	v_and_b32_e32 v6, 0xffff0000, v6
	;; [unrolled: 1-line block ×3, first 2 shown]
	v_fmac_f32_e32 v58, v113, v13
	v_fmac_f32_e32 v23, v11, v14
	v_and_b32_e32 v10, 0xffff0000, v85
	v_and_b32_e32 v11, 0xffff0000, v84
	v_fmac_f32_e32 v21, v12, v9
	v_and_b32_e32 v12, 0xffff0000, v87
	v_lshlrev_b32_e32 v117, 16, v7
	v_mul_f32_e32 v95, s40, v95
	v_bfe_u32 v120, v96, 16, 1
	v_and_b32_e32 v7, 0xffff0000, v7
	v_fmac_f32_e32 v60, v114, v15
	v_and_b32_e32 v9, 0xffff0000, v86
	v_fmac_f32_e32 v58, v115, v10
	v_fmac_f32_e32 v23, v5, v11
	v_and_b32_e32 v5, 0xffff0000, v89
	v_fmac_f32_e32 v21, v6, v12
	v_and_b32_e32 v6, 0xffff0000, v88
	v_lshlrev_b32_e32 v118, 16, v8
	v_lshlrev_b32_e32 v119, 16, v1
	v_bfe_u32 v122, v95, 16, 1
	v_add3_u32 v120, v120, v96, 0x7fff
	v_or_b32_e32 v125, 0x400000, v96
	v_cmp_u_f32_e64 s2, v96, v96
	v_and_b32_e32 v8, 0xffff0000, v8
	v_and_b32_e32 v1, 0xffff0000, v1
	v_fmac_f32_e32 v60, v116, v9
	v_and_b32_e32 v9, 0xffff0000, v90
	v_fmac_f32_e32 v58, v117, v5
	v_and_b32_e32 v5, 0xffff0000, v91
	v_and_b32_e32 v10, 0xffff0000, v93
	v_fmac_f32_e32 v23, v7, v6
	v_and_b32_e32 v6, 0xffff0000, v92
	v_lshlrev_b32_e32 v121, 16, v2
	v_lshlrev_b32_e32 v123, 16, v3
	v_add3_u32 v122, v122, v95, 0x7fff
	v_or_b32_e32 v126, 0x400000, v95
	v_cndmask_b32_e64 v96, v120, v125, s2
	v_cmp_u_f32_e64 s2, v95, v95
	v_and_b32_e32 v3, 0xffff0000, v3
	v_fmac_f32_e32 v60, v118, v9
	v_fmac_f32_e32 v21, v8, v5
	v_fmac_f32_e32 v58, v119, v10
	v_and_b32_e32 v5, 0xffff0000, v94
	v_and_b32_e32 v7, 0xffff0000, v31
	v_fmac_f32_e32 v23, v1, v6
	v_and_b32_e32 v1, 0xffff0000, v25
	v_lshlrev_b32_e32 v124, 16, v4
	v_xor_b32_e32 v127, 1, v39
	v_cndmask_b32_e64 v95, v122, v126, s2
	v_and_b32_e32 v2, 0xffff0000, v2
	v_and_b32_e32 v6, 0xffff0000, v32
	v_fmac_f32_e32 v60, v121, v5
	v_fmac_f32_e32 v58, v123, v7
	v_and_b32_e32 v5, 0xffff0000, v96
	v_fmac_f32_e32 v23, v3, v1
	v_and_b32_e32 v1, 0xffff0000, v4
	;; [unrolled: 2-line block ×3, first 2 shown]
	v_fmac_f32_e32 v60, v124, v5
	v_add_f32_e32 v3, v58, v23
	v_cmp_gt_i32_e64 s2, 32, v127
	v_fmac_f32_e32 v21, v1, v2
	v_add_f32_e32 v1, v3, v60
	v_cndmask_b32_e64 v4, v39, v127, s2
	v_add_f32_e32 v1, v1, v21
	v_lshlrev_b32_e32 v2, 2, v4
	ds_bpermute_b32 v2, v2, v1
	s_and_saveexec_b32 s40, vcc_lo
	s_cbranch_execz .LBB325_10
; %bb.402:                              ;   in Loop: Header=BB325_12 Depth=1
	v_add_nc_u32_e32 v3, v50, v43
	s_waitcnt lgkmcnt(0)
	v_add_f32_e32 v1, v1, v2
	v_cvt_f32_i32_e32 v3, v3
	v_mul_f32_e32 v3, s36, v3
	v_cndmask_b32_e64 v2, 0, v3, s1
	v_max_f32_e32 v3, v42, v42
	v_fmac_f32_e32 v2, s35, v1
	v_add_nc_u32_e32 v1, v40, v43
	v_max_f32_e32 v3, v3, v2
	v_cmp_gt_i32_e64 s2, s33, v1
	v_cndmask_b32_e64 v1, 0, v2, s2
	v_cndmask_b32_e64 v42, v42, v3, s2
	ds_write_b32 v51, v1
	s_branch .LBB325_10
.LBB325_403:
	s_or_b32 exec_lo, exec_lo, s38
.LBB325_404:
	s_or_b32 exec_lo, exec_lo, s37
	v_xor_b32_e32 v1, 16, v39
	v_xor_b32_e32 v3, 8, v39
	v_max_f32_e32 v5, v42, v42
	v_xor_b32_e32 v6, 2, v39
	v_and_b32_e32 v21, 31, v0
	v_cmp_gt_i32_e32 vcc_lo, 32, v1
	v_cndmask_b32_e32 v1, v39, v1, vcc_lo
	v_cmp_gt_i32_e32 vcc_lo, 32, v3
	s_waitcnt lgkmcnt(0)
	v_lshlrev_b32_e32 v2, 2, v1
	v_cndmask_b32_e32 v3, v39, v3, vcc_lo
	ds_bpermute_b32 v1, v2, v42
	v_lshlrev_b32_e32 v4, 2, v3
	s_waitcnt lgkmcnt(0)
	v_max_f32_e32 v1, v1, v1
	v_max_f32_e32 v1, v5, v1
	v_xor_b32_e32 v5, 4, v39
	ds_bpermute_b32 v3, v4, v1
	v_cmp_gt_i32_e32 vcc_lo, 32, v5
	v_cndmask_b32_e32 v5, v39, v5, vcc_lo
	v_cmp_gt_i32_e32 vcc_lo, 32, v6
	v_lshlrev_b32_e32 v5, 2, v5
	v_cndmask_b32_e32 v6, v39, v6, vcc_lo
	v_cmp_eq_u32_e32 vcc_lo, 0, v21
	s_waitcnt lgkmcnt(0)
	v_max_f32_e32 v3, v3, v3
	v_max_f32_e32 v1, v1, v3
	ds_bpermute_b32 v3, v5, v1
	s_waitcnt lgkmcnt(0)
	v_max_f32_e32 v3, v3, v3
	v_max_f32_e32 v3, v1, v3
	v_lshlrev_b32_e32 v1, 2, v6
	v_lshlrev_b32_e32 v6, 2, v35
	ds_bpermute_b32 v7, v1, v3
	s_and_saveexec_b32 s1, vcc_lo
	s_cbranch_execz .LBB325_406
; %bb.405:
	s_waitcnt lgkmcnt(0)
	v_max_f32_e32 v7, v7, v7
	v_max_f32_e32 v3, v3, v3
	;; [unrolled: 1-line block ×3, first 2 shown]
	ds_write_b32 v6, v3 offset:192
.LBB325_406:
	s_or_b32 exec_lo, exec_lo, s1
	v_cmp_gt_u32_e64 s1, 4, v21
	v_mov_b32_e32 v3, 0xff7fffff
	s_waitcnt lgkmcnt(0)
	v_lshlrev_b32_e32 v7, 2, v21
	s_barrier
	buffer_gl0_inv
	s_and_saveexec_b32 s2, s1
; %bb.407:
	ds_read_b32 v3, v7 offset:192
; %bb.408:
	s_or_b32 exec_lo, exec_lo, s2
	s_waitcnt lgkmcnt(0)
	ds_bpermute_b32 v8, v1, v3
	v_xor_b32_e32 v9, 1, v39
	v_max_f32_e32 v3, v3, v3
	v_cmp_gt_i32_e64 s2, 32, v9
	v_cndmask_b32_e64 v9, v39, v9, s2
	s_lshl_b32 s2, s20, 4
	s_min_i32 s4, s2, s33
	v_lshlrev_b32_e32 v22, 2, v9
	v_cmp_gt_i32_e64 s2, s4, v0
	s_waitcnt lgkmcnt(0)
	v_max_f32_e32 v8, v8, v8
	v_max_f32_e32 v3, v3, v8
	ds_bpermute_b32 v8, v22, v3
	s_waitcnt lgkmcnt(0)
	v_max_f32_e32 v8, v8, v8
	v_max_f32_e32 v3, v3, v8
	v_mov_b32_e32 v8, 0
	ds_bpermute_b32 v9, v8, v3
	v_lshl_add_u32 v3, v0, 2, 0xe0
	s_and_saveexec_b32 s5, s2
	s_cbranch_execz .LBB325_412
; %bb.409:
	v_lshl_add_u32 v10, v0, 2, 0xe0
	v_mov_b32_e32 v8, 0
	v_mov_b32_e32 v11, v0
	s_mov_b32 s12, 0
	.p2align	6
.LBB325_410:                            ; =>This Inner Loop Header: Depth=1
	ds_read_b32 v12, v10
	v_add_nc_u32_e32 v11, 0x80, v11
	v_cmp_le_i32_e64 s3, s4, v11
	s_or_b32 s12, s3, s12
	s_waitcnt lgkmcnt(0)
	v_sub_f32_e32 v12, v12, v9
	v_mul_f32_e32 v12, 0x3fb8aa3b, v12
	v_exp_f32_e32 v12, v12
	ds_write_b32 v10, v12
	v_add_f32_e32 v8, v8, v12
	v_add_nc_u32_e32 v10, 0x200, v10
	s_andn2_b32 exec_lo, exec_lo, s12
	s_cbranch_execnz .LBB325_410
; %bb.411:
	s_or_b32 exec_lo, exec_lo, s12
.LBB325_412:
	s_or_b32 exec_lo, exec_lo, s5
	ds_bpermute_b32 v2, v2, v8
	s_waitcnt lgkmcnt(0)
	v_add_f32_e32 v2, v8, v2
	ds_bpermute_b32 v4, v4, v2
	s_waitcnt lgkmcnt(0)
	v_add_f32_e32 v2, v2, v4
	;; [unrolled: 3-line block ×5, first 2 shown]
	s_and_saveexec_b32 s3, vcc_lo
; %bb.413:
	ds_write_b32 v6, v2 offset:208
; %bb.414:
	s_or_b32 exec_lo, exec_lo, s3
	s_waitcnt lgkmcnt(0)
	s_barrier
	buffer_gl0_inv
	s_and_saveexec_b32 s3, s1
; %bb.415:
	ds_read_b32 v2, v7 offset:208
; %bb.416:
	s_or_b32 exec_lo, exec_lo, s3
	s_waitcnt lgkmcnt(0)
	ds_bpermute_b32 v1, v1, v2
	s_waitcnt lgkmcnt(0)
	v_add_f32_e32 v1, v2, v1
	ds_bpermute_b32 v2, v22, v1
	s_waitcnt lgkmcnt(0)
	v_add_f32_e32 v1, v1, v2
	v_mov_b32_e32 v2, 0
	ds_bpermute_b32 v1, v2, v1
	s_and_saveexec_b32 s1, s2
	s_cbranch_execz .LBB325_419
; %bb.417:
	s_waitcnt lgkmcnt(0)
	v_add_f32_e32 v1, 0x358637bd, v1
	s_mov_b32 s2, 0
	v_div_scale_f32 v2, null, v1, v1, 1.0
	v_div_scale_f32 v6, vcc_lo, 1.0, v1, 1.0
	v_rcp_f32_e32 v4, v2
	v_fma_f32 v5, -v2, v4, 1.0
	v_fmac_f32_e32 v4, v5, v4
	v_mul_f32_e32 v5, v6, v4
	v_fma_f32 v7, -v2, v5, v6
	v_fmac_f32_e32 v5, v7, v4
	v_fma_f32 v2, -v2, v5, v6
	v_div_fmas_f32 v2, v2, v4, v5
	v_div_fixup_f32 v1, v2, v1, 1.0
	v_mov_b32_e32 v2, v0
.LBB325_418:                            ; =>This Inner Loop Header: Depth=1
	ds_read_b32 v4, v3
	v_add_nc_u32_e32 v2, 0x80, v2
	v_cmp_le_i32_e32 vcc_lo, s4, v2
	s_or_b32 s2, vcc_lo, s2
	s_waitcnt lgkmcnt(0)
	v_mul_f32_e32 v4, v1, v4
	ds_write_b32 v3, v4
	v_add_nc_u32_e32 v3, 0x200, v3
	s_andn2_b32 exec_lo, exec_lo, s2
	s_cbranch_execnz .LBB325_418
.LBB325_419:
	s_or_b32 exec_lo, exec_lo, s1
	v_mov_b32_e32 v28, 0
	v_mov_b32_e32 v27, 0
	;; [unrolled: 1-line block ×6, first 2 shown]
	s_waitcnt lgkmcnt(0)
	s_barrier
	buffer_gl0_inv
	s_and_saveexec_b32 s1, s0
	s_cbranch_execz .LBB325_797
; %bb.420:
	s_sub_i32 s4, s34, s21
	s_ashr_i32 s0, s18, 31
	s_add_u32 s18, s30, s18
	s_addc_u32 s0, s31, s0
	s_abs_i32 s5, s22
	v_and_b32_e32 v2, 0xf8, v37
	v_cvt_f32_u32_e32 v1, s5
	s_sub_i32 s2, 0, s5
	v_lshlrev_b32_e32 v4, 5, v34
	s_mov_b32 s12, s17
	v_add_co_u32 v11, s17, s18, v2
	v_rcp_iflag_f32_e32 v1, v1
	v_and_b32_e32 v3, 0x7c, v38
	s_add_i32 s13, s20, -1
	v_lshl_or_b32 v4, v35, 6, v4
	v_add_co_ci_u32_e64 v12, null, s0, 0, s17
	v_and_b32_e32 v29, 8, v37
	v_mov_b32_e32 v10, 0
	v_mov_b32_e32 v30, 0x80
	;; [unrolled: 1-line block ×3, first 2 shown]
	v_mul_f32_e32 v1, 0x4f7ffffe, v1
	v_mov_b32_e32 v32, 0xff
	v_mov_b32_e32 v37, 7
	;; [unrolled: 1-line block ×4, first 2 shown]
	v_cvt_u32_f32_e32 v1, v1
	v_mov_b32_e32 v24, 0
	v_mov_b32_e32 v25, 0
	;; [unrolled: 1-line block ×4, first 2 shown]
	v_mul_lo_u32 v5, s2, v1
	s_lshl_b64 s[2:3], s[28:29], 2
	v_mov_b32_e32 v28, 0
	s_add_u32 s0, s26, s2
	s_addc_u32 s2, s27, s3
	v_add_co_u32 v13, s0, s0, v3
	v_add_co_ci_u32_e64 v14, null, s2, 0, s0
	v_mul_hi_u32 v2, v1, v5
	v_add_nc_u32_e32 v39, 0xe0, v4
	v_mov_b32_e32 v41, v35
	s_mov_b32 s2, -1
	s_mov_b32 s3, 0xffffff
	s_mov_b32 s17, 0
	v_add_nc_u32_e32 v40, v1, v2
	s_branch .LBB325_423
.LBB325_421:                            ;   in Loop: Header=BB325_423 Depth=1
	s_or_b32 exec_lo, exec_lo, s0
	v_bfe_u32 v50, v5, 16, 1
	v_or_b32_e32 v51, 0x400000, v5
	v_bfe_u32 v52, v6, 16, 1
	v_cmp_u_f32_e32 vcc_lo, v5, v5
	v_bfe_u32 v53, v7, 16, 1
	v_add3_u32 v50, v50, v5, 0x7fff
	v_or_b32_e32 v54, 0x400000, v6
	v_add3_u32 v52, v52, v6, 0x7fff
	v_or_b32_e32 v55, 0x400000, v7
	v_add3_u32 v53, v53, v7, 0x7fff
	v_cndmask_b32_e32 v5, v50, v51, vcc_lo
	v_cmp_u_f32_e32 vcc_lo, v6, v6
	v_bfe_u32 v50, v8, 16, 1
	v_bfe_u32 v51, v1, 16, 1
	v_lshlrev_b32_e32 v19, 16, v19
	v_lshlrev_b32_e32 v68, 16, v68
	v_cndmask_b32_e32 v6, v52, v54, vcc_lo
	v_cmp_u_f32_e32 vcc_lo, v7, v7
	v_add3_u32 v50, v50, v8, 0x7fff
	v_or_b32_e32 v52, 0x400000, v8
	v_add3_u32 v51, v51, v1, 0x7fff
	v_bfe_u32 v54, v2, 16, 1
	v_cndmask_b32_e32 v7, v53, v55, vcc_lo
	v_cmp_u_f32_e32 vcc_lo, v8, v8
	v_or_b32_e32 v53, 0x400000, v1
	v_lshlrev_b32_e32 v63, 16, v63
	v_lshlrev_b32_e32 v58, 16, v58
	v_and_b32_e32 v7, 0xffff0000, v7
	v_cndmask_b32_e32 v8, v50, v52, vcc_lo
	v_cmp_u_f32_e32 vcc_lo, v1, v1
	v_or_b32_e32 v52, 0x400000, v2
	v_and_b32_e32 v1, 0xffff0000, v6
	v_lshlrev_b32_e32 v6, 16, v87
	v_lshlrev_b32_e32 v59, 16, v59
	v_cndmask_b32_e32 v50, v51, v53, vcc_lo
	v_add3_u32 v51, v54, v2, 0x7fff
	v_bfe_u32 v53, v3, 16, 1
	v_cmp_u_f32_e32 vcc_lo, v2, v2
	v_mul_f32_e32 v54, v1, v6
	v_and_b32_e32 v6, 0xffff0000, v5
	v_lshlrev_b32_e32 v5, 16, v86
	v_add3_u32 v2, v53, v3, 0x7fff
	v_cndmask_b32_e32 v51, v51, v52, vcc_lo
	v_or_b32_e32 v52, 0x400000, v3
	v_bfe_u32 v53, v4, 16, 1
	v_cmp_u_f32_e32 vcc_lo, v3, v3
	v_bfe_u32 v55, v54, 16, 1
	v_mul_f32_e32 v5, v6, v5
	v_lshlrev_b32_e32 v49, 16, v49
	v_add3_u32 v3, v53, v4, 0x7fff
	v_cndmask_b32_e32 v52, v2, v52, vcc_lo
	v_or_b32_e32 v53, 0x400000, v4
	v_and_b32_e32 v2, 0xffff0000, v8
	v_lshlrev_b32_e32 v8, 16, v84
	v_cmp_u_f32_e32 vcc_lo, v4, v4
	v_mul_f32_e32 v49, v1, v49
	v_lshlrev_b32_e32 v48, 16, v48
	v_lshlrev_b32_e32 v45, 16, v45
	v_mul_f32_e32 v56, v2, v8
	v_cndmask_b32_e32 v4, v3, v53, vcc_lo
	v_add3_u32 v3, v55, v54, 0x7fff
	v_or_b32_e32 v53, 0x400000, v54
	v_bfe_u32 v55, v5, 16, 1
	v_lshlrev_b32_e32 v8, 16, v85
	v_cmp_u_f32_e32 vcc_lo, v54, v54
	v_bfe_u32 v57, v56, 16, 1
	v_and_b32_e32 v4, 0xffff0000, v4
	v_add3_u32 v54, v55, v5, 0x7fff
	v_or_b32_e32 v55, 0x400000, v5
	v_cndmask_b32_e32 v53, v3, v53, vcc_lo
	v_mul_f32_e32 v84, v7, v8
	v_and_b32_e32 v3, 0xffff0000, v51
	v_lshlrev_b32_e32 v8, 16, v20
	v_cmp_u_f32_e32 vcc_lo, v5, v5
	v_add3_u32 v5, v57, v56, 0x7fff
	v_or_b32_e32 v51, 0x400000, v56
	v_lshlrev_b32_e32 v57, 16, v83
	v_and_b32_e32 v53, 0xffff0000, v53
	v_cndmask_b32_e32 v20, v54, v55, vcc_lo
	v_bfe_u32 v54, v84, 16, 1
	v_mul_f32_e32 v55, v3, v8
	v_and_b32_e32 v8, 0xffff0000, v50
	v_cmp_u_f32_e32 vcc_lo, v56, v56
	v_mul_f32_e32 v57, v4, v57
	v_and_b32_e32 v20, 0xffff0000, v20
	v_bfe_u32 v56, v55, 16, 1
	v_mul_f32_e32 v19, v8, v19
	v_cndmask_b32_e32 v50, v5, v51, vcc_lo
	v_add3_u32 v51, v54, v84, 0x7fff
	v_or_b32_e32 v54, 0x400000, v84
	v_and_b32_e32 v5, 0xffff0000, v52
	v_lshlrev_b32_e32 v52, 16, v82
	v_cmp_u_f32_e32 vcc_lo, v84, v84
	v_add3_u32 v56, v56, v55, 0x7fff
	v_or_b32_e32 v82, 0x400000, v55
	v_or_b32_e32 v83, 0x400000, v19
	v_mul_f32_e32 v52, v5, v52
	v_cndmask_b32_e32 v51, v51, v54, vcc_lo
	v_bfe_u32 v54, v19, 16, 1
	v_cmp_u_f32_e32 vcc_lo, v55, v55
	v_bfe_u32 v84, v57, 16, 1
	v_bfe_u32 v85, v52, 16, 1
	v_and_b32_e32 v51, 0xffff0000, v51
	v_add3_u32 v54, v54, v19, 0x7fff
	v_cndmask_b32_e32 v55, v56, v82, vcc_lo
	v_cmp_u_f32_e32 vcc_lo, v19, v19
	v_add3_u32 v56, v85, v52, 0x7fff
	v_or_b32_e32 v82, 0x400000, v52
	v_and_b32_e32 v50, 0xffff0000, v50
	v_add_f32_e32 v20, v20, v53
	v_cndmask_b32_e32 v19, v54, v83, vcc_lo
	v_cmp_u_f32_e32 vcc_lo, v52, v52
	v_add3_u32 v54, v84, v57, 0x7fff
	v_or_b32_e32 v83, 0x400000, v57
	v_add_f32_e32 v50, v51, v50
	v_and_b32_e32 v19, 0xffff0000, v19
	v_cndmask_b32_e32 v52, v56, v82, vcc_lo
	v_cmp_u_f32_e32 vcc_lo, v57, v57
	v_and_b32_e32 v51, 0xffff0000, v55
	v_add_f32_e32 v20, v50, v20
	v_lshlrev_b32_e32 v55, 16, v79
	v_and_b32_e32 v50, 0xffff0000, v52
	v_cndmask_b32_e32 v53, v54, v83, vcc_lo
	v_add_f32_e32 v19, v19, v51
	v_lshlrev_b32_e32 v52, 16, v81
	v_lshlrev_b32_e32 v57, 16, v78
	v_mul_f32_e32 v48, v6, v48
	v_and_b32_e32 v51, 0xffff0000, v53
	v_lshlrev_b32_e32 v53, 16, v80
	v_add_f32_e32 v19, v19, v20
	v_mul_f32_e32 v45, v2, v45
	v_lshlrev_b32_e32 v47, 16, v47
	v_add_f32_e32 v20, v50, v51
	v_mul_f32_e32 v50, v1, v52
	v_mul_f32_e32 v51, v6, v53
	v_lshlrev_b32_e32 v53, 16, v77
	v_lshlrev_b32_e32 v43, 16, v43
	v_add_f32_e32 v19, v20, v19
	v_bfe_u32 v20, v50, 16, 1
	v_bfe_u32 v52, v51, 16, 1
	v_cmp_u_f32_e32 vcc_lo, v50, v50
	v_mul_f32_e32 v53, v2, v53
	v_add_f32_e32 v24, v24, v19
	v_add3_u32 v19, v20, v50, 0x7fff
	v_or_b32_e32 v20, 0x400000, v50
	v_add3_u32 v52, v52, v51, 0x7fff
	v_or_b32_e32 v54, 0x400000, v51
	v_mul_f32_e32 v47, v7, v47
	v_mul_f32_e32 v43, v3, v43
	v_cndmask_b32_e32 v19, v19, v20, vcc_lo
	v_cmp_u_f32_e32 vcc_lo, v51, v51
	v_bfe_u32 v20, v53, 16, 1
	v_mul_f32_e32 v51, v7, v55
	v_lshlrev_b32_e32 v55, 16, v75
	v_and_b32_e32 v19, 0xffff0000, v19
	v_cndmask_b32_e32 v50, v52, v54, vcc_lo
	v_lshlrev_b32_e32 v52, 16, v74
	v_add3_u32 v20, v20, v53, 0x7fff
	v_or_b32_e32 v54, 0x400000, v53
	v_bfe_u32 v56, v51, 16, 1
	v_cmp_u_f32_e32 vcc_lo, v53, v53
	v_mul_f32_e32 v52, v3, v52
	v_mul_f32_e32 v53, v8, v55
	v_or_b32_e32 v55, 0x400000, v51
	v_and_b32_e32 v50, 0xffff0000, v50
	v_cndmask_b32_e32 v20, v20, v54, vcc_lo
	v_add3_u32 v54, v56, v51, 0x7fff
	v_bfe_u32 v56, v52, 16, 1
	v_bfe_u32 v74, v53, 16, 1
	v_cmp_u_f32_e32 vcc_lo, v51, v51
	v_or_b32_e32 v75, 0x400000, v53
	v_and_b32_e32 v20, 0xffff0000, v20
	v_add_f32_e32 v19, v50, v19
	v_lshlrev_b32_e32 v42, 16, v42
	v_cndmask_b32_e32 v51, v54, v55, vcc_lo
	v_add3_u32 v54, v56, v52, 0x7fff
	v_mul_f32_e32 v55, v4, v57
	v_or_b32_e32 v56, 0x400000, v52
	v_add3_u32 v57, v74, v53, 0x7fff
	v_lshlrev_b32_e32 v74, 16, v76
	v_cmp_u_f32_e32 vcc_lo, v52, v52
	v_bfe_u32 v76, v55, 16, 1
	v_and_b32_e32 v51, 0xffff0000, v51
	v_lshlrev_b32_e32 v46, 16, v46
	v_mul_f32_e32 v42, v8, v42
	v_cndmask_b32_e32 v52, v54, v56, vcc_lo
	v_mul_f32_e32 v54, v5, v74
	v_cmp_u_f32_e32 vcc_lo, v53, v53
	v_add3_u32 v56, v76, v55, 0x7fff
	v_add_f32_e32 v20, v51, v20
	v_and_b32_e32 v51, 0xffff0000, v52
	v_bfe_u32 v74, v54, 16, 1
	v_cndmask_b32_e32 v53, v57, v75, vcc_lo
	v_or_b32_e32 v57, 0x400000, v55
	v_cmp_u_f32_e32 vcc_lo, v55, v55
	v_lshlrev_b32_e32 v52, 16, v73
	v_add_f32_e32 v19, v20, v19
	v_and_b32_e32 v50, 0xffff0000, v53
	v_lshlrev_b32_e32 v53, 16, v72
	v_cndmask_b32_e32 v55, v56, v57, vcc_lo
	v_add3_u32 v56, v74, v54, 0x7fff
	v_or_b32_e32 v57, 0x400000, v54
	v_cmp_u_f32_e32 vcc_lo, v54, v54
	v_mul_f32_e32 v52, v1, v52
	v_add_f32_e32 v20, v50, v51
	v_mul_f32_e32 v50, v6, v53
	v_and_b32_e32 v53, 0xffff0000, v55
	v_cndmask_b32_e32 v54, v56, v57, vcc_lo
	v_lshlrev_b32_e32 v56, 16, v69
	v_add_f32_e32 v19, v20, v19
	v_bfe_u32 v55, v50, 16, 1
	v_cmp_u_f32_e32 vcc_lo, v52, v52
	v_and_b32_e32 v51, 0xffff0000, v54
	v_bfe_u32 v54, v52, 16, 1
	v_lshlrev_b32_e32 v57, 16, v71
	v_mul_f32_e32 v46, v4, v46
	v_lshlrev_b32_e32 v44, 16, v44
	v_add_f32_e32 v20, v51, v53
	v_add3_u32 v51, v54, v52, 0x7fff
	v_or_b32_e32 v53, 0x400000, v52
	v_add3_u32 v54, v55, v50, 0x7fff
	v_mul_f32_e32 v55, v2, v56
	v_or_b32_e32 v56, 0x400000, v50
	v_mul_f32_e32 v44, v5, v44
	v_cndmask_b32_e32 v51, v51, v53, vcc_lo
	v_cmp_u_f32_e32 vcc_lo, v50, v50
	v_bfe_u32 v52, v55, 16, 1
	v_mul_f32_e32 v53, v7, v57
	v_lshlrev_b32_e32 v57, 16, v67
	v_lshlrev_b32_e32 v67, 16, v70
	v_cndmask_b32_e32 v50, v54, v56, vcc_lo
	v_lshlrev_b32_e32 v54, 16, v66
	v_add3_u32 v52, v52, v55, 0x7fff
	v_or_b32_e32 v56, 0x400000, v55
	v_bfe_u32 v66, v53, 16, 1
	v_cmp_u_f32_e32 vcc_lo, v55, v55
	v_mul_f32_e32 v54, v3, v54
	v_mul_f32_e32 v55, v8, v57
	v_or_b32_e32 v57, 0x400000, v53
	v_and_b32_e32 v50, 0xffff0000, v50
	v_cndmask_b32_e32 v52, v52, v56, vcc_lo
	v_add3_u32 v56, v66, v53, 0x7fff
	v_bfe_u32 v66, v54, 16, 1
	v_cmp_u_f32_e32 vcc_lo, v53, v53
	v_bfe_u32 v69, v55, 16, 1
	v_and_b32_e32 v51, 0xffff0000, v51
	v_and_b32_e32 v52, 0xffff0000, v52
	v_lshlrev_b32_e32 v16, 16, v16
	v_cndmask_b32_e32 v53, v56, v57, vcc_lo
	v_add3_u32 v56, v66, v54, 0x7fff
	v_mul_f32_e32 v57, v4, v67
	v_or_b32_e32 v66, 0x400000, v54
	v_cmp_u_f32_e32 vcc_lo, v54, v54
	v_add3_u32 v67, v69, v55, 0x7fff
	v_or_b32_e32 v69, 0x400000, v55
	v_bfe_u32 v70, v57, 16, 1
	v_and_b32_e32 v53, 0xffff0000, v53
	v_cndmask_b32_e32 v54, v56, v66, vcc_lo
	v_mul_f32_e32 v56, v5, v68
	v_cmp_u_f32_e32 vcc_lo, v55, v55
	v_add3_u32 v66, v70, v57, 0x7fff
	v_add_f32_e32 v50, v50, v51
	v_add_f32_e32 v51, v53, v52
	v_bfe_u32 v68, v56, 16, 1
	v_cndmask_b32_e32 v55, v67, v69, vcc_lo
	v_or_b32_e32 v67, 0x400000, v57
	v_cmp_u_f32_e32 vcc_lo, v57, v57
	v_and_b32_e32 v53, 0xffff0000, v54
	v_lshlrev_b32_e32 v54, 16, v65
	v_and_b32_e32 v52, 0xffff0000, v55
	v_add_f32_e32 v50, v51, v50
	v_cndmask_b32_e32 v57, v66, v67, vcc_lo
	v_add3_u32 v66, v68, v56, 0x7fff
	v_or_b32_e32 v67, 0x400000, v56
	v_cmp_u_f32_e32 vcc_lo, v56, v56
	v_lshlrev_b32_e32 v56, 16, v64
	v_add_f32_e32 v51, v52, v53
	v_mul_f32_e32 v52, v1, v54
	v_lshlrev_b32_e32 v15, 16, v15
	v_cndmask_b32_e32 v55, v66, v67, vcc_lo
	v_mul_f32_e32 v54, v6, v56
	v_lshlrev_b32_e32 v56, 16, v61
	v_add_f32_e32 v50, v51, v50
	v_cmp_u_f32_e32 vcc_lo, v52, v52
	v_and_b32_e32 v53, 0xffff0000, v55
	v_and_b32_e32 v55, 0xffff0000, v57
	v_bfe_u32 v57, v52, 16, 1
	v_bfe_u32 v61, v54, 16, 1
	v_lshlrev_b32_e32 v9, 16, v9
	v_lshlrev_b32_e32 v17, 16, v17
	v_add_f32_e32 v51, v53, v55
	v_mul_f32_e32 v53, v2, v56
	v_add3_u32 v55, v57, v52, 0x7fff
	v_or_b32_e32 v56, 0x400000, v52
	v_add3_u32 v57, v61, v54, 0x7fff
	v_or_b32_e32 v61, 0x400000, v54
	v_bfe_u32 v64, v53, 16, 1
	v_mul_f32_e32 v2, v2, v16
	v_cndmask_b32_e32 v52, v55, v56, vcc_lo
	v_cmp_u_f32_e32 vcc_lo, v54, v54
	v_mul_f32_e32 v55, v7, v63
	v_add3_u32 v56, v64, v53, 0x7fff
	v_and_b32_e32 v52, 0xffff0000, v52
	v_cndmask_b32_e32 v54, v57, v61, vcc_lo
	v_or_b32_e32 v57, 0x400000, v53
	v_cmp_u_f32_e32 vcc_lo, v53, v53
	v_bfe_u32 v61, v55, 16, 1
	v_and_b32_e32 v54, 0xffff0000, v54
	v_cndmask_b32_e32 v53, v56, v57, vcc_lo
	v_mul_f32_e32 v56, v3, v58
	v_mul_f32_e32 v57, v8, v59
	v_add3_u32 v58, v61, v55, 0x7fff
	v_or_b32_e32 v59, 0x400000, v55
	v_lshlrev_b32_e32 v61, 16, v62
	v_bfe_u32 v62, v56, 16, 1
	v_cmp_u_f32_e32 vcc_lo, v55, v55
	v_bfe_u32 v63, v57, 16, 1
	v_and_b32_e32 v53, 0xffff0000, v53
	v_add_f32_e32 v52, v54, v52
	v_mul_f32_e32 v8, v8, v15
	v_cndmask_b32_e32 v55, v58, v59, vcc_lo
	v_mul_f32_e32 v58, v4, v61
	v_add3_u32 v59, v62, v56, 0x7fff
	v_or_b32_e32 v61, 0x400000, v56
	v_cmp_u_f32_e32 vcc_lo, v56, v56
	v_add3_u32 v62, v63, v57, 0x7fff
	v_or_b32_e32 v63, 0x400000, v57
	v_bfe_u32 v64, v58, 16, 1
	v_and_b32_e32 v55, 0xffff0000, v55
	v_cndmask_b32_e32 v56, v59, v61, vcc_lo
	v_lshlrev_b32_e32 v59, 16, v60
	v_cmp_u_f32_e32 vcc_lo, v57, v57
	v_add3_u32 v60, v64, v58, 0x7fff
	v_or_b32_e32 v61, 0x400000, v58
	v_add_f32_e32 v53, v55, v53
	v_mul_f32_e32 v59, v5, v59
	v_cndmask_b32_e32 v57, v62, v63, vcc_lo
	v_cmp_u_f32_e32 vcc_lo, v58, v58
	v_and_b32_e32 v55, 0xffff0000, v56
	v_add_f32_e32 v52, v53, v52
	v_mul_f32_e32 v3, v3, v9
	v_and_b32_e32 v54, 0xffff0000, v57
	v_cndmask_b32_e32 v58, v60, v61, vcc_lo
	v_bfe_u32 v60, v59, 16, 1
	v_or_b32_e32 v57, 0x400000, v59
	v_cmp_u_f32_e32 vcc_lo, v59, v59
	v_add_f32_e32 v53, v54, v55
	v_bfe_u32 v55, v49, 16, 1
	v_add3_u32 v56, v60, v59, 0x7fff
	v_lshlrev_b32_e32 v9, 16, v18
	v_mul_f32_e32 v4, v4, v17
	v_add_f32_e32 v52, v53, v52
	v_or_b32_e32 v17, 0x400000, v3
	v_cndmask_b32_e32 v54, v56, v57, vcc_lo
	v_bfe_u32 v57, v48, 16, 1
	v_cmp_u_f32_e32 vcc_lo, v49, v49
	v_and_b32_e32 v56, 0xffff0000, v58
	v_or_b32_e32 v58, 0x400000, v45
	v_and_b32_e32 v53, 0xffff0000, v54
	v_add3_u32 v54, v55, v49, 0x7fff
	v_or_b32_e32 v55, 0x400000, v49
	v_mul_f32_e32 v5, v5, v9
	v_or_b32_e32 v9, 0x400000, v8
	v_cndmask_b32_e32 v49, v54, v55, vcc_lo
	v_bfe_u32 v54, v45, 16, 1
	v_add3_u32 v55, v57, v48, 0x7fff
	v_or_b32_e32 v57, 0x400000, v48
	v_cmp_u_f32_e32 vcc_lo, v48, v48
	v_and_b32_e32 v49, 0xffff0000, v49
	v_add3_u32 v54, v54, v45, 0x7fff
	v_bfe_u32 v18, v5, 16, 1
	v_cndmask_b32_e32 v48, v55, v57, vcc_lo
	v_bfe_u32 v55, v47, 16, 1
	v_cmp_u_f32_e32 vcc_lo, v45, v45
	v_or_b32_e32 v57, 0x400000, v47
	v_and_b32_e32 v48, 0xffff0000, v48
	v_add3_u32 v55, v55, v47, 0x7fff
	v_cndmask_b32_e32 v45, v54, v58, vcc_lo
	v_bfe_u32 v54, v43, 16, 1
	v_cmp_u_f32_e32 vcc_lo, v47, v47
	v_or_b32_e32 v58, 0x400000, v43
	v_add_f32_e32 v48, v48, v49
	v_and_b32_e32 v45, 0xffff0000, v45
	v_add3_u32 v54, v54, v43, 0x7fff
	v_cndmask_b32_e32 v47, v55, v57, vcc_lo
	v_bfe_u32 v55, v42, 16, 1
	v_cmp_u_f32_e32 vcc_lo, v43, v43
	v_bfe_u32 v57, v46, 16, 1
	v_and_b32_e32 v47, 0xffff0000, v47
	v_cndmask_b32_e32 v43, v54, v58, vcc_lo
	v_add3_u32 v54, v55, v42, 0x7fff
	v_or_b32_e32 v55, 0x400000, v42
	v_cmp_u_f32_e32 vcc_lo, v42, v42
	v_add3_u32 v57, v57, v46, 0x7fff
	v_or_b32_e32 v58, 0x400000, v46
	v_add_f32_e32 v45, v47, v45
	v_and_b32_e32 v43, 0xffff0000, v43
	v_cndmask_b32_e32 v42, v54, v55, vcc_lo
	v_cmp_u_f32_e32 vcc_lo, v46, v46
	v_bfe_u32 v54, v44, 16, 1
	v_lshlrev_b32_e32 v47, 16, v89
	v_or_b32_e32 v55, 0x400000, v44
	v_and_b32_e32 v42, 0xffff0000, v42
	v_cndmask_b32_e32 v46, v57, v58, vcc_lo
	v_lshlrev_b32_e32 v57, 16, v90
	v_add3_u32 v54, v54, v44, 0x7fff
	v_cmp_u_f32_e32 vcc_lo, v44, v44
	v_add_f32_e32 v45, v45, v48
	v_add_f32_e32 v42, v42, v43
	v_mul_f32_e32 v6, v6, v57
	v_mul_f32_e32 v1, v1, v47
	v_lshlrev_b32_e32 v43, 16, v88
	v_cndmask_b32_e32 v44, v54, v55, vcc_lo
	v_bfe_u32 v48, v6, 16, 1
	v_bfe_u32 v49, v1, 16, 1
	v_mul_f32_e32 v7, v7, v43
	v_cmp_u_f32_e32 vcc_lo, v6, v6
	v_and_b32_e32 v44, 0xffff0000, v44
	v_add3_u32 v47, v48, v6, 0x7fff
	v_or_b32_e32 v48, 0x400000, v6
	v_add3_u32 v43, v49, v1, 0x7fff
	v_cndmask_b32_e32 v6, v47, v48, vcc_lo
	v_or_b32_e32 v47, 0x400000, v1
	v_bfe_u32 v48, v7, 16, 1
	v_cmp_u_f32_e32 vcc_lo, v1, v1
	v_and_b32_e32 v6, 0xffff0000, v6
	v_add3_u32 v16, v48, v7, 0x7fff
	v_cndmask_b32_e32 v1, v43, v47, vcc_lo
	v_or_b32_e32 v43, 0x400000, v7
	v_bfe_u32 v47, v2, 16, 1
	v_cmp_u_f32_e32 vcc_lo, v7, v7
	v_and_b32_e32 v1, 0xffff0000, v1
	v_add3_u32 v15, v47, v2, 0x7fff
	v_cndmask_b32_e32 v7, v16, v43, vcc_lo
	v_or_b32_e32 v16, 0x400000, v2
	v_bfe_u32 v43, v8, 16, 1
	v_cmp_u_f32_e32 vcc_lo, v2, v2
	v_add_f32_e32 v1, v6, v1
	v_and_b32_e32 v7, 0xffff0000, v7
	v_cndmask_b32_e32 v2, v15, v16, vcc_lo
	v_bfe_u32 v15, v3, 16, 1
	v_add3_u32 v16, v43, v8, 0x7fff
	v_cmp_u_f32_e32 vcc_lo, v8, v8
	v_bfe_u32 v43, v4, 16, 1
	v_and_b32_e32 v2, 0xffff0000, v2
	v_add3_u32 v15, v15, v3, 0x7fff
	v_cndmask_b32_e32 v8, v16, v9, vcc_lo
	v_cmp_u_f32_e32 vcc_lo, v3, v3
	v_or_b32_e32 v16, 0x400000, v4
	v_add3_u32 v9, v18, v5, 0x7fff
	v_add_f32_e32 v2, v7, v2
	v_and_b32_e32 v6, 0xffff0000, v8
	v_cndmask_b32_e32 v3, v15, v17, vcc_lo
	v_add3_u32 v15, v43, v4, 0x7fff
	v_cmp_u_f32_e32 vcc_lo, v4, v4
	v_or_b32_e32 v17, 0x400000, v5
	v_and_b32_e32 v7, 0xffff0000, v46
	v_and_b32_e32 v3, 0xffff0000, v3
	v_add_f32_e32 v1, v2, v1
	v_cndmask_b32_e32 v4, v15, v16, vcc_lo
	v_cmp_u_f32_e32 vcc_lo, v5, v5
	v_add_f32_e32 v7, v44, v7
	v_add_f32_e32 v2, v6, v3
	;; [unrolled: 1-line block ×3, first 2 shown]
	v_and_b32_e32 v3, 0xffff0000, v4
	v_cndmask_b32_e32 v5, v9, v17, vcc_lo
	v_add_f32_e32 v1, v2, v1
	v_add_f32_e32 v6, v7, v6
	v_and_b32_e32 v4, 0xffff0000, v5
	v_add_f32_e32 v5, v53, v56
	v_add_f32_e32 v28, v28, v6
	;; [unrolled: 1-line block ×11, first 2 shown]
.LBB325_422:                            ;   in Loop: Header=BB325_423 Depth=1
	s_or_b32 exec_lo, exec_lo, s18
	v_add_nc_u32_e32 v41, 4, v41
	v_add_co_u32 v13, s0, v13, 16
	v_add_co_ci_u32_e64 v14, null, 0, v14, s0
	v_cmp_le_i32_e32 vcc_lo, s20, v41
	v_add_nc_u32_e32 v36, 64, v36
	v_add_nc_u32_e32 v39, 0x100, v39
	s_or_b32 s17, vcc_lo, s17
	s_andn2_b32 exec_lo, exec_lo, s17
	s_cbranch_execz .LBB325_796
.LBB325_423:                            ; =>This Inner Loop Header: Depth=1
	v_mul_hi_u32 v1, v36, s19
	v_mul_lo_u32 v2, v1, s16
	v_add_nc_u32_e32 v3, 1, v1
	v_sub_nc_u32_e32 v2, v36, v2
	v_subrev_nc_u32_e32 v4, s16, v2
	v_cmp_le_u32_e32 vcc_lo, s16, v2
	v_cndmask_b32_e32 v1, v1, v3, vcc_lo
	v_cndmask_b32_e32 v2, v2, v4, vcc_lo
	v_add_nc_u32_e32 v3, 1, v1
	v_cmp_le_u32_e32 vcc_lo, s16, v2
	v_cndmask_b32_e32 v1, v1, v3, vcc_lo
	v_xor_b32_e32 v1, s23, v1
	v_subrev_nc_u32_e32 v1, s23, v1
	v_add_nc_u32_e32 v2, s25, v1
	v_cmp_lt_i32_e64 s0, s4, v1
	v_sub_nc_u32_e32 v3, 0, v2
	v_max_i32_e32 v3, v2, v3
	v_ashrrev_i32_e32 v2, 31, v2
	v_mul_hi_u32 v4, v3, v40
	v_mul_lo_u32 v4, v4, s5
	v_sub_nc_u32_e32 v3, v3, v4
	v_subrev_nc_u32_e32 v4, s5, v3
	v_cmp_le_u32_e32 vcc_lo, s5, v3
	v_cndmask_b32_e32 v3, v3, v4, vcc_lo
	v_subrev_nc_u32_e32 v4, s5, v3
	v_cmp_le_u32_e32 vcc_lo, s5, v3
	v_cndmask_b32_e32 v3, v3, v4, vcc_lo
	v_xor_b32_e32 v3, v3, v2
	v_sub_nc_u32_e32 v2, v3, v2
	v_cmp_eq_u32_e32 vcc_lo, 0, v2
	s_or_b32 s0, vcc_lo, s0
	s_and_saveexec_b32 s18, s0
	s_cbranch_execz .LBB325_422
; %bb.424:                              ;   in Loop: Header=BB325_423 Depth=1
	global_load_dword v1, v[13:14], off
	v_mov_b32_e32 v42, 0
	v_mov_b32_e32 v44, 0
	s_waitcnt vmcnt(0)
	v_mad_i64_i32 v[15:16], null, v1, s12, v[11:12]
	global_load_dwordx2 v[17:18], v[15:16], off
	ds_read2_b64 v[5:8], v39 offset1:1
	ds_read2_b64 v[1:4], v39 offset0:2 offset1:3
	s_load_dword s21, s[14:15], 0x0
	s_waitcnt vmcnt(0)
	v_cmp_ne_u16_sdwa s22, v17, v10 src0_sel:BYTE_0 src1_sel:DWORD
	s_and_saveexec_b32 s0, s22
	s_cbranch_execz .LBB325_430
; %bb.425:                              ;   in Loop: Header=BB325_423 Depth=1
	v_cmp_ne_u16_sdwa s26, v17, v30 src0_sel:BYTE_0 src1_sel:DWORD
	v_bfrev_b32_e32 v44, 1
	s_and_saveexec_b32 s22, s26
	s_cbranch_execz .LBB325_429
; %bb.426:                              ;   in Loop: Header=BB325_423 Depth=1
	v_and_b32_e32 v9, 0x7f, v17
	v_mov_b32_e32 v44, 0x7f800001
	s_mov_b32 s26, exec_lo
	v_cmpx_ne_u32_e32 0x7f, v9
	s_cbranch_execz .LBB325_428
; %bb.427:                              ;   in Loop: Header=BB325_423 Depth=1
	v_and_b32_e32 v19, 7, v17
	v_lshrrev_b32_e32 v20, 3, v9
	v_cmp_gt_u32_e32 vcc_lo, 8, v9
	v_ffbh_u32_e32 v19, v19
	v_min_u32_e32 v19, 32, v19
	v_subrev_nc_u32_e32 v43, 28, v19
	v_sub_nc_u32_e32 v19, 29, v19
	v_cndmask_b32_e32 v9, v20, v19, vcc_lo
	v_cndmask_b32_e32 v19, 0, v43, vcc_lo
	v_lshl_add_u32 v9, v9, 23, 0x3c000000
	v_lshlrev_b64 v[19:20], v19, v[17:18]
	v_lshlrev_b32_e32 v20, 24, v17
	v_lshlrev_b32_e32 v19, 20, v19
	v_and_b32_e32 v20, 0x80000000, v20
	v_and_b32_e32 v19, 0x700000, v19
	v_or3_b32 v44, v19, v20, v9
.LBB325_428:                            ;   in Loop: Header=BB325_423 Depth=1
	s_or_b32 exec_lo, exec_lo, s26
.LBB325_429:                            ;   in Loop: Header=BB325_423 Depth=1
	s_or_b32 exec_lo, exec_lo, s22
.LBB325_430:                            ;   in Loop: Header=BB325_423 Depth=1
	s_or_b32 exec_lo, exec_lo, s0
	v_cmp_ne_u16_sdwa s22, v17, v10 src0_sel:BYTE_1 src1_sel:DWORD
	s_and_saveexec_b32 s0, s22
	s_cbranch_execz .LBB325_438
; %bb.431:                              ;   in Loop: Header=BB325_423 Depth=1
	v_cmp_ne_u16_sdwa s26, v17, v30 src0_sel:BYTE_1 src1_sel:DWORD
	v_bfrev_b32_e32 v42, 1
	s_and_saveexec_b32 s22, s26
	s_cbranch_execz .LBB325_437
; %bb.432:                              ;   in Loop: Header=BB325_423 Depth=1
	v_and_b32_sdwa v9, v31, v17 dst_sel:DWORD dst_unused:UNUSED_PAD src0_sel:DWORD src1_sel:BYTE_1
	v_mov_b32_e32 v42, 0x7f800001
	s_mov_b32 s26, exec_lo
	v_and_b32_e32 v20, 0x7f, v9
	v_cmpx_ne_u32_e32 0x7f, v20
	s_cbranch_execz .LBB325_436
; %bb.433:                              ;   in Loop: Header=BB325_423 Depth=1
	v_and_b32_e32 v9, 7, v9
	v_lshrrev_b32_e32 v19, 3, v20
	s_mov_b32 s27, exec_lo
	v_cmpx_gt_u32_e32 8, v20
; %bb.434:                              ;   in Loop: Header=BB325_423 Depth=1
	v_ffbh_u32_e32 v19, v9
	v_min_u32_e32 v19, 32, v19
	v_subrev_nc_u32_e32 v20, 28, v19
	v_sub_nc_u32_e32 v19, 29, v19
	v_lshlrev_b64 v[42:43], v20, v[9:10]
	v_and_b32_e32 v9, 7, v42
; %bb.435:                              ;   in Loop: Header=BB325_423 Depth=1
	s_or_b32 exec_lo, exec_lo, s27
	v_lshlrev_b32_e32 v20, 16, v17
	v_lshlrev_b32_e32 v9, 20, v9
	v_lshl_add_u32 v19, v19, 23, 0x3c000000
	v_and_b32_e32 v20, 0x80000000, v20
	v_or3_b32 v42, v9, v20, v19
.LBB325_436:                            ;   in Loop: Header=BB325_423 Depth=1
	s_or_b32 exec_lo, exec_lo, s26
.LBB325_437:                            ;   in Loop: Header=BB325_423 Depth=1
	s_or_b32 exec_lo, exec_lo, s22
.LBB325_438:                            ;   in Loop: Header=BB325_423 Depth=1
	s_or_b32 exec_lo, exec_lo, s0
	v_and_b32_sdwa v9, v17, v32 dst_sel:DWORD dst_unused:UNUSED_PAD src0_sel:WORD_1 src1_sel:DWORD
	v_mov_b32_e32 v45, 0
	v_mov_b32_e32 v43, 0
	s_mov_b32 s0, exec_lo
	v_cmpx_ne_u16_e32 0, v9
	s_cbranch_execz .LBB325_446
; %bb.439:                              ;   in Loop: Header=BB325_423 Depth=1
	v_bfrev_b32_e32 v43, 1
	s_mov_b32 s22, exec_lo
	v_cmpx_ne_u16_e32 0x80, v9
	s_cbranch_execz .LBB325_445
; %bb.440:                              ;   in Loop: Header=BB325_423 Depth=1
	v_bfe_u32 v20, v17, 16, 7
	v_mov_b32_e32 v43, 0x7f800001
	s_mov_b32 s26, exec_lo
	v_cmpx_ne_u32_e32 0x7f, v20
	s_cbranch_execz .LBB325_444
; %bb.441:                              ;   in Loop: Header=BB325_423 Depth=1
	v_and_b32_sdwa v9, v17, v37 dst_sel:DWORD dst_unused:UNUSED_PAD src0_sel:WORD_1 src1_sel:DWORD
	v_lshrrev_b32_e32 v19, 3, v20
	s_mov_b32 s27, exec_lo
	v_cmpx_gt_u32_e32 8, v20
; %bb.442:                              ;   in Loop: Header=BB325_423 Depth=1
	v_ffbh_u32_e32 v19, v9
	v_min_u32_e32 v19, 32, v19
	v_subrev_nc_u32_e32 v20, 28, v19
	v_sub_nc_u32_e32 v19, 29, v19
	v_lshlrev_b64 v[46:47], v20, v[9:10]
	v_and_b32_e32 v9, 7, v46
; %bb.443:                              ;   in Loop: Header=BB325_423 Depth=1
	s_or_b32 exec_lo, exec_lo, s27
	v_lshlrev_b32_sdwa v20, v38, v17 dst_sel:DWORD dst_unused:UNUSED_PAD src0_sel:DWORD src1_sel:WORD_1
	v_lshlrev_b32_e32 v9, 20, v9
	v_lshl_add_u32 v19, v19, 23, 0x3c000000
	v_and_b32_e32 v20, 0x80000000, v20
	v_or3_b32 v43, v9, v20, v19
.LBB325_444:                            ;   in Loop: Header=BB325_423 Depth=1
	s_or_b32 exec_lo, exec_lo, s26
.LBB325_445:                            ;   in Loop: Header=BB325_423 Depth=1
	s_or_b32 exec_lo, exec_lo, s22
.LBB325_446:                            ;   in Loop: Header=BB325_423 Depth=1
	s_or_b32 exec_lo, exec_lo, s0
	s_mov_b32 s0, exec_lo
	v_cmpx_lt_u32_e32 0xffffff, v17
	s_cbranch_execz .LBB325_454
; %bb.447:                              ;   in Loop: Header=BB325_423 Depth=1
	v_cmp_ne_u32_sdwa s26, v17, v30 src0_sel:BYTE_3 src1_sel:DWORD
	v_bfrev_b32_e32 v45, 1
	s_and_saveexec_b32 s22, s26
	s_cbranch_execz .LBB325_453
; %bb.448:                              ;   in Loop: Header=BB325_423 Depth=1
	v_bfe_u32 v20, v17, 24, 7
	v_mov_b32_e32 v45, 0x7f800001
	s_mov_b32 s26, exec_lo
	v_cmpx_ne_u32_e32 0x7f, v20
	s_cbranch_execz .LBB325_452
; %bb.449:                              ;   in Loop: Header=BB325_423 Depth=1
	v_and_b32_sdwa v9, v17, v37 dst_sel:DWORD dst_unused:UNUSED_PAD src0_sel:BYTE_3 src1_sel:DWORD
	v_lshrrev_b32_e32 v19, 3, v20
	s_mov_b32 s27, exec_lo
	v_cmpx_gt_u32_e32 8, v20
; %bb.450:                              ;   in Loop: Header=BB325_423 Depth=1
	v_ffbh_u32_e32 v19, v9
	v_min_u32_e32 v19, 32, v19
	v_subrev_nc_u32_e32 v20, 28, v19
	v_sub_nc_u32_e32 v19, 29, v19
	v_lshlrev_b64 v[45:46], v20, v[9:10]
	v_and_b32_e32 v9, 7, v45
; %bb.451:                              ;   in Loop: Header=BB325_423 Depth=1
	s_or_b32 exec_lo, exec_lo, s27
	v_lshlrev_b32_sdwa v20, v38, v17 dst_sel:DWORD dst_unused:UNUSED_PAD src0_sel:DWORD src1_sel:BYTE_3
	v_lshlrev_b32_e32 v9, 20, v9
	v_lshl_add_u32 v19, v19, 23, 0x3c000000
	v_and_b32_e32 v20, 0x80000000, v20
	v_or3_b32 v45, v9, v20, v19
.LBB325_452:                            ;   in Loop: Header=BB325_423 Depth=1
	s_or_b32 exec_lo, exec_lo, s26
.LBB325_453:                            ;   in Loop: Header=BB325_423 Depth=1
	s_or_b32 exec_lo, exec_lo, s22
.LBB325_454:                            ;   in Loop: Header=BB325_423 Depth=1
	s_or_b32 exec_lo, exec_lo, s0
	v_mov_b32_e32 v9, v18
	v_cmp_ne_u16_sdwa s22, v18, v10 src0_sel:BYTE_0 src1_sel:DWORD
	v_mov_b32_e32 v19, 0
	v_mov_b32_e32 v46, 0
	s_and_saveexec_b32 s0, s22
	s_cbranch_execz .LBB325_460
; %bb.455:                              ;   in Loop: Header=BB325_423 Depth=1
	v_cmp_ne_u16_sdwa s26, v18, v30 src0_sel:BYTE_0 src1_sel:DWORD
	v_bfrev_b32_e32 v46, 1
	s_and_saveexec_b32 s22, s26
	s_cbranch_execz .LBB325_459
; %bb.456:                              ;   in Loop: Header=BB325_423 Depth=1
	v_and_b32_e32 v20, 0x7f, v18
	v_mov_b32_e32 v46, 0x7f800001
	s_mov_b32 s26, exec_lo
	v_cmpx_ne_u32_e32 0x7f, v20
	s_cbranch_execz .LBB325_458
; %bb.457:                              ;   in Loop: Header=BB325_423 Depth=1
	v_and_b32_e32 v46, 7, v18
	v_lshrrev_b32_e32 v47, 3, v20
	v_cmp_gt_u32_e32 vcc_lo, 8, v20
	v_ffbh_u32_e32 v46, v46
	v_min_u32_e32 v46, 32, v46
	v_subrev_nc_u32_e32 v48, 28, v46
	v_sub_nc_u32_e32 v46, 29, v46
	v_cndmask_b32_e32 v20, v47, v46, vcc_lo
	v_cndmask_b32_e32 v46, 0, v48, vcc_lo
	v_lshl_add_u32 v20, v20, 23, 0x3c000000
	v_lshlrev_b64 v[46:47], v46, v[9:10]
	v_lshlrev_b32_e32 v47, 24, v9
	v_lshlrev_b32_e32 v46, 20, v46
	v_and_b32_e32 v47, 0x80000000, v47
	v_and_b32_e32 v46, 0x700000, v46
	v_or3_b32 v46, v46, v47, v20
.LBB325_458:                            ;   in Loop: Header=BB325_423 Depth=1
	s_or_b32 exec_lo, exec_lo, s26
.LBB325_459:                            ;   in Loop: Header=BB325_423 Depth=1
	s_or_b32 exec_lo, exec_lo, s22
.LBB325_460:                            ;   in Loop: Header=BB325_423 Depth=1
	s_or_b32 exec_lo, exec_lo, s0
	v_cmp_ne_u16_sdwa s22, v9, v10 src0_sel:BYTE_1 src1_sel:DWORD
	s_and_saveexec_b32 s0, s22
	s_cbranch_execz .LBB325_468
; %bb.461:                              ;   in Loop: Header=BB325_423 Depth=1
	v_cmp_ne_u16_sdwa s26, v9, v30 src0_sel:BYTE_1 src1_sel:DWORD
	v_bfrev_b32_e32 v19, 1
	s_and_saveexec_b32 s22, s26
	s_cbranch_execz .LBB325_467
; %bb.462:                              ;   in Loop: Header=BB325_423 Depth=1
	v_and_b32_sdwa v20, v31, v9 dst_sel:DWORD dst_unused:UNUSED_PAD src0_sel:DWORD src1_sel:BYTE_1
	v_mov_b32_e32 v19, 0x7f800001
	s_mov_b32 s26, exec_lo
	v_and_b32_e32 v48, 0x7f, v20
	v_cmpx_ne_u32_e32 0x7f, v48
	s_cbranch_execz .LBB325_466
; %bb.463:                              ;   in Loop: Header=BB325_423 Depth=1
	v_and_b32_e32 v19, 7, v20
	v_mov_b32_e32 v20, v10
	v_lshrrev_b32_e32 v47, 3, v48
	s_mov_b32 s27, exec_lo
	v_cmpx_gt_u32_e32 8, v48
; %bb.464:                              ;   in Loop: Header=BB325_423 Depth=1
	v_ffbh_u32_e32 v47, v19
	v_min_u32_e32 v47, 32, v47
	v_subrev_nc_u32_e32 v48, 28, v47
	v_sub_nc_u32_e32 v47, 29, v47
	v_lshlrev_b64 v[19:20], v48, v[19:20]
	v_and_b32_e32 v19, 7, v19
; %bb.465:                              ;   in Loop: Header=BB325_423 Depth=1
	s_or_b32 exec_lo, exec_lo, s27
	v_lshlrev_b32_e32 v9, 16, v9
	v_lshlrev_b32_e32 v19, 20, v19
	v_lshl_add_u32 v20, v47, 23, 0x3c000000
	v_and_b32_e32 v9, 0x80000000, v9
	v_or3_b32 v19, v19, v9, v20
.LBB325_466:                            ;   in Loop: Header=BB325_423 Depth=1
	s_or_b32 exec_lo, exec_lo, s26
.LBB325_467:                            ;   in Loop: Header=BB325_423 Depth=1
	s_or_b32 exec_lo, exec_lo, s22
.LBB325_468:                            ;   in Loop: Header=BB325_423 Depth=1
	s_or_b32 exec_lo, exec_lo, s0
	v_and_b32_sdwa v9, v18, v32 dst_sel:DWORD dst_unused:UNUSED_PAD src0_sel:WORD_1 src1_sel:DWORD
	v_mov_b32_e32 v20, 0
	v_mov_b32_e32 v47, 0
	s_mov_b32 s0, exec_lo
	v_cmpx_ne_u16_e32 0, v9
	s_cbranch_execz .LBB325_476
; %bb.469:                              ;   in Loop: Header=BB325_423 Depth=1
	v_bfrev_b32_e32 v47, 1
	s_mov_b32 s22, exec_lo
	v_cmpx_ne_u16_e32 0x80, v9
	s_cbranch_execz .LBB325_475
; %bb.470:                              ;   in Loop: Header=BB325_423 Depth=1
	v_bfe_u32 v48, v18, 16, 7
	v_mov_b32_e32 v47, 0x7f800001
	s_mov_b32 s26, exec_lo
	v_cmpx_ne_u32_e32 0x7f, v48
	s_cbranch_execz .LBB325_474
; %bb.471:                              ;   in Loop: Header=BB325_423 Depth=1
	v_and_b32_sdwa v9, v18, v37 dst_sel:DWORD dst_unused:UNUSED_PAD src0_sel:WORD_1 src1_sel:DWORD
	v_lshrrev_b32_e32 v47, 3, v48
	s_mov_b32 s27, exec_lo
	v_cmpx_gt_u32_e32 8, v48
; %bb.472:                              ;   in Loop: Header=BB325_423 Depth=1
	v_ffbh_u32_e32 v47, v9
	v_min_u32_e32 v47, 32, v47
	v_subrev_nc_u32_e32 v48, 28, v47
	v_sub_nc_u32_e32 v47, 29, v47
	v_lshlrev_b64 v[48:49], v48, v[9:10]
	v_and_b32_e32 v9, 7, v48
; %bb.473:                              ;   in Loop: Header=BB325_423 Depth=1
	s_or_b32 exec_lo, exec_lo, s27
	v_lshlrev_b32_sdwa v48, v38, v18 dst_sel:DWORD dst_unused:UNUSED_PAD src0_sel:DWORD src1_sel:WORD_1
	v_lshlrev_b32_e32 v9, 20, v9
	v_lshl_add_u32 v47, v47, 23, 0x3c000000
	v_and_b32_e32 v48, 0x80000000, v48
	v_or3_b32 v47, v9, v48, v47
.LBB325_474:                            ;   in Loop: Header=BB325_423 Depth=1
	s_or_b32 exec_lo, exec_lo, s26
.LBB325_475:                            ;   in Loop: Header=BB325_423 Depth=1
	s_or_b32 exec_lo, exec_lo, s22
.LBB325_476:                            ;   in Loop: Header=BB325_423 Depth=1
	s_or_b32 exec_lo, exec_lo, s0
	s_mov_b32 s0, exec_lo
	v_cmpx_lt_u64_e64 s[2:3], v[17:18]
	s_cbranch_execz .LBB325_484
; %bb.477:                              ;   in Loop: Header=BB325_423 Depth=1
	v_cmp_ne_u32_sdwa s26, v18, v30 src0_sel:BYTE_3 src1_sel:DWORD
	v_bfrev_b32_e32 v20, 1
	s_and_saveexec_b32 s22, s26
	s_cbranch_execz .LBB325_483
; %bb.478:                              ;   in Loop: Header=BB325_423 Depth=1
	v_bfe_u32 v48, v18, 24, 7
	v_mov_b32_e32 v20, 0x7f800001
	s_mov_b32 s26, exec_lo
	v_cmpx_ne_u32_e32 0x7f, v48
	s_cbranch_execz .LBB325_482
; %bb.479:                              ;   in Loop: Header=BB325_423 Depth=1
	v_and_b32_sdwa v9, v18, v37 dst_sel:DWORD dst_unused:UNUSED_PAD src0_sel:BYTE_3 src1_sel:DWORD
	v_lshrrev_b32_e32 v17, 3, v48
	s_mov_b32 s27, exec_lo
	v_cmpx_gt_u32_e32 8, v48
; %bb.480:                              ;   in Loop: Header=BB325_423 Depth=1
	v_ffbh_u32_e32 v17, v9
	v_min_u32_e32 v17, 32, v17
	v_subrev_nc_u32_e32 v20, 28, v17
	v_sub_nc_u32_e32 v17, 29, v17
	v_lshlrev_b64 v[48:49], v20, v[9:10]
	v_and_b32_e32 v9, 7, v48
; %bb.481:                              ;   in Loop: Header=BB325_423 Depth=1
	s_or_b32 exec_lo, exec_lo, s27
	v_lshlrev_b32_sdwa v18, v38, v18 dst_sel:DWORD dst_unused:UNUSED_PAD src0_sel:DWORD src1_sel:BYTE_3
	v_lshlrev_b32_e32 v9, 20, v9
	v_lshl_add_u32 v17, v17, 23, 0x3c000000
	v_and_b32_e32 v18, 0x80000000, v18
	v_or3_b32 v20, v9, v18, v17
.LBB325_482:                            ;   in Loop: Header=BB325_423 Depth=1
	s_or_b32 exec_lo, exec_lo, s26
.LBB325_483:                            ;   in Loop: Header=BB325_423 Depth=1
	s_or_b32 exec_lo, exec_lo, s22
.LBB325_484:                            ;   in Loop: Header=BB325_423 Depth=1
	s_or_b32 exec_lo, exec_lo, s0
	s_waitcnt lgkmcnt(0)
	v_mul_f32_e32 v9, s21, v19
	v_mul_f32_e32 v17, s21, v46
	;; [unrolled: 1-line block ×5, first 2 shown]
	v_bfe_u32 v19, v9, 16, 1
	v_or_b32_e32 v43, 0x400000, v9
	v_bfe_u32 v45, v17, 16, 1
	v_cmp_u_f32_e64 s0, v9, v9
	v_or_b32_e32 v48, 0x400000, v17
	v_add3_u32 v19, v19, v9, 0x7fff
	v_bfe_u32 v49, v18, 16, 1
	v_add3_u32 v45, v45, v17, 0x7fff
	v_or_b32_e32 v51, 0x400000, v18
	v_add_nc_u32_e32 v50, v29, v36
	v_cndmask_b32_e64 v9, v19, v43, s0
	v_cmp_u_f32_e64 s0, v17, v17
	v_bfe_u32 v19, v46, 16, 1
	v_add3_u32 v49, v49, v18, 0x7fff
	v_cmp_eq_u32_e32 vcc_lo, s13, v41
	v_lshrrev_b32_e32 v43, 16, v9
	v_cndmask_b32_e64 v17, v45, v48, s0
	v_cmp_u_f32_e64 s0, v18, v18
	v_mul_f32_e32 v18, s21, v42
	v_add3_u32 v19, v19, v46, 0x7fff
	v_or_b32_e32 v48, 0x400000, v46
	v_lshrrev_b32_e32 v42, 16, v17
	v_cndmask_b32_e64 v9, v49, v51, s0
	v_cmp_u_f32_e64 s0, v46, v46
	v_or_b32_e32 v46, 0x400000, v18
	v_or_b32_e32 v51, 0x400000, v20
	v_add_nc_u32_e32 v57, 1, v50
	v_lshrrev_b32_e32 v45, 16, v9
	v_bfe_u32 v9, v18, 16, 1
	v_cndmask_b32_e64 v17, v19, v48, s0
	v_mul_f32_e32 v19, s21, v44
	v_mul_f32_e32 v44, s21, v47
	v_cmp_u_f32_e64 s0, v18, v18
	v_add3_u32 v9, v9, v18, 0x7fff
	v_bfe_u32 v18, v20, 16, 1
	v_bfe_u32 v47, v19, 16, 1
	;; [unrolled: 1-line block ×3, first 2 shown]
	v_or_b32_e32 v49, 0x400000, v44
	v_cndmask_b32_e64 v9, v9, v46, s0
	v_cmp_u_f32_e64 s0, v19, v19
	v_add3_u32 v46, v47, v19, 0x7fff
	v_or_b32_e32 v47, 0x400000, v19
	v_add3_u32 v48, v48, v44, 0x7fff
	v_add3_u32 v18, v18, v20, 0x7fff
	v_add_nc_u32_e32 v56, 2, v50
	v_add_nc_u32_e32 v55, 3, v50
	v_cndmask_b32_e64 v19, v46, v47, s0
	v_cmp_u_f32_e64 s0, v44, v44
	v_lshrrev_b32_e32 v47, 16, v17
	v_add_nc_u32_e32 v54, 4, v50
	v_add_nc_u32_e32 v53, 5, v50
	;; [unrolled: 1-line block ×3, first 2 shown]
	v_cndmask_b32_e64 v44, v48, v49, s0
	v_cmp_u_f32_e64 s0, v20, v20
	v_lshrrev_b32_e32 v49, 16, v9
	v_lshrrev_b32_e32 v48, 16, v19
	;; [unrolled: 1-line block ×3, first 2 shown]
	v_cndmask_b32_e64 v18, v18, v51, s0
	v_add_nc_u32_e32 v51, 7, v50
	v_lshrrev_b32_e32 v46, 16, v18
	s_and_saveexec_b32 s22, vcc_lo
	s_cbranch_execz .LBB325_486
; %bb.485:                              ;   in Loop: Header=BB325_423 Depth=1
	v_cmp_gt_i32_e64 s0, s33, v50
	v_cndmask_b32_e64 v48, 0, v48, s0
	v_cmp_gt_i32_e64 s0, s33, v57
	v_cndmask_b32_e64 v49, 0, v49, s0
	;; [unrolled: 2-line block ×8, first 2 shown]
.LBB325_486:                            ;   in Loop: Header=BB325_423 Depth=1
	s_or_b32 exec_lo, exec_lo, s22
	global_load_dwordx2 v[17:18], v[15:16], off offset:256
	v_mov_b32_e32 v59, 0
	v_mov_b32_e32 v60, 0
	s_waitcnt vmcnt(0)
	v_cmp_ne_u16_sdwa s0, v17, v10 src0_sel:BYTE_0 src1_sel:DWORD
	s_and_saveexec_b32 s22, s0
	s_cbranch_execz .LBB325_492
; %bb.487:                              ;   in Loop: Header=BB325_423 Depth=1
	v_cmp_ne_u16_sdwa s0, v17, v30 src0_sel:BYTE_0 src1_sel:DWORD
	v_bfrev_b32_e32 v60, 1
	s_and_saveexec_b32 s26, s0
	s_cbranch_execz .LBB325_491
; %bb.488:                              ;   in Loop: Header=BB325_423 Depth=1
	v_and_b32_e32 v9, 0x7f, v17
	v_mov_b32_e32 v60, 0x7f800001
	s_mov_b32 s27, exec_lo
	v_cmpx_ne_u32_e32 0x7f, v9
	s_cbranch_execz .LBB325_490
; %bb.489:                              ;   in Loop: Header=BB325_423 Depth=1
	v_and_b32_e32 v19, 7, v17
	v_lshrrev_b32_e32 v20, 3, v9
	v_cmp_gt_u32_e64 s0, 8, v9
	v_ffbh_u32_e32 v19, v19
	v_min_u32_e32 v19, 32, v19
	v_subrev_nc_u32_e32 v58, 28, v19
	v_sub_nc_u32_e32 v19, 29, v19
	v_cndmask_b32_e64 v9, v20, v19, s0
	v_cndmask_b32_e64 v19, 0, v58, s0
	v_lshl_add_u32 v9, v9, 23, 0x3c000000
	v_lshlrev_b64 v[19:20], v19, v[17:18]
	v_lshlrev_b32_e32 v20, 24, v17
	v_lshlrev_b32_e32 v19, 20, v19
	v_and_b32_e32 v20, 0x80000000, v20
	v_and_b32_e32 v19, 0x700000, v19
	v_or3_b32 v60, v19, v20, v9
.LBB325_490:                            ;   in Loop: Header=BB325_423 Depth=1
	s_or_b32 exec_lo, exec_lo, s27
.LBB325_491:                            ;   in Loop: Header=BB325_423 Depth=1
	s_or_b32 exec_lo, exec_lo, s26
.LBB325_492:                            ;   in Loop: Header=BB325_423 Depth=1
	s_or_b32 exec_lo, exec_lo, s22
	v_cmp_ne_u16_sdwa s0, v17, v10 src0_sel:BYTE_1 src1_sel:DWORD
	s_and_saveexec_b32 s22, s0
	s_cbranch_execz .LBB325_500
; %bb.493:                              ;   in Loop: Header=BB325_423 Depth=1
	v_cmp_ne_u16_sdwa s0, v17, v30 src0_sel:BYTE_1 src1_sel:DWORD
	v_bfrev_b32_e32 v59, 1
	s_and_saveexec_b32 s26, s0
	s_cbranch_execz .LBB325_499
; %bb.494:                              ;   in Loop: Header=BB325_423 Depth=1
	v_and_b32_sdwa v9, v31, v17 dst_sel:DWORD dst_unused:UNUSED_PAD src0_sel:DWORD src1_sel:BYTE_1
	v_mov_b32_e32 v59, 0x7f800001
	s_mov_b32 s27, exec_lo
	v_and_b32_e32 v20, 0x7f, v9
	v_cmpx_ne_u32_e32 0x7f, v20
	s_cbranch_execz .LBB325_498
; %bb.495:                              ;   in Loop: Header=BB325_423 Depth=1
	v_and_b32_e32 v9, 7, v9
	v_lshrrev_b32_e32 v19, 3, v20
	s_mov_b32 s28, exec_lo
	v_cmpx_gt_u32_e32 8, v20
; %bb.496:                              ;   in Loop: Header=BB325_423 Depth=1
	v_ffbh_u32_e32 v19, v9
	v_min_u32_e32 v19, 32, v19
	v_subrev_nc_u32_e32 v20, 28, v19
	v_sub_nc_u32_e32 v19, 29, v19
	v_lshlrev_b64 v[58:59], v20, v[9:10]
	v_and_b32_e32 v9, 7, v58
; %bb.497:                              ;   in Loop: Header=BB325_423 Depth=1
	s_or_b32 exec_lo, exec_lo, s28
	v_lshlrev_b32_e32 v20, 16, v17
	v_lshlrev_b32_e32 v9, 20, v9
	v_lshl_add_u32 v19, v19, 23, 0x3c000000
	v_and_b32_e32 v20, 0x80000000, v20
	v_or3_b32 v59, v9, v20, v19
.LBB325_498:                            ;   in Loop: Header=BB325_423 Depth=1
	s_or_b32 exec_lo, exec_lo, s27
.LBB325_499:                            ;   in Loop: Header=BB325_423 Depth=1
	s_or_b32 exec_lo, exec_lo, s26
.LBB325_500:                            ;   in Loop: Header=BB325_423 Depth=1
	s_or_b32 exec_lo, exec_lo, s22
	v_and_b32_sdwa v9, v17, v32 dst_sel:DWORD dst_unused:UNUSED_PAD src0_sel:WORD_1 src1_sel:DWORD
	v_mov_b32_e32 v61, 0
	v_mov_b32_e32 v58, 0
	s_mov_b32 s22, exec_lo
	v_cmpx_ne_u16_e32 0, v9
	s_cbranch_execz .LBB325_508
; %bb.501:                              ;   in Loop: Header=BB325_423 Depth=1
	v_bfrev_b32_e32 v58, 1
	s_mov_b32 s26, exec_lo
	v_cmpx_ne_u16_e32 0x80, v9
	s_cbranch_execz .LBB325_507
; %bb.502:                              ;   in Loop: Header=BB325_423 Depth=1
	v_bfe_u32 v20, v17, 16, 7
	v_mov_b32_e32 v58, 0x7f800001
	s_mov_b32 s27, exec_lo
	v_cmpx_ne_u32_e32 0x7f, v20
	s_cbranch_execz .LBB325_506
; %bb.503:                              ;   in Loop: Header=BB325_423 Depth=1
	v_and_b32_sdwa v9, v17, v37 dst_sel:DWORD dst_unused:UNUSED_PAD src0_sel:WORD_1 src1_sel:DWORD
	v_lshrrev_b32_e32 v19, 3, v20
	s_mov_b32 s28, exec_lo
	v_cmpx_gt_u32_e32 8, v20
; %bb.504:                              ;   in Loop: Header=BB325_423 Depth=1
	v_ffbh_u32_e32 v19, v9
	v_min_u32_e32 v19, 32, v19
	v_subrev_nc_u32_e32 v20, 28, v19
	v_sub_nc_u32_e32 v19, 29, v19
	v_lshlrev_b64 v[62:63], v20, v[9:10]
	v_and_b32_e32 v9, 7, v62
; %bb.505:                              ;   in Loop: Header=BB325_423 Depth=1
	s_or_b32 exec_lo, exec_lo, s28
	v_lshlrev_b32_sdwa v20, v38, v17 dst_sel:DWORD dst_unused:UNUSED_PAD src0_sel:DWORD src1_sel:WORD_1
	v_lshlrev_b32_e32 v9, 20, v9
	v_lshl_add_u32 v19, v19, 23, 0x3c000000
	v_and_b32_e32 v20, 0x80000000, v20
	v_or3_b32 v58, v9, v20, v19
.LBB325_506:                            ;   in Loop: Header=BB325_423 Depth=1
	s_or_b32 exec_lo, exec_lo, s27
.LBB325_507:                            ;   in Loop: Header=BB325_423 Depth=1
	s_or_b32 exec_lo, exec_lo, s26
.LBB325_508:                            ;   in Loop: Header=BB325_423 Depth=1
	s_or_b32 exec_lo, exec_lo, s22
	s_mov_b32 s22, exec_lo
	v_cmpx_lt_u32_e32 0xffffff, v17
	s_cbranch_execz .LBB325_516
; %bb.509:                              ;   in Loop: Header=BB325_423 Depth=1
	v_cmp_ne_u32_sdwa s0, v17, v30 src0_sel:BYTE_3 src1_sel:DWORD
	v_bfrev_b32_e32 v61, 1
	s_and_saveexec_b32 s26, s0
	s_cbranch_execz .LBB325_515
; %bb.510:                              ;   in Loop: Header=BB325_423 Depth=1
	v_bfe_u32 v20, v17, 24, 7
	v_mov_b32_e32 v61, 0x7f800001
	s_mov_b32 s27, exec_lo
	v_cmpx_ne_u32_e32 0x7f, v20
	s_cbranch_execz .LBB325_514
; %bb.511:                              ;   in Loop: Header=BB325_423 Depth=1
	v_and_b32_sdwa v9, v17, v37 dst_sel:DWORD dst_unused:UNUSED_PAD src0_sel:BYTE_3 src1_sel:DWORD
	v_lshrrev_b32_e32 v19, 3, v20
	s_mov_b32 s28, exec_lo
	v_cmpx_gt_u32_e32 8, v20
; %bb.512:                              ;   in Loop: Header=BB325_423 Depth=1
	v_ffbh_u32_e32 v19, v9
	v_min_u32_e32 v19, 32, v19
	v_subrev_nc_u32_e32 v20, 28, v19
	v_sub_nc_u32_e32 v19, 29, v19
	v_lshlrev_b64 v[61:62], v20, v[9:10]
	v_and_b32_e32 v9, 7, v61
; %bb.513:                              ;   in Loop: Header=BB325_423 Depth=1
	s_or_b32 exec_lo, exec_lo, s28
	v_lshlrev_b32_sdwa v20, v38, v17 dst_sel:DWORD dst_unused:UNUSED_PAD src0_sel:DWORD src1_sel:BYTE_3
	v_lshlrev_b32_e32 v9, 20, v9
	v_lshl_add_u32 v19, v19, 23, 0x3c000000
	v_and_b32_e32 v20, 0x80000000, v20
	v_or3_b32 v61, v9, v20, v19
.LBB325_514:                            ;   in Loop: Header=BB325_423 Depth=1
	s_or_b32 exec_lo, exec_lo, s27
.LBB325_515:                            ;   in Loop: Header=BB325_423 Depth=1
	s_or_b32 exec_lo, exec_lo, s26
.LBB325_516:                            ;   in Loop: Header=BB325_423 Depth=1
	s_or_b32 exec_lo, exec_lo, s22
	v_mov_b32_e32 v9, v18
	v_cmp_ne_u16_sdwa s0, v18, v10 src0_sel:BYTE_0 src1_sel:DWORD
	v_mov_b32_e32 v19, 0
	v_mov_b32_e32 v62, 0
	s_and_saveexec_b32 s22, s0
	s_cbranch_execz .LBB325_522
; %bb.517:                              ;   in Loop: Header=BB325_423 Depth=1
	v_cmp_ne_u16_sdwa s0, v18, v30 src0_sel:BYTE_0 src1_sel:DWORD
	v_bfrev_b32_e32 v62, 1
	s_and_saveexec_b32 s26, s0
	s_cbranch_execz .LBB325_521
; %bb.518:                              ;   in Loop: Header=BB325_423 Depth=1
	v_and_b32_e32 v20, 0x7f, v18
	v_mov_b32_e32 v62, 0x7f800001
	s_mov_b32 s27, exec_lo
	v_cmpx_ne_u32_e32 0x7f, v20
	s_cbranch_execz .LBB325_520
; %bb.519:                              ;   in Loop: Header=BB325_423 Depth=1
	v_and_b32_e32 v62, 7, v18
	v_lshrrev_b32_e32 v63, 3, v20
	v_cmp_gt_u32_e64 s0, 8, v20
	v_ffbh_u32_e32 v62, v62
	v_min_u32_e32 v62, 32, v62
	v_subrev_nc_u32_e32 v64, 28, v62
	v_sub_nc_u32_e32 v62, 29, v62
	v_cndmask_b32_e64 v20, v63, v62, s0
	v_cndmask_b32_e64 v62, 0, v64, s0
	v_lshl_add_u32 v20, v20, 23, 0x3c000000
	v_lshlrev_b64 v[62:63], v62, v[9:10]
	v_lshlrev_b32_e32 v63, 24, v9
	v_lshlrev_b32_e32 v62, 20, v62
	v_and_b32_e32 v63, 0x80000000, v63
	v_and_b32_e32 v62, 0x700000, v62
	v_or3_b32 v62, v62, v63, v20
.LBB325_520:                            ;   in Loop: Header=BB325_423 Depth=1
	s_or_b32 exec_lo, exec_lo, s27
.LBB325_521:                            ;   in Loop: Header=BB325_423 Depth=1
	s_or_b32 exec_lo, exec_lo, s26
.LBB325_522:                            ;   in Loop: Header=BB325_423 Depth=1
	s_or_b32 exec_lo, exec_lo, s22
	v_cmp_ne_u16_sdwa s0, v9, v10 src0_sel:BYTE_1 src1_sel:DWORD
	s_and_saveexec_b32 s22, s0
	s_cbranch_execz .LBB325_530
; %bb.523:                              ;   in Loop: Header=BB325_423 Depth=1
	v_cmp_ne_u16_sdwa s0, v9, v30 src0_sel:BYTE_1 src1_sel:DWORD
	v_bfrev_b32_e32 v19, 1
	s_and_saveexec_b32 s26, s0
	s_cbranch_execz .LBB325_529
; %bb.524:                              ;   in Loop: Header=BB325_423 Depth=1
	v_and_b32_sdwa v20, v31, v9 dst_sel:DWORD dst_unused:UNUSED_PAD src0_sel:DWORD src1_sel:BYTE_1
	v_mov_b32_e32 v19, 0x7f800001
	s_mov_b32 s27, exec_lo
	v_and_b32_e32 v64, 0x7f, v20
	v_cmpx_ne_u32_e32 0x7f, v64
	s_cbranch_execz .LBB325_528
; %bb.525:                              ;   in Loop: Header=BB325_423 Depth=1
	v_and_b32_e32 v19, 7, v20
	v_mov_b32_e32 v20, v10
	v_lshrrev_b32_e32 v63, 3, v64
	s_mov_b32 s28, exec_lo
	v_cmpx_gt_u32_e32 8, v64
; %bb.526:                              ;   in Loop: Header=BB325_423 Depth=1
	v_ffbh_u32_e32 v63, v19
	v_min_u32_e32 v63, 32, v63
	v_subrev_nc_u32_e32 v64, 28, v63
	v_sub_nc_u32_e32 v63, 29, v63
	v_lshlrev_b64 v[19:20], v64, v[19:20]
	v_and_b32_e32 v19, 7, v19
; %bb.527:                              ;   in Loop: Header=BB325_423 Depth=1
	s_or_b32 exec_lo, exec_lo, s28
	v_lshlrev_b32_e32 v9, 16, v9
	v_lshlrev_b32_e32 v19, 20, v19
	v_lshl_add_u32 v20, v63, 23, 0x3c000000
	v_and_b32_e32 v9, 0x80000000, v9
	v_or3_b32 v19, v19, v9, v20
.LBB325_528:                            ;   in Loop: Header=BB325_423 Depth=1
	s_or_b32 exec_lo, exec_lo, s27
.LBB325_529:                            ;   in Loop: Header=BB325_423 Depth=1
	s_or_b32 exec_lo, exec_lo, s26
.LBB325_530:                            ;   in Loop: Header=BB325_423 Depth=1
	s_or_b32 exec_lo, exec_lo, s22
	v_and_b32_sdwa v9, v18, v32 dst_sel:DWORD dst_unused:UNUSED_PAD src0_sel:WORD_1 src1_sel:DWORD
	v_mov_b32_e32 v20, 0
	v_mov_b32_e32 v63, 0
	s_mov_b32 s22, exec_lo
	v_cmpx_ne_u16_e32 0, v9
	s_cbranch_execz .LBB325_538
; %bb.531:                              ;   in Loop: Header=BB325_423 Depth=1
	v_bfrev_b32_e32 v63, 1
	s_mov_b32 s26, exec_lo
	v_cmpx_ne_u16_e32 0x80, v9
	s_cbranch_execz .LBB325_537
; %bb.532:                              ;   in Loop: Header=BB325_423 Depth=1
	v_bfe_u32 v64, v18, 16, 7
	v_mov_b32_e32 v63, 0x7f800001
	s_mov_b32 s27, exec_lo
	v_cmpx_ne_u32_e32 0x7f, v64
	s_cbranch_execz .LBB325_536
; %bb.533:                              ;   in Loop: Header=BB325_423 Depth=1
	v_and_b32_sdwa v9, v18, v37 dst_sel:DWORD dst_unused:UNUSED_PAD src0_sel:WORD_1 src1_sel:DWORD
	v_lshrrev_b32_e32 v63, 3, v64
	s_mov_b32 s28, exec_lo
	v_cmpx_gt_u32_e32 8, v64
; %bb.534:                              ;   in Loop: Header=BB325_423 Depth=1
	v_ffbh_u32_e32 v63, v9
	v_min_u32_e32 v63, 32, v63
	v_subrev_nc_u32_e32 v64, 28, v63
	v_sub_nc_u32_e32 v63, 29, v63
	v_lshlrev_b64 v[64:65], v64, v[9:10]
	v_and_b32_e32 v9, 7, v64
; %bb.535:                              ;   in Loop: Header=BB325_423 Depth=1
	s_or_b32 exec_lo, exec_lo, s28
	v_lshlrev_b32_sdwa v64, v38, v18 dst_sel:DWORD dst_unused:UNUSED_PAD src0_sel:DWORD src1_sel:WORD_1
	v_lshlrev_b32_e32 v9, 20, v9
	v_lshl_add_u32 v63, v63, 23, 0x3c000000
	v_and_b32_e32 v64, 0x80000000, v64
	v_or3_b32 v63, v9, v64, v63
.LBB325_536:                            ;   in Loop: Header=BB325_423 Depth=1
	s_or_b32 exec_lo, exec_lo, s27
.LBB325_537:                            ;   in Loop: Header=BB325_423 Depth=1
	s_or_b32 exec_lo, exec_lo, s26
.LBB325_538:                            ;   in Loop: Header=BB325_423 Depth=1
	s_or_b32 exec_lo, exec_lo, s22
	s_mov_b32 s22, exec_lo
	v_cmpx_lt_u64_e64 s[2:3], v[17:18]
	s_cbranch_execz .LBB325_546
; %bb.539:                              ;   in Loop: Header=BB325_423 Depth=1
	v_cmp_ne_u32_sdwa s0, v18, v30 src0_sel:BYTE_3 src1_sel:DWORD
	v_bfrev_b32_e32 v20, 1
	s_and_saveexec_b32 s26, s0
	s_cbranch_execz .LBB325_545
; %bb.540:                              ;   in Loop: Header=BB325_423 Depth=1
	v_bfe_u32 v64, v18, 24, 7
	v_mov_b32_e32 v20, 0x7f800001
	s_mov_b32 s27, exec_lo
	v_cmpx_ne_u32_e32 0x7f, v64
	s_cbranch_execz .LBB325_544
; %bb.541:                              ;   in Loop: Header=BB325_423 Depth=1
	v_and_b32_sdwa v9, v18, v37 dst_sel:DWORD dst_unused:UNUSED_PAD src0_sel:BYTE_3 src1_sel:DWORD
	v_lshrrev_b32_e32 v17, 3, v64
	s_mov_b32 s28, exec_lo
	v_cmpx_gt_u32_e32 8, v64
; %bb.542:                              ;   in Loop: Header=BB325_423 Depth=1
	v_ffbh_u32_e32 v17, v9
	v_min_u32_e32 v17, 32, v17
	v_subrev_nc_u32_e32 v20, 28, v17
	v_sub_nc_u32_e32 v17, 29, v17
	v_lshlrev_b64 v[64:65], v20, v[9:10]
	v_and_b32_e32 v9, 7, v64
; %bb.543:                              ;   in Loop: Header=BB325_423 Depth=1
	s_or_b32 exec_lo, exec_lo, s28
	v_lshlrev_b32_sdwa v18, v38, v18 dst_sel:DWORD dst_unused:UNUSED_PAD src0_sel:DWORD src1_sel:BYTE_3
	v_lshlrev_b32_e32 v9, 20, v9
	v_lshl_add_u32 v17, v17, 23, 0x3c000000
	v_and_b32_e32 v18, 0x80000000, v18
	v_or3_b32 v20, v9, v18, v17
.LBB325_544:                            ;   in Loop: Header=BB325_423 Depth=1
	s_or_b32 exec_lo, exec_lo, s27
.LBB325_545:                            ;   in Loop: Header=BB325_423 Depth=1
	s_or_b32 exec_lo, exec_lo, s26
.LBB325_546:                            ;   in Loop: Header=BB325_423 Depth=1
	s_or_b32 exec_lo, exec_lo, s22
	v_mul_f32_e32 v9, s21, v19
	v_mul_f32_e32 v17, s21, v62
	;; [unrolled: 1-line block ×5, first 2 shown]
	v_bfe_u32 v58, v9, 16, 1
	v_or_b32_e32 v61, 0x400000, v9
	v_bfe_u32 v62, v17, 16, 1
	v_cmp_u_f32_e64 s0, v9, v9
	v_or_b32_e32 v64, 0x400000, v17
	v_add3_u32 v58, v58, v9, 0x7fff
	v_bfe_u32 v65, v18, 16, 1
	v_add3_u32 v62, v62, v17, 0x7fff
	v_or_b32_e32 v66, 0x400000, v18
	v_bfe_u32 v67, v19, 16, 1
	v_cndmask_b32_e64 v9, v58, v61, s0
	v_cmp_u_f32_e64 s0, v17, v17
	v_add3_u32 v65, v65, v18, 0x7fff
	v_lshrrev_b32_e32 v58, 16, v9
	v_cndmask_b32_e64 v17, v62, v64, s0
	v_cmp_u_f32_e64 s0, v18, v18
	v_mul_f32_e32 v9, s21, v59
	v_add3_u32 v62, v67, v19, 0x7fff
	v_or_b32_e32 v64, 0x400000, v19
	v_lshrrev_b32_e32 v59, 16, v17
	v_cndmask_b32_e64 v18, v65, v66, s0
	v_bfe_u32 v17, v9, 16, 1
	v_cmp_u_f32_e64 s0, v19, v19
	v_mul_f32_e32 v19, s21, v60
	v_mul_f32_e32 v60, s21, v63
	v_lshrrev_b32_e32 v61, 16, v18
	v_add3_u32 v17, v17, v9, 0x7fff
	v_cndmask_b32_e64 v18, v62, v64, s0
	v_or_b32_e32 v62, 0x400000, v9
	v_bfe_u32 v63, v19, 16, 1
	v_cmp_u_f32_e64 s0, v9, v9
	v_bfe_u32 v64, v60, 16, 1
	v_or_b32_e32 v65, 0x400000, v60
	v_or_b32_e32 v66, 0x400000, v20
	v_cndmask_b32_e64 v9, v17, v62, s0
	v_add3_u32 v62, v63, v19, 0x7fff
	v_or_b32_e32 v63, 0x400000, v19
	v_cmp_u_f32_e64 s0, v19, v19
	v_bfe_u32 v17, v20, 16, 1
	v_add3_u32 v64, v64, v60, 0x7fff
	v_cndmask_b32_e64 v19, v62, v63, s0
	v_cmp_u_f32_e64 s0, v60, v60
	v_add3_u32 v17, v17, v20, 0x7fff
	v_lshrrev_b32_e32 v63, 16, v18
	v_cndmask_b32_e64 v60, v64, v65, s0
	v_cmp_u_f32_e64 s0, v20, v20
	v_lshrrev_b32_e32 v65, 16, v9
	v_lshrrev_b32_e32 v64, 16, v19
	;; [unrolled: 1-line block ×3, first 2 shown]
	v_cndmask_b32_e64 v17, v17, v66, s0
	v_lshrrev_b32_e32 v62, 16, v17
	s_and_saveexec_b32 s22, vcc_lo
	s_cbranch_execz .LBB325_548
; %bb.547:                              ;   in Loop: Header=BB325_423 Depth=1
	v_cmp_gt_i32_e64 s0, s33, v50
	v_cndmask_b32_e64 v64, 0, v64, s0
	v_cmp_gt_i32_e64 s0, s33, v57
	v_cndmask_b32_e64 v65, 0, v65, s0
	v_cmp_gt_i32_e64 s0, s33, v56
	v_cndmask_b32_e64 v63, 0, v63, s0
	v_cmp_gt_i32_e64 s0, s33, v55
	v_cndmask_b32_e64 v61, 0, v61, s0
	v_cmp_gt_i32_e64 s0, s33, v54
	v_cndmask_b32_e64 v59, 0, v59, s0
	v_cmp_gt_i32_e64 s0, s33, v53
	v_cndmask_b32_e64 v58, 0, v58, s0
	v_cmp_gt_i32_e64 s0, s33, v52
	v_cndmask_b32_e64 v60, 0, v60, s0
	v_cmp_gt_i32_e64 s0, s33, v51
	v_cndmask_b32_e64 v62, 0, v62, s0
.LBB325_548:                            ;   in Loop: Header=BB325_423 Depth=1
	s_or_b32 exec_lo, exec_lo, s22
	global_load_dwordx2 v[17:18], v[15:16], off offset:512
	v_mov_b32_e32 v67, 0
	v_mov_b32_e32 v68, 0
	s_waitcnt vmcnt(0)
	v_cmp_ne_u16_sdwa s0, v17, v10 src0_sel:BYTE_0 src1_sel:DWORD
	s_and_saveexec_b32 s22, s0
	s_cbranch_execz .LBB325_554
; %bb.549:                              ;   in Loop: Header=BB325_423 Depth=1
	v_cmp_ne_u16_sdwa s0, v17, v30 src0_sel:BYTE_0 src1_sel:DWORD
	v_bfrev_b32_e32 v68, 1
	s_and_saveexec_b32 s26, s0
	s_cbranch_execz .LBB325_553
; %bb.550:                              ;   in Loop: Header=BB325_423 Depth=1
	v_and_b32_e32 v9, 0x7f, v17
	v_mov_b32_e32 v68, 0x7f800001
	s_mov_b32 s27, exec_lo
	v_cmpx_ne_u32_e32 0x7f, v9
	s_cbranch_execz .LBB325_552
; %bb.551:                              ;   in Loop: Header=BB325_423 Depth=1
	v_and_b32_e32 v19, 7, v17
	v_lshrrev_b32_e32 v20, 3, v9
	v_cmp_gt_u32_e64 s0, 8, v9
	v_ffbh_u32_e32 v19, v19
	v_min_u32_e32 v19, 32, v19
	v_subrev_nc_u32_e32 v66, 28, v19
	v_sub_nc_u32_e32 v19, 29, v19
	v_cndmask_b32_e64 v9, v20, v19, s0
	v_cndmask_b32_e64 v19, 0, v66, s0
	v_lshl_add_u32 v9, v9, 23, 0x3c000000
	v_lshlrev_b64 v[19:20], v19, v[17:18]
	v_lshlrev_b32_e32 v20, 24, v17
	v_lshlrev_b32_e32 v19, 20, v19
	v_and_b32_e32 v20, 0x80000000, v20
	v_and_b32_e32 v19, 0x700000, v19
	v_or3_b32 v68, v19, v20, v9
.LBB325_552:                            ;   in Loop: Header=BB325_423 Depth=1
	s_or_b32 exec_lo, exec_lo, s27
.LBB325_553:                            ;   in Loop: Header=BB325_423 Depth=1
	s_or_b32 exec_lo, exec_lo, s26
.LBB325_554:                            ;   in Loop: Header=BB325_423 Depth=1
	s_or_b32 exec_lo, exec_lo, s22
	v_cmp_ne_u16_sdwa s0, v17, v10 src0_sel:BYTE_1 src1_sel:DWORD
	s_and_saveexec_b32 s22, s0
	s_cbranch_execz .LBB325_562
; %bb.555:                              ;   in Loop: Header=BB325_423 Depth=1
	v_cmp_ne_u16_sdwa s0, v17, v30 src0_sel:BYTE_1 src1_sel:DWORD
	v_bfrev_b32_e32 v67, 1
	s_and_saveexec_b32 s26, s0
	s_cbranch_execz .LBB325_561
; %bb.556:                              ;   in Loop: Header=BB325_423 Depth=1
	v_and_b32_sdwa v9, v31, v17 dst_sel:DWORD dst_unused:UNUSED_PAD src0_sel:DWORD src1_sel:BYTE_1
	v_mov_b32_e32 v67, 0x7f800001
	s_mov_b32 s27, exec_lo
	v_and_b32_e32 v20, 0x7f, v9
	v_cmpx_ne_u32_e32 0x7f, v20
	s_cbranch_execz .LBB325_560
; %bb.557:                              ;   in Loop: Header=BB325_423 Depth=1
	v_and_b32_e32 v9, 7, v9
	v_lshrrev_b32_e32 v19, 3, v20
	s_mov_b32 s28, exec_lo
	v_cmpx_gt_u32_e32 8, v20
; %bb.558:                              ;   in Loop: Header=BB325_423 Depth=1
	v_ffbh_u32_e32 v19, v9
	v_min_u32_e32 v19, 32, v19
	v_subrev_nc_u32_e32 v20, 28, v19
	v_sub_nc_u32_e32 v19, 29, v19
	v_lshlrev_b64 v[66:67], v20, v[9:10]
	v_and_b32_e32 v9, 7, v66
; %bb.559:                              ;   in Loop: Header=BB325_423 Depth=1
	s_or_b32 exec_lo, exec_lo, s28
	v_lshlrev_b32_e32 v20, 16, v17
	v_lshlrev_b32_e32 v9, 20, v9
	v_lshl_add_u32 v19, v19, 23, 0x3c000000
	v_and_b32_e32 v20, 0x80000000, v20
	v_or3_b32 v67, v9, v20, v19
.LBB325_560:                            ;   in Loop: Header=BB325_423 Depth=1
	s_or_b32 exec_lo, exec_lo, s27
.LBB325_561:                            ;   in Loop: Header=BB325_423 Depth=1
	s_or_b32 exec_lo, exec_lo, s26
.LBB325_562:                            ;   in Loop: Header=BB325_423 Depth=1
	s_or_b32 exec_lo, exec_lo, s22
	v_and_b32_sdwa v9, v17, v32 dst_sel:DWORD dst_unused:UNUSED_PAD src0_sel:WORD_1 src1_sel:DWORD
	v_mov_b32_e32 v69, 0
	v_mov_b32_e32 v66, 0
	s_mov_b32 s22, exec_lo
	v_cmpx_ne_u16_e32 0, v9
	s_cbranch_execz .LBB325_570
; %bb.563:                              ;   in Loop: Header=BB325_423 Depth=1
	v_bfrev_b32_e32 v66, 1
	s_mov_b32 s26, exec_lo
	v_cmpx_ne_u16_e32 0x80, v9
	s_cbranch_execz .LBB325_569
; %bb.564:                              ;   in Loop: Header=BB325_423 Depth=1
	v_bfe_u32 v20, v17, 16, 7
	v_mov_b32_e32 v66, 0x7f800001
	s_mov_b32 s27, exec_lo
	v_cmpx_ne_u32_e32 0x7f, v20
	s_cbranch_execz .LBB325_568
; %bb.565:                              ;   in Loop: Header=BB325_423 Depth=1
	v_and_b32_sdwa v9, v17, v37 dst_sel:DWORD dst_unused:UNUSED_PAD src0_sel:WORD_1 src1_sel:DWORD
	v_lshrrev_b32_e32 v19, 3, v20
	s_mov_b32 s28, exec_lo
	v_cmpx_gt_u32_e32 8, v20
; %bb.566:                              ;   in Loop: Header=BB325_423 Depth=1
	v_ffbh_u32_e32 v19, v9
	v_min_u32_e32 v19, 32, v19
	v_subrev_nc_u32_e32 v20, 28, v19
	v_sub_nc_u32_e32 v19, 29, v19
	v_lshlrev_b64 v[70:71], v20, v[9:10]
	v_and_b32_e32 v9, 7, v70
; %bb.567:                              ;   in Loop: Header=BB325_423 Depth=1
	s_or_b32 exec_lo, exec_lo, s28
	v_lshlrev_b32_sdwa v20, v38, v17 dst_sel:DWORD dst_unused:UNUSED_PAD src0_sel:DWORD src1_sel:WORD_1
	v_lshlrev_b32_e32 v9, 20, v9
	v_lshl_add_u32 v19, v19, 23, 0x3c000000
	v_and_b32_e32 v20, 0x80000000, v20
	v_or3_b32 v66, v9, v20, v19
.LBB325_568:                            ;   in Loop: Header=BB325_423 Depth=1
	s_or_b32 exec_lo, exec_lo, s27
.LBB325_569:                            ;   in Loop: Header=BB325_423 Depth=1
	s_or_b32 exec_lo, exec_lo, s26
.LBB325_570:                            ;   in Loop: Header=BB325_423 Depth=1
	s_or_b32 exec_lo, exec_lo, s22
	s_mov_b32 s22, exec_lo
	v_cmpx_lt_u32_e32 0xffffff, v17
	s_cbranch_execz .LBB325_578
; %bb.571:                              ;   in Loop: Header=BB325_423 Depth=1
	v_cmp_ne_u32_sdwa s0, v17, v30 src0_sel:BYTE_3 src1_sel:DWORD
	v_bfrev_b32_e32 v69, 1
	s_and_saveexec_b32 s26, s0
	s_cbranch_execz .LBB325_577
; %bb.572:                              ;   in Loop: Header=BB325_423 Depth=1
	v_bfe_u32 v20, v17, 24, 7
	v_mov_b32_e32 v69, 0x7f800001
	s_mov_b32 s27, exec_lo
	v_cmpx_ne_u32_e32 0x7f, v20
	s_cbranch_execz .LBB325_576
; %bb.573:                              ;   in Loop: Header=BB325_423 Depth=1
	v_and_b32_sdwa v9, v17, v37 dst_sel:DWORD dst_unused:UNUSED_PAD src0_sel:BYTE_3 src1_sel:DWORD
	v_lshrrev_b32_e32 v19, 3, v20
	s_mov_b32 s28, exec_lo
	v_cmpx_gt_u32_e32 8, v20
; %bb.574:                              ;   in Loop: Header=BB325_423 Depth=1
	v_ffbh_u32_e32 v19, v9
	v_min_u32_e32 v19, 32, v19
	v_subrev_nc_u32_e32 v20, 28, v19
	v_sub_nc_u32_e32 v19, 29, v19
	v_lshlrev_b64 v[69:70], v20, v[9:10]
	v_and_b32_e32 v9, 7, v69
; %bb.575:                              ;   in Loop: Header=BB325_423 Depth=1
	s_or_b32 exec_lo, exec_lo, s28
	v_lshlrev_b32_sdwa v20, v38, v17 dst_sel:DWORD dst_unused:UNUSED_PAD src0_sel:DWORD src1_sel:BYTE_3
	v_lshlrev_b32_e32 v9, 20, v9
	v_lshl_add_u32 v19, v19, 23, 0x3c000000
	v_and_b32_e32 v20, 0x80000000, v20
	v_or3_b32 v69, v9, v20, v19
.LBB325_576:                            ;   in Loop: Header=BB325_423 Depth=1
	s_or_b32 exec_lo, exec_lo, s27
.LBB325_577:                            ;   in Loop: Header=BB325_423 Depth=1
	s_or_b32 exec_lo, exec_lo, s26
.LBB325_578:                            ;   in Loop: Header=BB325_423 Depth=1
	s_or_b32 exec_lo, exec_lo, s22
	v_mov_b32_e32 v9, v18
	v_cmp_ne_u16_sdwa s0, v18, v10 src0_sel:BYTE_0 src1_sel:DWORD
	v_mov_b32_e32 v19, 0
	v_mov_b32_e32 v70, 0
	s_and_saveexec_b32 s22, s0
	s_cbranch_execz .LBB325_584
; %bb.579:                              ;   in Loop: Header=BB325_423 Depth=1
	v_cmp_ne_u16_sdwa s0, v18, v30 src0_sel:BYTE_0 src1_sel:DWORD
	v_bfrev_b32_e32 v70, 1
	s_and_saveexec_b32 s26, s0
	s_cbranch_execz .LBB325_583
; %bb.580:                              ;   in Loop: Header=BB325_423 Depth=1
	v_and_b32_e32 v20, 0x7f, v18
	v_mov_b32_e32 v70, 0x7f800001
	s_mov_b32 s27, exec_lo
	v_cmpx_ne_u32_e32 0x7f, v20
	s_cbranch_execz .LBB325_582
; %bb.581:                              ;   in Loop: Header=BB325_423 Depth=1
	v_and_b32_e32 v70, 7, v18
	v_lshrrev_b32_e32 v71, 3, v20
	v_cmp_gt_u32_e64 s0, 8, v20
	v_ffbh_u32_e32 v70, v70
	v_min_u32_e32 v70, 32, v70
	v_subrev_nc_u32_e32 v72, 28, v70
	v_sub_nc_u32_e32 v70, 29, v70
	v_cndmask_b32_e64 v20, v71, v70, s0
	v_cndmask_b32_e64 v70, 0, v72, s0
	v_lshl_add_u32 v20, v20, 23, 0x3c000000
	v_lshlrev_b64 v[70:71], v70, v[9:10]
	v_lshlrev_b32_e32 v71, 24, v9
	v_lshlrev_b32_e32 v70, 20, v70
	v_and_b32_e32 v71, 0x80000000, v71
	v_and_b32_e32 v70, 0x700000, v70
	v_or3_b32 v70, v70, v71, v20
.LBB325_582:                            ;   in Loop: Header=BB325_423 Depth=1
	s_or_b32 exec_lo, exec_lo, s27
.LBB325_583:                            ;   in Loop: Header=BB325_423 Depth=1
	s_or_b32 exec_lo, exec_lo, s26
.LBB325_584:                            ;   in Loop: Header=BB325_423 Depth=1
	s_or_b32 exec_lo, exec_lo, s22
	v_cmp_ne_u16_sdwa s0, v9, v10 src0_sel:BYTE_1 src1_sel:DWORD
	s_and_saveexec_b32 s22, s0
	s_cbranch_execz .LBB325_592
; %bb.585:                              ;   in Loop: Header=BB325_423 Depth=1
	v_cmp_ne_u16_sdwa s0, v9, v30 src0_sel:BYTE_1 src1_sel:DWORD
	v_bfrev_b32_e32 v19, 1
	s_and_saveexec_b32 s26, s0
	s_cbranch_execz .LBB325_591
; %bb.586:                              ;   in Loop: Header=BB325_423 Depth=1
	v_and_b32_sdwa v20, v31, v9 dst_sel:DWORD dst_unused:UNUSED_PAD src0_sel:DWORD src1_sel:BYTE_1
	v_mov_b32_e32 v19, 0x7f800001
	s_mov_b32 s27, exec_lo
	v_and_b32_e32 v72, 0x7f, v20
	v_cmpx_ne_u32_e32 0x7f, v72
	s_cbranch_execz .LBB325_590
; %bb.587:                              ;   in Loop: Header=BB325_423 Depth=1
	v_and_b32_e32 v19, 7, v20
	v_mov_b32_e32 v20, v10
	v_lshrrev_b32_e32 v71, 3, v72
	s_mov_b32 s28, exec_lo
	v_cmpx_gt_u32_e32 8, v72
; %bb.588:                              ;   in Loop: Header=BB325_423 Depth=1
	v_ffbh_u32_e32 v71, v19
	v_min_u32_e32 v71, 32, v71
	v_subrev_nc_u32_e32 v72, 28, v71
	v_sub_nc_u32_e32 v71, 29, v71
	v_lshlrev_b64 v[19:20], v72, v[19:20]
	v_and_b32_e32 v19, 7, v19
; %bb.589:                              ;   in Loop: Header=BB325_423 Depth=1
	s_or_b32 exec_lo, exec_lo, s28
	v_lshlrev_b32_e32 v9, 16, v9
	v_lshlrev_b32_e32 v19, 20, v19
	v_lshl_add_u32 v20, v71, 23, 0x3c000000
	v_and_b32_e32 v9, 0x80000000, v9
	v_or3_b32 v19, v19, v9, v20
.LBB325_590:                            ;   in Loop: Header=BB325_423 Depth=1
	s_or_b32 exec_lo, exec_lo, s27
.LBB325_591:                            ;   in Loop: Header=BB325_423 Depth=1
	s_or_b32 exec_lo, exec_lo, s26
.LBB325_592:                            ;   in Loop: Header=BB325_423 Depth=1
	s_or_b32 exec_lo, exec_lo, s22
	v_and_b32_sdwa v9, v18, v32 dst_sel:DWORD dst_unused:UNUSED_PAD src0_sel:WORD_1 src1_sel:DWORD
	v_mov_b32_e32 v20, 0
	v_mov_b32_e32 v71, 0
	s_mov_b32 s22, exec_lo
	v_cmpx_ne_u16_e32 0, v9
	s_cbranch_execz .LBB325_600
; %bb.593:                              ;   in Loop: Header=BB325_423 Depth=1
	v_bfrev_b32_e32 v71, 1
	s_mov_b32 s26, exec_lo
	v_cmpx_ne_u16_e32 0x80, v9
	s_cbranch_execz .LBB325_599
; %bb.594:                              ;   in Loop: Header=BB325_423 Depth=1
	v_bfe_u32 v72, v18, 16, 7
	v_mov_b32_e32 v71, 0x7f800001
	s_mov_b32 s27, exec_lo
	v_cmpx_ne_u32_e32 0x7f, v72
	s_cbranch_execz .LBB325_598
; %bb.595:                              ;   in Loop: Header=BB325_423 Depth=1
	v_and_b32_sdwa v9, v18, v37 dst_sel:DWORD dst_unused:UNUSED_PAD src0_sel:WORD_1 src1_sel:DWORD
	v_lshrrev_b32_e32 v71, 3, v72
	s_mov_b32 s28, exec_lo
	v_cmpx_gt_u32_e32 8, v72
; %bb.596:                              ;   in Loop: Header=BB325_423 Depth=1
	v_ffbh_u32_e32 v71, v9
	v_min_u32_e32 v71, 32, v71
	v_subrev_nc_u32_e32 v72, 28, v71
	v_sub_nc_u32_e32 v71, 29, v71
	v_lshlrev_b64 v[72:73], v72, v[9:10]
	v_and_b32_e32 v9, 7, v72
; %bb.597:                              ;   in Loop: Header=BB325_423 Depth=1
	s_or_b32 exec_lo, exec_lo, s28
	v_lshlrev_b32_sdwa v72, v38, v18 dst_sel:DWORD dst_unused:UNUSED_PAD src0_sel:DWORD src1_sel:WORD_1
	v_lshlrev_b32_e32 v9, 20, v9
	v_lshl_add_u32 v71, v71, 23, 0x3c000000
	v_and_b32_e32 v72, 0x80000000, v72
	v_or3_b32 v71, v9, v72, v71
.LBB325_598:                            ;   in Loop: Header=BB325_423 Depth=1
	s_or_b32 exec_lo, exec_lo, s27
.LBB325_599:                            ;   in Loop: Header=BB325_423 Depth=1
	s_or_b32 exec_lo, exec_lo, s26
.LBB325_600:                            ;   in Loop: Header=BB325_423 Depth=1
	s_or_b32 exec_lo, exec_lo, s22
	s_mov_b32 s22, exec_lo
	v_cmpx_lt_u64_e64 s[2:3], v[17:18]
	s_cbranch_execz .LBB325_608
; %bb.601:                              ;   in Loop: Header=BB325_423 Depth=1
	v_cmp_ne_u32_sdwa s0, v18, v30 src0_sel:BYTE_3 src1_sel:DWORD
	v_bfrev_b32_e32 v20, 1
	s_and_saveexec_b32 s26, s0
	s_cbranch_execz .LBB325_607
; %bb.602:                              ;   in Loop: Header=BB325_423 Depth=1
	v_bfe_u32 v72, v18, 24, 7
	v_mov_b32_e32 v20, 0x7f800001
	s_mov_b32 s27, exec_lo
	v_cmpx_ne_u32_e32 0x7f, v72
	s_cbranch_execz .LBB325_606
; %bb.603:                              ;   in Loop: Header=BB325_423 Depth=1
	v_and_b32_sdwa v9, v18, v37 dst_sel:DWORD dst_unused:UNUSED_PAD src0_sel:BYTE_3 src1_sel:DWORD
	v_lshrrev_b32_e32 v17, 3, v72
	s_mov_b32 s28, exec_lo
	v_cmpx_gt_u32_e32 8, v72
; %bb.604:                              ;   in Loop: Header=BB325_423 Depth=1
	v_ffbh_u32_e32 v17, v9
	v_min_u32_e32 v17, 32, v17
	v_subrev_nc_u32_e32 v20, 28, v17
	v_sub_nc_u32_e32 v17, 29, v17
	v_lshlrev_b64 v[72:73], v20, v[9:10]
	v_and_b32_e32 v9, 7, v72
; %bb.605:                              ;   in Loop: Header=BB325_423 Depth=1
	s_or_b32 exec_lo, exec_lo, s28
	v_lshlrev_b32_sdwa v18, v38, v18 dst_sel:DWORD dst_unused:UNUSED_PAD src0_sel:DWORD src1_sel:BYTE_3
	v_lshlrev_b32_e32 v9, 20, v9
	v_lshl_add_u32 v17, v17, 23, 0x3c000000
	v_and_b32_e32 v18, 0x80000000, v18
	v_or3_b32 v20, v9, v18, v17
.LBB325_606:                            ;   in Loop: Header=BB325_423 Depth=1
	s_or_b32 exec_lo, exec_lo, s27
.LBB325_607:                            ;   in Loop: Header=BB325_423 Depth=1
	s_or_b32 exec_lo, exec_lo, s26
.LBB325_608:                            ;   in Loop: Header=BB325_423 Depth=1
	s_or_b32 exec_lo, exec_lo, s22
	v_mul_f32_e32 v9, s21, v19
	v_mul_f32_e32 v17, s21, v70
	v_mul_f32_e32 v19, s21, v66
	v_mul_f32_e32 v18, s21, v69
	v_mul_f32_e32 v20, s21, v20
	v_bfe_u32 v66, v9, 16, 1
	v_or_b32_e32 v69, 0x400000, v9
	v_bfe_u32 v70, v17, 16, 1
	v_cmp_u_f32_e64 s0, v9, v9
	v_or_b32_e32 v72, 0x400000, v17
	v_add3_u32 v66, v66, v9, 0x7fff
	v_bfe_u32 v73, v18, 16, 1
	v_add3_u32 v70, v70, v17, 0x7fff
	v_or_b32_e32 v74, 0x400000, v18
	v_bfe_u32 v75, v19, 16, 1
	v_cndmask_b32_e64 v9, v66, v69, s0
	v_cmp_u_f32_e64 s0, v17, v17
	v_add3_u32 v73, v73, v18, 0x7fff
	v_lshrrev_b32_e32 v66, 16, v9
	v_cndmask_b32_e64 v17, v70, v72, s0
	v_cmp_u_f32_e64 s0, v18, v18
	v_mul_f32_e32 v9, s21, v67
	v_add3_u32 v70, v75, v19, 0x7fff
	v_or_b32_e32 v72, 0x400000, v19
	v_lshrrev_b32_e32 v67, 16, v17
	v_cndmask_b32_e64 v18, v73, v74, s0
	v_bfe_u32 v17, v9, 16, 1
	v_cmp_u_f32_e64 s0, v19, v19
	v_mul_f32_e32 v19, s21, v68
	v_mul_f32_e32 v68, s21, v71
	v_lshrrev_b32_e32 v69, 16, v18
	v_add3_u32 v17, v17, v9, 0x7fff
	v_cndmask_b32_e64 v18, v70, v72, s0
	v_or_b32_e32 v70, 0x400000, v9
	v_bfe_u32 v71, v19, 16, 1
	v_cmp_u_f32_e64 s0, v9, v9
	v_bfe_u32 v72, v68, 16, 1
	v_or_b32_e32 v73, 0x400000, v68
	v_or_b32_e32 v74, 0x400000, v20
	v_cndmask_b32_e64 v9, v17, v70, s0
	v_add3_u32 v70, v71, v19, 0x7fff
	v_or_b32_e32 v71, 0x400000, v19
	v_cmp_u_f32_e64 s0, v19, v19
	v_bfe_u32 v17, v20, 16, 1
	v_add3_u32 v72, v72, v68, 0x7fff
	v_cndmask_b32_e64 v19, v70, v71, s0
	v_cmp_u_f32_e64 s0, v68, v68
	v_add3_u32 v17, v17, v20, 0x7fff
	v_lshrrev_b32_e32 v71, 16, v18
	v_cndmask_b32_e64 v68, v72, v73, s0
	v_cmp_u_f32_e64 s0, v20, v20
	v_lshrrev_b32_e32 v73, 16, v9
	v_lshrrev_b32_e32 v72, 16, v19
	;; [unrolled: 1-line block ×3, first 2 shown]
	v_cndmask_b32_e64 v17, v17, v74, s0
	v_lshrrev_b32_e32 v70, 16, v17
	s_and_saveexec_b32 s22, vcc_lo
	s_cbranch_execz .LBB325_610
; %bb.609:                              ;   in Loop: Header=BB325_423 Depth=1
	v_cmp_gt_i32_e64 s0, s33, v50
	v_cndmask_b32_e64 v72, 0, v72, s0
	v_cmp_gt_i32_e64 s0, s33, v57
	v_cndmask_b32_e64 v73, 0, v73, s0
	v_cmp_gt_i32_e64 s0, s33, v56
	v_cndmask_b32_e64 v71, 0, v71, s0
	v_cmp_gt_i32_e64 s0, s33, v55
	v_cndmask_b32_e64 v69, 0, v69, s0
	v_cmp_gt_i32_e64 s0, s33, v54
	v_cndmask_b32_e64 v67, 0, v67, s0
	v_cmp_gt_i32_e64 s0, s33, v53
	v_cndmask_b32_e64 v66, 0, v66, s0
	v_cmp_gt_i32_e64 s0, s33, v52
	v_cndmask_b32_e64 v68, 0, v68, s0
	v_cmp_gt_i32_e64 s0, s33, v51
	v_cndmask_b32_e64 v70, 0, v70, s0
.LBB325_610:                            ;   in Loop: Header=BB325_423 Depth=1
	s_or_b32 exec_lo, exec_lo, s22
	global_load_dwordx2 v[17:18], v[15:16], off offset:768
	v_mov_b32_e32 v75, 0
	v_mov_b32_e32 v76, 0
	s_waitcnt vmcnt(0)
	v_cmp_ne_u16_sdwa s0, v17, v10 src0_sel:BYTE_0 src1_sel:DWORD
	s_and_saveexec_b32 s22, s0
	s_cbranch_execz .LBB325_616
; %bb.611:                              ;   in Loop: Header=BB325_423 Depth=1
	v_cmp_ne_u16_sdwa s0, v17, v30 src0_sel:BYTE_0 src1_sel:DWORD
	v_bfrev_b32_e32 v76, 1
	s_and_saveexec_b32 s26, s0
	s_cbranch_execz .LBB325_615
; %bb.612:                              ;   in Loop: Header=BB325_423 Depth=1
	v_and_b32_e32 v9, 0x7f, v17
	v_mov_b32_e32 v76, 0x7f800001
	s_mov_b32 s27, exec_lo
	v_cmpx_ne_u32_e32 0x7f, v9
	s_cbranch_execz .LBB325_614
; %bb.613:                              ;   in Loop: Header=BB325_423 Depth=1
	v_and_b32_e32 v19, 7, v17
	v_lshrrev_b32_e32 v20, 3, v9
	v_cmp_gt_u32_e64 s0, 8, v9
	v_ffbh_u32_e32 v19, v19
	v_min_u32_e32 v19, 32, v19
	v_subrev_nc_u32_e32 v74, 28, v19
	v_sub_nc_u32_e32 v19, 29, v19
	v_cndmask_b32_e64 v9, v20, v19, s0
	v_cndmask_b32_e64 v19, 0, v74, s0
	v_lshl_add_u32 v9, v9, 23, 0x3c000000
	v_lshlrev_b64 v[19:20], v19, v[17:18]
	v_lshlrev_b32_e32 v20, 24, v17
	v_lshlrev_b32_e32 v19, 20, v19
	v_and_b32_e32 v20, 0x80000000, v20
	v_and_b32_e32 v19, 0x700000, v19
	v_or3_b32 v76, v19, v20, v9
.LBB325_614:                            ;   in Loop: Header=BB325_423 Depth=1
	s_or_b32 exec_lo, exec_lo, s27
.LBB325_615:                            ;   in Loop: Header=BB325_423 Depth=1
	s_or_b32 exec_lo, exec_lo, s26
.LBB325_616:                            ;   in Loop: Header=BB325_423 Depth=1
	s_or_b32 exec_lo, exec_lo, s22
	v_cmp_ne_u16_sdwa s0, v17, v10 src0_sel:BYTE_1 src1_sel:DWORD
	s_and_saveexec_b32 s22, s0
	s_cbranch_execz .LBB325_624
; %bb.617:                              ;   in Loop: Header=BB325_423 Depth=1
	v_cmp_ne_u16_sdwa s0, v17, v30 src0_sel:BYTE_1 src1_sel:DWORD
	v_bfrev_b32_e32 v75, 1
	s_and_saveexec_b32 s26, s0
	s_cbranch_execz .LBB325_623
; %bb.618:                              ;   in Loop: Header=BB325_423 Depth=1
	v_and_b32_sdwa v9, v31, v17 dst_sel:DWORD dst_unused:UNUSED_PAD src0_sel:DWORD src1_sel:BYTE_1
	v_mov_b32_e32 v75, 0x7f800001
	s_mov_b32 s27, exec_lo
	v_and_b32_e32 v20, 0x7f, v9
	v_cmpx_ne_u32_e32 0x7f, v20
	s_cbranch_execz .LBB325_622
; %bb.619:                              ;   in Loop: Header=BB325_423 Depth=1
	v_and_b32_e32 v9, 7, v9
	v_lshrrev_b32_e32 v19, 3, v20
	s_mov_b32 s28, exec_lo
	v_cmpx_gt_u32_e32 8, v20
; %bb.620:                              ;   in Loop: Header=BB325_423 Depth=1
	v_ffbh_u32_e32 v19, v9
	v_min_u32_e32 v19, 32, v19
	v_subrev_nc_u32_e32 v20, 28, v19
	v_sub_nc_u32_e32 v19, 29, v19
	v_lshlrev_b64 v[74:75], v20, v[9:10]
	v_and_b32_e32 v9, 7, v74
; %bb.621:                              ;   in Loop: Header=BB325_423 Depth=1
	s_or_b32 exec_lo, exec_lo, s28
	v_lshlrev_b32_e32 v20, 16, v17
	v_lshlrev_b32_e32 v9, 20, v9
	v_lshl_add_u32 v19, v19, 23, 0x3c000000
	v_and_b32_e32 v20, 0x80000000, v20
	v_or3_b32 v75, v9, v20, v19
.LBB325_622:                            ;   in Loop: Header=BB325_423 Depth=1
	s_or_b32 exec_lo, exec_lo, s27
.LBB325_623:                            ;   in Loop: Header=BB325_423 Depth=1
	s_or_b32 exec_lo, exec_lo, s26
.LBB325_624:                            ;   in Loop: Header=BB325_423 Depth=1
	s_or_b32 exec_lo, exec_lo, s22
	v_and_b32_sdwa v9, v17, v32 dst_sel:DWORD dst_unused:UNUSED_PAD src0_sel:WORD_1 src1_sel:DWORD
	v_mov_b32_e32 v77, 0
	v_mov_b32_e32 v74, 0
	s_mov_b32 s22, exec_lo
	v_cmpx_ne_u16_e32 0, v9
	s_cbranch_execz .LBB325_632
; %bb.625:                              ;   in Loop: Header=BB325_423 Depth=1
	v_bfrev_b32_e32 v74, 1
	s_mov_b32 s26, exec_lo
	v_cmpx_ne_u16_e32 0x80, v9
	s_cbranch_execz .LBB325_631
; %bb.626:                              ;   in Loop: Header=BB325_423 Depth=1
	v_bfe_u32 v20, v17, 16, 7
	v_mov_b32_e32 v74, 0x7f800001
	s_mov_b32 s27, exec_lo
	v_cmpx_ne_u32_e32 0x7f, v20
	s_cbranch_execz .LBB325_630
; %bb.627:                              ;   in Loop: Header=BB325_423 Depth=1
	v_and_b32_sdwa v9, v17, v37 dst_sel:DWORD dst_unused:UNUSED_PAD src0_sel:WORD_1 src1_sel:DWORD
	v_lshrrev_b32_e32 v19, 3, v20
	s_mov_b32 s28, exec_lo
	v_cmpx_gt_u32_e32 8, v20
; %bb.628:                              ;   in Loop: Header=BB325_423 Depth=1
	v_ffbh_u32_e32 v19, v9
	v_min_u32_e32 v19, 32, v19
	v_subrev_nc_u32_e32 v20, 28, v19
	v_sub_nc_u32_e32 v19, 29, v19
	v_lshlrev_b64 v[78:79], v20, v[9:10]
	v_and_b32_e32 v9, 7, v78
; %bb.629:                              ;   in Loop: Header=BB325_423 Depth=1
	s_or_b32 exec_lo, exec_lo, s28
	v_lshlrev_b32_sdwa v20, v38, v17 dst_sel:DWORD dst_unused:UNUSED_PAD src0_sel:DWORD src1_sel:WORD_1
	v_lshlrev_b32_e32 v9, 20, v9
	v_lshl_add_u32 v19, v19, 23, 0x3c000000
	v_and_b32_e32 v20, 0x80000000, v20
	v_or3_b32 v74, v9, v20, v19
.LBB325_630:                            ;   in Loop: Header=BB325_423 Depth=1
	s_or_b32 exec_lo, exec_lo, s27
.LBB325_631:                            ;   in Loop: Header=BB325_423 Depth=1
	s_or_b32 exec_lo, exec_lo, s26
.LBB325_632:                            ;   in Loop: Header=BB325_423 Depth=1
	s_or_b32 exec_lo, exec_lo, s22
	s_mov_b32 s22, exec_lo
	v_cmpx_lt_u32_e32 0xffffff, v17
	s_cbranch_execz .LBB325_640
; %bb.633:                              ;   in Loop: Header=BB325_423 Depth=1
	v_cmp_ne_u32_sdwa s0, v17, v30 src0_sel:BYTE_3 src1_sel:DWORD
	v_bfrev_b32_e32 v77, 1
	s_and_saveexec_b32 s26, s0
	s_cbranch_execz .LBB325_639
; %bb.634:                              ;   in Loop: Header=BB325_423 Depth=1
	v_bfe_u32 v20, v17, 24, 7
	v_mov_b32_e32 v77, 0x7f800001
	s_mov_b32 s27, exec_lo
	v_cmpx_ne_u32_e32 0x7f, v20
	s_cbranch_execz .LBB325_638
; %bb.635:                              ;   in Loop: Header=BB325_423 Depth=1
	v_and_b32_sdwa v9, v17, v37 dst_sel:DWORD dst_unused:UNUSED_PAD src0_sel:BYTE_3 src1_sel:DWORD
	v_lshrrev_b32_e32 v19, 3, v20
	s_mov_b32 s28, exec_lo
	v_cmpx_gt_u32_e32 8, v20
; %bb.636:                              ;   in Loop: Header=BB325_423 Depth=1
	v_ffbh_u32_e32 v19, v9
	v_min_u32_e32 v19, 32, v19
	v_subrev_nc_u32_e32 v20, 28, v19
	v_sub_nc_u32_e32 v19, 29, v19
	v_lshlrev_b64 v[77:78], v20, v[9:10]
	v_and_b32_e32 v9, 7, v77
; %bb.637:                              ;   in Loop: Header=BB325_423 Depth=1
	s_or_b32 exec_lo, exec_lo, s28
	v_lshlrev_b32_sdwa v20, v38, v17 dst_sel:DWORD dst_unused:UNUSED_PAD src0_sel:DWORD src1_sel:BYTE_3
	v_lshlrev_b32_e32 v9, 20, v9
	v_lshl_add_u32 v19, v19, 23, 0x3c000000
	v_and_b32_e32 v20, 0x80000000, v20
	v_or3_b32 v77, v9, v20, v19
.LBB325_638:                            ;   in Loop: Header=BB325_423 Depth=1
	s_or_b32 exec_lo, exec_lo, s27
.LBB325_639:                            ;   in Loop: Header=BB325_423 Depth=1
	s_or_b32 exec_lo, exec_lo, s26
.LBB325_640:                            ;   in Loop: Header=BB325_423 Depth=1
	s_or_b32 exec_lo, exec_lo, s22
	v_mov_b32_e32 v9, v18
	v_cmp_ne_u16_sdwa s0, v18, v10 src0_sel:BYTE_0 src1_sel:DWORD
	v_mov_b32_e32 v19, 0
	v_mov_b32_e32 v78, 0
	s_and_saveexec_b32 s22, s0
	s_cbranch_execz .LBB325_646
; %bb.641:                              ;   in Loop: Header=BB325_423 Depth=1
	v_cmp_ne_u16_sdwa s0, v18, v30 src0_sel:BYTE_0 src1_sel:DWORD
	v_bfrev_b32_e32 v78, 1
	s_and_saveexec_b32 s26, s0
	s_cbranch_execz .LBB325_645
; %bb.642:                              ;   in Loop: Header=BB325_423 Depth=1
	v_and_b32_e32 v20, 0x7f, v18
	v_mov_b32_e32 v78, 0x7f800001
	s_mov_b32 s27, exec_lo
	v_cmpx_ne_u32_e32 0x7f, v20
	s_cbranch_execz .LBB325_644
; %bb.643:                              ;   in Loop: Header=BB325_423 Depth=1
	v_and_b32_e32 v78, 7, v18
	v_lshrrev_b32_e32 v79, 3, v20
	v_cmp_gt_u32_e64 s0, 8, v20
	v_ffbh_u32_e32 v78, v78
	v_min_u32_e32 v78, 32, v78
	v_subrev_nc_u32_e32 v80, 28, v78
	v_sub_nc_u32_e32 v78, 29, v78
	v_cndmask_b32_e64 v20, v79, v78, s0
	v_cndmask_b32_e64 v78, 0, v80, s0
	v_lshl_add_u32 v20, v20, 23, 0x3c000000
	v_lshlrev_b64 v[78:79], v78, v[9:10]
	v_lshlrev_b32_e32 v79, 24, v9
	v_lshlrev_b32_e32 v78, 20, v78
	v_and_b32_e32 v79, 0x80000000, v79
	v_and_b32_e32 v78, 0x700000, v78
	v_or3_b32 v78, v78, v79, v20
.LBB325_644:                            ;   in Loop: Header=BB325_423 Depth=1
	s_or_b32 exec_lo, exec_lo, s27
.LBB325_645:                            ;   in Loop: Header=BB325_423 Depth=1
	s_or_b32 exec_lo, exec_lo, s26
.LBB325_646:                            ;   in Loop: Header=BB325_423 Depth=1
	s_or_b32 exec_lo, exec_lo, s22
	v_cmp_ne_u16_sdwa s0, v9, v10 src0_sel:BYTE_1 src1_sel:DWORD
	s_and_saveexec_b32 s22, s0
	s_cbranch_execz .LBB325_654
; %bb.647:                              ;   in Loop: Header=BB325_423 Depth=1
	v_cmp_ne_u16_sdwa s0, v9, v30 src0_sel:BYTE_1 src1_sel:DWORD
	v_bfrev_b32_e32 v19, 1
	s_and_saveexec_b32 s26, s0
	s_cbranch_execz .LBB325_653
; %bb.648:                              ;   in Loop: Header=BB325_423 Depth=1
	v_and_b32_sdwa v20, v31, v9 dst_sel:DWORD dst_unused:UNUSED_PAD src0_sel:DWORD src1_sel:BYTE_1
	v_mov_b32_e32 v19, 0x7f800001
	s_mov_b32 s27, exec_lo
	v_and_b32_e32 v80, 0x7f, v20
	v_cmpx_ne_u32_e32 0x7f, v80
	s_cbranch_execz .LBB325_652
; %bb.649:                              ;   in Loop: Header=BB325_423 Depth=1
	v_and_b32_e32 v19, 7, v20
	v_mov_b32_e32 v20, v10
	v_lshrrev_b32_e32 v79, 3, v80
	s_mov_b32 s28, exec_lo
	v_cmpx_gt_u32_e32 8, v80
; %bb.650:                              ;   in Loop: Header=BB325_423 Depth=1
	v_ffbh_u32_e32 v79, v19
	v_min_u32_e32 v79, 32, v79
	v_subrev_nc_u32_e32 v80, 28, v79
	v_sub_nc_u32_e32 v79, 29, v79
	v_lshlrev_b64 v[19:20], v80, v[19:20]
	v_and_b32_e32 v19, 7, v19
; %bb.651:                              ;   in Loop: Header=BB325_423 Depth=1
	s_or_b32 exec_lo, exec_lo, s28
	v_lshlrev_b32_e32 v9, 16, v9
	v_lshlrev_b32_e32 v19, 20, v19
	v_lshl_add_u32 v20, v79, 23, 0x3c000000
	v_and_b32_e32 v9, 0x80000000, v9
	v_or3_b32 v19, v19, v9, v20
.LBB325_652:                            ;   in Loop: Header=BB325_423 Depth=1
	s_or_b32 exec_lo, exec_lo, s27
.LBB325_653:                            ;   in Loop: Header=BB325_423 Depth=1
	s_or_b32 exec_lo, exec_lo, s26
.LBB325_654:                            ;   in Loop: Header=BB325_423 Depth=1
	s_or_b32 exec_lo, exec_lo, s22
	v_and_b32_sdwa v9, v18, v32 dst_sel:DWORD dst_unused:UNUSED_PAD src0_sel:WORD_1 src1_sel:DWORD
	v_mov_b32_e32 v20, 0
	v_mov_b32_e32 v79, 0
	s_mov_b32 s22, exec_lo
	v_cmpx_ne_u16_e32 0, v9
	s_cbranch_execz .LBB325_662
; %bb.655:                              ;   in Loop: Header=BB325_423 Depth=1
	v_bfrev_b32_e32 v79, 1
	s_mov_b32 s26, exec_lo
	v_cmpx_ne_u16_e32 0x80, v9
	s_cbranch_execz .LBB325_661
; %bb.656:                              ;   in Loop: Header=BB325_423 Depth=1
	v_bfe_u32 v80, v18, 16, 7
	v_mov_b32_e32 v79, 0x7f800001
	s_mov_b32 s27, exec_lo
	v_cmpx_ne_u32_e32 0x7f, v80
	s_cbranch_execz .LBB325_660
; %bb.657:                              ;   in Loop: Header=BB325_423 Depth=1
	v_and_b32_sdwa v9, v18, v37 dst_sel:DWORD dst_unused:UNUSED_PAD src0_sel:WORD_1 src1_sel:DWORD
	v_lshrrev_b32_e32 v79, 3, v80
	s_mov_b32 s28, exec_lo
	v_cmpx_gt_u32_e32 8, v80
; %bb.658:                              ;   in Loop: Header=BB325_423 Depth=1
	v_ffbh_u32_e32 v79, v9
	v_min_u32_e32 v79, 32, v79
	v_subrev_nc_u32_e32 v80, 28, v79
	v_sub_nc_u32_e32 v79, 29, v79
	v_lshlrev_b64 v[80:81], v80, v[9:10]
	v_and_b32_e32 v9, 7, v80
; %bb.659:                              ;   in Loop: Header=BB325_423 Depth=1
	s_or_b32 exec_lo, exec_lo, s28
	v_lshlrev_b32_sdwa v80, v38, v18 dst_sel:DWORD dst_unused:UNUSED_PAD src0_sel:DWORD src1_sel:WORD_1
	v_lshlrev_b32_e32 v9, 20, v9
	v_lshl_add_u32 v79, v79, 23, 0x3c000000
	v_and_b32_e32 v80, 0x80000000, v80
	v_or3_b32 v79, v9, v80, v79
.LBB325_660:                            ;   in Loop: Header=BB325_423 Depth=1
	s_or_b32 exec_lo, exec_lo, s27
.LBB325_661:                            ;   in Loop: Header=BB325_423 Depth=1
	s_or_b32 exec_lo, exec_lo, s26
.LBB325_662:                            ;   in Loop: Header=BB325_423 Depth=1
	s_or_b32 exec_lo, exec_lo, s22
	s_mov_b32 s22, exec_lo
	v_cmpx_lt_u64_e64 s[2:3], v[17:18]
	s_cbranch_execz .LBB325_670
; %bb.663:                              ;   in Loop: Header=BB325_423 Depth=1
	v_cmp_ne_u32_sdwa s0, v18, v30 src0_sel:BYTE_3 src1_sel:DWORD
	v_bfrev_b32_e32 v20, 1
	s_and_saveexec_b32 s26, s0
	s_cbranch_execz .LBB325_669
; %bb.664:                              ;   in Loop: Header=BB325_423 Depth=1
	v_bfe_u32 v80, v18, 24, 7
	v_mov_b32_e32 v20, 0x7f800001
	s_mov_b32 s27, exec_lo
	v_cmpx_ne_u32_e32 0x7f, v80
	s_cbranch_execz .LBB325_668
; %bb.665:                              ;   in Loop: Header=BB325_423 Depth=1
	v_and_b32_sdwa v9, v18, v37 dst_sel:DWORD dst_unused:UNUSED_PAD src0_sel:BYTE_3 src1_sel:DWORD
	v_lshrrev_b32_e32 v17, 3, v80
	s_mov_b32 s28, exec_lo
	v_cmpx_gt_u32_e32 8, v80
; %bb.666:                              ;   in Loop: Header=BB325_423 Depth=1
	v_ffbh_u32_e32 v17, v9
	v_min_u32_e32 v17, 32, v17
	v_subrev_nc_u32_e32 v20, 28, v17
	v_sub_nc_u32_e32 v17, 29, v17
	v_lshlrev_b64 v[80:81], v20, v[9:10]
	v_and_b32_e32 v9, 7, v80
; %bb.667:                              ;   in Loop: Header=BB325_423 Depth=1
	s_or_b32 exec_lo, exec_lo, s28
	v_lshlrev_b32_sdwa v18, v38, v18 dst_sel:DWORD dst_unused:UNUSED_PAD src0_sel:DWORD src1_sel:BYTE_3
	v_lshlrev_b32_e32 v9, 20, v9
	v_lshl_add_u32 v17, v17, 23, 0x3c000000
	v_and_b32_e32 v18, 0x80000000, v18
	v_or3_b32 v20, v9, v18, v17
.LBB325_668:                            ;   in Loop: Header=BB325_423 Depth=1
	s_or_b32 exec_lo, exec_lo, s27
.LBB325_669:                            ;   in Loop: Header=BB325_423 Depth=1
	s_or_b32 exec_lo, exec_lo, s26
.LBB325_670:                            ;   in Loop: Header=BB325_423 Depth=1
	s_or_b32 exec_lo, exec_lo, s22
	v_mul_f32_e32 v9, s21, v19
	v_mul_f32_e32 v17, s21, v78
	;; [unrolled: 1-line block ×5, first 2 shown]
	v_bfe_u32 v74, v9, 16, 1
	v_or_b32_e32 v77, 0x400000, v9
	v_bfe_u32 v78, v17, 16, 1
	v_cmp_u_f32_e64 s0, v9, v9
	v_or_b32_e32 v80, 0x400000, v17
	v_add3_u32 v74, v74, v9, 0x7fff
	v_bfe_u32 v81, v18, 16, 1
	v_add3_u32 v78, v78, v17, 0x7fff
	v_or_b32_e32 v82, 0x400000, v18
	v_bfe_u32 v83, v19, 16, 1
	v_cndmask_b32_e64 v9, v74, v77, s0
	v_cmp_u_f32_e64 s0, v17, v17
	v_add3_u32 v81, v81, v18, 0x7fff
	v_lshrrev_b32_e32 v74, 16, v9
	v_cndmask_b32_e64 v17, v78, v80, s0
	v_cmp_u_f32_e64 s0, v18, v18
	v_mul_f32_e32 v9, s21, v75
	v_add3_u32 v78, v83, v19, 0x7fff
	v_or_b32_e32 v80, 0x400000, v19
	v_lshrrev_b32_e32 v75, 16, v17
	v_cndmask_b32_e64 v18, v81, v82, s0
	v_bfe_u32 v17, v9, 16, 1
	v_cmp_u_f32_e64 s0, v19, v19
	v_mul_f32_e32 v19, s21, v76
	v_mul_f32_e32 v76, s21, v79
	v_lshrrev_b32_e32 v77, 16, v18
	v_add3_u32 v17, v17, v9, 0x7fff
	v_cndmask_b32_e64 v18, v78, v80, s0
	v_or_b32_e32 v78, 0x400000, v9
	v_bfe_u32 v79, v19, 16, 1
	v_cmp_u_f32_e64 s0, v9, v9
	v_bfe_u32 v80, v76, 16, 1
	v_or_b32_e32 v81, 0x400000, v76
	v_or_b32_e32 v82, 0x400000, v20
	v_cndmask_b32_e64 v9, v17, v78, s0
	v_add3_u32 v78, v79, v19, 0x7fff
	v_or_b32_e32 v79, 0x400000, v19
	v_cmp_u_f32_e64 s0, v19, v19
	v_bfe_u32 v17, v20, 16, 1
	v_add3_u32 v80, v80, v76, 0x7fff
	v_cndmask_b32_e64 v19, v78, v79, s0
	v_cmp_u_f32_e64 s0, v76, v76
	v_add3_u32 v17, v17, v20, 0x7fff
	v_lshrrev_b32_e32 v79, 16, v18
	v_cndmask_b32_e64 v76, v80, v81, s0
	v_cmp_u_f32_e64 s0, v20, v20
	v_lshrrev_b32_e32 v81, 16, v9
	v_lshrrev_b32_e32 v80, 16, v19
	;; [unrolled: 1-line block ×3, first 2 shown]
	v_cndmask_b32_e64 v17, v17, v82, s0
	v_lshrrev_b32_e32 v78, 16, v17
	s_and_saveexec_b32 s22, vcc_lo
	s_cbranch_execz .LBB325_672
; %bb.671:                              ;   in Loop: Header=BB325_423 Depth=1
	v_cmp_gt_i32_e64 s0, s33, v50
	v_cndmask_b32_e64 v80, 0, v80, s0
	v_cmp_gt_i32_e64 s0, s33, v57
	v_cndmask_b32_e64 v81, 0, v81, s0
	v_cmp_gt_i32_e64 s0, s33, v56
	v_cndmask_b32_e64 v79, 0, v79, s0
	v_cmp_gt_i32_e64 s0, s33, v55
	v_cndmask_b32_e64 v77, 0, v77, s0
	v_cmp_gt_i32_e64 s0, s33, v54
	v_cndmask_b32_e64 v75, 0, v75, s0
	v_cmp_gt_i32_e64 s0, s33, v53
	v_cndmask_b32_e64 v74, 0, v74, s0
	v_cmp_gt_i32_e64 s0, s33, v52
	v_cndmask_b32_e64 v76, 0, v76, s0
	v_cmp_gt_i32_e64 s0, s33, v51
	v_cndmask_b32_e64 v78, 0, v78, s0
.LBB325_672:                            ;   in Loop: Header=BB325_423 Depth=1
	s_or_b32 exec_lo, exec_lo, s22
	global_load_dwordx2 v[17:18], v[15:16], off offset:1024
	v_mov_b32_e32 v83, 0
	v_mov_b32_e32 v82, 0
	s_waitcnt vmcnt(0)
	v_cmp_ne_u16_sdwa s0, v17, v10 src0_sel:BYTE_0 src1_sel:DWORD
	s_and_saveexec_b32 s22, s0
	s_cbranch_execz .LBB325_678
; %bb.673:                              ;   in Loop: Header=BB325_423 Depth=1
	v_cmp_ne_u16_sdwa s0, v17, v30 src0_sel:BYTE_0 src1_sel:DWORD
	v_bfrev_b32_e32 v82, 1
	s_and_saveexec_b32 s26, s0
	s_cbranch_execz .LBB325_677
; %bb.674:                              ;   in Loop: Header=BB325_423 Depth=1
	v_and_b32_e32 v9, 0x7f, v17
	v_mov_b32_e32 v82, 0x7f800001
	s_mov_b32 s27, exec_lo
	v_cmpx_ne_u32_e32 0x7f, v9
	s_cbranch_execz .LBB325_676
; %bb.675:                              ;   in Loop: Header=BB325_423 Depth=1
	v_and_b32_e32 v19, 7, v17
	v_lshrrev_b32_e32 v20, 3, v9
	v_cmp_gt_u32_e64 s0, 8, v9
	v_ffbh_u32_e32 v19, v19
	v_min_u32_e32 v19, 32, v19
	v_subrev_nc_u32_e32 v82, 28, v19
	v_sub_nc_u32_e32 v19, 29, v19
	v_cndmask_b32_e64 v9, v20, v19, s0
	v_cndmask_b32_e64 v19, 0, v82, s0
	v_lshl_add_u32 v9, v9, 23, 0x3c000000
	v_lshlrev_b64 v[19:20], v19, v[17:18]
	v_lshlrev_b32_e32 v20, 24, v17
	v_lshlrev_b32_e32 v19, 20, v19
	v_and_b32_e32 v20, 0x80000000, v20
	v_and_b32_e32 v19, 0x700000, v19
	v_or3_b32 v82, v19, v20, v9
.LBB325_676:                            ;   in Loop: Header=BB325_423 Depth=1
	s_or_b32 exec_lo, exec_lo, s27
.LBB325_677:                            ;   in Loop: Header=BB325_423 Depth=1
	s_or_b32 exec_lo, exec_lo, s26
.LBB325_678:                            ;   in Loop: Header=BB325_423 Depth=1
	s_or_b32 exec_lo, exec_lo, s22
	v_cmp_ne_u16_sdwa s0, v17, v10 src0_sel:BYTE_1 src1_sel:DWORD
	s_and_saveexec_b32 s22, s0
	s_cbranch_execz .LBB325_686
; %bb.679:                              ;   in Loop: Header=BB325_423 Depth=1
	v_cmp_ne_u16_sdwa s0, v17, v30 src0_sel:BYTE_1 src1_sel:DWORD
	v_bfrev_b32_e32 v83, 1
	s_and_saveexec_b32 s26, s0
	s_cbranch_execz .LBB325_685
; %bb.680:                              ;   in Loop: Header=BB325_423 Depth=1
	v_and_b32_sdwa v9, v31, v17 dst_sel:DWORD dst_unused:UNUSED_PAD src0_sel:DWORD src1_sel:BYTE_1
	v_mov_b32_e32 v83, 0x7f800001
	s_mov_b32 s27, exec_lo
	v_and_b32_e32 v20, 0x7f, v9
	v_cmpx_ne_u32_e32 0x7f, v20
	s_cbranch_execz .LBB325_684
; %bb.681:                              ;   in Loop: Header=BB325_423 Depth=1
	v_and_b32_e32 v9, 7, v9
	v_lshrrev_b32_e32 v19, 3, v20
	s_mov_b32 s28, exec_lo
	v_cmpx_gt_u32_e32 8, v20
; %bb.682:                              ;   in Loop: Header=BB325_423 Depth=1
	v_ffbh_u32_e32 v19, v9
	v_min_u32_e32 v19, 32, v19
	v_subrev_nc_u32_e32 v20, 28, v19
	v_sub_nc_u32_e32 v19, 29, v19
	v_lshlrev_b64 v[83:84], v20, v[9:10]
	v_and_b32_e32 v9, 7, v83
; %bb.683:                              ;   in Loop: Header=BB325_423 Depth=1
	s_or_b32 exec_lo, exec_lo, s28
	v_lshlrev_b32_e32 v20, 16, v17
	v_lshlrev_b32_e32 v9, 20, v9
	v_lshl_add_u32 v19, v19, 23, 0x3c000000
	v_and_b32_e32 v20, 0x80000000, v20
	v_or3_b32 v83, v9, v20, v19
.LBB325_684:                            ;   in Loop: Header=BB325_423 Depth=1
	s_or_b32 exec_lo, exec_lo, s27
.LBB325_685:                            ;   in Loop: Header=BB325_423 Depth=1
	s_or_b32 exec_lo, exec_lo, s26
.LBB325_686:                            ;   in Loop: Header=BB325_423 Depth=1
	s_or_b32 exec_lo, exec_lo, s22
	v_and_b32_sdwa v9, v17, v32 dst_sel:DWORD dst_unused:UNUSED_PAD src0_sel:WORD_1 src1_sel:DWORD
	v_mov_b32_e32 v85, 0
	v_mov_b32_e32 v84, 0
	s_mov_b32 s22, exec_lo
	v_cmpx_ne_u16_e32 0, v9
	s_cbranch_execz .LBB325_694
; %bb.687:                              ;   in Loop: Header=BB325_423 Depth=1
	v_bfrev_b32_e32 v84, 1
	s_mov_b32 s26, exec_lo
	v_cmpx_ne_u16_e32 0x80, v9
	s_cbranch_execz .LBB325_693
; %bb.688:                              ;   in Loop: Header=BB325_423 Depth=1
	v_bfe_u32 v20, v17, 16, 7
	v_mov_b32_e32 v84, 0x7f800001
	s_mov_b32 s27, exec_lo
	v_cmpx_ne_u32_e32 0x7f, v20
	s_cbranch_execz .LBB325_692
; %bb.689:                              ;   in Loop: Header=BB325_423 Depth=1
	v_and_b32_sdwa v9, v17, v37 dst_sel:DWORD dst_unused:UNUSED_PAD src0_sel:WORD_1 src1_sel:DWORD
	v_lshrrev_b32_e32 v19, 3, v20
	s_mov_b32 s28, exec_lo
	v_cmpx_gt_u32_e32 8, v20
; %bb.690:                              ;   in Loop: Header=BB325_423 Depth=1
	v_ffbh_u32_e32 v19, v9
	v_min_u32_e32 v19, 32, v19
	v_subrev_nc_u32_e32 v20, 28, v19
	v_sub_nc_u32_e32 v19, 29, v19
	v_lshlrev_b64 v[86:87], v20, v[9:10]
	v_and_b32_e32 v9, 7, v86
; %bb.691:                              ;   in Loop: Header=BB325_423 Depth=1
	s_or_b32 exec_lo, exec_lo, s28
	v_lshlrev_b32_sdwa v20, v38, v17 dst_sel:DWORD dst_unused:UNUSED_PAD src0_sel:DWORD src1_sel:WORD_1
	v_lshlrev_b32_e32 v9, 20, v9
	v_lshl_add_u32 v19, v19, 23, 0x3c000000
	v_and_b32_e32 v20, 0x80000000, v20
	v_or3_b32 v84, v9, v20, v19
.LBB325_692:                            ;   in Loop: Header=BB325_423 Depth=1
	s_or_b32 exec_lo, exec_lo, s27
.LBB325_693:                            ;   in Loop: Header=BB325_423 Depth=1
	s_or_b32 exec_lo, exec_lo, s26
.LBB325_694:                            ;   in Loop: Header=BB325_423 Depth=1
	s_or_b32 exec_lo, exec_lo, s22
	s_mov_b32 s22, exec_lo
	v_cmpx_lt_u32_e32 0xffffff, v17
	s_cbranch_execz .LBB325_702
; %bb.695:                              ;   in Loop: Header=BB325_423 Depth=1
	v_cmp_ne_u32_sdwa s0, v17, v30 src0_sel:BYTE_3 src1_sel:DWORD
	v_bfrev_b32_e32 v85, 1
	s_and_saveexec_b32 s26, s0
	s_cbranch_execz .LBB325_701
; %bb.696:                              ;   in Loop: Header=BB325_423 Depth=1
	v_bfe_u32 v20, v17, 24, 7
	v_mov_b32_e32 v85, 0x7f800001
	s_mov_b32 s27, exec_lo
	v_cmpx_ne_u32_e32 0x7f, v20
	s_cbranch_execz .LBB325_700
; %bb.697:                              ;   in Loop: Header=BB325_423 Depth=1
	v_and_b32_sdwa v9, v17, v37 dst_sel:DWORD dst_unused:UNUSED_PAD src0_sel:BYTE_3 src1_sel:DWORD
	v_lshrrev_b32_e32 v19, 3, v20
	s_mov_b32 s28, exec_lo
	v_cmpx_gt_u32_e32 8, v20
; %bb.698:                              ;   in Loop: Header=BB325_423 Depth=1
	v_ffbh_u32_e32 v19, v9
	v_min_u32_e32 v19, 32, v19
	v_subrev_nc_u32_e32 v20, 28, v19
	v_sub_nc_u32_e32 v19, 29, v19
	v_lshlrev_b64 v[85:86], v20, v[9:10]
	v_and_b32_e32 v9, 7, v85
; %bb.699:                              ;   in Loop: Header=BB325_423 Depth=1
	s_or_b32 exec_lo, exec_lo, s28
	v_lshlrev_b32_sdwa v20, v38, v17 dst_sel:DWORD dst_unused:UNUSED_PAD src0_sel:DWORD src1_sel:BYTE_3
	v_lshlrev_b32_e32 v9, 20, v9
	v_lshl_add_u32 v19, v19, 23, 0x3c000000
	v_and_b32_e32 v20, 0x80000000, v20
	v_or3_b32 v85, v9, v20, v19
.LBB325_700:                            ;   in Loop: Header=BB325_423 Depth=1
	s_or_b32 exec_lo, exec_lo, s27
.LBB325_701:                            ;   in Loop: Header=BB325_423 Depth=1
	s_or_b32 exec_lo, exec_lo, s26
.LBB325_702:                            ;   in Loop: Header=BB325_423 Depth=1
	s_or_b32 exec_lo, exec_lo, s22
	v_mov_b32_e32 v9, v18
	v_cmp_ne_u16_sdwa s0, v18, v10 src0_sel:BYTE_0 src1_sel:DWORD
	v_mov_b32_e32 v19, 0
	v_mov_b32_e32 v86, 0
	s_and_saveexec_b32 s22, s0
	s_cbranch_execz .LBB325_708
; %bb.703:                              ;   in Loop: Header=BB325_423 Depth=1
	v_cmp_ne_u16_sdwa s0, v18, v30 src0_sel:BYTE_0 src1_sel:DWORD
	v_bfrev_b32_e32 v86, 1
	s_and_saveexec_b32 s26, s0
	s_cbranch_execz .LBB325_707
; %bb.704:                              ;   in Loop: Header=BB325_423 Depth=1
	v_and_b32_e32 v20, 0x7f, v18
	v_mov_b32_e32 v86, 0x7f800001
	s_mov_b32 s27, exec_lo
	v_cmpx_ne_u32_e32 0x7f, v20
	s_cbranch_execz .LBB325_706
; %bb.705:                              ;   in Loop: Header=BB325_423 Depth=1
	v_and_b32_e32 v86, 7, v18
	v_lshrrev_b32_e32 v87, 3, v20
	v_cmp_gt_u32_e64 s0, 8, v20
	v_ffbh_u32_e32 v86, v86
	v_min_u32_e32 v86, 32, v86
	v_subrev_nc_u32_e32 v88, 28, v86
	v_sub_nc_u32_e32 v86, 29, v86
	v_cndmask_b32_e64 v20, v87, v86, s0
	v_cndmask_b32_e64 v86, 0, v88, s0
	v_lshl_add_u32 v20, v20, 23, 0x3c000000
	v_lshlrev_b64 v[86:87], v86, v[9:10]
	v_lshlrev_b32_e32 v87, 24, v9
	v_lshlrev_b32_e32 v86, 20, v86
	v_and_b32_e32 v87, 0x80000000, v87
	v_and_b32_e32 v86, 0x700000, v86
	v_or3_b32 v86, v86, v87, v20
.LBB325_706:                            ;   in Loop: Header=BB325_423 Depth=1
	s_or_b32 exec_lo, exec_lo, s27
.LBB325_707:                            ;   in Loop: Header=BB325_423 Depth=1
	s_or_b32 exec_lo, exec_lo, s26
.LBB325_708:                            ;   in Loop: Header=BB325_423 Depth=1
	s_or_b32 exec_lo, exec_lo, s22
	v_cmp_ne_u16_sdwa s0, v9, v10 src0_sel:BYTE_1 src1_sel:DWORD
	s_and_saveexec_b32 s22, s0
	s_cbranch_execz .LBB325_716
; %bb.709:                              ;   in Loop: Header=BB325_423 Depth=1
	v_cmp_ne_u16_sdwa s0, v9, v30 src0_sel:BYTE_1 src1_sel:DWORD
	v_bfrev_b32_e32 v19, 1
	s_and_saveexec_b32 s26, s0
	s_cbranch_execz .LBB325_715
; %bb.710:                              ;   in Loop: Header=BB325_423 Depth=1
	v_and_b32_sdwa v20, v31, v9 dst_sel:DWORD dst_unused:UNUSED_PAD src0_sel:DWORD src1_sel:BYTE_1
	v_mov_b32_e32 v19, 0x7f800001
	s_mov_b32 s27, exec_lo
	v_and_b32_e32 v88, 0x7f, v20
	v_cmpx_ne_u32_e32 0x7f, v88
	s_cbranch_execz .LBB325_714
; %bb.711:                              ;   in Loop: Header=BB325_423 Depth=1
	v_and_b32_e32 v19, 7, v20
	v_mov_b32_e32 v20, v10
	v_lshrrev_b32_e32 v87, 3, v88
	s_mov_b32 s28, exec_lo
	v_cmpx_gt_u32_e32 8, v88
; %bb.712:                              ;   in Loop: Header=BB325_423 Depth=1
	v_ffbh_u32_e32 v87, v19
	v_min_u32_e32 v87, 32, v87
	v_subrev_nc_u32_e32 v88, 28, v87
	v_sub_nc_u32_e32 v87, 29, v87
	v_lshlrev_b64 v[19:20], v88, v[19:20]
	v_and_b32_e32 v19, 7, v19
; %bb.713:                              ;   in Loop: Header=BB325_423 Depth=1
	s_or_b32 exec_lo, exec_lo, s28
	v_lshlrev_b32_e32 v9, 16, v9
	v_lshlrev_b32_e32 v19, 20, v19
	v_lshl_add_u32 v20, v87, 23, 0x3c000000
	v_and_b32_e32 v9, 0x80000000, v9
	v_or3_b32 v19, v19, v9, v20
.LBB325_714:                            ;   in Loop: Header=BB325_423 Depth=1
	s_or_b32 exec_lo, exec_lo, s27
.LBB325_715:                            ;   in Loop: Header=BB325_423 Depth=1
	s_or_b32 exec_lo, exec_lo, s26
.LBB325_716:                            ;   in Loop: Header=BB325_423 Depth=1
	s_or_b32 exec_lo, exec_lo, s22
	v_and_b32_sdwa v9, v18, v32 dst_sel:DWORD dst_unused:UNUSED_PAD src0_sel:WORD_1 src1_sel:DWORD
	v_mov_b32_e32 v87, 0
	v_mov_b32_e32 v88, 0
	s_mov_b32 s22, exec_lo
	v_cmpx_ne_u16_e32 0, v9
	s_cbranch_execz .LBB325_724
; %bb.717:                              ;   in Loop: Header=BB325_423 Depth=1
	v_bfrev_b32_e32 v88, 1
	s_mov_b32 s26, exec_lo
	v_cmpx_ne_u16_e32 0x80, v9
	s_cbranch_execz .LBB325_723
; %bb.718:                              ;   in Loop: Header=BB325_423 Depth=1
	v_bfe_u32 v89, v18, 16, 7
	v_mov_b32_e32 v88, 0x7f800001
	s_mov_b32 s27, exec_lo
	v_cmpx_ne_u32_e32 0x7f, v89
	s_cbranch_execz .LBB325_722
; %bb.719:                              ;   in Loop: Header=BB325_423 Depth=1
	v_and_b32_sdwa v9, v18, v37 dst_sel:DWORD dst_unused:UNUSED_PAD src0_sel:WORD_1 src1_sel:DWORD
	v_lshrrev_b32_e32 v20, 3, v89
	s_mov_b32 s28, exec_lo
	v_cmpx_gt_u32_e32 8, v89
; %bb.720:                              ;   in Loop: Header=BB325_423 Depth=1
	v_ffbh_u32_e32 v20, v9
	v_min_u32_e32 v20, 32, v20
	v_subrev_nc_u32_e32 v88, 28, v20
	v_sub_nc_u32_e32 v20, 29, v20
	v_lshlrev_b64 v[88:89], v88, v[9:10]
	v_and_b32_e32 v9, 7, v88
; %bb.721:                              ;   in Loop: Header=BB325_423 Depth=1
	s_or_b32 exec_lo, exec_lo, s28
	v_lshlrev_b32_sdwa v88, v38, v18 dst_sel:DWORD dst_unused:UNUSED_PAD src0_sel:DWORD src1_sel:WORD_1
	v_lshlrev_b32_e32 v9, 20, v9
	v_lshl_add_u32 v20, v20, 23, 0x3c000000
	v_and_b32_e32 v88, 0x80000000, v88
	v_or3_b32 v88, v9, v88, v20
.LBB325_722:                            ;   in Loop: Header=BB325_423 Depth=1
	s_or_b32 exec_lo, exec_lo, s27
.LBB325_723:                            ;   in Loop: Header=BB325_423 Depth=1
	s_or_b32 exec_lo, exec_lo, s26
.LBB325_724:                            ;   in Loop: Header=BB325_423 Depth=1
	s_or_b32 exec_lo, exec_lo, s22
	s_mov_b32 s22, exec_lo
	v_cmpx_lt_u64_e64 s[2:3], v[17:18]
	s_cbranch_execz .LBB325_732
; %bb.725:                              ;   in Loop: Header=BB325_423 Depth=1
	v_cmp_ne_u32_sdwa s0, v18, v30 src0_sel:BYTE_3 src1_sel:DWORD
	v_bfrev_b32_e32 v87, 1
	s_and_saveexec_b32 s26, s0
	s_cbranch_execz .LBB325_731
; %bb.726:                              ;   in Loop: Header=BB325_423 Depth=1
	v_bfe_u32 v20, v18, 24, 7
	v_mov_b32_e32 v87, 0x7f800001
	s_mov_b32 s27, exec_lo
	v_cmpx_ne_u32_e32 0x7f, v20
	s_cbranch_execz .LBB325_730
; %bb.727:                              ;   in Loop: Header=BB325_423 Depth=1
	v_and_b32_sdwa v9, v18, v37 dst_sel:DWORD dst_unused:UNUSED_PAD src0_sel:BYTE_3 src1_sel:DWORD
	v_lshrrev_b32_e32 v17, 3, v20
	s_mov_b32 s28, exec_lo
	v_cmpx_gt_u32_e32 8, v20
; %bb.728:                              ;   in Loop: Header=BB325_423 Depth=1
	v_ffbh_u32_e32 v17, v9
	v_min_u32_e32 v17, 32, v17
	v_subrev_nc_u32_e32 v20, 28, v17
	v_sub_nc_u32_e32 v17, 29, v17
	v_lshlrev_b64 v[89:90], v20, v[9:10]
	v_and_b32_e32 v9, 7, v89
; %bb.729:                              ;   in Loop: Header=BB325_423 Depth=1
	s_or_b32 exec_lo, exec_lo, s28
	v_lshlrev_b32_sdwa v18, v38, v18 dst_sel:DWORD dst_unused:UNUSED_PAD src0_sel:DWORD src1_sel:BYTE_3
	v_lshlrev_b32_e32 v9, 20, v9
	v_lshl_add_u32 v17, v17, 23, 0x3c000000
	v_and_b32_e32 v18, 0x80000000, v18
	v_or3_b32 v87, v9, v18, v17
.LBB325_730:                            ;   in Loop: Header=BB325_423 Depth=1
	s_or_b32 exec_lo, exec_lo, s27
.LBB325_731:                            ;   in Loop: Header=BB325_423 Depth=1
	s_or_b32 exec_lo, exec_lo, s26
.LBB325_732:                            ;   in Loop: Header=BB325_423 Depth=1
	s_or_b32 exec_lo, exec_lo, s22
	v_mul_f32_e32 v9, s21, v19
	v_mul_f32_e32 v17, s21, v86
	;; [unrolled: 1-line block ×5, first 2 shown]
	v_bfe_u32 v19, v9, 16, 1
	v_or_b32_e32 v20, 0x400000, v9
	v_bfe_u32 v84, v17, 16, 1
	v_cmp_u_f32_e64 s0, v9, v9
	v_or_b32_e32 v86, 0x400000, v17
	v_add3_u32 v19, v19, v9, 0x7fff
	v_bfe_u32 v89, v18, 16, 1
	v_add3_u32 v84, v84, v17, 0x7fff
	v_or_b32_e32 v90, 0x400000, v18
	v_bfe_u32 v91, v85, 16, 1
	v_cndmask_b32_e64 v9, v19, v20, s0
	v_cmp_u_f32_e64 s0, v17, v17
	v_add3_u32 v89, v89, v18, 0x7fff
	v_lshrrev_b32_e32 v20, 16, v9
	v_cndmask_b32_e64 v17, v84, v86, s0
	v_cmp_u_f32_e64 s0, v18, v18
	v_mul_f32_e32 v9, s21, v83
	v_add3_u32 v83, v91, v85, 0x7fff
	v_or_b32_e32 v86, 0x400000, v85
	v_lshrrev_b32_e32 v19, 16, v17
	v_cndmask_b32_e64 v18, v89, v90, s0
	v_bfe_u32 v17, v9, 16, 1
	v_cmp_u_f32_e64 s0, v85, v85
	v_or_b32_e32 v85, 0x400000, v9
	v_lshrrev_b32_e32 v84, 16, v18
	v_add3_u32 v17, v17, v9, 0x7fff
	v_cndmask_b32_e64 v18, v83, v86, s0
	v_mul_f32_e32 v83, s21, v88
	v_mul_f32_e32 v86, s21, v87
	v_bfe_u32 v87, v82, 16, 1
	v_cmp_u_f32_e64 s0, v9, v9
	v_bfe_u32 v88, v83, 16, 1
	v_or_b32_e32 v89, 0x400000, v83
	v_or_b32_e32 v90, 0x400000, v86
	v_cndmask_b32_e64 v9, v17, v85, s0
	v_add3_u32 v85, v87, v82, 0x7fff
	v_or_b32_e32 v87, 0x400000, v82
	v_cmp_u_f32_e64 s0, v82, v82
	v_bfe_u32 v17, v86, 16, 1
	v_add3_u32 v88, v88, v83, 0x7fff
	v_cndmask_b32_e64 v82, v85, v87, s0
	v_cmp_u_f32_e64 s0, v83, v83
	v_add3_u32 v17, v17, v86, 0x7fff
	v_lshrrev_b32_e32 v85, 16, v18
	v_lshrrev_b32_e32 v87, 16, v9
	v_cndmask_b32_e64 v83, v88, v89, s0
	v_cmp_u_f32_e64 s0, v86, v86
	v_lshrrev_b32_e32 v86, 16, v82
	v_lshrrev_b32_e32 v82, 16, v83
	v_cndmask_b32_e64 v17, v17, v90, s0
	v_lshrrev_b32_e32 v83, 16, v17
	s_and_saveexec_b32 s22, vcc_lo
	s_cbranch_execz .LBB325_734
; %bb.733:                              ;   in Loop: Header=BB325_423 Depth=1
	v_cmp_gt_i32_e64 s0, s33, v50
	v_cndmask_b32_e64 v86, 0, v86, s0
	v_cmp_gt_i32_e64 s0, s33, v57
	v_cndmask_b32_e64 v87, 0, v87, s0
	;; [unrolled: 2-line block ×8, first 2 shown]
.LBB325_734:                            ;   in Loop: Header=BB325_423 Depth=1
	s_or_b32 exec_lo, exec_lo, s22
	global_load_dwordx2 v[15:16], v[15:16], off offset:1280
	v_mov_b32_e32 v89, 0
	v_mov_b32_e32 v88, 0
	s_waitcnt vmcnt(0)
	v_cmp_ne_u16_sdwa s0, v15, v10 src0_sel:BYTE_0 src1_sel:DWORD
	s_and_saveexec_b32 s22, s0
	s_cbranch_execz .LBB325_740
; %bb.735:                              ;   in Loop: Header=BB325_423 Depth=1
	v_cmp_ne_u16_sdwa s0, v15, v30 src0_sel:BYTE_0 src1_sel:DWORD
	v_bfrev_b32_e32 v88, 1
	s_and_saveexec_b32 s26, s0
	s_cbranch_execz .LBB325_739
; %bb.736:                              ;   in Loop: Header=BB325_423 Depth=1
	v_and_b32_e32 v9, 0x7f, v15
	v_mov_b32_e32 v88, 0x7f800001
	s_mov_b32 s27, exec_lo
	v_cmpx_ne_u32_e32 0x7f, v9
	s_cbranch_execz .LBB325_738
; %bb.737:                              ;   in Loop: Header=BB325_423 Depth=1
	v_and_b32_e32 v17, 7, v15
	v_lshrrev_b32_e32 v18, 3, v9
	v_cmp_gt_u32_e64 s0, 8, v9
	v_ffbh_u32_e32 v17, v17
	v_min_u32_e32 v17, 32, v17
	v_subrev_nc_u32_e32 v88, 28, v17
	v_sub_nc_u32_e32 v17, 29, v17
	v_cndmask_b32_e64 v9, v18, v17, s0
	v_cndmask_b32_e64 v17, 0, v88, s0
	v_lshl_add_u32 v9, v9, 23, 0x3c000000
	v_lshlrev_b64 v[17:18], v17, v[15:16]
	v_lshlrev_b32_e32 v18, 24, v15
	v_lshlrev_b32_e32 v17, 20, v17
	v_and_b32_e32 v18, 0x80000000, v18
	v_and_b32_e32 v17, 0x700000, v17
	v_or3_b32 v88, v17, v18, v9
.LBB325_738:                            ;   in Loop: Header=BB325_423 Depth=1
	s_or_b32 exec_lo, exec_lo, s27
.LBB325_739:                            ;   in Loop: Header=BB325_423 Depth=1
	s_or_b32 exec_lo, exec_lo, s26
.LBB325_740:                            ;   in Loop: Header=BB325_423 Depth=1
	s_or_b32 exec_lo, exec_lo, s22
	v_cmp_ne_u16_sdwa s0, v15, v10 src0_sel:BYTE_1 src1_sel:DWORD
	s_and_saveexec_b32 s22, s0
	s_cbranch_execz .LBB325_748
; %bb.741:                              ;   in Loop: Header=BB325_423 Depth=1
	v_cmp_ne_u16_sdwa s0, v15, v30 src0_sel:BYTE_1 src1_sel:DWORD
	v_bfrev_b32_e32 v89, 1
	s_and_saveexec_b32 s26, s0
	s_cbranch_execz .LBB325_747
; %bb.742:                              ;   in Loop: Header=BB325_423 Depth=1
	v_and_b32_sdwa v9, v31, v15 dst_sel:DWORD dst_unused:UNUSED_PAD src0_sel:DWORD src1_sel:BYTE_1
	v_mov_b32_e32 v89, 0x7f800001
	s_mov_b32 s27, exec_lo
	v_and_b32_e32 v18, 0x7f, v9
	v_cmpx_ne_u32_e32 0x7f, v18
	s_cbranch_execz .LBB325_746
; %bb.743:                              ;   in Loop: Header=BB325_423 Depth=1
	v_and_b32_e32 v9, 7, v9
	v_lshrrev_b32_e32 v17, 3, v18
	s_mov_b32 s28, exec_lo
	v_cmpx_gt_u32_e32 8, v18
; %bb.744:                              ;   in Loop: Header=BB325_423 Depth=1
	v_ffbh_u32_e32 v17, v9
	v_min_u32_e32 v17, 32, v17
	v_subrev_nc_u32_e32 v18, 28, v17
	v_sub_nc_u32_e32 v17, 29, v17
	v_lshlrev_b64 v[89:90], v18, v[9:10]
	v_and_b32_e32 v9, 7, v89
; %bb.745:                              ;   in Loop: Header=BB325_423 Depth=1
	s_or_b32 exec_lo, exec_lo, s28
	v_lshlrev_b32_e32 v18, 16, v15
	v_lshlrev_b32_e32 v9, 20, v9
	v_lshl_add_u32 v17, v17, 23, 0x3c000000
	v_and_b32_e32 v18, 0x80000000, v18
	v_or3_b32 v89, v9, v18, v17
.LBB325_746:                            ;   in Loop: Header=BB325_423 Depth=1
	s_or_b32 exec_lo, exec_lo, s27
.LBB325_747:                            ;   in Loop: Header=BB325_423 Depth=1
	s_or_b32 exec_lo, exec_lo, s26
.LBB325_748:                            ;   in Loop: Header=BB325_423 Depth=1
	s_or_b32 exec_lo, exec_lo, s22
	v_and_b32_sdwa v9, v15, v32 dst_sel:DWORD dst_unused:UNUSED_PAD src0_sel:WORD_1 src1_sel:DWORD
	v_mov_b32_e32 v91, 0
	v_mov_b32_e32 v90, 0
	s_mov_b32 s22, exec_lo
	v_cmpx_ne_u16_e32 0, v9
	s_cbranch_execz .LBB325_756
; %bb.749:                              ;   in Loop: Header=BB325_423 Depth=1
	v_bfrev_b32_e32 v90, 1
	s_mov_b32 s26, exec_lo
	v_cmpx_ne_u16_e32 0x80, v9
	s_cbranch_execz .LBB325_755
; %bb.750:                              ;   in Loop: Header=BB325_423 Depth=1
	v_bfe_u32 v18, v15, 16, 7
	v_mov_b32_e32 v90, 0x7f800001
	s_mov_b32 s27, exec_lo
	v_cmpx_ne_u32_e32 0x7f, v18
	s_cbranch_execz .LBB325_754
; %bb.751:                              ;   in Loop: Header=BB325_423 Depth=1
	v_and_b32_sdwa v9, v15, v37 dst_sel:DWORD dst_unused:UNUSED_PAD src0_sel:WORD_1 src1_sel:DWORD
	v_lshrrev_b32_e32 v17, 3, v18
	s_mov_b32 s28, exec_lo
	v_cmpx_gt_u32_e32 8, v18
; %bb.752:                              ;   in Loop: Header=BB325_423 Depth=1
	v_ffbh_u32_e32 v17, v9
	v_min_u32_e32 v17, 32, v17
	v_subrev_nc_u32_e32 v18, 28, v17
	v_sub_nc_u32_e32 v17, 29, v17
	v_lshlrev_b64 v[92:93], v18, v[9:10]
	v_and_b32_e32 v9, 7, v92
; %bb.753:                              ;   in Loop: Header=BB325_423 Depth=1
	s_or_b32 exec_lo, exec_lo, s28
	v_lshlrev_b32_sdwa v18, v38, v15 dst_sel:DWORD dst_unused:UNUSED_PAD src0_sel:DWORD src1_sel:WORD_1
	v_lshlrev_b32_e32 v9, 20, v9
	v_lshl_add_u32 v17, v17, 23, 0x3c000000
	v_and_b32_e32 v18, 0x80000000, v18
	v_or3_b32 v90, v9, v18, v17
.LBB325_754:                            ;   in Loop: Header=BB325_423 Depth=1
	s_or_b32 exec_lo, exec_lo, s27
.LBB325_755:                            ;   in Loop: Header=BB325_423 Depth=1
	s_or_b32 exec_lo, exec_lo, s26
.LBB325_756:                            ;   in Loop: Header=BB325_423 Depth=1
	s_or_b32 exec_lo, exec_lo, s22
	s_mov_b32 s22, exec_lo
	v_cmpx_lt_u32_e32 0xffffff, v15
	s_cbranch_execz .LBB325_764
; %bb.757:                              ;   in Loop: Header=BB325_423 Depth=1
	v_cmp_ne_u32_sdwa s0, v15, v30 src0_sel:BYTE_3 src1_sel:DWORD
	v_bfrev_b32_e32 v91, 1
	s_and_saveexec_b32 s26, s0
	s_cbranch_execz .LBB325_763
; %bb.758:                              ;   in Loop: Header=BB325_423 Depth=1
	v_bfe_u32 v18, v15, 24, 7
	v_mov_b32_e32 v91, 0x7f800001
	s_mov_b32 s27, exec_lo
	v_cmpx_ne_u32_e32 0x7f, v18
	s_cbranch_execz .LBB325_762
; %bb.759:                              ;   in Loop: Header=BB325_423 Depth=1
	v_and_b32_sdwa v9, v15, v37 dst_sel:DWORD dst_unused:UNUSED_PAD src0_sel:BYTE_3 src1_sel:DWORD
	v_lshrrev_b32_e32 v17, 3, v18
	s_mov_b32 s28, exec_lo
	v_cmpx_gt_u32_e32 8, v18
; %bb.760:                              ;   in Loop: Header=BB325_423 Depth=1
	v_ffbh_u32_e32 v17, v9
	v_min_u32_e32 v17, 32, v17
	v_subrev_nc_u32_e32 v18, 28, v17
	v_sub_nc_u32_e32 v17, 29, v17
	v_lshlrev_b64 v[91:92], v18, v[9:10]
	v_and_b32_e32 v9, 7, v91
; %bb.761:                              ;   in Loop: Header=BB325_423 Depth=1
	s_or_b32 exec_lo, exec_lo, s28
	v_lshlrev_b32_sdwa v18, v38, v15 dst_sel:DWORD dst_unused:UNUSED_PAD src0_sel:DWORD src1_sel:BYTE_3
	v_lshlrev_b32_e32 v9, 20, v9
	v_lshl_add_u32 v17, v17, 23, 0x3c000000
	v_and_b32_e32 v18, 0x80000000, v18
	v_or3_b32 v91, v9, v18, v17
.LBB325_762:                            ;   in Loop: Header=BB325_423 Depth=1
	s_or_b32 exec_lo, exec_lo, s27
.LBB325_763:                            ;   in Loop: Header=BB325_423 Depth=1
	s_or_b32 exec_lo, exec_lo, s26
.LBB325_764:                            ;   in Loop: Header=BB325_423 Depth=1
	s_or_b32 exec_lo, exec_lo, s22
	v_mov_b32_e32 v9, v16
	v_cmp_ne_u16_sdwa s0, v16, v10 src0_sel:BYTE_0 src1_sel:DWORD
	v_mov_b32_e32 v17, 0
	v_mov_b32_e32 v92, 0
	s_and_saveexec_b32 s22, s0
	s_cbranch_execz .LBB325_770
; %bb.765:                              ;   in Loop: Header=BB325_423 Depth=1
	v_cmp_ne_u16_sdwa s0, v16, v30 src0_sel:BYTE_0 src1_sel:DWORD
	v_bfrev_b32_e32 v92, 1
	s_and_saveexec_b32 s26, s0
	s_cbranch_execz .LBB325_769
; %bb.766:                              ;   in Loop: Header=BB325_423 Depth=1
	v_and_b32_e32 v18, 0x7f, v16
	v_mov_b32_e32 v92, 0x7f800001
	s_mov_b32 s27, exec_lo
	v_cmpx_ne_u32_e32 0x7f, v18
	s_cbranch_execz .LBB325_768
; %bb.767:                              ;   in Loop: Header=BB325_423 Depth=1
	v_and_b32_e32 v92, 7, v16
	v_lshrrev_b32_e32 v93, 3, v18
	v_cmp_gt_u32_e64 s0, 8, v18
	v_ffbh_u32_e32 v92, v92
	v_min_u32_e32 v92, 32, v92
	v_subrev_nc_u32_e32 v94, 28, v92
	v_sub_nc_u32_e32 v92, 29, v92
	v_cndmask_b32_e64 v18, v93, v92, s0
	v_cndmask_b32_e64 v92, 0, v94, s0
	v_lshl_add_u32 v18, v18, 23, 0x3c000000
	v_lshlrev_b64 v[92:93], v92, v[9:10]
	v_lshlrev_b32_e32 v93, 24, v9
	v_lshlrev_b32_e32 v92, 20, v92
	v_and_b32_e32 v93, 0x80000000, v93
	v_and_b32_e32 v92, 0x700000, v92
	v_or3_b32 v92, v92, v93, v18
.LBB325_768:                            ;   in Loop: Header=BB325_423 Depth=1
	s_or_b32 exec_lo, exec_lo, s27
.LBB325_769:                            ;   in Loop: Header=BB325_423 Depth=1
	s_or_b32 exec_lo, exec_lo, s26
.LBB325_770:                            ;   in Loop: Header=BB325_423 Depth=1
	s_or_b32 exec_lo, exec_lo, s22
	v_cmp_ne_u16_sdwa s0, v9, v10 src0_sel:BYTE_1 src1_sel:DWORD
	s_and_saveexec_b32 s22, s0
	s_cbranch_execz .LBB325_778
; %bb.771:                              ;   in Loop: Header=BB325_423 Depth=1
	v_cmp_ne_u16_sdwa s0, v9, v30 src0_sel:BYTE_1 src1_sel:DWORD
	v_bfrev_b32_e32 v17, 1
	s_and_saveexec_b32 s26, s0
	s_cbranch_execz .LBB325_777
; %bb.772:                              ;   in Loop: Header=BB325_423 Depth=1
	v_and_b32_sdwa v18, v31, v9 dst_sel:DWORD dst_unused:UNUSED_PAD src0_sel:DWORD src1_sel:BYTE_1
	v_mov_b32_e32 v17, 0x7f800001
	s_mov_b32 s27, exec_lo
	v_and_b32_e32 v94, 0x7f, v18
	v_cmpx_ne_u32_e32 0x7f, v94
	s_cbranch_execz .LBB325_776
; %bb.773:                              ;   in Loop: Header=BB325_423 Depth=1
	v_and_b32_e32 v17, 7, v18
	v_mov_b32_e32 v18, v10
	v_lshrrev_b32_e32 v93, 3, v94
	s_mov_b32 s28, exec_lo
	v_cmpx_gt_u32_e32 8, v94
; %bb.774:                              ;   in Loop: Header=BB325_423 Depth=1
	v_ffbh_u32_e32 v93, v17
	v_min_u32_e32 v93, 32, v93
	v_subrev_nc_u32_e32 v94, 28, v93
	v_sub_nc_u32_e32 v93, 29, v93
	v_lshlrev_b64 v[17:18], v94, v[17:18]
	v_and_b32_e32 v17, 7, v17
; %bb.775:                              ;   in Loop: Header=BB325_423 Depth=1
	s_or_b32 exec_lo, exec_lo, s28
	v_lshlrev_b32_e32 v9, 16, v9
	v_lshlrev_b32_e32 v17, 20, v17
	v_lshl_add_u32 v18, v93, 23, 0x3c000000
	v_and_b32_e32 v9, 0x80000000, v9
	v_or3_b32 v17, v17, v9, v18
.LBB325_776:                            ;   in Loop: Header=BB325_423 Depth=1
	s_or_b32 exec_lo, exec_lo, s27
.LBB325_777:                            ;   in Loop: Header=BB325_423 Depth=1
	s_or_b32 exec_lo, exec_lo, s26
.LBB325_778:                            ;   in Loop: Header=BB325_423 Depth=1
	s_or_b32 exec_lo, exec_lo, s22
	v_and_b32_sdwa v9, v16, v32 dst_sel:DWORD dst_unused:UNUSED_PAD src0_sel:WORD_1 src1_sel:DWORD
	v_mov_b32_e32 v18, 0
	v_mov_b32_e32 v93, 0
	s_mov_b32 s22, exec_lo
	v_cmpx_ne_u16_e32 0, v9
	s_cbranch_execz .LBB325_786
; %bb.779:                              ;   in Loop: Header=BB325_423 Depth=1
	v_bfrev_b32_e32 v93, 1
	s_mov_b32 s26, exec_lo
	v_cmpx_ne_u16_e32 0x80, v9
	s_cbranch_execz .LBB325_785
; %bb.780:                              ;   in Loop: Header=BB325_423 Depth=1
	v_bfe_u32 v94, v16, 16, 7
	v_mov_b32_e32 v93, 0x7f800001
	s_mov_b32 s27, exec_lo
	v_cmpx_ne_u32_e32 0x7f, v94
	s_cbranch_execz .LBB325_784
; %bb.781:                              ;   in Loop: Header=BB325_423 Depth=1
	v_and_b32_sdwa v9, v16, v37 dst_sel:DWORD dst_unused:UNUSED_PAD src0_sel:WORD_1 src1_sel:DWORD
	v_lshrrev_b32_e32 v93, 3, v94
	s_mov_b32 s28, exec_lo
	v_cmpx_gt_u32_e32 8, v94
; %bb.782:                              ;   in Loop: Header=BB325_423 Depth=1
	v_ffbh_u32_e32 v93, v9
	v_min_u32_e32 v93, 32, v93
	v_subrev_nc_u32_e32 v94, 28, v93
	v_sub_nc_u32_e32 v93, 29, v93
	v_lshlrev_b64 v[94:95], v94, v[9:10]
	v_and_b32_e32 v9, 7, v94
; %bb.783:                              ;   in Loop: Header=BB325_423 Depth=1
	s_or_b32 exec_lo, exec_lo, s28
	v_lshlrev_b32_sdwa v94, v38, v16 dst_sel:DWORD dst_unused:UNUSED_PAD src0_sel:DWORD src1_sel:WORD_1
	v_lshlrev_b32_e32 v9, 20, v9
	v_lshl_add_u32 v93, v93, 23, 0x3c000000
	v_and_b32_e32 v94, 0x80000000, v94
	v_or3_b32 v93, v9, v94, v93
.LBB325_784:                            ;   in Loop: Header=BB325_423 Depth=1
	s_or_b32 exec_lo, exec_lo, s27
.LBB325_785:                            ;   in Loop: Header=BB325_423 Depth=1
	s_or_b32 exec_lo, exec_lo, s26
.LBB325_786:                            ;   in Loop: Header=BB325_423 Depth=1
	s_or_b32 exec_lo, exec_lo, s22
	s_mov_b32 s22, exec_lo
	v_cmpx_lt_u64_e64 s[2:3], v[15:16]
	s_cbranch_execz .LBB325_794
; %bb.787:                              ;   in Loop: Header=BB325_423 Depth=1
	v_cmp_ne_u32_sdwa s0, v16, v30 src0_sel:BYTE_3 src1_sel:DWORD
	v_bfrev_b32_e32 v18, 1
	s_and_saveexec_b32 s26, s0
	s_cbranch_execz .LBB325_793
; %bb.788:                              ;   in Loop: Header=BB325_423 Depth=1
	v_bfe_u32 v94, v16, 24, 7
	v_mov_b32_e32 v18, 0x7f800001
	s_mov_b32 s27, exec_lo
	v_cmpx_ne_u32_e32 0x7f, v94
	s_cbranch_execz .LBB325_792
; %bb.789:                              ;   in Loop: Header=BB325_423 Depth=1
	v_and_b32_sdwa v9, v16, v37 dst_sel:DWORD dst_unused:UNUSED_PAD src0_sel:BYTE_3 src1_sel:DWORD
	v_lshrrev_b32_e32 v15, 3, v94
	s_mov_b32 s28, exec_lo
	v_cmpx_gt_u32_e32 8, v94
; %bb.790:                              ;   in Loop: Header=BB325_423 Depth=1
	v_ffbh_u32_e32 v15, v9
	v_min_u32_e32 v15, 32, v15
	v_subrev_nc_u32_e32 v18, 28, v15
	v_sub_nc_u32_e32 v15, 29, v15
	v_lshlrev_b64 v[94:95], v18, v[9:10]
	v_and_b32_e32 v9, 7, v94
; %bb.791:                              ;   in Loop: Header=BB325_423 Depth=1
	s_or_b32 exec_lo, exec_lo, s28
	v_lshlrev_b32_sdwa v16, v38, v16 dst_sel:DWORD dst_unused:UNUSED_PAD src0_sel:DWORD src1_sel:BYTE_3
	v_lshlrev_b32_e32 v9, 20, v9
	v_lshl_add_u32 v15, v15, 23, 0x3c000000
	v_and_b32_e32 v16, 0x80000000, v16
	v_or3_b32 v18, v9, v16, v15
.LBB325_792:                            ;   in Loop: Header=BB325_423 Depth=1
	s_or_b32 exec_lo, exec_lo, s27
.LBB325_793:                            ;   in Loop: Header=BB325_423 Depth=1
	s_or_b32 exec_lo, exec_lo, s26
.LBB325_794:                            ;   in Loop: Header=BB325_423 Depth=1
	s_or_b32 exec_lo, exec_lo, s22
	v_mul_f32_e32 v9, s21, v17
	v_mul_f32_e32 v15, s21, v92
	;; [unrolled: 1-line block ×5, first 2 shown]
	v_bfe_u32 v90, v9, 16, 1
	v_or_b32_e32 v91, 0x400000, v9
	v_bfe_u32 v92, v15, 16, 1
	v_cmp_u_f32_e64 s0, v9, v9
	v_or_b32_e32 v94, 0x400000, v15
	v_add3_u32 v90, v90, v9, 0x7fff
	v_bfe_u32 v95, v16, 16, 1
	v_add3_u32 v92, v92, v15, 0x7fff
	v_or_b32_e32 v96, 0x400000, v16
	v_bfe_u32 v97, v17, 16, 1
	v_cndmask_b32_e64 v9, v90, v91, s0
	v_cmp_u_f32_e64 s0, v15, v15
	v_add3_u32 v95, v95, v16, 0x7fff
	v_or_b32_e32 v91, 0x400000, v17
	v_add3_u32 v90, v97, v17, 0x7fff
	v_mul_f32_e32 v88, s21, v88
	v_cndmask_b32_e64 v15, v92, v94, s0
	v_cmp_u_f32_e64 s0, v16, v16
	v_bfe_u32 v92, v89, 16, 1
	v_mul_f32_e32 v18, s21, v18
	v_lshrrev_b32_e32 v9, 16, v9
	v_lshrrev_b32_e32 v15, 16, v15
	v_cndmask_b32_e64 v16, v95, v96, s0
	v_cmp_u_f32_e64 s0, v17, v17
	v_or_b32_e32 v96, 0x400000, v18
	v_lshrrev_b32_e32 v16, 16, v16
	v_cndmask_b32_e64 v17, v90, v91, s0
	v_mul_f32_e32 v90, s21, v93
	v_add3_u32 v91, v92, v89, 0x7fff
	v_or_b32_e32 v92, 0x400000, v89
	v_bfe_u32 v93, v88, 16, 1
	v_cmp_u_f32_e64 s0, v89, v89
	v_bfe_u32 v94, v90, 16, 1
	v_or_b32_e32 v95, 0x400000, v90
	v_cndmask_b32_e64 v89, v91, v92, s0
	v_add3_u32 v92, v93, v88, 0x7fff
	v_or_b32_e32 v93, 0x400000, v88
	v_cmp_u_f32_e64 s0, v88, v88
	v_bfe_u32 v91, v18, 16, 1
	v_add3_u32 v94, v94, v90, 0x7fff
	v_lshrrev_b32_e32 v88, 16, v17
	v_lshrrev_b32_e32 v89, 16, v89
	v_cndmask_b32_e64 v92, v92, v93, s0
	v_cmp_u_f32_e64 s0, v90, v90
	v_add3_u32 v91, v91, v18, 0x7fff
	v_lshrrev_b32_e32 v90, 16, v92
	v_cndmask_b32_e64 v93, v94, v95, s0
	v_cmp_u_f32_e64 s0, v18, v18
	v_lshrrev_b32_e32 v18, 16, v93
	v_cndmask_b32_e64 v91, v91, v96, s0
	v_lshrrev_b32_e32 v17, 16, v91
	s_and_saveexec_b32 s0, vcc_lo
	s_cbranch_execz .LBB325_421
; %bb.795:                              ;   in Loop: Header=BB325_423 Depth=1
	v_cmp_gt_i32_e32 vcc_lo, s33, v50
	v_cndmask_b32_e32 v90, 0, v90, vcc_lo
	v_cmp_gt_i32_e32 vcc_lo, s33, v57
	v_cndmask_b32_e32 v89, 0, v89, vcc_lo
	v_cmp_gt_i32_e32 vcc_lo, s33, v56
	v_cndmask_b32_e32 v88, 0, v88, vcc_lo
	v_cmp_gt_i32_e32 vcc_lo, s33, v55
	v_cndmask_b32_e32 v16, 0, v16, vcc_lo
	v_cmp_gt_i32_e32 vcc_lo, s33, v54
	v_cndmask_b32_e32 v15, 0, v15, vcc_lo
	v_cmp_gt_i32_e32 vcc_lo, s33, v53
	v_cndmask_b32_e32 v9, 0, v9, vcc_lo
	v_cmp_gt_i32_e32 vcc_lo, s33, v52
	v_cndmask_b32_e32 v18, 0, v18, vcc_lo
	v_cmp_gt_i32_e32 vcc_lo, s33, v51
	v_cndmask_b32_e32 v17, 0, v17, vcc_lo
	s_branch .LBB325_421
.LBB325_796:
	s_or_b32 exec_lo, exec_lo, s17
.LBB325_797:
	s_or_b32 exec_lo, exec_lo, s1
	ds_bpermute_b32 v1, v22, v28
	ds_bpermute_b32 v2, v22, v27
	;; [unrolled: 1-line block ×6, first 2 shown]
	v_lshrrev_b32_e32 v7, 1, v21
	v_mul_u32_u24_e32 v9, 0x180, v35
	v_and_b32_e32 v13, 0x3c1, v0
	s_mov_b32 s0, exec_lo
	s_waitcnt lgkmcnt(0)
	v_lshl_add_u32 v8, v7, 2, 0xe0
	s_barrier
	buffer_gl0_inv
	v_add_f32_e32 v6, v28, v1
	v_add_f32_e32 v5, v27, v2
	v_add_f32_e32 v4, v26, v3
	v_add_f32_e32 v3, v25, v10
	v_add_f32_e32 v2, v24, v11
	v_add_f32_e32 v1, v23, v12
	v_cmpx_eq_u32_e32 64, v13
	s_cbranch_execz .LBB325_799
; %bb.798:
	v_add_nc_u32_e32 v10, v8, v9
	v_add_nc_u32_e32 v11, 0xfffffd00, v10
	;; [unrolled: 1-line block ×7, first 2 shown]
	ds_write_b32 v11, v6
	ds_write_b32 v12, v5
	;; [unrolled: 1-line block ×6, first 2 shown]
.LBB325_799:
	s_or_b32 exec_lo, exec_lo, s0
	v_lshlrev_b32_e32 v7, 2, v7
	s_mov_b32 s1, exec_lo
	v_cmp_eq_u32_e32 vcc_lo, 0, v34
	s_waitcnt lgkmcnt(0)
	s_barrier
	v_add3_u32 v7, 0xe0, v9, v7
	buffer_gl0_inv
	v_cmpx_gt_u32_e32 64, v0
	s_cbranch_execz .LBB325_808
; %bb.800:
	s_and_saveexec_b32 s0, vcc_lo
	s_cbranch_execnz .LBB325_822
; %bb.801:
	s_or_b32 exec_lo, exec_lo, s0
	s_and_saveexec_b32 s0, vcc_lo
	s_cbranch_execnz .LBB325_823
.LBB325_802:
	s_or_b32 exec_lo, exec_lo, s0
	s_and_saveexec_b32 s0, vcc_lo
	s_cbranch_execnz .LBB325_824
.LBB325_803:
	s_or_b32 exec_lo, exec_lo, s0
	s_and_saveexec_b32 s0, vcc_lo
	s_cbranch_execnz .LBB325_825
.LBB325_804:
	s_or_b32 exec_lo, exec_lo, s0
	s_and_saveexec_b32 s0, vcc_lo
	s_cbranch_execnz .LBB325_826
.LBB325_805:
	s_or_b32 exec_lo, exec_lo, s0
	s_and_saveexec_b32 s0, vcc_lo
	s_cbranch_execz .LBB325_807
.LBB325_806:
	ds_read_b32 v9, v7 offset:320
	s_waitcnt lgkmcnt(0)
	v_add_f32_e32 v1, v1, v9
.LBB325_807:
	s_or_b32 exec_lo, exec_lo, s0
.LBB325_808:
	s_or_b32 exec_lo, exec_lo, s1
	v_and_b32_e32 v9, 0x3e1, v0
	s_mov_b32 s1, exec_lo
	s_barrier
	buffer_gl0_inv
	v_cmpx_eq_u32_e32 32, v9
	s_cbranch_execz .LBB325_810
; %bb.809:
	ds_write2_b32 v8, v6, v5 offset1:16
	ds_write2_b32 v8, v4, v3 offset0:32 offset1:48
	ds_write2_b32 v8, v2, v1 offset0:64 offset1:80
.LBB325_810:
	s_or_b32 exec_lo, exec_lo, s1
	s_mov_b32 s1, exec_lo
	s_waitcnt lgkmcnt(0)
	s_barrier
	buffer_gl0_inv
	v_cmpx_gt_u32_e32 32, v0
	s_cbranch_execz .LBB325_819
; %bb.811:
	s_and_saveexec_b32 s0, vcc_lo
	s_cbranch_execnz .LBB325_827
; %bb.812:
	s_or_b32 exec_lo, exec_lo, s0
	s_and_saveexec_b32 s0, vcc_lo
	s_cbranch_execnz .LBB325_828
.LBB325_813:
	s_or_b32 exec_lo, exec_lo, s0
	s_and_saveexec_b32 s0, vcc_lo
	s_cbranch_execnz .LBB325_829
.LBB325_814:
	s_or_b32 exec_lo, exec_lo, s0
	s_and_saveexec_b32 s0, vcc_lo
	s_cbranch_execnz .LBB325_830
.LBB325_815:
	s_or_b32 exec_lo, exec_lo, s0
	s_and_saveexec_b32 s0, vcc_lo
	s_cbranch_execnz .LBB325_831
.LBB325_816:
	s_or_b32 exec_lo, exec_lo, s0
	s_and_saveexec_b32 s0, vcc_lo
	s_cbranch_execz .LBB325_818
.LBB325_817:
	ds_read_b32 v0, v7 offset:320
	s_waitcnt lgkmcnt(0)
	v_add_f32_e32 v1, v1, v0
.LBB325_818:
	s_or_b32 exec_lo, exec_lo, s0
.LBB325_819:
	s_or_b32 exec_lo, exec_lo, s1
	s_barrier
	buffer_gl0_inv
	s_mov_b32 s0, exec_lo
	v_cmpx_eq_u32_e32 0, v9
	s_cbranch_execz .LBB325_821
; %bb.820:
	s_mul_i32 s0, s10, s11
	v_bfe_u32 v7, v6, 16, 1
	s_mul_i32 s0, s0, s9
	s_mul_i32 s2, s11, s24
	s_mulk_i32 s0, 0x60
	v_or_b32_e32 v8, 0x400000, v6
	s_ashr_i32 s1, s0, 31
	v_add3_u32 v7, v7, v6, 0x7fff
	s_lshl_b64 s[0:1], s[0:1], 1
	v_bfe_u32 v9, v5, 16, 1
	s_add_u32 s5, s6, s0
	s_addc_u32 s6, s7, s1
	s_ashr_i32 s3, s2, 31
	v_cmp_u_f32_e32 vcc_lo, v6, v6
	s_lshl_b64 s[0:1], s[2:3], 1
	s_mul_i32 s4, s8, 0x60
	s_add_u32 s2, s5, s0
	s_addc_u32 s3, s6, s1
	s_ashr_i32 s5, s4, 31
	v_lshlrev_b32_e32 v0, 1, v33
	s_lshl_b64 s[0:1], s[4:5], 1
	v_cndmask_b32_e32 v6, v7, v8, vcc_lo
	v_bfe_u32 v7, v4, 16, 1
	v_add3_u32 v8, v9, v5, 0x7fff
	v_or_b32_e32 v9, 0x400000, v5
	v_cmp_u_f32_e32 vcc_lo, v5, v5
	s_add_u32 s0, s2, s0
	s_addc_u32 s1, s3, s1
	v_or_b32_e32 v10, 0x400000, v2
	global_store_short_d16_hi v0, v6, s[0:1]
	v_add3_u32 v6, v7, v4, 0x7fff
	v_or_b32_e32 v7, 0x400000, v4
	v_cndmask_b32_e32 v5, v8, v9, vcc_lo
	v_bfe_u32 v8, v3, 16, 1
	v_cmp_u_f32_e32 vcc_lo, v4, v4
	v_bfe_u32 v9, v2, 16, 1
	v_or_b32_e32 v11, 0x400000, v1
	v_cndmask_b32_e32 v4, v6, v7, vcc_lo
	v_add3_u32 v7, v8, v3, 0x7fff
	v_or_b32_e32 v8, 0x400000, v3
	v_cmp_u_f32_e32 vcc_lo, v3, v3
	v_bfe_u32 v6, v1, 16, 1
	v_add3_u32 v9, v9, v2, 0x7fff
	v_cndmask_b32_e32 v3, v7, v8, vcc_lo
	v_cmp_u_f32_e32 vcc_lo, v2, v2
	v_add3_u32 v6, v6, v1, 0x7fff
	v_cndmask_b32_e32 v2, v9, v10, vcc_lo
	v_cmp_u_f32_e32 vcc_lo, v1, v1
	v_cndmask_b32_e32 v1, v6, v11, vcc_lo
	global_store_short_d16_hi v0, v5, s[0:1] offset:32
	global_store_short_d16_hi v0, v4, s[0:1] offset:64
	;; [unrolled: 1-line block ×5, first 2 shown]
.LBB325_821:
	s_endpgm
.LBB325_822:
	ds_read_b32 v9, v7
	s_waitcnt lgkmcnt(0)
	v_add_f32_e32 v6, v6, v9
	s_or_b32 exec_lo, exec_lo, s0
	s_and_saveexec_b32 s0, vcc_lo
	s_cbranch_execz .LBB325_802
.LBB325_823:
	ds_read_b32 v9, v7 offset:64
	s_waitcnt lgkmcnt(0)
	v_add_f32_e32 v5, v5, v9
	s_or_b32 exec_lo, exec_lo, s0
	s_and_saveexec_b32 s0, vcc_lo
	s_cbranch_execz .LBB325_803
.LBB325_824:
	ds_read_b32 v9, v7 offset:128
	s_waitcnt lgkmcnt(0)
	v_add_f32_e32 v4, v4, v9
	s_or_b32 exec_lo, exec_lo, s0
	s_and_saveexec_b32 s0, vcc_lo
	s_cbranch_execz .LBB325_804
.LBB325_825:
	ds_read_b32 v9, v7 offset:192
	s_waitcnt lgkmcnt(0)
	v_add_f32_e32 v3, v3, v9
	s_or_b32 exec_lo, exec_lo, s0
	s_and_saveexec_b32 s0, vcc_lo
	s_cbranch_execz .LBB325_805
.LBB325_826:
	ds_read_b32 v9, v7 offset:256
	s_waitcnt lgkmcnt(0)
	v_add_f32_e32 v2, v2, v9
	s_or_b32 exec_lo, exec_lo, s0
	s_and_saveexec_b32 s0, vcc_lo
	s_cbranch_execnz .LBB325_806
	s_branch .LBB325_807
.LBB325_827:
	ds_read_b32 v0, v7
	s_waitcnt lgkmcnt(0)
	v_add_f32_e32 v6, v6, v0
	s_or_b32 exec_lo, exec_lo, s0
	s_and_saveexec_b32 s0, vcc_lo
	s_cbranch_execz .LBB325_813
.LBB325_828:
	ds_read_b32 v0, v7 offset:64
	s_waitcnt lgkmcnt(0)
	v_add_f32_e32 v5, v5, v0
	s_or_b32 exec_lo, exec_lo, s0
	s_and_saveexec_b32 s0, vcc_lo
	s_cbranch_execz .LBB325_814
.LBB325_829:
	ds_read_b32 v0, v7 offset:128
	s_waitcnt lgkmcnt(0)
	v_add_f32_e32 v4, v4, v0
	s_or_b32 exec_lo, exec_lo, s0
	s_and_saveexec_b32 s0, vcc_lo
	s_cbranch_execz .LBB325_815
.LBB325_830:
	ds_read_b32 v0, v7 offset:192
	s_waitcnt lgkmcnt(0)
	v_add_f32_e32 v3, v3, v0
	s_or_b32 exec_lo, exec_lo, s0
	s_and_saveexec_b32 s0, vcc_lo
	s_cbranch_execz .LBB325_816
.LBB325_831:
	ds_read_b32 v0, v7 offset:256
	s_waitcnt lgkmcnt(0)
	v_add_f32_e32 v2, v2, v0
	s_or_b32 exec_lo, exec_lo, s0
	s_and_saveexec_b32 s0, vcc_lo
	s_cbranch_execnz .LBB325_817
	s_branch .LBB325_818
	.section	.rodata,"a",@progbits
	.p2align	6, 0x0
	.amdhsa_kernel _ZN4vllm25paged_attention_v1_kernelI14__hip_bfloat16hLi96ELi16ELi128ELNS_18Fp8KVCacheDataTypeE1ELb1EEEvPT_PKS3_PKT0_S9_ifPKiSB_iPKfiiiSD_SD_iiiii
		.amdhsa_group_segment_fixed_size 224
		.amdhsa_private_segment_fixed_size 0
		.amdhsa_kernarg_size 384
		.amdhsa_user_sgpr_count 6
		.amdhsa_user_sgpr_private_segment_buffer 1
		.amdhsa_user_sgpr_dispatch_ptr 0
		.amdhsa_user_sgpr_queue_ptr 0
		.amdhsa_user_sgpr_kernarg_segment_ptr 1
		.amdhsa_user_sgpr_dispatch_id 0
		.amdhsa_user_sgpr_flat_scratch_init 0
		.amdhsa_user_sgpr_private_segment_size 0
		.amdhsa_wavefront_size32 1
		.amdhsa_uses_dynamic_stack 0
		.amdhsa_system_sgpr_private_segment_wavefront_offset 0
		.amdhsa_system_sgpr_workgroup_id_x 1
		.amdhsa_system_sgpr_workgroup_id_y 1
		.amdhsa_system_sgpr_workgroup_id_z 1
		.amdhsa_system_sgpr_workgroup_info 0
		.amdhsa_system_vgpr_workitem_id 0
		.amdhsa_next_free_vgpr 128
		.amdhsa_next_free_sgpr 45
		.amdhsa_reserve_vcc 1
		.amdhsa_reserve_flat_scratch 0
		.amdhsa_float_round_mode_32 0
		.amdhsa_float_round_mode_16_64 0
		.amdhsa_float_denorm_mode_32 3
		.amdhsa_float_denorm_mode_16_64 3
		.amdhsa_dx10_clamp 1
		.amdhsa_ieee_mode 1
		.amdhsa_fp16_overflow 0
		.amdhsa_workgroup_processor_mode 1
		.amdhsa_memory_ordered 1
		.amdhsa_forward_progress 1
		.amdhsa_shared_vgpr_count 0
		.amdhsa_exception_fp_ieee_invalid_op 0
		.amdhsa_exception_fp_denorm_src 0
		.amdhsa_exception_fp_ieee_div_zero 0
		.amdhsa_exception_fp_ieee_overflow 0
		.amdhsa_exception_fp_ieee_underflow 0
		.amdhsa_exception_fp_ieee_inexact 0
		.amdhsa_exception_int_div_zero 0
	.end_amdhsa_kernel
	.section	.text._ZN4vllm25paged_attention_v1_kernelI14__hip_bfloat16hLi96ELi16ELi128ELNS_18Fp8KVCacheDataTypeE1ELb1EEEvPT_PKS3_PKT0_S9_ifPKiSB_iPKfiiiSD_SD_iiiii,"axG",@progbits,_ZN4vllm25paged_attention_v1_kernelI14__hip_bfloat16hLi96ELi16ELi128ELNS_18Fp8KVCacheDataTypeE1ELb1EEEvPT_PKS3_PKT0_S9_ifPKiSB_iPKfiiiSD_SD_iiiii,comdat
.Lfunc_end325:
	.size	_ZN4vllm25paged_attention_v1_kernelI14__hip_bfloat16hLi96ELi16ELi128ELNS_18Fp8KVCacheDataTypeE1ELb1EEEvPT_PKS3_PKT0_S9_ifPKiSB_iPKfiiiSD_SD_iiiii, .Lfunc_end325-_ZN4vllm25paged_attention_v1_kernelI14__hip_bfloat16hLi96ELi16ELi128ELNS_18Fp8KVCacheDataTypeE1ELb1EEEvPT_PKS3_PKT0_S9_ifPKiSB_iPKfiiiSD_SD_iiiii
                                        ; -- End function
	.set _ZN4vllm25paged_attention_v1_kernelI14__hip_bfloat16hLi96ELi16ELi128ELNS_18Fp8KVCacheDataTypeE1ELb1EEEvPT_PKS3_PKT0_S9_ifPKiSB_iPKfiiiSD_SD_iiiii.num_vgpr, 128
	.set _ZN4vllm25paged_attention_v1_kernelI14__hip_bfloat16hLi96ELi16ELi128ELNS_18Fp8KVCacheDataTypeE1ELb1EEEvPT_PKS3_PKT0_S9_ifPKiSB_iPKfiiiSD_SD_iiiii.num_agpr, 0
	.set _ZN4vllm25paged_attention_v1_kernelI14__hip_bfloat16hLi96ELi16ELi128ELNS_18Fp8KVCacheDataTypeE1ELb1EEEvPT_PKS3_PKT0_S9_ifPKiSB_iPKfiiiSD_SD_iiiii.numbered_sgpr, 45
	.set _ZN4vllm25paged_attention_v1_kernelI14__hip_bfloat16hLi96ELi16ELi128ELNS_18Fp8KVCacheDataTypeE1ELb1EEEvPT_PKS3_PKT0_S9_ifPKiSB_iPKfiiiSD_SD_iiiii.num_named_barrier, 0
	.set _ZN4vllm25paged_attention_v1_kernelI14__hip_bfloat16hLi96ELi16ELi128ELNS_18Fp8KVCacheDataTypeE1ELb1EEEvPT_PKS3_PKT0_S9_ifPKiSB_iPKfiiiSD_SD_iiiii.private_seg_size, 0
	.set _ZN4vllm25paged_attention_v1_kernelI14__hip_bfloat16hLi96ELi16ELi128ELNS_18Fp8KVCacheDataTypeE1ELb1EEEvPT_PKS3_PKT0_S9_ifPKiSB_iPKfiiiSD_SD_iiiii.uses_vcc, 1
	.set _ZN4vllm25paged_attention_v1_kernelI14__hip_bfloat16hLi96ELi16ELi128ELNS_18Fp8KVCacheDataTypeE1ELb1EEEvPT_PKS3_PKT0_S9_ifPKiSB_iPKfiiiSD_SD_iiiii.uses_flat_scratch, 0
	.set _ZN4vllm25paged_attention_v1_kernelI14__hip_bfloat16hLi96ELi16ELi128ELNS_18Fp8KVCacheDataTypeE1ELb1EEEvPT_PKS3_PKT0_S9_ifPKiSB_iPKfiiiSD_SD_iiiii.has_dyn_sized_stack, 0
	.set _ZN4vllm25paged_attention_v1_kernelI14__hip_bfloat16hLi96ELi16ELi128ELNS_18Fp8KVCacheDataTypeE1ELb1EEEvPT_PKS3_PKT0_S9_ifPKiSB_iPKfiiiSD_SD_iiiii.has_recursion, 0
	.set _ZN4vllm25paged_attention_v1_kernelI14__hip_bfloat16hLi96ELi16ELi128ELNS_18Fp8KVCacheDataTypeE1ELb1EEEvPT_PKS3_PKT0_S9_ifPKiSB_iPKfiiiSD_SD_iiiii.has_indirect_call, 0
	.section	.AMDGPU.csdata,"",@progbits
; Kernel info:
; codeLenInByte = 30916
; TotalNumSgprs: 47
; NumVgprs: 128
; ScratchSize: 0
; MemoryBound: 0
; FloatMode: 240
; IeeeMode: 1
; LDSByteSize: 224 bytes/workgroup (compile time only)
; SGPRBlocks: 0
; VGPRBlocks: 15
; NumSGPRsForWavesPerEU: 47
; NumVGPRsForWavesPerEU: 128
; Occupancy: 8
; WaveLimiterHint : 1
; COMPUTE_PGM_RSRC2:SCRATCH_EN: 0
; COMPUTE_PGM_RSRC2:USER_SGPR: 6
; COMPUTE_PGM_RSRC2:TRAP_HANDLER: 0
; COMPUTE_PGM_RSRC2:TGID_X_EN: 1
; COMPUTE_PGM_RSRC2:TGID_Y_EN: 1
; COMPUTE_PGM_RSRC2:TGID_Z_EN: 1
; COMPUTE_PGM_RSRC2:TIDIG_COMP_CNT: 0
	.section	.text._ZN4vllm25paged_attention_v1_kernelI14__hip_bfloat16hLi112ELi16ELi128ELNS_18Fp8KVCacheDataTypeE1ELb1EEEvPT_PKS3_PKT0_S9_ifPKiSB_iPKfiiiSD_SD_iiiii,"axG",@progbits,_ZN4vllm25paged_attention_v1_kernelI14__hip_bfloat16hLi112ELi16ELi128ELNS_18Fp8KVCacheDataTypeE1ELb1EEEvPT_PKS3_PKT0_S9_ifPKiSB_iPKfiiiSD_SD_iiiii,comdat
	.protected	_ZN4vllm25paged_attention_v1_kernelI14__hip_bfloat16hLi112ELi16ELi128ELNS_18Fp8KVCacheDataTypeE1ELb1EEEvPT_PKS3_PKT0_S9_ifPKiSB_iPKfiiiSD_SD_iiiii ; -- Begin function _ZN4vllm25paged_attention_v1_kernelI14__hip_bfloat16hLi112ELi16ELi128ELNS_18Fp8KVCacheDataTypeE1ELb1EEEvPT_PKS3_PKT0_S9_ifPKiSB_iPKfiiiSD_SD_iiiii
	.globl	_ZN4vllm25paged_attention_v1_kernelI14__hip_bfloat16hLi112ELi16ELi128ELNS_18Fp8KVCacheDataTypeE1ELb1EEEvPT_PKS3_PKT0_S9_ifPKiSB_iPKfiiiSD_SD_iiiii
	.p2align	8
	.type	_ZN4vllm25paged_attention_v1_kernelI14__hip_bfloat16hLi112ELi16ELi128ELNS_18Fp8KVCacheDataTypeE1ELb1EEEvPT_PKS3_PKT0_S9_ifPKiSB_iPKfiiiSD_SD_iiiii,@function
_ZN4vllm25paged_attention_v1_kernelI14__hip_bfloat16hLi112ELi16ELi128ELNS_18Fp8KVCacheDataTypeE1ELb1EEEvPT_PKS3_PKT0_S9_ifPKiSB_iPKfiiiSD_SD_iiiii: ; @_ZN4vllm25paged_attention_v1_kernelI14__hip_bfloat16hLi112ELi16ELi128ELNS_18Fp8KVCacheDataTypeE1ELb1EEEvPT_PKS3_PKT0_S9_ifPKiSB_iPKfiiiSD_SD_iiiii
; %bb.0:
	s_mov_b64 s[50:51], s[2:3]
	s_mov_b64 s[48:49], s[0:1]
	s_mov_b32 s10, s7
	s_add_u32 s48, s48, s9
	s_clause 0x2
	s_load_dword s9, s[4:5], 0x80
	s_load_dwordx2 s[0:1], s[4:5], 0x30
	s_load_dwordx2 s[34:35], s[4:5], 0x20
	s_addc_u32 s49, s49, 0
	s_ashr_i32 s11, s7, 31
	s_mov_b32 s36, 0
	s_lshl_b64 s[2:3], s[10:11], 2
	s_waitcnt lgkmcnt(0)
	s_add_u32 s0, s0, s2
	s_addc_u32 s1, s1, s3
	s_abs_i32 s2, s34
	s_abs_i32 s11, s9
	v_cvt_f32_u32_e32 v1, s2
	s_sub_i32 s7, 0, s2
	v_rcp_iflag_f32_e32 v1, v1
	v_mul_f32_e32 v1, 0x4f7ffffe, v1
	v_cvt_u32_f32_e32 v1, v1
	v_readfirstlane_b32 s3, v1
	s_mul_i32 s7, s7, s3
	s_mul_hi_u32 s7, s3, s7
	s_add_i32 s3, s3, s7
	s_xor_b32 s7, s9, s34
	s_mul_hi_u32 s3, s11, s3
	s_ashr_i32 s7, s7, 31
	s_mul_i32 s12, s3, s2
	s_sub_i32 s11, s11, s12
	s_add_i32 s12, s3, 1
	s_sub_i32 s13, s11, s2
	s_cmp_ge_u32 s11, s2
	s_cselect_b32 s3, s12, s3
	s_cselect_b32 s11, s13, s11
	s_add_i32 s12, s3, 1
	s_cmp_ge_u32 s11, s2
	s_cselect_b32 s2, s12, s3
	s_xor_b32 s2, s2, s7
	s_sub_i32 s14, s2, s7
	s_load_dwordx2 s[2:3], s[4:5], 0x40
	s_abs_i32 s11, s14
	v_cvt_f32_u32_e32 v1, s11
	s_sub_i32 s12, 0, s11
	v_rcp_iflag_f32_e32 v1, v1
	v_mul_f32_e32 v1, 0x4f7ffffe, v1
	v_cvt_u32_f32_e32 v1, v1
	v_readfirstlane_b32 s7, v1
	s_mul_i32 s12, s12, s7
	s_mul_hi_u32 s13, s7, s12
	s_abs_i32 s12, s6
	s_add_i32 s7, s7, s13
	s_waitcnt lgkmcnt(0)
	s_cmp_eq_u64 s[2:3], 0
	s_mul_hi_u32 s13, s12, s7
	s_cbranch_scc1 .LBB326_2
; %bb.1:
	s_ashr_i32 s7, s6, 31
	s_lshl_b64 s[16:17], s[6:7], 2
	s_add_u32 s2, s2, s16
	s_addc_u32 s3, s3, s17
	s_load_dword s36, s[2:3], 0x0
.LBB326_2:
	s_load_dword s33, s[0:1], 0x0
	s_load_dwordx4 s[16:19], s[4:5], 0x48
	v_lshrrev_b32_e32 v1, 1, v0
	v_and_b32_e32 v18, 1, v0
	v_lshlrev_b32_e32 v13, 3, v0
	s_ashr_i32 s0, s6, 31
	s_ashr_i32 s1, s14, 31
	s_mul_i32 s24, s6, 0x70
	s_mov_b32 s2, exec_lo
	buffer_store_dword v1, off, s[48:51], 0 offset:12 ; 4-byte Folded Spill
	v_cmpx_gt_u32_e32 28, v0
	s_cbranch_execz .LBB326_4
; %bb.3:
	s_load_dwordx2 s[14:15], s[4:5], 0x8
	s_waitcnt lgkmcnt(0)
	s_mul_i32 s20, s16, s10
	v_lshrrev_b32_e32 v3, 1, v0
	s_ashr_i32 s21, s20, 31
	s_lshl_b64 s[20:21], s[20:21], 1
	v_lshlrev_b32_e32 v3, 3, v3
	v_mad_u32_u24 v3, 0x70, v18, v3
	s_add_u32 s3, s14, s20
	s_addc_u32 s7, s15, s21
	s_ashr_i32 s25, s24, 31
	s_lshl_b64 s[14:15], s[24:25], 1
	s_add_u32 s14, s3, s14
	s_addc_u32 s15, s7, s15
	global_load_dwordx2 v[1:2], v13, s[14:15]
	s_waitcnt vmcnt(0)
	ds_write_b64 v3, v[1:2]
.LBB326_4:
	s_or_b32 exec_lo, exec_lo, s2
	s_load_dwordx4 s[20:23], s[4:5], 0x68
	s_mul_i32 s2, s13, s11
	s_xor_b32 s1, s0, s1
	s_sub_i32 s0, s12, s2
	s_add_i32 s2, s13, 1
	s_sub_i32 s3, s0, s11
	s_cmp_ge_u32 s0, s11
	s_mov_b32 s12, -1
	s_cselect_b32 s2, s2, s13
	s_cselect_b32 s0, s3, s0
	s_add_i32 s3, s2, 1
	s_cmp_ge_u32 s0, s11
	s_load_dword s0, s[4:5], 0x78
	s_cselect_b32 s2, s3, s2
	s_waitcnt lgkmcnt(0)
	s_add_i32 s7, s33, -1
	s_xor_b32 s2, s2, s1
	s_abs_i32 s3, s7
	s_sub_i32 s1, s2, s1
	s_waitcnt_vscnt null, 0x0
	s_barrier
	s_abs_i32 s16, s23
	buffer_gl0_inv
	v_cvt_f32_u32_e32 v1, s16
	s_sub_i32 s2, 0, s16
                                        ; implicit-def: $sgpr25
	v_rcp_iflag_f32_e32 v1, v1
	v_mul_f32_e32 v1, 0x4f7ffffe, v1
	v_cvt_u32_f32_e32 v1, v1
	v_readfirstlane_b32 s19, v1
	s_mul_i32 s2, s2, s19
	s_mul_hi_u32 s2, s19, s2
	s_add_i32 s19, s19, s2
	s_cmp_lt_i32 s0, 0
	s_mul_hi_u32 s2, s3, s19
	s_cbranch_scc0 .LBB326_6
; %bb.5:
	s_mul_i32 s11, s20, s34
	s_mov_b32 s12, 0
	s_add_i32 s11, s1, s11
	s_mul_i32 s11, s11, s0
	s_sub_i32 s25, 1, s11
.LBB326_6:
	s_load_dwordx2 s[26:27], s[4:5], 0x28
	s_ashr_i32 s11, s7, 31
	s_andn2_b32 vcc_lo, exec_lo, s12
	s_ashr_i32 s23, s23, 31
	s_cbranch_vccnz .LBB326_8
; %bb.7:
	s_mul_i32 s7, s9, s20
	s_add_i32 s6, s7, s6
	s_mul_i32 s0, s6, s0
	s_add_i32 s25, s0, 1
.LBB326_8:
	s_clause 0x2
	s_load_dword s0, s[4:5], 0x38
	s_load_dwordx2 s[6:7], s[4:5], 0x0
	s_load_dwordx2 s[30:31], s[4:5], 0x18
	s_xor_b32 s34, s11, s23
	s_mul_i32 s11, s2, s16
	s_add_i32 s20, s2, 1
	s_sub_i32 s3, s3, s11
	s_clause 0x1
	s_load_dword s11, s[4:5], 0x88
	s_load_dwordx4 s[12:15], s[4:5], 0x58
	v_lshrrev_b32_e32 v52, 5, v0
	v_mov_b32_e32 v42, 0xff7fffff
	v_lshrrev_b32_e32 v14, 3, v0
	v_mbcnt_lo_u32_b32 v39, -1, 0
	s_mul_i32 s18, s1, s18
	v_lshlrev_b32_e32 v36, 4, v52
	s_waitcnt lgkmcnt(0)
	s_mul_i32 s28, s0, s10
	s_sub_i32 s0, s3, s16
	s_ashr_i32 s29, s28, 31
	s_cmp_ge_u32 s3, s16
	s_cselect_b32 s2, s20, s2
	s_cselect_b32 s0, s0, s3
	s_add_i32 s3, s2, 1
	s_cmp_ge_u32 s0, s16
	s_cselect_b32 s0, s3, s2
	s_add_i32 s2, s33, 15
	s_ashr_i32 s3, s2, 31
	s_lshr_b32 s3, s3, 28
	s_add_i32 s2, s2, s3
	s_ashr_i32 s20, s2, 4
	s_xor_b32 s2, s0, s34
	v_cmp_gt_i32_e64 s0, s20, v52
	s_sub_i32 s34, s2, s34
	s_and_saveexec_b32 s37, s0
	s_cbranch_execz .LBB326_468
; %bb.9:
	s_load_dwordx2 s[2:3], s[4:5], 0x10
	s_sub_i32 s5, s34, s21
	s_ashr_i32 s1, s18, 31
	v_bfe_u32 v6, v0, 1, 4
	v_and_b32_e32 v3, 0x7c, v14
	v_lshlrev_b32_e32 v2, 2, v18
	v_mov_b32_e32 v26, 0
	v_mul_u32_u24_e32 v41, 0x70, v18
	v_lshlrev_b32_e32 v4, 2, v6
	v_subrev_nc_u32_e32 v5, s33, v6
	v_lshlrev_b32_e32 v6, 4, v6
	v_lshlrev_b32_e32 v43, 4, v52
	v_mov_b32_e32 v44, 0x80
	v_lshl_or_b32 v4, v52, 6, v4
	v_add_nc_u32_e32 v5, 1, v5
	v_mov_b32_e32 v45, 0xffff
	v_mov_b32_e32 v46, 0xff
	;; [unrolled: 1-line block ×3, first 2 shown]
	v_add_nc_u32_e32 v50, 0x100, v4
	buffer_store_dword v5, off, s[48:51], 0 offset:8 ; 4-byte Folded Spill
	s_waitcnt lgkmcnt(0)
	s_add_u32 s4, s2, s18
	s_addc_u32 s39, s3, s1
	s_abs_i32 s38, s22
	v_add_co_u32 v5, s4, s4, v6
	v_cvt_f32_u32_e32 v1, s38
	s_sub_i32 s2, 0, s38
	v_add_co_ci_u32_e64 v6, null, s39, 0, s4
	v_cmp_neq_f32_e64 s1, s36, 0
	v_rcp_iflag_f32_e32 v1, v1
	v_mov_b32_e32 v48, 24
	v_mov_b32_e32 v42, 0xff7fffff
	s_mov_b32 s39, 0
	s_mov_b32 s40, s17
	v_cmp_eq_u32_e32 vcc_lo, 0, v18
	v_mul_f32_e32 v1, 0x4f7ffffe, v1
	v_cvt_u32_f32_e32 v1, v1
	v_mul_lo_u32 v4, s2, v1
	s_lshl_b64 s[2:3], s[28:29], 2
	s_add_u32 s2, s26, s2
	s_addc_u32 s3, s27, s3
	v_add_co_u32 v27, s2, s2, v3
	v_add_co_ci_u32_e64 v28, null, s3, 0, s2
	v_mul_hi_u32 v4, v1, v4
	v_add_co_u32 v2, s2, v5, v2
	v_add_co_ci_u32_e64 v3, null, 0, v6, s2
	buffer_store_dword v2, off, s[48:51], 0 ; 4-byte Folded Spill
	buffer_store_dword v3, off, s[48:51], 0 offset:4 ; 4-byte Folded Spill
	v_add_nc_u32_e32 v51, v1, v4
	s_branch .LBB326_12
.LBB326_10:                             ;   in Loop: Header=BB326_12 Depth=1
	s_or_b32 exec_lo, exec_lo, s3
.LBB326_11:                             ;   in Loop: Header=BB326_12 Depth=1
	s_or_b32 exec_lo, exec_lo, s41
	v_add_nc_u32_e32 v52, 4, v52
	v_add_co_u32 v27, s3, v27, 16
	v_add_co_ci_u32_e64 v28, null, 0, v28, s3
	v_cmp_le_i32_e64 s2, s20, v52
	v_add_nc_u32_e32 v43, 64, v43
	v_add_nc_u32_e32 v50, 0x100, v50
	s_or_b32 s39, s2, s39
	s_andn2_b32 exec_lo, exec_lo, s39
	s_cbranch_execz .LBB326_467
.LBB326_12:                             ; =>This Inner Loop Header: Depth=1
	v_mul_hi_u32 v1, v43, s19
	s_waitcnt lgkmcnt(0)
	v_mul_lo_u32 v2, v1, s16
	v_add_nc_u32_e32 v3, 1, v1
	v_sub_nc_u32_e32 v2, v43, v2
	v_subrev_nc_u32_e32 v4, s16, v2
	v_cmp_le_u32_e64 s2, s16, v2
	v_cndmask_b32_e64 v1, v1, v3, s2
	v_cndmask_b32_e64 v2, v2, v4, s2
	v_add_nc_u32_e32 v3, 1, v1
	v_cmp_le_u32_e64 s2, s16, v2
	v_cndmask_b32_e64 v1, v1, v3, s2
	v_xor_b32_e32 v1, s23, v1
	v_subrev_nc_u32_e32 v1, s23, v1
	v_add_nc_u32_e32 v2, s25, v1
	v_cmp_ge_i32_e64 s3, s5, v1
	v_sub_nc_u32_e32 v3, 0, v2
	v_max_i32_e32 v3, v2, v3
	v_ashrrev_i32_e32 v2, 31, v2
	v_mul_hi_u32 v4, v3, v51
	v_mul_lo_u32 v4, v4, s38
	v_sub_nc_u32_e32 v3, v3, v4
	v_subrev_nc_u32_e32 v4, s38, v3
	v_cmp_le_u32_e64 s2, s38, v3
	v_cndmask_b32_e64 v3, v3, v4, s2
	v_subrev_nc_u32_e32 v4, s38, v3
	v_cmp_le_u32_e64 s2, s38, v3
	v_cndmask_b32_e64 v3, v3, v4, s2
	v_xor_b32_e32 v3, v3, v2
	v_sub_nc_u32_e32 v2, v3, v2
	v_cmp_ne_u32_e64 s2, 0, v2
	s_and_b32 s2, s2, s3
	s_and_saveexec_b32 s3, s2
	s_xor_b32 s2, exec_lo, s3
	s_cbranch_execz .LBB326_16
; %bb.13:                               ;   in Loop: Header=BB326_12 Depth=1
	s_and_saveexec_b32 s3, vcc_lo
; %bb.14:                               ;   in Loop: Header=BB326_12 Depth=1
	v_mov_b32_e32 v1, 0xff7fffff
	ds_write_b32 v50, v1
; %bb.15:                               ;   in Loop: Header=BB326_12 Depth=1
	s_or_b32 exec_lo, exec_lo, s3
.LBB326_16:                             ;   in Loop: Header=BB326_12 Depth=1
	s_andn2_saveexec_b32 s41, s2
	s_cbranch_execz .LBB326_11
; %bb.17:                               ;   in Loop: Header=BB326_12 Depth=1
	global_load_dword v1, v[27:28], off
	s_clause 0x1
	buffer_load_dword v2, off, s[48:51], 0
	buffer_load_dword v3, off, s[48:51], 0 offset:4
	v_mov_b32_e32 v55, 0
	v_mov_b32_e32 v56, 0
	s_waitcnt vmcnt(0)
	v_mad_i64_i32 v[31:32], null, v1, s40, v[2:3]
	global_load_dword v59, v[31:32], off
	ds_read_b128 v[21:24], v41
	ds_read_b128 v[17:20], v41 offset:16
	ds_read_b128 v[13:16], v41 offset:32
	;; [unrolled: 1-line block ×5, first 2 shown]
	ds_read_b32 v54, v41 offset:96
	ds_read_u16 v53, v41 offset:100
	s_load_dword s3, s[12:13], 0x0
	s_waitcnt vmcnt(0)
	v_cmp_ne_u16_sdwa s2, v59, v26 src0_sel:BYTE_0 src1_sel:DWORD
	s_and_saveexec_b32 s4, s2
	s_cbranch_execz .LBB326_25
; %bb.18:                               ;   in Loop: Header=BB326_12 Depth=1
	v_cmp_ne_u16_sdwa s2, v59, v44 src0_sel:BYTE_0 src1_sel:DWORD
	v_bfrev_b32_e32 v56, 1
	s_and_saveexec_b32 s42, s2
	s_cbranch_execz .LBB326_24
; %bb.19:                               ;   in Loop: Header=BB326_12 Depth=1
	v_and_b32_e32 v57, 0x7f, v59
	v_mov_b32_e32 v56, 0x7f800001
	s_mov_b32 s43, exec_lo
	v_cmpx_ne_u32_e32 0x7f, v57
	s_cbranch_execz .LBB326_23
; %bb.20:                               ;   in Loop: Header=BB326_12 Depth=1
	v_and_b32_e32 v25, 7, v59
	v_lshrrev_b32_e32 v56, 3, v57
	s_mov_b32 s44, exec_lo
	v_cmpx_gt_u32_e32 8, v57
; %bb.21:                               ;   in Loop: Header=BB326_12 Depth=1
	v_ffbh_u32_e32 v56, v25
	v_min_u32_e32 v56, 32, v56
	v_subrev_nc_u32_e32 v57, 28, v56
	v_sub_nc_u32_e32 v56, 29, v56
	v_lshlrev_b64 v[57:58], v57, v[25:26]
	v_and_b32_e32 v25, 7, v57
; %bb.22:                               ;   in Loop: Header=BB326_12 Depth=1
	s_or_b32 exec_lo, exec_lo, s44
	v_lshlrev_b32_e32 v57, 24, v59
	v_lshlrev_b32_e32 v25, 20, v25
	v_lshl_add_u32 v56, v56, 23, 0x3c000000
	v_and_b32_e32 v57, 0x80000000, v57
	v_or3_b32 v56, v25, v57, v56
.LBB326_23:                             ;   in Loop: Header=BB326_12 Depth=1
	s_or_b32 exec_lo, exec_lo, s43
.LBB326_24:                             ;   in Loop: Header=BB326_12 Depth=1
	s_or_b32 exec_lo, exec_lo, s42
.LBB326_25:                             ;   in Loop: Header=BB326_12 Depth=1
	s_or_b32 exec_lo, exec_lo, s4
	v_cmp_ne_u16_sdwa s2, v59, v26 src0_sel:BYTE_1 src1_sel:DWORD
	s_and_saveexec_b32 s4, s2
	s_cbranch_execz .LBB326_33
; %bb.26:                               ;   in Loop: Header=BB326_12 Depth=1
	v_cmp_ne_u16_sdwa s2, v59, v44 src0_sel:BYTE_1 src1_sel:DWORD
	v_bfrev_b32_e32 v55, 1
	s_and_saveexec_b32 s42, s2
	s_cbranch_execz .LBB326_32
; %bb.27:                               ;   in Loop: Header=BB326_12 Depth=1
	v_and_b32_sdwa v25, v45, v59 dst_sel:DWORD dst_unused:UNUSED_PAD src0_sel:DWORD src1_sel:BYTE_1
	v_mov_b32_e32 v55, 0x7f800001
	s_mov_b32 s43, exec_lo
	v_and_b32_e32 v57, 0x7f, v25
	v_cmpx_ne_u32_e32 0x7f, v57
	s_cbranch_execz .LBB326_31
; %bb.28:                               ;   in Loop: Header=BB326_12 Depth=1
	v_and_b32_e32 v25, 7, v25
	v_lshrrev_b32_e32 v55, 3, v57
	s_mov_b32 s44, exec_lo
	v_cmpx_gt_u32_e32 8, v57
; %bb.29:                               ;   in Loop: Header=BB326_12 Depth=1
	v_ffbh_u32_e32 v55, v25
	v_min_u32_e32 v55, 32, v55
	v_subrev_nc_u32_e32 v57, 28, v55
	v_sub_nc_u32_e32 v55, 29, v55
	v_lshlrev_b64 v[57:58], v57, v[25:26]
	v_and_b32_e32 v25, 7, v57
; %bb.30:                               ;   in Loop: Header=BB326_12 Depth=1
	s_or_b32 exec_lo, exec_lo, s44
	v_lshlrev_b32_e32 v57, 16, v59
	v_lshlrev_b32_e32 v25, 20, v25
	v_lshl_add_u32 v55, v55, 23, 0x3c000000
	v_and_b32_e32 v57, 0x80000000, v57
	v_or3_b32 v55, v25, v57, v55
.LBB326_31:                             ;   in Loop: Header=BB326_12 Depth=1
	s_or_b32 exec_lo, exec_lo, s43
.LBB326_32:                             ;   in Loop: Header=BB326_12 Depth=1
	s_or_b32 exec_lo, exec_lo, s42
.LBB326_33:                             ;   in Loop: Header=BB326_12 Depth=1
	s_or_b32 exec_lo, exec_lo, s4
	v_and_b32_sdwa v25, v59, v46 dst_sel:DWORD dst_unused:UNUSED_PAD src0_sel:WORD_1 src1_sel:DWORD
	v_mov_b32_e32 v57, 0
	v_mov_b32_e32 v58, 0
	s_mov_b32 s4, exec_lo
	v_cmpx_ne_u16_e32 0, v25
	s_cbranch_execz .LBB326_41
; %bb.34:                               ;   in Loop: Header=BB326_12 Depth=1
	v_bfrev_b32_e32 v58, 1
	s_mov_b32 s42, exec_lo
	v_cmpx_ne_u16_e32 0x80, v25
	s_cbranch_execz .LBB326_40
; %bb.35:                               ;   in Loop: Header=BB326_12 Depth=1
	v_bfe_u32 v60, v59, 16, 7
	v_mov_b32_e32 v58, 0x7f800001
	s_mov_b32 s43, exec_lo
	v_cmpx_ne_u32_e32 0x7f, v60
	s_cbranch_execz .LBB326_39
; %bb.36:                               ;   in Loop: Header=BB326_12 Depth=1
	v_and_b32_sdwa v25, v59, v47 dst_sel:DWORD dst_unused:UNUSED_PAD src0_sel:WORD_1 src1_sel:DWORD
	v_lshrrev_b32_e32 v58, 3, v60
	s_mov_b32 s44, exec_lo
	v_cmpx_gt_u32_e32 8, v60
; %bb.37:                               ;   in Loop: Header=BB326_12 Depth=1
	v_ffbh_u32_e32 v58, v25
	v_min_u32_e32 v58, 32, v58
	v_subrev_nc_u32_e32 v60, 28, v58
	v_sub_nc_u32_e32 v58, 29, v58
	v_lshlrev_b64 v[60:61], v60, v[25:26]
	v_and_b32_e32 v25, 7, v60
; %bb.38:                               ;   in Loop: Header=BB326_12 Depth=1
	s_or_b32 exec_lo, exec_lo, s44
	v_lshlrev_b32_sdwa v60, v48, v59 dst_sel:DWORD dst_unused:UNUSED_PAD src0_sel:DWORD src1_sel:WORD_1
	v_lshlrev_b32_e32 v25, 20, v25
	v_lshl_add_u32 v58, v58, 23, 0x3c000000
	v_and_b32_e32 v60, 0x80000000, v60
	v_or3_b32 v58, v25, v60, v58
.LBB326_39:                             ;   in Loop: Header=BB326_12 Depth=1
	s_or_b32 exec_lo, exec_lo, s43
.LBB326_40:                             ;   in Loop: Header=BB326_12 Depth=1
	s_or_b32 exec_lo, exec_lo, s42
.LBB326_41:                             ;   in Loop: Header=BB326_12 Depth=1
	s_or_b32 exec_lo, exec_lo, s4
	s_mov_b32 s4, exec_lo
	v_cmpx_lt_u32_e32 0xffffff, v59
	s_cbranch_execz .LBB326_49
; %bb.42:                               ;   in Loop: Header=BB326_12 Depth=1
	v_cmp_ne_u32_sdwa s2, v59, v44 src0_sel:BYTE_3 src1_sel:DWORD
	v_bfrev_b32_e32 v57, 1
	s_and_saveexec_b32 s42, s2
	s_cbranch_execz .LBB326_48
; %bb.43:                               ;   in Loop: Header=BB326_12 Depth=1
	v_bfe_u32 v60, v59, 24, 7
	v_mov_b32_e32 v57, 0x7f800001
	s_mov_b32 s43, exec_lo
	v_cmpx_ne_u32_e32 0x7f, v60
	s_cbranch_execz .LBB326_47
; %bb.44:                               ;   in Loop: Header=BB326_12 Depth=1
	v_and_b32_sdwa v25, v59, v47 dst_sel:DWORD dst_unused:UNUSED_PAD src0_sel:BYTE_3 src1_sel:DWORD
	v_lshrrev_b32_e32 v57, 3, v60
	s_mov_b32 s44, exec_lo
	v_cmpx_gt_u32_e32 8, v60
; %bb.45:                               ;   in Loop: Header=BB326_12 Depth=1
	v_ffbh_u32_e32 v57, v25
	v_min_u32_e32 v57, 32, v57
	v_subrev_nc_u32_e32 v60, 28, v57
	v_sub_nc_u32_e32 v57, 29, v57
	v_lshlrev_b64 v[60:61], v60, v[25:26]
	v_and_b32_e32 v25, 7, v60
; %bb.46:                               ;   in Loop: Header=BB326_12 Depth=1
	s_or_b32 exec_lo, exec_lo, s44
	v_lshlrev_b32_sdwa v59, v48, v59 dst_sel:DWORD dst_unused:UNUSED_PAD src0_sel:DWORD src1_sel:BYTE_3
	v_lshlrev_b32_e32 v25, 20, v25
	v_lshl_add_u32 v57, v57, 23, 0x3c000000
	v_and_b32_e32 v59, 0x80000000, v59
	v_or3_b32 v57, v25, v59, v57
.LBB326_47:                             ;   in Loop: Header=BB326_12 Depth=1
	s_or_b32 exec_lo, exec_lo, s43
.LBB326_48:                             ;   in Loop: Header=BB326_12 Depth=1
	s_or_b32 exec_lo, exec_lo, s42
.LBB326_49:                             ;   in Loop: Header=BB326_12 Depth=1
	s_or_b32 exec_lo, exec_lo, s4
	global_load_dword v63, v[31:32], off offset:8
	v_mov_b32_e32 v59, 0
	v_mov_b32_e32 v60, 0
	s_waitcnt vmcnt(0)
	v_cmp_ne_u16_sdwa s2, v63, v26 src0_sel:BYTE_0 src1_sel:DWORD
	s_and_saveexec_b32 s4, s2
	s_cbranch_execz .LBB326_57
; %bb.50:                               ;   in Loop: Header=BB326_12 Depth=1
	v_cmp_ne_u16_sdwa s2, v63, v44 src0_sel:BYTE_0 src1_sel:DWORD
	v_bfrev_b32_e32 v60, 1
	s_and_saveexec_b32 s42, s2
	s_cbranch_execz .LBB326_56
; %bb.51:                               ;   in Loop: Header=BB326_12 Depth=1
	v_and_b32_e32 v61, 0x7f, v63
	v_mov_b32_e32 v60, 0x7f800001
	s_mov_b32 s43, exec_lo
	v_cmpx_ne_u32_e32 0x7f, v61
	s_cbranch_execz .LBB326_55
; %bb.52:                               ;   in Loop: Header=BB326_12 Depth=1
	v_and_b32_e32 v25, 7, v63
	v_lshrrev_b32_e32 v60, 3, v61
	s_mov_b32 s44, exec_lo
	v_cmpx_gt_u32_e32 8, v61
; %bb.53:                               ;   in Loop: Header=BB326_12 Depth=1
	v_ffbh_u32_e32 v60, v25
	v_min_u32_e32 v60, 32, v60
	v_subrev_nc_u32_e32 v61, 28, v60
	v_sub_nc_u32_e32 v60, 29, v60
	v_lshlrev_b64 v[61:62], v61, v[25:26]
	v_and_b32_e32 v25, 7, v61
; %bb.54:                               ;   in Loop: Header=BB326_12 Depth=1
	s_or_b32 exec_lo, exec_lo, s44
	v_lshlrev_b32_e32 v61, 24, v63
	v_lshlrev_b32_e32 v25, 20, v25
	v_lshl_add_u32 v60, v60, 23, 0x3c000000
	v_and_b32_e32 v61, 0x80000000, v61
	v_or3_b32 v60, v25, v61, v60
.LBB326_55:                             ;   in Loop: Header=BB326_12 Depth=1
	s_or_b32 exec_lo, exec_lo, s43
.LBB326_56:                             ;   in Loop: Header=BB326_12 Depth=1
	s_or_b32 exec_lo, exec_lo, s42
.LBB326_57:                             ;   in Loop: Header=BB326_12 Depth=1
	s_or_b32 exec_lo, exec_lo, s4
	v_cmp_ne_u16_sdwa s2, v63, v26 src0_sel:BYTE_1 src1_sel:DWORD
	s_and_saveexec_b32 s4, s2
	s_cbranch_execz .LBB326_65
; %bb.58:                               ;   in Loop: Header=BB326_12 Depth=1
	v_cmp_ne_u16_sdwa s2, v63, v44 src0_sel:BYTE_1 src1_sel:DWORD
	v_bfrev_b32_e32 v59, 1
	s_and_saveexec_b32 s42, s2
	s_cbranch_execz .LBB326_64
; %bb.59:                               ;   in Loop: Header=BB326_12 Depth=1
	v_and_b32_sdwa v25, v45, v63 dst_sel:DWORD dst_unused:UNUSED_PAD src0_sel:DWORD src1_sel:BYTE_1
	v_mov_b32_e32 v59, 0x7f800001
	s_mov_b32 s43, exec_lo
	v_and_b32_e32 v61, 0x7f, v25
	v_cmpx_ne_u32_e32 0x7f, v61
	s_cbranch_execz .LBB326_63
; %bb.60:                               ;   in Loop: Header=BB326_12 Depth=1
	v_and_b32_e32 v25, 7, v25
	v_lshrrev_b32_e32 v59, 3, v61
	s_mov_b32 s44, exec_lo
	v_cmpx_gt_u32_e32 8, v61
; %bb.61:                               ;   in Loop: Header=BB326_12 Depth=1
	v_ffbh_u32_e32 v59, v25
	v_min_u32_e32 v59, 32, v59
	v_subrev_nc_u32_e32 v61, 28, v59
	v_sub_nc_u32_e32 v59, 29, v59
	v_lshlrev_b64 v[61:62], v61, v[25:26]
	v_and_b32_e32 v25, 7, v61
; %bb.62:                               ;   in Loop: Header=BB326_12 Depth=1
	s_or_b32 exec_lo, exec_lo, s44
	v_lshlrev_b32_e32 v61, 16, v63
	v_lshlrev_b32_e32 v25, 20, v25
	v_lshl_add_u32 v59, v59, 23, 0x3c000000
	v_and_b32_e32 v61, 0x80000000, v61
	v_or3_b32 v59, v25, v61, v59
.LBB326_63:                             ;   in Loop: Header=BB326_12 Depth=1
	s_or_b32 exec_lo, exec_lo, s43
.LBB326_64:                             ;   in Loop: Header=BB326_12 Depth=1
	s_or_b32 exec_lo, exec_lo, s42
.LBB326_65:                             ;   in Loop: Header=BB326_12 Depth=1
	s_or_b32 exec_lo, exec_lo, s4
	v_and_b32_sdwa v25, v63, v46 dst_sel:DWORD dst_unused:UNUSED_PAD src0_sel:WORD_1 src1_sel:DWORD
	v_mov_b32_e32 v61, 0
	v_mov_b32_e32 v62, 0
	s_mov_b32 s4, exec_lo
	v_cmpx_ne_u16_e32 0, v25
	s_cbranch_execz .LBB326_73
; %bb.66:                               ;   in Loop: Header=BB326_12 Depth=1
	v_bfrev_b32_e32 v62, 1
	s_mov_b32 s42, exec_lo
	v_cmpx_ne_u16_e32 0x80, v25
	s_cbranch_execz .LBB326_72
; %bb.67:                               ;   in Loop: Header=BB326_12 Depth=1
	v_bfe_u32 v64, v63, 16, 7
	v_mov_b32_e32 v62, 0x7f800001
	s_mov_b32 s43, exec_lo
	v_cmpx_ne_u32_e32 0x7f, v64
	s_cbranch_execz .LBB326_71
; %bb.68:                               ;   in Loop: Header=BB326_12 Depth=1
	v_and_b32_sdwa v25, v63, v47 dst_sel:DWORD dst_unused:UNUSED_PAD src0_sel:WORD_1 src1_sel:DWORD
	v_lshrrev_b32_e32 v62, 3, v64
	s_mov_b32 s44, exec_lo
	v_cmpx_gt_u32_e32 8, v64
; %bb.69:                               ;   in Loop: Header=BB326_12 Depth=1
	v_ffbh_u32_e32 v62, v25
	v_min_u32_e32 v62, 32, v62
	v_subrev_nc_u32_e32 v64, 28, v62
	v_sub_nc_u32_e32 v62, 29, v62
	v_lshlrev_b64 v[64:65], v64, v[25:26]
	v_and_b32_e32 v25, 7, v64
; %bb.70:                               ;   in Loop: Header=BB326_12 Depth=1
	s_or_b32 exec_lo, exec_lo, s44
	v_lshlrev_b32_sdwa v64, v48, v63 dst_sel:DWORD dst_unused:UNUSED_PAD src0_sel:DWORD src1_sel:WORD_1
	v_lshlrev_b32_e32 v25, 20, v25
	v_lshl_add_u32 v62, v62, 23, 0x3c000000
	v_and_b32_e32 v64, 0x80000000, v64
	v_or3_b32 v62, v25, v64, v62
.LBB326_71:                             ;   in Loop: Header=BB326_12 Depth=1
	s_or_b32 exec_lo, exec_lo, s43
.LBB326_72:                             ;   in Loop: Header=BB326_12 Depth=1
	s_or_b32 exec_lo, exec_lo, s42
.LBB326_73:                             ;   in Loop: Header=BB326_12 Depth=1
	s_or_b32 exec_lo, exec_lo, s4
	s_mov_b32 s4, exec_lo
	v_cmpx_lt_u32_e32 0xffffff, v63
	s_cbranch_execz .LBB326_81
; %bb.74:                               ;   in Loop: Header=BB326_12 Depth=1
	v_cmp_ne_u32_sdwa s2, v63, v44 src0_sel:BYTE_3 src1_sel:DWORD
	v_bfrev_b32_e32 v61, 1
	s_and_saveexec_b32 s42, s2
	s_cbranch_execz .LBB326_80
; %bb.75:                               ;   in Loop: Header=BB326_12 Depth=1
	v_bfe_u32 v64, v63, 24, 7
	v_mov_b32_e32 v61, 0x7f800001
	s_mov_b32 s43, exec_lo
	v_cmpx_ne_u32_e32 0x7f, v64
	s_cbranch_execz .LBB326_79
; %bb.76:                               ;   in Loop: Header=BB326_12 Depth=1
	v_and_b32_sdwa v25, v63, v47 dst_sel:DWORD dst_unused:UNUSED_PAD src0_sel:BYTE_3 src1_sel:DWORD
	v_lshrrev_b32_e32 v61, 3, v64
	s_mov_b32 s44, exec_lo
	v_cmpx_gt_u32_e32 8, v64
; %bb.77:                               ;   in Loop: Header=BB326_12 Depth=1
	v_ffbh_u32_e32 v61, v25
	v_min_u32_e32 v61, 32, v61
	v_subrev_nc_u32_e32 v64, 28, v61
	v_sub_nc_u32_e32 v61, 29, v61
	v_lshlrev_b64 v[64:65], v64, v[25:26]
	v_and_b32_e32 v25, 7, v64
; %bb.78:                               ;   in Loop: Header=BB326_12 Depth=1
	s_or_b32 exec_lo, exec_lo, s44
	v_lshlrev_b32_sdwa v63, v48, v63 dst_sel:DWORD dst_unused:UNUSED_PAD src0_sel:DWORD src1_sel:BYTE_3
	v_lshlrev_b32_e32 v25, 20, v25
	v_lshl_add_u32 v61, v61, 23, 0x3c000000
	v_and_b32_e32 v63, 0x80000000, v63
	v_or3_b32 v61, v25, v63, v61
.LBB326_79:                             ;   in Loop: Header=BB326_12 Depth=1
	s_or_b32 exec_lo, exec_lo, s43
.LBB326_80:                             ;   in Loop: Header=BB326_12 Depth=1
	s_or_b32 exec_lo, exec_lo, s42
.LBB326_81:                             ;   in Loop: Header=BB326_12 Depth=1
	s_or_b32 exec_lo, exec_lo, s4
	global_load_dword v67, v[31:32], off offset:256
	v_mov_b32_e32 v63, 0
	v_mov_b32_e32 v64, 0
	s_waitcnt vmcnt(0)
	v_cmp_ne_u16_sdwa s2, v67, v26 src0_sel:BYTE_0 src1_sel:DWORD
	s_and_saveexec_b32 s4, s2
	s_cbranch_execz .LBB326_89
; %bb.82:                               ;   in Loop: Header=BB326_12 Depth=1
	v_cmp_ne_u16_sdwa s2, v67, v44 src0_sel:BYTE_0 src1_sel:DWORD
	v_bfrev_b32_e32 v64, 1
	s_and_saveexec_b32 s42, s2
	s_cbranch_execz .LBB326_88
; %bb.83:                               ;   in Loop: Header=BB326_12 Depth=1
	v_and_b32_e32 v65, 0x7f, v67
	v_mov_b32_e32 v64, 0x7f800001
	s_mov_b32 s43, exec_lo
	v_cmpx_ne_u32_e32 0x7f, v65
	s_cbranch_execz .LBB326_87
; %bb.84:                               ;   in Loop: Header=BB326_12 Depth=1
	v_and_b32_e32 v25, 7, v67
	v_lshrrev_b32_e32 v64, 3, v65
	s_mov_b32 s44, exec_lo
	v_cmpx_gt_u32_e32 8, v65
; %bb.85:                               ;   in Loop: Header=BB326_12 Depth=1
	v_ffbh_u32_e32 v64, v25
	v_min_u32_e32 v64, 32, v64
	v_subrev_nc_u32_e32 v65, 28, v64
	v_sub_nc_u32_e32 v64, 29, v64
	v_lshlrev_b64 v[65:66], v65, v[25:26]
	v_and_b32_e32 v25, 7, v65
; %bb.86:                               ;   in Loop: Header=BB326_12 Depth=1
	s_or_b32 exec_lo, exec_lo, s44
	v_lshlrev_b32_e32 v65, 24, v67
	v_lshlrev_b32_e32 v25, 20, v25
	v_lshl_add_u32 v64, v64, 23, 0x3c000000
	v_and_b32_e32 v65, 0x80000000, v65
	v_or3_b32 v64, v25, v65, v64
.LBB326_87:                             ;   in Loop: Header=BB326_12 Depth=1
	s_or_b32 exec_lo, exec_lo, s43
.LBB326_88:                             ;   in Loop: Header=BB326_12 Depth=1
	s_or_b32 exec_lo, exec_lo, s42
.LBB326_89:                             ;   in Loop: Header=BB326_12 Depth=1
	s_or_b32 exec_lo, exec_lo, s4
	v_cmp_ne_u16_sdwa s2, v67, v26 src0_sel:BYTE_1 src1_sel:DWORD
	s_and_saveexec_b32 s4, s2
	s_cbranch_execz .LBB326_97
; %bb.90:                               ;   in Loop: Header=BB326_12 Depth=1
	v_cmp_ne_u16_sdwa s2, v67, v44 src0_sel:BYTE_1 src1_sel:DWORD
	v_bfrev_b32_e32 v63, 1
	s_and_saveexec_b32 s42, s2
	s_cbranch_execz .LBB326_96
; %bb.91:                               ;   in Loop: Header=BB326_12 Depth=1
	v_and_b32_sdwa v25, v45, v67 dst_sel:DWORD dst_unused:UNUSED_PAD src0_sel:DWORD src1_sel:BYTE_1
	v_mov_b32_e32 v63, 0x7f800001
	s_mov_b32 s43, exec_lo
	v_and_b32_e32 v65, 0x7f, v25
	v_cmpx_ne_u32_e32 0x7f, v65
	s_cbranch_execz .LBB326_95
; %bb.92:                               ;   in Loop: Header=BB326_12 Depth=1
	v_and_b32_e32 v25, 7, v25
	v_lshrrev_b32_e32 v63, 3, v65
	s_mov_b32 s44, exec_lo
	v_cmpx_gt_u32_e32 8, v65
; %bb.93:                               ;   in Loop: Header=BB326_12 Depth=1
	v_ffbh_u32_e32 v63, v25
	v_min_u32_e32 v63, 32, v63
	v_subrev_nc_u32_e32 v65, 28, v63
	v_sub_nc_u32_e32 v63, 29, v63
	v_lshlrev_b64 v[65:66], v65, v[25:26]
	v_and_b32_e32 v25, 7, v65
; %bb.94:                               ;   in Loop: Header=BB326_12 Depth=1
	s_or_b32 exec_lo, exec_lo, s44
	v_lshlrev_b32_e32 v65, 16, v67
	v_lshlrev_b32_e32 v25, 20, v25
	v_lshl_add_u32 v63, v63, 23, 0x3c000000
	v_and_b32_e32 v65, 0x80000000, v65
	v_or3_b32 v63, v25, v65, v63
.LBB326_95:                             ;   in Loop: Header=BB326_12 Depth=1
	s_or_b32 exec_lo, exec_lo, s43
.LBB326_96:                             ;   in Loop: Header=BB326_12 Depth=1
	s_or_b32 exec_lo, exec_lo, s42
.LBB326_97:                             ;   in Loop: Header=BB326_12 Depth=1
	s_or_b32 exec_lo, exec_lo, s4
	v_and_b32_sdwa v25, v67, v46 dst_sel:DWORD dst_unused:UNUSED_PAD src0_sel:WORD_1 src1_sel:DWORD
	v_mov_b32_e32 v65, 0
	v_mov_b32_e32 v66, 0
	s_mov_b32 s4, exec_lo
	v_cmpx_ne_u16_e32 0, v25
	s_cbranch_execz .LBB326_105
; %bb.98:                               ;   in Loop: Header=BB326_12 Depth=1
	v_bfrev_b32_e32 v66, 1
	s_mov_b32 s42, exec_lo
	v_cmpx_ne_u16_e32 0x80, v25
	s_cbranch_execz .LBB326_104
; %bb.99:                               ;   in Loop: Header=BB326_12 Depth=1
	v_bfe_u32 v68, v67, 16, 7
	v_mov_b32_e32 v66, 0x7f800001
	s_mov_b32 s43, exec_lo
	v_cmpx_ne_u32_e32 0x7f, v68
	s_cbranch_execz .LBB326_103
; %bb.100:                              ;   in Loop: Header=BB326_12 Depth=1
	v_and_b32_sdwa v25, v67, v47 dst_sel:DWORD dst_unused:UNUSED_PAD src0_sel:WORD_1 src1_sel:DWORD
	v_lshrrev_b32_e32 v66, 3, v68
	s_mov_b32 s44, exec_lo
	v_cmpx_gt_u32_e32 8, v68
; %bb.101:                              ;   in Loop: Header=BB326_12 Depth=1
	v_ffbh_u32_e32 v66, v25
	v_min_u32_e32 v66, 32, v66
	v_subrev_nc_u32_e32 v68, 28, v66
	v_sub_nc_u32_e32 v66, 29, v66
	v_lshlrev_b64 v[68:69], v68, v[25:26]
	v_and_b32_e32 v25, 7, v68
; %bb.102:                              ;   in Loop: Header=BB326_12 Depth=1
	s_or_b32 exec_lo, exec_lo, s44
	v_lshlrev_b32_sdwa v68, v48, v67 dst_sel:DWORD dst_unused:UNUSED_PAD src0_sel:DWORD src1_sel:WORD_1
	v_lshlrev_b32_e32 v25, 20, v25
	v_lshl_add_u32 v66, v66, 23, 0x3c000000
	v_and_b32_e32 v68, 0x80000000, v68
	v_or3_b32 v66, v25, v68, v66
.LBB326_103:                            ;   in Loop: Header=BB326_12 Depth=1
	s_or_b32 exec_lo, exec_lo, s43
.LBB326_104:                            ;   in Loop: Header=BB326_12 Depth=1
	s_or_b32 exec_lo, exec_lo, s42
.LBB326_105:                            ;   in Loop: Header=BB326_12 Depth=1
	s_or_b32 exec_lo, exec_lo, s4
	s_mov_b32 s4, exec_lo
	v_cmpx_lt_u32_e32 0xffffff, v67
	s_cbranch_execz .LBB326_113
; %bb.106:                              ;   in Loop: Header=BB326_12 Depth=1
	v_cmp_ne_u32_sdwa s2, v67, v44 src0_sel:BYTE_3 src1_sel:DWORD
	v_bfrev_b32_e32 v65, 1
	s_and_saveexec_b32 s42, s2
	s_cbranch_execz .LBB326_112
; %bb.107:                              ;   in Loop: Header=BB326_12 Depth=1
	v_bfe_u32 v68, v67, 24, 7
	v_mov_b32_e32 v65, 0x7f800001
	s_mov_b32 s43, exec_lo
	v_cmpx_ne_u32_e32 0x7f, v68
	s_cbranch_execz .LBB326_111
; %bb.108:                              ;   in Loop: Header=BB326_12 Depth=1
	v_and_b32_sdwa v25, v67, v47 dst_sel:DWORD dst_unused:UNUSED_PAD src0_sel:BYTE_3 src1_sel:DWORD
	v_lshrrev_b32_e32 v65, 3, v68
	s_mov_b32 s44, exec_lo
	v_cmpx_gt_u32_e32 8, v68
; %bb.109:                              ;   in Loop: Header=BB326_12 Depth=1
	v_ffbh_u32_e32 v65, v25
	v_min_u32_e32 v65, 32, v65
	v_subrev_nc_u32_e32 v68, 28, v65
	v_sub_nc_u32_e32 v65, 29, v65
	v_lshlrev_b64 v[68:69], v68, v[25:26]
	v_and_b32_e32 v25, 7, v68
; %bb.110:                              ;   in Loop: Header=BB326_12 Depth=1
	s_or_b32 exec_lo, exec_lo, s44
	v_lshlrev_b32_sdwa v67, v48, v67 dst_sel:DWORD dst_unused:UNUSED_PAD src0_sel:DWORD src1_sel:BYTE_3
	v_lshlrev_b32_e32 v25, 20, v25
	v_lshl_add_u32 v65, v65, 23, 0x3c000000
	v_and_b32_e32 v67, 0x80000000, v67
	v_or3_b32 v65, v25, v67, v65
.LBB326_111:                            ;   in Loop: Header=BB326_12 Depth=1
	s_or_b32 exec_lo, exec_lo, s43
.LBB326_112:                            ;   in Loop: Header=BB326_12 Depth=1
	s_or_b32 exec_lo, exec_lo, s42
.LBB326_113:                            ;   in Loop: Header=BB326_12 Depth=1
	s_or_b32 exec_lo, exec_lo, s4
	global_load_dword v71, v[31:32], off offset:264
	v_mov_b32_e32 v67, 0
	v_mov_b32_e32 v68, 0
	s_waitcnt vmcnt(0)
	v_cmp_ne_u16_sdwa s2, v71, v26 src0_sel:BYTE_0 src1_sel:DWORD
	s_and_saveexec_b32 s4, s2
	s_cbranch_execz .LBB326_121
; %bb.114:                              ;   in Loop: Header=BB326_12 Depth=1
	v_cmp_ne_u16_sdwa s2, v71, v44 src0_sel:BYTE_0 src1_sel:DWORD
	v_bfrev_b32_e32 v68, 1
	s_and_saveexec_b32 s42, s2
	s_cbranch_execz .LBB326_120
; %bb.115:                              ;   in Loop: Header=BB326_12 Depth=1
	v_and_b32_e32 v69, 0x7f, v71
	v_mov_b32_e32 v68, 0x7f800001
	s_mov_b32 s43, exec_lo
	v_cmpx_ne_u32_e32 0x7f, v69
	s_cbranch_execz .LBB326_119
; %bb.116:                              ;   in Loop: Header=BB326_12 Depth=1
	v_and_b32_e32 v25, 7, v71
	v_lshrrev_b32_e32 v68, 3, v69
	s_mov_b32 s44, exec_lo
	v_cmpx_gt_u32_e32 8, v69
; %bb.117:                              ;   in Loop: Header=BB326_12 Depth=1
	v_ffbh_u32_e32 v68, v25
	v_min_u32_e32 v68, 32, v68
	v_subrev_nc_u32_e32 v69, 28, v68
	v_sub_nc_u32_e32 v68, 29, v68
	v_lshlrev_b64 v[69:70], v69, v[25:26]
	v_and_b32_e32 v25, 7, v69
; %bb.118:                              ;   in Loop: Header=BB326_12 Depth=1
	s_or_b32 exec_lo, exec_lo, s44
	v_lshlrev_b32_e32 v69, 24, v71
	v_lshlrev_b32_e32 v25, 20, v25
	v_lshl_add_u32 v68, v68, 23, 0x3c000000
	v_and_b32_e32 v69, 0x80000000, v69
	v_or3_b32 v68, v25, v69, v68
.LBB326_119:                            ;   in Loop: Header=BB326_12 Depth=1
	s_or_b32 exec_lo, exec_lo, s43
.LBB326_120:                            ;   in Loop: Header=BB326_12 Depth=1
	s_or_b32 exec_lo, exec_lo, s42
.LBB326_121:                            ;   in Loop: Header=BB326_12 Depth=1
	s_or_b32 exec_lo, exec_lo, s4
	v_cmp_ne_u16_sdwa s2, v71, v26 src0_sel:BYTE_1 src1_sel:DWORD
	s_and_saveexec_b32 s4, s2
	s_cbranch_execz .LBB326_129
; %bb.122:                              ;   in Loop: Header=BB326_12 Depth=1
	v_cmp_ne_u16_sdwa s2, v71, v44 src0_sel:BYTE_1 src1_sel:DWORD
	v_bfrev_b32_e32 v67, 1
	s_and_saveexec_b32 s42, s2
	s_cbranch_execz .LBB326_128
; %bb.123:                              ;   in Loop: Header=BB326_12 Depth=1
	v_and_b32_sdwa v25, v45, v71 dst_sel:DWORD dst_unused:UNUSED_PAD src0_sel:DWORD src1_sel:BYTE_1
	v_mov_b32_e32 v67, 0x7f800001
	s_mov_b32 s43, exec_lo
	v_and_b32_e32 v69, 0x7f, v25
	v_cmpx_ne_u32_e32 0x7f, v69
	s_cbranch_execz .LBB326_127
; %bb.124:                              ;   in Loop: Header=BB326_12 Depth=1
	v_and_b32_e32 v25, 7, v25
	v_lshrrev_b32_e32 v67, 3, v69
	s_mov_b32 s44, exec_lo
	v_cmpx_gt_u32_e32 8, v69
; %bb.125:                              ;   in Loop: Header=BB326_12 Depth=1
	v_ffbh_u32_e32 v67, v25
	v_min_u32_e32 v67, 32, v67
	v_subrev_nc_u32_e32 v69, 28, v67
	v_sub_nc_u32_e32 v67, 29, v67
	v_lshlrev_b64 v[69:70], v69, v[25:26]
	v_and_b32_e32 v25, 7, v69
; %bb.126:                              ;   in Loop: Header=BB326_12 Depth=1
	s_or_b32 exec_lo, exec_lo, s44
	v_lshlrev_b32_e32 v69, 16, v71
	v_lshlrev_b32_e32 v25, 20, v25
	v_lshl_add_u32 v67, v67, 23, 0x3c000000
	v_and_b32_e32 v69, 0x80000000, v69
	v_or3_b32 v67, v25, v69, v67
.LBB326_127:                            ;   in Loop: Header=BB326_12 Depth=1
	s_or_b32 exec_lo, exec_lo, s43
.LBB326_128:                            ;   in Loop: Header=BB326_12 Depth=1
	s_or_b32 exec_lo, exec_lo, s42
.LBB326_129:                            ;   in Loop: Header=BB326_12 Depth=1
	s_or_b32 exec_lo, exec_lo, s4
	v_and_b32_sdwa v25, v71, v46 dst_sel:DWORD dst_unused:UNUSED_PAD src0_sel:WORD_1 src1_sel:DWORD
	v_mov_b32_e32 v69, 0
	v_mov_b32_e32 v70, 0
	s_mov_b32 s4, exec_lo
	v_cmpx_ne_u16_e32 0, v25
	s_cbranch_execz .LBB326_137
; %bb.130:                              ;   in Loop: Header=BB326_12 Depth=1
	v_bfrev_b32_e32 v70, 1
	s_mov_b32 s42, exec_lo
	v_cmpx_ne_u16_e32 0x80, v25
	s_cbranch_execz .LBB326_136
; %bb.131:                              ;   in Loop: Header=BB326_12 Depth=1
	v_bfe_u32 v72, v71, 16, 7
	v_mov_b32_e32 v70, 0x7f800001
	s_mov_b32 s43, exec_lo
	v_cmpx_ne_u32_e32 0x7f, v72
	s_cbranch_execz .LBB326_135
; %bb.132:                              ;   in Loop: Header=BB326_12 Depth=1
	v_and_b32_sdwa v25, v71, v47 dst_sel:DWORD dst_unused:UNUSED_PAD src0_sel:WORD_1 src1_sel:DWORD
	v_lshrrev_b32_e32 v70, 3, v72
	s_mov_b32 s44, exec_lo
	v_cmpx_gt_u32_e32 8, v72
; %bb.133:                              ;   in Loop: Header=BB326_12 Depth=1
	v_ffbh_u32_e32 v70, v25
	v_min_u32_e32 v70, 32, v70
	v_subrev_nc_u32_e32 v72, 28, v70
	v_sub_nc_u32_e32 v70, 29, v70
	v_lshlrev_b64 v[72:73], v72, v[25:26]
	v_and_b32_e32 v25, 7, v72
; %bb.134:                              ;   in Loop: Header=BB326_12 Depth=1
	s_or_b32 exec_lo, exec_lo, s44
	v_lshlrev_b32_sdwa v72, v48, v71 dst_sel:DWORD dst_unused:UNUSED_PAD src0_sel:DWORD src1_sel:WORD_1
	v_lshlrev_b32_e32 v25, 20, v25
	v_lshl_add_u32 v70, v70, 23, 0x3c000000
	v_and_b32_e32 v72, 0x80000000, v72
	v_or3_b32 v70, v25, v72, v70
.LBB326_135:                            ;   in Loop: Header=BB326_12 Depth=1
	s_or_b32 exec_lo, exec_lo, s43
.LBB326_136:                            ;   in Loop: Header=BB326_12 Depth=1
	s_or_b32 exec_lo, exec_lo, s42
.LBB326_137:                            ;   in Loop: Header=BB326_12 Depth=1
	s_or_b32 exec_lo, exec_lo, s4
	s_mov_b32 s4, exec_lo
	v_cmpx_lt_u32_e32 0xffffff, v71
	s_cbranch_execz .LBB326_145
; %bb.138:                              ;   in Loop: Header=BB326_12 Depth=1
	v_cmp_ne_u32_sdwa s2, v71, v44 src0_sel:BYTE_3 src1_sel:DWORD
	v_bfrev_b32_e32 v69, 1
	s_and_saveexec_b32 s42, s2
	s_cbranch_execz .LBB326_144
; %bb.139:                              ;   in Loop: Header=BB326_12 Depth=1
	v_bfe_u32 v72, v71, 24, 7
	v_mov_b32_e32 v69, 0x7f800001
	s_mov_b32 s43, exec_lo
	v_cmpx_ne_u32_e32 0x7f, v72
	s_cbranch_execz .LBB326_143
; %bb.140:                              ;   in Loop: Header=BB326_12 Depth=1
	v_and_b32_sdwa v25, v71, v47 dst_sel:DWORD dst_unused:UNUSED_PAD src0_sel:BYTE_3 src1_sel:DWORD
	v_lshrrev_b32_e32 v69, 3, v72
	s_mov_b32 s44, exec_lo
	v_cmpx_gt_u32_e32 8, v72
; %bb.141:                              ;   in Loop: Header=BB326_12 Depth=1
	v_ffbh_u32_e32 v69, v25
	v_min_u32_e32 v69, 32, v69
	v_subrev_nc_u32_e32 v72, 28, v69
	v_sub_nc_u32_e32 v69, 29, v69
	v_lshlrev_b64 v[72:73], v72, v[25:26]
	v_and_b32_e32 v25, 7, v72
; %bb.142:                              ;   in Loop: Header=BB326_12 Depth=1
	s_or_b32 exec_lo, exec_lo, s44
	v_lshlrev_b32_sdwa v71, v48, v71 dst_sel:DWORD dst_unused:UNUSED_PAD src0_sel:DWORD src1_sel:BYTE_3
	v_lshlrev_b32_e32 v25, 20, v25
	v_lshl_add_u32 v69, v69, 23, 0x3c000000
	v_and_b32_e32 v71, 0x80000000, v71
	v_or3_b32 v69, v25, v71, v69
.LBB326_143:                            ;   in Loop: Header=BB326_12 Depth=1
	s_or_b32 exec_lo, exec_lo, s43
.LBB326_144:                            ;   in Loop: Header=BB326_12 Depth=1
	s_or_b32 exec_lo, exec_lo, s42
.LBB326_145:                            ;   in Loop: Header=BB326_12 Depth=1
	s_or_b32 exec_lo, exec_lo, s4
	global_load_dword v75, v[31:32], off offset:512
	v_mov_b32_e32 v71, 0
	v_mov_b32_e32 v72, 0
	s_waitcnt vmcnt(0)
	v_cmp_ne_u16_sdwa s2, v75, v26 src0_sel:BYTE_0 src1_sel:DWORD
	s_and_saveexec_b32 s4, s2
	s_cbranch_execz .LBB326_153
; %bb.146:                              ;   in Loop: Header=BB326_12 Depth=1
	v_cmp_ne_u16_sdwa s2, v75, v44 src0_sel:BYTE_0 src1_sel:DWORD
	v_bfrev_b32_e32 v72, 1
	s_and_saveexec_b32 s42, s2
	s_cbranch_execz .LBB326_152
; %bb.147:                              ;   in Loop: Header=BB326_12 Depth=1
	v_and_b32_e32 v73, 0x7f, v75
	v_mov_b32_e32 v72, 0x7f800001
	s_mov_b32 s43, exec_lo
	v_cmpx_ne_u32_e32 0x7f, v73
	s_cbranch_execz .LBB326_151
; %bb.148:                              ;   in Loop: Header=BB326_12 Depth=1
	v_and_b32_e32 v25, 7, v75
	v_lshrrev_b32_e32 v72, 3, v73
	s_mov_b32 s44, exec_lo
	v_cmpx_gt_u32_e32 8, v73
; %bb.149:                              ;   in Loop: Header=BB326_12 Depth=1
	v_ffbh_u32_e32 v72, v25
	v_min_u32_e32 v72, 32, v72
	v_subrev_nc_u32_e32 v73, 28, v72
	v_sub_nc_u32_e32 v72, 29, v72
	v_lshlrev_b64 v[73:74], v73, v[25:26]
	v_and_b32_e32 v25, 7, v73
; %bb.150:                              ;   in Loop: Header=BB326_12 Depth=1
	s_or_b32 exec_lo, exec_lo, s44
	v_lshlrev_b32_e32 v73, 24, v75
	v_lshlrev_b32_e32 v25, 20, v25
	v_lshl_add_u32 v72, v72, 23, 0x3c000000
	v_and_b32_e32 v73, 0x80000000, v73
	v_or3_b32 v72, v25, v73, v72
.LBB326_151:                            ;   in Loop: Header=BB326_12 Depth=1
	s_or_b32 exec_lo, exec_lo, s43
.LBB326_152:                            ;   in Loop: Header=BB326_12 Depth=1
	s_or_b32 exec_lo, exec_lo, s42
.LBB326_153:                            ;   in Loop: Header=BB326_12 Depth=1
	s_or_b32 exec_lo, exec_lo, s4
	v_cmp_ne_u16_sdwa s2, v75, v26 src0_sel:BYTE_1 src1_sel:DWORD
	s_and_saveexec_b32 s4, s2
	s_cbranch_execz .LBB326_161
; %bb.154:                              ;   in Loop: Header=BB326_12 Depth=1
	v_cmp_ne_u16_sdwa s2, v75, v44 src0_sel:BYTE_1 src1_sel:DWORD
	v_bfrev_b32_e32 v71, 1
	s_and_saveexec_b32 s42, s2
	s_cbranch_execz .LBB326_160
; %bb.155:                              ;   in Loop: Header=BB326_12 Depth=1
	v_and_b32_sdwa v25, v45, v75 dst_sel:DWORD dst_unused:UNUSED_PAD src0_sel:DWORD src1_sel:BYTE_1
	v_mov_b32_e32 v71, 0x7f800001
	s_mov_b32 s43, exec_lo
	v_and_b32_e32 v73, 0x7f, v25
	v_cmpx_ne_u32_e32 0x7f, v73
	s_cbranch_execz .LBB326_159
; %bb.156:                              ;   in Loop: Header=BB326_12 Depth=1
	v_and_b32_e32 v25, 7, v25
	v_lshrrev_b32_e32 v71, 3, v73
	s_mov_b32 s44, exec_lo
	v_cmpx_gt_u32_e32 8, v73
; %bb.157:                              ;   in Loop: Header=BB326_12 Depth=1
	v_ffbh_u32_e32 v71, v25
	v_min_u32_e32 v71, 32, v71
	v_subrev_nc_u32_e32 v73, 28, v71
	v_sub_nc_u32_e32 v71, 29, v71
	v_lshlrev_b64 v[73:74], v73, v[25:26]
	v_and_b32_e32 v25, 7, v73
; %bb.158:                              ;   in Loop: Header=BB326_12 Depth=1
	s_or_b32 exec_lo, exec_lo, s44
	v_lshlrev_b32_e32 v73, 16, v75
	v_lshlrev_b32_e32 v25, 20, v25
	v_lshl_add_u32 v71, v71, 23, 0x3c000000
	v_and_b32_e32 v73, 0x80000000, v73
	v_or3_b32 v71, v25, v73, v71
.LBB326_159:                            ;   in Loop: Header=BB326_12 Depth=1
	s_or_b32 exec_lo, exec_lo, s43
.LBB326_160:                            ;   in Loop: Header=BB326_12 Depth=1
	s_or_b32 exec_lo, exec_lo, s42
.LBB326_161:                            ;   in Loop: Header=BB326_12 Depth=1
	s_or_b32 exec_lo, exec_lo, s4
	v_and_b32_sdwa v25, v75, v46 dst_sel:DWORD dst_unused:UNUSED_PAD src0_sel:WORD_1 src1_sel:DWORD
	v_mov_b32_e32 v73, 0
	v_mov_b32_e32 v74, 0
	s_mov_b32 s4, exec_lo
	v_cmpx_ne_u16_e32 0, v25
	s_cbranch_execz .LBB326_169
; %bb.162:                              ;   in Loop: Header=BB326_12 Depth=1
	v_bfrev_b32_e32 v74, 1
	s_mov_b32 s42, exec_lo
	v_cmpx_ne_u16_e32 0x80, v25
	s_cbranch_execz .LBB326_168
; %bb.163:                              ;   in Loop: Header=BB326_12 Depth=1
	v_bfe_u32 v76, v75, 16, 7
	v_mov_b32_e32 v74, 0x7f800001
	s_mov_b32 s43, exec_lo
	v_cmpx_ne_u32_e32 0x7f, v76
	s_cbranch_execz .LBB326_167
; %bb.164:                              ;   in Loop: Header=BB326_12 Depth=1
	v_and_b32_sdwa v25, v75, v47 dst_sel:DWORD dst_unused:UNUSED_PAD src0_sel:WORD_1 src1_sel:DWORD
	v_lshrrev_b32_e32 v74, 3, v76
	s_mov_b32 s44, exec_lo
	v_cmpx_gt_u32_e32 8, v76
; %bb.165:                              ;   in Loop: Header=BB326_12 Depth=1
	v_ffbh_u32_e32 v74, v25
	v_min_u32_e32 v74, 32, v74
	v_subrev_nc_u32_e32 v76, 28, v74
	v_sub_nc_u32_e32 v74, 29, v74
	v_lshlrev_b64 v[76:77], v76, v[25:26]
	v_and_b32_e32 v25, 7, v76
; %bb.166:                              ;   in Loop: Header=BB326_12 Depth=1
	s_or_b32 exec_lo, exec_lo, s44
	v_lshlrev_b32_sdwa v76, v48, v75 dst_sel:DWORD dst_unused:UNUSED_PAD src0_sel:DWORD src1_sel:WORD_1
	v_lshlrev_b32_e32 v25, 20, v25
	v_lshl_add_u32 v74, v74, 23, 0x3c000000
	v_and_b32_e32 v76, 0x80000000, v76
	v_or3_b32 v74, v25, v76, v74
.LBB326_167:                            ;   in Loop: Header=BB326_12 Depth=1
	s_or_b32 exec_lo, exec_lo, s43
.LBB326_168:                            ;   in Loop: Header=BB326_12 Depth=1
	s_or_b32 exec_lo, exec_lo, s42
.LBB326_169:                            ;   in Loop: Header=BB326_12 Depth=1
	s_or_b32 exec_lo, exec_lo, s4
	s_mov_b32 s4, exec_lo
	v_cmpx_lt_u32_e32 0xffffff, v75
	s_cbranch_execz .LBB326_177
; %bb.170:                              ;   in Loop: Header=BB326_12 Depth=1
	v_cmp_ne_u32_sdwa s2, v75, v44 src0_sel:BYTE_3 src1_sel:DWORD
	v_bfrev_b32_e32 v73, 1
	s_and_saveexec_b32 s42, s2
	s_cbranch_execz .LBB326_176
; %bb.171:                              ;   in Loop: Header=BB326_12 Depth=1
	v_bfe_u32 v76, v75, 24, 7
	v_mov_b32_e32 v73, 0x7f800001
	s_mov_b32 s43, exec_lo
	v_cmpx_ne_u32_e32 0x7f, v76
	s_cbranch_execz .LBB326_175
; %bb.172:                              ;   in Loop: Header=BB326_12 Depth=1
	v_and_b32_sdwa v25, v75, v47 dst_sel:DWORD dst_unused:UNUSED_PAD src0_sel:BYTE_3 src1_sel:DWORD
	v_lshrrev_b32_e32 v73, 3, v76
	s_mov_b32 s44, exec_lo
	v_cmpx_gt_u32_e32 8, v76
; %bb.173:                              ;   in Loop: Header=BB326_12 Depth=1
	v_ffbh_u32_e32 v73, v25
	v_min_u32_e32 v73, 32, v73
	v_subrev_nc_u32_e32 v76, 28, v73
	v_sub_nc_u32_e32 v73, 29, v73
	v_lshlrev_b64 v[76:77], v76, v[25:26]
	v_and_b32_e32 v25, 7, v76
; %bb.174:                              ;   in Loop: Header=BB326_12 Depth=1
	s_or_b32 exec_lo, exec_lo, s44
	v_lshlrev_b32_sdwa v75, v48, v75 dst_sel:DWORD dst_unused:UNUSED_PAD src0_sel:DWORD src1_sel:BYTE_3
	v_lshlrev_b32_e32 v25, 20, v25
	v_lshl_add_u32 v73, v73, 23, 0x3c000000
	v_and_b32_e32 v75, 0x80000000, v75
	v_or3_b32 v73, v25, v75, v73
.LBB326_175:                            ;   in Loop: Header=BB326_12 Depth=1
	s_or_b32 exec_lo, exec_lo, s43
.LBB326_176:                            ;   in Loop: Header=BB326_12 Depth=1
	s_or_b32 exec_lo, exec_lo, s42
.LBB326_177:                            ;   in Loop: Header=BB326_12 Depth=1
	s_or_b32 exec_lo, exec_lo, s4
	global_load_dword v79, v[31:32], off offset:520
	v_mov_b32_e32 v75, 0
	v_mov_b32_e32 v76, 0
	s_waitcnt vmcnt(0)
	v_cmp_ne_u16_sdwa s2, v79, v26 src0_sel:BYTE_0 src1_sel:DWORD
	s_and_saveexec_b32 s4, s2
	s_cbranch_execz .LBB326_185
; %bb.178:                              ;   in Loop: Header=BB326_12 Depth=1
	v_cmp_ne_u16_sdwa s2, v79, v44 src0_sel:BYTE_0 src1_sel:DWORD
	v_bfrev_b32_e32 v76, 1
	s_and_saveexec_b32 s42, s2
	s_cbranch_execz .LBB326_184
; %bb.179:                              ;   in Loop: Header=BB326_12 Depth=1
	v_and_b32_e32 v77, 0x7f, v79
	v_mov_b32_e32 v76, 0x7f800001
	s_mov_b32 s43, exec_lo
	v_cmpx_ne_u32_e32 0x7f, v77
	s_cbranch_execz .LBB326_183
; %bb.180:                              ;   in Loop: Header=BB326_12 Depth=1
	v_and_b32_e32 v25, 7, v79
	v_lshrrev_b32_e32 v76, 3, v77
	s_mov_b32 s44, exec_lo
	v_cmpx_gt_u32_e32 8, v77
; %bb.181:                              ;   in Loop: Header=BB326_12 Depth=1
	v_ffbh_u32_e32 v76, v25
	v_min_u32_e32 v76, 32, v76
	v_subrev_nc_u32_e32 v77, 28, v76
	v_sub_nc_u32_e32 v76, 29, v76
	v_lshlrev_b64 v[77:78], v77, v[25:26]
	v_and_b32_e32 v25, 7, v77
; %bb.182:                              ;   in Loop: Header=BB326_12 Depth=1
	s_or_b32 exec_lo, exec_lo, s44
	v_lshlrev_b32_e32 v77, 24, v79
	v_lshlrev_b32_e32 v25, 20, v25
	v_lshl_add_u32 v76, v76, 23, 0x3c000000
	v_and_b32_e32 v77, 0x80000000, v77
	v_or3_b32 v76, v25, v77, v76
.LBB326_183:                            ;   in Loop: Header=BB326_12 Depth=1
	s_or_b32 exec_lo, exec_lo, s43
.LBB326_184:                            ;   in Loop: Header=BB326_12 Depth=1
	s_or_b32 exec_lo, exec_lo, s42
.LBB326_185:                            ;   in Loop: Header=BB326_12 Depth=1
	s_or_b32 exec_lo, exec_lo, s4
	v_cmp_ne_u16_sdwa s2, v79, v26 src0_sel:BYTE_1 src1_sel:DWORD
	s_and_saveexec_b32 s4, s2
	s_cbranch_execz .LBB326_193
; %bb.186:                              ;   in Loop: Header=BB326_12 Depth=1
	v_cmp_ne_u16_sdwa s2, v79, v44 src0_sel:BYTE_1 src1_sel:DWORD
	v_bfrev_b32_e32 v75, 1
	s_and_saveexec_b32 s42, s2
	s_cbranch_execz .LBB326_192
; %bb.187:                              ;   in Loop: Header=BB326_12 Depth=1
	v_and_b32_sdwa v25, v45, v79 dst_sel:DWORD dst_unused:UNUSED_PAD src0_sel:DWORD src1_sel:BYTE_1
	v_mov_b32_e32 v75, 0x7f800001
	s_mov_b32 s43, exec_lo
	v_and_b32_e32 v77, 0x7f, v25
	v_cmpx_ne_u32_e32 0x7f, v77
	s_cbranch_execz .LBB326_191
; %bb.188:                              ;   in Loop: Header=BB326_12 Depth=1
	v_and_b32_e32 v25, 7, v25
	v_lshrrev_b32_e32 v75, 3, v77
	s_mov_b32 s44, exec_lo
	v_cmpx_gt_u32_e32 8, v77
; %bb.189:                              ;   in Loop: Header=BB326_12 Depth=1
	v_ffbh_u32_e32 v75, v25
	v_min_u32_e32 v75, 32, v75
	v_subrev_nc_u32_e32 v77, 28, v75
	v_sub_nc_u32_e32 v75, 29, v75
	v_lshlrev_b64 v[77:78], v77, v[25:26]
	v_and_b32_e32 v25, 7, v77
; %bb.190:                              ;   in Loop: Header=BB326_12 Depth=1
	s_or_b32 exec_lo, exec_lo, s44
	v_lshlrev_b32_e32 v77, 16, v79
	v_lshlrev_b32_e32 v25, 20, v25
	v_lshl_add_u32 v75, v75, 23, 0x3c000000
	v_and_b32_e32 v77, 0x80000000, v77
	v_or3_b32 v75, v25, v77, v75
.LBB326_191:                            ;   in Loop: Header=BB326_12 Depth=1
	s_or_b32 exec_lo, exec_lo, s43
.LBB326_192:                            ;   in Loop: Header=BB326_12 Depth=1
	s_or_b32 exec_lo, exec_lo, s42
.LBB326_193:                            ;   in Loop: Header=BB326_12 Depth=1
	s_or_b32 exec_lo, exec_lo, s4
	v_and_b32_sdwa v25, v79, v46 dst_sel:DWORD dst_unused:UNUSED_PAD src0_sel:WORD_1 src1_sel:DWORD
	v_mov_b32_e32 v77, 0
	v_mov_b32_e32 v78, 0
	s_mov_b32 s4, exec_lo
	v_cmpx_ne_u16_e32 0, v25
	s_cbranch_execz .LBB326_201
; %bb.194:                              ;   in Loop: Header=BB326_12 Depth=1
	v_bfrev_b32_e32 v78, 1
	s_mov_b32 s42, exec_lo
	v_cmpx_ne_u16_e32 0x80, v25
	s_cbranch_execz .LBB326_200
; %bb.195:                              ;   in Loop: Header=BB326_12 Depth=1
	v_bfe_u32 v80, v79, 16, 7
	v_mov_b32_e32 v78, 0x7f800001
	s_mov_b32 s43, exec_lo
	v_cmpx_ne_u32_e32 0x7f, v80
	s_cbranch_execz .LBB326_199
; %bb.196:                              ;   in Loop: Header=BB326_12 Depth=1
	v_and_b32_sdwa v25, v79, v47 dst_sel:DWORD dst_unused:UNUSED_PAD src0_sel:WORD_1 src1_sel:DWORD
	v_lshrrev_b32_e32 v78, 3, v80
	s_mov_b32 s44, exec_lo
	v_cmpx_gt_u32_e32 8, v80
; %bb.197:                              ;   in Loop: Header=BB326_12 Depth=1
	v_ffbh_u32_e32 v78, v25
	v_min_u32_e32 v78, 32, v78
	v_subrev_nc_u32_e32 v80, 28, v78
	v_sub_nc_u32_e32 v78, 29, v78
	v_lshlrev_b64 v[80:81], v80, v[25:26]
	v_and_b32_e32 v25, 7, v80
; %bb.198:                              ;   in Loop: Header=BB326_12 Depth=1
	s_or_b32 exec_lo, exec_lo, s44
	v_lshlrev_b32_sdwa v80, v48, v79 dst_sel:DWORD dst_unused:UNUSED_PAD src0_sel:DWORD src1_sel:WORD_1
	v_lshlrev_b32_e32 v25, 20, v25
	v_lshl_add_u32 v78, v78, 23, 0x3c000000
	v_and_b32_e32 v80, 0x80000000, v80
	v_or3_b32 v78, v25, v80, v78
.LBB326_199:                            ;   in Loop: Header=BB326_12 Depth=1
	s_or_b32 exec_lo, exec_lo, s43
.LBB326_200:                            ;   in Loop: Header=BB326_12 Depth=1
	s_or_b32 exec_lo, exec_lo, s42
.LBB326_201:                            ;   in Loop: Header=BB326_12 Depth=1
	s_or_b32 exec_lo, exec_lo, s4
	s_mov_b32 s4, exec_lo
	v_cmpx_lt_u32_e32 0xffffff, v79
	s_cbranch_execz .LBB326_209
; %bb.202:                              ;   in Loop: Header=BB326_12 Depth=1
	v_cmp_ne_u32_sdwa s2, v79, v44 src0_sel:BYTE_3 src1_sel:DWORD
	v_bfrev_b32_e32 v77, 1
	s_and_saveexec_b32 s42, s2
	s_cbranch_execz .LBB326_208
; %bb.203:                              ;   in Loop: Header=BB326_12 Depth=1
	v_bfe_u32 v80, v79, 24, 7
	v_mov_b32_e32 v77, 0x7f800001
	s_mov_b32 s43, exec_lo
	v_cmpx_ne_u32_e32 0x7f, v80
	s_cbranch_execz .LBB326_207
; %bb.204:                              ;   in Loop: Header=BB326_12 Depth=1
	v_and_b32_sdwa v25, v79, v47 dst_sel:DWORD dst_unused:UNUSED_PAD src0_sel:BYTE_3 src1_sel:DWORD
	v_lshrrev_b32_e32 v77, 3, v80
	s_mov_b32 s44, exec_lo
	v_cmpx_gt_u32_e32 8, v80
; %bb.205:                              ;   in Loop: Header=BB326_12 Depth=1
	v_ffbh_u32_e32 v77, v25
	v_min_u32_e32 v77, 32, v77
	v_subrev_nc_u32_e32 v80, 28, v77
	v_sub_nc_u32_e32 v77, 29, v77
	v_lshlrev_b64 v[80:81], v80, v[25:26]
	v_and_b32_e32 v25, 7, v80
; %bb.206:                              ;   in Loop: Header=BB326_12 Depth=1
	s_or_b32 exec_lo, exec_lo, s44
	v_lshlrev_b32_sdwa v79, v48, v79 dst_sel:DWORD dst_unused:UNUSED_PAD src0_sel:DWORD src1_sel:BYTE_3
	v_lshlrev_b32_e32 v25, 20, v25
	v_lshl_add_u32 v77, v77, 23, 0x3c000000
	v_and_b32_e32 v79, 0x80000000, v79
	v_or3_b32 v77, v25, v79, v77
.LBB326_207:                            ;   in Loop: Header=BB326_12 Depth=1
	s_or_b32 exec_lo, exec_lo, s43
.LBB326_208:                            ;   in Loop: Header=BB326_12 Depth=1
	s_or_b32 exec_lo, exec_lo, s42
.LBB326_209:                            ;   in Loop: Header=BB326_12 Depth=1
	s_or_b32 exec_lo, exec_lo, s4
	global_load_dword v83, v[31:32], off offset:768
	v_mov_b32_e32 v79, 0
	v_mov_b32_e32 v80, 0
	s_waitcnt vmcnt(0)
	v_cmp_ne_u16_sdwa s2, v83, v26 src0_sel:BYTE_0 src1_sel:DWORD
	s_and_saveexec_b32 s4, s2
	s_cbranch_execz .LBB326_217
; %bb.210:                              ;   in Loop: Header=BB326_12 Depth=1
	v_cmp_ne_u16_sdwa s2, v83, v44 src0_sel:BYTE_0 src1_sel:DWORD
	v_bfrev_b32_e32 v80, 1
	s_and_saveexec_b32 s42, s2
	s_cbranch_execz .LBB326_216
; %bb.211:                              ;   in Loop: Header=BB326_12 Depth=1
	v_and_b32_e32 v81, 0x7f, v83
	v_mov_b32_e32 v80, 0x7f800001
	s_mov_b32 s43, exec_lo
	v_cmpx_ne_u32_e32 0x7f, v81
	s_cbranch_execz .LBB326_215
; %bb.212:                              ;   in Loop: Header=BB326_12 Depth=1
	v_and_b32_e32 v25, 7, v83
	v_lshrrev_b32_e32 v80, 3, v81
	s_mov_b32 s44, exec_lo
	v_cmpx_gt_u32_e32 8, v81
; %bb.213:                              ;   in Loop: Header=BB326_12 Depth=1
	v_ffbh_u32_e32 v80, v25
	v_min_u32_e32 v80, 32, v80
	v_subrev_nc_u32_e32 v81, 28, v80
	v_sub_nc_u32_e32 v80, 29, v80
	v_lshlrev_b64 v[81:82], v81, v[25:26]
	v_and_b32_e32 v25, 7, v81
; %bb.214:                              ;   in Loop: Header=BB326_12 Depth=1
	s_or_b32 exec_lo, exec_lo, s44
	v_lshlrev_b32_e32 v81, 24, v83
	v_lshlrev_b32_e32 v25, 20, v25
	v_lshl_add_u32 v80, v80, 23, 0x3c000000
	v_and_b32_e32 v81, 0x80000000, v81
	v_or3_b32 v80, v25, v81, v80
.LBB326_215:                            ;   in Loop: Header=BB326_12 Depth=1
	s_or_b32 exec_lo, exec_lo, s43
.LBB326_216:                            ;   in Loop: Header=BB326_12 Depth=1
	s_or_b32 exec_lo, exec_lo, s42
.LBB326_217:                            ;   in Loop: Header=BB326_12 Depth=1
	s_or_b32 exec_lo, exec_lo, s4
	v_cmp_ne_u16_sdwa s2, v83, v26 src0_sel:BYTE_1 src1_sel:DWORD
	s_and_saveexec_b32 s4, s2
	s_cbranch_execz .LBB326_225
; %bb.218:                              ;   in Loop: Header=BB326_12 Depth=1
	v_cmp_ne_u16_sdwa s2, v83, v44 src0_sel:BYTE_1 src1_sel:DWORD
	v_bfrev_b32_e32 v79, 1
	s_and_saveexec_b32 s42, s2
	s_cbranch_execz .LBB326_224
; %bb.219:                              ;   in Loop: Header=BB326_12 Depth=1
	v_and_b32_sdwa v25, v45, v83 dst_sel:DWORD dst_unused:UNUSED_PAD src0_sel:DWORD src1_sel:BYTE_1
	v_mov_b32_e32 v79, 0x7f800001
	s_mov_b32 s43, exec_lo
	v_and_b32_e32 v81, 0x7f, v25
	v_cmpx_ne_u32_e32 0x7f, v81
	s_cbranch_execz .LBB326_223
; %bb.220:                              ;   in Loop: Header=BB326_12 Depth=1
	v_and_b32_e32 v25, 7, v25
	v_lshrrev_b32_e32 v79, 3, v81
	s_mov_b32 s44, exec_lo
	v_cmpx_gt_u32_e32 8, v81
; %bb.221:                              ;   in Loop: Header=BB326_12 Depth=1
	v_ffbh_u32_e32 v79, v25
	v_min_u32_e32 v79, 32, v79
	v_subrev_nc_u32_e32 v81, 28, v79
	v_sub_nc_u32_e32 v79, 29, v79
	v_lshlrev_b64 v[81:82], v81, v[25:26]
	v_and_b32_e32 v25, 7, v81
; %bb.222:                              ;   in Loop: Header=BB326_12 Depth=1
	s_or_b32 exec_lo, exec_lo, s44
	v_lshlrev_b32_e32 v81, 16, v83
	v_lshlrev_b32_e32 v25, 20, v25
	v_lshl_add_u32 v79, v79, 23, 0x3c000000
	v_and_b32_e32 v81, 0x80000000, v81
	v_or3_b32 v79, v25, v81, v79
.LBB326_223:                            ;   in Loop: Header=BB326_12 Depth=1
	s_or_b32 exec_lo, exec_lo, s43
.LBB326_224:                            ;   in Loop: Header=BB326_12 Depth=1
	s_or_b32 exec_lo, exec_lo, s42
.LBB326_225:                            ;   in Loop: Header=BB326_12 Depth=1
	s_or_b32 exec_lo, exec_lo, s4
	v_and_b32_sdwa v25, v83, v46 dst_sel:DWORD dst_unused:UNUSED_PAD src0_sel:WORD_1 src1_sel:DWORD
	v_mov_b32_e32 v81, 0
	v_mov_b32_e32 v82, 0
	s_mov_b32 s4, exec_lo
	v_cmpx_ne_u16_e32 0, v25
	s_cbranch_execz .LBB326_233
; %bb.226:                              ;   in Loop: Header=BB326_12 Depth=1
	v_bfrev_b32_e32 v82, 1
	s_mov_b32 s42, exec_lo
	v_cmpx_ne_u16_e32 0x80, v25
	s_cbranch_execz .LBB326_232
; %bb.227:                              ;   in Loop: Header=BB326_12 Depth=1
	v_bfe_u32 v84, v83, 16, 7
	v_mov_b32_e32 v82, 0x7f800001
	s_mov_b32 s43, exec_lo
	v_cmpx_ne_u32_e32 0x7f, v84
	s_cbranch_execz .LBB326_231
; %bb.228:                              ;   in Loop: Header=BB326_12 Depth=1
	v_and_b32_sdwa v25, v83, v47 dst_sel:DWORD dst_unused:UNUSED_PAD src0_sel:WORD_1 src1_sel:DWORD
	v_lshrrev_b32_e32 v82, 3, v84
	s_mov_b32 s44, exec_lo
	v_cmpx_gt_u32_e32 8, v84
; %bb.229:                              ;   in Loop: Header=BB326_12 Depth=1
	v_ffbh_u32_e32 v82, v25
	v_min_u32_e32 v82, 32, v82
	v_subrev_nc_u32_e32 v84, 28, v82
	v_sub_nc_u32_e32 v82, 29, v82
	v_lshlrev_b64 v[84:85], v84, v[25:26]
	v_and_b32_e32 v25, 7, v84
; %bb.230:                              ;   in Loop: Header=BB326_12 Depth=1
	s_or_b32 exec_lo, exec_lo, s44
	v_lshlrev_b32_sdwa v84, v48, v83 dst_sel:DWORD dst_unused:UNUSED_PAD src0_sel:DWORD src1_sel:WORD_1
	v_lshlrev_b32_e32 v25, 20, v25
	v_lshl_add_u32 v82, v82, 23, 0x3c000000
	v_and_b32_e32 v84, 0x80000000, v84
	v_or3_b32 v82, v25, v84, v82
.LBB326_231:                            ;   in Loop: Header=BB326_12 Depth=1
	s_or_b32 exec_lo, exec_lo, s43
.LBB326_232:                            ;   in Loop: Header=BB326_12 Depth=1
	s_or_b32 exec_lo, exec_lo, s42
.LBB326_233:                            ;   in Loop: Header=BB326_12 Depth=1
	s_or_b32 exec_lo, exec_lo, s4
	s_mov_b32 s4, exec_lo
	v_cmpx_lt_u32_e32 0xffffff, v83
	s_cbranch_execz .LBB326_241
; %bb.234:                              ;   in Loop: Header=BB326_12 Depth=1
	v_cmp_ne_u32_sdwa s2, v83, v44 src0_sel:BYTE_3 src1_sel:DWORD
	v_bfrev_b32_e32 v81, 1
	s_and_saveexec_b32 s42, s2
	s_cbranch_execz .LBB326_240
; %bb.235:                              ;   in Loop: Header=BB326_12 Depth=1
	v_bfe_u32 v84, v83, 24, 7
	v_mov_b32_e32 v81, 0x7f800001
	s_mov_b32 s43, exec_lo
	v_cmpx_ne_u32_e32 0x7f, v84
	s_cbranch_execz .LBB326_239
; %bb.236:                              ;   in Loop: Header=BB326_12 Depth=1
	v_and_b32_sdwa v25, v83, v47 dst_sel:DWORD dst_unused:UNUSED_PAD src0_sel:BYTE_3 src1_sel:DWORD
	v_lshrrev_b32_e32 v81, 3, v84
	s_mov_b32 s44, exec_lo
	v_cmpx_gt_u32_e32 8, v84
; %bb.237:                              ;   in Loop: Header=BB326_12 Depth=1
	v_ffbh_u32_e32 v81, v25
	v_min_u32_e32 v81, 32, v81
	v_subrev_nc_u32_e32 v84, 28, v81
	v_sub_nc_u32_e32 v81, 29, v81
	v_lshlrev_b64 v[84:85], v84, v[25:26]
	v_and_b32_e32 v25, 7, v84
; %bb.238:                              ;   in Loop: Header=BB326_12 Depth=1
	s_or_b32 exec_lo, exec_lo, s44
	v_lshlrev_b32_sdwa v83, v48, v83 dst_sel:DWORD dst_unused:UNUSED_PAD src0_sel:DWORD src1_sel:BYTE_3
	v_lshlrev_b32_e32 v25, 20, v25
	v_lshl_add_u32 v81, v81, 23, 0x3c000000
	v_and_b32_e32 v83, 0x80000000, v83
	v_or3_b32 v81, v25, v83, v81
.LBB326_239:                            ;   in Loop: Header=BB326_12 Depth=1
	s_or_b32 exec_lo, exec_lo, s43
.LBB326_240:                            ;   in Loop: Header=BB326_12 Depth=1
	s_or_b32 exec_lo, exec_lo, s42
.LBB326_241:                            ;   in Loop: Header=BB326_12 Depth=1
	s_or_b32 exec_lo, exec_lo, s4
	global_load_dword v87, v[31:32], off offset:776
	v_mov_b32_e32 v83, 0
	v_mov_b32_e32 v84, 0
	s_waitcnt vmcnt(0)
	v_cmp_ne_u16_sdwa s2, v87, v26 src0_sel:BYTE_0 src1_sel:DWORD
	s_and_saveexec_b32 s4, s2
	s_cbranch_execz .LBB326_249
; %bb.242:                              ;   in Loop: Header=BB326_12 Depth=1
	v_cmp_ne_u16_sdwa s2, v87, v44 src0_sel:BYTE_0 src1_sel:DWORD
	v_bfrev_b32_e32 v84, 1
	s_and_saveexec_b32 s42, s2
	s_cbranch_execz .LBB326_248
; %bb.243:                              ;   in Loop: Header=BB326_12 Depth=1
	v_and_b32_e32 v85, 0x7f, v87
	v_mov_b32_e32 v84, 0x7f800001
	s_mov_b32 s43, exec_lo
	v_cmpx_ne_u32_e32 0x7f, v85
	s_cbranch_execz .LBB326_247
; %bb.244:                              ;   in Loop: Header=BB326_12 Depth=1
	v_and_b32_e32 v25, 7, v87
	v_lshrrev_b32_e32 v84, 3, v85
	s_mov_b32 s44, exec_lo
	v_cmpx_gt_u32_e32 8, v85
; %bb.245:                              ;   in Loop: Header=BB326_12 Depth=1
	v_ffbh_u32_e32 v84, v25
	v_min_u32_e32 v84, 32, v84
	v_subrev_nc_u32_e32 v85, 28, v84
	v_sub_nc_u32_e32 v84, 29, v84
	v_lshlrev_b64 v[85:86], v85, v[25:26]
	v_and_b32_e32 v25, 7, v85
; %bb.246:                              ;   in Loop: Header=BB326_12 Depth=1
	s_or_b32 exec_lo, exec_lo, s44
	v_lshlrev_b32_e32 v85, 24, v87
	v_lshlrev_b32_e32 v25, 20, v25
	v_lshl_add_u32 v84, v84, 23, 0x3c000000
	v_and_b32_e32 v85, 0x80000000, v85
	v_or3_b32 v84, v25, v85, v84
.LBB326_247:                            ;   in Loop: Header=BB326_12 Depth=1
	s_or_b32 exec_lo, exec_lo, s43
.LBB326_248:                            ;   in Loop: Header=BB326_12 Depth=1
	s_or_b32 exec_lo, exec_lo, s42
.LBB326_249:                            ;   in Loop: Header=BB326_12 Depth=1
	s_or_b32 exec_lo, exec_lo, s4
	v_cmp_ne_u16_sdwa s2, v87, v26 src0_sel:BYTE_1 src1_sel:DWORD
	s_and_saveexec_b32 s4, s2
	s_cbranch_execz .LBB326_257
; %bb.250:                              ;   in Loop: Header=BB326_12 Depth=1
	v_cmp_ne_u16_sdwa s2, v87, v44 src0_sel:BYTE_1 src1_sel:DWORD
	v_bfrev_b32_e32 v83, 1
	s_and_saveexec_b32 s42, s2
	s_cbranch_execz .LBB326_256
; %bb.251:                              ;   in Loop: Header=BB326_12 Depth=1
	v_and_b32_sdwa v25, v45, v87 dst_sel:DWORD dst_unused:UNUSED_PAD src0_sel:DWORD src1_sel:BYTE_1
	v_mov_b32_e32 v83, 0x7f800001
	s_mov_b32 s43, exec_lo
	v_and_b32_e32 v85, 0x7f, v25
	v_cmpx_ne_u32_e32 0x7f, v85
	s_cbranch_execz .LBB326_255
; %bb.252:                              ;   in Loop: Header=BB326_12 Depth=1
	v_and_b32_e32 v25, 7, v25
	v_lshrrev_b32_e32 v83, 3, v85
	s_mov_b32 s44, exec_lo
	v_cmpx_gt_u32_e32 8, v85
; %bb.253:                              ;   in Loop: Header=BB326_12 Depth=1
	v_ffbh_u32_e32 v83, v25
	v_min_u32_e32 v83, 32, v83
	v_subrev_nc_u32_e32 v85, 28, v83
	v_sub_nc_u32_e32 v83, 29, v83
	v_lshlrev_b64 v[85:86], v85, v[25:26]
	v_and_b32_e32 v25, 7, v85
; %bb.254:                              ;   in Loop: Header=BB326_12 Depth=1
	s_or_b32 exec_lo, exec_lo, s44
	v_lshlrev_b32_e32 v85, 16, v87
	v_lshlrev_b32_e32 v25, 20, v25
	v_lshl_add_u32 v83, v83, 23, 0x3c000000
	v_and_b32_e32 v85, 0x80000000, v85
	v_or3_b32 v83, v25, v85, v83
.LBB326_255:                            ;   in Loop: Header=BB326_12 Depth=1
	s_or_b32 exec_lo, exec_lo, s43
.LBB326_256:                            ;   in Loop: Header=BB326_12 Depth=1
	s_or_b32 exec_lo, exec_lo, s42
.LBB326_257:                            ;   in Loop: Header=BB326_12 Depth=1
	s_or_b32 exec_lo, exec_lo, s4
	v_and_b32_sdwa v25, v87, v46 dst_sel:DWORD dst_unused:UNUSED_PAD src0_sel:WORD_1 src1_sel:DWORD
	v_mov_b32_e32 v85, 0
	v_mov_b32_e32 v86, 0
	s_mov_b32 s4, exec_lo
	v_cmpx_ne_u16_e32 0, v25
	s_cbranch_execz .LBB326_265
; %bb.258:                              ;   in Loop: Header=BB326_12 Depth=1
	v_bfrev_b32_e32 v86, 1
	s_mov_b32 s42, exec_lo
	v_cmpx_ne_u16_e32 0x80, v25
	s_cbranch_execz .LBB326_264
; %bb.259:                              ;   in Loop: Header=BB326_12 Depth=1
	v_bfe_u32 v88, v87, 16, 7
	v_mov_b32_e32 v86, 0x7f800001
	s_mov_b32 s43, exec_lo
	v_cmpx_ne_u32_e32 0x7f, v88
	s_cbranch_execz .LBB326_263
; %bb.260:                              ;   in Loop: Header=BB326_12 Depth=1
	v_and_b32_sdwa v25, v87, v47 dst_sel:DWORD dst_unused:UNUSED_PAD src0_sel:WORD_1 src1_sel:DWORD
	v_lshrrev_b32_e32 v86, 3, v88
	s_mov_b32 s44, exec_lo
	v_cmpx_gt_u32_e32 8, v88
; %bb.261:                              ;   in Loop: Header=BB326_12 Depth=1
	v_ffbh_u32_e32 v86, v25
	v_min_u32_e32 v86, 32, v86
	v_subrev_nc_u32_e32 v88, 28, v86
	v_sub_nc_u32_e32 v86, 29, v86
	v_lshlrev_b64 v[88:89], v88, v[25:26]
	v_and_b32_e32 v25, 7, v88
; %bb.262:                              ;   in Loop: Header=BB326_12 Depth=1
	s_or_b32 exec_lo, exec_lo, s44
	v_lshlrev_b32_sdwa v88, v48, v87 dst_sel:DWORD dst_unused:UNUSED_PAD src0_sel:DWORD src1_sel:WORD_1
	v_lshlrev_b32_e32 v25, 20, v25
	v_lshl_add_u32 v86, v86, 23, 0x3c000000
	v_and_b32_e32 v88, 0x80000000, v88
	v_or3_b32 v86, v25, v88, v86
.LBB326_263:                            ;   in Loop: Header=BB326_12 Depth=1
	s_or_b32 exec_lo, exec_lo, s43
.LBB326_264:                            ;   in Loop: Header=BB326_12 Depth=1
	s_or_b32 exec_lo, exec_lo, s42
.LBB326_265:                            ;   in Loop: Header=BB326_12 Depth=1
	s_or_b32 exec_lo, exec_lo, s4
	s_mov_b32 s4, exec_lo
	v_cmpx_lt_u32_e32 0xffffff, v87
	s_cbranch_execz .LBB326_273
; %bb.266:                              ;   in Loop: Header=BB326_12 Depth=1
	v_cmp_ne_u32_sdwa s2, v87, v44 src0_sel:BYTE_3 src1_sel:DWORD
	v_bfrev_b32_e32 v85, 1
	s_and_saveexec_b32 s42, s2
	s_cbranch_execz .LBB326_272
; %bb.267:                              ;   in Loop: Header=BB326_12 Depth=1
	v_bfe_u32 v88, v87, 24, 7
	v_mov_b32_e32 v85, 0x7f800001
	s_mov_b32 s43, exec_lo
	v_cmpx_ne_u32_e32 0x7f, v88
	s_cbranch_execz .LBB326_271
; %bb.268:                              ;   in Loop: Header=BB326_12 Depth=1
	v_and_b32_sdwa v25, v87, v47 dst_sel:DWORD dst_unused:UNUSED_PAD src0_sel:BYTE_3 src1_sel:DWORD
	v_lshrrev_b32_e32 v85, 3, v88
	s_mov_b32 s44, exec_lo
	v_cmpx_gt_u32_e32 8, v88
; %bb.269:                              ;   in Loop: Header=BB326_12 Depth=1
	v_ffbh_u32_e32 v85, v25
	v_min_u32_e32 v85, 32, v85
	v_subrev_nc_u32_e32 v88, 28, v85
	v_sub_nc_u32_e32 v85, 29, v85
	v_lshlrev_b64 v[88:89], v88, v[25:26]
	v_and_b32_e32 v25, 7, v88
; %bb.270:                              ;   in Loop: Header=BB326_12 Depth=1
	s_or_b32 exec_lo, exec_lo, s44
	v_lshlrev_b32_sdwa v87, v48, v87 dst_sel:DWORD dst_unused:UNUSED_PAD src0_sel:DWORD src1_sel:BYTE_3
	v_lshlrev_b32_e32 v25, 20, v25
	v_lshl_add_u32 v85, v85, 23, 0x3c000000
	v_and_b32_e32 v87, 0x80000000, v87
	v_or3_b32 v85, v25, v87, v85
.LBB326_271:                            ;   in Loop: Header=BB326_12 Depth=1
	s_or_b32 exec_lo, exec_lo, s43
.LBB326_272:                            ;   in Loop: Header=BB326_12 Depth=1
	s_or_b32 exec_lo, exec_lo, s42
.LBB326_273:                            ;   in Loop: Header=BB326_12 Depth=1
	s_or_b32 exec_lo, exec_lo, s4
	global_load_dword v91, v[31:32], off offset:1024
	v_mov_b32_e32 v87, 0
	v_mov_b32_e32 v88, 0
	s_waitcnt vmcnt(0)
	v_cmp_ne_u16_sdwa s2, v91, v26 src0_sel:BYTE_0 src1_sel:DWORD
	s_and_saveexec_b32 s4, s2
	s_cbranch_execz .LBB326_281
; %bb.274:                              ;   in Loop: Header=BB326_12 Depth=1
	v_cmp_ne_u16_sdwa s2, v91, v44 src0_sel:BYTE_0 src1_sel:DWORD
	v_bfrev_b32_e32 v88, 1
	s_and_saveexec_b32 s42, s2
	s_cbranch_execz .LBB326_280
; %bb.275:                              ;   in Loop: Header=BB326_12 Depth=1
	v_and_b32_e32 v89, 0x7f, v91
	v_mov_b32_e32 v88, 0x7f800001
	s_mov_b32 s43, exec_lo
	v_cmpx_ne_u32_e32 0x7f, v89
	s_cbranch_execz .LBB326_279
; %bb.276:                              ;   in Loop: Header=BB326_12 Depth=1
	v_and_b32_e32 v25, 7, v91
	v_lshrrev_b32_e32 v88, 3, v89
	s_mov_b32 s44, exec_lo
	v_cmpx_gt_u32_e32 8, v89
; %bb.277:                              ;   in Loop: Header=BB326_12 Depth=1
	v_ffbh_u32_e32 v88, v25
	v_min_u32_e32 v88, 32, v88
	v_subrev_nc_u32_e32 v89, 28, v88
	v_sub_nc_u32_e32 v88, 29, v88
	v_lshlrev_b64 v[89:90], v89, v[25:26]
	v_and_b32_e32 v25, 7, v89
; %bb.278:                              ;   in Loop: Header=BB326_12 Depth=1
	s_or_b32 exec_lo, exec_lo, s44
	v_lshlrev_b32_e32 v89, 24, v91
	v_lshlrev_b32_e32 v25, 20, v25
	v_lshl_add_u32 v88, v88, 23, 0x3c000000
	v_and_b32_e32 v89, 0x80000000, v89
	v_or3_b32 v88, v25, v89, v88
.LBB326_279:                            ;   in Loop: Header=BB326_12 Depth=1
	s_or_b32 exec_lo, exec_lo, s43
.LBB326_280:                            ;   in Loop: Header=BB326_12 Depth=1
	s_or_b32 exec_lo, exec_lo, s42
.LBB326_281:                            ;   in Loop: Header=BB326_12 Depth=1
	s_or_b32 exec_lo, exec_lo, s4
	v_cmp_ne_u16_sdwa s2, v91, v26 src0_sel:BYTE_1 src1_sel:DWORD
	s_and_saveexec_b32 s4, s2
	s_cbranch_execz .LBB326_289
; %bb.282:                              ;   in Loop: Header=BB326_12 Depth=1
	v_cmp_ne_u16_sdwa s2, v91, v44 src0_sel:BYTE_1 src1_sel:DWORD
	v_bfrev_b32_e32 v87, 1
	s_and_saveexec_b32 s42, s2
	s_cbranch_execz .LBB326_288
; %bb.283:                              ;   in Loop: Header=BB326_12 Depth=1
	v_and_b32_sdwa v25, v45, v91 dst_sel:DWORD dst_unused:UNUSED_PAD src0_sel:DWORD src1_sel:BYTE_1
	v_mov_b32_e32 v87, 0x7f800001
	s_mov_b32 s43, exec_lo
	v_and_b32_e32 v89, 0x7f, v25
	v_cmpx_ne_u32_e32 0x7f, v89
	s_cbranch_execz .LBB326_287
; %bb.284:                              ;   in Loop: Header=BB326_12 Depth=1
	v_and_b32_e32 v25, 7, v25
	v_lshrrev_b32_e32 v87, 3, v89
	s_mov_b32 s44, exec_lo
	v_cmpx_gt_u32_e32 8, v89
; %bb.285:                              ;   in Loop: Header=BB326_12 Depth=1
	v_ffbh_u32_e32 v87, v25
	v_min_u32_e32 v87, 32, v87
	v_subrev_nc_u32_e32 v89, 28, v87
	v_sub_nc_u32_e32 v87, 29, v87
	v_lshlrev_b64 v[89:90], v89, v[25:26]
	v_and_b32_e32 v25, 7, v89
; %bb.286:                              ;   in Loop: Header=BB326_12 Depth=1
	s_or_b32 exec_lo, exec_lo, s44
	v_lshlrev_b32_e32 v89, 16, v91
	v_lshlrev_b32_e32 v25, 20, v25
	v_lshl_add_u32 v87, v87, 23, 0x3c000000
	v_and_b32_e32 v89, 0x80000000, v89
	v_or3_b32 v87, v25, v89, v87
.LBB326_287:                            ;   in Loop: Header=BB326_12 Depth=1
	s_or_b32 exec_lo, exec_lo, s43
.LBB326_288:                            ;   in Loop: Header=BB326_12 Depth=1
	s_or_b32 exec_lo, exec_lo, s42
.LBB326_289:                            ;   in Loop: Header=BB326_12 Depth=1
	s_or_b32 exec_lo, exec_lo, s4
	v_and_b32_sdwa v25, v91, v46 dst_sel:DWORD dst_unused:UNUSED_PAD src0_sel:WORD_1 src1_sel:DWORD
	v_mov_b32_e32 v89, 0
	v_mov_b32_e32 v90, 0
	s_mov_b32 s4, exec_lo
	v_cmpx_ne_u16_e32 0, v25
	s_cbranch_execz .LBB326_297
; %bb.290:                              ;   in Loop: Header=BB326_12 Depth=1
	v_bfrev_b32_e32 v90, 1
	s_mov_b32 s42, exec_lo
	v_cmpx_ne_u16_e32 0x80, v25
	s_cbranch_execz .LBB326_296
; %bb.291:                              ;   in Loop: Header=BB326_12 Depth=1
	v_bfe_u32 v92, v91, 16, 7
	v_mov_b32_e32 v90, 0x7f800001
	s_mov_b32 s43, exec_lo
	v_cmpx_ne_u32_e32 0x7f, v92
	s_cbranch_execz .LBB326_295
; %bb.292:                              ;   in Loop: Header=BB326_12 Depth=1
	v_and_b32_sdwa v25, v91, v47 dst_sel:DWORD dst_unused:UNUSED_PAD src0_sel:WORD_1 src1_sel:DWORD
	v_lshrrev_b32_e32 v90, 3, v92
	s_mov_b32 s44, exec_lo
	v_cmpx_gt_u32_e32 8, v92
; %bb.293:                              ;   in Loop: Header=BB326_12 Depth=1
	v_ffbh_u32_e32 v90, v25
	v_min_u32_e32 v90, 32, v90
	v_subrev_nc_u32_e32 v92, 28, v90
	v_sub_nc_u32_e32 v90, 29, v90
	v_lshlrev_b64 v[92:93], v92, v[25:26]
	v_and_b32_e32 v25, 7, v92
; %bb.294:                              ;   in Loop: Header=BB326_12 Depth=1
	s_or_b32 exec_lo, exec_lo, s44
	v_lshlrev_b32_sdwa v92, v48, v91 dst_sel:DWORD dst_unused:UNUSED_PAD src0_sel:DWORD src1_sel:WORD_1
	v_lshlrev_b32_e32 v25, 20, v25
	v_lshl_add_u32 v90, v90, 23, 0x3c000000
	v_and_b32_e32 v92, 0x80000000, v92
	v_or3_b32 v90, v25, v92, v90
.LBB326_295:                            ;   in Loop: Header=BB326_12 Depth=1
	s_or_b32 exec_lo, exec_lo, s43
.LBB326_296:                            ;   in Loop: Header=BB326_12 Depth=1
	s_or_b32 exec_lo, exec_lo, s42
.LBB326_297:                            ;   in Loop: Header=BB326_12 Depth=1
	s_or_b32 exec_lo, exec_lo, s4
	s_mov_b32 s4, exec_lo
	v_cmpx_lt_u32_e32 0xffffff, v91
	s_cbranch_execz .LBB326_305
; %bb.298:                              ;   in Loop: Header=BB326_12 Depth=1
	v_cmp_ne_u32_sdwa s2, v91, v44 src0_sel:BYTE_3 src1_sel:DWORD
	v_bfrev_b32_e32 v89, 1
	s_and_saveexec_b32 s42, s2
	s_cbranch_execz .LBB326_304
; %bb.299:                              ;   in Loop: Header=BB326_12 Depth=1
	v_bfe_u32 v92, v91, 24, 7
	v_mov_b32_e32 v89, 0x7f800001
	s_mov_b32 s43, exec_lo
	v_cmpx_ne_u32_e32 0x7f, v92
	s_cbranch_execz .LBB326_303
; %bb.300:                              ;   in Loop: Header=BB326_12 Depth=1
	v_and_b32_sdwa v25, v91, v47 dst_sel:DWORD dst_unused:UNUSED_PAD src0_sel:BYTE_3 src1_sel:DWORD
	v_lshrrev_b32_e32 v89, 3, v92
	s_mov_b32 s44, exec_lo
	v_cmpx_gt_u32_e32 8, v92
; %bb.301:                              ;   in Loop: Header=BB326_12 Depth=1
	v_ffbh_u32_e32 v89, v25
	v_min_u32_e32 v89, 32, v89
	v_subrev_nc_u32_e32 v92, 28, v89
	v_sub_nc_u32_e32 v89, 29, v89
	v_lshlrev_b64 v[92:93], v92, v[25:26]
	v_and_b32_e32 v25, 7, v92
; %bb.302:                              ;   in Loop: Header=BB326_12 Depth=1
	s_or_b32 exec_lo, exec_lo, s44
	v_lshlrev_b32_sdwa v91, v48, v91 dst_sel:DWORD dst_unused:UNUSED_PAD src0_sel:DWORD src1_sel:BYTE_3
	v_lshlrev_b32_e32 v25, 20, v25
	v_lshl_add_u32 v89, v89, 23, 0x3c000000
	v_and_b32_e32 v91, 0x80000000, v91
	v_or3_b32 v89, v25, v91, v89
.LBB326_303:                            ;   in Loop: Header=BB326_12 Depth=1
	s_or_b32 exec_lo, exec_lo, s43
.LBB326_304:                            ;   in Loop: Header=BB326_12 Depth=1
	s_or_b32 exec_lo, exec_lo, s42
.LBB326_305:                            ;   in Loop: Header=BB326_12 Depth=1
	s_or_b32 exec_lo, exec_lo, s4
	global_load_dword v95, v[31:32], off offset:1032
	v_mov_b32_e32 v91, 0
	v_mov_b32_e32 v92, 0
	s_waitcnt vmcnt(0)
	v_cmp_ne_u16_sdwa s2, v95, v26 src0_sel:BYTE_0 src1_sel:DWORD
	s_and_saveexec_b32 s4, s2
	s_cbranch_execz .LBB326_313
; %bb.306:                              ;   in Loop: Header=BB326_12 Depth=1
	v_cmp_ne_u16_sdwa s2, v95, v44 src0_sel:BYTE_0 src1_sel:DWORD
	v_bfrev_b32_e32 v92, 1
	s_and_saveexec_b32 s42, s2
	s_cbranch_execz .LBB326_312
; %bb.307:                              ;   in Loop: Header=BB326_12 Depth=1
	v_and_b32_e32 v93, 0x7f, v95
	v_mov_b32_e32 v92, 0x7f800001
	s_mov_b32 s43, exec_lo
	v_cmpx_ne_u32_e32 0x7f, v93
	s_cbranch_execz .LBB326_311
; %bb.308:                              ;   in Loop: Header=BB326_12 Depth=1
	v_and_b32_e32 v25, 7, v95
	v_lshrrev_b32_e32 v92, 3, v93
	s_mov_b32 s44, exec_lo
	v_cmpx_gt_u32_e32 8, v93
; %bb.309:                              ;   in Loop: Header=BB326_12 Depth=1
	v_ffbh_u32_e32 v92, v25
	v_min_u32_e32 v92, 32, v92
	v_subrev_nc_u32_e32 v93, 28, v92
	v_sub_nc_u32_e32 v92, 29, v92
	v_lshlrev_b64 v[93:94], v93, v[25:26]
	v_and_b32_e32 v25, 7, v93
; %bb.310:                              ;   in Loop: Header=BB326_12 Depth=1
	s_or_b32 exec_lo, exec_lo, s44
	v_lshlrev_b32_e32 v93, 24, v95
	v_lshlrev_b32_e32 v25, 20, v25
	v_lshl_add_u32 v92, v92, 23, 0x3c000000
	v_and_b32_e32 v93, 0x80000000, v93
	v_or3_b32 v92, v25, v93, v92
.LBB326_311:                            ;   in Loop: Header=BB326_12 Depth=1
	s_or_b32 exec_lo, exec_lo, s43
.LBB326_312:                            ;   in Loop: Header=BB326_12 Depth=1
	s_or_b32 exec_lo, exec_lo, s42
.LBB326_313:                            ;   in Loop: Header=BB326_12 Depth=1
	s_or_b32 exec_lo, exec_lo, s4
	v_cmp_ne_u16_sdwa s2, v95, v26 src0_sel:BYTE_1 src1_sel:DWORD
	s_and_saveexec_b32 s4, s2
	s_cbranch_execz .LBB326_321
; %bb.314:                              ;   in Loop: Header=BB326_12 Depth=1
	v_cmp_ne_u16_sdwa s2, v95, v44 src0_sel:BYTE_1 src1_sel:DWORD
	v_bfrev_b32_e32 v91, 1
	s_and_saveexec_b32 s42, s2
	s_cbranch_execz .LBB326_320
; %bb.315:                              ;   in Loop: Header=BB326_12 Depth=1
	v_and_b32_sdwa v25, v45, v95 dst_sel:DWORD dst_unused:UNUSED_PAD src0_sel:DWORD src1_sel:BYTE_1
	v_mov_b32_e32 v91, 0x7f800001
	s_mov_b32 s43, exec_lo
	v_and_b32_e32 v93, 0x7f, v25
	v_cmpx_ne_u32_e32 0x7f, v93
	s_cbranch_execz .LBB326_319
; %bb.316:                              ;   in Loop: Header=BB326_12 Depth=1
	v_and_b32_e32 v25, 7, v25
	v_lshrrev_b32_e32 v91, 3, v93
	s_mov_b32 s44, exec_lo
	v_cmpx_gt_u32_e32 8, v93
; %bb.317:                              ;   in Loop: Header=BB326_12 Depth=1
	v_ffbh_u32_e32 v91, v25
	v_min_u32_e32 v91, 32, v91
	v_subrev_nc_u32_e32 v93, 28, v91
	v_sub_nc_u32_e32 v91, 29, v91
	v_lshlrev_b64 v[93:94], v93, v[25:26]
	v_and_b32_e32 v25, 7, v93
; %bb.318:                              ;   in Loop: Header=BB326_12 Depth=1
	s_or_b32 exec_lo, exec_lo, s44
	v_lshlrev_b32_e32 v93, 16, v95
	v_lshlrev_b32_e32 v25, 20, v25
	v_lshl_add_u32 v91, v91, 23, 0x3c000000
	v_and_b32_e32 v93, 0x80000000, v93
	v_or3_b32 v91, v25, v93, v91
.LBB326_319:                            ;   in Loop: Header=BB326_12 Depth=1
	s_or_b32 exec_lo, exec_lo, s43
.LBB326_320:                            ;   in Loop: Header=BB326_12 Depth=1
	s_or_b32 exec_lo, exec_lo, s42
.LBB326_321:                            ;   in Loop: Header=BB326_12 Depth=1
	s_or_b32 exec_lo, exec_lo, s4
	v_and_b32_sdwa v25, v95, v46 dst_sel:DWORD dst_unused:UNUSED_PAD src0_sel:WORD_1 src1_sel:DWORD
	v_mov_b32_e32 v93, 0
	v_mov_b32_e32 v94, 0
	s_mov_b32 s4, exec_lo
	v_cmpx_ne_u16_e32 0, v25
	s_cbranch_execz .LBB326_329
; %bb.322:                              ;   in Loop: Header=BB326_12 Depth=1
	v_bfrev_b32_e32 v94, 1
	s_mov_b32 s42, exec_lo
	v_cmpx_ne_u16_e32 0x80, v25
	s_cbranch_execz .LBB326_328
; %bb.323:                              ;   in Loop: Header=BB326_12 Depth=1
	v_bfe_u32 v96, v95, 16, 7
	v_mov_b32_e32 v94, 0x7f800001
	s_mov_b32 s43, exec_lo
	v_cmpx_ne_u32_e32 0x7f, v96
	s_cbranch_execz .LBB326_327
; %bb.324:                              ;   in Loop: Header=BB326_12 Depth=1
	v_and_b32_sdwa v25, v95, v47 dst_sel:DWORD dst_unused:UNUSED_PAD src0_sel:WORD_1 src1_sel:DWORD
	v_lshrrev_b32_e32 v94, 3, v96
	s_mov_b32 s44, exec_lo
	v_cmpx_gt_u32_e32 8, v96
; %bb.325:                              ;   in Loop: Header=BB326_12 Depth=1
	v_ffbh_u32_e32 v94, v25
	v_min_u32_e32 v94, 32, v94
	v_subrev_nc_u32_e32 v96, 28, v94
	v_sub_nc_u32_e32 v94, 29, v94
	v_lshlrev_b64 v[96:97], v96, v[25:26]
	v_and_b32_e32 v25, 7, v96
; %bb.326:                              ;   in Loop: Header=BB326_12 Depth=1
	s_or_b32 exec_lo, exec_lo, s44
	v_lshlrev_b32_sdwa v96, v48, v95 dst_sel:DWORD dst_unused:UNUSED_PAD src0_sel:DWORD src1_sel:WORD_1
	v_lshlrev_b32_e32 v25, 20, v25
	v_lshl_add_u32 v94, v94, 23, 0x3c000000
	v_and_b32_e32 v96, 0x80000000, v96
	v_or3_b32 v94, v25, v96, v94
.LBB326_327:                            ;   in Loop: Header=BB326_12 Depth=1
	s_or_b32 exec_lo, exec_lo, s43
.LBB326_328:                            ;   in Loop: Header=BB326_12 Depth=1
	s_or_b32 exec_lo, exec_lo, s42
.LBB326_329:                            ;   in Loop: Header=BB326_12 Depth=1
	s_or_b32 exec_lo, exec_lo, s4
	s_mov_b32 s4, exec_lo
	v_cmpx_lt_u32_e32 0xffffff, v95
	s_cbranch_execz .LBB326_337
; %bb.330:                              ;   in Loop: Header=BB326_12 Depth=1
	v_cmp_ne_u32_sdwa s2, v95, v44 src0_sel:BYTE_3 src1_sel:DWORD
	v_bfrev_b32_e32 v93, 1
	s_and_saveexec_b32 s42, s2
	s_cbranch_execz .LBB326_336
; %bb.331:                              ;   in Loop: Header=BB326_12 Depth=1
	v_bfe_u32 v96, v95, 24, 7
	v_mov_b32_e32 v93, 0x7f800001
	s_mov_b32 s43, exec_lo
	v_cmpx_ne_u32_e32 0x7f, v96
	s_cbranch_execz .LBB326_335
; %bb.332:                              ;   in Loop: Header=BB326_12 Depth=1
	v_and_b32_sdwa v25, v95, v47 dst_sel:DWORD dst_unused:UNUSED_PAD src0_sel:BYTE_3 src1_sel:DWORD
	v_lshrrev_b32_e32 v93, 3, v96
	s_mov_b32 s44, exec_lo
	v_cmpx_gt_u32_e32 8, v96
; %bb.333:                              ;   in Loop: Header=BB326_12 Depth=1
	v_ffbh_u32_e32 v93, v25
	v_min_u32_e32 v93, 32, v93
	v_subrev_nc_u32_e32 v96, 28, v93
	v_sub_nc_u32_e32 v93, 29, v93
	v_lshlrev_b64 v[96:97], v96, v[25:26]
	v_and_b32_e32 v25, 7, v96
; %bb.334:                              ;   in Loop: Header=BB326_12 Depth=1
	s_or_b32 exec_lo, exec_lo, s44
	v_lshlrev_b32_sdwa v95, v48, v95 dst_sel:DWORD dst_unused:UNUSED_PAD src0_sel:DWORD src1_sel:BYTE_3
	v_lshlrev_b32_e32 v25, 20, v25
	v_lshl_add_u32 v93, v93, 23, 0x3c000000
	v_and_b32_e32 v95, 0x80000000, v95
	v_or3_b32 v93, v25, v95, v93
.LBB326_335:                            ;   in Loop: Header=BB326_12 Depth=1
	s_or_b32 exec_lo, exec_lo, s43
.LBB326_336:                            ;   in Loop: Header=BB326_12 Depth=1
	s_or_b32 exec_lo, exec_lo, s42
.LBB326_337:                            ;   in Loop: Header=BB326_12 Depth=1
	s_or_b32 exec_lo, exec_lo, s4
	global_load_dword v99, v[31:32], off offset:1280
	v_mov_b32_e32 v95, 0
	v_mov_b32_e32 v96, 0
	s_waitcnt vmcnt(0)
	v_cmp_ne_u16_sdwa s2, v99, v26 src0_sel:BYTE_0 src1_sel:DWORD
	s_and_saveexec_b32 s4, s2
	s_cbranch_execz .LBB326_345
; %bb.338:                              ;   in Loop: Header=BB326_12 Depth=1
	v_cmp_ne_u16_sdwa s2, v99, v44 src0_sel:BYTE_0 src1_sel:DWORD
	v_bfrev_b32_e32 v96, 1
	s_and_saveexec_b32 s42, s2
	s_cbranch_execz .LBB326_344
; %bb.339:                              ;   in Loop: Header=BB326_12 Depth=1
	v_and_b32_e32 v97, 0x7f, v99
	v_mov_b32_e32 v96, 0x7f800001
	s_mov_b32 s43, exec_lo
	v_cmpx_ne_u32_e32 0x7f, v97
	s_cbranch_execz .LBB326_343
; %bb.340:                              ;   in Loop: Header=BB326_12 Depth=1
	v_and_b32_e32 v25, 7, v99
	v_lshrrev_b32_e32 v96, 3, v97
	s_mov_b32 s44, exec_lo
	v_cmpx_gt_u32_e32 8, v97
; %bb.341:                              ;   in Loop: Header=BB326_12 Depth=1
	v_ffbh_u32_e32 v96, v25
	v_min_u32_e32 v96, 32, v96
	v_subrev_nc_u32_e32 v97, 28, v96
	v_sub_nc_u32_e32 v96, 29, v96
	v_lshlrev_b64 v[97:98], v97, v[25:26]
	v_and_b32_e32 v25, 7, v97
; %bb.342:                              ;   in Loop: Header=BB326_12 Depth=1
	s_or_b32 exec_lo, exec_lo, s44
	v_lshlrev_b32_e32 v97, 24, v99
	v_lshlrev_b32_e32 v25, 20, v25
	v_lshl_add_u32 v96, v96, 23, 0x3c000000
	v_and_b32_e32 v97, 0x80000000, v97
	v_or3_b32 v96, v25, v97, v96
.LBB326_343:                            ;   in Loop: Header=BB326_12 Depth=1
	s_or_b32 exec_lo, exec_lo, s43
.LBB326_344:                            ;   in Loop: Header=BB326_12 Depth=1
	s_or_b32 exec_lo, exec_lo, s42
.LBB326_345:                            ;   in Loop: Header=BB326_12 Depth=1
	s_or_b32 exec_lo, exec_lo, s4
	v_cmp_ne_u16_sdwa s2, v99, v26 src0_sel:BYTE_1 src1_sel:DWORD
	s_and_saveexec_b32 s4, s2
	s_cbranch_execz .LBB326_353
; %bb.346:                              ;   in Loop: Header=BB326_12 Depth=1
	v_cmp_ne_u16_sdwa s2, v99, v44 src0_sel:BYTE_1 src1_sel:DWORD
	v_bfrev_b32_e32 v95, 1
	s_and_saveexec_b32 s42, s2
	s_cbranch_execz .LBB326_352
; %bb.347:                              ;   in Loop: Header=BB326_12 Depth=1
	v_and_b32_sdwa v25, v45, v99 dst_sel:DWORD dst_unused:UNUSED_PAD src0_sel:DWORD src1_sel:BYTE_1
	v_mov_b32_e32 v95, 0x7f800001
	s_mov_b32 s43, exec_lo
	v_and_b32_e32 v97, 0x7f, v25
	v_cmpx_ne_u32_e32 0x7f, v97
	s_cbranch_execz .LBB326_351
; %bb.348:                              ;   in Loop: Header=BB326_12 Depth=1
	v_and_b32_e32 v25, 7, v25
	v_lshrrev_b32_e32 v95, 3, v97
	s_mov_b32 s44, exec_lo
	v_cmpx_gt_u32_e32 8, v97
; %bb.349:                              ;   in Loop: Header=BB326_12 Depth=1
	v_ffbh_u32_e32 v95, v25
	v_min_u32_e32 v95, 32, v95
	v_subrev_nc_u32_e32 v97, 28, v95
	v_sub_nc_u32_e32 v95, 29, v95
	v_lshlrev_b64 v[97:98], v97, v[25:26]
	v_and_b32_e32 v25, 7, v97
; %bb.350:                              ;   in Loop: Header=BB326_12 Depth=1
	s_or_b32 exec_lo, exec_lo, s44
	v_lshlrev_b32_e32 v97, 16, v99
	v_lshlrev_b32_e32 v25, 20, v25
	v_lshl_add_u32 v95, v95, 23, 0x3c000000
	v_and_b32_e32 v97, 0x80000000, v97
	v_or3_b32 v95, v25, v97, v95
.LBB326_351:                            ;   in Loop: Header=BB326_12 Depth=1
	s_or_b32 exec_lo, exec_lo, s43
.LBB326_352:                            ;   in Loop: Header=BB326_12 Depth=1
	s_or_b32 exec_lo, exec_lo, s42
.LBB326_353:                            ;   in Loop: Header=BB326_12 Depth=1
	s_or_b32 exec_lo, exec_lo, s4
	v_and_b32_sdwa v25, v99, v46 dst_sel:DWORD dst_unused:UNUSED_PAD src0_sel:WORD_1 src1_sel:DWORD
	v_mov_b32_e32 v97, 0
	v_mov_b32_e32 v98, 0
	s_mov_b32 s4, exec_lo
	v_cmpx_ne_u16_e32 0, v25
	s_cbranch_execz .LBB326_361
; %bb.354:                              ;   in Loop: Header=BB326_12 Depth=1
	v_bfrev_b32_e32 v98, 1
	s_mov_b32 s42, exec_lo
	v_cmpx_ne_u16_e32 0x80, v25
	s_cbranch_execz .LBB326_360
; %bb.355:                              ;   in Loop: Header=BB326_12 Depth=1
	v_bfe_u32 v100, v99, 16, 7
	v_mov_b32_e32 v98, 0x7f800001
	s_mov_b32 s43, exec_lo
	v_cmpx_ne_u32_e32 0x7f, v100
	s_cbranch_execz .LBB326_359
; %bb.356:                              ;   in Loop: Header=BB326_12 Depth=1
	v_and_b32_sdwa v25, v99, v47 dst_sel:DWORD dst_unused:UNUSED_PAD src0_sel:WORD_1 src1_sel:DWORD
	v_lshrrev_b32_e32 v98, 3, v100
	s_mov_b32 s44, exec_lo
	v_cmpx_gt_u32_e32 8, v100
; %bb.357:                              ;   in Loop: Header=BB326_12 Depth=1
	v_ffbh_u32_e32 v98, v25
	v_min_u32_e32 v98, 32, v98
	v_subrev_nc_u32_e32 v100, 28, v98
	v_sub_nc_u32_e32 v98, 29, v98
	v_lshlrev_b64 v[100:101], v100, v[25:26]
	v_and_b32_e32 v25, 7, v100
; %bb.358:                              ;   in Loop: Header=BB326_12 Depth=1
	s_or_b32 exec_lo, exec_lo, s44
	v_lshlrev_b32_sdwa v100, v48, v99 dst_sel:DWORD dst_unused:UNUSED_PAD src0_sel:DWORD src1_sel:WORD_1
	v_lshlrev_b32_e32 v25, 20, v25
	v_lshl_add_u32 v98, v98, 23, 0x3c000000
	v_and_b32_e32 v100, 0x80000000, v100
	v_or3_b32 v98, v25, v100, v98
.LBB326_359:                            ;   in Loop: Header=BB326_12 Depth=1
	s_or_b32 exec_lo, exec_lo, s43
.LBB326_360:                            ;   in Loop: Header=BB326_12 Depth=1
	s_or_b32 exec_lo, exec_lo, s42
.LBB326_361:                            ;   in Loop: Header=BB326_12 Depth=1
	s_or_b32 exec_lo, exec_lo, s4
	s_mov_b32 s4, exec_lo
	v_cmpx_lt_u32_e32 0xffffff, v99
	s_cbranch_execz .LBB326_369
; %bb.362:                              ;   in Loop: Header=BB326_12 Depth=1
	v_cmp_ne_u32_sdwa s2, v99, v44 src0_sel:BYTE_3 src1_sel:DWORD
	v_bfrev_b32_e32 v97, 1
	s_and_saveexec_b32 s42, s2
	s_cbranch_execz .LBB326_368
; %bb.363:                              ;   in Loop: Header=BB326_12 Depth=1
	v_bfe_u32 v100, v99, 24, 7
	v_mov_b32_e32 v97, 0x7f800001
	s_mov_b32 s43, exec_lo
	v_cmpx_ne_u32_e32 0x7f, v100
	s_cbranch_execz .LBB326_367
; %bb.364:                              ;   in Loop: Header=BB326_12 Depth=1
	v_and_b32_sdwa v25, v99, v47 dst_sel:DWORD dst_unused:UNUSED_PAD src0_sel:BYTE_3 src1_sel:DWORD
	v_lshrrev_b32_e32 v97, 3, v100
	s_mov_b32 s44, exec_lo
	v_cmpx_gt_u32_e32 8, v100
; %bb.365:                              ;   in Loop: Header=BB326_12 Depth=1
	v_ffbh_u32_e32 v97, v25
	v_min_u32_e32 v97, 32, v97
	v_subrev_nc_u32_e32 v100, 28, v97
	v_sub_nc_u32_e32 v97, 29, v97
	v_lshlrev_b64 v[100:101], v100, v[25:26]
	v_and_b32_e32 v25, 7, v100
; %bb.366:                              ;   in Loop: Header=BB326_12 Depth=1
	s_or_b32 exec_lo, exec_lo, s44
	v_lshlrev_b32_sdwa v99, v48, v99 dst_sel:DWORD dst_unused:UNUSED_PAD src0_sel:DWORD src1_sel:BYTE_3
	v_lshlrev_b32_e32 v25, 20, v25
	v_lshl_add_u32 v97, v97, 23, 0x3c000000
	v_and_b32_e32 v99, 0x80000000, v99
	v_or3_b32 v97, v25, v99, v97
.LBB326_367:                            ;   in Loop: Header=BB326_12 Depth=1
	s_or_b32 exec_lo, exec_lo, s43
.LBB326_368:                            ;   in Loop: Header=BB326_12 Depth=1
	s_or_b32 exec_lo, exec_lo, s42
.LBB326_369:                            ;   in Loop: Header=BB326_12 Depth=1
	s_or_b32 exec_lo, exec_lo, s4
	global_load_dword v103, v[31:32], off offset:1288
	v_mov_b32_e32 v100, 0
	v_mov_b32_e32 v102, 0
	s_waitcnt vmcnt(0)
	v_cmp_ne_u16_sdwa s2, v103, v26 src0_sel:BYTE_0 src1_sel:DWORD
	s_and_saveexec_b32 s4, s2
	s_cbranch_execz .LBB326_377
; %bb.370:                              ;   in Loop: Header=BB326_12 Depth=1
	v_cmp_ne_u16_sdwa s2, v103, v44 src0_sel:BYTE_0 src1_sel:DWORD
	v_bfrev_b32_e32 v102, 1
	s_and_saveexec_b32 s42, s2
	s_cbranch_execz .LBB326_376
; %bb.371:                              ;   in Loop: Header=BB326_12 Depth=1
	v_and_b32_e32 v101, 0x7f, v103
	v_mov_b32_e32 v102, 0x7f800001
	s_mov_b32 s43, exec_lo
	v_cmpx_ne_u32_e32 0x7f, v101
	s_cbranch_execz .LBB326_375
; %bb.372:                              ;   in Loop: Header=BB326_12 Depth=1
	v_and_b32_e32 v25, 7, v103
	v_lshrrev_b32_e32 v99, 3, v101
	s_mov_b32 s44, exec_lo
	v_cmpx_gt_u32_e32 8, v101
; %bb.373:                              ;   in Loop: Header=BB326_12 Depth=1
	v_ffbh_u32_e32 v99, v25
	v_min_u32_e32 v99, 32, v99
	v_subrev_nc_u32_e32 v101, 28, v99
	v_sub_nc_u32_e32 v99, 29, v99
	v_lshlrev_b64 v[101:102], v101, v[25:26]
	v_and_b32_e32 v25, 7, v101
; %bb.374:                              ;   in Loop: Header=BB326_12 Depth=1
	s_or_b32 exec_lo, exec_lo, s44
	v_lshlrev_b32_e32 v101, 24, v103
	v_lshlrev_b32_e32 v25, 20, v25
	v_lshl_add_u32 v99, v99, 23, 0x3c000000
	v_and_b32_e32 v101, 0x80000000, v101
	v_or3_b32 v102, v25, v101, v99
.LBB326_375:                            ;   in Loop: Header=BB326_12 Depth=1
	s_or_b32 exec_lo, exec_lo, s43
.LBB326_376:                            ;   in Loop: Header=BB326_12 Depth=1
	s_or_b32 exec_lo, exec_lo, s42
.LBB326_377:                            ;   in Loop: Header=BB326_12 Depth=1
	s_or_b32 exec_lo, exec_lo, s4
	v_cmp_ne_u16_sdwa s2, v103, v26 src0_sel:BYTE_1 src1_sel:DWORD
	s_and_saveexec_b32 s4, s2
	s_cbranch_execz .LBB326_385
; %bb.378:                              ;   in Loop: Header=BB326_12 Depth=1
	v_cmp_ne_u16_sdwa s2, v103, v44 src0_sel:BYTE_1 src1_sel:DWORD
	v_bfrev_b32_e32 v100, 1
	s_and_saveexec_b32 s42, s2
	s_cbranch_execz .LBB326_384
; %bb.379:                              ;   in Loop: Header=BB326_12 Depth=1
	v_and_b32_sdwa v25, v45, v103 dst_sel:DWORD dst_unused:UNUSED_PAD src0_sel:DWORD src1_sel:BYTE_1
	v_mov_b32_e32 v100, 0x7f800001
	s_mov_b32 s43, exec_lo
	v_and_b32_e32 v101, 0x7f, v25
	v_cmpx_ne_u32_e32 0x7f, v101
	s_cbranch_execz .LBB326_383
; %bb.380:                              ;   in Loop: Header=BB326_12 Depth=1
	v_and_b32_e32 v25, 7, v25
	v_lshrrev_b32_e32 v99, 3, v101
	s_mov_b32 s44, exec_lo
	v_cmpx_gt_u32_e32 8, v101
; %bb.381:                              ;   in Loop: Header=BB326_12 Depth=1
	v_ffbh_u32_e32 v99, v25
	v_min_u32_e32 v99, 32, v99
	v_subrev_nc_u32_e32 v100, 28, v99
	v_sub_nc_u32_e32 v99, 29, v99
	v_lshlrev_b64 v[100:101], v100, v[25:26]
	v_and_b32_e32 v25, 7, v100
; %bb.382:                              ;   in Loop: Header=BB326_12 Depth=1
	s_or_b32 exec_lo, exec_lo, s44
	v_lshlrev_b32_e32 v100, 16, v103
	v_lshlrev_b32_e32 v25, 20, v25
	v_lshl_add_u32 v99, v99, 23, 0x3c000000
	v_and_b32_e32 v100, 0x80000000, v100
	v_or3_b32 v100, v25, v100, v99
.LBB326_383:                            ;   in Loop: Header=BB326_12 Depth=1
	s_or_b32 exec_lo, exec_lo, s43
.LBB326_384:                            ;   in Loop: Header=BB326_12 Depth=1
	s_or_b32 exec_lo, exec_lo, s42
.LBB326_385:                            ;   in Loop: Header=BB326_12 Depth=1
	s_or_b32 exec_lo, exec_lo, s4
	v_and_b32_sdwa v25, v103, v46 dst_sel:DWORD dst_unused:UNUSED_PAD src0_sel:WORD_1 src1_sel:DWORD
	v_mov_b32_e32 v99, 0
	v_mov_b32_e32 v101, 0
	s_mov_b32 s4, exec_lo
	v_cmpx_ne_u16_e32 0, v25
	s_cbranch_execz .LBB326_393
; %bb.386:                              ;   in Loop: Header=BB326_12 Depth=1
	v_bfrev_b32_e32 v101, 1
	s_mov_b32 s42, exec_lo
	v_cmpx_ne_u16_e32 0x80, v25
	s_cbranch_execz .LBB326_392
; %bb.387:                              ;   in Loop: Header=BB326_12 Depth=1
	v_bfe_u32 v104, v103, 16, 7
	v_mov_b32_e32 v101, 0x7f800001
	s_mov_b32 s43, exec_lo
	v_cmpx_ne_u32_e32 0x7f, v104
	s_cbranch_execz .LBB326_391
; %bb.388:                              ;   in Loop: Header=BB326_12 Depth=1
	v_and_b32_sdwa v25, v103, v47 dst_sel:DWORD dst_unused:UNUSED_PAD src0_sel:WORD_1 src1_sel:DWORD
	v_lshrrev_b32_e32 v101, 3, v104
	s_mov_b32 s44, exec_lo
	v_cmpx_gt_u32_e32 8, v104
; %bb.389:                              ;   in Loop: Header=BB326_12 Depth=1
	v_ffbh_u32_e32 v101, v25
	v_min_u32_e32 v101, 32, v101
	v_subrev_nc_u32_e32 v104, 28, v101
	v_sub_nc_u32_e32 v101, 29, v101
	v_lshlrev_b64 v[104:105], v104, v[25:26]
	v_and_b32_e32 v25, 7, v104
; %bb.390:                              ;   in Loop: Header=BB326_12 Depth=1
	s_or_b32 exec_lo, exec_lo, s44
	v_lshlrev_b32_sdwa v104, v48, v103 dst_sel:DWORD dst_unused:UNUSED_PAD src0_sel:DWORD src1_sel:WORD_1
	v_lshlrev_b32_e32 v25, 20, v25
	v_lshl_add_u32 v101, v101, 23, 0x3c000000
	v_and_b32_e32 v104, 0x80000000, v104
	v_or3_b32 v101, v25, v104, v101
.LBB326_391:                            ;   in Loop: Header=BB326_12 Depth=1
	s_or_b32 exec_lo, exec_lo, s43
.LBB326_392:                            ;   in Loop: Header=BB326_12 Depth=1
	s_or_b32 exec_lo, exec_lo, s42
.LBB326_393:                            ;   in Loop: Header=BB326_12 Depth=1
	s_or_b32 exec_lo, exec_lo, s4
	s_mov_b32 s4, exec_lo
	v_cmpx_lt_u32_e32 0xffffff, v103
	s_cbranch_execz .LBB326_401
; %bb.394:                              ;   in Loop: Header=BB326_12 Depth=1
	v_cmp_ne_u32_sdwa s2, v103, v44 src0_sel:BYTE_3 src1_sel:DWORD
	v_bfrev_b32_e32 v99, 1
	s_and_saveexec_b32 s42, s2
	s_cbranch_execz .LBB326_400
; %bb.395:                              ;   in Loop: Header=BB326_12 Depth=1
	v_bfe_u32 v104, v103, 24, 7
	v_mov_b32_e32 v99, 0x7f800001
	s_mov_b32 s43, exec_lo
	v_cmpx_ne_u32_e32 0x7f, v104
	s_cbranch_execz .LBB326_399
; %bb.396:                              ;   in Loop: Header=BB326_12 Depth=1
	v_and_b32_sdwa v25, v103, v47 dst_sel:DWORD dst_unused:UNUSED_PAD src0_sel:BYTE_3 src1_sel:DWORD
	v_lshrrev_b32_e32 v99, 3, v104
	s_mov_b32 s44, exec_lo
	v_cmpx_gt_u32_e32 8, v104
; %bb.397:                              ;   in Loop: Header=BB326_12 Depth=1
	v_ffbh_u32_e32 v99, v25
	v_min_u32_e32 v99, 32, v99
	v_subrev_nc_u32_e32 v104, 28, v99
	v_sub_nc_u32_e32 v99, 29, v99
	v_lshlrev_b64 v[104:105], v104, v[25:26]
	v_and_b32_e32 v25, 7, v104
; %bb.398:                              ;   in Loop: Header=BB326_12 Depth=1
	s_or_b32 exec_lo, exec_lo, s44
	v_lshlrev_b32_sdwa v103, v48, v103 dst_sel:DWORD dst_unused:UNUSED_PAD src0_sel:DWORD src1_sel:BYTE_3
	v_lshlrev_b32_e32 v25, 20, v25
	v_lshl_add_u32 v99, v99, 23, 0x3c000000
	v_and_b32_e32 v103, 0x80000000, v103
	v_or3_b32 v99, v25, v103, v99
.LBB326_399:                            ;   in Loop: Header=BB326_12 Depth=1
	s_or_b32 exec_lo, exec_lo, s43
.LBB326_400:                            ;   in Loop: Header=BB326_12 Depth=1
	s_or_b32 exec_lo, exec_lo, s42
.LBB326_401:                            ;   in Loop: Header=BB326_12 Depth=1
	s_or_b32 exec_lo, exec_lo, s4
	global_load_dword v107, v[31:32], off offset:1536
	v_mov_b32_e32 v104, 0
	v_mov_b32_e32 v103, 0
	s_waitcnt vmcnt(0)
	v_cmp_ne_u16_sdwa s2, v107, v26 src0_sel:BYTE_0 src1_sel:DWORD
	s_and_saveexec_b32 s4, s2
	s_cbranch_execz .LBB326_409
; %bb.402:                              ;   in Loop: Header=BB326_12 Depth=1
	v_cmp_ne_u16_sdwa s2, v107, v44 src0_sel:BYTE_0 src1_sel:DWORD
	v_bfrev_b32_e32 v103, 1
	s_and_saveexec_b32 s42, s2
	s_cbranch_execz .LBB326_408
; %bb.403:                              ;   in Loop: Header=BB326_12 Depth=1
	v_and_b32_e32 v105, 0x7f, v107
	v_mov_b32_e32 v103, 0x7f800001
	s_mov_b32 s43, exec_lo
	v_cmpx_ne_u32_e32 0x7f, v105
	s_cbranch_execz .LBB326_407
; %bb.404:                              ;   in Loop: Header=BB326_12 Depth=1
	v_and_b32_e32 v25, 7, v107
	v_lshrrev_b32_e32 v103, 3, v105
	s_mov_b32 s44, exec_lo
	v_cmpx_gt_u32_e32 8, v105
; %bb.405:                              ;   in Loop: Header=BB326_12 Depth=1
	v_ffbh_u32_e32 v103, v25
	v_min_u32_e32 v103, 32, v103
	v_subrev_nc_u32_e32 v105, 28, v103
	v_sub_nc_u32_e32 v103, 29, v103
	v_lshlrev_b64 v[105:106], v105, v[25:26]
	v_and_b32_e32 v25, 7, v105
; %bb.406:                              ;   in Loop: Header=BB326_12 Depth=1
	s_or_b32 exec_lo, exec_lo, s44
	v_lshlrev_b32_e32 v105, 24, v107
	v_lshlrev_b32_e32 v25, 20, v25
	v_lshl_add_u32 v103, v103, 23, 0x3c000000
	v_and_b32_e32 v105, 0x80000000, v105
	v_or3_b32 v103, v25, v105, v103
.LBB326_407:                            ;   in Loop: Header=BB326_12 Depth=1
	s_or_b32 exec_lo, exec_lo, s43
.LBB326_408:                            ;   in Loop: Header=BB326_12 Depth=1
	s_or_b32 exec_lo, exec_lo, s42
.LBB326_409:                            ;   in Loop: Header=BB326_12 Depth=1
	s_or_b32 exec_lo, exec_lo, s4
	v_cmp_ne_u16_sdwa s2, v107, v26 src0_sel:BYTE_1 src1_sel:DWORD
	s_and_saveexec_b32 s4, s2
	s_cbranch_execz .LBB326_417
; %bb.410:                              ;   in Loop: Header=BB326_12 Depth=1
	v_cmp_ne_u16_sdwa s2, v107, v44 src0_sel:BYTE_1 src1_sel:DWORD
	v_bfrev_b32_e32 v104, 1
	s_and_saveexec_b32 s42, s2
	s_cbranch_execz .LBB326_416
; %bb.411:                              ;   in Loop: Header=BB326_12 Depth=1
	v_and_b32_sdwa v25, v45, v107 dst_sel:DWORD dst_unused:UNUSED_PAD src0_sel:DWORD src1_sel:BYTE_1
	v_mov_b32_e32 v104, 0x7f800001
	s_mov_b32 s43, exec_lo
	v_and_b32_e32 v105, 0x7f, v25
	v_cmpx_ne_u32_e32 0x7f, v105
	s_cbranch_execz .LBB326_415
; %bb.412:                              ;   in Loop: Header=BB326_12 Depth=1
	v_and_b32_e32 v25, 7, v25
	v_lshrrev_b32_e32 v104, 3, v105
	s_mov_b32 s44, exec_lo
	v_cmpx_gt_u32_e32 8, v105
; %bb.413:                              ;   in Loop: Header=BB326_12 Depth=1
	v_ffbh_u32_e32 v104, v25
	v_min_u32_e32 v104, 32, v104
	v_subrev_nc_u32_e32 v105, 28, v104
	v_sub_nc_u32_e32 v104, 29, v104
	v_lshlrev_b64 v[105:106], v105, v[25:26]
	v_and_b32_e32 v25, 7, v105
; %bb.414:                              ;   in Loop: Header=BB326_12 Depth=1
	s_or_b32 exec_lo, exec_lo, s44
	v_lshlrev_b32_e32 v105, 16, v107
	v_lshlrev_b32_e32 v25, 20, v25
	v_lshl_add_u32 v104, v104, 23, 0x3c000000
	v_and_b32_e32 v105, 0x80000000, v105
	v_or3_b32 v104, v25, v105, v104
.LBB326_415:                            ;   in Loop: Header=BB326_12 Depth=1
	s_or_b32 exec_lo, exec_lo, s43
.LBB326_416:                            ;   in Loop: Header=BB326_12 Depth=1
	s_or_b32 exec_lo, exec_lo, s42
.LBB326_417:                            ;   in Loop: Header=BB326_12 Depth=1
	s_or_b32 exec_lo, exec_lo, s4
	v_and_b32_sdwa v25, v107, v46 dst_sel:DWORD dst_unused:UNUSED_PAD src0_sel:WORD_1 src1_sel:DWORD
	v_mov_b32_e32 v105, 0
	v_mov_b32_e32 v106, 0
	s_mov_b32 s4, exec_lo
	v_cmpx_ne_u16_e32 0, v25
	s_cbranch_execz .LBB326_425
; %bb.418:                              ;   in Loop: Header=BB326_12 Depth=1
	v_bfrev_b32_e32 v106, 1
	s_mov_b32 s42, exec_lo
	v_cmpx_ne_u16_e32 0x80, v25
	s_cbranch_execz .LBB326_424
; %bb.419:                              ;   in Loop: Header=BB326_12 Depth=1
	v_bfe_u32 v108, v107, 16, 7
	v_mov_b32_e32 v106, 0x7f800001
	s_mov_b32 s43, exec_lo
	v_cmpx_ne_u32_e32 0x7f, v108
	s_cbranch_execz .LBB326_423
; %bb.420:                              ;   in Loop: Header=BB326_12 Depth=1
	v_and_b32_sdwa v25, v107, v47 dst_sel:DWORD dst_unused:UNUSED_PAD src0_sel:WORD_1 src1_sel:DWORD
	v_lshrrev_b32_e32 v106, 3, v108
	s_mov_b32 s44, exec_lo
	v_cmpx_gt_u32_e32 8, v108
; %bb.421:                              ;   in Loop: Header=BB326_12 Depth=1
	v_ffbh_u32_e32 v106, v25
	v_min_u32_e32 v106, 32, v106
	v_subrev_nc_u32_e32 v108, 28, v106
	v_sub_nc_u32_e32 v106, 29, v106
	v_lshlrev_b64 v[108:109], v108, v[25:26]
	v_and_b32_e32 v25, 7, v108
; %bb.422:                              ;   in Loop: Header=BB326_12 Depth=1
	s_or_b32 exec_lo, exec_lo, s44
	v_lshlrev_b32_sdwa v108, v48, v107 dst_sel:DWORD dst_unused:UNUSED_PAD src0_sel:DWORD src1_sel:WORD_1
	v_lshlrev_b32_e32 v25, 20, v25
	v_lshl_add_u32 v106, v106, 23, 0x3c000000
	v_and_b32_e32 v108, 0x80000000, v108
	v_or3_b32 v106, v25, v108, v106
.LBB326_423:                            ;   in Loop: Header=BB326_12 Depth=1
	s_or_b32 exec_lo, exec_lo, s43
.LBB326_424:                            ;   in Loop: Header=BB326_12 Depth=1
	s_or_b32 exec_lo, exec_lo, s42
.LBB326_425:                            ;   in Loop: Header=BB326_12 Depth=1
	s_or_b32 exec_lo, exec_lo, s4
	s_mov_b32 s4, exec_lo
	v_cmpx_lt_u32_e32 0xffffff, v107
	s_cbranch_execz .LBB326_433
; %bb.426:                              ;   in Loop: Header=BB326_12 Depth=1
	v_cmp_ne_u32_sdwa s2, v107, v44 src0_sel:BYTE_3 src1_sel:DWORD
	v_bfrev_b32_e32 v105, 1
	s_and_saveexec_b32 s42, s2
	s_cbranch_execz .LBB326_432
; %bb.427:                              ;   in Loop: Header=BB326_12 Depth=1
	v_bfe_u32 v108, v107, 24, 7
	v_mov_b32_e32 v105, 0x7f800001
	s_mov_b32 s43, exec_lo
	v_cmpx_ne_u32_e32 0x7f, v108
	s_cbranch_execz .LBB326_431
; %bb.428:                              ;   in Loop: Header=BB326_12 Depth=1
	v_and_b32_sdwa v25, v107, v47 dst_sel:DWORD dst_unused:UNUSED_PAD src0_sel:BYTE_3 src1_sel:DWORD
	v_lshrrev_b32_e32 v105, 3, v108
	s_mov_b32 s44, exec_lo
	v_cmpx_gt_u32_e32 8, v108
; %bb.429:                              ;   in Loop: Header=BB326_12 Depth=1
	v_ffbh_u32_e32 v105, v25
	v_min_u32_e32 v105, 32, v105
	v_subrev_nc_u32_e32 v108, 28, v105
	v_sub_nc_u32_e32 v105, 29, v105
	v_lshlrev_b64 v[108:109], v108, v[25:26]
	v_and_b32_e32 v25, 7, v108
; %bb.430:                              ;   in Loop: Header=BB326_12 Depth=1
	s_or_b32 exec_lo, exec_lo, s44
	v_lshlrev_b32_sdwa v107, v48, v107 dst_sel:DWORD dst_unused:UNUSED_PAD src0_sel:DWORD src1_sel:BYTE_3
	v_lshlrev_b32_e32 v25, 20, v25
	v_lshl_add_u32 v105, v105, 23, 0x3c000000
	v_and_b32_e32 v107, 0x80000000, v107
	v_or3_b32 v105, v25, v107, v105
.LBB326_431:                            ;   in Loop: Header=BB326_12 Depth=1
	s_or_b32 exec_lo, exec_lo, s43
.LBB326_432:                            ;   in Loop: Header=BB326_12 Depth=1
	s_or_b32 exec_lo, exec_lo, s42
.LBB326_433:                            ;   in Loop: Header=BB326_12 Depth=1
	s_or_b32 exec_lo, exec_lo, s4
	global_load_dword v109, v[31:32], off offset:1544
	v_mov_b32_e32 v108, 0
	v_mov_b32_e32 v107, 0
	s_waitcnt vmcnt(0)
	v_cmp_ne_u16_sdwa s2, v109, v26 src0_sel:BYTE_0 src1_sel:DWORD
	s_and_saveexec_b32 s4, s2
	s_cbranch_execz .LBB326_441
; %bb.434:                              ;   in Loop: Header=BB326_12 Depth=1
	v_cmp_ne_u16_sdwa s2, v109, v44 src0_sel:BYTE_0 src1_sel:DWORD
	v_bfrev_b32_e32 v107, 1
	s_and_saveexec_b32 s42, s2
	s_cbranch_execz .LBB326_440
; %bb.435:                              ;   in Loop: Header=BB326_12 Depth=1
	v_and_b32_e32 v32, 0x7f, v109
	v_mov_b32_e32 v107, 0x7f800001
	s_mov_b32 s43, exec_lo
	v_cmpx_ne_u32_e32 0x7f, v32
	s_cbranch_execz .LBB326_439
; %bb.436:                              ;   in Loop: Header=BB326_12 Depth=1
	v_and_b32_e32 v25, 7, v109
	v_lshrrev_b32_e32 v31, 3, v32
	s_mov_b32 s44, exec_lo
	v_cmpx_gt_u32_e32 8, v32
; %bb.437:                              ;   in Loop: Header=BB326_12 Depth=1
	v_ffbh_u32_e32 v31, v25
	v_min_u32_e32 v31, 32, v31
	v_subrev_nc_u32_e32 v32, 28, v31
	v_sub_nc_u32_e32 v31, 29, v31
	v_lshlrev_b64 v[110:111], v32, v[25:26]
	v_and_b32_e32 v25, 7, v110
; %bb.438:                              ;   in Loop: Header=BB326_12 Depth=1
	s_or_b32 exec_lo, exec_lo, s44
	v_lshlrev_b32_e32 v32, 24, v109
	v_lshlrev_b32_e32 v25, 20, v25
	v_lshl_add_u32 v31, v31, 23, 0x3c000000
	v_and_b32_e32 v32, 0x80000000, v32
	v_or3_b32 v107, v25, v32, v31
.LBB326_439:                            ;   in Loop: Header=BB326_12 Depth=1
	s_or_b32 exec_lo, exec_lo, s43
.LBB326_440:                            ;   in Loop: Header=BB326_12 Depth=1
	s_or_b32 exec_lo, exec_lo, s42
.LBB326_441:                            ;   in Loop: Header=BB326_12 Depth=1
	s_or_b32 exec_lo, exec_lo, s4
	v_cmp_ne_u16_sdwa s2, v109, v26 src0_sel:BYTE_1 src1_sel:DWORD
	s_and_saveexec_b32 s4, s2
	s_cbranch_execz .LBB326_449
; %bb.442:                              ;   in Loop: Header=BB326_12 Depth=1
	v_cmp_ne_u16_sdwa s2, v109, v44 src0_sel:BYTE_1 src1_sel:DWORD
	v_bfrev_b32_e32 v108, 1
	s_and_saveexec_b32 s42, s2
	s_cbranch_execz .LBB326_448
; %bb.443:                              ;   in Loop: Header=BB326_12 Depth=1
	v_and_b32_sdwa v25, v45, v109 dst_sel:DWORD dst_unused:UNUSED_PAD src0_sel:DWORD src1_sel:BYTE_1
	v_mov_b32_e32 v108, 0x7f800001
	s_mov_b32 s43, exec_lo
	v_and_b32_e32 v32, 0x7f, v25
	v_cmpx_ne_u32_e32 0x7f, v32
	s_cbranch_execz .LBB326_447
; %bb.444:                              ;   in Loop: Header=BB326_12 Depth=1
	v_and_b32_e32 v25, 7, v25
	v_lshrrev_b32_e32 v31, 3, v32
	s_mov_b32 s44, exec_lo
	v_cmpx_gt_u32_e32 8, v32
; %bb.445:                              ;   in Loop: Header=BB326_12 Depth=1
	v_ffbh_u32_e32 v31, v25
	v_min_u32_e32 v31, 32, v31
	v_subrev_nc_u32_e32 v32, 28, v31
	v_sub_nc_u32_e32 v31, 29, v31
	v_lshlrev_b64 v[110:111], v32, v[25:26]
	v_and_b32_e32 v25, 7, v110
; %bb.446:                              ;   in Loop: Header=BB326_12 Depth=1
	s_or_b32 exec_lo, exec_lo, s44
	v_lshlrev_b32_e32 v32, 16, v109
	v_lshlrev_b32_e32 v25, 20, v25
	v_lshl_add_u32 v31, v31, 23, 0x3c000000
	v_and_b32_e32 v32, 0x80000000, v32
	v_or3_b32 v108, v25, v32, v31
.LBB326_447:                            ;   in Loop: Header=BB326_12 Depth=1
	s_or_b32 exec_lo, exec_lo, s43
.LBB326_448:                            ;   in Loop: Header=BB326_12 Depth=1
	s_or_b32 exec_lo, exec_lo, s42
.LBB326_449:                            ;   in Loop: Header=BB326_12 Depth=1
	s_or_b32 exec_lo, exec_lo, s4
	v_and_b32_sdwa v25, v109, v46 dst_sel:DWORD dst_unused:UNUSED_PAD src0_sel:WORD_1 src1_sel:DWORD
	v_mov_b32_e32 v31, 0
	v_mov_b32_e32 v32, 0
	s_mov_b32 s4, exec_lo
	v_cmpx_ne_u16_e32 0, v25
	s_cbranch_execz .LBB326_457
; %bb.450:                              ;   in Loop: Header=BB326_12 Depth=1
	v_bfrev_b32_e32 v32, 1
	s_mov_b32 s42, exec_lo
	v_cmpx_ne_u16_e32 0x80, v25
	s_cbranch_execz .LBB326_456
; %bb.451:                              ;   in Loop: Header=BB326_12 Depth=1
	v_bfe_u32 v110, v109, 16, 7
	v_mov_b32_e32 v32, 0x7f800001
	s_mov_b32 s43, exec_lo
	v_cmpx_ne_u32_e32 0x7f, v110
	s_cbranch_execz .LBB326_455
; %bb.452:                              ;   in Loop: Header=BB326_12 Depth=1
	v_and_b32_sdwa v25, v109, v47 dst_sel:DWORD dst_unused:UNUSED_PAD src0_sel:WORD_1 src1_sel:DWORD
	v_lshrrev_b32_e32 v32, 3, v110
	s_mov_b32 s44, exec_lo
	v_cmpx_gt_u32_e32 8, v110
; %bb.453:                              ;   in Loop: Header=BB326_12 Depth=1
	v_ffbh_u32_e32 v32, v25
	v_min_u32_e32 v32, 32, v32
	v_subrev_nc_u32_e32 v110, 28, v32
	v_sub_nc_u32_e32 v32, 29, v32
	v_lshlrev_b64 v[110:111], v110, v[25:26]
	v_and_b32_e32 v25, 7, v110
; %bb.454:                              ;   in Loop: Header=BB326_12 Depth=1
	s_or_b32 exec_lo, exec_lo, s44
	v_lshlrev_b32_sdwa v110, v48, v109 dst_sel:DWORD dst_unused:UNUSED_PAD src0_sel:DWORD src1_sel:WORD_1
	v_lshlrev_b32_e32 v25, 20, v25
	v_lshl_add_u32 v32, v32, 23, 0x3c000000
	v_and_b32_e32 v110, 0x80000000, v110
	v_or3_b32 v32, v25, v110, v32
.LBB326_455:                            ;   in Loop: Header=BB326_12 Depth=1
	s_or_b32 exec_lo, exec_lo, s43
.LBB326_456:                            ;   in Loop: Header=BB326_12 Depth=1
	s_or_b32 exec_lo, exec_lo, s42
.LBB326_457:                            ;   in Loop: Header=BB326_12 Depth=1
	s_or_b32 exec_lo, exec_lo, s4
	s_mov_b32 s4, exec_lo
	v_cmpx_lt_u32_e32 0xffffff, v109
	s_cbranch_execz .LBB326_465
; %bb.458:                              ;   in Loop: Header=BB326_12 Depth=1
	v_cmp_ne_u32_sdwa s2, v109, v44 src0_sel:BYTE_3 src1_sel:DWORD
	v_bfrev_b32_e32 v31, 1
	s_and_saveexec_b32 s42, s2
	s_cbranch_execz .LBB326_464
; %bb.459:                              ;   in Loop: Header=BB326_12 Depth=1
	v_bfe_u32 v110, v109, 24, 7
	v_mov_b32_e32 v31, 0x7f800001
	s_mov_b32 s43, exec_lo
	v_cmpx_ne_u32_e32 0x7f, v110
	s_cbranch_execz .LBB326_463
; %bb.460:                              ;   in Loop: Header=BB326_12 Depth=1
	v_and_b32_sdwa v25, v109, v47 dst_sel:DWORD dst_unused:UNUSED_PAD src0_sel:BYTE_3 src1_sel:DWORD
	v_lshrrev_b32_e32 v31, 3, v110
	s_mov_b32 s44, exec_lo
	v_cmpx_gt_u32_e32 8, v110
; %bb.461:                              ;   in Loop: Header=BB326_12 Depth=1
	v_ffbh_u32_e32 v31, v25
	v_min_u32_e32 v31, 32, v31
	v_subrev_nc_u32_e32 v110, 28, v31
	v_sub_nc_u32_e32 v31, 29, v31
	v_lshlrev_b64 v[110:111], v110, v[25:26]
	v_and_b32_e32 v25, 7, v110
; %bb.462:                              ;   in Loop: Header=BB326_12 Depth=1
	s_or_b32 exec_lo, exec_lo, s44
	v_lshlrev_b32_sdwa v109, v48, v109 dst_sel:DWORD dst_unused:UNUSED_PAD src0_sel:DWORD src1_sel:BYTE_3
	v_lshlrev_b32_e32 v25, 20, v25
	v_lshl_add_u32 v31, v31, 23, 0x3c000000
	v_and_b32_e32 v109, 0x80000000, v109
	v_or3_b32 v31, v25, v109, v31
.LBB326_463:                            ;   in Loop: Header=BB326_12 Depth=1
	s_or_b32 exec_lo, exec_lo, s43
.LBB326_464:                            ;   in Loop: Header=BB326_12 Depth=1
	s_or_b32 exec_lo, exec_lo, s42
.LBB326_465:                            ;   in Loop: Header=BB326_12 Depth=1
	s_or_b32 exec_lo, exec_lo, s4
	s_waitcnt lgkmcnt(0)
	v_lshlrev_b32_e32 v123, 16, v21
	v_lshlrev_b32_e32 v124, 16, v22
	;; [unrolled: 1-line block ×4, first 2 shown]
	v_and_b32_e32 v127, 0xffff0000, v21
	v_and_b32_e32 v38, 0xffff0000, v22
	;; [unrolled: 1-line block ×4, first 2 shown]
	v_lshlrev_b32_e32 v24, 16, v11
	v_lshlrev_b32_e32 v22, 16, v12
	v_and_b32_e32 v23, 0xffff0000, v11
	v_and_b32_e32 v21, 0xffff0000, v12
	v_lshlrev_b32_e32 v12, 16, v1
	v_and_b32_e32 v11, 0xffff0000, v1
	v_mul_f32_e32 v1, s3, v60
	v_lshlrev_b32_e32 v111, 16, v9
	v_lshlrev_b32_e32 v109, 16, v10
	v_and_b32_e32 v110, 0xffff0000, v9
	v_and_b32_e32 v25, 0xffff0000, v10
	v_lshlrev_b32_e32 v10, 16, v2
	v_and_b32_e32 v9, 0xffff0000, v2
	v_bfe_u32 v2, v1, 16, 1
	v_cmp_u_f32_e64 s2, v1, v1
	v_lshlrev_b32_e32 v119, 16, v13
	v_lshlrev_b32_e32 v117, 16, v14
	;; [unrolled: 1-line block ×3, first 2 shown]
	v_add3_u32 v2, v2, v1, 0x7fff
	v_or_b32_e32 v1, 0x400000, v1
	v_lshlrev_b32_e32 v113, 16, v16
	v_and_b32_e32 v118, 0xffff0000, v13
	v_and_b32_e32 v116, 0xffff0000, v14
	;; [unrolled: 1-line block ×3, first 2 shown]
	v_cndmask_b32_e64 v1, v2, v1, s2
	v_mul_f32_e32 v2, s3, v56
	v_and_b32_e32 v112, 0xffff0000, v16
	v_lshlrev_b32_e32 v16, 16, v7
	v_lshlrev_b32_e32 v14, 16, v8
	v_and_b32_e32 v15, 0xffff0000, v7
	v_and_b32_e32 v13, 0xffff0000, v8
	v_lshlrev_b32_e32 v8, 16, v3
	v_and_b32_e32 v7, 0xffff0000, v3
	v_bfe_u32 v3, v2, 16, 1
	v_cmp_u_f32_e64 s2, v2, v2
	v_and_b32_e32 v1, 0xffff0000, v1
	v_lshlrev_b32_e32 v40, 16, v19
	v_lshlrev_b32_e32 v121, 16, v20
	v_add3_u32 v3, v3, v2, 0x7fff
	v_or_b32_e32 v2, 0x400000, v2
	v_mul_f32_e32 v1, v125, v1
	v_and_b32_e32 v122, 0xffff0000, v19
	v_and_b32_e32 v120, 0xffff0000, v20
	v_lshlrev_b32_e32 v20, 16, v5
	v_cndmask_b32_e64 v2, v3, v2, s2
	v_and_b32_e32 v19, 0xffff0000, v5
	v_lshlrev_b32_e32 v37, 16, v17
	v_and_b32_e32 v49, 0xffff0000, v17
	v_lshlrev_b32_e32 v35, 16, v18
	v_and_b32_e32 v2, 0xffff0000, v2
	v_and_b32_e32 v29, 0xffff0000, v18
	v_lshlrev_b32_e32 v18, 16, v6
	v_and_b32_e32 v17, 0xffff0000, v6
	v_lshlrev_b32_e32 v6, 16, v4
	v_fmac_f32_e32 v1, v123, v2
	v_mul_f32_e32 v2, s3, v59
	v_and_b32_e32 v4, 0xffff0000, v4
	v_bfe_u32 v3, v2, 16, 1
	v_cmp_u_f32_e64 s2, v2, v2
	v_add3_u32 v3, v3, v2, 0x7fff
	v_or_b32_e32 v2, 0x400000, v2
	v_cndmask_b32_e64 v2, v3, v2, s2
	v_mul_f32_e32 v3, s3, v55
	v_and_b32_e32 v2, 0xffff0000, v2
	v_bfe_u32 v5, v3, 16, 1
	v_cmp_u_f32_e64 s2, v3, v3
	v_mul_f32_e32 v2, v33, v2
	v_add3_u32 v5, v5, v3, 0x7fff
	v_or_b32_e32 v3, 0x400000, v3
	v_cndmask_b32_e64 v3, v5, v3, s2
	v_and_b32_e32 v3, 0xffff0000, v3
	v_fmac_f32_e32 v2, v127, v3
	v_mul_f32_e32 v3, s3, v62
	v_bfe_u32 v5, v3, 16, 1
	v_cmp_u_f32_e64 s2, v3, v3
	v_add3_u32 v5, v5, v3, 0x7fff
	v_or_b32_e32 v3, 0x400000, v3
	v_cndmask_b32_e64 v3, v5, v3, s2
	v_mul_f32_e32 v5, s3, v58
	v_and_b32_e32 v3, 0xffff0000, v3
	v_bfe_u32 v30, v5, 16, 1
	v_cmp_u_f32_e64 s2, v5, v5
	v_mul_f32_e32 v3, v126, v3
	v_add3_u32 v30, v30, v5, 0x7fff
	v_or_b32_e32 v5, 0x400000, v5
	v_cndmask_b32_e64 v5, v30, v5, s2
	v_and_b32_e32 v5, 0xffff0000, v5
	v_fmac_f32_e32 v3, v124, v5
	v_mul_f32_e32 v5, s3, v61
	;; [unrolled: 16-line block ×3, first 2 shown]
	v_bfe_u32 v33, v30, 16, 1
	v_cmp_u_f32_e64 s2, v30, v30
	v_add3_u32 v33, v33, v30, 0x7fff
	v_or_b32_e32 v30, 0x400000, v30
	v_cndmask_b32_e64 v30, v33, v30, s2
	v_and_b32_e32 v30, 0xffff0000, v30
	v_fmac_f32_e32 v1, v37, v30
	v_mul_f32_e32 v30, s3, v63
	v_bfe_u32 v33, v30, 16, 1
	v_cmp_u_f32_e64 s2, v30, v30
	v_add3_u32 v33, v33, v30, 0x7fff
	v_or_b32_e32 v30, 0x400000, v30
	v_cndmask_b32_e64 v30, v33, v30, s2
	v_and_b32_e32 v30, 0xffff0000, v30
	v_fmac_f32_e32 v2, v49, v30
	v_mul_f32_e32 v30, s3, v66
	;; [unrolled: 8-line block ×27, first 2 shown]
	v_bfe_u32 v19, v18, 16, 1
	v_cmp_u_f32_e64 s2, v18, v18
	v_add3_u32 v19, v19, v18, 0x7fff
	v_or_b32_e32 v18, 0x400000, v18
	v_cndmask_b32_e64 v18, v19, v18, s2
	v_lshlrev_b32_e32 v19, 16, v53
	v_and_b32_e32 v18, 0xffff0000, v18
	v_fmac_f32_e32 v5, v17, v18
	v_mul_f32_e32 v17, s3, v92
	v_bfe_u32 v18, v17, 16, 1
	v_cmp_u_f32_e64 s2, v17, v17
	v_add3_u32 v18, v18, v17, 0x7fff
	v_or_b32_e32 v17, 0x400000, v17
	v_cndmask_b32_e64 v17, v18, v17, s2
	v_and_b32_e32 v17, 0xffff0000, v17
	v_fmac_f32_e32 v1, v16, v17
	v_mul_f32_e32 v16, s3, v91
	v_bfe_u32 v17, v16, 16, 1
	v_cmp_u_f32_e64 s2, v16, v16
	v_add3_u32 v17, v17, v16, 0x7fff
	v_or_b32_e32 v16, 0x400000, v16
	v_cndmask_b32_e64 v16, v17, v16, s2
	v_mul_f32_e32 v17, s3, v31
	v_and_b32_e32 v16, 0xffff0000, v16
	v_cmp_u_f32_e64 s4, v17, v17
	v_fmac_f32_e32 v2, v15, v16
	v_mul_f32_e32 v15, s3, v94
	v_bfe_u32 v16, v15, 16, 1
	v_cmp_u_f32_e64 s2, v15, v15
	v_add3_u32 v16, v16, v15, 0x7fff
	v_or_b32_e32 v15, 0x400000, v15
	v_cndmask_b32_e64 v15, v16, v15, s2
	v_mul_f32_e32 v16, s3, v32
	v_and_b32_e32 v15, 0xffff0000, v15
	v_fmac_f32_e32 v3, v14, v15
	v_mul_f32_e32 v14, s3, v93
	v_bfe_u32 v15, v14, 16, 1
	v_cmp_u_f32_e64 s2, v14, v14
	v_add3_u32 v15, v15, v14, 0x7fff
	v_or_b32_e32 v14, 0x400000, v14
	v_cndmask_b32_e64 v14, v15, v14, s2
	v_mul_f32_e32 v15, s3, v103
	v_and_b32_e32 v14, 0xffff0000, v14
	v_or_b32_e32 v18, 0x400000, v15
	v_fmac_f32_e32 v5, v13, v14
	v_mul_f32_e32 v13, s3, v96
	v_bfe_u32 v14, v13, 16, 1
	v_cmp_u_f32_e64 s2, v13, v13
	v_add3_u32 v14, v14, v13, 0x7fff
	v_or_b32_e32 v13, 0x400000, v13
	v_cndmask_b32_e64 v13, v14, v13, s2
	v_and_b32_e32 v13, 0xffff0000, v13
	v_fmac_f32_e32 v1, v12, v13
	v_mul_f32_e32 v12, s3, v95
	v_bfe_u32 v13, v12, 16, 1
	v_cmp_u_f32_e64 s2, v12, v12
	v_add3_u32 v13, v13, v12, 0x7fff
	v_or_b32_e32 v12, 0x400000, v12
	v_cndmask_b32_e64 v12, v13, v12, s2
	v_and_b32_e32 v12, 0xffff0000, v12
	;; [unrolled: 8-line block ×4, first 2 shown]
	v_fmac_f32_e32 v5, v9, v10
	v_mul_f32_e32 v9, s3, v102
	v_bfe_u32 v10, v9, 16, 1
	v_cmp_u_f32_e64 s2, v9, v9
	v_add3_u32 v10, v10, v9, 0x7fff
	v_or_b32_e32 v9, 0x400000, v9
	v_cndmask_b32_e64 v9, v10, v9, s2
	v_mul_f32_e32 v10, s3, v106
	v_and_b32_e32 v9, 0xffff0000, v9
	v_fmac_f32_e32 v1, v8, v9
	v_mul_f32_e32 v8, s3, v100
	v_bfe_u32 v9, v8, 16, 1
	v_cmp_u_f32_e64 s2, v8, v8
	v_add3_u32 v9, v9, v8, 0x7fff
	v_or_b32_e32 v8, 0x400000, v8
	v_cndmask_b32_e64 v8, v9, v8, s2
	v_mul_f32_e32 v9, s3, v107
	v_and_b32_e32 v8, 0xffff0000, v8
	v_fmac_f32_e32 v2, v7, v8
	v_mul_f32_e32 v7, s3, v108
	v_bfe_u32 v8, v7, 16, 1
	v_cmp_u_f32_e64 s2, v7, v7
	v_add3_u32 v8, v8, v7, 0x7fff
	v_or_b32_e32 v7, 0x400000, v7
	v_cndmask_b32_e64 v7, v8, v7, s2
	v_bfe_u32 v8, v9, 16, 1
	v_cmp_u_f32_e64 s2, v9, v9
	v_and_b32_e32 v7, 0xffff0000, v7
	v_add3_u32 v8, v8, v9, 0x7fff
	v_or_b32_e32 v9, 0x400000, v9
	v_cndmask_b32_e64 v11, v8, v9, s2
	v_bfe_u32 v8, v10, 16, 1
	v_cmp_u_f32_e64 s2, v10, v10
	v_or_b32_e32 v9, 0x400000, v10
	v_and_b32_e32 v11, 0xffff0000, v11
	v_add3_u32 v8, v8, v10, 0x7fff
	v_mul_f32_e32 v10, s3, v105
	v_cndmask_b32_e64 v12, v8, v9, s2
	v_bfe_u32 v8, v10, 16, 1
	v_cmp_u_f32_e64 s2, v10, v10
	v_or_b32_e32 v9, 0x400000, v10
	v_and_b32_e32 v12, 0xffff0000, v12
	v_add3_u32 v8, v8, v10, 0x7fff
	v_mul_f32_e32 v10, s3, v104
	;; [unrolled: 7-line block ×4, first 2 shown]
	v_cmp_u_f32_e64 s3, v16, v16
	v_cndmask_b32_e64 v8, v8, v9, s2
	v_bfe_u32 v9, v10, 16, 1
	v_cmp_u_f32_e64 s2, v10, v10
	v_and_b32_e32 v8, 0xffff0000, v8
	v_add3_u32 v9, v9, v10, 0x7fff
	v_or_b32_e32 v10, 0x400000, v10
	v_fmac_f32_e32 v3, v6, v8
	v_bfe_u32 v6, v16, 16, 1
	v_cndmask_b32_e64 v9, v9, v10, s2
	v_bfe_u32 v10, v15, 16, 1
	v_cmp_u_f32_e64 s2, v15, v15
	v_fmac_f32_e32 v3, v19, v12
	v_add3_u32 v6, v6, v16, 0x7fff
	v_and_b32_e32 v8, 0xffff0000, v9
	v_add3_u32 v10, v10, v15, 0x7fff
	v_bfe_u32 v15, v17, 16, 1
	v_fmac_f32_e32 v5, v4, v8
	ds_read_b64 v[8:9], v41 offset:102
	v_or_b32_e32 v4, 0x400000, v16
	v_add3_u32 v15, v15, v17, 0x7fff
	v_or_b32_e32 v16, 0x400000, v17
	v_cndmask_b32_e64 v10, v10, v18, s2
	ds_read_u16 v18, v41 offset:110
	v_and_b32_e32 v17, 0xffff0000, v54
	v_cndmask_b32_e64 v4, v6, v4, s3
	v_cndmask_b32_e64 v15, v15, v16, s4
	v_lshlrev_b32_e32 v16, 16, v54
	v_and_b32_e32 v10, 0xffff0000, v10
	v_fmac_f32_e32 v2, v17, v14
	v_xor_b32_e32 v6, 1, v39
	v_and_b32_e32 v4, 0xffff0000, v4
	v_fmac_f32_e32 v1, v16, v10
	v_cmp_gt_i32_e64 s2, 32, v6
	s_waitcnt lgkmcnt(1)
	v_lshlrev_b32_e32 v10, 16, v8
	v_and_b32_e32 v8, 0xffff0000, v8
	v_lshlrev_b32_e32 v14, 16, v9
	v_fmac_f32_e32 v5, v13, v10
	v_fmac_f32_e32 v1, v11, v8
	v_and_b32_e32 v8, 0xffff0000, v9
	v_fmac_f32_e32 v2, v7, v14
	s_waitcnt lgkmcnt(0)
	v_lshlrev_b32_e32 v7, 16, v18
	v_and_b32_e32 v9, 0xffff0000, v15
	v_fmac_f32_e32 v3, v4, v8
	v_add_f32_e32 v1, v1, v2
	v_cndmask_b32_e64 v2, v39, v6, s2
	v_fmac_f32_e32 v5, v9, v7
	v_add_f32_e32 v1, v1, v3
	v_lshlrev_b32_e32 v2, 2, v2
	v_add_f32_e32 v1, v5, v1
	ds_bpermute_b32 v2, v2, v1
	s_and_saveexec_b32 s3, vcc_lo
	s_cbranch_execz .LBB326_10
; %bb.466:                              ;   in Loop: Header=BB326_12 Depth=1
	buffer_load_dword v3, off, s[48:51], 0 offset:8 ; 4-byte Folded Reload
	s_waitcnt lgkmcnt(0)
	v_add_f32_e32 v1, v1, v2
	s_waitcnt vmcnt(0)
	v_add_nc_u32_e32 v3, v3, v43
	v_cvt_f32_i32_e32 v3, v3
	v_mul_f32_e32 v3, s36, v3
	v_cndmask_b32_e64 v2, 0, v3, s1
	v_max_f32_e32 v3, v42, v42
	v_fmac_f32_e32 v2, s35, v1
	v_bfe_u32 v1, v0, 1, 4
	v_max_f32_e32 v3, v3, v2
	v_add_nc_u32_e32 v1, v1, v43
	v_cmp_gt_i32_e64 s2, s33, v1
	v_cndmask_b32_e64 v1, 0, v2, s2
	v_cndmask_b32_e64 v42, v42, v3, s2
	ds_write_b32 v50, v1
	s_branch .LBB326_10
.LBB326_467:
	s_or_b32 exec_lo, exec_lo, s39
	v_and_b32_e32 v18, 1, v0
	v_lshrrev_b32_e32 v52, 5, v0
	v_lshlrev_b32_e32 v13, 3, v0
	v_lshrrev_b32_e32 v14, 3, v0
.LBB326_468:
	s_or_b32 exec_lo, exec_lo, s37
	v_xor_b32_e32 v1, 16, v39
	v_xor_b32_e32 v3, 8, v39
	v_max_f32_e32 v5, v42, v42
	v_xor_b32_e32 v6, 2, v39
	v_and_b32_e32 v21, 31, v0
	v_cmp_gt_i32_e32 vcc_lo, 32, v1
	v_cndmask_b32_e32 v1, v39, v1, vcc_lo
	v_cmp_gt_i32_e32 vcc_lo, 32, v3
	s_waitcnt lgkmcnt(0)
	v_lshlrev_b32_e32 v2, 2, v1
	v_cndmask_b32_e32 v3, v39, v3, vcc_lo
	ds_bpermute_b32 v1, v2, v42
	v_lshlrev_b32_e32 v4, 2, v3
	s_waitcnt lgkmcnt(0)
	v_max_f32_e32 v1, v1, v1
	v_max_f32_e32 v1, v5, v1
	v_xor_b32_e32 v5, 4, v39
	ds_bpermute_b32 v3, v4, v1
	v_cmp_gt_i32_e32 vcc_lo, 32, v5
	v_cndmask_b32_e32 v5, v39, v5, vcc_lo
	v_cmp_gt_i32_e32 vcc_lo, 32, v6
	v_lshlrev_b32_e32 v5, 2, v5
	v_cndmask_b32_e32 v6, v39, v6, vcc_lo
	v_cmp_eq_u32_e32 vcc_lo, 0, v21
	s_waitcnt lgkmcnt(0)
	v_max_f32_e32 v3, v3, v3
	v_max_f32_e32 v1, v1, v3
	ds_bpermute_b32 v3, v5, v1
	s_waitcnt lgkmcnt(0)
	v_max_f32_e32 v3, v3, v3
	v_max_f32_e32 v3, v1, v3
	v_lshlrev_b32_e32 v1, 2, v6
	v_lshlrev_b32_e32 v6, 2, v52
	ds_bpermute_b32 v7, v1, v3
	s_and_saveexec_b32 s1, vcc_lo
	s_cbranch_execz .LBB326_470
; %bb.469:
	s_waitcnt lgkmcnt(0)
	v_max_f32_e32 v7, v7, v7
	v_max_f32_e32 v3, v3, v3
	;; [unrolled: 1-line block ×3, first 2 shown]
	ds_write_b32 v6, v3 offset:224
.LBB326_470:
	s_or_b32 exec_lo, exec_lo, s1
	v_cmp_gt_u32_e64 s1, 4, v21
	v_mov_b32_e32 v3, 0xff7fffff
	s_waitcnt lgkmcnt(0)
	v_lshlrev_b32_e32 v7, 2, v21
	s_waitcnt_vscnt null, 0x0
	s_barrier
	buffer_gl0_inv
	s_and_saveexec_b32 s2, s1
; %bb.471:
	ds_read_b32 v3, v7 offset:224
; %bb.472:
	s_or_b32 exec_lo, exec_lo, s2
	s_waitcnt lgkmcnt(0)
	ds_bpermute_b32 v8, v1, v3
	v_xor_b32_e32 v9, 1, v39
	v_max_f32_e32 v3, v3, v3
	v_cmp_gt_i32_e64 s2, 32, v9
	v_cndmask_b32_e64 v9, v39, v9, s2
	s_lshl_b32 s2, s20, 4
	s_min_i32 s4, s2, s33
	v_lshlrev_b32_e32 v22, 2, v9
	v_cmp_gt_i32_e64 s2, s4, v0
	s_waitcnt lgkmcnt(0)
	v_max_f32_e32 v8, v8, v8
	v_max_f32_e32 v3, v3, v8
	ds_bpermute_b32 v8, v22, v3
	s_waitcnt lgkmcnt(0)
	v_max_f32_e32 v8, v8, v8
	v_max_f32_e32 v3, v3, v8
	v_mov_b32_e32 v8, 0
	ds_bpermute_b32 v9, v8, v3
	v_lshl_add_u32 v3, v0, 2, 0x100
	s_and_saveexec_b32 s5, s2
	s_cbranch_execz .LBB326_476
; %bb.473:
	v_lshl_add_u32 v10, v0, 2, 0x100
	v_mov_b32_e32 v8, 0
	v_mov_b32_e32 v11, v0
	s_mov_b32 s12, 0
	.p2align	6
.LBB326_474:                            ; =>This Inner Loop Header: Depth=1
	ds_read_b32 v12, v10
	v_add_nc_u32_e32 v11, 0x80, v11
	v_cmp_le_i32_e64 s3, s4, v11
	s_or_b32 s12, s3, s12
	s_waitcnt lgkmcnt(0)
	v_sub_f32_e32 v12, v12, v9
	v_mul_f32_e32 v12, 0x3fb8aa3b, v12
	v_exp_f32_e32 v12, v12
	ds_write_b32 v10, v12
	v_add_f32_e32 v8, v8, v12
	v_add_nc_u32_e32 v10, 0x200, v10
	s_andn2_b32 exec_lo, exec_lo, s12
	s_cbranch_execnz .LBB326_474
; %bb.475:
	s_or_b32 exec_lo, exec_lo, s12
.LBB326_476:
	s_or_b32 exec_lo, exec_lo, s5
	ds_bpermute_b32 v2, v2, v8
	s_waitcnt lgkmcnt(0)
	v_add_f32_e32 v2, v8, v2
	ds_bpermute_b32 v4, v4, v2
	s_waitcnt lgkmcnt(0)
	v_add_f32_e32 v2, v2, v4
	;; [unrolled: 3-line block ×5, first 2 shown]
	s_and_saveexec_b32 s3, vcc_lo
; %bb.477:
	ds_write_b32 v6, v2 offset:240
; %bb.478:
	s_or_b32 exec_lo, exec_lo, s3
	s_waitcnt lgkmcnt(0)
	s_barrier
	buffer_gl0_inv
	s_and_saveexec_b32 s3, s1
; %bb.479:
	ds_read_b32 v2, v7 offset:240
; %bb.480:
	s_or_b32 exec_lo, exec_lo, s3
	s_waitcnt lgkmcnt(0)
	ds_bpermute_b32 v1, v1, v2
	s_waitcnt lgkmcnt(0)
	v_add_f32_e32 v1, v2, v1
	ds_bpermute_b32 v2, v22, v1
	s_waitcnt lgkmcnt(0)
	v_add_f32_e32 v1, v1, v2
	v_mov_b32_e32 v2, 0
	ds_bpermute_b32 v1, v2, v1
	s_and_saveexec_b32 s1, s2
	s_cbranch_execz .LBB326_483
; %bb.481:
	s_waitcnt lgkmcnt(0)
	v_add_f32_e32 v1, 0x358637bd, v1
	s_mov_b32 s2, 0
	v_div_scale_f32 v2, null, v1, v1, 1.0
	v_div_scale_f32 v6, vcc_lo, 1.0, v1, 1.0
	v_rcp_f32_e32 v4, v2
	v_fma_f32 v5, -v2, v4, 1.0
	v_fmac_f32_e32 v4, v5, v4
	v_mul_f32_e32 v5, v6, v4
	v_fma_f32 v7, -v2, v5, v6
	v_fmac_f32_e32 v5, v7, v4
	v_fma_f32 v2, -v2, v5, v6
	v_div_fmas_f32 v2, v2, v4, v5
	v_div_fixup_f32 v1, v2, v1, 1.0
	v_mov_b32_e32 v2, v0
.LBB326_482:                            ; =>This Inner Loop Header: Depth=1
	ds_read_b32 v4, v3
	v_add_nc_u32_e32 v2, 0x80, v2
	v_cmp_le_i32_e32 vcc_lo, s4, v2
	s_or_b32 s2, vcc_lo, s2
	s_waitcnt lgkmcnt(0)
	v_mul_f32_e32 v4, v1, v4
	ds_write_b32 v3, v4
	v_add_nc_u32_e32 v3, 0x200, v3
	s_andn2_b32 exec_lo, exec_lo, s2
	s_cbranch_execnz .LBB326_482
.LBB326_483:
	s_or_b32 exec_lo, exec_lo, s1
	v_mov_b32_e32 v29, 0
	v_mov_b32_e32 v28, 0
	;; [unrolled: 1-line block ×7, first 2 shown]
	s_waitcnt lgkmcnt(0)
	s_barrier
	buffer_gl0_inv
	s_and_saveexec_b32 s1, s0
	s_cbranch_execz .LBB326_923
; %bb.484:
	s_sub_i32 s4, s34, s21
	s_ashr_i32 s0, s18, 31
	s_add_u32 s18, s30, s18
	s_addc_u32 s0, s31, s0
	s_abs_i32 s5, s22
	v_and_b32_e32 v2, 0xf8, v13
	v_cvt_f32_u32_e32 v1, s5
	s_sub_i32 s2, 0, s5
	v_lshlrev_b32_e32 v4, 5, v18
	s_mov_b32 s12, s17
	v_add_co_u32 v11, s17, s18, v2
	v_rcp_iflag_f32_e32 v1, v1
	v_and_b32_e32 v3, 0x7c, v14
	s_add_i32 s13, s20, -1
	v_lshl_or_b32 v4, v52, 6, v4
	v_add_co_ci_u32_e64 v12, null, s0, 0, s17
	v_and_b32_e32 v30, 8, v13
	v_mov_b32_e32 v10, 0
	v_mov_b32_e32 v105, v18
	;; [unrolled: 1-line block ×3, first 2 shown]
	v_mul_f32_e32 v1, 0x4f7ffffe, v1
	v_mov_b32_e32 v32, 0xffff
	v_mov_b32_e32 v37, 0xff
	;; [unrolled: 1-line block ×4, first 2 shown]
	v_cvt_u32_f32_e32 v1, v1
	v_mov_b32_e32 v23, 0
	v_mov_b32_e32 v24, 0
	;; [unrolled: 1-line block ×4, first 2 shown]
	v_mul_lo_u32 v5, s2, v1
	s_lshl_b64 s[2:3], s[28:29], 2
	v_mov_b32_e32 v27, 0
	s_add_u32 s0, s26, s2
	s_addc_u32 s2, s27, s3
	v_add_co_u32 v13, s0, s0, v3
	v_mov_b32_e32 v28, 0
	v_mul_hi_u32 v2, v1, v5
	v_mov_b32_e32 v29, 0
	v_add_co_ci_u32_e64 v14, null, s2, 0, s0
	v_add_nc_u32_e32 v40, 0x100, v4
	v_mov_b32_e32 v42, v52
	v_mov_b32_e32 v106, v52
	s_mov_b32 s2, -1
	v_add_nc_u32_e32 v41, v1, v2
	s_mov_b32 s3, 0xffffff
	s_mov_b32 s17, 0
	s_branch .LBB326_487
.LBB326_485:                            ;   in Loop: Header=BB326_487 Depth=1
	s_or_b32 exec_lo, exec_lo, s0
	v_bfe_u32 v33, v5, 16, 1
	v_bfe_u32 v34, v6, 16, 1
	v_or_b32_e32 v35, 0x400000, v5
	v_cmp_u_f32_e32 vcc_lo, v5, v5
	v_or_b32_e32 v51, 0x400000, v6
	v_add3_u32 v33, v33, v5, 0x7fff
	v_bfe_u32 v52, v7, 16, 1
	v_add3_u32 v34, v34, v6, 0x7fff
	v_bfe_u32 v53, v8, 16, 1
	v_lshlrev_b32_e32 v19, 16, v19
	v_cndmask_b32_e32 v5, v33, v35, vcc_lo
	v_cmp_u_f32_e32 vcc_lo, v6, v6
	v_add3_u32 v33, v52, v7, 0x7fff
	v_bfe_u32 v35, v1, 16, 1
	v_or_b32_e32 v52, 0x400000, v8
	v_and_b32_e32 v5, 0xffff0000, v5
	v_cndmask_b32_e32 v6, v34, v51, vcc_lo
	v_or_b32_e32 v34, 0x400000, v7
	v_cmp_u_f32_e32 vcc_lo, v7, v7
	v_add3_u32 v51, v53, v8, 0x7fff
	v_lshlrev_b32_e32 v58, 16, v87
	v_lshlrev_b32_e32 v50, 16, v50
	;; [unrolled: 1-line block ×3, first 2 shown]
	v_cndmask_b32_e32 v7, v33, v34, vcc_lo
	v_cmp_u_f32_e32 vcc_lo, v8, v8
	v_add3_u32 v33, v35, v1, 0x7fff
	v_or_b32_e32 v34, 0x400000, v1
	v_bfe_u32 v35, v2, 16, 1
	v_mul_f32_e32 v49, v5, v49
	v_cndmask_b32_e32 v8, v51, v52, vcc_lo
	v_cmp_u_f32_e32 vcc_lo, v1, v1
	v_and_b32_e32 v1, 0xffff0000, v6
	v_lshlrev_b32_e32 v6, 16, v97
	v_add3_u32 v35, v35, v2, 0x7fff
	v_or_b32_e32 v51, 0x400000, v2
	v_cndmask_b32_e32 v33, v33, v34, vcc_lo
	v_bfe_u32 v34, v3, 16, 1
	v_cmp_u_f32_e32 vcc_lo, v2, v2
	v_or_b32_e32 v52, 0x400000, v3
	v_mul_f32_e32 v6, v1, v6
	v_lshlrev_b32_e32 v48, 16, v48
	v_add3_u32 v34, v34, v3, 0x7fff
	v_cndmask_b32_e32 v2, v35, v51, vcc_lo
	v_bfe_u32 v35, v4, 16, 1
	v_cmp_u_f32_e32 vcc_lo, v3, v3
	v_bfe_u32 v3, v6, 16, 1
	v_lshlrev_b32_e32 v51, 16, v95
	v_or_b32_e32 v54, 0x400000, v6
	v_add3_u32 v35, v35, v4, 0x7fff
	v_cndmask_b32_e32 v34, v34, v52, vcc_lo
	v_or_b32_e32 v52, 0x400000, v4
	v_cmp_u_f32_e32 vcc_lo, v4, v4
	v_add3_u32 v53, v3, v6, 0x7fff
	v_mul_f32_e32 v51, v5, v51
	v_and_b32_e32 v3, 0xffff0000, v8
	v_lshlrev_b32_e32 v8, 16, v93
	v_cndmask_b32_e32 v4, v35, v52, vcc_lo
	v_cmp_u_f32_e32 vcc_lo, v6, v6
	v_bfe_u32 v52, v51, 16, 1
	v_and_b32_e32 v6, 0xffff0000, v7
	v_lshlrev_b32_e32 v7, 16, v94
	v_and_b32_e32 v2, 0xffff0000, v2
	v_cndmask_b32_e32 v35, v53, v54, vcc_lo
	v_mul_f32_e32 v53, v3, v8
	v_lshlrev_b32_e32 v8, 16, v20
	v_add3_u32 v20, v52, v51, 0x7fff
	v_or_b32_e32 v52, 0x400000, v51
	v_mul_f32_e32 v7, v6, v7
	v_bfe_u32 v54, v53, 16, 1
	v_cmp_u_f32_e32 vcc_lo, v51, v51
	v_mul_f32_e32 v55, v2, v8
	v_and_b32_e32 v8, 0xffff0000, v33
	v_and_b32_e32 v4, 0xffff0000, v4
	v_add3_u32 v51, v54, v53, 0x7fff
	v_cndmask_b32_e32 v20, v20, v52, vcc_lo
	v_or_b32_e32 v52, 0x400000, v53
	v_bfe_u32 v54, v7, 16, 1
	v_cmp_u_f32_e32 vcc_lo, v53, v53
	v_bfe_u32 v56, v55, 16, 1
	v_mul_f32_e32 v19, v8, v19
	v_and_b32_e32 v20, 0xffff0000, v20
	v_and_b32_e32 v35, 0xffff0000, v35
	v_cndmask_b32_e32 v33, v51, v52, vcc_lo
	v_add3_u32 v51, v54, v7, 0x7fff
	v_or_b32_e32 v52, 0x400000, v7
	v_cmp_u_f32_e32 vcc_lo, v7, v7
	v_add3_u32 v53, v56, v55, 0x7fff
	v_lshlrev_b32_e32 v54, 16, v92
	v_or_b32_e32 v56, 0x400000, v55
	v_bfe_u32 v57, v19, 16, 1
	v_cndmask_b32_e32 v51, v51, v52, vcc_lo
	v_cmp_u_f32_e32 vcc_lo, v55, v55
	v_mul_f32_e32 v52, v4, v54
	v_or_b32_e32 v55, 0x400000, v19
	v_add3_u32 v54, v57, v19, 0x7fff
	v_and_b32_e32 v7, 0xffff0000, v34
	v_cndmask_b32_e32 v53, v53, v56, vcc_lo
	v_cmp_u_f32_e32 vcc_lo, v19, v19
	v_bfe_u32 v56, v52, 16, 1
	v_lshlrev_b32_e32 v34, 16, v91
	v_and_b32_e32 v51, 0xffff0000, v51
	v_and_b32_e32 v33, 0xffff0000, v33
	v_cndmask_b32_e32 v19, v54, v55, vcc_lo
	v_add3_u32 v54, v56, v52, 0x7fff
	v_or_b32_e32 v55, 0x400000, v52
	v_mul_f32_e32 v34, v7, v34
	v_cmp_u_f32_e32 vcc_lo, v52, v52
	v_add_f32_e32 v20, v20, v35
	v_add_f32_e32 v33, v51, v33
	v_and_b32_e32 v19, 0xffff0000, v19
	v_lshlrev_b32_e32 v35, 16, v90
	v_and_b32_e32 v51, 0xffff0000, v53
	v_cndmask_b32_e32 v52, v54, v55, vcc_lo
	v_bfe_u32 v54, v34, 16, 1
	v_add_f32_e32 v20, v33, v20
	v_mul_f32_e32 v33, v1, v35
	v_add_f32_e32 v19, v19, v51
	v_lshlrev_b32_e32 v35, 16, v89
	v_add3_u32 v53, v54, v34, 0x7fff
	v_or_b32_e32 v54, 0x400000, v34
	v_cmp_u_f32_e32 vcc_lo, v34, v34
	v_bfe_u32 v51, v33, 16, 1
	v_add_f32_e32 v19, v19, v20
	v_mul_f32_e32 v20, v5, v35
	v_lshlrev_b32_e32 v35, 16, v86
	v_cndmask_b32_e32 v34, v53, v54, vcc_lo
	v_add3_u32 v51, v51, v33, 0x7fff
	v_or_b32_e32 v53, 0x400000, v33
	v_bfe_u32 v54, v20, 16, 1
	v_mul_f32_e32 v35, v3, v35
	v_lshlrev_b32_e32 v55, 16, v88
	v_cmp_u_f32_e32 vcc_lo, v33, v33
	v_lshlrev_b32_e32 v56, 16, v84
	v_lshlrev_b32_e32 v57, 16, v83
	;; [unrolled: 1-line block ×3, first 2 shown]
	v_mul_f32_e32 v55, v6, v55
	v_cndmask_b32_e32 v33, v51, v53, vcc_lo
	v_add3_u32 v51, v54, v20, 0x7fff
	v_or_b32_e32 v53, 0x400000, v20
	v_bfe_u32 v54, v35, 16, 1
	v_cmp_u_f32_e32 vcc_lo, v20, v20
	v_mul_f32_e32 v56, v2, v56
	v_mul_f32_e32 v57, v8, v57
	v_and_b32_e32 v33, 0xffff0000, v33
	v_and_b32_e32 v34, 0xffff0000, v34
	v_cndmask_b32_e32 v20, v51, v53, vcc_lo
	v_add3_u32 v51, v54, v35, 0x7fff
	v_or_b32_e32 v53, 0x400000, v35
	v_bfe_u32 v54, v55, 16, 1
	v_cmp_u_f32_e32 vcc_lo, v35, v35
	v_or_b32_e32 v84, 0x400000, v57
	v_and_b32_e32 v20, 0xffff0000, v20
	v_and_b32_e32 v52, 0xffff0000, v52
	v_lshlrev_b32_e32 v44, 16, v44
	v_cndmask_b32_e32 v35, v51, v53, vcc_lo
	v_add3_u32 v51, v54, v55, 0x7fff
	v_or_b32_e32 v53, 0x400000, v55
	v_bfe_u32 v54, v56, 16, 1
	v_cmp_u_f32_e32 vcc_lo, v55, v55
	v_mul_f32_e32 v55, v4, v58
	v_mul_f32_e32 v58, v7, v83
	v_or_b32_e32 v83, 0x400000, v56
	v_add3_u32 v54, v54, v56, 0x7fff
	v_cndmask_b32_e32 v51, v51, v53, vcc_lo
	v_bfe_u32 v53, v57, 16, 1
	v_cmp_u_f32_e32 vcc_lo, v56, v56
	v_bfe_u32 v86, v58, 16, 1
	v_bfe_u32 v85, v55, 16, 1
	v_and_b32_e32 v51, 0xffff0000, v51
	v_add3_u32 v53, v53, v57, 0x7fff
	v_cndmask_b32_e32 v54, v54, v83, vcc_lo
	v_cmp_u_f32_e32 vcc_lo, v57, v57
	v_add3_u32 v57, v86, v58, 0x7fff
	v_or_b32_e32 v83, 0x400000, v58
	v_add3_u32 v56, v85, v55, 0x7fff
	v_and_b32_e32 v35, 0xffff0000, v35
	v_cndmask_b32_e32 v53, v53, v84, vcc_lo
	v_cmp_u_f32_e32 vcc_lo, v58, v58
	v_or_b32_e32 v84, 0x400000, v55
	v_add_f32_e32 v20, v20, v33
	v_add_f32_e32 v33, v51, v35
	v_and_b32_e32 v35, 0xffff0000, v53
	v_cndmask_b32_e32 v57, v57, v83, vcc_lo
	v_cmp_u_f32_e32 vcc_lo, v55, v55
	v_and_b32_e32 v51, 0xffff0000, v54
	v_add_f32_e32 v20, v33, v20
	v_add_f32_e32 v34, v34, v52
	v_lshlrev_b32_e32 v52, 16, v81
	v_cndmask_b32_e32 v53, v56, v84, vcc_lo
	v_add_f32_e32 v33, v35, v51
	v_and_b32_e32 v35, 0xffff0000, v57
	v_add_f32_e32 v19, v34, v19
	v_mul_f32_e32 v34, v5, v52
	v_and_b32_e32 v51, 0xffff0000, v53
	v_lshlrev_b32_e32 v53, 16, v82
	v_add_f32_e32 v20, v33, v20
	v_add_f32_e32 v24, v24, v19
	v_bfe_u32 v19, v34, 16, 1
	v_add_f32_e32 v33, v35, v51
	v_mul_f32_e32 v35, v1, v53
	v_lshlrev_b32_e32 v51, 16, v78
	v_lshlrev_b32_e32 v53, 16, v80
	v_add3_u32 v19, v19, v34, 0x7fff
	v_add_f32_e32 v20, v33, v20
	v_bfe_u32 v33, v35, 16, 1
	v_mul_f32_e32 v51, v3, v51
	v_cmp_u_f32_e32 vcc_lo, v35, v35
	v_or_b32_e32 v52, 0x400000, v34
	v_add_f32_e32 v25, v25, v20
	v_add3_u32 v20, v33, v35, 0x7fff
	v_or_b32_e32 v33, 0x400000, v35
	v_lshlrev_b32_e32 v35, 16, v75
	v_lshlrev_b32_e32 v55, 16, v79
	v_mul_f32_e32 v48, v6, v48
	v_mul_f32_e32 v44, v2, v44
	v_cndmask_b32_e32 v20, v20, v33, vcc_lo
	v_bfe_u32 v33, v51, 16, 1
	v_cmp_u_f32_e32 vcc_lo, v34, v34
	v_mul_f32_e32 v34, v6, v53
	v_lshlrev_b32_e32 v53, 16, v76
	v_mul_f32_e32 v35, v2, v35
	v_add3_u32 v33, v33, v51, 0x7fff
	v_cndmask_b32_e32 v19, v19, v52, vcc_lo
	v_or_b32_e32 v52, 0x400000, v51
	v_bfe_u32 v54, v34, 16, 1
	v_cmp_u_f32_e32 vcc_lo, v51, v51
	v_mul_f32_e32 v51, v8, v53
	v_or_b32_e32 v53, 0x400000, v34
	v_and_b32_e32 v19, 0xffff0000, v19
	v_and_b32_e32 v20, 0xffff0000, v20
	v_cndmask_b32_e32 v33, v33, v52, vcc_lo
	v_add3_u32 v52, v54, v34, 0x7fff
	v_bfe_u32 v54, v35, 16, 1
	v_bfe_u32 v56, v51, 16, 1
	v_cmp_u_f32_e32 vcc_lo, v34, v34
	v_or_b32_e32 v57, 0x400000, v51
	v_and_b32_e32 v33, 0xffff0000, v33
	v_add_f32_e32 v19, v19, v20
	v_lshlrev_b32_e32 v43, 16, v43
	v_cndmask_b32_e32 v34, v52, v53, vcc_lo
	v_add3_u32 v52, v54, v35, 0x7fff
	v_mul_f32_e32 v53, v4, v55
	v_or_b32_e32 v54, 0x400000, v35
	v_add3_u32 v55, v56, v51, 0x7fff
	v_lshlrev_b32_e32 v56, 16, v77
	v_cmp_u_f32_e32 vcc_lo, v35, v35
	v_bfe_u32 v58, v53, 16, 1
	v_and_b32_e32 v34, 0xffff0000, v34
	v_lshlrev_b32_e32 v47, 16, v47
	v_mul_f32_e32 v43, v8, v43
	v_cndmask_b32_e32 v35, v52, v54, vcc_lo
	v_mul_f32_e32 v52, v7, v56
	v_cmp_u_f32_e32 vcc_lo, v51, v51
	v_add3_u32 v54, v58, v53, 0x7fff
	v_add_f32_e32 v20, v34, v33
	v_and_b32_e32 v34, 0xffff0000, v35
	v_bfe_u32 v56, v52, 16, 1
	v_cndmask_b32_e32 v51, v55, v57, vcc_lo
	v_or_b32_e32 v55, 0x400000, v53
	v_cmp_u_f32_e32 vcc_lo, v53, v53
	v_lshlrev_b32_e32 v35, 16, v74
	v_add_f32_e32 v19, v20, v19
	v_and_b32_e32 v33, 0xffff0000, v51
	v_lshlrev_b32_e32 v51, 16, v73
	v_cndmask_b32_e32 v53, v54, v55, vcc_lo
	v_add3_u32 v54, v56, v52, 0x7fff
	v_or_b32_e32 v55, 0x400000, v52
	v_cmp_u_f32_e32 vcc_lo, v52, v52
	v_mul_f32_e32 v35, v1, v35
	v_add_f32_e32 v20, v33, v34
	v_mul_f32_e32 v33, v5, v51
	v_and_b32_e32 v51, 0xffff0000, v53
	v_cndmask_b32_e32 v52, v54, v55, vcc_lo
	v_lshlrev_b32_e32 v54, 16, v70
	v_add_f32_e32 v19, v20, v19
	v_bfe_u32 v53, v33, 16, 1
	v_cmp_u_f32_e32 vcc_lo, v35, v35
	v_and_b32_e32 v34, 0xffff0000, v52
	v_bfe_u32 v52, v35, 16, 1
	v_lshlrev_b32_e32 v55, 16, v72
	v_lshlrev_b32_e32 v57, 16, v71
	v_mul_f32_e32 v47, v4, v47
	v_add_f32_e32 v20, v34, v51
	v_add3_u32 v34, v52, v35, 0x7fff
	v_or_b32_e32 v51, 0x400000, v35
	v_add3_u32 v52, v53, v33, 0x7fff
	v_mul_f32_e32 v53, v3, v54
	v_or_b32_e32 v54, 0x400000, v33
	v_lshlrev_b32_e32 v45, 16, v45
	v_cndmask_b32_e32 v34, v34, v51, vcc_lo
	v_cmp_u_f32_e32 vcc_lo, v33, v33
	v_bfe_u32 v35, v53, 16, 1
	v_mul_f32_e32 v51, v6, v55
	v_lshlrev_b32_e32 v55, 16, v68
	v_and_b32_e32 v34, 0xffff0000, v34
	v_cndmask_b32_e32 v33, v52, v54, vcc_lo
	v_lshlrev_b32_e32 v52, 16, v67
	v_add3_u32 v35, v35, v53, 0x7fff
	v_or_b32_e32 v54, 0x400000, v53
	v_bfe_u32 v56, v51, 16, 1
	v_cmp_u_f32_e32 vcc_lo, v53, v53
	v_mul_f32_e32 v52, v2, v52
	v_mul_f32_e32 v53, v8, v55
	v_or_b32_e32 v55, 0x400000, v51
	v_and_b32_e32 v33, 0xffff0000, v33
	v_cndmask_b32_e32 v35, v35, v54, vcc_lo
	v_add3_u32 v54, v56, v51, 0x7fff
	v_bfe_u32 v56, v52, 16, 1
	v_bfe_u32 v58, v53, 16, 1
	v_cmp_u_f32_e32 vcc_lo, v51, v51
	v_or_b32_e32 v67, 0x400000, v53
	v_and_b32_e32 v35, 0xffff0000, v35
	v_add_f32_e32 v33, v33, v34
	v_mul_f32_e32 v45, v7, v45
	v_cndmask_b32_e32 v51, v54, v55, vcc_lo
	v_add3_u32 v54, v56, v52, 0x7fff
	v_mul_f32_e32 v55, v4, v57
	v_or_b32_e32 v56, 0x400000, v52
	v_add3_u32 v57, v58, v53, 0x7fff
	v_lshlrev_b32_e32 v58, 16, v69
	v_cmp_u_f32_e32 vcc_lo, v52, v52
	v_bfe_u32 v68, v55, 16, 1
	v_and_b32_e32 v51, 0xffff0000, v51
	v_lshlrev_b32_e32 v16, 16, v16
	v_lshlrev_b32_e32 v15, 16, v15
	v_cndmask_b32_e32 v52, v54, v56, vcc_lo
	v_mul_f32_e32 v54, v7, v58
	v_cmp_u_f32_e32 vcc_lo, v53, v53
	v_add3_u32 v56, v68, v55, 0x7fff
	v_add_f32_e32 v34, v51, v35
	v_and_b32_e32 v51, 0xffff0000, v52
	v_bfe_u32 v58, v54, 16, 1
	v_cndmask_b32_e32 v53, v57, v67, vcc_lo
	v_or_b32_e32 v57, 0x400000, v55
	v_cmp_u_f32_e32 vcc_lo, v55, v55
	v_lshlrev_b32_e32 v52, 16, v66
	v_add_f32_e32 v33, v34, v33
	v_and_b32_e32 v35, 0xffff0000, v53
	v_lshlrev_b32_e32 v9, 16, v9
	v_cndmask_b32_e32 v55, v56, v57, vcc_lo
	v_add3_u32 v56, v58, v54, 0x7fff
	v_or_b32_e32 v57, 0x400000, v54
	v_cmp_u_f32_e32 vcc_lo, v54, v54
	v_lshlrev_b32_e32 v54, 16, v65
	v_add_f32_e32 v34, v35, v51
	v_mul_f32_e32 v35, v1, v52
	v_lshlrev_b32_e32 v58, 16, v64
	v_cndmask_b32_e32 v53, v56, v57, vcc_lo
	v_lshlrev_b32_e32 v17, 16, v17
	v_add_f32_e32 v51, v34, v33
	v_bfe_u32 v56, v35, 16, 1
	v_cmp_u_f32_e32 vcc_lo, v35, v35
	v_and_b32_e32 v52, 0xffff0000, v53
	v_mul_f32_e32 v53, v5, v54
	v_and_b32_e32 v54, 0xffff0000, v55
	v_lshlrev_b32_e32 v55, 16, v62
	v_bfe_u32 v33, v53, 16, 1
	v_add_f32_e32 v52, v52, v54
	v_mul_f32_e32 v34, v3, v55
	v_add3_u32 v54, v56, v35, 0x7fff
	v_or_b32_e32 v55, 0x400000, v35
	v_add3_u32 v33, v33, v53, 0x7fff
	v_or_b32_e32 v56, 0x400000, v53
	v_bfe_u32 v57, v34, 16, 1
	v_cndmask_b32_e32 v35, v54, v55, vcc_lo
	v_cmp_u_f32_e32 vcc_lo, v53, v53
	v_mul_f32_e32 v53, v6, v58
	v_add3_u32 v54, v57, v34, 0x7fff
	v_or_b32_e32 v55, 0x400000, v34
	v_lshlrev_b32_e32 v57, 16, v60
	v_cndmask_b32_e32 v33, v33, v56, vcc_lo
	v_lshlrev_b32_e32 v56, 16, v59
	v_cmp_u_f32_e32 vcc_lo, v34, v34
	v_bfe_u32 v58, v53, 16, 1
	v_and_b32_e32 v35, 0xffff0000, v35
	v_and_b32_e32 v33, 0xffff0000, v33
	v_cndmask_b32_e32 v34, v54, v55, vcc_lo
	v_mul_f32_e32 v54, v2, v56
	v_mul_f32_e32 v55, v8, v57
	v_add3_u32 v56, v58, v53, 0x7fff
	v_or_b32_e32 v57, 0x400000, v53
	v_lshlrev_b32_e32 v58, 16, v63
	v_bfe_u32 v59, v54, 16, 1
	v_cmp_u_f32_e32 vcc_lo, v53, v53
	v_bfe_u32 v60, v55, 16, 1
	v_and_b32_e32 v34, 0xffff0000, v34
	v_add_f32_e32 v33, v33, v35
	v_mul_f32_e32 v8, v8, v15
	v_cndmask_b32_e32 v53, v56, v57, vcc_lo
	v_mul_f32_e32 v56, v4, v58
	v_add3_u32 v57, v59, v54, 0x7fff
	v_or_b32_e32 v58, 0x400000, v54
	v_cmp_u_f32_e32 vcc_lo, v54, v54
	v_add3_u32 v59, v60, v55, 0x7fff
	v_or_b32_e32 v60, 0x400000, v55
	v_bfe_u32 v62, v56, 16, 1
	v_and_b32_e32 v53, 0xffff0000, v53
	v_cndmask_b32_e32 v54, v57, v58, vcc_lo
	v_lshlrev_b32_e32 v57, 16, v61
	v_cmp_u_f32_e32 vcc_lo, v55, v55
	v_add3_u32 v58, v62, v56, 0x7fff
	v_add_f32_e32 v34, v53, v34
	v_and_b32_e32 v53, 0xffff0000, v54
	v_mul_f32_e32 v57, v7, v57
	v_cndmask_b32_e32 v55, v59, v60, vcc_lo
	v_or_b32_e32 v59, 0x400000, v56
	v_cmp_u_f32_e32 vcc_lo, v56, v56
	v_add_f32_e32 v33, v34, v33
	v_mul_f32_e32 v34, v1, v50
	v_and_b32_e32 v35, 0xffff0000, v55
	v_or_b32_e32 v55, 0x400000, v57
	v_cndmask_b32_e32 v56, v58, v59, vcc_lo
	v_bfe_u32 v58, v57, 16, 1
	v_cmp_u_f32_e32 vcc_lo, v57, v57
	v_add_f32_e32 v35, v35, v53
	v_bfe_u32 v53, v34, 16, 1
	v_mul_f32_e32 v2, v2, v9
	v_add3_u32 v54, v58, v57, 0x7fff
	v_lshlrev_b32_e32 v9, 16, v18
	v_add_f32_e32 v33, v35, v33
	v_lshlrev_b32_e32 v35, 16, v46
	v_mul_f32_e32 v4, v4, v17
	v_cndmask_b32_e32 v50, v54, v55, vcc_lo
	v_bfe_u32 v55, v49, 16, 1
	v_cmp_u_f32_e32 vcc_lo, v34, v34
	v_mul_f32_e32 v35, v3, v35
	v_and_b32_e32 v54, 0xffff0000, v56
	v_and_b32_e32 v46, 0xffff0000, v50
	v_add3_u32 v50, v53, v34, 0x7fff
	v_or_b32_e32 v53, 0x400000, v34
	v_or_b32_e32 v56, 0x400000, v35
	v_mul_f32_e32 v3, v3, v16
	v_mul_f32_e32 v7, v7, v9
	v_or_b32_e32 v9, 0x400000, v8
	v_cndmask_b32_e32 v34, v50, v53, vcc_lo
	v_bfe_u32 v50, v35, 16, 1
	v_add3_u32 v53, v55, v49, 0x7fff
	v_or_b32_e32 v55, 0x400000, v49
	v_cmp_u_f32_e32 vcc_lo, v49, v49
	v_and_b32_e32 v34, 0xffff0000, v34
	v_add3_u32 v50, v50, v35, 0x7fff
	v_or_b32_e32 v17, 0x400000, v2
	v_bfe_u32 v18, v7, 16, 1
	v_cndmask_b32_e32 v49, v53, v55, vcc_lo
	v_bfe_u32 v53, v48, 16, 1
	v_cmp_u_f32_e32 vcc_lo, v35, v35
	v_or_b32_e32 v55, 0x400000, v48
	v_and_b32_e32 v49, 0xffff0000, v49
	v_add3_u32 v53, v53, v48, 0x7fff
	v_cndmask_b32_e32 v35, v50, v56, vcc_lo
	v_bfe_u32 v50, v44, 16, 1
	v_cmp_u_f32_e32 vcc_lo, v48, v48
	v_or_b32_e32 v56, 0x400000, v44
	v_add_f32_e32 v34, v49, v34
	v_and_b32_e32 v35, 0xffff0000, v35
	v_add3_u32 v50, v50, v44, 0x7fff
	v_cndmask_b32_e32 v48, v53, v55, vcc_lo
	v_bfe_u32 v53, v43, 16, 1
	v_cmp_u_f32_e32 vcc_lo, v44, v44
	v_bfe_u32 v55, v47, 16, 1
	v_and_b32_e32 v48, 0xffff0000, v48
	v_cndmask_b32_e32 v44, v50, v56, vcc_lo
	v_add3_u32 v50, v53, v43, 0x7fff
	v_or_b32_e32 v53, 0x400000, v43
	v_cmp_u_f32_e32 vcc_lo, v43, v43
	v_add3_u32 v55, v55, v47, 0x7fff
	v_or_b32_e32 v56, 0x400000, v47
	v_add_f32_e32 v35, v48, v35
	v_and_b32_e32 v44, 0xffff0000, v44
	v_cndmask_b32_e32 v43, v50, v53, vcc_lo
	v_cmp_u_f32_e32 vcc_lo, v47, v47
	v_bfe_u32 v50, v45, 16, 1
	v_lshlrev_b32_e32 v48, 16, v98
	v_or_b32_e32 v53, 0x400000, v45
	v_and_b32_e32 v43, 0xffff0000, v43
	v_cndmask_b32_e32 v47, v55, v56, vcc_lo
	v_lshlrev_b32_e32 v55, 16, v99
	v_add3_u32 v50, v50, v45, 0x7fff
	v_cmp_u_f32_e32 vcc_lo, v45, v45
	v_add_f32_e32 v34, v35, v34
	v_add_f32_e32 v43, v43, v44
	v_mul_f32_e32 v5, v5, v55
	v_mul_f32_e32 v1, v1, v48
	v_lshlrev_b32_e32 v44, 16, v96
	v_cndmask_b32_e32 v45, v50, v53, vcc_lo
	v_bfe_u32 v35, v5, 16, 1
	v_or_b32_e32 v48, 0x400000, v5
	v_bfe_u32 v49, v1, 16, 1
	v_mul_f32_e32 v6, v6, v44
	v_cmp_u_f32_e32 vcc_lo, v5, v5
	v_add3_u32 v35, v35, v5, 0x7fff
	v_or_b32_e32 v44, 0x400000, v1
	v_and_b32_e32 v45, 0xffff0000, v45
	v_cndmask_b32_e32 v5, v35, v48, vcc_lo
	v_add3_u32 v35, v49, v1, 0x7fff
	v_bfe_u32 v48, v6, 16, 1
	v_cmp_u_f32_e32 vcc_lo, v1, v1
	v_and_b32_e32 v5, 0xffff0000, v5
	v_add3_u32 v16, v48, v6, 0x7fff
	v_cndmask_b32_e32 v1, v35, v44, vcc_lo
	v_or_b32_e32 v35, 0x400000, v6
	v_bfe_u32 v44, v3, 16, 1
	v_cmp_u_f32_e32 vcc_lo, v6, v6
	v_and_b32_e32 v1, 0xffff0000, v1
	v_add3_u32 v15, v44, v3, 0x7fff
	v_cndmask_b32_e32 v6, v16, v35, vcc_lo
	v_or_b32_e32 v16, 0x400000, v3
	v_bfe_u32 v35, v8, 16, 1
	v_cmp_u_f32_e32 vcc_lo, v3, v3
	v_add_f32_e32 v1, v5, v1
	v_and_b32_e32 v6, 0xffff0000, v6
	v_cndmask_b32_e32 v3, v15, v16, vcc_lo
	v_bfe_u32 v15, v2, 16, 1
	v_add3_u32 v16, v35, v8, 0x7fff
	v_cmp_u_f32_e32 vcc_lo, v8, v8
	v_bfe_u32 v35, v4, 16, 1
	v_and_b32_e32 v3, 0xffff0000, v3
	v_add3_u32 v15, v15, v2, 0x7fff
	v_cndmask_b32_e32 v8, v16, v9, vcc_lo
	v_cmp_u_f32_e32 vcc_lo, v2, v2
	v_or_b32_e32 v16, 0x400000, v4
	v_add3_u32 v9, v18, v7, 0x7fff
	v_add_f32_e32 v3, v6, v3
	v_and_b32_e32 v5, 0xffff0000, v8
	v_cndmask_b32_e32 v2, v15, v17, vcc_lo
	v_add3_u32 v15, v35, v4, 0x7fff
	v_cmp_u_f32_e32 vcc_lo, v4, v4
	v_or_b32_e32 v17, 0x400000, v7
	v_add_f32_e32 v1, v3, v1
	v_and_b32_e32 v2, 0xffff0000, v2
	v_cndmask_b32_e32 v4, v15, v16, vcc_lo
	v_cmp_u_f32_e32 vcc_lo, v7, v7
	v_and_b32_e32 v7, 0xffff0000, v47
	v_add_f32_e32 v2, v5, v2
	v_add_f32_e32 v5, v46, v54
	v_and_b32_e32 v3, 0xffff0000, v4
	v_cndmask_b32_e32 v6, v9, v17, vcc_lo
	v_add_f32_e32 v7, v45, v7
	v_add_f32_e32 v1, v2, v1
	;; [unrolled: 1-line block ×3, first 2 shown]
	v_and_b32_e32 v4, 0xffff0000, v6
	v_add_f32_e32 v6, v43, v34
	v_add_f32_e32 v28, v28, v5
	;; [unrolled: 1-line block ×11, first 2 shown]
.LBB326_486:                            ;   in Loop: Header=BB326_487 Depth=1
	s_or_b32 exec_lo, exec_lo, s18
	v_add_nc_u32_e32 v42, 4, v42
	v_add_co_u32 v13, s0, v13, 16
	v_add_co_ci_u32_e64 v14, null, 0, v14, s0
	v_cmp_le_i32_e32 vcc_lo, s20, v42
	v_add_nc_u32_e32 v36, 64, v36
	v_add_nc_u32_e32 v40, 0x100, v40
	s_or_b32 s17, vcc_lo, s17
	s_andn2_b32 exec_lo, exec_lo, s17
	s_cbranch_execz .LBB326_922
.LBB326_487:                            ; =>This Inner Loop Header: Depth=1
	v_mul_hi_u32 v1, v36, s19
	v_mul_lo_u32 v2, v1, s16
	v_add_nc_u32_e32 v3, 1, v1
	v_sub_nc_u32_e32 v2, v36, v2
	v_subrev_nc_u32_e32 v4, s16, v2
	v_cmp_le_u32_e32 vcc_lo, s16, v2
	v_cndmask_b32_e32 v1, v1, v3, vcc_lo
	v_cndmask_b32_e32 v2, v2, v4, vcc_lo
	v_add_nc_u32_e32 v3, 1, v1
	v_cmp_le_u32_e32 vcc_lo, s16, v2
	v_cndmask_b32_e32 v1, v1, v3, vcc_lo
	v_xor_b32_e32 v1, s23, v1
	v_subrev_nc_u32_e32 v1, s23, v1
	v_add_nc_u32_e32 v2, s25, v1
	v_cmp_lt_i32_e64 s0, s4, v1
	v_sub_nc_u32_e32 v3, 0, v2
	v_max_i32_e32 v3, v2, v3
	v_ashrrev_i32_e32 v2, 31, v2
	v_mul_hi_u32 v4, v3, v41
	v_mul_lo_u32 v4, v4, s5
	v_sub_nc_u32_e32 v3, v3, v4
	v_subrev_nc_u32_e32 v4, s5, v3
	v_cmp_le_u32_e32 vcc_lo, s5, v3
	v_cndmask_b32_e32 v3, v3, v4, vcc_lo
	v_subrev_nc_u32_e32 v4, s5, v3
	v_cmp_le_u32_e32 vcc_lo, s5, v3
	v_cndmask_b32_e32 v3, v3, v4, vcc_lo
	v_xor_b32_e32 v3, v3, v2
	v_sub_nc_u32_e32 v2, v3, v2
	v_cmp_eq_u32_e32 vcc_lo, 0, v2
	s_or_b32 s0, vcc_lo, s0
	s_and_saveexec_b32 s18, s0
	s_cbranch_execz .LBB326_486
; %bb.488:                              ;   in Loop: Header=BB326_487 Depth=1
	global_load_dword v1, v[13:14], off
	v_mov_b32_e32 v43, 0
	v_mov_b32_e32 v45, 0
	s_waitcnt vmcnt(0)
	v_mad_i64_i32 v[15:16], null, v1, s12, v[11:12]
	global_load_dwordx2 v[17:18], v[15:16], off
	ds_read2_b64 v[5:8], v40 offset1:1
	ds_read2_b64 v[1:4], v40 offset0:2 offset1:3
	s_load_dword s21, s[14:15], 0x0
	s_waitcnt vmcnt(0)
	v_cmp_ne_u16_sdwa s22, v17, v10 src0_sel:BYTE_0 src1_sel:DWORD
	s_and_saveexec_b32 s0, s22
	s_cbranch_execz .LBB326_494
; %bb.489:                              ;   in Loop: Header=BB326_487 Depth=1
	v_cmp_ne_u16_sdwa s26, v17, v31 src0_sel:BYTE_0 src1_sel:DWORD
	v_bfrev_b32_e32 v45, 1
	s_and_saveexec_b32 s22, s26
	s_cbranch_execz .LBB326_493
; %bb.490:                              ;   in Loop: Header=BB326_487 Depth=1
	v_and_b32_e32 v9, 0x7f, v17
	v_mov_b32_e32 v45, 0x7f800001
	s_mov_b32 s26, exec_lo
	v_cmpx_ne_u32_e32 0x7f, v9
	s_cbranch_execz .LBB326_492
; %bb.491:                              ;   in Loop: Header=BB326_487 Depth=1
	v_and_b32_e32 v19, 7, v17
	v_lshrrev_b32_e32 v20, 3, v9
	v_cmp_gt_u32_e32 vcc_lo, 8, v9
	v_ffbh_u32_e32 v19, v19
	v_min_u32_e32 v19, 32, v19
	v_subrev_nc_u32_e32 v33, 28, v19
	v_sub_nc_u32_e32 v19, 29, v19
	v_cndmask_b32_e32 v9, v20, v19, vcc_lo
	v_cndmask_b32_e32 v19, 0, v33, vcc_lo
	v_lshl_add_u32 v9, v9, 23, 0x3c000000
	v_lshlrev_b64 v[19:20], v19, v[17:18]
	v_lshlrev_b32_e32 v20, 24, v17
	v_lshlrev_b32_e32 v19, 20, v19
	v_and_b32_e32 v20, 0x80000000, v20
	v_and_b32_e32 v19, 0x700000, v19
	v_or3_b32 v45, v19, v20, v9
.LBB326_492:                            ;   in Loop: Header=BB326_487 Depth=1
	s_or_b32 exec_lo, exec_lo, s26
.LBB326_493:                            ;   in Loop: Header=BB326_487 Depth=1
	s_or_b32 exec_lo, exec_lo, s22
.LBB326_494:                            ;   in Loop: Header=BB326_487 Depth=1
	s_or_b32 exec_lo, exec_lo, s0
	v_cmp_ne_u16_sdwa s22, v17, v10 src0_sel:BYTE_1 src1_sel:DWORD
	s_and_saveexec_b32 s0, s22
	s_cbranch_execz .LBB326_502
; %bb.495:                              ;   in Loop: Header=BB326_487 Depth=1
	v_cmp_ne_u16_sdwa s26, v17, v31 src0_sel:BYTE_1 src1_sel:DWORD
	v_bfrev_b32_e32 v43, 1
	s_and_saveexec_b32 s22, s26
	s_cbranch_execz .LBB326_501
; %bb.496:                              ;   in Loop: Header=BB326_487 Depth=1
	v_and_b32_sdwa v9, v32, v17 dst_sel:DWORD dst_unused:UNUSED_PAD src0_sel:DWORD src1_sel:BYTE_1
	v_mov_b32_e32 v43, 0x7f800001
	s_mov_b32 s26, exec_lo
	v_and_b32_e32 v20, 0x7f, v9
	v_cmpx_ne_u32_e32 0x7f, v20
	s_cbranch_execz .LBB326_500
; %bb.497:                              ;   in Loop: Header=BB326_487 Depth=1
	v_and_b32_e32 v9, 7, v9
	v_lshrrev_b32_e32 v19, 3, v20
	s_mov_b32 s27, exec_lo
	v_cmpx_gt_u32_e32 8, v20
; %bb.498:                              ;   in Loop: Header=BB326_487 Depth=1
	v_ffbh_u32_e32 v19, v9
	v_min_u32_e32 v19, 32, v19
	v_subrev_nc_u32_e32 v20, 28, v19
	v_sub_nc_u32_e32 v19, 29, v19
	v_lshlrev_b64 v[43:44], v20, v[9:10]
	v_and_b32_e32 v9, 7, v43
; %bb.499:                              ;   in Loop: Header=BB326_487 Depth=1
	s_or_b32 exec_lo, exec_lo, s27
	v_lshlrev_b32_e32 v20, 16, v17
	v_lshlrev_b32_e32 v9, 20, v9
	v_lshl_add_u32 v19, v19, 23, 0x3c000000
	v_and_b32_e32 v20, 0x80000000, v20
	v_or3_b32 v43, v9, v20, v19
.LBB326_500:                            ;   in Loop: Header=BB326_487 Depth=1
	s_or_b32 exec_lo, exec_lo, s26
.LBB326_501:                            ;   in Loop: Header=BB326_487 Depth=1
	s_or_b32 exec_lo, exec_lo, s22
.LBB326_502:                            ;   in Loop: Header=BB326_487 Depth=1
	s_or_b32 exec_lo, exec_lo, s0
	v_and_b32_sdwa v9, v17, v37 dst_sel:DWORD dst_unused:UNUSED_PAD src0_sel:WORD_1 src1_sel:DWORD
	v_mov_b32_e32 v46, 0
	v_mov_b32_e32 v44, 0
	s_mov_b32 s0, exec_lo
	v_cmpx_ne_u16_e32 0, v9
	s_cbranch_execz .LBB326_510
; %bb.503:                              ;   in Loop: Header=BB326_487 Depth=1
	v_bfrev_b32_e32 v44, 1
	s_mov_b32 s22, exec_lo
	v_cmpx_ne_u16_e32 0x80, v9
	s_cbranch_execz .LBB326_509
; %bb.504:                              ;   in Loop: Header=BB326_487 Depth=1
	v_bfe_u32 v20, v17, 16, 7
	v_mov_b32_e32 v44, 0x7f800001
	s_mov_b32 s26, exec_lo
	v_cmpx_ne_u32_e32 0x7f, v20
	s_cbranch_execz .LBB326_508
; %bb.505:                              ;   in Loop: Header=BB326_487 Depth=1
	v_and_b32_sdwa v9, v17, v38 dst_sel:DWORD dst_unused:UNUSED_PAD src0_sel:WORD_1 src1_sel:DWORD
	v_lshrrev_b32_e32 v19, 3, v20
	s_mov_b32 s27, exec_lo
	v_cmpx_gt_u32_e32 8, v20
; %bb.506:                              ;   in Loop: Header=BB326_487 Depth=1
	v_ffbh_u32_e32 v19, v9
	v_min_u32_e32 v19, 32, v19
	v_subrev_nc_u32_e32 v20, 28, v19
	v_sub_nc_u32_e32 v19, 29, v19
	v_lshlrev_b64 v[47:48], v20, v[9:10]
	v_and_b32_e32 v9, 7, v47
; %bb.507:                              ;   in Loop: Header=BB326_487 Depth=1
	s_or_b32 exec_lo, exec_lo, s27
	v_lshlrev_b32_sdwa v20, v39, v17 dst_sel:DWORD dst_unused:UNUSED_PAD src0_sel:DWORD src1_sel:WORD_1
	v_lshlrev_b32_e32 v9, 20, v9
	v_lshl_add_u32 v19, v19, 23, 0x3c000000
	v_and_b32_e32 v20, 0x80000000, v20
	v_or3_b32 v44, v9, v20, v19
.LBB326_508:                            ;   in Loop: Header=BB326_487 Depth=1
	s_or_b32 exec_lo, exec_lo, s26
.LBB326_509:                            ;   in Loop: Header=BB326_487 Depth=1
	s_or_b32 exec_lo, exec_lo, s22
.LBB326_510:                            ;   in Loop: Header=BB326_487 Depth=1
	s_or_b32 exec_lo, exec_lo, s0
	s_mov_b32 s0, exec_lo
	v_cmpx_lt_u32_e32 0xffffff, v17
	s_cbranch_execz .LBB326_518
; %bb.511:                              ;   in Loop: Header=BB326_487 Depth=1
	v_cmp_ne_u32_sdwa s26, v17, v31 src0_sel:BYTE_3 src1_sel:DWORD
	v_bfrev_b32_e32 v46, 1
	s_and_saveexec_b32 s22, s26
	s_cbranch_execz .LBB326_517
; %bb.512:                              ;   in Loop: Header=BB326_487 Depth=1
	v_bfe_u32 v20, v17, 24, 7
	v_mov_b32_e32 v46, 0x7f800001
	s_mov_b32 s26, exec_lo
	v_cmpx_ne_u32_e32 0x7f, v20
	s_cbranch_execz .LBB326_516
; %bb.513:                              ;   in Loop: Header=BB326_487 Depth=1
	v_and_b32_sdwa v9, v17, v38 dst_sel:DWORD dst_unused:UNUSED_PAD src0_sel:BYTE_3 src1_sel:DWORD
	v_lshrrev_b32_e32 v19, 3, v20
	s_mov_b32 s27, exec_lo
	v_cmpx_gt_u32_e32 8, v20
; %bb.514:                              ;   in Loop: Header=BB326_487 Depth=1
	v_ffbh_u32_e32 v19, v9
	v_min_u32_e32 v19, 32, v19
	v_subrev_nc_u32_e32 v20, 28, v19
	v_sub_nc_u32_e32 v19, 29, v19
	v_lshlrev_b64 v[46:47], v20, v[9:10]
	v_and_b32_e32 v9, 7, v46
; %bb.515:                              ;   in Loop: Header=BB326_487 Depth=1
	s_or_b32 exec_lo, exec_lo, s27
	v_lshlrev_b32_sdwa v20, v39, v17 dst_sel:DWORD dst_unused:UNUSED_PAD src0_sel:DWORD src1_sel:BYTE_3
	v_lshlrev_b32_e32 v9, 20, v9
	v_lshl_add_u32 v19, v19, 23, 0x3c000000
	v_and_b32_e32 v20, 0x80000000, v20
	v_or3_b32 v46, v9, v20, v19
.LBB326_516:                            ;   in Loop: Header=BB326_487 Depth=1
	s_or_b32 exec_lo, exec_lo, s26
.LBB326_517:                            ;   in Loop: Header=BB326_487 Depth=1
	s_or_b32 exec_lo, exec_lo, s22
.LBB326_518:                            ;   in Loop: Header=BB326_487 Depth=1
	s_or_b32 exec_lo, exec_lo, s0
	v_mov_b32_e32 v9, v18
	v_cmp_ne_u16_sdwa s22, v18, v10 src0_sel:BYTE_0 src1_sel:DWORD
	v_mov_b32_e32 v19, 0
	v_mov_b32_e32 v47, 0
	s_and_saveexec_b32 s0, s22
	s_cbranch_execz .LBB326_524
; %bb.519:                              ;   in Loop: Header=BB326_487 Depth=1
	v_cmp_ne_u16_sdwa s26, v18, v31 src0_sel:BYTE_0 src1_sel:DWORD
	v_bfrev_b32_e32 v47, 1
	s_and_saveexec_b32 s22, s26
	s_cbranch_execz .LBB326_523
; %bb.520:                              ;   in Loop: Header=BB326_487 Depth=1
	v_and_b32_e32 v20, 0x7f, v18
	v_mov_b32_e32 v47, 0x7f800001
	s_mov_b32 s26, exec_lo
	v_cmpx_ne_u32_e32 0x7f, v20
	s_cbranch_execz .LBB326_522
; %bb.521:                              ;   in Loop: Header=BB326_487 Depth=1
	v_and_b32_e32 v33, 7, v18
	v_lshrrev_b32_e32 v34, 3, v20
	v_cmp_gt_u32_e32 vcc_lo, 8, v20
	v_ffbh_u32_e32 v33, v33
	v_min_u32_e32 v33, 32, v33
	v_subrev_nc_u32_e32 v35, 28, v33
	v_sub_nc_u32_e32 v33, 29, v33
	v_cndmask_b32_e32 v20, v34, v33, vcc_lo
	v_cndmask_b32_e32 v33, 0, v35, vcc_lo
	v_lshl_add_u32 v20, v20, 23, 0x3c000000
	v_lshlrev_b64 v[47:48], v33, v[9:10]
	v_lshlrev_b32_e32 v33, 24, v9
	v_and_b32_e32 v33, 0x80000000, v33
	v_lshlrev_b32_e32 v34, 20, v47
	v_and_b32_e32 v34, 0x700000, v34
	v_or3_b32 v47, v34, v33, v20
.LBB326_522:                            ;   in Loop: Header=BB326_487 Depth=1
	s_or_b32 exec_lo, exec_lo, s26
.LBB326_523:                            ;   in Loop: Header=BB326_487 Depth=1
	s_or_b32 exec_lo, exec_lo, s22
.LBB326_524:                            ;   in Loop: Header=BB326_487 Depth=1
	s_or_b32 exec_lo, exec_lo, s0
	v_cmp_ne_u16_sdwa s22, v9, v10 src0_sel:BYTE_1 src1_sel:DWORD
	s_and_saveexec_b32 s0, s22
	s_cbranch_execz .LBB326_532
; %bb.525:                              ;   in Loop: Header=BB326_487 Depth=1
	v_cmp_ne_u16_sdwa s26, v9, v31 src0_sel:BYTE_1 src1_sel:DWORD
	v_bfrev_b32_e32 v19, 1
	s_and_saveexec_b32 s22, s26
	s_cbranch_execz .LBB326_531
; %bb.526:                              ;   in Loop: Header=BB326_487 Depth=1
	v_and_b32_sdwa v20, v32, v9 dst_sel:DWORD dst_unused:UNUSED_PAD src0_sel:DWORD src1_sel:BYTE_1
	v_mov_b32_e32 v19, 0x7f800001
	s_mov_b32 s26, exec_lo
	v_and_b32_e32 v49, 0x7f, v20
	v_cmpx_ne_u32_e32 0x7f, v49
	s_cbranch_execz .LBB326_530
; %bb.527:                              ;   in Loop: Header=BB326_487 Depth=1
	v_and_b32_e32 v19, 7, v20
	v_mov_b32_e32 v20, v10
	v_lshrrev_b32_e32 v48, 3, v49
	s_mov_b32 s27, exec_lo
	v_cmpx_gt_u32_e32 8, v49
; %bb.528:                              ;   in Loop: Header=BB326_487 Depth=1
	v_ffbh_u32_e32 v33, v19
	v_min_u32_e32 v33, 32, v33
	v_subrev_nc_u32_e32 v34, 28, v33
	v_sub_nc_u32_e32 v48, 29, v33
	v_lshlrev_b64 v[19:20], v34, v[19:20]
	v_and_b32_e32 v19, 7, v19
; %bb.529:                              ;   in Loop: Header=BB326_487 Depth=1
	s_or_b32 exec_lo, exec_lo, s27
	v_lshlrev_b32_e32 v9, 16, v9
	v_lshlrev_b32_e32 v19, 20, v19
	v_lshl_add_u32 v20, v48, 23, 0x3c000000
	v_and_b32_e32 v9, 0x80000000, v9
	v_or3_b32 v19, v19, v9, v20
.LBB326_530:                            ;   in Loop: Header=BB326_487 Depth=1
	s_or_b32 exec_lo, exec_lo, s26
.LBB326_531:                            ;   in Loop: Header=BB326_487 Depth=1
	s_or_b32 exec_lo, exec_lo, s22
.LBB326_532:                            ;   in Loop: Header=BB326_487 Depth=1
	s_or_b32 exec_lo, exec_lo, s0
	v_and_b32_sdwa v9, v18, v37 dst_sel:DWORD dst_unused:UNUSED_PAD src0_sel:WORD_1 src1_sel:DWORD
	v_mov_b32_e32 v20, 0
	v_mov_b32_e32 v48, 0
	s_mov_b32 s0, exec_lo
	v_cmpx_ne_u16_e32 0, v9
	s_cbranch_execz .LBB326_540
; %bb.533:                              ;   in Loop: Header=BB326_487 Depth=1
	v_bfrev_b32_e32 v48, 1
	s_mov_b32 s22, exec_lo
	v_cmpx_ne_u16_e32 0x80, v9
	s_cbranch_execz .LBB326_539
; %bb.534:                              ;   in Loop: Header=BB326_487 Depth=1
	v_bfe_u32 v49, v18, 16, 7
	v_mov_b32_e32 v48, 0x7f800001
	s_mov_b32 s26, exec_lo
	v_cmpx_ne_u32_e32 0x7f, v49
	s_cbranch_execz .LBB326_538
; %bb.535:                              ;   in Loop: Header=BB326_487 Depth=1
	v_and_b32_sdwa v9, v18, v38 dst_sel:DWORD dst_unused:UNUSED_PAD src0_sel:WORD_1 src1_sel:DWORD
	v_lshrrev_b32_e32 v48, 3, v49
	s_mov_b32 s27, exec_lo
	v_cmpx_gt_u32_e32 8, v49
; %bb.536:                              ;   in Loop: Header=BB326_487 Depth=1
	v_ffbh_u32_e32 v33, v9
	v_min_u32_e32 v33, 32, v33
	v_subrev_nc_u32_e32 v34, 28, v33
	v_sub_nc_u32_e32 v48, 29, v33
	v_lshlrev_b64 v[49:50], v34, v[9:10]
	v_and_b32_e32 v9, 7, v49
; %bb.537:                              ;   in Loop: Header=BB326_487 Depth=1
	s_or_b32 exec_lo, exec_lo, s27
	v_lshlrev_b32_sdwa v33, v39, v18 dst_sel:DWORD dst_unused:UNUSED_PAD src0_sel:DWORD src1_sel:WORD_1
	v_lshlrev_b32_e32 v9, 20, v9
	v_lshl_add_u32 v34, v48, 23, 0x3c000000
	v_and_b32_e32 v33, 0x80000000, v33
	v_or3_b32 v48, v9, v33, v34
.LBB326_538:                            ;   in Loop: Header=BB326_487 Depth=1
	s_or_b32 exec_lo, exec_lo, s26
.LBB326_539:                            ;   in Loop: Header=BB326_487 Depth=1
	s_or_b32 exec_lo, exec_lo, s22
.LBB326_540:                            ;   in Loop: Header=BB326_487 Depth=1
	s_or_b32 exec_lo, exec_lo, s0
	s_mov_b32 s0, exec_lo
	v_cmpx_lt_u64_e64 s[2:3], v[17:18]
	s_cbranch_execz .LBB326_548
; %bb.541:                              ;   in Loop: Header=BB326_487 Depth=1
	v_cmp_ne_u32_sdwa s26, v18, v31 src0_sel:BYTE_3 src1_sel:DWORD
	v_bfrev_b32_e32 v20, 1
	s_and_saveexec_b32 s22, s26
	s_cbranch_execz .LBB326_547
; %bb.542:                              ;   in Loop: Header=BB326_487 Depth=1
	v_bfe_u32 v49, v18, 24, 7
	v_mov_b32_e32 v20, 0x7f800001
	s_mov_b32 s26, exec_lo
	v_cmpx_ne_u32_e32 0x7f, v49
	s_cbranch_execz .LBB326_546
; %bb.543:                              ;   in Loop: Header=BB326_487 Depth=1
	v_and_b32_sdwa v9, v18, v38 dst_sel:DWORD dst_unused:UNUSED_PAD src0_sel:BYTE_3 src1_sel:DWORD
	v_lshrrev_b32_e32 v17, 3, v49
	s_mov_b32 s27, exec_lo
	v_cmpx_gt_u32_e32 8, v49
; %bb.544:                              ;   in Loop: Header=BB326_487 Depth=1
	v_ffbh_u32_e32 v17, v9
	v_min_u32_e32 v17, 32, v17
	v_subrev_nc_u32_e32 v20, 28, v17
	v_sub_nc_u32_e32 v17, 29, v17
	v_lshlrev_b64 v[49:50], v20, v[9:10]
	v_and_b32_e32 v9, 7, v49
; %bb.545:                              ;   in Loop: Header=BB326_487 Depth=1
	s_or_b32 exec_lo, exec_lo, s27
	v_lshlrev_b32_sdwa v18, v39, v18 dst_sel:DWORD dst_unused:UNUSED_PAD src0_sel:DWORD src1_sel:BYTE_3
	v_lshlrev_b32_e32 v9, 20, v9
	v_lshl_add_u32 v17, v17, 23, 0x3c000000
	v_and_b32_e32 v18, 0x80000000, v18
	v_or3_b32 v20, v9, v18, v17
.LBB326_546:                            ;   in Loop: Header=BB326_487 Depth=1
	s_or_b32 exec_lo, exec_lo, s26
.LBB326_547:                            ;   in Loop: Header=BB326_487 Depth=1
	s_or_b32 exec_lo, exec_lo, s22
.LBB326_548:                            ;   in Loop: Header=BB326_487 Depth=1
	s_or_b32 exec_lo, exec_lo, s0
	s_waitcnt lgkmcnt(0)
	v_mul_f32_e32 v9, s21, v19
	v_mul_f32_e32 v17, s21, v47
	;; [unrolled: 1-line block ×5, first 2 shown]
	v_bfe_u32 v19, v9, 16, 1
	v_or_b32_e32 v34, 0x400000, v9
	v_bfe_u32 v35, v17, 16, 1
	v_cmp_u_f32_e64 s0, v9, v9
	v_or_b32_e32 v44, 0x400000, v17
	v_add3_u32 v19, v19, v9, 0x7fff
	v_bfe_u32 v46, v18, 16, 1
	v_add3_u32 v35, v35, v17, 0x7fff
	v_or_b32_e32 v47, 0x400000, v18
	v_add_nc_u32_e32 v51, v30, v36
	v_cndmask_b32_e64 v9, v19, v34, s0
	v_cmp_u_f32_e64 s0, v17, v17
	v_bfe_u32 v19, v33, 16, 1
	v_add3_u32 v34, v46, v18, 0x7fff
	v_cmp_eq_u32_e32 vcc_lo, s13, v42
	v_add_nc_u32_e32 v58, 1, v51
	v_cndmask_b32_e64 v17, v35, v44, s0
	v_cmp_u_f32_e64 s0, v18, v18
	v_lshrrev_b32_e32 v44, 16, v9
	v_mul_f32_e32 v18, s21, v43
	v_add3_u32 v19, v19, v33, 0x7fff
	v_lshrrev_b32_e32 v43, 16, v17
	v_cndmask_b32_e64 v9, v34, v47, s0
	v_or_b32_e32 v34, 0x400000, v33
	v_cmp_u_f32_e64 s0, v33, v33
	v_mul_f32_e32 v33, s21, v48
	v_or_b32_e32 v48, 0x400000, v20
	v_lshrrev_b32_e32 v46, 16, v9
	v_bfe_u32 v9, v18, 16, 1
	v_cndmask_b32_e64 v17, v19, v34, s0
	v_mul_f32_e32 v19, s21, v45
	v_or_b32_e32 v34, 0x400000, v18
	v_cmp_u_f32_e64 s0, v18, v18
	v_add3_u32 v9, v9, v18, 0x7fff
	v_bfe_u32 v45, v33, 16, 1
	v_bfe_u32 v35, v19, 16, 1
	;; [unrolled: 1-line block ×3, first 2 shown]
	v_or_b32_e32 v47, 0x400000, v33
	v_cndmask_b32_e64 v9, v9, v34, s0
	v_cmp_u_f32_e64 s0, v19, v19
	v_add3_u32 v34, v35, v19, 0x7fff
	v_or_b32_e32 v35, 0x400000, v19
	v_add3_u32 v45, v45, v33, 0x7fff
	v_add3_u32 v18, v18, v20, 0x7fff
	v_lshrrev_b32_e32 v50, 16, v9
	v_add_nc_u32_e32 v57, 2, v51
	v_cndmask_b32_e64 v19, v34, v35, s0
	v_cmp_u_f32_e64 s0, v33, v33
	v_add_nc_u32_e32 v56, 3, v51
	v_add_nc_u32_e32 v55, 4, v51
	;; [unrolled: 1-line block ×3, first 2 shown]
	v_lshrrev_b32_e32 v49, 16, v19
	v_cndmask_b32_e64 v33, v45, v47, s0
	v_cmp_u_f32_e64 s0, v20, v20
	v_add_nc_u32_e32 v53, 6, v51
	v_add_nc_u32_e32 v52, 7, v51
	v_lshrrev_b32_e32 v45, 16, v33
	v_cndmask_b32_e64 v18, v18, v48, s0
	v_lshrrev_b32_e32 v48, 16, v17
	v_lshrrev_b32_e32 v47, 16, v18
	s_and_saveexec_b32 s22, vcc_lo
	s_cbranch_execz .LBB326_550
; %bb.549:                              ;   in Loop: Header=BB326_487 Depth=1
	v_cmp_gt_i32_e64 s0, s33, v51
	v_cndmask_b32_e64 v49, 0, v49, s0
	v_cmp_gt_i32_e64 s0, s33, v58
	v_cndmask_b32_e64 v50, 0, v50, s0
	;; [unrolled: 2-line block ×8, first 2 shown]
.LBB326_550:                            ;   in Loop: Header=BB326_487 Depth=1
	s_or_b32 exec_lo, exec_lo, s22
	global_load_dwordx2 v[17:18], v[15:16], off offset:256
	v_mov_b32_e32 v60, 0
	v_mov_b32_e32 v61, 0
	s_waitcnt vmcnt(0)
	v_cmp_ne_u16_sdwa s0, v17, v10 src0_sel:BYTE_0 src1_sel:DWORD
	s_and_saveexec_b32 s22, s0
	s_cbranch_execz .LBB326_556
; %bb.551:                              ;   in Loop: Header=BB326_487 Depth=1
	v_cmp_ne_u16_sdwa s0, v17, v31 src0_sel:BYTE_0 src1_sel:DWORD
	v_bfrev_b32_e32 v61, 1
	s_and_saveexec_b32 s26, s0
	s_cbranch_execz .LBB326_555
; %bb.552:                              ;   in Loop: Header=BB326_487 Depth=1
	v_and_b32_e32 v9, 0x7f, v17
	v_mov_b32_e32 v61, 0x7f800001
	s_mov_b32 s27, exec_lo
	v_cmpx_ne_u32_e32 0x7f, v9
	s_cbranch_execz .LBB326_554
; %bb.553:                              ;   in Loop: Header=BB326_487 Depth=1
	v_and_b32_e32 v19, 7, v17
	v_lshrrev_b32_e32 v20, 3, v9
	v_cmp_gt_u32_e64 s0, 8, v9
	v_ffbh_u32_e32 v19, v19
	v_min_u32_e32 v19, 32, v19
	v_subrev_nc_u32_e32 v33, 28, v19
	v_sub_nc_u32_e32 v19, 29, v19
	v_cndmask_b32_e64 v9, v20, v19, s0
	v_cndmask_b32_e64 v19, 0, v33, s0
	v_lshl_add_u32 v9, v9, 23, 0x3c000000
	v_lshlrev_b64 v[19:20], v19, v[17:18]
	v_lshlrev_b32_e32 v20, 24, v17
	v_lshlrev_b32_e32 v19, 20, v19
	v_and_b32_e32 v20, 0x80000000, v20
	v_and_b32_e32 v19, 0x700000, v19
	v_or3_b32 v61, v19, v20, v9
.LBB326_554:                            ;   in Loop: Header=BB326_487 Depth=1
	s_or_b32 exec_lo, exec_lo, s27
.LBB326_555:                            ;   in Loop: Header=BB326_487 Depth=1
	s_or_b32 exec_lo, exec_lo, s26
.LBB326_556:                            ;   in Loop: Header=BB326_487 Depth=1
	s_or_b32 exec_lo, exec_lo, s22
	v_cmp_ne_u16_sdwa s0, v17, v10 src0_sel:BYTE_1 src1_sel:DWORD
	s_and_saveexec_b32 s22, s0
	s_cbranch_execz .LBB326_564
; %bb.557:                              ;   in Loop: Header=BB326_487 Depth=1
	v_cmp_ne_u16_sdwa s0, v17, v31 src0_sel:BYTE_1 src1_sel:DWORD
	v_bfrev_b32_e32 v60, 1
	s_and_saveexec_b32 s26, s0
	s_cbranch_execz .LBB326_563
; %bb.558:                              ;   in Loop: Header=BB326_487 Depth=1
	v_and_b32_sdwa v9, v32, v17 dst_sel:DWORD dst_unused:UNUSED_PAD src0_sel:DWORD src1_sel:BYTE_1
	v_mov_b32_e32 v60, 0x7f800001
	s_mov_b32 s27, exec_lo
	v_and_b32_e32 v20, 0x7f, v9
	v_cmpx_ne_u32_e32 0x7f, v20
	s_cbranch_execz .LBB326_562
; %bb.559:                              ;   in Loop: Header=BB326_487 Depth=1
	v_and_b32_e32 v9, 7, v9
	v_lshrrev_b32_e32 v19, 3, v20
	s_mov_b32 s28, exec_lo
	v_cmpx_gt_u32_e32 8, v20
; %bb.560:                              ;   in Loop: Header=BB326_487 Depth=1
	v_ffbh_u32_e32 v19, v9
	v_min_u32_e32 v19, 32, v19
	v_subrev_nc_u32_e32 v20, 28, v19
	v_sub_nc_u32_e32 v19, 29, v19
	v_lshlrev_b64 v[59:60], v20, v[9:10]
	v_and_b32_e32 v9, 7, v59
; %bb.561:                              ;   in Loop: Header=BB326_487 Depth=1
	s_or_b32 exec_lo, exec_lo, s28
	v_lshlrev_b32_e32 v20, 16, v17
	v_lshlrev_b32_e32 v9, 20, v9
	v_lshl_add_u32 v19, v19, 23, 0x3c000000
	v_and_b32_e32 v20, 0x80000000, v20
	v_or3_b32 v60, v9, v20, v19
.LBB326_562:                            ;   in Loop: Header=BB326_487 Depth=1
	s_or_b32 exec_lo, exec_lo, s27
.LBB326_563:                            ;   in Loop: Header=BB326_487 Depth=1
	s_or_b32 exec_lo, exec_lo, s26
.LBB326_564:                            ;   in Loop: Header=BB326_487 Depth=1
	s_or_b32 exec_lo, exec_lo, s22
	v_and_b32_sdwa v9, v17, v37 dst_sel:DWORD dst_unused:UNUSED_PAD src0_sel:WORD_1 src1_sel:DWORD
	v_mov_b32_e32 v62, 0
	v_mov_b32_e32 v59, 0
	s_mov_b32 s22, exec_lo
	v_cmpx_ne_u16_e32 0, v9
	s_cbranch_execz .LBB326_572
; %bb.565:                              ;   in Loop: Header=BB326_487 Depth=1
	v_bfrev_b32_e32 v59, 1
	s_mov_b32 s26, exec_lo
	v_cmpx_ne_u16_e32 0x80, v9
	s_cbranch_execz .LBB326_571
; %bb.566:                              ;   in Loop: Header=BB326_487 Depth=1
	v_bfe_u32 v20, v17, 16, 7
	v_mov_b32_e32 v59, 0x7f800001
	s_mov_b32 s27, exec_lo
	v_cmpx_ne_u32_e32 0x7f, v20
	s_cbranch_execz .LBB326_570
; %bb.567:                              ;   in Loop: Header=BB326_487 Depth=1
	v_and_b32_sdwa v9, v17, v38 dst_sel:DWORD dst_unused:UNUSED_PAD src0_sel:WORD_1 src1_sel:DWORD
	v_lshrrev_b32_e32 v19, 3, v20
	s_mov_b32 s28, exec_lo
	v_cmpx_gt_u32_e32 8, v20
; %bb.568:                              ;   in Loop: Header=BB326_487 Depth=1
	v_ffbh_u32_e32 v19, v9
	v_min_u32_e32 v19, 32, v19
	v_subrev_nc_u32_e32 v20, 28, v19
	v_sub_nc_u32_e32 v19, 29, v19
	v_lshlrev_b64 v[63:64], v20, v[9:10]
	v_and_b32_e32 v9, 7, v63
; %bb.569:                              ;   in Loop: Header=BB326_487 Depth=1
	s_or_b32 exec_lo, exec_lo, s28
	v_lshlrev_b32_sdwa v20, v39, v17 dst_sel:DWORD dst_unused:UNUSED_PAD src0_sel:DWORD src1_sel:WORD_1
	v_lshlrev_b32_e32 v9, 20, v9
	v_lshl_add_u32 v19, v19, 23, 0x3c000000
	v_and_b32_e32 v20, 0x80000000, v20
	v_or3_b32 v59, v9, v20, v19
.LBB326_570:                            ;   in Loop: Header=BB326_487 Depth=1
	s_or_b32 exec_lo, exec_lo, s27
.LBB326_571:                            ;   in Loop: Header=BB326_487 Depth=1
	s_or_b32 exec_lo, exec_lo, s26
.LBB326_572:                            ;   in Loop: Header=BB326_487 Depth=1
	s_or_b32 exec_lo, exec_lo, s22
	s_mov_b32 s22, exec_lo
	v_cmpx_lt_u32_e32 0xffffff, v17
	s_cbranch_execz .LBB326_580
; %bb.573:                              ;   in Loop: Header=BB326_487 Depth=1
	v_cmp_ne_u32_sdwa s0, v17, v31 src0_sel:BYTE_3 src1_sel:DWORD
	v_bfrev_b32_e32 v62, 1
	s_and_saveexec_b32 s26, s0
	s_cbranch_execz .LBB326_579
; %bb.574:                              ;   in Loop: Header=BB326_487 Depth=1
	v_bfe_u32 v20, v17, 24, 7
	v_mov_b32_e32 v62, 0x7f800001
	s_mov_b32 s27, exec_lo
	v_cmpx_ne_u32_e32 0x7f, v20
	s_cbranch_execz .LBB326_578
; %bb.575:                              ;   in Loop: Header=BB326_487 Depth=1
	v_and_b32_sdwa v9, v17, v38 dst_sel:DWORD dst_unused:UNUSED_PAD src0_sel:BYTE_3 src1_sel:DWORD
	v_lshrrev_b32_e32 v19, 3, v20
	s_mov_b32 s28, exec_lo
	v_cmpx_gt_u32_e32 8, v20
; %bb.576:                              ;   in Loop: Header=BB326_487 Depth=1
	v_ffbh_u32_e32 v19, v9
	v_min_u32_e32 v19, 32, v19
	v_subrev_nc_u32_e32 v20, 28, v19
	v_sub_nc_u32_e32 v19, 29, v19
	v_lshlrev_b64 v[62:63], v20, v[9:10]
	v_and_b32_e32 v9, 7, v62
; %bb.577:                              ;   in Loop: Header=BB326_487 Depth=1
	s_or_b32 exec_lo, exec_lo, s28
	v_lshlrev_b32_sdwa v20, v39, v17 dst_sel:DWORD dst_unused:UNUSED_PAD src0_sel:DWORD src1_sel:BYTE_3
	v_lshlrev_b32_e32 v9, 20, v9
	v_lshl_add_u32 v19, v19, 23, 0x3c000000
	v_and_b32_e32 v20, 0x80000000, v20
	v_or3_b32 v62, v9, v20, v19
.LBB326_578:                            ;   in Loop: Header=BB326_487 Depth=1
	s_or_b32 exec_lo, exec_lo, s27
.LBB326_579:                            ;   in Loop: Header=BB326_487 Depth=1
	s_or_b32 exec_lo, exec_lo, s26
.LBB326_580:                            ;   in Loop: Header=BB326_487 Depth=1
	s_or_b32 exec_lo, exec_lo, s22
	v_mov_b32_e32 v9, v18
	v_cmp_ne_u16_sdwa s0, v18, v10 src0_sel:BYTE_0 src1_sel:DWORD
	v_mov_b32_e32 v19, 0
	v_mov_b32_e32 v63, 0
	s_and_saveexec_b32 s22, s0
	s_cbranch_execz .LBB326_586
; %bb.581:                              ;   in Loop: Header=BB326_487 Depth=1
	v_cmp_ne_u16_sdwa s0, v18, v31 src0_sel:BYTE_0 src1_sel:DWORD
	v_bfrev_b32_e32 v63, 1
	s_and_saveexec_b32 s26, s0
	s_cbranch_execz .LBB326_585
; %bb.582:                              ;   in Loop: Header=BB326_487 Depth=1
	v_and_b32_e32 v20, 0x7f, v18
	v_mov_b32_e32 v63, 0x7f800001
	s_mov_b32 s27, exec_lo
	v_cmpx_ne_u32_e32 0x7f, v20
	s_cbranch_execz .LBB326_584
; %bb.583:                              ;   in Loop: Header=BB326_487 Depth=1
	v_and_b32_e32 v33, 7, v18
	v_lshrrev_b32_e32 v34, 3, v20
	v_cmp_gt_u32_e64 s0, 8, v20
	v_ffbh_u32_e32 v33, v33
	v_min_u32_e32 v33, 32, v33
	v_subrev_nc_u32_e32 v35, 28, v33
	v_sub_nc_u32_e32 v33, 29, v33
	v_cndmask_b32_e64 v20, v34, v33, s0
	v_cndmask_b32_e64 v33, 0, v35, s0
	v_lshl_add_u32 v20, v20, 23, 0x3c000000
	v_lshlrev_b64 v[63:64], v33, v[9:10]
	v_lshlrev_b32_e32 v33, 24, v9
	v_and_b32_e32 v33, 0x80000000, v33
	v_lshlrev_b32_e32 v34, 20, v63
	v_and_b32_e32 v34, 0x700000, v34
	v_or3_b32 v63, v34, v33, v20
.LBB326_584:                            ;   in Loop: Header=BB326_487 Depth=1
	s_or_b32 exec_lo, exec_lo, s27
.LBB326_585:                            ;   in Loop: Header=BB326_487 Depth=1
	s_or_b32 exec_lo, exec_lo, s26
.LBB326_586:                            ;   in Loop: Header=BB326_487 Depth=1
	s_or_b32 exec_lo, exec_lo, s22
	v_cmp_ne_u16_sdwa s0, v9, v10 src0_sel:BYTE_1 src1_sel:DWORD
	s_and_saveexec_b32 s22, s0
	s_cbranch_execz .LBB326_594
; %bb.587:                              ;   in Loop: Header=BB326_487 Depth=1
	v_cmp_ne_u16_sdwa s0, v9, v31 src0_sel:BYTE_1 src1_sel:DWORD
	v_bfrev_b32_e32 v19, 1
	s_and_saveexec_b32 s26, s0
	s_cbranch_execz .LBB326_593
; %bb.588:                              ;   in Loop: Header=BB326_487 Depth=1
	v_and_b32_sdwa v20, v32, v9 dst_sel:DWORD dst_unused:UNUSED_PAD src0_sel:DWORD src1_sel:BYTE_1
	v_mov_b32_e32 v19, 0x7f800001
	s_mov_b32 s27, exec_lo
	v_and_b32_e32 v65, 0x7f, v20
	v_cmpx_ne_u32_e32 0x7f, v65
	s_cbranch_execz .LBB326_592
; %bb.589:                              ;   in Loop: Header=BB326_487 Depth=1
	v_and_b32_e32 v19, 7, v20
	v_mov_b32_e32 v20, v10
	v_lshrrev_b32_e32 v64, 3, v65
	s_mov_b32 s28, exec_lo
	v_cmpx_gt_u32_e32 8, v65
; %bb.590:                              ;   in Loop: Header=BB326_487 Depth=1
	v_ffbh_u32_e32 v33, v19
	v_min_u32_e32 v33, 32, v33
	v_subrev_nc_u32_e32 v34, 28, v33
	v_sub_nc_u32_e32 v64, 29, v33
	v_lshlrev_b64 v[19:20], v34, v[19:20]
	v_and_b32_e32 v19, 7, v19
; %bb.591:                              ;   in Loop: Header=BB326_487 Depth=1
	s_or_b32 exec_lo, exec_lo, s28
	v_lshlrev_b32_e32 v9, 16, v9
	v_lshlrev_b32_e32 v19, 20, v19
	v_lshl_add_u32 v20, v64, 23, 0x3c000000
	v_and_b32_e32 v9, 0x80000000, v9
	v_or3_b32 v19, v19, v9, v20
.LBB326_592:                            ;   in Loop: Header=BB326_487 Depth=1
	s_or_b32 exec_lo, exec_lo, s27
.LBB326_593:                            ;   in Loop: Header=BB326_487 Depth=1
	s_or_b32 exec_lo, exec_lo, s26
.LBB326_594:                            ;   in Loop: Header=BB326_487 Depth=1
	s_or_b32 exec_lo, exec_lo, s22
	v_and_b32_sdwa v9, v18, v37 dst_sel:DWORD dst_unused:UNUSED_PAD src0_sel:WORD_1 src1_sel:DWORD
	v_mov_b32_e32 v20, 0
	v_mov_b32_e32 v64, 0
	s_mov_b32 s22, exec_lo
	v_cmpx_ne_u16_e32 0, v9
	s_cbranch_execz .LBB326_602
; %bb.595:                              ;   in Loop: Header=BB326_487 Depth=1
	v_bfrev_b32_e32 v64, 1
	s_mov_b32 s26, exec_lo
	v_cmpx_ne_u16_e32 0x80, v9
	s_cbranch_execz .LBB326_601
; %bb.596:                              ;   in Loop: Header=BB326_487 Depth=1
	v_bfe_u32 v65, v18, 16, 7
	v_mov_b32_e32 v64, 0x7f800001
	s_mov_b32 s27, exec_lo
	v_cmpx_ne_u32_e32 0x7f, v65
	s_cbranch_execz .LBB326_600
; %bb.597:                              ;   in Loop: Header=BB326_487 Depth=1
	v_and_b32_sdwa v9, v18, v38 dst_sel:DWORD dst_unused:UNUSED_PAD src0_sel:WORD_1 src1_sel:DWORD
	v_lshrrev_b32_e32 v64, 3, v65
	s_mov_b32 s28, exec_lo
	v_cmpx_gt_u32_e32 8, v65
; %bb.598:                              ;   in Loop: Header=BB326_487 Depth=1
	v_ffbh_u32_e32 v33, v9
	v_min_u32_e32 v33, 32, v33
	v_subrev_nc_u32_e32 v34, 28, v33
	v_sub_nc_u32_e32 v64, 29, v33
	v_lshlrev_b64 v[65:66], v34, v[9:10]
	v_and_b32_e32 v9, 7, v65
; %bb.599:                              ;   in Loop: Header=BB326_487 Depth=1
	s_or_b32 exec_lo, exec_lo, s28
	v_lshlrev_b32_sdwa v33, v39, v18 dst_sel:DWORD dst_unused:UNUSED_PAD src0_sel:DWORD src1_sel:WORD_1
	v_lshlrev_b32_e32 v9, 20, v9
	v_lshl_add_u32 v34, v64, 23, 0x3c000000
	v_and_b32_e32 v33, 0x80000000, v33
	v_or3_b32 v64, v9, v33, v34
.LBB326_600:                            ;   in Loop: Header=BB326_487 Depth=1
	s_or_b32 exec_lo, exec_lo, s27
.LBB326_601:                            ;   in Loop: Header=BB326_487 Depth=1
	s_or_b32 exec_lo, exec_lo, s26
.LBB326_602:                            ;   in Loop: Header=BB326_487 Depth=1
	s_or_b32 exec_lo, exec_lo, s22
	s_mov_b32 s22, exec_lo
	v_cmpx_lt_u64_e64 s[2:3], v[17:18]
	s_cbranch_execz .LBB326_610
; %bb.603:                              ;   in Loop: Header=BB326_487 Depth=1
	v_cmp_ne_u32_sdwa s0, v18, v31 src0_sel:BYTE_3 src1_sel:DWORD
	v_bfrev_b32_e32 v20, 1
	s_and_saveexec_b32 s26, s0
	s_cbranch_execz .LBB326_609
; %bb.604:                              ;   in Loop: Header=BB326_487 Depth=1
	v_bfe_u32 v65, v18, 24, 7
	v_mov_b32_e32 v20, 0x7f800001
	s_mov_b32 s27, exec_lo
	v_cmpx_ne_u32_e32 0x7f, v65
	s_cbranch_execz .LBB326_608
; %bb.605:                              ;   in Loop: Header=BB326_487 Depth=1
	v_and_b32_sdwa v9, v18, v38 dst_sel:DWORD dst_unused:UNUSED_PAD src0_sel:BYTE_3 src1_sel:DWORD
	v_lshrrev_b32_e32 v17, 3, v65
	s_mov_b32 s28, exec_lo
	v_cmpx_gt_u32_e32 8, v65
; %bb.606:                              ;   in Loop: Header=BB326_487 Depth=1
	v_ffbh_u32_e32 v17, v9
	v_min_u32_e32 v17, 32, v17
	v_subrev_nc_u32_e32 v20, 28, v17
	v_sub_nc_u32_e32 v17, 29, v17
	v_lshlrev_b64 v[65:66], v20, v[9:10]
	v_and_b32_e32 v9, 7, v65
; %bb.607:                              ;   in Loop: Header=BB326_487 Depth=1
	s_or_b32 exec_lo, exec_lo, s28
	v_lshlrev_b32_sdwa v18, v39, v18 dst_sel:DWORD dst_unused:UNUSED_PAD src0_sel:DWORD src1_sel:BYTE_3
	v_lshlrev_b32_e32 v9, 20, v9
	v_lshl_add_u32 v17, v17, 23, 0x3c000000
	v_and_b32_e32 v18, 0x80000000, v18
	v_or3_b32 v20, v9, v18, v17
.LBB326_608:                            ;   in Loop: Header=BB326_487 Depth=1
	s_or_b32 exec_lo, exec_lo, s27
.LBB326_609:                            ;   in Loop: Header=BB326_487 Depth=1
	s_or_b32 exec_lo, exec_lo, s26
.LBB326_610:                            ;   in Loop: Header=BB326_487 Depth=1
	s_or_b32 exec_lo, exec_lo, s22
	v_mul_f32_e32 v9, s21, v19
	v_mul_f32_e32 v17, s21, v63
	;; [unrolled: 1-line block ×5, first 2 shown]
	v_bfe_u32 v33, v9, 16, 1
	v_or_b32_e32 v34, 0x400000, v9
	v_bfe_u32 v35, v17, 16, 1
	v_cmp_u_f32_e64 s0, v9, v9
	v_or_b32_e32 v59, 0x400000, v17
	v_add3_u32 v33, v33, v9, 0x7fff
	v_bfe_u32 v62, v18, 16, 1
	v_add3_u32 v35, v35, v17, 0x7fff
	v_or_b32_e32 v63, 0x400000, v18
	v_bfe_u32 v65, v19, 16, 1
	v_cndmask_b32_e64 v9, v33, v34, s0
	v_cmp_u_f32_e64 s0, v17, v17
	v_add3_u32 v62, v62, v18, 0x7fff
	v_or_b32_e32 v34, 0x400000, v19
	v_add3_u32 v33, v65, v19, 0x7fff
	v_cndmask_b32_e64 v17, v35, v59, s0
	v_cmp_u_f32_e64 s0, v18, v18
	v_lshrrev_b32_e32 v59, 16, v9
	v_mul_f32_e32 v9, s21, v60
	v_lshrrev_b32_e32 v60, 16, v17
	v_cndmask_b32_e64 v18, v62, v63, s0
	v_cmp_u_f32_e64 s0, v19, v19
	v_bfe_u32 v17, v9, 16, 1
	v_mul_f32_e32 v19, s21, v61
	v_lshrrev_b32_e32 v62, 16, v18
	v_cndmask_b32_e64 v18, v33, v34, s0
	v_mul_f32_e32 v33, s21, v64
	v_add3_u32 v17, v17, v9, 0x7fff
	v_or_b32_e32 v34, 0x400000, v9
	v_bfe_u32 v35, v19, 16, 1
	v_cmp_u_f32_e64 s0, v9, v9
	v_bfe_u32 v61, v33, 16, 1
	v_or_b32_e32 v63, 0x400000, v33
	v_or_b32_e32 v64, 0x400000, v20
	v_cndmask_b32_e64 v9, v17, v34, s0
	v_add3_u32 v34, v35, v19, 0x7fff
	v_or_b32_e32 v35, 0x400000, v19
	v_cmp_u_f32_e64 s0, v19, v19
	v_bfe_u32 v17, v20, 16, 1
	v_add3_u32 v61, v61, v33, 0x7fff
	v_lshrrev_b32_e32 v66, 16, v9
	v_cndmask_b32_e64 v19, v34, v35, s0
	v_cmp_u_f32_e64 s0, v33, v33
	v_add3_u32 v17, v17, v20, 0x7fff
	v_lshrrev_b32_e32 v65, 16, v19
	v_cndmask_b32_e64 v33, v61, v63, s0
	v_cmp_u_f32_e64 s0, v20, v20
	v_lshrrev_b32_e32 v61, 16, v33
	v_cndmask_b32_e64 v17, v17, v64, s0
	v_lshrrev_b32_e32 v64, 16, v18
	v_lshrrev_b32_e32 v63, 16, v17
	s_and_saveexec_b32 s22, vcc_lo
	s_cbranch_execz .LBB326_612
; %bb.611:                              ;   in Loop: Header=BB326_487 Depth=1
	v_cmp_gt_i32_e64 s0, s33, v51
	v_cndmask_b32_e64 v65, 0, v65, s0
	v_cmp_gt_i32_e64 s0, s33, v58
	v_cndmask_b32_e64 v66, 0, v66, s0
	;; [unrolled: 2-line block ×8, first 2 shown]
.LBB326_612:                            ;   in Loop: Header=BB326_487 Depth=1
	s_or_b32 exec_lo, exec_lo, s22
	global_load_dwordx2 v[17:18], v[15:16], off offset:512
	v_mov_b32_e32 v68, 0
	v_mov_b32_e32 v69, 0
	s_waitcnt vmcnt(0)
	v_cmp_ne_u16_sdwa s0, v17, v10 src0_sel:BYTE_0 src1_sel:DWORD
	s_and_saveexec_b32 s22, s0
	s_cbranch_execz .LBB326_618
; %bb.613:                              ;   in Loop: Header=BB326_487 Depth=1
	v_cmp_ne_u16_sdwa s0, v17, v31 src0_sel:BYTE_0 src1_sel:DWORD
	v_bfrev_b32_e32 v69, 1
	s_and_saveexec_b32 s26, s0
	s_cbranch_execz .LBB326_617
; %bb.614:                              ;   in Loop: Header=BB326_487 Depth=1
	v_and_b32_e32 v9, 0x7f, v17
	v_mov_b32_e32 v69, 0x7f800001
	s_mov_b32 s27, exec_lo
	v_cmpx_ne_u32_e32 0x7f, v9
	s_cbranch_execz .LBB326_616
; %bb.615:                              ;   in Loop: Header=BB326_487 Depth=1
	v_and_b32_e32 v19, 7, v17
	v_lshrrev_b32_e32 v20, 3, v9
	v_cmp_gt_u32_e64 s0, 8, v9
	v_ffbh_u32_e32 v19, v19
	v_min_u32_e32 v19, 32, v19
	v_subrev_nc_u32_e32 v33, 28, v19
	v_sub_nc_u32_e32 v19, 29, v19
	v_cndmask_b32_e64 v9, v20, v19, s0
	v_cndmask_b32_e64 v19, 0, v33, s0
	v_lshl_add_u32 v9, v9, 23, 0x3c000000
	v_lshlrev_b64 v[19:20], v19, v[17:18]
	v_lshlrev_b32_e32 v20, 24, v17
	v_lshlrev_b32_e32 v19, 20, v19
	v_and_b32_e32 v20, 0x80000000, v20
	v_and_b32_e32 v19, 0x700000, v19
	v_or3_b32 v69, v19, v20, v9
.LBB326_616:                            ;   in Loop: Header=BB326_487 Depth=1
	s_or_b32 exec_lo, exec_lo, s27
.LBB326_617:                            ;   in Loop: Header=BB326_487 Depth=1
	s_or_b32 exec_lo, exec_lo, s26
.LBB326_618:                            ;   in Loop: Header=BB326_487 Depth=1
	s_or_b32 exec_lo, exec_lo, s22
	v_cmp_ne_u16_sdwa s0, v17, v10 src0_sel:BYTE_1 src1_sel:DWORD
	s_and_saveexec_b32 s22, s0
	s_cbranch_execz .LBB326_626
; %bb.619:                              ;   in Loop: Header=BB326_487 Depth=1
	v_cmp_ne_u16_sdwa s0, v17, v31 src0_sel:BYTE_1 src1_sel:DWORD
	v_bfrev_b32_e32 v68, 1
	s_and_saveexec_b32 s26, s0
	s_cbranch_execz .LBB326_625
; %bb.620:                              ;   in Loop: Header=BB326_487 Depth=1
	v_and_b32_sdwa v9, v32, v17 dst_sel:DWORD dst_unused:UNUSED_PAD src0_sel:DWORD src1_sel:BYTE_1
	v_mov_b32_e32 v68, 0x7f800001
	s_mov_b32 s27, exec_lo
	v_and_b32_e32 v20, 0x7f, v9
	v_cmpx_ne_u32_e32 0x7f, v20
	s_cbranch_execz .LBB326_624
; %bb.621:                              ;   in Loop: Header=BB326_487 Depth=1
	v_and_b32_e32 v9, 7, v9
	v_lshrrev_b32_e32 v19, 3, v20
	s_mov_b32 s28, exec_lo
	v_cmpx_gt_u32_e32 8, v20
; %bb.622:                              ;   in Loop: Header=BB326_487 Depth=1
	v_ffbh_u32_e32 v19, v9
	v_min_u32_e32 v19, 32, v19
	v_subrev_nc_u32_e32 v20, 28, v19
	v_sub_nc_u32_e32 v19, 29, v19
	v_lshlrev_b64 v[67:68], v20, v[9:10]
	v_and_b32_e32 v9, 7, v67
; %bb.623:                              ;   in Loop: Header=BB326_487 Depth=1
	s_or_b32 exec_lo, exec_lo, s28
	v_lshlrev_b32_e32 v20, 16, v17
	v_lshlrev_b32_e32 v9, 20, v9
	v_lshl_add_u32 v19, v19, 23, 0x3c000000
	v_and_b32_e32 v20, 0x80000000, v20
	v_or3_b32 v68, v9, v20, v19
.LBB326_624:                            ;   in Loop: Header=BB326_487 Depth=1
	s_or_b32 exec_lo, exec_lo, s27
.LBB326_625:                            ;   in Loop: Header=BB326_487 Depth=1
	s_or_b32 exec_lo, exec_lo, s26
.LBB326_626:                            ;   in Loop: Header=BB326_487 Depth=1
	s_or_b32 exec_lo, exec_lo, s22
	v_and_b32_sdwa v9, v17, v37 dst_sel:DWORD dst_unused:UNUSED_PAD src0_sel:WORD_1 src1_sel:DWORD
	v_mov_b32_e32 v70, 0
	v_mov_b32_e32 v67, 0
	s_mov_b32 s22, exec_lo
	v_cmpx_ne_u16_e32 0, v9
	s_cbranch_execz .LBB326_634
; %bb.627:                              ;   in Loop: Header=BB326_487 Depth=1
	v_bfrev_b32_e32 v67, 1
	s_mov_b32 s26, exec_lo
	v_cmpx_ne_u16_e32 0x80, v9
	s_cbranch_execz .LBB326_633
; %bb.628:                              ;   in Loop: Header=BB326_487 Depth=1
	v_bfe_u32 v20, v17, 16, 7
	v_mov_b32_e32 v67, 0x7f800001
	s_mov_b32 s27, exec_lo
	v_cmpx_ne_u32_e32 0x7f, v20
	s_cbranch_execz .LBB326_632
; %bb.629:                              ;   in Loop: Header=BB326_487 Depth=1
	v_and_b32_sdwa v9, v17, v38 dst_sel:DWORD dst_unused:UNUSED_PAD src0_sel:WORD_1 src1_sel:DWORD
	v_lshrrev_b32_e32 v19, 3, v20
	s_mov_b32 s28, exec_lo
	v_cmpx_gt_u32_e32 8, v20
; %bb.630:                              ;   in Loop: Header=BB326_487 Depth=1
	v_ffbh_u32_e32 v19, v9
	v_min_u32_e32 v19, 32, v19
	v_subrev_nc_u32_e32 v20, 28, v19
	v_sub_nc_u32_e32 v19, 29, v19
	v_lshlrev_b64 v[71:72], v20, v[9:10]
	v_and_b32_e32 v9, 7, v71
; %bb.631:                              ;   in Loop: Header=BB326_487 Depth=1
	s_or_b32 exec_lo, exec_lo, s28
	v_lshlrev_b32_sdwa v20, v39, v17 dst_sel:DWORD dst_unused:UNUSED_PAD src0_sel:DWORD src1_sel:WORD_1
	v_lshlrev_b32_e32 v9, 20, v9
	v_lshl_add_u32 v19, v19, 23, 0x3c000000
	v_and_b32_e32 v20, 0x80000000, v20
	v_or3_b32 v67, v9, v20, v19
.LBB326_632:                            ;   in Loop: Header=BB326_487 Depth=1
	s_or_b32 exec_lo, exec_lo, s27
.LBB326_633:                            ;   in Loop: Header=BB326_487 Depth=1
	s_or_b32 exec_lo, exec_lo, s26
.LBB326_634:                            ;   in Loop: Header=BB326_487 Depth=1
	s_or_b32 exec_lo, exec_lo, s22
	s_mov_b32 s22, exec_lo
	v_cmpx_lt_u32_e32 0xffffff, v17
	s_cbranch_execz .LBB326_642
; %bb.635:                              ;   in Loop: Header=BB326_487 Depth=1
	v_cmp_ne_u32_sdwa s0, v17, v31 src0_sel:BYTE_3 src1_sel:DWORD
	v_bfrev_b32_e32 v70, 1
	s_and_saveexec_b32 s26, s0
	s_cbranch_execz .LBB326_641
; %bb.636:                              ;   in Loop: Header=BB326_487 Depth=1
	v_bfe_u32 v20, v17, 24, 7
	v_mov_b32_e32 v70, 0x7f800001
	s_mov_b32 s27, exec_lo
	v_cmpx_ne_u32_e32 0x7f, v20
	s_cbranch_execz .LBB326_640
; %bb.637:                              ;   in Loop: Header=BB326_487 Depth=1
	v_and_b32_sdwa v9, v17, v38 dst_sel:DWORD dst_unused:UNUSED_PAD src0_sel:BYTE_3 src1_sel:DWORD
	v_lshrrev_b32_e32 v19, 3, v20
	s_mov_b32 s28, exec_lo
	v_cmpx_gt_u32_e32 8, v20
; %bb.638:                              ;   in Loop: Header=BB326_487 Depth=1
	v_ffbh_u32_e32 v19, v9
	v_min_u32_e32 v19, 32, v19
	v_subrev_nc_u32_e32 v20, 28, v19
	v_sub_nc_u32_e32 v19, 29, v19
	v_lshlrev_b64 v[70:71], v20, v[9:10]
	v_and_b32_e32 v9, 7, v70
; %bb.639:                              ;   in Loop: Header=BB326_487 Depth=1
	s_or_b32 exec_lo, exec_lo, s28
	v_lshlrev_b32_sdwa v20, v39, v17 dst_sel:DWORD dst_unused:UNUSED_PAD src0_sel:DWORD src1_sel:BYTE_3
	v_lshlrev_b32_e32 v9, 20, v9
	v_lshl_add_u32 v19, v19, 23, 0x3c000000
	v_and_b32_e32 v20, 0x80000000, v20
	v_or3_b32 v70, v9, v20, v19
.LBB326_640:                            ;   in Loop: Header=BB326_487 Depth=1
	s_or_b32 exec_lo, exec_lo, s27
.LBB326_641:                            ;   in Loop: Header=BB326_487 Depth=1
	s_or_b32 exec_lo, exec_lo, s26
.LBB326_642:                            ;   in Loop: Header=BB326_487 Depth=1
	s_or_b32 exec_lo, exec_lo, s22
	v_mov_b32_e32 v9, v18
	v_cmp_ne_u16_sdwa s0, v18, v10 src0_sel:BYTE_0 src1_sel:DWORD
	v_mov_b32_e32 v19, 0
	v_mov_b32_e32 v71, 0
	s_and_saveexec_b32 s22, s0
	s_cbranch_execz .LBB326_648
; %bb.643:                              ;   in Loop: Header=BB326_487 Depth=1
	v_cmp_ne_u16_sdwa s0, v18, v31 src0_sel:BYTE_0 src1_sel:DWORD
	v_bfrev_b32_e32 v71, 1
	s_and_saveexec_b32 s26, s0
	s_cbranch_execz .LBB326_647
; %bb.644:                              ;   in Loop: Header=BB326_487 Depth=1
	v_and_b32_e32 v20, 0x7f, v18
	v_mov_b32_e32 v71, 0x7f800001
	s_mov_b32 s27, exec_lo
	v_cmpx_ne_u32_e32 0x7f, v20
	s_cbranch_execz .LBB326_646
; %bb.645:                              ;   in Loop: Header=BB326_487 Depth=1
	v_and_b32_e32 v33, 7, v18
	v_lshrrev_b32_e32 v34, 3, v20
	v_cmp_gt_u32_e64 s0, 8, v20
	v_ffbh_u32_e32 v33, v33
	v_min_u32_e32 v33, 32, v33
	v_subrev_nc_u32_e32 v35, 28, v33
	v_sub_nc_u32_e32 v33, 29, v33
	v_cndmask_b32_e64 v20, v34, v33, s0
	v_cndmask_b32_e64 v33, 0, v35, s0
	v_lshl_add_u32 v20, v20, 23, 0x3c000000
	v_lshlrev_b64 v[71:72], v33, v[9:10]
	v_lshlrev_b32_e32 v33, 24, v9
	v_and_b32_e32 v33, 0x80000000, v33
	v_lshlrev_b32_e32 v34, 20, v71
	v_and_b32_e32 v34, 0x700000, v34
	v_or3_b32 v71, v34, v33, v20
.LBB326_646:                            ;   in Loop: Header=BB326_487 Depth=1
	s_or_b32 exec_lo, exec_lo, s27
.LBB326_647:                            ;   in Loop: Header=BB326_487 Depth=1
	s_or_b32 exec_lo, exec_lo, s26
.LBB326_648:                            ;   in Loop: Header=BB326_487 Depth=1
	s_or_b32 exec_lo, exec_lo, s22
	v_cmp_ne_u16_sdwa s0, v9, v10 src0_sel:BYTE_1 src1_sel:DWORD
	s_and_saveexec_b32 s22, s0
	s_cbranch_execz .LBB326_656
; %bb.649:                              ;   in Loop: Header=BB326_487 Depth=1
	v_cmp_ne_u16_sdwa s0, v9, v31 src0_sel:BYTE_1 src1_sel:DWORD
	v_bfrev_b32_e32 v19, 1
	s_and_saveexec_b32 s26, s0
	s_cbranch_execz .LBB326_655
; %bb.650:                              ;   in Loop: Header=BB326_487 Depth=1
	v_and_b32_sdwa v20, v32, v9 dst_sel:DWORD dst_unused:UNUSED_PAD src0_sel:DWORD src1_sel:BYTE_1
	v_mov_b32_e32 v19, 0x7f800001
	s_mov_b32 s27, exec_lo
	v_and_b32_e32 v73, 0x7f, v20
	v_cmpx_ne_u32_e32 0x7f, v73
	s_cbranch_execz .LBB326_654
; %bb.651:                              ;   in Loop: Header=BB326_487 Depth=1
	v_and_b32_e32 v19, 7, v20
	v_mov_b32_e32 v20, v10
	v_lshrrev_b32_e32 v72, 3, v73
	s_mov_b32 s28, exec_lo
	v_cmpx_gt_u32_e32 8, v73
; %bb.652:                              ;   in Loop: Header=BB326_487 Depth=1
	v_ffbh_u32_e32 v33, v19
	v_min_u32_e32 v33, 32, v33
	v_subrev_nc_u32_e32 v34, 28, v33
	v_sub_nc_u32_e32 v72, 29, v33
	v_lshlrev_b64 v[19:20], v34, v[19:20]
	v_and_b32_e32 v19, 7, v19
; %bb.653:                              ;   in Loop: Header=BB326_487 Depth=1
	s_or_b32 exec_lo, exec_lo, s28
	v_lshlrev_b32_e32 v9, 16, v9
	v_lshlrev_b32_e32 v19, 20, v19
	v_lshl_add_u32 v20, v72, 23, 0x3c000000
	v_and_b32_e32 v9, 0x80000000, v9
	v_or3_b32 v19, v19, v9, v20
.LBB326_654:                            ;   in Loop: Header=BB326_487 Depth=1
	s_or_b32 exec_lo, exec_lo, s27
.LBB326_655:                            ;   in Loop: Header=BB326_487 Depth=1
	s_or_b32 exec_lo, exec_lo, s26
.LBB326_656:                            ;   in Loop: Header=BB326_487 Depth=1
	s_or_b32 exec_lo, exec_lo, s22
	v_and_b32_sdwa v9, v18, v37 dst_sel:DWORD dst_unused:UNUSED_PAD src0_sel:WORD_1 src1_sel:DWORD
	v_mov_b32_e32 v20, 0
	v_mov_b32_e32 v72, 0
	s_mov_b32 s22, exec_lo
	v_cmpx_ne_u16_e32 0, v9
	s_cbranch_execz .LBB326_664
; %bb.657:                              ;   in Loop: Header=BB326_487 Depth=1
	v_bfrev_b32_e32 v72, 1
	s_mov_b32 s26, exec_lo
	v_cmpx_ne_u16_e32 0x80, v9
	s_cbranch_execz .LBB326_663
; %bb.658:                              ;   in Loop: Header=BB326_487 Depth=1
	v_bfe_u32 v73, v18, 16, 7
	v_mov_b32_e32 v72, 0x7f800001
	s_mov_b32 s27, exec_lo
	v_cmpx_ne_u32_e32 0x7f, v73
	s_cbranch_execz .LBB326_662
; %bb.659:                              ;   in Loop: Header=BB326_487 Depth=1
	v_and_b32_sdwa v9, v18, v38 dst_sel:DWORD dst_unused:UNUSED_PAD src0_sel:WORD_1 src1_sel:DWORD
	v_lshrrev_b32_e32 v72, 3, v73
	s_mov_b32 s28, exec_lo
	v_cmpx_gt_u32_e32 8, v73
; %bb.660:                              ;   in Loop: Header=BB326_487 Depth=1
	v_ffbh_u32_e32 v33, v9
	v_min_u32_e32 v33, 32, v33
	v_subrev_nc_u32_e32 v34, 28, v33
	v_sub_nc_u32_e32 v72, 29, v33
	v_lshlrev_b64 v[73:74], v34, v[9:10]
	v_and_b32_e32 v9, 7, v73
; %bb.661:                              ;   in Loop: Header=BB326_487 Depth=1
	s_or_b32 exec_lo, exec_lo, s28
	v_lshlrev_b32_sdwa v33, v39, v18 dst_sel:DWORD dst_unused:UNUSED_PAD src0_sel:DWORD src1_sel:WORD_1
	v_lshlrev_b32_e32 v9, 20, v9
	v_lshl_add_u32 v34, v72, 23, 0x3c000000
	v_and_b32_e32 v33, 0x80000000, v33
	v_or3_b32 v72, v9, v33, v34
.LBB326_662:                            ;   in Loop: Header=BB326_487 Depth=1
	s_or_b32 exec_lo, exec_lo, s27
.LBB326_663:                            ;   in Loop: Header=BB326_487 Depth=1
	s_or_b32 exec_lo, exec_lo, s26
.LBB326_664:                            ;   in Loop: Header=BB326_487 Depth=1
	s_or_b32 exec_lo, exec_lo, s22
	s_mov_b32 s22, exec_lo
	v_cmpx_lt_u64_e64 s[2:3], v[17:18]
	s_cbranch_execz .LBB326_672
; %bb.665:                              ;   in Loop: Header=BB326_487 Depth=1
	v_cmp_ne_u32_sdwa s0, v18, v31 src0_sel:BYTE_3 src1_sel:DWORD
	v_bfrev_b32_e32 v20, 1
	s_and_saveexec_b32 s26, s0
	s_cbranch_execz .LBB326_671
; %bb.666:                              ;   in Loop: Header=BB326_487 Depth=1
	v_bfe_u32 v73, v18, 24, 7
	v_mov_b32_e32 v20, 0x7f800001
	s_mov_b32 s27, exec_lo
	v_cmpx_ne_u32_e32 0x7f, v73
	s_cbranch_execz .LBB326_670
; %bb.667:                              ;   in Loop: Header=BB326_487 Depth=1
	v_and_b32_sdwa v9, v18, v38 dst_sel:DWORD dst_unused:UNUSED_PAD src0_sel:BYTE_3 src1_sel:DWORD
	v_lshrrev_b32_e32 v17, 3, v73
	s_mov_b32 s28, exec_lo
	v_cmpx_gt_u32_e32 8, v73
; %bb.668:                              ;   in Loop: Header=BB326_487 Depth=1
	v_ffbh_u32_e32 v17, v9
	v_min_u32_e32 v17, 32, v17
	v_subrev_nc_u32_e32 v20, 28, v17
	v_sub_nc_u32_e32 v17, 29, v17
	v_lshlrev_b64 v[73:74], v20, v[9:10]
	v_and_b32_e32 v9, 7, v73
; %bb.669:                              ;   in Loop: Header=BB326_487 Depth=1
	s_or_b32 exec_lo, exec_lo, s28
	v_lshlrev_b32_sdwa v18, v39, v18 dst_sel:DWORD dst_unused:UNUSED_PAD src0_sel:DWORD src1_sel:BYTE_3
	v_lshlrev_b32_e32 v9, 20, v9
	v_lshl_add_u32 v17, v17, 23, 0x3c000000
	v_and_b32_e32 v18, 0x80000000, v18
	v_or3_b32 v20, v9, v18, v17
.LBB326_670:                            ;   in Loop: Header=BB326_487 Depth=1
	s_or_b32 exec_lo, exec_lo, s27
.LBB326_671:                            ;   in Loop: Header=BB326_487 Depth=1
	s_or_b32 exec_lo, exec_lo, s26
.LBB326_672:                            ;   in Loop: Header=BB326_487 Depth=1
	s_or_b32 exec_lo, exec_lo, s22
	v_mul_f32_e32 v9, s21, v19
	v_mul_f32_e32 v17, s21, v71
	;; [unrolled: 1-line block ×5, first 2 shown]
	v_bfe_u32 v33, v9, 16, 1
	v_or_b32_e32 v34, 0x400000, v9
	v_bfe_u32 v35, v17, 16, 1
	v_cmp_u_f32_e64 s0, v9, v9
	v_or_b32_e32 v67, 0x400000, v17
	v_add3_u32 v33, v33, v9, 0x7fff
	v_bfe_u32 v70, v18, 16, 1
	v_add3_u32 v35, v35, v17, 0x7fff
	v_or_b32_e32 v71, 0x400000, v18
	v_bfe_u32 v73, v19, 16, 1
	v_cndmask_b32_e64 v9, v33, v34, s0
	v_cmp_u_f32_e64 s0, v17, v17
	v_add3_u32 v70, v70, v18, 0x7fff
	v_or_b32_e32 v34, 0x400000, v19
	v_add3_u32 v33, v73, v19, 0x7fff
	v_cndmask_b32_e64 v17, v35, v67, s0
	v_cmp_u_f32_e64 s0, v18, v18
	v_lshrrev_b32_e32 v67, 16, v9
	v_mul_f32_e32 v9, s21, v68
	v_lshrrev_b32_e32 v68, 16, v17
	v_cndmask_b32_e64 v18, v70, v71, s0
	v_cmp_u_f32_e64 s0, v19, v19
	v_bfe_u32 v17, v9, 16, 1
	v_mul_f32_e32 v19, s21, v69
	v_lshrrev_b32_e32 v70, 16, v18
	v_cndmask_b32_e64 v18, v33, v34, s0
	v_mul_f32_e32 v33, s21, v72
	v_add3_u32 v17, v17, v9, 0x7fff
	v_or_b32_e32 v34, 0x400000, v9
	v_bfe_u32 v35, v19, 16, 1
	v_cmp_u_f32_e64 s0, v9, v9
	v_bfe_u32 v69, v33, 16, 1
	v_or_b32_e32 v71, 0x400000, v33
	v_or_b32_e32 v72, 0x400000, v20
	v_cndmask_b32_e64 v9, v17, v34, s0
	v_add3_u32 v34, v35, v19, 0x7fff
	v_or_b32_e32 v35, 0x400000, v19
	v_cmp_u_f32_e64 s0, v19, v19
	v_bfe_u32 v17, v20, 16, 1
	v_add3_u32 v69, v69, v33, 0x7fff
	v_lshrrev_b32_e32 v74, 16, v9
	v_cndmask_b32_e64 v19, v34, v35, s0
	v_cmp_u_f32_e64 s0, v33, v33
	v_add3_u32 v17, v17, v20, 0x7fff
	v_lshrrev_b32_e32 v73, 16, v19
	v_cndmask_b32_e64 v33, v69, v71, s0
	v_cmp_u_f32_e64 s0, v20, v20
	v_lshrrev_b32_e32 v69, 16, v33
	v_cndmask_b32_e64 v17, v17, v72, s0
	v_lshrrev_b32_e32 v72, 16, v18
	v_lshrrev_b32_e32 v71, 16, v17
	s_and_saveexec_b32 s22, vcc_lo
	s_cbranch_execz .LBB326_674
; %bb.673:                              ;   in Loop: Header=BB326_487 Depth=1
	v_cmp_gt_i32_e64 s0, s33, v51
	v_cndmask_b32_e64 v73, 0, v73, s0
	v_cmp_gt_i32_e64 s0, s33, v58
	v_cndmask_b32_e64 v74, 0, v74, s0
	;; [unrolled: 2-line block ×8, first 2 shown]
.LBB326_674:                            ;   in Loop: Header=BB326_487 Depth=1
	s_or_b32 exec_lo, exec_lo, s22
	global_load_dwordx2 v[17:18], v[15:16], off offset:768
	v_mov_b32_e32 v76, 0
	v_mov_b32_e32 v77, 0
	s_waitcnt vmcnt(0)
	v_cmp_ne_u16_sdwa s0, v17, v10 src0_sel:BYTE_0 src1_sel:DWORD
	s_and_saveexec_b32 s22, s0
	s_cbranch_execz .LBB326_680
; %bb.675:                              ;   in Loop: Header=BB326_487 Depth=1
	v_cmp_ne_u16_sdwa s0, v17, v31 src0_sel:BYTE_0 src1_sel:DWORD
	v_bfrev_b32_e32 v77, 1
	s_and_saveexec_b32 s26, s0
	s_cbranch_execz .LBB326_679
; %bb.676:                              ;   in Loop: Header=BB326_487 Depth=1
	v_and_b32_e32 v9, 0x7f, v17
	v_mov_b32_e32 v77, 0x7f800001
	s_mov_b32 s27, exec_lo
	v_cmpx_ne_u32_e32 0x7f, v9
	s_cbranch_execz .LBB326_678
; %bb.677:                              ;   in Loop: Header=BB326_487 Depth=1
	v_and_b32_e32 v19, 7, v17
	v_lshrrev_b32_e32 v20, 3, v9
	v_cmp_gt_u32_e64 s0, 8, v9
	v_ffbh_u32_e32 v19, v19
	v_min_u32_e32 v19, 32, v19
	v_subrev_nc_u32_e32 v33, 28, v19
	v_sub_nc_u32_e32 v19, 29, v19
	v_cndmask_b32_e64 v9, v20, v19, s0
	v_cndmask_b32_e64 v19, 0, v33, s0
	v_lshl_add_u32 v9, v9, 23, 0x3c000000
	v_lshlrev_b64 v[19:20], v19, v[17:18]
	v_lshlrev_b32_e32 v20, 24, v17
	v_lshlrev_b32_e32 v19, 20, v19
	v_and_b32_e32 v20, 0x80000000, v20
	v_and_b32_e32 v19, 0x700000, v19
	v_or3_b32 v77, v19, v20, v9
.LBB326_678:                            ;   in Loop: Header=BB326_487 Depth=1
	s_or_b32 exec_lo, exec_lo, s27
.LBB326_679:                            ;   in Loop: Header=BB326_487 Depth=1
	s_or_b32 exec_lo, exec_lo, s26
.LBB326_680:                            ;   in Loop: Header=BB326_487 Depth=1
	s_or_b32 exec_lo, exec_lo, s22
	v_cmp_ne_u16_sdwa s0, v17, v10 src0_sel:BYTE_1 src1_sel:DWORD
	s_and_saveexec_b32 s22, s0
	s_cbranch_execz .LBB326_688
; %bb.681:                              ;   in Loop: Header=BB326_487 Depth=1
	v_cmp_ne_u16_sdwa s0, v17, v31 src0_sel:BYTE_1 src1_sel:DWORD
	v_bfrev_b32_e32 v76, 1
	s_and_saveexec_b32 s26, s0
	s_cbranch_execz .LBB326_687
; %bb.682:                              ;   in Loop: Header=BB326_487 Depth=1
	v_and_b32_sdwa v9, v32, v17 dst_sel:DWORD dst_unused:UNUSED_PAD src0_sel:DWORD src1_sel:BYTE_1
	v_mov_b32_e32 v76, 0x7f800001
	s_mov_b32 s27, exec_lo
	v_and_b32_e32 v20, 0x7f, v9
	v_cmpx_ne_u32_e32 0x7f, v20
	s_cbranch_execz .LBB326_686
; %bb.683:                              ;   in Loop: Header=BB326_487 Depth=1
	v_and_b32_e32 v9, 7, v9
	v_lshrrev_b32_e32 v19, 3, v20
	s_mov_b32 s28, exec_lo
	v_cmpx_gt_u32_e32 8, v20
; %bb.684:                              ;   in Loop: Header=BB326_487 Depth=1
	v_ffbh_u32_e32 v19, v9
	v_min_u32_e32 v19, 32, v19
	v_subrev_nc_u32_e32 v20, 28, v19
	v_sub_nc_u32_e32 v19, 29, v19
	v_lshlrev_b64 v[75:76], v20, v[9:10]
	v_and_b32_e32 v9, 7, v75
; %bb.685:                              ;   in Loop: Header=BB326_487 Depth=1
	s_or_b32 exec_lo, exec_lo, s28
	v_lshlrev_b32_e32 v20, 16, v17
	v_lshlrev_b32_e32 v9, 20, v9
	v_lshl_add_u32 v19, v19, 23, 0x3c000000
	v_and_b32_e32 v20, 0x80000000, v20
	v_or3_b32 v76, v9, v20, v19
.LBB326_686:                            ;   in Loop: Header=BB326_487 Depth=1
	s_or_b32 exec_lo, exec_lo, s27
.LBB326_687:                            ;   in Loop: Header=BB326_487 Depth=1
	s_or_b32 exec_lo, exec_lo, s26
.LBB326_688:                            ;   in Loop: Header=BB326_487 Depth=1
	s_or_b32 exec_lo, exec_lo, s22
	v_and_b32_sdwa v9, v17, v37 dst_sel:DWORD dst_unused:UNUSED_PAD src0_sel:WORD_1 src1_sel:DWORD
	v_mov_b32_e32 v78, 0
	v_mov_b32_e32 v75, 0
	s_mov_b32 s22, exec_lo
	v_cmpx_ne_u16_e32 0, v9
	s_cbranch_execz .LBB326_696
; %bb.689:                              ;   in Loop: Header=BB326_487 Depth=1
	v_bfrev_b32_e32 v75, 1
	s_mov_b32 s26, exec_lo
	v_cmpx_ne_u16_e32 0x80, v9
	s_cbranch_execz .LBB326_695
; %bb.690:                              ;   in Loop: Header=BB326_487 Depth=1
	v_bfe_u32 v20, v17, 16, 7
	v_mov_b32_e32 v75, 0x7f800001
	s_mov_b32 s27, exec_lo
	v_cmpx_ne_u32_e32 0x7f, v20
	s_cbranch_execz .LBB326_694
; %bb.691:                              ;   in Loop: Header=BB326_487 Depth=1
	v_and_b32_sdwa v9, v17, v38 dst_sel:DWORD dst_unused:UNUSED_PAD src0_sel:WORD_1 src1_sel:DWORD
	v_lshrrev_b32_e32 v19, 3, v20
	s_mov_b32 s28, exec_lo
	v_cmpx_gt_u32_e32 8, v20
; %bb.692:                              ;   in Loop: Header=BB326_487 Depth=1
	v_ffbh_u32_e32 v19, v9
	v_min_u32_e32 v19, 32, v19
	v_subrev_nc_u32_e32 v20, 28, v19
	v_sub_nc_u32_e32 v19, 29, v19
	v_lshlrev_b64 v[79:80], v20, v[9:10]
	v_and_b32_e32 v9, 7, v79
; %bb.693:                              ;   in Loop: Header=BB326_487 Depth=1
	s_or_b32 exec_lo, exec_lo, s28
	v_lshlrev_b32_sdwa v20, v39, v17 dst_sel:DWORD dst_unused:UNUSED_PAD src0_sel:DWORD src1_sel:WORD_1
	v_lshlrev_b32_e32 v9, 20, v9
	v_lshl_add_u32 v19, v19, 23, 0x3c000000
	v_and_b32_e32 v20, 0x80000000, v20
	v_or3_b32 v75, v9, v20, v19
.LBB326_694:                            ;   in Loop: Header=BB326_487 Depth=1
	s_or_b32 exec_lo, exec_lo, s27
.LBB326_695:                            ;   in Loop: Header=BB326_487 Depth=1
	s_or_b32 exec_lo, exec_lo, s26
.LBB326_696:                            ;   in Loop: Header=BB326_487 Depth=1
	s_or_b32 exec_lo, exec_lo, s22
	s_mov_b32 s22, exec_lo
	v_cmpx_lt_u32_e32 0xffffff, v17
	s_cbranch_execz .LBB326_704
; %bb.697:                              ;   in Loop: Header=BB326_487 Depth=1
	v_cmp_ne_u32_sdwa s0, v17, v31 src0_sel:BYTE_3 src1_sel:DWORD
	v_bfrev_b32_e32 v78, 1
	s_and_saveexec_b32 s26, s0
	s_cbranch_execz .LBB326_703
; %bb.698:                              ;   in Loop: Header=BB326_487 Depth=1
	v_bfe_u32 v20, v17, 24, 7
	v_mov_b32_e32 v78, 0x7f800001
	s_mov_b32 s27, exec_lo
	v_cmpx_ne_u32_e32 0x7f, v20
	s_cbranch_execz .LBB326_702
; %bb.699:                              ;   in Loop: Header=BB326_487 Depth=1
	v_and_b32_sdwa v9, v17, v38 dst_sel:DWORD dst_unused:UNUSED_PAD src0_sel:BYTE_3 src1_sel:DWORD
	v_lshrrev_b32_e32 v19, 3, v20
	s_mov_b32 s28, exec_lo
	v_cmpx_gt_u32_e32 8, v20
; %bb.700:                              ;   in Loop: Header=BB326_487 Depth=1
	v_ffbh_u32_e32 v19, v9
	v_min_u32_e32 v19, 32, v19
	v_subrev_nc_u32_e32 v20, 28, v19
	v_sub_nc_u32_e32 v19, 29, v19
	v_lshlrev_b64 v[78:79], v20, v[9:10]
	v_and_b32_e32 v9, 7, v78
; %bb.701:                              ;   in Loop: Header=BB326_487 Depth=1
	s_or_b32 exec_lo, exec_lo, s28
	v_lshlrev_b32_sdwa v20, v39, v17 dst_sel:DWORD dst_unused:UNUSED_PAD src0_sel:DWORD src1_sel:BYTE_3
	v_lshlrev_b32_e32 v9, 20, v9
	v_lshl_add_u32 v19, v19, 23, 0x3c000000
	v_and_b32_e32 v20, 0x80000000, v20
	v_or3_b32 v78, v9, v20, v19
.LBB326_702:                            ;   in Loop: Header=BB326_487 Depth=1
	s_or_b32 exec_lo, exec_lo, s27
.LBB326_703:                            ;   in Loop: Header=BB326_487 Depth=1
	s_or_b32 exec_lo, exec_lo, s26
.LBB326_704:                            ;   in Loop: Header=BB326_487 Depth=1
	s_or_b32 exec_lo, exec_lo, s22
	v_mov_b32_e32 v9, v18
	v_cmp_ne_u16_sdwa s0, v18, v10 src0_sel:BYTE_0 src1_sel:DWORD
	v_mov_b32_e32 v19, 0
	v_mov_b32_e32 v79, 0
	s_and_saveexec_b32 s22, s0
	s_cbranch_execz .LBB326_710
; %bb.705:                              ;   in Loop: Header=BB326_487 Depth=1
	v_cmp_ne_u16_sdwa s0, v18, v31 src0_sel:BYTE_0 src1_sel:DWORD
	v_bfrev_b32_e32 v79, 1
	s_and_saveexec_b32 s26, s0
	s_cbranch_execz .LBB326_709
; %bb.706:                              ;   in Loop: Header=BB326_487 Depth=1
	v_and_b32_e32 v20, 0x7f, v18
	v_mov_b32_e32 v79, 0x7f800001
	s_mov_b32 s27, exec_lo
	v_cmpx_ne_u32_e32 0x7f, v20
	s_cbranch_execz .LBB326_708
; %bb.707:                              ;   in Loop: Header=BB326_487 Depth=1
	v_and_b32_e32 v33, 7, v18
	v_lshrrev_b32_e32 v34, 3, v20
	v_cmp_gt_u32_e64 s0, 8, v20
	v_ffbh_u32_e32 v33, v33
	v_min_u32_e32 v33, 32, v33
	v_subrev_nc_u32_e32 v35, 28, v33
	v_sub_nc_u32_e32 v33, 29, v33
	v_cndmask_b32_e64 v20, v34, v33, s0
	v_cndmask_b32_e64 v33, 0, v35, s0
	v_lshl_add_u32 v20, v20, 23, 0x3c000000
	v_lshlrev_b64 v[79:80], v33, v[9:10]
	v_lshlrev_b32_e32 v33, 24, v9
	v_and_b32_e32 v33, 0x80000000, v33
	v_lshlrev_b32_e32 v34, 20, v79
	v_and_b32_e32 v34, 0x700000, v34
	v_or3_b32 v79, v34, v33, v20
.LBB326_708:                            ;   in Loop: Header=BB326_487 Depth=1
	s_or_b32 exec_lo, exec_lo, s27
.LBB326_709:                            ;   in Loop: Header=BB326_487 Depth=1
	s_or_b32 exec_lo, exec_lo, s26
.LBB326_710:                            ;   in Loop: Header=BB326_487 Depth=1
	s_or_b32 exec_lo, exec_lo, s22
	v_cmp_ne_u16_sdwa s0, v9, v10 src0_sel:BYTE_1 src1_sel:DWORD
	s_and_saveexec_b32 s22, s0
	s_cbranch_execz .LBB326_718
; %bb.711:                              ;   in Loop: Header=BB326_487 Depth=1
	v_cmp_ne_u16_sdwa s0, v9, v31 src0_sel:BYTE_1 src1_sel:DWORD
	v_bfrev_b32_e32 v19, 1
	s_and_saveexec_b32 s26, s0
	s_cbranch_execz .LBB326_717
; %bb.712:                              ;   in Loop: Header=BB326_487 Depth=1
	v_and_b32_sdwa v20, v32, v9 dst_sel:DWORD dst_unused:UNUSED_PAD src0_sel:DWORD src1_sel:BYTE_1
	v_mov_b32_e32 v19, 0x7f800001
	s_mov_b32 s27, exec_lo
	v_and_b32_e32 v81, 0x7f, v20
	v_cmpx_ne_u32_e32 0x7f, v81
	s_cbranch_execz .LBB326_716
; %bb.713:                              ;   in Loop: Header=BB326_487 Depth=1
	v_and_b32_e32 v19, 7, v20
	v_mov_b32_e32 v20, v10
	v_lshrrev_b32_e32 v80, 3, v81
	s_mov_b32 s28, exec_lo
	v_cmpx_gt_u32_e32 8, v81
; %bb.714:                              ;   in Loop: Header=BB326_487 Depth=1
	v_ffbh_u32_e32 v33, v19
	v_min_u32_e32 v33, 32, v33
	v_subrev_nc_u32_e32 v34, 28, v33
	v_sub_nc_u32_e32 v80, 29, v33
	v_lshlrev_b64 v[19:20], v34, v[19:20]
	v_and_b32_e32 v19, 7, v19
; %bb.715:                              ;   in Loop: Header=BB326_487 Depth=1
	s_or_b32 exec_lo, exec_lo, s28
	v_lshlrev_b32_e32 v9, 16, v9
	v_lshlrev_b32_e32 v19, 20, v19
	v_lshl_add_u32 v20, v80, 23, 0x3c000000
	v_and_b32_e32 v9, 0x80000000, v9
	v_or3_b32 v19, v19, v9, v20
.LBB326_716:                            ;   in Loop: Header=BB326_487 Depth=1
	s_or_b32 exec_lo, exec_lo, s27
.LBB326_717:                            ;   in Loop: Header=BB326_487 Depth=1
	s_or_b32 exec_lo, exec_lo, s26
.LBB326_718:                            ;   in Loop: Header=BB326_487 Depth=1
	s_or_b32 exec_lo, exec_lo, s22
	v_and_b32_sdwa v9, v18, v37 dst_sel:DWORD dst_unused:UNUSED_PAD src0_sel:WORD_1 src1_sel:DWORD
	v_mov_b32_e32 v20, 0
	v_mov_b32_e32 v80, 0
	s_mov_b32 s22, exec_lo
	v_cmpx_ne_u16_e32 0, v9
	s_cbranch_execz .LBB326_726
; %bb.719:                              ;   in Loop: Header=BB326_487 Depth=1
	v_bfrev_b32_e32 v80, 1
	s_mov_b32 s26, exec_lo
	v_cmpx_ne_u16_e32 0x80, v9
	s_cbranch_execz .LBB326_725
; %bb.720:                              ;   in Loop: Header=BB326_487 Depth=1
	v_bfe_u32 v81, v18, 16, 7
	v_mov_b32_e32 v80, 0x7f800001
	s_mov_b32 s27, exec_lo
	v_cmpx_ne_u32_e32 0x7f, v81
	s_cbranch_execz .LBB326_724
; %bb.721:                              ;   in Loop: Header=BB326_487 Depth=1
	v_and_b32_sdwa v9, v18, v38 dst_sel:DWORD dst_unused:UNUSED_PAD src0_sel:WORD_1 src1_sel:DWORD
	v_lshrrev_b32_e32 v80, 3, v81
	s_mov_b32 s28, exec_lo
	v_cmpx_gt_u32_e32 8, v81
; %bb.722:                              ;   in Loop: Header=BB326_487 Depth=1
	v_ffbh_u32_e32 v33, v9
	v_min_u32_e32 v33, 32, v33
	v_subrev_nc_u32_e32 v34, 28, v33
	v_sub_nc_u32_e32 v80, 29, v33
	v_lshlrev_b64 v[81:82], v34, v[9:10]
	v_and_b32_e32 v9, 7, v81
; %bb.723:                              ;   in Loop: Header=BB326_487 Depth=1
	s_or_b32 exec_lo, exec_lo, s28
	v_lshlrev_b32_sdwa v33, v39, v18 dst_sel:DWORD dst_unused:UNUSED_PAD src0_sel:DWORD src1_sel:WORD_1
	v_lshlrev_b32_e32 v9, 20, v9
	v_lshl_add_u32 v34, v80, 23, 0x3c000000
	v_and_b32_e32 v33, 0x80000000, v33
	v_or3_b32 v80, v9, v33, v34
.LBB326_724:                            ;   in Loop: Header=BB326_487 Depth=1
	s_or_b32 exec_lo, exec_lo, s27
.LBB326_725:                            ;   in Loop: Header=BB326_487 Depth=1
	s_or_b32 exec_lo, exec_lo, s26
.LBB326_726:                            ;   in Loop: Header=BB326_487 Depth=1
	s_or_b32 exec_lo, exec_lo, s22
	s_mov_b32 s22, exec_lo
	v_cmpx_lt_u64_e64 s[2:3], v[17:18]
	s_cbranch_execz .LBB326_734
; %bb.727:                              ;   in Loop: Header=BB326_487 Depth=1
	v_cmp_ne_u32_sdwa s0, v18, v31 src0_sel:BYTE_3 src1_sel:DWORD
	v_bfrev_b32_e32 v20, 1
	s_and_saveexec_b32 s26, s0
	s_cbranch_execz .LBB326_733
; %bb.728:                              ;   in Loop: Header=BB326_487 Depth=1
	v_bfe_u32 v81, v18, 24, 7
	v_mov_b32_e32 v20, 0x7f800001
	s_mov_b32 s27, exec_lo
	v_cmpx_ne_u32_e32 0x7f, v81
	s_cbranch_execz .LBB326_732
; %bb.729:                              ;   in Loop: Header=BB326_487 Depth=1
	v_and_b32_sdwa v9, v18, v38 dst_sel:DWORD dst_unused:UNUSED_PAD src0_sel:BYTE_3 src1_sel:DWORD
	v_lshrrev_b32_e32 v17, 3, v81
	s_mov_b32 s28, exec_lo
	v_cmpx_gt_u32_e32 8, v81
; %bb.730:                              ;   in Loop: Header=BB326_487 Depth=1
	v_ffbh_u32_e32 v17, v9
	v_min_u32_e32 v17, 32, v17
	v_subrev_nc_u32_e32 v20, 28, v17
	v_sub_nc_u32_e32 v17, 29, v17
	v_lshlrev_b64 v[81:82], v20, v[9:10]
	v_and_b32_e32 v9, 7, v81
; %bb.731:                              ;   in Loop: Header=BB326_487 Depth=1
	s_or_b32 exec_lo, exec_lo, s28
	v_lshlrev_b32_sdwa v18, v39, v18 dst_sel:DWORD dst_unused:UNUSED_PAD src0_sel:DWORD src1_sel:BYTE_3
	v_lshlrev_b32_e32 v9, 20, v9
	v_lshl_add_u32 v17, v17, 23, 0x3c000000
	v_and_b32_e32 v18, 0x80000000, v18
	v_or3_b32 v20, v9, v18, v17
.LBB326_732:                            ;   in Loop: Header=BB326_487 Depth=1
	s_or_b32 exec_lo, exec_lo, s27
.LBB326_733:                            ;   in Loop: Header=BB326_487 Depth=1
	s_or_b32 exec_lo, exec_lo, s26
.LBB326_734:                            ;   in Loop: Header=BB326_487 Depth=1
	s_or_b32 exec_lo, exec_lo, s22
	v_mul_f32_e32 v9, s21, v19
	v_mul_f32_e32 v17, s21, v79
	;; [unrolled: 1-line block ×5, first 2 shown]
	v_bfe_u32 v33, v9, 16, 1
	v_or_b32_e32 v34, 0x400000, v9
	v_bfe_u32 v35, v17, 16, 1
	v_cmp_u_f32_e64 s0, v9, v9
	v_or_b32_e32 v75, 0x400000, v17
	v_add3_u32 v33, v33, v9, 0x7fff
	v_bfe_u32 v78, v18, 16, 1
	v_add3_u32 v35, v35, v17, 0x7fff
	v_or_b32_e32 v79, 0x400000, v18
	v_bfe_u32 v81, v19, 16, 1
	v_cndmask_b32_e64 v9, v33, v34, s0
	v_cmp_u_f32_e64 s0, v17, v17
	v_add3_u32 v78, v78, v18, 0x7fff
	v_or_b32_e32 v34, 0x400000, v19
	v_add3_u32 v33, v81, v19, 0x7fff
	v_cndmask_b32_e64 v17, v35, v75, s0
	v_cmp_u_f32_e64 s0, v18, v18
	v_lshrrev_b32_e32 v75, 16, v9
	v_mul_f32_e32 v9, s21, v76
	v_lshrrev_b32_e32 v76, 16, v17
	v_cndmask_b32_e64 v18, v78, v79, s0
	v_cmp_u_f32_e64 s0, v19, v19
	v_bfe_u32 v17, v9, 16, 1
	v_mul_f32_e32 v19, s21, v77
	v_lshrrev_b32_e32 v78, 16, v18
	v_cndmask_b32_e64 v18, v33, v34, s0
	v_mul_f32_e32 v33, s21, v80
	v_add3_u32 v17, v17, v9, 0x7fff
	v_or_b32_e32 v34, 0x400000, v9
	v_bfe_u32 v35, v19, 16, 1
	v_cmp_u_f32_e64 s0, v9, v9
	v_bfe_u32 v77, v33, 16, 1
	v_or_b32_e32 v79, 0x400000, v33
	v_or_b32_e32 v80, 0x400000, v20
	v_cndmask_b32_e64 v9, v17, v34, s0
	v_add3_u32 v34, v35, v19, 0x7fff
	v_or_b32_e32 v35, 0x400000, v19
	v_cmp_u_f32_e64 s0, v19, v19
	v_bfe_u32 v17, v20, 16, 1
	v_add3_u32 v77, v77, v33, 0x7fff
	v_lshrrev_b32_e32 v82, 16, v9
	v_cndmask_b32_e64 v19, v34, v35, s0
	v_cmp_u_f32_e64 s0, v33, v33
	v_add3_u32 v17, v17, v20, 0x7fff
	v_lshrrev_b32_e32 v81, 16, v19
	v_cndmask_b32_e64 v33, v77, v79, s0
	v_cmp_u_f32_e64 s0, v20, v20
	v_lshrrev_b32_e32 v77, 16, v33
	v_cndmask_b32_e64 v17, v17, v80, s0
	v_lshrrev_b32_e32 v80, 16, v18
	v_lshrrev_b32_e32 v79, 16, v17
	s_and_saveexec_b32 s22, vcc_lo
	s_cbranch_execz .LBB326_736
; %bb.735:                              ;   in Loop: Header=BB326_487 Depth=1
	v_cmp_gt_i32_e64 s0, s33, v51
	v_cndmask_b32_e64 v81, 0, v81, s0
	v_cmp_gt_i32_e64 s0, s33, v58
	v_cndmask_b32_e64 v82, 0, v82, s0
	;; [unrolled: 2-line block ×8, first 2 shown]
.LBB326_736:                            ;   in Loop: Header=BB326_487 Depth=1
	s_or_b32 exec_lo, exec_lo, s22
	global_load_dwordx2 v[17:18], v[15:16], off offset:1024
	v_mov_b32_e32 v83, 0
	v_mov_b32_e32 v85, 0
	s_waitcnt vmcnt(0)
	v_cmp_ne_u16_sdwa s0, v17, v10 src0_sel:BYTE_0 src1_sel:DWORD
	s_and_saveexec_b32 s22, s0
	s_cbranch_execz .LBB326_742
; %bb.737:                              ;   in Loop: Header=BB326_487 Depth=1
	v_cmp_ne_u16_sdwa s0, v17, v31 src0_sel:BYTE_0 src1_sel:DWORD
	v_bfrev_b32_e32 v85, 1
	s_and_saveexec_b32 s26, s0
	s_cbranch_execz .LBB326_741
; %bb.738:                              ;   in Loop: Header=BB326_487 Depth=1
	v_and_b32_e32 v9, 0x7f, v17
	v_mov_b32_e32 v85, 0x7f800001
	s_mov_b32 s27, exec_lo
	v_cmpx_ne_u32_e32 0x7f, v9
	s_cbranch_execz .LBB326_740
; %bb.739:                              ;   in Loop: Header=BB326_487 Depth=1
	v_and_b32_e32 v19, 7, v17
	v_lshrrev_b32_e32 v20, 3, v9
	v_cmp_gt_u32_e64 s0, 8, v9
	v_ffbh_u32_e32 v19, v19
	v_min_u32_e32 v19, 32, v19
	v_subrev_nc_u32_e32 v33, 28, v19
	v_sub_nc_u32_e32 v19, 29, v19
	v_cndmask_b32_e64 v9, v20, v19, s0
	v_cndmask_b32_e64 v19, 0, v33, s0
	v_lshl_add_u32 v9, v9, 23, 0x3c000000
	v_lshlrev_b64 v[19:20], v19, v[17:18]
	v_lshlrev_b32_e32 v20, 24, v17
	v_lshlrev_b32_e32 v19, 20, v19
	v_and_b32_e32 v20, 0x80000000, v20
	v_and_b32_e32 v19, 0x700000, v19
	v_or3_b32 v85, v19, v20, v9
.LBB326_740:                            ;   in Loop: Header=BB326_487 Depth=1
	s_or_b32 exec_lo, exec_lo, s27
.LBB326_741:                            ;   in Loop: Header=BB326_487 Depth=1
	s_or_b32 exec_lo, exec_lo, s26
.LBB326_742:                            ;   in Loop: Header=BB326_487 Depth=1
	s_or_b32 exec_lo, exec_lo, s22
	v_cmp_ne_u16_sdwa s0, v17, v10 src0_sel:BYTE_1 src1_sel:DWORD
	s_and_saveexec_b32 s22, s0
	s_cbranch_execz .LBB326_750
; %bb.743:                              ;   in Loop: Header=BB326_487 Depth=1
	v_cmp_ne_u16_sdwa s0, v17, v31 src0_sel:BYTE_1 src1_sel:DWORD
	v_bfrev_b32_e32 v83, 1
	s_and_saveexec_b32 s26, s0
	s_cbranch_execz .LBB326_749
; %bb.744:                              ;   in Loop: Header=BB326_487 Depth=1
	v_and_b32_sdwa v9, v32, v17 dst_sel:DWORD dst_unused:UNUSED_PAD src0_sel:DWORD src1_sel:BYTE_1
	v_mov_b32_e32 v83, 0x7f800001
	s_mov_b32 s27, exec_lo
	v_and_b32_e32 v20, 0x7f, v9
	v_cmpx_ne_u32_e32 0x7f, v20
	s_cbranch_execz .LBB326_748
; %bb.745:                              ;   in Loop: Header=BB326_487 Depth=1
	v_and_b32_e32 v9, 7, v9
	v_lshrrev_b32_e32 v19, 3, v20
	s_mov_b32 s28, exec_lo
	v_cmpx_gt_u32_e32 8, v20
; %bb.746:                              ;   in Loop: Header=BB326_487 Depth=1
	v_ffbh_u32_e32 v19, v9
	v_min_u32_e32 v19, 32, v19
	v_subrev_nc_u32_e32 v20, 28, v19
	v_sub_nc_u32_e32 v19, 29, v19
	v_lshlrev_b64 v[83:84], v20, v[9:10]
	v_and_b32_e32 v9, 7, v83
; %bb.747:                              ;   in Loop: Header=BB326_487 Depth=1
	s_or_b32 exec_lo, exec_lo, s28
	v_lshlrev_b32_e32 v20, 16, v17
	v_lshlrev_b32_e32 v9, 20, v9
	v_lshl_add_u32 v19, v19, 23, 0x3c000000
	v_and_b32_e32 v20, 0x80000000, v20
	v_or3_b32 v83, v9, v20, v19
.LBB326_748:                            ;   in Loop: Header=BB326_487 Depth=1
	s_or_b32 exec_lo, exec_lo, s27
.LBB326_749:                            ;   in Loop: Header=BB326_487 Depth=1
	s_or_b32 exec_lo, exec_lo, s26
.LBB326_750:                            ;   in Loop: Header=BB326_487 Depth=1
	s_or_b32 exec_lo, exec_lo, s22
	v_and_b32_sdwa v9, v17, v37 dst_sel:DWORD dst_unused:UNUSED_PAD src0_sel:WORD_1 src1_sel:DWORD
	v_mov_b32_e32 v86, 0
	v_mov_b32_e32 v84, 0
	s_mov_b32 s22, exec_lo
	v_cmpx_ne_u16_e32 0, v9
	s_cbranch_execz .LBB326_758
; %bb.751:                              ;   in Loop: Header=BB326_487 Depth=1
	v_bfrev_b32_e32 v84, 1
	s_mov_b32 s26, exec_lo
	v_cmpx_ne_u16_e32 0x80, v9
	s_cbranch_execz .LBB326_757
; %bb.752:                              ;   in Loop: Header=BB326_487 Depth=1
	v_bfe_u32 v20, v17, 16, 7
	v_mov_b32_e32 v84, 0x7f800001
	s_mov_b32 s27, exec_lo
	v_cmpx_ne_u32_e32 0x7f, v20
	s_cbranch_execz .LBB326_756
; %bb.753:                              ;   in Loop: Header=BB326_487 Depth=1
	v_and_b32_sdwa v9, v17, v38 dst_sel:DWORD dst_unused:UNUSED_PAD src0_sel:WORD_1 src1_sel:DWORD
	v_lshrrev_b32_e32 v19, 3, v20
	s_mov_b32 s28, exec_lo
	v_cmpx_gt_u32_e32 8, v20
; %bb.754:                              ;   in Loop: Header=BB326_487 Depth=1
	v_ffbh_u32_e32 v19, v9
	v_min_u32_e32 v19, 32, v19
	v_subrev_nc_u32_e32 v20, 28, v19
	v_sub_nc_u32_e32 v19, 29, v19
	v_lshlrev_b64 v[87:88], v20, v[9:10]
	v_and_b32_e32 v9, 7, v87
; %bb.755:                              ;   in Loop: Header=BB326_487 Depth=1
	s_or_b32 exec_lo, exec_lo, s28
	v_lshlrev_b32_sdwa v20, v39, v17 dst_sel:DWORD dst_unused:UNUSED_PAD src0_sel:DWORD src1_sel:WORD_1
	v_lshlrev_b32_e32 v9, 20, v9
	v_lshl_add_u32 v19, v19, 23, 0x3c000000
	v_and_b32_e32 v20, 0x80000000, v20
	v_or3_b32 v84, v9, v20, v19
.LBB326_756:                            ;   in Loop: Header=BB326_487 Depth=1
	s_or_b32 exec_lo, exec_lo, s27
.LBB326_757:                            ;   in Loop: Header=BB326_487 Depth=1
	s_or_b32 exec_lo, exec_lo, s26
.LBB326_758:                            ;   in Loop: Header=BB326_487 Depth=1
	s_or_b32 exec_lo, exec_lo, s22
	s_mov_b32 s22, exec_lo
	v_cmpx_lt_u32_e32 0xffffff, v17
	s_cbranch_execz .LBB326_766
; %bb.759:                              ;   in Loop: Header=BB326_487 Depth=1
	v_cmp_ne_u32_sdwa s0, v17, v31 src0_sel:BYTE_3 src1_sel:DWORD
	v_bfrev_b32_e32 v86, 1
	s_and_saveexec_b32 s26, s0
	s_cbranch_execz .LBB326_765
; %bb.760:                              ;   in Loop: Header=BB326_487 Depth=1
	v_bfe_u32 v20, v17, 24, 7
	v_mov_b32_e32 v86, 0x7f800001
	s_mov_b32 s27, exec_lo
	v_cmpx_ne_u32_e32 0x7f, v20
	s_cbranch_execz .LBB326_764
; %bb.761:                              ;   in Loop: Header=BB326_487 Depth=1
	v_and_b32_sdwa v9, v17, v38 dst_sel:DWORD dst_unused:UNUSED_PAD src0_sel:BYTE_3 src1_sel:DWORD
	v_lshrrev_b32_e32 v19, 3, v20
	s_mov_b32 s28, exec_lo
	v_cmpx_gt_u32_e32 8, v20
; %bb.762:                              ;   in Loop: Header=BB326_487 Depth=1
	v_ffbh_u32_e32 v19, v9
	v_min_u32_e32 v19, 32, v19
	v_subrev_nc_u32_e32 v20, 28, v19
	v_sub_nc_u32_e32 v19, 29, v19
	v_lshlrev_b64 v[86:87], v20, v[9:10]
	v_and_b32_e32 v9, 7, v86
; %bb.763:                              ;   in Loop: Header=BB326_487 Depth=1
	s_or_b32 exec_lo, exec_lo, s28
	v_lshlrev_b32_sdwa v20, v39, v17 dst_sel:DWORD dst_unused:UNUSED_PAD src0_sel:DWORD src1_sel:BYTE_3
	v_lshlrev_b32_e32 v9, 20, v9
	v_lshl_add_u32 v19, v19, 23, 0x3c000000
	v_and_b32_e32 v20, 0x80000000, v20
	v_or3_b32 v86, v9, v20, v19
.LBB326_764:                            ;   in Loop: Header=BB326_487 Depth=1
	s_or_b32 exec_lo, exec_lo, s27
.LBB326_765:                            ;   in Loop: Header=BB326_487 Depth=1
	s_or_b32 exec_lo, exec_lo, s26
.LBB326_766:                            ;   in Loop: Header=BB326_487 Depth=1
	s_or_b32 exec_lo, exec_lo, s22
	v_mov_b32_e32 v9, v18
	v_cmp_ne_u16_sdwa s0, v18, v10 src0_sel:BYTE_0 src1_sel:DWORD
	v_mov_b32_e32 v19, 0
	v_mov_b32_e32 v87, 0
	s_and_saveexec_b32 s22, s0
	s_cbranch_execz .LBB326_772
; %bb.767:                              ;   in Loop: Header=BB326_487 Depth=1
	v_cmp_ne_u16_sdwa s0, v18, v31 src0_sel:BYTE_0 src1_sel:DWORD
	v_bfrev_b32_e32 v87, 1
	s_and_saveexec_b32 s26, s0
	s_cbranch_execz .LBB326_771
; %bb.768:                              ;   in Loop: Header=BB326_487 Depth=1
	v_and_b32_e32 v20, 0x7f, v18
	v_mov_b32_e32 v87, 0x7f800001
	s_mov_b32 s27, exec_lo
	v_cmpx_ne_u32_e32 0x7f, v20
	s_cbranch_execz .LBB326_770
; %bb.769:                              ;   in Loop: Header=BB326_487 Depth=1
	v_and_b32_e32 v33, 7, v18
	v_lshrrev_b32_e32 v34, 3, v20
	v_cmp_gt_u32_e64 s0, 8, v20
	v_ffbh_u32_e32 v33, v33
	v_min_u32_e32 v33, 32, v33
	v_subrev_nc_u32_e32 v35, 28, v33
	v_sub_nc_u32_e32 v33, 29, v33
	v_cndmask_b32_e64 v20, v34, v33, s0
	v_cndmask_b32_e64 v33, 0, v35, s0
	v_lshl_add_u32 v20, v20, 23, 0x3c000000
	v_lshlrev_b64 v[87:88], v33, v[9:10]
	v_lshlrev_b32_e32 v33, 24, v9
	v_and_b32_e32 v33, 0x80000000, v33
	v_lshlrev_b32_e32 v34, 20, v87
	v_and_b32_e32 v34, 0x700000, v34
	v_or3_b32 v87, v34, v33, v20
.LBB326_770:                            ;   in Loop: Header=BB326_487 Depth=1
	s_or_b32 exec_lo, exec_lo, s27
.LBB326_771:                            ;   in Loop: Header=BB326_487 Depth=1
	s_or_b32 exec_lo, exec_lo, s26
.LBB326_772:                            ;   in Loop: Header=BB326_487 Depth=1
	s_or_b32 exec_lo, exec_lo, s22
	v_cmp_ne_u16_sdwa s0, v9, v10 src0_sel:BYTE_1 src1_sel:DWORD
	s_and_saveexec_b32 s22, s0
	s_cbranch_execz .LBB326_780
; %bb.773:                              ;   in Loop: Header=BB326_487 Depth=1
	v_cmp_ne_u16_sdwa s0, v9, v31 src0_sel:BYTE_1 src1_sel:DWORD
	v_bfrev_b32_e32 v19, 1
	s_and_saveexec_b32 s26, s0
	s_cbranch_execz .LBB326_779
; %bb.774:                              ;   in Loop: Header=BB326_487 Depth=1
	v_and_b32_sdwa v20, v32, v9 dst_sel:DWORD dst_unused:UNUSED_PAD src0_sel:DWORD src1_sel:BYTE_1
	v_mov_b32_e32 v19, 0x7f800001
	s_mov_b32 s27, exec_lo
	v_and_b32_e32 v89, 0x7f, v20
	v_cmpx_ne_u32_e32 0x7f, v89
	s_cbranch_execz .LBB326_778
; %bb.775:                              ;   in Loop: Header=BB326_487 Depth=1
	v_and_b32_e32 v19, 7, v20
	v_mov_b32_e32 v20, v10
	v_lshrrev_b32_e32 v88, 3, v89
	s_mov_b32 s28, exec_lo
	v_cmpx_gt_u32_e32 8, v89
; %bb.776:                              ;   in Loop: Header=BB326_487 Depth=1
	v_ffbh_u32_e32 v33, v19
	v_min_u32_e32 v33, 32, v33
	v_subrev_nc_u32_e32 v34, 28, v33
	v_sub_nc_u32_e32 v88, 29, v33
	v_lshlrev_b64 v[19:20], v34, v[19:20]
	v_and_b32_e32 v19, 7, v19
; %bb.777:                              ;   in Loop: Header=BB326_487 Depth=1
	s_or_b32 exec_lo, exec_lo, s28
	v_lshlrev_b32_e32 v9, 16, v9
	v_lshlrev_b32_e32 v19, 20, v19
	v_lshl_add_u32 v20, v88, 23, 0x3c000000
	v_and_b32_e32 v9, 0x80000000, v9
	v_or3_b32 v19, v19, v9, v20
.LBB326_778:                            ;   in Loop: Header=BB326_487 Depth=1
	s_or_b32 exec_lo, exec_lo, s27
.LBB326_779:                            ;   in Loop: Header=BB326_487 Depth=1
	s_or_b32 exec_lo, exec_lo, s26
.LBB326_780:                            ;   in Loop: Header=BB326_487 Depth=1
	s_or_b32 exec_lo, exec_lo, s22
	v_and_b32_sdwa v9, v18, v37 dst_sel:DWORD dst_unused:UNUSED_PAD src0_sel:WORD_1 src1_sel:DWORD
	v_mov_b32_e32 v20, 0
	v_mov_b32_e32 v88, 0
	s_mov_b32 s22, exec_lo
	v_cmpx_ne_u16_e32 0, v9
	s_cbranch_execz .LBB326_788
; %bb.781:                              ;   in Loop: Header=BB326_487 Depth=1
	v_bfrev_b32_e32 v88, 1
	s_mov_b32 s26, exec_lo
	v_cmpx_ne_u16_e32 0x80, v9
	s_cbranch_execz .LBB326_787
; %bb.782:                              ;   in Loop: Header=BB326_487 Depth=1
	v_bfe_u32 v89, v18, 16, 7
	v_mov_b32_e32 v88, 0x7f800001
	s_mov_b32 s27, exec_lo
	v_cmpx_ne_u32_e32 0x7f, v89
	s_cbranch_execz .LBB326_786
; %bb.783:                              ;   in Loop: Header=BB326_487 Depth=1
	v_and_b32_sdwa v9, v18, v38 dst_sel:DWORD dst_unused:UNUSED_PAD src0_sel:WORD_1 src1_sel:DWORD
	v_lshrrev_b32_e32 v88, 3, v89
	s_mov_b32 s28, exec_lo
	v_cmpx_gt_u32_e32 8, v89
; %bb.784:                              ;   in Loop: Header=BB326_487 Depth=1
	v_ffbh_u32_e32 v33, v9
	v_min_u32_e32 v33, 32, v33
	v_subrev_nc_u32_e32 v34, 28, v33
	v_sub_nc_u32_e32 v88, 29, v33
	v_lshlrev_b64 v[89:90], v34, v[9:10]
	v_and_b32_e32 v9, 7, v89
; %bb.785:                              ;   in Loop: Header=BB326_487 Depth=1
	s_or_b32 exec_lo, exec_lo, s28
	v_lshlrev_b32_sdwa v33, v39, v18 dst_sel:DWORD dst_unused:UNUSED_PAD src0_sel:DWORD src1_sel:WORD_1
	v_lshlrev_b32_e32 v9, 20, v9
	v_lshl_add_u32 v34, v88, 23, 0x3c000000
	v_and_b32_e32 v33, 0x80000000, v33
	v_or3_b32 v88, v9, v33, v34
.LBB326_786:                            ;   in Loop: Header=BB326_487 Depth=1
	s_or_b32 exec_lo, exec_lo, s27
.LBB326_787:                            ;   in Loop: Header=BB326_487 Depth=1
	s_or_b32 exec_lo, exec_lo, s26
.LBB326_788:                            ;   in Loop: Header=BB326_487 Depth=1
	s_or_b32 exec_lo, exec_lo, s22
	s_mov_b32 s22, exec_lo
	v_cmpx_lt_u64_e64 s[2:3], v[17:18]
	s_cbranch_execz .LBB326_796
; %bb.789:                              ;   in Loop: Header=BB326_487 Depth=1
	v_cmp_ne_u32_sdwa s0, v18, v31 src0_sel:BYTE_3 src1_sel:DWORD
	v_bfrev_b32_e32 v20, 1
	s_and_saveexec_b32 s26, s0
	s_cbranch_execz .LBB326_795
; %bb.790:                              ;   in Loop: Header=BB326_487 Depth=1
	v_bfe_u32 v89, v18, 24, 7
	v_mov_b32_e32 v20, 0x7f800001
	s_mov_b32 s27, exec_lo
	v_cmpx_ne_u32_e32 0x7f, v89
	s_cbranch_execz .LBB326_794
; %bb.791:                              ;   in Loop: Header=BB326_487 Depth=1
	v_and_b32_sdwa v9, v18, v38 dst_sel:DWORD dst_unused:UNUSED_PAD src0_sel:BYTE_3 src1_sel:DWORD
	v_lshrrev_b32_e32 v17, 3, v89
	s_mov_b32 s28, exec_lo
	v_cmpx_gt_u32_e32 8, v89
; %bb.792:                              ;   in Loop: Header=BB326_487 Depth=1
	v_ffbh_u32_e32 v17, v9
	v_min_u32_e32 v17, 32, v17
	v_subrev_nc_u32_e32 v20, 28, v17
	v_sub_nc_u32_e32 v17, 29, v17
	v_lshlrev_b64 v[89:90], v20, v[9:10]
	v_and_b32_e32 v9, 7, v89
; %bb.793:                              ;   in Loop: Header=BB326_487 Depth=1
	s_or_b32 exec_lo, exec_lo, s28
	v_lshlrev_b32_sdwa v18, v39, v18 dst_sel:DWORD dst_unused:UNUSED_PAD src0_sel:DWORD src1_sel:BYTE_3
	v_lshlrev_b32_e32 v9, 20, v9
	v_lshl_add_u32 v17, v17, 23, 0x3c000000
	v_and_b32_e32 v18, 0x80000000, v18
	v_or3_b32 v20, v9, v18, v17
.LBB326_794:                            ;   in Loop: Header=BB326_487 Depth=1
	s_or_b32 exec_lo, exec_lo, s27
.LBB326_795:                            ;   in Loop: Header=BB326_487 Depth=1
	s_or_b32 exec_lo, exec_lo, s26
.LBB326_796:                            ;   in Loop: Header=BB326_487 Depth=1
	s_or_b32 exec_lo, exec_lo, s22
	v_mul_f32_e32 v9, s21, v19
	v_mul_f32_e32 v17, s21, v87
	;; [unrolled: 1-line block ×5, first 2 shown]
	v_bfe_u32 v33, v9, 16, 1
	v_or_b32_e32 v34, 0x400000, v9
	v_bfe_u32 v35, v17, 16, 1
	v_cmp_u_f32_e64 s0, v9, v9
	v_or_b32_e32 v84, 0x400000, v17
	v_add3_u32 v33, v33, v9, 0x7fff
	v_bfe_u32 v86, v18, 16, 1
	v_add3_u32 v35, v35, v17, 0x7fff
	v_or_b32_e32 v87, 0x400000, v18
	v_bfe_u32 v89, v19, 16, 1
	v_cndmask_b32_e64 v9, v33, v34, s0
	v_cmp_u_f32_e64 s0, v17, v17
	v_add3_u32 v86, v86, v18, 0x7fff
	v_or_b32_e32 v34, 0x400000, v19
	v_add3_u32 v33, v89, v19, 0x7fff
	v_cndmask_b32_e64 v17, v35, v84, s0
	v_cmp_u_f32_e64 s0, v18, v18
	v_lshrrev_b32_e32 v84, 16, v9
	v_mul_f32_e32 v9, s21, v83
	v_lshrrev_b32_e32 v83, 16, v17
	v_cndmask_b32_e64 v18, v86, v87, s0
	v_cmp_u_f32_e64 s0, v19, v19
	v_bfe_u32 v17, v9, 16, 1
	v_mul_f32_e32 v19, s21, v85
	v_lshrrev_b32_e32 v86, 16, v18
	v_cndmask_b32_e64 v18, v33, v34, s0
	v_mul_f32_e32 v33, s21, v88
	v_add3_u32 v17, v17, v9, 0x7fff
	v_or_b32_e32 v34, 0x400000, v9
	v_bfe_u32 v35, v19, 16, 1
	v_cmp_u_f32_e64 s0, v9, v9
	v_bfe_u32 v85, v33, 16, 1
	v_or_b32_e32 v87, 0x400000, v33
	v_or_b32_e32 v88, 0x400000, v20
	v_cndmask_b32_e64 v9, v17, v34, s0
	v_add3_u32 v34, v35, v19, 0x7fff
	v_or_b32_e32 v35, 0x400000, v19
	v_cmp_u_f32_e64 s0, v19, v19
	v_bfe_u32 v17, v20, 16, 1
	v_add3_u32 v85, v85, v33, 0x7fff
	v_lshrrev_b32_e32 v90, 16, v9
	v_cndmask_b32_e64 v19, v34, v35, s0
	v_cmp_u_f32_e64 s0, v33, v33
	v_add3_u32 v17, v17, v20, 0x7fff
	v_lshrrev_b32_e32 v89, 16, v19
	v_cndmask_b32_e64 v33, v85, v87, s0
	v_cmp_u_f32_e64 s0, v20, v20
	v_lshrrev_b32_e32 v85, 16, v33
	v_cndmask_b32_e64 v17, v17, v88, s0
	v_lshrrev_b32_e32 v88, 16, v18
	v_lshrrev_b32_e32 v87, 16, v17
	s_and_saveexec_b32 s22, vcc_lo
	s_cbranch_execz .LBB326_798
; %bb.797:                              ;   in Loop: Header=BB326_487 Depth=1
	v_cmp_gt_i32_e64 s0, s33, v51
	v_cndmask_b32_e64 v89, 0, v89, s0
	v_cmp_gt_i32_e64 s0, s33, v58
	v_cndmask_b32_e64 v90, 0, v90, s0
	;; [unrolled: 2-line block ×8, first 2 shown]
.LBB326_798:                            ;   in Loop: Header=BB326_487 Depth=1
	s_or_b32 exec_lo, exec_lo, s22
	global_load_dwordx2 v[17:18], v[15:16], off offset:1280
	v_mov_b32_e32 v92, 0
	v_mov_b32_e32 v91, 0
	s_waitcnt vmcnt(0)
	v_cmp_ne_u16_sdwa s0, v17, v10 src0_sel:BYTE_0 src1_sel:DWORD
	s_and_saveexec_b32 s22, s0
	s_cbranch_execz .LBB326_804
; %bb.799:                              ;   in Loop: Header=BB326_487 Depth=1
	v_cmp_ne_u16_sdwa s0, v17, v31 src0_sel:BYTE_0 src1_sel:DWORD
	v_bfrev_b32_e32 v91, 1
	s_and_saveexec_b32 s26, s0
	s_cbranch_execz .LBB326_803
; %bb.800:                              ;   in Loop: Header=BB326_487 Depth=1
	v_and_b32_e32 v9, 0x7f, v17
	v_mov_b32_e32 v91, 0x7f800001
	s_mov_b32 s27, exec_lo
	v_cmpx_ne_u32_e32 0x7f, v9
	s_cbranch_execz .LBB326_802
; %bb.801:                              ;   in Loop: Header=BB326_487 Depth=1
	v_and_b32_e32 v19, 7, v17
	v_lshrrev_b32_e32 v20, 3, v9
	v_cmp_gt_u32_e64 s0, 8, v9
	v_ffbh_u32_e32 v19, v19
	v_min_u32_e32 v19, 32, v19
	v_subrev_nc_u32_e32 v33, 28, v19
	v_sub_nc_u32_e32 v19, 29, v19
	v_cndmask_b32_e64 v9, v20, v19, s0
	v_cndmask_b32_e64 v19, 0, v33, s0
	v_lshl_add_u32 v9, v9, 23, 0x3c000000
	v_lshlrev_b64 v[19:20], v19, v[17:18]
	v_lshlrev_b32_e32 v20, 24, v17
	v_lshlrev_b32_e32 v19, 20, v19
	v_and_b32_e32 v20, 0x80000000, v20
	v_and_b32_e32 v19, 0x700000, v19
	v_or3_b32 v91, v19, v20, v9
.LBB326_802:                            ;   in Loop: Header=BB326_487 Depth=1
	s_or_b32 exec_lo, exec_lo, s27
.LBB326_803:                            ;   in Loop: Header=BB326_487 Depth=1
	s_or_b32 exec_lo, exec_lo, s26
.LBB326_804:                            ;   in Loop: Header=BB326_487 Depth=1
	s_or_b32 exec_lo, exec_lo, s22
	v_cmp_ne_u16_sdwa s0, v17, v10 src0_sel:BYTE_1 src1_sel:DWORD
	s_and_saveexec_b32 s22, s0
	s_cbranch_execz .LBB326_812
; %bb.805:                              ;   in Loop: Header=BB326_487 Depth=1
	v_cmp_ne_u16_sdwa s0, v17, v31 src0_sel:BYTE_1 src1_sel:DWORD
	v_bfrev_b32_e32 v92, 1
	s_and_saveexec_b32 s26, s0
	s_cbranch_execz .LBB326_811
; %bb.806:                              ;   in Loop: Header=BB326_487 Depth=1
	v_and_b32_sdwa v9, v32, v17 dst_sel:DWORD dst_unused:UNUSED_PAD src0_sel:DWORD src1_sel:BYTE_1
	v_mov_b32_e32 v92, 0x7f800001
	s_mov_b32 s27, exec_lo
	v_and_b32_e32 v20, 0x7f, v9
	v_cmpx_ne_u32_e32 0x7f, v20
	s_cbranch_execz .LBB326_810
; %bb.807:                              ;   in Loop: Header=BB326_487 Depth=1
	v_and_b32_e32 v9, 7, v9
	v_lshrrev_b32_e32 v19, 3, v20
	s_mov_b32 s28, exec_lo
	v_cmpx_gt_u32_e32 8, v20
; %bb.808:                              ;   in Loop: Header=BB326_487 Depth=1
	v_ffbh_u32_e32 v19, v9
	v_min_u32_e32 v19, 32, v19
	v_subrev_nc_u32_e32 v20, 28, v19
	v_sub_nc_u32_e32 v19, 29, v19
	v_lshlrev_b64 v[92:93], v20, v[9:10]
	v_and_b32_e32 v9, 7, v92
; %bb.809:                              ;   in Loop: Header=BB326_487 Depth=1
	s_or_b32 exec_lo, exec_lo, s28
	v_lshlrev_b32_e32 v20, 16, v17
	v_lshlrev_b32_e32 v9, 20, v9
	v_lshl_add_u32 v19, v19, 23, 0x3c000000
	v_and_b32_e32 v20, 0x80000000, v20
	v_or3_b32 v92, v9, v20, v19
.LBB326_810:                            ;   in Loop: Header=BB326_487 Depth=1
	s_or_b32 exec_lo, exec_lo, s27
.LBB326_811:                            ;   in Loop: Header=BB326_487 Depth=1
	s_or_b32 exec_lo, exec_lo, s26
.LBB326_812:                            ;   in Loop: Header=BB326_487 Depth=1
	s_or_b32 exec_lo, exec_lo, s22
	v_and_b32_sdwa v9, v17, v37 dst_sel:DWORD dst_unused:UNUSED_PAD src0_sel:WORD_1 src1_sel:DWORD
	v_mov_b32_e32 v94, 0
	v_mov_b32_e32 v93, 0
	s_mov_b32 s22, exec_lo
	v_cmpx_ne_u16_e32 0, v9
	s_cbranch_execz .LBB326_820
; %bb.813:                              ;   in Loop: Header=BB326_487 Depth=1
	v_bfrev_b32_e32 v93, 1
	s_mov_b32 s26, exec_lo
	v_cmpx_ne_u16_e32 0x80, v9
	s_cbranch_execz .LBB326_819
; %bb.814:                              ;   in Loop: Header=BB326_487 Depth=1
	v_bfe_u32 v20, v17, 16, 7
	v_mov_b32_e32 v93, 0x7f800001
	s_mov_b32 s27, exec_lo
	v_cmpx_ne_u32_e32 0x7f, v20
	s_cbranch_execz .LBB326_818
; %bb.815:                              ;   in Loop: Header=BB326_487 Depth=1
	v_and_b32_sdwa v9, v17, v38 dst_sel:DWORD dst_unused:UNUSED_PAD src0_sel:WORD_1 src1_sel:DWORD
	v_lshrrev_b32_e32 v19, 3, v20
	s_mov_b32 s28, exec_lo
	v_cmpx_gt_u32_e32 8, v20
; %bb.816:                              ;   in Loop: Header=BB326_487 Depth=1
	v_ffbh_u32_e32 v19, v9
	v_min_u32_e32 v19, 32, v19
	v_subrev_nc_u32_e32 v20, 28, v19
	v_sub_nc_u32_e32 v19, 29, v19
	v_lshlrev_b64 v[95:96], v20, v[9:10]
	v_and_b32_e32 v9, 7, v95
; %bb.817:                              ;   in Loop: Header=BB326_487 Depth=1
	s_or_b32 exec_lo, exec_lo, s28
	v_lshlrev_b32_sdwa v20, v39, v17 dst_sel:DWORD dst_unused:UNUSED_PAD src0_sel:DWORD src1_sel:WORD_1
	v_lshlrev_b32_e32 v9, 20, v9
	v_lshl_add_u32 v19, v19, 23, 0x3c000000
	v_and_b32_e32 v20, 0x80000000, v20
	v_or3_b32 v93, v9, v20, v19
.LBB326_818:                            ;   in Loop: Header=BB326_487 Depth=1
	s_or_b32 exec_lo, exec_lo, s27
.LBB326_819:                            ;   in Loop: Header=BB326_487 Depth=1
	s_or_b32 exec_lo, exec_lo, s26
.LBB326_820:                            ;   in Loop: Header=BB326_487 Depth=1
	s_or_b32 exec_lo, exec_lo, s22
	s_mov_b32 s22, exec_lo
	v_cmpx_lt_u32_e32 0xffffff, v17
	s_cbranch_execz .LBB326_828
; %bb.821:                              ;   in Loop: Header=BB326_487 Depth=1
	v_cmp_ne_u32_sdwa s0, v17, v31 src0_sel:BYTE_3 src1_sel:DWORD
	v_bfrev_b32_e32 v94, 1
	s_and_saveexec_b32 s26, s0
	s_cbranch_execz .LBB326_827
; %bb.822:                              ;   in Loop: Header=BB326_487 Depth=1
	v_bfe_u32 v20, v17, 24, 7
	v_mov_b32_e32 v94, 0x7f800001
	s_mov_b32 s27, exec_lo
	v_cmpx_ne_u32_e32 0x7f, v20
	s_cbranch_execz .LBB326_826
; %bb.823:                              ;   in Loop: Header=BB326_487 Depth=1
	v_and_b32_sdwa v9, v17, v38 dst_sel:DWORD dst_unused:UNUSED_PAD src0_sel:BYTE_3 src1_sel:DWORD
	v_lshrrev_b32_e32 v19, 3, v20
	s_mov_b32 s28, exec_lo
	v_cmpx_gt_u32_e32 8, v20
; %bb.824:                              ;   in Loop: Header=BB326_487 Depth=1
	v_ffbh_u32_e32 v19, v9
	v_min_u32_e32 v19, 32, v19
	v_subrev_nc_u32_e32 v20, 28, v19
	v_sub_nc_u32_e32 v19, 29, v19
	v_lshlrev_b64 v[94:95], v20, v[9:10]
	v_and_b32_e32 v9, 7, v94
; %bb.825:                              ;   in Loop: Header=BB326_487 Depth=1
	s_or_b32 exec_lo, exec_lo, s28
	v_lshlrev_b32_sdwa v20, v39, v17 dst_sel:DWORD dst_unused:UNUSED_PAD src0_sel:DWORD src1_sel:BYTE_3
	v_lshlrev_b32_e32 v9, 20, v9
	v_lshl_add_u32 v19, v19, 23, 0x3c000000
	v_and_b32_e32 v20, 0x80000000, v20
	v_or3_b32 v94, v9, v20, v19
.LBB326_826:                            ;   in Loop: Header=BB326_487 Depth=1
	s_or_b32 exec_lo, exec_lo, s27
.LBB326_827:                            ;   in Loop: Header=BB326_487 Depth=1
	s_or_b32 exec_lo, exec_lo, s26
.LBB326_828:                            ;   in Loop: Header=BB326_487 Depth=1
	s_or_b32 exec_lo, exec_lo, s22
	v_mov_b32_e32 v9, v18
	v_cmp_ne_u16_sdwa s0, v18, v10 src0_sel:BYTE_0 src1_sel:DWORD
	v_mov_b32_e32 v19, 0
	v_mov_b32_e32 v95, 0
	s_and_saveexec_b32 s22, s0
	s_cbranch_execz .LBB326_834
; %bb.829:                              ;   in Loop: Header=BB326_487 Depth=1
	v_cmp_ne_u16_sdwa s0, v18, v31 src0_sel:BYTE_0 src1_sel:DWORD
	v_bfrev_b32_e32 v95, 1
	s_and_saveexec_b32 s26, s0
	s_cbranch_execz .LBB326_833
; %bb.830:                              ;   in Loop: Header=BB326_487 Depth=1
	v_and_b32_e32 v20, 0x7f, v18
	v_mov_b32_e32 v95, 0x7f800001
	s_mov_b32 s27, exec_lo
	v_cmpx_ne_u32_e32 0x7f, v20
	s_cbranch_execz .LBB326_832
; %bb.831:                              ;   in Loop: Header=BB326_487 Depth=1
	v_and_b32_e32 v33, 7, v18
	v_lshrrev_b32_e32 v34, 3, v20
	v_cmp_gt_u32_e64 s0, 8, v20
	v_ffbh_u32_e32 v33, v33
	v_min_u32_e32 v33, 32, v33
	v_subrev_nc_u32_e32 v35, 28, v33
	v_sub_nc_u32_e32 v33, 29, v33
	v_cndmask_b32_e64 v20, v34, v33, s0
	v_cndmask_b32_e64 v33, 0, v35, s0
	v_lshl_add_u32 v20, v20, 23, 0x3c000000
	v_lshlrev_b64 v[95:96], v33, v[9:10]
	v_lshlrev_b32_e32 v33, 24, v9
	v_and_b32_e32 v33, 0x80000000, v33
	v_lshlrev_b32_e32 v34, 20, v95
	v_and_b32_e32 v34, 0x700000, v34
	v_or3_b32 v95, v34, v33, v20
.LBB326_832:                            ;   in Loop: Header=BB326_487 Depth=1
	s_or_b32 exec_lo, exec_lo, s27
.LBB326_833:                            ;   in Loop: Header=BB326_487 Depth=1
	s_or_b32 exec_lo, exec_lo, s26
.LBB326_834:                            ;   in Loop: Header=BB326_487 Depth=1
	s_or_b32 exec_lo, exec_lo, s22
	v_cmp_ne_u16_sdwa s0, v9, v10 src0_sel:BYTE_1 src1_sel:DWORD
	s_and_saveexec_b32 s22, s0
	s_cbranch_execz .LBB326_842
; %bb.835:                              ;   in Loop: Header=BB326_487 Depth=1
	v_cmp_ne_u16_sdwa s0, v9, v31 src0_sel:BYTE_1 src1_sel:DWORD
	v_bfrev_b32_e32 v19, 1
	s_and_saveexec_b32 s26, s0
	s_cbranch_execz .LBB326_841
; %bb.836:                              ;   in Loop: Header=BB326_487 Depth=1
	v_and_b32_sdwa v20, v32, v9 dst_sel:DWORD dst_unused:UNUSED_PAD src0_sel:DWORD src1_sel:BYTE_1
	v_mov_b32_e32 v19, 0x7f800001
	s_mov_b32 s27, exec_lo
	v_and_b32_e32 v97, 0x7f, v20
	v_cmpx_ne_u32_e32 0x7f, v97
	s_cbranch_execz .LBB326_840
; %bb.837:                              ;   in Loop: Header=BB326_487 Depth=1
	v_and_b32_e32 v19, 7, v20
	v_mov_b32_e32 v20, v10
	v_lshrrev_b32_e32 v96, 3, v97
	s_mov_b32 s28, exec_lo
	v_cmpx_gt_u32_e32 8, v97
; %bb.838:                              ;   in Loop: Header=BB326_487 Depth=1
	v_ffbh_u32_e32 v33, v19
	v_min_u32_e32 v33, 32, v33
	v_subrev_nc_u32_e32 v34, 28, v33
	v_sub_nc_u32_e32 v96, 29, v33
	v_lshlrev_b64 v[19:20], v34, v[19:20]
	v_and_b32_e32 v19, 7, v19
; %bb.839:                              ;   in Loop: Header=BB326_487 Depth=1
	s_or_b32 exec_lo, exec_lo, s28
	v_lshlrev_b32_e32 v9, 16, v9
	v_lshlrev_b32_e32 v19, 20, v19
	v_lshl_add_u32 v20, v96, 23, 0x3c000000
	v_and_b32_e32 v9, 0x80000000, v9
	v_or3_b32 v19, v19, v9, v20
.LBB326_840:                            ;   in Loop: Header=BB326_487 Depth=1
	s_or_b32 exec_lo, exec_lo, s27
.LBB326_841:                            ;   in Loop: Header=BB326_487 Depth=1
	s_or_b32 exec_lo, exec_lo, s26
.LBB326_842:                            ;   in Loop: Header=BB326_487 Depth=1
	s_or_b32 exec_lo, exec_lo, s22
	v_and_b32_sdwa v9, v18, v37 dst_sel:DWORD dst_unused:UNUSED_PAD src0_sel:WORD_1 src1_sel:DWORD
	v_mov_b32_e32 v96, 0
	v_mov_b32_e32 v97, 0
	s_mov_b32 s22, exec_lo
	v_cmpx_ne_u16_e32 0, v9
	s_cbranch_execz .LBB326_850
; %bb.843:                              ;   in Loop: Header=BB326_487 Depth=1
	v_bfrev_b32_e32 v97, 1
	s_mov_b32 s26, exec_lo
	v_cmpx_ne_u16_e32 0x80, v9
	s_cbranch_execz .LBB326_849
; %bb.844:                              ;   in Loop: Header=BB326_487 Depth=1
	v_bfe_u32 v98, v18, 16, 7
	v_mov_b32_e32 v97, 0x7f800001
	s_mov_b32 s27, exec_lo
	v_cmpx_ne_u32_e32 0x7f, v98
	s_cbranch_execz .LBB326_848
; %bb.845:                              ;   in Loop: Header=BB326_487 Depth=1
	v_and_b32_sdwa v9, v18, v38 dst_sel:DWORD dst_unused:UNUSED_PAD src0_sel:WORD_1 src1_sel:DWORD
	v_lshrrev_b32_e32 v20, 3, v98
	s_mov_b32 s28, exec_lo
	v_cmpx_gt_u32_e32 8, v98
; %bb.846:                              ;   in Loop: Header=BB326_487 Depth=1
	v_ffbh_u32_e32 v20, v9
	v_min_u32_e32 v20, 32, v20
	v_subrev_nc_u32_e32 v33, 28, v20
	v_sub_nc_u32_e32 v20, 29, v20
	v_lshlrev_b64 v[97:98], v33, v[9:10]
	v_and_b32_e32 v9, 7, v97
; %bb.847:                              ;   in Loop: Header=BB326_487 Depth=1
	s_or_b32 exec_lo, exec_lo, s28
	v_lshlrev_b32_sdwa v33, v39, v18 dst_sel:DWORD dst_unused:UNUSED_PAD src0_sel:DWORD src1_sel:WORD_1
	v_lshlrev_b32_e32 v9, 20, v9
	v_lshl_add_u32 v20, v20, 23, 0x3c000000
	v_and_b32_e32 v33, 0x80000000, v33
	v_or3_b32 v97, v9, v33, v20
.LBB326_848:                            ;   in Loop: Header=BB326_487 Depth=1
	s_or_b32 exec_lo, exec_lo, s27
.LBB326_849:                            ;   in Loop: Header=BB326_487 Depth=1
	s_or_b32 exec_lo, exec_lo, s26
.LBB326_850:                            ;   in Loop: Header=BB326_487 Depth=1
	s_or_b32 exec_lo, exec_lo, s22
	s_mov_b32 s22, exec_lo
	v_cmpx_lt_u64_e64 s[2:3], v[17:18]
	s_cbranch_execz .LBB326_858
; %bb.851:                              ;   in Loop: Header=BB326_487 Depth=1
	v_cmp_ne_u32_sdwa s0, v18, v31 src0_sel:BYTE_3 src1_sel:DWORD
	v_bfrev_b32_e32 v96, 1
	s_and_saveexec_b32 s26, s0
	s_cbranch_execz .LBB326_857
; %bb.852:                              ;   in Loop: Header=BB326_487 Depth=1
	v_bfe_u32 v20, v18, 24, 7
	v_mov_b32_e32 v96, 0x7f800001
	s_mov_b32 s27, exec_lo
	v_cmpx_ne_u32_e32 0x7f, v20
	s_cbranch_execz .LBB326_856
; %bb.853:                              ;   in Loop: Header=BB326_487 Depth=1
	v_and_b32_sdwa v9, v18, v38 dst_sel:DWORD dst_unused:UNUSED_PAD src0_sel:BYTE_3 src1_sel:DWORD
	v_lshrrev_b32_e32 v17, 3, v20
	s_mov_b32 s28, exec_lo
	v_cmpx_gt_u32_e32 8, v20
; %bb.854:                              ;   in Loop: Header=BB326_487 Depth=1
	v_ffbh_u32_e32 v17, v9
	v_min_u32_e32 v17, 32, v17
	v_subrev_nc_u32_e32 v20, 28, v17
	v_sub_nc_u32_e32 v17, 29, v17
	v_lshlrev_b64 v[98:99], v20, v[9:10]
	v_and_b32_e32 v9, 7, v98
; %bb.855:                              ;   in Loop: Header=BB326_487 Depth=1
	s_or_b32 exec_lo, exec_lo, s28
	v_lshlrev_b32_sdwa v18, v39, v18 dst_sel:DWORD dst_unused:UNUSED_PAD src0_sel:DWORD src1_sel:BYTE_3
	v_lshlrev_b32_e32 v9, 20, v9
	v_lshl_add_u32 v17, v17, 23, 0x3c000000
	v_and_b32_e32 v18, 0x80000000, v18
	v_or3_b32 v96, v9, v18, v17
.LBB326_856:                            ;   in Loop: Header=BB326_487 Depth=1
	s_or_b32 exec_lo, exec_lo, s27
.LBB326_857:                            ;   in Loop: Header=BB326_487 Depth=1
	s_or_b32 exec_lo, exec_lo, s26
.LBB326_858:                            ;   in Loop: Header=BB326_487 Depth=1
	s_or_b32 exec_lo, exec_lo, s22
	v_mul_f32_e32 v9, s21, v19
	v_mul_f32_e32 v17, s21, v95
	;; [unrolled: 1-line block ×4, first 2 shown]
	v_bfe_u32 v19, v9, 16, 1
	v_or_b32_e32 v20, 0x400000, v9
	v_bfe_u32 v34, v17, 16, 1
	v_cmp_u_f32_e64 s0, v9, v9
	v_or_b32_e32 v35, 0x400000, v17
	v_add3_u32 v19, v19, v9, 0x7fff
	v_bfe_u32 v93, v18, 16, 1
	v_add3_u32 v34, v34, v17, 0x7fff
	v_or_b32_e32 v94, 0x400000, v18
	v_bfe_u32 v95, v33, 16, 1
	v_cndmask_b32_e64 v9, v19, v20, s0
	v_cmp_u_f32_e64 s0, v17, v17
	v_add3_u32 v93, v93, v18, 0x7fff
	v_lshrrev_b32_e32 v20, 16, v9
	v_cndmask_b32_e64 v17, v34, v35, s0
	v_cmp_u_f32_e64 s0, v18, v18
	v_mul_f32_e32 v9, s21, v92
	v_add3_u32 v34, v95, v33, 0x7fff
	v_or_b32_e32 v35, 0x400000, v33
	v_lshrrev_b32_e32 v19, 16, v17
	v_cndmask_b32_e64 v18, v93, v94, s0
	v_bfe_u32 v17, v9, 16, 1
	v_cmp_u_f32_e64 s0, v33, v33
	v_mul_f32_e32 v33, s21, v91
	v_mul_f32_e32 v91, s21, v96
	v_lshrrev_b32_e32 v93, 16, v18
	v_add3_u32 v17, v17, v9, 0x7fff
	v_cndmask_b32_e64 v18, v34, v35, s0
	v_mul_f32_e32 v34, s21, v97
	v_or_b32_e32 v35, 0x400000, v9
	v_bfe_u32 v92, v33, 16, 1
	v_cmp_u_f32_e64 s0, v9, v9
	v_or_b32_e32 v96, 0x400000, v91
	v_bfe_u32 v94, v34, 16, 1
	v_or_b32_e32 v95, 0x400000, v34
	v_cndmask_b32_e64 v9, v17, v35, s0
	v_add3_u32 v35, v92, v33, 0x7fff
	v_or_b32_e32 v92, 0x400000, v33
	v_cmp_u_f32_e64 s0, v33, v33
	v_bfe_u32 v17, v91, 16, 1
	v_add3_u32 v94, v94, v34, 0x7fff
	v_lshrrev_b32_e32 v97, 16, v9
	v_cndmask_b32_e64 v33, v35, v92, s0
	v_cmp_u_f32_e64 s0, v34, v34
	v_add3_u32 v17, v17, v91, 0x7fff
	v_cndmask_b32_e64 v34, v94, v95, s0
	v_cmp_u_f32_e64 s0, v91, v91
	v_lshrrev_b32_e32 v94, 16, v18
	v_lshrrev_b32_e32 v95, 16, v33
	;; [unrolled: 1-line block ×3, first 2 shown]
	v_cndmask_b32_e64 v17, v17, v96, s0
	v_lshrrev_b32_e32 v92, 16, v17
	s_and_saveexec_b32 s22, vcc_lo
	s_cbranch_execz .LBB326_860
; %bb.859:                              ;   in Loop: Header=BB326_487 Depth=1
	v_cmp_gt_i32_e64 s0, s33, v51
	v_cndmask_b32_e64 v95, 0, v95, s0
	v_cmp_gt_i32_e64 s0, s33, v58
	v_cndmask_b32_e64 v97, 0, v97, s0
	;; [unrolled: 2-line block ×8, first 2 shown]
.LBB326_860:                            ;   in Loop: Header=BB326_487 Depth=1
	s_or_b32 exec_lo, exec_lo, s22
	global_load_dwordx2 v[15:16], v[15:16], off offset:1536
	v_mov_b32_e32 v98, 0
	v_mov_b32_e32 v96, 0
	s_waitcnt vmcnt(0)
	v_cmp_ne_u16_sdwa s0, v15, v10 src0_sel:BYTE_0 src1_sel:DWORD
	s_and_saveexec_b32 s22, s0
	s_cbranch_execz .LBB326_866
; %bb.861:                              ;   in Loop: Header=BB326_487 Depth=1
	v_cmp_ne_u16_sdwa s0, v15, v31 src0_sel:BYTE_0 src1_sel:DWORD
	v_bfrev_b32_e32 v96, 1
	s_and_saveexec_b32 s26, s0
	s_cbranch_execz .LBB326_865
; %bb.862:                              ;   in Loop: Header=BB326_487 Depth=1
	v_and_b32_e32 v9, 0x7f, v15
	v_mov_b32_e32 v96, 0x7f800001
	s_mov_b32 s27, exec_lo
	v_cmpx_ne_u32_e32 0x7f, v9
	s_cbranch_execz .LBB326_864
; %bb.863:                              ;   in Loop: Header=BB326_487 Depth=1
	v_and_b32_e32 v17, 7, v15
	v_lshrrev_b32_e32 v18, 3, v9
	v_cmp_gt_u32_e64 s0, 8, v9
	v_ffbh_u32_e32 v17, v17
	v_min_u32_e32 v17, 32, v17
	v_subrev_nc_u32_e32 v33, 28, v17
	v_sub_nc_u32_e32 v17, 29, v17
	v_cndmask_b32_e64 v9, v18, v17, s0
	v_cndmask_b32_e64 v17, 0, v33, s0
	v_lshl_add_u32 v9, v9, 23, 0x3c000000
	v_lshlrev_b64 v[17:18], v17, v[15:16]
	v_lshlrev_b32_e32 v18, 24, v15
	v_lshlrev_b32_e32 v17, 20, v17
	v_and_b32_e32 v18, 0x80000000, v18
	v_and_b32_e32 v17, 0x700000, v17
	v_or3_b32 v96, v17, v18, v9
.LBB326_864:                            ;   in Loop: Header=BB326_487 Depth=1
	s_or_b32 exec_lo, exec_lo, s27
.LBB326_865:                            ;   in Loop: Header=BB326_487 Depth=1
	s_or_b32 exec_lo, exec_lo, s26
.LBB326_866:                            ;   in Loop: Header=BB326_487 Depth=1
	s_or_b32 exec_lo, exec_lo, s22
	v_cmp_ne_u16_sdwa s0, v15, v10 src0_sel:BYTE_1 src1_sel:DWORD
	s_and_saveexec_b32 s22, s0
	s_cbranch_execz .LBB326_874
; %bb.867:                              ;   in Loop: Header=BB326_487 Depth=1
	v_cmp_ne_u16_sdwa s0, v15, v31 src0_sel:BYTE_1 src1_sel:DWORD
	v_bfrev_b32_e32 v98, 1
	s_and_saveexec_b32 s26, s0
	s_cbranch_execz .LBB326_873
; %bb.868:                              ;   in Loop: Header=BB326_487 Depth=1
	v_and_b32_sdwa v9, v32, v15 dst_sel:DWORD dst_unused:UNUSED_PAD src0_sel:DWORD src1_sel:BYTE_1
	v_mov_b32_e32 v98, 0x7f800001
	s_mov_b32 s27, exec_lo
	v_and_b32_e32 v18, 0x7f, v9
	v_cmpx_ne_u32_e32 0x7f, v18
	s_cbranch_execz .LBB326_872
; %bb.869:                              ;   in Loop: Header=BB326_487 Depth=1
	v_and_b32_e32 v9, 7, v9
	v_lshrrev_b32_e32 v17, 3, v18
	s_mov_b32 s28, exec_lo
	v_cmpx_gt_u32_e32 8, v18
; %bb.870:                              ;   in Loop: Header=BB326_487 Depth=1
	v_ffbh_u32_e32 v17, v9
	v_min_u32_e32 v17, 32, v17
	v_subrev_nc_u32_e32 v18, 28, v17
	v_sub_nc_u32_e32 v17, 29, v17
	v_lshlrev_b64 v[98:99], v18, v[9:10]
	v_and_b32_e32 v9, 7, v98
; %bb.871:                              ;   in Loop: Header=BB326_487 Depth=1
	s_or_b32 exec_lo, exec_lo, s28
	v_lshlrev_b32_e32 v18, 16, v15
	v_lshlrev_b32_e32 v9, 20, v9
	v_lshl_add_u32 v17, v17, 23, 0x3c000000
	v_and_b32_e32 v18, 0x80000000, v18
	v_or3_b32 v98, v9, v18, v17
.LBB326_872:                            ;   in Loop: Header=BB326_487 Depth=1
	s_or_b32 exec_lo, exec_lo, s27
.LBB326_873:                            ;   in Loop: Header=BB326_487 Depth=1
	s_or_b32 exec_lo, exec_lo, s26
.LBB326_874:                            ;   in Loop: Header=BB326_487 Depth=1
	s_or_b32 exec_lo, exec_lo, s22
	v_and_b32_sdwa v9, v15, v37 dst_sel:DWORD dst_unused:UNUSED_PAD src0_sel:WORD_1 src1_sel:DWORD
	v_mov_b32_e32 v100, 0
	v_mov_b32_e32 v99, 0
	s_mov_b32 s22, exec_lo
	v_cmpx_ne_u16_e32 0, v9
	s_cbranch_execz .LBB326_882
; %bb.875:                              ;   in Loop: Header=BB326_487 Depth=1
	v_bfrev_b32_e32 v99, 1
	s_mov_b32 s26, exec_lo
	v_cmpx_ne_u16_e32 0x80, v9
	s_cbranch_execz .LBB326_881
; %bb.876:                              ;   in Loop: Header=BB326_487 Depth=1
	v_bfe_u32 v18, v15, 16, 7
	v_mov_b32_e32 v99, 0x7f800001
	s_mov_b32 s27, exec_lo
	v_cmpx_ne_u32_e32 0x7f, v18
	s_cbranch_execz .LBB326_880
; %bb.877:                              ;   in Loop: Header=BB326_487 Depth=1
	v_and_b32_sdwa v9, v15, v38 dst_sel:DWORD dst_unused:UNUSED_PAD src0_sel:WORD_1 src1_sel:DWORD
	v_lshrrev_b32_e32 v17, 3, v18
	s_mov_b32 s28, exec_lo
	v_cmpx_gt_u32_e32 8, v18
; %bb.878:                              ;   in Loop: Header=BB326_487 Depth=1
	v_ffbh_u32_e32 v17, v9
	v_min_u32_e32 v17, 32, v17
	v_subrev_nc_u32_e32 v18, 28, v17
	v_sub_nc_u32_e32 v17, 29, v17
	v_lshlrev_b64 v[101:102], v18, v[9:10]
	v_and_b32_e32 v9, 7, v101
; %bb.879:                              ;   in Loop: Header=BB326_487 Depth=1
	s_or_b32 exec_lo, exec_lo, s28
	v_lshlrev_b32_sdwa v18, v39, v15 dst_sel:DWORD dst_unused:UNUSED_PAD src0_sel:DWORD src1_sel:WORD_1
	v_lshlrev_b32_e32 v9, 20, v9
	v_lshl_add_u32 v17, v17, 23, 0x3c000000
	v_and_b32_e32 v18, 0x80000000, v18
	v_or3_b32 v99, v9, v18, v17
.LBB326_880:                            ;   in Loop: Header=BB326_487 Depth=1
	s_or_b32 exec_lo, exec_lo, s27
.LBB326_881:                            ;   in Loop: Header=BB326_487 Depth=1
	s_or_b32 exec_lo, exec_lo, s26
.LBB326_882:                            ;   in Loop: Header=BB326_487 Depth=1
	s_or_b32 exec_lo, exec_lo, s22
	s_mov_b32 s22, exec_lo
	v_cmpx_lt_u32_e32 0xffffff, v15
	s_cbranch_execz .LBB326_890
; %bb.883:                              ;   in Loop: Header=BB326_487 Depth=1
	v_cmp_ne_u32_sdwa s0, v15, v31 src0_sel:BYTE_3 src1_sel:DWORD
	v_bfrev_b32_e32 v100, 1
	s_and_saveexec_b32 s26, s0
	s_cbranch_execz .LBB326_889
; %bb.884:                              ;   in Loop: Header=BB326_487 Depth=1
	v_bfe_u32 v18, v15, 24, 7
	v_mov_b32_e32 v100, 0x7f800001
	s_mov_b32 s27, exec_lo
	v_cmpx_ne_u32_e32 0x7f, v18
	s_cbranch_execz .LBB326_888
; %bb.885:                              ;   in Loop: Header=BB326_487 Depth=1
	v_and_b32_sdwa v9, v15, v38 dst_sel:DWORD dst_unused:UNUSED_PAD src0_sel:BYTE_3 src1_sel:DWORD
	v_lshrrev_b32_e32 v17, 3, v18
	s_mov_b32 s28, exec_lo
	v_cmpx_gt_u32_e32 8, v18
; %bb.886:                              ;   in Loop: Header=BB326_487 Depth=1
	v_ffbh_u32_e32 v17, v9
	v_min_u32_e32 v17, 32, v17
	v_subrev_nc_u32_e32 v18, 28, v17
	v_sub_nc_u32_e32 v17, 29, v17
	v_lshlrev_b64 v[100:101], v18, v[9:10]
	v_and_b32_e32 v9, 7, v100
; %bb.887:                              ;   in Loop: Header=BB326_487 Depth=1
	s_or_b32 exec_lo, exec_lo, s28
	v_lshlrev_b32_sdwa v18, v39, v15 dst_sel:DWORD dst_unused:UNUSED_PAD src0_sel:DWORD src1_sel:BYTE_3
	v_lshlrev_b32_e32 v9, 20, v9
	v_lshl_add_u32 v17, v17, 23, 0x3c000000
	v_and_b32_e32 v18, 0x80000000, v18
	v_or3_b32 v100, v9, v18, v17
.LBB326_888:                            ;   in Loop: Header=BB326_487 Depth=1
	s_or_b32 exec_lo, exec_lo, s27
.LBB326_889:                            ;   in Loop: Header=BB326_487 Depth=1
	s_or_b32 exec_lo, exec_lo, s26
.LBB326_890:                            ;   in Loop: Header=BB326_487 Depth=1
	s_or_b32 exec_lo, exec_lo, s22
	v_mov_b32_e32 v9, v16
	v_cmp_ne_u16_sdwa s0, v16, v10 src0_sel:BYTE_0 src1_sel:DWORD
	v_mov_b32_e32 v17, 0
	v_mov_b32_e32 v101, 0
	s_and_saveexec_b32 s22, s0
	s_cbranch_execz .LBB326_896
; %bb.891:                              ;   in Loop: Header=BB326_487 Depth=1
	v_cmp_ne_u16_sdwa s0, v16, v31 src0_sel:BYTE_0 src1_sel:DWORD
	v_bfrev_b32_e32 v101, 1
	s_and_saveexec_b32 s26, s0
	s_cbranch_execz .LBB326_895
; %bb.892:                              ;   in Loop: Header=BB326_487 Depth=1
	v_and_b32_e32 v18, 0x7f, v16
	v_mov_b32_e32 v101, 0x7f800001
	s_mov_b32 s27, exec_lo
	v_cmpx_ne_u32_e32 0x7f, v18
	s_cbranch_execz .LBB326_894
; %bb.893:                              ;   in Loop: Header=BB326_487 Depth=1
	v_and_b32_e32 v33, 7, v16
	v_lshrrev_b32_e32 v34, 3, v18
	v_cmp_gt_u32_e64 s0, 8, v18
	v_ffbh_u32_e32 v33, v33
	v_min_u32_e32 v33, 32, v33
	v_subrev_nc_u32_e32 v35, 28, v33
	v_sub_nc_u32_e32 v33, 29, v33
	v_cndmask_b32_e64 v18, v34, v33, s0
	v_cndmask_b32_e64 v33, 0, v35, s0
	v_lshl_add_u32 v18, v18, 23, 0x3c000000
	v_lshlrev_b64 v[101:102], v33, v[9:10]
	v_lshlrev_b32_e32 v33, 24, v9
	v_and_b32_e32 v33, 0x80000000, v33
	v_lshlrev_b32_e32 v34, 20, v101
	v_and_b32_e32 v34, 0x700000, v34
	v_or3_b32 v101, v34, v33, v18
.LBB326_894:                            ;   in Loop: Header=BB326_487 Depth=1
	s_or_b32 exec_lo, exec_lo, s27
.LBB326_895:                            ;   in Loop: Header=BB326_487 Depth=1
	s_or_b32 exec_lo, exec_lo, s26
.LBB326_896:                            ;   in Loop: Header=BB326_487 Depth=1
	s_or_b32 exec_lo, exec_lo, s22
	v_cmp_ne_u16_sdwa s0, v9, v10 src0_sel:BYTE_1 src1_sel:DWORD
	s_and_saveexec_b32 s22, s0
	s_cbranch_execz .LBB326_904
; %bb.897:                              ;   in Loop: Header=BB326_487 Depth=1
	v_cmp_ne_u16_sdwa s0, v9, v31 src0_sel:BYTE_1 src1_sel:DWORD
	v_bfrev_b32_e32 v17, 1
	s_and_saveexec_b32 s26, s0
	s_cbranch_execz .LBB326_903
; %bb.898:                              ;   in Loop: Header=BB326_487 Depth=1
	v_and_b32_sdwa v18, v32, v9 dst_sel:DWORD dst_unused:UNUSED_PAD src0_sel:DWORD src1_sel:BYTE_1
	v_mov_b32_e32 v17, 0x7f800001
	s_mov_b32 s27, exec_lo
	v_and_b32_e32 v103, 0x7f, v18
	v_cmpx_ne_u32_e32 0x7f, v103
	s_cbranch_execz .LBB326_902
; %bb.899:                              ;   in Loop: Header=BB326_487 Depth=1
	v_and_b32_e32 v17, 7, v18
	v_mov_b32_e32 v18, v10
	v_lshrrev_b32_e32 v102, 3, v103
	s_mov_b32 s28, exec_lo
	v_cmpx_gt_u32_e32 8, v103
; %bb.900:                              ;   in Loop: Header=BB326_487 Depth=1
	v_ffbh_u32_e32 v33, v17
	v_min_u32_e32 v33, 32, v33
	v_subrev_nc_u32_e32 v34, 28, v33
	v_sub_nc_u32_e32 v102, 29, v33
	v_lshlrev_b64 v[17:18], v34, v[17:18]
	v_and_b32_e32 v17, 7, v17
; %bb.901:                              ;   in Loop: Header=BB326_487 Depth=1
	s_or_b32 exec_lo, exec_lo, s28
	v_lshlrev_b32_e32 v9, 16, v9
	v_lshlrev_b32_e32 v17, 20, v17
	v_lshl_add_u32 v18, v102, 23, 0x3c000000
	v_and_b32_e32 v9, 0x80000000, v9
	v_or3_b32 v17, v17, v9, v18
.LBB326_902:                            ;   in Loop: Header=BB326_487 Depth=1
	s_or_b32 exec_lo, exec_lo, s27
.LBB326_903:                            ;   in Loop: Header=BB326_487 Depth=1
	s_or_b32 exec_lo, exec_lo, s26
.LBB326_904:                            ;   in Loop: Header=BB326_487 Depth=1
	s_or_b32 exec_lo, exec_lo, s22
	v_and_b32_sdwa v9, v16, v37 dst_sel:DWORD dst_unused:UNUSED_PAD src0_sel:WORD_1 src1_sel:DWORD
	v_mov_b32_e32 v18, 0
	v_mov_b32_e32 v102, 0
	s_mov_b32 s22, exec_lo
	v_cmpx_ne_u16_e32 0, v9
	s_cbranch_execz .LBB326_912
; %bb.905:                              ;   in Loop: Header=BB326_487 Depth=1
	v_bfrev_b32_e32 v102, 1
	s_mov_b32 s26, exec_lo
	v_cmpx_ne_u16_e32 0x80, v9
	s_cbranch_execz .LBB326_911
; %bb.906:                              ;   in Loop: Header=BB326_487 Depth=1
	v_bfe_u32 v103, v16, 16, 7
	v_mov_b32_e32 v102, 0x7f800001
	s_mov_b32 s27, exec_lo
	v_cmpx_ne_u32_e32 0x7f, v103
	s_cbranch_execz .LBB326_910
; %bb.907:                              ;   in Loop: Header=BB326_487 Depth=1
	v_and_b32_sdwa v9, v16, v38 dst_sel:DWORD dst_unused:UNUSED_PAD src0_sel:WORD_1 src1_sel:DWORD
	v_lshrrev_b32_e32 v102, 3, v103
	s_mov_b32 s28, exec_lo
	v_cmpx_gt_u32_e32 8, v103
; %bb.908:                              ;   in Loop: Header=BB326_487 Depth=1
	v_ffbh_u32_e32 v33, v9
	v_min_u32_e32 v33, 32, v33
	v_subrev_nc_u32_e32 v34, 28, v33
	v_sub_nc_u32_e32 v102, 29, v33
	v_lshlrev_b64 v[103:104], v34, v[9:10]
	v_and_b32_e32 v9, 7, v103
; %bb.909:                              ;   in Loop: Header=BB326_487 Depth=1
	s_or_b32 exec_lo, exec_lo, s28
	v_lshlrev_b32_sdwa v33, v39, v16 dst_sel:DWORD dst_unused:UNUSED_PAD src0_sel:DWORD src1_sel:WORD_1
	v_lshlrev_b32_e32 v9, 20, v9
	v_lshl_add_u32 v34, v102, 23, 0x3c000000
	v_and_b32_e32 v33, 0x80000000, v33
	v_or3_b32 v102, v9, v33, v34
.LBB326_910:                            ;   in Loop: Header=BB326_487 Depth=1
	s_or_b32 exec_lo, exec_lo, s27
.LBB326_911:                            ;   in Loop: Header=BB326_487 Depth=1
	s_or_b32 exec_lo, exec_lo, s26
.LBB326_912:                            ;   in Loop: Header=BB326_487 Depth=1
	s_or_b32 exec_lo, exec_lo, s22
	s_mov_b32 s22, exec_lo
	v_cmpx_lt_u64_e64 s[2:3], v[15:16]
	s_cbranch_execz .LBB326_920
; %bb.913:                              ;   in Loop: Header=BB326_487 Depth=1
	v_cmp_ne_u32_sdwa s0, v16, v31 src0_sel:BYTE_3 src1_sel:DWORD
	v_bfrev_b32_e32 v18, 1
	s_and_saveexec_b32 s26, s0
	s_cbranch_execz .LBB326_919
; %bb.914:                              ;   in Loop: Header=BB326_487 Depth=1
	v_bfe_u32 v103, v16, 24, 7
	v_mov_b32_e32 v18, 0x7f800001
	s_mov_b32 s27, exec_lo
	v_cmpx_ne_u32_e32 0x7f, v103
	s_cbranch_execz .LBB326_918
; %bb.915:                              ;   in Loop: Header=BB326_487 Depth=1
	v_and_b32_sdwa v9, v16, v38 dst_sel:DWORD dst_unused:UNUSED_PAD src0_sel:BYTE_3 src1_sel:DWORD
	v_lshrrev_b32_e32 v15, 3, v103
	s_mov_b32 s28, exec_lo
	v_cmpx_gt_u32_e32 8, v103
; %bb.916:                              ;   in Loop: Header=BB326_487 Depth=1
	v_ffbh_u32_e32 v15, v9
	v_min_u32_e32 v15, 32, v15
	v_subrev_nc_u32_e32 v18, 28, v15
	v_sub_nc_u32_e32 v15, 29, v15
	v_lshlrev_b64 v[103:104], v18, v[9:10]
	v_and_b32_e32 v9, 7, v103
; %bb.917:                              ;   in Loop: Header=BB326_487 Depth=1
	s_or_b32 exec_lo, exec_lo, s28
	v_lshlrev_b32_sdwa v16, v39, v16 dst_sel:DWORD dst_unused:UNUSED_PAD src0_sel:DWORD src1_sel:BYTE_3
	v_lshlrev_b32_e32 v9, 20, v9
	v_lshl_add_u32 v15, v15, 23, 0x3c000000
	v_and_b32_e32 v16, 0x80000000, v16
	v_or3_b32 v18, v9, v16, v15
.LBB326_918:                            ;   in Loop: Header=BB326_487 Depth=1
	s_or_b32 exec_lo, exec_lo, s27
.LBB326_919:                            ;   in Loop: Header=BB326_487 Depth=1
	s_or_b32 exec_lo, exec_lo, s26
.LBB326_920:                            ;   in Loop: Header=BB326_487 Depth=1
	s_or_b32 exec_lo, exec_lo, s22
	v_mul_f32_e32 v9, s21, v17
	v_mul_f32_e32 v15, s21, v101
	;; [unrolled: 1-line block ×5, first 2 shown]
	v_bfe_u32 v33, v9, 16, 1
	v_or_b32_e32 v34, 0x400000, v9
	v_bfe_u32 v35, v15, 16, 1
	v_cmp_u_f32_e64 s0, v9, v9
	v_or_b32_e32 v99, 0x400000, v15
	v_add3_u32 v33, v33, v9, 0x7fff
	v_bfe_u32 v100, v16, 16, 1
	v_add3_u32 v35, v35, v15, 0x7fff
	v_or_b32_e32 v101, 0x400000, v16
	v_bfe_u32 v103, v17, 16, 1
	v_cndmask_b32_e64 v9, v33, v34, s0
	v_cmp_u_f32_e64 s0, v15, v15
	v_add3_u32 v100, v100, v16, 0x7fff
	v_mul_f32_e32 v33, s21, v98
	v_add3_u32 v34, v103, v17, 0x7fff
	v_lshrrev_b32_e32 v9, 16, v9
	v_cndmask_b32_e64 v15, v35, v99, s0
	v_cmp_u_f32_e64 s0, v16, v16
	v_or_b32_e32 v35, 0x400000, v17
	v_bfe_u32 v98, v33, 16, 1
	v_lshrrev_b32_e32 v15, 16, v15
	v_cndmask_b32_e64 v16, v100, v101, s0
	v_cmp_u_f32_e64 s0, v17, v17
	v_lshrrev_b32_e32 v16, 16, v16
	v_cndmask_b32_e64 v17, v34, v35, s0
	v_mul_f32_e32 v34, s21, v96
	v_mul_f32_e32 v35, s21, v102
	v_add3_u32 v96, v98, v33, 0x7fff
	v_or_b32_e32 v98, 0x400000, v33
	v_cmp_u_f32_e64 s0, v33, v33
	v_bfe_u32 v99, v34, 16, 1
	v_bfe_u32 v100, v35, 16, 1
	v_or_b32_e32 v101, 0x400000, v35
	v_or_b32_e32 v102, 0x400000, v18
	v_cndmask_b32_e64 v33, v96, v98, s0
	v_add3_u32 v98, v99, v34, 0x7fff
	v_or_b32_e32 v99, 0x400000, v34
	v_cmp_u_f32_e64 s0, v34, v34
	v_bfe_u32 v96, v18, 16, 1
	v_add3_u32 v100, v100, v35, 0x7fff
	v_cndmask_b32_e64 v34, v98, v99, s0
	v_cmp_u_f32_e64 s0, v35, v35
	v_add3_u32 v96, v96, v18, 0x7fff
	v_lshrrev_b32_e32 v98, 16, v33
	v_lshrrev_b32_e32 v99, 16, v34
	v_cndmask_b32_e64 v35, v100, v101, s0
	v_cmp_u_f32_e64 s0, v18, v18
	v_lshrrev_b32_e32 v18, 16, v35
	v_cndmask_b32_e64 v100, v96, v102, s0
	v_lshrrev_b32_e32 v96, 16, v17
	v_lshrrev_b32_e32 v17, 16, v100
	s_and_saveexec_b32 s0, vcc_lo
	s_cbranch_execz .LBB326_485
; %bb.921:                              ;   in Loop: Header=BB326_487 Depth=1
	v_cmp_gt_i32_e32 vcc_lo, s33, v51
	v_cndmask_b32_e32 v99, 0, v99, vcc_lo
	v_cmp_gt_i32_e32 vcc_lo, s33, v58
	v_cndmask_b32_e32 v98, 0, v98, vcc_lo
	;; [unrolled: 2-line block ×8, first 2 shown]
	s_branch .LBB326_485
.LBB326_922:
	s_or_b32 exec_lo, exec_lo, s17
	v_mov_b32_e32 v18, v105
	v_mov_b32_e32 v52, v106
.LBB326_923:
	s_or_b32 exec_lo, exec_lo, s1
	ds_bpermute_b32 v1, v22, v29
	ds_bpermute_b32 v2, v22, v28
	;; [unrolled: 1-line block ×7, first 2 shown]
	v_lshrrev_b32_e32 v8, 1, v21
	v_mul_u32_u24_e32 v10, 0x1c0, v52
	v_and_b32_e32 v14, 0x3c1, v0
	s_mov_b32 s0, exec_lo
	s_waitcnt lgkmcnt(0)
	v_lshl_add_u32 v9, v8, 2, 0x100
	s_barrier
	buffer_gl0_inv
	v_add_f32_e32 v7, v29, v1
	v_add_f32_e32 v6, v28, v2
	;; [unrolled: 1-line block ×7, first 2 shown]
	v_cmpx_eq_u32_e32 64, v14
	s_cbranch_execz .LBB326_925
; %bb.924:
	v_add_nc_u32_e32 v11, v9, v10
	v_add_nc_u32_e32 v12, 0xfffffc80, v11
	;; [unrolled: 1-line block ×8, first 2 shown]
	ds_write_b32 v12, v7
	ds_write_b32 v13, v6
	;; [unrolled: 1-line block ×7, first 2 shown]
.LBB326_925:
	s_or_b32 exec_lo, exec_lo, s0
	v_lshlrev_b32_e32 v8, 2, v8
	s_mov_b32 s1, exec_lo
	v_cmp_eq_u32_e32 vcc_lo, 0, v18
	s_waitcnt lgkmcnt(0)
	s_barrier
	v_add3_u32 v8, 0x100, v10, v8
	buffer_gl0_inv
	v_cmpx_gt_u32_e32 64, v0
	s_cbranch_execz .LBB326_935
; %bb.926:
	s_and_saveexec_b32 s0, vcc_lo
	s_cbranch_execnz .LBB326_950
; %bb.927:
	s_or_b32 exec_lo, exec_lo, s0
	s_and_saveexec_b32 s0, vcc_lo
	s_cbranch_execnz .LBB326_951
.LBB326_928:
	s_or_b32 exec_lo, exec_lo, s0
	s_and_saveexec_b32 s0, vcc_lo
	s_cbranch_execnz .LBB326_952
.LBB326_929:
	s_or_b32 exec_lo, exec_lo, s0
	s_and_saveexec_b32 s0, vcc_lo
	s_cbranch_execnz .LBB326_953
.LBB326_930:
	s_or_b32 exec_lo, exec_lo, s0
	s_and_saveexec_b32 s0, vcc_lo
	s_cbranch_execnz .LBB326_954
.LBB326_931:
	s_or_b32 exec_lo, exec_lo, s0
	s_and_saveexec_b32 s0, vcc_lo
	s_cbranch_execnz .LBB326_955
.LBB326_932:
	s_or_b32 exec_lo, exec_lo, s0
	s_and_saveexec_b32 s0, vcc_lo
	s_cbranch_execz .LBB326_934
.LBB326_933:
	ds_read_b32 v10, v8 offset:384
	s_waitcnt lgkmcnt(0)
	v_add_f32_e32 v1, v1, v10
.LBB326_934:
	s_or_b32 exec_lo, exec_lo, s0
.LBB326_935:
	s_or_b32 exec_lo, exec_lo, s1
	v_and_b32_e32 v10, 0x3e1, v0
	s_mov_b32 s1, exec_lo
	s_barrier
	buffer_gl0_inv
	v_cmpx_eq_u32_e32 32, v10
	s_cbranch_execz .LBB326_937
; %bb.936:
	ds_write2_b32 v9, v7, v6 offset1:16
	ds_write2_b32 v9, v5, v4 offset0:32 offset1:48
	ds_write2_b32 v9, v3, v2 offset0:64 offset1:80
	ds_write_b32 v9, v1 offset:384
.LBB326_937:
	s_or_b32 exec_lo, exec_lo, s1
	s_mov_b32 s1, exec_lo
	s_waitcnt lgkmcnt(0)
	s_barrier
	buffer_gl0_inv
	v_cmpx_gt_u32_e32 32, v0
	s_cbranch_execz .LBB326_947
; %bb.938:
	s_and_saveexec_b32 s0, vcc_lo
	s_cbranch_execnz .LBB326_956
; %bb.939:
	s_or_b32 exec_lo, exec_lo, s0
	s_and_saveexec_b32 s0, vcc_lo
	s_cbranch_execnz .LBB326_957
.LBB326_940:
	s_or_b32 exec_lo, exec_lo, s0
	s_and_saveexec_b32 s0, vcc_lo
	s_cbranch_execnz .LBB326_958
.LBB326_941:
	s_or_b32 exec_lo, exec_lo, s0
	s_and_saveexec_b32 s0, vcc_lo
	s_cbranch_execnz .LBB326_959
.LBB326_942:
	s_or_b32 exec_lo, exec_lo, s0
	s_and_saveexec_b32 s0, vcc_lo
	s_cbranch_execnz .LBB326_960
.LBB326_943:
	s_or_b32 exec_lo, exec_lo, s0
	s_and_saveexec_b32 s0, vcc_lo
	s_cbranch_execnz .LBB326_961
.LBB326_944:
	s_or_b32 exec_lo, exec_lo, s0
	s_and_saveexec_b32 s0, vcc_lo
	s_cbranch_execz .LBB326_946
.LBB326_945:
	ds_read_b32 v0, v8 offset:384
	s_waitcnt lgkmcnt(0)
	v_add_f32_e32 v1, v1, v0
.LBB326_946:
	s_or_b32 exec_lo, exec_lo, s0
.LBB326_947:
	s_or_b32 exec_lo, exec_lo, s1
	s_barrier
	buffer_gl0_inv
	s_mov_b32 s0, exec_lo
	v_cmpx_eq_u32_e32 0, v10
	s_cbranch_execz .LBB326_949
; %bb.948:
	buffer_load_dword v0, off, s[48:51], 0 offset:12 ; 4-byte Folded Reload
	s_mul_i32 s0, s10, s11
	v_bfe_u32 v8, v7, 16, 1
	s_mul_i32 s0, s0, s9
	s_mul_i32 s2, s11, s24
	s_mulk_i32 s0, 0x70
	v_or_b32_e32 v9, 0x400000, v7
	s_ashr_i32 s1, s0, 31
	v_bfe_u32 v10, v6, 16, 1
	s_lshl_b64 s[0:1], s[0:1], 1
	v_add3_u32 v8, v8, v7, 0x7fff
	s_add_u32 s5, s6, s0
	s_addc_u32 s6, s7, s1
	s_ashr_i32 s3, s2, 31
	v_cmp_u_f32_e32 vcc_lo, v7, v7
	s_lshl_b64 s[0:1], s[2:3], 1
	s_mul_i32 s4, s8, 0x70
	s_add_u32 s2, s5, s0
	s_addc_u32 s3, s6, s1
	s_ashr_i32 s5, s4, 31
	v_add3_u32 v10, v10, v6, 0x7fff
	s_lshl_b64 s[0:1], s[4:5], 1
	v_or_b32_e32 v11, 0x400000, v6
	v_cndmask_b32_e32 v7, v8, v9, vcc_lo
	v_bfe_u32 v8, v5, 16, 1
	v_cmp_u_f32_e32 vcc_lo, v6, v6
	s_add_u32 s0, s2, s0
	s_addc_u32 s1, s3, s1
	v_bfe_u32 v9, v4, 16, 1
	v_cndmask_b32_e32 v6, v10, v11, vcc_lo
	v_cmp_u_f32_e32 vcc_lo, v5, v5
	v_or_b32_e32 v10, 0x400000, v2
	v_or_b32_e32 v11, 0x400000, v1
	s_waitcnt vmcnt(0)
	v_lshlrev_b32_e32 v0, 1, v0
	global_store_short_d16_hi v0, v7, s[0:1]
	v_add3_u32 v7, v8, v5, 0x7fff
	v_or_b32_e32 v8, 0x400000, v5
	global_store_short_d16_hi v0, v6, s[0:1] offset:32
	v_add3_u32 v6, v9, v4, 0x7fff
	v_or_b32_e32 v9, 0x400000, v4
	v_cndmask_b32_e32 v5, v7, v8, vcc_lo
	v_bfe_u32 v7, v3, 16, 1
	v_cmp_u_f32_e32 vcc_lo, v4, v4
	v_bfe_u32 v8, v2, 16, 1
	v_add3_u32 v7, v7, v3, 0x7fff
	v_cndmask_b32_e32 v4, v6, v9, vcc_lo
	v_or_b32_e32 v9, 0x400000, v3
	v_cmp_u_f32_e32 vcc_lo, v3, v3
	v_bfe_u32 v6, v1, 16, 1
	v_add3_u32 v8, v8, v2, 0x7fff
	v_cndmask_b32_e32 v3, v7, v9, vcc_lo
	v_cmp_u_f32_e32 vcc_lo, v2, v2
	v_add3_u32 v6, v6, v1, 0x7fff
	v_cndmask_b32_e32 v2, v8, v10, vcc_lo
	v_cmp_u_f32_e32 vcc_lo, v1, v1
	v_cndmask_b32_e32 v1, v6, v11, vcc_lo
	global_store_short_d16_hi v0, v5, s[0:1] offset:64
	global_store_short_d16_hi v0, v4, s[0:1] offset:96
	;; [unrolled: 1-line block ×5, first 2 shown]
.LBB326_949:
	s_endpgm
.LBB326_950:
	ds_read_b32 v10, v8
	s_waitcnt lgkmcnt(0)
	v_add_f32_e32 v7, v7, v10
	s_or_b32 exec_lo, exec_lo, s0
	s_and_saveexec_b32 s0, vcc_lo
	s_cbranch_execz .LBB326_928
.LBB326_951:
	ds_read_b32 v10, v8 offset:64
	s_waitcnt lgkmcnt(0)
	v_add_f32_e32 v6, v6, v10
	s_or_b32 exec_lo, exec_lo, s0
	s_and_saveexec_b32 s0, vcc_lo
	s_cbranch_execz .LBB326_929
.LBB326_952:
	ds_read_b32 v10, v8 offset:128
	s_waitcnt lgkmcnt(0)
	v_add_f32_e32 v5, v5, v10
	s_or_b32 exec_lo, exec_lo, s0
	s_and_saveexec_b32 s0, vcc_lo
	s_cbranch_execz .LBB326_930
.LBB326_953:
	ds_read_b32 v10, v8 offset:192
	s_waitcnt lgkmcnt(0)
	v_add_f32_e32 v4, v4, v10
	s_or_b32 exec_lo, exec_lo, s0
	s_and_saveexec_b32 s0, vcc_lo
	s_cbranch_execz .LBB326_931
.LBB326_954:
	ds_read_b32 v10, v8 offset:256
	s_waitcnt lgkmcnt(0)
	v_add_f32_e32 v3, v3, v10
	s_or_b32 exec_lo, exec_lo, s0
	s_and_saveexec_b32 s0, vcc_lo
	s_cbranch_execz .LBB326_932
.LBB326_955:
	ds_read_b32 v10, v8 offset:320
	s_waitcnt lgkmcnt(0)
	v_add_f32_e32 v2, v2, v10
	s_or_b32 exec_lo, exec_lo, s0
	s_and_saveexec_b32 s0, vcc_lo
	s_cbranch_execnz .LBB326_933
	s_branch .LBB326_934
.LBB326_956:
	ds_read_b32 v0, v8
	s_waitcnt lgkmcnt(0)
	v_add_f32_e32 v7, v7, v0
	s_or_b32 exec_lo, exec_lo, s0
	s_and_saveexec_b32 s0, vcc_lo
	s_cbranch_execz .LBB326_940
.LBB326_957:
	ds_read_b32 v0, v8 offset:64
	s_waitcnt lgkmcnt(0)
	v_add_f32_e32 v6, v6, v0
	s_or_b32 exec_lo, exec_lo, s0
	s_and_saveexec_b32 s0, vcc_lo
	s_cbranch_execz .LBB326_941
.LBB326_958:
	ds_read_b32 v0, v8 offset:128
	s_waitcnt lgkmcnt(0)
	v_add_f32_e32 v5, v5, v0
	s_or_b32 exec_lo, exec_lo, s0
	s_and_saveexec_b32 s0, vcc_lo
	s_cbranch_execz .LBB326_942
.LBB326_959:
	ds_read_b32 v0, v8 offset:192
	s_waitcnt lgkmcnt(0)
	v_add_f32_e32 v4, v4, v0
	s_or_b32 exec_lo, exec_lo, s0
	s_and_saveexec_b32 s0, vcc_lo
	s_cbranch_execz .LBB326_943
.LBB326_960:
	ds_read_b32 v0, v8 offset:256
	s_waitcnt lgkmcnt(0)
	v_add_f32_e32 v3, v3, v0
	s_or_b32 exec_lo, exec_lo, s0
	s_and_saveexec_b32 s0, vcc_lo
	s_cbranch_execz .LBB326_944
.LBB326_961:
	ds_read_b32 v0, v8 offset:320
	s_waitcnt lgkmcnt(0)
	v_add_f32_e32 v2, v2, v0
	s_or_b32 exec_lo, exec_lo, s0
	s_and_saveexec_b32 s0, vcc_lo
	s_cbranch_execnz .LBB326_945
	s_branch .LBB326_946
	.section	.rodata,"a",@progbits
	.p2align	6, 0x0
	.amdhsa_kernel _ZN4vllm25paged_attention_v1_kernelI14__hip_bfloat16hLi112ELi16ELi128ELNS_18Fp8KVCacheDataTypeE1ELb1EEEvPT_PKS3_PKT0_S9_ifPKiSB_iPKfiiiSD_SD_iiiii
		.amdhsa_group_segment_fixed_size 256
		.amdhsa_private_segment_fixed_size 20
		.amdhsa_kernarg_size 384
		.amdhsa_user_sgpr_count 6
		.amdhsa_user_sgpr_private_segment_buffer 1
		.amdhsa_user_sgpr_dispatch_ptr 0
		.amdhsa_user_sgpr_queue_ptr 0
		.amdhsa_user_sgpr_kernarg_segment_ptr 1
		.amdhsa_user_sgpr_dispatch_id 0
		.amdhsa_user_sgpr_flat_scratch_init 0
		.amdhsa_user_sgpr_private_segment_size 0
		.amdhsa_wavefront_size32 1
		.amdhsa_uses_dynamic_stack 0
		.amdhsa_system_sgpr_private_segment_wavefront_offset 1
		.amdhsa_system_sgpr_workgroup_id_x 1
		.amdhsa_system_sgpr_workgroup_id_y 1
		.amdhsa_system_sgpr_workgroup_id_z 1
		.amdhsa_system_sgpr_workgroup_info 0
		.amdhsa_system_vgpr_workitem_id 0
		.amdhsa_next_free_vgpr 128
		.amdhsa_next_free_sgpr 52
		.amdhsa_reserve_vcc 1
		.amdhsa_reserve_flat_scratch 0
		.amdhsa_float_round_mode_32 0
		.amdhsa_float_round_mode_16_64 0
		.amdhsa_float_denorm_mode_32 3
		.amdhsa_float_denorm_mode_16_64 3
		.amdhsa_dx10_clamp 1
		.amdhsa_ieee_mode 1
		.amdhsa_fp16_overflow 0
		.amdhsa_workgroup_processor_mode 1
		.amdhsa_memory_ordered 1
		.amdhsa_forward_progress 1
		.amdhsa_shared_vgpr_count 0
		.amdhsa_exception_fp_ieee_invalid_op 0
		.amdhsa_exception_fp_denorm_src 0
		.amdhsa_exception_fp_ieee_div_zero 0
		.amdhsa_exception_fp_ieee_overflow 0
		.amdhsa_exception_fp_ieee_underflow 0
		.amdhsa_exception_fp_ieee_inexact 0
		.amdhsa_exception_int_div_zero 0
	.end_amdhsa_kernel
	.section	.text._ZN4vllm25paged_attention_v1_kernelI14__hip_bfloat16hLi112ELi16ELi128ELNS_18Fp8KVCacheDataTypeE1ELb1EEEvPT_PKS3_PKT0_S9_ifPKiSB_iPKfiiiSD_SD_iiiii,"axG",@progbits,_ZN4vllm25paged_attention_v1_kernelI14__hip_bfloat16hLi112ELi16ELi128ELNS_18Fp8KVCacheDataTypeE1ELb1EEEvPT_PKS3_PKT0_S9_ifPKiSB_iPKfiiiSD_SD_iiiii,comdat
.Lfunc_end326:
	.size	_ZN4vllm25paged_attention_v1_kernelI14__hip_bfloat16hLi112ELi16ELi128ELNS_18Fp8KVCacheDataTypeE1ELb1EEEvPT_PKS3_PKT0_S9_ifPKiSB_iPKfiiiSD_SD_iiiii, .Lfunc_end326-_ZN4vllm25paged_attention_v1_kernelI14__hip_bfloat16hLi112ELi16ELi128ELNS_18Fp8KVCacheDataTypeE1ELb1EEEvPT_PKS3_PKT0_S9_ifPKiSB_iPKfiiiSD_SD_iiiii
                                        ; -- End function
	.set _ZN4vllm25paged_attention_v1_kernelI14__hip_bfloat16hLi112ELi16ELi128ELNS_18Fp8KVCacheDataTypeE1ELb1EEEvPT_PKS3_PKT0_S9_ifPKiSB_iPKfiiiSD_SD_iiiii.num_vgpr, 128
	.set _ZN4vllm25paged_attention_v1_kernelI14__hip_bfloat16hLi112ELi16ELi128ELNS_18Fp8KVCacheDataTypeE1ELb1EEEvPT_PKS3_PKT0_S9_ifPKiSB_iPKfiiiSD_SD_iiiii.num_agpr, 0
	.set _ZN4vllm25paged_attention_v1_kernelI14__hip_bfloat16hLi112ELi16ELi128ELNS_18Fp8KVCacheDataTypeE1ELb1EEEvPT_PKS3_PKT0_S9_ifPKiSB_iPKfiiiSD_SD_iiiii.numbered_sgpr, 52
	.set _ZN4vllm25paged_attention_v1_kernelI14__hip_bfloat16hLi112ELi16ELi128ELNS_18Fp8KVCacheDataTypeE1ELb1EEEvPT_PKS3_PKT0_S9_ifPKiSB_iPKfiiiSD_SD_iiiii.num_named_barrier, 0
	.set _ZN4vllm25paged_attention_v1_kernelI14__hip_bfloat16hLi112ELi16ELi128ELNS_18Fp8KVCacheDataTypeE1ELb1EEEvPT_PKS3_PKT0_S9_ifPKiSB_iPKfiiiSD_SD_iiiii.private_seg_size, 20
	.set _ZN4vllm25paged_attention_v1_kernelI14__hip_bfloat16hLi112ELi16ELi128ELNS_18Fp8KVCacheDataTypeE1ELb1EEEvPT_PKS3_PKT0_S9_ifPKiSB_iPKfiiiSD_SD_iiiii.uses_vcc, 1
	.set _ZN4vllm25paged_attention_v1_kernelI14__hip_bfloat16hLi112ELi16ELi128ELNS_18Fp8KVCacheDataTypeE1ELb1EEEvPT_PKS3_PKT0_S9_ifPKiSB_iPKfiiiSD_SD_iiiii.uses_flat_scratch, 0
	.set _ZN4vllm25paged_attention_v1_kernelI14__hip_bfloat16hLi112ELi16ELi128ELNS_18Fp8KVCacheDataTypeE1ELb1EEEvPT_PKS3_PKT0_S9_ifPKiSB_iPKfiiiSD_SD_iiiii.has_dyn_sized_stack, 0
	.set _ZN4vllm25paged_attention_v1_kernelI14__hip_bfloat16hLi112ELi16ELi128ELNS_18Fp8KVCacheDataTypeE1ELb1EEEvPT_PKS3_PKT0_S9_ifPKiSB_iPKfiiiSD_SD_iiiii.has_recursion, 0
	.set _ZN4vllm25paged_attention_v1_kernelI14__hip_bfloat16hLi112ELi16ELi128ELNS_18Fp8KVCacheDataTypeE1ELb1EEEvPT_PKS3_PKT0_S9_ifPKiSB_iPKfiiiSD_SD_iiiii.has_indirect_call, 0
	.section	.AMDGPU.csdata,"",@progbits
; Kernel info:
; codeLenInByte = 35680
; TotalNumSgprs: 54
; NumVgprs: 128
; ScratchSize: 20
; MemoryBound: 0
; FloatMode: 240
; IeeeMode: 1
; LDSByteSize: 256 bytes/workgroup (compile time only)
; SGPRBlocks: 0
; VGPRBlocks: 15
; NumSGPRsForWavesPerEU: 54
; NumVGPRsForWavesPerEU: 128
; Occupancy: 8
; WaveLimiterHint : 1
; COMPUTE_PGM_RSRC2:SCRATCH_EN: 1
; COMPUTE_PGM_RSRC2:USER_SGPR: 6
; COMPUTE_PGM_RSRC2:TRAP_HANDLER: 0
; COMPUTE_PGM_RSRC2:TGID_X_EN: 1
; COMPUTE_PGM_RSRC2:TGID_Y_EN: 1
; COMPUTE_PGM_RSRC2:TGID_Z_EN: 1
; COMPUTE_PGM_RSRC2:TIDIG_COMP_CNT: 0
	.section	.text._ZN4vllm25paged_attention_v1_kernelI14__hip_bfloat16hLi120ELi16ELi128ELNS_18Fp8KVCacheDataTypeE1ELb1EEEvPT_PKS3_PKT0_S9_ifPKiSB_iPKfiiiSD_SD_iiiii,"axG",@progbits,_ZN4vllm25paged_attention_v1_kernelI14__hip_bfloat16hLi120ELi16ELi128ELNS_18Fp8KVCacheDataTypeE1ELb1EEEvPT_PKS3_PKT0_S9_ifPKiSB_iPKfiiiSD_SD_iiiii,comdat
	.protected	_ZN4vllm25paged_attention_v1_kernelI14__hip_bfloat16hLi120ELi16ELi128ELNS_18Fp8KVCacheDataTypeE1ELb1EEEvPT_PKS3_PKT0_S9_ifPKiSB_iPKfiiiSD_SD_iiiii ; -- Begin function _ZN4vllm25paged_attention_v1_kernelI14__hip_bfloat16hLi120ELi16ELi128ELNS_18Fp8KVCacheDataTypeE1ELb1EEEvPT_PKS3_PKT0_S9_ifPKiSB_iPKfiiiSD_SD_iiiii
	.globl	_ZN4vllm25paged_attention_v1_kernelI14__hip_bfloat16hLi120ELi16ELi128ELNS_18Fp8KVCacheDataTypeE1ELb1EEEvPT_PKS3_PKT0_S9_ifPKiSB_iPKfiiiSD_SD_iiiii
	.p2align	8
	.type	_ZN4vllm25paged_attention_v1_kernelI14__hip_bfloat16hLi120ELi16ELi128ELNS_18Fp8KVCacheDataTypeE1ELb1EEEvPT_PKS3_PKT0_S9_ifPKiSB_iPKfiiiSD_SD_iiiii,@function
_ZN4vllm25paged_attention_v1_kernelI14__hip_bfloat16hLi120ELi16ELi128ELNS_18Fp8KVCacheDataTypeE1ELb1EEEvPT_PKS3_PKT0_S9_ifPKiSB_iPKfiiiSD_SD_iiiii: ; @_ZN4vllm25paged_attention_v1_kernelI14__hip_bfloat16hLi120ELi16ELi128ELNS_18Fp8KVCacheDataTypeE1ELb1EEEvPT_PKS3_PKT0_S9_ifPKiSB_iPKfiiiSD_SD_iiiii
; %bb.0:
	s_mov_b64 s[50:51], s[2:3]
	s_mov_b64 s[48:49], s[0:1]
	s_mov_b32 s10, s7
	s_add_u32 s48, s48, s9
	s_clause 0x2
	s_load_dword s9, s[4:5], 0x80
	s_load_dwordx2 s[0:1], s[4:5], 0x30
	s_load_dwordx2 s[34:35], s[4:5], 0x20
	s_addc_u32 s49, s49, 0
	s_ashr_i32 s11, s7, 31
	v_mov_b32_e32 v14, v0
	s_lshl_b64 s[2:3], s[10:11], 2
	s_mov_b32 s36, 0
	s_waitcnt lgkmcnt(0)
	s_add_u32 s0, s0, s2
	s_addc_u32 s1, s1, s3
	s_abs_i32 s2, s34
	s_abs_i32 s11, s9
	v_cvt_f32_u32_e32 v1, s2
	s_sub_i32 s7, 0, s2
	v_rcp_iflag_f32_e32 v1, v1
	v_mul_f32_e32 v1, 0x4f7ffffe, v1
	v_cvt_u32_f32_e32 v1, v1
	v_readfirstlane_b32 s3, v1
	s_mul_i32 s7, s7, s3
	s_mul_hi_u32 s7, s3, s7
	s_add_i32 s3, s3, s7
	s_xor_b32 s7, s9, s34
	s_mul_hi_u32 s3, s11, s3
	s_ashr_i32 s7, s7, 31
	s_mul_i32 s12, s3, s2
	s_sub_i32 s11, s11, s12
	s_add_i32 s12, s3, 1
	s_sub_i32 s13, s11, s2
	s_cmp_ge_u32 s11, s2
	s_cselect_b32 s3, s12, s3
	s_cselect_b32 s11, s13, s11
	s_add_i32 s12, s3, 1
	s_cmp_ge_u32 s11, s2
	s_cselect_b32 s2, s12, s3
	s_xor_b32 s2, s2, s7
	s_sub_i32 s14, s2, s7
	s_load_dwordx2 s[2:3], s[4:5], 0x40
	s_abs_i32 s11, s14
	v_cvt_f32_u32_e32 v1, s11
	s_sub_i32 s12, 0, s11
	v_rcp_iflag_f32_e32 v1, v1
	v_mul_f32_e32 v1, 0x4f7ffffe, v1
	v_cvt_u32_f32_e32 v1, v1
	v_readfirstlane_b32 s7, v1
	s_mul_i32 s12, s12, s7
	s_mul_hi_u32 s13, s7, s12
	s_abs_i32 s12, s6
	s_add_i32 s7, s7, s13
	s_waitcnt lgkmcnt(0)
	s_cmp_eq_u64 s[2:3], 0
	s_mul_hi_u32 s13, s12, s7
	s_cbranch_scc1 .LBB327_2
; %bb.1:
	s_ashr_i32 s7, s6, 31
	s_lshl_b64 s[16:17], s[6:7], 2
	s_add_u32 s2, s2, s16
	s_addc_u32 s3, s3, s17
	s_load_dword s36, s[2:3], 0x0
.LBB327_2:
	s_load_dword s33, s[0:1], 0x0
	s_load_dwordx4 s[16:19], s[4:5], 0x48
	v_lshrrev_b32_e32 v103, 1, v14
	v_and_b32_e32 v13, 1, v14
	v_lshlrev_b32_e32 v15, 3, v14
	s_ashr_i32 s0, s6, 31
	s_ashr_i32 s1, s14, 31
	s_mul_i32 s24, s6, 0x78
	s_mov_b32 s2, exec_lo
	v_cmpx_gt_u32_e32 30, v14
	s_cbranch_execz .LBB327_4
; %bb.3:
	s_load_dwordx2 s[14:15], s[4:5], 0x8
	s_waitcnt lgkmcnt(0)
	s_mul_i32 s20, s16, s10
	v_lshlrev_b32_e32 v3, 3, v103
	s_ashr_i32 s21, s20, 31
	s_lshl_b64 s[20:21], s[20:21], 1
	v_mad_u32_u24 v3, 0x78, v13, v3
	s_add_u32 s3, s14, s20
	s_addc_u32 s7, s15, s21
	s_ashr_i32 s25, s24, 31
	s_lshl_b64 s[14:15], s[24:25], 1
	s_add_u32 s14, s3, s14
	s_addc_u32 s15, s7, s15
	global_load_dwordx2 v[1:2], v15, s[14:15]
	s_waitcnt vmcnt(0)
	ds_write_b64 v3, v[1:2]
.LBB327_4:
	s_or_b32 exec_lo, exec_lo, s2
	s_load_dwordx4 s[20:23], s[4:5], 0x68
	s_mul_i32 s2, s13, s11
	s_xor_b32 s1, s0, s1
	s_sub_i32 s0, s12, s2
	s_add_i32 s2, s13, 1
	s_sub_i32 s3, s0, s11
	s_cmp_ge_u32 s0, s11
	s_mov_b32 s12, -1
	s_cselect_b32 s2, s2, s13
	s_cselect_b32 s0, s3, s0
	s_add_i32 s3, s2, 1
	s_cmp_ge_u32 s0, s11
	s_load_dword s0, s[4:5], 0x78
	s_cselect_b32 s2, s3, s2
	s_waitcnt lgkmcnt(0)
	s_add_i32 s7, s33, -1
	s_xor_b32 s2, s2, s1
	s_abs_i32 s3, s7
	s_sub_i32 s1, s2, s1
	s_barrier
	s_abs_i32 s16, s23
	buffer_gl0_inv
	v_cvt_f32_u32_e32 v1, s16
	s_sub_i32 s2, 0, s16
                                        ; implicit-def: $sgpr25
	v_rcp_iflag_f32_e32 v1, v1
	v_mul_f32_e32 v1, 0x4f7ffffe, v1
	v_cvt_u32_f32_e32 v1, v1
	v_readfirstlane_b32 s19, v1
	s_mul_i32 s2, s2, s19
	s_mul_hi_u32 s2, s19, s2
	s_add_i32 s19, s19, s2
	s_cmp_lt_i32 s0, 0
	s_mul_hi_u32 s2, s3, s19
	s_cbranch_scc0 .LBB327_6
; %bb.5:
	s_mul_i32 s11, s20, s34
	s_mov_b32 s12, 0
	s_add_i32 s11, s1, s11
	s_mul_i32 s11, s11, s0
	s_sub_i32 s25, 1, s11
.LBB327_6:
	s_load_dwordx2 s[26:27], s[4:5], 0x28
	s_ashr_i32 s11, s7, 31
	s_andn2_b32 vcc_lo, exec_lo, s12
	s_ashr_i32 s23, s23, 31
	s_cbranch_vccnz .LBB327_8
; %bb.7:
	s_mul_i32 s7, s9, s20
	s_add_i32 s6, s7, s6
	s_mul_i32 s0, s6, s0
	s_add_i32 s25, s0, 1
.LBB327_8:
	s_clause 0x2
	s_load_dword s0, s[4:5], 0x38
	s_load_dwordx2 s[6:7], s[4:5], 0x0
	s_load_dwordx2 s[30:31], s[4:5], 0x18
	s_xor_b32 s34, s11, s23
	s_mul_i32 s11, s2, s16
	s_add_i32 s20, s2, 1
	s_sub_i32 s3, s3, s11
	s_clause 0x1
	s_load_dword s11, s[4:5], 0x88
	s_load_dwordx4 s[12:15], s[4:5], 0x58
	v_lshrrev_b32_e32 v52, 5, v14
	v_mov_b32_e32 v42, 0xff7fffff
	v_lshrrev_b32_e32 v16, 3, v14
	s_mul_i32 s18, s1, s18
	s_mov_b32 s37, exec_lo
	v_lshlrev_b32_e32 v36, 4, v52
	s_waitcnt lgkmcnt(0)
	s_mul_i32 s28, s0, s10
	s_sub_i32 s0, s3, s16
	s_ashr_i32 s29, s28, 31
	s_cmp_ge_u32 s3, s16
	s_cselect_b32 s2, s20, s2
	s_cselect_b32 s0, s0, s3
	s_add_i32 s3, s2, 1
	s_cmp_ge_u32 s0, s16
	s_cselect_b32 s0, s3, s2
	s_add_i32 s2, s33, 15
	s_ashr_i32 s3, s2, 31
	s_lshr_b32 s3, s3, 28
	s_add_i32 s2, s2, s3
	s_ashr_i32 s20, s2, 4
	s_xor_b32 s2, s0, s34
	v_cmp_le_i32_e64 s0, s20, v52
	s_sub_i32 s34, s2, s34
	v_cmpx_gt_i32_e64 s20, v52
	s_cbranch_execz .LBB327_500
; %bb.9:
	s_load_dwordx2 s[2:3], s[4:5], 0x10
	s_sub_i32 s4, s34, s21
	s_ashr_i32 s1, s18, 31
	v_bfe_u32 v0, v14, 1, 4
	v_and_b32_e32 v3, 0x7c, v16
	v_lshlrev_b32_e32 v2, 2, v13
	v_mov_b32_e32 v26, 0
	v_mul_u32_u24_e32 v41, 0x78, v13
	v_lshlrev_b32_e32 v4, 2, v0
	v_subrev_nc_u32_e32 v5, s33, v0
	v_lshlrev_b32_e32 v6, 4, v0
	buffer_store_dword v0, off, s[48:51], 0 offset:8 ; 4-byte Folded Spill
	v_lshlrev_b32_e32 v43, 4, v52
	v_lshl_or_b32 v4, v52, 6, v4
	v_add_nc_u32_e32 v0, 1, v5
	v_mov_b32_e32 v44, 0x80
	v_mov_b32_e32 v46, 0xff
	;; [unrolled: 1-line block ×3, first 2 shown]
	v_add_nc_u32_e32 v50, 0x110, v4
	v_mov_b32_e32 v48, 24
	s_waitcnt lgkmcnt(0)
	s_add_u32 s38, s2, s18
	s_addc_u32 s39, s3, s1
	s_abs_i32 s5, s22
	v_add_co_u32 v5, s38, s38, v6
	v_cvt_f32_u32_e32 v1, s5
	s_sub_i32 s2, 0, s5
	v_add_co_ci_u32_e64 v6, null, s39, 0, s38
	v_cmp_neq_f32_e64 s1, s36, 0
	v_rcp_iflag_f32_e32 v1, v1
	v_mov_b32_e32 v42, 0xff7fffff
	s_mov_b32 s38, 0
	s_mov_b32 s39, s17
	buffer_store_dword v15, off, s[48:51], 0 offset:28 ; 4-byte Folded Spill
	v_cmp_eq_u32_e32 vcc_lo, 0, v13
	buffer_store_dword v14, off, s[48:51], 0 offset:16 ; 4-byte Folded Spill
	buffer_store_dword v13, off, s[48:51], 0 offset:20 ; 4-byte Folded Spill
	;; [unrolled: 1-line block ×4, first 2 shown]
	v_mul_f32_e32 v1, 0x4f7ffffe, v1
	v_cvt_u32_f32_e32 v1, v1
	v_mul_lo_u32 v4, s2, v1
	s_lshl_b64 s[2:3], s[28:29], 2
	s_add_u32 s2, s26, s2
	s_addc_u32 s3, s27, s3
	v_add_co_u32 v27, s2, s2, v3
	v_add_co_ci_u32_e64 v28, null, s3, 0, s2
	v_mul_hi_u32 v4, v1, v4
	v_add_co_u32 v2, s2, v5, v2
	v_add_co_ci_u32_e64 v3, null, 0, v6, s2
	buffer_store_dword v2, off, s[48:51], 0 ; 4-byte Folded Spill
	buffer_store_dword v3, off, s[48:51], 0 offset:4 ; 4-byte Folded Spill
	v_add_nc_u32_e32 v51, v1, v4
	buffer_store_dword v52, off, s[48:51], 0 offset:24 ; 4-byte Folded Spill
	s_branch .LBB327_12
.LBB327_10:                             ;   in Loop: Header=BB327_12 Depth=1
	s_or_b32 exec_lo, exec_lo, s3
.LBB327_11:                             ;   in Loop: Header=BB327_12 Depth=1
	s_or_b32 exec_lo, exec_lo, s40
	v_add_nc_u32_e32 v52, 4, v52
	v_add_co_u32 v27, s3, v27, 16
	v_add_co_ci_u32_e64 v28, null, 0, v28, s3
	v_cmp_le_i32_e64 s2, s20, v52
	v_add_nc_u32_e32 v43, 64, v43
	v_add_nc_u32_e32 v50, 0x100, v50
	s_or_b32 s38, s2, s38
	s_andn2_b32 exec_lo, exec_lo, s38
	s_cbranch_execz .LBB327_499
.LBB327_12:                             ; =>This Inner Loop Header: Depth=1
	v_mul_hi_u32 v1, v43, s19
	s_waitcnt lgkmcnt(0)
	v_mul_lo_u32 v2, v1, s16
	v_add_nc_u32_e32 v3, 1, v1
	v_sub_nc_u32_e32 v2, v43, v2
	v_subrev_nc_u32_e32 v4, s16, v2
	v_cmp_le_u32_e64 s2, s16, v2
	v_cndmask_b32_e64 v1, v1, v3, s2
	v_cndmask_b32_e64 v2, v2, v4, s2
	v_add_nc_u32_e32 v3, 1, v1
	v_cmp_le_u32_e64 s2, s16, v2
	v_cndmask_b32_e64 v1, v1, v3, s2
	v_xor_b32_e32 v1, s23, v1
	v_subrev_nc_u32_e32 v1, s23, v1
	v_add_nc_u32_e32 v2, s25, v1
	v_cmp_ge_i32_e64 s3, s4, v1
	v_sub_nc_u32_e32 v3, 0, v2
	v_max_i32_e32 v3, v2, v3
	v_ashrrev_i32_e32 v2, 31, v2
	v_mul_hi_u32 v4, v3, v51
	v_mul_lo_u32 v4, v4, s5
	v_sub_nc_u32_e32 v3, v3, v4
	v_subrev_nc_u32_e32 v4, s5, v3
	v_cmp_le_u32_e64 s2, s5, v3
	v_cndmask_b32_e64 v3, v3, v4, s2
	v_subrev_nc_u32_e32 v4, s5, v3
	v_cmp_le_u32_e64 s2, s5, v3
	v_cndmask_b32_e64 v3, v3, v4, s2
	v_xor_b32_e32 v3, v3, v2
	v_sub_nc_u32_e32 v2, v3, v2
	v_cmp_ne_u32_e64 s2, 0, v2
	s_and_b32 s2, s2, s3
	s_and_saveexec_b32 s3, s2
	s_xor_b32 s2, exec_lo, s3
	s_cbranch_execz .LBB327_16
; %bb.13:                               ;   in Loop: Header=BB327_12 Depth=1
	s_and_saveexec_b32 s3, vcc_lo
; %bb.14:                               ;   in Loop: Header=BB327_12 Depth=1
	v_mov_b32_e32 v1, 0xff7fffff
	ds_write_b32 v50, v1
; %bb.15:                               ;   in Loop: Header=BB327_12 Depth=1
	s_or_b32 exec_lo, exec_lo, s3
.LBB327_16:                             ;   in Loop: Header=BB327_12 Depth=1
	s_andn2_saveexec_b32 s40, s2
	s_cbranch_execz .LBB327_11
; %bb.17:                               ;   in Loop: Header=BB327_12 Depth=1
	global_load_dword v1, v[27:28], off
	s_clause 0x1
	buffer_load_dword v2, off, s[48:51], 0
	buffer_load_dword v3, off, s[48:51], 0 offset:4
	v_mov_b32_e32 v55, 0
	v_mov_b32_e32 v56, 0
	s_waitcnt vmcnt(0)
	v_mad_i64_i32 v[31:32], null, v1, s39, v[2:3]
	global_load_dword v59, v[31:32], off
	ds_read2_b64 v[21:24], v41 offset1:1
	ds_read2_b64 v[17:20], v41 offset0:2 offset1:3
	ds_read2_b64 v[13:16], v41 offset0:4 offset1:5
	;; [unrolled: 1-line block ×5, first 2 shown]
	ds_read_b32 v53, v41 offset:96
	ds_read_u16 v54, v41 offset:100
	s_load_dword s41, s[12:13], 0x0
	s_waitcnt vmcnt(0)
	v_cmp_ne_u16_sdwa s2, v59, v26 src0_sel:BYTE_0 src1_sel:DWORD
	s_and_saveexec_b32 s3, s2
	s_cbranch_execz .LBB327_25
; %bb.18:                               ;   in Loop: Header=BB327_12 Depth=1
	v_cmp_ne_u16_sdwa s2, v59, v44 src0_sel:BYTE_0 src1_sel:DWORD
	v_bfrev_b32_e32 v56, 1
	s_and_saveexec_b32 s42, s2
	s_cbranch_execz .LBB327_24
; %bb.19:                               ;   in Loop: Header=BB327_12 Depth=1
	v_and_b32_e32 v57, 0x7f, v59
	v_mov_b32_e32 v56, 0x7f800001
	s_mov_b32 s43, exec_lo
	v_cmpx_ne_u32_e32 0x7f, v57
	s_cbranch_execz .LBB327_23
; %bb.20:                               ;   in Loop: Header=BB327_12 Depth=1
	v_and_b32_e32 v25, 7, v59
	v_lshrrev_b32_e32 v56, 3, v57
	s_mov_b32 s44, exec_lo
	v_cmpx_gt_u32_e32 8, v57
; %bb.21:                               ;   in Loop: Header=BB327_12 Depth=1
	v_ffbh_u32_e32 v56, v25
	v_min_u32_e32 v56, 32, v56
	v_subrev_nc_u32_e32 v57, 28, v56
	v_sub_nc_u32_e32 v56, 29, v56
	v_lshlrev_b64 v[57:58], v57, v[25:26]
	v_and_b32_e32 v25, 7, v57
; %bb.22:                               ;   in Loop: Header=BB327_12 Depth=1
	s_or_b32 exec_lo, exec_lo, s44
	v_lshlrev_b32_e32 v57, 24, v59
	v_lshlrev_b32_e32 v25, 20, v25
	v_lshl_add_u32 v56, v56, 23, 0x3c000000
	v_and_b32_e32 v57, 0x80000000, v57
	v_or3_b32 v56, v25, v57, v56
.LBB327_23:                             ;   in Loop: Header=BB327_12 Depth=1
	s_or_b32 exec_lo, exec_lo, s43
.LBB327_24:                             ;   in Loop: Header=BB327_12 Depth=1
	s_or_b32 exec_lo, exec_lo, s42
.LBB327_25:                             ;   in Loop: Header=BB327_12 Depth=1
	s_or_b32 exec_lo, exec_lo, s3
	v_cmp_ne_u16_sdwa s2, v59, v26 src0_sel:BYTE_1 src1_sel:DWORD
	s_and_saveexec_b32 s3, s2
	s_cbranch_execz .LBB327_33
; %bb.26:                               ;   in Loop: Header=BB327_12 Depth=1
	v_cmp_ne_u16_sdwa s2, v59, v44 src0_sel:BYTE_1 src1_sel:DWORD
	v_bfrev_b32_e32 v55, 1
	s_and_saveexec_b32 s42, s2
	s_cbranch_execz .LBB327_32
; %bb.27:                               ;   in Loop: Header=BB327_12 Depth=1
	v_mov_b32_e32 v0, 0xffff
	v_mov_b32_e32 v55, 0x7f800001
	s_mov_b32 s43, exec_lo
	v_and_b32_sdwa v25, v0, v59 dst_sel:DWORD dst_unused:UNUSED_PAD src0_sel:DWORD src1_sel:BYTE_1
	v_and_b32_e32 v57, 0x7f, v25
	v_cmpx_ne_u32_e32 0x7f, v57
	s_cbranch_execz .LBB327_31
; %bb.28:                               ;   in Loop: Header=BB327_12 Depth=1
	v_and_b32_e32 v25, 7, v25
	v_lshrrev_b32_e32 v55, 3, v57
	s_mov_b32 s44, exec_lo
	v_cmpx_gt_u32_e32 8, v57
; %bb.29:                               ;   in Loop: Header=BB327_12 Depth=1
	v_ffbh_u32_e32 v55, v25
	v_min_u32_e32 v55, 32, v55
	v_subrev_nc_u32_e32 v57, 28, v55
	v_sub_nc_u32_e32 v55, 29, v55
	v_lshlrev_b64 v[57:58], v57, v[25:26]
	v_and_b32_e32 v25, 7, v57
; %bb.30:                               ;   in Loop: Header=BB327_12 Depth=1
	s_or_b32 exec_lo, exec_lo, s44
	v_lshlrev_b32_e32 v57, 16, v59
	v_lshlrev_b32_e32 v25, 20, v25
	v_lshl_add_u32 v55, v55, 23, 0x3c000000
	v_and_b32_e32 v57, 0x80000000, v57
	v_or3_b32 v55, v25, v57, v55
.LBB327_31:                             ;   in Loop: Header=BB327_12 Depth=1
	s_or_b32 exec_lo, exec_lo, s43
.LBB327_32:                             ;   in Loop: Header=BB327_12 Depth=1
	s_or_b32 exec_lo, exec_lo, s42
.LBB327_33:                             ;   in Loop: Header=BB327_12 Depth=1
	s_or_b32 exec_lo, exec_lo, s3
	v_and_b32_sdwa v25, v59, v46 dst_sel:DWORD dst_unused:UNUSED_PAD src0_sel:WORD_1 src1_sel:DWORD
	v_mov_b32_e32 v57, 0
	v_mov_b32_e32 v58, 0
	s_mov_b32 s3, exec_lo
	v_cmpx_ne_u16_e32 0, v25
	s_cbranch_execz .LBB327_41
; %bb.34:                               ;   in Loop: Header=BB327_12 Depth=1
	v_bfrev_b32_e32 v58, 1
	s_mov_b32 s42, exec_lo
	v_cmpx_ne_u16_e32 0x80, v25
	s_cbranch_execz .LBB327_40
; %bb.35:                               ;   in Loop: Header=BB327_12 Depth=1
	v_bfe_u32 v60, v59, 16, 7
	v_mov_b32_e32 v58, 0x7f800001
	s_mov_b32 s43, exec_lo
	v_cmpx_ne_u32_e32 0x7f, v60
	s_cbranch_execz .LBB327_39
; %bb.36:                               ;   in Loop: Header=BB327_12 Depth=1
	v_and_b32_sdwa v25, v59, v47 dst_sel:DWORD dst_unused:UNUSED_PAD src0_sel:WORD_1 src1_sel:DWORD
	v_lshrrev_b32_e32 v58, 3, v60
	s_mov_b32 s44, exec_lo
	v_cmpx_gt_u32_e32 8, v60
; %bb.37:                               ;   in Loop: Header=BB327_12 Depth=1
	v_ffbh_u32_e32 v58, v25
	v_min_u32_e32 v58, 32, v58
	v_subrev_nc_u32_e32 v60, 28, v58
	v_sub_nc_u32_e32 v58, 29, v58
	v_lshlrev_b64 v[60:61], v60, v[25:26]
	v_and_b32_e32 v25, 7, v60
; %bb.38:                               ;   in Loop: Header=BB327_12 Depth=1
	s_or_b32 exec_lo, exec_lo, s44
	v_lshlrev_b32_sdwa v60, v48, v59 dst_sel:DWORD dst_unused:UNUSED_PAD src0_sel:DWORD src1_sel:WORD_1
	v_lshlrev_b32_e32 v25, 20, v25
	v_lshl_add_u32 v58, v58, 23, 0x3c000000
	v_and_b32_e32 v60, 0x80000000, v60
	v_or3_b32 v58, v25, v60, v58
.LBB327_39:                             ;   in Loop: Header=BB327_12 Depth=1
	s_or_b32 exec_lo, exec_lo, s43
.LBB327_40:                             ;   in Loop: Header=BB327_12 Depth=1
	s_or_b32 exec_lo, exec_lo, s42
.LBB327_41:                             ;   in Loop: Header=BB327_12 Depth=1
	s_or_b32 exec_lo, exec_lo, s3
	s_mov_b32 s3, exec_lo
	v_cmpx_lt_u32_e32 0xffffff, v59
	s_cbranch_execz .LBB327_49
; %bb.42:                               ;   in Loop: Header=BB327_12 Depth=1
	v_cmp_ne_u32_sdwa s2, v59, v44 src0_sel:BYTE_3 src1_sel:DWORD
	v_bfrev_b32_e32 v57, 1
	s_and_saveexec_b32 s42, s2
	s_cbranch_execz .LBB327_48
; %bb.43:                               ;   in Loop: Header=BB327_12 Depth=1
	v_bfe_u32 v60, v59, 24, 7
	v_mov_b32_e32 v57, 0x7f800001
	s_mov_b32 s43, exec_lo
	v_cmpx_ne_u32_e32 0x7f, v60
	s_cbranch_execz .LBB327_47
; %bb.44:                               ;   in Loop: Header=BB327_12 Depth=1
	v_and_b32_sdwa v25, v59, v47 dst_sel:DWORD dst_unused:UNUSED_PAD src0_sel:BYTE_3 src1_sel:DWORD
	v_lshrrev_b32_e32 v57, 3, v60
	s_mov_b32 s44, exec_lo
	v_cmpx_gt_u32_e32 8, v60
; %bb.45:                               ;   in Loop: Header=BB327_12 Depth=1
	v_ffbh_u32_e32 v57, v25
	v_min_u32_e32 v57, 32, v57
	v_subrev_nc_u32_e32 v60, 28, v57
	v_sub_nc_u32_e32 v57, 29, v57
	v_lshlrev_b64 v[60:61], v60, v[25:26]
	v_and_b32_e32 v25, 7, v60
; %bb.46:                               ;   in Loop: Header=BB327_12 Depth=1
	s_or_b32 exec_lo, exec_lo, s44
	v_lshlrev_b32_sdwa v59, v48, v59 dst_sel:DWORD dst_unused:UNUSED_PAD src0_sel:DWORD src1_sel:BYTE_3
	v_lshlrev_b32_e32 v25, 20, v25
	v_lshl_add_u32 v57, v57, 23, 0x3c000000
	v_and_b32_e32 v59, 0x80000000, v59
	v_or3_b32 v57, v25, v59, v57
.LBB327_47:                             ;   in Loop: Header=BB327_12 Depth=1
	s_or_b32 exec_lo, exec_lo, s43
.LBB327_48:                             ;   in Loop: Header=BB327_12 Depth=1
	s_or_b32 exec_lo, exec_lo, s42
.LBB327_49:                             ;   in Loop: Header=BB327_12 Depth=1
	s_or_b32 exec_lo, exec_lo, s3
	global_load_dword v63, v[31:32], off offset:8
	v_mov_b32_e32 v59, 0
	v_mov_b32_e32 v60, 0
	s_waitcnt vmcnt(0)
	v_cmp_ne_u16_sdwa s2, v63, v26 src0_sel:BYTE_0 src1_sel:DWORD
	s_and_saveexec_b32 s3, s2
	s_cbranch_execz .LBB327_57
; %bb.50:                               ;   in Loop: Header=BB327_12 Depth=1
	v_cmp_ne_u16_sdwa s2, v63, v44 src0_sel:BYTE_0 src1_sel:DWORD
	v_bfrev_b32_e32 v60, 1
	s_and_saveexec_b32 s42, s2
	s_cbranch_execz .LBB327_56
; %bb.51:                               ;   in Loop: Header=BB327_12 Depth=1
	v_and_b32_e32 v61, 0x7f, v63
	v_mov_b32_e32 v60, 0x7f800001
	s_mov_b32 s43, exec_lo
	v_cmpx_ne_u32_e32 0x7f, v61
	s_cbranch_execz .LBB327_55
; %bb.52:                               ;   in Loop: Header=BB327_12 Depth=1
	v_and_b32_e32 v25, 7, v63
	v_lshrrev_b32_e32 v60, 3, v61
	s_mov_b32 s44, exec_lo
	v_cmpx_gt_u32_e32 8, v61
; %bb.53:                               ;   in Loop: Header=BB327_12 Depth=1
	v_ffbh_u32_e32 v60, v25
	v_min_u32_e32 v60, 32, v60
	v_subrev_nc_u32_e32 v61, 28, v60
	v_sub_nc_u32_e32 v60, 29, v60
	v_lshlrev_b64 v[61:62], v61, v[25:26]
	v_and_b32_e32 v25, 7, v61
; %bb.54:                               ;   in Loop: Header=BB327_12 Depth=1
	s_or_b32 exec_lo, exec_lo, s44
	v_lshlrev_b32_e32 v61, 24, v63
	v_lshlrev_b32_e32 v25, 20, v25
	v_lshl_add_u32 v60, v60, 23, 0x3c000000
	v_and_b32_e32 v61, 0x80000000, v61
	v_or3_b32 v60, v25, v61, v60
.LBB327_55:                             ;   in Loop: Header=BB327_12 Depth=1
	s_or_b32 exec_lo, exec_lo, s43
.LBB327_56:                             ;   in Loop: Header=BB327_12 Depth=1
	s_or_b32 exec_lo, exec_lo, s42
.LBB327_57:                             ;   in Loop: Header=BB327_12 Depth=1
	s_or_b32 exec_lo, exec_lo, s3
	v_cmp_ne_u16_sdwa s2, v63, v26 src0_sel:BYTE_1 src1_sel:DWORD
	s_and_saveexec_b32 s3, s2
	s_cbranch_execz .LBB327_65
; %bb.58:                               ;   in Loop: Header=BB327_12 Depth=1
	v_cmp_ne_u16_sdwa s2, v63, v44 src0_sel:BYTE_1 src1_sel:DWORD
	v_bfrev_b32_e32 v59, 1
	s_and_saveexec_b32 s42, s2
	s_cbranch_execz .LBB327_64
; %bb.59:                               ;   in Loop: Header=BB327_12 Depth=1
	v_mov_b32_e32 v0, 0xffff
	v_mov_b32_e32 v59, 0x7f800001
	s_mov_b32 s43, exec_lo
	v_and_b32_sdwa v25, v0, v63 dst_sel:DWORD dst_unused:UNUSED_PAD src0_sel:DWORD src1_sel:BYTE_1
	v_and_b32_e32 v61, 0x7f, v25
	v_cmpx_ne_u32_e32 0x7f, v61
	s_cbranch_execz .LBB327_63
; %bb.60:                               ;   in Loop: Header=BB327_12 Depth=1
	v_and_b32_e32 v25, 7, v25
	v_lshrrev_b32_e32 v59, 3, v61
	s_mov_b32 s44, exec_lo
	v_cmpx_gt_u32_e32 8, v61
; %bb.61:                               ;   in Loop: Header=BB327_12 Depth=1
	v_ffbh_u32_e32 v59, v25
	v_min_u32_e32 v59, 32, v59
	v_subrev_nc_u32_e32 v61, 28, v59
	v_sub_nc_u32_e32 v59, 29, v59
	v_lshlrev_b64 v[61:62], v61, v[25:26]
	v_and_b32_e32 v25, 7, v61
; %bb.62:                               ;   in Loop: Header=BB327_12 Depth=1
	s_or_b32 exec_lo, exec_lo, s44
	v_lshlrev_b32_e32 v61, 16, v63
	v_lshlrev_b32_e32 v25, 20, v25
	v_lshl_add_u32 v59, v59, 23, 0x3c000000
	v_and_b32_e32 v61, 0x80000000, v61
	v_or3_b32 v59, v25, v61, v59
.LBB327_63:                             ;   in Loop: Header=BB327_12 Depth=1
	s_or_b32 exec_lo, exec_lo, s43
.LBB327_64:                             ;   in Loop: Header=BB327_12 Depth=1
	s_or_b32 exec_lo, exec_lo, s42
.LBB327_65:                             ;   in Loop: Header=BB327_12 Depth=1
	s_or_b32 exec_lo, exec_lo, s3
	v_and_b32_sdwa v25, v63, v46 dst_sel:DWORD dst_unused:UNUSED_PAD src0_sel:WORD_1 src1_sel:DWORD
	v_mov_b32_e32 v61, 0
	v_mov_b32_e32 v62, 0
	s_mov_b32 s3, exec_lo
	v_cmpx_ne_u16_e32 0, v25
	s_cbranch_execz .LBB327_73
; %bb.66:                               ;   in Loop: Header=BB327_12 Depth=1
	v_bfrev_b32_e32 v62, 1
	s_mov_b32 s42, exec_lo
	v_cmpx_ne_u16_e32 0x80, v25
	s_cbranch_execz .LBB327_72
; %bb.67:                               ;   in Loop: Header=BB327_12 Depth=1
	v_bfe_u32 v64, v63, 16, 7
	v_mov_b32_e32 v62, 0x7f800001
	s_mov_b32 s43, exec_lo
	v_cmpx_ne_u32_e32 0x7f, v64
	s_cbranch_execz .LBB327_71
; %bb.68:                               ;   in Loop: Header=BB327_12 Depth=1
	v_and_b32_sdwa v25, v63, v47 dst_sel:DWORD dst_unused:UNUSED_PAD src0_sel:WORD_1 src1_sel:DWORD
	v_lshrrev_b32_e32 v62, 3, v64
	s_mov_b32 s44, exec_lo
	v_cmpx_gt_u32_e32 8, v64
; %bb.69:                               ;   in Loop: Header=BB327_12 Depth=1
	v_ffbh_u32_e32 v62, v25
	v_min_u32_e32 v62, 32, v62
	v_subrev_nc_u32_e32 v64, 28, v62
	v_sub_nc_u32_e32 v62, 29, v62
	v_lshlrev_b64 v[64:65], v64, v[25:26]
	v_and_b32_e32 v25, 7, v64
; %bb.70:                               ;   in Loop: Header=BB327_12 Depth=1
	s_or_b32 exec_lo, exec_lo, s44
	v_lshlrev_b32_sdwa v64, v48, v63 dst_sel:DWORD dst_unused:UNUSED_PAD src0_sel:DWORD src1_sel:WORD_1
	v_lshlrev_b32_e32 v25, 20, v25
	v_lshl_add_u32 v62, v62, 23, 0x3c000000
	v_and_b32_e32 v64, 0x80000000, v64
	v_or3_b32 v62, v25, v64, v62
.LBB327_71:                             ;   in Loop: Header=BB327_12 Depth=1
	s_or_b32 exec_lo, exec_lo, s43
.LBB327_72:                             ;   in Loop: Header=BB327_12 Depth=1
	s_or_b32 exec_lo, exec_lo, s42
.LBB327_73:                             ;   in Loop: Header=BB327_12 Depth=1
	s_or_b32 exec_lo, exec_lo, s3
	s_mov_b32 s3, exec_lo
	v_cmpx_lt_u32_e32 0xffffff, v63
	s_cbranch_execz .LBB327_81
; %bb.74:                               ;   in Loop: Header=BB327_12 Depth=1
	v_cmp_ne_u32_sdwa s2, v63, v44 src0_sel:BYTE_3 src1_sel:DWORD
	v_bfrev_b32_e32 v61, 1
	s_and_saveexec_b32 s42, s2
	s_cbranch_execz .LBB327_80
; %bb.75:                               ;   in Loop: Header=BB327_12 Depth=1
	v_bfe_u32 v64, v63, 24, 7
	v_mov_b32_e32 v61, 0x7f800001
	s_mov_b32 s43, exec_lo
	v_cmpx_ne_u32_e32 0x7f, v64
	s_cbranch_execz .LBB327_79
; %bb.76:                               ;   in Loop: Header=BB327_12 Depth=1
	v_and_b32_sdwa v25, v63, v47 dst_sel:DWORD dst_unused:UNUSED_PAD src0_sel:BYTE_3 src1_sel:DWORD
	v_lshrrev_b32_e32 v61, 3, v64
	s_mov_b32 s44, exec_lo
	v_cmpx_gt_u32_e32 8, v64
; %bb.77:                               ;   in Loop: Header=BB327_12 Depth=1
	v_ffbh_u32_e32 v61, v25
	v_min_u32_e32 v61, 32, v61
	v_subrev_nc_u32_e32 v64, 28, v61
	v_sub_nc_u32_e32 v61, 29, v61
	v_lshlrev_b64 v[64:65], v64, v[25:26]
	v_and_b32_e32 v25, 7, v64
; %bb.78:                               ;   in Loop: Header=BB327_12 Depth=1
	s_or_b32 exec_lo, exec_lo, s44
	v_lshlrev_b32_sdwa v63, v48, v63 dst_sel:DWORD dst_unused:UNUSED_PAD src0_sel:DWORD src1_sel:BYTE_3
	v_lshlrev_b32_e32 v25, 20, v25
	v_lshl_add_u32 v61, v61, 23, 0x3c000000
	v_and_b32_e32 v63, 0x80000000, v63
	v_or3_b32 v61, v25, v63, v61
.LBB327_79:                             ;   in Loop: Header=BB327_12 Depth=1
	s_or_b32 exec_lo, exec_lo, s43
.LBB327_80:                             ;   in Loop: Header=BB327_12 Depth=1
	s_or_b32 exec_lo, exec_lo, s42
.LBB327_81:                             ;   in Loop: Header=BB327_12 Depth=1
	s_or_b32 exec_lo, exec_lo, s3
	global_load_dword v67, v[31:32], off offset:256
	v_mov_b32_e32 v63, 0
	v_mov_b32_e32 v64, 0
	s_waitcnt vmcnt(0)
	v_cmp_ne_u16_sdwa s2, v67, v26 src0_sel:BYTE_0 src1_sel:DWORD
	s_and_saveexec_b32 s3, s2
	s_cbranch_execz .LBB327_89
; %bb.82:                               ;   in Loop: Header=BB327_12 Depth=1
	v_cmp_ne_u16_sdwa s2, v67, v44 src0_sel:BYTE_0 src1_sel:DWORD
	v_bfrev_b32_e32 v64, 1
	s_and_saveexec_b32 s42, s2
	s_cbranch_execz .LBB327_88
; %bb.83:                               ;   in Loop: Header=BB327_12 Depth=1
	v_and_b32_e32 v65, 0x7f, v67
	v_mov_b32_e32 v64, 0x7f800001
	s_mov_b32 s43, exec_lo
	v_cmpx_ne_u32_e32 0x7f, v65
	s_cbranch_execz .LBB327_87
; %bb.84:                               ;   in Loop: Header=BB327_12 Depth=1
	v_and_b32_e32 v25, 7, v67
	v_lshrrev_b32_e32 v64, 3, v65
	s_mov_b32 s44, exec_lo
	v_cmpx_gt_u32_e32 8, v65
; %bb.85:                               ;   in Loop: Header=BB327_12 Depth=1
	v_ffbh_u32_e32 v64, v25
	v_min_u32_e32 v64, 32, v64
	v_subrev_nc_u32_e32 v65, 28, v64
	v_sub_nc_u32_e32 v64, 29, v64
	v_lshlrev_b64 v[65:66], v65, v[25:26]
	v_and_b32_e32 v25, 7, v65
; %bb.86:                               ;   in Loop: Header=BB327_12 Depth=1
	s_or_b32 exec_lo, exec_lo, s44
	v_lshlrev_b32_e32 v65, 24, v67
	v_lshlrev_b32_e32 v25, 20, v25
	v_lshl_add_u32 v64, v64, 23, 0x3c000000
	v_and_b32_e32 v65, 0x80000000, v65
	v_or3_b32 v64, v25, v65, v64
.LBB327_87:                             ;   in Loop: Header=BB327_12 Depth=1
	s_or_b32 exec_lo, exec_lo, s43
.LBB327_88:                             ;   in Loop: Header=BB327_12 Depth=1
	s_or_b32 exec_lo, exec_lo, s42
.LBB327_89:                             ;   in Loop: Header=BB327_12 Depth=1
	s_or_b32 exec_lo, exec_lo, s3
	v_cmp_ne_u16_sdwa s2, v67, v26 src0_sel:BYTE_1 src1_sel:DWORD
	s_and_saveexec_b32 s3, s2
	s_cbranch_execz .LBB327_97
; %bb.90:                               ;   in Loop: Header=BB327_12 Depth=1
	v_cmp_ne_u16_sdwa s2, v67, v44 src0_sel:BYTE_1 src1_sel:DWORD
	v_bfrev_b32_e32 v63, 1
	s_and_saveexec_b32 s42, s2
	s_cbranch_execz .LBB327_96
; %bb.91:                               ;   in Loop: Header=BB327_12 Depth=1
	v_mov_b32_e32 v0, 0xffff
	v_mov_b32_e32 v63, 0x7f800001
	s_mov_b32 s43, exec_lo
	v_and_b32_sdwa v25, v0, v67 dst_sel:DWORD dst_unused:UNUSED_PAD src0_sel:DWORD src1_sel:BYTE_1
	v_and_b32_e32 v65, 0x7f, v25
	v_cmpx_ne_u32_e32 0x7f, v65
	s_cbranch_execz .LBB327_95
; %bb.92:                               ;   in Loop: Header=BB327_12 Depth=1
	v_and_b32_e32 v25, 7, v25
	v_lshrrev_b32_e32 v63, 3, v65
	s_mov_b32 s44, exec_lo
	v_cmpx_gt_u32_e32 8, v65
; %bb.93:                               ;   in Loop: Header=BB327_12 Depth=1
	v_ffbh_u32_e32 v63, v25
	v_min_u32_e32 v63, 32, v63
	v_subrev_nc_u32_e32 v65, 28, v63
	v_sub_nc_u32_e32 v63, 29, v63
	v_lshlrev_b64 v[65:66], v65, v[25:26]
	v_and_b32_e32 v25, 7, v65
; %bb.94:                               ;   in Loop: Header=BB327_12 Depth=1
	s_or_b32 exec_lo, exec_lo, s44
	v_lshlrev_b32_e32 v65, 16, v67
	v_lshlrev_b32_e32 v25, 20, v25
	v_lshl_add_u32 v63, v63, 23, 0x3c000000
	v_and_b32_e32 v65, 0x80000000, v65
	v_or3_b32 v63, v25, v65, v63
.LBB327_95:                             ;   in Loop: Header=BB327_12 Depth=1
	s_or_b32 exec_lo, exec_lo, s43
.LBB327_96:                             ;   in Loop: Header=BB327_12 Depth=1
	s_or_b32 exec_lo, exec_lo, s42
.LBB327_97:                             ;   in Loop: Header=BB327_12 Depth=1
	s_or_b32 exec_lo, exec_lo, s3
	v_and_b32_sdwa v25, v67, v46 dst_sel:DWORD dst_unused:UNUSED_PAD src0_sel:WORD_1 src1_sel:DWORD
	v_mov_b32_e32 v65, 0
	v_mov_b32_e32 v66, 0
	s_mov_b32 s3, exec_lo
	v_cmpx_ne_u16_e32 0, v25
	s_cbranch_execz .LBB327_105
; %bb.98:                               ;   in Loop: Header=BB327_12 Depth=1
	v_bfrev_b32_e32 v66, 1
	s_mov_b32 s42, exec_lo
	v_cmpx_ne_u16_e32 0x80, v25
	s_cbranch_execz .LBB327_104
; %bb.99:                               ;   in Loop: Header=BB327_12 Depth=1
	v_bfe_u32 v68, v67, 16, 7
	v_mov_b32_e32 v66, 0x7f800001
	s_mov_b32 s43, exec_lo
	v_cmpx_ne_u32_e32 0x7f, v68
	s_cbranch_execz .LBB327_103
; %bb.100:                              ;   in Loop: Header=BB327_12 Depth=1
	v_and_b32_sdwa v25, v67, v47 dst_sel:DWORD dst_unused:UNUSED_PAD src0_sel:WORD_1 src1_sel:DWORD
	v_lshrrev_b32_e32 v66, 3, v68
	s_mov_b32 s44, exec_lo
	v_cmpx_gt_u32_e32 8, v68
; %bb.101:                              ;   in Loop: Header=BB327_12 Depth=1
	v_ffbh_u32_e32 v66, v25
	v_min_u32_e32 v66, 32, v66
	v_subrev_nc_u32_e32 v68, 28, v66
	v_sub_nc_u32_e32 v66, 29, v66
	v_lshlrev_b64 v[68:69], v68, v[25:26]
	v_and_b32_e32 v25, 7, v68
; %bb.102:                              ;   in Loop: Header=BB327_12 Depth=1
	s_or_b32 exec_lo, exec_lo, s44
	v_lshlrev_b32_sdwa v68, v48, v67 dst_sel:DWORD dst_unused:UNUSED_PAD src0_sel:DWORD src1_sel:WORD_1
	v_lshlrev_b32_e32 v25, 20, v25
	v_lshl_add_u32 v66, v66, 23, 0x3c000000
	v_and_b32_e32 v68, 0x80000000, v68
	v_or3_b32 v66, v25, v68, v66
.LBB327_103:                            ;   in Loop: Header=BB327_12 Depth=1
	s_or_b32 exec_lo, exec_lo, s43
.LBB327_104:                            ;   in Loop: Header=BB327_12 Depth=1
	s_or_b32 exec_lo, exec_lo, s42
.LBB327_105:                            ;   in Loop: Header=BB327_12 Depth=1
	s_or_b32 exec_lo, exec_lo, s3
	s_mov_b32 s3, exec_lo
	v_cmpx_lt_u32_e32 0xffffff, v67
	s_cbranch_execz .LBB327_113
; %bb.106:                              ;   in Loop: Header=BB327_12 Depth=1
	v_cmp_ne_u32_sdwa s2, v67, v44 src0_sel:BYTE_3 src1_sel:DWORD
	v_bfrev_b32_e32 v65, 1
	s_and_saveexec_b32 s42, s2
	s_cbranch_execz .LBB327_112
; %bb.107:                              ;   in Loop: Header=BB327_12 Depth=1
	v_bfe_u32 v68, v67, 24, 7
	v_mov_b32_e32 v65, 0x7f800001
	s_mov_b32 s43, exec_lo
	v_cmpx_ne_u32_e32 0x7f, v68
	s_cbranch_execz .LBB327_111
; %bb.108:                              ;   in Loop: Header=BB327_12 Depth=1
	v_and_b32_sdwa v25, v67, v47 dst_sel:DWORD dst_unused:UNUSED_PAD src0_sel:BYTE_3 src1_sel:DWORD
	v_lshrrev_b32_e32 v65, 3, v68
	s_mov_b32 s44, exec_lo
	v_cmpx_gt_u32_e32 8, v68
; %bb.109:                              ;   in Loop: Header=BB327_12 Depth=1
	v_ffbh_u32_e32 v65, v25
	v_min_u32_e32 v65, 32, v65
	v_subrev_nc_u32_e32 v68, 28, v65
	v_sub_nc_u32_e32 v65, 29, v65
	v_lshlrev_b64 v[68:69], v68, v[25:26]
	v_and_b32_e32 v25, 7, v68
; %bb.110:                              ;   in Loop: Header=BB327_12 Depth=1
	s_or_b32 exec_lo, exec_lo, s44
	v_lshlrev_b32_sdwa v67, v48, v67 dst_sel:DWORD dst_unused:UNUSED_PAD src0_sel:DWORD src1_sel:BYTE_3
	v_lshlrev_b32_e32 v25, 20, v25
	v_lshl_add_u32 v65, v65, 23, 0x3c000000
	v_and_b32_e32 v67, 0x80000000, v67
	v_or3_b32 v65, v25, v67, v65
.LBB327_111:                            ;   in Loop: Header=BB327_12 Depth=1
	s_or_b32 exec_lo, exec_lo, s43
.LBB327_112:                            ;   in Loop: Header=BB327_12 Depth=1
	s_or_b32 exec_lo, exec_lo, s42
.LBB327_113:                            ;   in Loop: Header=BB327_12 Depth=1
	s_or_b32 exec_lo, exec_lo, s3
	global_load_dword v71, v[31:32], off offset:264
	v_mov_b32_e32 v67, 0
	v_mov_b32_e32 v68, 0
	s_waitcnt vmcnt(0)
	v_cmp_ne_u16_sdwa s2, v71, v26 src0_sel:BYTE_0 src1_sel:DWORD
	s_and_saveexec_b32 s3, s2
	s_cbranch_execz .LBB327_121
; %bb.114:                              ;   in Loop: Header=BB327_12 Depth=1
	v_cmp_ne_u16_sdwa s2, v71, v44 src0_sel:BYTE_0 src1_sel:DWORD
	v_bfrev_b32_e32 v68, 1
	s_and_saveexec_b32 s42, s2
	s_cbranch_execz .LBB327_120
; %bb.115:                              ;   in Loop: Header=BB327_12 Depth=1
	v_and_b32_e32 v69, 0x7f, v71
	v_mov_b32_e32 v68, 0x7f800001
	s_mov_b32 s43, exec_lo
	v_cmpx_ne_u32_e32 0x7f, v69
	s_cbranch_execz .LBB327_119
; %bb.116:                              ;   in Loop: Header=BB327_12 Depth=1
	v_and_b32_e32 v25, 7, v71
	v_lshrrev_b32_e32 v68, 3, v69
	s_mov_b32 s44, exec_lo
	v_cmpx_gt_u32_e32 8, v69
; %bb.117:                              ;   in Loop: Header=BB327_12 Depth=1
	v_ffbh_u32_e32 v68, v25
	v_min_u32_e32 v68, 32, v68
	v_subrev_nc_u32_e32 v69, 28, v68
	v_sub_nc_u32_e32 v68, 29, v68
	v_lshlrev_b64 v[69:70], v69, v[25:26]
	v_and_b32_e32 v25, 7, v69
; %bb.118:                              ;   in Loop: Header=BB327_12 Depth=1
	s_or_b32 exec_lo, exec_lo, s44
	v_lshlrev_b32_e32 v69, 24, v71
	v_lshlrev_b32_e32 v25, 20, v25
	v_lshl_add_u32 v68, v68, 23, 0x3c000000
	v_and_b32_e32 v69, 0x80000000, v69
	v_or3_b32 v68, v25, v69, v68
.LBB327_119:                            ;   in Loop: Header=BB327_12 Depth=1
	s_or_b32 exec_lo, exec_lo, s43
.LBB327_120:                            ;   in Loop: Header=BB327_12 Depth=1
	s_or_b32 exec_lo, exec_lo, s42
.LBB327_121:                            ;   in Loop: Header=BB327_12 Depth=1
	s_or_b32 exec_lo, exec_lo, s3
	v_cmp_ne_u16_sdwa s2, v71, v26 src0_sel:BYTE_1 src1_sel:DWORD
	s_and_saveexec_b32 s3, s2
	s_cbranch_execz .LBB327_129
; %bb.122:                              ;   in Loop: Header=BB327_12 Depth=1
	v_cmp_ne_u16_sdwa s2, v71, v44 src0_sel:BYTE_1 src1_sel:DWORD
	v_bfrev_b32_e32 v67, 1
	s_and_saveexec_b32 s42, s2
	s_cbranch_execz .LBB327_128
; %bb.123:                              ;   in Loop: Header=BB327_12 Depth=1
	v_mov_b32_e32 v0, 0xffff
	v_mov_b32_e32 v67, 0x7f800001
	s_mov_b32 s43, exec_lo
	v_and_b32_sdwa v25, v0, v71 dst_sel:DWORD dst_unused:UNUSED_PAD src0_sel:DWORD src1_sel:BYTE_1
	v_and_b32_e32 v69, 0x7f, v25
	v_cmpx_ne_u32_e32 0x7f, v69
	s_cbranch_execz .LBB327_127
; %bb.124:                              ;   in Loop: Header=BB327_12 Depth=1
	v_and_b32_e32 v25, 7, v25
	v_lshrrev_b32_e32 v67, 3, v69
	s_mov_b32 s44, exec_lo
	v_cmpx_gt_u32_e32 8, v69
; %bb.125:                              ;   in Loop: Header=BB327_12 Depth=1
	v_ffbh_u32_e32 v67, v25
	v_min_u32_e32 v67, 32, v67
	v_subrev_nc_u32_e32 v69, 28, v67
	v_sub_nc_u32_e32 v67, 29, v67
	v_lshlrev_b64 v[69:70], v69, v[25:26]
	v_and_b32_e32 v25, 7, v69
; %bb.126:                              ;   in Loop: Header=BB327_12 Depth=1
	s_or_b32 exec_lo, exec_lo, s44
	v_lshlrev_b32_e32 v69, 16, v71
	v_lshlrev_b32_e32 v25, 20, v25
	v_lshl_add_u32 v67, v67, 23, 0x3c000000
	v_and_b32_e32 v69, 0x80000000, v69
	v_or3_b32 v67, v25, v69, v67
.LBB327_127:                            ;   in Loop: Header=BB327_12 Depth=1
	s_or_b32 exec_lo, exec_lo, s43
.LBB327_128:                            ;   in Loop: Header=BB327_12 Depth=1
	s_or_b32 exec_lo, exec_lo, s42
.LBB327_129:                            ;   in Loop: Header=BB327_12 Depth=1
	s_or_b32 exec_lo, exec_lo, s3
	v_and_b32_sdwa v25, v71, v46 dst_sel:DWORD dst_unused:UNUSED_PAD src0_sel:WORD_1 src1_sel:DWORD
	v_mov_b32_e32 v69, 0
	v_mov_b32_e32 v70, 0
	s_mov_b32 s3, exec_lo
	v_cmpx_ne_u16_e32 0, v25
	s_cbranch_execz .LBB327_137
; %bb.130:                              ;   in Loop: Header=BB327_12 Depth=1
	v_bfrev_b32_e32 v70, 1
	s_mov_b32 s42, exec_lo
	v_cmpx_ne_u16_e32 0x80, v25
	s_cbranch_execz .LBB327_136
; %bb.131:                              ;   in Loop: Header=BB327_12 Depth=1
	v_bfe_u32 v72, v71, 16, 7
	v_mov_b32_e32 v70, 0x7f800001
	s_mov_b32 s43, exec_lo
	v_cmpx_ne_u32_e32 0x7f, v72
	s_cbranch_execz .LBB327_135
; %bb.132:                              ;   in Loop: Header=BB327_12 Depth=1
	v_and_b32_sdwa v25, v71, v47 dst_sel:DWORD dst_unused:UNUSED_PAD src0_sel:WORD_1 src1_sel:DWORD
	v_lshrrev_b32_e32 v70, 3, v72
	s_mov_b32 s44, exec_lo
	v_cmpx_gt_u32_e32 8, v72
; %bb.133:                              ;   in Loop: Header=BB327_12 Depth=1
	v_ffbh_u32_e32 v70, v25
	v_min_u32_e32 v70, 32, v70
	v_subrev_nc_u32_e32 v72, 28, v70
	v_sub_nc_u32_e32 v70, 29, v70
	v_lshlrev_b64 v[72:73], v72, v[25:26]
	v_and_b32_e32 v25, 7, v72
; %bb.134:                              ;   in Loop: Header=BB327_12 Depth=1
	s_or_b32 exec_lo, exec_lo, s44
	v_lshlrev_b32_sdwa v72, v48, v71 dst_sel:DWORD dst_unused:UNUSED_PAD src0_sel:DWORD src1_sel:WORD_1
	v_lshlrev_b32_e32 v25, 20, v25
	v_lshl_add_u32 v70, v70, 23, 0x3c000000
	v_and_b32_e32 v72, 0x80000000, v72
	v_or3_b32 v70, v25, v72, v70
.LBB327_135:                            ;   in Loop: Header=BB327_12 Depth=1
	s_or_b32 exec_lo, exec_lo, s43
.LBB327_136:                            ;   in Loop: Header=BB327_12 Depth=1
	s_or_b32 exec_lo, exec_lo, s42
.LBB327_137:                            ;   in Loop: Header=BB327_12 Depth=1
	s_or_b32 exec_lo, exec_lo, s3
	s_mov_b32 s3, exec_lo
	v_cmpx_lt_u32_e32 0xffffff, v71
	s_cbranch_execz .LBB327_145
; %bb.138:                              ;   in Loop: Header=BB327_12 Depth=1
	v_cmp_ne_u32_sdwa s2, v71, v44 src0_sel:BYTE_3 src1_sel:DWORD
	v_bfrev_b32_e32 v69, 1
	s_and_saveexec_b32 s42, s2
	s_cbranch_execz .LBB327_144
; %bb.139:                              ;   in Loop: Header=BB327_12 Depth=1
	v_bfe_u32 v72, v71, 24, 7
	v_mov_b32_e32 v69, 0x7f800001
	s_mov_b32 s43, exec_lo
	v_cmpx_ne_u32_e32 0x7f, v72
	s_cbranch_execz .LBB327_143
; %bb.140:                              ;   in Loop: Header=BB327_12 Depth=1
	v_and_b32_sdwa v25, v71, v47 dst_sel:DWORD dst_unused:UNUSED_PAD src0_sel:BYTE_3 src1_sel:DWORD
	v_lshrrev_b32_e32 v69, 3, v72
	s_mov_b32 s44, exec_lo
	v_cmpx_gt_u32_e32 8, v72
; %bb.141:                              ;   in Loop: Header=BB327_12 Depth=1
	v_ffbh_u32_e32 v69, v25
	v_min_u32_e32 v69, 32, v69
	v_subrev_nc_u32_e32 v72, 28, v69
	v_sub_nc_u32_e32 v69, 29, v69
	v_lshlrev_b64 v[72:73], v72, v[25:26]
	v_and_b32_e32 v25, 7, v72
; %bb.142:                              ;   in Loop: Header=BB327_12 Depth=1
	s_or_b32 exec_lo, exec_lo, s44
	v_lshlrev_b32_sdwa v71, v48, v71 dst_sel:DWORD dst_unused:UNUSED_PAD src0_sel:DWORD src1_sel:BYTE_3
	v_lshlrev_b32_e32 v25, 20, v25
	v_lshl_add_u32 v69, v69, 23, 0x3c000000
	v_and_b32_e32 v71, 0x80000000, v71
	v_or3_b32 v69, v25, v71, v69
.LBB327_143:                            ;   in Loop: Header=BB327_12 Depth=1
	s_or_b32 exec_lo, exec_lo, s43
.LBB327_144:                            ;   in Loop: Header=BB327_12 Depth=1
	s_or_b32 exec_lo, exec_lo, s42
.LBB327_145:                            ;   in Loop: Header=BB327_12 Depth=1
	s_or_b32 exec_lo, exec_lo, s3
	global_load_dword v75, v[31:32], off offset:512
	v_mov_b32_e32 v71, 0
	v_mov_b32_e32 v72, 0
	s_waitcnt vmcnt(0)
	v_cmp_ne_u16_sdwa s2, v75, v26 src0_sel:BYTE_0 src1_sel:DWORD
	s_and_saveexec_b32 s3, s2
	s_cbranch_execz .LBB327_153
; %bb.146:                              ;   in Loop: Header=BB327_12 Depth=1
	v_cmp_ne_u16_sdwa s2, v75, v44 src0_sel:BYTE_0 src1_sel:DWORD
	v_bfrev_b32_e32 v72, 1
	s_and_saveexec_b32 s42, s2
	s_cbranch_execz .LBB327_152
; %bb.147:                              ;   in Loop: Header=BB327_12 Depth=1
	v_and_b32_e32 v73, 0x7f, v75
	v_mov_b32_e32 v72, 0x7f800001
	s_mov_b32 s43, exec_lo
	v_cmpx_ne_u32_e32 0x7f, v73
	s_cbranch_execz .LBB327_151
; %bb.148:                              ;   in Loop: Header=BB327_12 Depth=1
	v_and_b32_e32 v25, 7, v75
	v_lshrrev_b32_e32 v72, 3, v73
	s_mov_b32 s44, exec_lo
	v_cmpx_gt_u32_e32 8, v73
; %bb.149:                              ;   in Loop: Header=BB327_12 Depth=1
	v_ffbh_u32_e32 v72, v25
	v_min_u32_e32 v72, 32, v72
	v_subrev_nc_u32_e32 v73, 28, v72
	v_sub_nc_u32_e32 v72, 29, v72
	v_lshlrev_b64 v[73:74], v73, v[25:26]
	v_and_b32_e32 v25, 7, v73
; %bb.150:                              ;   in Loop: Header=BB327_12 Depth=1
	s_or_b32 exec_lo, exec_lo, s44
	v_lshlrev_b32_e32 v73, 24, v75
	v_lshlrev_b32_e32 v25, 20, v25
	v_lshl_add_u32 v72, v72, 23, 0x3c000000
	v_and_b32_e32 v73, 0x80000000, v73
	v_or3_b32 v72, v25, v73, v72
.LBB327_151:                            ;   in Loop: Header=BB327_12 Depth=1
	s_or_b32 exec_lo, exec_lo, s43
.LBB327_152:                            ;   in Loop: Header=BB327_12 Depth=1
	s_or_b32 exec_lo, exec_lo, s42
.LBB327_153:                            ;   in Loop: Header=BB327_12 Depth=1
	s_or_b32 exec_lo, exec_lo, s3
	v_cmp_ne_u16_sdwa s2, v75, v26 src0_sel:BYTE_1 src1_sel:DWORD
	s_and_saveexec_b32 s3, s2
	s_cbranch_execz .LBB327_161
; %bb.154:                              ;   in Loop: Header=BB327_12 Depth=1
	v_cmp_ne_u16_sdwa s2, v75, v44 src0_sel:BYTE_1 src1_sel:DWORD
	v_bfrev_b32_e32 v71, 1
	s_and_saveexec_b32 s42, s2
	s_cbranch_execz .LBB327_160
; %bb.155:                              ;   in Loop: Header=BB327_12 Depth=1
	v_mov_b32_e32 v0, 0xffff
	v_mov_b32_e32 v71, 0x7f800001
	s_mov_b32 s43, exec_lo
	v_and_b32_sdwa v25, v0, v75 dst_sel:DWORD dst_unused:UNUSED_PAD src0_sel:DWORD src1_sel:BYTE_1
	v_and_b32_e32 v73, 0x7f, v25
	v_cmpx_ne_u32_e32 0x7f, v73
	s_cbranch_execz .LBB327_159
; %bb.156:                              ;   in Loop: Header=BB327_12 Depth=1
	v_and_b32_e32 v25, 7, v25
	v_lshrrev_b32_e32 v71, 3, v73
	s_mov_b32 s44, exec_lo
	v_cmpx_gt_u32_e32 8, v73
; %bb.157:                              ;   in Loop: Header=BB327_12 Depth=1
	v_ffbh_u32_e32 v71, v25
	v_min_u32_e32 v71, 32, v71
	v_subrev_nc_u32_e32 v73, 28, v71
	v_sub_nc_u32_e32 v71, 29, v71
	v_lshlrev_b64 v[73:74], v73, v[25:26]
	v_and_b32_e32 v25, 7, v73
; %bb.158:                              ;   in Loop: Header=BB327_12 Depth=1
	s_or_b32 exec_lo, exec_lo, s44
	v_lshlrev_b32_e32 v73, 16, v75
	v_lshlrev_b32_e32 v25, 20, v25
	v_lshl_add_u32 v71, v71, 23, 0x3c000000
	v_and_b32_e32 v73, 0x80000000, v73
	v_or3_b32 v71, v25, v73, v71
.LBB327_159:                            ;   in Loop: Header=BB327_12 Depth=1
	s_or_b32 exec_lo, exec_lo, s43
.LBB327_160:                            ;   in Loop: Header=BB327_12 Depth=1
	s_or_b32 exec_lo, exec_lo, s42
.LBB327_161:                            ;   in Loop: Header=BB327_12 Depth=1
	s_or_b32 exec_lo, exec_lo, s3
	v_and_b32_sdwa v25, v75, v46 dst_sel:DWORD dst_unused:UNUSED_PAD src0_sel:WORD_1 src1_sel:DWORD
	v_mov_b32_e32 v73, 0
	v_mov_b32_e32 v74, 0
	s_mov_b32 s3, exec_lo
	v_cmpx_ne_u16_e32 0, v25
	s_cbranch_execz .LBB327_169
; %bb.162:                              ;   in Loop: Header=BB327_12 Depth=1
	v_bfrev_b32_e32 v74, 1
	s_mov_b32 s42, exec_lo
	v_cmpx_ne_u16_e32 0x80, v25
	s_cbranch_execz .LBB327_168
; %bb.163:                              ;   in Loop: Header=BB327_12 Depth=1
	v_bfe_u32 v76, v75, 16, 7
	v_mov_b32_e32 v74, 0x7f800001
	s_mov_b32 s43, exec_lo
	v_cmpx_ne_u32_e32 0x7f, v76
	s_cbranch_execz .LBB327_167
; %bb.164:                              ;   in Loop: Header=BB327_12 Depth=1
	v_and_b32_sdwa v25, v75, v47 dst_sel:DWORD dst_unused:UNUSED_PAD src0_sel:WORD_1 src1_sel:DWORD
	v_lshrrev_b32_e32 v74, 3, v76
	s_mov_b32 s44, exec_lo
	v_cmpx_gt_u32_e32 8, v76
; %bb.165:                              ;   in Loop: Header=BB327_12 Depth=1
	v_ffbh_u32_e32 v74, v25
	v_min_u32_e32 v74, 32, v74
	v_subrev_nc_u32_e32 v76, 28, v74
	v_sub_nc_u32_e32 v74, 29, v74
	v_lshlrev_b64 v[76:77], v76, v[25:26]
	v_and_b32_e32 v25, 7, v76
; %bb.166:                              ;   in Loop: Header=BB327_12 Depth=1
	s_or_b32 exec_lo, exec_lo, s44
	v_lshlrev_b32_sdwa v76, v48, v75 dst_sel:DWORD dst_unused:UNUSED_PAD src0_sel:DWORD src1_sel:WORD_1
	v_lshlrev_b32_e32 v25, 20, v25
	v_lshl_add_u32 v74, v74, 23, 0x3c000000
	v_and_b32_e32 v76, 0x80000000, v76
	v_or3_b32 v74, v25, v76, v74
.LBB327_167:                            ;   in Loop: Header=BB327_12 Depth=1
	s_or_b32 exec_lo, exec_lo, s43
.LBB327_168:                            ;   in Loop: Header=BB327_12 Depth=1
	s_or_b32 exec_lo, exec_lo, s42
.LBB327_169:                            ;   in Loop: Header=BB327_12 Depth=1
	s_or_b32 exec_lo, exec_lo, s3
	s_mov_b32 s3, exec_lo
	v_cmpx_lt_u32_e32 0xffffff, v75
	s_cbranch_execz .LBB327_177
; %bb.170:                              ;   in Loop: Header=BB327_12 Depth=1
	v_cmp_ne_u32_sdwa s2, v75, v44 src0_sel:BYTE_3 src1_sel:DWORD
	v_bfrev_b32_e32 v73, 1
	s_and_saveexec_b32 s42, s2
	s_cbranch_execz .LBB327_176
; %bb.171:                              ;   in Loop: Header=BB327_12 Depth=1
	v_bfe_u32 v76, v75, 24, 7
	v_mov_b32_e32 v73, 0x7f800001
	s_mov_b32 s43, exec_lo
	v_cmpx_ne_u32_e32 0x7f, v76
	s_cbranch_execz .LBB327_175
; %bb.172:                              ;   in Loop: Header=BB327_12 Depth=1
	v_and_b32_sdwa v25, v75, v47 dst_sel:DWORD dst_unused:UNUSED_PAD src0_sel:BYTE_3 src1_sel:DWORD
	v_lshrrev_b32_e32 v73, 3, v76
	s_mov_b32 s44, exec_lo
	v_cmpx_gt_u32_e32 8, v76
; %bb.173:                              ;   in Loop: Header=BB327_12 Depth=1
	v_ffbh_u32_e32 v73, v25
	v_min_u32_e32 v73, 32, v73
	v_subrev_nc_u32_e32 v76, 28, v73
	v_sub_nc_u32_e32 v73, 29, v73
	v_lshlrev_b64 v[76:77], v76, v[25:26]
	v_and_b32_e32 v25, 7, v76
; %bb.174:                              ;   in Loop: Header=BB327_12 Depth=1
	s_or_b32 exec_lo, exec_lo, s44
	v_lshlrev_b32_sdwa v75, v48, v75 dst_sel:DWORD dst_unused:UNUSED_PAD src0_sel:DWORD src1_sel:BYTE_3
	v_lshlrev_b32_e32 v25, 20, v25
	v_lshl_add_u32 v73, v73, 23, 0x3c000000
	v_and_b32_e32 v75, 0x80000000, v75
	v_or3_b32 v73, v25, v75, v73
.LBB327_175:                            ;   in Loop: Header=BB327_12 Depth=1
	s_or_b32 exec_lo, exec_lo, s43
.LBB327_176:                            ;   in Loop: Header=BB327_12 Depth=1
	s_or_b32 exec_lo, exec_lo, s42
.LBB327_177:                            ;   in Loop: Header=BB327_12 Depth=1
	s_or_b32 exec_lo, exec_lo, s3
	global_load_dword v79, v[31:32], off offset:520
	v_mov_b32_e32 v75, 0
	v_mov_b32_e32 v76, 0
	s_waitcnt vmcnt(0)
	v_cmp_ne_u16_sdwa s2, v79, v26 src0_sel:BYTE_0 src1_sel:DWORD
	s_and_saveexec_b32 s3, s2
	s_cbranch_execz .LBB327_185
; %bb.178:                              ;   in Loop: Header=BB327_12 Depth=1
	v_cmp_ne_u16_sdwa s2, v79, v44 src0_sel:BYTE_0 src1_sel:DWORD
	v_bfrev_b32_e32 v76, 1
	s_and_saveexec_b32 s42, s2
	s_cbranch_execz .LBB327_184
; %bb.179:                              ;   in Loop: Header=BB327_12 Depth=1
	v_and_b32_e32 v77, 0x7f, v79
	v_mov_b32_e32 v76, 0x7f800001
	s_mov_b32 s43, exec_lo
	v_cmpx_ne_u32_e32 0x7f, v77
	s_cbranch_execz .LBB327_183
; %bb.180:                              ;   in Loop: Header=BB327_12 Depth=1
	v_and_b32_e32 v25, 7, v79
	v_lshrrev_b32_e32 v76, 3, v77
	s_mov_b32 s44, exec_lo
	v_cmpx_gt_u32_e32 8, v77
; %bb.181:                              ;   in Loop: Header=BB327_12 Depth=1
	v_ffbh_u32_e32 v76, v25
	v_min_u32_e32 v76, 32, v76
	v_subrev_nc_u32_e32 v77, 28, v76
	v_sub_nc_u32_e32 v76, 29, v76
	v_lshlrev_b64 v[77:78], v77, v[25:26]
	v_and_b32_e32 v25, 7, v77
; %bb.182:                              ;   in Loop: Header=BB327_12 Depth=1
	s_or_b32 exec_lo, exec_lo, s44
	v_lshlrev_b32_e32 v77, 24, v79
	v_lshlrev_b32_e32 v25, 20, v25
	v_lshl_add_u32 v76, v76, 23, 0x3c000000
	v_and_b32_e32 v77, 0x80000000, v77
	v_or3_b32 v76, v25, v77, v76
.LBB327_183:                            ;   in Loop: Header=BB327_12 Depth=1
	s_or_b32 exec_lo, exec_lo, s43
.LBB327_184:                            ;   in Loop: Header=BB327_12 Depth=1
	s_or_b32 exec_lo, exec_lo, s42
.LBB327_185:                            ;   in Loop: Header=BB327_12 Depth=1
	s_or_b32 exec_lo, exec_lo, s3
	v_cmp_ne_u16_sdwa s2, v79, v26 src0_sel:BYTE_1 src1_sel:DWORD
	s_and_saveexec_b32 s3, s2
	s_cbranch_execz .LBB327_193
; %bb.186:                              ;   in Loop: Header=BB327_12 Depth=1
	v_cmp_ne_u16_sdwa s2, v79, v44 src0_sel:BYTE_1 src1_sel:DWORD
	v_bfrev_b32_e32 v75, 1
	s_and_saveexec_b32 s42, s2
	s_cbranch_execz .LBB327_192
; %bb.187:                              ;   in Loop: Header=BB327_12 Depth=1
	v_mov_b32_e32 v0, 0xffff
	v_mov_b32_e32 v75, 0x7f800001
	s_mov_b32 s43, exec_lo
	v_and_b32_sdwa v25, v0, v79 dst_sel:DWORD dst_unused:UNUSED_PAD src0_sel:DWORD src1_sel:BYTE_1
	v_and_b32_e32 v77, 0x7f, v25
	v_cmpx_ne_u32_e32 0x7f, v77
	s_cbranch_execz .LBB327_191
; %bb.188:                              ;   in Loop: Header=BB327_12 Depth=1
	v_and_b32_e32 v25, 7, v25
	v_lshrrev_b32_e32 v75, 3, v77
	s_mov_b32 s44, exec_lo
	v_cmpx_gt_u32_e32 8, v77
; %bb.189:                              ;   in Loop: Header=BB327_12 Depth=1
	v_ffbh_u32_e32 v75, v25
	v_min_u32_e32 v75, 32, v75
	v_subrev_nc_u32_e32 v77, 28, v75
	v_sub_nc_u32_e32 v75, 29, v75
	v_lshlrev_b64 v[77:78], v77, v[25:26]
	v_and_b32_e32 v25, 7, v77
; %bb.190:                              ;   in Loop: Header=BB327_12 Depth=1
	s_or_b32 exec_lo, exec_lo, s44
	v_lshlrev_b32_e32 v77, 16, v79
	v_lshlrev_b32_e32 v25, 20, v25
	v_lshl_add_u32 v75, v75, 23, 0x3c000000
	v_and_b32_e32 v77, 0x80000000, v77
	v_or3_b32 v75, v25, v77, v75
.LBB327_191:                            ;   in Loop: Header=BB327_12 Depth=1
	s_or_b32 exec_lo, exec_lo, s43
.LBB327_192:                            ;   in Loop: Header=BB327_12 Depth=1
	s_or_b32 exec_lo, exec_lo, s42
.LBB327_193:                            ;   in Loop: Header=BB327_12 Depth=1
	s_or_b32 exec_lo, exec_lo, s3
	v_and_b32_sdwa v25, v79, v46 dst_sel:DWORD dst_unused:UNUSED_PAD src0_sel:WORD_1 src1_sel:DWORD
	v_mov_b32_e32 v77, 0
	v_mov_b32_e32 v78, 0
	s_mov_b32 s3, exec_lo
	v_cmpx_ne_u16_e32 0, v25
	s_cbranch_execz .LBB327_201
; %bb.194:                              ;   in Loop: Header=BB327_12 Depth=1
	v_bfrev_b32_e32 v78, 1
	s_mov_b32 s42, exec_lo
	v_cmpx_ne_u16_e32 0x80, v25
	s_cbranch_execz .LBB327_200
; %bb.195:                              ;   in Loop: Header=BB327_12 Depth=1
	v_bfe_u32 v80, v79, 16, 7
	v_mov_b32_e32 v78, 0x7f800001
	s_mov_b32 s43, exec_lo
	v_cmpx_ne_u32_e32 0x7f, v80
	s_cbranch_execz .LBB327_199
; %bb.196:                              ;   in Loop: Header=BB327_12 Depth=1
	v_and_b32_sdwa v25, v79, v47 dst_sel:DWORD dst_unused:UNUSED_PAD src0_sel:WORD_1 src1_sel:DWORD
	v_lshrrev_b32_e32 v78, 3, v80
	s_mov_b32 s44, exec_lo
	v_cmpx_gt_u32_e32 8, v80
; %bb.197:                              ;   in Loop: Header=BB327_12 Depth=1
	v_ffbh_u32_e32 v78, v25
	v_min_u32_e32 v78, 32, v78
	v_subrev_nc_u32_e32 v80, 28, v78
	v_sub_nc_u32_e32 v78, 29, v78
	v_lshlrev_b64 v[80:81], v80, v[25:26]
	v_and_b32_e32 v25, 7, v80
; %bb.198:                              ;   in Loop: Header=BB327_12 Depth=1
	s_or_b32 exec_lo, exec_lo, s44
	v_lshlrev_b32_sdwa v80, v48, v79 dst_sel:DWORD dst_unused:UNUSED_PAD src0_sel:DWORD src1_sel:WORD_1
	v_lshlrev_b32_e32 v25, 20, v25
	v_lshl_add_u32 v78, v78, 23, 0x3c000000
	v_and_b32_e32 v80, 0x80000000, v80
	v_or3_b32 v78, v25, v80, v78
.LBB327_199:                            ;   in Loop: Header=BB327_12 Depth=1
	s_or_b32 exec_lo, exec_lo, s43
.LBB327_200:                            ;   in Loop: Header=BB327_12 Depth=1
	s_or_b32 exec_lo, exec_lo, s42
.LBB327_201:                            ;   in Loop: Header=BB327_12 Depth=1
	s_or_b32 exec_lo, exec_lo, s3
	s_mov_b32 s3, exec_lo
	v_cmpx_lt_u32_e32 0xffffff, v79
	s_cbranch_execz .LBB327_209
; %bb.202:                              ;   in Loop: Header=BB327_12 Depth=1
	v_cmp_ne_u32_sdwa s2, v79, v44 src0_sel:BYTE_3 src1_sel:DWORD
	v_bfrev_b32_e32 v77, 1
	s_and_saveexec_b32 s42, s2
	s_cbranch_execz .LBB327_208
; %bb.203:                              ;   in Loop: Header=BB327_12 Depth=1
	v_bfe_u32 v80, v79, 24, 7
	v_mov_b32_e32 v77, 0x7f800001
	s_mov_b32 s43, exec_lo
	v_cmpx_ne_u32_e32 0x7f, v80
	s_cbranch_execz .LBB327_207
; %bb.204:                              ;   in Loop: Header=BB327_12 Depth=1
	v_and_b32_sdwa v25, v79, v47 dst_sel:DWORD dst_unused:UNUSED_PAD src0_sel:BYTE_3 src1_sel:DWORD
	v_lshrrev_b32_e32 v77, 3, v80
	s_mov_b32 s44, exec_lo
	v_cmpx_gt_u32_e32 8, v80
; %bb.205:                              ;   in Loop: Header=BB327_12 Depth=1
	v_ffbh_u32_e32 v77, v25
	v_min_u32_e32 v77, 32, v77
	v_subrev_nc_u32_e32 v80, 28, v77
	v_sub_nc_u32_e32 v77, 29, v77
	v_lshlrev_b64 v[80:81], v80, v[25:26]
	v_and_b32_e32 v25, 7, v80
; %bb.206:                              ;   in Loop: Header=BB327_12 Depth=1
	s_or_b32 exec_lo, exec_lo, s44
	v_lshlrev_b32_sdwa v79, v48, v79 dst_sel:DWORD dst_unused:UNUSED_PAD src0_sel:DWORD src1_sel:BYTE_3
	v_lshlrev_b32_e32 v25, 20, v25
	v_lshl_add_u32 v77, v77, 23, 0x3c000000
	v_and_b32_e32 v79, 0x80000000, v79
	v_or3_b32 v77, v25, v79, v77
.LBB327_207:                            ;   in Loop: Header=BB327_12 Depth=1
	s_or_b32 exec_lo, exec_lo, s43
.LBB327_208:                            ;   in Loop: Header=BB327_12 Depth=1
	s_or_b32 exec_lo, exec_lo, s42
.LBB327_209:                            ;   in Loop: Header=BB327_12 Depth=1
	s_or_b32 exec_lo, exec_lo, s3
	global_load_dword v83, v[31:32], off offset:768
	v_mov_b32_e32 v79, 0
	v_mov_b32_e32 v80, 0
	s_waitcnt vmcnt(0)
	v_cmp_ne_u16_sdwa s2, v83, v26 src0_sel:BYTE_0 src1_sel:DWORD
	s_and_saveexec_b32 s3, s2
	s_cbranch_execz .LBB327_217
; %bb.210:                              ;   in Loop: Header=BB327_12 Depth=1
	v_cmp_ne_u16_sdwa s2, v83, v44 src0_sel:BYTE_0 src1_sel:DWORD
	v_bfrev_b32_e32 v80, 1
	s_and_saveexec_b32 s42, s2
	s_cbranch_execz .LBB327_216
; %bb.211:                              ;   in Loop: Header=BB327_12 Depth=1
	v_and_b32_e32 v81, 0x7f, v83
	v_mov_b32_e32 v80, 0x7f800001
	s_mov_b32 s43, exec_lo
	v_cmpx_ne_u32_e32 0x7f, v81
	s_cbranch_execz .LBB327_215
; %bb.212:                              ;   in Loop: Header=BB327_12 Depth=1
	v_and_b32_e32 v25, 7, v83
	v_lshrrev_b32_e32 v80, 3, v81
	s_mov_b32 s44, exec_lo
	v_cmpx_gt_u32_e32 8, v81
; %bb.213:                              ;   in Loop: Header=BB327_12 Depth=1
	v_ffbh_u32_e32 v80, v25
	v_min_u32_e32 v80, 32, v80
	v_subrev_nc_u32_e32 v81, 28, v80
	v_sub_nc_u32_e32 v80, 29, v80
	v_lshlrev_b64 v[81:82], v81, v[25:26]
	v_and_b32_e32 v25, 7, v81
; %bb.214:                              ;   in Loop: Header=BB327_12 Depth=1
	s_or_b32 exec_lo, exec_lo, s44
	v_lshlrev_b32_e32 v81, 24, v83
	v_lshlrev_b32_e32 v25, 20, v25
	v_lshl_add_u32 v80, v80, 23, 0x3c000000
	v_and_b32_e32 v81, 0x80000000, v81
	v_or3_b32 v80, v25, v81, v80
.LBB327_215:                            ;   in Loop: Header=BB327_12 Depth=1
	s_or_b32 exec_lo, exec_lo, s43
.LBB327_216:                            ;   in Loop: Header=BB327_12 Depth=1
	s_or_b32 exec_lo, exec_lo, s42
.LBB327_217:                            ;   in Loop: Header=BB327_12 Depth=1
	s_or_b32 exec_lo, exec_lo, s3
	v_cmp_ne_u16_sdwa s2, v83, v26 src0_sel:BYTE_1 src1_sel:DWORD
	s_and_saveexec_b32 s3, s2
	s_cbranch_execz .LBB327_225
; %bb.218:                              ;   in Loop: Header=BB327_12 Depth=1
	v_cmp_ne_u16_sdwa s2, v83, v44 src0_sel:BYTE_1 src1_sel:DWORD
	v_bfrev_b32_e32 v79, 1
	s_and_saveexec_b32 s42, s2
	s_cbranch_execz .LBB327_224
; %bb.219:                              ;   in Loop: Header=BB327_12 Depth=1
	v_mov_b32_e32 v0, 0xffff
	v_mov_b32_e32 v79, 0x7f800001
	s_mov_b32 s43, exec_lo
	v_and_b32_sdwa v25, v0, v83 dst_sel:DWORD dst_unused:UNUSED_PAD src0_sel:DWORD src1_sel:BYTE_1
	v_and_b32_e32 v81, 0x7f, v25
	v_cmpx_ne_u32_e32 0x7f, v81
	s_cbranch_execz .LBB327_223
; %bb.220:                              ;   in Loop: Header=BB327_12 Depth=1
	v_and_b32_e32 v25, 7, v25
	v_lshrrev_b32_e32 v79, 3, v81
	s_mov_b32 s44, exec_lo
	v_cmpx_gt_u32_e32 8, v81
; %bb.221:                              ;   in Loop: Header=BB327_12 Depth=1
	v_ffbh_u32_e32 v79, v25
	v_min_u32_e32 v79, 32, v79
	v_subrev_nc_u32_e32 v81, 28, v79
	v_sub_nc_u32_e32 v79, 29, v79
	v_lshlrev_b64 v[81:82], v81, v[25:26]
	v_and_b32_e32 v25, 7, v81
; %bb.222:                              ;   in Loop: Header=BB327_12 Depth=1
	s_or_b32 exec_lo, exec_lo, s44
	v_lshlrev_b32_e32 v81, 16, v83
	v_lshlrev_b32_e32 v25, 20, v25
	v_lshl_add_u32 v79, v79, 23, 0x3c000000
	v_and_b32_e32 v81, 0x80000000, v81
	v_or3_b32 v79, v25, v81, v79
.LBB327_223:                            ;   in Loop: Header=BB327_12 Depth=1
	s_or_b32 exec_lo, exec_lo, s43
.LBB327_224:                            ;   in Loop: Header=BB327_12 Depth=1
	s_or_b32 exec_lo, exec_lo, s42
.LBB327_225:                            ;   in Loop: Header=BB327_12 Depth=1
	s_or_b32 exec_lo, exec_lo, s3
	v_and_b32_sdwa v25, v83, v46 dst_sel:DWORD dst_unused:UNUSED_PAD src0_sel:WORD_1 src1_sel:DWORD
	v_mov_b32_e32 v81, 0
	v_mov_b32_e32 v82, 0
	s_mov_b32 s3, exec_lo
	v_cmpx_ne_u16_e32 0, v25
	s_cbranch_execz .LBB327_233
; %bb.226:                              ;   in Loop: Header=BB327_12 Depth=1
	v_bfrev_b32_e32 v82, 1
	s_mov_b32 s42, exec_lo
	v_cmpx_ne_u16_e32 0x80, v25
	s_cbranch_execz .LBB327_232
; %bb.227:                              ;   in Loop: Header=BB327_12 Depth=1
	v_bfe_u32 v84, v83, 16, 7
	v_mov_b32_e32 v82, 0x7f800001
	s_mov_b32 s43, exec_lo
	v_cmpx_ne_u32_e32 0x7f, v84
	s_cbranch_execz .LBB327_231
; %bb.228:                              ;   in Loop: Header=BB327_12 Depth=1
	v_and_b32_sdwa v25, v83, v47 dst_sel:DWORD dst_unused:UNUSED_PAD src0_sel:WORD_1 src1_sel:DWORD
	v_lshrrev_b32_e32 v82, 3, v84
	s_mov_b32 s44, exec_lo
	v_cmpx_gt_u32_e32 8, v84
; %bb.229:                              ;   in Loop: Header=BB327_12 Depth=1
	v_ffbh_u32_e32 v82, v25
	v_min_u32_e32 v82, 32, v82
	v_subrev_nc_u32_e32 v84, 28, v82
	v_sub_nc_u32_e32 v82, 29, v82
	v_lshlrev_b64 v[84:85], v84, v[25:26]
	v_and_b32_e32 v25, 7, v84
; %bb.230:                              ;   in Loop: Header=BB327_12 Depth=1
	s_or_b32 exec_lo, exec_lo, s44
	v_lshlrev_b32_sdwa v84, v48, v83 dst_sel:DWORD dst_unused:UNUSED_PAD src0_sel:DWORD src1_sel:WORD_1
	v_lshlrev_b32_e32 v25, 20, v25
	v_lshl_add_u32 v82, v82, 23, 0x3c000000
	v_and_b32_e32 v84, 0x80000000, v84
	v_or3_b32 v82, v25, v84, v82
.LBB327_231:                            ;   in Loop: Header=BB327_12 Depth=1
	s_or_b32 exec_lo, exec_lo, s43
.LBB327_232:                            ;   in Loop: Header=BB327_12 Depth=1
	s_or_b32 exec_lo, exec_lo, s42
.LBB327_233:                            ;   in Loop: Header=BB327_12 Depth=1
	s_or_b32 exec_lo, exec_lo, s3
	s_mov_b32 s3, exec_lo
	v_cmpx_lt_u32_e32 0xffffff, v83
	s_cbranch_execz .LBB327_241
; %bb.234:                              ;   in Loop: Header=BB327_12 Depth=1
	v_cmp_ne_u32_sdwa s2, v83, v44 src0_sel:BYTE_3 src1_sel:DWORD
	v_bfrev_b32_e32 v81, 1
	s_and_saveexec_b32 s42, s2
	s_cbranch_execz .LBB327_240
; %bb.235:                              ;   in Loop: Header=BB327_12 Depth=1
	v_bfe_u32 v84, v83, 24, 7
	v_mov_b32_e32 v81, 0x7f800001
	s_mov_b32 s43, exec_lo
	v_cmpx_ne_u32_e32 0x7f, v84
	s_cbranch_execz .LBB327_239
; %bb.236:                              ;   in Loop: Header=BB327_12 Depth=1
	v_and_b32_sdwa v25, v83, v47 dst_sel:DWORD dst_unused:UNUSED_PAD src0_sel:BYTE_3 src1_sel:DWORD
	v_lshrrev_b32_e32 v81, 3, v84
	s_mov_b32 s44, exec_lo
	v_cmpx_gt_u32_e32 8, v84
; %bb.237:                              ;   in Loop: Header=BB327_12 Depth=1
	v_ffbh_u32_e32 v81, v25
	v_min_u32_e32 v81, 32, v81
	v_subrev_nc_u32_e32 v84, 28, v81
	v_sub_nc_u32_e32 v81, 29, v81
	v_lshlrev_b64 v[84:85], v84, v[25:26]
	v_and_b32_e32 v25, 7, v84
; %bb.238:                              ;   in Loop: Header=BB327_12 Depth=1
	s_or_b32 exec_lo, exec_lo, s44
	v_lshlrev_b32_sdwa v83, v48, v83 dst_sel:DWORD dst_unused:UNUSED_PAD src0_sel:DWORD src1_sel:BYTE_3
	v_lshlrev_b32_e32 v25, 20, v25
	v_lshl_add_u32 v81, v81, 23, 0x3c000000
	v_and_b32_e32 v83, 0x80000000, v83
	v_or3_b32 v81, v25, v83, v81
.LBB327_239:                            ;   in Loop: Header=BB327_12 Depth=1
	s_or_b32 exec_lo, exec_lo, s43
.LBB327_240:                            ;   in Loop: Header=BB327_12 Depth=1
	s_or_b32 exec_lo, exec_lo, s42
.LBB327_241:                            ;   in Loop: Header=BB327_12 Depth=1
	s_or_b32 exec_lo, exec_lo, s3
	global_load_dword v87, v[31:32], off offset:776
	v_mov_b32_e32 v83, 0
	v_mov_b32_e32 v84, 0
	s_waitcnt vmcnt(0)
	v_cmp_ne_u16_sdwa s2, v87, v26 src0_sel:BYTE_0 src1_sel:DWORD
	s_and_saveexec_b32 s3, s2
	s_cbranch_execz .LBB327_249
; %bb.242:                              ;   in Loop: Header=BB327_12 Depth=1
	v_cmp_ne_u16_sdwa s2, v87, v44 src0_sel:BYTE_0 src1_sel:DWORD
	v_bfrev_b32_e32 v84, 1
	s_and_saveexec_b32 s42, s2
	s_cbranch_execz .LBB327_248
; %bb.243:                              ;   in Loop: Header=BB327_12 Depth=1
	v_and_b32_e32 v85, 0x7f, v87
	v_mov_b32_e32 v84, 0x7f800001
	s_mov_b32 s43, exec_lo
	v_cmpx_ne_u32_e32 0x7f, v85
	s_cbranch_execz .LBB327_247
; %bb.244:                              ;   in Loop: Header=BB327_12 Depth=1
	v_and_b32_e32 v25, 7, v87
	v_lshrrev_b32_e32 v84, 3, v85
	s_mov_b32 s44, exec_lo
	v_cmpx_gt_u32_e32 8, v85
; %bb.245:                              ;   in Loop: Header=BB327_12 Depth=1
	v_ffbh_u32_e32 v84, v25
	v_min_u32_e32 v84, 32, v84
	v_subrev_nc_u32_e32 v85, 28, v84
	v_sub_nc_u32_e32 v84, 29, v84
	v_lshlrev_b64 v[85:86], v85, v[25:26]
	v_and_b32_e32 v25, 7, v85
; %bb.246:                              ;   in Loop: Header=BB327_12 Depth=1
	s_or_b32 exec_lo, exec_lo, s44
	v_lshlrev_b32_e32 v85, 24, v87
	v_lshlrev_b32_e32 v25, 20, v25
	v_lshl_add_u32 v84, v84, 23, 0x3c000000
	v_and_b32_e32 v85, 0x80000000, v85
	v_or3_b32 v84, v25, v85, v84
.LBB327_247:                            ;   in Loop: Header=BB327_12 Depth=1
	s_or_b32 exec_lo, exec_lo, s43
.LBB327_248:                            ;   in Loop: Header=BB327_12 Depth=1
	s_or_b32 exec_lo, exec_lo, s42
.LBB327_249:                            ;   in Loop: Header=BB327_12 Depth=1
	s_or_b32 exec_lo, exec_lo, s3
	v_cmp_ne_u16_sdwa s2, v87, v26 src0_sel:BYTE_1 src1_sel:DWORD
	s_and_saveexec_b32 s3, s2
	s_cbranch_execz .LBB327_257
; %bb.250:                              ;   in Loop: Header=BB327_12 Depth=1
	v_cmp_ne_u16_sdwa s2, v87, v44 src0_sel:BYTE_1 src1_sel:DWORD
	v_bfrev_b32_e32 v83, 1
	s_and_saveexec_b32 s42, s2
	s_cbranch_execz .LBB327_256
; %bb.251:                              ;   in Loop: Header=BB327_12 Depth=1
	v_mov_b32_e32 v0, 0xffff
	v_mov_b32_e32 v83, 0x7f800001
	s_mov_b32 s43, exec_lo
	v_and_b32_sdwa v25, v0, v87 dst_sel:DWORD dst_unused:UNUSED_PAD src0_sel:DWORD src1_sel:BYTE_1
	v_and_b32_e32 v85, 0x7f, v25
	v_cmpx_ne_u32_e32 0x7f, v85
	s_cbranch_execz .LBB327_255
; %bb.252:                              ;   in Loop: Header=BB327_12 Depth=1
	v_and_b32_e32 v25, 7, v25
	v_lshrrev_b32_e32 v83, 3, v85
	s_mov_b32 s44, exec_lo
	v_cmpx_gt_u32_e32 8, v85
; %bb.253:                              ;   in Loop: Header=BB327_12 Depth=1
	v_ffbh_u32_e32 v83, v25
	v_min_u32_e32 v83, 32, v83
	v_subrev_nc_u32_e32 v85, 28, v83
	v_sub_nc_u32_e32 v83, 29, v83
	v_lshlrev_b64 v[85:86], v85, v[25:26]
	v_and_b32_e32 v25, 7, v85
; %bb.254:                              ;   in Loop: Header=BB327_12 Depth=1
	s_or_b32 exec_lo, exec_lo, s44
	v_lshlrev_b32_e32 v85, 16, v87
	v_lshlrev_b32_e32 v25, 20, v25
	v_lshl_add_u32 v83, v83, 23, 0x3c000000
	v_and_b32_e32 v85, 0x80000000, v85
	v_or3_b32 v83, v25, v85, v83
.LBB327_255:                            ;   in Loop: Header=BB327_12 Depth=1
	s_or_b32 exec_lo, exec_lo, s43
.LBB327_256:                            ;   in Loop: Header=BB327_12 Depth=1
	s_or_b32 exec_lo, exec_lo, s42
.LBB327_257:                            ;   in Loop: Header=BB327_12 Depth=1
	s_or_b32 exec_lo, exec_lo, s3
	v_and_b32_sdwa v25, v87, v46 dst_sel:DWORD dst_unused:UNUSED_PAD src0_sel:WORD_1 src1_sel:DWORD
	v_mov_b32_e32 v85, 0
	v_mov_b32_e32 v86, 0
	s_mov_b32 s3, exec_lo
	v_cmpx_ne_u16_e32 0, v25
	s_cbranch_execz .LBB327_265
; %bb.258:                              ;   in Loop: Header=BB327_12 Depth=1
	v_bfrev_b32_e32 v86, 1
	s_mov_b32 s42, exec_lo
	v_cmpx_ne_u16_e32 0x80, v25
	s_cbranch_execz .LBB327_264
; %bb.259:                              ;   in Loop: Header=BB327_12 Depth=1
	v_bfe_u32 v88, v87, 16, 7
	v_mov_b32_e32 v86, 0x7f800001
	s_mov_b32 s43, exec_lo
	v_cmpx_ne_u32_e32 0x7f, v88
	s_cbranch_execz .LBB327_263
; %bb.260:                              ;   in Loop: Header=BB327_12 Depth=1
	v_and_b32_sdwa v25, v87, v47 dst_sel:DWORD dst_unused:UNUSED_PAD src0_sel:WORD_1 src1_sel:DWORD
	v_lshrrev_b32_e32 v86, 3, v88
	s_mov_b32 s44, exec_lo
	v_cmpx_gt_u32_e32 8, v88
; %bb.261:                              ;   in Loop: Header=BB327_12 Depth=1
	v_ffbh_u32_e32 v86, v25
	v_min_u32_e32 v86, 32, v86
	v_subrev_nc_u32_e32 v88, 28, v86
	v_sub_nc_u32_e32 v86, 29, v86
	v_lshlrev_b64 v[88:89], v88, v[25:26]
	v_and_b32_e32 v25, 7, v88
; %bb.262:                              ;   in Loop: Header=BB327_12 Depth=1
	s_or_b32 exec_lo, exec_lo, s44
	v_lshlrev_b32_sdwa v88, v48, v87 dst_sel:DWORD dst_unused:UNUSED_PAD src0_sel:DWORD src1_sel:WORD_1
	v_lshlrev_b32_e32 v25, 20, v25
	v_lshl_add_u32 v86, v86, 23, 0x3c000000
	v_and_b32_e32 v88, 0x80000000, v88
	v_or3_b32 v86, v25, v88, v86
.LBB327_263:                            ;   in Loop: Header=BB327_12 Depth=1
	s_or_b32 exec_lo, exec_lo, s43
.LBB327_264:                            ;   in Loop: Header=BB327_12 Depth=1
	s_or_b32 exec_lo, exec_lo, s42
.LBB327_265:                            ;   in Loop: Header=BB327_12 Depth=1
	s_or_b32 exec_lo, exec_lo, s3
	s_mov_b32 s3, exec_lo
	v_cmpx_lt_u32_e32 0xffffff, v87
	s_cbranch_execz .LBB327_273
; %bb.266:                              ;   in Loop: Header=BB327_12 Depth=1
	v_cmp_ne_u32_sdwa s2, v87, v44 src0_sel:BYTE_3 src1_sel:DWORD
	v_bfrev_b32_e32 v85, 1
	s_and_saveexec_b32 s42, s2
	s_cbranch_execz .LBB327_272
; %bb.267:                              ;   in Loop: Header=BB327_12 Depth=1
	v_bfe_u32 v88, v87, 24, 7
	v_mov_b32_e32 v85, 0x7f800001
	s_mov_b32 s43, exec_lo
	v_cmpx_ne_u32_e32 0x7f, v88
	s_cbranch_execz .LBB327_271
; %bb.268:                              ;   in Loop: Header=BB327_12 Depth=1
	v_and_b32_sdwa v25, v87, v47 dst_sel:DWORD dst_unused:UNUSED_PAD src0_sel:BYTE_3 src1_sel:DWORD
	v_lshrrev_b32_e32 v85, 3, v88
	s_mov_b32 s44, exec_lo
	v_cmpx_gt_u32_e32 8, v88
; %bb.269:                              ;   in Loop: Header=BB327_12 Depth=1
	v_ffbh_u32_e32 v85, v25
	v_min_u32_e32 v85, 32, v85
	v_subrev_nc_u32_e32 v88, 28, v85
	v_sub_nc_u32_e32 v85, 29, v85
	v_lshlrev_b64 v[88:89], v88, v[25:26]
	v_and_b32_e32 v25, 7, v88
; %bb.270:                              ;   in Loop: Header=BB327_12 Depth=1
	s_or_b32 exec_lo, exec_lo, s44
	v_lshlrev_b32_sdwa v87, v48, v87 dst_sel:DWORD dst_unused:UNUSED_PAD src0_sel:DWORD src1_sel:BYTE_3
	v_lshlrev_b32_e32 v25, 20, v25
	v_lshl_add_u32 v85, v85, 23, 0x3c000000
	v_and_b32_e32 v87, 0x80000000, v87
	v_or3_b32 v85, v25, v87, v85
.LBB327_271:                            ;   in Loop: Header=BB327_12 Depth=1
	s_or_b32 exec_lo, exec_lo, s43
.LBB327_272:                            ;   in Loop: Header=BB327_12 Depth=1
	s_or_b32 exec_lo, exec_lo, s42
.LBB327_273:                            ;   in Loop: Header=BB327_12 Depth=1
	s_or_b32 exec_lo, exec_lo, s3
	global_load_dword v91, v[31:32], off offset:1024
	v_mov_b32_e32 v87, 0
	v_mov_b32_e32 v88, 0
	s_waitcnt vmcnt(0)
	v_cmp_ne_u16_sdwa s2, v91, v26 src0_sel:BYTE_0 src1_sel:DWORD
	s_and_saveexec_b32 s3, s2
	s_cbranch_execz .LBB327_281
; %bb.274:                              ;   in Loop: Header=BB327_12 Depth=1
	v_cmp_ne_u16_sdwa s2, v91, v44 src0_sel:BYTE_0 src1_sel:DWORD
	v_bfrev_b32_e32 v88, 1
	s_and_saveexec_b32 s42, s2
	s_cbranch_execz .LBB327_280
; %bb.275:                              ;   in Loop: Header=BB327_12 Depth=1
	v_and_b32_e32 v89, 0x7f, v91
	v_mov_b32_e32 v88, 0x7f800001
	s_mov_b32 s43, exec_lo
	v_cmpx_ne_u32_e32 0x7f, v89
	s_cbranch_execz .LBB327_279
; %bb.276:                              ;   in Loop: Header=BB327_12 Depth=1
	v_and_b32_e32 v25, 7, v91
	v_lshrrev_b32_e32 v88, 3, v89
	s_mov_b32 s44, exec_lo
	v_cmpx_gt_u32_e32 8, v89
; %bb.277:                              ;   in Loop: Header=BB327_12 Depth=1
	v_ffbh_u32_e32 v88, v25
	v_min_u32_e32 v88, 32, v88
	v_subrev_nc_u32_e32 v89, 28, v88
	v_sub_nc_u32_e32 v88, 29, v88
	v_lshlrev_b64 v[89:90], v89, v[25:26]
	v_and_b32_e32 v25, 7, v89
; %bb.278:                              ;   in Loop: Header=BB327_12 Depth=1
	s_or_b32 exec_lo, exec_lo, s44
	v_lshlrev_b32_e32 v89, 24, v91
	v_lshlrev_b32_e32 v25, 20, v25
	v_lshl_add_u32 v88, v88, 23, 0x3c000000
	v_and_b32_e32 v89, 0x80000000, v89
	v_or3_b32 v88, v25, v89, v88
.LBB327_279:                            ;   in Loop: Header=BB327_12 Depth=1
	s_or_b32 exec_lo, exec_lo, s43
.LBB327_280:                            ;   in Loop: Header=BB327_12 Depth=1
	s_or_b32 exec_lo, exec_lo, s42
.LBB327_281:                            ;   in Loop: Header=BB327_12 Depth=1
	s_or_b32 exec_lo, exec_lo, s3
	v_cmp_ne_u16_sdwa s2, v91, v26 src0_sel:BYTE_1 src1_sel:DWORD
	s_and_saveexec_b32 s3, s2
	s_cbranch_execz .LBB327_289
; %bb.282:                              ;   in Loop: Header=BB327_12 Depth=1
	v_cmp_ne_u16_sdwa s2, v91, v44 src0_sel:BYTE_1 src1_sel:DWORD
	v_bfrev_b32_e32 v87, 1
	s_and_saveexec_b32 s42, s2
	s_cbranch_execz .LBB327_288
; %bb.283:                              ;   in Loop: Header=BB327_12 Depth=1
	v_mov_b32_e32 v0, 0xffff
	v_mov_b32_e32 v87, 0x7f800001
	s_mov_b32 s43, exec_lo
	v_and_b32_sdwa v25, v0, v91 dst_sel:DWORD dst_unused:UNUSED_PAD src0_sel:DWORD src1_sel:BYTE_1
	v_and_b32_e32 v89, 0x7f, v25
	v_cmpx_ne_u32_e32 0x7f, v89
	s_cbranch_execz .LBB327_287
; %bb.284:                              ;   in Loop: Header=BB327_12 Depth=1
	v_and_b32_e32 v25, 7, v25
	v_lshrrev_b32_e32 v87, 3, v89
	s_mov_b32 s44, exec_lo
	v_cmpx_gt_u32_e32 8, v89
; %bb.285:                              ;   in Loop: Header=BB327_12 Depth=1
	v_ffbh_u32_e32 v87, v25
	v_min_u32_e32 v87, 32, v87
	v_subrev_nc_u32_e32 v89, 28, v87
	v_sub_nc_u32_e32 v87, 29, v87
	v_lshlrev_b64 v[89:90], v89, v[25:26]
	v_and_b32_e32 v25, 7, v89
; %bb.286:                              ;   in Loop: Header=BB327_12 Depth=1
	s_or_b32 exec_lo, exec_lo, s44
	v_lshlrev_b32_e32 v89, 16, v91
	v_lshlrev_b32_e32 v25, 20, v25
	v_lshl_add_u32 v87, v87, 23, 0x3c000000
	v_and_b32_e32 v89, 0x80000000, v89
	v_or3_b32 v87, v25, v89, v87
.LBB327_287:                            ;   in Loop: Header=BB327_12 Depth=1
	s_or_b32 exec_lo, exec_lo, s43
.LBB327_288:                            ;   in Loop: Header=BB327_12 Depth=1
	s_or_b32 exec_lo, exec_lo, s42
.LBB327_289:                            ;   in Loop: Header=BB327_12 Depth=1
	s_or_b32 exec_lo, exec_lo, s3
	v_and_b32_sdwa v25, v91, v46 dst_sel:DWORD dst_unused:UNUSED_PAD src0_sel:WORD_1 src1_sel:DWORD
	v_mov_b32_e32 v89, 0
	v_mov_b32_e32 v90, 0
	s_mov_b32 s3, exec_lo
	v_cmpx_ne_u16_e32 0, v25
	s_cbranch_execz .LBB327_297
; %bb.290:                              ;   in Loop: Header=BB327_12 Depth=1
	v_bfrev_b32_e32 v90, 1
	s_mov_b32 s42, exec_lo
	v_cmpx_ne_u16_e32 0x80, v25
	s_cbranch_execz .LBB327_296
; %bb.291:                              ;   in Loop: Header=BB327_12 Depth=1
	v_bfe_u32 v92, v91, 16, 7
	v_mov_b32_e32 v90, 0x7f800001
	s_mov_b32 s43, exec_lo
	v_cmpx_ne_u32_e32 0x7f, v92
	s_cbranch_execz .LBB327_295
; %bb.292:                              ;   in Loop: Header=BB327_12 Depth=1
	v_and_b32_sdwa v25, v91, v47 dst_sel:DWORD dst_unused:UNUSED_PAD src0_sel:WORD_1 src1_sel:DWORD
	v_lshrrev_b32_e32 v90, 3, v92
	s_mov_b32 s44, exec_lo
	v_cmpx_gt_u32_e32 8, v92
; %bb.293:                              ;   in Loop: Header=BB327_12 Depth=1
	v_ffbh_u32_e32 v90, v25
	v_min_u32_e32 v90, 32, v90
	v_subrev_nc_u32_e32 v92, 28, v90
	v_sub_nc_u32_e32 v90, 29, v90
	v_lshlrev_b64 v[92:93], v92, v[25:26]
	v_and_b32_e32 v25, 7, v92
; %bb.294:                              ;   in Loop: Header=BB327_12 Depth=1
	s_or_b32 exec_lo, exec_lo, s44
	v_lshlrev_b32_sdwa v92, v48, v91 dst_sel:DWORD dst_unused:UNUSED_PAD src0_sel:DWORD src1_sel:WORD_1
	v_lshlrev_b32_e32 v25, 20, v25
	v_lshl_add_u32 v90, v90, 23, 0x3c000000
	v_and_b32_e32 v92, 0x80000000, v92
	v_or3_b32 v90, v25, v92, v90
.LBB327_295:                            ;   in Loop: Header=BB327_12 Depth=1
	s_or_b32 exec_lo, exec_lo, s43
.LBB327_296:                            ;   in Loop: Header=BB327_12 Depth=1
	s_or_b32 exec_lo, exec_lo, s42
.LBB327_297:                            ;   in Loop: Header=BB327_12 Depth=1
	s_or_b32 exec_lo, exec_lo, s3
	s_mov_b32 s3, exec_lo
	v_cmpx_lt_u32_e32 0xffffff, v91
	s_cbranch_execz .LBB327_305
; %bb.298:                              ;   in Loop: Header=BB327_12 Depth=1
	v_cmp_ne_u32_sdwa s2, v91, v44 src0_sel:BYTE_3 src1_sel:DWORD
	v_bfrev_b32_e32 v89, 1
	s_and_saveexec_b32 s42, s2
	s_cbranch_execz .LBB327_304
; %bb.299:                              ;   in Loop: Header=BB327_12 Depth=1
	v_bfe_u32 v92, v91, 24, 7
	v_mov_b32_e32 v89, 0x7f800001
	s_mov_b32 s43, exec_lo
	v_cmpx_ne_u32_e32 0x7f, v92
	s_cbranch_execz .LBB327_303
; %bb.300:                              ;   in Loop: Header=BB327_12 Depth=1
	v_and_b32_sdwa v25, v91, v47 dst_sel:DWORD dst_unused:UNUSED_PAD src0_sel:BYTE_3 src1_sel:DWORD
	v_lshrrev_b32_e32 v89, 3, v92
	s_mov_b32 s44, exec_lo
	v_cmpx_gt_u32_e32 8, v92
; %bb.301:                              ;   in Loop: Header=BB327_12 Depth=1
	v_ffbh_u32_e32 v89, v25
	v_min_u32_e32 v89, 32, v89
	v_subrev_nc_u32_e32 v92, 28, v89
	v_sub_nc_u32_e32 v89, 29, v89
	v_lshlrev_b64 v[92:93], v92, v[25:26]
	v_and_b32_e32 v25, 7, v92
; %bb.302:                              ;   in Loop: Header=BB327_12 Depth=1
	s_or_b32 exec_lo, exec_lo, s44
	v_lshlrev_b32_sdwa v91, v48, v91 dst_sel:DWORD dst_unused:UNUSED_PAD src0_sel:DWORD src1_sel:BYTE_3
	v_lshlrev_b32_e32 v25, 20, v25
	v_lshl_add_u32 v89, v89, 23, 0x3c000000
	v_and_b32_e32 v91, 0x80000000, v91
	v_or3_b32 v89, v25, v91, v89
.LBB327_303:                            ;   in Loop: Header=BB327_12 Depth=1
	s_or_b32 exec_lo, exec_lo, s43
.LBB327_304:                            ;   in Loop: Header=BB327_12 Depth=1
	s_or_b32 exec_lo, exec_lo, s42
.LBB327_305:                            ;   in Loop: Header=BB327_12 Depth=1
	s_or_b32 exec_lo, exec_lo, s3
	global_load_dword v95, v[31:32], off offset:1032
	v_mov_b32_e32 v91, 0
	v_mov_b32_e32 v92, 0
	s_waitcnt vmcnt(0)
	v_cmp_ne_u16_sdwa s2, v95, v26 src0_sel:BYTE_0 src1_sel:DWORD
	s_and_saveexec_b32 s3, s2
	s_cbranch_execz .LBB327_313
; %bb.306:                              ;   in Loop: Header=BB327_12 Depth=1
	v_cmp_ne_u16_sdwa s2, v95, v44 src0_sel:BYTE_0 src1_sel:DWORD
	v_bfrev_b32_e32 v92, 1
	s_and_saveexec_b32 s42, s2
	s_cbranch_execz .LBB327_312
; %bb.307:                              ;   in Loop: Header=BB327_12 Depth=1
	v_and_b32_e32 v93, 0x7f, v95
	v_mov_b32_e32 v92, 0x7f800001
	s_mov_b32 s43, exec_lo
	v_cmpx_ne_u32_e32 0x7f, v93
	s_cbranch_execz .LBB327_311
; %bb.308:                              ;   in Loop: Header=BB327_12 Depth=1
	v_and_b32_e32 v25, 7, v95
	v_lshrrev_b32_e32 v92, 3, v93
	s_mov_b32 s44, exec_lo
	v_cmpx_gt_u32_e32 8, v93
; %bb.309:                              ;   in Loop: Header=BB327_12 Depth=1
	v_ffbh_u32_e32 v92, v25
	v_min_u32_e32 v92, 32, v92
	v_subrev_nc_u32_e32 v93, 28, v92
	v_sub_nc_u32_e32 v92, 29, v92
	v_lshlrev_b64 v[93:94], v93, v[25:26]
	v_and_b32_e32 v25, 7, v93
; %bb.310:                              ;   in Loop: Header=BB327_12 Depth=1
	s_or_b32 exec_lo, exec_lo, s44
	v_lshlrev_b32_e32 v93, 24, v95
	v_lshlrev_b32_e32 v25, 20, v25
	v_lshl_add_u32 v92, v92, 23, 0x3c000000
	v_and_b32_e32 v93, 0x80000000, v93
	v_or3_b32 v92, v25, v93, v92
.LBB327_311:                            ;   in Loop: Header=BB327_12 Depth=1
	s_or_b32 exec_lo, exec_lo, s43
.LBB327_312:                            ;   in Loop: Header=BB327_12 Depth=1
	s_or_b32 exec_lo, exec_lo, s42
.LBB327_313:                            ;   in Loop: Header=BB327_12 Depth=1
	s_or_b32 exec_lo, exec_lo, s3
	v_cmp_ne_u16_sdwa s2, v95, v26 src0_sel:BYTE_1 src1_sel:DWORD
	s_and_saveexec_b32 s3, s2
	s_cbranch_execz .LBB327_321
; %bb.314:                              ;   in Loop: Header=BB327_12 Depth=1
	v_cmp_ne_u16_sdwa s2, v95, v44 src0_sel:BYTE_1 src1_sel:DWORD
	v_bfrev_b32_e32 v91, 1
	s_and_saveexec_b32 s42, s2
	s_cbranch_execz .LBB327_320
; %bb.315:                              ;   in Loop: Header=BB327_12 Depth=1
	v_mov_b32_e32 v0, 0xffff
	v_mov_b32_e32 v91, 0x7f800001
	s_mov_b32 s43, exec_lo
	v_and_b32_sdwa v25, v0, v95 dst_sel:DWORD dst_unused:UNUSED_PAD src0_sel:DWORD src1_sel:BYTE_1
	v_and_b32_e32 v93, 0x7f, v25
	v_cmpx_ne_u32_e32 0x7f, v93
	s_cbranch_execz .LBB327_319
; %bb.316:                              ;   in Loop: Header=BB327_12 Depth=1
	v_and_b32_e32 v25, 7, v25
	v_lshrrev_b32_e32 v91, 3, v93
	s_mov_b32 s44, exec_lo
	v_cmpx_gt_u32_e32 8, v93
; %bb.317:                              ;   in Loop: Header=BB327_12 Depth=1
	v_ffbh_u32_e32 v91, v25
	v_min_u32_e32 v91, 32, v91
	v_subrev_nc_u32_e32 v93, 28, v91
	v_sub_nc_u32_e32 v91, 29, v91
	v_lshlrev_b64 v[93:94], v93, v[25:26]
	v_and_b32_e32 v25, 7, v93
; %bb.318:                              ;   in Loop: Header=BB327_12 Depth=1
	s_or_b32 exec_lo, exec_lo, s44
	v_lshlrev_b32_e32 v93, 16, v95
	v_lshlrev_b32_e32 v25, 20, v25
	v_lshl_add_u32 v91, v91, 23, 0x3c000000
	v_and_b32_e32 v93, 0x80000000, v93
	v_or3_b32 v91, v25, v93, v91
.LBB327_319:                            ;   in Loop: Header=BB327_12 Depth=1
	s_or_b32 exec_lo, exec_lo, s43
.LBB327_320:                            ;   in Loop: Header=BB327_12 Depth=1
	s_or_b32 exec_lo, exec_lo, s42
.LBB327_321:                            ;   in Loop: Header=BB327_12 Depth=1
	s_or_b32 exec_lo, exec_lo, s3
	v_and_b32_sdwa v25, v95, v46 dst_sel:DWORD dst_unused:UNUSED_PAD src0_sel:WORD_1 src1_sel:DWORD
	v_mov_b32_e32 v93, 0
	v_mov_b32_e32 v94, 0
	s_mov_b32 s3, exec_lo
	v_cmpx_ne_u16_e32 0, v25
	s_cbranch_execz .LBB327_329
; %bb.322:                              ;   in Loop: Header=BB327_12 Depth=1
	v_bfrev_b32_e32 v94, 1
	s_mov_b32 s42, exec_lo
	v_cmpx_ne_u16_e32 0x80, v25
	s_cbranch_execz .LBB327_328
; %bb.323:                              ;   in Loop: Header=BB327_12 Depth=1
	v_bfe_u32 v96, v95, 16, 7
	v_mov_b32_e32 v94, 0x7f800001
	s_mov_b32 s43, exec_lo
	v_cmpx_ne_u32_e32 0x7f, v96
	s_cbranch_execz .LBB327_327
; %bb.324:                              ;   in Loop: Header=BB327_12 Depth=1
	v_and_b32_sdwa v25, v95, v47 dst_sel:DWORD dst_unused:UNUSED_PAD src0_sel:WORD_1 src1_sel:DWORD
	v_lshrrev_b32_e32 v94, 3, v96
	s_mov_b32 s44, exec_lo
	v_cmpx_gt_u32_e32 8, v96
; %bb.325:                              ;   in Loop: Header=BB327_12 Depth=1
	v_ffbh_u32_e32 v94, v25
	v_min_u32_e32 v94, 32, v94
	v_subrev_nc_u32_e32 v96, 28, v94
	v_sub_nc_u32_e32 v94, 29, v94
	v_lshlrev_b64 v[96:97], v96, v[25:26]
	v_and_b32_e32 v25, 7, v96
; %bb.326:                              ;   in Loop: Header=BB327_12 Depth=1
	s_or_b32 exec_lo, exec_lo, s44
	v_lshlrev_b32_sdwa v96, v48, v95 dst_sel:DWORD dst_unused:UNUSED_PAD src0_sel:DWORD src1_sel:WORD_1
	v_lshlrev_b32_e32 v25, 20, v25
	v_lshl_add_u32 v94, v94, 23, 0x3c000000
	v_and_b32_e32 v96, 0x80000000, v96
	v_or3_b32 v94, v25, v96, v94
.LBB327_327:                            ;   in Loop: Header=BB327_12 Depth=1
	s_or_b32 exec_lo, exec_lo, s43
.LBB327_328:                            ;   in Loop: Header=BB327_12 Depth=1
	s_or_b32 exec_lo, exec_lo, s42
.LBB327_329:                            ;   in Loop: Header=BB327_12 Depth=1
	s_or_b32 exec_lo, exec_lo, s3
	s_mov_b32 s3, exec_lo
	v_cmpx_lt_u32_e32 0xffffff, v95
	s_cbranch_execz .LBB327_337
; %bb.330:                              ;   in Loop: Header=BB327_12 Depth=1
	v_cmp_ne_u32_sdwa s2, v95, v44 src0_sel:BYTE_3 src1_sel:DWORD
	v_bfrev_b32_e32 v93, 1
	s_and_saveexec_b32 s42, s2
	s_cbranch_execz .LBB327_336
; %bb.331:                              ;   in Loop: Header=BB327_12 Depth=1
	v_bfe_u32 v96, v95, 24, 7
	v_mov_b32_e32 v93, 0x7f800001
	s_mov_b32 s43, exec_lo
	v_cmpx_ne_u32_e32 0x7f, v96
	s_cbranch_execz .LBB327_335
; %bb.332:                              ;   in Loop: Header=BB327_12 Depth=1
	v_and_b32_sdwa v25, v95, v47 dst_sel:DWORD dst_unused:UNUSED_PAD src0_sel:BYTE_3 src1_sel:DWORD
	v_lshrrev_b32_e32 v93, 3, v96
	s_mov_b32 s44, exec_lo
	v_cmpx_gt_u32_e32 8, v96
; %bb.333:                              ;   in Loop: Header=BB327_12 Depth=1
	v_ffbh_u32_e32 v93, v25
	v_min_u32_e32 v93, 32, v93
	v_subrev_nc_u32_e32 v96, 28, v93
	v_sub_nc_u32_e32 v93, 29, v93
	v_lshlrev_b64 v[96:97], v96, v[25:26]
	v_and_b32_e32 v25, 7, v96
; %bb.334:                              ;   in Loop: Header=BB327_12 Depth=1
	s_or_b32 exec_lo, exec_lo, s44
	v_lshlrev_b32_sdwa v95, v48, v95 dst_sel:DWORD dst_unused:UNUSED_PAD src0_sel:DWORD src1_sel:BYTE_3
	v_lshlrev_b32_e32 v25, 20, v25
	v_lshl_add_u32 v93, v93, 23, 0x3c000000
	v_and_b32_e32 v95, 0x80000000, v95
	v_or3_b32 v93, v25, v95, v93
.LBB327_335:                            ;   in Loop: Header=BB327_12 Depth=1
	s_or_b32 exec_lo, exec_lo, s43
.LBB327_336:                            ;   in Loop: Header=BB327_12 Depth=1
	s_or_b32 exec_lo, exec_lo, s42
.LBB327_337:                            ;   in Loop: Header=BB327_12 Depth=1
	s_or_b32 exec_lo, exec_lo, s3
	global_load_dword v99, v[31:32], off offset:1280
	v_mov_b32_e32 v95, 0
	v_mov_b32_e32 v96, 0
	s_waitcnt vmcnt(0)
	v_cmp_ne_u16_sdwa s2, v99, v26 src0_sel:BYTE_0 src1_sel:DWORD
	s_and_saveexec_b32 s3, s2
	s_cbranch_execz .LBB327_345
; %bb.338:                              ;   in Loop: Header=BB327_12 Depth=1
	v_cmp_ne_u16_sdwa s2, v99, v44 src0_sel:BYTE_0 src1_sel:DWORD
	v_bfrev_b32_e32 v96, 1
	s_and_saveexec_b32 s42, s2
	s_cbranch_execz .LBB327_344
; %bb.339:                              ;   in Loop: Header=BB327_12 Depth=1
	v_and_b32_e32 v97, 0x7f, v99
	v_mov_b32_e32 v96, 0x7f800001
	s_mov_b32 s43, exec_lo
	v_cmpx_ne_u32_e32 0x7f, v97
	s_cbranch_execz .LBB327_343
; %bb.340:                              ;   in Loop: Header=BB327_12 Depth=1
	v_and_b32_e32 v25, 7, v99
	v_lshrrev_b32_e32 v96, 3, v97
	s_mov_b32 s44, exec_lo
	v_cmpx_gt_u32_e32 8, v97
; %bb.341:                              ;   in Loop: Header=BB327_12 Depth=1
	v_ffbh_u32_e32 v96, v25
	v_min_u32_e32 v96, 32, v96
	v_subrev_nc_u32_e32 v97, 28, v96
	v_sub_nc_u32_e32 v96, 29, v96
	v_lshlrev_b64 v[97:98], v97, v[25:26]
	v_and_b32_e32 v25, 7, v97
; %bb.342:                              ;   in Loop: Header=BB327_12 Depth=1
	s_or_b32 exec_lo, exec_lo, s44
	v_lshlrev_b32_e32 v97, 24, v99
	v_lshlrev_b32_e32 v25, 20, v25
	v_lshl_add_u32 v96, v96, 23, 0x3c000000
	v_and_b32_e32 v97, 0x80000000, v97
	v_or3_b32 v96, v25, v97, v96
.LBB327_343:                            ;   in Loop: Header=BB327_12 Depth=1
	s_or_b32 exec_lo, exec_lo, s43
.LBB327_344:                            ;   in Loop: Header=BB327_12 Depth=1
	s_or_b32 exec_lo, exec_lo, s42
.LBB327_345:                            ;   in Loop: Header=BB327_12 Depth=1
	s_or_b32 exec_lo, exec_lo, s3
	v_cmp_ne_u16_sdwa s2, v99, v26 src0_sel:BYTE_1 src1_sel:DWORD
	s_and_saveexec_b32 s3, s2
	s_cbranch_execz .LBB327_353
; %bb.346:                              ;   in Loop: Header=BB327_12 Depth=1
	v_cmp_ne_u16_sdwa s2, v99, v44 src0_sel:BYTE_1 src1_sel:DWORD
	v_bfrev_b32_e32 v95, 1
	s_and_saveexec_b32 s42, s2
	s_cbranch_execz .LBB327_352
; %bb.347:                              ;   in Loop: Header=BB327_12 Depth=1
	v_mov_b32_e32 v0, 0xffff
	v_mov_b32_e32 v95, 0x7f800001
	s_mov_b32 s43, exec_lo
	v_and_b32_sdwa v25, v0, v99 dst_sel:DWORD dst_unused:UNUSED_PAD src0_sel:DWORD src1_sel:BYTE_1
	v_and_b32_e32 v97, 0x7f, v25
	v_cmpx_ne_u32_e32 0x7f, v97
	s_cbranch_execz .LBB327_351
; %bb.348:                              ;   in Loop: Header=BB327_12 Depth=1
	v_and_b32_e32 v25, 7, v25
	v_lshrrev_b32_e32 v95, 3, v97
	s_mov_b32 s44, exec_lo
	v_cmpx_gt_u32_e32 8, v97
; %bb.349:                              ;   in Loop: Header=BB327_12 Depth=1
	v_ffbh_u32_e32 v95, v25
	v_min_u32_e32 v95, 32, v95
	v_subrev_nc_u32_e32 v97, 28, v95
	v_sub_nc_u32_e32 v95, 29, v95
	v_lshlrev_b64 v[97:98], v97, v[25:26]
	v_and_b32_e32 v25, 7, v97
; %bb.350:                              ;   in Loop: Header=BB327_12 Depth=1
	s_or_b32 exec_lo, exec_lo, s44
	v_lshlrev_b32_e32 v97, 16, v99
	v_lshlrev_b32_e32 v25, 20, v25
	v_lshl_add_u32 v95, v95, 23, 0x3c000000
	v_and_b32_e32 v97, 0x80000000, v97
	v_or3_b32 v95, v25, v97, v95
.LBB327_351:                            ;   in Loop: Header=BB327_12 Depth=1
	s_or_b32 exec_lo, exec_lo, s43
.LBB327_352:                            ;   in Loop: Header=BB327_12 Depth=1
	s_or_b32 exec_lo, exec_lo, s42
.LBB327_353:                            ;   in Loop: Header=BB327_12 Depth=1
	s_or_b32 exec_lo, exec_lo, s3
	v_and_b32_sdwa v25, v99, v46 dst_sel:DWORD dst_unused:UNUSED_PAD src0_sel:WORD_1 src1_sel:DWORD
	v_mov_b32_e32 v97, 0
	v_mov_b32_e32 v98, 0
	s_mov_b32 s3, exec_lo
	v_cmpx_ne_u16_e32 0, v25
	s_cbranch_execz .LBB327_361
; %bb.354:                              ;   in Loop: Header=BB327_12 Depth=1
	v_bfrev_b32_e32 v98, 1
	s_mov_b32 s42, exec_lo
	v_cmpx_ne_u16_e32 0x80, v25
	s_cbranch_execz .LBB327_360
; %bb.355:                              ;   in Loop: Header=BB327_12 Depth=1
	v_bfe_u32 v100, v99, 16, 7
	v_mov_b32_e32 v98, 0x7f800001
	s_mov_b32 s43, exec_lo
	v_cmpx_ne_u32_e32 0x7f, v100
	s_cbranch_execz .LBB327_359
; %bb.356:                              ;   in Loop: Header=BB327_12 Depth=1
	v_and_b32_sdwa v25, v99, v47 dst_sel:DWORD dst_unused:UNUSED_PAD src0_sel:WORD_1 src1_sel:DWORD
	v_lshrrev_b32_e32 v98, 3, v100
	s_mov_b32 s44, exec_lo
	v_cmpx_gt_u32_e32 8, v100
; %bb.357:                              ;   in Loop: Header=BB327_12 Depth=1
	v_ffbh_u32_e32 v98, v25
	v_min_u32_e32 v98, 32, v98
	v_subrev_nc_u32_e32 v100, 28, v98
	v_sub_nc_u32_e32 v98, 29, v98
	v_lshlrev_b64 v[100:101], v100, v[25:26]
	v_and_b32_e32 v25, 7, v100
; %bb.358:                              ;   in Loop: Header=BB327_12 Depth=1
	s_or_b32 exec_lo, exec_lo, s44
	v_lshlrev_b32_sdwa v100, v48, v99 dst_sel:DWORD dst_unused:UNUSED_PAD src0_sel:DWORD src1_sel:WORD_1
	v_lshlrev_b32_e32 v25, 20, v25
	v_lshl_add_u32 v98, v98, 23, 0x3c000000
	v_and_b32_e32 v100, 0x80000000, v100
	v_or3_b32 v98, v25, v100, v98
.LBB327_359:                            ;   in Loop: Header=BB327_12 Depth=1
	s_or_b32 exec_lo, exec_lo, s43
.LBB327_360:                            ;   in Loop: Header=BB327_12 Depth=1
	s_or_b32 exec_lo, exec_lo, s42
.LBB327_361:                            ;   in Loop: Header=BB327_12 Depth=1
	s_or_b32 exec_lo, exec_lo, s3
	s_mov_b32 s3, exec_lo
	v_cmpx_lt_u32_e32 0xffffff, v99
	s_cbranch_execz .LBB327_369
; %bb.362:                              ;   in Loop: Header=BB327_12 Depth=1
	v_cmp_ne_u32_sdwa s2, v99, v44 src0_sel:BYTE_3 src1_sel:DWORD
	v_bfrev_b32_e32 v97, 1
	s_and_saveexec_b32 s42, s2
	s_cbranch_execz .LBB327_368
; %bb.363:                              ;   in Loop: Header=BB327_12 Depth=1
	v_bfe_u32 v100, v99, 24, 7
	v_mov_b32_e32 v97, 0x7f800001
	s_mov_b32 s43, exec_lo
	v_cmpx_ne_u32_e32 0x7f, v100
	s_cbranch_execz .LBB327_367
; %bb.364:                              ;   in Loop: Header=BB327_12 Depth=1
	v_and_b32_sdwa v25, v99, v47 dst_sel:DWORD dst_unused:UNUSED_PAD src0_sel:BYTE_3 src1_sel:DWORD
	v_lshrrev_b32_e32 v97, 3, v100
	s_mov_b32 s44, exec_lo
	v_cmpx_gt_u32_e32 8, v100
; %bb.365:                              ;   in Loop: Header=BB327_12 Depth=1
	v_ffbh_u32_e32 v97, v25
	v_min_u32_e32 v97, 32, v97
	v_subrev_nc_u32_e32 v100, 28, v97
	v_sub_nc_u32_e32 v97, 29, v97
	v_lshlrev_b64 v[100:101], v100, v[25:26]
	v_and_b32_e32 v25, 7, v100
; %bb.366:                              ;   in Loop: Header=BB327_12 Depth=1
	s_or_b32 exec_lo, exec_lo, s44
	v_lshlrev_b32_sdwa v99, v48, v99 dst_sel:DWORD dst_unused:UNUSED_PAD src0_sel:DWORD src1_sel:BYTE_3
	v_lshlrev_b32_e32 v25, 20, v25
	v_lshl_add_u32 v97, v97, 23, 0x3c000000
	v_and_b32_e32 v99, 0x80000000, v99
	v_or3_b32 v97, v25, v99, v97
.LBB327_367:                            ;   in Loop: Header=BB327_12 Depth=1
	s_or_b32 exec_lo, exec_lo, s43
.LBB327_368:                            ;   in Loop: Header=BB327_12 Depth=1
	s_or_b32 exec_lo, exec_lo, s42
.LBB327_369:                            ;   in Loop: Header=BB327_12 Depth=1
	s_or_b32 exec_lo, exec_lo, s3
	global_load_dword v101, v[31:32], off offset:1288
	v_mov_b32_e32 v99, 0
	v_mov_b32_e32 v100, 0
	s_waitcnt vmcnt(0)
	v_cmp_ne_u16_sdwa s2, v101, v26 src0_sel:BYTE_0 src1_sel:DWORD
	s_and_saveexec_b32 s3, s2
	s_cbranch_execz .LBB327_377
; %bb.370:                              ;   in Loop: Header=BB327_12 Depth=1
	v_cmp_ne_u16_sdwa s2, v101, v44 src0_sel:BYTE_0 src1_sel:DWORD
	v_bfrev_b32_e32 v100, 1
	s_and_saveexec_b32 s42, s2
	s_cbranch_execz .LBB327_376
; %bb.371:                              ;   in Loop: Header=BB327_12 Depth=1
	v_and_b32_e32 v102, 0x7f, v101
	v_mov_b32_e32 v100, 0x7f800001
	s_mov_b32 s43, exec_lo
	v_cmpx_ne_u32_e32 0x7f, v102
	s_cbranch_execz .LBB327_375
; %bb.372:                              ;   in Loop: Header=BB327_12 Depth=1
	v_and_b32_e32 v25, 7, v101
	v_lshrrev_b32_e32 v100, 3, v102
	s_mov_b32 s44, exec_lo
	v_cmpx_gt_u32_e32 8, v102
; %bb.373:                              ;   in Loop: Header=BB327_12 Depth=1
	v_ffbh_u32_e32 v100, v25
	v_min_u32_e32 v100, 32, v100
	v_subrev_nc_u32_e32 v102, 28, v100
	v_sub_nc_u32_e32 v100, 29, v100
	v_lshlrev_b64 v[102:103], v102, v[25:26]
	v_and_b32_e32 v25, 7, v102
; %bb.374:                              ;   in Loop: Header=BB327_12 Depth=1
	s_or_b32 exec_lo, exec_lo, s44
	v_lshlrev_b32_e32 v102, 24, v101
	v_lshlrev_b32_e32 v25, 20, v25
	v_lshl_add_u32 v100, v100, 23, 0x3c000000
	v_and_b32_e32 v102, 0x80000000, v102
	v_or3_b32 v100, v25, v102, v100
.LBB327_375:                            ;   in Loop: Header=BB327_12 Depth=1
	s_or_b32 exec_lo, exec_lo, s43
.LBB327_376:                            ;   in Loop: Header=BB327_12 Depth=1
	s_or_b32 exec_lo, exec_lo, s42
.LBB327_377:                            ;   in Loop: Header=BB327_12 Depth=1
	s_or_b32 exec_lo, exec_lo, s3
	v_cmp_ne_u16_sdwa s2, v101, v26 src0_sel:BYTE_1 src1_sel:DWORD
	s_and_saveexec_b32 s3, s2
	s_cbranch_execz .LBB327_385
; %bb.378:                              ;   in Loop: Header=BB327_12 Depth=1
	v_cmp_ne_u16_sdwa s2, v101, v44 src0_sel:BYTE_1 src1_sel:DWORD
	v_bfrev_b32_e32 v99, 1
	s_and_saveexec_b32 s42, s2
	s_cbranch_execz .LBB327_384
; %bb.379:                              ;   in Loop: Header=BB327_12 Depth=1
	v_mov_b32_e32 v0, 0xffff
	v_mov_b32_e32 v99, 0x7f800001
	s_mov_b32 s43, exec_lo
	v_and_b32_sdwa v25, v0, v101 dst_sel:DWORD dst_unused:UNUSED_PAD src0_sel:DWORD src1_sel:BYTE_1
	v_and_b32_e32 v102, 0x7f, v25
	v_cmpx_ne_u32_e32 0x7f, v102
	s_cbranch_execz .LBB327_383
; %bb.380:                              ;   in Loop: Header=BB327_12 Depth=1
	v_and_b32_e32 v25, 7, v25
	v_lshrrev_b32_e32 v99, 3, v102
	s_mov_b32 s44, exec_lo
	v_cmpx_gt_u32_e32 8, v102
; %bb.381:                              ;   in Loop: Header=BB327_12 Depth=1
	v_ffbh_u32_e32 v99, v25
	v_min_u32_e32 v99, 32, v99
	v_subrev_nc_u32_e32 v102, 28, v99
	v_sub_nc_u32_e32 v99, 29, v99
	v_lshlrev_b64 v[102:103], v102, v[25:26]
	v_and_b32_e32 v25, 7, v102
; %bb.382:                              ;   in Loop: Header=BB327_12 Depth=1
	s_or_b32 exec_lo, exec_lo, s44
	v_lshlrev_b32_e32 v102, 16, v101
	v_lshlrev_b32_e32 v25, 20, v25
	v_lshl_add_u32 v99, v99, 23, 0x3c000000
	v_and_b32_e32 v102, 0x80000000, v102
	v_or3_b32 v99, v25, v102, v99
.LBB327_383:                            ;   in Loop: Header=BB327_12 Depth=1
	s_or_b32 exec_lo, exec_lo, s43
.LBB327_384:                            ;   in Loop: Header=BB327_12 Depth=1
	s_or_b32 exec_lo, exec_lo, s42
.LBB327_385:                            ;   in Loop: Header=BB327_12 Depth=1
	s_or_b32 exec_lo, exec_lo, s3
	v_and_b32_sdwa v25, v101, v46 dst_sel:DWORD dst_unused:UNUSED_PAD src0_sel:WORD_1 src1_sel:DWORD
	v_mov_b32_e32 v102, 0
	v_mov_b32_e32 v103, 0
	s_mov_b32 s3, exec_lo
	v_cmpx_ne_u16_e32 0, v25
	s_cbranch_execz .LBB327_393
; %bb.386:                              ;   in Loop: Header=BB327_12 Depth=1
	v_bfrev_b32_e32 v103, 1
	s_mov_b32 s42, exec_lo
	v_cmpx_ne_u16_e32 0x80, v25
	s_cbranch_execz .LBB327_392
; %bb.387:                              ;   in Loop: Header=BB327_12 Depth=1
	v_bfe_u32 v104, v101, 16, 7
	v_mov_b32_e32 v103, 0x7f800001
	s_mov_b32 s43, exec_lo
	v_cmpx_ne_u32_e32 0x7f, v104
	s_cbranch_execz .LBB327_391
; %bb.388:                              ;   in Loop: Header=BB327_12 Depth=1
	v_and_b32_sdwa v25, v101, v47 dst_sel:DWORD dst_unused:UNUSED_PAD src0_sel:WORD_1 src1_sel:DWORD
	v_lshrrev_b32_e32 v103, 3, v104
	s_mov_b32 s44, exec_lo
	v_cmpx_gt_u32_e32 8, v104
; %bb.389:                              ;   in Loop: Header=BB327_12 Depth=1
	v_ffbh_u32_e32 v103, v25
	v_min_u32_e32 v103, 32, v103
	v_subrev_nc_u32_e32 v104, 28, v103
	v_sub_nc_u32_e32 v103, 29, v103
	v_lshlrev_b64 v[104:105], v104, v[25:26]
	v_and_b32_e32 v25, 7, v104
; %bb.390:                              ;   in Loop: Header=BB327_12 Depth=1
	s_or_b32 exec_lo, exec_lo, s44
	v_lshlrev_b32_sdwa v104, v48, v101 dst_sel:DWORD dst_unused:UNUSED_PAD src0_sel:DWORD src1_sel:WORD_1
	v_lshlrev_b32_e32 v25, 20, v25
	v_lshl_add_u32 v103, v103, 23, 0x3c000000
	v_and_b32_e32 v104, 0x80000000, v104
	v_or3_b32 v103, v25, v104, v103
.LBB327_391:                            ;   in Loop: Header=BB327_12 Depth=1
	s_or_b32 exec_lo, exec_lo, s43
.LBB327_392:                            ;   in Loop: Header=BB327_12 Depth=1
	s_or_b32 exec_lo, exec_lo, s42
.LBB327_393:                            ;   in Loop: Header=BB327_12 Depth=1
	s_or_b32 exec_lo, exec_lo, s3
	s_mov_b32 s3, exec_lo
	v_cmpx_lt_u32_e32 0xffffff, v101
	s_cbranch_execz .LBB327_401
; %bb.394:                              ;   in Loop: Header=BB327_12 Depth=1
	v_cmp_ne_u32_sdwa s2, v101, v44 src0_sel:BYTE_3 src1_sel:DWORD
	v_bfrev_b32_e32 v102, 1
	s_and_saveexec_b32 s42, s2
	s_cbranch_execz .LBB327_400
; %bb.395:                              ;   in Loop: Header=BB327_12 Depth=1
	v_bfe_u32 v104, v101, 24, 7
	v_mov_b32_e32 v102, 0x7f800001
	s_mov_b32 s43, exec_lo
	v_cmpx_ne_u32_e32 0x7f, v104
	s_cbranch_execz .LBB327_399
; %bb.396:                              ;   in Loop: Header=BB327_12 Depth=1
	v_and_b32_sdwa v25, v101, v47 dst_sel:DWORD dst_unused:UNUSED_PAD src0_sel:BYTE_3 src1_sel:DWORD
	v_lshrrev_b32_e32 v102, 3, v104
	s_mov_b32 s44, exec_lo
	v_cmpx_gt_u32_e32 8, v104
; %bb.397:                              ;   in Loop: Header=BB327_12 Depth=1
	v_ffbh_u32_e32 v102, v25
	v_min_u32_e32 v102, 32, v102
	v_subrev_nc_u32_e32 v104, 28, v102
	v_sub_nc_u32_e32 v102, 29, v102
	v_lshlrev_b64 v[104:105], v104, v[25:26]
	v_and_b32_e32 v25, 7, v104
; %bb.398:                              ;   in Loop: Header=BB327_12 Depth=1
	s_or_b32 exec_lo, exec_lo, s44
	v_lshlrev_b32_sdwa v101, v48, v101 dst_sel:DWORD dst_unused:UNUSED_PAD src0_sel:DWORD src1_sel:BYTE_3
	v_lshlrev_b32_e32 v25, 20, v25
	v_lshl_add_u32 v102, v102, 23, 0x3c000000
	v_and_b32_e32 v101, 0x80000000, v101
	v_or3_b32 v102, v25, v101, v102
.LBB327_399:                            ;   in Loop: Header=BB327_12 Depth=1
	s_or_b32 exec_lo, exec_lo, s43
.LBB327_400:                            ;   in Loop: Header=BB327_12 Depth=1
	s_or_b32 exec_lo, exec_lo, s42
.LBB327_401:                            ;   in Loop: Header=BB327_12 Depth=1
	s_or_b32 exec_lo, exec_lo, s3
	global_load_dword v107, v[31:32], off offset:1536
	v_mov_b32_e32 v101, 0
	v_mov_b32_e32 v106, 0
	s_waitcnt vmcnt(0)
	v_cmp_ne_u16_sdwa s2, v107, v26 src0_sel:BYTE_0 src1_sel:DWORD
	s_and_saveexec_b32 s3, s2
	s_cbranch_execz .LBB327_409
; %bb.402:                              ;   in Loop: Header=BB327_12 Depth=1
	v_cmp_ne_u16_sdwa s2, v107, v44 src0_sel:BYTE_0 src1_sel:DWORD
	v_bfrev_b32_e32 v106, 1
	s_and_saveexec_b32 s42, s2
	s_cbranch_execz .LBB327_408
; %bb.403:                              ;   in Loop: Header=BB327_12 Depth=1
	v_and_b32_e32 v105, 0x7f, v107
	v_mov_b32_e32 v106, 0x7f800001
	s_mov_b32 s43, exec_lo
	v_cmpx_ne_u32_e32 0x7f, v105
	s_cbranch_execz .LBB327_407
; %bb.404:                              ;   in Loop: Header=BB327_12 Depth=1
	v_and_b32_e32 v25, 7, v107
	v_lshrrev_b32_e32 v104, 3, v105
	s_mov_b32 s44, exec_lo
	v_cmpx_gt_u32_e32 8, v105
; %bb.405:                              ;   in Loop: Header=BB327_12 Depth=1
	v_ffbh_u32_e32 v104, v25
	v_min_u32_e32 v104, 32, v104
	v_subrev_nc_u32_e32 v105, 28, v104
	v_sub_nc_u32_e32 v104, 29, v104
	v_lshlrev_b64 v[105:106], v105, v[25:26]
	v_and_b32_e32 v25, 7, v105
; %bb.406:                              ;   in Loop: Header=BB327_12 Depth=1
	s_or_b32 exec_lo, exec_lo, s44
	v_lshlrev_b32_e32 v105, 24, v107
	v_lshlrev_b32_e32 v25, 20, v25
	v_lshl_add_u32 v104, v104, 23, 0x3c000000
	v_and_b32_e32 v105, 0x80000000, v105
	v_or3_b32 v106, v25, v105, v104
.LBB327_407:                            ;   in Loop: Header=BB327_12 Depth=1
	s_or_b32 exec_lo, exec_lo, s43
.LBB327_408:                            ;   in Loop: Header=BB327_12 Depth=1
	s_or_b32 exec_lo, exec_lo, s42
.LBB327_409:                            ;   in Loop: Header=BB327_12 Depth=1
	s_or_b32 exec_lo, exec_lo, s3
	v_cmp_ne_u16_sdwa s2, v107, v26 src0_sel:BYTE_1 src1_sel:DWORD
	s_and_saveexec_b32 s3, s2
	s_cbranch_execz .LBB327_417
; %bb.410:                              ;   in Loop: Header=BB327_12 Depth=1
	v_cmp_ne_u16_sdwa s2, v107, v44 src0_sel:BYTE_1 src1_sel:DWORD
	v_bfrev_b32_e32 v101, 1
	s_and_saveexec_b32 s42, s2
	s_cbranch_execz .LBB327_416
; %bb.411:                              ;   in Loop: Header=BB327_12 Depth=1
	v_mov_b32_e32 v0, 0xffff
	v_mov_b32_e32 v101, 0x7f800001
	s_mov_b32 s43, exec_lo
	v_and_b32_sdwa v25, v0, v107 dst_sel:DWORD dst_unused:UNUSED_PAD src0_sel:DWORD src1_sel:BYTE_1
	v_and_b32_e32 v104, 0x7f, v25
	v_cmpx_ne_u32_e32 0x7f, v104
	s_cbranch_execz .LBB327_415
; %bb.412:                              ;   in Loop: Header=BB327_12 Depth=1
	v_and_b32_e32 v25, 7, v25
	v_lshrrev_b32_e32 v101, 3, v104
	s_mov_b32 s44, exec_lo
	v_cmpx_gt_u32_e32 8, v104
; %bb.413:                              ;   in Loop: Header=BB327_12 Depth=1
	v_ffbh_u32_e32 v101, v25
	v_min_u32_e32 v101, 32, v101
	v_subrev_nc_u32_e32 v104, 28, v101
	v_sub_nc_u32_e32 v101, 29, v101
	v_lshlrev_b64 v[104:105], v104, v[25:26]
	v_and_b32_e32 v25, 7, v104
; %bb.414:                              ;   in Loop: Header=BB327_12 Depth=1
	s_or_b32 exec_lo, exec_lo, s44
	v_lshlrev_b32_e32 v104, 16, v107
	v_lshlrev_b32_e32 v25, 20, v25
	v_lshl_add_u32 v101, v101, 23, 0x3c000000
	v_and_b32_e32 v104, 0x80000000, v104
	v_or3_b32 v101, v25, v104, v101
.LBB327_415:                            ;   in Loop: Header=BB327_12 Depth=1
	s_or_b32 exec_lo, exec_lo, s43
.LBB327_416:                            ;   in Loop: Header=BB327_12 Depth=1
	s_or_b32 exec_lo, exec_lo, s42
.LBB327_417:                            ;   in Loop: Header=BB327_12 Depth=1
	s_or_b32 exec_lo, exec_lo, s3
	v_and_b32_sdwa v25, v107, v46 dst_sel:DWORD dst_unused:UNUSED_PAD src0_sel:WORD_1 src1_sel:DWORD
	v_mov_b32_e32 v104, 0
	v_mov_b32_e32 v105, 0
	s_mov_b32 s3, exec_lo
	v_cmpx_ne_u16_e32 0, v25
	s_cbranch_execz .LBB327_425
; %bb.418:                              ;   in Loop: Header=BB327_12 Depth=1
	v_bfrev_b32_e32 v105, 1
	s_mov_b32 s42, exec_lo
	v_cmpx_ne_u16_e32 0x80, v25
	s_cbranch_execz .LBB327_424
; %bb.419:                              ;   in Loop: Header=BB327_12 Depth=1
	v_bfe_u32 v108, v107, 16, 7
	v_mov_b32_e32 v105, 0x7f800001
	s_mov_b32 s43, exec_lo
	v_cmpx_ne_u32_e32 0x7f, v108
	s_cbranch_execz .LBB327_423
; %bb.420:                              ;   in Loop: Header=BB327_12 Depth=1
	v_and_b32_sdwa v25, v107, v47 dst_sel:DWORD dst_unused:UNUSED_PAD src0_sel:WORD_1 src1_sel:DWORD
	v_lshrrev_b32_e32 v105, 3, v108
	s_mov_b32 s44, exec_lo
	v_cmpx_gt_u32_e32 8, v108
; %bb.421:                              ;   in Loop: Header=BB327_12 Depth=1
	v_ffbh_u32_e32 v105, v25
	v_min_u32_e32 v105, 32, v105
	v_subrev_nc_u32_e32 v108, 28, v105
	v_sub_nc_u32_e32 v105, 29, v105
	v_lshlrev_b64 v[108:109], v108, v[25:26]
	v_and_b32_e32 v25, 7, v108
; %bb.422:                              ;   in Loop: Header=BB327_12 Depth=1
	s_or_b32 exec_lo, exec_lo, s44
	v_lshlrev_b32_sdwa v108, v48, v107 dst_sel:DWORD dst_unused:UNUSED_PAD src0_sel:DWORD src1_sel:WORD_1
	v_lshlrev_b32_e32 v25, 20, v25
	v_lshl_add_u32 v105, v105, 23, 0x3c000000
	v_and_b32_e32 v108, 0x80000000, v108
	v_or3_b32 v105, v25, v108, v105
.LBB327_423:                            ;   in Loop: Header=BB327_12 Depth=1
	s_or_b32 exec_lo, exec_lo, s43
.LBB327_424:                            ;   in Loop: Header=BB327_12 Depth=1
	s_or_b32 exec_lo, exec_lo, s42
.LBB327_425:                            ;   in Loop: Header=BB327_12 Depth=1
	s_or_b32 exec_lo, exec_lo, s3
	s_mov_b32 s3, exec_lo
	v_cmpx_lt_u32_e32 0xffffff, v107
	s_cbranch_execz .LBB327_433
; %bb.426:                              ;   in Loop: Header=BB327_12 Depth=1
	v_cmp_ne_u32_sdwa s2, v107, v44 src0_sel:BYTE_3 src1_sel:DWORD
	v_bfrev_b32_e32 v104, 1
	s_and_saveexec_b32 s42, s2
	s_cbranch_execz .LBB327_432
; %bb.427:                              ;   in Loop: Header=BB327_12 Depth=1
	v_bfe_u32 v108, v107, 24, 7
	v_mov_b32_e32 v104, 0x7f800001
	s_mov_b32 s43, exec_lo
	v_cmpx_ne_u32_e32 0x7f, v108
	s_cbranch_execz .LBB327_431
; %bb.428:                              ;   in Loop: Header=BB327_12 Depth=1
	v_and_b32_sdwa v25, v107, v47 dst_sel:DWORD dst_unused:UNUSED_PAD src0_sel:BYTE_3 src1_sel:DWORD
	v_lshrrev_b32_e32 v104, 3, v108
	s_mov_b32 s44, exec_lo
	v_cmpx_gt_u32_e32 8, v108
; %bb.429:                              ;   in Loop: Header=BB327_12 Depth=1
	v_ffbh_u32_e32 v104, v25
	v_min_u32_e32 v104, 32, v104
	v_subrev_nc_u32_e32 v108, 28, v104
	v_sub_nc_u32_e32 v104, 29, v104
	v_lshlrev_b64 v[108:109], v108, v[25:26]
	v_and_b32_e32 v25, 7, v108
; %bb.430:                              ;   in Loop: Header=BB327_12 Depth=1
	s_or_b32 exec_lo, exec_lo, s44
	v_lshlrev_b32_sdwa v107, v48, v107 dst_sel:DWORD dst_unused:UNUSED_PAD src0_sel:DWORD src1_sel:BYTE_3
	v_lshlrev_b32_e32 v25, 20, v25
	v_lshl_add_u32 v104, v104, 23, 0x3c000000
	v_and_b32_e32 v107, 0x80000000, v107
	v_or3_b32 v104, v25, v107, v104
.LBB327_431:                            ;   in Loop: Header=BB327_12 Depth=1
	s_or_b32 exec_lo, exec_lo, s43
.LBB327_432:                            ;   in Loop: Header=BB327_12 Depth=1
	s_or_b32 exec_lo, exec_lo, s42
.LBB327_433:                            ;   in Loop: Header=BB327_12 Depth=1
	s_or_b32 exec_lo, exec_lo, s3
	global_load_dword v111, v[31:32], off offset:1544
	v_mov_b32_e32 v108, 0
	v_mov_b32_e32 v107, 0
	s_waitcnt vmcnt(0)
	v_cmp_ne_u16_sdwa s2, v111, v26 src0_sel:BYTE_0 src1_sel:DWORD
	s_and_saveexec_b32 s3, s2
	s_cbranch_execz .LBB327_441
; %bb.434:                              ;   in Loop: Header=BB327_12 Depth=1
	v_cmp_ne_u16_sdwa s2, v111, v44 src0_sel:BYTE_0 src1_sel:DWORD
	v_bfrev_b32_e32 v107, 1
	s_and_saveexec_b32 s42, s2
	s_cbranch_execz .LBB327_440
; %bb.435:                              ;   in Loop: Header=BB327_12 Depth=1
	v_and_b32_e32 v109, 0x7f, v111
	v_mov_b32_e32 v107, 0x7f800001
	s_mov_b32 s43, exec_lo
	v_cmpx_ne_u32_e32 0x7f, v109
	s_cbranch_execz .LBB327_439
; %bb.436:                              ;   in Loop: Header=BB327_12 Depth=1
	v_and_b32_e32 v25, 7, v111
	v_lshrrev_b32_e32 v107, 3, v109
	s_mov_b32 s44, exec_lo
	v_cmpx_gt_u32_e32 8, v109
; %bb.437:                              ;   in Loop: Header=BB327_12 Depth=1
	v_ffbh_u32_e32 v107, v25
	v_min_u32_e32 v107, 32, v107
	v_subrev_nc_u32_e32 v109, 28, v107
	v_sub_nc_u32_e32 v107, 29, v107
	v_lshlrev_b64 v[109:110], v109, v[25:26]
	v_and_b32_e32 v25, 7, v109
; %bb.438:                              ;   in Loop: Header=BB327_12 Depth=1
	s_or_b32 exec_lo, exec_lo, s44
	v_lshlrev_b32_e32 v109, 24, v111
	v_lshlrev_b32_e32 v25, 20, v25
	v_lshl_add_u32 v107, v107, 23, 0x3c000000
	v_and_b32_e32 v109, 0x80000000, v109
	v_or3_b32 v107, v25, v109, v107
.LBB327_439:                            ;   in Loop: Header=BB327_12 Depth=1
	s_or_b32 exec_lo, exec_lo, s43
.LBB327_440:                            ;   in Loop: Header=BB327_12 Depth=1
	s_or_b32 exec_lo, exec_lo, s42
.LBB327_441:                            ;   in Loop: Header=BB327_12 Depth=1
	s_or_b32 exec_lo, exec_lo, s3
	v_cmp_ne_u16_sdwa s2, v111, v26 src0_sel:BYTE_1 src1_sel:DWORD
	s_and_saveexec_b32 s3, s2
	s_cbranch_execz .LBB327_449
; %bb.442:                              ;   in Loop: Header=BB327_12 Depth=1
	v_cmp_ne_u16_sdwa s2, v111, v44 src0_sel:BYTE_1 src1_sel:DWORD
	v_bfrev_b32_e32 v108, 1
	s_and_saveexec_b32 s42, s2
	s_cbranch_execz .LBB327_448
; %bb.443:                              ;   in Loop: Header=BB327_12 Depth=1
	v_mov_b32_e32 v0, 0xffff
	v_mov_b32_e32 v108, 0x7f800001
	s_mov_b32 s43, exec_lo
	v_and_b32_sdwa v25, v0, v111 dst_sel:DWORD dst_unused:UNUSED_PAD src0_sel:DWORD src1_sel:BYTE_1
	v_and_b32_e32 v109, 0x7f, v25
	v_cmpx_ne_u32_e32 0x7f, v109
	s_cbranch_execz .LBB327_447
; %bb.444:                              ;   in Loop: Header=BB327_12 Depth=1
	v_and_b32_e32 v25, 7, v25
	v_lshrrev_b32_e32 v108, 3, v109
	s_mov_b32 s44, exec_lo
	v_cmpx_gt_u32_e32 8, v109
; %bb.445:                              ;   in Loop: Header=BB327_12 Depth=1
	v_ffbh_u32_e32 v108, v25
	v_min_u32_e32 v108, 32, v108
	v_subrev_nc_u32_e32 v109, 28, v108
	v_sub_nc_u32_e32 v108, 29, v108
	v_lshlrev_b64 v[109:110], v109, v[25:26]
	v_and_b32_e32 v25, 7, v109
; %bb.446:                              ;   in Loop: Header=BB327_12 Depth=1
	s_or_b32 exec_lo, exec_lo, s44
	v_lshlrev_b32_e32 v109, 16, v111
	v_lshlrev_b32_e32 v25, 20, v25
	v_lshl_add_u32 v108, v108, 23, 0x3c000000
	v_and_b32_e32 v109, 0x80000000, v109
	v_or3_b32 v108, v25, v109, v108
.LBB327_447:                            ;   in Loop: Header=BB327_12 Depth=1
	s_or_b32 exec_lo, exec_lo, s43
.LBB327_448:                            ;   in Loop: Header=BB327_12 Depth=1
	s_or_b32 exec_lo, exec_lo, s42
.LBB327_449:                            ;   in Loop: Header=BB327_12 Depth=1
	s_or_b32 exec_lo, exec_lo, s3
	v_and_b32_sdwa v25, v111, v46 dst_sel:DWORD dst_unused:UNUSED_PAD src0_sel:WORD_1 src1_sel:DWORD
	v_mov_b32_e32 v109, 0
	v_mov_b32_e32 v110, 0
	s_mov_b32 s3, exec_lo
	v_cmpx_ne_u16_e32 0, v25
	s_cbranch_execz .LBB327_457
; %bb.450:                              ;   in Loop: Header=BB327_12 Depth=1
	v_bfrev_b32_e32 v110, 1
	s_mov_b32 s42, exec_lo
	v_cmpx_ne_u16_e32 0x80, v25
	s_cbranch_execz .LBB327_456
; %bb.451:                              ;   in Loop: Header=BB327_12 Depth=1
	v_bfe_u32 v112, v111, 16, 7
	v_mov_b32_e32 v110, 0x7f800001
	s_mov_b32 s43, exec_lo
	v_cmpx_ne_u32_e32 0x7f, v112
	s_cbranch_execz .LBB327_455
; %bb.452:                              ;   in Loop: Header=BB327_12 Depth=1
	v_and_b32_sdwa v25, v111, v47 dst_sel:DWORD dst_unused:UNUSED_PAD src0_sel:WORD_1 src1_sel:DWORD
	v_lshrrev_b32_e32 v110, 3, v112
	s_mov_b32 s44, exec_lo
	v_cmpx_gt_u32_e32 8, v112
; %bb.453:                              ;   in Loop: Header=BB327_12 Depth=1
	v_ffbh_u32_e32 v110, v25
	v_min_u32_e32 v110, 32, v110
	v_subrev_nc_u32_e32 v112, 28, v110
	v_sub_nc_u32_e32 v110, 29, v110
	v_lshlrev_b64 v[112:113], v112, v[25:26]
	v_and_b32_e32 v25, 7, v112
; %bb.454:                              ;   in Loop: Header=BB327_12 Depth=1
	s_or_b32 exec_lo, exec_lo, s44
	v_lshlrev_b32_sdwa v112, v48, v111 dst_sel:DWORD dst_unused:UNUSED_PAD src0_sel:DWORD src1_sel:WORD_1
	v_lshlrev_b32_e32 v25, 20, v25
	v_lshl_add_u32 v110, v110, 23, 0x3c000000
	v_and_b32_e32 v112, 0x80000000, v112
	v_or3_b32 v110, v25, v112, v110
.LBB327_455:                            ;   in Loop: Header=BB327_12 Depth=1
	s_or_b32 exec_lo, exec_lo, s43
.LBB327_456:                            ;   in Loop: Header=BB327_12 Depth=1
	s_or_b32 exec_lo, exec_lo, s42
.LBB327_457:                            ;   in Loop: Header=BB327_12 Depth=1
	s_or_b32 exec_lo, exec_lo, s3
	s_mov_b32 s3, exec_lo
	v_cmpx_lt_u32_e32 0xffffff, v111
	s_cbranch_execz .LBB327_465
; %bb.458:                              ;   in Loop: Header=BB327_12 Depth=1
	v_cmp_ne_u32_sdwa s2, v111, v44 src0_sel:BYTE_3 src1_sel:DWORD
	v_bfrev_b32_e32 v109, 1
	s_and_saveexec_b32 s42, s2
	s_cbranch_execz .LBB327_464
; %bb.459:                              ;   in Loop: Header=BB327_12 Depth=1
	v_bfe_u32 v112, v111, 24, 7
	v_mov_b32_e32 v109, 0x7f800001
	s_mov_b32 s43, exec_lo
	v_cmpx_ne_u32_e32 0x7f, v112
	s_cbranch_execz .LBB327_463
; %bb.460:                              ;   in Loop: Header=BB327_12 Depth=1
	v_and_b32_sdwa v25, v111, v47 dst_sel:DWORD dst_unused:UNUSED_PAD src0_sel:BYTE_3 src1_sel:DWORD
	v_lshrrev_b32_e32 v109, 3, v112
	s_mov_b32 s44, exec_lo
	v_cmpx_gt_u32_e32 8, v112
; %bb.461:                              ;   in Loop: Header=BB327_12 Depth=1
	v_ffbh_u32_e32 v109, v25
	v_min_u32_e32 v109, 32, v109
	v_subrev_nc_u32_e32 v112, 28, v109
	v_sub_nc_u32_e32 v109, 29, v109
	v_lshlrev_b64 v[112:113], v112, v[25:26]
	v_and_b32_e32 v25, 7, v112
; %bb.462:                              ;   in Loop: Header=BB327_12 Depth=1
	s_or_b32 exec_lo, exec_lo, s44
	v_lshlrev_b32_sdwa v111, v48, v111 dst_sel:DWORD dst_unused:UNUSED_PAD src0_sel:DWORD src1_sel:BYTE_3
	v_lshlrev_b32_e32 v25, 20, v25
	v_lshl_add_u32 v109, v109, 23, 0x3c000000
	v_and_b32_e32 v111, 0x80000000, v111
	v_or3_b32 v109, v25, v111, v109
.LBB327_463:                            ;   in Loop: Header=BB327_12 Depth=1
	s_or_b32 exec_lo, exec_lo, s43
.LBB327_464:                            ;   in Loop: Header=BB327_12 Depth=1
	s_or_b32 exec_lo, exec_lo, s42
.LBB327_465:                            ;   in Loop: Header=BB327_12 Depth=1
	s_or_b32 exec_lo, exec_lo, s3
	global_load_dword v113, v[31:32], off offset:1792
	v_mov_b32_e32 v112, 0
	v_mov_b32_e32 v32, 0
	s_waitcnt vmcnt(0)
	v_cmp_ne_u16_sdwa s2, v113, v26 src0_sel:BYTE_0 src1_sel:DWORD
	s_and_saveexec_b32 s3, s2
	s_cbranch_execz .LBB327_473
; %bb.466:                              ;   in Loop: Header=BB327_12 Depth=1
	v_cmp_ne_u16_sdwa s2, v113, v44 src0_sel:BYTE_0 src1_sel:DWORD
	v_bfrev_b32_e32 v32, 1
	s_and_saveexec_b32 s42, s2
	s_cbranch_execz .LBB327_472
; %bb.467:                              ;   in Loop: Header=BB327_12 Depth=1
	v_and_b32_e32 v111, 0x7f, v113
	v_mov_b32_e32 v32, 0x7f800001
	s_mov_b32 s43, exec_lo
	v_cmpx_ne_u32_e32 0x7f, v111
	s_cbranch_execz .LBB327_471
; %bb.468:                              ;   in Loop: Header=BB327_12 Depth=1
	v_and_b32_e32 v25, 7, v113
	v_lshrrev_b32_e32 v31, 3, v111
	s_mov_b32 s44, exec_lo
	v_cmpx_gt_u32_e32 8, v111
; %bb.469:                              ;   in Loop: Header=BB327_12 Depth=1
	v_ffbh_u32_e32 v31, v25
	v_min_u32_e32 v31, 32, v31
	v_subrev_nc_u32_e32 v32, 28, v31
	v_sub_nc_u32_e32 v31, 29, v31
	v_lshlrev_b64 v[114:115], v32, v[25:26]
	v_and_b32_e32 v25, 7, v114
; %bb.470:                              ;   in Loop: Header=BB327_12 Depth=1
	s_or_b32 exec_lo, exec_lo, s44
	v_lshlrev_b32_e32 v32, 24, v113
	v_lshlrev_b32_e32 v25, 20, v25
	v_lshl_add_u32 v31, v31, 23, 0x3c000000
	v_and_b32_e32 v32, 0x80000000, v32
	v_or3_b32 v32, v25, v32, v31
.LBB327_471:                            ;   in Loop: Header=BB327_12 Depth=1
	s_or_b32 exec_lo, exec_lo, s43
.LBB327_472:                            ;   in Loop: Header=BB327_12 Depth=1
	s_or_b32 exec_lo, exec_lo, s42
.LBB327_473:                            ;   in Loop: Header=BB327_12 Depth=1
	s_or_b32 exec_lo, exec_lo, s3
	v_cmp_ne_u16_sdwa s2, v113, v26 src0_sel:BYTE_1 src1_sel:DWORD
	s_and_saveexec_b32 s3, s2
	s_cbranch_execz .LBB327_481
; %bb.474:                              ;   in Loop: Header=BB327_12 Depth=1
	v_cmp_ne_u16_sdwa s2, v113, v44 src0_sel:BYTE_1 src1_sel:DWORD
	v_bfrev_b32_e32 v112, 1
	s_and_saveexec_b32 s42, s2
	s_cbranch_execz .LBB327_480
; %bb.475:                              ;   in Loop: Header=BB327_12 Depth=1
	v_mov_b32_e32 v0, 0xffff
	v_mov_b32_e32 v112, 0x7f800001
	s_mov_b32 s43, exec_lo
	v_and_b32_sdwa v25, v0, v113 dst_sel:DWORD dst_unused:UNUSED_PAD src0_sel:DWORD src1_sel:BYTE_1
	v_and_b32_e32 v111, 0x7f, v25
	v_cmpx_ne_u32_e32 0x7f, v111
	s_cbranch_execz .LBB327_479
; %bb.476:                              ;   in Loop: Header=BB327_12 Depth=1
	v_and_b32_e32 v25, 7, v25
	v_lshrrev_b32_e32 v31, 3, v111
	s_mov_b32 s44, exec_lo
	v_cmpx_gt_u32_e32 8, v111
; %bb.477:                              ;   in Loop: Header=BB327_12 Depth=1
	v_ffbh_u32_e32 v31, v25
	v_min_u32_e32 v31, 32, v31
	v_subrev_nc_u32_e32 v111, 28, v31
	v_sub_nc_u32_e32 v31, 29, v31
	v_lshlrev_b64 v[111:112], v111, v[25:26]
	v_and_b32_e32 v25, 7, v111
; %bb.478:                              ;   in Loop: Header=BB327_12 Depth=1
	s_or_b32 exec_lo, exec_lo, s44
	v_lshlrev_b32_e32 v111, 16, v113
	v_lshlrev_b32_e32 v25, 20, v25
	v_lshl_add_u32 v31, v31, 23, 0x3c000000
	v_and_b32_e32 v111, 0x80000000, v111
	v_or3_b32 v112, v25, v111, v31
.LBB327_479:                            ;   in Loop: Header=BB327_12 Depth=1
	s_or_b32 exec_lo, exec_lo, s43
.LBB327_480:                            ;   in Loop: Header=BB327_12 Depth=1
	s_or_b32 exec_lo, exec_lo, s42
.LBB327_481:                            ;   in Loop: Header=BB327_12 Depth=1
	s_or_b32 exec_lo, exec_lo, s3
	v_and_b32_sdwa v25, v113, v46 dst_sel:DWORD dst_unused:UNUSED_PAD src0_sel:WORD_1 src1_sel:DWORD
	v_mov_b32_e32 v31, 0
	v_mov_b32_e32 v111, 0
	s_mov_b32 s3, exec_lo
	v_cmpx_ne_u16_e32 0, v25
	s_cbranch_execz .LBB327_489
; %bb.482:                              ;   in Loop: Header=BB327_12 Depth=1
	v_bfrev_b32_e32 v111, 1
	s_mov_b32 s42, exec_lo
	v_cmpx_ne_u16_e32 0x80, v25
	s_cbranch_execz .LBB327_488
; %bb.483:                              ;   in Loop: Header=BB327_12 Depth=1
	v_bfe_u32 v114, v113, 16, 7
	v_mov_b32_e32 v111, 0x7f800001
	s_mov_b32 s43, exec_lo
	v_cmpx_ne_u32_e32 0x7f, v114
	s_cbranch_execz .LBB327_487
; %bb.484:                              ;   in Loop: Header=BB327_12 Depth=1
	v_and_b32_sdwa v25, v113, v47 dst_sel:DWORD dst_unused:UNUSED_PAD src0_sel:WORD_1 src1_sel:DWORD
	v_lshrrev_b32_e32 v111, 3, v114
	s_mov_b32 s44, exec_lo
	v_cmpx_gt_u32_e32 8, v114
; %bb.485:                              ;   in Loop: Header=BB327_12 Depth=1
	v_ffbh_u32_e32 v111, v25
	v_min_u32_e32 v111, 32, v111
	v_subrev_nc_u32_e32 v114, 28, v111
	v_sub_nc_u32_e32 v111, 29, v111
	v_lshlrev_b64 v[114:115], v114, v[25:26]
	v_and_b32_e32 v25, 7, v114
; %bb.486:                              ;   in Loop: Header=BB327_12 Depth=1
	s_or_b32 exec_lo, exec_lo, s44
	v_lshlrev_b32_sdwa v114, v48, v113 dst_sel:DWORD dst_unused:UNUSED_PAD src0_sel:DWORD src1_sel:WORD_1
	v_lshlrev_b32_e32 v25, 20, v25
	v_lshl_add_u32 v111, v111, 23, 0x3c000000
	v_and_b32_e32 v114, 0x80000000, v114
	v_or3_b32 v111, v25, v114, v111
.LBB327_487:                            ;   in Loop: Header=BB327_12 Depth=1
	s_or_b32 exec_lo, exec_lo, s43
.LBB327_488:                            ;   in Loop: Header=BB327_12 Depth=1
	s_or_b32 exec_lo, exec_lo, s42
.LBB327_489:                            ;   in Loop: Header=BB327_12 Depth=1
	s_or_b32 exec_lo, exec_lo, s3
	s_mov_b32 s3, exec_lo
	v_cmpx_lt_u32_e32 0xffffff, v113
	s_cbranch_execz .LBB327_497
; %bb.490:                              ;   in Loop: Header=BB327_12 Depth=1
	v_cmp_ne_u32_sdwa s2, v113, v44 src0_sel:BYTE_3 src1_sel:DWORD
	v_bfrev_b32_e32 v31, 1
	s_and_saveexec_b32 s42, s2
	s_cbranch_execz .LBB327_496
; %bb.491:                              ;   in Loop: Header=BB327_12 Depth=1
	v_bfe_u32 v114, v113, 24, 7
	v_mov_b32_e32 v31, 0x7f800001
	s_mov_b32 s43, exec_lo
	v_cmpx_ne_u32_e32 0x7f, v114
	s_cbranch_execz .LBB327_495
; %bb.492:                              ;   in Loop: Header=BB327_12 Depth=1
	v_and_b32_sdwa v25, v113, v47 dst_sel:DWORD dst_unused:UNUSED_PAD src0_sel:BYTE_3 src1_sel:DWORD
	v_lshrrev_b32_e32 v31, 3, v114
	s_mov_b32 s44, exec_lo
	v_cmpx_gt_u32_e32 8, v114
; %bb.493:                              ;   in Loop: Header=BB327_12 Depth=1
	v_ffbh_u32_e32 v31, v25
	v_min_u32_e32 v31, 32, v31
	v_subrev_nc_u32_e32 v114, 28, v31
	v_sub_nc_u32_e32 v31, 29, v31
	v_lshlrev_b64 v[114:115], v114, v[25:26]
	v_and_b32_e32 v25, 7, v114
; %bb.494:                              ;   in Loop: Header=BB327_12 Depth=1
	s_or_b32 exec_lo, exec_lo, s44
	v_lshlrev_b32_sdwa v113, v48, v113 dst_sel:DWORD dst_unused:UNUSED_PAD src0_sel:DWORD src1_sel:BYTE_3
	v_lshlrev_b32_e32 v25, 20, v25
	v_lshl_add_u32 v31, v31, 23, 0x3c000000
	v_and_b32_e32 v113, 0x80000000, v113
	v_or3_b32 v31, v25, v113, v31
.LBB327_495:                            ;   in Loop: Header=BB327_12 Depth=1
	s_or_b32 exec_lo, exec_lo, s43
.LBB327_496:                            ;   in Loop: Header=BB327_12 Depth=1
	s_or_b32 exec_lo, exec_lo, s42
.LBB327_497:                            ;   in Loop: Header=BB327_12 Depth=1
	s_or_b32 exec_lo, exec_lo, s3
	s_waitcnt lgkmcnt(0)
	v_lshlrev_b32_e32 v126, 16, v21
	v_lshlrev_b32_e32 v127, 16, v22
	;; [unrolled: 1-line block ×4, first 2 shown]
	v_and_b32_e32 v38, 0xffff0000, v21
	v_and_b32_e32 v35, 0xffff0000, v22
	;; [unrolled: 1-line block ×4, first 2 shown]
	v_lshlrev_b32_e32 v24, 16, v11
	v_lshlrev_b32_e32 v22, 16, v12
	v_and_b32_e32 v23, 0xffff0000, v11
	v_and_b32_e32 v21, 0xffff0000, v12
	v_lshlrev_b32_e32 v12, 16, v1
	v_and_b32_e32 v11, 0xffff0000, v1
	v_mul_f32_e32 v1, s41, v60
	v_lshlrev_b32_e32 v115, 16, v9
	v_lshlrev_b32_e32 v113, 16, v10
	v_and_b32_e32 v114, 0xffff0000, v9
	v_and_b32_e32 v25, 0xffff0000, v10
	v_lshlrev_b32_e32 v10, 16, v2
	v_and_b32_e32 v9, 0xffff0000, v2
	v_bfe_u32 v2, v1, 16, 1
	v_cmp_u_f32_e64 s2, v1, v1
	v_lshlrev_b32_e32 v123, 16, v13
	v_lshlrev_b32_e32 v121, 16, v14
	;; [unrolled: 1-line block ×3, first 2 shown]
	v_add3_u32 v2, v2, v1, 0x7fff
	v_or_b32_e32 v1, 0x400000, v1
	v_lshlrev_b32_e32 v117, 16, v16
	v_and_b32_e32 v122, 0xffff0000, v13
	v_and_b32_e32 v120, 0xffff0000, v14
	;; [unrolled: 1-line block ×3, first 2 shown]
	v_cndmask_b32_e64 v1, v2, v1, s2
	v_mul_f32_e32 v2, s41, v56
	v_and_b32_e32 v116, 0xffff0000, v16
	v_lshlrev_b32_e32 v16, 16, v7
	v_lshlrev_b32_e32 v14, 16, v8
	v_and_b32_e32 v15, 0xffff0000, v7
	v_and_b32_e32 v13, 0xffff0000, v8
	v_lshlrev_b32_e32 v8, 16, v3
	v_and_b32_e32 v7, 0xffff0000, v3
	v_bfe_u32 v3, v2, 16, 1
	v_cmp_u_f32_e64 s2, v2, v2
	v_and_b32_e32 v1, 0xffff0000, v1
	v_lshlrev_b32_e32 v49, 16, v17
	v_lshlrev_b32_e32 v29, 16, v18
	v_add3_u32 v3, v3, v2, 0x7fff
	v_or_b32_e32 v2, 0x400000, v2
	v_mul_f32_e32 v1, v34, v1
	v_lshlrev_b32_e32 v30, 16, v19
	v_lshlrev_b32_e32 v125, 16, v20
	v_and_b32_e32 v39, 0xffff0000, v17
	v_cndmask_b32_e64 v2, v3, v2, s2
	v_and_b32_e32 v0, 0xffff0000, v18
	v_and_b32_e32 v45, 0xffff0000, v19
	;; [unrolled: 1-line block ×3, first 2 shown]
	v_lshlrev_b32_e32 v20, 16, v5
	v_and_b32_e32 v2, 0xffff0000, v2
	v_lshlrev_b32_e32 v18, 16, v6
	v_and_b32_e32 v19, 0xffff0000, v5
	v_and_b32_e32 v17, 0xffff0000, v6
	v_lshlrev_b32_e32 v6, 16, v4
	v_fmac_f32_e32 v1, v126, v2
	v_mul_f32_e32 v2, s41, v59
	v_and_b32_e32 v5, 0xffff0000, v4
	v_bfe_u32 v3, v2, 16, 1
	v_cmp_u_f32_e64 s2, v2, v2
	v_add3_u32 v3, v3, v2, 0x7fff
	v_or_b32_e32 v2, 0x400000, v2
	v_cndmask_b32_e64 v2, v3, v2, s2
	v_mul_f32_e32 v3, s41, v55
	v_and_b32_e32 v2, 0xffff0000, v2
	v_bfe_u32 v4, v3, 16, 1
	v_cmp_u_f32_e64 s2, v3, v3
	v_mul_f32_e32 v2, v33, v2
	v_add3_u32 v4, v4, v3, 0x7fff
	v_or_b32_e32 v3, 0x400000, v3
	v_cndmask_b32_e64 v3, v4, v3, s2
	v_and_b32_e32 v3, 0xffff0000, v3
	v_fmac_f32_e32 v2, v38, v3
	v_mul_f32_e32 v3, s41, v62
	v_bfe_u32 v4, v3, 16, 1
	v_cmp_u_f32_e64 s2, v3, v3
	v_add3_u32 v4, v4, v3, 0x7fff
	v_or_b32_e32 v3, 0x400000, v3
	v_cndmask_b32_e64 v3, v4, v3, s2
	v_mul_f32_e32 v4, s41, v58
	v_and_b32_e32 v3, 0xffff0000, v3
	v_bfe_u32 v33, v4, 16, 1
	v_cmp_u_f32_e64 s2, v4, v4
	v_mul_f32_e32 v3, v37, v3
	v_add3_u32 v33, v33, v4, 0x7fff
	v_or_b32_e32 v4, 0x400000, v4
	v_cndmask_b32_e64 v4, v33, v4, s2
	v_and_b32_e32 v4, 0xffff0000, v4
	v_fmac_f32_e32 v3, v127, v4
	v_mul_f32_e32 v4, s41, v61
	;; [unrolled: 16-line block ×3, first 2 shown]
	v_bfe_u32 v34, v33, 16, 1
	v_cmp_u_f32_e64 s2, v33, v33
	v_add3_u32 v34, v34, v33, 0x7fff
	v_or_b32_e32 v33, 0x400000, v33
	v_cndmask_b32_e64 v33, v34, v33, s2
	v_and_b32_e32 v33, 0xffff0000, v33
	v_fmac_f32_e32 v1, v49, v33
	v_mul_f32_e32 v33, s41, v63
	v_bfe_u32 v34, v33, 16, 1
	v_cmp_u_f32_e64 s2, v33, v33
	v_add3_u32 v34, v34, v33, 0x7fff
	v_or_b32_e32 v33, 0x400000, v33
	v_cndmask_b32_e64 v33, v34, v33, s2
	v_and_b32_e32 v33, 0xffff0000, v33
	v_fmac_f32_e32 v2, v39, v33
	v_mul_f32_e32 v33, s41, v66
	;; [unrolled: 8-line block ×28, first 2 shown]
	v_bfe_u32 v17, v0, 16, 1
	v_cmp_u_f32_e64 s2, v0, v0
	v_add3_u32 v17, v17, v0, 0x7fff
	v_or_b32_e32 v0, 0x400000, v0
	v_cndmask_b32_e64 v0, v17, v0, s2
	v_mul_f32_e32 v17, s41, v104
	v_and_b32_e32 v0, 0xffff0000, v0
	v_fmac_f32_e32 v1, v16, v0
	v_mul_f32_e32 v0, s41, v91
	v_bfe_u32 v16, v0, 16, 1
	v_cmp_u_f32_e64 s2, v0, v0
	v_add3_u32 v16, v16, v0, 0x7fff
	v_or_b32_e32 v0, 0x400000, v0
	v_cndmask_b32_e64 v0, v16, v0, s2
	v_and_b32_e32 v0, 0xffff0000, v0
	v_fmac_f32_e32 v2, v15, v0
	v_mul_f32_e32 v0, s41, v94
	v_bfe_u32 v15, v0, 16, 1
	v_cmp_u_f32_e64 s2, v0, v0
	v_add3_u32 v15, v15, v0, 0x7fff
	v_or_b32_e32 v0, 0x400000, v0
	v_cndmask_b32_e64 v0, v15, v0, s2
	v_lshlrev_b32_e32 v15, 16, v54
	v_and_b32_e32 v0, 0xffff0000, v0
	v_fmac_f32_e32 v3, v14, v0
	v_mul_f32_e32 v0, s41, v93
	v_bfe_u32 v14, v0, 16, 1
	v_cmp_u_f32_e64 s2, v0, v0
	v_add3_u32 v14, v14, v0, 0x7fff
	v_or_b32_e32 v0, 0x400000, v0
	v_cndmask_b32_e64 v0, v14, v0, s2
	v_and_b32_e32 v14, 0xffff0000, v53
	v_and_b32_e32 v0, 0xffff0000, v0
	v_fmac_f32_e32 v4, v13, v0
	v_mul_f32_e32 v0, s41, v96
	v_bfe_u32 v13, v0, 16, 1
	v_cmp_u_f32_e64 s2, v0, v0
	v_add3_u32 v13, v13, v0, 0x7fff
	v_or_b32_e32 v0, 0x400000, v0
	v_cndmask_b32_e64 v0, v13, v0, s2
	v_mul_f32_e32 v13, s41, v107
	v_and_b32_e32 v0, 0xffff0000, v0
	v_fmac_f32_e32 v1, v12, v0
	v_mul_f32_e32 v0, s41, v95
	v_bfe_u32 v12, v0, 16, 1
	v_cmp_u_f32_e64 s2, v0, v0
	v_add3_u32 v12, v12, v0, 0x7fff
	v_or_b32_e32 v0, 0x400000, v0
	v_cndmask_b32_e64 v0, v12, v0, s2
	v_and_b32_e32 v0, 0xffff0000, v0
	v_fmac_f32_e32 v2, v11, v0
	v_mul_f32_e32 v0, s41, v98
	v_bfe_u32 v11, v0, 16, 1
	v_cmp_u_f32_e64 s2, v0, v0
	v_add3_u32 v11, v11, v0, 0x7fff
	v_or_b32_e32 v0, 0x400000, v0
	v_cndmask_b32_e64 v0, v11, v0, s2
	;; [unrolled: 8-line block ×6, first 2 shown]
	v_mul_f32_e32 v7, s41, v32
	v_and_b32_e32 v0, 0xffff0000, v0
	v_or_b32_e32 v8, 0x400000, v7
	v_fmac_f32_e32 v3, v6, v0
	v_mul_f32_e32 v0, s41, v102
	v_bfe_u32 v6, v0, 16, 1
	v_cmp_u_f32_e64 s2, v0, v0
	v_add3_u32 v6, v6, v0, 0x7fff
	v_or_b32_e32 v0, 0x400000, v0
	v_cndmask_b32_e64 v0, v6, v0, s2
	v_mul_f32_e32 v6, s41, v112
	v_and_b32_e32 v0, 0xffff0000, v0
	v_fmac_f32_e32 v4, v5, v0
	v_mul_f32_e32 v0, s41, v106
	v_bfe_u32 v5, v0, 16, 1
	v_cmp_u_f32_e64 s2, v0, v0
	v_add3_u32 v5, v5, v0, 0x7fff
	v_or_b32_e32 v0, 0x400000, v0
	v_cndmask_b32_e64 v0, v5, v0, s2
	v_lshlrev_b32_e32 v5, 16, v53
	v_cmp_u_f32_e64 s2, v6, v6
	v_and_b32_e32 v0, 0xffff0000, v0
	v_fmac_f32_e32 v1, v5, v0
	v_bfe_u32 v0, v6, 16, 1
	v_or_b32_e32 v5, 0x400000, v6
	v_add3_u32 v0, v0, v6, 0x7fff
	v_bfe_u32 v6, v7, 16, 1
	v_cndmask_b32_e64 v5, v0, v5, s2
	v_mul_f32_e32 v0, s41, v110
	v_add3_u32 v6, v6, v7, 0x7fff
	v_cmp_u_f32_e64 s2, v7, v7
	v_mul_f32_e32 v7, s41, v109
	v_and_b32_e32 v5, 0xffff0000, v5
	v_bfe_u32 v9, v0, 16, 1
	v_cndmask_b32_e64 v10, v6, v8, s2
	v_bfe_u32 v6, v7, 16, 1
	v_cmp_u_f32_e64 s2, v0, v0
	v_add3_u32 v8, v9, v0, 0x7fff
	v_or_b32_e32 v0, 0x400000, v0
	v_mul_f32_e32 v9, s41, v101
	v_add3_u32 v6, v6, v7, 0x7fff
	v_cmp_u_f32_e64 s3, v7, v7
	v_or_b32_e32 v7, 0x400000, v7
	v_cndmask_b32_e64 v0, v8, v0, s2
	v_bfe_u32 v8, v9, 16, 1
	v_cmp_u_f32_e64 s2, v9, v9
	v_and_b32_e32 v10, 0xffff0000, v10
	v_cndmask_b32_e64 v11, v6, v7, s3
	v_mul_f32_e32 v6, s41, v105
	v_add3_u32 v7, v8, v9, 0x7fff
	v_or_b32_e32 v8, 0x400000, v9
	v_mul_f32_e32 v9, s41, v108
	v_and_b32_e32 v0, 0xffff0000, v0
	v_bfe_u32 v12, v6, 16, 1
	v_cndmask_b32_e64 v7, v7, v8, s2
	v_cmp_u_f32_e64 s2, v6, v6
	v_bfe_u32 v8, v9, 16, 1
	v_add3_u32 v12, v12, v6, 0x7fff
	v_or_b32_e32 v6, 0x400000, v6
	v_cmp_u_f32_e64 s3, v9, v9
	v_and_b32_e32 v7, 0xffff0000, v7
	v_add3_u32 v8, v8, v9, 0x7fff
	v_or_b32_e32 v9, 0x400000, v9
	v_cndmask_b32_e64 v6, v12, v6, s2
	v_bfe_u32 v12, v13, 16, 1
	v_fmac_f32_e32 v2, v14, v7
	v_or_b32_e32 v14, 0x400000, v13
	v_cndmask_b32_e64 v16, v8, v9, s3
	v_and_b32_e32 v6, 0xffff0000, v6
	v_add3_u32 v12, v12, v13, 0x7fff
	v_cmp_u_f32_e64 s2, v13, v13
	v_bfe_u32 v13, v17, 16, 1
	v_and_b32_e32 v16, 0xffff0000, v16
	v_fmac_f32_e32 v3, v15, v6
	ds_read_b128 v[6:9], v41 offset:102
	v_mul_f32_e32 v15, s41, v111
	v_cndmask_b32_e64 v12, v12, v14, s2
	v_add3_u32 v13, v13, v17, 0x7fff
	v_or_b32_e32 v14, 0x400000, v17
	v_cmp_u_f32_e64 s2, v17, v17
	v_bfe_u32 v17, v15, 16, 1
	v_and_b32_e32 v12, 0xffff0000, v12
	v_cndmask_b32_e64 v13, v13, v14, s2
	v_add3_u32 v14, v17, v15, 0x7fff
	v_or_b32_e32 v17, 0x400000, v15
	v_cmp_u_f32_e64 s2, v15, v15
	v_mul_f32_e32 v15, s41, v31
	v_and_b32_e32 v13, 0xffff0000, v13
	v_cndmask_b32_e64 v14, v14, v17, s2
	v_bfe_u32 v17, v15, 16, 1
	s_waitcnt lgkmcnt(0)
	v_lshlrev_b32_e32 v18, 16, v6
	v_and_b32_e32 v6, 0xffff0000, v6
	v_cmp_u_f32_e64 s2, v15, v15
	v_add3_u32 v17, v17, v15, 0x7fff
	v_fmac_f32_e32 v4, v13, v18
	v_fmac_f32_e32 v1, v12, v6
	ds_read_u16 v6, v41 offset:118
	v_lshlrev_b32_e32 v12, 16, v7
	v_and_b32_e32 v7, 0xffff0000, v7
	v_mbcnt_lo_u32_b32 v18, -1, 0
	v_or_b32_e32 v15, 0x400000, v15
	v_fmac_f32_e32 v2, v16, v12
	v_lshlrev_b32_e32 v12, 16, v8
	v_and_b32_e32 v8, 0xffff0000, v8
	v_fmac_f32_e32 v3, v0, v7
	v_lshlrev_b32_e32 v0, 16, v9
	v_xor_b32_e32 v13, 1, v18
	v_cndmask_b32_e64 v15, v17, v15, s2
	v_and_b32_e32 v7, 0xffff0000, v11
	v_fmac_f32_e32 v1, v10, v8
	v_and_b32_e32 v8, 0xffff0000, v9
	v_and_b32_e32 v9, 0xffff0000, v14
	v_fmac_f32_e32 v2, v5, v0
	v_cmp_gt_i32_e64 s3, 32, v13
	v_fmac_f32_e32 v4, v7, v12
	s_waitcnt lgkmcnt(0)
	v_lshlrev_b32_e32 v0, 16, v6
	v_and_b32_e32 v5, 0xffff0000, v15
	v_fmac_f32_e32 v3, v9, v8
	v_add_f32_e32 v1, v1, v2
	v_cndmask_b32_e64 v2, v18, v13, s3
	v_fmac_f32_e32 v4, v5, v0
	v_add_f32_e32 v0, v1, v3
	v_lshlrev_b32_e32 v2, 2, v2
	v_add_f32_e32 v1, v4, v0
	ds_bpermute_b32 v2, v2, v1
	s_and_saveexec_b32 s3, vcc_lo
	s_cbranch_execz .LBB327_10
; %bb.498:                              ;   in Loop: Header=BB327_12 Depth=1
	buffer_load_dword v0, off, s[48:51], 0 offset:12 ; 4-byte Folded Reload
	s_waitcnt lgkmcnt(0)
	v_add_f32_e32 v1, v1, v2
	v_max_f32_e32 v2, v42, v42
	s_waitcnt vmcnt(0)
	v_add_nc_u32_e32 v0, v0, v43
	v_cvt_f32_i32_e32 v0, v0
	v_mul_f32_e32 v0, s36, v0
	v_cndmask_b32_e64 v0, 0, v0, s1
	v_fmac_f32_e32 v0, s35, v1
	buffer_load_dword v1, off, s[48:51], 0 offset:8 ; 4-byte Folded Reload
	v_max_f32_e32 v2, v2, v0
	s_waitcnt vmcnt(0)
	v_add_nc_u32_e32 v1, v1, v43
	v_cmp_gt_i32_e64 s2, s33, v1
	v_cndmask_b32_e64 v0, 0, v0, s2
	v_cndmask_b32_e64 v42, v42, v2, s2
	ds_write_b32 v50, v0
	s_branch .LBB327_10
.LBB327_499:
	s_or_b32 exec_lo, exec_lo, s38
	s_clause 0x4
	buffer_load_dword v14, off, s[48:51], 0 offset:16
	buffer_load_dword v13, off, s[48:51], 0 offset:20
	;; [unrolled: 1-line block ×5, first 2 shown]
	s_waitcnt vmcnt(4)
	v_lshrrev_b32_e32 v103, 1, v14
.LBB327_500:
	s_or_b32 exec_lo, exec_lo, s37
	v_mbcnt_lo_u32_b32 v0, -1, 0
	v_max_f32_e32 v4, v42, v42
	v_xor_b32_e32 v1, 16, v0
	s_waitcnt lgkmcnt(0)
	v_xor_b32_e32 v2, 8, v0
	v_cmp_gt_i32_e32 vcc_lo, 32, v1
	v_cndmask_b32_e32 v1, v0, v1, vcc_lo
	v_cmp_gt_i32_e32 vcc_lo, 32, v2
	v_lshlrev_b32_e32 v3, 2, v1
	v_cndmask_b32_e32 v2, v0, v2, vcc_lo
	ds_bpermute_b32 v1, v3, v42
	v_lshlrev_b32_e32 v5, 2, v2
	s_waitcnt lgkmcnt(0)
	v_max_f32_e32 v1, v1, v1
	v_max_f32_e32 v1, v4, v1
	v_xor_b32_e32 v4, 4, v0
	ds_bpermute_b32 v2, v5, v1
	v_cmp_gt_i32_e32 vcc_lo, 32, v4
	v_cndmask_b32_e32 v4, v0, v4, vcc_lo
	v_lshlrev_b32_e32 v6, 2, v4
	v_xor_b32_e32 v4, 2, v0
	v_cmp_gt_i32_e32 vcc_lo, 32, v4
	s_waitcnt lgkmcnt(0)
	v_max_f32_e32 v2, v2, v2
	v_cndmask_b32_e32 v7, v0, v4, vcc_lo
	v_max_f32_e32 v1, v1, v2
	ds_bpermute_b32 v2, v6, v1
	s_waitcnt lgkmcnt(0)
	v_max_f32_e32 v2, v2, v2
	v_max_f32_e32 v4, v1, v2
	v_lshlrev_b32_e32 v2, 2, v7
	v_and_b32_e32 v1, 31, v14
	s_waitcnt vmcnt(2)
	v_lshlrev_b32_e32 v7, 2, v52
	ds_bpermute_b32 v8, v2, v4
	v_cmp_eq_u32_e32 vcc_lo, 0, v1
	s_and_saveexec_b32 s1, vcc_lo
	s_cbranch_execz .LBB327_502
; %bb.501:
	s_waitcnt lgkmcnt(0)
	v_max_f32_e32 v0, v8, v8
	v_max_f32_e32 v4, v4, v4
	;; [unrolled: 1-line block ×3, first 2 shown]
	ds_write_b32 v7, v0 offset:240
.LBB327_502:
	s_or_b32 exec_lo, exec_lo, s1
	v_cmp_gt_u32_e64 s1, 4, v1
	v_mov_b32_e32 v4, 0xff7fffff
	s_waitcnt lgkmcnt(0)
	v_lshlrev_b32_e32 v8, 2, v1
	s_waitcnt vmcnt(0)
	s_waitcnt_vscnt null, 0x0
	s_barrier
	buffer_gl0_inv
	s_and_saveexec_b32 s2, s1
; %bb.503:
	ds_read_b32 v4, v8 offset:240
; %bb.504:
	s_or_b32 exec_lo, exec_lo, s2
	s_waitcnt lgkmcnt(0)
	ds_bpermute_b32 v0, v2, v4
	v_mbcnt_lo_u32_b32 v10, -1, 0
	v_max_f32_e32 v4, v4, v4
	v_xor_b32_e32 v9, 1, v10
	v_cmp_gt_i32_e64 s2, 32, v9
	v_cndmask_b32_e64 v9, v10, v9, s2
	s_lshl_b32 s2, s20, 4
	s_min_i32 s4, s2, s33
	s_waitcnt lgkmcnt(0)
	v_max_f32_e32 v0, v0, v0
	v_lshlrev_b32_e32 v22, 2, v9
	v_mov_b32_e32 v9, 0
	v_cmp_gt_i32_e64 s2, s4, v14
	v_max_f32_e32 v0, v4, v0
	ds_bpermute_b32 v4, v22, v0
	s_waitcnt lgkmcnt(0)
	v_max_f32_e32 v4, v4, v4
	v_max_f32_e32 v0, v0, v4
	v_lshl_add_u32 v4, v14, 2, 0x110
	ds_bpermute_b32 v10, v9, v0
	s_and_saveexec_b32 s5, s2
	s_cbranch_execz .LBB327_508
; %bb.505:
	v_lshl_add_u32 v11, v14, 2, 0x110
	v_mov_b32_e32 v9, 0
	v_mov_b32_e32 v12, v14
	s_mov_b32 s12, 0
	.p2align	6
.LBB327_506:                            ; =>This Inner Loop Header: Depth=1
	ds_read_b32 v0, v11
	v_add_nc_u32_e32 v12, 0x80, v12
	v_cmp_le_i32_e64 s3, s4, v12
	s_or_b32 s12, s3, s12
	s_waitcnt lgkmcnt(0)
	v_sub_f32_e32 v0, v0, v10
	v_mul_f32_e32 v0, 0x3fb8aa3b, v0
	v_exp_f32_e32 v0, v0
	ds_write_b32 v11, v0
	v_add_f32_e32 v9, v9, v0
	v_add_nc_u32_e32 v11, 0x200, v11
	s_andn2_b32 exec_lo, exec_lo, s12
	s_cbranch_execnz .LBB327_506
; %bb.507:
	s_or_b32 exec_lo, exec_lo, s12
.LBB327_508:
	s_or_b32 exec_lo, exec_lo, s5
	ds_bpermute_b32 v0, v3, v9
	s_waitcnt lgkmcnt(0)
	v_add_f32_e32 v0, v9, v0
	ds_bpermute_b32 v3, v5, v0
	s_waitcnt lgkmcnt(0)
	v_add_f32_e32 v0, v0, v3
	;; [unrolled: 3-line block ×5, first 2 shown]
	s_and_saveexec_b32 s3, vcc_lo
; %bb.509:
	ds_write_b32 v7, v3 offset:256
; %bb.510:
	s_or_b32 exec_lo, exec_lo, s3
	s_waitcnt lgkmcnt(0)
	s_barrier
	buffer_gl0_inv
	s_and_saveexec_b32 s3, s1
; %bb.511:
	ds_read_b32 v3, v8 offset:256
; %bb.512:
	s_or_b32 exec_lo, exec_lo, s3
	s_waitcnt lgkmcnt(0)
	ds_bpermute_b32 v0, v2, v3
	s_waitcnt lgkmcnt(0)
	v_add_f32_e32 v0, v3, v0
	ds_bpermute_b32 v2, v22, v0
	s_waitcnt lgkmcnt(0)
	v_add_f32_e32 v0, v0, v2
	v_mov_b32_e32 v2, 0
	ds_bpermute_b32 v2, v2, v0
	s_and_saveexec_b32 s1, s2
	s_cbranch_execz .LBB327_515
; %bb.513:
	s_waitcnt lgkmcnt(0)
	v_add_f32_e32 v0, 0x358637bd, v2
	s_mov_b32 s2, 0
	v_div_scale_f32 v2, null, v0, v0, 1.0
	v_div_scale_f32 v6, vcc_lo, 1.0, v0, 1.0
	v_rcp_f32_e32 v3, v2
	v_fma_f32 v5, -v2, v3, 1.0
	v_fmac_f32_e32 v3, v5, v3
	v_mul_f32_e32 v5, v6, v3
	v_fma_f32 v7, -v2, v5, v6
	v_fmac_f32_e32 v5, v7, v3
	v_fma_f32 v2, -v2, v5, v6
	v_div_fmas_f32 v2, v2, v3, v5
	v_mov_b32_e32 v3, v14
	v_div_fixup_f32 v2, v2, v0, 1.0
.LBB327_514:                            ; =>This Inner Loop Header: Depth=1
	ds_read_b32 v0, v4
	v_add_nc_u32_e32 v3, 0x80, v3
	v_cmp_le_i32_e32 vcc_lo, s4, v3
	s_or_b32 s2, vcc_lo, s2
	s_waitcnt lgkmcnt(0)
	v_mul_f32_e32 v0, v2, v0
	ds_write_b32 v4, v0
	v_add_nc_u32_e32 v4, 0x200, v4
	s_andn2_b32 exec_lo, exec_lo, s2
	s_cbranch_execnz .LBB327_514
.LBB327_515:
	s_or_b32 exec_lo, exec_lo, s1
	v_lshrrev_b32_e32 v21, 1, v1
	s_waitcnt lgkmcnt(0)
	s_barrier
	buffer_gl0_inv
	s_and_saveexec_b32 s1, s0
	s_xor_b32 s0, exec_lo, s1
; %bb.516:
	v_lshrrev_b32_e32 v21, 1, v1
                                        ; implicit-def: $vgpr36
                                        ; implicit-def: $vgpr15
                                        ; implicit-def: $vgpr16
; %bb.517:
	s_or_saveexec_b32 s12, s0
	v_mov_b32_e32 v30, 0
	v_mov_b32_e32 v29, 0
	;; [unrolled: 1-line block ×8, first 2 shown]
	s_xor_b32 exec_lo, exec_lo, s12
	s_cbranch_execz .LBB327_1021
; %bb.518:
	s_sub_i32 s13, s34, s21
	s_ashr_i32 s0, s18, 31
	s_add_u32 s2, s30, s18
	s_addc_u32 s3, s31, s0
	s_abs_i32 s18, s22
	v_and_b32_e32 v31, 8, v15
	v_cvt_f32_u32_e32 v0, s18
	s_sub_i32 s0, 0, s18
	v_or_b32_e32 v1, 0x70, v21
	v_lshlrev_b32_e32 v3, 5, v13
	v_and_b32_e32 v2, 0x7c, v16
	v_rcp_iflag_f32_e32 v0, v0
	s_add_i32 s21, s20, -1
	v_cmp_gt_u32_e32 vcc_lo, 0x78, v1
	v_lshl_or_b32 v42, v1, 4, v31
	v_lshl_or_b32 v3, v52, 6, v3
	v_mov_b32_e32 v104, v14
	v_mov_b32_e32 v10, 0
	;; [unrolled: 1-line block ×5, first 2 shown]
	v_mul_f32_e32 v0, 0x4f7ffffe, v0
	v_mov_b32_e32 v38, 0xff
	v_mov_b32_e32 v39, 7
	;; [unrolled: 1-line block ×4, first 2 shown]
	v_cvt_u32_f32_e32 v0, v0
	v_mov_b32_e32 v24, 0
	v_mov_b32_e32 v25, 0
	;; [unrolled: 1-line block ×4, first 2 shown]
	v_mul_lo_u32 v4, s0, v0
	s_lshl_b64 s[0:1], s[28:29], 2
	v_mov_b32_e32 v28, 0
	s_add_u32 s0, s26, s0
	s_addc_u32 s1, s27, s1
	v_add_co_u32 v11, s0, s0, v2
	v_mov_b32_e32 v29, 0
	v_mul_hi_u32 v1, v0, v4
	v_mov_b32_e32 v30, 0
	v_lshl_or_b32 v41, v21, 4, v31
	v_add_co_ci_u32_e64 v12, null, s1, 0, s0
	v_mov_b32_e32 v45, v52
	v_add_nc_u32_e32 v43, 0x110, v3
	v_mov_b32_e32 v106, v52
	v_add_nc_u32_e32 v44, v0, v1
	s_mov_b32 s4, -1
	s_mov_b32 s5, 0xffffff
	s_mov_b32 s22, 0
	s_branch .LBB327_522
.LBB327_519:                            ;   in Loop: Header=BB327_522 Depth=1
	s_or_b32 exec_lo, exec_lo, s1
	v_lshlrev_b32_e32 v0, 16, v8
	v_lshlrev_b32_e32 v33, 16, v97
	v_and_b32_e32 v34, 0xffff0000, v8
	v_lshlrev_b32_e32 v14, 16, v14
	v_lshlrev_b32_e32 v35, 16, v7
	;; [unrolled: 1-line block ×3, first 2 shown]
	v_mul_f32_e32 v0, v0, v33
	v_and_b32_e32 v33, 0xffff0000, v7
	v_lshlrev_b32_e32 v9, 16, v9
	v_mul_f32_e32 v14, v34, v14
	v_mul_f32_e32 v13, v35, v13
	v_bfe_u32 v34, v0, 16, 1
	v_or_b32_e32 v35, 0x400000, v0
	v_mul_f32_e32 v9, v33, v9
	v_bfe_u32 v33, v14, 16, 1
	v_cmp_u_f32_e64 s0, v0, v0
	v_add3_u32 v34, v34, v0, 0x7fff
	v_or_b32_e32 v54, 0x400000, v14
	v_bfe_u32 v97, v13, 16, 1
	v_add3_u32 v33, v33, v14, 0x7fff
	v_lshlrev_b32_e32 v2, 16, v2
	v_cndmask_b32_e64 v0, v34, v35, s0
	v_lshlrev_b32_e32 v34, 16, v6
	v_cmp_u_f32_e64 s0, v14, v14
	v_or_b32_e32 v35, 0x400000, v13
	v_lshlrev_b32_e32 v1, 16, v1
	v_lshlrev_b32_e32 v4, 16, v4
	v_mul_f32_e32 v2, v34, v2
	v_cndmask_b32_e64 v14, v33, v54, s0
	v_add3_u32 v33, v97, v13, 0x7fff
	v_bfe_u32 v54, v9, 16, 1
	v_and_b32_e32 v34, 0xffff0000, v6
	v_cmp_u_f32_e64 s0, v13, v13
	v_and_b32_e32 v97, 0xffff0000, v5
	v_lshlrev_b32_e32 v3, 16, v3
	v_and_b32_e32 v14, 0xffff0000, v14
	v_mul_f32_e32 v1, v34, v1
	v_cndmask_b32_e64 v13, v33, v35, s0
	v_add3_u32 v33, v54, v9, 0x7fff
	v_or_b32_e32 v35, 0x400000, v9
	v_bfe_u32 v54, v2, 16, 1
	v_lshlrev_b32_e32 v34, 16, v5
	v_cmp_u_f32_e64 s0, v9, v9
	v_mul_f32_e32 v3, v97, v3
	v_and_b32_e32 v0, 0xffff0000, v0
	v_and_b32_e32 v13, 0xffff0000, v13
	v_mul_f32_e32 v4, v34, v4
	v_cndmask_b32_e64 v9, v33, v35, s0
	v_bfe_u32 v33, v1, 16, 1
	v_add3_u32 v35, v54, v2, 0x7fff
	v_or_b32_e32 v34, 0x400000, v2
	v_cmp_u_f32_e64 s0, v2, v2
	v_or_b32_e32 v54, 0x400000, v1
	v_add3_u32 v33, v33, v1, 0x7fff
	v_bfe_u32 v98, v3, 16, 1
	v_bfe_u32 v97, v4, 16, 1
	v_cndmask_b32_e64 v2, v35, v34, s0
	v_cmp_u_f32_e64 s0, v1, v1
	v_or_b32_e32 v35, 0x400000, v3
	v_add3_u32 v34, v98, v3, 0x7fff
	v_and_b32_e32 v9, 0xffff0000, v9
	v_add_f32_e32 v0, v0, v14
	v_cndmask_b32_e64 v1, v33, v54, s0
	v_cmp_u_f32_e64 s0, v3, v3
	v_add3_u32 v33, v97, v4, 0x7fff
	v_or_b32_e32 v54, 0x400000, v4
	v_add_f32_e32 v9, v13, v9
	v_and_b32_e32 v1, 0xffff0000, v1
	v_cndmask_b32_e64 v3, v34, v35, s0
	v_cmp_u_f32_e64 s0, v4, v4
	v_and_b32_e32 v2, 0xffff0000, v2
	v_add_f32_e32 v0, v9, v0
	v_cndmask_b32_e64 v4, v33, v54, s0
	v_add_f32_e32 v1, v2, v1
	v_and_b32_e32 v2, 0xffff0000, v3
	v_and_b32_e32 v3, 0xffff0000, v4
	v_add_f32_e32 v0, v1, v0
	v_add_f32_e32 v1, v3, v2
	;; [unrolled: 1-line block ×4, first 2 shown]
.LBB327_520:                            ;   in Loop: Header=BB327_522 Depth=1
	s_or_b32 exec_lo, exec_lo, s28
	v_and_b32_e32 v9, 0xffff0000, v8
	v_lshlrev_b32_e32 v0, 16, v96
	v_lshlrev_b32_e32 v8, 16, v8
	;; [unrolled: 1-line block ×3, first 2 shown]
	v_and_b32_e32 v3, 0xffff0000, v7
	v_lshlrev_b32_e32 v4, 16, v93
	v_mul_f32_e32 v0, v9, v0
	v_lshlrev_b32_e32 v2, 16, v7
	v_mul_f32_e32 v7, v8, v1
	;; [unrolled: 2-line block ×3, first 2 shown]
	v_bfe_u32 v14, v0, 16, 1
	v_or_b32_e32 v34, 0x400000, v0
	v_bfe_u32 v33, v7, 16, 1
	v_cmp_u_f32_e64 s0, v0, v0
	v_and_b32_e32 v1, 0xffff0000, v6
	v_add3_u32 v14, v14, v0, 0x7fff
	v_lshlrev_b32_e32 v16, 16, v16
	v_or_b32_e32 v35, 0x400000, v7
	v_add3_u32 v33, v33, v7, 0x7fff
	v_mul_f32_e32 v13, v2, v13
	v_cndmask_b32_e64 v0, v14, v34, s0
	v_bfe_u32 v14, v4, 16, 1
	v_cmp_u_f32_e64 s0, v7, v7
	v_mul_f32_e32 v16, v1, v16
	v_bfe_u32 v34, v13, 16, 1
	v_lshlrev_b32_e32 v6, 16, v6
	v_add3_u32 v14, v14, v4, 0x7fff
	v_cndmask_b32_e64 v7, v33, v35, s0
	v_or_b32_e32 v33, 0x400000, v4
	v_lshlrev_b32_e32 v15, 16, v15
	v_cmp_u_f32_e64 s0, v4, v4
	v_bfe_u32 v35, v16, 16, 1
	v_and_b32_e32 v4, 0xffff0000, v5
	v_lshlrev_b32_e32 v18, 16, v18
	v_mul_f32_e32 v15, v6, v15
	v_cndmask_b32_e64 v14, v14, v33, s0
	v_add3_u32 v33, v34, v13, 0x7fff
	v_or_b32_e32 v34, 0x400000, v13
	v_cmp_u_f32_e64 s0, v13, v13
	v_add3_u32 v35, v35, v16, 0x7fff
	v_or_b32_e32 v54, 0x400000, v16
	v_bfe_u32 v93, v15, 16, 1
	v_mul_f32_e32 v18, v4, v18
	v_cndmask_b32_e64 v13, v33, v34, s0
	v_cmp_u_f32_e64 s0, v16, v16
	v_or_b32_e32 v34, 0x400000, v15
	v_add3_u32 v33, v93, v15, 0x7fff
	v_lshlrev_b32_e32 v5, 16, v5
	v_lshlrev_b32_e32 v17, 16, v17
	v_cndmask_b32_e64 v16, v35, v54, s0
	v_bfe_u32 v35, v18, 16, 1
	v_cmp_u_f32_e64 s0, v15, v15
	v_and_b32_e32 v7, 0xffff0000, v7
	v_mul_f32_e32 v17, v5, v17
	v_and_b32_e32 v0, 0xffff0000, v0
	v_and_b32_e32 v13, 0xffff0000, v13
	v_cndmask_b32_e64 v15, v33, v34, s0
	v_add3_u32 v33, v35, v18, 0x7fff
	v_or_b32_e32 v34, 0x400000, v18
	v_and_b32_e32 v14, 0xffff0000, v14
	v_cmp_u_f32_e64 s0, v18, v18
	v_add_f32_e32 v0, v7, v0
	v_lshlrev_b32_e32 v20, 16, v20
	v_lshlrev_b32_e32 v19, 16, v19
	v_add_f32_e32 v7, v13, v14
	v_cndmask_b32_e64 v18, v33, v34, s0
	v_bfe_u32 v33, v17, 16, 1
	v_and_b32_e32 v13, 0xffff0000, v15
	v_lshlrev_b32_e32 v14, 16, v92
	v_and_b32_e32 v15, 0xffff0000, v16
	v_add_f32_e32 v0, v7, v0
	v_add3_u32 v16, v33, v17, 0x7fff
	v_or_b32_e32 v33, 0x400000, v17
	v_mul_f32_e32 v7, v9, v14
	v_add_f32_e32 v13, v13, v15
	v_lshlrev_b32_e32 v14, 16, v91
	v_cmp_u_f32_e64 s0, v17, v17
	v_lshlrev_b32_e32 v34, 16, v90
	v_or_b32_e32 v17, 0x400000, v7
	v_add_f32_e32 v0, v13, v0
	v_mul_f32_e32 v13, v8, v14
	v_cndmask_b32_e64 v15, v16, v33, s0
	v_bfe_u32 v16, v7, 16, 1
	v_lshlrev_b32_e32 v14, 16, v88
	v_cmp_u_f32_e64 s0, v7, v7
	v_bfe_u32 v33, v13, 16, 1
	v_mul_f32_e32 v34, v2, v34
	v_add3_u32 v16, v16, v7, 0x7fff
	v_mul_f32_e32 v14, v3, v14
	v_mul_f32_e32 v20, v1, v20
	;; [unrolled: 1-line block ×3, first 2 shown]
	v_lshlrev_b32_e32 v35, 16, v89
	v_cndmask_b32_e64 v7, v16, v17, s0
	v_add3_u32 v16, v33, v13, 0x7fff
	v_or_b32_e32 v17, 0x400000, v13
	v_bfe_u32 v33, v14, 16, 1
	v_cmp_u_f32_e64 s0, v13, v13
	v_lshlrev_b32_e32 v54, 16, v87
	v_or_b32_e32 v87, 0x400000, v19
	v_and_b32_e32 v7, 0xffff0000, v7
	v_and_b32_e32 v15, 0xffff0000, v15
	v_cndmask_b32_e64 v13, v16, v17, s0
	v_add3_u32 v16, v33, v14, 0x7fff
	v_or_b32_e32 v17, 0x400000, v14
	v_bfe_u32 v33, v34, 16, 1
	v_cmp_u_f32_e64 s0, v14, v14
	v_and_b32_e32 v13, 0xffff0000, v13
	v_and_b32_e32 v18, 0xffff0000, v18
	v_lshlrev_b32_e32 v55, 16, v55
	v_lshlrev_b32_e32 v53, 16, v53
	v_cndmask_b32_e64 v14, v16, v17, s0
	v_add3_u32 v16, v33, v34, 0x7fff
	v_or_b32_e32 v17, 0x400000, v34
	v_bfe_u32 v33, v20, 16, 1
	v_cmp_u_f32_e64 s0, v34, v34
	v_mul_f32_e32 v34, v4, v35
	v_mul_f32_e32 v35, v5, v54
	v_or_b32_e32 v54, 0x400000, v20
	v_add3_u32 v33, v33, v20, 0x7fff
	v_cndmask_b32_e64 v16, v16, v17, s0
	v_bfe_u32 v17, v19, 16, 1
	v_cmp_u_f32_e64 s0, v20, v20
	v_bfe_u32 v89, v35, 16, 1
	v_bfe_u32 v88, v34, 16, 1
	v_and_b32_e32 v16, 0xffff0000, v16
	v_add3_u32 v17, v17, v19, 0x7fff
	v_cndmask_b32_e64 v20, v33, v54, s0
	v_cmp_u_f32_e64 s0, v19, v19
	v_add3_u32 v33, v89, v35, 0x7fff
	v_or_b32_e32 v54, 0x400000, v35
	v_add3_u32 v19, v88, v34, 0x7fff
	v_and_b32_e32 v14, 0xffff0000, v14
	v_cndmask_b32_e64 v17, v17, v87, s0
	v_cmp_u_f32_e64 s0, v35, v35
	v_or_b32_e32 v87, 0x400000, v34
	v_add_f32_e32 v7, v13, v7
	v_add_f32_e32 v13, v16, v14
	v_and_b32_e32 v14, 0xffff0000, v17
	v_cndmask_b32_e64 v33, v33, v54, s0
	v_cmp_u_f32_e64 s0, v34, v34
	v_and_b32_e32 v16, 0xffff0000, v20
	v_add_f32_e32 v7, v13, v7
	v_add_f32_e32 v15, v15, v18
	v_lshlrev_b32_e32 v18, 16, v85
	v_cndmask_b32_e64 v17, v19, v87, s0
	v_add_f32_e32 v13, v14, v16
	v_and_b32_e32 v14, 0xffff0000, v33
	v_add_f32_e32 v0, v15, v0
	v_mul_f32_e32 v15, v8, v18
	v_and_b32_e32 v16, 0xffff0000, v17
	v_lshlrev_b32_e32 v17, 16, v86
	v_add_f32_e32 v7, v13, v7
	v_add_f32_e32 v24, v24, v0
	v_bfe_u32 v0, v15, 16, 1
	v_add_f32_e32 v13, v14, v16
	v_mul_f32_e32 v14, v9, v17
	v_lshlrev_b32_e32 v16, 16, v82
	v_lshlrev_b32_e32 v18, 16, v84
	v_add3_u32 v0, v0, v15, 0x7fff
	v_add_f32_e32 v7, v13, v7
	v_bfe_u32 v13, v14, 16, 1
	v_mul_f32_e32 v16, v3, v16
	v_cmp_u_f32_e64 s0, v14, v14
	v_or_b32_e32 v17, 0x400000, v15
	v_add_f32_e32 v25, v25, v7
	v_add3_u32 v7, v13, v14, 0x7fff
	v_or_b32_e32 v13, 0x400000, v14
	v_mul_f32_e32 v14, v2, v18
	v_lshlrev_b32_e32 v18, 16, v80
	v_lshlrev_b32_e32 v20, 16, v83
	v_mul_f32_e32 v55, v6, v55
	v_cndmask_b32_e64 v7, v7, v13, s0
	v_bfe_u32 v13, v16, 16, 1
	v_cmp_u_f32_e64 s0, v15, v15
	v_lshlrev_b32_e32 v15, 16, v79
	v_bfe_u32 v19, v14, 16, 1
	v_and_b32_e32 v7, 0xffff0000, v7
	v_add3_u32 v13, v13, v16, 0x7fff
	v_cndmask_b32_e64 v0, v0, v17, s0
	v_or_b32_e32 v17, 0x400000, v16
	v_mul_f32_e32 v15, v1, v15
	v_cmp_u_f32_e64 s0, v16, v16
	v_mul_f32_e32 v16, v6, v18
	v_or_b32_e32 v18, 0x400000, v14
	v_and_b32_e32 v0, 0xffff0000, v0
	v_cndmask_b32_e64 v13, v13, v17, s0
	v_add3_u32 v17, v19, v14, 0x7fff
	v_bfe_u32 v19, v15, 16, 1
	v_bfe_u32 v33, v16, 16, 1
	v_cmp_u_f32_e64 s0, v14, v14
	v_or_b32_e32 v34, 0x400000, v16
	v_and_b32_e32 v13, 0xffff0000, v13
	v_add_f32_e32 v0, v0, v7
	v_cndmask_b32_e64 v14, v17, v18, s0
	v_add3_u32 v17, v19, v15, 0x7fff
	v_mul_f32_e32 v18, v4, v20
	v_or_b32_e32 v19, 0x400000, v15
	v_add3_u32 v20, v33, v16, 0x7fff
	v_lshlrev_b32_e32 v33, 16, v81
	v_cmp_u_f32_e64 s0, v15, v15
	v_bfe_u32 v35, v18, 16, 1
	v_and_b32_e32 v14, 0xffff0000, v14
	v_cndmask_b32_e64 v15, v17, v19, s0
	v_mul_f32_e32 v17, v5, v33
	v_cmp_u_f32_e64 s0, v16, v16
	v_add3_u32 v19, v35, v18, 0x7fff
	v_add_f32_e32 v7, v14, v13
	v_and_b32_e32 v14, 0xffff0000, v15
	v_bfe_u32 v33, v17, 16, 1
	v_cndmask_b32_e64 v16, v20, v34, s0
	v_or_b32_e32 v20, 0x400000, v18
	v_cmp_u_f32_e64 s0, v18, v18
	v_lshlrev_b32_e32 v15, 16, v78
	v_add_f32_e32 v0, v7, v0
	v_and_b32_e32 v13, 0xffff0000, v16
	v_lshlrev_b32_e32 v16, 16, v77
	v_cndmask_b32_e64 v18, v19, v20, s0
	v_add3_u32 v19, v33, v17, 0x7fff
	v_or_b32_e32 v20, 0x400000, v17
	v_cmp_u_f32_e64 s0, v17, v17
	v_mul_f32_e32 v15, v9, v15
	v_add_f32_e32 v7, v13, v14
	v_mul_f32_e32 v14, v8, v16
	v_and_b32_e32 v16, 0xffff0000, v18
	v_cndmask_b32_e64 v17, v19, v20, s0
	v_lshlrev_b32_e32 v18, 16, v74
	v_add_f32_e32 v7, v7, v0
	v_bfe_u32 v0, v14, 16, 1
	v_lshlrev_b32_e32 v20, 16, v76
	v_and_b32_e32 v13, 0xffff0000, v17
	v_bfe_u32 v17, v15, 16, 1
	v_mul_f32_e32 v18, v3, v18
	v_cmp_u_f32_e64 s0, v15, v15
	v_add3_u32 v0, v0, v14, 0x7fff
	v_add_f32_e32 v13, v13, v16
	v_add3_u32 v16, v17, v15, 0x7fff
	v_or_b32_e32 v17, 0x400000, v15
	v_or_b32_e32 v19, 0x400000, v14
	v_lshlrev_b32_e32 v34, 16, v75
	v_cndmask_b32_e64 v15, v16, v17, s0
	v_bfe_u32 v16, v18, 16, 1
	v_cmp_u_f32_e64 s0, v14, v14
	v_mul_f32_e32 v14, v2, v20
	v_lshlrev_b32_e32 v17, 16, v71
	v_lshlrev_b32_e32 v20, 16, v72
	v_add3_u32 v16, v16, v18, 0x7fff
	v_cndmask_b32_e64 v0, v0, v19, s0
	v_or_b32_e32 v19, 0x400000, v18
	v_bfe_u32 v33, v14, 16, 1
	v_mul_f32_e32 v17, v1, v17
	v_cmp_u_f32_e64 s0, v18, v18
	v_mul_f32_e32 v18, v6, v20
	v_or_b32_e32 v20, 0x400000, v14
	v_and_b32_e32 v0, 0xffff0000, v0
	v_and_b32_e32 v15, 0xffff0000, v15
	v_cndmask_b32_e64 v16, v16, v19, s0
	v_add3_u32 v19, v33, v14, 0x7fff
	v_bfe_u32 v33, v17, 16, 1
	v_bfe_u32 v35, v18, 16, 1
	v_cmp_u_f32_e64 s0, v14, v14
	v_or_b32_e32 v54, 0x400000, v18
	v_and_b32_e32 v16, 0xffff0000, v16
	v_add_f32_e32 v0, v0, v15
	v_cndmask_b32_e64 v14, v19, v20, s0
	v_add3_u32 v19, v33, v17, 0x7fff
	v_mul_f32_e32 v20, v4, v34
	v_or_b32_e32 v33, 0x400000, v17
	v_add3_u32 v34, v35, v18, 0x7fff
	v_lshlrev_b32_e32 v35, 16, v73
	v_cmp_u_f32_e64 s0, v17, v17
	v_bfe_u32 v71, v20, 16, 1
	v_and_b32_e32 v14, 0xffff0000, v14
	v_cndmask_b32_e64 v17, v19, v33, s0
	v_mul_f32_e32 v19, v5, v35
	v_cmp_u_f32_e64 s0, v18, v18
	v_add3_u32 v33, v71, v20, 0x7fff
	v_add_f32_e32 v14, v14, v16
	v_and_b32_e32 v16, 0xffff0000, v17
	v_bfe_u32 v35, v19, 16, 1
	v_cndmask_b32_e64 v18, v34, v54, s0
	v_or_b32_e32 v34, 0x400000, v20
	v_cmp_u_f32_e64 s0, v20, v20
	v_lshlrev_b32_e32 v17, 16, v70
	v_add_f32_e32 v0, v14, v0
	v_and_b32_e32 v15, 0xffff0000, v18
	v_cndmask_b32_e64 v20, v33, v34, s0
	v_add3_u32 v33, v35, v19, 0x7fff
	v_or_b32_e32 v34, 0x400000, v19
	v_cmp_u_f32_e64 s0, v19, v19
	v_lshlrev_b32_e32 v19, 16, v69
	v_add_f32_e32 v14, v15, v16
	v_mul_f32_e32 v16, v9, v17
	v_lshlrev_b32_e32 v35, 16, v68
	v_cndmask_b32_e64 v18, v33, v34, s0
	v_mul_f32_e32 v17, v8, v19
	v_lshlrev_b32_e32 v19, 16, v66
	v_add_f32_e32 v14, v14, v0
	v_cmp_u_f32_e64 s0, v16, v16
	v_and_b32_e32 v15, 0xffff0000, v18
	v_and_b32_e32 v18, 0xffff0000, v20
	v_bfe_u32 v20, v16, 16, 1
	v_bfe_u32 v0, v17, 16, 1
	v_or_b32_e32 v33, 0x400000, v17
	v_add_f32_e32 v15, v15, v18
	v_mul_f32_e32 v18, v3, v19
	v_add3_u32 v19, v20, v16, 0x7fff
	v_or_b32_e32 v20, 0x400000, v16
	v_add3_u32 v0, v0, v17, 0x7fff
	v_bfe_u32 v34, v18, 16, 1
	v_cndmask_b32_e64 v16, v19, v20, s0
	v_cmp_u_f32_e64 s0, v17, v17
	v_mul_f32_e32 v17, v2, v35
	v_add3_u32 v19, v34, v18, 0x7fff
	v_or_b32_e32 v20, 0x400000, v18
	v_lshlrev_b32_e32 v34, 16, v64
	v_cndmask_b32_e64 v0, v0, v33, s0
	v_lshlrev_b32_e32 v33, 16, v63
	v_cmp_u_f32_e64 s0, v18, v18
	v_bfe_u32 v35, v17, 16, 1
	v_and_b32_e32 v16, 0xffff0000, v16
	v_and_b32_e32 v0, 0xffff0000, v0
	v_cndmask_b32_e64 v18, v19, v20, s0
	v_mul_f32_e32 v19, v1, v33
	v_mul_f32_e32 v20, v6, v34
	v_add3_u32 v33, v35, v17, 0x7fff
	v_or_b32_e32 v34, 0x400000, v17
	v_lshlrev_b32_e32 v35, 16, v67
	v_bfe_u32 v54, v19, 16, 1
	v_cmp_u_f32_e64 s0, v17, v17
	v_bfe_u32 v63, v20, 16, 1
	v_and_b32_e32 v18, 0xffff0000, v18
	v_add_f32_e32 v0, v0, v16
	v_cndmask_b32_e64 v17, v33, v34, s0
	v_mul_f32_e32 v33, v4, v35
	v_add3_u32 v34, v54, v19, 0x7fff
	v_or_b32_e32 v35, 0x400000, v19
	v_cmp_u_f32_e64 s0, v19, v19
	v_add3_u32 v54, v63, v20, 0x7fff
	v_or_b32_e32 v63, 0x400000, v20
	v_bfe_u32 v64, v33, 16, 1
	v_and_b32_e32 v17, 0xffff0000, v17
	v_cndmask_b32_e64 v19, v34, v35, s0
	v_lshlrev_b32_e32 v34, 16, v65
	v_cmp_u_f32_e64 s0, v20, v20
	v_add3_u32 v35, v64, v33, 0x7fff
	v_add_f32_e32 v16, v17, v18
	v_lshlrev_b32_e32 v18, 16, v62
	v_mul_f32_e32 v34, v5, v34
	v_cndmask_b32_e64 v20, v54, v63, s0
	v_or_b32_e32 v54, 0x400000, v33
	v_cmp_u_f32_e64 s0, v33, v33
	v_and_b32_e32 v19, 0xffff0000, v19
	v_add_f32_e32 v0, v16, v0
	v_and_b32_e32 v17, 0xffff0000, v20
	v_mul_f32_e32 v16, v9, v18
	v_cndmask_b32_e64 v33, v35, v54, s0
	v_bfe_u32 v35, v34, 16, 1
	v_cmp_u_f32_e64 s0, v34, v34
	v_add_f32_e32 v17, v17, v19
	v_lshlrev_b32_e32 v19, 16, v61
	v_lshlrev_b32_e32 v54, 16, v56
	v_add3_u32 v20, v35, v34, 0x7fff
	v_or_b32_e32 v35, 0x400000, v34
	v_add_f32_e32 v0, v17, v0
	v_lshlrev_b32_e32 v17, 16, v58
	v_mul_f32_e32 v19, v8, v19
	v_or_b32_e32 v34, 0x400000, v16
	v_cndmask_b32_e64 v18, v20, v35, s0
	v_bfe_u32 v20, v16, 16, 1
	v_cmp_u_f32_e64 s0, v16, v16
	v_mul_f32_e32 v17, v3, v17
	v_bfe_u32 v35, v19, 16, 1
	v_or_b32_e32 v56, 0x400000, v19
	v_add3_u32 v20, v20, v16, 0x7fff
	v_mul_f32_e32 v54, v1, v54
	v_or_b32_e32 v58, 0x400000, v17
	v_add3_u32 v35, v35, v19, 0x7fff
	v_mul_f32_e32 v9, v9, v53
	v_cndmask_b32_e64 v16, v20, v34, s0
	v_lshlrev_b32_e32 v34, 16, v60
	v_bfe_u32 v20, v17, 16, 1
	v_cmp_u_f32_e64 s0, v19, v19
	v_and_b32_e32 v18, 0xffff0000, v18
	v_and_b32_e32 v16, 0xffff0000, v16
	v_mul_f32_e32 v34, v2, v34
	v_add3_u32 v20, v20, v17, 0x7fff
	v_cndmask_b32_e64 v19, v35, v56, s0
	v_cmp_u_f32_e64 s0, v17, v17
	v_lshlrev_b32_e32 v56, 16, v59
	v_bfe_u32 v35, v34, 16, 1
	v_or_b32_e32 v59, 0x400000, v54
	v_and_b32_e32 v19, 0xffff0000, v19
	v_cndmask_b32_e64 v17, v20, v58, s0
	v_bfe_u32 v20, v54, 16, 1
	v_add3_u32 v35, v35, v34, 0x7fff
	v_or_b32_e32 v58, 0x400000, v34
	v_cmp_u_f32_e64 s0, v34, v34
	v_mul_f32_e32 v56, v4, v56
	v_add3_u32 v20, v20, v54, 0x7fff
	v_and_b32_e32 v17, 0xffff0000, v17
	v_add_f32_e32 v16, v19, v16
	v_cndmask_b32_e64 v34, v35, v58, s0
	v_bfe_u32 v35, v55, 16, 1
	v_cmp_u_f32_e64 s0, v54, v54
	v_lshlrev_b32_e32 v54, 16, v57
	v_bfe_u32 v58, v56, 16, 1
	v_or_b32_e32 v57, 0x400000, v55
	v_add3_u32 v35, v35, v55, 0x7fff
	v_cndmask_b32_e64 v20, v20, v59, s0
	v_mul_f32_e32 v54, v5, v54
	v_cmp_u_f32_e64 s0, v55, v55
	v_add3_u32 v58, v58, v56, 0x7fff
	v_or_b32_e32 v59, 0x400000, v56
	v_and_b32_e32 v34, 0xffff0000, v34
	v_and_b32_e32 v20, 0xffff0000, v20
	v_cndmask_b32_e64 v35, v35, v57, s0
	v_cmp_u_f32_e64 s0, v56, v56
	v_bfe_u32 v56, v54, 16, 1
	v_or_b32_e32 v57, 0x400000, v54
	v_add_f32_e32 v17, v34, v17
	v_and_b32_e32 v19, 0xffff0000, v35
	v_cndmask_b32_e64 v55, v58, v59, s0
	v_add3_u32 v56, v56, v54, 0x7fff
	v_lshlrev_b32_e32 v34, 16, v52
	v_cmp_u_f32_e64 s0, v54, v54
	v_add_f32_e32 v16, v17, v16
	v_bfe_u32 v17, v9, 16, 1
	v_add_f32_e32 v19, v19, v20
	v_mul_f32_e32 v8, v8, v34
	v_cndmask_b32_e64 v35, v56, v57, s0
	v_lshlrev_b32_e32 v20, 16, v49
	v_add3_u32 v17, v17, v9, 0x7fff
	v_cmp_u_f32_e64 s0, v9, v9
	v_bfe_u32 v49, v8, 16, 1
	v_and_b32_e32 v34, 0xffff0000, v35
	v_or_b32_e32 v35, 0x400000, v9
	v_mul_f32_e32 v3, v3, v20
	v_lshlrev_b32_e32 v20, 16, v51
	v_and_b32_e32 v33, 0xffff0000, v33
	v_cndmask_b32_e64 v9, v17, v35, s0
	v_add3_u32 v17, v49, v8, 0x7fff
	v_or_b32_e32 v35, 0x400000, v8
	v_bfe_u32 v49, v3, 16, 1
	v_mul_f32_e32 v2, v2, v20
	v_lshlrev_b32_e32 v20, 16, v46
	v_cmp_u_f32_e64 s0, v8, v8
	v_and_b32_e32 v9, 0xffff0000, v9
	v_bfe_u32 v46, v2, 16, 1
	v_mul_f32_e32 v1, v1, v20
	v_cndmask_b32_e64 v8, v17, v35, s0
	v_add3_u32 v17, v49, v3, 0x7fff
	v_or_b32_e32 v35, 0x400000, v3
	v_lshlrev_b32_e32 v20, 16, v47
	v_cmp_u_f32_e64 s0, v3, v3
	v_lshlrev_b32_e32 v47, 16, v48
	v_and_b32_e32 v8, 0xffff0000, v8
	v_mul_f32_e32 v6, v6, v20
	v_cndmask_b32_e64 v3, v17, v35, s0
	v_add3_u32 v17, v46, v2, 0x7fff
	v_or_b32_e32 v35, 0x400000, v2
	v_bfe_u32 v46, v1, 16, 1
	v_lshlrev_b32_e32 v20, 16, v50
	v_cmp_u_f32_e64 s0, v2, v2
	v_mul_f32_e32 v5, v5, v47
	v_and_b32_e32 v3, 0xffff0000, v3
	v_add_f32_e32 v8, v8, v9
	v_mul_f32_e32 v4, v4, v20
	v_cndmask_b32_e64 v2, v17, v35, s0
	v_bfe_u32 v17, v6, 16, 1
	v_add3_u32 v35, v46, v1, 0x7fff
	v_or_b32_e32 v20, 0x400000, v1
	v_cmp_u_f32_e64 s0, v1, v1
	v_or_b32_e32 v46, 0x400000, v6
	v_add3_u32 v17, v17, v6, 0x7fff
	v_bfe_u32 v48, v5, 16, 1
	v_bfe_u32 v47, v4, 16, 1
	v_cndmask_b32_e64 v1, v35, v20, s0
	v_cmp_u_f32_e64 s0, v6, v6
	v_or_b32_e32 v35, 0x400000, v5
	v_add3_u32 v20, v48, v5, 0x7fff
	v_and_b32_e32 v2, 0xffff0000, v2
	v_and_b32_e32 v1, 0xffff0000, v1
	v_cndmask_b32_e64 v6, v17, v46, s0
	v_cmp_u_f32_e64 s0, v5, v5
	v_add3_u32 v17, v47, v4, 0x7fff
	v_or_b32_e32 v46, 0x400000, v4
	v_add_f32_e32 v2, v2, v3
	v_and_b32_e32 v3, 0xffff0000, v6
	v_cndmask_b32_e64 v5, v20, v35, s0
	v_cmp_u_f32_e64 s0, v4, v4
	v_and_b32_e32 v6, 0xffff0000, v55
	v_add_f32_e32 v2, v2, v8
	v_add_f32_e32 v1, v3, v1
	v_and_b32_e32 v3, 0xffff0000, v5
	v_cndmask_b32_e64 v4, v17, v46, s0
	v_add_f32_e32 v5, v18, v33
	v_add_f32_e32 v8, v19, v16
	;; [unrolled: 1-line block ×4, first 2 shown]
	v_and_b32_e32 v4, 0xffff0000, v4
	v_add_f32_e32 v0, v5, v0
	v_add_f32_e32 v5, v6, v8
	;; [unrolled: 1-line block ×11, first 2 shown]
.LBB327_521:                            ;   in Loop: Header=BB327_522 Depth=1
	s_or_b32 exec_lo, exec_lo, s26
	v_add_nc_u32_e32 v45, 4, v45
	v_add_co_u32 v11, s1, v11, 16
	v_add_co_ci_u32_e64 v12, null, 0, v12, s1
	v_cmp_le_i32_e64 s0, s20, v45
	v_add_nc_u32_e32 v36, 64, v36
	v_add_nc_u32_e32 v43, 0x100, v43
	s_or_b32 s22, s0, s22
	s_andn2_b32 exec_lo, exec_lo, s22
	s_cbranch_execz .LBB327_1020
.LBB327_522:                            ; =>This Inner Loop Header: Depth=1
	v_mul_hi_u32 v0, v36, s19
	v_mul_lo_u32 v1, v0, s16
	v_add_nc_u32_e32 v2, 1, v0
	v_sub_nc_u32_e32 v1, v36, v1
	v_subrev_nc_u32_e32 v3, s16, v1
	v_cmp_le_u32_e64 s0, s16, v1
	v_cndmask_b32_e64 v0, v0, v2, s0
	v_cndmask_b32_e64 v1, v1, v3, s0
	v_add_nc_u32_e32 v2, 1, v0
	v_cmp_le_u32_e64 s0, s16, v1
	v_cndmask_b32_e64 v0, v0, v2, s0
	v_xor_b32_e32 v0, s23, v0
	v_subrev_nc_u32_e32 v0, s23, v0
	v_add_nc_u32_e32 v1, s25, v0
	v_cmp_lt_i32_e64 s1, s13, v0
	v_sub_nc_u32_e32 v2, 0, v1
	v_max_i32_e32 v2, v1, v2
	v_ashrrev_i32_e32 v1, 31, v1
	v_mul_hi_u32 v3, v2, v44
	v_mul_lo_u32 v3, v3, s18
	v_sub_nc_u32_e32 v2, v2, v3
	v_subrev_nc_u32_e32 v3, s18, v2
	v_cmp_le_u32_e64 s0, s18, v2
	v_cndmask_b32_e64 v2, v2, v3, s0
	v_subrev_nc_u32_e32 v3, s18, v2
	v_cmp_le_u32_e64 s0, s18, v2
	v_cndmask_b32_e64 v2, v2, v3, s0
	v_xor_b32_e32 v2, v2, v1
	v_sub_nc_u32_e32 v1, v2, v1
	v_cmp_eq_u32_e64 s0, 0, v1
	s_or_b32 s0, s0, s1
	s_and_saveexec_b32 s26, s0
	s_cbranch_execz .LBB327_521
; %bb.523:                              ;   in Loop: Header=BB327_522 Depth=1
	global_load_dword v0, v[11:12], off
	v_mov_b32_e32 v47, 0
	v_mov_b32_e32 v48, 0
	s_waitcnt vmcnt(0)
	v_mad_i64_i32 v[13:14], null, v0, s17, s[2:3]
	v_add_co_u32 v15, s0, v13, v41
	v_add_co_ci_u32_e64 v16, null, 0, v14, s0
	global_load_dwordx2 v[17:18], v[15:16], off
	ds_read2_b64 v[5:8], v43 offset1:1
	ds_read2_b64 v[1:4], v43 offset0:2 offset1:3
	s_load_dword s27, s[14:15], 0x0
	s_waitcnt vmcnt(0)
	v_cmp_ne_u16_sdwa s0, v17, v10 src0_sel:BYTE_0 src1_sel:DWORD
	s_and_saveexec_b32 s1, s0
	s_cbranch_execz .LBB327_529
; %bb.524:                              ;   in Loop: Header=BB327_522 Depth=1
	v_cmp_ne_u16_sdwa s0, v17, v32 src0_sel:BYTE_0 src1_sel:DWORD
	v_bfrev_b32_e32 v48, 1
	s_and_saveexec_b32 s28, s0
	s_cbranch_execz .LBB327_528
; %bb.525:                              ;   in Loop: Header=BB327_522 Depth=1
	v_and_b32_e32 v9, 0x7f, v17
	v_mov_b32_e32 v48, 0x7f800001
	s_mov_b32 s29, exec_lo
	v_cmpx_ne_u32_e32 0x7f, v9
	s_cbranch_execz .LBB327_527
; %bb.526:                              ;   in Loop: Header=BB327_522 Depth=1
	v_and_b32_e32 v0, 7, v17
	v_cmp_gt_u32_e64 s0, 8, v9
	v_lshrrev_b32_e32 v19, 3, v9
	v_ffbh_u32_e32 v0, v0
	v_min_u32_e32 v0, 32, v0
	v_subrev_nc_u32_e32 v20, 28, v0
	v_sub_nc_u32_e32 v0, 29, v0
	v_cndmask_b32_e64 v9, 0, v20, s0
	v_cndmask_b32_e64 v0, v19, v0, s0
	v_lshlrev_b64 v[19:20], v9, v[17:18]
	v_lshlrev_b32_e32 v9, 24, v17
	v_lshl_add_u32 v0, v0, 23, 0x3c000000
	v_and_b32_e32 v9, 0x80000000, v9
	v_lshlrev_b32_e32 v19, 20, v19
	v_and_b32_e32 v19, 0x700000, v19
	v_or3_b32 v48, v19, v9, v0
.LBB327_527:                            ;   in Loop: Header=BB327_522 Depth=1
	s_or_b32 exec_lo, exec_lo, s29
.LBB327_528:                            ;   in Loop: Header=BB327_522 Depth=1
	s_or_b32 exec_lo, exec_lo, s28
.LBB327_529:                            ;   in Loop: Header=BB327_522 Depth=1
	s_or_b32 exec_lo, exec_lo, s1
	v_cmp_ne_u16_sdwa s0, v17, v10 src0_sel:BYTE_1 src1_sel:DWORD
	s_and_saveexec_b32 s1, s0
	s_cbranch_execz .LBB327_537
; %bb.530:                              ;   in Loop: Header=BB327_522 Depth=1
	v_cmp_ne_u16_sdwa s0, v17, v32 src0_sel:BYTE_1 src1_sel:DWORD
	v_bfrev_b32_e32 v47, 1
	s_and_saveexec_b32 s28, s0
	s_cbranch_execz .LBB327_536
; %bb.531:                              ;   in Loop: Header=BB327_522 Depth=1
	v_and_b32_sdwa v9, v37, v17 dst_sel:DWORD dst_unused:UNUSED_PAD src0_sel:DWORD src1_sel:BYTE_1
	v_mov_b32_e32 v47, 0x7f800001
	s_mov_b32 s29, exec_lo
	v_and_b32_e32 v20, 0x7f, v9
	v_cmpx_ne_u32_e32 0x7f, v20
	s_cbranch_execz .LBB327_535
; %bb.532:                              ;   in Loop: Header=BB327_522 Depth=1
	v_and_b32_e32 v9, 7, v9
	v_lshrrev_b32_e32 v19, 3, v20
	s_mov_b32 s30, exec_lo
	v_cmpx_gt_u32_e32 8, v20
; %bb.533:                              ;   in Loop: Header=BB327_522 Depth=1
	v_ffbh_u32_e32 v0, v9
	v_min_u32_e32 v0, 32, v0
	v_subrev_nc_u32_e32 v19, 28, v0
	v_lshlrev_b64 v[46:47], v19, v[9:10]
	v_sub_nc_u32_e32 v19, 29, v0
	v_and_b32_e32 v9, 7, v46
; %bb.534:                              ;   in Loop: Header=BB327_522 Depth=1
	s_or_b32 exec_lo, exec_lo, s30
	v_lshlrev_b32_e32 v0, 16, v17
	v_lshlrev_b32_e32 v9, 20, v9
	v_lshl_add_u32 v19, v19, 23, 0x3c000000
	v_and_b32_e32 v0, 0x80000000, v0
	v_or3_b32 v47, v9, v0, v19
.LBB327_535:                            ;   in Loop: Header=BB327_522 Depth=1
	s_or_b32 exec_lo, exec_lo, s29
.LBB327_536:                            ;   in Loop: Header=BB327_522 Depth=1
	s_or_b32 exec_lo, exec_lo, s28
.LBB327_537:                            ;   in Loop: Header=BB327_522 Depth=1
	s_or_b32 exec_lo, exec_lo, s1
	v_and_b32_sdwa v9, v17, v38 dst_sel:DWORD dst_unused:UNUSED_PAD src0_sel:WORD_1 src1_sel:DWORD
	v_mov_b32_e32 v49, 0
	v_mov_b32_e32 v46, 0
	s_mov_b32 s1, exec_lo
	v_cmpx_ne_u16_e32 0, v9
	s_cbranch_execz .LBB327_545
; %bb.538:                              ;   in Loop: Header=BB327_522 Depth=1
	v_bfrev_b32_e32 v46, 1
	s_mov_b32 s28, exec_lo
	v_cmpx_ne_u16_e32 0x80, v9
	s_cbranch_execz .LBB327_544
; %bb.539:                              ;   in Loop: Header=BB327_522 Depth=1
	v_bfe_u32 v20, v17, 16, 7
	v_mov_b32_e32 v46, 0x7f800001
	s_mov_b32 s29, exec_lo
	v_cmpx_ne_u32_e32 0x7f, v20
	s_cbranch_execz .LBB327_543
; %bb.540:                              ;   in Loop: Header=BB327_522 Depth=1
	v_and_b32_sdwa v9, v17, v39 dst_sel:DWORD dst_unused:UNUSED_PAD src0_sel:WORD_1 src1_sel:DWORD
	v_lshrrev_b32_e32 v19, 3, v20
	s_mov_b32 s30, exec_lo
	v_cmpx_gt_u32_e32 8, v20
; %bb.541:                              ;   in Loop: Header=BB327_522 Depth=1
	v_ffbh_u32_e32 v0, v9
	v_min_u32_e32 v0, 32, v0
	v_subrev_nc_u32_e32 v19, 28, v0
	v_lshlrev_b64 v[50:51], v19, v[9:10]
	v_sub_nc_u32_e32 v19, 29, v0
	v_and_b32_e32 v9, 7, v50
; %bb.542:                              ;   in Loop: Header=BB327_522 Depth=1
	s_or_b32 exec_lo, exec_lo, s30
	v_lshlrev_b32_sdwa v0, v40, v17 dst_sel:DWORD dst_unused:UNUSED_PAD src0_sel:DWORD src1_sel:WORD_1
	v_lshlrev_b32_e32 v9, 20, v9
	v_lshl_add_u32 v19, v19, 23, 0x3c000000
	v_and_b32_e32 v0, 0x80000000, v0
	v_or3_b32 v46, v9, v0, v19
.LBB327_543:                            ;   in Loop: Header=BB327_522 Depth=1
	s_or_b32 exec_lo, exec_lo, s29
.LBB327_544:                            ;   in Loop: Header=BB327_522 Depth=1
	s_or_b32 exec_lo, exec_lo, s28
.LBB327_545:                            ;   in Loop: Header=BB327_522 Depth=1
	s_or_b32 exec_lo, exec_lo, s1
	s_mov_b32 s1, exec_lo
	v_cmpx_lt_u32_e32 0xffffff, v17
	s_cbranch_execz .LBB327_553
; %bb.546:                              ;   in Loop: Header=BB327_522 Depth=1
	v_cmp_ne_u32_sdwa s0, v17, v32 src0_sel:BYTE_3 src1_sel:DWORD
	v_bfrev_b32_e32 v49, 1
	s_and_saveexec_b32 s28, s0
	s_cbranch_execz .LBB327_552
; %bb.547:                              ;   in Loop: Header=BB327_522 Depth=1
	v_bfe_u32 v20, v17, 24, 7
	v_mov_b32_e32 v49, 0x7f800001
	s_mov_b32 s29, exec_lo
	v_cmpx_ne_u32_e32 0x7f, v20
	s_cbranch_execz .LBB327_551
; %bb.548:                              ;   in Loop: Header=BB327_522 Depth=1
	v_and_b32_sdwa v9, v17, v39 dst_sel:DWORD dst_unused:UNUSED_PAD src0_sel:BYTE_3 src1_sel:DWORD
	v_lshrrev_b32_e32 v19, 3, v20
	s_mov_b32 s30, exec_lo
	v_cmpx_gt_u32_e32 8, v20
; %bb.549:                              ;   in Loop: Header=BB327_522 Depth=1
	v_ffbh_u32_e32 v0, v9
	v_min_u32_e32 v0, 32, v0
	v_subrev_nc_u32_e32 v19, 28, v0
	v_lshlrev_b64 v[49:50], v19, v[9:10]
	v_sub_nc_u32_e32 v19, 29, v0
	v_and_b32_e32 v9, 7, v49
; %bb.550:                              ;   in Loop: Header=BB327_522 Depth=1
	s_or_b32 exec_lo, exec_lo, s30
	v_lshlrev_b32_sdwa v0, v40, v17 dst_sel:DWORD dst_unused:UNUSED_PAD src0_sel:DWORD src1_sel:BYTE_3
	v_lshlrev_b32_e32 v9, 20, v9
	v_lshl_add_u32 v19, v19, 23, 0x3c000000
	v_and_b32_e32 v0, 0x80000000, v0
	v_or3_b32 v49, v9, v0, v19
.LBB327_551:                            ;   in Loop: Header=BB327_522 Depth=1
	s_or_b32 exec_lo, exec_lo, s29
.LBB327_552:                            ;   in Loop: Header=BB327_522 Depth=1
	s_or_b32 exec_lo, exec_lo, s28
.LBB327_553:                            ;   in Loop: Header=BB327_522 Depth=1
	s_or_b32 exec_lo, exec_lo, s1
	v_mov_b32_e32 v9, v18
	v_cmp_ne_u16_sdwa s0, v18, v10 src0_sel:BYTE_0 src1_sel:DWORD
	v_mov_b32_e32 v19, 0
	v_mov_b32_e32 v50, 0
	s_and_saveexec_b32 s1, s0
	s_cbranch_execz .LBB327_559
; %bb.554:                              ;   in Loop: Header=BB327_522 Depth=1
	v_cmp_ne_u16_sdwa s0, v18, v32 src0_sel:BYTE_0 src1_sel:DWORD
	v_bfrev_b32_e32 v50, 1
	s_and_saveexec_b32 s28, s0
	s_cbranch_execz .LBB327_558
; %bb.555:                              ;   in Loop: Header=BB327_522 Depth=1
	v_and_b32_e32 v20, 0x7f, v18
	v_mov_b32_e32 v50, 0x7f800001
	s_mov_b32 s29, exec_lo
	v_cmpx_ne_u32_e32 0x7f, v20
	s_cbranch_execz .LBB327_557
; %bb.556:                              ;   in Loop: Header=BB327_522 Depth=1
	v_and_b32_e32 v0, 7, v18
	v_cmp_gt_u32_e64 s0, 8, v20
	v_lshrrev_b32_e32 v33, 3, v20
	v_ffbh_u32_e32 v0, v0
	v_min_u32_e32 v0, 32, v0
	v_subrev_nc_u32_e32 v34, 28, v0
	v_sub_nc_u32_e32 v0, 29, v0
	v_cndmask_b32_e64 v20, 0, v34, s0
	v_cndmask_b32_e64 v0, v33, v0, s0
	v_lshlrev_b64 v[50:51], v20, v[9:10]
	v_lshlrev_b32_e32 v20, 24, v9
	v_lshl_add_u32 v0, v0, 23, 0x3c000000
	v_and_b32_e32 v20, 0x80000000, v20
	v_lshlrev_b32_e32 v33, 20, v50
	v_and_b32_e32 v33, 0x700000, v33
	v_or3_b32 v50, v33, v20, v0
.LBB327_557:                            ;   in Loop: Header=BB327_522 Depth=1
	s_or_b32 exec_lo, exec_lo, s29
.LBB327_558:                            ;   in Loop: Header=BB327_522 Depth=1
	s_or_b32 exec_lo, exec_lo, s28
.LBB327_559:                            ;   in Loop: Header=BB327_522 Depth=1
	s_or_b32 exec_lo, exec_lo, s1
	v_cmp_ne_u16_sdwa s0, v9, v10 src0_sel:BYTE_1 src1_sel:DWORD
	s_and_saveexec_b32 s1, s0
	s_cbranch_execz .LBB327_567
; %bb.560:                              ;   in Loop: Header=BB327_522 Depth=1
	v_cmp_ne_u16_sdwa s0, v9, v32 src0_sel:BYTE_1 src1_sel:DWORD
	v_bfrev_b32_e32 v19, 1
	s_and_saveexec_b32 s28, s0
	s_cbranch_execz .LBB327_566
; %bb.561:                              ;   in Loop: Header=BB327_522 Depth=1
	v_and_b32_sdwa v20, v37, v9 dst_sel:DWORD dst_unused:UNUSED_PAD src0_sel:DWORD src1_sel:BYTE_1
	v_mov_b32_e32 v19, 0x7f800001
	s_mov_b32 s29, exec_lo
	v_and_b32_e32 v52, 0x7f, v20
	v_cmpx_ne_u32_e32 0x7f, v52
	s_cbranch_execz .LBB327_565
; %bb.562:                              ;   in Loop: Header=BB327_522 Depth=1
	v_and_b32_e32 v19, 7, v20
	v_mov_b32_e32 v20, v10
	v_lshrrev_b32_e32 v51, 3, v52
	s_mov_b32 s30, exec_lo
	v_cmpx_gt_u32_e32 8, v52
; %bb.563:                              ;   in Loop: Header=BB327_522 Depth=1
	v_ffbh_u32_e32 v0, v19
	v_min_u32_e32 v0, 32, v0
	v_subrev_nc_u32_e32 v33, 28, v0
	v_sub_nc_u32_e32 v51, 29, v0
	v_lshlrev_b64 v[19:20], v33, v[19:20]
	v_and_b32_e32 v19, 7, v19
; %bb.564:                              ;   in Loop: Header=BB327_522 Depth=1
	s_or_b32 exec_lo, exec_lo, s30
	v_lshlrev_b32_e32 v0, 16, v9
	v_lshlrev_b32_e32 v9, 20, v19
	v_lshl_add_u32 v19, v51, 23, 0x3c000000
	v_and_b32_e32 v0, 0x80000000, v0
	v_or3_b32 v19, v9, v0, v19
.LBB327_565:                            ;   in Loop: Header=BB327_522 Depth=1
	s_or_b32 exec_lo, exec_lo, s29
.LBB327_566:                            ;   in Loop: Header=BB327_522 Depth=1
	s_or_b32 exec_lo, exec_lo, s28
.LBB327_567:                            ;   in Loop: Header=BB327_522 Depth=1
	s_or_b32 exec_lo, exec_lo, s1
	v_and_b32_sdwa v9, v18, v38 dst_sel:DWORD dst_unused:UNUSED_PAD src0_sel:WORD_1 src1_sel:DWORD
	v_mov_b32_e32 v20, 0
	v_mov_b32_e32 v51, 0
	s_mov_b32 s1, exec_lo
	v_cmpx_ne_u16_e32 0, v9
	s_cbranch_execz .LBB327_575
; %bb.568:                              ;   in Loop: Header=BB327_522 Depth=1
	v_bfrev_b32_e32 v51, 1
	s_mov_b32 s28, exec_lo
	v_cmpx_ne_u16_e32 0x80, v9
	s_cbranch_execz .LBB327_574
; %bb.569:                              ;   in Loop: Header=BB327_522 Depth=1
	v_bfe_u32 v52, v18, 16, 7
	v_mov_b32_e32 v51, 0x7f800001
	s_mov_b32 s29, exec_lo
	v_cmpx_ne_u32_e32 0x7f, v52
	s_cbranch_execz .LBB327_573
; %bb.570:                              ;   in Loop: Header=BB327_522 Depth=1
	v_and_b32_sdwa v9, v18, v39 dst_sel:DWORD dst_unused:UNUSED_PAD src0_sel:WORD_1 src1_sel:DWORD
	v_lshrrev_b32_e32 v51, 3, v52
	s_mov_b32 s30, exec_lo
	v_cmpx_gt_u32_e32 8, v52
; %bb.571:                              ;   in Loop: Header=BB327_522 Depth=1
	v_ffbh_u32_e32 v0, v9
	v_min_u32_e32 v0, 32, v0
	v_subrev_nc_u32_e32 v33, 28, v0
	v_sub_nc_u32_e32 v51, 29, v0
	v_lshlrev_b64 v[52:53], v33, v[9:10]
	v_and_b32_e32 v9, 7, v52
; %bb.572:                              ;   in Loop: Header=BB327_522 Depth=1
	s_or_b32 exec_lo, exec_lo, s30
	v_lshlrev_b32_sdwa v0, v40, v18 dst_sel:DWORD dst_unused:UNUSED_PAD src0_sel:DWORD src1_sel:WORD_1
	v_lshlrev_b32_e32 v9, 20, v9
	v_lshl_add_u32 v33, v51, 23, 0x3c000000
	v_and_b32_e32 v0, 0x80000000, v0
	v_or3_b32 v51, v9, v0, v33
.LBB327_573:                            ;   in Loop: Header=BB327_522 Depth=1
	s_or_b32 exec_lo, exec_lo, s29
.LBB327_574:                            ;   in Loop: Header=BB327_522 Depth=1
	s_or_b32 exec_lo, exec_lo, s28
.LBB327_575:                            ;   in Loop: Header=BB327_522 Depth=1
	s_or_b32 exec_lo, exec_lo, s1
	s_mov_b32 s1, exec_lo
	v_cmpx_lt_u64_e64 s[4:5], v[17:18]
	s_cbranch_execz .LBB327_583
; %bb.576:                              ;   in Loop: Header=BB327_522 Depth=1
	v_cmp_ne_u32_sdwa s0, v18, v32 src0_sel:BYTE_3 src1_sel:DWORD
	v_bfrev_b32_e32 v20, 1
	s_and_saveexec_b32 s28, s0
	s_cbranch_execz .LBB327_582
; %bb.577:                              ;   in Loop: Header=BB327_522 Depth=1
	v_bfe_u32 v52, v18, 24, 7
	v_mov_b32_e32 v20, 0x7f800001
	s_mov_b32 s29, exec_lo
	v_cmpx_ne_u32_e32 0x7f, v52
	s_cbranch_execz .LBB327_581
; %bb.578:                              ;   in Loop: Header=BB327_522 Depth=1
	v_and_b32_sdwa v9, v18, v39 dst_sel:DWORD dst_unused:UNUSED_PAD src0_sel:BYTE_3 src1_sel:DWORD
	v_lshrrev_b32_e32 v17, 3, v52
	s_mov_b32 s30, exec_lo
	v_cmpx_gt_u32_e32 8, v52
; %bb.579:                              ;   in Loop: Header=BB327_522 Depth=1
	v_ffbh_u32_e32 v0, v9
	v_min_u32_e32 v0, 32, v0
	v_subrev_nc_u32_e32 v17, 28, v0
	v_lshlrev_b64 v[52:53], v17, v[9:10]
	v_sub_nc_u32_e32 v17, 29, v0
	v_and_b32_e32 v9, 7, v52
; %bb.580:                              ;   in Loop: Header=BB327_522 Depth=1
	s_or_b32 exec_lo, exec_lo, s30
	v_lshlrev_b32_sdwa v0, v40, v18 dst_sel:DWORD dst_unused:UNUSED_PAD src0_sel:DWORD src1_sel:BYTE_3
	v_lshlrev_b32_e32 v9, 20, v9
	v_lshl_add_u32 v17, v17, 23, 0x3c000000
	v_and_b32_e32 v0, 0x80000000, v0
	v_or3_b32 v20, v9, v0, v17
.LBB327_581:                            ;   in Loop: Header=BB327_522 Depth=1
	s_or_b32 exec_lo, exec_lo, s29
.LBB327_582:                            ;   in Loop: Header=BB327_522 Depth=1
	s_or_b32 exec_lo, exec_lo, s28
.LBB327_583:                            ;   in Loop: Header=BB327_522 Depth=1
	s_or_b32 exec_lo, exec_lo, s1
	s_waitcnt lgkmcnt(0)
	v_mul_f32_e32 v0, s27, v19
	v_mul_f32_e32 v9, s27, v50
	;; [unrolled: 1-line block ×5, first 2 shown]
	v_bfe_u32 v18, v0, 16, 1
	v_or_b32_e32 v33, 0x400000, v0
	v_bfe_u32 v34, v9, 16, 1
	v_cmp_u_f32_e64 s1, v0, v0
	v_or_b32_e32 v35, 0x400000, v9
	v_add3_u32 v18, v18, v0, 0x7fff
	v_bfe_u32 v46, v17, 16, 1
	v_add3_u32 v34, v34, v9, 0x7fff
	v_or_b32_e32 v49, 0x400000, v17
	v_or_b32_e32 v50, 0x400000, v20
	v_cndmask_b32_e64 v0, v18, v33, s1
	v_cmp_u_f32_e64 s1, v9, v9
	v_bfe_u32 v18, v19, 16, 1
	v_add3_u32 v33, v46, v17, 0x7fff
	v_add_nc_u32_e32 v54, v31, v36
	v_lshrrev_b32_e32 v46, 16, v0
	v_cndmask_b32_e64 v9, v34, v35, s1
	v_cmp_u_f32_e64 s1, v17, v17
	v_mul_f32_e32 v17, s27, v47
	v_add3_u32 v18, v18, v19, 0x7fff
	v_cmp_eq_u32_e64 s0, s21, v45
	v_lshrrev_b32_e32 v47, 16, v9
	v_cndmask_b32_e64 v0, v33, v49, s1
	v_or_b32_e32 v33, 0x400000, v19
	v_cmp_u_f32_e64 s1, v19, v19
	v_mul_f32_e32 v19, s27, v51
	v_lshrrev_b32_e32 v49, 16, v0
	v_bfe_u32 v0, v17, 16, 1
	v_cndmask_b32_e64 v9, v18, v33, s1
	v_mul_f32_e32 v18, s27, v48
	v_or_b32_e32 v33, 0x400000, v17
	v_cmp_u_f32_e64 s1, v17, v17
	v_add3_u32 v0, v0, v17, 0x7fff
	v_bfe_u32 v35, v19, 16, 1
	v_bfe_u32 v34, v18, 16, 1
	;; [unrolled: 1-line block ×3, first 2 shown]
	v_or_b32_e32 v48, 0x400000, v19
	v_cndmask_b32_e64 v0, v0, v33, s1
	v_cmp_u_f32_e64 s1, v18, v18
	v_add3_u32 v33, v34, v18, 0x7fff
	v_or_b32_e32 v34, 0x400000, v18
	v_add3_u32 v35, v35, v19, 0x7fff
	v_add3_u32 v17, v17, v20, 0x7fff
	v_lshrrev_b32_e32 v51, 16, v9
	v_lshrrev_b32_e32 v53, 16, v0
	v_cndmask_b32_e64 v18, v33, v34, s1
	v_cmp_u_f32_e64 s1, v19, v19
	v_lshrrev_b32_e32 v52, 16, v18
	v_cndmask_b32_e64 v19, v35, v48, s1
	v_cmp_u_f32_e64 s1, v20, v20
	v_lshrrev_b32_e32 v48, 16, v19
	v_cndmask_b32_e64 v17, v17, v50, s1
	v_lshrrev_b32_e32 v50, 16, v17
	s_and_saveexec_b32 s28, s0
	s_cbranch_execz .LBB327_585
; %bb.584:                              ;   in Loop: Header=BB327_522 Depth=1
	v_add_nc_u32_e32 v0, 1, v54
	v_cmp_gt_i32_e64 s1, s33, v54
	v_add_nc_u32_e32 v9, 2, v54
	v_add_nc_u32_e32 v17, 3, v54
	v_cndmask_b32_e64 v52, 0, v52, s1
	v_cmp_gt_i32_e64 s1, s33, v0
	v_add_nc_u32_e32 v0, 4, v54
	v_cndmask_b32_e64 v53, 0, v53, s1
	v_cmp_gt_i32_e64 s1, s33, v9
	;; [unrolled: 3-line block ×5, first 2 shown]
	v_cndmask_b32_e64 v46, 0, v46, s1
	v_cmp_gt_i32_e64 s1, s33, v17
	v_cndmask_b32_e64 v48, 0, v48, s1
	v_cmp_gt_i32_e64 s1, s33, v0
	v_cndmask_b32_e64 v50, 0, v50, s1
.LBB327_585:                            ;   in Loop: Header=BB327_522 Depth=1
	s_or_b32 exec_lo, exec_lo, s28
	global_load_dwordx2 v[17:18], v[15:16], off offset:256
	v_mov_b32_e32 v55, 0
	v_mov_b32_e32 v57, 0
	s_waitcnt vmcnt(0)
	v_cmp_ne_u16_sdwa s1, v17, v10 src0_sel:BYTE_0 src1_sel:DWORD
	s_and_saveexec_b32 s28, s1
	s_cbranch_execz .LBB327_591
; %bb.586:                              ;   in Loop: Header=BB327_522 Depth=1
	v_cmp_ne_u16_sdwa s1, v17, v32 src0_sel:BYTE_0 src1_sel:DWORD
	v_bfrev_b32_e32 v57, 1
	s_and_saveexec_b32 s29, s1
	s_cbranch_execz .LBB327_590
; %bb.587:                              ;   in Loop: Header=BB327_522 Depth=1
	v_and_b32_e32 v9, 0x7f, v17
	v_mov_b32_e32 v57, 0x7f800001
	s_mov_b32 s30, exec_lo
	v_cmpx_ne_u32_e32 0x7f, v9
	s_cbranch_execz .LBB327_589
; %bb.588:                              ;   in Loop: Header=BB327_522 Depth=1
	v_and_b32_e32 v0, 7, v17
	v_cmp_gt_u32_e64 s1, 8, v9
	v_lshrrev_b32_e32 v19, 3, v9
	v_ffbh_u32_e32 v0, v0
	v_min_u32_e32 v0, 32, v0
	v_subrev_nc_u32_e32 v20, 28, v0
	v_sub_nc_u32_e32 v0, 29, v0
	v_cndmask_b32_e64 v9, 0, v20, s1
	v_cndmask_b32_e64 v0, v19, v0, s1
	v_lshlrev_b64 v[19:20], v9, v[17:18]
	v_lshlrev_b32_e32 v9, 24, v17
	v_lshl_add_u32 v0, v0, 23, 0x3c000000
	v_and_b32_e32 v9, 0x80000000, v9
	v_lshlrev_b32_e32 v19, 20, v19
	v_and_b32_e32 v19, 0x700000, v19
	v_or3_b32 v57, v19, v9, v0
.LBB327_589:                            ;   in Loop: Header=BB327_522 Depth=1
	s_or_b32 exec_lo, exec_lo, s30
.LBB327_590:                            ;   in Loop: Header=BB327_522 Depth=1
	s_or_b32 exec_lo, exec_lo, s29
.LBB327_591:                            ;   in Loop: Header=BB327_522 Depth=1
	s_or_b32 exec_lo, exec_lo, s28
	v_cmp_ne_u16_sdwa s1, v17, v10 src0_sel:BYTE_1 src1_sel:DWORD
	s_and_saveexec_b32 s28, s1
	s_cbranch_execz .LBB327_599
; %bb.592:                              ;   in Loop: Header=BB327_522 Depth=1
	v_cmp_ne_u16_sdwa s1, v17, v32 src0_sel:BYTE_1 src1_sel:DWORD
	v_bfrev_b32_e32 v55, 1
	s_and_saveexec_b32 s29, s1
	s_cbranch_execz .LBB327_598
; %bb.593:                              ;   in Loop: Header=BB327_522 Depth=1
	v_and_b32_sdwa v9, v37, v17 dst_sel:DWORD dst_unused:UNUSED_PAD src0_sel:DWORD src1_sel:BYTE_1
	v_mov_b32_e32 v55, 0x7f800001
	s_mov_b32 s30, exec_lo
	v_and_b32_e32 v20, 0x7f, v9
	v_cmpx_ne_u32_e32 0x7f, v20
	s_cbranch_execz .LBB327_597
; %bb.594:                              ;   in Loop: Header=BB327_522 Depth=1
	v_and_b32_e32 v9, 7, v9
	v_lshrrev_b32_e32 v19, 3, v20
	s_mov_b32 s31, exec_lo
	v_cmpx_gt_u32_e32 8, v20
; %bb.595:                              ;   in Loop: Header=BB327_522 Depth=1
	v_ffbh_u32_e32 v0, v9
	v_min_u32_e32 v0, 32, v0
	v_subrev_nc_u32_e32 v19, 28, v0
	v_lshlrev_b64 v[55:56], v19, v[9:10]
	v_sub_nc_u32_e32 v19, 29, v0
	v_and_b32_e32 v9, 7, v55
; %bb.596:                              ;   in Loop: Header=BB327_522 Depth=1
	s_or_b32 exec_lo, exec_lo, s31
	v_lshlrev_b32_e32 v0, 16, v17
	v_lshlrev_b32_e32 v9, 20, v9
	v_lshl_add_u32 v19, v19, 23, 0x3c000000
	v_and_b32_e32 v0, 0x80000000, v0
	v_or3_b32 v55, v9, v0, v19
.LBB327_597:                            ;   in Loop: Header=BB327_522 Depth=1
	s_or_b32 exec_lo, exec_lo, s30
.LBB327_598:                            ;   in Loop: Header=BB327_522 Depth=1
	s_or_b32 exec_lo, exec_lo, s29
.LBB327_599:                            ;   in Loop: Header=BB327_522 Depth=1
	s_or_b32 exec_lo, exec_lo, s28
	v_and_b32_sdwa v9, v17, v38 dst_sel:DWORD dst_unused:UNUSED_PAD src0_sel:WORD_1 src1_sel:DWORD
	v_mov_b32_e32 v58, 0
	v_mov_b32_e32 v56, 0
	s_mov_b32 s28, exec_lo
	v_cmpx_ne_u16_e32 0, v9
	s_cbranch_execz .LBB327_607
; %bb.600:                              ;   in Loop: Header=BB327_522 Depth=1
	v_bfrev_b32_e32 v56, 1
	s_mov_b32 s29, exec_lo
	v_cmpx_ne_u16_e32 0x80, v9
	s_cbranch_execz .LBB327_606
; %bb.601:                              ;   in Loop: Header=BB327_522 Depth=1
	v_bfe_u32 v20, v17, 16, 7
	v_mov_b32_e32 v56, 0x7f800001
	s_mov_b32 s30, exec_lo
	v_cmpx_ne_u32_e32 0x7f, v20
	s_cbranch_execz .LBB327_605
; %bb.602:                              ;   in Loop: Header=BB327_522 Depth=1
	v_and_b32_sdwa v9, v17, v39 dst_sel:DWORD dst_unused:UNUSED_PAD src0_sel:WORD_1 src1_sel:DWORD
	v_lshrrev_b32_e32 v19, 3, v20
	s_mov_b32 s31, exec_lo
	v_cmpx_gt_u32_e32 8, v20
; %bb.603:                              ;   in Loop: Header=BB327_522 Depth=1
	v_ffbh_u32_e32 v0, v9
	v_min_u32_e32 v0, 32, v0
	v_subrev_nc_u32_e32 v19, 28, v0
	v_lshlrev_b64 v[59:60], v19, v[9:10]
	v_sub_nc_u32_e32 v19, 29, v0
	v_and_b32_e32 v9, 7, v59
; %bb.604:                              ;   in Loop: Header=BB327_522 Depth=1
	s_or_b32 exec_lo, exec_lo, s31
	v_lshlrev_b32_sdwa v0, v40, v17 dst_sel:DWORD dst_unused:UNUSED_PAD src0_sel:DWORD src1_sel:WORD_1
	v_lshlrev_b32_e32 v9, 20, v9
	v_lshl_add_u32 v19, v19, 23, 0x3c000000
	v_and_b32_e32 v0, 0x80000000, v0
	v_or3_b32 v56, v9, v0, v19
.LBB327_605:                            ;   in Loop: Header=BB327_522 Depth=1
	s_or_b32 exec_lo, exec_lo, s30
.LBB327_606:                            ;   in Loop: Header=BB327_522 Depth=1
	s_or_b32 exec_lo, exec_lo, s29
.LBB327_607:                            ;   in Loop: Header=BB327_522 Depth=1
	s_or_b32 exec_lo, exec_lo, s28
	s_mov_b32 s28, exec_lo
	v_cmpx_lt_u32_e32 0xffffff, v17
	s_cbranch_execz .LBB327_615
; %bb.608:                              ;   in Loop: Header=BB327_522 Depth=1
	v_cmp_ne_u32_sdwa s1, v17, v32 src0_sel:BYTE_3 src1_sel:DWORD
	v_bfrev_b32_e32 v58, 1
	s_and_saveexec_b32 s29, s1
	s_cbranch_execz .LBB327_614
; %bb.609:                              ;   in Loop: Header=BB327_522 Depth=1
	v_bfe_u32 v20, v17, 24, 7
	v_mov_b32_e32 v58, 0x7f800001
	s_mov_b32 s30, exec_lo
	v_cmpx_ne_u32_e32 0x7f, v20
	s_cbranch_execz .LBB327_613
; %bb.610:                              ;   in Loop: Header=BB327_522 Depth=1
	v_and_b32_sdwa v9, v17, v39 dst_sel:DWORD dst_unused:UNUSED_PAD src0_sel:BYTE_3 src1_sel:DWORD
	v_lshrrev_b32_e32 v19, 3, v20
	s_mov_b32 s31, exec_lo
	v_cmpx_gt_u32_e32 8, v20
; %bb.611:                              ;   in Loop: Header=BB327_522 Depth=1
	v_ffbh_u32_e32 v0, v9
	v_min_u32_e32 v0, 32, v0
	v_subrev_nc_u32_e32 v19, 28, v0
	v_lshlrev_b64 v[58:59], v19, v[9:10]
	v_sub_nc_u32_e32 v19, 29, v0
	v_and_b32_e32 v9, 7, v58
; %bb.612:                              ;   in Loop: Header=BB327_522 Depth=1
	s_or_b32 exec_lo, exec_lo, s31
	v_lshlrev_b32_sdwa v0, v40, v17 dst_sel:DWORD dst_unused:UNUSED_PAD src0_sel:DWORD src1_sel:BYTE_3
	v_lshlrev_b32_e32 v9, 20, v9
	v_lshl_add_u32 v19, v19, 23, 0x3c000000
	v_and_b32_e32 v0, 0x80000000, v0
	v_or3_b32 v58, v9, v0, v19
.LBB327_613:                            ;   in Loop: Header=BB327_522 Depth=1
	s_or_b32 exec_lo, exec_lo, s30
.LBB327_614:                            ;   in Loop: Header=BB327_522 Depth=1
	s_or_b32 exec_lo, exec_lo, s29
.LBB327_615:                            ;   in Loop: Header=BB327_522 Depth=1
	s_or_b32 exec_lo, exec_lo, s28
	v_mov_b32_e32 v9, v18
	v_cmp_ne_u16_sdwa s1, v18, v10 src0_sel:BYTE_0 src1_sel:DWORD
	v_mov_b32_e32 v19, 0
	v_mov_b32_e32 v59, 0
	s_and_saveexec_b32 s28, s1
	s_cbranch_execz .LBB327_621
; %bb.616:                              ;   in Loop: Header=BB327_522 Depth=1
	v_cmp_ne_u16_sdwa s1, v18, v32 src0_sel:BYTE_0 src1_sel:DWORD
	v_bfrev_b32_e32 v59, 1
	s_and_saveexec_b32 s29, s1
	s_cbranch_execz .LBB327_620
; %bb.617:                              ;   in Loop: Header=BB327_522 Depth=1
	v_and_b32_e32 v20, 0x7f, v18
	v_mov_b32_e32 v59, 0x7f800001
	s_mov_b32 s30, exec_lo
	v_cmpx_ne_u32_e32 0x7f, v20
	s_cbranch_execz .LBB327_619
; %bb.618:                              ;   in Loop: Header=BB327_522 Depth=1
	v_and_b32_e32 v0, 7, v18
	v_cmp_gt_u32_e64 s1, 8, v20
	v_lshrrev_b32_e32 v33, 3, v20
	v_ffbh_u32_e32 v0, v0
	v_min_u32_e32 v0, 32, v0
	v_subrev_nc_u32_e32 v34, 28, v0
	v_sub_nc_u32_e32 v0, 29, v0
	v_cndmask_b32_e64 v20, 0, v34, s1
	v_cndmask_b32_e64 v0, v33, v0, s1
	v_lshlrev_b64 v[59:60], v20, v[9:10]
	v_lshlrev_b32_e32 v20, 24, v9
	v_lshl_add_u32 v0, v0, 23, 0x3c000000
	v_and_b32_e32 v20, 0x80000000, v20
	v_lshlrev_b32_e32 v33, 20, v59
	v_and_b32_e32 v33, 0x700000, v33
	v_or3_b32 v59, v33, v20, v0
.LBB327_619:                            ;   in Loop: Header=BB327_522 Depth=1
	s_or_b32 exec_lo, exec_lo, s30
.LBB327_620:                            ;   in Loop: Header=BB327_522 Depth=1
	s_or_b32 exec_lo, exec_lo, s29
.LBB327_621:                            ;   in Loop: Header=BB327_522 Depth=1
	s_or_b32 exec_lo, exec_lo, s28
	v_cmp_ne_u16_sdwa s1, v9, v10 src0_sel:BYTE_1 src1_sel:DWORD
	s_and_saveexec_b32 s28, s1
	s_cbranch_execz .LBB327_629
; %bb.622:                              ;   in Loop: Header=BB327_522 Depth=1
	v_cmp_ne_u16_sdwa s1, v9, v32 src0_sel:BYTE_1 src1_sel:DWORD
	v_bfrev_b32_e32 v19, 1
	s_and_saveexec_b32 s29, s1
	s_cbranch_execz .LBB327_628
; %bb.623:                              ;   in Loop: Header=BB327_522 Depth=1
	v_and_b32_sdwa v20, v37, v9 dst_sel:DWORD dst_unused:UNUSED_PAD src0_sel:DWORD src1_sel:BYTE_1
	v_mov_b32_e32 v19, 0x7f800001
	s_mov_b32 s30, exec_lo
	v_and_b32_e32 v61, 0x7f, v20
	v_cmpx_ne_u32_e32 0x7f, v61
	s_cbranch_execz .LBB327_627
; %bb.624:                              ;   in Loop: Header=BB327_522 Depth=1
	v_and_b32_e32 v19, 7, v20
	v_mov_b32_e32 v20, v10
	v_lshrrev_b32_e32 v60, 3, v61
	s_mov_b32 s31, exec_lo
	v_cmpx_gt_u32_e32 8, v61
; %bb.625:                              ;   in Loop: Header=BB327_522 Depth=1
	v_ffbh_u32_e32 v0, v19
	v_min_u32_e32 v0, 32, v0
	v_subrev_nc_u32_e32 v33, 28, v0
	v_sub_nc_u32_e32 v60, 29, v0
	v_lshlrev_b64 v[19:20], v33, v[19:20]
	v_and_b32_e32 v19, 7, v19
; %bb.626:                              ;   in Loop: Header=BB327_522 Depth=1
	s_or_b32 exec_lo, exec_lo, s31
	v_lshlrev_b32_e32 v0, 16, v9
	v_lshlrev_b32_e32 v9, 20, v19
	v_lshl_add_u32 v19, v60, 23, 0x3c000000
	v_and_b32_e32 v0, 0x80000000, v0
	v_or3_b32 v19, v9, v0, v19
.LBB327_627:                            ;   in Loop: Header=BB327_522 Depth=1
	s_or_b32 exec_lo, exec_lo, s30
.LBB327_628:                            ;   in Loop: Header=BB327_522 Depth=1
	s_or_b32 exec_lo, exec_lo, s29
.LBB327_629:                            ;   in Loop: Header=BB327_522 Depth=1
	s_or_b32 exec_lo, exec_lo, s28
	v_and_b32_sdwa v9, v18, v38 dst_sel:DWORD dst_unused:UNUSED_PAD src0_sel:WORD_1 src1_sel:DWORD
	v_mov_b32_e32 v20, 0
	v_mov_b32_e32 v60, 0
	s_mov_b32 s28, exec_lo
	v_cmpx_ne_u16_e32 0, v9
	s_cbranch_execz .LBB327_637
; %bb.630:                              ;   in Loop: Header=BB327_522 Depth=1
	v_bfrev_b32_e32 v60, 1
	s_mov_b32 s29, exec_lo
	v_cmpx_ne_u16_e32 0x80, v9
	s_cbranch_execz .LBB327_636
; %bb.631:                              ;   in Loop: Header=BB327_522 Depth=1
	v_bfe_u32 v61, v18, 16, 7
	v_mov_b32_e32 v60, 0x7f800001
	s_mov_b32 s30, exec_lo
	v_cmpx_ne_u32_e32 0x7f, v61
	s_cbranch_execz .LBB327_635
; %bb.632:                              ;   in Loop: Header=BB327_522 Depth=1
	v_and_b32_sdwa v9, v18, v39 dst_sel:DWORD dst_unused:UNUSED_PAD src0_sel:WORD_1 src1_sel:DWORD
	v_lshrrev_b32_e32 v60, 3, v61
	s_mov_b32 s31, exec_lo
	v_cmpx_gt_u32_e32 8, v61
; %bb.633:                              ;   in Loop: Header=BB327_522 Depth=1
	v_ffbh_u32_e32 v0, v9
	v_min_u32_e32 v0, 32, v0
	v_subrev_nc_u32_e32 v33, 28, v0
	v_sub_nc_u32_e32 v60, 29, v0
	v_lshlrev_b64 v[61:62], v33, v[9:10]
	v_and_b32_e32 v9, 7, v61
; %bb.634:                              ;   in Loop: Header=BB327_522 Depth=1
	s_or_b32 exec_lo, exec_lo, s31
	v_lshlrev_b32_sdwa v0, v40, v18 dst_sel:DWORD dst_unused:UNUSED_PAD src0_sel:DWORD src1_sel:WORD_1
	v_lshlrev_b32_e32 v9, 20, v9
	v_lshl_add_u32 v33, v60, 23, 0x3c000000
	v_and_b32_e32 v0, 0x80000000, v0
	v_or3_b32 v60, v9, v0, v33
.LBB327_635:                            ;   in Loop: Header=BB327_522 Depth=1
	s_or_b32 exec_lo, exec_lo, s30
.LBB327_636:                            ;   in Loop: Header=BB327_522 Depth=1
	s_or_b32 exec_lo, exec_lo, s29
.LBB327_637:                            ;   in Loop: Header=BB327_522 Depth=1
	s_or_b32 exec_lo, exec_lo, s28
	s_mov_b32 s28, exec_lo
	v_cmpx_lt_u64_e64 s[4:5], v[17:18]
	s_cbranch_execz .LBB327_645
; %bb.638:                              ;   in Loop: Header=BB327_522 Depth=1
	v_cmp_ne_u32_sdwa s1, v18, v32 src0_sel:BYTE_3 src1_sel:DWORD
	v_bfrev_b32_e32 v20, 1
	s_and_saveexec_b32 s29, s1
	s_cbranch_execz .LBB327_644
; %bb.639:                              ;   in Loop: Header=BB327_522 Depth=1
	v_bfe_u32 v61, v18, 24, 7
	v_mov_b32_e32 v20, 0x7f800001
	s_mov_b32 s30, exec_lo
	v_cmpx_ne_u32_e32 0x7f, v61
	s_cbranch_execz .LBB327_643
; %bb.640:                              ;   in Loop: Header=BB327_522 Depth=1
	v_and_b32_sdwa v9, v18, v39 dst_sel:DWORD dst_unused:UNUSED_PAD src0_sel:BYTE_3 src1_sel:DWORD
	v_lshrrev_b32_e32 v17, 3, v61
	s_mov_b32 s31, exec_lo
	v_cmpx_gt_u32_e32 8, v61
; %bb.641:                              ;   in Loop: Header=BB327_522 Depth=1
	v_ffbh_u32_e32 v0, v9
	v_min_u32_e32 v0, 32, v0
	v_subrev_nc_u32_e32 v17, 28, v0
	v_lshlrev_b64 v[61:62], v17, v[9:10]
	v_sub_nc_u32_e32 v17, 29, v0
	v_and_b32_e32 v9, 7, v61
; %bb.642:                              ;   in Loop: Header=BB327_522 Depth=1
	s_or_b32 exec_lo, exec_lo, s31
	v_lshlrev_b32_sdwa v0, v40, v18 dst_sel:DWORD dst_unused:UNUSED_PAD src0_sel:DWORD src1_sel:BYTE_3
	v_lshlrev_b32_e32 v9, 20, v9
	v_lshl_add_u32 v17, v17, 23, 0x3c000000
	v_and_b32_e32 v0, 0x80000000, v0
	v_or3_b32 v20, v9, v0, v17
.LBB327_643:                            ;   in Loop: Header=BB327_522 Depth=1
	s_or_b32 exec_lo, exec_lo, s30
.LBB327_644:                            ;   in Loop: Header=BB327_522 Depth=1
	s_or_b32 exec_lo, exec_lo, s29
.LBB327_645:                            ;   in Loop: Header=BB327_522 Depth=1
	s_or_b32 exec_lo, exec_lo, s28
	v_mul_f32_e32 v0, s27, v19
	v_mul_f32_e32 v9, s27, v59
	;; [unrolled: 1-line block ×5, first 2 shown]
	v_bfe_u32 v19, v0, 16, 1
	v_or_b32_e32 v33, 0x400000, v0
	v_bfe_u32 v34, v9, 16, 1
	v_cmp_u_f32_e64 s1, v0, v0
	v_or_b32_e32 v35, 0x400000, v9
	v_add3_u32 v19, v19, v0, 0x7fff
	v_bfe_u32 v56, v17, 16, 1
	v_add3_u32 v34, v34, v9, 0x7fff
	v_or_b32_e32 v58, 0x400000, v17
	v_bfe_u32 v59, v18, 16, 1
	v_cndmask_b32_e64 v0, v19, v33, s1
	v_cmp_u_f32_e64 s1, v9, v9
	v_add3_u32 v56, v56, v17, 0x7fff
	v_or_b32_e32 v33, 0x400000, v18
	v_add3_u32 v19, v59, v18, 0x7fff
	v_or_b32_e32 v59, 0x400000, v20
	v_cndmask_b32_e64 v9, v34, v35, s1
	v_cmp_u_f32_e64 s1, v17, v17
	v_cndmask_b32_e64 v17, v56, v58, s1
	v_lshrrev_b32_e32 v56, 16, v0
	v_mul_f32_e32 v0, s27, v55
	v_lshrrev_b32_e32 v55, 16, v9
	v_cmp_u_f32_e64 s1, v18, v18
	v_mul_f32_e32 v18, s27, v57
	v_lshrrev_b32_e32 v58, 16, v17
	v_bfe_u32 v9, v0, 16, 1
	v_cndmask_b32_e64 v17, v19, v33, s1
	v_mul_f32_e32 v19, s27, v60
	v_or_b32_e32 v33, 0x400000, v0
	v_add3_u32 v9, v9, v0, 0x7fff
	v_bfe_u32 v34, v18, 16, 1
	v_cmp_u_f32_e64 s1, v0, v0
	v_bfe_u32 v35, v19, 16, 1
	v_or_b32_e32 v57, 0x400000, v19
	v_lshrrev_b32_e32 v60, 16, v17
	v_cndmask_b32_e64 v0, v9, v33, s1
	v_add3_u32 v33, v34, v18, 0x7fff
	v_or_b32_e32 v34, 0x400000, v18
	v_cmp_u_f32_e64 s1, v18, v18
	v_bfe_u32 v9, v20, 16, 1
	v_add3_u32 v35, v35, v19, 0x7fff
	v_lshrrev_b32_e32 v62, 16, v0
	v_cndmask_b32_e64 v18, v33, v34, s1
	v_cmp_u_f32_e64 s1, v19, v19
	v_add3_u32 v9, v9, v20, 0x7fff
	v_lshrrev_b32_e32 v61, 16, v18
	v_cndmask_b32_e64 v19, v35, v57, s1
	v_cmp_u_f32_e64 s1, v20, v20
	v_lshrrev_b32_e32 v57, 16, v19
	v_cndmask_b32_e64 v9, v9, v59, s1
	v_lshrrev_b32_e32 v59, 16, v9
	s_and_saveexec_b32 s28, s0
	s_cbranch_execz .LBB327_647
; %bb.646:                              ;   in Loop: Header=BB327_522 Depth=1
	v_add_nc_u32_e32 v0, 1, v54
	v_cmp_gt_i32_e64 s1, s33, v54
	v_add_nc_u32_e32 v9, 2, v54
	v_add_nc_u32_e32 v17, 3, v54
	v_cndmask_b32_e64 v61, 0, v61, s1
	v_cmp_gt_i32_e64 s1, s33, v0
	v_add_nc_u32_e32 v0, 4, v54
	v_cndmask_b32_e64 v62, 0, v62, s1
	v_cmp_gt_i32_e64 s1, s33, v9
	;; [unrolled: 3-line block ×5, first 2 shown]
	v_cndmask_b32_e64 v56, 0, v56, s1
	v_cmp_gt_i32_e64 s1, s33, v17
	v_cndmask_b32_e64 v57, 0, v57, s1
	v_cmp_gt_i32_e64 s1, s33, v0
	v_cndmask_b32_e64 v59, 0, v59, s1
.LBB327_647:                            ;   in Loop: Header=BB327_522 Depth=1
	s_or_b32 exec_lo, exec_lo, s28
	global_load_dwordx2 v[17:18], v[15:16], off offset:512
	v_mov_b32_e32 v64, 0
	v_mov_b32_e32 v65, 0
	s_waitcnt vmcnt(0)
	v_cmp_ne_u16_sdwa s1, v17, v10 src0_sel:BYTE_0 src1_sel:DWORD
	s_and_saveexec_b32 s28, s1
	s_cbranch_execz .LBB327_653
; %bb.648:                              ;   in Loop: Header=BB327_522 Depth=1
	v_cmp_ne_u16_sdwa s1, v17, v32 src0_sel:BYTE_0 src1_sel:DWORD
	v_bfrev_b32_e32 v65, 1
	s_and_saveexec_b32 s29, s1
	s_cbranch_execz .LBB327_652
; %bb.649:                              ;   in Loop: Header=BB327_522 Depth=1
	v_and_b32_e32 v9, 0x7f, v17
	v_mov_b32_e32 v65, 0x7f800001
	s_mov_b32 s30, exec_lo
	v_cmpx_ne_u32_e32 0x7f, v9
	s_cbranch_execz .LBB327_651
; %bb.650:                              ;   in Loop: Header=BB327_522 Depth=1
	v_and_b32_e32 v0, 7, v17
	v_cmp_gt_u32_e64 s1, 8, v9
	v_lshrrev_b32_e32 v19, 3, v9
	v_ffbh_u32_e32 v0, v0
	v_min_u32_e32 v0, 32, v0
	v_subrev_nc_u32_e32 v20, 28, v0
	v_sub_nc_u32_e32 v0, 29, v0
	v_cndmask_b32_e64 v9, 0, v20, s1
	v_cndmask_b32_e64 v0, v19, v0, s1
	v_lshlrev_b64 v[19:20], v9, v[17:18]
	v_lshlrev_b32_e32 v9, 24, v17
	v_lshl_add_u32 v0, v0, 23, 0x3c000000
	v_and_b32_e32 v9, 0x80000000, v9
	v_lshlrev_b32_e32 v19, 20, v19
	v_and_b32_e32 v19, 0x700000, v19
	v_or3_b32 v65, v19, v9, v0
.LBB327_651:                            ;   in Loop: Header=BB327_522 Depth=1
	s_or_b32 exec_lo, exec_lo, s30
.LBB327_652:                            ;   in Loop: Header=BB327_522 Depth=1
	s_or_b32 exec_lo, exec_lo, s29
.LBB327_653:                            ;   in Loop: Header=BB327_522 Depth=1
	s_or_b32 exec_lo, exec_lo, s28
	v_cmp_ne_u16_sdwa s1, v17, v10 src0_sel:BYTE_1 src1_sel:DWORD
	s_and_saveexec_b32 s28, s1
	s_cbranch_execz .LBB327_661
; %bb.654:                              ;   in Loop: Header=BB327_522 Depth=1
	v_cmp_ne_u16_sdwa s1, v17, v32 src0_sel:BYTE_1 src1_sel:DWORD
	v_bfrev_b32_e32 v64, 1
	s_and_saveexec_b32 s29, s1
	s_cbranch_execz .LBB327_660
; %bb.655:                              ;   in Loop: Header=BB327_522 Depth=1
	v_and_b32_sdwa v9, v37, v17 dst_sel:DWORD dst_unused:UNUSED_PAD src0_sel:DWORD src1_sel:BYTE_1
	v_mov_b32_e32 v64, 0x7f800001
	s_mov_b32 s30, exec_lo
	v_and_b32_e32 v20, 0x7f, v9
	v_cmpx_ne_u32_e32 0x7f, v20
	s_cbranch_execz .LBB327_659
; %bb.656:                              ;   in Loop: Header=BB327_522 Depth=1
	v_and_b32_e32 v9, 7, v9
	v_lshrrev_b32_e32 v19, 3, v20
	s_mov_b32 s31, exec_lo
	v_cmpx_gt_u32_e32 8, v20
; %bb.657:                              ;   in Loop: Header=BB327_522 Depth=1
	v_ffbh_u32_e32 v0, v9
	v_min_u32_e32 v0, 32, v0
	v_subrev_nc_u32_e32 v19, 28, v0
	v_lshlrev_b64 v[63:64], v19, v[9:10]
	v_sub_nc_u32_e32 v19, 29, v0
	v_and_b32_e32 v9, 7, v63
; %bb.658:                              ;   in Loop: Header=BB327_522 Depth=1
	s_or_b32 exec_lo, exec_lo, s31
	v_lshlrev_b32_e32 v0, 16, v17
	v_lshlrev_b32_e32 v9, 20, v9
	v_lshl_add_u32 v19, v19, 23, 0x3c000000
	v_and_b32_e32 v0, 0x80000000, v0
	v_or3_b32 v64, v9, v0, v19
.LBB327_659:                            ;   in Loop: Header=BB327_522 Depth=1
	s_or_b32 exec_lo, exec_lo, s30
.LBB327_660:                            ;   in Loop: Header=BB327_522 Depth=1
	s_or_b32 exec_lo, exec_lo, s29
.LBB327_661:                            ;   in Loop: Header=BB327_522 Depth=1
	s_or_b32 exec_lo, exec_lo, s28
	v_and_b32_sdwa v9, v17, v38 dst_sel:DWORD dst_unused:UNUSED_PAD src0_sel:WORD_1 src1_sel:DWORD
	v_mov_b32_e32 v66, 0
	v_mov_b32_e32 v63, 0
	s_mov_b32 s28, exec_lo
	v_cmpx_ne_u16_e32 0, v9
	s_cbranch_execz .LBB327_669
; %bb.662:                              ;   in Loop: Header=BB327_522 Depth=1
	v_bfrev_b32_e32 v63, 1
	s_mov_b32 s29, exec_lo
	v_cmpx_ne_u16_e32 0x80, v9
	s_cbranch_execz .LBB327_668
; %bb.663:                              ;   in Loop: Header=BB327_522 Depth=1
	v_bfe_u32 v20, v17, 16, 7
	v_mov_b32_e32 v63, 0x7f800001
	s_mov_b32 s30, exec_lo
	v_cmpx_ne_u32_e32 0x7f, v20
	s_cbranch_execz .LBB327_667
; %bb.664:                              ;   in Loop: Header=BB327_522 Depth=1
	v_and_b32_sdwa v9, v17, v39 dst_sel:DWORD dst_unused:UNUSED_PAD src0_sel:WORD_1 src1_sel:DWORD
	v_lshrrev_b32_e32 v19, 3, v20
	s_mov_b32 s31, exec_lo
	v_cmpx_gt_u32_e32 8, v20
; %bb.665:                              ;   in Loop: Header=BB327_522 Depth=1
	v_ffbh_u32_e32 v0, v9
	v_min_u32_e32 v0, 32, v0
	v_subrev_nc_u32_e32 v19, 28, v0
	v_lshlrev_b64 v[67:68], v19, v[9:10]
	v_sub_nc_u32_e32 v19, 29, v0
	v_and_b32_e32 v9, 7, v67
; %bb.666:                              ;   in Loop: Header=BB327_522 Depth=1
	s_or_b32 exec_lo, exec_lo, s31
	v_lshlrev_b32_sdwa v0, v40, v17 dst_sel:DWORD dst_unused:UNUSED_PAD src0_sel:DWORD src1_sel:WORD_1
	v_lshlrev_b32_e32 v9, 20, v9
	v_lshl_add_u32 v19, v19, 23, 0x3c000000
	v_and_b32_e32 v0, 0x80000000, v0
	v_or3_b32 v63, v9, v0, v19
.LBB327_667:                            ;   in Loop: Header=BB327_522 Depth=1
	s_or_b32 exec_lo, exec_lo, s30
.LBB327_668:                            ;   in Loop: Header=BB327_522 Depth=1
	s_or_b32 exec_lo, exec_lo, s29
.LBB327_669:                            ;   in Loop: Header=BB327_522 Depth=1
	s_or_b32 exec_lo, exec_lo, s28
	s_mov_b32 s28, exec_lo
	v_cmpx_lt_u32_e32 0xffffff, v17
	s_cbranch_execz .LBB327_677
; %bb.670:                              ;   in Loop: Header=BB327_522 Depth=1
	v_cmp_ne_u32_sdwa s1, v17, v32 src0_sel:BYTE_3 src1_sel:DWORD
	v_bfrev_b32_e32 v66, 1
	s_and_saveexec_b32 s29, s1
	s_cbranch_execz .LBB327_676
; %bb.671:                              ;   in Loop: Header=BB327_522 Depth=1
	v_bfe_u32 v20, v17, 24, 7
	v_mov_b32_e32 v66, 0x7f800001
	s_mov_b32 s30, exec_lo
	v_cmpx_ne_u32_e32 0x7f, v20
	s_cbranch_execz .LBB327_675
; %bb.672:                              ;   in Loop: Header=BB327_522 Depth=1
	v_and_b32_sdwa v9, v17, v39 dst_sel:DWORD dst_unused:UNUSED_PAD src0_sel:BYTE_3 src1_sel:DWORD
	v_lshrrev_b32_e32 v19, 3, v20
	s_mov_b32 s31, exec_lo
	v_cmpx_gt_u32_e32 8, v20
; %bb.673:                              ;   in Loop: Header=BB327_522 Depth=1
	v_ffbh_u32_e32 v0, v9
	v_min_u32_e32 v0, 32, v0
	v_subrev_nc_u32_e32 v19, 28, v0
	v_lshlrev_b64 v[66:67], v19, v[9:10]
	v_sub_nc_u32_e32 v19, 29, v0
	v_and_b32_e32 v9, 7, v66
; %bb.674:                              ;   in Loop: Header=BB327_522 Depth=1
	s_or_b32 exec_lo, exec_lo, s31
	v_lshlrev_b32_sdwa v0, v40, v17 dst_sel:DWORD dst_unused:UNUSED_PAD src0_sel:DWORD src1_sel:BYTE_3
	v_lshlrev_b32_e32 v9, 20, v9
	v_lshl_add_u32 v19, v19, 23, 0x3c000000
	v_and_b32_e32 v0, 0x80000000, v0
	v_or3_b32 v66, v9, v0, v19
.LBB327_675:                            ;   in Loop: Header=BB327_522 Depth=1
	s_or_b32 exec_lo, exec_lo, s30
.LBB327_676:                            ;   in Loop: Header=BB327_522 Depth=1
	s_or_b32 exec_lo, exec_lo, s29
.LBB327_677:                            ;   in Loop: Header=BB327_522 Depth=1
	s_or_b32 exec_lo, exec_lo, s28
	v_mov_b32_e32 v9, v18
	v_cmp_ne_u16_sdwa s1, v18, v10 src0_sel:BYTE_0 src1_sel:DWORD
	v_mov_b32_e32 v19, 0
	v_mov_b32_e32 v67, 0
	s_and_saveexec_b32 s28, s1
	s_cbranch_execz .LBB327_683
; %bb.678:                              ;   in Loop: Header=BB327_522 Depth=1
	v_cmp_ne_u16_sdwa s1, v18, v32 src0_sel:BYTE_0 src1_sel:DWORD
	v_bfrev_b32_e32 v67, 1
	s_and_saveexec_b32 s29, s1
	s_cbranch_execz .LBB327_682
; %bb.679:                              ;   in Loop: Header=BB327_522 Depth=1
	v_and_b32_e32 v20, 0x7f, v18
	v_mov_b32_e32 v67, 0x7f800001
	s_mov_b32 s30, exec_lo
	v_cmpx_ne_u32_e32 0x7f, v20
	s_cbranch_execz .LBB327_681
; %bb.680:                              ;   in Loop: Header=BB327_522 Depth=1
	v_and_b32_e32 v0, 7, v18
	v_cmp_gt_u32_e64 s1, 8, v20
	v_lshrrev_b32_e32 v33, 3, v20
	v_ffbh_u32_e32 v0, v0
	v_min_u32_e32 v0, 32, v0
	v_subrev_nc_u32_e32 v34, 28, v0
	v_sub_nc_u32_e32 v0, 29, v0
	v_cndmask_b32_e64 v20, 0, v34, s1
	v_cndmask_b32_e64 v0, v33, v0, s1
	v_lshlrev_b64 v[67:68], v20, v[9:10]
	v_lshlrev_b32_e32 v20, 24, v9
	v_lshl_add_u32 v0, v0, 23, 0x3c000000
	v_and_b32_e32 v20, 0x80000000, v20
	v_lshlrev_b32_e32 v33, 20, v67
	v_and_b32_e32 v33, 0x700000, v33
	v_or3_b32 v67, v33, v20, v0
.LBB327_681:                            ;   in Loop: Header=BB327_522 Depth=1
	s_or_b32 exec_lo, exec_lo, s30
.LBB327_682:                            ;   in Loop: Header=BB327_522 Depth=1
	s_or_b32 exec_lo, exec_lo, s29
.LBB327_683:                            ;   in Loop: Header=BB327_522 Depth=1
	s_or_b32 exec_lo, exec_lo, s28
	v_cmp_ne_u16_sdwa s1, v9, v10 src0_sel:BYTE_1 src1_sel:DWORD
	s_and_saveexec_b32 s28, s1
	s_cbranch_execz .LBB327_691
; %bb.684:                              ;   in Loop: Header=BB327_522 Depth=1
	v_cmp_ne_u16_sdwa s1, v9, v32 src0_sel:BYTE_1 src1_sel:DWORD
	v_bfrev_b32_e32 v19, 1
	s_and_saveexec_b32 s29, s1
	s_cbranch_execz .LBB327_690
; %bb.685:                              ;   in Loop: Header=BB327_522 Depth=1
	v_and_b32_sdwa v20, v37, v9 dst_sel:DWORD dst_unused:UNUSED_PAD src0_sel:DWORD src1_sel:BYTE_1
	v_mov_b32_e32 v19, 0x7f800001
	s_mov_b32 s30, exec_lo
	v_and_b32_e32 v69, 0x7f, v20
	v_cmpx_ne_u32_e32 0x7f, v69
	s_cbranch_execz .LBB327_689
; %bb.686:                              ;   in Loop: Header=BB327_522 Depth=1
	v_and_b32_e32 v19, 7, v20
	v_mov_b32_e32 v20, v10
	v_lshrrev_b32_e32 v68, 3, v69
	s_mov_b32 s31, exec_lo
	v_cmpx_gt_u32_e32 8, v69
; %bb.687:                              ;   in Loop: Header=BB327_522 Depth=1
	v_ffbh_u32_e32 v0, v19
	v_min_u32_e32 v0, 32, v0
	v_subrev_nc_u32_e32 v33, 28, v0
	v_sub_nc_u32_e32 v68, 29, v0
	v_lshlrev_b64 v[19:20], v33, v[19:20]
	v_and_b32_e32 v19, 7, v19
; %bb.688:                              ;   in Loop: Header=BB327_522 Depth=1
	s_or_b32 exec_lo, exec_lo, s31
	v_lshlrev_b32_e32 v0, 16, v9
	v_lshlrev_b32_e32 v9, 20, v19
	v_lshl_add_u32 v19, v68, 23, 0x3c000000
	v_and_b32_e32 v0, 0x80000000, v0
	v_or3_b32 v19, v9, v0, v19
.LBB327_689:                            ;   in Loop: Header=BB327_522 Depth=1
	s_or_b32 exec_lo, exec_lo, s30
.LBB327_690:                            ;   in Loop: Header=BB327_522 Depth=1
	s_or_b32 exec_lo, exec_lo, s29
.LBB327_691:                            ;   in Loop: Header=BB327_522 Depth=1
	s_or_b32 exec_lo, exec_lo, s28
	v_and_b32_sdwa v9, v18, v38 dst_sel:DWORD dst_unused:UNUSED_PAD src0_sel:WORD_1 src1_sel:DWORD
	v_mov_b32_e32 v20, 0
	v_mov_b32_e32 v68, 0
	s_mov_b32 s28, exec_lo
	v_cmpx_ne_u16_e32 0, v9
	s_cbranch_execz .LBB327_699
; %bb.692:                              ;   in Loop: Header=BB327_522 Depth=1
	v_bfrev_b32_e32 v68, 1
	s_mov_b32 s29, exec_lo
	v_cmpx_ne_u16_e32 0x80, v9
	s_cbranch_execz .LBB327_698
; %bb.693:                              ;   in Loop: Header=BB327_522 Depth=1
	v_bfe_u32 v69, v18, 16, 7
	v_mov_b32_e32 v68, 0x7f800001
	s_mov_b32 s30, exec_lo
	v_cmpx_ne_u32_e32 0x7f, v69
	s_cbranch_execz .LBB327_697
; %bb.694:                              ;   in Loop: Header=BB327_522 Depth=1
	v_and_b32_sdwa v9, v18, v39 dst_sel:DWORD dst_unused:UNUSED_PAD src0_sel:WORD_1 src1_sel:DWORD
	v_lshrrev_b32_e32 v68, 3, v69
	s_mov_b32 s31, exec_lo
	v_cmpx_gt_u32_e32 8, v69
; %bb.695:                              ;   in Loop: Header=BB327_522 Depth=1
	v_ffbh_u32_e32 v0, v9
	v_min_u32_e32 v0, 32, v0
	v_subrev_nc_u32_e32 v33, 28, v0
	v_sub_nc_u32_e32 v68, 29, v0
	v_lshlrev_b64 v[69:70], v33, v[9:10]
	v_and_b32_e32 v9, 7, v69
; %bb.696:                              ;   in Loop: Header=BB327_522 Depth=1
	s_or_b32 exec_lo, exec_lo, s31
	v_lshlrev_b32_sdwa v0, v40, v18 dst_sel:DWORD dst_unused:UNUSED_PAD src0_sel:DWORD src1_sel:WORD_1
	v_lshlrev_b32_e32 v9, 20, v9
	v_lshl_add_u32 v33, v68, 23, 0x3c000000
	v_and_b32_e32 v0, 0x80000000, v0
	v_or3_b32 v68, v9, v0, v33
.LBB327_697:                            ;   in Loop: Header=BB327_522 Depth=1
	s_or_b32 exec_lo, exec_lo, s30
.LBB327_698:                            ;   in Loop: Header=BB327_522 Depth=1
	s_or_b32 exec_lo, exec_lo, s29
.LBB327_699:                            ;   in Loop: Header=BB327_522 Depth=1
	s_or_b32 exec_lo, exec_lo, s28
	s_mov_b32 s28, exec_lo
	v_cmpx_lt_u64_e64 s[4:5], v[17:18]
	s_cbranch_execz .LBB327_707
; %bb.700:                              ;   in Loop: Header=BB327_522 Depth=1
	v_cmp_ne_u32_sdwa s1, v18, v32 src0_sel:BYTE_3 src1_sel:DWORD
	v_bfrev_b32_e32 v20, 1
	s_and_saveexec_b32 s29, s1
	s_cbranch_execz .LBB327_706
; %bb.701:                              ;   in Loop: Header=BB327_522 Depth=1
	v_bfe_u32 v69, v18, 24, 7
	v_mov_b32_e32 v20, 0x7f800001
	s_mov_b32 s30, exec_lo
	v_cmpx_ne_u32_e32 0x7f, v69
	s_cbranch_execz .LBB327_705
; %bb.702:                              ;   in Loop: Header=BB327_522 Depth=1
	v_and_b32_sdwa v9, v18, v39 dst_sel:DWORD dst_unused:UNUSED_PAD src0_sel:BYTE_3 src1_sel:DWORD
	v_lshrrev_b32_e32 v17, 3, v69
	s_mov_b32 s31, exec_lo
	v_cmpx_gt_u32_e32 8, v69
; %bb.703:                              ;   in Loop: Header=BB327_522 Depth=1
	v_ffbh_u32_e32 v0, v9
	v_min_u32_e32 v0, 32, v0
	v_subrev_nc_u32_e32 v17, 28, v0
	v_lshlrev_b64 v[69:70], v17, v[9:10]
	v_sub_nc_u32_e32 v17, 29, v0
	v_and_b32_e32 v9, 7, v69
; %bb.704:                              ;   in Loop: Header=BB327_522 Depth=1
	s_or_b32 exec_lo, exec_lo, s31
	v_lshlrev_b32_sdwa v0, v40, v18 dst_sel:DWORD dst_unused:UNUSED_PAD src0_sel:DWORD src1_sel:BYTE_3
	v_lshlrev_b32_e32 v9, 20, v9
	v_lshl_add_u32 v17, v17, 23, 0x3c000000
	v_and_b32_e32 v0, 0x80000000, v0
	v_or3_b32 v20, v9, v0, v17
.LBB327_705:                            ;   in Loop: Header=BB327_522 Depth=1
	s_or_b32 exec_lo, exec_lo, s30
.LBB327_706:                            ;   in Loop: Header=BB327_522 Depth=1
	s_or_b32 exec_lo, exec_lo, s29
.LBB327_707:                            ;   in Loop: Header=BB327_522 Depth=1
	s_or_b32 exec_lo, exec_lo, s28
	v_mul_f32_e32 v0, s27, v19
	v_mul_f32_e32 v9, s27, v67
	;; [unrolled: 1-line block ×5, first 2 shown]
	v_bfe_u32 v19, v0, 16, 1
	v_or_b32_e32 v33, 0x400000, v0
	v_bfe_u32 v34, v9, 16, 1
	v_cmp_u_f32_e64 s1, v0, v0
	v_or_b32_e32 v35, 0x400000, v9
	v_add3_u32 v19, v19, v0, 0x7fff
	v_bfe_u32 v63, v17, 16, 1
	v_add3_u32 v34, v34, v9, 0x7fff
	v_or_b32_e32 v66, 0x400000, v17
	v_bfe_u32 v67, v18, 16, 1
	v_cndmask_b32_e64 v0, v19, v33, s1
	v_cmp_u_f32_e64 s1, v9, v9
	v_add3_u32 v63, v63, v17, 0x7fff
	v_or_b32_e32 v33, 0x400000, v18
	v_add3_u32 v19, v67, v18, 0x7fff
	v_or_b32_e32 v67, 0x400000, v20
	v_cndmask_b32_e64 v9, v34, v35, s1
	v_cmp_u_f32_e64 s1, v17, v17
	v_cndmask_b32_e64 v17, v63, v66, s1
	v_lshrrev_b32_e32 v63, 16, v0
	v_mul_f32_e32 v0, s27, v64
	v_lshrrev_b32_e32 v64, 16, v9
	v_cmp_u_f32_e64 s1, v18, v18
	v_mul_f32_e32 v18, s27, v65
	v_lshrrev_b32_e32 v66, 16, v17
	v_bfe_u32 v9, v0, 16, 1
	v_cndmask_b32_e64 v17, v19, v33, s1
	v_mul_f32_e32 v19, s27, v68
	v_or_b32_e32 v33, 0x400000, v0
	v_add3_u32 v9, v9, v0, 0x7fff
	v_bfe_u32 v34, v18, 16, 1
	v_cmp_u_f32_e64 s1, v0, v0
	v_bfe_u32 v35, v19, 16, 1
	v_or_b32_e32 v65, 0x400000, v19
	v_lshrrev_b32_e32 v68, 16, v17
	v_cndmask_b32_e64 v0, v9, v33, s1
	v_add3_u32 v33, v34, v18, 0x7fff
	v_or_b32_e32 v34, 0x400000, v18
	v_cmp_u_f32_e64 s1, v18, v18
	v_bfe_u32 v9, v20, 16, 1
	v_add3_u32 v35, v35, v19, 0x7fff
	v_lshrrev_b32_e32 v70, 16, v0
	v_cndmask_b32_e64 v18, v33, v34, s1
	v_cmp_u_f32_e64 s1, v19, v19
	v_add3_u32 v9, v9, v20, 0x7fff
	v_lshrrev_b32_e32 v69, 16, v18
	v_cndmask_b32_e64 v19, v35, v65, s1
	v_cmp_u_f32_e64 s1, v20, v20
	v_lshrrev_b32_e32 v65, 16, v19
	v_cndmask_b32_e64 v9, v9, v67, s1
	v_lshrrev_b32_e32 v67, 16, v9
	s_and_saveexec_b32 s28, s0
	s_cbranch_execz .LBB327_709
; %bb.708:                              ;   in Loop: Header=BB327_522 Depth=1
	v_add_nc_u32_e32 v0, 1, v54
	v_cmp_gt_i32_e64 s1, s33, v54
	v_add_nc_u32_e32 v9, 2, v54
	v_add_nc_u32_e32 v17, 3, v54
	v_cndmask_b32_e64 v69, 0, v69, s1
	v_cmp_gt_i32_e64 s1, s33, v0
	v_add_nc_u32_e32 v0, 4, v54
	v_cndmask_b32_e64 v70, 0, v70, s1
	v_cmp_gt_i32_e64 s1, s33, v9
	;; [unrolled: 3-line block ×5, first 2 shown]
	v_cndmask_b32_e64 v63, 0, v63, s1
	v_cmp_gt_i32_e64 s1, s33, v17
	v_cndmask_b32_e64 v65, 0, v65, s1
	v_cmp_gt_i32_e64 s1, s33, v0
	v_cndmask_b32_e64 v67, 0, v67, s1
.LBB327_709:                            ;   in Loop: Header=BB327_522 Depth=1
	s_or_b32 exec_lo, exec_lo, s28
	global_load_dwordx2 v[17:18], v[15:16], off offset:768
	v_mov_b32_e32 v72, 0
	v_mov_b32_e32 v73, 0
	s_waitcnt vmcnt(0)
	v_cmp_ne_u16_sdwa s1, v17, v10 src0_sel:BYTE_0 src1_sel:DWORD
	s_and_saveexec_b32 s28, s1
	s_cbranch_execz .LBB327_715
; %bb.710:                              ;   in Loop: Header=BB327_522 Depth=1
	v_cmp_ne_u16_sdwa s1, v17, v32 src0_sel:BYTE_0 src1_sel:DWORD
	v_bfrev_b32_e32 v73, 1
	s_and_saveexec_b32 s29, s1
	s_cbranch_execz .LBB327_714
; %bb.711:                              ;   in Loop: Header=BB327_522 Depth=1
	v_and_b32_e32 v9, 0x7f, v17
	v_mov_b32_e32 v73, 0x7f800001
	s_mov_b32 s30, exec_lo
	v_cmpx_ne_u32_e32 0x7f, v9
	s_cbranch_execz .LBB327_713
; %bb.712:                              ;   in Loop: Header=BB327_522 Depth=1
	v_and_b32_e32 v0, 7, v17
	v_cmp_gt_u32_e64 s1, 8, v9
	v_lshrrev_b32_e32 v19, 3, v9
	v_ffbh_u32_e32 v0, v0
	v_min_u32_e32 v0, 32, v0
	v_subrev_nc_u32_e32 v20, 28, v0
	v_sub_nc_u32_e32 v0, 29, v0
	v_cndmask_b32_e64 v9, 0, v20, s1
	v_cndmask_b32_e64 v0, v19, v0, s1
	v_lshlrev_b64 v[19:20], v9, v[17:18]
	v_lshlrev_b32_e32 v9, 24, v17
	v_lshl_add_u32 v0, v0, 23, 0x3c000000
	v_and_b32_e32 v9, 0x80000000, v9
	v_lshlrev_b32_e32 v19, 20, v19
	v_and_b32_e32 v19, 0x700000, v19
	v_or3_b32 v73, v19, v9, v0
.LBB327_713:                            ;   in Loop: Header=BB327_522 Depth=1
	s_or_b32 exec_lo, exec_lo, s30
.LBB327_714:                            ;   in Loop: Header=BB327_522 Depth=1
	s_or_b32 exec_lo, exec_lo, s29
.LBB327_715:                            ;   in Loop: Header=BB327_522 Depth=1
	s_or_b32 exec_lo, exec_lo, s28
	v_cmp_ne_u16_sdwa s1, v17, v10 src0_sel:BYTE_1 src1_sel:DWORD
	s_and_saveexec_b32 s28, s1
	s_cbranch_execz .LBB327_723
; %bb.716:                              ;   in Loop: Header=BB327_522 Depth=1
	v_cmp_ne_u16_sdwa s1, v17, v32 src0_sel:BYTE_1 src1_sel:DWORD
	v_bfrev_b32_e32 v72, 1
	s_and_saveexec_b32 s29, s1
	s_cbranch_execz .LBB327_722
; %bb.717:                              ;   in Loop: Header=BB327_522 Depth=1
	v_and_b32_sdwa v9, v37, v17 dst_sel:DWORD dst_unused:UNUSED_PAD src0_sel:DWORD src1_sel:BYTE_1
	v_mov_b32_e32 v72, 0x7f800001
	s_mov_b32 s30, exec_lo
	v_and_b32_e32 v20, 0x7f, v9
	v_cmpx_ne_u32_e32 0x7f, v20
	s_cbranch_execz .LBB327_721
; %bb.718:                              ;   in Loop: Header=BB327_522 Depth=1
	v_and_b32_e32 v9, 7, v9
	v_lshrrev_b32_e32 v19, 3, v20
	s_mov_b32 s31, exec_lo
	v_cmpx_gt_u32_e32 8, v20
; %bb.719:                              ;   in Loop: Header=BB327_522 Depth=1
	v_ffbh_u32_e32 v0, v9
	v_min_u32_e32 v0, 32, v0
	v_subrev_nc_u32_e32 v19, 28, v0
	v_lshlrev_b64 v[71:72], v19, v[9:10]
	v_sub_nc_u32_e32 v19, 29, v0
	v_and_b32_e32 v9, 7, v71
; %bb.720:                              ;   in Loop: Header=BB327_522 Depth=1
	s_or_b32 exec_lo, exec_lo, s31
	v_lshlrev_b32_e32 v0, 16, v17
	v_lshlrev_b32_e32 v9, 20, v9
	v_lshl_add_u32 v19, v19, 23, 0x3c000000
	v_and_b32_e32 v0, 0x80000000, v0
	v_or3_b32 v72, v9, v0, v19
.LBB327_721:                            ;   in Loop: Header=BB327_522 Depth=1
	s_or_b32 exec_lo, exec_lo, s30
.LBB327_722:                            ;   in Loop: Header=BB327_522 Depth=1
	s_or_b32 exec_lo, exec_lo, s29
.LBB327_723:                            ;   in Loop: Header=BB327_522 Depth=1
	s_or_b32 exec_lo, exec_lo, s28
	v_and_b32_sdwa v9, v17, v38 dst_sel:DWORD dst_unused:UNUSED_PAD src0_sel:WORD_1 src1_sel:DWORD
	v_mov_b32_e32 v74, 0
	v_mov_b32_e32 v71, 0
	s_mov_b32 s28, exec_lo
	v_cmpx_ne_u16_e32 0, v9
	s_cbranch_execz .LBB327_731
; %bb.724:                              ;   in Loop: Header=BB327_522 Depth=1
	v_bfrev_b32_e32 v71, 1
	s_mov_b32 s29, exec_lo
	v_cmpx_ne_u16_e32 0x80, v9
	s_cbranch_execz .LBB327_730
; %bb.725:                              ;   in Loop: Header=BB327_522 Depth=1
	v_bfe_u32 v20, v17, 16, 7
	v_mov_b32_e32 v71, 0x7f800001
	s_mov_b32 s30, exec_lo
	v_cmpx_ne_u32_e32 0x7f, v20
	s_cbranch_execz .LBB327_729
; %bb.726:                              ;   in Loop: Header=BB327_522 Depth=1
	v_and_b32_sdwa v9, v17, v39 dst_sel:DWORD dst_unused:UNUSED_PAD src0_sel:WORD_1 src1_sel:DWORD
	v_lshrrev_b32_e32 v19, 3, v20
	s_mov_b32 s31, exec_lo
	v_cmpx_gt_u32_e32 8, v20
; %bb.727:                              ;   in Loop: Header=BB327_522 Depth=1
	v_ffbh_u32_e32 v0, v9
	v_min_u32_e32 v0, 32, v0
	v_subrev_nc_u32_e32 v19, 28, v0
	v_lshlrev_b64 v[75:76], v19, v[9:10]
	v_sub_nc_u32_e32 v19, 29, v0
	v_and_b32_e32 v9, 7, v75
; %bb.728:                              ;   in Loop: Header=BB327_522 Depth=1
	s_or_b32 exec_lo, exec_lo, s31
	v_lshlrev_b32_sdwa v0, v40, v17 dst_sel:DWORD dst_unused:UNUSED_PAD src0_sel:DWORD src1_sel:WORD_1
	v_lshlrev_b32_e32 v9, 20, v9
	v_lshl_add_u32 v19, v19, 23, 0x3c000000
	v_and_b32_e32 v0, 0x80000000, v0
	v_or3_b32 v71, v9, v0, v19
.LBB327_729:                            ;   in Loop: Header=BB327_522 Depth=1
	s_or_b32 exec_lo, exec_lo, s30
.LBB327_730:                            ;   in Loop: Header=BB327_522 Depth=1
	s_or_b32 exec_lo, exec_lo, s29
.LBB327_731:                            ;   in Loop: Header=BB327_522 Depth=1
	s_or_b32 exec_lo, exec_lo, s28
	s_mov_b32 s28, exec_lo
	v_cmpx_lt_u32_e32 0xffffff, v17
	s_cbranch_execz .LBB327_739
; %bb.732:                              ;   in Loop: Header=BB327_522 Depth=1
	v_cmp_ne_u32_sdwa s1, v17, v32 src0_sel:BYTE_3 src1_sel:DWORD
	v_bfrev_b32_e32 v74, 1
	s_and_saveexec_b32 s29, s1
	s_cbranch_execz .LBB327_738
; %bb.733:                              ;   in Loop: Header=BB327_522 Depth=1
	v_bfe_u32 v20, v17, 24, 7
	v_mov_b32_e32 v74, 0x7f800001
	s_mov_b32 s30, exec_lo
	v_cmpx_ne_u32_e32 0x7f, v20
	s_cbranch_execz .LBB327_737
; %bb.734:                              ;   in Loop: Header=BB327_522 Depth=1
	v_and_b32_sdwa v9, v17, v39 dst_sel:DWORD dst_unused:UNUSED_PAD src0_sel:BYTE_3 src1_sel:DWORD
	v_lshrrev_b32_e32 v19, 3, v20
	s_mov_b32 s31, exec_lo
	v_cmpx_gt_u32_e32 8, v20
; %bb.735:                              ;   in Loop: Header=BB327_522 Depth=1
	v_ffbh_u32_e32 v0, v9
	v_min_u32_e32 v0, 32, v0
	v_subrev_nc_u32_e32 v19, 28, v0
	v_lshlrev_b64 v[74:75], v19, v[9:10]
	v_sub_nc_u32_e32 v19, 29, v0
	v_and_b32_e32 v9, 7, v74
; %bb.736:                              ;   in Loop: Header=BB327_522 Depth=1
	s_or_b32 exec_lo, exec_lo, s31
	v_lshlrev_b32_sdwa v0, v40, v17 dst_sel:DWORD dst_unused:UNUSED_PAD src0_sel:DWORD src1_sel:BYTE_3
	v_lshlrev_b32_e32 v9, 20, v9
	v_lshl_add_u32 v19, v19, 23, 0x3c000000
	v_and_b32_e32 v0, 0x80000000, v0
	v_or3_b32 v74, v9, v0, v19
.LBB327_737:                            ;   in Loop: Header=BB327_522 Depth=1
	s_or_b32 exec_lo, exec_lo, s30
.LBB327_738:                            ;   in Loop: Header=BB327_522 Depth=1
	s_or_b32 exec_lo, exec_lo, s29
.LBB327_739:                            ;   in Loop: Header=BB327_522 Depth=1
	s_or_b32 exec_lo, exec_lo, s28
	v_mov_b32_e32 v9, v18
	v_cmp_ne_u16_sdwa s1, v18, v10 src0_sel:BYTE_0 src1_sel:DWORD
	v_mov_b32_e32 v19, 0
	v_mov_b32_e32 v75, 0
	s_and_saveexec_b32 s28, s1
	s_cbranch_execz .LBB327_745
; %bb.740:                              ;   in Loop: Header=BB327_522 Depth=1
	v_cmp_ne_u16_sdwa s1, v18, v32 src0_sel:BYTE_0 src1_sel:DWORD
	v_bfrev_b32_e32 v75, 1
	s_and_saveexec_b32 s29, s1
	s_cbranch_execz .LBB327_744
; %bb.741:                              ;   in Loop: Header=BB327_522 Depth=1
	v_and_b32_e32 v20, 0x7f, v18
	v_mov_b32_e32 v75, 0x7f800001
	s_mov_b32 s30, exec_lo
	v_cmpx_ne_u32_e32 0x7f, v20
	s_cbranch_execz .LBB327_743
; %bb.742:                              ;   in Loop: Header=BB327_522 Depth=1
	v_and_b32_e32 v0, 7, v18
	v_cmp_gt_u32_e64 s1, 8, v20
	v_lshrrev_b32_e32 v33, 3, v20
	v_ffbh_u32_e32 v0, v0
	v_min_u32_e32 v0, 32, v0
	v_subrev_nc_u32_e32 v34, 28, v0
	v_sub_nc_u32_e32 v0, 29, v0
	v_cndmask_b32_e64 v20, 0, v34, s1
	v_cndmask_b32_e64 v0, v33, v0, s1
	v_lshlrev_b64 v[75:76], v20, v[9:10]
	v_lshlrev_b32_e32 v20, 24, v9
	v_lshl_add_u32 v0, v0, 23, 0x3c000000
	v_and_b32_e32 v20, 0x80000000, v20
	v_lshlrev_b32_e32 v33, 20, v75
	v_and_b32_e32 v33, 0x700000, v33
	v_or3_b32 v75, v33, v20, v0
.LBB327_743:                            ;   in Loop: Header=BB327_522 Depth=1
	s_or_b32 exec_lo, exec_lo, s30
.LBB327_744:                            ;   in Loop: Header=BB327_522 Depth=1
	s_or_b32 exec_lo, exec_lo, s29
.LBB327_745:                            ;   in Loop: Header=BB327_522 Depth=1
	s_or_b32 exec_lo, exec_lo, s28
	v_cmp_ne_u16_sdwa s1, v9, v10 src0_sel:BYTE_1 src1_sel:DWORD
	s_and_saveexec_b32 s28, s1
	s_cbranch_execz .LBB327_753
; %bb.746:                              ;   in Loop: Header=BB327_522 Depth=1
	v_cmp_ne_u16_sdwa s1, v9, v32 src0_sel:BYTE_1 src1_sel:DWORD
	v_bfrev_b32_e32 v19, 1
	s_and_saveexec_b32 s29, s1
	s_cbranch_execz .LBB327_752
; %bb.747:                              ;   in Loop: Header=BB327_522 Depth=1
	v_and_b32_sdwa v20, v37, v9 dst_sel:DWORD dst_unused:UNUSED_PAD src0_sel:DWORD src1_sel:BYTE_1
	v_mov_b32_e32 v19, 0x7f800001
	s_mov_b32 s30, exec_lo
	v_and_b32_e32 v77, 0x7f, v20
	v_cmpx_ne_u32_e32 0x7f, v77
	s_cbranch_execz .LBB327_751
; %bb.748:                              ;   in Loop: Header=BB327_522 Depth=1
	v_and_b32_e32 v19, 7, v20
	v_mov_b32_e32 v20, v10
	v_lshrrev_b32_e32 v76, 3, v77
	s_mov_b32 s31, exec_lo
	v_cmpx_gt_u32_e32 8, v77
; %bb.749:                              ;   in Loop: Header=BB327_522 Depth=1
	v_ffbh_u32_e32 v0, v19
	v_min_u32_e32 v0, 32, v0
	v_subrev_nc_u32_e32 v33, 28, v0
	v_sub_nc_u32_e32 v76, 29, v0
	v_lshlrev_b64 v[19:20], v33, v[19:20]
	v_and_b32_e32 v19, 7, v19
; %bb.750:                              ;   in Loop: Header=BB327_522 Depth=1
	s_or_b32 exec_lo, exec_lo, s31
	v_lshlrev_b32_e32 v0, 16, v9
	v_lshlrev_b32_e32 v9, 20, v19
	v_lshl_add_u32 v19, v76, 23, 0x3c000000
	v_and_b32_e32 v0, 0x80000000, v0
	v_or3_b32 v19, v9, v0, v19
.LBB327_751:                            ;   in Loop: Header=BB327_522 Depth=1
	s_or_b32 exec_lo, exec_lo, s30
.LBB327_752:                            ;   in Loop: Header=BB327_522 Depth=1
	s_or_b32 exec_lo, exec_lo, s29
.LBB327_753:                            ;   in Loop: Header=BB327_522 Depth=1
	s_or_b32 exec_lo, exec_lo, s28
	v_and_b32_sdwa v9, v18, v38 dst_sel:DWORD dst_unused:UNUSED_PAD src0_sel:WORD_1 src1_sel:DWORD
	v_mov_b32_e32 v20, 0
	v_mov_b32_e32 v76, 0
	s_mov_b32 s28, exec_lo
	v_cmpx_ne_u16_e32 0, v9
	s_cbranch_execz .LBB327_761
; %bb.754:                              ;   in Loop: Header=BB327_522 Depth=1
	v_bfrev_b32_e32 v76, 1
	s_mov_b32 s29, exec_lo
	v_cmpx_ne_u16_e32 0x80, v9
	s_cbranch_execz .LBB327_760
; %bb.755:                              ;   in Loop: Header=BB327_522 Depth=1
	v_bfe_u32 v77, v18, 16, 7
	v_mov_b32_e32 v76, 0x7f800001
	s_mov_b32 s30, exec_lo
	v_cmpx_ne_u32_e32 0x7f, v77
	s_cbranch_execz .LBB327_759
; %bb.756:                              ;   in Loop: Header=BB327_522 Depth=1
	v_and_b32_sdwa v9, v18, v39 dst_sel:DWORD dst_unused:UNUSED_PAD src0_sel:WORD_1 src1_sel:DWORD
	v_lshrrev_b32_e32 v76, 3, v77
	s_mov_b32 s31, exec_lo
	v_cmpx_gt_u32_e32 8, v77
; %bb.757:                              ;   in Loop: Header=BB327_522 Depth=1
	v_ffbh_u32_e32 v0, v9
	v_min_u32_e32 v0, 32, v0
	v_subrev_nc_u32_e32 v33, 28, v0
	v_sub_nc_u32_e32 v76, 29, v0
	v_lshlrev_b64 v[77:78], v33, v[9:10]
	v_and_b32_e32 v9, 7, v77
; %bb.758:                              ;   in Loop: Header=BB327_522 Depth=1
	s_or_b32 exec_lo, exec_lo, s31
	v_lshlrev_b32_sdwa v0, v40, v18 dst_sel:DWORD dst_unused:UNUSED_PAD src0_sel:DWORD src1_sel:WORD_1
	v_lshlrev_b32_e32 v9, 20, v9
	v_lshl_add_u32 v33, v76, 23, 0x3c000000
	v_and_b32_e32 v0, 0x80000000, v0
	v_or3_b32 v76, v9, v0, v33
.LBB327_759:                            ;   in Loop: Header=BB327_522 Depth=1
	s_or_b32 exec_lo, exec_lo, s30
.LBB327_760:                            ;   in Loop: Header=BB327_522 Depth=1
	s_or_b32 exec_lo, exec_lo, s29
.LBB327_761:                            ;   in Loop: Header=BB327_522 Depth=1
	s_or_b32 exec_lo, exec_lo, s28
	s_mov_b32 s28, exec_lo
	v_cmpx_lt_u64_e64 s[4:5], v[17:18]
	s_cbranch_execz .LBB327_769
; %bb.762:                              ;   in Loop: Header=BB327_522 Depth=1
	v_cmp_ne_u32_sdwa s1, v18, v32 src0_sel:BYTE_3 src1_sel:DWORD
	v_bfrev_b32_e32 v20, 1
	s_and_saveexec_b32 s29, s1
	s_cbranch_execz .LBB327_768
; %bb.763:                              ;   in Loop: Header=BB327_522 Depth=1
	v_bfe_u32 v77, v18, 24, 7
	v_mov_b32_e32 v20, 0x7f800001
	s_mov_b32 s30, exec_lo
	v_cmpx_ne_u32_e32 0x7f, v77
	s_cbranch_execz .LBB327_767
; %bb.764:                              ;   in Loop: Header=BB327_522 Depth=1
	v_and_b32_sdwa v9, v18, v39 dst_sel:DWORD dst_unused:UNUSED_PAD src0_sel:BYTE_3 src1_sel:DWORD
	v_lshrrev_b32_e32 v17, 3, v77
	s_mov_b32 s31, exec_lo
	v_cmpx_gt_u32_e32 8, v77
; %bb.765:                              ;   in Loop: Header=BB327_522 Depth=1
	v_ffbh_u32_e32 v0, v9
	v_min_u32_e32 v0, 32, v0
	v_subrev_nc_u32_e32 v17, 28, v0
	v_lshlrev_b64 v[77:78], v17, v[9:10]
	v_sub_nc_u32_e32 v17, 29, v0
	v_and_b32_e32 v9, 7, v77
; %bb.766:                              ;   in Loop: Header=BB327_522 Depth=1
	s_or_b32 exec_lo, exec_lo, s31
	v_lshlrev_b32_sdwa v0, v40, v18 dst_sel:DWORD dst_unused:UNUSED_PAD src0_sel:DWORD src1_sel:BYTE_3
	v_lshlrev_b32_e32 v9, 20, v9
	v_lshl_add_u32 v17, v17, 23, 0x3c000000
	v_and_b32_e32 v0, 0x80000000, v0
	v_or3_b32 v20, v9, v0, v17
.LBB327_767:                            ;   in Loop: Header=BB327_522 Depth=1
	s_or_b32 exec_lo, exec_lo, s30
.LBB327_768:                            ;   in Loop: Header=BB327_522 Depth=1
	s_or_b32 exec_lo, exec_lo, s29
.LBB327_769:                            ;   in Loop: Header=BB327_522 Depth=1
	s_or_b32 exec_lo, exec_lo, s28
	v_mul_f32_e32 v0, s27, v19
	v_mul_f32_e32 v9, s27, v75
	;; [unrolled: 1-line block ×5, first 2 shown]
	v_bfe_u32 v19, v0, 16, 1
	v_or_b32_e32 v33, 0x400000, v0
	v_bfe_u32 v34, v9, 16, 1
	v_cmp_u_f32_e64 s1, v0, v0
	v_or_b32_e32 v35, 0x400000, v9
	v_add3_u32 v19, v19, v0, 0x7fff
	v_bfe_u32 v71, v17, 16, 1
	v_add3_u32 v34, v34, v9, 0x7fff
	v_or_b32_e32 v74, 0x400000, v17
	v_bfe_u32 v75, v18, 16, 1
	v_cndmask_b32_e64 v0, v19, v33, s1
	v_cmp_u_f32_e64 s1, v9, v9
	v_add3_u32 v71, v71, v17, 0x7fff
	v_or_b32_e32 v33, 0x400000, v18
	v_add3_u32 v19, v75, v18, 0x7fff
	v_or_b32_e32 v75, 0x400000, v20
	v_cndmask_b32_e64 v9, v34, v35, s1
	v_cmp_u_f32_e64 s1, v17, v17
	v_cndmask_b32_e64 v17, v71, v74, s1
	v_lshrrev_b32_e32 v71, 16, v0
	v_mul_f32_e32 v0, s27, v72
	v_lshrrev_b32_e32 v72, 16, v9
	v_cmp_u_f32_e64 s1, v18, v18
	v_mul_f32_e32 v18, s27, v73
	v_lshrrev_b32_e32 v74, 16, v17
	v_bfe_u32 v9, v0, 16, 1
	v_cndmask_b32_e64 v17, v19, v33, s1
	v_mul_f32_e32 v19, s27, v76
	v_or_b32_e32 v33, 0x400000, v0
	v_add3_u32 v9, v9, v0, 0x7fff
	v_bfe_u32 v34, v18, 16, 1
	v_cmp_u_f32_e64 s1, v0, v0
	v_bfe_u32 v35, v19, 16, 1
	v_or_b32_e32 v73, 0x400000, v19
	v_lshrrev_b32_e32 v76, 16, v17
	v_cndmask_b32_e64 v0, v9, v33, s1
	v_add3_u32 v33, v34, v18, 0x7fff
	v_or_b32_e32 v34, 0x400000, v18
	v_cmp_u_f32_e64 s1, v18, v18
	v_bfe_u32 v9, v20, 16, 1
	v_add3_u32 v35, v35, v19, 0x7fff
	v_lshrrev_b32_e32 v78, 16, v0
	v_cndmask_b32_e64 v18, v33, v34, s1
	v_cmp_u_f32_e64 s1, v19, v19
	v_add3_u32 v9, v9, v20, 0x7fff
	v_lshrrev_b32_e32 v77, 16, v18
	v_cndmask_b32_e64 v19, v35, v73, s1
	v_cmp_u_f32_e64 s1, v20, v20
	v_lshrrev_b32_e32 v73, 16, v19
	v_cndmask_b32_e64 v9, v9, v75, s1
	v_lshrrev_b32_e32 v75, 16, v9
	s_and_saveexec_b32 s28, s0
	s_cbranch_execz .LBB327_771
; %bb.770:                              ;   in Loop: Header=BB327_522 Depth=1
	v_add_nc_u32_e32 v0, 1, v54
	v_cmp_gt_i32_e64 s1, s33, v54
	v_add_nc_u32_e32 v9, 2, v54
	v_add_nc_u32_e32 v17, 3, v54
	v_cndmask_b32_e64 v77, 0, v77, s1
	v_cmp_gt_i32_e64 s1, s33, v0
	v_add_nc_u32_e32 v0, 4, v54
	v_cndmask_b32_e64 v78, 0, v78, s1
	v_cmp_gt_i32_e64 s1, s33, v9
	v_add_nc_u32_e32 v9, 5, v54
	v_cndmask_b32_e64 v76, 0, v76, s1
	v_cmp_gt_i32_e64 s1, s33, v17
	v_add_nc_u32_e32 v17, 6, v54
	v_cndmask_b32_e64 v74, 0, v74, s1
	v_cmp_gt_i32_e64 s1, s33, v0
	v_add_nc_u32_e32 v0, 7, v54
	v_cndmask_b32_e64 v72, 0, v72, s1
	v_cmp_gt_i32_e64 s1, s33, v9
	v_cndmask_b32_e64 v71, 0, v71, s1
	v_cmp_gt_i32_e64 s1, s33, v17
	v_cndmask_b32_e64 v73, 0, v73, s1
	v_cmp_gt_i32_e64 s1, s33, v0
	v_cndmask_b32_e64 v75, 0, v75, s1
.LBB327_771:                            ;   in Loop: Header=BB327_522 Depth=1
	s_or_b32 exec_lo, exec_lo, s28
	global_load_dwordx2 v[17:18], v[15:16], off offset:1024
	v_mov_b32_e32 v80, 0
	v_mov_b32_e32 v81, 0
	s_waitcnt vmcnt(0)
	v_cmp_ne_u16_sdwa s1, v17, v10 src0_sel:BYTE_0 src1_sel:DWORD
	s_and_saveexec_b32 s28, s1
	s_cbranch_execz .LBB327_777
; %bb.772:                              ;   in Loop: Header=BB327_522 Depth=1
	v_cmp_ne_u16_sdwa s1, v17, v32 src0_sel:BYTE_0 src1_sel:DWORD
	v_bfrev_b32_e32 v81, 1
	s_and_saveexec_b32 s29, s1
	s_cbranch_execz .LBB327_776
; %bb.773:                              ;   in Loop: Header=BB327_522 Depth=1
	v_and_b32_e32 v9, 0x7f, v17
	v_mov_b32_e32 v81, 0x7f800001
	s_mov_b32 s30, exec_lo
	v_cmpx_ne_u32_e32 0x7f, v9
	s_cbranch_execz .LBB327_775
; %bb.774:                              ;   in Loop: Header=BB327_522 Depth=1
	v_and_b32_e32 v0, 7, v17
	v_cmp_gt_u32_e64 s1, 8, v9
	v_lshrrev_b32_e32 v19, 3, v9
	v_ffbh_u32_e32 v0, v0
	v_min_u32_e32 v0, 32, v0
	v_subrev_nc_u32_e32 v20, 28, v0
	v_sub_nc_u32_e32 v0, 29, v0
	v_cndmask_b32_e64 v9, 0, v20, s1
	v_cndmask_b32_e64 v0, v19, v0, s1
	v_lshlrev_b64 v[19:20], v9, v[17:18]
	v_lshlrev_b32_e32 v9, 24, v17
	v_lshl_add_u32 v0, v0, 23, 0x3c000000
	v_and_b32_e32 v9, 0x80000000, v9
	v_lshlrev_b32_e32 v19, 20, v19
	v_and_b32_e32 v19, 0x700000, v19
	v_or3_b32 v81, v19, v9, v0
.LBB327_775:                            ;   in Loop: Header=BB327_522 Depth=1
	s_or_b32 exec_lo, exec_lo, s30
.LBB327_776:                            ;   in Loop: Header=BB327_522 Depth=1
	s_or_b32 exec_lo, exec_lo, s29
.LBB327_777:                            ;   in Loop: Header=BB327_522 Depth=1
	s_or_b32 exec_lo, exec_lo, s28
	v_cmp_ne_u16_sdwa s1, v17, v10 src0_sel:BYTE_1 src1_sel:DWORD
	s_and_saveexec_b32 s28, s1
	s_cbranch_execz .LBB327_785
; %bb.778:                              ;   in Loop: Header=BB327_522 Depth=1
	v_cmp_ne_u16_sdwa s1, v17, v32 src0_sel:BYTE_1 src1_sel:DWORD
	v_bfrev_b32_e32 v80, 1
	s_and_saveexec_b32 s29, s1
	s_cbranch_execz .LBB327_784
; %bb.779:                              ;   in Loop: Header=BB327_522 Depth=1
	v_and_b32_sdwa v9, v37, v17 dst_sel:DWORD dst_unused:UNUSED_PAD src0_sel:DWORD src1_sel:BYTE_1
	v_mov_b32_e32 v80, 0x7f800001
	s_mov_b32 s30, exec_lo
	v_and_b32_e32 v20, 0x7f, v9
	v_cmpx_ne_u32_e32 0x7f, v20
	s_cbranch_execz .LBB327_783
; %bb.780:                              ;   in Loop: Header=BB327_522 Depth=1
	v_and_b32_e32 v9, 7, v9
	v_lshrrev_b32_e32 v19, 3, v20
	s_mov_b32 s31, exec_lo
	v_cmpx_gt_u32_e32 8, v20
; %bb.781:                              ;   in Loop: Header=BB327_522 Depth=1
	v_ffbh_u32_e32 v0, v9
	v_min_u32_e32 v0, 32, v0
	v_subrev_nc_u32_e32 v19, 28, v0
	v_lshlrev_b64 v[79:80], v19, v[9:10]
	v_sub_nc_u32_e32 v19, 29, v0
	v_and_b32_e32 v9, 7, v79
; %bb.782:                              ;   in Loop: Header=BB327_522 Depth=1
	s_or_b32 exec_lo, exec_lo, s31
	v_lshlrev_b32_e32 v0, 16, v17
	v_lshlrev_b32_e32 v9, 20, v9
	v_lshl_add_u32 v19, v19, 23, 0x3c000000
	v_and_b32_e32 v0, 0x80000000, v0
	v_or3_b32 v80, v9, v0, v19
.LBB327_783:                            ;   in Loop: Header=BB327_522 Depth=1
	s_or_b32 exec_lo, exec_lo, s30
.LBB327_784:                            ;   in Loop: Header=BB327_522 Depth=1
	s_or_b32 exec_lo, exec_lo, s29
.LBB327_785:                            ;   in Loop: Header=BB327_522 Depth=1
	s_or_b32 exec_lo, exec_lo, s28
	v_and_b32_sdwa v9, v17, v38 dst_sel:DWORD dst_unused:UNUSED_PAD src0_sel:WORD_1 src1_sel:DWORD
	v_mov_b32_e32 v82, 0
	v_mov_b32_e32 v79, 0
	s_mov_b32 s28, exec_lo
	v_cmpx_ne_u16_e32 0, v9
	s_cbranch_execz .LBB327_793
; %bb.786:                              ;   in Loop: Header=BB327_522 Depth=1
	v_bfrev_b32_e32 v79, 1
	s_mov_b32 s29, exec_lo
	v_cmpx_ne_u16_e32 0x80, v9
	s_cbranch_execz .LBB327_792
; %bb.787:                              ;   in Loop: Header=BB327_522 Depth=1
	v_bfe_u32 v20, v17, 16, 7
	v_mov_b32_e32 v79, 0x7f800001
	s_mov_b32 s30, exec_lo
	v_cmpx_ne_u32_e32 0x7f, v20
	s_cbranch_execz .LBB327_791
; %bb.788:                              ;   in Loop: Header=BB327_522 Depth=1
	v_and_b32_sdwa v9, v17, v39 dst_sel:DWORD dst_unused:UNUSED_PAD src0_sel:WORD_1 src1_sel:DWORD
	v_lshrrev_b32_e32 v19, 3, v20
	s_mov_b32 s31, exec_lo
	v_cmpx_gt_u32_e32 8, v20
; %bb.789:                              ;   in Loop: Header=BB327_522 Depth=1
	v_ffbh_u32_e32 v0, v9
	v_min_u32_e32 v0, 32, v0
	v_subrev_nc_u32_e32 v19, 28, v0
	v_lshlrev_b64 v[83:84], v19, v[9:10]
	v_sub_nc_u32_e32 v19, 29, v0
	v_and_b32_e32 v9, 7, v83
; %bb.790:                              ;   in Loop: Header=BB327_522 Depth=1
	s_or_b32 exec_lo, exec_lo, s31
	v_lshlrev_b32_sdwa v0, v40, v17 dst_sel:DWORD dst_unused:UNUSED_PAD src0_sel:DWORD src1_sel:WORD_1
	v_lshlrev_b32_e32 v9, 20, v9
	v_lshl_add_u32 v19, v19, 23, 0x3c000000
	v_and_b32_e32 v0, 0x80000000, v0
	v_or3_b32 v79, v9, v0, v19
.LBB327_791:                            ;   in Loop: Header=BB327_522 Depth=1
	s_or_b32 exec_lo, exec_lo, s30
.LBB327_792:                            ;   in Loop: Header=BB327_522 Depth=1
	s_or_b32 exec_lo, exec_lo, s29
.LBB327_793:                            ;   in Loop: Header=BB327_522 Depth=1
	s_or_b32 exec_lo, exec_lo, s28
	s_mov_b32 s28, exec_lo
	v_cmpx_lt_u32_e32 0xffffff, v17
	s_cbranch_execz .LBB327_801
; %bb.794:                              ;   in Loop: Header=BB327_522 Depth=1
	v_cmp_ne_u32_sdwa s1, v17, v32 src0_sel:BYTE_3 src1_sel:DWORD
	v_bfrev_b32_e32 v82, 1
	s_and_saveexec_b32 s29, s1
	s_cbranch_execz .LBB327_800
; %bb.795:                              ;   in Loop: Header=BB327_522 Depth=1
	v_bfe_u32 v20, v17, 24, 7
	v_mov_b32_e32 v82, 0x7f800001
	s_mov_b32 s30, exec_lo
	v_cmpx_ne_u32_e32 0x7f, v20
	s_cbranch_execz .LBB327_799
; %bb.796:                              ;   in Loop: Header=BB327_522 Depth=1
	v_and_b32_sdwa v9, v17, v39 dst_sel:DWORD dst_unused:UNUSED_PAD src0_sel:BYTE_3 src1_sel:DWORD
	v_lshrrev_b32_e32 v19, 3, v20
	s_mov_b32 s31, exec_lo
	v_cmpx_gt_u32_e32 8, v20
; %bb.797:                              ;   in Loop: Header=BB327_522 Depth=1
	v_ffbh_u32_e32 v0, v9
	v_min_u32_e32 v0, 32, v0
	v_subrev_nc_u32_e32 v19, 28, v0
	v_lshlrev_b64 v[82:83], v19, v[9:10]
	v_sub_nc_u32_e32 v19, 29, v0
	v_and_b32_e32 v9, 7, v82
; %bb.798:                              ;   in Loop: Header=BB327_522 Depth=1
	s_or_b32 exec_lo, exec_lo, s31
	v_lshlrev_b32_sdwa v0, v40, v17 dst_sel:DWORD dst_unused:UNUSED_PAD src0_sel:DWORD src1_sel:BYTE_3
	v_lshlrev_b32_e32 v9, 20, v9
	v_lshl_add_u32 v19, v19, 23, 0x3c000000
	v_and_b32_e32 v0, 0x80000000, v0
	v_or3_b32 v82, v9, v0, v19
.LBB327_799:                            ;   in Loop: Header=BB327_522 Depth=1
	s_or_b32 exec_lo, exec_lo, s30
.LBB327_800:                            ;   in Loop: Header=BB327_522 Depth=1
	s_or_b32 exec_lo, exec_lo, s29
.LBB327_801:                            ;   in Loop: Header=BB327_522 Depth=1
	s_or_b32 exec_lo, exec_lo, s28
	v_mov_b32_e32 v9, v18
	v_cmp_ne_u16_sdwa s1, v18, v10 src0_sel:BYTE_0 src1_sel:DWORD
	v_mov_b32_e32 v19, 0
	v_mov_b32_e32 v83, 0
	s_and_saveexec_b32 s28, s1
	s_cbranch_execz .LBB327_807
; %bb.802:                              ;   in Loop: Header=BB327_522 Depth=1
	v_cmp_ne_u16_sdwa s1, v18, v32 src0_sel:BYTE_0 src1_sel:DWORD
	v_bfrev_b32_e32 v83, 1
	s_and_saveexec_b32 s29, s1
	s_cbranch_execz .LBB327_806
; %bb.803:                              ;   in Loop: Header=BB327_522 Depth=1
	v_and_b32_e32 v20, 0x7f, v18
	v_mov_b32_e32 v83, 0x7f800001
	s_mov_b32 s30, exec_lo
	v_cmpx_ne_u32_e32 0x7f, v20
	s_cbranch_execz .LBB327_805
; %bb.804:                              ;   in Loop: Header=BB327_522 Depth=1
	v_and_b32_e32 v0, 7, v18
	v_cmp_gt_u32_e64 s1, 8, v20
	v_lshrrev_b32_e32 v33, 3, v20
	v_ffbh_u32_e32 v0, v0
	v_min_u32_e32 v0, 32, v0
	v_subrev_nc_u32_e32 v34, 28, v0
	v_sub_nc_u32_e32 v0, 29, v0
	v_cndmask_b32_e64 v20, 0, v34, s1
	v_cndmask_b32_e64 v0, v33, v0, s1
	v_lshlrev_b64 v[83:84], v20, v[9:10]
	v_lshlrev_b32_e32 v20, 24, v9
	v_lshl_add_u32 v0, v0, 23, 0x3c000000
	v_and_b32_e32 v20, 0x80000000, v20
	v_lshlrev_b32_e32 v33, 20, v83
	v_and_b32_e32 v33, 0x700000, v33
	v_or3_b32 v83, v33, v20, v0
.LBB327_805:                            ;   in Loop: Header=BB327_522 Depth=1
	s_or_b32 exec_lo, exec_lo, s30
.LBB327_806:                            ;   in Loop: Header=BB327_522 Depth=1
	s_or_b32 exec_lo, exec_lo, s29
.LBB327_807:                            ;   in Loop: Header=BB327_522 Depth=1
	s_or_b32 exec_lo, exec_lo, s28
	v_cmp_ne_u16_sdwa s1, v9, v10 src0_sel:BYTE_1 src1_sel:DWORD
	s_and_saveexec_b32 s28, s1
	s_cbranch_execz .LBB327_815
; %bb.808:                              ;   in Loop: Header=BB327_522 Depth=1
	v_cmp_ne_u16_sdwa s1, v9, v32 src0_sel:BYTE_1 src1_sel:DWORD
	v_bfrev_b32_e32 v19, 1
	s_and_saveexec_b32 s29, s1
	s_cbranch_execz .LBB327_814
; %bb.809:                              ;   in Loop: Header=BB327_522 Depth=1
	v_and_b32_sdwa v20, v37, v9 dst_sel:DWORD dst_unused:UNUSED_PAD src0_sel:DWORD src1_sel:BYTE_1
	v_mov_b32_e32 v19, 0x7f800001
	s_mov_b32 s30, exec_lo
	v_and_b32_e32 v85, 0x7f, v20
	v_cmpx_ne_u32_e32 0x7f, v85
	s_cbranch_execz .LBB327_813
; %bb.810:                              ;   in Loop: Header=BB327_522 Depth=1
	v_and_b32_e32 v19, 7, v20
	v_mov_b32_e32 v20, v10
	v_lshrrev_b32_e32 v84, 3, v85
	s_mov_b32 s31, exec_lo
	v_cmpx_gt_u32_e32 8, v85
; %bb.811:                              ;   in Loop: Header=BB327_522 Depth=1
	v_ffbh_u32_e32 v0, v19
	v_min_u32_e32 v0, 32, v0
	v_subrev_nc_u32_e32 v33, 28, v0
	v_sub_nc_u32_e32 v84, 29, v0
	v_lshlrev_b64 v[19:20], v33, v[19:20]
	v_and_b32_e32 v19, 7, v19
; %bb.812:                              ;   in Loop: Header=BB327_522 Depth=1
	s_or_b32 exec_lo, exec_lo, s31
	v_lshlrev_b32_e32 v0, 16, v9
	v_lshlrev_b32_e32 v9, 20, v19
	v_lshl_add_u32 v19, v84, 23, 0x3c000000
	v_and_b32_e32 v0, 0x80000000, v0
	v_or3_b32 v19, v9, v0, v19
.LBB327_813:                            ;   in Loop: Header=BB327_522 Depth=1
	s_or_b32 exec_lo, exec_lo, s30
.LBB327_814:                            ;   in Loop: Header=BB327_522 Depth=1
	s_or_b32 exec_lo, exec_lo, s29
.LBB327_815:                            ;   in Loop: Header=BB327_522 Depth=1
	s_or_b32 exec_lo, exec_lo, s28
	v_and_b32_sdwa v9, v18, v38 dst_sel:DWORD dst_unused:UNUSED_PAD src0_sel:WORD_1 src1_sel:DWORD
	v_mov_b32_e32 v20, 0
	v_mov_b32_e32 v84, 0
	s_mov_b32 s28, exec_lo
	v_cmpx_ne_u16_e32 0, v9
	s_cbranch_execz .LBB327_823
; %bb.816:                              ;   in Loop: Header=BB327_522 Depth=1
	v_bfrev_b32_e32 v84, 1
	s_mov_b32 s29, exec_lo
	v_cmpx_ne_u16_e32 0x80, v9
	s_cbranch_execz .LBB327_822
; %bb.817:                              ;   in Loop: Header=BB327_522 Depth=1
	v_bfe_u32 v85, v18, 16, 7
	v_mov_b32_e32 v84, 0x7f800001
	s_mov_b32 s30, exec_lo
	v_cmpx_ne_u32_e32 0x7f, v85
	s_cbranch_execz .LBB327_821
; %bb.818:                              ;   in Loop: Header=BB327_522 Depth=1
	v_and_b32_sdwa v9, v18, v39 dst_sel:DWORD dst_unused:UNUSED_PAD src0_sel:WORD_1 src1_sel:DWORD
	v_lshrrev_b32_e32 v84, 3, v85
	s_mov_b32 s31, exec_lo
	v_cmpx_gt_u32_e32 8, v85
; %bb.819:                              ;   in Loop: Header=BB327_522 Depth=1
	v_ffbh_u32_e32 v0, v9
	v_min_u32_e32 v0, 32, v0
	v_subrev_nc_u32_e32 v33, 28, v0
	v_sub_nc_u32_e32 v84, 29, v0
	v_lshlrev_b64 v[85:86], v33, v[9:10]
	v_and_b32_e32 v9, 7, v85
; %bb.820:                              ;   in Loop: Header=BB327_522 Depth=1
	s_or_b32 exec_lo, exec_lo, s31
	v_lshlrev_b32_sdwa v0, v40, v18 dst_sel:DWORD dst_unused:UNUSED_PAD src0_sel:DWORD src1_sel:WORD_1
	v_lshlrev_b32_e32 v9, 20, v9
	v_lshl_add_u32 v33, v84, 23, 0x3c000000
	v_and_b32_e32 v0, 0x80000000, v0
	v_or3_b32 v84, v9, v0, v33
.LBB327_821:                            ;   in Loop: Header=BB327_522 Depth=1
	s_or_b32 exec_lo, exec_lo, s30
.LBB327_822:                            ;   in Loop: Header=BB327_522 Depth=1
	s_or_b32 exec_lo, exec_lo, s29
.LBB327_823:                            ;   in Loop: Header=BB327_522 Depth=1
	s_or_b32 exec_lo, exec_lo, s28
	s_mov_b32 s28, exec_lo
	v_cmpx_lt_u64_e64 s[4:5], v[17:18]
	s_cbranch_execz .LBB327_831
; %bb.824:                              ;   in Loop: Header=BB327_522 Depth=1
	v_cmp_ne_u32_sdwa s1, v18, v32 src0_sel:BYTE_3 src1_sel:DWORD
	v_bfrev_b32_e32 v20, 1
	s_and_saveexec_b32 s29, s1
	s_cbranch_execz .LBB327_830
; %bb.825:                              ;   in Loop: Header=BB327_522 Depth=1
	v_bfe_u32 v85, v18, 24, 7
	v_mov_b32_e32 v20, 0x7f800001
	s_mov_b32 s30, exec_lo
	v_cmpx_ne_u32_e32 0x7f, v85
	s_cbranch_execz .LBB327_829
; %bb.826:                              ;   in Loop: Header=BB327_522 Depth=1
	v_and_b32_sdwa v9, v18, v39 dst_sel:DWORD dst_unused:UNUSED_PAD src0_sel:BYTE_3 src1_sel:DWORD
	v_lshrrev_b32_e32 v17, 3, v85
	s_mov_b32 s31, exec_lo
	v_cmpx_gt_u32_e32 8, v85
; %bb.827:                              ;   in Loop: Header=BB327_522 Depth=1
	v_ffbh_u32_e32 v0, v9
	v_min_u32_e32 v0, 32, v0
	v_subrev_nc_u32_e32 v17, 28, v0
	v_lshlrev_b64 v[85:86], v17, v[9:10]
	v_sub_nc_u32_e32 v17, 29, v0
	v_and_b32_e32 v9, 7, v85
; %bb.828:                              ;   in Loop: Header=BB327_522 Depth=1
	s_or_b32 exec_lo, exec_lo, s31
	v_lshlrev_b32_sdwa v0, v40, v18 dst_sel:DWORD dst_unused:UNUSED_PAD src0_sel:DWORD src1_sel:BYTE_3
	v_lshlrev_b32_e32 v9, 20, v9
	v_lshl_add_u32 v17, v17, 23, 0x3c000000
	v_and_b32_e32 v0, 0x80000000, v0
	v_or3_b32 v20, v9, v0, v17
.LBB327_829:                            ;   in Loop: Header=BB327_522 Depth=1
	s_or_b32 exec_lo, exec_lo, s30
.LBB327_830:                            ;   in Loop: Header=BB327_522 Depth=1
	s_or_b32 exec_lo, exec_lo, s29
.LBB327_831:                            ;   in Loop: Header=BB327_522 Depth=1
	s_or_b32 exec_lo, exec_lo, s28
	v_mul_f32_e32 v0, s27, v19
	v_mul_f32_e32 v9, s27, v83
	;; [unrolled: 1-line block ×5, first 2 shown]
	v_bfe_u32 v19, v0, 16, 1
	v_or_b32_e32 v33, 0x400000, v0
	v_bfe_u32 v34, v9, 16, 1
	v_cmp_u_f32_e64 s1, v0, v0
	v_or_b32_e32 v35, 0x400000, v9
	v_add3_u32 v19, v19, v0, 0x7fff
	v_bfe_u32 v79, v17, 16, 1
	v_add3_u32 v34, v34, v9, 0x7fff
	v_or_b32_e32 v82, 0x400000, v17
	v_bfe_u32 v83, v18, 16, 1
	v_cndmask_b32_e64 v0, v19, v33, s1
	v_cmp_u_f32_e64 s1, v9, v9
	v_add3_u32 v79, v79, v17, 0x7fff
	v_or_b32_e32 v33, 0x400000, v18
	v_add3_u32 v19, v83, v18, 0x7fff
	v_or_b32_e32 v83, 0x400000, v20
	v_cndmask_b32_e64 v9, v34, v35, s1
	v_cmp_u_f32_e64 s1, v17, v17
	v_cndmask_b32_e64 v17, v79, v82, s1
	v_lshrrev_b32_e32 v79, 16, v0
	v_mul_f32_e32 v0, s27, v80
	v_lshrrev_b32_e32 v80, 16, v9
	v_cmp_u_f32_e64 s1, v18, v18
	v_mul_f32_e32 v18, s27, v81
	v_lshrrev_b32_e32 v82, 16, v17
	v_bfe_u32 v9, v0, 16, 1
	v_cndmask_b32_e64 v17, v19, v33, s1
	v_mul_f32_e32 v19, s27, v84
	v_or_b32_e32 v33, 0x400000, v0
	v_add3_u32 v9, v9, v0, 0x7fff
	v_bfe_u32 v34, v18, 16, 1
	v_cmp_u_f32_e64 s1, v0, v0
	v_bfe_u32 v35, v19, 16, 1
	v_or_b32_e32 v81, 0x400000, v19
	v_lshrrev_b32_e32 v84, 16, v17
	v_cndmask_b32_e64 v0, v9, v33, s1
	v_add3_u32 v33, v34, v18, 0x7fff
	v_or_b32_e32 v34, 0x400000, v18
	v_cmp_u_f32_e64 s1, v18, v18
	v_bfe_u32 v9, v20, 16, 1
	v_add3_u32 v35, v35, v19, 0x7fff
	v_lshrrev_b32_e32 v86, 16, v0
	v_cndmask_b32_e64 v18, v33, v34, s1
	v_cmp_u_f32_e64 s1, v19, v19
	v_add3_u32 v9, v9, v20, 0x7fff
	v_lshrrev_b32_e32 v85, 16, v18
	v_cndmask_b32_e64 v19, v35, v81, s1
	v_cmp_u_f32_e64 s1, v20, v20
	v_lshrrev_b32_e32 v81, 16, v19
	v_cndmask_b32_e64 v9, v9, v83, s1
	v_lshrrev_b32_e32 v83, 16, v9
	s_and_saveexec_b32 s28, s0
	s_cbranch_execz .LBB327_833
; %bb.832:                              ;   in Loop: Header=BB327_522 Depth=1
	v_add_nc_u32_e32 v0, 1, v54
	v_cmp_gt_i32_e64 s1, s33, v54
	v_add_nc_u32_e32 v9, 2, v54
	v_add_nc_u32_e32 v17, 3, v54
	v_cndmask_b32_e64 v85, 0, v85, s1
	v_cmp_gt_i32_e64 s1, s33, v0
	v_add_nc_u32_e32 v0, 4, v54
	v_cndmask_b32_e64 v86, 0, v86, s1
	v_cmp_gt_i32_e64 s1, s33, v9
	;; [unrolled: 3-line block ×5, first 2 shown]
	v_cndmask_b32_e64 v79, 0, v79, s1
	v_cmp_gt_i32_e64 s1, s33, v17
	v_cndmask_b32_e64 v81, 0, v81, s1
	v_cmp_gt_i32_e64 s1, s33, v0
	v_cndmask_b32_e64 v83, 0, v83, s1
.LBB327_833:                            ;   in Loop: Header=BB327_522 Depth=1
	s_or_b32 exec_lo, exec_lo, s28
	global_load_dwordx2 v[17:18], v[15:16], off offset:1280
	v_mov_b32_e32 v88, 0
	v_mov_b32_e32 v87, 0
	s_waitcnt vmcnt(0)
	v_cmp_ne_u16_sdwa s1, v17, v10 src0_sel:BYTE_0 src1_sel:DWORD
	s_and_saveexec_b32 s28, s1
	s_cbranch_execz .LBB327_839
; %bb.834:                              ;   in Loop: Header=BB327_522 Depth=1
	v_cmp_ne_u16_sdwa s1, v17, v32 src0_sel:BYTE_0 src1_sel:DWORD
	v_bfrev_b32_e32 v87, 1
	s_and_saveexec_b32 s29, s1
	s_cbranch_execz .LBB327_838
; %bb.835:                              ;   in Loop: Header=BB327_522 Depth=1
	v_and_b32_e32 v9, 0x7f, v17
	v_mov_b32_e32 v87, 0x7f800001
	s_mov_b32 s30, exec_lo
	v_cmpx_ne_u32_e32 0x7f, v9
	s_cbranch_execz .LBB327_837
; %bb.836:                              ;   in Loop: Header=BB327_522 Depth=1
	v_and_b32_e32 v0, 7, v17
	v_cmp_gt_u32_e64 s1, 8, v9
	v_lshrrev_b32_e32 v19, 3, v9
	v_ffbh_u32_e32 v0, v0
	v_min_u32_e32 v0, 32, v0
	v_subrev_nc_u32_e32 v20, 28, v0
	v_sub_nc_u32_e32 v0, 29, v0
	v_cndmask_b32_e64 v9, 0, v20, s1
	v_cndmask_b32_e64 v0, v19, v0, s1
	v_lshlrev_b64 v[19:20], v9, v[17:18]
	v_lshlrev_b32_e32 v9, 24, v17
	v_lshl_add_u32 v0, v0, 23, 0x3c000000
	v_and_b32_e32 v9, 0x80000000, v9
	v_lshlrev_b32_e32 v19, 20, v19
	v_and_b32_e32 v19, 0x700000, v19
	v_or3_b32 v87, v19, v9, v0
.LBB327_837:                            ;   in Loop: Header=BB327_522 Depth=1
	s_or_b32 exec_lo, exec_lo, s30
.LBB327_838:                            ;   in Loop: Header=BB327_522 Depth=1
	s_or_b32 exec_lo, exec_lo, s29
.LBB327_839:                            ;   in Loop: Header=BB327_522 Depth=1
	s_or_b32 exec_lo, exec_lo, s28
	v_cmp_ne_u16_sdwa s1, v17, v10 src0_sel:BYTE_1 src1_sel:DWORD
	s_and_saveexec_b32 s28, s1
	s_cbranch_execz .LBB327_847
; %bb.840:                              ;   in Loop: Header=BB327_522 Depth=1
	v_cmp_ne_u16_sdwa s1, v17, v32 src0_sel:BYTE_1 src1_sel:DWORD
	v_bfrev_b32_e32 v88, 1
	s_and_saveexec_b32 s29, s1
	s_cbranch_execz .LBB327_846
; %bb.841:                              ;   in Loop: Header=BB327_522 Depth=1
	v_and_b32_sdwa v9, v37, v17 dst_sel:DWORD dst_unused:UNUSED_PAD src0_sel:DWORD src1_sel:BYTE_1
	v_mov_b32_e32 v88, 0x7f800001
	s_mov_b32 s30, exec_lo
	v_and_b32_e32 v20, 0x7f, v9
	v_cmpx_ne_u32_e32 0x7f, v20
	s_cbranch_execz .LBB327_845
; %bb.842:                              ;   in Loop: Header=BB327_522 Depth=1
	v_and_b32_e32 v9, 7, v9
	v_lshrrev_b32_e32 v19, 3, v20
	s_mov_b32 s31, exec_lo
	v_cmpx_gt_u32_e32 8, v20
; %bb.843:                              ;   in Loop: Header=BB327_522 Depth=1
	v_ffbh_u32_e32 v0, v9
	v_min_u32_e32 v0, 32, v0
	v_subrev_nc_u32_e32 v19, 28, v0
	v_lshlrev_b64 v[88:89], v19, v[9:10]
	v_sub_nc_u32_e32 v19, 29, v0
	v_and_b32_e32 v9, 7, v88
; %bb.844:                              ;   in Loop: Header=BB327_522 Depth=1
	s_or_b32 exec_lo, exec_lo, s31
	v_lshlrev_b32_e32 v0, 16, v17
	v_lshlrev_b32_e32 v9, 20, v9
	v_lshl_add_u32 v19, v19, 23, 0x3c000000
	v_and_b32_e32 v0, 0x80000000, v0
	v_or3_b32 v88, v9, v0, v19
.LBB327_845:                            ;   in Loop: Header=BB327_522 Depth=1
	s_or_b32 exec_lo, exec_lo, s30
.LBB327_846:                            ;   in Loop: Header=BB327_522 Depth=1
	s_or_b32 exec_lo, exec_lo, s29
.LBB327_847:                            ;   in Loop: Header=BB327_522 Depth=1
	s_or_b32 exec_lo, exec_lo, s28
	v_and_b32_sdwa v9, v17, v38 dst_sel:DWORD dst_unused:UNUSED_PAD src0_sel:WORD_1 src1_sel:DWORD
	v_mov_b32_e32 v90, 0
	v_mov_b32_e32 v89, 0
	s_mov_b32 s28, exec_lo
	v_cmpx_ne_u16_e32 0, v9
	s_cbranch_execz .LBB327_855
; %bb.848:                              ;   in Loop: Header=BB327_522 Depth=1
	v_bfrev_b32_e32 v89, 1
	s_mov_b32 s29, exec_lo
	v_cmpx_ne_u16_e32 0x80, v9
	s_cbranch_execz .LBB327_854
; %bb.849:                              ;   in Loop: Header=BB327_522 Depth=1
	v_bfe_u32 v20, v17, 16, 7
	v_mov_b32_e32 v89, 0x7f800001
	s_mov_b32 s30, exec_lo
	v_cmpx_ne_u32_e32 0x7f, v20
	s_cbranch_execz .LBB327_853
; %bb.850:                              ;   in Loop: Header=BB327_522 Depth=1
	v_and_b32_sdwa v9, v17, v39 dst_sel:DWORD dst_unused:UNUSED_PAD src0_sel:WORD_1 src1_sel:DWORD
	v_lshrrev_b32_e32 v19, 3, v20
	s_mov_b32 s31, exec_lo
	v_cmpx_gt_u32_e32 8, v20
; %bb.851:                              ;   in Loop: Header=BB327_522 Depth=1
	v_ffbh_u32_e32 v0, v9
	v_min_u32_e32 v0, 32, v0
	v_subrev_nc_u32_e32 v19, 28, v0
	v_lshlrev_b64 v[91:92], v19, v[9:10]
	v_sub_nc_u32_e32 v19, 29, v0
	v_and_b32_e32 v9, 7, v91
; %bb.852:                              ;   in Loop: Header=BB327_522 Depth=1
	s_or_b32 exec_lo, exec_lo, s31
	v_lshlrev_b32_sdwa v0, v40, v17 dst_sel:DWORD dst_unused:UNUSED_PAD src0_sel:DWORD src1_sel:WORD_1
	v_lshlrev_b32_e32 v9, 20, v9
	v_lshl_add_u32 v19, v19, 23, 0x3c000000
	v_and_b32_e32 v0, 0x80000000, v0
	v_or3_b32 v89, v9, v0, v19
.LBB327_853:                            ;   in Loop: Header=BB327_522 Depth=1
	s_or_b32 exec_lo, exec_lo, s30
.LBB327_854:                            ;   in Loop: Header=BB327_522 Depth=1
	s_or_b32 exec_lo, exec_lo, s29
.LBB327_855:                            ;   in Loop: Header=BB327_522 Depth=1
	s_or_b32 exec_lo, exec_lo, s28
	s_mov_b32 s28, exec_lo
	v_cmpx_lt_u32_e32 0xffffff, v17
	s_cbranch_execz .LBB327_863
; %bb.856:                              ;   in Loop: Header=BB327_522 Depth=1
	v_cmp_ne_u32_sdwa s1, v17, v32 src0_sel:BYTE_3 src1_sel:DWORD
	v_bfrev_b32_e32 v90, 1
	s_and_saveexec_b32 s29, s1
	s_cbranch_execz .LBB327_862
; %bb.857:                              ;   in Loop: Header=BB327_522 Depth=1
	v_bfe_u32 v20, v17, 24, 7
	v_mov_b32_e32 v90, 0x7f800001
	s_mov_b32 s30, exec_lo
	v_cmpx_ne_u32_e32 0x7f, v20
	s_cbranch_execz .LBB327_861
; %bb.858:                              ;   in Loop: Header=BB327_522 Depth=1
	v_and_b32_sdwa v9, v17, v39 dst_sel:DWORD dst_unused:UNUSED_PAD src0_sel:BYTE_3 src1_sel:DWORD
	v_lshrrev_b32_e32 v19, 3, v20
	s_mov_b32 s31, exec_lo
	v_cmpx_gt_u32_e32 8, v20
; %bb.859:                              ;   in Loop: Header=BB327_522 Depth=1
	v_ffbh_u32_e32 v0, v9
	v_min_u32_e32 v0, 32, v0
	v_subrev_nc_u32_e32 v19, 28, v0
	v_lshlrev_b64 v[90:91], v19, v[9:10]
	v_sub_nc_u32_e32 v19, 29, v0
	v_and_b32_e32 v9, 7, v90
; %bb.860:                              ;   in Loop: Header=BB327_522 Depth=1
	s_or_b32 exec_lo, exec_lo, s31
	v_lshlrev_b32_sdwa v0, v40, v17 dst_sel:DWORD dst_unused:UNUSED_PAD src0_sel:DWORD src1_sel:BYTE_3
	v_lshlrev_b32_e32 v9, 20, v9
	v_lshl_add_u32 v19, v19, 23, 0x3c000000
	v_and_b32_e32 v0, 0x80000000, v0
	v_or3_b32 v90, v9, v0, v19
.LBB327_861:                            ;   in Loop: Header=BB327_522 Depth=1
	s_or_b32 exec_lo, exec_lo, s30
.LBB327_862:                            ;   in Loop: Header=BB327_522 Depth=1
	s_or_b32 exec_lo, exec_lo, s29
.LBB327_863:                            ;   in Loop: Header=BB327_522 Depth=1
	s_or_b32 exec_lo, exec_lo, s28
	v_mov_b32_e32 v9, v18
	v_cmp_ne_u16_sdwa s1, v18, v10 src0_sel:BYTE_0 src1_sel:DWORD
	v_mov_b32_e32 v19, 0
	v_mov_b32_e32 v91, 0
	s_and_saveexec_b32 s28, s1
	s_cbranch_execz .LBB327_869
; %bb.864:                              ;   in Loop: Header=BB327_522 Depth=1
	v_cmp_ne_u16_sdwa s1, v18, v32 src0_sel:BYTE_0 src1_sel:DWORD
	v_bfrev_b32_e32 v91, 1
	s_and_saveexec_b32 s29, s1
	s_cbranch_execz .LBB327_868
; %bb.865:                              ;   in Loop: Header=BB327_522 Depth=1
	v_and_b32_e32 v20, 0x7f, v18
	v_mov_b32_e32 v91, 0x7f800001
	s_mov_b32 s30, exec_lo
	v_cmpx_ne_u32_e32 0x7f, v20
	s_cbranch_execz .LBB327_867
; %bb.866:                              ;   in Loop: Header=BB327_522 Depth=1
	v_and_b32_e32 v0, 7, v18
	v_cmp_gt_u32_e64 s1, 8, v20
	v_lshrrev_b32_e32 v33, 3, v20
	v_ffbh_u32_e32 v0, v0
	v_min_u32_e32 v0, 32, v0
	v_subrev_nc_u32_e32 v34, 28, v0
	v_sub_nc_u32_e32 v0, 29, v0
	v_cndmask_b32_e64 v20, 0, v34, s1
	v_cndmask_b32_e64 v0, v33, v0, s1
	v_lshlrev_b64 v[91:92], v20, v[9:10]
	v_lshlrev_b32_e32 v20, 24, v9
	v_lshl_add_u32 v0, v0, 23, 0x3c000000
	v_and_b32_e32 v20, 0x80000000, v20
	v_lshlrev_b32_e32 v33, 20, v91
	v_and_b32_e32 v33, 0x700000, v33
	v_or3_b32 v91, v33, v20, v0
.LBB327_867:                            ;   in Loop: Header=BB327_522 Depth=1
	s_or_b32 exec_lo, exec_lo, s30
.LBB327_868:                            ;   in Loop: Header=BB327_522 Depth=1
	s_or_b32 exec_lo, exec_lo, s29
.LBB327_869:                            ;   in Loop: Header=BB327_522 Depth=1
	s_or_b32 exec_lo, exec_lo, s28
	v_cmp_ne_u16_sdwa s1, v9, v10 src0_sel:BYTE_1 src1_sel:DWORD
	s_and_saveexec_b32 s28, s1
	s_cbranch_execz .LBB327_877
; %bb.870:                              ;   in Loop: Header=BB327_522 Depth=1
	v_cmp_ne_u16_sdwa s1, v9, v32 src0_sel:BYTE_1 src1_sel:DWORD
	v_bfrev_b32_e32 v19, 1
	s_and_saveexec_b32 s29, s1
	s_cbranch_execz .LBB327_876
; %bb.871:                              ;   in Loop: Header=BB327_522 Depth=1
	v_and_b32_sdwa v20, v37, v9 dst_sel:DWORD dst_unused:UNUSED_PAD src0_sel:DWORD src1_sel:BYTE_1
	v_mov_b32_e32 v19, 0x7f800001
	s_mov_b32 s30, exec_lo
	v_and_b32_e32 v93, 0x7f, v20
	v_cmpx_ne_u32_e32 0x7f, v93
	s_cbranch_execz .LBB327_875
; %bb.872:                              ;   in Loop: Header=BB327_522 Depth=1
	v_and_b32_e32 v19, 7, v20
	v_mov_b32_e32 v20, v10
	v_lshrrev_b32_e32 v92, 3, v93
	s_mov_b32 s31, exec_lo
	v_cmpx_gt_u32_e32 8, v93
; %bb.873:                              ;   in Loop: Header=BB327_522 Depth=1
	v_ffbh_u32_e32 v0, v19
	v_min_u32_e32 v0, 32, v0
	v_subrev_nc_u32_e32 v33, 28, v0
	v_sub_nc_u32_e32 v92, 29, v0
	v_lshlrev_b64 v[19:20], v33, v[19:20]
	v_and_b32_e32 v19, 7, v19
; %bb.874:                              ;   in Loop: Header=BB327_522 Depth=1
	s_or_b32 exec_lo, exec_lo, s31
	v_lshlrev_b32_e32 v0, 16, v9
	v_lshlrev_b32_e32 v9, 20, v19
	v_lshl_add_u32 v19, v92, 23, 0x3c000000
	v_and_b32_e32 v0, 0x80000000, v0
	v_or3_b32 v19, v9, v0, v19
.LBB327_875:                            ;   in Loop: Header=BB327_522 Depth=1
	s_or_b32 exec_lo, exec_lo, s30
.LBB327_876:                            ;   in Loop: Header=BB327_522 Depth=1
	s_or_b32 exec_lo, exec_lo, s29
.LBB327_877:                            ;   in Loop: Header=BB327_522 Depth=1
	s_or_b32 exec_lo, exec_lo, s28
	v_and_b32_sdwa v9, v18, v38 dst_sel:DWORD dst_unused:UNUSED_PAD src0_sel:WORD_1 src1_sel:DWORD
	v_mov_b32_e32 v92, 0
	v_mov_b32_e32 v93, 0
	s_mov_b32 s28, exec_lo
	v_cmpx_ne_u16_e32 0, v9
	s_cbranch_execz .LBB327_885
; %bb.878:                              ;   in Loop: Header=BB327_522 Depth=1
	v_bfrev_b32_e32 v93, 1
	s_mov_b32 s29, exec_lo
	v_cmpx_ne_u16_e32 0x80, v9
	s_cbranch_execz .LBB327_884
; %bb.879:                              ;   in Loop: Header=BB327_522 Depth=1
	v_bfe_u32 v94, v18, 16, 7
	v_mov_b32_e32 v93, 0x7f800001
	s_mov_b32 s30, exec_lo
	v_cmpx_ne_u32_e32 0x7f, v94
	s_cbranch_execz .LBB327_883
; %bb.880:                              ;   in Loop: Header=BB327_522 Depth=1
	v_and_b32_sdwa v9, v18, v39 dst_sel:DWORD dst_unused:UNUSED_PAD src0_sel:WORD_1 src1_sel:DWORD
	v_lshrrev_b32_e32 v20, 3, v94
	s_mov_b32 s31, exec_lo
	v_cmpx_gt_u32_e32 8, v94
; %bb.881:                              ;   in Loop: Header=BB327_522 Depth=1
	v_ffbh_u32_e32 v0, v9
	v_min_u32_e32 v0, 32, v0
	v_subrev_nc_u32_e32 v20, 28, v0
	v_lshlrev_b64 v[93:94], v20, v[9:10]
	v_sub_nc_u32_e32 v20, 29, v0
	v_and_b32_e32 v9, 7, v93
; %bb.882:                              ;   in Loop: Header=BB327_522 Depth=1
	s_or_b32 exec_lo, exec_lo, s31
	v_lshlrev_b32_sdwa v0, v40, v18 dst_sel:DWORD dst_unused:UNUSED_PAD src0_sel:DWORD src1_sel:WORD_1
	v_lshlrev_b32_e32 v9, 20, v9
	v_lshl_add_u32 v20, v20, 23, 0x3c000000
	v_and_b32_e32 v0, 0x80000000, v0
	v_or3_b32 v93, v9, v0, v20
.LBB327_883:                            ;   in Loop: Header=BB327_522 Depth=1
	s_or_b32 exec_lo, exec_lo, s30
.LBB327_884:                            ;   in Loop: Header=BB327_522 Depth=1
	s_or_b32 exec_lo, exec_lo, s29
.LBB327_885:                            ;   in Loop: Header=BB327_522 Depth=1
	s_or_b32 exec_lo, exec_lo, s28
	s_mov_b32 s28, exec_lo
	v_cmpx_lt_u64_e64 s[4:5], v[17:18]
	s_cbranch_execz .LBB327_893
; %bb.886:                              ;   in Loop: Header=BB327_522 Depth=1
	v_cmp_ne_u32_sdwa s1, v18, v32 src0_sel:BYTE_3 src1_sel:DWORD
	v_bfrev_b32_e32 v92, 1
	s_and_saveexec_b32 s29, s1
	s_cbranch_execz .LBB327_892
; %bb.887:                              ;   in Loop: Header=BB327_522 Depth=1
	v_bfe_u32 v20, v18, 24, 7
	v_mov_b32_e32 v92, 0x7f800001
	s_mov_b32 s30, exec_lo
	v_cmpx_ne_u32_e32 0x7f, v20
	s_cbranch_execz .LBB327_891
; %bb.888:                              ;   in Loop: Header=BB327_522 Depth=1
	v_and_b32_sdwa v9, v18, v39 dst_sel:DWORD dst_unused:UNUSED_PAD src0_sel:BYTE_3 src1_sel:DWORD
	v_lshrrev_b32_e32 v17, 3, v20
	s_mov_b32 s31, exec_lo
	v_cmpx_gt_u32_e32 8, v20
; %bb.889:                              ;   in Loop: Header=BB327_522 Depth=1
	v_ffbh_u32_e32 v0, v9
	v_min_u32_e32 v0, 32, v0
	v_subrev_nc_u32_e32 v17, 28, v0
	v_lshlrev_b64 v[94:95], v17, v[9:10]
	v_sub_nc_u32_e32 v17, 29, v0
	v_and_b32_e32 v9, 7, v94
; %bb.890:                              ;   in Loop: Header=BB327_522 Depth=1
	s_or_b32 exec_lo, exec_lo, s31
	v_lshlrev_b32_sdwa v0, v40, v18 dst_sel:DWORD dst_unused:UNUSED_PAD src0_sel:DWORD src1_sel:BYTE_3
	v_lshlrev_b32_e32 v9, 20, v9
	v_lshl_add_u32 v17, v17, 23, 0x3c000000
	v_and_b32_e32 v0, 0x80000000, v0
	v_or3_b32 v92, v9, v0, v17
.LBB327_891:                            ;   in Loop: Header=BB327_522 Depth=1
	s_or_b32 exec_lo, exec_lo, s30
.LBB327_892:                            ;   in Loop: Header=BB327_522 Depth=1
	s_or_b32 exec_lo, exec_lo, s29
.LBB327_893:                            ;   in Loop: Header=BB327_522 Depth=1
	s_or_b32 exec_lo, exec_lo, s28
	v_mul_f32_e32 v0, s27, v19
	v_mul_f32_e32 v9, s27, v91
	;; [unrolled: 1-line block ×4, first 2 shown]
	v_bfe_u32 v19, v0, 16, 1
	v_or_b32_e32 v20, 0x400000, v0
	v_bfe_u32 v33, v9, 16, 1
	v_cmp_u_f32_e64 s1, v0, v0
	v_or_b32_e32 v34, 0x400000, v9
	v_add3_u32 v19, v19, v0, 0x7fff
	v_bfe_u32 v35, v17, 16, 1
	v_add3_u32 v33, v33, v9, 0x7fff
	v_or_b32_e32 v89, 0x400000, v17
	v_bfe_u32 v90, v18, 16, 1
	v_cndmask_b32_e64 v0, v19, v20, s1
	v_cmp_u_f32_e64 s1, v9, v9
	v_add3_u32 v35, v35, v17, 0x7fff
	v_lshrrev_b32_e32 v20, 16, v0
	v_cndmask_b32_e64 v9, v33, v34, s1
	v_cmp_u_f32_e64 s1, v17, v17
	v_mul_f32_e32 v0, s27, v88
	v_add3_u32 v33, v90, v18, 0x7fff
	v_or_b32_e32 v34, 0x400000, v18
	v_lshrrev_b32_e32 v19, 16, v9
	v_cndmask_b32_e64 v17, v35, v89, s1
	v_bfe_u32 v9, v0, 16, 1
	v_cmp_u_f32_e64 s1, v18, v18
	v_mul_f32_e32 v18, s27, v87
	v_mul_f32_e32 v35, s27, v92
	v_lshrrev_b32_e32 v88, 16, v17
	v_add3_u32 v9, v9, v0, 0x7fff
	v_cndmask_b32_e64 v17, v33, v34, s1
	v_mul_f32_e32 v33, s27, v93
	v_or_b32_e32 v34, 0x400000, v0
	v_bfe_u32 v87, v18, 16, 1
	v_cmp_u_f32_e64 s1, v0, v0
	v_or_b32_e32 v91, 0x400000, v35
	v_bfe_u32 v89, v33, 16, 1
	v_or_b32_e32 v90, 0x400000, v33
	v_cndmask_b32_e64 v0, v9, v34, s1
	v_add3_u32 v34, v87, v18, 0x7fff
	v_or_b32_e32 v87, 0x400000, v18
	v_cmp_u_f32_e64 s1, v18, v18
	v_bfe_u32 v9, v35, 16, 1
	v_add3_u32 v89, v89, v33, 0x7fff
	v_lshrrev_b32_e32 v92, 16, v0
	v_cndmask_b32_e64 v18, v34, v87, s1
	v_cmp_u_f32_e64 s1, v33, v33
	v_add3_u32 v9, v9, v35, 0x7fff
	v_cndmask_b32_e64 v33, v89, v90, s1
	v_cmp_u_f32_e64 s1, v35, v35
	v_lshrrev_b32_e32 v90, 16, v17
	v_lshrrev_b32_e32 v87, 16, v33
	v_cndmask_b32_e64 v9, v9, v91, s1
	v_lshrrev_b32_e32 v91, 16, v18
	v_lshrrev_b32_e32 v89, 16, v9
	s_and_saveexec_b32 s28, s0
	s_cbranch_execz .LBB327_895
; %bb.894:                              ;   in Loop: Header=BB327_522 Depth=1
	v_add_nc_u32_e32 v0, 1, v54
	v_cmp_gt_i32_e64 s1, s33, v54
	v_add_nc_u32_e32 v9, 2, v54
	v_add_nc_u32_e32 v17, 3, v54
	v_cndmask_b32_e64 v91, 0, v91, s1
	v_cmp_gt_i32_e64 s1, s33, v0
	v_add_nc_u32_e32 v0, 4, v54
	v_cndmask_b32_e64 v92, 0, v92, s1
	v_cmp_gt_i32_e64 s1, s33, v9
	;; [unrolled: 3-line block ×5, first 2 shown]
	v_cndmask_b32_e64 v20, 0, v20, s1
	v_cmp_gt_i32_e64 s1, s33, v17
	v_cndmask_b32_e64 v87, 0, v87, s1
	v_cmp_gt_i32_e64 s1, s33, v0
	v_cndmask_b32_e64 v89, 0, v89, s1
.LBB327_895:                            ;   in Loop: Header=BB327_522 Depth=1
	s_or_b32 exec_lo, exec_lo, s28
	global_load_dwordx2 v[15:16], v[15:16], off offset:1536
	v_mov_b32_e32 v93, 0
	v_mov_b32_e32 v94, 0
	s_waitcnt vmcnt(0)
	v_cmp_ne_u16_sdwa s1, v15, v10 src0_sel:BYTE_0 src1_sel:DWORD
	s_and_saveexec_b32 s28, s1
	s_cbranch_execz .LBB327_901
; %bb.896:                              ;   in Loop: Header=BB327_522 Depth=1
	v_cmp_ne_u16_sdwa s1, v15, v32 src0_sel:BYTE_0 src1_sel:DWORD
	v_bfrev_b32_e32 v94, 1
	s_and_saveexec_b32 s29, s1
	s_cbranch_execz .LBB327_900
; %bb.897:                              ;   in Loop: Header=BB327_522 Depth=1
	v_and_b32_e32 v9, 0x7f, v15
	v_mov_b32_e32 v94, 0x7f800001
	s_mov_b32 s30, exec_lo
	v_cmpx_ne_u32_e32 0x7f, v9
	s_cbranch_execz .LBB327_899
; %bb.898:                              ;   in Loop: Header=BB327_522 Depth=1
	v_and_b32_e32 v0, 7, v15
	v_cmp_gt_u32_e64 s1, 8, v9
	v_lshrrev_b32_e32 v17, 3, v9
	v_ffbh_u32_e32 v0, v0
	v_min_u32_e32 v0, 32, v0
	v_subrev_nc_u32_e32 v18, 28, v0
	v_sub_nc_u32_e32 v0, 29, v0
	v_cndmask_b32_e64 v9, 0, v18, s1
	v_cndmask_b32_e64 v0, v17, v0, s1
	v_lshlrev_b64 v[17:18], v9, v[15:16]
	v_lshlrev_b32_e32 v9, 24, v15
	v_lshl_add_u32 v0, v0, 23, 0x3c000000
	v_and_b32_e32 v9, 0x80000000, v9
	v_lshlrev_b32_e32 v17, 20, v17
	v_and_b32_e32 v17, 0x700000, v17
	v_or3_b32 v94, v17, v9, v0
.LBB327_899:                            ;   in Loop: Header=BB327_522 Depth=1
	s_or_b32 exec_lo, exec_lo, s30
.LBB327_900:                            ;   in Loop: Header=BB327_522 Depth=1
	s_or_b32 exec_lo, exec_lo, s29
.LBB327_901:                            ;   in Loop: Header=BB327_522 Depth=1
	s_or_b32 exec_lo, exec_lo, s28
	v_cmp_ne_u16_sdwa s1, v15, v10 src0_sel:BYTE_1 src1_sel:DWORD
	s_and_saveexec_b32 s28, s1
	s_cbranch_execz .LBB327_909
; %bb.902:                              ;   in Loop: Header=BB327_522 Depth=1
	v_cmp_ne_u16_sdwa s1, v15, v32 src0_sel:BYTE_1 src1_sel:DWORD
	v_bfrev_b32_e32 v93, 1
	s_and_saveexec_b32 s29, s1
	s_cbranch_execz .LBB327_908
; %bb.903:                              ;   in Loop: Header=BB327_522 Depth=1
	v_and_b32_sdwa v9, v37, v15 dst_sel:DWORD dst_unused:UNUSED_PAD src0_sel:DWORD src1_sel:BYTE_1
	v_mov_b32_e32 v93, 0x7f800001
	s_mov_b32 s30, exec_lo
	v_and_b32_e32 v18, 0x7f, v9
	v_cmpx_ne_u32_e32 0x7f, v18
	s_cbranch_execz .LBB327_907
; %bb.904:                              ;   in Loop: Header=BB327_522 Depth=1
	v_and_b32_e32 v9, 7, v9
	v_lshrrev_b32_e32 v17, 3, v18
	s_mov_b32 s31, exec_lo
	v_cmpx_gt_u32_e32 8, v18
; %bb.905:                              ;   in Loop: Header=BB327_522 Depth=1
	v_ffbh_u32_e32 v0, v9
	v_min_u32_e32 v0, 32, v0
	v_subrev_nc_u32_e32 v17, 28, v0
	v_lshlrev_b64 v[95:96], v17, v[9:10]
	v_sub_nc_u32_e32 v17, 29, v0
	v_and_b32_e32 v9, 7, v95
; %bb.906:                              ;   in Loop: Header=BB327_522 Depth=1
	s_or_b32 exec_lo, exec_lo, s31
	v_lshlrev_b32_e32 v0, 16, v15
	v_lshlrev_b32_e32 v9, 20, v9
	v_lshl_add_u32 v17, v17, 23, 0x3c000000
	v_and_b32_e32 v0, 0x80000000, v0
	v_or3_b32 v93, v9, v0, v17
.LBB327_907:                            ;   in Loop: Header=BB327_522 Depth=1
	s_or_b32 exec_lo, exec_lo, s30
.LBB327_908:                            ;   in Loop: Header=BB327_522 Depth=1
	s_or_b32 exec_lo, exec_lo, s29
.LBB327_909:                            ;   in Loop: Header=BB327_522 Depth=1
	s_or_b32 exec_lo, exec_lo, s28
	v_and_b32_sdwa v9, v15, v38 dst_sel:DWORD dst_unused:UNUSED_PAD src0_sel:WORD_1 src1_sel:DWORD
	v_mov_b32_e32 v96, 0
	v_mov_b32_e32 v95, 0
	s_mov_b32 s28, exec_lo
	v_cmpx_ne_u16_e32 0, v9
	s_cbranch_execz .LBB327_917
; %bb.910:                              ;   in Loop: Header=BB327_522 Depth=1
	v_bfrev_b32_e32 v95, 1
	s_mov_b32 s29, exec_lo
	v_cmpx_ne_u16_e32 0x80, v9
	s_cbranch_execz .LBB327_916
; %bb.911:                              ;   in Loop: Header=BB327_522 Depth=1
	v_bfe_u32 v18, v15, 16, 7
	v_mov_b32_e32 v95, 0x7f800001
	s_mov_b32 s30, exec_lo
	v_cmpx_ne_u32_e32 0x7f, v18
	s_cbranch_execz .LBB327_915
; %bb.912:                              ;   in Loop: Header=BB327_522 Depth=1
	v_and_b32_sdwa v9, v15, v39 dst_sel:DWORD dst_unused:UNUSED_PAD src0_sel:WORD_1 src1_sel:DWORD
	v_lshrrev_b32_e32 v17, 3, v18
	s_mov_b32 s31, exec_lo
	v_cmpx_gt_u32_e32 8, v18
; %bb.913:                              ;   in Loop: Header=BB327_522 Depth=1
	v_ffbh_u32_e32 v0, v9
	v_min_u32_e32 v0, 32, v0
	v_subrev_nc_u32_e32 v17, 28, v0
	v_lshlrev_b64 v[97:98], v17, v[9:10]
	v_sub_nc_u32_e32 v17, 29, v0
	v_and_b32_e32 v9, 7, v97
; %bb.914:                              ;   in Loop: Header=BB327_522 Depth=1
	s_or_b32 exec_lo, exec_lo, s31
	v_lshlrev_b32_sdwa v0, v40, v15 dst_sel:DWORD dst_unused:UNUSED_PAD src0_sel:DWORD src1_sel:WORD_1
	v_lshlrev_b32_e32 v9, 20, v9
	v_lshl_add_u32 v17, v17, 23, 0x3c000000
	v_and_b32_e32 v0, 0x80000000, v0
	v_or3_b32 v95, v9, v0, v17
.LBB327_915:                            ;   in Loop: Header=BB327_522 Depth=1
	s_or_b32 exec_lo, exec_lo, s30
.LBB327_916:                            ;   in Loop: Header=BB327_522 Depth=1
	s_or_b32 exec_lo, exec_lo, s29
.LBB327_917:                            ;   in Loop: Header=BB327_522 Depth=1
	s_or_b32 exec_lo, exec_lo, s28
	s_mov_b32 s28, exec_lo
	v_cmpx_lt_u32_e32 0xffffff, v15
	s_cbranch_execz .LBB327_925
; %bb.918:                              ;   in Loop: Header=BB327_522 Depth=1
	v_cmp_ne_u32_sdwa s1, v15, v32 src0_sel:BYTE_3 src1_sel:DWORD
	v_bfrev_b32_e32 v96, 1
	s_and_saveexec_b32 s29, s1
	s_cbranch_execz .LBB327_924
; %bb.919:                              ;   in Loop: Header=BB327_522 Depth=1
	v_bfe_u32 v18, v15, 24, 7
	v_mov_b32_e32 v96, 0x7f800001
	s_mov_b32 s30, exec_lo
	v_cmpx_ne_u32_e32 0x7f, v18
	s_cbranch_execz .LBB327_923
; %bb.920:                              ;   in Loop: Header=BB327_522 Depth=1
	v_and_b32_sdwa v9, v15, v39 dst_sel:DWORD dst_unused:UNUSED_PAD src0_sel:BYTE_3 src1_sel:DWORD
	v_lshrrev_b32_e32 v17, 3, v18
	s_mov_b32 s31, exec_lo
	v_cmpx_gt_u32_e32 8, v18
; %bb.921:                              ;   in Loop: Header=BB327_522 Depth=1
	v_ffbh_u32_e32 v0, v9
	v_min_u32_e32 v0, 32, v0
	v_subrev_nc_u32_e32 v17, 28, v0
	v_lshlrev_b64 v[96:97], v17, v[9:10]
	v_sub_nc_u32_e32 v17, 29, v0
	v_and_b32_e32 v9, 7, v96
; %bb.922:                              ;   in Loop: Header=BB327_522 Depth=1
	s_or_b32 exec_lo, exec_lo, s31
	v_lshlrev_b32_sdwa v0, v40, v15 dst_sel:DWORD dst_unused:UNUSED_PAD src0_sel:DWORD src1_sel:BYTE_3
	v_lshlrev_b32_e32 v9, 20, v9
	v_lshl_add_u32 v17, v17, 23, 0x3c000000
	v_and_b32_e32 v0, 0x80000000, v0
	v_or3_b32 v96, v9, v0, v17
.LBB327_923:                            ;   in Loop: Header=BB327_522 Depth=1
	s_or_b32 exec_lo, exec_lo, s30
.LBB327_924:                            ;   in Loop: Header=BB327_522 Depth=1
	s_or_b32 exec_lo, exec_lo, s29
.LBB327_925:                            ;   in Loop: Header=BB327_522 Depth=1
	s_or_b32 exec_lo, exec_lo, s28
	v_mov_b32_e32 v9, v16
	v_cmp_ne_u16_sdwa s1, v16, v10 src0_sel:BYTE_0 src1_sel:DWORD
	v_mov_b32_e32 v17, 0
	v_mov_b32_e32 v97, 0
	s_and_saveexec_b32 s28, s1
	s_cbranch_execz .LBB327_931
; %bb.926:                              ;   in Loop: Header=BB327_522 Depth=1
	v_cmp_ne_u16_sdwa s1, v16, v32 src0_sel:BYTE_0 src1_sel:DWORD
	v_bfrev_b32_e32 v97, 1
	s_and_saveexec_b32 s29, s1
	s_cbranch_execz .LBB327_930
; %bb.927:                              ;   in Loop: Header=BB327_522 Depth=1
	v_and_b32_e32 v18, 0x7f, v16
	v_mov_b32_e32 v97, 0x7f800001
	s_mov_b32 s30, exec_lo
	v_cmpx_ne_u32_e32 0x7f, v18
	s_cbranch_execz .LBB327_929
; %bb.928:                              ;   in Loop: Header=BB327_522 Depth=1
	v_and_b32_e32 v0, 7, v16
	v_cmp_gt_u32_e64 s1, 8, v18
	v_lshrrev_b32_e32 v33, 3, v18
	v_ffbh_u32_e32 v0, v0
	v_min_u32_e32 v0, 32, v0
	v_subrev_nc_u32_e32 v34, 28, v0
	v_sub_nc_u32_e32 v0, 29, v0
	v_cndmask_b32_e64 v18, 0, v34, s1
	v_cndmask_b32_e64 v0, v33, v0, s1
	v_lshlrev_b64 v[97:98], v18, v[9:10]
	v_lshlrev_b32_e32 v18, 24, v9
	v_lshl_add_u32 v0, v0, 23, 0x3c000000
	v_and_b32_e32 v18, 0x80000000, v18
	v_lshlrev_b32_e32 v33, 20, v97
	v_and_b32_e32 v33, 0x700000, v33
	v_or3_b32 v97, v33, v18, v0
.LBB327_929:                            ;   in Loop: Header=BB327_522 Depth=1
	s_or_b32 exec_lo, exec_lo, s30
.LBB327_930:                            ;   in Loop: Header=BB327_522 Depth=1
	s_or_b32 exec_lo, exec_lo, s29
.LBB327_931:                            ;   in Loop: Header=BB327_522 Depth=1
	s_or_b32 exec_lo, exec_lo, s28
	v_cmp_ne_u16_sdwa s1, v9, v10 src0_sel:BYTE_1 src1_sel:DWORD
	s_and_saveexec_b32 s28, s1
	s_cbranch_execz .LBB327_939
; %bb.932:                              ;   in Loop: Header=BB327_522 Depth=1
	v_cmp_ne_u16_sdwa s1, v9, v32 src0_sel:BYTE_1 src1_sel:DWORD
	v_bfrev_b32_e32 v17, 1
	s_and_saveexec_b32 s29, s1
	s_cbranch_execz .LBB327_938
; %bb.933:                              ;   in Loop: Header=BB327_522 Depth=1
	v_and_b32_sdwa v18, v37, v9 dst_sel:DWORD dst_unused:UNUSED_PAD src0_sel:DWORD src1_sel:BYTE_1
	v_mov_b32_e32 v17, 0x7f800001
	s_mov_b32 s30, exec_lo
	v_and_b32_e32 v99, 0x7f, v18
	v_cmpx_ne_u32_e32 0x7f, v99
	s_cbranch_execz .LBB327_937
; %bb.934:                              ;   in Loop: Header=BB327_522 Depth=1
	v_and_b32_e32 v17, 7, v18
	v_mov_b32_e32 v18, v10
	v_lshrrev_b32_e32 v98, 3, v99
	s_mov_b32 s31, exec_lo
	v_cmpx_gt_u32_e32 8, v99
; %bb.935:                              ;   in Loop: Header=BB327_522 Depth=1
	v_ffbh_u32_e32 v0, v17
	v_min_u32_e32 v0, 32, v0
	v_subrev_nc_u32_e32 v33, 28, v0
	v_sub_nc_u32_e32 v98, 29, v0
	v_lshlrev_b64 v[17:18], v33, v[17:18]
	v_and_b32_e32 v17, 7, v17
; %bb.936:                              ;   in Loop: Header=BB327_522 Depth=1
	s_or_b32 exec_lo, exec_lo, s31
	v_lshlrev_b32_e32 v0, 16, v9
	v_lshlrev_b32_e32 v9, 20, v17
	v_lshl_add_u32 v17, v98, 23, 0x3c000000
	v_and_b32_e32 v0, 0x80000000, v0
	v_or3_b32 v17, v9, v0, v17
.LBB327_937:                            ;   in Loop: Header=BB327_522 Depth=1
	s_or_b32 exec_lo, exec_lo, s30
.LBB327_938:                            ;   in Loop: Header=BB327_522 Depth=1
	s_or_b32 exec_lo, exec_lo, s29
.LBB327_939:                            ;   in Loop: Header=BB327_522 Depth=1
	s_or_b32 exec_lo, exec_lo, s28
	v_and_b32_sdwa v9, v16, v38 dst_sel:DWORD dst_unused:UNUSED_PAD src0_sel:WORD_1 src1_sel:DWORD
	v_mov_b32_e32 v18, 0
	v_mov_b32_e32 v98, 0
	s_mov_b32 s28, exec_lo
	v_cmpx_ne_u16_e32 0, v9
	s_cbranch_execz .LBB327_947
; %bb.940:                              ;   in Loop: Header=BB327_522 Depth=1
	v_bfrev_b32_e32 v98, 1
	s_mov_b32 s29, exec_lo
	v_cmpx_ne_u16_e32 0x80, v9
	s_cbranch_execz .LBB327_946
; %bb.941:                              ;   in Loop: Header=BB327_522 Depth=1
	v_bfe_u32 v99, v16, 16, 7
	v_mov_b32_e32 v98, 0x7f800001
	s_mov_b32 s30, exec_lo
	v_cmpx_ne_u32_e32 0x7f, v99
	s_cbranch_execz .LBB327_945
; %bb.942:                              ;   in Loop: Header=BB327_522 Depth=1
	v_and_b32_sdwa v9, v16, v39 dst_sel:DWORD dst_unused:UNUSED_PAD src0_sel:WORD_1 src1_sel:DWORD
	v_lshrrev_b32_e32 v98, 3, v99
	s_mov_b32 s31, exec_lo
	v_cmpx_gt_u32_e32 8, v99
; %bb.943:                              ;   in Loop: Header=BB327_522 Depth=1
	v_ffbh_u32_e32 v0, v9
	v_min_u32_e32 v0, 32, v0
	v_subrev_nc_u32_e32 v33, 28, v0
	v_sub_nc_u32_e32 v98, 29, v0
	v_lshlrev_b64 v[99:100], v33, v[9:10]
	v_and_b32_e32 v9, 7, v99
; %bb.944:                              ;   in Loop: Header=BB327_522 Depth=1
	s_or_b32 exec_lo, exec_lo, s31
	v_lshlrev_b32_sdwa v0, v40, v16 dst_sel:DWORD dst_unused:UNUSED_PAD src0_sel:DWORD src1_sel:WORD_1
	v_lshlrev_b32_e32 v9, 20, v9
	v_lshl_add_u32 v33, v98, 23, 0x3c000000
	v_and_b32_e32 v0, 0x80000000, v0
	v_or3_b32 v98, v9, v0, v33
.LBB327_945:                            ;   in Loop: Header=BB327_522 Depth=1
	s_or_b32 exec_lo, exec_lo, s30
.LBB327_946:                            ;   in Loop: Header=BB327_522 Depth=1
	s_or_b32 exec_lo, exec_lo, s29
.LBB327_947:                            ;   in Loop: Header=BB327_522 Depth=1
	s_or_b32 exec_lo, exec_lo, s28
	s_mov_b32 s28, exec_lo
	v_cmpx_lt_u64_e64 s[4:5], v[15:16]
	s_cbranch_execz .LBB327_955
; %bb.948:                              ;   in Loop: Header=BB327_522 Depth=1
	v_cmp_ne_u32_sdwa s1, v16, v32 src0_sel:BYTE_3 src1_sel:DWORD
	v_bfrev_b32_e32 v18, 1
	s_and_saveexec_b32 s29, s1
	s_cbranch_execz .LBB327_954
; %bb.949:                              ;   in Loop: Header=BB327_522 Depth=1
	v_bfe_u32 v99, v16, 24, 7
	v_mov_b32_e32 v18, 0x7f800001
	s_mov_b32 s30, exec_lo
	v_cmpx_ne_u32_e32 0x7f, v99
	s_cbranch_execz .LBB327_953
; %bb.950:                              ;   in Loop: Header=BB327_522 Depth=1
	v_and_b32_sdwa v9, v16, v39 dst_sel:DWORD dst_unused:UNUSED_PAD src0_sel:BYTE_3 src1_sel:DWORD
	v_lshrrev_b32_e32 v15, 3, v99
	s_mov_b32 s31, exec_lo
	v_cmpx_gt_u32_e32 8, v99
; %bb.951:                              ;   in Loop: Header=BB327_522 Depth=1
	v_ffbh_u32_e32 v0, v9
	v_min_u32_e32 v0, 32, v0
	v_subrev_nc_u32_e32 v15, 28, v0
	v_lshlrev_b64 v[99:100], v15, v[9:10]
	v_sub_nc_u32_e32 v15, 29, v0
	v_and_b32_e32 v9, 7, v99
; %bb.952:                              ;   in Loop: Header=BB327_522 Depth=1
	s_or_b32 exec_lo, exec_lo, s31
	v_lshlrev_b32_sdwa v0, v40, v16 dst_sel:DWORD dst_unused:UNUSED_PAD src0_sel:DWORD src1_sel:BYTE_3
	v_lshlrev_b32_e32 v9, 20, v9
	v_lshl_add_u32 v15, v15, 23, 0x3c000000
	v_and_b32_e32 v0, 0x80000000, v0
	v_or3_b32 v18, v9, v0, v15
.LBB327_953:                            ;   in Loop: Header=BB327_522 Depth=1
	s_or_b32 exec_lo, exec_lo, s30
.LBB327_954:                            ;   in Loop: Header=BB327_522 Depth=1
	s_or_b32 exec_lo, exec_lo, s29
.LBB327_955:                            ;   in Loop: Header=BB327_522 Depth=1
	s_or_b32 exec_lo, exec_lo, s28
	v_mul_f32_e32 v0, s27, v17
	v_mul_f32_e32 v9, s27, v97
	;; [unrolled: 1-line block ×5, first 2 shown]
	v_bfe_u32 v16, v0, 16, 1
	v_or_b32_e32 v33, 0x400000, v0
	v_bfe_u32 v34, v9, 16, 1
	v_cmp_u_f32_e64 s1, v0, v0
	v_or_b32_e32 v35, 0x400000, v9
	v_add3_u32 v16, v16, v0, 0x7fff
	v_bfe_u32 v95, v15, 16, 1
	v_add3_u32 v34, v34, v9, 0x7fff
	v_or_b32_e32 v96, 0x400000, v15
	v_bfe_u32 v97, v17, 16, 1
	v_cndmask_b32_e64 v0, v16, v33, s1
	v_cmp_u_f32_e64 s1, v9, v9
	v_add3_u32 v95, v95, v15, 0x7fff
	v_lshrrev_b32_e32 v16, 16, v0
	v_cndmask_b32_e64 v9, v34, v35, s1
	v_cmp_u_f32_e64 s1, v15, v15
	v_mul_f32_e32 v0, s27, v93
	v_add3_u32 v34, v97, v17, 0x7fff
	v_or_b32_e32 v35, 0x400000, v17
	v_lshrrev_b32_e32 v15, 16, v9
	v_cndmask_b32_e64 v33, v95, v96, s1
	v_bfe_u32 v9, v0, 16, 1
	v_cmp_u_f32_e64 s1, v17, v17
	v_or_b32_e32 v97, 0x400000, v18
	v_lshrrev_b32_e32 v93, 16, v33
	v_mul_f32_e32 v33, s27, v94
	v_cndmask_b32_e64 v17, v34, v35, s1
	v_mul_f32_e32 v34, s27, v98
	v_add3_u32 v9, v9, v0, 0x7fff
	v_or_b32_e32 v35, 0x400000, v0
	v_bfe_u32 v94, v33, 16, 1
	v_cmp_u_f32_e64 s1, v0, v0
	v_bfe_u32 v95, v34, 16, 1
	v_or_b32_e32 v96, 0x400000, v34
	v_cndmask_b32_e64 v0, v9, v35, s1
	v_add3_u32 v35, v94, v33, 0x7fff
	v_or_b32_e32 v94, 0x400000, v33
	v_cmp_u_f32_e64 s1, v33, v33
	v_bfe_u32 v9, v18, 16, 1
	v_add3_u32 v95, v95, v34, 0x7fff
	v_cndmask_b32_e64 v33, v35, v94, s1
	v_cmp_u_f32_e64 s1, v34, v34
	v_add3_u32 v9, v9, v18, 0x7fff
	v_lshrrev_b32_e32 v94, 16, v17
	v_cndmask_b32_e64 v34, v95, v96, s1
	v_cmp_u_f32_e64 s1, v18, v18
	v_lshrrev_b32_e32 v96, 16, v0
	v_lshrrev_b32_e32 v95, 16, v33
	v_lshrrev_b32_e32 v17, 16, v34
	v_cndmask_b32_e64 v9, v9, v97, s1
	v_lshrrev_b32_e32 v18, 16, v9
	s_and_saveexec_b32 s28, s0
	s_cbranch_execz .LBB327_957
; %bb.956:                              ;   in Loop: Header=BB327_522 Depth=1
	v_add_nc_u32_e32 v0, 1, v54
	v_cmp_gt_i32_e64 s1, s33, v54
	v_add_nc_u32_e32 v9, 2, v54
	v_add_nc_u32_e32 v33, 3, v54
	v_cndmask_b32_e64 v95, 0, v95, s1
	v_cmp_gt_i32_e64 s1, s33, v0
	v_add_nc_u32_e32 v0, 4, v54
	v_cndmask_b32_e64 v96, 0, v96, s1
	v_cmp_gt_i32_e64 s1, s33, v9
	v_add_nc_u32_e32 v9, 5, v54
	v_cndmask_b32_e64 v94, 0, v94, s1
	v_cmp_gt_i32_e64 s1, s33, v33
	v_add_nc_u32_e32 v33, 6, v54
	v_cndmask_b32_e64 v93, 0, v93, s1
	v_cmp_gt_i32_e64 s1, s33, v0
	v_add_nc_u32_e32 v0, 7, v54
	v_cndmask_b32_e64 v15, 0, v15, s1
	v_cmp_gt_i32_e64 s1, s33, v9
	v_cndmask_b32_e64 v16, 0, v16, s1
	v_cmp_gt_i32_e64 s1, s33, v33
	v_cndmask_b32_e64 v17, 0, v17, s1
	v_cmp_gt_i32_e64 s1, s33, v0
	v_cndmask_b32_e64 v18, 0, v18, s1
.LBB327_957:                            ;   in Loop: Header=BB327_522 Depth=1
	s_or_b32 exec_lo, exec_lo, s28
	v_bfe_u32 v0, v5, 16, 1
	v_bfe_u32 v9, v6, 16, 1
	v_or_b32_e32 v33, 0x400000, v5
	v_cmp_u_f32_e64 s1, v5, v5
	v_or_b32_e32 v34, 0x400000, v6
	v_add3_u32 v0, v0, v5, 0x7fff
	v_bfe_u32 v35, v7, 16, 1
	v_add3_u32 v9, v9, v6, 0x7fff
	v_bfe_u32 v97, v8, 16, 1
	v_cndmask_b32_e64 v0, v0, v33, s1
	v_cmp_u_f32_e64 s1, v6, v6
	v_add3_u32 v6, v35, v7, 0x7fff
	v_bfe_u32 v33, v1, 16, 1
	v_or_b32_e32 v35, 0x400000, v8
	v_cndmask_b32_e64 v5, v9, v34, s1
	v_or_b32_e32 v9, 0x400000, v7
	v_cmp_u_f32_e64 s1, v7, v7
	v_add3_u32 v34, v97, v8, 0x7fff
	v_add3_u32 v7, v33, v1, 0x7fff
	v_or_b32_e32 v97, 0x400000, v4
	v_cndmask_b32_e64 v6, v6, v9, s1
	v_cmp_u_f32_e64 s1, v8, v8
	v_or_b32_e32 v9, 0x400000, v1
	v_bfe_u32 v8, v2, 16, 1
	v_cndmask_b32_e64 v33, v34, v35, s1
	v_cmp_u_f32_e64 s1, v1, v1
	v_bfe_u32 v34, v3, 16, 1
	v_add3_u32 v8, v8, v2, 0x7fff
	v_or_b32_e32 v35, 0x400000, v3
	v_cndmask_b32_e64 v1, v7, v9, s1
	v_or_b32_e32 v9, 0x400000, v2
	v_cmp_u_f32_e64 s1, v2, v2
	v_bfe_u32 v7, v4, 16, 1
	v_add3_u32 v34, v34, v3, 0x7fff
	v_cndmask_b32_e64 v2, v8, v9, s1
	v_cmp_u_f32_e64 s1, v3, v3
	v_add3_u32 v7, v7, v4, 0x7fff
	v_perm_b32 v8, v5, v0, 0x7060302
	v_cndmask_b32_e64 v3, v34, v35, s1
	v_cmp_u_f32_e64 s1, v4, v4
	v_cndmask_b32_e64 v4, v7, v97, s1
	v_perm_b32 v7, v33, v6, 0x7060302
	v_perm_b32 v6, v2, v1, 0x7060302
	v_perm_b32 v5, v4, v3, 0x7060302
	s_and_saveexec_b32 s28, vcc_lo
	s_cbranch_execz .LBB327_520
; %bb.958:                              ;   in Loop: Header=BB327_522 Depth=1
	v_add_co_u32 v1, s1, v13, v42
	v_add_co_ci_u32_e64 v2, null, 0, v14, s1
	v_mov_b32_e32 v14, 0
	v_mov_b32_e32 v13, 0
	global_load_dwordx2 v[1:2], v[1:2], off
	s_waitcnt vmcnt(0)
	v_cmp_ne_u16_sdwa s1, v1, v10 src0_sel:BYTE_0 src1_sel:DWORD
	s_and_saveexec_b32 s29, s1
	s_cbranch_execz .LBB327_964
; %bb.959:                              ;   in Loop: Header=BB327_522 Depth=1
	v_cmp_ne_u16_sdwa s1, v1, v32 src0_sel:BYTE_0 src1_sel:DWORD
	v_bfrev_b32_e32 v13, 1
	s_and_saveexec_b32 s30, s1
	s_cbranch_execz .LBB327_963
; %bb.960:                              ;   in Loop: Header=BB327_522 Depth=1
	v_and_b32_e32 v3, 0x7f, v1
	v_mov_b32_e32 v13, 0x7f800001
	s_mov_b32 s31, exec_lo
	v_cmpx_ne_u32_e32 0x7f, v3
	s_cbranch_execz .LBB327_962
; %bb.961:                              ;   in Loop: Header=BB327_522 Depth=1
	v_and_b32_e32 v0, 7, v1
	v_cmp_gt_u32_e64 s1, 8, v3
	v_lshrrev_b32_e32 v4, 3, v3
	v_ffbh_u32_e32 v0, v0
	v_min_u32_e32 v0, 32, v0
	v_subrev_nc_u32_e32 v9, 28, v0
	v_sub_nc_u32_e32 v0, 29, v0
	v_cndmask_b32_e64 v3, 0, v9, s1
	v_cndmask_b32_e64 v0, v4, v0, s1
	v_lshlrev_b64 v[3:4], v3, v[1:2]
	v_lshlrev_b32_e32 v4, 24, v1
	v_lshl_add_u32 v0, v0, 23, 0x3c000000
	v_lshlrev_b32_e32 v3, 20, v3
	v_and_b32_e32 v4, 0x80000000, v4
	v_and_b32_e32 v3, 0x700000, v3
	v_or3_b32 v13, v3, v4, v0
.LBB327_962:                            ;   in Loop: Header=BB327_522 Depth=1
	s_or_b32 exec_lo, exec_lo, s31
.LBB327_963:                            ;   in Loop: Header=BB327_522 Depth=1
	s_or_b32 exec_lo, exec_lo, s30
.LBB327_964:                            ;   in Loop: Header=BB327_522 Depth=1
	s_or_b32 exec_lo, exec_lo, s29
	v_cmp_ne_u16_sdwa s1, v1, v10 src0_sel:BYTE_1 src1_sel:DWORD
	s_and_saveexec_b32 s29, s1
	s_cbranch_execz .LBB327_972
; %bb.965:                              ;   in Loop: Header=BB327_522 Depth=1
	v_cmp_ne_u16_sdwa s1, v1, v32 src0_sel:BYTE_1 src1_sel:DWORD
	v_bfrev_b32_e32 v14, 1
	s_and_saveexec_b32 s30, s1
	s_cbranch_execz .LBB327_971
; %bb.966:                              ;   in Loop: Header=BB327_522 Depth=1
	v_and_b32_sdwa v3, v37, v1 dst_sel:DWORD dst_unused:UNUSED_PAD src0_sel:DWORD src1_sel:BYTE_1
	v_mov_b32_e32 v14, 0x7f800001
	s_mov_b32 s31, exec_lo
	v_and_b32_e32 v4, 0x7f, v3
	v_cmpx_ne_u32_e32 0x7f, v4
	s_cbranch_execz .LBB327_970
; %bb.967:                              ;   in Loop: Header=BB327_522 Depth=1
	v_and_b32_e32 v9, 7, v3
	v_lshrrev_b32_e32 v3, 3, v4
	s_mov_b32 s34, exec_lo
	v_cmpx_gt_u32_e32 8, v4
; %bb.968:                              ;   in Loop: Header=BB327_522 Depth=1
	v_ffbh_u32_e32 v0, v9
	v_min_u32_e32 v0, 32, v0
	v_subrev_nc_u32_e32 v3, 28, v0
	v_lshlrev_b64 v[97:98], v3, v[9:10]
	v_sub_nc_u32_e32 v3, 29, v0
	v_and_b32_e32 v9, 7, v97
; %bb.969:                              ;   in Loop: Header=BB327_522 Depth=1
	s_or_b32 exec_lo, exec_lo, s34
	v_lshlrev_b32_e32 v0, 16, v1
	v_lshlrev_b32_e32 v4, 20, v9
	v_lshl_add_u32 v3, v3, 23, 0x3c000000
	v_and_b32_e32 v0, 0x80000000, v0
	v_or3_b32 v14, v4, v0, v3
.LBB327_970:                            ;   in Loop: Header=BB327_522 Depth=1
	s_or_b32 exec_lo, exec_lo, s31
.LBB327_971:                            ;   in Loop: Header=BB327_522 Depth=1
	s_or_b32 exec_lo, exec_lo, s30
.LBB327_972:                            ;   in Loop: Header=BB327_522 Depth=1
	s_or_b32 exec_lo, exec_lo, s29
	v_and_b32_sdwa v3, v1, v38 dst_sel:DWORD dst_unused:UNUSED_PAD src0_sel:WORD_1 src1_sel:DWORD
	v_mov_b32_e32 v98, 0
	v_mov_b32_e32 v97, 0
	s_mov_b32 s29, exec_lo
	v_cmpx_ne_u16_e32 0, v3
	s_cbranch_execz .LBB327_980
; %bb.973:                              ;   in Loop: Header=BB327_522 Depth=1
	v_bfrev_b32_e32 v97, 1
	s_mov_b32 s30, exec_lo
	v_cmpx_ne_u16_e32 0x80, v3
	s_cbranch_execz .LBB327_979
; %bb.974:                              ;   in Loop: Header=BB327_522 Depth=1
	v_bfe_u32 v4, v1, 16, 7
	v_mov_b32_e32 v97, 0x7f800001
	s_mov_b32 s31, exec_lo
	v_cmpx_ne_u32_e32 0x7f, v4
	s_cbranch_execz .LBB327_978
; %bb.975:                              ;   in Loop: Header=BB327_522 Depth=1
	v_and_b32_sdwa v9, v1, v39 dst_sel:DWORD dst_unused:UNUSED_PAD src0_sel:WORD_1 src1_sel:DWORD
	v_lshrrev_b32_e32 v3, 3, v4
	s_mov_b32 s34, exec_lo
	v_cmpx_gt_u32_e32 8, v4
; %bb.976:                              ;   in Loop: Header=BB327_522 Depth=1
	v_ffbh_u32_e32 v0, v9
	v_min_u32_e32 v0, 32, v0
	v_subrev_nc_u32_e32 v3, 28, v0
	v_lshlrev_b64 v[99:100], v3, v[9:10]
	v_sub_nc_u32_e32 v3, 29, v0
	v_and_b32_e32 v9, 7, v99
; %bb.977:                              ;   in Loop: Header=BB327_522 Depth=1
	s_or_b32 exec_lo, exec_lo, s34
	v_lshlrev_b32_sdwa v0, v40, v1 dst_sel:DWORD dst_unused:UNUSED_PAD src0_sel:DWORD src1_sel:WORD_1
	v_lshlrev_b32_e32 v4, 20, v9
	v_lshl_add_u32 v3, v3, 23, 0x3c000000
	v_and_b32_e32 v0, 0x80000000, v0
	v_or3_b32 v97, v4, v0, v3
.LBB327_978:                            ;   in Loop: Header=BB327_522 Depth=1
	s_or_b32 exec_lo, exec_lo, s31
.LBB327_979:                            ;   in Loop: Header=BB327_522 Depth=1
	s_or_b32 exec_lo, exec_lo, s30
.LBB327_980:                            ;   in Loop: Header=BB327_522 Depth=1
	s_or_b32 exec_lo, exec_lo, s29
	s_mov_b32 s29, exec_lo
	v_cmpx_lt_u32_e32 0xffffff, v1
	s_cbranch_execz .LBB327_988
; %bb.981:                              ;   in Loop: Header=BB327_522 Depth=1
	v_cmp_ne_u32_sdwa s1, v1, v32 src0_sel:BYTE_3 src1_sel:DWORD
	v_bfrev_b32_e32 v98, 1
	s_and_saveexec_b32 s30, s1
	s_cbranch_execz .LBB327_987
; %bb.982:                              ;   in Loop: Header=BB327_522 Depth=1
	v_bfe_u32 v4, v1, 24, 7
	v_mov_b32_e32 v98, 0x7f800001
	s_mov_b32 s31, exec_lo
	v_cmpx_ne_u32_e32 0x7f, v4
	s_cbranch_execz .LBB327_986
; %bb.983:                              ;   in Loop: Header=BB327_522 Depth=1
	v_and_b32_sdwa v9, v1, v39 dst_sel:DWORD dst_unused:UNUSED_PAD src0_sel:BYTE_3 src1_sel:DWORD
	v_lshrrev_b32_e32 v3, 3, v4
	s_mov_b32 s34, exec_lo
	v_cmpx_gt_u32_e32 8, v4
; %bb.984:                              ;   in Loop: Header=BB327_522 Depth=1
	v_ffbh_u32_e32 v0, v9
	v_min_u32_e32 v0, 32, v0
	v_subrev_nc_u32_e32 v3, 28, v0
	v_lshlrev_b64 v[98:99], v3, v[9:10]
	v_sub_nc_u32_e32 v3, 29, v0
	v_and_b32_e32 v9, 7, v98
; %bb.985:                              ;   in Loop: Header=BB327_522 Depth=1
	s_or_b32 exec_lo, exec_lo, s34
	v_lshlrev_b32_sdwa v0, v40, v1 dst_sel:DWORD dst_unused:UNUSED_PAD src0_sel:DWORD src1_sel:BYTE_3
	v_lshlrev_b32_e32 v4, 20, v9
	v_lshl_add_u32 v3, v3, 23, 0x3c000000
	v_and_b32_e32 v0, 0x80000000, v0
	v_or3_b32 v98, v4, v0, v3
.LBB327_986:                            ;   in Loop: Header=BB327_522 Depth=1
	s_or_b32 exec_lo, exec_lo, s31
.LBB327_987:                            ;   in Loop: Header=BB327_522 Depth=1
	s_or_b32 exec_lo, exec_lo, s30
.LBB327_988:                            ;   in Loop: Header=BB327_522 Depth=1
	s_or_b32 exec_lo, exec_lo, s29
	v_mov_b32_e32 v9, v2
	v_cmp_ne_u16_sdwa s1, v2, v10 src0_sel:BYTE_0 src1_sel:DWORD
	v_mov_b32_e32 v3, 0
	v_mov_b32_e32 v99, 0
	s_and_saveexec_b32 s29, s1
	s_cbranch_execz .LBB327_994
; %bb.989:                              ;   in Loop: Header=BB327_522 Depth=1
	v_cmp_ne_u16_sdwa s1, v2, v32 src0_sel:BYTE_0 src1_sel:DWORD
	v_bfrev_b32_e32 v99, 1
	s_and_saveexec_b32 s30, s1
	s_cbranch_execz .LBB327_993
; %bb.990:                              ;   in Loop: Header=BB327_522 Depth=1
	v_and_b32_e32 v4, 0x7f, v2
	v_mov_b32_e32 v99, 0x7f800001
	s_mov_b32 s31, exec_lo
	v_cmpx_ne_u32_e32 0x7f, v4
	s_cbranch_execz .LBB327_992
; %bb.991:                              ;   in Loop: Header=BB327_522 Depth=1
	v_and_b32_e32 v0, 7, v2
	v_cmp_gt_u32_e64 s1, 8, v4
	v_lshrrev_b32_e32 v33, 3, v4
	v_ffbh_u32_e32 v0, v0
	v_min_u32_e32 v0, 32, v0
	v_subrev_nc_u32_e32 v34, 28, v0
	v_sub_nc_u32_e32 v0, 29, v0
	v_cndmask_b32_e64 v4, 0, v34, s1
	v_cndmask_b32_e64 v0, v33, v0, s1
	v_lshlrev_b64 v[99:100], v4, v[9:10]
	v_lshlrev_b32_e32 v4, 24, v9
	v_lshl_add_u32 v0, v0, 23, 0x3c000000
	v_and_b32_e32 v4, 0x80000000, v4
	v_lshlrev_b32_e32 v33, 20, v99
	v_and_b32_e32 v33, 0x700000, v33
	v_or3_b32 v99, v33, v4, v0
.LBB327_992:                            ;   in Loop: Header=BB327_522 Depth=1
	s_or_b32 exec_lo, exec_lo, s31
.LBB327_993:                            ;   in Loop: Header=BB327_522 Depth=1
	s_or_b32 exec_lo, exec_lo, s30
.LBB327_994:                            ;   in Loop: Header=BB327_522 Depth=1
	s_or_b32 exec_lo, exec_lo, s29
	v_cmp_ne_u16_sdwa s1, v9, v10 src0_sel:BYTE_1 src1_sel:DWORD
	s_and_saveexec_b32 s29, s1
	s_cbranch_execz .LBB327_1002
; %bb.995:                              ;   in Loop: Header=BB327_522 Depth=1
	v_cmp_ne_u16_sdwa s1, v9, v32 src0_sel:BYTE_1 src1_sel:DWORD
	v_bfrev_b32_e32 v3, 1
	s_and_saveexec_b32 s30, s1
	s_cbranch_execz .LBB327_1001
; %bb.996:                              ;   in Loop: Header=BB327_522 Depth=1
	v_and_b32_sdwa v4, v37, v9 dst_sel:DWORD dst_unused:UNUSED_PAD src0_sel:DWORD src1_sel:BYTE_1
	v_mov_b32_e32 v3, 0x7f800001
	s_mov_b32 s31, exec_lo
	v_and_b32_e32 v101, 0x7f, v4
	v_cmpx_ne_u32_e32 0x7f, v101
	s_cbranch_execz .LBB327_1000
; %bb.997:                              ;   in Loop: Header=BB327_522 Depth=1
	v_and_b32_e32 v3, 7, v4
	v_mov_b32_e32 v4, v10
	v_lshrrev_b32_e32 v100, 3, v101
	s_mov_b32 s34, exec_lo
	v_cmpx_gt_u32_e32 8, v101
; %bb.998:                              ;   in Loop: Header=BB327_522 Depth=1
	v_ffbh_u32_e32 v0, v3
	v_min_u32_e32 v0, 32, v0
	v_subrev_nc_u32_e32 v33, 28, v0
	v_sub_nc_u32_e32 v100, 29, v0
	v_lshlrev_b64 v[3:4], v33, v[3:4]
	v_and_b32_e32 v3, 7, v3
; %bb.999:                              ;   in Loop: Header=BB327_522 Depth=1
	s_or_b32 exec_lo, exec_lo, s34
	v_lshlrev_b32_e32 v0, 16, v9
	v_lshlrev_b32_e32 v3, 20, v3
	v_lshl_add_u32 v4, v100, 23, 0x3c000000
	v_and_b32_e32 v0, 0x80000000, v0
	v_or3_b32 v3, v3, v0, v4
.LBB327_1000:                           ;   in Loop: Header=BB327_522 Depth=1
	s_or_b32 exec_lo, exec_lo, s31
.LBB327_1001:                           ;   in Loop: Header=BB327_522 Depth=1
	s_or_b32 exec_lo, exec_lo, s30
.LBB327_1002:                           ;   in Loop: Header=BB327_522 Depth=1
	s_or_b32 exec_lo, exec_lo, s29
	v_and_b32_sdwa v9, v2, v38 dst_sel:DWORD dst_unused:UNUSED_PAD src0_sel:WORD_1 src1_sel:DWORD
	v_mov_b32_e32 v4, 0
	v_mov_b32_e32 v100, 0
	s_mov_b32 s29, exec_lo
	v_cmpx_ne_u16_e32 0, v9
	s_cbranch_execz .LBB327_1010
; %bb.1003:                             ;   in Loop: Header=BB327_522 Depth=1
	v_bfrev_b32_e32 v100, 1
	s_mov_b32 s30, exec_lo
	v_cmpx_ne_u16_e32 0x80, v9
	s_cbranch_execz .LBB327_1009
; %bb.1004:                             ;   in Loop: Header=BB327_522 Depth=1
	v_bfe_u32 v101, v2, 16, 7
	v_mov_b32_e32 v100, 0x7f800001
	s_mov_b32 s31, exec_lo
	v_cmpx_ne_u32_e32 0x7f, v101
	s_cbranch_execz .LBB327_1008
; %bb.1005:                             ;   in Loop: Header=BB327_522 Depth=1
	v_and_b32_sdwa v9, v2, v39 dst_sel:DWORD dst_unused:UNUSED_PAD src0_sel:WORD_1 src1_sel:DWORD
	v_lshrrev_b32_e32 v100, 3, v101
	s_mov_b32 s34, exec_lo
	v_cmpx_gt_u32_e32 8, v101
; %bb.1006:                             ;   in Loop: Header=BB327_522 Depth=1
	v_ffbh_u32_e32 v0, v9
	v_min_u32_e32 v0, 32, v0
	v_subrev_nc_u32_e32 v33, 28, v0
	v_sub_nc_u32_e32 v100, 29, v0
	v_lshlrev_b64 v[101:102], v33, v[9:10]
	v_and_b32_e32 v9, 7, v101
; %bb.1007:                             ;   in Loop: Header=BB327_522 Depth=1
	s_or_b32 exec_lo, exec_lo, s34
	v_lshlrev_b32_sdwa v0, v40, v2 dst_sel:DWORD dst_unused:UNUSED_PAD src0_sel:DWORD src1_sel:WORD_1
	v_lshlrev_b32_e32 v9, 20, v9
	v_lshl_add_u32 v33, v100, 23, 0x3c000000
	v_and_b32_e32 v0, 0x80000000, v0
	v_or3_b32 v100, v9, v0, v33
.LBB327_1008:                           ;   in Loop: Header=BB327_522 Depth=1
	s_or_b32 exec_lo, exec_lo, s31
.LBB327_1009:                           ;   in Loop: Header=BB327_522 Depth=1
	s_or_b32 exec_lo, exec_lo, s30
.LBB327_1010:                           ;   in Loop: Header=BB327_522 Depth=1
	s_or_b32 exec_lo, exec_lo, s29
	s_mov_b32 s29, exec_lo
	v_cmpx_lt_u64_e64 s[4:5], v[1:2]
	s_cbranch_execz .LBB327_1018
; %bb.1011:                             ;   in Loop: Header=BB327_522 Depth=1
	v_cmp_ne_u32_sdwa s1, v2, v32 src0_sel:BYTE_3 src1_sel:DWORD
	v_bfrev_b32_e32 v4, 1
	s_and_saveexec_b32 s30, s1
	s_cbranch_execz .LBB327_1017
; %bb.1012:                             ;   in Loop: Header=BB327_522 Depth=1
	v_bfe_u32 v101, v2, 24, 7
	v_mov_b32_e32 v4, 0x7f800001
	s_mov_b32 s31, exec_lo
	v_cmpx_ne_u32_e32 0x7f, v101
	s_cbranch_execz .LBB327_1016
; %bb.1013:                             ;   in Loop: Header=BB327_522 Depth=1
	v_and_b32_sdwa v9, v2, v39 dst_sel:DWORD dst_unused:UNUSED_PAD src0_sel:BYTE_3 src1_sel:DWORD
	v_lshrrev_b32_e32 v1, 3, v101
	s_mov_b32 s34, exec_lo
	v_cmpx_gt_u32_e32 8, v101
; %bb.1014:                             ;   in Loop: Header=BB327_522 Depth=1
	v_ffbh_u32_e32 v0, v9
	v_min_u32_e32 v0, 32, v0
	v_subrev_nc_u32_e32 v1, 28, v0
	v_lshlrev_b64 v[101:102], v1, v[9:10]
	v_sub_nc_u32_e32 v1, 29, v0
	v_and_b32_e32 v9, 7, v101
; %bb.1015:                             ;   in Loop: Header=BB327_522 Depth=1
	s_or_b32 exec_lo, exec_lo, s34
	v_lshlrev_b32_sdwa v0, v40, v2 dst_sel:DWORD dst_unused:UNUSED_PAD src0_sel:DWORD src1_sel:BYTE_3
	v_lshlrev_b32_e32 v2, 20, v9
	v_lshl_add_u32 v1, v1, 23, 0x3c000000
	v_and_b32_e32 v0, 0x80000000, v0
	v_or3_b32 v4, v2, v0, v1
.LBB327_1016:                           ;   in Loop: Header=BB327_522 Depth=1
	s_or_b32 exec_lo, exec_lo, s31
.LBB327_1017:                           ;   in Loop: Header=BB327_522 Depth=1
	s_or_b32 exec_lo, exec_lo, s30
.LBB327_1018:                           ;   in Loop: Header=BB327_522 Depth=1
	s_or_b32 exec_lo, exec_lo, s29
	v_mul_f32_e32 v0, s27, v3
	v_mul_f32_e32 v1, s27, v99
	;; [unrolled: 1-line block ×5, first 2 shown]
	v_bfe_u32 v9, v0, 16, 1
	v_or_b32_e32 v33, 0x400000, v0
	v_bfe_u32 v34, v1, 16, 1
	v_cmp_u_f32_e64 s1, v0, v0
	v_or_b32_e32 v35, 0x400000, v1
	v_add3_u32 v9, v9, v0, 0x7fff
	v_bfe_u32 v97, v2, 16, 1
	v_add3_u32 v34, v34, v1, 0x7fff
	v_or_b32_e32 v98, 0x400000, v2
	v_bfe_u32 v99, v3, 16, 1
	v_cndmask_b32_e64 v0, v9, v33, s1
	v_cmp_u_f32_e64 s1, v1, v1
	v_add3_u32 v97, v97, v2, 0x7fff
	v_mul_f32_e32 v4, s27, v4
	v_lshrrev_b32_e32 v1, 16, v0
	v_cndmask_b32_e64 v9, v34, v35, s1
	v_cmp_u_f32_e64 s1, v2, v2
	v_mul_f32_e32 v0, s27, v14
	v_add3_u32 v14, v99, v3, 0x7fff
	v_or_b32_e32 v34, 0x400000, v3
	v_lshrrev_b32_e32 v2, 16, v9
	v_cndmask_b32_e64 v33, v97, v98, s1
	v_cmp_u_f32_e64 s1, v3, v3
	v_bfe_u32 v35, v13, 16, 1
	v_or_b32_e32 v99, 0x400000, v4
	v_lshrrev_b32_e32 v9, 16, v33
	v_bfe_u32 v33, v0, 16, 1
	v_cndmask_b32_e64 v3, v14, v34, s1
	v_mul_f32_e32 v14, s27, v100
	v_or_b32_e32 v34, 0x400000, v0
	v_cmp_u_f32_e64 s1, v0, v0
	v_add3_u32 v33, v33, v0, 0x7fff
	v_bfe_u32 v97, v14, 16, 1
	v_or_b32_e32 v98, 0x400000, v14
	v_cndmask_b32_e64 v0, v33, v34, s1
	v_add3_u32 v34, v35, v13, 0x7fff
	v_or_b32_e32 v35, 0x400000, v13
	v_cmp_u_f32_e64 s1, v13, v13
	v_bfe_u32 v33, v4, 16, 1
	v_add3_u32 v97, v97, v14, 0x7fff
	v_lshrrev_b32_e32 v13, 16, v3
	v_cndmask_b32_e64 v34, v34, v35, s1
	v_cmp_u_f32_e64 s1, v14, v14
	v_add3_u32 v33, v33, v4, 0x7fff
	v_lshrrev_b32_e32 v14, 16, v0
	v_cndmask_b32_e64 v35, v97, v98, s1
	v_cmp_u_f32_e64 s1, v4, v4
	v_lshrrev_b32_e32 v97, 16, v34
	v_lshrrev_b32_e32 v4, 16, v35
	v_cndmask_b32_e64 v33, v33, v99, s1
	v_lshrrev_b32_e32 v3, 16, v33
	s_and_saveexec_b32 s1, s0
	s_cbranch_execz .LBB327_519
; %bb.1019:                             ;   in Loop: Header=BB327_522 Depth=1
	v_add_nc_u32_e32 v0, 1, v54
	v_cmp_gt_i32_e64 s0, s33, v54
	v_add_nc_u32_e32 v33, 2, v54
	v_add_nc_u32_e32 v34, 3, v54
	v_cndmask_b32_e64 v97, 0, v97, s0
	v_cmp_gt_i32_e64 s0, s33, v0
	v_add_nc_u32_e32 v0, 4, v54
	v_cndmask_b32_e64 v14, 0, v14, s0
	v_cmp_gt_i32_e64 s0, s33, v33
	;; [unrolled: 3-line block ×5, first 2 shown]
	v_cndmask_b32_e64 v1, 0, v1, s0
	v_cmp_gt_i32_e64 s0, s33, v34
	v_cndmask_b32_e64 v4, 0, v4, s0
	v_cmp_gt_i32_e64 s0, s33, v0
	v_cndmask_b32_e64 v3, 0, v3, s0
	s_branch .LBB327_519
.LBB327_1020:
	s_or_b32 exec_lo, exec_lo, s22
	v_mov_b32_e32 v14, v104
	v_mov_b32_e32 v13, v105
	;; [unrolled: 1-line block ×3, first 2 shown]
.LBB327_1021:
	s_or_b32 exec_lo, exec_lo, s12
	ds_bpermute_b32 v0, v22, v30
	ds_bpermute_b32 v1, v22, v29
	;; [unrolled: 1-line block ×8, first 2 shown]
	s_movk_i32 s0, 0x1e0
	v_cmp_eq_u32_e32 vcc_lo, 0, v13
	v_and_b32_e32 v13, 0x3c0, v14
	v_mad_u32_u24 v9, v52, s0, 0x110
	s_mov_b32 s1, exec_lo
	s_waitcnt lgkmcnt(0)
	s_barrier
	buffer_gl0_inv
	v_add_f32_e32 v8, v30, v0
	v_add_f32_e32 v7, v29, v1
	;; [unrolled: 1-line block ×8, first 2 shown]
	v_cmpx_eq_u32_e32 64, v13
	s_cbranch_execz .LBB327_1026
; %bb.1022:
	v_add_nc_u32_e32 v10, 0xfffffc40, v9
	s_and_saveexec_b32 s0, vcc_lo
	s_cbranch_execz .LBB327_1024
; %bb.1023:
	v_lshl_add_u32 v0, v21, 2, v10
	ds_write2_b32 v0, v8, v7 offset1:16
	ds_write2_b32 v0, v6, v5 offset0:32 offset1:48
	ds_write2_b32 v0, v4, v3 offset0:64 offset1:80
	ds_write_b32 v0, v2 offset:384
.LBB327_1024:
	s_or_b32 exec_lo, exec_lo, s0
	v_or_b32_e32 v11, 0x70, v21
	v_cmp_gt_u32_e64 s0, 0x78, v11
	s_and_b32 s0, vcc_lo, s0
	s_and_b32 exec_lo, exec_lo, s0
; %bb.1025:
	v_lshl_add_u32 v0, v11, 2, v10
	ds_write_b32 v0, v1
.LBB327_1026:
	s_or_b32 exec_lo, exec_lo, s1
	s_mov_b32 s1, exec_lo
	s_waitcnt lgkmcnt(0)
	s_barrier
	buffer_gl0_inv
	v_cmpx_gt_u32_e32 64, v14
	s_cbranch_execz .LBB327_1038
; %bb.1027:
	s_and_saveexec_b32 s0, vcc_lo
	s_cbranch_execnz .LBB327_1073
; %bb.1028:
	s_or_b32 exec_lo, exec_lo, s0
	s_and_saveexec_b32 s0, vcc_lo
	s_cbranch_execnz .LBB327_1074
.LBB327_1029:
	s_or_b32 exec_lo, exec_lo, s0
	s_and_saveexec_b32 s0, vcc_lo
	s_cbranch_execnz .LBB327_1075
.LBB327_1030:
	s_or_b32 exec_lo, exec_lo, s0
	s_and_saveexec_b32 s0, vcc_lo
	s_cbranch_execnz .LBB327_1076
.LBB327_1031:
	s_or_b32 exec_lo, exec_lo, s0
	s_and_saveexec_b32 s0, vcc_lo
	s_cbranch_execnz .LBB327_1077
.LBB327_1032:
	s_or_b32 exec_lo, exec_lo, s0
	s_and_saveexec_b32 s0, vcc_lo
	s_cbranch_execnz .LBB327_1078
.LBB327_1033:
	s_or_b32 exec_lo, exec_lo, s0
	s_and_saveexec_b32 s0, vcc_lo
	s_cbranch_execz .LBB327_1035
.LBB327_1034:
	v_lshl_add_u32 v0, v21, 2, v9
	ds_read_b32 v0, v0 offset:384
	s_waitcnt lgkmcnt(0)
	v_add_f32_e32 v2, v2, v0
.LBB327_1035:
	s_or_b32 exec_lo, exec_lo, s0
	v_or_b32_e32 v0, 0x70, v21
	v_cmp_gt_u32_e64 s0, 0x78, v0
	s_and_b32 s2, vcc_lo, s0
	s_and_saveexec_b32 s0, s2
	s_cbranch_execz .LBB327_1037
; %bb.1036:
	v_lshl_add_u32 v0, v21, 2, v9
	ds_read_b32 v0, v0 offset:448
	s_waitcnt lgkmcnt(0)
	v_add_f32_e32 v1, v1, v0
.LBB327_1037:
	s_or_b32 exec_lo, exec_lo, s0
.LBB327_1038:
	s_or_b32 exec_lo, exec_lo, s1
	v_and_b32_e32 v0, 0x3e0, v14
	s_mov_b32 s1, exec_lo
	s_barrier
	buffer_gl0_inv
	v_cmpx_eq_u32_e32 32, v0
	s_cbranch_execz .LBB327_1043
; %bb.1039:
	v_lshl_add_u32 v10, v21, 2, 0x110
	s_and_saveexec_b32 s0, vcc_lo
	s_cbranch_execz .LBB327_1041
; %bb.1040:
	ds_write2_b32 v10, v8, v7 offset1:16
	ds_write2_b32 v10, v6, v5 offset0:32 offset1:48
	ds_write2_b32 v10, v4, v3 offset0:64 offset1:80
	ds_write_b32 v10, v2 offset:384
.LBB327_1041:
	s_or_b32 exec_lo, exec_lo, s0
	v_or_b32_e32 v0, 0x70, v21
	v_cmp_gt_u32_e64 s0, 0x78, v0
	s_and_b32 s0, vcc_lo, s0
	s_and_b32 exec_lo, exec_lo, s0
; %bb.1042:
	ds_write_b32 v10, v1 offset:448
.LBB327_1043:
	s_or_b32 exec_lo, exec_lo, s1
	v_cmp_gt_u32_e64 s0, 32, v14
	s_waitcnt lgkmcnt(0)
	s_barrier
	buffer_gl0_inv
	s_and_saveexec_b32 s2, s0
	s_cbranch_execz .LBB327_1055
; %bb.1044:
	v_lshl_add_u32 v0, v21, 2, v9
	s_and_saveexec_b32 s1, vcc_lo
	s_cbranch_execnz .LBB327_1079
; %bb.1045:
	s_or_b32 exec_lo, exec_lo, s1
	s_and_saveexec_b32 s1, vcc_lo
	s_cbranch_execnz .LBB327_1080
.LBB327_1046:
	s_or_b32 exec_lo, exec_lo, s1
	s_and_saveexec_b32 s1, vcc_lo
	s_cbranch_execnz .LBB327_1081
.LBB327_1047:
	s_or_b32 exec_lo, exec_lo, s1
	s_and_saveexec_b32 s1, vcc_lo
	s_cbranch_execnz .LBB327_1082
.LBB327_1048:
	s_or_b32 exec_lo, exec_lo, s1
	s_and_saveexec_b32 s1, vcc_lo
	s_cbranch_execnz .LBB327_1083
.LBB327_1049:
	s_or_b32 exec_lo, exec_lo, s1
	s_and_saveexec_b32 s1, vcc_lo
	s_cbranch_execnz .LBB327_1084
.LBB327_1050:
	s_or_b32 exec_lo, exec_lo, s1
	s_and_saveexec_b32 s1, vcc_lo
	s_cbranch_execz .LBB327_1052
.LBB327_1051:
	ds_read_b32 v9, v0 offset:384
	s_waitcnt lgkmcnt(0)
	v_add_f32_e32 v2, v2, v9
.LBB327_1052:
	s_or_b32 exec_lo, exec_lo, s1
	v_or_b32_e32 v9, 0x70, v21
	v_cmp_gt_u32_e64 s1, 0x78, v9
	s_and_b32 s3, vcc_lo, s1
	s_and_saveexec_b32 s1, s3
	s_cbranch_execz .LBB327_1054
; %bb.1053:
	ds_read_b32 v0, v0 offset:448
	s_waitcnt lgkmcnt(0)
	v_add_f32_e32 v1, v1, v0
.LBB327_1054:
	s_or_b32 exec_lo, exec_lo, s1
.LBB327_1055:
	s_or_b32 exec_lo, exec_lo, s2
	s_barrier
	buffer_gl0_inv
	s_and_saveexec_b32 s1, s0
	s_cbranch_execz .LBB327_1072
; %bb.1056:
	s_mul_i32 s0, s10, s11
	s_mul_i32 s2, s11, s24
	;; [unrolled: 1-line block ×3, first 2 shown]
	v_lshlrev_b32_e32 v0, 1, v103
	s_mulk_i32 s0, 0x78
	s_ashr_i32 s1, s0, 31
	s_lshl_b64 s[0:1], s[0:1], 1
	s_add_u32 s4, s6, s0
	s_addc_u32 s5, s7, s1
	s_ashr_i32 s3, s2, 31
	s_lshl_b64 s[0:1], s[2:3], 1
	s_mul_i32 s2, s8, 0x78
	s_add_u32 s4, s4, s0
	s_addc_u32 s5, s5, s1
	s_ashr_i32 s3, s2, 31
	s_lshl_b64 s[0:1], s[2:3], 1
	s_add_u32 s2, s4, s0
	s_addc_u32 s3, s5, s1
	s_and_saveexec_b32 s1, vcc_lo
	s_cbranch_execz .LBB327_1058
; %bb.1057:
	v_bfe_u32 v9, v8, 16, 1
	v_or_b32_e32 v10, 0x400000, v8
	v_cmp_u_f32_e64 s0, v8, v8
	v_add3_u32 v9, v9, v8, 0x7fff
	v_cndmask_b32_e64 v8, v9, v10, s0
	global_store_short_d16_hi v0, v8, s[2:3]
.LBB327_1058:
	s_or_b32 exec_lo, exec_lo, s1
	v_or_b32_e32 v8, 16, v103
	v_cmp_gt_u32_e64 s0, 0x78, v8
	s_and_b32 s0, vcc_lo, s0
	s_and_saveexec_b32 s1, s0
	s_cbranch_execz .LBB327_1060
; %bb.1059:
	v_bfe_u32 v8, v7, 16, 1
	v_or_b32_e32 v9, 0x400000, v7
	v_cmp_u_f32_e64 s0, v7, v7
	v_add3_u32 v8, v8, v7, 0x7fff
	v_cndmask_b32_e64 v7, v8, v9, s0
	global_store_short_d16_hi v0, v7, s[2:3] offset:32
.LBB327_1060:
	s_or_b32 exec_lo, exec_lo, s1
	v_or_b32_e32 v7, 32, v103
	v_cmp_gt_u32_e64 s0, 0x78, v7
	s_and_b32 s0, vcc_lo, s0
	s_and_saveexec_b32 s1, s0
	s_cbranch_execz .LBB327_1062
; %bb.1061:
	v_bfe_u32 v7, v6, 16, 1
	v_or_b32_e32 v8, 0x400000, v6
	v_cmp_u_f32_e64 s0, v6, v6
	v_add3_u32 v7, v7, v6, 0x7fff
	v_cndmask_b32_e64 v6, v7, v8, s0
	global_store_short_d16_hi v0, v6, s[2:3] offset:64
.LBB327_1062:
	;; [unrolled: 14-line block ×6, first 2 shown]
	s_or_b32 exec_lo, exec_lo, s1
	v_or_b32_e32 v2, 0x70, v103
	v_cmp_gt_u32_e64 s0, 0x78, v2
	s_and_b32 s0, vcc_lo, s0
	s_and_b32 exec_lo, exec_lo, s0
	s_cbranch_execz .LBB327_1072
; %bb.1071:
	v_bfe_u32 v2, v1, 16, 1
	v_or_b32_e32 v3, 0x400000, v1
	v_cmp_u_f32_e32 vcc_lo, v1, v1
	v_add3_u32 v2, v2, v1, 0x7fff
	v_cndmask_b32_e32 v1, v2, v3, vcc_lo
	global_store_short_d16_hi v0, v1, s[2:3] offset:224
.LBB327_1072:
	s_endpgm
.LBB327_1073:
	v_lshl_add_u32 v0, v21, 2, v9
	ds_read_b32 v0, v0
	s_waitcnt lgkmcnt(0)
	v_add_f32_e32 v8, v8, v0
	s_or_b32 exec_lo, exec_lo, s0
	s_and_saveexec_b32 s0, vcc_lo
	s_cbranch_execz .LBB327_1029
.LBB327_1074:
	v_lshl_add_u32 v0, v21, 2, v9
	ds_read_b32 v0, v0 offset:64
	s_waitcnt lgkmcnt(0)
	v_add_f32_e32 v7, v7, v0
	s_or_b32 exec_lo, exec_lo, s0
	s_and_saveexec_b32 s0, vcc_lo
	s_cbranch_execz .LBB327_1030
.LBB327_1075:
	v_lshl_add_u32 v0, v21, 2, v9
	ds_read_b32 v0, v0 offset:128
	s_waitcnt lgkmcnt(0)
	v_add_f32_e32 v6, v6, v0
	s_or_b32 exec_lo, exec_lo, s0
	s_and_saveexec_b32 s0, vcc_lo
	s_cbranch_execz .LBB327_1031
.LBB327_1076:
	v_lshl_add_u32 v0, v21, 2, v9
	ds_read_b32 v0, v0 offset:192
	s_waitcnt lgkmcnt(0)
	v_add_f32_e32 v5, v5, v0
	s_or_b32 exec_lo, exec_lo, s0
	s_and_saveexec_b32 s0, vcc_lo
	s_cbranch_execz .LBB327_1032
.LBB327_1077:
	v_lshl_add_u32 v0, v21, 2, v9
	ds_read_b32 v0, v0 offset:256
	s_waitcnt lgkmcnt(0)
	v_add_f32_e32 v4, v4, v0
	s_or_b32 exec_lo, exec_lo, s0
	s_and_saveexec_b32 s0, vcc_lo
	s_cbranch_execz .LBB327_1033
.LBB327_1078:
	v_lshl_add_u32 v0, v21, 2, v9
	ds_read_b32 v0, v0 offset:320
	s_waitcnt lgkmcnt(0)
	v_add_f32_e32 v3, v3, v0
	s_or_b32 exec_lo, exec_lo, s0
	s_and_saveexec_b32 s0, vcc_lo
	s_cbranch_execnz .LBB327_1034
	s_branch .LBB327_1035
.LBB327_1079:
	ds_read_b32 v9, v0
	s_waitcnt lgkmcnt(0)
	v_add_f32_e32 v8, v8, v9
	s_or_b32 exec_lo, exec_lo, s1
	s_and_saveexec_b32 s1, vcc_lo
	s_cbranch_execz .LBB327_1046
.LBB327_1080:
	ds_read_b32 v9, v0 offset:64
	s_waitcnt lgkmcnt(0)
	v_add_f32_e32 v7, v7, v9
	s_or_b32 exec_lo, exec_lo, s1
	s_and_saveexec_b32 s1, vcc_lo
	s_cbranch_execz .LBB327_1047
.LBB327_1081:
	ds_read_b32 v9, v0 offset:128
	s_waitcnt lgkmcnt(0)
	v_add_f32_e32 v6, v6, v9
	s_or_b32 exec_lo, exec_lo, s1
	s_and_saveexec_b32 s1, vcc_lo
	s_cbranch_execz .LBB327_1048
.LBB327_1082:
	ds_read_b32 v9, v0 offset:192
	s_waitcnt lgkmcnt(0)
	v_add_f32_e32 v5, v5, v9
	s_or_b32 exec_lo, exec_lo, s1
	s_and_saveexec_b32 s1, vcc_lo
	s_cbranch_execz .LBB327_1049
.LBB327_1083:
	ds_read_b32 v9, v0 offset:256
	s_waitcnt lgkmcnt(0)
	v_add_f32_e32 v4, v4, v9
	s_or_b32 exec_lo, exec_lo, s1
	s_and_saveexec_b32 s1, vcc_lo
	s_cbranch_execz .LBB327_1050
.LBB327_1084:
	ds_read_b32 v9, v0 offset:320
	s_waitcnt lgkmcnt(0)
	v_add_f32_e32 v3, v3, v9
	s_or_b32 exec_lo, exec_lo, s1
	s_and_saveexec_b32 s1, vcc_lo
	s_cbranch_execnz .LBB327_1051
	s_branch .LBB327_1052
	.section	.rodata,"a",@progbits
	.p2align	6, 0x0
	.amdhsa_kernel _ZN4vllm25paged_attention_v1_kernelI14__hip_bfloat16hLi120ELi16ELi128ELNS_18Fp8KVCacheDataTypeE1ELb1EEEvPT_PKS3_PKT0_S9_ifPKiSB_iPKfiiiSD_SD_iiiii
		.amdhsa_group_segment_fixed_size 272
		.amdhsa_private_segment_fixed_size 40
		.amdhsa_kernarg_size 384
		.amdhsa_user_sgpr_count 6
		.amdhsa_user_sgpr_private_segment_buffer 1
		.amdhsa_user_sgpr_dispatch_ptr 0
		.amdhsa_user_sgpr_queue_ptr 0
		.amdhsa_user_sgpr_kernarg_segment_ptr 1
		.amdhsa_user_sgpr_dispatch_id 0
		.amdhsa_user_sgpr_flat_scratch_init 0
		.amdhsa_user_sgpr_private_segment_size 0
		.amdhsa_wavefront_size32 1
		.amdhsa_uses_dynamic_stack 0
		.amdhsa_system_sgpr_private_segment_wavefront_offset 1
		.amdhsa_system_sgpr_workgroup_id_x 1
		.amdhsa_system_sgpr_workgroup_id_y 1
		.amdhsa_system_sgpr_workgroup_id_z 1
		.amdhsa_system_sgpr_workgroup_info 0
		.amdhsa_system_vgpr_workitem_id 0
		.amdhsa_next_free_vgpr 128
		.amdhsa_next_free_sgpr 52
		.amdhsa_reserve_vcc 1
		.amdhsa_reserve_flat_scratch 0
		.amdhsa_float_round_mode_32 0
		.amdhsa_float_round_mode_16_64 0
		.amdhsa_float_denorm_mode_32 3
		.amdhsa_float_denorm_mode_16_64 3
		.amdhsa_dx10_clamp 1
		.amdhsa_ieee_mode 1
		.amdhsa_fp16_overflow 0
		.amdhsa_workgroup_processor_mode 1
		.amdhsa_memory_ordered 1
		.amdhsa_forward_progress 1
		.amdhsa_shared_vgpr_count 0
		.amdhsa_exception_fp_ieee_invalid_op 0
		.amdhsa_exception_fp_denorm_src 0
		.amdhsa_exception_fp_ieee_div_zero 0
		.amdhsa_exception_fp_ieee_overflow 0
		.amdhsa_exception_fp_ieee_underflow 0
		.amdhsa_exception_fp_ieee_inexact 0
		.amdhsa_exception_int_div_zero 0
	.end_amdhsa_kernel
	.section	.text._ZN4vllm25paged_attention_v1_kernelI14__hip_bfloat16hLi120ELi16ELi128ELNS_18Fp8KVCacheDataTypeE1ELb1EEEvPT_PKS3_PKT0_S9_ifPKiSB_iPKfiiiSD_SD_iiiii,"axG",@progbits,_ZN4vllm25paged_attention_v1_kernelI14__hip_bfloat16hLi120ELi16ELi128ELNS_18Fp8KVCacheDataTypeE1ELb1EEEvPT_PKS3_PKT0_S9_ifPKiSB_iPKfiiiSD_SD_iiiii,comdat
.Lfunc_end327:
	.size	_ZN4vllm25paged_attention_v1_kernelI14__hip_bfloat16hLi120ELi16ELi128ELNS_18Fp8KVCacheDataTypeE1ELb1EEEvPT_PKS3_PKT0_S9_ifPKiSB_iPKfiiiSD_SD_iiiii, .Lfunc_end327-_ZN4vllm25paged_attention_v1_kernelI14__hip_bfloat16hLi120ELi16ELi128ELNS_18Fp8KVCacheDataTypeE1ELb1EEEvPT_PKS3_PKT0_S9_ifPKiSB_iPKfiiiSD_SD_iiiii
                                        ; -- End function
	.set _ZN4vllm25paged_attention_v1_kernelI14__hip_bfloat16hLi120ELi16ELi128ELNS_18Fp8KVCacheDataTypeE1ELb1EEEvPT_PKS3_PKT0_S9_ifPKiSB_iPKfiiiSD_SD_iiiii.num_vgpr, 128
	.set _ZN4vllm25paged_attention_v1_kernelI14__hip_bfloat16hLi120ELi16ELi128ELNS_18Fp8KVCacheDataTypeE1ELb1EEEvPT_PKS3_PKT0_S9_ifPKiSB_iPKfiiiSD_SD_iiiii.num_agpr, 0
	.set _ZN4vllm25paged_attention_v1_kernelI14__hip_bfloat16hLi120ELi16ELi128ELNS_18Fp8KVCacheDataTypeE1ELb1EEEvPT_PKS3_PKT0_S9_ifPKiSB_iPKfiiiSD_SD_iiiii.numbered_sgpr, 52
	.set _ZN4vllm25paged_attention_v1_kernelI14__hip_bfloat16hLi120ELi16ELi128ELNS_18Fp8KVCacheDataTypeE1ELb1EEEvPT_PKS3_PKT0_S9_ifPKiSB_iPKfiiiSD_SD_iiiii.num_named_barrier, 0
	.set _ZN4vllm25paged_attention_v1_kernelI14__hip_bfloat16hLi120ELi16ELi128ELNS_18Fp8KVCacheDataTypeE1ELb1EEEvPT_PKS3_PKT0_S9_ifPKiSB_iPKfiiiSD_SD_iiiii.private_seg_size, 40
	.set _ZN4vllm25paged_attention_v1_kernelI14__hip_bfloat16hLi120ELi16ELi128ELNS_18Fp8KVCacheDataTypeE1ELb1EEEvPT_PKS3_PKT0_S9_ifPKiSB_iPKfiiiSD_SD_iiiii.uses_vcc, 1
	.set _ZN4vllm25paged_attention_v1_kernelI14__hip_bfloat16hLi120ELi16ELi128ELNS_18Fp8KVCacheDataTypeE1ELb1EEEvPT_PKS3_PKT0_S9_ifPKiSB_iPKfiiiSD_SD_iiiii.uses_flat_scratch, 0
	.set _ZN4vllm25paged_attention_v1_kernelI14__hip_bfloat16hLi120ELi16ELi128ELNS_18Fp8KVCacheDataTypeE1ELb1EEEvPT_PKS3_PKT0_S9_ifPKiSB_iPKfiiiSD_SD_iiiii.has_dyn_sized_stack, 0
	.set _ZN4vllm25paged_attention_v1_kernelI14__hip_bfloat16hLi120ELi16ELi128ELNS_18Fp8KVCacheDataTypeE1ELb1EEEvPT_PKS3_PKT0_S9_ifPKiSB_iPKfiiiSD_SD_iiiii.has_recursion, 0
	.set _ZN4vllm25paged_attention_v1_kernelI14__hip_bfloat16hLi120ELi16ELi128ELNS_18Fp8KVCacheDataTypeE1ELb1EEEvPT_PKS3_PKT0_S9_ifPKiSB_iPKfiiiSD_SD_iiiii.has_indirect_call, 0
	.section	.AMDGPU.csdata,"",@progbits
; Kernel info:
; codeLenInByte = 40968
; TotalNumSgprs: 54
; NumVgprs: 128
; ScratchSize: 40
; MemoryBound: 0
; FloatMode: 240
; IeeeMode: 1
; LDSByteSize: 272 bytes/workgroup (compile time only)
; SGPRBlocks: 0
; VGPRBlocks: 15
; NumSGPRsForWavesPerEU: 54
; NumVGPRsForWavesPerEU: 128
; Occupancy: 8
; WaveLimiterHint : 1
; COMPUTE_PGM_RSRC2:SCRATCH_EN: 1
; COMPUTE_PGM_RSRC2:USER_SGPR: 6
; COMPUTE_PGM_RSRC2:TRAP_HANDLER: 0
; COMPUTE_PGM_RSRC2:TGID_X_EN: 1
; COMPUTE_PGM_RSRC2:TGID_Y_EN: 1
; COMPUTE_PGM_RSRC2:TGID_Z_EN: 1
; COMPUTE_PGM_RSRC2:TIDIG_COMP_CNT: 0
	.section	.text._ZN4vllm25paged_attention_v1_kernelI14__hip_bfloat16hLi128ELi16ELi128ELNS_18Fp8KVCacheDataTypeE1ELb1EEEvPT_PKS3_PKT0_S9_ifPKiSB_iPKfiiiSD_SD_iiiii,"axG",@progbits,_ZN4vllm25paged_attention_v1_kernelI14__hip_bfloat16hLi128ELi16ELi128ELNS_18Fp8KVCacheDataTypeE1ELb1EEEvPT_PKS3_PKT0_S9_ifPKiSB_iPKfiiiSD_SD_iiiii,comdat
	.protected	_ZN4vllm25paged_attention_v1_kernelI14__hip_bfloat16hLi128ELi16ELi128ELNS_18Fp8KVCacheDataTypeE1ELb1EEEvPT_PKS3_PKT0_S9_ifPKiSB_iPKfiiiSD_SD_iiiii ; -- Begin function _ZN4vllm25paged_attention_v1_kernelI14__hip_bfloat16hLi128ELi16ELi128ELNS_18Fp8KVCacheDataTypeE1ELb1EEEvPT_PKS3_PKT0_S9_ifPKiSB_iPKfiiiSD_SD_iiiii
	.globl	_ZN4vllm25paged_attention_v1_kernelI14__hip_bfloat16hLi128ELi16ELi128ELNS_18Fp8KVCacheDataTypeE1ELb1EEEvPT_PKS3_PKT0_S9_ifPKiSB_iPKfiiiSD_SD_iiiii
	.p2align	8
	.type	_ZN4vllm25paged_attention_v1_kernelI14__hip_bfloat16hLi128ELi16ELi128ELNS_18Fp8KVCacheDataTypeE1ELb1EEEvPT_PKS3_PKT0_S9_ifPKiSB_iPKfiiiSD_SD_iiiii,@function
_ZN4vllm25paged_attention_v1_kernelI14__hip_bfloat16hLi128ELi16ELi128ELNS_18Fp8KVCacheDataTypeE1ELb1EEEvPT_PKS3_PKT0_S9_ifPKiSB_iPKfiiiSD_SD_iiiii: ; @_ZN4vllm25paged_attention_v1_kernelI14__hip_bfloat16hLi128ELi16ELi128ELNS_18Fp8KVCacheDataTypeE1ELb1EEEvPT_PKS3_PKT0_S9_ifPKiSB_iPKfiiiSD_SD_iiiii
; %bb.0:
	s_mov_b64 s[50:51], s[2:3]
	s_mov_b64 s[48:49], s[0:1]
	s_mov_b32 s10, s7
	s_add_u32 s48, s48, s9
	s_clause 0x2
	s_load_dword s9, s[4:5], 0x80
	s_load_dwordx2 s[0:1], s[4:5], 0x30
	s_load_dwordx2 s[34:35], s[4:5], 0x20
	s_addc_u32 s49, s49, 0
	s_ashr_i32 s11, s7, 31
	v_mov_b32_e32 v19, v0
	s_lshl_b64 s[2:3], s[10:11], 2
	s_mov_b32 s36, 0
	s_waitcnt lgkmcnt(0)
	s_add_u32 s0, s0, s2
	s_addc_u32 s1, s1, s3
	s_abs_i32 s2, s34
	s_abs_i32 s11, s9
	v_cvt_f32_u32_e32 v1, s2
	s_sub_i32 s7, 0, s2
	v_rcp_iflag_f32_e32 v1, v1
	v_mul_f32_e32 v1, 0x4f7ffffe, v1
	v_cvt_u32_f32_e32 v1, v1
	v_readfirstlane_b32 s3, v1
	s_mul_i32 s7, s7, s3
	s_mul_hi_u32 s7, s3, s7
	s_add_i32 s3, s3, s7
	s_xor_b32 s7, s9, s34
	s_mul_hi_u32 s3, s11, s3
	s_ashr_i32 s7, s7, 31
	s_mul_i32 s12, s3, s2
	s_sub_i32 s11, s11, s12
	s_add_i32 s12, s3, 1
	s_sub_i32 s13, s11, s2
	s_cmp_ge_u32 s11, s2
	s_cselect_b32 s3, s12, s3
	s_cselect_b32 s11, s13, s11
	s_add_i32 s12, s3, 1
	s_cmp_ge_u32 s11, s2
	s_cselect_b32 s2, s12, s3
	s_xor_b32 s2, s2, s7
	s_sub_i32 s14, s2, s7
	s_load_dwordx2 s[2:3], s[4:5], 0x40
	s_abs_i32 s11, s14
	v_cvt_f32_u32_e32 v1, s11
	s_sub_i32 s12, 0, s11
	v_rcp_iflag_f32_e32 v1, v1
	v_mul_f32_e32 v1, 0x4f7ffffe, v1
	v_cvt_u32_f32_e32 v1, v1
	v_readfirstlane_b32 s7, v1
	s_mul_i32 s12, s12, s7
	s_mul_hi_u32 s13, s7, s12
	s_abs_i32 s12, s6
	s_add_i32 s7, s7, s13
	s_waitcnt lgkmcnt(0)
	s_cmp_eq_u64 s[2:3], 0
	s_mul_hi_u32 s13, s12, s7
	s_cbranch_scc1 .LBB328_2
; %bb.1:
	s_ashr_i32 s7, s6, 31
	s_lshl_b64 s[16:17], s[6:7], 2
	s_add_u32 s2, s2, s16
	s_addc_u32 s3, s3, s17
	s_load_dword s36, s[2:3], 0x0
.LBB328_2:
	s_load_dword s33, s[0:1], 0x0
	s_load_dwordx4 s[16:19], s[4:5], 0x48
	v_lshrrev_b32_e32 v0, 1, v19
	v_and_b32_e32 v20, 1, v19
	v_cmp_gt_u32_e64 s0, 32, v19
	v_lshlrev_b32_e32 v12, 3, v19
	s_ashr_i32 s1, s6, 31
	s_ashr_i32 s2, s14, 31
	s_lshl_b32 s24, s6, 7
	buffer_store_dword v0, off, s[48:51], 0 offset:32 ; 4-byte Folded Spill
	s_and_saveexec_b32 s3, s0
	s_cbranch_execz .LBB328_4
; %bb.3:
	s_load_dwordx2 s[14:15], s[4:5], 0x8
	s_waitcnt lgkmcnt(0)
	s_mul_i32 s20, s16, s10
	v_lshrrev_b32_e32 v0, 1, v19
	s_ashr_i32 s21, s20, 31
	s_lshl_b64 s[20:21], s[20:21], 1
	v_lshlrev_b32_e32 v3, 3, v0
	v_lshl_add_u32 v3, v20, 7, v3
	s_add_u32 s7, s14, s20
	s_addc_u32 s16, s15, s21
	s_ashr_i32 s25, s24, 31
	s_lshl_b64 s[14:15], s[24:25], 1
	s_add_u32 s14, s7, s14
	s_addc_u32 s15, s16, s15
	global_load_dwordx2 v[1:2], v12, s[14:15]
	s_waitcnt vmcnt(0)
	ds_write_b64 v3, v[1:2]
.LBB328_4:
	s_or_b32 exec_lo, exec_lo, s3
	s_load_dwordx4 s[20:23], s[4:5], 0x68
	s_mul_i32 s3, s13, s11
	s_xor_b32 s2, s1, s2
	s_sub_i32 s1, s12, s3
	s_add_i32 s3, s13, 1
	s_sub_i32 s7, s1, s11
	s_cmp_ge_u32 s1, s11
	s_waitcnt lgkmcnt(0)
	s_waitcnt_vscnt null, 0x0
	s_cselect_b32 s3, s3, s13
	s_cselect_b32 s1, s7, s1
	s_add_i32 s7, s3, 1
	s_cmp_ge_u32 s1, s11
	s_load_dword s1, s[4:5], 0x78
	s_cselect_b32 s3, s7, s3
	s_add_i32 s7, s33, -1
	s_xor_b32 s3, s3, s2
	s_abs_i32 s11, s7
	s_sub_i32 s2, s3, s2
	s_mov_b32 s13, -1
	s_barrier
	s_abs_i32 s16, s23
	s_waitcnt lgkmcnt(0)
	buffer_gl0_inv
	v_cvt_f32_u32_e32 v1, s16
	s_sub_i32 s3, 0, s16
                                        ; implicit-def: $sgpr25
	v_rcp_iflag_f32_e32 v1, v1
	v_mul_f32_e32 v1, 0x4f7ffffe, v1
	v_cvt_u32_f32_e32 v1, v1
	v_readfirstlane_b32 s19, v1
	s_mul_i32 s3, s3, s19
	s_mul_hi_u32 s3, s19, s3
	s_add_i32 s19, s19, s3
	s_cmp_lt_i32 s1, 0
	s_mul_hi_u32 s3, s11, s19
	s_cbranch_scc0 .LBB328_6
; %bb.5:
	s_mul_i32 s12, s20, s34
	s_mov_b32 s13, 0
	s_add_i32 s12, s2, s12
	s_mul_i32 s12, s12, s1
	s_sub_i32 s25, 1, s12
.LBB328_6:
	s_load_dwordx2 s[26:27], s[4:5], 0x28
	s_ashr_i32 s12, s7, 31
	s_andn2_b32 vcc_lo, exec_lo, s13
	s_ashr_i32 s23, s23, 31
	s_cbranch_vccnz .LBB328_8
; %bb.7:
	s_mul_i32 s7, s9, s20
	s_add_i32 s6, s7, s6
	s_mul_i32 s1, s6, s1
	s_add_i32 s25, s1, 1
.LBB328_8:
	s_clause 0x2
	s_load_dword s1, s[4:5], 0x38
	s_load_dwordx2 s[6:7], s[4:5], 0x0
	s_load_dwordx2 s[30:31], s[4:5], 0x18
	s_xor_b32 s34, s12, s23
	s_mul_i32 s12, s3, s16
	s_add_i32 s20, s3, 1
	s_sub_i32 s37, s11, s12
	s_clause 0x1
	s_load_dword s11, s[4:5], 0x88
	s_load_dwordx4 s[12:15], s[4:5], 0x58
	v_lshrrev_b32_e32 v52, 5, v19
	v_mov_b32_e32 v4, 0xff7fffff
	v_lshrrev_b32_e32 v13, 3, v19
	s_mul_i32 s18, s2, s18
	v_lshlrev_b32_e32 v36, 4, v52
	s_waitcnt lgkmcnt(0)
	s_mul_i32 s28, s1, s10
	s_sub_i32 s1, s37, s16
	s_ashr_i32 s29, s28, 31
	s_cmp_ge_u32 s37, s16
	s_cselect_b32 s3, s20, s3
	s_cselect_b32 s1, s1, s37
	s_add_i32 s20, s3, 1
	s_cmp_ge_u32 s1, s16
	s_cselect_b32 s1, s20, s3
	s_add_i32 s3, s33, 15
	s_ashr_i32 s20, s3, 31
	s_lshr_b32 s20, s20, 28
	s_add_i32 s3, s3, s20
	s_ashr_i32 s20, s3, 4
	s_xor_b32 s3, s1, s34
	v_cmp_gt_i32_e64 s1, s20, v52
	s_sub_i32 s34, s3, s34
	s_and_saveexec_b32 s37, s1
	s_cbranch_execz .LBB328_532
; %bb.9:
	s_load_dwordx2 s[2:3], s[4:5], 0x10
	s_sub_i32 s5, s34, s21
	s_ashr_i32 s4, s18, 31
	v_bfe_u32 v0, v19, 1, 4
	v_mov_b32_e32 v6, 0xff7fffff
	v_and_b32_e32 v3, 0x7c, v13
	v_lshlrev_b32_e32 v2, 2, v20
	v_mov_b32_e32 v26, 0
	v_lshlrev_b32_e32 v4, 2, v0
	v_subrev_nc_u32_e32 v5, s33, v0
	buffer_store_dword v6, off, s[48:51], 0 offset:12 ; 4-byte Folded Spill
	v_lshlrev_b32_e32 v6, 4, v0
	buffer_store_dword v0, off, s[48:51], 0 offset:24 ; 4-byte Folded Spill
	v_lshl_or_b32 v4, v52, 6, v4
	v_add_nc_u32_e32 v0, 1, v5
	v_lshlrev_b32_e32 v41, 7, v20
	v_lshlrev_b32_e32 v43, 4, v52
	v_mov_b32_e32 v44, 0x80
	v_add_nc_u32_e32 v50, 0x120, v4
	v_mov_b32_e32 v46, 0xff
	s_waitcnt lgkmcnt(0)
	s_add_u32 s39, s2, s18
	s_addc_u32 s3, s3, s4
	s_abs_i32 s38, s22
	s_lshl_b64 s[40:41], s[28:29], 2
	v_cvt_f32_u32_e32 v1, s38
	s_sub_i32 s4, 0, s38
	v_cmp_neq_f32_e64 s2, s36, 0
	buffer_store_dword v0, off, s[48:51], 0 offset:28 ; 4-byte Folded Spill
	buffer_store_dword v12, off, s[48:51], 0 offset:48 ; 4-byte Folded Spill
	v_rcp_iflag_f32_e32 v1, v1
	v_cmp_eq_u32_e32 vcc_lo, 0, v20
	buffer_store_dword v19, off, s[48:51], 0 offset:36 ; 4-byte Folded Spill
	buffer_store_dword v20, off, s[48:51], 0 offset:40 ; 4-byte Folded Spill
	;; [unrolled: 1-line block ×3, first 2 shown]
	v_mul_f32_e32 v1, 0x4f7ffffe, v1
	v_cvt_u32_f32_e32 v1, v1
	v_mul_lo_u32 v4, s4, v1
	v_add_co_u32 v5, s4, s39, v6
	v_add_co_ci_u32_e64 v6, null, s3, 0, s4
	s_add_u32 s3, s26, s40
	s_addc_u32 s4, s27, s41
	v_add_co_u32 v27, s3, s3, v3
	v_mul_hi_u32 v4, v1, v4
	v_add_co_ci_u32_e64 v28, null, s4, 0, s3
	v_add_co_u32 v2, s3, v5, v2
	v_add_co_ci_u32_e64 v3, null, 0, v6, s3
	s_mov_b32 s39, 0
	v_add_nc_u32_e32 v0, v1, v4
	s_mov_b32 s40, s17
	buffer_store_dword v2, off, s[48:51], 0 offset:16 ; 4-byte Folded Spill
	buffer_store_dword v3, off, s[48:51], 0 offset:20 ; 4-byte Folded Spill
	buffer_store_dword v0, off, s[48:51], 0 ; 4-byte Folded Spill
	buffer_store_dword v52, off, s[48:51], 0 offset:44 ; 4-byte Folded Spill
	s_branch .LBB328_12
.LBB328_10:                             ;   in Loop: Header=BB328_12 Depth=1
	s_or_b32 exec_lo, exec_lo, s4
.LBB328_11:                             ;   in Loop: Header=BB328_12 Depth=1
	s_or_b32 exec_lo, exec_lo, s41
	v_add_nc_u32_e32 v52, 4, v52
	v_add_co_u32 v27, s4, v27, 16
	v_add_co_ci_u32_e64 v28, null, 0, v28, s4
	v_cmp_le_i32_e64 s3, s20, v52
	v_add_nc_u32_e32 v43, 64, v43
	v_add_nc_u32_e32 v50, 0x100, v50
	s_or_b32 s39, s3, s39
	s_andn2_b32 exec_lo, exec_lo, s39
	s_cbranch_execz .LBB328_531
.LBB328_12:                             ; =>This Inner Loop Header: Depth=1
	buffer_load_dword v0, off, s[48:51], 0  ; 4-byte Folded Reload
	v_mul_hi_u32 v1, v43, s19
	s_waitcnt lgkmcnt(0)
	v_mul_lo_u32 v2, v1, s16
	v_add_nc_u32_e32 v3, 1, v1
	v_sub_nc_u32_e32 v2, v43, v2
	v_subrev_nc_u32_e32 v4, s16, v2
	v_cmp_le_u32_e64 s3, s16, v2
	v_cndmask_b32_e64 v1, v1, v3, s3
	v_cndmask_b32_e64 v2, v2, v4, s3
	v_add_nc_u32_e32 v3, 1, v1
	v_cmp_le_u32_e64 s3, s16, v2
	v_cndmask_b32_e64 v1, v1, v3, s3
	v_xor_b32_e32 v1, s23, v1
	v_subrev_nc_u32_e32 v1, s23, v1
	v_add_nc_u32_e32 v2, s25, v1
	v_cmp_ge_i32_e64 s4, s5, v1
	v_sub_nc_u32_e32 v3, 0, v2
	v_max_i32_e32 v3, v2, v3
	v_ashrrev_i32_e32 v2, 31, v2
	s_waitcnt vmcnt(0)
	v_mul_hi_u32 v4, v3, v0
	v_mul_lo_u32 v4, v4, s38
	v_sub_nc_u32_e32 v3, v3, v4
	v_subrev_nc_u32_e32 v4, s38, v3
	v_cmp_le_u32_e64 s3, s38, v3
	v_cndmask_b32_e64 v3, v3, v4, s3
	v_subrev_nc_u32_e32 v4, s38, v3
	v_cmp_le_u32_e64 s3, s38, v3
	v_cndmask_b32_e64 v3, v3, v4, s3
	v_xor_b32_e32 v3, v3, v2
	v_sub_nc_u32_e32 v2, v3, v2
	v_cmp_ne_u32_e64 s3, 0, v2
	s_and_b32 s3, s3, s4
	s_and_saveexec_b32 s4, s3
	s_xor_b32 s3, exec_lo, s4
	s_cbranch_execz .LBB328_16
; %bb.13:                               ;   in Loop: Header=BB328_12 Depth=1
	s_and_saveexec_b32 s4, vcc_lo
; %bb.14:                               ;   in Loop: Header=BB328_12 Depth=1
	v_mov_b32_e32 v1, 0xff7fffff
	ds_write_b32 v50, v1
; %bb.15:                               ;   in Loop: Header=BB328_12 Depth=1
	s_or_b32 exec_lo, exec_lo, s4
.LBB328_16:                             ;   in Loop: Header=BB328_12 Depth=1
	s_andn2_saveexec_b32 s41, s3
	s_cbranch_execz .LBB328_11
; %bb.17:                               ;   in Loop: Header=BB328_12 Depth=1
	global_load_dword v1, v[27:28], off
	s_clause 0x1
	buffer_load_dword v2, off, s[48:51], 0 offset:16
	buffer_load_dword v3, off, s[48:51], 0 offset:20
	v_mov_b32_e32 v55, 0
	v_mov_b32_e32 v56, 0
	s_waitcnt vmcnt(0)
	v_mad_i64_i32 v[31:32], null, v1, s40, v[2:3]
	global_load_dword v59, v[31:32], off
	ds_read_b128 v[21:24], v41
	ds_read_b128 v[17:20], v41 offset:16
	ds_read_b128 v[13:16], v41 offset:32
	;; [unrolled: 1-line block ×5, first 2 shown]
	ds_read_b32 v0, v41 offset:96
	s_load_dword s42, s[12:13], 0x0
	s_waitcnt lgkmcnt(0)
	buffer_store_dword v0, off, s[48:51], 0 offset:8 ; 4-byte Folded Spill
	ds_read_u16 v0, v41 offset:100
	s_waitcnt lgkmcnt(0)
	buffer_store_dword v0, off, s[48:51], 0 offset:4 ; 4-byte Folded Spill
	s_waitcnt vmcnt(0)
	v_cmp_ne_u16_sdwa s3, v59, v26 src0_sel:BYTE_0 src1_sel:DWORD
	s_and_saveexec_b32 s4, s3
	s_cbranch_execz .LBB328_25
; %bb.18:                               ;   in Loop: Header=BB328_12 Depth=1
	v_cmp_ne_u16_sdwa s3, v59, v44 src0_sel:BYTE_0 src1_sel:DWORD
	v_bfrev_b32_e32 v56, 1
	s_and_saveexec_b32 s43, s3
	s_cbranch_execz .LBB328_24
; %bb.19:                               ;   in Loop: Header=BB328_12 Depth=1
	v_and_b32_e32 v34, 0x7f, v59
	v_mov_b32_e32 v56, 0x7f800001
	s_mov_b32 s44, exec_lo
	v_cmpx_ne_u32_e32 0x7f, v34
	s_cbranch_execz .LBB328_23
; %bb.20:                               ;   in Loop: Header=BB328_12 Depth=1
	v_and_b32_e32 v25, 7, v59
	v_lshrrev_b32_e32 v33, 3, v34
	s_mov_b32 s45, exec_lo
	v_cmpx_gt_u32_e32 8, v34
; %bb.21:                               ;   in Loop: Header=BB328_12 Depth=1
	v_ffbh_u32_e32 v33, v25
	v_min_u32_e32 v33, 32, v33
	v_subrev_nc_u32_e32 v34, 28, v33
	v_sub_nc_u32_e32 v33, 29, v33
	v_lshlrev_b64 v[37:38], v34, v[25:26]
	v_and_b32_e32 v25, 7, v37
; %bb.22:                               ;   in Loop: Header=BB328_12 Depth=1
	s_or_b32 exec_lo, exec_lo, s45
	v_lshlrev_b32_e32 v34, 24, v59
	v_lshlrev_b32_e32 v25, 20, v25
	v_lshl_add_u32 v33, v33, 23, 0x3c000000
	v_and_b32_e32 v34, 0x80000000, v34
	v_or3_b32 v56, v25, v34, v33
.LBB328_23:                             ;   in Loop: Header=BB328_12 Depth=1
	s_or_b32 exec_lo, exec_lo, s44
.LBB328_24:                             ;   in Loop: Header=BB328_12 Depth=1
	s_or_b32 exec_lo, exec_lo, s43
.LBB328_25:                             ;   in Loop: Header=BB328_12 Depth=1
	s_or_b32 exec_lo, exec_lo, s4
	v_cmp_ne_u16_sdwa s3, v59, v26 src0_sel:BYTE_1 src1_sel:DWORD
	s_and_saveexec_b32 s4, s3
	s_cbranch_execz .LBB328_33
; %bb.26:                               ;   in Loop: Header=BB328_12 Depth=1
	v_cmp_ne_u16_sdwa s3, v59, v44 src0_sel:BYTE_1 src1_sel:DWORD
	v_bfrev_b32_e32 v55, 1
	s_and_saveexec_b32 s43, s3
	s_cbranch_execz .LBB328_32
; %bb.27:                               ;   in Loop: Header=BB328_12 Depth=1
	v_mov_b32_e32 v0, 0xffff
	v_mov_b32_e32 v55, 0x7f800001
	s_mov_b32 s44, exec_lo
	v_and_b32_sdwa v25, v0, v59 dst_sel:DWORD dst_unused:UNUSED_PAD src0_sel:DWORD src1_sel:BYTE_1
	v_and_b32_e32 v34, 0x7f, v25
	v_cmpx_ne_u32_e32 0x7f, v34
	s_cbranch_execz .LBB328_31
; %bb.28:                               ;   in Loop: Header=BB328_12 Depth=1
	v_and_b32_e32 v25, 7, v25
	v_lshrrev_b32_e32 v33, 3, v34
	s_mov_b32 s45, exec_lo
	v_cmpx_gt_u32_e32 8, v34
; %bb.29:                               ;   in Loop: Header=BB328_12 Depth=1
	v_ffbh_u32_e32 v33, v25
	v_min_u32_e32 v33, 32, v33
	v_subrev_nc_u32_e32 v34, 28, v33
	v_sub_nc_u32_e32 v33, 29, v33
	v_lshlrev_b64 v[37:38], v34, v[25:26]
	v_and_b32_e32 v25, 7, v37
; %bb.30:                               ;   in Loop: Header=BB328_12 Depth=1
	s_or_b32 exec_lo, exec_lo, s45
	v_lshlrev_b32_e32 v34, 16, v59
	v_lshlrev_b32_e32 v25, 20, v25
	v_lshl_add_u32 v33, v33, 23, 0x3c000000
	v_and_b32_e32 v34, 0x80000000, v34
	v_or3_b32 v55, v25, v34, v33
.LBB328_31:                             ;   in Loop: Header=BB328_12 Depth=1
	s_or_b32 exec_lo, exec_lo, s44
.LBB328_32:                             ;   in Loop: Header=BB328_12 Depth=1
	s_or_b32 exec_lo, exec_lo, s43
.LBB328_33:                             ;   in Loop: Header=BB328_12 Depth=1
	s_or_b32 exec_lo, exec_lo, s4
	v_and_b32_sdwa v25, v59, v46 dst_sel:DWORD dst_unused:UNUSED_PAD src0_sel:WORD_1 src1_sel:DWORD
	v_mov_b32_e32 v57, 0
	v_mov_b32_e32 v58, 0
	s_mov_b32 s4, exec_lo
	v_cmpx_ne_u16_e32 0, v25
	s_cbranch_execz .LBB328_41
; %bb.34:                               ;   in Loop: Header=BB328_12 Depth=1
	v_bfrev_b32_e32 v58, 1
	s_mov_b32 s43, exec_lo
	v_cmpx_ne_u16_e32 0x80, v25
	s_cbranch_execz .LBB328_40
; %bb.35:                               ;   in Loop: Header=BB328_12 Depth=1
	v_bfe_u32 v34, v59, 16, 7
	v_mov_b32_e32 v58, 0x7f800001
	s_mov_b32 s44, exec_lo
	v_cmpx_ne_u32_e32 0x7f, v34
	s_cbranch_execz .LBB328_39
; %bb.36:                               ;   in Loop: Header=BB328_12 Depth=1
	v_mov_b32_e32 v0, 7
	v_lshrrev_b32_e32 v33, 3, v34
	s_mov_b32 s45, exec_lo
	v_and_b32_sdwa v25, v59, v0 dst_sel:DWORD dst_unused:UNUSED_PAD src0_sel:WORD_1 src1_sel:DWORD
	v_cmpx_gt_u32_e32 8, v34
; %bb.37:                               ;   in Loop: Header=BB328_12 Depth=1
	v_ffbh_u32_e32 v33, v25
	v_min_u32_e32 v33, 32, v33
	v_subrev_nc_u32_e32 v34, 28, v33
	v_sub_nc_u32_e32 v33, 29, v33
	v_lshlrev_b64 v[37:38], v34, v[25:26]
	v_and_b32_e32 v25, 7, v37
; %bb.38:                               ;   in Loop: Header=BB328_12 Depth=1
	s_or_b32 exec_lo, exec_lo, s45
	v_mov_b32_e32 v0, 24
	v_lshlrev_b32_e32 v25, 20, v25
	v_lshl_add_u32 v33, v33, 23, 0x3c000000
	v_lshlrev_b32_sdwa v34, v0, v59 dst_sel:DWORD dst_unused:UNUSED_PAD src0_sel:DWORD src1_sel:WORD_1
	v_and_b32_e32 v34, 0x80000000, v34
	v_or3_b32 v58, v25, v34, v33
.LBB328_39:                             ;   in Loop: Header=BB328_12 Depth=1
	s_or_b32 exec_lo, exec_lo, s44
.LBB328_40:                             ;   in Loop: Header=BB328_12 Depth=1
	s_or_b32 exec_lo, exec_lo, s43
.LBB328_41:                             ;   in Loop: Header=BB328_12 Depth=1
	s_or_b32 exec_lo, exec_lo, s4
	s_mov_b32 s4, exec_lo
	v_cmpx_lt_u32_e32 0xffffff, v59
	s_cbranch_execz .LBB328_49
; %bb.42:                               ;   in Loop: Header=BB328_12 Depth=1
	v_cmp_ne_u32_sdwa s3, v59, v44 src0_sel:BYTE_3 src1_sel:DWORD
	v_bfrev_b32_e32 v57, 1
	s_and_saveexec_b32 s43, s3
	s_cbranch_execz .LBB328_48
; %bb.43:                               ;   in Loop: Header=BB328_12 Depth=1
	v_bfe_u32 v34, v59, 24, 7
	v_mov_b32_e32 v57, 0x7f800001
	s_mov_b32 s44, exec_lo
	v_cmpx_ne_u32_e32 0x7f, v34
	s_cbranch_execz .LBB328_47
; %bb.44:                               ;   in Loop: Header=BB328_12 Depth=1
	v_mov_b32_e32 v0, 7
	v_lshrrev_b32_e32 v33, 3, v34
	s_mov_b32 s45, exec_lo
	v_and_b32_sdwa v25, v59, v0 dst_sel:DWORD dst_unused:UNUSED_PAD src0_sel:BYTE_3 src1_sel:DWORD
	v_cmpx_gt_u32_e32 8, v34
; %bb.45:                               ;   in Loop: Header=BB328_12 Depth=1
	v_ffbh_u32_e32 v33, v25
	v_min_u32_e32 v33, 32, v33
	v_subrev_nc_u32_e32 v34, 28, v33
	v_sub_nc_u32_e32 v33, 29, v33
	v_lshlrev_b64 v[37:38], v34, v[25:26]
	v_and_b32_e32 v25, 7, v37
; %bb.46:                               ;   in Loop: Header=BB328_12 Depth=1
	s_or_b32 exec_lo, exec_lo, s45
	v_mov_b32_e32 v0, 24
	v_lshlrev_b32_e32 v25, 20, v25
	v_lshl_add_u32 v33, v33, 23, 0x3c000000
	v_lshlrev_b32_sdwa v34, v0, v59 dst_sel:DWORD dst_unused:UNUSED_PAD src0_sel:DWORD src1_sel:BYTE_3
	v_and_b32_e32 v34, 0x80000000, v34
	v_or3_b32 v57, v25, v34, v33
.LBB328_47:                             ;   in Loop: Header=BB328_12 Depth=1
	s_or_b32 exec_lo, exec_lo, s44
.LBB328_48:                             ;   in Loop: Header=BB328_12 Depth=1
	s_or_b32 exec_lo, exec_lo, s43
.LBB328_49:                             ;   in Loop: Header=BB328_12 Depth=1
	s_or_b32 exec_lo, exec_lo, s4
	global_load_dword v38, v[31:32], off offset:8
	v_mov_b32_e32 v59, 0
	v_mov_b32_e32 v60, 0
	s_waitcnt vmcnt(0)
	v_cmp_ne_u16_sdwa s3, v38, v26 src0_sel:BYTE_0 src1_sel:DWORD
	s_and_saveexec_b32 s4, s3
	s_cbranch_execz .LBB328_57
; %bb.50:                               ;   in Loop: Header=BB328_12 Depth=1
	v_cmp_ne_u16_sdwa s3, v38, v44 src0_sel:BYTE_0 src1_sel:DWORD
	v_bfrev_b32_e32 v60, 1
	s_and_saveexec_b32 s43, s3
	s_cbranch_execz .LBB328_56
; %bb.51:                               ;   in Loop: Header=BB328_12 Depth=1
	v_and_b32_e32 v34, 0x7f, v38
	v_mov_b32_e32 v60, 0x7f800001
	s_mov_b32 s44, exec_lo
	v_cmpx_ne_u32_e32 0x7f, v34
	s_cbranch_execz .LBB328_55
; %bb.52:                               ;   in Loop: Header=BB328_12 Depth=1
	v_and_b32_e32 v25, 7, v38
	v_lshrrev_b32_e32 v33, 3, v34
	s_mov_b32 s45, exec_lo
	v_cmpx_gt_u32_e32 8, v34
; %bb.53:                               ;   in Loop: Header=BB328_12 Depth=1
	v_ffbh_u32_e32 v33, v25
	v_min_u32_e32 v33, 32, v33
	v_subrev_nc_u32_e32 v34, 28, v33
	v_sub_nc_u32_e32 v33, 29, v33
	v_lshlrev_b64 v[60:61], v34, v[25:26]
	v_and_b32_e32 v25, 7, v60
; %bb.54:                               ;   in Loop: Header=BB328_12 Depth=1
	s_or_b32 exec_lo, exec_lo, s45
	v_lshlrev_b32_e32 v34, 24, v38
	v_lshlrev_b32_e32 v25, 20, v25
	v_lshl_add_u32 v33, v33, 23, 0x3c000000
	v_and_b32_e32 v34, 0x80000000, v34
	v_or3_b32 v60, v25, v34, v33
.LBB328_55:                             ;   in Loop: Header=BB328_12 Depth=1
	s_or_b32 exec_lo, exec_lo, s44
.LBB328_56:                             ;   in Loop: Header=BB328_12 Depth=1
	s_or_b32 exec_lo, exec_lo, s43
.LBB328_57:                             ;   in Loop: Header=BB328_12 Depth=1
	s_or_b32 exec_lo, exec_lo, s4
	v_cmp_ne_u16_sdwa s3, v38, v26 src0_sel:BYTE_1 src1_sel:DWORD
	s_and_saveexec_b32 s4, s3
	s_cbranch_execz .LBB328_65
; %bb.58:                               ;   in Loop: Header=BB328_12 Depth=1
	v_cmp_ne_u16_sdwa s3, v38, v44 src0_sel:BYTE_1 src1_sel:DWORD
	v_bfrev_b32_e32 v59, 1
	s_and_saveexec_b32 s43, s3
	s_cbranch_execz .LBB328_64
; %bb.59:                               ;   in Loop: Header=BB328_12 Depth=1
	v_mov_b32_e32 v0, 0xffff
	v_mov_b32_e32 v59, 0x7f800001
	s_mov_b32 s44, exec_lo
	v_and_b32_sdwa v25, v0, v38 dst_sel:DWORD dst_unused:UNUSED_PAD src0_sel:DWORD src1_sel:BYTE_1
	v_and_b32_e32 v34, 0x7f, v25
	v_cmpx_ne_u32_e32 0x7f, v34
	s_cbranch_execz .LBB328_63
; %bb.60:                               ;   in Loop: Header=BB328_12 Depth=1
	v_and_b32_e32 v25, 7, v25
	v_lshrrev_b32_e32 v33, 3, v34
	s_mov_b32 s45, exec_lo
	v_cmpx_gt_u32_e32 8, v34
; %bb.61:                               ;   in Loop: Header=BB328_12 Depth=1
	v_ffbh_u32_e32 v33, v25
	v_min_u32_e32 v33, 32, v33
	v_subrev_nc_u32_e32 v34, 28, v33
	v_sub_nc_u32_e32 v33, 29, v33
	v_lshlrev_b64 v[61:62], v34, v[25:26]
	v_and_b32_e32 v25, 7, v61
; %bb.62:                               ;   in Loop: Header=BB328_12 Depth=1
	s_or_b32 exec_lo, exec_lo, s45
	v_lshlrev_b32_e32 v34, 16, v38
	v_lshlrev_b32_e32 v25, 20, v25
	v_lshl_add_u32 v33, v33, 23, 0x3c000000
	v_and_b32_e32 v34, 0x80000000, v34
	v_or3_b32 v59, v25, v34, v33
.LBB328_63:                             ;   in Loop: Header=BB328_12 Depth=1
	s_or_b32 exec_lo, exec_lo, s44
.LBB328_64:                             ;   in Loop: Header=BB328_12 Depth=1
	s_or_b32 exec_lo, exec_lo, s43
.LBB328_65:                             ;   in Loop: Header=BB328_12 Depth=1
	s_or_b32 exec_lo, exec_lo, s4
	v_and_b32_sdwa v25, v38, v46 dst_sel:DWORD dst_unused:UNUSED_PAD src0_sel:WORD_1 src1_sel:DWORD
	v_mov_b32_e32 v61, 0
	v_mov_b32_e32 v62, 0
	s_mov_b32 s4, exec_lo
	v_cmpx_ne_u16_e32 0, v25
	s_cbranch_execz .LBB328_73
; %bb.66:                               ;   in Loop: Header=BB328_12 Depth=1
	v_bfrev_b32_e32 v62, 1
	s_mov_b32 s43, exec_lo
	v_cmpx_ne_u16_e32 0x80, v25
	s_cbranch_execz .LBB328_72
; %bb.67:                               ;   in Loop: Header=BB328_12 Depth=1
	v_bfe_u32 v34, v38, 16, 7
	v_mov_b32_e32 v62, 0x7f800001
	s_mov_b32 s44, exec_lo
	v_cmpx_ne_u32_e32 0x7f, v34
	s_cbranch_execz .LBB328_71
; %bb.68:                               ;   in Loop: Header=BB328_12 Depth=1
	v_mov_b32_e32 v0, 7
	v_lshrrev_b32_e32 v33, 3, v34
	s_mov_b32 s45, exec_lo
	v_and_b32_sdwa v25, v38, v0 dst_sel:DWORD dst_unused:UNUSED_PAD src0_sel:WORD_1 src1_sel:DWORD
	v_cmpx_gt_u32_e32 8, v34
; %bb.69:                               ;   in Loop: Header=BB328_12 Depth=1
	v_ffbh_u32_e32 v33, v25
	v_min_u32_e32 v33, 32, v33
	v_subrev_nc_u32_e32 v34, 28, v33
	v_sub_nc_u32_e32 v33, 29, v33
	v_lshlrev_b64 v[62:63], v34, v[25:26]
	v_and_b32_e32 v25, 7, v62
; %bb.70:                               ;   in Loop: Header=BB328_12 Depth=1
	s_or_b32 exec_lo, exec_lo, s45
	v_mov_b32_e32 v0, 24
	v_lshlrev_b32_e32 v25, 20, v25
	v_lshl_add_u32 v33, v33, 23, 0x3c000000
	v_lshlrev_b32_sdwa v34, v0, v38 dst_sel:DWORD dst_unused:UNUSED_PAD src0_sel:DWORD src1_sel:WORD_1
	v_and_b32_e32 v34, 0x80000000, v34
	v_or3_b32 v62, v25, v34, v33
.LBB328_71:                             ;   in Loop: Header=BB328_12 Depth=1
	s_or_b32 exec_lo, exec_lo, s44
.LBB328_72:                             ;   in Loop: Header=BB328_12 Depth=1
	s_or_b32 exec_lo, exec_lo, s43
.LBB328_73:                             ;   in Loop: Header=BB328_12 Depth=1
	s_or_b32 exec_lo, exec_lo, s4
	s_mov_b32 s4, exec_lo
	v_cmpx_lt_u32_e32 0xffffff, v38
	s_cbranch_execz .LBB328_81
; %bb.74:                               ;   in Loop: Header=BB328_12 Depth=1
	v_cmp_ne_u32_sdwa s3, v38, v44 src0_sel:BYTE_3 src1_sel:DWORD
	v_bfrev_b32_e32 v61, 1
	s_and_saveexec_b32 s43, s3
	s_cbranch_execz .LBB328_80
; %bb.75:                               ;   in Loop: Header=BB328_12 Depth=1
	v_bfe_u32 v34, v38, 24, 7
	v_mov_b32_e32 v61, 0x7f800001
	s_mov_b32 s44, exec_lo
	v_cmpx_ne_u32_e32 0x7f, v34
	s_cbranch_execz .LBB328_79
; %bb.76:                               ;   in Loop: Header=BB328_12 Depth=1
	v_mov_b32_e32 v0, 7
	v_lshrrev_b32_e32 v33, 3, v34
	s_mov_b32 s45, exec_lo
	v_and_b32_sdwa v25, v38, v0 dst_sel:DWORD dst_unused:UNUSED_PAD src0_sel:BYTE_3 src1_sel:DWORD
	v_cmpx_gt_u32_e32 8, v34
; %bb.77:                               ;   in Loop: Header=BB328_12 Depth=1
	v_ffbh_u32_e32 v33, v25
	v_min_u32_e32 v33, 32, v33
	v_subrev_nc_u32_e32 v34, 28, v33
	v_sub_nc_u32_e32 v33, 29, v33
	v_lshlrev_b64 v[63:64], v34, v[25:26]
	v_and_b32_e32 v25, 7, v63
; %bb.78:                               ;   in Loop: Header=BB328_12 Depth=1
	s_or_b32 exec_lo, exec_lo, s45
	v_mov_b32_e32 v0, 24
	v_lshlrev_b32_e32 v25, 20, v25
	v_lshl_add_u32 v33, v33, 23, 0x3c000000
	v_lshlrev_b32_sdwa v34, v0, v38 dst_sel:DWORD dst_unused:UNUSED_PAD src0_sel:DWORD src1_sel:BYTE_3
	v_and_b32_e32 v34, 0x80000000, v34
	v_or3_b32 v61, v25, v34, v33
.LBB328_79:                             ;   in Loop: Header=BB328_12 Depth=1
	s_or_b32 exec_lo, exec_lo, s44
.LBB328_80:                             ;   in Loop: Header=BB328_12 Depth=1
	s_or_b32 exec_lo, exec_lo, s43
.LBB328_81:                             ;   in Loop: Header=BB328_12 Depth=1
	s_or_b32 exec_lo, exec_lo, s4
	global_load_dword v38, v[31:32], off offset:256
	v_mov_b32_e32 v63, 0
	v_mov_b32_e32 v64, 0
	s_waitcnt vmcnt(0)
	v_cmp_ne_u16_sdwa s3, v38, v26 src0_sel:BYTE_0 src1_sel:DWORD
	s_and_saveexec_b32 s4, s3
	s_cbranch_execz .LBB328_89
; %bb.82:                               ;   in Loop: Header=BB328_12 Depth=1
	v_cmp_ne_u16_sdwa s3, v38, v44 src0_sel:BYTE_0 src1_sel:DWORD
	v_bfrev_b32_e32 v64, 1
	s_and_saveexec_b32 s43, s3
	s_cbranch_execz .LBB328_88
; %bb.83:                               ;   in Loop: Header=BB328_12 Depth=1
	v_and_b32_e32 v34, 0x7f, v38
	v_mov_b32_e32 v64, 0x7f800001
	s_mov_b32 s44, exec_lo
	v_cmpx_ne_u32_e32 0x7f, v34
	s_cbranch_execz .LBB328_87
; %bb.84:                               ;   in Loop: Header=BB328_12 Depth=1
	v_and_b32_e32 v25, 7, v38
	v_lshrrev_b32_e32 v33, 3, v34
	s_mov_b32 s45, exec_lo
	v_cmpx_gt_u32_e32 8, v34
; %bb.85:                               ;   in Loop: Header=BB328_12 Depth=1
	v_ffbh_u32_e32 v33, v25
	v_min_u32_e32 v33, 32, v33
	v_subrev_nc_u32_e32 v34, 28, v33
	v_sub_nc_u32_e32 v33, 29, v33
	v_lshlrev_b64 v[64:65], v34, v[25:26]
	v_and_b32_e32 v25, 7, v64
; %bb.86:                               ;   in Loop: Header=BB328_12 Depth=1
	s_or_b32 exec_lo, exec_lo, s45
	v_lshlrev_b32_e32 v34, 24, v38
	v_lshlrev_b32_e32 v25, 20, v25
	v_lshl_add_u32 v33, v33, 23, 0x3c000000
	v_and_b32_e32 v34, 0x80000000, v34
	v_or3_b32 v64, v25, v34, v33
.LBB328_87:                             ;   in Loop: Header=BB328_12 Depth=1
	s_or_b32 exec_lo, exec_lo, s44
.LBB328_88:                             ;   in Loop: Header=BB328_12 Depth=1
	s_or_b32 exec_lo, exec_lo, s43
.LBB328_89:                             ;   in Loop: Header=BB328_12 Depth=1
	s_or_b32 exec_lo, exec_lo, s4
	v_cmp_ne_u16_sdwa s3, v38, v26 src0_sel:BYTE_1 src1_sel:DWORD
	s_and_saveexec_b32 s4, s3
	s_cbranch_execz .LBB328_97
; %bb.90:                               ;   in Loop: Header=BB328_12 Depth=1
	v_cmp_ne_u16_sdwa s3, v38, v44 src0_sel:BYTE_1 src1_sel:DWORD
	v_bfrev_b32_e32 v63, 1
	s_and_saveexec_b32 s43, s3
	s_cbranch_execz .LBB328_96
; %bb.91:                               ;   in Loop: Header=BB328_12 Depth=1
	v_mov_b32_e32 v0, 0xffff
	v_mov_b32_e32 v63, 0x7f800001
	s_mov_b32 s44, exec_lo
	v_and_b32_sdwa v25, v0, v38 dst_sel:DWORD dst_unused:UNUSED_PAD src0_sel:DWORD src1_sel:BYTE_1
	v_and_b32_e32 v34, 0x7f, v25
	v_cmpx_ne_u32_e32 0x7f, v34
	s_cbranch_execz .LBB328_95
; %bb.92:                               ;   in Loop: Header=BB328_12 Depth=1
	v_and_b32_e32 v25, 7, v25
	v_lshrrev_b32_e32 v33, 3, v34
	s_mov_b32 s45, exec_lo
	v_cmpx_gt_u32_e32 8, v34
; %bb.93:                               ;   in Loop: Header=BB328_12 Depth=1
	v_ffbh_u32_e32 v33, v25
	v_min_u32_e32 v33, 32, v33
	v_subrev_nc_u32_e32 v34, 28, v33
	v_sub_nc_u32_e32 v33, 29, v33
	v_lshlrev_b64 v[65:66], v34, v[25:26]
	v_and_b32_e32 v25, 7, v65
; %bb.94:                               ;   in Loop: Header=BB328_12 Depth=1
	s_or_b32 exec_lo, exec_lo, s45
	v_lshlrev_b32_e32 v34, 16, v38
	v_lshlrev_b32_e32 v25, 20, v25
	v_lshl_add_u32 v33, v33, 23, 0x3c000000
	v_and_b32_e32 v34, 0x80000000, v34
	v_or3_b32 v63, v25, v34, v33
.LBB328_95:                             ;   in Loop: Header=BB328_12 Depth=1
	s_or_b32 exec_lo, exec_lo, s44
.LBB328_96:                             ;   in Loop: Header=BB328_12 Depth=1
	s_or_b32 exec_lo, exec_lo, s43
.LBB328_97:                             ;   in Loop: Header=BB328_12 Depth=1
	s_or_b32 exec_lo, exec_lo, s4
	v_and_b32_sdwa v25, v38, v46 dst_sel:DWORD dst_unused:UNUSED_PAD src0_sel:WORD_1 src1_sel:DWORD
	v_mov_b32_e32 v65, 0
	v_mov_b32_e32 v66, 0
	s_mov_b32 s4, exec_lo
	v_cmpx_ne_u16_e32 0, v25
	s_cbranch_execz .LBB328_105
; %bb.98:                               ;   in Loop: Header=BB328_12 Depth=1
	v_bfrev_b32_e32 v66, 1
	s_mov_b32 s43, exec_lo
	v_cmpx_ne_u16_e32 0x80, v25
	s_cbranch_execz .LBB328_104
; %bb.99:                               ;   in Loop: Header=BB328_12 Depth=1
	v_bfe_u32 v34, v38, 16, 7
	v_mov_b32_e32 v66, 0x7f800001
	s_mov_b32 s44, exec_lo
	v_cmpx_ne_u32_e32 0x7f, v34
	s_cbranch_execz .LBB328_103
; %bb.100:                              ;   in Loop: Header=BB328_12 Depth=1
	v_mov_b32_e32 v0, 7
	v_lshrrev_b32_e32 v33, 3, v34
	s_mov_b32 s45, exec_lo
	v_and_b32_sdwa v25, v38, v0 dst_sel:DWORD dst_unused:UNUSED_PAD src0_sel:WORD_1 src1_sel:DWORD
	v_cmpx_gt_u32_e32 8, v34
; %bb.101:                              ;   in Loop: Header=BB328_12 Depth=1
	v_ffbh_u32_e32 v33, v25
	v_min_u32_e32 v33, 32, v33
	v_subrev_nc_u32_e32 v34, 28, v33
	v_sub_nc_u32_e32 v33, 29, v33
	v_lshlrev_b64 v[66:67], v34, v[25:26]
	v_and_b32_e32 v25, 7, v66
; %bb.102:                              ;   in Loop: Header=BB328_12 Depth=1
	s_or_b32 exec_lo, exec_lo, s45
	v_mov_b32_e32 v0, 24
	v_lshlrev_b32_e32 v25, 20, v25
	v_lshl_add_u32 v33, v33, 23, 0x3c000000
	v_lshlrev_b32_sdwa v34, v0, v38 dst_sel:DWORD dst_unused:UNUSED_PAD src0_sel:DWORD src1_sel:WORD_1
	v_and_b32_e32 v34, 0x80000000, v34
	v_or3_b32 v66, v25, v34, v33
.LBB328_103:                            ;   in Loop: Header=BB328_12 Depth=1
	s_or_b32 exec_lo, exec_lo, s44
.LBB328_104:                            ;   in Loop: Header=BB328_12 Depth=1
	s_or_b32 exec_lo, exec_lo, s43
.LBB328_105:                            ;   in Loop: Header=BB328_12 Depth=1
	s_or_b32 exec_lo, exec_lo, s4
	s_mov_b32 s4, exec_lo
	v_cmpx_lt_u32_e32 0xffffff, v38
	s_cbranch_execz .LBB328_113
; %bb.106:                              ;   in Loop: Header=BB328_12 Depth=1
	v_cmp_ne_u32_sdwa s3, v38, v44 src0_sel:BYTE_3 src1_sel:DWORD
	v_bfrev_b32_e32 v65, 1
	s_and_saveexec_b32 s43, s3
	s_cbranch_execz .LBB328_112
; %bb.107:                              ;   in Loop: Header=BB328_12 Depth=1
	v_bfe_u32 v34, v38, 24, 7
	v_mov_b32_e32 v65, 0x7f800001
	s_mov_b32 s44, exec_lo
	v_cmpx_ne_u32_e32 0x7f, v34
	s_cbranch_execz .LBB328_111
; %bb.108:                              ;   in Loop: Header=BB328_12 Depth=1
	v_mov_b32_e32 v0, 7
	v_lshrrev_b32_e32 v33, 3, v34
	s_mov_b32 s45, exec_lo
	v_and_b32_sdwa v25, v38, v0 dst_sel:DWORD dst_unused:UNUSED_PAD src0_sel:BYTE_3 src1_sel:DWORD
	v_cmpx_gt_u32_e32 8, v34
; %bb.109:                              ;   in Loop: Header=BB328_12 Depth=1
	v_ffbh_u32_e32 v33, v25
	v_min_u32_e32 v33, 32, v33
	v_subrev_nc_u32_e32 v34, 28, v33
	v_sub_nc_u32_e32 v33, 29, v33
	v_lshlrev_b64 v[67:68], v34, v[25:26]
	v_and_b32_e32 v25, 7, v67
; %bb.110:                              ;   in Loop: Header=BB328_12 Depth=1
	s_or_b32 exec_lo, exec_lo, s45
	v_mov_b32_e32 v0, 24
	v_lshlrev_b32_e32 v25, 20, v25
	v_lshl_add_u32 v33, v33, 23, 0x3c000000
	v_lshlrev_b32_sdwa v34, v0, v38 dst_sel:DWORD dst_unused:UNUSED_PAD src0_sel:DWORD src1_sel:BYTE_3
	v_and_b32_e32 v34, 0x80000000, v34
	v_or3_b32 v65, v25, v34, v33
.LBB328_111:                            ;   in Loop: Header=BB328_12 Depth=1
	s_or_b32 exec_lo, exec_lo, s44
.LBB328_112:                            ;   in Loop: Header=BB328_12 Depth=1
	s_or_b32 exec_lo, exec_lo, s43
.LBB328_113:                            ;   in Loop: Header=BB328_12 Depth=1
	s_or_b32 exec_lo, exec_lo, s4
	global_load_dword v38, v[31:32], off offset:264
	v_mov_b32_e32 v67, 0
	v_mov_b32_e32 v68, 0
	s_waitcnt vmcnt(0)
	v_cmp_ne_u16_sdwa s3, v38, v26 src0_sel:BYTE_0 src1_sel:DWORD
	s_and_saveexec_b32 s4, s3
	s_cbranch_execz .LBB328_121
; %bb.114:                              ;   in Loop: Header=BB328_12 Depth=1
	v_cmp_ne_u16_sdwa s3, v38, v44 src0_sel:BYTE_0 src1_sel:DWORD
	v_bfrev_b32_e32 v68, 1
	s_and_saveexec_b32 s43, s3
	s_cbranch_execz .LBB328_120
; %bb.115:                              ;   in Loop: Header=BB328_12 Depth=1
	v_and_b32_e32 v34, 0x7f, v38
	v_mov_b32_e32 v68, 0x7f800001
	s_mov_b32 s44, exec_lo
	v_cmpx_ne_u32_e32 0x7f, v34
	s_cbranch_execz .LBB328_119
; %bb.116:                              ;   in Loop: Header=BB328_12 Depth=1
	v_and_b32_e32 v25, 7, v38
	v_lshrrev_b32_e32 v33, 3, v34
	s_mov_b32 s45, exec_lo
	v_cmpx_gt_u32_e32 8, v34
; %bb.117:                              ;   in Loop: Header=BB328_12 Depth=1
	v_ffbh_u32_e32 v33, v25
	v_min_u32_e32 v33, 32, v33
	v_subrev_nc_u32_e32 v34, 28, v33
	v_sub_nc_u32_e32 v33, 29, v33
	v_lshlrev_b64 v[68:69], v34, v[25:26]
	v_and_b32_e32 v25, 7, v68
; %bb.118:                              ;   in Loop: Header=BB328_12 Depth=1
	s_or_b32 exec_lo, exec_lo, s45
	v_lshlrev_b32_e32 v34, 24, v38
	v_lshlrev_b32_e32 v25, 20, v25
	v_lshl_add_u32 v33, v33, 23, 0x3c000000
	v_and_b32_e32 v34, 0x80000000, v34
	v_or3_b32 v68, v25, v34, v33
.LBB328_119:                            ;   in Loop: Header=BB328_12 Depth=1
	s_or_b32 exec_lo, exec_lo, s44
.LBB328_120:                            ;   in Loop: Header=BB328_12 Depth=1
	s_or_b32 exec_lo, exec_lo, s43
.LBB328_121:                            ;   in Loop: Header=BB328_12 Depth=1
	s_or_b32 exec_lo, exec_lo, s4
	v_cmp_ne_u16_sdwa s3, v38, v26 src0_sel:BYTE_1 src1_sel:DWORD
	s_and_saveexec_b32 s4, s3
	s_cbranch_execz .LBB328_129
; %bb.122:                              ;   in Loop: Header=BB328_12 Depth=1
	v_cmp_ne_u16_sdwa s3, v38, v44 src0_sel:BYTE_1 src1_sel:DWORD
	v_bfrev_b32_e32 v67, 1
	s_and_saveexec_b32 s43, s3
	s_cbranch_execz .LBB328_128
; %bb.123:                              ;   in Loop: Header=BB328_12 Depth=1
	v_mov_b32_e32 v0, 0xffff
	v_mov_b32_e32 v67, 0x7f800001
	s_mov_b32 s44, exec_lo
	v_and_b32_sdwa v25, v0, v38 dst_sel:DWORD dst_unused:UNUSED_PAD src0_sel:DWORD src1_sel:BYTE_1
	v_and_b32_e32 v34, 0x7f, v25
	v_cmpx_ne_u32_e32 0x7f, v34
	s_cbranch_execz .LBB328_127
; %bb.124:                              ;   in Loop: Header=BB328_12 Depth=1
	v_and_b32_e32 v25, 7, v25
	v_lshrrev_b32_e32 v33, 3, v34
	s_mov_b32 s45, exec_lo
	v_cmpx_gt_u32_e32 8, v34
; %bb.125:                              ;   in Loop: Header=BB328_12 Depth=1
	v_ffbh_u32_e32 v33, v25
	v_min_u32_e32 v33, 32, v33
	v_subrev_nc_u32_e32 v34, 28, v33
	v_sub_nc_u32_e32 v33, 29, v33
	v_lshlrev_b64 v[69:70], v34, v[25:26]
	v_and_b32_e32 v25, 7, v69
; %bb.126:                              ;   in Loop: Header=BB328_12 Depth=1
	s_or_b32 exec_lo, exec_lo, s45
	v_lshlrev_b32_e32 v34, 16, v38
	v_lshlrev_b32_e32 v25, 20, v25
	v_lshl_add_u32 v33, v33, 23, 0x3c000000
	v_and_b32_e32 v34, 0x80000000, v34
	v_or3_b32 v67, v25, v34, v33
.LBB328_127:                            ;   in Loop: Header=BB328_12 Depth=1
	s_or_b32 exec_lo, exec_lo, s44
.LBB328_128:                            ;   in Loop: Header=BB328_12 Depth=1
	s_or_b32 exec_lo, exec_lo, s43
.LBB328_129:                            ;   in Loop: Header=BB328_12 Depth=1
	s_or_b32 exec_lo, exec_lo, s4
	v_and_b32_sdwa v25, v38, v46 dst_sel:DWORD dst_unused:UNUSED_PAD src0_sel:WORD_1 src1_sel:DWORD
	v_mov_b32_e32 v69, 0
	v_mov_b32_e32 v70, 0
	s_mov_b32 s4, exec_lo
	v_cmpx_ne_u16_e32 0, v25
	s_cbranch_execz .LBB328_137
; %bb.130:                              ;   in Loop: Header=BB328_12 Depth=1
	v_bfrev_b32_e32 v70, 1
	s_mov_b32 s43, exec_lo
	v_cmpx_ne_u16_e32 0x80, v25
	s_cbranch_execz .LBB328_136
; %bb.131:                              ;   in Loop: Header=BB328_12 Depth=1
	v_bfe_u32 v34, v38, 16, 7
	v_mov_b32_e32 v70, 0x7f800001
	s_mov_b32 s44, exec_lo
	v_cmpx_ne_u32_e32 0x7f, v34
	s_cbranch_execz .LBB328_135
; %bb.132:                              ;   in Loop: Header=BB328_12 Depth=1
	v_mov_b32_e32 v0, 7
	v_lshrrev_b32_e32 v33, 3, v34
	s_mov_b32 s45, exec_lo
	v_and_b32_sdwa v25, v38, v0 dst_sel:DWORD dst_unused:UNUSED_PAD src0_sel:WORD_1 src1_sel:DWORD
	v_cmpx_gt_u32_e32 8, v34
; %bb.133:                              ;   in Loop: Header=BB328_12 Depth=1
	v_ffbh_u32_e32 v33, v25
	v_min_u32_e32 v33, 32, v33
	v_subrev_nc_u32_e32 v34, 28, v33
	v_sub_nc_u32_e32 v33, 29, v33
	v_lshlrev_b64 v[70:71], v34, v[25:26]
	v_and_b32_e32 v25, 7, v70
; %bb.134:                              ;   in Loop: Header=BB328_12 Depth=1
	s_or_b32 exec_lo, exec_lo, s45
	v_mov_b32_e32 v0, 24
	v_lshlrev_b32_e32 v25, 20, v25
	v_lshl_add_u32 v33, v33, 23, 0x3c000000
	v_lshlrev_b32_sdwa v34, v0, v38 dst_sel:DWORD dst_unused:UNUSED_PAD src0_sel:DWORD src1_sel:WORD_1
	v_and_b32_e32 v34, 0x80000000, v34
	v_or3_b32 v70, v25, v34, v33
.LBB328_135:                            ;   in Loop: Header=BB328_12 Depth=1
	s_or_b32 exec_lo, exec_lo, s44
.LBB328_136:                            ;   in Loop: Header=BB328_12 Depth=1
	s_or_b32 exec_lo, exec_lo, s43
.LBB328_137:                            ;   in Loop: Header=BB328_12 Depth=1
	s_or_b32 exec_lo, exec_lo, s4
	s_mov_b32 s4, exec_lo
	v_cmpx_lt_u32_e32 0xffffff, v38
	s_cbranch_execz .LBB328_145
; %bb.138:                              ;   in Loop: Header=BB328_12 Depth=1
	v_cmp_ne_u32_sdwa s3, v38, v44 src0_sel:BYTE_3 src1_sel:DWORD
	v_bfrev_b32_e32 v69, 1
	s_and_saveexec_b32 s43, s3
	s_cbranch_execz .LBB328_144
; %bb.139:                              ;   in Loop: Header=BB328_12 Depth=1
	v_bfe_u32 v34, v38, 24, 7
	v_mov_b32_e32 v69, 0x7f800001
	s_mov_b32 s44, exec_lo
	v_cmpx_ne_u32_e32 0x7f, v34
	s_cbranch_execz .LBB328_143
; %bb.140:                              ;   in Loop: Header=BB328_12 Depth=1
	v_mov_b32_e32 v0, 7
	v_lshrrev_b32_e32 v33, 3, v34
	s_mov_b32 s45, exec_lo
	v_and_b32_sdwa v25, v38, v0 dst_sel:DWORD dst_unused:UNUSED_PAD src0_sel:BYTE_3 src1_sel:DWORD
	v_cmpx_gt_u32_e32 8, v34
; %bb.141:                              ;   in Loop: Header=BB328_12 Depth=1
	v_ffbh_u32_e32 v33, v25
	v_min_u32_e32 v33, 32, v33
	v_subrev_nc_u32_e32 v34, 28, v33
	v_sub_nc_u32_e32 v33, 29, v33
	v_lshlrev_b64 v[71:72], v34, v[25:26]
	v_and_b32_e32 v25, 7, v71
; %bb.142:                              ;   in Loop: Header=BB328_12 Depth=1
	s_or_b32 exec_lo, exec_lo, s45
	v_mov_b32_e32 v0, 24
	v_lshlrev_b32_e32 v25, 20, v25
	v_lshl_add_u32 v33, v33, 23, 0x3c000000
	v_lshlrev_b32_sdwa v34, v0, v38 dst_sel:DWORD dst_unused:UNUSED_PAD src0_sel:DWORD src1_sel:BYTE_3
	v_and_b32_e32 v34, 0x80000000, v34
	v_or3_b32 v69, v25, v34, v33
.LBB328_143:                            ;   in Loop: Header=BB328_12 Depth=1
	s_or_b32 exec_lo, exec_lo, s44
.LBB328_144:                            ;   in Loop: Header=BB328_12 Depth=1
	s_or_b32 exec_lo, exec_lo, s43
.LBB328_145:                            ;   in Loop: Header=BB328_12 Depth=1
	s_or_b32 exec_lo, exec_lo, s4
	global_load_dword v38, v[31:32], off offset:512
	v_mov_b32_e32 v71, 0
	v_mov_b32_e32 v72, 0
	s_waitcnt vmcnt(0)
	v_cmp_ne_u16_sdwa s3, v38, v26 src0_sel:BYTE_0 src1_sel:DWORD
	s_and_saveexec_b32 s4, s3
	s_cbranch_execz .LBB328_153
; %bb.146:                              ;   in Loop: Header=BB328_12 Depth=1
	v_cmp_ne_u16_sdwa s3, v38, v44 src0_sel:BYTE_0 src1_sel:DWORD
	v_bfrev_b32_e32 v72, 1
	s_and_saveexec_b32 s43, s3
	s_cbranch_execz .LBB328_152
; %bb.147:                              ;   in Loop: Header=BB328_12 Depth=1
	v_and_b32_e32 v34, 0x7f, v38
	v_mov_b32_e32 v72, 0x7f800001
	s_mov_b32 s44, exec_lo
	v_cmpx_ne_u32_e32 0x7f, v34
	s_cbranch_execz .LBB328_151
; %bb.148:                              ;   in Loop: Header=BB328_12 Depth=1
	v_and_b32_e32 v25, 7, v38
	v_lshrrev_b32_e32 v33, 3, v34
	s_mov_b32 s45, exec_lo
	v_cmpx_gt_u32_e32 8, v34
; %bb.149:                              ;   in Loop: Header=BB328_12 Depth=1
	v_ffbh_u32_e32 v33, v25
	v_min_u32_e32 v33, 32, v33
	v_subrev_nc_u32_e32 v34, 28, v33
	v_sub_nc_u32_e32 v33, 29, v33
	v_lshlrev_b64 v[72:73], v34, v[25:26]
	v_and_b32_e32 v25, 7, v72
; %bb.150:                              ;   in Loop: Header=BB328_12 Depth=1
	s_or_b32 exec_lo, exec_lo, s45
	v_lshlrev_b32_e32 v34, 24, v38
	v_lshlrev_b32_e32 v25, 20, v25
	v_lshl_add_u32 v33, v33, 23, 0x3c000000
	v_and_b32_e32 v34, 0x80000000, v34
	v_or3_b32 v72, v25, v34, v33
.LBB328_151:                            ;   in Loop: Header=BB328_12 Depth=1
	s_or_b32 exec_lo, exec_lo, s44
.LBB328_152:                            ;   in Loop: Header=BB328_12 Depth=1
	s_or_b32 exec_lo, exec_lo, s43
.LBB328_153:                            ;   in Loop: Header=BB328_12 Depth=1
	s_or_b32 exec_lo, exec_lo, s4
	v_cmp_ne_u16_sdwa s3, v38, v26 src0_sel:BYTE_1 src1_sel:DWORD
	s_and_saveexec_b32 s4, s3
	s_cbranch_execz .LBB328_161
; %bb.154:                              ;   in Loop: Header=BB328_12 Depth=1
	v_cmp_ne_u16_sdwa s3, v38, v44 src0_sel:BYTE_1 src1_sel:DWORD
	v_bfrev_b32_e32 v71, 1
	s_and_saveexec_b32 s43, s3
	s_cbranch_execz .LBB328_160
; %bb.155:                              ;   in Loop: Header=BB328_12 Depth=1
	v_mov_b32_e32 v0, 0xffff
	v_mov_b32_e32 v71, 0x7f800001
	s_mov_b32 s44, exec_lo
	v_and_b32_sdwa v25, v0, v38 dst_sel:DWORD dst_unused:UNUSED_PAD src0_sel:DWORD src1_sel:BYTE_1
	v_and_b32_e32 v34, 0x7f, v25
	v_cmpx_ne_u32_e32 0x7f, v34
	s_cbranch_execz .LBB328_159
; %bb.156:                              ;   in Loop: Header=BB328_12 Depth=1
	v_and_b32_e32 v25, 7, v25
	v_lshrrev_b32_e32 v33, 3, v34
	s_mov_b32 s45, exec_lo
	v_cmpx_gt_u32_e32 8, v34
; %bb.157:                              ;   in Loop: Header=BB328_12 Depth=1
	v_ffbh_u32_e32 v33, v25
	v_min_u32_e32 v33, 32, v33
	v_subrev_nc_u32_e32 v34, 28, v33
	v_sub_nc_u32_e32 v33, 29, v33
	v_lshlrev_b64 v[73:74], v34, v[25:26]
	v_and_b32_e32 v25, 7, v73
; %bb.158:                              ;   in Loop: Header=BB328_12 Depth=1
	s_or_b32 exec_lo, exec_lo, s45
	v_lshlrev_b32_e32 v34, 16, v38
	v_lshlrev_b32_e32 v25, 20, v25
	v_lshl_add_u32 v33, v33, 23, 0x3c000000
	v_and_b32_e32 v34, 0x80000000, v34
	v_or3_b32 v71, v25, v34, v33
.LBB328_159:                            ;   in Loop: Header=BB328_12 Depth=1
	s_or_b32 exec_lo, exec_lo, s44
.LBB328_160:                            ;   in Loop: Header=BB328_12 Depth=1
	s_or_b32 exec_lo, exec_lo, s43
.LBB328_161:                            ;   in Loop: Header=BB328_12 Depth=1
	s_or_b32 exec_lo, exec_lo, s4
	v_and_b32_sdwa v25, v38, v46 dst_sel:DWORD dst_unused:UNUSED_PAD src0_sel:WORD_1 src1_sel:DWORD
	v_mov_b32_e32 v73, 0
	v_mov_b32_e32 v74, 0
	s_mov_b32 s4, exec_lo
	v_cmpx_ne_u16_e32 0, v25
	s_cbranch_execz .LBB328_169
; %bb.162:                              ;   in Loop: Header=BB328_12 Depth=1
	v_bfrev_b32_e32 v74, 1
	s_mov_b32 s43, exec_lo
	v_cmpx_ne_u16_e32 0x80, v25
	s_cbranch_execz .LBB328_168
; %bb.163:                              ;   in Loop: Header=BB328_12 Depth=1
	v_bfe_u32 v34, v38, 16, 7
	v_mov_b32_e32 v74, 0x7f800001
	s_mov_b32 s44, exec_lo
	v_cmpx_ne_u32_e32 0x7f, v34
	s_cbranch_execz .LBB328_167
; %bb.164:                              ;   in Loop: Header=BB328_12 Depth=1
	v_mov_b32_e32 v0, 7
	v_lshrrev_b32_e32 v33, 3, v34
	s_mov_b32 s45, exec_lo
	v_and_b32_sdwa v25, v38, v0 dst_sel:DWORD dst_unused:UNUSED_PAD src0_sel:WORD_1 src1_sel:DWORD
	v_cmpx_gt_u32_e32 8, v34
; %bb.165:                              ;   in Loop: Header=BB328_12 Depth=1
	v_ffbh_u32_e32 v33, v25
	v_min_u32_e32 v33, 32, v33
	v_subrev_nc_u32_e32 v34, 28, v33
	v_sub_nc_u32_e32 v33, 29, v33
	v_lshlrev_b64 v[74:75], v34, v[25:26]
	v_and_b32_e32 v25, 7, v74
; %bb.166:                              ;   in Loop: Header=BB328_12 Depth=1
	s_or_b32 exec_lo, exec_lo, s45
	v_mov_b32_e32 v0, 24
	v_lshlrev_b32_e32 v25, 20, v25
	v_lshl_add_u32 v33, v33, 23, 0x3c000000
	v_lshlrev_b32_sdwa v34, v0, v38 dst_sel:DWORD dst_unused:UNUSED_PAD src0_sel:DWORD src1_sel:WORD_1
	v_and_b32_e32 v34, 0x80000000, v34
	v_or3_b32 v74, v25, v34, v33
.LBB328_167:                            ;   in Loop: Header=BB328_12 Depth=1
	s_or_b32 exec_lo, exec_lo, s44
.LBB328_168:                            ;   in Loop: Header=BB328_12 Depth=1
	s_or_b32 exec_lo, exec_lo, s43
.LBB328_169:                            ;   in Loop: Header=BB328_12 Depth=1
	s_or_b32 exec_lo, exec_lo, s4
	s_mov_b32 s4, exec_lo
	v_cmpx_lt_u32_e32 0xffffff, v38
	s_cbranch_execz .LBB328_177
; %bb.170:                              ;   in Loop: Header=BB328_12 Depth=1
	v_cmp_ne_u32_sdwa s3, v38, v44 src0_sel:BYTE_3 src1_sel:DWORD
	v_bfrev_b32_e32 v73, 1
	s_and_saveexec_b32 s43, s3
	s_cbranch_execz .LBB328_176
; %bb.171:                              ;   in Loop: Header=BB328_12 Depth=1
	v_bfe_u32 v34, v38, 24, 7
	v_mov_b32_e32 v73, 0x7f800001
	s_mov_b32 s44, exec_lo
	v_cmpx_ne_u32_e32 0x7f, v34
	s_cbranch_execz .LBB328_175
; %bb.172:                              ;   in Loop: Header=BB328_12 Depth=1
	v_mov_b32_e32 v0, 7
	v_lshrrev_b32_e32 v33, 3, v34
	s_mov_b32 s45, exec_lo
	v_and_b32_sdwa v25, v38, v0 dst_sel:DWORD dst_unused:UNUSED_PAD src0_sel:BYTE_3 src1_sel:DWORD
	v_cmpx_gt_u32_e32 8, v34
; %bb.173:                              ;   in Loop: Header=BB328_12 Depth=1
	v_ffbh_u32_e32 v33, v25
	v_min_u32_e32 v33, 32, v33
	v_subrev_nc_u32_e32 v34, 28, v33
	v_sub_nc_u32_e32 v33, 29, v33
	v_lshlrev_b64 v[75:76], v34, v[25:26]
	v_and_b32_e32 v25, 7, v75
; %bb.174:                              ;   in Loop: Header=BB328_12 Depth=1
	s_or_b32 exec_lo, exec_lo, s45
	v_mov_b32_e32 v0, 24
	v_lshlrev_b32_e32 v25, 20, v25
	v_lshl_add_u32 v33, v33, 23, 0x3c000000
	v_lshlrev_b32_sdwa v34, v0, v38 dst_sel:DWORD dst_unused:UNUSED_PAD src0_sel:DWORD src1_sel:BYTE_3
	v_and_b32_e32 v34, 0x80000000, v34
	v_or3_b32 v73, v25, v34, v33
.LBB328_175:                            ;   in Loop: Header=BB328_12 Depth=1
	s_or_b32 exec_lo, exec_lo, s44
.LBB328_176:                            ;   in Loop: Header=BB328_12 Depth=1
	s_or_b32 exec_lo, exec_lo, s43
.LBB328_177:                            ;   in Loop: Header=BB328_12 Depth=1
	s_or_b32 exec_lo, exec_lo, s4
	global_load_dword v38, v[31:32], off offset:520
	v_mov_b32_e32 v75, 0
	v_mov_b32_e32 v76, 0
	s_waitcnt vmcnt(0)
	v_cmp_ne_u16_sdwa s3, v38, v26 src0_sel:BYTE_0 src1_sel:DWORD
	s_and_saveexec_b32 s4, s3
	s_cbranch_execz .LBB328_185
; %bb.178:                              ;   in Loop: Header=BB328_12 Depth=1
	v_cmp_ne_u16_sdwa s3, v38, v44 src0_sel:BYTE_0 src1_sel:DWORD
	v_bfrev_b32_e32 v76, 1
	s_and_saveexec_b32 s43, s3
	s_cbranch_execz .LBB328_184
; %bb.179:                              ;   in Loop: Header=BB328_12 Depth=1
	v_and_b32_e32 v34, 0x7f, v38
	v_mov_b32_e32 v76, 0x7f800001
	s_mov_b32 s44, exec_lo
	v_cmpx_ne_u32_e32 0x7f, v34
	s_cbranch_execz .LBB328_183
; %bb.180:                              ;   in Loop: Header=BB328_12 Depth=1
	v_and_b32_e32 v25, 7, v38
	v_lshrrev_b32_e32 v33, 3, v34
	s_mov_b32 s45, exec_lo
	v_cmpx_gt_u32_e32 8, v34
; %bb.181:                              ;   in Loop: Header=BB328_12 Depth=1
	v_ffbh_u32_e32 v33, v25
	v_min_u32_e32 v33, 32, v33
	v_subrev_nc_u32_e32 v34, 28, v33
	v_sub_nc_u32_e32 v33, 29, v33
	v_lshlrev_b64 v[76:77], v34, v[25:26]
	v_and_b32_e32 v25, 7, v76
; %bb.182:                              ;   in Loop: Header=BB328_12 Depth=1
	s_or_b32 exec_lo, exec_lo, s45
	v_lshlrev_b32_e32 v34, 24, v38
	v_lshlrev_b32_e32 v25, 20, v25
	v_lshl_add_u32 v33, v33, 23, 0x3c000000
	v_and_b32_e32 v34, 0x80000000, v34
	v_or3_b32 v76, v25, v34, v33
.LBB328_183:                            ;   in Loop: Header=BB328_12 Depth=1
	s_or_b32 exec_lo, exec_lo, s44
.LBB328_184:                            ;   in Loop: Header=BB328_12 Depth=1
	s_or_b32 exec_lo, exec_lo, s43
.LBB328_185:                            ;   in Loop: Header=BB328_12 Depth=1
	s_or_b32 exec_lo, exec_lo, s4
	v_cmp_ne_u16_sdwa s3, v38, v26 src0_sel:BYTE_1 src1_sel:DWORD
	s_and_saveexec_b32 s4, s3
	s_cbranch_execz .LBB328_193
; %bb.186:                              ;   in Loop: Header=BB328_12 Depth=1
	v_cmp_ne_u16_sdwa s3, v38, v44 src0_sel:BYTE_1 src1_sel:DWORD
	v_bfrev_b32_e32 v75, 1
	s_and_saveexec_b32 s43, s3
	s_cbranch_execz .LBB328_192
; %bb.187:                              ;   in Loop: Header=BB328_12 Depth=1
	v_mov_b32_e32 v0, 0xffff
	v_mov_b32_e32 v75, 0x7f800001
	s_mov_b32 s44, exec_lo
	v_and_b32_sdwa v25, v0, v38 dst_sel:DWORD dst_unused:UNUSED_PAD src0_sel:DWORD src1_sel:BYTE_1
	v_and_b32_e32 v34, 0x7f, v25
	v_cmpx_ne_u32_e32 0x7f, v34
	s_cbranch_execz .LBB328_191
; %bb.188:                              ;   in Loop: Header=BB328_12 Depth=1
	v_and_b32_e32 v25, 7, v25
	v_lshrrev_b32_e32 v33, 3, v34
	s_mov_b32 s45, exec_lo
	v_cmpx_gt_u32_e32 8, v34
; %bb.189:                              ;   in Loop: Header=BB328_12 Depth=1
	v_ffbh_u32_e32 v33, v25
	v_min_u32_e32 v33, 32, v33
	v_subrev_nc_u32_e32 v34, 28, v33
	v_sub_nc_u32_e32 v33, 29, v33
	v_lshlrev_b64 v[77:78], v34, v[25:26]
	v_and_b32_e32 v25, 7, v77
; %bb.190:                              ;   in Loop: Header=BB328_12 Depth=1
	s_or_b32 exec_lo, exec_lo, s45
	v_lshlrev_b32_e32 v34, 16, v38
	v_lshlrev_b32_e32 v25, 20, v25
	v_lshl_add_u32 v33, v33, 23, 0x3c000000
	v_and_b32_e32 v34, 0x80000000, v34
	v_or3_b32 v75, v25, v34, v33
.LBB328_191:                            ;   in Loop: Header=BB328_12 Depth=1
	s_or_b32 exec_lo, exec_lo, s44
.LBB328_192:                            ;   in Loop: Header=BB328_12 Depth=1
	s_or_b32 exec_lo, exec_lo, s43
.LBB328_193:                            ;   in Loop: Header=BB328_12 Depth=1
	s_or_b32 exec_lo, exec_lo, s4
	v_and_b32_sdwa v25, v38, v46 dst_sel:DWORD dst_unused:UNUSED_PAD src0_sel:WORD_1 src1_sel:DWORD
	v_mov_b32_e32 v77, 0
	v_mov_b32_e32 v78, 0
	s_mov_b32 s4, exec_lo
	v_cmpx_ne_u16_e32 0, v25
	s_cbranch_execz .LBB328_201
; %bb.194:                              ;   in Loop: Header=BB328_12 Depth=1
	v_bfrev_b32_e32 v78, 1
	s_mov_b32 s43, exec_lo
	v_cmpx_ne_u16_e32 0x80, v25
	s_cbranch_execz .LBB328_200
; %bb.195:                              ;   in Loop: Header=BB328_12 Depth=1
	v_bfe_u32 v34, v38, 16, 7
	v_mov_b32_e32 v78, 0x7f800001
	s_mov_b32 s44, exec_lo
	v_cmpx_ne_u32_e32 0x7f, v34
	s_cbranch_execz .LBB328_199
; %bb.196:                              ;   in Loop: Header=BB328_12 Depth=1
	v_mov_b32_e32 v0, 7
	v_lshrrev_b32_e32 v33, 3, v34
	s_mov_b32 s45, exec_lo
	v_and_b32_sdwa v25, v38, v0 dst_sel:DWORD dst_unused:UNUSED_PAD src0_sel:WORD_1 src1_sel:DWORD
	v_cmpx_gt_u32_e32 8, v34
; %bb.197:                              ;   in Loop: Header=BB328_12 Depth=1
	v_ffbh_u32_e32 v33, v25
	v_min_u32_e32 v33, 32, v33
	v_subrev_nc_u32_e32 v34, 28, v33
	v_sub_nc_u32_e32 v33, 29, v33
	v_lshlrev_b64 v[78:79], v34, v[25:26]
	v_and_b32_e32 v25, 7, v78
; %bb.198:                              ;   in Loop: Header=BB328_12 Depth=1
	s_or_b32 exec_lo, exec_lo, s45
	v_mov_b32_e32 v0, 24
	v_lshlrev_b32_e32 v25, 20, v25
	v_lshl_add_u32 v33, v33, 23, 0x3c000000
	v_lshlrev_b32_sdwa v34, v0, v38 dst_sel:DWORD dst_unused:UNUSED_PAD src0_sel:DWORD src1_sel:WORD_1
	v_and_b32_e32 v34, 0x80000000, v34
	v_or3_b32 v78, v25, v34, v33
.LBB328_199:                            ;   in Loop: Header=BB328_12 Depth=1
	s_or_b32 exec_lo, exec_lo, s44
.LBB328_200:                            ;   in Loop: Header=BB328_12 Depth=1
	s_or_b32 exec_lo, exec_lo, s43
.LBB328_201:                            ;   in Loop: Header=BB328_12 Depth=1
	s_or_b32 exec_lo, exec_lo, s4
	s_mov_b32 s4, exec_lo
	v_cmpx_lt_u32_e32 0xffffff, v38
	s_cbranch_execz .LBB328_209
; %bb.202:                              ;   in Loop: Header=BB328_12 Depth=1
	v_cmp_ne_u32_sdwa s3, v38, v44 src0_sel:BYTE_3 src1_sel:DWORD
	v_bfrev_b32_e32 v77, 1
	s_and_saveexec_b32 s43, s3
	s_cbranch_execz .LBB328_208
; %bb.203:                              ;   in Loop: Header=BB328_12 Depth=1
	v_bfe_u32 v34, v38, 24, 7
	v_mov_b32_e32 v77, 0x7f800001
	s_mov_b32 s44, exec_lo
	v_cmpx_ne_u32_e32 0x7f, v34
	s_cbranch_execz .LBB328_207
; %bb.204:                              ;   in Loop: Header=BB328_12 Depth=1
	v_mov_b32_e32 v0, 7
	v_lshrrev_b32_e32 v33, 3, v34
	s_mov_b32 s45, exec_lo
	v_and_b32_sdwa v25, v38, v0 dst_sel:DWORD dst_unused:UNUSED_PAD src0_sel:BYTE_3 src1_sel:DWORD
	v_cmpx_gt_u32_e32 8, v34
; %bb.205:                              ;   in Loop: Header=BB328_12 Depth=1
	v_ffbh_u32_e32 v33, v25
	v_min_u32_e32 v33, 32, v33
	v_subrev_nc_u32_e32 v34, 28, v33
	v_sub_nc_u32_e32 v33, 29, v33
	v_lshlrev_b64 v[79:80], v34, v[25:26]
	v_and_b32_e32 v25, 7, v79
; %bb.206:                              ;   in Loop: Header=BB328_12 Depth=1
	s_or_b32 exec_lo, exec_lo, s45
	v_mov_b32_e32 v0, 24
	v_lshlrev_b32_e32 v25, 20, v25
	v_lshl_add_u32 v33, v33, 23, 0x3c000000
	v_lshlrev_b32_sdwa v34, v0, v38 dst_sel:DWORD dst_unused:UNUSED_PAD src0_sel:DWORD src1_sel:BYTE_3
	v_and_b32_e32 v34, 0x80000000, v34
	v_or3_b32 v77, v25, v34, v33
.LBB328_207:                            ;   in Loop: Header=BB328_12 Depth=1
	s_or_b32 exec_lo, exec_lo, s44
.LBB328_208:                            ;   in Loop: Header=BB328_12 Depth=1
	s_or_b32 exec_lo, exec_lo, s43
.LBB328_209:                            ;   in Loop: Header=BB328_12 Depth=1
	s_or_b32 exec_lo, exec_lo, s4
	global_load_dword v38, v[31:32], off offset:768
	v_mov_b32_e32 v79, 0
	v_mov_b32_e32 v80, 0
	s_waitcnt vmcnt(0)
	v_cmp_ne_u16_sdwa s3, v38, v26 src0_sel:BYTE_0 src1_sel:DWORD
	s_and_saveexec_b32 s4, s3
	s_cbranch_execz .LBB328_217
; %bb.210:                              ;   in Loop: Header=BB328_12 Depth=1
	v_cmp_ne_u16_sdwa s3, v38, v44 src0_sel:BYTE_0 src1_sel:DWORD
	v_bfrev_b32_e32 v80, 1
	s_and_saveexec_b32 s43, s3
	s_cbranch_execz .LBB328_216
; %bb.211:                              ;   in Loop: Header=BB328_12 Depth=1
	v_and_b32_e32 v34, 0x7f, v38
	v_mov_b32_e32 v80, 0x7f800001
	s_mov_b32 s44, exec_lo
	v_cmpx_ne_u32_e32 0x7f, v34
	s_cbranch_execz .LBB328_215
; %bb.212:                              ;   in Loop: Header=BB328_12 Depth=1
	v_and_b32_e32 v25, 7, v38
	v_lshrrev_b32_e32 v33, 3, v34
	s_mov_b32 s45, exec_lo
	v_cmpx_gt_u32_e32 8, v34
; %bb.213:                              ;   in Loop: Header=BB328_12 Depth=1
	v_ffbh_u32_e32 v33, v25
	v_min_u32_e32 v33, 32, v33
	v_subrev_nc_u32_e32 v34, 28, v33
	v_sub_nc_u32_e32 v33, 29, v33
	v_lshlrev_b64 v[80:81], v34, v[25:26]
	v_and_b32_e32 v25, 7, v80
; %bb.214:                              ;   in Loop: Header=BB328_12 Depth=1
	s_or_b32 exec_lo, exec_lo, s45
	v_lshlrev_b32_e32 v34, 24, v38
	v_lshlrev_b32_e32 v25, 20, v25
	v_lshl_add_u32 v33, v33, 23, 0x3c000000
	v_and_b32_e32 v34, 0x80000000, v34
	v_or3_b32 v80, v25, v34, v33
.LBB328_215:                            ;   in Loop: Header=BB328_12 Depth=1
	s_or_b32 exec_lo, exec_lo, s44
.LBB328_216:                            ;   in Loop: Header=BB328_12 Depth=1
	s_or_b32 exec_lo, exec_lo, s43
.LBB328_217:                            ;   in Loop: Header=BB328_12 Depth=1
	s_or_b32 exec_lo, exec_lo, s4
	v_cmp_ne_u16_sdwa s3, v38, v26 src0_sel:BYTE_1 src1_sel:DWORD
	s_and_saveexec_b32 s4, s3
	s_cbranch_execz .LBB328_225
; %bb.218:                              ;   in Loop: Header=BB328_12 Depth=1
	v_cmp_ne_u16_sdwa s3, v38, v44 src0_sel:BYTE_1 src1_sel:DWORD
	v_bfrev_b32_e32 v79, 1
	s_and_saveexec_b32 s43, s3
	s_cbranch_execz .LBB328_224
; %bb.219:                              ;   in Loop: Header=BB328_12 Depth=1
	v_mov_b32_e32 v0, 0xffff
	v_mov_b32_e32 v79, 0x7f800001
	s_mov_b32 s44, exec_lo
	v_and_b32_sdwa v25, v0, v38 dst_sel:DWORD dst_unused:UNUSED_PAD src0_sel:DWORD src1_sel:BYTE_1
	v_and_b32_e32 v34, 0x7f, v25
	v_cmpx_ne_u32_e32 0x7f, v34
	s_cbranch_execz .LBB328_223
; %bb.220:                              ;   in Loop: Header=BB328_12 Depth=1
	v_and_b32_e32 v25, 7, v25
	v_lshrrev_b32_e32 v33, 3, v34
	s_mov_b32 s45, exec_lo
	v_cmpx_gt_u32_e32 8, v34
; %bb.221:                              ;   in Loop: Header=BB328_12 Depth=1
	v_ffbh_u32_e32 v33, v25
	v_min_u32_e32 v33, 32, v33
	v_subrev_nc_u32_e32 v34, 28, v33
	v_sub_nc_u32_e32 v33, 29, v33
	v_lshlrev_b64 v[81:82], v34, v[25:26]
	v_and_b32_e32 v25, 7, v81
; %bb.222:                              ;   in Loop: Header=BB328_12 Depth=1
	s_or_b32 exec_lo, exec_lo, s45
	v_lshlrev_b32_e32 v34, 16, v38
	v_lshlrev_b32_e32 v25, 20, v25
	v_lshl_add_u32 v33, v33, 23, 0x3c000000
	v_and_b32_e32 v34, 0x80000000, v34
	v_or3_b32 v79, v25, v34, v33
.LBB328_223:                            ;   in Loop: Header=BB328_12 Depth=1
	s_or_b32 exec_lo, exec_lo, s44
.LBB328_224:                            ;   in Loop: Header=BB328_12 Depth=1
	s_or_b32 exec_lo, exec_lo, s43
.LBB328_225:                            ;   in Loop: Header=BB328_12 Depth=1
	s_or_b32 exec_lo, exec_lo, s4
	v_and_b32_sdwa v25, v38, v46 dst_sel:DWORD dst_unused:UNUSED_PAD src0_sel:WORD_1 src1_sel:DWORD
	v_mov_b32_e32 v81, 0
	v_mov_b32_e32 v82, 0
	s_mov_b32 s4, exec_lo
	v_cmpx_ne_u16_e32 0, v25
	s_cbranch_execz .LBB328_233
; %bb.226:                              ;   in Loop: Header=BB328_12 Depth=1
	v_bfrev_b32_e32 v82, 1
	s_mov_b32 s43, exec_lo
	v_cmpx_ne_u16_e32 0x80, v25
	s_cbranch_execz .LBB328_232
; %bb.227:                              ;   in Loop: Header=BB328_12 Depth=1
	v_bfe_u32 v34, v38, 16, 7
	v_mov_b32_e32 v82, 0x7f800001
	s_mov_b32 s44, exec_lo
	v_cmpx_ne_u32_e32 0x7f, v34
	s_cbranch_execz .LBB328_231
; %bb.228:                              ;   in Loop: Header=BB328_12 Depth=1
	v_mov_b32_e32 v0, 7
	v_lshrrev_b32_e32 v33, 3, v34
	s_mov_b32 s45, exec_lo
	v_and_b32_sdwa v25, v38, v0 dst_sel:DWORD dst_unused:UNUSED_PAD src0_sel:WORD_1 src1_sel:DWORD
	v_cmpx_gt_u32_e32 8, v34
; %bb.229:                              ;   in Loop: Header=BB328_12 Depth=1
	v_ffbh_u32_e32 v33, v25
	v_min_u32_e32 v33, 32, v33
	v_subrev_nc_u32_e32 v34, 28, v33
	v_sub_nc_u32_e32 v33, 29, v33
	v_lshlrev_b64 v[82:83], v34, v[25:26]
	v_and_b32_e32 v25, 7, v82
; %bb.230:                              ;   in Loop: Header=BB328_12 Depth=1
	s_or_b32 exec_lo, exec_lo, s45
	v_mov_b32_e32 v0, 24
	v_lshlrev_b32_e32 v25, 20, v25
	v_lshl_add_u32 v33, v33, 23, 0x3c000000
	v_lshlrev_b32_sdwa v34, v0, v38 dst_sel:DWORD dst_unused:UNUSED_PAD src0_sel:DWORD src1_sel:WORD_1
	v_and_b32_e32 v34, 0x80000000, v34
	v_or3_b32 v82, v25, v34, v33
.LBB328_231:                            ;   in Loop: Header=BB328_12 Depth=1
	s_or_b32 exec_lo, exec_lo, s44
.LBB328_232:                            ;   in Loop: Header=BB328_12 Depth=1
	s_or_b32 exec_lo, exec_lo, s43
.LBB328_233:                            ;   in Loop: Header=BB328_12 Depth=1
	s_or_b32 exec_lo, exec_lo, s4
	s_mov_b32 s4, exec_lo
	v_cmpx_lt_u32_e32 0xffffff, v38
	s_cbranch_execz .LBB328_241
; %bb.234:                              ;   in Loop: Header=BB328_12 Depth=1
	v_cmp_ne_u32_sdwa s3, v38, v44 src0_sel:BYTE_3 src1_sel:DWORD
	v_bfrev_b32_e32 v81, 1
	s_and_saveexec_b32 s43, s3
	s_cbranch_execz .LBB328_240
; %bb.235:                              ;   in Loop: Header=BB328_12 Depth=1
	v_bfe_u32 v34, v38, 24, 7
	v_mov_b32_e32 v81, 0x7f800001
	s_mov_b32 s44, exec_lo
	v_cmpx_ne_u32_e32 0x7f, v34
	s_cbranch_execz .LBB328_239
; %bb.236:                              ;   in Loop: Header=BB328_12 Depth=1
	v_mov_b32_e32 v0, 7
	v_lshrrev_b32_e32 v33, 3, v34
	s_mov_b32 s45, exec_lo
	v_and_b32_sdwa v25, v38, v0 dst_sel:DWORD dst_unused:UNUSED_PAD src0_sel:BYTE_3 src1_sel:DWORD
	v_cmpx_gt_u32_e32 8, v34
; %bb.237:                              ;   in Loop: Header=BB328_12 Depth=1
	v_ffbh_u32_e32 v33, v25
	v_min_u32_e32 v33, 32, v33
	v_subrev_nc_u32_e32 v34, 28, v33
	v_sub_nc_u32_e32 v33, 29, v33
	v_lshlrev_b64 v[83:84], v34, v[25:26]
	v_and_b32_e32 v25, 7, v83
; %bb.238:                              ;   in Loop: Header=BB328_12 Depth=1
	s_or_b32 exec_lo, exec_lo, s45
	v_mov_b32_e32 v0, 24
	v_lshlrev_b32_e32 v25, 20, v25
	v_lshl_add_u32 v33, v33, 23, 0x3c000000
	v_lshlrev_b32_sdwa v34, v0, v38 dst_sel:DWORD dst_unused:UNUSED_PAD src0_sel:DWORD src1_sel:BYTE_3
	v_and_b32_e32 v34, 0x80000000, v34
	v_or3_b32 v81, v25, v34, v33
.LBB328_239:                            ;   in Loop: Header=BB328_12 Depth=1
	s_or_b32 exec_lo, exec_lo, s44
.LBB328_240:                            ;   in Loop: Header=BB328_12 Depth=1
	s_or_b32 exec_lo, exec_lo, s43
.LBB328_241:                            ;   in Loop: Header=BB328_12 Depth=1
	s_or_b32 exec_lo, exec_lo, s4
	global_load_dword v38, v[31:32], off offset:776
	v_mov_b32_e32 v83, 0
	v_mov_b32_e32 v84, 0
	s_waitcnt vmcnt(0)
	v_cmp_ne_u16_sdwa s3, v38, v26 src0_sel:BYTE_0 src1_sel:DWORD
	s_and_saveexec_b32 s4, s3
	s_cbranch_execz .LBB328_249
; %bb.242:                              ;   in Loop: Header=BB328_12 Depth=1
	v_cmp_ne_u16_sdwa s3, v38, v44 src0_sel:BYTE_0 src1_sel:DWORD
	v_bfrev_b32_e32 v84, 1
	s_and_saveexec_b32 s43, s3
	s_cbranch_execz .LBB328_248
; %bb.243:                              ;   in Loop: Header=BB328_12 Depth=1
	v_and_b32_e32 v34, 0x7f, v38
	v_mov_b32_e32 v84, 0x7f800001
	s_mov_b32 s44, exec_lo
	v_cmpx_ne_u32_e32 0x7f, v34
	s_cbranch_execz .LBB328_247
; %bb.244:                              ;   in Loop: Header=BB328_12 Depth=1
	v_and_b32_e32 v25, 7, v38
	v_lshrrev_b32_e32 v33, 3, v34
	s_mov_b32 s45, exec_lo
	v_cmpx_gt_u32_e32 8, v34
; %bb.245:                              ;   in Loop: Header=BB328_12 Depth=1
	v_ffbh_u32_e32 v33, v25
	v_min_u32_e32 v33, 32, v33
	v_subrev_nc_u32_e32 v34, 28, v33
	v_sub_nc_u32_e32 v33, 29, v33
	v_lshlrev_b64 v[84:85], v34, v[25:26]
	v_and_b32_e32 v25, 7, v84
; %bb.246:                              ;   in Loop: Header=BB328_12 Depth=1
	s_or_b32 exec_lo, exec_lo, s45
	v_lshlrev_b32_e32 v34, 24, v38
	v_lshlrev_b32_e32 v25, 20, v25
	v_lshl_add_u32 v33, v33, 23, 0x3c000000
	v_and_b32_e32 v34, 0x80000000, v34
	v_or3_b32 v84, v25, v34, v33
.LBB328_247:                            ;   in Loop: Header=BB328_12 Depth=1
	s_or_b32 exec_lo, exec_lo, s44
.LBB328_248:                            ;   in Loop: Header=BB328_12 Depth=1
	s_or_b32 exec_lo, exec_lo, s43
.LBB328_249:                            ;   in Loop: Header=BB328_12 Depth=1
	s_or_b32 exec_lo, exec_lo, s4
	v_cmp_ne_u16_sdwa s3, v38, v26 src0_sel:BYTE_1 src1_sel:DWORD
	s_and_saveexec_b32 s4, s3
	s_cbranch_execz .LBB328_257
; %bb.250:                              ;   in Loop: Header=BB328_12 Depth=1
	v_cmp_ne_u16_sdwa s3, v38, v44 src0_sel:BYTE_1 src1_sel:DWORD
	v_bfrev_b32_e32 v83, 1
	s_and_saveexec_b32 s43, s3
	s_cbranch_execz .LBB328_256
; %bb.251:                              ;   in Loop: Header=BB328_12 Depth=1
	v_mov_b32_e32 v0, 0xffff
	v_mov_b32_e32 v83, 0x7f800001
	s_mov_b32 s44, exec_lo
	v_and_b32_sdwa v25, v0, v38 dst_sel:DWORD dst_unused:UNUSED_PAD src0_sel:DWORD src1_sel:BYTE_1
	v_and_b32_e32 v34, 0x7f, v25
	v_cmpx_ne_u32_e32 0x7f, v34
	s_cbranch_execz .LBB328_255
; %bb.252:                              ;   in Loop: Header=BB328_12 Depth=1
	v_and_b32_e32 v25, 7, v25
	v_lshrrev_b32_e32 v33, 3, v34
	s_mov_b32 s45, exec_lo
	v_cmpx_gt_u32_e32 8, v34
; %bb.253:                              ;   in Loop: Header=BB328_12 Depth=1
	v_ffbh_u32_e32 v33, v25
	v_min_u32_e32 v33, 32, v33
	v_subrev_nc_u32_e32 v34, 28, v33
	v_sub_nc_u32_e32 v33, 29, v33
	v_lshlrev_b64 v[85:86], v34, v[25:26]
	v_and_b32_e32 v25, 7, v85
; %bb.254:                              ;   in Loop: Header=BB328_12 Depth=1
	s_or_b32 exec_lo, exec_lo, s45
	v_lshlrev_b32_e32 v34, 16, v38
	v_lshlrev_b32_e32 v25, 20, v25
	v_lshl_add_u32 v33, v33, 23, 0x3c000000
	v_and_b32_e32 v34, 0x80000000, v34
	v_or3_b32 v83, v25, v34, v33
.LBB328_255:                            ;   in Loop: Header=BB328_12 Depth=1
	s_or_b32 exec_lo, exec_lo, s44
.LBB328_256:                            ;   in Loop: Header=BB328_12 Depth=1
	s_or_b32 exec_lo, exec_lo, s43
.LBB328_257:                            ;   in Loop: Header=BB328_12 Depth=1
	s_or_b32 exec_lo, exec_lo, s4
	v_and_b32_sdwa v25, v38, v46 dst_sel:DWORD dst_unused:UNUSED_PAD src0_sel:WORD_1 src1_sel:DWORD
	v_mov_b32_e32 v85, 0
	v_mov_b32_e32 v86, 0
	s_mov_b32 s4, exec_lo
	v_cmpx_ne_u16_e32 0, v25
	s_cbranch_execz .LBB328_265
; %bb.258:                              ;   in Loop: Header=BB328_12 Depth=1
	v_bfrev_b32_e32 v86, 1
	s_mov_b32 s43, exec_lo
	v_cmpx_ne_u16_e32 0x80, v25
	s_cbranch_execz .LBB328_264
; %bb.259:                              ;   in Loop: Header=BB328_12 Depth=1
	v_bfe_u32 v34, v38, 16, 7
	v_mov_b32_e32 v86, 0x7f800001
	s_mov_b32 s44, exec_lo
	v_cmpx_ne_u32_e32 0x7f, v34
	s_cbranch_execz .LBB328_263
; %bb.260:                              ;   in Loop: Header=BB328_12 Depth=1
	v_mov_b32_e32 v0, 7
	v_lshrrev_b32_e32 v33, 3, v34
	s_mov_b32 s45, exec_lo
	v_and_b32_sdwa v25, v38, v0 dst_sel:DWORD dst_unused:UNUSED_PAD src0_sel:WORD_1 src1_sel:DWORD
	v_cmpx_gt_u32_e32 8, v34
; %bb.261:                              ;   in Loop: Header=BB328_12 Depth=1
	v_ffbh_u32_e32 v33, v25
	v_min_u32_e32 v33, 32, v33
	v_subrev_nc_u32_e32 v34, 28, v33
	v_sub_nc_u32_e32 v33, 29, v33
	v_lshlrev_b64 v[86:87], v34, v[25:26]
	v_and_b32_e32 v25, 7, v86
; %bb.262:                              ;   in Loop: Header=BB328_12 Depth=1
	s_or_b32 exec_lo, exec_lo, s45
	v_mov_b32_e32 v0, 24
	v_lshlrev_b32_e32 v25, 20, v25
	v_lshl_add_u32 v33, v33, 23, 0x3c000000
	v_lshlrev_b32_sdwa v34, v0, v38 dst_sel:DWORD dst_unused:UNUSED_PAD src0_sel:DWORD src1_sel:WORD_1
	v_and_b32_e32 v34, 0x80000000, v34
	v_or3_b32 v86, v25, v34, v33
.LBB328_263:                            ;   in Loop: Header=BB328_12 Depth=1
	s_or_b32 exec_lo, exec_lo, s44
.LBB328_264:                            ;   in Loop: Header=BB328_12 Depth=1
	s_or_b32 exec_lo, exec_lo, s43
.LBB328_265:                            ;   in Loop: Header=BB328_12 Depth=1
	s_or_b32 exec_lo, exec_lo, s4
	s_mov_b32 s4, exec_lo
	v_cmpx_lt_u32_e32 0xffffff, v38
	s_cbranch_execz .LBB328_273
; %bb.266:                              ;   in Loop: Header=BB328_12 Depth=1
	v_cmp_ne_u32_sdwa s3, v38, v44 src0_sel:BYTE_3 src1_sel:DWORD
	v_bfrev_b32_e32 v85, 1
	s_and_saveexec_b32 s43, s3
	s_cbranch_execz .LBB328_272
; %bb.267:                              ;   in Loop: Header=BB328_12 Depth=1
	v_bfe_u32 v34, v38, 24, 7
	v_mov_b32_e32 v85, 0x7f800001
	s_mov_b32 s44, exec_lo
	v_cmpx_ne_u32_e32 0x7f, v34
	s_cbranch_execz .LBB328_271
; %bb.268:                              ;   in Loop: Header=BB328_12 Depth=1
	v_mov_b32_e32 v0, 7
	v_lshrrev_b32_e32 v33, 3, v34
	s_mov_b32 s45, exec_lo
	v_and_b32_sdwa v25, v38, v0 dst_sel:DWORD dst_unused:UNUSED_PAD src0_sel:BYTE_3 src1_sel:DWORD
	v_cmpx_gt_u32_e32 8, v34
; %bb.269:                              ;   in Loop: Header=BB328_12 Depth=1
	v_ffbh_u32_e32 v33, v25
	v_min_u32_e32 v33, 32, v33
	v_subrev_nc_u32_e32 v34, 28, v33
	v_sub_nc_u32_e32 v33, 29, v33
	v_lshlrev_b64 v[87:88], v34, v[25:26]
	v_and_b32_e32 v25, 7, v87
; %bb.270:                              ;   in Loop: Header=BB328_12 Depth=1
	s_or_b32 exec_lo, exec_lo, s45
	v_mov_b32_e32 v0, 24
	v_lshlrev_b32_e32 v25, 20, v25
	v_lshl_add_u32 v33, v33, 23, 0x3c000000
	v_lshlrev_b32_sdwa v34, v0, v38 dst_sel:DWORD dst_unused:UNUSED_PAD src0_sel:DWORD src1_sel:BYTE_3
	v_and_b32_e32 v34, 0x80000000, v34
	v_or3_b32 v85, v25, v34, v33
.LBB328_271:                            ;   in Loop: Header=BB328_12 Depth=1
	s_or_b32 exec_lo, exec_lo, s44
.LBB328_272:                            ;   in Loop: Header=BB328_12 Depth=1
	s_or_b32 exec_lo, exec_lo, s43
.LBB328_273:                            ;   in Loop: Header=BB328_12 Depth=1
	s_or_b32 exec_lo, exec_lo, s4
	global_load_dword v38, v[31:32], off offset:1024
	v_mov_b32_e32 v87, 0
	v_mov_b32_e32 v88, 0
	s_waitcnt vmcnt(0)
	v_cmp_ne_u16_sdwa s3, v38, v26 src0_sel:BYTE_0 src1_sel:DWORD
	s_and_saveexec_b32 s4, s3
	s_cbranch_execz .LBB328_281
; %bb.274:                              ;   in Loop: Header=BB328_12 Depth=1
	v_cmp_ne_u16_sdwa s3, v38, v44 src0_sel:BYTE_0 src1_sel:DWORD
	v_bfrev_b32_e32 v88, 1
	s_and_saveexec_b32 s43, s3
	s_cbranch_execz .LBB328_280
; %bb.275:                              ;   in Loop: Header=BB328_12 Depth=1
	v_and_b32_e32 v34, 0x7f, v38
	v_mov_b32_e32 v88, 0x7f800001
	s_mov_b32 s44, exec_lo
	v_cmpx_ne_u32_e32 0x7f, v34
	s_cbranch_execz .LBB328_279
; %bb.276:                              ;   in Loop: Header=BB328_12 Depth=1
	v_and_b32_e32 v25, 7, v38
	v_lshrrev_b32_e32 v33, 3, v34
	s_mov_b32 s45, exec_lo
	v_cmpx_gt_u32_e32 8, v34
; %bb.277:                              ;   in Loop: Header=BB328_12 Depth=1
	v_ffbh_u32_e32 v33, v25
	v_min_u32_e32 v33, 32, v33
	v_subrev_nc_u32_e32 v34, 28, v33
	v_sub_nc_u32_e32 v33, 29, v33
	v_lshlrev_b64 v[88:89], v34, v[25:26]
	v_and_b32_e32 v25, 7, v88
; %bb.278:                              ;   in Loop: Header=BB328_12 Depth=1
	s_or_b32 exec_lo, exec_lo, s45
	v_lshlrev_b32_e32 v34, 24, v38
	v_lshlrev_b32_e32 v25, 20, v25
	v_lshl_add_u32 v33, v33, 23, 0x3c000000
	v_and_b32_e32 v34, 0x80000000, v34
	v_or3_b32 v88, v25, v34, v33
.LBB328_279:                            ;   in Loop: Header=BB328_12 Depth=1
	s_or_b32 exec_lo, exec_lo, s44
.LBB328_280:                            ;   in Loop: Header=BB328_12 Depth=1
	s_or_b32 exec_lo, exec_lo, s43
.LBB328_281:                            ;   in Loop: Header=BB328_12 Depth=1
	s_or_b32 exec_lo, exec_lo, s4
	v_cmp_ne_u16_sdwa s3, v38, v26 src0_sel:BYTE_1 src1_sel:DWORD
	s_and_saveexec_b32 s4, s3
	s_cbranch_execz .LBB328_289
; %bb.282:                              ;   in Loop: Header=BB328_12 Depth=1
	v_cmp_ne_u16_sdwa s3, v38, v44 src0_sel:BYTE_1 src1_sel:DWORD
	v_bfrev_b32_e32 v87, 1
	s_and_saveexec_b32 s43, s3
	s_cbranch_execz .LBB328_288
; %bb.283:                              ;   in Loop: Header=BB328_12 Depth=1
	v_mov_b32_e32 v0, 0xffff
	v_mov_b32_e32 v87, 0x7f800001
	s_mov_b32 s44, exec_lo
	v_and_b32_sdwa v25, v0, v38 dst_sel:DWORD dst_unused:UNUSED_PAD src0_sel:DWORD src1_sel:BYTE_1
	v_and_b32_e32 v34, 0x7f, v25
	v_cmpx_ne_u32_e32 0x7f, v34
	s_cbranch_execz .LBB328_287
; %bb.284:                              ;   in Loop: Header=BB328_12 Depth=1
	v_and_b32_e32 v25, 7, v25
	v_lshrrev_b32_e32 v33, 3, v34
	s_mov_b32 s45, exec_lo
	v_cmpx_gt_u32_e32 8, v34
; %bb.285:                              ;   in Loop: Header=BB328_12 Depth=1
	v_ffbh_u32_e32 v33, v25
	v_min_u32_e32 v33, 32, v33
	v_subrev_nc_u32_e32 v34, 28, v33
	v_sub_nc_u32_e32 v33, 29, v33
	v_lshlrev_b64 v[89:90], v34, v[25:26]
	v_and_b32_e32 v25, 7, v89
; %bb.286:                              ;   in Loop: Header=BB328_12 Depth=1
	s_or_b32 exec_lo, exec_lo, s45
	v_lshlrev_b32_e32 v34, 16, v38
	v_lshlrev_b32_e32 v25, 20, v25
	v_lshl_add_u32 v33, v33, 23, 0x3c000000
	v_and_b32_e32 v34, 0x80000000, v34
	v_or3_b32 v87, v25, v34, v33
.LBB328_287:                            ;   in Loop: Header=BB328_12 Depth=1
	s_or_b32 exec_lo, exec_lo, s44
.LBB328_288:                            ;   in Loop: Header=BB328_12 Depth=1
	s_or_b32 exec_lo, exec_lo, s43
.LBB328_289:                            ;   in Loop: Header=BB328_12 Depth=1
	s_or_b32 exec_lo, exec_lo, s4
	v_and_b32_sdwa v25, v38, v46 dst_sel:DWORD dst_unused:UNUSED_PAD src0_sel:WORD_1 src1_sel:DWORD
	v_mov_b32_e32 v89, 0
	v_mov_b32_e32 v90, 0
	s_mov_b32 s4, exec_lo
	v_cmpx_ne_u16_e32 0, v25
	s_cbranch_execz .LBB328_297
; %bb.290:                              ;   in Loop: Header=BB328_12 Depth=1
	v_bfrev_b32_e32 v90, 1
	s_mov_b32 s43, exec_lo
	v_cmpx_ne_u16_e32 0x80, v25
	s_cbranch_execz .LBB328_296
; %bb.291:                              ;   in Loop: Header=BB328_12 Depth=1
	v_bfe_u32 v34, v38, 16, 7
	v_mov_b32_e32 v90, 0x7f800001
	s_mov_b32 s44, exec_lo
	v_cmpx_ne_u32_e32 0x7f, v34
	s_cbranch_execz .LBB328_295
; %bb.292:                              ;   in Loop: Header=BB328_12 Depth=1
	v_mov_b32_e32 v0, 7
	v_lshrrev_b32_e32 v33, 3, v34
	s_mov_b32 s45, exec_lo
	v_and_b32_sdwa v25, v38, v0 dst_sel:DWORD dst_unused:UNUSED_PAD src0_sel:WORD_1 src1_sel:DWORD
	v_cmpx_gt_u32_e32 8, v34
; %bb.293:                              ;   in Loop: Header=BB328_12 Depth=1
	v_ffbh_u32_e32 v33, v25
	v_min_u32_e32 v33, 32, v33
	v_subrev_nc_u32_e32 v34, 28, v33
	v_sub_nc_u32_e32 v33, 29, v33
	v_lshlrev_b64 v[90:91], v34, v[25:26]
	v_and_b32_e32 v25, 7, v90
; %bb.294:                              ;   in Loop: Header=BB328_12 Depth=1
	s_or_b32 exec_lo, exec_lo, s45
	v_mov_b32_e32 v0, 24
	v_lshlrev_b32_e32 v25, 20, v25
	v_lshl_add_u32 v33, v33, 23, 0x3c000000
	v_lshlrev_b32_sdwa v34, v0, v38 dst_sel:DWORD dst_unused:UNUSED_PAD src0_sel:DWORD src1_sel:WORD_1
	v_and_b32_e32 v34, 0x80000000, v34
	v_or3_b32 v90, v25, v34, v33
.LBB328_295:                            ;   in Loop: Header=BB328_12 Depth=1
	s_or_b32 exec_lo, exec_lo, s44
.LBB328_296:                            ;   in Loop: Header=BB328_12 Depth=1
	s_or_b32 exec_lo, exec_lo, s43
.LBB328_297:                            ;   in Loop: Header=BB328_12 Depth=1
	s_or_b32 exec_lo, exec_lo, s4
	s_mov_b32 s4, exec_lo
	v_cmpx_lt_u32_e32 0xffffff, v38
	s_cbranch_execz .LBB328_305
; %bb.298:                              ;   in Loop: Header=BB328_12 Depth=1
	v_cmp_ne_u32_sdwa s3, v38, v44 src0_sel:BYTE_3 src1_sel:DWORD
	v_bfrev_b32_e32 v89, 1
	s_and_saveexec_b32 s43, s3
	s_cbranch_execz .LBB328_304
; %bb.299:                              ;   in Loop: Header=BB328_12 Depth=1
	v_bfe_u32 v34, v38, 24, 7
	v_mov_b32_e32 v89, 0x7f800001
	s_mov_b32 s44, exec_lo
	v_cmpx_ne_u32_e32 0x7f, v34
	s_cbranch_execz .LBB328_303
; %bb.300:                              ;   in Loop: Header=BB328_12 Depth=1
	v_mov_b32_e32 v0, 7
	v_lshrrev_b32_e32 v33, 3, v34
	s_mov_b32 s45, exec_lo
	v_and_b32_sdwa v25, v38, v0 dst_sel:DWORD dst_unused:UNUSED_PAD src0_sel:BYTE_3 src1_sel:DWORD
	v_cmpx_gt_u32_e32 8, v34
; %bb.301:                              ;   in Loop: Header=BB328_12 Depth=1
	v_ffbh_u32_e32 v33, v25
	v_min_u32_e32 v33, 32, v33
	v_subrev_nc_u32_e32 v34, 28, v33
	v_sub_nc_u32_e32 v33, 29, v33
	v_lshlrev_b64 v[91:92], v34, v[25:26]
	v_and_b32_e32 v25, 7, v91
; %bb.302:                              ;   in Loop: Header=BB328_12 Depth=1
	s_or_b32 exec_lo, exec_lo, s45
	v_mov_b32_e32 v0, 24
	v_lshlrev_b32_e32 v25, 20, v25
	v_lshl_add_u32 v33, v33, 23, 0x3c000000
	v_lshlrev_b32_sdwa v34, v0, v38 dst_sel:DWORD dst_unused:UNUSED_PAD src0_sel:DWORD src1_sel:BYTE_3
	v_and_b32_e32 v34, 0x80000000, v34
	v_or3_b32 v89, v25, v34, v33
.LBB328_303:                            ;   in Loop: Header=BB328_12 Depth=1
	s_or_b32 exec_lo, exec_lo, s44
.LBB328_304:                            ;   in Loop: Header=BB328_12 Depth=1
	s_or_b32 exec_lo, exec_lo, s43
.LBB328_305:                            ;   in Loop: Header=BB328_12 Depth=1
	s_or_b32 exec_lo, exec_lo, s4
	global_load_dword v38, v[31:32], off offset:1032
	v_mov_b32_e32 v91, 0
	v_mov_b32_e32 v92, 0
	s_waitcnt vmcnt(0)
	v_cmp_ne_u16_sdwa s3, v38, v26 src0_sel:BYTE_0 src1_sel:DWORD
	s_and_saveexec_b32 s4, s3
	s_cbranch_execz .LBB328_313
; %bb.306:                              ;   in Loop: Header=BB328_12 Depth=1
	v_cmp_ne_u16_sdwa s3, v38, v44 src0_sel:BYTE_0 src1_sel:DWORD
	v_bfrev_b32_e32 v92, 1
	s_and_saveexec_b32 s43, s3
	s_cbranch_execz .LBB328_312
; %bb.307:                              ;   in Loop: Header=BB328_12 Depth=1
	v_and_b32_e32 v34, 0x7f, v38
	v_mov_b32_e32 v92, 0x7f800001
	s_mov_b32 s44, exec_lo
	v_cmpx_ne_u32_e32 0x7f, v34
	s_cbranch_execz .LBB328_311
; %bb.308:                              ;   in Loop: Header=BB328_12 Depth=1
	v_and_b32_e32 v25, 7, v38
	v_lshrrev_b32_e32 v33, 3, v34
	s_mov_b32 s45, exec_lo
	v_cmpx_gt_u32_e32 8, v34
; %bb.309:                              ;   in Loop: Header=BB328_12 Depth=1
	v_ffbh_u32_e32 v33, v25
	v_min_u32_e32 v33, 32, v33
	v_subrev_nc_u32_e32 v34, 28, v33
	v_sub_nc_u32_e32 v33, 29, v33
	v_lshlrev_b64 v[92:93], v34, v[25:26]
	v_and_b32_e32 v25, 7, v92
; %bb.310:                              ;   in Loop: Header=BB328_12 Depth=1
	s_or_b32 exec_lo, exec_lo, s45
	v_lshlrev_b32_e32 v34, 24, v38
	v_lshlrev_b32_e32 v25, 20, v25
	v_lshl_add_u32 v33, v33, 23, 0x3c000000
	v_and_b32_e32 v34, 0x80000000, v34
	v_or3_b32 v92, v25, v34, v33
.LBB328_311:                            ;   in Loop: Header=BB328_12 Depth=1
	s_or_b32 exec_lo, exec_lo, s44
.LBB328_312:                            ;   in Loop: Header=BB328_12 Depth=1
	s_or_b32 exec_lo, exec_lo, s43
.LBB328_313:                            ;   in Loop: Header=BB328_12 Depth=1
	s_or_b32 exec_lo, exec_lo, s4
	v_cmp_ne_u16_sdwa s3, v38, v26 src0_sel:BYTE_1 src1_sel:DWORD
	s_and_saveexec_b32 s4, s3
	s_cbranch_execz .LBB328_321
; %bb.314:                              ;   in Loop: Header=BB328_12 Depth=1
	v_cmp_ne_u16_sdwa s3, v38, v44 src0_sel:BYTE_1 src1_sel:DWORD
	v_bfrev_b32_e32 v91, 1
	s_and_saveexec_b32 s43, s3
	s_cbranch_execz .LBB328_320
; %bb.315:                              ;   in Loop: Header=BB328_12 Depth=1
	v_mov_b32_e32 v0, 0xffff
	v_mov_b32_e32 v91, 0x7f800001
	s_mov_b32 s44, exec_lo
	v_and_b32_sdwa v25, v0, v38 dst_sel:DWORD dst_unused:UNUSED_PAD src0_sel:DWORD src1_sel:BYTE_1
	v_and_b32_e32 v34, 0x7f, v25
	v_cmpx_ne_u32_e32 0x7f, v34
	s_cbranch_execz .LBB328_319
; %bb.316:                              ;   in Loop: Header=BB328_12 Depth=1
	v_and_b32_e32 v25, 7, v25
	v_lshrrev_b32_e32 v33, 3, v34
	s_mov_b32 s45, exec_lo
	v_cmpx_gt_u32_e32 8, v34
; %bb.317:                              ;   in Loop: Header=BB328_12 Depth=1
	v_ffbh_u32_e32 v33, v25
	v_min_u32_e32 v33, 32, v33
	v_subrev_nc_u32_e32 v34, 28, v33
	v_sub_nc_u32_e32 v33, 29, v33
	v_lshlrev_b64 v[93:94], v34, v[25:26]
	v_and_b32_e32 v25, 7, v93
; %bb.318:                              ;   in Loop: Header=BB328_12 Depth=1
	s_or_b32 exec_lo, exec_lo, s45
	v_lshlrev_b32_e32 v34, 16, v38
	v_lshlrev_b32_e32 v25, 20, v25
	v_lshl_add_u32 v33, v33, 23, 0x3c000000
	v_and_b32_e32 v34, 0x80000000, v34
	v_or3_b32 v91, v25, v34, v33
.LBB328_319:                            ;   in Loop: Header=BB328_12 Depth=1
	s_or_b32 exec_lo, exec_lo, s44
.LBB328_320:                            ;   in Loop: Header=BB328_12 Depth=1
	s_or_b32 exec_lo, exec_lo, s43
.LBB328_321:                            ;   in Loop: Header=BB328_12 Depth=1
	s_or_b32 exec_lo, exec_lo, s4
	v_and_b32_sdwa v25, v38, v46 dst_sel:DWORD dst_unused:UNUSED_PAD src0_sel:WORD_1 src1_sel:DWORD
	v_mov_b32_e32 v93, 0
	v_mov_b32_e32 v94, 0
	s_mov_b32 s4, exec_lo
	v_cmpx_ne_u16_e32 0, v25
	s_cbranch_execz .LBB328_329
; %bb.322:                              ;   in Loop: Header=BB328_12 Depth=1
	v_bfrev_b32_e32 v94, 1
	s_mov_b32 s43, exec_lo
	v_cmpx_ne_u16_e32 0x80, v25
	s_cbranch_execz .LBB328_328
; %bb.323:                              ;   in Loop: Header=BB328_12 Depth=1
	v_bfe_u32 v34, v38, 16, 7
	v_mov_b32_e32 v94, 0x7f800001
	s_mov_b32 s44, exec_lo
	v_cmpx_ne_u32_e32 0x7f, v34
	s_cbranch_execz .LBB328_327
; %bb.324:                              ;   in Loop: Header=BB328_12 Depth=1
	v_mov_b32_e32 v0, 7
	v_lshrrev_b32_e32 v33, 3, v34
	s_mov_b32 s45, exec_lo
	v_and_b32_sdwa v25, v38, v0 dst_sel:DWORD dst_unused:UNUSED_PAD src0_sel:WORD_1 src1_sel:DWORD
	v_cmpx_gt_u32_e32 8, v34
; %bb.325:                              ;   in Loop: Header=BB328_12 Depth=1
	v_ffbh_u32_e32 v33, v25
	v_min_u32_e32 v33, 32, v33
	v_subrev_nc_u32_e32 v34, 28, v33
	v_sub_nc_u32_e32 v33, 29, v33
	v_lshlrev_b64 v[94:95], v34, v[25:26]
	v_and_b32_e32 v25, 7, v94
; %bb.326:                              ;   in Loop: Header=BB328_12 Depth=1
	s_or_b32 exec_lo, exec_lo, s45
	v_mov_b32_e32 v0, 24
	v_lshlrev_b32_e32 v25, 20, v25
	v_lshl_add_u32 v33, v33, 23, 0x3c000000
	v_lshlrev_b32_sdwa v34, v0, v38 dst_sel:DWORD dst_unused:UNUSED_PAD src0_sel:DWORD src1_sel:WORD_1
	v_and_b32_e32 v34, 0x80000000, v34
	v_or3_b32 v94, v25, v34, v33
.LBB328_327:                            ;   in Loop: Header=BB328_12 Depth=1
	s_or_b32 exec_lo, exec_lo, s44
.LBB328_328:                            ;   in Loop: Header=BB328_12 Depth=1
	s_or_b32 exec_lo, exec_lo, s43
.LBB328_329:                            ;   in Loop: Header=BB328_12 Depth=1
	s_or_b32 exec_lo, exec_lo, s4
	s_mov_b32 s4, exec_lo
	v_cmpx_lt_u32_e32 0xffffff, v38
	s_cbranch_execz .LBB328_337
; %bb.330:                              ;   in Loop: Header=BB328_12 Depth=1
	v_cmp_ne_u32_sdwa s3, v38, v44 src0_sel:BYTE_3 src1_sel:DWORD
	v_bfrev_b32_e32 v93, 1
	s_and_saveexec_b32 s43, s3
	s_cbranch_execz .LBB328_336
; %bb.331:                              ;   in Loop: Header=BB328_12 Depth=1
	v_bfe_u32 v34, v38, 24, 7
	v_mov_b32_e32 v93, 0x7f800001
	s_mov_b32 s44, exec_lo
	v_cmpx_ne_u32_e32 0x7f, v34
	s_cbranch_execz .LBB328_335
; %bb.332:                              ;   in Loop: Header=BB328_12 Depth=1
	v_mov_b32_e32 v0, 7
	v_lshrrev_b32_e32 v33, 3, v34
	s_mov_b32 s45, exec_lo
	v_and_b32_sdwa v25, v38, v0 dst_sel:DWORD dst_unused:UNUSED_PAD src0_sel:BYTE_3 src1_sel:DWORD
	v_cmpx_gt_u32_e32 8, v34
; %bb.333:                              ;   in Loop: Header=BB328_12 Depth=1
	v_ffbh_u32_e32 v33, v25
	v_min_u32_e32 v33, 32, v33
	v_subrev_nc_u32_e32 v34, 28, v33
	v_sub_nc_u32_e32 v33, 29, v33
	v_lshlrev_b64 v[95:96], v34, v[25:26]
	v_and_b32_e32 v25, 7, v95
; %bb.334:                              ;   in Loop: Header=BB328_12 Depth=1
	s_or_b32 exec_lo, exec_lo, s45
	v_mov_b32_e32 v0, 24
	v_lshlrev_b32_e32 v25, 20, v25
	v_lshl_add_u32 v33, v33, 23, 0x3c000000
	v_lshlrev_b32_sdwa v34, v0, v38 dst_sel:DWORD dst_unused:UNUSED_PAD src0_sel:DWORD src1_sel:BYTE_3
	v_and_b32_e32 v34, 0x80000000, v34
	v_or3_b32 v93, v25, v34, v33
.LBB328_335:                            ;   in Loop: Header=BB328_12 Depth=1
	s_or_b32 exec_lo, exec_lo, s44
.LBB328_336:                            ;   in Loop: Header=BB328_12 Depth=1
	s_or_b32 exec_lo, exec_lo, s43
.LBB328_337:                            ;   in Loop: Header=BB328_12 Depth=1
	s_or_b32 exec_lo, exec_lo, s4
	global_load_dword v38, v[31:32], off offset:1280
	v_mov_b32_e32 v95, 0
	v_mov_b32_e32 v96, 0
	s_waitcnt vmcnt(0)
	v_cmp_ne_u16_sdwa s3, v38, v26 src0_sel:BYTE_0 src1_sel:DWORD
	s_and_saveexec_b32 s4, s3
	s_cbranch_execz .LBB328_345
; %bb.338:                              ;   in Loop: Header=BB328_12 Depth=1
	v_cmp_ne_u16_sdwa s3, v38, v44 src0_sel:BYTE_0 src1_sel:DWORD
	v_bfrev_b32_e32 v96, 1
	s_and_saveexec_b32 s43, s3
	s_cbranch_execz .LBB328_344
; %bb.339:                              ;   in Loop: Header=BB328_12 Depth=1
	v_and_b32_e32 v34, 0x7f, v38
	v_mov_b32_e32 v96, 0x7f800001
	s_mov_b32 s44, exec_lo
	v_cmpx_ne_u32_e32 0x7f, v34
	s_cbranch_execz .LBB328_343
; %bb.340:                              ;   in Loop: Header=BB328_12 Depth=1
	v_and_b32_e32 v25, 7, v38
	v_lshrrev_b32_e32 v33, 3, v34
	s_mov_b32 s45, exec_lo
	v_cmpx_gt_u32_e32 8, v34
; %bb.341:                              ;   in Loop: Header=BB328_12 Depth=1
	v_ffbh_u32_e32 v33, v25
	v_min_u32_e32 v33, 32, v33
	v_subrev_nc_u32_e32 v34, 28, v33
	v_sub_nc_u32_e32 v33, 29, v33
	v_lshlrev_b64 v[96:97], v34, v[25:26]
	v_and_b32_e32 v25, 7, v96
; %bb.342:                              ;   in Loop: Header=BB328_12 Depth=1
	s_or_b32 exec_lo, exec_lo, s45
	v_lshlrev_b32_e32 v34, 24, v38
	v_lshlrev_b32_e32 v25, 20, v25
	v_lshl_add_u32 v33, v33, 23, 0x3c000000
	v_and_b32_e32 v34, 0x80000000, v34
	v_or3_b32 v96, v25, v34, v33
.LBB328_343:                            ;   in Loop: Header=BB328_12 Depth=1
	s_or_b32 exec_lo, exec_lo, s44
.LBB328_344:                            ;   in Loop: Header=BB328_12 Depth=1
	s_or_b32 exec_lo, exec_lo, s43
.LBB328_345:                            ;   in Loop: Header=BB328_12 Depth=1
	s_or_b32 exec_lo, exec_lo, s4
	v_cmp_ne_u16_sdwa s3, v38, v26 src0_sel:BYTE_1 src1_sel:DWORD
	s_and_saveexec_b32 s4, s3
	s_cbranch_execz .LBB328_353
; %bb.346:                              ;   in Loop: Header=BB328_12 Depth=1
	v_cmp_ne_u16_sdwa s3, v38, v44 src0_sel:BYTE_1 src1_sel:DWORD
	v_bfrev_b32_e32 v95, 1
	s_and_saveexec_b32 s43, s3
	s_cbranch_execz .LBB328_352
; %bb.347:                              ;   in Loop: Header=BB328_12 Depth=1
	v_mov_b32_e32 v0, 0xffff
	v_mov_b32_e32 v95, 0x7f800001
	s_mov_b32 s44, exec_lo
	v_and_b32_sdwa v25, v0, v38 dst_sel:DWORD dst_unused:UNUSED_PAD src0_sel:DWORD src1_sel:BYTE_1
	v_and_b32_e32 v34, 0x7f, v25
	v_cmpx_ne_u32_e32 0x7f, v34
	s_cbranch_execz .LBB328_351
; %bb.348:                              ;   in Loop: Header=BB328_12 Depth=1
	v_and_b32_e32 v25, 7, v25
	v_lshrrev_b32_e32 v33, 3, v34
	s_mov_b32 s45, exec_lo
	v_cmpx_gt_u32_e32 8, v34
; %bb.349:                              ;   in Loop: Header=BB328_12 Depth=1
	v_ffbh_u32_e32 v33, v25
	v_min_u32_e32 v33, 32, v33
	v_subrev_nc_u32_e32 v34, 28, v33
	v_sub_nc_u32_e32 v33, 29, v33
	v_lshlrev_b64 v[97:98], v34, v[25:26]
	v_and_b32_e32 v25, 7, v97
; %bb.350:                              ;   in Loop: Header=BB328_12 Depth=1
	s_or_b32 exec_lo, exec_lo, s45
	v_lshlrev_b32_e32 v34, 16, v38
	v_lshlrev_b32_e32 v25, 20, v25
	v_lshl_add_u32 v33, v33, 23, 0x3c000000
	v_and_b32_e32 v34, 0x80000000, v34
	v_or3_b32 v95, v25, v34, v33
.LBB328_351:                            ;   in Loop: Header=BB328_12 Depth=1
	s_or_b32 exec_lo, exec_lo, s44
.LBB328_352:                            ;   in Loop: Header=BB328_12 Depth=1
	s_or_b32 exec_lo, exec_lo, s43
.LBB328_353:                            ;   in Loop: Header=BB328_12 Depth=1
	s_or_b32 exec_lo, exec_lo, s4
	v_and_b32_sdwa v25, v38, v46 dst_sel:DWORD dst_unused:UNUSED_PAD src0_sel:WORD_1 src1_sel:DWORD
	v_mov_b32_e32 v97, 0
	v_mov_b32_e32 v98, 0
	s_mov_b32 s4, exec_lo
	v_cmpx_ne_u16_e32 0, v25
	s_cbranch_execz .LBB328_361
; %bb.354:                              ;   in Loop: Header=BB328_12 Depth=1
	v_bfrev_b32_e32 v98, 1
	s_mov_b32 s43, exec_lo
	v_cmpx_ne_u16_e32 0x80, v25
	s_cbranch_execz .LBB328_360
; %bb.355:                              ;   in Loop: Header=BB328_12 Depth=1
	v_bfe_u32 v34, v38, 16, 7
	v_mov_b32_e32 v98, 0x7f800001
	s_mov_b32 s44, exec_lo
	v_cmpx_ne_u32_e32 0x7f, v34
	s_cbranch_execz .LBB328_359
; %bb.356:                              ;   in Loop: Header=BB328_12 Depth=1
	v_mov_b32_e32 v0, 7
	v_lshrrev_b32_e32 v33, 3, v34
	s_mov_b32 s45, exec_lo
	v_and_b32_sdwa v25, v38, v0 dst_sel:DWORD dst_unused:UNUSED_PAD src0_sel:WORD_1 src1_sel:DWORD
	v_cmpx_gt_u32_e32 8, v34
; %bb.357:                              ;   in Loop: Header=BB328_12 Depth=1
	v_ffbh_u32_e32 v33, v25
	v_min_u32_e32 v33, 32, v33
	v_subrev_nc_u32_e32 v34, 28, v33
	v_sub_nc_u32_e32 v33, 29, v33
	v_lshlrev_b64 v[98:99], v34, v[25:26]
	v_and_b32_e32 v25, 7, v98
; %bb.358:                              ;   in Loop: Header=BB328_12 Depth=1
	s_or_b32 exec_lo, exec_lo, s45
	v_mov_b32_e32 v0, 24
	v_lshlrev_b32_e32 v25, 20, v25
	v_lshl_add_u32 v33, v33, 23, 0x3c000000
	v_lshlrev_b32_sdwa v34, v0, v38 dst_sel:DWORD dst_unused:UNUSED_PAD src0_sel:DWORD src1_sel:WORD_1
	v_and_b32_e32 v34, 0x80000000, v34
	v_or3_b32 v98, v25, v34, v33
.LBB328_359:                            ;   in Loop: Header=BB328_12 Depth=1
	s_or_b32 exec_lo, exec_lo, s44
.LBB328_360:                            ;   in Loop: Header=BB328_12 Depth=1
	s_or_b32 exec_lo, exec_lo, s43
.LBB328_361:                            ;   in Loop: Header=BB328_12 Depth=1
	s_or_b32 exec_lo, exec_lo, s4
	s_mov_b32 s4, exec_lo
	v_cmpx_lt_u32_e32 0xffffff, v38
	s_cbranch_execz .LBB328_369
; %bb.362:                              ;   in Loop: Header=BB328_12 Depth=1
	v_cmp_ne_u32_sdwa s3, v38, v44 src0_sel:BYTE_3 src1_sel:DWORD
	v_bfrev_b32_e32 v97, 1
	s_and_saveexec_b32 s43, s3
	s_cbranch_execz .LBB328_368
; %bb.363:                              ;   in Loop: Header=BB328_12 Depth=1
	v_bfe_u32 v34, v38, 24, 7
	v_mov_b32_e32 v97, 0x7f800001
	s_mov_b32 s44, exec_lo
	v_cmpx_ne_u32_e32 0x7f, v34
	s_cbranch_execz .LBB328_367
; %bb.364:                              ;   in Loop: Header=BB328_12 Depth=1
	v_mov_b32_e32 v0, 7
	v_lshrrev_b32_e32 v33, 3, v34
	s_mov_b32 s45, exec_lo
	v_and_b32_sdwa v25, v38, v0 dst_sel:DWORD dst_unused:UNUSED_PAD src0_sel:BYTE_3 src1_sel:DWORD
	v_cmpx_gt_u32_e32 8, v34
; %bb.365:                              ;   in Loop: Header=BB328_12 Depth=1
	v_ffbh_u32_e32 v33, v25
	v_min_u32_e32 v33, 32, v33
	v_subrev_nc_u32_e32 v34, 28, v33
	v_sub_nc_u32_e32 v33, 29, v33
	v_lshlrev_b64 v[99:100], v34, v[25:26]
	v_and_b32_e32 v25, 7, v99
; %bb.366:                              ;   in Loop: Header=BB328_12 Depth=1
	s_or_b32 exec_lo, exec_lo, s45
	v_mov_b32_e32 v0, 24
	v_lshlrev_b32_e32 v25, 20, v25
	v_lshl_add_u32 v33, v33, 23, 0x3c000000
	v_lshlrev_b32_sdwa v34, v0, v38 dst_sel:DWORD dst_unused:UNUSED_PAD src0_sel:DWORD src1_sel:BYTE_3
	v_and_b32_e32 v34, 0x80000000, v34
	v_or3_b32 v97, v25, v34, v33
.LBB328_367:                            ;   in Loop: Header=BB328_12 Depth=1
	s_or_b32 exec_lo, exec_lo, s44
.LBB328_368:                            ;   in Loop: Header=BB328_12 Depth=1
	s_or_b32 exec_lo, exec_lo, s43
.LBB328_369:                            ;   in Loop: Header=BB328_12 Depth=1
	s_or_b32 exec_lo, exec_lo, s4
	global_load_dword v38, v[31:32], off offset:1288
	v_mov_b32_e32 v99, 0
	v_mov_b32_e32 v100, 0
	s_waitcnt vmcnt(0)
	v_cmp_ne_u16_sdwa s3, v38, v26 src0_sel:BYTE_0 src1_sel:DWORD
	s_and_saveexec_b32 s4, s3
	s_cbranch_execz .LBB328_377
; %bb.370:                              ;   in Loop: Header=BB328_12 Depth=1
	v_cmp_ne_u16_sdwa s3, v38, v44 src0_sel:BYTE_0 src1_sel:DWORD
	v_bfrev_b32_e32 v100, 1
	s_and_saveexec_b32 s43, s3
	s_cbranch_execz .LBB328_376
; %bb.371:                              ;   in Loop: Header=BB328_12 Depth=1
	v_and_b32_e32 v34, 0x7f, v38
	v_mov_b32_e32 v100, 0x7f800001
	s_mov_b32 s44, exec_lo
	v_cmpx_ne_u32_e32 0x7f, v34
	s_cbranch_execz .LBB328_375
; %bb.372:                              ;   in Loop: Header=BB328_12 Depth=1
	v_and_b32_e32 v25, 7, v38
	v_lshrrev_b32_e32 v33, 3, v34
	s_mov_b32 s45, exec_lo
	v_cmpx_gt_u32_e32 8, v34
; %bb.373:                              ;   in Loop: Header=BB328_12 Depth=1
	v_ffbh_u32_e32 v33, v25
	v_min_u32_e32 v33, 32, v33
	v_subrev_nc_u32_e32 v34, 28, v33
	v_sub_nc_u32_e32 v33, 29, v33
	v_lshlrev_b64 v[100:101], v34, v[25:26]
	v_and_b32_e32 v25, 7, v100
; %bb.374:                              ;   in Loop: Header=BB328_12 Depth=1
	s_or_b32 exec_lo, exec_lo, s45
	v_lshlrev_b32_e32 v34, 24, v38
	v_lshlrev_b32_e32 v25, 20, v25
	v_lshl_add_u32 v33, v33, 23, 0x3c000000
	v_and_b32_e32 v34, 0x80000000, v34
	v_or3_b32 v100, v25, v34, v33
.LBB328_375:                            ;   in Loop: Header=BB328_12 Depth=1
	s_or_b32 exec_lo, exec_lo, s44
.LBB328_376:                            ;   in Loop: Header=BB328_12 Depth=1
	s_or_b32 exec_lo, exec_lo, s43
.LBB328_377:                            ;   in Loop: Header=BB328_12 Depth=1
	s_or_b32 exec_lo, exec_lo, s4
	v_cmp_ne_u16_sdwa s3, v38, v26 src0_sel:BYTE_1 src1_sel:DWORD
	s_and_saveexec_b32 s4, s3
	s_cbranch_execz .LBB328_385
; %bb.378:                              ;   in Loop: Header=BB328_12 Depth=1
	v_cmp_ne_u16_sdwa s3, v38, v44 src0_sel:BYTE_1 src1_sel:DWORD
	v_bfrev_b32_e32 v99, 1
	s_and_saveexec_b32 s43, s3
	s_cbranch_execz .LBB328_384
; %bb.379:                              ;   in Loop: Header=BB328_12 Depth=1
	v_mov_b32_e32 v0, 0xffff
	v_mov_b32_e32 v99, 0x7f800001
	s_mov_b32 s44, exec_lo
	v_and_b32_sdwa v25, v0, v38 dst_sel:DWORD dst_unused:UNUSED_PAD src0_sel:DWORD src1_sel:BYTE_1
	v_and_b32_e32 v34, 0x7f, v25
	v_cmpx_ne_u32_e32 0x7f, v34
	s_cbranch_execz .LBB328_383
; %bb.380:                              ;   in Loop: Header=BB328_12 Depth=1
	v_and_b32_e32 v25, 7, v25
	v_lshrrev_b32_e32 v33, 3, v34
	s_mov_b32 s45, exec_lo
	v_cmpx_gt_u32_e32 8, v34
; %bb.381:                              ;   in Loop: Header=BB328_12 Depth=1
	v_ffbh_u32_e32 v33, v25
	v_min_u32_e32 v33, 32, v33
	v_subrev_nc_u32_e32 v34, 28, v33
	v_sub_nc_u32_e32 v33, 29, v33
	v_lshlrev_b64 v[101:102], v34, v[25:26]
	v_and_b32_e32 v25, 7, v101
; %bb.382:                              ;   in Loop: Header=BB328_12 Depth=1
	s_or_b32 exec_lo, exec_lo, s45
	v_lshlrev_b32_e32 v34, 16, v38
	v_lshlrev_b32_e32 v25, 20, v25
	v_lshl_add_u32 v33, v33, 23, 0x3c000000
	v_and_b32_e32 v34, 0x80000000, v34
	v_or3_b32 v99, v25, v34, v33
.LBB328_383:                            ;   in Loop: Header=BB328_12 Depth=1
	s_or_b32 exec_lo, exec_lo, s44
.LBB328_384:                            ;   in Loop: Header=BB328_12 Depth=1
	s_or_b32 exec_lo, exec_lo, s43
.LBB328_385:                            ;   in Loop: Header=BB328_12 Depth=1
	s_or_b32 exec_lo, exec_lo, s4
	v_and_b32_sdwa v25, v38, v46 dst_sel:DWORD dst_unused:UNUSED_PAD src0_sel:WORD_1 src1_sel:DWORD
	v_mov_b32_e32 v101, 0
	v_mov_b32_e32 v102, 0
	s_mov_b32 s4, exec_lo
	v_cmpx_ne_u16_e32 0, v25
	s_cbranch_execz .LBB328_393
; %bb.386:                              ;   in Loop: Header=BB328_12 Depth=1
	v_bfrev_b32_e32 v102, 1
	s_mov_b32 s43, exec_lo
	v_cmpx_ne_u16_e32 0x80, v25
	s_cbranch_execz .LBB328_392
; %bb.387:                              ;   in Loop: Header=BB328_12 Depth=1
	v_bfe_u32 v34, v38, 16, 7
	v_mov_b32_e32 v102, 0x7f800001
	s_mov_b32 s44, exec_lo
	v_cmpx_ne_u32_e32 0x7f, v34
	s_cbranch_execz .LBB328_391
; %bb.388:                              ;   in Loop: Header=BB328_12 Depth=1
	v_mov_b32_e32 v0, 7
	v_lshrrev_b32_e32 v33, 3, v34
	s_mov_b32 s45, exec_lo
	v_and_b32_sdwa v25, v38, v0 dst_sel:DWORD dst_unused:UNUSED_PAD src0_sel:WORD_1 src1_sel:DWORD
	v_cmpx_gt_u32_e32 8, v34
; %bb.389:                              ;   in Loop: Header=BB328_12 Depth=1
	v_ffbh_u32_e32 v33, v25
	v_min_u32_e32 v33, 32, v33
	v_subrev_nc_u32_e32 v34, 28, v33
	v_sub_nc_u32_e32 v33, 29, v33
	v_lshlrev_b64 v[102:103], v34, v[25:26]
	v_and_b32_e32 v25, 7, v102
; %bb.390:                              ;   in Loop: Header=BB328_12 Depth=1
	s_or_b32 exec_lo, exec_lo, s45
	v_mov_b32_e32 v0, 24
	v_lshlrev_b32_e32 v25, 20, v25
	v_lshl_add_u32 v33, v33, 23, 0x3c000000
	v_lshlrev_b32_sdwa v34, v0, v38 dst_sel:DWORD dst_unused:UNUSED_PAD src0_sel:DWORD src1_sel:WORD_1
	v_and_b32_e32 v34, 0x80000000, v34
	v_or3_b32 v102, v25, v34, v33
.LBB328_391:                            ;   in Loop: Header=BB328_12 Depth=1
	s_or_b32 exec_lo, exec_lo, s44
.LBB328_392:                            ;   in Loop: Header=BB328_12 Depth=1
	s_or_b32 exec_lo, exec_lo, s43
.LBB328_393:                            ;   in Loop: Header=BB328_12 Depth=1
	s_or_b32 exec_lo, exec_lo, s4
	s_mov_b32 s4, exec_lo
	v_cmpx_lt_u32_e32 0xffffff, v38
	s_cbranch_execz .LBB328_401
; %bb.394:                              ;   in Loop: Header=BB328_12 Depth=1
	v_cmp_ne_u32_sdwa s3, v38, v44 src0_sel:BYTE_3 src1_sel:DWORD
	v_bfrev_b32_e32 v101, 1
	s_and_saveexec_b32 s43, s3
	s_cbranch_execz .LBB328_400
; %bb.395:                              ;   in Loop: Header=BB328_12 Depth=1
	v_bfe_u32 v34, v38, 24, 7
	v_mov_b32_e32 v101, 0x7f800001
	s_mov_b32 s44, exec_lo
	v_cmpx_ne_u32_e32 0x7f, v34
	s_cbranch_execz .LBB328_399
; %bb.396:                              ;   in Loop: Header=BB328_12 Depth=1
	v_mov_b32_e32 v0, 7
	v_lshrrev_b32_e32 v33, 3, v34
	s_mov_b32 s45, exec_lo
	v_and_b32_sdwa v25, v38, v0 dst_sel:DWORD dst_unused:UNUSED_PAD src0_sel:BYTE_3 src1_sel:DWORD
	v_cmpx_gt_u32_e32 8, v34
; %bb.397:                              ;   in Loop: Header=BB328_12 Depth=1
	v_ffbh_u32_e32 v33, v25
	v_min_u32_e32 v33, 32, v33
	v_subrev_nc_u32_e32 v34, 28, v33
	v_sub_nc_u32_e32 v33, 29, v33
	v_lshlrev_b64 v[103:104], v34, v[25:26]
	v_and_b32_e32 v25, 7, v103
; %bb.398:                              ;   in Loop: Header=BB328_12 Depth=1
	s_or_b32 exec_lo, exec_lo, s45
	v_mov_b32_e32 v0, 24
	v_lshlrev_b32_e32 v25, 20, v25
	v_lshl_add_u32 v33, v33, 23, 0x3c000000
	v_lshlrev_b32_sdwa v34, v0, v38 dst_sel:DWORD dst_unused:UNUSED_PAD src0_sel:DWORD src1_sel:BYTE_3
	v_and_b32_e32 v34, 0x80000000, v34
	v_or3_b32 v101, v25, v34, v33
.LBB328_399:                            ;   in Loop: Header=BB328_12 Depth=1
	s_or_b32 exec_lo, exec_lo, s44
.LBB328_400:                            ;   in Loop: Header=BB328_12 Depth=1
	s_or_b32 exec_lo, exec_lo, s43
.LBB328_401:                            ;   in Loop: Header=BB328_12 Depth=1
	s_or_b32 exec_lo, exec_lo, s4
	global_load_dword v38, v[31:32], off offset:1536
	v_mov_b32_e32 v103, 0
	v_mov_b32_e32 v104, 0
	s_waitcnt vmcnt(0)
	v_cmp_ne_u16_sdwa s3, v38, v26 src0_sel:BYTE_0 src1_sel:DWORD
	s_and_saveexec_b32 s4, s3
	s_cbranch_execz .LBB328_409
; %bb.402:                              ;   in Loop: Header=BB328_12 Depth=1
	v_cmp_ne_u16_sdwa s3, v38, v44 src0_sel:BYTE_0 src1_sel:DWORD
	v_bfrev_b32_e32 v104, 1
	s_and_saveexec_b32 s43, s3
	s_cbranch_execz .LBB328_408
; %bb.403:                              ;   in Loop: Header=BB328_12 Depth=1
	v_and_b32_e32 v34, 0x7f, v38
	v_mov_b32_e32 v104, 0x7f800001
	s_mov_b32 s44, exec_lo
	v_cmpx_ne_u32_e32 0x7f, v34
	s_cbranch_execz .LBB328_407
; %bb.404:                              ;   in Loop: Header=BB328_12 Depth=1
	v_and_b32_e32 v25, 7, v38
	v_lshrrev_b32_e32 v33, 3, v34
	s_mov_b32 s45, exec_lo
	v_cmpx_gt_u32_e32 8, v34
; %bb.405:                              ;   in Loop: Header=BB328_12 Depth=1
	v_ffbh_u32_e32 v33, v25
	v_min_u32_e32 v33, 32, v33
	v_subrev_nc_u32_e32 v34, 28, v33
	v_sub_nc_u32_e32 v33, 29, v33
	v_lshlrev_b64 v[104:105], v34, v[25:26]
	v_and_b32_e32 v25, 7, v104
; %bb.406:                              ;   in Loop: Header=BB328_12 Depth=1
	s_or_b32 exec_lo, exec_lo, s45
	v_lshlrev_b32_e32 v34, 24, v38
	v_lshlrev_b32_e32 v25, 20, v25
	v_lshl_add_u32 v33, v33, 23, 0x3c000000
	v_and_b32_e32 v34, 0x80000000, v34
	v_or3_b32 v104, v25, v34, v33
.LBB328_407:                            ;   in Loop: Header=BB328_12 Depth=1
	s_or_b32 exec_lo, exec_lo, s44
.LBB328_408:                            ;   in Loop: Header=BB328_12 Depth=1
	s_or_b32 exec_lo, exec_lo, s43
.LBB328_409:                            ;   in Loop: Header=BB328_12 Depth=1
	s_or_b32 exec_lo, exec_lo, s4
	v_cmp_ne_u16_sdwa s3, v38, v26 src0_sel:BYTE_1 src1_sel:DWORD
	s_and_saveexec_b32 s4, s3
	s_cbranch_execz .LBB328_417
; %bb.410:                              ;   in Loop: Header=BB328_12 Depth=1
	v_cmp_ne_u16_sdwa s3, v38, v44 src0_sel:BYTE_1 src1_sel:DWORD
	v_bfrev_b32_e32 v103, 1
	s_and_saveexec_b32 s43, s3
	s_cbranch_execz .LBB328_416
; %bb.411:                              ;   in Loop: Header=BB328_12 Depth=1
	v_mov_b32_e32 v0, 0xffff
	v_mov_b32_e32 v103, 0x7f800001
	s_mov_b32 s44, exec_lo
	v_and_b32_sdwa v25, v0, v38 dst_sel:DWORD dst_unused:UNUSED_PAD src0_sel:DWORD src1_sel:BYTE_1
	v_and_b32_e32 v34, 0x7f, v25
	v_cmpx_ne_u32_e32 0x7f, v34
	s_cbranch_execz .LBB328_415
; %bb.412:                              ;   in Loop: Header=BB328_12 Depth=1
	v_and_b32_e32 v25, 7, v25
	v_lshrrev_b32_e32 v33, 3, v34
	s_mov_b32 s45, exec_lo
	v_cmpx_gt_u32_e32 8, v34
; %bb.413:                              ;   in Loop: Header=BB328_12 Depth=1
	v_ffbh_u32_e32 v33, v25
	v_min_u32_e32 v33, 32, v33
	v_subrev_nc_u32_e32 v34, 28, v33
	v_sub_nc_u32_e32 v33, 29, v33
	v_lshlrev_b64 v[105:106], v34, v[25:26]
	v_and_b32_e32 v25, 7, v105
; %bb.414:                              ;   in Loop: Header=BB328_12 Depth=1
	s_or_b32 exec_lo, exec_lo, s45
	v_lshlrev_b32_e32 v34, 16, v38
	v_lshlrev_b32_e32 v25, 20, v25
	v_lshl_add_u32 v33, v33, 23, 0x3c000000
	v_and_b32_e32 v34, 0x80000000, v34
	v_or3_b32 v103, v25, v34, v33
.LBB328_415:                            ;   in Loop: Header=BB328_12 Depth=1
	s_or_b32 exec_lo, exec_lo, s44
.LBB328_416:                            ;   in Loop: Header=BB328_12 Depth=1
	s_or_b32 exec_lo, exec_lo, s43
.LBB328_417:                            ;   in Loop: Header=BB328_12 Depth=1
	s_or_b32 exec_lo, exec_lo, s4
	v_and_b32_sdwa v25, v38, v46 dst_sel:DWORD dst_unused:UNUSED_PAD src0_sel:WORD_1 src1_sel:DWORD
	v_mov_b32_e32 v105, 0
	v_mov_b32_e32 v106, 0
	s_mov_b32 s4, exec_lo
	v_cmpx_ne_u16_e32 0, v25
	s_cbranch_execz .LBB328_425
; %bb.418:                              ;   in Loop: Header=BB328_12 Depth=1
	v_bfrev_b32_e32 v106, 1
	s_mov_b32 s43, exec_lo
	v_cmpx_ne_u16_e32 0x80, v25
	s_cbranch_execz .LBB328_424
; %bb.419:                              ;   in Loop: Header=BB328_12 Depth=1
	v_bfe_u32 v34, v38, 16, 7
	v_mov_b32_e32 v106, 0x7f800001
	s_mov_b32 s44, exec_lo
	v_cmpx_ne_u32_e32 0x7f, v34
	s_cbranch_execz .LBB328_423
; %bb.420:                              ;   in Loop: Header=BB328_12 Depth=1
	v_mov_b32_e32 v0, 7
	v_lshrrev_b32_e32 v33, 3, v34
	s_mov_b32 s45, exec_lo
	v_and_b32_sdwa v25, v38, v0 dst_sel:DWORD dst_unused:UNUSED_PAD src0_sel:WORD_1 src1_sel:DWORD
	v_cmpx_gt_u32_e32 8, v34
; %bb.421:                              ;   in Loop: Header=BB328_12 Depth=1
	v_ffbh_u32_e32 v33, v25
	v_min_u32_e32 v33, 32, v33
	v_subrev_nc_u32_e32 v34, 28, v33
	v_sub_nc_u32_e32 v33, 29, v33
	v_lshlrev_b64 v[106:107], v34, v[25:26]
	v_and_b32_e32 v25, 7, v106
; %bb.422:                              ;   in Loop: Header=BB328_12 Depth=1
	s_or_b32 exec_lo, exec_lo, s45
	v_mov_b32_e32 v0, 24
	v_lshlrev_b32_e32 v25, 20, v25
	v_lshl_add_u32 v33, v33, 23, 0x3c000000
	v_lshlrev_b32_sdwa v34, v0, v38 dst_sel:DWORD dst_unused:UNUSED_PAD src0_sel:DWORD src1_sel:WORD_1
	v_and_b32_e32 v34, 0x80000000, v34
	v_or3_b32 v106, v25, v34, v33
.LBB328_423:                            ;   in Loop: Header=BB328_12 Depth=1
	s_or_b32 exec_lo, exec_lo, s44
.LBB328_424:                            ;   in Loop: Header=BB328_12 Depth=1
	s_or_b32 exec_lo, exec_lo, s43
.LBB328_425:                            ;   in Loop: Header=BB328_12 Depth=1
	s_or_b32 exec_lo, exec_lo, s4
	s_mov_b32 s4, exec_lo
	v_cmpx_lt_u32_e32 0xffffff, v38
	s_cbranch_execz .LBB328_433
; %bb.426:                              ;   in Loop: Header=BB328_12 Depth=1
	v_cmp_ne_u32_sdwa s3, v38, v44 src0_sel:BYTE_3 src1_sel:DWORD
	v_bfrev_b32_e32 v105, 1
	s_and_saveexec_b32 s43, s3
	s_cbranch_execz .LBB328_432
; %bb.427:                              ;   in Loop: Header=BB328_12 Depth=1
	v_bfe_u32 v34, v38, 24, 7
	v_mov_b32_e32 v105, 0x7f800001
	s_mov_b32 s44, exec_lo
	v_cmpx_ne_u32_e32 0x7f, v34
	s_cbranch_execz .LBB328_431
; %bb.428:                              ;   in Loop: Header=BB328_12 Depth=1
	v_mov_b32_e32 v0, 7
	v_lshrrev_b32_e32 v33, 3, v34
	s_mov_b32 s45, exec_lo
	v_and_b32_sdwa v25, v38, v0 dst_sel:DWORD dst_unused:UNUSED_PAD src0_sel:BYTE_3 src1_sel:DWORD
	v_cmpx_gt_u32_e32 8, v34
; %bb.429:                              ;   in Loop: Header=BB328_12 Depth=1
	v_ffbh_u32_e32 v33, v25
	v_min_u32_e32 v33, 32, v33
	v_subrev_nc_u32_e32 v34, 28, v33
	v_sub_nc_u32_e32 v33, 29, v33
	v_lshlrev_b64 v[107:108], v34, v[25:26]
	v_and_b32_e32 v25, 7, v107
; %bb.430:                              ;   in Loop: Header=BB328_12 Depth=1
	s_or_b32 exec_lo, exec_lo, s45
	v_mov_b32_e32 v0, 24
	v_lshlrev_b32_e32 v25, 20, v25
	v_lshl_add_u32 v33, v33, 23, 0x3c000000
	v_lshlrev_b32_sdwa v34, v0, v38 dst_sel:DWORD dst_unused:UNUSED_PAD src0_sel:DWORD src1_sel:BYTE_3
	v_and_b32_e32 v34, 0x80000000, v34
	v_or3_b32 v105, v25, v34, v33
.LBB328_431:                            ;   in Loop: Header=BB328_12 Depth=1
	s_or_b32 exec_lo, exec_lo, s44
.LBB328_432:                            ;   in Loop: Header=BB328_12 Depth=1
	s_or_b32 exec_lo, exec_lo, s43
.LBB328_433:                            ;   in Loop: Header=BB328_12 Depth=1
	s_or_b32 exec_lo, exec_lo, s4
	global_load_dword v38, v[31:32], off offset:1544
	v_mov_b32_e32 v107, 0
	v_mov_b32_e32 v108, 0
	s_waitcnt vmcnt(0)
	v_cmp_ne_u16_sdwa s3, v38, v26 src0_sel:BYTE_0 src1_sel:DWORD
	s_and_saveexec_b32 s4, s3
	s_cbranch_execz .LBB328_441
; %bb.434:                              ;   in Loop: Header=BB328_12 Depth=1
	v_cmp_ne_u16_sdwa s3, v38, v44 src0_sel:BYTE_0 src1_sel:DWORD
	v_bfrev_b32_e32 v108, 1
	s_and_saveexec_b32 s43, s3
	s_cbranch_execz .LBB328_440
; %bb.435:                              ;   in Loop: Header=BB328_12 Depth=1
	v_and_b32_e32 v34, 0x7f, v38
	v_mov_b32_e32 v108, 0x7f800001
	s_mov_b32 s44, exec_lo
	v_cmpx_ne_u32_e32 0x7f, v34
	s_cbranch_execz .LBB328_439
; %bb.436:                              ;   in Loop: Header=BB328_12 Depth=1
	v_and_b32_e32 v25, 7, v38
	v_lshrrev_b32_e32 v33, 3, v34
	s_mov_b32 s45, exec_lo
	v_cmpx_gt_u32_e32 8, v34
; %bb.437:                              ;   in Loop: Header=BB328_12 Depth=1
	v_ffbh_u32_e32 v33, v25
	v_min_u32_e32 v33, 32, v33
	v_subrev_nc_u32_e32 v34, 28, v33
	v_sub_nc_u32_e32 v33, 29, v33
	v_lshlrev_b64 v[108:109], v34, v[25:26]
	v_and_b32_e32 v25, 7, v108
; %bb.438:                              ;   in Loop: Header=BB328_12 Depth=1
	s_or_b32 exec_lo, exec_lo, s45
	v_lshlrev_b32_e32 v34, 24, v38
	v_lshlrev_b32_e32 v25, 20, v25
	v_lshl_add_u32 v33, v33, 23, 0x3c000000
	v_and_b32_e32 v34, 0x80000000, v34
	v_or3_b32 v108, v25, v34, v33
.LBB328_439:                            ;   in Loop: Header=BB328_12 Depth=1
	s_or_b32 exec_lo, exec_lo, s44
.LBB328_440:                            ;   in Loop: Header=BB328_12 Depth=1
	s_or_b32 exec_lo, exec_lo, s43
.LBB328_441:                            ;   in Loop: Header=BB328_12 Depth=1
	s_or_b32 exec_lo, exec_lo, s4
	v_cmp_ne_u16_sdwa s3, v38, v26 src0_sel:BYTE_1 src1_sel:DWORD
	s_and_saveexec_b32 s4, s3
	s_cbranch_execz .LBB328_449
; %bb.442:                              ;   in Loop: Header=BB328_12 Depth=1
	v_cmp_ne_u16_sdwa s3, v38, v44 src0_sel:BYTE_1 src1_sel:DWORD
	v_bfrev_b32_e32 v107, 1
	s_and_saveexec_b32 s43, s3
	s_cbranch_execz .LBB328_448
; %bb.443:                              ;   in Loop: Header=BB328_12 Depth=1
	v_mov_b32_e32 v0, 0xffff
	v_mov_b32_e32 v107, 0x7f800001
	s_mov_b32 s44, exec_lo
	v_and_b32_sdwa v25, v0, v38 dst_sel:DWORD dst_unused:UNUSED_PAD src0_sel:DWORD src1_sel:BYTE_1
	v_and_b32_e32 v34, 0x7f, v25
	v_cmpx_ne_u32_e32 0x7f, v34
	s_cbranch_execz .LBB328_447
; %bb.444:                              ;   in Loop: Header=BB328_12 Depth=1
	v_and_b32_e32 v25, 7, v25
	v_lshrrev_b32_e32 v33, 3, v34
	s_mov_b32 s45, exec_lo
	v_cmpx_gt_u32_e32 8, v34
; %bb.445:                              ;   in Loop: Header=BB328_12 Depth=1
	v_ffbh_u32_e32 v33, v25
	v_min_u32_e32 v33, 32, v33
	v_subrev_nc_u32_e32 v34, 28, v33
	v_sub_nc_u32_e32 v33, 29, v33
	v_lshlrev_b64 v[109:110], v34, v[25:26]
	v_and_b32_e32 v25, 7, v109
; %bb.446:                              ;   in Loop: Header=BB328_12 Depth=1
	s_or_b32 exec_lo, exec_lo, s45
	v_lshlrev_b32_e32 v34, 16, v38
	v_lshlrev_b32_e32 v25, 20, v25
	v_lshl_add_u32 v33, v33, 23, 0x3c000000
	v_and_b32_e32 v34, 0x80000000, v34
	v_or3_b32 v107, v25, v34, v33
.LBB328_447:                            ;   in Loop: Header=BB328_12 Depth=1
	s_or_b32 exec_lo, exec_lo, s44
.LBB328_448:                            ;   in Loop: Header=BB328_12 Depth=1
	s_or_b32 exec_lo, exec_lo, s43
.LBB328_449:                            ;   in Loop: Header=BB328_12 Depth=1
	s_or_b32 exec_lo, exec_lo, s4
	v_and_b32_sdwa v25, v38, v46 dst_sel:DWORD dst_unused:UNUSED_PAD src0_sel:WORD_1 src1_sel:DWORD
	v_mov_b32_e32 v109, 0
	v_mov_b32_e32 v110, 0
	s_mov_b32 s4, exec_lo
	v_cmpx_ne_u16_e32 0, v25
	s_cbranch_execz .LBB328_457
; %bb.450:                              ;   in Loop: Header=BB328_12 Depth=1
	v_bfrev_b32_e32 v110, 1
	s_mov_b32 s43, exec_lo
	v_cmpx_ne_u16_e32 0x80, v25
	s_cbranch_execz .LBB328_456
; %bb.451:                              ;   in Loop: Header=BB328_12 Depth=1
	v_bfe_u32 v34, v38, 16, 7
	v_mov_b32_e32 v110, 0x7f800001
	s_mov_b32 s44, exec_lo
	v_cmpx_ne_u32_e32 0x7f, v34
	s_cbranch_execz .LBB328_455
; %bb.452:                              ;   in Loop: Header=BB328_12 Depth=1
	v_mov_b32_e32 v0, 7
	v_lshrrev_b32_e32 v33, 3, v34
	s_mov_b32 s45, exec_lo
	v_and_b32_sdwa v25, v38, v0 dst_sel:DWORD dst_unused:UNUSED_PAD src0_sel:WORD_1 src1_sel:DWORD
	v_cmpx_gt_u32_e32 8, v34
; %bb.453:                              ;   in Loop: Header=BB328_12 Depth=1
	v_ffbh_u32_e32 v33, v25
	v_min_u32_e32 v33, 32, v33
	v_subrev_nc_u32_e32 v34, 28, v33
	v_sub_nc_u32_e32 v33, 29, v33
	v_lshlrev_b64 v[110:111], v34, v[25:26]
	v_and_b32_e32 v25, 7, v110
; %bb.454:                              ;   in Loop: Header=BB328_12 Depth=1
	s_or_b32 exec_lo, exec_lo, s45
	v_mov_b32_e32 v0, 24
	v_lshlrev_b32_e32 v25, 20, v25
	v_lshl_add_u32 v33, v33, 23, 0x3c000000
	v_lshlrev_b32_sdwa v34, v0, v38 dst_sel:DWORD dst_unused:UNUSED_PAD src0_sel:DWORD src1_sel:WORD_1
	v_and_b32_e32 v34, 0x80000000, v34
	v_or3_b32 v110, v25, v34, v33
.LBB328_455:                            ;   in Loop: Header=BB328_12 Depth=1
	s_or_b32 exec_lo, exec_lo, s44
.LBB328_456:                            ;   in Loop: Header=BB328_12 Depth=1
	s_or_b32 exec_lo, exec_lo, s43
.LBB328_457:                            ;   in Loop: Header=BB328_12 Depth=1
	s_or_b32 exec_lo, exec_lo, s4
	s_mov_b32 s4, exec_lo
	v_cmpx_lt_u32_e32 0xffffff, v38
	s_cbranch_execz .LBB328_465
; %bb.458:                              ;   in Loop: Header=BB328_12 Depth=1
	v_cmp_ne_u32_sdwa s3, v38, v44 src0_sel:BYTE_3 src1_sel:DWORD
	v_bfrev_b32_e32 v109, 1
	s_and_saveexec_b32 s43, s3
	s_cbranch_execz .LBB328_464
; %bb.459:                              ;   in Loop: Header=BB328_12 Depth=1
	v_bfe_u32 v34, v38, 24, 7
	v_mov_b32_e32 v109, 0x7f800001
	s_mov_b32 s44, exec_lo
	v_cmpx_ne_u32_e32 0x7f, v34
	s_cbranch_execz .LBB328_463
; %bb.460:                              ;   in Loop: Header=BB328_12 Depth=1
	v_mov_b32_e32 v0, 7
	v_lshrrev_b32_e32 v33, 3, v34
	s_mov_b32 s45, exec_lo
	v_and_b32_sdwa v25, v38, v0 dst_sel:DWORD dst_unused:UNUSED_PAD src0_sel:BYTE_3 src1_sel:DWORD
	v_cmpx_gt_u32_e32 8, v34
; %bb.461:                              ;   in Loop: Header=BB328_12 Depth=1
	v_ffbh_u32_e32 v33, v25
	v_min_u32_e32 v33, 32, v33
	v_subrev_nc_u32_e32 v34, 28, v33
	v_sub_nc_u32_e32 v33, 29, v33
	v_lshlrev_b64 v[111:112], v34, v[25:26]
	v_and_b32_e32 v25, 7, v111
; %bb.462:                              ;   in Loop: Header=BB328_12 Depth=1
	s_or_b32 exec_lo, exec_lo, s45
	v_mov_b32_e32 v0, 24
	v_lshlrev_b32_e32 v25, 20, v25
	v_lshl_add_u32 v33, v33, 23, 0x3c000000
	v_lshlrev_b32_sdwa v34, v0, v38 dst_sel:DWORD dst_unused:UNUSED_PAD src0_sel:DWORD src1_sel:BYTE_3
	v_and_b32_e32 v34, 0x80000000, v34
	v_or3_b32 v109, v25, v34, v33
.LBB328_463:                            ;   in Loop: Header=BB328_12 Depth=1
	s_or_b32 exec_lo, exec_lo, s44
.LBB328_464:                            ;   in Loop: Header=BB328_12 Depth=1
	s_or_b32 exec_lo, exec_lo, s43
.LBB328_465:                            ;   in Loop: Header=BB328_12 Depth=1
	s_or_b32 exec_lo, exec_lo, s4
	global_load_dword v38, v[31:32], off offset:1792
	v_mov_b32_e32 v112, 0
	v_mov_b32_e32 v111, 0
	s_waitcnt vmcnt(0)
	v_cmp_ne_u16_sdwa s3, v38, v26 src0_sel:BYTE_0 src1_sel:DWORD
	s_and_saveexec_b32 s4, s3
	s_cbranch_execz .LBB328_473
; %bb.466:                              ;   in Loop: Header=BB328_12 Depth=1
	v_cmp_ne_u16_sdwa s3, v38, v44 src0_sel:BYTE_0 src1_sel:DWORD
	v_bfrev_b32_e32 v111, 1
	s_and_saveexec_b32 s43, s3
	s_cbranch_execz .LBB328_472
; %bb.467:                              ;   in Loop: Header=BB328_12 Depth=1
	v_and_b32_e32 v34, 0x7f, v38
	v_mov_b32_e32 v111, 0x7f800001
	s_mov_b32 s44, exec_lo
	v_cmpx_ne_u32_e32 0x7f, v34
	s_cbranch_execz .LBB328_471
; %bb.468:                              ;   in Loop: Header=BB328_12 Depth=1
	v_and_b32_e32 v25, 7, v38
	v_lshrrev_b32_e32 v33, 3, v34
	s_mov_b32 s45, exec_lo
	v_cmpx_gt_u32_e32 8, v34
; %bb.469:                              ;   in Loop: Header=BB328_12 Depth=1
	v_ffbh_u32_e32 v33, v25
	v_min_u32_e32 v33, 32, v33
	v_subrev_nc_u32_e32 v34, 28, v33
	v_sub_nc_u32_e32 v33, 29, v33
	v_lshlrev_b64 v[113:114], v34, v[25:26]
	v_and_b32_e32 v25, 7, v113
; %bb.470:                              ;   in Loop: Header=BB328_12 Depth=1
	s_or_b32 exec_lo, exec_lo, s45
	v_lshlrev_b32_e32 v34, 24, v38
	v_lshlrev_b32_e32 v25, 20, v25
	v_lshl_add_u32 v33, v33, 23, 0x3c000000
	v_and_b32_e32 v34, 0x80000000, v34
	v_or3_b32 v111, v25, v34, v33
.LBB328_471:                            ;   in Loop: Header=BB328_12 Depth=1
	s_or_b32 exec_lo, exec_lo, s44
.LBB328_472:                            ;   in Loop: Header=BB328_12 Depth=1
	s_or_b32 exec_lo, exec_lo, s43
.LBB328_473:                            ;   in Loop: Header=BB328_12 Depth=1
	s_or_b32 exec_lo, exec_lo, s4
	v_cmp_ne_u16_sdwa s3, v38, v26 src0_sel:BYTE_1 src1_sel:DWORD
	s_and_saveexec_b32 s4, s3
	s_cbranch_execz .LBB328_481
; %bb.474:                              ;   in Loop: Header=BB328_12 Depth=1
	v_cmp_ne_u16_sdwa s3, v38, v44 src0_sel:BYTE_1 src1_sel:DWORD
	v_bfrev_b32_e32 v112, 1
	s_and_saveexec_b32 s43, s3
	s_cbranch_execz .LBB328_480
; %bb.475:                              ;   in Loop: Header=BB328_12 Depth=1
	v_mov_b32_e32 v0, 0xffff
	v_mov_b32_e32 v112, 0x7f800001
	s_mov_b32 s44, exec_lo
	v_and_b32_sdwa v25, v0, v38 dst_sel:DWORD dst_unused:UNUSED_PAD src0_sel:DWORD src1_sel:BYTE_1
	v_and_b32_e32 v34, 0x7f, v25
	v_cmpx_ne_u32_e32 0x7f, v34
	s_cbranch_execz .LBB328_479
; %bb.476:                              ;   in Loop: Header=BB328_12 Depth=1
	v_and_b32_e32 v25, 7, v25
	v_lshrrev_b32_e32 v33, 3, v34
	s_mov_b32 s45, exec_lo
	v_cmpx_gt_u32_e32 8, v34
; %bb.477:                              ;   in Loop: Header=BB328_12 Depth=1
	v_ffbh_u32_e32 v33, v25
	v_min_u32_e32 v33, 32, v33
	v_subrev_nc_u32_e32 v34, 28, v33
	v_sub_nc_u32_e32 v33, 29, v33
	v_lshlrev_b64 v[112:113], v34, v[25:26]
	v_and_b32_e32 v25, 7, v112
; %bb.478:                              ;   in Loop: Header=BB328_12 Depth=1
	s_or_b32 exec_lo, exec_lo, s45
	v_lshlrev_b32_e32 v34, 16, v38
	v_lshlrev_b32_e32 v25, 20, v25
	v_lshl_add_u32 v33, v33, 23, 0x3c000000
	v_and_b32_e32 v34, 0x80000000, v34
	v_or3_b32 v112, v25, v34, v33
.LBB328_479:                            ;   in Loop: Header=BB328_12 Depth=1
	s_or_b32 exec_lo, exec_lo, s44
.LBB328_480:                            ;   in Loop: Header=BB328_12 Depth=1
	s_or_b32 exec_lo, exec_lo, s43
.LBB328_481:                            ;   in Loop: Header=BB328_12 Depth=1
	s_or_b32 exec_lo, exec_lo, s4
	v_and_b32_sdwa v25, v38, v46 dst_sel:DWORD dst_unused:UNUSED_PAD src0_sel:WORD_1 src1_sel:DWORD
	v_mov_b32_e32 v113, 0
	v_mov_b32_e32 v114, 0
	s_mov_b32 s4, exec_lo
	v_cmpx_ne_u16_e32 0, v25
	s_cbranch_execz .LBB328_489
; %bb.482:                              ;   in Loop: Header=BB328_12 Depth=1
	v_bfrev_b32_e32 v114, 1
	s_mov_b32 s43, exec_lo
	v_cmpx_ne_u16_e32 0x80, v25
	s_cbranch_execz .LBB328_488
; %bb.483:                              ;   in Loop: Header=BB328_12 Depth=1
	v_bfe_u32 v34, v38, 16, 7
	v_mov_b32_e32 v114, 0x7f800001
	s_mov_b32 s44, exec_lo
	v_cmpx_ne_u32_e32 0x7f, v34
	s_cbranch_execz .LBB328_487
; %bb.484:                              ;   in Loop: Header=BB328_12 Depth=1
	v_mov_b32_e32 v0, 7
	v_lshrrev_b32_e32 v33, 3, v34
	s_mov_b32 s45, exec_lo
	v_and_b32_sdwa v25, v38, v0 dst_sel:DWORD dst_unused:UNUSED_PAD src0_sel:WORD_1 src1_sel:DWORD
	v_cmpx_gt_u32_e32 8, v34
; %bb.485:                              ;   in Loop: Header=BB328_12 Depth=1
	v_ffbh_u32_e32 v33, v25
	v_min_u32_e32 v33, 32, v33
	v_subrev_nc_u32_e32 v34, 28, v33
	v_sub_nc_u32_e32 v33, 29, v33
	v_lshlrev_b64 v[114:115], v34, v[25:26]
	v_and_b32_e32 v25, 7, v114
; %bb.486:                              ;   in Loop: Header=BB328_12 Depth=1
	s_or_b32 exec_lo, exec_lo, s45
	v_mov_b32_e32 v0, 24
	v_lshlrev_b32_e32 v25, 20, v25
	v_lshl_add_u32 v33, v33, 23, 0x3c000000
	v_lshlrev_b32_sdwa v34, v0, v38 dst_sel:DWORD dst_unused:UNUSED_PAD src0_sel:DWORD src1_sel:WORD_1
	v_and_b32_e32 v34, 0x80000000, v34
	v_or3_b32 v114, v25, v34, v33
.LBB328_487:                            ;   in Loop: Header=BB328_12 Depth=1
	s_or_b32 exec_lo, exec_lo, s44
.LBB328_488:                            ;   in Loop: Header=BB328_12 Depth=1
	s_or_b32 exec_lo, exec_lo, s43
.LBB328_489:                            ;   in Loop: Header=BB328_12 Depth=1
	s_or_b32 exec_lo, exec_lo, s4
	s_mov_b32 s4, exec_lo
	v_cmpx_lt_u32_e32 0xffffff, v38
	s_cbranch_execz .LBB328_497
; %bb.490:                              ;   in Loop: Header=BB328_12 Depth=1
	v_cmp_ne_u32_sdwa s3, v38, v44 src0_sel:BYTE_3 src1_sel:DWORD
	v_bfrev_b32_e32 v113, 1
	s_and_saveexec_b32 s43, s3
	s_cbranch_execz .LBB328_496
; %bb.491:                              ;   in Loop: Header=BB328_12 Depth=1
	v_bfe_u32 v34, v38, 24, 7
	v_mov_b32_e32 v113, 0x7f800001
	s_mov_b32 s44, exec_lo
	v_cmpx_ne_u32_e32 0x7f, v34
	s_cbranch_execz .LBB328_495
; %bb.492:                              ;   in Loop: Header=BB328_12 Depth=1
	v_mov_b32_e32 v0, 7
	v_lshrrev_b32_e32 v33, 3, v34
	s_mov_b32 s45, exec_lo
	v_and_b32_sdwa v25, v38, v0 dst_sel:DWORD dst_unused:UNUSED_PAD src0_sel:BYTE_3 src1_sel:DWORD
	v_cmpx_gt_u32_e32 8, v34
; %bb.493:                              ;   in Loop: Header=BB328_12 Depth=1
	v_ffbh_u32_e32 v33, v25
	v_min_u32_e32 v33, 32, v33
	v_subrev_nc_u32_e32 v34, 28, v33
	v_sub_nc_u32_e32 v33, 29, v33
	v_lshlrev_b64 v[115:116], v34, v[25:26]
	v_and_b32_e32 v25, 7, v115
; %bb.494:                              ;   in Loop: Header=BB328_12 Depth=1
	s_or_b32 exec_lo, exec_lo, s45
	v_mov_b32_e32 v0, 24
	v_lshlrev_b32_e32 v25, 20, v25
	v_lshl_add_u32 v33, v33, 23, 0x3c000000
	v_lshlrev_b32_sdwa v34, v0, v38 dst_sel:DWORD dst_unused:UNUSED_PAD src0_sel:DWORD src1_sel:BYTE_3
	v_and_b32_e32 v34, 0x80000000, v34
	v_or3_b32 v113, v25, v34, v33
.LBB328_495:                            ;   in Loop: Header=BB328_12 Depth=1
	s_or_b32 exec_lo, exec_lo, s44
.LBB328_496:                            ;   in Loop: Header=BB328_12 Depth=1
	s_or_b32 exec_lo, exec_lo, s43
.LBB328_497:                            ;   in Loop: Header=BB328_12 Depth=1
	s_or_b32 exec_lo, exec_lo, s4
	global_load_dword v38, v[31:32], off offset:1800
	v_mov_b32_e32 v32, 0
	v_mov_b32_e32 v31, 0
	s_waitcnt vmcnt(0)
	v_cmp_ne_u16_sdwa s3, v38, v26 src0_sel:BYTE_0 src1_sel:DWORD
	s_and_saveexec_b32 s4, s3
	s_cbranch_execz .LBB328_505
; %bb.498:                              ;   in Loop: Header=BB328_12 Depth=1
	v_cmp_ne_u16_sdwa s3, v38, v44 src0_sel:BYTE_0 src1_sel:DWORD
	v_bfrev_b32_e32 v31, 1
	s_and_saveexec_b32 s43, s3
	s_cbranch_execz .LBB328_504
; %bb.499:                              ;   in Loop: Header=BB328_12 Depth=1
	v_and_b32_e32 v33, 0x7f, v38
	v_mov_b32_e32 v31, 0x7f800001
	s_mov_b32 s44, exec_lo
	v_cmpx_ne_u32_e32 0x7f, v33
	s_cbranch_execz .LBB328_503
; %bb.500:                              ;   in Loop: Header=BB328_12 Depth=1
	v_and_b32_e32 v25, 7, v38
	v_lshrrev_b32_e32 v31, 3, v33
	s_mov_b32 s45, exec_lo
	v_cmpx_gt_u32_e32 8, v33
; %bb.501:                              ;   in Loop: Header=BB328_12 Depth=1
	v_ffbh_u32_e32 v31, v25
	v_min_u32_e32 v31, 32, v31
	v_subrev_nc_u32_e32 v33, 28, v31
	v_sub_nc_u32_e32 v31, 29, v31
	v_lshlrev_b64 v[33:34], v33, v[25:26]
	v_and_b32_e32 v25, 7, v33
; %bb.502:                              ;   in Loop: Header=BB328_12 Depth=1
	s_or_b32 exec_lo, exec_lo, s45
	v_lshlrev_b32_e32 v33, 24, v38
	v_lshlrev_b32_e32 v25, 20, v25
	v_lshl_add_u32 v31, v31, 23, 0x3c000000
	v_and_b32_e32 v33, 0x80000000, v33
	v_or3_b32 v31, v25, v33, v31
.LBB328_503:                            ;   in Loop: Header=BB328_12 Depth=1
	s_or_b32 exec_lo, exec_lo, s44
.LBB328_504:                            ;   in Loop: Header=BB328_12 Depth=1
	s_or_b32 exec_lo, exec_lo, s43
.LBB328_505:                            ;   in Loop: Header=BB328_12 Depth=1
	s_or_b32 exec_lo, exec_lo, s4
	v_cmp_ne_u16_sdwa s3, v38, v26 src0_sel:BYTE_1 src1_sel:DWORD
	s_and_saveexec_b32 s4, s3
	s_cbranch_execz .LBB328_513
; %bb.506:                              ;   in Loop: Header=BB328_12 Depth=1
	v_cmp_ne_u16_sdwa s3, v38, v44 src0_sel:BYTE_1 src1_sel:DWORD
	v_bfrev_b32_e32 v32, 1
	s_and_saveexec_b32 s43, s3
	s_cbranch_execz .LBB328_512
; %bb.507:                              ;   in Loop: Header=BB328_12 Depth=1
	v_mov_b32_e32 v0, 0xffff
	v_mov_b32_e32 v32, 0x7f800001
	s_mov_b32 s44, exec_lo
	v_and_b32_sdwa v25, v0, v38 dst_sel:DWORD dst_unused:UNUSED_PAD src0_sel:DWORD src1_sel:BYTE_1
	v_and_b32_e32 v33, 0x7f, v25
	v_cmpx_ne_u32_e32 0x7f, v33
	s_cbranch_execz .LBB328_511
; %bb.508:                              ;   in Loop: Header=BB328_12 Depth=1
	v_and_b32_e32 v25, 7, v25
	v_lshrrev_b32_e32 v32, 3, v33
	s_mov_b32 s45, exec_lo
	v_cmpx_gt_u32_e32 8, v33
; %bb.509:                              ;   in Loop: Header=BB328_12 Depth=1
	v_ffbh_u32_e32 v32, v25
	v_min_u32_e32 v32, 32, v32
	v_subrev_nc_u32_e32 v33, 28, v32
	v_sub_nc_u32_e32 v32, 29, v32
	v_lshlrev_b64 v[33:34], v33, v[25:26]
	v_and_b32_e32 v25, 7, v33
; %bb.510:                              ;   in Loop: Header=BB328_12 Depth=1
	s_or_b32 exec_lo, exec_lo, s45
	v_lshlrev_b32_e32 v33, 16, v38
	v_lshlrev_b32_e32 v25, 20, v25
	v_lshl_add_u32 v32, v32, 23, 0x3c000000
	v_and_b32_e32 v33, 0x80000000, v33
	v_or3_b32 v32, v25, v33, v32
.LBB328_511:                            ;   in Loop: Header=BB328_12 Depth=1
	s_or_b32 exec_lo, exec_lo, s44
.LBB328_512:                            ;   in Loop: Header=BB328_12 Depth=1
	s_or_b32 exec_lo, exec_lo, s43
.LBB328_513:                            ;   in Loop: Header=BB328_12 Depth=1
	s_or_b32 exec_lo, exec_lo, s4
	v_and_b32_sdwa v25, v38, v46 dst_sel:DWORD dst_unused:UNUSED_PAD src0_sel:WORD_1 src1_sel:DWORD
	v_mov_b32_e32 v115, 0
	v_mov_b32_e32 v116, 0
	s_mov_b32 s4, exec_lo
	v_cmpx_ne_u16_e32 0, v25
	s_cbranch_execz .LBB328_521
; %bb.514:                              ;   in Loop: Header=BB328_12 Depth=1
	v_bfrev_b32_e32 v116, 1
	s_mov_b32 s43, exec_lo
	v_cmpx_ne_u16_e32 0x80, v25
	s_cbranch_execz .LBB328_520
; %bb.515:                              ;   in Loop: Header=BB328_12 Depth=1
	v_bfe_u32 v34, v38, 16, 7
	v_mov_b32_e32 v116, 0x7f800001
	s_mov_b32 s44, exec_lo
	v_cmpx_ne_u32_e32 0x7f, v34
	s_cbranch_execz .LBB328_519
; %bb.516:                              ;   in Loop: Header=BB328_12 Depth=1
	v_mov_b32_e32 v0, 7
	v_lshrrev_b32_e32 v33, 3, v34
	s_mov_b32 s45, exec_lo
	v_and_b32_sdwa v25, v38, v0 dst_sel:DWORD dst_unused:UNUSED_PAD src0_sel:WORD_1 src1_sel:DWORD
	v_cmpx_gt_u32_e32 8, v34
; %bb.517:                              ;   in Loop: Header=BB328_12 Depth=1
	v_ffbh_u32_e32 v33, v25
	v_min_u32_e32 v33, 32, v33
	v_subrev_nc_u32_e32 v34, 28, v33
	v_sub_nc_u32_e32 v33, 29, v33
	v_lshlrev_b64 v[116:117], v34, v[25:26]
	v_and_b32_e32 v25, 7, v116
; %bb.518:                              ;   in Loop: Header=BB328_12 Depth=1
	s_or_b32 exec_lo, exec_lo, s45
	v_mov_b32_e32 v0, 24
	v_lshlrev_b32_e32 v25, 20, v25
	v_lshl_add_u32 v33, v33, 23, 0x3c000000
	v_lshlrev_b32_sdwa v34, v0, v38 dst_sel:DWORD dst_unused:UNUSED_PAD src0_sel:DWORD src1_sel:WORD_1
	v_and_b32_e32 v34, 0x80000000, v34
	v_or3_b32 v116, v25, v34, v33
.LBB328_519:                            ;   in Loop: Header=BB328_12 Depth=1
	s_or_b32 exec_lo, exec_lo, s44
.LBB328_520:                            ;   in Loop: Header=BB328_12 Depth=1
	s_or_b32 exec_lo, exec_lo, s43
.LBB328_521:                            ;   in Loop: Header=BB328_12 Depth=1
	s_or_b32 exec_lo, exec_lo, s4
	s_mov_b32 s4, exec_lo
	v_cmpx_lt_u32_e32 0xffffff, v38
	s_cbranch_execz .LBB328_529
; %bb.522:                              ;   in Loop: Header=BB328_12 Depth=1
	v_cmp_ne_u32_sdwa s3, v38, v44 src0_sel:BYTE_3 src1_sel:DWORD
	v_bfrev_b32_e32 v115, 1
	s_and_saveexec_b32 s43, s3
	s_cbranch_execz .LBB328_528
; %bb.523:                              ;   in Loop: Header=BB328_12 Depth=1
	v_bfe_u32 v34, v38, 24, 7
	v_mov_b32_e32 v115, 0x7f800001
	s_mov_b32 s44, exec_lo
	v_cmpx_ne_u32_e32 0x7f, v34
	s_cbranch_execz .LBB328_527
; %bb.524:                              ;   in Loop: Header=BB328_12 Depth=1
	v_mov_b32_e32 v0, 7
	v_lshrrev_b32_e32 v33, 3, v34
	s_mov_b32 s45, exec_lo
	v_and_b32_sdwa v25, v38, v0 dst_sel:DWORD dst_unused:UNUSED_PAD src0_sel:BYTE_3 src1_sel:DWORD
	v_cmpx_gt_u32_e32 8, v34
; %bb.525:                              ;   in Loop: Header=BB328_12 Depth=1
	v_ffbh_u32_e32 v33, v25
	v_min_u32_e32 v33, 32, v33
	v_subrev_nc_u32_e32 v34, 28, v33
	v_sub_nc_u32_e32 v33, 29, v33
	v_lshlrev_b64 v[117:118], v34, v[25:26]
	v_and_b32_e32 v25, 7, v117
; %bb.526:                              ;   in Loop: Header=BB328_12 Depth=1
	s_or_b32 exec_lo, exec_lo, s45
	v_mov_b32_e32 v0, 24
	v_lshlrev_b32_e32 v25, 20, v25
	v_lshl_add_u32 v33, v33, 23, 0x3c000000
	v_lshlrev_b32_sdwa v34, v0, v38 dst_sel:DWORD dst_unused:UNUSED_PAD src0_sel:DWORD src1_sel:BYTE_3
	v_and_b32_e32 v34, 0x80000000, v34
	v_or3_b32 v115, v25, v34, v33
.LBB328_527:                            ;   in Loop: Header=BB328_12 Depth=1
	s_or_b32 exec_lo, exec_lo, s44
.LBB328_528:                            ;   in Loop: Header=BB328_12 Depth=1
	s_or_b32 exec_lo, exec_lo, s43
.LBB328_529:                            ;   in Loop: Header=BB328_12 Depth=1
	s_or_b32 exec_lo, exec_lo, s4
	v_lshlrev_b32_e32 v49, 16, v23
	v_lshlrev_b32_e32 v29, 16, v24
	v_and_b32_e32 v0, 0xffff0000, v23
	v_and_b32_e32 v42, 0xffff0000, v24
	v_lshlrev_b32_e32 v119, 16, v10
	v_lshlrev_b32_e32 v117, 16, v11
	;; [unrolled: 1-line block ×3, first 2 shown]
	v_and_b32_e32 v118, 0xffff0000, v10
	v_and_b32_e32 v25, 0xffff0000, v11
	;; [unrolled: 1-line block ×3, first 2 shown]
	v_lshlrev_b32_e32 v12, 16, v2
	v_lshlrev_b32_e32 v10, 16, v3
	v_and_b32_e32 v11, 0xffff0000, v2
	v_and_b32_e32 v2, 0xffff0000, v3
	v_mul_f32_e32 v3, s42, v60
	v_lshlrev_b32_e32 v33, 16, v13
	v_lshlrev_b32_e32 v127, 16, v14
	v_and_b32_e32 v38, 0xffff0000, v13
	v_and_b32_e32 v126, 0xffff0000, v14
	v_lshlrev_b32_e32 v121, 16, v9
	v_and_b32_e32 v120, 0xffff0000, v9
	v_lshlrev_b32_e32 v14, 16, v1
	v_lshlrev_b32_e32 v9, 16, v4
	v_and_b32_e32 v13, 0xffff0000, v1
	v_and_b32_e32 v1, 0xffff0000, v4
	v_bfe_u32 v4, v3, 16, 1
	v_cmp_u_f32_e64 s3, v3, v3
	v_lshlrev_b32_e32 v35, 16, v21
	v_lshlrev_b32_e32 v40, 16, v22
	v_and_b32_e32 v30, 0xffff0000, v21
	v_add3_u32 v4, v4, v3, 0x7fff
	v_or_b32_e32 v3, 0x400000, v3
	v_and_b32_e32 v39, 0xffff0000, v22
	v_lshlrev_b32_e32 v22, 16, v5
	v_and_b32_e32 v21, 0xffff0000, v5
	v_lshlrev_b32_e32 v48, 16, v19
	v_cndmask_b32_e64 v3, v4, v3, s3
	v_mul_f32_e32 v4, s42, v56
	v_lshlrev_b32_e32 v37, 16, v20
	v_and_b32_e32 v54, 0xffff0000, v19
	v_and_b32_e32 v34, 0xffff0000, v20
	;; [unrolled: 1-line block ×3, first 2 shown]
	v_bfe_u32 v5, v4, 16, 1
	v_cmp_u_f32_e64 s3, v4, v4
	v_lshlrev_b32_e32 v20, 16, v6
	v_and_b32_e32 v19, 0xffff0000, v6
	v_lshlrev_b32_e32 v45, 16, v17
	v_add3_u32 v5, v5, v4, 0x7fff
	v_or_b32_e32 v4, 0x400000, v4
	v_lshlrev_b32_e32 v47, 16, v18
	v_and_b32_e32 v51, 0xffff0000, v17
	v_and_b32_e32 v53, 0xffff0000, v18
	v_lshlrev_b32_e32 v18, 16, v7
	v_cndmask_b32_e64 v4, v5, v4, s3
	v_mul_f32_e32 v5, v49, v3
	v_and_b32_e32 v17, 0xffff0000, v7
	v_lshlrev_b32_e32 v125, 16, v15
	v_lshlrev_b32_e32 v123, 16, v16
	v_and_b32_e32 v3, 0xffff0000, v4
	v_and_b32_e32 v124, 0xffff0000, v15
	;; [unrolled: 1-line block ×3, first 2 shown]
	v_lshlrev_b32_e32 v16, 16, v8
	v_and_b32_e32 v15, 0xffff0000, v8
	v_fmac_f32_e32 v5, v35, v3
	v_mul_f32_e32 v3, s42, v59
	v_bfe_u32 v4, v3, 16, 1
	v_cmp_u_f32_e64 s3, v3, v3
	v_add3_u32 v4, v4, v3, 0x7fff
	v_or_b32_e32 v3, 0x400000, v3
	v_cndmask_b32_e64 v3, v4, v3, s3
	v_mul_f32_e32 v4, s42, v55
	v_and_b32_e32 v3, 0xffff0000, v3
	v_bfe_u32 v6, v4, 16, 1
	v_cmp_u_f32_e64 s3, v4, v4
	v_add3_u32 v6, v6, v4, 0x7fff
	v_or_b32_e32 v4, 0x400000, v4
	v_cndmask_b32_e64 v4, v6, v4, s3
	v_mul_f32_e32 v6, v0, v3
	v_and_b32_e32 v0, 0xffff0000, v4
	v_fmac_f32_e32 v6, v30, v0
	v_mul_f32_e32 v0, s42, v62
	v_bfe_u32 v3, v0, 16, 1
	v_cmp_u_f32_e64 s3, v0, v0
	v_add3_u32 v3, v3, v0, 0x7fff
	v_or_b32_e32 v0, 0x400000, v0
	v_cndmask_b32_e64 v0, v3, v0, s3
	v_mul_f32_e32 v3, s42, v58
	v_and_b32_e32 v0, 0xffff0000, v0
	v_bfe_u32 v4, v3, 16, 1
	v_cmp_u_f32_e64 s3, v3, v3
	v_mul_f32_e32 v7, v29, v0
	v_add3_u32 v4, v4, v3, 0x7fff
	v_or_b32_e32 v3, 0x400000, v3
	v_cndmask_b32_e64 v3, v4, v3, s3
	v_and_b32_e32 v0, 0xffff0000, v3
	v_fmac_f32_e32 v7, v40, v0
	v_mul_f32_e32 v0, s42, v61
	v_bfe_u32 v3, v0, 16, 1
	v_cmp_u_f32_e64 s3, v0, v0
	v_add3_u32 v3, v3, v0, 0x7fff
	v_or_b32_e32 v0, 0x400000, v0
	v_cndmask_b32_e64 v0, v3, v0, s3
	v_mul_f32_e32 v3, s42, v57
	v_and_b32_e32 v0, 0xffff0000, v0
	v_bfe_u32 v4, v3, 16, 1
	v_cmp_u_f32_e64 s3, v3, v3
	v_mul_f32_e32 v8, v42, v0
	v_add3_u32 v4, v4, v3, 0x7fff
	v_or_b32_e32 v3, 0x400000, v3
	v_cndmask_b32_e64 v3, v4, v3, s3
	v_and_b32_e32 v0, 0xffff0000, v3
	v_fmac_f32_e32 v8, v39, v0
	v_mul_f32_e32 v0, s42, v64
	v_bfe_u32 v3, v0, 16, 1
	v_cmp_u_f32_e64 s3, v0, v0
	v_add3_u32 v3, v3, v0, 0x7fff
	v_or_b32_e32 v0, 0x400000, v0
	v_cndmask_b32_e64 v0, v3, v0, s3
	v_and_b32_e32 v0, 0xffff0000, v0
	v_fmac_f32_e32 v5, v45, v0
	v_mul_f32_e32 v0, s42, v63
	v_bfe_u32 v3, v0, 16, 1
	v_cmp_u_f32_e64 s3, v0, v0
	;; [unrolled: 8-line block ×30, first 2 shown]
	v_add3_u32 v3, v3, v0, 0x7fff
	v_or_b32_e32 v0, 0x400000, v0
	v_cndmask_b32_e64 v0, v3, v0, s3
	v_and_b32_e32 v0, 0xffff0000, v0
	v_fmac_f32_e32 v6, v17, v0
	v_mul_f32_e32 v0, s42, v94
	v_mbcnt_lo_u32_b32 v17, -1, 0
	v_bfe_u32 v3, v0, 16, 1
	v_cmp_u_f32_e64 s3, v0, v0
	v_add3_u32 v3, v3, v0, 0x7fff
	v_or_b32_e32 v0, 0x400000, v0
	v_cndmask_b32_e64 v0, v3, v0, s3
	v_and_b32_e32 v0, 0xffff0000, v0
	v_fmac_f32_e32 v7, v16, v0
	v_mul_f32_e32 v0, s42, v93
	v_bfe_u32 v3, v0, 16, 1
	v_cmp_u_f32_e64 s3, v0, v0
	v_add3_u32 v3, v3, v0, 0x7fff
	v_or_b32_e32 v0, 0x400000, v0
	v_cndmask_b32_e64 v0, v3, v0, s3
	v_and_b32_e32 v0, 0xffff0000, v0
	v_fmac_f32_e32 v8, v15, v0
	v_mul_f32_e32 v0, s42, v96
	v_mul_f32_e32 v15, s42, v116
	v_bfe_u32 v3, v0, 16, 1
	v_cmp_u_f32_e64 s3, v0, v0
	v_bfe_u32 v16, v15, 16, 1
	v_add3_u32 v3, v3, v0, 0x7fff
	v_or_b32_e32 v0, 0x400000, v0
	v_cndmask_b32_e64 v0, v3, v0, s3
	v_and_b32_e32 v0, 0xffff0000, v0
	v_fmac_f32_e32 v5, v14, v0
	v_mul_f32_e32 v0, s42, v95
	v_mul_f32_e32 v14, s42, v113
	v_bfe_u32 v3, v0, 16, 1
	v_cmp_u_f32_e64 s3, v0, v0
	v_add3_u32 v3, v3, v0, 0x7fff
	v_or_b32_e32 v0, 0x400000, v0
	v_cndmask_b32_e64 v0, v3, v0, s3
	v_and_b32_e32 v0, 0xffff0000, v0
	v_fmac_f32_e32 v6, v13, v0
	v_mul_f32_e32 v0, s42, v98
	v_bfe_u32 v3, v0, 16, 1
	v_cmp_u_f32_e64 s3, v0, v0
	v_add3_u32 v3, v3, v0, 0x7fff
	v_or_b32_e32 v0, 0x400000, v0
	v_cndmask_b32_e64 v0, v3, v0, s3
	v_and_b32_e32 v0, 0xffff0000, v0
	v_fmac_f32_e32 v7, v12, v0
	;; [unrolled: 8-line block ×3, first 2 shown]
	v_mul_f32_e32 v0, s42, v100
	v_mul_f32_e32 v11, s42, v109
	v_bfe_u32 v3, v0, 16, 1
	v_cmp_u_f32_e64 s3, v0, v0
	v_add3_u32 v3, v3, v0, 0x7fff
	v_or_b32_e32 v0, 0x400000, v0
	v_cndmask_b32_e64 v0, v3, v0, s3
	v_and_b32_e32 v0, 0xffff0000, v0
	v_fmac_f32_e32 v5, v10, v0
	v_mul_f32_e32 v0, s42, v99
	v_bfe_u32 v3, v0, 16, 1
	v_cmp_u_f32_e64 s3, v0, v0
	v_add3_u32 v3, v3, v0, 0x7fff
	v_or_b32_e32 v0, 0x400000, v0
	v_cndmask_b32_e64 v0, v3, v0, s3
	v_and_b32_e32 v0, 0xffff0000, v0
	v_fmac_f32_e32 v6, v2, v0
	;; [unrolled: 8-line block ×3, first 2 shown]
	v_mul_f32_e32 v0, s42, v101
	v_bfe_u32 v2, v0, 16, 1
	v_cmp_u_f32_e64 s3, v0, v0
	v_add3_u32 v2, v2, v0, 0x7fff
	v_or_b32_e32 v0, 0x400000, v0
	v_cndmask_b32_e64 v0, v2, v0, s3
	buffer_load_dword v2, off, s[48:51], 0 offset:8 ; 4-byte Folded Reload
	v_and_b32_e32 v0, 0xffff0000, v0
	v_fmac_f32_e32 v8, v1, v0
	v_mul_f32_e32 v0, s42, v104
	v_bfe_u32 v1, v0, 16, 1
	v_cmp_u_f32_e64 s3, v0, v0
	v_add3_u32 v1, v1, v0, 0x7fff
	v_or_b32_e32 v0, 0x400000, v0
	v_cndmask_b32_e64 v0, v1, v0, s3
	v_and_b32_e32 v0, 0xffff0000, v0
	s_waitcnt vmcnt(0)
	v_lshlrev_b32_e32 v1, 16, v2
	v_fmac_f32_e32 v5, v1, v0
	v_mul_f32_e32 v0, s42, v103
	v_bfe_u32 v1, v0, 16, 1
	v_cmp_u_f32_e64 s3, v0, v0
	v_add3_u32 v1, v1, v0, 0x7fff
	v_or_b32_e32 v0, 0x400000, v0
	v_cndmask_b32_e64 v0, v1, v0, s3
	v_and_b32_e32 v1, 0xffff0000, v2
	v_and_b32_e32 v0, 0xffff0000, v0
	v_fmac_f32_e32 v6, v1, v0
	v_mul_f32_e32 v0, s42, v106
	v_bfe_u32 v1, v0, 16, 1
	v_cmp_u_f32_e64 s3, v0, v0
	v_add3_u32 v1, v1, v0, 0x7fff
	v_or_b32_e32 v0, 0x400000, v0
	v_cndmask_b32_e64 v0, v1, v0, s3
	v_mul_f32_e32 v1, s42, v105
	v_and_b32_e32 v0, 0xffff0000, v0
	v_bfe_u32 v2, v1, 16, 1
	v_cmp_u_f32_e64 s3, v1, v1
	v_add3_u32 v2, v2, v1, 0x7fff
	v_or_b32_e32 v1, 0x400000, v1
	v_cndmask_b32_e64 v1, v2, v1, s3
	buffer_load_dword v2, off, s[48:51], 0 offset:4 ; 4-byte Folded Reload
	v_and_b32_e32 v9, 0xffff0000, v1
	s_waitcnt vmcnt(0)
	v_lshlrev_b32_e32 v2, 16, v2
	v_fmac_f32_e32 v7, v2, v0
	ds_read_b128 v[1:4], v41 offset:102
	s_waitcnt lgkmcnt(0)
	v_lshlrev_b32_e32 v0, 16, v1
	v_and_b32_e32 v1, 0xffff0000, v1
	v_fmac_f32_e32 v8, v9, v0
	v_mul_f32_e32 v0, s42, v108
	v_bfe_u32 v9, v0, 16, 1
	v_cmp_u_f32_e64 s3, v0, v0
	v_add3_u32 v9, v9, v0, 0x7fff
	v_or_b32_e32 v0, 0x400000, v0
	v_cndmask_b32_e64 v0, v9, v0, s3
	v_mul_f32_e32 v9, s42, v31
	v_and_b32_e32 v0, 0xffff0000, v0
	v_bfe_u32 v10, v9, 16, 1
	v_fmac_f32_e32 v5, v0, v1
	v_mul_f32_e32 v0, s42, v107
	v_add3_u32 v10, v10, v9, 0x7fff
	v_bfe_u32 v1, v0, 16, 1
	v_cmp_u_f32_e64 s3, v0, v0
	v_add3_u32 v1, v1, v0, 0x7fff
	v_or_b32_e32 v0, 0x400000, v0
	v_cndmask_b32_e64 v0, v1, v0, s3
	v_lshlrev_b32_e32 v1, 16, v2
	v_and_b32_e32 v0, 0xffff0000, v0
	v_fmac_f32_e32 v6, v0, v1
	v_mul_f32_e32 v0, s42, v110
	v_bfe_u32 v1, v0, 16, 1
	v_cmp_u_f32_e64 s3, v0, v0
	v_add3_u32 v1, v1, v0, 0x7fff
	v_or_b32_e32 v0, 0x400000, v0
	v_cndmask_b32_e64 v0, v1, v0, s3
	v_and_b32_e32 v1, 0xffff0000, v2
	v_mul_f32_e32 v2, s42, v32
	v_and_b32_e32 v0, 0xffff0000, v0
	v_cmp_u_f32_e64 s3, v2, v2
	v_fmac_f32_e32 v7, v0, v1
	v_bfe_u32 v0, v2, 16, 1
	v_or_b32_e32 v1, 0x400000, v2
	v_add3_u32 v0, v0, v2, 0x7fff
	v_mul_f32_e32 v2, s42, v114
	v_cndmask_b32_e64 v1, v0, v1, s3
	v_bfe_u32 v0, v2, 16, 1
	v_cmp_u_f32_e64 s3, v9, v9
	v_or_b32_e32 v9, 0x400000, v9
	v_cmp_u_f32_e64 s4, v2, v2
	v_or_b32_e32 v12, 0x400000, v2
	v_add3_u32 v0, v0, v2, 0x7fff
	v_and_b32_e32 v1, 0xffff0000, v1
	v_cndmask_b32_e64 v2, v10, v9, s3
	v_bfe_u32 v10, v11, 16, 1
	v_cmp_u_f32_e64 s3, v11, v11
	v_cndmask_b32_e64 v9, v0, v12, s4
	v_mul_f32_e32 v0, s42, v112
	v_or_b32_e32 v12, 0x400000, v11
	v_add3_u32 v10, v10, v11, 0x7fff
	v_mul_f32_e32 v11, s42, v111
	v_and_b32_e32 v9, 0xffff0000, v9
	v_bfe_u32 v13, v0, 16, 1
	v_and_b32_e32 v2, 0xffff0000, v2
	v_cndmask_b32_e64 v10, v10, v12, s3
	v_bfe_u32 v12, v11, 16, 1
	v_cmp_u_f32_e64 s3, v0, v0
	v_add3_u32 v13, v13, v0, 0x7fff
	v_or_b32_e32 v0, 0x400000, v0
	v_cmp_u_f32_e64 s4, v11, v11
	v_add3_u32 v12, v12, v11, 0x7fff
	v_or_b32_e32 v11, 0x400000, v11
	v_and_b32_e32 v10, 0xffff0000, v10
	v_cndmask_b32_e64 v0, v13, v0, s3
	v_lshlrev_b32_e32 v13, 16, v3
	v_and_b32_e32 v3, 0xffff0000, v3
	v_cndmask_b32_e64 v11, v12, v11, s4
	v_bfe_u32 v12, v14, 16, 1
	v_and_b32_e32 v0, 0xffff0000, v0
	v_fmac_f32_e32 v8, v10, v13
	v_cmp_u_f32_e64 s3, v14, v14
	v_and_b32_e32 v11, 0xffff0000, v11
	v_add3_u32 v10, v12, v14, 0x7fff
	v_lshlrev_b32_e32 v12, 16, v4
	v_cmp_u_f32_e64 s4, v15, v15
	v_and_b32_e32 v4, 0xffff0000, v4
	v_fmac_f32_e32 v5, v11, v3
	v_mul_f32_e32 v3, s42, v115
	v_fmac_f32_e32 v6, v0, v12
	ds_read_b64 v[12:13], v41 offset:118
	v_or_b32_e32 v11, 0x400000, v14
	v_add3_u32 v0, v16, v15, 0x7fff
	v_or_b32_e32 v14, 0x400000, v15
	v_bfe_u32 v15, v3, 16, 1
	v_fmac_f32_e32 v7, v9, v4
	v_cndmask_b32_e64 v10, v10, v11, s3
	v_cmp_u_f32_e64 s3, v3, v3
	v_cndmask_b32_e64 v0, v0, v14, s4
	v_add3_u32 v14, v15, v3, 0x7fff
	v_or_b32_e32 v15, 0x400000, v3
	ds_read_u16 v3, v41 offset:126
	v_xor_b32_e32 v11, 1, v17
	v_and_b32_e32 v10, 0xffff0000, v10
	v_and_b32_e32 v0, 0xffff0000, v0
	v_cndmask_b32_e64 v14, v14, v15, s3
	v_cmp_gt_i32_e64 s4, 32, v11
	s_waitcnt lgkmcnt(1)
	v_lshlrev_b32_e32 v15, 16, v12
	v_and_b32_e32 v12, 0xffff0000, v12
	v_lshlrev_b32_e32 v16, 16, v13
	v_fmac_f32_e32 v8, v10, v15
	v_fmac_f32_e32 v5, v2, v12
	v_and_b32_e32 v2, 0xffff0000, v13
	v_fmac_f32_e32 v6, v1, v16
	s_waitcnt lgkmcnt(0)
	v_lshlrev_b32_e32 v1, 16, v3
	v_and_b32_e32 v3, 0xffff0000, v14
	v_fmac_f32_e32 v7, v0, v2
	v_add_f32_e32 v0, v5, v6
	v_cndmask_b32_e64 v2, v17, v11, s4
	v_fmac_f32_e32 v8, v3, v1
	v_add_f32_e32 v0, v0, v7
	v_lshlrev_b32_e32 v2, 2, v2
	v_add_f32_e32 v1, v8, v0
	ds_bpermute_b32 v2, v2, v1
	s_and_saveexec_b32 s4, vcc_lo
	s_cbranch_execz .LBB328_10
; %bb.530:                              ;   in Loop: Header=BB328_12 Depth=1
	buffer_load_dword v0, off, s[48:51], 0 offset:28 ; 4-byte Folded Reload
	s_waitcnt lgkmcnt(0)
	v_add_f32_e32 v1, v1, v2
	buffer_load_dword v3, off, s[48:51], 0 offset:12 ; 4-byte Folded Reload
	s_waitcnt vmcnt(1)
	v_add_nc_u32_e32 v0, v0, v43
	v_cvt_f32_i32_e32 v0, v0
	v_mul_f32_e32 v0, s36, v0
	v_cndmask_b32_e64 v0, 0, v0, s2
	v_fmac_f32_e32 v0, s35, v1
	buffer_load_dword v1, off, s[48:51], 0 offset:24 ; 4-byte Folded Reload
	s_waitcnt vmcnt(1)
	v_max_f32_e32 v2, v3, v3
	v_max_f32_e32 v2, v2, v0
	s_waitcnt vmcnt(0)
	v_add_nc_u32_e32 v1, v1, v43
	v_cmp_gt_i32_e64 s3, s33, v1
	v_cndmask_b32_e64 v0, 0, v0, s3
	v_cndmask_b32_e64 v3, v3, v2, s3
	ds_write_b32 v50, v0
	buffer_store_dword v3, off, s[48:51], 0 offset:12 ; 4-byte Folded Spill
	s_branch .LBB328_10
.LBB328_531:
	s_or_b32 exec_lo, exec_lo, s39
	s_clause 0x5
	buffer_load_dword v19, off, s[48:51], 0 offset:36
	buffer_load_dword v20, off, s[48:51], 0 offset:40
	;; [unrolled: 1-line block ×6, first 2 shown]
.LBB328_532:
	s_or_b32 exec_lo, exec_lo, s37
	v_mbcnt_lo_u32_b32 v0, -1, 0
	s_waitcnt vmcnt(0)
	v_max_f32_e32 v5, v4, v4
	v_and_b32_e32 v21, 31, v19
	v_xor_b32_e32 v1, 16, v0
	v_xor_b32_e32 v3, 8, v0
	;; [unrolled: 1-line block ×3, first 2 shown]
	v_cmp_gt_i32_e32 vcc_lo, 32, v1
	v_cndmask_b32_e32 v1, v0, v1, vcc_lo
	v_cmp_gt_i32_e32 vcc_lo, 32, v3
	s_waitcnt lgkmcnt(0)
	v_lshlrev_b32_e32 v2, 2, v1
	v_cndmask_b32_e32 v3, v0, v3, vcc_lo
	ds_bpermute_b32 v1, v2, v4
	v_lshlrev_b32_e32 v4, 2, v3
	s_waitcnt lgkmcnt(0)
	v_max_f32_e32 v1, v1, v1
	v_max_f32_e32 v1, v5, v1
	v_xor_b32_e32 v5, 4, v0
	ds_bpermute_b32 v3, v4, v1
	v_cmp_gt_i32_e32 vcc_lo, 32, v5
	v_cndmask_b32_e32 v5, v0, v5, vcc_lo
	v_cmp_gt_i32_e32 vcc_lo, 32, v6
	v_lshlrev_b32_e32 v5, 2, v5
	v_cndmask_b32_e32 v6, v0, v6, vcc_lo
	v_cmp_eq_u32_e32 vcc_lo, 0, v21
	s_waitcnt lgkmcnt(0)
	v_max_f32_e32 v3, v3, v3
	v_max_f32_e32 v1, v1, v3
	ds_bpermute_b32 v3, v5, v1
	s_waitcnt lgkmcnt(0)
	v_max_f32_e32 v3, v3, v3
	v_max_f32_e32 v3, v1, v3
	v_lshlrev_b32_e32 v1, 2, v6
	v_lshlrev_b32_e32 v6, 2, v52
	ds_bpermute_b32 v7, v1, v3
	s_and_saveexec_b32 s2, vcc_lo
	s_cbranch_execz .LBB328_534
; %bb.533:
	s_waitcnt lgkmcnt(0)
	v_max_f32_e32 v0, v7, v7
	v_max_f32_e32 v3, v3, v3
	v_max_f32_e32 v0, v3, v0
	ds_write_b32 v6, v0 offset:256
.LBB328_534:
	s_or_b32 exec_lo, exec_lo, s2
	v_cmp_gt_u32_e64 s2, 4, v21
	v_mov_b32_e32 v3, 0xff7fffff
	s_waitcnt lgkmcnt(0)
	v_lshlrev_b32_e32 v7, 2, v21
	s_waitcnt_vscnt null, 0x0
	s_barrier
	buffer_gl0_inv
	s_and_saveexec_b32 s3, s2
; %bb.535:
	ds_read_b32 v3, v7 offset:256
; %bb.536:
	s_or_b32 exec_lo, exec_lo, s3
	s_waitcnt lgkmcnt(0)
	ds_bpermute_b32 v0, v1, v3
	v_mbcnt_lo_u32_b32 v9, -1, 0
	v_max_f32_e32 v3, v3, v3
	v_xor_b32_e32 v8, 1, v9
	v_cmp_gt_i32_e64 s3, 32, v8
	v_cndmask_b32_e64 v8, v9, v8, s3
	s_lshl_b32 s3, s20, 4
	s_min_i32 s5, s3, s33
	s_waitcnt lgkmcnt(0)
	v_max_f32_e32 v0, v0, v0
	v_lshlrev_b32_e32 v22, 2, v8
	v_mov_b32_e32 v8, 0
	v_cmp_gt_i32_e64 s3, s5, v19
	v_max_f32_e32 v0, v3, v0
	ds_bpermute_b32 v3, v22, v0
	s_waitcnt lgkmcnt(0)
	v_max_f32_e32 v3, v3, v3
	v_max_f32_e32 v0, v0, v3
	v_lshl_add_u32 v3, v19, 2, 0x120
	ds_bpermute_b32 v9, v8, v0
	s_and_saveexec_b32 s12, s3
	s_cbranch_execz .LBB328_540
; %bb.537:
	v_lshl_add_u32 v10, v19, 2, 0x120
	v_mov_b32_e32 v8, 0
	v_mov_b32_e32 v11, v19
	s_mov_b32 s13, 0
	.p2align	6
.LBB328_538:                            ; =>This Inner Loop Header: Depth=1
	ds_read_b32 v0, v10
	v_add_nc_u32_e32 v11, 0x80, v11
	v_cmp_le_i32_e64 s4, s5, v11
	s_or_b32 s13, s4, s13
	s_waitcnt lgkmcnt(0)
	v_sub_f32_e32 v0, v0, v9
	v_mul_f32_e32 v0, 0x3fb8aa3b, v0
	v_exp_f32_e32 v0, v0
	ds_write_b32 v10, v0
	v_add_f32_e32 v8, v8, v0
	v_add_nc_u32_e32 v10, 0x200, v10
	s_andn2_b32 exec_lo, exec_lo, s13
	s_cbranch_execnz .LBB328_538
; %bb.539:
	s_or_b32 exec_lo, exec_lo, s13
.LBB328_540:
	s_or_b32 exec_lo, exec_lo, s12
	ds_bpermute_b32 v0, v2, v8
	s_waitcnt lgkmcnt(0)
	v_add_f32_e32 v0, v8, v0
	ds_bpermute_b32 v2, v4, v0
	s_waitcnt lgkmcnt(0)
	v_add_f32_e32 v0, v0, v2
	;; [unrolled: 3-line block ×5, first 2 shown]
	s_and_saveexec_b32 s4, vcc_lo
; %bb.541:
	ds_write_b32 v6, v2 offset:272
; %bb.542:
	s_or_b32 exec_lo, exec_lo, s4
	s_waitcnt lgkmcnt(0)
	s_barrier
	buffer_gl0_inv
	s_and_saveexec_b32 s4, s2
; %bb.543:
	ds_read_b32 v2, v7 offset:272
; %bb.544:
	s_or_b32 exec_lo, exec_lo, s4
	s_waitcnt lgkmcnt(0)
	ds_bpermute_b32 v0, v1, v2
	s_waitcnt lgkmcnt(0)
	v_add_f32_e32 v0, v2, v0
	ds_bpermute_b32 v1, v22, v0
	s_waitcnt lgkmcnt(0)
	v_add_f32_e32 v0, v0, v1
	v_mov_b32_e32 v1, 0
	ds_bpermute_b32 v1, v1, v0
	s_and_saveexec_b32 s2, s3
	s_cbranch_execz .LBB328_547
; %bb.545:
	s_waitcnt lgkmcnt(0)
	v_add_f32_e32 v0, 0x358637bd, v1
	s_mov_b32 s3, 0
	v_div_scale_f32 v1, null, v0, v0, 1.0
	v_div_scale_f32 v5, vcc_lo, 1.0, v0, 1.0
	v_rcp_f32_e32 v2, v1
	v_fma_f32 v4, -v1, v2, 1.0
	v_fmac_f32_e32 v2, v4, v2
	v_mul_f32_e32 v4, v5, v2
	v_fma_f32 v6, -v1, v4, v5
	v_fmac_f32_e32 v4, v6, v2
	v_fma_f32 v1, -v1, v4, v5
	v_div_fmas_f32 v1, v1, v2, v4
	v_mov_b32_e32 v2, v19
	v_div_fixup_f32 v1, v1, v0, 1.0
.LBB328_546:                            ; =>This Inner Loop Header: Depth=1
	ds_read_b32 v0, v3
	v_add_nc_u32_e32 v2, 0x80, v2
	v_cmp_le_i32_e32 vcc_lo, s5, v2
	s_or_b32 s3, vcc_lo, s3
	s_waitcnt lgkmcnt(0)
	v_mul_f32_e32 v0, v1, v0
	ds_write_b32 v3, v0
	v_add_nc_u32_e32 v3, 0x200, v3
	s_andn2_b32 exec_lo, exec_lo, s3
	s_cbranch_execnz .LBB328_546
.LBB328_547:
	s_or_b32 exec_lo, exec_lo, s2
	v_mov_b32_e32 v30, 0
	v_mov_b32_e32 v29, 0
	;; [unrolled: 1-line block ×8, first 2 shown]
	s_waitcnt lgkmcnt(0)
	s_barrier
	buffer_gl0_inv
	s_and_saveexec_b32 s4, s1
	s_cbranch_execz .LBB328_1049
; %bb.548:
	s_sub_i32 s5, s34, s21
	s_ashr_i32 s1, s18, 31
	s_add_u32 s18, s30, s18
	s_addc_u32 s1, s31, s1
	s_abs_i32 s12, s22
	v_and_b32_e32 v1, 0xf8, v12
	v_cvt_f32_u32_e32 v0, s12
	s_sub_i32 s2, 0, s12
	v_lshlrev_b32_e32 v3, 5, v20
	v_and_b32_e32 v2, 0x7c, v13
	v_add_co_u32 v11, s18, s18, v1
	v_rcp_iflag_f32_e32 v0, v0
	s_mov_b32 s13, s17
	s_add_i32 s17, s20, -1
	v_lshl_or_b32 v3, v52, 6, v3
	v_and_b32_e32 v31, 8, v12
	v_add_co_ci_u32_e64 v12, null, s1, 0, s18
	v_mov_b32_e32 v112, v19
	v_mov_b32_e32 v10, 0
	v_mov_b32_e32 v113, v20
	v_mul_f32_e32 v0, 0x4f7ffffe, v0
	v_mov_b32_e32 v32, 0x80
	v_mov_b32_e32 v37, 0xffff
	;; [unrolled: 1-line block ×4, first 2 shown]
	v_cvt_u32_f32_e32 v0, v0
	v_mov_b32_e32 v40, 24
	v_mov_b32_e32 v23, 0
	v_mov_b32_e32 v24, 0
	v_mov_b32_e32 v25, 0
	v_mul_lo_u32 v4, s2, v0
	s_lshl_b64 s[2:3], s[28:29], 2
	v_mov_b32_e32 v26, 0
	s_add_u32 s1, s26, s2
	s_addc_u32 s2, s27, s3
	v_add_co_u32 v13, s1, s1, v2
	v_mov_b32_e32 v27, 0
	v_mul_hi_u32 v1, v0, v4
	v_mov_b32_e32 v28, 0
	v_mov_b32_e32 v29, 0
	v_mov_b32_e32 v30, 0
	v_add_co_ci_u32_e64 v14, null, s2, 0, s1
	v_add_nc_u32_e32 v41, 0x120, v3
	v_mov_b32_e32 v114, v52
	v_add_nc_u32_e32 v42, v0, v1
	v_mov_b32_e32 v43, v52
	s_mov_b32 s2, -1
	s_mov_b32 s3, 0xffffff
	s_mov_b32 s18, 0
	s_branch .LBB328_551
.LBB328_549:                            ;   in Loop: Header=BB328_551 Depth=1
	s_or_b32 exec_lo, exec_lo, s1
	v_bfe_u32 v0, v5, 16, 1
	v_or_b32_e32 v33, 0x400000, v5
	v_bfe_u32 v34, v6, 16, 1
	v_cmp_u_f32_e32 vcc_lo, v5, v5
	v_bfe_u32 v35, v7, 16, 1
	v_add3_u32 v0, v0, v5, 0x7fff
	v_or_b32_e32 v52, 0x400000, v6
	v_add3_u32 v34, v34, v6, 0x7fff
	v_or_b32_e32 v58, 0x400000, v7
	v_add3_u32 v35, v35, v7, 0x7fff
	v_cndmask_b32_e32 v0, v0, v33, vcc_lo
	v_cmp_u_f32_e32 vcc_lo, v6, v6
	v_bfe_u32 v5, v8, 16, 1
	v_bfe_u32 v33, v1, 16, 1
	v_lshlrev_b32_e32 v20, 16, v20
	v_lshlrev_b32_e32 v53, 16, v53
	v_cndmask_b32_e32 v6, v34, v52, vcc_lo
	v_cmp_u_f32_e32 vcc_lo, v7, v7
	v_add3_u32 v5, v5, v8, 0x7fff
	v_or_b32_e32 v34, 0x400000, v8
	v_add3_u32 v33, v33, v1, 0x7fff
	v_bfe_u32 v52, v2, 16, 1
	v_cndmask_b32_e32 v7, v35, v58, vcc_lo
	v_cmp_u_f32_e32 vcc_lo, v8, v8
	v_or_b32_e32 v35, 0x400000, v1
	v_lshlrev_b32_e32 v54, 16, v54
	v_lshlrev_b32_e32 v57, 16, v57
	v_and_b32_e32 v7, 0xffff0000, v7
	v_cndmask_b32_e32 v8, v5, v34, vcc_lo
	v_cmp_u_f32_e32 vcc_lo, v1, v1
	v_add3_u32 v5, v52, v2, 0x7fff
	v_or_b32_e32 v34, 0x400000, v2
	v_and_b32_e32 v1, 0xffff0000, v6
	v_lshlrev_b32_e32 v6, 16, v108
	v_cndmask_b32_e32 v33, v33, v35, vcc_lo
	v_bfe_u32 v35, v3, 16, 1
	v_cmp_u_f32_e32 vcc_lo, v2, v2
	v_bfe_u32 v52, v4, 16, 1
	v_mul_f32_e32 v6, v1, v6
	v_lshlrev_b32_e32 v55, 16, v55
	v_add3_u32 v2, v35, v3, 0x7fff
	v_cndmask_b32_e32 v34, v5, v34, vcc_lo
	v_or_b32_e32 v35, 0x400000, v3
	v_and_b32_e32 v5, 0xffff0000, v0
	v_lshlrev_b32_e32 v0, 16, v107
	v_cmp_u_f32_e32 vcc_lo, v3, v3
	v_add3_u32 v3, v52, v4, 0x7fff
	v_or_b32_e32 v52, 0x400000, v4
	v_bfe_u32 v58, v6, 16, 1
	v_mul_f32_e32 v0, v5, v0
	v_cndmask_b32_e32 v35, v2, v35, vcc_lo
	v_and_b32_e32 v2, 0xffff0000, v8
	v_lshlrev_b32_e32 v8, 16, v105
	v_cmp_u_f32_e32 vcc_lo, v4, v4
	v_lshlrev_b32_e32 v50, 16, v50
	v_lshlrev_b32_e32 v49, 16, v49
	;; [unrolled: 1-line block ×3, first 2 shown]
	v_mul_f32_e32 v59, v2, v8
	v_cndmask_b32_e32 v4, v3, v52, vcc_lo
	v_add3_u32 v3, v58, v6, 0x7fff
	v_or_b32_e32 v52, 0x400000, v6
	v_bfe_u32 v58, v0, 16, 1
	v_lshlrev_b32_e32 v8, 16, v106
	v_cmp_u_f32_e32 vcc_lo, v6, v6
	v_bfe_u32 v60, v59, 16, 1
	v_and_b32_e32 v4, 0xffff0000, v4
	v_add3_u32 v6, v58, v0, 0x7fff
	v_or_b32_e32 v58, 0x400000, v0
	v_cndmask_b32_e32 v52, v3, v52, vcc_lo
	v_mul_f32_e32 v61, v7, v8
	v_and_b32_e32 v3, 0xffff0000, v34
	v_lshlrev_b32_e32 v8, 16, v100
	v_cmp_u_f32_e32 vcc_lo, v0, v0
	v_or_b32_e32 v34, 0x400000, v59
	v_and_b32_e32 v52, 0xffff0000, v52
	v_mul_f32_e32 v53, v3, v53
	v_mul_f32_e32 v57, v4, v57
	v_cndmask_b32_e32 v0, v6, v58, vcc_lo
	v_add3_u32 v6, v60, v59, 0x7fff
	v_bfe_u32 v58, v61, 16, 1
	v_mul_f32_e32 v60, v3, v8
	v_and_b32_e32 v8, 0xffff0000, v33
	v_cmp_u_f32_e32 vcc_lo, v59, v59
	v_lshlrev_b32_e32 v59, 16, v104
	v_and_b32_e32 v0, 0xffff0000, v0
	v_or_b32_e32 v62, 0x400000, v60
	v_mul_f32_e32 v20, v8, v20
	v_cndmask_b32_e32 v33, v6, v34, vcc_lo
	v_add3_u32 v6, v58, v61, 0x7fff
	v_or_b32_e32 v34, 0x400000, v61
	v_bfe_u32 v58, v60, 16, 1
	v_cmp_u_f32_e32 vcc_lo, v61, v61
	v_bfe_u32 v61, v20, 16, 1
	v_or_b32_e32 v63, 0x400000, v20
	v_mul_f32_e32 v59, v4, v59
	v_add3_u32 v58, v58, v60, 0x7fff
	v_cndmask_b32_e32 v34, v6, v34, vcc_lo
	v_and_b32_e32 v6, 0xffff0000, v35
	v_lshlrev_b32_e32 v35, 16, v103
	v_cmp_u_f32_e32 vcc_lo, v60, v60
	v_add3_u32 v61, v61, v20, 0x7fff
	v_bfe_u32 v64, v59, 16, 1
	v_and_b32_e32 v34, 0xffff0000, v34
	v_mul_f32_e32 v35, v6, v35
	v_cndmask_b32_e32 v58, v58, v62, vcc_lo
	v_cmp_u_f32_e32 vcc_lo, v20, v20
	v_and_b32_e32 v33, 0xffff0000, v33
	v_add3_u32 v60, v64, v59, 0x7fff
	v_or_b32_e32 v62, 0x400000, v59
	v_add_f32_e32 v0, v0, v52
	v_cndmask_b32_e32 v20, v61, v63, vcc_lo
	v_bfe_u32 v61, v35, 16, 1
	v_or_b32_e32 v63, 0x400000, v35
	v_cmp_u_f32_e32 vcc_lo, v35, v35
	v_add_f32_e32 v33, v34, v33
	v_and_b32_e32 v20, 0xffff0000, v20
	v_add3_u32 v61, v61, v35, 0x7fff
	v_and_b32_e32 v34, 0xffff0000, v58
	v_mul_f32_e32 v54, v8, v54
	v_add_f32_e32 v0, v33, v0
	v_lshlrev_b32_e32 v33, 16, v99
	v_cndmask_b32_e32 v35, v61, v63, vcc_lo
	v_cmp_u_f32_e32 vcc_lo, v59, v59
	v_add_f32_e32 v20, v20, v34
	v_lshlrev_b32_e32 v61, 16, v97
	v_mul_f32_e32 v33, v1, v33
	v_and_b32_e32 v34, 0xffff0000, v35
	v_cndmask_b32_e32 v52, v60, v62, vcc_lo
	v_lshlrev_b32_e32 v35, 16, v98
	v_add_f32_e32 v0, v20, v0
	v_cmp_u_f32_e32 vcc_lo, v33, v33
	v_mul_f32_e32 v55, v6, v55
	v_and_b32_e32 v52, 0xffff0000, v52
	v_mul_f32_e32 v20, v5, v35
	v_lshlrev_b32_e32 v35, 16, v95
	v_mul_f32_e32 v49, v7, v49
	v_mul_f32_e32 v45, v3, v45
	v_add_f32_e32 v34, v34, v52
	v_bfe_u32 v52, v33, 16, 1
	v_bfe_u32 v58, v20, 16, 1
	v_or_b32_e32 v59, 0x400000, v20
	v_lshlrev_b32_e32 v44, 16, v44
	v_add_f32_e32 v0, v34, v0
	v_mul_f32_e32 v34, v2, v35
	v_add3_u32 v35, v52, v33, 0x7fff
	v_or_b32_e32 v52, 0x400000, v33
	v_add3_u32 v58, v58, v20, 0x7fff
	v_add_f32_e32 v24, v24, v0
	v_bfe_u32 v60, v34, 16, 1
	v_lshlrev_b32_e32 v48, 16, v48
	v_cndmask_b32_e32 v33, v35, v52, vcc_lo
	v_cmp_u_f32_e32 vcc_lo, v20, v20
	v_mul_f32_e32 v35, v7, v61
	v_add3_u32 v52, v60, v34, 0x7fff
	v_lshlrev_b32_e32 v60, 16, v93
	v_and_b32_e32 v33, 0xffff0000, v33
	v_cndmask_b32_e32 v20, v58, v59, vcc_lo
	v_or_b32_e32 v58, 0x400000, v34
	v_lshlrev_b32_e32 v59, 16, v92
	v_cmp_u_f32_e32 vcc_lo, v34, v34
	v_bfe_u32 v61, v35, 16, 1
	v_and_b32_e32 v20, 0xffff0000, v20
	v_mul_f32_e32 v44, v8, v44
	v_mul_f32_e32 v48, v4, v48
	v_cndmask_b32_e32 v34, v52, v58, vcc_lo
	v_mul_f32_e32 v52, v3, v59
	v_mul_f32_e32 v58, v8, v60
	v_add3_u32 v59, v61, v35, 0x7fff
	v_or_b32_e32 v60, 0x400000, v35
	v_lshlrev_b32_e32 v61, 16, v96
	v_bfe_u32 v62, v52, 16, 1
	v_cmp_u_f32_e32 vcc_lo, v35, v35
	v_bfe_u32 v63, v58, 16, 1
	v_and_b32_e32 v34, 0xffff0000, v34
	v_add_f32_e32 v20, v20, v33
	v_lshlrev_b32_e32 v46, 16, v46
	v_cndmask_b32_e32 v35, v59, v60, vcc_lo
	v_mul_f32_e32 v59, v4, v61
	v_add3_u32 v60, v62, v52, 0x7fff
	v_or_b32_e32 v61, 0x400000, v52
	v_cmp_u_f32_e32 vcc_lo, v52, v52
	v_add3_u32 v62, v63, v58, 0x7fff
	v_or_b32_e32 v63, 0x400000, v58
	v_bfe_u32 v64, v59, 16, 1
	v_and_b32_e32 v35, 0xffff0000, v35
	v_cndmask_b32_e32 v52, v60, v61, vcc_lo
	v_lshlrev_b32_e32 v60, 16, v94
	v_cmp_u_f32_e32 vcc_lo, v58, v58
	v_add3_u32 v61, v64, v59, 0x7fff
	v_add_f32_e32 v33, v35, v34
	v_lshlrev_b32_e32 v35, 16, v91
	v_mul_f32_e32 v60, v6, v60
	v_cndmask_b32_e32 v58, v62, v63, vcc_lo
	v_or_b32_e32 v62, 0x400000, v59
	v_cmp_u_f32_e32 vcc_lo, v59, v59
	v_and_b32_e32 v52, 0xffff0000, v52
	v_add_f32_e32 v20, v33, v20
	v_and_b32_e32 v34, 0xffff0000, v58
	v_mul_f32_e32 v33, v1, v35
	v_cndmask_b32_e32 v59, v61, v62, vcc_lo
	v_bfe_u32 v61, v60, 16, 1
	v_lshlrev_b32_e32 v35, 16, v90
	v_add_f32_e32 v34, v34, v52
	v_cmp_u_f32_e32 vcc_lo, v60, v60
	v_lshlrev_b32_e32 v62, 16, v89
	v_add3_u32 v58, v61, v60, 0x7fff
	v_or_b32_e32 v61, 0x400000, v60
	v_add_f32_e32 v20, v34, v20
	v_mul_f32_e32 v34, v5, v35
	v_lshlrev_b32_e32 v35, 16, v87
	v_or_b32_e32 v60, 0x400000, v33
	v_cndmask_b32_e32 v52, v58, v61, vcc_lo
	v_bfe_u32 v58, v33, 16, 1
	v_bfe_u32 v61, v34, 16, 1
	v_mul_f32_e32 v35, v2, v35
	v_cmp_u_f32_e32 vcc_lo, v33, v33
	v_mul_f32_e32 v62, v7, v62
	v_add3_u32 v58, v58, v33, 0x7fff
	v_lshlrev_b32_e32 v63, 16, v85
	v_lshlrev_b32_e32 v64, 16, v84
	;; [unrolled: 1-line block ×4, first 2 shown]
	v_cndmask_b32_e32 v33, v58, v60, vcc_lo
	v_add3_u32 v58, v61, v34, 0x7fff
	v_or_b32_e32 v60, 0x400000, v34
	v_bfe_u32 v61, v35, 16, 1
	v_cmp_u_f32_e32 vcc_lo, v34, v34
	v_mul_f32_e32 v63, v3, v63
	v_mul_f32_e32 v64, v8, v64
	v_and_b32_e32 v33, 0xffff0000, v33
	v_and_b32_e32 v52, 0xffff0000, v52
	v_cndmask_b32_e32 v34, v58, v60, vcc_lo
	v_add3_u32 v58, v61, v35, 0x7fff
	v_or_b32_e32 v60, 0x400000, v35
	v_bfe_u32 v61, v62, 16, 1
	v_cmp_u_f32_e32 vcc_lo, v35, v35
	v_or_b32_e32 v86, 0x400000, v64
	v_and_b32_e32 v34, 0xffff0000, v34
	v_and_b32_e32 v59, 0xffff0000, v59
	v_mul_f32_e32 v46, v6, v46
	v_cndmask_b32_e32 v35, v58, v60, vcc_lo
	v_add3_u32 v58, v61, v62, 0x7fff
	v_or_b32_e32 v60, 0x400000, v62
	v_bfe_u32 v61, v63, 16, 1
	v_cmp_u_f32_e32 vcc_lo, v62, v62
	v_mul_f32_e32 v62, v4, v84
	v_mul_f32_e32 v84, v6, v85
	v_or_b32_e32 v85, 0x400000, v63
	v_add3_u32 v61, v61, v63, 0x7fff
	v_cndmask_b32_e32 v58, v58, v60, vcc_lo
	v_bfe_u32 v60, v64, 16, 1
	v_cmp_u_f32_e32 vcc_lo, v63, v63
	v_bfe_u32 v88, v84, 16, 1
	v_bfe_u32 v87, v62, 16, 1
	v_and_b32_e32 v58, 0xffff0000, v58
	v_add3_u32 v60, v60, v64, 0x7fff
	v_cndmask_b32_e32 v61, v61, v85, vcc_lo
	v_cmp_u_f32_e32 vcc_lo, v64, v64
	v_add3_u32 v64, v88, v84, 0x7fff
	v_or_b32_e32 v85, 0x400000, v84
	v_add3_u32 v63, v87, v62, 0x7fff
	v_and_b32_e32 v35, 0xffff0000, v35
	v_cndmask_b32_e32 v60, v60, v86, vcc_lo
	v_cmp_u_f32_e32 vcc_lo, v84, v84
	v_or_b32_e32 v86, 0x400000, v62
	v_add_f32_e32 v33, v34, v33
	v_add_f32_e32 v34, v58, v35
	v_and_b32_e32 v35, 0xffff0000, v60
	v_cndmask_b32_e32 v64, v64, v85, vcc_lo
	v_cmp_u_f32_e32 vcc_lo, v62, v62
	v_and_b32_e32 v58, 0xffff0000, v61
	v_add_f32_e32 v33, v34, v33
	v_add_f32_e32 v52, v52, v59
	v_lshlrev_b32_e32 v59, 16, v82
	v_cndmask_b32_e32 v60, v63, v86, vcc_lo
	v_add_f32_e32 v34, v35, v58
	v_and_b32_e32 v35, 0xffff0000, v64
	v_add_f32_e32 v20, v52, v20
	v_mul_f32_e32 v52, v5, v59
	v_and_b32_e32 v58, 0xffff0000, v60
	v_lshlrev_b32_e32 v60, 16, v83
	v_add_f32_e32 v33, v34, v33
	v_add_f32_e32 v25, v25, v20
	v_bfe_u32 v20, v52, 16, 1
	v_add_f32_e32 v34, v35, v58
	v_mul_f32_e32 v35, v1, v60
	v_lshlrev_b32_e32 v59, 16, v81
	v_or_b32_e32 v58, 0x400000, v52
	v_add3_u32 v20, v20, v52, 0x7fff
	v_add_f32_e32 v0, v34, v33
	v_bfe_u32 v33, v35, 16, 1
	v_lshlrev_b32_e32 v34, 16, v79
	v_cmp_u_f32_e32 vcc_lo, v35, v35
	v_lshlrev_b32_e32 v61, 16, v80
	v_add_f32_e32 v26, v26, v0
	v_add3_u32 v0, v33, v35, 0x7fff
	v_or_b32_e32 v33, 0x400000, v35
	v_mul_f32_e32 v34, v2, v34
	v_mul_f32_e32 v35, v7, v59
	v_lshlrev_b32_e32 v59, 16, v77
	v_lshlrev_b32_e32 v19, 16, v19
	v_cndmask_b32_e32 v0, v0, v33, vcc_lo
	v_bfe_u32 v33, v34, 16, 1
	v_cmp_u_f32_e32 vcc_lo, v52, v52
	v_lshlrev_b32_e32 v52, 16, v76
	v_bfe_u32 v60, v35, 16, 1
	v_and_b32_e32 v0, 0xffff0000, v0
	v_add3_u32 v33, v33, v34, 0x7fff
	v_cndmask_b32_e32 v20, v20, v58, vcc_lo
	v_or_b32_e32 v58, 0x400000, v34
	v_mul_f32_e32 v52, v3, v52
	v_cmp_u_f32_e32 vcc_lo, v34, v34
	v_mul_f32_e32 v34, v8, v59
	v_or_b32_e32 v59, 0x400000, v35
	v_and_b32_e32 v20, 0xffff0000, v20
	v_lshlrev_b32_e32 v16, 16, v16
	v_cndmask_b32_e32 v33, v33, v58, vcc_lo
	v_add3_u32 v58, v60, v35, 0x7fff
	v_bfe_u32 v60, v52, 16, 1
	v_bfe_u32 v62, v34, 16, 1
	v_cmp_u_f32_e32 vcc_lo, v35, v35
	v_or_b32_e32 v63, 0x400000, v34
	v_and_b32_e32 v33, 0xffff0000, v33
	v_add_f32_e32 v0, v20, v0
	v_lshlrev_b32_e32 v15, 16, v15
	v_cndmask_b32_e32 v35, v58, v59, vcc_lo
	v_add3_u32 v58, v60, v52, 0x7fff
	v_mul_f32_e32 v59, v4, v61
	v_or_b32_e32 v60, 0x400000, v52
	v_add3_u32 v61, v62, v34, 0x7fff
	v_lshlrev_b32_e32 v62, 16, v78
	v_cmp_u_f32_e32 vcc_lo, v52, v52
	v_bfe_u32 v64, v59, 16, 1
	v_and_b32_e32 v35, 0xffff0000, v35
	v_lshlrev_b32_e32 v9, 16, v9
	v_lshlrev_b32_e32 v17, 16, v17
	v_cndmask_b32_e32 v52, v58, v60, vcc_lo
	v_mul_f32_e32 v58, v6, v62
	v_cmp_u_f32_e32 vcc_lo, v34, v34
	v_add3_u32 v60, v64, v59, 0x7fff
	v_add_f32_e32 v20, v35, v33
	v_lshlrev_b32_e32 v35, 16, v75
	v_bfe_u32 v62, v58, 16, 1
	v_cndmask_b32_e32 v34, v61, v63, vcc_lo
	v_or_b32_e32 v61, 0x400000, v59
	v_cmp_u_f32_e32 vcc_lo, v59, v59
	v_mul_f32_e32 v35, v1, v35
	v_add_f32_e32 v0, v20, v0
	v_and_b32_e32 v33, 0xffff0000, v34
	v_and_b32_e32 v34, 0xffff0000, v52
	v_cndmask_b32_e32 v59, v60, v61, vcc_lo
	v_add3_u32 v60, v62, v58, 0x7fff
	v_or_b32_e32 v61, 0x400000, v58
	v_cmp_u_f32_e32 vcc_lo, v58, v58
	v_lshlrev_b32_e32 v52, 16, v74
	v_add_f32_e32 v20, v33, v34
	v_lshlrev_b32_e32 v63, 16, v72
	v_cndmask_b32_e32 v58, v60, v61, vcc_lo
	v_mul_f32_e32 v33, v5, v52
	v_and_b32_e32 v52, 0xffff0000, v59
	v_lshlrev_b32_e32 v59, 16, v71
	v_add_f32_e32 v20, v20, v0
	v_and_b32_e32 v34, 0xffff0000, v58
	v_bfe_u32 v58, v35, 16, 1
	v_bfe_u32 v0, v33, 16, 1
	v_mul_f32_e32 v59, v2, v59
	v_lshlrev_b32_e32 v61, 16, v73
	v_add_f32_e32 v52, v34, v52
	v_add3_u32 v34, v58, v35, 0x7fff
	v_or_b32_e32 v58, 0x400000, v35
	v_cmp_u_f32_e32 vcc_lo, v35, v35
	v_add3_u32 v0, v0, v33, 0x7fff
	v_or_b32_e32 v60, 0x400000, v33
	v_bfe_u32 v35, v59, 16, 1
	v_cndmask_b32_e32 v34, v34, v58, vcc_lo
	v_cmp_u_f32_e32 vcc_lo, v33, v33
	v_mul_f32_e32 v33, v7, v61
	v_lshlrev_b32_e32 v58, 16, v68
	v_lshlrev_b32_e32 v61, 16, v69
	v_add3_u32 v35, v35, v59, 0x7fff
	v_cndmask_b32_e32 v0, v0, v60, vcc_lo
	v_or_b32_e32 v60, 0x400000, v59
	v_bfe_u32 v62, v33, 16, 1
	v_mul_f32_e32 v58, v3, v58
	v_cmp_u_f32_e32 vcc_lo, v59, v59
	v_mul_f32_e32 v59, v8, v61
	v_or_b32_e32 v61, 0x400000, v33
	v_and_b32_e32 v0, 0xffff0000, v0
	v_and_b32_e32 v34, 0xffff0000, v34
	v_cndmask_b32_e32 v35, v35, v60, vcc_lo
	v_add3_u32 v60, v62, v33, 0x7fff
	v_bfe_u32 v62, v58, 16, 1
	v_bfe_u32 v64, v59, 16, 1
	v_cmp_u_f32_e32 vcc_lo, v33, v33
	v_or_b32_e32 v68, 0x400000, v59
	v_and_b32_e32 v35, 0xffff0000, v35
	v_add_f32_e32 v0, v0, v34
	v_mul_f32_e32 v8, v8, v15
	v_cndmask_b32_e32 v33, v60, v61, vcc_lo
	v_add3_u32 v60, v62, v58, 0x7fff
	v_mul_f32_e32 v61, v4, v63
	v_or_b32_e32 v62, 0x400000, v58
	v_add3_u32 v63, v64, v59, 0x7fff
	v_lshlrev_b32_e32 v64, 16, v70
	v_cmp_u_f32_e32 vcc_lo, v58, v58
	v_bfe_u32 v69, v61, 16, 1
	v_and_b32_e32 v33, 0xffff0000, v33
	v_mul_f32_e32 v3, v3, v9
	v_lshlrev_b32_e32 v9, 16, v18
	v_cndmask_b32_e32 v58, v60, v62, vcc_lo
	v_mul_f32_e32 v60, v6, v64
	v_cmp_u_f32_e32 vcc_lo, v59, v59
	v_add3_u32 v62, v69, v61, 0x7fff
	v_add_f32_e32 v33, v33, v35
	v_and_b32_e32 v35, 0xffff0000, v58
	v_bfe_u32 v64, v60, 16, 1
	v_cndmask_b32_e32 v59, v63, v68, vcc_lo
	v_or_b32_e32 v63, 0x400000, v61
	v_cmp_u_f32_e32 vcc_lo, v61, v61
	v_lshlrev_b32_e32 v58, 16, v67
	v_add_f32_e32 v0, v33, v0
	v_and_b32_e32 v34, 0xffff0000, v59
	v_mul_f32_e32 v6, v6, v9
	v_cndmask_b32_e32 v61, v62, v63, vcc_lo
	v_add3_u32 v62, v64, v60, 0x7fff
	v_or_b32_e32 v63, 0x400000, v60
	v_cmp_u_f32_e32 vcc_lo, v60, v60
	v_lshlrev_b32_e32 v60, 16, v66
	v_add_f32_e32 v33, v34, v35
	v_mul_f32_e32 v34, v1, v58
	v_and_b32_e32 v58, 0xffff0000, v61
	v_cndmask_b32_e32 v59, v62, v63, vcc_lo
	v_lshlrev_b32_e32 v63, 16, v65
	v_mul_f32_e32 v4, v4, v17
	v_bfe_u32 v61, v34, 16, 1
	v_cmp_u_f32_e32 vcc_lo, v34, v34
	v_and_b32_e32 v35, 0xffff0000, v59
	v_mul_f32_e32 v59, v5, v60
	v_lshlrev_b32_e32 v60, 16, v56
	v_add_f32_e32 v56, v33, v0
	v_or_b32_e32 v9, 0x400000, v8
	v_add_f32_e32 v58, v35, v58
	v_bfe_u32 v0, v59, 16, 1
	v_mul_f32_e32 v33, v2, v60
	v_add3_u32 v35, v61, v34, 0x7fff
	v_or_b32_e32 v60, 0x400000, v34
	v_or_b32_e32 v61, 0x400000, v59
	v_add3_u32 v0, v0, v59, 0x7fff
	v_bfe_u32 v62, v33, 16, 1
	v_or_b32_e32 v17, 0x400000, v3
	v_cndmask_b32_e32 v34, v35, v60, vcc_lo
	v_cmp_u_f32_e32 vcc_lo, v59, v59
	v_mul_f32_e32 v35, v7, v63
	v_add3_u32 v59, v62, v33, 0x7fff
	v_or_b32_e32 v60, 0x400000, v33
	v_bfe_u32 v62, v54, 16, 1
	v_cndmask_b32_e32 v0, v0, v61, vcc_lo
	v_bfe_u32 v61, v35, 16, 1
	v_cmp_u_f32_e32 vcc_lo, v33, v33
	v_bfe_u32 v63, v57, 16, 1
	v_and_b32_e32 v34, 0xffff0000, v34
	v_and_b32_e32 v0, 0xffff0000, v0
	v_mul_f32_e32 v7, v7, v19
	v_cndmask_b32_e32 v33, v59, v60, vcc_lo
	v_add3_u32 v59, v61, v35, 0x7fff
	v_or_b32_e32 v60, 0x400000, v35
	v_bfe_u32 v61, v53, 16, 1
	v_cmp_u_f32_e32 vcc_lo, v35, v35
	v_and_b32_e32 v33, 0xffff0000, v33
	v_add_f32_e32 v0, v0, v34
	v_bfe_u32 v18, v6, 16, 1
	v_cndmask_b32_e32 v35, v59, v60, vcc_lo
	v_add3_u32 v59, v61, v53, 0x7fff
	v_or_b32_e32 v60, 0x400000, v53
	v_cmp_u_f32_e32 vcc_lo, v53, v53
	v_add3_u32 v61, v62, v54, 0x7fff
	v_or_b32_e32 v62, 0x400000, v54
	v_and_b32_e32 v35, 0xffff0000, v35
	v_cndmask_b32_e32 v53, v59, v60, vcc_lo
	v_cmp_u_f32_e32 vcc_lo, v54, v54
	v_add3_u32 v59, v63, v57, 0x7fff
	v_or_b32_e32 v60, 0x400000, v57
	v_add_f32_e32 v33, v35, v33
	v_lshlrev_b32_e32 v35, 16, v51
	v_cndmask_b32_e32 v54, v61, v62, vcc_lo
	v_cmp_u_f32_e32 vcc_lo, v57, v57
	v_and_b32_e32 v51, 0xffff0000, v53
	v_add_f32_e32 v0, v33, v0
	v_mul_f32_e32 v33, v1, v35
	v_and_b32_e32 v34, 0xffff0000, v54
	v_cndmask_b32_e32 v57, v59, v60, vcc_lo
	v_bfe_u32 v59, v55, 16, 1
	v_or_b32_e32 v54, 0x400000, v55
	v_cmp_u_f32_e32 vcc_lo, v55, v55
	v_add_f32_e32 v34, v34, v51
	v_bfe_u32 v51, v33, 16, 1
	v_add3_u32 v53, v59, v55, 0x7fff
	v_add_f32_e32 v0, v34, v0
	v_lshlrev_b32_e32 v34, 16, v47
	v_mul_f32_e32 v47, v5, v50
	v_cndmask_b32_e32 v35, v53, v54, vcc_lo
	v_add3_u32 v50, v51, v33, 0x7fff
	v_or_b32_e32 v51, 0x400000, v33
	v_mul_f32_e32 v34, v2, v34
	v_bfe_u32 v54, v47, 16, 1
	v_cmp_u_f32_e32 vcc_lo, v33, v33
	v_mul_f32_e32 v2, v2, v16
	v_and_b32_e32 v35, 0xffff0000, v35
	v_or_b32_e32 v55, 0x400000, v34
	v_and_b32_e32 v53, 0xffff0000, v57
	v_cndmask_b32_e32 v33, v50, v51, vcc_lo
	v_bfe_u32 v50, v34, 16, 1
	v_add3_u32 v51, v54, v47, 0x7fff
	v_or_b32_e32 v54, 0x400000, v47
	v_cmp_u_f32_e32 vcc_lo, v47, v47
	v_and_b32_e32 v33, 0xffff0000, v33
	v_add3_u32 v50, v50, v34, 0x7fff
	v_cndmask_b32_e32 v47, v51, v54, vcc_lo
	v_bfe_u32 v51, v49, 16, 1
	v_cmp_u_f32_e32 vcc_lo, v34, v34
	v_or_b32_e32 v54, 0x400000, v49
	v_and_b32_e32 v47, 0xffff0000, v47
	v_add3_u32 v51, v51, v49, 0x7fff
	v_cndmask_b32_e32 v34, v50, v55, vcc_lo
	v_bfe_u32 v50, v45, 16, 1
	v_cmp_u_f32_e32 vcc_lo, v49, v49
	v_or_b32_e32 v55, 0x400000, v45
	v_add_f32_e32 v33, v47, v33
	v_and_b32_e32 v34, 0xffff0000, v34
	v_add3_u32 v50, v50, v45, 0x7fff
	v_cndmask_b32_e32 v49, v51, v54, vcc_lo
	v_bfe_u32 v51, v44, 16, 1
	v_cmp_u_f32_e32 vcc_lo, v45, v45
	v_bfe_u32 v54, v48, 16, 1
	v_lshlrev_b32_e32 v47, 16, v101
	v_and_b32_e32 v49, 0xffff0000, v49
	v_cndmask_b32_e32 v45, v50, v55, vcc_lo
	v_add3_u32 v50, v51, v44, 0x7fff
	v_or_b32_e32 v51, 0x400000, v44
	v_cmp_u_f32_e32 vcc_lo, v44, v44
	v_add3_u32 v54, v54, v48, 0x7fff
	v_or_b32_e32 v55, 0x400000, v48
	v_add_f32_e32 v34, v49, v34
	v_and_b32_e32 v45, 0xffff0000, v45
	v_cndmask_b32_e32 v44, v50, v51, vcc_lo
	v_cmp_u_f32_e32 vcc_lo, v48, v48
	v_bfe_u32 v50, v46, 16, 1
	v_or_b32_e32 v51, 0x400000, v46
	v_add_f32_e32 v33, v34, v33
	v_and_b32_e32 v44, 0xffff0000, v44
	v_cndmask_b32_e32 v48, v54, v55, vcc_lo
	v_lshlrev_b32_e32 v54, 16, v102
	v_add3_u32 v50, v50, v46, 0x7fff
	v_cmp_u_f32_e32 vcc_lo, v46, v46
	v_mul_f32_e32 v1, v1, v47
	v_add_f32_e32 v44, v44, v45
	v_mul_f32_e32 v5, v5, v54
	v_cndmask_b32_e32 v46, v50, v51, vcc_lo
	v_bfe_u32 v47, v1, 16, 1
	v_bfe_u32 v34, v5, 16, 1
	v_cmp_u_f32_e32 vcc_lo, v5, v5
	v_and_b32_e32 v45, 0xffff0000, v46
	v_or_b32_e32 v46, 0x400000, v5
	v_add3_u32 v19, v47, v1, 0x7fff
	v_add3_u32 v34, v34, v5, 0x7fff
	v_cndmask_b32_e32 v5, v34, v46, vcc_lo
	v_or_b32_e32 v34, 0x400000, v1
	v_bfe_u32 v46, v7, 16, 1
	v_cmp_u_f32_e32 vcc_lo, v1, v1
	v_and_b32_e32 v5, 0xffff0000, v5
	v_add3_u32 v16, v46, v7, 0x7fff
	v_cndmask_b32_e32 v1, v19, v34, vcc_lo
	v_or_b32_e32 v19, 0x400000, v7
	v_bfe_u32 v34, v2, 16, 1
	v_cmp_u_f32_e32 vcc_lo, v7, v7
	v_and_b32_e32 v1, 0xffff0000, v1
	v_add3_u32 v15, v34, v2, 0x7fff
	v_cndmask_b32_e32 v7, v16, v19, vcc_lo
	v_or_b32_e32 v16, 0x400000, v2
	v_bfe_u32 v19, v8, 16, 1
	v_cmp_u_f32_e32 vcc_lo, v2, v2
	v_add_f32_e32 v1, v5, v1
	v_and_b32_e32 v7, 0xffff0000, v7
	v_cndmask_b32_e32 v2, v15, v16, vcc_lo
	v_bfe_u32 v15, v3, 16, 1
	v_add3_u32 v16, v19, v8, 0x7fff
	v_cmp_u_f32_e32 vcc_lo, v8, v8
	v_bfe_u32 v19, v4, 16, 1
	v_and_b32_e32 v2, 0xffff0000, v2
	v_add3_u32 v15, v15, v3, 0x7fff
	v_cndmask_b32_e32 v8, v16, v9, vcc_lo
	v_cmp_u_f32_e32 vcc_lo, v3, v3
	v_or_b32_e32 v16, 0x400000, v4
	v_add3_u32 v9, v18, v6, 0x7fff
	v_add_f32_e32 v2, v7, v2
	v_and_b32_e32 v5, 0xffff0000, v8
	v_cndmask_b32_e32 v3, v15, v17, vcc_lo
	v_add3_u32 v15, v19, v4, 0x7fff
	v_cmp_u_f32_e32 vcc_lo, v4, v4
	v_or_b32_e32 v17, 0x400000, v6
	v_and_b32_e32 v7, 0xffff0000, v48
	v_and_b32_e32 v3, 0xffff0000, v3
	v_add_f32_e32 v1, v2, v1
	v_cndmask_b32_e32 v4, v15, v16, vcc_lo
	v_cmp_u_f32_e32 vcc_lo, v6, v6
	v_add_f32_e32 v7, v45, v7
	v_add_f32_e32 v2, v5, v3
	;; [unrolled: 1-line block ×3, first 2 shown]
	v_and_b32_e32 v3, 0xffff0000, v4
	v_cndmask_b32_e32 v6, v9, v17, vcc_lo
	v_add_f32_e32 v1, v2, v1
	v_add_f32_e32 v0, v5, v0
	v_and_b32_e32 v4, 0xffff0000, v6
	v_add_f32_e32 v6, v44, v33
	v_add_f32_e32 v29, v29, v0
	;; [unrolled: 1-line block ×11, first 2 shown]
.LBB328_550:                            ;   in Loop: Header=BB328_551 Depth=1
	s_or_b32 exec_lo, exec_lo, s21
	v_add_nc_u32_e32 v43, 4, v43
	v_add_co_u32 v13, s1, v13, 16
	v_add_co_ci_u32_e64 v14, null, 0, v14, s1
	v_cmp_le_i32_e32 vcc_lo, s20, v43
	v_add_nc_u32_e32 v36, 64, v36
	v_add_nc_u32_e32 v41, 0x100, v41
	s_or_b32 s18, vcc_lo, s18
	s_andn2_b32 exec_lo, exec_lo, s18
	s_cbranch_execz .LBB328_1048
.LBB328_551:                            ; =>This Inner Loop Header: Depth=1
	v_mul_hi_u32 v0, v36, s19
	v_mul_lo_u32 v1, v0, s16
	v_add_nc_u32_e32 v2, 1, v0
	v_sub_nc_u32_e32 v1, v36, v1
	v_subrev_nc_u32_e32 v3, s16, v1
	v_cmp_le_u32_e32 vcc_lo, s16, v1
	v_cndmask_b32_e32 v0, v0, v2, vcc_lo
	v_cndmask_b32_e32 v1, v1, v3, vcc_lo
	v_add_nc_u32_e32 v2, 1, v0
	v_cmp_le_u32_e32 vcc_lo, s16, v1
	v_cndmask_b32_e32 v0, v0, v2, vcc_lo
	v_xor_b32_e32 v0, s23, v0
	v_subrev_nc_u32_e32 v0, s23, v0
	v_add_nc_u32_e32 v1, s25, v0
	v_cmp_lt_i32_e64 s1, s5, v0
	v_sub_nc_u32_e32 v2, 0, v1
	v_max_i32_e32 v2, v1, v2
	v_ashrrev_i32_e32 v1, 31, v1
	v_mul_hi_u32 v3, v2, v42
	v_mul_lo_u32 v3, v3, s12
	v_sub_nc_u32_e32 v2, v2, v3
	v_subrev_nc_u32_e32 v3, s12, v2
	v_cmp_le_u32_e32 vcc_lo, s12, v2
	v_cndmask_b32_e32 v2, v2, v3, vcc_lo
	v_subrev_nc_u32_e32 v3, s12, v2
	v_cmp_le_u32_e32 vcc_lo, s12, v2
	v_cndmask_b32_e32 v2, v2, v3, vcc_lo
	v_xor_b32_e32 v2, v2, v1
	v_sub_nc_u32_e32 v1, v2, v1
	v_cmp_eq_u32_e32 vcc_lo, 0, v1
	s_or_b32 s1, vcc_lo, s1
	s_and_saveexec_b32 s21, s1
	s_cbranch_execz .LBB328_550
; %bb.552:                              ;   in Loop: Header=BB328_551 Depth=1
	global_load_dword v0, v[13:14], off
	v_mov_b32_e32 v44, 0
	v_mov_b32_e32 v46, 0
	s_waitcnt vmcnt(0)
	v_mad_i64_i32 v[15:16], null, v0, s13, v[11:12]
	global_load_dwordx2 v[17:18], v[15:16], off
	ds_read2_b64 v[5:8], v41 offset1:1
	ds_read2_b64 v[1:4], v41 offset0:2 offset1:3
	s_load_dword s22, s[14:15], 0x0
	s_waitcnt vmcnt(0)
	v_cmp_ne_u16_sdwa s26, v17, v10 src0_sel:BYTE_0 src1_sel:DWORD
	s_and_saveexec_b32 s1, s26
	s_cbranch_execz .LBB328_558
; %bb.553:                              ;   in Loop: Header=BB328_551 Depth=1
	v_cmp_ne_u16_sdwa s27, v17, v32 src0_sel:BYTE_0 src1_sel:DWORD
	v_bfrev_b32_e32 v46, 1
	s_and_saveexec_b32 s26, s27
	s_cbranch_execz .LBB328_557
; %bb.554:                              ;   in Loop: Header=BB328_551 Depth=1
	v_and_b32_e32 v9, 0x7f, v17
	v_mov_b32_e32 v46, 0x7f800001
	s_mov_b32 s27, exec_lo
	v_cmpx_ne_u32_e32 0x7f, v9
	s_cbranch_execz .LBB328_556
; %bb.555:                              ;   in Loop: Header=BB328_551 Depth=1
	v_and_b32_e32 v0, 7, v17
	v_cmp_gt_u32_e32 vcc_lo, 8, v9
	v_lshrrev_b32_e32 v19, 3, v9
	v_ffbh_u32_e32 v0, v0
	v_min_u32_e32 v0, 32, v0
	v_subrev_nc_u32_e32 v20, 28, v0
	v_sub_nc_u32_e32 v0, 29, v0
	v_cndmask_b32_e32 v9, 0, v20, vcc_lo
	v_cndmask_b32_e32 v0, v19, v0, vcc_lo
	v_lshlrev_b64 v[19:20], v9, v[17:18]
	v_lshlrev_b32_e32 v9, 24, v17
	v_lshl_add_u32 v0, v0, 23, 0x3c000000
	v_and_b32_e32 v9, 0x80000000, v9
	v_lshlrev_b32_e32 v19, 20, v19
	v_and_b32_e32 v19, 0x700000, v19
	v_or3_b32 v46, v19, v9, v0
.LBB328_556:                            ;   in Loop: Header=BB328_551 Depth=1
	s_or_b32 exec_lo, exec_lo, s27
.LBB328_557:                            ;   in Loop: Header=BB328_551 Depth=1
	s_or_b32 exec_lo, exec_lo, s26
.LBB328_558:                            ;   in Loop: Header=BB328_551 Depth=1
	s_or_b32 exec_lo, exec_lo, s1
	v_cmp_ne_u16_sdwa s26, v17, v10 src0_sel:BYTE_1 src1_sel:DWORD
	s_and_saveexec_b32 s1, s26
	s_cbranch_execz .LBB328_566
; %bb.559:                              ;   in Loop: Header=BB328_551 Depth=1
	v_cmp_ne_u16_sdwa s27, v17, v32 src0_sel:BYTE_1 src1_sel:DWORD
	v_bfrev_b32_e32 v44, 1
	s_and_saveexec_b32 s26, s27
	s_cbranch_execz .LBB328_565
; %bb.560:                              ;   in Loop: Header=BB328_551 Depth=1
	v_and_b32_sdwa v9, v37, v17 dst_sel:DWORD dst_unused:UNUSED_PAD src0_sel:DWORD src1_sel:BYTE_1
	v_mov_b32_e32 v44, 0x7f800001
	s_mov_b32 s27, exec_lo
	v_and_b32_e32 v20, 0x7f, v9
	v_cmpx_ne_u32_e32 0x7f, v20
	s_cbranch_execz .LBB328_564
; %bb.561:                              ;   in Loop: Header=BB328_551 Depth=1
	v_and_b32_e32 v9, 7, v9
	v_lshrrev_b32_e32 v19, 3, v20
	s_mov_b32 s28, exec_lo
	v_cmpx_gt_u32_e32 8, v20
; %bb.562:                              ;   in Loop: Header=BB328_551 Depth=1
	v_ffbh_u32_e32 v0, v9
	v_min_u32_e32 v0, 32, v0
	v_subrev_nc_u32_e32 v19, 28, v0
	v_lshlrev_b64 v[33:34], v19, v[9:10]
	v_sub_nc_u32_e32 v19, 29, v0
	v_and_b32_e32 v9, 7, v33
; %bb.563:                              ;   in Loop: Header=BB328_551 Depth=1
	s_or_b32 exec_lo, exec_lo, s28
	v_lshlrev_b32_e32 v0, 16, v17
	v_lshlrev_b32_e32 v9, 20, v9
	v_lshl_add_u32 v19, v19, 23, 0x3c000000
	v_and_b32_e32 v0, 0x80000000, v0
	v_or3_b32 v44, v9, v0, v19
.LBB328_564:                            ;   in Loop: Header=BB328_551 Depth=1
	s_or_b32 exec_lo, exec_lo, s27
.LBB328_565:                            ;   in Loop: Header=BB328_551 Depth=1
	s_or_b32 exec_lo, exec_lo, s26
.LBB328_566:                            ;   in Loop: Header=BB328_551 Depth=1
	s_or_b32 exec_lo, exec_lo, s1
	v_and_b32_sdwa v9, v17, v38 dst_sel:DWORD dst_unused:UNUSED_PAD src0_sel:WORD_1 src1_sel:DWORD
	v_mov_b32_e32 v47, 0
	v_mov_b32_e32 v45, 0
	s_mov_b32 s1, exec_lo
	v_cmpx_ne_u16_e32 0, v9
	s_cbranch_execz .LBB328_574
; %bb.567:                              ;   in Loop: Header=BB328_551 Depth=1
	v_bfrev_b32_e32 v45, 1
	s_mov_b32 s26, exec_lo
	v_cmpx_ne_u16_e32 0x80, v9
	s_cbranch_execz .LBB328_573
; %bb.568:                              ;   in Loop: Header=BB328_551 Depth=1
	v_bfe_u32 v20, v17, 16, 7
	v_mov_b32_e32 v45, 0x7f800001
	s_mov_b32 s27, exec_lo
	v_cmpx_ne_u32_e32 0x7f, v20
	s_cbranch_execz .LBB328_572
; %bb.569:                              ;   in Loop: Header=BB328_551 Depth=1
	v_and_b32_sdwa v9, v17, v39 dst_sel:DWORD dst_unused:UNUSED_PAD src0_sel:WORD_1 src1_sel:DWORD
	v_lshrrev_b32_e32 v19, 3, v20
	s_mov_b32 s28, exec_lo
	v_cmpx_gt_u32_e32 8, v20
; %bb.570:                              ;   in Loop: Header=BB328_551 Depth=1
	v_ffbh_u32_e32 v0, v9
	v_min_u32_e32 v0, 32, v0
	v_subrev_nc_u32_e32 v19, 28, v0
	v_lshlrev_b64 v[33:34], v19, v[9:10]
	v_sub_nc_u32_e32 v19, 29, v0
	v_and_b32_e32 v9, 7, v33
; %bb.571:                              ;   in Loop: Header=BB328_551 Depth=1
	s_or_b32 exec_lo, exec_lo, s28
	v_lshlrev_b32_sdwa v0, v40, v17 dst_sel:DWORD dst_unused:UNUSED_PAD src0_sel:DWORD src1_sel:WORD_1
	v_lshlrev_b32_e32 v9, 20, v9
	v_lshl_add_u32 v19, v19, 23, 0x3c000000
	v_and_b32_e32 v0, 0x80000000, v0
	v_or3_b32 v45, v9, v0, v19
.LBB328_572:                            ;   in Loop: Header=BB328_551 Depth=1
	s_or_b32 exec_lo, exec_lo, s27
.LBB328_573:                            ;   in Loop: Header=BB328_551 Depth=1
	s_or_b32 exec_lo, exec_lo, s26
.LBB328_574:                            ;   in Loop: Header=BB328_551 Depth=1
	s_or_b32 exec_lo, exec_lo, s1
	s_mov_b32 s1, exec_lo
	v_cmpx_lt_u32_e32 0xffffff, v17
	s_cbranch_execz .LBB328_582
; %bb.575:                              ;   in Loop: Header=BB328_551 Depth=1
	v_cmp_ne_u32_sdwa s27, v17, v32 src0_sel:BYTE_3 src1_sel:DWORD
	v_bfrev_b32_e32 v47, 1
	s_and_saveexec_b32 s26, s27
	s_cbranch_execz .LBB328_581
; %bb.576:                              ;   in Loop: Header=BB328_551 Depth=1
	v_bfe_u32 v20, v17, 24, 7
	v_mov_b32_e32 v47, 0x7f800001
	s_mov_b32 s27, exec_lo
	v_cmpx_ne_u32_e32 0x7f, v20
	s_cbranch_execz .LBB328_580
; %bb.577:                              ;   in Loop: Header=BB328_551 Depth=1
	v_and_b32_sdwa v9, v17, v39 dst_sel:DWORD dst_unused:UNUSED_PAD src0_sel:BYTE_3 src1_sel:DWORD
	v_lshrrev_b32_e32 v19, 3, v20
	s_mov_b32 s28, exec_lo
	v_cmpx_gt_u32_e32 8, v20
; %bb.578:                              ;   in Loop: Header=BB328_551 Depth=1
	v_ffbh_u32_e32 v0, v9
	v_min_u32_e32 v0, 32, v0
	v_subrev_nc_u32_e32 v19, 28, v0
	v_lshlrev_b64 v[33:34], v19, v[9:10]
	v_sub_nc_u32_e32 v19, 29, v0
	v_and_b32_e32 v9, 7, v33
; %bb.579:                              ;   in Loop: Header=BB328_551 Depth=1
	s_or_b32 exec_lo, exec_lo, s28
	v_lshlrev_b32_sdwa v0, v40, v17 dst_sel:DWORD dst_unused:UNUSED_PAD src0_sel:DWORD src1_sel:BYTE_3
	v_lshlrev_b32_e32 v9, 20, v9
	v_lshl_add_u32 v19, v19, 23, 0x3c000000
	v_and_b32_e32 v0, 0x80000000, v0
	v_or3_b32 v47, v9, v0, v19
.LBB328_580:                            ;   in Loop: Header=BB328_551 Depth=1
	s_or_b32 exec_lo, exec_lo, s27
.LBB328_581:                            ;   in Loop: Header=BB328_551 Depth=1
	s_or_b32 exec_lo, exec_lo, s26
.LBB328_582:                            ;   in Loop: Header=BB328_551 Depth=1
	s_or_b32 exec_lo, exec_lo, s1
	v_mov_b32_e32 v9, v18
	v_cmp_ne_u16_sdwa s26, v18, v10 src0_sel:BYTE_0 src1_sel:DWORD
	v_mov_b32_e32 v19, 0
	v_mov_b32_e32 v33, 0
	s_and_saveexec_b32 s1, s26
	s_cbranch_execz .LBB328_588
; %bb.583:                              ;   in Loop: Header=BB328_551 Depth=1
	v_cmp_ne_u16_sdwa s27, v18, v32 src0_sel:BYTE_0 src1_sel:DWORD
	v_bfrev_b32_e32 v33, 1
	s_and_saveexec_b32 s26, s27
	s_cbranch_execz .LBB328_587
; %bb.584:                              ;   in Loop: Header=BB328_551 Depth=1
	v_and_b32_e32 v20, 0x7f, v18
	v_mov_b32_e32 v33, 0x7f800001
	s_mov_b32 s27, exec_lo
	v_cmpx_ne_u32_e32 0x7f, v20
	s_cbranch_execz .LBB328_586
; %bb.585:                              ;   in Loop: Header=BB328_551 Depth=1
	v_and_b32_e32 v0, 7, v18
	v_cmp_gt_u32_e32 vcc_lo, 8, v20
	v_lshrrev_b32_e32 v33, 3, v20
	v_ffbh_u32_e32 v0, v0
	v_min_u32_e32 v0, 32, v0
	v_subrev_nc_u32_e32 v34, 28, v0
	v_sub_nc_u32_e32 v0, 29, v0
	v_cndmask_b32_e32 v20, 0, v34, vcc_lo
	v_cndmask_b32_e32 v0, v33, v0, vcc_lo
	v_lshlrev_b64 v[33:34], v20, v[9:10]
	v_lshlrev_b32_e32 v20, 24, v9
	v_lshl_add_u32 v0, v0, 23, 0x3c000000
	v_and_b32_e32 v20, 0x80000000, v20
	v_lshlrev_b32_e32 v33, 20, v33
	v_and_b32_e32 v33, 0x700000, v33
	v_or3_b32 v33, v33, v20, v0
.LBB328_586:                            ;   in Loop: Header=BB328_551 Depth=1
	s_or_b32 exec_lo, exec_lo, s27
.LBB328_587:                            ;   in Loop: Header=BB328_551 Depth=1
	s_or_b32 exec_lo, exec_lo, s26
.LBB328_588:                            ;   in Loop: Header=BB328_551 Depth=1
	s_or_b32 exec_lo, exec_lo, s1
	v_cmp_ne_u16_sdwa s26, v9, v10 src0_sel:BYTE_1 src1_sel:DWORD
	s_and_saveexec_b32 s1, s26
	s_cbranch_execz .LBB328_596
; %bb.589:                              ;   in Loop: Header=BB328_551 Depth=1
	v_cmp_ne_u16_sdwa s27, v9, v32 src0_sel:BYTE_1 src1_sel:DWORD
	v_bfrev_b32_e32 v19, 1
	s_and_saveexec_b32 s26, s27
	s_cbranch_execz .LBB328_595
; %bb.590:                              ;   in Loop: Header=BB328_551 Depth=1
	v_and_b32_sdwa v20, v37, v9 dst_sel:DWORD dst_unused:UNUSED_PAD src0_sel:DWORD src1_sel:BYTE_1
	v_mov_b32_e32 v19, 0x7f800001
	s_mov_b32 s27, exec_lo
	v_and_b32_e32 v48, 0x7f, v20
	v_cmpx_ne_u32_e32 0x7f, v48
	s_cbranch_execz .LBB328_594
; %bb.591:                              ;   in Loop: Header=BB328_551 Depth=1
	v_and_b32_e32 v19, 7, v20
	v_mov_b32_e32 v20, v10
	v_lshrrev_b32_e32 v34, 3, v48
	s_mov_b32 s28, exec_lo
	v_cmpx_gt_u32_e32 8, v48
; %bb.592:                              ;   in Loop: Header=BB328_551 Depth=1
	v_ffbh_u32_e32 v0, v19
	v_min_u32_e32 v0, 32, v0
	v_subrev_nc_u32_e32 v34, 28, v0
	v_lshlrev_b64 v[19:20], v34, v[19:20]
	v_sub_nc_u32_e32 v34, 29, v0
	v_and_b32_e32 v19, 7, v19
; %bb.593:                              ;   in Loop: Header=BB328_551 Depth=1
	s_or_b32 exec_lo, exec_lo, s28
	v_lshlrev_b32_e32 v0, 16, v9
	v_lshlrev_b32_e32 v9, 20, v19
	v_lshl_add_u32 v19, v34, 23, 0x3c000000
	v_and_b32_e32 v0, 0x80000000, v0
	v_or3_b32 v19, v9, v0, v19
.LBB328_594:                            ;   in Loop: Header=BB328_551 Depth=1
	s_or_b32 exec_lo, exec_lo, s27
.LBB328_595:                            ;   in Loop: Header=BB328_551 Depth=1
	s_or_b32 exec_lo, exec_lo, s26
.LBB328_596:                            ;   in Loop: Header=BB328_551 Depth=1
	s_or_b32 exec_lo, exec_lo, s1
	v_and_b32_sdwa v9, v18, v38 dst_sel:DWORD dst_unused:UNUSED_PAD src0_sel:WORD_1 src1_sel:DWORD
	v_mov_b32_e32 v20, 0
	v_mov_b32_e32 v34, 0
	s_mov_b32 s1, exec_lo
	v_cmpx_ne_u16_e32 0, v9
	s_cbranch_execz .LBB328_604
; %bb.597:                              ;   in Loop: Header=BB328_551 Depth=1
	v_bfrev_b32_e32 v34, 1
	s_mov_b32 s26, exec_lo
	v_cmpx_ne_u16_e32 0x80, v9
	s_cbranch_execz .LBB328_603
; %bb.598:                              ;   in Loop: Header=BB328_551 Depth=1
	v_bfe_u32 v48, v18, 16, 7
	v_mov_b32_e32 v34, 0x7f800001
	s_mov_b32 s27, exec_lo
	v_cmpx_ne_u32_e32 0x7f, v48
	s_cbranch_execz .LBB328_602
; %bb.599:                              ;   in Loop: Header=BB328_551 Depth=1
	v_and_b32_sdwa v9, v18, v39 dst_sel:DWORD dst_unused:UNUSED_PAD src0_sel:WORD_1 src1_sel:DWORD
	v_lshrrev_b32_e32 v34, 3, v48
	s_mov_b32 s28, exec_lo
	v_cmpx_gt_u32_e32 8, v48
; %bb.600:                              ;   in Loop: Header=BB328_551 Depth=1
	v_ffbh_u32_e32 v0, v9
	v_min_u32_e32 v0, 32, v0
	v_subrev_nc_u32_e32 v34, 28, v0
	v_lshlrev_b64 v[48:49], v34, v[9:10]
	v_sub_nc_u32_e32 v34, 29, v0
	v_and_b32_e32 v9, 7, v48
; %bb.601:                              ;   in Loop: Header=BB328_551 Depth=1
	s_or_b32 exec_lo, exec_lo, s28
	v_lshlrev_b32_sdwa v0, v40, v18 dst_sel:DWORD dst_unused:UNUSED_PAD src0_sel:DWORD src1_sel:WORD_1
	v_lshlrev_b32_e32 v9, 20, v9
	v_lshl_add_u32 v34, v34, 23, 0x3c000000
	v_and_b32_e32 v0, 0x80000000, v0
	v_or3_b32 v34, v9, v0, v34
.LBB328_602:                            ;   in Loop: Header=BB328_551 Depth=1
	s_or_b32 exec_lo, exec_lo, s27
.LBB328_603:                            ;   in Loop: Header=BB328_551 Depth=1
	s_or_b32 exec_lo, exec_lo, s26
.LBB328_604:                            ;   in Loop: Header=BB328_551 Depth=1
	s_or_b32 exec_lo, exec_lo, s1
	s_mov_b32 s1, exec_lo
	v_cmpx_lt_u64_e64 s[2:3], v[17:18]
	s_cbranch_execz .LBB328_612
; %bb.605:                              ;   in Loop: Header=BB328_551 Depth=1
	v_cmp_ne_u32_sdwa s27, v18, v32 src0_sel:BYTE_3 src1_sel:DWORD
	v_bfrev_b32_e32 v20, 1
	s_and_saveexec_b32 s26, s27
	s_cbranch_execz .LBB328_611
; %bb.606:                              ;   in Loop: Header=BB328_551 Depth=1
	v_bfe_u32 v48, v18, 24, 7
	v_mov_b32_e32 v20, 0x7f800001
	s_mov_b32 s27, exec_lo
	v_cmpx_ne_u32_e32 0x7f, v48
	s_cbranch_execz .LBB328_610
; %bb.607:                              ;   in Loop: Header=BB328_551 Depth=1
	v_and_b32_sdwa v9, v18, v39 dst_sel:DWORD dst_unused:UNUSED_PAD src0_sel:BYTE_3 src1_sel:DWORD
	v_lshrrev_b32_e32 v17, 3, v48
	s_mov_b32 s28, exec_lo
	v_cmpx_gt_u32_e32 8, v48
; %bb.608:                              ;   in Loop: Header=BB328_551 Depth=1
	v_ffbh_u32_e32 v0, v9
	v_min_u32_e32 v0, 32, v0
	v_subrev_nc_u32_e32 v17, 28, v0
	v_lshlrev_b64 v[48:49], v17, v[9:10]
	v_sub_nc_u32_e32 v17, 29, v0
	v_and_b32_e32 v9, 7, v48
; %bb.609:                              ;   in Loop: Header=BB328_551 Depth=1
	s_or_b32 exec_lo, exec_lo, s28
	v_lshlrev_b32_sdwa v0, v40, v18 dst_sel:DWORD dst_unused:UNUSED_PAD src0_sel:DWORD src1_sel:BYTE_3
	v_lshlrev_b32_e32 v9, 20, v9
	v_lshl_add_u32 v17, v17, 23, 0x3c000000
	v_and_b32_e32 v0, 0x80000000, v0
	v_or3_b32 v20, v9, v0, v17
.LBB328_610:                            ;   in Loop: Header=BB328_551 Depth=1
	s_or_b32 exec_lo, exec_lo, s27
.LBB328_611:                            ;   in Loop: Header=BB328_551 Depth=1
	s_or_b32 exec_lo, exec_lo, s26
.LBB328_612:                            ;   in Loop: Header=BB328_551 Depth=1
	s_or_b32 exec_lo, exec_lo, s1
	s_waitcnt lgkmcnt(0)
	v_mul_f32_e32 v0, s22, v19
	v_mul_f32_e32 v9, s22, v33
	;; [unrolled: 1-line block ×5, first 2 shown]
	v_bfe_u32 v18, v0, 16, 1
	v_or_b32_e32 v33, 0x400000, v0
	v_bfe_u32 v35, v9, 16, 1
	v_cmp_u_f32_e64 s1, v0, v0
	v_or_b32_e32 v45, 0x400000, v9
	v_add3_u32 v18, v18, v0, 0x7fff
	v_bfe_u32 v47, v17, 16, 1
	v_add3_u32 v35, v35, v9, 0x7fff
	v_or_b32_e32 v48, 0x400000, v17
	v_add_nc_u32_e32 v52, v31, v36
	v_cndmask_b32_e64 v0, v18, v33, s1
	v_cmp_u_f32_e64 s1, v9, v9
	v_bfe_u32 v18, v19, 16, 1
	v_add3_u32 v33, v47, v17, 0x7fff
	v_cmp_eq_u32_e32 vcc_lo, s17, v43
	v_add_nc_u32_e32 v64, 1, v52
	v_cndmask_b32_e64 v9, v35, v45, s1
	v_cmp_u_f32_e64 s1, v17, v17
	v_lshrrev_b32_e32 v45, 16, v0
	v_mul_f32_e32 v17, s22, v44
	v_add3_u32 v18, v18, v19, 0x7fff
	v_lshrrev_b32_e32 v44, 16, v9
	v_cndmask_b32_e64 v0, v33, v48, s1
	v_or_b32_e32 v33, 0x400000, v19
	v_cmp_u_f32_e64 s1, v19, v19
	v_mul_f32_e32 v19, s22, v34
	v_or_b32_e32 v48, 0x400000, v20
	v_lshrrev_b32_e32 v47, 16, v0
	v_bfe_u32 v0, v17, 16, 1
	v_cndmask_b32_e64 v9, v18, v33, s1
	v_mul_f32_e32 v18, s22, v46
	v_or_b32_e32 v33, 0x400000, v17
	v_cmp_u_f32_e64 s1, v17, v17
	v_add3_u32 v0, v0, v17, 0x7fff
	v_bfe_u32 v35, v19, 16, 1
	v_bfe_u32 v34, v18, 16, 1
	;; [unrolled: 1-line block ×3, first 2 shown]
	v_or_b32_e32 v46, 0x400000, v19
	v_cndmask_b32_e64 v0, v0, v33, s1
	v_cmp_u_f32_e64 s1, v18, v18
	v_add3_u32 v33, v34, v18, 0x7fff
	v_or_b32_e32 v34, 0x400000, v18
	v_add3_u32 v35, v35, v19, 0x7fff
	v_add3_u32 v17, v17, v20, 0x7fff
	v_lshrrev_b32_e32 v49, 16, v9
	v_lshrrev_b32_e32 v51, 16, v0
	v_cndmask_b32_e64 v18, v33, v34, s1
	v_cmp_u_f32_e64 s1, v19, v19
	v_add_nc_u32_e32 v63, 2, v52
	v_add_nc_u32_e32 v62, 3, v52
	;; [unrolled: 1-line block ×3, first 2 shown]
	v_lshrrev_b32_e32 v50, 16, v18
	v_cndmask_b32_e64 v19, v35, v46, s1
	v_cmp_u_f32_e64 s1, v20, v20
	v_add_nc_u32_e32 v60, 5, v52
	v_add_nc_u32_e32 v59, 6, v52
	v_add_nc_u32_e32 v58, 7, v52
	v_lshrrev_b32_e32 v46, 16, v19
	v_cndmask_b32_e64 v17, v17, v48, s1
	v_lshrrev_b32_e32 v48, 16, v17
	s_and_saveexec_b32 s26, vcc_lo
	s_cbranch_execz .LBB328_614
; %bb.613:                              ;   in Loop: Header=BB328_551 Depth=1
	v_cmp_gt_i32_e64 s1, s33, v52
	v_cndmask_b32_e64 v50, 0, v50, s1
	v_cmp_gt_i32_e64 s1, s33, v64
	v_cndmask_b32_e64 v51, 0, v51, s1
	;; [unrolled: 2-line block ×8, first 2 shown]
.LBB328_614:                            ;   in Loop: Header=BB328_551 Depth=1
	s_or_b32 exec_lo, exec_lo, s26
	global_load_dwordx2 v[17:18], v[15:16], off offset:256
	v_mov_b32_e32 v54, 0
	v_mov_b32_e32 v55, 0
	s_waitcnt vmcnt(0)
	v_cmp_ne_u16_sdwa s1, v17, v10 src0_sel:BYTE_0 src1_sel:DWORD
	s_and_saveexec_b32 s26, s1
	s_cbranch_execz .LBB328_620
; %bb.615:                              ;   in Loop: Header=BB328_551 Depth=1
	v_cmp_ne_u16_sdwa s1, v17, v32 src0_sel:BYTE_0 src1_sel:DWORD
	v_bfrev_b32_e32 v55, 1
	s_and_saveexec_b32 s27, s1
	s_cbranch_execz .LBB328_619
; %bb.616:                              ;   in Loop: Header=BB328_551 Depth=1
	v_and_b32_e32 v9, 0x7f, v17
	v_mov_b32_e32 v55, 0x7f800001
	s_mov_b32 s28, exec_lo
	v_cmpx_ne_u32_e32 0x7f, v9
	s_cbranch_execz .LBB328_618
; %bb.617:                              ;   in Loop: Header=BB328_551 Depth=1
	v_and_b32_e32 v0, 7, v17
	v_cmp_gt_u32_e64 s1, 8, v9
	v_lshrrev_b32_e32 v19, 3, v9
	v_ffbh_u32_e32 v0, v0
	v_min_u32_e32 v0, 32, v0
	v_subrev_nc_u32_e32 v20, 28, v0
	v_sub_nc_u32_e32 v0, 29, v0
	v_cndmask_b32_e64 v9, 0, v20, s1
	v_cndmask_b32_e64 v0, v19, v0, s1
	v_lshlrev_b64 v[19:20], v9, v[17:18]
	v_lshlrev_b32_e32 v9, 24, v17
	v_lshl_add_u32 v0, v0, 23, 0x3c000000
	v_and_b32_e32 v9, 0x80000000, v9
	v_lshlrev_b32_e32 v19, 20, v19
	v_and_b32_e32 v19, 0x700000, v19
	v_or3_b32 v55, v19, v9, v0
.LBB328_618:                            ;   in Loop: Header=BB328_551 Depth=1
	s_or_b32 exec_lo, exec_lo, s28
.LBB328_619:                            ;   in Loop: Header=BB328_551 Depth=1
	s_or_b32 exec_lo, exec_lo, s27
.LBB328_620:                            ;   in Loop: Header=BB328_551 Depth=1
	s_or_b32 exec_lo, exec_lo, s26
	v_cmp_ne_u16_sdwa s1, v17, v10 src0_sel:BYTE_1 src1_sel:DWORD
	s_and_saveexec_b32 s26, s1
	s_cbranch_execz .LBB328_628
; %bb.621:                              ;   in Loop: Header=BB328_551 Depth=1
	v_cmp_ne_u16_sdwa s1, v17, v32 src0_sel:BYTE_1 src1_sel:DWORD
	v_bfrev_b32_e32 v54, 1
	s_and_saveexec_b32 s27, s1
	s_cbranch_execz .LBB328_627
; %bb.622:                              ;   in Loop: Header=BB328_551 Depth=1
	v_and_b32_sdwa v9, v37, v17 dst_sel:DWORD dst_unused:UNUSED_PAD src0_sel:DWORD src1_sel:BYTE_1
	v_mov_b32_e32 v54, 0x7f800001
	s_mov_b32 s28, exec_lo
	v_and_b32_e32 v20, 0x7f, v9
	v_cmpx_ne_u32_e32 0x7f, v20
	s_cbranch_execz .LBB328_626
; %bb.623:                              ;   in Loop: Header=BB328_551 Depth=1
	v_and_b32_e32 v9, 7, v9
	v_lshrrev_b32_e32 v19, 3, v20
	s_mov_b32 s29, exec_lo
	v_cmpx_gt_u32_e32 8, v20
; %bb.624:                              ;   in Loop: Header=BB328_551 Depth=1
	v_ffbh_u32_e32 v0, v9
	v_min_u32_e32 v0, 32, v0
	v_subrev_nc_u32_e32 v19, 28, v0
	v_lshlrev_b64 v[33:34], v19, v[9:10]
	v_sub_nc_u32_e32 v19, 29, v0
	v_and_b32_e32 v9, 7, v33
; %bb.625:                              ;   in Loop: Header=BB328_551 Depth=1
	s_or_b32 exec_lo, exec_lo, s29
	v_lshlrev_b32_e32 v0, 16, v17
	v_lshlrev_b32_e32 v9, 20, v9
	v_lshl_add_u32 v19, v19, 23, 0x3c000000
	v_and_b32_e32 v0, 0x80000000, v0
	v_or3_b32 v54, v9, v0, v19
.LBB328_626:                            ;   in Loop: Header=BB328_551 Depth=1
	s_or_b32 exec_lo, exec_lo, s28
.LBB328_627:                            ;   in Loop: Header=BB328_551 Depth=1
	s_or_b32 exec_lo, exec_lo, s27
.LBB328_628:                            ;   in Loop: Header=BB328_551 Depth=1
	s_or_b32 exec_lo, exec_lo, s26
	v_and_b32_sdwa v9, v17, v38 dst_sel:DWORD dst_unused:UNUSED_PAD src0_sel:WORD_1 src1_sel:DWORD
	v_mov_b32_e32 v56, 0
	v_mov_b32_e32 v53, 0
	s_mov_b32 s26, exec_lo
	v_cmpx_ne_u16_e32 0, v9
	s_cbranch_execz .LBB328_636
; %bb.629:                              ;   in Loop: Header=BB328_551 Depth=1
	v_bfrev_b32_e32 v53, 1
	s_mov_b32 s27, exec_lo
	v_cmpx_ne_u16_e32 0x80, v9
	s_cbranch_execz .LBB328_635
; %bb.630:                              ;   in Loop: Header=BB328_551 Depth=1
	v_bfe_u32 v20, v17, 16, 7
	v_mov_b32_e32 v53, 0x7f800001
	s_mov_b32 s28, exec_lo
	v_cmpx_ne_u32_e32 0x7f, v20
	s_cbranch_execz .LBB328_634
; %bb.631:                              ;   in Loop: Header=BB328_551 Depth=1
	v_and_b32_sdwa v9, v17, v39 dst_sel:DWORD dst_unused:UNUSED_PAD src0_sel:WORD_1 src1_sel:DWORD
	v_lshrrev_b32_e32 v19, 3, v20
	s_mov_b32 s29, exec_lo
	v_cmpx_gt_u32_e32 8, v20
; %bb.632:                              ;   in Loop: Header=BB328_551 Depth=1
	v_ffbh_u32_e32 v0, v9
	v_min_u32_e32 v0, 32, v0
	v_subrev_nc_u32_e32 v19, 28, v0
	v_lshlrev_b64 v[33:34], v19, v[9:10]
	v_sub_nc_u32_e32 v19, 29, v0
	v_and_b32_e32 v9, 7, v33
; %bb.633:                              ;   in Loop: Header=BB328_551 Depth=1
	s_or_b32 exec_lo, exec_lo, s29
	v_lshlrev_b32_sdwa v0, v40, v17 dst_sel:DWORD dst_unused:UNUSED_PAD src0_sel:DWORD src1_sel:WORD_1
	v_lshlrev_b32_e32 v9, 20, v9
	v_lshl_add_u32 v19, v19, 23, 0x3c000000
	v_and_b32_e32 v0, 0x80000000, v0
	v_or3_b32 v53, v9, v0, v19
.LBB328_634:                            ;   in Loop: Header=BB328_551 Depth=1
	s_or_b32 exec_lo, exec_lo, s28
.LBB328_635:                            ;   in Loop: Header=BB328_551 Depth=1
	s_or_b32 exec_lo, exec_lo, s27
.LBB328_636:                            ;   in Loop: Header=BB328_551 Depth=1
	s_or_b32 exec_lo, exec_lo, s26
	s_mov_b32 s26, exec_lo
	v_cmpx_lt_u32_e32 0xffffff, v17
	s_cbranch_execz .LBB328_644
; %bb.637:                              ;   in Loop: Header=BB328_551 Depth=1
	v_cmp_ne_u32_sdwa s1, v17, v32 src0_sel:BYTE_3 src1_sel:DWORD
	v_bfrev_b32_e32 v56, 1
	s_and_saveexec_b32 s27, s1
	s_cbranch_execz .LBB328_643
; %bb.638:                              ;   in Loop: Header=BB328_551 Depth=1
	v_bfe_u32 v20, v17, 24, 7
	v_mov_b32_e32 v56, 0x7f800001
	s_mov_b32 s28, exec_lo
	v_cmpx_ne_u32_e32 0x7f, v20
	s_cbranch_execz .LBB328_642
; %bb.639:                              ;   in Loop: Header=BB328_551 Depth=1
	v_and_b32_sdwa v9, v17, v39 dst_sel:DWORD dst_unused:UNUSED_PAD src0_sel:BYTE_3 src1_sel:DWORD
	v_lshrrev_b32_e32 v19, 3, v20
	s_mov_b32 s29, exec_lo
	v_cmpx_gt_u32_e32 8, v20
; %bb.640:                              ;   in Loop: Header=BB328_551 Depth=1
	v_ffbh_u32_e32 v0, v9
	v_min_u32_e32 v0, 32, v0
	v_subrev_nc_u32_e32 v19, 28, v0
	v_lshlrev_b64 v[33:34], v19, v[9:10]
	v_sub_nc_u32_e32 v19, 29, v0
	v_and_b32_e32 v9, 7, v33
; %bb.641:                              ;   in Loop: Header=BB328_551 Depth=1
	s_or_b32 exec_lo, exec_lo, s29
	v_lshlrev_b32_sdwa v0, v40, v17 dst_sel:DWORD dst_unused:UNUSED_PAD src0_sel:DWORD src1_sel:BYTE_3
	v_lshlrev_b32_e32 v9, 20, v9
	v_lshl_add_u32 v19, v19, 23, 0x3c000000
	v_and_b32_e32 v0, 0x80000000, v0
	v_or3_b32 v56, v9, v0, v19
.LBB328_642:                            ;   in Loop: Header=BB328_551 Depth=1
	s_or_b32 exec_lo, exec_lo, s28
.LBB328_643:                            ;   in Loop: Header=BB328_551 Depth=1
	s_or_b32 exec_lo, exec_lo, s27
.LBB328_644:                            ;   in Loop: Header=BB328_551 Depth=1
	s_or_b32 exec_lo, exec_lo, s26
	v_mov_b32_e32 v9, v18
	v_cmp_ne_u16_sdwa s1, v18, v10 src0_sel:BYTE_0 src1_sel:DWORD
	v_mov_b32_e32 v19, 0
	v_mov_b32_e32 v33, 0
	s_and_saveexec_b32 s26, s1
	s_cbranch_execz .LBB328_650
; %bb.645:                              ;   in Loop: Header=BB328_551 Depth=1
	v_cmp_ne_u16_sdwa s1, v18, v32 src0_sel:BYTE_0 src1_sel:DWORD
	v_bfrev_b32_e32 v33, 1
	s_and_saveexec_b32 s27, s1
	s_cbranch_execz .LBB328_649
; %bb.646:                              ;   in Loop: Header=BB328_551 Depth=1
	v_and_b32_e32 v20, 0x7f, v18
	v_mov_b32_e32 v33, 0x7f800001
	s_mov_b32 s28, exec_lo
	v_cmpx_ne_u32_e32 0x7f, v20
	s_cbranch_execz .LBB328_648
; %bb.647:                              ;   in Loop: Header=BB328_551 Depth=1
	v_and_b32_e32 v0, 7, v18
	v_cmp_gt_u32_e64 s1, 8, v20
	v_lshrrev_b32_e32 v33, 3, v20
	v_ffbh_u32_e32 v0, v0
	v_min_u32_e32 v0, 32, v0
	v_subrev_nc_u32_e32 v34, 28, v0
	v_sub_nc_u32_e32 v0, 29, v0
	v_cndmask_b32_e64 v20, 0, v34, s1
	v_cndmask_b32_e64 v0, v33, v0, s1
	v_lshlrev_b64 v[33:34], v20, v[9:10]
	v_lshlrev_b32_e32 v20, 24, v9
	v_lshl_add_u32 v0, v0, 23, 0x3c000000
	v_and_b32_e32 v20, 0x80000000, v20
	v_lshlrev_b32_e32 v33, 20, v33
	v_and_b32_e32 v33, 0x700000, v33
	v_or3_b32 v33, v33, v20, v0
.LBB328_648:                            ;   in Loop: Header=BB328_551 Depth=1
	s_or_b32 exec_lo, exec_lo, s28
.LBB328_649:                            ;   in Loop: Header=BB328_551 Depth=1
	s_or_b32 exec_lo, exec_lo, s27
.LBB328_650:                            ;   in Loop: Header=BB328_551 Depth=1
	s_or_b32 exec_lo, exec_lo, s26
	v_cmp_ne_u16_sdwa s1, v9, v10 src0_sel:BYTE_1 src1_sel:DWORD
	s_and_saveexec_b32 s26, s1
	s_cbranch_execz .LBB328_658
; %bb.651:                              ;   in Loop: Header=BB328_551 Depth=1
	v_cmp_ne_u16_sdwa s1, v9, v32 src0_sel:BYTE_1 src1_sel:DWORD
	v_bfrev_b32_e32 v19, 1
	s_and_saveexec_b32 s27, s1
	s_cbranch_execz .LBB328_657
; %bb.652:                              ;   in Loop: Header=BB328_551 Depth=1
	v_and_b32_sdwa v20, v37, v9 dst_sel:DWORD dst_unused:UNUSED_PAD src0_sel:DWORD src1_sel:BYTE_1
	v_mov_b32_e32 v19, 0x7f800001
	s_mov_b32 s28, exec_lo
	v_and_b32_e32 v57, 0x7f, v20
	v_cmpx_ne_u32_e32 0x7f, v57
	s_cbranch_execz .LBB328_656
; %bb.653:                              ;   in Loop: Header=BB328_551 Depth=1
	v_and_b32_e32 v19, 7, v20
	v_mov_b32_e32 v20, v10
	v_lshrrev_b32_e32 v34, 3, v57
	s_mov_b32 s29, exec_lo
	v_cmpx_gt_u32_e32 8, v57
; %bb.654:                              ;   in Loop: Header=BB328_551 Depth=1
	v_ffbh_u32_e32 v0, v19
	v_min_u32_e32 v0, 32, v0
	v_subrev_nc_u32_e32 v34, 28, v0
	v_lshlrev_b64 v[19:20], v34, v[19:20]
	v_sub_nc_u32_e32 v34, 29, v0
	v_and_b32_e32 v19, 7, v19
; %bb.655:                              ;   in Loop: Header=BB328_551 Depth=1
	s_or_b32 exec_lo, exec_lo, s29
	v_lshlrev_b32_e32 v0, 16, v9
	v_lshlrev_b32_e32 v9, 20, v19
	v_lshl_add_u32 v19, v34, 23, 0x3c000000
	v_and_b32_e32 v0, 0x80000000, v0
	v_or3_b32 v19, v9, v0, v19
.LBB328_656:                            ;   in Loop: Header=BB328_551 Depth=1
	s_or_b32 exec_lo, exec_lo, s28
.LBB328_657:                            ;   in Loop: Header=BB328_551 Depth=1
	s_or_b32 exec_lo, exec_lo, s27
.LBB328_658:                            ;   in Loop: Header=BB328_551 Depth=1
	s_or_b32 exec_lo, exec_lo, s26
	v_and_b32_sdwa v9, v18, v38 dst_sel:DWORD dst_unused:UNUSED_PAD src0_sel:WORD_1 src1_sel:DWORD
	v_mov_b32_e32 v20, 0
	v_mov_b32_e32 v34, 0
	s_mov_b32 s26, exec_lo
	v_cmpx_ne_u16_e32 0, v9
	s_cbranch_execz .LBB328_666
; %bb.659:                              ;   in Loop: Header=BB328_551 Depth=1
	v_bfrev_b32_e32 v34, 1
	s_mov_b32 s27, exec_lo
	v_cmpx_ne_u16_e32 0x80, v9
	s_cbranch_execz .LBB328_665
; %bb.660:                              ;   in Loop: Header=BB328_551 Depth=1
	v_bfe_u32 v57, v18, 16, 7
	v_mov_b32_e32 v34, 0x7f800001
	s_mov_b32 s28, exec_lo
	v_cmpx_ne_u32_e32 0x7f, v57
	s_cbranch_execz .LBB328_664
; %bb.661:                              ;   in Loop: Header=BB328_551 Depth=1
	v_and_b32_sdwa v9, v18, v39 dst_sel:DWORD dst_unused:UNUSED_PAD src0_sel:WORD_1 src1_sel:DWORD
	v_lshrrev_b32_e32 v34, 3, v57
	s_mov_b32 s29, exec_lo
	v_cmpx_gt_u32_e32 8, v57
; %bb.662:                              ;   in Loop: Header=BB328_551 Depth=1
	v_ffbh_u32_e32 v0, v9
	v_min_u32_e32 v0, 32, v0
	v_subrev_nc_u32_e32 v34, 28, v0
	v_lshlrev_b64 v[65:66], v34, v[9:10]
	v_sub_nc_u32_e32 v34, 29, v0
	v_and_b32_e32 v9, 7, v65
; %bb.663:                              ;   in Loop: Header=BB328_551 Depth=1
	s_or_b32 exec_lo, exec_lo, s29
	v_lshlrev_b32_sdwa v0, v40, v18 dst_sel:DWORD dst_unused:UNUSED_PAD src0_sel:DWORD src1_sel:WORD_1
	v_lshlrev_b32_e32 v9, 20, v9
	v_lshl_add_u32 v34, v34, 23, 0x3c000000
	v_and_b32_e32 v0, 0x80000000, v0
	v_or3_b32 v34, v9, v0, v34
.LBB328_664:                            ;   in Loop: Header=BB328_551 Depth=1
	s_or_b32 exec_lo, exec_lo, s28
.LBB328_665:                            ;   in Loop: Header=BB328_551 Depth=1
	s_or_b32 exec_lo, exec_lo, s27
.LBB328_666:                            ;   in Loop: Header=BB328_551 Depth=1
	s_or_b32 exec_lo, exec_lo, s26
	s_mov_b32 s26, exec_lo
	v_cmpx_lt_u64_e64 s[2:3], v[17:18]
	s_cbranch_execz .LBB328_674
; %bb.667:                              ;   in Loop: Header=BB328_551 Depth=1
	v_cmp_ne_u32_sdwa s1, v18, v32 src0_sel:BYTE_3 src1_sel:DWORD
	v_bfrev_b32_e32 v20, 1
	s_and_saveexec_b32 s27, s1
	s_cbranch_execz .LBB328_673
; %bb.668:                              ;   in Loop: Header=BB328_551 Depth=1
	v_bfe_u32 v57, v18, 24, 7
	v_mov_b32_e32 v20, 0x7f800001
	s_mov_b32 s28, exec_lo
	v_cmpx_ne_u32_e32 0x7f, v57
	s_cbranch_execz .LBB328_672
; %bb.669:                              ;   in Loop: Header=BB328_551 Depth=1
	v_and_b32_sdwa v9, v18, v39 dst_sel:DWORD dst_unused:UNUSED_PAD src0_sel:BYTE_3 src1_sel:DWORD
	v_lshrrev_b32_e32 v17, 3, v57
	s_mov_b32 s29, exec_lo
	v_cmpx_gt_u32_e32 8, v57
; %bb.670:                              ;   in Loop: Header=BB328_551 Depth=1
	v_ffbh_u32_e32 v0, v9
	v_min_u32_e32 v0, 32, v0
	v_subrev_nc_u32_e32 v17, 28, v0
	v_lshlrev_b64 v[65:66], v17, v[9:10]
	v_sub_nc_u32_e32 v17, 29, v0
	v_and_b32_e32 v9, 7, v65
; %bb.671:                              ;   in Loop: Header=BB328_551 Depth=1
	s_or_b32 exec_lo, exec_lo, s29
	v_lshlrev_b32_sdwa v0, v40, v18 dst_sel:DWORD dst_unused:UNUSED_PAD src0_sel:DWORD src1_sel:BYTE_3
	v_lshlrev_b32_e32 v9, 20, v9
	v_lshl_add_u32 v17, v17, 23, 0x3c000000
	v_and_b32_e32 v0, 0x80000000, v0
	v_or3_b32 v20, v9, v0, v17
.LBB328_672:                            ;   in Loop: Header=BB328_551 Depth=1
	s_or_b32 exec_lo, exec_lo, s28
.LBB328_673:                            ;   in Loop: Header=BB328_551 Depth=1
	s_or_b32 exec_lo, exec_lo, s27
.LBB328_674:                            ;   in Loop: Header=BB328_551 Depth=1
	s_or_b32 exec_lo, exec_lo, s26
	v_mul_f32_e32 v0, s22, v19
	v_mul_f32_e32 v9, s22, v33
	;; [unrolled: 1-line block ×5, first 2 shown]
	v_bfe_u32 v19, v0, 16, 1
	v_or_b32_e32 v33, 0x400000, v0
	v_bfe_u32 v35, v9, 16, 1
	v_cmp_u_f32_e64 s1, v0, v0
	v_or_b32_e32 v53, 0x400000, v9
	v_add3_u32 v19, v19, v0, 0x7fff
	v_bfe_u32 v56, v17, 16, 1
	v_add3_u32 v35, v35, v9, 0x7fff
	v_or_b32_e32 v57, 0x400000, v17
	v_bfe_u32 v65, v18, 16, 1
	v_cndmask_b32_e64 v0, v19, v33, s1
	v_cmp_u_f32_e64 s1, v9, v9
	v_add3_u32 v56, v56, v17, 0x7fff
	v_or_b32_e32 v33, 0x400000, v18
	v_add3_u32 v19, v65, v18, 0x7fff
	v_cndmask_b32_e64 v9, v35, v53, s1
	v_cmp_u_f32_e64 s1, v17, v17
	v_lshrrev_b32_e32 v53, 16, v0
	v_mul_f32_e32 v0, s22, v54
	v_lshrrev_b32_e32 v54, 16, v9
	v_cndmask_b32_e64 v17, v56, v57, s1
	v_cmp_u_f32_e64 s1, v18, v18
	v_bfe_u32 v9, v0, 16, 1
	v_mul_f32_e32 v18, s22, v55
	v_or_b32_e32 v57, 0x400000, v20
	v_lshrrev_b32_e32 v56, 16, v17
	v_cndmask_b32_e64 v17, v19, v33, s1
	v_mul_f32_e32 v19, s22, v34
	v_add3_u32 v9, v9, v0, 0x7fff
	v_or_b32_e32 v33, 0x400000, v0
	v_bfe_u32 v34, v18, 16, 1
	v_cmp_u_f32_e64 s1, v0, v0
	v_bfe_u32 v35, v19, 16, 1
	v_or_b32_e32 v55, 0x400000, v19
	v_lshrrev_b32_e32 v65, 16, v17
	v_cndmask_b32_e64 v0, v9, v33, s1
	v_add3_u32 v33, v34, v18, 0x7fff
	v_or_b32_e32 v34, 0x400000, v18
	v_cmp_u_f32_e64 s1, v18, v18
	v_bfe_u32 v9, v20, 16, 1
	v_add3_u32 v35, v35, v19, 0x7fff
	v_lshrrev_b32_e32 v67, 16, v0
	v_cndmask_b32_e64 v18, v33, v34, s1
	v_cmp_u_f32_e64 s1, v19, v19
	v_add3_u32 v9, v9, v20, 0x7fff
	v_lshrrev_b32_e32 v66, 16, v18
	v_cndmask_b32_e64 v19, v35, v55, s1
	v_cmp_u_f32_e64 s1, v20, v20
	v_lshrrev_b32_e32 v55, 16, v19
	v_cndmask_b32_e64 v9, v9, v57, s1
	v_lshrrev_b32_e32 v57, 16, v9
	s_and_saveexec_b32 s26, vcc_lo
	s_cbranch_execz .LBB328_676
; %bb.675:                              ;   in Loop: Header=BB328_551 Depth=1
	v_cmp_gt_i32_e64 s1, s33, v52
	v_cndmask_b32_e64 v66, 0, v66, s1
	v_cmp_gt_i32_e64 s1, s33, v64
	v_cndmask_b32_e64 v67, 0, v67, s1
	;; [unrolled: 2-line block ×8, first 2 shown]
.LBB328_676:                            ;   in Loop: Header=BB328_551 Depth=1
	s_or_b32 exec_lo, exec_lo, s26
	global_load_dwordx2 v[17:18], v[15:16], off offset:512
	v_mov_b32_e32 v69, 0
	v_mov_b32_e32 v70, 0
	s_waitcnt vmcnt(0)
	v_cmp_ne_u16_sdwa s1, v17, v10 src0_sel:BYTE_0 src1_sel:DWORD
	s_and_saveexec_b32 s26, s1
	s_cbranch_execz .LBB328_682
; %bb.677:                              ;   in Loop: Header=BB328_551 Depth=1
	v_cmp_ne_u16_sdwa s1, v17, v32 src0_sel:BYTE_0 src1_sel:DWORD
	v_bfrev_b32_e32 v70, 1
	s_and_saveexec_b32 s27, s1
	s_cbranch_execz .LBB328_681
; %bb.678:                              ;   in Loop: Header=BB328_551 Depth=1
	v_and_b32_e32 v9, 0x7f, v17
	v_mov_b32_e32 v70, 0x7f800001
	s_mov_b32 s28, exec_lo
	v_cmpx_ne_u32_e32 0x7f, v9
	s_cbranch_execz .LBB328_680
; %bb.679:                              ;   in Loop: Header=BB328_551 Depth=1
	v_and_b32_e32 v0, 7, v17
	v_cmp_gt_u32_e64 s1, 8, v9
	v_lshrrev_b32_e32 v19, 3, v9
	v_ffbh_u32_e32 v0, v0
	v_min_u32_e32 v0, 32, v0
	v_subrev_nc_u32_e32 v20, 28, v0
	v_sub_nc_u32_e32 v0, 29, v0
	v_cndmask_b32_e64 v9, 0, v20, s1
	v_cndmask_b32_e64 v0, v19, v0, s1
	v_lshlrev_b64 v[19:20], v9, v[17:18]
	v_lshlrev_b32_e32 v9, 24, v17
	v_lshl_add_u32 v0, v0, 23, 0x3c000000
	v_and_b32_e32 v9, 0x80000000, v9
	v_lshlrev_b32_e32 v19, 20, v19
	v_and_b32_e32 v19, 0x700000, v19
	v_or3_b32 v70, v19, v9, v0
.LBB328_680:                            ;   in Loop: Header=BB328_551 Depth=1
	s_or_b32 exec_lo, exec_lo, s28
.LBB328_681:                            ;   in Loop: Header=BB328_551 Depth=1
	s_or_b32 exec_lo, exec_lo, s27
.LBB328_682:                            ;   in Loop: Header=BB328_551 Depth=1
	s_or_b32 exec_lo, exec_lo, s26
	v_cmp_ne_u16_sdwa s1, v17, v10 src0_sel:BYTE_1 src1_sel:DWORD
	s_and_saveexec_b32 s26, s1
	s_cbranch_execz .LBB328_690
; %bb.683:                              ;   in Loop: Header=BB328_551 Depth=1
	v_cmp_ne_u16_sdwa s1, v17, v32 src0_sel:BYTE_1 src1_sel:DWORD
	v_bfrev_b32_e32 v69, 1
	s_and_saveexec_b32 s27, s1
	s_cbranch_execz .LBB328_689
; %bb.684:                              ;   in Loop: Header=BB328_551 Depth=1
	v_and_b32_sdwa v9, v37, v17 dst_sel:DWORD dst_unused:UNUSED_PAD src0_sel:DWORD src1_sel:BYTE_1
	v_mov_b32_e32 v69, 0x7f800001
	s_mov_b32 s28, exec_lo
	v_and_b32_e32 v20, 0x7f, v9
	v_cmpx_ne_u32_e32 0x7f, v20
	s_cbranch_execz .LBB328_688
; %bb.685:                              ;   in Loop: Header=BB328_551 Depth=1
	v_and_b32_e32 v9, 7, v9
	v_lshrrev_b32_e32 v19, 3, v20
	s_mov_b32 s29, exec_lo
	v_cmpx_gt_u32_e32 8, v20
; %bb.686:                              ;   in Loop: Header=BB328_551 Depth=1
	v_ffbh_u32_e32 v0, v9
	v_min_u32_e32 v0, 32, v0
	v_subrev_nc_u32_e32 v19, 28, v0
	v_lshlrev_b64 v[33:34], v19, v[9:10]
	v_sub_nc_u32_e32 v19, 29, v0
	v_and_b32_e32 v9, 7, v33
; %bb.687:                              ;   in Loop: Header=BB328_551 Depth=1
	s_or_b32 exec_lo, exec_lo, s29
	v_lshlrev_b32_e32 v0, 16, v17
	v_lshlrev_b32_e32 v9, 20, v9
	v_lshl_add_u32 v19, v19, 23, 0x3c000000
	v_and_b32_e32 v0, 0x80000000, v0
	v_or3_b32 v69, v9, v0, v19
.LBB328_688:                            ;   in Loop: Header=BB328_551 Depth=1
	s_or_b32 exec_lo, exec_lo, s28
.LBB328_689:                            ;   in Loop: Header=BB328_551 Depth=1
	s_or_b32 exec_lo, exec_lo, s27
.LBB328_690:                            ;   in Loop: Header=BB328_551 Depth=1
	s_or_b32 exec_lo, exec_lo, s26
	v_and_b32_sdwa v9, v17, v38 dst_sel:DWORD dst_unused:UNUSED_PAD src0_sel:WORD_1 src1_sel:DWORD
	v_mov_b32_e32 v71, 0
	v_mov_b32_e32 v68, 0
	s_mov_b32 s26, exec_lo
	v_cmpx_ne_u16_e32 0, v9
	s_cbranch_execz .LBB328_698
; %bb.691:                              ;   in Loop: Header=BB328_551 Depth=1
	v_bfrev_b32_e32 v68, 1
	s_mov_b32 s27, exec_lo
	v_cmpx_ne_u16_e32 0x80, v9
	s_cbranch_execz .LBB328_697
; %bb.692:                              ;   in Loop: Header=BB328_551 Depth=1
	v_bfe_u32 v20, v17, 16, 7
	v_mov_b32_e32 v68, 0x7f800001
	s_mov_b32 s28, exec_lo
	v_cmpx_ne_u32_e32 0x7f, v20
	s_cbranch_execz .LBB328_696
; %bb.693:                              ;   in Loop: Header=BB328_551 Depth=1
	v_and_b32_sdwa v9, v17, v39 dst_sel:DWORD dst_unused:UNUSED_PAD src0_sel:WORD_1 src1_sel:DWORD
	v_lshrrev_b32_e32 v19, 3, v20
	s_mov_b32 s29, exec_lo
	v_cmpx_gt_u32_e32 8, v20
; %bb.694:                              ;   in Loop: Header=BB328_551 Depth=1
	v_ffbh_u32_e32 v0, v9
	v_min_u32_e32 v0, 32, v0
	v_subrev_nc_u32_e32 v19, 28, v0
	v_lshlrev_b64 v[33:34], v19, v[9:10]
	v_sub_nc_u32_e32 v19, 29, v0
	v_and_b32_e32 v9, 7, v33
; %bb.695:                              ;   in Loop: Header=BB328_551 Depth=1
	s_or_b32 exec_lo, exec_lo, s29
	v_lshlrev_b32_sdwa v0, v40, v17 dst_sel:DWORD dst_unused:UNUSED_PAD src0_sel:DWORD src1_sel:WORD_1
	v_lshlrev_b32_e32 v9, 20, v9
	v_lshl_add_u32 v19, v19, 23, 0x3c000000
	v_and_b32_e32 v0, 0x80000000, v0
	v_or3_b32 v68, v9, v0, v19
.LBB328_696:                            ;   in Loop: Header=BB328_551 Depth=1
	s_or_b32 exec_lo, exec_lo, s28
.LBB328_697:                            ;   in Loop: Header=BB328_551 Depth=1
	s_or_b32 exec_lo, exec_lo, s27
.LBB328_698:                            ;   in Loop: Header=BB328_551 Depth=1
	s_or_b32 exec_lo, exec_lo, s26
	s_mov_b32 s26, exec_lo
	v_cmpx_lt_u32_e32 0xffffff, v17
	s_cbranch_execz .LBB328_706
; %bb.699:                              ;   in Loop: Header=BB328_551 Depth=1
	v_cmp_ne_u32_sdwa s1, v17, v32 src0_sel:BYTE_3 src1_sel:DWORD
	v_bfrev_b32_e32 v71, 1
	s_and_saveexec_b32 s27, s1
	s_cbranch_execz .LBB328_705
; %bb.700:                              ;   in Loop: Header=BB328_551 Depth=1
	v_bfe_u32 v20, v17, 24, 7
	v_mov_b32_e32 v71, 0x7f800001
	s_mov_b32 s28, exec_lo
	v_cmpx_ne_u32_e32 0x7f, v20
	s_cbranch_execz .LBB328_704
; %bb.701:                              ;   in Loop: Header=BB328_551 Depth=1
	v_and_b32_sdwa v9, v17, v39 dst_sel:DWORD dst_unused:UNUSED_PAD src0_sel:BYTE_3 src1_sel:DWORD
	v_lshrrev_b32_e32 v19, 3, v20
	s_mov_b32 s29, exec_lo
	v_cmpx_gt_u32_e32 8, v20
; %bb.702:                              ;   in Loop: Header=BB328_551 Depth=1
	v_ffbh_u32_e32 v0, v9
	v_min_u32_e32 v0, 32, v0
	v_subrev_nc_u32_e32 v19, 28, v0
	v_lshlrev_b64 v[33:34], v19, v[9:10]
	v_sub_nc_u32_e32 v19, 29, v0
	v_and_b32_e32 v9, 7, v33
; %bb.703:                              ;   in Loop: Header=BB328_551 Depth=1
	s_or_b32 exec_lo, exec_lo, s29
	v_lshlrev_b32_sdwa v0, v40, v17 dst_sel:DWORD dst_unused:UNUSED_PAD src0_sel:DWORD src1_sel:BYTE_3
	v_lshlrev_b32_e32 v9, 20, v9
	v_lshl_add_u32 v19, v19, 23, 0x3c000000
	v_and_b32_e32 v0, 0x80000000, v0
	v_or3_b32 v71, v9, v0, v19
.LBB328_704:                            ;   in Loop: Header=BB328_551 Depth=1
	s_or_b32 exec_lo, exec_lo, s28
.LBB328_705:                            ;   in Loop: Header=BB328_551 Depth=1
	s_or_b32 exec_lo, exec_lo, s27
.LBB328_706:                            ;   in Loop: Header=BB328_551 Depth=1
	s_or_b32 exec_lo, exec_lo, s26
	v_mov_b32_e32 v9, v18
	v_cmp_ne_u16_sdwa s1, v18, v10 src0_sel:BYTE_0 src1_sel:DWORD
	v_mov_b32_e32 v19, 0
	v_mov_b32_e32 v33, 0
	s_and_saveexec_b32 s26, s1
	s_cbranch_execz .LBB328_712
; %bb.707:                              ;   in Loop: Header=BB328_551 Depth=1
	v_cmp_ne_u16_sdwa s1, v18, v32 src0_sel:BYTE_0 src1_sel:DWORD
	v_bfrev_b32_e32 v33, 1
	s_and_saveexec_b32 s27, s1
	s_cbranch_execz .LBB328_711
; %bb.708:                              ;   in Loop: Header=BB328_551 Depth=1
	v_and_b32_e32 v20, 0x7f, v18
	v_mov_b32_e32 v33, 0x7f800001
	s_mov_b32 s28, exec_lo
	v_cmpx_ne_u32_e32 0x7f, v20
	s_cbranch_execz .LBB328_710
; %bb.709:                              ;   in Loop: Header=BB328_551 Depth=1
	v_and_b32_e32 v0, 7, v18
	v_cmp_gt_u32_e64 s1, 8, v20
	v_lshrrev_b32_e32 v33, 3, v20
	v_ffbh_u32_e32 v0, v0
	v_min_u32_e32 v0, 32, v0
	v_subrev_nc_u32_e32 v34, 28, v0
	v_sub_nc_u32_e32 v0, 29, v0
	v_cndmask_b32_e64 v20, 0, v34, s1
	v_cndmask_b32_e64 v0, v33, v0, s1
	v_lshlrev_b64 v[33:34], v20, v[9:10]
	v_lshlrev_b32_e32 v20, 24, v9
	v_lshl_add_u32 v0, v0, 23, 0x3c000000
	v_and_b32_e32 v20, 0x80000000, v20
	v_lshlrev_b32_e32 v33, 20, v33
	v_and_b32_e32 v33, 0x700000, v33
	v_or3_b32 v33, v33, v20, v0
.LBB328_710:                            ;   in Loop: Header=BB328_551 Depth=1
	s_or_b32 exec_lo, exec_lo, s28
.LBB328_711:                            ;   in Loop: Header=BB328_551 Depth=1
	s_or_b32 exec_lo, exec_lo, s27
.LBB328_712:                            ;   in Loop: Header=BB328_551 Depth=1
	s_or_b32 exec_lo, exec_lo, s26
	v_cmp_ne_u16_sdwa s1, v9, v10 src0_sel:BYTE_1 src1_sel:DWORD
	s_and_saveexec_b32 s26, s1
	s_cbranch_execz .LBB328_720
; %bb.713:                              ;   in Loop: Header=BB328_551 Depth=1
	v_cmp_ne_u16_sdwa s1, v9, v32 src0_sel:BYTE_1 src1_sel:DWORD
	v_bfrev_b32_e32 v19, 1
	s_and_saveexec_b32 s27, s1
	s_cbranch_execz .LBB328_719
; %bb.714:                              ;   in Loop: Header=BB328_551 Depth=1
	v_and_b32_sdwa v20, v37, v9 dst_sel:DWORD dst_unused:UNUSED_PAD src0_sel:DWORD src1_sel:BYTE_1
	v_mov_b32_e32 v19, 0x7f800001
	s_mov_b32 s28, exec_lo
	v_and_b32_e32 v72, 0x7f, v20
	v_cmpx_ne_u32_e32 0x7f, v72
	s_cbranch_execz .LBB328_718
; %bb.715:                              ;   in Loop: Header=BB328_551 Depth=1
	v_and_b32_e32 v19, 7, v20
	v_mov_b32_e32 v20, v10
	v_lshrrev_b32_e32 v34, 3, v72
	s_mov_b32 s29, exec_lo
	v_cmpx_gt_u32_e32 8, v72
; %bb.716:                              ;   in Loop: Header=BB328_551 Depth=1
	v_ffbh_u32_e32 v0, v19
	v_min_u32_e32 v0, 32, v0
	v_subrev_nc_u32_e32 v34, 28, v0
	v_lshlrev_b64 v[19:20], v34, v[19:20]
	v_sub_nc_u32_e32 v34, 29, v0
	v_and_b32_e32 v19, 7, v19
; %bb.717:                              ;   in Loop: Header=BB328_551 Depth=1
	s_or_b32 exec_lo, exec_lo, s29
	v_lshlrev_b32_e32 v0, 16, v9
	v_lshlrev_b32_e32 v9, 20, v19
	v_lshl_add_u32 v19, v34, 23, 0x3c000000
	v_and_b32_e32 v0, 0x80000000, v0
	v_or3_b32 v19, v9, v0, v19
.LBB328_718:                            ;   in Loop: Header=BB328_551 Depth=1
	s_or_b32 exec_lo, exec_lo, s28
.LBB328_719:                            ;   in Loop: Header=BB328_551 Depth=1
	s_or_b32 exec_lo, exec_lo, s27
.LBB328_720:                            ;   in Loop: Header=BB328_551 Depth=1
	s_or_b32 exec_lo, exec_lo, s26
	v_and_b32_sdwa v9, v18, v38 dst_sel:DWORD dst_unused:UNUSED_PAD src0_sel:WORD_1 src1_sel:DWORD
	v_mov_b32_e32 v20, 0
	v_mov_b32_e32 v34, 0
	s_mov_b32 s26, exec_lo
	v_cmpx_ne_u16_e32 0, v9
	s_cbranch_execz .LBB328_728
; %bb.721:                              ;   in Loop: Header=BB328_551 Depth=1
	v_bfrev_b32_e32 v34, 1
	s_mov_b32 s27, exec_lo
	v_cmpx_ne_u16_e32 0x80, v9
	s_cbranch_execz .LBB328_727
; %bb.722:                              ;   in Loop: Header=BB328_551 Depth=1
	v_bfe_u32 v72, v18, 16, 7
	v_mov_b32_e32 v34, 0x7f800001
	s_mov_b32 s28, exec_lo
	v_cmpx_ne_u32_e32 0x7f, v72
	s_cbranch_execz .LBB328_726
; %bb.723:                              ;   in Loop: Header=BB328_551 Depth=1
	v_and_b32_sdwa v9, v18, v39 dst_sel:DWORD dst_unused:UNUSED_PAD src0_sel:WORD_1 src1_sel:DWORD
	v_lshrrev_b32_e32 v34, 3, v72
	s_mov_b32 s29, exec_lo
	v_cmpx_gt_u32_e32 8, v72
; %bb.724:                              ;   in Loop: Header=BB328_551 Depth=1
	v_ffbh_u32_e32 v0, v9
	v_min_u32_e32 v0, 32, v0
	v_subrev_nc_u32_e32 v34, 28, v0
	v_lshlrev_b64 v[72:73], v34, v[9:10]
	v_sub_nc_u32_e32 v34, 29, v0
	v_and_b32_e32 v9, 7, v72
; %bb.725:                              ;   in Loop: Header=BB328_551 Depth=1
	s_or_b32 exec_lo, exec_lo, s29
	v_lshlrev_b32_sdwa v0, v40, v18 dst_sel:DWORD dst_unused:UNUSED_PAD src0_sel:DWORD src1_sel:WORD_1
	v_lshlrev_b32_e32 v9, 20, v9
	v_lshl_add_u32 v34, v34, 23, 0x3c000000
	v_and_b32_e32 v0, 0x80000000, v0
	v_or3_b32 v34, v9, v0, v34
.LBB328_726:                            ;   in Loop: Header=BB328_551 Depth=1
	s_or_b32 exec_lo, exec_lo, s28
.LBB328_727:                            ;   in Loop: Header=BB328_551 Depth=1
	s_or_b32 exec_lo, exec_lo, s27
.LBB328_728:                            ;   in Loop: Header=BB328_551 Depth=1
	s_or_b32 exec_lo, exec_lo, s26
	s_mov_b32 s26, exec_lo
	v_cmpx_lt_u64_e64 s[2:3], v[17:18]
	s_cbranch_execz .LBB328_736
; %bb.729:                              ;   in Loop: Header=BB328_551 Depth=1
	v_cmp_ne_u32_sdwa s1, v18, v32 src0_sel:BYTE_3 src1_sel:DWORD
	v_bfrev_b32_e32 v20, 1
	s_and_saveexec_b32 s27, s1
	s_cbranch_execz .LBB328_735
; %bb.730:                              ;   in Loop: Header=BB328_551 Depth=1
	v_bfe_u32 v72, v18, 24, 7
	v_mov_b32_e32 v20, 0x7f800001
	s_mov_b32 s28, exec_lo
	v_cmpx_ne_u32_e32 0x7f, v72
	s_cbranch_execz .LBB328_734
; %bb.731:                              ;   in Loop: Header=BB328_551 Depth=1
	v_and_b32_sdwa v9, v18, v39 dst_sel:DWORD dst_unused:UNUSED_PAD src0_sel:BYTE_3 src1_sel:DWORD
	v_lshrrev_b32_e32 v17, 3, v72
	s_mov_b32 s29, exec_lo
	v_cmpx_gt_u32_e32 8, v72
; %bb.732:                              ;   in Loop: Header=BB328_551 Depth=1
	v_ffbh_u32_e32 v0, v9
	v_min_u32_e32 v0, 32, v0
	v_subrev_nc_u32_e32 v17, 28, v0
	v_lshlrev_b64 v[72:73], v17, v[9:10]
	v_sub_nc_u32_e32 v17, 29, v0
	v_and_b32_e32 v9, 7, v72
; %bb.733:                              ;   in Loop: Header=BB328_551 Depth=1
	s_or_b32 exec_lo, exec_lo, s29
	v_lshlrev_b32_sdwa v0, v40, v18 dst_sel:DWORD dst_unused:UNUSED_PAD src0_sel:DWORD src1_sel:BYTE_3
	v_lshlrev_b32_e32 v9, 20, v9
	v_lshl_add_u32 v17, v17, 23, 0x3c000000
	v_and_b32_e32 v0, 0x80000000, v0
	v_or3_b32 v20, v9, v0, v17
.LBB328_734:                            ;   in Loop: Header=BB328_551 Depth=1
	s_or_b32 exec_lo, exec_lo, s28
.LBB328_735:                            ;   in Loop: Header=BB328_551 Depth=1
	s_or_b32 exec_lo, exec_lo, s27
.LBB328_736:                            ;   in Loop: Header=BB328_551 Depth=1
	s_or_b32 exec_lo, exec_lo, s26
	v_mul_f32_e32 v0, s22, v19
	v_mul_f32_e32 v9, s22, v33
	;; [unrolled: 1-line block ×5, first 2 shown]
	v_bfe_u32 v19, v0, 16, 1
	v_or_b32_e32 v33, 0x400000, v0
	v_bfe_u32 v35, v9, 16, 1
	v_cmp_u_f32_e64 s1, v0, v0
	v_or_b32_e32 v68, 0x400000, v9
	v_add3_u32 v19, v19, v0, 0x7fff
	v_bfe_u32 v71, v17, 16, 1
	v_add3_u32 v35, v35, v9, 0x7fff
	v_or_b32_e32 v72, 0x400000, v17
	v_bfe_u32 v73, v18, 16, 1
	v_cndmask_b32_e64 v0, v19, v33, s1
	v_cmp_u_f32_e64 s1, v9, v9
	v_add3_u32 v71, v71, v17, 0x7fff
	v_or_b32_e32 v33, 0x400000, v18
	v_add3_u32 v19, v73, v18, 0x7fff
	v_cndmask_b32_e64 v9, v35, v68, s1
	v_cmp_u_f32_e64 s1, v17, v17
	v_lshrrev_b32_e32 v68, 16, v0
	v_mul_f32_e32 v0, s22, v69
	v_lshrrev_b32_e32 v69, 16, v9
	v_cndmask_b32_e64 v17, v71, v72, s1
	v_cmp_u_f32_e64 s1, v18, v18
	v_bfe_u32 v9, v0, 16, 1
	v_mul_f32_e32 v18, s22, v70
	v_or_b32_e32 v72, 0x400000, v20
	v_lshrrev_b32_e32 v71, 16, v17
	v_cndmask_b32_e64 v17, v19, v33, s1
	v_mul_f32_e32 v19, s22, v34
	v_add3_u32 v9, v9, v0, 0x7fff
	v_or_b32_e32 v33, 0x400000, v0
	v_bfe_u32 v34, v18, 16, 1
	v_cmp_u_f32_e64 s1, v0, v0
	v_bfe_u32 v35, v19, 16, 1
	v_or_b32_e32 v70, 0x400000, v19
	v_lshrrev_b32_e32 v73, 16, v17
	v_cndmask_b32_e64 v0, v9, v33, s1
	v_add3_u32 v33, v34, v18, 0x7fff
	v_or_b32_e32 v34, 0x400000, v18
	v_cmp_u_f32_e64 s1, v18, v18
	v_bfe_u32 v9, v20, 16, 1
	v_add3_u32 v35, v35, v19, 0x7fff
	v_lshrrev_b32_e32 v75, 16, v0
	v_cndmask_b32_e64 v18, v33, v34, s1
	v_cmp_u_f32_e64 s1, v19, v19
	v_add3_u32 v9, v9, v20, 0x7fff
	v_lshrrev_b32_e32 v74, 16, v18
	v_cndmask_b32_e64 v19, v35, v70, s1
	v_cmp_u_f32_e64 s1, v20, v20
	v_lshrrev_b32_e32 v70, 16, v19
	v_cndmask_b32_e64 v9, v9, v72, s1
	v_lshrrev_b32_e32 v72, 16, v9
	s_and_saveexec_b32 s26, vcc_lo
	s_cbranch_execz .LBB328_738
; %bb.737:                              ;   in Loop: Header=BB328_551 Depth=1
	v_cmp_gt_i32_e64 s1, s33, v52
	v_cndmask_b32_e64 v74, 0, v74, s1
	v_cmp_gt_i32_e64 s1, s33, v64
	v_cndmask_b32_e64 v75, 0, v75, s1
	;; [unrolled: 2-line block ×8, first 2 shown]
.LBB328_738:                            ;   in Loop: Header=BB328_551 Depth=1
	s_or_b32 exec_lo, exec_lo, s26
	global_load_dwordx2 v[17:18], v[15:16], off offset:768
	v_mov_b32_e32 v77, 0
	v_mov_b32_e32 v78, 0
	s_waitcnt vmcnt(0)
	v_cmp_ne_u16_sdwa s1, v17, v10 src0_sel:BYTE_0 src1_sel:DWORD
	s_and_saveexec_b32 s26, s1
	s_cbranch_execz .LBB328_744
; %bb.739:                              ;   in Loop: Header=BB328_551 Depth=1
	v_cmp_ne_u16_sdwa s1, v17, v32 src0_sel:BYTE_0 src1_sel:DWORD
	v_bfrev_b32_e32 v78, 1
	s_and_saveexec_b32 s27, s1
	s_cbranch_execz .LBB328_743
; %bb.740:                              ;   in Loop: Header=BB328_551 Depth=1
	v_and_b32_e32 v9, 0x7f, v17
	v_mov_b32_e32 v78, 0x7f800001
	s_mov_b32 s28, exec_lo
	v_cmpx_ne_u32_e32 0x7f, v9
	s_cbranch_execz .LBB328_742
; %bb.741:                              ;   in Loop: Header=BB328_551 Depth=1
	v_and_b32_e32 v0, 7, v17
	v_cmp_gt_u32_e64 s1, 8, v9
	v_lshrrev_b32_e32 v19, 3, v9
	v_ffbh_u32_e32 v0, v0
	v_min_u32_e32 v0, 32, v0
	v_subrev_nc_u32_e32 v20, 28, v0
	v_sub_nc_u32_e32 v0, 29, v0
	v_cndmask_b32_e64 v9, 0, v20, s1
	v_cndmask_b32_e64 v0, v19, v0, s1
	v_lshlrev_b64 v[19:20], v9, v[17:18]
	v_lshlrev_b32_e32 v9, 24, v17
	v_lshl_add_u32 v0, v0, 23, 0x3c000000
	v_and_b32_e32 v9, 0x80000000, v9
	v_lshlrev_b32_e32 v19, 20, v19
	v_and_b32_e32 v19, 0x700000, v19
	v_or3_b32 v78, v19, v9, v0
.LBB328_742:                            ;   in Loop: Header=BB328_551 Depth=1
	s_or_b32 exec_lo, exec_lo, s28
.LBB328_743:                            ;   in Loop: Header=BB328_551 Depth=1
	s_or_b32 exec_lo, exec_lo, s27
.LBB328_744:                            ;   in Loop: Header=BB328_551 Depth=1
	s_or_b32 exec_lo, exec_lo, s26
	v_cmp_ne_u16_sdwa s1, v17, v10 src0_sel:BYTE_1 src1_sel:DWORD
	s_and_saveexec_b32 s26, s1
	s_cbranch_execz .LBB328_752
; %bb.745:                              ;   in Loop: Header=BB328_551 Depth=1
	v_cmp_ne_u16_sdwa s1, v17, v32 src0_sel:BYTE_1 src1_sel:DWORD
	v_bfrev_b32_e32 v77, 1
	s_and_saveexec_b32 s27, s1
	s_cbranch_execz .LBB328_751
; %bb.746:                              ;   in Loop: Header=BB328_551 Depth=1
	v_and_b32_sdwa v9, v37, v17 dst_sel:DWORD dst_unused:UNUSED_PAD src0_sel:DWORD src1_sel:BYTE_1
	v_mov_b32_e32 v77, 0x7f800001
	s_mov_b32 s28, exec_lo
	v_and_b32_e32 v20, 0x7f, v9
	v_cmpx_ne_u32_e32 0x7f, v20
	s_cbranch_execz .LBB328_750
; %bb.747:                              ;   in Loop: Header=BB328_551 Depth=1
	v_and_b32_e32 v9, 7, v9
	v_lshrrev_b32_e32 v19, 3, v20
	s_mov_b32 s29, exec_lo
	v_cmpx_gt_u32_e32 8, v20
; %bb.748:                              ;   in Loop: Header=BB328_551 Depth=1
	v_ffbh_u32_e32 v0, v9
	v_min_u32_e32 v0, 32, v0
	v_subrev_nc_u32_e32 v19, 28, v0
	v_lshlrev_b64 v[33:34], v19, v[9:10]
	v_sub_nc_u32_e32 v19, 29, v0
	v_and_b32_e32 v9, 7, v33
; %bb.749:                              ;   in Loop: Header=BB328_551 Depth=1
	s_or_b32 exec_lo, exec_lo, s29
	v_lshlrev_b32_e32 v0, 16, v17
	v_lshlrev_b32_e32 v9, 20, v9
	v_lshl_add_u32 v19, v19, 23, 0x3c000000
	v_and_b32_e32 v0, 0x80000000, v0
	v_or3_b32 v77, v9, v0, v19
.LBB328_750:                            ;   in Loop: Header=BB328_551 Depth=1
	s_or_b32 exec_lo, exec_lo, s28
.LBB328_751:                            ;   in Loop: Header=BB328_551 Depth=1
	s_or_b32 exec_lo, exec_lo, s27
.LBB328_752:                            ;   in Loop: Header=BB328_551 Depth=1
	s_or_b32 exec_lo, exec_lo, s26
	v_and_b32_sdwa v9, v17, v38 dst_sel:DWORD dst_unused:UNUSED_PAD src0_sel:WORD_1 src1_sel:DWORD
	v_mov_b32_e32 v79, 0
	v_mov_b32_e32 v76, 0
	s_mov_b32 s26, exec_lo
	v_cmpx_ne_u16_e32 0, v9
	s_cbranch_execz .LBB328_760
; %bb.753:                              ;   in Loop: Header=BB328_551 Depth=1
	v_bfrev_b32_e32 v76, 1
	s_mov_b32 s27, exec_lo
	v_cmpx_ne_u16_e32 0x80, v9
	s_cbranch_execz .LBB328_759
; %bb.754:                              ;   in Loop: Header=BB328_551 Depth=1
	v_bfe_u32 v20, v17, 16, 7
	v_mov_b32_e32 v76, 0x7f800001
	s_mov_b32 s28, exec_lo
	v_cmpx_ne_u32_e32 0x7f, v20
	s_cbranch_execz .LBB328_758
; %bb.755:                              ;   in Loop: Header=BB328_551 Depth=1
	v_and_b32_sdwa v9, v17, v39 dst_sel:DWORD dst_unused:UNUSED_PAD src0_sel:WORD_1 src1_sel:DWORD
	v_lshrrev_b32_e32 v19, 3, v20
	s_mov_b32 s29, exec_lo
	v_cmpx_gt_u32_e32 8, v20
; %bb.756:                              ;   in Loop: Header=BB328_551 Depth=1
	v_ffbh_u32_e32 v0, v9
	v_min_u32_e32 v0, 32, v0
	v_subrev_nc_u32_e32 v19, 28, v0
	v_lshlrev_b64 v[33:34], v19, v[9:10]
	v_sub_nc_u32_e32 v19, 29, v0
	v_and_b32_e32 v9, 7, v33
; %bb.757:                              ;   in Loop: Header=BB328_551 Depth=1
	s_or_b32 exec_lo, exec_lo, s29
	v_lshlrev_b32_sdwa v0, v40, v17 dst_sel:DWORD dst_unused:UNUSED_PAD src0_sel:DWORD src1_sel:WORD_1
	v_lshlrev_b32_e32 v9, 20, v9
	v_lshl_add_u32 v19, v19, 23, 0x3c000000
	v_and_b32_e32 v0, 0x80000000, v0
	v_or3_b32 v76, v9, v0, v19
.LBB328_758:                            ;   in Loop: Header=BB328_551 Depth=1
	s_or_b32 exec_lo, exec_lo, s28
.LBB328_759:                            ;   in Loop: Header=BB328_551 Depth=1
	s_or_b32 exec_lo, exec_lo, s27
.LBB328_760:                            ;   in Loop: Header=BB328_551 Depth=1
	s_or_b32 exec_lo, exec_lo, s26
	s_mov_b32 s26, exec_lo
	v_cmpx_lt_u32_e32 0xffffff, v17
	s_cbranch_execz .LBB328_768
; %bb.761:                              ;   in Loop: Header=BB328_551 Depth=1
	v_cmp_ne_u32_sdwa s1, v17, v32 src0_sel:BYTE_3 src1_sel:DWORD
	v_bfrev_b32_e32 v79, 1
	s_and_saveexec_b32 s27, s1
	s_cbranch_execz .LBB328_767
; %bb.762:                              ;   in Loop: Header=BB328_551 Depth=1
	v_bfe_u32 v20, v17, 24, 7
	v_mov_b32_e32 v79, 0x7f800001
	s_mov_b32 s28, exec_lo
	v_cmpx_ne_u32_e32 0x7f, v20
	s_cbranch_execz .LBB328_766
; %bb.763:                              ;   in Loop: Header=BB328_551 Depth=1
	v_and_b32_sdwa v9, v17, v39 dst_sel:DWORD dst_unused:UNUSED_PAD src0_sel:BYTE_3 src1_sel:DWORD
	v_lshrrev_b32_e32 v19, 3, v20
	s_mov_b32 s29, exec_lo
	v_cmpx_gt_u32_e32 8, v20
; %bb.764:                              ;   in Loop: Header=BB328_551 Depth=1
	v_ffbh_u32_e32 v0, v9
	v_min_u32_e32 v0, 32, v0
	v_subrev_nc_u32_e32 v19, 28, v0
	v_lshlrev_b64 v[33:34], v19, v[9:10]
	v_sub_nc_u32_e32 v19, 29, v0
	v_and_b32_e32 v9, 7, v33
; %bb.765:                              ;   in Loop: Header=BB328_551 Depth=1
	s_or_b32 exec_lo, exec_lo, s29
	v_lshlrev_b32_sdwa v0, v40, v17 dst_sel:DWORD dst_unused:UNUSED_PAD src0_sel:DWORD src1_sel:BYTE_3
	v_lshlrev_b32_e32 v9, 20, v9
	v_lshl_add_u32 v19, v19, 23, 0x3c000000
	v_and_b32_e32 v0, 0x80000000, v0
	v_or3_b32 v79, v9, v0, v19
.LBB328_766:                            ;   in Loop: Header=BB328_551 Depth=1
	s_or_b32 exec_lo, exec_lo, s28
.LBB328_767:                            ;   in Loop: Header=BB328_551 Depth=1
	s_or_b32 exec_lo, exec_lo, s27
.LBB328_768:                            ;   in Loop: Header=BB328_551 Depth=1
	s_or_b32 exec_lo, exec_lo, s26
	v_mov_b32_e32 v9, v18
	v_cmp_ne_u16_sdwa s1, v18, v10 src0_sel:BYTE_0 src1_sel:DWORD
	v_mov_b32_e32 v19, 0
	v_mov_b32_e32 v33, 0
	s_and_saveexec_b32 s26, s1
	s_cbranch_execz .LBB328_774
; %bb.769:                              ;   in Loop: Header=BB328_551 Depth=1
	v_cmp_ne_u16_sdwa s1, v18, v32 src0_sel:BYTE_0 src1_sel:DWORD
	v_bfrev_b32_e32 v33, 1
	s_and_saveexec_b32 s27, s1
	s_cbranch_execz .LBB328_773
; %bb.770:                              ;   in Loop: Header=BB328_551 Depth=1
	v_and_b32_e32 v20, 0x7f, v18
	v_mov_b32_e32 v33, 0x7f800001
	s_mov_b32 s28, exec_lo
	v_cmpx_ne_u32_e32 0x7f, v20
	s_cbranch_execz .LBB328_772
; %bb.771:                              ;   in Loop: Header=BB328_551 Depth=1
	v_and_b32_e32 v0, 7, v18
	v_cmp_gt_u32_e64 s1, 8, v20
	v_lshrrev_b32_e32 v33, 3, v20
	v_ffbh_u32_e32 v0, v0
	v_min_u32_e32 v0, 32, v0
	v_subrev_nc_u32_e32 v34, 28, v0
	v_sub_nc_u32_e32 v0, 29, v0
	v_cndmask_b32_e64 v20, 0, v34, s1
	v_cndmask_b32_e64 v0, v33, v0, s1
	v_lshlrev_b64 v[33:34], v20, v[9:10]
	v_lshlrev_b32_e32 v20, 24, v9
	v_lshl_add_u32 v0, v0, 23, 0x3c000000
	v_and_b32_e32 v20, 0x80000000, v20
	v_lshlrev_b32_e32 v33, 20, v33
	v_and_b32_e32 v33, 0x700000, v33
	v_or3_b32 v33, v33, v20, v0
.LBB328_772:                            ;   in Loop: Header=BB328_551 Depth=1
	s_or_b32 exec_lo, exec_lo, s28
.LBB328_773:                            ;   in Loop: Header=BB328_551 Depth=1
	s_or_b32 exec_lo, exec_lo, s27
.LBB328_774:                            ;   in Loop: Header=BB328_551 Depth=1
	s_or_b32 exec_lo, exec_lo, s26
	v_cmp_ne_u16_sdwa s1, v9, v10 src0_sel:BYTE_1 src1_sel:DWORD
	s_and_saveexec_b32 s26, s1
	s_cbranch_execz .LBB328_782
; %bb.775:                              ;   in Loop: Header=BB328_551 Depth=1
	v_cmp_ne_u16_sdwa s1, v9, v32 src0_sel:BYTE_1 src1_sel:DWORD
	v_bfrev_b32_e32 v19, 1
	s_and_saveexec_b32 s27, s1
	s_cbranch_execz .LBB328_781
; %bb.776:                              ;   in Loop: Header=BB328_551 Depth=1
	v_and_b32_sdwa v20, v37, v9 dst_sel:DWORD dst_unused:UNUSED_PAD src0_sel:DWORD src1_sel:BYTE_1
	v_mov_b32_e32 v19, 0x7f800001
	s_mov_b32 s28, exec_lo
	v_and_b32_e32 v80, 0x7f, v20
	v_cmpx_ne_u32_e32 0x7f, v80
	s_cbranch_execz .LBB328_780
; %bb.777:                              ;   in Loop: Header=BB328_551 Depth=1
	v_and_b32_e32 v19, 7, v20
	v_mov_b32_e32 v20, v10
	v_lshrrev_b32_e32 v34, 3, v80
	s_mov_b32 s29, exec_lo
	v_cmpx_gt_u32_e32 8, v80
; %bb.778:                              ;   in Loop: Header=BB328_551 Depth=1
	v_ffbh_u32_e32 v0, v19
	v_min_u32_e32 v0, 32, v0
	v_subrev_nc_u32_e32 v34, 28, v0
	v_lshlrev_b64 v[19:20], v34, v[19:20]
	v_sub_nc_u32_e32 v34, 29, v0
	v_and_b32_e32 v19, 7, v19
; %bb.779:                              ;   in Loop: Header=BB328_551 Depth=1
	s_or_b32 exec_lo, exec_lo, s29
	v_lshlrev_b32_e32 v0, 16, v9
	v_lshlrev_b32_e32 v9, 20, v19
	v_lshl_add_u32 v19, v34, 23, 0x3c000000
	v_and_b32_e32 v0, 0x80000000, v0
	v_or3_b32 v19, v9, v0, v19
.LBB328_780:                            ;   in Loop: Header=BB328_551 Depth=1
	s_or_b32 exec_lo, exec_lo, s28
.LBB328_781:                            ;   in Loop: Header=BB328_551 Depth=1
	s_or_b32 exec_lo, exec_lo, s27
.LBB328_782:                            ;   in Loop: Header=BB328_551 Depth=1
	s_or_b32 exec_lo, exec_lo, s26
	v_and_b32_sdwa v9, v18, v38 dst_sel:DWORD dst_unused:UNUSED_PAD src0_sel:WORD_1 src1_sel:DWORD
	v_mov_b32_e32 v20, 0
	v_mov_b32_e32 v34, 0
	s_mov_b32 s26, exec_lo
	v_cmpx_ne_u16_e32 0, v9
	s_cbranch_execz .LBB328_790
; %bb.783:                              ;   in Loop: Header=BB328_551 Depth=1
	v_bfrev_b32_e32 v34, 1
	s_mov_b32 s27, exec_lo
	v_cmpx_ne_u16_e32 0x80, v9
	s_cbranch_execz .LBB328_789
; %bb.784:                              ;   in Loop: Header=BB328_551 Depth=1
	v_bfe_u32 v80, v18, 16, 7
	v_mov_b32_e32 v34, 0x7f800001
	s_mov_b32 s28, exec_lo
	v_cmpx_ne_u32_e32 0x7f, v80
	s_cbranch_execz .LBB328_788
; %bb.785:                              ;   in Loop: Header=BB328_551 Depth=1
	v_and_b32_sdwa v9, v18, v39 dst_sel:DWORD dst_unused:UNUSED_PAD src0_sel:WORD_1 src1_sel:DWORD
	v_lshrrev_b32_e32 v34, 3, v80
	s_mov_b32 s29, exec_lo
	v_cmpx_gt_u32_e32 8, v80
; %bb.786:                              ;   in Loop: Header=BB328_551 Depth=1
	v_ffbh_u32_e32 v0, v9
	v_min_u32_e32 v0, 32, v0
	v_subrev_nc_u32_e32 v34, 28, v0
	v_lshlrev_b64 v[80:81], v34, v[9:10]
	v_sub_nc_u32_e32 v34, 29, v0
	v_and_b32_e32 v9, 7, v80
; %bb.787:                              ;   in Loop: Header=BB328_551 Depth=1
	s_or_b32 exec_lo, exec_lo, s29
	v_lshlrev_b32_sdwa v0, v40, v18 dst_sel:DWORD dst_unused:UNUSED_PAD src0_sel:DWORD src1_sel:WORD_1
	v_lshlrev_b32_e32 v9, 20, v9
	v_lshl_add_u32 v34, v34, 23, 0x3c000000
	v_and_b32_e32 v0, 0x80000000, v0
	v_or3_b32 v34, v9, v0, v34
.LBB328_788:                            ;   in Loop: Header=BB328_551 Depth=1
	s_or_b32 exec_lo, exec_lo, s28
.LBB328_789:                            ;   in Loop: Header=BB328_551 Depth=1
	s_or_b32 exec_lo, exec_lo, s27
.LBB328_790:                            ;   in Loop: Header=BB328_551 Depth=1
	s_or_b32 exec_lo, exec_lo, s26
	s_mov_b32 s26, exec_lo
	v_cmpx_lt_u64_e64 s[2:3], v[17:18]
	s_cbranch_execz .LBB328_798
; %bb.791:                              ;   in Loop: Header=BB328_551 Depth=1
	v_cmp_ne_u32_sdwa s1, v18, v32 src0_sel:BYTE_3 src1_sel:DWORD
	v_bfrev_b32_e32 v20, 1
	s_and_saveexec_b32 s27, s1
	s_cbranch_execz .LBB328_797
; %bb.792:                              ;   in Loop: Header=BB328_551 Depth=1
	v_bfe_u32 v80, v18, 24, 7
	v_mov_b32_e32 v20, 0x7f800001
	s_mov_b32 s28, exec_lo
	v_cmpx_ne_u32_e32 0x7f, v80
	s_cbranch_execz .LBB328_796
; %bb.793:                              ;   in Loop: Header=BB328_551 Depth=1
	v_and_b32_sdwa v9, v18, v39 dst_sel:DWORD dst_unused:UNUSED_PAD src0_sel:BYTE_3 src1_sel:DWORD
	v_lshrrev_b32_e32 v17, 3, v80
	s_mov_b32 s29, exec_lo
	v_cmpx_gt_u32_e32 8, v80
; %bb.794:                              ;   in Loop: Header=BB328_551 Depth=1
	v_ffbh_u32_e32 v0, v9
	v_min_u32_e32 v0, 32, v0
	v_subrev_nc_u32_e32 v17, 28, v0
	v_lshlrev_b64 v[80:81], v17, v[9:10]
	v_sub_nc_u32_e32 v17, 29, v0
	v_and_b32_e32 v9, 7, v80
; %bb.795:                              ;   in Loop: Header=BB328_551 Depth=1
	s_or_b32 exec_lo, exec_lo, s29
	v_lshlrev_b32_sdwa v0, v40, v18 dst_sel:DWORD dst_unused:UNUSED_PAD src0_sel:DWORD src1_sel:BYTE_3
	v_lshlrev_b32_e32 v9, 20, v9
	v_lshl_add_u32 v17, v17, 23, 0x3c000000
	v_and_b32_e32 v0, 0x80000000, v0
	v_or3_b32 v20, v9, v0, v17
.LBB328_796:                            ;   in Loop: Header=BB328_551 Depth=1
	s_or_b32 exec_lo, exec_lo, s28
.LBB328_797:                            ;   in Loop: Header=BB328_551 Depth=1
	s_or_b32 exec_lo, exec_lo, s27
.LBB328_798:                            ;   in Loop: Header=BB328_551 Depth=1
	s_or_b32 exec_lo, exec_lo, s26
	v_mul_f32_e32 v0, s22, v19
	v_mul_f32_e32 v9, s22, v33
	;; [unrolled: 1-line block ×5, first 2 shown]
	v_bfe_u32 v19, v0, 16, 1
	v_or_b32_e32 v33, 0x400000, v0
	v_bfe_u32 v35, v9, 16, 1
	v_cmp_u_f32_e64 s1, v0, v0
	v_or_b32_e32 v76, 0x400000, v9
	v_add3_u32 v19, v19, v0, 0x7fff
	v_bfe_u32 v79, v17, 16, 1
	v_add3_u32 v35, v35, v9, 0x7fff
	v_or_b32_e32 v80, 0x400000, v17
	v_bfe_u32 v81, v18, 16, 1
	v_cndmask_b32_e64 v0, v19, v33, s1
	v_cmp_u_f32_e64 s1, v9, v9
	v_add3_u32 v79, v79, v17, 0x7fff
	v_or_b32_e32 v33, 0x400000, v18
	v_add3_u32 v19, v81, v18, 0x7fff
	v_cndmask_b32_e64 v9, v35, v76, s1
	v_cmp_u_f32_e64 s1, v17, v17
	v_lshrrev_b32_e32 v76, 16, v0
	v_mul_f32_e32 v0, s22, v77
	v_lshrrev_b32_e32 v77, 16, v9
	v_cndmask_b32_e64 v17, v79, v80, s1
	v_cmp_u_f32_e64 s1, v18, v18
	v_bfe_u32 v9, v0, 16, 1
	v_mul_f32_e32 v18, s22, v78
	v_or_b32_e32 v80, 0x400000, v20
	v_lshrrev_b32_e32 v79, 16, v17
	v_cndmask_b32_e64 v17, v19, v33, s1
	v_mul_f32_e32 v19, s22, v34
	v_add3_u32 v9, v9, v0, 0x7fff
	v_or_b32_e32 v33, 0x400000, v0
	v_bfe_u32 v34, v18, 16, 1
	v_cmp_u_f32_e64 s1, v0, v0
	v_bfe_u32 v35, v19, 16, 1
	v_or_b32_e32 v78, 0x400000, v19
	v_lshrrev_b32_e32 v81, 16, v17
	v_cndmask_b32_e64 v0, v9, v33, s1
	v_add3_u32 v33, v34, v18, 0x7fff
	v_or_b32_e32 v34, 0x400000, v18
	v_cmp_u_f32_e64 s1, v18, v18
	v_bfe_u32 v9, v20, 16, 1
	v_add3_u32 v35, v35, v19, 0x7fff
	v_lshrrev_b32_e32 v83, 16, v0
	v_cndmask_b32_e64 v18, v33, v34, s1
	v_cmp_u_f32_e64 s1, v19, v19
	v_add3_u32 v9, v9, v20, 0x7fff
	v_lshrrev_b32_e32 v82, 16, v18
	v_cndmask_b32_e64 v19, v35, v78, s1
	v_cmp_u_f32_e64 s1, v20, v20
	v_lshrrev_b32_e32 v78, 16, v19
	v_cndmask_b32_e64 v9, v9, v80, s1
	v_lshrrev_b32_e32 v80, 16, v9
	s_and_saveexec_b32 s26, vcc_lo
	s_cbranch_execz .LBB328_800
; %bb.799:                              ;   in Loop: Header=BB328_551 Depth=1
	v_cmp_gt_i32_e64 s1, s33, v52
	v_cndmask_b32_e64 v82, 0, v82, s1
	v_cmp_gt_i32_e64 s1, s33, v64
	v_cndmask_b32_e64 v83, 0, v83, s1
	;; [unrolled: 2-line block ×8, first 2 shown]
.LBB328_800:                            ;   in Loop: Header=BB328_551 Depth=1
	s_or_b32 exec_lo, exec_lo, s26
	global_load_dwordx2 v[17:18], v[15:16], off offset:1024
	v_mov_b32_e32 v84, 0
	v_mov_b32_e32 v86, 0
	s_waitcnt vmcnt(0)
	v_cmp_ne_u16_sdwa s1, v17, v10 src0_sel:BYTE_0 src1_sel:DWORD
	s_and_saveexec_b32 s26, s1
	s_cbranch_execz .LBB328_806
; %bb.801:                              ;   in Loop: Header=BB328_551 Depth=1
	v_cmp_ne_u16_sdwa s1, v17, v32 src0_sel:BYTE_0 src1_sel:DWORD
	v_bfrev_b32_e32 v86, 1
	s_and_saveexec_b32 s27, s1
	s_cbranch_execz .LBB328_805
; %bb.802:                              ;   in Loop: Header=BB328_551 Depth=1
	v_and_b32_e32 v9, 0x7f, v17
	v_mov_b32_e32 v86, 0x7f800001
	s_mov_b32 s28, exec_lo
	v_cmpx_ne_u32_e32 0x7f, v9
	s_cbranch_execz .LBB328_804
; %bb.803:                              ;   in Loop: Header=BB328_551 Depth=1
	v_and_b32_e32 v0, 7, v17
	v_cmp_gt_u32_e64 s1, 8, v9
	v_lshrrev_b32_e32 v19, 3, v9
	v_ffbh_u32_e32 v0, v0
	v_min_u32_e32 v0, 32, v0
	v_subrev_nc_u32_e32 v20, 28, v0
	v_sub_nc_u32_e32 v0, 29, v0
	v_cndmask_b32_e64 v9, 0, v20, s1
	v_cndmask_b32_e64 v0, v19, v0, s1
	v_lshlrev_b64 v[19:20], v9, v[17:18]
	v_lshlrev_b32_e32 v9, 24, v17
	v_lshl_add_u32 v0, v0, 23, 0x3c000000
	v_and_b32_e32 v9, 0x80000000, v9
	v_lshlrev_b32_e32 v19, 20, v19
	v_and_b32_e32 v19, 0x700000, v19
	v_or3_b32 v86, v19, v9, v0
.LBB328_804:                            ;   in Loop: Header=BB328_551 Depth=1
	s_or_b32 exec_lo, exec_lo, s28
.LBB328_805:                            ;   in Loop: Header=BB328_551 Depth=1
	s_or_b32 exec_lo, exec_lo, s27
.LBB328_806:                            ;   in Loop: Header=BB328_551 Depth=1
	s_or_b32 exec_lo, exec_lo, s26
	v_cmp_ne_u16_sdwa s1, v17, v10 src0_sel:BYTE_1 src1_sel:DWORD
	s_and_saveexec_b32 s26, s1
	s_cbranch_execz .LBB328_814
; %bb.807:                              ;   in Loop: Header=BB328_551 Depth=1
	v_cmp_ne_u16_sdwa s1, v17, v32 src0_sel:BYTE_1 src1_sel:DWORD
	v_bfrev_b32_e32 v84, 1
	s_and_saveexec_b32 s27, s1
	s_cbranch_execz .LBB328_813
; %bb.808:                              ;   in Loop: Header=BB328_551 Depth=1
	v_and_b32_sdwa v9, v37, v17 dst_sel:DWORD dst_unused:UNUSED_PAD src0_sel:DWORD src1_sel:BYTE_1
	v_mov_b32_e32 v84, 0x7f800001
	s_mov_b32 s28, exec_lo
	v_and_b32_e32 v20, 0x7f, v9
	v_cmpx_ne_u32_e32 0x7f, v20
	s_cbranch_execz .LBB328_812
; %bb.809:                              ;   in Loop: Header=BB328_551 Depth=1
	v_and_b32_e32 v9, 7, v9
	v_lshrrev_b32_e32 v19, 3, v20
	s_mov_b32 s29, exec_lo
	v_cmpx_gt_u32_e32 8, v20
; %bb.810:                              ;   in Loop: Header=BB328_551 Depth=1
	v_ffbh_u32_e32 v0, v9
	v_min_u32_e32 v0, 32, v0
	v_subrev_nc_u32_e32 v19, 28, v0
	v_lshlrev_b64 v[33:34], v19, v[9:10]
	v_sub_nc_u32_e32 v19, 29, v0
	v_and_b32_e32 v9, 7, v33
; %bb.811:                              ;   in Loop: Header=BB328_551 Depth=1
	s_or_b32 exec_lo, exec_lo, s29
	v_lshlrev_b32_e32 v0, 16, v17
	v_lshlrev_b32_e32 v9, 20, v9
	v_lshl_add_u32 v19, v19, 23, 0x3c000000
	v_and_b32_e32 v0, 0x80000000, v0
	v_or3_b32 v84, v9, v0, v19
.LBB328_812:                            ;   in Loop: Header=BB328_551 Depth=1
	s_or_b32 exec_lo, exec_lo, s28
.LBB328_813:                            ;   in Loop: Header=BB328_551 Depth=1
	s_or_b32 exec_lo, exec_lo, s27
.LBB328_814:                            ;   in Loop: Header=BB328_551 Depth=1
	s_or_b32 exec_lo, exec_lo, s26
	v_and_b32_sdwa v9, v17, v38 dst_sel:DWORD dst_unused:UNUSED_PAD src0_sel:WORD_1 src1_sel:DWORD
	v_mov_b32_e32 v87, 0
	v_mov_b32_e32 v85, 0
	s_mov_b32 s26, exec_lo
	v_cmpx_ne_u16_e32 0, v9
	s_cbranch_execz .LBB328_822
; %bb.815:                              ;   in Loop: Header=BB328_551 Depth=1
	v_bfrev_b32_e32 v85, 1
	s_mov_b32 s27, exec_lo
	v_cmpx_ne_u16_e32 0x80, v9
	s_cbranch_execz .LBB328_821
; %bb.816:                              ;   in Loop: Header=BB328_551 Depth=1
	v_bfe_u32 v20, v17, 16, 7
	v_mov_b32_e32 v85, 0x7f800001
	s_mov_b32 s28, exec_lo
	v_cmpx_ne_u32_e32 0x7f, v20
	s_cbranch_execz .LBB328_820
; %bb.817:                              ;   in Loop: Header=BB328_551 Depth=1
	v_and_b32_sdwa v9, v17, v39 dst_sel:DWORD dst_unused:UNUSED_PAD src0_sel:WORD_1 src1_sel:DWORD
	v_lshrrev_b32_e32 v19, 3, v20
	s_mov_b32 s29, exec_lo
	v_cmpx_gt_u32_e32 8, v20
; %bb.818:                              ;   in Loop: Header=BB328_551 Depth=1
	v_ffbh_u32_e32 v0, v9
	v_min_u32_e32 v0, 32, v0
	v_subrev_nc_u32_e32 v19, 28, v0
	v_lshlrev_b64 v[33:34], v19, v[9:10]
	v_sub_nc_u32_e32 v19, 29, v0
	v_and_b32_e32 v9, 7, v33
; %bb.819:                              ;   in Loop: Header=BB328_551 Depth=1
	s_or_b32 exec_lo, exec_lo, s29
	v_lshlrev_b32_sdwa v0, v40, v17 dst_sel:DWORD dst_unused:UNUSED_PAD src0_sel:DWORD src1_sel:WORD_1
	v_lshlrev_b32_e32 v9, 20, v9
	v_lshl_add_u32 v19, v19, 23, 0x3c000000
	v_and_b32_e32 v0, 0x80000000, v0
	v_or3_b32 v85, v9, v0, v19
.LBB328_820:                            ;   in Loop: Header=BB328_551 Depth=1
	s_or_b32 exec_lo, exec_lo, s28
.LBB328_821:                            ;   in Loop: Header=BB328_551 Depth=1
	s_or_b32 exec_lo, exec_lo, s27
.LBB328_822:                            ;   in Loop: Header=BB328_551 Depth=1
	s_or_b32 exec_lo, exec_lo, s26
	s_mov_b32 s26, exec_lo
	v_cmpx_lt_u32_e32 0xffffff, v17
	s_cbranch_execz .LBB328_830
; %bb.823:                              ;   in Loop: Header=BB328_551 Depth=1
	v_cmp_ne_u32_sdwa s1, v17, v32 src0_sel:BYTE_3 src1_sel:DWORD
	v_bfrev_b32_e32 v87, 1
	s_and_saveexec_b32 s27, s1
	s_cbranch_execz .LBB328_829
; %bb.824:                              ;   in Loop: Header=BB328_551 Depth=1
	v_bfe_u32 v20, v17, 24, 7
	v_mov_b32_e32 v87, 0x7f800001
	s_mov_b32 s28, exec_lo
	v_cmpx_ne_u32_e32 0x7f, v20
	s_cbranch_execz .LBB328_828
; %bb.825:                              ;   in Loop: Header=BB328_551 Depth=1
	v_and_b32_sdwa v9, v17, v39 dst_sel:DWORD dst_unused:UNUSED_PAD src0_sel:BYTE_3 src1_sel:DWORD
	v_lshrrev_b32_e32 v19, 3, v20
	s_mov_b32 s29, exec_lo
	v_cmpx_gt_u32_e32 8, v20
; %bb.826:                              ;   in Loop: Header=BB328_551 Depth=1
	v_ffbh_u32_e32 v0, v9
	v_min_u32_e32 v0, 32, v0
	v_subrev_nc_u32_e32 v19, 28, v0
	v_lshlrev_b64 v[33:34], v19, v[9:10]
	v_sub_nc_u32_e32 v19, 29, v0
	v_and_b32_e32 v9, 7, v33
; %bb.827:                              ;   in Loop: Header=BB328_551 Depth=1
	s_or_b32 exec_lo, exec_lo, s29
	v_lshlrev_b32_sdwa v0, v40, v17 dst_sel:DWORD dst_unused:UNUSED_PAD src0_sel:DWORD src1_sel:BYTE_3
	v_lshlrev_b32_e32 v9, 20, v9
	v_lshl_add_u32 v19, v19, 23, 0x3c000000
	v_and_b32_e32 v0, 0x80000000, v0
	v_or3_b32 v87, v9, v0, v19
.LBB328_828:                            ;   in Loop: Header=BB328_551 Depth=1
	s_or_b32 exec_lo, exec_lo, s28
.LBB328_829:                            ;   in Loop: Header=BB328_551 Depth=1
	s_or_b32 exec_lo, exec_lo, s27
.LBB328_830:                            ;   in Loop: Header=BB328_551 Depth=1
	s_or_b32 exec_lo, exec_lo, s26
	v_mov_b32_e32 v9, v18
	v_cmp_ne_u16_sdwa s1, v18, v10 src0_sel:BYTE_0 src1_sel:DWORD
	v_mov_b32_e32 v19, 0
	v_mov_b32_e32 v33, 0
	s_and_saveexec_b32 s26, s1
	s_cbranch_execz .LBB328_836
; %bb.831:                              ;   in Loop: Header=BB328_551 Depth=1
	v_cmp_ne_u16_sdwa s1, v18, v32 src0_sel:BYTE_0 src1_sel:DWORD
	v_bfrev_b32_e32 v33, 1
	s_and_saveexec_b32 s27, s1
	s_cbranch_execz .LBB328_835
; %bb.832:                              ;   in Loop: Header=BB328_551 Depth=1
	v_and_b32_e32 v20, 0x7f, v18
	v_mov_b32_e32 v33, 0x7f800001
	s_mov_b32 s28, exec_lo
	v_cmpx_ne_u32_e32 0x7f, v20
	s_cbranch_execz .LBB328_834
; %bb.833:                              ;   in Loop: Header=BB328_551 Depth=1
	v_and_b32_e32 v0, 7, v18
	v_cmp_gt_u32_e64 s1, 8, v20
	v_lshrrev_b32_e32 v33, 3, v20
	v_ffbh_u32_e32 v0, v0
	v_min_u32_e32 v0, 32, v0
	v_subrev_nc_u32_e32 v34, 28, v0
	v_sub_nc_u32_e32 v0, 29, v0
	v_cndmask_b32_e64 v20, 0, v34, s1
	v_cndmask_b32_e64 v0, v33, v0, s1
	v_lshlrev_b64 v[33:34], v20, v[9:10]
	v_lshlrev_b32_e32 v20, 24, v9
	v_lshl_add_u32 v0, v0, 23, 0x3c000000
	v_and_b32_e32 v20, 0x80000000, v20
	v_lshlrev_b32_e32 v33, 20, v33
	v_and_b32_e32 v33, 0x700000, v33
	v_or3_b32 v33, v33, v20, v0
.LBB328_834:                            ;   in Loop: Header=BB328_551 Depth=1
	s_or_b32 exec_lo, exec_lo, s28
.LBB328_835:                            ;   in Loop: Header=BB328_551 Depth=1
	s_or_b32 exec_lo, exec_lo, s27
.LBB328_836:                            ;   in Loop: Header=BB328_551 Depth=1
	s_or_b32 exec_lo, exec_lo, s26
	v_cmp_ne_u16_sdwa s1, v9, v10 src0_sel:BYTE_1 src1_sel:DWORD
	s_and_saveexec_b32 s26, s1
	s_cbranch_execz .LBB328_844
; %bb.837:                              ;   in Loop: Header=BB328_551 Depth=1
	v_cmp_ne_u16_sdwa s1, v9, v32 src0_sel:BYTE_1 src1_sel:DWORD
	v_bfrev_b32_e32 v19, 1
	s_and_saveexec_b32 s27, s1
	s_cbranch_execz .LBB328_843
; %bb.838:                              ;   in Loop: Header=BB328_551 Depth=1
	v_and_b32_sdwa v20, v37, v9 dst_sel:DWORD dst_unused:UNUSED_PAD src0_sel:DWORD src1_sel:BYTE_1
	v_mov_b32_e32 v19, 0x7f800001
	s_mov_b32 s28, exec_lo
	v_and_b32_e32 v88, 0x7f, v20
	v_cmpx_ne_u32_e32 0x7f, v88
	s_cbranch_execz .LBB328_842
; %bb.839:                              ;   in Loop: Header=BB328_551 Depth=1
	v_and_b32_e32 v19, 7, v20
	v_mov_b32_e32 v20, v10
	v_lshrrev_b32_e32 v34, 3, v88
	s_mov_b32 s29, exec_lo
	v_cmpx_gt_u32_e32 8, v88
; %bb.840:                              ;   in Loop: Header=BB328_551 Depth=1
	v_ffbh_u32_e32 v0, v19
	v_min_u32_e32 v0, 32, v0
	v_subrev_nc_u32_e32 v34, 28, v0
	v_lshlrev_b64 v[19:20], v34, v[19:20]
	v_sub_nc_u32_e32 v34, 29, v0
	v_and_b32_e32 v19, 7, v19
; %bb.841:                              ;   in Loop: Header=BB328_551 Depth=1
	s_or_b32 exec_lo, exec_lo, s29
	v_lshlrev_b32_e32 v0, 16, v9
	v_lshlrev_b32_e32 v9, 20, v19
	v_lshl_add_u32 v19, v34, 23, 0x3c000000
	v_and_b32_e32 v0, 0x80000000, v0
	v_or3_b32 v19, v9, v0, v19
.LBB328_842:                            ;   in Loop: Header=BB328_551 Depth=1
	s_or_b32 exec_lo, exec_lo, s28
.LBB328_843:                            ;   in Loop: Header=BB328_551 Depth=1
	s_or_b32 exec_lo, exec_lo, s27
.LBB328_844:                            ;   in Loop: Header=BB328_551 Depth=1
	s_or_b32 exec_lo, exec_lo, s26
	v_and_b32_sdwa v9, v18, v38 dst_sel:DWORD dst_unused:UNUSED_PAD src0_sel:WORD_1 src1_sel:DWORD
	v_mov_b32_e32 v20, 0
	v_mov_b32_e32 v34, 0
	s_mov_b32 s26, exec_lo
	v_cmpx_ne_u16_e32 0, v9
	s_cbranch_execz .LBB328_852
; %bb.845:                              ;   in Loop: Header=BB328_551 Depth=1
	v_bfrev_b32_e32 v34, 1
	s_mov_b32 s27, exec_lo
	v_cmpx_ne_u16_e32 0x80, v9
	s_cbranch_execz .LBB328_851
; %bb.846:                              ;   in Loop: Header=BB328_551 Depth=1
	v_bfe_u32 v88, v18, 16, 7
	v_mov_b32_e32 v34, 0x7f800001
	s_mov_b32 s28, exec_lo
	v_cmpx_ne_u32_e32 0x7f, v88
	s_cbranch_execz .LBB328_850
; %bb.847:                              ;   in Loop: Header=BB328_551 Depth=1
	v_and_b32_sdwa v9, v18, v39 dst_sel:DWORD dst_unused:UNUSED_PAD src0_sel:WORD_1 src1_sel:DWORD
	v_lshrrev_b32_e32 v34, 3, v88
	s_mov_b32 s29, exec_lo
	v_cmpx_gt_u32_e32 8, v88
; %bb.848:                              ;   in Loop: Header=BB328_551 Depth=1
	v_ffbh_u32_e32 v0, v9
	v_min_u32_e32 v0, 32, v0
	v_subrev_nc_u32_e32 v34, 28, v0
	v_lshlrev_b64 v[88:89], v34, v[9:10]
	v_sub_nc_u32_e32 v34, 29, v0
	v_and_b32_e32 v9, 7, v88
; %bb.849:                              ;   in Loop: Header=BB328_551 Depth=1
	s_or_b32 exec_lo, exec_lo, s29
	v_lshlrev_b32_sdwa v0, v40, v18 dst_sel:DWORD dst_unused:UNUSED_PAD src0_sel:DWORD src1_sel:WORD_1
	v_lshlrev_b32_e32 v9, 20, v9
	v_lshl_add_u32 v34, v34, 23, 0x3c000000
	v_and_b32_e32 v0, 0x80000000, v0
	v_or3_b32 v34, v9, v0, v34
.LBB328_850:                            ;   in Loop: Header=BB328_551 Depth=1
	s_or_b32 exec_lo, exec_lo, s28
.LBB328_851:                            ;   in Loop: Header=BB328_551 Depth=1
	s_or_b32 exec_lo, exec_lo, s27
.LBB328_852:                            ;   in Loop: Header=BB328_551 Depth=1
	s_or_b32 exec_lo, exec_lo, s26
	s_mov_b32 s26, exec_lo
	v_cmpx_lt_u64_e64 s[2:3], v[17:18]
	s_cbranch_execz .LBB328_860
; %bb.853:                              ;   in Loop: Header=BB328_551 Depth=1
	v_cmp_ne_u32_sdwa s1, v18, v32 src0_sel:BYTE_3 src1_sel:DWORD
	v_bfrev_b32_e32 v20, 1
	s_and_saveexec_b32 s27, s1
	s_cbranch_execz .LBB328_859
; %bb.854:                              ;   in Loop: Header=BB328_551 Depth=1
	v_bfe_u32 v88, v18, 24, 7
	v_mov_b32_e32 v20, 0x7f800001
	s_mov_b32 s28, exec_lo
	v_cmpx_ne_u32_e32 0x7f, v88
	s_cbranch_execz .LBB328_858
; %bb.855:                              ;   in Loop: Header=BB328_551 Depth=1
	v_and_b32_sdwa v9, v18, v39 dst_sel:DWORD dst_unused:UNUSED_PAD src0_sel:BYTE_3 src1_sel:DWORD
	v_lshrrev_b32_e32 v17, 3, v88
	s_mov_b32 s29, exec_lo
	v_cmpx_gt_u32_e32 8, v88
; %bb.856:                              ;   in Loop: Header=BB328_551 Depth=1
	v_ffbh_u32_e32 v0, v9
	v_min_u32_e32 v0, 32, v0
	v_subrev_nc_u32_e32 v17, 28, v0
	v_lshlrev_b64 v[88:89], v17, v[9:10]
	v_sub_nc_u32_e32 v17, 29, v0
	v_and_b32_e32 v9, 7, v88
; %bb.857:                              ;   in Loop: Header=BB328_551 Depth=1
	s_or_b32 exec_lo, exec_lo, s29
	v_lshlrev_b32_sdwa v0, v40, v18 dst_sel:DWORD dst_unused:UNUSED_PAD src0_sel:DWORD src1_sel:BYTE_3
	v_lshlrev_b32_e32 v9, 20, v9
	v_lshl_add_u32 v17, v17, 23, 0x3c000000
	v_and_b32_e32 v0, 0x80000000, v0
	v_or3_b32 v20, v9, v0, v17
.LBB328_858:                            ;   in Loop: Header=BB328_551 Depth=1
	s_or_b32 exec_lo, exec_lo, s28
.LBB328_859:                            ;   in Loop: Header=BB328_551 Depth=1
	s_or_b32 exec_lo, exec_lo, s27
.LBB328_860:                            ;   in Loop: Header=BB328_551 Depth=1
	s_or_b32 exec_lo, exec_lo, s26
	v_mul_f32_e32 v0, s22, v19
	v_mul_f32_e32 v9, s22, v33
	;; [unrolled: 1-line block ×5, first 2 shown]
	v_bfe_u32 v19, v0, 16, 1
	v_or_b32_e32 v33, 0x400000, v0
	v_bfe_u32 v35, v9, 16, 1
	v_cmp_u_f32_e64 s1, v0, v0
	v_or_b32_e32 v85, 0x400000, v9
	v_add3_u32 v19, v19, v0, 0x7fff
	v_bfe_u32 v87, v17, 16, 1
	v_add3_u32 v35, v35, v9, 0x7fff
	v_or_b32_e32 v88, 0x400000, v17
	v_bfe_u32 v89, v18, 16, 1
	v_cndmask_b32_e64 v0, v19, v33, s1
	v_cmp_u_f32_e64 s1, v9, v9
	v_add3_u32 v87, v87, v17, 0x7fff
	v_or_b32_e32 v33, 0x400000, v18
	v_add3_u32 v19, v89, v18, 0x7fff
	v_cndmask_b32_e64 v9, v35, v85, s1
	v_cmp_u_f32_e64 s1, v17, v17
	v_lshrrev_b32_e32 v85, 16, v0
	v_mul_f32_e32 v0, s22, v84
	v_lshrrev_b32_e32 v84, 16, v9
	v_cndmask_b32_e64 v17, v87, v88, s1
	v_cmp_u_f32_e64 s1, v18, v18
	v_bfe_u32 v9, v0, 16, 1
	v_mul_f32_e32 v18, s22, v86
	v_or_b32_e32 v88, 0x400000, v20
	v_lshrrev_b32_e32 v87, 16, v17
	v_cndmask_b32_e64 v17, v19, v33, s1
	v_mul_f32_e32 v19, s22, v34
	v_add3_u32 v9, v9, v0, 0x7fff
	v_or_b32_e32 v33, 0x400000, v0
	v_bfe_u32 v34, v18, 16, 1
	v_cmp_u_f32_e64 s1, v0, v0
	v_bfe_u32 v35, v19, 16, 1
	v_or_b32_e32 v86, 0x400000, v19
	v_lshrrev_b32_e32 v89, 16, v17
	v_cndmask_b32_e64 v0, v9, v33, s1
	v_add3_u32 v33, v34, v18, 0x7fff
	v_or_b32_e32 v34, 0x400000, v18
	v_cmp_u_f32_e64 s1, v18, v18
	v_bfe_u32 v9, v20, 16, 1
	v_add3_u32 v35, v35, v19, 0x7fff
	v_lshrrev_b32_e32 v91, 16, v0
	v_cndmask_b32_e64 v18, v33, v34, s1
	v_cmp_u_f32_e64 s1, v19, v19
	v_add3_u32 v9, v9, v20, 0x7fff
	v_lshrrev_b32_e32 v90, 16, v18
	v_cndmask_b32_e64 v19, v35, v86, s1
	v_cmp_u_f32_e64 s1, v20, v20
	v_lshrrev_b32_e32 v86, 16, v19
	v_cndmask_b32_e64 v9, v9, v88, s1
	v_lshrrev_b32_e32 v88, 16, v9
	s_and_saveexec_b32 s26, vcc_lo
	s_cbranch_execz .LBB328_862
; %bb.861:                              ;   in Loop: Header=BB328_551 Depth=1
	v_cmp_gt_i32_e64 s1, s33, v52
	v_cndmask_b32_e64 v90, 0, v90, s1
	v_cmp_gt_i32_e64 s1, s33, v64
	v_cndmask_b32_e64 v91, 0, v91, s1
	;; [unrolled: 2-line block ×8, first 2 shown]
.LBB328_862:                            ;   in Loop: Header=BB328_551 Depth=1
	s_or_b32 exec_lo, exec_lo, s26
	global_load_dwordx2 v[17:18], v[15:16], off offset:1280
	v_mov_b32_e32 v93, 0
	v_mov_b32_e32 v94, 0
	s_waitcnt vmcnt(0)
	v_cmp_ne_u16_sdwa s1, v17, v10 src0_sel:BYTE_0 src1_sel:DWORD
	s_and_saveexec_b32 s26, s1
	s_cbranch_execz .LBB328_868
; %bb.863:                              ;   in Loop: Header=BB328_551 Depth=1
	v_cmp_ne_u16_sdwa s1, v17, v32 src0_sel:BYTE_0 src1_sel:DWORD
	v_bfrev_b32_e32 v94, 1
	s_and_saveexec_b32 s27, s1
	s_cbranch_execz .LBB328_867
; %bb.864:                              ;   in Loop: Header=BB328_551 Depth=1
	v_and_b32_e32 v9, 0x7f, v17
	v_mov_b32_e32 v94, 0x7f800001
	s_mov_b32 s28, exec_lo
	v_cmpx_ne_u32_e32 0x7f, v9
	s_cbranch_execz .LBB328_866
; %bb.865:                              ;   in Loop: Header=BB328_551 Depth=1
	v_and_b32_e32 v0, 7, v17
	v_cmp_gt_u32_e64 s1, 8, v9
	v_lshrrev_b32_e32 v19, 3, v9
	v_ffbh_u32_e32 v0, v0
	v_min_u32_e32 v0, 32, v0
	v_subrev_nc_u32_e32 v20, 28, v0
	v_sub_nc_u32_e32 v0, 29, v0
	v_cndmask_b32_e64 v9, 0, v20, s1
	v_cndmask_b32_e64 v0, v19, v0, s1
	v_lshlrev_b64 v[19:20], v9, v[17:18]
	v_lshlrev_b32_e32 v9, 24, v17
	v_lshl_add_u32 v0, v0, 23, 0x3c000000
	v_and_b32_e32 v9, 0x80000000, v9
	v_lshlrev_b32_e32 v19, 20, v19
	v_and_b32_e32 v19, 0x700000, v19
	v_or3_b32 v94, v19, v9, v0
.LBB328_866:                            ;   in Loop: Header=BB328_551 Depth=1
	s_or_b32 exec_lo, exec_lo, s28
.LBB328_867:                            ;   in Loop: Header=BB328_551 Depth=1
	s_or_b32 exec_lo, exec_lo, s27
.LBB328_868:                            ;   in Loop: Header=BB328_551 Depth=1
	s_or_b32 exec_lo, exec_lo, s26
	v_cmp_ne_u16_sdwa s1, v17, v10 src0_sel:BYTE_1 src1_sel:DWORD
	s_and_saveexec_b32 s26, s1
	s_cbranch_execz .LBB328_876
; %bb.869:                              ;   in Loop: Header=BB328_551 Depth=1
	v_cmp_ne_u16_sdwa s1, v17, v32 src0_sel:BYTE_1 src1_sel:DWORD
	v_bfrev_b32_e32 v93, 1
	s_and_saveexec_b32 s27, s1
	s_cbranch_execz .LBB328_875
; %bb.870:                              ;   in Loop: Header=BB328_551 Depth=1
	v_and_b32_sdwa v9, v37, v17 dst_sel:DWORD dst_unused:UNUSED_PAD src0_sel:DWORD src1_sel:BYTE_1
	v_mov_b32_e32 v93, 0x7f800001
	s_mov_b32 s28, exec_lo
	v_and_b32_e32 v20, 0x7f, v9
	v_cmpx_ne_u32_e32 0x7f, v20
	s_cbranch_execz .LBB328_874
; %bb.871:                              ;   in Loop: Header=BB328_551 Depth=1
	v_and_b32_e32 v9, 7, v9
	v_lshrrev_b32_e32 v19, 3, v20
	s_mov_b32 s29, exec_lo
	v_cmpx_gt_u32_e32 8, v20
; %bb.872:                              ;   in Loop: Header=BB328_551 Depth=1
	v_ffbh_u32_e32 v0, v9
	v_min_u32_e32 v0, 32, v0
	v_subrev_nc_u32_e32 v19, 28, v0
	v_lshlrev_b64 v[33:34], v19, v[9:10]
	v_sub_nc_u32_e32 v19, 29, v0
	v_and_b32_e32 v9, 7, v33
; %bb.873:                              ;   in Loop: Header=BB328_551 Depth=1
	s_or_b32 exec_lo, exec_lo, s29
	v_lshlrev_b32_e32 v0, 16, v17
	v_lshlrev_b32_e32 v9, 20, v9
	v_lshl_add_u32 v19, v19, 23, 0x3c000000
	v_and_b32_e32 v0, 0x80000000, v0
	v_or3_b32 v93, v9, v0, v19
.LBB328_874:                            ;   in Loop: Header=BB328_551 Depth=1
	s_or_b32 exec_lo, exec_lo, s28
.LBB328_875:                            ;   in Loop: Header=BB328_551 Depth=1
	s_or_b32 exec_lo, exec_lo, s27
.LBB328_876:                            ;   in Loop: Header=BB328_551 Depth=1
	s_or_b32 exec_lo, exec_lo, s26
	v_and_b32_sdwa v9, v17, v38 dst_sel:DWORD dst_unused:UNUSED_PAD src0_sel:WORD_1 src1_sel:DWORD
	v_mov_b32_e32 v95, 0
	v_mov_b32_e32 v92, 0
	s_mov_b32 s26, exec_lo
	v_cmpx_ne_u16_e32 0, v9
	s_cbranch_execz .LBB328_884
; %bb.877:                              ;   in Loop: Header=BB328_551 Depth=1
	v_bfrev_b32_e32 v92, 1
	s_mov_b32 s27, exec_lo
	v_cmpx_ne_u16_e32 0x80, v9
	s_cbranch_execz .LBB328_883
; %bb.878:                              ;   in Loop: Header=BB328_551 Depth=1
	v_bfe_u32 v20, v17, 16, 7
	v_mov_b32_e32 v92, 0x7f800001
	s_mov_b32 s28, exec_lo
	v_cmpx_ne_u32_e32 0x7f, v20
	s_cbranch_execz .LBB328_882
; %bb.879:                              ;   in Loop: Header=BB328_551 Depth=1
	v_and_b32_sdwa v9, v17, v39 dst_sel:DWORD dst_unused:UNUSED_PAD src0_sel:WORD_1 src1_sel:DWORD
	v_lshrrev_b32_e32 v19, 3, v20
	s_mov_b32 s29, exec_lo
	v_cmpx_gt_u32_e32 8, v20
; %bb.880:                              ;   in Loop: Header=BB328_551 Depth=1
	v_ffbh_u32_e32 v0, v9
	v_min_u32_e32 v0, 32, v0
	v_subrev_nc_u32_e32 v19, 28, v0
	v_lshlrev_b64 v[33:34], v19, v[9:10]
	v_sub_nc_u32_e32 v19, 29, v0
	v_and_b32_e32 v9, 7, v33
; %bb.881:                              ;   in Loop: Header=BB328_551 Depth=1
	s_or_b32 exec_lo, exec_lo, s29
	v_lshlrev_b32_sdwa v0, v40, v17 dst_sel:DWORD dst_unused:UNUSED_PAD src0_sel:DWORD src1_sel:WORD_1
	v_lshlrev_b32_e32 v9, 20, v9
	v_lshl_add_u32 v19, v19, 23, 0x3c000000
	v_and_b32_e32 v0, 0x80000000, v0
	v_or3_b32 v92, v9, v0, v19
.LBB328_882:                            ;   in Loop: Header=BB328_551 Depth=1
	s_or_b32 exec_lo, exec_lo, s28
.LBB328_883:                            ;   in Loop: Header=BB328_551 Depth=1
	s_or_b32 exec_lo, exec_lo, s27
.LBB328_884:                            ;   in Loop: Header=BB328_551 Depth=1
	s_or_b32 exec_lo, exec_lo, s26
	s_mov_b32 s26, exec_lo
	v_cmpx_lt_u32_e32 0xffffff, v17
	s_cbranch_execz .LBB328_892
; %bb.885:                              ;   in Loop: Header=BB328_551 Depth=1
	v_cmp_ne_u32_sdwa s1, v17, v32 src0_sel:BYTE_3 src1_sel:DWORD
	v_bfrev_b32_e32 v95, 1
	s_and_saveexec_b32 s27, s1
	s_cbranch_execz .LBB328_891
; %bb.886:                              ;   in Loop: Header=BB328_551 Depth=1
	v_bfe_u32 v20, v17, 24, 7
	v_mov_b32_e32 v95, 0x7f800001
	s_mov_b32 s28, exec_lo
	v_cmpx_ne_u32_e32 0x7f, v20
	s_cbranch_execz .LBB328_890
; %bb.887:                              ;   in Loop: Header=BB328_551 Depth=1
	v_and_b32_sdwa v9, v17, v39 dst_sel:DWORD dst_unused:UNUSED_PAD src0_sel:BYTE_3 src1_sel:DWORD
	v_lshrrev_b32_e32 v19, 3, v20
	s_mov_b32 s29, exec_lo
	v_cmpx_gt_u32_e32 8, v20
; %bb.888:                              ;   in Loop: Header=BB328_551 Depth=1
	v_ffbh_u32_e32 v0, v9
	v_min_u32_e32 v0, 32, v0
	v_subrev_nc_u32_e32 v19, 28, v0
	v_lshlrev_b64 v[33:34], v19, v[9:10]
	v_sub_nc_u32_e32 v19, 29, v0
	v_and_b32_e32 v9, 7, v33
; %bb.889:                              ;   in Loop: Header=BB328_551 Depth=1
	s_or_b32 exec_lo, exec_lo, s29
	v_lshlrev_b32_sdwa v0, v40, v17 dst_sel:DWORD dst_unused:UNUSED_PAD src0_sel:DWORD src1_sel:BYTE_3
	v_lshlrev_b32_e32 v9, 20, v9
	v_lshl_add_u32 v19, v19, 23, 0x3c000000
	v_and_b32_e32 v0, 0x80000000, v0
	v_or3_b32 v95, v9, v0, v19
.LBB328_890:                            ;   in Loop: Header=BB328_551 Depth=1
	s_or_b32 exec_lo, exec_lo, s28
.LBB328_891:                            ;   in Loop: Header=BB328_551 Depth=1
	s_or_b32 exec_lo, exec_lo, s27
.LBB328_892:                            ;   in Loop: Header=BB328_551 Depth=1
	s_or_b32 exec_lo, exec_lo, s26
	v_mov_b32_e32 v9, v18
	v_cmp_ne_u16_sdwa s1, v18, v10 src0_sel:BYTE_0 src1_sel:DWORD
	v_mov_b32_e32 v19, 0
	v_mov_b32_e32 v33, 0
	s_and_saveexec_b32 s26, s1
	s_cbranch_execz .LBB328_898
; %bb.893:                              ;   in Loop: Header=BB328_551 Depth=1
	v_cmp_ne_u16_sdwa s1, v18, v32 src0_sel:BYTE_0 src1_sel:DWORD
	v_bfrev_b32_e32 v33, 1
	s_and_saveexec_b32 s27, s1
	s_cbranch_execz .LBB328_897
; %bb.894:                              ;   in Loop: Header=BB328_551 Depth=1
	v_and_b32_e32 v20, 0x7f, v18
	v_mov_b32_e32 v33, 0x7f800001
	s_mov_b32 s28, exec_lo
	v_cmpx_ne_u32_e32 0x7f, v20
	s_cbranch_execz .LBB328_896
; %bb.895:                              ;   in Loop: Header=BB328_551 Depth=1
	v_and_b32_e32 v0, 7, v18
	v_cmp_gt_u32_e64 s1, 8, v20
	v_lshrrev_b32_e32 v33, 3, v20
	v_ffbh_u32_e32 v0, v0
	v_min_u32_e32 v0, 32, v0
	v_subrev_nc_u32_e32 v34, 28, v0
	v_sub_nc_u32_e32 v0, 29, v0
	v_cndmask_b32_e64 v20, 0, v34, s1
	v_cndmask_b32_e64 v0, v33, v0, s1
	v_lshlrev_b64 v[33:34], v20, v[9:10]
	v_lshlrev_b32_e32 v20, 24, v9
	v_lshl_add_u32 v0, v0, 23, 0x3c000000
	v_and_b32_e32 v20, 0x80000000, v20
	v_lshlrev_b32_e32 v33, 20, v33
	v_and_b32_e32 v33, 0x700000, v33
	v_or3_b32 v33, v33, v20, v0
.LBB328_896:                            ;   in Loop: Header=BB328_551 Depth=1
	s_or_b32 exec_lo, exec_lo, s28
.LBB328_897:                            ;   in Loop: Header=BB328_551 Depth=1
	s_or_b32 exec_lo, exec_lo, s27
.LBB328_898:                            ;   in Loop: Header=BB328_551 Depth=1
	s_or_b32 exec_lo, exec_lo, s26
	v_cmp_ne_u16_sdwa s1, v9, v10 src0_sel:BYTE_1 src1_sel:DWORD
	s_and_saveexec_b32 s26, s1
	s_cbranch_execz .LBB328_906
; %bb.899:                              ;   in Loop: Header=BB328_551 Depth=1
	v_cmp_ne_u16_sdwa s1, v9, v32 src0_sel:BYTE_1 src1_sel:DWORD
	v_bfrev_b32_e32 v19, 1
	s_and_saveexec_b32 s27, s1
	s_cbranch_execz .LBB328_905
; %bb.900:                              ;   in Loop: Header=BB328_551 Depth=1
	v_and_b32_sdwa v20, v37, v9 dst_sel:DWORD dst_unused:UNUSED_PAD src0_sel:DWORD src1_sel:BYTE_1
	v_mov_b32_e32 v19, 0x7f800001
	s_mov_b32 s28, exec_lo
	v_and_b32_e32 v96, 0x7f, v20
	v_cmpx_ne_u32_e32 0x7f, v96
	s_cbranch_execz .LBB328_904
; %bb.901:                              ;   in Loop: Header=BB328_551 Depth=1
	v_and_b32_e32 v19, 7, v20
	v_mov_b32_e32 v20, v10
	v_lshrrev_b32_e32 v34, 3, v96
	s_mov_b32 s29, exec_lo
	v_cmpx_gt_u32_e32 8, v96
; %bb.902:                              ;   in Loop: Header=BB328_551 Depth=1
	v_ffbh_u32_e32 v0, v19
	v_min_u32_e32 v0, 32, v0
	v_subrev_nc_u32_e32 v34, 28, v0
	v_lshlrev_b64 v[19:20], v34, v[19:20]
	v_sub_nc_u32_e32 v34, 29, v0
	v_and_b32_e32 v19, 7, v19
; %bb.903:                              ;   in Loop: Header=BB328_551 Depth=1
	s_or_b32 exec_lo, exec_lo, s29
	v_lshlrev_b32_e32 v0, 16, v9
	v_lshlrev_b32_e32 v9, 20, v19
	v_lshl_add_u32 v19, v34, 23, 0x3c000000
	v_and_b32_e32 v0, 0x80000000, v0
	v_or3_b32 v19, v9, v0, v19
.LBB328_904:                            ;   in Loop: Header=BB328_551 Depth=1
	s_or_b32 exec_lo, exec_lo, s28
.LBB328_905:                            ;   in Loop: Header=BB328_551 Depth=1
	s_or_b32 exec_lo, exec_lo, s27
.LBB328_906:                            ;   in Loop: Header=BB328_551 Depth=1
	s_or_b32 exec_lo, exec_lo, s26
	v_and_b32_sdwa v9, v18, v38 dst_sel:DWORD dst_unused:UNUSED_PAD src0_sel:WORD_1 src1_sel:DWORD
	v_mov_b32_e32 v20, 0
	v_mov_b32_e32 v34, 0
	s_mov_b32 s26, exec_lo
	v_cmpx_ne_u16_e32 0, v9
	s_cbranch_execz .LBB328_914
; %bb.907:                              ;   in Loop: Header=BB328_551 Depth=1
	v_bfrev_b32_e32 v34, 1
	s_mov_b32 s27, exec_lo
	v_cmpx_ne_u16_e32 0x80, v9
	s_cbranch_execz .LBB328_913
; %bb.908:                              ;   in Loop: Header=BB328_551 Depth=1
	v_bfe_u32 v96, v18, 16, 7
	v_mov_b32_e32 v34, 0x7f800001
	s_mov_b32 s28, exec_lo
	v_cmpx_ne_u32_e32 0x7f, v96
	s_cbranch_execz .LBB328_912
; %bb.909:                              ;   in Loop: Header=BB328_551 Depth=1
	v_and_b32_sdwa v9, v18, v39 dst_sel:DWORD dst_unused:UNUSED_PAD src0_sel:WORD_1 src1_sel:DWORD
	v_lshrrev_b32_e32 v34, 3, v96
	s_mov_b32 s29, exec_lo
	v_cmpx_gt_u32_e32 8, v96
; %bb.910:                              ;   in Loop: Header=BB328_551 Depth=1
	v_ffbh_u32_e32 v0, v9
	v_min_u32_e32 v0, 32, v0
	v_subrev_nc_u32_e32 v34, 28, v0
	v_lshlrev_b64 v[96:97], v34, v[9:10]
	v_sub_nc_u32_e32 v34, 29, v0
	v_and_b32_e32 v9, 7, v96
; %bb.911:                              ;   in Loop: Header=BB328_551 Depth=1
	s_or_b32 exec_lo, exec_lo, s29
	v_lshlrev_b32_sdwa v0, v40, v18 dst_sel:DWORD dst_unused:UNUSED_PAD src0_sel:DWORD src1_sel:WORD_1
	v_lshlrev_b32_e32 v9, 20, v9
	v_lshl_add_u32 v34, v34, 23, 0x3c000000
	v_and_b32_e32 v0, 0x80000000, v0
	v_or3_b32 v34, v9, v0, v34
.LBB328_912:                            ;   in Loop: Header=BB328_551 Depth=1
	s_or_b32 exec_lo, exec_lo, s28
.LBB328_913:                            ;   in Loop: Header=BB328_551 Depth=1
	s_or_b32 exec_lo, exec_lo, s27
.LBB328_914:                            ;   in Loop: Header=BB328_551 Depth=1
	s_or_b32 exec_lo, exec_lo, s26
	s_mov_b32 s26, exec_lo
	v_cmpx_lt_u64_e64 s[2:3], v[17:18]
	s_cbranch_execz .LBB328_922
; %bb.915:                              ;   in Loop: Header=BB328_551 Depth=1
	v_cmp_ne_u32_sdwa s1, v18, v32 src0_sel:BYTE_3 src1_sel:DWORD
	v_bfrev_b32_e32 v20, 1
	s_and_saveexec_b32 s27, s1
	s_cbranch_execz .LBB328_921
; %bb.916:                              ;   in Loop: Header=BB328_551 Depth=1
	v_bfe_u32 v96, v18, 24, 7
	v_mov_b32_e32 v20, 0x7f800001
	s_mov_b32 s28, exec_lo
	v_cmpx_ne_u32_e32 0x7f, v96
	s_cbranch_execz .LBB328_920
; %bb.917:                              ;   in Loop: Header=BB328_551 Depth=1
	v_and_b32_sdwa v9, v18, v39 dst_sel:DWORD dst_unused:UNUSED_PAD src0_sel:BYTE_3 src1_sel:DWORD
	v_lshrrev_b32_e32 v17, 3, v96
	s_mov_b32 s29, exec_lo
	v_cmpx_gt_u32_e32 8, v96
; %bb.918:                              ;   in Loop: Header=BB328_551 Depth=1
	v_ffbh_u32_e32 v0, v9
	v_min_u32_e32 v0, 32, v0
	v_subrev_nc_u32_e32 v17, 28, v0
	v_lshlrev_b64 v[96:97], v17, v[9:10]
	v_sub_nc_u32_e32 v17, 29, v0
	v_and_b32_e32 v9, 7, v96
; %bb.919:                              ;   in Loop: Header=BB328_551 Depth=1
	s_or_b32 exec_lo, exec_lo, s29
	v_lshlrev_b32_sdwa v0, v40, v18 dst_sel:DWORD dst_unused:UNUSED_PAD src0_sel:DWORD src1_sel:BYTE_3
	v_lshlrev_b32_e32 v9, 20, v9
	v_lshl_add_u32 v17, v17, 23, 0x3c000000
	v_and_b32_e32 v0, 0x80000000, v0
	v_or3_b32 v20, v9, v0, v17
.LBB328_920:                            ;   in Loop: Header=BB328_551 Depth=1
	s_or_b32 exec_lo, exec_lo, s28
.LBB328_921:                            ;   in Loop: Header=BB328_551 Depth=1
	s_or_b32 exec_lo, exec_lo, s27
.LBB328_922:                            ;   in Loop: Header=BB328_551 Depth=1
	s_or_b32 exec_lo, exec_lo, s26
	v_mul_f32_e32 v0, s22, v19
	v_mul_f32_e32 v9, s22, v33
	;; [unrolled: 1-line block ×5, first 2 shown]
	v_bfe_u32 v19, v0, 16, 1
	v_or_b32_e32 v33, 0x400000, v0
	v_bfe_u32 v35, v9, 16, 1
	v_cmp_u_f32_e64 s1, v0, v0
	v_or_b32_e32 v92, 0x400000, v9
	v_add3_u32 v19, v19, v0, 0x7fff
	v_bfe_u32 v95, v17, 16, 1
	v_add3_u32 v35, v35, v9, 0x7fff
	v_or_b32_e32 v96, 0x400000, v17
	v_bfe_u32 v97, v18, 16, 1
	v_cndmask_b32_e64 v0, v19, v33, s1
	v_cmp_u_f32_e64 s1, v9, v9
	v_add3_u32 v95, v95, v17, 0x7fff
	v_or_b32_e32 v33, 0x400000, v18
	v_add3_u32 v19, v97, v18, 0x7fff
	v_cndmask_b32_e64 v9, v35, v92, s1
	v_cmp_u_f32_e64 s1, v17, v17
	v_lshrrev_b32_e32 v92, 16, v0
	v_mul_f32_e32 v0, s22, v93
	v_lshrrev_b32_e32 v93, 16, v9
	v_cndmask_b32_e64 v17, v95, v96, s1
	v_cmp_u_f32_e64 s1, v18, v18
	v_bfe_u32 v9, v0, 16, 1
	v_mul_f32_e32 v18, s22, v94
	v_or_b32_e32 v96, 0x400000, v20
	v_lshrrev_b32_e32 v95, 16, v17
	v_cndmask_b32_e64 v17, v19, v33, s1
	v_mul_f32_e32 v19, s22, v34
	v_add3_u32 v9, v9, v0, 0x7fff
	v_or_b32_e32 v33, 0x400000, v0
	v_bfe_u32 v34, v18, 16, 1
	v_cmp_u_f32_e64 s1, v0, v0
	v_bfe_u32 v35, v19, 16, 1
	v_or_b32_e32 v94, 0x400000, v19
	v_lshrrev_b32_e32 v97, 16, v17
	v_cndmask_b32_e64 v0, v9, v33, s1
	v_add3_u32 v33, v34, v18, 0x7fff
	v_or_b32_e32 v34, 0x400000, v18
	v_cmp_u_f32_e64 s1, v18, v18
	v_bfe_u32 v9, v20, 16, 1
	v_add3_u32 v35, v35, v19, 0x7fff
	v_lshrrev_b32_e32 v99, 16, v0
	v_cndmask_b32_e64 v18, v33, v34, s1
	v_cmp_u_f32_e64 s1, v19, v19
	v_add3_u32 v9, v9, v20, 0x7fff
	v_lshrrev_b32_e32 v98, 16, v18
	v_cndmask_b32_e64 v19, v35, v94, s1
	v_cmp_u_f32_e64 s1, v20, v20
	v_lshrrev_b32_e32 v94, 16, v19
	v_cndmask_b32_e64 v9, v9, v96, s1
	v_lshrrev_b32_e32 v96, 16, v9
	s_and_saveexec_b32 s26, vcc_lo
	s_cbranch_execz .LBB328_924
; %bb.923:                              ;   in Loop: Header=BB328_551 Depth=1
	v_cmp_gt_i32_e64 s1, s33, v52
	v_cndmask_b32_e64 v98, 0, v98, s1
	v_cmp_gt_i32_e64 s1, s33, v64
	v_cndmask_b32_e64 v99, 0, v99, s1
	;; [unrolled: 2-line block ×8, first 2 shown]
.LBB328_924:                            ;   in Loop: Header=BB328_551 Depth=1
	s_or_b32 exec_lo, exec_lo, s26
	global_load_dwordx2 v[17:18], v[15:16], off offset:1536
	v_mov_b32_e32 v102, 0
	v_mov_b32_e32 v101, 0
	s_waitcnt vmcnt(0)
	v_cmp_ne_u16_sdwa s1, v17, v10 src0_sel:BYTE_0 src1_sel:DWORD
	s_and_saveexec_b32 s26, s1
	s_cbranch_execz .LBB328_930
; %bb.925:                              ;   in Loop: Header=BB328_551 Depth=1
	v_cmp_ne_u16_sdwa s1, v17, v32 src0_sel:BYTE_0 src1_sel:DWORD
	v_bfrev_b32_e32 v101, 1
	s_and_saveexec_b32 s27, s1
	s_cbranch_execz .LBB328_929
; %bb.926:                              ;   in Loop: Header=BB328_551 Depth=1
	v_and_b32_e32 v9, 0x7f, v17
	v_mov_b32_e32 v101, 0x7f800001
	s_mov_b32 s28, exec_lo
	v_cmpx_ne_u32_e32 0x7f, v9
	s_cbranch_execz .LBB328_928
; %bb.927:                              ;   in Loop: Header=BB328_551 Depth=1
	v_and_b32_e32 v0, 7, v17
	v_cmp_gt_u32_e64 s1, 8, v9
	v_lshrrev_b32_e32 v19, 3, v9
	v_ffbh_u32_e32 v0, v0
	v_min_u32_e32 v0, 32, v0
	v_subrev_nc_u32_e32 v20, 28, v0
	v_sub_nc_u32_e32 v0, 29, v0
	v_cndmask_b32_e64 v9, 0, v20, s1
	v_cndmask_b32_e64 v0, v19, v0, s1
	v_lshlrev_b64 v[19:20], v9, v[17:18]
	v_lshlrev_b32_e32 v9, 24, v17
	v_lshl_add_u32 v0, v0, 23, 0x3c000000
	v_and_b32_e32 v9, 0x80000000, v9
	v_lshlrev_b32_e32 v19, 20, v19
	v_and_b32_e32 v19, 0x700000, v19
	v_or3_b32 v101, v19, v9, v0
.LBB328_928:                            ;   in Loop: Header=BB328_551 Depth=1
	s_or_b32 exec_lo, exec_lo, s28
.LBB328_929:                            ;   in Loop: Header=BB328_551 Depth=1
	s_or_b32 exec_lo, exec_lo, s27
.LBB328_930:                            ;   in Loop: Header=BB328_551 Depth=1
	s_or_b32 exec_lo, exec_lo, s26
	v_cmp_ne_u16_sdwa s1, v17, v10 src0_sel:BYTE_1 src1_sel:DWORD
	s_and_saveexec_b32 s26, s1
	s_cbranch_execz .LBB328_938
; %bb.931:                              ;   in Loop: Header=BB328_551 Depth=1
	v_cmp_ne_u16_sdwa s1, v17, v32 src0_sel:BYTE_1 src1_sel:DWORD
	v_bfrev_b32_e32 v102, 1
	s_and_saveexec_b32 s27, s1
	s_cbranch_execz .LBB328_937
; %bb.932:                              ;   in Loop: Header=BB328_551 Depth=1
	v_and_b32_sdwa v9, v37, v17 dst_sel:DWORD dst_unused:UNUSED_PAD src0_sel:DWORD src1_sel:BYTE_1
	v_mov_b32_e32 v102, 0x7f800001
	s_mov_b32 s28, exec_lo
	v_and_b32_e32 v20, 0x7f, v9
	v_cmpx_ne_u32_e32 0x7f, v20
	s_cbranch_execz .LBB328_936
; %bb.933:                              ;   in Loop: Header=BB328_551 Depth=1
	v_and_b32_e32 v9, 7, v9
	v_lshrrev_b32_e32 v19, 3, v20
	s_mov_b32 s29, exec_lo
	v_cmpx_gt_u32_e32 8, v20
; %bb.934:                              ;   in Loop: Header=BB328_551 Depth=1
	v_ffbh_u32_e32 v0, v9
	v_min_u32_e32 v0, 32, v0
	v_subrev_nc_u32_e32 v19, 28, v0
	v_lshlrev_b64 v[33:34], v19, v[9:10]
	v_sub_nc_u32_e32 v19, 29, v0
	v_and_b32_e32 v9, 7, v33
; %bb.935:                              ;   in Loop: Header=BB328_551 Depth=1
	s_or_b32 exec_lo, exec_lo, s29
	v_lshlrev_b32_e32 v0, 16, v17
	v_lshlrev_b32_e32 v9, 20, v9
	v_lshl_add_u32 v19, v19, 23, 0x3c000000
	v_and_b32_e32 v0, 0x80000000, v0
	v_or3_b32 v102, v9, v0, v19
.LBB328_936:                            ;   in Loop: Header=BB328_551 Depth=1
	s_or_b32 exec_lo, exec_lo, s28
.LBB328_937:                            ;   in Loop: Header=BB328_551 Depth=1
	s_or_b32 exec_lo, exec_lo, s27
.LBB328_938:                            ;   in Loop: Header=BB328_551 Depth=1
	s_or_b32 exec_lo, exec_lo, s26
	v_and_b32_sdwa v9, v17, v38 dst_sel:DWORD dst_unused:UNUSED_PAD src0_sel:WORD_1 src1_sel:DWORD
	v_mov_b32_e32 v103, 0
	v_mov_b32_e32 v100, 0
	s_mov_b32 s26, exec_lo
	v_cmpx_ne_u16_e32 0, v9
	s_cbranch_execz .LBB328_946
; %bb.939:                              ;   in Loop: Header=BB328_551 Depth=1
	v_bfrev_b32_e32 v100, 1
	s_mov_b32 s27, exec_lo
	v_cmpx_ne_u16_e32 0x80, v9
	s_cbranch_execz .LBB328_945
; %bb.940:                              ;   in Loop: Header=BB328_551 Depth=1
	v_bfe_u32 v20, v17, 16, 7
	v_mov_b32_e32 v100, 0x7f800001
	s_mov_b32 s28, exec_lo
	v_cmpx_ne_u32_e32 0x7f, v20
	s_cbranch_execz .LBB328_944
; %bb.941:                              ;   in Loop: Header=BB328_551 Depth=1
	v_and_b32_sdwa v9, v17, v39 dst_sel:DWORD dst_unused:UNUSED_PAD src0_sel:WORD_1 src1_sel:DWORD
	v_lshrrev_b32_e32 v19, 3, v20
	s_mov_b32 s29, exec_lo
	v_cmpx_gt_u32_e32 8, v20
; %bb.942:                              ;   in Loop: Header=BB328_551 Depth=1
	v_ffbh_u32_e32 v0, v9
	v_min_u32_e32 v0, 32, v0
	v_subrev_nc_u32_e32 v19, 28, v0
	v_lshlrev_b64 v[33:34], v19, v[9:10]
	v_sub_nc_u32_e32 v19, 29, v0
	v_and_b32_e32 v9, 7, v33
; %bb.943:                              ;   in Loop: Header=BB328_551 Depth=1
	s_or_b32 exec_lo, exec_lo, s29
	v_lshlrev_b32_sdwa v0, v40, v17 dst_sel:DWORD dst_unused:UNUSED_PAD src0_sel:DWORD src1_sel:WORD_1
	v_lshlrev_b32_e32 v9, 20, v9
	v_lshl_add_u32 v19, v19, 23, 0x3c000000
	v_and_b32_e32 v0, 0x80000000, v0
	v_or3_b32 v100, v9, v0, v19
.LBB328_944:                            ;   in Loop: Header=BB328_551 Depth=1
	s_or_b32 exec_lo, exec_lo, s28
.LBB328_945:                            ;   in Loop: Header=BB328_551 Depth=1
	s_or_b32 exec_lo, exec_lo, s27
.LBB328_946:                            ;   in Loop: Header=BB328_551 Depth=1
	s_or_b32 exec_lo, exec_lo, s26
	s_mov_b32 s26, exec_lo
	v_cmpx_lt_u32_e32 0xffffff, v17
	s_cbranch_execz .LBB328_954
; %bb.947:                              ;   in Loop: Header=BB328_551 Depth=1
	v_cmp_ne_u32_sdwa s1, v17, v32 src0_sel:BYTE_3 src1_sel:DWORD
	v_bfrev_b32_e32 v103, 1
	s_and_saveexec_b32 s27, s1
	s_cbranch_execz .LBB328_953
; %bb.948:                              ;   in Loop: Header=BB328_551 Depth=1
	v_bfe_u32 v20, v17, 24, 7
	v_mov_b32_e32 v103, 0x7f800001
	s_mov_b32 s28, exec_lo
	v_cmpx_ne_u32_e32 0x7f, v20
	s_cbranch_execz .LBB328_952
; %bb.949:                              ;   in Loop: Header=BB328_551 Depth=1
	v_and_b32_sdwa v9, v17, v39 dst_sel:DWORD dst_unused:UNUSED_PAD src0_sel:BYTE_3 src1_sel:DWORD
	v_lshrrev_b32_e32 v19, 3, v20
	s_mov_b32 s29, exec_lo
	v_cmpx_gt_u32_e32 8, v20
; %bb.950:                              ;   in Loop: Header=BB328_551 Depth=1
	v_ffbh_u32_e32 v0, v9
	v_min_u32_e32 v0, 32, v0
	v_subrev_nc_u32_e32 v19, 28, v0
	v_lshlrev_b64 v[33:34], v19, v[9:10]
	v_sub_nc_u32_e32 v19, 29, v0
	v_and_b32_e32 v9, 7, v33
; %bb.951:                              ;   in Loop: Header=BB328_551 Depth=1
	s_or_b32 exec_lo, exec_lo, s29
	v_lshlrev_b32_sdwa v0, v40, v17 dst_sel:DWORD dst_unused:UNUSED_PAD src0_sel:DWORD src1_sel:BYTE_3
	v_lshlrev_b32_e32 v9, 20, v9
	v_lshl_add_u32 v19, v19, 23, 0x3c000000
	v_and_b32_e32 v0, 0x80000000, v0
	v_or3_b32 v103, v9, v0, v19
.LBB328_952:                            ;   in Loop: Header=BB328_551 Depth=1
	s_or_b32 exec_lo, exec_lo, s28
.LBB328_953:                            ;   in Loop: Header=BB328_551 Depth=1
	s_or_b32 exec_lo, exec_lo, s27
.LBB328_954:                            ;   in Loop: Header=BB328_551 Depth=1
	s_or_b32 exec_lo, exec_lo, s26
	v_mov_b32_e32 v9, v18
	v_cmp_ne_u16_sdwa s1, v18, v10 src0_sel:BYTE_0 src1_sel:DWORD
	v_mov_b32_e32 v19, 0
	v_mov_b32_e32 v33, 0
	s_and_saveexec_b32 s26, s1
	s_cbranch_execz .LBB328_960
; %bb.955:                              ;   in Loop: Header=BB328_551 Depth=1
	v_cmp_ne_u16_sdwa s1, v18, v32 src0_sel:BYTE_0 src1_sel:DWORD
	v_bfrev_b32_e32 v33, 1
	s_and_saveexec_b32 s27, s1
	s_cbranch_execz .LBB328_959
; %bb.956:                              ;   in Loop: Header=BB328_551 Depth=1
	v_and_b32_e32 v20, 0x7f, v18
	v_mov_b32_e32 v33, 0x7f800001
	s_mov_b32 s28, exec_lo
	v_cmpx_ne_u32_e32 0x7f, v20
	s_cbranch_execz .LBB328_958
; %bb.957:                              ;   in Loop: Header=BB328_551 Depth=1
	v_and_b32_e32 v0, 7, v18
	v_cmp_gt_u32_e64 s1, 8, v20
	v_lshrrev_b32_e32 v33, 3, v20
	v_ffbh_u32_e32 v0, v0
	v_min_u32_e32 v0, 32, v0
	v_subrev_nc_u32_e32 v34, 28, v0
	v_sub_nc_u32_e32 v0, 29, v0
	v_cndmask_b32_e64 v20, 0, v34, s1
	v_cndmask_b32_e64 v0, v33, v0, s1
	v_lshlrev_b64 v[33:34], v20, v[9:10]
	v_lshlrev_b32_e32 v20, 24, v9
	v_lshl_add_u32 v0, v0, 23, 0x3c000000
	v_and_b32_e32 v20, 0x80000000, v20
	v_lshlrev_b32_e32 v33, 20, v33
	v_and_b32_e32 v33, 0x700000, v33
	v_or3_b32 v33, v33, v20, v0
.LBB328_958:                            ;   in Loop: Header=BB328_551 Depth=1
	s_or_b32 exec_lo, exec_lo, s28
.LBB328_959:                            ;   in Loop: Header=BB328_551 Depth=1
	s_or_b32 exec_lo, exec_lo, s27
.LBB328_960:                            ;   in Loop: Header=BB328_551 Depth=1
	s_or_b32 exec_lo, exec_lo, s26
	v_cmp_ne_u16_sdwa s1, v9, v10 src0_sel:BYTE_1 src1_sel:DWORD
	s_and_saveexec_b32 s26, s1
	s_cbranch_execz .LBB328_968
; %bb.961:                              ;   in Loop: Header=BB328_551 Depth=1
	v_cmp_ne_u16_sdwa s1, v9, v32 src0_sel:BYTE_1 src1_sel:DWORD
	v_bfrev_b32_e32 v19, 1
	s_and_saveexec_b32 s27, s1
	s_cbranch_execz .LBB328_967
; %bb.962:                              ;   in Loop: Header=BB328_551 Depth=1
	v_and_b32_sdwa v20, v37, v9 dst_sel:DWORD dst_unused:UNUSED_PAD src0_sel:DWORD src1_sel:BYTE_1
	v_mov_b32_e32 v19, 0x7f800001
	s_mov_b32 s28, exec_lo
	v_and_b32_e32 v104, 0x7f, v20
	v_cmpx_ne_u32_e32 0x7f, v104
	s_cbranch_execz .LBB328_966
; %bb.963:                              ;   in Loop: Header=BB328_551 Depth=1
	v_and_b32_e32 v19, 7, v20
	v_mov_b32_e32 v20, v10
	v_lshrrev_b32_e32 v34, 3, v104
	s_mov_b32 s29, exec_lo
	v_cmpx_gt_u32_e32 8, v104
; %bb.964:                              ;   in Loop: Header=BB328_551 Depth=1
	v_ffbh_u32_e32 v0, v19
	v_min_u32_e32 v0, 32, v0
	v_subrev_nc_u32_e32 v34, 28, v0
	v_lshlrev_b64 v[19:20], v34, v[19:20]
	v_sub_nc_u32_e32 v34, 29, v0
	v_and_b32_e32 v19, 7, v19
; %bb.965:                              ;   in Loop: Header=BB328_551 Depth=1
	s_or_b32 exec_lo, exec_lo, s29
	v_lshlrev_b32_e32 v0, 16, v9
	v_lshlrev_b32_e32 v9, 20, v19
	v_lshl_add_u32 v19, v34, 23, 0x3c000000
	v_and_b32_e32 v0, 0x80000000, v0
	v_or3_b32 v19, v9, v0, v19
.LBB328_966:                            ;   in Loop: Header=BB328_551 Depth=1
	s_or_b32 exec_lo, exec_lo, s28
.LBB328_967:                            ;   in Loop: Header=BB328_551 Depth=1
	s_or_b32 exec_lo, exec_lo, s27
.LBB328_968:                            ;   in Loop: Header=BB328_551 Depth=1
	s_or_b32 exec_lo, exec_lo, s26
	v_and_b32_sdwa v9, v18, v38 dst_sel:DWORD dst_unused:UNUSED_PAD src0_sel:WORD_1 src1_sel:DWORD
	v_mov_b32_e32 v34, 0
	v_mov_b32_e32 v104, 0
	s_mov_b32 s26, exec_lo
	v_cmpx_ne_u16_e32 0, v9
	s_cbranch_execz .LBB328_976
; %bb.969:                              ;   in Loop: Header=BB328_551 Depth=1
	v_bfrev_b32_e32 v104, 1
	s_mov_b32 s27, exec_lo
	v_cmpx_ne_u16_e32 0x80, v9
	s_cbranch_execz .LBB328_975
; %bb.970:                              ;   in Loop: Header=BB328_551 Depth=1
	v_bfe_u32 v105, v18, 16, 7
	v_mov_b32_e32 v104, 0x7f800001
	s_mov_b32 s28, exec_lo
	v_cmpx_ne_u32_e32 0x7f, v105
	s_cbranch_execz .LBB328_974
; %bb.971:                              ;   in Loop: Header=BB328_551 Depth=1
	v_and_b32_sdwa v9, v18, v39 dst_sel:DWORD dst_unused:UNUSED_PAD src0_sel:WORD_1 src1_sel:DWORD
	v_lshrrev_b32_e32 v20, 3, v105
	s_mov_b32 s29, exec_lo
	v_cmpx_gt_u32_e32 8, v105
; %bb.972:                              ;   in Loop: Header=BB328_551 Depth=1
	v_ffbh_u32_e32 v0, v9
	v_min_u32_e32 v0, 32, v0
	v_subrev_nc_u32_e32 v20, 28, v0
	v_lshlrev_b64 v[104:105], v20, v[9:10]
	v_sub_nc_u32_e32 v20, 29, v0
	v_and_b32_e32 v9, 7, v104
; %bb.973:                              ;   in Loop: Header=BB328_551 Depth=1
	s_or_b32 exec_lo, exec_lo, s29
	v_lshlrev_b32_sdwa v0, v40, v18 dst_sel:DWORD dst_unused:UNUSED_PAD src0_sel:DWORD src1_sel:WORD_1
	v_lshlrev_b32_e32 v9, 20, v9
	v_lshl_add_u32 v20, v20, 23, 0x3c000000
	v_and_b32_e32 v0, 0x80000000, v0
	v_or3_b32 v104, v9, v0, v20
.LBB328_974:                            ;   in Loop: Header=BB328_551 Depth=1
	s_or_b32 exec_lo, exec_lo, s28
.LBB328_975:                            ;   in Loop: Header=BB328_551 Depth=1
	s_or_b32 exec_lo, exec_lo, s27
.LBB328_976:                            ;   in Loop: Header=BB328_551 Depth=1
	s_or_b32 exec_lo, exec_lo, s26
	s_mov_b32 s26, exec_lo
	v_cmpx_lt_u64_e64 s[2:3], v[17:18]
	s_cbranch_execz .LBB328_984
; %bb.977:                              ;   in Loop: Header=BB328_551 Depth=1
	v_cmp_ne_u32_sdwa s1, v18, v32 src0_sel:BYTE_3 src1_sel:DWORD
	v_bfrev_b32_e32 v34, 1
	s_and_saveexec_b32 s27, s1
	s_cbranch_execz .LBB328_983
; %bb.978:                              ;   in Loop: Header=BB328_551 Depth=1
	v_bfe_u32 v20, v18, 24, 7
	v_mov_b32_e32 v34, 0x7f800001
	s_mov_b32 s28, exec_lo
	v_cmpx_ne_u32_e32 0x7f, v20
	s_cbranch_execz .LBB328_982
; %bb.979:                              ;   in Loop: Header=BB328_551 Depth=1
	v_and_b32_sdwa v9, v18, v39 dst_sel:DWORD dst_unused:UNUSED_PAD src0_sel:BYTE_3 src1_sel:DWORD
	v_lshrrev_b32_e32 v17, 3, v20
	s_mov_b32 s29, exec_lo
	v_cmpx_gt_u32_e32 8, v20
; %bb.980:                              ;   in Loop: Header=BB328_551 Depth=1
	v_ffbh_u32_e32 v0, v9
	v_min_u32_e32 v0, 32, v0
	v_subrev_nc_u32_e32 v17, 28, v0
	v_lshlrev_b64 v[105:106], v17, v[9:10]
	v_sub_nc_u32_e32 v17, 29, v0
	v_and_b32_e32 v9, 7, v105
; %bb.981:                              ;   in Loop: Header=BB328_551 Depth=1
	s_or_b32 exec_lo, exec_lo, s29
	v_lshlrev_b32_sdwa v0, v40, v18 dst_sel:DWORD dst_unused:UNUSED_PAD src0_sel:DWORD src1_sel:BYTE_3
	v_lshlrev_b32_e32 v9, 20, v9
	v_lshl_add_u32 v17, v17, 23, 0x3c000000
	v_and_b32_e32 v0, 0x80000000, v0
	v_or3_b32 v34, v9, v0, v17
.LBB328_982:                            ;   in Loop: Header=BB328_551 Depth=1
	s_or_b32 exec_lo, exec_lo, s28
.LBB328_983:                            ;   in Loop: Header=BB328_551 Depth=1
	s_or_b32 exec_lo, exec_lo, s27
.LBB328_984:                            ;   in Loop: Header=BB328_551 Depth=1
	s_or_b32 exec_lo, exec_lo, s26
	v_mul_f32_e32 v0, s22, v19
	v_mul_f32_e32 v9, s22, v33
	;; [unrolled: 1-line block ×5, first 2 shown]
	v_bfe_u32 v19, v0, 16, 1
	v_or_b32_e32 v20, 0x400000, v0
	v_bfe_u32 v33, v9, 16, 1
	v_cmp_u_f32_e64 s1, v0, v0
	v_or_b32_e32 v35, 0x400000, v9
	v_add3_u32 v19, v19, v0, 0x7fff
	v_bfe_u32 v100, v17, 16, 1
	v_add3_u32 v33, v33, v9, 0x7fff
	v_or_b32_e32 v103, 0x400000, v17
	v_bfe_u32 v105, v18, 16, 1
	v_cndmask_b32_e64 v0, v19, v20, s1
	v_cmp_u_f32_e64 s1, v9, v9
	v_add3_u32 v100, v100, v17, 0x7fff
	v_add3_u32 v19, v105, v18, 0x7fff
	v_cndmask_b32_e64 v9, v33, v35, s1
	v_cmp_u_f32_e64 s1, v17, v17
	v_or_b32_e32 v33, 0x400000, v18
	v_lshrrev_b32_e32 v20, 16, v9
	v_cndmask_b32_e64 v17, v100, v103, s1
	v_lshrrev_b32_e32 v100, 16, v0
	v_mul_f32_e32 v0, s22, v102
	v_cmp_u_f32_e64 s1, v18, v18
	v_mul_f32_e32 v18, s22, v101
	v_lshrrev_b32_e32 v105, 16, v17
	v_or_b32_e32 v103, 0x400000, v34
	v_bfe_u32 v9, v0, 16, 1
	v_cndmask_b32_e64 v17, v19, v33, s1
	v_mul_f32_e32 v19, s22, v104
	v_or_b32_e32 v33, 0x400000, v0
	v_bfe_u32 v35, v18, 16, 1
	v_add3_u32 v9, v9, v0, 0x7fff
	v_cmp_u_f32_e64 s1, v0, v0
	v_bfe_u32 v101, v19, 16, 1
	v_or_b32_e32 v102, 0x400000, v19
	v_lshrrev_b32_e32 v106, 16, v17
	v_cndmask_b32_e64 v0, v9, v33, s1
	v_add3_u32 v33, v35, v18, 0x7fff
	v_or_b32_e32 v35, 0x400000, v18
	v_cmp_u_f32_e64 s1, v18, v18
	v_bfe_u32 v9, v34, 16, 1
	v_add3_u32 v101, v101, v19, 0x7fff
	v_lshrrev_b32_e32 v108, 16, v0
	v_cndmask_b32_e64 v18, v33, v35, s1
	v_cmp_u_f32_e64 s1, v19, v19
	v_add3_u32 v9, v9, v34, 0x7fff
	v_lshrrev_b32_e32 v107, 16, v18
	v_cndmask_b32_e64 v19, v101, v102, s1
	v_cmp_u_f32_e64 s1, v34, v34
	v_cndmask_b32_e64 v9, v9, v103, s1
	v_lshrrev_b32_e32 v103, 16, v19
	v_lshrrev_b32_e32 v104, 16, v9
	s_and_saveexec_b32 s26, vcc_lo
	s_cbranch_execz .LBB328_986
; %bb.985:                              ;   in Loop: Header=BB328_551 Depth=1
	v_cmp_gt_i32_e64 s1, s33, v52
	v_cndmask_b32_e64 v107, 0, v107, s1
	v_cmp_gt_i32_e64 s1, s33, v64
	v_cndmask_b32_e64 v108, 0, v108, s1
	;; [unrolled: 2-line block ×8, first 2 shown]
.LBB328_986:                            ;   in Loop: Header=BB328_551 Depth=1
	s_or_b32 exec_lo, exec_lo, s26
	global_load_dwordx2 v[15:16], v[15:16], off offset:1792
	v_mov_b32_e32 v101, 0
	v_mov_b32_e32 v19, 0
	s_waitcnt vmcnt(0)
	v_cmp_ne_u16_sdwa s1, v15, v10 src0_sel:BYTE_0 src1_sel:DWORD
	s_and_saveexec_b32 s26, s1
	s_cbranch_execz .LBB328_992
; %bb.987:                              ;   in Loop: Header=BB328_551 Depth=1
	v_cmp_ne_u16_sdwa s1, v15, v32 src0_sel:BYTE_0 src1_sel:DWORD
	v_bfrev_b32_e32 v19, 1
	s_and_saveexec_b32 s27, s1
	s_cbranch_execz .LBB328_991
; %bb.988:                              ;   in Loop: Header=BB328_551 Depth=1
	v_and_b32_e32 v9, 0x7f, v15
	v_mov_b32_e32 v19, 0x7f800001
	s_mov_b32 s28, exec_lo
	v_cmpx_ne_u32_e32 0x7f, v9
	s_cbranch_execz .LBB328_990
; %bb.989:                              ;   in Loop: Header=BB328_551 Depth=1
	v_and_b32_e32 v0, 7, v15
	v_cmp_gt_u32_e64 s1, 8, v9
	v_lshrrev_b32_e32 v17, 3, v9
	v_ffbh_u32_e32 v0, v0
	v_min_u32_e32 v0, 32, v0
	v_subrev_nc_u32_e32 v18, 28, v0
	v_sub_nc_u32_e32 v0, 29, v0
	v_cndmask_b32_e64 v9, 0, v18, s1
	v_cndmask_b32_e64 v0, v17, v0, s1
	v_lshlrev_b64 v[17:18], v9, v[15:16]
	v_lshlrev_b32_e32 v9, 24, v15
	v_lshl_add_u32 v0, v0, 23, 0x3c000000
	v_and_b32_e32 v9, 0x80000000, v9
	v_lshlrev_b32_e32 v17, 20, v17
	v_and_b32_e32 v17, 0x700000, v17
	v_or3_b32 v19, v17, v9, v0
.LBB328_990:                            ;   in Loop: Header=BB328_551 Depth=1
	s_or_b32 exec_lo, exec_lo, s28
.LBB328_991:                            ;   in Loop: Header=BB328_551 Depth=1
	s_or_b32 exec_lo, exec_lo, s27
.LBB328_992:                            ;   in Loop: Header=BB328_551 Depth=1
	s_or_b32 exec_lo, exec_lo, s26
	v_cmp_ne_u16_sdwa s1, v15, v10 src0_sel:BYTE_1 src1_sel:DWORD
	s_and_saveexec_b32 s26, s1
	s_cbranch_execz .LBB328_1000
; %bb.993:                              ;   in Loop: Header=BB328_551 Depth=1
	v_cmp_ne_u16_sdwa s1, v15, v32 src0_sel:BYTE_1 src1_sel:DWORD
	v_bfrev_b32_e32 v101, 1
	s_and_saveexec_b32 s27, s1
	s_cbranch_execz .LBB328_999
; %bb.994:                              ;   in Loop: Header=BB328_551 Depth=1
	v_and_b32_sdwa v9, v37, v15 dst_sel:DWORD dst_unused:UNUSED_PAD src0_sel:DWORD src1_sel:BYTE_1
	v_mov_b32_e32 v101, 0x7f800001
	s_mov_b32 s28, exec_lo
	v_and_b32_e32 v18, 0x7f, v9
	v_cmpx_ne_u32_e32 0x7f, v18
	s_cbranch_execz .LBB328_998
; %bb.995:                              ;   in Loop: Header=BB328_551 Depth=1
	v_and_b32_e32 v9, 7, v9
	v_lshrrev_b32_e32 v17, 3, v18
	s_mov_b32 s29, exec_lo
	v_cmpx_gt_u32_e32 8, v18
; %bb.996:                              ;   in Loop: Header=BB328_551 Depth=1
	v_ffbh_u32_e32 v0, v9
	v_min_u32_e32 v0, 32, v0
	v_subrev_nc_u32_e32 v17, 28, v0
	v_lshlrev_b64 v[33:34], v17, v[9:10]
	v_sub_nc_u32_e32 v17, 29, v0
	v_and_b32_e32 v9, 7, v33
; %bb.997:                              ;   in Loop: Header=BB328_551 Depth=1
	s_or_b32 exec_lo, exec_lo, s29
	v_lshlrev_b32_e32 v0, 16, v15
	v_lshlrev_b32_e32 v9, 20, v9
	v_lshl_add_u32 v17, v17, 23, 0x3c000000
	v_and_b32_e32 v0, 0x80000000, v0
	v_or3_b32 v101, v9, v0, v17
.LBB328_998:                            ;   in Loop: Header=BB328_551 Depth=1
	s_or_b32 exec_lo, exec_lo, s28
.LBB328_999:                            ;   in Loop: Header=BB328_551 Depth=1
	s_or_b32 exec_lo, exec_lo, s27
.LBB328_1000:                           ;   in Loop: Header=BB328_551 Depth=1
	s_or_b32 exec_lo, exec_lo, s26
	v_and_b32_sdwa v9, v15, v38 dst_sel:DWORD dst_unused:UNUSED_PAD src0_sel:WORD_1 src1_sel:DWORD
	v_mov_b32_e32 v109, 0
	v_mov_b32_e32 v102, 0
	s_mov_b32 s26, exec_lo
	v_cmpx_ne_u16_e32 0, v9
	s_cbranch_execz .LBB328_1008
; %bb.1001:                             ;   in Loop: Header=BB328_551 Depth=1
	v_bfrev_b32_e32 v102, 1
	s_mov_b32 s27, exec_lo
	v_cmpx_ne_u16_e32 0x80, v9
	s_cbranch_execz .LBB328_1007
; %bb.1002:                             ;   in Loop: Header=BB328_551 Depth=1
	v_bfe_u32 v18, v15, 16, 7
	v_mov_b32_e32 v102, 0x7f800001
	s_mov_b32 s28, exec_lo
	v_cmpx_ne_u32_e32 0x7f, v18
	s_cbranch_execz .LBB328_1006
; %bb.1003:                             ;   in Loop: Header=BB328_551 Depth=1
	v_and_b32_sdwa v9, v15, v39 dst_sel:DWORD dst_unused:UNUSED_PAD src0_sel:WORD_1 src1_sel:DWORD
	v_lshrrev_b32_e32 v17, 3, v18
	s_mov_b32 s29, exec_lo
	v_cmpx_gt_u32_e32 8, v18
; %bb.1004:                             ;   in Loop: Header=BB328_551 Depth=1
	v_ffbh_u32_e32 v0, v9
	v_min_u32_e32 v0, 32, v0
	v_subrev_nc_u32_e32 v17, 28, v0
	v_lshlrev_b64 v[33:34], v17, v[9:10]
	v_sub_nc_u32_e32 v17, 29, v0
	v_and_b32_e32 v9, 7, v33
; %bb.1005:                             ;   in Loop: Header=BB328_551 Depth=1
	s_or_b32 exec_lo, exec_lo, s29
	v_lshlrev_b32_sdwa v0, v40, v15 dst_sel:DWORD dst_unused:UNUSED_PAD src0_sel:DWORD src1_sel:WORD_1
	v_lshlrev_b32_e32 v9, 20, v9
	v_lshl_add_u32 v17, v17, 23, 0x3c000000
	v_and_b32_e32 v0, 0x80000000, v0
	v_or3_b32 v102, v9, v0, v17
.LBB328_1006:                           ;   in Loop: Header=BB328_551 Depth=1
	s_or_b32 exec_lo, exec_lo, s28
.LBB328_1007:                           ;   in Loop: Header=BB328_551 Depth=1
	s_or_b32 exec_lo, exec_lo, s27
.LBB328_1008:                           ;   in Loop: Header=BB328_551 Depth=1
	s_or_b32 exec_lo, exec_lo, s26
	s_mov_b32 s26, exec_lo
	v_cmpx_lt_u32_e32 0xffffff, v15
	s_cbranch_execz .LBB328_1016
; %bb.1009:                             ;   in Loop: Header=BB328_551 Depth=1
	v_cmp_ne_u32_sdwa s1, v15, v32 src0_sel:BYTE_3 src1_sel:DWORD
	v_bfrev_b32_e32 v109, 1
	s_and_saveexec_b32 s27, s1
	s_cbranch_execz .LBB328_1015
; %bb.1010:                             ;   in Loop: Header=BB328_551 Depth=1
	v_bfe_u32 v18, v15, 24, 7
	v_mov_b32_e32 v109, 0x7f800001
	s_mov_b32 s28, exec_lo
	v_cmpx_ne_u32_e32 0x7f, v18
	s_cbranch_execz .LBB328_1014
; %bb.1011:                             ;   in Loop: Header=BB328_551 Depth=1
	v_and_b32_sdwa v9, v15, v39 dst_sel:DWORD dst_unused:UNUSED_PAD src0_sel:BYTE_3 src1_sel:DWORD
	v_lshrrev_b32_e32 v17, 3, v18
	s_mov_b32 s29, exec_lo
	v_cmpx_gt_u32_e32 8, v18
; %bb.1012:                             ;   in Loop: Header=BB328_551 Depth=1
	v_ffbh_u32_e32 v0, v9
	v_min_u32_e32 v0, 32, v0
	v_subrev_nc_u32_e32 v17, 28, v0
	v_lshlrev_b64 v[33:34], v17, v[9:10]
	v_sub_nc_u32_e32 v17, 29, v0
	v_and_b32_e32 v9, 7, v33
; %bb.1013:                             ;   in Loop: Header=BB328_551 Depth=1
	s_or_b32 exec_lo, exec_lo, s29
	v_lshlrev_b32_sdwa v0, v40, v15 dst_sel:DWORD dst_unused:UNUSED_PAD src0_sel:DWORD src1_sel:BYTE_3
	v_lshlrev_b32_e32 v9, 20, v9
	v_lshl_add_u32 v17, v17, 23, 0x3c000000
	v_and_b32_e32 v0, 0x80000000, v0
	v_or3_b32 v109, v9, v0, v17
.LBB328_1014:                           ;   in Loop: Header=BB328_551 Depth=1
	s_or_b32 exec_lo, exec_lo, s28
.LBB328_1015:                           ;   in Loop: Header=BB328_551 Depth=1
	s_or_b32 exec_lo, exec_lo, s27
.LBB328_1016:                           ;   in Loop: Header=BB328_551 Depth=1
	s_or_b32 exec_lo, exec_lo, s26
	v_mov_b32_e32 v9, v16
	v_cmp_ne_u16_sdwa s1, v16, v10 src0_sel:BYTE_0 src1_sel:DWORD
	v_mov_b32_e32 v17, 0
	v_mov_b32_e32 v33, 0
	s_and_saveexec_b32 s26, s1
	s_cbranch_execz .LBB328_1022
; %bb.1017:                             ;   in Loop: Header=BB328_551 Depth=1
	v_cmp_ne_u16_sdwa s1, v16, v32 src0_sel:BYTE_0 src1_sel:DWORD
	v_bfrev_b32_e32 v33, 1
	s_and_saveexec_b32 s27, s1
	s_cbranch_execz .LBB328_1021
; %bb.1018:                             ;   in Loop: Header=BB328_551 Depth=1
	v_and_b32_e32 v18, 0x7f, v16
	v_mov_b32_e32 v33, 0x7f800001
	s_mov_b32 s28, exec_lo
	v_cmpx_ne_u32_e32 0x7f, v18
	s_cbranch_execz .LBB328_1020
; %bb.1019:                             ;   in Loop: Header=BB328_551 Depth=1
	v_and_b32_e32 v0, 7, v16
	v_cmp_gt_u32_e64 s1, 8, v18
	v_lshrrev_b32_e32 v33, 3, v18
	v_ffbh_u32_e32 v0, v0
	v_min_u32_e32 v0, 32, v0
	v_subrev_nc_u32_e32 v34, 28, v0
	v_sub_nc_u32_e32 v0, 29, v0
	v_cndmask_b32_e64 v18, 0, v34, s1
	v_cndmask_b32_e64 v0, v33, v0, s1
	v_lshlrev_b64 v[33:34], v18, v[9:10]
	v_lshlrev_b32_e32 v18, 24, v9
	v_lshl_add_u32 v0, v0, 23, 0x3c000000
	v_and_b32_e32 v18, 0x80000000, v18
	v_lshlrev_b32_e32 v33, 20, v33
	v_and_b32_e32 v33, 0x700000, v33
	v_or3_b32 v33, v33, v18, v0
.LBB328_1020:                           ;   in Loop: Header=BB328_551 Depth=1
	s_or_b32 exec_lo, exec_lo, s28
.LBB328_1021:                           ;   in Loop: Header=BB328_551 Depth=1
	s_or_b32 exec_lo, exec_lo, s27
.LBB328_1022:                           ;   in Loop: Header=BB328_551 Depth=1
	s_or_b32 exec_lo, exec_lo, s26
	v_cmp_ne_u16_sdwa s1, v9, v10 src0_sel:BYTE_1 src1_sel:DWORD
	s_and_saveexec_b32 s26, s1
	s_cbranch_execz .LBB328_1030
; %bb.1023:                             ;   in Loop: Header=BB328_551 Depth=1
	v_cmp_ne_u16_sdwa s1, v9, v32 src0_sel:BYTE_1 src1_sel:DWORD
	v_bfrev_b32_e32 v17, 1
	s_and_saveexec_b32 s27, s1
	s_cbranch_execz .LBB328_1029
; %bb.1024:                             ;   in Loop: Header=BB328_551 Depth=1
	v_and_b32_sdwa v18, v37, v9 dst_sel:DWORD dst_unused:UNUSED_PAD src0_sel:DWORD src1_sel:BYTE_1
	v_mov_b32_e32 v17, 0x7f800001
	s_mov_b32 s28, exec_lo
	v_and_b32_e32 v110, 0x7f, v18
	v_cmpx_ne_u32_e32 0x7f, v110
	s_cbranch_execz .LBB328_1028
; %bb.1025:                             ;   in Loop: Header=BB328_551 Depth=1
	v_and_b32_e32 v17, 7, v18
	v_mov_b32_e32 v18, v10
	v_lshrrev_b32_e32 v34, 3, v110
	s_mov_b32 s29, exec_lo
	v_cmpx_gt_u32_e32 8, v110
; %bb.1026:                             ;   in Loop: Header=BB328_551 Depth=1
	v_ffbh_u32_e32 v0, v17
	v_min_u32_e32 v0, 32, v0
	v_subrev_nc_u32_e32 v34, 28, v0
	v_lshlrev_b64 v[17:18], v34, v[17:18]
	v_sub_nc_u32_e32 v34, 29, v0
	v_and_b32_e32 v17, 7, v17
; %bb.1027:                             ;   in Loop: Header=BB328_551 Depth=1
	s_or_b32 exec_lo, exec_lo, s29
	v_lshlrev_b32_e32 v0, 16, v9
	v_lshlrev_b32_e32 v9, 20, v17
	v_lshl_add_u32 v17, v34, 23, 0x3c000000
	v_and_b32_e32 v0, 0x80000000, v0
	v_or3_b32 v17, v9, v0, v17
.LBB328_1028:                           ;   in Loop: Header=BB328_551 Depth=1
	s_or_b32 exec_lo, exec_lo, s28
.LBB328_1029:                           ;   in Loop: Header=BB328_551 Depth=1
	s_or_b32 exec_lo, exec_lo, s27
.LBB328_1030:                           ;   in Loop: Header=BB328_551 Depth=1
	s_or_b32 exec_lo, exec_lo, s26
	v_and_b32_sdwa v9, v16, v38 dst_sel:DWORD dst_unused:UNUSED_PAD src0_sel:WORD_1 src1_sel:DWORD
	v_mov_b32_e32 v18, 0
	v_mov_b32_e32 v34, 0
	s_mov_b32 s26, exec_lo
	v_cmpx_ne_u16_e32 0, v9
	s_cbranch_execz .LBB328_1038
; %bb.1031:                             ;   in Loop: Header=BB328_551 Depth=1
	v_bfrev_b32_e32 v34, 1
	s_mov_b32 s27, exec_lo
	v_cmpx_ne_u16_e32 0x80, v9
	s_cbranch_execz .LBB328_1037
; %bb.1032:                             ;   in Loop: Header=BB328_551 Depth=1
	v_bfe_u32 v110, v16, 16, 7
	v_mov_b32_e32 v34, 0x7f800001
	s_mov_b32 s28, exec_lo
	v_cmpx_ne_u32_e32 0x7f, v110
	s_cbranch_execz .LBB328_1036
; %bb.1033:                             ;   in Loop: Header=BB328_551 Depth=1
	v_and_b32_sdwa v9, v16, v39 dst_sel:DWORD dst_unused:UNUSED_PAD src0_sel:WORD_1 src1_sel:DWORD
	v_lshrrev_b32_e32 v34, 3, v110
	s_mov_b32 s29, exec_lo
	v_cmpx_gt_u32_e32 8, v110
; %bb.1034:                             ;   in Loop: Header=BB328_551 Depth=1
	v_ffbh_u32_e32 v0, v9
	v_min_u32_e32 v0, 32, v0
	v_subrev_nc_u32_e32 v34, 28, v0
	v_lshlrev_b64 v[110:111], v34, v[9:10]
	v_sub_nc_u32_e32 v34, 29, v0
	v_and_b32_e32 v9, 7, v110
; %bb.1035:                             ;   in Loop: Header=BB328_551 Depth=1
	s_or_b32 exec_lo, exec_lo, s29
	v_lshlrev_b32_sdwa v0, v40, v16 dst_sel:DWORD dst_unused:UNUSED_PAD src0_sel:DWORD src1_sel:WORD_1
	v_lshlrev_b32_e32 v9, 20, v9
	v_lshl_add_u32 v34, v34, 23, 0x3c000000
	v_and_b32_e32 v0, 0x80000000, v0
	v_or3_b32 v34, v9, v0, v34
.LBB328_1036:                           ;   in Loop: Header=BB328_551 Depth=1
	s_or_b32 exec_lo, exec_lo, s28
.LBB328_1037:                           ;   in Loop: Header=BB328_551 Depth=1
	s_or_b32 exec_lo, exec_lo, s27
.LBB328_1038:                           ;   in Loop: Header=BB328_551 Depth=1
	s_or_b32 exec_lo, exec_lo, s26
	s_mov_b32 s26, exec_lo
	v_cmpx_lt_u64_e64 s[2:3], v[15:16]
	s_cbranch_execz .LBB328_1046
; %bb.1039:                             ;   in Loop: Header=BB328_551 Depth=1
	v_cmp_ne_u32_sdwa s1, v16, v32 src0_sel:BYTE_3 src1_sel:DWORD
	v_bfrev_b32_e32 v18, 1
	s_and_saveexec_b32 s27, s1
	s_cbranch_execz .LBB328_1045
; %bb.1040:                             ;   in Loop: Header=BB328_551 Depth=1
	v_bfe_u32 v110, v16, 24, 7
	v_mov_b32_e32 v18, 0x7f800001
	s_mov_b32 s28, exec_lo
	v_cmpx_ne_u32_e32 0x7f, v110
	s_cbranch_execz .LBB328_1044
; %bb.1041:                             ;   in Loop: Header=BB328_551 Depth=1
	v_and_b32_sdwa v9, v16, v39 dst_sel:DWORD dst_unused:UNUSED_PAD src0_sel:BYTE_3 src1_sel:DWORD
	v_lshrrev_b32_e32 v15, 3, v110
	s_mov_b32 s29, exec_lo
	v_cmpx_gt_u32_e32 8, v110
; %bb.1042:                             ;   in Loop: Header=BB328_551 Depth=1
	v_ffbh_u32_e32 v0, v9
	v_min_u32_e32 v0, 32, v0
	v_subrev_nc_u32_e32 v15, 28, v0
	v_lshlrev_b64 v[110:111], v15, v[9:10]
	v_sub_nc_u32_e32 v15, 29, v0
	v_and_b32_e32 v9, 7, v110
; %bb.1043:                             ;   in Loop: Header=BB328_551 Depth=1
	s_or_b32 exec_lo, exec_lo, s29
	v_lshlrev_b32_sdwa v0, v40, v16 dst_sel:DWORD dst_unused:UNUSED_PAD src0_sel:DWORD src1_sel:BYTE_3
	v_lshlrev_b32_e32 v9, 20, v9
	v_lshl_add_u32 v15, v15, 23, 0x3c000000
	v_and_b32_e32 v0, 0x80000000, v0
	v_or3_b32 v18, v9, v0, v15
.LBB328_1044:                           ;   in Loop: Header=BB328_551 Depth=1
	s_or_b32 exec_lo, exec_lo, s28
.LBB328_1045:                           ;   in Loop: Header=BB328_551 Depth=1
	s_or_b32 exec_lo, exec_lo, s27
.LBB328_1046:                           ;   in Loop: Header=BB328_551 Depth=1
	s_or_b32 exec_lo, exec_lo, s26
	v_mul_f32_e32 v0, s22, v17
	v_mul_f32_e32 v9, s22, v33
	;; [unrolled: 1-line block ×5, first 2 shown]
	v_bfe_u32 v16, v0, 16, 1
	v_or_b32_e32 v33, 0x400000, v0
	v_bfe_u32 v35, v9, 16, 1
	v_cmp_u_f32_e64 s1, v0, v0
	v_or_b32_e32 v102, 0x400000, v9
	v_add3_u32 v16, v16, v0, 0x7fff
	v_bfe_u32 v109, v15, 16, 1
	v_add3_u32 v35, v35, v9, 0x7fff
	v_or_b32_e32 v110, 0x400000, v15
	v_bfe_u32 v111, v17, 16, 1
	v_cndmask_b32_e64 v0, v16, v33, s1
	v_cmp_u_f32_e64 s1, v9, v9
	v_add3_u32 v109, v109, v15, 0x7fff
	v_mul_f32_e32 v34, s22, v34
	v_mul_f32_e32 v18, s22, v18
	v_lshrrev_b32_e32 v9, 16, v0
	v_cndmask_b32_e64 v16, v35, v102, s1
	v_cmp_u_f32_e64 s1, v15, v15
	v_mul_f32_e32 v0, s22, v101
	v_add3_u32 v35, v111, v17, 0x7fff
	v_or_b32_e32 v101, 0x400000, v17
	v_lshrrev_b32_e32 v15, 16, v16
	v_cndmask_b32_e64 v33, v109, v110, s1
	v_cmp_u_f32_e64 s1, v17, v17
	v_bfe_u32 v102, v34, 16, 1
	v_or_b32_e32 v109, 0x400000, v34
	v_or_b32_e32 v110, 0x400000, v18
	v_lshrrev_b32_e32 v16, 16, v33
	v_bfe_u32 v33, v0, 16, 1
	v_cndmask_b32_e64 v17, v35, v101, s1
	v_or_b32_e32 v35, 0x400000, v0
	v_bfe_u32 v101, v19, 16, 1
	v_cmp_u_f32_e64 s1, v0, v0
	v_add3_u32 v33, v33, v0, 0x7fff
	v_add3_u32 v102, v102, v34, 0x7fff
	v_cndmask_b32_e64 v0, v33, v35, s1
	v_add3_u32 v35, v101, v19, 0x7fff
	v_or_b32_e32 v101, 0x400000, v19
	v_cmp_u_f32_e64 s1, v19, v19
	v_bfe_u32 v33, v18, 16, 1
	v_lshrrev_b32_e32 v19, 16, v17
	v_cndmask_b32_e64 v35, v35, v101, s1
	v_cmp_u_f32_e64 s1, v34, v34
	v_add3_u32 v33, v33, v18, 0x7fff
	v_lshrrev_b32_e32 v101, 16, v0
	v_cndmask_b32_e64 v34, v102, v109, s1
	v_cmp_u_f32_e64 s1, v18, v18
	v_lshrrev_b32_e32 v102, 16, v35
	v_lshrrev_b32_e32 v18, 16, v34
	v_cndmask_b32_e64 v33, v33, v110, s1
	v_lshrrev_b32_e32 v17, 16, v33
	s_and_saveexec_b32 s1, vcc_lo
	s_cbranch_execz .LBB328_549
; %bb.1047:                             ;   in Loop: Header=BB328_551 Depth=1
	v_cmp_gt_i32_e32 vcc_lo, s33, v52
	v_cndmask_b32_e32 v102, 0, v102, vcc_lo
	v_cmp_gt_i32_e32 vcc_lo, s33, v64
	v_cndmask_b32_e32 v101, 0, v101, vcc_lo
	;; [unrolled: 2-line block ×8, first 2 shown]
	s_branch .LBB328_549
.LBB328_1048:
	s_or_b32 exec_lo, exec_lo, s18
	v_mov_b32_e32 v19, v112
	v_mov_b32_e32 v20, v113
	v_mov_b32_e32 v52, v114
.LBB328_1049:
	s_or_b32 exec_lo, exec_lo, s4
	ds_bpermute_b32 v0, v22, v30
	ds_bpermute_b32 v1, v22, v29
	;; [unrolled: 1-line block ×8, first 2 shown]
	v_lshrrev_b32_e32 v9, 1, v21
	v_lshlrev_b32_e32 v11, 9, v52
	v_and_b32_e32 v15, 0x3c1, v19
	s_mov_b32 s1, exec_lo
	s_waitcnt lgkmcnt(0)
	v_lshl_add_u32 v10, v9, 2, 0x120
	s_barrier
	buffer_gl0_inv
	v_add_f32_e32 v8, v30, v0
	v_add_f32_e32 v7, v29, v1
	;; [unrolled: 1-line block ×8, first 2 shown]
	v_cmpx_eq_u32_e32 64, v15
	s_cbranch_execz .LBB328_1051
; %bb.1050:
	v_add_nc_u32_e32 v0, v10, v11
	v_add_nc_u32_e32 v12, 0xfffffc00, v0
	;; [unrolled: 1-line block ×9, first 2 shown]
	ds_write_b32 v12, v8
	ds_write_b32 v13, v7
	;; [unrolled: 1-line block ×8, first 2 shown]
.LBB328_1051:
	s_or_b32 exec_lo, exec_lo, s1
	v_lshlrev_b32_e32 v0, 2, v9
	s_mov_b32 s2, exec_lo
	v_cmp_eq_u32_e32 vcc_lo, 0, v20
	s_waitcnt lgkmcnt(0)
	s_barrier
	v_add3_u32 v9, 0x120, v11, v0
	buffer_gl0_inv
	v_cmpx_gt_u32_e32 64, v19
	s_cbranch_execz .LBB328_1062
; %bb.1052:
	s_and_saveexec_b32 s1, vcc_lo
	s_cbranch_execnz .LBB328_1078
; %bb.1053:
	s_or_b32 exec_lo, exec_lo, s1
	s_and_saveexec_b32 s1, vcc_lo
	s_cbranch_execnz .LBB328_1079
.LBB328_1054:
	s_or_b32 exec_lo, exec_lo, s1
	s_and_saveexec_b32 s1, vcc_lo
	s_cbranch_execnz .LBB328_1080
.LBB328_1055:
	s_or_b32 exec_lo, exec_lo, s1
	s_and_saveexec_b32 s1, vcc_lo
	s_cbranch_execnz .LBB328_1081
.LBB328_1056:
	s_or_b32 exec_lo, exec_lo, s1
	s_and_saveexec_b32 s1, vcc_lo
	s_cbranch_execnz .LBB328_1082
.LBB328_1057:
	s_or_b32 exec_lo, exec_lo, s1
	s_and_saveexec_b32 s1, vcc_lo
	s_cbranch_execnz .LBB328_1083
.LBB328_1058:
	s_or_b32 exec_lo, exec_lo, s1
	s_and_saveexec_b32 s1, vcc_lo
	s_cbranch_execnz .LBB328_1084
.LBB328_1059:
	s_or_b32 exec_lo, exec_lo, s1
	s_and_saveexec_b32 s1, vcc_lo
	s_cbranch_execz .LBB328_1061
.LBB328_1060:
	ds_read_b32 v0, v9 offset:448
	s_waitcnt lgkmcnt(0)
	v_add_f32_e32 v1, v1, v0
.LBB328_1061:
	s_or_b32 exec_lo, exec_lo, s1
.LBB328_1062:
	s_or_b32 exec_lo, exec_lo, s2
	v_and_b32_e32 v0, 0x3e1, v19
	s_mov_b32 s2, exec_lo
	s_barrier
	buffer_gl0_inv
	v_cmpx_eq_u32_e32 32, v0
	s_cbranch_execz .LBB328_1064
; %bb.1063:
	ds_write2_b32 v10, v8, v7 offset1:16
	ds_write2_b32 v10, v6, v5 offset0:32 offset1:48
	ds_write2_b32 v10, v4, v3 offset0:64 offset1:80
	ds_write2_b32 v10, v2, v1 offset0:96 offset1:112
.LBB328_1064:
	s_or_b32 exec_lo, exec_lo, s2
	s_waitcnt lgkmcnt(0)
	s_barrier
	buffer_gl0_inv
	s_and_saveexec_b32 s1, s0
	s_cbranch_execz .LBB328_1075
; %bb.1065:
	s_and_saveexec_b32 s0, vcc_lo
	s_cbranch_execnz .LBB328_1085
; %bb.1066:
	s_or_b32 exec_lo, exec_lo, s0
	s_and_saveexec_b32 s0, vcc_lo
	s_cbranch_execnz .LBB328_1086
.LBB328_1067:
	s_or_b32 exec_lo, exec_lo, s0
	s_and_saveexec_b32 s0, vcc_lo
	s_cbranch_execnz .LBB328_1087
.LBB328_1068:
	s_or_b32 exec_lo, exec_lo, s0
	s_and_saveexec_b32 s0, vcc_lo
	s_cbranch_execnz .LBB328_1088
.LBB328_1069:
	s_or_b32 exec_lo, exec_lo, s0
	s_and_saveexec_b32 s0, vcc_lo
	s_cbranch_execnz .LBB328_1089
.LBB328_1070:
	s_or_b32 exec_lo, exec_lo, s0
	s_and_saveexec_b32 s0, vcc_lo
	s_cbranch_execnz .LBB328_1090
.LBB328_1071:
	s_or_b32 exec_lo, exec_lo, s0
	s_and_saveexec_b32 s0, vcc_lo
	s_cbranch_execnz .LBB328_1091
.LBB328_1072:
	s_or_b32 exec_lo, exec_lo, s0
	s_and_saveexec_b32 s0, vcc_lo
	s_cbranch_execz .LBB328_1074
.LBB328_1073:
	ds_read_b32 v9, v9 offset:448
	s_waitcnt lgkmcnt(0)
	v_add_f32_e32 v1, v1, v9
.LBB328_1074:
	s_or_b32 exec_lo, exec_lo, s0
.LBB328_1075:
	s_or_b32 exec_lo, exec_lo, s1
	s_barrier
	buffer_gl0_inv
	s_mov_b32 s0, exec_lo
	v_cmpx_eq_u32_e32 0, v0
	s_cbranch_execz .LBB328_1077
; %bb.1076:
	buffer_load_dword v0, off, s[48:51], 0 offset:32 ; 4-byte Folded Reload
	s_mul_i32 s0, s10, s11
	s_mul_i32 s2, s11, s24
	;; [unrolled: 1-line block ×3, first 2 shown]
	v_bfe_u32 v9, v8, 16, 1
	s_lshl_b32 s0, s0, 7
	v_or_b32_e32 v10, 0x400000, v8
	s_ashr_i32 s1, s0, 31
	v_bfe_u32 v11, v7, 16, 1
	s_lshl_b64 s[0:1], s[0:1], 1
	v_add3_u32 v9, v9, v8, 0x7fff
	s_add_u32 s4, s6, s0
	s_addc_u32 s5, s7, s1
	s_ashr_i32 s3, s2, 31
	v_cmp_u_f32_e32 vcc_lo, v8, v8
	s_lshl_b64 s[0:1], s[2:3], 1
	s_add_u32 s2, s4, s0
	s_addc_u32 s3, s5, s1
	s_lshl_b32 s0, s8, 7
	v_cndmask_b32_e32 v8, v9, v10, vcc_lo
	s_ashr_i32 s1, s0, 31
	v_bfe_u32 v9, v6, 16, 1
	s_lshl_b64 s[0:1], s[0:1], 1
	v_add3_u32 v10, v11, v7, 0x7fff
	v_or_b32_e32 v11, 0x400000, v7
	v_cmp_u_f32_e32 vcc_lo, v7, v7
	s_add_u32 s0, s2, s0
	s_addc_u32 s1, s3, s1
	v_cndmask_b32_e32 v7, v10, v11, vcc_lo
	v_bfe_u32 v10, v5, 16, 1
	v_cmp_u_f32_e32 vcc_lo, v6, v6
	v_or_b32_e32 v11, 0x400000, v1
	s_waitcnt vmcnt(0)
	v_lshlrev_b32_e32 v0, 1, v0
	global_store_short_d16_hi v0, v8, s[0:1]
	v_add3_u32 v8, v9, v6, 0x7fff
	v_or_b32_e32 v9, 0x400000, v6
	global_store_short_d16_hi v0, v7, s[0:1] offset:32
	v_add3_u32 v7, v10, v5, 0x7fff
	v_or_b32_e32 v10, 0x400000, v2
	v_cndmask_b32_e32 v6, v8, v9, vcc_lo
	v_bfe_u32 v8, v4, 16, 1
	v_or_b32_e32 v9, 0x400000, v5
	v_cmp_u_f32_e32 vcc_lo, v5, v5
	global_store_short_d16_hi v0, v6, s[0:1] offset:64
	v_add3_u32 v6, v8, v4, 0x7fff
	v_or_b32_e32 v8, 0x400000, v4
	v_cndmask_b32_e32 v5, v7, v9, vcc_lo
	v_bfe_u32 v7, v3, 16, 1
	v_cmp_u_f32_e32 vcc_lo, v4, v4
	v_bfe_u32 v9, v2, 16, 1
	v_add3_u32 v7, v7, v3, 0x7fff
	v_cndmask_b32_e32 v4, v6, v8, vcc_lo
	v_or_b32_e32 v8, 0x400000, v3
	v_cmp_u_f32_e32 vcc_lo, v3, v3
	v_bfe_u32 v6, v1, 16, 1
	v_add3_u32 v9, v9, v2, 0x7fff
	v_cndmask_b32_e32 v3, v7, v8, vcc_lo
	v_cmp_u_f32_e32 vcc_lo, v2, v2
	v_add3_u32 v6, v6, v1, 0x7fff
	v_cndmask_b32_e32 v2, v9, v10, vcc_lo
	v_cmp_u_f32_e32 vcc_lo, v1, v1
	v_cndmask_b32_e32 v1, v6, v11, vcc_lo
	global_store_short_d16_hi v0, v5, s[0:1] offset:96
	global_store_short_d16_hi v0, v4, s[0:1] offset:128
	;; [unrolled: 1-line block ×5, first 2 shown]
.LBB328_1077:
	s_endpgm
.LBB328_1078:
	ds_read_b32 v0, v9
	s_waitcnt lgkmcnt(0)
	v_add_f32_e32 v8, v8, v0
	s_or_b32 exec_lo, exec_lo, s1
	s_and_saveexec_b32 s1, vcc_lo
	s_cbranch_execz .LBB328_1054
.LBB328_1079:
	ds_read_b32 v0, v9 offset:64
	s_waitcnt lgkmcnt(0)
	v_add_f32_e32 v7, v7, v0
	s_or_b32 exec_lo, exec_lo, s1
	s_and_saveexec_b32 s1, vcc_lo
	s_cbranch_execz .LBB328_1055
.LBB328_1080:
	ds_read_b32 v0, v9 offset:128
	s_waitcnt lgkmcnt(0)
	v_add_f32_e32 v6, v6, v0
	s_or_b32 exec_lo, exec_lo, s1
	s_and_saveexec_b32 s1, vcc_lo
	s_cbranch_execz .LBB328_1056
.LBB328_1081:
	ds_read_b32 v0, v9 offset:192
	s_waitcnt lgkmcnt(0)
	v_add_f32_e32 v5, v5, v0
	s_or_b32 exec_lo, exec_lo, s1
	s_and_saveexec_b32 s1, vcc_lo
	s_cbranch_execz .LBB328_1057
.LBB328_1082:
	ds_read_b32 v0, v9 offset:256
	s_waitcnt lgkmcnt(0)
	v_add_f32_e32 v4, v4, v0
	s_or_b32 exec_lo, exec_lo, s1
	s_and_saveexec_b32 s1, vcc_lo
	s_cbranch_execz .LBB328_1058
.LBB328_1083:
	ds_read_b32 v0, v9 offset:320
	s_waitcnt lgkmcnt(0)
	v_add_f32_e32 v3, v3, v0
	s_or_b32 exec_lo, exec_lo, s1
	s_and_saveexec_b32 s1, vcc_lo
	s_cbranch_execz .LBB328_1059
.LBB328_1084:
	ds_read_b32 v0, v9 offset:384
	s_waitcnt lgkmcnt(0)
	v_add_f32_e32 v2, v2, v0
	s_or_b32 exec_lo, exec_lo, s1
	s_and_saveexec_b32 s1, vcc_lo
	s_cbranch_execnz .LBB328_1060
	s_branch .LBB328_1061
.LBB328_1085:
	ds_read_b32 v10, v9
	s_waitcnt lgkmcnt(0)
	v_add_f32_e32 v8, v8, v10
	s_or_b32 exec_lo, exec_lo, s0
	s_and_saveexec_b32 s0, vcc_lo
	s_cbranch_execz .LBB328_1067
.LBB328_1086:
	ds_read_b32 v10, v9 offset:64
	s_waitcnt lgkmcnt(0)
	v_add_f32_e32 v7, v7, v10
	s_or_b32 exec_lo, exec_lo, s0
	s_and_saveexec_b32 s0, vcc_lo
	s_cbranch_execz .LBB328_1068
.LBB328_1087:
	ds_read_b32 v10, v9 offset:128
	s_waitcnt lgkmcnt(0)
	v_add_f32_e32 v6, v6, v10
	s_or_b32 exec_lo, exec_lo, s0
	s_and_saveexec_b32 s0, vcc_lo
	s_cbranch_execz .LBB328_1069
.LBB328_1088:
	ds_read_b32 v10, v9 offset:192
	s_waitcnt lgkmcnt(0)
	v_add_f32_e32 v5, v5, v10
	s_or_b32 exec_lo, exec_lo, s0
	s_and_saveexec_b32 s0, vcc_lo
	s_cbranch_execz .LBB328_1070
.LBB328_1089:
	ds_read_b32 v10, v9 offset:256
	s_waitcnt lgkmcnt(0)
	v_add_f32_e32 v4, v4, v10
	s_or_b32 exec_lo, exec_lo, s0
	s_and_saveexec_b32 s0, vcc_lo
	s_cbranch_execz .LBB328_1071
.LBB328_1090:
	ds_read_b32 v10, v9 offset:320
	s_waitcnt lgkmcnt(0)
	v_add_f32_e32 v3, v3, v10
	s_or_b32 exec_lo, exec_lo, s0
	s_and_saveexec_b32 s0, vcc_lo
	s_cbranch_execz .LBB328_1072
.LBB328_1091:
	ds_read_b32 v10, v9 offset:384
	s_waitcnt lgkmcnt(0)
	v_add_f32_e32 v2, v2, v10
	s_or_b32 exec_lo, exec_lo, s0
	s_and_saveexec_b32 s0, vcc_lo
	s_cbranch_execnz .LBB328_1073
	s_branch .LBB328_1074
	.section	.rodata,"a",@progbits
	.p2align	6, 0x0
	.amdhsa_kernel _ZN4vllm25paged_attention_v1_kernelI14__hip_bfloat16hLi128ELi16ELi128ELNS_18Fp8KVCacheDataTypeE1ELb1EEEvPT_PKS3_PKT0_S9_ifPKiSB_iPKfiiiSD_SD_iiiii
		.amdhsa_group_segment_fixed_size 288
		.amdhsa_private_segment_fixed_size 60
		.amdhsa_kernarg_size 384
		.amdhsa_user_sgpr_count 6
		.amdhsa_user_sgpr_private_segment_buffer 1
		.amdhsa_user_sgpr_dispatch_ptr 0
		.amdhsa_user_sgpr_queue_ptr 0
		.amdhsa_user_sgpr_kernarg_segment_ptr 1
		.amdhsa_user_sgpr_dispatch_id 0
		.amdhsa_user_sgpr_flat_scratch_init 0
		.amdhsa_user_sgpr_private_segment_size 0
		.amdhsa_wavefront_size32 1
		.amdhsa_uses_dynamic_stack 0
		.amdhsa_system_sgpr_private_segment_wavefront_offset 1
		.amdhsa_system_sgpr_workgroup_id_x 1
		.amdhsa_system_sgpr_workgroup_id_y 1
		.amdhsa_system_sgpr_workgroup_id_z 1
		.amdhsa_system_sgpr_workgroup_info 0
		.amdhsa_system_vgpr_workitem_id 0
		.amdhsa_next_free_vgpr 128
		.amdhsa_next_free_sgpr 52
		.amdhsa_reserve_vcc 1
		.amdhsa_reserve_flat_scratch 0
		.amdhsa_float_round_mode_32 0
		.amdhsa_float_round_mode_16_64 0
		.amdhsa_float_denorm_mode_32 3
		.amdhsa_float_denorm_mode_16_64 3
		.amdhsa_dx10_clamp 1
		.amdhsa_ieee_mode 1
		.amdhsa_fp16_overflow 0
		.amdhsa_workgroup_processor_mode 1
		.amdhsa_memory_ordered 1
		.amdhsa_forward_progress 1
		.amdhsa_shared_vgpr_count 0
		.amdhsa_exception_fp_ieee_invalid_op 0
		.amdhsa_exception_fp_denorm_src 0
		.amdhsa_exception_fp_ieee_div_zero 0
		.amdhsa_exception_fp_ieee_overflow 0
		.amdhsa_exception_fp_ieee_underflow 0
		.amdhsa_exception_fp_ieee_inexact 0
		.amdhsa_exception_int_div_zero 0
	.end_amdhsa_kernel
	.section	.text._ZN4vllm25paged_attention_v1_kernelI14__hip_bfloat16hLi128ELi16ELi128ELNS_18Fp8KVCacheDataTypeE1ELb1EEEvPT_PKS3_PKT0_S9_ifPKiSB_iPKfiiiSD_SD_iiiii,"axG",@progbits,_ZN4vllm25paged_attention_v1_kernelI14__hip_bfloat16hLi128ELi16ELi128ELNS_18Fp8KVCacheDataTypeE1ELb1EEEvPT_PKS3_PKT0_S9_ifPKiSB_iPKfiiiSD_SD_iiiii,comdat
.Lfunc_end328:
	.size	_ZN4vllm25paged_attention_v1_kernelI14__hip_bfloat16hLi128ELi16ELi128ELNS_18Fp8KVCacheDataTypeE1ELb1EEEvPT_PKS3_PKT0_S9_ifPKiSB_iPKfiiiSD_SD_iiiii, .Lfunc_end328-_ZN4vllm25paged_attention_v1_kernelI14__hip_bfloat16hLi128ELi16ELi128ELNS_18Fp8KVCacheDataTypeE1ELb1EEEvPT_PKS3_PKT0_S9_ifPKiSB_iPKfiiiSD_SD_iiiii
                                        ; -- End function
	.set _ZN4vllm25paged_attention_v1_kernelI14__hip_bfloat16hLi128ELi16ELi128ELNS_18Fp8KVCacheDataTypeE1ELb1EEEvPT_PKS3_PKT0_S9_ifPKiSB_iPKfiiiSD_SD_iiiii.num_vgpr, 128
	.set _ZN4vllm25paged_attention_v1_kernelI14__hip_bfloat16hLi128ELi16ELi128ELNS_18Fp8KVCacheDataTypeE1ELb1EEEvPT_PKS3_PKT0_S9_ifPKiSB_iPKfiiiSD_SD_iiiii.num_agpr, 0
	.set _ZN4vllm25paged_attention_v1_kernelI14__hip_bfloat16hLi128ELi16ELi128ELNS_18Fp8KVCacheDataTypeE1ELb1EEEvPT_PKS3_PKT0_S9_ifPKiSB_iPKfiiiSD_SD_iiiii.numbered_sgpr, 52
	.set _ZN4vllm25paged_attention_v1_kernelI14__hip_bfloat16hLi128ELi16ELi128ELNS_18Fp8KVCacheDataTypeE1ELb1EEEvPT_PKS3_PKT0_S9_ifPKiSB_iPKfiiiSD_SD_iiiii.num_named_barrier, 0
	.set _ZN4vllm25paged_attention_v1_kernelI14__hip_bfloat16hLi128ELi16ELi128ELNS_18Fp8KVCacheDataTypeE1ELb1EEEvPT_PKS3_PKT0_S9_ifPKiSB_iPKfiiiSD_SD_iiiii.private_seg_size, 60
	.set _ZN4vllm25paged_attention_v1_kernelI14__hip_bfloat16hLi128ELi16ELi128ELNS_18Fp8KVCacheDataTypeE1ELb1EEEvPT_PKS3_PKT0_S9_ifPKiSB_iPKfiiiSD_SD_iiiii.uses_vcc, 1
	.set _ZN4vllm25paged_attention_v1_kernelI14__hip_bfloat16hLi128ELi16ELi128ELNS_18Fp8KVCacheDataTypeE1ELb1EEEvPT_PKS3_PKT0_S9_ifPKiSB_iPKfiiiSD_SD_iiiii.uses_flat_scratch, 0
	.set _ZN4vllm25paged_attention_v1_kernelI14__hip_bfloat16hLi128ELi16ELi128ELNS_18Fp8KVCacheDataTypeE1ELb1EEEvPT_PKS3_PKT0_S9_ifPKiSB_iPKfiiiSD_SD_iiiii.has_dyn_sized_stack, 0
	.set _ZN4vllm25paged_attention_v1_kernelI14__hip_bfloat16hLi128ELi16ELi128ELNS_18Fp8KVCacheDataTypeE1ELb1EEEvPT_PKS3_PKT0_S9_ifPKiSB_iPKfiiiSD_SD_iiiii.has_recursion, 0
	.set _ZN4vllm25paged_attention_v1_kernelI14__hip_bfloat16hLi128ELi16ELi128ELNS_18Fp8KVCacheDataTypeE1ELb1EEEvPT_PKS3_PKT0_S9_ifPKiSB_iPKfiiiSD_SD_iiiii.has_indirect_call, 0
	.section	.AMDGPU.csdata,"",@progbits
; Kernel info:
; codeLenInByte = 40852
; TotalNumSgprs: 54
; NumVgprs: 128
; ScratchSize: 60
; MemoryBound: 0
; FloatMode: 240
; IeeeMode: 1
; LDSByteSize: 288 bytes/workgroup (compile time only)
; SGPRBlocks: 0
; VGPRBlocks: 15
; NumSGPRsForWavesPerEU: 54
; NumVGPRsForWavesPerEU: 128
; Occupancy: 8
; WaveLimiterHint : 1
; COMPUTE_PGM_RSRC2:SCRATCH_EN: 1
; COMPUTE_PGM_RSRC2:USER_SGPR: 6
; COMPUTE_PGM_RSRC2:TRAP_HANDLER: 0
; COMPUTE_PGM_RSRC2:TGID_X_EN: 1
; COMPUTE_PGM_RSRC2:TGID_Y_EN: 1
; COMPUTE_PGM_RSRC2:TGID_Z_EN: 1
; COMPUTE_PGM_RSRC2:TIDIG_COMP_CNT: 0
	.text
	.p2align	2                               ; -- Begin function _ZN4vllm22paged_attention_kernelI14__hip_bfloat16hLi192ELi16ELi128ELNS_18Fp8KVCacheDataTypeE1ELb1ELi0EEEvPfS3_PT_PKS4_PKT0_SA_ifPKiSC_iPKfiiiSE_SE_iiiii
	.type	_ZN4vllm22paged_attention_kernelI14__hip_bfloat16hLi192ELi16ELi128ELNS_18Fp8KVCacheDataTypeE1ELb1ELi0EEEvPfS3_PT_PKS4_PKT0_SA_ifPKiSC_iPKfiiiSE_SE_iiiii,@function
_ZN4vllm22paged_attention_kernelI14__hip_bfloat16hLi192ELi16ELi128ELNS_18Fp8KVCacheDataTypeE1ELb1ELi0EEEvPfS3_PT_PKS4_PKT0_SA_ifPKiSC_iPKfiiiSE_SE_iiiii: ; @_ZN4vllm22paged_attention_kernelI14__hip_bfloat16hLi192ELi16ELi128ELNS_18Fp8KVCacheDataTypeE1ELb1ELi0EEEvPfS3_PT_PKS4_PKT0_SA_ifPKiSC_iPKfiiiSE_SE_iiiii
; %bb.0:
	s_waitcnt vmcnt(0) expcnt(0) lgkmcnt(0)
	buffer_store_dword v40, off, s[0:3], s32 offset:188 ; 4-byte Folded Spill
	buffer_store_dword v41, off, s[0:3], s32 offset:184 ; 4-byte Folded Spill
	;; [unrolled: 1-line block ×47, first 2 shown]
	buffer_store_dword v127, off, s[0:3], s32 ; 4-byte Folded Spill
	s_mov_b32 s10, s13
	s_ashr_i32 s11, s13, 31
	buffer_store_dword v22, off, s[0:3], s32 offset:376 ; 4-byte Folded Spill
	buffer_store_dword v23, off, s[0:3], s32 offset:380 ; 4-byte Folded Spill
	;; [unrolled: 1-line block ×5, first 2 shown]
	s_lshl_b64 s[4:5], s[10:11], 2
	buffer_store_dword v9, off, s[0:3], s32 offset:412 ; 4-byte Folded Spill
	buffer_store_dword v1, off, s[0:3], s32 offset:440 ; 4-byte Folded Spill
	;; [unrolled: 1-line block ×3, first 2 shown]
	v_add_co_u32 v0, vcc_lo, v12, s4
	v_add_co_ci_u32_e64 v1, null, s5, v13, vcc_lo
	s_clause 0x1
	s_load_dword s4, s[8:9], 0x10
	s_load_dword s5, s[8:9], 0x0
	v_mov_b32_e32 v21, v6
	flat_load_dword v82, v[0:1]
	v_sub_nc_u32_e32 v0, 0, v8
	v_mov_b32_e32 v20, v7
	v_mov_b32_e32 v18, v10
	s_mov_b32 s18, s15
	v_max_i32_e32 v0, v8, v0
	v_cvt_f32_u32_e32 v1, v0
	v_sub_nc_u32_e32 v6, 0, v0
	v_rcp_iflag_f32_e32 v1, v1
	s_waitcnt lgkmcnt(0)
	s_lshr_b32 s4, s4, 16
	s_cmp_lg_u32 s4, 0
	s_cselect_b32 s4, -1, 0
	s_cmp_lg_u32 s4, 0
	s_addc_u32 s11, s5, 0
	v_mul_f32_e32 v1, 0x4f7ffffe, v1
	s_abs_i32 s4, s11
	s_mov_b32 s5, exec_lo
	v_cvt_u32_f32_e32 v1, v1
	v_mul_lo_u32 v6, v6, v1
	v_mul_hi_u32 v6, v1, v6
	v_add_nc_u32_e32 v1, v1, v6
	v_mul_hi_u32 v1, s4, v1
	v_mul_lo_u32 v6, v1, v0
	v_add_nc_u32_e32 v7, 1, v1
	v_sub_nc_u32_e32 v6, s4, v6
	s_abs_i32 s4, s12
	v_sub_nc_u32_e32 v9, v6, v0
	v_cmp_ge_u32_e32 vcc_lo, v6, v0
	v_cndmask_b32_e32 v1, v1, v7, vcc_lo
	v_cndmask_b32_e32 v6, v6, v9, vcc_lo
	v_xor_b32_e32 v7, s11, v8
	v_add_nc_u32_e32 v9, 1, v1
	v_cmp_ge_u32_e32 vcc_lo, v6, v0
	v_ashrrev_i32_e32 v7, 31, v7
	v_cndmask_b32_e32 v0, v1, v9, vcc_lo
	v_xor_b32_e32 v0, v0, v7
	v_sub_nc_u32_e32 v1, v0, v7
	v_sub_nc_u32_e32 v0, 0, v1
	v_max_i32_e32 v0, v1, v0
	v_cvt_f32_u32_e32 v6, v0
	v_sub_nc_u32_e32 v7, 0, v0
	v_rcp_iflag_f32_e32 v6, v6
	v_mul_f32_e32 v6, 0x4f7ffffe, v6
	v_cvt_u32_f32_e32 v6, v6
	v_mul_lo_u32 v7, v7, v6
	v_mul_hi_u32 v7, v6, v7
	v_add_nc_u32_e32 v6, v6, v7
	v_mad_u64_u32 v[12:13], null, s4, v6, 0
	v_mov_b32_e32 v6, 0
	buffer_store_dword v6, off, s[0:3], s32 offset:408 ; 4-byte Folded Spill
	v_cmpx_ne_u64_e32 0, v[15:16]
	s_cbranch_execz .LBB329_2
; %bb.1:
	s_ashr_i32 s13, s12, 31
	s_lshl_b64 s[6:7], s[12:13], 2
	v_add_co_u32 v6, vcc_lo, v15, s6
	v_add_co_ci_u32_e64 v7, null, s7, v16, vcc_lo
	flat_load_dword v6, v[6:7]
	s_waitcnt vmcnt(0) lgkmcnt(0)
	buffer_store_dword v6, off, s[0:3], s32 offset:408 ; 4-byte Folded Spill
.LBB329_2:
	s_or_b32 exec_lo, exec_lo, s5
	v_and_b32_e32 v32, 0x3ff, v31
	v_ashrrev_i32_e32 v1, 31, v1
	v_bfe_u32 v6, v31, 1, 9
	v_and_b32_e32 v29, 1, v31
	s_ashr_i32 s5, s12, 31
	v_lshlrev_b32_e32 v16, 3, v32
	s_mul_i32 s16, s12, 0xc0
	s_mov_b32 s6, exec_lo
	buffer_store_dword v6, off, s[0:3], s32 offset:424 ; 4-byte Folded Spill
	v_cmpx_gt_u32_e32 48, v32
	s_cbranch_execz .LBB329_4
; %bb.3:
	v_mul_lo_u32 v6, v17, s10
	s_ashr_i32 s17, s16, 31
	s_lshl_b64 s[20:21], s[16:17], 1
	v_ashrrev_i32_e32 v7, 31, v6
	v_lshlrev_b64 v[6:7], 1, v[6:7]
	v_add_co_u32 v2, vcc_lo, v2, v6
	v_add_co_ci_u32_e64 v3, null, v3, v7, vcc_lo
	buffer_load_dword v6, off, s[0:3], s32 offset:424 ; 4-byte Folded Reload
	v_add_co_u32 v2, vcc_lo, v2, s20
	v_add_co_ci_u32_e64 v3, null, s21, v3, vcc_lo
	v_add_co_u32 v2, vcc_lo, v2, v16
	v_add_co_ci_u32_e64 v3, null, 0, v3, vcc_lo
	flat_load_dwordx2 v[2:3], v[2:3]
	s_waitcnt vmcnt(1)
	v_lshlrev_b32_e32 v6, 3, v6
	v_mad_u32_u24 v6, 0xc0, v29, v6
	s_waitcnt vmcnt(0) lgkmcnt(0)
	ds_write_b64 v6, v[2:3]
.LBB329_4:
	s_or_b32 exec_lo, exec_lo, s6
	v_sub_nc_u32_e32 v2, 0, v27
	v_mul_lo_u32 v3, v13, v0
	v_add_nc_u32_e32 v7, 1, v13
	v_xor_b32_e32 v1, s5, v1
	v_max_i32_e32 v6, v27, v2
	v_sub_nc_u32_e32 v3, s4, v3
	v_cvt_f32_u32_e32 v2, v6
	buffer_store_dword v6, off, s[0:3], s32 offset:212 ; 4-byte Folded Spill
	v_sub_nc_u32_e32 v6, 0, v6
	s_mov_b32 s4, exec_lo
	v_sub_nc_u32_e32 v9, v3, v0
	v_rcp_iflag_f32_e32 v2, v2
	v_cmp_ge_u32_e32 vcc_lo, v3, v0
	v_cndmask_b32_e32 v7, v13, v7, vcc_lo
	v_cndmask_b32_e32 v3, v3, v9, vcc_lo
	v_mul_f32_e32 v2, 0x4f7ffffe, v2
	v_add_nc_u32_e32 v9, 1, v7
	v_cmp_ge_u32_e32 vcc_lo, v3, v0
	v_cvt_u32_f32_e32 v2, v2
	v_cndmask_b32_e32 v3, v7, v9, vcc_lo
	v_mul_lo_u32 v10, v6, v2
	s_waitcnt vmcnt(0)
	v_add_nc_u32_e32 v6, -1, v82
	v_xor_b32_e32 v7, v3, v1
	v_sub_nc_u32_e32 v12, 0, v6
	v_mul_hi_u32 v10, v2, v10
	v_max_i32_e32 v0, v6, v12
	v_add_nc_u32_e32 v2, v2, v10
	buffer_store_dword v2, off, s[0:3], s32 offset:216 ; 4-byte Folded Spill
	v_mad_u64_u32 v[2:3], null, v0, v2, 0
	v_sub_nc_u32_e32 v2, v7, v1
                                        ; implicit-def: $vgpr1
	s_waitcnt lgkmcnt(0)
	s_waitcnt_vscnt null, 0x0
	s_barrier
	buffer_gl0_inv
	buffer_store_dword v1, off, s[0:3], s32 offset:200 ; 4-byte Folded Spill
	buffer_store_dword v2, off, s[0:3], s32 offset:204 ; 4-byte Folded Spill
	v_cmpx_gt_i32_e32 0, v28
	s_xor_b32 s4, exec_lo, s4
	s_cbranch_execz .LBB329_6
; %bb.5:
	v_mad_u64_u32 v[7:8], null, v24, v8, v[2:3]
                                        ; implicit-def: $vgpr24
	v_mul_lo_u32 v1, v7, v28
                                        ; implicit-def: $vgpr28
	v_sub_nc_u32_e32 v1, 1, v1
	buffer_store_dword v1, off, s[0:3], s32 offset:200 ; 4-byte Folded Spill
	buffer_store_dword v2, off, s[0:3], s32 offset:204 ; 4-byte Folded Spill
.LBB329_6:
	s_or_saveexec_b32 s4, s4
	v_ashrrev_i32_e32 v1, 31, v6
	v_ashrrev_i32_e32 v6, 31, v27
	buffer_store_dword v6, off, s[0:3], s32 offset:208 ; 4-byte Folded Spill
	s_xor_b32 exec_lo, exec_lo, s4
	s_cbranch_execz .LBB329_8
; %bb.7:
	v_mad_u64_u32 v[6:7], null, s11, v24, s[12:13]
	v_mad_u64_u32 v[6:7], null, v6, v28, 1
	buffer_store_dword v6, off, s[0:3], s32 offset:200 ; 4-byte Folded Spill
	buffer_store_dword v7, off, s[0:3], s32 offset:204 ; 4-byte Folded Spill
.LBB329_8:
	s_or_b32 exec_lo, exec_lo, s4
	buffer_load_dword v12, off, s[0:3], s32 offset:212 ; 4-byte Folded Reload
	s_clause 0x1
	s_load_dword s13, s[8:9], 0x14
	s_load_dword s12, s[8:9], 0x8
	buffer_load_dword v10, off, s[0:3], s32 offset:208 ; 4-byte Folded Reload
	v_add_nc_u32_e32 v7, 15, v82
	v_lshrrev_b32_e32 v45, 5, v32
	v_mul_lo_u32 v17, v2, v19
	v_sub_nc_u32_e32 v19, 0, v26
	v_lshrrev_b32_e32 v13, 3, v32
	v_ashrrev_i32_e32 v9, 31, v7
	v_ashrrev_i32_e32 v31, 31, v17
	s_waitcnt vmcnt(1)
	v_mul_lo_u32 v6, v3, v12
	s_waitcnt vmcnt(0)
	v_xor_b32_e32 v10, v1, v10
	v_lshrrev_b32_e32 v1, 28, v9
	v_add_nc_u32_e32 v2, v7, v1
	v_sub_nc_u32_e32 v6, v0, v6
	v_add_nc_u32_e32 v0, 1, v3
	v_cmp_ge_u32_e32 vcc_lo, v6, v12
	v_sub_nc_u32_e32 v8, v6, v12
	v_cndmask_b32_e32 v3, v3, v0, vcc_lo
	v_cndmask_b32_e32 v6, v6, v8, vcc_lo
	v_mul_lo_u32 v0, v14, s10
	v_add_nc_u32_e32 v8, 1, v3
	v_cmp_ge_u32_e32 vcc_lo, v6, v12
	v_ashrrev_i32_e32 v6, 4, v2
	v_lshlrev_b32_e32 v2, 4, v45
	v_ashrrev_i32_e32 v1, 31, v0
	v_cndmask_b32_e32 v3, v3, v8, vcc_lo
	v_mov_b32_e32 v8, 0xff7fffff
	buffer_store_dword v2, off, s[0:3], s32 offset:448 ; 4-byte Folded Spill
	v_cmp_ge_i32_e64 s4, v45, v6
	v_lshlrev_b64 v[33:34], 2, v[0:1]
	v_xor_b32_e32 v3, v3, v10
	buffer_store_dword v6, off, s[0:3], s32 offset:192 ; 4-byte Folded Spill
	v_cmp_lt_i32_e32 vcc_lo, v45, v6
	v_sub_nc_u32_e32 v2, v3, v10
	v_sub_nc_u32_e32 v0, v2, v25
	buffer_store_dword v0, off, s[0:3], s32 offset:220 ; 4-byte Folded Spill
	s_mov_b32 s15, exec_lo
	s_and_b32 s5, s15, vcc_lo
	buffer_store_dword v32, off, s[0:3], s32 offset:428 ; 4-byte Folded Spill
	buffer_store_dword v29, off, s[0:3], s32 offset:432 ; 4-byte Folded Spill
	;; [unrolled: 1-line block ×3, first 2 shown]
	s_mov_b32 exec_lo, s5
	s_cbranch_execz .LBB329_788
; %bb.9:
	buffer_store_dword v16, off, s[0:3], s32 offset:472 ; 4-byte Folded Spill
	buffer_store_dword v21, off, s[0:3], s32 offset:468 ; 4-byte Folded Spill
	;; [unrolled: 1-line block ×5, first 2 shown]
	buffer_load_dword v3, off, s[0:3], s32 offset:408 ; 4-byte Folded Reload
	v_max_i32_e32 v6, v26, v19
	v_lshlrev_b32_e32 v8, 2, v29
	v_add_co_u32 v1, s5, v4, v17
	v_bfe_u32 v7, v32, 1, 4
	v_cvt_f32_u32_e32 v0, v6
	v_add_co_ci_u32_e64 v2, null, v5, v31, s5
	buffer_store_dword v6, off, s[0:3], s32 offset:308 ; 4-byte Folded Spill
	v_sub_nc_u32_e32 v4, 0, v6
	v_or_b32_e32 v6, 8, v8
	s_ashr_i32 s19, s18, 31
	s_getpc_b64 s[6:7]
	s_add_u32 s6, s6, llvm.amdgcn.dynlds.offset.table@rel32@lo+4
	s_addc_u32 s7, s7, llvm.amdgcn.dynlds.offset.table@rel32@hi+12
	s_lshl_b64 s[8:9], s[18:19], 2
	buffer_store_dword v17, off, s[0:3], s32 offset:488 ; 4-byte Folded Spill
	buffer_store_dword v31, off, s[0:3], s32 offset:496 ; 4-byte Folded Spill
	;; [unrolled: 1-line block ×3, first 2 shown]
	s_add_u32 s8, s6, s8
	buffer_store_dword v8, off, s[0:3], s32 offset:196 ; 4-byte Folded Spill
	buffer_store_dword v6, off, s[0:3], s32 offset:224 ; 4-byte Folded Spill
	;; [unrolled: 1-line block ×3, first 2 shown]
	v_rcp_iflag_f32_e32 v0, v0
	v_lshlrev_b32_e32 v5, 4, v7
	s_addc_u32 s9, s7, s9
	v_lshlrev_b32_e32 v6, 2, v7
	v_sub_nc_u32_e32 v7, v7, v82
	v_mov_b32_e32 v25, 0
	v_mul_u32_u24_e32 v96, 0xc0, v29
	v_lshlrev_b32_e32 v114, 4, v45
	v_mov_b32_e32 v115, 0x80
	v_lshl_or_b32 v119, v45, 6, v6
	v_mul_f32_e32 v0, 0x4f7ffffe, v0
	v_mov_b32_e32 v42, 0xff
	s_mov_b32 s19, 0
	v_cmp_eq_u32_e32 vcc_lo, 0, v29
	v_cvt_u32_f32_e32 v0, v0
	v_mul_lo_u32 v4, v4, v0
	v_mul_hi_u32 v4, v0, v4
	v_add_nc_u32_e32 v0, v0, v4
	s_waitcnt vmcnt(0)
	v_cmp_neq_f32_e64 s5, 0, v3
	v_and_b32_e32 v3, 0x7c, v13
	v_add_co_u32 v3, s6, v3, v33
	buffer_store_dword v33, off, s[0:3], s32 offset:476 ; 4-byte Folded Spill
	buffer_store_dword v34, off, s[0:3], s32 offset:480 ; 4-byte Folded Spill
	s_load_dword s17, s[8:9], 0x0
	v_add_co_ci_u32_e64 v8, null, 0, v34, s6
	v_add_co_u32 v1, s6, v1, v5
	v_add_co_ci_u32_e64 v2, null, 0, v2, s6
	buffer_store_dword v1, off, s[0:3], s32 offset:396 ; 4-byte Folded Spill
	buffer_store_dword v2, off, s[0:3], s32 offset:400 ; 4-byte Folded Spill
	v_add_nc_u32_e32 v1, 1, v7
	v_add_co_u32 v64, s6, v18, v3
	buffer_store_dword v1, off, s[0:3], s32 offset:420 ; 4-byte Folded Spill
	buffer_store_dword v18, off, s[0:3], s32 offset:456 ; 4-byte Folded Spill
	v_add_co_ci_u32_e64 v65, null, v11, v8, s6
	buffer_store_dword v0, off, s[0:3], s32 offset:312 ; 4-byte Folded Spill
	v_mov_b32_e32 v0, 0xff7fffff
	buffer_store_dword v11, off, s[0:3], s32 offset:452 ; 4-byte Folded Spill
	buffer_store_dword v96, off, s[0:3], s32 offset:404 ; 4-byte Folded Spill
	;; [unrolled: 1-line block ×3, first 2 shown]
	s_branch .LBB329_12
.LBB329_10:                             ;   in Loop: Header=BB329_12 Depth=1
	s_or_b32 exec_lo, exec_lo, s20
.LBB329_11:                             ;   in Loop: Header=BB329_12 Depth=1
	s_or_b32 exec_lo, exec_lo, s7
	buffer_load_dword v0, off, s[0:3], s32 offset:192 ; 4-byte Folded Reload
	v_add_nc_u32_e32 v45, 4, v45
	v_add_co_u32 v64, s7, v64, 16
	v_add_nc_u32_e32 v114, 64, v114
	v_add_nc_u32_e32 v119, 0x100, v119
	v_add_co_ci_u32_e64 v65, null, 0, v65, s7
	s_waitcnt vmcnt(0)
	v_cmp_ge_i32_e64 s6, v45, v0
	s_or_b32 s19, s6, s19
	s_andn2_b32 exec_lo, exec_lo, s19
	s_cbranch_execz .LBB329_787
.LBB329_12:                             ; =>This Inner Loop Header: Depth=1
	s_clause 0x1
	buffer_load_dword v0, off, s[0:3], s32 offset:216
	buffer_load_dword v4, off, s[0:3], s32 offset:212
	s_waitcnt vmcnt(1)
	v_mul_hi_u32 v0, v114, v0
	s_waitcnt vmcnt(0) lgkmcnt(0)
	v_mul_lo_u32 v1, v0, v4
	v_add_nc_u32_e32 v2, 1, v0
	v_sub_nc_u32_e32 v1, v114, v1
	v_sub_nc_u32_e32 v3, v1, v4
	v_cmp_ge_u32_e64 s6, v1, v4
	v_cndmask_b32_e64 v1, v1, v3, s6
	v_cndmask_b32_e64 v0, v0, v2, s6
	v_cmp_ge_u32_e64 s6, v1, v4
	buffer_load_dword v1, off, s[0:3], s32 offset:208 ; 4-byte Folded Reload
	v_add_nc_u32_e32 v2, 1, v0
	v_cndmask_b32_e64 v0, v0, v2, s6
	s_waitcnt vmcnt(0)
	v_xor_b32_e32 v0, v0, v1
	v_sub_nc_u32_e32 v0, v0, v1
	s_clause 0x3
	buffer_load_dword v1, off, s[0:3], s32 offset:200
	buffer_load_dword v2, off, s[0:3], s32 offset:204
	buffer_load_dword v3, off, s[0:3], s32 offset:312
	buffer_load_dword v4, off, s[0:3], s32 offset:308
	s_waitcnt vmcnt(3)
	v_add_nc_u32_e32 v1, v0, v1
	s_waitcnt vmcnt(2)
	v_sub_nc_u32_e32 v2, 0, v1
	v_max_i32_e32 v2, v1, v2
	v_ashrrev_i32_e32 v1, 31, v1
	s_waitcnt vmcnt(1)
	v_mul_hi_u32 v3, v2, v3
	s_waitcnt vmcnt(0)
	v_mul_lo_u32 v3, v3, v4
	v_sub_nc_u32_e32 v2, v2, v3
	v_sub_nc_u32_e32 v3, v2, v4
	v_cmp_ge_u32_e64 s6, v2, v4
	v_cndmask_b32_e64 v2, v2, v3, s6
	v_sub_nc_u32_e32 v3, v2, v4
	v_cmp_ge_u32_e64 s6, v2, v4
	v_cndmask_b32_e64 v2, v2, v3, s6
	v_xor_b32_e32 v2, v2, v1
	v_sub_nc_u32_e32 v1, v2, v1
	v_cmp_ne_u32_e64 s6, 0, v1
	buffer_load_dword v1, off, s[0:3], s32 offset:220 ; 4-byte Folded Reload
	s_waitcnt vmcnt(0)
	v_cmp_le_i32_e64 s7, v0, v1
	s_and_b32 s6, s6, s7
	s_and_saveexec_b32 s7, s6
	s_xor_b32 s6, exec_lo, s7
	s_cbranch_execz .LBB329_16
; %bb.13:                               ;   in Loop: Header=BB329_12 Depth=1
	s_and_saveexec_b32 s7, vcc_lo
	s_cbranch_execz .LBB329_15
; %bb.14:                               ;   in Loop: Header=BB329_12 Depth=1
	s_waitcnt lgkmcnt(0)
	v_add_nc_u32_e32 v0, s17, v119
	v_mov_b32_e32 v1, 0xff7fffff
	ds_write_b32 v0, v1
.LBB329_15:                             ;   in Loop: Header=BB329_12 Depth=1
	s_or_b32 exec_lo, exec_lo, s7
.LBB329_16:                             ;   in Loop: Header=BB329_12 Depth=1
	s_andn2_saveexec_b32 s7, s6
	s_cbranch_execz .LBB329_11
; %bb.17:                               ;   in Loop: Header=BB329_12 Depth=1
	flat_load_dword v0, v[64:65]
	s_clause 0x2
	buffer_load_dword v1, off, s[0:3], s32 offset:304
	buffer_load_dword v2, off, s[0:3], s32 offset:396
	;; [unrolled: 1-line block ×3, first 2 shown]
	v_mov_b32_e32 v123, 0
	v_mov_b32_e32 v124, 0
	s_waitcnt vmcnt(0) lgkmcnt(0)
	v_mad_i64_i32 v[66:67], null, v0, v1, v[2:3]
	buffer_load_dword v0, off, s[0:3], s32 offset:196 ; 4-byte Folded Reload
	s_waitcnt vmcnt(0)
	v_add_co_u32 v68, s6, v66, v0
	v_add_co_ci_u32_e64 v69, null, 0, v67, s6
	flat_load_dword v0, v[68:69]
	s_clause 0x1
	buffer_load_dword v1, off, s[0:3], s32 offset:384
	buffer_load_dword v2, off, s[0:3], s32 offset:388
	s_waitcnt vmcnt(2) lgkmcnt(0)
	v_cmp_ne_u16_sdwa s6, v0, v25 src0_sel:BYTE_0 src1_sel:DWORD
	s_waitcnt vmcnt(0)
	flat_load_dword v46, v[1:2]
	ds_read_b128 v[48:51], v96
	ds_read_b128 v[35:38], v96 offset:16
	ds_read_b128 v[31:34], v96 offset:32
	;; [unrolled: 1-line block ×5, first 2 shown]
	ds_read_b32 v1, v96 offset:96
	s_waitcnt lgkmcnt(0)
	buffer_store_dword v1, off, s[0:3], s32 offset:316 ; 4-byte Folded Spill
	ds_read_u16 v1, v96 offset:100
	s_waitcnt lgkmcnt(0)
	buffer_store_dword v1, off, s[0:3], s32 offset:320 ; 4-byte Folded Spill
	s_and_saveexec_b32 s20, s6
	s_cbranch_execz .LBB329_25
; %bb.18:                               ;   in Loop: Header=BB329_12 Depth=1
	v_cmp_ne_u16_sdwa s6, v0, v115 src0_sel:BYTE_0 src1_sel:DWORD
	v_bfrev_b32_e32 v124, 1
	s_and_saveexec_b32 s21, s6
	s_cbranch_execz .LBB329_24
; %bb.19:                               ;   in Loop: Header=BB329_12 Depth=1
	v_and_b32_e32 v6, 0x7f, v0
	v_mov_b32_e32 v124, 0x7f800001
	s_mov_b32 s22, exec_lo
	v_cmpx_ne_u32_e32 0x7f, v6
	s_cbranch_execz .LBB329_23
; %bb.20:                               ;   in Loop: Header=BB329_12 Depth=1
	v_and_b32_e32 v24, 7, v0
	v_mov_b32_e32 v71, v25
	v_lshrrev_b32_e32 v1, 3, v6
	s_mov_b32 s23, exec_lo
	v_mov_b32_e32 v70, v24
	v_cmpx_gt_u32_e32 8, v6
; %bb.21:                               ;   in Loop: Header=BB329_12 Depth=1
	v_ffbh_u32_e32 v1, v24
	v_min_u32_e32 v1, 32, v1
	v_subrev_nc_u32_e32 v6, 28, v1
	v_sub_nc_u32_e32 v1, 29, v1
	v_lshlrev_b64 v[6:7], v6, v[24:25]
	v_and_b32_e32 v70, 7, v6
; %bb.22:                               ;   in Loop: Header=BB329_12 Depth=1
	s_or_b32 exec_lo, exec_lo, s23
	v_lshlrev_b32_e32 v6, 24, v0
	v_lshlrev_b32_e32 v7, 20, v70
	v_lshl_add_u32 v1, v1, 23, 0x3c000000
	v_and_b32_e32 v6, 0x80000000, v6
	v_or3_b32 v124, v7, v6, v1
.LBB329_23:                             ;   in Loop: Header=BB329_12 Depth=1
	s_or_b32 exec_lo, exec_lo, s22
.LBB329_24:                             ;   in Loop: Header=BB329_12 Depth=1
	s_or_b32 exec_lo, exec_lo, s21
.LBB329_25:                             ;   in Loop: Header=BB329_12 Depth=1
	s_or_b32 exec_lo, exec_lo, s20
	v_cmp_ne_u16_sdwa s6, v0, v25 src0_sel:BYTE_1 src1_sel:DWORD
	s_and_saveexec_b32 s20, s6
	s_cbranch_execz .LBB329_33
; %bb.26:                               ;   in Loop: Header=BB329_12 Depth=1
	v_cmp_ne_u16_sdwa s6, v0, v115 src0_sel:BYTE_1 src1_sel:DWORD
	v_bfrev_b32_e32 v123, 1
	s_and_saveexec_b32 s21, s6
	s_cbranch_execz .LBB329_32
; %bb.27:                               ;   in Loop: Header=BB329_12 Depth=1
	v_mov_b32_e32 v1, 0xffff
	v_mov_b32_e32 v123, 0x7f800001
	s_mov_b32 s22, exec_lo
	v_and_b32_sdwa v1, v1, v0 dst_sel:DWORD dst_unused:UNUSED_PAD src0_sel:DWORD src1_sel:BYTE_1
	v_and_b32_e32 v6, 0x7f, v1
	v_cmpx_ne_u32_e32 0x7f, v6
	s_cbranch_execz .LBB329_31
; %bb.28:                               ;   in Loop: Header=BB329_12 Depth=1
	v_and_b32_e32 v24, 7, v1
	v_mov_b32_e32 v71, v25
	v_lshrrev_b32_e32 v1, 3, v6
	s_mov_b32 s23, exec_lo
	v_mov_b32_e32 v70, v24
	v_cmpx_gt_u32_e32 8, v6
; %bb.29:                               ;   in Loop: Header=BB329_12 Depth=1
	v_ffbh_u32_e32 v1, v24
	v_min_u32_e32 v1, 32, v1
	v_subrev_nc_u32_e32 v6, 28, v1
	v_sub_nc_u32_e32 v1, 29, v1
	v_lshlrev_b64 v[6:7], v6, v[24:25]
	v_and_b32_e32 v70, 7, v6
; %bb.30:                               ;   in Loop: Header=BB329_12 Depth=1
	s_or_b32 exec_lo, exec_lo, s23
	v_lshlrev_b32_e32 v6, 16, v0
	v_lshlrev_b32_e32 v7, 20, v70
	v_lshl_add_u32 v1, v1, 23, 0x3c000000
	v_and_b32_e32 v6, 0x80000000, v6
	v_or3_b32 v123, v7, v6, v1
.LBB329_31:                             ;   in Loop: Header=BB329_12 Depth=1
	s_or_b32 exec_lo, exec_lo, s22
.LBB329_32:                             ;   in Loop: Header=BB329_12 Depth=1
	s_or_b32 exec_lo, exec_lo, s21
.LBB329_33:                             ;   in Loop: Header=BB329_12 Depth=1
	s_or_b32 exec_lo, exec_lo, s20
	v_and_b32_sdwa v1, v0, v42 dst_sel:DWORD dst_unused:UNUSED_PAD src0_sel:WORD_1 src1_sel:DWORD
	v_mov_b32_e32 v125, 0
	v_mov_b32_e32 v126, 0
	s_mov_b32 s20, exec_lo
	v_cmpx_ne_u16_e32 0, v1
	s_cbranch_execz .LBB329_41
; %bb.34:                               ;   in Loop: Header=BB329_12 Depth=1
	v_bfrev_b32_e32 v126, 1
	s_mov_b32 s21, exec_lo
	v_cmpx_ne_u16_e32 0x80, v1
	s_cbranch_execz .LBB329_40
; %bb.35:                               ;   in Loop: Header=BB329_12 Depth=1
	v_bfe_u32 v6, v0, 16, 7
	v_mov_b32_e32 v126, 0x7f800001
	s_mov_b32 s22, exec_lo
	v_cmpx_ne_u32_e32 0x7f, v6
	s_cbranch_execz .LBB329_39
; %bb.36:                               ;   in Loop: Header=BB329_12 Depth=1
	v_mov_b32_e32 v1, 7
	s_mov_b32 s23, exec_lo
	v_and_b32_sdwa v24, v0, v1 dst_sel:DWORD dst_unused:UNUSED_PAD src0_sel:WORD_1 src1_sel:DWORD
	v_mov_b32_e32 v71, v25
	v_lshrrev_b32_e32 v1, 3, v6
	v_mov_b32_e32 v70, v24
	v_cmpx_gt_u32_e32 8, v6
; %bb.37:                               ;   in Loop: Header=BB329_12 Depth=1
	v_ffbh_u32_e32 v1, v24
	v_min_u32_e32 v1, 32, v1
	v_subrev_nc_u32_e32 v6, 28, v1
	v_sub_nc_u32_e32 v1, 29, v1
	v_lshlrev_b64 v[6:7], v6, v[24:25]
	v_and_b32_e32 v70, 7, v6
; %bb.38:                               ;   in Loop: Header=BB329_12 Depth=1
	s_or_b32 exec_lo, exec_lo, s23
	v_mov_b32_e32 v6, 24
	v_lshlrev_b32_e32 v7, 20, v70
	v_lshl_add_u32 v1, v1, 23, 0x3c000000
	v_lshlrev_b32_sdwa v6, v6, v0 dst_sel:DWORD dst_unused:UNUSED_PAD src0_sel:DWORD src1_sel:WORD_1
	v_and_b32_e32 v6, 0x80000000, v6
	v_or3_b32 v126, v7, v6, v1
.LBB329_39:                             ;   in Loop: Header=BB329_12 Depth=1
	s_or_b32 exec_lo, exec_lo, s22
.LBB329_40:                             ;   in Loop: Header=BB329_12 Depth=1
	s_or_b32 exec_lo, exec_lo, s21
.LBB329_41:                             ;   in Loop: Header=BB329_12 Depth=1
	s_or_b32 exec_lo, exec_lo, s20
	s_mov_b32 s20, exec_lo
	v_cmpx_lt_u32_e32 0xffffff, v0
	s_cbranch_execz .LBB329_49
; %bb.42:                               ;   in Loop: Header=BB329_12 Depth=1
	v_cmp_ne_u32_sdwa s6, v0, v115 src0_sel:BYTE_3 src1_sel:DWORD
	v_bfrev_b32_e32 v125, 1
	s_and_saveexec_b32 s21, s6
	s_cbranch_execz .LBB329_48
; %bb.43:                               ;   in Loop: Header=BB329_12 Depth=1
	v_bfe_u32 v6, v0, 24, 7
	v_mov_b32_e32 v125, 0x7f800001
	s_mov_b32 s22, exec_lo
	v_cmpx_ne_u32_e32 0x7f, v6
	s_cbranch_execz .LBB329_47
; %bb.44:                               ;   in Loop: Header=BB329_12 Depth=1
	v_mov_b32_e32 v1, 7
	s_mov_b32 s23, exec_lo
	v_and_b32_sdwa v24, v0, v1 dst_sel:DWORD dst_unused:UNUSED_PAD src0_sel:BYTE_3 src1_sel:DWORD
	v_mov_b32_e32 v71, v25
	v_lshrrev_b32_e32 v1, 3, v6
	v_mov_b32_e32 v70, v24
	v_cmpx_gt_u32_e32 8, v6
; %bb.45:                               ;   in Loop: Header=BB329_12 Depth=1
	v_ffbh_u32_e32 v1, v24
	v_min_u32_e32 v1, 32, v1
	v_subrev_nc_u32_e32 v6, 28, v1
	v_sub_nc_u32_e32 v1, 29, v1
	v_lshlrev_b64 v[6:7], v6, v[24:25]
	v_and_b32_e32 v70, 7, v6
; %bb.46:                               ;   in Loop: Header=BB329_12 Depth=1
	s_or_b32 exec_lo, exec_lo, s23
	v_mov_b32_e32 v6, 24
	v_lshl_add_u32 v1, v1, 23, 0x3c000000
	v_lshlrev_b32_sdwa v0, v6, v0 dst_sel:DWORD dst_unused:UNUSED_PAD src0_sel:DWORD src1_sel:BYTE_3
	v_lshlrev_b32_e32 v6, 20, v70
	v_and_b32_e32 v0, 0x80000000, v0
	v_or3_b32 v125, v6, v0, v1
.LBB329_47:                             ;   in Loop: Header=BB329_12 Depth=1
	s_or_b32 exec_lo, exec_lo, s22
.LBB329_48:                             ;   in Loop: Header=BB329_12 Depth=1
	s_or_b32 exec_lo, exec_lo, s21
.LBB329_49:                             ;   in Loop: Header=BB329_12 Depth=1
	s_or_b32 exec_lo, exec_lo, s20
	flat_load_dword v0, v[68:69] offset:8
	v_mov_b32_e32 v127, 0
	v_mov_b32_e32 v88, 0
	s_waitcnt vmcnt(0) lgkmcnt(0)
	v_cmp_ne_u16_sdwa s6, v0, v25 src0_sel:BYTE_0 src1_sel:DWORD
	s_and_saveexec_b32 s20, s6
	s_cbranch_execz .LBB329_57
; %bb.50:                               ;   in Loop: Header=BB329_12 Depth=1
	v_cmp_ne_u16_sdwa s6, v0, v115 src0_sel:BYTE_0 src1_sel:DWORD
	v_bfrev_b32_e32 v88, 1
	s_and_saveexec_b32 s21, s6
	s_cbranch_execz .LBB329_56
; %bb.51:                               ;   in Loop: Header=BB329_12 Depth=1
	v_and_b32_e32 v6, 0x7f, v0
	v_mov_b32_e32 v88, 0x7f800001
	s_mov_b32 s22, exec_lo
	v_cmpx_ne_u32_e32 0x7f, v6
	s_cbranch_execz .LBB329_55
; %bb.52:                               ;   in Loop: Header=BB329_12 Depth=1
	v_and_b32_e32 v24, 7, v0
	v_mov_b32_e32 v71, v25
	v_lshrrev_b32_e32 v1, 3, v6
	s_mov_b32 s23, exec_lo
	v_mov_b32_e32 v70, v24
	v_cmpx_gt_u32_e32 8, v6
; %bb.53:                               ;   in Loop: Header=BB329_12 Depth=1
	v_ffbh_u32_e32 v1, v24
	v_min_u32_e32 v1, 32, v1
	v_subrev_nc_u32_e32 v6, 28, v1
	v_sub_nc_u32_e32 v1, 29, v1
	v_lshlrev_b64 v[6:7], v6, v[24:25]
	v_and_b32_e32 v70, 7, v6
; %bb.54:                               ;   in Loop: Header=BB329_12 Depth=1
	s_or_b32 exec_lo, exec_lo, s23
	v_lshlrev_b32_e32 v6, 24, v0
	v_lshlrev_b32_e32 v7, 20, v70
	v_lshl_add_u32 v1, v1, 23, 0x3c000000
	v_and_b32_e32 v6, 0x80000000, v6
	v_or3_b32 v88, v7, v6, v1
.LBB329_55:                             ;   in Loop: Header=BB329_12 Depth=1
	s_or_b32 exec_lo, exec_lo, s22
.LBB329_56:                             ;   in Loop: Header=BB329_12 Depth=1
	s_or_b32 exec_lo, exec_lo, s21
.LBB329_57:                             ;   in Loop: Header=BB329_12 Depth=1
	s_or_b32 exec_lo, exec_lo, s20
	v_cmp_ne_u16_sdwa s6, v0, v25 src0_sel:BYTE_1 src1_sel:DWORD
	s_and_saveexec_b32 s20, s6
	s_cbranch_execz .LBB329_65
; %bb.58:                               ;   in Loop: Header=BB329_12 Depth=1
	v_cmp_ne_u16_sdwa s6, v0, v115 src0_sel:BYTE_1 src1_sel:DWORD
	v_bfrev_b32_e32 v127, 1
	s_and_saveexec_b32 s21, s6
	s_cbranch_execz .LBB329_64
; %bb.59:                               ;   in Loop: Header=BB329_12 Depth=1
	v_mov_b32_e32 v1, 0xffff
	v_mov_b32_e32 v127, 0x7f800001
	s_mov_b32 s22, exec_lo
	v_and_b32_sdwa v1, v1, v0 dst_sel:DWORD dst_unused:UNUSED_PAD src0_sel:DWORD src1_sel:BYTE_1
	v_and_b32_e32 v6, 0x7f, v1
	v_cmpx_ne_u32_e32 0x7f, v6
	s_cbranch_execz .LBB329_63
; %bb.60:                               ;   in Loop: Header=BB329_12 Depth=1
	v_and_b32_e32 v24, 7, v1
	v_mov_b32_e32 v71, v25
	v_lshrrev_b32_e32 v1, 3, v6
	s_mov_b32 s23, exec_lo
	v_mov_b32_e32 v70, v24
	v_cmpx_gt_u32_e32 8, v6
; %bb.61:                               ;   in Loop: Header=BB329_12 Depth=1
	v_ffbh_u32_e32 v1, v24
	v_min_u32_e32 v1, 32, v1
	v_subrev_nc_u32_e32 v6, 28, v1
	v_sub_nc_u32_e32 v1, 29, v1
	v_lshlrev_b64 v[6:7], v6, v[24:25]
	v_and_b32_e32 v70, 7, v6
; %bb.62:                               ;   in Loop: Header=BB329_12 Depth=1
	s_or_b32 exec_lo, exec_lo, s23
	v_lshlrev_b32_e32 v6, 16, v0
	v_lshlrev_b32_e32 v7, 20, v70
	v_lshl_add_u32 v1, v1, 23, 0x3c000000
	v_and_b32_e32 v6, 0x80000000, v6
	v_or3_b32 v127, v7, v6, v1
.LBB329_63:                             ;   in Loop: Header=BB329_12 Depth=1
	s_or_b32 exec_lo, exec_lo, s22
.LBB329_64:                             ;   in Loop: Header=BB329_12 Depth=1
	s_or_b32 exec_lo, exec_lo, s21
.LBB329_65:                             ;   in Loop: Header=BB329_12 Depth=1
	s_or_b32 exec_lo, exec_lo, s20
	v_and_b32_sdwa v1, v0, v42 dst_sel:DWORD dst_unused:UNUSED_PAD src0_sel:WORD_1 src1_sel:DWORD
	v_mov_b32_e32 v39, 0
	v_mov_b32_e32 v89, 0
	s_mov_b32 s20, exec_lo
	v_cmpx_ne_u16_e32 0, v1
	s_cbranch_execz .LBB329_73
; %bb.66:                               ;   in Loop: Header=BB329_12 Depth=1
	v_bfrev_b32_e32 v89, 1
	s_mov_b32 s21, exec_lo
	v_cmpx_ne_u16_e32 0x80, v1
	s_cbranch_execz .LBB329_72
; %bb.67:                               ;   in Loop: Header=BB329_12 Depth=1
	v_bfe_u32 v6, v0, 16, 7
	v_mov_b32_e32 v89, 0x7f800001
	s_mov_b32 s22, exec_lo
	v_cmpx_ne_u32_e32 0x7f, v6
	s_cbranch_execz .LBB329_71
; %bb.68:                               ;   in Loop: Header=BB329_12 Depth=1
	v_mov_b32_e32 v1, 7
	s_mov_b32 s23, exec_lo
	v_and_b32_sdwa v24, v0, v1 dst_sel:DWORD dst_unused:UNUSED_PAD src0_sel:WORD_1 src1_sel:DWORD
	v_mov_b32_e32 v71, v25
	v_lshrrev_b32_e32 v1, 3, v6
	v_mov_b32_e32 v70, v24
	v_cmpx_gt_u32_e32 8, v6
; %bb.69:                               ;   in Loop: Header=BB329_12 Depth=1
	v_ffbh_u32_e32 v1, v24
	v_min_u32_e32 v1, 32, v1
	v_subrev_nc_u32_e32 v6, 28, v1
	v_sub_nc_u32_e32 v1, 29, v1
	v_lshlrev_b64 v[6:7], v6, v[24:25]
	v_and_b32_e32 v70, 7, v6
; %bb.70:                               ;   in Loop: Header=BB329_12 Depth=1
	s_or_b32 exec_lo, exec_lo, s23
	v_mov_b32_e32 v6, 24
	v_lshlrev_b32_e32 v7, 20, v70
	v_lshl_add_u32 v1, v1, 23, 0x3c000000
	v_lshlrev_b32_sdwa v6, v6, v0 dst_sel:DWORD dst_unused:UNUSED_PAD src0_sel:DWORD src1_sel:WORD_1
	v_and_b32_e32 v6, 0x80000000, v6
	v_or3_b32 v89, v7, v6, v1
.LBB329_71:                             ;   in Loop: Header=BB329_12 Depth=1
	s_or_b32 exec_lo, exec_lo, s22
.LBB329_72:                             ;   in Loop: Header=BB329_12 Depth=1
	s_or_b32 exec_lo, exec_lo, s21
.LBB329_73:                             ;   in Loop: Header=BB329_12 Depth=1
	s_or_b32 exec_lo, exec_lo, s20
	s_mov_b32 s20, exec_lo
	v_cmpx_lt_u32_e32 0xffffff, v0
	s_cbranch_execz .LBB329_81
; %bb.74:                               ;   in Loop: Header=BB329_12 Depth=1
	v_cmp_ne_u32_sdwa s6, v0, v115 src0_sel:BYTE_3 src1_sel:DWORD
	v_bfrev_b32_e32 v39, 1
	s_and_saveexec_b32 s21, s6
	s_cbranch_execz .LBB329_80
; %bb.75:                               ;   in Loop: Header=BB329_12 Depth=1
	v_bfe_u32 v6, v0, 24, 7
	v_mov_b32_e32 v39, 0x7f800001
	s_mov_b32 s22, exec_lo
	v_cmpx_ne_u32_e32 0x7f, v6
	s_cbranch_execz .LBB329_79
; %bb.76:                               ;   in Loop: Header=BB329_12 Depth=1
	v_mov_b32_e32 v1, 7
	s_mov_b32 s23, exec_lo
	v_and_b32_sdwa v24, v0, v1 dst_sel:DWORD dst_unused:UNUSED_PAD src0_sel:BYTE_3 src1_sel:DWORD
	v_mov_b32_e32 v71, v25
	v_lshrrev_b32_e32 v1, 3, v6
	v_mov_b32_e32 v70, v24
	v_cmpx_gt_u32_e32 8, v6
; %bb.77:                               ;   in Loop: Header=BB329_12 Depth=1
	v_ffbh_u32_e32 v1, v24
	v_min_u32_e32 v1, 32, v1
	v_subrev_nc_u32_e32 v6, 28, v1
	v_sub_nc_u32_e32 v1, 29, v1
	v_lshlrev_b64 v[6:7], v6, v[24:25]
	v_and_b32_e32 v70, 7, v6
; %bb.78:                               ;   in Loop: Header=BB329_12 Depth=1
	s_or_b32 exec_lo, exec_lo, s23
	v_mov_b32_e32 v6, 24
	v_lshl_add_u32 v1, v1, 23, 0x3c000000
	v_lshlrev_b32_sdwa v0, v6, v0 dst_sel:DWORD dst_unused:UNUSED_PAD src0_sel:DWORD src1_sel:BYTE_3
	v_lshlrev_b32_e32 v6, 20, v70
	v_and_b32_e32 v0, 0x80000000, v0
	v_or3_b32 v39, v6, v0, v1
.LBB329_79:                             ;   in Loop: Header=BB329_12 Depth=1
	s_or_b32 exec_lo, exec_lo, s22
.LBB329_80:                             ;   in Loop: Header=BB329_12 Depth=1
	s_or_b32 exec_lo, exec_lo, s21
.LBB329_81:                             ;   in Loop: Header=BB329_12 Depth=1
	s_or_b32 exec_lo, exec_lo, s20
	flat_load_dword v0, v[68:69] offset:256
	v_mov_b32_e32 v90, 0
	v_mov_b32_e32 v91, 0
	s_waitcnt vmcnt(0) lgkmcnt(0)
	v_cmp_ne_u16_sdwa s6, v0, v25 src0_sel:BYTE_0 src1_sel:DWORD
	s_and_saveexec_b32 s20, s6
	s_cbranch_execz .LBB329_89
; %bb.82:                               ;   in Loop: Header=BB329_12 Depth=1
	v_cmp_ne_u16_sdwa s6, v0, v115 src0_sel:BYTE_0 src1_sel:DWORD
	v_bfrev_b32_e32 v91, 1
	s_and_saveexec_b32 s21, s6
	s_cbranch_execz .LBB329_88
; %bb.83:                               ;   in Loop: Header=BB329_12 Depth=1
	v_and_b32_e32 v6, 0x7f, v0
	v_mov_b32_e32 v91, 0x7f800001
	s_mov_b32 s22, exec_lo
	v_cmpx_ne_u32_e32 0x7f, v6
	s_cbranch_execz .LBB329_87
; %bb.84:                               ;   in Loop: Header=BB329_12 Depth=1
	v_and_b32_e32 v24, 7, v0
	v_mov_b32_e32 v71, v25
	v_lshrrev_b32_e32 v1, 3, v6
	s_mov_b32 s23, exec_lo
	v_mov_b32_e32 v70, v24
	v_cmpx_gt_u32_e32 8, v6
; %bb.85:                               ;   in Loop: Header=BB329_12 Depth=1
	v_ffbh_u32_e32 v1, v24
	v_min_u32_e32 v1, 32, v1
	v_subrev_nc_u32_e32 v6, 28, v1
	v_sub_nc_u32_e32 v1, 29, v1
	v_lshlrev_b64 v[6:7], v6, v[24:25]
	v_and_b32_e32 v70, 7, v6
; %bb.86:                               ;   in Loop: Header=BB329_12 Depth=1
	s_or_b32 exec_lo, exec_lo, s23
	v_lshlrev_b32_e32 v6, 24, v0
	v_lshlrev_b32_e32 v7, 20, v70
	v_lshl_add_u32 v1, v1, 23, 0x3c000000
	v_and_b32_e32 v6, 0x80000000, v6
	v_or3_b32 v91, v7, v6, v1
.LBB329_87:                             ;   in Loop: Header=BB329_12 Depth=1
	s_or_b32 exec_lo, exec_lo, s22
.LBB329_88:                             ;   in Loop: Header=BB329_12 Depth=1
	s_or_b32 exec_lo, exec_lo, s21
.LBB329_89:                             ;   in Loop: Header=BB329_12 Depth=1
	s_or_b32 exec_lo, exec_lo, s20
	v_cmp_ne_u16_sdwa s6, v0, v25 src0_sel:BYTE_1 src1_sel:DWORD
	s_and_saveexec_b32 s20, s6
	s_cbranch_execz .LBB329_97
; %bb.90:                               ;   in Loop: Header=BB329_12 Depth=1
	v_cmp_ne_u16_sdwa s6, v0, v115 src0_sel:BYTE_1 src1_sel:DWORD
	v_bfrev_b32_e32 v90, 1
	s_and_saveexec_b32 s21, s6
	s_cbranch_execz .LBB329_96
; %bb.91:                               ;   in Loop: Header=BB329_12 Depth=1
	v_mov_b32_e32 v1, 0xffff
	v_mov_b32_e32 v90, 0x7f800001
	s_mov_b32 s22, exec_lo
	v_and_b32_sdwa v1, v1, v0 dst_sel:DWORD dst_unused:UNUSED_PAD src0_sel:DWORD src1_sel:BYTE_1
	v_and_b32_e32 v6, 0x7f, v1
	v_cmpx_ne_u32_e32 0x7f, v6
	s_cbranch_execz .LBB329_95
; %bb.92:                               ;   in Loop: Header=BB329_12 Depth=1
	v_and_b32_e32 v24, 7, v1
	v_mov_b32_e32 v71, v25
	v_lshrrev_b32_e32 v1, 3, v6
	s_mov_b32 s23, exec_lo
	v_mov_b32_e32 v70, v24
	v_cmpx_gt_u32_e32 8, v6
; %bb.93:                               ;   in Loop: Header=BB329_12 Depth=1
	v_ffbh_u32_e32 v1, v24
	v_min_u32_e32 v1, 32, v1
	v_subrev_nc_u32_e32 v6, 28, v1
	v_sub_nc_u32_e32 v1, 29, v1
	v_lshlrev_b64 v[6:7], v6, v[24:25]
	v_and_b32_e32 v70, 7, v6
; %bb.94:                               ;   in Loop: Header=BB329_12 Depth=1
	s_or_b32 exec_lo, exec_lo, s23
	v_lshlrev_b32_e32 v6, 16, v0
	v_lshlrev_b32_e32 v7, 20, v70
	v_lshl_add_u32 v1, v1, 23, 0x3c000000
	v_and_b32_e32 v6, 0x80000000, v6
	v_or3_b32 v90, v7, v6, v1
.LBB329_95:                             ;   in Loop: Header=BB329_12 Depth=1
	s_or_b32 exec_lo, exec_lo, s22
.LBB329_96:                             ;   in Loop: Header=BB329_12 Depth=1
	s_or_b32 exec_lo, exec_lo, s21
.LBB329_97:                             ;   in Loop: Header=BB329_12 Depth=1
	s_or_b32 exec_lo, exec_lo, s20
	v_and_b32_sdwa v1, v0, v42 dst_sel:DWORD dst_unused:UNUSED_PAD src0_sel:WORD_1 src1_sel:DWORD
	v_mov_b32_e32 v92, 0
	v_mov_b32_e32 v81, 0
	s_mov_b32 s20, exec_lo
	v_cmpx_ne_u16_e32 0, v1
	s_cbranch_execz .LBB329_105
; %bb.98:                               ;   in Loop: Header=BB329_12 Depth=1
	v_bfrev_b32_e32 v81, 1
	s_mov_b32 s21, exec_lo
	v_cmpx_ne_u16_e32 0x80, v1
	s_cbranch_execz .LBB329_104
; %bb.99:                               ;   in Loop: Header=BB329_12 Depth=1
	v_bfe_u32 v6, v0, 16, 7
	v_mov_b32_e32 v81, 0x7f800001
	s_mov_b32 s22, exec_lo
	v_cmpx_ne_u32_e32 0x7f, v6
	s_cbranch_execz .LBB329_103
; %bb.100:                              ;   in Loop: Header=BB329_12 Depth=1
	v_mov_b32_e32 v1, 7
	s_mov_b32 s23, exec_lo
	v_and_b32_sdwa v24, v0, v1 dst_sel:DWORD dst_unused:UNUSED_PAD src0_sel:WORD_1 src1_sel:DWORD
	v_mov_b32_e32 v71, v25
	v_lshrrev_b32_e32 v1, 3, v6
	v_mov_b32_e32 v70, v24
	v_cmpx_gt_u32_e32 8, v6
; %bb.101:                              ;   in Loop: Header=BB329_12 Depth=1
	v_ffbh_u32_e32 v1, v24
	v_min_u32_e32 v1, 32, v1
	v_subrev_nc_u32_e32 v6, 28, v1
	v_sub_nc_u32_e32 v1, 29, v1
	v_lshlrev_b64 v[6:7], v6, v[24:25]
	v_and_b32_e32 v70, 7, v6
; %bb.102:                              ;   in Loop: Header=BB329_12 Depth=1
	s_or_b32 exec_lo, exec_lo, s23
	v_mov_b32_e32 v6, 24
	v_lshlrev_b32_e32 v7, 20, v70
	v_lshl_add_u32 v1, v1, 23, 0x3c000000
	v_lshlrev_b32_sdwa v6, v6, v0 dst_sel:DWORD dst_unused:UNUSED_PAD src0_sel:DWORD src1_sel:WORD_1
	v_and_b32_e32 v6, 0x80000000, v6
	v_or3_b32 v81, v7, v6, v1
.LBB329_103:                            ;   in Loop: Header=BB329_12 Depth=1
	s_or_b32 exec_lo, exec_lo, s22
.LBB329_104:                            ;   in Loop: Header=BB329_12 Depth=1
	s_or_b32 exec_lo, exec_lo, s21
.LBB329_105:                            ;   in Loop: Header=BB329_12 Depth=1
	s_or_b32 exec_lo, exec_lo, s20
	s_mov_b32 s20, exec_lo
	v_cmpx_lt_u32_e32 0xffffff, v0
	s_cbranch_execz .LBB329_113
; %bb.106:                              ;   in Loop: Header=BB329_12 Depth=1
	v_cmp_ne_u32_sdwa s6, v0, v115 src0_sel:BYTE_3 src1_sel:DWORD
	v_bfrev_b32_e32 v92, 1
	s_and_saveexec_b32 s21, s6
	s_cbranch_execz .LBB329_112
; %bb.107:                              ;   in Loop: Header=BB329_12 Depth=1
	v_bfe_u32 v6, v0, 24, 7
	v_mov_b32_e32 v92, 0x7f800001
	s_mov_b32 s22, exec_lo
	v_cmpx_ne_u32_e32 0x7f, v6
	s_cbranch_execz .LBB329_111
; %bb.108:                              ;   in Loop: Header=BB329_12 Depth=1
	v_mov_b32_e32 v1, 7
	s_mov_b32 s23, exec_lo
	v_and_b32_sdwa v24, v0, v1 dst_sel:DWORD dst_unused:UNUSED_PAD src0_sel:BYTE_3 src1_sel:DWORD
	v_mov_b32_e32 v71, v25
	v_lshrrev_b32_e32 v1, 3, v6
	v_mov_b32_e32 v70, v24
	v_cmpx_gt_u32_e32 8, v6
; %bb.109:                              ;   in Loop: Header=BB329_12 Depth=1
	v_ffbh_u32_e32 v1, v24
	v_min_u32_e32 v1, 32, v1
	v_subrev_nc_u32_e32 v6, 28, v1
	v_sub_nc_u32_e32 v1, 29, v1
	v_lshlrev_b64 v[6:7], v6, v[24:25]
	v_and_b32_e32 v70, 7, v6
; %bb.110:                              ;   in Loop: Header=BB329_12 Depth=1
	s_or_b32 exec_lo, exec_lo, s23
	v_mov_b32_e32 v6, 24
	v_lshl_add_u32 v1, v1, 23, 0x3c000000
	v_lshlrev_b32_sdwa v0, v6, v0 dst_sel:DWORD dst_unused:UNUSED_PAD src0_sel:DWORD src1_sel:BYTE_3
	v_lshlrev_b32_e32 v6, 20, v70
	v_and_b32_e32 v0, 0x80000000, v0
	v_or3_b32 v92, v6, v0, v1
.LBB329_111:                            ;   in Loop: Header=BB329_12 Depth=1
	s_or_b32 exec_lo, exec_lo, s22
.LBB329_112:                            ;   in Loop: Header=BB329_12 Depth=1
	s_or_b32 exec_lo, exec_lo, s21
.LBB329_113:                            ;   in Loop: Header=BB329_12 Depth=1
	s_or_b32 exec_lo, exec_lo, s20
	flat_load_dword v0, v[68:69] offset:264
	v_mov_b32_e32 v93, 0
	v_mov_b32_e32 v94, 0
	s_waitcnt vmcnt(0) lgkmcnt(0)
	v_cmp_ne_u16_sdwa s6, v0, v25 src0_sel:BYTE_0 src1_sel:DWORD
	s_and_saveexec_b32 s20, s6
	s_cbranch_execz .LBB329_121
; %bb.114:                              ;   in Loop: Header=BB329_12 Depth=1
	v_cmp_ne_u16_sdwa s6, v0, v115 src0_sel:BYTE_0 src1_sel:DWORD
	v_bfrev_b32_e32 v94, 1
	s_and_saveexec_b32 s21, s6
	s_cbranch_execz .LBB329_120
; %bb.115:                              ;   in Loop: Header=BB329_12 Depth=1
	v_and_b32_e32 v6, 0x7f, v0
	v_mov_b32_e32 v94, 0x7f800001
	s_mov_b32 s22, exec_lo
	v_cmpx_ne_u32_e32 0x7f, v6
	s_cbranch_execz .LBB329_119
; %bb.116:                              ;   in Loop: Header=BB329_12 Depth=1
	v_and_b32_e32 v24, 7, v0
	v_mov_b32_e32 v71, v25
	v_lshrrev_b32_e32 v1, 3, v6
	s_mov_b32 s23, exec_lo
	v_mov_b32_e32 v70, v24
	v_cmpx_gt_u32_e32 8, v6
; %bb.117:                              ;   in Loop: Header=BB329_12 Depth=1
	v_ffbh_u32_e32 v1, v24
	v_min_u32_e32 v1, 32, v1
	v_subrev_nc_u32_e32 v6, 28, v1
	v_sub_nc_u32_e32 v1, 29, v1
	v_lshlrev_b64 v[6:7], v6, v[24:25]
	v_and_b32_e32 v70, 7, v6
; %bb.118:                              ;   in Loop: Header=BB329_12 Depth=1
	s_or_b32 exec_lo, exec_lo, s23
	v_lshlrev_b32_e32 v6, 24, v0
	v_lshlrev_b32_e32 v7, 20, v70
	v_lshl_add_u32 v1, v1, 23, 0x3c000000
	v_and_b32_e32 v6, 0x80000000, v6
	v_or3_b32 v94, v7, v6, v1
.LBB329_119:                            ;   in Loop: Header=BB329_12 Depth=1
	s_or_b32 exec_lo, exec_lo, s22
.LBB329_120:                            ;   in Loop: Header=BB329_12 Depth=1
	s_or_b32 exec_lo, exec_lo, s21
.LBB329_121:                            ;   in Loop: Header=BB329_12 Depth=1
	s_or_b32 exec_lo, exec_lo, s20
	v_cmp_ne_u16_sdwa s6, v0, v25 src0_sel:BYTE_1 src1_sel:DWORD
	s_and_saveexec_b32 s20, s6
	s_cbranch_execz .LBB329_129
; %bb.122:                              ;   in Loop: Header=BB329_12 Depth=1
	v_cmp_ne_u16_sdwa s6, v0, v115 src0_sel:BYTE_1 src1_sel:DWORD
	v_bfrev_b32_e32 v93, 1
	s_and_saveexec_b32 s21, s6
	s_cbranch_execz .LBB329_128
; %bb.123:                              ;   in Loop: Header=BB329_12 Depth=1
	v_mov_b32_e32 v1, 0xffff
	v_mov_b32_e32 v93, 0x7f800001
	s_mov_b32 s22, exec_lo
	v_and_b32_sdwa v1, v1, v0 dst_sel:DWORD dst_unused:UNUSED_PAD src0_sel:DWORD src1_sel:BYTE_1
	v_and_b32_e32 v6, 0x7f, v1
	v_cmpx_ne_u32_e32 0x7f, v6
	s_cbranch_execz .LBB329_127
; %bb.124:                              ;   in Loop: Header=BB329_12 Depth=1
	v_and_b32_e32 v24, 7, v1
	v_mov_b32_e32 v71, v25
	v_lshrrev_b32_e32 v1, 3, v6
	s_mov_b32 s23, exec_lo
	v_mov_b32_e32 v70, v24
	v_cmpx_gt_u32_e32 8, v6
; %bb.125:                              ;   in Loop: Header=BB329_12 Depth=1
	v_ffbh_u32_e32 v1, v24
	v_min_u32_e32 v1, 32, v1
	v_subrev_nc_u32_e32 v6, 28, v1
	v_sub_nc_u32_e32 v1, 29, v1
	v_lshlrev_b64 v[6:7], v6, v[24:25]
	v_and_b32_e32 v70, 7, v6
; %bb.126:                              ;   in Loop: Header=BB329_12 Depth=1
	s_or_b32 exec_lo, exec_lo, s23
	v_lshlrev_b32_e32 v6, 16, v0
	v_lshlrev_b32_e32 v7, 20, v70
	v_lshl_add_u32 v1, v1, 23, 0x3c000000
	v_and_b32_e32 v6, 0x80000000, v6
	v_or3_b32 v93, v7, v6, v1
.LBB329_127:                            ;   in Loop: Header=BB329_12 Depth=1
	s_or_b32 exec_lo, exec_lo, s22
.LBB329_128:                            ;   in Loop: Header=BB329_12 Depth=1
	s_or_b32 exec_lo, exec_lo, s21
.LBB329_129:                            ;   in Loop: Header=BB329_12 Depth=1
	s_or_b32 exec_lo, exec_lo, s20
	v_and_b32_sdwa v1, v0, v42 dst_sel:DWORD dst_unused:UNUSED_PAD src0_sel:WORD_1 src1_sel:DWORD
	v_mov_b32_e32 v95, 0
	v_mov_b32_e32 v104, 0
	s_mov_b32 s20, exec_lo
	v_cmpx_ne_u16_e32 0, v1
	s_cbranch_execz .LBB329_137
; %bb.130:                              ;   in Loop: Header=BB329_12 Depth=1
	v_bfrev_b32_e32 v104, 1
	s_mov_b32 s21, exec_lo
	v_cmpx_ne_u16_e32 0x80, v1
	s_cbranch_execz .LBB329_136
; %bb.131:                              ;   in Loop: Header=BB329_12 Depth=1
	v_bfe_u32 v6, v0, 16, 7
	v_mov_b32_e32 v104, 0x7f800001
	s_mov_b32 s22, exec_lo
	v_cmpx_ne_u32_e32 0x7f, v6
	s_cbranch_execz .LBB329_135
; %bb.132:                              ;   in Loop: Header=BB329_12 Depth=1
	v_mov_b32_e32 v1, 7
	s_mov_b32 s23, exec_lo
	v_and_b32_sdwa v24, v0, v1 dst_sel:DWORD dst_unused:UNUSED_PAD src0_sel:WORD_1 src1_sel:DWORD
	v_mov_b32_e32 v71, v25
	v_lshrrev_b32_e32 v1, 3, v6
	v_mov_b32_e32 v70, v24
	v_cmpx_gt_u32_e32 8, v6
; %bb.133:                              ;   in Loop: Header=BB329_12 Depth=1
	v_ffbh_u32_e32 v1, v24
	v_min_u32_e32 v1, 32, v1
	v_subrev_nc_u32_e32 v6, 28, v1
	v_sub_nc_u32_e32 v1, 29, v1
	v_lshlrev_b64 v[6:7], v6, v[24:25]
	v_and_b32_e32 v70, 7, v6
; %bb.134:                              ;   in Loop: Header=BB329_12 Depth=1
	s_or_b32 exec_lo, exec_lo, s23
	v_mov_b32_e32 v6, 24
	v_lshlrev_b32_e32 v7, 20, v70
	v_lshl_add_u32 v1, v1, 23, 0x3c000000
	v_lshlrev_b32_sdwa v6, v6, v0 dst_sel:DWORD dst_unused:UNUSED_PAD src0_sel:DWORD src1_sel:WORD_1
	v_and_b32_e32 v6, 0x80000000, v6
	v_or3_b32 v104, v7, v6, v1
.LBB329_135:                            ;   in Loop: Header=BB329_12 Depth=1
	s_or_b32 exec_lo, exec_lo, s22
.LBB329_136:                            ;   in Loop: Header=BB329_12 Depth=1
	s_or_b32 exec_lo, exec_lo, s21
.LBB329_137:                            ;   in Loop: Header=BB329_12 Depth=1
	s_or_b32 exec_lo, exec_lo, s20
	s_mov_b32 s20, exec_lo
	v_cmpx_lt_u32_e32 0xffffff, v0
	s_cbranch_execz .LBB329_145
; %bb.138:                              ;   in Loop: Header=BB329_12 Depth=1
	v_cmp_ne_u32_sdwa s6, v0, v115 src0_sel:BYTE_3 src1_sel:DWORD
	v_bfrev_b32_e32 v95, 1
	s_and_saveexec_b32 s21, s6
	s_cbranch_execz .LBB329_144
; %bb.139:                              ;   in Loop: Header=BB329_12 Depth=1
	v_bfe_u32 v6, v0, 24, 7
	v_mov_b32_e32 v95, 0x7f800001
	s_mov_b32 s22, exec_lo
	v_cmpx_ne_u32_e32 0x7f, v6
	s_cbranch_execz .LBB329_143
; %bb.140:                              ;   in Loop: Header=BB329_12 Depth=1
	v_mov_b32_e32 v1, 7
	s_mov_b32 s23, exec_lo
	v_and_b32_sdwa v24, v0, v1 dst_sel:DWORD dst_unused:UNUSED_PAD src0_sel:BYTE_3 src1_sel:DWORD
	v_mov_b32_e32 v71, v25
	v_lshrrev_b32_e32 v1, 3, v6
	v_mov_b32_e32 v70, v24
	v_cmpx_gt_u32_e32 8, v6
; %bb.141:                              ;   in Loop: Header=BB329_12 Depth=1
	v_ffbh_u32_e32 v1, v24
	v_min_u32_e32 v1, 32, v1
	v_subrev_nc_u32_e32 v6, 28, v1
	v_sub_nc_u32_e32 v1, 29, v1
	v_lshlrev_b64 v[6:7], v6, v[24:25]
	v_and_b32_e32 v70, 7, v6
; %bb.142:                              ;   in Loop: Header=BB329_12 Depth=1
	s_or_b32 exec_lo, exec_lo, s23
	v_mov_b32_e32 v6, 24
	v_lshl_add_u32 v1, v1, 23, 0x3c000000
	v_lshlrev_b32_sdwa v0, v6, v0 dst_sel:DWORD dst_unused:UNUSED_PAD src0_sel:DWORD src1_sel:BYTE_3
	v_lshlrev_b32_e32 v6, 20, v70
	v_and_b32_e32 v0, 0x80000000, v0
	v_or3_b32 v95, v6, v0, v1
.LBB329_143:                            ;   in Loop: Header=BB329_12 Depth=1
	s_or_b32 exec_lo, exec_lo, s22
.LBB329_144:                            ;   in Loop: Header=BB329_12 Depth=1
	s_or_b32 exec_lo, exec_lo, s21
.LBB329_145:                            ;   in Loop: Header=BB329_12 Depth=1
	s_or_b32 exec_lo, exec_lo, s20
	flat_load_dword v0, v[68:69] offset:512
	v_mov_b32_e32 v105, 0
	v_mov_b32_e32 v106, 0
	s_waitcnt vmcnt(0) lgkmcnt(0)
	v_cmp_ne_u16_sdwa s6, v0, v25 src0_sel:BYTE_0 src1_sel:DWORD
	s_and_saveexec_b32 s20, s6
	s_cbranch_execz .LBB329_153
; %bb.146:                              ;   in Loop: Header=BB329_12 Depth=1
	v_cmp_ne_u16_sdwa s6, v0, v115 src0_sel:BYTE_0 src1_sel:DWORD
	v_bfrev_b32_e32 v106, 1
	s_and_saveexec_b32 s21, s6
	s_cbranch_execz .LBB329_152
; %bb.147:                              ;   in Loop: Header=BB329_12 Depth=1
	v_and_b32_e32 v6, 0x7f, v0
	v_mov_b32_e32 v106, 0x7f800001
	s_mov_b32 s22, exec_lo
	v_cmpx_ne_u32_e32 0x7f, v6
	s_cbranch_execz .LBB329_151
; %bb.148:                              ;   in Loop: Header=BB329_12 Depth=1
	v_and_b32_e32 v24, 7, v0
	v_mov_b32_e32 v71, v25
	v_lshrrev_b32_e32 v1, 3, v6
	s_mov_b32 s23, exec_lo
	v_mov_b32_e32 v70, v24
	v_cmpx_gt_u32_e32 8, v6
; %bb.149:                              ;   in Loop: Header=BB329_12 Depth=1
	v_ffbh_u32_e32 v1, v24
	v_min_u32_e32 v1, 32, v1
	v_subrev_nc_u32_e32 v6, 28, v1
	v_sub_nc_u32_e32 v1, 29, v1
	v_lshlrev_b64 v[6:7], v6, v[24:25]
	v_and_b32_e32 v70, 7, v6
; %bb.150:                              ;   in Loop: Header=BB329_12 Depth=1
	s_or_b32 exec_lo, exec_lo, s23
	v_lshlrev_b32_e32 v6, 24, v0
	v_lshlrev_b32_e32 v7, 20, v70
	v_lshl_add_u32 v1, v1, 23, 0x3c000000
	v_and_b32_e32 v6, 0x80000000, v6
	v_or3_b32 v106, v7, v6, v1
.LBB329_151:                            ;   in Loop: Header=BB329_12 Depth=1
	s_or_b32 exec_lo, exec_lo, s22
.LBB329_152:                            ;   in Loop: Header=BB329_12 Depth=1
	s_or_b32 exec_lo, exec_lo, s21
.LBB329_153:                            ;   in Loop: Header=BB329_12 Depth=1
	s_or_b32 exec_lo, exec_lo, s20
	v_cmp_ne_u16_sdwa s6, v0, v25 src0_sel:BYTE_1 src1_sel:DWORD
	s_and_saveexec_b32 s20, s6
	s_cbranch_execz .LBB329_161
; %bb.154:                              ;   in Loop: Header=BB329_12 Depth=1
	v_cmp_ne_u16_sdwa s6, v0, v115 src0_sel:BYTE_1 src1_sel:DWORD
	v_bfrev_b32_e32 v105, 1
	s_and_saveexec_b32 s21, s6
	s_cbranch_execz .LBB329_160
; %bb.155:                              ;   in Loop: Header=BB329_12 Depth=1
	v_mov_b32_e32 v1, 0xffff
	v_mov_b32_e32 v105, 0x7f800001
	s_mov_b32 s22, exec_lo
	v_and_b32_sdwa v1, v1, v0 dst_sel:DWORD dst_unused:UNUSED_PAD src0_sel:DWORD src1_sel:BYTE_1
	v_and_b32_e32 v6, 0x7f, v1
	v_cmpx_ne_u32_e32 0x7f, v6
	s_cbranch_execz .LBB329_159
; %bb.156:                              ;   in Loop: Header=BB329_12 Depth=1
	v_and_b32_e32 v24, 7, v1
	v_mov_b32_e32 v71, v25
	v_lshrrev_b32_e32 v1, 3, v6
	s_mov_b32 s23, exec_lo
	v_mov_b32_e32 v70, v24
	v_cmpx_gt_u32_e32 8, v6
; %bb.157:                              ;   in Loop: Header=BB329_12 Depth=1
	v_ffbh_u32_e32 v1, v24
	v_min_u32_e32 v1, 32, v1
	v_subrev_nc_u32_e32 v6, 28, v1
	v_sub_nc_u32_e32 v1, 29, v1
	v_lshlrev_b64 v[6:7], v6, v[24:25]
	v_and_b32_e32 v70, 7, v6
; %bb.158:                              ;   in Loop: Header=BB329_12 Depth=1
	s_or_b32 exec_lo, exec_lo, s23
	v_lshlrev_b32_e32 v6, 16, v0
	v_lshlrev_b32_e32 v7, 20, v70
	v_lshl_add_u32 v1, v1, 23, 0x3c000000
	v_and_b32_e32 v6, 0x80000000, v6
	v_or3_b32 v105, v7, v6, v1
.LBB329_159:                            ;   in Loop: Header=BB329_12 Depth=1
	s_or_b32 exec_lo, exec_lo, s22
.LBB329_160:                            ;   in Loop: Header=BB329_12 Depth=1
	s_or_b32 exec_lo, exec_lo, s21
.LBB329_161:                            ;   in Loop: Header=BB329_12 Depth=1
	s_or_b32 exec_lo, exec_lo, s20
	v_and_b32_sdwa v1, v0, v42 dst_sel:DWORD dst_unused:UNUSED_PAD src0_sel:WORD_1 src1_sel:DWORD
	v_mov_b32_e32 v98, 0
	v_mov_b32_e32 v99, 0
	s_mov_b32 s20, exec_lo
	v_cmpx_ne_u16_e32 0, v1
	s_cbranch_execz .LBB329_169
; %bb.162:                              ;   in Loop: Header=BB329_12 Depth=1
	v_bfrev_b32_e32 v99, 1
	s_mov_b32 s21, exec_lo
	v_cmpx_ne_u16_e32 0x80, v1
	s_cbranch_execz .LBB329_168
; %bb.163:                              ;   in Loop: Header=BB329_12 Depth=1
	v_bfe_u32 v6, v0, 16, 7
	v_mov_b32_e32 v99, 0x7f800001
	s_mov_b32 s22, exec_lo
	v_cmpx_ne_u32_e32 0x7f, v6
	s_cbranch_execz .LBB329_167
; %bb.164:                              ;   in Loop: Header=BB329_12 Depth=1
	v_mov_b32_e32 v1, 7
	s_mov_b32 s23, exec_lo
	v_and_b32_sdwa v24, v0, v1 dst_sel:DWORD dst_unused:UNUSED_PAD src0_sel:WORD_1 src1_sel:DWORD
	v_mov_b32_e32 v71, v25
	v_lshrrev_b32_e32 v1, 3, v6
	v_mov_b32_e32 v70, v24
	v_cmpx_gt_u32_e32 8, v6
; %bb.165:                              ;   in Loop: Header=BB329_12 Depth=1
	v_ffbh_u32_e32 v1, v24
	v_min_u32_e32 v1, 32, v1
	v_subrev_nc_u32_e32 v6, 28, v1
	v_sub_nc_u32_e32 v1, 29, v1
	v_lshlrev_b64 v[6:7], v6, v[24:25]
	v_and_b32_e32 v70, 7, v6
; %bb.166:                              ;   in Loop: Header=BB329_12 Depth=1
	s_or_b32 exec_lo, exec_lo, s23
	v_mov_b32_e32 v6, 24
	v_lshlrev_b32_e32 v7, 20, v70
	v_lshl_add_u32 v1, v1, 23, 0x3c000000
	v_lshlrev_b32_sdwa v6, v6, v0 dst_sel:DWORD dst_unused:UNUSED_PAD src0_sel:DWORD src1_sel:WORD_1
	v_and_b32_e32 v6, 0x80000000, v6
	v_or3_b32 v99, v7, v6, v1
.LBB329_167:                            ;   in Loop: Header=BB329_12 Depth=1
	s_or_b32 exec_lo, exec_lo, s22
.LBB329_168:                            ;   in Loop: Header=BB329_12 Depth=1
	s_or_b32 exec_lo, exec_lo, s21
.LBB329_169:                            ;   in Loop: Header=BB329_12 Depth=1
	s_or_b32 exec_lo, exec_lo, s20
	s_mov_b32 s20, exec_lo
	v_cmpx_lt_u32_e32 0xffffff, v0
	s_cbranch_execz .LBB329_177
; %bb.170:                              ;   in Loop: Header=BB329_12 Depth=1
	v_cmp_ne_u32_sdwa s6, v0, v115 src0_sel:BYTE_3 src1_sel:DWORD
	v_bfrev_b32_e32 v98, 1
	s_and_saveexec_b32 s21, s6
	s_cbranch_execz .LBB329_176
; %bb.171:                              ;   in Loop: Header=BB329_12 Depth=1
	v_bfe_u32 v6, v0, 24, 7
	v_mov_b32_e32 v98, 0x7f800001
	s_mov_b32 s22, exec_lo
	v_cmpx_ne_u32_e32 0x7f, v6
	s_cbranch_execz .LBB329_175
; %bb.172:                              ;   in Loop: Header=BB329_12 Depth=1
	v_mov_b32_e32 v1, 7
	s_mov_b32 s23, exec_lo
	v_and_b32_sdwa v24, v0, v1 dst_sel:DWORD dst_unused:UNUSED_PAD src0_sel:BYTE_3 src1_sel:DWORD
	v_mov_b32_e32 v71, v25
	v_lshrrev_b32_e32 v1, 3, v6
	v_mov_b32_e32 v70, v24
	v_cmpx_gt_u32_e32 8, v6
; %bb.173:                              ;   in Loop: Header=BB329_12 Depth=1
	v_ffbh_u32_e32 v1, v24
	v_min_u32_e32 v1, 32, v1
	v_subrev_nc_u32_e32 v6, 28, v1
	v_sub_nc_u32_e32 v1, 29, v1
	v_lshlrev_b64 v[6:7], v6, v[24:25]
	v_and_b32_e32 v70, 7, v6
; %bb.174:                              ;   in Loop: Header=BB329_12 Depth=1
	s_or_b32 exec_lo, exec_lo, s23
	v_mov_b32_e32 v6, 24
	v_lshl_add_u32 v1, v1, 23, 0x3c000000
	v_lshlrev_b32_sdwa v0, v6, v0 dst_sel:DWORD dst_unused:UNUSED_PAD src0_sel:DWORD src1_sel:BYTE_3
	v_lshlrev_b32_e32 v6, 20, v70
	v_and_b32_e32 v0, 0x80000000, v0
	v_or3_b32 v98, v6, v0, v1
.LBB329_175:                            ;   in Loop: Header=BB329_12 Depth=1
	s_or_b32 exec_lo, exec_lo, s22
.LBB329_176:                            ;   in Loop: Header=BB329_12 Depth=1
	s_or_b32 exec_lo, exec_lo, s21
.LBB329_177:                            ;   in Loop: Header=BB329_12 Depth=1
	s_or_b32 exec_lo, exec_lo, s20
	flat_load_dword v0, v[68:69] offset:520
	v_mov_b32_e32 v97, 0
	v_mov_b32_e32 v52, 0
	s_waitcnt vmcnt(0) lgkmcnt(0)
	v_cmp_ne_u16_sdwa s6, v0, v25 src0_sel:BYTE_0 src1_sel:DWORD
	s_and_saveexec_b32 s20, s6
	s_cbranch_execz .LBB329_185
; %bb.178:                              ;   in Loop: Header=BB329_12 Depth=1
	v_cmp_ne_u16_sdwa s6, v0, v115 src0_sel:BYTE_0 src1_sel:DWORD
	v_bfrev_b32_e32 v52, 1
	s_and_saveexec_b32 s21, s6
	s_cbranch_execz .LBB329_184
; %bb.179:                              ;   in Loop: Header=BB329_12 Depth=1
	v_and_b32_e32 v6, 0x7f, v0
	v_mov_b32_e32 v52, 0x7f800001
	s_mov_b32 s22, exec_lo
	v_cmpx_ne_u32_e32 0x7f, v6
	s_cbranch_execz .LBB329_183
; %bb.180:                              ;   in Loop: Header=BB329_12 Depth=1
	v_and_b32_e32 v24, 7, v0
	v_mov_b32_e32 v71, v25
	v_lshrrev_b32_e32 v1, 3, v6
	s_mov_b32 s23, exec_lo
	v_mov_b32_e32 v70, v24
	v_cmpx_gt_u32_e32 8, v6
; %bb.181:                              ;   in Loop: Header=BB329_12 Depth=1
	v_ffbh_u32_e32 v1, v24
	v_min_u32_e32 v1, 32, v1
	v_subrev_nc_u32_e32 v6, 28, v1
	v_sub_nc_u32_e32 v1, 29, v1
	v_lshlrev_b64 v[6:7], v6, v[24:25]
	v_and_b32_e32 v70, 7, v6
; %bb.182:                              ;   in Loop: Header=BB329_12 Depth=1
	s_or_b32 exec_lo, exec_lo, s23
	v_lshlrev_b32_e32 v6, 24, v0
	v_lshlrev_b32_e32 v7, 20, v70
	v_lshl_add_u32 v1, v1, 23, 0x3c000000
	v_and_b32_e32 v6, 0x80000000, v6
	v_or3_b32 v52, v7, v6, v1
.LBB329_183:                            ;   in Loop: Header=BB329_12 Depth=1
	s_or_b32 exec_lo, exec_lo, s22
.LBB329_184:                            ;   in Loop: Header=BB329_12 Depth=1
	s_or_b32 exec_lo, exec_lo, s21
.LBB329_185:                            ;   in Loop: Header=BB329_12 Depth=1
	s_or_b32 exec_lo, exec_lo, s20
	v_cmp_ne_u16_sdwa s6, v0, v25 src0_sel:BYTE_1 src1_sel:DWORD
	s_and_saveexec_b32 s20, s6
	s_cbranch_execz .LBB329_193
; %bb.186:                              ;   in Loop: Header=BB329_12 Depth=1
	v_cmp_ne_u16_sdwa s6, v0, v115 src0_sel:BYTE_1 src1_sel:DWORD
	v_bfrev_b32_e32 v97, 1
	s_and_saveexec_b32 s21, s6
	s_cbranch_execz .LBB329_192
; %bb.187:                              ;   in Loop: Header=BB329_12 Depth=1
	v_mov_b32_e32 v1, 0xffff
	v_mov_b32_e32 v97, 0x7f800001
	s_mov_b32 s22, exec_lo
	v_and_b32_sdwa v1, v1, v0 dst_sel:DWORD dst_unused:UNUSED_PAD src0_sel:DWORD src1_sel:BYTE_1
	v_and_b32_e32 v6, 0x7f, v1
	v_cmpx_ne_u32_e32 0x7f, v6
	s_cbranch_execz .LBB329_191
; %bb.188:                              ;   in Loop: Header=BB329_12 Depth=1
	v_and_b32_e32 v24, 7, v1
	v_mov_b32_e32 v71, v25
	v_lshrrev_b32_e32 v1, 3, v6
	s_mov_b32 s23, exec_lo
	v_mov_b32_e32 v70, v24
	v_cmpx_gt_u32_e32 8, v6
; %bb.189:                              ;   in Loop: Header=BB329_12 Depth=1
	v_ffbh_u32_e32 v1, v24
	v_min_u32_e32 v1, 32, v1
	v_subrev_nc_u32_e32 v6, 28, v1
	v_sub_nc_u32_e32 v1, 29, v1
	v_lshlrev_b64 v[6:7], v6, v[24:25]
	v_and_b32_e32 v70, 7, v6
; %bb.190:                              ;   in Loop: Header=BB329_12 Depth=1
	s_or_b32 exec_lo, exec_lo, s23
	v_lshlrev_b32_e32 v6, 16, v0
	v_lshlrev_b32_e32 v7, 20, v70
	v_lshl_add_u32 v1, v1, 23, 0x3c000000
	v_and_b32_e32 v6, 0x80000000, v6
	v_or3_b32 v97, v7, v6, v1
.LBB329_191:                            ;   in Loop: Header=BB329_12 Depth=1
	s_or_b32 exec_lo, exec_lo, s22
.LBB329_192:                            ;   in Loop: Header=BB329_12 Depth=1
	s_or_b32 exec_lo, exec_lo, s21
.LBB329_193:                            ;   in Loop: Header=BB329_12 Depth=1
	s_or_b32 exec_lo, exec_lo, s20
	v_and_b32_sdwa v1, v0, v42 dst_sel:DWORD dst_unused:UNUSED_PAD src0_sel:WORD_1 src1_sel:DWORD
	v_mov_b32_e32 v23, 0
	v_mov_b32_e32 v107, 0
	s_mov_b32 s20, exec_lo
	v_cmpx_ne_u16_e32 0, v1
	s_cbranch_execz .LBB329_201
; %bb.194:                              ;   in Loop: Header=BB329_12 Depth=1
	v_bfrev_b32_e32 v107, 1
	s_mov_b32 s21, exec_lo
	v_cmpx_ne_u16_e32 0x80, v1
	s_cbranch_execz .LBB329_200
; %bb.195:                              ;   in Loop: Header=BB329_12 Depth=1
	v_bfe_u32 v6, v0, 16, 7
	v_mov_b32_e32 v107, 0x7f800001
	s_mov_b32 s22, exec_lo
	v_cmpx_ne_u32_e32 0x7f, v6
	s_cbranch_execz .LBB329_199
; %bb.196:                              ;   in Loop: Header=BB329_12 Depth=1
	v_mov_b32_e32 v1, 7
	s_mov_b32 s23, exec_lo
	v_and_b32_sdwa v24, v0, v1 dst_sel:DWORD dst_unused:UNUSED_PAD src0_sel:WORD_1 src1_sel:DWORD
	v_mov_b32_e32 v71, v25
	v_lshrrev_b32_e32 v1, 3, v6
	v_mov_b32_e32 v70, v24
	v_cmpx_gt_u32_e32 8, v6
; %bb.197:                              ;   in Loop: Header=BB329_12 Depth=1
	v_ffbh_u32_e32 v1, v24
	v_min_u32_e32 v1, 32, v1
	v_subrev_nc_u32_e32 v6, 28, v1
	v_sub_nc_u32_e32 v1, 29, v1
	v_lshlrev_b64 v[6:7], v6, v[24:25]
	v_and_b32_e32 v70, 7, v6
; %bb.198:                              ;   in Loop: Header=BB329_12 Depth=1
	s_or_b32 exec_lo, exec_lo, s23
	v_mov_b32_e32 v6, 24
	v_lshlrev_b32_e32 v7, 20, v70
	v_lshl_add_u32 v1, v1, 23, 0x3c000000
	v_lshlrev_b32_sdwa v6, v6, v0 dst_sel:DWORD dst_unused:UNUSED_PAD src0_sel:DWORD src1_sel:WORD_1
	v_and_b32_e32 v6, 0x80000000, v6
	v_or3_b32 v107, v7, v6, v1
.LBB329_199:                            ;   in Loop: Header=BB329_12 Depth=1
	s_or_b32 exec_lo, exec_lo, s22
.LBB329_200:                            ;   in Loop: Header=BB329_12 Depth=1
	s_or_b32 exec_lo, exec_lo, s21
.LBB329_201:                            ;   in Loop: Header=BB329_12 Depth=1
	s_or_b32 exec_lo, exec_lo, s20
	s_mov_b32 s20, exec_lo
	v_cmpx_lt_u32_e32 0xffffff, v0
	s_cbranch_execz .LBB329_209
; %bb.202:                              ;   in Loop: Header=BB329_12 Depth=1
	v_cmp_ne_u32_sdwa s6, v0, v115 src0_sel:BYTE_3 src1_sel:DWORD
	v_bfrev_b32_e32 v23, 1
	s_and_saveexec_b32 s21, s6
	s_cbranch_execz .LBB329_208
; %bb.203:                              ;   in Loop: Header=BB329_12 Depth=1
	v_bfe_u32 v6, v0, 24, 7
	v_mov_b32_e32 v23, 0x7f800001
	s_mov_b32 s22, exec_lo
	v_cmpx_ne_u32_e32 0x7f, v6
	s_cbranch_execz .LBB329_207
; %bb.204:                              ;   in Loop: Header=BB329_12 Depth=1
	v_mov_b32_e32 v1, 7
	s_mov_b32 s23, exec_lo
	v_and_b32_sdwa v24, v0, v1 dst_sel:DWORD dst_unused:UNUSED_PAD src0_sel:BYTE_3 src1_sel:DWORD
	v_mov_b32_e32 v71, v25
	v_lshrrev_b32_e32 v1, 3, v6
	v_mov_b32_e32 v70, v24
	v_cmpx_gt_u32_e32 8, v6
; %bb.205:                              ;   in Loop: Header=BB329_12 Depth=1
	v_ffbh_u32_e32 v1, v24
	v_min_u32_e32 v1, 32, v1
	v_subrev_nc_u32_e32 v6, 28, v1
	v_sub_nc_u32_e32 v1, 29, v1
	v_lshlrev_b64 v[6:7], v6, v[24:25]
	v_and_b32_e32 v70, 7, v6
; %bb.206:                              ;   in Loop: Header=BB329_12 Depth=1
	s_or_b32 exec_lo, exec_lo, s23
	v_mov_b32_e32 v6, 24
	v_lshl_add_u32 v1, v1, 23, 0x3c000000
	v_lshlrev_b32_sdwa v0, v6, v0 dst_sel:DWORD dst_unused:UNUSED_PAD src0_sel:DWORD src1_sel:BYTE_3
	v_lshlrev_b32_e32 v6, 20, v70
	v_and_b32_e32 v0, 0x80000000, v0
	v_or3_b32 v23, v6, v0, v1
.LBB329_207:                            ;   in Loop: Header=BB329_12 Depth=1
	s_or_b32 exec_lo, exec_lo, s22
.LBB329_208:                            ;   in Loop: Header=BB329_12 Depth=1
	s_or_b32 exec_lo, exec_lo, s21
.LBB329_209:                            ;   in Loop: Header=BB329_12 Depth=1
	s_or_b32 exec_lo, exec_lo, s20
	flat_load_dword v0, v[68:69] offset:768
	v_mov_b32_e32 v80, 0
	v_mov_b32_e32 v103, 0
	s_waitcnt vmcnt(0) lgkmcnt(0)
	v_cmp_ne_u16_sdwa s6, v0, v25 src0_sel:BYTE_0 src1_sel:DWORD
	s_and_saveexec_b32 s20, s6
	s_cbranch_execz .LBB329_217
; %bb.210:                              ;   in Loop: Header=BB329_12 Depth=1
	v_cmp_ne_u16_sdwa s6, v0, v115 src0_sel:BYTE_0 src1_sel:DWORD
	v_bfrev_b32_e32 v103, 1
	s_and_saveexec_b32 s21, s6
	s_cbranch_execz .LBB329_216
; %bb.211:                              ;   in Loop: Header=BB329_12 Depth=1
	v_and_b32_e32 v6, 0x7f, v0
	v_mov_b32_e32 v103, 0x7f800001
	s_mov_b32 s22, exec_lo
	v_cmpx_ne_u32_e32 0x7f, v6
	s_cbranch_execz .LBB329_215
; %bb.212:                              ;   in Loop: Header=BB329_12 Depth=1
	v_and_b32_e32 v24, 7, v0
	v_mov_b32_e32 v71, v25
	v_lshrrev_b32_e32 v1, 3, v6
	s_mov_b32 s23, exec_lo
	v_mov_b32_e32 v70, v24
	v_cmpx_gt_u32_e32 8, v6
; %bb.213:                              ;   in Loop: Header=BB329_12 Depth=1
	v_ffbh_u32_e32 v1, v24
	v_min_u32_e32 v1, 32, v1
	v_subrev_nc_u32_e32 v6, 28, v1
	v_sub_nc_u32_e32 v1, 29, v1
	v_lshlrev_b64 v[6:7], v6, v[24:25]
	v_and_b32_e32 v70, 7, v6
; %bb.214:                              ;   in Loop: Header=BB329_12 Depth=1
	s_or_b32 exec_lo, exec_lo, s23
	v_lshlrev_b32_e32 v6, 24, v0
	v_lshlrev_b32_e32 v7, 20, v70
	v_lshl_add_u32 v1, v1, 23, 0x3c000000
	v_and_b32_e32 v6, 0x80000000, v6
	v_or3_b32 v103, v7, v6, v1
.LBB329_215:                            ;   in Loop: Header=BB329_12 Depth=1
	s_or_b32 exec_lo, exec_lo, s22
.LBB329_216:                            ;   in Loop: Header=BB329_12 Depth=1
	s_or_b32 exec_lo, exec_lo, s21
.LBB329_217:                            ;   in Loop: Header=BB329_12 Depth=1
	s_or_b32 exec_lo, exec_lo, s20
	v_cmp_ne_u16_sdwa s6, v0, v25 src0_sel:BYTE_1 src1_sel:DWORD
	s_and_saveexec_b32 s20, s6
	s_cbranch_execz .LBB329_225
; %bb.218:                              ;   in Loop: Header=BB329_12 Depth=1
	v_cmp_ne_u16_sdwa s6, v0, v115 src0_sel:BYTE_1 src1_sel:DWORD
	v_bfrev_b32_e32 v80, 1
	s_and_saveexec_b32 s21, s6
	s_cbranch_execz .LBB329_224
; %bb.219:                              ;   in Loop: Header=BB329_12 Depth=1
	v_mov_b32_e32 v1, 0xffff
	v_mov_b32_e32 v80, 0x7f800001
	s_mov_b32 s22, exec_lo
	v_and_b32_sdwa v1, v1, v0 dst_sel:DWORD dst_unused:UNUSED_PAD src0_sel:DWORD src1_sel:BYTE_1
	v_and_b32_e32 v6, 0x7f, v1
	v_cmpx_ne_u32_e32 0x7f, v6
	s_cbranch_execz .LBB329_223
; %bb.220:                              ;   in Loop: Header=BB329_12 Depth=1
	v_and_b32_e32 v24, 7, v1
	v_mov_b32_e32 v71, v25
	v_lshrrev_b32_e32 v1, 3, v6
	s_mov_b32 s23, exec_lo
	v_mov_b32_e32 v70, v24
	v_cmpx_gt_u32_e32 8, v6
; %bb.221:                              ;   in Loop: Header=BB329_12 Depth=1
	v_ffbh_u32_e32 v1, v24
	v_min_u32_e32 v1, 32, v1
	v_subrev_nc_u32_e32 v6, 28, v1
	v_sub_nc_u32_e32 v1, 29, v1
	v_lshlrev_b64 v[6:7], v6, v[24:25]
	v_and_b32_e32 v70, 7, v6
; %bb.222:                              ;   in Loop: Header=BB329_12 Depth=1
	s_or_b32 exec_lo, exec_lo, s23
	v_lshlrev_b32_e32 v6, 16, v0
	v_lshlrev_b32_e32 v7, 20, v70
	v_lshl_add_u32 v1, v1, 23, 0x3c000000
	v_and_b32_e32 v6, 0x80000000, v6
	v_or3_b32 v80, v7, v6, v1
.LBB329_223:                            ;   in Loop: Header=BB329_12 Depth=1
	s_or_b32 exec_lo, exec_lo, s22
.LBB329_224:                            ;   in Loop: Header=BB329_12 Depth=1
	s_or_b32 exec_lo, exec_lo, s21
.LBB329_225:                            ;   in Loop: Header=BB329_12 Depth=1
	s_or_b32 exec_lo, exec_lo, s20
	v_and_b32_sdwa v1, v0, v42 dst_sel:DWORD dst_unused:UNUSED_PAD src0_sel:WORD_1 src1_sel:DWORD
	v_mov_b32_e32 v40, 0
	v_mov_b32_e32 v100, 0
	s_mov_b32 s20, exec_lo
	v_cmpx_ne_u16_e32 0, v1
	s_cbranch_execz .LBB329_233
; %bb.226:                              ;   in Loop: Header=BB329_12 Depth=1
	v_bfrev_b32_e32 v100, 1
	s_mov_b32 s21, exec_lo
	v_cmpx_ne_u16_e32 0x80, v1
	s_cbranch_execz .LBB329_232
; %bb.227:                              ;   in Loop: Header=BB329_12 Depth=1
	v_bfe_u32 v6, v0, 16, 7
	v_mov_b32_e32 v100, 0x7f800001
	s_mov_b32 s22, exec_lo
	v_cmpx_ne_u32_e32 0x7f, v6
	s_cbranch_execz .LBB329_231
; %bb.228:                              ;   in Loop: Header=BB329_12 Depth=1
	v_mov_b32_e32 v1, 7
	s_mov_b32 s23, exec_lo
	v_and_b32_sdwa v24, v0, v1 dst_sel:DWORD dst_unused:UNUSED_PAD src0_sel:WORD_1 src1_sel:DWORD
	v_mov_b32_e32 v71, v25
	v_lshrrev_b32_e32 v1, 3, v6
	v_mov_b32_e32 v70, v24
	v_cmpx_gt_u32_e32 8, v6
; %bb.229:                              ;   in Loop: Header=BB329_12 Depth=1
	v_ffbh_u32_e32 v1, v24
	v_min_u32_e32 v1, 32, v1
	v_subrev_nc_u32_e32 v6, 28, v1
	v_sub_nc_u32_e32 v1, 29, v1
	v_lshlrev_b64 v[6:7], v6, v[24:25]
	v_and_b32_e32 v70, 7, v6
; %bb.230:                              ;   in Loop: Header=BB329_12 Depth=1
	s_or_b32 exec_lo, exec_lo, s23
	v_mov_b32_e32 v6, 24
	v_lshlrev_b32_e32 v7, 20, v70
	v_lshl_add_u32 v1, v1, 23, 0x3c000000
	v_lshlrev_b32_sdwa v6, v6, v0 dst_sel:DWORD dst_unused:UNUSED_PAD src0_sel:DWORD src1_sel:WORD_1
	v_and_b32_e32 v6, 0x80000000, v6
	v_or3_b32 v100, v7, v6, v1
.LBB329_231:                            ;   in Loop: Header=BB329_12 Depth=1
	s_or_b32 exec_lo, exec_lo, s22
.LBB329_232:                            ;   in Loop: Header=BB329_12 Depth=1
	s_or_b32 exec_lo, exec_lo, s21
.LBB329_233:                            ;   in Loop: Header=BB329_12 Depth=1
	s_or_b32 exec_lo, exec_lo, s20
	s_mov_b32 s20, exec_lo
	v_cmpx_lt_u32_e32 0xffffff, v0
	s_cbranch_execz .LBB329_241
; %bb.234:                              ;   in Loop: Header=BB329_12 Depth=1
	v_cmp_ne_u32_sdwa s6, v0, v115 src0_sel:BYTE_3 src1_sel:DWORD
	v_bfrev_b32_e32 v40, 1
	s_and_saveexec_b32 s21, s6
	s_cbranch_execz .LBB329_240
; %bb.235:                              ;   in Loop: Header=BB329_12 Depth=1
	v_bfe_u32 v6, v0, 24, 7
	v_mov_b32_e32 v40, 0x7f800001
	s_mov_b32 s22, exec_lo
	v_cmpx_ne_u32_e32 0x7f, v6
	s_cbranch_execz .LBB329_239
; %bb.236:                              ;   in Loop: Header=BB329_12 Depth=1
	v_mov_b32_e32 v1, 7
	s_mov_b32 s23, exec_lo
	v_and_b32_sdwa v24, v0, v1 dst_sel:DWORD dst_unused:UNUSED_PAD src0_sel:BYTE_3 src1_sel:DWORD
	v_mov_b32_e32 v71, v25
	v_lshrrev_b32_e32 v1, 3, v6
	v_mov_b32_e32 v70, v24
	v_cmpx_gt_u32_e32 8, v6
; %bb.237:                              ;   in Loop: Header=BB329_12 Depth=1
	v_ffbh_u32_e32 v1, v24
	v_min_u32_e32 v1, 32, v1
	v_subrev_nc_u32_e32 v6, 28, v1
	v_sub_nc_u32_e32 v1, 29, v1
	v_lshlrev_b64 v[6:7], v6, v[24:25]
	v_and_b32_e32 v70, 7, v6
; %bb.238:                              ;   in Loop: Header=BB329_12 Depth=1
	s_or_b32 exec_lo, exec_lo, s23
	v_mov_b32_e32 v6, 24
	v_lshl_add_u32 v1, v1, 23, 0x3c000000
	v_lshlrev_b32_sdwa v0, v6, v0 dst_sel:DWORD dst_unused:UNUSED_PAD src0_sel:DWORD src1_sel:BYTE_3
	v_lshlrev_b32_e32 v6, 20, v70
	v_and_b32_e32 v0, 0x80000000, v0
	v_or3_b32 v40, v6, v0, v1
.LBB329_239:                            ;   in Loop: Header=BB329_12 Depth=1
	s_or_b32 exec_lo, exec_lo, s22
.LBB329_240:                            ;   in Loop: Header=BB329_12 Depth=1
	s_or_b32 exec_lo, exec_lo, s21
.LBB329_241:                            ;   in Loop: Header=BB329_12 Depth=1
	s_or_b32 exec_lo, exec_lo, s20
	flat_load_dword v0, v[68:69] offset:776
	v_mov_b32_e32 v83, 0
	v_mov_b32_e32 v87, 0
	s_waitcnt vmcnt(0) lgkmcnt(0)
	v_cmp_ne_u16_sdwa s6, v0, v25 src0_sel:BYTE_0 src1_sel:DWORD
	s_and_saveexec_b32 s20, s6
	s_cbranch_execz .LBB329_249
; %bb.242:                              ;   in Loop: Header=BB329_12 Depth=1
	v_cmp_ne_u16_sdwa s6, v0, v115 src0_sel:BYTE_0 src1_sel:DWORD
	v_bfrev_b32_e32 v87, 1
	s_and_saveexec_b32 s21, s6
	s_cbranch_execz .LBB329_248
; %bb.243:                              ;   in Loop: Header=BB329_12 Depth=1
	v_and_b32_e32 v6, 0x7f, v0
	v_mov_b32_e32 v87, 0x7f800001
	s_mov_b32 s22, exec_lo
	v_cmpx_ne_u32_e32 0x7f, v6
	s_cbranch_execz .LBB329_247
; %bb.244:                              ;   in Loop: Header=BB329_12 Depth=1
	v_and_b32_e32 v24, 7, v0
	v_mov_b32_e32 v71, v25
	v_lshrrev_b32_e32 v1, 3, v6
	s_mov_b32 s23, exec_lo
	v_mov_b32_e32 v70, v24
	v_cmpx_gt_u32_e32 8, v6
; %bb.245:                              ;   in Loop: Header=BB329_12 Depth=1
	v_ffbh_u32_e32 v1, v24
	v_min_u32_e32 v1, 32, v1
	v_subrev_nc_u32_e32 v6, 28, v1
	v_sub_nc_u32_e32 v1, 29, v1
	v_lshlrev_b64 v[6:7], v6, v[24:25]
	v_and_b32_e32 v70, 7, v6
; %bb.246:                              ;   in Loop: Header=BB329_12 Depth=1
	s_or_b32 exec_lo, exec_lo, s23
	v_lshlrev_b32_e32 v6, 24, v0
	v_lshlrev_b32_e32 v7, 20, v70
	v_lshl_add_u32 v1, v1, 23, 0x3c000000
	v_and_b32_e32 v6, 0x80000000, v6
	v_or3_b32 v87, v7, v6, v1
.LBB329_247:                            ;   in Loop: Header=BB329_12 Depth=1
	s_or_b32 exec_lo, exec_lo, s22
.LBB329_248:                            ;   in Loop: Header=BB329_12 Depth=1
	s_or_b32 exec_lo, exec_lo, s21
.LBB329_249:                            ;   in Loop: Header=BB329_12 Depth=1
	s_or_b32 exec_lo, exec_lo, s20
	v_cmp_ne_u16_sdwa s6, v0, v25 src0_sel:BYTE_1 src1_sel:DWORD
	s_and_saveexec_b32 s20, s6
	s_cbranch_execz .LBB329_257
; %bb.250:                              ;   in Loop: Header=BB329_12 Depth=1
	v_cmp_ne_u16_sdwa s6, v0, v115 src0_sel:BYTE_1 src1_sel:DWORD
	v_bfrev_b32_e32 v83, 1
	s_and_saveexec_b32 s21, s6
	s_cbranch_execz .LBB329_256
; %bb.251:                              ;   in Loop: Header=BB329_12 Depth=1
	v_mov_b32_e32 v1, 0xffff
	v_mov_b32_e32 v83, 0x7f800001
	s_mov_b32 s22, exec_lo
	v_and_b32_sdwa v1, v1, v0 dst_sel:DWORD dst_unused:UNUSED_PAD src0_sel:DWORD src1_sel:BYTE_1
	v_and_b32_e32 v6, 0x7f, v1
	v_cmpx_ne_u32_e32 0x7f, v6
	s_cbranch_execz .LBB329_255
; %bb.252:                              ;   in Loop: Header=BB329_12 Depth=1
	v_and_b32_e32 v24, 7, v1
	v_mov_b32_e32 v71, v25
	v_lshrrev_b32_e32 v1, 3, v6
	s_mov_b32 s23, exec_lo
	v_mov_b32_e32 v70, v24
	v_cmpx_gt_u32_e32 8, v6
; %bb.253:                              ;   in Loop: Header=BB329_12 Depth=1
	v_ffbh_u32_e32 v1, v24
	v_min_u32_e32 v1, 32, v1
	v_subrev_nc_u32_e32 v6, 28, v1
	v_sub_nc_u32_e32 v1, 29, v1
	v_lshlrev_b64 v[6:7], v6, v[24:25]
	v_and_b32_e32 v70, 7, v6
; %bb.254:                              ;   in Loop: Header=BB329_12 Depth=1
	s_or_b32 exec_lo, exec_lo, s23
	v_lshlrev_b32_e32 v6, 16, v0
	v_lshlrev_b32_e32 v7, 20, v70
	v_lshl_add_u32 v1, v1, 23, 0x3c000000
	v_and_b32_e32 v6, 0x80000000, v6
	v_or3_b32 v83, v7, v6, v1
.LBB329_255:                            ;   in Loop: Header=BB329_12 Depth=1
	s_or_b32 exec_lo, exec_lo, s22
.LBB329_256:                            ;   in Loop: Header=BB329_12 Depth=1
	s_or_b32 exec_lo, exec_lo, s21
.LBB329_257:                            ;   in Loop: Header=BB329_12 Depth=1
	s_or_b32 exec_lo, exec_lo, s20
	v_and_b32_sdwa v1, v0, v42 dst_sel:DWORD dst_unused:UNUSED_PAD src0_sel:WORD_1 src1_sel:DWORD
	v_mov_b32_e32 v84, 0
	v_mov_b32_e32 v101, 0
	s_mov_b32 s20, exec_lo
	v_cmpx_ne_u16_e32 0, v1
	s_cbranch_execz .LBB329_265
; %bb.258:                              ;   in Loop: Header=BB329_12 Depth=1
	v_bfrev_b32_e32 v101, 1
	s_mov_b32 s21, exec_lo
	v_cmpx_ne_u16_e32 0x80, v1
	s_cbranch_execz .LBB329_264
; %bb.259:                              ;   in Loop: Header=BB329_12 Depth=1
	v_bfe_u32 v6, v0, 16, 7
	v_mov_b32_e32 v101, 0x7f800001
	s_mov_b32 s22, exec_lo
	v_cmpx_ne_u32_e32 0x7f, v6
	s_cbranch_execz .LBB329_263
; %bb.260:                              ;   in Loop: Header=BB329_12 Depth=1
	v_mov_b32_e32 v1, 7
	s_mov_b32 s23, exec_lo
	v_and_b32_sdwa v24, v0, v1 dst_sel:DWORD dst_unused:UNUSED_PAD src0_sel:WORD_1 src1_sel:DWORD
	v_mov_b32_e32 v71, v25
	v_lshrrev_b32_e32 v1, 3, v6
	v_mov_b32_e32 v70, v24
	v_cmpx_gt_u32_e32 8, v6
; %bb.261:                              ;   in Loop: Header=BB329_12 Depth=1
	v_ffbh_u32_e32 v1, v24
	v_min_u32_e32 v1, 32, v1
	v_subrev_nc_u32_e32 v6, 28, v1
	v_sub_nc_u32_e32 v1, 29, v1
	v_lshlrev_b64 v[6:7], v6, v[24:25]
	v_and_b32_e32 v70, 7, v6
; %bb.262:                              ;   in Loop: Header=BB329_12 Depth=1
	s_or_b32 exec_lo, exec_lo, s23
	v_mov_b32_e32 v6, 24
	v_lshlrev_b32_e32 v7, 20, v70
	v_lshl_add_u32 v1, v1, 23, 0x3c000000
	v_lshlrev_b32_sdwa v6, v6, v0 dst_sel:DWORD dst_unused:UNUSED_PAD src0_sel:DWORD src1_sel:WORD_1
	v_and_b32_e32 v6, 0x80000000, v6
	v_or3_b32 v101, v7, v6, v1
.LBB329_263:                            ;   in Loop: Header=BB329_12 Depth=1
	s_or_b32 exec_lo, exec_lo, s22
.LBB329_264:                            ;   in Loop: Header=BB329_12 Depth=1
	s_or_b32 exec_lo, exec_lo, s21
.LBB329_265:                            ;   in Loop: Header=BB329_12 Depth=1
	s_or_b32 exec_lo, exec_lo, s20
	s_mov_b32 s20, exec_lo
	v_cmpx_lt_u32_e32 0xffffff, v0
	s_cbranch_execz .LBB329_273
; %bb.266:                              ;   in Loop: Header=BB329_12 Depth=1
	v_cmp_ne_u32_sdwa s6, v0, v115 src0_sel:BYTE_3 src1_sel:DWORD
	v_bfrev_b32_e32 v84, 1
	s_and_saveexec_b32 s21, s6
	s_cbranch_execz .LBB329_272
; %bb.267:                              ;   in Loop: Header=BB329_12 Depth=1
	v_bfe_u32 v6, v0, 24, 7
	v_mov_b32_e32 v84, 0x7f800001
	s_mov_b32 s22, exec_lo
	v_cmpx_ne_u32_e32 0x7f, v6
	s_cbranch_execz .LBB329_271
; %bb.268:                              ;   in Loop: Header=BB329_12 Depth=1
	v_mov_b32_e32 v1, 7
	s_mov_b32 s23, exec_lo
	v_and_b32_sdwa v24, v0, v1 dst_sel:DWORD dst_unused:UNUSED_PAD src0_sel:BYTE_3 src1_sel:DWORD
	v_mov_b32_e32 v71, v25
	v_lshrrev_b32_e32 v1, 3, v6
	v_mov_b32_e32 v70, v24
	v_cmpx_gt_u32_e32 8, v6
; %bb.269:                              ;   in Loop: Header=BB329_12 Depth=1
	v_ffbh_u32_e32 v1, v24
	v_min_u32_e32 v1, 32, v1
	v_subrev_nc_u32_e32 v6, 28, v1
	v_sub_nc_u32_e32 v1, 29, v1
	v_lshlrev_b64 v[6:7], v6, v[24:25]
	v_and_b32_e32 v70, 7, v6
; %bb.270:                              ;   in Loop: Header=BB329_12 Depth=1
	s_or_b32 exec_lo, exec_lo, s23
	v_mov_b32_e32 v6, 24
	v_lshl_add_u32 v1, v1, 23, 0x3c000000
	v_lshlrev_b32_sdwa v0, v6, v0 dst_sel:DWORD dst_unused:UNUSED_PAD src0_sel:DWORD src1_sel:BYTE_3
	v_lshlrev_b32_e32 v6, 20, v70
	v_and_b32_e32 v0, 0x80000000, v0
	v_or3_b32 v84, v6, v0, v1
.LBB329_271:                            ;   in Loop: Header=BB329_12 Depth=1
	s_or_b32 exec_lo, exec_lo, s22
.LBB329_272:                            ;   in Loop: Header=BB329_12 Depth=1
	s_or_b32 exec_lo, exec_lo, s21
.LBB329_273:                            ;   in Loop: Header=BB329_12 Depth=1
	s_or_b32 exec_lo, exec_lo, s20
	flat_load_dword v6, v[68:69] offset:1024
	v_mov_b32_e32 v118, 0
	v_mov_b32_e32 v41, 0
	s_waitcnt vmcnt(0) lgkmcnt(0)
	v_cmp_ne_u16_sdwa s6, v6, v25 src0_sel:BYTE_0 src1_sel:DWORD
	s_and_saveexec_b32 s20, s6
	s_cbranch_execz .LBB329_281
; %bb.274:                              ;   in Loop: Header=BB329_12 Depth=1
	v_cmp_ne_u16_sdwa s6, v6, v115 src0_sel:BYTE_0 src1_sel:DWORD
	v_bfrev_b32_e32 v41, 1
	s_and_saveexec_b32 s21, s6
	s_cbranch_execz .LBB329_280
; %bb.275:                              ;   in Loop: Header=BB329_12 Depth=1
	v_and_b32_e32 v7, 0x7f, v6
	v_mov_b32_e32 v41, 0x7f800001
	s_mov_b32 s22, exec_lo
	v_cmpx_ne_u32_e32 0x7f, v7
	s_cbranch_execz .LBB329_279
; %bb.276:                              ;   in Loop: Header=BB329_12 Depth=1
	v_and_b32_e32 v24, 7, v6
	v_mov_b32_e32 v71, v25
	v_lshrrev_b32_e32 v0, 3, v7
	s_mov_b32 s23, exec_lo
	v_mov_b32_e32 v70, v24
	v_cmpx_gt_u32_e32 8, v7
; %bb.277:                              ;   in Loop: Header=BB329_12 Depth=1
	v_ffbh_u32_e32 v0, v24
	v_min_u32_e32 v0, 32, v0
	v_subrev_nc_u32_e32 v7, 28, v0
	v_sub_nc_u32_e32 v0, 29, v0
	v_lshlrev_b64 v[7:8], v7, v[24:25]
	v_and_b32_e32 v70, 7, v7
; %bb.278:                              ;   in Loop: Header=BB329_12 Depth=1
	s_or_b32 exec_lo, exec_lo, s23
	v_lshlrev_b32_e32 v7, 24, v6
	v_lshlrev_b32_e32 v8, 20, v70
	v_lshl_add_u32 v0, v0, 23, 0x3c000000
	v_and_b32_e32 v7, 0x80000000, v7
	v_or3_b32 v41, v8, v7, v0
.LBB329_279:                            ;   in Loop: Header=BB329_12 Depth=1
	s_or_b32 exec_lo, exec_lo, s22
.LBB329_280:                            ;   in Loop: Header=BB329_12 Depth=1
	s_or_b32 exec_lo, exec_lo, s21
.LBB329_281:                            ;   in Loop: Header=BB329_12 Depth=1
	s_or_b32 exec_lo, exec_lo, s20
	v_cmp_ne_u16_sdwa s6, v6, v25 src0_sel:BYTE_1 src1_sel:DWORD
	s_and_saveexec_b32 s20, s6
	s_cbranch_execz .LBB329_289
; %bb.282:                              ;   in Loop: Header=BB329_12 Depth=1
	v_cmp_ne_u16_sdwa s6, v6, v115 src0_sel:BYTE_1 src1_sel:DWORD
	v_bfrev_b32_e32 v118, 1
	s_and_saveexec_b32 s21, s6
	s_cbranch_execz .LBB329_288
; %bb.283:                              ;   in Loop: Header=BB329_12 Depth=1
	v_mov_b32_e32 v1, 0xffff
	v_mov_b32_e32 v118, 0x7f800001
	s_mov_b32 s22, exec_lo
	v_and_b32_sdwa v8, v1, v6 dst_sel:DWORD dst_unused:UNUSED_PAD src0_sel:DWORD src1_sel:BYTE_1
	v_and_b32_e32 v7, 0x7f, v8
	v_cmpx_ne_u32_e32 0x7f, v7
	s_cbranch_execz .LBB329_287
; %bb.284:                              ;   in Loop: Header=BB329_12 Depth=1
	v_and_b32_e32 v24, 7, v8
	v_mov_b32_e32 v71, v25
	v_lshrrev_b32_e32 v1, 3, v7
	s_mov_b32 s23, exec_lo
	v_mov_b32_e32 v70, v24
	v_cmpx_gt_u32_e32 8, v7
; %bb.285:                              ;   in Loop: Header=BB329_12 Depth=1
	v_ffbh_u32_e32 v1, v24
	v_min_u32_e32 v1, 32, v1
	v_subrev_nc_u32_e32 v7, 28, v1
	v_sub_nc_u32_e32 v1, 29, v1
	v_lshlrev_b64 v[7:8], v7, v[24:25]
	v_and_b32_e32 v70, 7, v7
; %bb.286:                              ;   in Loop: Header=BB329_12 Depth=1
	s_or_b32 exec_lo, exec_lo, s23
	v_lshlrev_b32_e32 v7, 16, v6
	v_lshlrev_b32_e32 v8, 20, v70
	v_lshl_add_u32 v1, v1, 23, 0x3c000000
	v_and_b32_e32 v7, 0x80000000, v7
	v_or3_b32 v118, v8, v7, v1
.LBB329_287:                            ;   in Loop: Header=BB329_12 Depth=1
	s_or_b32 exec_lo, exec_lo, s22
.LBB329_288:                            ;   in Loop: Header=BB329_12 Depth=1
	s_or_b32 exec_lo, exec_lo, s21
.LBB329_289:                            ;   in Loop: Header=BB329_12 Depth=1
	s_or_b32 exec_lo, exec_lo, s20
	v_and_b32_sdwa v7, v6, v42 dst_sel:DWORD dst_unused:UNUSED_PAD src0_sel:WORD_1 src1_sel:DWORD
	v_mov_b32_e32 v108, 0
	v_mov_b32_e32 v26, 0
	s_mov_b32 s20, exec_lo
	v_cmpx_ne_u16_e32 0, v7
	s_cbranch_execz .LBB329_297
; %bb.290:                              ;   in Loop: Header=BB329_12 Depth=1
	v_bfrev_b32_e32 v26, 1
	s_mov_b32 s21, exec_lo
	v_cmpx_ne_u16_e32 0x80, v7
	s_cbranch_execz .LBB329_296
; %bb.291:                              ;   in Loop: Header=BB329_12 Depth=1
	v_bfe_u32 v9, v6, 16, 7
	v_mov_b32_e32 v26, 0x7f800001
	s_mov_b32 s22, exec_lo
	v_cmpx_ne_u32_e32 0x7f, v9
	s_cbranch_execz .LBB329_295
; %bb.292:                              ;   in Loop: Header=BB329_12 Depth=1
	v_mov_b32_e32 v7, 7
	s_mov_b32 s23, exec_lo
	v_and_b32_sdwa v24, v6, v7 dst_sel:DWORD dst_unused:UNUSED_PAD src0_sel:WORD_1 src1_sel:DWORD
	v_mov_b32_e32 v71, v25
	v_lshrrev_b32_e32 v7, 3, v9
	v_mov_b32_e32 v70, v24
	v_cmpx_gt_u32_e32 8, v9
; %bb.293:                              ;   in Loop: Header=BB329_12 Depth=1
	v_ffbh_u32_e32 v7, v24
	v_min_u32_e32 v7, 32, v7
	v_subrev_nc_u32_e32 v8, 28, v7
	v_sub_nc_u32_e32 v7, 29, v7
	v_lshlrev_b64 v[8:9], v8, v[24:25]
	v_and_b32_e32 v70, 7, v8
; %bb.294:                              ;   in Loop: Header=BB329_12 Depth=1
	s_or_b32 exec_lo, exec_lo, s23
	v_mov_b32_e32 v8, 24
	v_lshlrev_b32_e32 v9, 20, v70
	v_lshl_add_u32 v7, v7, 23, 0x3c000000
	v_lshlrev_b32_sdwa v8, v8, v6 dst_sel:DWORD dst_unused:UNUSED_PAD src0_sel:DWORD src1_sel:WORD_1
	v_and_b32_e32 v8, 0x80000000, v8
	v_or3_b32 v26, v9, v8, v7
.LBB329_295:                            ;   in Loop: Header=BB329_12 Depth=1
	s_or_b32 exec_lo, exec_lo, s22
.LBB329_296:                            ;   in Loop: Header=BB329_12 Depth=1
	s_or_b32 exec_lo, exec_lo, s21
.LBB329_297:                            ;   in Loop: Header=BB329_12 Depth=1
	s_or_b32 exec_lo, exec_lo, s20
	s_mov_b32 s20, exec_lo
	v_cmpx_lt_u32_e32 0xffffff, v6
	s_cbranch_execz .LBB329_305
; %bb.298:                              ;   in Loop: Header=BB329_12 Depth=1
	v_cmp_ne_u32_sdwa s6, v6, v115 src0_sel:BYTE_3 src1_sel:DWORD
	v_bfrev_b32_e32 v108, 1
	s_and_saveexec_b32 s21, s6
	s_cbranch_execz .LBB329_304
; %bb.299:                              ;   in Loop: Header=BB329_12 Depth=1
	v_bfe_u32 v9, v6, 24, 7
	v_mov_b32_e32 v108, 0x7f800001
	s_mov_b32 s22, exec_lo
	v_cmpx_ne_u32_e32 0x7f, v9
	s_cbranch_execz .LBB329_303
; %bb.300:                              ;   in Loop: Header=BB329_12 Depth=1
	v_mov_b32_e32 v7, 7
	s_mov_b32 s23, exec_lo
	v_and_b32_sdwa v24, v6, v7 dst_sel:DWORD dst_unused:UNUSED_PAD src0_sel:BYTE_3 src1_sel:DWORD
	v_mov_b32_e32 v71, v25
	v_lshrrev_b32_e32 v7, 3, v9
	v_mov_b32_e32 v70, v24
	v_cmpx_gt_u32_e32 8, v9
; %bb.301:                              ;   in Loop: Header=BB329_12 Depth=1
	v_ffbh_u32_e32 v7, v24
	v_min_u32_e32 v7, 32, v7
	v_subrev_nc_u32_e32 v9, 28, v7
	v_sub_nc_u32_e32 v7, 29, v7
	v_lshlrev_b64 v[9:10], v9, v[24:25]
	v_and_b32_e32 v70, 7, v9
; %bb.302:                              ;   in Loop: Header=BB329_12 Depth=1
	s_or_b32 exec_lo, exec_lo, s23
	v_mov_b32_e32 v9, 24
	v_lshl_add_u32 v7, v7, 23, 0x3c000000
	v_lshlrev_b32_sdwa v6, v9, v6 dst_sel:DWORD dst_unused:UNUSED_PAD src0_sel:DWORD src1_sel:BYTE_3
	v_lshlrev_b32_e32 v9, 20, v70
	v_and_b32_e32 v6, 0x80000000, v6
	v_or3_b32 v108, v9, v6, v7
.LBB329_303:                            ;   in Loop: Header=BB329_12 Depth=1
	s_or_b32 exec_lo, exec_lo, s22
.LBB329_304:                            ;   in Loop: Header=BB329_12 Depth=1
	s_or_b32 exec_lo, exec_lo, s21
.LBB329_305:                            ;   in Loop: Header=BB329_12 Depth=1
	s_or_b32 exec_lo, exec_lo, s20
	flat_load_dword v6, v[68:69] offset:1032
	v_mov_b32_e32 v109, 0
	v_mov_b32_e32 v110, 0
	s_waitcnt vmcnt(0) lgkmcnt(0)
	v_cmp_ne_u16_sdwa s6, v6, v25 src0_sel:BYTE_0 src1_sel:DWORD
	s_and_saveexec_b32 s20, s6
	s_cbranch_execz .LBB329_313
; %bb.306:                              ;   in Loop: Header=BB329_12 Depth=1
	v_cmp_ne_u16_sdwa s6, v6, v115 src0_sel:BYTE_0 src1_sel:DWORD
	v_bfrev_b32_e32 v110, 1
	s_and_saveexec_b32 s21, s6
	s_cbranch_execz .LBB329_312
; %bb.307:                              ;   in Loop: Header=BB329_12 Depth=1
	v_and_b32_e32 v9, 0x7f, v6
	v_mov_b32_e32 v110, 0x7f800001
	s_mov_b32 s22, exec_lo
	v_cmpx_ne_u32_e32 0x7f, v9
	s_cbranch_execz .LBB329_311
; %bb.308:                              ;   in Loop: Header=BB329_12 Depth=1
	v_and_b32_e32 v24, 7, v6
	v_mov_b32_e32 v71, v25
	v_lshrrev_b32_e32 v7, 3, v9
	s_mov_b32 s23, exec_lo
	v_mov_b32_e32 v70, v24
	v_cmpx_gt_u32_e32 8, v9
; %bb.309:                              ;   in Loop: Header=BB329_12 Depth=1
	v_ffbh_u32_e32 v7, v24
	v_min_u32_e32 v7, 32, v7
	v_subrev_nc_u32_e32 v9, 28, v7
	v_sub_nc_u32_e32 v7, 29, v7
	v_lshlrev_b64 v[9:10], v9, v[24:25]
	v_and_b32_e32 v70, 7, v9
; %bb.310:                              ;   in Loop: Header=BB329_12 Depth=1
	s_or_b32 exec_lo, exec_lo, s23
	v_lshlrev_b32_e32 v9, 24, v6
	v_lshlrev_b32_e32 v10, 20, v70
	v_lshl_add_u32 v7, v7, 23, 0x3c000000
	v_and_b32_e32 v9, 0x80000000, v9
	v_or3_b32 v110, v10, v9, v7
.LBB329_311:                            ;   in Loop: Header=BB329_12 Depth=1
	s_or_b32 exec_lo, exec_lo, s22
.LBB329_312:                            ;   in Loop: Header=BB329_12 Depth=1
	s_or_b32 exec_lo, exec_lo, s21
.LBB329_313:                            ;   in Loop: Header=BB329_12 Depth=1
	s_or_b32 exec_lo, exec_lo, s20
	v_cmp_ne_u16_sdwa s6, v6, v25 src0_sel:BYTE_1 src1_sel:DWORD
	s_and_saveexec_b32 s20, s6
	s_cbranch_execz .LBB329_321
; %bb.314:                              ;   in Loop: Header=BB329_12 Depth=1
	v_cmp_ne_u16_sdwa s6, v6, v115 src0_sel:BYTE_1 src1_sel:DWORD
	v_bfrev_b32_e32 v109, 1
	s_and_saveexec_b32 s21, s6
	s_cbranch_execz .LBB329_320
; %bb.315:                              ;   in Loop: Header=BB329_12 Depth=1
	v_mov_b32_e32 v7, 0xffff
	v_mov_b32_e32 v109, 0x7f800001
	s_mov_b32 s22, exec_lo
	v_and_b32_sdwa v7, v7, v6 dst_sel:DWORD dst_unused:UNUSED_PAD src0_sel:DWORD src1_sel:BYTE_1
	v_and_b32_e32 v9, 0x7f, v7
	v_cmpx_ne_u32_e32 0x7f, v9
	s_cbranch_execz .LBB329_319
; %bb.316:                              ;   in Loop: Header=BB329_12 Depth=1
	v_and_b32_e32 v24, 7, v7
	v_mov_b32_e32 v71, v25
	v_lshrrev_b32_e32 v7, 3, v9
	s_mov_b32 s23, exec_lo
	v_mov_b32_e32 v70, v24
	v_cmpx_gt_u32_e32 8, v9
; %bb.317:                              ;   in Loop: Header=BB329_12 Depth=1
	v_ffbh_u32_e32 v7, v24
	v_min_u32_e32 v7, 32, v7
	v_subrev_nc_u32_e32 v9, 28, v7
	v_sub_nc_u32_e32 v7, 29, v7
	v_lshlrev_b64 v[16:17], v9, v[24:25]
	v_and_b32_e32 v70, 7, v16
; %bb.318:                              ;   in Loop: Header=BB329_12 Depth=1
	s_or_b32 exec_lo, exec_lo, s23
	v_lshlrev_b32_e32 v9, 16, v6
	v_lshlrev_b32_e32 v11, 20, v70
	v_lshl_add_u32 v7, v7, 23, 0x3c000000
	v_and_b32_e32 v9, 0x80000000, v9
	v_or3_b32 v109, v11, v9, v7
.LBB329_319:                            ;   in Loop: Header=BB329_12 Depth=1
	s_or_b32 exec_lo, exec_lo, s22
.LBB329_320:                            ;   in Loop: Header=BB329_12 Depth=1
	s_or_b32 exec_lo, exec_lo, s21
.LBB329_321:                            ;   in Loop: Header=BB329_12 Depth=1
	s_or_b32 exec_lo, exec_lo, s20
	v_and_b32_sdwa v7, v6, v42 dst_sel:DWORD dst_unused:UNUSED_PAD src0_sel:WORD_1 src1_sel:DWORD
	v_mov_b32_e32 v96, 0
	v_mov_b32_e32 v111, 0
	s_mov_b32 s20, exec_lo
	v_cmpx_ne_u16_e32 0, v7
	s_cbranch_execz .LBB329_329
; %bb.322:                              ;   in Loop: Header=BB329_12 Depth=1
	v_bfrev_b32_e32 v111, 1
	s_mov_b32 s21, exec_lo
	v_cmpx_ne_u16_e32 0x80, v7
	s_cbranch_execz .LBB329_328
; %bb.323:                              ;   in Loop: Header=BB329_12 Depth=1
	v_bfe_u32 v9, v6, 16, 7
	v_mov_b32_e32 v111, 0x7f800001
	s_mov_b32 s22, exec_lo
	v_cmpx_ne_u32_e32 0x7f, v9
	s_cbranch_execz .LBB329_327
; %bb.324:                              ;   in Loop: Header=BB329_12 Depth=1
	v_mov_b32_e32 v7, 7
	s_mov_b32 s23, exec_lo
	v_and_b32_sdwa v24, v6, v7 dst_sel:DWORD dst_unused:UNUSED_PAD src0_sel:WORD_1 src1_sel:DWORD
	v_mov_b32_e32 v71, v25
	v_lshrrev_b32_e32 v7, 3, v9
	v_mov_b32_e32 v70, v24
	v_cmpx_gt_u32_e32 8, v9
; %bb.325:                              ;   in Loop: Header=BB329_12 Depth=1
	v_ffbh_u32_e32 v7, v24
	v_min_u32_e32 v7, 32, v7
	v_subrev_nc_u32_e32 v9, 28, v7
	v_sub_nc_u32_e32 v7, 29, v7
	v_lshlrev_b64 v[18:19], v9, v[24:25]
	v_and_b32_e32 v70, 7, v18
; %bb.326:                              ;   in Loop: Header=BB329_12 Depth=1
	s_or_b32 exec_lo, exec_lo, s23
	v_mov_b32_e32 v9, 24
	v_lshlrev_b32_e32 v16, 20, v70
	v_lshl_add_u32 v7, v7, 23, 0x3c000000
	v_lshlrev_b32_sdwa v9, v9, v6 dst_sel:DWORD dst_unused:UNUSED_PAD src0_sel:DWORD src1_sel:WORD_1
	v_and_b32_e32 v9, 0x80000000, v9
	v_or3_b32 v111, v16, v9, v7
.LBB329_327:                            ;   in Loop: Header=BB329_12 Depth=1
	s_or_b32 exec_lo, exec_lo, s22
.LBB329_328:                            ;   in Loop: Header=BB329_12 Depth=1
	s_or_b32 exec_lo, exec_lo, s21
.LBB329_329:                            ;   in Loop: Header=BB329_12 Depth=1
	s_or_b32 exec_lo, exec_lo, s20
	s_mov_b32 s20, exec_lo
	v_cmpx_lt_u32_e32 0xffffff, v6
	s_cbranch_execz .LBB329_337
; %bb.330:                              ;   in Loop: Header=BB329_12 Depth=1
	v_cmp_ne_u32_sdwa s6, v6, v115 src0_sel:BYTE_3 src1_sel:DWORD
	v_bfrev_b32_e32 v96, 1
	s_and_saveexec_b32 s21, s6
	s_cbranch_execz .LBB329_336
; %bb.331:                              ;   in Loop: Header=BB329_12 Depth=1
	v_bfe_u32 v9, v6, 24, 7
	v_mov_b32_e32 v96, 0x7f800001
	s_mov_b32 s22, exec_lo
	v_cmpx_ne_u32_e32 0x7f, v9
	s_cbranch_execz .LBB329_335
; %bb.332:                              ;   in Loop: Header=BB329_12 Depth=1
	v_mov_b32_e32 v7, 7
	s_mov_b32 s23, exec_lo
	v_and_b32_sdwa v24, v6, v7 dst_sel:DWORD dst_unused:UNUSED_PAD src0_sel:BYTE_3 src1_sel:DWORD
	v_mov_b32_e32 v71, v25
	v_lshrrev_b32_e32 v7, 3, v9
	v_mov_b32_e32 v70, v24
	v_cmpx_gt_u32_e32 8, v9
; %bb.333:                              ;   in Loop: Header=BB329_12 Depth=1
	v_ffbh_u32_e32 v7, v24
	v_min_u32_e32 v7, 32, v7
	v_subrev_nc_u32_e32 v9, 28, v7
	v_sub_nc_u32_e32 v7, 29, v7
	v_lshlrev_b64 v[16:17], v9, v[24:25]
	v_and_b32_e32 v70, 7, v16
; %bb.334:                              ;   in Loop: Header=BB329_12 Depth=1
	s_or_b32 exec_lo, exec_lo, s23
	v_mov_b32_e32 v9, 24
	v_lshl_add_u32 v7, v7, 23, 0x3c000000
	v_lshlrev_b32_sdwa v6, v9, v6 dst_sel:DWORD dst_unused:UNUSED_PAD src0_sel:DWORD src1_sel:BYTE_3
	v_lshlrev_b32_e32 v9, 20, v70
	v_and_b32_e32 v6, 0x80000000, v6
	v_or3_b32 v96, v9, v6, v7
.LBB329_335:                            ;   in Loop: Header=BB329_12 Depth=1
	s_or_b32 exec_lo, exec_lo, s22
.LBB329_336:                            ;   in Loop: Header=BB329_12 Depth=1
	s_or_b32 exec_lo, exec_lo, s21
.LBB329_337:                            ;   in Loop: Header=BB329_12 Depth=1
	s_or_b32 exec_lo, exec_lo, s20
	flat_load_dword v6, v[68:69] offset:1280
	v_mov_b32_e32 v120, 0
	v_mov_b32_e32 v121, 0
	s_waitcnt vmcnt(0) lgkmcnt(0)
	v_cmp_ne_u16_sdwa s6, v6, v25 src0_sel:BYTE_0 src1_sel:DWORD
	s_and_saveexec_b32 s20, s6
	s_cbranch_execz .LBB329_345
; %bb.338:                              ;   in Loop: Header=BB329_12 Depth=1
	v_cmp_ne_u16_sdwa s6, v6, v115 src0_sel:BYTE_0 src1_sel:DWORD
	v_bfrev_b32_e32 v121, 1
	s_and_saveexec_b32 s21, s6
	s_cbranch_execz .LBB329_344
; %bb.339:                              ;   in Loop: Header=BB329_12 Depth=1
	v_and_b32_e32 v9, 0x7f, v6
	v_mov_b32_e32 v121, 0x7f800001
	s_mov_b32 s22, exec_lo
	v_cmpx_ne_u32_e32 0x7f, v9
	s_cbranch_execz .LBB329_343
; %bb.340:                              ;   in Loop: Header=BB329_12 Depth=1
	v_and_b32_e32 v24, 7, v6
	v_mov_b32_e32 v71, v25
	v_lshrrev_b32_e32 v7, 3, v9
	s_mov_b32 s23, exec_lo
	v_mov_b32_e32 v70, v24
	v_cmpx_gt_u32_e32 8, v9
; %bb.341:                              ;   in Loop: Header=BB329_12 Depth=1
	v_ffbh_u32_e32 v7, v24
	v_min_u32_e32 v7, 32, v7
	v_subrev_nc_u32_e32 v9, 28, v7
	v_sub_nc_u32_e32 v7, 29, v7
	v_lshlrev_b64 v[18:19], v9, v[24:25]
	v_and_b32_e32 v70, 7, v18
; %bb.342:                              ;   in Loop: Header=BB329_12 Depth=1
	s_or_b32 exec_lo, exec_lo, s23
	v_lshlrev_b32_e32 v9, 24, v6
	v_lshlrev_b32_e32 v16, 20, v70
	v_lshl_add_u32 v7, v7, 23, 0x3c000000
	v_and_b32_e32 v9, 0x80000000, v9
	v_or3_b32 v121, v16, v9, v7
.LBB329_343:                            ;   in Loop: Header=BB329_12 Depth=1
	s_or_b32 exec_lo, exec_lo, s22
.LBB329_344:                            ;   in Loop: Header=BB329_12 Depth=1
	s_or_b32 exec_lo, exec_lo, s21
.LBB329_345:                            ;   in Loop: Header=BB329_12 Depth=1
	s_or_b32 exec_lo, exec_lo, s20
	v_cmp_ne_u16_sdwa s6, v6, v25 src0_sel:BYTE_1 src1_sel:DWORD
	s_and_saveexec_b32 s20, s6
	s_cbranch_execz .LBB329_353
; %bb.346:                              ;   in Loop: Header=BB329_12 Depth=1
	v_cmp_ne_u16_sdwa s6, v6, v115 src0_sel:BYTE_1 src1_sel:DWORD
	v_bfrev_b32_e32 v120, 1
	s_and_saveexec_b32 s21, s6
	s_cbranch_execz .LBB329_352
; %bb.347:                              ;   in Loop: Header=BB329_12 Depth=1
	v_mov_b32_e32 v7, 0xffff
	v_mov_b32_e32 v120, 0x7f800001
	s_mov_b32 s22, exec_lo
	v_and_b32_sdwa v7, v7, v6 dst_sel:DWORD dst_unused:UNUSED_PAD src0_sel:DWORD src1_sel:BYTE_1
	v_and_b32_e32 v9, 0x7f, v7
	v_cmpx_ne_u32_e32 0x7f, v9
	s_cbranch_execz .LBB329_351
; %bb.348:                              ;   in Loop: Header=BB329_12 Depth=1
	v_and_b32_e32 v24, 7, v7
	v_mov_b32_e32 v71, v25
	v_lshrrev_b32_e32 v7, 3, v9
	s_mov_b32 s23, exec_lo
	v_mov_b32_e32 v70, v24
	v_cmpx_gt_u32_e32 8, v9
; %bb.349:                              ;   in Loop: Header=BB329_12 Depth=1
	v_ffbh_u32_e32 v7, v24
	v_min_u32_e32 v7, 32, v7
	v_subrev_nc_u32_e32 v9, 28, v7
	v_sub_nc_u32_e32 v7, 29, v7
	v_lshlrev_b64 v[18:19], v9, v[24:25]
	v_and_b32_e32 v70, 7, v18
; %bb.350:                              ;   in Loop: Header=BB329_12 Depth=1
	s_or_b32 exec_lo, exec_lo, s23
	v_lshlrev_b32_e32 v9, 16, v6
	v_lshlrev_b32_e32 v16, 20, v70
	v_lshl_add_u32 v7, v7, 23, 0x3c000000
	v_and_b32_e32 v9, 0x80000000, v9
	v_or3_b32 v120, v16, v9, v7
.LBB329_351:                            ;   in Loop: Header=BB329_12 Depth=1
	s_or_b32 exec_lo, exec_lo, s22
.LBB329_352:                            ;   in Loop: Header=BB329_12 Depth=1
	s_or_b32 exec_lo, exec_lo, s21
.LBB329_353:                            ;   in Loop: Header=BB329_12 Depth=1
	s_or_b32 exec_lo, exec_lo, s20
	v_and_b32_sdwa v7, v6, v42 dst_sel:DWORD dst_unused:UNUSED_PAD src0_sel:WORD_1 src1_sel:DWORD
	v_mov_b32_e32 v122, 0
	v_mov_b32_e32 v0, 0
	s_mov_b32 s20, exec_lo
	buffer_store_dword v0, off, s[0:3], s32 offset:276 ; 4-byte Folded Spill
	v_cmpx_ne_u16_e32 0, v7
	s_cbranch_execz .LBB329_361
; %bb.354:                              ;   in Loop: Header=BB329_12 Depth=1
	v_bfrev_b32_e32 v0, 1
	s_mov_b32 s21, exec_lo
	v_cmpx_ne_u16_e32 0x80, v7
	s_cbranch_execz .LBB329_360
; %bb.355:                              ;   in Loop: Header=BB329_12 Depth=1
	v_bfe_u32 v9, v6, 16, 7
	v_mov_b32_e32 v0, 0x7f800001
	s_mov_b32 s22, exec_lo
	v_cmpx_ne_u32_e32 0x7f, v9
	s_cbranch_execz .LBB329_359
; %bb.356:                              ;   in Loop: Header=BB329_12 Depth=1
	v_mov_b32_e32 v7, 7
	s_mov_b32 s23, exec_lo
	v_and_b32_sdwa v24, v6, v7 dst_sel:DWORD dst_unused:UNUSED_PAD src0_sel:WORD_1 src1_sel:DWORD
	v_mov_b32_e32 v71, v25
	v_lshrrev_b32_e32 v7, 3, v9
	v_mov_b32_e32 v70, v24
	v_cmpx_gt_u32_e32 8, v9
; %bb.357:                              ;   in Loop: Header=BB329_12 Depth=1
	v_ffbh_u32_e32 v7, v24
	v_min_u32_e32 v7, 32, v7
	v_subrev_nc_u32_e32 v9, 28, v7
	v_sub_nc_u32_e32 v7, 29, v7
	v_lshlrev_b64 v[20:21], v9, v[24:25]
	v_and_b32_e32 v70, 7, v20
; %bb.358:                              ;   in Loop: Header=BB329_12 Depth=1
	s_or_b32 exec_lo, exec_lo, s23
	v_mov_b32_e32 v9, 24
	v_lshlrev_b32_e32 v16, 20, v70
	v_lshl_add_u32 v7, v7, 23, 0x3c000000
	v_lshlrev_b32_sdwa v9, v9, v6 dst_sel:DWORD dst_unused:UNUSED_PAD src0_sel:DWORD src1_sel:WORD_1
	v_and_b32_e32 v9, 0x80000000, v9
	v_or3_b32 v0, v16, v9, v7
.LBB329_359:                            ;   in Loop: Header=BB329_12 Depth=1
	s_or_b32 exec_lo, exec_lo, s22
.LBB329_360:                            ;   in Loop: Header=BB329_12 Depth=1
	s_or_b32 exec_lo, exec_lo, s21
	buffer_store_dword v0, off, s[0:3], s32 offset:276 ; 4-byte Folded Spill
.LBB329_361:                            ;   in Loop: Header=BB329_12 Depth=1
	s_or_b32 exec_lo, exec_lo, s20
	s_mov_b32 s20, exec_lo
	v_cmpx_lt_u32_e32 0xffffff, v6
	s_cbranch_execz .LBB329_369
; %bb.362:                              ;   in Loop: Header=BB329_12 Depth=1
	v_cmp_ne_u32_sdwa s6, v6, v115 src0_sel:BYTE_3 src1_sel:DWORD
	v_bfrev_b32_e32 v122, 1
	s_and_saveexec_b32 s21, s6
	s_cbranch_execz .LBB329_368
; %bb.363:                              ;   in Loop: Header=BB329_12 Depth=1
	v_bfe_u32 v9, v6, 24, 7
	v_mov_b32_e32 v122, 0x7f800001
	s_mov_b32 s22, exec_lo
	v_cmpx_ne_u32_e32 0x7f, v9
	s_cbranch_execz .LBB329_367
; %bb.364:                              ;   in Loop: Header=BB329_12 Depth=1
	v_mov_b32_e32 v7, 7
	s_mov_b32 s23, exec_lo
	v_and_b32_sdwa v24, v6, v7 dst_sel:DWORD dst_unused:UNUSED_PAD src0_sel:BYTE_3 src1_sel:DWORD
	v_mov_b32_e32 v71, v25
	v_lshrrev_b32_e32 v7, 3, v9
	v_mov_b32_e32 v70, v24
	v_cmpx_gt_u32_e32 8, v9
; %bb.365:                              ;   in Loop: Header=BB329_12 Depth=1
	v_ffbh_u32_e32 v7, v24
	v_min_u32_e32 v7, 32, v7
	v_subrev_nc_u32_e32 v9, 28, v7
	v_sub_nc_u32_e32 v7, 29, v7
	v_lshlrev_b64 v[18:19], v9, v[24:25]
	v_and_b32_e32 v70, 7, v18
; %bb.366:                              ;   in Loop: Header=BB329_12 Depth=1
	s_or_b32 exec_lo, exec_lo, s23
	v_mov_b32_e32 v9, 24
	v_lshl_add_u32 v7, v7, 23, 0x3c000000
	v_lshlrev_b32_sdwa v6, v9, v6 dst_sel:DWORD dst_unused:UNUSED_PAD src0_sel:DWORD src1_sel:BYTE_3
	v_lshlrev_b32_e32 v9, 20, v70
	v_and_b32_e32 v6, 0x80000000, v6
	v_or3_b32 v122, v9, v6, v7
.LBB329_367:                            ;   in Loop: Header=BB329_12 Depth=1
	s_or_b32 exec_lo, exec_lo, s22
.LBB329_368:                            ;   in Loop: Header=BB329_12 Depth=1
	s_or_b32 exec_lo, exec_lo, s21
.LBB329_369:                            ;   in Loop: Header=BB329_12 Depth=1
	s_or_b32 exec_lo, exec_lo, s20
	flat_load_dword v6, v[68:69] offset:1288
	v_mov_b32_e32 v75, 0
	v_mov_b32_e32 v0, 0
	buffer_store_dword v0, off, s[0:3], s32 offset:228 ; 4-byte Folded Spill
	s_waitcnt vmcnt(0) lgkmcnt(0)
	v_cmp_ne_u16_sdwa s6, v6, v25 src0_sel:BYTE_0 src1_sel:DWORD
	s_and_saveexec_b32 s20, s6
	s_cbranch_execz .LBB329_377
; %bb.370:                              ;   in Loop: Header=BB329_12 Depth=1
	v_cmp_ne_u16_sdwa s6, v6, v115 src0_sel:BYTE_0 src1_sel:DWORD
	v_bfrev_b32_e32 v0, 1
	buffer_store_dword v0, off, s[0:3], s32 offset:228 ; 4-byte Folded Spill
	s_and_saveexec_b32 s21, s6
	s_cbranch_execz .LBB329_376
; %bb.371:                              ;   in Loop: Header=BB329_12 Depth=1
	v_and_b32_e32 v16, 0x7f, v6
	v_mov_b32_e32 v0, 0x7f800001
	s_mov_b32 s22, exec_lo
	buffer_store_dword v0, off, s[0:3], s32 offset:228 ; 4-byte Folded Spill
	v_cmpx_ne_u32_e32 0x7f, v16
	s_cbranch_execz .LBB329_375
; %bb.372:                              ;   in Loop: Header=BB329_12 Depth=1
	v_and_b32_e32 v24, 7, v6
	v_mov_b32_e32 v71, v25
	v_lshrrev_b32_e32 v7, 3, v16
	s_mov_b32 s23, exec_lo
	v_mov_b32_e32 v70, v24
	v_cmpx_gt_u32_e32 8, v16
; %bb.373:                              ;   in Loop: Header=BB329_12 Depth=1
	v_ffbh_u32_e32 v7, v24
	v_min_u32_e32 v7, 32, v7
	v_subrev_nc_u32_e32 v9, 28, v7
	v_sub_nc_u32_e32 v7, 29, v7
	v_lshlrev_b64 v[20:21], v9, v[24:25]
	v_and_b32_e32 v70, 7, v20
; %bb.374:                              ;   in Loop: Header=BB329_12 Depth=1
	s_or_b32 exec_lo, exec_lo, s23
	v_lshlrev_b32_e32 v9, 24, v6
	v_lshlrev_b32_e32 v16, 20, v70
	v_lshl_add_u32 v7, v7, 23, 0x3c000000
	v_and_b32_e32 v9, 0x80000000, v9
	v_or3_b32 v0, v16, v9, v7
	buffer_store_dword v0, off, s[0:3], s32 offset:228 ; 4-byte Folded Spill
.LBB329_375:                            ;   in Loop: Header=BB329_12 Depth=1
	s_or_b32 exec_lo, exec_lo, s22
.LBB329_376:                            ;   in Loop: Header=BB329_12 Depth=1
	s_or_b32 exec_lo, exec_lo, s21
.LBB329_377:                            ;   in Loop: Header=BB329_12 Depth=1
	s_or_b32 exec_lo, exec_lo, s20
	v_cmp_ne_u16_sdwa s6, v6, v25 src0_sel:BYTE_1 src1_sel:DWORD
	s_and_saveexec_b32 s20, s6
	s_cbranch_execz .LBB329_385
; %bb.378:                              ;   in Loop: Header=BB329_12 Depth=1
	v_cmp_ne_u16_sdwa s6, v6, v115 src0_sel:BYTE_1 src1_sel:DWORD
	v_bfrev_b32_e32 v75, 1
	s_and_saveexec_b32 s21, s6
	s_cbranch_execz .LBB329_384
; %bb.379:                              ;   in Loop: Header=BB329_12 Depth=1
	v_mov_b32_e32 v7, 0xffff
	v_mov_b32_e32 v75, 0x7f800001
	s_mov_b32 s22, exec_lo
	v_and_b32_sdwa v7, v7, v6 dst_sel:DWORD dst_unused:UNUSED_PAD src0_sel:DWORD src1_sel:BYTE_1
	v_and_b32_e32 v16, 0x7f, v7
	v_cmpx_ne_u32_e32 0x7f, v16
	s_cbranch_execz .LBB329_383
; %bb.380:                              ;   in Loop: Header=BB329_12 Depth=1
	v_and_b32_e32 v24, 7, v7
	v_mov_b32_e32 v71, v25
	v_lshrrev_b32_e32 v7, 3, v16
	s_mov_b32 s23, exec_lo
	v_mov_b32_e32 v70, v24
	v_cmpx_gt_u32_e32 8, v16
; %bb.381:                              ;   in Loop: Header=BB329_12 Depth=1
	v_ffbh_u32_e32 v7, v24
	v_min_u32_e32 v7, 32, v7
	v_subrev_nc_u32_e32 v16, 28, v7
	v_sub_nc_u32_e32 v7, 29, v7
	v_lshlrev_b64 v[20:21], v16, v[24:25]
	v_and_b32_e32 v70, 7, v20
; %bb.382:                              ;   in Loop: Header=BB329_12 Depth=1
	s_or_b32 exec_lo, exec_lo, s23
	v_lshlrev_b32_e32 v16, 16, v6
	v_lshlrev_b32_e32 v18, 20, v70
	v_lshl_add_u32 v7, v7, 23, 0x3c000000
	v_and_b32_e32 v16, 0x80000000, v16
	v_or3_b32 v75, v18, v16, v7
.LBB329_383:                            ;   in Loop: Header=BB329_12 Depth=1
	s_or_b32 exec_lo, exec_lo, s22
.LBB329_384:                            ;   in Loop: Header=BB329_12 Depth=1
	s_or_b32 exec_lo, exec_lo, s21
.LBB329_385:                            ;   in Loop: Header=BB329_12 Depth=1
	s_or_b32 exec_lo, exec_lo, s20
	v_mov_b32_e32 v0, 0
	v_and_b32_sdwa v7, v6, v42 dst_sel:DWORD dst_unused:UNUSED_PAD src0_sel:WORD_1 src1_sel:DWORD
	s_mov_b32 s20, exec_lo
	buffer_store_dword v0, off, s[0:3], s32 offset:236 ; 4-byte Folded Spill
	v_mov_b32_e32 v0, 0
	buffer_store_dword v0, off, s[0:3], s32 offset:288 ; 4-byte Folded Spill
	v_cmpx_ne_u16_e32 0, v7
	s_cbranch_execz .LBB329_393
; %bb.386:                              ;   in Loop: Header=BB329_12 Depth=1
	v_bfrev_b32_e32 v0, 1
	s_mov_b32 s21, exec_lo
	v_cmpx_ne_u16_e32 0x80, v7
	s_cbranch_execz .LBB329_392
; %bb.387:                              ;   in Loop: Header=BB329_12 Depth=1
	v_bfe_u32 v16, v6, 16, 7
	v_mov_b32_e32 v0, 0x7f800001
	s_mov_b32 s22, exec_lo
	v_cmpx_ne_u32_e32 0x7f, v16
	s_cbranch_execz .LBB329_391
; %bb.388:                              ;   in Loop: Header=BB329_12 Depth=1
	v_mov_b32_e32 v7, 7
	s_mov_b32 s23, exec_lo
	v_and_b32_sdwa v24, v6, v7 dst_sel:DWORD dst_unused:UNUSED_PAD src0_sel:WORD_1 src1_sel:DWORD
	v_mov_b32_e32 v71, v25
	v_lshrrev_b32_e32 v7, 3, v16
	v_mov_b32_e32 v70, v24
	v_cmpx_gt_u32_e32 8, v16
; %bb.389:                              ;   in Loop: Header=BB329_12 Depth=1
	v_ffbh_u32_e32 v7, v24
	v_min_u32_e32 v7, 32, v7
	v_subrev_nc_u32_e32 v16, 28, v7
	v_sub_nc_u32_e32 v7, 29, v7
	v_lshlrev_b64 v[20:21], v16, v[24:25]
	v_and_b32_e32 v70, 7, v20
; %bb.390:                              ;   in Loop: Header=BB329_12 Depth=1
	s_or_b32 exec_lo, exec_lo, s23
	v_mov_b32_e32 v16, 24
	v_lshlrev_b32_e32 v18, 20, v70
	v_lshl_add_u32 v7, v7, 23, 0x3c000000
	v_lshlrev_b32_sdwa v16, v16, v6 dst_sel:DWORD dst_unused:UNUSED_PAD src0_sel:DWORD src1_sel:WORD_1
	v_and_b32_e32 v16, 0x80000000, v16
	v_or3_b32 v0, v18, v16, v7
.LBB329_391:                            ;   in Loop: Header=BB329_12 Depth=1
	s_or_b32 exec_lo, exec_lo, s22
.LBB329_392:                            ;   in Loop: Header=BB329_12 Depth=1
	s_or_b32 exec_lo, exec_lo, s21
	buffer_store_dword v0, off, s[0:3], s32 offset:288 ; 4-byte Folded Spill
.LBB329_393:                            ;   in Loop: Header=BB329_12 Depth=1
	s_or_b32 exec_lo, exec_lo, s20
	s_mov_b32 s20, exec_lo
	v_cmpx_lt_u32_e32 0xffffff, v6
	s_cbranch_execz .LBB329_401
; %bb.394:                              ;   in Loop: Header=BB329_12 Depth=1
	v_cmp_ne_u32_sdwa s6, v6, v115 src0_sel:BYTE_3 src1_sel:DWORD
	v_bfrev_b32_e32 v0, 1
	buffer_store_dword v0, off, s[0:3], s32 offset:236 ; 4-byte Folded Spill
	s_and_saveexec_b32 s21, s6
	s_cbranch_execz .LBB329_400
; %bb.395:                              ;   in Loop: Header=BB329_12 Depth=1
	v_bfe_u32 v16, v6, 24, 7
	v_mov_b32_e32 v0, 0x7f800001
	s_mov_b32 s22, exec_lo
	buffer_store_dword v0, off, s[0:3], s32 offset:236 ; 4-byte Folded Spill
	v_cmpx_ne_u32_e32 0x7f, v16
	s_cbranch_execz .LBB329_399
; %bb.396:                              ;   in Loop: Header=BB329_12 Depth=1
	v_mov_b32_e32 v7, 7
	s_mov_b32 s23, exec_lo
	v_and_b32_sdwa v24, v6, v7 dst_sel:DWORD dst_unused:UNUSED_PAD src0_sel:BYTE_3 src1_sel:DWORD
	v_mov_b32_e32 v71, v25
	v_lshrrev_b32_e32 v7, 3, v16
	v_mov_b32_e32 v70, v24
	v_cmpx_gt_u32_e32 8, v16
; %bb.397:                              ;   in Loop: Header=BB329_12 Depth=1
	v_ffbh_u32_e32 v7, v24
	v_min_u32_e32 v7, 32, v7
	v_subrev_nc_u32_e32 v16, 28, v7
	v_sub_nc_u32_e32 v7, 29, v7
	v_lshlrev_b64 v[20:21], v16, v[24:25]
	v_and_b32_e32 v70, 7, v20
; %bb.398:                              ;   in Loop: Header=BB329_12 Depth=1
	s_or_b32 exec_lo, exec_lo, s23
	v_mov_b32_e32 v16, 24
	v_lshl_add_u32 v7, v7, 23, 0x3c000000
	v_lshlrev_b32_sdwa v6, v16, v6 dst_sel:DWORD dst_unused:UNUSED_PAD src0_sel:DWORD src1_sel:BYTE_3
	v_lshlrev_b32_e32 v16, 20, v70
	v_and_b32_e32 v6, 0x80000000, v6
	v_or3_b32 v0, v16, v6, v7
	buffer_store_dword v0, off, s[0:3], s32 offset:236 ; 4-byte Folded Spill
.LBB329_399:                            ;   in Loop: Header=BB329_12 Depth=1
	s_or_b32 exec_lo, exec_lo, s22
.LBB329_400:                            ;   in Loop: Header=BB329_12 Depth=1
	s_or_b32 exec_lo, exec_lo, s21
.LBB329_401:                            ;   in Loop: Header=BB329_12 Depth=1
	s_or_b32 exec_lo, exec_lo, s20
	flat_load_dword v6, v[68:69] offset:1536
	v_mov_b32_e32 v0, 0
	buffer_store_dword v0, off, s[0:3], s32 offset:240 ; 4-byte Folded Spill
	v_mov_b32_e32 v0, 0
	buffer_store_dword v0, off, s[0:3], s32 offset:244 ; 4-byte Folded Spill
	s_waitcnt vmcnt(0) lgkmcnt(0)
	v_cmp_ne_u16_sdwa s6, v6, v25 src0_sel:BYTE_0 src1_sel:DWORD
	s_and_saveexec_b32 s20, s6
	s_cbranch_execz .LBB329_409
; %bb.402:                              ;   in Loop: Header=BB329_12 Depth=1
	v_cmp_ne_u16_sdwa s6, v6, v115 src0_sel:BYTE_0 src1_sel:DWORD
	v_bfrev_b32_e32 v0, 1
	buffer_store_dword v0, off, s[0:3], s32 offset:244 ; 4-byte Folded Spill
	s_and_saveexec_b32 s21, s6
	s_cbranch_execz .LBB329_408
; %bb.403:                              ;   in Loop: Header=BB329_12 Depth=1
	v_and_b32_e32 v16, 0x7f, v6
	v_mov_b32_e32 v0, 0x7f800001
	s_mov_b32 s22, exec_lo
	buffer_store_dword v0, off, s[0:3], s32 offset:244 ; 4-byte Folded Spill
	v_cmpx_ne_u32_e32 0x7f, v16
	s_cbranch_execz .LBB329_407
; %bb.404:                              ;   in Loop: Header=BB329_12 Depth=1
	v_and_b32_e32 v24, 7, v6
	v_mov_b32_e32 v71, v25
	v_lshrrev_b32_e32 v7, 3, v16
	s_mov_b32 s23, exec_lo
	v_mov_b32_e32 v70, v24
	v_cmpx_gt_u32_e32 8, v16
; %bb.405:                              ;   in Loop: Header=BB329_12 Depth=1
	v_ffbh_u32_e32 v7, v24
	v_min_u32_e32 v7, 32, v7
	v_subrev_nc_u32_e32 v16, 28, v7
	v_sub_nc_u32_e32 v7, 29, v7
	v_lshlrev_b64 v[20:21], v16, v[24:25]
	v_and_b32_e32 v70, 7, v20
; %bb.406:                              ;   in Loop: Header=BB329_12 Depth=1
	s_or_b32 exec_lo, exec_lo, s23
	v_lshlrev_b32_e32 v16, 24, v6
	v_lshlrev_b32_e32 v20, 20, v70
	v_lshl_add_u32 v7, v7, 23, 0x3c000000
	v_and_b32_e32 v16, 0x80000000, v16
	v_or3_b32 v0, v20, v16, v7
	buffer_store_dword v0, off, s[0:3], s32 offset:244 ; 4-byte Folded Spill
.LBB329_407:                            ;   in Loop: Header=BB329_12 Depth=1
	s_or_b32 exec_lo, exec_lo, s22
.LBB329_408:                            ;   in Loop: Header=BB329_12 Depth=1
	s_or_b32 exec_lo, exec_lo, s21
.LBB329_409:                            ;   in Loop: Header=BB329_12 Depth=1
	s_or_b32 exec_lo, exec_lo, s20
	v_cmp_ne_u16_sdwa s6, v6, v25 src0_sel:BYTE_1 src1_sel:DWORD
	s_and_saveexec_b32 s20, s6
	s_cbranch_execz .LBB329_417
; %bb.410:                              ;   in Loop: Header=BB329_12 Depth=1
	v_cmp_ne_u16_sdwa s6, v6, v115 src0_sel:BYTE_1 src1_sel:DWORD
	v_bfrev_b32_e32 v0, 1
	buffer_store_dword v0, off, s[0:3], s32 offset:240 ; 4-byte Folded Spill
	s_and_saveexec_b32 s21, s6
	s_cbranch_execz .LBB329_416
; %bb.411:                              ;   in Loop: Header=BB329_12 Depth=1
	v_mov_b32_e32 v7, 0xffff
	v_mov_b32_e32 v0, 0x7f800001
	s_mov_b32 s22, exec_lo
	v_and_b32_sdwa v7, v7, v6 dst_sel:DWORD dst_unused:UNUSED_PAD src0_sel:DWORD src1_sel:BYTE_1
	buffer_store_dword v0, off, s[0:3], s32 offset:240 ; 4-byte Folded Spill
	v_and_b32_e32 v16, 0x7f, v7
	v_cmpx_ne_u32_e32 0x7f, v16
	s_cbranch_execz .LBB329_415
; %bb.412:                              ;   in Loop: Header=BB329_12 Depth=1
	v_and_b32_e32 v24, 7, v7
	v_mov_b32_e32 v71, v25
	v_lshrrev_b32_e32 v7, 3, v16
	s_mov_b32 s23, exec_lo
	v_mov_b32_e32 v70, v24
	v_cmpx_gt_u32_e32 8, v16
; %bb.413:                              ;   in Loop: Header=BB329_12 Depth=1
	v_ffbh_u32_e32 v7, v24
	v_min_u32_e32 v7, 32, v7
	v_subrev_nc_u32_e32 v16, 28, v7
	v_sub_nc_u32_e32 v7, 29, v7
	v_lshlrev_b64 v[53:54], v16, v[24:25]
	v_and_b32_e32 v70, 7, v53
; %bb.414:                              ;   in Loop: Header=BB329_12 Depth=1
	s_or_b32 exec_lo, exec_lo, s23
	v_lshlrev_b32_e32 v16, 16, v6
	v_lshlrev_b32_e32 v18, 20, v70
	v_lshl_add_u32 v7, v7, 23, 0x3c000000
	v_and_b32_e32 v16, 0x80000000, v16
	v_or3_b32 v0, v18, v16, v7
	buffer_store_dword v0, off, s[0:3], s32 offset:240 ; 4-byte Folded Spill
.LBB329_415:                            ;   in Loop: Header=BB329_12 Depth=1
	s_or_b32 exec_lo, exec_lo, s22
.LBB329_416:                            ;   in Loop: Header=BB329_12 Depth=1
	s_or_b32 exec_lo, exec_lo, s21
.LBB329_417:                            ;   in Loop: Header=BB329_12 Depth=1
	s_or_b32 exec_lo, exec_lo, s20
	v_mov_b32_e32 v0, 0
	v_and_b32_sdwa v7, v6, v42 dst_sel:DWORD dst_unused:UNUSED_PAD src0_sel:WORD_1 src1_sel:DWORD
	s_mov_b32 s20, exec_lo
	buffer_store_dword v0, off, s[0:3], s32 offset:256 ; 4-byte Folded Spill
	v_mov_b32_e32 v0, 0
	buffer_store_dword v0, off, s[0:3], s32 offset:292 ; 4-byte Folded Spill
	v_cmpx_ne_u16_e32 0, v7
	s_cbranch_execz .LBB329_425
; %bb.418:                              ;   in Loop: Header=BB329_12 Depth=1
	v_bfrev_b32_e32 v0, 1
	s_mov_b32 s21, exec_lo
	v_cmpx_ne_u16_e32 0x80, v7
	s_cbranch_execz .LBB329_424
; %bb.419:                              ;   in Loop: Header=BB329_12 Depth=1
	v_bfe_u32 v16, v6, 16, 7
	v_mov_b32_e32 v0, 0x7f800001
	s_mov_b32 s22, exec_lo
	v_cmpx_ne_u32_e32 0x7f, v16
	s_cbranch_execz .LBB329_423
; %bb.420:                              ;   in Loop: Header=BB329_12 Depth=1
	v_mov_b32_e32 v7, 7
	s_mov_b32 s23, exec_lo
	v_and_b32_sdwa v24, v6, v7 dst_sel:DWORD dst_unused:UNUSED_PAD src0_sel:WORD_1 src1_sel:DWORD
	v_mov_b32_e32 v71, v25
	v_lshrrev_b32_e32 v7, 3, v16
	v_mov_b32_e32 v70, v24
	v_cmpx_gt_u32_e32 8, v16
; %bb.421:                              ;   in Loop: Header=BB329_12 Depth=1
	v_ffbh_u32_e32 v7, v24
	v_min_u32_e32 v7, 32, v7
	v_subrev_nc_u32_e32 v16, 28, v7
	v_sub_nc_u32_e32 v7, 29, v7
	v_lshlrev_b64 v[53:54], v16, v[24:25]
	v_and_b32_e32 v70, 7, v53
; %bb.422:                              ;   in Loop: Header=BB329_12 Depth=1
	s_or_b32 exec_lo, exec_lo, s23
	v_mov_b32_e32 v16, 24
	v_lshlrev_b32_e32 v20, 20, v70
	v_lshl_add_u32 v7, v7, 23, 0x3c000000
	v_lshlrev_b32_sdwa v16, v16, v6 dst_sel:DWORD dst_unused:UNUSED_PAD src0_sel:DWORD src1_sel:WORD_1
	v_and_b32_e32 v16, 0x80000000, v16
	v_or3_b32 v0, v20, v16, v7
.LBB329_423:                            ;   in Loop: Header=BB329_12 Depth=1
	s_or_b32 exec_lo, exec_lo, s22
.LBB329_424:                            ;   in Loop: Header=BB329_12 Depth=1
	s_or_b32 exec_lo, exec_lo, s21
	buffer_store_dword v0, off, s[0:3], s32 offset:292 ; 4-byte Folded Spill
.LBB329_425:                            ;   in Loop: Header=BB329_12 Depth=1
	s_or_b32 exec_lo, exec_lo, s20
	s_mov_b32 s20, exec_lo
	v_cmpx_lt_u32_e32 0xffffff, v6
	s_cbranch_execz .LBB329_433
; %bb.426:                              ;   in Loop: Header=BB329_12 Depth=1
	v_cmp_ne_u32_sdwa s6, v6, v115 src0_sel:BYTE_3 src1_sel:DWORD
	v_bfrev_b32_e32 v0, 1
	buffer_store_dword v0, off, s[0:3], s32 offset:256 ; 4-byte Folded Spill
	s_and_saveexec_b32 s21, s6
	s_cbranch_execz .LBB329_432
; %bb.427:                              ;   in Loop: Header=BB329_12 Depth=1
	v_bfe_u32 v16, v6, 24, 7
	v_mov_b32_e32 v0, 0x7f800001
	s_mov_b32 s22, exec_lo
	buffer_store_dword v0, off, s[0:3], s32 offset:256 ; 4-byte Folded Spill
	v_cmpx_ne_u32_e32 0x7f, v16
	s_cbranch_execz .LBB329_431
; %bb.428:                              ;   in Loop: Header=BB329_12 Depth=1
	v_mov_b32_e32 v7, 7
	s_mov_b32 s23, exec_lo
	v_and_b32_sdwa v24, v6, v7 dst_sel:DWORD dst_unused:UNUSED_PAD src0_sel:BYTE_3 src1_sel:DWORD
	v_mov_b32_e32 v71, v25
	v_lshrrev_b32_e32 v7, 3, v16
	v_mov_b32_e32 v70, v24
	v_cmpx_gt_u32_e32 8, v16
; %bb.429:                              ;   in Loop: Header=BB329_12 Depth=1
	v_ffbh_u32_e32 v7, v24
	v_min_u32_e32 v7, 32, v7
	v_subrev_nc_u32_e32 v16, 28, v7
	v_sub_nc_u32_e32 v7, 29, v7
	v_lshlrev_b64 v[53:54], v16, v[24:25]
	v_and_b32_e32 v70, 7, v53
; %bb.430:                              ;   in Loop: Header=BB329_12 Depth=1
	s_or_b32 exec_lo, exec_lo, s23
	v_mov_b32_e32 v16, 24
	v_lshl_add_u32 v7, v7, 23, 0x3c000000
	v_lshlrev_b32_sdwa v6, v16, v6 dst_sel:DWORD dst_unused:UNUSED_PAD src0_sel:DWORD src1_sel:BYTE_3
	v_lshlrev_b32_e32 v16, 20, v70
	v_and_b32_e32 v6, 0x80000000, v6
	v_or3_b32 v0, v16, v6, v7
	buffer_store_dword v0, off, s[0:3], s32 offset:256 ; 4-byte Folded Spill
.LBB329_431:                            ;   in Loop: Header=BB329_12 Depth=1
	s_or_b32 exec_lo, exec_lo, s22
.LBB329_432:                            ;   in Loop: Header=BB329_12 Depth=1
	s_or_b32 exec_lo, exec_lo, s21
.LBB329_433:                            ;   in Loop: Header=BB329_12 Depth=1
	s_or_b32 exec_lo, exec_lo, s20
	flat_load_dword v6, v[68:69] offset:1544
	v_mov_b32_e32 v0, 0
	v_mov_b32_e32 v10, 0
	s_waitcnt vmcnt(0) lgkmcnt(0)
	v_cmp_ne_u16_sdwa s6, v6, v25 src0_sel:BYTE_0 src1_sel:DWORD
	s_and_saveexec_b32 s20, s6
	s_cbranch_execz .LBB329_441
; %bb.434:                              ;   in Loop: Header=BB329_12 Depth=1
	v_cmp_ne_u16_sdwa s6, v6, v115 src0_sel:BYTE_0 src1_sel:DWORD
	v_bfrev_b32_e32 v10, 1
	s_and_saveexec_b32 s21, s6
	s_cbranch_execz .LBB329_440
; %bb.435:                              ;   in Loop: Header=BB329_12 Depth=1
	v_and_b32_e32 v16, 0x7f, v6
	v_mov_b32_e32 v10, 0x7f800001
	s_mov_b32 s22, exec_lo
	v_cmpx_ne_u32_e32 0x7f, v16
	s_cbranch_execz .LBB329_439
; %bb.436:                              ;   in Loop: Header=BB329_12 Depth=1
	v_and_b32_e32 v24, 7, v6
	v_mov_b32_e32 v71, v25
	v_lshrrev_b32_e32 v7, 3, v16
	s_mov_b32 s23, exec_lo
	v_mov_b32_e32 v70, v24
	v_cmpx_gt_u32_e32 8, v16
; %bb.437:                              ;   in Loop: Header=BB329_12 Depth=1
	v_ffbh_u32_e32 v7, v24
	v_min_u32_e32 v7, 32, v7
	v_subrev_nc_u32_e32 v16, 28, v7
	v_sub_nc_u32_e32 v7, 29, v7
	v_lshlrev_b64 v[53:54], v16, v[24:25]
	v_and_b32_e32 v70, 7, v53
; %bb.438:                              ;   in Loop: Header=BB329_12 Depth=1
	s_or_b32 exec_lo, exec_lo, s23
	v_lshlrev_b32_e32 v16, 24, v6
	v_lshlrev_b32_e32 v20, 20, v70
	v_lshl_add_u32 v7, v7, 23, 0x3c000000
	v_and_b32_e32 v16, 0x80000000, v16
	v_or3_b32 v10, v20, v16, v7
.LBB329_439:                            ;   in Loop: Header=BB329_12 Depth=1
	s_or_b32 exec_lo, exec_lo, s22
.LBB329_440:                            ;   in Loop: Header=BB329_12 Depth=1
	s_or_b32 exec_lo, exec_lo, s21
.LBB329_441:                            ;   in Loop: Header=BB329_12 Depth=1
	s_or_b32 exec_lo, exec_lo, s20
	v_cmp_ne_u16_sdwa s6, v6, v25 src0_sel:BYTE_1 src1_sel:DWORD
	s_and_saveexec_b32 s20, s6
	s_cbranch_execz .LBB329_449
; %bb.442:                              ;   in Loop: Header=BB329_12 Depth=1
	v_cmp_ne_u16_sdwa s6, v6, v115 src0_sel:BYTE_1 src1_sel:DWORD
	v_bfrev_b32_e32 v0, 1
	s_and_saveexec_b32 s21, s6
	s_cbranch_execz .LBB329_448
; %bb.443:                              ;   in Loop: Header=BB329_12 Depth=1
	v_mov_b32_e32 v7, 0xffff
	v_mov_b32_e32 v0, 0x7f800001
	s_mov_b32 s22, exec_lo
	v_and_b32_sdwa v7, v7, v6 dst_sel:DWORD dst_unused:UNUSED_PAD src0_sel:DWORD src1_sel:BYTE_1
	v_and_b32_e32 v16, 0x7f, v7
	v_cmpx_ne_u32_e32 0x7f, v16
	s_cbranch_execz .LBB329_447
; %bb.444:                              ;   in Loop: Header=BB329_12 Depth=1
	v_and_b32_e32 v24, 7, v7
	v_mov_b32_e32 v71, v25
	v_lshrrev_b32_e32 v7, 3, v16
	s_mov_b32 s23, exec_lo
	v_mov_b32_e32 v70, v24
	v_cmpx_gt_u32_e32 8, v16
; %bb.445:                              ;   in Loop: Header=BB329_12 Depth=1
	v_ffbh_u32_e32 v7, v24
	v_min_u32_e32 v7, 32, v7
	v_subrev_nc_u32_e32 v16, 28, v7
	v_sub_nc_u32_e32 v7, 29, v7
	v_lshlrev_b64 v[53:54], v16, v[24:25]
	v_and_b32_e32 v70, 7, v53
; %bb.446:                              ;   in Loop: Header=BB329_12 Depth=1
	s_or_b32 exec_lo, exec_lo, s23
	v_lshlrev_b32_e32 v16, 16, v6
	v_lshlrev_b32_e32 v20, 20, v70
	v_lshl_add_u32 v7, v7, 23, 0x3c000000
	v_and_b32_e32 v16, 0x80000000, v16
	v_or3_b32 v0, v20, v16, v7
.LBB329_447:                            ;   in Loop: Header=BB329_12 Depth=1
	s_or_b32 exec_lo, exec_lo, s22
.LBB329_448:                            ;   in Loop: Header=BB329_12 Depth=1
	s_or_b32 exec_lo, exec_lo, s21
.LBB329_449:                            ;   in Loop: Header=BB329_12 Depth=1
	s_or_b32 exec_lo, exec_lo, s20
	v_and_b32_sdwa v7, v6, v42 dst_sel:DWORD dst_unused:UNUSED_PAD src0_sel:WORD_1 src1_sel:DWORD
	v_mov_b32_e32 v1, 0
	v_mov_b32_e32 v8, 0
	s_mov_b32 s20, exec_lo
	v_cmpx_ne_u16_e32 0, v7
	s_cbranch_execz .LBB329_457
; %bb.450:                              ;   in Loop: Header=BB329_12 Depth=1
	v_bfrev_b32_e32 v8, 1
	s_mov_b32 s21, exec_lo
	v_cmpx_ne_u16_e32 0x80, v7
	s_cbranch_execz .LBB329_456
; %bb.451:                              ;   in Loop: Header=BB329_12 Depth=1
	v_bfe_u32 v16, v6, 16, 7
	v_mov_b32_e32 v8, 0x7f800001
	s_mov_b32 s22, exec_lo
	v_cmpx_ne_u32_e32 0x7f, v16
	s_cbranch_execz .LBB329_455
; %bb.452:                              ;   in Loop: Header=BB329_12 Depth=1
	v_mov_b32_e32 v7, 7
	s_mov_b32 s23, exec_lo
	v_and_b32_sdwa v24, v6, v7 dst_sel:DWORD dst_unused:UNUSED_PAD src0_sel:WORD_1 src1_sel:DWORD
	v_mov_b32_e32 v71, v25
	v_lshrrev_b32_e32 v7, 3, v16
	v_mov_b32_e32 v70, v24
	v_cmpx_gt_u32_e32 8, v16
; %bb.453:                              ;   in Loop: Header=BB329_12 Depth=1
	v_ffbh_u32_e32 v7, v24
	v_min_u32_e32 v7, 32, v7
	v_subrev_nc_u32_e32 v16, 28, v7
	v_sub_nc_u32_e32 v7, 29, v7
	v_lshlrev_b64 v[53:54], v16, v[24:25]
	v_and_b32_e32 v70, 7, v53
; %bb.454:                              ;   in Loop: Header=BB329_12 Depth=1
	s_or_b32 exec_lo, exec_lo, s23
	v_mov_b32_e32 v16, 24
	v_lshlrev_b32_e32 v20, 20, v70
	v_lshl_add_u32 v7, v7, 23, 0x3c000000
	v_lshlrev_b32_sdwa v16, v16, v6 dst_sel:DWORD dst_unused:UNUSED_PAD src0_sel:DWORD src1_sel:WORD_1
	v_and_b32_e32 v16, 0x80000000, v16
	v_or3_b32 v8, v20, v16, v7
.LBB329_455:                            ;   in Loop: Header=BB329_12 Depth=1
	s_or_b32 exec_lo, exec_lo, s22
.LBB329_456:                            ;   in Loop: Header=BB329_12 Depth=1
	s_or_b32 exec_lo, exec_lo, s21
.LBB329_457:                            ;   in Loop: Header=BB329_12 Depth=1
	s_or_b32 exec_lo, exec_lo, s20
	s_mov_b32 s20, exec_lo
	v_cmpx_lt_u32_e32 0xffffff, v6
	s_cbranch_execz .LBB329_465
; %bb.458:                              ;   in Loop: Header=BB329_12 Depth=1
	v_cmp_ne_u32_sdwa s6, v6, v115 src0_sel:BYTE_3 src1_sel:DWORD
	v_bfrev_b32_e32 v1, 1
	s_and_saveexec_b32 s21, s6
	s_cbranch_execz .LBB329_464
; %bb.459:                              ;   in Loop: Header=BB329_12 Depth=1
	v_bfe_u32 v16, v6, 24, 7
	v_mov_b32_e32 v1, 0x7f800001
	s_mov_b32 s22, exec_lo
	v_cmpx_ne_u32_e32 0x7f, v16
	s_cbranch_execz .LBB329_463
; %bb.460:                              ;   in Loop: Header=BB329_12 Depth=1
	v_mov_b32_e32 v7, 7
	s_mov_b32 s23, exec_lo
	v_and_b32_sdwa v24, v6, v7 dst_sel:DWORD dst_unused:UNUSED_PAD src0_sel:BYTE_3 src1_sel:DWORD
	v_mov_b32_e32 v71, v25
	v_lshrrev_b32_e32 v7, 3, v16
	v_mov_b32_e32 v70, v24
	v_cmpx_gt_u32_e32 8, v16
; %bb.461:                              ;   in Loop: Header=BB329_12 Depth=1
	v_ffbh_u32_e32 v7, v24
	v_min_u32_e32 v7, 32, v7
	v_subrev_nc_u32_e32 v16, 28, v7
	v_sub_nc_u32_e32 v7, 29, v7
	v_lshlrev_b64 v[53:54], v16, v[24:25]
	v_and_b32_e32 v70, 7, v53
; %bb.462:                              ;   in Loop: Header=BB329_12 Depth=1
	s_or_b32 exec_lo, exec_lo, s23
	v_mov_b32_e32 v16, 24
	v_lshl_add_u32 v7, v7, 23, 0x3c000000
	v_lshlrev_b32_sdwa v6, v16, v6 dst_sel:DWORD dst_unused:UNUSED_PAD src0_sel:DWORD src1_sel:BYTE_3
	v_lshlrev_b32_e32 v16, 20, v70
	v_and_b32_e32 v6, 0x80000000, v6
	v_or3_b32 v1, v16, v6, v7
.LBB329_463:                            ;   in Loop: Header=BB329_12 Depth=1
	s_or_b32 exec_lo, exec_lo, s22
.LBB329_464:                            ;   in Loop: Header=BB329_12 Depth=1
	s_or_b32 exec_lo, exec_lo, s21
.LBB329_465:                            ;   in Loop: Header=BB329_12 Depth=1
	s_or_b32 exec_lo, exec_lo, s20
	flat_load_dword v6, v[68:69] offset:1792
	v_mov_b32_e32 v17, 0
	v_mov_b32_e32 v11, 0
	s_waitcnt vmcnt(0) lgkmcnt(0)
	v_cmp_ne_u16_sdwa s6, v6, v25 src0_sel:BYTE_0 src1_sel:DWORD
	s_and_saveexec_b32 s20, s6
	s_cbranch_execz .LBB329_473
; %bb.466:                              ;   in Loop: Header=BB329_12 Depth=1
	v_cmp_ne_u16_sdwa s6, v6, v115 src0_sel:BYTE_0 src1_sel:DWORD
	v_bfrev_b32_e32 v11, 1
	s_and_saveexec_b32 s21, s6
	s_cbranch_execz .LBB329_472
; %bb.467:                              ;   in Loop: Header=BB329_12 Depth=1
	v_and_b32_e32 v16, 0x7f, v6
	v_mov_b32_e32 v11, 0x7f800001
	s_mov_b32 s22, exec_lo
	v_cmpx_ne_u32_e32 0x7f, v16
	s_cbranch_execz .LBB329_471
; %bb.468:                              ;   in Loop: Header=BB329_12 Depth=1
	v_and_b32_e32 v24, 7, v6
	v_mov_b32_e32 v71, v25
	v_lshrrev_b32_e32 v7, 3, v16
	s_mov_b32 s23, exec_lo
	v_mov_b32_e32 v70, v24
	v_cmpx_gt_u32_e32 8, v16
; %bb.469:                              ;   in Loop: Header=BB329_12 Depth=1
	v_ffbh_u32_e32 v7, v24
	v_min_u32_e32 v7, 32, v7
	v_subrev_nc_u32_e32 v16, 28, v7
	v_sub_nc_u32_e32 v7, 29, v7
	v_lshlrev_b64 v[53:54], v16, v[24:25]
	v_and_b32_e32 v70, 7, v53
; %bb.470:                              ;   in Loop: Header=BB329_12 Depth=1
	s_or_b32 exec_lo, exec_lo, s23
	v_lshlrev_b32_e32 v16, 24, v6
	v_lshlrev_b32_e32 v20, 20, v70
	v_lshl_add_u32 v7, v7, 23, 0x3c000000
	v_and_b32_e32 v16, 0x80000000, v16
	v_or3_b32 v11, v20, v16, v7
.LBB329_471:                            ;   in Loop: Header=BB329_12 Depth=1
	s_or_b32 exec_lo, exec_lo, s22
.LBB329_472:                            ;   in Loop: Header=BB329_12 Depth=1
	s_or_b32 exec_lo, exec_lo, s21
.LBB329_473:                            ;   in Loop: Header=BB329_12 Depth=1
	s_or_b32 exec_lo, exec_lo, s20
	v_cmp_ne_u16_sdwa s6, v6, v25 src0_sel:BYTE_1 src1_sel:DWORD
	s_and_saveexec_b32 s20, s6
	s_cbranch_execz .LBB329_481
; %bb.474:                              ;   in Loop: Header=BB329_12 Depth=1
	v_cmp_ne_u16_sdwa s6, v6, v115 src0_sel:BYTE_1 src1_sel:DWORD
	v_bfrev_b32_e32 v17, 1
	s_and_saveexec_b32 s21, s6
	s_cbranch_execz .LBB329_480
; %bb.475:                              ;   in Loop: Header=BB329_12 Depth=1
	v_mov_b32_e32 v7, 0xffff
	v_mov_b32_e32 v17, 0x7f800001
	s_mov_b32 s22, exec_lo
	v_and_b32_sdwa v7, v7, v6 dst_sel:DWORD dst_unused:UNUSED_PAD src0_sel:DWORD src1_sel:BYTE_1
	v_and_b32_e32 v16, 0x7f, v7
	v_cmpx_ne_u32_e32 0x7f, v16
	s_cbranch_execz .LBB329_479
; %bb.476:                              ;   in Loop: Header=BB329_12 Depth=1
	v_and_b32_e32 v24, 7, v7
	v_mov_b32_e32 v71, v25
	v_lshrrev_b32_e32 v7, 3, v16
	s_mov_b32 s23, exec_lo
	v_mov_b32_e32 v70, v24
	v_cmpx_gt_u32_e32 8, v16
; %bb.477:                              ;   in Loop: Header=BB329_12 Depth=1
	v_ffbh_u32_e32 v7, v24
	v_min_u32_e32 v7, 32, v7
	v_subrev_nc_u32_e32 v16, 28, v7
	v_sub_nc_u32_e32 v7, 29, v7
	v_lshlrev_b64 v[53:54], v16, v[24:25]
	v_and_b32_e32 v70, 7, v53
; %bb.478:                              ;   in Loop: Header=BB329_12 Depth=1
	s_or_b32 exec_lo, exec_lo, s23
	v_lshlrev_b32_e32 v16, 16, v6
	v_lshlrev_b32_e32 v20, 20, v70
	v_lshl_add_u32 v7, v7, 23, 0x3c000000
	v_and_b32_e32 v16, 0x80000000, v16
	v_or3_b32 v17, v20, v16, v7
.LBB329_479:                            ;   in Loop: Header=BB329_12 Depth=1
	s_or_b32 exec_lo, exec_lo, s22
.LBB329_480:                            ;   in Loop: Header=BB329_12 Depth=1
	s_or_b32 exec_lo, exec_lo, s21
.LBB329_481:                            ;   in Loop: Header=BB329_12 Depth=1
	s_or_b32 exec_lo, exec_lo, s20
	v_and_b32_sdwa v7, v6, v42 dst_sel:DWORD dst_unused:UNUSED_PAD src0_sel:WORD_1 src1_sel:DWORD
	v_mov_b32_e32 v113, 0
	v_mov_b32_e32 v19, 0
	s_mov_b32 s20, exec_lo
	v_cmpx_ne_u16_e32 0, v7
	s_cbranch_execz .LBB329_489
; %bb.482:                              ;   in Loop: Header=BB329_12 Depth=1
	v_bfrev_b32_e32 v19, 1
	s_mov_b32 s21, exec_lo
	v_cmpx_ne_u16_e32 0x80, v7
	s_cbranch_execz .LBB329_488
; %bb.483:                              ;   in Loop: Header=BB329_12 Depth=1
	v_bfe_u32 v16, v6, 16, 7
	v_mov_b32_e32 v19, 0x7f800001
	s_mov_b32 s22, exec_lo
	v_cmpx_ne_u32_e32 0x7f, v16
	s_cbranch_execz .LBB329_487
; %bb.484:                              ;   in Loop: Header=BB329_12 Depth=1
	v_mov_b32_e32 v7, 7
	s_mov_b32 s23, exec_lo
	v_and_b32_sdwa v24, v6, v7 dst_sel:DWORD dst_unused:UNUSED_PAD src0_sel:WORD_1 src1_sel:DWORD
	v_mov_b32_e32 v71, v25
	v_lshrrev_b32_e32 v7, 3, v16
	v_mov_b32_e32 v70, v24
	v_cmpx_gt_u32_e32 8, v16
; %bb.485:                              ;   in Loop: Header=BB329_12 Depth=1
	v_ffbh_u32_e32 v7, v24
	v_min_u32_e32 v7, 32, v7
	v_subrev_nc_u32_e32 v16, 28, v7
	v_sub_nc_u32_e32 v7, 29, v7
	v_lshlrev_b64 v[53:54], v16, v[24:25]
	v_and_b32_e32 v70, 7, v53
; %bb.486:                              ;   in Loop: Header=BB329_12 Depth=1
	s_or_b32 exec_lo, exec_lo, s23
	v_mov_b32_e32 v16, 24
	v_lshlrev_b32_e32 v20, 20, v70
	v_lshl_add_u32 v7, v7, 23, 0x3c000000
	v_lshlrev_b32_sdwa v16, v16, v6 dst_sel:DWORD dst_unused:UNUSED_PAD src0_sel:DWORD src1_sel:WORD_1
	v_and_b32_e32 v16, 0x80000000, v16
	v_or3_b32 v19, v20, v16, v7
.LBB329_487:                            ;   in Loop: Header=BB329_12 Depth=1
	s_or_b32 exec_lo, exec_lo, s22
.LBB329_488:                            ;   in Loop: Header=BB329_12 Depth=1
	s_or_b32 exec_lo, exec_lo, s21
.LBB329_489:                            ;   in Loop: Header=BB329_12 Depth=1
	s_or_b32 exec_lo, exec_lo, s20
	s_mov_b32 s20, exec_lo
	v_cmpx_lt_u32_e32 0xffffff, v6
	s_cbranch_execz .LBB329_497
; %bb.490:                              ;   in Loop: Header=BB329_12 Depth=1
	v_cmp_ne_u32_sdwa s6, v6, v115 src0_sel:BYTE_3 src1_sel:DWORD
	v_bfrev_b32_e32 v113, 1
	s_and_saveexec_b32 s21, s6
	s_cbranch_execz .LBB329_496
; %bb.491:                              ;   in Loop: Header=BB329_12 Depth=1
	v_bfe_u32 v16, v6, 24, 7
	v_mov_b32_e32 v113, 0x7f800001
	s_mov_b32 s22, exec_lo
	v_cmpx_ne_u32_e32 0x7f, v16
	s_cbranch_execz .LBB329_495
; %bb.492:                              ;   in Loop: Header=BB329_12 Depth=1
	v_mov_b32_e32 v7, 7
	s_mov_b32 s23, exec_lo
	v_and_b32_sdwa v24, v6, v7 dst_sel:DWORD dst_unused:UNUSED_PAD src0_sel:BYTE_3 src1_sel:DWORD
	v_mov_b32_e32 v71, v25
	v_lshrrev_b32_e32 v7, 3, v16
	v_mov_b32_e32 v70, v24
	v_cmpx_gt_u32_e32 8, v16
; %bb.493:                              ;   in Loop: Header=BB329_12 Depth=1
	v_ffbh_u32_e32 v7, v24
	v_min_u32_e32 v7, 32, v7
	v_subrev_nc_u32_e32 v16, 28, v7
	v_sub_nc_u32_e32 v7, 29, v7
	v_lshlrev_b64 v[53:54], v16, v[24:25]
	v_and_b32_e32 v70, 7, v53
; %bb.494:                              ;   in Loop: Header=BB329_12 Depth=1
	s_or_b32 exec_lo, exec_lo, s23
	v_mov_b32_e32 v16, 24
	v_lshl_add_u32 v7, v7, 23, 0x3c000000
	v_lshlrev_b32_sdwa v6, v16, v6 dst_sel:DWORD dst_unused:UNUSED_PAD src0_sel:DWORD src1_sel:BYTE_3
	v_lshlrev_b32_e32 v16, 20, v70
	v_and_b32_e32 v6, 0x80000000, v6
	v_or3_b32 v113, v16, v6, v7
.LBB329_495:                            ;   in Loop: Header=BB329_12 Depth=1
	s_or_b32 exec_lo, exec_lo, s22
.LBB329_496:                            ;   in Loop: Header=BB329_12 Depth=1
	s_or_b32 exec_lo, exec_lo, s21
.LBB329_497:                            ;   in Loop: Header=BB329_12 Depth=1
	s_or_b32 exec_lo, exec_lo, s20
	flat_load_dword v16, v[68:69] offset:1800
	v_mov_b32_e32 v71, 0
	v_mov_b32_e32 v70, 0
	s_waitcnt vmcnt(0) lgkmcnt(0)
	v_cmp_ne_u16_sdwa s6, v16, v25 src0_sel:BYTE_0 src1_sel:DWORD
	s_and_saveexec_b32 s20, s6
	s_cbranch_execz .LBB329_505
; %bb.498:                              ;   in Loop: Header=BB329_12 Depth=1
	v_cmp_ne_u16_sdwa s6, v16, v115 src0_sel:BYTE_0 src1_sel:DWORD
	v_bfrev_b32_e32 v70, 1
	s_and_saveexec_b32 s21, s6
	s_cbranch_execz .LBB329_504
; %bb.499:                              ;   in Loop: Header=BB329_12 Depth=1
	v_and_b32_e32 v7, 0x7f, v16
	v_mov_b32_e32 v70, 0x7f800001
	s_mov_b32 s22, exec_lo
	v_cmpx_ne_u32_e32 0x7f, v7
	s_cbranch_execz .LBB329_503
; %bb.500:                              ;   in Loop: Header=BB329_12 Depth=1
	v_and_b32_e32 v24, 7, v16
	v_mov_b32_e32 v69, v25
	v_lshrrev_b32_e32 v6, 3, v7
	s_mov_b32 s23, exec_lo
	v_mov_b32_e32 v68, v24
	v_cmpx_gt_u32_e32 8, v7
; %bb.501:                              ;   in Loop: Header=BB329_12 Depth=1
	v_ffbh_u32_e32 v6, v24
	v_min_u32_e32 v6, 32, v6
	v_subrev_nc_u32_e32 v7, 28, v6
	v_sub_nc_u32_e32 v6, 29, v6
	v_lshlrev_b64 v[53:54], v7, v[24:25]
	v_and_b32_e32 v68, 7, v53
; %bb.502:                              ;   in Loop: Header=BB329_12 Depth=1
	s_or_b32 exec_lo, exec_lo, s23
	v_lshlrev_b32_e32 v7, 24, v16
	v_lshlrev_b32_e32 v20, 20, v68
	v_lshl_add_u32 v6, v6, 23, 0x3c000000
	v_and_b32_e32 v7, 0x80000000, v7
	v_or3_b32 v70, v20, v7, v6
.LBB329_503:                            ;   in Loop: Header=BB329_12 Depth=1
	s_or_b32 exec_lo, exec_lo, s22
.LBB329_504:                            ;   in Loop: Header=BB329_12 Depth=1
	s_or_b32 exec_lo, exec_lo, s21
.LBB329_505:                            ;   in Loop: Header=BB329_12 Depth=1
	s_or_b32 exec_lo, exec_lo, s20
	v_cmp_ne_u16_sdwa s6, v16, v25 src0_sel:BYTE_1 src1_sel:DWORD
	s_and_saveexec_b32 s20, s6
	s_cbranch_execz .LBB329_513
; %bb.506:                              ;   in Loop: Header=BB329_12 Depth=1
	v_cmp_ne_u16_sdwa s6, v16, v115 src0_sel:BYTE_1 src1_sel:DWORD
	v_bfrev_b32_e32 v71, 1
	s_and_saveexec_b32 s21, s6
	s_cbranch_execz .LBB329_512
; %bb.507:                              ;   in Loop: Header=BB329_12 Depth=1
	v_mov_b32_e32 v6, 0xffff
	v_mov_b32_e32 v71, 0x7f800001
	s_mov_b32 s22, exec_lo
	v_and_b32_sdwa v6, v6, v16 dst_sel:DWORD dst_unused:UNUSED_PAD src0_sel:DWORD src1_sel:BYTE_1
	v_and_b32_e32 v7, 0x7f, v6
	v_cmpx_ne_u32_e32 0x7f, v7
	s_cbranch_execz .LBB329_511
; %bb.508:                              ;   in Loop: Header=BB329_12 Depth=1
	v_and_b32_e32 v24, 7, v6
	v_mov_b32_e32 v69, v25
	v_lshrrev_b32_e32 v6, 3, v7
	s_mov_b32 s23, exec_lo
	v_mov_b32_e32 v68, v24
	v_cmpx_gt_u32_e32 8, v7
; %bb.509:                              ;   in Loop: Header=BB329_12 Depth=1
	v_ffbh_u32_e32 v6, v24
	v_min_u32_e32 v6, 32, v6
	v_subrev_nc_u32_e32 v7, 28, v6
	v_sub_nc_u32_e32 v6, 29, v6
	v_lshlrev_b64 v[53:54], v7, v[24:25]
	v_and_b32_e32 v68, 7, v53
; %bb.510:                              ;   in Loop: Header=BB329_12 Depth=1
	s_or_b32 exec_lo, exec_lo, s23
	v_lshlrev_b32_e32 v7, 16, v16
	v_lshlrev_b32_e32 v20, 20, v68
	v_lshl_add_u32 v6, v6, 23, 0x3c000000
	v_and_b32_e32 v7, 0x80000000, v7
	v_or3_b32 v71, v20, v7, v6
.LBB329_511:                            ;   in Loop: Header=BB329_12 Depth=1
	s_or_b32 exec_lo, exec_lo, s22
.LBB329_512:                            ;   in Loop: Header=BB329_12 Depth=1
	s_or_b32 exec_lo, exec_lo, s21
.LBB329_513:                            ;   in Loop: Header=BB329_12 Depth=1
	s_or_b32 exec_lo, exec_lo, s20
	v_and_b32_sdwa v20, v16, v42 dst_sel:DWORD dst_unused:UNUSED_PAD src0_sel:WORD_1 src1_sel:DWORD
	v_mov_b32_e32 v7, 0
	v_mov_b32_e32 v6, 0
	s_mov_b32 s20, exec_lo
	v_cmpx_ne_u16_e32 0, v20
	s_cbranch_execz .LBB329_521
; %bb.514:                              ;   in Loop: Header=BB329_12 Depth=1
	v_bfrev_b32_e32 v6, 1
	s_mov_b32 s21, exec_lo
	v_cmpx_ne_u16_e32 0x80, v20
	s_cbranch_execz .LBB329_520
; %bb.515:                              ;   in Loop: Header=BB329_12 Depth=1
	v_bfe_u32 v20, v16, 16, 7
	v_mov_b32_e32 v6, 0x7f800001
	s_mov_b32 s22, exec_lo
	v_cmpx_ne_u32_e32 0x7f, v20
	s_cbranch_execz .LBB329_519
; %bb.516:                              ;   in Loop: Header=BB329_12 Depth=1
	v_mov_b32_e32 v6, 7
	s_mov_b32 s23, exec_lo
	v_and_b32_sdwa v24, v16, v6 dst_sel:DWORD dst_unused:UNUSED_PAD src0_sel:WORD_1 src1_sel:DWORD
	v_mov_b32_e32 v69, v25
	v_lshrrev_b32_e32 v6, 3, v20
	v_mov_b32_e32 v68, v24
	v_cmpx_gt_u32_e32 8, v20
; %bb.517:                              ;   in Loop: Header=BB329_12 Depth=1
	v_ffbh_u32_e32 v6, v24
	v_min_u32_e32 v6, 32, v6
	v_subrev_nc_u32_e32 v20, 28, v6
	v_sub_nc_u32_e32 v6, 29, v6
	v_lshlrev_b64 v[53:54], v20, v[24:25]
	v_and_b32_e32 v68, 7, v53
; %bb.518:                              ;   in Loop: Header=BB329_12 Depth=1
	s_or_b32 exec_lo, exec_lo, s23
	v_mov_b32_e32 v20, 24
	v_lshlrev_b32_e32 v22, 20, v68
	v_lshl_add_u32 v6, v6, 23, 0x3c000000
	v_lshlrev_b32_sdwa v20, v20, v16 dst_sel:DWORD dst_unused:UNUSED_PAD src0_sel:DWORD src1_sel:WORD_1
	v_and_b32_e32 v20, 0x80000000, v20
	v_or3_b32 v6, v22, v20, v6
.LBB329_519:                            ;   in Loop: Header=BB329_12 Depth=1
	s_or_b32 exec_lo, exec_lo, s22
.LBB329_520:                            ;   in Loop: Header=BB329_12 Depth=1
	s_or_b32 exec_lo, exec_lo, s21
.LBB329_521:                            ;   in Loop: Header=BB329_12 Depth=1
	s_or_b32 exec_lo, exec_lo, s20
	s_mov_b32 s20, exec_lo
	v_cmpx_lt_u32_e32 0xffffff, v16
	s_cbranch_execz .LBB329_529
; %bb.522:                              ;   in Loop: Header=BB329_12 Depth=1
	v_cmp_ne_u32_sdwa s6, v16, v115 src0_sel:BYTE_3 src1_sel:DWORD
	v_bfrev_b32_e32 v7, 1
	s_and_saveexec_b32 s21, s6
	s_cbranch_execz .LBB329_528
; %bb.523:                              ;   in Loop: Header=BB329_12 Depth=1
	v_bfe_u32 v20, v16, 24, 7
	v_mov_b32_e32 v7, 0x7f800001
	s_mov_b32 s22, exec_lo
	v_cmpx_ne_u32_e32 0x7f, v20
	s_cbranch_execz .LBB329_527
; %bb.524:                              ;   in Loop: Header=BB329_12 Depth=1
	v_mov_b32_e32 v7, 7
	s_mov_b32 s23, exec_lo
	v_and_b32_sdwa v24, v16, v7 dst_sel:DWORD dst_unused:UNUSED_PAD src0_sel:BYTE_3 src1_sel:DWORD
	v_mov_b32_e32 v69, v25
	v_lshrrev_b32_e32 v7, 3, v20
	v_mov_b32_e32 v68, v24
	v_cmpx_gt_u32_e32 8, v20
; %bb.525:                              ;   in Loop: Header=BB329_12 Depth=1
	v_ffbh_u32_e32 v7, v24
	v_min_u32_e32 v7, 32, v7
	v_subrev_nc_u32_e32 v20, 28, v7
	v_sub_nc_u32_e32 v7, 29, v7
	v_lshlrev_b64 v[53:54], v20, v[24:25]
	v_and_b32_e32 v68, 7, v53
; %bb.526:                              ;   in Loop: Header=BB329_12 Depth=1
	s_or_b32 exec_lo, exec_lo, s23
	v_mov_b32_e32 v20, 24
	v_lshl_add_u32 v7, v7, 23, 0x3c000000
	v_lshlrev_b32_sdwa v16, v20, v16 dst_sel:DWORD dst_unused:UNUSED_PAD src0_sel:DWORD src1_sel:BYTE_3
	v_lshlrev_b32_e32 v20, 20, v68
	v_and_b32_e32 v16, 0x80000000, v16
	v_or3_b32 v7, v20, v16, v7
.LBB329_527:                            ;   in Loop: Header=BB329_12 Depth=1
	s_or_b32 exec_lo, exec_lo, s22
.LBB329_528:                            ;   in Loop: Header=BB329_12 Depth=1
	s_or_b32 exec_lo, exec_lo, s21
.LBB329_529:                            ;   in Loop: Header=BB329_12 Depth=1
	s_or_b32 exec_lo, exec_lo, s20
	buffer_load_dword v22, off, s[0:3], s32 offset:196 ; 4-byte Folded Reload
	v_add_co_u32 v16, s6, 0x800, v66
	v_add_co_ci_u32_e64 v20, null, 0, v67, s6
	v_mov_b32_e32 v9, 0
	v_mov_b32_e32 v55, 0
	s_waitcnt vmcnt(0)
	v_add_co_u32 v53, s6, v16, v22
	v_add_co_ci_u32_e64 v54, null, 0, v20, s6
	flat_load_dword v22, v[53:54]
	s_waitcnt vmcnt(0) lgkmcnt(0)
	v_cmp_ne_u16_sdwa s6, v22, v25 src0_sel:BYTE_0 src1_sel:DWORD
	s_and_saveexec_b32 s20, s6
	s_cbranch_execz .LBB329_537
; %bb.530:                              ;   in Loop: Header=BB329_12 Depth=1
	v_cmp_ne_u16_sdwa s6, v22, v115 src0_sel:BYTE_0 src1_sel:DWORD
	v_bfrev_b32_e32 v55, 1
	s_and_saveexec_b32 s21, s6
	s_cbranch_execz .LBB329_536
; %bb.531:                              ;   in Loop: Header=BB329_12 Depth=1
	v_and_b32_e32 v54, 0x7f, v22
	v_mov_b32_e32 v55, 0x7f800001
	s_mov_b32 s22, exec_lo
	v_cmpx_ne_u32_e32 0x7f, v54
	s_cbranch_execz .LBB329_535
; %bb.532:                              ;   in Loop: Header=BB329_12 Depth=1
	v_and_b32_e32 v24, 7, v22
	v_mov_b32_e32 v69, v25
	v_lshrrev_b32_e32 v53, 3, v54
	s_mov_b32 s23, exec_lo
	v_mov_b32_e32 v68, v24
	v_cmpx_gt_u32_e32 8, v54
; %bb.533:                              ;   in Loop: Header=BB329_12 Depth=1
	v_ffbh_u32_e32 v53, v24
	v_min_u32_e32 v53, 32, v53
	v_subrev_nc_u32_e32 v54, 28, v53
	v_sub_nc_u32_e32 v53, 29, v53
	v_lshlrev_b64 v[68:69], v54, v[24:25]
	v_and_b32_e32 v68, 7, v68
; %bb.534:                              ;   in Loop: Header=BB329_12 Depth=1
	s_or_b32 exec_lo, exec_lo, s23
	v_lshlrev_b32_e32 v24, 24, v22
	v_lshlrev_b32_e32 v54, 20, v68
	v_lshl_add_u32 v53, v53, 23, 0x3c000000
	v_and_b32_e32 v24, 0x80000000, v24
	v_or3_b32 v55, v54, v24, v53
.LBB329_535:                            ;   in Loop: Header=BB329_12 Depth=1
	s_or_b32 exec_lo, exec_lo, s22
.LBB329_536:                            ;   in Loop: Header=BB329_12 Depth=1
	s_or_b32 exec_lo, exec_lo, s21
.LBB329_537:                            ;   in Loop: Header=BB329_12 Depth=1
	s_or_b32 exec_lo, exec_lo, s20
	v_cmp_ne_u16_sdwa s6, v22, v25 src0_sel:BYTE_1 src1_sel:DWORD
	s_and_saveexec_b32 s20, s6
	s_cbranch_execz .LBB329_545
; %bb.538:                              ;   in Loop: Header=BB329_12 Depth=1
	v_cmp_ne_u16_sdwa s6, v22, v115 src0_sel:BYTE_1 src1_sel:DWORD
	v_bfrev_b32_e32 v9, 1
	s_and_saveexec_b32 s21, s6
	s_cbranch_execz .LBB329_544
; %bb.539:                              ;   in Loop: Header=BB329_12 Depth=1
	v_mov_b32_e32 v24, 0xffff
	v_mov_b32_e32 v9, 0x7f800001
	s_mov_b32 s22, exec_lo
	v_and_b32_sdwa v24, v24, v22 dst_sel:DWORD dst_unused:UNUSED_PAD src0_sel:DWORD src1_sel:BYTE_1
	v_and_b32_e32 v54, 0x7f, v24
	v_cmpx_ne_u32_e32 0x7f, v54
	s_cbranch_execz .LBB329_543
; %bb.540:                              ;   in Loop: Header=BB329_12 Depth=1
	v_and_b32_e32 v24, 7, v24
	v_mov_b32_e32 v69, v25
	v_lshrrev_b32_e32 v53, 3, v54
	s_mov_b32 s23, exec_lo
	v_mov_b32_e32 v68, v24
	v_cmpx_gt_u32_e32 8, v54
; %bb.541:                              ;   in Loop: Header=BB329_12 Depth=1
	v_ffbh_u32_e32 v53, v24
	v_min_u32_e32 v53, 32, v53
	v_subrev_nc_u32_e32 v54, 28, v53
	v_sub_nc_u32_e32 v53, 29, v53
	v_lshlrev_b64 v[68:69], v54, v[24:25]
	v_and_b32_e32 v68, 7, v68
; %bb.542:                              ;   in Loop: Header=BB329_12 Depth=1
	s_or_b32 exec_lo, exec_lo, s23
	v_lshlrev_b32_e32 v24, 16, v22
	v_lshlrev_b32_e32 v54, 20, v68
	v_lshl_add_u32 v53, v53, 23, 0x3c000000
	v_and_b32_e32 v24, 0x80000000, v24
	v_or3_b32 v9, v54, v24, v53
.LBB329_543:                            ;   in Loop: Header=BB329_12 Depth=1
	s_or_b32 exec_lo, exec_lo, s22
.LBB329_544:                            ;   in Loop: Header=BB329_12 Depth=1
	s_or_b32 exec_lo, exec_lo, s21
.LBB329_545:                            ;   in Loop: Header=BB329_12 Depth=1
	s_or_b32 exec_lo, exec_lo, s20
	v_and_b32_sdwa v24, v22, v42 dst_sel:DWORD dst_unused:UNUSED_PAD src0_sel:WORD_1 src1_sel:DWORD
	v_mov_b32_e32 v18, 0
	v_mov_b32_e32 v56, 0
	s_mov_b32 s20, exec_lo
	v_cmpx_ne_u16_e32 0, v24
	s_cbranch_execz .LBB329_553
; %bb.546:                              ;   in Loop: Header=BB329_12 Depth=1
	v_bfrev_b32_e32 v56, 1
	s_mov_b32 s21, exec_lo
	v_cmpx_ne_u16_e32 0x80, v24
	s_cbranch_execz .LBB329_552
; %bb.547:                              ;   in Loop: Header=BB329_12 Depth=1
	v_bfe_u32 v68, v22, 16, 7
	v_mov_b32_e32 v56, 0x7f800001
	s_mov_b32 s22, exec_lo
	v_cmpx_ne_u32_e32 0x7f, v68
	s_cbranch_execz .LBB329_551
; %bb.548:                              ;   in Loop: Header=BB329_12 Depth=1
	v_mov_b32_e32 v24, 7
	v_lshrrev_b32_e32 v54, 3, v68
	v_cmp_gt_u32_e64 s6, 8, v68
	v_and_b32_sdwa v24, v22, v24 dst_sel:DWORD dst_unused:UNUSED_PAD src0_sel:WORD_1 src1_sel:DWORD
	v_mov_b32_e32 v69, v25
	v_mov_b32_e32 v68, v24
	s_and_saveexec_b32 s23, s6
; %bb.549:                              ;   in Loop: Header=BB329_12 Depth=1
	v_ffbh_u32_e32 v54, v24
	v_min_u32_e32 v54, 32, v54
	v_subrev_nc_u32_e32 v68, 28, v54
	v_sub_nc_u32_e32 v54, 29, v54
	v_lshlrev_b64 v[68:69], v68, v[24:25]
	v_and_b32_e32 v68, 7, v68
; %bb.550:                              ;   in Loop: Header=BB329_12 Depth=1
	s_or_b32 exec_lo, exec_lo, s23
	v_mov_b32_e32 v24, 24
	v_lshlrev_b32_e32 v68, 20, v68
	v_lshl_add_u32 v54, v54, 23, 0x3c000000
	v_lshlrev_b32_sdwa v24, v24, v22 dst_sel:DWORD dst_unused:UNUSED_PAD src0_sel:DWORD src1_sel:WORD_1
	v_and_b32_e32 v24, 0x80000000, v24
	v_or3_b32 v56, v68, v24, v54
.LBB329_551:                            ;   in Loop: Header=BB329_12 Depth=1
	s_or_b32 exec_lo, exec_lo, s22
.LBB329_552:                            ;   in Loop: Header=BB329_12 Depth=1
	s_or_b32 exec_lo, exec_lo, s21
.LBB329_553:                            ;   in Loop: Header=BB329_12 Depth=1
	s_or_b32 exec_lo, exec_lo, s20
	s_mov_b32 s20, exec_lo
	v_cmpx_lt_u32_e32 0xffffff, v22
	s_cbranch_execz .LBB329_561
; %bb.554:                              ;   in Loop: Header=BB329_12 Depth=1
	v_cmp_ne_u32_sdwa s6, v22, v115 src0_sel:BYTE_3 src1_sel:DWORD
	v_bfrev_b32_e32 v18, 1
	s_and_saveexec_b32 s21, s6
	s_cbranch_execz .LBB329_560
; %bb.555:                              ;   in Loop: Header=BB329_12 Depth=1
	v_bfe_u32 v54, v22, 24, 7
	v_mov_b32_e32 v18, 0x7f800001
	s_mov_b32 s22, exec_lo
	v_cmpx_ne_u32_e32 0x7f, v54
	s_cbranch_execz .LBB329_559
; %bb.556:                              ;   in Loop: Header=BB329_12 Depth=1
	v_mov_b32_e32 v24, 7
	v_lshrrev_b32_e32 v53, 3, v54
	s_mov_b32 s23, exec_lo
	v_and_b32_sdwa v24, v22, v24 dst_sel:DWORD dst_unused:UNUSED_PAD src0_sel:BYTE_3 src1_sel:DWORD
	v_mov_b32_e32 v69, v25
	v_mov_b32_e32 v68, v24
	v_cmpx_gt_u32_e32 8, v54
; %bb.557:                              ;   in Loop: Header=BB329_12 Depth=1
	v_ffbh_u32_e32 v53, v24
	v_min_u32_e32 v53, 32, v53
	v_subrev_nc_u32_e32 v54, 28, v53
	v_sub_nc_u32_e32 v53, 29, v53
	v_lshlrev_b64 v[68:69], v54, v[24:25]
	v_and_b32_e32 v68, 7, v68
; %bb.558:                              ;   in Loop: Header=BB329_12 Depth=1
	s_or_b32 exec_lo, exec_lo, s23
	v_mov_b32_e32 v24, 24
	v_lshl_add_u32 v53, v53, 23, 0x3c000000
	v_lshlrev_b32_sdwa v22, v24, v22 dst_sel:DWORD dst_unused:UNUSED_PAD src0_sel:DWORD src1_sel:BYTE_3
	v_lshlrev_b32_e32 v24, 20, v68
	v_and_b32_e32 v22, 0x80000000, v22
	v_or3_b32 v18, v24, v22, v53
.LBB329_559:                            ;   in Loop: Header=BB329_12 Depth=1
	s_or_b32 exec_lo, exec_lo, s22
.LBB329_560:                            ;   in Loop: Header=BB329_12 Depth=1
	s_or_b32 exec_lo, exec_lo, s21
.LBB329_561:                            ;   in Loop: Header=BB329_12 Depth=1
	s_or_b32 exec_lo, exec_lo, s20
	buffer_load_dword v22, off, s[0:3], s32 offset:224 ; 4-byte Folded Reload
	v_mov_b32_e32 v53, 0
	v_mov_b32_e32 v21, 0
	s_waitcnt vmcnt(0)
	v_add_co_u32 v68, s6, v16, v22
	v_add_co_ci_u32_e64 v69, null, 0, v20, s6
	flat_load_dword v16, v[68:69]
	s_waitcnt vmcnt(0) lgkmcnt(0)
	v_cmp_ne_u16_sdwa s6, v16, v25 src0_sel:BYTE_0 src1_sel:DWORD
	s_and_saveexec_b32 s20, s6
	s_cbranch_execz .LBB329_569
; %bb.562:                              ;   in Loop: Header=BB329_12 Depth=1
	v_cmp_ne_u16_sdwa s6, v16, v115 src0_sel:BYTE_0 src1_sel:DWORD
	v_bfrev_b32_e32 v21, 1
	s_and_saveexec_b32 s21, s6
	s_cbranch_execz .LBB329_568
; %bb.563:                              ;   in Loop: Header=BB329_12 Depth=1
	v_and_b32_e32 v22, 0x7f, v16
	v_mov_b32_e32 v21, 0x7f800001
	s_mov_b32 s22, exec_lo
	v_cmpx_ne_u32_e32 0x7f, v22
	s_cbranch_execz .LBB329_567
; %bb.564:                              ;   in Loop: Header=BB329_12 Depth=1
	v_and_b32_e32 v24, 7, v16
	v_mov_b32_e32 v69, v25
	v_lshrrev_b32_e32 v20, 3, v22
	s_mov_b32 s23, exec_lo
	v_mov_b32_e32 v68, v24
	v_cmpx_gt_u32_e32 8, v22
; %bb.565:                              ;   in Loop: Header=BB329_12 Depth=1
	v_ffbh_u32_e32 v20, v24
	v_min_u32_e32 v20, 32, v20
	v_subrev_nc_u32_e32 v22, 28, v20
	v_sub_nc_u32_e32 v20, 29, v20
	v_lshlrev_b64 v[68:69], v22, v[24:25]
	v_and_b32_e32 v68, 7, v68
; %bb.566:                              ;   in Loop: Header=BB329_12 Depth=1
	s_or_b32 exec_lo, exec_lo, s23
	v_lshlrev_b32_e32 v22, 24, v16
	v_lshlrev_b32_e32 v24, 20, v68
	v_lshl_add_u32 v20, v20, 23, 0x3c000000
	v_and_b32_e32 v22, 0x80000000, v22
	v_or3_b32 v21, v24, v22, v20
.LBB329_567:                            ;   in Loop: Header=BB329_12 Depth=1
	s_or_b32 exec_lo, exec_lo, s22
.LBB329_568:                            ;   in Loop: Header=BB329_12 Depth=1
	s_or_b32 exec_lo, exec_lo, s21
.LBB329_569:                            ;   in Loop: Header=BB329_12 Depth=1
	s_or_b32 exec_lo, exec_lo, s20
	v_cmp_ne_u16_sdwa s6, v16, v25 src0_sel:BYTE_1 src1_sel:DWORD
	s_and_saveexec_b32 s20, s6
	s_cbranch_execz .LBB329_577
; %bb.570:                              ;   in Loop: Header=BB329_12 Depth=1
	v_cmp_ne_u16_sdwa s6, v16, v115 src0_sel:BYTE_1 src1_sel:DWORD
	v_bfrev_b32_e32 v53, 1
	s_and_saveexec_b32 s21, s6
	s_cbranch_execz .LBB329_576
; %bb.571:                              ;   in Loop: Header=BB329_12 Depth=1
	v_mov_b32_e32 v20, 0xffff
	v_mov_b32_e32 v53, 0x7f800001
	s_mov_b32 s22, exec_lo
	v_and_b32_sdwa v20, v20, v16 dst_sel:DWORD dst_unused:UNUSED_PAD src0_sel:DWORD src1_sel:BYTE_1
	v_and_b32_e32 v22, 0x7f, v20
	v_cmpx_ne_u32_e32 0x7f, v22
	s_cbranch_execz .LBB329_575
; %bb.572:                              ;   in Loop: Header=BB329_12 Depth=1
	v_and_b32_e32 v24, 7, v20
	v_mov_b32_e32 v69, v25
	v_lshrrev_b32_e32 v20, 3, v22
	s_mov_b32 s23, exec_lo
	v_mov_b32_e32 v68, v24
	v_cmpx_gt_u32_e32 8, v22
; %bb.573:                              ;   in Loop: Header=BB329_12 Depth=1
	v_ffbh_u32_e32 v20, v24
	v_min_u32_e32 v20, 32, v20
	v_subrev_nc_u32_e32 v22, 28, v20
	v_sub_nc_u32_e32 v20, 29, v20
	v_lshlrev_b64 v[68:69], v22, v[24:25]
	v_and_b32_e32 v68, 7, v68
; %bb.574:                              ;   in Loop: Header=BB329_12 Depth=1
	s_or_b32 exec_lo, exec_lo, s23
	v_lshlrev_b32_e32 v22, 16, v16
	v_lshlrev_b32_e32 v24, 20, v68
	v_lshl_add_u32 v20, v20, 23, 0x3c000000
	v_and_b32_e32 v22, 0x80000000, v22
	v_or3_b32 v53, v24, v22, v20
.LBB329_575:                            ;   in Loop: Header=BB329_12 Depth=1
	s_or_b32 exec_lo, exec_lo, s22
.LBB329_576:                            ;   in Loop: Header=BB329_12 Depth=1
	s_or_b32 exec_lo, exec_lo, s21
.LBB329_577:                            ;   in Loop: Header=BB329_12 Depth=1
	s_or_b32 exec_lo, exec_lo, s20
	v_mov_b32_e32 v22, 0
	v_and_b32_sdwa v20, v16, v42 dst_sel:DWORD dst_unused:UNUSED_PAD src0_sel:WORD_1 src1_sel:DWORD
	s_mov_b32 s20, exec_lo
	buffer_store_dword v22, off, s[0:3], s32 offset:232 ; 4-byte Folded Spill
	v_mov_b32_e32 v22, 0
	buffer_store_dword v22, off, s[0:3], s32 offset:280 ; 4-byte Folded Spill
	v_cmpx_ne_u16_e32 0, v20
	s_cbranch_execz .LBB329_585
; %bb.578:                              ;   in Loop: Header=BB329_12 Depth=1
	v_cmp_ne_u16_e64 s6, 0x80, v20
	v_bfrev_b32_e32 v20, 1
	s_and_saveexec_b32 s21, s6
	s_cbranch_execz .LBB329_584
; %bb.579:                              ;   in Loop: Header=BB329_12 Depth=1
	v_bfe_u32 v68, v16, 16, 7
	v_mov_b32_e32 v20, 0x7f800001
	s_mov_b32 s22, exec_lo
	v_cmpx_ne_u32_e32 0x7f, v68
	s_cbranch_execz .LBB329_583
; %bb.580:                              ;   in Loop: Header=BB329_12 Depth=1
	v_mov_b32_e32 v20, 7
	v_cmp_gt_u32_e64 s6, 8, v68
	v_and_b32_sdwa v24, v16, v20 dst_sel:DWORD dst_unused:UNUSED_PAD src0_sel:WORD_1 src1_sel:DWORD
	v_lshrrev_b32_e32 v20, 3, v68
	v_mov_b32_e32 v69, v25
	v_mov_b32_e32 v68, v24
	s_and_saveexec_b32 s23, s6
; %bb.581:                              ;   in Loop: Header=BB329_12 Depth=1
	v_ffbh_u32_e32 v20, v24
	v_min_u32_e32 v20, 32, v20
	v_subrev_nc_u32_e32 v54, 28, v20
	v_sub_nc_u32_e32 v20, 29, v20
	v_lshlrev_b64 v[68:69], v54, v[24:25]
	v_and_b32_e32 v68, 7, v68
; %bb.582:                              ;   in Loop: Header=BB329_12 Depth=1
	s_or_b32 exec_lo, exec_lo, s23
	v_mov_b32_e32 v24, 24
	v_lshlrev_b32_e32 v54, 20, v68
	v_lshl_add_u32 v20, v20, 23, 0x3c000000
	v_lshlrev_b32_sdwa v24, v24, v16 dst_sel:DWORD dst_unused:UNUSED_PAD src0_sel:DWORD src1_sel:WORD_1
	v_and_b32_e32 v24, 0x80000000, v24
	v_or3_b32 v20, v54, v24, v20
.LBB329_583:                            ;   in Loop: Header=BB329_12 Depth=1
	s_or_b32 exec_lo, exec_lo, s22
.LBB329_584:                            ;   in Loop: Header=BB329_12 Depth=1
	s_or_b32 exec_lo, exec_lo, s21
	buffer_store_dword v20, off, s[0:3], s32 offset:280 ; 4-byte Folded Spill
.LBB329_585:                            ;   in Loop: Header=BB329_12 Depth=1
	s_or_b32 exec_lo, exec_lo, s20
	s_mov_b32 s20, exec_lo
	v_cmpx_lt_u32_e32 0xffffff, v16
	s_cbranch_execz .LBB329_593
; %bb.586:                              ;   in Loop: Header=BB329_12 Depth=1
	v_cmp_ne_u32_sdwa s6, v16, v115 src0_sel:BYTE_3 src1_sel:DWORD
	v_bfrev_b32_e32 v20, 1
	buffer_store_dword v20, off, s[0:3], s32 offset:232 ; 4-byte Folded Spill
	s_and_saveexec_b32 s21, s6
	s_cbranch_execz .LBB329_592
; %bb.587:                              ;   in Loop: Header=BB329_12 Depth=1
	v_bfe_u32 v68, v16, 24, 7
	v_mov_b32_e32 v20, 0x7f800001
	s_mov_b32 s22, exec_lo
	buffer_store_dword v20, off, s[0:3], s32 offset:232 ; 4-byte Folded Spill
	v_cmpx_ne_u32_e32 0x7f, v68
	s_cbranch_execz .LBB329_591
; %bb.588:                              ;   in Loop: Header=BB329_12 Depth=1
	v_mov_b32_e32 v20, 7
	v_cmp_gt_u32_e64 s6, 8, v68
	v_and_b32_sdwa v24, v16, v20 dst_sel:DWORD dst_unused:UNUSED_PAD src0_sel:BYTE_3 src1_sel:DWORD
	v_lshrrev_b32_e32 v20, 3, v68
	v_mov_b32_e32 v69, v25
	v_mov_b32_e32 v68, v24
	s_and_saveexec_b32 s23, s6
; %bb.589:                              ;   in Loop: Header=BB329_12 Depth=1
	v_ffbh_u32_e32 v20, v24
	v_min_u32_e32 v20, 32, v20
	v_subrev_nc_u32_e32 v22, 28, v20
	v_sub_nc_u32_e32 v20, 29, v20
	v_lshlrev_b64 v[68:69], v22, v[24:25]
	v_and_b32_e32 v68, 7, v68
; %bb.590:                              ;   in Loop: Header=BB329_12 Depth=1
	s_or_b32 exec_lo, exec_lo, s23
	v_mov_b32_e32 v22, 24
	v_lshl_add_u32 v20, v20, 23, 0x3c000000
	v_lshlrev_b32_sdwa v16, v22, v16 dst_sel:DWORD dst_unused:UNUSED_PAD src0_sel:DWORD src1_sel:BYTE_3
	v_lshlrev_b32_e32 v22, 20, v68
	v_and_b32_e32 v16, 0x80000000, v16
	v_or3_b32 v16, v22, v16, v20
	buffer_store_dword v16, off, s[0:3], s32 offset:232 ; 4-byte Folded Spill
.LBB329_591:                            ;   in Loop: Header=BB329_12 Depth=1
	s_or_b32 exec_lo, exec_lo, s22
.LBB329_592:                            ;   in Loop: Header=BB329_12 Depth=1
	s_or_b32 exec_lo, exec_lo, s21
.LBB329_593:                            ;   in Loop: Header=BB329_12 Depth=1
	s_or_b32 exec_lo, exec_lo, s20
	buffer_load_dword v16, off, s[0:3], s32 offset:196 ; 4-byte Folded Reload
	v_add_co_u32 v85, s6, 0x900, v66
	v_add_co_ci_u32_e64 v86, null, 0, v67, s6
	s_waitcnt vmcnt(0)
	v_add_co_u32 v68, s6, v85, v16
	v_add_co_ci_u32_e64 v69, null, 0, v86, s6
	v_mov_b32_e32 v16, 0
	flat_load_dword v112, v[68:69]
	buffer_store_dword v16, off, s[0:3], s32 offset:252 ; 4-byte Folded Spill
	v_mov_b32_e32 v16, 0
	buffer_store_dword v16, off, s[0:3], s32 offset:248 ; 4-byte Folded Spill
	s_waitcnt vmcnt(0) lgkmcnt(0)
	v_cmp_ne_u16_sdwa s6, v112, v25 src0_sel:BYTE_0 src1_sel:DWORD
	s_and_saveexec_b32 s20, s6
	s_cbranch_execz .LBB329_601
; %bb.594:                              ;   in Loop: Header=BB329_12 Depth=1
	v_cmp_ne_u16_sdwa s6, v112, v115 src0_sel:BYTE_0 src1_sel:DWORD
	v_bfrev_b32_e32 v16, 1
	buffer_store_dword v16, off, s[0:3], s32 offset:248 ; 4-byte Folded Spill
	s_and_saveexec_b32 s21, s6
	s_cbranch_execz .LBB329_600
; %bb.595:                              ;   in Loop: Header=BB329_12 Depth=1
	v_and_b32_e32 v68, 0x7f, v112
	v_mov_b32_e32 v16, 0x7f800001
	s_mov_b32 s22, exec_lo
	buffer_store_dword v16, off, s[0:3], s32 offset:248 ; 4-byte Folded Spill
	v_cmpx_ne_u32_e32 0x7f, v68
	s_cbranch_execz .LBB329_599
; %bb.596:                              ;   in Loop: Header=BB329_12 Depth=1
	v_and_b32_e32 v24, 7, v112
	v_lshrrev_b32_e32 v20, 3, v68
	v_cmp_gt_u32_e64 s6, 8, v68
	v_mov_b32_e32 v69, v25
	v_mov_b32_e32 v68, v24
	s_and_saveexec_b32 s23, s6
; %bb.597:                              ;   in Loop: Header=BB329_12 Depth=1
	v_ffbh_u32_e32 v20, v24
	v_min_u32_e32 v20, 32, v20
	v_subrev_nc_u32_e32 v68, 28, v20
	v_sub_nc_u32_e32 v20, 29, v20
	v_lshlrev_b64 v[68:69], v68, v[24:25]
	v_and_b32_e32 v68, 7, v68
; %bb.598:                              ;   in Loop: Header=BB329_12 Depth=1
	s_or_b32 exec_lo, exec_lo, s23
	v_lshlrev_b32_e32 v24, 24, v112
	v_lshlrev_b32_e32 v68, 20, v68
	v_lshl_add_u32 v20, v20, 23, 0x3c000000
	v_and_b32_e32 v24, 0x80000000, v24
	v_or3_b32 v16, v68, v24, v20
	buffer_store_dword v16, off, s[0:3], s32 offset:248 ; 4-byte Folded Spill
.LBB329_599:                            ;   in Loop: Header=BB329_12 Depth=1
	s_or_b32 exec_lo, exec_lo, s22
.LBB329_600:                            ;   in Loop: Header=BB329_12 Depth=1
	s_or_b32 exec_lo, exec_lo, s21
.LBB329_601:                            ;   in Loop: Header=BB329_12 Depth=1
	s_or_b32 exec_lo, exec_lo, s20
	v_cmp_ne_u16_sdwa s6, v112, v25 src0_sel:BYTE_1 src1_sel:DWORD
	s_and_saveexec_b32 s20, s6
	s_cbranch_execz .LBB329_609
; %bb.602:                              ;   in Loop: Header=BB329_12 Depth=1
	v_cmp_ne_u16_sdwa s6, v112, v115 src0_sel:BYTE_1 src1_sel:DWORD
	v_bfrev_b32_e32 v16, 1
	buffer_store_dword v16, off, s[0:3], s32 offset:252 ; 4-byte Folded Spill
	s_and_saveexec_b32 s21, s6
	s_cbranch_execz .LBB329_608
; %bb.603:                              ;   in Loop: Header=BB329_12 Depth=1
	v_mov_b32_e32 v16, 0xffff
	s_mov_b32 s22, exec_lo
	v_and_b32_sdwa v24, v16, v112 dst_sel:DWORD dst_unused:UNUSED_PAD src0_sel:DWORD src1_sel:BYTE_1
	v_mov_b32_e32 v16, 0x7f800001
	v_and_b32_e32 v68, 0x7f, v24
	buffer_store_dword v16, off, s[0:3], s32 offset:252 ; 4-byte Folded Spill
	v_cmpx_ne_u32_e32 0x7f, v68
	s_cbranch_execz .LBB329_607
; %bb.604:                              ;   in Loop: Header=BB329_12 Depth=1
	v_and_b32_e32 v24, 7, v24
	v_lshrrev_b32_e32 v16, 3, v68
	v_cmp_gt_u32_e64 s6, 8, v68
	v_mov_b32_e32 v69, v25
	v_mov_b32_e32 v68, v24
	s_and_saveexec_b32 s23, s6
; %bb.605:                              ;   in Loop: Header=BB329_12 Depth=1
	v_ffbh_u32_e32 v16, v24
	v_min_u32_e32 v16, 32, v16
	v_subrev_nc_u32_e32 v68, 28, v16
	v_sub_nc_u32_e32 v16, 29, v16
	v_lshlrev_b64 v[68:69], v68, v[24:25]
	v_and_b32_e32 v68, 7, v68
; %bb.606:                              ;   in Loop: Header=BB329_12 Depth=1
	s_or_b32 exec_lo, exec_lo, s23
	v_lshlrev_b32_e32 v24, 16, v112
	v_lshlrev_b32_e32 v68, 20, v68
	v_lshl_add_u32 v16, v16, 23, 0x3c000000
	v_and_b32_e32 v24, 0x80000000, v24
	v_or3_b32 v16, v68, v24, v16
	buffer_store_dword v16, off, s[0:3], s32 offset:252 ; 4-byte Folded Spill
.LBB329_607:                            ;   in Loop: Header=BB329_12 Depth=1
	s_or_b32 exec_lo, exec_lo, s22
.LBB329_608:                            ;   in Loop: Header=BB329_12 Depth=1
	s_or_b32 exec_lo, exec_lo, s21
.LBB329_609:                            ;   in Loop: Header=BB329_12 Depth=1
	s_or_b32 exec_lo, exec_lo, s20
	v_mov_b32_e32 v16, 0
	v_and_b32_sdwa v24, v112, v42 dst_sel:DWORD dst_unused:UNUSED_PAD src0_sel:WORD_1 src1_sel:DWORD
	s_mov_b32 s20, exec_lo
	buffer_store_dword v16, off, s[0:3], s32 offset:260 ; 4-byte Folded Spill
	v_mov_b32_e32 v16, 0
	buffer_store_dword v16, off, s[0:3], s32 offset:296 ; 4-byte Folded Spill
	v_cmpx_ne_u16_e32 0, v24
	s_cbranch_execz .LBB329_617
; %bb.610:                              ;   in Loop: Header=BB329_12 Depth=1
	v_bfrev_b32_e32 v16, 1
	s_mov_b32 s21, exec_lo
	v_cmpx_ne_u16_e32 0x80, v24
	s_cbranch_execz .LBB329_616
; %bb.611:                              ;   in Loop: Header=BB329_12 Depth=1
	v_bfe_u32 v68, v112, 16, 7
	v_mov_b32_e32 v16, 0x7f800001
	s_mov_b32 s22, exec_lo
	v_cmpx_ne_u32_e32 0x7f, v68
	s_cbranch_execz .LBB329_615
; %bb.612:                              ;   in Loop: Header=BB329_12 Depth=1
	v_mov_b32_e32 v24, 7
	v_lshrrev_b32_e32 v117, 3, v68
	v_cmp_gt_u32_e64 s6, 8, v68
	v_and_b32_sdwa v24, v112, v24 dst_sel:DWORD dst_unused:UNUSED_PAD src0_sel:WORD_1 src1_sel:DWORD
	v_mov_b32_e32 v69, v25
	v_mov_b32_e32 v68, v24
	s_and_saveexec_b32 s23, s6
; %bb.613:                              ;   in Loop: Header=BB329_12 Depth=1
	v_ffbh_u32_e32 v68, v24
	v_min_u32_e32 v117, 32, v68
	v_subrev_nc_u32_e32 v68, 28, v117
	v_sub_nc_u32_e32 v117, 29, v117
	v_lshlrev_b64 v[68:69], v68, v[24:25]
	v_and_b32_e32 v68, 7, v68
; %bb.614:                              ;   in Loop: Header=BB329_12 Depth=1
	s_or_b32 exec_lo, exec_lo, s23
	v_mov_b32_e32 v24, 24
	v_lshlrev_b32_e32 v68, 20, v68
	v_lshl_add_u32 v69, v117, 23, 0x3c000000
	v_lshlrev_b32_sdwa v24, v24, v112 dst_sel:DWORD dst_unused:UNUSED_PAD src0_sel:DWORD src1_sel:WORD_1
	v_and_b32_e32 v24, 0x80000000, v24
	v_or3_b32 v16, v68, v24, v69
.LBB329_615:                            ;   in Loop: Header=BB329_12 Depth=1
	s_or_b32 exec_lo, exec_lo, s22
.LBB329_616:                            ;   in Loop: Header=BB329_12 Depth=1
	s_or_b32 exec_lo, exec_lo, s21
	buffer_store_dword v16, off, s[0:3], s32 offset:296 ; 4-byte Folded Spill
.LBB329_617:                            ;   in Loop: Header=BB329_12 Depth=1
	s_or_b32 exec_lo, exec_lo, s20
	s_mov_b32 s20, exec_lo
	v_cmpx_lt_u32_e32 0xffffff, v112
	s_cbranch_execz .LBB329_625
; %bb.618:                              ;   in Loop: Header=BB329_12 Depth=1
	v_cmp_ne_u32_sdwa s6, v112, v115 src0_sel:BYTE_3 src1_sel:DWORD
	v_bfrev_b32_e32 v16, 1
	buffer_store_dword v16, off, s[0:3], s32 offset:260 ; 4-byte Folded Spill
	s_and_saveexec_b32 s21, s6
	s_cbranch_execz .LBB329_624
; %bb.619:                              ;   in Loop: Header=BB329_12 Depth=1
	v_bfe_u32 v68, v112, 24, 7
	v_mov_b32_e32 v16, 0x7f800001
	s_mov_b32 s22, exec_lo
	buffer_store_dword v16, off, s[0:3], s32 offset:260 ; 4-byte Folded Spill
	v_cmpx_ne_u32_e32 0x7f, v68
	s_cbranch_execz .LBB329_623
; %bb.620:                              ;   in Loop: Header=BB329_12 Depth=1
	v_mov_b32_e32 v24, 7
	v_lshrrev_b32_e32 v116, 3, v68
	v_cmp_gt_u32_e64 s6, 8, v68
	v_and_b32_sdwa v24, v112, v24 dst_sel:DWORD dst_unused:UNUSED_PAD src0_sel:BYTE_3 src1_sel:DWORD
	v_mov_b32_e32 v69, v25
	v_mov_b32_e32 v68, v24
	s_and_saveexec_b32 s23, s6
; %bb.621:                              ;   in Loop: Header=BB329_12 Depth=1
	v_ffbh_u32_e32 v68, v24
	v_min_u32_e32 v116, 32, v68
	v_subrev_nc_u32_e32 v68, 28, v116
	v_sub_nc_u32_e32 v116, 29, v116
	v_lshlrev_b64 v[68:69], v68, v[24:25]
	v_and_b32_e32 v68, 7, v68
; %bb.622:                              ;   in Loop: Header=BB329_12 Depth=1
	s_or_b32 exec_lo, exec_lo, s23
	v_mov_b32_e32 v24, 24
	v_lshlrev_b32_e32 v68, 20, v68
	v_lshl_add_u32 v69, v116, 23, 0x3c000000
	v_lshlrev_b32_sdwa v24, v24, v112 dst_sel:DWORD dst_unused:UNUSED_PAD src0_sel:DWORD src1_sel:BYTE_3
	v_and_b32_e32 v24, 0x80000000, v24
	v_or3_b32 v16, v68, v24, v69
	buffer_store_dword v16, off, s[0:3], s32 offset:260 ; 4-byte Folded Spill
.LBB329_623:                            ;   in Loop: Header=BB329_12 Depth=1
	s_or_b32 exec_lo, exec_lo, s22
.LBB329_624:                            ;   in Loop: Header=BB329_12 Depth=1
	s_or_b32 exec_lo, exec_lo, s21
.LBB329_625:                            ;   in Loop: Header=BB329_12 Depth=1
	s_or_b32 exec_lo, exec_lo, s20
	buffer_load_dword v24, off, s[0:3], s32 offset:224 ; 4-byte Folded Reload
	v_mov_b32_e32 v16, 0
	buffer_store_dword v16, off, s[0:3], s32 offset:268 ; 4-byte Folded Spill
	v_mov_b32_e32 v16, 0
	buffer_store_dword v16, off, s[0:3], s32 offset:264 ; 4-byte Folded Spill
	s_waitcnt vmcnt(0)
	v_add_co_u32 v68, s6, v85, v24
	v_add_co_ci_u32_e64 v69, null, 0, v86, s6
	flat_load_dword v85, v[68:69]
	s_waitcnt vmcnt(0) lgkmcnt(0)
	v_cmp_ne_u16_sdwa s6, v85, v25 src0_sel:BYTE_0 src1_sel:DWORD
	s_and_saveexec_b32 s20, s6
	s_cbranch_execz .LBB329_633
; %bb.626:                              ;   in Loop: Header=BB329_12 Depth=1
	v_cmp_ne_u16_sdwa s6, v85, v115 src0_sel:BYTE_0 src1_sel:DWORD
	v_bfrev_b32_e32 v16, 1
	buffer_store_dword v16, off, s[0:3], s32 offset:264 ; 4-byte Folded Spill
	s_and_saveexec_b32 s21, s6
	s_cbranch_execz .LBB329_632
; %bb.627:                              ;   in Loop: Header=BB329_12 Depth=1
	v_and_b32_e32 v68, 0x7f, v85
	v_mov_b32_e32 v16, 0x7f800001
	s_mov_b32 s22, exec_lo
	buffer_store_dword v16, off, s[0:3], s32 offset:264 ; 4-byte Folded Spill
	v_cmpx_ne_u32_e32 0x7f, v68
	s_cbranch_execz .LBB329_631
; %bb.628:                              ;   in Loop: Header=BB329_12 Depth=1
	v_and_b32_e32 v24, 7, v85
	v_lshrrev_b32_e32 v112, 3, v68
	v_cmp_gt_u32_e64 s6, 8, v68
	v_mov_b32_e32 v69, v25
	v_mov_b32_e32 v68, v24
	s_and_saveexec_b32 s23, s6
; %bb.629:                              ;   in Loop: Header=BB329_12 Depth=1
	v_ffbh_u32_e32 v68, v24
	v_min_u32_e32 v112, 32, v68
	v_subrev_nc_u32_e32 v68, 28, v112
	v_sub_nc_u32_e32 v112, 29, v112
	v_lshlrev_b64 v[68:69], v68, v[24:25]
	v_and_b32_e32 v68, 7, v68
; %bb.630:                              ;   in Loop: Header=BB329_12 Depth=1
	s_or_b32 exec_lo, exec_lo, s23
	v_lshlrev_b32_e32 v24, 24, v85
	v_lshlrev_b32_e32 v68, 20, v68
	v_lshl_add_u32 v69, v112, 23, 0x3c000000
	v_and_b32_e32 v24, 0x80000000, v24
	v_or3_b32 v16, v68, v24, v69
	buffer_store_dword v16, off, s[0:3], s32 offset:264 ; 4-byte Folded Spill
.LBB329_631:                            ;   in Loop: Header=BB329_12 Depth=1
	s_or_b32 exec_lo, exec_lo, s22
.LBB329_632:                            ;   in Loop: Header=BB329_12 Depth=1
	s_or_b32 exec_lo, exec_lo, s21
.LBB329_633:                            ;   in Loop: Header=BB329_12 Depth=1
	s_or_b32 exec_lo, exec_lo, s20
	v_cmp_ne_u16_sdwa s6, v85, v25 src0_sel:BYTE_1 src1_sel:DWORD
	s_and_saveexec_b32 s20, s6
	s_cbranch_execz .LBB329_641
; %bb.634:                              ;   in Loop: Header=BB329_12 Depth=1
	v_cmp_ne_u16_sdwa s6, v85, v115 src0_sel:BYTE_1 src1_sel:DWORD
	v_bfrev_b32_e32 v16, 1
	buffer_store_dword v16, off, s[0:3], s32 offset:268 ; 4-byte Folded Spill
	s_and_saveexec_b32 s21, s6
	s_cbranch_execz .LBB329_640
; %bb.635:                              ;   in Loop: Header=BB329_12 Depth=1
	v_mov_b32_e32 v24, 0xffff
	v_mov_b32_e32 v16, 0x7f800001
	s_mov_b32 s22, exec_lo
	v_and_b32_sdwa v24, v24, v85 dst_sel:DWORD dst_unused:UNUSED_PAD src0_sel:DWORD src1_sel:BYTE_1
	buffer_store_dword v16, off, s[0:3], s32 offset:268 ; 4-byte Folded Spill
	v_and_b32_e32 v68, 0x7f, v24
	v_cmpx_ne_u32_e32 0x7f, v68
	s_cbranch_execz .LBB329_639
; %bb.636:                              ;   in Loop: Header=BB329_12 Depth=1
	v_and_b32_e32 v24, 7, v24
	v_lshrrev_b32_e32 v86, 3, v68
	v_cmp_gt_u32_e64 s6, 8, v68
	v_mov_b32_e32 v69, v25
	v_mov_b32_e32 v68, v24
	s_and_saveexec_b32 s23, s6
; %bb.637:                              ;   in Loop: Header=BB329_12 Depth=1
	v_ffbh_u32_e32 v68, v24
	v_min_u32_e32 v86, 32, v68
	v_subrev_nc_u32_e32 v68, 28, v86
	v_sub_nc_u32_e32 v86, 29, v86
	v_lshlrev_b64 v[68:69], v68, v[24:25]
	v_and_b32_e32 v68, 7, v68
; %bb.638:                              ;   in Loop: Header=BB329_12 Depth=1
	s_or_b32 exec_lo, exec_lo, s23
	v_lshlrev_b32_e32 v24, 16, v85
	v_lshlrev_b32_e32 v68, 20, v68
	v_lshl_add_u32 v69, v86, 23, 0x3c000000
	v_and_b32_e32 v24, 0x80000000, v24
	v_or3_b32 v16, v68, v24, v69
	buffer_store_dword v16, off, s[0:3], s32 offset:268 ; 4-byte Folded Spill
.LBB329_639:                            ;   in Loop: Header=BB329_12 Depth=1
	s_or_b32 exec_lo, exec_lo, s22
.LBB329_640:                            ;   in Loop: Header=BB329_12 Depth=1
	s_or_b32 exec_lo, exec_lo, s21
.LBB329_641:                            ;   in Loop: Header=BB329_12 Depth=1
	s_or_b32 exec_lo, exec_lo, s20
	v_mov_b32_e32 v16, 0
	v_and_b32_sdwa v24, v85, v42 dst_sel:DWORD dst_unused:UNUSED_PAD src0_sel:WORD_1 src1_sel:DWORD
	s_mov_b32 s20, exec_lo
	buffer_store_dword v16, off, s[0:3], s32 offset:272 ; 4-byte Folded Spill
	v_mov_b32_e32 v16, 0
	buffer_store_dword v16, off, s[0:3], s32 offset:300 ; 4-byte Folded Spill
	v_cmpx_ne_u16_e32 0, v24
	s_cbranch_execz .LBB329_649
; %bb.642:                              ;   in Loop: Header=BB329_12 Depth=1
	v_bfrev_b32_e32 v16, 1
	s_mov_b32 s21, exec_lo
	v_cmpx_ne_u16_e32 0x80, v24
	s_cbranch_execz .LBB329_648
; %bb.643:                              ;   in Loop: Header=BB329_12 Depth=1
	v_bfe_u32 v68, v85, 16, 7
	v_mov_b32_e32 v16, 0x7f800001
	s_mov_b32 s22, exec_lo
	v_cmpx_ne_u32_e32 0x7f, v68
	s_cbranch_execz .LBB329_647
; %bb.644:                              ;   in Loop: Header=BB329_12 Depth=1
	v_mov_b32_e32 v24, 7
	v_lshrrev_b32_e32 v112, 3, v68
	v_cmp_gt_u32_e64 s6, 8, v68
	v_and_b32_sdwa v24, v85, v24 dst_sel:DWORD dst_unused:UNUSED_PAD src0_sel:WORD_1 src1_sel:DWORD
	v_mov_b32_e32 v69, v25
	v_mov_b32_e32 v68, v24
	s_and_saveexec_b32 s23, s6
; %bb.645:                              ;   in Loop: Header=BB329_12 Depth=1
	v_ffbh_u32_e32 v68, v24
	v_min_u32_e32 v112, 32, v68
	v_subrev_nc_u32_e32 v68, 28, v112
	v_sub_nc_u32_e32 v112, 29, v112
	v_lshlrev_b64 v[68:69], v68, v[24:25]
	v_and_b32_e32 v68, 7, v68
; %bb.646:                              ;   in Loop: Header=BB329_12 Depth=1
	s_or_b32 exec_lo, exec_lo, s23
	v_mov_b32_e32 v24, 24
	v_lshlrev_b32_e32 v68, 20, v68
	v_lshl_add_u32 v69, v112, 23, 0x3c000000
	v_lshlrev_b32_sdwa v24, v24, v85 dst_sel:DWORD dst_unused:UNUSED_PAD src0_sel:DWORD src1_sel:WORD_1
	v_and_b32_e32 v24, 0x80000000, v24
	v_or3_b32 v16, v68, v24, v69
.LBB329_647:                            ;   in Loop: Header=BB329_12 Depth=1
	s_or_b32 exec_lo, exec_lo, s22
.LBB329_648:                            ;   in Loop: Header=BB329_12 Depth=1
	s_or_b32 exec_lo, exec_lo, s21
	buffer_store_dword v16, off, s[0:3], s32 offset:300 ; 4-byte Folded Spill
.LBB329_649:                            ;   in Loop: Header=BB329_12 Depth=1
	s_or_b32 exec_lo, exec_lo, s20
	s_mov_b32 s20, exec_lo
	v_cmpx_lt_u32_e32 0xffffff, v85
	s_cbranch_execz .LBB329_657
; %bb.650:                              ;   in Loop: Header=BB329_12 Depth=1
	v_cmp_ne_u32_sdwa s6, v85, v115 src0_sel:BYTE_3 src1_sel:DWORD
	v_bfrev_b32_e32 v16, 1
	buffer_store_dword v16, off, s[0:3], s32 offset:272 ; 4-byte Folded Spill
	s_and_saveexec_b32 s21, s6
	s_cbranch_execz .LBB329_656
; %bb.651:                              ;   in Loop: Header=BB329_12 Depth=1
	v_bfe_u32 v68, v85, 24, 7
	v_mov_b32_e32 v16, 0x7f800001
	s_mov_b32 s22, exec_lo
	buffer_store_dword v16, off, s[0:3], s32 offset:272 ; 4-byte Folded Spill
	v_cmpx_ne_u32_e32 0x7f, v68
	s_cbranch_execz .LBB329_655
; %bb.652:                              ;   in Loop: Header=BB329_12 Depth=1
	v_mov_b32_e32 v24, 7
	v_lshrrev_b32_e32 v117, 3, v68
	v_cmp_gt_u32_e64 s6, 8, v68
	v_and_b32_sdwa v24, v85, v24 dst_sel:DWORD dst_unused:UNUSED_PAD src0_sel:BYTE_3 src1_sel:DWORD
	v_mov_b32_e32 v69, v25
	v_mov_b32_e32 v68, v24
	s_and_saveexec_b32 s23, s6
; %bb.653:                              ;   in Loop: Header=BB329_12 Depth=1
	v_ffbh_u32_e32 v68, v24
	v_min_u32_e32 v117, 32, v68
	v_subrev_nc_u32_e32 v68, 28, v117
	v_sub_nc_u32_e32 v117, 29, v117
	v_lshlrev_b64 v[68:69], v68, v[24:25]
	v_and_b32_e32 v68, 7, v68
; %bb.654:                              ;   in Loop: Header=BB329_12 Depth=1
	s_or_b32 exec_lo, exec_lo, s23
	v_mov_b32_e32 v24, 24
	v_lshlrev_b32_e32 v68, 20, v68
	v_lshl_add_u32 v69, v117, 23, 0x3c000000
	v_lshlrev_b32_sdwa v24, v24, v85 dst_sel:DWORD dst_unused:UNUSED_PAD src0_sel:DWORD src1_sel:BYTE_3
	v_and_b32_e32 v24, 0x80000000, v24
	v_or3_b32 v16, v68, v24, v69
	buffer_store_dword v16, off, s[0:3], s32 offset:272 ; 4-byte Folded Spill
.LBB329_655:                            ;   in Loop: Header=BB329_12 Depth=1
	s_or_b32 exec_lo, exec_lo, s22
.LBB329_656:                            ;   in Loop: Header=BB329_12 Depth=1
	s_or_b32 exec_lo, exec_lo, s21
.LBB329_657:                            ;   in Loop: Header=BB329_12 Depth=1
	s_or_b32 exec_lo, exec_lo, s20
	buffer_load_dword v24, off, s[0:3], s32 offset:196 ; 4-byte Folded Reload
	v_add_co_u32 v47, s6, 0xa00, v66
	v_add_co_ci_u32_e64 v57, null, 0, v67, s6
	v_mov_b32_e32 v43, 0
	v_mov_b32_e32 v117, 0
	s_waitcnt vmcnt(0)
	v_add_co_u32 v68, s6, v47, v24
	v_add_co_ci_u32_e64 v69, null, 0, v57, s6
	flat_load_dword v58, v[68:69]
	s_waitcnt vmcnt(0) lgkmcnt(0)
	v_cmp_ne_u16_sdwa s6, v58, v25 src0_sel:BYTE_0 src1_sel:DWORD
	s_and_saveexec_b32 s20, s6
	s_cbranch_execz .LBB329_665
; %bb.658:                              ;   in Loop: Header=BB329_12 Depth=1
	v_cmp_ne_u16_sdwa s6, v58, v115 src0_sel:BYTE_0 src1_sel:DWORD
	v_bfrev_b32_e32 v117, 1
	s_and_saveexec_b32 s21, s6
	s_cbranch_execz .LBB329_664
; %bb.659:                              ;   in Loop: Header=BB329_12 Depth=1
	v_and_b32_e32 v68, 0x7f, v58
	v_mov_b32_e32 v117, 0x7f800001
	s_mov_b32 s22, exec_lo
	v_cmpx_ne_u32_e32 0x7f, v68
	s_cbranch_execz .LBB329_663
; %bb.660:                              ;   in Loop: Header=BB329_12 Depth=1
	v_and_b32_e32 v24, 7, v58
	v_lshrrev_b32_e32 v85, 3, v68
	v_cmp_gt_u32_e64 s6, 8, v68
	v_mov_b32_e32 v69, v25
	v_mov_b32_e32 v68, v24
	s_and_saveexec_b32 s23, s6
; %bb.661:                              ;   in Loop: Header=BB329_12 Depth=1
	v_ffbh_u32_e32 v68, v24
	v_min_u32_e32 v85, 32, v68
	v_subrev_nc_u32_e32 v68, 28, v85
	v_sub_nc_u32_e32 v85, 29, v85
	v_lshlrev_b64 v[68:69], v68, v[24:25]
	v_and_b32_e32 v68, 7, v68
; %bb.662:                              ;   in Loop: Header=BB329_12 Depth=1
	s_or_b32 exec_lo, exec_lo, s23
	v_lshlrev_b32_e32 v24, 24, v58
	v_lshlrev_b32_e32 v68, 20, v68
	v_lshl_add_u32 v69, v85, 23, 0x3c000000
	v_and_b32_e32 v24, 0x80000000, v24
	v_or3_b32 v117, v68, v24, v69
.LBB329_663:                            ;   in Loop: Header=BB329_12 Depth=1
	s_or_b32 exec_lo, exec_lo, s22
.LBB329_664:                            ;   in Loop: Header=BB329_12 Depth=1
	s_or_b32 exec_lo, exec_lo, s21
.LBB329_665:                            ;   in Loop: Header=BB329_12 Depth=1
	s_or_b32 exec_lo, exec_lo, s20
	v_cmp_ne_u16_sdwa s6, v58, v25 src0_sel:BYTE_1 src1_sel:DWORD
	s_and_saveexec_b32 s20, s6
	s_cbranch_execz .LBB329_673
; %bb.666:                              ;   in Loop: Header=BB329_12 Depth=1
	v_cmp_ne_u16_sdwa s6, v58, v115 src0_sel:BYTE_1 src1_sel:DWORD
	v_bfrev_b32_e32 v43, 1
	s_and_saveexec_b32 s21, s6
	s_cbranch_execz .LBB329_672
; %bb.667:                              ;   in Loop: Header=BB329_12 Depth=1
	v_mov_b32_e32 v24, 0xffff
	v_mov_b32_e32 v43, 0x7f800001
	s_mov_b32 s22, exec_lo
	v_and_b32_sdwa v24, v24, v58 dst_sel:DWORD dst_unused:UNUSED_PAD src0_sel:DWORD src1_sel:BYTE_1
	v_and_b32_e32 v68, 0x7f, v24
	v_cmpx_ne_u32_e32 0x7f, v68
	s_cbranch_execz .LBB329_671
; %bb.668:                              ;   in Loop: Header=BB329_12 Depth=1
	v_and_b32_e32 v24, 7, v24
	v_lshrrev_b32_e32 v85, 3, v68
	v_cmp_gt_u32_e64 s6, 8, v68
	v_mov_b32_e32 v69, v25
	v_mov_b32_e32 v68, v24
	s_and_saveexec_b32 s23, s6
; %bb.669:                              ;   in Loop: Header=BB329_12 Depth=1
	v_ffbh_u32_e32 v68, v24
	v_min_u32_e32 v85, 32, v68
	v_subrev_nc_u32_e32 v68, 28, v85
	v_sub_nc_u32_e32 v85, 29, v85
	v_lshlrev_b64 v[68:69], v68, v[24:25]
	v_and_b32_e32 v68, 7, v68
; %bb.670:                              ;   in Loop: Header=BB329_12 Depth=1
	s_or_b32 exec_lo, exec_lo, s23
	v_lshlrev_b32_e32 v24, 16, v58
	v_lshlrev_b32_e32 v68, 20, v68
	v_lshl_add_u32 v69, v85, 23, 0x3c000000
	v_and_b32_e32 v24, 0x80000000, v24
	v_or3_b32 v43, v68, v24, v69
.LBB329_671:                            ;   in Loop: Header=BB329_12 Depth=1
	s_or_b32 exec_lo, exec_lo, s22
.LBB329_672:                            ;   in Loop: Header=BB329_12 Depth=1
	s_or_b32 exec_lo, exec_lo, s21
.LBB329_673:                            ;   in Loop: Header=BB329_12 Depth=1
	s_or_b32 exec_lo, exec_lo, s20
	v_and_b32_sdwa v24, v58, v42 dst_sel:DWORD dst_unused:UNUSED_PAD src0_sel:WORD_1 src1_sel:DWORD
	v_mov_b32_e32 v44, 0
	v_mov_b32_e32 v85, 0
	s_mov_b32 s20, exec_lo
	v_cmpx_ne_u16_e32 0, v24
	s_cbranch_execz .LBB329_681
; %bb.674:                              ;   in Loop: Header=BB329_12 Depth=1
	v_bfrev_b32_e32 v85, 1
	s_mov_b32 s21, exec_lo
	v_cmpx_ne_u16_e32 0x80, v24
	s_cbranch_execz .LBB329_680
; %bb.675:                              ;   in Loop: Header=BB329_12 Depth=1
	v_bfe_u32 v68, v58, 16, 7
	v_mov_b32_e32 v85, 0x7f800001
	s_mov_b32 s22, exec_lo
	v_cmpx_ne_u32_e32 0x7f, v68
	s_cbranch_execz .LBB329_679
; %bb.676:                              ;   in Loop: Header=BB329_12 Depth=1
	v_mov_b32_e32 v24, 7
	v_lshrrev_b32_e32 v85, 3, v68
	v_cmp_gt_u32_e64 s6, 8, v68
	v_and_b32_sdwa v24, v58, v24 dst_sel:DWORD dst_unused:UNUSED_PAD src0_sel:WORD_1 src1_sel:DWORD
	v_mov_b32_e32 v69, v25
	v_mov_b32_e32 v68, v24
	s_and_saveexec_b32 s23, s6
; %bb.677:                              ;   in Loop: Header=BB329_12 Depth=1
	v_ffbh_u32_e32 v68, v24
	v_min_u32_e32 v85, 32, v68
	v_subrev_nc_u32_e32 v68, 28, v85
	v_sub_nc_u32_e32 v85, 29, v85
	v_lshlrev_b64 v[68:69], v68, v[24:25]
	v_and_b32_e32 v68, 7, v68
; %bb.678:                              ;   in Loop: Header=BB329_12 Depth=1
	s_or_b32 exec_lo, exec_lo, s23
	v_mov_b32_e32 v24, 24
	v_lshlrev_b32_e32 v68, 20, v68
	v_lshl_add_u32 v69, v85, 23, 0x3c000000
	v_lshlrev_b32_sdwa v24, v24, v58 dst_sel:DWORD dst_unused:UNUSED_PAD src0_sel:DWORD src1_sel:WORD_1
	v_and_b32_e32 v24, 0x80000000, v24
	v_or3_b32 v85, v68, v24, v69
.LBB329_679:                            ;   in Loop: Header=BB329_12 Depth=1
	s_or_b32 exec_lo, exec_lo, s22
.LBB329_680:                            ;   in Loop: Header=BB329_12 Depth=1
	s_or_b32 exec_lo, exec_lo, s21
.LBB329_681:                            ;   in Loop: Header=BB329_12 Depth=1
	s_or_b32 exec_lo, exec_lo, s20
	s_mov_b32 s20, exec_lo
	v_cmpx_lt_u32_e32 0xffffff, v58
	s_cbranch_execz .LBB329_689
; %bb.682:                              ;   in Loop: Header=BB329_12 Depth=1
	v_cmp_ne_u32_sdwa s6, v58, v115 src0_sel:BYTE_3 src1_sel:DWORD
	v_bfrev_b32_e32 v44, 1
	s_and_saveexec_b32 s21, s6
	s_cbranch_execz .LBB329_688
; %bb.683:                              ;   in Loop: Header=BB329_12 Depth=1
	v_bfe_u32 v68, v58, 24, 7
	v_mov_b32_e32 v44, 0x7f800001
	s_mov_b32 s22, exec_lo
	v_cmpx_ne_u32_e32 0x7f, v68
	s_cbranch_execz .LBB329_687
; %bb.684:                              ;   in Loop: Header=BB329_12 Depth=1
	v_mov_b32_e32 v24, 7
	v_lshrrev_b32_e32 v44, 3, v68
	v_cmp_gt_u32_e64 s6, 8, v68
	v_and_b32_sdwa v24, v58, v24 dst_sel:DWORD dst_unused:UNUSED_PAD src0_sel:BYTE_3 src1_sel:DWORD
	v_mov_b32_e32 v69, v25
	v_mov_b32_e32 v68, v24
	s_and_saveexec_b32 s23, s6
; %bb.685:                              ;   in Loop: Header=BB329_12 Depth=1
	v_ffbh_u32_e32 v68, v24
	v_min_u32_e32 v44, 32, v68
	v_subrev_nc_u32_e32 v68, 28, v44
	v_sub_nc_u32_e32 v44, 29, v44
	v_lshlrev_b64 v[68:69], v68, v[24:25]
	v_and_b32_e32 v68, 7, v68
; %bb.686:                              ;   in Loop: Header=BB329_12 Depth=1
	s_or_b32 exec_lo, exec_lo, s23
	v_mov_b32_e32 v24, 24
	v_lshlrev_b32_e32 v68, 20, v68
	v_lshl_add_u32 v69, v44, 23, 0x3c000000
	v_lshlrev_b32_sdwa v24, v24, v58 dst_sel:DWORD dst_unused:UNUSED_PAD src0_sel:DWORD src1_sel:BYTE_3
	v_and_b32_e32 v24, 0x80000000, v24
	v_or3_b32 v44, v68, v24, v69
.LBB329_687:                            ;   in Loop: Header=BB329_12 Depth=1
	s_or_b32 exec_lo, exec_lo, s22
.LBB329_688:                            ;   in Loop: Header=BB329_12 Depth=1
	s_or_b32 exec_lo, exec_lo, s21
.LBB329_689:                            ;   in Loop: Header=BB329_12 Depth=1
	s_or_b32 exec_lo, exec_lo, s20
	buffer_load_dword v24, off, s[0:3], s32 offset:224 ; 4-byte Folded Reload
	s_waitcnt vmcnt(0)
	v_add_co_u32 v68, s6, v47, v24
	v_add_co_ci_u32_e64 v69, null, 0, v57, s6
	v_mov_b32_e32 v57, 0
	v_mov_b32_e32 v47, 0
	flat_load_dword v60, v[68:69]
	s_waitcnt vmcnt(0) lgkmcnt(0)
	v_cmp_ne_u16_sdwa s6, v60, v25 src0_sel:BYTE_0 src1_sel:DWORD
	s_and_saveexec_b32 s20, s6
	s_cbranch_execz .LBB329_697
; %bb.690:                              ;   in Loop: Header=BB329_12 Depth=1
	v_cmp_ne_u16_sdwa s6, v60, v115 src0_sel:BYTE_0 src1_sel:DWORD
	v_bfrev_b32_e32 v47, 1
	s_and_saveexec_b32 s21, s6
	s_cbranch_execz .LBB329_696
; %bb.691:                              ;   in Loop: Header=BB329_12 Depth=1
	v_and_b32_e32 v68, 0x7f, v60
	v_mov_b32_e32 v47, 0x7f800001
	s_mov_b32 s22, exec_lo
	v_cmpx_ne_u32_e32 0x7f, v68
	s_cbranch_execz .LBB329_695
; %bb.692:                              ;   in Loop: Header=BB329_12 Depth=1
	v_and_b32_e32 v24, 7, v60
	v_lshrrev_b32_e32 v47, 3, v68
	v_cmp_gt_u32_e64 s6, 8, v68
	v_mov_b32_e32 v69, v25
	v_mov_b32_e32 v68, v24
	s_and_saveexec_b32 s23, s6
; %bb.693:                              ;   in Loop: Header=BB329_12 Depth=1
	v_ffbh_u32_e32 v68, v24
	v_min_u32_e32 v47, 32, v68
	v_subrev_nc_u32_e32 v68, 28, v47
	v_sub_nc_u32_e32 v47, 29, v47
	v_lshlrev_b64 v[68:69], v68, v[24:25]
	v_and_b32_e32 v68, 7, v68
; %bb.694:                              ;   in Loop: Header=BB329_12 Depth=1
	s_or_b32 exec_lo, exec_lo, s23
	v_lshlrev_b32_e32 v24, 24, v60
	v_lshlrev_b32_e32 v68, 20, v68
	v_lshl_add_u32 v69, v47, 23, 0x3c000000
	v_and_b32_e32 v24, 0x80000000, v24
	v_or3_b32 v47, v68, v24, v69
.LBB329_695:                            ;   in Loop: Header=BB329_12 Depth=1
	s_or_b32 exec_lo, exec_lo, s22
.LBB329_696:                            ;   in Loop: Header=BB329_12 Depth=1
	s_or_b32 exec_lo, exec_lo, s21
.LBB329_697:                            ;   in Loop: Header=BB329_12 Depth=1
	s_or_b32 exec_lo, exec_lo, s20
	v_cmp_ne_u16_sdwa s6, v60, v25 src0_sel:BYTE_1 src1_sel:DWORD
	s_and_saveexec_b32 s20, s6
	s_cbranch_execz .LBB329_705
; %bb.698:                              ;   in Loop: Header=BB329_12 Depth=1
	v_cmp_ne_u16_sdwa s6, v60, v115 src0_sel:BYTE_1 src1_sel:DWORD
	v_bfrev_b32_e32 v57, 1
	s_and_saveexec_b32 s21, s6
	s_cbranch_execz .LBB329_704
; %bb.699:                              ;   in Loop: Header=BB329_12 Depth=1
	v_mov_b32_e32 v24, 0xffff
	v_mov_b32_e32 v57, 0x7f800001
	s_mov_b32 s22, exec_lo
	v_and_b32_sdwa v24, v24, v60 dst_sel:DWORD dst_unused:UNUSED_PAD src0_sel:DWORD src1_sel:BYTE_1
	v_and_b32_e32 v58, 0x7f, v24
	v_cmpx_ne_u32_e32 0x7f, v58
	s_cbranch_execz .LBB329_703
; %bb.700:                              ;   in Loop: Header=BB329_12 Depth=1
	v_and_b32_e32 v24, 7, v24
	v_mov_b32_e32 v69, v25
	v_lshrrev_b32_e32 v69, 3, v58
	s_mov_b32 s23, exec_lo
	v_mov_b32_e32 v68, v24
	v_cmpx_gt_u32_e32 8, v58
; %bb.701:                              ;   in Loop: Header=BB329_12 Depth=1
	v_ffbh_u32_e32 v68, v24
	v_min_u32_e32 v57, 32, v68
	v_subrev_nc_u32_e32 v68, 28, v57
	v_lshlrev_b64 v[68:69], v68, v[24:25]
	v_sub_nc_u32_e32 v69, 29, v57
	v_and_b32_e32 v68, 7, v68
; %bb.702:                              ;   in Loop: Header=BB329_12 Depth=1
	s_or_b32 exec_lo, exec_lo, s23
	v_lshlrev_b32_e32 v24, 16, v60
	v_lshlrev_b32_e32 v68, 20, v68
	v_lshl_add_u32 v69, v69, 23, 0x3c000000
	v_and_b32_e32 v24, 0x80000000, v24
	v_or3_b32 v57, v68, v24, v69
.LBB329_703:                            ;   in Loop: Header=BB329_12 Depth=1
	s_or_b32 exec_lo, exec_lo, s22
.LBB329_704:                            ;   in Loop: Header=BB329_12 Depth=1
	s_or_b32 exec_lo, exec_lo, s21
.LBB329_705:                            ;   in Loop: Header=BB329_12 Depth=1
	s_or_b32 exec_lo, exec_lo, s20
	v_and_b32_sdwa v24, v60, v42 dst_sel:DWORD dst_unused:UNUSED_PAD src0_sel:WORD_1 src1_sel:DWORD
	v_mov_b32_e32 v58, 0
	v_mov_b32_e32 v59, 0
	s_mov_b32 s20, exec_lo
	v_cmpx_ne_u16_e32 0, v24
	s_cbranch_execz .LBB329_713
; %bb.706:                              ;   in Loop: Header=BB329_12 Depth=1
	v_bfrev_b32_e32 v59, 1
	s_mov_b32 s21, exec_lo
	v_cmpx_ne_u16_e32 0x80, v24
	s_cbranch_execz .LBB329_712
; %bb.707:                              ;   in Loop: Header=BB329_12 Depth=1
	v_bfe_u32 v61, v60, 16, 7
	v_mov_b32_e32 v59, 0x7f800001
	s_mov_b32 s22, exec_lo
	v_cmpx_ne_u32_e32 0x7f, v61
	s_cbranch_execz .LBB329_711
; %bb.708:                              ;   in Loop: Header=BB329_12 Depth=1
	v_mov_b32_e32 v24, 7
	s_mov_b32 s23, exec_lo
	v_and_b32_sdwa v24, v60, v24 dst_sel:DWORD dst_unused:UNUSED_PAD src0_sel:WORD_1 src1_sel:DWORD
	v_mov_b32_e32 v69, v25
	v_lshrrev_b32_e32 v69, 3, v61
	v_mov_b32_e32 v68, v24
	v_cmpx_gt_u32_e32 8, v61
; %bb.709:                              ;   in Loop: Header=BB329_12 Depth=1
	v_ffbh_u32_e32 v68, v24
	v_min_u32_e32 v59, 32, v68
	v_subrev_nc_u32_e32 v68, 28, v59
	v_lshlrev_b64 v[68:69], v68, v[24:25]
	v_sub_nc_u32_e32 v69, 29, v59
	v_and_b32_e32 v68, 7, v68
; %bb.710:                              ;   in Loop: Header=BB329_12 Depth=1
	s_or_b32 exec_lo, exec_lo, s23
	v_mov_b32_e32 v24, 24
	v_lshlrev_b32_e32 v68, 20, v68
	v_lshl_add_u32 v69, v69, 23, 0x3c000000
	v_lshlrev_b32_sdwa v24, v24, v60 dst_sel:DWORD dst_unused:UNUSED_PAD src0_sel:DWORD src1_sel:WORD_1
	v_and_b32_e32 v24, 0x80000000, v24
	v_or3_b32 v59, v68, v24, v69
.LBB329_711:                            ;   in Loop: Header=BB329_12 Depth=1
	s_or_b32 exec_lo, exec_lo, s22
.LBB329_712:                            ;   in Loop: Header=BB329_12 Depth=1
	s_or_b32 exec_lo, exec_lo, s21
.LBB329_713:                            ;   in Loop: Header=BB329_12 Depth=1
	s_or_b32 exec_lo, exec_lo, s20
	s_mov_b32 s20, exec_lo
	v_cmpx_lt_u32_e32 0xffffff, v60
	s_cbranch_execz .LBB329_721
; %bb.714:                              ;   in Loop: Header=BB329_12 Depth=1
	v_cmp_ne_u32_sdwa s6, v60, v115 src0_sel:BYTE_3 src1_sel:DWORD
	v_bfrev_b32_e32 v58, 1
	s_and_saveexec_b32 s21, s6
	s_cbranch_execz .LBB329_720
; %bb.715:                              ;   in Loop: Header=BB329_12 Depth=1
	v_bfe_u32 v61, v60, 24, 7
	v_mov_b32_e32 v58, 0x7f800001
	s_mov_b32 s22, exec_lo
	v_cmpx_ne_u32_e32 0x7f, v61
	s_cbranch_execz .LBB329_719
; %bb.716:                              ;   in Loop: Header=BB329_12 Depth=1
	v_mov_b32_e32 v24, 7
	s_mov_b32 s23, exec_lo
	v_and_b32_sdwa v24, v60, v24 dst_sel:DWORD dst_unused:UNUSED_PAD src0_sel:BYTE_3 src1_sel:DWORD
	v_mov_b32_e32 v69, v25
	v_lshrrev_b32_e32 v69, 3, v61
	v_mov_b32_e32 v68, v24
	v_cmpx_gt_u32_e32 8, v61
; %bb.717:                              ;   in Loop: Header=BB329_12 Depth=1
	v_ffbh_u32_e32 v68, v24
	v_min_u32_e32 v58, 32, v68
	v_subrev_nc_u32_e32 v68, 28, v58
	v_lshlrev_b64 v[68:69], v68, v[24:25]
	v_sub_nc_u32_e32 v69, 29, v58
	v_and_b32_e32 v68, 7, v68
; %bb.718:                              ;   in Loop: Header=BB329_12 Depth=1
	s_or_b32 exec_lo, exec_lo, s23
	v_mov_b32_e32 v24, 24
	v_lshlrev_b32_e32 v68, 20, v68
	v_lshl_add_u32 v69, v69, 23, 0x3c000000
	v_lshlrev_b32_sdwa v24, v24, v60 dst_sel:DWORD dst_unused:UNUSED_PAD src0_sel:DWORD src1_sel:BYTE_3
	v_and_b32_e32 v24, 0x80000000, v24
	v_or3_b32 v58, v68, v24, v69
.LBB329_719:                            ;   in Loop: Header=BB329_12 Depth=1
	s_or_b32 exec_lo, exec_lo, s22
.LBB329_720:                            ;   in Loop: Header=BB329_12 Depth=1
	s_or_b32 exec_lo, exec_lo, s21
.LBB329_721:                            ;   in Loop: Header=BB329_12 Depth=1
	s_or_b32 exec_lo, exec_lo, s20
	buffer_load_dword v24, off, s[0:3], s32 offset:196 ; 4-byte Folded Reload
	v_add_co_u32 v68, s6, 0xb00, v66
	v_add_co_ci_u32_e64 v61, null, 0, v67, s6
	v_mov_b32_e32 v60, 0
	v_mov_b32_e32 v69, 0
	s_waitcnt vmcnt(0)
	v_add_co_u32 v66, s6, v68, v24
	v_add_co_ci_u32_e64 v67, null, 0, v61, s6
	flat_load_dword v72, v[66:67]
	s_waitcnt vmcnt(0) lgkmcnt(0)
	v_cmp_ne_u16_sdwa s6, v72, v25 src0_sel:BYTE_0 src1_sel:DWORD
	s_and_saveexec_b32 s20, s6
	s_cbranch_execz .LBB329_729
; %bb.722:                              ;   in Loop: Header=BB329_12 Depth=1
	v_cmp_ne_u16_sdwa s6, v72, v115 src0_sel:BYTE_0 src1_sel:DWORD
	v_bfrev_b32_e32 v69, 1
	s_and_saveexec_b32 s21, s6
	s_cbranch_execz .LBB329_728
; %bb.723:                              ;   in Loop: Header=BB329_12 Depth=1
	v_and_b32_e32 v62, 0x7f, v72
	v_mov_b32_e32 v69, 0x7f800001
	s_mov_b32 s22, exec_lo
	v_cmpx_ne_u32_e32 0x7f, v62
	s_cbranch_execz .LBB329_727
; %bb.724:                              ;   in Loop: Header=BB329_12 Depth=1
	v_and_b32_e32 v24, 7, v72
	v_mov_b32_e32 v67, v25
	v_lshrrev_b32_e32 v67, 3, v62
	s_mov_b32 s23, exec_lo
	v_mov_b32_e32 v66, v24
	v_cmpx_gt_u32_e32 8, v62
; %bb.725:                              ;   in Loop: Header=BB329_12 Depth=1
	v_ffbh_u32_e32 v66, v24
	v_min_u32_e32 v69, 32, v66
	v_subrev_nc_u32_e32 v66, 28, v69
	v_lshlrev_b64 v[66:67], v66, v[24:25]
	v_sub_nc_u32_e32 v67, 29, v69
	v_and_b32_e32 v66, 7, v66
; %bb.726:                              ;   in Loop: Header=BB329_12 Depth=1
	s_or_b32 exec_lo, exec_lo, s23
	v_lshlrev_b32_e32 v24, 24, v72
	v_lshlrev_b32_e32 v66, 20, v66
	v_lshl_add_u32 v67, v67, 23, 0x3c000000
	v_and_b32_e32 v24, 0x80000000, v24
	v_or3_b32 v69, v66, v24, v67
.LBB329_727:                            ;   in Loop: Header=BB329_12 Depth=1
	s_or_b32 exec_lo, exec_lo, s22
.LBB329_728:                            ;   in Loop: Header=BB329_12 Depth=1
	s_or_b32 exec_lo, exec_lo, s21
.LBB329_729:                            ;   in Loop: Header=BB329_12 Depth=1
	s_or_b32 exec_lo, exec_lo, s20
	v_cmp_ne_u16_sdwa s6, v72, v25 src0_sel:BYTE_1 src1_sel:DWORD
	s_and_saveexec_b32 s20, s6
	s_cbranch_execz .LBB329_737
; %bb.730:                              ;   in Loop: Header=BB329_12 Depth=1
	v_cmp_ne_u16_sdwa s6, v72, v115 src0_sel:BYTE_1 src1_sel:DWORD
	v_bfrev_b32_e32 v60, 1
	s_and_saveexec_b32 s21, s6
	s_cbranch_execz .LBB329_736
; %bb.731:                              ;   in Loop: Header=BB329_12 Depth=1
	v_mov_b32_e32 v24, 0xffff
	v_mov_b32_e32 v60, 0x7f800001
	s_mov_b32 s22, exec_lo
	v_and_b32_sdwa v24, v24, v72 dst_sel:DWORD dst_unused:UNUSED_PAD src0_sel:DWORD src1_sel:BYTE_1
	v_and_b32_e32 v62, 0x7f, v24
	v_cmpx_ne_u32_e32 0x7f, v62
	s_cbranch_execz .LBB329_735
; %bb.732:                              ;   in Loop: Header=BB329_12 Depth=1
	v_and_b32_e32 v24, 7, v24
	v_mov_b32_e32 v67, v25
	v_lshrrev_b32_e32 v67, 3, v62
	s_mov_b32 s23, exec_lo
	v_mov_b32_e32 v66, v24
	v_cmpx_gt_u32_e32 8, v62
; %bb.733:                              ;   in Loop: Header=BB329_12 Depth=1
	v_ffbh_u32_e32 v66, v24
	v_min_u32_e32 v60, 32, v66
	v_subrev_nc_u32_e32 v66, 28, v60
	v_lshlrev_b64 v[66:67], v66, v[24:25]
	v_sub_nc_u32_e32 v67, 29, v60
	v_and_b32_e32 v66, 7, v66
; %bb.734:                              ;   in Loop: Header=BB329_12 Depth=1
	s_or_b32 exec_lo, exec_lo, s23
	v_lshlrev_b32_e32 v24, 16, v72
	v_lshlrev_b32_e32 v66, 20, v66
	v_lshl_add_u32 v67, v67, 23, 0x3c000000
	v_and_b32_e32 v24, 0x80000000, v24
	v_or3_b32 v60, v66, v24, v67
.LBB329_735:                            ;   in Loop: Header=BB329_12 Depth=1
	s_or_b32 exec_lo, exec_lo, s22
.LBB329_736:                            ;   in Loop: Header=BB329_12 Depth=1
	s_or_b32 exec_lo, exec_lo, s21
.LBB329_737:                            ;   in Loop: Header=BB329_12 Depth=1
	s_or_b32 exec_lo, exec_lo, s20
	v_and_b32_sdwa v24, v72, v42 dst_sel:DWORD dst_unused:UNUSED_PAD src0_sel:WORD_1 src1_sel:DWORD
	v_mov_b32_e32 v62, 0
	v_mov_b32_e32 v63, 0
	s_mov_b32 s20, exec_lo
	v_cmpx_ne_u16_e32 0, v24
	s_cbranch_execz .LBB329_745
; %bb.738:                              ;   in Loop: Header=BB329_12 Depth=1
	v_bfrev_b32_e32 v63, 1
	s_mov_b32 s21, exec_lo
	v_cmpx_ne_u16_e32 0x80, v24
	s_cbranch_execz .LBB329_744
; %bb.739:                              ;   in Loop: Header=BB329_12 Depth=1
	v_bfe_u32 v73, v72, 16, 7
	v_mov_b32_e32 v63, 0x7f800001
	s_mov_b32 s22, exec_lo
	v_cmpx_ne_u32_e32 0x7f, v73
	s_cbranch_execz .LBB329_743
; %bb.740:                              ;   in Loop: Header=BB329_12 Depth=1
	v_mov_b32_e32 v24, 7
	s_mov_b32 s23, exec_lo
	v_and_b32_sdwa v24, v72, v24 dst_sel:DWORD dst_unused:UNUSED_PAD src0_sel:WORD_1 src1_sel:DWORD
	v_mov_b32_e32 v67, v25
	v_lshrrev_b32_e32 v67, 3, v73
	v_mov_b32_e32 v66, v24
	v_cmpx_gt_u32_e32 8, v73
; %bb.741:                              ;   in Loop: Header=BB329_12 Depth=1
	v_ffbh_u32_e32 v66, v24
	v_min_u32_e32 v63, 32, v66
	v_subrev_nc_u32_e32 v66, 28, v63
	v_lshlrev_b64 v[66:67], v66, v[24:25]
	v_sub_nc_u32_e32 v67, 29, v63
	v_and_b32_e32 v66, 7, v66
; %bb.742:                              ;   in Loop: Header=BB329_12 Depth=1
	s_or_b32 exec_lo, exec_lo, s23
	v_mov_b32_e32 v24, 24
	v_lshlrev_b32_e32 v66, 20, v66
	v_lshl_add_u32 v67, v67, 23, 0x3c000000
	v_lshlrev_b32_sdwa v24, v24, v72 dst_sel:DWORD dst_unused:UNUSED_PAD src0_sel:DWORD src1_sel:WORD_1
	v_and_b32_e32 v24, 0x80000000, v24
	v_or3_b32 v63, v66, v24, v67
.LBB329_743:                            ;   in Loop: Header=BB329_12 Depth=1
	s_or_b32 exec_lo, exec_lo, s22
.LBB329_744:                            ;   in Loop: Header=BB329_12 Depth=1
	s_or_b32 exec_lo, exec_lo, s21
.LBB329_745:                            ;   in Loop: Header=BB329_12 Depth=1
	s_or_b32 exec_lo, exec_lo, s20
	s_mov_b32 s20, exec_lo
	v_cmpx_lt_u32_e32 0xffffff, v72
	s_cbranch_execz .LBB329_753
; %bb.746:                              ;   in Loop: Header=BB329_12 Depth=1
	v_cmp_ne_u32_sdwa s6, v72, v115 src0_sel:BYTE_3 src1_sel:DWORD
	v_bfrev_b32_e32 v62, 1
	s_and_saveexec_b32 s21, s6
	s_cbranch_execz .LBB329_752
; %bb.747:                              ;   in Loop: Header=BB329_12 Depth=1
	v_bfe_u32 v73, v72, 24, 7
	v_mov_b32_e32 v62, 0x7f800001
	s_mov_b32 s22, exec_lo
	v_cmpx_ne_u32_e32 0x7f, v73
	s_cbranch_execz .LBB329_751
; %bb.748:                              ;   in Loop: Header=BB329_12 Depth=1
	v_mov_b32_e32 v24, 7
	s_mov_b32 s23, exec_lo
	v_and_b32_sdwa v24, v72, v24 dst_sel:DWORD dst_unused:UNUSED_PAD src0_sel:BYTE_3 src1_sel:DWORD
	v_mov_b32_e32 v67, v25
	v_lshrrev_b32_e32 v67, 3, v73
	v_mov_b32_e32 v66, v24
	v_cmpx_gt_u32_e32 8, v73
; %bb.749:                              ;   in Loop: Header=BB329_12 Depth=1
	v_ffbh_u32_e32 v66, v24
	v_min_u32_e32 v62, 32, v66
	v_subrev_nc_u32_e32 v66, 28, v62
	v_lshlrev_b64 v[66:67], v66, v[24:25]
	v_sub_nc_u32_e32 v67, 29, v62
	v_and_b32_e32 v66, 7, v66
; %bb.750:                              ;   in Loop: Header=BB329_12 Depth=1
	s_or_b32 exec_lo, exec_lo, s23
	v_mov_b32_e32 v24, 24
	v_lshlrev_b32_e32 v66, 20, v66
	v_lshl_add_u32 v67, v67, 23, 0x3c000000
	v_lshlrev_b32_sdwa v24, v24, v72 dst_sel:DWORD dst_unused:UNUSED_PAD src0_sel:DWORD src1_sel:BYTE_3
	v_and_b32_e32 v24, 0x80000000, v24
	v_or3_b32 v62, v66, v24, v67
.LBB329_751:                            ;   in Loop: Header=BB329_12 Depth=1
	s_or_b32 exec_lo, exec_lo, s22
.LBB329_752:                            ;   in Loop: Header=BB329_12 Depth=1
	s_or_b32 exec_lo, exec_lo, s21
.LBB329_753:                            ;   in Loop: Header=BB329_12 Depth=1
	s_or_b32 exec_lo, exec_lo, s20
	buffer_load_dword v24, off, s[0:3], s32 offset:224 ; 4-byte Folded Reload
	v_mov_b32_e32 v73, 0
	v_mov_b32_e32 v72, 0
	s_waitcnt vmcnt(0)
	v_add_co_u32 v66, s6, v68, v24
	v_add_co_ci_u32_e64 v67, null, 0, v61, s6
	flat_load_dword v74, v[66:67]
	s_waitcnt vmcnt(0) lgkmcnt(0)
	v_cmp_ne_u16_sdwa s6, v74, v25 src0_sel:BYTE_0 src1_sel:DWORD
	s_and_saveexec_b32 s20, s6
	s_cbranch_execz .LBB329_761
; %bb.754:                              ;   in Loop: Header=BB329_12 Depth=1
	v_cmp_ne_u16_sdwa s6, v74, v115 src0_sel:BYTE_0 src1_sel:DWORD
	v_bfrev_b32_e32 v72, 1
	s_and_saveexec_b32 s21, s6
	s_cbranch_execz .LBB329_760
; %bb.755:                              ;   in Loop: Header=BB329_12 Depth=1
	v_and_b32_e32 v68, 0x7f, v74
	v_mov_b32_e32 v72, 0x7f800001
	s_mov_b32 s22, exec_lo
	v_cmpx_ne_u32_e32 0x7f, v68
	s_cbranch_execz .LBB329_759
; %bb.756:                              ;   in Loop: Header=BB329_12 Depth=1
	v_and_b32_e32 v24, 7, v74
	v_mov_b32_e32 v67, v25
	v_lshrrev_b32_e32 v67, 3, v68
	s_mov_b32 s23, exec_lo
	v_mov_b32_e32 v66, v24
	v_cmpx_gt_u32_e32 8, v68
; %bb.757:                              ;   in Loop: Header=BB329_12 Depth=1
	v_ffbh_u32_e32 v66, v24
	v_min_u32_e32 v68, 32, v66
	v_subrev_nc_u32_e32 v66, 28, v68
	v_lshlrev_b64 v[66:67], v66, v[24:25]
	v_sub_nc_u32_e32 v67, 29, v68
	v_and_b32_e32 v66, 7, v66
; %bb.758:                              ;   in Loop: Header=BB329_12 Depth=1
	s_or_b32 exec_lo, exec_lo, s23
	v_lshlrev_b32_e32 v24, 24, v74
	v_lshlrev_b32_e32 v66, 20, v66
	v_lshl_add_u32 v67, v67, 23, 0x3c000000
	v_and_b32_e32 v24, 0x80000000, v24
	v_or3_b32 v72, v66, v24, v67
.LBB329_759:                            ;   in Loop: Header=BB329_12 Depth=1
	s_or_b32 exec_lo, exec_lo, s22
.LBB329_760:                            ;   in Loop: Header=BB329_12 Depth=1
	s_or_b32 exec_lo, exec_lo, s21
.LBB329_761:                            ;   in Loop: Header=BB329_12 Depth=1
	s_or_b32 exec_lo, exec_lo, s20
	v_cmp_ne_u16_sdwa s6, v74, v25 src0_sel:BYTE_1 src1_sel:DWORD
	s_and_saveexec_b32 s20, s6
	s_cbranch_execz .LBB329_769
; %bb.762:                              ;   in Loop: Header=BB329_12 Depth=1
	v_cmp_ne_u16_sdwa s6, v74, v115 src0_sel:BYTE_1 src1_sel:DWORD
	v_bfrev_b32_e32 v73, 1
	s_and_saveexec_b32 s21, s6
	s_cbranch_execz .LBB329_768
; %bb.763:                              ;   in Loop: Header=BB329_12 Depth=1
	v_mov_b32_e32 v24, 0xffff
	v_mov_b32_e32 v73, 0x7f800001
	s_mov_b32 s22, exec_lo
	v_and_b32_sdwa v24, v24, v74 dst_sel:DWORD dst_unused:UNUSED_PAD src0_sel:DWORD src1_sel:BYTE_1
	v_and_b32_e32 v68, 0x7f, v24
	v_cmpx_ne_u32_e32 0x7f, v68
	s_cbranch_execz .LBB329_767
; %bb.764:                              ;   in Loop: Header=BB329_12 Depth=1
	v_and_b32_e32 v24, 7, v24
	v_mov_b32_e32 v67, v25
	v_lshrrev_b32_e32 v67, 3, v68
	s_mov_b32 s23, exec_lo
	v_mov_b32_e32 v66, v24
	v_cmpx_gt_u32_e32 8, v68
; %bb.765:                              ;   in Loop: Header=BB329_12 Depth=1
	v_ffbh_u32_e32 v66, v24
	v_min_u32_e32 v68, 32, v66
	v_subrev_nc_u32_e32 v66, 28, v68
	v_lshlrev_b64 v[66:67], v66, v[24:25]
	v_sub_nc_u32_e32 v67, 29, v68
	v_and_b32_e32 v66, 7, v66
; %bb.766:                              ;   in Loop: Header=BB329_12 Depth=1
	s_or_b32 exec_lo, exec_lo, s23
	v_lshlrev_b32_e32 v24, 16, v74
	v_lshlrev_b32_e32 v66, 20, v66
	v_lshl_add_u32 v67, v67, 23, 0x3c000000
	v_and_b32_e32 v24, 0x80000000, v24
	v_or3_b32 v73, v66, v24, v67
.LBB329_767:                            ;   in Loop: Header=BB329_12 Depth=1
	s_or_b32 exec_lo, exec_lo, s22
.LBB329_768:                            ;   in Loop: Header=BB329_12 Depth=1
	s_or_b32 exec_lo, exec_lo, s21
.LBB329_769:                            ;   in Loop: Header=BB329_12 Depth=1
	s_or_b32 exec_lo, exec_lo, s20
	v_and_b32_sdwa v24, v74, v42 dst_sel:DWORD dst_unused:UNUSED_PAD src0_sel:WORD_1 src1_sel:DWORD
	v_mov_b32_e32 v68, 0
	v_mov_b32_e32 v61, 0
	s_mov_b32 s20, exec_lo
	v_cmpx_ne_u16_e32 0, v24
	s_cbranch_execz .LBB329_777
; %bb.770:                              ;   in Loop: Header=BB329_12 Depth=1
	v_bfrev_b32_e32 v61, 1
	s_mov_b32 s21, exec_lo
	v_cmpx_ne_u16_e32 0x80, v24
	s_cbranch_execz .LBB329_776
; %bb.771:                              ;   in Loop: Header=BB329_12 Depth=1
	v_mov_b32_e32 v16, v75
	v_bfe_u32 v75, v74, 16, 7
	v_mov_b32_e32 v61, 0x7f800001
	s_mov_b32 s22, exec_lo
	v_cmpx_ne_u32_e32 0x7f, v75
	s_cbranch_execz .LBB329_775
; %bb.772:                              ;   in Loop: Header=BB329_12 Depth=1
	v_mov_b32_e32 v24, 7
	s_mov_b32 s23, exec_lo
	v_and_b32_sdwa v24, v74, v24 dst_sel:DWORD dst_unused:UNUSED_PAD src0_sel:WORD_1 src1_sel:DWORD
	v_mov_b32_e32 v67, v25
	v_lshrrev_b32_e32 v67, 3, v75
	v_mov_b32_e32 v66, v24
	v_cmpx_gt_u32_e32 8, v75
; %bb.773:                              ;   in Loop: Header=BB329_12 Depth=1
	v_ffbh_u32_e32 v66, v24
	v_min_u32_e32 v61, 32, v66
	v_subrev_nc_u32_e32 v66, 28, v61
	v_lshlrev_b64 v[66:67], v66, v[24:25]
	v_sub_nc_u32_e32 v67, 29, v61
	v_and_b32_e32 v66, 7, v66
; %bb.774:                              ;   in Loop: Header=BB329_12 Depth=1
	s_or_b32 exec_lo, exec_lo, s23
	v_mov_b32_e32 v24, 24
	v_lshlrev_b32_e32 v66, 20, v66
	v_lshl_add_u32 v67, v67, 23, 0x3c000000
	v_lshlrev_b32_sdwa v24, v24, v74 dst_sel:DWORD dst_unused:UNUSED_PAD src0_sel:DWORD src1_sel:WORD_1
	v_and_b32_e32 v24, 0x80000000, v24
	v_or3_b32 v61, v66, v24, v67
.LBB329_775:                            ;   in Loop: Header=BB329_12 Depth=1
	s_or_b32 exec_lo, exec_lo, s22
	v_mov_b32_e32 v75, v16
.LBB329_776:                            ;   in Loop: Header=BB329_12 Depth=1
	s_or_b32 exec_lo, exec_lo, s21
.LBB329_777:                            ;   in Loop: Header=BB329_12 Depth=1
	s_or_b32 exec_lo, exec_lo, s20
	buffer_store_dword v21, off, s[0:3], s32 offset:372 ; 4-byte Folded Spill
	v_mov_b32_e32 v112, v75
	v_mov_b32_e32 v86, v53
	v_mov_b32_e32 v116, v122
	buffer_store_dword v18, off, s[0:3], s32 offset:368 ; 4-byte Folded Spill
	v_mov_b32_e32 v16, v121
	v_mov_b32_e32 v20, v120
	buffer_store_dword v9, off, s[0:3], s32 offset:364 ; 4-byte Folded Spill
	v_mov_b32_e32 v54, v111
	v_mov_b32_e32 v9, v96
	;; [unrolled: 1-line block ×4, first 2 shown]
	buffer_store_dword v6, off, s[0:3], s32 offset:360 ; 4-byte Folded Spill
	buffer_store_dword v7, off, s[0:3], s32 offset:356 ; 4-byte Folded Spill
	v_mov_b32_e32 v18, v108
	buffer_store_dword v71, off, s[0:3], s32 offset:352 ; 4-byte Folded Spill
	buffer_store_dword v70, off, s[0:3], s32 offset:348 ; 4-byte Folded Spill
	;; [unrolled: 1-line block ×5, first 2 shown]
	v_mov_b32_e32 v22, v10
	buffer_store_dword v8, off, s[0:3], s32 offset:332 ; 4-byte Folded Spill
	buffer_store_dword v1, off, s[0:3], s32 offset:324 ; 4-byte Folded Spill
	buffer_store_dword v0, off, s[0:3], s32 offset:328 ; 4-byte Folded Spill
	v_mov_b32_e32 v19, v80
	v_mov_b32_e32 v80, v107
	v_mov_b32_e32 v53, v23
	v_mov_b32_e32 v23, v97
	v_mov_b32_e32 v97, v98
	v_mov_b32_e32 v98, v106
	v_mov_b32_e32 v17, v105
	v_mov_b32_e32 v10, v104
	v_mov_b32_e32 v11, v95
	v_mov_b32_e32 v6, v94
	v_mov_b32_e32 v7, v93
	v_mov_b32_e32 v8, v92
	v_mov_b32_e32 v71, v91
	v_mov_b32_e32 v70, v90
	v_mov_b32_e32 v0, v89
	v_mov_b32_e32 v1, v39
	v_mov_b32_e32 v39, v88
	s_mov_b32 s20, exec_lo
	v_cmpx_lt_u32_e32 0xffffff, v74
	s_cbranch_execz .LBB329_785
; %bb.778:                              ;   in Loop: Header=BB329_12 Depth=1
	v_cmp_ne_u32_sdwa s6, v74, v115 src0_sel:BYTE_3 src1_sel:DWORD
	v_bfrev_b32_e32 v68, 1
	s_and_saveexec_b32 s21, s6
	s_cbranch_execz .LBB329_784
; %bb.779:                              ;   in Loop: Header=BB329_12 Depth=1
	v_bfe_u32 v75, v74, 24, 7
	v_mov_b32_e32 v68, 0x7f800001
	s_mov_b32 s22, exec_lo
	v_cmpx_ne_u32_e32 0x7f, v75
	s_cbranch_execz .LBB329_783
; %bb.780:                              ;   in Loop: Header=BB329_12 Depth=1
	v_mov_b32_e32 v24, 7
	s_mov_b32 s23, exec_lo
	v_and_b32_sdwa v24, v74, v24 dst_sel:DWORD dst_unused:UNUSED_PAD src0_sel:BYTE_3 src1_sel:DWORD
	v_mov_b32_e32 v67, v25
	v_lshrrev_b32_e32 v67, 3, v75
	v_mov_b32_e32 v66, v24
	v_cmpx_gt_u32_e32 8, v75
; %bb.781:                              ;   in Loop: Header=BB329_12 Depth=1
	v_ffbh_u32_e32 v66, v24
	v_min_u32_e32 v68, 32, v66
	v_subrev_nc_u32_e32 v66, 28, v68
	v_lshlrev_b64 v[66:67], v66, v[24:25]
	v_sub_nc_u32_e32 v67, 29, v68
	v_and_b32_e32 v66, 7, v66
; %bb.782:                              ;   in Loop: Header=BB329_12 Depth=1
	s_or_b32 exec_lo, exec_lo, s23
	v_mov_b32_e32 v24, 24
	v_lshlrev_b32_e32 v66, 20, v66
	v_lshl_add_u32 v67, v67, 23, 0x3c000000
	v_lshlrev_b32_sdwa v24, v24, v74 dst_sel:DWORD dst_unused:UNUSED_PAD src0_sel:DWORD src1_sel:BYTE_3
	v_and_b32_e32 v24, 0x80000000, v24
	v_or3_b32 v68, v66, v24, v67
.LBB329_783:                            ;   in Loop: Header=BB329_12 Depth=1
	s_or_b32 exec_lo, exec_lo, s22
.LBB329_784:                            ;   in Loop: Header=BB329_12 Depth=1
	s_or_b32 exec_lo, exec_lo, s21
.LBB329_785:                            ;   in Loop: Header=BB329_12 Depth=1
	s_or_b32 exec_lo, exec_lo, s20
	v_lshlrev_b32_e32 v79, 16, v36
	v_lshlrev_b32_e32 v88, 16, v37
	v_and_b32_e32 v91, 0xffff0000, v36
	v_and_b32_e32 v92, 0xffff0000, v37
	v_lshlrev_b32_e32 v110, 16, v27
	v_lshlrev_b32_e32 v111, 16, v28
	v_and_b32_e32 v121, 0xffff0000, v27
	v_and_b32_e32 v122, 0xffff0000, v28
	v_lshlrev_b32_e32 v37, 16, v13
	v_and_b32_e32 v36, 0xffff0000, v13
	v_lshlrev_b32_e32 v28, 16, v2
	v_lshlrev_b32_e32 v13, 16, v4
	v_and_b32_e32 v27, 0xffff0000, v2
	v_and_b32_e32 v2, 0xffff0000, v4
	v_mul_f32_e32 v4, v46, v39
	v_lshlrev_b32_e32 v66, 16, v48
	v_lshlrev_b32_e32 v67, 16, v49
	;; [unrolled: 1-line block ×4, first 2 shown]
	v_and_b32_e32 v75, 0xffff0000, v48
	v_and_b32_e32 v76, 0xffff0000, v49
	;; [unrolled: 1-line block ×4, first 2 shown]
	v_lshlrev_b32_e32 v102, 16, v35
	v_lshlrev_b32_e32 v89, 16, v38
	v_and_b32_e32 v90, 0xffff0000, v35
	v_and_b32_e32 v93, 0xffff0000, v38
	v_lshlrev_b32_e32 v105, 16, v34
	v_and_b32_e32 v109, 0xffff0000, v34
	v_lshlrev_b32_e32 v120, 16, v29
	v_lshlrev_b32_e32 v50, 16, v30
	v_and_b32_e32 v51, 0xffff0000, v29
	v_and_b32_e32 v49, 0xffff0000, v30
	v_lshlrev_b32_e32 v48, 16, v12
	v_lshlrev_b32_e32 v35, 16, v14
	;; [unrolled: 1-line block ×3, first 2 shown]
	v_and_b32_e32 v38, 0xffff0000, v12
	v_and_b32_e32 v34, 0xffff0000, v14
	;; [unrolled: 1-line block ×3, first 2 shown]
	v_lshlrev_b32_e32 v15, 16, v3
	v_lshlrev_b32_e32 v12, 16, v5
	v_and_b32_e32 v14, 0xffff0000, v3
	v_and_b32_e32 v3, 0xffff0000, v5
	v_bfe_u32 v5, v4, 16, 1
	v_lshlrev_b32_e32 v94, 16, v31
	v_and_b32_e32 v106, 0xffff0000, v31
	v_or_b32_e32 v31, 0x400000, v4
	v_cmp_u_f32_e64 s6, v4, v4
	v_add3_u32 v5, v5, v4, 0x7fff
	v_lshlrev_b32_e32 v95, 16, v32
	v_and_b32_e32 v107, 0xffff0000, v32
	v_lshlrev_b32_e32 v104, 16, v33
	v_and_b32_e32 v108, 0xffff0000, v33
	v_cndmask_b32_e64 v4, v5, v31, s6
	v_mul_f32_e32 v5, v46, v124
	v_and_b32_e32 v4, 0xffff0000, v4
	v_bfe_u32 v31, v5, 16, 1
	v_or_b32_e32 v32, 0x400000, v5
	v_cmp_u_f32_e64 s6, v5, v5
	v_mul_f32_e32 v24, v24, v4
	v_add3_u32 v31, v31, v5, 0x7fff
	v_cndmask_b32_e64 v5, v31, v32, s6
	v_and_b32_e32 v4, 0xffff0000, v5
	v_fmac_f32_e32 v24, v66, v4
	v_mul_f32_e32 v4, v46, v127
	v_bfe_u32 v5, v4, 16, 1
	v_or_b32_e32 v31, 0x400000, v4
	v_cmp_u_f32_e64 s6, v4, v4
	v_add3_u32 v5, v5, v4, 0x7fff
	v_cndmask_b32_e64 v4, v5, v31, s6
	v_mul_f32_e32 v5, v46, v123
	v_and_b32_e32 v4, 0xffff0000, v4
	v_bfe_u32 v31, v5, 16, 1
	v_or_b32_e32 v32, 0x400000, v5
	v_cmp_u_f32_e64 s6, v5, v5
	v_add3_u32 v31, v31, v5, 0x7fff
	v_cndmask_b32_e64 v5, v31, v32, s6
	v_mul_f32_e32 v31, v77, v4
	v_and_b32_e32 v4, 0xffff0000, v5
	v_fmac_f32_e32 v31, v75, v4
	v_mul_f32_e32 v4, v46, v0
	v_mul_f32_e32 v0, v46, v41
	v_bfe_u32 v5, v4, 16, 1
	v_or_b32_e32 v32, 0x400000, v4
	v_cmp_u_f32_e64 s6, v4, v4
	v_add3_u32 v5, v5, v4, 0x7fff
	v_cndmask_b32_e64 v4, v5, v32, s6
	v_mul_f32_e32 v5, v46, v126
	v_and_b32_e32 v4, 0xffff0000, v4
	v_bfe_u32 v32, v5, 16, 1
	v_or_b32_e32 v33, 0x400000, v5
	v_cmp_u_f32_e64 s6, v5, v5
	v_add3_u32 v32, v32, v5, 0x7fff
	v_cndmask_b32_e64 v5, v32, v33, s6
	v_mul_f32_e32 v32, v74, v4
	v_and_b32_e32 v4, 0xffff0000, v5
	v_fmac_f32_e32 v32, v67, v4
	v_mul_f32_e32 v4, v46, v1
	v_bfe_u32 v5, v4, 16, 1
	v_or_b32_e32 v33, 0x400000, v4
	v_cmp_u_f32_e64 s6, v4, v4
	v_add3_u32 v5, v5, v4, 0x7fff
	v_cndmask_b32_e64 v4, v5, v33, s6
	v_mul_f32_e32 v5, v46, v125
	v_and_b32_e32 v4, 0xffff0000, v4
	v_bfe_u32 v33, v5, 16, 1
	v_or_b32_e32 v66, 0x400000, v5
	v_cmp_u_f32_e64 s6, v5, v5
	v_add3_u32 v33, v33, v5, 0x7fff
	v_cndmask_b32_e64 v5, v33, v66, s6
	v_mul_f32_e32 v33, v78, v4
	v_and_b32_e32 v4, 0xffff0000, v5
	v_fmac_f32_e32 v33, v76, v4
	v_mul_f32_e32 v4, v46, v71
	v_bfe_u32 v5, v4, 16, 1
	v_or_b32_e32 v66, 0x400000, v4
	v_cmp_u_f32_e64 s6, v4, v4
	v_add3_u32 v5, v5, v4, 0x7fff
	v_cndmask_b32_e64 v4, v5, v66, s6
	v_and_b32_e32 v4, 0xffff0000, v4
	v_fmac_f32_e32 v24, v102, v4
	v_mul_f32_e32 v4, v46, v70
	v_bfe_u32 v5, v4, 16, 1
	v_or_b32_e32 v66, 0x400000, v4
	v_cmp_u_f32_e64 s6, v4, v4
	v_add3_u32 v5, v5, v4, 0x7fff
	v_cndmask_b32_e64 v4, v5, v66, s6
	v_and_b32_e32 v4, 0xffff0000, v4
	v_fmac_f32_e32 v31, v90, v4
	v_mul_f32_e32 v4, v46, v81
	buffer_load_dword v81, off, s[0:3], s32 offset:324 ; 4-byte Folded Reload
	v_bfe_u32 v5, v4, 16, 1
	v_or_b32_e32 v66, 0x400000, v4
	v_cmp_u_f32_e64 s6, v4, v4
	v_add3_u32 v5, v5, v4, 0x7fff
	v_cndmask_b32_e64 v4, v5, v66, s6
	v_and_b32_e32 v4, 0xffff0000, v4
	v_fmac_f32_e32 v32, v79, v4
	v_mul_f32_e32 v4, v46, v8
	v_bfe_u32 v5, v4, 16, 1
	v_or_b32_e32 v66, 0x400000, v4
	v_cmp_u_f32_e64 s6, v4, v4
	v_add3_u32 v5, v5, v4, 0x7fff
	v_cndmask_b32_e64 v4, v5, v66, s6
	v_and_b32_e32 v4, 0xffff0000, v4
	v_fmac_f32_e32 v33, v91, v4
	v_mul_f32_e32 v4, v46, v6
	buffer_load_dword v6, off, s[0:3], s32 offset:272 ; 4-byte Folded Reload
	v_bfe_u32 v5, v4, 16, 1
	v_or_b32_e32 v66, 0x400000, v4
	v_cmp_u_f32_e64 s6, v4, v4
	v_add3_u32 v5, v5, v4, 0x7fff
	v_cndmask_b32_e64 v4, v5, v66, s6
	v_and_b32_e32 v4, 0xffff0000, v4
	v_fmac_f32_e32 v24, v88, v4
	v_mul_f32_e32 v4, v46, v7
	v_bfe_u32 v5, v4, 16, 1
	v_or_b32_e32 v66, 0x400000, v4
	v_cmp_u_f32_e64 s6, v4, v4
	v_add3_u32 v5, v5, v4, 0x7fff
	v_cndmask_b32_e64 v4, v5, v66, s6
	v_and_b32_e32 v4, 0xffff0000, v4
	v_fmac_f32_e32 v31, v92, v4
	v_mul_f32_e32 v4, v46, v10
	;; [unrolled: 8-line block ×3, first 2 shown]
	v_mul_f32_e32 v11, v46, v69
	v_bfe_u32 v5, v4, 16, 1
	v_or_b32_e32 v66, 0x400000, v4
	v_cmp_u_f32_e64 s6, v4, v4
	v_add3_u32 v5, v5, v4, 0x7fff
	v_cndmask_b32_e64 v4, v5, v66, s6
	v_and_b32_e32 v4, 0xffff0000, v4
	v_fmac_f32_e32 v33, v93, v4
	v_mul_f32_e32 v4, v46, v98
	v_bfe_u32 v5, v4, 16, 1
	v_or_b32_e32 v66, 0x400000, v4
	v_cmp_u_f32_e64 s6, v4, v4
	v_add3_u32 v5, v5, v4, 0x7fff
	v_cndmask_b32_e64 v4, v5, v66, s6
	v_and_b32_e32 v4, 0xffff0000, v4
	v_fmac_f32_e32 v24, v94, v4
	;; [unrolled: 8-line block ×7, first 2 shown]
	v_mul_f32_e32 v4, v46, v80
	buffer_load_dword v80, off, s[0:3], s32 offset:328 ; 4-byte Folded Reload
	v_bfe_u32 v5, v4, 16, 1
	v_or_b32_e32 v66, 0x400000, v4
	v_cmp_u_f32_e64 s6, v4, v4
	s_waitcnt vmcnt(2)
	v_mul_f32_e32 v81, v46, v81
	v_add3_u32 v5, v5, v4, 0x7fff
	v_cndmask_b32_e64 v4, v5, v66, s6
	v_and_b32_e32 v4, 0xffff0000, v4
	v_fmac_f32_e32 v32, v105, v4
	v_mul_f32_e32 v4, v46, v53
	v_bfe_u32 v5, v4, 16, 1
	v_or_b32_e32 v66, 0x400000, v4
	v_cmp_u_f32_e64 s6, v4, v4
	v_add3_u32 v5, v5, v4, 0x7fff
	v_cndmask_b32_e64 v4, v5, v66, s6
	v_and_b32_e32 v4, 0xffff0000, v4
	v_fmac_f32_e32 v33, v109, v4
	v_mul_f32_e32 v4, v46, v103
	v_bfe_u32 v5, v4, 16, 1
	v_or_b32_e32 v66, 0x400000, v4
	v_cmp_u_f32_e64 s6, v4, v4
	;; [unrolled: 8-line block ×7, first 2 shown]
	v_add3_u32 v5, v5, v4, 0x7fff
	v_cndmask_b32_e64 v4, v5, v66, s6
	v_mul_f32_e32 v66, v46, v55
	v_and_b32_e32 v4, 0xffff0000, v4
	v_fmac_f32_e32 v31, v51, v4
	v_mul_f32_e32 v4, v46, v101
	v_bfe_u32 v5, v4, 16, 1
	v_or_b32_e32 v51, 0x400000, v4
	v_cmp_u_f32_e64 s6, v4, v4
	v_add3_u32 v5, v5, v4, 0x7fff
	v_cndmask_b32_e64 v4, v5, v51, s6
	v_and_b32_e32 v4, 0xffff0000, v4
	v_fmac_f32_e32 v32, v50, v4
	v_mul_f32_e32 v4, v46, v84
	v_or_b32_e32 v84, 0x400000, v81
	v_bfe_u32 v5, v4, 16, 1
	v_or_b32_e32 v50, 0x400000, v4
	v_cmp_u_f32_e64 s6, v4, v4
	v_add3_u32 v5, v5, v4, 0x7fff
	v_cndmask_b32_e64 v4, v5, v50, s6
	v_or_b32_e32 v5, 0x400000, v0
	v_cmp_u_f32_e64 s6, v0, v0
	v_and_b32_e32 v4, 0xffff0000, v4
	v_fmac_f32_e32 v33, v49, v4
	v_bfe_u32 v4, v0, 16, 1
	v_add3_u32 v4, v4, v0, 0x7fff
	v_cndmask_b32_e64 v0, v4, v5, s6
	v_and_b32_e32 v0, 0xffff0000, v0
	v_fmac_f32_e32 v24, v48, v0
	v_mul_f32_e32 v0, v46, v118
	v_bfe_u32 v1, v0, 16, 1
	v_or_b32_e32 v4, 0x400000, v0
	v_cmp_u_f32_e64 s6, v0, v0
	v_add3_u32 v1, v1, v0, 0x7fff
	v_cndmask_b32_e64 v0, v1, v4, s6
	v_and_b32_e32 v0, 0xffff0000, v0
	v_fmac_f32_e32 v31, v38, v0
	v_mul_f32_e32 v0, v46, v26
	v_mul_f32_e32 v26, v46, v44
	v_bfe_u32 v1, v0, 16, 1
	v_or_b32_e32 v4, 0x400000, v0
	v_cmp_u_f32_e64 s6, v0, v0
	v_add3_u32 v1, v1, v0, 0x7fff
	s_waitcnt vmcnt(0)
	v_mul_f32_e32 v80, v46, v80
	v_cndmask_b32_e64 v0, v1, v4, s6
	v_and_b32_e32 v0, 0xffff0000, v0
	v_fmac_f32_e32 v32, v37, v0
	v_mul_f32_e32 v0, v46, v18
	v_mul_f32_e32 v18, v46, v58
	v_bfe_u32 v1, v0, 16, 1
	v_or_b32_e32 v4, 0x400000, v0
	v_cmp_u_f32_e64 s6, v0, v0
	v_add3_u32 v1, v1, v0, 0x7fff
	v_cndmask_b32_e64 v0, v1, v4, s6
	v_and_b32_e32 v0, 0xffff0000, v0
	v_fmac_f32_e32 v33, v36, v0
	v_mul_f32_e32 v0, v46, v96
	buffer_load_dword v96, off, s[0:3], s32 offset:404 ; 4-byte Folded Reload
	v_bfe_u32 v1, v0, 16, 1
	v_or_b32_e32 v4, 0x400000, v0
	v_cmp_u_f32_e64 s6, v0, v0
	v_add3_u32 v1, v1, v0, 0x7fff
	v_cndmask_b32_e64 v0, v1, v4, s6
	v_and_b32_e32 v0, 0xffff0000, v0
	v_fmac_f32_e32 v24, v35, v0
	v_mul_f32_e32 v0, v46, v21
	v_mul_f32_e32 v21, v46, v47
	v_bfe_u32 v1, v0, 16, 1
	v_or_b32_e32 v4, 0x400000, v0
	v_cmp_u_f32_e64 s6, v0, v0
	v_add3_u32 v1, v1, v0, 0x7fff
	v_cndmask_b32_e64 v0, v1, v4, s6
	v_and_b32_e32 v0, 0xffff0000, v0
	v_fmac_f32_e32 v31, v34, v0
	v_mul_f32_e32 v0, v46, v54
	v_bfe_u32 v1, v0, 16, 1
	v_or_b32_e32 v4, 0x400000, v0
	v_cmp_u_f32_e64 s6, v0, v0
	v_add3_u32 v1, v1, v0, 0x7fff
	v_cndmask_b32_e64 v0, v1, v4, s6
	v_and_b32_e32 v0, 0xffff0000, v0
	v_fmac_f32_e32 v32, v30, v0
	;; [unrolled: 8-line block ×5, first 2 shown]
	buffer_load_dword v0, off, s[0:3], s32 offset:276 ; 4-byte Folded Reload
	s_waitcnt vmcnt(1)
	ds_read_b128 v[27:30], v96 offset:102
	s_waitcnt vmcnt(0)
	v_mul_f32_e32 v0, v46, v0
	v_bfe_u32 v1, v0, 16, 1
	v_or_b32_e32 v4, 0x400000, v0
	v_cmp_u_f32_e64 s6, v0, v0
	v_add3_u32 v1, v1, v0, 0x7fff
	v_cndmask_b32_e64 v0, v1, v4, s6
	v_and_b32_e32 v0, 0xffff0000, v0
	v_fmac_f32_e32 v32, v15, v0
	v_mul_f32_e32 v0, v46, v116
	v_bfe_u32 v1, v0, 16, 1
	v_or_b32_e32 v4, 0x400000, v0
	v_cmp_u_f32_e64 s6, v0, v0
	v_add3_u32 v1, v1, v0, 0x7fff
	v_cndmask_b32_e64 v0, v1, v4, s6
	v_and_b32_e32 v0, 0xffff0000, v0
	v_fmac_f32_e32 v33, v14, v0
	buffer_load_dword v0, off, s[0:3], s32 offset:228 ; 4-byte Folded Reload
	s_waitcnt vmcnt(0)
	v_mul_f32_e32 v0, v46, v0
	v_bfe_u32 v1, v0, 16, 1
	v_or_b32_e32 v4, 0x400000, v0
	v_cmp_u_f32_e64 s6, v0, v0
	v_add3_u32 v1, v1, v0, 0x7fff
	v_cndmask_b32_e64 v0, v1, v4, s6
	v_and_b32_e32 v0, 0xffff0000, v0
	v_fmac_f32_e32 v24, v13, v0
	v_mul_f32_e32 v0, v46, v112
	v_bfe_u32 v1, v0, 16, 1
	v_or_b32_e32 v4, 0x400000, v0
	v_cmp_u_f32_e64 s6, v0, v0
	v_add3_u32 v1, v1, v0, 0x7fff
	v_cndmask_b32_e64 v0, v1, v4, s6
	v_and_b32_e32 v0, 0xffff0000, v0
	v_fmac_f32_e32 v31, v2, v0
	buffer_load_dword v0, off, s[0:3], s32 offset:288 ; 4-byte Folded Reload
	s_waitcnt vmcnt(0)
	v_mul_f32_e32 v0, v46, v0
	v_bfe_u32 v1, v0, 16, 1
	v_or_b32_e32 v2, 0x400000, v0
	v_cmp_u_f32_e64 s6, v0, v0
	v_add3_u32 v1, v1, v0, 0x7fff
	v_cndmask_b32_e64 v0, v1, v2, s6
	v_and_b32_e32 v0, 0xffff0000, v0
	v_fmac_f32_e32 v32, v12, v0
	buffer_load_dword v0, off, s[0:3], s32 offset:292 ; 4-byte Folded Reload
	ds_read_b128 v[12:15], v96 offset:118
	s_waitcnt vmcnt(0)
	v_mul_f32_e32 v0, v46, v0
	v_bfe_u32 v1, v0, 16, 1
	v_or_b32_e32 v2, 0x400000, v0
	v_cmp_u_f32_e64 s6, v0, v0
	v_add3_u32 v1, v1, v0, 0x7fff
	buffer_load_dword v0, off, s[0:3], s32 offset:256 ; 4-byte Folded Reload
	v_cndmask_b32_e64 v1, v1, v2, s6
	v_and_b32_e32 v1, 0xffff0000, v1
	s_waitcnt vmcnt(0)
	v_mul_f32_e32 v0, v46, v0
	v_bfe_u32 v2, v0, 16, 1
	v_or_b32_e32 v4, 0x400000, v0
	v_cmp_u_f32_e64 s6, v0, v0
	v_add3_u32 v2, v2, v0, 0x7fff
	buffer_load_dword v0, off, s[0:3], s32 offset:244 ; 4-byte Folded Reload
	s_waitcnt vmcnt(0)
	v_mul_f32_e32 v5, v46, v0
	v_cndmask_b32_e64 v0, v2, v4, s6
	v_bfe_u32 v2, v5, 16, 1
	v_or_b32_e32 v4, 0x400000, v5
	v_cmp_u_f32_e64 s6, v5, v5
	v_and_b32_e32 v0, 0xffff0000, v0
	v_add3_u32 v2, v2, v5, 0x7fff
	buffer_load_dword v5, off, s[0:3], s32 offset:236 ; 4-byte Folded Reload
	v_cndmask_b32_e64 v4, v2, v4, s6
	v_and_b32_e32 v4, 0xffff0000, v4
	s_waitcnt vmcnt(0)
	v_mul_f32_e32 v5, v46, v5
	v_bfe_u32 v2, v5, 16, 1
	v_or_b32_e32 v8, 0x400000, v5
	v_cmp_u_f32_e64 s6, v5, v5
	v_add3_u32 v2, v2, v5, 0x7fff
	buffer_load_dword v5, off, s[0:3], s32 offset:240 ; 4-byte Folded Reload
	v_cndmask_b32_e64 v8, v2, v8, s6
	v_and_b32_e32 v8, 0xffff0000, v8
	v_fmac_f32_e32 v33, v3, v8
	s_waitcnt vmcnt(0)
	v_mul_f32_e32 v5, v46, v5
	v_bfe_u32 v2, v5, 16, 1
	v_or_b32_e32 v9, 0x400000, v5
	v_cmp_u_f32_e64 s6, v5, v5
	v_add3_u32 v2, v2, v5, 0x7fff
	v_cndmask_b32_e64 v2, v2, v9, s6
	buffer_load_dword v9, off, s[0:3], s32 offset:316 ; 4-byte Folded Reload
	v_and_b32_e32 v2, 0xffff0000, v2
	s_waitcnt vmcnt(0)
	v_lshlrev_b32_e32 v5, 16, v9
	v_and_b32_e32 v3, 0xffff0000, v9
	v_mul_f32_e32 v9, v46, v62
	v_fmac_f32_e32 v24, v5, v4
	buffer_load_dword v4, off, s[0:3], s32 offset:320 ; 4-byte Folded Reload
	v_fmac_f32_e32 v31, v3, v2
	s_waitcnt vmcnt(0)
	v_lshlrev_b32_e32 v4, 16, v4
	v_fmac_f32_e32 v32, v4, v1
	s_waitcnt lgkmcnt(1)
	v_lshlrev_b32_e32 v1, 16, v27
	v_mul_f32_e32 v4, v46, v63
	v_fmac_f32_e32 v33, v1, v0
	v_mul_f32_e32 v0, v46, v22
	v_bfe_u32 v5, v4, 16, 1
	v_bfe_u32 v1, v0, 16, 1
	v_or_b32_e32 v2, 0x400000, v0
	v_cmp_u_f32_e64 s6, v0, v0
	v_add3_u32 v1, v1, v0, 0x7fff
	v_cndmask_b32_e64 v0, v1, v2, s6
	v_and_b32_e32 v1, 0xffff0000, v27
	v_mul_f32_e32 v2, v46, v73
	v_mul_f32_e32 v27, v46, v117
	v_and_b32_e32 v0, 0xffff0000, v0
	v_or_b32_e32 v3, 0x400000, v2
	v_cmp_u_f32_e64 s6, v2, v2
	v_fmac_f32_e32 v24, v1, v0
	v_bfe_u32 v0, v2, 16, 1
	v_mul_f32_e32 v1, v46, v72
	v_add3_u32 v0, v0, v2, 0x7fff
	v_bfe_u32 v2, v1, 16, 1
	v_cndmask_b32_e64 v0, v0, v3, s6
	v_add3_u32 v2, v2, v1, 0x7fff
	v_or_b32_e32 v3, 0x400000, v1
	v_cmp_u_f32_e64 s6, v1, v1
	v_and_b32_e32 v0, 0xffff0000, v0
	v_cndmask_b32_e64 v1, v2, v3, s6
	v_add3_u32 v2, v5, v4, 0x7fff
	v_or_b32_e32 v3, 0x400000, v4
	v_cmp_u_f32_e64 s6, v4, v4
	v_bfe_u32 v4, v9, 16, 1
	v_mul_f32_e32 v5, v46, v60
	v_and_b32_e32 v1, 0xffff0000, v1
	v_cndmask_b32_e64 v8, v2, v3, s6
	v_add3_u32 v2, v4, v9, 0x7fff
	v_or_b32_e32 v3, 0x400000, v9
	v_cmp_u_f32_e64 s6, v9, v9
	v_bfe_u32 v4, v5, 16, 1
	v_and_b32_e32 v8, 0xffff0000, v8
	v_cndmask_b32_e64 v9, v2, v3, s6
	v_add3_u32 v2, v4, v5, 0x7fff
	v_or_b32_e32 v3, 0x400000, v5
	v_cmp_u_f32_e64 s6, v5, v5
	v_bfe_u32 v4, v11, 16, 1
	v_mul_f32_e32 v5, v46, v59
	v_and_b32_e32 v9, 0xffff0000, v9
	v_cndmask_b32_e64 v10, v2, v3, s6
	v_add3_u32 v2, v4, v11, 0x7fff
	v_or_b32_e32 v3, 0x400000, v11
	v_cmp_u_f32_e64 s6, v11, v11
	v_bfe_u32 v4, v5, 16, 1
	;; [unrolled: 13-line block ×3, first 2 shown]
	v_cndmask_b32_e64 v18, v2, v3, s6
	v_add3_u32 v2, v4, v5, 0x7fff
	v_or_b32_e32 v3, 0x400000, v5
	v_cmp_u_f32_e64 s6, v5, v5
	v_bfe_u32 v4, v21, 16, 1
	v_mul_f32_e32 v5, v46, v85
	v_cndmask_b32_e64 v19, v2, v3, s6
	v_add3_u32 v2, v4, v21, 0x7fff
	v_or_b32_e32 v3, 0x400000, v21
	v_cmp_u_f32_e64 s6, v21, v21
	v_bfe_u32 v4, v5, 16, 1
	v_and_b32_e32 v19, 0xffff0000, v19
	v_cndmask_b32_e64 v21, v2, v3, s6
	v_add3_u32 v2, v4, v5, 0x7fff
	v_or_b32_e32 v3, 0x400000, v5
	v_cmp_u_f32_e64 s6, v5, v5
	v_bfe_u32 v4, v26, 16, 1
	v_mul_f32_e32 v5, v46, v43
	v_and_b32_e32 v21, 0xffff0000, v21
	v_cndmask_b32_e64 v23, v2, v3, s6
	v_add3_u32 v2, v4, v26, 0x7fff
	v_or_b32_e32 v3, 0x400000, v26
	v_cmp_u_f32_e64 s6, v26, v26
	v_bfe_u32 v4, v5, 16, 1
	v_cndmask_b32_e64 v26, v2, v3, s6
	v_add3_u32 v2, v4, v5, 0x7fff
	v_or_b32_e32 v3, 0x400000, v5
	v_cmp_u_f32_e64 s6, v5, v5
	buffer_load_dword v5, off, s[0:3], s32 offset:300 ; 4-byte Folded Reload
	v_bfe_u32 v4, v27, 16, 1
	v_cndmask_b32_e64 v34, v2, v3, s6
	v_or_b32_e32 v3, 0x400000, v27
	v_add3_u32 v2, v4, v27, 0x7fff
	v_cmp_u_f32_e64 s6, v27, v27
	v_mul_f32_e32 v27, v46, v6
	buffer_load_dword v6, off, s[0:3], s32 offset:264 ; 4-byte Folded Reload
	v_cndmask_b32_e64 v35, v2, v3, s6
	s_waitcnt vmcnt(1)
	v_mul_f32_e32 v5, v46, v5
	v_bfe_u32 v4, v5, 16, 1
	v_or_b32_e32 v3, 0x400000, v5
	v_cmp_u_f32_e64 s6, v5, v5
	v_add3_u32 v2, v4, v5, 0x7fff
	buffer_load_dword v5, off, s[0:3], s32 offset:268 ; 4-byte Folded Reload
	v_bfe_u32 v4, v27, 16, 1
	v_cndmask_b32_e64 v36, v2, v3, s6
	v_or_b32_e32 v3, 0x400000, v27
	v_add3_u32 v2, v4, v27, 0x7fff
	v_cmp_u_f32_e64 s6, v27, v27
	s_waitcnt vmcnt(1)
	v_mul_f32_e32 v27, v46, v6
	buffer_load_dword v6, off, s[0:3], s32 offset:260 ; 4-byte Folded Reload
	v_cndmask_b32_e64 v37, v2, v3, s6
	s_waitcnt vmcnt(1)
	v_mul_f32_e32 v5, v46, v5
	v_bfe_u32 v4, v5, 16, 1
	v_or_b32_e32 v3, 0x400000, v5
	v_cmp_u_f32_e64 s6, v5, v5
	v_add3_u32 v2, v4, v5, 0x7fff
	buffer_load_dword v5, off, s[0:3], s32 offset:296 ; 4-byte Folded Reload
	v_bfe_u32 v4, v27, 16, 1
	v_cndmask_b32_e64 v38, v2, v3, s6
	v_or_b32_e32 v3, 0x400000, v27
	v_add3_u32 v2, v4, v27, 0x7fff
	v_cmp_u_f32_e64 s6, v27, v27
	s_waitcnt vmcnt(1)
	v_mul_f32_e32 v27, v46, v6
	buffer_load_dword v6, off, s[0:3], s32 offset:248 ; 4-byte Folded Reload
	v_and_b32_e32 v38, 0xffff0000, v38
	v_cndmask_b32_e64 v48, v2, v3, s6
	s_waitcnt vmcnt(1)
	v_mul_f32_e32 v5, v46, v5
	v_bfe_u32 v4, v5, 16, 1
	v_or_b32_e32 v3, 0x400000, v5
	v_cmp_u_f32_e64 s6, v5, v5
	v_add3_u32 v2, v4, v5, 0x7fff
	buffer_load_dword v5, off, s[0:3], s32 offset:252 ; 4-byte Folded Reload
	v_bfe_u32 v4, v27, 16, 1
	v_cndmask_b32_e64 v16, v2, v3, s6
	v_or_b32_e32 v3, 0x400000, v27
	v_add3_u32 v2, v4, v27, 0x7fff
	v_cmp_u_f32_e64 s6, v27, v27
	s_waitcnt vmcnt(1)
	v_mul_f32_e32 v27, v46, v6
	buffer_load_dword v6, off, s[0:3], s32 offset:232 ; 4-byte Folded Reload
	v_cndmask_b32_e64 v20, v2, v3, s6
	s_waitcnt vmcnt(1)
	v_mul_f32_e32 v5, v46, v5
	v_bfe_u32 v4, v5, 16, 1
	v_or_b32_e32 v3, 0x400000, v5
	v_cmp_u_f32_e64 s6, v5, v5
	v_add3_u32 v2, v4, v5, 0x7fff
	buffer_load_dword v5, off, s[0:3], s32 offset:280 ; 4-byte Folded Reload
	v_bfe_u32 v4, v27, 16, 1
	v_cndmask_b32_e64 v49, v2, v3, s6
	v_or_b32_e32 v3, 0x400000, v27
	v_add3_u32 v2, v4, v27, 0x7fff
	v_cmp_u_f32_e64 s6, v27, v27
	s_waitcnt vmcnt(1)
	v_mul_f32_e32 v27, v46, v6
	buffer_load_dword v6, off, s[0:3], s32 offset:372 ; 4-byte Folded Reload
	v_cndmask_b32_e64 v22, v2, v3, s6
	v_and_b32_e32 v22, 0xffff0000, v22
	s_waitcnt vmcnt(1)
	v_mul_f32_e32 v5, v46, v5
	v_bfe_u32 v4, v5, 16, 1
	v_or_b32_e32 v3, 0x400000, v5
	v_cmp_u_f32_e64 s6, v5, v5
	v_add3_u32 v2, v4, v5, 0x7fff
	v_bfe_u32 v4, v27, 16, 1
	v_mul_f32_e32 v5, v46, v86
	v_mbcnt_lo_u32_b32 v86, -1, 0
	v_cndmask_b32_e64 v50, v2, v3, s6
	v_add3_u32 v2, v4, v27, 0x7fff
	v_or_b32_e32 v3, 0x400000, v27
	v_cmp_u_f32_e64 s6, v27, v27
	v_bfe_u32 v4, v5, 16, 1
	s_waitcnt vmcnt(0)
	v_mul_f32_e32 v27, v46, v6
	buffer_load_dword v6, off, s[0:3], s32 offset:368 ; 4-byte Folded Reload
	v_cndmask_b32_e64 v51, v2, v3, s6
	v_add3_u32 v2, v4, v5, 0x7fff
	v_or_b32_e32 v3, 0x400000, v5
	v_cmp_u_f32_e64 s6, v5, v5
	v_bfe_u32 v4, v27, 16, 1
	v_mul_f32_e32 v5, v46, v56
	v_cndmask_b32_e64 v52, v2, v3, s6
	v_add3_u32 v2, v4, v27, 0x7fff
	v_or_b32_e32 v3, 0x400000, v27
	v_cmp_u_f32_e64 s6, v27, v27
	v_bfe_u32 v4, v5, 16, 1
	v_and_b32_e32 v52, 0xffff0000, v52
	v_cndmask_b32_e64 v53, v2, v3, s6
	v_add3_u32 v2, v4, v5, 0x7fff
	v_or_b32_e32 v3, 0x400000, v5
	v_cmp_u_f32_e64 s6, v5, v5
	buffer_load_dword v5, off, s[0:3], s32 offset:364 ; 4-byte Folded Reload
	v_and_b32_e32 v53, 0xffff0000, v53
	v_cndmask_b32_e64 v54, v2, v3, s6
	s_waitcnt vmcnt(1)
	v_mul_f32_e32 v27, v46, v6
	buffer_load_dword v6, off, s[0:3], s32 offset:356 ; 4-byte Folded Reload
	v_bfe_u32 v4, v27, 16, 1
	v_or_b32_e32 v3, 0x400000, v27
	v_cmp_u_f32_e64 s6, v27, v27
	v_add3_u32 v2, v4, v27, 0x7fff
	v_cndmask_b32_e64 v55, v2, v3, s6
	s_waitcnt vmcnt(1)
	v_mul_f32_e32 v5, v46, v5
	v_bfe_u32 v4, v5, 16, 1
	v_or_b32_e32 v3, 0x400000, v5
	v_cmp_u_f32_e64 s6, v5, v5
	v_add3_u32 v2, v4, v5, 0x7fff
	buffer_load_dword v5, off, s[0:3], s32 offset:360 ; 4-byte Folded Reload
	v_bfe_u32 v4, v66, 16, 1
	v_cndmask_b32_e64 v27, v2, v3, s6
	v_or_b32_e32 v3, 0x400000, v66
	v_add3_u32 v2, v4, v66, 0x7fff
	v_cmp_u_f32_e64 s6, v66, v66
	v_cndmask_b32_e64 v66, v2, v3, s6
	v_and_b32_e32 v66, 0xffff0000, v66
	s_waitcnt vmcnt(0)
	v_mul_f32_e32 v5, v46, v5
	v_bfe_u32 v4, v5, 16, 1
	v_or_b32_e32 v3, 0x400000, v5
	v_cmp_u_f32_e64 s6, v5, v5
	v_add3_u32 v2, v4, v5, 0x7fff
	buffer_load_dword v5, off, s[0:3], s32 offset:352 ; 4-byte Folded Reload
	v_mul_f32_e32 v6, v46, v6
	v_cndmask_b32_e64 v67, v2, v3, s6
	v_bfe_u32 v4, v6, 16, 1
	v_or_b32_e32 v3, 0x400000, v6
	v_cmp_u_f32_e64 s6, v6, v6
	v_add3_u32 v2, v4, v6, 0x7fff
	buffer_load_dword v6, off, s[0:3], s32 offset:348 ; 4-byte Folded Reload
	v_cndmask_b32_e64 v69, v2, v3, s6
	s_waitcnt vmcnt(1)
	v_mul_f32_e32 v5, v46, v5
	v_bfe_u32 v4, v5, 16, 1
	v_or_b32_e32 v3, 0x400000, v5
	v_cmp_u_f32_e64 s6, v5, v5
	v_add3_u32 v2, v4, v5, 0x7fff
	buffer_load_dword v5, off, s[0:3], s32 offset:344 ; 4-byte Folded Reload
	s_waitcnt vmcnt(1)
	v_mul_f32_e32 v6, v46, v6
	v_cndmask_b32_e64 v7, v2, v3, s6
	v_bfe_u32 v4, v6, 16, 1
	v_or_b32_e32 v3, 0x400000, v6
	v_cmp_u_f32_e64 s6, v6, v6
	v_and_b32_e32 v85, 0xffff0000, v7
	v_add3_u32 v2, v4, v6, 0x7fff
	v_mul_f32_e32 v6, v46, v113
	v_cndmask_b32_e64 v39, v2, v3, s6
	v_and_b32_e32 v39, 0xffff0000, v39
	s_waitcnt vmcnt(0)
	v_mul_f32_e32 v5, v46, v5
	v_bfe_u32 v4, v5, 16, 1
	v_or_b32_e32 v3, 0x400000, v5
	v_cmp_u_f32_e64 s6, v5, v5
	v_add3_u32 v2, v4, v5, 0x7fff
	buffer_load_dword v5, off, s[0:3], s32 offset:340 ; 4-byte Folded Reload
	v_bfe_u32 v4, v6, 16, 1
	v_cndmask_b32_e64 v70, v2, v3, s6
	v_or_b32_e32 v3, 0x400000, v6
	v_add3_u32 v2, v4, v6, 0x7fff
	v_cmp_u_f32_e64 s6, v6, v6
	buffer_load_dword v6, off, s[0:3], s32 offset:336 ; 4-byte Folded Reload
	v_and_b32_e32 v70, 0xffff0000, v70
	v_cndmask_b32_e64 v71, v2, v3, s6
	v_and_b32_e32 v71, 0xffff0000, v71
	s_waitcnt vmcnt(1)
	v_mul_f32_e32 v5, v46, v5
	v_bfe_u32 v4, v5, 16, 1
	v_or_b32_e32 v3, 0x400000, v5
	v_cmp_u_f32_e64 s6, v5, v5
	v_add3_u32 v2, v4, v5, 0x7fff
	buffer_load_dword v5, off, s[0:3], s32 offset:332 ; 4-byte Folded Reload
	s_waitcnt vmcnt(1)
	v_mul_f32_e32 v6, v46, v6
	v_cndmask_b32_e64 v2, v2, v3, s6
	v_bfe_u32 v4, v6, 16, 1
	v_cmp_u_f32_e64 s6, v6, v6
	v_and_b32_e32 v2, 0xffff0000, v2
	v_add3_u32 v3, v4, v6, 0x7fff
	v_or_b32_e32 v4, 0x400000, v6
	v_cndmask_b32_e64 v3, v3, v4, s6
	v_and_b32_e32 v3, 0xffff0000, v3
	s_waitcnt vmcnt(0)
	v_mul_f32_e32 v5, v46, v5
	v_bfe_u32 v6, v5, 16, 1
	v_cmp_u_f32_e64 s6, v5, v5
	v_add3_u32 v4, v6, v5, 0x7fff
	v_or_b32_e32 v6, 0x400000, v5
	v_bfe_u32 v5, v80, 16, 1
	v_cndmask_b32_e64 v4, v4, v6, s6
	v_add3_u32 v5, v5, v80, 0x7fff
	v_or_b32_e32 v6, 0x400000, v80
	v_cmp_u_f32_e64 s6, v80, v80
	v_bfe_u32 v80, v81, 16, 1
	v_and_b32_e32 v4, 0xffff0000, v4
	v_cndmask_b32_e64 v5, v5, v6, s6
	v_add3_u32 v6, v80, v81, 0x7fff
	v_cmp_u_f32_e64 s6, v81, v81
	v_lshlrev_b32_e32 v81, 16, v28
	v_mul_f32_e32 v80, v46, v61
	v_and_b32_e32 v5, 0xffff0000, v5
	v_and_b32_e32 v28, 0xffff0000, v28
	v_cndmask_b32_e64 v6, v6, v84, s6
	v_lshlrev_b32_e32 v84, 16, v30
	v_cmp_u_f32_e64 s6, v80, v80
	v_fmac_f32_e32 v31, v81, v5
	v_bfe_u32 v5, v80, 16, 1
	v_fmac_f32_e32 v32, v28, v4
	v_and_b32_e32 v4, 0xffff0000, v29
	v_lshlrev_b32_e32 v81, 16, v29
	v_fmac_f32_e32 v31, v84, v2
	v_add3_u32 v28, v5, v80, 0x7fff
	v_and_b32_e32 v6, 0xffff0000, v6
	v_fmac_f32_e32 v24, v4, v3
	ds_read_b128 v[2:5], v96 offset:134
	v_or_b32_e32 v29, 0x400000, v80
	s_waitcnt lgkmcnt(1)
	v_lshlrev_b32_e32 v84, 16, v13
	v_fmac_f32_e32 v33, v81, v6
	v_and_b32_e32 v81, 0xffff0000, v30
	v_lshlrev_b32_e32 v30, 16, v12
	v_and_b32_e32 v12, 0xffff0000, v12
	v_cndmask_b32_e64 v7, v28, v29, s6
	v_fmac_f32_e32 v31, v84, v85
	v_fmac_f32_e32 v32, v81, v70
	;; [unrolled: 1-line block ×4, first 2 shown]
	v_and_b32_e32 v12, 0xffff0000, v13
	v_lshlrev_b32_e32 v13, 16, v14
	v_and_b32_e32 v39, 0xffff0000, v67
	v_and_b32_e32 v67, 0xffff0000, v69
	;; [unrolled: 1-line block ×3, first 2 shown]
	v_lshlrev_b32_e32 v69, 16, v15
	v_and_b32_e32 v70, 0xffff0000, v27
	ds_read_b128 v[27:30], v96 offset:150
	v_fmac_f32_e32 v32, v12, v39
	v_fmac_f32_e32 v33, v13, v67
	;; [unrolled: 1-line block ×4, first 2 shown]
	v_and_b32_e32 v13, 0xffff0000, v15
	s_waitcnt lgkmcnt(1)
	v_lshlrev_b32_e32 v12, 16, v2
	v_and_b32_e32 v14, 0xffff0000, v54
	v_and_b32_e32 v15, 0xffff0000, v55
	;; [unrolled: 1-line block ×3, first 2 shown]
	v_lshlrev_b32_e32 v54, 16, v3
	v_and_b32_e32 v3, 0xffff0000, v3
	v_fmac_f32_e32 v32, v13, v14
	v_fmac_f32_e32 v33, v12, v15
	;; [unrolled: 1-line block ×4, first 2 shown]
	v_lshlrev_b32_e32 v12, 16, v4
	v_and_b32_e32 v13, 0xffff0000, v50
	v_and_b32_e32 v14, 0xffff0000, v51
	v_lshlrev_b32_e32 v15, 16, v5
	v_and_b32_e32 v39, 0xffff0000, v49
	v_and_b32_e32 v4, 0xffff0000, v4
	v_fmac_f32_e32 v32, v3, v13
	v_fmac_f32_e32 v33, v12, v14
	v_and_b32_e32 v3, 0xffff0000, v5
	v_fmac_f32_e32 v31, v15, v39
	ds_read_b128 v[12:15], v96 offset:166
	v_fmac_f32_e32 v24, v4, v22
	s_waitcnt lgkmcnt(1)
	v_lshlrev_b32_e32 v4, 16, v27
	v_and_b32_e32 v5, 0xffff0000, v16
	v_and_b32_e32 v16, 0xffff0000, v20
	v_lshlrev_b32_e32 v22, 16, v28
	v_and_b32_e32 v20, 0xffff0000, v27
	v_and_b32_e32 v27, 0xffff0000, v48
	v_fmac_f32_e32 v32, v3, v5
	v_fmac_f32_e32 v33, v4, v16
	v_and_b32_e32 v3, 0xffff0000, v28
	v_lshlrev_b32_e32 v4, 16, v29
	v_and_b32_e32 v5, 0xffff0000, v36
	v_and_b32_e32 v16, 0xffff0000, v37
	v_fmac_f32_e32 v31, v22, v38
	v_lshlrev_b32_e32 v22, 16, v30
	v_and_b32_e32 v28, 0xffff0000, v34
	v_fmac_f32_e32 v32, v3, v5
	v_fmac_f32_e32 v33, v4, v16
	ds_read_b64 v[3:4], v96 offset:182
	v_fmac_f32_e32 v24, v20, v27
	v_and_b32_e32 v20, 0xffff0000, v29
	v_and_b32_e32 v27, 0xffff0000, v35
	v_fmac_f32_e32 v31, v22, v28
	s_waitcnt lgkmcnt(1)
	v_lshlrev_b32_e32 v16, 16, v12
	v_and_b32_e32 v22, 0xffff0000, v26
	v_mul_f32_e32 v2, v46, v68
	v_fmac_f32_e32 v24, v20, v27
	v_and_b32_e32 v5, 0xffff0000, v30
	v_and_b32_e32 v20, 0xffff0000, v23
	;; [unrolled: 1-line block ×3, first 2 shown]
	v_lshlrev_b32_e32 v23, 16, v13
	v_fmac_f32_e32 v33, v16, v22
	v_and_b32_e32 v16, 0xffff0000, v18
	ds_read_u16 v18, v96 offset:190
	v_bfe_u32 v49, v2, 16, 1
	v_fmac_f32_e32 v32, v5, v20
	v_fmac_f32_e32 v24, v12, v21
	;; [unrolled: 1-line block ×3, first 2 shown]
	v_and_b32_e32 v5, 0xffff0000, v13
	v_lshlrev_b32_e32 v12, 16, v14
	v_and_b32_e32 v13, 0xffff0000, v17
	v_and_b32_e32 v14, 0xffff0000, v14
	v_lshlrev_b32_e32 v17, 16, v15
	v_add3_u32 v29, v49, v2, 0x7fff
	v_or_b32_e32 v26, 0x400000, v2
	v_cmp_u_f32_e64 s6, v2, v2
	v_fmac_f32_e32 v32, v5, v13
	v_fmac_f32_e32 v24, v14, v11
	v_fmac_f32_e32 v31, v17, v10
	v_and_b32_e32 v5, 0xffff0000, v15
	s_waitcnt lgkmcnt(1)
	v_lshlrev_b32_e32 v10, 16, v3
	v_and_b32_e32 v3, 0xffff0000, v3
	v_lshlrev_b32_e32 v11, 16, v4
	v_xor_b32_e32 v6, 1, v86
	v_cndmask_b32_e64 v2, v29, v26, s6
	v_fmac_f32_e32 v33, v12, v16
	v_fmac_f32_e32 v32, v5, v8
	;; [unrolled: 1-line block ×3, first 2 shown]
	v_and_b32_e32 v1, 0xffff0000, v4
	v_and_b32_e32 v3, 0xffff0000, v7
	v_fmac_f32_e32 v31, v11, v0
	v_fmac_f32_e32 v33, v10, v9
	s_waitcnt lgkmcnt(0)
	v_lshlrev_b32_e32 v0, 16, v18
	v_and_b32_e32 v2, 0xffff0000, v2
	v_fmac_f32_e32 v32, v1, v3
	v_add_f32_e32 v1, v24, v31
	v_cmp_gt_i32_e64 s6, 32, v6
	v_fmac_f32_e32 v33, v0, v2
	v_add_f32_e32 v0, v1, v32
	v_cndmask_b32_e64 v3, v86, v6, s6
	v_add_f32_e32 v0, v33, v0
	v_lshlrev_b32_e32 v1, 2, v3
	ds_bpermute_b32 v1, v1, v0
	s_and_saveexec_b32 s20, vcc_lo
	s_cbranch_execz .LBB329_10
; %bb.786:                              ;   in Loop: Header=BB329_12 Depth=1
	s_clause 0x1
	buffer_load_dword v2, off, s[0:3], s32 offset:420
	buffer_load_dword v3, off, s[0:3], s32 offset:408
	s_waitcnt lgkmcnt(0)
	v_add_f32_e32 v0, v0, v1
	s_load_dword s21, s[8:9], 0x0
	s_waitcnt vmcnt(1)
	v_add_nc_u32_e32 v2, v2, v114
	v_cvt_f32_i32_e32 v2, v2
	s_waitcnt vmcnt(0)
	v_mul_f32_e32 v2, v3, v2
	buffer_load_dword v3, off, s[0:3], s32 offset:412 ; 4-byte Folded Reload
	v_cndmask_b32_e64 v1, 0, v2, s5
	buffer_load_dword v2, off, s[0:3], s32 offset:416 ; 4-byte Folded Reload
	s_waitcnt vmcnt(1)
	v_fmac_f32_e32 v1, v3, v0
	buffer_load_dword v3, off, s[0:3], s32 offset:392 ; 4-byte Folded Reload
	s_waitcnt vmcnt(1)
	v_add_nc_u32_e32 v2, v2, v114
	v_cmp_lt_i32_e64 s6, v2, v82
	s_waitcnt lgkmcnt(0)
	v_add_nc_u32_e32 v2, s21, v119
	s_waitcnt vmcnt(0)
	v_max_f32_e32 v0, v3, v3
	v_max_f32_e32 v0, v0, v1
	v_cndmask_b32_e64 v1, 0, v1, s6
	v_cndmask_b32_e64 v3, v3, v0, s6
	ds_write_b32 v2, v1
	buffer_store_dword v3, off, s[0:3], s32 offset:392 ; 4-byte Folded Spill
	s_branch .LBB329_10
.LBB329_787:
	s_or_b32 exec_lo, exec_lo, s19
	s_clause 0xf
	buffer_load_dword v32, off, s[0:3], s32 offset:428
	buffer_load_dword v29, off, s[0:3], s32 offset:432
	;; [unrolled: 1-line block ×16, first 2 shown]
.LBB329_788:
	s_or_b32 exec_lo, exec_lo, s15
	v_mbcnt_lo_u32_b32 v6, -1, 0
	s_waitcnt vmcnt(0)
	v_max_f32_e32 v4, v8, v8
	v_and_b32_e32 v14, 31, v32
	s_waitcnt lgkmcnt(0)
	s_lshr_b32 s13, s13, 16
	v_xor_b32_e32 v0, 16, v6
	v_xor_b32_e32 v1, 8, v6
	;; [unrolled: 1-line block ×3, first 2 shown]
	v_cmp_gt_i32_e32 vcc_lo, 32, v0
	v_cndmask_b32_e32 v0, v6, v0, vcc_lo
	v_cmp_gt_i32_e32 vcc_lo, 32, v1
	v_lshlrev_b32_e32 v2, 2, v0
	v_cndmask_b32_e32 v1, v6, v1, vcc_lo
	ds_bpermute_b32 v0, v2, v8
	v_lshlrev_b32_e32 v3, 2, v1
	s_waitcnt lgkmcnt(0)
	v_max_f32_e32 v0, v0, v0
	v_max_f32_e32 v0, v4, v0
	v_xor_b32_e32 v4, 4, v6
	ds_bpermute_b32 v1, v3, v0
	v_cmp_gt_i32_e32 vcc_lo, 32, v4
	v_cndmask_b32_e32 v4, v6, v4, vcc_lo
	v_cmp_gt_i32_e32 vcc_lo, 32, v5
	v_lshlrev_b32_e32 v4, 2, v4
	v_cndmask_b32_e32 v5, v6, v5, vcc_lo
	v_cmp_eq_u32_e32 vcc_lo, 0, v14
	s_waitcnt lgkmcnt(0)
	v_max_f32_e32 v1, v1, v1
	v_max_f32_e32 v0, v0, v1
	ds_bpermute_b32 v1, v4, v0
	s_waitcnt lgkmcnt(0)
	v_max_f32_e32 v1, v1, v1
	v_max_f32_e32 v0, v0, v1
	v_lshlrev_b32_e32 v1, 2, v5
	v_lshlrev_b32_e32 v5, 2, v45
	ds_bpermute_b32 v6, v1, v0
	s_and_saveexec_b32 s5, vcc_lo
	s_cbranch_execz .LBB329_790
; %bb.789:
	s_waitcnt lgkmcnt(0)
	v_max_f32_e32 v6, v6, v6
	v_max_f32_e32 v0, v0, v0
	;; [unrolled: 1-line block ×3, first 2 shown]
	ds_write_b32 v5, v0 offset:384
.LBB329_790:
	s_or_b32 exec_lo, exec_lo, s5
	v_cmp_gt_u32_e64 s5, 4, v14
	v_mov_b32_e32 v0, 0xff7fffff
	s_waitcnt lgkmcnt(0)
	v_lshlrev_b32_e32 v6, 2, v14
	s_waitcnt_vscnt null, 0x0
	s_barrier
	buffer_gl0_inv
	s_and_saveexec_b32 s6, s5
; %bb.791:
	ds_read_b32 v0, v6 offset:384
; %bb.792:
	s_or_b32 exec_lo, exec_lo, s6
	s_waitcnt lgkmcnt(0)
	ds_bpermute_b32 v7, v1, v0
	v_mbcnt_lo_u32_b32 v9, -1, 0
	v_max_f32_e32 v0, v0, v0
	v_xor_b32_e32 v8, 1, v9
	v_cmp_gt_i32_e64 s6, 32, v8
	v_cndmask_b32_e64 v8, v9, v8, s6
	s_waitcnt lgkmcnt(0)
	v_max_f32_e32 v7, v7, v7
	v_lshlrev_b32_e32 v15, 2, v8
	v_mov_b32_e32 v8, 0
	v_max_f32_e32 v0, v0, v7
	ds_bpermute_b32 v7, v15, v0
	s_waitcnt lgkmcnt(0)
	v_max_f32_e32 v7, v7, v7
	v_max_f32_e32 v0, v0, v7
	ds_bpermute_b32 v7, v8, v0
	buffer_load_dword v0, off, s[0:3], s32 offset:192 ; 4-byte Folded Reload
	s_waitcnt vmcnt(0)
	v_lshlrev_b32_e32 v0, 4, v0
	v_min_i32_e32 v0, v0, v82
	v_cmp_lt_i32_e64 s6, v32, v0
	s_and_saveexec_b32 s8, s6
	s_cbranch_execz .LBB329_796
; %bb.793:
	s_getpc_b64 s[20:21]
	s_add_u32 s20, s20, llvm.amdgcn.dynlds.offset.table@rel32@lo+4
	s_addc_u32 s21, s21, llvm.amdgcn.dynlds.offset.table@rel32@hi+12
	s_ashr_i32 s19, s18, 31
	v_mov_b32_e32 v8, 0
	s_lshl_b64 s[22:23], s[18:19], 2
	v_mov_b32_e32 v10, v32
	s_add_u32 s20, s20, s22
	s_addc_u32 s21, s21, s23
	s_mov_b32 s9, 0
	s_load_dword s7, s[20:21], 0x0
	s_waitcnt lgkmcnt(0)
	v_lshl_add_u32 v9, v32, 2, s7
	.p2align	6
.LBB329_794:                            ; =>This Inner Loop Header: Depth=1
	ds_read_b32 v12, v9
	v_add_nc_u32_e32 v10, 0x80, v10
	v_cmp_ge_i32_e64 s7, v10, v0
	s_or_b32 s9, s7, s9
	s_waitcnt lgkmcnt(0)
	v_sub_f32_e32 v12, v12, v7
	v_mul_f32_e32 v12, 0x3fb8aa3b, v12
	v_exp_f32_e32 v12, v12
	ds_write_b32 v9, v12
	v_add_f32_e32 v8, v8, v12
	v_add_nc_u32_e32 v9, 0x200, v9
	s_andn2_b32 exec_lo, exec_lo, s9
	s_cbranch_execnz .LBB329_794
; %bb.795:
	s_or_b32 exec_lo, exec_lo, s9
.LBB329_796:
	s_or_b32 exec_lo, exec_lo, s8
	ds_bpermute_b32 v2, v2, v8
	s_waitcnt lgkmcnt(0)
	v_add_f32_e32 v2, v8, v2
	ds_bpermute_b32 v3, v3, v2
	s_waitcnt lgkmcnt(0)
	v_add_f32_e32 v2, v2, v3
	;; [unrolled: 3-line block ×5, first 2 shown]
	s_and_saveexec_b32 s7, vcc_lo
; %bb.797:
	ds_write_b32 v5, v2 offset:400
; %bb.798:
	s_or_b32 exec_lo, exec_lo, s7
	s_waitcnt lgkmcnt(0)
	s_barrier
	buffer_gl0_inv
	s_and_saveexec_b32 s7, s5
; %bb.799:
	ds_read_b32 v2, v6 offset:400
; %bb.800:
	s_or_b32 exec_lo, exec_lo, s7
	s_waitcnt lgkmcnt(0)
	ds_bpermute_b32 v1, v1, v2
	s_waitcnt lgkmcnt(0)
	v_add_f32_e32 v1, v2, v1
	ds_bpermute_b32 v2, v15, v1
	s_waitcnt lgkmcnt(0)
	v_add_f32_e32 v1, v1, v2
	v_mov_b32_e32 v2, 0
	ds_bpermute_b32 v1, v2, v1
	s_and_saveexec_b32 s5, s6
	s_cbranch_execz .LBB329_803
; %bb.801:
	s_waitcnt lgkmcnt(0)
	v_add_f32_e32 v2, 0x358637bd, v1
	s_getpc_b64 s[6:7]
	s_add_u32 s6, s6, llvm.amdgcn.dynlds.offset.table@rel32@lo+4
	s_addc_u32 s7, s7, llvm.amdgcn.dynlds.offset.table@rel32@hi+12
	s_ashr_i32 s19, s18, 31
	s_lshl_b64 s[8:9], s[18:19], 2
	v_div_scale_f32 v1, null, v2, v2, 1.0
	v_div_scale_f32 v5, vcc_lo, 1.0, v2, 1.0
	s_add_u32 s6, s6, s8
	v_rcp_f32_e32 v3, v1
	s_addc_u32 s7, s7, s9
	s_load_dword s6, s[6:7], 0x0
	v_fma_f32 v4, -v1, v3, 1.0
	v_fmac_f32_e32 v3, v4, v3
	v_mul_f32_e32 v4, v5, v3
	v_fma_f32 v6, -v1, v4, v5
	v_fmac_f32_e32 v4, v6, v3
	v_fma_f32 v1, -v1, v4, v5
	v_div_fmas_f32 v3, v1, v3, v4
	s_waitcnt lgkmcnt(0)
	v_lshl_add_u32 v1, v32, 2, s6
	s_mov_b32 s6, 0
	v_div_fixup_f32 v2, v3, v2, 1.0
	v_mov_b32_e32 v3, v32
.LBB329_802:                            ; =>This Inner Loop Header: Depth=1
	ds_read_b32 v4, v1
	v_add_nc_u32_e32 v3, 0x80, v3
	v_cmp_ge_i32_e32 vcc_lo, v3, v0
	s_or_b32 s6, vcc_lo, s6
	s_waitcnt lgkmcnt(0)
	v_mul_f32_e32 v4, v2, v4
	ds_write_b32 v1, v4
	v_add_nc_u32_e32 v1, 0x200, v1
	s_andn2_b32 exec_lo, exec_lo, s6
	s_cbranch_execnz .LBB329_802
.LBB329_803:
	s_or_b32 exec_lo, exec_lo, s5
	s_waitcnt lgkmcnt(0)
	s_barrier
	buffer_gl0_inv
	s_and_saveexec_b32 s5, s4
	s_xor_b32 s4, exec_lo, s5
	s_cbranch_execz .LBB329_805
; %bb.804:
                                        ; implicit-def: $vgpr0
                                        ; kill: killed $vgpr0
	s_ashr_i32 s19, s18, 31
                                        ; implicit-def: $vgpr0
                                        ; kill: killed $vgpr0
                                        ; implicit-def: $vgpr82
                                        ; implicit-def: $vgpr21
                                        ; implicit-def: $vgpr20
                                        ; implicit-def: $vgpr18
                                        ; implicit-def: $vgpr11
                                        ; implicit-def: $vgpr26
                                        ; implicit-def: $vgpr17
                                        ; implicit-def: $vgpr31
                                        ; implicit-def: $vgpr19
                                        ; implicit-def: $vgpr13
                                        ; implicit-def: $vgpr33_vgpr34
                                        ; implicit-def: $vgpr16
                                        ; implicit-def: $vgpr0
	buffer_store_dword v0, off, s[0:3], s32 offset:200 ; 4-byte Folded Spill
	buffer_store_dword v1, off, s[0:3], s32 offset:204 ; 4-byte Folded Spill
                                        ; implicit-def: $vgpr0
                                        ; kill: killed $vgpr0
                                        ; implicit-def: $vgpr0
                                        ; kill: killed $vgpr0
	;; [unrolled: 2-line block ×3, first 2 shown]
                                        ; implicit-def: $vgpr0_vgpr1
                                        ; kill: killed $vgpr0_vgpr1
                                        ; implicit-def: $vgpr0
                                        ; kill: killed $vgpr0
                                        ; implicit-def: $vgpr0
                                        ; kill: killed $vgpr0
.LBB329_805:
	s_or_saveexec_b32 s5, s4
	v_mov_b32_e32 v2, s18
	v_mov_b32_e32 v10, 0
	;; [unrolled: 1-line block ×14, first 2 shown]
	s_xor_b32 exec_lo, exec_lo, s5
	s_cbranch_execz .LBB329_1603
; %bb.806:
	v_max_i32_e32 v51, v26, v19
	v_and_b32_e32 v0, 8, v16
	buffer_store_dword v15, off, s[0:3], s32 offset:292 ; 4-byte Folded Spill
	buffer_store_dword v14, off, s[0:3], s32 offset:288 ; 4-byte Folded Spill
	v_mov_b32_e32 v7, 0
	v_add_co_u32 v1, vcc_lo, v21, v17
	buffer_store_dword v0, off, s[0:3], s32 offset:276 ; 4-byte Folded Spill
	v_cvt_f32_u32_e32 v0, v51
	buffer_store_dword v7, off, s[0:3], s32 offset:224 ; 4-byte Folded Spill
	v_mov_b32_e32 v7, 0
	v_and_b32_e32 v3, 0xf8, v16
	v_sub_nc_u32_e32 v6, 0, v51
	v_rcp_iflag_f32_e32 v0, v0
	v_add_co_ci_u32_e64 v2, null, v20, v31, vcc_lo
	buffer_store_dword v7, off, s[0:3], s32 offset:228 ; 4-byte Folded Spill
	v_mov_b32_e32 v7, 0
	v_add_co_u32 v1, vcc_lo, v1, v3
	v_add_co_ci_u32_e64 v2, null, 0, v2, vcc_lo
	buffer_store_dword v7, off, s[0:3], s32 offset:232 ; 4-byte Folded Spill
	v_mul_f32_e32 v0, 0x4f7ffffe, v0
	v_mov_b32_e32 v7, 0
	v_and_b32_e32 v5, 0x7c, v13
	v_and_b32_e32 v4, 1, v32
	v_mov_b32_e32 v68, v45
	v_cvt_u32_f32_e32 v0, v0
	buffer_store_dword v7, off, s[0:3], s32 offset:236 ; 4-byte Folded Spill
	buffer_store_dword v1, off, s[0:3], s32 offset:280 ; 4-byte Folded Spill
	buffer_store_dword v2, off, s[0:3], s32 offset:284 ; 4-byte Folded Spill
	v_add_co_u32 v3, vcc_lo, v5, v33
	v_mul_lo_u32 v6, v6, v0
	v_lshlrev_b32_e32 v1, 5, v4
	v_add_co_ci_u32_e64 v4, null, 0, v34, vcc_lo
	s_ashr_i32 s19, s18, 31
	v_add_co_u32 v19, vcc_lo, v18, v3
	s_getpc_b64 s[8:9]
	s_add_u32 s8, s8, llvm.amdgcn.dynlds.offset.table@rel32@lo+4
	s_addc_u32 s9, s9, llvm.amdgcn.dynlds.offset.table@rel32@hi+12
	v_mul_hi_u32 v2, v0, v6
	v_mov_b32_e32 v12, 0
	v_mov_b32_e32 v55, 0x80
	;; [unrolled: 1-line block ×4, first 2 shown]
	s_lshl_b64 s[20:21], s[18:19], 2
	v_lshl_or_b32 v52, v68, 6, v1
	v_add_co_ci_u32_e64 v20, null, v11, v4, vcc_lo
	v_add_nc_u32_e32 v0, v0, v2
	buffer_load_dword v2, off, s[0:3], s32 offset:448 ; 4-byte Folded Reload
	s_mov_b32 s6, -1
	s_add_u32 s8, s8, s20
	s_mov_b32 s7, 0xffffff
	buffer_store_dword v0, off, s[0:3], s32 offset:268 ; 4-byte Folded Spill
	v_mov_b32_e32 v0, 0
	s_mov_b32 s15, 0
	s_addc_u32 s9, s9, s21
	buffer_store_dword v0, off, s[0:3], s32 offset:240 ; 4-byte Folded Spill
	v_mov_b32_e32 v0, 0
	buffer_store_dword v0, off, s[0:3], s32 offset:244 ; 4-byte Folded Spill
	v_mov_b32_e32 v0, 0
	;; [unrolled: 2-line block ×6, first 2 shown]
	buffer_store_dword v0, off, s[0:3], s32 offset:260 ; 4-byte Folded Spill
	s_branch .LBB329_809
.LBB329_807:                            ;   in Loop: Header=BB329_809 Depth=1
	s_or_b32 exec_lo, exec_lo, s4
	v_bfe_u32 v50, v6, 16, 1
	v_or_b32_e32 v64, 0x400000, v6
	v_cmp_u_f32_e32 vcc_lo, v6, v6
	v_lshlrev_b32_e32 v49, 16, v49
	v_lshlrev_b32_e32 v37, 16, v37
	v_add3_u32 v50, v50, v6, 0x7fff
	v_bfe_u32 v6, v7, 16, 1
	v_lshlrev_b32_e32 v30, 16, v30
	v_lshlrev_b32_e32 v31, 16, v31
	;; [unrolled: 1-line block ×3, first 2 shown]
	v_cndmask_b32_e32 v50, v50, v64, vcc_lo
	v_add3_u32 v6, v6, v7, 0x7fff
	v_or_b32_e32 v64, 0x400000, v7
	v_cmp_u_f32_e32 vcc_lo, v7, v7
	v_lshlrev_b32_e32 v21, 16, v21
	v_lshlrev_b32_e32 v13, 16, v13
	;; [unrolled: 1-line block ×4, first 2 shown]
	v_cndmask_b32_e32 v7, v6, v64, vcc_lo
	v_bfe_u32 v6, v8, 16, 1
	v_or_b32_e32 v64, 0x400000, v8
	v_cmp_u_f32_e32 vcc_lo, v8, v8
	v_lshlrev_b32_e32 v18, 16, v18
	v_and_b32_e32 v7, 0xffff0000, v7
	v_add3_u32 v6, v6, v8, 0x7fff
	v_bfe_u32 v8, v9, 16, 1
	v_lshlrev_b32_e32 v0, 16, v0
	v_lshlrev_b32_e32 v1, 16, v1
	v_mul_f32_e32 v30, v7, v30
	v_cndmask_b32_e32 v6, v6, v64, vcc_lo
	v_add3_u32 v8, v8, v9, 0x7fff
	v_or_b32_e32 v64, 0x400000, v9
	v_cmp_u_f32_e32 vcc_lo, v9, v9
	v_bfe_u32 v9, v2, 16, 1
	v_lshlrev_b32_e32 v17, 16, v17
	v_cndmask_b32_e32 v8, v8, v64, vcc_lo
	v_add3_u32 v9, v9, v2, 0x7fff
	v_or_b32_e32 v64, 0x400000, v2
	v_cmp_u_f32_e32 vcc_lo, v2, v2
	v_cndmask_b32_e32 v2, v9, v64, vcc_lo
	v_bfe_u32 v9, v3, 16, 1
	v_or_b32_e32 v64, 0x400000, v3
	v_cmp_u_f32_e32 vcc_lo, v3, v3
	v_add3_u32 v9, v9, v3, 0x7fff
	v_cndmask_b32_e32 v3, v9, v64, vcc_lo
	v_bfe_u32 v9, v4, 16, 1
	v_or_b32_e32 v64, 0x400000, v4
	v_cmp_u_f32_e32 vcc_lo, v4, v4
	v_and_b32_e32 v3, 0xffff0000, v3
	v_add3_u32 v9, v9, v4, 0x7fff
	v_mul_f32_e32 v16, v3, v16
	v_cndmask_b32_e32 v4, v9, v64, vcc_lo
	v_bfe_u32 v9, v5, 16, 1
	v_or_b32_e32 v64, 0x400000, v5
	v_cmp_u_f32_e32 vcc_lo, v5, v5
	v_mul_f32_e32 v0, v3, v0
	v_and_b32_e32 v4, 0xffff0000, v4
	v_add3_u32 v9, v9, v5, 0x7fff
	v_lshlrev_b32_e32 v5, 16, v38
	v_mul_f32_e32 v37, v4, v37
	v_cndmask_b32_e32 v64, v9, v64, vcc_lo
	v_mul_f32_e32 v5, v7, v5
	v_mul_f32_e32 v17, v4, v17
	v_bfe_u32 v9, v5, 16, 1
	v_or_b32_e32 v38, 0x400000, v5
	v_cmp_u_f32_e32 vcc_lo, v5, v5
	v_add3_u32 v9, v9, v5, 0x7fff
	v_lshlrev_b32_e32 v5, 16, v48
	v_cndmask_b32_e32 v38, v9, v38, vcc_lo
	v_and_b32_e32 v9, 0xffff0000, v50
	v_and_b32_e32 v38, 0xffff0000, v38
	v_mul_f32_e32 v5, v9, v5
	v_mul_f32_e32 v31, v9, v31
	v_bfe_u32 v48, v5, 16, 1
	v_or_b32_e32 v50, 0x400000, v5
	v_cmp_u_f32_e32 vcc_lo, v5, v5
	v_add3_u32 v48, v48, v5, 0x7fff
	v_and_b32_e32 v5, 0xffff0000, v8
	v_lshlrev_b32_e32 v8, 16, v35
	v_cndmask_b32_e32 v48, v48, v50, vcc_lo
	v_mul_f32_e32 v14, v5, v14
	v_mul_f32_e32 v8, v5, v8
	v_and_b32_e32 v48, 0xffff0000, v48
	v_bfe_u32 v35, v8, 16, 1
	v_or_b32_e32 v50, 0x400000, v8
	v_cmp_u_f32_e32 vcc_lo, v8, v8
	v_add_f32_e32 v38, v48, v38
	v_add3_u32 v35, v35, v8, 0x7fff
	v_and_b32_e32 v8, 0xffff0000, v6
	v_lshlrev_b32_e32 v6, 16, v36
	v_cndmask_b32_e32 v35, v35, v50, vcc_lo
	v_mul_f32_e32 v21, v8, v21
	v_mul_f32_e32 v6, v8, v6
	v_and_b32_e32 v35, 0xffff0000, v35
	v_bfe_u32 v36, v6, 16, 1
	v_or_b32_e32 v50, 0x400000, v6
	v_cmp_u_f32_e32 vcc_lo, v6, v6
	v_add3_u32 v36, v36, v6, 0x7fff
	v_lshlrev_b32_e32 v6, 16, v33
	v_cndmask_b32_e32 v36, v36, v50, vcc_lo
	v_mul_f32_e32 v6, v3, v6
	v_and_b32_e32 v36, 0xffff0000, v36
	v_bfe_u32 v33, v6, 16, 1
	v_or_b32_e32 v50, 0x400000, v6
	v_cmp_u_f32_e32 vcc_lo, v6, v6
	v_add_f32_e32 v35, v36, v35
	v_add3_u32 v33, v33, v6, 0x7fff
	v_and_b32_e32 v6, 0xffff0000, v2
	v_lshlrev_b32_e32 v2, 16, v34
	v_add_f32_e32 v35, v38, v35
	v_cndmask_b32_e32 v33, v33, v50, vcc_lo
	v_mul_f32_e32 v13, v6, v13
	v_mul_f32_e32 v2, v6, v2
	;; [unrolled: 1-line block ×4, first 2 shown]
	v_and_b32_e32 v33, 0xffff0000, v33
	v_bfe_u32 v34, v2, 16, 1
	v_or_b32_e32 v50, 0x400000, v2
	v_cmp_u_f32_e32 vcc_lo, v2, v2
	v_add3_u32 v34, v34, v2, 0x7fff
	v_and_b32_e32 v2, 0xffff0000, v64
	v_cndmask_b32_e32 v34, v34, v50, vcc_lo
	v_mul_f32_e32 v49, v2, v49
	v_mul_f32_e32 v32, v2, v32
	v_and_b32_e32 v34, 0xffff0000, v34
	v_bfe_u32 v50, v49, 16, 1
	v_or_b32_e32 v64, 0x400000, v49
	v_cmp_u_f32_e32 vcc_lo, v49, v49
	v_add_f32_e32 v33, v34, v33
	v_add3_u32 v50, v50, v49, 0x7fff
	v_add_f32_e32 v33, v35, v33
	v_cndmask_b32_e32 v49, v50, v64, vcc_lo
	v_bfe_u32 v50, v37, 16, 1
	v_or_b32_e32 v64, 0x400000, v37
	v_cmp_u_f32_e32 vcc_lo, v37, v37
	v_and_b32_e32 v35, 0xffff0000, v49
	v_add3_u32 v50, v50, v37, 0x7fff
	v_cndmask_b32_e32 v37, v50, v64, vcc_lo
	v_cmp_u_f32_e32 vcc_lo, v30, v30
	v_and_b32_e32 v34, 0xffff0000, v37
	v_add_f32_e32 v34, v34, v35
	v_add_f32_e32 v33, v33, v34
	buffer_load_dword v34, off, s[0:3], s32 offset:224 ; 4-byte Folded Reload
	s_waitcnt vmcnt(0)
	v_add_f32_e32 v34, v34, v33
	v_bfe_u32 v33, v30, 16, 1
	buffer_store_dword v34, off, s[0:3], s32 offset:224 ; 4-byte Folded Spill
	v_add3_u32 v33, v33, v30, 0x7fff
	v_or_b32_e32 v34, 0x400000, v30
	v_cndmask_b32_e32 v30, v33, v34, vcc_lo
	v_bfe_u32 v33, v31, 16, 1
	v_or_b32_e32 v34, 0x400000, v31
	v_cmp_u_f32_e32 vcc_lo, v31, v31
	v_and_b32_e32 v30, 0xffff0000, v30
	v_add3_u32 v33, v33, v31, 0x7fff
	v_cndmask_b32_e32 v31, v33, v34, vcc_lo
	v_bfe_u32 v33, v14, 16, 1
	v_or_b32_e32 v34, 0x400000, v14
	v_cmp_u_f32_e32 vcc_lo, v14, v14
	v_and_b32_e32 v31, 0xffff0000, v31
	v_add3_u32 v33, v33, v14, 0x7fff
	v_add_f32_e32 v30, v31, v30
	v_cndmask_b32_e32 v14, v33, v34, vcc_lo
	v_bfe_u32 v33, v21, 16, 1
	v_or_b32_e32 v34, 0x400000, v21
	v_cmp_u_f32_e32 vcc_lo, v21, v21
	v_and_b32_e32 v14, 0xffff0000, v14
	v_add3_u32 v33, v33, v21, 0x7fff
	v_cndmask_b32_e32 v21, v33, v34, vcc_lo
	v_lshlrev_b32_e32 v33, 16, v85
	v_and_b32_e32 v21, 0xffff0000, v21
	v_mul_f32_e32 v33, v3, v33
	v_add_f32_e32 v14, v21, v14
	v_bfe_u32 v34, v33, 16, 1
	v_or_b32_e32 v35, 0x400000, v33
	v_cmp_u_f32_e32 vcc_lo, v33, v33
	v_add_f32_e32 v14, v30, v14
	v_add3_u32 v34, v34, v33, 0x7fff
	v_cndmask_b32_e32 v33, v34, v35, vcc_lo
	v_bfe_u32 v34, v13, 16, 1
	v_or_b32_e32 v35, 0x400000, v13
	v_cmp_u_f32_e32 vcc_lo, v13, v13
	v_and_b32_e32 v21, 0xffff0000, v33
	v_add3_u32 v34, v34, v13, 0x7fff
	v_cndmask_b32_e32 v13, v34, v35, vcc_lo
	v_bfe_u32 v34, v32, 16, 1
	v_or_b32_e32 v35, 0x400000, v32
	v_cmp_u_f32_e32 vcc_lo, v32, v32
	v_and_b32_e32 v13, 0xffff0000, v13
	v_add3_u32 v34, v34, v32, 0x7fff
	v_add_f32_e32 v13, v13, v21
	v_cndmask_b32_e32 v32, v34, v35, vcc_lo
	v_lshlrev_b32_e32 v34, 16, v53
	v_add_f32_e32 v13, v14, v13
	v_and_b32_e32 v21, 0xffff0000, v32
	v_mul_f32_e32 v34, v4, v34
	v_bfe_u32 v35, v34, 16, 1
	v_or_b32_e32 v36, 0x400000, v34
	v_cmp_u_f32_e32 vcc_lo, v34, v34
	v_add3_u32 v35, v35, v34, 0x7fff
	v_cndmask_b32_e32 v34, v35, v36, vcc_lo
	v_and_b32_e32 v14, 0xffff0000, v34
	v_add_f32_e32 v14, v14, v21
	v_add_f32_e32 v13, v13, v14
	buffer_load_dword v14, off, s[0:3], s32 offset:228 ; 4-byte Folded Reload
	s_waitcnt vmcnt(0)
	v_add_f32_e32 v14, v14, v13
	v_lshlrev_b32_e32 v13, 16, v86
	buffer_store_dword v14, off, s[0:3], s32 offset:228 ; 4-byte Folded Spill
	v_mul_f32_e32 v13, v7, v13
	v_bfe_u32 v14, v13, 16, 1
	v_or_b32_e32 v21, 0x400000, v13
	v_cmp_u_f32_e32 vcc_lo, v13, v13
	v_add3_u32 v14, v14, v13, 0x7fff
	v_cndmask_b32_e32 v13, v14, v21, vcc_lo
	v_lshlrev_b32_e32 v14, 16, v96
	v_and_b32_e32 v13, 0xffff0000, v13
	v_mul_f32_e32 v14, v9, v14
	v_bfe_u32 v21, v14, 16, 1
	v_or_b32_e32 v30, 0x400000, v14
	v_cmp_u_f32_e32 vcc_lo, v14, v14
	v_add3_u32 v21, v21, v14, 0x7fff
	v_cndmask_b32_e32 v14, v21, v30, vcc_lo
	v_lshlrev_b32_e32 v21, 16, v22
	v_and_b32_e32 v14, 0xffff0000, v14
	v_mul_f32_e32 v21, v5, v21
	v_add_f32_e32 v13, v14, v13
	v_bfe_u32 v22, v21, 16, 1
	v_or_b32_e32 v30, 0x400000, v21
	v_cmp_u_f32_e32 vcc_lo, v21, v21
	v_add3_u32 v22, v22, v21, 0x7fff
	v_cndmask_b32_e32 v21, v22, v30, vcc_lo
	v_lshlrev_b32_e32 v22, 16, v23
	v_and_b32_e32 v21, 0xffff0000, v21
	v_mul_f32_e32 v22, v8, v22
	v_bfe_u32 v23, v22, 16, 1
	v_or_b32_e32 v30, 0x400000, v22
	v_cmp_u_f32_e32 vcc_lo, v22, v22
	v_add3_u32 v23, v23, v22, 0x7fff
	v_cndmask_b32_e32 v22, v23, v30, vcc_lo
	v_bfe_u32 v23, v16, 16, 1
	v_or_b32_e32 v30, 0x400000, v16
	v_cmp_u_f32_e32 vcc_lo, v16, v16
	v_and_b32_e32 v14, 0xffff0000, v22
	v_add3_u32 v23, v23, v16, 0x7fff
	v_add_f32_e32 v14, v14, v21
	v_cndmask_b32_e32 v16, v23, v30, vcc_lo
	v_bfe_u32 v23, v18, 16, 1
	v_or_b32_e32 v30, 0x400000, v18
	v_cmp_u_f32_e32 vcc_lo, v18, v18
	v_add_f32_e32 v13, v13, v14
	v_and_b32_e32 v16, 0xffff0000, v16
	v_add3_u32 v23, v23, v18, 0x7fff
	v_cndmask_b32_e32 v18, v23, v30, vcc_lo
	v_lshlrev_b32_e32 v23, 16, v54
	v_and_b32_e32 v14, 0xffff0000, v18
	v_mul_f32_e32 v23, v2, v23
	v_add_f32_e32 v14, v14, v16
	v_bfe_u32 v30, v23, 16, 1
	v_or_b32_e32 v31, 0x400000, v23
	v_cmp_u_f32_e32 vcc_lo, v23, v23
	v_add_f32_e32 v13, v13, v14
	v_add3_u32 v30, v30, v23, 0x7fff
	v_cndmask_b32_e32 v23, v30, v31, vcc_lo
	v_lshlrev_b32_e32 v30, 16, v84
	v_and_b32_e32 v16, 0xffff0000, v23
	v_mul_f32_e32 v30, v4, v30
	v_bfe_u32 v31, v30, 16, 1
	v_or_b32_e32 v32, 0x400000, v30
	v_cmp_u_f32_e32 vcc_lo, v30, v30
	v_add3_u32 v31, v31, v30, 0x7fff
	v_cndmask_b32_e32 v30, v31, v32, vcc_lo
	v_and_b32_e32 v14, 0xffff0000, v30
	v_add_f32_e32 v14, v14, v16
	v_add_f32_e32 v13, v13, v14
	buffer_load_dword v14, off, s[0:3], s32 offset:232 ; 4-byte Folded Reload
	s_waitcnt vmcnt(0)
	v_add_f32_e32 v14, v14, v13
	v_lshlrev_b32_e32 v13, 16, v127
	buffer_store_dword v14, off, s[0:3], s32 offset:232 ; 4-byte Folded Spill
	v_mul_f32_e32 v13, v7, v13
	v_bfe_u32 v14, v13, 16, 1
	v_or_b32_e32 v16, 0x400000, v13
	v_cmp_u_f32_e32 vcc_lo, v13, v13
	v_add3_u32 v14, v14, v13, 0x7fff
	v_cndmask_b32_e32 v13, v14, v16, vcc_lo
	v_lshlrev_b32_e32 v14, 16, v15
	v_and_b32_e32 v13, 0xffff0000, v13
	v_mul_f32_e32 v14, v9, v14
	v_bfe_u32 v15, v14, 16, 1
	v_or_b32_e32 v16, 0x400000, v14
	v_cmp_u_f32_e32 vcc_lo, v14, v14
	v_add3_u32 v15, v15, v14, 0x7fff
	v_cndmask_b32_e32 v14, v15, v16, vcc_lo
	v_lshlrev_b32_e32 v15, 16, v39
	v_and_b32_e32 v14, 0xffff0000, v14
	v_mul_f32_e32 v15, v5, v15
	v_add_f32_e32 v13, v14, v13
	v_bfe_u32 v16, v15, 16, 1
	v_or_b32_e32 v18, 0x400000, v15
	v_cmp_u_f32_e32 vcc_lo, v15, v15
	v_add3_u32 v16, v16, v15, 0x7fff
	v_cndmask_b32_e32 v15, v16, v18, vcc_lo
	v_lshlrev_b32_e32 v16, 16, v81
	v_and_b32_e32 v15, 0xffff0000, v15
	v_mul_f32_e32 v16, v8, v16
	v_bfe_u32 v18, v16, 16, 1
	v_or_b32_e32 v21, 0x400000, v16
	v_cmp_u_f32_e32 vcc_lo, v16, v16
	v_add3_u32 v18, v18, v16, 0x7fff
	v_cndmask_b32_e32 v16, v18, v21, vcc_lo
	v_bfe_u32 v18, v0, 16, 1
	v_or_b32_e32 v21, 0x400000, v0
	v_cmp_u_f32_e32 vcc_lo, v0, v0
	v_and_b32_e32 v14, 0xffff0000, v16
	v_add3_u32 v18, v18, v0, 0x7fff
	v_add_f32_e32 v14, v14, v15
	v_cndmask_b32_e32 v0, v18, v21, vcc_lo
	v_bfe_u32 v18, v1, 16, 1
	v_or_b32_e32 v21, 0x400000, v1
	v_cmp_u_f32_e32 vcc_lo, v1, v1
	v_add_f32_e32 v13, v13, v14
	v_and_b32_e32 v0, 0xffff0000, v0
	v_add3_u32 v18, v18, v1, 0x7fff
	v_cndmask_b32_e32 v1, v18, v21, vcc_lo
	v_lshlrev_b32_e32 v18, 16, v80
	v_and_b32_e32 v1, 0xffff0000, v1
	v_mul_f32_e32 v18, v2, v18
	v_add_f32_e32 v0, v1, v0
	v_bfe_u32 v21, v18, 16, 1
	v_or_b32_e32 v22, 0x400000, v18
	v_cmp_u_f32_e32 vcc_lo, v18, v18
	v_add_f32_e32 v0, v13, v0
	v_add3_u32 v21, v21, v18, 0x7fff
	v_cndmask_b32_e32 v18, v21, v22, vcc_lo
	v_bfe_u32 v21, v17, 16, 1
	v_or_b32_e32 v22, 0x400000, v17
	v_cmp_u_f32_e32 vcc_lo, v17, v17
	v_and_b32_e32 v13, 0xffff0000, v18
	v_add3_u32 v21, v21, v17, 0x7fff
	v_cndmask_b32_e32 v17, v21, v22, vcc_lo
	v_and_b32_e32 v1, 0xffff0000, v17
	v_add_f32_e32 v1, v1, v13
	v_add_f32_e32 v0, v0, v1
	buffer_load_dword v1, off, s[0:3], s32 offset:236 ; 4-byte Folded Reload
	s_waitcnt vmcnt(0)
	v_add_f32_e32 v1, v1, v0
	v_lshlrev_b32_e32 v0, 16, v124
	buffer_store_dword v1, off, s[0:3], s32 offset:236 ; 4-byte Folded Spill
	v_mul_f32_e32 v0, v7, v0
	v_bfe_u32 v1, v0, 16, 1
	v_or_b32_e32 v13, 0x400000, v0
	v_cmp_u_f32_e32 vcc_lo, v0, v0
	v_add3_u32 v1, v1, v0, 0x7fff
	v_cndmask_b32_e32 v0, v1, v13, vcc_lo
	v_lshlrev_b32_e32 v1, 16, v125
	v_and_b32_e32 v0, 0xffff0000, v0
	v_mul_f32_e32 v1, v9, v1
	v_bfe_u32 v13, v1, 16, 1
	v_or_b32_e32 v14, 0x400000, v1
	v_cmp_u_f32_e32 vcc_lo, v1, v1
	v_add3_u32 v13, v13, v1, 0x7fff
	v_cndmask_b32_e32 v1, v13, v14, vcc_lo
	v_lshlrev_b32_e32 v13, 16, v121
	v_and_b32_e32 v1, 0xffff0000, v1
	v_mul_f32_e32 v13, v5, v13
	v_add_f32_e32 v0, v1, v0
	v_bfe_u32 v14, v13, 16, 1
	v_or_b32_e32 v15, 0x400000, v13
	v_cmp_u_f32_e32 vcc_lo, v13, v13
	v_add3_u32 v14, v14, v13, 0x7fff
	v_cndmask_b32_e32 v13, v14, v15, vcc_lo
	v_lshlrev_b32_e32 v14, 16, v122
	v_and_b32_e32 v13, 0xffff0000, v13
	v_mul_f32_e32 v14, v8, v14
	v_bfe_u32 v15, v14, 16, 1
	v_or_b32_e32 v16, 0x400000, v14
	v_cmp_u_f32_e32 vcc_lo, v14, v14
	v_add3_u32 v15, v15, v14, 0x7fff
	v_cndmask_b32_e32 v14, v15, v16, vcc_lo
	v_lshlrev_b32_e32 v15, 16, v111
	v_and_b32_e32 v1, 0xffff0000, v14
	v_mul_f32_e32 v15, v3, v15
	v_add_f32_e32 v1, v1, v13
	v_bfe_u32 v16, v15, 16, 1
	v_or_b32_e32 v17, 0x400000, v15
	v_cmp_u_f32_e32 vcc_lo, v15, v15
	v_add_f32_e32 v0, v0, v1
	v_add3_u32 v16, v16, v15, 0x7fff
	v_cndmask_b32_e32 v15, v16, v17, vcc_lo
	v_lshlrev_b32_e32 v16, 16, v120
	v_and_b32_e32 v13, 0xffff0000, v15
	v_mul_f32_e32 v16, v6, v16
	v_bfe_u32 v17, v16, 16, 1
	v_or_b32_e32 v18, 0x400000, v16
	v_cmp_u_f32_e32 vcc_lo, v16, v16
	v_add3_u32 v17, v17, v16, 0x7fff
	v_cndmask_b32_e32 v16, v17, v18, vcc_lo
	v_lshlrev_b32_e32 v17, 16, v126
	v_and_b32_e32 v1, 0xffff0000, v16
	v_mul_f32_e32 v17, v2, v17
	v_add_f32_e32 v1, v1, v13
	v_bfe_u32 v18, v17, 16, 1
	v_or_b32_e32 v21, 0x400000, v17
	v_cmp_u_f32_e32 vcc_lo, v17, v17
	v_add_f32_e32 v0, v0, v1
	v_add3_u32 v18, v18, v17, 0x7fff
	v_cndmask_b32_e32 v17, v18, v21, vcc_lo
	v_lshlrev_b32_e32 v18, 16, v123
	v_and_b32_e32 v13, 0xffff0000, v17
	v_mul_f32_e32 v18, v4, v18
	v_bfe_u32 v21, v18, 16, 1
	v_or_b32_e32 v22, 0x400000, v18
	v_cmp_u_f32_e32 vcc_lo, v18, v18
	v_add3_u32 v21, v21, v18, 0x7fff
	v_cndmask_b32_e32 v18, v21, v22, vcc_lo
	v_and_b32_e32 v1, 0xffff0000, v18
	v_add_f32_e32 v1, v1, v13
	v_add_f32_e32 v0, v0, v1
	buffer_load_dword v1, off, s[0:3], s32 offset:240 ; 4-byte Folded Reload
	s_waitcnt vmcnt(0)
	v_add_f32_e32 v1, v1, v0
	v_lshlrev_b32_e32 v0, 16, v110
	buffer_store_dword v1, off, s[0:3], s32 offset:240 ; 4-byte Folded Spill
	v_mul_f32_e32 v0, v7, v0
	v_bfe_u32 v1, v0, 16, 1
	v_or_b32_e32 v13, 0x400000, v0
	v_cmp_u_f32_e32 vcc_lo, v0, v0
	v_add3_u32 v1, v1, v0, 0x7fff
	v_cndmask_b32_e32 v0, v1, v13, vcc_lo
	v_lshlrev_b32_e32 v1, 16, v109
	v_and_b32_e32 v0, 0xffff0000, v0
	v_mul_f32_e32 v1, v9, v1
	v_bfe_u32 v13, v1, 16, 1
	v_or_b32_e32 v14, 0x400000, v1
	v_cmp_u_f32_e32 vcc_lo, v1, v1
	v_add3_u32 v13, v13, v1, 0x7fff
	v_cndmask_b32_e32 v1, v13, v14, vcc_lo
	v_lshlrev_b32_e32 v13, 16, v107
	v_and_b32_e32 v1, 0xffff0000, v1
	v_mul_f32_e32 v13, v5, v13
	v_add_f32_e32 v0, v1, v0
	v_bfe_u32 v14, v13, 16, 1
	v_or_b32_e32 v15, 0x400000, v13
	v_cmp_u_f32_e32 vcc_lo, v13, v13
	v_add3_u32 v14, v14, v13, 0x7fff
	v_cndmask_b32_e32 v13, v14, v15, vcc_lo
	v_lshlrev_b32_e32 v14, 16, v108
	v_and_b32_e32 v13, 0xffff0000, v13
	v_mul_f32_e32 v14, v8, v14
	v_bfe_u32 v15, v14, 16, 1
	v_or_b32_e32 v16, 0x400000, v14
	v_cmp_u_f32_e32 vcc_lo, v14, v14
	v_add3_u32 v15, v15, v14, 0x7fff
	v_cndmask_b32_e32 v14, v15, v16, vcc_lo
	v_lshlrev_b32_e32 v15, 16, v104
	v_and_b32_e32 v1, 0xffff0000, v14
	v_mul_f32_e32 v15, v3, v15
	v_add_f32_e32 v1, v1, v13
	v_bfe_u32 v16, v15, 16, 1
	v_or_b32_e32 v17, 0x400000, v15
	v_cmp_u_f32_e32 vcc_lo, v15, v15
	v_add_f32_e32 v0, v0, v1
	v_add3_u32 v16, v16, v15, 0x7fff
	v_cndmask_b32_e32 v15, v16, v17, vcc_lo
	v_lshlrev_b32_e32 v16, 16, v95
	v_and_b32_e32 v13, 0xffff0000, v15
	v_mul_f32_e32 v16, v6, v16
	v_bfe_u32 v17, v16, 16, 1
	v_or_b32_e32 v18, 0x400000, v16
	v_cmp_u_f32_e32 vcc_lo, v16, v16
	v_add3_u32 v17, v17, v16, 0x7fff
	v_cndmask_b32_e32 v16, v17, v18, vcc_lo
	v_lshlrev_b32_e32 v17, 16, v106
	v_and_b32_e32 v1, 0xffff0000, v16
	v_mul_f32_e32 v17, v2, v17
	v_add_f32_e32 v1, v1, v13
	v_bfe_u32 v18, v17, 16, 1
	v_or_b32_e32 v21, 0x400000, v17
	v_cmp_u_f32_e32 vcc_lo, v17, v17
	v_add_f32_e32 v0, v0, v1
	v_add3_u32 v18, v18, v17, 0x7fff
	v_cndmask_b32_e32 v17, v18, v21, vcc_lo
	v_lshlrev_b32_e32 v18, 16, v105
	v_and_b32_e32 v13, 0xffff0000, v17
	v_mul_f32_e32 v18, v4, v18
	v_bfe_u32 v21, v18, 16, 1
	v_or_b32_e32 v22, 0x400000, v18
	v_cmp_u_f32_e32 vcc_lo, v18, v18
	v_add3_u32 v21, v21, v18, 0x7fff
	v_cndmask_b32_e32 v18, v21, v22, vcc_lo
	v_and_b32_e32 v1, 0xffff0000, v18
	v_add_f32_e32 v1, v1, v13
	v_add_f32_e32 v0, v0, v1
	buffer_load_dword v1, off, s[0:3], s32 offset:244 ; 4-byte Folded Reload
	s_waitcnt vmcnt(0)
	v_add_f32_e32 v1, v1, v0
	v_lshlrev_b32_e32 v0, 16, v94
	buffer_store_dword v1, off, s[0:3], s32 offset:244 ; 4-byte Folded Spill
	v_mul_f32_e32 v0, v7, v0
	v_bfe_u32 v1, v0, 16, 1
	v_or_b32_e32 v13, 0x400000, v0
	v_cmp_u_f32_e32 vcc_lo, v0, v0
	v_add3_u32 v1, v1, v0, 0x7fff
	v_cndmask_b32_e32 v0, v1, v13, vcc_lo
	v_lshlrev_b32_e32 v1, 16, v93
	v_and_b32_e32 v0, 0xffff0000, v0
	v_mul_f32_e32 v1, v9, v1
	v_bfe_u32 v13, v1, 16, 1
	v_or_b32_e32 v14, 0x400000, v1
	v_cmp_u_f32_e32 vcc_lo, v1, v1
	v_add3_u32 v13, v13, v1, 0x7fff
	v_cndmask_b32_e32 v1, v13, v14, vcc_lo
	v_lshlrev_b32_e32 v13, 16, v91
	v_and_b32_e32 v1, 0xffff0000, v1
	v_mul_f32_e32 v13, v5, v13
	v_add_f32_e32 v0, v1, v0
	v_bfe_u32 v14, v13, 16, 1
	v_or_b32_e32 v15, 0x400000, v13
	v_cmp_u_f32_e32 vcc_lo, v13, v13
	v_add3_u32 v14, v14, v13, 0x7fff
	v_cndmask_b32_e32 v13, v14, v15, vcc_lo
	v_lshlrev_b32_e32 v14, 16, v92
	v_and_b32_e32 v13, 0xffff0000, v13
	v_mul_f32_e32 v14, v8, v14
	v_bfe_u32 v15, v14, 16, 1
	v_or_b32_e32 v16, 0x400000, v14
	v_cmp_u_f32_e32 vcc_lo, v14, v14
	v_add3_u32 v15, v15, v14, 0x7fff
	v_cndmask_b32_e32 v14, v15, v16, vcc_lo
	v_lshlrev_b32_e32 v15, 16, v88
	v_and_b32_e32 v1, 0xffff0000, v14
	v_mul_f32_e32 v15, v3, v15
	v_add_f32_e32 v1, v1, v13
	v_bfe_u32 v16, v15, 16, 1
	v_or_b32_e32 v17, 0x400000, v15
	v_cmp_u_f32_e32 vcc_lo, v15, v15
	v_add_f32_e32 v0, v0, v1
	v_add3_u32 v16, v16, v15, 0x7fff
	v_cndmask_b32_e32 v15, v16, v17, vcc_lo
	v_lshlrev_b32_e32 v16, 16, v79
	v_and_b32_e32 v13, 0xffff0000, v15
	v_mul_f32_e32 v16, v6, v16
	v_bfe_u32 v17, v16, 16, 1
	v_or_b32_e32 v18, 0x400000, v16
	v_cmp_u_f32_e32 vcc_lo, v16, v16
	v_add3_u32 v17, v17, v16, 0x7fff
	v_cndmask_b32_e32 v16, v17, v18, vcc_lo
	v_lshlrev_b32_e32 v17, 16, v90
	v_and_b32_e32 v1, 0xffff0000, v16
	v_mul_f32_e32 v17, v2, v17
	v_add_f32_e32 v1, v1, v13
	v_bfe_u32 v18, v17, 16, 1
	v_or_b32_e32 v21, 0x400000, v17
	v_cmp_u_f32_e32 vcc_lo, v17, v17
	v_add_f32_e32 v0, v0, v1
	v_add3_u32 v18, v18, v17, 0x7fff
	v_cndmask_b32_e32 v17, v18, v21, vcc_lo
	v_lshlrev_b32_e32 v18, 16, v89
	v_and_b32_e32 v13, 0xffff0000, v17
	v_mul_f32_e32 v18, v4, v18
	v_bfe_u32 v21, v18, 16, 1
	v_or_b32_e32 v22, 0x400000, v18
	v_cmp_u_f32_e32 vcc_lo, v18, v18
	v_add3_u32 v21, v21, v18, 0x7fff
	v_cndmask_b32_e32 v18, v21, v22, vcc_lo
	v_and_b32_e32 v1, 0xffff0000, v18
	v_add_f32_e32 v1, v1, v13
	v_add_f32_e32 v0, v0, v1
	buffer_load_dword v1, off, s[0:3], s32 offset:248 ; 4-byte Folded Reload
	s_waitcnt vmcnt(0)
	v_add_f32_e32 v1, v1, v0
	v_lshlrev_b32_e32 v0, 16, v78
	buffer_store_dword v1, off, s[0:3], s32 offset:248 ; 4-byte Folded Spill
	v_mul_f32_e32 v0, v7, v0
	v_bfe_u32 v1, v0, 16, 1
	v_or_b32_e32 v13, 0x400000, v0
	v_cmp_u_f32_e32 vcc_lo, v0, v0
	v_add3_u32 v1, v1, v0, 0x7fff
	v_cndmask_b32_e32 v0, v1, v13, vcc_lo
	v_lshlrev_b32_e32 v1, 16, v77
	v_and_b32_e32 v0, 0xffff0000, v0
	v_mul_f32_e32 v1, v9, v1
	v_bfe_u32 v13, v1, 16, 1
	v_or_b32_e32 v14, 0x400000, v1
	v_cmp_u_f32_e32 vcc_lo, v1, v1
	v_add3_u32 v13, v13, v1, 0x7fff
	v_cndmask_b32_e32 v1, v13, v14, vcc_lo
	v_lshlrev_b32_e32 v13, 16, v75
	v_and_b32_e32 v1, 0xffff0000, v1
	v_mul_f32_e32 v13, v5, v13
	v_add_f32_e32 v0, v1, v0
	v_bfe_u32 v14, v13, 16, 1
	v_or_b32_e32 v15, 0x400000, v13
	v_cmp_u_f32_e32 vcc_lo, v13, v13
	v_add3_u32 v14, v14, v13, 0x7fff
	v_cndmask_b32_e32 v13, v14, v15, vcc_lo
	v_lshlrev_b32_e32 v14, 16, v76
	v_and_b32_e32 v13, 0xffff0000, v13
	v_mul_f32_e32 v14, v8, v14
	v_bfe_u32 v15, v14, 16, 1
	v_or_b32_e32 v16, 0x400000, v14
	v_cmp_u_f32_e32 vcc_lo, v14, v14
	v_add3_u32 v15, v15, v14, 0x7fff
	v_cndmask_b32_e32 v14, v15, v16, vcc_lo
	v_lshlrev_b32_e32 v15, 16, v72
	v_and_b32_e32 v1, 0xffff0000, v14
	v_mul_f32_e32 v15, v3, v15
	v_add_f32_e32 v1, v1, v13
	v_bfe_u32 v16, v15, 16, 1
	v_or_b32_e32 v17, 0x400000, v15
	v_cmp_u_f32_e32 vcc_lo, v15, v15
	v_add_f32_e32 v0, v0, v1
	v_add3_u32 v16, v16, v15, 0x7fff
	v_cndmask_b32_e32 v15, v16, v17, vcc_lo
	v_lshlrev_b32_e32 v16, 16, v63
	v_and_b32_e32 v13, 0xffff0000, v15
	v_mul_f32_e32 v16, v6, v16
	v_bfe_u32 v17, v16, 16, 1
	v_or_b32_e32 v18, 0x400000, v16
	v_cmp_u_f32_e32 vcc_lo, v16, v16
	v_add3_u32 v17, v17, v16, 0x7fff
	v_cndmask_b32_e32 v16, v17, v18, vcc_lo
	v_lshlrev_b32_e32 v17, 16, v74
	v_and_b32_e32 v1, 0xffff0000, v16
	v_mul_f32_e32 v17, v2, v17
	v_add_f32_e32 v1, v1, v13
	v_bfe_u32 v18, v17, 16, 1
	v_or_b32_e32 v21, 0x400000, v17
	v_cmp_u_f32_e32 vcc_lo, v17, v17
	v_add_f32_e32 v0, v0, v1
	v_add3_u32 v18, v18, v17, 0x7fff
	v_cndmask_b32_e32 v17, v18, v21, vcc_lo
	v_lshlrev_b32_e32 v18, 16, v73
	v_and_b32_e32 v13, 0xffff0000, v17
	v_mul_f32_e32 v18, v4, v18
	v_bfe_u32 v21, v18, 16, 1
	v_or_b32_e32 v22, 0x400000, v18
	v_cmp_u_f32_e32 vcc_lo, v18, v18
	v_add3_u32 v21, v21, v18, 0x7fff
	v_cndmask_b32_e32 v18, v21, v22, vcc_lo
	v_and_b32_e32 v1, 0xffff0000, v18
	v_add_f32_e32 v1, v1, v13
	v_add_f32_e32 v0, v0, v1
	buffer_load_dword v1, off, s[0:3], s32 offset:252 ; 4-byte Folded Reload
	s_waitcnt vmcnt(0)
	v_add_f32_e32 v1, v1, v0
	v_lshlrev_b32_e32 v0, 16, v45
	buffer_store_dword v1, off, s[0:3], s32 offset:252 ; 4-byte Folded Spill
	v_mul_f32_e32 v0, v7, v0
	v_bfe_u32 v1, v0, 16, 1
	v_or_b32_e32 v13, 0x400000, v0
	v_cmp_u_f32_e32 vcc_lo, v0, v0
	v_add3_u32 v1, v1, v0, 0x7fff
	v_cndmask_b32_e32 v0, v1, v13, vcc_lo
	v_lshlrev_b32_e32 v1, 16, v44
	v_and_b32_e32 v0, 0xffff0000, v0
	v_mul_f32_e32 v1, v9, v1
	v_bfe_u32 v13, v1, 16, 1
	v_or_b32_e32 v14, 0x400000, v1
	v_cmp_u_f32_e32 vcc_lo, v1, v1
	v_add3_u32 v13, v13, v1, 0x7fff
	v_cndmask_b32_e32 v1, v13, v14, vcc_lo
	v_lshlrev_b32_e32 v13, 16, v42
	v_and_b32_e32 v1, 0xffff0000, v1
	v_mul_f32_e32 v13, v5, v13
	v_add_f32_e32 v0, v1, v0
	v_bfe_u32 v14, v13, 16, 1
	v_or_b32_e32 v15, 0x400000, v13
	v_cmp_u_f32_e32 vcc_lo, v13, v13
	v_add3_u32 v14, v14, v13, 0x7fff
	v_cndmask_b32_e32 v13, v14, v15, vcc_lo
	v_lshlrev_b32_e32 v14, 16, v43
	v_and_b32_e32 v13, 0xffff0000, v13
	v_mul_f32_e32 v14, v8, v14
	v_bfe_u32 v15, v14, 16, 1
	v_or_b32_e32 v16, 0x400000, v14
	v_cmp_u_f32_e32 vcc_lo, v14, v14
	v_add3_u32 v15, v15, v14, 0x7fff
	v_cndmask_b32_e32 v14, v15, v16, vcc_lo
	v_lshlrev_b32_e32 v15, 16, v41
	v_and_b32_e32 v1, 0xffff0000, v14
	v_mul_f32_e32 v15, v3, v15
	v_add_f32_e32 v1, v1, v13
	v_bfe_u32 v16, v15, 16, 1
	v_or_b32_e32 v17, 0x400000, v15
	v_cmp_u_f32_e32 vcc_lo, v15, v15
	v_add_f32_e32 v0, v0, v1
	v_add3_u32 v16, v16, v15, 0x7fff
	v_cndmask_b32_e32 v15, v16, v17, vcc_lo
	v_lshlrev_b32_e32 v16, 16, v119
	v_and_b32_e32 v13, 0xffff0000, v15
	v_mul_f32_e32 v16, v6, v16
	v_bfe_u32 v17, v16, 16, 1
	v_or_b32_e32 v18, 0x400000, v16
	v_cmp_u_f32_e32 vcc_lo, v16, v16
	v_add3_u32 v17, v17, v16, 0x7fff
	v_cndmask_b32_e32 v16, v17, v18, vcc_lo
	v_lshlrev_b32_e32 v17, 16, v40
	v_and_b32_e32 v1, 0xffff0000, v16
	v_mul_f32_e32 v17, v2, v17
	v_add_f32_e32 v1, v1, v13
	v_bfe_u32 v18, v17, 16, 1
	v_or_b32_e32 v21, 0x400000, v17
	v_cmp_u_f32_e32 vcc_lo, v17, v17
	v_add_f32_e32 v0, v0, v1
	v_add3_u32 v18, v18, v17, 0x7fff
	v_cndmask_b32_e32 v17, v18, v21, vcc_lo
	v_lshlrev_b32_e32 v18, 16, v118
	v_and_b32_e32 v13, 0xffff0000, v17
	v_mul_f32_e32 v18, v4, v18
	v_bfe_u32 v21, v18, 16, 1
	v_or_b32_e32 v22, 0x400000, v18
	v_cmp_u_f32_e32 vcc_lo, v18, v18
	v_add3_u32 v21, v21, v18, 0x7fff
	v_cndmask_b32_e32 v18, v21, v22, vcc_lo
	v_and_b32_e32 v1, 0xffff0000, v18
	v_add_f32_e32 v1, v1, v13
	v_add_f32_e32 v0, v0, v1
	buffer_load_dword v1, off, s[0:3], s32 offset:256 ; 4-byte Folded Reload
	s_waitcnt vmcnt(0)
	v_add_f32_e32 v1, v1, v0
	v_lshlrev_b32_e32 v0, 16, v117
	buffer_store_dword v1, off, s[0:3], s32 offset:256 ; 4-byte Folded Spill
	v_mul_f32_e32 v0, v7, v0
	v_bfe_u32 v1, v0, 16, 1
	v_or_b32_e32 v13, 0x400000, v0
	v_cmp_u_f32_e32 vcc_lo, v0, v0
	v_add3_u32 v1, v1, v0, 0x7fff
	v_cndmask_b32_e32 v0, v1, v13, vcc_lo
	v_lshlrev_b32_e32 v1, 16, v116
	v_and_b32_e32 v0, 0xffff0000, v0
	v_mul_f32_e32 v1, v9, v1
	v_bfe_u32 v13, v1, 16, 1
	v_or_b32_e32 v14, 0x400000, v1
	v_cmp_u_f32_e32 vcc_lo, v1, v1
	v_add3_u32 v13, v13, v1, 0x7fff
	v_cndmask_b32_e32 v1, v13, v14, vcc_lo
	v_lshlrev_b32_e32 v13, 16, v115
	v_and_b32_e32 v1, 0xffff0000, v1
	v_mul_f32_e32 v13, v5, v13
	v_add_f32_e32 v0, v1, v0
	v_bfe_u32 v14, v13, 16, 1
	v_or_b32_e32 v15, 0x400000, v13
	v_cmp_u_f32_e32 vcc_lo, v13, v13
	v_add3_u32 v14, v14, v13, 0x7fff
	v_cndmask_b32_e32 v13, v14, v15, vcc_lo
	v_lshlrev_b32_e32 v14, 16, v114
	v_and_b32_e32 v13, 0xffff0000, v13
	v_mul_f32_e32 v14, v8, v14
	v_bfe_u32 v15, v14, 16, 1
	v_or_b32_e32 v16, 0x400000, v14
	v_cmp_u_f32_e32 vcc_lo, v14, v14
	v_add3_u32 v15, v15, v14, 0x7fff
	v_cndmask_b32_e32 v14, v15, v16, vcc_lo
	v_lshlrev_b32_e32 v15, 16, v113
	v_and_b32_e32 v1, 0xffff0000, v14
	v_mul_f32_e32 v15, v3, v15
	v_add_f32_e32 v1, v1, v13
	v_bfe_u32 v16, v15, 16, 1
	v_or_b32_e32 v17, 0x400000, v15
	v_cmp_u_f32_e32 vcc_lo, v15, v15
	v_add_f32_e32 v0, v0, v1
	v_add3_u32 v16, v16, v15, 0x7fff
	v_cndmask_b32_e32 v15, v16, v17, vcc_lo
	v_lshlrev_b32_e32 v16, 16, v112
	v_and_b32_e32 v13, 0xffff0000, v15
	v_mul_f32_e32 v16, v6, v16
	v_bfe_u32 v17, v16, 16, 1
	v_or_b32_e32 v18, 0x400000, v16
	v_cmp_u_f32_e32 vcc_lo, v16, v16
	v_add3_u32 v17, v17, v16, 0x7fff
	v_cndmask_b32_e32 v16, v17, v18, vcc_lo
	v_lshlrev_b32_e32 v17, 16, v103
	v_and_b32_e32 v1, 0xffff0000, v16
	v_mul_f32_e32 v17, v2, v17
	v_add_f32_e32 v1, v1, v13
	v_bfe_u32 v18, v17, 16, 1
	v_or_b32_e32 v21, 0x400000, v17
	v_cmp_u_f32_e32 vcc_lo, v17, v17
	v_add_f32_e32 v0, v0, v1
	v_add3_u32 v18, v18, v17, 0x7fff
	v_cndmask_b32_e32 v17, v18, v21, vcc_lo
	v_lshlrev_b32_e32 v18, 16, v102
	v_and_b32_e32 v13, 0xffff0000, v17
	v_mul_f32_e32 v18, v4, v18
	v_bfe_u32 v21, v18, 16, 1
	v_or_b32_e32 v22, 0x400000, v18
	v_cmp_u_f32_e32 vcc_lo, v18, v18
	v_add3_u32 v21, v21, v18, 0x7fff
	v_cndmask_b32_e32 v18, v21, v22, vcc_lo
	v_and_b32_e32 v1, 0xffff0000, v18
	v_add_f32_e32 v1, v1, v13
	v_add_f32_e32 v0, v0, v1
	buffer_load_dword v1, off, s[0:3], s32 offset:264 ; 4-byte Folded Reload
	s_waitcnt vmcnt(0)
	v_add_f32_e32 v1, v1, v0
	v_lshlrev_b32_e32 v0, 16, v101
	buffer_store_dword v1, off, s[0:3], s32 offset:264 ; 4-byte Folded Spill
	v_mul_f32_e32 v0, v7, v0
	v_bfe_u32 v1, v0, 16, 1
	v_or_b32_e32 v13, 0x400000, v0
	v_cmp_u_f32_e32 vcc_lo, v0, v0
	v_add3_u32 v1, v1, v0, 0x7fff
	v_cndmask_b32_e32 v0, v1, v13, vcc_lo
	v_lshlrev_b32_e32 v1, 16, v100
	v_and_b32_e32 v0, 0xffff0000, v0
	v_mul_f32_e32 v1, v9, v1
	v_bfe_u32 v13, v1, 16, 1
	v_or_b32_e32 v14, 0x400000, v1
	v_cmp_u_f32_e32 vcc_lo, v1, v1
	v_add3_u32 v13, v13, v1, 0x7fff
	v_cndmask_b32_e32 v1, v13, v14, vcc_lo
	v_lshlrev_b32_e32 v13, 16, v99
	v_and_b32_e32 v1, 0xffff0000, v1
	v_mul_f32_e32 v13, v5, v13
	v_add_f32_e32 v0, v1, v0
	v_bfe_u32 v14, v13, 16, 1
	v_or_b32_e32 v15, 0x400000, v13
	v_cmp_u_f32_e32 vcc_lo, v13, v13
	v_add3_u32 v14, v14, v13, 0x7fff
	v_cndmask_b32_e32 v13, v14, v15, vcc_lo
	v_lshlrev_b32_e32 v14, 16, v98
	v_and_b32_e32 v13, 0xffff0000, v13
	v_mul_f32_e32 v14, v8, v14
	v_bfe_u32 v15, v14, 16, 1
	v_or_b32_e32 v16, 0x400000, v14
	v_cmp_u_f32_e32 vcc_lo, v14, v14
	v_add3_u32 v15, v15, v14, 0x7fff
	v_cndmask_b32_e32 v14, v15, v16, vcc_lo
	v_lshlrev_b32_e32 v15, 16, v97
	v_and_b32_e32 v1, 0xffff0000, v14
	v_mul_f32_e32 v15, v3, v15
	v_add_f32_e32 v1, v1, v13
	v_bfe_u32 v16, v15, 16, 1
	v_or_b32_e32 v17, 0x400000, v15
	v_cmp_u_f32_e32 vcc_lo, v15, v15
	v_add_f32_e32 v0, v0, v1
	v_add3_u32 v16, v16, v15, 0x7fff
	v_cndmask_b32_e32 v15, v16, v17, vcc_lo
	v_lshlrev_b32_e32 v16, 16, v70
	v_and_b32_e32 v13, 0xffff0000, v15
	v_mul_f32_e32 v16, v6, v16
	v_bfe_u32 v17, v16, 16, 1
	v_or_b32_e32 v18, 0x400000, v16
	v_cmp_u_f32_e32 vcc_lo, v16, v16
	v_add3_u32 v17, v17, v16, 0x7fff
	v_cndmask_b32_e32 v16, v17, v18, vcc_lo
	v_lshlrev_b32_e32 v17, 16, v71
	v_and_b32_e32 v1, 0xffff0000, v16
	v_mul_f32_e32 v17, v2, v17
	v_add_f32_e32 v1, v1, v13
	v_bfe_u32 v18, v17, 16, 1
	v_or_b32_e32 v21, 0x400000, v17
	v_cmp_u_f32_e32 vcc_lo, v17, v17
	v_add_f32_e32 v0, v0, v1
	v_add3_u32 v18, v18, v17, 0x7fff
	v_cndmask_b32_e32 v17, v18, v21, vcc_lo
	buffer_load_dword v18, off, s[0:3], s32 offset:196 ; 4-byte Folded Reload
	v_and_b32_e32 v13, 0xffff0000, v17
	s_waitcnt vmcnt(0)
	v_lshlrev_b32_e32 v18, 16, v18
	v_mul_f32_e32 v18, v4, v18
	v_bfe_u32 v21, v18, 16, 1
	v_or_b32_e32 v22, 0x400000, v18
	v_cmp_u_f32_e32 vcc_lo, v18, v18
	v_add3_u32 v21, v21, v18, 0x7fff
	v_cndmask_b32_e32 v18, v21, v22, vcc_lo
	buffer_load_dword v22, off, s[0:3], s32 offset:272 ; 4-byte Folded Reload
	v_and_b32_e32 v1, 0xffff0000, v18
	v_add_f32_e32 v1, v1, v13
	v_add_f32_e32 v0, v0, v1
	buffer_load_dword v1, off, s[0:3], s32 offset:260 ; 4-byte Folded Reload
	s_waitcnt vmcnt(0)
	v_add_f32_e32 v1, v1, v0
	v_lshlrev_b32_e32 v0, 16, v29
	buffer_store_dword v1, off, s[0:3], s32 offset:260 ; 4-byte Folded Spill
	v_mul_f32_e32 v0, v9, v0
	v_bfe_u32 v1, v0, 16, 1
	v_or_b32_e32 v9, 0x400000, v0
	v_cmp_u_f32_e32 vcc_lo, v0, v0
	v_add3_u32 v1, v1, v0, 0x7fff
	v_cndmask_b32_e32 v0, v1, v9, vcc_lo
	v_lshlrev_b32_e32 v1, 16, v28
	v_and_b32_e32 v0, 0xffff0000, v0
	v_mul_f32_e32 v1, v7, v1
	v_bfe_u32 v7, v1, 16, 1
	v_or_b32_e32 v9, 0x400000, v1
	v_cmp_u_f32_e32 vcc_lo, v1, v1
	v_add3_u32 v7, v7, v1, 0x7fff
	v_cndmask_b32_e32 v1, v7, v9, vcc_lo
	v_lshlrev_b32_e32 v7, 16, v26
	v_and_b32_e32 v1, 0xffff0000, v1
	v_mul_f32_e32 v7, v8, v7
	v_add_f32_e32 v0, v0, v1
	v_bfe_u32 v8, v7, 16, 1
	v_or_b32_e32 v9, 0x400000, v7
	v_cmp_u_f32_e32 vcc_lo, v7, v7
	v_add3_u32 v8, v8, v7, 0x7fff
	v_cndmask_b32_e32 v7, v8, v9, vcc_lo
	v_lshlrev_b32_e32 v8, 16, v24
	v_mul_f32_e32 v5, v5, v8
	v_bfe_u32 v8, v5, 16, 1
	v_or_b32_e32 v9, 0x400000, v5
	v_cmp_u_f32_e32 vcc_lo, v5, v5
	v_add3_u32 v8, v8, v5, 0x7fff
	v_cndmask_b32_e32 v5, v8, v9, vcc_lo
	v_lshlrev_b32_e32 v8, 16, v11
	v_and_b32_e32 v1, 0xffff0000, v5
	v_mul_f32_e32 v6, v6, v8
	v_and_b32_e32 v5, 0xffff0000, v7
	v_bfe_u32 v8, v6, 16, 1
	v_or_b32_e32 v9, 0x400000, v6
	v_cmp_u_f32_e32 vcc_lo, v6, v6
	v_add_f32_e32 v1, v5, v1
	v_add3_u32 v8, v8, v6, 0x7fff
	v_add_f32_e32 v0, v0, v1
	v_cndmask_b32_e32 v6, v8, v9, vcc_lo
	v_lshlrev_b32_e32 v8, 16, v10
	v_mul_f32_e32 v3, v3, v8
	v_bfe_u32 v8, v3, 16, 1
	v_or_b32_e32 v9, 0x400000, v3
	v_cmp_u_f32_e32 vcc_lo, v3, v3
	v_add3_u32 v8, v8, v3, 0x7fff
	v_cndmask_b32_e32 v3, v8, v9, vcc_lo
	v_lshlrev_b32_e32 v8, 16, v25
	v_and_b32_e32 v1, 0xffff0000, v3
	v_mul_f32_e32 v4, v4, v8
	v_and_b32_e32 v3, 0xffff0000, v6
	v_bfe_u32 v8, v4, 16, 1
	v_or_b32_e32 v9, 0x400000, v4
	v_cmp_u_f32_e32 vcc_lo, v4, v4
	v_add_f32_e32 v1, v3, v1
	v_add3_u32 v8, v8, v4, 0x7fff
	v_add_f32_e32 v0, v0, v1
	v_cndmask_b32_e32 v4, v8, v9, vcc_lo
	v_lshlrev_b32_e32 v8, 16, v27
	v_mul_f32_e32 v2, v2, v8
	v_bfe_u32 v8, v2, 16, 1
	v_or_b32_e32 v9, 0x400000, v2
	v_cmp_u_f32_e32 vcc_lo, v2, v2
	v_add3_u32 v8, v8, v2, 0x7fff
	v_cndmask_b32_e32 v2, v8, v9, vcc_lo
	v_and_b32_e32 v1, 0xffff0000, v2
	v_and_b32_e32 v2, 0xffff0000, v4
	v_add_f32_e32 v1, v2, v1
	v_add_f32_e32 v0, v0, v1
	;; [unrolled: 1-line block ×3, first 2 shown]
.LBB329_808:                            ;   in Loop: Header=BB329_809 Depth=1
	s_or_b32 exec_lo, exec_lo, s17
	buffer_load_dword v0, off, s[0:3], s32 offset:192 ; 4-byte Folded Reload
	v_add_nc_u32_e32 v68, 4, v68
	v_mov_b32_e32 v2, v83
	v_add_co_u32 v19, s4, v19, 16
	v_add_nc_u32_e32 v52, 0x100, v52
	v_add_co_ci_u32_e64 v20, null, 0, v20, s4
	v_add_nc_u32_e32 v2, 64, v2
	s_waitcnt vmcnt(0)
	v_cmp_ge_i32_e32 vcc_lo, v68, v0
	s_or_b32 s15, vcc_lo, s15
	s_andn2_b32 exec_lo, exec_lo, s15
	s_cbranch_execz .LBB329_1602
.LBB329_809:                            ; =>This Inner Loop Header: Depth=1
	s_clause 0x1
	buffer_load_dword v0, off, s[0:3], s32 offset:216
	buffer_load_dword v4, off, s[0:3], s32 offset:212
	s_waitcnt vmcnt(2)
	v_mov_b32_e32 v83, v2
	s_waitcnt vmcnt(1)
	v_mul_hi_u32 v0, v2, v0
	s_waitcnt vmcnt(0)
	v_mul_lo_u32 v1, v0, v4
	v_sub_nc_u32_e32 v1, v2, v1
	v_add_nc_u32_e32 v2, 1, v0
	v_sub_nc_u32_e32 v3, v1, v4
	v_cmp_ge_u32_e32 vcc_lo, v1, v4
	v_cndmask_b32_e32 v1, v1, v3, vcc_lo
	v_cndmask_b32_e32 v0, v0, v2, vcc_lo
	v_cmp_ge_u32_e32 vcc_lo, v1, v4
	buffer_load_dword v1, off, s[0:3], s32 offset:208 ; 4-byte Folded Reload
	v_add_nc_u32_e32 v2, 1, v0
	v_cndmask_b32_e32 v0, v0, v2, vcc_lo
	s_waitcnt vmcnt(0)
	v_xor_b32_e32 v0, v0, v1
	v_sub_nc_u32_e32 v0, v0, v1
	s_clause 0x2
	buffer_load_dword v1, off, s[0:3], s32 offset:200
	buffer_load_dword v2, off, s[0:3], s32 offset:204
	;; [unrolled: 1-line block ×3, first 2 shown]
	s_waitcnt vmcnt(2)
	v_add_nc_u32_e32 v1, v0, v1
	s_waitcnt vmcnt(1)
	v_sub_nc_u32_e32 v2, 0, v1
	v_max_i32_e32 v2, v1, v2
	v_ashrrev_i32_e32 v1, 31, v1
	s_waitcnt vmcnt(0)
	v_mul_hi_u32 v3, v2, v3
	v_mul_lo_u32 v3, v3, v51
	v_sub_nc_u32_e32 v2, v2, v3
	v_sub_nc_u32_e32 v3, v2, v51
	v_cmp_ge_u32_e32 vcc_lo, v2, v51
	v_cndmask_b32_e32 v2, v2, v3, vcc_lo
	v_sub_nc_u32_e32 v3, v2, v51
	v_cmp_ge_u32_e32 vcc_lo, v2, v51
	v_cndmask_b32_e32 v2, v2, v3, vcc_lo
	v_xor_b32_e32 v2, v2, v1
	v_sub_nc_u32_e32 v1, v2, v1
	v_cmp_eq_u32_e32 vcc_lo, 0, v1
	buffer_load_dword v1, off, s[0:3], s32 offset:220 ; 4-byte Folded Reload
	s_waitcnt vmcnt(0)
	v_cmp_gt_i32_e64 s4, v0, v1
	s_or_b32 s4, vcc_lo, s4
	s_and_saveexec_b32 s17, s4
	s_cbranch_execz .LBB329_808
; %bb.810:                              ;   in Loop: Header=BB329_809 Depth=1
	buffer_store_dword v22, off, s[0:3], s32 offset:272 ; 4-byte Folded Spill
	flat_load_dword v0, v[19:20]
	s_clause 0x2
	buffer_load_dword v1, off, s[0:3], s32 offset:304
	buffer_load_dword v2, off, s[0:3], s32 offset:280
	;; [unrolled: 1-line block ×3, first 2 shown]
	s_waitcnt vmcnt(0) lgkmcnt(0)
	v_mad_i64_i32 v[24:25], null, v0, v1, v[2:3]
	flat_load_dwordx2 v[26:27], v[24:25]
	s_clause 0x1
	buffer_load_dword v0, off, s[0:3], s32 offset:376
	buffer_load_dword v1, off, s[0:3], s32 offset:380
	s_load_dword s4, s[8:9], 0x0
	s_waitcnt vmcnt(2) lgkmcnt(0)
	v_cmp_ne_u16_sdwa s20, v26, v12 src0_sel:BYTE_0 src1_sel:DWORD
	s_waitcnt vmcnt(0)
	flat_load_dword v46, v[0:1]
	v_add_nc_u32_e32 v0, s4, v52
	v_mov_b32_e32 v1, 0
	ds_read2_b64 v[6:9], v0 offset1:1
	ds_read2_b64 v[2:5], v0 offset0:2 offset1:3
	v_mov_b32_e32 v0, 0
	s_and_saveexec_b32 s4, s20
	s_cbranch_execz .LBB329_818
; %bb.811:                              ;   in Loop: Header=BB329_809 Depth=1
	v_cmp_ne_u16_sdwa s21, v26, v55 src0_sel:BYTE_0 src1_sel:DWORD
	v_bfrev_b32_e32 v0, 1
	s_and_saveexec_b32 s20, s21
	s_cbranch_execz .LBB329_817
; %bb.812:                              ;   in Loop: Header=BB329_809 Depth=1
	v_and_b32_e32 v10, 0x7f, v26
	v_mov_b32_e32 v0, 0x7f800001
	s_mov_b32 s21, exec_lo
	v_cmpx_ne_u32_e32 0x7f, v10
	s_cbranch_execz .LBB329_816
; %bb.813:                              ;   in Loop: Header=BB329_809 Depth=1
	v_lshrrev_b32_e32 v0, 3, v10
	v_cmp_gt_u32_e32 vcc_lo, 8, v10
	v_mov_b32_e32 v10, v26
	v_mov_b32_e32 v11, v27
	s_and_saveexec_b32 s22, vcc_lo
; %bb.814:                              ;   in Loop: Header=BB329_809 Depth=1
	v_and_b32_e32 v0, 7, v26
	v_ffbh_u32_e32 v0, v0
	v_min_u32_e32 v0, 32, v0
	v_subrev_nc_u32_e32 v10, 28, v0
	v_sub_nc_u32_e32 v0, 29, v0
	v_lshlrev_b64 v[10:11], v10, v[26:27]
; %bb.815:                              ;   in Loop: Header=BB329_809 Depth=1
	s_or_b32 exec_lo, exec_lo, s22
	v_lshlrev_b32_e32 v10, 20, v10
	v_lshlrev_b32_e32 v11, 24, v26
	v_lshl_add_u32 v0, v0, 23, 0x3c000000
	v_and_b32_e32 v10, 0x700000, v10
	v_and_b32_e32 v11, 0x80000000, v11
	v_or3_b32 v0, v10, v11, v0
.LBB329_816:                            ;   in Loop: Header=BB329_809 Depth=1
	s_or_b32 exec_lo, exec_lo, s21
.LBB329_817:                            ;   in Loop: Header=BB329_809 Depth=1
	s_or_b32 exec_lo, exec_lo, s20
.LBB329_818:                            ;   in Loop: Header=BB329_809 Depth=1
	s_or_b32 exec_lo, exec_lo, s4
	v_cmp_ne_u16_sdwa s20, v26, v12 src0_sel:BYTE_1 src1_sel:DWORD
	s_and_saveexec_b32 s4, s20
	s_cbranch_execz .LBB329_826
; %bb.819:                              ;   in Loop: Header=BB329_809 Depth=1
	v_cmp_ne_u16_sdwa s21, v26, v55 src0_sel:BYTE_1 src1_sel:DWORD
	v_bfrev_b32_e32 v1, 1
	s_and_saveexec_b32 s20, s21
	s_cbranch_execz .LBB329_825
; %bb.820:                              ;   in Loop: Header=BB329_809 Depth=1
	v_mov_b32_e32 v1, 0xffff
	s_mov_b32 s21, exec_lo
	v_and_b32_sdwa v11, v1, v26 dst_sel:DWORD dst_unused:UNUSED_PAD src0_sel:DWORD src1_sel:BYTE_1
	v_mov_b32_e32 v1, 0x7f800001
	v_and_b32_e32 v10, 0x7f, v11
	v_cmpx_ne_u32_e32 0x7f, v10
	s_cbranch_execz .LBB329_824
; %bb.821:                              ;   in Loop: Header=BB329_809 Depth=1
	v_and_b32_e32 v11, 7, v11
	v_lshrrev_b32_e32 v1, 3, v10
	s_mov_b32 s22, exec_lo
	v_cmpx_gt_u32_e32 8, v10
; %bb.822:                              ;   in Loop: Header=BB329_809 Depth=1
	v_ffbh_u32_e32 v1, v11
	v_min_u32_e32 v1, 32, v1
	v_subrev_nc_u32_e32 v10, 28, v1
	v_sub_nc_u32_e32 v1, 29, v1
	v_lshlrev_b64 v[10:11], v10, v[11:12]
	v_and_b32_e32 v11, 7, v10
; %bb.823:                              ;   in Loop: Header=BB329_809 Depth=1
	s_or_b32 exec_lo, exec_lo, s22
	v_lshlrev_b32_e32 v10, 16, v26
	v_lshlrev_b32_e32 v11, 20, v11
	v_lshl_add_u32 v1, v1, 23, 0x3c000000
	v_and_b32_e32 v10, 0x80000000, v10
	v_or3_b32 v1, v11, v10, v1
.LBB329_824:                            ;   in Loop: Header=BB329_809 Depth=1
	s_or_b32 exec_lo, exec_lo, s21
.LBB329_825:                            ;   in Loop: Header=BB329_809 Depth=1
	s_or_b32 exec_lo, exec_lo, s20
.LBB329_826:                            ;   in Loop: Header=BB329_809 Depth=1
	s_or_b32 exec_lo, exec_lo, s4
	v_and_b32_sdwa v11, v26, v65 dst_sel:DWORD dst_unused:UNUSED_PAD src0_sel:WORD_1 src1_sel:DWORD
	v_mov_b32_e32 v13, 0
	v_mov_b32_e32 v10, 0
	s_mov_b32 s4, exec_lo
	v_cmpx_ne_u16_e32 0, v11
	s_cbranch_execz .LBB329_834
; %bb.827:                              ;   in Loop: Header=BB329_809 Depth=1
	v_bfrev_b32_e32 v10, 1
	s_mov_b32 s20, exec_lo
	v_cmpx_ne_u16_e32 0x80, v11
	s_cbranch_execz .LBB329_833
; %bb.828:                              ;   in Loop: Header=BB329_809 Depth=1
	v_bfe_u32 v14, v26, 16, 7
	v_mov_b32_e32 v10, 0x7f800001
	s_mov_b32 s21, exec_lo
	v_cmpx_ne_u32_e32 0x7f, v14
	s_cbranch_execz .LBB329_832
; %bb.829:                              ;   in Loop: Header=BB329_809 Depth=1
	v_mov_b32_e32 v10, 7
	s_mov_b32 s22, exec_lo
	v_and_b32_sdwa v11, v26, v10 dst_sel:DWORD dst_unused:UNUSED_PAD src0_sel:WORD_1 src1_sel:DWORD
	v_lshrrev_b32_e32 v10, 3, v14
	v_cmpx_gt_u32_e32 8, v14
; %bb.830:                              ;   in Loop: Header=BB329_809 Depth=1
	v_ffbh_u32_e32 v10, v11
	v_min_u32_e32 v10, 32, v10
	v_subrev_nc_u32_e32 v14, 28, v10
	v_sub_nc_u32_e32 v10, 29, v10
	v_lshlrev_b64 v[14:15], v14, v[11:12]
	v_and_b32_e32 v11, 7, v14
; %bb.831:                              ;   in Loop: Header=BB329_809 Depth=1
	s_or_b32 exec_lo, exec_lo, s22
	v_mov_b32_e32 v14, 24
	v_lshlrev_b32_e32 v11, 20, v11
	v_lshl_add_u32 v10, v10, 23, 0x3c000000
	v_lshlrev_b32_sdwa v14, v14, v26 dst_sel:DWORD dst_unused:UNUSED_PAD src0_sel:DWORD src1_sel:WORD_1
	v_and_b32_e32 v14, 0x80000000, v14
	v_or3_b32 v10, v11, v14, v10
.LBB329_832:                            ;   in Loop: Header=BB329_809 Depth=1
	s_or_b32 exec_lo, exec_lo, s21
.LBB329_833:                            ;   in Loop: Header=BB329_809 Depth=1
	s_or_b32 exec_lo, exec_lo, s20
.LBB329_834:                            ;   in Loop: Header=BB329_809 Depth=1
	s_or_b32 exec_lo, exec_lo, s4
	s_mov_b32 s4, exec_lo
	v_cmpx_lt_u32_e32 0xffffff, v26
	s_cbranch_execz .LBB329_842
; %bb.835:                              ;   in Loop: Header=BB329_809 Depth=1
	v_cmp_ne_u32_sdwa s21, v26, v55 src0_sel:BYTE_3 src1_sel:DWORD
	v_bfrev_b32_e32 v13, 1
	s_and_saveexec_b32 s20, s21
	s_cbranch_execz .LBB329_841
; %bb.836:                              ;   in Loop: Header=BB329_809 Depth=1
	v_bfe_u32 v14, v26, 24, 7
	v_mov_b32_e32 v13, 0x7f800001
	s_mov_b32 s21, exec_lo
	v_cmpx_ne_u32_e32 0x7f, v14
	s_cbranch_execz .LBB329_840
; %bb.837:                              ;   in Loop: Header=BB329_809 Depth=1
	v_mov_b32_e32 v11, 7
	v_lshrrev_b32_e32 v13, 3, v14
	s_mov_b32 s22, exec_lo
	v_and_b32_sdwa v11, v26, v11 dst_sel:DWORD dst_unused:UNUSED_PAD src0_sel:BYTE_3 src1_sel:DWORD
	v_cmpx_gt_u32_e32 8, v14
; %bb.838:                              ;   in Loop: Header=BB329_809 Depth=1
	v_ffbh_u32_e32 v13, v11
	v_min_u32_e32 v13, 32, v13
	v_subrev_nc_u32_e32 v14, 28, v13
	v_sub_nc_u32_e32 v13, 29, v13
	v_lshlrev_b64 v[14:15], v14, v[11:12]
	v_and_b32_e32 v11, 7, v14
; %bb.839:                              ;   in Loop: Header=BB329_809 Depth=1
	s_or_b32 exec_lo, exec_lo, s22
	v_mov_b32_e32 v14, 24
	v_lshlrev_b32_e32 v11, 20, v11
	v_lshl_add_u32 v13, v13, 23, 0x3c000000
	v_lshlrev_b32_sdwa v14, v14, v26 dst_sel:DWORD dst_unused:UNUSED_PAD src0_sel:DWORD src1_sel:BYTE_3
	v_and_b32_e32 v14, 0x80000000, v14
	v_or3_b32 v13, v11, v14, v13
.LBB329_840:                            ;   in Loop: Header=BB329_809 Depth=1
	s_or_b32 exec_lo, exec_lo, s21
.LBB329_841:                            ;   in Loop: Header=BB329_809 Depth=1
	s_or_b32 exec_lo, exec_lo, s20
.LBB329_842:                            ;   in Loop: Header=BB329_809 Depth=1
	s_or_b32 exec_lo, exec_lo, s4
	v_mov_b32_e32 v11, v27
	v_cmp_ne_u16_sdwa s20, v27, v12 src0_sel:BYTE_0 src1_sel:DWORD
	v_mov_b32_e32 v15, 0
	v_mov_b32_e32 v14, 0
	s_and_saveexec_b32 s4, s20
	s_cbranch_execz .LBB329_850
; %bb.843:                              ;   in Loop: Header=BB329_809 Depth=1
	v_cmp_ne_u16_sdwa s21, v27, v55 src0_sel:BYTE_0 src1_sel:DWORD
	v_bfrev_b32_e32 v14, 1
	s_and_saveexec_b32 s20, s21
	s_cbranch_execz .LBB329_849
; %bb.844:                              ;   in Loop: Header=BB329_809 Depth=1
	v_and_b32_e32 v16, 0x7f, v27
	v_mov_b32_e32 v14, 0x7f800001
	s_mov_b32 s21, exec_lo
	v_cmpx_ne_u32_e32 0x7f, v16
	s_cbranch_execz .LBB329_848
; %bb.845:                              ;   in Loop: Header=BB329_809 Depth=1
	v_mov_b32_e32 v29, v12
	v_lshrrev_b32_e32 v14, 3, v16
	v_mov_b32_e32 v28, v11
	s_mov_b32 s22, exec_lo
	v_cmpx_gt_u32_e32 8, v16
; %bb.846:                              ;   in Loop: Header=BB329_809 Depth=1
	v_and_b32_e32 v14, 7, v27
	v_ffbh_u32_e32 v14, v14
	v_min_u32_e32 v14, 32, v14
	v_subrev_nc_u32_e32 v16, 28, v14
	v_sub_nc_u32_e32 v14, 29, v14
	v_lshlrev_b64 v[28:29], v16, v[11:12]
; %bb.847:                              ;   in Loop: Header=BB329_809 Depth=1
	s_or_b32 exec_lo, exec_lo, s22
	v_lshlrev_b32_e32 v16, 20, v28
	v_lshlrev_b32_e32 v17, 24, v11
	v_lshl_add_u32 v14, v14, 23, 0x3c000000
	v_and_b32_e32 v16, 0x700000, v16
	v_and_b32_e32 v17, 0x80000000, v17
	v_or3_b32 v14, v16, v17, v14
.LBB329_848:                            ;   in Loop: Header=BB329_809 Depth=1
	s_or_b32 exec_lo, exec_lo, s21
.LBB329_849:                            ;   in Loop: Header=BB329_809 Depth=1
	s_or_b32 exec_lo, exec_lo, s20
.LBB329_850:                            ;   in Loop: Header=BB329_809 Depth=1
	s_or_b32 exec_lo, exec_lo, s4
	v_cmp_ne_u16_sdwa s20, v11, v12 src0_sel:BYTE_1 src1_sel:DWORD
	s_and_saveexec_b32 s4, s20
	s_cbranch_execz .LBB329_858
; %bb.851:                              ;   in Loop: Header=BB329_809 Depth=1
	v_cmp_ne_u16_sdwa s21, v11, v55 src0_sel:BYTE_1 src1_sel:DWORD
	v_bfrev_b32_e32 v15, 1
	s_and_saveexec_b32 s20, s21
	s_cbranch_execz .LBB329_857
; %bb.852:                              ;   in Loop: Header=BB329_809 Depth=1
	v_mov_b32_e32 v15, 0xffff
	s_mov_b32 s21, exec_lo
	v_and_b32_sdwa v17, v15, v11 dst_sel:DWORD dst_unused:UNUSED_PAD src0_sel:DWORD src1_sel:BYTE_1
	v_mov_b32_e32 v15, 0x7f800001
	v_and_b32_e32 v16, 0x7f, v17
	v_cmpx_ne_u32_e32 0x7f, v16
	s_cbranch_execz .LBB329_856
; %bb.853:                              ;   in Loop: Header=BB329_809 Depth=1
	v_and_b32_e32 v28, 7, v17
	v_mov_b32_e32 v29, v12
	v_lshrrev_b32_e32 v15, 3, v16
	s_mov_b32 s22, exec_lo
	v_cmpx_gt_u32_e32 8, v16
; %bb.854:                              ;   in Loop: Header=BB329_809 Depth=1
	v_ffbh_u32_e32 v15, v28
	v_min_u32_e32 v15, 32, v15
	v_subrev_nc_u32_e32 v16, 28, v15
	v_sub_nc_u32_e32 v15, 29, v15
	v_lshlrev_b64 v[16:17], v16, v[28:29]
	v_and_b32_e32 v28, 7, v16
; %bb.855:                              ;   in Loop: Header=BB329_809 Depth=1
	s_or_b32 exec_lo, exec_lo, s22
	v_lshlrev_b32_e32 v11, 16, v11
	v_lshlrev_b32_e32 v16, 20, v28
	v_lshl_add_u32 v15, v15, 23, 0x3c000000
	v_and_b32_e32 v11, 0x80000000, v11
	v_or3_b32 v15, v16, v11, v15
.LBB329_856:                            ;   in Loop: Header=BB329_809 Depth=1
	s_or_b32 exec_lo, exec_lo, s21
.LBB329_857:                            ;   in Loop: Header=BB329_809 Depth=1
	s_or_b32 exec_lo, exec_lo, s20
.LBB329_858:                            ;   in Loop: Header=BB329_809 Depth=1
	s_or_b32 exec_lo, exec_lo, s4
	v_and_b32_sdwa v11, v27, v65 dst_sel:DWORD dst_unused:UNUSED_PAD src0_sel:WORD_1 src1_sel:DWORD
	v_mov_b32_e32 v16, 0
	v_mov_b32_e32 v17, 0
	s_mov_b32 s4, exec_lo
	v_cmpx_ne_u16_e32 0, v11
	s_cbranch_execz .LBB329_866
; %bb.859:                              ;   in Loop: Header=BB329_809 Depth=1
	v_bfrev_b32_e32 v17, 1
	s_mov_b32 s20, exec_lo
	v_cmpx_ne_u16_e32 0x80, v11
	s_cbranch_execz .LBB329_865
; %bb.860:                              ;   in Loop: Header=BB329_809 Depth=1
	v_bfe_u32 v18, v27, 16, 7
	v_mov_b32_e32 v17, 0x7f800001
	s_mov_b32 s21, exec_lo
	v_cmpx_ne_u32_e32 0x7f, v18
	s_cbranch_execz .LBB329_864
; %bb.861:                              ;   in Loop: Header=BB329_809 Depth=1
	v_mov_b32_e32 v11, 7
	v_lshrrev_b32_e32 v17, 3, v18
	s_mov_b32 s22, exec_lo
	v_and_b32_sdwa v11, v27, v11 dst_sel:DWORD dst_unused:UNUSED_PAD src0_sel:WORD_1 src1_sel:DWORD
	v_cmpx_gt_u32_e32 8, v18
; %bb.862:                              ;   in Loop: Header=BB329_809 Depth=1
	v_ffbh_u32_e32 v17, v11
	v_min_u32_e32 v17, 32, v17
	v_subrev_nc_u32_e32 v18, 28, v17
	v_sub_nc_u32_e32 v17, 29, v17
	v_lshlrev_b64 v[21:22], v18, v[11:12]
	v_and_b32_e32 v11, 7, v21
; %bb.863:                              ;   in Loop: Header=BB329_809 Depth=1
	s_or_b32 exec_lo, exec_lo, s22
	v_mov_b32_e32 v18, 24
	v_lshlrev_b32_e32 v11, 20, v11
	v_lshl_add_u32 v17, v17, 23, 0x3c000000
	v_lshlrev_b32_sdwa v18, v18, v27 dst_sel:DWORD dst_unused:UNUSED_PAD src0_sel:DWORD src1_sel:WORD_1
	v_and_b32_e32 v18, 0x80000000, v18
	v_or3_b32 v17, v11, v18, v17
.LBB329_864:                            ;   in Loop: Header=BB329_809 Depth=1
	s_or_b32 exec_lo, exec_lo, s21
.LBB329_865:                            ;   in Loop: Header=BB329_809 Depth=1
	s_or_b32 exec_lo, exec_lo, s20
.LBB329_866:                            ;   in Loop: Header=BB329_809 Depth=1
	s_or_b32 exec_lo, exec_lo, s4
	s_mov_b32 s4, exec_lo
	v_cmpx_lt_u64_e64 s[6:7], v[26:27]
	s_cbranch_execz .LBB329_874
; %bb.867:                              ;   in Loop: Header=BB329_809 Depth=1
	v_cmp_ne_u32_sdwa s21, v27, v55 src0_sel:BYTE_3 src1_sel:DWORD
	v_bfrev_b32_e32 v16, 1
	s_and_saveexec_b32 s20, s21
	s_cbranch_execz .LBB329_873
; %bb.868:                              ;   in Loop: Header=BB329_809 Depth=1
	v_bfe_u32 v18, v27, 24, 7
	v_mov_b32_e32 v16, 0x7f800001
	s_mov_b32 s21, exec_lo
	v_cmpx_ne_u32_e32 0x7f, v18
	s_cbranch_execz .LBB329_872
; %bb.869:                              ;   in Loop: Header=BB329_809 Depth=1
	v_mov_b32_e32 v11, 7
	v_lshrrev_b32_e32 v16, 3, v18
	s_mov_b32 s22, exec_lo
	v_and_b32_sdwa v11, v27, v11 dst_sel:DWORD dst_unused:UNUSED_PAD src0_sel:BYTE_3 src1_sel:DWORD
	v_cmpx_gt_u32_e32 8, v18
; %bb.870:                              ;   in Loop: Header=BB329_809 Depth=1
	v_ffbh_u32_e32 v16, v11
	v_min_u32_e32 v16, 32, v16
	v_subrev_nc_u32_e32 v18, 28, v16
	v_sub_nc_u32_e32 v16, 29, v16
	v_lshlrev_b64 v[21:22], v18, v[11:12]
	v_and_b32_e32 v11, 7, v21
; %bb.871:                              ;   in Loop: Header=BB329_809 Depth=1
	s_or_b32 exec_lo, exec_lo, s22
	v_mov_b32_e32 v18, 24
	v_lshlrev_b32_e32 v11, 20, v11
	v_lshl_add_u32 v16, v16, 23, 0x3c000000
	v_lshlrev_b32_sdwa v18, v18, v27 dst_sel:DWORD dst_unused:UNUSED_PAD src0_sel:DWORD src1_sel:BYTE_3
	v_and_b32_e32 v18, 0x80000000, v18
	v_or3_b32 v16, v11, v18, v16
.LBB329_872:                            ;   in Loop: Header=BB329_809 Depth=1
	s_or_b32 exec_lo, exec_lo, s21
.LBB329_873:                            ;   in Loop: Header=BB329_809 Depth=1
	s_or_b32 exec_lo, exec_lo, s20
.LBB329_874:                            ;   in Loop: Header=BB329_809 Depth=1
	s_or_b32 exec_lo, exec_lo, s4
	s_clause 0x1
	buffer_load_dword v11, off, s[0:3], s32 offset:192
	buffer_load_dword v18, off, s[0:3], s32 offset:276
	s_waitcnt vmcnt(2) lgkmcnt(2)
	v_mul_f32_e32 v15, v46, v15
	v_mul_f32_e32 v14, v46, v14
	;; [unrolled: 1-line block ×5, first 2 shown]
	v_cmp_u_f32_e64 s4, v15, v15
	v_bfe_u32 v21, v14, 16, 1
	v_or_b32_e32 v22, 0x400000, v14
	v_bfe_u32 v23, v13, 16, 1
	v_or_b32_e32 v26, 0x400000, v13
	v_mul_f32_e32 v0, v46, v0
	v_add3_u32 v21, v21, v14, 0x7fff
	s_waitcnt vmcnt(1)
	v_add_nc_u32_e32 v11, -1, v11
	s_waitcnt vmcnt(0)
	v_add_nc_u32_e32 v47, v18, v83
	v_or_b32_e32 v18, 0x400000, v15
	v_cmp_eq_u32_e32 vcc_lo, v11, v68
	v_bfe_u32 v11, v15, 16, 1
	v_add_nc_u32_e32 v62, 1, v47
	v_add_nc_u32_e32 v61, 2, v47
	v_add_nc_u32_e32 v60, 3, v47
	v_add_nc_u32_e32 v59, 4, v47
	v_add3_u32 v11, v11, v15, 0x7fff
	v_bfe_u32 v15, v10, 16, 1
	v_add_nc_u32_e32 v58, 5, v47
	v_add_nc_u32_e32 v57, 6, v47
	v_add_nc_u32_e32 v56, 7, v47
	v_cndmask_b32_e64 v11, v11, v18, s4
	v_cmp_u_f32_e64 s4, v14, v14
	v_add3_u32 v18, v23, v13, 0x7fff
	v_lshrrev_b32_e32 v97, 16, v11
	v_cndmask_b32_e64 v14, v21, v22, s4
	v_cmp_u_f32_e64 s4, v13, v13
	v_add3_u32 v13, v15, v10, 0x7fff
	v_or_b32_e32 v15, 0x400000, v10
	v_lshrrev_b32_e32 v70, 16, v14
	v_cndmask_b32_e64 v11, v18, v26, s4
	v_cmp_u_f32_e64 s4, v10, v10
	v_or_b32_e32 v14, 0x400000, v1
	v_lshrrev_b32_e32 v99, 16, v11
	v_bfe_u32 v11, v1, 16, 1
	v_cndmask_b32_e64 v10, v13, v15, s4
	v_mul_f32_e32 v13, v46, v17
	v_mul_f32_e32 v15, v46, v16
	v_bfe_u32 v16, v0, 16, 1
	v_add3_u32 v11, v11, v1, 0x7fff
	v_cmp_u_f32_e64 s4, v1, v1
	v_bfe_u32 v17, v13, 16, 1
	v_or_b32_e32 v18, 0x400000, v13
	v_or_b32_e32 v21, 0x400000, v15
	v_lshrrev_b32_e32 v98, 16, v10
	v_cndmask_b32_e64 v1, v11, v14, s4
	v_add3_u32 v14, v16, v0, 0x7fff
	v_or_b32_e32 v16, 0x400000, v0
	v_cmp_u_f32_e64 s4, v0, v0
	v_bfe_u32 v11, v15, 16, 1
	v_add3_u32 v17, v17, v13, 0x7fff
	v_lshrrev_b32_e32 v101, 16, v1
	v_cndmask_b32_e64 v0, v14, v16, s4
	v_cmp_u_f32_e64 s4, v13, v13
	v_add3_u32 v11, v11, v15, 0x7fff
	v_lshrrev_b32_e32 v100, 16, v0
	v_cndmask_b32_e64 v13, v17, v18, s4
	v_cmp_u_f32_e64 s4, v15, v15
	v_lshrrev_b32_e32 v0, 16, v13
	v_cndmask_b32_e64 v11, v11, v21, s4
	buffer_store_dword v0, off, s[0:3], s32 offset:196 ; 4-byte Folded Spill
	v_lshrrev_b32_e32 v71, 16, v11
	s_and_saveexec_b32 s20, vcc_lo
	s_cbranch_execz .LBB329_876
; %bb.875:                              ;   in Loop: Header=BB329_809 Depth=1
	buffer_load_dword v0, off, s[0:3], s32 offset:196 ; 4-byte Folded Reload
	v_cmp_lt_i32_e64 s4, v47, v82
	v_cndmask_b32_e64 v100, 0, v100, s4
	v_cmp_lt_i32_e64 s4, v62, v82
	v_cndmask_b32_e64 v101, 0, v101, s4
	;; [unrolled: 2-line block ×6, first 2 shown]
	v_cmp_lt_i32_e64 s4, v57, v82
	s_waitcnt vmcnt(0)
	v_cndmask_b32_e64 v0, 0, v0, s4
	v_cmp_lt_i32_e64 s4, v56, v82
	buffer_store_dword v0, off, s[0:3], s32 offset:196 ; 4-byte Folded Spill
	v_cndmask_b32_e64 v71, 0, v71, s4
.LBB329_876:                            ;   in Loop: Header=BB329_809 Depth=1
	s_or_b32 exec_lo, exec_lo, s20
	flat_load_dwordx2 v[26:27], v[24:25] offset:256
	v_mov_b32_e32 v1, 0
	v_mov_b32_e32 v0, 0
	s_waitcnt vmcnt(0) lgkmcnt(0)
	v_cmp_ne_u16_sdwa s4, v26, v12 src0_sel:BYTE_0 src1_sel:DWORD
	s_and_saveexec_b32 s20, s4
	s_cbranch_execz .LBB329_884
; %bb.877:                              ;   in Loop: Header=BB329_809 Depth=1
	v_cmp_ne_u16_sdwa s4, v26, v55 src0_sel:BYTE_0 src1_sel:DWORD
	v_bfrev_b32_e32 v0, 1
	s_and_saveexec_b32 s21, s4
	s_cbranch_execz .LBB329_883
; %bb.878:                              ;   in Loop: Header=BB329_809 Depth=1
	v_and_b32_e32 v10, 0x7f, v26
	v_mov_b32_e32 v0, 0x7f800001
	s_mov_b32 s22, exec_lo
	v_cmpx_ne_u32_e32 0x7f, v10
	s_cbranch_execz .LBB329_882
; %bb.879:                              ;   in Loop: Header=BB329_809 Depth=1
	v_lshrrev_b32_e32 v0, 3, v10
	v_cmp_gt_u32_e64 s4, 8, v10
	v_mov_b32_e32 v10, v26
	v_mov_b32_e32 v11, v27
	s_and_saveexec_b32 s23, s4
; %bb.880:                              ;   in Loop: Header=BB329_809 Depth=1
	v_and_b32_e32 v0, 7, v26
	v_ffbh_u32_e32 v0, v0
	v_min_u32_e32 v0, 32, v0
	v_subrev_nc_u32_e32 v10, 28, v0
	v_sub_nc_u32_e32 v0, 29, v0
	v_lshlrev_b64 v[10:11], v10, v[26:27]
; %bb.881:                              ;   in Loop: Header=BB329_809 Depth=1
	s_or_b32 exec_lo, exec_lo, s23
	v_lshlrev_b32_e32 v10, 20, v10
	v_lshlrev_b32_e32 v11, 24, v26
	v_lshl_add_u32 v0, v0, 23, 0x3c000000
	v_and_b32_e32 v10, 0x700000, v10
	v_and_b32_e32 v11, 0x80000000, v11
	v_or3_b32 v0, v10, v11, v0
.LBB329_882:                            ;   in Loop: Header=BB329_809 Depth=1
	s_or_b32 exec_lo, exec_lo, s22
.LBB329_883:                            ;   in Loop: Header=BB329_809 Depth=1
	s_or_b32 exec_lo, exec_lo, s21
.LBB329_884:                            ;   in Loop: Header=BB329_809 Depth=1
	s_or_b32 exec_lo, exec_lo, s20
	v_cmp_ne_u16_sdwa s4, v26, v12 src0_sel:BYTE_1 src1_sel:DWORD
	s_and_saveexec_b32 s20, s4
	s_cbranch_execz .LBB329_892
; %bb.885:                              ;   in Loop: Header=BB329_809 Depth=1
	v_cmp_ne_u16_sdwa s4, v26, v55 src0_sel:BYTE_1 src1_sel:DWORD
	v_bfrev_b32_e32 v1, 1
	s_and_saveexec_b32 s21, s4
	s_cbranch_execz .LBB329_891
; %bb.886:                              ;   in Loop: Header=BB329_809 Depth=1
	v_mov_b32_e32 v1, 0xffff
	s_mov_b32 s22, exec_lo
	v_and_b32_sdwa v11, v1, v26 dst_sel:DWORD dst_unused:UNUSED_PAD src0_sel:DWORD src1_sel:BYTE_1
	v_mov_b32_e32 v1, 0x7f800001
	v_and_b32_e32 v10, 0x7f, v11
	v_cmpx_ne_u32_e32 0x7f, v10
	s_cbranch_execz .LBB329_890
; %bb.887:                              ;   in Loop: Header=BB329_809 Depth=1
	v_and_b32_e32 v11, 7, v11
	v_lshrrev_b32_e32 v1, 3, v10
	s_mov_b32 s23, exec_lo
	v_cmpx_gt_u32_e32 8, v10
; %bb.888:                              ;   in Loop: Header=BB329_809 Depth=1
	v_ffbh_u32_e32 v1, v11
	v_min_u32_e32 v1, 32, v1
	v_subrev_nc_u32_e32 v10, 28, v1
	v_sub_nc_u32_e32 v1, 29, v1
	v_lshlrev_b64 v[10:11], v10, v[11:12]
	v_and_b32_e32 v11, 7, v10
; %bb.889:                              ;   in Loop: Header=BB329_809 Depth=1
	s_or_b32 exec_lo, exec_lo, s23
	v_lshlrev_b32_e32 v10, 16, v26
	v_lshlrev_b32_e32 v11, 20, v11
	v_lshl_add_u32 v1, v1, 23, 0x3c000000
	v_and_b32_e32 v10, 0x80000000, v10
	v_or3_b32 v1, v11, v10, v1
.LBB329_890:                            ;   in Loop: Header=BB329_809 Depth=1
	s_or_b32 exec_lo, exec_lo, s22
.LBB329_891:                            ;   in Loop: Header=BB329_809 Depth=1
	s_or_b32 exec_lo, exec_lo, s21
.LBB329_892:                            ;   in Loop: Header=BB329_809 Depth=1
	s_or_b32 exec_lo, exec_lo, s20
	v_and_b32_sdwa v11, v26, v65 dst_sel:DWORD dst_unused:UNUSED_PAD src0_sel:WORD_1 src1_sel:DWORD
	v_mov_b32_e32 v13, 0
	v_mov_b32_e32 v10, 0
	s_mov_b32 s20, exec_lo
	v_cmpx_ne_u16_e32 0, v11
	s_cbranch_execz .LBB329_900
; %bb.893:                              ;   in Loop: Header=BB329_809 Depth=1
	v_bfrev_b32_e32 v10, 1
	s_mov_b32 s21, exec_lo
	v_cmpx_ne_u16_e32 0x80, v11
	s_cbranch_execz .LBB329_899
; %bb.894:                              ;   in Loop: Header=BB329_809 Depth=1
	v_bfe_u32 v14, v26, 16, 7
	v_mov_b32_e32 v10, 0x7f800001
	s_mov_b32 s22, exec_lo
	v_cmpx_ne_u32_e32 0x7f, v14
	s_cbranch_execz .LBB329_898
; %bb.895:                              ;   in Loop: Header=BB329_809 Depth=1
	v_mov_b32_e32 v10, 7
	s_mov_b32 s23, exec_lo
	v_and_b32_sdwa v11, v26, v10 dst_sel:DWORD dst_unused:UNUSED_PAD src0_sel:WORD_1 src1_sel:DWORD
	v_lshrrev_b32_e32 v10, 3, v14
	v_cmpx_gt_u32_e32 8, v14
; %bb.896:                              ;   in Loop: Header=BB329_809 Depth=1
	v_ffbh_u32_e32 v10, v11
	v_min_u32_e32 v10, 32, v10
	v_subrev_nc_u32_e32 v14, 28, v10
	v_sub_nc_u32_e32 v10, 29, v10
	v_lshlrev_b64 v[14:15], v14, v[11:12]
	v_and_b32_e32 v11, 7, v14
; %bb.897:                              ;   in Loop: Header=BB329_809 Depth=1
	s_or_b32 exec_lo, exec_lo, s23
	v_mov_b32_e32 v14, 24
	v_lshlrev_b32_e32 v11, 20, v11
	v_lshl_add_u32 v10, v10, 23, 0x3c000000
	v_lshlrev_b32_sdwa v14, v14, v26 dst_sel:DWORD dst_unused:UNUSED_PAD src0_sel:DWORD src1_sel:WORD_1
	v_and_b32_e32 v14, 0x80000000, v14
	v_or3_b32 v10, v11, v14, v10
.LBB329_898:                            ;   in Loop: Header=BB329_809 Depth=1
	s_or_b32 exec_lo, exec_lo, s22
.LBB329_899:                            ;   in Loop: Header=BB329_809 Depth=1
	s_or_b32 exec_lo, exec_lo, s21
.LBB329_900:                            ;   in Loop: Header=BB329_809 Depth=1
	s_or_b32 exec_lo, exec_lo, s20
	s_mov_b32 s20, exec_lo
	v_cmpx_lt_u32_e32 0xffffff, v26
	s_cbranch_execz .LBB329_908
; %bb.901:                              ;   in Loop: Header=BB329_809 Depth=1
	v_cmp_ne_u32_sdwa s4, v26, v55 src0_sel:BYTE_3 src1_sel:DWORD
	v_bfrev_b32_e32 v13, 1
	s_and_saveexec_b32 s21, s4
	s_cbranch_execz .LBB329_907
; %bb.902:                              ;   in Loop: Header=BB329_809 Depth=1
	v_bfe_u32 v14, v26, 24, 7
	v_mov_b32_e32 v13, 0x7f800001
	s_mov_b32 s22, exec_lo
	v_cmpx_ne_u32_e32 0x7f, v14
	s_cbranch_execz .LBB329_906
; %bb.903:                              ;   in Loop: Header=BB329_809 Depth=1
	v_mov_b32_e32 v11, 7
	v_lshrrev_b32_e32 v13, 3, v14
	s_mov_b32 s23, exec_lo
	v_and_b32_sdwa v11, v26, v11 dst_sel:DWORD dst_unused:UNUSED_PAD src0_sel:BYTE_3 src1_sel:DWORD
	v_cmpx_gt_u32_e32 8, v14
; %bb.904:                              ;   in Loop: Header=BB329_809 Depth=1
	v_ffbh_u32_e32 v13, v11
	v_min_u32_e32 v13, 32, v13
	v_subrev_nc_u32_e32 v14, 28, v13
	v_sub_nc_u32_e32 v13, 29, v13
	v_lshlrev_b64 v[14:15], v14, v[11:12]
	v_and_b32_e32 v11, 7, v14
; %bb.905:                              ;   in Loop: Header=BB329_809 Depth=1
	s_or_b32 exec_lo, exec_lo, s23
	v_mov_b32_e32 v14, 24
	v_lshlrev_b32_e32 v11, 20, v11
	v_lshl_add_u32 v13, v13, 23, 0x3c000000
	v_lshlrev_b32_sdwa v14, v14, v26 dst_sel:DWORD dst_unused:UNUSED_PAD src0_sel:DWORD src1_sel:BYTE_3
	v_and_b32_e32 v14, 0x80000000, v14
	v_or3_b32 v13, v11, v14, v13
.LBB329_906:                            ;   in Loop: Header=BB329_809 Depth=1
	s_or_b32 exec_lo, exec_lo, s22
.LBB329_907:                            ;   in Loop: Header=BB329_809 Depth=1
	s_or_b32 exec_lo, exec_lo, s21
.LBB329_908:                            ;   in Loop: Header=BB329_809 Depth=1
	s_or_b32 exec_lo, exec_lo, s20
	v_mov_b32_e32 v11, v27
	v_cmp_ne_u16_sdwa s4, v27, v12 src0_sel:BYTE_0 src1_sel:DWORD
	v_mov_b32_e32 v15, 0
	v_mov_b32_e32 v14, 0
	s_and_saveexec_b32 s20, s4
	s_cbranch_execz .LBB329_916
; %bb.909:                              ;   in Loop: Header=BB329_809 Depth=1
	v_cmp_ne_u16_sdwa s4, v27, v55 src0_sel:BYTE_0 src1_sel:DWORD
	v_bfrev_b32_e32 v14, 1
	s_and_saveexec_b32 s21, s4
	s_cbranch_execz .LBB329_915
; %bb.910:                              ;   in Loop: Header=BB329_809 Depth=1
	v_and_b32_e32 v16, 0x7f, v27
	v_mov_b32_e32 v14, 0x7f800001
	s_mov_b32 s22, exec_lo
	v_cmpx_ne_u32_e32 0x7f, v16
	s_cbranch_execz .LBB329_914
; %bb.911:                              ;   in Loop: Header=BB329_809 Depth=1
	v_mov_b32_e32 v29, v12
	v_lshrrev_b32_e32 v14, 3, v16
	v_mov_b32_e32 v28, v11
	s_mov_b32 s23, exec_lo
	v_cmpx_gt_u32_e32 8, v16
; %bb.912:                              ;   in Loop: Header=BB329_809 Depth=1
	v_and_b32_e32 v14, 7, v27
	v_ffbh_u32_e32 v14, v14
	v_min_u32_e32 v14, 32, v14
	v_subrev_nc_u32_e32 v16, 28, v14
	v_sub_nc_u32_e32 v14, 29, v14
	v_lshlrev_b64 v[28:29], v16, v[11:12]
; %bb.913:                              ;   in Loop: Header=BB329_809 Depth=1
	s_or_b32 exec_lo, exec_lo, s23
	v_lshlrev_b32_e32 v16, 20, v28
	v_lshlrev_b32_e32 v17, 24, v11
	v_lshl_add_u32 v14, v14, 23, 0x3c000000
	v_and_b32_e32 v16, 0x700000, v16
	v_and_b32_e32 v17, 0x80000000, v17
	v_or3_b32 v14, v16, v17, v14
.LBB329_914:                            ;   in Loop: Header=BB329_809 Depth=1
	s_or_b32 exec_lo, exec_lo, s22
.LBB329_915:                            ;   in Loop: Header=BB329_809 Depth=1
	s_or_b32 exec_lo, exec_lo, s21
.LBB329_916:                            ;   in Loop: Header=BB329_809 Depth=1
	s_or_b32 exec_lo, exec_lo, s20
	v_cmp_ne_u16_sdwa s4, v11, v12 src0_sel:BYTE_1 src1_sel:DWORD
	s_and_saveexec_b32 s20, s4
	s_cbranch_execz .LBB329_924
; %bb.917:                              ;   in Loop: Header=BB329_809 Depth=1
	v_cmp_ne_u16_sdwa s4, v11, v55 src0_sel:BYTE_1 src1_sel:DWORD
	v_bfrev_b32_e32 v15, 1
	s_and_saveexec_b32 s21, s4
	s_cbranch_execz .LBB329_923
; %bb.918:                              ;   in Loop: Header=BB329_809 Depth=1
	v_mov_b32_e32 v15, 0xffff
	s_mov_b32 s22, exec_lo
	v_and_b32_sdwa v17, v15, v11 dst_sel:DWORD dst_unused:UNUSED_PAD src0_sel:DWORD src1_sel:BYTE_1
	v_mov_b32_e32 v15, 0x7f800001
	v_and_b32_e32 v16, 0x7f, v17
	v_cmpx_ne_u32_e32 0x7f, v16
	s_cbranch_execz .LBB329_922
; %bb.919:                              ;   in Loop: Header=BB329_809 Depth=1
	v_and_b32_e32 v28, 7, v17
	v_mov_b32_e32 v29, v12
	v_lshrrev_b32_e32 v15, 3, v16
	s_mov_b32 s23, exec_lo
	v_cmpx_gt_u32_e32 8, v16
; %bb.920:                              ;   in Loop: Header=BB329_809 Depth=1
	v_ffbh_u32_e32 v15, v28
	v_min_u32_e32 v15, 32, v15
	v_subrev_nc_u32_e32 v16, 28, v15
	v_sub_nc_u32_e32 v15, 29, v15
	v_lshlrev_b64 v[16:17], v16, v[28:29]
	v_and_b32_e32 v28, 7, v16
; %bb.921:                              ;   in Loop: Header=BB329_809 Depth=1
	s_or_b32 exec_lo, exec_lo, s23
	v_lshlrev_b32_e32 v11, 16, v11
	v_lshlrev_b32_e32 v16, 20, v28
	v_lshl_add_u32 v15, v15, 23, 0x3c000000
	v_and_b32_e32 v11, 0x80000000, v11
	v_or3_b32 v15, v16, v11, v15
.LBB329_922:                            ;   in Loop: Header=BB329_809 Depth=1
	s_or_b32 exec_lo, exec_lo, s22
.LBB329_923:                            ;   in Loop: Header=BB329_809 Depth=1
	s_or_b32 exec_lo, exec_lo, s21
.LBB329_924:                            ;   in Loop: Header=BB329_809 Depth=1
	s_or_b32 exec_lo, exec_lo, s20
	v_and_b32_sdwa v11, v27, v65 dst_sel:DWORD dst_unused:UNUSED_PAD src0_sel:WORD_1 src1_sel:DWORD
	v_mov_b32_e32 v16, 0
	v_mov_b32_e32 v17, 0
	s_mov_b32 s20, exec_lo
	v_cmpx_ne_u16_e32 0, v11
	s_cbranch_execz .LBB329_932
; %bb.925:                              ;   in Loop: Header=BB329_809 Depth=1
	v_bfrev_b32_e32 v17, 1
	s_mov_b32 s21, exec_lo
	v_cmpx_ne_u16_e32 0x80, v11
	s_cbranch_execz .LBB329_931
; %bb.926:                              ;   in Loop: Header=BB329_809 Depth=1
	v_bfe_u32 v18, v27, 16, 7
	v_mov_b32_e32 v17, 0x7f800001
	s_mov_b32 s22, exec_lo
	v_cmpx_ne_u32_e32 0x7f, v18
	s_cbranch_execz .LBB329_930
; %bb.927:                              ;   in Loop: Header=BB329_809 Depth=1
	v_mov_b32_e32 v11, 7
	v_lshrrev_b32_e32 v17, 3, v18
	s_mov_b32 s23, exec_lo
	v_and_b32_sdwa v11, v27, v11 dst_sel:DWORD dst_unused:UNUSED_PAD src0_sel:WORD_1 src1_sel:DWORD
	v_cmpx_gt_u32_e32 8, v18
; %bb.928:                              ;   in Loop: Header=BB329_809 Depth=1
	v_ffbh_u32_e32 v17, v11
	v_min_u32_e32 v17, 32, v17
	v_subrev_nc_u32_e32 v18, 28, v17
	v_sub_nc_u32_e32 v17, 29, v17
	v_lshlrev_b64 v[21:22], v18, v[11:12]
	v_and_b32_e32 v11, 7, v21
; %bb.929:                              ;   in Loop: Header=BB329_809 Depth=1
	s_or_b32 exec_lo, exec_lo, s23
	v_mov_b32_e32 v18, 24
	v_lshlrev_b32_e32 v11, 20, v11
	v_lshl_add_u32 v17, v17, 23, 0x3c000000
	v_lshlrev_b32_sdwa v18, v18, v27 dst_sel:DWORD dst_unused:UNUSED_PAD src0_sel:DWORD src1_sel:WORD_1
	v_and_b32_e32 v18, 0x80000000, v18
	v_or3_b32 v17, v11, v18, v17
.LBB329_930:                            ;   in Loop: Header=BB329_809 Depth=1
	s_or_b32 exec_lo, exec_lo, s22
.LBB329_931:                            ;   in Loop: Header=BB329_809 Depth=1
	s_or_b32 exec_lo, exec_lo, s21
.LBB329_932:                            ;   in Loop: Header=BB329_809 Depth=1
	s_or_b32 exec_lo, exec_lo, s20
	s_mov_b32 s20, exec_lo
	v_cmpx_lt_u64_e64 s[6:7], v[26:27]
	s_cbranch_execz .LBB329_940
; %bb.933:                              ;   in Loop: Header=BB329_809 Depth=1
	v_cmp_ne_u32_sdwa s4, v27, v55 src0_sel:BYTE_3 src1_sel:DWORD
	v_bfrev_b32_e32 v16, 1
	s_and_saveexec_b32 s21, s4
	s_cbranch_execz .LBB329_939
; %bb.934:                              ;   in Loop: Header=BB329_809 Depth=1
	v_bfe_u32 v18, v27, 24, 7
	v_mov_b32_e32 v16, 0x7f800001
	s_mov_b32 s22, exec_lo
	v_cmpx_ne_u32_e32 0x7f, v18
	s_cbranch_execz .LBB329_938
; %bb.935:                              ;   in Loop: Header=BB329_809 Depth=1
	v_mov_b32_e32 v11, 7
	v_lshrrev_b32_e32 v16, 3, v18
	s_mov_b32 s23, exec_lo
	v_and_b32_sdwa v11, v27, v11 dst_sel:DWORD dst_unused:UNUSED_PAD src0_sel:BYTE_3 src1_sel:DWORD
	v_cmpx_gt_u32_e32 8, v18
; %bb.936:                              ;   in Loop: Header=BB329_809 Depth=1
	v_ffbh_u32_e32 v16, v11
	v_min_u32_e32 v16, 32, v16
	v_subrev_nc_u32_e32 v18, 28, v16
	v_sub_nc_u32_e32 v16, 29, v16
	v_lshlrev_b64 v[21:22], v18, v[11:12]
	v_and_b32_e32 v11, 7, v21
; %bb.937:                              ;   in Loop: Header=BB329_809 Depth=1
	s_or_b32 exec_lo, exec_lo, s23
	v_mov_b32_e32 v18, 24
	v_lshlrev_b32_e32 v11, 20, v11
	v_lshl_add_u32 v16, v16, 23, 0x3c000000
	v_lshlrev_b32_sdwa v18, v18, v27 dst_sel:DWORD dst_unused:UNUSED_PAD src0_sel:DWORD src1_sel:BYTE_3
	v_and_b32_e32 v18, 0x80000000, v18
	v_or3_b32 v16, v11, v18, v16
.LBB329_938:                            ;   in Loop: Header=BB329_809 Depth=1
	s_or_b32 exec_lo, exec_lo, s22
.LBB329_939:                            ;   in Loop: Header=BB329_809 Depth=1
	s_or_b32 exec_lo, exec_lo, s21
.LBB329_940:                            ;   in Loop: Header=BB329_809 Depth=1
	s_or_b32 exec_lo, exec_lo, s20
	v_mul_f32_e32 v11, v46, v15
	v_mul_f32_e32 v14, v46, v14
	;; [unrolled: 1-line block ×5, first 2 shown]
	v_bfe_u32 v15, v11, 16, 1
	v_or_b32_e32 v18, 0x400000, v11
	v_bfe_u32 v21, v14, 16, 1
	v_cmp_u_f32_e64 s4, v11, v11
	v_or_b32_e32 v22, 0x400000, v14
	v_add3_u32 v15, v15, v11, 0x7fff
	v_bfe_u32 v23, v13, 16, 1
	v_add3_u32 v21, v21, v14, 0x7fff
	v_or_b32_e32 v26, 0x400000, v13
	v_bfe_u32 v27, v10, 16, 1
	v_cndmask_b32_e64 v11, v15, v18, s4
	v_cmp_u_f32_e64 s4, v14, v14
	v_add3_u32 v23, v23, v13, 0x7fff
	v_or_b32_e32 v15, 0x400000, v10
	v_mul_f32_e32 v0, v46, v0
	v_lshrrev_b32_e32 v113, 16, v11
	v_cndmask_b32_e64 v14, v21, v22, s4
	v_cmp_u_f32_e64 s4, v13, v13
	v_add3_u32 v11, v27, v10, 0x7fff
	v_lshrrev_b32_e32 v112, 16, v14
	v_cndmask_b32_e64 v13, v23, v26, s4
	v_cmp_u_f32_e64 s4, v10, v10
	v_or_b32_e32 v14, 0x400000, v1
	v_lshrrev_b32_e32 v115, 16, v13
	v_bfe_u32 v13, v1, 16, 1
	v_cndmask_b32_e64 v10, v11, v15, s4
	v_mul_f32_e32 v11, v46, v17
	v_mul_f32_e32 v15, v46, v16
	v_bfe_u32 v16, v0, 16, 1
	v_add3_u32 v13, v13, v1, 0x7fff
	v_cmp_u_f32_e64 s4, v1, v1
	v_bfe_u32 v17, v11, 16, 1
	v_or_b32_e32 v18, 0x400000, v11
	v_or_b32_e32 v21, 0x400000, v15
	v_lshrrev_b32_e32 v114, 16, v10
	v_cndmask_b32_e64 v1, v13, v14, s4
	v_add3_u32 v14, v16, v0, 0x7fff
	v_or_b32_e32 v16, 0x400000, v0
	v_cmp_u_f32_e64 s4, v0, v0
	v_bfe_u32 v13, v15, 16, 1
	v_add3_u32 v17, v17, v11, 0x7fff
	v_lshrrev_b32_e32 v117, 16, v1
	v_cndmask_b32_e64 v0, v14, v16, s4
	v_cmp_u_f32_e64 s4, v11, v11
	v_add3_u32 v13, v13, v15, 0x7fff
	v_lshrrev_b32_e32 v116, 16, v0
	v_cndmask_b32_e64 v11, v17, v18, s4
	v_cmp_u_f32_e64 s4, v15, v15
	v_lshrrev_b32_e32 v102, 16, v11
	v_cndmask_b32_e64 v13, v13, v21, s4
	v_lshrrev_b32_e32 v103, 16, v13
	s_and_saveexec_b32 s20, vcc_lo
	s_cbranch_execz .LBB329_942
; %bb.941:                              ;   in Loop: Header=BB329_809 Depth=1
	v_cmp_lt_i32_e64 s4, v47, v82
	v_cndmask_b32_e64 v116, 0, v116, s4
	v_cmp_lt_i32_e64 s4, v62, v82
	v_cndmask_b32_e64 v117, 0, v117, s4
	;; [unrolled: 2-line block ×8, first 2 shown]
.LBB329_942:                            ;   in Loop: Header=BB329_809 Depth=1
	s_or_b32 exec_lo, exec_lo, s20
	flat_load_dwordx2 v[26:27], v[24:25] offset:512
	v_mov_b32_e32 v1, 0
	v_mov_b32_e32 v0, 0
	s_waitcnt vmcnt(0) lgkmcnt(0)
	v_cmp_ne_u16_sdwa s4, v26, v12 src0_sel:BYTE_0 src1_sel:DWORD
	s_and_saveexec_b32 s20, s4
	s_cbranch_execz .LBB329_950
; %bb.943:                              ;   in Loop: Header=BB329_809 Depth=1
	v_cmp_ne_u16_sdwa s4, v26, v55 src0_sel:BYTE_0 src1_sel:DWORD
	v_bfrev_b32_e32 v0, 1
	s_and_saveexec_b32 s21, s4
	s_cbranch_execz .LBB329_949
; %bb.944:                              ;   in Loop: Header=BB329_809 Depth=1
	v_and_b32_e32 v10, 0x7f, v26
	v_mov_b32_e32 v0, 0x7f800001
	s_mov_b32 s22, exec_lo
	v_cmpx_ne_u32_e32 0x7f, v10
	s_cbranch_execz .LBB329_948
; %bb.945:                              ;   in Loop: Header=BB329_809 Depth=1
	v_lshrrev_b32_e32 v0, 3, v10
	v_cmp_gt_u32_e64 s4, 8, v10
	v_mov_b32_e32 v10, v26
	v_mov_b32_e32 v11, v27
	s_and_saveexec_b32 s23, s4
; %bb.946:                              ;   in Loop: Header=BB329_809 Depth=1
	v_and_b32_e32 v0, 7, v26
	v_ffbh_u32_e32 v0, v0
	v_min_u32_e32 v0, 32, v0
	v_subrev_nc_u32_e32 v10, 28, v0
	v_sub_nc_u32_e32 v0, 29, v0
	v_lshlrev_b64 v[10:11], v10, v[26:27]
; %bb.947:                              ;   in Loop: Header=BB329_809 Depth=1
	s_or_b32 exec_lo, exec_lo, s23
	v_lshlrev_b32_e32 v10, 20, v10
	v_lshlrev_b32_e32 v11, 24, v26
	v_lshl_add_u32 v0, v0, 23, 0x3c000000
	v_and_b32_e32 v10, 0x700000, v10
	v_and_b32_e32 v11, 0x80000000, v11
	v_or3_b32 v0, v10, v11, v0
.LBB329_948:                            ;   in Loop: Header=BB329_809 Depth=1
	s_or_b32 exec_lo, exec_lo, s22
.LBB329_949:                            ;   in Loop: Header=BB329_809 Depth=1
	s_or_b32 exec_lo, exec_lo, s21
.LBB329_950:                            ;   in Loop: Header=BB329_809 Depth=1
	s_or_b32 exec_lo, exec_lo, s20
	v_cmp_ne_u16_sdwa s4, v26, v12 src0_sel:BYTE_1 src1_sel:DWORD
	s_and_saveexec_b32 s20, s4
	s_cbranch_execz .LBB329_958
; %bb.951:                              ;   in Loop: Header=BB329_809 Depth=1
	v_cmp_ne_u16_sdwa s4, v26, v55 src0_sel:BYTE_1 src1_sel:DWORD
	v_bfrev_b32_e32 v1, 1
	s_and_saveexec_b32 s21, s4
	s_cbranch_execz .LBB329_957
; %bb.952:                              ;   in Loop: Header=BB329_809 Depth=1
	v_mov_b32_e32 v1, 0xffff
	s_mov_b32 s22, exec_lo
	v_and_b32_sdwa v11, v1, v26 dst_sel:DWORD dst_unused:UNUSED_PAD src0_sel:DWORD src1_sel:BYTE_1
	v_mov_b32_e32 v1, 0x7f800001
	v_and_b32_e32 v10, 0x7f, v11
	v_cmpx_ne_u32_e32 0x7f, v10
	s_cbranch_execz .LBB329_956
; %bb.953:                              ;   in Loop: Header=BB329_809 Depth=1
	v_and_b32_e32 v11, 7, v11
	v_lshrrev_b32_e32 v1, 3, v10
	s_mov_b32 s23, exec_lo
	v_cmpx_gt_u32_e32 8, v10
; %bb.954:                              ;   in Loop: Header=BB329_809 Depth=1
	v_ffbh_u32_e32 v1, v11
	v_min_u32_e32 v1, 32, v1
	v_subrev_nc_u32_e32 v10, 28, v1
	v_sub_nc_u32_e32 v1, 29, v1
	v_lshlrev_b64 v[10:11], v10, v[11:12]
	v_and_b32_e32 v11, 7, v10
; %bb.955:                              ;   in Loop: Header=BB329_809 Depth=1
	s_or_b32 exec_lo, exec_lo, s23
	v_lshlrev_b32_e32 v10, 16, v26
	v_lshlrev_b32_e32 v11, 20, v11
	v_lshl_add_u32 v1, v1, 23, 0x3c000000
	v_and_b32_e32 v10, 0x80000000, v10
	v_or3_b32 v1, v11, v10, v1
.LBB329_956:                            ;   in Loop: Header=BB329_809 Depth=1
	s_or_b32 exec_lo, exec_lo, s22
.LBB329_957:                            ;   in Loop: Header=BB329_809 Depth=1
	s_or_b32 exec_lo, exec_lo, s21
.LBB329_958:                            ;   in Loop: Header=BB329_809 Depth=1
	s_or_b32 exec_lo, exec_lo, s20
	v_and_b32_sdwa v11, v26, v65 dst_sel:DWORD dst_unused:UNUSED_PAD src0_sel:WORD_1 src1_sel:DWORD
	v_mov_b32_e32 v13, 0
	v_mov_b32_e32 v10, 0
	s_mov_b32 s20, exec_lo
	v_cmpx_ne_u16_e32 0, v11
	s_cbranch_execz .LBB329_966
; %bb.959:                              ;   in Loop: Header=BB329_809 Depth=1
	v_bfrev_b32_e32 v10, 1
	s_mov_b32 s21, exec_lo
	v_cmpx_ne_u16_e32 0x80, v11
	s_cbranch_execz .LBB329_965
; %bb.960:                              ;   in Loop: Header=BB329_809 Depth=1
	v_bfe_u32 v14, v26, 16, 7
	v_mov_b32_e32 v10, 0x7f800001
	s_mov_b32 s22, exec_lo
	v_cmpx_ne_u32_e32 0x7f, v14
	s_cbranch_execz .LBB329_964
; %bb.961:                              ;   in Loop: Header=BB329_809 Depth=1
	v_mov_b32_e32 v10, 7
	s_mov_b32 s23, exec_lo
	v_and_b32_sdwa v11, v26, v10 dst_sel:DWORD dst_unused:UNUSED_PAD src0_sel:WORD_1 src1_sel:DWORD
	v_lshrrev_b32_e32 v10, 3, v14
	v_cmpx_gt_u32_e32 8, v14
; %bb.962:                              ;   in Loop: Header=BB329_809 Depth=1
	v_ffbh_u32_e32 v10, v11
	v_min_u32_e32 v10, 32, v10
	v_subrev_nc_u32_e32 v14, 28, v10
	v_sub_nc_u32_e32 v10, 29, v10
	v_lshlrev_b64 v[14:15], v14, v[11:12]
	v_and_b32_e32 v11, 7, v14
; %bb.963:                              ;   in Loop: Header=BB329_809 Depth=1
	s_or_b32 exec_lo, exec_lo, s23
	v_mov_b32_e32 v14, 24
	v_lshlrev_b32_e32 v11, 20, v11
	v_lshl_add_u32 v10, v10, 23, 0x3c000000
	v_lshlrev_b32_sdwa v14, v14, v26 dst_sel:DWORD dst_unused:UNUSED_PAD src0_sel:DWORD src1_sel:WORD_1
	v_and_b32_e32 v14, 0x80000000, v14
	v_or3_b32 v10, v11, v14, v10
.LBB329_964:                            ;   in Loop: Header=BB329_809 Depth=1
	s_or_b32 exec_lo, exec_lo, s22
.LBB329_965:                            ;   in Loop: Header=BB329_809 Depth=1
	s_or_b32 exec_lo, exec_lo, s21
.LBB329_966:                            ;   in Loop: Header=BB329_809 Depth=1
	s_or_b32 exec_lo, exec_lo, s20
	s_mov_b32 s20, exec_lo
	v_cmpx_lt_u32_e32 0xffffff, v26
	s_cbranch_execz .LBB329_974
; %bb.967:                              ;   in Loop: Header=BB329_809 Depth=1
	v_cmp_ne_u32_sdwa s4, v26, v55 src0_sel:BYTE_3 src1_sel:DWORD
	v_bfrev_b32_e32 v13, 1
	s_and_saveexec_b32 s21, s4
	s_cbranch_execz .LBB329_973
; %bb.968:                              ;   in Loop: Header=BB329_809 Depth=1
	v_bfe_u32 v14, v26, 24, 7
	v_mov_b32_e32 v13, 0x7f800001
	s_mov_b32 s22, exec_lo
	v_cmpx_ne_u32_e32 0x7f, v14
	s_cbranch_execz .LBB329_972
; %bb.969:                              ;   in Loop: Header=BB329_809 Depth=1
	v_mov_b32_e32 v11, 7
	v_lshrrev_b32_e32 v13, 3, v14
	s_mov_b32 s23, exec_lo
	v_and_b32_sdwa v11, v26, v11 dst_sel:DWORD dst_unused:UNUSED_PAD src0_sel:BYTE_3 src1_sel:DWORD
	v_cmpx_gt_u32_e32 8, v14
; %bb.970:                              ;   in Loop: Header=BB329_809 Depth=1
	v_ffbh_u32_e32 v13, v11
	v_min_u32_e32 v13, 32, v13
	v_subrev_nc_u32_e32 v14, 28, v13
	v_sub_nc_u32_e32 v13, 29, v13
	v_lshlrev_b64 v[14:15], v14, v[11:12]
	v_and_b32_e32 v11, 7, v14
; %bb.971:                              ;   in Loop: Header=BB329_809 Depth=1
	s_or_b32 exec_lo, exec_lo, s23
	v_mov_b32_e32 v14, 24
	v_lshlrev_b32_e32 v11, 20, v11
	v_lshl_add_u32 v13, v13, 23, 0x3c000000
	v_lshlrev_b32_sdwa v14, v14, v26 dst_sel:DWORD dst_unused:UNUSED_PAD src0_sel:DWORD src1_sel:BYTE_3
	v_and_b32_e32 v14, 0x80000000, v14
	v_or3_b32 v13, v11, v14, v13
.LBB329_972:                            ;   in Loop: Header=BB329_809 Depth=1
	s_or_b32 exec_lo, exec_lo, s22
.LBB329_973:                            ;   in Loop: Header=BB329_809 Depth=1
	s_or_b32 exec_lo, exec_lo, s21
.LBB329_974:                            ;   in Loop: Header=BB329_809 Depth=1
	s_or_b32 exec_lo, exec_lo, s20
	v_mov_b32_e32 v11, v27
	v_cmp_ne_u16_sdwa s4, v27, v12 src0_sel:BYTE_0 src1_sel:DWORD
	v_mov_b32_e32 v15, 0
	v_mov_b32_e32 v14, 0
	s_and_saveexec_b32 s20, s4
	s_cbranch_execz .LBB329_982
; %bb.975:                              ;   in Loop: Header=BB329_809 Depth=1
	v_cmp_ne_u16_sdwa s4, v27, v55 src0_sel:BYTE_0 src1_sel:DWORD
	v_bfrev_b32_e32 v14, 1
	s_and_saveexec_b32 s21, s4
	s_cbranch_execz .LBB329_981
; %bb.976:                              ;   in Loop: Header=BB329_809 Depth=1
	v_and_b32_e32 v16, 0x7f, v27
	v_mov_b32_e32 v14, 0x7f800001
	s_mov_b32 s22, exec_lo
	v_cmpx_ne_u32_e32 0x7f, v16
	s_cbranch_execz .LBB329_980
; %bb.977:                              ;   in Loop: Header=BB329_809 Depth=1
	v_mov_b32_e32 v29, v12
	v_lshrrev_b32_e32 v14, 3, v16
	v_mov_b32_e32 v28, v11
	s_mov_b32 s23, exec_lo
	v_cmpx_gt_u32_e32 8, v16
; %bb.978:                              ;   in Loop: Header=BB329_809 Depth=1
	v_and_b32_e32 v14, 7, v27
	v_ffbh_u32_e32 v14, v14
	v_min_u32_e32 v14, 32, v14
	v_subrev_nc_u32_e32 v16, 28, v14
	v_sub_nc_u32_e32 v14, 29, v14
	v_lshlrev_b64 v[28:29], v16, v[11:12]
; %bb.979:                              ;   in Loop: Header=BB329_809 Depth=1
	s_or_b32 exec_lo, exec_lo, s23
	v_lshlrev_b32_e32 v16, 20, v28
	v_lshlrev_b32_e32 v17, 24, v11
	v_lshl_add_u32 v14, v14, 23, 0x3c000000
	v_and_b32_e32 v16, 0x700000, v16
	v_and_b32_e32 v17, 0x80000000, v17
	v_or3_b32 v14, v16, v17, v14
.LBB329_980:                            ;   in Loop: Header=BB329_809 Depth=1
	s_or_b32 exec_lo, exec_lo, s22
.LBB329_981:                            ;   in Loop: Header=BB329_809 Depth=1
	s_or_b32 exec_lo, exec_lo, s21
.LBB329_982:                            ;   in Loop: Header=BB329_809 Depth=1
	s_or_b32 exec_lo, exec_lo, s20
	v_cmp_ne_u16_sdwa s4, v11, v12 src0_sel:BYTE_1 src1_sel:DWORD
	s_and_saveexec_b32 s20, s4
	s_cbranch_execz .LBB329_990
; %bb.983:                              ;   in Loop: Header=BB329_809 Depth=1
	v_cmp_ne_u16_sdwa s4, v11, v55 src0_sel:BYTE_1 src1_sel:DWORD
	v_bfrev_b32_e32 v15, 1
	s_and_saveexec_b32 s21, s4
	s_cbranch_execz .LBB329_989
; %bb.984:                              ;   in Loop: Header=BB329_809 Depth=1
	v_mov_b32_e32 v15, 0xffff
	s_mov_b32 s22, exec_lo
	v_and_b32_sdwa v17, v15, v11 dst_sel:DWORD dst_unused:UNUSED_PAD src0_sel:DWORD src1_sel:BYTE_1
	v_mov_b32_e32 v15, 0x7f800001
	v_and_b32_e32 v16, 0x7f, v17
	v_cmpx_ne_u32_e32 0x7f, v16
	s_cbranch_execz .LBB329_988
; %bb.985:                              ;   in Loop: Header=BB329_809 Depth=1
	v_and_b32_e32 v28, 7, v17
	v_mov_b32_e32 v29, v12
	v_lshrrev_b32_e32 v15, 3, v16
	s_mov_b32 s23, exec_lo
	v_cmpx_gt_u32_e32 8, v16
; %bb.986:                              ;   in Loop: Header=BB329_809 Depth=1
	v_ffbh_u32_e32 v15, v28
	v_min_u32_e32 v15, 32, v15
	v_subrev_nc_u32_e32 v16, 28, v15
	v_sub_nc_u32_e32 v15, 29, v15
	v_lshlrev_b64 v[16:17], v16, v[28:29]
	v_and_b32_e32 v28, 7, v16
; %bb.987:                              ;   in Loop: Header=BB329_809 Depth=1
	s_or_b32 exec_lo, exec_lo, s23
	v_lshlrev_b32_e32 v11, 16, v11
	v_lshlrev_b32_e32 v16, 20, v28
	v_lshl_add_u32 v15, v15, 23, 0x3c000000
	v_and_b32_e32 v11, 0x80000000, v11
	v_or3_b32 v15, v16, v11, v15
.LBB329_988:                            ;   in Loop: Header=BB329_809 Depth=1
	s_or_b32 exec_lo, exec_lo, s22
.LBB329_989:                            ;   in Loop: Header=BB329_809 Depth=1
	s_or_b32 exec_lo, exec_lo, s21
.LBB329_990:                            ;   in Loop: Header=BB329_809 Depth=1
	s_or_b32 exec_lo, exec_lo, s20
	v_and_b32_sdwa v11, v27, v65 dst_sel:DWORD dst_unused:UNUSED_PAD src0_sel:WORD_1 src1_sel:DWORD
	v_mov_b32_e32 v16, 0
	v_mov_b32_e32 v17, 0
	s_mov_b32 s20, exec_lo
	v_cmpx_ne_u16_e32 0, v11
	s_cbranch_execz .LBB329_998
; %bb.991:                              ;   in Loop: Header=BB329_809 Depth=1
	v_bfrev_b32_e32 v17, 1
	s_mov_b32 s21, exec_lo
	v_cmpx_ne_u16_e32 0x80, v11
	s_cbranch_execz .LBB329_997
; %bb.992:                              ;   in Loop: Header=BB329_809 Depth=1
	v_bfe_u32 v18, v27, 16, 7
	v_mov_b32_e32 v17, 0x7f800001
	s_mov_b32 s22, exec_lo
	v_cmpx_ne_u32_e32 0x7f, v18
	s_cbranch_execz .LBB329_996
; %bb.993:                              ;   in Loop: Header=BB329_809 Depth=1
	v_mov_b32_e32 v11, 7
	v_lshrrev_b32_e32 v17, 3, v18
	s_mov_b32 s23, exec_lo
	v_and_b32_sdwa v11, v27, v11 dst_sel:DWORD dst_unused:UNUSED_PAD src0_sel:WORD_1 src1_sel:DWORD
	v_cmpx_gt_u32_e32 8, v18
; %bb.994:                              ;   in Loop: Header=BB329_809 Depth=1
	v_ffbh_u32_e32 v17, v11
	v_min_u32_e32 v17, 32, v17
	v_subrev_nc_u32_e32 v18, 28, v17
	v_sub_nc_u32_e32 v17, 29, v17
	v_lshlrev_b64 v[21:22], v18, v[11:12]
	v_and_b32_e32 v11, 7, v21
; %bb.995:                              ;   in Loop: Header=BB329_809 Depth=1
	s_or_b32 exec_lo, exec_lo, s23
	v_mov_b32_e32 v18, 24
	v_lshlrev_b32_e32 v11, 20, v11
	v_lshl_add_u32 v17, v17, 23, 0x3c000000
	v_lshlrev_b32_sdwa v18, v18, v27 dst_sel:DWORD dst_unused:UNUSED_PAD src0_sel:DWORD src1_sel:WORD_1
	v_and_b32_e32 v18, 0x80000000, v18
	v_or3_b32 v17, v11, v18, v17
.LBB329_996:                            ;   in Loop: Header=BB329_809 Depth=1
	s_or_b32 exec_lo, exec_lo, s22
.LBB329_997:                            ;   in Loop: Header=BB329_809 Depth=1
	s_or_b32 exec_lo, exec_lo, s21
.LBB329_998:                            ;   in Loop: Header=BB329_809 Depth=1
	s_or_b32 exec_lo, exec_lo, s20
	s_mov_b32 s20, exec_lo
	v_cmpx_lt_u64_e64 s[6:7], v[26:27]
	s_cbranch_execz .LBB329_1006
; %bb.999:                              ;   in Loop: Header=BB329_809 Depth=1
	v_cmp_ne_u32_sdwa s4, v27, v55 src0_sel:BYTE_3 src1_sel:DWORD
	v_bfrev_b32_e32 v16, 1
	s_and_saveexec_b32 s21, s4
	s_cbranch_execz .LBB329_1005
; %bb.1000:                             ;   in Loop: Header=BB329_809 Depth=1
	v_bfe_u32 v18, v27, 24, 7
	v_mov_b32_e32 v16, 0x7f800001
	s_mov_b32 s22, exec_lo
	v_cmpx_ne_u32_e32 0x7f, v18
	s_cbranch_execz .LBB329_1004
; %bb.1001:                             ;   in Loop: Header=BB329_809 Depth=1
	v_mov_b32_e32 v11, 7
	v_lshrrev_b32_e32 v16, 3, v18
	s_mov_b32 s23, exec_lo
	v_and_b32_sdwa v11, v27, v11 dst_sel:DWORD dst_unused:UNUSED_PAD src0_sel:BYTE_3 src1_sel:DWORD
	v_cmpx_gt_u32_e32 8, v18
; %bb.1002:                             ;   in Loop: Header=BB329_809 Depth=1
	v_ffbh_u32_e32 v16, v11
	v_min_u32_e32 v16, 32, v16
	v_subrev_nc_u32_e32 v18, 28, v16
	v_sub_nc_u32_e32 v16, 29, v16
	v_lshlrev_b64 v[21:22], v18, v[11:12]
	v_and_b32_e32 v11, 7, v21
; %bb.1003:                             ;   in Loop: Header=BB329_809 Depth=1
	s_or_b32 exec_lo, exec_lo, s23
	v_mov_b32_e32 v18, 24
	v_lshlrev_b32_e32 v11, 20, v11
	v_lshl_add_u32 v16, v16, 23, 0x3c000000
	v_lshlrev_b32_sdwa v18, v18, v27 dst_sel:DWORD dst_unused:UNUSED_PAD src0_sel:DWORD src1_sel:BYTE_3
	v_and_b32_e32 v18, 0x80000000, v18
	v_or3_b32 v16, v11, v18, v16
.LBB329_1004:                           ;   in Loop: Header=BB329_809 Depth=1
	s_or_b32 exec_lo, exec_lo, s22
.LBB329_1005:                           ;   in Loop: Header=BB329_809 Depth=1
	s_or_b32 exec_lo, exec_lo, s21
.LBB329_1006:                           ;   in Loop: Header=BB329_809 Depth=1
	s_or_b32 exec_lo, exec_lo, s20
	v_mul_f32_e32 v11, v46, v15
	v_mul_f32_e32 v14, v46, v14
	;; [unrolled: 1-line block ×5, first 2 shown]
	v_bfe_u32 v15, v11, 16, 1
	v_or_b32_e32 v18, 0x400000, v11
	v_bfe_u32 v21, v14, 16, 1
	v_cmp_u_f32_e64 s4, v11, v11
	v_or_b32_e32 v22, 0x400000, v14
	v_add3_u32 v15, v15, v11, 0x7fff
	v_bfe_u32 v23, v13, 16, 1
	v_add3_u32 v21, v21, v14, 0x7fff
	v_or_b32_e32 v26, 0x400000, v13
	v_bfe_u32 v27, v10, 16, 1
	v_cndmask_b32_e64 v11, v15, v18, s4
	v_cmp_u_f32_e64 s4, v14, v14
	v_add3_u32 v23, v23, v13, 0x7fff
	v_or_b32_e32 v15, 0x400000, v10
	v_mul_f32_e32 v0, v46, v0
	v_lshrrev_b32_e32 v41, 16, v11
	v_cndmask_b32_e64 v14, v21, v22, s4
	v_cmp_u_f32_e64 s4, v13, v13
	v_add3_u32 v11, v27, v10, 0x7fff
	v_lshrrev_b32_e32 v119, 16, v14
	v_cndmask_b32_e64 v13, v23, v26, s4
	v_cmp_u_f32_e64 s4, v10, v10
	v_or_b32_e32 v14, 0x400000, v1
	v_lshrrev_b32_e32 v42, 16, v13
	v_bfe_u32 v13, v1, 16, 1
	v_cndmask_b32_e64 v10, v11, v15, s4
	v_mul_f32_e32 v11, v46, v17
	v_mul_f32_e32 v15, v46, v16
	v_bfe_u32 v16, v0, 16, 1
	v_add3_u32 v13, v13, v1, 0x7fff
	v_cmp_u_f32_e64 s4, v1, v1
	v_bfe_u32 v17, v11, 16, 1
	v_or_b32_e32 v18, 0x400000, v11
	v_or_b32_e32 v21, 0x400000, v15
	v_lshrrev_b32_e32 v43, 16, v10
	v_cndmask_b32_e64 v1, v13, v14, s4
	v_add3_u32 v14, v16, v0, 0x7fff
	v_or_b32_e32 v16, 0x400000, v0
	v_cmp_u_f32_e64 s4, v0, v0
	v_bfe_u32 v13, v15, 16, 1
	v_add3_u32 v17, v17, v11, 0x7fff
	v_lshrrev_b32_e32 v45, 16, v1
	v_cndmask_b32_e64 v0, v14, v16, s4
	v_cmp_u_f32_e64 s4, v11, v11
	v_add3_u32 v13, v13, v15, 0x7fff
	v_lshrrev_b32_e32 v44, 16, v0
	v_cndmask_b32_e64 v11, v17, v18, s4
	v_cmp_u_f32_e64 s4, v15, v15
	v_lshrrev_b32_e32 v118, 16, v11
	v_cndmask_b32_e64 v13, v13, v21, s4
	v_lshrrev_b32_e32 v40, 16, v13
	s_and_saveexec_b32 s20, vcc_lo
	s_cbranch_execz .LBB329_1008
; %bb.1007:                             ;   in Loop: Header=BB329_809 Depth=1
	v_cmp_lt_i32_e64 s4, v47, v82
	v_cndmask_b32_e64 v44, 0, v44, s4
	v_cmp_lt_i32_e64 s4, v62, v82
	v_cndmask_b32_e64 v45, 0, v45, s4
	;; [unrolled: 2-line block ×8, first 2 shown]
.LBB329_1008:                           ;   in Loop: Header=BB329_809 Depth=1
	s_or_b32 exec_lo, exec_lo, s20
	flat_load_dwordx2 v[26:27], v[24:25] offset:768
	v_mov_b32_e32 v1, 0
	v_mov_b32_e32 v0, 0
	s_waitcnt vmcnt(0) lgkmcnt(0)
	v_cmp_ne_u16_sdwa s4, v26, v12 src0_sel:BYTE_0 src1_sel:DWORD
	s_and_saveexec_b32 s20, s4
	s_cbranch_execz .LBB329_1016
; %bb.1009:                             ;   in Loop: Header=BB329_809 Depth=1
	v_cmp_ne_u16_sdwa s4, v26, v55 src0_sel:BYTE_0 src1_sel:DWORD
	v_bfrev_b32_e32 v0, 1
	s_and_saveexec_b32 s21, s4
	s_cbranch_execz .LBB329_1015
; %bb.1010:                             ;   in Loop: Header=BB329_809 Depth=1
	v_and_b32_e32 v10, 0x7f, v26
	v_mov_b32_e32 v0, 0x7f800001
	s_mov_b32 s22, exec_lo
	v_cmpx_ne_u32_e32 0x7f, v10
	s_cbranch_execz .LBB329_1014
; %bb.1011:                             ;   in Loop: Header=BB329_809 Depth=1
	v_lshrrev_b32_e32 v0, 3, v10
	v_cmp_gt_u32_e64 s4, 8, v10
	v_mov_b32_e32 v10, v26
	v_mov_b32_e32 v11, v27
	s_and_saveexec_b32 s23, s4
; %bb.1012:                             ;   in Loop: Header=BB329_809 Depth=1
	v_and_b32_e32 v0, 7, v26
	v_ffbh_u32_e32 v0, v0
	v_min_u32_e32 v0, 32, v0
	v_subrev_nc_u32_e32 v10, 28, v0
	v_sub_nc_u32_e32 v0, 29, v0
	v_lshlrev_b64 v[10:11], v10, v[26:27]
; %bb.1013:                             ;   in Loop: Header=BB329_809 Depth=1
	s_or_b32 exec_lo, exec_lo, s23
	v_lshlrev_b32_e32 v10, 20, v10
	v_lshlrev_b32_e32 v11, 24, v26
	v_lshl_add_u32 v0, v0, 23, 0x3c000000
	v_and_b32_e32 v10, 0x700000, v10
	v_and_b32_e32 v11, 0x80000000, v11
	v_or3_b32 v0, v10, v11, v0
.LBB329_1014:                           ;   in Loop: Header=BB329_809 Depth=1
	s_or_b32 exec_lo, exec_lo, s22
.LBB329_1015:                           ;   in Loop: Header=BB329_809 Depth=1
	s_or_b32 exec_lo, exec_lo, s21
.LBB329_1016:                           ;   in Loop: Header=BB329_809 Depth=1
	s_or_b32 exec_lo, exec_lo, s20
	v_cmp_ne_u16_sdwa s4, v26, v12 src0_sel:BYTE_1 src1_sel:DWORD
	s_and_saveexec_b32 s20, s4
	s_cbranch_execz .LBB329_1024
; %bb.1017:                             ;   in Loop: Header=BB329_809 Depth=1
	v_cmp_ne_u16_sdwa s4, v26, v55 src0_sel:BYTE_1 src1_sel:DWORD
	v_bfrev_b32_e32 v1, 1
	s_and_saveexec_b32 s21, s4
	s_cbranch_execz .LBB329_1023
; %bb.1018:                             ;   in Loop: Header=BB329_809 Depth=1
	v_mov_b32_e32 v1, 0xffff
	s_mov_b32 s22, exec_lo
	v_and_b32_sdwa v11, v1, v26 dst_sel:DWORD dst_unused:UNUSED_PAD src0_sel:DWORD src1_sel:BYTE_1
	v_mov_b32_e32 v1, 0x7f800001
	v_and_b32_e32 v10, 0x7f, v11
	v_cmpx_ne_u32_e32 0x7f, v10
	s_cbranch_execz .LBB329_1022
; %bb.1019:                             ;   in Loop: Header=BB329_809 Depth=1
	v_and_b32_e32 v11, 7, v11
	v_lshrrev_b32_e32 v1, 3, v10
	s_mov_b32 s23, exec_lo
	v_cmpx_gt_u32_e32 8, v10
; %bb.1020:                             ;   in Loop: Header=BB329_809 Depth=1
	v_ffbh_u32_e32 v1, v11
	v_min_u32_e32 v1, 32, v1
	v_subrev_nc_u32_e32 v10, 28, v1
	v_sub_nc_u32_e32 v1, 29, v1
	v_lshlrev_b64 v[10:11], v10, v[11:12]
	v_and_b32_e32 v11, 7, v10
; %bb.1021:                             ;   in Loop: Header=BB329_809 Depth=1
	s_or_b32 exec_lo, exec_lo, s23
	v_lshlrev_b32_e32 v10, 16, v26
	v_lshlrev_b32_e32 v11, 20, v11
	v_lshl_add_u32 v1, v1, 23, 0x3c000000
	v_and_b32_e32 v10, 0x80000000, v10
	v_or3_b32 v1, v11, v10, v1
.LBB329_1022:                           ;   in Loop: Header=BB329_809 Depth=1
	s_or_b32 exec_lo, exec_lo, s22
.LBB329_1023:                           ;   in Loop: Header=BB329_809 Depth=1
	s_or_b32 exec_lo, exec_lo, s21
.LBB329_1024:                           ;   in Loop: Header=BB329_809 Depth=1
	s_or_b32 exec_lo, exec_lo, s20
	v_and_b32_sdwa v11, v26, v65 dst_sel:DWORD dst_unused:UNUSED_PAD src0_sel:WORD_1 src1_sel:DWORD
	v_mov_b32_e32 v13, 0
	v_mov_b32_e32 v10, 0
	s_mov_b32 s20, exec_lo
	v_cmpx_ne_u16_e32 0, v11
	s_cbranch_execz .LBB329_1032
; %bb.1025:                             ;   in Loop: Header=BB329_809 Depth=1
	v_bfrev_b32_e32 v10, 1
	s_mov_b32 s21, exec_lo
	v_cmpx_ne_u16_e32 0x80, v11
	s_cbranch_execz .LBB329_1031
; %bb.1026:                             ;   in Loop: Header=BB329_809 Depth=1
	v_bfe_u32 v14, v26, 16, 7
	v_mov_b32_e32 v10, 0x7f800001
	s_mov_b32 s22, exec_lo
	v_cmpx_ne_u32_e32 0x7f, v14
	s_cbranch_execz .LBB329_1030
; %bb.1027:                             ;   in Loop: Header=BB329_809 Depth=1
	v_mov_b32_e32 v10, 7
	s_mov_b32 s23, exec_lo
	v_and_b32_sdwa v11, v26, v10 dst_sel:DWORD dst_unused:UNUSED_PAD src0_sel:WORD_1 src1_sel:DWORD
	v_lshrrev_b32_e32 v10, 3, v14
	v_cmpx_gt_u32_e32 8, v14
; %bb.1028:                             ;   in Loop: Header=BB329_809 Depth=1
	v_ffbh_u32_e32 v10, v11
	v_min_u32_e32 v10, 32, v10
	v_subrev_nc_u32_e32 v14, 28, v10
	v_sub_nc_u32_e32 v10, 29, v10
	v_lshlrev_b64 v[14:15], v14, v[11:12]
	v_and_b32_e32 v11, 7, v14
; %bb.1029:                             ;   in Loop: Header=BB329_809 Depth=1
	s_or_b32 exec_lo, exec_lo, s23
	v_mov_b32_e32 v14, 24
	v_lshlrev_b32_e32 v11, 20, v11
	v_lshl_add_u32 v10, v10, 23, 0x3c000000
	v_lshlrev_b32_sdwa v14, v14, v26 dst_sel:DWORD dst_unused:UNUSED_PAD src0_sel:DWORD src1_sel:WORD_1
	v_and_b32_e32 v14, 0x80000000, v14
	v_or3_b32 v10, v11, v14, v10
.LBB329_1030:                           ;   in Loop: Header=BB329_809 Depth=1
	s_or_b32 exec_lo, exec_lo, s22
.LBB329_1031:                           ;   in Loop: Header=BB329_809 Depth=1
	s_or_b32 exec_lo, exec_lo, s21
.LBB329_1032:                           ;   in Loop: Header=BB329_809 Depth=1
	s_or_b32 exec_lo, exec_lo, s20
	s_mov_b32 s20, exec_lo
	v_cmpx_lt_u32_e32 0xffffff, v26
	s_cbranch_execz .LBB329_1040
; %bb.1033:                             ;   in Loop: Header=BB329_809 Depth=1
	v_cmp_ne_u32_sdwa s4, v26, v55 src0_sel:BYTE_3 src1_sel:DWORD
	v_bfrev_b32_e32 v13, 1
	s_and_saveexec_b32 s21, s4
	s_cbranch_execz .LBB329_1039
; %bb.1034:                             ;   in Loop: Header=BB329_809 Depth=1
	v_bfe_u32 v14, v26, 24, 7
	v_mov_b32_e32 v13, 0x7f800001
	s_mov_b32 s22, exec_lo
	v_cmpx_ne_u32_e32 0x7f, v14
	s_cbranch_execz .LBB329_1038
; %bb.1035:                             ;   in Loop: Header=BB329_809 Depth=1
	v_mov_b32_e32 v11, 7
	v_lshrrev_b32_e32 v13, 3, v14
	s_mov_b32 s23, exec_lo
	v_and_b32_sdwa v11, v26, v11 dst_sel:DWORD dst_unused:UNUSED_PAD src0_sel:BYTE_3 src1_sel:DWORD
	v_cmpx_gt_u32_e32 8, v14
; %bb.1036:                             ;   in Loop: Header=BB329_809 Depth=1
	v_ffbh_u32_e32 v13, v11
	v_min_u32_e32 v13, 32, v13
	v_subrev_nc_u32_e32 v14, 28, v13
	v_sub_nc_u32_e32 v13, 29, v13
	v_lshlrev_b64 v[14:15], v14, v[11:12]
	v_and_b32_e32 v11, 7, v14
; %bb.1037:                             ;   in Loop: Header=BB329_809 Depth=1
	s_or_b32 exec_lo, exec_lo, s23
	v_mov_b32_e32 v14, 24
	v_lshlrev_b32_e32 v11, 20, v11
	v_lshl_add_u32 v13, v13, 23, 0x3c000000
	v_lshlrev_b32_sdwa v14, v14, v26 dst_sel:DWORD dst_unused:UNUSED_PAD src0_sel:DWORD src1_sel:BYTE_3
	v_and_b32_e32 v14, 0x80000000, v14
	v_or3_b32 v13, v11, v14, v13
.LBB329_1038:                           ;   in Loop: Header=BB329_809 Depth=1
	s_or_b32 exec_lo, exec_lo, s22
.LBB329_1039:                           ;   in Loop: Header=BB329_809 Depth=1
	s_or_b32 exec_lo, exec_lo, s21
.LBB329_1040:                           ;   in Loop: Header=BB329_809 Depth=1
	s_or_b32 exec_lo, exec_lo, s20
	v_mov_b32_e32 v11, v27
	v_cmp_ne_u16_sdwa s4, v27, v12 src0_sel:BYTE_0 src1_sel:DWORD
	v_mov_b32_e32 v15, 0
	v_mov_b32_e32 v14, 0
	s_and_saveexec_b32 s20, s4
	s_cbranch_execz .LBB329_1048
; %bb.1041:                             ;   in Loop: Header=BB329_809 Depth=1
	v_cmp_ne_u16_sdwa s4, v27, v55 src0_sel:BYTE_0 src1_sel:DWORD
	v_bfrev_b32_e32 v14, 1
	s_and_saveexec_b32 s21, s4
	s_cbranch_execz .LBB329_1047
; %bb.1042:                             ;   in Loop: Header=BB329_809 Depth=1
	v_and_b32_e32 v16, 0x7f, v27
	v_mov_b32_e32 v14, 0x7f800001
	s_mov_b32 s22, exec_lo
	v_cmpx_ne_u32_e32 0x7f, v16
	s_cbranch_execz .LBB329_1046
; %bb.1043:                             ;   in Loop: Header=BB329_809 Depth=1
	v_mov_b32_e32 v29, v12
	v_lshrrev_b32_e32 v14, 3, v16
	v_mov_b32_e32 v28, v11
	s_mov_b32 s23, exec_lo
	v_cmpx_gt_u32_e32 8, v16
; %bb.1044:                             ;   in Loop: Header=BB329_809 Depth=1
	v_and_b32_e32 v14, 7, v27
	v_ffbh_u32_e32 v14, v14
	v_min_u32_e32 v14, 32, v14
	v_subrev_nc_u32_e32 v16, 28, v14
	v_sub_nc_u32_e32 v14, 29, v14
	v_lshlrev_b64 v[28:29], v16, v[11:12]
; %bb.1045:                             ;   in Loop: Header=BB329_809 Depth=1
	s_or_b32 exec_lo, exec_lo, s23
	v_lshlrev_b32_e32 v16, 20, v28
	v_lshlrev_b32_e32 v17, 24, v11
	v_lshl_add_u32 v14, v14, 23, 0x3c000000
	v_and_b32_e32 v16, 0x700000, v16
	v_and_b32_e32 v17, 0x80000000, v17
	v_or3_b32 v14, v16, v17, v14
.LBB329_1046:                           ;   in Loop: Header=BB329_809 Depth=1
	s_or_b32 exec_lo, exec_lo, s22
.LBB329_1047:                           ;   in Loop: Header=BB329_809 Depth=1
	s_or_b32 exec_lo, exec_lo, s21
.LBB329_1048:                           ;   in Loop: Header=BB329_809 Depth=1
	s_or_b32 exec_lo, exec_lo, s20
	v_cmp_ne_u16_sdwa s4, v11, v12 src0_sel:BYTE_1 src1_sel:DWORD
	s_and_saveexec_b32 s20, s4
	s_cbranch_execz .LBB329_1056
; %bb.1049:                             ;   in Loop: Header=BB329_809 Depth=1
	v_cmp_ne_u16_sdwa s4, v11, v55 src0_sel:BYTE_1 src1_sel:DWORD
	v_bfrev_b32_e32 v15, 1
	s_and_saveexec_b32 s21, s4
	s_cbranch_execz .LBB329_1055
; %bb.1050:                             ;   in Loop: Header=BB329_809 Depth=1
	v_mov_b32_e32 v15, 0xffff
	s_mov_b32 s22, exec_lo
	v_and_b32_sdwa v17, v15, v11 dst_sel:DWORD dst_unused:UNUSED_PAD src0_sel:DWORD src1_sel:BYTE_1
	v_mov_b32_e32 v15, 0x7f800001
	v_and_b32_e32 v16, 0x7f, v17
	v_cmpx_ne_u32_e32 0x7f, v16
	s_cbranch_execz .LBB329_1054
; %bb.1051:                             ;   in Loop: Header=BB329_809 Depth=1
	v_and_b32_e32 v28, 7, v17
	v_mov_b32_e32 v29, v12
	v_lshrrev_b32_e32 v15, 3, v16
	s_mov_b32 s23, exec_lo
	v_cmpx_gt_u32_e32 8, v16
; %bb.1052:                             ;   in Loop: Header=BB329_809 Depth=1
	v_ffbh_u32_e32 v15, v28
	v_min_u32_e32 v15, 32, v15
	v_subrev_nc_u32_e32 v16, 28, v15
	v_sub_nc_u32_e32 v15, 29, v15
	v_lshlrev_b64 v[16:17], v16, v[28:29]
	v_and_b32_e32 v28, 7, v16
; %bb.1053:                             ;   in Loop: Header=BB329_809 Depth=1
	s_or_b32 exec_lo, exec_lo, s23
	v_lshlrev_b32_e32 v11, 16, v11
	v_lshlrev_b32_e32 v16, 20, v28
	v_lshl_add_u32 v15, v15, 23, 0x3c000000
	v_and_b32_e32 v11, 0x80000000, v11
	v_or3_b32 v15, v16, v11, v15
.LBB329_1054:                           ;   in Loop: Header=BB329_809 Depth=1
	s_or_b32 exec_lo, exec_lo, s22
.LBB329_1055:                           ;   in Loop: Header=BB329_809 Depth=1
	s_or_b32 exec_lo, exec_lo, s21
.LBB329_1056:                           ;   in Loop: Header=BB329_809 Depth=1
	s_or_b32 exec_lo, exec_lo, s20
	v_and_b32_sdwa v11, v27, v65 dst_sel:DWORD dst_unused:UNUSED_PAD src0_sel:WORD_1 src1_sel:DWORD
	v_mov_b32_e32 v16, 0
	v_mov_b32_e32 v17, 0
	s_mov_b32 s20, exec_lo
	v_cmpx_ne_u16_e32 0, v11
	s_cbranch_execz .LBB329_1064
; %bb.1057:                             ;   in Loop: Header=BB329_809 Depth=1
	v_bfrev_b32_e32 v17, 1
	s_mov_b32 s21, exec_lo
	v_cmpx_ne_u16_e32 0x80, v11
	s_cbranch_execz .LBB329_1063
; %bb.1058:                             ;   in Loop: Header=BB329_809 Depth=1
	v_bfe_u32 v18, v27, 16, 7
	v_mov_b32_e32 v17, 0x7f800001
	s_mov_b32 s22, exec_lo
	v_cmpx_ne_u32_e32 0x7f, v18
	s_cbranch_execz .LBB329_1062
; %bb.1059:                             ;   in Loop: Header=BB329_809 Depth=1
	v_mov_b32_e32 v11, 7
	v_lshrrev_b32_e32 v17, 3, v18
	s_mov_b32 s23, exec_lo
	v_and_b32_sdwa v11, v27, v11 dst_sel:DWORD dst_unused:UNUSED_PAD src0_sel:WORD_1 src1_sel:DWORD
	v_cmpx_gt_u32_e32 8, v18
; %bb.1060:                             ;   in Loop: Header=BB329_809 Depth=1
	v_ffbh_u32_e32 v17, v11
	v_min_u32_e32 v17, 32, v17
	v_subrev_nc_u32_e32 v18, 28, v17
	v_sub_nc_u32_e32 v17, 29, v17
	v_lshlrev_b64 v[21:22], v18, v[11:12]
	v_and_b32_e32 v11, 7, v21
; %bb.1061:                             ;   in Loop: Header=BB329_809 Depth=1
	s_or_b32 exec_lo, exec_lo, s23
	v_mov_b32_e32 v18, 24
	v_lshlrev_b32_e32 v11, 20, v11
	v_lshl_add_u32 v17, v17, 23, 0x3c000000
	v_lshlrev_b32_sdwa v18, v18, v27 dst_sel:DWORD dst_unused:UNUSED_PAD src0_sel:DWORD src1_sel:WORD_1
	v_and_b32_e32 v18, 0x80000000, v18
	v_or3_b32 v17, v11, v18, v17
.LBB329_1062:                           ;   in Loop: Header=BB329_809 Depth=1
	s_or_b32 exec_lo, exec_lo, s22
.LBB329_1063:                           ;   in Loop: Header=BB329_809 Depth=1
	s_or_b32 exec_lo, exec_lo, s21
.LBB329_1064:                           ;   in Loop: Header=BB329_809 Depth=1
	s_or_b32 exec_lo, exec_lo, s20
	s_mov_b32 s20, exec_lo
	v_cmpx_lt_u64_e64 s[6:7], v[26:27]
	s_cbranch_execz .LBB329_1072
; %bb.1065:                             ;   in Loop: Header=BB329_809 Depth=1
	v_cmp_ne_u32_sdwa s4, v27, v55 src0_sel:BYTE_3 src1_sel:DWORD
	v_bfrev_b32_e32 v16, 1
	s_and_saveexec_b32 s21, s4
	s_cbranch_execz .LBB329_1071
; %bb.1066:                             ;   in Loop: Header=BB329_809 Depth=1
	v_bfe_u32 v18, v27, 24, 7
	v_mov_b32_e32 v16, 0x7f800001
	s_mov_b32 s22, exec_lo
	v_cmpx_ne_u32_e32 0x7f, v18
	s_cbranch_execz .LBB329_1070
; %bb.1067:                             ;   in Loop: Header=BB329_809 Depth=1
	v_mov_b32_e32 v11, 7
	v_lshrrev_b32_e32 v16, 3, v18
	s_mov_b32 s23, exec_lo
	v_and_b32_sdwa v11, v27, v11 dst_sel:DWORD dst_unused:UNUSED_PAD src0_sel:BYTE_3 src1_sel:DWORD
	v_cmpx_gt_u32_e32 8, v18
; %bb.1068:                             ;   in Loop: Header=BB329_809 Depth=1
	v_ffbh_u32_e32 v16, v11
	v_min_u32_e32 v16, 32, v16
	v_subrev_nc_u32_e32 v18, 28, v16
	v_sub_nc_u32_e32 v16, 29, v16
	v_lshlrev_b64 v[21:22], v18, v[11:12]
	v_and_b32_e32 v11, 7, v21
; %bb.1069:                             ;   in Loop: Header=BB329_809 Depth=1
	s_or_b32 exec_lo, exec_lo, s23
	v_mov_b32_e32 v18, 24
	v_lshlrev_b32_e32 v11, 20, v11
	v_lshl_add_u32 v16, v16, 23, 0x3c000000
	v_lshlrev_b32_sdwa v18, v18, v27 dst_sel:DWORD dst_unused:UNUSED_PAD src0_sel:DWORD src1_sel:BYTE_3
	v_and_b32_e32 v18, 0x80000000, v18
	v_or3_b32 v16, v11, v18, v16
.LBB329_1070:                           ;   in Loop: Header=BB329_809 Depth=1
	s_or_b32 exec_lo, exec_lo, s22
.LBB329_1071:                           ;   in Loop: Header=BB329_809 Depth=1
	s_or_b32 exec_lo, exec_lo, s21
.LBB329_1072:                           ;   in Loop: Header=BB329_809 Depth=1
	s_or_b32 exec_lo, exec_lo, s20
	v_mul_f32_e32 v11, v46, v15
	v_mul_f32_e32 v14, v46, v14
	;; [unrolled: 1-line block ×5, first 2 shown]
	v_bfe_u32 v15, v11, 16, 1
	v_or_b32_e32 v18, 0x400000, v11
	v_bfe_u32 v21, v14, 16, 1
	v_cmp_u_f32_e64 s4, v11, v11
	v_or_b32_e32 v22, 0x400000, v14
	v_add3_u32 v15, v15, v11, 0x7fff
	v_bfe_u32 v23, v13, 16, 1
	v_add3_u32 v21, v21, v14, 0x7fff
	v_or_b32_e32 v26, 0x400000, v13
	v_bfe_u32 v27, v10, 16, 1
	v_cndmask_b32_e64 v11, v15, v18, s4
	v_cmp_u_f32_e64 s4, v14, v14
	v_add3_u32 v23, v23, v13, 0x7fff
	v_or_b32_e32 v15, 0x400000, v10
	v_mul_f32_e32 v0, v46, v0
	v_lshrrev_b32_e32 v72, 16, v11
	v_cndmask_b32_e64 v14, v21, v22, s4
	v_cmp_u_f32_e64 s4, v13, v13
	v_add3_u32 v11, v27, v10, 0x7fff
	v_lshrrev_b32_e32 v63, 16, v14
	v_cndmask_b32_e64 v13, v23, v26, s4
	v_cmp_u_f32_e64 s4, v10, v10
	v_or_b32_e32 v14, 0x400000, v1
	v_lshrrev_b32_e32 v75, 16, v13
	v_bfe_u32 v13, v1, 16, 1
	v_cndmask_b32_e64 v10, v11, v15, s4
	v_mul_f32_e32 v11, v46, v17
	v_mul_f32_e32 v15, v46, v16
	v_bfe_u32 v16, v0, 16, 1
	v_add3_u32 v13, v13, v1, 0x7fff
	v_cmp_u_f32_e64 s4, v1, v1
	v_bfe_u32 v17, v11, 16, 1
	v_or_b32_e32 v18, 0x400000, v11
	v_or_b32_e32 v21, 0x400000, v15
	v_lshrrev_b32_e32 v76, 16, v10
	v_cndmask_b32_e64 v1, v13, v14, s4
	v_add3_u32 v14, v16, v0, 0x7fff
	v_or_b32_e32 v16, 0x400000, v0
	v_cmp_u_f32_e64 s4, v0, v0
	v_bfe_u32 v13, v15, 16, 1
	v_add3_u32 v17, v17, v11, 0x7fff
	v_lshrrev_b32_e32 v78, 16, v1
	v_cndmask_b32_e64 v0, v14, v16, s4
	v_cmp_u_f32_e64 s4, v11, v11
	v_add3_u32 v13, v13, v15, 0x7fff
	v_lshrrev_b32_e32 v77, 16, v0
	v_cndmask_b32_e64 v11, v17, v18, s4
	v_cmp_u_f32_e64 s4, v15, v15
	v_lshrrev_b32_e32 v73, 16, v11
	v_cndmask_b32_e64 v13, v13, v21, s4
	v_lshrrev_b32_e32 v74, 16, v13
	s_and_saveexec_b32 s20, vcc_lo
	s_cbranch_execz .LBB329_1074
; %bb.1073:                             ;   in Loop: Header=BB329_809 Depth=1
	v_cmp_lt_i32_e64 s4, v47, v82
	v_cndmask_b32_e64 v77, 0, v77, s4
	v_cmp_lt_i32_e64 s4, v62, v82
	v_cndmask_b32_e64 v78, 0, v78, s4
	;; [unrolled: 2-line block ×8, first 2 shown]
.LBB329_1074:                           ;   in Loop: Header=BB329_809 Depth=1
	s_or_b32 exec_lo, exec_lo, s20
	flat_load_dwordx2 v[26:27], v[24:25] offset:1024
	v_mov_b32_e32 v1, 0
	v_mov_b32_e32 v0, 0
	s_waitcnt vmcnt(0) lgkmcnt(0)
	v_cmp_ne_u16_sdwa s4, v26, v12 src0_sel:BYTE_0 src1_sel:DWORD
	s_and_saveexec_b32 s20, s4
	s_cbranch_execz .LBB329_1082
; %bb.1075:                             ;   in Loop: Header=BB329_809 Depth=1
	v_cmp_ne_u16_sdwa s4, v26, v55 src0_sel:BYTE_0 src1_sel:DWORD
	v_bfrev_b32_e32 v0, 1
	s_and_saveexec_b32 s21, s4
	s_cbranch_execz .LBB329_1081
; %bb.1076:                             ;   in Loop: Header=BB329_809 Depth=1
	v_and_b32_e32 v10, 0x7f, v26
	v_mov_b32_e32 v0, 0x7f800001
	s_mov_b32 s22, exec_lo
	v_cmpx_ne_u32_e32 0x7f, v10
	s_cbranch_execz .LBB329_1080
; %bb.1077:                             ;   in Loop: Header=BB329_809 Depth=1
	v_lshrrev_b32_e32 v0, 3, v10
	v_cmp_gt_u32_e64 s4, 8, v10
	v_mov_b32_e32 v10, v26
	v_mov_b32_e32 v11, v27
	s_and_saveexec_b32 s23, s4
; %bb.1078:                             ;   in Loop: Header=BB329_809 Depth=1
	v_and_b32_e32 v0, 7, v26
	v_ffbh_u32_e32 v0, v0
	v_min_u32_e32 v0, 32, v0
	v_subrev_nc_u32_e32 v10, 28, v0
	v_sub_nc_u32_e32 v0, 29, v0
	v_lshlrev_b64 v[10:11], v10, v[26:27]
; %bb.1079:                             ;   in Loop: Header=BB329_809 Depth=1
	s_or_b32 exec_lo, exec_lo, s23
	v_lshlrev_b32_e32 v10, 20, v10
	v_lshlrev_b32_e32 v11, 24, v26
	v_lshl_add_u32 v0, v0, 23, 0x3c000000
	v_and_b32_e32 v10, 0x700000, v10
	v_and_b32_e32 v11, 0x80000000, v11
	v_or3_b32 v0, v10, v11, v0
.LBB329_1080:                           ;   in Loop: Header=BB329_809 Depth=1
	s_or_b32 exec_lo, exec_lo, s22
.LBB329_1081:                           ;   in Loop: Header=BB329_809 Depth=1
	s_or_b32 exec_lo, exec_lo, s21
.LBB329_1082:                           ;   in Loop: Header=BB329_809 Depth=1
	s_or_b32 exec_lo, exec_lo, s20
	v_cmp_ne_u16_sdwa s4, v26, v12 src0_sel:BYTE_1 src1_sel:DWORD
	s_and_saveexec_b32 s20, s4
	s_cbranch_execz .LBB329_1090
; %bb.1083:                             ;   in Loop: Header=BB329_809 Depth=1
	v_cmp_ne_u16_sdwa s4, v26, v55 src0_sel:BYTE_1 src1_sel:DWORD
	v_bfrev_b32_e32 v1, 1
	s_and_saveexec_b32 s21, s4
	s_cbranch_execz .LBB329_1089
; %bb.1084:                             ;   in Loop: Header=BB329_809 Depth=1
	v_mov_b32_e32 v1, 0xffff
	s_mov_b32 s22, exec_lo
	v_and_b32_sdwa v11, v1, v26 dst_sel:DWORD dst_unused:UNUSED_PAD src0_sel:DWORD src1_sel:BYTE_1
	v_mov_b32_e32 v1, 0x7f800001
	v_and_b32_e32 v10, 0x7f, v11
	v_cmpx_ne_u32_e32 0x7f, v10
	s_cbranch_execz .LBB329_1088
; %bb.1085:                             ;   in Loop: Header=BB329_809 Depth=1
	v_and_b32_e32 v11, 7, v11
	v_lshrrev_b32_e32 v1, 3, v10
	s_mov_b32 s23, exec_lo
	v_cmpx_gt_u32_e32 8, v10
; %bb.1086:                             ;   in Loop: Header=BB329_809 Depth=1
	v_ffbh_u32_e32 v1, v11
	v_min_u32_e32 v1, 32, v1
	v_subrev_nc_u32_e32 v10, 28, v1
	v_sub_nc_u32_e32 v1, 29, v1
	v_lshlrev_b64 v[10:11], v10, v[11:12]
	v_and_b32_e32 v11, 7, v10
; %bb.1087:                             ;   in Loop: Header=BB329_809 Depth=1
	s_or_b32 exec_lo, exec_lo, s23
	v_lshlrev_b32_e32 v10, 16, v26
	v_lshlrev_b32_e32 v11, 20, v11
	v_lshl_add_u32 v1, v1, 23, 0x3c000000
	v_and_b32_e32 v10, 0x80000000, v10
	v_or3_b32 v1, v11, v10, v1
.LBB329_1088:                           ;   in Loop: Header=BB329_809 Depth=1
	s_or_b32 exec_lo, exec_lo, s22
.LBB329_1089:                           ;   in Loop: Header=BB329_809 Depth=1
	s_or_b32 exec_lo, exec_lo, s21
.LBB329_1090:                           ;   in Loop: Header=BB329_809 Depth=1
	s_or_b32 exec_lo, exec_lo, s20
	v_and_b32_sdwa v11, v26, v65 dst_sel:DWORD dst_unused:UNUSED_PAD src0_sel:WORD_1 src1_sel:DWORD
	v_mov_b32_e32 v13, 0
	v_mov_b32_e32 v10, 0
	s_mov_b32 s20, exec_lo
	v_cmpx_ne_u16_e32 0, v11
	s_cbranch_execz .LBB329_1098
; %bb.1091:                             ;   in Loop: Header=BB329_809 Depth=1
	v_bfrev_b32_e32 v10, 1
	s_mov_b32 s21, exec_lo
	v_cmpx_ne_u16_e32 0x80, v11
	s_cbranch_execz .LBB329_1097
; %bb.1092:                             ;   in Loop: Header=BB329_809 Depth=1
	v_bfe_u32 v14, v26, 16, 7
	v_mov_b32_e32 v10, 0x7f800001
	s_mov_b32 s22, exec_lo
	v_cmpx_ne_u32_e32 0x7f, v14
	s_cbranch_execz .LBB329_1096
; %bb.1093:                             ;   in Loop: Header=BB329_809 Depth=1
	v_mov_b32_e32 v10, 7
	s_mov_b32 s23, exec_lo
	v_and_b32_sdwa v11, v26, v10 dst_sel:DWORD dst_unused:UNUSED_PAD src0_sel:WORD_1 src1_sel:DWORD
	v_lshrrev_b32_e32 v10, 3, v14
	v_cmpx_gt_u32_e32 8, v14
; %bb.1094:                             ;   in Loop: Header=BB329_809 Depth=1
	v_ffbh_u32_e32 v10, v11
	v_min_u32_e32 v10, 32, v10
	v_subrev_nc_u32_e32 v14, 28, v10
	v_sub_nc_u32_e32 v10, 29, v10
	v_lshlrev_b64 v[14:15], v14, v[11:12]
	v_and_b32_e32 v11, 7, v14
; %bb.1095:                             ;   in Loop: Header=BB329_809 Depth=1
	s_or_b32 exec_lo, exec_lo, s23
	v_mov_b32_e32 v14, 24
	v_lshlrev_b32_e32 v11, 20, v11
	v_lshl_add_u32 v10, v10, 23, 0x3c000000
	v_lshlrev_b32_sdwa v14, v14, v26 dst_sel:DWORD dst_unused:UNUSED_PAD src0_sel:DWORD src1_sel:WORD_1
	v_and_b32_e32 v14, 0x80000000, v14
	v_or3_b32 v10, v11, v14, v10
.LBB329_1096:                           ;   in Loop: Header=BB329_809 Depth=1
	s_or_b32 exec_lo, exec_lo, s22
.LBB329_1097:                           ;   in Loop: Header=BB329_809 Depth=1
	s_or_b32 exec_lo, exec_lo, s21
.LBB329_1098:                           ;   in Loop: Header=BB329_809 Depth=1
	s_or_b32 exec_lo, exec_lo, s20
	s_mov_b32 s20, exec_lo
	v_cmpx_lt_u32_e32 0xffffff, v26
	s_cbranch_execz .LBB329_1106
; %bb.1099:                             ;   in Loop: Header=BB329_809 Depth=1
	v_cmp_ne_u32_sdwa s4, v26, v55 src0_sel:BYTE_3 src1_sel:DWORD
	v_bfrev_b32_e32 v13, 1
	s_and_saveexec_b32 s21, s4
	s_cbranch_execz .LBB329_1105
; %bb.1100:                             ;   in Loop: Header=BB329_809 Depth=1
	v_bfe_u32 v14, v26, 24, 7
	v_mov_b32_e32 v13, 0x7f800001
	s_mov_b32 s22, exec_lo
	v_cmpx_ne_u32_e32 0x7f, v14
	s_cbranch_execz .LBB329_1104
; %bb.1101:                             ;   in Loop: Header=BB329_809 Depth=1
	v_mov_b32_e32 v11, 7
	v_lshrrev_b32_e32 v13, 3, v14
	s_mov_b32 s23, exec_lo
	v_and_b32_sdwa v11, v26, v11 dst_sel:DWORD dst_unused:UNUSED_PAD src0_sel:BYTE_3 src1_sel:DWORD
	v_cmpx_gt_u32_e32 8, v14
; %bb.1102:                             ;   in Loop: Header=BB329_809 Depth=1
	v_ffbh_u32_e32 v13, v11
	v_min_u32_e32 v13, 32, v13
	v_subrev_nc_u32_e32 v14, 28, v13
	v_sub_nc_u32_e32 v13, 29, v13
	v_lshlrev_b64 v[14:15], v14, v[11:12]
	v_and_b32_e32 v11, 7, v14
; %bb.1103:                             ;   in Loop: Header=BB329_809 Depth=1
	s_or_b32 exec_lo, exec_lo, s23
	v_mov_b32_e32 v14, 24
	v_lshlrev_b32_e32 v11, 20, v11
	v_lshl_add_u32 v13, v13, 23, 0x3c000000
	v_lshlrev_b32_sdwa v14, v14, v26 dst_sel:DWORD dst_unused:UNUSED_PAD src0_sel:DWORD src1_sel:BYTE_3
	v_and_b32_e32 v14, 0x80000000, v14
	v_or3_b32 v13, v11, v14, v13
.LBB329_1104:                           ;   in Loop: Header=BB329_809 Depth=1
	s_or_b32 exec_lo, exec_lo, s22
.LBB329_1105:                           ;   in Loop: Header=BB329_809 Depth=1
	s_or_b32 exec_lo, exec_lo, s21
.LBB329_1106:                           ;   in Loop: Header=BB329_809 Depth=1
	s_or_b32 exec_lo, exec_lo, s20
	v_mov_b32_e32 v11, v27
	v_cmp_ne_u16_sdwa s4, v27, v12 src0_sel:BYTE_0 src1_sel:DWORD
	v_mov_b32_e32 v15, 0
	v_mov_b32_e32 v14, 0
	s_and_saveexec_b32 s20, s4
	s_cbranch_execz .LBB329_1114
; %bb.1107:                             ;   in Loop: Header=BB329_809 Depth=1
	v_cmp_ne_u16_sdwa s4, v27, v55 src0_sel:BYTE_0 src1_sel:DWORD
	v_bfrev_b32_e32 v14, 1
	s_and_saveexec_b32 s21, s4
	s_cbranch_execz .LBB329_1113
; %bb.1108:                             ;   in Loop: Header=BB329_809 Depth=1
	v_and_b32_e32 v16, 0x7f, v27
	v_mov_b32_e32 v14, 0x7f800001
	s_mov_b32 s22, exec_lo
	v_cmpx_ne_u32_e32 0x7f, v16
	s_cbranch_execz .LBB329_1112
; %bb.1109:                             ;   in Loop: Header=BB329_809 Depth=1
	v_mov_b32_e32 v29, v12
	v_lshrrev_b32_e32 v14, 3, v16
	v_mov_b32_e32 v28, v11
	s_mov_b32 s23, exec_lo
	v_cmpx_gt_u32_e32 8, v16
; %bb.1110:                             ;   in Loop: Header=BB329_809 Depth=1
	v_and_b32_e32 v14, 7, v27
	v_ffbh_u32_e32 v14, v14
	v_min_u32_e32 v14, 32, v14
	v_subrev_nc_u32_e32 v16, 28, v14
	v_sub_nc_u32_e32 v14, 29, v14
	v_lshlrev_b64 v[28:29], v16, v[11:12]
; %bb.1111:                             ;   in Loop: Header=BB329_809 Depth=1
	s_or_b32 exec_lo, exec_lo, s23
	v_lshlrev_b32_e32 v16, 20, v28
	v_lshlrev_b32_e32 v17, 24, v11
	v_lshl_add_u32 v14, v14, 23, 0x3c000000
	v_and_b32_e32 v16, 0x700000, v16
	v_and_b32_e32 v17, 0x80000000, v17
	v_or3_b32 v14, v16, v17, v14
.LBB329_1112:                           ;   in Loop: Header=BB329_809 Depth=1
	s_or_b32 exec_lo, exec_lo, s22
.LBB329_1113:                           ;   in Loop: Header=BB329_809 Depth=1
	s_or_b32 exec_lo, exec_lo, s21
.LBB329_1114:                           ;   in Loop: Header=BB329_809 Depth=1
	s_or_b32 exec_lo, exec_lo, s20
	v_cmp_ne_u16_sdwa s4, v11, v12 src0_sel:BYTE_1 src1_sel:DWORD
	s_and_saveexec_b32 s20, s4
	s_cbranch_execz .LBB329_1122
; %bb.1115:                             ;   in Loop: Header=BB329_809 Depth=1
	v_cmp_ne_u16_sdwa s4, v11, v55 src0_sel:BYTE_1 src1_sel:DWORD
	v_bfrev_b32_e32 v15, 1
	s_and_saveexec_b32 s21, s4
	s_cbranch_execz .LBB329_1121
; %bb.1116:                             ;   in Loop: Header=BB329_809 Depth=1
	v_mov_b32_e32 v15, 0xffff
	s_mov_b32 s22, exec_lo
	v_and_b32_sdwa v17, v15, v11 dst_sel:DWORD dst_unused:UNUSED_PAD src0_sel:DWORD src1_sel:BYTE_1
	v_mov_b32_e32 v15, 0x7f800001
	v_and_b32_e32 v16, 0x7f, v17
	v_cmpx_ne_u32_e32 0x7f, v16
	s_cbranch_execz .LBB329_1120
; %bb.1117:                             ;   in Loop: Header=BB329_809 Depth=1
	v_and_b32_e32 v28, 7, v17
	v_mov_b32_e32 v29, v12
	v_lshrrev_b32_e32 v15, 3, v16
	s_mov_b32 s23, exec_lo
	v_cmpx_gt_u32_e32 8, v16
; %bb.1118:                             ;   in Loop: Header=BB329_809 Depth=1
	v_ffbh_u32_e32 v15, v28
	v_min_u32_e32 v15, 32, v15
	v_subrev_nc_u32_e32 v16, 28, v15
	v_sub_nc_u32_e32 v15, 29, v15
	v_lshlrev_b64 v[16:17], v16, v[28:29]
	v_and_b32_e32 v28, 7, v16
; %bb.1119:                             ;   in Loop: Header=BB329_809 Depth=1
	s_or_b32 exec_lo, exec_lo, s23
	v_lshlrev_b32_e32 v11, 16, v11
	v_lshlrev_b32_e32 v16, 20, v28
	v_lshl_add_u32 v15, v15, 23, 0x3c000000
	v_and_b32_e32 v11, 0x80000000, v11
	v_or3_b32 v15, v16, v11, v15
.LBB329_1120:                           ;   in Loop: Header=BB329_809 Depth=1
	s_or_b32 exec_lo, exec_lo, s22
.LBB329_1121:                           ;   in Loop: Header=BB329_809 Depth=1
	s_or_b32 exec_lo, exec_lo, s21
.LBB329_1122:                           ;   in Loop: Header=BB329_809 Depth=1
	s_or_b32 exec_lo, exec_lo, s20
	v_and_b32_sdwa v11, v27, v65 dst_sel:DWORD dst_unused:UNUSED_PAD src0_sel:WORD_1 src1_sel:DWORD
	v_mov_b32_e32 v16, 0
	v_mov_b32_e32 v17, 0
	s_mov_b32 s20, exec_lo
	v_cmpx_ne_u16_e32 0, v11
	s_cbranch_execz .LBB329_1130
; %bb.1123:                             ;   in Loop: Header=BB329_809 Depth=1
	v_bfrev_b32_e32 v17, 1
	s_mov_b32 s21, exec_lo
	v_cmpx_ne_u16_e32 0x80, v11
	s_cbranch_execz .LBB329_1129
; %bb.1124:                             ;   in Loop: Header=BB329_809 Depth=1
	v_bfe_u32 v18, v27, 16, 7
	v_mov_b32_e32 v17, 0x7f800001
	s_mov_b32 s22, exec_lo
	v_cmpx_ne_u32_e32 0x7f, v18
	s_cbranch_execz .LBB329_1128
; %bb.1125:                             ;   in Loop: Header=BB329_809 Depth=1
	v_mov_b32_e32 v11, 7
	v_lshrrev_b32_e32 v17, 3, v18
	s_mov_b32 s23, exec_lo
	v_and_b32_sdwa v11, v27, v11 dst_sel:DWORD dst_unused:UNUSED_PAD src0_sel:WORD_1 src1_sel:DWORD
	v_mov_b32_e32 v29, v12
	v_mov_b32_e32 v28, v11
	v_cmpx_gt_u32_e32 8, v18
; %bb.1126:                             ;   in Loop: Header=BB329_809 Depth=1
	v_ffbh_u32_e32 v17, v11
	v_min_u32_e32 v17, 32, v17
	v_subrev_nc_u32_e32 v18, 28, v17
	v_sub_nc_u32_e32 v17, 29, v17
	v_lshlrev_b64 v[21:22], v18, v[11:12]
	v_and_b32_e32 v28, 7, v21
; %bb.1127:                             ;   in Loop: Header=BB329_809 Depth=1
	s_or_b32 exec_lo, exec_lo, s23
	v_mov_b32_e32 v11, 24
	v_lshlrev_b32_e32 v18, 20, v28
	v_lshl_add_u32 v17, v17, 23, 0x3c000000
	v_lshlrev_b32_sdwa v11, v11, v27 dst_sel:DWORD dst_unused:UNUSED_PAD src0_sel:DWORD src1_sel:WORD_1
	v_and_b32_e32 v11, 0x80000000, v11
	v_or3_b32 v17, v18, v11, v17
.LBB329_1128:                           ;   in Loop: Header=BB329_809 Depth=1
	s_or_b32 exec_lo, exec_lo, s22
.LBB329_1129:                           ;   in Loop: Header=BB329_809 Depth=1
	s_or_b32 exec_lo, exec_lo, s21
.LBB329_1130:                           ;   in Loop: Header=BB329_809 Depth=1
	s_or_b32 exec_lo, exec_lo, s20
	s_mov_b32 s20, exec_lo
	v_cmpx_lt_u64_e64 s[6:7], v[26:27]
	s_cbranch_execz .LBB329_1138
; %bb.1131:                             ;   in Loop: Header=BB329_809 Depth=1
	v_cmp_ne_u32_sdwa s4, v27, v55 src0_sel:BYTE_3 src1_sel:DWORD
	v_bfrev_b32_e32 v16, 1
	s_and_saveexec_b32 s21, s4
	s_cbranch_execz .LBB329_1137
; %bb.1132:                             ;   in Loop: Header=BB329_809 Depth=1
	v_bfe_u32 v18, v27, 24, 7
	v_mov_b32_e32 v16, 0x7f800001
	s_mov_b32 s22, exec_lo
	v_cmpx_ne_u32_e32 0x7f, v18
	s_cbranch_execz .LBB329_1136
; %bb.1133:                             ;   in Loop: Header=BB329_809 Depth=1
	v_mov_b32_e32 v11, 7
	v_lshrrev_b32_e32 v16, 3, v18
	s_mov_b32 s23, exec_lo
	v_and_b32_sdwa v11, v27, v11 dst_sel:DWORD dst_unused:UNUSED_PAD src0_sel:BYTE_3 src1_sel:DWORD
	v_mov_b32_e32 v29, v12
	v_mov_b32_e32 v28, v11
	v_cmpx_gt_u32_e32 8, v18
; %bb.1134:                             ;   in Loop: Header=BB329_809 Depth=1
	v_ffbh_u32_e32 v16, v11
	v_min_u32_e32 v16, 32, v16
	v_subrev_nc_u32_e32 v18, 28, v16
	v_sub_nc_u32_e32 v16, 29, v16
	v_lshlrev_b64 v[21:22], v18, v[11:12]
	v_and_b32_e32 v28, 7, v21
; %bb.1135:                             ;   in Loop: Header=BB329_809 Depth=1
	s_or_b32 exec_lo, exec_lo, s23
	v_mov_b32_e32 v11, 24
	v_lshlrev_b32_e32 v18, 20, v28
	v_lshl_add_u32 v16, v16, 23, 0x3c000000
	v_lshlrev_b32_sdwa v11, v11, v27 dst_sel:DWORD dst_unused:UNUSED_PAD src0_sel:DWORD src1_sel:BYTE_3
	v_and_b32_e32 v11, 0x80000000, v11
	v_or3_b32 v16, v18, v11, v16
.LBB329_1136:                           ;   in Loop: Header=BB329_809 Depth=1
	s_or_b32 exec_lo, exec_lo, s22
.LBB329_1137:                           ;   in Loop: Header=BB329_809 Depth=1
	s_or_b32 exec_lo, exec_lo, s21
.LBB329_1138:                           ;   in Loop: Header=BB329_809 Depth=1
	s_or_b32 exec_lo, exec_lo, s20
	v_mul_f32_e32 v11, v46, v15
	v_mul_f32_e32 v14, v46, v14
	v_mul_f32_e32 v13, v46, v13
	v_mul_f32_e32 v10, v46, v10
	v_mul_f32_e32 v1, v46, v1
	v_bfe_u32 v15, v11, 16, 1
	v_or_b32_e32 v18, 0x400000, v11
	v_bfe_u32 v21, v14, 16, 1
	v_cmp_u_f32_e64 s4, v11, v11
	v_or_b32_e32 v22, 0x400000, v14
	v_add3_u32 v15, v15, v11, 0x7fff
	v_bfe_u32 v23, v13, 16, 1
	v_add3_u32 v21, v21, v14, 0x7fff
	v_or_b32_e32 v26, 0x400000, v13
	v_bfe_u32 v27, v10, 16, 1
	v_cndmask_b32_e64 v11, v15, v18, s4
	v_cmp_u_f32_e64 s4, v14, v14
	v_add3_u32 v23, v23, v13, 0x7fff
	v_or_b32_e32 v15, 0x400000, v10
	v_mul_f32_e32 v0, v46, v0
	v_lshrrev_b32_e32 v88, 16, v11
	v_cndmask_b32_e64 v14, v21, v22, s4
	v_cmp_u_f32_e64 s4, v13, v13
	v_add3_u32 v11, v27, v10, 0x7fff
	v_lshrrev_b32_e32 v79, 16, v14
	v_cndmask_b32_e64 v13, v23, v26, s4
	v_cmp_u_f32_e64 s4, v10, v10
	v_or_b32_e32 v14, 0x400000, v1
	v_lshrrev_b32_e32 v91, 16, v13
	v_bfe_u32 v13, v1, 16, 1
	v_cndmask_b32_e64 v10, v11, v15, s4
	v_mul_f32_e32 v11, v46, v17
	v_mul_f32_e32 v15, v46, v16
	v_bfe_u32 v16, v0, 16, 1
	v_add3_u32 v13, v13, v1, 0x7fff
	v_cmp_u_f32_e64 s4, v1, v1
	v_bfe_u32 v17, v11, 16, 1
	v_or_b32_e32 v18, 0x400000, v11
	v_or_b32_e32 v21, 0x400000, v15
	v_lshrrev_b32_e32 v92, 16, v10
	v_cndmask_b32_e64 v1, v13, v14, s4
	v_add3_u32 v14, v16, v0, 0x7fff
	v_or_b32_e32 v16, 0x400000, v0
	v_cmp_u_f32_e64 s4, v0, v0
	v_bfe_u32 v13, v15, 16, 1
	v_add3_u32 v17, v17, v11, 0x7fff
	v_lshrrev_b32_e32 v94, 16, v1
	v_cndmask_b32_e64 v0, v14, v16, s4
	v_cmp_u_f32_e64 s4, v11, v11
	v_add3_u32 v13, v13, v15, 0x7fff
	v_lshrrev_b32_e32 v93, 16, v0
	v_cndmask_b32_e64 v11, v17, v18, s4
	v_cmp_u_f32_e64 s4, v15, v15
	v_lshrrev_b32_e32 v89, 16, v11
	v_cndmask_b32_e64 v13, v13, v21, s4
	v_lshrrev_b32_e32 v90, 16, v13
	s_and_saveexec_b32 s20, vcc_lo
	s_cbranch_execz .LBB329_1140
; %bb.1139:                             ;   in Loop: Header=BB329_809 Depth=1
	v_cmp_lt_i32_e64 s4, v47, v82
	v_cndmask_b32_e64 v93, 0, v93, s4
	v_cmp_lt_i32_e64 s4, v62, v82
	v_cndmask_b32_e64 v94, 0, v94, s4
	v_cmp_lt_i32_e64 s4, v61, v82
	v_cndmask_b32_e64 v92, 0, v92, s4
	v_cmp_lt_i32_e64 s4, v60, v82
	v_cndmask_b32_e64 v91, 0, v91, s4
	v_cmp_lt_i32_e64 s4, v59, v82
	v_cndmask_b32_e64 v79, 0, v79, s4
	v_cmp_lt_i32_e64 s4, v58, v82
	v_cndmask_b32_e64 v88, 0, v88, s4
	v_cmp_lt_i32_e64 s4, v57, v82
	v_cndmask_b32_e64 v89, 0, v89, s4
	v_cmp_lt_i32_e64 s4, v56, v82
	v_cndmask_b32_e64 v90, 0, v90, s4
.LBB329_1140:                           ;   in Loop: Header=BB329_809 Depth=1
	s_or_b32 exec_lo, exec_lo, s20
	flat_load_dwordx2 v[26:27], v[24:25] offset:1280
	v_mov_b32_e32 v1, 0
	v_mov_b32_e32 v0, 0
	s_waitcnt vmcnt(0) lgkmcnt(0)
	v_cmp_ne_u16_sdwa s4, v26, v12 src0_sel:BYTE_0 src1_sel:DWORD
	s_and_saveexec_b32 s20, s4
	s_cbranch_execz .LBB329_1148
; %bb.1141:                             ;   in Loop: Header=BB329_809 Depth=1
	v_cmp_ne_u16_sdwa s4, v26, v55 src0_sel:BYTE_0 src1_sel:DWORD
	v_bfrev_b32_e32 v0, 1
	s_and_saveexec_b32 s21, s4
	s_cbranch_execz .LBB329_1147
; %bb.1142:                             ;   in Loop: Header=BB329_809 Depth=1
	v_and_b32_e32 v10, 0x7f, v26
	v_mov_b32_e32 v0, 0x7f800001
	s_mov_b32 s22, exec_lo
	v_cmpx_ne_u32_e32 0x7f, v10
	s_cbranch_execz .LBB329_1146
; %bb.1143:                             ;   in Loop: Header=BB329_809 Depth=1
	v_lshrrev_b32_e32 v0, 3, v10
	v_cmp_gt_u32_e64 s4, 8, v10
	v_mov_b32_e32 v10, v26
	v_mov_b32_e32 v11, v27
	s_and_saveexec_b32 s23, s4
; %bb.1144:                             ;   in Loop: Header=BB329_809 Depth=1
	v_and_b32_e32 v0, 7, v26
	v_ffbh_u32_e32 v0, v0
	v_min_u32_e32 v0, 32, v0
	v_subrev_nc_u32_e32 v10, 28, v0
	v_sub_nc_u32_e32 v0, 29, v0
	v_lshlrev_b64 v[10:11], v10, v[26:27]
; %bb.1145:                             ;   in Loop: Header=BB329_809 Depth=1
	s_or_b32 exec_lo, exec_lo, s23
	v_lshlrev_b32_e32 v10, 20, v10
	v_lshlrev_b32_e32 v11, 24, v26
	v_lshl_add_u32 v0, v0, 23, 0x3c000000
	v_and_b32_e32 v10, 0x700000, v10
	v_and_b32_e32 v11, 0x80000000, v11
	v_or3_b32 v0, v10, v11, v0
.LBB329_1146:                           ;   in Loop: Header=BB329_809 Depth=1
	s_or_b32 exec_lo, exec_lo, s22
.LBB329_1147:                           ;   in Loop: Header=BB329_809 Depth=1
	s_or_b32 exec_lo, exec_lo, s21
.LBB329_1148:                           ;   in Loop: Header=BB329_809 Depth=1
	s_or_b32 exec_lo, exec_lo, s20
	v_cmp_ne_u16_sdwa s4, v26, v12 src0_sel:BYTE_1 src1_sel:DWORD
	s_and_saveexec_b32 s20, s4
	s_cbranch_execz .LBB329_1156
; %bb.1149:                             ;   in Loop: Header=BB329_809 Depth=1
	v_cmp_ne_u16_sdwa s4, v26, v55 src0_sel:BYTE_1 src1_sel:DWORD
	v_bfrev_b32_e32 v1, 1
	s_and_saveexec_b32 s21, s4
	s_cbranch_execz .LBB329_1155
; %bb.1150:                             ;   in Loop: Header=BB329_809 Depth=1
	v_mov_b32_e32 v1, 0xffff
	s_mov_b32 s22, exec_lo
	v_and_b32_sdwa v11, v1, v26 dst_sel:DWORD dst_unused:UNUSED_PAD src0_sel:DWORD src1_sel:BYTE_1
	v_mov_b32_e32 v1, 0x7f800001
	v_and_b32_e32 v10, 0x7f, v11
	v_cmpx_ne_u32_e32 0x7f, v10
	s_cbranch_execz .LBB329_1154
; %bb.1151:                             ;   in Loop: Header=BB329_809 Depth=1
	v_and_b32_e32 v11, 7, v11
	v_mov_b32_e32 v29, v12
	v_lshrrev_b32_e32 v1, 3, v10
	s_mov_b32 s23, exec_lo
	v_mov_b32_e32 v28, v11
	v_cmpx_gt_u32_e32 8, v10
; %bb.1152:                             ;   in Loop: Header=BB329_809 Depth=1
	v_ffbh_u32_e32 v1, v11
	v_min_u32_e32 v1, 32, v1
	v_subrev_nc_u32_e32 v10, 28, v1
	v_sub_nc_u32_e32 v1, 29, v1
	v_lshlrev_b64 v[10:11], v10, v[11:12]
	v_and_b32_e32 v28, 7, v10
; %bb.1153:                             ;   in Loop: Header=BB329_809 Depth=1
	s_or_b32 exec_lo, exec_lo, s23
	v_lshlrev_b32_e32 v10, 16, v26
	v_lshlrev_b32_e32 v11, 20, v28
	v_lshl_add_u32 v1, v1, 23, 0x3c000000
	v_and_b32_e32 v10, 0x80000000, v10
	v_or3_b32 v1, v11, v10, v1
.LBB329_1154:                           ;   in Loop: Header=BB329_809 Depth=1
	s_or_b32 exec_lo, exec_lo, s22
.LBB329_1155:                           ;   in Loop: Header=BB329_809 Depth=1
	s_or_b32 exec_lo, exec_lo, s21
.LBB329_1156:                           ;   in Loop: Header=BB329_809 Depth=1
	s_or_b32 exec_lo, exec_lo, s20
	v_and_b32_sdwa v11, v26, v65 dst_sel:DWORD dst_unused:UNUSED_PAD src0_sel:WORD_1 src1_sel:DWORD
	v_mov_b32_e32 v13, 0
	v_mov_b32_e32 v10, 0
	s_mov_b32 s20, exec_lo
	v_cmpx_ne_u16_e32 0, v11
	s_cbranch_execz .LBB329_1164
; %bb.1157:                             ;   in Loop: Header=BB329_809 Depth=1
	v_bfrev_b32_e32 v10, 1
	s_mov_b32 s21, exec_lo
	v_cmpx_ne_u16_e32 0x80, v11
	s_cbranch_execz .LBB329_1163
; %bb.1158:                             ;   in Loop: Header=BB329_809 Depth=1
	v_bfe_u32 v14, v26, 16, 7
	v_mov_b32_e32 v10, 0x7f800001
	s_mov_b32 s22, exec_lo
	v_cmpx_ne_u32_e32 0x7f, v14
	s_cbranch_execz .LBB329_1162
; %bb.1159:                             ;   in Loop: Header=BB329_809 Depth=1
	v_mov_b32_e32 v10, 7
	s_mov_b32 s23, exec_lo
	v_and_b32_sdwa v11, v26, v10 dst_sel:DWORD dst_unused:UNUSED_PAD src0_sel:WORD_1 src1_sel:DWORD
	v_mov_b32_e32 v29, v12
	v_lshrrev_b32_e32 v10, 3, v14
	v_mov_b32_e32 v28, v11
	v_cmpx_gt_u32_e32 8, v14
; %bb.1160:                             ;   in Loop: Header=BB329_809 Depth=1
	v_ffbh_u32_e32 v10, v11
	v_min_u32_e32 v10, 32, v10
	v_subrev_nc_u32_e32 v14, 28, v10
	v_sub_nc_u32_e32 v10, 29, v10
	v_lshlrev_b64 v[14:15], v14, v[11:12]
	v_and_b32_e32 v28, 7, v14
; %bb.1161:                             ;   in Loop: Header=BB329_809 Depth=1
	s_or_b32 exec_lo, exec_lo, s23
	v_mov_b32_e32 v11, 24
	v_lshlrev_b32_e32 v14, 20, v28
	v_lshl_add_u32 v10, v10, 23, 0x3c000000
	v_lshlrev_b32_sdwa v11, v11, v26 dst_sel:DWORD dst_unused:UNUSED_PAD src0_sel:DWORD src1_sel:WORD_1
	v_and_b32_e32 v11, 0x80000000, v11
	v_or3_b32 v10, v14, v11, v10
.LBB329_1162:                           ;   in Loop: Header=BB329_809 Depth=1
	s_or_b32 exec_lo, exec_lo, s22
.LBB329_1163:                           ;   in Loop: Header=BB329_809 Depth=1
	s_or_b32 exec_lo, exec_lo, s21
.LBB329_1164:                           ;   in Loop: Header=BB329_809 Depth=1
	s_or_b32 exec_lo, exec_lo, s20
	s_mov_b32 s20, exec_lo
	v_cmpx_lt_u32_e32 0xffffff, v26
	s_cbranch_execz .LBB329_1172
; %bb.1165:                             ;   in Loop: Header=BB329_809 Depth=1
	v_cmp_ne_u32_sdwa s4, v26, v55 src0_sel:BYTE_3 src1_sel:DWORD
	v_bfrev_b32_e32 v13, 1
	s_and_saveexec_b32 s21, s4
	s_cbranch_execz .LBB329_1171
; %bb.1166:                             ;   in Loop: Header=BB329_809 Depth=1
	v_bfe_u32 v14, v26, 24, 7
	v_mov_b32_e32 v13, 0x7f800001
	s_mov_b32 s22, exec_lo
	v_cmpx_ne_u32_e32 0x7f, v14
	s_cbranch_execz .LBB329_1170
; %bb.1167:                             ;   in Loop: Header=BB329_809 Depth=1
	v_mov_b32_e32 v11, 7
	v_lshrrev_b32_e32 v13, 3, v14
	s_mov_b32 s23, exec_lo
	v_and_b32_sdwa v11, v26, v11 dst_sel:DWORD dst_unused:UNUSED_PAD src0_sel:BYTE_3 src1_sel:DWORD
	v_mov_b32_e32 v29, v12
	v_mov_b32_e32 v28, v11
	v_cmpx_gt_u32_e32 8, v14
; %bb.1168:                             ;   in Loop: Header=BB329_809 Depth=1
	v_ffbh_u32_e32 v13, v11
	v_min_u32_e32 v13, 32, v13
	v_subrev_nc_u32_e32 v14, 28, v13
	v_sub_nc_u32_e32 v13, 29, v13
	v_lshlrev_b64 v[14:15], v14, v[11:12]
	v_and_b32_e32 v28, 7, v14
; %bb.1169:                             ;   in Loop: Header=BB329_809 Depth=1
	s_or_b32 exec_lo, exec_lo, s23
	v_mov_b32_e32 v11, 24
	v_lshlrev_b32_e32 v14, 20, v28
	v_lshl_add_u32 v13, v13, 23, 0x3c000000
	v_lshlrev_b32_sdwa v11, v11, v26 dst_sel:DWORD dst_unused:UNUSED_PAD src0_sel:DWORD src1_sel:BYTE_3
	v_and_b32_e32 v11, 0x80000000, v11
	v_or3_b32 v13, v14, v11, v13
.LBB329_1170:                           ;   in Loop: Header=BB329_809 Depth=1
	s_or_b32 exec_lo, exec_lo, s22
.LBB329_1171:                           ;   in Loop: Header=BB329_809 Depth=1
	s_or_b32 exec_lo, exec_lo, s21
.LBB329_1172:                           ;   in Loop: Header=BB329_809 Depth=1
	s_or_b32 exec_lo, exec_lo, s20
	v_mov_b32_e32 v11, v27
	v_cmp_ne_u16_sdwa s4, v27, v12 src0_sel:BYTE_0 src1_sel:DWORD
	v_mov_b32_e32 v15, 0
	v_mov_b32_e32 v14, 0
	s_and_saveexec_b32 s20, s4
	s_cbranch_execz .LBB329_1180
; %bb.1173:                             ;   in Loop: Header=BB329_809 Depth=1
	v_cmp_ne_u16_sdwa s4, v27, v55 src0_sel:BYTE_0 src1_sel:DWORD
	v_bfrev_b32_e32 v14, 1
	s_and_saveexec_b32 s21, s4
	s_cbranch_execz .LBB329_1179
; %bb.1174:                             ;   in Loop: Header=BB329_809 Depth=1
	v_and_b32_e32 v16, 0x7f, v27
	v_mov_b32_e32 v14, 0x7f800001
	s_mov_b32 s22, exec_lo
	v_cmpx_ne_u32_e32 0x7f, v16
	s_cbranch_execz .LBB329_1178
; %bb.1175:                             ;   in Loop: Header=BB329_809 Depth=1
	v_mov_b32_e32 v29, v12
	v_lshrrev_b32_e32 v14, 3, v16
	v_mov_b32_e32 v28, v11
	s_mov_b32 s23, exec_lo
	v_cmpx_gt_u32_e32 8, v16
; %bb.1176:                             ;   in Loop: Header=BB329_809 Depth=1
	v_and_b32_e32 v14, 7, v27
	v_ffbh_u32_e32 v14, v14
	v_min_u32_e32 v14, 32, v14
	v_subrev_nc_u32_e32 v16, 28, v14
	v_sub_nc_u32_e32 v14, 29, v14
	v_lshlrev_b64 v[28:29], v16, v[11:12]
; %bb.1177:                             ;   in Loop: Header=BB329_809 Depth=1
	s_or_b32 exec_lo, exec_lo, s23
	v_lshlrev_b32_e32 v16, 20, v28
	v_lshlrev_b32_e32 v17, 24, v11
	v_lshl_add_u32 v14, v14, 23, 0x3c000000
	v_and_b32_e32 v16, 0x700000, v16
	v_and_b32_e32 v17, 0x80000000, v17
	v_or3_b32 v14, v16, v17, v14
.LBB329_1178:                           ;   in Loop: Header=BB329_809 Depth=1
	s_or_b32 exec_lo, exec_lo, s22
.LBB329_1179:                           ;   in Loop: Header=BB329_809 Depth=1
	s_or_b32 exec_lo, exec_lo, s21
.LBB329_1180:                           ;   in Loop: Header=BB329_809 Depth=1
	s_or_b32 exec_lo, exec_lo, s20
	v_cmp_ne_u16_sdwa s4, v11, v12 src0_sel:BYTE_1 src1_sel:DWORD
	s_and_saveexec_b32 s20, s4
	s_cbranch_execz .LBB329_1188
; %bb.1181:                             ;   in Loop: Header=BB329_809 Depth=1
	v_cmp_ne_u16_sdwa s4, v11, v55 src0_sel:BYTE_1 src1_sel:DWORD
	v_bfrev_b32_e32 v15, 1
	s_and_saveexec_b32 s21, s4
	s_cbranch_execz .LBB329_1187
; %bb.1182:                             ;   in Loop: Header=BB329_809 Depth=1
	v_mov_b32_e32 v15, 0xffff
	s_mov_b32 s22, exec_lo
	v_and_b32_sdwa v17, v15, v11 dst_sel:DWORD dst_unused:UNUSED_PAD src0_sel:DWORD src1_sel:BYTE_1
	v_mov_b32_e32 v15, 0x7f800001
	v_and_b32_e32 v16, 0x7f, v17
	v_cmpx_ne_u32_e32 0x7f, v16
	s_cbranch_execz .LBB329_1186
; %bb.1183:                             ;   in Loop: Header=BB329_809 Depth=1
	v_and_b32_e32 v28, 7, v17
	v_mov_b32_e32 v29, v12
	v_lshrrev_b32_e32 v15, 3, v16
	s_mov_b32 s23, exec_lo
	v_cmpx_gt_u32_e32 8, v16
; %bb.1184:                             ;   in Loop: Header=BB329_809 Depth=1
	v_ffbh_u32_e32 v15, v28
	v_min_u32_e32 v15, 32, v15
	v_subrev_nc_u32_e32 v16, 28, v15
	v_sub_nc_u32_e32 v15, 29, v15
	v_lshlrev_b64 v[16:17], v16, v[28:29]
	v_and_b32_e32 v28, 7, v16
; %bb.1185:                             ;   in Loop: Header=BB329_809 Depth=1
	s_or_b32 exec_lo, exec_lo, s23
	v_lshlrev_b32_e32 v11, 16, v11
	v_lshlrev_b32_e32 v16, 20, v28
	v_lshl_add_u32 v15, v15, 23, 0x3c000000
	v_and_b32_e32 v11, 0x80000000, v11
	v_or3_b32 v15, v16, v11, v15
.LBB329_1186:                           ;   in Loop: Header=BB329_809 Depth=1
	s_or_b32 exec_lo, exec_lo, s22
.LBB329_1187:                           ;   in Loop: Header=BB329_809 Depth=1
	s_or_b32 exec_lo, exec_lo, s21
.LBB329_1188:                           ;   in Loop: Header=BB329_809 Depth=1
	s_or_b32 exec_lo, exec_lo, s20
	v_and_b32_sdwa v11, v27, v65 dst_sel:DWORD dst_unused:UNUSED_PAD src0_sel:WORD_1 src1_sel:DWORD
	v_mov_b32_e32 v16, 0
	v_mov_b32_e32 v17, 0
	s_mov_b32 s20, exec_lo
	v_cmpx_ne_u16_e32 0, v11
	s_cbranch_execz .LBB329_1196
; %bb.1189:                             ;   in Loop: Header=BB329_809 Depth=1
	v_bfrev_b32_e32 v17, 1
	s_mov_b32 s21, exec_lo
	v_cmpx_ne_u16_e32 0x80, v11
	s_cbranch_execz .LBB329_1195
; %bb.1190:                             ;   in Loop: Header=BB329_809 Depth=1
	v_bfe_u32 v18, v27, 16, 7
	v_mov_b32_e32 v17, 0x7f800001
	s_mov_b32 s22, exec_lo
	v_cmpx_ne_u32_e32 0x7f, v18
	s_cbranch_execz .LBB329_1194
; %bb.1191:                             ;   in Loop: Header=BB329_809 Depth=1
	v_mov_b32_e32 v11, 7
	v_lshrrev_b32_e32 v17, 3, v18
	s_mov_b32 s23, exec_lo
	v_and_b32_sdwa v11, v27, v11 dst_sel:DWORD dst_unused:UNUSED_PAD src0_sel:WORD_1 src1_sel:DWORD
	v_mov_b32_e32 v29, v12
	v_mov_b32_e32 v28, v11
	v_cmpx_gt_u32_e32 8, v18
; %bb.1192:                             ;   in Loop: Header=BB329_809 Depth=1
	v_ffbh_u32_e32 v17, v11
	v_min_u32_e32 v17, 32, v17
	v_subrev_nc_u32_e32 v18, 28, v17
	v_sub_nc_u32_e32 v17, 29, v17
	v_lshlrev_b64 v[21:22], v18, v[11:12]
	v_and_b32_e32 v28, 7, v21
; %bb.1193:                             ;   in Loop: Header=BB329_809 Depth=1
	s_or_b32 exec_lo, exec_lo, s23
	v_mov_b32_e32 v11, 24
	v_lshlrev_b32_e32 v18, 20, v28
	v_lshl_add_u32 v17, v17, 23, 0x3c000000
	v_lshlrev_b32_sdwa v11, v11, v27 dst_sel:DWORD dst_unused:UNUSED_PAD src0_sel:DWORD src1_sel:WORD_1
	v_and_b32_e32 v11, 0x80000000, v11
	v_or3_b32 v17, v18, v11, v17
.LBB329_1194:                           ;   in Loop: Header=BB329_809 Depth=1
	s_or_b32 exec_lo, exec_lo, s22
.LBB329_1195:                           ;   in Loop: Header=BB329_809 Depth=1
	s_or_b32 exec_lo, exec_lo, s21
.LBB329_1196:                           ;   in Loop: Header=BB329_809 Depth=1
	s_or_b32 exec_lo, exec_lo, s20
	s_mov_b32 s20, exec_lo
	v_cmpx_lt_u64_e64 s[6:7], v[26:27]
	s_cbranch_execz .LBB329_1204
; %bb.1197:                             ;   in Loop: Header=BB329_809 Depth=1
	v_cmp_ne_u32_sdwa s4, v27, v55 src0_sel:BYTE_3 src1_sel:DWORD
	v_bfrev_b32_e32 v16, 1
	s_and_saveexec_b32 s21, s4
	s_cbranch_execz .LBB329_1203
; %bb.1198:                             ;   in Loop: Header=BB329_809 Depth=1
	v_bfe_u32 v18, v27, 24, 7
	v_mov_b32_e32 v16, 0x7f800001
	s_mov_b32 s22, exec_lo
	v_cmpx_ne_u32_e32 0x7f, v18
	s_cbranch_execz .LBB329_1202
; %bb.1199:                             ;   in Loop: Header=BB329_809 Depth=1
	v_mov_b32_e32 v11, 7
	v_lshrrev_b32_e32 v16, 3, v18
	s_mov_b32 s23, exec_lo
	v_and_b32_sdwa v11, v27, v11 dst_sel:DWORD dst_unused:UNUSED_PAD src0_sel:BYTE_3 src1_sel:DWORD
	v_mov_b32_e32 v29, v12
	v_mov_b32_e32 v28, v11
	v_cmpx_gt_u32_e32 8, v18
; %bb.1200:                             ;   in Loop: Header=BB329_809 Depth=1
	v_ffbh_u32_e32 v16, v11
	v_min_u32_e32 v16, 32, v16
	v_subrev_nc_u32_e32 v18, 28, v16
	v_sub_nc_u32_e32 v16, 29, v16
	v_lshlrev_b64 v[21:22], v18, v[11:12]
	v_and_b32_e32 v28, 7, v21
; %bb.1201:                             ;   in Loop: Header=BB329_809 Depth=1
	s_or_b32 exec_lo, exec_lo, s23
	v_mov_b32_e32 v11, 24
	v_lshlrev_b32_e32 v18, 20, v28
	v_lshl_add_u32 v16, v16, 23, 0x3c000000
	v_lshlrev_b32_sdwa v11, v11, v27 dst_sel:DWORD dst_unused:UNUSED_PAD src0_sel:DWORD src1_sel:BYTE_3
	v_and_b32_e32 v11, 0x80000000, v11
	v_or3_b32 v16, v18, v11, v16
.LBB329_1202:                           ;   in Loop: Header=BB329_809 Depth=1
	s_or_b32 exec_lo, exec_lo, s22
.LBB329_1203:                           ;   in Loop: Header=BB329_809 Depth=1
	s_or_b32 exec_lo, exec_lo, s21
.LBB329_1204:                           ;   in Loop: Header=BB329_809 Depth=1
	s_or_b32 exec_lo, exec_lo, s20
	v_mul_f32_e32 v11, v46, v15
	v_mul_f32_e32 v14, v46, v14
	;; [unrolled: 1-line block ×5, first 2 shown]
	v_bfe_u32 v15, v11, 16, 1
	v_or_b32_e32 v18, 0x400000, v11
	v_bfe_u32 v21, v14, 16, 1
	v_cmp_u_f32_e64 s4, v11, v11
	v_or_b32_e32 v22, 0x400000, v14
	v_add3_u32 v15, v15, v11, 0x7fff
	v_bfe_u32 v23, v13, 16, 1
	v_add3_u32 v21, v21, v14, 0x7fff
	v_or_b32_e32 v26, 0x400000, v13
	v_bfe_u32 v27, v10, 16, 1
	v_cndmask_b32_e64 v11, v15, v18, s4
	v_cmp_u_f32_e64 s4, v14, v14
	v_add3_u32 v23, v23, v13, 0x7fff
	v_or_b32_e32 v15, 0x400000, v10
	v_mul_f32_e32 v0, v46, v0
	v_lshrrev_b32_e32 v104, 16, v11
	v_cndmask_b32_e64 v14, v21, v22, s4
	v_cmp_u_f32_e64 s4, v13, v13
	v_add3_u32 v11, v27, v10, 0x7fff
	v_lshrrev_b32_e32 v95, 16, v14
	v_cndmask_b32_e64 v13, v23, v26, s4
	v_cmp_u_f32_e64 s4, v10, v10
	v_or_b32_e32 v14, 0x400000, v1
	v_lshrrev_b32_e32 v107, 16, v13
	v_bfe_u32 v13, v1, 16, 1
	v_cndmask_b32_e64 v10, v11, v15, s4
	v_mul_f32_e32 v11, v46, v17
	v_mul_f32_e32 v15, v46, v16
	v_bfe_u32 v16, v0, 16, 1
	v_add3_u32 v13, v13, v1, 0x7fff
	v_cmp_u_f32_e64 s4, v1, v1
	v_bfe_u32 v17, v11, 16, 1
	v_or_b32_e32 v18, 0x400000, v11
	v_or_b32_e32 v21, 0x400000, v15
	v_lshrrev_b32_e32 v108, 16, v10
	v_cndmask_b32_e64 v1, v13, v14, s4
	v_add3_u32 v14, v16, v0, 0x7fff
	v_or_b32_e32 v16, 0x400000, v0
	v_cmp_u_f32_e64 s4, v0, v0
	v_bfe_u32 v13, v15, 16, 1
	v_add3_u32 v17, v17, v11, 0x7fff
	v_lshrrev_b32_e32 v110, 16, v1
	v_cndmask_b32_e64 v0, v14, v16, s4
	v_cmp_u_f32_e64 s4, v11, v11
	v_add3_u32 v13, v13, v15, 0x7fff
	v_lshrrev_b32_e32 v109, 16, v0
	v_cndmask_b32_e64 v11, v17, v18, s4
	v_cmp_u_f32_e64 s4, v15, v15
	v_lshrrev_b32_e32 v105, 16, v11
	v_cndmask_b32_e64 v13, v13, v21, s4
	v_lshrrev_b32_e32 v106, 16, v13
	s_and_saveexec_b32 s20, vcc_lo
	s_cbranch_execz .LBB329_1206
; %bb.1205:                             ;   in Loop: Header=BB329_809 Depth=1
	v_cmp_lt_i32_e64 s4, v47, v82
	v_cndmask_b32_e64 v109, 0, v109, s4
	v_cmp_lt_i32_e64 s4, v62, v82
	v_cndmask_b32_e64 v110, 0, v110, s4
	;; [unrolled: 2-line block ×8, first 2 shown]
.LBB329_1206:                           ;   in Loop: Header=BB329_809 Depth=1
	s_or_b32 exec_lo, exec_lo, s20
	flat_load_dwordx2 v[26:27], v[24:25] offset:1536
	v_mov_b32_e32 v1, 0
	v_mov_b32_e32 v0, 0
	s_waitcnt vmcnt(0) lgkmcnt(0)
	v_cmp_ne_u16_sdwa s4, v26, v12 src0_sel:BYTE_0 src1_sel:DWORD
	s_and_saveexec_b32 s20, s4
	s_cbranch_execz .LBB329_1214
; %bb.1207:                             ;   in Loop: Header=BB329_809 Depth=1
	v_cmp_ne_u16_sdwa s4, v26, v55 src0_sel:BYTE_0 src1_sel:DWORD
	v_bfrev_b32_e32 v0, 1
	s_and_saveexec_b32 s21, s4
	s_cbranch_execz .LBB329_1213
; %bb.1208:                             ;   in Loop: Header=BB329_809 Depth=1
	v_and_b32_e32 v10, 0x7f, v26
	v_mov_b32_e32 v0, 0x7f800001
	s_mov_b32 s22, exec_lo
	v_cmpx_ne_u32_e32 0x7f, v10
	s_cbranch_execz .LBB329_1212
; %bb.1209:                             ;   in Loop: Header=BB329_809 Depth=1
	v_lshrrev_b32_e32 v0, 3, v10
	v_cmp_gt_u32_e64 s4, 8, v10
	v_mov_b32_e32 v10, v26
	v_mov_b32_e32 v11, v27
	s_and_saveexec_b32 s23, s4
; %bb.1210:                             ;   in Loop: Header=BB329_809 Depth=1
	v_and_b32_e32 v0, 7, v26
	v_ffbh_u32_e32 v0, v0
	v_min_u32_e32 v0, 32, v0
	v_subrev_nc_u32_e32 v10, 28, v0
	v_sub_nc_u32_e32 v0, 29, v0
	v_lshlrev_b64 v[10:11], v10, v[26:27]
; %bb.1211:                             ;   in Loop: Header=BB329_809 Depth=1
	s_or_b32 exec_lo, exec_lo, s23
	v_lshlrev_b32_e32 v10, 20, v10
	v_lshlrev_b32_e32 v11, 24, v26
	v_lshl_add_u32 v0, v0, 23, 0x3c000000
	v_and_b32_e32 v10, 0x700000, v10
	v_and_b32_e32 v11, 0x80000000, v11
	v_or3_b32 v0, v10, v11, v0
.LBB329_1212:                           ;   in Loop: Header=BB329_809 Depth=1
	s_or_b32 exec_lo, exec_lo, s22
.LBB329_1213:                           ;   in Loop: Header=BB329_809 Depth=1
	s_or_b32 exec_lo, exec_lo, s21
.LBB329_1214:                           ;   in Loop: Header=BB329_809 Depth=1
	s_or_b32 exec_lo, exec_lo, s20
	v_cmp_ne_u16_sdwa s4, v26, v12 src0_sel:BYTE_1 src1_sel:DWORD
	s_and_saveexec_b32 s20, s4
	s_cbranch_execz .LBB329_1222
; %bb.1215:                             ;   in Loop: Header=BB329_809 Depth=1
	v_cmp_ne_u16_sdwa s4, v26, v55 src0_sel:BYTE_1 src1_sel:DWORD
	v_bfrev_b32_e32 v1, 1
	s_and_saveexec_b32 s21, s4
	s_cbranch_execz .LBB329_1221
; %bb.1216:                             ;   in Loop: Header=BB329_809 Depth=1
	v_mov_b32_e32 v1, 0xffff
	s_mov_b32 s22, exec_lo
	v_and_b32_sdwa v11, v1, v26 dst_sel:DWORD dst_unused:UNUSED_PAD src0_sel:DWORD src1_sel:BYTE_1
	v_mov_b32_e32 v1, 0x7f800001
	v_and_b32_e32 v10, 0x7f, v11
	v_cmpx_ne_u32_e32 0x7f, v10
	s_cbranch_execz .LBB329_1220
; %bb.1217:                             ;   in Loop: Header=BB329_809 Depth=1
	v_and_b32_e32 v11, 7, v11
	v_mov_b32_e32 v29, v12
	v_lshrrev_b32_e32 v1, 3, v10
	s_mov_b32 s23, exec_lo
	v_mov_b32_e32 v28, v11
	v_cmpx_gt_u32_e32 8, v10
; %bb.1218:                             ;   in Loop: Header=BB329_809 Depth=1
	v_ffbh_u32_e32 v1, v11
	v_min_u32_e32 v1, 32, v1
	v_subrev_nc_u32_e32 v10, 28, v1
	v_sub_nc_u32_e32 v1, 29, v1
	v_lshlrev_b64 v[10:11], v10, v[11:12]
	v_and_b32_e32 v28, 7, v10
; %bb.1219:                             ;   in Loop: Header=BB329_809 Depth=1
	s_or_b32 exec_lo, exec_lo, s23
	v_lshlrev_b32_e32 v10, 16, v26
	v_lshlrev_b32_e32 v11, 20, v28
	v_lshl_add_u32 v1, v1, 23, 0x3c000000
	v_and_b32_e32 v10, 0x80000000, v10
	v_or3_b32 v1, v11, v10, v1
.LBB329_1220:                           ;   in Loop: Header=BB329_809 Depth=1
	s_or_b32 exec_lo, exec_lo, s22
.LBB329_1221:                           ;   in Loop: Header=BB329_809 Depth=1
	s_or_b32 exec_lo, exec_lo, s21
.LBB329_1222:                           ;   in Loop: Header=BB329_809 Depth=1
	s_or_b32 exec_lo, exec_lo, s20
	v_and_b32_sdwa v11, v26, v65 dst_sel:DWORD dst_unused:UNUSED_PAD src0_sel:WORD_1 src1_sel:DWORD
	v_mov_b32_e32 v13, 0
	v_mov_b32_e32 v10, 0
	s_mov_b32 s20, exec_lo
	v_cmpx_ne_u16_e32 0, v11
	s_cbranch_execz .LBB329_1230
; %bb.1223:                             ;   in Loop: Header=BB329_809 Depth=1
	v_bfrev_b32_e32 v10, 1
	s_mov_b32 s21, exec_lo
	v_cmpx_ne_u16_e32 0x80, v11
	s_cbranch_execz .LBB329_1229
; %bb.1224:                             ;   in Loop: Header=BB329_809 Depth=1
	v_bfe_u32 v14, v26, 16, 7
	v_mov_b32_e32 v10, 0x7f800001
	s_mov_b32 s22, exec_lo
	v_cmpx_ne_u32_e32 0x7f, v14
	s_cbranch_execz .LBB329_1228
; %bb.1225:                             ;   in Loop: Header=BB329_809 Depth=1
	v_mov_b32_e32 v10, 7
	s_mov_b32 s23, exec_lo
	v_and_b32_sdwa v11, v26, v10 dst_sel:DWORD dst_unused:UNUSED_PAD src0_sel:WORD_1 src1_sel:DWORD
	v_mov_b32_e32 v29, v12
	v_lshrrev_b32_e32 v10, 3, v14
	v_mov_b32_e32 v28, v11
	v_cmpx_gt_u32_e32 8, v14
; %bb.1226:                             ;   in Loop: Header=BB329_809 Depth=1
	v_ffbh_u32_e32 v10, v11
	v_min_u32_e32 v10, 32, v10
	v_subrev_nc_u32_e32 v14, 28, v10
	v_sub_nc_u32_e32 v10, 29, v10
	v_lshlrev_b64 v[14:15], v14, v[11:12]
	v_and_b32_e32 v28, 7, v14
; %bb.1227:                             ;   in Loop: Header=BB329_809 Depth=1
	s_or_b32 exec_lo, exec_lo, s23
	v_mov_b32_e32 v11, 24
	v_lshlrev_b32_e32 v14, 20, v28
	v_lshl_add_u32 v10, v10, 23, 0x3c000000
	v_lshlrev_b32_sdwa v11, v11, v26 dst_sel:DWORD dst_unused:UNUSED_PAD src0_sel:DWORD src1_sel:WORD_1
	v_and_b32_e32 v11, 0x80000000, v11
	v_or3_b32 v10, v14, v11, v10
.LBB329_1228:                           ;   in Loop: Header=BB329_809 Depth=1
	s_or_b32 exec_lo, exec_lo, s22
.LBB329_1229:                           ;   in Loop: Header=BB329_809 Depth=1
	s_or_b32 exec_lo, exec_lo, s21
.LBB329_1230:                           ;   in Loop: Header=BB329_809 Depth=1
	s_or_b32 exec_lo, exec_lo, s20
	s_mov_b32 s20, exec_lo
	v_cmpx_lt_u32_e32 0xffffff, v26
	s_cbranch_execz .LBB329_1238
; %bb.1231:                             ;   in Loop: Header=BB329_809 Depth=1
	v_cmp_ne_u32_sdwa s4, v26, v55 src0_sel:BYTE_3 src1_sel:DWORD
	v_bfrev_b32_e32 v13, 1
	s_and_saveexec_b32 s21, s4
	s_cbranch_execz .LBB329_1237
; %bb.1232:                             ;   in Loop: Header=BB329_809 Depth=1
	v_bfe_u32 v14, v26, 24, 7
	v_mov_b32_e32 v13, 0x7f800001
	s_mov_b32 s22, exec_lo
	v_cmpx_ne_u32_e32 0x7f, v14
	s_cbranch_execz .LBB329_1236
; %bb.1233:                             ;   in Loop: Header=BB329_809 Depth=1
	v_mov_b32_e32 v11, 7
	v_lshrrev_b32_e32 v13, 3, v14
	s_mov_b32 s23, exec_lo
	v_and_b32_sdwa v11, v26, v11 dst_sel:DWORD dst_unused:UNUSED_PAD src0_sel:BYTE_3 src1_sel:DWORD
	v_mov_b32_e32 v29, v12
	v_mov_b32_e32 v28, v11
	v_cmpx_gt_u32_e32 8, v14
; %bb.1234:                             ;   in Loop: Header=BB329_809 Depth=1
	v_ffbh_u32_e32 v13, v11
	v_min_u32_e32 v13, 32, v13
	v_subrev_nc_u32_e32 v14, 28, v13
	v_sub_nc_u32_e32 v13, 29, v13
	v_lshlrev_b64 v[14:15], v14, v[11:12]
	v_and_b32_e32 v28, 7, v14
; %bb.1235:                             ;   in Loop: Header=BB329_809 Depth=1
	s_or_b32 exec_lo, exec_lo, s23
	v_mov_b32_e32 v11, 24
	v_lshlrev_b32_e32 v14, 20, v28
	v_lshl_add_u32 v13, v13, 23, 0x3c000000
	v_lshlrev_b32_sdwa v11, v11, v26 dst_sel:DWORD dst_unused:UNUSED_PAD src0_sel:DWORD src1_sel:BYTE_3
	v_and_b32_e32 v11, 0x80000000, v11
	v_or3_b32 v13, v14, v11, v13
.LBB329_1236:                           ;   in Loop: Header=BB329_809 Depth=1
	s_or_b32 exec_lo, exec_lo, s22
.LBB329_1237:                           ;   in Loop: Header=BB329_809 Depth=1
	s_or_b32 exec_lo, exec_lo, s21
.LBB329_1238:                           ;   in Loop: Header=BB329_809 Depth=1
	s_or_b32 exec_lo, exec_lo, s20
	v_mov_b32_e32 v11, v27
	v_cmp_ne_u16_sdwa s4, v27, v12 src0_sel:BYTE_0 src1_sel:DWORD
	v_mov_b32_e32 v17, 0
	v_mov_b32_e32 v16, 0
	s_and_saveexec_b32 s20, s4
	s_cbranch_execz .LBB329_1246
; %bb.1239:                             ;   in Loop: Header=BB329_809 Depth=1
	v_cmp_ne_u16_sdwa s4, v27, v55 src0_sel:BYTE_0 src1_sel:DWORD
	v_bfrev_b32_e32 v16, 1
	s_and_saveexec_b32 s21, s4
	s_cbranch_execz .LBB329_1245
; %bb.1240:                             ;   in Loop: Header=BB329_809 Depth=1
	v_and_b32_e32 v15, 0x7f, v27
	v_mov_b32_e32 v16, 0x7f800001
	s_mov_b32 s22, exec_lo
	v_cmpx_ne_u32_e32 0x7f, v15
	s_cbranch_execz .LBB329_1244
; %bb.1241:                             ;   in Loop: Header=BB329_809 Depth=1
	v_mov_b32_e32 v29, v12
	v_lshrrev_b32_e32 v14, 3, v15
	v_mov_b32_e32 v28, v11
	s_mov_b32 s23, exec_lo
	v_cmpx_gt_u32_e32 8, v15
; %bb.1242:                             ;   in Loop: Header=BB329_809 Depth=1
	v_and_b32_e32 v14, 7, v27
	v_ffbh_u32_e32 v14, v14
	v_min_u32_e32 v14, 32, v14
	v_subrev_nc_u32_e32 v15, 28, v14
	v_sub_nc_u32_e32 v14, 29, v14
	v_lshlrev_b64 v[28:29], v15, v[11:12]
; %bb.1243:                             ;   in Loop: Header=BB329_809 Depth=1
	s_or_b32 exec_lo, exec_lo, s23
	v_lshlrev_b32_e32 v15, 20, v28
	v_lshlrev_b32_e32 v16, 24, v11
	v_lshl_add_u32 v14, v14, 23, 0x3c000000
	v_and_b32_e32 v15, 0x700000, v15
	v_and_b32_e32 v16, 0x80000000, v16
	v_or3_b32 v16, v15, v16, v14
.LBB329_1244:                           ;   in Loop: Header=BB329_809 Depth=1
	s_or_b32 exec_lo, exec_lo, s22
.LBB329_1245:                           ;   in Loop: Header=BB329_809 Depth=1
	s_or_b32 exec_lo, exec_lo, s21
.LBB329_1246:                           ;   in Loop: Header=BB329_809 Depth=1
	s_or_b32 exec_lo, exec_lo, s20
	v_cmp_ne_u16_sdwa s4, v11, v12 src0_sel:BYTE_1 src1_sel:DWORD
	s_and_saveexec_b32 s20, s4
	s_cbranch_execz .LBB329_1254
; %bb.1247:                             ;   in Loop: Header=BB329_809 Depth=1
	v_cmp_ne_u16_sdwa s4, v11, v55 src0_sel:BYTE_1 src1_sel:DWORD
	v_bfrev_b32_e32 v17, 1
	s_and_saveexec_b32 s21, s4
	s_cbranch_execz .LBB329_1253
; %bb.1248:                             ;   in Loop: Header=BB329_809 Depth=1
	v_mov_b32_e32 v14, 0xffff
	v_mov_b32_e32 v17, 0x7f800001
	s_mov_b32 s22, exec_lo
	v_and_b32_sdwa v14, v14, v11 dst_sel:DWORD dst_unused:UNUSED_PAD src0_sel:DWORD src1_sel:BYTE_1
	v_and_b32_e32 v15, 0x7f, v14
	v_cmpx_ne_u32_e32 0x7f, v15
	s_cbranch_execz .LBB329_1252
; %bb.1249:                             ;   in Loop: Header=BB329_809 Depth=1
	v_and_b32_e32 v28, 7, v14
	v_mov_b32_e32 v29, v12
	v_lshrrev_b32_e32 v14, 3, v15
	s_mov_b32 s23, exec_lo
	v_cmpx_gt_u32_e32 8, v15
; %bb.1250:                             ;   in Loop: Header=BB329_809 Depth=1
	v_ffbh_u32_e32 v14, v28
	v_min_u32_e32 v14, 32, v14
	v_subrev_nc_u32_e32 v15, 28, v14
	v_sub_nc_u32_e32 v14, 29, v14
	v_lshlrev_b64 v[17:18], v15, v[28:29]
	v_and_b32_e32 v28, 7, v17
; %bb.1251:                             ;   in Loop: Header=BB329_809 Depth=1
	s_or_b32 exec_lo, exec_lo, s23
	v_lshlrev_b32_e32 v11, 16, v11
	v_lshlrev_b32_e32 v15, 20, v28
	v_lshl_add_u32 v14, v14, 23, 0x3c000000
	v_and_b32_e32 v11, 0x80000000, v11
	v_or3_b32 v17, v15, v11, v14
.LBB329_1252:                           ;   in Loop: Header=BB329_809 Depth=1
	s_or_b32 exec_lo, exec_lo, s22
.LBB329_1253:                           ;   in Loop: Header=BB329_809 Depth=1
	s_or_b32 exec_lo, exec_lo, s21
.LBB329_1254:                           ;   in Loop: Header=BB329_809 Depth=1
	s_or_b32 exec_lo, exec_lo, s20
	v_and_b32_sdwa v11, v27, v65 dst_sel:DWORD dst_unused:UNUSED_PAD src0_sel:WORD_1 src1_sel:DWORD
	v_mov_b32_e32 v14, 0
	v_mov_b32_e32 v15, 0
	s_mov_b32 s20, exec_lo
	v_cmpx_ne_u16_e32 0, v11
	s_cbranch_execz .LBB329_1262
; %bb.1255:                             ;   in Loop: Header=BB329_809 Depth=1
	v_bfrev_b32_e32 v15, 1
	s_mov_b32 s21, exec_lo
	v_cmpx_ne_u16_e32 0x80, v11
	s_cbranch_execz .LBB329_1261
; %bb.1256:                             ;   in Loop: Header=BB329_809 Depth=1
	v_bfe_u32 v18, v27, 16, 7
	v_mov_b32_e32 v15, 0x7f800001
	s_mov_b32 s22, exec_lo
	v_cmpx_ne_u32_e32 0x7f, v18
	s_cbranch_execz .LBB329_1260
; %bb.1257:                             ;   in Loop: Header=BB329_809 Depth=1
	v_mov_b32_e32 v11, 7
	v_lshrrev_b32_e32 v15, 3, v18
	s_mov_b32 s23, exec_lo
	v_and_b32_sdwa v11, v27, v11 dst_sel:DWORD dst_unused:UNUSED_PAD src0_sel:WORD_1 src1_sel:DWORD
	v_mov_b32_e32 v29, v12
	v_mov_b32_e32 v28, v11
	v_cmpx_gt_u32_e32 8, v18
; %bb.1258:                             ;   in Loop: Header=BB329_809 Depth=1
	v_ffbh_u32_e32 v15, v11
	v_min_u32_e32 v15, 32, v15
	v_subrev_nc_u32_e32 v18, 28, v15
	v_sub_nc_u32_e32 v15, 29, v15
	v_lshlrev_b64 v[21:22], v18, v[11:12]
	v_and_b32_e32 v28, 7, v21
; %bb.1259:                             ;   in Loop: Header=BB329_809 Depth=1
	s_or_b32 exec_lo, exec_lo, s23
	v_mov_b32_e32 v11, 24
	v_lshlrev_b32_e32 v18, 20, v28
	v_lshl_add_u32 v15, v15, 23, 0x3c000000
	v_lshlrev_b32_sdwa v11, v11, v27 dst_sel:DWORD dst_unused:UNUSED_PAD src0_sel:DWORD src1_sel:WORD_1
	v_and_b32_e32 v11, 0x80000000, v11
	v_or3_b32 v15, v18, v11, v15
.LBB329_1260:                           ;   in Loop: Header=BB329_809 Depth=1
	s_or_b32 exec_lo, exec_lo, s22
.LBB329_1261:                           ;   in Loop: Header=BB329_809 Depth=1
	s_or_b32 exec_lo, exec_lo, s21
.LBB329_1262:                           ;   in Loop: Header=BB329_809 Depth=1
	s_or_b32 exec_lo, exec_lo, s20
	s_mov_b32 s20, exec_lo
	v_cmpx_lt_u64_e64 s[6:7], v[26:27]
	s_cbranch_execz .LBB329_1270
; %bb.1263:                             ;   in Loop: Header=BB329_809 Depth=1
	v_cmp_ne_u32_sdwa s4, v27, v55 src0_sel:BYTE_3 src1_sel:DWORD
	v_bfrev_b32_e32 v14, 1
	s_and_saveexec_b32 s21, s4
	s_cbranch_execz .LBB329_1269
; %bb.1264:                             ;   in Loop: Header=BB329_809 Depth=1
	v_bfe_u32 v18, v27, 24, 7
	v_mov_b32_e32 v14, 0x7f800001
	s_mov_b32 s22, exec_lo
	v_cmpx_ne_u32_e32 0x7f, v18
	s_cbranch_execz .LBB329_1268
; %bb.1265:                             ;   in Loop: Header=BB329_809 Depth=1
	v_mov_b32_e32 v11, 7
	v_lshrrev_b32_e32 v14, 3, v18
	s_mov_b32 s23, exec_lo
	v_and_b32_sdwa v11, v27, v11 dst_sel:DWORD dst_unused:UNUSED_PAD src0_sel:BYTE_3 src1_sel:DWORD
	v_mov_b32_e32 v29, v12
	v_mov_b32_e32 v28, v11
	v_cmpx_gt_u32_e32 8, v18
; %bb.1266:                             ;   in Loop: Header=BB329_809 Depth=1
	v_ffbh_u32_e32 v14, v11
	v_min_u32_e32 v14, 32, v14
	v_subrev_nc_u32_e32 v18, 28, v14
	v_sub_nc_u32_e32 v14, 29, v14
	v_lshlrev_b64 v[21:22], v18, v[11:12]
	v_and_b32_e32 v28, 7, v21
; %bb.1267:                             ;   in Loop: Header=BB329_809 Depth=1
	s_or_b32 exec_lo, exec_lo, s23
	v_mov_b32_e32 v11, 24
	v_lshlrev_b32_e32 v18, 20, v28
	v_lshl_add_u32 v14, v14, 23, 0x3c000000
	v_lshlrev_b32_sdwa v11, v11, v27 dst_sel:DWORD dst_unused:UNUSED_PAD src0_sel:DWORD src1_sel:BYTE_3
	v_and_b32_e32 v11, 0x80000000, v11
	v_or3_b32 v14, v18, v11, v14
.LBB329_1268:                           ;   in Loop: Header=BB329_809 Depth=1
	s_or_b32 exec_lo, exec_lo, s22
.LBB329_1269:                           ;   in Loop: Header=BB329_809 Depth=1
	s_or_b32 exec_lo, exec_lo, s21
.LBB329_1270:                           ;   in Loop: Header=BB329_809 Depth=1
	s_or_b32 exec_lo, exec_lo, s20
	v_mul_f32_e32 v11, v46, v17
	v_mul_f32_e32 v10, v46, v10
	;; [unrolled: 1-line block ×4, first 2 shown]
	v_bfe_u32 v17, v11, 16, 1
	v_or_b32_e32 v18, 0x400000, v11
	v_cmp_u_f32_e64 s4, v11, v11
	v_add3_u32 v17, v17, v11, 0x7fff
	v_cndmask_b32_e64 v11, v17, v18, s4
	v_lshrrev_b32_e32 v111, 16, v11
	v_mul_f32_e32 v11, v46, v16
	v_bfe_u32 v16, v11, 16, 1
	v_or_b32_e32 v17, 0x400000, v11
	v_cmp_u_f32_e64 s4, v11, v11
	v_add3_u32 v16, v16, v11, 0x7fff
	v_cndmask_b32_e64 v11, v16, v17, s4
	v_lshrrev_b32_e32 v120, 16, v11
	v_mul_f32_e32 v11, v46, v13
	v_bfe_u32 v13, v11, 16, 1
	v_or_b32_e32 v16, 0x400000, v11
	v_cmp_u_f32_e64 s4, v11, v11
	v_add3_u32 v13, v13, v11, 0x7fff
	v_cndmask_b32_e64 v11, v13, v16, s4
	v_or_b32_e32 v13, 0x400000, v10
	v_cmp_u_f32_e64 s4, v10, v10
	v_lshrrev_b32_e32 v121, 16, v11
	v_bfe_u32 v11, v10, 16, 1
	v_add3_u32 v11, v11, v10, 0x7fff
	v_cndmask_b32_e64 v10, v11, v13, s4
	v_or_b32_e32 v11, 0x400000, v1
	v_cmp_u_f32_e64 s4, v1, v1
	v_lshrrev_b32_e32 v122, 16, v10
	v_bfe_u32 v10, v1, 16, 1
	;; [unrolled: 6-line block ×3, first 2 shown]
	v_add3_u32 v1, v1, v0, 0x7fff
	v_cndmask_b32_e64 v0, v1, v10, s4
	v_lshrrev_b32_e32 v125, 16, v0
	v_mul_f32_e32 v0, v46, v15
	v_bfe_u32 v1, v0, 16, 1
	v_or_b32_e32 v10, 0x400000, v0
	v_cmp_u_f32_e64 s4, v0, v0
	v_add3_u32 v1, v1, v0, 0x7fff
	v_cndmask_b32_e64 v0, v1, v10, s4
	v_lshrrev_b32_e32 v123, 16, v0
	v_mul_f32_e32 v0, v46, v14
	v_bfe_u32 v1, v0, 16, 1
	v_or_b32_e32 v10, 0x400000, v0
	v_cmp_u_f32_e64 s4, v0, v0
	v_add3_u32 v1, v1, v0, 0x7fff
	v_cndmask_b32_e64 v0, v1, v10, s4
	v_lshrrev_b32_e32 v126, 16, v0
	s_and_saveexec_b32 s20, vcc_lo
	s_cbranch_execz .LBB329_1272
; %bb.1271:                             ;   in Loop: Header=BB329_809 Depth=1
	v_cmp_lt_i32_e64 s4, v47, v82
	v_cndmask_b32_e64 v125, 0, v125, s4
	v_cmp_lt_i32_e64 s4, v62, v82
	v_cndmask_b32_e64 v124, 0, v124, s4
	;; [unrolled: 2-line block ×8, first 2 shown]
.LBB329_1272:                           ;   in Loop: Header=BB329_809 Depth=1
	s_or_b32 exec_lo, exec_lo, s20
	flat_load_dwordx2 v[26:27], v[24:25] offset:1792
	v_mov_b32_e32 v13, 0
	v_mov_b32_e32 v10, 0
	s_waitcnt vmcnt(0) lgkmcnt(0)
	v_cmp_ne_u16_sdwa s4, v26, v12 src0_sel:BYTE_0 src1_sel:DWORD
	s_and_saveexec_b32 s20, s4
	s_cbranch_execz .LBB329_1280
; %bb.1273:                             ;   in Loop: Header=BB329_809 Depth=1
	v_cmp_ne_u16_sdwa s4, v26, v55 src0_sel:BYTE_0 src1_sel:DWORD
	v_bfrev_b32_e32 v10, 1
	s_and_saveexec_b32 s21, s4
	s_cbranch_execz .LBB329_1279
; %bb.1274:                             ;   in Loop: Header=BB329_809 Depth=1
	v_and_b32_e32 v1, 0x7f, v26
	v_mov_b32_e32 v10, 0x7f800001
	s_mov_b32 s22, exec_lo
	v_cmpx_ne_u32_e32 0x7f, v1
	s_cbranch_execz .LBB329_1278
; %bb.1275:                             ;   in Loop: Header=BB329_809 Depth=1
	v_lshrrev_b32_e32 v0, 3, v1
	v_mov_b32_e32 v10, v26
	s_mov_b32 s23, exec_lo
	v_mov_b32_e32 v11, v27
	v_cmpx_gt_u32_e32 8, v1
; %bb.1276:                             ;   in Loop: Header=BB329_809 Depth=1
	v_and_b32_e32 v0, 7, v26
	v_ffbh_u32_e32 v0, v0
	v_min_u32_e32 v0, 32, v0
	v_subrev_nc_u32_e32 v1, 28, v0
	v_sub_nc_u32_e32 v0, 29, v0
	v_lshlrev_b64 v[10:11], v1, v[26:27]
; %bb.1277:                             ;   in Loop: Header=BB329_809 Depth=1
	s_or_b32 exec_lo, exec_lo, s23
	v_lshlrev_b32_e32 v1, 20, v10
	v_lshlrev_b32_e32 v10, 24, v26
	v_lshl_add_u32 v0, v0, 23, 0x3c000000
	v_and_b32_e32 v1, 0x700000, v1
	v_and_b32_e32 v10, 0x80000000, v10
	v_or3_b32 v10, v1, v10, v0
.LBB329_1278:                           ;   in Loop: Header=BB329_809 Depth=1
	s_or_b32 exec_lo, exec_lo, s22
.LBB329_1279:                           ;   in Loop: Header=BB329_809 Depth=1
	s_or_b32 exec_lo, exec_lo, s21
.LBB329_1280:                           ;   in Loop: Header=BB329_809 Depth=1
	s_or_b32 exec_lo, exec_lo, s20
	v_cmp_ne_u16_sdwa s4, v26, v12 src0_sel:BYTE_1 src1_sel:DWORD
	s_and_saveexec_b32 s20, s4
	s_cbranch_execz .LBB329_1288
; %bb.1281:                             ;   in Loop: Header=BB329_809 Depth=1
	v_cmp_ne_u16_sdwa s4, v26, v55 src0_sel:BYTE_1 src1_sel:DWORD
	v_bfrev_b32_e32 v13, 1
	s_and_saveexec_b32 s21, s4
	s_cbranch_execz .LBB329_1287
; %bb.1282:                             ;   in Loop: Header=BB329_809 Depth=1
	v_mov_b32_e32 v0, 0xffff
	v_mov_b32_e32 v13, 0x7f800001
	s_mov_b32 s22, exec_lo
	v_and_b32_sdwa v0, v0, v26 dst_sel:DWORD dst_unused:UNUSED_PAD src0_sel:DWORD src1_sel:BYTE_1
	v_and_b32_e32 v1, 0x7f, v0
	v_cmpx_ne_u32_e32 0x7f, v1
	s_cbranch_execz .LBB329_1286
; %bb.1283:                             ;   in Loop: Header=BB329_809 Depth=1
	v_and_b32_e32 v11, 7, v0
	v_mov_b32_e32 v29, v12
	v_lshrrev_b32_e32 v0, 3, v1
	s_mov_b32 s23, exec_lo
	v_mov_b32_e32 v28, v11
	v_cmpx_gt_u32_e32 8, v1
; %bb.1284:                             ;   in Loop: Header=BB329_809 Depth=1
	v_ffbh_u32_e32 v0, v11
	v_min_u32_e32 v0, 32, v0
	v_subrev_nc_u32_e32 v1, 28, v0
	v_sub_nc_u32_e32 v0, 29, v0
	v_lshlrev_b64 v[13:14], v1, v[11:12]
	v_and_b32_e32 v28, 7, v13
; %bb.1285:                             ;   in Loop: Header=BB329_809 Depth=1
	s_or_b32 exec_lo, exec_lo, s23
	v_lshlrev_b32_e32 v1, 16, v26
	v_lshlrev_b32_e32 v11, 20, v28
	v_lshl_add_u32 v0, v0, 23, 0x3c000000
	v_and_b32_e32 v1, 0x80000000, v1
	v_or3_b32 v13, v11, v1, v0
.LBB329_1286:                           ;   in Loop: Header=BB329_809 Depth=1
	s_or_b32 exec_lo, exec_lo, s22
.LBB329_1287:                           ;   in Loop: Header=BB329_809 Depth=1
	s_or_b32 exec_lo, exec_lo, s21
.LBB329_1288:                           ;   in Loop: Header=BB329_809 Depth=1
	s_or_b32 exec_lo, exec_lo, s20
	v_and_b32_sdwa v0, v26, v65 dst_sel:DWORD dst_unused:UNUSED_PAD src0_sel:WORD_1 src1_sel:DWORD
	v_mov_b32_e32 v15, 0
	v_mov_b32_e32 v14, 0
	s_mov_b32 s20, exec_lo
	v_cmpx_ne_u16_e32 0, v0
	s_cbranch_execz .LBB329_1296
; %bb.1289:                             ;   in Loop: Header=BB329_809 Depth=1
	v_bfrev_b32_e32 v14, 1
	s_mov_b32 s21, exec_lo
	v_cmpx_ne_u16_e32 0x80, v0
	s_cbranch_execz .LBB329_1295
; %bb.1290:                             ;   in Loop: Header=BB329_809 Depth=1
	v_bfe_u32 v1, v26, 16, 7
	v_mov_b32_e32 v14, 0x7f800001
	s_mov_b32 s22, exec_lo
	v_cmpx_ne_u32_e32 0x7f, v1
	s_cbranch_execz .LBB329_1294
; %bb.1291:                             ;   in Loop: Header=BB329_809 Depth=1
	v_mov_b32_e32 v0, 7
	s_mov_b32 s23, exec_lo
	v_and_b32_sdwa v11, v26, v0 dst_sel:DWORD dst_unused:UNUSED_PAD src0_sel:WORD_1 src1_sel:DWORD
	v_mov_b32_e32 v29, v12
	v_lshrrev_b32_e32 v0, 3, v1
	v_mov_b32_e32 v28, v11
	v_cmpx_gt_u32_e32 8, v1
; %bb.1292:                             ;   in Loop: Header=BB329_809 Depth=1
	v_ffbh_u32_e32 v0, v11
	v_min_u32_e32 v0, 32, v0
	v_subrev_nc_u32_e32 v1, 28, v0
	v_sub_nc_u32_e32 v0, 29, v0
	v_lshlrev_b64 v[16:17], v1, v[11:12]
	v_and_b32_e32 v28, 7, v16
; %bb.1293:                             ;   in Loop: Header=BB329_809 Depth=1
	s_or_b32 exec_lo, exec_lo, s23
	v_mov_b32_e32 v1, 24
	v_lshlrev_b32_e32 v11, 20, v28
	v_lshl_add_u32 v0, v0, 23, 0x3c000000
	v_lshlrev_b32_sdwa v1, v1, v26 dst_sel:DWORD dst_unused:UNUSED_PAD src0_sel:DWORD src1_sel:WORD_1
	v_and_b32_e32 v1, 0x80000000, v1
	v_or3_b32 v14, v11, v1, v0
.LBB329_1294:                           ;   in Loop: Header=BB329_809 Depth=1
	s_or_b32 exec_lo, exec_lo, s22
.LBB329_1295:                           ;   in Loop: Header=BB329_809 Depth=1
	s_or_b32 exec_lo, exec_lo, s21
.LBB329_1296:                           ;   in Loop: Header=BB329_809 Depth=1
	s_or_b32 exec_lo, exec_lo, s20
	s_mov_b32 s20, exec_lo
	v_cmpx_lt_u32_e32 0xffffff, v26
	s_cbranch_execz .LBB329_1304
; %bb.1297:                             ;   in Loop: Header=BB329_809 Depth=1
	v_cmp_ne_u32_sdwa s4, v26, v55 src0_sel:BYTE_3 src1_sel:DWORD
	v_bfrev_b32_e32 v15, 1
	s_and_saveexec_b32 s21, s4
	s_cbranch_execz .LBB329_1303
; %bb.1298:                             ;   in Loop: Header=BB329_809 Depth=1
	v_bfe_u32 v1, v26, 24, 7
	v_mov_b32_e32 v15, 0x7f800001
	s_mov_b32 s22, exec_lo
	v_cmpx_ne_u32_e32 0x7f, v1
	s_cbranch_execz .LBB329_1302
; %bb.1299:                             ;   in Loop: Header=BB329_809 Depth=1
	v_mov_b32_e32 v0, 7
	s_mov_b32 s23, exec_lo
	v_and_b32_sdwa v11, v26, v0 dst_sel:DWORD dst_unused:UNUSED_PAD src0_sel:BYTE_3 src1_sel:DWORD
	v_mov_b32_e32 v29, v12
	v_lshrrev_b32_e32 v0, 3, v1
	v_mov_b32_e32 v28, v11
	v_cmpx_gt_u32_e32 8, v1
; %bb.1300:                             ;   in Loop: Header=BB329_809 Depth=1
	v_ffbh_u32_e32 v0, v11
	v_min_u32_e32 v0, 32, v0
	v_subrev_nc_u32_e32 v1, 28, v0
	v_sub_nc_u32_e32 v0, 29, v0
	v_lshlrev_b64 v[15:16], v1, v[11:12]
	v_and_b32_e32 v28, 7, v15
; %bb.1301:                             ;   in Loop: Header=BB329_809 Depth=1
	s_or_b32 exec_lo, exec_lo, s23
	v_mov_b32_e32 v1, 24
	v_lshlrev_b32_e32 v11, 20, v28
	v_lshl_add_u32 v0, v0, 23, 0x3c000000
	v_lshlrev_b32_sdwa v1, v1, v26 dst_sel:DWORD dst_unused:UNUSED_PAD src0_sel:DWORD src1_sel:BYTE_3
	v_and_b32_e32 v1, 0x80000000, v1
	v_or3_b32 v15, v11, v1, v0
.LBB329_1302:                           ;   in Loop: Header=BB329_809 Depth=1
	s_or_b32 exec_lo, exec_lo, s22
.LBB329_1303:                           ;   in Loop: Header=BB329_809 Depth=1
	s_or_b32 exec_lo, exec_lo, s21
.LBB329_1304:                           ;   in Loop: Header=BB329_809 Depth=1
	s_or_b32 exec_lo, exec_lo, s20
	v_mov_b32_e32 v11, v27
	v_cmp_ne_u16_sdwa s4, v27, v12 src0_sel:BYTE_0 src1_sel:DWORD
	v_mov_b32_e32 v0, 0
	v_mov_b32_e32 v1, 0
	s_and_saveexec_b32 s20, s4
	s_cbranch_execz .LBB329_1312
; %bb.1305:                             ;   in Loop: Header=BB329_809 Depth=1
	v_cmp_ne_u16_sdwa s4, v27, v55 src0_sel:BYTE_0 src1_sel:DWORD
	v_bfrev_b32_e32 v1, 1
	s_and_saveexec_b32 s21, s4
	s_cbranch_execz .LBB329_1311
; %bb.1306:                             ;   in Loop: Header=BB329_809 Depth=1
	v_and_b32_e32 v16, 0x7f, v27
	v_mov_b32_e32 v1, 0x7f800001
	s_mov_b32 s22, exec_lo
	v_cmpx_ne_u32_e32 0x7f, v16
	s_cbranch_execz .LBB329_1310
; %bb.1307:                             ;   in Loop: Header=BB329_809 Depth=1
	v_mov_b32_e32 v29, v12
	v_lshrrev_b32_e32 v1, 3, v16
	v_mov_b32_e32 v28, v11
	s_mov_b32 s23, exec_lo
	v_cmpx_gt_u32_e32 8, v16
; %bb.1308:                             ;   in Loop: Header=BB329_809 Depth=1
	v_and_b32_e32 v1, 7, v27
	v_ffbh_u32_e32 v1, v1
	v_min_u32_e32 v1, 32, v1
	v_subrev_nc_u32_e32 v16, 28, v1
	v_sub_nc_u32_e32 v1, 29, v1
	v_lshlrev_b64 v[28:29], v16, v[11:12]
; %bb.1309:                             ;   in Loop: Header=BB329_809 Depth=1
	s_or_b32 exec_lo, exec_lo, s23
	v_lshlrev_b32_e32 v16, 20, v28
	v_lshlrev_b32_e32 v17, 24, v11
	v_lshl_add_u32 v1, v1, 23, 0x3c000000
	v_and_b32_e32 v16, 0x700000, v16
	v_and_b32_e32 v17, 0x80000000, v17
	v_or3_b32 v1, v16, v17, v1
.LBB329_1310:                           ;   in Loop: Header=BB329_809 Depth=1
	s_or_b32 exec_lo, exec_lo, s22
.LBB329_1311:                           ;   in Loop: Header=BB329_809 Depth=1
	s_or_b32 exec_lo, exec_lo, s21
.LBB329_1312:                           ;   in Loop: Header=BB329_809 Depth=1
	s_or_b32 exec_lo, exec_lo, s20
	v_cmp_ne_u16_sdwa s4, v11, v12 src0_sel:BYTE_1 src1_sel:DWORD
	s_and_saveexec_b32 s20, s4
	s_cbranch_execz .LBB329_1320
; %bb.1313:                             ;   in Loop: Header=BB329_809 Depth=1
	v_cmp_ne_u16_sdwa s4, v11, v55 src0_sel:BYTE_1 src1_sel:DWORD
	v_bfrev_b32_e32 v0, 1
	s_and_saveexec_b32 s21, s4
	s_cbranch_execz .LBB329_1319
; %bb.1314:                             ;   in Loop: Header=BB329_809 Depth=1
	v_mov_b32_e32 v0, 0xffff
	s_mov_b32 s22, exec_lo
	v_and_b32_sdwa v17, v0, v11 dst_sel:DWORD dst_unused:UNUSED_PAD src0_sel:DWORD src1_sel:BYTE_1
	v_mov_b32_e32 v0, 0x7f800001
	v_and_b32_e32 v16, 0x7f, v17
	v_cmpx_ne_u32_e32 0x7f, v16
	s_cbranch_execz .LBB329_1318
; %bb.1315:                             ;   in Loop: Header=BB329_809 Depth=1
	v_and_b32_e32 v28, 7, v17
	v_mov_b32_e32 v29, v12
	v_lshrrev_b32_e32 v0, 3, v16
	s_mov_b32 s23, exec_lo
	v_cmpx_gt_u32_e32 8, v16
; %bb.1316:                             ;   in Loop: Header=BB329_809 Depth=1
	v_ffbh_u32_e32 v0, v28
	v_min_u32_e32 v0, 32, v0
	v_subrev_nc_u32_e32 v16, 28, v0
	v_sub_nc_u32_e32 v0, 29, v0
	v_lshlrev_b64 v[16:17], v16, v[28:29]
	v_and_b32_e32 v28, 7, v16
; %bb.1317:                             ;   in Loop: Header=BB329_809 Depth=1
	s_or_b32 exec_lo, exec_lo, s23
	v_lshlrev_b32_e32 v11, 16, v11
	v_lshlrev_b32_e32 v16, 20, v28
	v_lshl_add_u32 v0, v0, 23, 0x3c000000
	v_and_b32_e32 v11, 0x80000000, v11
	v_or3_b32 v0, v16, v11, v0
.LBB329_1318:                           ;   in Loop: Header=BB329_809 Depth=1
	s_or_b32 exec_lo, exec_lo, s22
.LBB329_1319:                           ;   in Loop: Header=BB329_809 Depth=1
	s_or_b32 exec_lo, exec_lo, s21
.LBB329_1320:                           ;   in Loop: Header=BB329_809 Depth=1
	s_or_b32 exec_lo, exec_lo, s20
	v_and_b32_sdwa v11, v27, v65 dst_sel:DWORD dst_unused:UNUSED_PAD src0_sel:WORD_1 src1_sel:DWORD
	v_mov_b32_e32 v16, 0
	v_mov_b32_e32 v17, 0
	s_mov_b32 s20, exec_lo
	v_cmpx_ne_u16_e32 0, v11
	s_cbranch_execz .LBB329_1328
; %bb.1321:                             ;   in Loop: Header=BB329_809 Depth=1
	v_bfrev_b32_e32 v17, 1
	s_mov_b32 s21, exec_lo
	v_cmpx_ne_u16_e32 0x80, v11
	s_cbranch_execz .LBB329_1327
; %bb.1322:                             ;   in Loop: Header=BB329_809 Depth=1
	v_bfe_u32 v18, v27, 16, 7
	v_mov_b32_e32 v17, 0x7f800001
	s_mov_b32 s22, exec_lo
	v_cmpx_ne_u32_e32 0x7f, v18
	s_cbranch_execz .LBB329_1326
; %bb.1323:                             ;   in Loop: Header=BB329_809 Depth=1
	v_mov_b32_e32 v11, 7
	v_lshrrev_b32_e32 v17, 3, v18
	s_mov_b32 s23, exec_lo
	v_and_b32_sdwa v11, v27, v11 dst_sel:DWORD dst_unused:UNUSED_PAD src0_sel:WORD_1 src1_sel:DWORD
	v_mov_b32_e32 v29, v12
	v_mov_b32_e32 v28, v11
	v_cmpx_gt_u32_e32 8, v18
; %bb.1324:                             ;   in Loop: Header=BB329_809 Depth=1
	v_ffbh_u32_e32 v17, v11
	v_min_u32_e32 v17, 32, v17
	v_subrev_nc_u32_e32 v18, 28, v17
	v_sub_nc_u32_e32 v17, 29, v17
	v_lshlrev_b64 v[21:22], v18, v[11:12]
	v_and_b32_e32 v28, 7, v21
; %bb.1325:                             ;   in Loop: Header=BB329_809 Depth=1
	s_or_b32 exec_lo, exec_lo, s23
	v_mov_b32_e32 v11, 24
	v_lshlrev_b32_e32 v18, 20, v28
	v_lshl_add_u32 v17, v17, 23, 0x3c000000
	v_lshlrev_b32_sdwa v11, v11, v27 dst_sel:DWORD dst_unused:UNUSED_PAD src0_sel:DWORD src1_sel:WORD_1
	v_and_b32_e32 v11, 0x80000000, v11
	v_or3_b32 v17, v18, v11, v17
.LBB329_1326:                           ;   in Loop: Header=BB329_809 Depth=1
	s_or_b32 exec_lo, exec_lo, s22
.LBB329_1327:                           ;   in Loop: Header=BB329_809 Depth=1
	s_or_b32 exec_lo, exec_lo, s21
.LBB329_1328:                           ;   in Loop: Header=BB329_809 Depth=1
	s_or_b32 exec_lo, exec_lo, s20
	s_mov_b32 s20, exec_lo
	v_cmpx_lt_u64_e64 s[6:7], v[26:27]
	s_cbranch_execz .LBB329_1336
; %bb.1329:                             ;   in Loop: Header=BB329_809 Depth=1
	v_cmp_ne_u32_sdwa s4, v27, v55 src0_sel:BYTE_3 src1_sel:DWORD
	v_bfrev_b32_e32 v16, 1
	s_and_saveexec_b32 s21, s4
	s_cbranch_execz .LBB329_1335
; %bb.1330:                             ;   in Loop: Header=BB329_809 Depth=1
	v_bfe_u32 v18, v27, 24, 7
	v_mov_b32_e32 v16, 0x7f800001
	s_mov_b32 s22, exec_lo
	v_cmpx_ne_u32_e32 0x7f, v18
	s_cbranch_execz .LBB329_1334
; %bb.1331:                             ;   in Loop: Header=BB329_809 Depth=1
	v_mov_b32_e32 v11, 7
	v_lshrrev_b32_e32 v16, 3, v18
	s_mov_b32 s23, exec_lo
	v_and_b32_sdwa v11, v27, v11 dst_sel:DWORD dst_unused:UNUSED_PAD src0_sel:BYTE_3 src1_sel:DWORD
	v_mov_b32_e32 v29, v12
	v_mov_b32_e32 v28, v11
	v_cmpx_gt_u32_e32 8, v18
; %bb.1332:                             ;   in Loop: Header=BB329_809 Depth=1
	v_ffbh_u32_e32 v16, v11
	v_min_u32_e32 v16, 32, v16
	v_subrev_nc_u32_e32 v18, 28, v16
	v_sub_nc_u32_e32 v16, 29, v16
	v_lshlrev_b64 v[21:22], v18, v[11:12]
	v_and_b32_e32 v28, 7, v21
; %bb.1333:                             ;   in Loop: Header=BB329_809 Depth=1
	s_or_b32 exec_lo, exec_lo, s23
	v_mov_b32_e32 v11, 24
	v_lshlrev_b32_e32 v18, 20, v28
	v_lshl_add_u32 v16, v16, 23, 0x3c000000
	v_lshlrev_b32_sdwa v11, v11, v27 dst_sel:DWORD dst_unused:UNUSED_PAD src0_sel:DWORD src1_sel:BYTE_3
	v_and_b32_e32 v11, 0x80000000, v11
	v_or3_b32 v16, v18, v11, v16
.LBB329_1334:                           ;   in Loop: Header=BB329_809 Depth=1
	s_or_b32 exec_lo, exec_lo, s22
.LBB329_1335:                           ;   in Loop: Header=BB329_809 Depth=1
	s_or_b32 exec_lo, exec_lo, s21
.LBB329_1336:                           ;   in Loop: Header=BB329_809 Depth=1
	s_or_b32 exec_lo, exec_lo, s20
	v_mul_f32_e32 v0, v46, v0
	v_mul_f32_e32 v1, v46, v1
	;; [unrolled: 1-line block ×3, first 2 shown]
	v_bfe_u32 v11, v0, 16, 1
	v_or_b32_e32 v18, 0x400000, v0
	v_cmp_u_f32_e64 s4, v0, v0
	v_add3_u32 v11, v11, v0, 0x7fff
	v_cndmask_b32_e64 v0, v11, v18, s4
	v_bfe_u32 v11, v1, 16, 1
	v_or_b32_e32 v18, 0x400000, v1
	v_cmp_u_f32_e64 s4, v1, v1
	v_lshrrev_b32_e32 v0, 16, v0
	v_add3_u32 v11, v11, v1, 0x7fff
	v_cndmask_b32_e64 v1, v11, v18, s4
	v_mul_f32_e32 v11, v46, v15
	v_lshrrev_b32_e32 v1, 16, v1
	v_bfe_u32 v15, v11, 16, 1
	v_or_b32_e32 v18, 0x400000, v11
	v_cmp_u_f32_e64 s4, v11, v11
	v_add3_u32 v15, v15, v11, 0x7fff
	v_cndmask_b32_e64 v11, v15, v18, s4
	v_lshrrev_b32_e32 v39, 16, v11
	v_mul_f32_e32 v11, v46, v14
	v_bfe_u32 v14, v11, 16, 1
	v_or_b32_e32 v15, 0x400000, v11
	v_cmp_u_f32_e64 s4, v11, v11
	v_add3_u32 v14, v14, v11, 0x7fff
	v_cndmask_b32_e64 v11, v14, v15, s4
	v_lshrrev_b32_e32 v81, 16, v11
	v_mul_f32_e32 v11, v46, v13
	v_bfe_u32 v13, v11, 16, 1
	v_or_b32_e32 v14, 0x400000, v11
	v_cmp_u_f32_e64 s4, v11, v11
	v_add3_u32 v13, v13, v11, 0x7fff
	v_cndmask_b32_e64 v11, v13, v14, s4
	v_or_b32_e32 v13, 0x400000, v10
	v_cmp_u_f32_e64 s4, v10, v10
	v_lshrrev_b32_e32 v127, 16, v11
	v_bfe_u32 v11, v10, 16, 1
	v_add3_u32 v11, v11, v10, 0x7fff
	v_cndmask_b32_e64 v10, v11, v13, s4
	v_lshrrev_b32_e32 v15, 16, v10
	v_mul_f32_e32 v10, v46, v17
	v_bfe_u32 v11, v10, 16, 1
	v_or_b32_e32 v13, 0x400000, v10
	v_cmp_u_f32_e64 s4, v10, v10
	v_add3_u32 v11, v11, v10, 0x7fff
	v_cndmask_b32_e64 v10, v11, v13, s4
	v_lshrrev_b32_e32 v17, 16, v10
	v_mul_f32_e32 v10, v46, v16
	v_bfe_u32 v11, v10, 16, 1
	v_or_b32_e32 v13, 0x400000, v10
	v_cmp_u_f32_e64 s4, v10, v10
	v_add3_u32 v11, v11, v10, 0x7fff
	v_cndmask_b32_e64 v10, v11, v13, s4
	v_lshrrev_b32_e32 v80, 16, v10
	s_and_saveexec_b32 s20, vcc_lo
	s_cbranch_execz .LBB329_1338
; %bb.1337:                             ;   in Loop: Header=BB329_809 Depth=1
	v_cmp_lt_i32_e64 s4, v47, v82
	v_cndmask_b32_e64 v15, 0, v15, s4
	v_cmp_lt_i32_e64 s4, v62, v82
	v_cndmask_b32_e64 v127, 0, v127, s4
	;; [unrolled: 2-line block ×8, first 2 shown]
.LBB329_1338:                           ;   in Loop: Header=BB329_809 Depth=1
	s_or_b32 exec_lo, exec_lo, s20
	v_add_co_u32 v24, s4, 0x800, v24
	v_add_co_ci_u32_e64 v25, null, 0, v25, s4
	v_mov_b32_e32 v13, 0
	v_mov_b32_e32 v10, 0
	flat_load_dwordx2 v[26:27], v[24:25]
	s_waitcnt vmcnt(0) lgkmcnt(0)
	v_cmp_ne_u16_sdwa s4, v26, v12 src0_sel:BYTE_0 src1_sel:DWORD
	s_and_saveexec_b32 s20, s4
	s_cbranch_execz .LBB329_1346
; %bb.1339:                             ;   in Loop: Header=BB329_809 Depth=1
	v_cmp_ne_u16_sdwa s4, v26, v55 src0_sel:BYTE_0 src1_sel:DWORD
	v_bfrev_b32_e32 v10, 1
	s_and_saveexec_b32 s21, s4
	s_cbranch_execz .LBB329_1345
; %bb.1340:                             ;   in Loop: Header=BB329_809 Depth=1
	v_and_b32_e32 v11, 0x7f, v26
	v_mov_b32_e32 v10, 0x7f800001
	s_mov_b32 s22, exec_lo
	v_cmpx_ne_u32_e32 0x7f, v11
	s_cbranch_execz .LBB329_1344
; %bb.1341:                             ;   in Loop: Header=BB329_809 Depth=1
	v_lshrrev_b32_e32 v14, 3, v11
	v_cmp_gt_u32_e64 s4, 8, v11
	v_mov_b32_e32 v10, v26
	v_mov_b32_e32 v11, v27
	s_and_saveexec_b32 s23, s4
; %bb.1342:                             ;   in Loop: Header=BB329_809 Depth=1
	v_and_b32_e32 v10, 7, v26
	v_ffbh_u32_e32 v10, v10
	v_min_u32_e32 v14, 32, v10
	v_subrev_nc_u32_e32 v10, 28, v14
	v_sub_nc_u32_e32 v14, 29, v14
	v_lshlrev_b64 v[10:11], v10, v[26:27]
; %bb.1343:                             ;   in Loop: Header=BB329_809 Depth=1
	s_or_b32 exec_lo, exec_lo, s23
	v_lshlrev_b32_e32 v10, 20, v10
	v_lshlrev_b32_e32 v11, 24, v26
	v_lshl_add_u32 v14, v14, 23, 0x3c000000
	v_and_b32_e32 v10, 0x700000, v10
	v_and_b32_e32 v11, 0x80000000, v11
	v_or3_b32 v10, v10, v11, v14
.LBB329_1344:                           ;   in Loop: Header=BB329_809 Depth=1
	s_or_b32 exec_lo, exec_lo, s22
.LBB329_1345:                           ;   in Loop: Header=BB329_809 Depth=1
	s_or_b32 exec_lo, exec_lo, s21
.LBB329_1346:                           ;   in Loop: Header=BB329_809 Depth=1
	s_or_b32 exec_lo, exec_lo, s20
	v_cmp_ne_u16_sdwa s4, v26, v12 src0_sel:BYTE_1 src1_sel:DWORD
	s_and_saveexec_b32 s20, s4
	s_cbranch_execz .LBB329_1354
; %bb.1347:                             ;   in Loop: Header=BB329_809 Depth=1
	v_cmp_ne_u16_sdwa s4, v26, v55 src0_sel:BYTE_1 src1_sel:DWORD
	v_bfrev_b32_e32 v13, 1
	s_and_saveexec_b32 s21, s4
	s_cbranch_execz .LBB329_1353
; %bb.1348:                             ;   in Loop: Header=BB329_809 Depth=1
	v_mov_b32_e32 v11, 0xffff
	v_mov_b32_e32 v13, 0x7f800001
	s_mov_b32 s22, exec_lo
	v_and_b32_sdwa v11, v11, v26 dst_sel:DWORD dst_unused:UNUSED_PAD src0_sel:DWORD src1_sel:BYTE_1
	v_and_b32_e32 v14, 0x7f, v11
	v_cmpx_ne_u32_e32 0x7f, v14
	s_cbranch_execz .LBB329_1352
; %bb.1349:                             ;   in Loop: Header=BB329_809 Depth=1
	v_and_b32_e32 v11, 7, v11
	v_mov_b32_e32 v29, v12
	v_lshrrev_b32_e32 v13, 3, v14
	s_mov_b32 s23, exec_lo
	v_mov_b32_e32 v28, v11
	v_cmpx_gt_u32_e32 8, v14
; %bb.1350:                             ;   in Loop: Header=BB329_809 Depth=1
	v_ffbh_u32_e32 v13, v11
	v_min_u32_e32 v13, 32, v13
	v_subrev_nc_u32_e32 v14, 28, v13
	v_sub_nc_u32_e32 v13, 29, v13
	v_lshlrev_b64 v[21:22], v14, v[11:12]
	v_and_b32_e32 v28, 7, v21
; %bb.1351:                             ;   in Loop: Header=BB329_809 Depth=1
	s_or_b32 exec_lo, exec_lo, s23
	v_lshlrev_b32_e32 v11, 16, v26
	v_lshlrev_b32_e32 v14, 20, v28
	v_lshl_add_u32 v13, v13, 23, 0x3c000000
	v_and_b32_e32 v11, 0x80000000, v11
	v_or3_b32 v13, v14, v11, v13
.LBB329_1352:                           ;   in Loop: Header=BB329_809 Depth=1
	s_or_b32 exec_lo, exec_lo, s22
.LBB329_1353:                           ;   in Loop: Header=BB329_809 Depth=1
	s_or_b32 exec_lo, exec_lo, s21
.LBB329_1354:                           ;   in Loop: Header=BB329_809 Depth=1
	s_or_b32 exec_lo, exec_lo, s20
	v_and_b32_sdwa v11, v26, v65 dst_sel:DWORD dst_unused:UNUSED_PAD src0_sel:WORD_1 src1_sel:DWORD
	v_mov_b32_e32 v21, 0
	v_mov_b32_e32 v14, 0
	s_mov_b32 s20, exec_lo
	v_cmpx_ne_u16_e32 0, v11
	s_cbranch_execz .LBB329_1362
; %bb.1355:                             ;   in Loop: Header=BB329_809 Depth=1
	v_bfrev_b32_e32 v14, 1
	s_mov_b32 s21, exec_lo
	v_cmpx_ne_u16_e32 0x80, v11
	s_cbranch_execz .LBB329_1361
; %bb.1356:                             ;   in Loop: Header=BB329_809 Depth=1
	v_bfe_u32 v16, v26, 16, 7
	v_mov_b32_e32 v14, 0x7f800001
	s_mov_b32 s22, exec_lo
	v_cmpx_ne_u32_e32 0x7f, v16
	s_cbranch_execz .LBB329_1360
; %bb.1357:                             ;   in Loop: Header=BB329_809 Depth=1
	v_mov_b32_e32 v11, 7
	v_lshrrev_b32_e32 v14, 3, v16
	s_mov_b32 s23, exec_lo
	v_and_b32_sdwa v11, v26, v11 dst_sel:DWORD dst_unused:UNUSED_PAD src0_sel:WORD_1 src1_sel:DWORD
	v_mov_b32_e32 v29, v12
	v_mov_b32_e32 v28, v11
	v_cmpx_gt_u32_e32 8, v16
; %bb.1358:                             ;   in Loop: Header=BB329_809 Depth=1
	v_ffbh_u32_e32 v14, v11
	v_min_u32_e32 v14, 32, v14
	v_subrev_nc_u32_e32 v16, 28, v14
	v_sub_nc_u32_e32 v14, 29, v14
	v_lshlrev_b64 v[22:23], v16, v[11:12]
	v_and_b32_e32 v28, 7, v22
; %bb.1359:                             ;   in Loop: Header=BB329_809 Depth=1
	s_or_b32 exec_lo, exec_lo, s23
	v_mov_b32_e32 v11, 24
	v_lshlrev_b32_e32 v16, 20, v28
	v_lshl_add_u32 v14, v14, 23, 0x3c000000
	v_lshlrev_b32_sdwa v11, v11, v26 dst_sel:DWORD dst_unused:UNUSED_PAD src0_sel:DWORD src1_sel:WORD_1
	v_and_b32_e32 v11, 0x80000000, v11
	v_or3_b32 v14, v16, v11, v14
.LBB329_1360:                           ;   in Loop: Header=BB329_809 Depth=1
	s_or_b32 exec_lo, exec_lo, s22
.LBB329_1361:                           ;   in Loop: Header=BB329_809 Depth=1
	s_or_b32 exec_lo, exec_lo, s21
.LBB329_1362:                           ;   in Loop: Header=BB329_809 Depth=1
	s_or_b32 exec_lo, exec_lo, s20
	s_mov_b32 s20, exec_lo
	v_cmpx_lt_u32_e32 0xffffff, v26
	s_cbranch_execz .LBB329_1370
; %bb.1363:                             ;   in Loop: Header=BB329_809 Depth=1
	v_cmp_ne_u32_sdwa s4, v26, v55 src0_sel:BYTE_3 src1_sel:DWORD
	v_bfrev_b32_e32 v21, 1
	s_and_saveexec_b32 s21, s4
	s_cbranch_execz .LBB329_1369
; %bb.1364:                             ;   in Loop: Header=BB329_809 Depth=1
	v_bfe_u32 v18, v26, 24, 7
	v_mov_b32_e32 v21, 0x7f800001
	s_mov_b32 s22, exec_lo
	v_cmpx_ne_u32_e32 0x7f, v18
	s_cbranch_execz .LBB329_1368
; %bb.1365:                             ;   in Loop: Header=BB329_809 Depth=1
	v_mov_b32_e32 v11, 7
	v_lshrrev_b32_e32 v16, 3, v18
	s_mov_b32 s23, exec_lo
	v_and_b32_sdwa v11, v26, v11 dst_sel:DWORD dst_unused:UNUSED_PAD src0_sel:BYTE_3 src1_sel:DWORD
	v_mov_b32_e32 v29, v12
	v_mov_b32_e32 v28, v11
	v_cmpx_gt_u32_e32 8, v18
; %bb.1366:                             ;   in Loop: Header=BB329_809 Depth=1
	v_ffbh_u32_e32 v16, v11
	v_min_u32_e32 v16, 32, v16
	v_subrev_nc_u32_e32 v18, 28, v16
	v_sub_nc_u32_e32 v16, 29, v16
	v_lshlrev_b64 v[21:22], v18, v[11:12]
	v_and_b32_e32 v28, 7, v21
; %bb.1367:                             ;   in Loop: Header=BB329_809 Depth=1
	s_or_b32 exec_lo, exec_lo, s23
	v_mov_b32_e32 v11, 24
	v_lshlrev_b32_e32 v18, 20, v28
	v_lshl_add_u32 v16, v16, 23, 0x3c000000
	v_lshlrev_b32_sdwa v11, v11, v26 dst_sel:DWORD dst_unused:UNUSED_PAD src0_sel:DWORD src1_sel:BYTE_3
	v_and_b32_e32 v11, 0x80000000, v11
	v_or3_b32 v21, v18, v11, v16
.LBB329_1368:                           ;   in Loop: Header=BB329_809 Depth=1
	s_or_b32 exec_lo, exec_lo, s22
.LBB329_1369:                           ;   in Loop: Header=BB329_809 Depth=1
	s_or_b32 exec_lo, exec_lo, s21
.LBB329_1370:                           ;   in Loop: Header=BB329_809 Depth=1
	s_or_b32 exec_lo, exec_lo, s20
	v_mov_b32_e32 v11, v27
	v_cmp_ne_u16_sdwa s4, v27, v12 src0_sel:BYTE_0 src1_sel:DWORD
	v_mov_b32_e32 v16, 0
	v_mov_b32_e32 v18, 0
	s_and_saveexec_b32 s20, s4
	s_cbranch_execz .LBB329_1378
; %bb.1371:                             ;   in Loop: Header=BB329_809 Depth=1
	v_cmp_ne_u16_sdwa s4, v27, v55 src0_sel:BYTE_0 src1_sel:DWORD
	v_bfrev_b32_e32 v18, 1
	s_and_saveexec_b32 s21, s4
	s_cbranch_execz .LBB329_1377
; %bb.1372:                             ;   in Loop: Header=BB329_809 Depth=1
	v_and_b32_e32 v22, 0x7f, v27
	v_mov_b32_e32 v18, 0x7f800001
	s_mov_b32 s22, exec_lo
	v_cmpx_ne_u32_e32 0x7f, v22
	s_cbranch_execz .LBB329_1376
; %bb.1373:                             ;   in Loop: Header=BB329_809 Depth=1
	v_mov_b32_e32 v29, v12
	v_lshrrev_b32_e32 v18, 3, v22
	v_mov_b32_e32 v28, v11
	s_mov_b32 s23, exec_lo
	v_cmpx_gt_u32_e32 8, v22
; %bb.1374:                             ;   in Loop: Header=BB329_809 Depth=1
	v_and_b32_e32 v18, 7, v27
	v_ffbh_u32_e32 v18, v18
	v_min_u32_e32 v18, 32, v18
	v_subrev_nc_u32_e32 v22, 28, v18
	v_sub_nc_u32_e32 v18, 29, v18
	v_lshlrev_b64 v[28:29], v22, v[11:12]
; %bb.1375:                             ;   in Loop: Header=BB329_809 Depth=1
	s_or_b32 exec_lo, exec_lo, s23
	v_lshlrev_b32_e32 v22, 20, v28
	v_lshlrev_b32_e32 v23, 24, v11
	v_lshl_add_u32 v18, v18, 23, 0x3c000000
	v_and_b32_e32 v22, 0x700000, v22
	v_and_b32_e32 v23, 0x80000000, v23
	v_or3_b32 v18, v22, v23, v18
.LBB329_1376:                           ;   in Loop: Header=BB329_809 Depth=1
	s_or_b32 exec_lo, exec_lo, s22
.LBB329_1377:                           ;   in Loop: Header=BB329_809 Depth=1
	s_or_b32 exec_lo, exec_lo, s21
.LBB329_1378:                           ;   in Loop: Header=BB329_809 Depth=1
	s_or_b32 exec_lo, exec_lo, s20
	v_cmp_ne_u16_sdwa s4, v11, v12 src0_sel:BYTE_1 src1_sel:DWORD
	s_and_saveexec_b32 s20, s4
	s_cbranch_execz .LBB329_1386
; %bb.1379:                             ;   in Loop: Header=BB329_809 Depth=1
	v_cmp_ne_u16_sdwa s4, v11, v55 src0_sel:BYTE_1 src1_sel:DWORD
	v_bfrev_b32_e32 v16, 1
	s_and_saveexec_b32 s21, s4
	s_cbranch_execz .LBB329_1385
; %bb.1380:                             ;   in Loop: Header=BB329_809 Depth=1
	v_mov_b32_e32 v16, 0xffff
	s_mov_b32 s22, exec_lo
	v_and_b32_sdwa v23, v16, v11 dst_sel:DWORD dst_unused:UNUSED_PAD src0_sel:DWORD src1_sel:BYTE_1
	v_mov_b32_e32 v16, 0x7f800001
	v_and_b32_e32 v22, 0x7f, v23
	v_cmpx_ne_u32_e32 0x7f, v22
	s_cbranch_execz .LBB329_1384
; %bb.1381:                             ;   in Loop: Header=BB329_809 Depth=1
	v_and_b32_e32 v28, 7, v23
	v_mov_b32_e32 v29, v12
	v_lshrrev_b32_e32 v16, 3, v22
	s_mov_b32 s23, exec_lo
	v_cmpx_gt_u32_e32 8, v22
; %bb.1382:                             ;   in Loop: Header=BB329_809 Depth=1
	v_ffbh_u32_e32 v16, v28
	v_min_u32_e32 v16, 32, v16
	v_subrev_nc_u32_e32 v22, 28, v16
	v_sub_nc_u32_e32 v16, 29, v16
	v_lshlrev_b64 v[22:23], v22, v[28:29]
	v_and_b32_e32 v28, 7, v22
; %bb.1383:                             ;   in Loop: Header=BB329_809 Depth=1
	s_or_b32 exec_lo, exec_lo, s23
	v_lshlrev_b32_e32 v11, 16, v11
	v_lshlrev_b32_e32 v22, 20, v28
	v_lshl_add_u32 v16, v16, 23, 0x3c000000
	v_and_b32_e32 v11, 0x80000000, v11
	v_or3_b32 v16, v22, v11, v16
.LBB329_1384:                           ;   in Loop: Header=BB329_809 Depth=1
	s_or_b32 exec_lo, exec_lo, s22
.LBB329_1385:                           ;   in Loop: Header=BB329_809 Depth=1
	s_or_b32 exec_lo, exec_lo, s21
.LBB329_1386:                           ;   in Loop: Header=BB329_809 Depth=1
	s_or_b32 exec_lo, exec_lo, s20
	v_and_b32_sdwa v11, v27, v65 dst_sel:DWORD dst_unused:UNUSED_PAD src0_sel:WORD_1 src1_sel:DWORD
	v_mov_b32_e32 v30, 0
	v_mov_b32_e32 v31, 0
	s_mov_b32 s20, exec_lo
	v_cmpx_ne_u16_e32 0, v11
	s_cbranch_execz .LBB329_1394
; %bb.1387:                             ;   in Loop: Header=BB329_809 Depth=1
	v_bfrev_b32_e32 v31, 1
	s_mov_b32 s21, exec_lo
	v_cmpx_ne_u16_e32 0x80, v11
	s_cbranch_execz .LBB329_1393
; %bb.1388:                             ;   in Loop: Header=BB329_809 Depth=1
	v_bfe_u32 v23, v27, 16, 7
	v_mov_b32_e32 v31, 0x7f800001
	s_mov_b32 s22, exec_lo
	v_cmpx_ne_u32_e32 0x7f, v23
	s_cbranch_execz .LBB329_1392
; %bb.1389:                             ;   in Loop: Header=BB329_809 Depth=1
	v_mov_b32_e32 v11, 7
	v_lshrrev_b32_e32 v22, 3, v23
	s_mov_b32 s23, exec_lo
	v_and_b32_sdwa v11, v27, v11 dst_sel:DWORD dst_unused:UNUSED_PAD src0_sel:WORD_1 src1_sel:DWORD
	v_mov_b32_e32 v29, v12
	v_mov_b32_e32 v28, v11
	v_cmpx_gt_u32_e32 8, v23
; %bb.1390:                             ;   in Loop: Header=BB329_809 Depth=1
	v_ffbh_u32_e32 v22, v11
	v_min_u32_e32 v22, 32, v22
	v_subrev_nc_u32_e32 v23, 28, v22
	v_sub_nc_u32_e32 v22, 29, v22
	v_lshlrev_b64 v[28:29], v23, v[11:12]
	v_and_b32_e32 v28, 7, v28
; %bb.1391:                             ;   in Loop: Header=BB329_809 Depth=1
	s_or_b32 exec_lo, exec_lo, s23
	v_mov_b32_e32 v11, 24
	v_lshlrev_b32_e32 v23, 20, v28
	v_lshl_add_u32 v22, v22, 23, 0x3c000000
	v_lshlrev_b32_sdwa v11, v11, v27 dst_sel:DWORD dst_unused:UNUSED_PAD src0_sel:DWORD src1_sel:WORD_1
	v_and_b32_e32 v11, 0x80000000, v11
	v_or3_b32 v31, v23, v11, v22
.LBB329_1392:                           ;   in Loop: Header=BB329_809 Depth=1
	s_or_b32 exec_lo, exec_lo, s22
.LBB329_1393:                           ;   in Loop: Header=BB329_809 Depth=1
	s_or_b32 exec_lo, exec_lo, s21
.LBB329_1394:                           ;   in Loop: Header=BB329_809 Depth=1
	s_or_b32 exec_lo, exec_lo, s20
	s_mov_b32 s20, exec_lo
	v_cmpx_lt_u64_e64 s[6:7], v[26:27]
	s_cbranch_execz .LBB329_1402
; %bb.1395:                             ;   in Loop: Header=BB329_809 Depth=1
	v_cmp_ne_u32_sdwa s4, v27, v55 src0_sel:BYTE_3 src1_sel:DWORD
	v_bfrev_b32_e32 v30, 1
	s_and_saveexec_b32 s21, s4
	s_cbranch_execz .LBB329_1401
; %bb.1396:                             ;   in Loop: Header=BB329_809 Depth=1
	v_bfe_u32 v23, v27, 24, 7
	v_mov_b32_e32 v30, 0x7f800001
	s_mov_b32 s22, exec_lo
	v_cmpx_ne_u32_e32 0x7f, v23
	s_cbranch_execz .LBB329_1400
; %bb.1397:                             ;   in Loop: Header=BB329_809 Depth=1
	v_mov_b32_e32 v11, 7
	v_lshrrev_b32_e32 v22, 3, v23
	s_mov_b32 s23, exec_lo
	v_and_b32_sdwa v11, v27, v11 dst_sel:DWORD dst_unused:UNUSED_PAD src0_sel:BYTE_3 src1_sel:DWORD
	v_mov_b32_e32 v29, v12
	v_mov_b32_e32 v28, v11
	v_cmpx_gt_u32_e32 8, v23
; %bb.1398:                             ;   in Loop: Header=BB329_809 Depth=1
	v_ffbh_u32_e32 v22, v11
	v_min_u32_e32 v22, 32, v22
	v_subrev_nc_u32_e32 v23, 28, v22
	v_sub_nc_u32_e32 v22, 29, v22
	v_lshlrev_b64 v[28:29], v23, v[11:12]
	v_and_b32_e32 v28, 7, v28
; %bb.1399:                             ;   in Loop: Header=BB329_809 Depth=1
	s_or_b32 exec_lo, exec_lo, s23
	v_mov_b32_e32 v11, 24
	v_lshlrev_b32_e32 v23, 20, v28
	v_lshl_add_u32 v22, v22, 23, 0x3c000000
	v_lshlrev_b32_sdwa v11, v11, v27 dst_sel:DWORD dst_unused:UNUSED_PAD src0_sel:DWORD src1_sel:BYTE_3
	v_and_b32_e32 v11, 0x80000000, v11
	v_or3_b32 v30, v23, v11, v22
.LBB329_1400:                           ;   in Loop: Header=BB329_809 Depth=1
	s_or_b32 exec_lo, exec_lo, s22
.LBB329_1401:                           ;   in Loop: Header=BB329_809 Depth=1
	s_or_b32 exec_lo, exec_lo, s21
.LBB329_1402:                           ;   in Loop: Header=BB329_809 Depth=1
	s_or_b32 exec_lo, exec_lo, s20
	v_mul_f32_e32 v11, v46, v16
	v_mul_f32_e32 v10, v46, v10
	v_bfe_u32 v16, v11, 16, 1
	v_or_b32_e32 v22, 0x400000, v11
	v_cmp_u_f32_e64 s4, v11, v11
	v_add3_u32 v16, v16, v11, 0x7fff
	v_cndmask_b32_e64 v11, v16, v22, s4
	v_lshrrev_b32_e32 v16, 16, v11
	v_mul_f32_e32 v11, v46, v18
	v_bfe_u32 v18, v11, 16, 1
	v_or_b32_e32 v22, 0x400000, v11
	v_cmp_u_f32_e64 s4, v11, v11
	v_add3_u32 v18, v18, v11, 0x7fff
	v_cndmask_b32_e64 v11, v18, v22, s4
	v_lshrrev_b32_e32 v18, 16, v11
	;; [unrolled: 7-line block ×4, first 2 shown]
	v_mul_f32_e32 v11, v46, v13
	v_bfe_u32 v13, v11, 16, 1
	v_or_b32_e32 v14, 0x400000, v11
	v_cmp_u_f32_e64 s4, v11, v11
	v_add3_u32 v13, v13, v11, 0x7fff
	v_cndmask_b32_e64 v11, v13, v14, s4
	v_or_b32_e32 v13, 0x400000, v10
	v_cmp_u_f32_e64 s4, v10, v10
	v_lshrrev_b32_e32 v86, 16, v11
	v_bfe_u32 v11, v10, 16, 1
	v_add3_u32 v11, v11, v10, 0x7fff
	v_cndmask_b32_e64 v10, v11, v13, s4
	v_lshrrev_b32_e32 v96, 16, v10
	v_mul_f32_e32 v10, v46, v31
	v_bfe_u32 v11, v10, 16, 1
	v_or_b32_e32 v13, 0x400000, v10
	v_cmp_u_f32_e64 s4, v10, v10
	v_add3_u32 v11, v11, v10, 0x7fff
	v_cndmask_b32_e64 v10, v11, v13, s4
	v_lshrrev_b32_e32 v84, 16, v10
	v_mul_f32_e32 v10, v46, v30
	v_bfe_u32 v11, v10, 16, 1
	v_or_b32_e32 v13, 0x400000, v10
	v_cmp_u_f32_e64 s4, v10, v10
	v_add3_u32 v11, v11, v10, 0x7fff
	v_cndmask_b32_e64 v10, v11, v13, s4
	v_lshrrev_b32_e32 v54, 16, v10
	s_and_saveexec_b32 s20, vcc_lo
	s_cbranch_execz .LBB329_1404
; %bb.1403:                             ;   in Loop: Header=BB329_809 Depth=1
	v_cmp_lt_i32_e64 s4, v47, v82
	v_cndmask_b32_e64 v96, 0, v96, s4
	v_cmp_lt_i32_e64 s4, v62, v82
	v_cndmask_b32_e64 v86, 0, v86, s4
	;; [unrolled: 2-line block ×8, first 2 shown]
.LBB329_1404:                           ;   in Loop: Header=BB329_809 Depth=1
	s_or_b32 exec_lo, exec_lo, s20
	flat_load_dwordx2 v[26:27], v[24:25] offset:256
	v_mov_b32_e32 v30, 0
	v_mov_b32_e32 v10, 0
	s_waitcnt vmcnt(0) lgkmcnt(0)
	v_cmp_ne_u16_sdwa s4, v26, v12 src0_sel:BYTE_0 src1_sel:DWORD
	s_and_saveexec_b32 s20, s4
	s_cbranch_execz .LBB329_1412
; %bb.1405:                             ;   in Loop: Header=BB329_809 Depth=1
	v_cmp_ne_u16_sdwa s4, v26, v55 src0_sel:BYTE_0 src1_sel:DWORD
	v_bfrev_b32_e32 v10, 1
	s_and_saveexec_b32 s21, s4
	s_cbranch_execz .LBB329_1411
; %bb.1406:                             ;   in Loop: Header=BB329_809 Depth=1
	v_and_b32_e32 v11, 0x7f, v26
	v_mov_b32_e32 v10, 0x7f800001
	s_mov_b32 s22, exec_lo
	v_cmpx_ne_u32_e32 0x7f, v11
	s_cbranch_execz .LBB329_1410
; %bb.1407:                             ;   in Loop: Header=BB329_809 Depth=1
	v_lshrrev_b32_e32 v13, 3, v11
	v_cmp_gt_u32_e64 s4, 8, v11
	v_mov_b32_e32 v10, v26
	v_mov_b32_e32 v11, v27
	s_and_saveexec_b32 s23, s4
; %bb.1408:                             ;   in Loop: Header=BB329_809 Depth=1
	v_and_b32_e32 v10, 7, v26
	v_ffbh_u32_e32 v10, v10
	v_min_u32_e32 v13, 32, v10
	v_subrev_nc_u32_e32 v10, 28, v13
	v_sub_nc_u32_e32 v13, 29, v13
	v_lshlrev_b64 v[10:11], v10, v[26:27]
; %bb.1409:                             ;   in Loop: Header=BB329_809 Depth=1
	s_or_b32 exec_lo, exec_lo, s23
	v_lshlrev_b32_e32 v10, 20, v10
	v_lshlrev_b32_e32 v11, 24, v26
	v_lshl_add_u32 v13, v13, 23, 0x3c000000
	v_and_b32_e32 v10, 0x700000, v10
	v_and_b32_e32 v11, 0x80000000, v11
	v_or3_b32 v10, v10, v11, v13
.LBB329_1410:                           ;   in Loop: Header=BB329_809 Depth=1
	s_or_b32 exec_lo, exec_lo, s22
.LBB329_1411:                           ;   in Loop: Header=BB329_809 Depth=1
	s_or_b32 exec_lo, exec_lo, s21
.LBB329_1412:                           ;   in Loop: Header=BB329_809 Depth=1
	s_or_b32 exec_lo, exec_lo, s20
	v_cmp_ne_u16_sdwa s4, v26, v12 src0_sel:BYTE_1 src1_sel:DWORD
	s_and_saveexec_b32 s20, s4
	s_cbranch_execz .LBB329_1420
; %bb.1413:                             ;   in Loop: Header=BB329_809 Depth=1
	v_cmp_ne_u16_sdwa s4, v26, v55 src0_sel:BYTE_1 src1_sel:DWORD
	v_bfrev_b32_e32 v30, 1
	s_and_saveexec_b32 s21, s4
	s_cbranch_execz .LBB329_1419
; %bb.1414:                             ;   in Loop: Header=BB329_809 Depth=1
	v_mov_b32_e32 v11, 0xffff
	v_mov_b32_e32 v30, 0x7f800001
	s_mov_b32 s22, exec_lo
	v_and_b32_sdwa v11, v11, v26 dst_sel:DWORD dst_unused:UNUSED_PAD src0_sel:DWORD src1_sel:BYTE_1
	v_and_b32_e32 v14, 0x7f, v11
	v_cmpx_ne_u32_e32 0x7f, v14
	s_cbranch_execz .LBB329_1418
; %bb.1415:                             ;   in Loop: Header=BB329_809 Depth=1
	v_and_b32_e32 v11, 7, v11
	v_mov_b32_e32 v29, v12
	v_lshrrev_b32_e32 v13, 3, v14
	s_mov_b32 s23, exec_lo
	v_mov_b32_e32 v28, v11
	v_cmpx_gt_u32_e32 8, v14
; %bb.1416:                             ;   in Loop: Header=BB329_809 Depth=1
	v_ffbh_u32_e32 v13, v11
	v_min_u32_e32 v13, 32, v13
	v_subrev_nc_u32_e32 v14, 28, v13
	v_sub_nc_u32_e32 v13, 29, v13
	v_lshlrev_b64 v[28:29], v14, v[11:12]
	v_and_b32_e32 v28, 7, v28
; %bb.1417:                             ;   in Loop: Header=BB329_809 Depth=1
	s_or_b32 exec_lo, exec_lo, s23
	v_lshlrev_b32_e32 v11, 16, v26
	v_lshlrev_b32_e32 v14, 20, v28
	v_lshl_add_u32 v13, v13, 23, 0x3c000000
	v_and_b32_e32 v11, 0x80000000, v11
	v_or3_b32 v30, v14, v11, v13
.LBB329_1418:                           ;   in Loop: Header=BB329_809 Depth=1
	s_or_b32 exec_lo, exec_lo, s22
.LBB329_1419:                           ;   in Loop: Header=BB329_809 Depth=1
	s_or_b32 exec_lo, exec_lo, s21
.LBB329_1420:                           ;   in Loop: Header=BB329_809 Depth=1
	s_or_b32 exec_lo, exec_lo, s20
	v_and_b32_sdwa v11, v26, v65 dst_sel:DWORD dst_unused:UNUSED_PAD src0_sel:WORD_1 src1_sel:DWORD
	v_mov_b32_e32 v14, 0
	v_mov_b32_e32 v21, 0
	s_mov_b32 s20, exec_lo
	v_cmpx_ne_u16_e32 0, v11
	s_cbranch_execz .LBB329_1428
; %bb.1421:                             ;   in Loop: Header=BB329_809 Depth=1
	v_bfrev_b32_e32 v21, 1
	s_mov_b32 s21, exec_lo
	v_cmpx_ne_u16_e32 0x80, v11
	s_cbranch_execz .LBB329_1427
; %bb.1422:                             ;   in Loop: Header=BB329_809 Depth=1
	v_bfe_u32 v28, v26, 16, 7
	v_mov_b32_e32 v21, 0x7f800001
	s_mov_b32 s22, exec_lo
	v_cmpx_ne_u32_e32 0x7f, v28
	s_cbranch_execz .LBB329_1426
; %bb.1423:                             ;   in Loop: Header=BB329_809 Depth=1
	v_mov_b32_e32 v11, 7
	v_lshrrev_b32_e32 v13, 3, v28
	v_cmp_gt_u32_e64 s4, 8, v28
	v_and_b32_sdwa v11, v26, v11 dst_sel:DWORD dst_unused:UNUSED_PAD src0_sel:WORD_1 src1_sel:DWORD
	v_mov_b32_e32 v29, v12
	v_mov_b32_e32 v28, v11
	s_and_saveexec_b32 s23, s4
; %bb.1424:                             ;   in Loop: Header=BB329_809 Depth=1
	v_ffbh_u32_e32 v13, v11
	v_min_u32_e32 v13, 32, v13
	v_subrev_nc_u32_e32 v21, 28, v13
	v_sub_nc_u32_e32 v13, 29, v13
	v_lshlrev_b64 v[28:29], v21, v[11:12]
	v_and_b32_e32 v28, 7, v28
; %bb.1425:                             ;   in Loop: Header=BB329_809 Depth=1
	s_or_b32 exec_lo, exec_lo, s23
	v_mov_b32_e32 v11, 24
	v_lshlrev_b32_e32 v21, 20, v28
	v_lshl_add_u32 v13, v13, 23, 0x3c000000
	v_lshlrev_b32_sdwa v11, v11, v26 dst_sel:DWORD dst_unused:UNUSED_PAD src0_sel:DWORD src1_sel:WORD_1
	v_and_b32_e32 v11, 0x80000000, v11
	v_or3_b32 v21, v21, v11, v13
.LBB329_1426:                           ;   in Loop: Header=BB329_809 Depth=1
	s_or_b32 exec_lo, exec_lo, s22
.LBB329_1427:                           ;   in Loop: Header=BB329_809 Depth=1
	s_or_b32 exec_lo, exec_lo, s21
.LBB329_1428:                           ;   in Loop: Header=BB329_809 Depth=1
	s_or_b32 exec_lo, exec_lo, s20
	s_mov_b32 s20, exec_lo
	v_cmpx_lt_u32_e32 0xffffff, v26
	s_cbranch_execz .LBB329_1436
; %bb.1429:                             ;   in Loop: Header=BB329_809 Depth=1
	v_cmp_ne_u32_sdwa s4, v26, v55 src0_sel:BYTE_3 src1_sel:DWORD
	v_bfrev_b32_e32 v14, 1
	s_and_saveexec_b32 s21, s4
	s_cbranch_execz .LBB329_1435
; %bb.1430:                             ;   in Loop: Header=BB329_809 Depth=1
	v_bfe_u32 v28, v26, 24, 7
	v_mov_b32_e32 v14, 0x7f800001
	s_mov_b32 s22, exec_lo
	v_cmpx_ne_u32_e32 0x7f, v28
	s_cbranch_execz .LBB329_1434
; %bb.1431:                             ;   in Loop: Header=BB329_809 Depth=1
	v_mov_b32_e32 v11, 7
	v_lshrrev_b32_e32 v13, 3, v28
	v_cmp_gt_u32_e64 s4, 8, v28
	v_and_b32_sdwa v11, v26, v11 dst_sel:DWORD dst_unused:UNUSED_PAD src0_sel:BYTE_3 src1_sel:DWORD
	v_mov_b32_e32 v29, v12
	v_mov_b32_e32 v28, v11
	s_and_saveexec_b32 s23, s4
; %bb.1432:                             ;   in Loop: Header=BB329_809 Depth=1
	v_ffbh_u32_e32 v13, v11
	v_min_u32_e32 v13, 32, v13
	v_subrev_nc_u32_e32 v14, 28, v13
	v_sub_nc_u32_e32 v13, 29, v13
	v_lshlrev_b64 v[28:29], v14, v[11:12]
	v_and_b32_e32 v28, 7, v28
; %bb.1433:                             ;   in Loop: Header=BB329_809 Depth=1
	s_or_b32 exec_lo, exec_lo, s23
	v_mov_b32_e32 v11, 24
	v_lshlrev_b32_e32 v14, 20, v28
	v_lshl_add_u32 v13, v13, 23, 0x3c000000
	v_lshlrev_b32_sdwa v11, v11, v26 dst_sel:DWORD dst_unused:UNUSED_PAD src0_sel:DWORD src1_sel:BYTE_3
	v_and_b32_e32 v11, 0x80000000, v11
	v_or3_b32 v14, v14, v11, v13
.LBB329_1434:                           ;   in Loop: Header=BB329_809 Depth=1
	s_or_b32 exec_lo, exec_lo, s22
.LBB329_1435:                           ;   in Loop: Header=BB329_809 Depth=1
	s_or_b32 exec_lo, exec_lo, s21
.LBB329_1436:                           ;   in Loop: Header=BB329_809 Depth=1
	s_or_b32 exec_lo, exec_lo, s20
	v_mov_b32_e32 v11, v27
	v_cmp_ne_u16_sdwa s4, v27, v12 src0_sel:BYTE_0 src1_sel:DWORD
	v_mov_b32_e32 v31, 0
	v_mov_b32_e32 v13, 0
	s_and_saveexec_b32 s20, s4
	s_cbranch_execz .LBB329_1444
; %bb.1437:                             ;   in Loop: Header=BB329_809 Depth=1
	v_cmp_ne_u16_sdwa s4, v27, v55 src0_sel:BYTE_0 src1_sel:DWORD
	v_bfrev_b32_e32 v13, 1
	s_and_saveexec_b32 s21, s4
	s_cbranch_execz .LBB329_1443
; %bb.1438:                             ;   in Loop: Header=BB329_809 Depth=1
	v_and_b32_e32 v28, 0x7f, v27
	v_mov_b32_e32 v13, 0x7f800001
	s_mov_b32 s22, exec_lo
	v_cmpx_ne_u32_e32 0x7f, v28
	s_cbranch_execz .LBB329_1442
; %bb.1439:                             ;   in Loop: Header=BB329_809 Depth=1
	v_lshrrev_b32_e32 v13, 3, v28
	v_cmp_gt_u32_e64 s4, 8, v28
	v_mov_b32_e32 v29, v12
	v_mov_b32_e32 v28, v11
	s_and_saveexec_b32 s23, s4
; %bb.1440:                             ;   in Loop: Header=BB329_809 Depth=1
	v_and_b32_e32 v13, 7, v27
	v_ffbh_u32_e32 v13, v13
	v_min_u32_e32 v13, 32, v13
	v_subrev_nc_u32_e32 v28, 28, v13
	v_sub_nc_u32_e32 v13, 29, v13
	v_lshlrev_b64 v[28:29], v28, v[11:12]
; %bb.1441:                             ;   in Loop: Header=BB329_809 Depth=1
	s_or_b32 exec_lo, exec_lo, s23
	v_lshlrev_b32_e32 v28, 20, v28
	v_lshlrev_b32_e32 v29, 24, v11
	v_lshl_add_u32 v13, v13, 23, 0x3c000000
	v_and_b32_e32 v28, 0x700000, v28
	v_and_b32_e32 v29, 0x80000000, v29
	v_or3_b32 v13, v28, v29, v13
.LBB329_1442:                           ;   in Loop: Header=BB329_809 Depth=1
	s_or_b32 exec_lo, exec_lo, s22
.LBB329_1443:                           ;   in Loop: Header=BB329_809 Depth=1
	s_or_b32 exec_lo, exec_lo, s21
.LBB329_1444:                           ;   in Loop: Header=BB329_809 Depth=1
	s_or_b32 exec_lo, exec_lo, s20
	v_cmp_ne_u16_sdwa s4, v11, v12 src0_sel:BYTE_1 src1_sel:DWORD
	s_and_saveexec_b32 s20, s4
	s_cbranch_execz .LBB329_1452
; %bb.1445:                             ;   in Loop: Header=BB329_809 Depth=1
	v_cmp_ne_u16_sdwa s4, v11, v55 src0_sel:BYTE_1 src1_sel:DWORD
	v_bfrev_b32_e32 v31, 1
	s_and_saveexec_b32 s21, s4
	s_cbranch_execz .LBB329_1451
; %bb.1446:                             ;   in Loop: Header=BB329_809 Depth=1
	v_mov_b32_e32 v28, 0xffff
	v_mov_b32_e32 v31, 0x7f800001
	s_mov_b32 s22, exec_lo
	v_and_b32_sdwa v28, v28, v11 dst_sel:DWORD dst_unused:UNUSED_PAD src0_sel:DWORD src1_sel:BYTE_1
	v_and_b32_e32 v32, 0x7f, v28
	v_cmpx_ne_u32_e32 0x7f, v32
	s_cbranch_execz .LBB329_1450
; %bb.1447:                             ;   in Loop: Header=BB329_809 Depth=1
	v_and_b32_e32 v28, 7, v28
	v_mov_b32_e32 v29, v12
	v_lshrrev_b32_e32 v31, 3, v32
	s_mov_b32 s23, exec_lo
	v_cmpx_gt_u32_e32 8, v32
; %bb.1448:                             ;   in Loop: Header=BB329_809 Depth=1
	v_ffbh_u32_e32 v31, v28
	v_min_u32_e32 v31, 32, v31
	v_subrev_nc_u32_e32 v32, 28, v31
	v_sub_nc_u32_e32 v31, 29, v31
	v_lshlrev_b64 v[28:29], v32, v[28:29]
	v_and_b32_e32 v28, 7, v28
; %bb.1449:                             ;   in Loop: Header=BB329_809 Depth=1
	s_or_b32 exec_lo, exec_lo, s23
	v_lshlrev_b32_e32 v11, 16, v11
	v_lshlrev_b32_e32 v28, 20, v28
	v_lshl_add_u32 v29, v31, 23, 0x3c000000
	v_and_b32_e32 v11, 0x80000000, v11
	v_or3_b32 v31, v28, v11, v29
.LBB329_1450:                           ;   in Loop: Header=BB329_809 Depth=1
	s_or_b32 exec_lo, exec_lo, s22
.LBB329_1451:                           ;   in Loop: Header=BB329_809 Depth=1
	s_or_b32 exec_lo, exec_lo, s21
.LBB329_1452:                           ;   in Loop: Header=BB329_809 Depth=1
	s_or_b32 exec_lo, exec_lo, s20
	v_and_b32_sdwa v11, v27, v65 dst_sel:DWORD dst_unused:UNUSED_PAD src0_sel:WORD_1 src1_sel:DWORD
	v_mov_b32_e32 v32, 0
	v_mov_b32_e32 v33, 0
	s_mov_b32 s20, exec_lo
	v_cmpx_ne_u16_e32 0, v11
	s_cbranch_execz .LBB329_1460
; %bb.1453:                             ;   in Loop: Header=BB329_809 Depth=1
	v_bfrev_b32_e32 v33, 1
	s_mov_b32 s21, exec_lo
	v_cmpx_ne_u16_e32 0x80, v11
	s_cbranch_execz .LBB329_1459
; %bb.1454:                             ;   in Loop: Header=BB329_809 Depth=1
	v_bfe_u32 v28, v27, 16, 7
	v_mov_b32_e32 v33, 0x7f800001
	s_mov_b32 s22, exec_lo
	v_cmpx_ne_u32_e32 0x7f, v28
	s_cbranch_execz .LBB329_1458
; %bb.1455:                             ;   in Loop: Header=BB329_809 Depth=1
	v_mov_b32_e32 v11, 7
	v_lshrrev_b32_e32 v33, 3, v28
	v_cmp_gt_u32_e64 s4, 8, v28
	v_and_b32_sdwa v11, v27, v11 dst_sel:DWORD dst_unused:UNUSED_PAD src0_sel:WORD_1 src1_sel:DWORD
	v_mov_b32_e32 v29, v12
	v_mov_b32_e32 v28, v11
	s_and_saveexec_b32 s23, s4
; %bb.1456:                             ;   in Loop: Header=BB329_809 Depth=1
	v_ffbh_u32_e32 v28, v11
	v_min_u32_e32 v33, 32, v28
	v_subrev_nc_u32_e32 v28, 28, v33
	v_sub_nc_u32_e32 v33, 29, v33
	v_lshlrev_b64 v[28:29], v28, v[11:12]
	v_and_b32_e32 v28, 7, v28
; %bb.1457:                             ;   in Loop: Header=BB329_809 Depth=1
	s_or_b32 exec_lo, exec_lo, s23
	v_mov_b32_e32 v11, 24
	v_lshlrev_b32_e32 v28, 20, v28
	v_lshl_add_u32 v29, v33, 23, 0x3c000000
	v_lshlrev_b32_sdwa v11, v11, v27 dst_sel:DWORD dst_unused:UNUSED_PAD src0_sel:DWORD src1_sel:WORD_1
	v_and_b32_e32 v11, 0x80000000, v11
	v_or3_b32 v33, v28, v11, v29
.LBB329_1458:                           ;   in Loop: Header=BB329_809 Depth=1
	s_or_b32 exec_lo, exec_lo, s22
.LBB329_1459:                           ;   in Loop: Header=BB329_809 Depth=1
	s_or_b32 exec_lo, exec_lo, s21
.LBB329_1460:                           ;   in Loop: Header=BB329_809 Depth=1
	s_or_b32 exec_lo, exec_lo, s20
	s_mov_b32 s20, exec_lo
	v_cmpx_lt_u64_e64 s[6:7], v[26:27]
	s_cbranch_execz .LBB329_1468
; %bb.1461:                             ;   in Loop: Header=BB329_809 Depth=1
	v_cmp_ne_u32_sdwa s4, v27, v55 src0_sel:BYTE_3 src1_sel:DWORD
	v_bfrev_b32_e32 v32, 1
	s_and_saveexec_b32 s21, s4
	s_cbranch_execz .LBB329_1467
; %bb.1462:                             ;   in Loop: Header=BB329_809 Depth=1
	v_bfe_u32 v28, v27, 24, 7
	v_mov_b32_e32 v32, 0x7f800001
	s_mov_b32 s22, exec_lo
	v_cmpx_ne_u32_e32 0x7f, v28
	s_cbranch_execz .LBB329_1466
; %bb.1463:                             ;   in Loop: Header=BB329_809 Depth=1
	v_mov_b32_e32 v11, 7
	v_lshrrev_b32_e32 v26, 3, v28
	v_cmp_gt_u32_e64 s4, 8, v28
	v_and_b32_sdwa v11, v27, v11 dst_sel:DWORD dst_unused:UNUSED_PAD src0_sel:BYTE_3 src1_sel:DWORD
	v_mov_b32_e32 v29, v12
	v_mov_b32_e32 v28, v11
	s_and_saveexec_b32 s23, s4
; %bb.1464:                             ;   in Loop: Header=BB329_809 Depth=1
	v_ffbh_u32_e32 v26, v11
	v_min_u32_e32 v26, 32, v26
	v_subrev_nc_u32_e32 v28, 28, v26
	v_sub_nc_u32_e32 v26, 29, v26
	v_lshlrev_b64 v[28:29], v28, v[11:12]
	v_and_b32_e32 v28, 7, v28
; %bb.1465:                             ;   in Loop: Header=BB329_809 Depth=1
	s_or_b32 exec_lo, exec_lo, s23
	v_mov_b32_e32 v11, 24
	v_lshl_add_u32 v26, v26, 23, 0x3c000000
	v_lshlrev_b32_sdwa v11, v11, v27 dst_sel:DWORD dst_unused:UNUSED_PAD src0_sel:DWORD src1_sel:BYTE_3
	v_lshlrev_b32_e32 v27, 20, v28
	v_and_b32_e32 v11, 0x80000000, v11
	v_or3_b32 v32, v27, v11, v26
.LBB329_1466:                           ;   in Loop: Header=BB329_809 Depth=1
	s_or_b32 exec_lo, exec_lo, s22
.LBB329_1467:                           ;   in Loop: Header=BB329_809 Depth=1
	s_or_b32 exec_lo, exec_lo, s21
.LBB329_1468:                           ;   in Loop: Header=BB329_809 Depth=1
	s_or_b32 exec_lo, exec_lo, s20
	v_mul_f32_e32 v11, v46, v31
	v_mul_f32_e32 v10, v46, v10
	v_bfe_u32 v26, v11, 16, 1
	v_or_b32_e32 v27, 0x400000, v11
	v_cmp_u_f32_e64 s4, v11, v11
	v_add3_u32 v26, v26, v11, 0x7fff
	v_cndmask_b32_e64 v11, v26, v27, s4
	v_lshrrev_b32_e32 v85, 16, v11
	v_mul_f32_e32 v11, v46, v13
	v_bfe_u32 v13, v11, 16, 1
	v_or_b32_e32 v26, 0x400000, v11
	v_cmp_u_f32_e64 s4, v11, v11
	v_add3_u32 v13, v13, v11, 0x7fff
	v_cndmask_b32_e64 v11, v13, v26, s4
	v_lshrrev_b32_e32 v13, 16, v11
	;; [unrolled: 7-line block ×4, first 2 shown]
	v_mul_f32_e32 v11, v46, v30
	v_bfe_u32 v26, v11, 16, 1
	v_or_b32_e32 v27, 0x400000, v11
	v_cmp_u_f32_e64 s4, v11, v11
	v_add3_u32 v26, v26, v11, 0x7fff
	v_cndmask_b32_e64 v11, v26, v27, s4
	v_or_b32_e32 v26, 0x400000, v10
	v_cmp_u_f32_e64 s4, v10, v10
	v_lshrrev_b32_e32 v30, 16, v11
	v_bfe_u32 v11, v10, 16, 1
	v_add3_u32 v11, v11, v10, 0x7fff
	v_cndmask_b32_e64 v10, v11, v26, s4
	v_lshrrev_b32_e32 v31, 16, v10
	v_mul_f32_e32 v10, v46, v33
	v_bfe_u32 v11, v10, 16, 1
	v_or_b32_e32 v26, 0x400000, v10
	v_cmp_u_f32_e64 s4, v10, v10
	v_add3_u32 v11, v11, v10, 0x7fff
	v_cndmask_b32_e64 v10, v11, v26, s4
	v_lshrrev_b32_e32 v53, 16, v10
	v_mul_f32_e32 v10, v46, v32
	v_bfe_u32 v11, v10, 16, 1
	v_or_b32_e32 v26, 0x400000, v10
	v_cmp_u_f32_e64 s4, v10, v10
	v_add3_u32 v11, v11, v10, 0x7fff
	v_cndmask_b32_e64 v10, v11, v26, s4
	v_lshrrev_b32_e32 v32, 16, v10
	s_and_saveexec_b32 s20, vcc_lo
	s_cbranch_execz .LBB329_1470
; %bb.1469:                             ;   in Loop: Header=BB329_809 Depth=1
	v_cmp_lt_i32_e64 s4, v47, v82
	v_cndmask_b32_e64 v31, 0, v31, s4
	v_cmp_lt_i32_e64 s4, v62, v82
	v_cndmask_b32_e64 v30, 0, v30, s4
	;; [unrolled: 2-line block ×8, first 2 shown]
.LBB329_1470:                           ;   in Loop: Header=BB329_809 Depth=1
	s_or_b32 exec_lo, exec_lo, s20
	flat_load_dwordx2 v[26:27], v[24:25] offset:512
	v_mov_b32_e32 v37, 0
	v_mov_b32_e32 v10, 0
	s_waitcnt vmcnt(0) lgkmcnt(0)
	v_cmp_ne_u16_sdwa s4, v26, v12 src0_sel:BYTE_0 src1_sel:DWORD
	s_and_saveexec_b32 s20, s4
	s_cbranch_execz .LBB329_1478
; %bb.1471:                             ;   in Loop: Header=BB329_809 Depth=1
	v_cmp_ne_u16_sdwa s4, v26, v55 src0_sel:BYTE_0 src1_sel:DWORD
	v_bfrev_b32_e32 v10, 1
	s_and_saveexec_b32 s21, s4
	s_cbranch_execz .LBB329_1477
; %bb.1472:                             ;   in Loop: Header=BB329_809 Depth=1
	v_and_b32_e32 v11, 0x7f, v26
	v_mov_b32_e32 v10, 0x7f800001
	s_mov_b32 s22, exec_lo
	v_cmpx_ne_u32_e32 0x7f, v11
	s_cbranch_execz .LBB329_1476
; %bb.1473:                             ;   in Loop: Header=BB329_809 Depth=1
	v_lshrrev_b32_e32 v28, 3, v11
	v_cmp_gt_u32_e64 s4, 8, v11
	v_mov_b32_e32 v10, v26
	v_mov_b32_e32 v11, v27
	s_and_saveexec_b32 s23, s4
; %bb.1474:                             ;   in Loop: Header=BB329_809 Depth=1
	v_and_b32_e32 v10, 7, v26
	v_ffbh_u32_e32 v10, v10
	v_min_u32_e32 v28, 32, v10
	v_subrev_nc_u32_e32 v10, 28, v28
	v_sub_nc_u32_e32 v28, 29, v28
	v_lshlrev_b64 v[10:11], v10, v[26:27]
; %bb.1475:                             ;   in Loop: Header=BB329_809 Depth=1
	s_or_b32 exec_lo, exec_lo, s23
	v_lshlrev_b32_e32 v10, 20, v10
	v_lshlrev_b32_e32 v11, 24, v26
	v_lshl_add_u32 v28, v28, 23, 0x3c000000
	v_and_b32_e32 v10, 0x700000, v10
	v_and_b32_e32 v11, 0x80000000, v11
	v_or3_b32 v10, v10, v11, v28
.LBB329_1476:                           ;   in Loop: Header=BB329_809 Depth=1
	s_or_b32 exec_lo, exec_lo, s22
.LBB329_1477:                           ;   in Loop: Header=BB329_809 Depth=1
	s_or_b32 exec_lo, exec_lo, s21
.LBB329_1478:                           ;   in Loop: Header=BB329_809 Depth=1
	s_or_b32 exec_lo, exec_lo, s20
	v_cmp_ne_u16_sdwa s4, v26, v12 src0_sel:BYTE_1 src1_sel:DWORD
	s_and_saveexec_b32 s20, s4
	s_cbranch_execz .LBB329_1486
; %bb.1479:                             ;   in Loop: Header=BB329_809 Depth=1
	v_cmp_ne_u16_sdwa s4, v26, v55 src0_sel:BYTE_1 src1_sel:DWORD
	v_bfrev_b32_e32 v37, 1
	s_and_saveexec_b32 s21, s4
	s_cbranch_execz .LBB329_1485
; %bb.1480:                             ;   in Loop: Header=BB329_809 Depth=1
	v_mov_b32_e32 v11, 0xffff
	v_mov_b32_e32 v37, 0x7f800001
	s_mov_b32 s22, exec_lo
	v_and_b32_sdwa v11, v11, v26 dst_sel:DWORD dst_unused:UNUSED_PAD src0_sel:DWORD src1_sel:BYTE_1
	v_and_b32_e32 v28, 0x7f, v11
	v_cmpx_ne_u32_e32 0x7f, v28
	s_cbranch_execz .LBB329_1484
; %bb.1481:                             ;   in Loop: Header=BB329_809 Depth=1
	v_and_b32_e32 v11, 7, v11
	v_lshrrev_b32_e32 v33, 3, v28
	v_cmp_gt_u32_e64 s4, 8, v28
	v_mov_b32_e32 v29, v12
	v_mov_b32_e32 v28, v11
	s_and_saveexec_b32 s23, s4
; %bb.1482:                             ;   in Loop: Header=BB329_809 Depth=1
	v_ffbh_u32_e32 v28, v11
	v_min_u32_e32 v33, 32, v28
	v_subrev_nc_u32_e32 v28, 28, v33
	v_sub_nc_u32_e32 v33, 29, v33
	v_lshlrev_b64 v[28:29], v28, v[11:12]
	v_and_b32_e32 v28, 7, v28
; %bb.1483:                             ;   in Loop: Header=BB329_809 Depth=1
	s_or_b32 exec_lo, exec_lo, s23
	v_lshlrev_b32_e32 v11, 16, v26
	v_lshlrev_b32_e32 v28, 20, v28
	v_lshl_add_u32 v29, v33, 23, 0x3c000000
	v_and_b32_e32 v11, 0x80000000, v11
	v_or3_b32 v37, v28, v11, v29
.LBB329_1484:                           ;   in Loop: Header=BB329_809 Depth=1
	s_or_b32 exec_lo, exec_lo, s22
.LBB329_1485:                           ;   in Loop: Header=BB329_809 Depth=1
	s_or_b32 exec_lo, exec_lo, s21
.LBB329_1486:                           ;   in Loop: Header=BB329_809 Depth=1
	s_or_b32 exec_lo, exec_lo, s20
	v_and_b32_sdwa v11, v26, v65 dst_sel:DWORD dst_unused:UNUSED_PAD src0_sel:WORD_1 src1_sel:DWORD
	v_mov_b32_e32 v35, 0
	v_mov_b32_e32 v36, 0
	s_mov_b32 s20, exec_lo
	v_cmpx_ne_u16_e32 0, v11
	s_cbranch_execz .LBB329_1494
; %bb.1487:                             ;   in Loop: Header=BB329_809 Depth=1
	v_bfrev_b32_e32 v36, 1
	s_mov_b32 s21, exec_lo
	v_cmpx_ne_u16_e32 0x80, v11
	s_cbranch_execz .LBB329_1493
; %bb.1488:                             ;   in Loop: Header=BB329_809 Depth=1
	v_bfe_u32 v28, v26, 16, 7
	v_mov_b32_e32 v36, 0x7f800001
	s_mov_b32 s22, exec_lo
	v_cmpx_ne_u32_e32 0x7f, v28
	s_cbranch_execz .LBB329_1492
; %bb.1489:                             ;   in Loop: Header=BB329_809 Depth=1
	v_mov_b32_e32 v11, 7
	v_lshrrev_b32_e32 v33, 3, v28
	v_cmp_gt_u32_e64 s4, 8, v28
	v_and_b32_sdwa v11, v26, v11 dst_sel:DWORD dst_unused:UNUSED_PAD src0_sel:WORD_1 src1_sel:DWORD
	v_mov_b32_e32 v29, v12
	v_mov_b32_e32 v28, v11
	s_and_saveexec_b32 s23, s4
; %bb.1490:                             ;   in Loop: Header=BB329_809 Depth=1
	v_ffbh_u32_e32 v28, v11
	v_min_u32_e32 v33, 32, v28
	v_subrev_nc_u32_e32 v28, 28, v33
	v_sub_nc_u32_e32 v33, 29, v33
	v_lshlrev_b64 v[28:29], v28, v[11:12]
	v_and_b32_e32 v28, 7, v28
; %bb.1491:                             ;   in Loop: Header=BB329_809 Depth=1
	s_or_b32 exec_lo, exec_lo, s23
	v_mov_b32_e32 v11, 24
	v_lshlrev_b32_e32 v28, 20, v28
	v_lshl_add_u32 v29, v33, 23, 0x3c000000
	v_lshlrev_b32_sdwa v11, v11, v26 dst_sel:DWORD dst_unused:UNUSED_PAD src0_sel:DWORD src1_sel:WORD_1
	v_and_b32_e32 v11, 0x80000000, v11
	v_or3_b32 v36, v28, v11, v29
.LBB329_1492:                           ;   in Loop: Header=BB329_809 Depth=1
	s_or_b32 exec_lo, exec_lo, s22
.LBB329_1493:                           ;   in Loop: Header=BB329_809 Depth=1
	s_or_b32 exec_lo, exec_lo, s21
.LBB329_1494:                           ;   in Loop: Header=BB329_809 Depth=1
	s_or_b32 exec_lo, exec_lo, s20
	s_mov_b32 s20, exec_lo
	v_cmpx_lt_u32_e32 0xffffff, v26
	s_cbranch_execz .LBB329_1502
; %bb.1495:                             ;   in Loop: Header=BB329_809 Depth=1
	v_cmp_ne_u32_sdwa s4, v26, v55 src0_sel:BYTE_3 src1_sel:DWORD
	v_bfrev_b32_e32 v35, 1
	s_and_saveexec_b32 s21, s4
	s_cbranch_execz .LBB329_1501
; %bb.1496:                             ;   in Loop: Header=BB329_809 Depth=1
	v_bfe_u32 v28, v26, 24, 7
	v_mov_b32_e32 v35, 0x7f800001
	s_mov_b32 s22, exec_lo
	v_cmpx_ne_u32_e32 0x7f, v28
	s_cbranch_execz .LBB329_1500
; %bb.1497:                             ;   in Loop: Header=BB329_809 Depth=1
	v_mov_b32_e32 v11, 7
	v_lshrrev_b32_e32 v33, 3, v28
	v_cmp_gt_u32_e64 s4, 8, v28
	v_and_b32_sdwa v11, v26, v11 dst_sel:DWORD dst_unused:UNUSED_PAD src0_sel:BYTE_3 src1_sel:DWORD
	v_mov_b32_e32 v29, v12
	v_mov_b32_e32 v28, v11
	s_and_saveexec_b32 s23, s4
; %bb.1498:                             ;   in Loop: Header=BB329_809 Depth=1
	v_ffbh_u32_e32 v28, v11
	v_min_u32_e32 v33, 32, v28
	v_subrev_nc_u32_e32 v28, 28, v33
	v_sub_nc_u32_e32 v33, 29, v33
	v_lshlrev_b64 v[28:29], v28, v[11:12]
	v_and_b32_e32 v28, 7, v28
; %bb.1499:                             ;   in Loop: Header=BB329_809 Depth=1
	s_or_b32 exec_lo, exec_lo, s23
	v_mov_b32_e32 v11, 24
	v_lshlrev_b32_e32 v28, 20, v28
	v_lshl_add_u32 v29, v33, 23, 0x3c000000
	v_lshlrev_b32_sdwa v11, v11, v26 dst_sel:DWORD dst_unused:UNUSED_PAD src0_sel:DWORD src1_sel:BYTE_3
	v_and_b32_e32 v11, 0x80000000, v11
	v_or3_b32 v35, v28, v11, v29
.LBB329_1500:                           ;   in Loop: Header=BB329_809 Depth=1
	s_or_b32 exec_lo, exec_lo, s22
.LBB329_1501:                           ;   in Loop: Header=BB329_809 Depth=1
	s_or_b32 exec_lo, exec_lo, s21
.LBB329_1502:                           ;   in Loop: Header=BB329_809 Depth=1
	s_or_b32 exec_lo, exec_lo, s20
	v_mov_b32_e32 v11, v27
	v_cmp_ne_u16_sdwa s4, v27, v12 src0_sel:BYTE_0 src1_sel:DWORD
	v_mov_b32_e32 v33, 0
	v_mov_b32_e32 v34, 0
	s_and_saveexec_b32 s20, s4
	s_cbranch_execz .LBB329_1510
; %bb.1503:                             ;   in Loop: Header=BB329_809 Depth=1
	v_cmp_ne_u16_sdwa s4, v27, v55 src0_sel:BYTE_0 src1_sel:DWORD
	v_bfrev_b32_e32 v34, 1
	s_and_saveexec_b32 s21, s4
	s_cbranch_execz .LBB329_1509
; %bb.1504:                             ;   in Loop: Header=BB329_809 Depth=1
	v_and_b32_e32 v28, 0x7f, v27
	v_mov_b32_e32 v34, 0x7f800001
	s_mov_b32 s22, exec_lo
	v_cmpx_ne_u32_e32 0x7f, v28
	s_cbranch_execz .LBB329_1508
; %bb.1505:                             ;   in Loop: Header=BB329_809 Depth=1
	v_lshrrev_b32_e32 v34, 3, v28
	v_cmp_gt_u32_e64 s4, 8, v28
	v_mov_b32_e32 v29, v12
	v_mov_b32_e32 v28, v11
	s_and_saveexec_b32 s23, s4
; %bb.1506:                             ;   in Loop: Header=BB329_809 Depth=1
	v_and_b32_e32 v28, 7, v27
	v_ffbh_u32_e32 v28, v28
	v_min_u32_e32 v34, 32, v28
	v_subrev_nc_u32_e32 v28, 28, v34
	v_sub_nc_u32_e32 v34, 29, v34
	v_lshlrev_b64 v[28:29], v28, v[11:12]
; %bb.1507:                             ;   in Loop: Header=BB329_809 Depth=1
	s_or_b32 exec_lo, exec_lo, s23
	v_lshlrev_b32_e32 v28, 20, v28
	v_lshlrev_b32_e32 v29, 24, v11
	v_lshl_add_u32 v34, v34, 23, 0x3c000000
	v_and_b32_e32 v28, 0x700000, v28
	v_and_b32_e32 v29, 0x80000000, v29
	v_or3_b32 v34, v28, v29, v34
.LBB329_1508:                           ;   in Loop: Header=BB329_809 Depth=1
	s_or_b32 exec_lo, exec_lo, s22
.LBB329_1509:                           ;   in Loop: Header=BB329_809 Depth=1
	s_or_b32 exec_lo, exec_lo, s21
.LBB329_1510:                           ;   in Loop: Header=BB329_809 Depth=1
	s_or_b32 exec_lo, exec_lo, s20
	v_cmp_ne_u16_sdwa s4, v11, v12 src0_sel:BYTE_1 src1_sel:DWORD
	s_and_saveexec_b32 s20, s4
	s_cbranch_execz .LBB329_1518
; %bb.1511:                             ;   in Loop: Header=BB329_809 Depth=1
	v_cmp_ne_u16_sdwa s4, v11, v55 src0_sel:BYTE_1 src1_sel:DWORD
	v_bfrev_b32_e32 v33, 1
	s_and_saveexec_b32 s21, s4
	s_cbranch_execz .LBB329_1517
; %bb.1512:                             ;   in Loop: Header=BB329_809 Depth=1
	v_mov_b32_e32 v28, 0xffff
	v_mov_b32_e32 v33, 0x7f800001
	s_mov_b32 s22, exec_lo
	v_and_b32_sdwa v28, v28, v11 dst_sel:DWORD dst_unused:UNUSED_PAD src0_sel:DWORD src1_sel:BYTE_1
	v_and_b32_e32 v38, 0x7f, v28
	v_cmpx_ne_u32_e32 0x7f, v38
	s_cbranch_execz .LBB329_1516
; %bb.1513:                             ;   in Loop: Header=BB329_809 Depth=1
	v_and_b32_e32 v28, 7, v28
	v_mov_b32_e32 v29, v12
	v_lshrrev_b32_e32 v33, 3, v38
	s_mov_b32 s23, exec_lo
	v_cmpx_gt_u32_e32 8, v38
; %bb.1514:                             ;   in Loop: Header=BB329_809 Depth=1
	v_ffbh_u32_e32 v33, v28
	v_min_u32_e32 v33, 32, v33
	v_subrev_nc_u32_e32 v38, 28, v33
	v_sub_nc_u32_e32 v33, 29, v33
	v_lshlrev_b64 v[28:29], v38, v[28:29]
	v_and_b32_e32 v28, 7, v28
; %bb.1515:                             ;   in Loop: Header=BB329_809 Depth=1
	s_or_b32 exec_lo, exec_lo, s23
	v_lshlrev_b32_e32 v11, 16, v11
	v_lshlrev_b32_e32 v28, 20, v28
	v_lshl_add_u32 v29, v33, 23, 0x3c000000
	v_and_b32_e32 v11, 0x80000000, v11
	v_or3_b32 v33, v28, v11, v29
.LBB329_1516:                           ;   in Loop: Header=BB329_809 Depth=1
	s_or_b32 exec_lo, exec_lo, s22
.LBB329_1517:                           ;   in Loop: Header=BB329_809 Depth=1
	s_or_b32 exec_lo, exec_lo, s21
.LBB329_1518:                           ;   in Loop: Header=BB329_809 Depth=1
	s_or_b32 exec_lo, exec_lo, s20
	v_and_b32_sdwa v11, v27, v65 dst_sel:DWORD dst_unused:UNUSED_PAD src0_sel:WORD_1 src1_sel:DWORD
	v_mov_b32_e32 v49, 0
	v_mov_b32_e32 v50, 0
	s_mov_b32 s20, exec_lo
	v_cmpx_ne_u16_e32 0, v11
	s_cbranch_execz .LBB329_1526
; %bb.1519:                             ;   in Loop: Header=BB329_809 Depth=1
	v_bfrev_b32_e32 v50, 1
	s_mov_b32 s21, exec_lo
	v_cmpx_ne_u16_e32 0x80, v11
	s_cbranch_execz .LBB329_1525
; %bb.1520:                             ;   in Loop: Header=BB329_809 Depth=1
	v_bfe_u32 v28, v27, 16, 7
	v_mov_b32_e32 v50, 0x7f800001
	s_mov_b32 s22, exec_lo
	v_cmpx_ne_u32_e32 0x7f, v28
	s_cbranch_execz .LBB329_1524
; %bb.1521:                             ;   in Loop: Header=BB329_809 Depth=1
	v_mov_b32_e32 v11, 7
	v_lshrrev_b32_e32 v38, 3, v28
	v_cmp_gt_u32_e64 s4, 8, v28
	v_and_b32_sdwa v11, v27, v11 dst_sel:DWORD dst_unused:UNUSED_PAD src0_sel:WORD_1 src1_sel:DWORD
	v_mov_b32_e32 v29, v12
	v_mov_b32_e32 v28, v11
	s_and_saveexec_b32 s23, s4
; %bb.1522:                             ;   in Loop: Header=BB329_809 Depth=1
	v_ffbh_u32_e32 v28, v11
	v_min_u32_e32 v38, 32, v28
	v_subrev_nc_u32_e32 v28, 28, v38
	v_sub_nc_u32_e32 v38, 29, v38
	v_lshlrev_b64 v[28:29], v28, v[11:12]
	v_and_b32_e32 v28, 7, v28
; %bb.1523:                             ;   in Loop: Header=BB329_809 Depth=1
	s_or_b32 exec_lo, exec_lo, s23
	v_mov_b32_e32 v11, 24
	v_lshlrev_b32_e32 v28, 20, v28
	v_lshl_add_u32 v29, v38, 23, 0x3c000000
	v_lshlrev_b32_sdwa v11, v11, v27 dst_sel:DWORD dst_unused:UNUSED_PAD src0_sel:DWORD src1_sel:WORD_1
	v_and_b32_e32 v11, 0x80000000, v11
	v_or3_b32 v50, v28, v11, v29
.LBB329_1524:                           ;   in Loop: Header=BB329_809 Depth=1
	s_or_b32 exec_lo, exec_lo, s22
.LBB329_1525:                           ;   in Loop: Header=BB329_809 Depth=1
	s_or_b32 exec_lo, exec_lo, s21
.LBB329_1526:                           ;   in Loop: Header=BB329_809 Depth=1
	s_or_b32 exec_lo, exec_lo, s20
	s_mov_b32 s20, exec_lo
	v_cmpx_lt_u64_e64 s[6:7], v[26:27]
	s_cbranch_execz .LBB329_1534
; %bb.1527:                             ;   in Loop: Header=BB329_809 Depth=1
	v_cmp_ne_u32_sdwa s4, v27, v55 src0_sel:BYTE_3 src1_sel:DWORD
	v_bfrev_b32_e32 v49, 1
	s_and_saveexec_b32 s21, s4
	s_cbranch_execz .LBB329_1533
; %bb.1528:                             ;   in Loop: Header=BB329_809 Depth=1
	v_bfe_u32 v28, v27, 24, 7
	v_mov_b32_e32 v49, 0x7f800001
	s_mov_b32 s22, exec_lo
	v_cmpx_ne_u32_e32 0x7f, v28
	s_cbranch_execz .LBB329_1532
; %bb.1529:                             ;   in Loop: Header=BB329_809 Depth=1
	v_mov_b32_e32 v11, 7
	v_lshrrev_b32_e32 v26, 3, v28
	v_cmp_gt_u32_e64 s4, 8, v28
	v_and_b32_sdwa v11, v27, v11 dst_sel:DWORD dst_unused:UNUSED_PAD src0_sel:BYTE_3 src1_sel:DWORD
	v_mov_b32_e32 v29, v12
	v_mov_b32_e32 v28, v11
	s_and_saveexec_b32 s23, s4
; %bb.1530:                             ;   in Loop: Header=BB329_809 Depth=1
	v_ffbh_u32_e32 v26, v11
	v_min_u32_e32 v26, 32, v26
	v_subrev_nc_u32_e32 v28, 28, v26
	v_sub_nc_u32_e32 v26, 29, v26
	v_lshlrev_b64 v[28:29], v28, v[11:12]
	v_and_b32_e32 v28, 7, v28
; %bb.1531:                             ;   in Loop: Header=BB329_809 Depth=1
	s_or_b32 exec_lo, exec_lo, s23
	v_mov_b32_e32 v11, 24
	v_lshl_add_u32 v26, v26, 23, 0x3c000000
	v_lshlrev_b32_sdwa v11, v11, v27 dst_sel:DWORD dst_unused:UNUSED_PAD src0_sel:DWORD src1_sel:BYTE_3
	v_lshlrev_b32_e32 v27, 20, v28
	v_and_b32_e32 v11, 0x80000000, v11
	v_or3_b32 v49, v27, v11, v26
.LBB329_1532:                           ;   in Loop: Header=BB329_809 Depth=1
	s_or_b32 exec_lo, exec_lo, s22
.LBB329_1533:                           ;   in Loop: Header=BB329_809 Depth=1
	s_or_b32 exec_lo, exec_lo, s21
.LBB329_1534:                           ;   in Loop: Header=BB329_809 Depth=1
	s_or_b32 exec_lo, exec_lo, s20
	v_mul_f32_e32 v11, v46, v33
	v_mul_f32_e32 v10, v46, v10
	v_bfe_u32 v26, v11, 16, 1
	v_or_b32_e32 v27, 0x400000, v11
	v_cmp_u_f32_e64 s4, v11, v11
	v_add3_u32 v26, v26, v11, 0x7fff
	v_cndmask_b32_e64 v11, v26, v27, s4
	v_lshrrev_b32_e32 v33, 16, v11
	v_mul_f32_e32 v11, v46, v34
	v_bfe_u32 v26, v11, 16, 1
	v_or_b32_e32 v27, 0x400000, v11
	v_cmp_u_f32_e64 s4, v11, v11
	v_add3_u32 v26, v26, v11, 0x7fff
	v_cndmask_b32_e64 v11, v26, v27, s4
	v_lshrrev_b32_e32 v34, 16, v11
	;; [unrolled: 7-line block ×4, first 2 shown]
	v_mul_f32_e32 v11, v46, v37
	v_bfe_u32 v26, v11, 16, 1
	v_or_b32_e32 v27, 0x400000, v11
	v_cmp_u_f32_e64 s4, v11, v11
	v_add3_u32 v26, v26, v11, 0x7fff
	v_cndmask_b32_e64 v11, v26, v27, s4
	v_or_b32_e32 v26, 0x400000, v10
	v_cmp_u_f32_e64 s4, v10, v10
	v_lshrrev_b32_e32 v38, 16, v11
	v_bfe_u32 v11, v10, 16, 1
	v_add3_u32 v11, v11, v10, 0x7fff
	v_cndmask_b32_e64 v10, v11, v26, s4
	v_lshrrev_b32_e32 v48, 16, v10
	v_mul_f32_e32 v10, v46, v50
	v_bfe_u32 v11, v10, 16, 1
	v_or_b32_e32 v26, 0x400000, v10
	v_cmp_u_f32_e64 s4, v10, v10
	v_add3_u32 v11, v11, v10, 0x7fff
	v_cndmask_b32_e64 v10, v11, v26, s4
	v_lshrrev_b32_e32 v37, 16, v10
	v_mul_f32_e32 v10, v46, v49
	v_bfe_u32 v11, v10, 16, 1
	v_or_b32_e32 v26, 0x400000, v10
	v_cmp_u_f32_e64 s4, v10, v10
	v_add3_u32 v11, v11, v10, 0x7fff
	v_cndmask_b32_e64 v10, v11, v26, s4
	v_lshrrev_b32_e32 v49, 16, v10
	s_and_saveexec_b32 s20, vcc_lo
	s_cbranch_execz .LBB329_1536
; %bb.1535:                             ;   in Loop: Header=BB329_809 Depth=1
	v_cmp_lt_i32_e64 s4, v47, v82
	v_cndmask_b32_e64 v48, 0, v48, s4
	v_cmp_lt_i32_e64 s4, v62, v82
	v_cndmask_b32_e64 v38, 0, v38, s4
	;; [unrolled: 2-line block ×8, first 2 shown]
.LBB329_1536:                           ;   in Loop: Header=BB329_809 Depth=1
	s_or_b32 exec_lo, exec_lo, s20
	flat_load_dwordx2 v[24:25], v[24:25] offset:768
	v_mov_b32_e32 v28, 0
	v_mov_b32_e32 v29, 0
	s_waitcnt vmcnt(0) lgkmcnt(0)
	v_cmp_ne_u16_sdwa s4, v24, v12 src0_sel:BYTE_0 src1_sel:DWORD
	s_and_saveexec_b32 s20, s4
	s_cbranch_execz .LBB329_1544
; %bb.1537:                             ;   in Loop: Header=BB329_809 Depth=1
	v_cmp_ne_u16_sdwa s4, v24, v55 src0_sel:BYTE_0 src1_sel:DWORD
	v_bfrev_b32_e32 v29, 1
	s_and_saveexec_b32 s21, s4
	s_cbranch_execz .LBB329_1543
; %bb.1538:                             ;   in Loop: Header=BB329_809 Depth=1
	v_and_b32_e32 v10, 0x7f, v24
	v_mov_b32_e32 v29, 0x7f800001
	s_mov_b32 s22, exec_lo
	v_cmpx_ne_u32_e32 0x7f, v10
	s_cbranch_execz .LBB329_1542
; %bb.1539:                             ;   in Loop: Header=BB329_809 Depth=1
	v_lshrrev_b32_e32 v26, 3, v10
	v_cmp_gt_u32_e64 s4, 8, v10
	v_mov_b32_e32 v10, v24
	v_mov_b32_e32 v11, v25
	s_and_saveexec_b32 s23, s4
; %bb.1540:                             ;   in Loop: Header=BB329_809 Depth=1
	v_and_b32_e32 v10, 7, v24
	v_ffbh_u32_e32 v10, v10
	v_min_u32_e32 v26, 32, v10
	v_subrev_nc_u32_e32 v10, 28, v26
	v_sub_nc_u32_e32 v26, 29, v26
	v_lshlrev_b64 v[10:11], v10, v[24:25]
; %bb.1541:                             ;   in Loop: Header=BB329_809 Depth=1
	s_or_b32 exec_lo, exec_lo, s23
	v_lshlrev_b32_e32 v10, 20, v10
	v_lshlrev_b32_e32 v11, 24, v24
	v_lshl_add_u32 v26, v26, 23, 0x3c000000
	v_and_b32_e32 v10, 0x700000, v10
	v_and_b32_e32 v11, 0x80000000, v11
	v_or3_b32 v29, v10, v11, v26
.LBB329_1542:                           ;   in Loop: Header=BB329_809 Depth=1
	s_or_b32 exec_lo, exec_lo, s22
.LBB329_1543:                           ;   in Loop: Header=BB329_809 Depth=1
	s_or_b32 exec_lo, exec_lo, s21
.LBB329_1544:                           ;   in Loop: Header=BB329_809 Depth=1
	s_or_b32 exec_lo, exec_lo, s20
	v_cmp_ne_u16_sdwa s4, v24, v12 src0_sel:BYTE_1 src1_sel:DWORD
	s_and_saveexec_b32 s20, s4
	s_cbranch_execz .LBB329_1552
; %bb.1545:                             ;   in Loop: Header=BB329_809 Depth=1
	v_cmp_ne_u16_sdwa s4, v24, v55 src0_sel:BYTE_1 src1_sel:DWORD
	v_bfrev_b32_e32 v28, 1
	s_and_saveexec_b32 s21, s4
	s_cbranch_execz .LBB329_1551
; %bb.1546:                             ;   in Loop: Header=BB329_809 Depth=1
	v_mov_b32_e32 v10, 0xffff
	v_mov_b32_e32 v28, 0x7f800001
	s_mov_b32 s22, exec_lo
	v_and_b32_sdwa v10, v10, v24 dst_sel:DWORD dst_unused:UNUSED_PAD src0_sel:DWORD src1_sel:BYTE_1
	v_and_b32_e32 v26, 0x7f, v10
	v_cmpx_ne_u32_e32 0x7f, v26
	s_cbranch_execz .LBB329_1550
; %bb.1547:                             ;   in Loop: Header=BB329_809 Depth=1
	v_and_b32_e32 v11, 7, v10
	v_lshrrev_b32_e32 v10, 3, v26
	v_cmp_gt_u32_e64 s4, 8, v26
	v_mov_b32_e32 v27, v12
	v_mov_b32_e32 v26, v11
	s_and_saveexec_b32 s23, s4
; %bb.1548:                             ;   in Loop: Header=BB329_809 Depth=1
	v_ffbh_u32_e32 v10, v11
	v_min_u32_e32 v10, 32, v10
	v_subrev_nc_u32_e32 v26, 28, v10
	v_sub_nc_u32_e32 v10, 29, v10
	v_lshlrev_b64 v[26:27], v26, v[11:12]
	v_and_b32_e32 v26, 7, v26
; %bb.1549:                             ;   in Loop: Header=BB329_809 Depth=1
	s_or_b32 exec_lo, exec_lo, s23
	v_lshlrev_b32_e32 v11, 16, v24
	v_lshlrev_b32_e32 v26, 20, v26
	v_lshl_add_u32 v10, v10, 23, 0x3c000000
	v_and_b32_e32 v11, 0x80000000, v11
	v_or3_b32 v28, v26, v11, v10
.LBB329_1550:                           ;   in Loop: Header=BB329_809 Depth=1
	s_or_b32 exec_lo, exec_lo, s22
.LBB329_1551:                           ;   in Loop: Header=BB329_809 Depth=1
	s_or_b32 exec_lo, exec_lo, s21
.LBB329_1552:                           ;   in Loop: Header=BB329_809 Depth=1
	s_or_b32 exec_lo, exec_lo, s20
	v_and_b32_sdwa v10, v24, v65 dst_sel:DWORD dst_unused:UNUSED_PAD src0_sel:WORD_1 src1_sel:DWORD
	v_mov_b32_e32 v64, 0
	v_mov_b32_e32 v50, 0
	s_mov_b32 s20, exec_lo
	v_cmpx_ne_u16_e32 0, v10
	s_cbranch_execz .LBB329_1560
; %bb.1553:                             ;   in Loop: Header=BB329_809 Depth=1
	v_bfrev_b32_e32 v50, 1
	s_mov_b32 s21, exec_lo
	v_cmpx_ne_u16_e32 0x80, v10
	s_cbranch_execz .LBB329_1559
; %bb.1554:                             ;   in Loop: Header=BB329_809 Depth=1
	v_bfe_u32 v26, v24, 16, 7
	v_mov_b32_e32 v50, 0x7f800001
	s_mov_b32 s22, exec_lo
	v_cmpx_ne_u32_e32 0x7f, v26
	s_cbranch_execz .LBB329_1558
; %bb.1555:                             ;   in Loop: Header=BB329_809 Depth=1
	v_mov_b32_e32 v10, 7
	v_cmp_gt_u32_e64 s4, 8, v26
	v_and_b32_sdwa v11, v24, v10 dst_sel:DWORD dst_unused:UNUSED_PAD src0_sel:WORD_1 src1_sel:DWORD
	v_lshrrev_b32_e32 v10, 3, v26
	v_mov_b32_e32 v27, v12
	v_mov_b32_e32 v26, v11
	s_and_saveexec_b32 s23, s4
; %bb.1556:                             ;   in Loop: Header=BB329_809 Depth=1
	v_ffbh_u32_e32 v10, v11
	v_min_u32_e32 v10, 32, v10
	v_subrev_nc_u32_e32 v26, 28, v10
	v_sub_nc_u32_e32 v10, 29, v10
	v_lshlrev_b64 v[26:27], v26, v[11:12]
	v_and_b32_e32 v26, 7, v26
; %bb.1557:                             ;   in Loop: Header=BB329_809 Depth=1
	s_or_b32 exec_lo, exec_lo, s23
	v_mov_b32_e32 v11, 24
	v_lshlrev_b32_e32 v26, 20, v26
	v_lshl_add_u32 v10, v10, 23, 0x3c000000
	v_lshlrev_b32_sdwa v11, v11, v24 dst_sel:DWORD dst_unused:UNUSED_PAD src0_sel:DWORD src1_sel:WORD_1
	v_and_b32_e32 v11, 0x80000000, v11
	v_or3_b32 v50, v26, v11, v10
.LBB329_1558:                           ;   in Loop: Header=BB329_809 Depth=1
	s_or_b32 exec_lo, exec_lo, s22
.LBB329_1559:                           ;   in Loop: Header=BB329_809 Depth=1
	s_or_b32 exec_lo, exec_lo, s21
.LBB329_1560:                           ;   in Loop: Header=BB329_809 Depth=1
	s_or_b32 exec_lo, exec_lo, s20
	s_mov_b32 s20, exec_lo
	v_cmpx_lt_u32_e32 0xffffff, v24
	s_cbranch_execz .LBB329_1568
; %bb.1561:                             ;   in Loop: Header=BB329_809 Depth=1
	v_cmp_ne_u32_sdwa s4, v24, v55 src0_sel:BYTE_3 src1_sel:DWORD
	v_bfrev_b32_e32 v64, 1
	s_and_saveexec_b32 s21, s4
	s_cbranch_execz .LBB329_1567
; %bb.1562:                             ;   in Loop: Header=BB329_809 Depth=1
	v_bfe_u32 v26, v24, 24, 7
	v_mov_b32_e32 v64, 0x7f800001
	s_mov_b32 s22, exec_lo
	v_cmpx_ne_u32_e32 0x7f, v26
	s_cbranch_execz .LBB329_1566
; %bb.1563:                             ;   in Loop: Header=BB329_809 Depth=1
	v_mov_b32_e32 v10, 7
	v_cmp_gt_u32_e64 s4, 8, v26
	v_and_b32_sdwa v11, v24, v10 dst_sel:DWORD dst_unused:UNUSED_PAD src0_sel:BYTE_3 src1_sel:DWORD
	v_lshrrev_b32_e32 v10, 3, v26
	v_mov_b32_e32 v27, v12
	v_mov_b32_e32 v26, v11
	s_and_saveexec_b32 s23, s4
; %bb.1564:                             ;   in Loop: Header=BB329_809 Depth=1
	v_ffbh_u32_e32 v10, v11
	v_min_u32_e32 v10, 32, v10
	v_subrev_nc_u32_e32 v26, 28, v10
	v_sub_nc_u32_e32 v10, 29, v10
	v_lshlrev_b64 v[26:27], v26, v[11:12]
	v_and_b32_e32 v26, 7, v26
; %bb.1565:                             ;   in Loop: Header=BB329_809 Depth=1
	s_or_b32 exec_lo, exec_lo, s23
	v_mov_b32_e32 v11, 24
	v_lshlrev_b32_e32 v26, 20, v26
	v_lshl_add_u32 v10, v10, 23, 0x3c000000
	v_lshlrev_b32_sdwa v11, v11, v24 dst_sel:DWORD dst_unused:UNUSED_PAD src0_sel:DWORD src1_sel:BYTE_3
	v_and_b32_e32 v11, 0x80000000, v11
	v_or3_b32 v64, v26, v11, v10
.LBB329_1566:                           ;   in Loop: Header=BB329_809 Depth=1
	s_or_b32 exec_lo, exec_lo, s22
.LBB329_1567:                           ;   in Loop: Header=BB329_809 Depth=1
	s_or_b32 exec_lo, exec_lo, s21
.LBB329_1568:                           ;   in Loop: Header=BB329_809 Depth=1
	s_or_b32 exec_lo, exec_lo, s20
	v_mov_b32_e32 v11, v25
	v_cmp_ne_u16_sdwa s4, v25, v12 src0_sel:BYTE_0 src1_sel:DWORD
	v_mov_b32_e32 v10, 0
	v_mov_b32_e32 v69, 0
	s_and_saveexec_b32 s20, s4
	s_cbranch_execz .LBB329_1576
; %bb.1569:                             ;   in Loop: Header=BB329_809 Depth=1
	v_cmp_ne_u16_sdwa s4, v25, v55 src0_sel:BYTE_0 src1_sel:DWORD
	v_bfrev_b32_e32 v69, 1
	s_and_saveexec_b32 s21, s4
	s_cbranch_execz .LBB329_1575
; %bb.1570:                             ;   in Loop: Header=BB329_809 Depth=1
	v_and_b32_e32 v26, 0x7f, v25
	v_mov_b32_e32 v69, 0x7f800001
	s_mov_b32 s22, exec_lo
	v_cmpx_ne_u32_e32 0x7f, v26
	s_cbranch_execz .LBB329_1574
; %bb.1571:                             ;   in Loop: Header=BB329_809 Depth=1
	v_lshrrev_b32_e32 v66, 3, v26
	v_cmp_gt_u32_e64 s4, 8, v26
	v_mov_b32_e32 v27, v12
	v_mov_b32_e32 v26, v11
	s_and_saveexec_b32 s23, s4
; %bb.1572:                             ;   in Loop: Header=BB329_809 Depth=1
	v_and_b32_e32 v26, 7, v25
	v_ffbh_u32_e32 v26, v26
	v_min_u32_e32 v66, 32, v26
	v_subrev_nc_u32_e32 v26, 28, v66
	v_sub_nc_u32_e32 v66, 29, v66
	v_lshlrev_b64 v[26:27], v26, v[11:12]
; %bb.1573:                             ;   in Loop: Header=BB329_809 Depth=1
	s_or_b32 exec_lo, exec_lo, s23
	v_lshlrev_b32_e32 v26, 20, v26
	v_lshlrev_b32_e32 v27, 24, v11
	v_lshl_add_u32 v66, v66, 23, 0x3c000000
	v_and_b32_e32 v26, 0x700000, v26
	v_and_b32_e32 v27, 0x80000000, v27
	v_or3_b32 v69, v26, v27, v66
.LBB329_1574:                           ;   in Loop: Header=BB329_809 Depth=1
	s_or_b32 exec_lo, exec_lo, s22
.LBB329_1575:                           ;   in Loop: Header=BB329_809 Depth=1
	s_or_b32 exec_lo, exec_lo, s21
.LBB329_1576:                           ;   in Loop: Header=BB329_809 Depth=1
	s_or_b32 exec_lo, exec_lo, s20
	v_cmp_ne_u16_sdwa s4, v11, v12 src0_sel:BYTE_1 src1_sel:DWORD
	s_and_saveexec_b32 s20, s4
	s_cbranch_execz .LBB329_1584
; %bb.1577:                             ;   in Loop: Header=BB329_809 Depth=1
	v_cmp_ne_u16_sdwa s4, v11, v55 src0_sel:BYTE_1 src1_sel:DWORD
	v_bfrev_b32_e32 v10, 1
	s_and_saveexec_b32 s21, s4
	s_cbranch_execz .LBB329_1583
; %bb.1578:                             ;   in Loop: Header=BB329_809 Depth=1
	v_mov_b32_e32 v10, 0xffff
	s_mov_b32 s22, exec_lo
	v_and_b32_sdwa v26, v10, v11 dst_sel:DWORD dst_unused:UNUSED_PAD src0_sel:DWORD src1_sel:BYTE_1
	v_mov_b32_e32 v10, 0x7f800001
	v_and_b32_e32 v66, 0x7f, v26
	v_cmpx_ne_u32_e32 0x7f, v66
	s_cbranch_execz .LBB329_1582
; %bb.1579:                             ;   in Loop: Header=BB329_809 Depth=1
	v_and_b32_e32 v26, 7, v26
	v_mov_b32_e32 v27, v12
	v_lshrrev_b32_e32 v10, 3, v66
	s_mov_b32 s23, exec_lo
	v_cmpx_gt_u32_e32 8, v66
; %bb.1580:                             ;   in Loop: Header=BB329_809 Depth=1
	v_ffbh_u32_e32 v10, v26
	v_min_u32_e32 v10, 32, v10
	v_subrev_nc_u32_e32 v66, 28, v10
	v_sub_nc_u32_e32 v10, 29, v10
	v_lshlrev_b64 v[26:27], v66, v[26:27]
	v_and_b32_e32 v26, 7, v26
; %bb.1581:                             ;   in Loop: Header=BB329_809 Depth=1
	s_or_b32 exec_lo, exec_lo, s23
	v_lshlrev_b32_e32 v11, 16, v11
	v_lshlrev_b32_e32 v26, 20, v26
	v_lshl_add_u32 v10, v10, 23, 0x3c000000
	v_and_b32_e32 v11, 0x80000000, v11
	v_or3_b32 v10, v26, v11, v10
.LBB329_1582:                           ;   in Loop: Header=BB329_809 Depth=1
	s_or_b32 exec_lo, exec_lo, s22
.LBB329_1583:                           ;   in Loop: Header=BB329_809 Depth=1
	s_or_b32 exec_lo, exec_lo, s21
.LBB329_1584:                           ;   in Loop: Header=BB329_809 Depth=1
	s_or_b32 exec_lo, exec_lo, s20
	v_and_b32_sdwa v11, v25, v65 dst_sel:DWORD dst_unused:UNUSED_PAD src0_sel:WORD_1 src1_sel:DWORD
	v_mov_b32_e32 v66, 0
	v_mov_b32_e32 v67, 0
	s_mov_b32 s20, exec_lo
	v_cmpx_ne_u16_e32 0, v11
	s_cbranch_execz .LBB329_1592
; %bb.1585:                             ;   in Loop: Header=BB329_809 Depth=1
	v_bfrev_b32_e32 v67, 1
	s_mov_b32 s21, exec_lo
	v_cmpx_ne_u16_e32 0x80, v11
	s_cbranch_execz .LBB329_1591
; %bb.1586:                             ;   in Loop: Header=BB329_809 Depth=1
	v_bfe_u32 v26, v25, 16, 7
	v_mov_b32_e32 v67, 0x7f800001
	s_mov_b32 s22, exec_lo
	v_cmpx_ne_u32_e32 0x7f, v26
	s_cbranch_execz .LBB329_1590
; %bb.1587:                             ;   in Loop: Header=BB329_809 Depth=1
	v_mov_b32_e32 v11, 7
	v_lshrrev_b32_e32 v67, 3, v26
	v_cmp_gt_u32_e64 s4, 8, v26
	v_and_b32_sdwa v11, v25, v11 dst_sel:DWORD dst_unused:UNUSED_PAD src0_sel:WORD_1 src1_sel:DWORD
	v_mov_b32_e32 v27, v12
	v_mov_b32_e32 v26, v11
	s_and_saveexec_b32 s23, s4
; %bb.1588:                             ;   in Loop: Header=BB329_809 Depth=1
	v_ffbh_u32_e32 v26, v11
	v_min_u32_e32 v67, 32, v26
	v_subrev_nc_u32_e32 v26, 28, v67
	v_sub_nc_u32_e32 v67, 29, v67
	v_lshlrev_b64 v[26:27], v26, v[11:12]
	v_and_b32_e32 v26, 7, v26
; %bb.1589:                             ;   in Loop: Header=BB329_809 Depth=1
	s_or_b32 exec_lo, exec_lo, s23
	v_mov_b32_e32 v11, 24
	v_lshlrev_b32_e32 v26, 20, v26
	v_lshl_add_u32 v27, v67, 23, 0x3c000000
	v_lshlrev_b32_sdwa v11, v11, v25 dst_sel:DWORD dst_unused:UNUSED_PAD src0_sel:DWORD src1_sel:WORD_1
	v_and_b32_e32 v11, 0x80000000, v11
	v_or3_b32 v67, v26, v11, v27
.LBB329_1590:                           ;   in Loop: Header=BB329_809 Depth=1
	s_or_b32 exec_lo, exec_lo, s22
.LBB329_1591:                           ;   in Loop: Header=BB329_809 Depth=1
	s_or_b32 exec_lo, exec_lo, s21
.LBB329_1592:                           ;   in Loop: Header=BB329_809 Depth=1
	s_or_b32 exec_lo, exec_lo, s20
	s_mov_b32 s20, exec_lo
	v_cmpx_lt_u64_e64 s[6:7], v[24:25]
	s_cbranch_execz .LBB329_1600
; %bb.1593:                             ;   in Loop: Header=BB329_809 Depth=1
	v_cmp_ne_u32_sdwa s4, v25, v55 src0_sel:BYTE_3 src1_sel:DWORD
	v_bfrev_b32_e32 v66, 1
	s_and_saveexec_b32 s21, s4
	s_cbranch_execz .LBB329_1599
; %bb.1594:                             ;   in Loop: Header=BB329_809 Depth=1
	v_bfe_u32 v26, v25, 24, 7
	v_mov_b32_e32 v66, 0x7f800001
	s_mov_b32 s22, exec_lo
	v_cmpx_ne_u32_e32 0x7f, v26
	s_cbranch_execz .LBB329_1598
; %bb.1595:                             ;   in Loop: Header=BB329_809 Depth=1
	v_mov_b32_e32 v11, 7
	v_lshrrev_b32_e32 v24, 3, v26
	v_cmp_gt_u32_e64 s4, 8, v26
	v_and_b32_sdwa v11, v25, v11 dst_sel:DWORD dst_unused:UNUSED_PAD src0_sel:BYTE_3 src1_sel:DWORD
	v_mov_b32_e32 v27, v12
	v_mov_b32_e32 v26, v11
	s_and_saveexec_b32 s23, s4
; %bb.1596:                             ;   in Loop: Header=BB329_809 Depth=1
	v_ffbh_u32_e32 v24, v11
	v_min_u32_e32 v24, 32, v24
	v_subrev_nc_u32_e32 v26, 28, v24
	v_sub_nc_u32_e32 v24, 29, v24
	v_lshlrev_b64 v[26:27], v26, v[11:12]
	v_and_b32_e32 v26, 7, v26
; %bb.1597:                             ;   in Loop: Header=BB329_809 Depth=1
	s_or_b32 exec_lo, exec_lo, s23
	v_mov_b32_e32 v11, 24
	v_lshl_add_u32 v24, v24, 23, 0x3c000000
	v_lshlrev_b32_sdwa v11, v11, v25 dst_sel:DWORD dst_unused:UNUSED_PAD src0_sel:DWORD src1_sel:BYTE_3
	v_lshlrev_b32_e32 v25, 20, v26
	v_and_b32_e32 v11, 0x80000000, v11
	v_or3_b32 v66, v25, v11, v24
.LBB329_1598:                           ;   in Loop: Header=BB329_809 Depth=1
	s_or_b32 exec_lo, exec_lo, s22
.LBB329_1599:                           ;   in Loop: Header=BB329_809 Depth=1
	s_or_b32 exec_lo, exec_lo, s21
.LBB329_1600:                           ;   in Loop: Header=BB329_809 Depth=1
	s_or_b32 exec_lo, exec_lo, s20
	v_mul_f32_e32 v10, v46, v10
	v_bfe_u32 v11, v10, 16, 1
	v_or_b32_e32 v24, 0x400000, v10
	v_cmp_u_f32_e64 s4, v10, v10
	v_add3_u32 v11, v11, v10, 0x7fff
	v_cndmask_b32_e64 v10, v11, v24, s4
	v_mul_f32_e32 v11, v46, v69
	v_lshrrev_b32_e32 v10, 16, v10
	v_bfe_u32 v24, v11, 16, 1
	v_or_b32_e32 v25, 0x400000, v11
	v_cmp_u_f32_e64 s4, v11, v11
	v_add3_u32 v24, v24, v11, 0x7fff
	v_cndmask_b32_e64 v11, v24, v25, s4
	v_mul_f32_e32 v24, v46, v64
	v_lshrrev_b32_e32 v11, 16, v11
	v_bfe_u32 v25, v24, 16, 1
	v_or_b32_e32 v26, 0x400000, v24
	v_cmp_u_f32_e64 s4, v24, v24
	v_add3_u32 v25, v25, v24, 0x7fff
	v_cndmask_b32_e64 v24, v25, v26, s4
	v_mul_f32_e32 v25, v46, v50
	v_lshrrev_b32_e32 v24, 16, v24
	v_bfe_u32 v26, v25, 16, 1
	v_or_b32_e32 v27, 0x400000, v25
	v_cmp_u_f32_e64 s4, v25, v25
	v_add3_u32 v26, v26, v25, 0x7fff
	v_cndmask_b32_e64 v25, v26, v27, s4
	v_lshrrev_b32_e32 v26, 16, v25
	v_mul_f32_e32 v25, v46, v28
	v_bfe_u32 v27, v25, 16, 1
	v_or_b32_e32 v28, 0x400000, v25
	v_cmp_u_f32_e64 s4, v25, v25
	v_add3_u32 v27, v27, v25, 0x7fff
	v_cndmask_b32_e64 v25, v27, v28, s4
	v_lshrrev_b32_e32 v28, 16, v25
	v_mul_f32_e32 v25, v46, v29
	;; [unrolled: 7-line block ×3, first 2 shown]
	v_bfe_u32 v27, v25, 16, 1
	v_or_b32_e32 v50, 0x400000, v25
	v_cmp_u_f32_e64 s4, v25, v25
	v_add3_u32 v27, v27, v25, 0x7fff
	v_cndmask_b32_e64 v25, v27, v50, s4
	v_mul_f32_e32 v27, v46, v66
	v_lshrrev_b32_e32 v25, 16, v25
	v_bfe_u32 v50, v27, 16, 1
	v_or_b32_e32 v64, 0x400000, v27
	v_cmp_u_f32_e64 s4, v27, v27
	v_add3_u32 v50, v50, v27, 0x7fff
	v_cndmask_b32_e64 v27, v50, v64, s4
	v_lshrrev_b32_e32 v27, 16, v27
	s_and_saveexec_b32 s4, vcc_lo
	s_cbranch_execz .LBB329_807
; %bb.1601:                             ;   in Loop: Header=BB329_809 Depth=1
	v_cmp_lt_i32_e32 vcc_lo, v47, v82
	v_cndmask_b32_e32 v29, 0, v29, vcc_lo
	v_cmp_lt_i32_e32 vcc_lo, v62, v82
	v_cndmask_b32_e32 v28, 0, v28, vcc_lo
	;; [unrolled: 2-line block ×8, first 2 shown]
	s_branch .LBB329_807
.LBB329_1602:
	s_or_b32 exec_lo, exec_lo, s15
	s_clause 0xf
	buffer_load_dword v32, off, s[0:3], s32 offset:428
	buffer_load_dword v29, off, s[0:3], s32 offset:432
	;; [unrolled: 1-line block ×16, first 2 shown]
	v_mov_b32_e32 v2, s18
	v_mov_b32_e32 v3, s19
.LBB329_1603:
	s_or_b32 exec_lo, exec_lo, s5
	v_lshlrev_b64 v[0:1], 2, v[2:3]
	s_getpc_b64 s[4:5]
	s_add_u32 s4, s4, llvm.amdgcn.dynlds.offset.table@rel32@lo+4
	s_addc_u32 s5, s5, llvm.amdgcn.dynlds.offset.table@rel32@hi+12
	s_waitcnt vmcnt(0)
	s_waitcnt_vscnt null, 0x0
	s_barrier
	buffer_gl0_inv
	ds_bpermute_b32 v2, v15, v9
	v_add_co_u32 v0, vcc_lo, s4, v0
	v_add_co_ci_u32_e64 v1, null, s5, v1, vcc_lo
	ds_bpermute_b32 v3, v15, v8
	ds_bpermute_b32 v4, v15, v7
	;; [unrolled: 1-line block ×3, first 2 shown]
	global_load_dword v12, v[0:1], off
	ds_bpermute_b32 v0, v15, v10
	ds_bpermute_b32 v1, v15, v30
	ds_bpermute_b32 v13, v15, v28
	ds_bpermute_b32 v16, v15, v27
	ds_bpermute_b32 v17, v15, v25
	ds_bpermute_b32 v18, v15, v24
	ds_bpermute_b32 v19, v15, v23
	ds_bpermute_b32 v20, v15, v22
	v_lshrrev_b32_e32 v14, 1, v14
	v_mul_u32_u24_e32 v15, 0x300, v45
	v_and_b32_e32 v21, 0x3c1, v32
	s_waitcnt lgkmcnt(11)
	v_add_f32_e32 v9, v9, v2
	s_mov_b32 s4, exec_lo
	s_waitcnt lgkmcnt(10)
	v_add_f32_e32 v8, v8, v3
	s_waitcnt lgkmcnt(9)
	v_add_f32_e32 v7, v7, v4
	;; [unrolled: 2-line block ×11, first 2 shown]
	s_waitcnt vmcnt(0)
	v_lshl_add_u32 v13, v14, 2, v12
	v_cmpx_eq_u32_e32 64, v21
	s_cbranch_execz .LBB329_1605
; %bb.1604:
	v_add_nc_u32_e32 v16, v13, v15
	v_add_nc_u32_e32 v17, 0xfffffa00, v16
	;; [unrolled: 1-line block ×8, first 2 shown]
	ds_write_b32 v17, v11
	ds_write_b32 v18, v10
	;; [unrolled: 1-line block ×7, first 2 shown]
	v_add_nc_u32_e32 v17, 0xfffffbc0, v16
	v_add_nc_u32_e32 v18, 0xfffffc00, v16
	;; [unrolled: 1-line block ×5, first 2 shown]
	ds_write_b32 v17, v4
	ds_write_b32 v18, v3
	;; [unrolled: 1-line block ×5, first 2 shown]
.LBB329_1605:
	s_or_b32 exec_lo, exec_lo, s4
	v_lshlrev_b32_e32 v14, 2, v14
	s_mov_b32 s5, exec_lo
	v_cmp_eq_u32_e32 vcc_lo, 0, v29
	s_waitcnt lgkmcnt(0)
	s_barrier
	v_add3_u32 v12, v12, v15, v14
	buffer_gl0_inv
	v_cmpx_gt_u32_e32 64, v32
	s_cbranch_execz .LBB329_1620
; %bb.1606:
	s_and_saveexec_b32 s4, vcc_lo
	s_cbranch_execnz .LBB329_1640
; %bb.1607:
	s_or_b32 exec_lo, exec_lo, s4
	s_and_saveexec_b32 s4, vcc_lo
	s_cbranch_execnz .LBB329_1641
.LBB329_1608:
	s_or_b32 exec_lo, exec_lo, s4
	s_and_saveexec_b32 s4, vcc_lo
	s_cbranch_execnz .LBB329_1642
.LBB329_1609:
	s_or_b32 exec_lo, exec_lo, s4
	s_and_saveexec_b32 s4, vcc_lo
	s_cbranch_execnz .LBB329_1643
.LBB329_1610:
	s_or_b32 exec_lo, exec_lo, s4
	s_and_saveexec_b32 s4, vcc_lo
	s_cbranch_execnz .LBB329_1644
.LBB329_1611:
	s_or_b32 exec_lo, exec_lo, s4
	s_and_saveexec_b32 s4, vcc_lo
	s_cbranch_execnz .LBB329_1645
.LBB329_1612:
	s_or_b32 exec_lo, exec_lo, s4
	s_and_saveexec_b32 s4, vcc_lo
	s_cbranch_execnz .LBB329_1646
.LBB329_1613:
	s_or_b32 exec_lo, exec_lo, s4
	s_and_saveexec_b32 s4, vcc_lo
	s_cbranch_execnz .LBB329_1647
.LBB329_1614:
	s_or_b32 exec_lo, exec_lo, s4
	s_and_saveexec_b32 s4, vcc_lo
	s_cbranch_execnz .LBB329_1648
.LBB329_1615:
	s_or_b32 exec_lo, exec_lo, s4
	s_and_saveexec_b32 s4, vcc_lo
	s_cbranch_execnz .LBB329_1649
.LBB329_1616:
	s_or_b32 exec_lo, exec_lo, s4
	s_and_saveexec_b32 s4, vcc_lo
	s_cbranch_execnz .LBB329_1650
.LBB329_1617:
	s_or_b32 exec_lo, exec_lo, s4
	s_and_saveexec_b32 s4, vcc_lo
	s_cbranch_execz .LBB329_1619
.LBB329_1618:
	ds_read_b32 v14, v12 offset:704
	s_waitcnt lgkmcnt(0)
	v_add_f32_e32 v0, v14, v0
.LBB329_1619:
	s_or_b32 exec_lo, exec_lo, s4
.LBB329_1620:
	s_or_b32 exec_lo, exec_lo, s5
	v_and_b32_e32 v14, 0x3e1, v32
	s_mov_b32 s5, exec_lo
	s_barrier
	buffer_gl0_inv
	v_cmpx_eq_u32_e32 32, v14
	s_cbranch_execz .LBB329_1622
; %bb.1621:
	ds_write2_b32 v13, v11, v10 offset1:16
	ds_write2_b32 v13, v9, v8 offset0:32 offset1:48
	ds_write2_b32 v13, v7, v6 offset0:64 offset1:80
	ds_write2_b32 v13, v5, v4 offset0:96 offset1:112
	ds_write2_b32 v13, v3, v2 offset0:128 offset1:144
	ds_write2_b32 v13, v1, v0 offset0:160 offset1:176
.LBB329_1622:
	s_or_b32 exec_lo, exec_lo, s5
	s_mov_b32 s5, exec_lo
	s_waitcnt lgkmcnt(0)
	s_barrier
	buffer_gl0_inv
	v_cmpx_gt_u32_e32 32, v32
	s_cbranch_execz .LBB329_1637
; %bb.1623:
	s_and_saveexec_b32 s4, vcc_lo
	s_cbranch_execnz .LBB329_1651
; %bb.1624:
	s_or_b32 exec_lo, exec_lo, s4
	s_and_saveexec_b32 s4, vcc_lo
	s_cbranch_execnz .LBB329_1652
.LBB329_1625:
	s_or_b32 exec_lo, exec_lo, s4
	s_and_saveexec_b32 s4, vcc_lo
	s_cbranch_execnz .LBB329_1653
.LBB329_1626:
	s_or_b32 exec_lo, exec_lo, s4
	s_and_saveexec_b32 s4, vcc_lo
	s_cbranch_execnz .LBB329_1654
.LBB329_1627:
	s_or_b32 exec_lo, exec_lo, s4
	s_and_saveexec_b32 s4, vcc_lo
	s_cbranch_execnz .LBB329_1655
.LBB329_1628:
	s_or_b32 exec_lo, exec_lo, s4
	s_and_saveexec_b32 s4, vcc_lo
	s_cbranch_execnz .LBB329_1656
.LBB329_1629:
	s_or_b32 exec_lo, exec_lo, s4
	s_and_saveexec_b32 s4, vcc_lo
	s_cbranch_execnz .LBB329_1657
.LBB329_1630:
	s_or_b32 exec_lo, exec_lo, s4
	s_and_saveexec_b32 s4, vcc_lo
	s_cbranch_execnz .LBB329_1658
.LBB329_1631:
	s_or_b32 exec_lo, exec_lo, s4
	s_and_saveexec_b32 s4, vcc_lo
	s_cbranch_execnz .LBB329_1659
.LBB329_1632:
	s_or_b32 exec_lo, exec_lo, s4
	s_and_saveexec_b32 s4, vcc_lo
	s_cbranch_execnz .LBB329_1660
.LBB329_1633:
	s_or_b32 exec_lo, exec_lo, s4
	s_and_saveexec_b32 s4, vcc_lo
	s_cbranch_execnz .LBB329_1661
.LBB329_1634:
	s_or_b32 exec_lo, exec_lo, s4
	s_and_saveexec_b32 s4, vcc_lo
	s_cbranch_execz .LBB329_1636
.LBB329_1635:
	ds_read_b32 v12, v12 offset:704
	s_waitcnt lgkmcnt(0)
	v_add_f32_e32 v0, v12, v0
.LBB329_1636:
	s_or_b32 exec_lo, exec_lo, s4
.LBB329_1637:
	s_or_b32 exec_lo, exec_lo, s5
	s_mov_b32 s4, exec_lo
	s_barrier
	buffer_gl0_inv
	v_cmpx_eq_u32_e32 0, v14
	s_cbranch_execz .LBB329_1639
; %bb.1638:
	s_clause 0x2
	buffer_load_dword v15, off, s[0:3], s32 offset:444
	buffer_load_dword v12, off, s[0:3], s32 offset:424
	;; [unrolled: 1-line block ×3, first 2 shown]
	s_and_b32 s5, 0xffff, s13
	s_mul_i32 s6, s14, 0xc0
	s_cmp_lg_u32 s5, 0
	v_bfe_u32 v13, v11, 16, 1
	s_cselect_b32 s5, -1, 0
	v_or_b32_e32 v14, 0x400000, v11
	s_cmp_lg_u32 s5, 0
	s_addc_u32 s5, s12, 0
	v_add3_u32 v17, v13, v11, 0x7fff
	s_mul_i32 s7, s5, s10
	s_mul_i32 s10, s16, s5
	;; [unrolled: 1-line block ×3, first 2 shown]
	s_ashr_i32 s11, s10, 31
	s_mulk_i32 s8, 0xc0
	s_ashr_i32 s7, s6, 31
	s_ashr_i32 s9, s8, 31
	s_lshl_b64 s[6:7], s[6:7], 1
	s_lshl_b64 s[8:9], s[8:9], 1
	s_waitcnt vmcnt(2)
	v_add_co_u32 v15, vcc_lo, v15, s8
	s_waitcnt vmcnt(0)
	v_add_co_ci_u32_e64 v16, null, s9, v16, vcc_lo
	s_lshl_b64 s[8:9], s[10:11], 1
	v_lshlrev_b32_e32 v12, 1, v12
	v_add_co_u32 v15, vcc_lo, v15, s8
	v_add_co_ci_u32_e64 v16, null, s9, v16, vcc_lo
	v_add_co_u32 v15, vcc_lo, v15, s6
	v_add_co_ci_u32_e64 v16, null, s7, v16, vcc_lo
	;; [unrolled: 2-line block ×3, first 2 shown]
	v_bfe_u32 v15, v10, 16, 1
	v_cmp_u_f32_e32 vcc_lo, v11, v11
	v_or_b32_e32 v16, 0x400000, v10
	v_add3_u32 v15, v15, v10, 0x7fff
	v_cndmask_b32_e32 v11, v17, v14, vcc_lo
	v_bfe_u32 v14, v9, 16, 1
	v_cmp_u_f32_e32 vcc_lo, v10, v10
	flat_store_short_d16_hi v[12:13], v11
	v_add3_u32 v11, v14, v9, 0x7fff
	v_or_b32_e32 v14, 0x400000, v9
	v_cndmask_b32_e32 v10, v15, v16, vcc_lo
	v_bfe_u32 v15, v8, 16, 1
	v_cmp_u_f32_e32 vcc_lo, v9, v9
	flat_store_short_d16_hi v[12:13], v10 offset:32
	v_add3_u32 v10, v15, v8, 0x7fff
	v_cndmask_b32_e32 v9, v11, v14, vcc_lo
	v_bfe_u32 v11, v7, 16, 1
	v_or_b32_e32 v14, 0x400000, v8
	v_cmp_u_f32_e32 vcc_lo, v8, v8
	flat_store_short_d16_hi v[12:13], v9 offset:64
	v_add3_u32 v9, v11, v7, 0x7fff
	v_or_b32_e32 v11, 0x400000, v7
	v_cndmask_b32_e32 v8, v10, v14, vcc_lo
	v_bfe_u32 v10, v6, 16, 1
	v_cmp_u_f32_e32 vcc_lo, v7, v7
	flat_store_short_d16_hi v[12:13], v8 offset:96
	v_add3_u32 v8, v10, v6, 0x7fff
	v_cndmask_b32_e32 v7, v9, v11, vcc_lo
	v_bfe_u32 v9, v5, 16, 1
	v_or_b32_e32 v10, 0x400000, v6
	v_cmp_u_f32_e32 vcc_lo, v6, v6
	flat_store_short_d16_hi v[12:13], v7 offset:128
	v_add3_u32 v7, v9, v5, 0x7fff
	v_or_b32_e32 v9, 0x400000, v5
	v_cndmask_b32_e32 v6, v8, v10, vcc_lo
	v_bfe_u32 v8, v4, 16, 1
	v_cmp_u_f32_e32 vcc_lo, v5, v5
	v_or_b32_e32 v10, 0x400000, v0
	flat_store_short_d16_hi v[12:13], v6 offset:160
	v_add3_u32 v6, v8, v4, 0x7fff
	v_cndmask_b32_e32 v5, v7, v9, vcc_lo
	v_bfe_u32 v7, v3, 16, 1
	v_or_b32_e32 v8, 0x400000, v4
	v_cmp_u_f32_e32 vcc_lo, v4, v4
	v_or_b32_e32 v9, 0x400000, v1
	flat_store_short_d16_hi v[12:13], v5 offset:192
	v_add3_u32 v5, v7, v3, 0x7fff
	v_or_b32_e32 v7, 0x400000, v3
	v_cndmask_b32_e32 v4, v6, v8, vcc_lo
	v_bfe_u32 v6, v2, 16, 1
	v_cmp_u_f32_e32 vcc_lo, v3, v3
	v_bfe_u32 v8, v1, 16, 1
	v_add3_u32 v6, v6, v2, 0x7fff
	v_cndmask_b32_e32 v3, v5, v7, vcc_lo
	v_or_b32_e32 v7, 0x400000, v2
	v_cmp_u_f32_e32 vcc_lo, v2, v2
	v_bfe_u32 v5, v0, 16, 1
	v_add3_u32 v8, v8, v1, 0x7fff
	v_cndmask_b32_e32 v2, v6, v7, vcc_lo
	v_cmp_u_f32_e32 vcc_lo, v1, v1
	v_add3_u32 v5, v5, v0, 0x7fff
	v_cndmask_b32_e32 v1, v8, v9, vcc_lo
	v_cmp_u_f32_e32 vcc_lo, v0, v0
	v_cndmask_b32_e32 v0, v5, v10, vcc_lo
	flat_store_short_d16_hi v[12:13], v4 offset:224
	flat_store_short_d16_hi v[12:13], v3 offset:256
	;; [unrolled: 1-line block ×5, first 2 shown]
.LBB329_1639:
	s_or_b32 exec_lo, exec_lo, s4
	s_clause 0x2f
	buffer_load_dword v127, off, s[0:3], s32
	buffer_load_dword v126, off, s[0:3], s32 offset:4
	buffer_load_dword v125, off, s[0:3], s32 offset:8
	;; [unrolled: 1-line block ×47, first 2 shown]
	s_waitcnt vmcnt(0) lgkmcnt(0)
	s_setpc_b64 s[30:31]
.LBB329_1640:
	ds_read_b32 v14, v12
	s_waitcnt lgkmcnt(0)
	v_add_f32_e32 v11, v14, v11
	s_or_b32 exec_lo, exec_lo, s4
	s_and_saveexec_b32 s4, vcc_lo
	s_cbranch_execz .LBB329_1608
.LBB329_1641:
	ds_read_b32 v14, v12 offset:64
	s_waitcnt lgkmcnt(0)
	v_add_f32_e32 v10, v14, v10
	s_or_b32 exec_lo, exec_lo, s4
	s_and_saveexec_b32 s4, vcc_lo
	s_cbranch_execz .LBB329_1609
.LBB329_1642:
	ds_read_b32 v14, v12 offset:128
	s_waitcnt lgkmcnt(0)
	v_add_f32_e32 v9, v14, v9
	s_or_b32 exec_lo, exec_lo, s4
	s_and_saveexec_b32 s4, vcc_lo
	s_cbranch_execz .LBB329_1610
.LBB329_1643:
	ds_read_b32 v14, v12 offset:192
	s_waitcnt lgkmcnt(0)
	v_add_f32_e32 v8, v14, v8
	s_or_b32 exec_lo, exec_lo, s4
	s_and_saveexec_b32 s4, vcc_lo
	s_cbranch_execz .LBB329_1611
.LBB329_1644:
	ds_read_b32 v14, v12 offset:256
	s_waitcnt lgkmcnt(0)
	v_add_f32_e32 v7, v14, v7
	s_or_b32 exec_lo, exec_lo, s4
	s_and_saveexec_b32 s4, vcc_lo
	s_cbranch_execz .LBB329_1612
.LBB329_1645:
	ds_read_b32 v14, v12 offset:320
	s_waitcnt lgkmcnt(0)
	v_add_f32_e32 v6, v14, v6
	s_or_b32 exec_lo, exec_lo, s4
	s_and_saveexec_b32 s4, vcc_lo
	s_cbranch_execz .LBB329_1613
.LBB329_1646:
	ds_read_b32 v14, v12 offset:384
	s_waitcnt lgkmcnt(0)
	v_add_f32_e32 v5, v14, v5
	s_or_b32 exec_lo, exec_lo, s4
	s_and_saveexec_b32 s4, vcc_lo
	s_cbranch_execz .LBB329_1614
.LBB329_1647:
	ds_read_b32 v14, v12 offset:448
	s_waitcnt lgkmcnt(0)
	v_add_f32_e32 v4, v14, v4
	s_or_b32 exec_lo, exec_lo, s4
	s_and_saveexec_b32 s4, vcc_lo
	s_cbranch_execz .LBB329_1615
.LBB329_1648:
	ds_read_b32 v14, v12 offset:512
	s_waitcnt lgkmcnt(0)
	v_add_f32_e32 v3, v14, v3
	s_or_b32 exec_lo, exec_lo, s4
	s_and_saveexec_b32 s4, vcc_lo
	s_cbranch_execz .LBB329_1616
.LBB329_1649:
	ds_read_b32 v14, v12 offset:576
	s_waitcnt lgkmcnt(0)
	v_add_f32_e32 v2, v14, v2
	s_or_b32 exec_lo, exec_lo, s4
	s_and_saveexec_b32 s4, vcc_lo
	s_cbranch_execz .LBB329_1617
.LBB329_1650:
	ds_read_b32 v14, v12 offset:640
	s_waitcnt lgkmcnt(0)
	v_add_f32_e32 v1, v14, v1
	s_or_b32 exec_lo, exec_lo, s4
	s_and_saveexec_b32 s4, vcc_lo
	s_cbranch_execnz .LBB329_1618
	s_branch .LBB329_1619
.LBB329_1651:
	ds_read_b32 v13, v12
	s_waitcnt lgkmcnt(0)
	v_add_f32_e32 v11, v13, v11
	s_or_b32 exec_lo, exec_lo, s4
	s_and_saveexec_b32 s4, vcc_lo
	s_cbranch_execz .LBB329_1625
.LBB329_1652:
	ds_read_b32 v13, v12 offset:64
	s_waitcnt lgkmcnt(0)
	v_add_f32_e32 v10, v13, v10
	s_or_b32 exec_lo, exec_lo, s4
	s_and_saveexec_b32 s4, vcc_lo
	s_cbranch_execz .LBB329_1626
.LBB329_1653:
	ds_read_b32 v13, v12 offset:128
	s_waitcnt lgkmcnt(0)
	v_add_f32_e32 v9, v13, v9
	s_or_b32 exec_lo, exec_lo, s4
	s_and_saveexec_b32 s4, vcc_lo
	s_cbranch_execz .LBB329_1627
.LBB329_1654:
	ds_read_b32 v13, v12 offset:192
	s_waitcnt lgkmcnt(0)
	v_add_f32_e32 v8, v13, v8
	s_or_b32 exec_lo, exec_lo, s4
	s_and_saveexec_b32 s4, vcc_lo
	s_cbranch_execz .LBB329_1628
.LBB329_1655:
	ds_read_b32 v13, v12 offset:256
	s_waitcnt lgkmcnt(0)
	v_add_f32_e32 v7, v13, v7
	s_or_b32 exec_lo, exec_lo, s4
	s_and_saveexec_b32 s4, vcc_lo
	s_cbranch_execz .LBB329_1629
.LBB329_1656:
	ds_read_b32 v13, v12 offset:320
	s_waitcnt lgkmcnt(0)
	v_add_f32_e32 v6, v13, v6
	s_or_b32 exec_lo, exec_lo, s4
	s_and_saveexec_b32 s4, vcc_lo
	s_cbranch_execz .LBB329_1630
.LBB329_1657:
	ds_read_b32 v13, v12 offset:384
	s_waitcnt lgkmcnt(0)
	v_add_f32_e32 v5, v13, v5
	s_or_b32 exec_lo, exec_lo, s4
	s_and_saveexec_b32 s4, vcc_lo
	s_cbranch_execz .LBB329_1631
.LBB329_1658:
	ds_read_b32 v13, v12 offset:448
	s_waitcnt lgkmcnt(0)
	v_add_f32_e32 v4, v13, v4
	s_or_b32 exec_lo, exec_lo, s4
	s_and_saveexec_b32 s4, vcc_lo
	s_cbranch_execz .LBB329_1632
.LBB329_1659:
	ds_read_b32 v13, v12 offset:512
	s_waitcnt lgkmcnt(0)
	v_add_f32_e32 v3, v13, v3
	s_or_b32 exec_lo, exec_lo, s4
	s_and_saveexec_b32 s4, vcc_lo
	s_cbranch_execz .LBB329_1633
.LBB329_1660:
	ds_read_b32 v13, v12 offset:576
	s_waitcnt lgkmcnt(0)
	v_add_f32_e32 v2, v13, v2
	s_or_b32 exec_lo, exec_lo, s4
	s_and_saveexec_b32 s4, vcc_lo
	s_cbranch_execz .LBB329_1634
.LBB329_1661:
	ds_read_b32 v13, v12 offset:640
	s_waitcnt lgkmcnt(0)
	v_add_f32_e32 v1, v13, v1
	s_or_b32 exec_lo, exec_lo, s4
	s_and_saveexec_b32 s4, vcc_lo
	s_cbranch_execnz .LBB329_1635
	s_branch .LBB329_1636
.Lfunc_end329:
	.size	_ZN4vllm22paged_attention_kernelI14__hip_bfloat16hLi192ELi16ELi128ELNS_18Fp8KVCacheDataTypeE1ELb1ELi0EEEvPfS3_PT_PKS4_PKT0_SA_ifPKiSC_iPKfiiiSE_SE_iiiii, .Lfunc_end329-_ZN4vllm22paged_attention_kernelI14__hip_bfloat16hLi192ELi16ELi128ELNS_18Fp8KVCacheDataTypeE1ELb1ELi0EEEvPfS3_PT_PKS4_PKT0_SA_ifPKiSC_iPKfiiiSE_SE_iiiii
                                        ; -- End function
	.set .L_ZN4vllm22paged_attention_kernelI14__hip_bfloat16hLi192ELi16ELi128ELNS_18Fp8KVCacheDataTypeE1ELb1ELi0EEEvPfS3_PT_PKS4_PKT0_SA_ifPKiSC_iPKfiiiSE_SE_iiiii.num_vgpr, 128
	.set .L_ZN4vllm22paged_attention_kernelI14__hip_bfloat16hLi192ELi16ELi128ELNS_18Fp8KVCacheDataTypeE1ELb1ELi0EEEvPfS3_PT_PKS4_PKT0_SA_ifPKiSC_iPKfiiiSE_SE_iiiii.num_agpr, 0
	.set .L_ZN4vllm22paged_attention_kernelI14__hip_bfloat16hLi192ELi16ELi128ELNS_18Fp8KVCacheDataTypeE1ELb1ELi0EEEvPfS3_PT_PKS4_PKT0_SA_ifPKiSC_iPKfiiiSE_SE_iiiii.numbered_sgpr, 33
	.set .L_ZN4vllm22paged_attention_kernelI14__hip_bfloat16hLi192ELi16ELi128ELNS_18Fp8KVCacheDataTypeE1ELb1ELi0EEEvPfS3_PT_PKS4_PKT0_SA_ifPKiSC_iPKfiiiSE_SE_iiiii.num_named_barrier, 0
	.set .L_ZN4vllm22paged_attention_kernelI14__hip_bfloat16hLi192ELi16ELi128ELNS_18Fp8KVCacheDataTypeE1ELb1ELi0EEEvPfS3_PT_PKS4_PKT0_SA_ifPKiSC_iPKfiiiSE_SE_iiiii.private_seg_size, 504
	.set .L_ZN4vllm22paged_attention_kernelI14__hip_bfloat16hLi192ELi16ELi128ELNS_18Fp8KVCacheDataTypeE1ELb1ELi0EEEvPfS3_PT_PKS4_PKT0_SA_ifPKiSC_iPKfiiiSE_SE_iiiii.uses_vcc, 1
	.set .L_ZN4vllm22paged_attention_kernelI14__hip_bfloat16hLi192ELi16ELi128ELNS_18Fp8KVCacheDataTypeE1ELb1ELi0EEEvPfS3_PT_PKS4_PKT0_SA_ifPKiSC_iPKfiiiSE_SE_iiiii.uses_flat_scratch, 0
	.set .L_ZN4vllm22paged_attention_kernelI14__hip_bfloat16hLi192ELi16ELi128ELNS_18Fp8KVCacheDataTypeE1ELb1ELi0EEEvPfS3_PT_PKS4_PKT0_SA_ifPKiSC_iPKfiiiSE_SE_iiiii.has_dyn_sized_stack, 0
	.set .L_ZN4vllm22paged_attention_kernelI14__hip_bfloat16hLi192ELi16ELi128ELNS_18Fp8KVCacheDataTypeE1ELb1ELi0EEEvPfS3_PT_PKS4_PKT0_SA_ifPKiSC_iPKfiiiSE_SE_iiiii.has_recursion, 0
	.set .L_ZN4vllm22paged_attention_kernelI14__hip_bfloat16hLi192ELi16ELi128ELNS_18Fp8KVCacheDataTypeE1ELb1ELi0EEEvPfS3_PT_PKS4_PKT0_SA_ifPKiSC_iPKfiiiSE_SE_iiiii.has_indirect_call, 0
	.section	.AMDGPU.csdata,"",@progbits
; Function info:
; codeLenInByte = 65172
; TotalNumSgprs: 35
; NumVgprs: 128
; ScratchSize: 504
; MemoryBound: 0
	.section	.text._ZN4vllm25paged_attention_v1_kernelI14__hip_bfloat16hLi192ELi16ELi128ELNS_18Fp8KVCacheDataTypeE1ELb1EEEvPT_PKS3_PKT0_S9_ifPKiSB_iPKfiiiSD_SD_iiiii,"axG",@progbits,_ZN4vllm25paged_attention_v1_kernelI14__hip_bfloat16hLi192ELi16ELi128ELNS_18Fp8KVCacheDataTypeE1ELb1EEEvPT_PKS3_PKT0_S9_ifPKiSB_iPKfiiiSD_SD_iiiii,comdat
	.protected	_ZN4vllm25paged_attention_v1_kernelI14__hip_bfloat16hLi192ELi16ELi128ELNS_18Fp8KVCacheDataTypeE1ELb1EEEvPT_PKS3_PKT0_S9_ifPKiSB_iPKfiiiSD_SD_iiiii ; -- Begin function _ZN4vllm25paged_attention_v1_kernelI14__hip_bfloat16hLi192ELi16ELi128ELNS_18Fp8KVCacheDataTypeE1ELb1EEEvPT_PKS3_PKT0_S9_ifPKiSB_iPKfiiiSD_SD_iiiii
	.globl	_ZN4vllm25paged_attention_v1_kernelI14__hip_bfloat16hLi192ELi16ELi128ELNS_18Fp8KVCacheDataTypeE1ELb1EEEvPT_PKS3_PKT0_S9_ifPKiSB_iPKfiiiSD_SD_iiiii
	.p2align	8
	.type	_ZN4vllm25paged_attention_v1_kernelI14__hip_bfloat16hLi192ELi16ELi128ELNS_18Fp8KVCacheDataTypeE1ELb1EEEvPT_PKS3_PKT0_S9_ifPKiSB_iPKfiiiSD_SD_iiiii,@function
_ZN4vllm25paged_attention_v1_kernelI14__hip_bfloat16hLi192ELi16ELi128ELNS_18Fp8KVCacheDataTypeE1ELb1EEEvPT_PKS3_PKT0_S9_ifPKiSB_iPKfiiiSD_SD_iiiii: ; @_ZN4vllm25paged_attention_v1_kernelI14__hip_bfloat16hLi192ELi16ELi128ELNS_18Fp8KVCacheDataTypeE1ELb1EEEvPT_PKS3_PKT0_S9_ifPKiSB_iPKfiiiSD_SD_iiiii
; %bb.0:
	s_clause 0x7
	s_load_dwordx8 s[16:23], s[4:5], 0x0
	s_load_dwordx4 s[36:39], s[4:5], 0x20
	s_load_dwordx2 s[10:11], s[4:5], 0x30
	s_load_dword s13, s[4:5], 0x38
	s_load_dwordx2 s[34:35], s[4:5], 0x40
	s_load_dwordx8 s[24:31], s[4:5], 0x48
	s_load_dword s15, s[4:5], 0x78
	s_load_dwordx4 s[40:43], s[4:5], 0x68
	s_add_u32 s0, s0, s9
	s_addc_u32 s1, s1, 0
	v_mov_b32_e32 v31, v0
	s_mov_b32 s14, s8
	s_add_u32 s8, s4, 0x80
	s_addc_u32 s9, s5, 0
	s_getpc_b64 s[4:5]
	s_add_u32 s4, s4, _ZN4vllm22paged_attention_kernelI14__hip_bfloat16hLi192ELi16ELi128ELNS_18Fp8KVCacheDataTypeE1ELb1ELi0EEEvPfS3_PT_PKS4_PKT0_SA_ifPKiSC_iPKfiiiSE_SE_iiiii@rel32@lo+4
	s_addc_u32 s5, s5, _ZN4vllm22paged_attention_kernelI14__hip_bfloat16hLi192ELi16ELi128ELNS_18Fp8KVCacheDataTypeE1ELb1ELi0EEEvPfS3_PT_PKS4_PKT0_SA_ifPKiSC_iPKfiiiSE_SE_iiiii@rel32@hi+12
	s_mov_b32 s12, s6
	s_mov_b32 s32, 0
	s_waitcnt lgkmcnt(0)
	v_mov_b32_e32 v0, s16
	v_mov_b32_e32 v1, s17
	;; [unrolled: 1-line block ×29, first 2 shown]
	s_mov_b32 s13, s7
	s_mov_b32 s15, 7
	s_swappc_b64 s[30:31], s[4:5]
	s_endpgm
	.section	.rodata,"a",@progbits
	.p2align	6, 0x0
	.amdhsa_kernel _ZN4vllm25paged_attention_v1_kernelI14__hip_bfloat16hLi192ELi16ELi128ELNS_18Fp8KVCacheDataTypeE1ELb1EEEvPT_PKS3_PKT0_S9_ifPKiSB_iPKfiiiSD_SD_iiiii
		.amdhsa_group_segment_fixed_size 416
		.amdhsa_private_segment_fixed_size 504
		.amdhsa_kernarg_size 384
		.amdhsa_user_sgpr_count 6
		.amdhsa_user_sgpr_private_segment_buffer 1
		.amdhsa_user_sgpr_dispatch_ptr 0
		.amdhsa_user_sgpr_queue_ptr 0
		.amdhsa_user_sgpr_kernarg_segment_ptr 1
		.amdhsa_user_sgpr_dispatch_id 0
		.amdhsa_user_sgpr_flat_scratch_init 0
		.amdhsa_user_sgpr_private_segment_size 0
		.amdhsa_wavefront_size32 1
		.amdhsa_uses_dynamic_stack 0
		.amdhsa_system_sgpr_private_segment_wavefront_offset 1
		.amdhsa_system_sgpr_workgroup_id_x 1
		.amdhsa_system_sgpr_workgroup_id_y 1
		.amdhsa_system_sgpr_workgroup_id_z 1
		.amdhsa_system_sgpr_workgroup_info 0
		.amdhsa_system_vgpr_workitem_id 0
		.amdhsa_next_free_vgpr 128
		.amdhsa_next_free_sgpr 44
		.amdhsa_reserve_vcc 1
		.amdhsa_reserve_flat_scratch 0
		.amdhsa_float_round_mode_32 0
		.amdhsa_float_round_mode_16_64 0
		.amdhsa_float_denorm_mode_32 3
		.amdhsa_float_denorm_mode_16_64 3
		.amdhsa_dx10_clamp 1
		.amdhsa_ieee_mode 1
		.amdhsa_fp16_overflow 0
		.amdhsa_workgroup_processor_mode 1
		.amdhsa_memory_ordered 1
		.amdhsa_forward_progress 1
		.amdhsa_shared_vgpr_count 0
		.amdhsa_exception_fp_ieee_invalid_op 0
		.amdhsa_exception_fp_denorm_src 0
		.amdhsa_exception_fp_ieee_div_zero 0
		.amdhsa_exception_fp_ieee_overflow 0
		.amdhsa_exception_fp_ieee_underflow 0
		.amdhsa_exception_fp_ieee_inexact 0
		.amdhsa_exception_int_div_zero 0
	.end_amdhsa_kernel
	.section	.text._ZN4vllm25paged_attention_v1_kernelI14__hip_bfloat16hLi192ELi16ELi128ELNS_18Fp8KVCacheDataTypeE1ELb1EEEvPT_PKS3_PKT0_S9_ifPKiSB_iPKfiiiSD_SD_iiiii,"axG",@progbits,_ZN4vllm25paged_attention_v1_kernelI14__hip_bfloat16hLi192ELi16ELi128ELNS_18Fp8KVCacheDataTypeE1ELb1EEEvPT_PKS3_PKT0_S9_ifPKiSB_iPKfiiiSD_SD_iiiii,comdat
.Lfunc_end330:
	.size	_ZN4vllm25paged_attention_v1_kernelI14__hip_bfloat16hLi192ELi16ELi128ELNS_18Fp8KVCacheDataTypeE1ELb1EEEvPT_PKS3_PKT0_S9_ifPKiSB_iPKfiiiSD_SD_iiiii, .Lfunc_end330-_ZN4vllm25paged_attention_v1_kernelI14__hip_bfloat16hLi192ELi16ELi128ELNS_18Fp8KVCacheDataTypeE1ELb1EEEvPT_PKS3_PKT0_S9_ifPKiSB_iPKfiiiSD_SD_iiiii
                                        ; -- End function
	.set _ZN4vllm25paged_attention_v1_kernelI14__hip_bfloat16hLi192ELi16ELi128ELNS_18Fp8KVCacheDataTypeE1ELb1EEEvPT_PKS3_PKT0_S9_ifPKiSB_iPKfiiiSD_SD_iiiii.num_vgpr, max(32, .L_ZN4vllm22paged_attention_kernelI14__hip_bfloat16hLi192ELi16ELi128ELNS_18Fp8KVCacheDataTypeE1ELb1ELi0EEEvPfS3_PT_PKS4_PKT0_SA_ifPKiSC_iPKfiiiSE_SE_iiiii.num_vgpr)
	.set _ZN4vllm25paged_attention_v1_kernelI14__hip_bfloat16hLi192ELi16ELi128ELNS_18Fp8KVCacheDataTypeE1ELb1EEEvPT_PKS3_PKT0_S9_ifPKiSB_iPKfiiiSD_SD_iiiii.num_agpr, max(0, .L_ZN4vllm22paged_attention_kernelI14__hip_bfloat16hLi192ELi16ELi128ELNS_18Fp8KVCacheDataTypeE1ELb1ELi0EEEvPfS3_PT_PKS4_PKT0_SA_ifPKiSC_iPKfiiiSE_SE_iiiii.num_agpr)
	.set _ZN4vllm25paged_attention_v1_kernelI14__hip_bfloat16hLi192ELi16ELi128ELNS_18Fp8KVCacheDataTypeE1ELb1EEEvPT_PKS3_PKT0_S9_ifPKiSB_iPKfiiiSD_SD_iiiii.numbered_sgpr, max(44, .L_ZN4vllm22paged_attention_kernelI14__hip_bfloat16hLi192ELi16ELi128ELNS_18Fp8KVCacheDataTypeE1ELb1ELi0EEEvPfS3_PT_PKS4_PKT0_SA_ifPKiSC_iPKfiiiSE_SE_iiiii.numbered_sgpr)
	.set _ZN4vllm25paged_attention_v1_kernelI14__hip_bfloat16hLi192ELi16ELi128ELNS_18Fp8KVCacheDataTypeE1ELb1EEEvPT_PKS3_PKT0_S9_ifPKiSB_iPKfiiiSD_SD_iiiii.num_named_barrier, max(0, .L_ZN4vllm22paged_attention_kernelI14__hip_bfloat16hLi192ELi16ELi128ELNS_18Fp8KVCacheDataTypeE1ELb1ELi0EEEvPfS3_PT_PKS4_PKT0_SA_ifPKiSC_iPKfiiiSE_SE_iiiii.num_named_barrier)
	.set _ZN4vllm25paged_attention_v1_kernelI14__hip_bfloat16hLi192ELi16ELi128ELNS_18Fp8KVCacheDataTypeE1ELb1EEEvPT_PKS3_PKT0_S9_ifPKiSB_iPKfiiiSD_SD_iiiii.private_seg_size, 0+max(.L_ZN4vllm22paged_attention_kernelI14__hip_bfloat16hLi192ELi16ELi128ELNS_18Fp8KVCacheDataTypeE1ELb1ELi0EEEvPfS3_PT_PKS4_PKT0_SA_ifPKiSC_iPKfiiiSE_SE_iiiii.private_seg_size)
	.set _ZN4vllm25paged_attention_v1_kernelI14__hip_bfloat16hLi192ELi16ELi128ELNS_18Fp8KVCacheDataTypeE1ELb1EEEvPT_PKS3_PKT0_S9_ifPKiSB_iPKfiiiSD_SD_iiiii.uses_vcc, or(1, .L_ZN4vllm22paged_attention_kernelI14__hip_bfloat16hLi192ELi16ELi128ELNS_18Fp8KVCacheDataTypeE1ELb1ELi0EEEvPfS3_PT_PKS4_PKT0_SA_ifPKiSC_iPKfiiiSE_SE_iiiii.uses_vcc)
	.set _ZN4vllm25paged_attention_v1_kernelI14__hip_bfloat16hLi192ELi16ELi128ELNS_18Fp8KVCacheDataTypeE1ELb1EEEvPT_PKS3_PKT0_S9_ifPKiSB_iPKfiiiSD_SD_iiiii.uses_flat_scratch, or(0, .L_ZN4vllm22paged_attention_kernelI14__hip_bfloat16hLi192ELi16ELi128ELNS_18Fp8KVCacheDataTypeE1ELb1ELi0EEEvPfS3_PT_PKS4_PKT0_SA_ifPKiSC_iPKfiiiSE_SE_iiiii.uses_flat_scratch)
	.set _ZN4vllm25paged_attention_v1_kernelI14__hip_bfloat16hLi192ELi16ELi128ELNS_18Fp8KVCacheDataTypeE1ELb1EEEvPT_PKS3_PKT0_S9_ifPKiSB_iPKfiiiSD_SD_iiiii.has_dyn_sized_stack, or(0, .L_ZN4vllm22paged_attention_kernelI14__hip_bfloat16hLi192ELi16ELi128ELNS_18Fp8KVCacheDataTypeE1ELb1ELi0EEEvPfS3_PT_PKS4_PKT0_SA_ifPKiSC_iPKfiiiSE_SE_iiiii.has_dyn_sized_stack)
	.set _ZN4vllm25paged_attention_v1_kernelI14__hip_bfloat16hLi192ELi16ELi128ELNS_18Fp8KVCacheDataTypeE1ELb1EEEvPT_PKS3_PKT0_S9_ifPKiSB_iPKfiiiSD_SD_iiiii.has_recursion, or(0, .L_ZN4vllm22paged_attention_kernelI14__hip_bfloat16hLi192ELi16ELi128ELNS_18Fp8KVCacheDataTypeE1ELb1ELi0EEEvPfS3_PT_PKS4_PKT0_SA_ifPKiSC_iPKfiiiSE_SE_iiiii.has_recursion)
	.set _ZN4vllm25paged_attention_v1_kernelI14__hip_bfloat16hLi192ELi16ELi128ELNS_18Fp8KVCacheDataTypeE1ELb1EEEvPT_PKS3_PKT0_S9_ifPKiSB_iPKfiiiSD_SD_iiiii.has_indirect_call, or(0, .L_ZN4vllm22paged_attention_kernelI14__hip_bfloat16hLi192ELi16ELi128ELNS_18Fp8KVCacheDataTypeE1ELb1ELi0EEEvPfS3_PT_PKS4_PKT0_SA_ifPKiSC_iPKfiiiSE_SE_iiiii.has_indirect_call)
	.section	.AMDGPU.csdata,"",@progbits
; Kernel info:
; codeLenInByte = 260
; TotalNumSgprs: 46
; NumVgprs: 128
; ScratchSize: 504
; MemoryBound: 0
; FloatMode: 240
; IeeeMode: 1
; LDSByteSize: 416 bytes/workgroup (compile time only)
; SGPRBlocks: 0
; VGPRBlocks: 15
; NumSGPRsForWavesPerEU: 46
; NumVGPRsForWavesPerEU: 128
; Occupancy: 8
; WaveLimiterHint : 1
; COMPUTE_PGM_RSRC2:SCRATCH_EN: 1
; COMPUTE_PGM_RSRC2:USER_SGPR: 6
; COMPUTE_PGM_RSRC2:TRAP_HANDLER: 0
; COMPUTE_PGM_RSRC2:TGID_X_EN: 1
; COMPUTE_PGM_RSRC2:TGID_Y_EN: 1
; COMPUTE_PGM_RSRC2:TGID_Z_EN: 1
; COMPUTE_PGM_RSRC2:TIDIG_COMP_CNT: 0
	.text
	.p2align	2                               ; -- Begin function _ZN4vllm22paged_attention_kernelI14__hip_bfloat16hLi256ELi16ELi128ELNS_18Fp8KVCacheDataTypeE1ELb1ELi0EEEvPfS3_PT_PKS4_PKT0_SA_ifPKiSC_iPKfiiiSE_SE_iiiii
	.type	_ZN4vllm22paged_attention_kernelI14__hip_bfloat16hLi256ELi16ELi128ELNS_18Fp8KVCacheDataTypeE1ELb1ELi0EEEvPfS3_PT_PKS4_PKT0_SA_ifPKiSC_iPKfiiiSE_SE_iiiii,@function
_ZN4vllm22paged_attention_kernelI14__hip_bfloat16hLi256ELi16ELi128ELNS_18Fp8KVCacheDataTypeE1ELb1ELi0EEEvPfS3_PT_PKS4_PKT0_SA_ifPKiSC_iPKfiiiSE_SE_iiiii: ; @_ZN4vllm22paged_attention_kernelI14__hip_bfloat16hLi256ELi16ELi128ELNS_18Fp8KVCacheDataTypeE1ELb1ELi0EEEvPfS3_PT_PKS4_PKT0_SA_ifPKiSC_iPKfiiiSE_SE_iiiii
; %bb.0:
	s_waitcnt vmcnt(0) expcnt(0) lgkmcnt(0)
	buffer_store_dword v40, off, s[0:3], s32 offset:188 ; 4-byte Folded Spill
	buffer_store_dword v41, off, s[0:3], s32 offset:184 ; 4-byte Folded Spill
	;; [unrolled: 1-line block ×47, first 2 shown]
	buffer_store_dword v127, off, s[0:3], s32 ; 4-byte Folded Spill
	s_mov_b32 s10, s13
	s_ashr_i32 s11, s13, 31
	buffer_store_dword v22, off, s[0:3], s32 offset:568 ; 4-byte Folded Spill
	buffer_store_dword v23, off, s[0:3], s32 offset:572 ; 4-byte Folded Spill
	;; [unrolled: 1-line block ×5, first 2 shown]
	s_lshl_b64 s[4:5], s[10:11], 2
	buffer_store_dword v9, off, s[0:3], s32 offset:604 ; 4-byte Folded Spill
	buffer_store_dword v1, off, s[0:3], s32 offset:632 ; 4-byte Folded Spill
	;; [unrolled: 1-line block ×3, first 2 shown]
	v_add_co_u32 v0, vcc_lo, v12, s4
	v_add_co_ci_u32_e64 v1, null, s5, v13, vcc_lo
	s_clause 0x1
	s_load_dword s4, s[8:9], 0x10
	s_load_dword s5, s[8:9], 0x0
	v_mov_b32_e32 v21, v6
	flat_load_dword v82, v[0:1]
	v_sub_nc_u32_e32 v0, 0, v8
	v_mov_b32_e32 v20, v7
	v_mov_b32_e32 v18, v10
	s_mov_b32 s18, s15
	v_max_i32_e32 v0, v8, v0
	v_cvt_f32_u32_e32 v1, v0
	v_sub_nc_u32_e32 v6, 0, v0
	v_rcp_iflag_f32_e32 v1, v1
	s_waitcnt lgkmcnt(0)
	s_lshr_b32 s4, s4, 16
	s_cmp_lg_u32 s4, 0
	s_cselect_b32 s4, -1, 0
	s_cmp_lg_u32 s4, 0
	s_addc_u32 s11, s5, 0
	v_mul_f32_e32 v1, 0x4f7ffffe, v1
	s_abs_i32 s4, s11
	s_abs_i32 s5, s12
	v_cvt_u32_f32_e32 v1, v1
	v_mul_lo_u32 v6, v6, v1
	v_mul_hi_u32 v6, v1, v6
	v_add_nc_u32_e32 v1, v1, v6
	v_mul_hi_u32 v1, s4, v1
	v_mul_lo_u32 v6, v1, v0
	v_add_nc_u32_e32 v7, 1, v1
	v_sub_nc_u32_e32 v6, s4, v6
	s_mov_b32 s4, exec_lo
	v_sub_nc_u32_e32 v9, v6, v0
	v_cmp_ge_u32_e32 vcc_lo, v6, v0
	v_cndmask_b32_e32 v1, v1, v7, vcc_lo
	v_cndmask_b32_e32 v6, v6, v9, vcc_lo
	v_xor_b32_e32 v7, s11, v8
	v_add_nc_u32_e32 v9, 1, v1
	v_cmp_ge_u32_e32 vcc_lo, v6, v0
	v_ashrrev_i32_e32 v7, 31, v7
	v_cndmask_b32_e32 v0, v1, v9, vcc_lo
	v_xor_b32_e32 v0, v0, v7
	v_sub_nc_u32_e32 v1, v0, v7
	v_sub_nc_u32_e32 v0, 0, v1
	v_max_i32_e32 v0, v1, v0
	v_cvt_f32_u32_e32 v6, v0
	v_sub_nc_u32_e32 v7, 0, v0
	v_rcp_iflag_f32_e32 v6, v6
	v_mul_f32_e32 v6, 0x4f7ffffe, v6
	v_cvt_u32_f32_e32 v6, v6
	v_mul_lo_u32 v7, v7, v6
	v_mul_hi_u32 v7, v6, v7
	v_add_nc_u32_e32 v6, v6, v7
	v_mad_u64_u32 v[12:13], null, s5, v6, 0
	v_mov_b32_e32 v6, 0
	buffer_store_dword v6, off, s[0:3], s32 offset:600 ; 4-byte Folded Spill
	v_cmpx_ne_u64_e32 0, v[15:16]
	s_cbranch_execz .LBB331_2
; %bb.1:
	s_ashr_i32 s13, s12, 31
	s_lshl_b64 s[6:7], s[12:13], 2
	v_add_co_u32 v6, vcc_lo, v15, s6
	v_add_co_ci_u32_e64 v7, null, s7, v16, vcc_lo
	flat_load_dword v6, v[6:7]
	s_waitcnt vmcnt(0) lgkmcnt(0)
	buffer_store_dword v6, off, s[0:3], s32 offset:600 ; 4-byte Folded Spill
.LBB331_2:
	s_or_b32 exec_lo, exec_lo, s4
	v_and_b32_e32 v29, 0x3ff, v31
	v_ashrrev_i32_e32 v1, 31, v1
	v_bfe_u32 v6, v31, 1, 9
	v_and_b32_e32 v30, 1, v31
	s_ashr_i32 s6, s12, 31
	v_cmp_gt_u32_e64 s4, 64, v29
	v_lshlrev_b32_e32 v15, 3, v29
	s_lshl_b32 s16, s12, 8
	buffer_store_dword v6, off, s[0:3], s32 offset:616 ; 4-byte Folded Spill
	s_and_saveexec_b32 s7, s4
	s_cbranch_execz .LBB331_4
; %bb.3:
	v_mul_lo_u32 v6, v17, s10
	s_ashr_i32 s17, s16, 31
	s_lshl_b64 s[20:21], s[16:17], 1
	v_ashrrev_i32_e32 v7, 31, v6
	v_lshlrev_b64 v[6:7], 1, v[6:7]
	v_add_co_u32 v2, vcc_lo, v2, v6
	v_add_co_ci_u32_e64 v3, null, v3, v7, vcc_lo
	buffer_load_dword v6, off, s[0:3], s32 offset:616 ; 4-byte Folded Reload
	v_add_co_u32 v2, vcc_lo, v2, s20
	v_add_co_ci_u32_e64 v3, null, s21, v3, vcc_lo
	v_add_co_u32 v2, vcc_lo, v2, v15
	v_add_co_ci_u32_e64 v3, null, 0, v3, vcc_lo
	flat_load_dwordx2 v[2:3], v[2:3]
	s_waitcnt vmcnt(1)
	v_lshlrev_b32_e32 v6, 3, v6
	v_lshl_add_u32 v6, v30, 8, v6
	s_waitcnt vmcnt(0) lgkmcnt(0)
	ds_write_b64 v6, v[2:3]
.LBB331_4:
	s_or_b32 exec_lo, exec_lo, s7
	v_sub_nc_u32_e32 v2, 0, v27
	v_mul_lo_u32 v3, v13, v0
	v_add_nc_u32_e32 v7, 1, v13
	v_xor_b32_e32 v1, s6, v1
	v_max_i32_e32 v83, v27, v2
	v_sub_nc_u32_e32 v3, s5, v3
	v_cvt_f32_u32_e32 v2, v83
	v_sub_nc_u32_e32 v6, 0, v83
	s_mov_b32 s5, exec_lo
	v_sub_nc_u32_e32 v9, v3, v0
	v_rcp_iflag_f32_e32 v2, v2
	v_cmp_ge_u32_e32 vcc_lo, v3, v0
	v_cndmask_b32_e32 v7, v13, v7, vcc_lo
	v_cndmask_b32_e32 v3, v3, v9, vcc_lo
	v_mul_f32_e32 v2, 0x4f7ffffe, v2
	v_add_nc_u32_e32 v9, 1, v7
	v_cmp_ge_u32_e32 vcc_lo, v3, v0
	v_cvt_u32_f32_e32 v2, v2
	v_cndmask_b32_e32 v3, v7, v9, vcc_lo
	v_mul_lo_u32 v10, v6, v2
	s_waitcnt vmcnt(0)
	v_add_nc_u32_e32 v6, -1, v82
	v_xor_b32_e32 v7, v3, v1
	v_sub_nc_u32_e32 v12, 0, v6
	v_mul_hi_u32 v10, v2, v10
	v_max_i32_e32 v0, v6, v12
	v_add_nc_u32_e32 v2, v2, v10
	buffer_store_dword v2, off, s[0:3], s32 offset:224 ; 4-byte Folded Spill
	v_mad_u64_u32 v[2:3], null, v0, v2, 0
	v_sub_nc_u32_e32 v2, v7, v1
                                        ; implicit-def: $vgpr1
	s_waitcnt lgkmcnt(0)
	s_waitcnt_vscnt null, 0x0
	s_barrier
	buffer_gl0_inv
	buffer_store_dword v1, off, s[0:3], s32 offset:212 ; 4-byte Folded Spill
	buffer_store_dword v2, off, s[0:3], s32 offset:216 ; 4-byte Folded Spill
	v_cmpx_gt_i32_e32 0, v28
	s_xor_b32 s5, exec_lo, s5
	s_cbranch_execz .LBB331_6
; %bb.5:
	v_mad_u64_u32 v[7:8], null, v24, v8, v[2:3]
                                        ; implicit-def: $vgpr24
	v_mul_lo_u32 v1, v7, v28
                                        ; implicit-def: $vgpr28
	v_sub_nc_u32_e32 v1, 1, v1
	buffer_store_dword v1, off, s[0:3], s32 offset:212 ; 4-byte Folded Spill
	buffer_store_dword v2, off, s[0:3], s32 offset:216 ; 4-byte Folded Spill
.LBB331_6:
	s_or_saveexec_b32 s5, s5
	v_ashrrev_i32_e32 v1, 31, v6
	v_ashrrev_i32_e32 v6, 31, v27
	buffer_store_dword v6, off, s[0:3], s32 offset:220 ; 4-byte Folded Spill
	s_xor_b32 exec_lo, exec_lo, s5
	s_cbranch_execz .LBB331_8
; %bb.7:
	v_mad_u64_u32 v[6:7], null, s11, v24, s[12:13]
	v_mad_u64_u32 v[6:7], null, v6, v28, 1
	buffer_store_dword v6, off, s[0:3], s32 offset:212 ; 4-byte Folded Spill
	buffer_store_dword v7, off, s[0:3], s32 offset:216 ; 4-byte Folded Spill
.LBB331_8:
	s_or_b32 exec_lo, exec_lo, s5
	s_clause 0x1
	s_load_dword s17, s[8:9], 0x14
	s_load_dword s15, s[8:9], 0x8
	buffer_load_dword v10, off, s[0:3], s32 offset:220 ; 4-byte Folded Reload
	v_mul_lo_u32 v6, v3, v83
	v_add_nc_u32_e32 v7, 15, v82
	v_lshrrev_b32_e32 v45, 5, v29
	v_mul_lo_u32 v22, v2, v19
	v_sub_nc_u32_e32 v23, 0, v26
	v_lshrrev_b32_e32 v19, 3, v29
	v_ashrrev_i32_e32 v9, 31, v7
	v_sub_nc_u32_e32 v6, v0, v6
	v_add_nc_u32_e32 v0, 1, v3
	v_ashrrev_i32_e32 v24, 31, v22
	v_cmp_ge_u32_e32 vcc_lo, v6, v83
	v_sub_nc_u32_e32 v8, v6, v83
	v_cndmask_b32_e32 v3, v3, v0, vcc_lo
	v_cndmask_b32_e32 v6, v6, v8, vcc_lo
	v_mul_lo_u32 v0, v14, s10
	v_add_nc_u32_e32 v8, 1, v3
	v_cmp_ge_u32_e32 vcc_lo, v6, v83
	v_cndmask_b32_e32 v3, v3, v8, vcc_lo
	v_mov_b32_e32 v8, 0xff7fffff
	s_waitcnt vmcnt(0)
	v_xor_b32_e32 v10, v1, v10
	v_lshrrev_b32_e32 v1, 28, v9
	v_xor_b32_e32 v3, v3, v10
	v_add_nc_u32_e32 v2, v7, v1
	v_ashrrev_i32_e32 v1, 31, v0
	v_ashrrev_i32_e32 v6, 4, v2
	v_lshlrev_b32_e32 v2, 4, v45
	v_lshlrev_b64 v[16:17], 2, v[0:1]
	v_cmp_ge_i32_e64 s5, v45, v6
	buffer_store_dword v2, off, s[0:3], s32 offset:640 ; 4-byte Folded Spill
	v_sub_nc_u32_e32 v2, v3, v10
	buffer_store_dword v6, off, s[0:3], s32 offset:200 ; 4-byte Folded Spill
	v_cmp_lt_i32_e32 vcc_lo, v45, v6
	v_sub_nc_u32_e32 v0, v2, v25
	buffer_store_dword v0, off, s[0:3], s32 offset:228 ; 4-byte Folded Spill
	s_mov_b32 s9, exec_lo
	s_and_b32 s6, s9, vcc_lo
	buffer_store_dword v29, off, s[0:3], s32 offset:620 ; 4-byte Folded Spill
	buffer_store_dword v30, off, s[0:3], s32 offset:624 ; 4-byte Folded Spill
	;; [unrolled: 1-line block ×3, first 2 shown]
	s_mov_b32 exec_lo, s6
	s_cbranch_execz .LBB331_1044
; %bb.9:
	buffer_store_dword v83, off, s[0:3], s32 offset:388 ; 4-byte Folded Spill
	buffer_store_dword v15, off, s[0:3], s32 offset:664 ; 4-byte Folded Spill
	;; [unrolled: 1-line block ×6, first 2 shown]
	buffer_load_dword v3, off, s[0:3], s32 offset:600 ; 4-byte Folded Reload
	v_max_i32_e32 v6, v26, v23
	v_lshlrev_b32_e32 v8, 2, v30
	v_add_co_u32 v1, s6, v4, v22
	v_bfe_u32 v7, v29, 1, 4
	v_cvt_f32_u32_e32 v0, v6
	v_add_co_ci_u32_e64 v2, null, v5, v24, s6
	buffer_store_dword v6, off, s[0:3], s32 offset:392 ; 4-byte Folded Spill
	v_sub_nc_u32_e32 v4, 0, v6
	v_or_b32_e32 v6, 8, v8
	buffer_store_dword v22, off, s[0:3], s32 offset:680 ; 4-byte Folded Spill
	buffer_store_dword v24, off, s[0:3], s32 offset:688 ; 4-byte Folded Spill
	;; [unrolled: 1-line block ×6, first 2 shown]
	v_rcp_iflag_f32_e32 v0, v0
	v_lshlrev_b32_e32 v5, 4, v7
	s_ashr_i32 s19, s18, 31
	s_getpc_b64 s[12:13]
	s_add_u32 s12, s12, llvm.amdgcn.dynlds.offset.table@rel32@lo+4
	s_addc_u32 s13, s13, llvm.amdgcn.dynlds.offset.table@rel32@hi+12
	s_lshl_b64 s[20:21], s[18:19], 2
	v_lshlrev_b32_e32 v6, 2, v7
	s_add_u32 s12, s12, s20
	s_addc_u32 s13, s13, s21
	v_sub_nc_u32_e32 v7, v7, v82
	v_lshlrev_b32_e32 v9, 4, v45
	v_mul_f32_e32 v0, 0x4f7ffffe, v0
	v_mov_b32_e32 v25, 0
	v_lshlrev_b32_e32 v113, 8, v30
	v_mov_b32_e32 v115, 0x80
	s_mov_b32 s20, 0
	v_cvt_u32_f32_e32 v0, v0
	v_cmp_eq_u32_e32 vcc_lo, 0, v30
	v_mul_lo_u32 v4, v4, v0
	v_mul_hi_u32 v4, v0, v4
	v_add_nc_u32_e32 v0, v0, v4
	s_waitcnt vmcnt(0)
	v_cmp_neq_f32_e64 s6, 0, v3
	v_and_b32_e32 v3, 0x7c, v19
	v_add_co_u32 v3, s7, v3, v16
	buffer_store_dword v16, off, s[0:3], s32 offset:668 ; 4-byte Folded Spill
	buffer_store_dword v17, off, s[0:3], s32 offset:672 ; 4-byte Folded Spill
	s_load_dword s19, s[12:13], 0x0
	v_add_co_ci_u32_e64 v8, null, 0, v17, s7
	v_add_co_u32 v1, s7, v1, v5
	v_add_co_ci_u32_e64 v2, null, 0, v2, s7
	buffer_store_dword v1, off, s[0:3], s32 offset:588 ; 4-byte Folded Spill
	buffer_store_dword v2, off, s[0:3], s32 offset:592 ; 4-byte Folded Spill
	v_lshl_or_b32 v1, v45, 6, v6
	v_add_co_u32 v64, s7, v18, v3
	v_add_co_ci_u32_e64 v65, null, v11, v8, s7
	buffer_store_dword v1, off, s[0:3], s32 offset:204 ; 4-byte Folded Spill
	v_add_nc_u32_e32 v1, 1, v7
	buffer_store_dword v0, off, s[0:3], s32 offset:396 ; 4-byte Folded Spill
	v_mov_b32_e32 v0, 0xff7fffff
	buffer_store_dword v18, off, s[0:3], s32 offset:648 ; 4-byte Folded Spill
	buffer_store_dword v11, off, s[0:3], s32 offset:644 ; 4-byte Folded Spill
	;; [unrolled: 1-line block ×3, first 2 shown]
	v_mov_b32_e32 v1, v9
	buffer_store_dword v0, off, s[0:3], s32 offset:584 ; 4-byte Folded Spill
	buffer_store_dword v113, off, s[0:3], s32 offset:596 ; 4-byte Folded Spill
	s_branch .LBB331_12
.LBB331_10:                             ;   in Loop: Header=BB331_12 Depth=1
	s_or_b32 exec_lo, exec_lo, s8
.LBB331_11:                             ;   in Loop: Header=BB331_12 Depth=1
	s_or_b32 exec_lo, exec_lo, s21
	buffer_load_dword v45, off, s[0:3], s32 offset:232 ; 4-byte Folded Reload
	s_waitcnt lgkmcnt(0)
	s_clause 0x1
	buffer_load_dword v1, off, s[0:3], s32 offset:208
	buffer_load_dword v0, off, s[0:3], s32 offset:204
	v_add_co_u32 v64, s8, v64, 16
	v_add_co_ci_u32_e64 v65, null, 0, v65, s8
	s_waitcnt vmcnt(2)
	v_add_nc_u32_e32 v45, 4, v45
	s_waitcnt vmcnt(1)
	v_add_nc_u32_e32 v1, 64, v1
	;; [unrolled: 2-line block ×3, first 2 shown]
	buffer_store_dword v0, off, s[0:3], s32 offset:204 ; 4-byte Folded Spill
	buffer_load_dword v0, off, s[0:3], s32 offset:200 ; 4-byte Folded Reload
	s_waitcnt vmcnt(0)
	v_cmp_ge_i32_e64 s7, v45, v0
	s_or_b32 s20, s7, s20
	s_andn2_b32 exec_lo, exec_lo, s20
	s_cbranch_execz .LBB331_1043
.LBB331_12:                             ; =>This Inner Loop Header: Depth=1
	s_clause 0x1
	buffer_load_dword v0, off, s[0:3], s32 offset:224
	buffer_load_dword v4, off, s[0:3], s32 offset:388
	v_mov_b32_e32 v2, v1
	buffer_store_dword v45, off, s[0:3], s32 offset:232 ; 4-byte Folded Spill
	buffer_store_dword v2, off, s[0:3], s32 offset:208 ; 4-byte Folded Spill
	s_waitcnt vmcnt(1)
	v_mul_hi_u32 v0, v1, v0
	s_waitcnt vmcnt(0)
	v_mul_lo_u32 v1, v0, v4
	v_sub_nc_u32_e32 v1, v2, v1
	v_add_nc_u32_e32 v2, 1, v0
	v_sub_nc_u32_e32 v3, v1, v4
	v_cmp_ge_u32_e64 s7, v1, v4
	v_cndmask_b32_e64 v1, v1, v3, s7
	v_cndmask_b32_e64 v0, v0, v2, s7
	v_cmp_ge_u32_e64 s7, v1, v4
	buffer_load_dword v1, off, s[0:3], s32 offset:220 ; 4-byte Folded Reload
	v_add_nc_u32_e32 v2, 1, v0
	v_cndmask_b32_e64 v0, v0, v2, s7
	s_waitcnt vmcnt(0)
	v_xor_b32_e32 v0, v0, v1
	v_sub_nc_u32_e32 v0, v0, v1
	s_clause 0x3
	buffer_load_dword v1, off, s[0:3], s32 offset:212
	buffer_load_dword v2, off, s[0:3], s32 offset:216
	;; [unrolled: 1-line block ×4, first 2 shown]
	s_waitcnt vmcnt(3)
	v_add_nc_u32_e32 v1, v0, v1
	s_waitcnt vmcnt(2)
	v_sub_nc_u32_e32 v2, 0, v1
	v_max_i32_e32 v2, v1, v2
	v_ashrrev_i32_e32 v1, 31, v1
	s_waitcnt vmcnt(1)
	v_mul_hi_u32 v3, v2, v3
	s_waitcnt vmcnt(0)
	v_mul_lo_u32 v3, v3, v4
	v_sub_nc_u32_e32 v2, v2, v3
	v_sub_nc_u32_e32 v3, v2, v4
	v_cmp_ge_u32_e64 s7, v2, v4
	v_cndmask_b32_e64 v2, v2, v3, s7
	v_sub_nc_u32_e32 v3, v2, v4
	v_cmp_ge_u32_e64 s7, v2, v4
	v_cndmask_b32_e64 v2, v2, v3, s7
	v_xor_b32_e32 v2, v2, v1
	v_sub_nc_u32_e32 v1, v2, v1
	v_cmp_ne_u32_e64 s7, 0, v1
	buffer_load_dword v1, off, s[0:3], s32 offset:228 ; 4-byte Folded Reload
	s_waitcnt vmcnt(0)
	v_cmp_le_i32_e64 s8, v0, v1
	s_and_b32 s7, s7, s8
	s_and_saveexec_b32 s8, s7
	s_xor_b32 s7, exec_lo, s8
	s_cbranch_execz .LBB331_16
; %bb.13:                               ;   in Loop: Header=BB331_12 Depth=1
	s_and_saveexec_b32 s8, vcc_lo
	s_cbranch_execz .LBB331_15
; %bb.14:                               ;   in Loop: Header=BB331_12 Depth=1
	buffer_load_dword v0, off, s[0:3], s32 offset:204 ; 4-byte Folded Reload
	v_mov_b32_e32 v1, 0xff7fffff
	s_waitcnt vmcnt(0) lgkmcnt(0)
	v_add_nc_u32_e32 v0, s19, v0
	ds_write_b32 v0, v1
.LBB331_15:                             ;   in Loop: Header=BB331_12 Depth=1
	s_or_b32 exec_lo, exec_lo, s8
.LBB331_16:                             ;   in Loop: Header=BB331_12 Depth=1
	s_andn2_saveexec_b32 s21, s7
	s_cbranch_execz .LBB331_11
; %bb.17:                               ;   in Loop: Header=BB331_12 Depth=1
	flat_load_dword v0, v[64:65]
	s_clause 0x2
	buffer_load_dword v1, off, s[0:3], s32 offset:384
	buffer_load_dword v2, off, s[0:3], s32 offset:588
	;; [unrolled: 1-line block ×3, first 2 shown]
	v_mov_b32_e32 v121, 0
	v_mov_b32_e32 v26, 0
	s_waitcnt vmcnt(0) lgkmcnt(0)
	v_mad_i64_i32 v[66:67], null, v0, v1, v[2:3]
	buffer_load_dword v0, off, s[0:3], s32 offset:192 ; 4-byte Folded Reload
	s_waitcnt vmcnt(0)
	v_add_co_u32 v68, s7, v66, v0
	v_add_co_ci_u32_e64 v69, null, 0, v67, s7
	flat_load_dword v0, v[68:69]
	s_clause 0x1
	buffer_load_dword v1, off, s[0:3], s32 offset:576
	buffer_load_dword v2, off, s[0:3], s32 offset:580
	s_waitcnt vmcnt(2) lgkmcnt(0)
	v_cmp_ne_u16_sdwa s7, v0, v25 src0_sel:BYTE_0 src1_sel:DWORD
	s_waitcnt vmcnt(0)
	flat_load_dword v46, v[1:2]
	ds_read_b128 v[48:51], v113
	ds_read_b128 v[35:38], v113 offset:16
	ds_read_b128 v[31:34], v113 offset:32
	;; [unrolled: 1-line block ×4, first 2 shown]
	s_waitcnt lgkmcnt(0)
	buffer_store_dword v6, off, s[0:3], s32 offset:424 ; 4-byte Folded Spill
	buffer_store_dword v7, off, s[0:3], s32 offset:428 ; 4-byte Folded Spill
	buffer_store_dword v8, off, s[0:3], s32 offset:432 ; 4-byte Folded Spill
	buffer_store_dword v9, off, s[0:3], s32 offset:436 ; 4-byte Folded Spill
	ds_read_b128 v[6:9], v113 offset:80
	s_waitcnt lgkmcnt(0)
	buffer_store_dword v6, off, s[0:3], s32 offset:408 ; 4-byte Folded Spill
	buffer_store_dword v7, off, s[0:3], s32 offset:412 ; 4-byte Folded Spill
	;; [unrolled: 1-line block ×4, first 2 shown]
	ds_read_b32 v1, v113 offset:96
	s_waitcnt lgkmcnt(0)
	buffer_store_dword v1, off, s[0:3], s32 offset:400 ; 4-byte Folded Spill
	ds_read_u16 v1, v113 offset:100
	s_waitcnt lgkmcnt(0)
	buffer_store_dword v1, off, s[0:3], s32 offset:404 ; 4-byte Folded Spill
	s_and_saveexec_b32 s8, s7
	s_cbranch_execz .LBB331_25
; %bb.18:                               ;   in Loop: Header=BB331_12 Depth=1
	v_cmp_ne_u16_sdwa s7, v0, v115 src0_sel:BYTE_0 src1_sel:DWORD
	v_bfrev_b32_e32 v26, 1
	s_and_saveexec_b32 s22, s7
	s_cbranch_execz .LBB331_24
; %bb.19:                               ;   in Loop: Header=BB331_12 Depth=1
	v_and_b32_e32 v6, 0x7f, v0
	v_mov_b32_e32 v26, 0x7f800001
	s_mov_b32 s23, exec_lo
	v_cmpx_ne_u32_e32 0x7f, v6
	s_cbranch_execz .LBB331_23
; %bb.20:                               ;   in Loop: Header=BB331_12 Depth=1
	v_and_b32_e32 v24, 7, v0
	v_mov_b32_e32 v71, v25
	v_lshrrev_b32_e32 v1, 3, v6
	s_mov_b32 s24, exec_lo
	v_mov_b32_e32 v70, v24
	v_cmpx_gt_u32_e32 8, v6
; %bb.21:                               ;   in Loop: Header=BB331_12 Depth=1
	v_ffbh_u32_e32 v1, v24
	v_min_u32_e32 v1, 32, v1
	v_subrev_nc_u32_e32 v6, 28, v1
	v_sub_nc_u32_e32 v1, 29, v1
	v_lshlrev_b64 v[6:7], v6, v[24:25]
	v_and_b32_e32 v70, 7, v6
; %bb.22:                               ;   in Loop: Header=BB331_12 Depth=1
	s_or_b32 exec_lo, exec_lo, s24
	v_lshlrev_b32_e32 v6, 24, v0
	v_lshlrev_b32_e32 v7, 20, v70
	v_lshl_add_u32 v1, v1, 23, 0x3c000000
	v_and_b32_e32 v6, 0x80000000, v6
	v_or3_b32 v26, v7, v6, v1
.LBB331_23:                             ;   in Loop: Header=BB331_12 Depth=1
	s_or_b32 exec_lo, exec_lo, s23
.LBB331_24:                             ;   in Loop: Header=BB331_12 Depth=1
	s_or_b32 exec_lo, exec_lo, s22
.LBB331_25:                             ;   in Loop: Header=BB331_12 Depth=1
	s_or_b32 exec_lo, exec_lo, s8
	v_cmp_ne_u16_sdwa s7, v0, v25 src0_sel:BYTE_1 src1_sel:DWORD
	s_and_saveexec_b32 s8, s7
	s_cbranch_execz .LBB331_33
; %bb.26:                               ;   in Loop: Header=BB331_12 Depth=1
	v_cmp_ne_u16_sdwa s7, v0, v115 src0_sel:BYTE_1 src1_sel:DWORD
	v_bfrev_b32_e32 v121, 1
	s_and_saveexec_b32 s22, s7
	s_cbranch_execz .LBB331_32
; %bb.27:                               ;   in Loop: Header=BB331_12 Depth=1
	v_mov_b32_e32 v1, 0xffff
	v_mov_b32_e32 v121, 0x7f800001
	s_mov_b32 s23, exec_lo
	v_and_b32_sdwa v1, v1, v0 dst_sel:DWORD dst_unused:UNUSED_PAD src0_sel:DWORD src1_sel:BYTE_1
	v_and_b32_e32 v6, 0x7f, v1
	v_cmpx_ne_u32_e32 0x7f, v6
	s_cbranch_execz .LBB331_31
; %bb.28:                               ;   in Loop: Header=BB331_12 Depth=1
	v_and_b32_e32 v24, 7, v1
	v_mov_b32_e32 v71, v25
	v_lshrrev_b32_e32 v1, 3, v6
	s_mov_b32 s24, exec_lo
	v_mov_b32_e32 v70, v24
	v_cmpx_gt_u32_e32 8, v6
; %bb.29:                               ;   in Loop: Header=BB331_12 Depth=1
	v_ffbh_u32_e32 v1, v24
	v_min_u32_e32 v1, 32, v1
	v_subrev_nc_u32_e32 v6, 28, v1
	v_sub_nc_u32_e32 v1, 29, v1
	v_lshlrev_b64 v[6:7], v6, v[24:25]
	v_and_b32_e32 v70, 7, v6
; %bb.30:                               ;   in Loop: Header=BB331_12 Depth=1
	s_or_b32 exec_lo, exec_lo, s24
	v_lshlrev_b32_e32 v6, 16, v0
	v_lshlrev_b32_e32 v7, 20, v70
	v_lshl_add_u32 v1, v1, 23, 0x3c000000
	v_and_b32_e32 v6, 0x80000000, v6
	v_or3_b32 v121, v7, v6, v1
.LBB331_31:                             ;   in Loop: Header=BB331_12 Depth=1
	s_or_b32 exec_lo, exec_lo, s23
.LBB331_32:                             ;   in Loop: Header=BB331_12 Depth=1
	s_or_b32 exec_lo, exec_lo, s22
.LBB331_33:                             ;   in Loop: Header=BB331_12 Depth=1
	s_or_b32 exec_lo, exec_lo, s8
	v_mov_b32_e32 v1, 0xff
	v_mov_b32_e32 v52, 0
	v_mov_b32_e32 v53, 0
	s_mov_b32 s8, exec_lo
	v_and_b32_sdwa v1, v0, v1 dst_sel:DWORD dst_unused:UNUSED_PAD src0_sel:WORD_1 src1_sel:DWORD
	v_cmpx_ne_u16_e32 0, v1
	s_cbranch_execz .LBB331_41
; %bb.34:                               ;   in Loop: Header=BB331_12 Depth=1
	v_bfrev_b32_e32 v53, 1
	s_mov_b32 s22, exec_lo
	v_cmpx_ne_u16_e32 0x80, v1
	s_cbranch_execz .LBB331_40
; %bb.35:                               ;   in Loop: Header=BB331_12 Depth=1
	v_bfe_u32 v6, v0, 16, 7
	v_mov_b32_e32 v53, 0x7f800001
	s_mov_b32 s23, exec_lo
	v_cmpx_ne_u32_e32 0x7f, v6
	s_cbranch_execz .LBB331_39
; %bb.36:                               ;   in Loop: Header=BB331_12 Depth=1
	v_mov_b32_e32 v1, 7
	s_mov_b32 s24, exec_lo
	v_and_b32_sdwa v24, v0, v1 dst_sel:DWORD dst_unused:UNUSED_PAD src0_sel:WORD_1 src1_sel:DWORD
	v_mov_b32_e32 v71, v25
	v_lshrrev_b32_e32 v1, 3, v6
	v_mov_b32_e32 v70, v24
	v_cmpx_gt_u32_e32 8, v6
; %bb.37:                               ;   in Loop: Header=BB331_12 Depth=1
	v_ffbh_u32_e32 v1, v24
	v_min_u32_e32 v1, 32, v1
	v_subrev_nc_u32_e32 v6, 28, v1
	v_sub_nc_u32_e32 v1, 29, v1
	v_lshlrev_b64 v[6:7], v6, v[24:25]
	v_and_b32_e32 v70, 7, v6
; %bb.38:                               ;   in Loop: Header=BB331_12 Depth=1
	s_or_b32 exec_lo, exec_lo, s24
	v_mov_b32_e32 v6, 24
	v_lshlrev_b32_e32 v7, 20, v70
	v_lshl_add_u32 v1, v1, 23, 0x3c000000
	v_lshlrev_b32_sdwa v6, v6, v0 dst_sel:DWORD dst_unused:UNUSED_PAD src0_sel:DWORD src1_sel:WORD_1
	v_and_b32_e32 v6, 0x80000000, v6
	v_or3_b32 v53, v7, v6, v1
.LBB331_39:                             ;   in Loop: Header=BB331_12 Depth=1
	s_or_b32 exec_lo, exec_lo, s23
.LBB331_40:                             ;   in Loop: Header=BB331_12 Depth=1
	s_or_b32 exec_lo, exec_lo, s22
.LBB331_41:                             ;   in Loop: Header=BB331_12 Depth=1
	s_or_b32 exec_lo, exec_lo, s8
	s_mov_b32 s8, exec_lo
	v_cmpx_lt_u32_e32 0xffffff, v0
	s_cbranch_execz .LBB331_49
; %bb.42:                               ;   in Loop: Header=BB331_12 Depth=1
	v_cmp_ne_u32_sdwa s7, v0, v115 src0_sel:BYTE_3 src1_sel:DWORD
	v_bfrev_b32_e32 v52, 1
	s_and_saveexec_b32 s22, s7
	s_cbranch_execz .LBB331_48
; %bb.43:                               ;   in Loop: Header=BB331_12 Depth=1
	v_bfe_u32 v6, v0, 24, 7
	v_mov_b32_e32 v52, 0x7f800001
	s_mov_b32 s23, exec_lo
	v_cmpx_ne_u32_e32 0x7f, v6
	s_cbranch_execz .LBB331_47
; %bb.44:                               ;   in Loop: Header=BB331_12 Depth=1
	v_mov_b32_e32 v1, 7
	s_mov_b32 s24, exec_lo
	v_and_b32_sdwa v24, v0, v1 dst_sel:DWORD dst_unused:UNUSED_PAD src0_sel:BYTE_3 src1_sel:DWORD
	v_mov_b32_e32 v71, v25
	v_lshrrev_b32_e32 v1, 3, v6
	v_mov_b32_e32 v70, v24
	v_cmpx_gt_u32_e32 8, v6
; %bb.45:                               ;   in Loop: Header=BB331_12 Depth=1
	v_ffbh_u32_e32 v1, v24
	v_min_u32_e32 v1, 32, v1
	v_subrev_nc_u32_e32 v6, 28, v1
	v_sub_nc_u32_e32 v1, 29, v1
	v_lshlrev_b64 v[6:7], v6, v[24:25]
	v_and_b32_e32 v70, 7, v6
; %bb.46:                               ;   in Loop: Header=BB331_12 Depth=1
	s_or_b32 exec_lo, exec_lo, s24
	v_mov_b32_e32 v6, 24
	v_lshl_add_u32 v1, v1, 23, 0x3c000000
	v_lshlrev_b32_sdwa v0, v6, v0 dst_sel:DWORD dst_unused:UNUSED_PAD src0_sel:DWORD src1_sel:BYTE_3
	v_lshlrev_b32_e32 v6, 20, v70
	v_and_b32_e32 v0, 0x80000000, v0
	v_or3_b32 v52, v6, v0, v1
.LBB331_47:                             ;   in Loop: Header=BB331_12 Depth=1
	s_or_b32 exec_lo, exec_lo, s23
.LBB331_48:                             ;   in Loop: Header=BB331_12 Depth=1
	s_or_b32 exec_lo, exec_lo, s22
.LBB331_49:                             ;   in Loop: Header=BB331_12 Depth=1
	s_or_b32 exec_lo, exec_lo, s8
	flat_load_dword v6, v[68:69] offset:8
	v_mov_b32_e32 v0, 0
	v_mov_b32_e32 v57, 0
	s_waitcnt vmcnt(0) lgkmcnt(0)
	v_cmp_ne_u16_sdwa s7, v6, v25 src0_sel:BYTE_0 src1_sel:DWORD
	s_and_saveexec_b32 s8, s7
	s_cbranch_execz .LBB331_57
; %bb.50:                               ;   in Loop: Header=BB331_12 Depth=1
	v_cmp_ne_u16_sdwa s7, v6, v115 src0_sel:BYTE_0 src1_sel:DWORD
	v_bfrev_b32_e32 v57, 1
	s_and_saveexec_b32 s22, s7
	s_cbranch_execz .LBB331_56
; %bb.51:                               ;   in Loop: Header=BB331_12 Depth=1
	v_and_b32_e32 v7, 0x7f, v6
	v_mov_b32_e32 v57, 0x7f800001
	s_mov_b32 s23, exec_lo
	v_cmpx_ne_u32_e32 0x7f, v7
	s_cbranch_execz .LBB331_55
; %bb.52:                               ;   in Loop: Header=BB331_12 Depth=1
	v_and_b32_e32 v24, 7, v6
	v_mov_b32_e32 v71, v25
	v_lshrrev_b32_e32 v1, 3, v7
	s_mov_b32 s24, exec_lo
	v_mov_b32_e32 v70, v24
	v_cmpx_gt_u32_e32 8, v7
; %bb.53:                               ;   in Loop: Header=BB331_12 Depth=1
	v_ffbh_u32_e32 v1, v24
	v_min_u32_e32 v1, 32, v1
	v_subrev_nc_u32_e32 v7, 28, v1
	v_sub_nc_u32_e32 v1, 29, v1
	v_lshlrev_b64 v[7:8], v7, v[24:25]
	v_and_b32_e32 v70, 7, v7
; %bb.54:                               ;   in Loop: Header=BB331_12 Depth=1
	s_or_b32 exec_lo, exec_lo, s24
	v_lshlrev_b32_e32 v7, 24, v6
	v_lshlrev_b32_e32 v8, 20, v70
	v_lshl_add_u32 v1, v1, 23, 0x3c000000
	v_and_b32_e32 v7, 0x80000000, v7
	v_or3_b32 v57, v8, v7, v1
.LBB331_55:                             ;   in Loop: Header=BB331_12 Depth=1
	s_or_b32 exec_lo, exec_lo, s23
.LBB331_56:                             ;   in Loop: Header=BB331_12 Depth=1
	s_or_b32 exec_lo, exec_lo, s22
.LBB331_57:                             ;   in Loop: Header=BB331_12 Depth=1
	s_or_b32 exec_lo, exec_lo, s8
	v_cmp_ne_u16_sdwa s7, v6, v25 src0_sel:BYTE_1 src1_sel:DWORD
	s_and_saveexec_b32 s8, s7
	s_cbranch_execz .LBB331_65
; %bb.58:                               ;   in Loop: Header=BB331_12 Depth=1
	v_cmp_ne_u16_sdwa s7, v6, v115 src0_sel:BYTE_1 src1_sel:DWORD
	v_bfrev_b32_e32 v0, 1
	s_and_saveexec_b32 s22, s7
	s_cbranch_execz .LBB331_64
; %bb.59:                               ;   in Loop: Header=BB331_12 Depth=1
	v_mov_b32_e32 v0, 0xffff
	s_mov_b32 s23, exec_lo
	v_and_b32_sdwa v8, v0, v6 dst_sel:DWORD dst_unused:UNUSED_PAD src0_sel:DWORD src1_sel:BYTE_1
	v_mov_b32_e32 v0, 0x7f800001
	v_and_b32_e32 v7, 0x7f, v8
	v_cmpx_ne_u32_e32 0x7f, v7
	s_cbranch_execz .LBB331_63
; %bb.60:                               ;   in Loop: Header=BB331_12 Depth=1
	v_and_b32_e32 v24, 7, v8
	v_mov_b32_e32 v71, v25
	v_lshrrev_b32_e32 v0, 3, v7
	s_mov_b32 s24, exec_lo
	v_mov_b32_e32 v70, v24
	v_cmpx_gt_u32_e32 8, v7
; %bb.61:                               ;   in Loop: Header=BB331_12 Depth=1
	v_ffbh_u32_e32 v0, v24
	v_min_u32_e32 v0, 32, v0
	v_subrev_nc_u32_e32 v7, 28, v0
	v_sub_nc_u32_e32 v0, 29, v0
	v_lshlrev_b64 v[7:8], v7, v[24:25]
	v_and_b32_e32 v70, 7, v7
; %bb.62:                               ;   in Loop: Header=BB331_12 Depth=1
	s_or_b32 exec_lo, exec_lo, s24
	v_lshlrev_b32_e32 v7, 16, v6
	v_lshlrev_b32_e32 v8, 20, v70
	v_lshl_add_u32 v0, v0, 23, 0x3c000000
	v_and_b32_e32 v7, 0x80000000, v7
	v_or3_b32 v0, v8, v7, v0
.LBB331_63:                             ;   in Loop: Header=BB331_12 Depth=1
	s_or_b32 exec_lo, exec_lo, s23
.LBB331_64:                             ;   in Loop: Header=BB331_12 Depth=1
	s_or_b32 exec_lo, exec_lo, s22
.LBB331_65:                             ;   in Loop: Header=BB331_12 Depth=1
	s_or_b32 exec_lo, exec_lo, s8
	v_mov_b32_e32 v7, 0xff
	v_mov_b32_e32 v87, 0
	;; [unrolled: 1-line block ×3, first 2 shown]
	s_mov_b32 s8, exec_lo
	v_and_b32_sdwa v7, v6, v7 dst_sel:DWORD dst_unused:UNUSED_PAD src0_sel:WORD_1 src1_sel:DWORD
	v_cmpx_ne_u16_e32 0, v7
	s_cbranch_execz .LBB331_73
; %bb.66:                               ;   in Loop: Header=BB331_12 Depth=1
	v_bfrev_b32_e32 v54, 1
	s_mov_b32 s22, exec_lo
	v_cmpx_ne_u16_e32 0x80, v7
	s_cbranch_execz .LBB331_72
; %bb.67:                               ;   in Loop: Header=BB331_12 Depth=1
	v_bfe_u32 v8, v6, 16, 7
	v_mov_b32_e32 v54, 0x7f800001
	s_mov_b32 s23, exec_lo
	v_cmpx_ne_u32_e32 0x7f, v8
	s_cbranch_execz .LBB331_71
; %bb.68:                               ;   in Loop: Header=BB331_12 Depth=1
	v_mov_b32_e32 v7, 7
	s_mov_b32 s24, exec_lo
	v_and_b32_sdwa v24, v6, v7 dst_sel:DWORD dst_unused:UNUSED_PAD src0_sel:WORD_1 src1_sel:DWORD
	v_mov_b32_e32 v71, v25
	v_lshrrev_b32_e32 v7, 3, v8
	v_mov_b32_e32 v70, v24
	v_cmpx_gt_u32_e32 8, v8
; %bb.69:                               ;   in Loop: Header=BB331_12 Depth=1
	v_ffbh_u32_e32 v7, v24
	v_min_u32_e32 v7, 32, v7
	v_subrev_nc_u32_e32 v8, 28, v7
	v_sub_nc_u32_e32 v7, 29, v7
	v_lshlrev_b64 v[8:9], v8, v[24:25]
	v_and_b32_e32 v70, 7, v8
; %bb.70:                               ;   in Loop: Header=BB331_12 Depth=1
	s_or_b32 exec_lo, exec_lo, s24
	v_mov_b32_e32 v8, 24
	v_lshlrev_b32_e32 v9, 20, v70
	v_lshl_add_u32 v7, v7, 23, 0x3c000000
	v_lshlrev_b32_sdwa v8, v8, v6 dst_sel:DWORD dst_unused:UNUSED_PAD src0_sel:DWORD src1_sel:WORD_1
	v_and_b32_e32 v8, 0x80000000, v8
	v_or3_b32 v54, v9, v8, v7
.LBB331_71:                             ;   in Loop: Header=BB331_12 Depth=1
	s_or_b32 exec_lo, exec_lo, s23
.LBB331_72:                             ;   in Loop: Header=BB331_12 Depth=1
	s_or_b32 exec_lo, exec_lo, s22
.LBB331_73:                             ;   in Loop: Header=BB331_12 Depth=1
	s_or_b32 exec_lo, exec_lo, s8
	s_mov_b32 s8, exec_lo
	v_cmpx_lt_u32_e32 0xffffff, v6
	s_cbranch_execz .LBB331_81
; %bb.74:                               ;   in Loop: Header=BB331_12 Depth=1
	v_cmp_ne_u32_sdwa s7, v6, v115 src0_sel:BYTE_3 src1_sel:DWORD
	v_bfrev_b32_e32 v87, 1
	s_and_saveexec_b32 s22, s7
	s_cbranch_execz .LBB331_80
; %bb.75:                               ;   in Loop: Header=BB331_12 Depth=1
	v_bfe_u32 v8, v6, 24, 7
	v_mov_b32_e32 v87, 0x7f800001
	s_mov_b32 s23, exec_lo
	v_cmpx_ne_u32_e32 0x7f, v8
	s_cbranch_execz .LBB331_79
; %bb.76:                               ;   in Loop: Header=BB331_12 Depth=1
	v_mov_b32_e32 v7, 7
	s_mov_b32 s24, exec_lo
	v_and_b32_sdwa v24, v6, v7 dst_sel:DWORD dst_unused:UNUSED_PAD src0_sel:BYTE_3 src1_sel:DWORD
	v_mov_b32_e32 v71, v25
	v_lshrrev_b32_e32 v7, 3, v8
	v_mov_b32_e32 v70, v24
	v_cmpx_gt_u32_e32 8, v8
; %bb.77:                               ;   in Loop: Header=BB331_12 Depth=1
	v_ffbh_u32_e32 v7, v24
	v_min_u32_e32 v7, 32, v7
	v_subrev_nc_u32_e32 v8, 28, v7
	v_sub_nc_u32_e32 v7, 29, v7
	v_lshlrev_b64 v[8:9], v8, v[24:25]
	v_and_b32_e32 v70, 7, v8
; %bb.78:                               ;   in Loop: Header=BB331_12 Depth=1
	s_or_b32 exec_lo, exec_lo, s24
	v_mov_b32_e32 v8, 24
	v_lshl_add_u32 v7, v7, 23, 0x3c000000
	v_lshlrev_b32_sdwa v6, v8, v6 dst_sel:DWORD dst_unused:UNUSED_PAD src0_sel:DWORD src1_sel:BYTE_3
	v_lshlrev_b32_e32 v8, 20, v70
	v_and_b32_e32 v6, 0x80000000, v6
	v_or3_b32 v87, v8, v6, v7
.LBB331_79:                             ;   in Loop: Header=BB331_12 Depth=1
	s_or_b32 exec_lo, exec_lo, s23
.LBB331_80:                             ;   in Loop: Header=BB331_12 Depth=1
	s_or_b32 exec_lo, exec_lo, s22
.LBB331_81:                             ;   in Loop: Header=BB331_12 Depth=1
	s_or_b32 exec_lo, exec_lo, s8
	flat_load_dword v6, v[68:69] offset:256
	v_mov_b32_e32 v97, 0
	v_mov_b32_e32 v98, 0
	s_waitcnt vmcnt(0) lgkmcnt(0)
	v_cmp_ne_u16_sdwa s7, v6, v25 src0_sel:BYTE_0 src1_sel:DWORD
	s_and_saveexec_b32 s8, s7
	s_cbranch_execz .LBB331_89
; %bb.82:                               ;   in Loop: Header=BB331_12 Depth=1
	v_cmp_ne_u16_sdwa s7, v6, v115 src0_sel:BYTE_0 src1_sel:DWORD
	v_bfrev_b32_e32 v98, 1
	s_and_saveexec_b32 s22, s7
	s_cbranch_execz .LBB331_88
; %bb.83:                               ;   in Loop: Header=BB331_12 Depth=1
	v_and_b32_e32 v8, 0x7f, v6
	v_mov_b32_e32 v98, 0x7f800001
	s_mov_b32 s23, exec_lo
	v_cmpx_ne_u32_e32 0x7f, v8
	s_cbranch_execz .LBB331_87
; %bb.84:                               ;   in Loop: Header=BB331_12 Depth=1
	v_and_b32_e32 v24, 7, v6
	v_mov_b32_e32 v71, v25
	v_lshrrev_b32_e32 v7, 3, v8
	s_mov_b32 s24, exec_lo
	v_mov_b32_e32 v70, v24
	v_cmpx_gt_u32_e32 8, v8
; %bb.85:                               ;   in Loop: Header=BB331_12 Depth=1
	v_ffbh_u32_e32 v7, v24
	v_min_u32_e32 v7, 32, v7
	v_subrev_nc_u32_e32 v8, 28, v7
	v_sub_nc_u32_e32 v7, 29, v7
	v_lshlrev_b64 v[8:9], v8, v[24:25]
	v_and_b32_e32 v70, 7, v8
; %bb.86:                               ;   in Loop: Header=BB331_12 Depth=1
	s_or_b32 exec_lo, exec_lo, s24
	v_lshlrev_b32_e32 v8, 24, v6
	v_lshlrev_b32_e32 v9, 20, v70
	v_lshl_add_u32 v7, v7, 23, 0x3c000000
	v_and_b32_e32 v8, 0x80000000, v8
	v_or3_b32 v98, v9, v8, v7
.LBB331_87:                             ;   in Loop: Header=BB331_12 Depth=1
	s_or_b32 exec_lo, exec_lo, s23
.LBB331_88:                             ;   in Loop: Header=BB331_12 Depth=1
	s_or_b32 exec_lo, exec_lo, s22
.LBB331_89:                             ;   in Loop: Header=BB331_12 Depth=1
	s_or_b32 exec_lo, exec_lo, s8
	v_cmp_ne_u16_sdwa s7, v6, v25 src0_sel:BYTE_1 src1_sel:DWORD
	s_and_saveexec_b32 s8, s7
	s_cbranch_execz .LBB331_97
; %bb.90:                               ;   in Loop: Header=BB331_12 Depth=1
	v_cmp_ne_u16_sdwa s7, v6, v115 src0_sel:BYTE_1 src1_sel:DWORD
	v_bfrev_b32_e32 v97, 1
	s_and_saveexec_b32 s22, s7
	s_cbranch_execz .LBB331_96
; %bb.91:                               ;   in Loop: Header=BB331_12 Depth=1
	v_mov_b32_e32 v7, 0xffff
	v_mov_b32_e32 v97, 0x7f800001
	s_mov_b32 s23, exec_lo
	v_and_b32_sdwa v7, v7, v6 dst_sel:DWORD dst_unused:UNUSED_PAD src0_sel:DWORD src1_sel:BYTE_1
	v_and_b32_e32 v8, 0x7f, v7
	v_cmpx_ne_u32_e32 0x7f, v8
	s_cbranch_execz .LBB331_95
; %bb.92:                               ;   in Loop: Header=BB331_12 Depth=1
	v_and_b32_e32 v24, 7, v7
	v_mov_b32_e32 v71, v25
	v_lshrrev_b32_e32 v7, 3, v8
	s_mov_b32 s24, exec_lo
	v_mov_b32_e32 v70, v24
	v_cmpx_gt_u32_e32 8, v8
; %bb.93:                               ;   in Loop: Header=BB331_12 Depth=1
	v_ffbh_u32_e32 v7, v24
	v_min_u32_e32 v7, 32, v7
	v_subrev_nc_u32_e32 v8, 28, v7
	v_sub_nc_u32_e32 v7, 29, v7
	v_lshlrev_b64 v[8:9], v8, v[24:25]
	v_and_b32_e32 v70, 7, v8
; %bb.94:                               ;   in Loop: Header=BB331_12 Depth=1
	s_or_b32 exec_lo, exec_lo, s24
	v_lshlrev_b32_e32 v8, 16, v6
	v_lshlrev_b32_e32 v9, 20, v70
	v_lshl_add_u32 v7, v7, 23, 0x3c000000
	v_and_b32_e32 v8, 0x80000000, v8
	v_or3_b32 v97, v9, v8, v7
.LBB331_95:                             ;   in Loop: Header=BB331_12 Depth=1
	s_or_b32 exec_lo, exec_lo, s23
.LBB331_96:                             ;   in Loop: Header=BB331_12 Depth=1
	s_or_b32 exec_lo, exec_lo, s22
.LBB331_97:                             ;   in Loop: Header=BB331_12 Depth=1
	s_or_b32 exec_lo, exec_lo, s8
	v_mov_b32_e32 v7, 0xff
	v_mov_b32_e32 v99, 0
	;; [unrolled: 1-line block ×3, first 2 shown]
	s_mov_b32 s8, exec_lo
	v_and_b32_sdwa v7, v6, v7 dst_sel:DWORD dst_unused:UNUSED_PAD src0_sel:WORD_1 src1_sel:DWORD
	v_cmpx_ne_u16_e32 0, v7
	s_cbranch_execz .LBB331_105
; %bb.98:                               ;   in Loop: Header=BB331_12 Depth=1
	v_bfrev_b32_e32 v100, 1
	s_mov_b32 s22, exec_lo
	v_cmpx_ne_u16_e32 0x80, v7
	s_cbranch_execz .LBB331_104
; %bb.99:                               ;   in Loop: Header=BB331_12 Depth=1
	v_bfe_u32 v8, v6, 16, 7
	v_mov_b32_e32 v100, 0x7f800001
	s_mov_b32 s23, exec_lo
	v_cmpx_ne_u32_e32 0x7f, v8
	s_cbranch_execz .LBB331_103
; %bb.100:                              ;   in Loop: Header=BB331_12 Depth=1
	v_mov_b32_e32 v7, 7
	s_mov_b32 s24, exec_lo
	v_and_b32_sdwa v24, v6, v7 dst_sel:DWORD dst_unused:UNUSED_PAD src0_sel:WORD_1 src1_sel:DWORD
	v_mov_b32_e32 v71, v25
	v_lshrrev_b32_e32 v7, 3, v8
	v_mov_b32_e32 v70, v24
	v_cmpx_gt_u32_e32 8, v8
; %bb.101:                              ;   in Loop: Header=BB331_12 Depth=1
	v_ffbh_u32_e32 v7, v24
	v_min_u32_e32 v7, 32, v7
	v_subrev_nc_u32_e32 v8, 28, v7
	v_sub_nc_u32_e32 v7, 29, v7
	v_lshlrev_b64 v[8:9], v8, v[24:25]
	v_and_b32_e32 v70, 7, v8
; %bb.102:                              ;   in Loop: Header=BB331_12 Depth=1
	s_or_b32 exec_lo, exec_lo, s24
	v_mov_b32_e32 v8, 24
	v_lshlrev_b32_e32 v9, 20, v70
	v_lshl_add_u32 v7, v7, 23, 0x3c000000
	v_lshlrev_b32_sdwa v8, v8, v6 dst_sel:DWORD dst_unused:UNUSED_PAD src0_sel:DWORD src1_sel:WORD_1
	v_and_b32_e32 v8, 0x80000000, v8
	v_or3_b32 v100, v9, v8, v7
.LBB331_103:                            ;   in Loop: Header=BB331_12 Depth=1
	s_or_b32 exec_lo, exec_lo, s23
.LBB331_104:                            ;   in Loop: Header=BB331_12 Depth=1
	s_or_b32 exec_lo, exec_lo, s22
.LBB331_105:                            ;   in Loop: Header=BB331_12 Depth=1
	s_or_b32 exec_lo, exec_lo, s8
	s_mov_b32 s8, exec_lo
	v_cmpx_lt_u32_e32 0xffffff, v6
	s_cbranch_execz .LBB331_113
; %bb.106:                              ;   in Loop: Header=BB331_12 Depth=1
	v_cmp_ne_u32_sdwa s7, v6, v115 src0_sel:BYTE_3 src1_sel:DWORD
	v_bfrev_b32_e32 v99, 1
	s_and_saveexec_b32 s22, s7
	s_cbranch_execz .LBB331_112
; %bb.107:                              ;   in Loop: Header=BB331_12 Depth=1
	v_bfe_u32 v8, v6, 24, 7
	v_mov_b32_e32 v99, 0x7f800001
	s_mov_b32 s23, exec_lo
	v_cmpx_ne_u32_e32 0x7f, v8
	s_cbranch_execz .LBB331_111
; %bb.108:                              ;   in Loop: Header=BB331_12 Depth=1
	v_mov_b32_e32 v7, 7
	s_mov_b32 s24, exec_lo
	v_and_b32_sdwa v24, v6, v7 dst_sel:DWORD dst_unused:UNUSED_PAD src0_sel:BYTE_3 src1_sel:DWORD
	v_mov_b32_e32 v71, v25
	v_lshrrev_b32_e32 v7, 3, v8
	v_mov_b32_e32 v70, v24
	v_cmpx_gt_u32_e32 8, v8
; %bb.109:                              ;   in Loop: Header=BB331_12 Depth=1
	v_ffbh_u32_e32 v7, v24
	v_min_u32_e32 v7, 32, v7
	v_subrev_nc_u32_e32 v8, 28, v7
	v_sub_nc_u32_e32 v7, 29, v7
	v_lshlrev_b64 v[8:9], v8, v[24:25]
	v_and_b32_e32 v70, 7, v8
; %bb.110:                              ;   in Loop: Header=BB331_12 Depth=1
	s_or_b32 exec_lo, exec_lo, s24
	v_mov_b32_e32 v8, 24
	v_lshl_add_u32 v7, v7, 23, 0x3c000000
	v_lshlrev_b32_sdwa v6, v8, v6 dst_sel:DWORD dst_unused:UNUSED_PAD src0_sel:DWORD src1_sel:BYTE_3
	v_lshlrev_b32_e32 v8, 20, v70
	v_and_b32_e32 v6, 0x80000000, v6
	v_or3_b32 v99, v8, v6, v7
.LBB331_111:                            ;   in Loop: Header=BB331_12 Depth=1
	s_or_b32 exec_lo, exec_lo, s23
.LBB331_112:                            ;   in Loop: Header=BB331_12 Depth=1
	s_or_b32 exec_lo, exec_lo, s22
.LBB331_113:                            ;   in Loop: Header=BB331_12 Depth=1
	s_or_b32 exec_lo, exec_lo, s8
	flat_load_dword v6, v[68:69] offset:264
	v_mov_b32_e32 v101, 0
	v_mov_b32_e32 v103, 0
	s_waitcnt vmcnt(0) lgkmcnt(0)
	v_cmp_ne_u16_sdwa s7, v6, v25 src0_sel:BYTE_0 src1_sel:DWORD
	s_and_saveexec_b32 s8, s7
	s_cbranch_execz .LBB331_121
; %bb.114:                              ;   in Loop: Header=BB331_12 Depth=1
	v_cmp_ne_u16_sdwa s7, v6, v115 src0_sel:BYTE_0 src1_sel:DWORD
	v_bfrev_b32_e32 v103, 1
	s_and_saveexec_b32 s22, s7
	s_cbranch_execz .LBB331_120
; %bb.115:                              ;   in Loop: Header=BB331_12 Depth=1
	v_and_b32_e32 v8, 0x7f, v6
	v_mov_b32_e32 v103, 0x7f800001
	s_mov_b32 s23, exec_lo
	v_cmpx_ne_u32_e32 0x7f, v8
	s_cbranch_execz .LBB331_119
; %bb.116:                              ;   in Loop: Header=BB331_12 Depth=1
	v_and_b32_e32 v24, 7, v6
	v_mov_b32_e32 v71, v25
	v_lshrrev_b32_e32 v7, 3, v8
	s_mov_b32 s24, exec_lo
	v_mov_b32_e32 v70, v24
	v_cmpx_gt_u32_e32 8, v8
; %bb.117:                              ;   in Loop: Header=BB331_12 Depth=1
	v_ffbh_u32_e32 v7, v24
	v_min_u32_e32 v7, 32, v7
	v_subrev_nc_u32_e32 v8, 28, v7
	v_sub_nc_u32_e32 v7, 29, v7
	v_lshlrev_b64 v[8:9], v8, v[24:25]
	v_and_b32_e32 v70, 7, v8
; %bb.118:                              ;   in Loop: Header=BB331_12 Depth=1
	s_or_b32 exec_lo, exec_lo, s24
	v_lshlrev_b32_e32 v8, 24, v6
	v_lshlrev_b32_e32 v9, 20, v70
	v_lshl_add_u32 v7, v7, 23, 0x3c000000
	v_and_b32_e32 v8, 0x80000000, v8
	v_or3_b32 v103, v9, v8, v7
.LBB331_119:                            ;   in Loop: Header=BB331_12 Depth=1
	s_or_b32 exec_lo, exec_lo, s23
.LBB331_120:                            ;   in Loop: Header=BB331_12 Depth=1
	s_or_b32 exec_lo, exec_lo, s22
.LBB331_121:                            ;   in Loop: Header=BB331_12 Depth=1
	s_or_b32 exec_lo, exec_lo, s8
	v_cmp_ne_u16_sdwa s7, v6, v25 src0_sel:BYTE_1 src1_sel:DWORD
	s_and_saveexec_b32 s8, s7
	s_cbranch_execz .LBB331_129
; %bb.122:                              ;   in Loop: Header=BB331_12 Depth=1
	v_cmp_ne_u16_sdwa s7, v6, v115 src0_sel:BYTE_1 src1_sel:DWORD
	v_bfrev_b32_e32 v101, 1
	s_and_saveexec_b32 s22, s7
	s_cbranch_execz .LBB331_128
; %bb.123:                              ;   in Loop: Header=BB331_12 Depth=1
	v_mov_b32_e32 v7, 0xffff
	v_mov_b32_e32 v101, 0x7f800001
	s_mov_b32 s23, exec_lo
	v_and_b32_sdwa v7, v7, v6 dst_sel:DWORD dst_unused:UNUSED_PAD src0_sel:DWORD src1_sel:BYTE_1
	v_and_b32_e32 v8, 0x7f, v7
	v_cmpx_ne_u32_e32 0x7f, v8
	s_cbranch_execz .LBB331_127
; %bb.124:                              ;   in Loop: Header=BB331_12 Depth=1
	v_and_b32_e32 v24, 7, v7
	v_mov_b32_e32 v71, v25
	v_lshrrev_b32_e32 v7, 3, v8
	s_mov_b32 s24, exec_lo
	v_mov_b32_e32 v70, v24
	v_cmpx_gt_u32_e32 8, v8
; %bb.125:                              ;   in Loop: Header=BB331_12 Depth=1
	v_ffbh_u32_e32 v7, v24
	v_min_u32_e32 v7, 32, v7
	v_subrev_nc_u32_e32 v8, 28, v7
	v_sub_nc_u32_e32 v7, 29, v7
	v_lshlrev_b64 v[8:9], v8, v[24:25]
	v_and_b32_e32 v70, 7, v8
; %bb.126:                              ;   in Loop: Header=BB331_12 Depth=1
	s_or_b32 exec_lo, exec_lo, s24
	v_lshlrev_b32_e32 v8, 16, v6
	v_lshlrev_b32_e32 v9, 20, v70
	v_lshl_add_u32 v7, v7, 23, 0x3c000000
	v_and_b32_e32 v8, 0x80000000, v8
	v_or3_b32 v101, v9, v8, v7
.LBB331_127:                            ;   in Loop: Header=BB331_12 Depth=1
	s_or_b32 exec_lo, exec_lo, s23
.LBB331_128:                            ;   in Loop: Header=BB331_12 Depth=1
	s_or_b32 exec_lo, exec_lo, s22
.LBB331_129:                            ;   in Loop: Header=BB331_12 Depth=1
	s_or_b32 exec_lo, exec_lo, s8
	v_mov_b32_e32 v7, 0xff
	v_mov_b32_e32 v83, 0
	;; [unrolled: 1-line block ×3, first 2 shown]
	s_mov_b32 s8, exec_lo
	v_and_b32_sdwa v7, v6, v7 dst_sel:DWORD dst_unused:UNUSED_PAD src0_sel:WORD_1 src1_sel:DWORD
	v_cmpx_ne_u16_e32 0, v7
	s_cbranch_execz .LBB331_137
; %bb.130:                              ;   in Loop: Header=BB331_12 Depth=1
	v_bfrev_b32_e32 v85, 1
	s_mov_b32 s22, exec_lo
	v_cmpx_ne_u16_e32 0x80, v7
	s_cbranch_execz .LBB331_136
; %bb.131:                              ;   in Loop: Header=BB331_12 Depth=1
	v_bfe_u32 v8, v6, 16, 7
	v_mov_b32_e32 v85, 0x7f800001
	s_mov_b32 s23, exec_lo
	v_cmpx_ne_u32_e32 0x7f, v8
	s_cbranch_execz .LBB331_135
; %bb.132:                              ;   in Loop: Header=BB331_12 Depth=1
	v_mov_b32_e32 v7, 7
	s_mov_b32 s24, exec_lo
	v_and_b32_sdwa v24, v6, v7 dst_sel:DWORD dst_unused:UNUSED_PAD src0_sel:WORD_1 src1_sel:DWORD
	v_mov_b32_e32 v71, v25
	v_lshrrev_b32_e32 v7, 3, v8
	v_mov_b32_e32 v70, v24
	v_cmpx_gt_u32_e32 8, v8
; %bb.133:                              ;   in Loop: Header=BB331_12 Depth=1
	v_ffbh_u32_e32 v7, v24
	v_min_u32_e32 v7, 32, v7
	v_subrev_nc_u32_e32 v8, 28, v7
	v_sub_nc_u32_e32 v7, 29, v7
	v_lshlrev_b64 v[8:9], v8, v[24:25]
	v_and_b32_e32 v70, 7, v8
; %bb.134:                              ;   in Loop: Header=BB331_12 Depth=1
	s_or_b32 exec_lo, exec_lo, s24
	v_mov_b32_e32 v8, 24
	v_lshlrev_b32_e32 v9, 20, v70
	v_lshl_add_u32 v7, v7, 23, 0x3c000000
	v_lshlrev_b32_sdwa v8, v8, v6 dst_sel:DWORD dst_unused:UNUSED_PAD src0_sel:DWORD src1_sel:WORD_1
	v_and_b32_e32 v8, 0x80000000, v8
	v_or3_b32 v85, v9, v8, v7
.LBB331_135:                            ;   in Loop: Header=BB331_12 Depth=1
	s_or_b32 exec_lo, exec_lo, s23
.LBB331_136:                            ;   in Loop: Header=BB331_12 Depth=1
	s_or_b32 exec_lo, exec_lo, s22
.LBB331_137:                            ;   in Loop: Header=BB331_12 Depth=1
	s_or_b32 exec_lo, exec_lo, s8
	s_mov_b32 s8, exec_lo
	v_cmpx_lt_u32_e32 0xffffff, v6
	s_cbranch_execz .LBB331_145
; %bb.138:                              ;   in Loop: Header=BB331_12 Depth=1
	v_cmp_ne_u32_sdwa s7, v6, v115 src0_sel:BYTE_3 src1_sel:DWORD
	v_bfrev_b32_e32 v83, 1
	s_and_saveexec_b32 s22, s7
	s_cbranch_execz .LBB331_144
; %bb.139:                              ;   in Loop: Header=BB331_12 Depth=1
	v_bfe_u32 v8, v6, 24, 7
	v_mov_b32_e32 v83, 0x7f800001
	s_mov_b32 s23, exec_lo
	v_cmpx_ne_u32_e32 0x7f, v8
	s_cbranch_execz .LBB331_143
; %bb.140:                              ;   in Loop: Header=BB331_12 Depth=1
	v_mov_b32_e32 v7, 7
	s_mov_b32 s24, exec_lo
	v_and_b32_sdwa v24, v6, v7 dst_sel:DWORD dst_unused:UNUSED_PAD src0_sel:BYTE_3 src1_sel:DWORD
	v_mov_b32_e32 v71, v25
	v_lshrrev_b32_e32 v7, 3, v8
	v_mov_b32_e32 v70, v24
	v_cmpx_gt_u32_e32 8, v8
; %bb.141:                              ;   in Loop: Header=BB331_12 Depth=1
	v_ffbh_u32_e32 v7, v24
	v_min_u32_e32 v7, 32, v7
	v_subrev_nc_u32_e32 v8, 28, v7
	v_sub_nc_u32_e32 v7, 29, v7
	v_lshlrev_b64 v[8:9], v8, v[24:25]
	v_and_b32_e32 v70, 7, v8
; %bb.142:                              ;   in Loop: Header=BB331_12 Depth=1
	s_or_b32 exec_lo, exec_lo, s24
	v_mov_b32_e32 v8, 24
	v_lshl_add_u32 v7, v7, 23, 0x3c000000
	v_lshlrev_b32_sdwa v6, v8, v6 dst_sel:DWORD dst_unused:UNUSED_PAD src0_sel:DWORD src1_sel:BYTE_3
	v_lshlrev_b32_e32 v8, 20, v70
	v_and_b32_e32 v6, 0x80000000, v6
	v_or3_b32 v83, v8, v6, v7
.LBB331_143:                            ;   in Loop: Header=BB331_12 Depth=1
	s_or_b32 exec_lo, exec_lo, s23
.LBB331_144:                            ;   in Loop: Header=BB331_12 Depth=1
	s_or_b32 exec_lo, exec_lo, s22
.LBB331_145:                            ;   in Loop: Header=BB331_12 Depth=1
	s_or_b32 exec_lo, exec_lo, s8
	flat_load_dword v6, v[68:69] offset:512
	v_mov_b32_e32 v116, 0
	v_mov_b32_e32 v117, 0
	s_waitcnt vmcnt(0) lgkmcnt(0)
	v_cmp_ne_u16_sdwa s7, v6, v25 src0_sel:BYTE_0 src1_sel:DWORD
	s_and_saveexec_b32 s8, s7
	s_cbranch_execz .LBB331_153
; %bb.146:                              ;   in Loop: Header=BB331_12 Depth=1
	v_cmp_ne_u16_sdwa s7, v6, v115 src0_sel:BYTE_0 src1_sel:DWORD
	v_bfrev_b32_e32 v117, 1
	s_and_saveexec_b32 s22, s7
	s_cbranch_execz .LBB331_152
; %bb.147:                              ;   in Loop: Header=BB331_12 Depth=1
	v_and_b32_e32 v8, 0x7f, v6
	v_mov_b32_e32 v117, 0x7f800001
	s_mov_b32 s23, exec_lo
	v_cmpx_ne_u32_e32 0x7f, v8
	s_cbranch_execz .LBB331_151
; %bb.148:                              ;   in Loop: Header=BB331_12 Depth=1
	v_and_b32_e32 v24, 7, v6
	v_mov_b32_e32 v71, v25
	v_lshrrev_b32_e32 v7, 3, v8
	s_mov_b32 s24, exec_lo
	v_mov_b32_e32 v70, v24
	v_cmpx_gt_u32_e32 8, v8
; %bb.149:                              ;   in Loop: Header=BB331_12 Depth=1
	v_ffbh_u32_e32 v7, v24
	v_min_u32_e32 v7, 32, v7
	v_subrev_nc_u32_e32 v8, 28, v7
	v_sub_nc_u32_e32 v7, 29, v7
	v_lshlrev_b64 v[8:9], v8, v[24:25]
	v_and_b32_e32 v70, 7, v8
; %bb.150:                              ;   in Loop: Header=BB331_12 Depth=1
	s_or_b32 exec_lo, exec_lo, s24
	v_lshlrev_b32_e32 v8, 24, v6
	v_lshlrev_b32_e32 v9, 20, v70
	v_lshl_add_u32 v7, v7, 23, 0x3c000000
	v_and_b32_e32 v8, 0x80000000, v8
	v_or3_b32 v117, v9, v8, v7
.LBB331_151:                            ;   in Loop: Header=BB331_12 Depth=1
	s_or_b32 exec_lo, exec_lo, s23
.LBB331_152:                            ;   in Loop: Header=BB331_12 Depth=1
	s_or_b32 exec_lo, exec_lo, s22
.LBB331_153:                            ;   in Loop: Header=BB331_12 Depth=1
	s_or_b32 exec_lo, exec_lo, s8
	v_cmp_ne_u16_sdwa s7, v6, v25 src0_sel:BYTE_1 src1_sel:DWORD
	s_and_saveexec_b32 s8, s7
	s_cbranch_execz .LBB331_161
; %bb.154:                              ;   in Loop: Header=BB331_12 Depth=1
	v_cmp_ne_u16_sdwa s7, v6, v115 src0_sel:BYTE_1 src1_sel:DWORD
	v_bfrev_b32_e32 v116, 1
	s_and_saveexec_b32 s22, s7
	s_cbranch_execz .LBB331_160
; %bb.155:                              ;   in Loop: Header=BB331_12 Depth=1
	v_mov_b32_e32 v7, 0xffff
	v_mov_b32_e32 v116, 0x7f800001
	s_mov_b32 s23, exec_lo
	v_and_b32_sdwa v7, v7, v6 dst_sel:DWORD dst_unused:UNUSED_PAD src0_sel:DWORD src1_sel:BYTE_1
	v_and_b32_e32 v8, 0x7f, v7
	v_cmpx_ne_u32_e32 0x7f, v8
	s_cbranch_execz .LBB331_159
; %bb.156:                              ;   in Loop: Header=BB331_12 Depth=1
	v_and_b32_e32 v24, 7, v7
	v_mov_b32_e32 v71, v25
	v_lshrrev_b32_e32 v7, 3, v8
	s_mov_b32 s24, exec_lo
	v_mov_b32_e32 v70, v24
	v_cmpx_gt_u32_e32 8, v8
; %bb.157:                              ;   in Loop: Header=BB331_12 Depth=1
	v_ffbh_u32_e32 v7, v24
	v_min_u32_e32 v7, 32, v7
	v_subrev_nc_u32_e32 v8, 28, v7
	v_sub_nc_u32_e32 v7, 29, v7
	v_lshlrev_b64 v[8:9], v8, v[24:25]
	v_and_b32_e32 v70, 7, v8
; %bb.158:                              ;   in Loop: Header=BB331_12 Depth=1
	s_or_b32 exec_lo, exec_lo, s24
	v_lshlrev_b32_e32 v8, 16, v6
	v_lshlrev_b32_e32 v9, 20, v70
	v_lshl_add_u32 v7, v7, 23, 0x3c000000
	v_and_b32_e32 v8, 0x80000000, v8
	v_or3_b32 v116, v9, v8, v7
.LBB331_159:                            ;   in Loop: Header=BB331_12 Depth=1
	s_or_b32 exec_lo, exec_lo, s23
.LBB331_160:                            ;   in Loop: Header=BB331_12 Depth=1
	s_or_b32 exec_lo, exec_lo, s22
.LBB331_161:                            ;   in Loop: Header=BB331_12 Depth=1
	s_or_b32 exec_lo, exec_lo, s8
	v_mov_b32_e32 v7, 0xff
	v_mov_b32_e32 v118, 0
	;; [unrolled: 1-line block ×3, first 2 shown]
	s_mov_b32 s8, exec_lo
	v_and_b32_sdwa v7, v6, v7 dst_sel:DWORD dst_unused:UNUSED_PAD src0_sel:WORD_1 src1_sel:DWORD
	v_cmpx_ne_u16_e32 0, v7
	s_cbranch_execz .LBB331_169
; %bb.162:                              ;   in Loop: Header=BB331_12 Depth=1
	v_bfrev_b32_e32 v40, 1
	s_mov_b32 s22, exec_lo
	v_cmpx_ne_u16_e32 0x80, v7
	s_cbranch_execz .LBB331_168
; %bb.163:                              ;   in Loop: Header=BB331_12 Depth=1
	v_bfe_u32 v8, v6, 16, 7
	v_mov_b32_e32 v40, 0x7f800001
	s_mov_b32 s23, exec_lo
	v_cmpx_ne_u32_e32 0x7f, v8
	s_cbranch_execz .LBB331_167
; %bb.164:                              ;   in Loop: Header=BB331_12 Depth=1
	v_mov_b32_e32 v7, 7
	s_mov_b32 s24, exec_lo
	v_and_b32_sdwa v24, v6, v7 dst_sel:DWORD dst_unused:UNUSED_PAD src0_sel:WORD_1 src1_sel:DWORD
	v_mov_b32_e32 v71, v25
	v_lshrrev_b32_e32 v7, 3, v8
	v_mov_b32_e32 v70, v24
	v_cmpx_gt_u32_e32 8, v8
; %bb.165:                              ;   in Loop: Header=BB331_12 Depth=1
	v_ffbh_u32_e32 v7, v24
	v_min_u32_e32 v7, 32, v7
	v_subrev_nc_u32_e32 v8, 28, v7
	v_sub_nc_u32_e32 v7, 29, v7
	v_lshlrev_b64 v[8:9], v8, v[24:25]
	v_and_b32_e32 v70, 7, v8
; %bb.166:                              ;   in Loop: Header=BB331_12 Depth=1
	s_or_b32 exec_lo, exec_lo, s24
	v_mov_b32_e32 v8, 24
	v_lshlrev_b32_e32 v9, 20, v70
	v_lshl_add_u32 v7, v7, 23, 0x3c000000
	v_lshlrev_b32_sdwa v8, v8, v6 dst_sel:DWORD dst_unused:UNUSED_PAD src0_sel:DWORD src1_sel:WORD_1
	v_and_b32_e32 v8, 0x80000000, v8
	v_or3_b32 v40, v9, v8, v7
.LBB331_167:                            ;   in Loop: Header=BB331_12 Depth=1
	s_or_b32 exec_lo, exec_lo, s23
.LBB331_168:                            ;   in Loop: Header=BB331_12 Depth=1
	s_or_b32 exec_lo, exec_lo, s22
.LBB331_169:                            ;   in Loop: Header=BB331_12 Depth=1
	s_or_b32 exec_lo, exec_lo, s8
	s_mov_b32 s8, exec_lo
	v_cmpx_lt_u32_e32 0xffffff, v6
	s_cbranch_execz .LBB331_177
; %bb.170:                              ;   in Loop: Header=BB331_12 Depth=1
	v_cmp_ne_u32_sdwa s7, v6, v115 src0_sel:BYTE_3 src1_sel:DWORD
	v_bfrev_b32_e32 v118, 1
	s_and_saveexec_b32 s22, s7
	s_cbranch_execz .LBB331_176
; %bb.171:                              ;   in Loop: Header=BB331_12 Depth=1
	v_bfe_u32 v8, v6, 24, 7
	v_mov_b32_e32 v118, 0x7f800001
	s_mov_b32 s23, exec_lo
	v_cmpx_ne_u32_e32 0x7f, v8
	s_cbranch_execz .LBB331_175
; %bb.172:                              ;   in Loop: Header=BB331_12 Depth=1
	v_mov_b32_e32 v7, 7
	s_mov_b32 s24, exec_lo
	v_and_b32_sdwa v24, v6, v7 dst_sel:DWORD dst_unused:UNUSED_PAD src0_sel:BYTE_3 src1_sel:DWORD
	v_mov_b32_e32 v71, v25
	v_lshrrev_b32_e32 v7, 3, v8
	v_mov_b32_e32 v70, v24
	v_cmpx_gt_u32_e32 8, v8
; %bb.173:                              ;   in Loop: Header=BB331_12 Depth=1
	v_ffbh_u32_e32 v7, v24
	v_min_u32_e32 v7, 32, v7
	v_subrev_nc_u32_e32 v8, 28, v7
	v_sub_nc_u32_e32 v7, 29, v7
	v_lshlrev_b64 v[8:9], v8, v[24:25]
	v_and_b32_e32 v70, 7, v8
; %bb.174:                              ;   in Loop: Header=BB331_12 Depth=1
	s_or_b32 exec_lo, exec_lo, s24
	v_mov_b32_e32 v8, 24
	v_lshl_add_u32 v7, v7, 23, 0x3c000000
	v_lshlrev_b32_sdwa v6, v8, v6 dst_sel:DWORD dst_unused:UNUSED_PAD src0_sel:DWORD src1_sel:BYTE_3
	v_lshlrev_b32_e32 v8, 20, v70
	v_and_b32_e32 v6, 0x80000000, v6
	v_or3_b32 v118, v8, v6, v7
.LBB331_175:                            ;   in Loop: Header=BB331_12 Depth=1
	s_or_b32 exec_lo, exec_lo, s23
.LBB331_176:                            ;   in Loop: Header=BB331_12 Depth=1
	s_or_b32 exec_lo, exec_lo, s22
.LBB331_177:                            ;   in Loop: Header=BB331_12 Depth=1
	s_or_b32 exec_lo, exec_lo, s8
	flat_load_dword v6, v[68:69] offset:520
	v_mov_b32_e32 v41, 0
	v_mov_b32_e32 v112, 0
	s_waitcnt vmcnt(0) lgkmcnt(0)
	v_cmp_ne_u16_sdwa s7, v6, v25 src0_sel:BYTE_0 src1_sel:DWORD
	s_and_saveexec_b32 s8, s7
	s_cbranch_execz .LBB331_185
; %bb.178:                              ;   in Loop: Header=BB331_12 Depth=1
	v_cmp_ne_u16_sdwa s7, v6, v115 src0_sel:BYTE_0 src1_sel:DWORD
	v_bfrev_b32_e32 v112, 1
	s_and_saveexec_b32 s22, s7
	s_cbranch_execz .LBB331_184
; %bb.179:                              ;   in Loop: Header=BB331_12 Depth=1
	v_and_b32_e32 v8, 0x7f, v6
	v_mov_b32_e32 v112, 0x7f800001
	s_mov_b32 s23, exec_lo
	v_cmpx_ne_u32_e32 0x7f, v8
	s_cbranch_execz .LBB331_183
; %bb.180:                              ;   in Loop: Header=BB331_12 Depth=1
	v_and_b32_e32 v24, 7, v6
	v_mov_b32_e32 v71, v25
	v_lshrrev_b32_e32 v7, 3, v8
	s_mov_b32 s24, exec_lo
	v_mov_b32_e32 v70, v24
	v_cmpx_gt_u32_e32 8, v8
; %bb.181:                              ;   in Loop: Header=BB331_12 Depth=1
	v_ffbh_u32_e32 v7, v24
	v_min_u32_e32 v7, 32, v7
	v_subrev_nc_u32_e32 v8, 28, v7
	v_sub_nc_u32_e32 v7, 29, v7
	v_lshlrev_b64 v[8:9], v8, v[24:25]
	v_and_b32_e32 v70, 7, v8
; %bb.182:                              ;   in Loop: Header=BB331_12 Depth=1
	s_or_b32 exec_lo, exec_lo, s24
	v_lshlrev_b32_e32 v8, 24, v6
	v_lshlrev_b32_e32 v9, 20, v70
	v_lshl_add_u32 v7, v7, 23, 0x3c000000
	v_and_b32_e32 v8, 0x80000000, v8
	v_or3_b32 v112, v9, v8, v7
.LBB331_183:                            ;   in Loop: Header=BB331_12 Depth=1
	s_or_b32 exec_lo, exec_lo, s23
.LBB331_184:                            ;   in Loop: Header=BB331_12 Depth=1
	s_or_b32 exec_lo, exec_lo, s22
.LBB331_185:                            ;   in Loop: Header=BB331_12 Depth=1
	s_or_b32 exec_lo, exec_lo, s8
	v_cmp_ne_u16_sdwa s7, v6, v25 src0_sel:BYTE_1 src1_sel:DWORD
	s_and_saveexec_b32 s8, s7
	s_cbranch_execz .LBB331_193
; %bb.186:                              ;   in Loop: Header=BB331_12 Depth=1
	v_cmp_ne_u16_sdwa s7, v6, v115 src0_sel:BYTE_1 src1_sel:DWORD
	v_bfrev_b32_e32 v41, 1
	s_and_saveexec_b32 s22, s7
	s_cbranch_execz .LBB331_192
; %bb.187:                              ;   in Loop: Header=BB331_12 Depth=1
	v_mov_b32_e32 v7, 0xffff
	v_mov_b32_e32 v41, 0x7f800001
	s_mov_b32 s23, exec_lo
	v_and_b32_sdwa v7, v7, v6 dst_sel:DWORD dst_unused:UNUSED_PAD src0_sel:DWORD src1_sel:BYTE_1
	v_and_b32_e32 v8, 0x7f, v7
	v_cmpx_ne_u32_e32 0x7f, v8
	s_cbranch_execz .LBB331_191
; %bb.188:                              ;   in Loop: Header=BB331_12 Depth=1
	v_and_b32_e32 v24, 7, v7
	v_mov_b32_e32 v71, v25
	v_lshrrev_b32_e32 v7, 3, v8
	s_mov_b32 s24, exec_lo
	v_mov_b32_e32 v70, v24
	v_cmpx_gt_u32_e32 8, v8
; %bb.189:                              ;   in Loop: Header=BB331_12 Depth=1
	v_ffbh_u32_e32 v7, v24
	v_min_u32_e32 v7, 32, v7
	v_subrev_nc_u32_e32 v8, 28, v7
	v_sub_nc_u32_e32 v7, 29, v7
	v_lshlrev_b64 v[8:9], v8, v[24:25]
	v_and_b32_e32 v70, 7, v8
; %bb.190:                              ;   in Loop: Header=BB331_12 Depth=1
	s_or_b32 exec_lo, exec_lo, s24
	v_lshlrev_b32_e32 v8, 16, v6
	v_lshlrev_b32_e32 v9, 20, v70
	v_lshl_add_u32 v7, v7, 23, 0x3c000000
	v_and_b32_e32 v8, 0x80000000, v8
	v_or3_b32 v41, v9, v8, v7
.LBB331_191:                            ;   in Loop: Header=BB331_12 Depth=1
	s_or_b32 exec_lo, exec_lo, s23
.LBB331_192:                            ;   in Loop: Header=BB331_12 Depth=1
	s_or_b32 exec_lo, exec_lo, s22
.LBB331_193:                            ;   in Loop: Header=BB331_12 Depth=1
	s_or_b32 exec_lo, exec_lo, s8
	v_mov_b32_e32 v7, 0xff
	v_mov_b32_e32 v43, 0
	;; [unrolled: 1-line block ×3, first 2 shown]
	s_mov_b32 s8, exec_lo
	v_and_b32_sdwa v7, v6, v7 dst_sel:DWORD dst_unused:UNUSED_PAD src0_sel:WORD_1 src1_sel:DWORD
	v_cmpx_ne_u16_e32 0, v7
	s_cbranch_execz .LBB331_201
; %bb.194:                              ;   in Loop: Header=BB331_12 Depth=1
	v_bfrev_b32_e32 v102, 1
	s_mov_b32 s22, exec_lo
	v_cmpx_ne_u16_e32 0x80, v7
	s_cbranch_execz .LBB331_200
; %bb.195:                              ;   in Loop: Header=BB331_12 Depth=1
	v_bfe_u32 v8, v6, 16, 7
	v_mov_b32_e32 v102, 0x7f800001
	s_mov_b32 s23, exec_lo
	v_cmpx_ne_u32_e32 0x7f, v8
	s_cbranch_execz .LBB331_199
; %bb.196:                              ;   in Loop: Header=BB331_12 Depth=1
	v_mov_b32_e32 v7, 7
	s_mov_b32 s24, exec_lo
	v_and_b32_sdwa v24, v6, v7 dst_sel:DWORD dst_unused:UNUSED_PAD src0_sel:WORD_1 src1_sel:DWORD
	v_mov_b32_e32 v71, v25
	v_lshrrev_b32_e32 v7, 3, v8
	v_mov_b32_e32 v70, v24
	v_cmpx_gt_u32_e32 8, v8
; %bb.197:                              ;   in Loop: Header=BB331_12 Depth=1
	v_ffbh_u32_e32 v7, v24
	v_min_u32_e32 v7, 32, v7
	v_subrev_nc_u32_e32 v8, 28, v7
	v_sub_nc_u32_e32 v7, 29, v7
	v_lshlrev_b64 v[8:9], v8, v[24:25]
	v_and_b32_e32 v70, 7, v8
; %bb.198:                              ;   in Loop: Header=BB331_12 Depth=1
	s_or_b32 exec_lo, exec_lo, s24
	v_mov_b32_e32 v8, 24
	v_lshlrev_b32_e32 v9, 20, v70
	v_lshl_add_u32 v7, v7, 23, 0x3c000000
	v_lshlrev_b32_sdwa v8, v8, v6 dst_sel:DWORD dst_unused:UNUSED_PAD src0_sel:DWORD src1_sel:WORD_1
	v_and_b32_e32 v8, 0x80000000, v8
	v_or3_b32 v102, v9, v8, v7
.LBB331_199:                            ;   in Loop: Header=BB331_12 Depth=1
	s_or_b32 exec_lo, exec_lo, s23
.LBB331_200:                            ;   in Loop: Header=BB331_12 Depth=1
	s_or_b32 exec_lo, exec_lo, s22
.LBB331_201:                            ;   in Loop: Header=BB331_12 Depth=1
	s_or_b32 exec_lo, exec_lo, s8
	s_mov_b32 s8, exec_lo
	v_cmpx_lt_u32_e32 0xffffff, v6
	s_cbranch_execz .LBB331_209
; %bb.202:                              ;   in Loop: Header=BB331_12 Depth=1
	v_cmp_ne_u32_sdwa s7, v6, v115 src0_sel:BYTE_3 src1_sel:DWORD
	v_bfrev_b32_e32 v43, 1
	s_and_saveexec_b32 s22, s7
	s_cbranch_execz .LBB331_208
; %bb.203:                              ;   in Loop: Header=BB331_12 Depth=1
	v_bfe_u32 v8, v6, 24, 7
	v_mov_b32_e32 v43, 0x7f800001
	s_mov_b32 s23, exec_lo
	v_cmpx_ne_u32_e32 0x7f, v8
	s_cbranch_execz .LBB331_207
; %bb.204:                              ;   in Loop: Header=BB331_12 Depth=1
	v_mov_b32_e32 v7, 7
	s_mov_b32 s24, exec_lo
	v_and_b32_sdwa v24, v6, v7 dst_sel:DWORD dst_unused:UNUSED_PAD src0_sel:BYTE_3 src1_sel:DWORD
	v_mov_b32_e32 v71, v25
	v_lshrrev_b32_e32 v7, 3, v8
	v_mov_b32_e32 v70, v24
	v_cmpx_gt_u32_e32 8, v8
; %bb.205:                              ;   in Loop: Header=BB331_12 Depth=1
	v_ffbh_u32_e32 v7, v24
	v_min_u32_e32 v7, 32, v7
	v_subrev_nc_u32_e32 v8, 28, v7
	v_sub_nc_u32_e32 v7, 29, v7
	v_lshlrev_b64 v[8:9], v8, v[24:25]
	v_and_b32_e32 v70, 7, v8
; %bb.206:                              ;   in Loop: Header=BB331_12 Depth=1
	s_or_b32 exec_lo, exec_lo, s24
	v_mov_b32_e32 v8, 24
	v_lshl_add_u32 v7, v7, 23, 0x3c000000
	v_lshlrev_b32_sdwa v6, v8, v6 dst_sel:DWORD dst_unused:UNUSED_PAD src0_sel:DWORD src1_sel:BYTE_3
	v_lshlrev_b32_e32 v8, 20, v70
	v_and_b32_e32 v6, 0x80000000, v6
	v_or3_b32 v43, v8, v6, v7
.LBB331_207:                            ;   in Loop: Header=BB331_12 Depth=1
	s_or_b32 exec_lo, exec_lo, s23
.LBB331_208:                            ;   in Loop: Header=BB331_12 Depth=1
	s_or_b32 exec_lo, exec_lo, s22
.LBB331_209:                            ;   in Loop: Header=BB331_12 Depth=1
	s_or_b32 exec_lo, exec_lo, s8
	flat_load_dword v6, v[68:69] offset:768
	v_mov_b32_e32 v47, 0
	v_mov_b32_e32 v56, 0
	s_waitcnt vmcnt(0) lgkmcnt(0)
	v_cmp_ne_u16_sdwa s7, v6, v25 src0_sel:BYTE_0 src1_sel:DWORD
	s_and_saveexec_b32 s8, s7
	s_cbranch_execz .LBB331_217
; %bb.210:                              ;   in Loop: Header=BB331_12 Depth=1
	v_cmp_ne_u16_sdwa s7, v6, v115 src0_sel:BYTE_0 src1_sel:DWORD
	v_bfrev_b32_e32 v56, 1
	s_and_saveexec_b32 s22, s7
	s_cbranch_execz .LBB331_216
; %bb.211:                              ;   in Loop: Header=BB331_12 Depth=1
	v_and_b32_e32 v8, 0x7f, v6
	v_mov_b32_e32 v56, 0x7f800001
	s_mov_b32 s23, exec_lo
	v_cmpx_ne_u32_e32 0x7f, v8
	s_cbranch_execz .LBB331_215
; %bb.212:                              ;   in Loop: Header=BB331_12 Depth=1
	v_and_b32_e32 v24, 7, v6
	v_mov_b32_e32 v71, v25
	v_lshrrev_b32_e32 v7, 3, v8
	s_mov_b32 s24, exec_lo
	v_mov_b32_e32 v70, v24
	v_cmpx_gt_u32_e32 8, v8
; %bb.213:                              ;   in Loop: Header=BB331_12 Depth=1
	v_ffbh_u32_e32 v7, v24
	v_min_u32_e32 v7, 32, v7
	v_subrev_nc_u32_e32 v8, 28, v7
	v_sub_nc_u32_e32 v7, 29, v7
	v_lshlrev_b64 v[8:9], v8, v[24:25]
	v_and_b32_e32 v70, 7, v8
; %bb.214:                              ;   in Loop: Header=BB331_12 Depth=1
	s_or_b32 exec_lo, exec_lo, s24
	v_lshlrev_b32_e32 v8, 24, v6
	v_lshlrev_b32_e32 v9, 20, v70
	v_lshl_add_u32 v7, v7, 23, 0x3c000000
	v_and_b32_e32 v8, 0x80000000, v8
	v_or3_b32 v56, v9, v8, v7
.LBB331_215:                            ;   in Loop: Header=BB331_12 Depth=1
	s_or_b32 exec_lo, exec_lo, s23
.LBB331_216:                            ;   in Loop: Header=BB331_12 Depth=1
	s_or_b32 exec_lo, exec_lo, s22
.LBB331_217:                            ;   in Loop: Header=BB331_12 Depth=1
	s_or_b32 exec_lo, exec_lo, s8
	v_cmp_ne_u16_sdwa s7, v6, v25 src0_sel:BYTE_1 src1_sel:DWORD
	s_and_saveexec_b32 s8, s7
	s_cbranch_execz .LBB331_225
; %bb.218:                              ;   in Loop: Header=BB331_12 Depth=1
	v_cmp_ne_u16_sdwa s7, v6, v115 src0_sel:BYTE_1 src1_sel:DWORD
	v_bfrev_b32_e32 v47, 1
	s_and_saveexec_b32 s22, s7
	s_cbranch_execz .LBB331_224
; %bb.219:                              ;   in Loop: Header=BB331_12 Depth=1
	v_mov_b32_e32 v7, 0xffff
	v_mov_b32_e32 v47, 0x7f800001
	s_mov_b32 s23, exec_lo
	v_and_b32_sdwa v7, v7, v6 dst_sel:DWORD dst_unused:UNUSED_PAD src0_sel:DWORD src1_sel:BYTE_1
	v_and_b32_e32 v8, 0x7f, v7
	v_cmpx_ne_u32_e32 0x7f, v8
	s_cbranch_execz .LBB331_223
; %bb.220:                              ;   in Loop: Header=BB331_12 Depth=1
	v_and_b32_e32 v24, 7, v7
	v_mov_b32_e32 v71, v25
	v_lshrrev_b32_e32 v7, 3, v8
	s_mov_b32 s24, exec_lo
	v_mov_b32_e32 v70, v24
	v_cmpx_gt_u32_e32 8, v8
; %bb.221:                              ;   in Loop: Header=BB331_12 Depth=1
	v_ffbh_u32_e32 v7, v24
	v_min_u32_e32 v7, 32, v7
	v_subrev_nc_u32_e32 v8, 28, v7
	v_sub_nc_u32_e32 v7, 29, v7
	v_lshlrev_b64 v[8:9], v8, v[24:25]
	v_and_b32_e32 v70, 7, v8
; %bb.222:                              ;   in Loop: Header=BB331_12 Depth=1
	s_or_b32 exec_lo, exec_lo, s24
	v_lshlrev_b32_e32 v8, 16, v6
	v_lshlrev_b32_e32 v9, 20, v70
	v_lshl_add_u32 v7, v7, 23, 0x3c000000
	v_and_b32_e32 v8, 0x80000000, v8
	v_or3_b32 v47, v9, v8, v7
.LBB331_223:                            ;   in Loop: Header=BB331_12 Depth=1
	s_or_b32 exec_lo, exec_lo, s23
.LBB331_224:                            ;   in Loop: Header=BB331_12 Depth=1
	s_or_b32 exec_lo, exec_lo, s22
.LBB331_225:                            ;   in Loop: Header=BB331_12 Depth=1
	s_or_b32 exec_lo, exec_lo, s8
	v_mov_b32_e32 v7, 0xff
	v_mov_b32_e32 v73, 0
	;; [unrolled: 1-line block ×3, first 2 shown]
	s_mov_b32 s8, exec_lo
	v_and_b32_sdwa v7, v6, v7 dst_sel:DWORD dst_unused:UNUSED_PAD src0_sel:WORD_1 src1_sel:DWORD
	v_cmpx_ne_u16_e32 0, v7
	s_cbranch_execz .LBB331_233
; %bb.226:                              ;   in Loop: Header=BB331_12 Depth=1
	v_bfrev_b32_e32 v72, 1
	s_mov_b32 s22, exec_lo
	v_cmpx_ne_u16_e32 0x80, v7
	s_cbranch_execz .LBB331_232
; %bb.227:                              ;   in Loop: Header=BB331_12 Depth=1
	v_bfe_u32 v8, v6, 16, 7
	v_mov_b32_e32 v72, 0x7f800001
	s_mov_b32 s23, exec_lo
	v_cmpx_ne_u32_e32 0x7f, v8
	s_cbranch_execz .LBB331_231
; %bb.228:                              ;   in Loop: Header=BB331_12 Depth=1
	v_mov_b32_e32 v7, 7
	s_mov_b32 s24, exec_lo
	v_and_b32_sdwa v24, v6, v7 dst_sel:DWORD dst_unused:UNUSED_PAD src0_sel:WORD_1 src1_sel:DWORD
	v_mov_b32_e32 v71, v25
	v_lshrrev_b32_e32 v7, 3, v8
	v_mov_b32_e32 v70, v24
	v_cmpx_gt_u32_e32 8, v8
; %bb.229:                              ;   in Loop: Header=BB331_12 Depth=1
	v_ffbh_u32_e32 v7, v24
	v_min_u32_e32 v7, 32, v7
	v_subrev_nc_u32_e32 v8, 28, v7
	v_sub_nc_u32_e32 v7, 29, v7
	v_lshlrev_b64 v[8:9], v8, v[24:25]
	v_and_b32_e32 v70, 7, v8
; %bb.230:                              ;   in Loop: Header=BB331_12 Depth=1
	s_or_b32 exec_lo, exec_lo, s24
	v_mov_b32_e32 v8, 24
	v_lshlrev_b32_e32 v9, 20, v70
	v_lshl_add_u32 v7, v7, 23, 0x3c000000
	v_lshlrev_b32_sdwa v8, v8, v6 dst_sel:DWORD dst_unused:UNUSED_PAD src0_sel:DWORD src1_sel:WORD_1
	v_and_b32_e32 v8, 0x80000000, v8
	v_or3_b32 v72, v9, v8, v7
.LBB331_231:                            ;   in Loop: Header=BB331_12 Depth=1
	s_or_b32 exec_lo, exec_lo, s23
.LBB331_232:                            ;   in Loop: Header=BB331_12 Depth=1
	s_or_b32 exec_lo, exec_lo, s22
.LBB331_233:                            ;   in Loop: Header=BB331_12 Depth=1
	s_or_b32 exec_lo, exec_lo, s8
	s_mov_b32 s8, exec_lo
	v_cmpx_lt_u32_e32 0xffffff, v6
	s_cbranch_execz .LBB331_241
; %bb.234:                              ;   in Loop: Header=BB331_12 Depth=1
	v_cmp_ne_u32_sdwa s7, v6, v115 src0_sel:BYTE_3 src1_sel:DWORD
	v_bfrev_b32_e32 v73, 1
	s_and_saveexec_b32 s22, s7
	s_cbranch_execz .LBB331_240
; %bb.235:                              ;   in Loop: Header=BB331_12 Depth=1
	v_bfe_u32 v8, v6, 24, 7
	v_mov_b32_e32 v73, 0x7f800001
	s_mov_b32 s23, exec_lo
	v_cmpx_ne_u32_e32 0x7f, v8
	s_cbranch_execz .LBB331_239
; %bb.236:                              ;   in Loop: Header=BB331_12 Depth=1
	v_mov_b32_e32 v7, 7
	s_mov_b32 s24, exec_lo
	v_and_b32_sdwa v24, v6, v7 dst_sel:DWORD dst_unused:UNUSED_PAD src0_sel:BYTE_3 src1_sel:DWORD
	v_mov_b32_e32 v71, v25
	v_lshrrev_b32_e32 v7, 3, v8
	v_mov_b32_e32 v70, v24
	v_cmpx_gt_u32_e32 8, v8
; %bb.237:                              ;   in Loop: Header=BB331_12 Depth=1
	v_ffbh_u32_e32 v7, v24
	v_min_u32_e32 v7, 32, v7
	v_subrev_nc_u32_e32 v8, 28, v7
	v_sub_nc_u32_e32 v7, 29, v7
	v_lshlrev_b64 v[8:9], v8, v[24:25]
	v_and_b32_e32 v70, 7, v8
; %bb.238:                              ;   in Loop: Header=BB331_12 Depth=1
	s_or_b32 exec_lo, exec_lo, s24
	v_mov_b32_e32 v8, 24
	v_lshl_add_u32 v7, v7, 23, 0x3c000000
	v_lshlrev_b32_sdwa v6, v8, v6 dst_sel:DWORD dst_unused:UNUSED_PAD src0_sel:DWORD src1_sel:BYTE_3
	v_lshlrev_b32_e32 v8, 20, v70
	v_and_b32_e32 v6, 0x80000000, v6
	v_or3_b32 v73, v8, v6, v7
.LBB331_239:                            ;   in Loop: Header=BB331_12 Depth=1
	s_or_b32 exec_lo, exec_lo, s23
.LBB331_240:                            ;   in Loop: Header=BB331_12 Depth=1
	s_or_b32 exec_lo, exec_lo, s22
.LBB331_241:                            ;   in Loop: Header=BB331_12 Depth=1
	s_or_b32 exec_lo, exec_lo, s8
	flat_load_dword v6, v[68:69] offset:776
	v_mov_b32_e32 v61, 0
	v_mov_b32_e32 v60, 0
	s_waitcnt vmcnt(0) lgkmcnt(0)
	v_cmp_ne_u16_sdwa s7, v6, v25 src0_sel:BYTE_0 src1_sel:DWORD
	s_and_saveexec_b32 s8, s7
	s_cbranch_execz .LBB331_249
; %bb.242:                              ;   in Loop: Header=BB331_12 Depth=1
	v_cmp_ne_u16_sdwa s7, v6, v115 src0_sel:BYTE_0 src1_sel:DWORD
	v_bfrev_b32_e32 v60, 1
	s_and_saveexec_b32 s22, s7
	s_cbranch_execz .LBB331_248
; %bb.243:                              ;   in Loop: Header=BB331_12 Depth=1
	v_and_b32_e32 v8, 0x7f, v6
	v_mov_b32_e32 v60, 0x7f800001
	s_mov_b32 s23, exec_lo
	v_cmpx_ne_u32_e32 0x7f, v8
	s_cbranch_execz .LBB331_247
; %bb.244:                              ;   in Loop: Header=BB331_12 Depth=1
	v_and_b32_e32 v24, 7, v6
	v_mov_b32_e32 v71, v25
	v_lshrrev_b32_e32 v7, 3, v8
	s_mov_b32 s24, exec_lo
	v_mov_b32_e32 v70, v24
	v_cmpx_gt_u32_e32 8, v8
; %bb.245:                              ;   in Loop: Header=BB331_12 Depth=1
	v_ffbh_u32_e32 v7, v24
	v_min_u32_e32 v7, 32, v7
	v_subrev_nc_u32_e32 v8, 28, v7
	v_sub_nc_u32_e32 v7, 29, v7
	v_lshlrev_b64 v[8:9], v8, v[24:25]
	v_and_b32_e32 v70, 7, v8
; %bb.246:                              ;   in Loop: Header=BB331_12 Depth=1
	s_or_b32 exec_lo, exec_lo, s24
	v_lshlrev_b32_e32 v8, 24, v6
	v_lshlrev_b32_e32 v9, 20, v70
	v_lshl_add_u32 v7, v7, 23, 0x3c000000
	v_and_b32_e32 v8, 0x80000000, v8
	v_or3_b32 v60, v9, v8, v7
.LBB331_247:                            ;   in Loop: Header=BB331_12 Depth=1
	s_or_b32 exec_lo, exec_lo, s23
.LBB331_248:                            ;   in Loop: Header=BB331_12 Depth=1
	s_or_b32 exec_lo, exec_lo, s22
.LBB331_249:                            ;   in Loop: Header=BB331_12 Depth=1
	s_or_b32 exec_lo, exec_lo, s8
	v_cmp_ne_u16_sdwa s7, v6, v25 src0_sel:BYTE_1 src1_sel:DWORD
	s_and_saveexec_b32 s8, s7
	s_cbranch_execz .LBB331_257
; %bb.250:                              ;   in Loop: Header=BB331_12 Depth=1
	v_cmp_ne_u16_sdwa s7, v6, v115 src0_sel:BYTE_1 src1_sel:DWORD
	v_bfrev_b32_e32 v61, 1
	s_and_saveexec_b32 s22, s7
	s_cbranch_execz .LBB331_256
; %bb.251:                              ;   in Loop: Header=BB331_12 Depth=1
	v_mov_b32_e32 v7, 0xffff
	v_mov_b32_e32 v61, 0x7f800001
	s_mov_b32 s23, exec_lo
	v_and_b32_sdwa v7, v7, v6 dst_sel:DWORD dst_unused:UNUSED_PAD src0_sel:DWORD src1_sel:BYTE_1
	v_and_b32_e32 v8, 0x7f, v7
	v_cmpx_ne_u32_e32 0x7f, v8
	s_cbranch_execz .LBB331_255
; %bb.252:                              ;   in Loop: Header=BB331_12 Depth=1
	v_and_b32_e32 v24, 7, v7
	v_mov_b32_e32 v71, v25
	v_lshrrev_b32_e32 v7, 3, v8
	s_mov_b32 s24, exec_lo
	v_mov_b32_e32 v70, v24
	v_cmpx_gt_u32_e32 8, v8
; %bb.253:                              ;   in Loop: Header=BB331_12 Depth=1
	v_ffbh_u32_e32 v7, v24
	v_min_u32_e32 v7, 32, v7
	v_subrev_nc_u32_e32 v8, 28, v7
	v_sub_nc_u32_e32 v7, 29, v7
	v_lshlrev_b64 v[8:9], v8, v[24:25]
	v_and_b32_e32 v70, 7, v8
; %bb.254:                              ;   in Loop: Header=BB331_12 Depth=1
	s_or_b32 exec_lo, exec_lo, s24
	v_lshlrev_b32_e32 v8, 16, v6
	v_lshlrev_b32_e32 v9, 20, v70
	v_lshl_add_u32 v7, v7, 23, 0x3c000000
	v_and_b32_e32 v8, 0x80000000, v8
	v_or3_b32 v61, v9, v8, v7
.LBB331_255:                            ;   in Loop: Header=BB331_12 Depth=1
	s_or_b32 exec_lo, exec_lo, s23
.LBB331_256:                            ;   in Loop: Header=BB331_12 Depth=1
	s_or_b32 exec_lo, exec_lo, s22
.LBB331_257:                            ;   in Loop: Header=BB331_12 Depth=1
	s_or_b32 exec_lo, exec_lo, s8
	v_mov_b32_e32 v7, 0xff
	v_mov_b32_e32 v44, 0
	;; [unrolled: 1-line block ×3, first 2 shown]
	s_mov_b32 s8, exec_lo
	v_and_b32_sdwa v7, v6, v7 dst_sel:DWORD dst_unused:UNUSED_PAD src0_sel:WORD_1 src1_sel:DWORD
	v_cmpx_ne_u16_e32 0, v7
	s_cbranch_execz .LBB331_265
; %bb.258:                              ;   in Loop: Header=BB331_12 Depth=1
	v_bfrev_b32_e32 v119, 1
	s_mov_b32 s22, exec_lo
	v_cmpx_ne_u16_e32 0x80, v7
	s_cbranch_execz .LBB331_264
; %bb.259:                              ;   in Loop: Header=BB331_12 Depth=1
	v_bfe_u32 v8, v6, 16, 7
	v_mov_b32_e32 v119, 0x7f800001
	s_mov_b32 s23, exec_lo
	v_cmpx_ne_u32_e32 0x7f, v8
	s_cbranch_execz .LBB331_263
; %bb.260:                              ;   in Loop: Header=BB331_12 Depth=1
	v_mov_b32_e32 v7, 7
	s_mov_b32 s24, exec_lo
	v_and_b32_sdwa v24, v6, v7 dst_sel:DWORD dst_unused:UNUSED_PAD src0_sel:WORD_1 src1_sel:DWORD
	v_mov_b32_e32 v71, v25
	v_lshrrev_b32_e32 v7, 3, v8
	v_mov_b32_e32 v70, v24
	v_cmpx_gt_u32_e32 8, v8
; %bb.261:                              ;   in Loop: Header=BB331_12 Depth=1
	v_ffbh_u32_e32 v7, v24
	v_min_u32_e32 v7, 32, v7
	v_subrev_nc_u32_e32 v8, 28, v7
	v_sub_nc_u32_e32 v7, 29, v7
	v_lshlrev_b64 v[8:9], v8, v[24:25]
	v_and_b32_e32 v70, 7, v8
; %bb.262:                              ;   in Loop: Header=BB331_12 Depth=1
	s_or_b32 exec_lo, exec_lo, s24
	v_mov_b32_e32 v8, 24
	v_lshlrev_b32_e32 v9, 20, v70
	v_lshl_add_u32 v7, v7, 23, 0x3c000000
	v_lshlrev_b32_sdwa v8, v8, v6 dst_sel:DWORD dst_unused:UNUSED_PAD src0_sel:DWORD src1_sel:WORD_1
	v_and_b32_e32 v8, 0x80000000, v8
	v_or3_b32 v119, v9, v8, v7
.LBB331_263:                            ;   in Loop: Header=BB331_12 Depth=1
	s_or_b32 exec_lo, exec_lo, s23
.LBB331_264:                            ;   in Loop: Header=BB331_12 Depth=1
	s_or_b32 exec_lo, exec_lo, s22
.LBB331_265:                            ;   in Loop: Header=BB331_12 Depth=1
	s_or_b32 exec_lo, exec_lo, s8
	s_mov_b32 s8, exec_lo
	v_cmpx_lt_u32_e32 0xffffff, v6
	s_cbranch_execz .LBB331_273
; %bb.266:                              ;   in Loop: Header=BB331_12 Depth=1
	v_cmp_ne_u32_sdwa s7, v6, v115 src0_sel:BYTE_3 src1_sel:DWORD
	v_bfrev_b32_e32 v44, 1
	s_and_saveexec_b32 s22, s7
	s_cbranch_execz .LBB331_272
; %bb.267:                              ;   in Loop: Header=BB331_12 Depth=1
	v_bfe_u32 v8, v6, 24, 7
	v_mov_b32_e32 v44, 0x7f800001
	s_mov_b32 s23, exec_lo
	v_cmpx_ne_u32_e32 0x7f, v8
	s_cbranch_execz .LBB331_271
; %bb.268:                              ;   in Loop: Header=BB331_12 Depth=1
	v_mov_b32_e32 v7, 7
	s_mov_b32 s24, exec_lo
	v_and_b32_sdwa v24, v6, v7 dst_sel:DWORD dst_unused:UNUSED_PAD src0_sel:BYTE_3 src1_sel:DWORD
	v_mov_b32_e32 v71, v25
	v_lshrrev_b32_e32 v7, 3, v8
	v_mov_b32_e32 v70, v24
	v_cmpx_gt_u32_e32 8, v8
; %bb.269:                              ;   in Loop: Header=BB331_12 Depth=1
	v_ffbh_u32_e32 v7, v24
	v_min_u32_e32 v7, 32, v7
	v_subrev_nc_u32_e32 v8, 28, v7
	v_sub_nc_u32_e32 v7, 29, v7
	v_lshlrev_b64 v[8:9], v8, v[24:25]
	v_and_b32_e32 v70, 7, v8
; %bb.270:                              ;   in Loop: Header=BB331_12 Depth=1
	s_or_b32 exec_lo, exec_lo, s24
	v_mov_b32_e32 v8, 24
	v_lshl_add_u32 v7, v7, 23, 0x3c000000
	v_lshlrev_b32_sdwa v6, v8, v6 dst_sel:DWORD dst_unused:UNUSED_PAD src0_sel:DWORD src1_sel:BYTE_3
	v_lshlrev_b32_e32 v8, 20, v70
	v_and_b32_e32 v6, 0x80000000, v6
	v_or3_b32 v44, v8, v6, v7
.LBB331_271:                            ;   in Loop: Header=BB331_12 Depth=1
	s_or_b32 exec_lo, exec_lo, s23
.LBB331_272:                            ;   in Loop: Header=BB331_12 Depth=1
	s_or_b32 exec_lo, exec_lo, s22
.LBB331_273:                            ;   in Loop: Header=BB331_12 Depth=1
	s_or_b32 exec_lo, exec_lo, s8
	flat_load_dword v6, v[68:69] offset:1024
	v_mov_b32_e32 v74, 0
	v_mov_b32_e32 v125, 0
	s_waitcnt vmcnt(0) lgkmcnt(0)
	v_cmp_ne_u16_sdwa s7, v6, v25 src0_sel:BYTE_0 src1_sel:DWORD
	s_and_saveexec_b32 s8, s7
	s_cbranch_execz .LBB331_281
; %bb.274:                              ;   in Loop: Header=BB331_12 Depth=1
	v_cmp_ne_u16_sdwa s7, v6, v115 src0_sel:BYTE_0 src1_sel:DWORD
	v_bfrev_b32_e32 v125, 1
	s_and_saveexec_b32 s22, s7
	s_cbranch_execz .LBB331_280
; %bb.275:                              ;   in Loop: Header=BB331_12 Depth=1
	v_and_b32_e32 v8, 0x7f, v6
	v_mov_b32_e32 v125, 0x7f800001
	s_mov_b32 s23, exec_lo
	v_cmpx_ne_u32_e32 0x7f, v8
	s_cbranch_execz .LBB331_279
; %bb.276:                              ;   in Loop: Header=BB331_12 Depth=1
	v_and_b32_e32 v24, 7, v6
	v_mov_b32_e32 v71, v25
	v_lshrrev_b32_e32 v7, 3, v8
	s_mov_b32 s24, exec_lo
	v_mov_b32_e32 v70, v24
	v_cmpx_gt_u32_e32 8, v8
; %bb.277:                              ;   in Loop: Header=BB331_12 Depth=1
	v_ffbh_u32_e32 v7, v24
	v_min_u32_e32 v7, 32, v7
	v_subrev_nc_u32_e32 v8, 28, v7
	v_sub_nc_u32_e32 v7, 29, v7
	v_lshlrev_b64 v[8:9], v8, v[24:25]
	v_and_b32_e32 v70, 7, v8
; %bb.278:                              ;   in Loop: Header=BB331_12 Depth=1
	s_or_b32 exec_lo, exec_lo, s24
	v_lshlrev_b32_e32 v8, 24, v6
	v_lshlrev_b32_e32 v9, 20, v70
	v_lshl_add_u32 v7, v7, 23, 0x3c000000
	v_and_b32_e32 v8, 0x80000000, v8
	v_or3_b32 v125, v9, v8, v7
.LBB331_279:                            ;   in Loop: Header=BB331_12 Depth=1
	s_or_b32 exec_lo, exec_lo, s23
.LBB331_280:                            ;   in Loop: Header=BB331_12 Depth=1
	s_or_b32 exec_lo, exec_lo, s22
.LBB331_281:                            ;   in Loop: Header=BB331_12 Depth=1
	s_or_b32 exec_lo, exec_lo, s8
	v_cmp_ne_u16_sdwa s7, v6, v25 src0_sel:BYTE_1 src1_sel:DWORD
	s_and_saveexec_b32 s8, s7
	s_cbranch_execz .LBB331_289
; %bb.282:                              ;   in Loop: Header=BB331_12 Depth=1
	v_cmp_ne_u16_sdwa s7, v6, v115 src0_sel:BYTE_1 src1_sel:DWORD
	v_bfrev_b32_e32 v74, 1
	s_and_saveexec_b32 s22, s7
	s_cbranch_execz .LBB331_288
; %bb.283:                              ;   in Loop: Header=BB331_12 Depth=1
	v_mov_b32_e32 v7, 0xffff
	v_mov_b32_e32 v74, 0x7f800001
	s_mov_b32 s23, exec_lo
	v_and_b32_sdwa v7, v7, v6 dst_sel:DWORD dst_unused:UNUSED_PAD src0_sel:DWORD src1_sel:BYTE_1
	v_and_b32_e32 v8, 0x7f, v7
	v_cmpx_ne_u32_e32 0x7f, v8
	s_cbranch_execz .LBB331_287
; %bb.284:                              ;   in Loop: Header=BB331_12 Depth=1
	v_and_b32_e32 v24, 7, v7
	v_mov_b32_e32 v71, v25
	v_lshrrev_b32_e32 v7, 3, v8
	s_mov_b32 s24, exec_lo
	v_mov_b32_e32 v70, v24
	v_cmpx_gt_u32_e32 8, v8
; %bb.285:                              ;   in Loop: Header=BB331_12 Depth=1
	v_ffbh_u32_e32 v7, v24
	v_min_u32_e32 v7, 32, v7
	v_subrev_nc_u32_e32 v8, 28, v7
	v_sub_nc_u32_e32 v7, 29, v7
	v_lshlrev_b64 v[8:9], v8, v[24:25]
	v_and_b32_e32 v70, 7, v8
; %bb.286:                              ;   in Loop: Header=BB331_12 Depth=1
	s_or_b32 exec_lo, exec_lo, s24
	v_lshlrev_b32_e32 v8, 16, v6
	v_lshlrev_b32_e32 v9, 20, v70
	v_lshl_add_u32 v7, v7, 23, 0x3c000000
	v_and_b32_e32 v8, 0x80000000, v8
	v_or3_b32 v74, v9, v8, v7
.LBB331_287:                            ;   in Loop: Header=BB331_12 Depth=1
	s_or_b32 exec_lo, exec_lo, s23
.LBB331_288:                            ;   in Loop: Header=BB331_12 Depth=1
	s_or_b32 exec_lo, exec_lo, s22
.LBB331_289:                            ;   in Loop: Header=BB331_12 Depth=1
	s_or_b32 exec_lo, exec_lo, s8
	v_mov_b32_e32 v7, 0xff
	v_mov_b32_e32 v124, 0
	;; [unrolled: 1-line block ×3, first 2 shown]
	s_mov_b32 s8, exec_lo
	v_and_b32_sdwa v7, v6, v7 dst_sel:DWORD dst_unused:UNUSED_PAD src0_sel:WORD_1 src1_sel:DWORD
	v_cmpx_ne_u16_e32 0, v7
	s_cbranch_execz .LBB331_297
; %bb.290:                              ;   in Loop: Header=BB331_12 Depth=1
	v_bfrev_b32_e32 v123, 1
	s_mov_b32 s22, exec_lo
	v_cmpx_ne_u16_e32 0x80, v7
	s_cbranch_execz .LBB331_296
; %bb.291:                              ;   in Loop: Header=BB331_12 Depth=1
	v_bfe_u32 v8, v6, 16, 7
	v_mov_b32_e32 v123, 0x7f800001
	s_mov_b32 s23, exec_lo
	v_cmpx_ne_u32_e32 0x7f, v8
	s_cbranch_execz .LBB331_295
; %bb.292:                              ;   in Loop: Header=BB331_12 Depth=1
	v_mov_b32_e32 v7, 7
	s_mov_b32 s24, exec_lo
	v_and_b32_sdwa v24, v6, v7 dst_sel:DWORD dst_unused:UNUSED_PAD src0_sel:WORD_1 src1_sel:DWORD
	v_mov_b32_e32 v71, v25
	v_lshrrev_b32_e32 v7, 3, v8
	v_mov_b32_e32 v70, v24
	v_cmpx_gt_u32_e32 8, v8
; %bb.293:                              ;   in Loop: Header=BB331_12 Depth=1
	v_ffbh_u32_e32 v7, v24
	v_min_u32_e32 v7, 32, v7
	v_subrev_nc_u32_e32 v8, 28, v7
	v_sub_nc_u32_e32 v7, 29, v7
	v_lshlrev_b64 v[8:9], v8, v[24:25]
	v_and_b32_e32 v70, 7, v8
; %bb.294:                              ;   in Loop: Header=BB331_12 Depth=1
	s_or_b32 exec_lo, exec_lo, s24
	v_mov_b32_e32 v8, 24
	v_lshlrev_b32_e32 v9, 20, v70
	v_lshl_add_u32 v7, v7, 23, 0x3c000000
	v_lshlrev_b32_sdwa v8, v8, v6 dst_sel:DWORD dst_unused:UNUSED_PAD src0_sel:DWORD src1_sel:WORD_1
	v_and_b32_e32 v8, 0x80000000, v8
	v_or3_b32 v123, v9, v8, v7
.LBB331_295:                            ;   in Loop: Header=BB331_12 Depth=1
	s_or_b32 exec_lo, exec_lo, s23
.LBB331_296:                            ;   in Loop: Header=BB331_12 Depth=1
	s_or_b32 exec_lo, exec_lo, s22
.LBB331_297:                            ;   in Loop: Header=BB331_12 Depth=1
	s_or_b32 exec_lo, exec_lo, s8
	s_mov_b32 s8, exec_lo
	v_cmpx_lt_u32_e32 0xffffff, v6
	s_cbranch_execz .LBB331_305
; %bb.298:                              ;   in Loop: Header=BB331_12 Depth=1
	v_cmp_ne_u32_sdwa s7, v6, v115 src0_sel:BYTE_3 src1_sel:DWORD
	v_bfrev_b32_e32 v124, 1
	s_and_saveexec_b32 s22, s7
	s_cbranch_execz .LBB331_304
; %bb.299:                              ;   in Loop: Header=BB331_12 Depth=1
	v_bfe_u32 v8, v6, 24, 7
	v_mov_b32_e32 v124, 0x7f800001
	s_mov_b32 s23, exec_lo
	v_cmpx_ne_u32_e32 0x7f, v8
	s_cbranch_execz .LBB331_303
; %bb.300:                              ;   in Loop: Header=BB331_12 Depth=1
	v_mov_b32_e32 v7, 7
	s_mov_b32 s24, exec_lo
	v_and_b32_sdwa v24, v6, v7 dst_sel:DWORD dst_unused:UNUSED_PAD src0_sel:BYTE_3 src1_sel:DWORD
	v_mov_b32_e32 v71, v25
	v_lshrrev_b32_e32 v7, 3, v8
	v_mov_b32_e32 v70, v24
	v_cmpx_gt_u32_e32 8, v8
; %bb.301:                              ;   in Loop: Header=BB331_12 Depth=1
	v_ffbh_u32_e32 v7, v24
	v_min_u32_e32 v7, 32, v7
	v_subrev_nc_u32_e32 v8, 28, v7
	v_sub_nc_u32_e32 v7, 29, v7
	v_lshlrev_b64 v[8:9], v8, v[24:25]
	v_and_b32_e32 v70, 7, v8
; %bb.302:                              ;   in Loop: Header=BB331_12 Depth=1
	s_or_b32 exec_lo, exec_lo, s24
	v_mov_b32_e32 v8, 24
	v_lshl_add_u32 v7, v7, 23, 0x3c000000
	v_lshlrev_b32_sdwa v6, v8, v6 dst_sel:DWORD dst_unused:UNUSED_PAD src0_sel:DWORD src1_sel:BYTE_3
	v_lshlrev_b32_e32 v8, 20, v70
	v_and_b32_e32 v6, 0x80000000, v6
	v_or3_b32 v124, v8, v6, v7
.LBB331_303:                            ;   in Loop: Header=BB331_12 Depth=1
	s_or_b32 exec_lo, exec_lo, s23
.LBB331_304:                            ;   in Loop: Header=BB331_12 Depth=1
	s_or_b32 exec_lo, exec_lo, s22
.LBB331_305:                            ;   in Loop: Header=BB331_12 Depth=1
	s_or_b32 exec_lo, exec_lo, s8
	flat_load_dword v6, v[68:69] offset:1032
	v_mov_b32_e32 v127, 0
	v_mov_b32_e32 v126, 0
	s_waitcnt vmcnt(0) lgkmcnt(0)
	v_cmp_ne_u16_sdwa s7, v6, v25 src0_sel:BYTE_0 src1_sel:DWORD
	s_and_saveexec_b32 s8, s7
	s_cbranch_execz .LBB331_313
; %bb.306:                              ;   in Loop: Header=BB331_12 Depth=1
	v_cmp_ne_u16_sdwa s7, v6, v115 src0_sel:BYTE_0 src1_sel:DWORD
	v_bfrev_b32_e32 v126, 1
	s_and_saveexec_b32 s22, s7
	s_cbranch_execz .LBB331_312
; %bb.307:                              ;   in Loop: Header=BB331_12 Depth=1
	v_and_b32_e32 v8, 0x7f, v6
	v_mov_b32_e32 v126, 0x7f800001
	s_mov_b32 s23, exec_lo
	v_cmpx_ne_u32_e32 0x7f, v8
	s_cbranch_execz .LBB331_311
; %bb.308:                              ;   in Loop: Header=BB331_12 Depth=1
	v_and_b32_e32 v24, 7, v6
	v_mov_b32_e32 v71, v25
	v_lshrrev_b32_e32 v7, 3, v8
	s_mov_b32 s24, exec_lo
	v_mov_b32_e32 v70, v24
	v_cmpx_gt_u32_e32 8, v8
; %bb.309:                              ;   in Loop: Header=BB331_12 Depth=1
	v_ffbh_u32_e32 v7, v24
	v_min_u32_e32 v7, 32, v7
	v_subrev_nc_u32_e32 v8, 28, v7
	v_sub_nc_u32_e32 v7, 29, v7
	v_lshlrev_b64 v[8:9], v8, v[24:25]
	v_and_b32_e32 v70, 7, v8
; %bb.310:                              ;   in Loop: Header=BB331_12 Depth=1
	s_or_b32 exec_lo, exec_lo, s24
	v_lshlrev_b32_e32 v8, 24, v6
	v_lshlrev_b32_e32 v9, 20, v70
	v_lshl_add_u32 v7, v7, 23, 0x3c000000
	v_and_b32_e32 v8, 0x80000000, v8
	v_or3_b32 v126, v9, v8, v7
.LBB331_311:                            ;   in Loop: Header=BB331_12 Depth=1
	s_or_b32 exec_lo, exec_lo, s23
.LBB331_312:                            ;   in Loop: Header=BB331_12 Depth=1
	s_or_b32 exec_lo, exec_lo, s22
.LBB331_313:                            ;   in Loop: Header=BB331_12 Depth=1
	s_or_b32 exec_lo, exec_lo, s8
	v_cmp_ne_u16_sdwa s7, v6, v25 src0_sel:BYTE_1 src1_sel:DWORD
	s_and_saveexec_b32 s8, s7
	s_cbranch_execz .LBB331_321
; %bb.314:                              ;   in Loop: Header=BB331_12 Depth=1
	v_cmp_ne_u16_sdwa s7, v6, v115 src0_sel:BYTE_1 src1_sel:DWORD
	v_bfrev_b32_e32 v127, 1
	s_and_saveexec_b32 s22, s7
	s_cbranch_execz .LBB331_320
; %bb.315:                              ;   in Loop: Header=BB331_12 Depth=1
	v_mov_b32_e32 v7, 0xffff
	v_mov_b32_e32 v127, 0x7f800001
	s_mov_b32 s23, exec_lo
	v_and_b32_sdwa v7, v7, v6 dst_sel:DWORD dst_unused:UNUSED_PAD src0_sel:DWORD src1_sel:BYTE_1
	v_and_b32_e32 v8, 0x7f, v7
	v_cmpx_ne_u32_e32 0x7f, v8
	s_cbranch_execz .LBB331_319
; %bb.316:                              ;   in Loop: Header=BB331_12 Depth=1
	v_and_b32_e32 v24, 7, v7
	v_mov_b32_e32 v71, v25
	v_lshrrev_b32_e32 v7, 3, v8
	s_mov_b32 s24, exec_lo
	v_mov_b32_e32 v70, v24
	v_cmpx_gt_u32_e32 8, v8
; %bb.317:                              ;   in Loop: Header=BB331_12 Depth=1
	v_ffbh_u32_e32 v7, v24
	v_min_u32_e32 v7, 32, v7
	v_subrev_nc_u32_e32 v8, 28, v7
	v_sub_nc_u32_e32 v7, 29, v7
	v_lshlrev_b64 v[8:9], v8, v[24:25]
	v_and_b32_e32 v70, 7, v8
; %bb.318:                              ;   in Loop: Header=BB331_12 Depth=1
	s_or_b32 exec_lo, exec_lo, s24
	v_lshlrev_b32_e32 v8, 16, v6
	v_lshlrev_b32_e32 v9, 20, v70
	v_lshl_add_u32 v7, v7, 23, 0x3c000000
	v_and_b32_e32 v8, 0x80000000, v8
	v_or3_b32 v127, v9, v8, v7
.LBB331_319:                            ;   in Loop: Header=BB331_12 Depth=1
	s_or_b32 exec_lo, exec_lo, s23
.LBB331_320:                            ;   in Loop: Header=BB331_12 Depth=1
	s_or_b32 exec_lo, exec_lo, s22
.LBB331_321:                            ;   in Loop: Header=BB331_12 Depth=1
	s_or_b32 exec_lo, exec_lo, s8
	v_mov_b32_e32 v7, 0xff
	v_mov_b32_e32 v76, 0
	;; [unrolled: 1-line block ×3, first 2 shown]
	s_mov_b32 s8, exec_lo
	v_and_b32_sdwa v7, v6, v7 dst_sel:DWORD dst_unused:UNUSED_PAD src0_sel:WORD_1 src1_sel:DWORD
	v_cmpx_ne_u16_e32 0, v7
	s_cbranch_execz .LBB331_329
; %bb.322:                              ;   in Loop: Header=BB331_12 Depth=1
	v_bfrev_b32_e32 v1, 1
	s_mov_b32 s22, exec_lo
	v_cmpx_ne_u16_e32 0x80, v7
	s_cbranch_execz .LBB331_328
; %bb.323:                              ;   in Loop: Header=BB331_12 Depth=1
	v_bfe_u32 v8, v6, 16, 7
	v_mov_b32_e32 v1, 0x7f800001
	s_mov_b32 s23, exec_lo
	v_cmpx_ne_u32_e32 0x7f, v8
	s_cbranch_execz .LBB331_327
; %bb.324:                              ;   in Loop: Header=BB331_12 Depth=1
	v_mov_b32_e32 v7, 7
	s_mov_b32 s24, exec_lo
	v_and_b32_sdwa v24, v6, v7 dst_sel:DWORD dst_unused:UNUSED_PAD src0_sel:WORD_1 src1_sel:DWORD
	v_mov_b32_e32 v71, v25
	v_lshrrev_b32_e32 v7, 3, v8
	v_mov_b32_e32 v70, v24
	v_cmpx_gt_u32_e32 8, v8
; %bb.325:                              ;   in Loop: Header=BB331_12 Depth=1
	v_ffbh_u32_e32 v7, v24
	v_min_u32_e32 v7, 32, v7
	v_subrev_nc_u32_e32 v8, 28, v7
	v_sub_nc_u32_e32 v7, 29, v7
	v_lshlrev_b64 v[8:9], v8, v[24:25]
	v_and_b32_e32 v70, 7, v8
; %bb.326:                              ;   in Loop: Header=BB331_12 Depth=1
	s_or_b32 exec_lo, exec_lo, s24
	v_mov_b32_e32 v8, 24
	v_lshlrev_b32_e32 v9, 20, v70
	v_lshl_add_u32 v7, v7, 23, 0x3c000000
	v_lshlrev_b32_sdwa v8, v8, v6 dst_sel:DWORD dst_unused:UNUSED_PAD src0_sel:DWORD src1_sel:WORD_1
	v_and_b32_e32 v8, 0x80000000, v8
	v_or3_b32 v1, v9, v8, v7
.LBB331_327:                            ;   in Loop: Header=BB331_12 Depth=1
	s_or_b32 exec_lo, exec_lo, s23
.LBB331_328:                            ;   in Loop: Header=BB331_12 Depth=1
	s_or_b32 exec_lo, exec_lo, s22
.LBB331_329:                            ;   in Loop: Header=BB331_12 Depth=1
	s_or_b32 exec_lo, exec_lo, s8
	s_mov_b32 s8, exec_lo
	v_cmpx_lt_u32_e32 0xffffff, v6
	s_cbranch_execz .LBB331_337
; %bb.330:                              ;   in Loop: Header=BB331_12 Depth=1
	v_cmp_ne_u32_sdwa s7, v6, v115 src0_sel:BYTE_3 src1_sel:DWORD
	v_bfrev_b32_e32 v76, 1
	s_and_saveexec_b32 s22, s7
	s_cbranch_execz .LBB331_336
; %bb.331:                              ;   in Loop: Header=BB331_12 Depth=1
	v_bfe_u32 v8, v6, 24, 7
	v_mov_b32_e32 v76, 0x7f800001
	s_mov_b32 s23, exec_lo
	v_cmpx_ne_u32_e32 0x7f, v8
	s_cbranch_execz .LBB331_335
; %bb.332:                              ;   in Loop: Header=BB331_12 Depth=1
	v_mov_b32_e32 v7, 7
	s_mov_b32 s24, exec_lo
	v_and_b32_sdwa v24, v6, v7 dst_sel:DWORD dst_unused:UNUSED_PAD src0_sel:BYTE_3 src1_sel:DWORD
	v_mov_b32_e32 v71, v25
	v_lshrrev_b32_e32 v7, 3, v8
	v_mov_b32_e32 v70, v24
	v_cmpx_gt_u32_e32 8, v8
; %bb.333:                              ;   in Loop: Header=BB331_12 Depth=1
	v_ffbh_u32_e32 v7, v24
	v_min_u32_e32 v7, 32, v7
	v_subrev_nc_u32_e32 v8, 28, v7
	v_sub_nc_u32_e32 v7, 29, v7
	v_lshlrev_b64 v[8:9], v8, v[24:25]
	v_and_b32_e32 v70, 7, v8
; %bb.334:                              ;   in Loop: Header=BB331_12 Depth=1
	s_or_b32 exec_lo, exec_lo, s24
	v_mov_b32_e32 v8, 24
	v_lshl_add_u32 v7, v7, 23, 0x3c000000
	v_lshlrev_b32_sdwa v6, v8, v6 dst_sel:DWORD dst_unused:UNUSED_PAD src0_sel:DWORD src1_sel:BYTE_3
	v_lshlrev_b32_e32 v8, 20, v70
	v_and_b32_e32 v6, 0x80000000, v6
	v_or3_b32 v76, v8, v6, v7
.LBB331_335:                            ;   in Loop: Header=BB331_12 Depth=1
	s_or_b32 exec_lo, exec_lo, s23
.LBB331_336:                            ;   in Loop: Header=BB331_12 Depth=1
	s_or_b32 exec_lo, exec_lo, s22
.LBB331_337:                            ;   in Loop: Header=BB331_12 Depth=1
	s_or_b32 exec_lo, exec_lo, s8
	flat_load_dword v6, v[68:69] offset:1280
	v_mov_b32_e32 v77, 0
	v_mov_b32_e32 v17, 0
	s_waitcnt vmcnt(0) lgkmcnt(0)
	v_cmp_ne_u16_sdwa s7, v6, v25 src0_sel:BYTE_0 src1_sel:DWORD
	s_and_saveexec_b32 s8, s7
	s_cbranch_execz .LBB331_345
; %bb.338:                              ;   in Loop: Header=BB331_12 Depth=1
	v_cmp_ne_u16_sdwa s7, v6, v115 src0_sel:BYTE_0 src1_sel:DWORD
	v_bfrev_b32_e32 v17, 1
	s_and_saveexec_b32 s22, s7
	s_cbranch_execz .LBB331_344
; %bb.339:                              ;   in Loop: Header=BB331_12 Depth=1
	v_and_b32_e32 v8, 0x7f, v6
	v_mov_b32_e32 v17, 0x7f800001
	s_mov_b32 s23, exec_lo
	v_cmpx_ne_u32_e32 0x7f, v8
	s_cbranch_execz .LBB331_343
; %bb.340:                              ;   in Loop: Header=BB331_12 Depth=1
	v_and_b32_e32 v24, 7, v6
	v_mov_b32_e32 v71, v25
	v_lshrrev_b32_e32 v7, 3, v8
	s_mov_b32 s24, exec_lo
	v_mov_b32_e32 v70, v24
	v_cmpx_gt_u32_e32 8, v8
; %bb.341:                              ;   in Loop: Header=BB331_12 Depth=1
	v_ffbh_u32_e32 v7, v24
	v_min_u32_e32 v7, 32, v7
	v_subrev_nc_u32_e32 v8, 28, v7
	v_sub_nc_u32_e32 v7, 29, v7
	v_lshlrev_b64 v[8:9], v8, v[24:25]
	v_and_b32_e32 v70, 7, v8
; %bb.342:                              ;   in Loop: Header=BB331_12 Depth=1
	s_or_b32 exec_lo, exec_lo, s24
	v_lshlrev_b32_e32 v8, 24, v6
	v_lshlrev_b32_e32 v9, 20, v70
	v_lshl_add_u32 v7, v7, 23, 0x3c000000
	v_and_b32_e32 v8, 0x80000000, v8
	v_or3_b32 v17, v9, v8, v7
.LBB331_343:                            ;   in Loop: Header=BB331_12 Depth=1
	s_or_b32 exec_lo, exec_lo, s23
.LBB331_344:                            ;   in Loop: Header=BB331_12 Depth=1
	s_or_b32 exec_lo, exec_lo, s22
.LBB331_345:                            ;   in Loop: Header=BB331_12 Depth=1
	s_or_b32 exec_lo, exec_lo, s8
	v_cmp_ne_u16_sdwa s7, v6, v25 src0_sel:BYTE_1 src1_sel:DWORD
	s_and_saveexec_b32 s8, s7
	s_cbranch_execz .LBB331_353
; %bb.346:                              ;   in Loop: Header=BB331_12 Depth=1
	v_cmp_ne_u16_sdwa s7, v6, v115 src0_sel:BYTE_1 src1_sel:DWORD
	v_bfrev_b32_e32 v77, 1
	s_and_saveexec_b32 s22, s7
	s_cbranch_execz .LBB331_352
; %bb.347:                              ;   in Loop: Header=BB331_12 Depth=1
	v_mov_b32_e32 v7, 0xffff
	v_mov_b32_e32 v77, 0x7f800001
	s_mov_b32 s23, exec_lo
	v_and_b32_sdwa v7, v7, v6 dst_sel:DWORD dst_unused:UNUSED_PAD src0_sel:DWORD src1_sel:BYTE_1
	v_and_b32_e32 v8, 0x7f, v7
	v_cmpx_ne_u32_e32 0x7f, v8
	s_cbranch_execz .LBB331_351
; %bb.348:                              ;   in Loop: Header=BB331_12 Depth=1
	v_and_b32_e32 v24, 7, v7
	v_mov_b32_e32 v71, v25
	v_lshrrev_b32_e32 v7, 3, v8
	s_mov_b32 s24, exec_lo
	v_mov_b32_e32 v70, v24
	v_cmpx_gt_u32_e32 8, v8
; %bb.349:                              ;   in Loop: Header=BB331_12 Depth=1
	v_ffbh_u32_e32 v7, v24
	v_min_u32_e32 v7, 32, v7
	v_subrev_nc_u32_e32 v8, 28, v7
	v_sub_nc_u32_e32 v7, 29, v7
	v_lshlrev_b64 v[8:9], v8, v[24:25]
	v_and_b32_e32 v70, 7, v8
; %bb.350:                              ;   in Loop: Header=BB331_12 Depth=1
	s_or_b32 exec_lo, exec_lo, s24
	v_lshlrev_b32_e32 v8, 16, v6
	v_lshlrev_b32_e32 v9, 20, v70
	v_lshl_add_u32 v7, v7, 23, 0x3c000000
	v_and_b32_e32 v8, 0x80000000, v8
	v_or3_b32 v77, v9, v8, v7
.LBB331_351:                            ;   in Loop: Header=BB331_12 Depth=1
	s_or_b32 exec_lo, exec_lo, s23
.LBB331_352:                            ;   in Loop: Header=BB331_12 Depth=1
	s_or_b32 exec_lo, exec_lo, s22
.LBB331_353:                            ;   in Loop: Header=BB331_12 Depth=1
	s_or_b32 exec_lo, exec_lo, s8
	v_mov_b32_e32 v7, 0xff
	v_mov_b32_e32 v45, 0
	;; [unrolled: 1-line block ×3, first 2 shown]
	s_mov_b32 s8, exec_lo
	v_and_b32_sdwa v7, v6, v7 dst_sel:DWORD dst_unused:UNUSED_PAD src0_sel:WORD_1 src1_sel:DWORD
	v_cmpx_ne_u16_e32 0, v7
	s_cbranch_execz .LBB331_361
; %bb.354:                              ;   in Loop: Header=BB331_12 Depth=1
	v_bfrev_b32_e32 v81, 1
	s_mov_b32 s22, exec_lo
	v_cmpx_ne_u16_e32 0x80, v7
	s_cbranch_execz .LBB331_360
; %bb.355:                              ;   in Loop: Header=BB331_12 Depth=1
	v_bfe_u32 v8, v6, 16, 7
	v_mov_b32_e32 v81, 0x7f800001
	s_mov_b32 s23, exec_lo
	v_cmpx_ne_u32_e32 0x7f, v8
	s_cbranch_execz .LBB331_359
; %bb.356:                              ;   in Loop: Header=BB331_12 Depth=1
	v_mov_b32_e32 v7, 7
	s_mov_b32 s24, exec_lo
	v_and_b32_sdwa v24, v6, v7 dst_sel:DWORD dst_unused:UNUSED_PAD src0_sel:WORD_1 src1_sel:DWORD
	v_mov_b32_e32 v71, v25
	v_lshrrev_b32_e32 v7, 3, v8
	v_mov_b32_e32 v70, v24
	v_cmpx_gt_u32_e32 8, v8
; %bb.357:                              ;   in Loop: Header=BB331_12 Depth=1
	v_ffbh_u32_e32 v7, v24
	v_min_u32_e32 v7, 32, v7
	v_subrev_nc_u32_e32 v8, 28, v7
	v_sub_nc_u32_e32 v7, 29, v7
	v_lshlrev_b64 v[8:9], v8, v[24:25]
	v_and_b32_e32 v70, 7, v8
; %bb.358:                              ;   in Loop: Header=BB331_12 Depth=1
	s_or_b32 exec_lo, exec_lo, s24
	v_mov_b32_e32 v8, 24
	v_lshlrev_b32_e32 v9, 20, v70
	v_lshl_add_u32 v7, v7, 23, 0x3c000000
	v_lshlrev_b32_sdwa v8, v8, v6 dst_sel:DWORD dst_unused:UNUSED_PAD src0_sel:DWORD src1_sel:WORD_1
	v_and_b32_e32 v8, 0x80000000, v8
	v_or3_b32 v81, v9, v8, v7
.LBB331_359:                            ;   in Loop: Header=BB331_12 Depth=1
	s_or_b32 exec_lo, exec_lo, s23
.LBB331_360:                            ;   in Loop: Header=BB331_12 Depth=1
	s_or_b32 exec_lo, exec_lo, s22
.LBB331_361:                            ;   in Loop: Header=BB331_12 Depth=1
	s_or_b32 exec_lo, exec_lo, s8
	s_mov_b32 s8, exec_lo
	v_cmpx_lt_u32_e32 0xffffff, v6
	s_cbranch_execz .LBB331_369
; %bb.362:                              ;   in Loop: Header=BB331_12 Depth=1
	v_cmp_ne_u32_sdwa s7, v6, v115 src0_sel:BYTE_3 src1_sel:DWORD
	v_bfrev_b32_e32 v45, 1
	s_and_saveexec_b32 s22, s7
	s_cbranch_execz .LBB331_368
; %bb.363:                              ;   in Loop: Header=BB331_12 Depth=1
	v_bfe_u32 v8, v6, 24, 7
	v_mov_b32_e32 v45, 0x7f800001
	s_mov_b32 s23, exec_lo
	v_cmpx_ne_u32_e32 0x7f, v8
	s_cbranch_execz .LBB331_367
; %bb.364:                              ;   in Loop: Header=BB331_12 Depth=1
	v_mov_b32_e32 v7, 7
	s_mov_b32 s24, exec_lo
	v_and_b32_sdwa v24, v6, v7 dst_sel:DWORD dst_unused:UNUSED_PAD src0_sel:BYTE_3 src1_sel:DWORD
	v_mov_b32_e32 v71, v25
	v_lshrrev_b32_e32 v7, 3, v8
	v_mov_b32_e32 v70, v24
	v_cmpx_gt_u32_e32 8, v8
; %bb.365:                              ;   in Loop: Header=BB331_12 Depth=1
	v_ffbh_u32_e32 v7, v24
	v_min_u32_e32 v7, 32, v7
	v_subrev_nc_u32_e32 v8, 28, v7
	v_sub_nc_u32_e32 v7, 29, v7
	v_lshlrev_b64 v[8:9], v8, v[24:25]
	v_and_b32_e32 v70, 7, v8
; %bb.366:                              ;   in Loop: Header=BB331_12 Depth=1
	s_or_b32 exec_lo, exec_lo, s24
	v_mov_b32_e32 v8, 24
	v_lshl_add_u32 v7, v7, 23, 0x3c000000
	v_lshlrev_b32_sdwa v6, v8, v6 dst_sel:DWORD dst_unused:UNUSED_PAD src0_sel:DWORD src1_sel:BYTE_3
	v_lshlrev_b32_e32 v8, 20, v70
	v_and_b32_e32 v6, 0x80000000, v6
	v_or3_b32 v45, v8, v6, v7
.LBB331_367:                            ;   in Loop: Header=BB331_12 Depth=1
	s_or_b32 exec_lo, exec_lo, s23
.LBB331_368:                            ;   in Loop: Header=BB331_12 Depth=1
	s_or_b32 exec_lo, exec_lo, s22
.LBB331_369:                            ;   in Loop: Header=BB331_12 Depth=1
	s_or_b32 exec_lo, exec_lo, s8
	flat_load_dword v6, v[68:69] offset:1288
	v_mov_b32_e32 v12, 0
	v_mov_b32_e32 v86, 0
	s_waitcnt vmcnt(0) lgkmcnt(0)
	v_cmp_ne_u16_sdwa s7, v6, v25 src0_sel:BYTE_0 src1_sel:DWORD
	s_and_saveexec_b32 s8, s7
	s_cbranch_execz .LBB331_377
; %bb.370:                              ;   in Loop: Header=BB331_12 Depth=1
	v_cmp_ne_u16_sdwa s7, v6, v115 src0_sel:BYTE_0 src1_sel:DWORD
	v_bfrev_b32_e32 v86, 1
	s_and_saveexec_b32 s22, s7
	s_cbranch_execz .LBB331_376
; %bb.371:                              ;   in Loop: Header=BB331_12 Depth=1
	v_and_b32_e32 v8, 0x7f, v6
	v_mov_b32_e32 v86, 0x7f800001
	s_mov_b32 s23, exec_lo
	v_cmpx_ne_u32_e32 0x7f, v8
	s_cbranch_execz .LBB331_375
; %bb.372:                              ;   in Loop: Header=BB331_12 Depth=1
	v_and_b32_e32 v24, 7, v6
	v_mov_b32_e32 v71, v25
	v_lshrrev_b32_e32 v7, 3, v8
	s_mov_b32 s24, exec_lo
	v_mov_b32_e32 v70, v24
	v_cmpx_gt_u32_e32 8, v8
; %bb.373:                              ;   in Loop: Header=BB331_12 Depth=1
	v_ffbh_u32_e32 v7, v24
	v_min_u32_e32 v7, 32, v7
	v_subrev_nc_u32_e32 v8, 28, v7
	v_sub_nc_u32_e32 v7, 29, v7
	v_lshlrev_b64 v[8:9], v8, v[24:25]
	v_and_b32_e32 v70, 7, v8
; %bb.374:                              ;   in Loop: Header=BB331_12 Depth=1
	s_or_b32 exec_lo, exec_lo, s24
	v_lshlrev_b32_e32 v8, 24, v6
	v_lshlrev_b32_e32 v9, 20, v70
	v_lshl_add_u32 v7, v7, 23, 0x3c000000
	v_and_b32_e32 v8, 0x80000000, v8
	v_or3_b32 v86, v9, v8, v7
.LBB331_375:                            ;   in Loop: Header=BB331_12 Depth=1
	s_or_b32 exec_lo, exec_lo, s23
.LBB331_376:                            ;   in Loop: Header=BB331_12 Depth=1
	s_or_b32 exec_lo, exec_lo, s22
.LBB331_377:                            ;   in Loop: Header=BB331_12 Depth=1
	s_or_b32 exec_lo, exec_lo, s8
	v_cmp_ne_u16_sdwa s7, v6, v25 src0_sel:BYTE_1 src1_sel:DWORD
	s_and_saveexec_b32 s8, s7
	s_cbranch_execz .LBB331_385
; %bb.378:                              ;   in Loop: Header=BB331_12 Depth=1
	v_cmp_ne_u16_sdwa s7, v6, v115 src0_sel:BYTE_1 src1_sel:DWORD
	v_bfrev_b32_e32 v12, 1
	s_and_saveexec_b32 s22, s7
	s_cbranch_execz .LBB331_384
; %bb.379:                              ;   in Loop: Header=BB331_12 Depth=1
	v_mov_b32_e32 v7, 0xffff
	v_mov_b32_e32 v12, 0x7f800001
	s_mov_b32 s23, exec_lo
	v_and_b32_sdwa v7, v7, v6 dst_sel:DWORD dst_unused:UNUSED_PAD src0_sel:DWORD src1_sel:BYTE_1
	v_and_b32_e32 v8, 0x7f, v7
	v_cmpx_ne_u32_e32 0x7f, v8
	s_cbranch_execz .LBB331_383
; %bb.380:                              ;   in Loop: Header=BB331_12 Depth=1
	v_and_b32_e32 v24, 7, v7
	v_mov_b32_e32 v71, v25
	v_lshrrev_b32_e32 v7, 3, v8
	s_mov_b32 s24, exec_lo
	v_mov_b32_e32 v70, v24
	v_cmpx_gt_u32_e32 8, v8
; %bb.381:                              ;   in Loop: Header=BB331_12 Depth=1
	v_ffbh_u32_e32 v7, v24
	v_min_u32_e32 v7, 32, v7
	v_subrev_nc_u32_e32 v8, 28, v7
	v_sub_nc_u32_e32 v7, 29, v7
	v_lshlrev_b64 v[8:9], v8, v[24:25]
	v_and_b32_e32 v70, 7, v8
; %bb.382:                              ;   in Loop: Header=BB331_12 Depth=1
	s_or_b32 exec_lo, exec_lo, s24
	v_lshlrev_b32_e32 v8, 16, v6
	v_lshlrev_b32_e32 v9, 20, v70
	v_lshl_add_u32 v7, v7, 23, 0x3c000000
	v_and_b32_e32 v8, 0x80000000, v8
	v_or3_b32 v12, v9, v8, v7
.LBB331_383:                            ;   in Loop: Header=BB331_12 Depth=1
	s_or_b32 exec_lo, exec_lo, s23
.LBB331_384:                            ;   in Loop: Header=BB331_12 Depth=1
	s_or_b32 exec_lo, exec_lo, s22
.LBB331_385:                            ;   in Loop: Header=BB331_12 Depth=1
	s_or_b32 exec_lo, exec_lo, s8
	v_mov_b32_e32 v7, 0xff
	v_mov_b32_e32 v13, 0
	v_mov_b32_e32 v14, 0
	s_mov_b32 s8, exec_lo
	v_and_b32_sdwa v7, v6, v7 dst_sel:DWORD dst_unused:UNUSED_PAD src0_sel:WORD_1 src1_sel:DWORD
	v_cmpx_ne_u16_e32 0, v7
	s_cbranch_execz .LBB331_393
; %bb.386:                              ;   in Loop: Header=BB331_12 Depth=1
	v_bfrev_b32_e32 v14, 1
	s_mov_b32 s22, exec_lo
	v_cmpx_ne_u16_e32 0x80, v7
	s_cbranch_execz .LBB331_392
; %bb.387:                              ;   in Loop: Header=BB331_12 Depth=1
	v_bfe_u32 v8, v6, 16, 7
	v_mov_b32_e32 v14, 0x7f800001
	s_mov_b32 s23, exec_lo
	v_cmpx_ne_u32_e32 0x7f, v8
	s_cbranch_execz .LBB331_391
; %bb.388:                              ;   in Loop: Header=BB331_12 Depth=1
	v_mov_b32_e32 v7, 7
	s_mov_b32 s24, exec_lo
	v_and_b32_sdwa v24, v6, v7 dst_sel:DWORD dst_unused:UNUSED_PAD src0_sel:WORD_1 src1_sel:DWORD
	v_mov_b32_e32 v71, v25
	v_lshrrev_b32_e32 v7, 3, v8
	v_mov_b32_e32 v70, v24
	v_cmpx_gt_u32_e32 8, v8
; %bb.389:                              ;   in Loop: Header=BB331_12 Depth=1
	v_ffbh_u32_e32 v7, v24
	v_min_u32_e32 v7, 32, v7
	v_subrev_nc_u32_e32 v8, 28, v7
	v_sub_nc_u32_e32 v7, 29, v7
	v_lshlrev_b64 v[8:9], v8, v[24:25]
	v_and_b32_e32 v70, 7, v8
; %bb.390:                              ;   in Loop: Header=BB331_12 Depth=1
	s_or_b32 exec_lo, exec_lo, s24
	v_mov_b32_e32 v8, 24
	v_lshlrev_b32_e32 v9, 20, v70
	v_lshl_add_u32 v7, v7, 23, 0x3c000000
	v_lshlrev_b32_sdwa v8, v8, v6 dst_sel:DWORD dst_unused:UNUSED_PAD src0_sel:DWORD src1_sel:WORD_1
	v_and_b32_e32 v8, 0x80000000, v8
	v_or3_b32 v14, v9, v8, v7
.LBB331_391:                            ;   in Loop: Header=BB331_12 Depth=1
	s_or_b32 exec_lo, exec_lo, s23
.LBB331_392:                            ;   in Loop: Header=BB331_12 Depth=1
	s_or_b32 exec_lo, exec_lo, s22
.LBB331_393:                            ;   in Loop: Header=BB331_12 Depth=1
	s_or_b32 exec_lo, exec_lo, s8
	s_mov_b32 s8, exec_lo
	v_cmpx_lt_u32_e32 0xffffff, v6
	s_cbranch_execz .LBB331_401
; %bb.394:                              ;   in Loop: Header=BB331_12 Depth=1
	v_cmp_ne_u32_sdwa s7, v6, v115 src0_sel:BYTE_3 src1_sel:DWORD
	v_bfrev_b32_e32 v13, 1
	s_and_saveexec_b32 s22, s7
	s_cbranch_execz .LBB331_400
; %bb.395:                              ;   in Loop: Header=BB331_12 Depth=1
	v_bfe_u32 v8, v6, 24, 7
	v_mov_b32_e32 v13, 0x7f800001
	s_mov_b32 s23, exec_lo
	v_cmpx_ne_u32_e32 0x7f, v8
	s_cbranch_execz .LBB331_399
; %bb.396:                              ;   in Loop: Header=BB331_12 Depth=1
	v_mov_b32_e32 v7, 7
	s_mov_b32 s24, exec_lo
	v_and_b32_sdwa v24, v6, v7 dst_sel:DWORD dst_unused:UNUSED_PAD src0_sel:BYTE_3 src1_sel:DWORD
	v_mov_b32_e32 v71, v25
	v_lshrrev_b32_e32 v7, 3, v8
	v_mov_b32_e32 v70, v24
	v_cmpx_gt_u32_e32 8, v8
; %bb.397:                              ;   in Loop: Header=BB331_12 Depth=1
	v_ffbh_u32_e32 v7, v24
	v_min_u32_e32 v7, 32, v7
	v_subrev_nc_u32_e32 v8, 28, v7
	v_sub_nc_u32_e32 v7, 29, v7
	v_lshlrev_b64 v[8:9], v8, v[24:25]
	v_and_b32_e32 v70, 7, v8
; %bb.398:                              ;   in Loop: Header=BB331_12 Depth=1
	s_or_b32 exec_lo, exec_lo, s24
	v_mov_b32_e32 v8, 24
	v_lshl_add_u32 v7, v7, 23, 0x3c000000
	v_lshlrev_b32_sdwa v6, v8, v6 dst_sel:DWORD dst_unused:UNUSED_PAD src0_sel:DWORD src1_sel:BYTE_3
	v_lshlrev_b32_e32 v8, 20, v70
	v_and_b32_e32 v6, 0x80000000, v6
	v_or3_b32 v13, v8, v6, v7
.LBB331_399:                            ;   in Loop: Header=BB331_12 Depth=1
	s_or_b32 exec_lo, exec_lo, s23
.LBB331_400:                            ;   in Loop: Header=BB331_12 Depth=1
	s_or_b32 exec_lo, exec_lo, s22
.LBB331_401:                            ;   in Loop: Header=BB331_12 Depth=1
	s_or_b32 exec_lo, exec_lo, s8
	flat_load_dword v6, v[68:69] offset:1536
	v_mov_b32_e32 v27, 0
	v_mov_b32_e32 v15, 0
	s_waitcnt vmcnt(0) lgkmcnt(0)
	v_cmp_ne_u16_sdwa s7, v6, v25 src0_sel:BYTE_0 src1_sel:DWORD
	s_and_saveexec_b32 s8, s7
	s_cbranch_execz .LBB331_409
; %bb.402:                              ;   in Loop: Header=BB331_12 Depth=1
	v_cmp_ne_u16_sdwa s7, v6, v115 src0_sel:BYTE_0 src1_sel:DWORD
	v_bfrev_b32_e32 v15, 1
	s_and_saveexec_b32 s22, s7
	s_cbranch_execz .LBB331_408
; %bb.403:                              ;   in Loop: Header=BB331_12 Depth=1
	v_and_b32_e32 v8, 0x7f, v6
	v_mov_b32_e32 v15, 0x7f800001
	s_mov_b32 s23, exec_lo
	v_cmpx_ne_u32_e32 0x7f, v8
	s_cbranch_execz .LBB331_407
; %bb.404:                              ;   in Loop: Header=BB331_12 Depth=1
	v_and_b32_e32 v24, 7, v6
	v_mov_b32_e32 v71, v25
	v_lshrrev_b32_e32 v7, 3, v8
	s_mov_b32 s24, exec_lo
	v_mov_b32_e32 v70, v24
	v_cmpx_gt_u32_e32 8, v8
; %bb.405:                              ;   in Loop: Header=BB331_12 Depth=1
	v_ffbh_u32_e32 v7, v24
	v_min_u32_e32 v7, 32, v7
	v_subrev_nc_u32_e32 v8, 28, v7
	v_sub_nc_u32_e32 v7, 29, v7
	v_lshlrev_b64 v[8:9], v8, v[24:25]
	v_and_b32_e32 v70, 7, v8
; %bb.406:                              ;   in Loop: Header=BB331_12 Depth=1
	s_or_b32 exec_lo, exec_lo, s24
	v_lshlrev_b32_e32 v8, 24, v6
	v_lshlrev_b32_e32 v9, 20, v70
	v_lshl_add_u32 v7, v7, 23, 0x3c000000
	v_and_b32_e32 v8, 0x80000000, v8
	v_or3_b32 v15, v9, v8, v7
.LBB331_407:                            ;   in Loop: Header=BB331_12 Depth=1
	s_or_b32 exec_lo, exec_lo, s23
.LBB331_408:                            ;   in Loop: Header=BB331_12 Depth=1
	s_or_b32 exec_lo, exec_lo, s22
.LBB331_409:                            ;   in Loop: Header=BB331_12 Depth=1
	s_or_b32 exec_lo, exec_lo, s8
	v_cmp_ne_u16_sdwa s7, v6, v25 src0_sel:BYTE_1 src1_sel:DWORD
	s_and_saveexec_b32 s8, s7
	s_cbranch_execz .LBB331_417
; %bb.410:                              ;   in Loop: Header=BB331_12 Depth=1
	v_cmp_ne_u16_sdwa s7, v6, v115 src0_sel:BYTE_1 src1_sel:DWORD
	v_bfrev_b32_e32 v27, 1
	s_and_saveexec_b32 s22, s7
	s_cbranch_execz .LBB331_416
; %bb.411:                              ;   in Loop: Header=BB331_12 Depth=1
	v_mov_b32_e32 v7, 0xffff
	v_mov_b32_e32 v27, 0x7f800001
	s_mov_b32 s23, exec_lo
	v_and_b32_sdwa v7, v7, v6 dst_sel:DWORD dst_unused:UNUSED_PAD src0_sel:DWORD src1_sel:BYTE_1
	v_and_b32_e32 v8, 0x7f, v7
	v_cmpx_ne_u32_e32 0x7f, v8
	s_cbranch_execz .LBB331_415
; %bb.412:                              ;   in Loop: Header=BB331_12 Depth=1
	v_and_b32_e32 v24, 7, v7
	v_mov_b32_e32 v71, v25
	v_lshrrev_b32_e32 v7, 3, v8
	s_mov_b32 s24, exec_lo
	v_mov_b32_e32 v70, v24
	v_cmpx_gt_u32_e32 8, v8
; %bb.413:                              ;   in Loop: Header=BB331_12 Depth=1
	v_ffbh_u32_e32 v7, v24
	v_min_u32_e32 v7, 32, v7
	v_subrev_nc_u32_e32 v8, 28, v7
	v_sub_nc_u32_e32 v7, 29, v7
	v_lshlrev_b64 v[8:9], v8, v[24:25]
	v_and_b32_e32 v70, 7, v8
; %bb.414:                              ;   in Loop: Header=BB331_12 Depth=1
	s_or_b32 exec_lo, exec_lo, s24
	v_lshlrev_b32_e32 v8, 16, v6
	v_lshlrev_b32_e32 v9, 20, v70
	v_lshl_add_u32 v7, v7, 23, 0x3c000000
	v_and_b32_e32 v8, 0x80000000, v8
	v_or3_b32 v27, v9, v8, v7
.LBB331_415:                            ;   in Loop: Header=BB331_12 Depth=1
	s_or_b32 exec_lo, exec_lo, s23
.LBB331_416:                            ;   in Loop: Header=BB331_12 Depth=1
	s_or_b32 exec_lo, exec_lo, s22
.LBB331_417:                            ;   in Loop: Header=BB331_12 Depth=1
	s_or_b32 exec_lo, exec_lo, s8
	v_mov_b32_e32 v7, 0xff
	v_mov_b32_e32 v28, 0
	v_mov_b32_e32 v29, 0
	s_mov_b32 s8, exec_lo
	v_and_b32_sdwa v7, v6, v7 dst_sel:DWORD dst_unused:UNUSED_PAD src0_sel:WORD_1 src1_sel:DWORD
	v_cmpx_ne_u16_e32 0, v7
	s_cbranch_execz .LBB331_425
; %bb.418:                              ;   in Loop: Header=BB331_12 Depth=1
	v_bfrev_b32_e32 v29, 1
	s_mov_b32 s22, exec_lo
	v_cmpx_ne_u16_e32 0x80, v7
	s_cbranch_execz .LBB331_424
; %bb.419:                              ;   in Loop: Header=BB331_12 Depth=1
	v_bfe_u32 v9, v6, 16, 7
	v_mov_b32_e32 v29, 0x7f800001
	s_mov_b32 s23, exec_lo
	v_cmpx_ne_u32_e32 0x7f, v9
	s_cbranch_execz .LBB331_423
; %bb.420:                              ;   in Loop: Header=BB331_12 Depth=1
	v_mov_b32_e32 v7, 7
	s_mov_b32 s24, exec_lo
	v_and_b32_sdwa v24, v6, v7 dst_sel:DWORD dst_unused:UNUSED_PAD src0_sel:WORD_1 src1_sel:DWORD
	v_mov_b32_e32 v71, v25
	v_lshrrev_b32_e32 v7, 3, v9
	v_mov_b32_e32 v70, v24
	v_cmpx_gt_u32_e32 8, v9
; %bb.421:                              ;   in Loop: Header=BB331_12 Depth=1
	v_ffbh_u32_e32 v7, v24
	v_min_u32_e32 v7, 32, v7
	v_subrev_nc_u32_e32 v8, 28, v7
	v_sub_nc_u32_e32 v7, 29, v7
	v_lshlrev_b64 v[8:9], v8, v[24:25]
	v_and_b32_e32 v70, 7, v8
; %bb.422:                              ;   in Loop: Header=BB331_12 Depth=1
	s_or_b32 exec_lo, exec_lo, s24
	v_mov_b32_e32 v8, 24
	v_lshlrev_b32_e32 v9, 20, v70
	v_lshl_add_u32 v7, v7, 23, 0x3c000000
	v_lshlrev_b32_sdwa v8, v8, v6 dst_sel:DWORD dst_unused:UNUSED_PAD src0_sel:DWORD src1_sel:WORD_1
	v_and_b32_e32 v8, 0x80000000, v8
	v_or3_b32 v29, v9, v8, v7
.LBB331_423:                            ;   in Loop: Header=BB331_12 Depth=1
	s_or_b32 exec_lo, exec_lo, s23
.LBB331_424:                            ;   in Loop: Header=BB331_12 Depth=1
	s_or_b32 exec_lo, exec_lo, s22
.LBB331_425:                            ;   in Loop: Header=BB331_12 Depth=1
	s_or_b32 exec_lo, exec_lo, s8
	s_mov_b32 s8, exec_lo
	v_cmpx_lt_u32_e32 0xffffff, v6
	s_cbranch_execz .LBB331_433
; %bb.426:                              ;   in Loop: Header=BB331_12 Depth=1
	v_cmp_ne_u32_sdwa s7, v6, v115 src0_sel:BYTE_3 src1_sel:DWORD
	v_bfrev_b32_e32 v28, 1
	s_and_saveexec_b32 s22, s7
	s_cbranch_execz .LBB331_432
; %bb.427:                              ;   in Loop: Header=BB331_12 Depth=1
	v_bfe_u32 v9, v6, 24, 7
	v_mov_b32_e32 v28, 0x7f800001
	s_mov_b32 s23, exec_lo
	v_cmpx_ne_u32_e32 0x7f, v9
	s_cbranch_execz .LBB331_431
; %bb.428:                              ;   in Loop: Header=BB331_12 Depth=1
	v_mov_b32_e32 v7, 7
	s_mov_b32 s24, exec_lo
	v_and_b32_sdwa v24, v6, v7 dst_sel:DWORD dst_unused:UNUSED_PAD src0_sel:BYTE_3 src1_sel:DWORD
	v_mov_b32_e32 v71, v25
	v_lshrrev_b32_e32 v7, 3, v9
	v_mov_b32_e32 v70, v24
	v_cmpx_gt_u32_e32 8, v9
; %bb.429:                              ;   in Loop: Header=BB331_12 Depth=1
	v_ffbh_u32_e32 v7, v24
	v_min_u32_e32 v7, 32, v7
	v_subrev_nc_u32_e32 v9, 28, v7
	v_sub_nc_u32_e32 v7, 29, v7
	v_lshlrev_b64 v[9:10], v9, v[24:25]
	v_and_b32_e32 v70, 7, v9
; %bb.430:                              ;   in Loop: Header=BB331_12 Depth=1
	s_or_b32 exec_lo, exec_lo, s24
	v_mov_b32_e32 v8, 24
	v_lshlrev_b32_e32 v9, 20, v70
	v_lshl_add_u32 v7, v7, 23, 0x3c000000
	v_lshlrev_b32_sdwa v6, v8, v6 dst_sel:DWORD dst_unused:UNUSED_PAD src0_sel:DWORD src1_sel:BYTE_3
	v_and_b32_e32 v6, 0x80000000, v6
	v_or3_b32 v28, v9, v6, v7
.LBB331_431:                            ;   in Loop: Header=BB331_12 Depth=1
	s_or_b32 exec_lo, exec_lo, s23
.LBB331_432:                            ;   in Loop: Header=BB331_12 Depth=1
	s_or_b32 exec_lo, exec_lo, s22
.LBB331_433:                            ;   in Loop: Header=BB331_12 Depth=1
	s_or_b32 exec_lo, exec_lo, s8
	flat_load_dword v9, v[68:69] offset:1544
	v_mov_b32_e32 v30, 0
	v_mov_b32_e32 v94, 0
	s_waitcnt vmcnt(0) lgkmcnt(0)
	v_cmp_ne_u16_sdwa s7, v9, v25 src0_sel:BYTE_0 src1_sel:DWORD
	s_and_saveexec_b32 s8, s7
	s_cbranch_execz .LBB331_441
; %bb.434:                              ;   in Loop: Header=BB331_12 Depth=1
	v_cmp_ne_u16_sdwa s7, v9, v115 src0_sel:BYTE_0 src1_sel:DWORD
	v_bfrev_b32_e32 v94, 1
	s_and_saveexec_b32 s22, s7
	s_cbranch_execz .LBB331_440
; %bb.435:                              ;   in Loop: Header=BB331_12 Depth=1
	v_and_b32_e32 v10, 0x7f, v9
	v_mov_b32_e32 v94, 0x7f800001
	s_mov_b32 s23, exec_lo
	v_cmpx_ne_u32_e32 0x7f, v10
	s_cbranch_execz .LBB331_439
; %bb.436:                              ;   in Loop: Header=BB331_12 Depth=1
	v_and_b32_e32 v24, 7, v9
	v_mov_b32_e32 v71, v25
	v_lshrrev_b32_e32 v7, 3, v10
	s_mov_b32 s24, exec_lo
	v_mov_b32_e32 v70, v24
	v_cmpx_gt_u32_e32 8, v10
; %bb.437:                              ;   in Loop: Header=BB331_12 Depth=1
	v_ffbh_u32_e32 v7, v24
	v_min_u32_e32 v7, 32, v7
	v_subrev_nc_u32_e32 v10, 28, v7
	v_sub_nc_u32_e32 v7, 29, v7
	v_lshlrev_b64 v[10:11], v10, v[24:25]
	v_and_b32_e32 v70, 7, v10
; %bb.438:                              ;   in Loop: Header=BB331_12 Depth=1
	s_or_b32 exec_lo, exec_lo, s24
	v_lshlrev_b32_e32 v10, 24, v9
	v_lshlrev_b32_e32 v11, 20, v70
	v_lshl_add_u32 v7, v7, 23, 0x3c000000
	v_and_b32_e32 v10, 0x80000000, v10
	v_or3_b32 v94, v11, v10, v7
.LBB331_439:                            ;   in Loop: Header=BB331_12 Depth=1
	s_or_b32 exec_lo, exec_lo, s23
.LBB331_440:                            ;   in Loop: Header=BB331_12 Depth=1
	s_or_b32 exec_lo, exec_lo, s22
.LBB331_441:                            ;   in Loop: Header=BB331_12 Depth=1
	s_or_b32 exec_lo, exec_lo, s8
	v_cmp_ne_u16_sdwa s7, v9, v25 src0_sel:BYTE_1 src1_sel:DWORD
	s_and_saveexec_b32 s8, s7
	s_cbranch_execz .LBB331_449
; %bb.442:                              ;   in Loop: Header=BB331_12 Depth=1
	v_cmp_ne_u16_sdwa s7, v9, v115 src0_sel:BYTE_1 src1_sel:DWORD
	v_bfrev_b32_e32 v30, 1
	s_and_saveexec_b32 s22, s7
	s_cbranch_execz .LBB331_448
; %bb.443:                              ;   in Loop: Header=BB331_12 Depth=1
	v_mov_b32_e32 v6, 0xffff
	v_mov_b32_e32 v30, 0x7f800001
	s_mov_b32 s23, exec_lo
	v_and_b32_sdwa v11, v6, v9 dst_sel:DWORD dst_unused:UNUSED_PAD src0_sel:DWORD src1_sel:BYTE_1
	v_and_b32_e32 v10, 0x7f, v11
	v_cmpx_ne_u32_e32 0x7f, v10
	s_cbranch_execz .LBB331_447
; %bb.444:                              ;   in Loop: Header=BB331_12 Depth=1
	v_and_b32_e32 v24, 7, v11
	v_mov_b32_e32 v71, v25
	v_lshrrev_b32_e32 v6, 3, v10
	s_mov_b32 s24, exec_lo
	v_mov_b32_e32 v70, v24
	v_cmpx_gt_u32_e32 8, v10
; %bb.445:                              ;   in Loop: Header=BB331_12 Depth=1
	v_ffbh_u32_e32 v6, v24
	v_min_u32_e32 v6, 32, v6
	v_subrev_nc_u32_e32 v10, 28, v6
	v_sub_nc_u32_e32 v6, 29, v6
	v_lshlrev_b64 v[10:11], v10, v[24:25]
	v_and_b32_e32 v70, 7, v10
; %bb.446:                              ;   in Loop: Header=BB331_12 Depth=1
	s_or_b32 exec_lo, exec_lo, s24
	v_lshlrev_b32_e32 v10, 16, v9
	v_lshlrev_b32_e32 v11, 20, v70
	v_lshl_add_u32 v6, v6, 23, 0x3c000000
	v_and_b32_e32 v10, 0x80000000, v10
	v_or3_b32 v30, v11, v10, v6
.LBB331_447:                            ;   in Loop: Header=BB331_12 Depth=1
	s_or_b32 exec_lo, exec_lo, s23
.LBB331_448:                            ;   in Loop: Header=BB331_12 Depth=1
	s_or_b32 exec_lo, exec_lo, s22
.LBB331_449:                            ;   in Loop: Header=BB331_12 Depth=1
	s_or_b32 exec_lo, exec_lo, s8
	v_mov_b32_e32 v6, 0xff
	v_mov_b32_e32 v11, 0
	;; [unrolled: 1-line block ×3, first 2 shown]
	s_mov_b32 s8, exec_lo
	v_and_b32_sdwa v16, v9, v6 dst_sel:DWORD dst_unused:UNUSED_PAD src0_sel:WORD_1 src1_sel:DWORD
	v_cmpx_ne_u16_e32 0, v16
	s_cbranch_execz .LBB331_457
; %bb.450:                              ;   in Loop: Header=BB331_12 Depth=1
	v_bfrev_b32_e32 v10, 1
	s_mov_b32 s22, exec_lo
	v_cmpx_ne_u16_e32 0x80, v16
	s_cbranch_execz .LBB331_456
; %bb.451:                              ;   in Loop: Header=BB331_12 Depth=1
	v_bfe_u32 v16, v9, 16, 7
	v_mov_b32_e32 v10, 0x7f800001
	s_mov_b32 s23, exec_lo
	v_cmpx_ne_u32_e32 0x7f, v16
	s_cbranch_execz .LBB331_455
; %bb.452:                              ;   in Loop: Header=BB331_12 Depth=1
	v_mov_b32_e32 v6, 7
	v_lshrrev_b32_e32 v10, 3, v16
	s_mov_b32 s24, exec_lo
	v_and_b32_sdwa v24, v9, v6 dst_sel:DWORD dst_unused:UNUSED_PAD src0_sel:WORD_1 src1_sel:DWORD
	v_mov_b32_e32 v71, v25
	v_mov_b32_e32 v70, v24
	v_cmpx_gt_u32_e32 8, v16
; %bb.453:                              ;   in Loop: Header=BB331_12 Depth=1
	v_ffbh_u32_e32 v10, v24
	v_min_u32_e32 v10, 32, v10
	v_subrev_nc_u32_e32 v16, 28, v10
	v_sub_nc_u32_e32 v10, 29, v10
	v_lshlrev_b64 v[18:19], v16, v[24:25]
	v_and_b32_e32 v70, 7, v18
; %bb.454:                              ;   in Loop: Header=BB331_12 Depth=1
	s_or_b32 exec_lo, exec_lo, s24
	v_mov_b32_e32 v6, 24
	v_lshlrev_b32_e32 v18, 20, v70
	v_lshl_add_u32 v10, v10, 23, 0x3c000000
	v_lshlrev_b32_sdwa v16, v6, v9 dst_sel:DWORD dst_unused:UNUSED_PAD src0_sel:DWORD src1_sel:WORD_1
	v_and_b32_e32 v16, 0x80000000, v16
	v_or3_b32 v10, v18, v16, v10
.LBB331_455:                            ;   in Loop: Header=BB331_12 Depth=1
	s_or_b32 exec_lo, exec_lo, s23
.LBB331_456:                            ;   in Loop: Header=BB331_12 Depth=1
	s_or_b32 exec_lo, exec_lo, s22
.LBB331_457:                            ;   in Loop: Header=BB331_12 Depth=1
	s_or_b32 exec_lo, exec_lo, s8
	s_mov_b32 s8, exec_lo
	v_cmpx_lt_u32_e32 0xffffff, v9
	s_cbranch_execz .LBB331_465
; %bb.458:                              ;   in Loop: Header=BB331_12 Depth=1
	v_cmp_ne_u32_sdwa s7, v9, v115 src0_sel:BYTE_3 src1_sel:DWORD
	v_bfrev_b32_e32 v11, 1
	s_and_saveexec_b32 s22, s7
	s_cbranch_execz .LBB331_464
; %bb.459:                              ;   in Loop: Header=BB331_12 Depth=1
	v_bfe_u32 v16, v9, 24, 7
	v_mov_b32_e32 v11, 0x7f800001
	s_mov_b32 s23, exec_lo
	v_cmpx_ne_u32_e32 0x7f, v16
	s_cbranch_execz .LBB331_463
; %bb.460:                              ;   in Loop: Header=BB331_12 Depth=1
	v_mov_b32_e32 v6, 7
	v_lshrrev_b32_e32 v11, 3, v16
	s_mov_b32 s24, exec_lo
	v_and_b32_sdwa v24, v9, v6 dst_sel:DWORD dst_unused:UNUSED_PAD src0_sel:BYTE_3 src1_sel:DWORD
	v_mov_b32_e32 v71, v25
	v_mov_b32_e32 v70, v24
	v_cmpx_gt_u32_e32 8, v16
; %bb.461:                              ;   in Loop: Header=BB331_12 Depth=1
	v_ffbh_u32_e32 v11, v24
	v_min_u32_e32 v11, 32, v11
	v_subrev_nc_u32_e32 v16, 28, v11
	v_sub_nc_u32_e32 v11, 29, v11
	v_lshlrev_b64 v[18:19], v16, v[24:25]
	v_and_b32_e32 v70, 7, v18
; %bb.462:                              ;   in Loop: Header=BB331_12 Depth=1
	s_or_b32 exec_lo, exec_lo, s24
	v_mov_b32_e32 v6, 24
	v_lshlrev_b32_e32 v16, 20, v70
	v_lshl_add_u32 v11, v11, 23, 0x3c000000
	v_lshlrev_b32_sdwa v9, v6, v9 dst_sel:DWORD dst_unused:UNUSED_PAD src0_sel:DWORD src1_sel:BYTE_3
	v_and_b32_e32 v9, 0x80000000, v9
	v_or3_b32 v11, v16, v9, v11
.LBB331_463:                            ;   in Loop: Header=BB331_12 Depth=1
	s_or_b32 exec_lo, exec_lo, s23
.LBB331_464:                            ;   in Loop: Header=BB331_12 Depth=1
	s_or_b32 exec_lo, exec_lo, s22
.LBB331_465:                            ;   in Loop: Header=BB331_12 Depth=1
	s_or_b32 exec_lo, exec_lo, s8
	flat_load_dword v9, v[68:69] offset:1792
	v_mov_b32_e32 v114, 0
	v_mov_b32_e32 v42, 0
	s_waitcnt vmcnt(0) lgkmcnt(0)
	v_cmp_ne_u16_sdwa s7, v9, v25 src0_sel:BYTE_0 src1_sel:DWORD
	s_and_saveexec_b32 s8, s7
	s_cbranch_execz .LBB331_473
; %bb.466:                              ;   in Loop: Header=BB331_12 Depth=1
	v_cmp_ne_u16_sdwa s7, v9, v115 src0_sel:BYTE_0 src1_sel:DWORD
	v_bfrev_b32_e32 v42, 1
	s_and_saveexec_b32 s22, s7
	s_cbranch_execz .LBB331_472
; %bb.467:                              ;   in Loop: Header=BB331_12 Depth=1
	v_and_b32_e32 v18, 0x7f, v9
	v_mov_b32_e32 v42, 0x7f800001
	s_mov_b32 s23, exec_lo
	v_cmpx_ne_u32_e32 0x7f, v18
	s_cbranch_execz .LBB331_471
; %bb.468:                              ;   in Loop: Header=BB331_12 Depth=1
	v_and_b32_e32 v24, 7, v9
	v_mov_b32_e32 v71, v25
	v_lshrrev_b32_e32 v16, 3, v18
	s_mov_b32 s24, exec_lo
	v_mov_b32_e32 v70, v24
	v_cmpx_gt_u32_e32 8, v18
; %bb.469:                              ;   in Loop: Header=BB331_12 Depth=1
	v_ffbh_u32_e32 v16, v24
	v_min_u32_e32 v16, 32, v16
	v_subrev_nc_u32_e32 v18, 28, v16
	v_sub_nc_u32_e32 v16, 29, v16
	v_lshlrev_b64 v[18:19], v18, v[24:25]
	v_and_b32_e32 v70, 7, v18
; %bb.470:                              ;   in Loop: Header=BB331_12 Depth=1
	s_or_b32 exec_lo, exec_lo, s24
	v_lshlrev_b32_e32 v18, 24, v9
	v_lshlrev_b32_e32 v19, 20, v70
	v_lshl_add_u32 v16, v16, 23, 0x3c000000
	v_and_b32_e32 v18, 0x80000000, v18
	v_or3_b32 v42, v19, v18, v16
.LBB331_471:                            ;   in Loop: Header=BB331_12 Depth=1
	s_or_b32 exec_lo, exec_lo, s23
.LBB331_472:                            ;   in Loop: Header=BB331_12 Depth=1
	s_or_b32 exec_lo, exec_lo, s22
.LBB331_473:                            ;   in Loop: Header=BB331_12 Depth=1
	s_or_b32 exec_lo, exec_lo, s8
	v_cmp_ne_u16_sdwa s7, v9, v25 src0_sel:BYTE_1 src1_sel:DWORD
	s_and_saveexec_b32 s8, s7
	s_cbranch_execz .LBB331_481
; %bb.474:                              ;   in Loop: Header=BB331_12 Depth=1
	v_cmp_ne_u16_sdwa s7, v9, v115 src0_sel:BYTE_1 src1_sel:DWORD
	v_bfrev_b32_e32 v114, 1
	s_and_saveexec_b32 s22, s7
	s_cbranch_execz .LBB331_480
; %bb.475:                              ;   in Loop: Header=BB331_12 Depth=1
	v_mov_b32_e32 v6, 0xffff
	v_mov_b32_e32 v114, 0x7f800001
	s_mov_b32 s23, exec_lo
	v_and_b32_sdwa v16, v6, v9 dst_sel:DWORD dst_unused:UNUSED_PAD src0_sel:DWORD src1_sel:BYTE_1
	v_and_b32_e32 v18, 0x7f, v16
	v_cmpx_ne_u32_e32 0x7f, v18
	s_cbranch_execz .LBB331_479
; %bb.476:                              ;   in Loop: Header=BB331_12 Depth=1
	v_and_b32_e32 v24, 7, v16
	v_mov_b32_e32 v71, v25
	v_lshrrev_b32_e32 v16, 3, v18
	s_mov_b32 s24, exec_lo
	v_mov_b32_e32 v70, v24
	v_cmpx_gt_u32_e32 8, v18
; %bb.477:                              ;   in Loop: Header=BB331_12 Depth=1
	v_ffbh_u32_e32 v16, v24
	v_min_u32_e32 v16, 32, v16
	v_subrev_nc_u32_e32 v18, 28, v16
	v_sub_nc_u32_e32 v16, 29, v16
	v_lshlrev_b64 v[18:19], v18, v[24:25]
	v_and_b32_e32 v70, 7, v18
; %bb.478:                              ;   in Loop: Header=BB331_12 Depth=1
	s_or_b32 exec_lo, exec_lo, s24
	v_lshlrev_b32_e32 v18, 16, v9
	v_lshlrev_b32_e32 v19, 20, v70
	v_lshl_add_u32 v16, v16, 23, 0x3c000000
	v_and_b32_e32 v18, 0x80000000, v18
	v_or3_b32 v114, v19, v18, v16
.LBB331_479:                            ;   in Loop: Header=BB331_12 Depth=1
	s_or_b32 exec_lo, exec_lo, s23
.LBB331_480:                            ;   in Loop: Header=BB331_12 Depth=1
	s_or_b32 exec_lo, exec_lo, s22
.LBB331_481:                            ;   in Loop: Header=BB331_12 Depth=1
	s_or_b32 exec_lo, exec_lo, s8
	v_mov_b32_e32 v6, 0xff
	v_mov_b32_e32 v78, 0
	;; [unrolled: 1-line block ×3, first 2 shown]
	s_mov_b32 s8, exec_lo
	v_and_b32_sdwa v16, v9, v6 dst_sel:DWORD dst_unused:UNUSED_PAD src0_sel:WORD_1 src1_sel:DWORD
	v_cmpx_ne_u16_e32 0, v16
	s_cbranch_execz .LBB331_489
; %bb.482:                              ;   in Loop: Header=BB331_12 Depth=1
	v_bfrev_b32_e32 v79, 1
	s_mov_b32 s22, exec_lo
	v_cmpx_ne_u16_e32 0x80, v16
	s_cbranch_execz .LBB331_488
; %bb.483:                              ;   in Loop: Header=BB331_12 Depth=1
	v_bfe_u32 v18, v9, 16, 7
	v_mov_b32_e32 v79, 0x7f800001
	s_mov_b32 s23, exec_lo
	v_cmpx_ne_u32_e32 0x7f, v18
	s_cbranch_execz .LBB331_487
; %bb.484:                              ;   in Loop: Header=BB331_12 Depth=1
	v_mov_b32_e32 v6, 7
	v_lshrrev_b32_e32 v16, 3, v18
	s_mov_b32 s24, exec_lo
	v_and_b32_sdwa v24, v9, v6 dst_sel:DWORD dst_unused:UNUSED_PAD src0_sel:WORD_1 src1_sel:DWORD
	v_mov_b32_e32 v71, v25
	v_mov_b32_e32 v70, v24
	v_cmpx_gt_u32_e32 8, v18
; %bb.485:                              ;   in Loop: Header=BB331_12 Depth=1
	v_ffbh_u32_e32 v16, v24
	v_min_u32_e32 v16, 32, v16
	v_subrev_nc_u32_e32 v18, 28, v16
	v_sub_nc_u32_e32 v16, 29, v16
	v_lshlrev_b64 v[18:19], v18, v[24:25]
	v_and_b32_e32 v70, 7, v18
; %bb.486:                              ;   in Loop: Header=BB331_12 Depth=1
	s_or_b32 exec_lo, exec_lo, s24
	v_mov_b32_e32 v6, 24
	v_lshlrev_b32_e32 v19, 20, v70
	v_lshl_add_u32 v16, v16, 23, 0x3c000000
	v_lshlrev_b32_sdwa v18, v6, v9 dst_sel:DWORD dst_unused:UNUSED_PAD src0_sel:DWORD src1_sel:WORD_1
	v_and_b32_e32 v18, 0x80000000, v18
	v_or3_b32 v79, v19, v18, v16
.LBB331_487:                            ;   in Loop: Header=BB331_12 Depth=1
	s_or_b32 exec_lo, exec_lo, s23
.LBB331_488:                            ;   in Loop: Header=BB331_12 Depth=1
	s_or_b32 exec_lo, exec_lo, s22
.LBB331_489:                            ;   in Loop: Header=BB331_12 Depth=1
	s_or_b32 exec_lo, exec_lo, s8
	s_mov_b32 s8, exec_lo
	v_cmpx_lt_u32_e32 0xffffff, v9
	s_cbranch_execz .LBB331_497
; %bb.490:                              ;   in Loop: Header=BB331_12 Depth=1
	v_cmp_ne_u32_sdwa s7, v9, v115 src0_sel:BYTE_3 src1_sel:DWORD
	v_bfrev_b32_e32 v78, 1
	s_and_saveexec_b32 s22, s7
	s_cbranch_execz .LBB331_496
; %bb.491:                              ;   in Loop: Header=BB331_12 Depth=1
	v_bfe_u32 v18, v9, 24, 7
	v_mov_b32_e32 v78, 0x7f800001
	s_mov_b32 s23, exec_lo
	v_cmpx_ne_u32_e32 0x7f, v18
	s_cbranch_execz .LBB331_495
; %bb.492:                              ;   in Loop: Header=BB331_12 Depth=1
	v_mov_b32_e32 v6, 7
	v_lshrrev_b32_e32 v16, 3, v18
	s_mov_b32 s24, exec_lo
	v_and_b32_sdwa v24, v9, v6 dst_sel:DWORD dst_unused:UNUSED_PAD src0_sel:BYTE_3 src1_sel:DWORD
	v_mov_b32_e32 v71, v25
	v_mov_b32_e32 v70, v24
	v_cmpx_gt_u32_e32 8, v18
; %bb.493:                              ;   in Loop: Header=BB331_12 Depth=1
	v_ffbh_u32_e32 v16, v24
	v_min_u32_e32 v16, 32, v16
	v_subrev_nc_u32_e32 v18, 28, v16
	v_sub_nc_u32_e32 v16, 29, v16
	v_lshlrev_b64 v[18:19], v18, v[24:25]
	v_and_b32_e32 v70, 7, v18
; %bb.494:                              ;   in Loop: Header=BB331_12 Depth=1
	s_or_b32 exec_lo, exec_lo, s24
	v_mov_b32_e32 v6, 24
	v_lshlrev_b32_e32 v18, 20, v70
	v_lshl_add_u32 v16, v16, 23, 0x3c000000
	v_lshlrev_b32_sdwa v9, v6, v9 dst_sel:DWORD dst_unused:UNUSED_PAD src0_sel:DWORD src1_sel:BYTE_3
	v_and_b32_e32 v9, 0x80000000, v9
	v_or3_b32 v78, v18, v9, v16
.LBB331_495:                            ;   in Loop: Header=BB331_12 Depth=1
	s_or_b32 exec_lo, exec_lo, s23
.LBB331_496:                            ;   in Loop: Header=BB331_12 Depth=1
	s_or_b32 exec_lo, exec_lo, s22
.LBB331_497:                            ;   in Loop: Header=BB331_12 Depth=1
	s_or_b32 exec_lo, exec_lo, s8
	flat_load_dword v9, v[68:69] offset:1800
	v_mov_b32_e32 v71, 0
	v_mov_b32_e32 v70, 0
	s_waitcnt vmcnt(0) lgkmcnt(0)
	v_cmp_ne_u16_sdwa s7, v9, v25 src0_sel:BYTE_0 src1_sel:DWORD
	s_and_saveexec_b32 s8, s7
	s_cbranch_execz .LBB331_505
; %bb.498:                              ;   in Loop: Header=BB331_12 Depth=1
	v_cmp_ne_u16_sdwa s7, v9, v115 src0_sel:BYTE_0 src1_sel:DWORD
	v_bfrev_b32_e32 v70, 1
	s_and_saveexec_b32 s22, s7
	s_cbranch_execz .LBB331_504
; %bb.499:                              ;   in Loop: Header=BB331_12 Depth=1
	v_and_b32_e32 v18, 0x7f, v9
	v_mov_b32_e32 v70, 0x7f800001
	s_mov_b32 s23, exec_lo
	v_cmpx_ne_u32_e32 0x7f, v18
	s_cbranch_execz .LBB331_503
; %bb.500:                              ;   in Loop: Header=BB331_12 Depth=1
	v_and_b32_e32 v24, 7, v9
	v_mov_b32_e32 v69, v25
	v_lshrrev_b32_e32 v16, 3, v18
	s_mov_b32 s24, exec_lo
	v_mov_b32_e32 v68, v24
	v_cmpx_gt_u32_e32 8, v18
; %bb.501:                              ;   in Loop: Header=BB331_12 Depth=1
	v_ffbh_u32_e32 v16, v24
	v_min_u32_e32 v16, 32, v16
	v_subrev_nc_u32_e32 v18, 28, v16
	v_sub_nc_u32_e32 v16, 29, v16
	v_lshlrev_b64 v[18:19], v18, v[24:25]
	v_and_b32_e32 v68, 7, v18
; %bb.502:                              ;   in Loop: Header=BB331_12 Depth=1
	s_or_b32 exec_lo, exec_lo, s24
	v_lshlrev_b32_e32 v18, 24, v9
	v_lshlrev_b32_e32 v19, 20, v68
	v_lshl_add_u32 v16, v16, 23, 0x3c000000
	v_and_b32_e32 v18, 0x80000000, v18
	v_or3_b32 v70, v19, v18, v16
.LBB331_503:                            ;   in Loop: Header=BB331_12 Depth=1
	s_or_b32 exec_lo, exec_lo, s23
.LBB331_504:                            ;   in Loop: Header=BB331_12 Depth=1
	s_or_b32 exec_lo, exec_lo, s22
.LBB331_505:                            ;   in Loop: Header=BB331_12 Depth=1
	s_or_b32 exec_lo, exec_lo, s8
	v_cmp_ne_u16_sdwa s7, v9, v25 src0_sel:BYTE_1 src1_sel:DWORD
	s_and_saveexec_b32 s8, s7
	s_cbranch_execz .LBB331_513
; %bb.506:                              ;   in Loop: Header=BB331_12 Depth=1
	v_cmp_ne_u16_sdwa s7, v9, v115 src0_sel:BYTE_1 src1_sel:DWORD
	v_bfrev_b32_e32 v71, 1
	s_and_saveexec_b32 s22, s7
	s_cbranch_execz .LBB331_512
; %bb.507:                              ;   in Loop: Header=BB331_12 Depth=1
	v_mov_b32_e32 v6, 0xffff
	v_mov_b32_e32 v71, 0x7f800001
	s_mov_b32 s23, exec_lo
	v_and_b32_sdwa v16, v6, v9 dst_sel:DWORD dst_unused:UNUSED_PAD src0_sel:DWORD src1_sel:BYTE_1
	v_and_b32_e32 v18, 0x7f, v16
	v_cmpx_ne_u32_e32 0x7f, v18
	s_cbranch_execz .LBB331_511
; %bb.508:                              ;   in Loop: Header=BB331_12 Depth=1
	v_and_b32_e32 v24, 7, v16
	v_mov_b32_e32 v69, v25
	v_lshrrev_b32_e32 v16, 3, v18
	s_mov_b32 s24, exec_lo
	v_mov_b32_e32 v68, v24
	v_cmpx_gt_u32_e32 8, v18
; %bb.509:                              ;   in Loop: Header=BB331_12 Depth=1
	v_ffbh_u32_e32 v16, v24
	v_min_u32_e32 v16, 32, v16
	v_subrev_nc_u32_e32 v18, 28, v16
	v_sub_nc_u32_e32 v16, 29, v16
	v_lshlrev_b64 v[18:19], v18, v[24:25]
	v_and_b32_e32 v68, 7, v18
; %bb.510:                              ;   in Loop: Header=BB331_12 Depth=1
	s_or_b32 exec_lo, exec_lo, s24
	v_lshlrev_b32_e32 v18, 16, v9
	v_lshlrev_b32_e32 v19, 20, v68
	v_lshl_add_u32 v16, v16, 23, 0x3c000000
	v_and_b32_e32 v18, 0x80000000, v18
	v_or3_b32 v71, v19, v18, v16
.LBB331_511:                            ;   in Loop: Header=BB331_12 Depth=1
	s_or_b32 exec_lo, exec_lo, s23
.LBB331_512:                            ;   in Loop: Header=BB331_12 Depth=1
	s_or_b32 exec_lo, exec_lo, s22
.LBB331_513:                            ;   in Loop: Header=BB331_12 Depth=1
	s_or_b32 exec_lo, exec_lo, s8
	v_mov_b32_e32 v6, 0xff
	v_mov_b32_e32 v88, 0
	;; [unrolled: 1-line block ×3, first 2 shown]
	s_mov_b32 s8, exec_lo
	v_and_b32_sdwa v16, v9, v6 dst_sel:DWORD dst_unused:UNUSED_PAD src0_sel:WORD_1 src1_sel:DWORD
	v_cmpx_ne_u16_e32 0, v16
	s_cbranch_execz .LBB331_521
; %bb.514:                              ;   in Loop: Header=BB331_12 Depth=1
	v_bfrev_b32_e32 v19, 1
	s_mov_b32 s22, exec_lo
	v_cmpx_ne_u16_e32 0x80, v16
	s_cbranch_execz .LBB331_520
; %bb.515:                              ;   in Loop: Header=BB331_12 Depth=1
	v_bfe_u32 v18, v9, 16, 7
	v_mov_b32_e32 v19, 0x7f800001
	s_mov_b32 s23, exec_lo
	v_cmpx_ne_u32_e32 0x7f, v18
	s_cbranch_execz .LBB331_519
; %bb.516:                              ;   in Loop: Header=BB331_12 Depth=1
	v_mov_b32_e32 v6, 7
	v_lshrrev_b32_e32 v16, 3, v18
	s_mov_b32 s24, exec_lo
	v_and_b32_sdwa v24, v9, v6 dst_sel:DWORD dst_unused:UNUSED_PAD src0_sel:WORD_1 src1_sel:DWORD
	v_mov_b32_e32 v69, v25
	v_mov_b32_e32 v68, v24
	v_cmpx_gt_u32_e32 8, v18
; %bb.517:                              ;   in Loop: Header=BB331_12 Depth=1
	v_ffbh_u32_e32 v16, v24
	v_min_u32_e32 v16, 32, v16
	v_subrev_nc_u32_e32 v18, 28, v16
	v_sub_nc_u32_e32 v16, 29, v16
	v_lshlrev_b64 v[18:19], v18, v[24:25]
	v_and_b32_e32 v68, 7, v18
; %bb.518:                              ;   in Loop: Header=BB331_12 Depth=1
	s_or_b32 exec_lo, exec_lo, s24
	v_mov_b32_e32 v6, 24
	v_lshlrev_b32_e32 v19, 20, v68
	v_lshl_add_u32 v16, v16, 23, 0x3c000000
	v_lshlrev_b32_sdwa v18, v6, v9 dst_sel:DWORD dst_unused:UNUSED_PAD src0_sel:DWORD src1_sel:WORD_1
	v_and_b32_e32 v18, 0x80000000, v18
	v_or3_b32 v19, v19, v18, v16
.LBB331_519:                            ;   in Loop: Header=BB331_12 Depth=1
	s_or_b32 exec_lo, exec_lo, s23
.LBB331_520:                            ;   in Loop: Header=BB331_12 Depth=1
	s_or_b32 exec_lo, exec_lo, s22
.LBB331_521:                            ;   in Loop: Header=BB331_12 Depth=1
	s_or_b32 exec_lo, exec_lo, s8
	s_mov_b32 s8, exec_lo
	v_cmpx_lt_u32_e32 0xffffff, v9
	s_cbranch_execz .LBB331_529
; %bb.522:                              ;   in Loop: Header=BB331_12 Depth=1
	v_cmp_ne_u32_sdwa s7, v9, v115 src0_sel:BYTE_3 src1_sel:DWORD
	v_bfrev_b32_e32 v88, 1
	s_and_saveexec_b32 s22, s7
	s_cbranch_execz .LBB331_528
; %bb.523:                              ;   in Loop: Header=BB331_12 Depth=1
	v_bfe_u32 v18, v9, 24, 7
	v_mov_b32_e32 v88, 0x7f800001
	s_mov_b32 s23, exec_lo
	v_cmpx_ne_u32_e32 0x7f, v18
	s_cbranch_execz .LBB331_527
; %bb.524:                              ;   in Loop: Header=BB331_12 Depth=1
	v_mov_b32_e32 v6, 7
	v_lshrrev_b32_e32 v16, 3, v18
	s_mov_b32 s24, exec_lo
	v_and_b32_sdwa v24, v9, v6 dst_sel:DWORD dst_unused:UNUSED_PAD src0_sel:BYTE_3 src1_sel:DWORD
	v_mov_b32_e32 v69, v25
	v_mov_b32_e32 v68, v24
	v_cmpx_gt_u32_e32 8, v18
; %bb.525:                              ;   in Loop: Header=BB331_12 Depth=1
	v_ffbh_u32_e32 v16, v24
	v_min_u32_e32 v16, 32, v16
	v_subrev_nc_u32_e32 v18, 28, v16
	v_sub_nc_u32_e32 v16, 29, v16
	v_lshlrev_b64 v[20:21], v18, v[24:25]
	v_and_b32_e32 v68, 7, v20
; %bb.526:                              ;   in Loop: Header=BB331_12 Depth=1
	s_or_b32 exec_lo, exec_lo, s24
	v_mov_b32_e32 v6, 24
	v_lshlrev_b32_e32 v18, 20, v68
	v_lshl_add_u32 v16, v16, 23, 0x3c000000
	v_lshlrev_b32_sdwa v9, v6, v9 dst_sel:DWORD dst_unused:UNUSED_PAD src0_sel:DWORD src1_sel:BYTE_3
	v_and_b32_e32 v9, 0x80000000, v9
	v_or3_b32 v88, v18, v9, v16
.LBB331_527:                            ;   in Loop: Header=BB331_12 Depth=1
	s_or_b32 exec_lo, exec_lo, s23
.LBB331_528:                            ;   in Loop: Header=BB331_12 Depth=1
	s_or_b32 exec_lo, exec_lo, s22
.LBB331_529:                            ;   in Loop: Header=BB331_12 Depth=1
	s_or_b32 exec_lo, exec_lo, s8
	buffer_load_dword v6, off, s[0:3], s32 offset:192 ; 4-byte Folded Reload
	v_add_co_u32 v9, s7, 0x800, v66
	v_add_co_ci_u32_e64 v16, null, 0, v67, s7
	v_mov_b32_e32 v90, 0
	v_mov_b32_e32 v89, 0
	s_waitcnt vmcnt(0)
	v_add_co_u32 v20, s7, v9, v6
	v_add_co_ci_u32_e64 v21, null, 0, v16, s7
	flat_load_dword v18, v[20:21]
	s_waitcnt vmcnt(0) lgkmcnt(0)
	v_cmp_ne_u16_sdwa s7, v18, v25 src0_sel:BYTE_0 src1_sel:DWORD
	s_and_saveexec_b32 s8, s7
	s_cbranch_execz .LBB331_537
; %bb.530:                              ;   in Loop: Header=BB331_12 Depth=1
	v_cmp_ne_u16_sdwa s7, v18, v115 src0_sel:BYTE_0 src1_sel:DWORD
	v_bfrev_b32_e32 v89, 1
	s_and_saveexec_b32 s22, s7
	s_cbranch_execz .LBB331_536
; %bb.531:                              ;   in Loop: Header=BB331_12 Depth=1
	v_and_b32_e32 v21, 0x7f, v18
	v_mov_b32_e32 v89, 0x7f800001
	s_mov_b32 s23, exec_lo
	v_cmpx_ne_u32_e32 0x7f, v21
	s_cbranch_execz .LBB331_535
; %bb.532:                              ;   in Loop: Header=BB331_12 Depth=1
	v_and_b32_e32 v24, 7, v18
	v_mov_b32_e32 v69, v25
	v_lshrrev_b32_e32 v20, 3, v21
	s_mov_b32 s24, exec_lo
	v_mov_b32_e32 v68, v24
	v_cmpx_gt_u32_e32 8, v21
; %bb.533:                              ;   in Loop: Header=BB331_12 Depth=1
	v_ffbh_u32_e32 v20, v24
	v_min_u32_e32 v20, 32, v20
	v_subrev_nc_u32_e32 v21, 28, v20
	v_sub_nc_u32_e32 v20, 29, v20
	v_lshlrev_b64 v[21:22], v21, v[24:25]
	v_and_b32_e32 v68, 7, v21
; %bb.534:                              ;   in Loop: Header=BB331_12 Depth=1
	s_or_b32 exec_lo, exec_lo, s24
	v_lshlrev_b32_e32 v21, 24, v18
	v_lshlrev_b32_e32 v22, 20, v68
	v_lshl_add_u32 v20, v20, 23, 0x3c000000
	v_and_b32_e32 v21, 0x80000000, v21
	v_or3_b32 v89, v22, v21, v20
.LBB331_535:                            ;   in Loop: Header=BB331_12 Depth=1
	s_or_b32 exec_lo, exec_lo, s23
.LBB331_536:                            ;   in Loop: Header=BB331_12 Depth=1
	s_or_b32 exec_lo, exec_lo, s22
.LBB331_537:                            ;   in Loop: Header=BB331_12 Depth=1
	s_or_b32 exec_lo, exec_lo, s8
	v_cmp_ne_u16_sdwa s7, v18, v25 src0_sel:BYTE_1 src1_sel:DWORD
	s_and_saveexec_b32 s8, s7
	s_cbranch_execz .LBB331_545
; %bb.538:                              ;   in Loop: Header=BB331_12 Depth=1
	v_cmp_ne_u16_sdwa s7, v18, v115 src0_sel:BYTE_1 src1_sel:DWORD
	v_bfrev_b32_e32 v90, 1
	s_and_saveexec_b32 s22, s7
	s_cbranch_execz .LBB331_544
; %bb.539:                              ;   in Loop: Header=BB331_12 Depth=1
	v_mov_b32_e32 v6, 0xffff
	v_mov_b32_e32 v90, 0x7f800001
	s_mov_b32 s23, exec_lo
	v_and_b32_sdwa v20, v6, v18 dst_sel:DWORD dst_unused:UNUSED_PAD src0_sel:DWORD src1_sel:BYTE_1
	v_and_b32_e32 v21, 0x7f, v20
	v_cmpx_ne_u32_e32 0x7f, v21
	s_cbranch_execz .LBB331_543
; %bb.540:                              ;   in Loop: Header=BB331_12 Depth=1
	v_and_b32_e32 v24, 7, v20
	v_mov_b32_e32 v69, v25
	v_lshrrev_b32_e32 v20, 3, v21
	s_mov_b32 s24, exec_lo
	v_mov_b32_e32 v68, v24
	v_cmpx_gt_u32_e32 8, v21
; %bb.541:                              ;   in Loop: Header=BB331_12 Depth=1
	v_ffbh_u32_e32 v20, v24
	v_min_u32_e32 v20, 32, v20
	v_subrev_nc_u32_e32 v21, 28, v20
	v_sub_nc_u32_e32 v20, 29, v20
	v_lshlrev_b64 v[21:22], v21, v[24:25]
	v_and_b32_e32 v68, 7, v21
; %bb.542:                              ;   in Loop: Header=BB331_12 Depth=1
	s_or_b32 exec_lo, exec_lo, s24
	v_lshlrev_b32_e32 v21, 16, v18
	v_lshlrev_b32_e32 v22, 20, v68
	v_lshl_add_u32 v20, v20, 23, 0x3c000000
	v_and_b32_e32 v21, 0x80000000, v21
	v_or3_b32 v90, v22, v21, v20
.LBB331_543:                            ;   in Loop: Header=BB331_12 Depth=1
	s_or_b32 exec_lo, exec_lo, s23
.LBB331_544:                            ;   in Loop: Header=BB331_12 Depth=1
	s_or_b32 exec_lo, exec_lo, s22
.LBB331_545:                            ;   in Loop: Header=BB331_12 Depth=1
	s_or_b32 exec_lo, exec_lo, s8
	v_mov_b32_e32 v6, 0xff
	v_mov_b32_e32 v91, 0
	;; [unrolled: 1-line block ×3, first 2 shown]
	s_mov_b32 s8, exec_lo
	v_and_b32_sdwa v20, v18, v6 dst_sel:DWORD dst_unused:UNUSED_PAD src0_sel:WORD_1 src1_sel:DWORD
	v_cmpx_ne_u16_e32 0, v20
	s_cbranch_execz .LBB331_553
; %bb.546:                              ;   in Loop: Header=BB331_12 Depth=1
	v_bfrev_b32_e32 v92, 1
	s_mov_b32 s22, exec_lo
	v_cmpx_ne_u16_e32 0x80, v20
	s_cbranch_execz .LBB331_552
; %bb.547:                              ;   in Loop: Header=BB331_12 Depth=1
	v_bfe_u32 v21, v18, 16, 7
	v_mov_b32_e32 v92, 0x7f800001
	s_mov_b32 s23, exec_lo
	v_cmpx_ne_u32_e32 0x7f, v21
	s_cbranch_execz .LBB331_551
; %bb.548:                              ;   in Loop: Header=BB331_12 Depth=1
	v_mov_b32_e32 v6, 7
	v_lshrrev_b32_e32 v20, 3, v21
	s_mov_b32 s24, exec_lo
	v_and_b32_sdwa v24, v18, v6 dst_sel:DWORD dst_unused:UNUSED_PAD src0_sel:WORD_1 src1_sel:DWORD
	v_mov_b32_e32 v69, v25
	v_mov_b32_e32 v68, v24
	v_cmpx_gt_u32_e32 8, v21
; %bb.549:                              ;   in Loop: Header=BB331_12 Depth=1
	v_ffbh_u32_e32 v20, v24
	v_min_u32_e32 v20, 32, v20
	v_subrev_nc_u32_e32 v21, 28, v20
	v_sub_nc_u32_e32 v20, 29, v20
	v_lshlrev_b64 v[21:22], v21, v[24:25]
	v_and_b32_e32 v68, 7, v21
; %bb.550:                              ;   in Loop: Header=BB331_12 Depth=1
	s_or_b32 exec_lo, exec_lo, s24
	v_mov_b32_e32 v6, 24
	v_lshlrev_b32_e32 v22, 20, v68
	v_lshl_add_u32 v20, v20, 23, 0x3c000000
	v_lshlrev_b32_sdwa v21, v6, v18 dst_sel:DWORD dst_unused:UNUSED_PAD src0_sel:DWORD src1_sel:WORD_1
	v_and_b32_e32 v21, 0x80000000, v21
	v_or3_b32 v92, v22, v21, v20
.LBB331_551:                            ;   in Loop: Header=BB331_12 Depth=1
	s_or_b32 exec_lo, exec_lo, s23
.LBB331_552:                            ;   in Loop: Header=BB331_12 Depth=1
	s_or_b32 exec_lo, exec_lo, s22
.LBB331_553:                            ;   in Loop: Header=BB331_12 Depth=1
	s_or_b32 exec_lo, exec_lo, s8
	s_mov_b32 s8, exec_lo
	v_cmpx_lt_u32_e32 0xffffff, v18
	s_cbranch_execz .LBB331_561
; %bb.554:                              ;   in Loop: Header=BB331_12 Depth=1
	v_cmp_ne_u32_sdwa s7, v18, v115 src0_sel:BYTE_3 src1_sel:DWORD
	v_bfrev_b32_e32 v91, 1
	s_and_saveexec_b32 s22, s7
	s_cbranch_execz .LBB331_560
; %bb.555:                              ;   in Loop: Header=BB331_12 Depth=1
	v_bfe_u32 v21, v18, 24, 7
	v_mov_b32_e32 v91, 0x7f800001
	s_mov_b32 s23, exec_lo
	v_cmpx_ne_u32_e32 0x7f, v21
	s_cbranch_execz .LBB331_559
; %bb.556:                              ;   in Loop: Header=BB331_12 Depth=1
	v_mov_b32_e32 v6, 7
	v_lshrrev_b32_e32 v20, 3, v21
	s_mov_b32 s24, exec_lo
	v_and_b32_sdwa v24, v18, v6 dst_sel:DWORD dst_unused:UNUSED_PAD src0_sel:BYTE_3 src1_sel:DWORD
	v_mov_b32_e32 v69, v25
	v_mov_b32_e32 v68, v24
	v_cmpx_gt_u32_e32 8, v21
; %bb.557:                              ;   in Loop: Header=BB331_12 Depth=1
	v_ffbh_u32_e32 v20, v24
	v_min_u32_e32 v20, 32, v20
	v_subrev_nc_u32_e32 v21, 28, v20
	v_sub_nc_u32_e32 v20, 29, v20
	v_lshlrev_b64 v[21:22], v21, v[24:25]
	v_and_b32_e32 v68, 7, v21
; %bb.558:                              ;   in Loop: Header=BB331_12 Depth=1
	s_or_b32 exec_lo, exec_lo, s24
	v_mov_b32_e32 v6, 24
	v_lshlrev_b32_e32 v21, 20, v68
	v_lshl_add_u32 v20, v20, 23, 0x3c000000
	v_lshlrev_b32_sdwa v18, v6, v18 dst_sel:DWORD dst_unused:UNUSED_PAD src0_sel:DWORD src1_sel:BYTE_3
	v_and_b32_e32 v18, 0x80000000, v18
	v_or3_b32 v91, v21, v18, v20
.LBB331_559:                            ;   in Loop: Header=BB331_12 Depth=1
	s_or_b32 exec_lo, exec_lo, s23
.LBB331_560:                            ;   in Loop: Header=BB331_12 Depth=1
	s_or_b32 exec_lo, exec_lo, s22
.LBB331_561:                            ;   in Loop: Header=BB331_12 Depth=1
	s_or_b32 exec_lo, exec_lo, s8
	buffer_load_dword v6, off, s[0:3], s32 offset:196 ; 4-byte Folded Reload
	v_mov_b32_e32 v93, 0
	s_waitcnt vmcnt(0)
	v_add_co_u32 v20, s7, v9, v6
	v_add_co_ci_u32_e64 v21, null, 0, v16, s7
	v_mov_b32_e32 v9, 0
	flat_load_dword v16, v[20:21]
	s_waitcnt vmcnt(0) lgkmcnt(0)
	v_cmp_ne_u16_sdwa s7, v16, v25 src0_sel:BYTE_0 src1_sel:DWORD
	s_and_saveexec_b32 s8, s7
	s_cbranch_execz .LBB331_569
; %bb.562:                              ;   in Loop: Header=BB331_12 Depth=1
	v_cmp_ne_u16_sdwa s7, v16, v115 src0_sel:BYTE_0 src1_sel:DWORD
	v_bfrev_b32_e32 v9, 1
	s_and_saveexec_b32 s22, s7
	s_cbranch_execz .LBB331_568
; %bb.563:                              ;   in Loop: Header=BB331_12 Depth=1
	v_and_b32_e32 v18, 0x7f, v16
	v_mov_b32_e32 v9, 0x7f800001
	s_mov_b32 s23, exec_lo
	v_cmpx_ne_u32_e32 0x7f, v18
	s_cbranch_execz .LBB331_567
; %bb.564:                              ;   in Loop: Header=BB331_12 Depth=1
	v_and_b32_e32 v24, 7, v16
	v_mov_b32_e32 v69, v25
	v_lshrrev_b32_e32 v9, 3, v18
	s_mov_b32 s24, exec_lo
	v_mov_b32_e32 v68, v24
	v_cmpx_gt_u32_e32 8, v18
; %bb.565:                              ;   in Loop: Header=BB331_12 Depth=1
	v_ffbh_u32_e32 v9, v24
	v_min_u32_e32 v9, 32, v9
	v_subrev_nc_u32_e32 v18, 28, v9
	v_sub_nc_u32_e32 v9, 29, v9
	v_lshlrev_b64 v[20:21], v18, v[24:25]
	v_and_b32_e32 v68, 7, v20
; %bb.566:                              ;   in Loop: Header=BB331_12 Depth=1
	s_or_b32 exec_lo, exec_lo, s24
	v_lshlrev_b32_e32 v18, 24, v16
	v_lshlrev_b32_e32 v20, 20, v68
	v_lshl_add_u32 v9, v9, 23, 0x3c000000
	v_and_b32_e32 v18, 0x80000000, v18
	v_or3_b32 v9, v20, v18, v9
.LBB331_567:                            ;   in Loop: Header=BB331_12 Depth=1
	s_or_b32 exec_lo, exec_lo, s23
.LBB331_568:                            ;   in Loop: Header=BB331_12 Depth=1
	s_or_b32 exec_lo, exec_lo, s22
.LBB331_569:                            ;   in Loop: Header=BB331_12 Depth=1
	s_or_b32 exec_lo, exec_lo, s8
	v_cmp_ne_u16_sdwa s7, v16, v25 src0_sel:BYTE_1 src1_sel:DWORD
	s_and_saveexec_b32 s8, s7
	s_cbranch_execz .LBB331_577
; %bb.570:                              ;   in Loop: Header=BB331_12 Depth=1
	v_cmp_ne_u16_sdwa s7, v16, v115 src0_sel:BYTE_1 src1_sel:DWORD
	v_bfrev_b32_e32 v93, 1
	s_and_saveexec_b32 s22, s7
	s_cbranch_execz .LBB331_576
; %bb.571:                              ;   in Loop: Header=BB331_12 Depth=1
	v_mov_b32_e32 v6, 0xffff
	v_mov_b32_e32 v93, 0x7f800001
	s_mov_b32 s23, exec_lo
	v_and_b32_sdwa v18, v6, v16 dst_sel:DWORD dst_unused:UNUSED_PAD src0_sel:DWORD src1_sel:BYTE_1
	v_and_b32_e32 v20, 0x7f, v18
	v_cmpx_ne_u32_e32 0x7f, v20
	s_cbranch_execz .LBB331_575
; %bb.572:                              ;   in Loop: Header=BB331_12 Depth=1
	v_and_b32_e32 v24, 7, v18
	v_mov_b32_e32 v69, v25
	v_lshrrev_b32_e32 v18, 3, v20
	s_mov_b32 s24, exec_lo
	v_mov_b32_e32 v68, v24
	v_cmpx_gt_u32_e32 8, v20
; %bb.573:                              ;   in Loop: Header=BB331_12 Depth=1
	v_ffbh_u32_e32 v18, v24
	v_min_u32_e32 v18, 32, v18
	v_subrev_nc_u32_e32 v20, 28, v18
	v_sub_nc_u32_e32 v18, 29, v18
	v_lshlrev_b64 v[20:21], v20, v[24:25]
	v_and_b32_e32 v68, 7, v20
; %bb.574:                              ;   in Loop: Header=BB331_12 Depth=1
	s_or_b32 exec_lo, exec_lo, s24
	v_lshlrev_b32_e32 v20, 16, v16
	v_lshlrev_b32_e32 v21, 20, v68
	v_lshl_add_u32 v18, v18, 23, 0x3c000000
	v_and_b32_e32 v20, 0x80000000, v20
	v_or3_b32 v93, v21, v20, v18
.LBB331_575:                            ;   in Loop: Header=BB331_12 Depth=1
	s_or_b32 exec_lo, exec_lo, s23
.LBB331_576:                            ;   in Loop: Header=BB331_12 Depth=1
	s_or_b32 exec_lo, exec_lo, s22
.LBB331_577:                            ;   in Loop: Header=BB331_12 Depth=1
	s_or_b32 exec_lo, exec_lo, s8
	v_mov_b32_e32 v6, 0xff
	v_mov_b32_e32 v62, 0
	;; [unrolled: 1-line block ×3, first 2 shown]
	s_mov_b32 s8, exec_lo
	v_and_b32_sdwa v18, v16, v6 dst_sel:DWORD dst_unused:UNUSED_PAD src0_sel:WORD_1 src1_sel:DWORD
	v_cmpx_ne_u16_e32 0, v18
	s_cbranch_execz .LBB331_585
; %bb.578:                              ;   in Loop: Header=BB331_12 Depth=1
	v_bfrev_b32_e32 v21, 1
	s_mov_b32 s22, exec_lo
	v_cmpx_ne_u16_e32 0x80, v18
	s_cbranch_execz .LBB331_584
; %bb.579:                              ;   in Loop: Header=BB331_12 Depth=1
	v_bfe_u32 v20, v16, 16, 7
	v_mov_b32_e32 v21, 0x7f800001
	s_mov_b32 s23, exec_lo
	v_cmpx_ne_u32_e32 0x7f, v20
	s_cbranch_execz .LBB331_583
; %bb.580:                              ;   in Loop: Header=BB331_12 Depth=1
	v_mov_b32_e32 v6, 7
	v_lshrrev_b32_e32 v18, 3, v20
	s_mov_b32 s24, exec_lo
	v_and_b32_sdwa v24, v16, v6 dst_sel:DWORD dst_unused:UNUSED_PAD src0_sel:WORD_1 src1_sel:DWORD
	v_mov_b32_e32 v69, v25
	v_mov_b32_e32 v68, v24
	v_cmpx_gt_u32_e32 8, v20
; %bb.581:                              ;   in Loop: Header=BB331_12 Depth=1
	v_ffbh_u32_e32 v18, v24
	v_min_u32_e32 v18, 32, v18
	v_subrev_nc_u32_e32 v20, 28, v18
	v_sub_nc_u32_e32 v18, 29, v18
	v_lshlrev_b64 v[20:21], v20, v[24:25]
	v_and_b32_e32 v68, 7, v20
; %bb.582:                              ;   in Loop: Header=BB331_12 Depth=1
	s_or_b32 exec_lo, exec_lo, s24
	v_mov_b32_e32 v6, 24
	v_lshlrev_b32_e32 v21, 20, v68
	v_lshl_add_u32 v18, v18, 23, 0x3c000000
	v_lshlrev_b32_sdwa v20, v6, v16 dst_sel:DWORD dst_unused:UNUSED_PAD src0_sel:DWORD src1_sel:WORD_1
	v_and_b32_e32 v20, 0x80000000, v20
	v_or3_b32 v21, v21, v20, v18
.LBB331_583:                            ;   in Loop: Header=BB331_12 Depth=1
	s_or_b32 exec_lo, exec_lo, s23
.LBB331_584:                            ;   in Loop: Header=BB331_12 Depth=1
	s_or_b32 exec_lo, exec_lo, s22
.LBB331_585:                            ;   in Loop: Header=BB331_12 Depth=1
	s_or_b32 exec_lo, exec_lo, s8
	s_mov_b32 s8, exec_lo
	v_cmpx_lt_u32_e32 0xffffff, v16
	s_cbranch_execz .LBB331_593
; %bb.586:                              ;   in Loop: Header=BB331_12 Depth=1
	v_cmp_ne_u32_sdwa s7, v16, v115 src0_sel:BYTE_3 src1_sel:DWORD
	v_bfrev_b32_e32 v62, 1
	s_and_saveexec_b32 s22, s7
	s_cbranch_execz .LBB331_592
; %bb.587:                              ;   in Loop: Header=BB331_12 Depth=1
	v_bfe_u32 v20, v16, 24, 7
	v_mov_b32_e32 v62, 0x7f800001
	s_mov_b32 s23, exec_lo
	v_cmpx_ne_u32_e32 0x7f, v20
	s_cbranch_execz .LBB331_591
; %bb.588:                              ;   in Loop: Header=BB331_12 Depth=1
	v_mov_b32_e32 v6, 7
	v_lshrrev_b32_e32 v18, 3, v20
	s_mov_b32 s24, exec_lo
	v_and_b32_sdwa v24, v16, v6 dst_sel:DWORD dst_unused:UNUSED_PAD src0_sel:BYTE_3 src1_sel:DWORD
	v_mov_b32_e32 v69, v25
	v_mov_b32_e32 v68, v24
	v_cmpx_gt_u32_e32 8, v20
; %bb.589:                              ;   in Loop: Header=BB331_12 Depth=1
	v_ffbh_u32_e32 v18, v24
	v_min_u32_e32 v18, 32, v18
	v_subrev_nc_u32_e32 v20, 28, v18
	v_sub_nc_u32_e32 v18, 29, v18
	v_lshlrev_b64 v[22:23], v20, v[24:25]
	v_and_b32_e32 v68, 7, v22
; %bb.590:                              ;   in Loop: Header=BB331_12 Depth=1
	s_or_b32 exec_lo, exec_lo, s24
	v_mov_b32_e32 v6, 24
	v_lshlrev_b32_e32 v20, 20, v68
	v_lshl_add_u32 v18, v18, 23, 0x3c000000
	v_lshlrev_b32_sdwa v16, v6, v16 dst_sel:DWORD dst_unused:UNUSED_PAD src0_sel:DWORD src1_sel:BYTE_3
	v_and_b32_e32 v16, 0x80000000, v16
	v_or3_b32 v62, v20, v16, v18
.LBB331_591:                            ;   in Loop: Header=BB331_12 Depth=1
	s_or_b32 exec_lo, exec_lo, s23
.LBB331_592:                            ;   in Loop: Header=BB331_12 Depth=1
	s_or_b32 exec_lo, exec_lo, s22
.LBB331_593:                            ;   in Loop: Header=BB331_12 Depth=1
	s_or_b32 exec_lo, exec_lo, s8
	buffer_load_dword v6, off, s[0:3], s32 offset:192 ; 4-byte Folded Reload
	v_add_co_u32 v16, s7, 0x900, v66
	v_add_co_ci_u32_e64 v18, null, 0, v67, s7
	v_mov_b32_e32 v63, 0
	v_mov_b32_e32 v20, 0
	s_waitcnt vmcnt(0)
	v_add_co_u32 v22, s7, v16, v6
	v_add_co_ci_u32_e64 v23, null, 0, v18, s7
	flat_load_dword v22, v[22:23]
	s_waitcnt vmcnt(0) lgkmcnt(0)
	v_cmp_ne_u16_sdwa s7, v22, v25 src0_sel:BYTE_0 src1_sel:DWORD
	s_and_saveexec_b32 s8, s7
	s_cbranch_execz .LBB331_601
; %bb.594:                              ;   in Loop: Header=BB331_12 Depth=1
	v_cmp_ne_u16_sdwa s7, v22, v115 src0_sel:BYTE_0 src1_sel:DWORD
	v_bfrev_b32_e32 v20, 1
	s_and_saveexec_b32 s22, s7
	s_cbranch_execz .LBB331_600
; %bb.595:                              ;   in Loop: Header=BB331_12 Depth=1
	v_and_b32_e32 v23, 0x7f, v22
	v_mov_b32_e32 v20, 0x7f800001
	s_mov_b32 s23, exec_lo
	v_cmpx_ne_u32_e32 0x7f, v23
	s_cbranch_execz .LBB331_599
; %bb.596:                              ;   in Loop: Header=BB331_12 Depth=1
	v_and_b32_e32 v24, 7, v22
	v_mov_b32_e32 v69, v25
	v_lshrrev_b32_e32 v20, 3, v23
	s_mov_b32 s24, exec_lo
	v_mov_b32_e32 v68, v24
	v_cmpx_gt_u32_e32 8, v23
; %bb.597:                              ;   in Loop: Header=BB331_12 Depth=1
	v_ffbh_u32_e32 v20, v24
	v_min_u32_e32 v20, 32, v20
	v_subrev_nc_u32_e32 v23, 28, v20
	v_sub_nc_u32_e32 v20, 29, v20
	v_lshlrev_b64 v[23:24], v23, v[24:25]
	v_and_b32_e32 v68, 7, v23
; %bb.598:                              ;   in Loop: Header=BB331_12 Depth=1
	s_or_b32 exec_lo, exec_lo, s24
	v_lshlrev_b32_e32 v23, 24, v22
	v_lshlrev_b32_e32 v24, 20, v68
	v_lshl_add_u32 v20, v20, 23, 0x3c000000
	v_and_b32_e32 v23, 0x80000000, v23
	v_or3_b32 v20, v24, v23, v20
.LBB331_599:                            ;   in Loop: Header=BB331_12 Depth=1
	s_or_b32 exec_lo, exec_lo, s23
.LBB331_600:                            ;   in Loop: Header=BB331_12 Depth=1
	s_or_b32 exec_lo, exec_lo, s22
.LBB331_601:                            ;   in Loop: Header=BB331_12 Depth=1
	s_or_b32 exec_lo, exec_lo, s8
	v_cmp_ne_u16_sdwa s7, v22, v25 src0_sel:BYTE_1 src1_sel:DWORD
	s_and_saveexec_b32 s8, s7
	s_cbranch_execz .LBB331_609
; %bb.602:                              ;   in Loop: Header=BB331_12 Depth=1
	v_cmp_ne_u16_sdwa s7, v22, v115 src0_sel:BYTE_1 src1_sel:DWORD
	v_bfrev_b32_e32 v63, 1
	s_and_saveexec_b32 s22, s7
	s_cbranch_execz .LBB331_608
; %bb.603:                              ;   in Loop: Header=BB331_12 Depth=1
	v_mov_b32_e32 v6, 0xffff
	v_mov_b32_e32 v63, 0x7f800001
	s_mov_b32 s23, exec_lo
	v_and_b32_sdwa v23, v6, v22 dst_sel:DWORD dst_unused:UNUSED_PAD src0_sel:DWORD src1_sel:BYTE_1
	v_and_b32_e32 v39, 0x7f, v23
	v_cmpx_ne_u32_e32 0x7f, v39
	s_cbranch_execz .LBB331_607
; %bb.604:                              ;   in Loop: Header=BB331_12 Depth=1
	v_and_b32_e32 v24, 7, v23
	v_mov_b32_e32 v69, v25
	v_lshrrev_b32_e32 v23, 3, v39
	s_mov_b32 s24, exec_lo
	v_mov_b32_e32 v68, v24
	v_cmpx_gt_u32_e32 8, v39
; %bb.605:                              ;   in Loop: Header=BB331_12 Depth=1
	v_ffbh_u32_e32 v23, v24
	v_min_u32_e32 v23, 32, v23
	v_subrev_nc_u32_e32 v39, 28, v23
	v_sub_nc_u32_e32 v23, 29, v23
	v_lshlrev_b64 v[68:69], v39, v[24:25]
	v_and_b32_e32 v68, 7, v68
; %bb.606:                              ;   in Loop: Header=BB331_12 Depth=1
	s_or_b32 exec_lo, exec_lo, s24
	v_lshlrev_b32_e32 v24, 16, v22
	v_lshlrev_b32_e32 v39, 20, v68
	v_lshl_add_u32 v23, v23, 23, 0x3c000000
	v_and_b32_e32 v24, 0x80000000, v24
	v_or3_b32 v63, v39, v24, v23
.LBB331_607:                            ;   in Loop: Header=BB331_12 Depth=1
	s_or_b32 exec_lo, exec_lo, s23
.LBB331_608:                            ;   in Loop: Header=BB331_12 Depth=1
	s_or_b32 exec_lo, exec_lo, s22
.LBB331_609:                            ;   in Loop: Header=BB331_12 Depth=1
	s_or_b32 exec_lo, exec_lo, s8
	v_mov_b32_e32 v6, 0xff
	v_mov_b32_e32 v59, 0
	s_mov_b32 s8, exec_lo
	v_and_b32_sdwa v23, v22, v6 dst_sel:DWORD dst_unused:UNUSED_PAD src0_sel:WORD_1 src1_sel:DWORD
	v_mov_b32_e32 v6, 0
	buffer_store_dword v6, off, s[0:3], s32 offset:348 ; 4-byte Folded Spill
	v_cmpx_ne_u16_e32 0, v23
	s_cbranch_execz .LBB331_617
; %bb.610:                              ;   in Loop: Header=BB331_12 Depth=1
	v_bfrev_b32_e32 v6, 1
	s_mov_b32 s22, exec_lo
	v_cmpx_ne_u16_e32 0x80, v23
	s_cbranch_execz .LBB331_616
; %bb.611:                              ;   in Loop: Header=BB331_12 Depth=1
	v_bfe_u32 v39, v22, 16, 7
	v_mov_b32_e32 v6, 0x7f800001
	s_mov_b32 s23, exec_lo
	v_cmpx_ne_u32_e32 0x7f, v39
	s_cbranch_execz .LBB331_615
; %bb.612:                              ;   in Loop: Header=BB331_12 Depth=1
	v_mov_b32_e32 v6, 7
	v_lshrrev_b32_e32 v23, 3, v39
	s_mov_b32 s24, exec_lo
	v_and_b32_sdwa v24, v22, v6 dst_sel:DWORD dst_unused:UNUSED_PAD src0_sel:WORD_1 src1_sel:DWORD
	v_mov_b32_e32 v69, v25
	v_mov_b32_e32 v68, v24
	v_cmpx_gt_u32_e32 8, v39
; %bb.613:                              ;   in Loop: Header=BB331_12 Depth=1
	v_ffbh_u32_e32 v23, v24
	v_min_u32_e32 v23, 32, v23
	v_subrev_nc_u32_e32 v39, 28, v23
	v_sub_nc_u32_e32 v23, 29, v23
	v_lshlrev_b64 v[68:69], v39, v[24:25]
	v_and_b32_e32 v68, 7, v68
; %bb.614:                              ;   in Loop: Header=BB331_12 Depth=1
	s_or_b32 exec_lo, exec_lo, s24
	v_mov_b32_e32 v6, 24
	v_lshlrev_b32_e32 v39, 20, v68
	v_lshl_add_u32 v23, v23, 23, 0x3c000000
	v_lshlrev_b32_sdwa v24, v6, v22 dst_sel:DWORD dst_unused:UNUSED_PAD src0_sel:DWORD src1_sel:WORD_1
	v_and_b32_e32 v24, 0x80000000, v24
	v_or3_b32 v6, v39, v24, v23
.LBB331_615:                            ;   in Loop: Header=BB331_12 Depth=1
	s_or_b32 exec_lo, exec_lo, s23
.LBB331_616:                            ;   in Loop: Header=BB331_12 Depth=1
	s_or_b32 exec_lo, exec_lo, s22
	buffer_store_dword v6, off, s[0:3], s32 offset:348 ; 4-byte Folded Spill
.LBB331_617:                            ;   in Loop: Header=BB331_12 Depth=1
	s_or_b32 exec_lo, exec_lo, s8
	s_mov_b32 s8, exec_lo
	v_cmpx_lt_u32_e32 0xffffff, v22
	s_cbranch_execz .LBB331_625
; %bb.618:                              ;   in Loop: Header=BB331_12 Depth=1
	v_cmp_ne_u32_sdwa s7, v22, v115 src0_sel:BYTE_3 src1_sel:DWORD
	v_bfrev_b32_e32 v59, 1
	s_and_saveexec_b32 s22, s7
	s_cbranch_execz .LBB331_624
; %bb.619:                              ;   in Loop: Header=BB331_12 Depth=1
	v_bfe_u32 v39, v22, 24, 7
	v_mov_b32_e32 v59, 0x7f800001
	s_mov_b32 s23, exec_lo
	v_cmpx_ne_u32_e32 0x7f, v39
	s_cbranch_execz .LBB331_623
; %bb.620:                              ;   in Loop: Header=BB331_12 Depth=1
	v_mov_b32_e32 v6, 7
	v_lshrrev_b32_e32 v23, 3, v39
	s_mov_b32 s24, exec_lo
	v_and_b32_sdwa v24, v22, v6 dst_sel:DWORD dst_unused:UNUSED_PAD src0_sel:BYTE_3 src1_sel:DWORD
	v_mov_b32_e32 v69, v25
	v_mov_b32_e32 v68, v24
	v_cmpx_gt_u32_e32 8, v39
; %bb.621:                              ;   in Loop: Header=BB331_12 Depth=1
	v_ffbh_u32_e32 v23, v24
	v_min_u32_e32 v23, 32, v23
	v_subrev_nc_u32_e32 v39, 28, v23
	v_sub_nc_u32_e32 v23, 29, v23
	v_lshlrev_b64 v[68:69], v39, v[24:25]
	v_and_b32_e32 v68, 7, v68
; %bb.622:                              ;   in Loop: Header=BB331_12 Depth=1
	s_or_b32 exec_lo, exec_lo, s24
	v_mov_b32_e32 v6, 24
	v_lshlrev_b32_e32 v24, 20, v68
	v_lshl_add_u32 v23, v23, 23, 0x3c000000
	v_lshlrev_b32_sdwa v22, v6, v22 dst_sel:DWORD dst_unused:UNUSED_PAD src0_sel:DWORD src1_sel:BYTE_3
	v_and_b32_e32 v22, 0x80000000, v22
	v_or3_b32 v59, v24, v22, v23
.LBB331_623:                            ;   in Loop: Header=BB331_12 Depth=1
	s_or_b32 exec_lo, exec_lo, s23
.LBB331_624:                            ;   in Loop: Header=BB331_12 Depth=1
	s_or_b32 exec_lo, exec_lo, s22
.LBB331_625:                            ;   in Loop: Header=BB331_12 Depth=1
	s_or_b32 exec_lo, exec_lo, s8
	buffer_load_dword v6, off, s[0:3], s32 offset:196 ; 4-byte Folded Reload
	v_mov_b32_e32 v75, 0
	v_mov_b32_e32 v58, 0
	s_waitcnt vmcnt(0)
	v_add_co_u32 v22, s7, v16, v6
	v_add_co_ci_u32_e64 v23, null, 0, v18, s7
	flat_load_dword v16, v[22:23]
	s_waitcnt vmcnt(0) lgkmcnt(0)
	v_cmp_ne_u16_sdwa s7, v16, v25 src0_sel:BYTE_0 src1_sel:DWORD
	s_and_saveexec_b32 s8, s7
	s_cbranch_execz .LBB331_633
; %bb.626:                              ;   in Loop: Header=BB331_12 Depth=1
	v_cmp_ne_u16_sdwa s7, v16, v115 src0_sel:BYTE_0 src1_sel:DWORD
	v_bfrev_b32_e32 v58, 1
	s_and_saveexec_b32 s22, s7
	s_cbranch_execz .LBB331_632
; %bb.627:                              ;   in Loop: Header=BB331_12 Depth=1
	v_and_b32_e32 v22, 0x7f, v16
	v_mov_b32_e32 v58, 0x7f800001
	s_mov_b32 s23, exec_lo
	v_cmpx_ne_u32_e32 0x7f, v22
	s_cbranch_execz .LBB331_631
; %bb.628:                              ;   in Loop: Header=BB331_12 Depth=1
	v_and_b32_e32 v24, 7, v16
	v_mov_b32_e32 v69, v25
	v_lshrrev_b32_e32 v18, 3, v22
	s_mov_b32 s24, exec_lo
	v_mov_b32_e32 v68, v24
	v_cmpx_gt_u32_e32 8, v22
; %bb.629:                              ;   in Loop: Header=BB331_12 Depth=1
	v_ffbh_u32_e32 v18, v24
	v_min_u32_e32 v18, 32, v18
	v_subrev_nc_u32_e32 v22, 28, v18
	v_sub_nc_u32_e32 v18, 29, v18
	v_lshlrev_b64 v[22:23], v22, v[24:25]
	v_and_b32_e32 v68, 7, v22
; %bb.630:                              ;   in Loop: Header=BB331_12 Depth=1
	s_or_b32 exec_lo, exec_lo, s24
	v_lshlrev_b32_e32 v22, 24, v16
	v_lshlrev_b32_e32 v23, 20, v68
	v_lshl_add_u32 v18, v18, 23, 0x3c000000
	v_and_b32_e32 v22, 0x80000000, v22
	v_or3_b32 v58, v23, v22, v18
.LBB331_631:                            ;   in Loop: Header=BB331_12 Depth=1
	s_or_b32 exec_lo, exec_lo, s23
.LBB331_632:                            ;   in Loop: Header=BB331_12 Depth=1
	s_or_b32 exec_lo, exec_lo, s22
.LBB331_633:                            ;   in Loop: Header=BB331_12 Depth=1
	s_or_b32 exec_lo, exec_lo, s8
	v_cmp_ne_u16_sdwa s7, v16, v25 src0_sel:BYTE_1 src1_sel:DWORD
	s_and_saveexec_b32 s8, s7
	s_cbranch_execz .LBB331_641
; %bb.634:                              ;   in Loop: Header=BB331_12 Depth=1
	v_cmp_ne_u16_sdwa s7, v16, v115 src0_sel:BYTE_1 src1_sel:DWORD
	v_bfrev_b32_e32 v75, 1
	s_and_saveexec_b32 s22, s7
	s_cbranch_execz .LBB331_640
; %bb.635:                              ;   in Loop: Header=BB331_12 Depth=1
	v_mov_b32_e32 v6, 0xffff
	v_mov_b32_e32 v75, 0x7f800001
	s_mov_b32 s23, exec_lo
	v_and_b32_sdwa v18, v6, v16 dst_sel:DWORD dst_unused:UNUSED_PAD src0_sel:DWORD src1_sel:BYTE_1
	v_and_b32_e32 v22, 0x7f, v18
	v_cmpx_ne_u32_e32 0x7f, v22
	s_cbranch_execz .LBB331_639
; %bb.636:                              ;   in Loop: Header=BB331_12 Depth=1
	v_and_b32_e32 v24, 7, v18
	v_mov_b32_e32 v69, v25
	v_lshrrev_b32_e32 v18, 3, v22
	s_mov_b32 s24, exec_lo
	v_mov_b32_e32 v68, v24
	v_cmpx_gt_u32_e32 8, v22
; %bb.637:                              ;   in Loop: Header=BB331_12 Depth=1
	v_ffbh_u32_e32 v18, v24
	v_min_u32_e32 v18, 32, v18
	v_subrev_nc_u32_e32 v22, 28, v18
	v_sub_nc_u32_e32 v18, 29, v18
	v_lshlrev_b64 v[22:23], v22, v[24:25]
	v_and_b32_e32 v68, 7, v22
; %bb.638:                              ;   in Loop: Header=BB331_12 Depth=1
	s_or_b32 exec_lo, exec_lo, s24
	v_lshlrev_b32_e32 v22, 16, v16
	v_lshlrev_b32_e32 v23, 20, v68
	v_lshl_add_u32 v18, v18, 23, 0x3c000000
	v_and_b32_e32 v22, 0x80000000, v22
	v_or3_b32 v75, v23, v22, v18
.LBB331_639:                            ;   in Loop: Header=BB331_12 Depth=1
	s_or_b32 exec_lo, exec_lo, s23
.LBB331_640:                            ;   in Loop: Header=BB331_12 Depth=1
	s_or_b32 exec_lo, exec_lo, s22
.LBB331_641:                            ;   in Loop: Header=BB331_12 Depth=1
	s_or_b32 exec_lo, exec_lo, s8
	v_mov_b32_e32 v6, 0xff
	s_mov_b32 s8, exec_lo
	v_and_b32_sdwa v18, v16, v6 dst_sel:DWORD dst_unused:UNUSED_PAD src0_sel:WORD_1 src1_sel:DWORD
	v_mov_b32_e32 v6, 0
	buffer_store_dword v6, off, s[0:3], s32 offset:236 ; 4-byte Folded Spill
	v_mov_b32_e32 v6, 0
	buffer_store_dword v6, off, s[0:3], s32 offset:352 ; 4-byte Folded Spill
	v_cmpx_ne_u16_e32 0, v18
	s_cbranch_execz .LBB331_649
; %bb.642:                              ;   in Loop: Header=BB331_12 Depth=1
	v_bfrev_b32_e32 v6, 1
	s_mov_b32 s22, exec_lo
	v_cmpx_ne_u16_e32 0x80, v18
	s_cbranch_execz .LBB331_648
; %bb.643:                              ;   in Loop: Header=BB331_12 Depth=1
	v_bfe_u32 v22, v16, 16, 7
	v_mov_b32_e32 v6, 0x7f800001
	s_mov_b32 s23, exec_lo
	v_cmpx_ne_u32_e32 0x7f, v22
	s_cbranch_execz .LBB331_647
; %bb.644:                              ;   in Loop: Header=BB331_12 Depth=1
	v_mov_b32_e32 v6, 7
	v_lshrrev_b32_e32 v18, 3, v22
	s_mov_b32 s24, exec_lo
	v_and_b32_sdwa v24, v16, v6 dst_sel:DWORD dst_unused:UNUSED_PAD src0_sel:WORD_1 src1_sel:DWORD
	v_mov_b32_e32 v69, v25
	v_mov_b32_e32 v68, v24
	v_cmpx_gt_u32_e32 8, v22
; %bb.645:                              ;   in Loop: Header=BB331_12 Depth=1
	v_ffbh_u32_e32 v18, v24
	v_min_u32_e32 v18, 32, v18
	v_subrev_nc_u32_e32 v22, 28, v18
	v_sub_nc_u32_e32 v18, 29, v18
	v_lshlrev_b64 v[22:23], v22, v[24:25]
	v_and_b32_e32 v68, 7, v22
; %bb.646:                              ;   in Loop: Header=BB331_12 Depth=1
	s_or_b32 exec_lo, exec_lo, s24
	v_mov_b32_e32 v6, 24
	v_lshlrev_b32_e32 v23, 20, v68
	v_lshl_add_u32 v18, v18, 23, 0x3c000000
	v_lshlrev_b32_sdwa v22, v6, v16 dst_sel:DWORD dst_unused:UNUSED_PAD src0_sel:DWORD src1_sel:WORD_1
	v_and_b32_e32 v22, 0x80000000, v22
	v_or3_b32 v6, v23, v22, v18
.LBB331_647:                            ;   in Loop: Header=BB331_12 Depth=1
	s_or_b32 exec_lo, exec_lo, s23
.LBB331_648:                            ;   in Loop: Header=BB331_12 Depth=1
	s_or_b32 exec_lo, exec_lo, s22
	buffer_store_dword v6, off, s[0:3], s32 offset:352 ; 4-byte Folded Spill
.LBB331_649:                            ;   in Loop: Header=BB331_12 Depth=1
	s_or_b32 exec_lo, exec_lo, s8
	s_mov_b32 s8, exec_lo
	v_cmpx_lt_u32_e32 0xffffff, v16
	s_cbranch_execz .LBB331_657
; %bb.650:                              ;   in Loop: Header=BB331_12 Depth=1
	v_cmp_ne_u32_sdwa s7, v16, v115 src0_sel:BYTE_3 src1_sel:DWORD
	v_bfrev_b32_e32 v6, 1
	buffer_store_dword v6, off, s[0:3], s32 offset:236 ; 4-byte Folded Spill
	s_and_saveexec_b32 s22, s7
	s_cbranch_execz .LBB331_656
; %bb.651:                              ;   in Loop: Header=BB331_12 Depth=1
	v_bfe_u32 v22, v16, 24, 7
	v_mov_b32_e32 v6, 0x7f800001
	s_mov_b32 s23, exec_lo
	buffer_store_dword v6, off, s[0:3], s32 offset:236 ; 4-byte Folded Spill
	v_cmpx_ne_u32_e32 0x7f, v22
	s_cbranch_execz .LBB331_655
; %bb.652:                              ;   in Loop: Header=BB331_12 Depth=1
	v_mov_b32_e32 v6, 7
	v_lshrrev_b32_e32 v18, 3, v22
	s_mov_b32 s24, exec_lo
	v_and_b32_sdwa v24, v16, v6 dst_sel:DWORD dst_unused:UNUSED_PAD src0_sel:BYTE_3 src1_sel:DWORD
	v_mov_b32_e32 v69, v25
	v_mov_b32_e32 v68, v24
	v_cmpx_gt_u32_e32 8, v22
; %bb.653:                              ;   in Loop: Header=BB331_12 Depth=1
	v_ffbh_u32_e32 v18, v24
	v_min_u32_e32 v18, 32, v18
	v_subrev_nc_u32_e32 v22, 28, v18
	v_sub_nc_u32_e32 v18, 29, v18
	v_lshlrev_b64 v[22:23], v22, v[24:25]
	v_and_b32_e32 v68, 7, v22
; %bb.654:                              ;   in Loop: Header=BB331_12 Depth=1
	s_or_b32 exec_lo, exec_lo, s24
	v_mov_b32_e32 v6, 24
	v_lshlrev_b32_e32 v22, 20, v68
	v_lshl_add_u32 v18, v18, 23, 0x3c000000
	v_lshlrev_b32_sdwa v16, v6, v16 dst_sel:DWORD dst_unused:UNUSED_PAD src0_sel:DWORD src1_sel:BYTE_3
	v_and_b32_e32 v16, 0x80000000, v16
	v_or3_b32 v6, v22, v16, v18
	buffer_store_dword v6, off, s[0:3], s32 offset:236 ; 4-byte Folded Spill
.LBB331_655:                            ;   in Loop: Header=BB331_12 Depth=1
	s_or_b32 exec_lo, exec_lo, s23
.LBB331_656:                            ;   in Loop: Header=BB331_12 Depth=1
	s_or_b32 exec_lo, exec_lo, s22
.LBB331_657:                            ;   in Loop: Header=BB331_12 Depth=1
	s_or_b32 exec_lo, exec_lo, s8
	buffer_load_dword v6, off, s[0:3], s32 offset:192 ; 4-byte Folded Reload
	v_add_co_u32 v16, s7, 0xa00, v66
	v_add_co_ci_u32_e64 v18, null, 0, v67, s7
	s_waitcnt vmcnt(0)
	v_add_co_u32 v22, s7, v16, v6
	v_add_co_ci_u32_e64 v23, null, 0, v18, s7
	v_mov_b32_e32 v6, 0
	flat_load_dword v22, v[22:23]
	buffer_store_dword v6, off, s[0:3], s32 offset:244 ; 4-byte Folded Spill
	v_mov_b32_e32 v6, 0
	buffer_store_dword v6, off, s[0:3], s32 offset:240 ; 4-byte Folded Spill
	s_waitcnt vmcnt(0) lgkmcnt(0)
	v_cmp_ne_u16_sdwa s7, v22, v25 src0_sel:BYTE_0 src1_sel:DWORD
	s_and_saveexec_b32 s8, s7
	s_cbranch_execz .LBB331_665
; %bb.658:                              ;   in Loop: Header=BB331_12 Depth=1
	v_cmp_ne_u16_sdwa s7, v22, v115 src0_sel:BYTE_0 src1_sel:DWORD
	v_bfrev_b32_e32 v6, 1
	buffer_store_dword v6, off, s[0:3], s32 offset:240 ; 4-byte Folded Spill
	s_and_saveexec_b32 s22, s7
	s_cbranch_execz .LBB331_664
; %bb.659:                              ;   in Loop: Header=BB331_12 Depth=1
	v_and_b32_e32 v39, 0x7f, v22
	v_mov_b32_e32 v6, 0x7f800001
	s_mov_b32 s23, exec_lo
	buffer_store_dword v6, off, s[0:3], s32 offset:240 ; 4-byte Folded Spill
	v_cmpx_ne_u32_e32 0x7f, v39
	s_cbranch_execz .LBB331_663
; %bb.660:                              ;   in Loop: Header=BB331_12 Depth=1
	v_and_b32_e32 v24, 7, v22
	v_mov_b32_e32 v69, v25
	v_lshrrev_b32_e32 v23, 3, v39
	s_mov_b32 s24, exec_lo
	v_mov_b32_e32 v68, v24
	v_cmpx_gt_u32_e32 8, v39
; %bb.661:                              ;   in Loop: Header=BB331_12 Depth=1
	v_ffbh_u32_e32 v23, v24
	v_min_u32_e32 v23, 32, v23
	v_subrev_nc_u32_e32 v39, 28, v23
	v_sub_nc_u32_e32 v23, 29, v23
	v_lshlrev_b64 v[68:69], v39, v[24:25]
	v_and_b32_e32 v68, 7, v68
; %bb.662:                              ;   in Loop: Header=BB331_12 Depth=1
	s_or_b32 exec_lo, exec_lo, s24
	v_lshlrev_b32_e32 v24, 24, v22
	v_lshlrev_b32_e32 v39, 20, v68
	v_lshl_add_u32 v23, v23, 23, 0x3c000000
	v_and_b32_e32 v24, 0x80000000, v24
	v_or3_b32 v6, v39, v24, v23
	buffer_store_dword v6, off, s[0:3], s32 offset:240 ; 4-byte Folded Spill
.LBB331_663:                            ;   in Loop: Header=BB331_12 Depth=1
	s_or_b32 exec_lo, exec_lo, s23
.LBB331_664:                            ;   in Loop: Header=BB331_12 Depth=1
	s_or_b32 exec_lo, exec_lo, s22
.LBB331_665:                            ;   in Loop: Header=BB331_12 Depth=1
	s_or_b32 exec_lo, exec_lo, s8
	v_cmp_ne_u16_sdwa s7, v22, v25 src0_sel:BYTE_1 src1_sel:DWORD
	s_and_saveexec_b32 s8, s7
	s_cbranch_execz .LBB331_673
; %bb.666:                              ;   in Loop: Header=BB331_12 Depth=1
	v_cmp_ne_u16_sdwa s7, v22, v115 src0_sel:BYTE_1 src1_sel:DWORD
	v_bfrev_b32_e32 v6, 1
	buffer_store_dword v6, off, s[0:3], s32 offset:244 ; 4-byte Folded Spill
	s_and_saveexec_b32 s22, s7
	s_cbranch_execz .LBB331_672
; %bb.667:                              ;   in Loop: Header=BB331_12 Depth=1
	v_mov_b32_e32 v6, 0xffff
	s_mov_b32 s23, exec_lo
	v_and_b32_sdwa v23, v6, v22 dst_sel:DWORD dst_unused:UNUSED_PAD src0_sel:DWORD src1_sel:BYTE_1
	v_mov_b32_e32 v6, 0x7f800001
	v_and_b32_e32 v39, 0x7f, v23
	buffer_store_dword v6, off, s[0:3], s32 offset:244 ; 4-byte Folded Spill
	v_cmpx_ne_u32_e32 0x7f, v39
	s_cbranch_execz .LBB331_671
; %bb.668:                              ;   in Loop: Header=BB331_12 Depth=1
	v_and_b32_e32 v24, 7, v23
	v_mov_b32_e32 v69, v25
	v_lshrrev_b32_e32 v23, 3, v39
	s_mov_b32 s24, exec_lo
	v_mov_b32_e32 v68, v24
	v_cmpx_gt_u32_e32 8, v39
; %bb.669:                              ;   in Loop: Header=BB331_12 Depth=1
	v_ffbh_u32_e32 v23, v24
	v_min_u32_e32 v23, 32, v23
	v_subrev_nc_u32_e32 v39, 28, v23
	v_sub_nc_u32_e32 v23, 29, v23
	v_lshlrev_b64 v[68:69], v39, v[24:25]
	v_and_b32_e32 v68, 7, v68
; %bb.670:                              ;   in Loop: Header=BB331_12 Depth=1
	s_or_b32 exec_lo, exec_lo, s24
	v_lshlrev_b32_e32 v24, 16, v22
	v_lshlrev_b32_e32 v39, 20, v68
	v_lshl_add_u32 v23, v23, 23, 0x3c000000
	v_and_b32_e32 v24, 0x80000000, v24
	v_or3_b32 v6, v39, v24, v23
	buffer_store_dword v6, off, s[0:3], s32 offset:244 ; 4-byte Folded Spill
.LBB331_671:                            ;   in Loop: Header=BB331_12 Depth=1
	s_or_b32 exec_lo, exec_lo, s23
.LBB331_672:                            ;   in Loop: Header=BB331_12 Depth=1
	s_or_b32 exec_lo, exec_lo, s22
.LBB331_673:                            ;   in Loop: Header=BB331_12 Depth=1
	s_or_b32 exec_lo, exec_lo, s8
	v_mov_b32_e32 v6, 0xff
	s_mov_b32 s8, exec_lo
	v_and_b32_sdwa v23, v22, v6 dst_sel:DWORD dst_unused:UNUSED_PAD src0_sel:WORD_1 src1_sel:DWORD
	v_mov_b32_e32 v6, 0
	buffer_store_dword v6, off, s[0:3], s32 offset:248 ; 4-byte Folded Spill
	v_mov_b32_e32 v6, 0
	buffer_store_dword v6, off, s[0:3], s32 offset:356 ; 4-byte Folded Spill
	v_cmpx_ne_u16_e32 0, v23
	s_cbranch_execz .LBB331_681
; %bb.674:                              ;   in Loop: Header=BB331_12 Depth=1
	v_bfrev_b32_e32 v6, 1
	s_mov_b32 s22, exec_lo
	v_cmpx_ne_u16_e32 0x80, v23
	s_cbranch_execz .LBB331_680
; %bb.675:                              ;   in Loop: Header=BB331_12 Depth=1
	v_bfe_u32 v39, v22, 16, 7
	v_mov_b32_e32 v6, 0x7f800001
	s_mov_b32 s23, exec_lo
	v_cmpx_ne_u32_e32 0x7f, v39
	s_cbranch_execz .LBB331_679
; %bb.676:                              ;   in Loop: Header=BB331_12 Depth=1
	v_mov_b32_e32 v6, 7
	v_lshrrev_b32_e32 v23, 3, v39
	s_mov_b32 s24, exec_lo
	v_and_b32_sdwa v24, v22, v6 dst_sel:DWORD dst_unused:UNUSED_PAD src0_sel:WORD_1 src1_sel:DWORD
	v_mov_b32_e32 v69, v25
	v_mov_b32_e32 v68, v24
	v_cmpx_gt_u32_e32 8, v39
; %bb.677:                              ;   in Loop: Header=BB331_12 Depth=1
	v_ffbh_u32_e32 v23, v24
	v_min_u32_e32 v23, 32, v23
	v_subrev_nc_u32_e32 v39, 28, v23
	v_sub_nc_u32_e32 v23, 29, v23
	v_lshlrev_b64 v[68:69], v39, v[24:25]
	v_and_b32_e32 v68, 7, v68
; %bb.678:                              ;   in Loop: Header=BB331_12 Depth=1
	s_or_b32 exec_lo, exec_lo, s24
	v_mov_b32_e32 v6, 24
	v_lshlrev_b32_e32 v39, 20, v68
	v_lshl_add_u32 v23, v23, 23, 0x3c000000
	v_lshlrev_b32_sdwa v24, v6, v22 dst_sel:DWORD dst_unused:UNUSED_PAD src0_sel:DWORD src1_sel:WORD_1
	v_and_b32_e32 v24, 0x80000000, v24
	v_or3_b32 v6, v39, v24, v23
.LBB331_679:                            ;   in Loop: Header=BB331_12 Depth=1
	s_or_b32 exec_lo, exec_lo, s23
.LBB331_680:                            ;   in Loop: Header=BB331_12 Depth=1
	s_or_b32 exec_lo, exec_lo, s22
	buffer_store_dword v6, off, s[0:3], s32 offset:356 ; 4-byte Folded Spill
.LBB331_681:                            ;   in Loop: Header=BB331_12 Depth=1
	s_or_b32 exec_lo, exec_lo, s8
	s_mov_b32 s8, exec_lo
	v_cmpx_lt_u32_e32 0xffffff, v22
	s_cbranch_execz .LBB331_689
; %bb.682:                              ;   in Loop: Header=BB331_12 Depth=1
	v_cmp_ne_u32_sdwa s7, v22, v115 src0_sel:BYTE_3 src1_sel:DWORD
	v_bfrev_b32_e32 v6, 1
	buffer_store_dword v6, off, s[0:3], s32 offset:248 ; 4-byte Folded Spill
	s_and_saveexec_b32 s22, s7
	s_cbranch_execz .LBB331_688
; %bb.683:                              ;   in Loop: Header=BB331_12 Depth=1
	v_bfe_u32 v39, v22, 24, 7
	v_mov_b32_e32 v6, 0x7f800001
	s_mov_b32 s23, exec_lo
	buffer_store_dword v6, off, s[0:3], s32 offset:248 ; 4-byte Folded Spill
	v_cmpx_ne_u32_e32 0x7f, v39
	s_cbranch_execz .LBB331_687
; %bb.684:                              ;   in Loop: Header=BB331_12 Depth=1
	v_mov_b32_e32 v6, 7
	v_lshrrev_b32_e32 v23, 3, v39
	s_mov_b32 s24, exec_lo
	v_and_b32_sdwa v24, v22, v6 dst_sel:DWORD dst_unused:UNUSED_PAD src0_sel:BYTE_3 src1_sel:DWORD
	v_mov_b32_e32 v69, v25
	v_mov_b32_e32 v68, v24
	v_cmpx_gt_u32_e32 8, v39
; %bb.685:                              ;   in Loop: Header=BB331_12 Depth=1
	v_ffbh_u32_e32 v23, v24
	v_min_u32_e32 v23, 32, v23
	v_subrev_nc_u32_e32 v39, 28, v23
	v_sub_nc_u32_e32 v23, 29, v23
	v_lshlrev_b64 v[68:69], v39, v[24:25]
	v_and_b32_e32 v68, 7, v68
; %bb.686:                              ;   in Loop: Header=BB331_12 Depth=1
	s_or_b32 exec_lo, exec_lo, s24
	v_mov_b32_e32 v6, 24
	v_lshlrev_b32_e32 v24, 20, v68
	v_lshl_add_u32 v23, v23, 23, 0x3c000000
	v_lshlrev_b32_sdwa v22, v6, v22 dst_sel:DWORD dst_unused:UNUSED_PAD src0_sel:DWORD src1_sel:BYTE_3
	v_and_b32_e32 v22, 0x80000000, v22
	v_or3_b32 v6, v24, v22, v23
	buffer_store_dword v6, off, s[0:3], s32 offset:248 ; 4-byte Folded Spill
.LBB331_687:                            ;   in Loop: Header=BB331_12 Depth=1
	s_or_b32 exec_lo, exec_lo, s23
.LBB331_688:                            ;   in Loop: Header=BB331_12 Depth=1
	s_or_b32 exec_lo, exec_lo, s22
.LBB331_689:                            ;   in Loop: Header=BB331_12 Depth=1
	s_or_b32 exec_lo, exec_lo, s8
	buffer_load_dword v6, off, s[0:3], s32 offset:196 ; 4-byte Folded Reload
	s_waitcnt vmcnt(0)
	v_add_co_u32 v22, s7, v16, v6
	v_add_co_ci_u32_e64 v23, null, 0, v18, s7
	v_mov_b32_e32 v6, 0
	flat_load_dword v16, v[22:23]
	buffer_store_dword v6, off, s[0:3], s32 offset:256 ; 4-byte Folded Spill
	v_mov_b32_e32 v6, 0
	buffer_store_dword v6, off, s[0:3], s32 offset:252 ; 4-byte Folded Spill
	s_waitcnt vmcnt(0) lgkmcnt(0)
	v_cmp_ne_u16_sdwa s7, v16, v25 src0_sel:BYTE_0 src1_sel:DWORD
	s_and_saveexec_b32 s8, s7
	s_cbranch_execz .LBB331_697
; %bb.690:                              ;   in Loop: Header=BB331_12 Depth=1
	v_cmp_ne_u16_sdwa s7, v16, v115 src0_sel:BYTE_0 src1_sel:DWORD
	v_bfrev_b32_e32 v6, 1
	buffer_store_dword v6, off, s[0:3], s32 offset:252 ; 4-byte Folded Spill
	s_and_saveexec_b32 s22, s7
	s_cbranch_execz .LBB331_696
; %bb.691:                              ;   in Loop: Header=BB331_12 Depth=1
	v_and_b32_e32 v23, 0x7f, v16
	v_mov_b32_e32 v6, 0x7f800001
	s_mov_b32 s23, exec_lo
	buffer_store_dword v6, off, s[0:3], s32 offset:252 ; 4-byte Folded Spill
	v_cmpx_ne_u32_e32 0x7f, v23
	s_cbranch_execz .LBB331_695
; %bb.692:                              ;   in Loop: Header=BB331_12 Depth=1
	v_and_b32_e32 v24, 7, v16
	v_mov_b32_e32 v69, v25
	v_lshrrev_b32_e32 v18, 3, v23
	s_mov_b32 s24, exec_lo
	v_mov_b32_e32 v68, v24
	v_cmpx_gt_u32_e32 8, v23
; %bb.693:                              ;   in Loop: Header=BB331_12 Depth=1
	v_ffbh_u32_e32 v18, v24
	v_min_u32_e32 v18, 32, v18
	v_subrev_nc_u32_e32 v22, 28, v18
	v_sub_nc_u32_e32 v18, 29, v18
	v_lshlrev_b64 v[22:23], v22, v[24:25]
	v_and_b32_e32 v68, 7, v22
; %bb.694:                              ;   in Loop: Header=BB331_12 Depth=1
	s_or_b32 exec_lo, exec_lo, s24
	v_lshlrev_b32_e32 v22, 24, v16
	v_lshlrev_b32_e32 v23, 20, v68
	v_lshl_add_u32 v18, v18, 23, 0x3c000000
	v_and_b32_e32 v22, 0x80000000, v22
	v_or3_b32 v6, v23, v22, v18
	buffer_store_dword v6, off, s[0:3], s32 offset:252 ; 4-byte Folded Spill
.LBB331_695:                            ;   in Loop: Header=BB331_12 Depth=1
	s_or_b32 exec_lo, exec_lo, s23
.LBB331_696:                            ;   in Loop: Header=BB331_12 Depth=1
	s_or_b32 exec_lo, exec_lo, s22
.LBB331_697:                            ;   in Loop: Header=BB331_12 Depth=1
	s_or_b32 exec_lo, exec_lo, s8
	v_cmp_ne_u16_sdwa s7, v16, v25 src0_sel:BYTE_1 src1_sel:DWORD
	s_and_saveexec_b32 s8, s7
	s_cbranch_execz .LBB331_705
; %bb.698:                              ;   in Loop: Header=BB331_12 Depth=1
	v_cmp_ne_u16_sdwa s7, v16, v115 src0_sel:BYTE_1 src1_sel:DWORD
	v_bfrev_b32_e32 v6, 1
	buffer_store_dword v6, off, s[0:3], s32 offset:256 ; 4-byte Folded Spill
	s_and_saveexec_b32 s22, s7
	s_cbranch_execz .LBB331_704
; %bb.699:                              ;   in Loop: Header=BB331_12 Depth=1
	v_mov_b32_e32 v6, 0xffff
	s_mov_b32 s23, exec_lo
	v_and_b32_sdwa v18, v6, v16 dst_sel:DWORD dst_unused:UNUSED_PAD src0_sel:DWORD src1_sel:BYTE_1
	v_mov_b32_e32 v6, 0x7f800001
	v_and_b32_e32 v23, 0x7f, v18
	buffer_store_dword v6, off, s[0:3], s32 offset:256 ; 4-byte Folded Spill
	v_cmpx_ne_u32_e32 0x7f, v23
	s_cbranch_execz .LBB331_703
; %bb.700:                              ;   in Loop: Header=BB331_12 Depth=1
	v_and_b32_e32 v24, 7, v18
	v_mov_b32_e32 v69, v25
	v_lshrrev_b32_e32 v18, 3, v23
	s_mov_b32 s24, exec_lo
	v_mov_b32_e32 v68, v24
	v_cmpx_gt_u32_e32 8, v23
; %bb.701:                              ;   in Loop: Header=BB331_12 Depth=1
	v_ffbh_u32_e32 v18, v24
	v_min_u32_e32 v18, 32, v18
	v_subrev_nc_u32_e32 v23, 28, v18
	v_sub_nc_u32_e32 v18, 29, v18
	v_lshlrev_b64 v[23:24], v23, v[24:25]
	v_and_b32_e32 v68, 7, v23
; %bb.702:                              ;   in Loop: Header=BB331_12 Depth=1
	s_or_b32 exec_lo, exec_lo, s24
	v_lshlrev_b32_e32 v23, 16, v16
	v_lshlrev_b32_e32 v24, 20, v68
	v_lshl_add_u32 v18, v18, 23, 0x3c000000
	v_and_b32_e32 v23, 0x80000000, v23
	v_or3_b32 v6, v24, v23, v18
	buffer_store_dword v6, off, s[0:3], s32 offset:256 ; 4-byte Folded Spill
.LBB331_703:                            ;   in Loop: Header=BB331_12 Depth=1
	s_or_b32 exec_lo, exec_lo, s23
.LBB331_704:                            ;   in Loop: Header=BB331_12 Depth=1
	s_or_b32 exec_lo, exec_lo, s22
.LBB331_705:                            ;   in Loop: Header=BB331_12 Depth=1
	s_or_b32 exec_lo, exec_lo, s8
	v_mov_b32_e32 v6, 0xff
	s_mov_b32 s8, exec_lo
	v_and_b32_sdwa v18, v16, v6 dst_sel:DWORD dst_unused:UNUSED_PAD src0_sel:WORD_1 src1_sel:DWORD
	v_mov_b32_e32 v6, 0
	buffer_store_dword v6, off, s[0:3], s32 offset:260 ; 4-byte Folded Spill
	v_mov_b32_e32 v6, 0
	buffer_store_dword v6, off, s[0:3], s32 offset:360 ; 4-byte Folded Spill
	v_cmpx_ne_u16_e32 0, v18
	s_cbranch_execz .LBB331_713
; %bb.706:                              ;   in Loop: Header=BB331_12 Depth=1
	v_bfrev_b32_e32 v6, 1
	s_mov_b32 s22, exec_lo
	v_cmpx_ne_u16_e32 0x80, v18
	s_cbranch_execz .LBB331_712
; %bb.707:                              ;   in Loop: Header=BB331_12 Depth=1
	v_bfe_u32 v23, v16, 16, 7
	v_mov_b32_e32 v6, 0x7f800001
	s_mov_b32 s23, exec_lo
	v_cmpx_ne_u32_e32 0x7f, v23
	s_cbranch_execz .LBB331_711
; %bb.708:                              ;   in Loop: Header=BB331_12 Depth=1
	v_mov_b32_e32 v6, 7
	v_lshrrev_b32_e32 v18, 3, v23
	s_mov_b32 s24, exec_lo
	v_and_b32_sdwa v24, v16, v6 dst_sel:DWORD dst_unused:UNUSED_PAD src0_sel:WORD_1 src1_sel:DWORD
	v_mov_b32_e32 v69, v25
	v_mov_b32_e32 v68, v24
	v_cmpx_gt_u32_e32 8, v23
; %bb.709:                              ;   in Loop: Header=BB331_12 Depth=1
	v_ffbh_u32_e32 v18, v24
	v_min_u32_e32 v18, 32, v18
	v_subrev_nc_u32_e32 v23, 28, v18
	v_sub_nc_u32_e32 v18, 29, v18
	v_lshlrev_b64 v[23:24], v23, v[24:25]
	v_and_b32_e32 v68, 7, v23
; %bb.710:                              ;   in Loop: Header=BB331_12 Depth=1
	s_or_b32 exec_lo, exec_lo, s24
	v_mov_b32_e32 v6, 24
	v_lshlrev_b32_e32 v24, 20, v68
	v_lshl_add_u32 v18, v18, 23, 0x3c000000
	v_lshlrev_b32_sdwa v23, v6, v16 dst_sel:DWORD dst_unused:UNUSED_PAD src0_sel:DWORD src1_sel:WORD_1
	v_and_b32_e32 v23, 0x80000000, v23
	v_or3_b32 v6, v24, v23, v18
.LBB331_711:                            ;   in Loop: Header=BB331_12 Depth=1
	s_or_b32 exec_lo, exec_lo, s23
.LBB331_712:                            ;   in Loop: Header=BB331_12 Depth=1
	s_or_b32 exec_lo, exec_lo, s22
	buffer_store_dword v6, off, s[0:3], s32 offset:360 ; 4-byte Folded Spill
.LBB331_713:                            ;   in Loop: Header=BB331_12 Depth=1
	s_or_b32 exec_lo, exec_lo, s8
	s_mov_b32 s8, exec_lo
	v_cmpx_lt_u32_e32 0xffffff, v16
	s_cbranch_execz .LBB331_721
; %bb.714:                              ;   in Loop: Header=BB331_12 Depth=1
	v_cmp_ne_u32_sdwa s7, v16, v115 src0_sel:BYTE_3 src1_sel:DWORD
	v_bfrev_b32_e32 v6, 1
	buffer_store_dword v6, off, s[0:3], s32 offset:260 ; 4-byte Folded Spill
	s_and_saveexec_b32 s22, s7
	s_cbranch_execz .LBB331_720
; %bb.715:                              ;   in Loop: Header=BB331_12 Depth=1
	v_bfe_u32 v23, v16, 24, 7
	v_mov_b32_e32 v6, 0x7f800001
	s_mov_b32 s23, exec_lo
	buffer_store_dword v6, off, s[0:3], s32 offset:260 ; 4-byte Folded Spill
	v_cmpx_ne_u32_e32 0x7f, v23
	s_cbranch_execz .LBB331_719
; %bb.716:                              ;   in Loop: Header=BB331_12 Depth=1
	v_mov_b32_e32 v6, 7
	v_lshrrev_b32_e32 v18, 3, v23
	s_mov_b32 s24, exec_lo
	v_and_b32_sdwa v24, v16, v6 dst_sel:DWORD dst_unused:UNUSED_PAD src0_sel:BYTE_3 src1_sel:DWORD
	v_mov_b32_e32 v69, v25
	v_mov_b32_e32 v68, v24
	v_cmpx_gt_u32_e32 8, v23
; %bb.717:                              ;   in Loop: Header=BB331_12 Depth=1
	v_ffbh_u32_e32 v18, v24
	v_min_u32_e32 v18, 32, v18
	v_subrev_nc_u32_e32 v23, 28, v18
	v_sub_nc_u32_e32 v18, 29, v18
	v_lshlrev_b64 v[23:24], v23, v[24:25]
	v_and_b32_e32 v68, 7, v23
; %bb.718:                              ;   in Loop: Header=BB331_12 Depth=1
	s_or_b32 exec_lo, exec_lo, s24
	v_mov_b32_e32 v6, 24
	v_lshlrev_b32_e32 v23, 20, v68
	v_lshl_add_u32 v18, v18, 23, 0x3c000000
	v_lshlrev_b32_sdwa v16, v6, v16 dst_sel:DWORD dst_unused:UNUSED_PAD src0_sel:DWORD src1_sel:BYTE_3
	v_and_b32_e32 v16, 0x80000000, v16
	v_or3_b32 v6, v23, v16, v18
	buffer_store_dword v6, off, s[0:3], s32 offset:260 ; 4-byte Folded Spill
.LBB331_719:                            ;   in Loop: Header=BB331_12 Depth=1
	s_or_b32 exec_lo, exec_lo, s23
.LBB331_720:                            ;   in Loop: Header=BB331_12 Depth=1
	s_or_b32 exec_lo, exec_lo, s22
.LBB331_721:                            ;   in Loop: Header=BB331_12 Depth=1
	s_or_b32 exec_lo, exec_lo, s8
	buffer_load_dword v6, off, s[0:3], s32 offset:192 ; 4-byte Folded Reload
	v_add_co_u32 v16, s7, 0xb00, v66
	v_add_co_ci_u32_e64 v18, null, 0, v67, s7
	s_waitcnt vmcnt(0)
	v_add_co_u32 v23, s7, v16, v6
	v_add_co_ci_u32_e64 v24, null, 0, v18, s7
	v_mov_b32_e32 v6, 0
	flat_load_dword v23, v[23:24]
	buffer_store_dword v6, off, s[0:3], s32 offset:268 ; 4-byte Folded Spill
	v_mov_b32_e32 v6, 0
	buffer_store_dword v6, off, s[0:3], s32 offset:264 ; 4-byte Folded Spill
	s_waitcnt vmcnt(0) lgkmcnt(0)
	v_cmp_ne_u16_sdwa s7, v23, v25 src0_sel:BYTE_0 src1_sel:DWORD
	s_and_saveexec_b32 s8, s7
	s_cbranch_execz .LBB331_729
; %bb.722:                              ;   in Loop: Header=BB331_12 Depth=1
	v_cmp_ne_u16_sdwa s7, v23, v115 src0_sel:BYTE_0 src1_sel:DWORD
	v_bfrev_b32_e32 v6, 1
	buffer_store_dword v6, off, s[0:3], s32 offset:264 ; 4-byte Folded Spill
	s_and_saveexec_b32 s22, s7
	s_cbranch_execz .LBB331_728
; %bb.723:                              ;   in Loop: Header=BB331_12 Depth=1
	v_and_b32_e32 v55, 0x7f, v23
	v_mov_b32_e32 v6, 0x7f800001
	s_mov_b32 s23, exec_lo
	buffer_store_dword v6, off, s[0:3], s32 offset:264 ; 4-byte Folded Spill
	v_cmpx_ne_u32_e32 0x7f, v55
	s_cbranch_execz .LBB331_727
; %bb.724:                              ;   in Loop: Header=BB331_12 Depth=1
	v_and_b32_e32 v24, 7, v23
	v_mov_b32_e32 v69, v25
	v_lshrrev_b32_e32 v39, 3, v55
	s_mov_b32 s24, exec_lo
	v_mov_b32_e32 v68, v24
	v_cmpx_gt_u32_e32 8, v55
; %bb.725:                              ;   in Loop: Header=BB331_12 Depth=1
	v_ffbh_u32_e32 v39, v24
	v_min_u32_e32 v39, 32, v39
	v_subrev_nc_u32_e32 v55, 28, v39
	v_sub_nc_u32_e32 v39, 29, v39
	v_lshlrev_b64 v[68:69], v55, v[24:25]
	v_and_b32_e32 v68, 7, v68
; %bb.726:                              ;   in Loop: Header=BB331_12 Depth=1
	s_or_b32 exec_lo, exec_lo, s24
	v_lshlrev_b32_e32 v24, 24, v23
	v_lshlrev_b32_e32 v55, 20, v68
	v_lshl_add_u32 v39, v39, 23, 0x3c000000
	v_and_b32_e32 v24, 0x80000000, v24
	v_or3_b32 v6, v55, v24, v39
	buffer_store_dword v6, off, s[0:3], s32 offset:264 ; 4-byte Folded Spill
.LBB331_727:                            ;   in Loop: Header=BB331_12 Depth=1
	s_or_b32 exec_lo, exec_lo, s23
.LBB331_728:                            ;   in Loop: Header=BB331_12 Depth=1
	s_or_b32 exec_lo, exec_lo, s22
.LBB331_729:                            ;   in Loop: Header=BB331_12 Depth=1
	s_or_b32 exec_lo, exec_lo, s8
	v_cmp_ne_u16_sdwa s7, v23, v25 src0_sel:BYTE_1 src1_sel:DWORD
	s_and_saveexec_b32 s8, s7
	s_cbranch_execz .LBB331_737
; %bb.730:                              ;   in Loop: Header=BB331_12 Depth=1
	v_cmp_ne_u16_sdwa s7, v23, v115 src0_sel:BYTE_1 src1_sel:DWORD
	v_bfrev_b32_e32 v6, 1
	buffer_store_dword v6, off, s[0:3], s32 offset:268 ; 4-byte Folded Spill
	s_and_saveexec_b32 s22, s7
	s_cbranch_execz .LBB331_736
; %bb.731:                              ;   in Loop: Header=BB331_12 Depth=1
	v_mov_b32_e32 v6, 0xffff
	s_mov_b32 s23, exec_lo
	v_and_b32_sdwa v24, v6, v23 dst_sel:DWORD dst_unused:UNUSED_PAD src0_sel:DWORD src1_sel:BYTE_1
	v_mov_b32_e32 v6, 0x7f800001
	v_and_b32_e32 v55, 0x7f, v24
	buffer_store_dword v6, off, s[0:3], s32 offset:268 ; 4-byte Folded Spill
	v_cmpx_ne_u32_e32 0x7f, v55
	s_cbranch_execz .LBB331_735
; %bb.732:                              ;   in Loop: Header=BB331_12 Depth=1
	v_and_b32_e32 v24, 7, v24
	v_mov_b32_e32 v69, v25
	v_lshrrev_b32_e32 v39, 3, v55
	s_mov_b32 s24, exec_lo
	v_mov_b32_e32 v68, v24
	v_cmpx_gt_u32_e32 8, v55
; %bb.733:                              ;   in Loop: Header=BB331_12 Depth=1
	v_ffbh_u32_e32 v39, v24
	v_min_u32_e32 v39, 32, v39
	v_subrev_nc_u32_e32 v55, 28, v39
	v_sub_nc_u32_e32 v39, 29, v39
	v_lshlrev_b64 v[68:69], v55, v[24:25]
	v_and_b32_e32 v68, 7, v68
; %bb.734:                              ;   in Loop: Header=BB331_12 Depth=1
	s_or_b32 exec_lo, exec_lo, s24
	v_lshlrev_b32_e32 v24, 16, v23
	v_lshlrev_b32_e32 v55, 20, v68
	v_lshl_add_u32 v39, v39, 23, 0x3c000000
	v_and_b32_e32 v24, 0x80000000, v24
	v_or3_b32 v6, v55, v24, v39
	buffer_store_dword v6, off, s[0:3], s32 offset:268 ; 4-byte Folded Spill
.LBB331_735:                            ;   in Loop: Header=BB331_12 Depth=1
	s_or_b32 exec_lo, exec_lo, s23
.LBB331_736:                            ;   in Loop: Header=BB331_12 Depth=1
	s_or_b32 exec_lo, exec_lo, s22
.LBB331_737:                            ;   in Loop: Header=BB331_12 Depth=1
	s_or_b32 exec_lo, exec_lo, s8
	v_mov_b32_e32 v6, 0xff
	s_mov_b32 s8, exec_lo
	v_and_b32_sdwa v24, v23, v6 dst_sel:DWORD dst_unused:UNUSED_PAD src0_sel:WORD_1 src1_sel:DWORD
	v_mov_b32_e32 v6, 0
	buffer_store_dword v6, off, s[0:3], s32 offset:272 ; 4-byte Folded Spill
	v_mov_b32_e32 v6, 0
	buffer_store_dword v6, off, s[0:3], s32 offset:364 ; 4-byte Folded Spill
	v_cmpx_ne_u16_e32 0, v24
	s_cbranch_execz .LBB331_745
; %bb.738:                              ;   in Loop: Header=BB331_12 Depth=1
	v_bfrev_b32_e32 v6, 1
	s_mov_b32 s22, exec_lo
	v_cmpx_ne_u16_e32 0x80, v24
	s_cbranch_execz .LBB331_744
; %bb.739:                              ;   in Loop: Header=BB331_12 Depth=1
	v_bfe_u32 v55, v23, 16, 7
	v_mov_b32_e32 v6, 0x7f800001
	s_mov_b32 s23, exec_lo
	v_cmpx_ne_u32_e32 0x7f, v55
	s_cbranch_execz .LBB331_743
; %bb.740:                              ;   in Loop: Header=BB331_12 Depth=1
	v_mov_b32_e32 v6, 7
	v_lshrrev_b32_e32 v39, 3, v55
	s_mov_b32 s24, exec_lo
	v_and_b32_sdwa v24, v23, v6 dst_sel:DWORD dst_unused:UNUSED_PAD src0_sel:WORD_1 src1_sel:DWORD
	v_mov_b32_e32 v69, v25
	v_mov_b32_e32 v68, v24
	v_cmpx_gt_u32_e32 8, v55
; %bb.741:                              ;   in Loop: Header=BB331_12 Depth=1
	v_ffbh_u32_e32 v39, v24
	v_min_u32_e32 v39, 32, v39
	v_subrev_nc_u32_e32 v55, 28, v39
	v_sub_nc_u32_e32 v39, 29, v39
	v_lshlrev_b64 v[68:69], v55, v[24:25]
	v_and_b32_e32 v68, 7, v68
; %bb.742:                              ;   in Loop: Header=BB331_12 Depth=1
	s_or_b32 exec_lo, exec_lo, s24
	v_mov_b32_e32 v6, 24
	v_lshlrev_b32_e32 v55, 20, v68
	v_lshl_add_u32 v39, v39, 23, 0x3c000000
	v_lshlrev_b32_sdwa v24, v6, v23 dst_sel:DWORD dst_unused:UNUSED_PAD src0_sel:DWORD src1_sel:WORD_1
	v_and_b32_e32 v24, 0x80000000, v24
	v_or3_b32 v6, v55, v24, v39
.LBB331_743:                            ;   in Loop: Header=BB331_12 Depth=1
	s_or_b32 exec_lo, exec_lo, s23
.LBB331_744:                            ;   in Loop: Header=BB331_12 Depth=1
	s_or_b32 exec_lo, exec_lo, s22
	buffer_store_dword v6, off, s[0:3], s32 offset:364 ; 4-byte Folded Spill
.LBB331_745:                            ;   in Loop: Header=BB331_12 Depth=1
	s_or_b32 exec_lo, exec_lo, s8
	s_mov_b32 s8, exec_lo
	v_cmpx_lt_u32_e32 0xffffff, v23
	s_cbranch_execz .LBB331_753
; %bb.746:                              ;   in Loop: Header=BB331_12 Depth=1
	v_cmp_ne_u32_sdwa s7, v23, v115 src0_sel:BYTE_3 src1_sel:DWORD
	v_bfrev_b32_e32 v6, 1
	buffer_store_dword v6, off, s[0:3], s32 offset:272 ; 4-byte Folded Spill
	s_and_saveexec_b32 s22, s7
	s_cbranch_execz .LBB331_752
; %bb.747:                              ;   in Loop: Header=BB331_12 Depth=1
	v_bfe_u32 v55, v23, 24, 7
	v_mov_b32_e32 v6, 0x7f800001
	s_mov_b32 s23, exec_lo
	buffer_store_dword v6, off, s[0:3], s32 offset:272 ; 4-byte Folded Spill
	v_cmpx_ne_u32_e32 0x7f, v55
	s_cbranch_execz .LBB331_751
; %bb.748:                              ;   in Loop: Header=BB331_12 Depth=1
	v_mov_b32_e32 v6, 7
	v_lshrrev_b32_e32 v39, 3, v55
	s_mov_b32 s24, exec_lo
	v_and_b32_sdwa v24, v23, v6 dst_sel:DWORD dst_unused:UNUSED_PAD src0_sel:BYTE_3 src1_sel:DWORD
	v_mov_b32_e32 v69, v25
	v_mov_b32_e32 v68, v24
	v_cmpx_gt_u32_e32 8, v55
; %bb.749:                              ;   in Loop: Header=BB331_12 Depth=1
	v_ffbh_u32_e32 v39, v24
	v_min_u32_e32 v39, 32, v39
	v_subrev_nc_u32_e32 v55, 28, v39
	v_sub_nc_u32_e32 v39, 29, v39
	v_lshlrev_b64 v[68:69], v55, v[24:25]
	v_and_b32_e32 v68, 7, v68
; %bb.750:                              ;   in Loop: Header=BB331_12 Depth=1
	s_or_b32 exec_lo, exec_lo, s24
	v_mov_b32_e32 v6, 24
	v_lshlrev_b32_e32 v24, 20, v68
	v_lshl_add_u32 v39, v39, 23, 0x3c000000
	v_lshlrev_b32_sdwa v23, v6, v23 dst_sel:DWORD dst_unused:UNUSED_PAD src0_sel:DWORD src1_sel:BYTE_3
	v_and_b32_e32 v23, 0x80000000, v23
	v_or3_b32 v6, v24, v23, v39
	buffer_store_dword v6, off, s[0:3], s32 offset:272 ; 4-byte Folded Spill
.LBB331_751:                            ;   in Loop: Header=BB331_12 Depth=1
	s_or_b32 exec_lo, exec_lo, s23
.LBB331_752:                            ;   in Loop: Header=BB331_12 Depth=1
	s_or_b32 exec_lo, exec_lo, s22
.LBB331_753:                            ;   in Loop: Header=BB331_12 Depth=1
	s_or_b32 exec_lo, exec_lo, s8
	buffer_load_dword v6, off, s[0:3], s32 offset:196 ; 4-byte Folded Reload
	s_waitcnt vmcnt(0)
	v_add_co_u32 v23, s7, v16, v6
	v_add_co_ci_u32_e64 v24, null, 0, v18, s7
	v_mov_b32_e32 v6, 0
	flat_load_dword v16, v[23:24]
	buffer_store_dword v6, off, s[0:3], s32 offset:280 ; 4-byte Folded Spill
	v_mov_b32_e32 v6, 0
	buffer_store_dword v6, off, s[0:3], s32 offset:276 ; 4-byte Folded Spill
	s_waitcnt vmcnt(0) lgkmcnt(0)
	v_cmp_ne_u16_sdwa s7, v16, v25 src0_sel:BYTE_0 src1_sel:DWORD
	s_and_saveexec_b32 s8, s7
	s_cbranch_execz .LBB331_761
; %bb.754:                              ;   in Loop: Header=BB331_12 Depth=1
	v_cmp_ne_u16_sdwa s7, v16, v115 src0_sel:BYTE_0 src1_sel:DWORD
	v_bfrev_b32_e32 v6, 1
	buffer_store_dword v6, off, s[0:3], s32 offset:276 ; 4-byte Folded Spill
	s_and_saveexec_b32 s22, s7
	s_cbranch_execz .LBB331_760
; %bb.755:                              ;   in Loop: Header=BB331_12 Depth=1
	v_and_b32_e32 v23, 0x7f, v16
	v_mov_b32_e32 v6, 0x7f800001
	s_mov_b32 s23, exec_lo
	buffer_store_dword v6, off, s[0:3], s32 offset:276 ; 4-byte Folded Spill
	v_cmpx_ne_u32_e32 0x7f, v23
	s_cbranch_execz .LBB331_759
; %bb.756:                              ;   in Loop: Header=BB331_12 Depth=1
	v_and_b32_e32 v24, 7, v16
	v_mov_b32_e32 v69, v25
	v_lshrrev_b32_e32 v18, 3, v23
	s_mov_b32 s24, exec_lo
	v_mov_b32_e32 v68, v24
	v_cmpx_gt_u32_e32 8, v23
; %bb.757:                              ;   in Loop: Header=BB331_12 Depth=1
	v_ffbh_u32_e32 v18, v24
	v_min_u32_e32 v18, 32, v18
	v_subrev_nc_u32_e32 v23, 28, v18
	v_sub_nc_u32_e32 v18, 29, v18
	v_lshlrev_b64 v[23:24], v23, v[24:25]
	v_and_b32_e32 v68, 7, v23
; %bb.758:                              ;   in Loop: Header=BB331_12 Depth=1
	s_or_b32 exec_lo, exec_lo, s24
	v_lshlrev_b32_e32 v23, 24, v16
	v_lshlrev_b32_e32 v24, 20, v68
	v_lshl_add_u32 v18, v18, 23, 0x3c000000
	v_and_b32_e32 v23, 0x80000000, v23
	v_or3_b32 v6, v24, v23, v18
	buffer_store_dword v6, off, s[0:3], s32 offset:276 ; 4-byte Folded Spill
.LBB331_759:                            ;   in Loop: Header=BB331_12 Depth=1
	s_or_b32 exec_lo, exec_lo, s23
.LBB331_760:                            ;   in Loop: Header=BB331_12 Depth=1
	s_or_b32 exec_lo, exec_lo, s22
.LBB331_761:                            ;   in Loop: Header=BB331_12 Depth=1
	s_or_b32 exec_lo, exec_lo, s8
	v_cmp_ne_u16_sdwa s7, v16, v25 src0_sel:BYTE_1 src1_sel:DWORD
	s_and_saveexec_b32 s8, s7
	s_cbranch_execz .LBB331_769
; %bb.762:                              ;   in Loop: Header=BB331_12 Depth=1
	v_cmp_ne_u16_sdwa s7, v16, v115 src0_sel:BYTE_1 src1_sel:DWORD
	v_bfrev_b32_e32 v6, 1
	buffer_store_dword v6, off, s[0:3], s32 offset:280 ; 4-byte Folded Spill
	s_and_saveexec_b32 s22, s7
	s_cbranch_execz .LBB331_768
; %bb.763:                              ;   in Loop: Header=BB331_12 Depth=1
	v_mov_b32_e32 v6, 0xffff
	s_mov_b32 s23, exec_lo
	v_and_b32_sdwa v18, v6, v16 dst_sel:DWORD dst_unused:UNUSED_PAD src0_sel:DWORD src1_sel:BYTE_1
	v_mov_b32_e32 v6, 0x7f800001
	v_and_b32_e32 v23, 0x7f, v18
	buffer_store_dword v6, off, s[0:3], s32 offset:280 ; 4-byte Folded Spill
	v_cmpx_ne_u32_e32 0x7f, v23
	s_cbranch_execz .LBB331_767
; %bb.764:                              ;   in Loop: Header=BB331_12 Depth=1
	v_and_b32_e32 v24, 7, v18
	v_mov_b32_e32 v69, v25
	v_lshrrev_b32_e32 v18, 3, v23
	s_mov_b32 s24, exec_lo
	v_mov_b32_e32 v68, v24
	v_cmpx_gt_u32_e32 8, v23
; %bb.765:                              ;   in Loop: Header=BB331_12 Depth=1
	v_ffbh_u32_e32 v18, v24
	v_min_u32_e32 v18, 32, v18
	v_subrev_nc_u32_e32 v23, 28, v18
	v_sub_nc_u32_e32 v18, 29, v18
	v_lshlrev_b64 v[23:24], v23, v[24:25]
	v_and_b32_e32 v68, 7, v23
; %bb.766:                              ;   in Loop: Header=BB331_12 Depth=1
	s_or_b32 exec_lo, exec_lo, s24
	v_lshlrev_b32_e32 v23, 16, v16
	v_lshlrev_b32_e32 v24, 20, v68
	v_lshl_add_u32 v18, v18, 23, 0x3c000000
	v_and_b32_e32 v23, 0x80000000, v23
	v_or3_b32 v6, v24, v23, v18
	buffer_store_dword v6, off, s[0:3], s32 offset:280 ; 4-byte Folded Spill
.LBB331_767:                            ;   in Loop: Header=BB331_12 Depth=1
	s_or_b32 exec_lo, exec_lo, s23
.LBB331_768:                            ;   in Loop: Header=BB331_12 Depth=1
	s_or_b32 exec_lo, exec_lo, s22
.LBB331_769:                            ;   in Loop: Header=BB331_12 Depth=1
	s_or_b32 exec_lo, exec_lo, s8
	v_mov_b32_e32 v6, 0xff
	s_mov_b32 s8, exec_lo
	v_and_b32_sdwa v18, v16, v6 dst_sel:DWORD dst_unused:UNUSED_PAD src0_sel:WORD_1 src1_sel:DWORD
	v_mov_b32_e32 v6, 0
	buffer_store_dword v6, off, s[0:3], s32 offset:284 ; 4-byte Folded Spill
	v_mov_b32_e32 v6, 0
	buffer_store_dword v6, off, s[0:3], s32 offset:368 ; 4-byte Folded Spill
	v_cmpx_ne_u16_e32 0, v18
	s_cbranch_execz .LBB331_777
; %bb.770:                              ;   in Loop: Header=BB331_12 Depth=1
	v_bfrev_b32_e32 v6, 1
	s_mov_b32 s22, exec_lo
	v_cmpx_ne_u16_e32 0x80, v18
	s_cbranch_execz .LBB331_776
; %bb.771:                              ;   in Loop: Header=BB331_12 Depth=1
	v_bfe_u32 v23, v16, 16, 7
	v_mov_b32_e32 v6, 0x7f800001
	s_mov_b32 s23, exec_lo
	v_cmpx_ne_u32_e32 0x7f, v23
	s_cbranch_execz .LBB331_775
; %bb.772:                              ;   in Loop: Header=BB331_12 Depth=1
	v_mov_b32_e32 v6, 7
	v_lshrrev_b32_e32 v18, 3, v23
	s_mov_b32 s24, exec_lo
	v_and_b32_sdwa v24, v16, v6 dst_sel:DWORD dst_unused:UNUSED_PAD src0_sel:WORD_1 src1_sel:DWORD
	v_mov_b32_e32 v69, v25
	v_mov_b32_e32 v68, v24
	v_cmpx_gt_u32_e32 8, v23
; %bb.773:                              ;   in Loop: Header=BB331_12 Depth=1
	v_ffbh_u32_e32 v18, v24
	v_min_u32_e32 v18, 32, v18
	v_subrev_nc_u32_e32 v23, 28, v18
	v_sub_nc_u32_e32 v18, 29, v18
	v_lshlrev_b64 v[23:24], v23, v[24:25]
	v_and_b32_e32 v68, 7, v23
; %bb.774:                              ;   in Loop: Header=BB331_12 Depth=1
	s_or_b32 exec_lo, exec_lo, s24
	v_mov_b32_e32 v6, 24
	v_lshlrev_b32_e32 v24, 20, v68
	v_lshl_add_u32 v18, v18, 23, 0x3c000000
	v_lshlrev_b32_sdwa v23, v6, v16 dst_sel:DWORD dst_unused:UNUSED_PAD src0_sel:DWORD src1_sel:WORD_1
	v_and_b32_e32 v23, 0x80000000, v23
	v_or3_b32 v6, v24, v23, v18
.LBB331_775:                            ;   in Loop: Header=BB331_12 Depth=1
	s_or_b32 exec_lo, exec_lo, s23
.LBB331_776:                            ;   in Loop: Header=BB331_12 Depth=1
	s_or_b32 exec_lo, exec_lo, s22
	buffer_store_dword v6, off, s[0:3], s32 offset:368 ; 4-byte Folded Spill
.LBB331_777:                            ;   in Loop: Header=BB331_12 Depth=1
	s_or_b32 exec_lo, exec_lo, s8
	s_mov_b32 s8, exec_lo
	v_cmpx_lt_u32_e32 0xffffff, v16
	s_cbranch_execz .LBB331_785
; %bb.778:                              ;   in Loop: Header=BB331_12 Depth=1
	v_cmp_ne_u32_sdwa s7, v16, v115 src0_sel:BYTE_3 src1_sel:DWORD
	v_bfrev_b32_e32 v6, 1
	buffer_store_dword v6, off, s[0:3], s32 offset:284 ; 4-byte Folded Spill
	s_and_saveexec_b32 s22, s7
	s_cbranch_execz .LBB331_784
; %bb.779:                              ;   in Loop: Header=BB331_12 Depth=1
	v_bfe_u32 v23, v16, 24, 7
	v_mov_b32_e32 v6, 0x7f800001
	s_mov_b32 s23, exec_lo
	buffer_store_dword v6, off, s[0:3], s32 offset:284 ; 4-byte Folded Spill
	v_cmpx_ne_u32_e32 0x7f, v23
	s_cbranch_execz .LBB331_783
; %bb.780:                              ;   in Loop: Header=BB331_12 Depth=1
	v_mov_b32_e32 v6, 7
	v_lshrrev_b32_e32 v18, 3, v23
	s_mov_b32 s24, exec_lo
	v_and_b32_sdwa v24, v16, v6 dst_sel:DWORD dst_unused:UNUSED_PAD src0_sel:BYTE_3 src1_sel:DWORD
	v_mov_b32_e32 v69, v25
	v_mov_b32_e32 v68, v24
	v_cmpx_gt_u32_e32 8, v23
; %bb.781:                              ;   in Loop: Header=BB331_12 Depth=1
	v_ffbh_u32_e32 v18, v24
	v_min_u32_e32 v18, 32, v18
	v_subrev_nc_u32_e32 v23, 28, v18
	v_sub_nc_u32_e32 v18, 29, v18
	v_lshlrev_b64 v[23:24], v23, v[24:25]
	v_and_b32_e32 v68, 7, v23
; %bb.782:                              ;   in Loop: Header=BB331_12 Depth=1
	s_or_b32 exec_lo, exec_lo, s24
	v_mov_b32_e32 v6, 24
	v_lshlrev_b32_e32 v23, 20, v68
	v_lshl_add_u32 v18, v18, 23, 0x3c000000
	v_lshlrev_b32_sdwa v16, v6, v16 dst_sel:DWORD dst_unused:UNUSED_PAD src0_sel:DWORD src1_sel:BYTE_3
	v_and_b32_e32 v16, 0x80000000, v16
	v_or3_b32 v6, v23, v16, v18
	buffer_store_dword v6, off, s[0:3], s32 offset:284 ; 4-byte Folded Spill
.LBB331_783:                            ;   in Loop: Header=BB331_12 Depth=1
	s_or_b32 exec_lo, exec_lo, s23
.LBB331_784:                            ;   in Loop: Header=BB331_12 Depth=1
	s_or_b32 exec_lo, exec_lo, s22
.LBB331_785:                            ;   in Loop: Header=BB331_12 Depth=1
	s_or_b32 exec_lo, exec_lo, s8
	buffer_load_dword v6, off, s[0:3], s32 offset:192 ; 4-byte Folded Reload
	v_add_co_u32 v16, s7, 0xc00, v66
	v_add_co_ci_u32_e64 v18, null, 0, v67, s7
	s_waitcnt vmcnt(0)
	v_add_co_u32 v23, s7, v16, v6
	v_add_co_ci_u32_e64 v24, null, 0, v18, s7
	v_mov_b32_e32 v6, 0
	flat_load_dword v23, v[23:24]
	buffer_store_dword v6, off, s[0:3], s32 offset:292 ; 4-byte Folded Spill
	v_mov_b32_e32 v6, 0
	buffer_store_dword v6, off, s[0:3], s32 offset:288 ; 4-byte Folded Spill
	s_waitcnt vmcnt(0) lgkmcnt(0)
	v_cmp_ne_u16_sdwa s7, v23, v25 src0_sel:BYTE_0 src1_sel:DWORD
	s_and_saveexec_b32 s8, s7
	s_cbranch_execz .LBB331_793
; %bb.786:                              ;   in Loop: Header=BB331_12 Depth=1
	v_cmp_ne_u16_sdwa s7, v23, v115 src0_sel:BYTE_0 src1_sel:DWORD
	v_bfrev_b32_e32 v6, 1
	buffer_store_dword v6, off, s[0:3], s32 offset:288 ; 4-byte Folded Spill
	s_and_saveexec_b32 s22, s7
	s_cbranch_execz .LBB331_792
; %bb.787:                              ;   in Loop: Header=BB331_12 Depth=1
	v_and_b32_e32 v80, 0x7f, v23
	v_mov_b32_e32 v6, 0x7f800001
	s_mov_b32 s23, exec_lo
	buffer_store_dword v6, off, s[0:3], s32 offset:288 ; 4-byte Folded Spill
	v_cmpx_ne_u32_e32 0x7f, v80
	s_cbranch_execz .LBB331_791
; %bb.788:                              ;   in Loop: Header=BB331_12 Depth=1
	v_and_b32_e32 v24, 7, v23
	v_mov_b32_e32 v69, v25
	v_lshrrev_b32_e32 v39, 3, v80
	s_mov_b32 s24, exec_lo
	v_mov_b32_e32 v68, v24
	v_cmpx_gt_u32_e32 8, v80
; %bb.789:                              ;   in Loop: Header=BB331_12 Depth=1
	v_ffbh_u32_e32 v39, v24
	v_min_u32_e32 v39, 32, v39
	v_subrev_nc_u32_e32 v55, 28, v39
	v_sub_nc_u32_e32 v39, 29, v39
	v_lshlrev_b64 v[68:69], v55, v[24:25]
	v_and_b32_e32 v68, 7, v68
; %bb.790:                              ;   in Loop: Header=BB331_12 Depth=1
	s_or_b32 exec_lo, exec_lo, s24
	v_lshlrev_b32_e32 v24, 24, v23
	v_lshlrev_b32_e32 v55, 20, v68
	v_lshl_add_u32 v39, v39, 23, 0x3c000000
	v_and_b32_e32 v24, 0x80000000, v24
	v_or3_b32 v6, v55, v24, v39
	buffer_store_dword v6, off, s[0:3], s32 offset:288 ; 4-byte Folded Spill
.LBB331_791:                            ;   in Loop: Header=BB331_12 Depth=1
	s_or_b32 exec_lo, exec_lo, s23
.LBB331_792:                            ;   in Loop: Header=BB331_12 Depth=1
	s_or_b32 exec_lo, exec_lo, s22
.LBB331_793:                            ;   in Loop: Header=BB331_12 Depth=1
	s_or_b32 exec_lo, exec_lo, s8
	v_cmp_ne_u16_sdwa s7, v23, v25 src0_sel:BYTE_1 src1_sel:DWORD
	s_and_saveexec_b32 s8, s7
	s_cbranch_execz .LBB331_801
; %bb.794:                              ;   in Loop: Header=BB331_12 Depth=1
	v_cmp_ne_u16_sdwa s7, v23, v115 src0_sel:BYTE_1 src1_sel:DWORD
	v_bfrev_b32_e32 v6, 1
	buffer_store_dword v6, off, s[0:3], s32 offset:292 ; 4-byte Folded Spill
	s_and_saveexec_b32 s22, s7
	s_cbranch_execz .LBB331_800
; %bb.795:                              ;   in Loop: Header=BB331_12 Depth=1
	v_mov_b32_e32 v6, 0xffff
	s_mov_b32 s23, exec_lo
	v_and_b32_sdwa v24, v6, v23 dst_sel:DWORD dst_unused:UNUSED_PAD src0_sel:DWORD src1_sel:BYTE_1
	v_mov_b32_e32 v6, 0x7f800001
	v_and_b32_e32 v80, 0x7f, v24
	buffer_store_dword v6, off, s[0:3], s32 offset:292 ; 4-byte Folded Spill
	v_cmpx_ne_u32_e32 0x7f, v80
	s_cbranch_execz .LBB331_799
; %bb.796:                              ;   in Loop: Header=BB331_12 Depth=1
	v_and_b32_e32 v24, 7, v24
	v_mov_b32_e32 v69, v25
	v_lshrrev_b32_e32 v39, 3, v80
	s_mov_b32 s24, exec_lo
	v_mov_b32_e32 v68, v24
	v_cmpx_gt_u32_e32 8, v80
; %bb.797:                              ;   in Loop: Header=BB331_12 Depth=1
	v_ffbh_u32_e32 v39, v24
	v_min_u32_e32 v39, 32, v39
	v_subrev_nc_u32_e32 v68, 28, v39
	v_sub_nc_u32_e32 v39, 29, v39
	v_lshlrev_b64 v[68:69], v68, v[24:25]
	v_and_b32_e32 v68, 7, v68
; %bb.798:                              ;   in Loop: Header=BB331_12 Depth=1
	s_or_b32 exec_lo, exec_lo, s24
	v_lshlrev_b32_e32 v24, 16, v23
	v_lshlrev_b32_e32 v68, 20, v68
	v_lshl_add_u32 v39, v39, 23, 0x3c000000
	v_and_b32_e32 v24, 0x80000000, v24
	v_or3_b32 v6, v68, v24, v39
	buffer_store_dword v6, off, s[0:3], s32 offset:292 ; 4-byte Folded Spill
.LBB331_799:                            ;   in Loop: Header=BB331_12 Depth=1
	s_or_b32 exec_lo, exec_lo, s23
.LBB331_800:                            ;   in Loop: Header=BB331_12 Depth=1
	s_or_b32 exec_lo, exec_lo, s22
.LBB331_801:                            ;   in Loop: Header=BB331_12 Depth=1
	s_or_b32 exec_lo, exec_lo, s8
	v_mov_b32_e32 v6, 0xff
	s_mov_b32 s8, exec_lo
	v_and_b32_sdwa v24, v23, v6 dst_sel:DWORD dst_unused:UNUSED_PAD src0_sel:WORD_1 src1_sel:DWORD
	v_mov_b32_e32 v6, 0
	buffer_store_dword v6, off, s[0:3], s32 offset:296 ; 4-byte Folded Spill
	v_mov_b32_e32 v6, 0
	buffer_store_dword v6, off, s[0:3], s32 offset:372 ; 4-byte Folded Spill
	v_cmpx_ne_u16_e32 0, v24
	s_cbranch_execz .LBB331_809
; %bb.802:                              ;   in Loop: Header=BB331_12 Depth=1
	v_bfrev_b32_e32 v6, 1
	s_mov_b32 s22, exec_lo
	v_cmpx_ne_u16_e32 0x80, v24
	s_cbranch_execz .LBB331_808
; %bb.803:                              ;   in Loop: Header=BB331_12 Depth=1
	v_bfe_u32 v80, v23, 16, 7
	v_mov_b32_e32 v6, 0x7f800001
	s_mov_b32 s23, exec_lo
	v_cmpx_ne_u32_e32 0x7f, v80
	s_cbranch_execz .LBB331_807
; %bb.804:                              ;   in Loop: Header=BB331_12 Depth=1
	v_mov_b32_e32 v6, 7
	v_lshrrev_b32_e32 v39, 3, v80
	s_mov_b32 s24, exec_lo
	v_and_b32_sdwa v24, v23, v6 dst_sel:DWORD dst_unused:UNUSED_PAD src0_sel:WORD_1 src1_sel:DWORD
	v_mov_b32_e32 v69, v25
	v_mov_b32_e32 v68, v24
	v_cmpx_gt_u32_e32 8, v80
; %bb.805:                              ;   in Loop: Header=BB331_12 Depth=1
	v_ffbh_u32_e32 v39, v24
	v_min_u32_e32 v39, 32, v39
	v_subrev_nc_u32_e32 v68, 28, v39
	v_sub_nc_u32_e32 v39, 29, v39
	v_lshlrev_b64 v[68:69], v68, v[24:25]
	v_and_b32_e32 v68, 7, v68
; %bb.806:                              ;   in Loop: Header=BB331_12 Depth=1
	s_or_b32 exec_lo, exec_lo, s24
	v_mov_b32_e32 v6, 24
	v_lshlrev_b32_e32 v68, 20, v68
	v_lshl_add_u32 v39, v39, 23, 0x3c000000
	v_lshlrev_b32_sdwa v24, v6, v23 dst_sel:DWORD dst_unused:UNUSED_PAD src0_sel:DWORD src1_sel:WORD_1
	v_and_b32_e32 v24, 0x80000000, v24
	v_or3_b32 v6, v68, v24, v39
.LBB331_807:                            ;   in Loop: Header=BB331_12 Depth=1
	s_or_b32 exec_lo, exec_lo, s23
.LBB331_808:                            ;   in Loop: Header=BB331_12 Depth=1
	s_or_b32 exec_lo, exec_lo, s22
	buffer_store_dword v6, off, s[0:3], s32 offset:372 ; 4-byte Folded Spill
.LBB331_809:                            ;   in Loop: Header=BB331_12 Depth=1
	s_or_b32 exec_lo, exec_lo, s8
	s_mov_b32 s8, exec_lo
	v_cmpx_lt_u32_e32 0xffffff, v23
	s_cbranch_execz .LBB331_817
; %bb.810:                              ;   in Loop: Header=BB331_12 Depth=1
	v_cmp_ne_u32_sdwa s7, v23, v115 src0_sel:BYTE_3 src1_sel:DWORD
	v_bfrev_b32_e32 v6, 1
	buffer_store_dword v6, off, s[0:3], s32 offset:296 ; 4-byte Folded Spill
	s_and_saveexec_b32 s22, s7
	s_cbranch_execz .LBB331_816
; %bb.811:                              ;   in Loop: Header=BB331_12 Depth=1
	v_bfe_u32 v80, v23, 24, 7
	v_mov_b32_e32 v6, 0x7f800001
	s_mov_b32 s23, exec_lo
	buffer_store_dword v6, off, s[0:3], s32 offset:296 ; 4-byte Folded Spill
	v_cmpx_ne_u32_e32 0x7f, v80
	s_cbranch_execz .LBB331_815
; %bb.812:                              ;   in Loop: Header=BB331_12 Depth=1
	v_mov_b32_e32 v6, 7
	v_lshrrev_b32_e32 v39, 3, v80
	s_mov_b32 s24, exec_lo
	v_and_b32_sdwa v24, v23, v6 dst_sel:DWORD dst_unused:UNUSED_PAD src0_sel:BYTE_3 src1_sel:DWORD
	v_mov_b32_e32 v69, v25
	v_mov_b32_e32 v68, v24
	v_cmpx_gt_u32_e32 8, v80
; %bb.813:                              ;   in Loop: Header=BB331_12 Depth=1
	v_ffbh_u32_e32 v39, v24
	v_min_u32_e32 v39, 32, v39
	v_subrev_nc_u32_e32 v68, 28, v39
	v_sub_nc_u32_e32 v39, 29, v39
	v_lshlrev_b64 v[68:69], v68, v[24:25]
	v_and_b32_e32 v68, 7, v68
; %bb.814:                              ;   in Loop: Header=BB331_12 Depth=1
	s_or_b32 exec_lo, exec_lo, s24
	v_mov_b32_e32 v6, 24
	v_lshlrev_b32_e32 v24, 20, v68
	v_lshl_add_u32 v39, v39, 23, 0x3c000000
	v_lshlrev_b32_sdwa v23, v6, v23 dst_sel:DWORD dst_unused:UNUSED_PAD src0_sel:DWORD src1_sel:BYTE_3
	v_and_b32_e32 v23, 0x80000000, v23
	v_or3_b32 v6, v24, v23, v39
	buffer_store_dword v6, off, s[0:3], s32 offset:296 ; 4-byte Folded Spill
.LBB331_815:                            ;   in Loop: Header=BB331_12 Depth=1
	s_or_b32 exec_lo, exec_lo, s23
.LBB331_816:                            ;   in Loop: Header=BB331_12 Depth=1
	s_or_b32 exec_lo, exec_lo, s22
.LBB331_817:                            ;   in Loop: Header=BB331_12 Depth=1
	s_or_b32 exec_lo, exec_lo, s8
	buffer_load_dword v6, off, s[0:3], s32 offset:196 ; 4-byte Folded Reload
	s_waitcnt vmcnt(0)
	v_add_co_u32 v23, s7, v16, v6
	v_add_co_ci_u32_e64 v24, null, 0, v18, s7
	v_mov_b32_e32 v6, 0
	flat_load_dword v16, v[23:24]
	buffer_store_dword v6, off, s[0:3], s32 offset:304 ; 4-byte Folded Spill
	v_mov_b32_e32 v6, 0
	buffer_store_dword v6, off, s[0:3], s32 offset:300 ; 4-byte Folded Spill
	s_waitcnt vmcnt(0) lgkmcnt(0)
	v_cmp_ne_u16_sdwa s7, v16, v25 src0_sel:BYTE_0 src1_sel:DWORD
	s_and_saveexec_b32 s8, s7
	s_cbranch_execz .LBB331_825
; %bb.818:                              ;   in Loop: Header=BB331_12 Depth=1
	v_cmp_ne_u16_sdwa s7, v16, v115 src0_sel:BYTE_0 src1_sel:DWORD
	v_bfrev_b32_e32 v6, 1
	buffer_store_dword v6, off, s[0:3], s32 offset:300 ; 4-byte Folded Spill
	s_and_saveexec_b32 s22, s7
	s_cbranch_execz .LBB331_824
; %bb.819:                              ;   in Loop: Header=BB331_12 Depth=1
	v_and_b32_e32 v23, 0x7f, v16
	v_mov_b32_e32 v6, 0x7f800001
	s_mov_b32 s23, exec_lo
	buffer_store_dword v6, off, s[0:3], s32 offset:300 ; 4-byte Folded Spill
	v_cmpx_ne_u32_e32 0x7f, v23
	s_cbranch_execz .LBB331_823
; %bb.820:                              ;   in Loop: Header=BB331_12 Depth=1
	v_and_b32_e32 v24, 7, v16
	v_mov_b32_e32 v69, v25
	v_lshrrev_b32_e32 v18, 3, v23
	s_mov_b32 s24, exec_lo
	v_mov_b32_e32 v68, v24
	v_cmpx_gt_u32_e32 8, v23
; %bb.821:                              ;   in Loop: Header=BB331_12 Depth=1
	v_ffbh_u32_e32 v18, v24
	v_min_u32_e32 v18, 32, v18
	v_subrev_nc_u32_e32 v23, 28, v18
	v_sub_nc_u32_e32 v18, 29, v18
	v_lshlrev_b64 v[23:24], v23, v[24:25]
	v_and_b32_e32 v68, 7, v23
; %bb.822:                              ;   in Loop: Header=BB331_12 Depth=1
	s_or_b32 exec_lo, exec_lo, s24
	v_lshlrev_b32_e32 v23, 24, v16
	v_lshlrev_b32_e32 v24, 20, v68
	v_lshl_add_u32 v18, v18, 23, 0x3c000000
	v_and_b32_e32 v23, 0x80000000, v23
	v_or3_b32 v6, v24, v23, v18
	buffer_store_dword v6, off, s[0:3], s32 offset:300 ; 4-byte Folded Spill
.LBB331_823:                            ;   in Loop: Header=BB331_12 Depth=1
	s_or_b32 exec_lo, exec_lo, s23
.LBB331_824:                            ;   in Loop: Header=BB331_12 Depth=1
	s_or_b32 exec_lo, exec_lo, s22
.LBB331_825:                            ;   in Loop: Header=BB331_12 Depth=1
	s_or_b32 exec_lo, exec_lo, s8
	v_cmp_ne_u16_sdwa s7, v16, v25 src0_sel:BYTE_1 src1_sel:DWORD
	s_and_saveexec_b32 s8, s7
	s_cbranch_execz .LBB331_833
; %bb.826:                              ;   in Loop: Header=BB331_12 Depth=1
	v_cmp_ne_u16_sdwa s7, v16, v115 src0_sel:BYTE_1 src1_sel:DWORD
	v_bfrev_b32_e32 v6, 1
	buffer_store_dword v6, off, s[0:3], s32 offset:304 ; 4-byte Folded Spill
	s_and_saveexec_b32 s22, s7
	s_cbranch_execz .LBB331_832
; %bb.827:                              ;   in Loop: Header=BB331_12 Depth=1
	v_mov_b32_e32 v6, 0xffff
	s_mov_b32 s23, exec_lo
	v_and_b32_sdwa v18, v6, v16 dst_sel:DWORD dst_unused:UNUSED_PAD src0_sel:DWORD src1_sel:BYTE_1
	v_mov_b32_e32 v6, 0x7f800001
	v_and_b32_e32 v23, 0x7f, v18
	buffer_store_dword v6, off, s[0:3], s32 offset:304 ; 4-byte Folded Spill
	v_cmpx_ne_u32_e32 0x7f, v23
	s_cbranch_execz .LBB331_831
; %bb.828:                              ;   in Loop: Header=BB331_12 Depth=1
	v_and_b32_e32 v24, 7, v18
	v_mov_b32_e32 v69, v25
	v_lshrrev_b32_e32 v18, 3, v23
	s_mov_b32 s24, exec_lo
	v_mov_b32_e32 v68, v24
	v_cmpx_gt_u32_e32 8, v23
; %bb.829:                              ;   in Loop: Header=BB331_12 Depth=1
	v_ffbh_u32_e32 v18, v24
	v_min_u32_e32 v18, 32, v18
	v_subrev_nc_u32_e32 v23, 28, v18
	v_sub_nc_u32_e32 v18, 29, v18
	v_lshlrev_b64 v[23:24], v23, v[24:25]
	v_and_b32_e32 v68, 7, v23
; %bb.830:                              ;   in Loop: Header=BB331_12 Depth=1
	s_or_b32 exec_lo, exec_lo, s24
	v_lshlrev_b32_e32 v23, 16, v16
	v_lshlrev_b32_e32 v24, 20, v68
	v_lshl_add_u32 v18, v18, 23, 0x3c000000
	v_and_b32_e32 v23, 0x80000000, v23
	v_or3_b32 v6, v24, v23, v18
	buffer_store_dword v6, off, s[0:3], s32 offset:304 ; 4-byte Folded Spill
.LBB331_831:                            ;   in Loop: Header=BB331_12 Depth=1
	s_or_b32 exec_lo, exec_lo, s23
.LBB331_832:                            ;   in Loop: Header=BB331_12 Depth=1
	s_or_b32 exec_lo, exec_lo, s22
.LBB331_833:                            ;   in Loop: Header=BB331_12 Depth=1
	s_or_b32 exec_lo, exec_lo, s8
	v_mov_b32_e32 v6, 0xff
	s_mov_b32 s8, exec_lo
	v_and_b32_sdwa v18, v16, v6 dst_sel:DWORD dst_unused:UNUSED_PAD src0_sel:WORD_1 src1_sel:DWORD
	v_mov_b32_e32 v6, 0
	buffer_store_dword v6, off, s[0:3], s32 offset:308 ; 4-byte Folded Spill
	v_mov_b32_e32 v6, 0
	buffer_store_dword v6, off, s[0:3], s32 offset:376 ; 4-byte Folded Spill
	v_cmpx_ne_u16_e32 0, v18
	s_cbranch_execz .LBB331_841
; %bb.834:                              ;   in Loop: Header=BB331_12 Depth=1
	v_bfrev_b32_e32 v6, 1
	s_mov_b32 s22, exec_lo
	v_cmpx_ne_u16_e32 0x80, v18
	s_cbranch_execz .LBB331_840
; %bb.835:                              ;   in Loop: Header=BB331_12 Depth=1
	v_bfe_u32 v23, v16, 16, 7
	v_mov_b32_e32 v6, 0x7f800001
	s_mov_b32 s23, exec_lo
	v_cmpx_ne_u32_e32 0x7f, v23
	s_cbranch_execz .LBB331_839
; %bb.836:                              ;   in Loop: Header=BB331_12 Depth=1
	v_mov_b32_e32 v6, 7
	v_lshrrev_b32_e32 v18, 3, v23
	s_mov_b32 s24, exec_lo
	v_and_b32_sdwa v24, v16, v6 dst_sel:DWORD dst_unused:UNUSED_PAD src0_sel:WORD_1 src1_sel:DWORD
	v_mov_b32_e32 v69, v25
	v_mov_b32_e32 v68, v24
	v_cmpx_gt_u32_e32 8, v23
; %bb.837:                              ;   in Loop: Header=BB331_12 Depth=1
	v_ffbh_u32_e32 v18, v24
	v_min_u32_e32 v18, 32, v18
	v_subrev_nc_u32_e32 v23, 28, v18
	v_sub_nc_u32_e32 v18, 29, v18
	v_lshlrev_b64 v[23:24], v23, v[24:25]
	v_and_b32_e32 v68, 7, v23
; %bb.838:                              ;   in Loop: Header=BB331_12 Depth=1
	s_or_b32 exec_lo, exec_lo, s24
	v_mov_b32_e32 v6, 24
	v_lshlrev_b32_e32 v24, 20, v68
	v_lshl_add_u32 v18, v18, 23, 0x3c000000
	v_lshlrev_b32_sdwa v23, v6, v16 dst_sel:DWORD dst_unused:UNUSED_PAD src0_sel:DWORD src1_sel:WORD_1
	v_and_b32_e32 v23, 0x80000000, v23
	v_or3_b32 v6, v24, v23, v18
.LBB331_839:                            ;   in Loop: Header=BB331_12 Depth=1
	s_or_b32 exec_lo, exec_lo, s23
.LBB331_840:                            ;   in Loop: Header=BB331_12 Depth=1
	s_or_b32 exec_lo, exec_lo, s22
	buffer_store_dword v6, off, s[0:3], s32 offset:376 ; 4-byte Folded Spill
.LBB331_841:                            ;   in Loop: Header=BB331_12 Depth=1
	s_or_b32 exec_lo, exec_lo, s8
	s_mov_b32 s8, exec_lo
	v_cmpx_lt_u32_e32 0xffffff, v16
	s_cbranch_execz .LBB331_849
; %bb.842:                              ;   in Loop: Header=BB331_12 Depth=1
	v_cmp_ne_u32_sdwa s7, v16, v115 src0_sel:BYTE_3 src1_sel:DWORD
	v_bfrev_b32_e32 v6, 1
	buffer_store_dword v6, off, s[0:3], s32 offset:308 ; 4-byte Folded Spill
	s_and_saveexec_b32 s22, s7
	s_cbranch_execz .LBB331_848
; %bb.843:                              ;   in Loop: Header=BB331_12 Depth=1
	v_bfe_u32 v23, v16, 24, 7
	v_mov_b32_e32 v6, 0x7f800001
	s_mov_b32 s23, exec_lo
	buffer_store_dword v6, off, s[0:3], s32 offset:308 ; 4-byte Folded Spill
	v_cmpx_ne_u32_e32 0x7f, v23
	s_cbranch_execz .LBB331_847
; %bb.844:                              ;   in Loop: Header=BB331_12 Depth=1
	v_mov_b32_e32 v6, 7
	v_lshrrev_b32_e32 v18, 3, v23
	s_mov_b32 s24, exec_lo
	v_and_b32_sdwa v24, v16, v6 dst_sel:DWORD dst_unused:UNUSED_PAD src0_sel:BYTE_3 src1_sel:DWORD
	v_mov_b32_e32 v69, v25
	v_mov_b32_e32 v68, v24
	v_cmpx_gt_u32_e32 8, v23
; %bb.845:                              ;   in Loop: Header=BB331_12 Depth=1
	v_ffbh_u32_e32 v18, v24
	v_min_u32_e32 v18, 32, v18
	v_subrev_nc_u32_e32 v23, 28, v18
	v_sub_nc_u32_e32 v18, 29, v18
	v_lshlrev_b64 v[23:24], v23, v[24:25]
	v_and_b32_e32 v68, 7, v23
; %bb.846:                              ;   in Loop: Header=BB331_12 Depth=1
	s_or_b32 exec_lo, exec_lo, s24
	v_mov_b32_e32 v6, 24
	v_lshlrev_b32_e32 v23, 20, v68
	v_lshl_add_u32 v18, v18, 23, 0x3c000000
	v_lshlrev_b32_sdwa v16, v6, v16 dst_sel:DWORD dst_unused:UNUSED_PAD src0_sel:DWORD src1_sel:BYTE_3
	v_and_b32_e32 v16, 0x80000000, v16
	v_or3_b32 v6, v23, v16, v18
	buffer_store_dword v6, off, s[0:3], s32 offset:308 ; 4-byte Folded Spill
.LBB331_847:                            ;   in Loop: Header=BB331_12 Depth=1
	s_or_b32 exec_lo, exec_lo, s23
.LBB331_848:                            ;   in Loop: Header=BB331_12 Depth=1
	s_or_b32 exec_lo, exec_lo, s22
.LBB331_849:                            ;   in Loop: Header=BB331_12 Depth=1
	s_or_b32 exec_lo, exec_lo, s8
	buffer_load_dword v6, off, s[0:3], s32 offset:192 ; 4-byte Folded Reload
	v_add_co_u32 v16, s7, 0xd00, v66
	v_add_co_ci_u32_e64 v18, null, 0, v67, s7
	s_waitcnt vmcnt(0)
	v_add_co_u32 v23, s7, v16, v6
	v_add_co_ci_u32_e64 v24, null, 0, v18, s7
	v_mov_b32_e32 v6, 0
	flat_load_dword v23, v[23:24]
	buffer_store_dword v6, off, s[0:3], s32 offset:316 ; 4-byte Folded Spill
	v_mov_b32_e32 v6, 0
	buffer_store_dword v6, off, s[0:3], s32 offset:312 ; 4-byte Folded Spill
	s_waitcnt vmcnt(0) lgkmcnt(0)
	v_cmp_ne_u16_sdwa s7, v23, v25 src0_sel:BYTE_0 src1_sel:DWORD
	s_and_saveexec_b32 s8, s7
	s_cbranch_execz .LBB331_857
; %bb.850:                              ;   in Loop: Header=BB331_12 Depth=1
	v_cmp_ne_u16_sdwa s7, v23, v115 src0_sel:BYTE_0 src1_sel:DWORD
	v_bfrev_b32_e32 v6, 1
	buffer_store_dword v6, off, s[0:3], s32 offset:312 ; 4-byte Folded Spill
	s_and_saveexec_b32 s22, s7
	s_cbranch_execz .LBB331_856
; %bb.851:                              ;   in Loop: Header=BB331_12 Depth=1
	v_and_b32_e32 v84, 0x7f, v23
	v_mov_b32_e32 v6, 0x7f800001
	s_mov_b32 s23, exec_lo
	buffer_store_dword v6, off, s[0:3], s32 offset:312 ; 4-byte Folded Spill
	v_cmpx_ne_u32_e32 0x7f, v84
	s_cbranch_execz .LBB331_855
; %bb.852:                              ;   in Loop: Header=BB331_12 Depth=1
	v_and_b32_e32 v24, 7, v23
	v_mov_b32_e32 v69, v25
	v_lshrrev_b32_e32 v39, 3, v84
	s_mov_b32 s24, exec_lo
	v_mov_b32_e32 v68, v24
	v_cmpx_gt_u32_e32 8, v84
; %bb.853:                              ;   in Loop: Header=BB331_12 Depth=1
	v_ffbh_u32_e32 v39, v24
	v_min_u32_e32 v39, 32, v39
	v_subrev_nc_u32_e32 v68, 28, v39
	v_sub_nc_u32_e32 v39, 29, v39
	v_lshlrev_b64 v[68:69], v68, v[24:25]
	v_and_b32_e32 v68, 7, v68
; %bb.854:                              ;   in Loop: Header=BB331_12 Depth=1
	s_or_b32 exec_lo, exec_lo, s24
	v_lshlrev_b32_e32 v24, 24, v23
	v_lshlrev_b32_e32 v68, 20, v68
	v_lshl_add_u32 v39, v39, 23, 0x3c000000
	v_and_b32_e32 v24, 0x80000000, v24
	v_or3_b32 v6, v68, v24, v39
	buffer_store_dword v6, off, s[0:3], s32 offset:312 ; 4-byte Folded Spill
.LBB331_855:                            ;   in Loop: Header=BB331_12 Depth=1
	s_or_b32 exec_lo, exec_lo, s23
.LBB331_856:                            ;   in Loop: Header=BB331_12 Depth=1
	s_or_b32 exec_lo, exec_lo, s22
.LBB331_857:                            ;   in Loop: Header=BB331_12 Depth=1
	s_or_b32 exec_lo, exec_lo, s8
	v_cmp_ne_u16_sdwa s7, v23, v25 src0_sel:BYTE_1 src1_sel:DWORD
	s_and_saveexec_b32 s8, s7
	s_cbranch_execz .LBB331_865
; %bb.858:                              ;   in Loop: Header=BB331_12 Depth=1
	v_cmp_ne_u16_sdwa s7, v23, v115 src0_sel:BYTE_1 src1_sel:DWORD
	v_bfrev_b32_e32 v6, 1
	buffer_store_dword v6, off, s[0:3], s32 offset:316 ; 4-byte Folded Spill
	s_and_saveexec_b32 s22, s7
	s_cbranch_execz .LBB331_864
; %bb.859:                              ;   in Loop: Header=BB331_12 Depth=1
	v_mov_b32_e32 v6, 0xffff
	s_mov_b32 s23, exec_lo
	v_and_b32_sdwa v24, v6, v23 dst_sel:DWORD dst_unused:UNUSED_PAD src0_sel:DWORD src1_sel:BYTE_1
	v_mov_b32_e32 v6, 0x7f800001
	v_and_b32_e32 v84, 0x7f, v24
	buffer_store_dword v6, off, s[0:3], s32 offset:316 ; 4-byte Folded Spill
	v_cmpx_ne_u32_e32 0x7f, v84
	s_cbranch_execz .LBB331_863
; %bb.860:                              ;   in Loop: Header=BB331_12 Depth=1
	v_and_b32_e32 v24, 7, v24
	v_mov_b32_e32 v69, v25
	v_lshrrev_b32_e32 v39, 3, v84
	s_mov_b32 s24, exec_lo
	v_mov_b32_e32 v68, v24
	v_cmpx_gt_u32_e32 8, v84
; %bb.861:                              ;   in Loop: Header=BB331_12 Depth=1
	v_ffbh_u32_e32 v39, v24
	v_min_u32_e32 v39, 32, v39
	v_subrev_nc_u32_e32 v68, 28, v39
	v_sub_nc_u32_e32 v39, 29, v39
	v_lshlrev_b64 v[68:69], v68, v[24:25]
	v_and_b32_e32 v68, 7, v68
; %bb.862:                              ;   in Loop: Header=BB331_12 Depth=1
	s_or_b32 exec_lo, exec_lo, s24
	v_lshlrev_b32_e32 v24, 16, v23
	v_lshlrev_b32_e32 v68, 20, v68
	v_lshl_add_u32 v39, v39, 23, 0x3c000000
	v_and_b32_e32 v24, 0x80000000, v24
	v_or3_b32 v6, v68, v24, v39
	buffer_store_dword v6, off, s[0:3], s32 offset:316 ; 4-byte Folded Spill
.LBB331_863:                            ;   in Loop: Header=BB331_12 Depth=1
	s_or_b32 exec_lo, exec_lo, s23
.LBB331_864:                            ;   in Loop: Header=BB331_12 Depth=1
	s_or_b32 exec_lo, exec_lo, s22
.LBB331_865:                            ;   in Loop: Header=BB331_12 Depth=1
	s_or_b32 exec_lo, exec_lo, s8
	v_mov_b32_e32 v6, 0xff
	s_mov_b32 s8, exec_lo
	v_and_b32_sdwa v24, v23, v6 dst_sel:DWORD dst_unused:UNUSED_PAD src0_sel:WORD_1 src1_sel:DWORD
	v_mov_b32_e32 v6, 0
	buffer_store_dword v6, off, s[0:3], s32 offset:320 ; 4-byte Folded Spill
	v_mov_b32_e32 v6, 0
	buffer_store_dword v6, off, s[0:3], s32 offset:380 ; 4-byte Folded Spill
	v_cmpx_ne_u16_e32 0, v24
	s_cbranch_execz .LBB331_873
; %bb.866:                              ;   in Loop: Header=BB331_12 Depth=1
	v_bfrev_b32_e32 v6, 1
	s_mov_b32 s22, exec_lo
	v_cmpx_ne_u16_e32 0x80, v24
	s_cbranch_execz .LBB331_872
; %bb.867:                              ;   in Loop: Header=BB331_12 Depth=1
	v_bfe_u32 v84, v23, 16, 7
	v_mov_b32_e32 v6, 0x7f800001
	s_mov_b32 s23, exec_lo
	v_cmpx_ne_u32_e32 0x7f, v84
	s_cbranch_execz .LBB331_871
; %bb.868:                              ;   in Loop: Header=BB331_12 Depth=1
	v_mov_b32_e32 v6, 7
	s_mov_b32 s24, exec_lo
	v_and_b32_sdwa v24, v23, v6 dst_sel:DWORD dst_unused:UNUSED_PAD src0_sel:WORD_1 src1_sel:DWORD
	v_mov_b32_e32 v69, v25
	v_lshrrev_b32_e32 v69, 3, v84
	v_mov_b32_e32 v68, v24
	v_cmpx_gt_u32_e32 8, v84
; %bb.869:                              ;   in Loop: Header=BB331_12 Depth=1
	v_ffbh_u32_e32 v68, v24
	v_min_u32_e32 v84, 32, v68
	v_subrev_nc_u32_e32 v68, 28, v84
	v_lshlrev_b64 v[68:69], v68, v[24:25]
	v_sub_nc_u32_e32 v69, 29, v84
	v_and_b32_e32 v68, 7, v68
; %bb.870:                              ;   in Loop: Header=BB331_12 Depth=1
	s_or_b32 exec_lo, exec_lo, s24
	v_mov_b32_e32 v6, 24
	v_lshlrev_b32_e32 v68, 20, v68
	v_lshl_add_u32 v69, v69, 23, 0x3c000000
	v_lshlrev_b32_sdwa v24, v6, v23 dst_sel:DWORD dst_unused:UNUSED_PAD src0_sel:DWORD src1_sel:WORD_1
	v_and_b32_e32 v24, 0x80000000, v24
	v_or3_b32 v6, v68, v24, v69
.LBB331_871:                            ;   in Loop: Header=BB331_12 Depth=1
	s_or_b32 exec_lo, exec_lo, s23
.LBB331_872:                            ;   in Loop: Header=BB331_12 Depth=1
	s_or_b32 exec_lo, exec_lo, s22
	buffer_store_dword v6, off, s[0:3], s32 offset:380 ; 4-byte Folded Spill
.LBB331_873:                            ;   in Loop: Header=BB331_12 Depth=1
	s_or_b32 exec_lo, exec_lo, s8
	s_mov_b32 s8, exec_lo
	v_cmpx_lt_u32_e32 0xffffff, v23
	s_cbranch_execz .LBB331_881
; %bb.874:                              ;   in Loop: Header=BB331_12 Depth=1
	v_cmp_ne_u32_sdwa s7, v23, v115 src0_sel:BYTE_3 src1_sel:DWORD
	v_bfrev_b32_e32 v6, 1
	buffer_store_dword v6, off, s[0:3], s32 offset:320 ; 4-byte Folded Spill
	s_and_saveexec_b32 s22, s7
	s_cbranch_execz .LBB331_880
; %bb.875:                              ;   in Loop: Header=BB331_12 Depth=1
	v_bfe_u32 v84, v23, 24, 7
	v_mov_b32_e32 v6, 0x7f800001
	s_mov_b32 s23, exec_lo
	buffer_store_dword v6, off, s[0:3], s32 offset:320 ; 4-byte Folded Spill
	v_cmpx_ne_u32_e32 0x7f, v84
	s_cbranch_execz .LBB331_879
; %bb.876:                              ;   in Loop: Header=BB331_12 Depth=1
	v_mov_b32_e32 v6, 7
	v_lshrrev_b32_e32 v39, 3, v84
	s_mov_b32 s24, exec_lo
	v_and_b32_sdwa v24, v23, v6 dst_sel:DWORD dst_unused:UNUSED_PAD src0_sel:BYTE_3 src1_sel:DWORD
	v_mov_b32_e32 v69, v25
	v_mov_b32_e32 v68, v24
	v_cmpx_gt_u32_e32 8, v84
; %bb.877:                              ;   in Loop: Header=BB331_12 Depth=1
	v_ffbh_u32_e32 v39, v24
	v_min_u32_e32 v39, 32, v39
	v_subrev_nc_u32_e32 v68, 28, v39
	v_sub_nc_u32_e32 v39, 29, v39
	v_lshlrev_b64 v[68:69], v68, v[24:25]
	v_and_b32_e32 v68, 7, v68
; %bb.878:                              ;   in Loop: Header=BB331_12 Depth=1
	s_or_b32 exec_lo, exec_lo, s24
	v_mov_b32_e32 v6, 24
	v_lshlrev_b32_e32 v24, 20, v68
	v_lshl_add_u32 v39, v39, 23, 0x3c000000
	v_lshlrev_b32_sdwa v23, v6, v23 dst_sel:DWORD dst_unused:UNUSED_PAD src0_sel:DWORD src1_sel:BYTE_3
	v_and_b32_e32 v23, 0x80000000, v23
	v_or3_b32 v6, v24, v23, v39
	buffer_store_dword v6, off, s[0:3], s32 offset:320 ; 4-byte Folded Spill
.LBB331_879:                            ;   in Loop: Header=BB331_12 Depth=1
	s_or_b32 exec_lo, exec_lo, s23
.LBB331_880:                            ;   in Loop: Header=BB331_12 Depth=1
	s_or_b32 exec_lo, exec_lo, s22
.LBB331_881:                            ;   in Loop: Header=BB331_12 Depth=1
	s_or_b32 exec_lo, exec_lo, s8
	buffer_load_dword v6, off, s[0:3], s32 offset:196 ; 4-byte Folded Reload
	s_waitcnt vmcnt(0)
	v_add_co_u32 v23, s7, v16, v6
	v_add_co_ci_u32_e64 v24, null, 0, v18, s7
	v_mov_b32_e32 v6, 0
	flat_load_dword v16, v[23:24]
	buffer_store_dword v6, off, s[0:3], s32 offset:328 ; 4-byte Folded Spill
	v_mov_b32_e32 v6, 0
	buffer_store_dword v6, off, s[0:3], s32 offset:324 ; 4-byte Folded Spill
	s_waitcnt vmcnt(0) lgkmcnt(0)
	v_cmp_ne_u16_sdwa s7, v16, v25 src0_sel:BYTE_0 src1_sel:DWORD
	s_and_saveexec_b32 s8, s7
	s_cbranch_execz .LBB331_889
; %bb.882:                              ;   in Loop: Header=BB331_12 Depth=1
	v_cmp_ne_u16_sdwa s7, v16, v115 src0_sel:BYTE_0 src1_sel:DWORD
	v_bfrev_b32_e32 v6, 1
	buffer_store_dword v6, off, s[0:3], s32 offset:324 ; 4-byte Folded Spill
	s_and_saveexec_b32 s22, s7
	s_cbranch_execz .LBB331_888
; %bb.883:                              ;   in Loop: Header=BB331_12 Depth=1
	v_and_b32_e32 v23, 0x7f, v16
	v_mov_b32_e32 v6, 0x7f800001
	s_mov_b32 s23, exec_lo
	buffer_store_dword v6, off, s[0:3], s32 offset:324 ; 4-byte Folded Spill
	v_cmpx_ne_u32_e32 0x7f, v23
	s_cbranch_execz .LBB331_887
; %bb.884:                              ;   in Loop: Header=BB331_12 Depth=1
	v_and_b32_e32 v24, 7, v16
	v_mov_b32_e32 v69, v25
	v_lshrrev_b32_e32 v18, 3, v23
	s_mov_b32 s24, exec_lo
	v_mov_b32_e32 v68, v24
	v_cmpx_gt_u32_e32 8, v23
; %bb.885:                              ;   in Loop: Header=BB331_12 Depth=1
	v_ffbh_u32_e32 v18, v24
	v_min_u32_e32 v18, 32, v18
	v_subrev_nc_u32_e32 v23, 28, v18
	v_sub_nc_u32_e32 v18, 29, v18
	v_lshlrev_b64 v[23:24], v23, v[24:25]
	v_and_b32_e32 v68, 7, v23
; %bb.886:                              ;   in Loop: Header=BB331_12 Depth=1
	s_or_b32 exec_lo, exec_lo, s24
	v_lshlrev_b32_e32 v23, 24, v16
	v_lshlrev_b32_e32 v24, 20, v68
	v_lshl_add_u32 v18, v18, 23, 0x3c000000
	v_and_b32_e32 v23, 0x80000000, v23
	v_or3_b32 v6, v24, v23, v18
	buffer_store_dword v6, off, s[0:3], s32 offset:324 ; 4-byte Folded Spill
.LBB331_887:                            ;   in Loop: Header=BB331_12 Depth=1
	s_or_b32 exec_lo, exec_lo, s23
.LBB331_888:                            ;   in Loop: Header=BB331_12 Depth=1
	s_or_b32 exec_lo, exec_lo, s22
.LBB331_889:                            ;   in Loop: Header=BB331_12 Depth=1
	s_or_b32 exec_lo, exec_lo, s8
	v_cmp_ne_u16_sdwa s7, v16, v25 src0_sel:BYTE_1 src1_sel:DWORD
	s_and_saveexec_b32 s8, s7
	s_cbranch_execz .LBB331_897
; %bb.890:                              ;   in Loop: Header=BB331_12 Depth=1
	v_cmp_ne_u16_sdwa s7, v16, v115 src0_sel:BYTE_1 src1_sel:DWORD
	v_bfrev_b32_e32 v6, 1
	buffer_store_dword v6, off, s[0:3], s32 offset:328 ; 4-byte Folded Spill
	s_and_saveexec_b32 s22, s7
	s_cbranch_execz .LBB331_896
; %bb.891:                              ;   in Loop: Header=BB331_12 Depth=1
	v_mov_b32_e32 v6, 0xffff
	s_mov_b32 s23, exec_lo
	v_and_b32_sdwa v18, v6, v16 dst_sel:DWORD dst_unused:UNUSED_PAD src0_sel:DWORD src1_sel:BYTE_1
	v_mov_b32_e32 v6, 0x7f800001
	v_and_b32_e32 v23, 0x7f, v18
	buffer_store_dword v6, off, s[0:3], s32 offset:328 ; 4-byte Folded Spill
	v_cmpx_ne_u32_e32 0x7f, v23
	s_cbranch_execz .LBB331_895
; %bb.892:                              ;   in Loop: Header=BB331_12 Depth=1
	v_and_b32_e32 v24, 7, v18
	v_mov_b32_e32 v69, v25
	v_lshrrev_b32_e32 v18, 3, v23
	s_mov_b32 s24, exec_lo
	v_mov_b32_e32 v68, v24
	v_cmpx_gt_u32_e32 8, v23
; %bb.893:                              ;   in Loop: Header=BB331_12 Depth=1
	v_ffbh_u32_e32 v18, v24
	v_min_u32_e32 v18, 32, v18
	v_subrev_nc_u32_e32 v23, 28, v18
	v_sub_nc_u32_e32 v18, 29, v18
	v_lshlrev_b64 v[23:24], v23, v[24:25]
	v_and_b32_e32 v68, 7, v23
; %bb.894:                              ;   in Loop: Header=BB331_12 Depth=1
	s_or_b32 exec_lo, exec_lo, s24
	v_lshlrev_b32_e32 v23, 16, v16
	v_lshlrev_b32_e32 v24, 20, v68
	v_lshl_add_u32 v18, v18, 23, 0x3c000000
	v_and_b32_e32 v23, 0x80000000, v23
	v_or3_b32 v6, v24, v23, v18
	buffer_store_dword v6, off, s[0:3], s32 offset:328 ; 4-byte Folded Spill
.LBB331_895:                            ;   in Loop: Header=BB331_12 Depth=1
	s_or_b32 exec_lo, exec_lo, s23
.LBB331_896:                            ;   in Loop: Header=BB331_12 Depth=1
	s_or_b32 exec_lo, exec_lo, s22
.LBB331_897:                            ;   in Loop: Header=BB331_12 Depth=1
	s_or_b32 exec_lo, exec_lo, s8
	v_mov_b32_e32 v6, 0xff
	s_mov_b32 s8, exec_lo
	v_and_b32_sdwa v23, v16, v6 dst_sel:DWORD dst_unused:UNUSED_PAD src0_sel:WORD_1 src1_sel:DWORD
	v_mov_b32_e32 v6, 0
	buffer_store_dword v6, off, s[0:3], s32 offset:332 ; 4-byte Folded Spill
	v_mov_b32_e32 v6, 0
	buffer_store_dword v6, off, s[0:3], s32 offset:336 ; 4-byte Folded Spill
	v_cmpx_ne_u16_e32 0, v23
	s_cbranch_execz .LBB331_905
; %bb.898:                              ;   in Loop: Header=BB331_12 Depth=1
	v_bfrev_b32_e32 v6, 1
	s_mov_b32 s22, exec_lo
	buffer_store_dword v6, off, s[0:3], s32 offset:336 ; 4-byte Folded Spill
	v_cmpx_ne_u16_e32 0x80, v23
	s_cbranch_execz .LBB331_904
; %bb.899:                              ;   in Loop: Header=BB331_12 Depth=1
	v_bfe_u32 v23, v16, 16, 7
	v_mov_b32_e32 v6, 0x7f800001
	s_mov_b32 s23, exec_lo
	buffer_store_dword v6, off, s[0:3], s32 offset:336 ; 4-byte Folded Spill
	v_cmpx_ne_u32_e32 0x7f, v23
	s_cbranch_execz .LBB331_903
; %bb.900:                              ;   in Loop: Header=BB331_12 Depth=1
	v_mov_b32_e32 v6, 7
	v_lshrrev_b32_e32 v18, 3, v23
	s_mov_b32 s24, exec_lo
	v_and_b32_sdwa v24, v16, v6 dst_sel:DWORD dst_unused:UNUSED_PAD src0_sel:WORD_1 src1_sel:DWORD
	v_mov_b32_e32 v69, v25
	v_mov_b32_e32 v68, v24
	v_cmpx_gt_u32_e32 8, v23
; %bb.901:                              ;   in Loop: Header=BB331_12 Depth=1
	v_ffbh_u32_e32 v18, v24
	v_min_u32_e32 v18, 32, v18
	v_subrev_nc_u32_e32 v23, 28, v18
	v_sub_nc_u32_e32 v18, 29, v18
	v_lshlrev_b64 v[23:24], v23, v[24:25]
	v_and_b32_e32 v68, 7, v23
; %bb.902:                              ;   in Loop: Header=BB331_12 Depth=1
	s_or_b32 exec_lo, exec_lo, s24
	v_mov_b32_e32 v6, 24
	v_lshlrev_b32_e32 v24, 20, v68
	v_lshl_add_u32 v18, v18, 23, 0x3c000000
	v_lshlrev_b32_sdwa v23, v6, v16 dst_sel:DWORD dst_unused:UNUSED_PAD src0_sel:DWORD src1_sel:WORD_1
	v_and_b32_e32 v23, 0x80000000, v23
	v_or3_b32 v6, v24, v23, v18
	buffer_store_dword v6, off, s[0:3], s32 offset:336 ; 4-byte Folded Spill
.LBB331_903:                            ;   in Loop: Header=BB331_12 Depth=1
	s_or_b32 exec_lo, exec_lo, s23
.LBB331_904:                            ;   in Loop: Header=BB331_12 Depth=1
	s_or_b32 exec_lo, exec_lo, s22
.LBB331_905:                            ;   in Loop: Header=BB331_12 Depth=1
	s_or_b32 exec_lo, exec_lo, s8
	s_mov_b32 s8, exec_lo
	v_cmpx_lt_u32_e32 0xffffff, v16
	s_cbranch_execz .LBB331_913
; %bb.906:                              ;   in Loop: Header=BB331_12 Depth=1
	v_cmp_ne_u32_sdwa s7, v16, v115 src0_sel:BYTE_3 src1_sel:DWORD
	v_bfrev_b32_e32 v6, 1
	buffer_store_dword v6, off, s[0:3], s32 offset:332 ; 4-byte Folded Spill
	s_and_saveexec_b32 s22, s7
	s_cbranch_execz .LBB331_912
; %bb.907:                              ;   in Loop: Header=BB331_12 Depth=1
	v_bfe_u32 v84, v16, 24, 7
	v_mov_b32_e32 v6, 0x7f800001
	s_mov_b32 s23, exec_lo
	buffer_store_dword v6, off, s[0:3], s32 offset:332 ; 4-byte Folded Spill
	v_cmpx_ne_u32_e32 0x7f, v84
	s_cbranch_execz .LBB331_911
; %bb.908:                              ;   in Loop: Header=BB331_12 Depth=1
	v_mov_b32_e32 v6, 7
	v_lshrrev_b32_e32 v23, 3, v84
	s_mov_b32 s24, exec_lo
	v_and_b32_sdwa v24, v16, v6 dst_sel:DWORD dst_unused:UNUSED_PAD src0_sel:BYTE_3 src1_sel:DWORD
	v_mov_b32_e32 v69, v25
	v_mov_b32_e32 v68, v24
	v_cmpx_gt_u32_e32 8, v84
; %bb.909:                              ;   in Loop: Header=BB331_12 Depth=1
	v_ffbh_u32_e32 v23, v24
	v_min_u32_e32 v23, 32, v23
	v_subrev_nc_u32_e32 v68, 28, v23
	v_sub_nc_u32_e32 v23, 29, v23
	v_lshlrev_b64 v[68:69], v68, v[24:25]
	v_and_b32_e32 v68, 7, v68
; %bb.910:                              ;   in Loop: Header=BB331_12 Depth=1
	s_or_b32 exec_lo, exec_lo, s24
	v_mov_b32_e32 v6, 24
	v_lshlrev_b32_e32 v24, 20, v68
	v_lshl_add_u32 v23, v23, 23, 0x3c000000
	v_lshlrev_b32_sdwa v16, v6, v16 dst_sel:DWORD dst_unused:UNUSED_PAD src0_sel:DWORD src1_sel:BYTE_3
	v_and_b32_e32 v16, 0x80000000, v16
	v_or3_b32 v6, v24, v16, v23
	buffer_store_dword v6, off, s[0:3], s32 offset:332 ; 4-byte Folded Spill
.LBB331_911:                            ;   in Loop: Header=BB331_12 Depth=1
	s_or_b32 exec_lo, exec_lo, s23
.LBB331_912:                            ;   in Loop: Header=BB331_12 Depth=1
	s_or_b32 exec_lo, exec_lo, s22
.LBB331_913:                            ;   in Loop: Header=BB331_12 Depth=1
	s_or_b32 exec_lo, exec_lo, s8
	buffer_load_dword v6, off, s[0:3], s32 offset:192 ; 4-byte Folded Reload
	v_add_co_u32 v23, s7, 0xe00, v66
	v_add_co_ci_u32_e64 v84, null, 0, v67, s7
	s_waitcnt vmcnt(0)
	v_add_co_u32 v68, s7, v23, v6
	v_add_co_ci_u32_e64 v69, null, 0, v84, s7
	v_mov_b32_e32 v6, 0
	flat_load_dword v104, v[68:69]
	buffer_store_dword v6, off, s[0:3], s32 offset:344 ; 4-byte Folded Spill
	v_mov_b32_e32 v6, 0
	buffer_store_dword v6, off, s[0:3], s32 offset:340 ; 4-byte Folded Spill
	s_waitcnt vmcnt(0) lgkmcnt(0)
	v_cmp_ne_u16_sdwa s7, v104, v25 src0_sel:BYTE_0 src1_sel:DWORD
	s_and_saveexec_b32 s8, s7
	s_cbranch_execz .LBB331_921
; %bb.914:                              ;   in Loop: Header=BB331_12 Depth=1
	v_cmp_ne_u16_sdwa s7, v104, v115 src0_sel:BYTE_0 src1_sel:DWORD
	v_bfrev_b32_e32 v6, 1
	buffer_store_dword v6, off, s[0:3], s32 offset:340 ; 4-byte Folded Spill
	s_and_saveexec_b32 s22, s7
	s_cbranch_execz .LBB331_920
; %bb.915:                              ;   in Loop: Header=BB331_12 Depth=1
	v_and_b32_e32 v96, 0x7f, v104
	v_mov_b32_e32 v6, 0x7f800001
	s_mov_b32 s23, exec_lo
	buffer_store_dword v6, off, s[0:3], s32 offset:340 ; 4-byte Folded Spill
	v_cmpx_ne_u32_e32 0x7f, v96
	s_cbranch_execz .LBB331_919
; %bb.916:                              ;   in Loop: Header=BB331_12 Depth=1
	v_and_b32_e32 v24, 7, v104
	v_mov_b32_e32 v69, v25
	v_lshrrev_b32_e32 v69, 3, v96
	s_mov_b32 s24, exec_lo
	v_mov_b32_e32 v68, v24
	v_cmpx_gt_u32_e32 8, v96
; %bb.917:                              ;   in Loop: Header=BB331_12 Depth=1
	v_ffbh_u32_e32 v68, v24
	v_min_u32_e32 v96, 32, v68
	v_subrev_nc_u32_e32 v68, 28, v96
	v_lshlrev_b64 v[68:69], v68, v[24:25]
	v_sub_nc_u32_e32 v69, 29, v96
	v_and_b32_e32 v68, 7, v68
; %bb.918:                              ;   in Loop: Header=BB331_12 Depth=1
	s_or_b32 exec_lo, exec_lo, s24
	v_lshlrev_b32_e32 v24, 24, v104
	v_lshlrev_b32_e32 v68, 20, v68
	v_lshl_add_u32 v69, v69, 23, 0x3c000000
	v_and_b32_e32 v24, 0x80000000, v24
	v_or3_b32 v6, v68, v24, v69
	buffer_store_dword v6, off, s[0:3], s32 offset:340 ; 4-byte Folded Spill
.LBB331_919:                            ;   in Loop: Header=BB331_12 Depth=1
	s_or_b32 exec_lo, exec_lo, s23
.LBB331_920:                            ;   in Loop: Header=BB331_12 Depth=1
	s_or_b32 exec_lo, exec_lo, s22
.LBB331_921:                            ;   in Loop: Header=BB331_12 Depth=1
	s_or_b32 exec_lo, exec_lo, s8
	v_cmp_ne_u16_sdwa s7, v104, v25 src0_sel:BYTE_1 src1_sel:DWORD
	s_and_saveexec_b32 s8, s7
	s_cbranch_execz .LBB331_929
; %bb.922:                              ;   in Loop: Header=BB331_12 Depth=1
	v_cmp_ne_u16_sdwa s7, v104, v115 src0_sel:BYTE_1 src1_sel:DWORD
	v_bfrev_b32_e32 v6, 1
	buffer_store_dword v6, off, s[0:3], s32 offset:344 ; 4-byte Folded Spill
	s_and_saveexec_b32 s22, s7
	s_cbranch_execz .LBB331_928
; %bb.923:                              ;   in Loop: Header=BB331_12 Depth=1
	v_mov_b32_e32 v6, 0xffff
	s_mov_b32 s23, exec_lo
	v_and_b32_sdwa v24, v6, v104 dst_sel:DWORD dst_unused:UNUSED_PAD src0_sel:DWORD src1_sel:BYTE_1
	v_mov_b32_e32 v6, 0x7f800001
	v_and_b32_e32 v96, 0x7f, v24
	buffer_store_dword v6, off, s[0:3], s32 offset:344 ; 4-byte Folded Spill
	v_cmpx_ne_u32_e32 0x7f, v96
	s_cbranch_execz .LBB331_927
; %bb.924:                              ;   in Loop: Header=BB331_12 Depth=1
	v_and_b32_e32 v24, 7, v24
	v_mov_b32_e32 v69, v25
	v_lshrrev_b32_e32 v16, 3, v96
	s_mov_b32 s24, exec_lo
	v_mov_b32_e32 v68, v24
	v_cmpx_gt_u32_e32 8, v96
; %bb.925:                              ;   in Loop: Header=BB331_12 Depth=1
	v_ffbh_u32_e32 v16, v24
	v_min_u32_e32 v16, 32, v16
	v_subrev_nc_u32_e32 v68, 28, v16
	v_sub_nc_u32_e32 v16, 29, v16
	v_lshlrev_b64 v[68:69], v68, v[24:25]
	v_and_b32_e32 v68, 7, v68
; %bb.926:                              ;   in Loop: Header=BB331_12 Depth=1
	s_or_b32 exec_lo, exec_lo, s24
	v_lshlrev_b32_e32 v24, 16, v104
	v_lshlrev_b32_e32 v68, 20, v68
	v_lshl_add_u32 v16, v16, 23, 0x3c000000
	v_and_b32_e32 v24, 0x80000000, v24
	v_or3_b32 v6, v68, v24, v16
	buffer_store_dword v6, off, s[0:3], s32 offset:344 ; 4-byte Folded Spill
.LBB331_927:                            ;   in Loop: Header=BB331_12 Depth=1
	s_or_b32 exec_lo, exec_lo, s23
.LBB331_928:                            ;   in Loop: Header=BB331_12 Depth=1
	s_or_b32 exec_lo, exec_lo, s22
.LBB331_929:                            ;   in Loop: Header=BB331_12 Depth=1
	s_or_b32 exec_lo, exec_lo, s8
	v_mov_b32_e32 v6, 0xff
	v_mov_b32_e32 v95, 0
	;; [unrolled: 1-line block ×3, first 2 shown]
	s_mov_b32 s8, exec_lo
	v_and_b32_sdwa v24, v104, v6 dst_sel:DWORD dst_unused:UNUSED_PAD src0_sel:WORD_1 src1_sel:DWORD
	v_cmpx_ne_u16_e32 0, v24
	s_cbranch_execz .LBB331_937
; %bb.930:                              ;   in Loop: Header=BB331_12 Depth=1
	v_bfrev_b32_e32 v96, 1
	s_mov_b32 s22, exec_lo
	v_cmpx_ne_u16_e32 0x80, v24
	s_cbranch_execz .LBB331_936
; %bb.931:                              ;   in Loop: Header=BB331_12 Depth=1
	v_bfe_u32 v105, v104, 16, 7
	v_mov_b32_e32 v96, 0x7f800001
	s_mov_b32 s23, exec_lo
	v_cmpx_ne_u32_e32 0x7f, v105
	s_cbranch_execz .LBB331_935
; %bb.932:                              ;   in Loop: Header=BB331_12 Depth=1
	v_mov_b32_e32 v6, 7
	s_mov_b32 s24, exec_lo
	v_and_b32_sdwa v24, v104, v6 dst_sel:DWORD dst_unused:UNUSED_PAD src0_sel:WORD_1 src1_sel:DWORD
	v_mov_b32_e32 v69, v25
	v_lshrrev_b32_e32 v69, 3, v105
	v_mov_b32_e32 v68, v24
	v_cmpx_gt_u32_e32 8, v105
; %bb.933:                              ;   in Loop: Header=BB331_12 Depth=1
	v_ffbh_u32_e32 v68, v24
	v_min_u32_e32 v96, 32, v68
	v_subrev_nc_u32_e32 v68, 28, v96
	v_lshlrev_b64 v[68:69], v68, v[24:25]
	v_sub_nc_u32_e32 v69, 29, v96
	v_and_b32_e32 v68, 7, v68
; %bb.934:                              ;   in Loop: Header=BB331_12 Depth=1
	s_or_b32 exec_lo, exec_lo, s24
	v_mov_b32_e32 v6, 24
	v_lshlrev_b32_e32 v68, 20, v68
	v_lshl_add_u32 v69, v69, 23, 0x3c000000
	v_lshlrev_b32_sdwa v24, v6, v104 dst_sel:DWORD dst_unused:UNUSED_PAD src0_sel:DWORD src1_sel:WORD_1
	v_and_b32_e32 v24, 0x80000000, v24
	v_or3_b32 v96, v68, v24, v69
.LBB331_935:                            ;   in Loop: Header=BB331_12 Depth=1
	s_or_b32 exec_lo, exec_lo, s23
.LBB331_936:                            ;   in Loop: Header=BB331_12 Depth=1
	s_or_b32 exec_lo, exec_lo, s22
.LBB331_937:                            ;   in Loop: Header=BB331_12 Depth=1
	s_or_b32 exec_lo, exec_lo, s8
	s_mov_b32 s8, exec_lo
	v_cmpx_lt_u32_e32 0xffffff, v104
	s_cbranch_execz .LBB331_945
; %bb.938:                              ;   in Loop: Header=BB331_12 Depth=1
	v_cmp_ne_u32_sdwa s7, v104, v115 src0_sel:BYTE_3 src1_sel:DWORD
	v_bfrev_b32_e32 v95, 1
	s_and_saveexec_b32 s22, s7
	s_cbranch_execz .LBB331_944
; %bb.939:                              ;   in Loop: Header=BB331_12 Depth=1
	v_bfe_u32 v105, v104, 24, 7
	v_mov_b32_e32 v95, 0x7f800001
	s_mov_b32 s23, exec_lo
	v_cmpx_ne_u32_e32 0x7f, v105
	s_cbranch_execz .LBB331_943
; %bb.940:                              ;   in Loop: Header=BB331_12 Depth=1
	v_mov_b32_e32 v6, 7
	s_mov_b32 s24, exec_lo
	v_and_b32_sdwa v24, v104, v6 dst_sel:DWORD dst_unused:UNUSED_PAD src0_sel:BYTE_3 src1_sel:DWORD
	v_mov_b32_e32 v69, v25
	v_lshrrev_b32_e32 v69, 3, v105
	v_mov_b32_e32 v68, v24
	v_cmpx_gt_u32_e32 8, v105
; %bb.941:                              ;   in Loop: Header=BB331_12 Depth=1
	v_ffbh_u32_e32 v68, v24
	v_min_u32_e32 v95, 32, v68
	v_subrev_nc_u32_e32 v68, 28, v95
	v_lshlrev_b64 v[68:69], v68, v[24:25]
	v_sub_nc_u32_e32 v69, 29, v95
	v_and_b32_e32 v68, 7, v68
; %bb.942:                              ;   in Loop: Header=BB331_12 Depth=1
	s_or_b32 exec_lo, exec_lo, s24
	v_mov_b32_e32 v6, 24
	v_lshlrev_b32_e32 v68, 20, v68
	v_lshl_add_u32 v69, v69, 23, 0x3c000000
	v_lshlrev_b32_sdwa v24, v6, v104 dst_sel:DWORD dst_unused:UNUSED_PAD src0_sel:DWORD src1_sel:BYTE_3
	v_and_b32_e32 v24, 0x80000000, v24
	v_or3_b32 v95, v68, v24, v69
.LBB331_943:                            ;   in Loop: Header=BB331_12 Depth=1
	s_or_b32 exec_lo, exec_lo, s23
.LBB331_944:                            ;   in Loop: Header=BB331_12 Depth=1
	s_or_b32 exec_lo, exec_lo, s22
.LBB331_945:                            ;   in Loop: Header=BB331_12 Depth=1
	s_or_b32 exec_lo, exec_lo, s8
	buffer_load_dword v6, off, s[0:3], s32 offset:196 ; 4-byte Folded Reload
	v_mov_b32_e32 v104, 0
	s_waitcnt vmcnt(0)
	v_add_co_u32 v23, s7, v23, v6
	v_add_co_ci_u32_e64 v24, null, 0, v84, s7
	v_mov_b32_e32 v84, 0
	flat_load_dword v23, v[23:24]
	s_waitcnt vmcnt(0) lgkmcnt(0)
	v_cmp_ne_u16_sdwa s7, v23, v25 src0_sel:BYTE_0 src1_sel:DWORD
	s_and_saveexec_b32 s8, s7
	s_cbranch_execz .LBB331_953
; %bb.946:                              ;   in Loop: Header=BB331_12 Depth=1
	v_cmp_ne_u16_sdwa s7, v23, v115 src0_sel:BYTE_0 src1_sel:DWORD
	v_bfrev_b32_e32 v104, 1
	s_and_saveexec_b32 s22, s7
	s_cbranch_execz .LBB331_952
; %bb.947:                              ;   in Loop: Header=BB331_12 Depth=1
	v_and_b32_e32 v105, 0x7f, v23
	v_mov_b32_e32 v104, 0x7f800001
	s_mov_b32 s23, exec_lo
	v_cmpx_ne_u32_e32 0x7f, v105
	s_cbranch_execz .LBB331_951
; %bb.948:                              ;   in Loop: Header=BB331_12 Depth=1
	v_and_b32_e32 v24, 7, v23
	v_mov_b32_e32 v69, v25
	v_lshrrev_b32_e32 v69, 3, v105
	s_mov_b32 s24, exec_lo
	v_mov_b32_e32 v68, v24
	v_cmpx_gt_u32_e32 8, v105
; %bb.949:                              ;   in Loop: Header=BB331_12 Depth=1
	v_ffbh_u32_e32 v68, v24
	v_min_u32_e32 v104, 32, v68
	v_subrev_nc_u32_e32 v68, 28, v104
	v_lshlrev_b64 v[68:69], v68, v[24:25]
	v_sub_nc_u32_e32 v69, 29, v104
	v_and_b32_e32 v68, 7, v68
; %bb.950:                              ;   in Loop: Header=BB331_12 Depth=1
	s_or_b32 exec_lo, exec_lo, s24
	v_lshlrev_b32_e32 v24, 24, v23
	v_lshlrev_b32_e32 v68, 20, v68
	v_lshl_add_u32 v69, v69, 23, 0x3c000000
	v_and_b32_e32 v24, 0x80000000, v24
	v_or3_b32 v104, v68, v24, v69
.LBB331_951:                            ;   in Loop: Header=BB331_12 Depth=1
	s_or_b32 exec_lo, exec_lo, s23
.LBB331_952:                            ;   in Loop: Header=BB331_12 Depth=1
	s_or_b32 exec_lo, exec_lo, s22
.LBB331_953:                            ;   in Loop: Header=BB331_12 Depth=1
	s_or_b32 exec_lo, exec_lo, s8
	v_cmp_ne_u16_sdwa s7, v23, v25 src0_sel:BYTE_1 src1_sel:DWORD
	s_and_saveexec_b32 s8, s7
	s_cbranch_execz .LBB331_961
; %bb.954:                              ;   in Loop: Header=BB331_12 Depth=1
	v_cmp_ne_u16_sdwa s7, v23, v115 src0_sel:BYTE_1 src1_sel:DWORD
	v_bfrev_b32_e32 v84, 1
	s_and_saveexec_b32 s22, s7
	s_cbranch_execz .LBB331_960
; %bb.955:                              ;   in Loop: Header=BB331_12 Depth=1
	v_mov_b32_e32 v6, 0xffff
	v_mov_b32_e32 v84, 0x7f800001
	s_mov_b32 s23, exec_lo
	v_and_b32_sdwa v24, v6, v23 dst_sel:DWORD dst_unused:UNUSED_PAD src0_sel:DWORD src1_sel:BYTE_1
	v_and_b32_e32 v105, 0x7f, v24
	v_cmpx_ne_u32_e32 0x7f, v105
	s_cbranch_execz .LBB331_959
; %bb.956:                              ;   in Loop: Header=BB331_12 Depth=1
	v_and_b32_e32 v24, 7, v24
	v_mov_b32_e32 v69, v25
	v_lshrrev_b32_e32 v69, 3, v105
	s_mov_b32 s24, exec_lo
	v_mov_b32_e32 v68, v24
	v_cmpx_gt_u32_e32 8, v105
; %bb.957:                              ;   in Loop: Header=BB331_12 Depth=1
	v_ffbh_u32_e32 v68, v24
	v_min_u32_e32 v84, 32, v68
	v_subrev_nc_u32_e32 v68, 28, v84
	v_lshlrev_b64 v[68:69], v68, v[24:25]
	v_sub_nc_u32_e32 v69, 29, v84
	v_and_b32_e32 v68, 7, v68
; %bb.958:                              ;   in Loop: Header=BB331_12 Depth=1
	s_or_b32 exec_lo, exec_lo, s24
	v_lshlrev_b32_e32 v24, 16, v23
	v_lshlrev_b32_e32 v68, 20, v68
	v_lshl_add_u32 v69, v69, 23, 0x3c000000
	v_and_b32_e32 v24, 0x80000000, v24
	v_or3_b32 v84, v68, v24, v69
.LBB331_959:                            ;   in Loop: Header=BB331_12 Depth=1
	s_or_b32 exec_lo, exec_lo, s23
.LBB331_960:                            ;   in Loop: Header=BB331_12 Depth=1
	s_or_b32 exec_lo, exec_lo, s22
.LBB331_961:                            ;   in Loop: Header=BB331_12 Depth=1
	s_or_b32 exec_lo, exec_lo, s8
	v_mov_b32_e32 v6, 0xff
	v_mov_b32_e32 v105, 0
	;; [unrolled: 1-line block ×3, first 2 shown]
	s_mov_b32 s8, exec_lo
	v_and_b32_sdwa v24, v23, v6 dst_sel:DWORD dst_unused:UNUSED_PAD src0_sel:WORD_1 src1_sel:DWORD
	v_cmpx_ne_u16_e32 0, v24
	s_cbranch_execz .LBB331_969
; %bb.962:                              ;   in Loop: Header=BB331_12 Depth=1
	v_bfrev_b32_e32 v106, 1
	s_mov_b32 s22, exec_lo
	v_cmpx_ne_u16_e32 0x80, v24
	s_cbranch_execz .LBB331_968
; %bb.963:                              ;   in Loop: Header=BB331_12 Depth=1
	v_bfe_u32 v107, v23, 16, 7
	v_mov_b32_e32 v106, 0x7f800001
	s_mov_b32 s23, exec_lo
	v_cmpx_ne_u32_e32 0x7f, v107
	s_cbranch_execz .LBB331_967
; %bb.964:                              ;   in Loop: Header=BB331_12 Depth=1
	v_mov_b32_e32 v6, 7
	s_mov_b32 s24, exec_lo
	v_and_b32_sdwa v24, v23, v6 dst_sel:DWORD dst_unused:UNUSED_PAD src0_sel:WORD_1 src1_sel:DWORD
	v_mov_b32_e32 v69, v25
	v_lshrrev_b32_e32 v69, 3, v107
	v_mov_b32_e32 v68, v24
	v_cmpx_gt_u32_e32 8, v107
; %bb.965:                              ;   in Loop: Header=BB331_12 Depth=1
	v_ffbh_u32_e32 v68, v24
	v_min_u32_e32 v106, 32, v68
	v_subrev_nc_u32_e32 v68, 28, v106
	v_lshlrev_b64 v[68:69], v68, v[24:25]
	v_sub_nc_u32_e32 v69, 29, v106
	v_and_b32_e32 v68, 7, v68
; %bb.966:                              ;   in Loop: Header=BB331_12 Depth=1
	s_or_b32 exec_lo, exec_lo, s24
	v_mov_b32_e32 v6, 24
	v_lshlrev_b32_e32 v68, 20, v68
	v_lshl_add_u32 v69, v69, 23, 0x3c000000
	v_lshlrev_b32_sdwa v24, v6, v23 dst_sel:DWORD dst_unused:UNUSED_PAD src0_sel:DWORD src1_sel:WORD_1
	v_and_b32_e32 v24, 0x80000000, v24
	v_or3_b32 v106, v68, v24, v69
.LBB331_967:                            ;   in Loop: Header=BB331_12 Depth=1
	s_or_b32 exec_lo, exec_lo, s23
.LBB331_968:                            ;   in Loop: Header=BB331_12 Depth=1
	s_or_b32 exec_lo, exec_lo, s22
.LBB331_969:                            ;   in Loop: Header=BB331_12 Depth=1
	s_or_b32 exec_lo, exec_lo, s8
	s_mov_b32 s8, exec_lo
	v_cmpx_lt_u32_e32 0xffffff, v23
	s_cbranch_execz .LBB331_977
; %bb.970:                              ;   in Loop: Header=BB331_12 Depth=1
	v_cmp_ne_u32_sdwa s7, v23, v115 src0_sel:BYTE_3 src1_sel:DWORD
	v_bfrev_b32_e32 v105, 1
	s_and_saveexec_b32 s22, s7
	s_cbranch_execz .LBB331_976
; %bb.971:                              ;   in Loop: Header=BB331_12 Depth=1
	v_bfe_u32 v107, v23, 24, 7
	v_mov_b32_e32 v105, 0x7f800001
	s_mov_b32 s23, exec_lo
	v_cmpx_ne_u32_e32 0x7f, v107
	s_cbranch_execz .LBB331_975
; %bb.972:                              ;   in Loop: Header=BB331_12 Depth=1
	v_mov_b32_e32 v6, 7
	s_mov_b32 s24, exec_lo
	v_and_b32_sdwa v24, v23, v6 dst_sel:DWORD dst_unused:UNUSED_PAD src0_sel:BYTE_3 src1_sel:DWORD
	v_mov_b32_e32 v69, v25
	v_lshrrev_b32_e32 v69, 3, v107
	v_mov_b32_e32 v68, v24
	v_cmpx_gt_u32_e32 8, v107
; %bb.973:                              ;   in Loop: Header=BB331_12 Depth=1
	v_ffbh_u32_e32 v68, v24
	v_min_u32_e32 v105, 32, v68
	v_subrev_nc_u32_e32 v68, 28, v105
	v_lshlrev_b64 v[68:69], v68, v[24:25]
	v_sub_nc_u32_e32 v69, 29, v105
	v_and_b32_e32 v68, 7, v68
; %bb.974:                              ;   in Loop: Header=BB331_12 Depth=1
	s_or_b32 exec_lo, exec_lo, s24
	v_mov_b32_e32 v6, 24
	v_lshlrev_b32_e32 v24, 20, v68
	v_lshl_add_u32 v68, v69, 23, 0x3c000000
	v_lshlrev_b32_sdwa v23, v6, v23 dst_sel:DWORD dst_unused:UNUSED_PAD src0_sel:DWORD src1_sel:BYTE_3
	v_and_b32_e32 v23, 0x80000000, v23
	v_or3_b32 v105, v24, v23, v68
.LBB331_975:                            ;   in Loop: Header=BB331_12 Depth=1
	s_or_b32 exec_lo, exec_lo, s23
.LBB331_976:                            ;   in Loop: Header=BB331_12 Depth=1
	s_or_b32 exec_lo, exec_lo, s22
.LBB331_977:                            ;   in Loop: Header=BB331_12 Depth=1
	s_or_b32 exec_lo, exec_lo, s8
	buffer_load_dword v6, off, s[0:3], s32 offset:192 ; 4-byte Folded Reload
	v_add_co_u32 v23, s7, 0xf00, v66
	v_add_co_ci_u32_e64 v68, null, 0, v67, s7
	v_mov_b32_e32 v107, 0
	v_mov_b32_e32 v69, 0
	s_waitcnt vmcnt(0)
	v_add_co_u32 v66, s7, v23, v6
	v_add_co_ci_u32_e64 v67, null, 0, v68, s7
	flat_load_dword v110, v[66:67]
	s_waitcnt vmcnt(0) lgkmcnt(0)
	v_cmp_ne_u16_sdwa s7, v110, v25 src0_sel:BYTE_0 src1_sel:DWORD
	s_and_saveexec_b32 s8, s7
	s_cbranch_execz .LBB331_985
; %bb.978:                              ;   in Loop: Header=BB331_12 Depth=1
	v_cmp_ne_u16_sdwa s7, v110, v115 src0_sel:BYTE_0 src1_sel:DWORD
	v_bfrev_b32_e32 v69, 1
	s_and_saveexec_b32 s22, s7
	s_cbranch_execz .LBB331_984
; %bb.979:                              ;   in Loop: Header=BB331_12 Depth=1
	v_and_b32_e32 v108, 0x7f, v110
	v_mov_b32_e32 v69, 0x7f800001
	s_mov_b32 s23, exec_lo
	v_cmpx_ne_u32_e32 0x7f, v108
	s_cbranch_execz .LBB331_983
; %bb.980:                              ;   in Loop: Header=BB331_12 Depth=1
	v_and_b32_e32 v24, 7, v110
	v_mov_b32_e32 v67, v25
	v_lshrrev_b32_e32 v67, 3, v108
	s_mov_b32 s24, exec_lo
	v_mov_b32_e32 v66, v24
	v_cmpx_gt_u32_e32 8, v108
; %bb.981:                              ;   in Loop: Header=BB331_12 Depth=1
	v_ffbh_u32_e32 v66, v24
	v_min_u32_e32 v69, 32, v66
	v_subrev_nc_u32_e32 v66, 28, v69
	v_lshlrev_b64 v[66:67], v66, v[24:25]
	v_sub_nc_u32_e32 v67, 29, v69
	v_and_b32_e32 v66, 7, v66
; %bb.982:                              ;   in Loop: Header=BB331_12 Depth=1
	s_or_b32 exec_lo, exec_lo, s24
	v_lshlrev_b32_e32 v24, 24, v110
	v_lshlrev_b32_e32 v66, 20, v66
	v_lshl_add_u32 v67, v67, 23, 0x3c000000
	v_and_b32_e32 v24, 0x80000000, v24
	v_or3_b32 v69, v66, v24, v67
.LBB331_983:                            ;   in Loop: Header=BB331_12 Depth=1
	s_or_b32 exec_lo, exec_lo, s23
.LBB331_984:                            ;   in Loop: Header=BB331_12 Depth=1
	s_or_b32 exec_lo, exec_lo, s22
.LBB331_985:                            ;   in Loop: Header=BB331_12 Depth=1
	s_or_b32 exec_lo, exec_lo, s8
	v_cmp_ne_u16_sdwa s7, v110, v25 src0_sel:BYTE_1 src1_sel:DWORD
	s_and_saveexec_b32 s8, s7
	s_cbranch_execz .LBB331_993
; %bb.986:                              ;   in Loop: Header=BB331_12 Depth=1
	v_cmp_ne_u16_sdwa s7, v110, v115 src0_sel:BYTE_1 src1_sel:DWORD
	v_bfrev_b32_e32 v107, 1
	s_and_saveexec_b32 s22, s7
	s_cbranch_execz .LBB331_992
; %bb.987:                              ;   in Loop: Header=BB331_12 Depth=1
	v_mov_b32_e32 v6, 0xffff
	v_mov_b32_e32 v107, 0x7f800001
	s_mov_b32 s23, exec_lo
	v_and_b32_sdwa v24, v6, v110 dst_sel:DWORD dst_unused:UNUSED_PAD src0_sel:DWORD src1_sel:BYTE_1
	v_and_b32_e32 v108, 0x7f, v24
	v_cmpx_ne_u32_e32 0x7f, v108
	s_cbranch_execz .LBB331_991
; %bb.988:                              ;   in Loop: Header=BB331_12 Depth=1
	v_and_b32_e32 v24, 7, v24
	v_mov_b32_e32 v67, v25
	v_lshrrev_b32_e32 v67, 3, v108
	s_mov_b32 s24, exec_lo
	v_mov_b32_e32 v66, v24
	v_cmpx_gt_u32_e32 8, v108
; %bb.989:                              ;   in Loop: Header=BB331_12 Depth=1
	v_ffbh_u32_e32 v66, v24
	v_min_u32_e32 v107, 32, v66
	v_subrev_nc_u32_e32 v66, 28, v107
	v_lshlrev_b64 v[66:67], v66, v[24:25]
	v_sub_nc_u32_e32 v67, 29, v107
	v_and_b32_e32 v66, 7, v66
; %bb.990:                              ;   in Loop: Header=BB331_12 Depth=1
	s_or_b32 exec_lo, exec_lo, s24
	v_lshlrev_b32_e32 v24, 16, v110
	v_lshlrev_b32_e32 v66, 20, v66
	v_lshl_add_u32 v67, v67, 23, 0x3c000000
	v_and_b32_e32 v24, 0x80000000, v24
	v_or3_b32 v107, v66, v24, v67
.LBB331_991:                            ;   in Loop: Header=BB331_12 Depth=1
	s_or_b32 exec_lo, exec_lo, s23
.LBB331_992:                            ;   in Loop: Header=BB331_12 Depth=1
	s_or_b32 exec_lo, exec_lo, s22
.LBB331_993:                            ;   in Loop: Header=BB331_12 Depth=1
	s_or_b32 exec_lo, exec_lo, s8
	v_mov_b32_e32 v6, 0xff
	v_mov_b32_e32 v108, 0
	;; [unrolled: 1-line block ×3, first 2 shown]
	s_mov_b32 s8, exec_lo
	v_and_b32_sdwa v24, v110, v6 dst_sel:DWORD dst_unused:UNUSED_PAD src0_sel:WORD_1 src1_sel:DWORD
	v_cmpx_ne_u16_e32 0, v24
	s_cbranch_execz .LBB331_1001
; %bb.994:                              ;   in Loop: Header=BB331_12 Depth=1
	v_bfrev_b32_e32 v109, 1
	s_mov_b32 s22, exec_lo
	v_cmpx_ne_u16_e32 0x80, v24
	s_cbranch_execz .LBB331_1000
; %bb.995:                              ;   in Loop: Header=BB331_12 Depth=1
	v_bfe_u32 v111, v110, 16, 7
	v_mov_b32_e32 v109, 0x7f800001
	s_mov_b32 s23, exec_lo
	v_cmpx_ne_u32_e32 0x7f, v111
	s_cbranch_execz .LBB331_999
; %bb.996:                              ;   in Loop: Header=BB331_12 Depth=1
	v_mov_b32_e32 v6, 7
	s_mov_b32 s24, exec_lo
	v_and_b32_sdwa v24, v110, v6 dst_sel:DWORD dst_unused:UNUSED_PAD src0_sel:WORD_1 src1_sel:DWORD
	v_mov_b32_e32 v67, v25
	v_lshrrev_b32_e32 v67, 3, v111
	v_mov_b32_e32 v66, v24
	v_cmpx_gt_u32_e32 8, v111
; %bb.997:                              ;   in Loop: Header=BB331_12 Depth=1
	v_ffbh_u32_e32 v66, v24
	v_min_u32_e32 v109, 32, v66
	v_subrev_nc_u32_e32 v66, 28, v109
	v_lshlrev_b64 v[66:67], v66, v[24:25]
	v_sub_nc_u32_e32 v67, 29, v109
	v_and_b32_e32 v66, 7, v66
; %bb.998:                              ;   in Loop: Header=BB331_12 Depth=1
	s_or_b32 exec_lo, exec_lo, s24
	v_mov_b32_e32 v6, 24
	v_lshlrev_b32_e32 v66, 20, v66
	v_lshl_add_u32 v67, v67, 23, 0x3c000000
	v_lshlrev_b32_sdwa v24, v6, v110 dst_sel:DWORD dst_unused:UNUSED_PAD src0_sel:DWORD src1_sel:WORD_1
	v_and_b32_e32 v24, 0x80000000, v24
	v_or3_b32 v109, v66, v24, v67
.LBB331_999:                            ;   in Loop: Header=BB331_12 Depth=1
	s_or_b32 exec_lo, exec_lo, s23
.LBB331_1000:                           ;   in Loop: Header=BB331_12 Depth=1
	s_or_b32 exec_lo, exec_lo, s22
.LBB331_1001:                           ;   in Loop: Header=BB331_12 Depth=1
	s_or_b32 exec_lo, exec_lo, s8
	s_mov_b32 s8, exec_lo
	v_cmpx_lt_u32_e32 0xffffff, v110
	s_cbranch_execz .LBB331_1009
; %bb.1002:                             ;   in Loop: Header=BB331_12 Depth=1
	v_cmp_ne_u32_sdwa s7, v110, v115 src0_sel:BYTE_3 src1_sel:DWORD
	v_bfrev_b32_e32 v108, 1
	s_and_saveexec_b32 s22, s7
	s_cbranch_execz .LBB331_1008
; %bb.1003:                             ;   in Loop: Header=BB331_12 Depth=1
	v_bfe_u32 v111, v110, 24, 7
	v_mov_b32_e32 v108, 0x7f800001
	s_mov_b32 s23, exec_lo
	v_cmpx_ne_u32_e32 0x7f, v111
	s_cbranch_execz .LBB331_1007
; %bb.1004:                             ;   in Loop: Header=BB331_12 Depth=1
	v_mov_b32_e32 v6, 7
	s_mov_b32 s24, exec_lo
	v_and_b32_sdwa v24, v110, v6 dst_sel:DWORD dst_unused:UNUSED_PAD src0_sel:BYTE_3 src1_sel:DWORD
	v_mov_b32_e32 v67, v25
	v_lshrrev_b32_e32 v67, 3, v111
	v_mov_b32_e32 v66, v24
	v_cmpx_gt_u32_e32 8, v111
; %bb.1005:                             ;   in Loop: Header=BB331_12 Depth=1
	v_ffbh_u32_e32 v66, v24
	v_min_u32_e32 v108, 32, v66
	v_subrev_nc_u32_e32 v66, 28, v108
	v_lshlrev_b64 v[66:67], v66, v[24:25]
	v_sub_nc_u32_e32 v67, 29, v108
	v_and_b32_e32 v66, 7, v66
; %bb.1006:                             ;   in Loop: Header=BB331_12 Depth=1
	s_or_b32 exec_lo, exec_lo, s24
	v_mov_b32_e32 v6, 24
	v_lshlrev_b32_e32 v66, 20, v66
	v_lshl_add_u32 v67, v67, 23, 0x3c000000
	v_lshlrev_b32_sdwa v24, v6, v110 dst_sel:DWORD dst_unused:UNUSED_PAD src0_sel:DWORD src1_sel:BYTE_3
	v_and_b32_e32 v24, 0x80000000, v24
	v_or3_b32 v108, v66, v24, v67
.LBB331_1007:                           ;   in Loop: Header=BB331_12 Depth=1
	s_or_b32 exec_lo, exec_lo, s23
.LBB331_1008:                           ;   in Loop: Header=BB331_12 Depth=1
	s_or_b32 exec_lo, exec_lo, s22
.LBB331_1009:                           ;   in Loop: Header=BB331_12 Depth=1
	s_or_b32 exec_lo, exec_lo, s8
	buffer_load_dword v6, off, s[0:3], s32 offset:196 ; 4-byte Folded Reload
	v_mov_b32_e32 v111, 0
	v_mov_b32_e32 v110, 0
	s_waitcnt vmcnt(0)
	v_add_co_u32 v23, s7, v23, v6
	v_add_co_ci_u32_e64 v24, null, 0, v68, s7
	flat_load_dword v120, v[23:24]
	s_waitcnt vmcnt(0) lgkmcnt(0)
	v_cmp_ne_u16_sdwa s7, v120, v25 src0_sel:BYTE_0 src1_sel:DWORD
	s_and_saveexec_b32 s8, s7
	s_cbranch_execz .LBB331_1017
; %bb.1010:                             ;   in Loop: Header=BB331_12 Depth=1
	v_cmp_ne_u16_sdwa s7, v120, v115 src0_sel:BYTE_0 src1_sel:DWORD
	v_bfrev_b32_e32 v110, 1
	s_and_saveexec_b32 s22, s7
	s_cbranch_execz .LBB331_1016
; %bb.1011:                             ;   in Loop: Header=BB331_12 Depth=1
	v_and_b32_e32 v68, 0x7f, v120
	v_mov_b32_e32 v110, 0x7f800001
	s_mov_b32 s23, exec_lo
	v_cmpx_ne_u32_e32 0x7f, v68
	s_cbranch_execz .LBB331_1015
; %bb.1012:                             ;   in Loop: Header=BB331_12 Depth=1
	v_and_b32_e32 v24, 7, v120
	v_mov_b32_e32 v67, v25
	v_lshrrev_b32_e32 v23, 3, v68
	s_mov_b32 s24, exec_lo
	v_mov_b32_e32 v66, v24
	v_cmpx_gt_u32_e32 8, v68
; %bb.1013:                             ;   in Loop: Header=BB331_12 Depth=1
	v_ffbh_u32_e32 v23, v24
	v_min_u32_e32 v23, 32, v23
	v_subrev_nc_u32_e32 v66, 28, v23
	v_sub_nc_u32_e32 v23, 29, v23
	v_lshlrev_b64 v[66:67], v66, v[24:25]
	v_and_b32_e32 v66, 7, v66
; %bb.1014:                             ;   in Loop: Header=BB331_12 Depth=1
	s_or_b32 exec_lo, exec_lo, s24
	v_lshlrev_b32_e32 v24, 24, v120
	v_lshlrev_b32_e32 v66, 20, v66
	v_lshl_add_u32 v23, v23, 23, 0x3c000000
	v_and_b32_e32 v24, 0x80000000, v24
	v_or3_b32 v110, v66, v24, v23
.LBB331_1015:                           ;   in Loop: Header=BB331_12 Depth=1
	s_or_b32 exec_lo, exec_lo, s23
.LBB331_1016:                           ;   in Loop: Header=BB331_12 Depth=1
	s_or_b32 exec_lo, exec_lo, s22
.LBB331_1017:                           ;   in Loop: Header=BB331_12 Depth=1
	s_or_b32 exec_lo, exec_lo, s8
	v_cmp_ne_u16_sdwa s7, v120, v25 src0_sel:BYTE_1 src1_sel:DWORD
	s_and_saveexec_b32 s8, s7
	s_cbranch_execz .LBB331_1025
; %bb.1018:                             ;   in Loop: Header=BB331_12 Depth=1
	v_cmp_ne_u16_sdwa s7, v120, v115 src0_sel:BYTE_1 src1_sel:DWORD
	v_bfrev_b32_e32 v111, 1
	s_and_saveexec_b32 s22, s7
	s_cbranch_execz .LBB331_1024
; %bb.1019:                             ;   in Loop: Header=BB331_12 Depth=1
	v_mov_b32_e32 v6, 0xffff
	v_mov_b32_e32 v111, 0x7f800001
	s_mov_b32 s23, exec_lo
	v_and_b32_sdwa v23, v6, v120 dst_sel:DWORD dst_unused:UNUSED_PAD src0_sel:DWORD src1_sel:BYTE_1
	v_and_b32_e32 v68, 0x7f, v23
	v_cmpx_ne_u32_e32 0x7f, v68
	s_cbranch_execz .LBB331_1023
; %bb.1020:                             ;   in Loop: Header=BB331_12 Depth=1
	v_and_b32_e32 v24, 7, v23
	v_mov_b32_e32 v67, v25
	v_lshrrev_b32_e32 v23, 3, v68
	s_mov_b32 s24, exec_lo
	v_mov_b32_e32 v66, v24
	v_cmpx_gt_u32_e32 8, v68
; %bb.1021:                             ;   in Loop: Header=BB331_12 Depth=1
	v_ffbh_u32_e32 v23, v24
	v_min_u32_e32 v23, 32, v23
	v_subrev_nc_u32_e32 v66, 28, v23
	v_sub_nc_u32_e32 v23, 29, v23
	v_lshlrev_b64 v[66:67], v66, v[24:25]
	v_and_b32_e32 v66, 7, v66
; %bb.1022:                             ;   in Loop: Header=BB331_12 Depth=1
	s_or_b32 exec_lo, exec_lo, s24
	v_lshlrev_b32_e32 v24, 16, v120
	v_lshlrev_b32_e32 v66, 20, v66
	v_lshl_add_u32 v23, v23, 23, 0x3c000000
	v_and_b32_e32 v24, 0x80000000, v24
	v_or3_b32 v111, v66, v24, v23
.LBB331_1023:                           ;   in Loop: Header=BB331_12 Depth=1
	s_or_b32 exec_lo, exec_lo, s23
.LBB331_1024:                           ;   in Loop: Header=BB331_12 Depth=1
	s_or_b32 exec_lo, exec_lo, s22
.LBB331_1025:                           ;   in Loop: Header=BB331_12 Depth=1
	s_or_b32 exec_lo, exec_lo, s8
	v_mov_b32_e32 v6, 0xff
	v_mov_b32_e32 v7, 0
	s_mov_b32 s8, exec_lo
	v_and_b32_sdwa v24, v120, v6 dst_sel:DWORD dst_unused:UNUSED_PAD src0_sel:WORD_1 src1_sel:DWORD
	v_mov_b32_e32 v6, 0
	v_cmpx_ne_u16_e32 0, v24
	s_cbranch_execz .LBB331_1033
; %bb.1026:                             ;   in Loop: Header=BB331_12 Depth=1
	v_bfrev_b32_e32 v6, 1
	s_mov_b32 s22, exec_lo
	v_cmpx_ne_u16_e32 0x80, v24
	s_cbranch_execz .LBB331_1032
; %bb.1027:                             ;   in Loop: Header=BB331_12 Depth=1
	v_mov_b32_e32 v16, v121
	v_bfe_u32 v121, v120, 16, 7
	v_mov_b32_e32 v6, 0x7f800001
	s_mov_b32 s23, exec_lo
	v_cmpx_ne_u32_e32 0x7f, v121
	s_cbranch_execz .LBB331_1031
; %bb.1028:                             ;   in Loop: Header=BB331_12 Depth=1
	v_mov_b32_e32 v6, 7
	v_lshrrev_b32_e32 v23, 3, v121
	s_mov_b32 s24, exec_lo
	v_and_b32_sdwa v24, v120, v6 dst_sel:DWORD dst_unused:UNUSED_PAD src0_sel:WORD_1 src1_sel:DWORD
	v_mov_b32_e32 v67, v25
	v_mov_b32_e32 v66, v24
	v_cmpx_gt_u32_e32 8, v121
; %bb.1029:                             ;   in Loop: Header=BB331_12 Depth=1
	v_ffbh_u32_e32 v23, v24
	v_min_u32_e32 v23, 32, v23
	v_subrev_nc_u32_e32 v66, 28, v23
	v_sub_nc_u32_e32 v23, 29, v23
	v_lshlrev_b64 v[66:67], v66, v[24:25]
	v_and_b32_e32 v66, 7, v66
; %bb.1030:                             ;   in Loop: Header=BB331_12 Depth=1
	s_or_b32 exec_lo, exec_lo, s24
	v_mov_b32_e32 v6, 24
	v_lshlrev_b32_e32 v66, 20, v66
	v_lshl_add_u32 v23, v23, 23, 0x3c000000
	v_lshlrev_b32_sdwa v24, v6, v120 dst_sel:DWORD dst_unused:UNUSED_PAD src0_sel:DWORD src1_sel:WORD_1
	v_and_b32_e32 v24, 0x80000000, v24
	v_or3_b32 v6, v66, v24, v23
.LBB331_1031:                           ;   in Loop: Header=BB331_12 Depth=1
	s_or_b32 exec_lo, exec_lo, s23
	v_mov_b32_e32 v121, v16
.LBB331_1032:                           ;   in Loop: Header=BB331_12 Depth=1
	s_or_b32 exec_lo, exec_lo, s22
.LBB331_1033:                           ;   in Loop: Header=BB331_12 Depth=1
	s_or_b32 exec_lo, exec_lo, s8
	buffer_store_dword v6, off, s[0:3], s32 offset:532 ; 4-byte Folded Spill
	v_mov_b32_e32 v39, v20
	v_mov_b32_e32 v80, v21
	;; [unrolled: 1-line block ×4, first 2 shown]
	buffer_store_dword v88, off, s[0:3], s32 offset:500 ; 4-byte Folded Spill
	v_mov_b32_e32 v55, v71
	v_mov_b32_e32 v16, v70
	;; [unrolled: 1-line block ×3, first 2 shown]
	buffer_store_dword v11, off, s[0:3], s32 offset:448 ; 4-byte Folded Spill
	buffer_store_dword v17, off, s[0:3], s32 offset:528 ; 4-byte Folded Spill
	;; [unrolled: 1-line block ×10, first 2 shown]
	v_mov_b32_e32 v74, v56
	v_mov_b32_e32 v76, v47
	buffer_store_dword v44, off, s[0:3], s32 offset:512 ; 4-byte Folded Spill
	v_mov_b32_e32 v22, v43
	v_mov_b32_e32 v47, v41
	;; [unrolled: 1-line block ×19, first 2 shown]
	s_mov_b32 s8, exec_lo
	v_cmpx_lt_u32_e32 0xffffff, v120
	s_cbranch_execz .LBB331_1041
; %bb.1034:                             ;   in Loop: Header=BB331_12 Depth=1
	v_cmp_ne_u32_sdwa s7, v120, v115 src0_sel:BYTE_3 src1_sel:DWORD
	v_bfrev_b32_e32 v7, 1
	s_and_saveexec_b32 s22, s7
	s_cbranch_execz .LBB331_1040
; %bb.1035:                             ;   in Loop: Header=BB331_12 Depth=1
	v_bfe_u32 v121, v120, 24, 7
	v_mov_b32_e32 v7, 0x7f800001
	s_mov_b32 s23, exec_lo
	v_cmpx_ne_u32_e32 0x7f, v121
	s_cbranch_execz .LBB331_1039
; %bb.1036:                             ;   in Loop: Header=BB331_12 Depth=1
	v_mov_b32_e32 v6, 7
	s_mov_b32 s24, exec_lo
	v_and_b32_sdwa v24, v120, v6 dst_sel:DWORD dst_unused:UNUSED_PAD src0_sel:BYTE_3 src1_sel:DWORD
	v_mov_b32_e32 v67, v25
	v_lshrrev_b32_e32 v67, 3, v121
	v_mov_b32_e32 v66, v24
	v_cmpx_gt_u32_e32 8, v121
; %bb.1037:                             ;   in Loop: Header=BB331_12 Depth=1
	v_ffbh_u32_e32 v66, v24
	v_min_u32_e32 v68, 32, v66
	v_subrev_nc_u32_e32 v66, 28, v68
	v_lshlrev_b64 v[66:67], v66, v[24:25]
	v_sub_nc_u32_e32 v67, 29, v68
	v_and_b32_e32 v66, 7, v66
; %bb.1038:                             ;   in Loop: Header=BB331_12 Depth=1
	s_or_b32 exec_lo, exec_lo, s24
	v_mov_b32_e32 v6, 24
	v_lshlrev_b32_e32 v66, 20, v66
	v_lshl_add_u32 v67, v67, 23, 0x3c000000
	v_lshlrev_b32_sdwa v24, v6, v120 dst_sel:DWORD dst_unused:UNUSED_PAD src0_sel:DWORD src1_sel:BYTE_3
	v_and_b32_e32 v24, 0x80000000, v24
	v_or3_b32 v7, v66, v24, v67
.LBB331_1039:                           ;   in Loop: Header=BB331_12 Depth=1
	s_or_b32 exec_lo, exec_lo, s23
.LBB331_1040:                           ;   in Loop: Header=BB331_12 Depth=1
	s_or_b32 exec_lo, exec_lo, s22
.LBB331_1041:                           ;   in Loop: Header=BB331_12 Depth=1
	s_or_b32 exec_lo, exec_lo, s8
	buffer_store_dword v7, off, s[0:3], s32 offset:440 ; 4-byte Folded Spill
	v_lshlrev_b32_e32 v125, 16, v37
	v_lshlrev_b32_e32 v126, 16, v38
	v_and_b32_e32 v68, 0xffff0000, v37
	v_and_b32_e32 v7, 0xffff0000, v38
	v_lshlrev_b32_e32 v70, 16, v2
	v_lshlrev_b32_e32 v71, 16, v3
	;; [unrolled: 1-line block ×4, first 2 shown]
	v_and_b32_e32 v26, 0xffff0000, v2
	v_and_b32_e32 v103, 0xffff0000, v3
	v_and_b32_e32 v38, 0xffff0000, v4
	v_and_b32_e32 v122, 0xffff0000, v5
	s_clause 0x3
	buffer_load_dword v2, off, s[0:3], s32 offset:424
	buffer_load_dword v3, off, s[0:3], s32 offset:428
	;; [unrolled: 1-line block ×4, first 2 shown]
	v_lshlrev_b32_e32 v123, 16, v35
	v_lshlrev_b32_e32 v124, 16, v36
	v_and_b32_e32 v127, 0xffff0000, v35
	v_and_b32_e32 v8, 0xffff0000, v36
	v_lshlrev_b32_e32 v6, 16, v31
	v_lshlrev_b32_e32 v11, 16, v32
	;; [unrolled: 1-line block ×4, first 2 shown]
	v_and_b32_e32 v99, 0xffff0000, v31
	v_and_b32_e32 v97, 0xffff0000, v32
	;; [unrolled: 1-line block ×4, first 2 shown]
	v_lshlrev_b32_e32 v67, 16, v50
	v_lshlrev_b32_e32 v24, 16, v48
	v_and_b32_e32 v50, 0xffff0000, v50
	v_and_b32_e32 v48, 0xffff0000, v48
	v_lshlrev_b32_e32 v17, 16, v51
	v_lshlrev_b32_e32 v66, 16, v49
	v_and_b32_e32 v51, 0xffff0000, v51
	v_and_b32_e32 v49, 0xffff0000, v49
	s_waitcnt vmcnt(3)
	v_lshlrev_b32_e32 v121, 16, v2
	s_waitcnt vmcnt(2)
	v_lshlrev_b32_e32 v35, 16, v3
	;; [unrolled: 2-line block ×4, first 2 shown]
	v_and_b32_e32 v120, 0xffff0000, v2
	v_and_b32_e32 v36, 0xffff0000, v3
	;; [unrolled: 1-line block ×4, first 2 shown]
	s_clause 0x3
	buffer_load_dword v2, off, s[0:3], s32 offset:408
	buffer_load_dword v3, off, s[0:3], s32 offset:412
	;; [unrolled: 1-line block ×4, first 2 shown]
	s_waitcnt vmcnt(3)
	v_lshlrev_b32_e32 v1, 16, v2
	buffer_store_dword v1, off, s[0:3], s32 offset:560 ; 4-byte Folded Spill
	s_waitcnt vmcnt(2)
	v_lshlrev_b32_e32 v1, 16, v3
	buffer_store_dword v1, off, s[0:3], s32 offset:552 ; 4-byte Folded Spill
	;; [unrolled: 3-line block ×4, first 2 shown]
	v_and_b32_e32 v1, 0xffff0000, v2
	buffer_store_dword v1, off, s[0:3], s32 offset:564 ; 4-byte Folded Spill
	v_and_b32_e32 v1, 0xffff0000, v3
	buffer_store_dword v1, off, s[0:3], s32 offset:556 ; 4-byte Folded Spill
	;; [unrolled: 2-line block ×4, first 2 shown]
	v_mul_f32_e32 v1, v46, v57
	v_bfe_u32 v2, v1, 16, 1
	v_or_b32_e32 v3, 0x400000, v1
	v_cmp_u_f32_e64 s7, v1, v1
	v_add3_u32 v2, v2, v1, 0x7fff
	v_cndmask_b32_e64 v1, v2, v3, s7
	v_mul_f32_e32 v2, v46, v0
	v_mul_f32_e32 v0, v46, v9
	v_and_b32_e32 v1, 0xffff0000, v1
	v_bfe_u32 v3, v2, 16, 1
	v_or_b32_e32 v4, 0x400000, v2
	v_cmp_u_f32_e64 s7, v2, v2
	v_mul_f32_e32 v1, v67, v1
	v_add3_u32 v3, v3, v2, 0x7fff
	v_cndmask_b32_e64 v2, v3, v4, s7
	v_or_b32_e32 v3, 0x400000, v0
	v_cmp_u_f32_e64 s7, v0, v0
	v_and_b32_e32 v2, 0xffff0000, v2
	v_fmac_f32_e32 v1, v24, v2
	v_bfe_u32 v2, v0, 16, 1
	v_add3_u32 v2, v2, v0, 0x7fff
	v_cndmask_b32_e64 v0, v2, v3, s7
	v_mul_f32_e32 v2, v46, v40
	v_and_b32_e32 v0, 0xffff0000, v0
	v_bfe_u32 v3, v2, 16, 1
	v_or_b32_e32 v4, 0x400000, v2
	v_cmp_u_f32_e64 s7, v2, v2
	v_mul_f32_e32 v0, v50, v0
	v_add3_u32 v3, v3, v2, 0x7fff
	v_cndmask_b32_e64 v2, v3, v4, s7
	v_and_b32_e32 v2, 0xffff0000, v2
	v_fmac_f32_e32 v0, v48, v2
	v_mul_f32_e32 v2, v46, v54
	v_bfe_u32 v3, v2, 16, 1
	v_or_b32_e32 v4, 0x400000, v2
	v_cmp_u_f32_e64 s7, v2, v2
	v_add3_u32 v3, v3, v2, 0x7fff
	v_cndmask_b32_e64 v2, v3, v4, s7
	v_mul_f32_e32 v3, v46, v87
	v_and_b32_e32 v2, 0xffff0000, v2
	v_bfe_u32 v4, v3, 16, 1
	v_or_b32_e32 v5, 0x400000, v3
	v_cmp_u_f32_e64 s7, v3, v3
	v_mul_f32_e32 v24, v17, v2
	v_add3_u32 v4, v4, v3, 0x7fff
	v_cndmask_b32_e64 v3, v4, v5, s7
	v_and_b32_e32 v2, 0xffff0000, v3
	v_fmac_f32_e32 v24, v66, v2
	v_mul_f32_e32 v2, v46, v101
	v_bfe_u32 v3, v2, 16, 1
	v_or_b32_e32 v4, 0x400000, v2
	v_cmp_u_f32_e64 s7, v2, v2
	v_add3_u32 v3, v3, v2, 0x7fff
	v_cndmask_b32_e64 v2, v3, v4, s7
	v_mul_f32_e32 v3, v46, v100
	v_and_b32_e32 v2, 0xffff0000, v2
	v_bfe_u32 v4, v3, 16, 1
	v_or_b32_e32 v5, 0x400000, v3
	v_cmp_u_f32_e64 s7, v3, v3
	v_mul_f32_e32 v17, v51, v2
	v_add3_u32 v4, v4, v3, 0x7fff
	v_cndmask_b32_e64 v3, v4, v5, s7
	v_mul_f32_e32 v5, v46, v58
	v_and_b32_e32 v2, 0xffff0000, v3
	v_fmac_f32_e32 v17, v49, v2
	v_mul_f32_e32 v2, v46, v20
	v_bfe_u32 v3, v2, 16, 1
	v_or_b32_e32 v4, 0x400000, v2
	v_cmp_u_f32_e64 s7, v2, v2
	v_add3_u32 v3, v3, v2, 0x7fff
	v_cndmask_b32_e64 v2, v3, v4, s7
	v_and_b32_e32 v2, 0xffff0000, v2
	v_fmac_f32_e32 v1, v123, v2
	v_mul_f32_e32 v2, v46, v21
	v_bfe_u32 v3, v2, 16, 1
	v_or_b32_e32 v4, 0x400000, v2
	v_cmp_u_f32_e64 s7, v2, v2
	v_add3_u32 v3, v3, v2, 0x7fff
	v_cndmask_b32_e64 v2, v3, v4, s7
	v_and_b32_e32 v2, 0xffff0000, v2
	v_fmac_f32_e32 v0, v127, v2
	v_mul_f32_e32 v2, v46, v41
	v_bfe_u32 v3, v2, 16, 1
	v_or_b32_e32 v4, 0x400000, v2
	v_cmp_u_f32_e64 s7, v2, v2
	v_add3_u32 v3, v3, v2, 0x7fff
	v_cndmask_b32_e64 v2, v3, v4, s7
	v_and_b32_e32 v2, 0xffff0000, v2
	v_fmac_f32_e32 v24, v124, v2
	v_mul_f32_e32 v2, v46, v116
	v_bfe_u32 v3, v2, 16, 1
	v_or_b32_e32 v4, 0x400000, v2
	v_cmp_u_f32_e64 s7, v2, v2
	v_add3_u32 v3, v3, v2, 0x7fff
	v_cndmask_b32_e64 v2, v3, v4, s7
	v_and_b32_e32 v2, 0xffff0000, v2
	v_fmac_f32_e32 v17, v8, v2
	v_mul_f32_e32 v2, v46, v83
	v_mul_f32_e32 v8, v46, v63
	v_bfe_u32 v3, v2, 16, 1
	v_or_b32_e32 v4, 0x400000, v2
	v_cmp_u_f32_e64 s7, v2, v2
	v_add3_u32 v3, v3, v2, 0x7fff
	v_cndmask_b32_e64 v2, v3, v4, s7
	v_and_b32_e32 v2, 0xffff0000, v2
	v_fmac_f32_e32 v1, v125, v2
	v_mul_f32_e32 v2, v46, v56
	v_bfe_u32 v3, v2, 16, 1
	v_or_b32_e32 v4, 0x400000, v2
	v_cmp_u_f32_e64 s7, v2, v2
	v_add3_u32 v3, v3, v2, 0x7fff
	v_cndmask_b32_e64 v2, v3, v4, s7
	v_and_b32_e32 v2, 0xffff0000, v2
	v_fmac_f32_e32 v0, v68, v2
	v_mul_f32_e32 v2, v46, v85
	v_mul_f32_e32 v68, v46, v29
	v_bfe_u32 v3, v2, 16, 1
	v_or_b32_e32 v4, 0x400000, v2
	v_cmp_u_f32_e64 s7, v2, v2
	v_add3_u32 v3, v3, v2, 0x7fff
	v_cndmask_b32_e64 v2, v3, v4, s7
	v_and_b32_e32 v2, 0xffff0000, v2
	v_fmac_f32_e32 v24, v126, v2
	v_mul_f32_e32 v2, v46, v117
	v_bfe_u32 v3, v2, 16, 1
	v_or_b32_e32 v4, 0x400000, v2
	v_cmp_u_f32_e64 s7, v2, v2
	v_add3_u32 v3, v3, v2, 0x7fff
	v_cndmask_b32_e64 v2, v3, v4, s7
	v_and_b32_e32 v2, 0xffff0000, v2
	v_fmac_f32_e32 v17, v7, v2
	;; [unrolled: 8-line block ×5, first 2 shown]
	v_mul_f32_e32 v2, v46, v113
	buffer_load_dword v113, off, s[0:3], s32 offset:596 ; 4-byte Folded Reload
	v_bfe_u32 v3, v2, 16, 1
	v_or_b32_e32 v4, 0x400000, v2
	v_cmp_u_f32_e64 s7, v2, v2
	v_add3_u32 v3, v3, v2, 0x7fff
	v_cndmask_b32_e64 v2, v3, v4, s7
	v_and_b32_e32 v2, 0xffff0000, v2
	v_fmac_f32_e32 v17, v97, v2
	v_mul_f32_e32 v2, v46, v112
	v_bfe_u32 v3, v2, 16, 1
	v_or_b32_e32 v4, 0x400000, v2
	v_cmp_u_f32_e64 s7, v2, v2
	v_add3_u32 v3, v3, v2, 0x7fff
	v_cndmask_b32_e64 v2, v3, v4, s7
	v_and_b32_e32 v2, 0xffff0000, v2
	v_fmac_f32_e32 v1, v10, v2
	v_mul_f32_e32 v2, v46, v47
	;; [unrolled: 8-line block ×12, first 2 shown]
	v_bfe_u32 v3, v2, 16, 1
	v_or_b32_e32 v4, 0x400000, v2
	v_cmp_u_f32_e64 s7, v2, v2
	v_add3_u32 v3, v3, v2, 0x7fff
	v_mul_f32_e32 v2, v46, v110
	v_cndmask_b32_e64 v3, v3, v4, s7
	v_or_b32_e32 v4, 0x400000, v2
	v_cmp_u_f32_e64 s7, v2, v2
	buffer_store_dword v3, off, s[0:3], s32 offset:408 ; 4-byte Folded Spill
	v_bfe_u32 v3, v2, 16, 1
	v_add3_u32 v3, v3, v2, 0x7fff
	v_mul_f32_e32 v2, v46, v109
	v_cndmask_b32_e64 v3, v3, v4, s7
	v_or_b32_e32 v4, 0x400000, v2
	v_cmp_u_f32_e64 s7, v2, v2
	buffer_store_dword v3, off, s[0:3], s32 offset:424 ; 4-byte Folded Spill
	v_bfe_u32 v3, v2, 16, 1
	;; [unrolled: 7-line block ×11, first 2 shown]
	v_add3_u32 v3, v3, v2, 0x7fff
	buffer_load_dword v2, off, s[0:3], s32 offset:344 ; 4-byte Folded Reload
	v_cndmask_b32_e64 v3, v3, v4, s7
	buffer_store_dword v3, off, s[0:3], s32 offset:344 ; 4-byte Folded Spill
	s_waitcnt vmcnt(0)
	v_mul_f32_e32 v2, v46, v2
	v_bfe_u32 v3, v2, 16, 1
	v_or_b32_e32 v4, 0x400000, v2
	v_cmp_u_f32_e64 s7, v2, v2
	v_add3_u32 v3, v3, v2, 0x7fff
	buffer_load_dword v2, off, s[0:3], s32 offset:340 ; 4-byte Folded Reload
	v_cndmask_b32_e64 v3, v3, v4, s7
	buffer_store_dword v3, off, s[0:3], s32 offset:340 ; 4-byte Folded Spill
	s_waitcnt vmcnt(0)
	v_mul_f32_e32 v2, v46, v2
	v_bfe_u32 v3, v2, 16, 1
	v_or_b32_e32 v4, 0x400000, v2
	v_cmp_u_f32_e64 s7, v2, v2
	;; [unrolled: 9-line block ×7, first 2 shown]
	v_add3_u32 v3, v3, v2, 0x7fff
	buffer_load_dword v2, off, s[0:3], s32 offset:320 ; 4-byte Folded Reload
	v_cndmask_b32_e64 v111, v3, v4, s7
	s_waitcnt vmcnt(0)
	v_mul_f32_e32 v2, v46, v2
	v_bfe_u32 v3, v2, 16, 1
	v_or_b32_e32 v4, 0x400000, v2
	v_cmp_u_f32_e64 s7, v2, v2
	v_add3_u32 v3, v3, v2, 0x7fff
	buffer_load_dword v2, off, s[0:3], s32 offset:316 ; 4-byte Folded Reload
	v_cndmask_b32_e64 v110, v3, v4, s7
	s_waitcnt vmcnt(0)
	v_mul_f32_e32 v2, v46, v2
	v_bfe_u32 v3, v2, 16, 1
	v_or_b32_e32 v4, 0x400000, v2
	v_cmp_u_f32_e64 s7, v2, v2
	;; [unrolled: 8-line block ×29, first 2 shown]
	v_add3_u32 v3, v3, v2, 0x7fff
	v_mul_f32_e32 v2, v46, v75
	v_cndmask_b32_e64 v117, v3, v4, s7
	v_bfe_u32 v3, v2, 16, 1
	v_or_b32_e32 v4, 0x400000, v2
	v_cmp_u_f32_e64 s7, v2, v2
	v_add3_u32 v3, v3, v2, 0x7fff
	buffer_load_dword v2, off, s[0:3], s32 offset:348 ; 4-byte Folded Reload
	v_cndmask_b32_e64 v22, v3, v4, s7
	v_bfe_u32 v3, v5, 16, 1
	v_or_b32_e32 v4, 0x400000, v5
	v_cmp_u_f32_e64 s7, v5, v5
	v_add3_u32 v3, v3, v5, 0x7fff
	v_cndmask_b32_e64 v3, v3, v4, s7
	s_waitcnt vmcnt(0)
	v_mul_f32_e32 v5, v46, v2
	v_bfe_u32 v4, v5, 16, 1
	v_or_b32_e32 v6, 0x400000, v5
	v_cmp_u_f32_e64 s7, v5, v5
	v_add3_u32 v4, v4, v5, 0x7fff
	v_mul_f32_e32 v5, v46, v59
	v_cndmask_b32_e64 v4, v4, v6, s7
	v_bfe_u32 v6, v5, 16, 1
	v_or_b32_e32 v7, 0x400000, v5
	v_cmp_u_f32_e64 s7, v5, v5
	v_add3_u32 v6, v6, v5, 0x7fff
	v_cndmask_b32_e64 v5, v6, v7, s7
	v_bfe_u32 v6, v8, 16, 1
	v_or_b32_e32 v7, 0x400000, v8
	v_cmp_u_f32_e64 s7, v8, v8
	v_add3_u32 v6, v6, v8, 0x7fff
	v_mul_f32_e32 v8, v46, v39
	v_cndmask_b32_e64 v20, v6, v7, s7
	v_bfe_u32 v6, v8, 16, 1
	v_or_b32_e32 v7, 0x400000, v8
	v_cmp_u_f32_e64 s7, v8, v8
	v_and_b32_e32 v20, 0xffff0000, v20
	v_add3_u32 v6, v6, v8, 0x7fff
	v_mul_f32_e32 v8, v46, v80
	v_cndmask_b32_e64 v21, v6, v7, s7
	v_bfe_u32 v6, v8, 16, 1
	v_or_b32_e32 v7, 0x400000, v8
	v_cmp_u_f32_e64 s7, v8, v8
	v_and_b32_e32 v21, 0xffff0000, v21
	v_add3_u32 v6, v6, v8, 0x7fff
	v_mul_f32_e32 v8, v46, v62
	v_cndmask_b32_e64 v85, v6, v7, s7
	v_bfe_u32 v6, v8, 16, 1
	v_or_b32_e32 v7, 0x400000, v8
	v_cmp_u_f32_e64 s7, v8, v8
	v_add3_u32 v6, v6, v8, 0x7fff
	v_mul_f32_e32 v8, v46, v93
	v_cndmask_b32_e64 v54, v6, v7, s7
	v_bfe_u32 v6, v8, 16, 1
	v_or_b32_e32 v7, 0x400000, v8
	v_cmp_u_f32_e64 s7, v8, v8
	;; [unrolled: 6-line block ×3, first 2 shown]
	v_and_b32_e32 v9, 0xffff0000, v9
	v_add3_u32 v6, v6, v8, 0x7fff
	v_mul_f32_e32 v8, v46, v92
	v_cndmask_b32_e64 v100, v6, v7, s7
	v_bfe_u32 v6, v8, 16, 1
	v_or_b32_e32 v7, 0x400000, v8
	v_cmp_u_f32_e64 s7, v8, v8
	v_add3_u32 v6, v6, v8, 0x7fff
	v_mul_f32_e32 v8, v46, v91
	v_cndmask_b32_e64 v101, v6, v7, s7
	v_bfe_u32 v6, v8, 16, 1
	v_or_b32_e32 v7, 0x400000, v8
	v_cmp_u_f32_e64 s7, v8, v8
	;; [unrolled: 6-line block ×4, first 2 shown]
	v_and_b32_e32 v26, 0xffff0000, v26
	v_add3_u32 v6, v6, v8, 0x7fff
	v_mul_f32_e32 v8, v46, v18
	buffer_load_dword v18, off, s[0:3], s32 offset:440 ; 4-byte Folded Reload
	v_cndmask_b32_e64 v19, v6, v7, s7
	v_bfe_u32 v6, v8, 16, 1
	v_or_b32_e32 v7, 0x400000, v8
	v_cmp_u_f32_e64 s7, v8, v8
	v_and_b32_e32 v19, 0xffff0000, v19
	v_add3_u32 v6, v6, v8, 0x7fff
	v_mul_f32_e32 v8, v46, v55
	v_cndmask_b32_e64 v2, v6, v7, s7
	v_bfe_u32 v6, v8, 16, 1
	v_or_b32_e32 v7, 0x400000, v8
	v_cmp_u_f32_e64 s7, v8, v8
	v_add3_u32 v6, v6, v8, 0x7fff
	v_mul_f32_e32 v8, v46, v16
	v_cndmask_b32_e64 v53, v6, v7, s7
	v_bfe_u32 v6, v8, 16, 1
	v_or_b32_e32 v7, 0x400000, v8
	v_cmp_u_f32_e64 s7, v8, v8
	;; [unrolled: 6-line block ×7, first 2 shown]
	v_and_b32_e32 v10, 0xffff0000, v10
	v_add3_u32 v6, v6, v8, 0x7fff
	v_mul_f32_e32 v8, v46, v30
	v_cndmask_b32_e64 v6, v6, v7, s7
	v_bfe_u32 v7, v8, 16, 1
	v_or_b32_e32 v11, 0x400000, v8
	v_cmp_u_f32_e64 s7, v8, v8
	v_and_b32_e32 v6, 0xffff0000, v6
	v_add3_u32 v7, v7, v8, 0x7fff
	v_mul_f32_e32 v8, v46, v94
	v_cndmask_b32_e64 v7, v7, v11, s7
	v_bfe_u32 v11, v8, 16, 1
	v_or_b32_e32 v16, 0x400000, v8
	v_cmp_u_f32_e64 s7, v8, v8
	v_and_b32_e32 v7, 0xffff0000, v7
	v_add3_u32 v11, v11, v8, 0x7fff
	v_cndmask_b32_e64 v8, v11, v16, s7
	v_bfe_u32 v11, v68, 16, 1
	v_or_b32_e32 v16, 0x400000, v68
	v_cmp_u_f32_e64 s7, v68, v68
	v_and_b32_e32 v8, 0xffff0000, v8
	v_add3_u32 v11, v11, v68, 0x7fff
	v_mul_f32_e32 v68, v46, v28
	v_cndmask_b32_e64 v99, v11, v16, s7
	v_bfe_u32 v11, v68, 16, 1
	v_or_b32_e32 v16, 0x400000, v68
	v_cmp_u_f32_e64 s7, v68, v68
	v_add3_u32 v11, v11, v68, 0x7fff
	v_mul_f32_e32 v68, v46, v27
	v_cndmask_b32_e64 v116, v11, v16, s7
	v_bfe_u32 v11, v68, 16, 1
	v_or_b32_e32 v16, 0x400000, v68
	v_cmp_u_f32_e64 s7, v68, v68
	;; [unrolled: 6-line block ×4, first 2 shown]
	v_and_b32_e32 v15, 0xffff0000, v41
	v_add3_u32 v11, v11, v68, 0x7fff
	v_mul_f32_e32 v68, v46, v13
	v_and_b32_e32 v13, 0xffff0000, v99
	v_cndmask_b32_e64 v43, v11, v16, s7
	v_bfe_u32 v11, v68, 16, 1
	v_or_b32_e32 v16, 0x400000, v68
	v_cmp_u_f32_e64 s7, v68, v68
	v_and_b32_e32 v14, 0xffff0000, v43
	v_add3_u32 v11, v11, v68, 0x7fff
	v_mul_f32_e32 v68, v46, v12
	buffer_load_dword v12, off, s[0:3], s32 offset:528 ; 4-byte Folded Reload
	v_cndmask_b32_e64 v44, v11, v16, s7
	v_bfe_u32 v11, v68, 16, 1
	v_or_b32_e32 v16, 0x400000, v68
	v_cmp_u_f32_e64 s7, v68, v68
	v_and_b32_e32 v28, 0xffff0000, v44
	v_add3_u32 v11, v11, v68, 0x7fff
	v_mul_f32_e32 v68, v46, v86
	v_cndmask_b32_e64 v47, v11, v16, s7
	v_bfe_u32 v11, v68, 16, 1
	v_or_b32_e32 v16, 0x400000, v68
	v_cmp_u_f32_e64 s7, v68, v68
	v_and_b32_e32 v27, 0xffff0000, v47
	v_add3_u32 v11, v11, v68, 0x7fff
	v_mul_f32_e32 v68, v46, v81
	v_cndmask_b32_e64 v90, v11, v16, s7
	v_bfe_u32 v11, v68, 16, 1
	v_or_b32_e32 v16, 0x400000, v68
	v_cmp_u_f32_e64 s7, v68, v68
	v_add3_u32 v11, v11, v68, 0x7fff
	v_mul_f32_e32 v68, v46, v45
	v_cndmask_b32_e64 v91, v11, v16, s7
	v_bfe_u32 v11, v68, 16, 1
	v_or_b32_e32 v16, 0x400000, v68
	v_cmp_u_f32_e64 s7, v68, v68
	v_add3_u32 v11, v11, v68, 0x7fff
	v_mul_f32_e32 v68, v46, v77
	v_cndmask_b32_e64 v92, v11, v16, s7
	v_bfe_u32 v11, v68, 16, 1
	v_or_b32_e32 v16, 0x400000, v68
	v_cmp_u_f32_e64 s7, v68, v68
	v_and_b32_e32 v29, 0xffff0000, v92
	v_add3_u32 v11, v11, v68, 0x7fff
	v_cndmask_b32_e64 v105, v11, v16, s7
	v_and_b32_e32 v105, 0xffff0000, v105
	s_waitcnt vmcnt(0)
	v_mul_f32_e32 v68, v46, v12
	buffer_load_dword v12, off, s[0:3], s32 offset:524 ; 4-byte Folded Reload
	v_bfe_u32 v11, v68, 16, 1
	v_or_b32_e32 v16, 0x400000, v68
	v_cmp_u_f32_e64 s7, v68, v68
	v_add3_u32 v11, v11, v68, 0x7fff
	v_cndmask_b32_e64 v107, v11, v16, s7
	v_and_b32_e32 v107, 0xffff0000, v107
	s_waitcnt vmcnt(0)
	v_mul_f32_e32 v68, v46, v12
	buffer_load_dword v12, off, s[0:3], s32 offset:520 ; 4-byte Folded Reload
	v_bfe_u32 v11, v68, 16, 1
	v_or_b32_e32 v16, 0x400000, v68
	v_cmp_u_f32_e64 s7, v68, v68
	v_add3_u32 v11, v11, v68, 0x7fff
	v_cndmask_b32_e64 v123, v11, v16, s7
	s_waitcnt vmcnt(0)
	v_mul_f32_e32 v68, v46, v12
	buffer_load_dword v12, off, s[0:3], s32 offset:516 ; 4-byte Folded Reload
	v_bfe_u32 v11, v68, 16, 1
	v_or_b32_e32 v16, 0x400000, v68
	v_cmp_u_f32_e64 s7, v68, v68
	v_add3_u32 v11, v11, v68, 0x7fff
	v_cndmask_b32_e64 v124, v11, v16, s7
	s_waitcnt vmcnt(0)
	v_mul_f32_e32 v68, v46, v12
	buffer_load_dword v12, off, s[0:3], s32 offset:512 ; 4-byte Folded Reload
	v_bfe_u32 v11, v68, 16, 1
	v_or_b32_e32 v16, 0x400000, v68
	v_cmp_u_f32_e64 s7, v68, v68
	v_add3_u32 v11, v11, v68, 0x7fff
	v_cndmask_b32_e64 v125, v11, v16, s7
	s_waitcnt vmcnt(0)
	v_mul_f32_e32 v68, v46, v12
	buffer_load_dword v12, off, s[0:3], s32 offset:508 ; 4-byte Folded Reload
	v_bfe_u32 v71, v68, 16, 1
	v_or_b32_e32 v84, 0x400000, v68
	v_cmp_u_f32_e64 s8, v68, v68
	v_add3_u32 v71, v71, v68, 0x7fff
	v_cndmask_b32_e64 v68, v71, v84, s8
	v_and_b32_e32 v16, 0xffff0000, v68
	v_fmac_f32_e32 v17, v122, v16
	s_waitcnt vmcnt(0)
	v_mul_f32_e32 v84, v46, v12
	buffer_load_dword v12, off, s[0:3], s32 offset:504 ; 4-byte Folded Reload
	v_bfe_u32 v11, v84, 16, 1
	v_or_b32_e32 v16, 0x400000, v84
	v_cmp_u_f32_e64 s7, v84, v84
	v_add3_u32 v11, v11, v84, 0x7fff
	v_cndmask_b32_e64 v122, v11, v16, s7
	s_waitcnt vmcnt(0)
	v_mul_f32_e32 v68, v46, v12
	buffer_load_dword v12, off, s[0:3], s32 offset:500 ; 4-byte Folded Reload
	v_bfe_u32 v56, v68, 16, 1
	v_or_b32_e32 v16, 0x400000, v68
	v_cmp_u_f32_e64 s7, v68, v68
	v_add3_u32 v11, v56, v68, 0x7fff
	v_cndmask_b32_e64 v11, v11, v16, s7
	v_and_b32_e32 v11, 0xffff0000, v11
	v_fmac_f32_e32 v1, v121, v11
	s_waitcnt vmcnt(0)
	v_mul_f32_e32 v71, v46, v12
	buffer_load_dword v12, off, s[0:3], s32 offset:496 ; 4-byte Folded Reload
	v_bfe_u32 v84, v71, 16, 1
	v_add3_u32 v84, v84, v71, 0x7fff
	s_waitcnt vmcnt(0)
	v_mul_f32_e32 v88, v46, v12
	buffer_load_dword v12, off, s[0:3], s32 offset:492 ; 4-byte Folded Reload
	v_bfe_u32 v68, v88, 16, 1
	v_or_b32_e32 v89, 0x400000, v88
	v_cmp_u_f32_e64 s7, v88, v88
	v_add3_u32 v68, v68, v88, 0x7fff
	v_cndmask_b32_e64 v68, v68, v89, s7
	v_and_b32_e32 v68, 0xffff0000, v68
	v_fmac_f32_e32 v24, v35, v68
	v_and_b32_e32 v35, 0xffff0000, v122
	v_and_b32_e32 v68, 0xffff0000, v125
	v_fmac_f32_e32 v1, v32, v35
	v_and_b32_e32 v35, 0xffff0000, v91
	s_waitcnt vmcnt(0)
	v_mul_f32_e32 v56, v46, v12
	buffer_load_dword v12, off, s[0:3], s32 offset:488 ; 4-byte Folded Reload
	v_bfe_u32 v93, v56, 16, 1
	v_or_b32_e32 v11, 0x400000, v56
	v_cmp_u_f32_e64 s7, v56, v56
	v_add3_u32 v93, v93, v56, 0x7fff
	v_cndmask_b32_e64 v93, v93, v11, s7
	v_or_b32_e32 v11, 0x400000, v71
	v_and_b32_e32 v126, 0xffff0000, v93
	v_fmac_f32_e32 v0, v120, v126
	v_fmac_f32_e32 v0, v34, v68
	s_waitcnt vmcnt(0)
	v_mul_f32_e32 v88, v46, v12
	buffer_load_dword v12, off, s[0:3], s32 offset:448 ; 4-byte Folded Reload
	v_bfe_u32 v89, v88, 16, 1
	v_or_b32_e32 v121, 0x400000, v88
	v_cmp_u_f32_e64 s7, v88, v88
	v_add3_u32 v89, v89, v88, 0x7fff
	v_cndmask_b32_e64 v121, v89, v121, s7
	buffer_load_dword v89, off, s[0:3], s32 offset:400 ; 4-byte Folded Reload
	v_and_b32_e32 v120, 0xffff0000, v121
	v_and_b32_e32 v121, 0xffff0000, v123
	v_fmac_f32_e32 v17, v36, v120
	v_fmac_f32_e32 v24, v31, v121
	v_and_b32_e32 v36, 0xffff0000, v124
	v_fmac_f32_e32 v17, v33, v36
	v_and_b32_e32 v36, 0xffff0000, v90
	ds_read_b128 v[31:34], v113 offset:102
	s_waitcnt vmcnt(1)
	v_mul_f32_e32 v16, v46, v12
	buffer_load_dword v12, off, s[0:3], s32 offset:560 ; 4-byte Folded Reload
	v_bfe_u32 v95, v16, 16, 1
	v_or_b32_e32 v88, 0x400000, v16
	v_cmp_u_f32_e64 s7, v16, v16
	v_add3_u32 v56, v95, v16, 0x7fff
	s_waitcnt vmcnt(1)
	v_and_b32_e32 v93, 0xffff0000, v89
	v_lshlrev_b32_e32 v95, 16, v89
	buffer_load_dword v89, off, s[0:3], s32 offset:404 ; 4-byte Folded Reload
	v_cndmask_b32_e64 v16, v56, v88, s7
	v_cmp_u_f32_e64 s7, v71, v71
	v_cndmask_b32_e64 v11, v84, v11, s7
	s_waitcnt vmcnt(1)
	v_fmac_f32_e32 v1, v12, v107
	buffer_load_dword v12, off, s[0:3], s32 offset:564 ; 4-byte Folded Reload
	s_waitcnt vmcnt(0)
	v_fmac_f32_e32 v0, v12, v105
	buffer_load_dword v12, off, s[0:3], s32 offset:552 ; 4-byte Folded Reload
	;; [unrolled: 3-line block ×3, first 2 shown]
	v_and_b32_e32 v35, 0xffff0000, v40
	s_waitcnt vmcnt(0)
	v_fmac_f32_e32 v17, v12, v29
	buffer_load_dword v12, off, s[0:3], s32 offset:544 ; 4-byte Folded Reload
	s_waitcnt vmcnt(0)
	v_fmac_f32_e32 v1, v12, v36
	buffer_load_dword v12, off, s[0:3], s32 offset:548 ; 4-byte Folded Reload
	v_fmac_f32_e32 v1, v95, v15
	s_waitcnt vmcnt(0)
	v_fmac_f32_e32 v0, v12, v27
	buffer_load_dword v12, off, s[0:3], s32 offset:536 ; 4-byte Folded Reload
	v_lshlrev_b32_e32 v89, 16, v89
	v_fmac_f32_e32 v0, v93, v35
	s_waitcnt vmcnt(0)
	v_fmac_f32_e32 v24, v12, v14
	buffer_load_dword v12, off, s[0:3], s32 offset:540 ; 4-byte Folded Reload
	v_and_b32_e32 v14, 0xffff0000, v116
	v_fmac_f32_e32 v24, v89, v13
	ds_read_b128 v[88:91], v113 offset:134
	s_waitcnt vmcnt(0)
	v_fmac_f32_e32 v17, v12, v28
	ds_read_b128 v[27:30], v113 offset:118
	s_waitcnt lgkmcnt(2)
	v_lshlrev_b32_e32 v12, 16, v31
	v_and_b32_e32 v15, 0xffff0000, v31
	v_lshlrev_b32_e32 v31, 16, v32
	v_and_b32_e32 v13, 0xffff0000, v33
	v_fmac_f32_e32 v17, v12, v14
	v_fmac_f32_e32 v1, v15, v8
	;; [unrolled: 1-line block ×3, first 2 shown]
	v_and_b32_e32 v7, 0xffff0000, v32
	v_lshlrev_b32_e32 v8, 16, v33
	v_and_b32_e32 v12, 0xffff0000, v16
	v_lshlrev_b32_e32 v14, 16, v34
	v_and_b32_e32 v15, 0xffff0000, v98
	v_fmac_f32_e32 v24, v7, v6
	v_and_b32_e32 v6, 0xffff0000, v34
	v_fmac_f32_e32 v17, v8, v12
	;; [unrolled: 2-line block ×3, first 2 shown]
	v_fmac_f32_e32 v0, v14, v15
	s_waitcnt lgkmcnt(0)
	v_lshlrev_b32_e32 v7, 16, v27
	v_and_b32_e32 v10, 0xffff0000, v97
	v_fmac_f32_e32 v24, v6, v8
	v_and_b32_e32 v8, 0xffff0000, v2
	buffer_load_dword v2, off, s[0:3], s32 offset:532 ; 4-byte Folded Reload
	v_and_b32_e32 v12, 0xffff0000, v27
	v_lshlrev_b32_e32 v13, 16, v28
	v_and_b32_e32 v14, 0xffff0000, v52
	v_and_b32_e32 v15, 0xffff0000, v53
	v_fmac_f32_e32 v17, v7, v10
	v_and_b32_e32 v6, 0xffff0000, v28
	v_lshlrev_b32_e32 v7, 16, v29
	v_fmac_f32_e32 v1, v12, v14
	v_fmac_f32_e32 v0, v13, v15
	v_and_b32_e32 v10, 0xffff0000, v11
	v_and_b32_e32 v11, 0xffff0000, v29
	v_lshlrev_b32_e32 v16, 16, v30
	ds_read_b128 v[12:15], v113 offset:150
	v_fmac_f32_e32 v24, v6, v8
	v_fmac_f32_e32 v17, v7, v10
	;; [unrolled: 1-line block ×4, first 2 shown]
	v_and_b32_e32 v7, 0xffff0000, v30
	v_lshlrev_b32_e32 v8, 16, v88
	v_and_b32_e32 v10, 0xffff0000, v101
	v_and_b32_e32 v11, 0xffff0000, v103
	v_lshlrev_b32_e32 v19, 16, v89
	v_and_b32_e32 v16, 0xffff0000, v88
	v_and_b32_e32 v26, 0xffff0000, v100
	v_fmac_f32_e32 v24, v7, v10
	v_fmac_f32_e32 v17, v8, v11
	v_fmac_f32_e32 v0, v19, v9
	v_and_b32_e32 v8, 0xffff0000, v89
	v_lshlrev_b32_e32 v9, 16, v90
	v_and_b32_e32 v10, 0xffff0000, v85
	v_and_b32_e32 v11, 0xffff0000, v54
	v_lshlrev_b32_e32 v19, 16, v91
	v_fmac_f32_e32 v1, v16, v26
	v_and_b32_e32 v16, 0xffff0000, v90
	v_fmac_f32_e32 v24, v8, v10
	v_fmac_f32_e32 v17, v9, v11
	;; [unrolled: 1-line block ×3, first 2 shown]
	v_and_b32_e32 v10, 0xffff0000, v4
	v_and_b32_e32 v11, 0xffff0000, v5
	;; [unrolled: 1-line block ×3, first 2 shown]
	v_fmac_f32_e32 v1, v16, v21
	v_and_b32_e32 v9, 0xffff0000, v91
	s_waitcnt lgkmcnt(0)
	v_lshlrev_b32_e32 v8, 16, v12
	v_and_b32_e32 v12, 0xffff0000, v12
	v_lshlrev_b32_e32 v16, 16, v13
	v_and_b32_e32 v20, 0xffff0000, v22
	v_fmac_f32_e32 v24, v9, v10
	v_fmac_f32_e32 v17, v8, v11
	;; [unrolled: 1-line block ×3, first 2 shown]
	v_and_b32_e32 v9, 0xffff0000, v13
	v_fmac_f32_e32 v0, v16, v20
	v_lshlrev_b32_e32 v10, 16, v14
	v_and_b32_e32 v11, 0xffff0000, v118
	v_and_b32_e32 v12, 0xffff0000, v117
	;; [unrolled: 1-line block ×3, first 2 shown]
	v_lshlrev_b32_e32 v14, 16, v15
	v_and_b32_e32 v16, 0xffff0000, v102
	v_and_b32_e32 v19, 0xffff0000, v37
	v_fmac_f32_e32 v24, v9, v11
	v_fmac_f32_e32 v17, v10, v12
	v_and_b32_e32 v10, 0xffff0000, v15
	v_fmac_f32_e32 v1, v13, v16
	v_fmac_f32_e32 v0, v14, v19
	v_and_b32_e32 v11, 0xffff0000, v38
	v_and_b32_e32 v16, 0xffff0000, v112
	;; [unrolled: 1-line block ×4, first 2 shown]
	v_mbcnt_lo_u32_b32 v27, -1, 0
	v_fmac_f32_e32 v24, v10, v11
	v_and_b32_e32 v10, 0xffff0000, v87
	ds_read_b128 v[12:15], v113 offset:182
	v_xor_b32_e32 v6, 1, v27
	s_waitcnt vmcnt(0)
	v_mul_f32_e32 v7, v46, v2
	ds_read_b128 v[2:5], v113 offset:166
	v_bfe_u32 v8, v7, 16, 1
	v_cmp_u_f32_e64 s7, v7, v7
	s_waitcnt lgkmcnt(0)
	v_lshlrev_b32_e32 v9, 16, v2
	v_and_b32_e32 v19, 0xffff0000, v2
	v_lshlrev_b32_e32 v20, 16, v3
	v_add3_u32 v2, v8, v7, 0x7fff
	v_and_b32_e32 v11, 0xffff0000, v3
	v_fmac_f32_e32 v17, v9, v16
	v_fmac_f32_e32 v1, v19, v21
	v_fmac_f32_e32 v0, v20, v22
	v_lshlrev_b32_e32 v16, 16, v4
	v_and_b32_e32 v19, 0xffff0000, v76
	v_and_b32_e32 v4, 0xffff0000, v4
	v_lshlrev_b32_e32 v8, 16, v5
	v_and_b32_e32 v9, 0xffff0000, v74
	v_and_b32_e32 v20, 0xffff0000, v83
	v_fmac_f32_e32 v24, v11, v19
	v_lshlrev_b32_e32 v19, 16, v13
	v_fmac_f32_e32 v0, v8, v10
	v_fmac_f32_e32 v1, v4, v9
	v_and_b32_e32 v4, 0xffff0000, v5
	v_and_b32_e32 v8, 0xffff0000, v72
	v_fmac_f32_e32 v17, v16, v20
	v_lshlrev_b32_e32 v5, 16, v12
	v_and_b32_e32 v16, 0xffff0000, v73
	v_and_b32_e32 v12, 0xffff0000, v12
	v_fmac_f32_e32 v24, v4, v8
	ds_read_b128 v[8:11], v113 offset:198
	v_and_b32_e32 v20, 0xffff0000, v127
	v_fmac_f32_e32 v17, v5, v16
	v_and_b32_e32 v4, 0xffff0000, v13
	v_lshlrev_b32_e32 v5, 16, v14
	v_and_b32_e32 v13, 0xffff0000, v61
	v_fmac_f32_e32 v1, v12, v20
	v_and_b32_e32 v12, 0xffff0000, v60
	v_or_b32_e32 v3, 0x400000, v7
	v_and_b32_e32 v21, 0xffff0000, v50
	v_fmac_f32_e32 v17, v5, v13
	v_and_b32_e32 v7, 0xffff0000, v15
	v_fmac_f32_e32 v24, v4, v12
	;; [unrolled: 2-line block ×3, first 2 shown]
	v_lshlrev_b32_e32 v16, 16, v15
	v_cndmask_b32_e64 v21, v2, v3, s7
	ds_read_b128 v[2:5], v113 offset:214
	v_fmac_f32_e32 v24, v7, v13
	v_and_b32_e32 v14, 0xffff0000, v14
	s_waitcnt lgkmcnt(1)
	v_lshlrev_b32_e32 v15, 16, v9
	v_and_b32_e32 v7, 0xffff0000, v9
	v_and_b32_e32 v9, 0xffff0000, v106
	;; [unrolled: 1-line block ×4, first 2 shown]
	v_lshlrev_b32_e32 v12, 16, v8
	v_and_b32_e32 v8, 0xffff0000, v8
	v_fmac_f32_e32 v24, v7, v9
	buffer_load_dword v7, off, s[0:3], s32 offset:380 ; 4-byte Folded Reload
	v_fmac_f32_e32 v1, v14, v19
	v_fmac_f32_e32 v0, v16, v20
	v_and_b32_e32 v14, 0xffff0000, v66
	v_and_b32_e32 v16, 0xffff0000, v96
	;; [unrolled: 1-line block ×3, first 2 shown]
	v_lshlrev_b32_e32 v13, 16, v11
	v_and_b32_e32 v11, 0xffff0000, v11
	v_fmac_f32_e32 v17, v12, v14
	v_fmac_f32_e32 v1, v8, v16
	;; [unrolled: 1-line block ×3, first 2 shown]
	v_lshlrev_b32_e32 v8, 16, v10
	v_and_b32_e32 v12, 0xffff0000, v104
	v_and_b32_e32 v10, 0xffff0000, v10
	;; [unrolled: 1-line block ×4, first 2 shown]
	v_fmac_f32_e32 v17, v8, v12
	s_waitcnt lgkmcnt(0)
	v_lshlrev_b32_e32 v12, 16, v2
	v_fmac_f32_e32 v1, v10, v14
	v_fmac_f32_e32 v0, v13, v15
	v_and_b32_e32 v13, 0xffff0000, v111
	v_and_b32_e32 v14, 0xffff0000, v110
	;; [unrolled: 1-line block ×3, first 2 shown]
	v_lshlrev_b32_e32 v15, 16, v3
	v_fmac_f32_e32 v24, v11, v13
	v_fmac_f32_e32 v17, v12, v14
	s_clause 0x2
	buffer_load_dword v11, off, s[0:3], s32 offset:332
	buffer_load_dword v14, off, s[0:3], s32 offset:336
	;; [unrolled: 1-line block ×3, first 2 shown]
	v_lshlrev_b32_e32 v13, 16, v5
	s_waitcnt vmcnt(3)
	v_and_b32_e32 v19, 0xffff0000, v7
	buffer_load_dword v7, off, s[0:3], s32 offset:324 ; 4-byte Folded Reload
	v_fmac_f32_e32 v1, v2, v19
	v_and_b32_e32 v2, 0xffff0000, v3
	v_lshlrev_b32_e32 v3, 16, v4
	v_and_b32_e32 v4, 0xffff0000, v4
	s_waitcnt vmcnt(3)
	v_and_b32_e32 v11, 0xffff0000, v11
	s_waitcnt vmcnt(2)
	;; [unrolled: 2-line block ×3, first 2 shown]
	v_and_b32_e32 v12, 0xffff0000, v12
	v_fmac_f32_e32 v24, v2, v11
	v_fmac_f32_e32 v1, v4, v14
	buffer_load_dword v14, off, s[0:3], s32 offset:480 ; 4-byte Folded Reload
	v_and_b32_e32 v4, 0xffff0000, v5
	buffer_load_dword v11, off, s[0:3], s32 offset:484 ; 4-byte Folded Reload
	v_fmac_f32_e32 v17, v3, v12
	ds_read_b64 v[2:3], v113 offset:246
	s_waitcnt vmcnt(2)
	v_and_b32_e32 v22, 0xffff0000, v7
	ds_read_b128 v[7:10], v113 offset:230
	v_fmac_f32_e32 v0, v15, v22
	buffer_load_dword v15, off, s[0:3], s32 offset:340 ; 4-byte Folded Reload
	s_waitcnt lgkmcnt(0)
	v_lshlrev_b32_e32 v5, 16, v7
	v_and_b32_e32 v7, 0xffff0000, v7
	s_waitcnt vmcnt(2)
	v_and_b32_e32 v14, 0xffff0000, v14
	v_fmac_f32_e32 v1, v7, v14
	s_clause 0x1
	buffer_load_dword v7, off, s[0:3], s32 offset:468
	buffer_load_dword v12, off, s[0:3], s32 offset:344
	s_waitcnt vmcnt(3)
	v_and_b32_e32 v11, 0xffff0000, v11
	v_mul_f32_e32 v20, v46, v18
	ds_read_u16 v14, v113 offset:254
	v_fmac_f32_e32 v24, v4, v11
	v_and_b32_e32 v4, 0xffff0000, v8
	v_lshlrev_b32_e32 v11, 16, v10
	v_bfe_u32 v16, v20, 16, 1
	v_or_b32_e32 v18, 0x400000, v20
	v_cmp_u_f32_e64 s7, v20, v20
	v_add3_u32 v16, v16, v20, 0x7fff
	s_waitcnt vmcnt(2)
	v_and_b32_e32 v15, 0xffff0000, v15
	v_fmac_f32_e32 v0, v13, v15
	buffer_load_dword v15, off, s[0:3], s32 offset:476 ; 4-byte Folded Reload
	v_lshlrev_b32_e32 v13, 16, v8
	buffer_load_dword v8, off, s[0:3], s32 offset:472 ; 4-byte Folded Reload
	s_waitcnt vmcnt(3)
	v_and_b32_e32 v7, 0xffff0000, v7
	s_waitcnt vmcnt(2)
	v_and_b32_e32 v12, 0xffff0000, v12
	v_fmac_f32_e32 v24, v4, v7
	v_fmac_f32_e32 v17, v5, v12
	s_clause 0x1
	buffer_load_dword v12, off, s[0:3], s32 offset:464
	buffer_load_dword v7, off, s[0:3], s32 offset:444
	v_lshlrev_b32_e32 v5, 16, v9
	v_and_b32_e32 v9, 0xffff0000, v9
	v_and_b32_e32 v4, 0xffff0000, v10
	v_lshlrev_b32_e32 v10, 16, v3
	s_waitcnt vmcnt(3)
	v_and_b32_e32 v15, 0xffff0000, v15
	s_waitcnt vmcnt(2)
	v_and_b32_e32 v8, 0xffff0000, v8
	v_fmac_f32_e32 v0, v13, v15
	buffer_load_dword v13, off, s[0:3], s32 offset:460 ; 4-byte Folded Reload
	v_fmac_f32_e32 v17, v5, v8
	v_lshlrev_b32_e32 v5, 16, v2
	v_and_b32_e32 v2, 0xffff0000, v2
	v_cndmask_b32_e64 v15, v16, v18, s7
	v_cmp_gt_i32_e64 s7, 32, v6
	s_waitcnt vmcnt(2)
	v_and_b32_e32 v12, 0xffff0000, v12
	v_fmac_f32_e32 v1, v9, v12
	s_clause 0x1
	buffer_load_dword v9, off, s[0:3], s32 offset:452
	buffer_load_dword v8, off, s[0:3], s32 offset:424
	s_waitcnt vmcnt(3)
	v_and_b32_e32 v7, 0xffff0000, v7
	v_fmac_f32_e32 v24, v4, v7
	s_waitcnt lgkmcnt(0)
	v_lshlrev_b32_e32 v4, 16, v14
	s_waitcnt vmcnt(2)
	v_and_b32_e32 v13, 0xffff0000, v13
	v_fmac_f32_e32 v0, v11, v13
	buffer_load_dword v11, off, s[0:3], s32 offset:408 ; 4-byte Folded Reload
	s_waitcnt vmcnt(2)
	v_and_b32_e32 v9, 0xffff0000, v9
	s_waitcnt vmcnt(1)
	v_and_b32_e32 v8, 0xffff0000, v8
	v_fmac_f32_e32 v17, v5, v9
	v_fmac_f32_e32 v1, v2, v8
	v_and_b32_e32 v2, 0xffff0000, v3
	v_and_b32_e32 v3, 0xffff0000, v21
	v_and_b32_e32 v5, 0xffff0000, v15
	v_fmac_f32_e32 v24, v2, v3
	v_fmac_f32_e32 v17, v4, v5
	s_waitcnt vmcnt(0)
	v_and_b32_e32 v11, 0xffff0000, v11
	v_fmac_f32_e32 v0, v10, v11
	v_add_f32_e32 v0, v1, v0
	v_cndmask_b32_e64 v1, v27, v6, s7
	v_add_f32_e32 v0, v0, v24
	v_lshlrev_b32_e32 v1, 2, v1
	v_add_f32_e32 v0, v17, v0
	ds_bpermute_b32 v1, v1, v0
	s_and_saveexec_b32 s8, vcc_lo
	s_cbranch_execz .LBB331_10
; %bb.1042:                             ;   in Loop: Header=BB331_12 Depth=1
	s_clause 0x2
	buffer_load_dword v2, off, s[0:3], s32 offset:612
	buffer_load_dword v4, off, s[0:3], s32 offset:208
	;; [unrolled: 1-line block ×3, first 2 shown]
	s_waitcnt lgkmcnt(0)
	v_add_f32_e32 v0, v0, v1
	s_load_dword s22, s[12:13], 0x0
	s_waitcnt vmcnt(1)
	v_add_nc_u32_e32 v2, v2, v4
	v_cvt_f32_i32_e32 v2, v2
	s_waitcnt vmcnt(0)
	v_mul_f32_e32 v2, v3, v2
	buffer_load_dword v3, off, s[0:3], s32 offset:604 ; 4-byte Folded Reload
	v_cndmask_b32_e64 v1, 0, v2, s6
	buffer_load_dword v2, off, s[0:3], s32 offset:608 ; 4-byte Folded Reload
	s_waitcnt vmcnt(1)
	v_fmac_f32_e32 v1, v3, v0
	buffer_load_dword v3, off, s[0:3], s32 offset:584 ; 4-byte Folded Reload
	s_waitcnt vmcnt(1)
	v_add_nc_u32_e32 v2, v2, v4
	v_cmp_lt_i32_e64 s7, v2, v82
	buffer_load_dword v2, off, s[0:3], s32 offset:204 ; 4-byte Folded Reload
	s_waitcnt vmcnt(1)
	v_max_f32_e32 v0, v3, v3
	v_max_f32_e32 v0, v0, v1
	v_cndmask_b32_e64 v1, 0, v1, s7
	s_waitcnt vmcnt(0) lgkmcnt(0)
	v_add_nc_u32_e32 v2, s22, v2
	v_cndmask_b32_e64 v3, v3, v0, s7
	ds_write_b32 v2, v1
	buffer_store_dword v3, off, s[0:3], s32 offset:584 ; 4-byte Folded Spill
	s_branch .LBB331_10
.LBB331_1043:
	s_or_b32 exec_lo, exec_lo, s20
	s_clause 0x10
	buffer_load_dword v29, off, s[0:3], s32 offset:620
	buffer_load_dword v30, off, s[0:3], s32 offset:624
	buffer_load_dword v45, off, s[0:3], s32 offset:628
	buffer_load_dword v11, off, s[0:3], s32 offset:644
	buffer_load_dword v18, off, s[0:3], s32 offset:648
	buffer_load_dword v26, off, s[0:3], s32 offset:652
	buffer_load_dword v20, off, s[0:3], s32 offset:656
	buffer_load_dword v21, off, s[0:3], s32 offset:660
	buffer_load_dword v15, off, s[0:3], s32 offset:664
	buffer_load_dword v16, off, s[0:3], s32 offset:668
	buffer_load_dword v17, off, s[0:3], s32 offset:672
	buffer_load_dword v19, off, s[0:3], s32 offset:676
	buffer_load_dword v22, off, s[0:3], s32 offset:680
	buffer_load_dword v23, off, s[0:3], s32 offset:684
	buffer_load_dword v24, off, s[0:3], s32 offset:688
	buffer_load_dword v83, off, s[0:3], s32 offset:388
	buffer_load_dword v8, off, s[0:3], s32 offset:584
.LBB331_1044:
	s_or_b32 exec_lo, exec_lo, s9
	v_mbcnt_lo_u32_b32 v6, -1, 0
	s_waitcnt vmcnt(0)
	v_max_f32_e32 v4, v8, v8
	v_and_b32_e32 v12, 31, v29
	s_waitcnt lgkmcnt(0)
	s_lshr_b32 s12, s17, 16
	v_xor_b32_e32 v0, 16, v6
	v_xor_b32_e32 v1, 8, v6
	;; [unrolled: 1-line block ×3, first 2 shown]
	v_cmp_gt_i32_e32 vcc_lo, 32, v0
	v_cndmask_b32_e32 v0, v6, v0, vcc_lo
	v_cmp_gt_i32_e32 vcc_lo, 32, v1
	v_lshlrev_b32_e32 v2, 2, v0
	v_cndmask_b32_e32 v1, v6, v1, vcc_lo
	ds_bpermute_b32 v0, v2, v8
	v_lshlrev_b32_e32 v3, 2, v1
	s_waitcnt lgkmcnt(0)
	v_max_f32_e32 v0, v0, v0
	v_max_f32_e32 v0, v4, v0
	v_xor_b32_e32 v4, 4, v6
	ds_bpermute_b32 v1, v3, v0
	v_cmp_gt_i32_e32 vcc_lo, 32, v4
	v_cndmask_b32_e32 v4, v6, v4, vcc_lo
	v_cmp_gt_i32_e32 vcc_lo, 32, v5
	v_lshlrev_b32_e32 v4, 2, v4
	v_cndmask_b32_e32 v5, v6, v5, vcc_lo
	v_cmp_eq_u32_e32 vcc_lo, 0, v12
	s_waitcnt lgkmcnt(0)
	v_max_f32_e32 v1, v1, v1
	v_max_f32_e32 v0, v0, v1
	ds_bpermute_b32 v1, v4, v0
	s_waitcnt lgkmcnt(0)
	v_max_f32_e32 v1, v1, v1
	v_max_f32_e32 v0, v0, v1
	v_lshlrev_b32_e32 v1, 2, v5
	v_lshlrev_b32_e32 v5, 2, v45
	ds_bpermute_b32 v6, v1, v0
	s_and_saveexec_b32 s6, vcc_lo
	s_cbranch_execz .LBB331_1046
; %bb.1045:
	s_waitcnt lgkmcnt(0)
	v_max_f32_e32 v6, v6, v6
	v_max_f32_e32 v0, v0, v0
	;; [unrolled: 1-line block ×3, first 2 shown]
	ds_write_b32 v5, v0 offset:512
.LBB331_1046:
	s_or_b32 exec_lo, exec_lo, s6
	v_cmp_gt_u32_e64 s6, 4, v12
	v_mov_b32_e32 v0, 0xff7fffff
	s_waitcnt lgkmcnt(0)
	v_lshlrev_b32_e32 v6, 2, v12
	s_waitcnt_vscnt null, 0x0
	s_barrier
	buffer_gl0_inv
	s_and_saveexec_b32 s7, s6
; %bb.1047:
	ds_read_b32 v0, v6 offset:512
; %bb.1048:
	s_or_b32 exec_lo, exec_lo, s7
	s_waitcnt lgkmcnt(0)
	ds_bpermute_b32 v7, v1, v0
	v_mbcnt_lo_u32_b32 v9, -1, 0
	v_max_f32_e32 v0, v0, v0
	v_xor_b32_e32 v8, 1, v9
	v_cmp_gt_i32_e64 s7, 32, v8
	v_cndmask_b32_e64 v8, v9, v8, s7
	s_waitcnt lgkmcnt(0)
	v_max_f32_e32 v7, v7, v7
	v_lshlrev_b32_e32 v13, 2, v8
	v_mov_b32_e32 v8, 0
	v_max_f32_e32 v0, v0, v7
	ds_bpermute_b32 v7, v13, v0
	s_waitcnt lgkmcnt(0)
	v_max_f32_e32 v7, v7, v7
	v_max_f32_e32 v0, v0, v7
	ds_bpermute_b32 v7, v8, v0
	buffer_load_dword v0, off, s[0:3], s32 offset:200 ; 4-byte Folded Reload
	s_waitcnt vmcnt(0)
	v_lshlrev_b32_e32 v0, 4, v0
	v_min_i32_e32 v0, v0, v82
	v_cmp_lt_i32_e64 s7, v29, v0
	s_and_saveexec_b32 s9, s7
	s_cbranch_execz .LBB331_1052
; %bb.1049:
	s_getpc_b64 s[20:21]
	s_add_u32 s20, s20, llvm.amdgcn.dynlds.offset.table@rel32@lo+4
	s_addc_u32 s21, s21, llvm.amdgcn.dynlds.offset.table@rel32@hi+12
	s_ashr_i32 s19, s18, 31
	v_mov_b32_e32 v8, 0
	s_lshl_b64 s[22:23], s[18:19], 2
	v_mov_b32_e32 v10, v29
	s_add_u32 s20, s20, s22
	s_addc_u32 s21, s21, s23
	s_mov_b32 s13, 0
	s_load_dword s8, s[20:21], 0x0
	s_waitcnt lgkmcnt(0)
	v_lshl_add_u32 v9, v29, 2, s8
	.p2align	6
.LBB331_1050:                           ; =>This Inner Loop Header: Depth=1
	ds_read_b32 v14, v9
	v_add_nc_u32_e32 v10, 0x80, v10
	v_cmp_ge_i32_e64 s8, v10, v0
	s_or_b32 s13, s8, s13
	s_waitcnt lgkmcnt(0)
	v_sub_f32_e32 v14, v14, v7
	v_mul_f32_e32 v14, 0x3fb8aa3b, v14
	v_exp_f32_e32 v14, v14
	ds_write_b32 v9, v14
	v_add_f32_e32 v8, v8, v14
	v_add_nc_u32_e32 v9, 0x200, v9
	s_andn2_b32 exec_lo, exec_lo, s13
	s_cbranch_execnz .LBB331_1050
; %bb.1051:
	s_or_b32 exec_lo, exec_lo, s13
.LBB331_1052:
	s_or_b32 exec_lo, exec_lo, s9
	ds_bpermute_b32 v2, v2, v8
	s_waitcnt lgkmcnt(0)
	v_add_f32_e32 v2, v8, v2
	ds_bpermute_b32 v3, v3, v2
	s_waitcnt lgkmcnt(0)
	v_add_f32_e32 v2, v2, v3
	;; [unrolled: 3-line block ×5, first 2 shown]
	s_and_saveexec_b32 s8, vcc_lo
; %bb.1053:
	ds_write_b32 v5, v2 offset:528
; %bb.1054:
	s_or_b32 exec_lo, exec_lo, s8
	s_waitcnt lgkmcnt(0)
	s_barrier
	buffer_gl0_inv
	s_and_saveexec_b32 s8, s6
; %bb.1055:
	ds_read_b32 v2, v6 offset:528
; %bb.1056:
	s_or_b32 exec_lo, exec_lo, s8
	s_waitcnt lgkmcnt(0)
	ds_bpermute_b32 v1, v1, v2
	s_waitcnt lgkmcnt(0)
	v_add_f32_e32 v1, v2, v1
	ds_bpermute_b32 v2, v13, v1
	s_waitcnt lgkmcnt(0)
	v_add_f32_e32 v1, v1, v2
	v_mov_b32_e32 v2, 0
	ds_bpermute_b32 v1, v2, v1
	s_and_saveexec_b32 s6, s7
	s_cbranch_execz .LBB331_1059
; %bb.1057:
	s_waitcnt lgkmcnt(0)
	v_add_f32_e32 v2, 0x358637bd, v1
	s_getpc_b64 s[8:9]
	s_add_u32 s8, s8, llvm.amdgcn.dynlds.offset.table@rel32@lo+4
	s_addc_u32 s9, s9, llvm.amdgcn.dynlds.offset.table@rel32@hi+12
	s_ashr_i32 s19, s18, 31
	s_lshl_b64 s[20:21], s[18:19], 2
	v_div_scale_f32 v1, null, v2, v2, 1.0
	v_div_scale_f32 v5, vcc_lo, 1.0, v2, 1.0
	s_add_u32 s8, s8, s20
	v_rcp_f32_e32 v3, v1
	s_addc_u32 s9, s9, s21
	s_load_dword s7, s[8:9], 0x0
	v_fma_f32 v4, -v1, v3, 1.0
	v_fmac_f32_e32 v3, v4, v3
	v_mul_f32_e32 v4, v5, v3
	v_fma_f32 v6, -v1, v4, v5
	v_fmac_f32_e32 v4, v6, v3
	v_fma_f32 v1, -v1, v4, v5
	v_div_fmas_f32 v3, v1, v3, v4
	s_waitcnt lgkmcnt(0)
	v_lshl_add_u32 v1, v29, 2, s7
	s_mov_b32 s7, 0
	v_div_fixup_f32 v2, v3, v2, 1.0
	v_mov_b32_e32 v3, v29
.LBB331_1058:                           ; =>This Inner Loop Header: Depth=1
	ds_read_b32 v4, v1
	v_add_nc_u32_e32 v3, 0x80, v3
	v_cmp_ge_i32_e32 vcc_lo, v3, v0
	s_or_b32 s7, vcc_lo, s7
	s_waitcnt lgkmcnt(0)
	v_mul_f32_e32 v4, v2, v4
	ds_write_b32 v1, v4
	v_add_nc_u32_e32 v1, 0x200, v1
	s_andn2_b32 exec_lo, exec_lo, s7
	s_cbranch_execnz .LBB331_1058
.LBB331_1059:
	s_or_b32 exec_lo, exec_lo, s6
	s_waitcnt lgkmcnt(0)
	s_barrier
	buffer_gl0_inv
	s_and_saveexec_b32 s6, s5
	s_xor_b32 s5, exec_lo, s6
	s_cbranch_execz .LBB331_1061
; %bb.1060:
                                        ; implicit-def: $vgpr0
                                        ; kill: killed $vgpr0
	s_ashr_i32 s19, s18, 31
                                        ; implicit-def: $vgpr0
                                        ; implicit-def: $vgpr82
                                        ; implicit-def: $vgpr83
                                        ; implicit-def: $vgpr21
                                        ; implicit-def: $vgpr20
                                        ; implicit-def: $vgpr18
                                        ; implicit-def: $vgpr11
                                        ; implicit-def: $vgpr26
                                        ; implicit-def: $vgpr22
                                        ; implicit-def: $vgpr24
                                        ; implicit-def: $vgpr23
                                        ; implicit-def: $vgpr19
                                        ; implicit-def: $vgpr16_vgpr17
                                        ; implicit-def: $vgpr15
	buffer_store_dword v0, off, s[0:3], s32 offset:212 ; 4-byte Folded Spill
	buffer_store_dword v1, off, s[0:3], s32 offset:216 ; 4-byte Folded Spill
                                        ; implicit-def: $vgpr0
                                        ; kill: killed $vgpr0
                                        ; implicit-def: $vgpr0
                                        ; kill: killed $vgpr0
	;; [unrolled: 2-line block ×3, first 2 shown]
                                        ; implicit-def: $vgpr0_vgpr1
                                        ; kill: killed $vgpr0_vgpr1
                                        ; implicit-def: $vgpr0
                                        ; kill: killed $vgpr0
                                        ; implicit-def: $vgpr0
                                        ; kill: killed $vgpr0
.LBB331_1061:
	s_or_saveexec_b32 s13, s5
	v_mov_b32_e32 v2, s18
	v_mov_b32_e32 v14, 0
	;; [unrolled: 1-line block ×18, first 2 shown]
	s_xor_b32 exec_lo, exec_lo, s13
	s_cbranch_execz .LBB331_2123
; %bb.1062:
	v_max_i32_e32 v65, v26, v23
	v_and_b32_e32 v0, 8, v15
	buffer_store_dword v13, off, s[0:3], s32 offset:464 ; 4-byte Folded Spill
	buffer_store_dword v12, off, s[0:3], s32 offset:460 ; 4-byte Folded Spill
	v_add_co_u32 v1, vcc_lo, v21, v22
	v_and_b32_e32 v3, 0xf8, v15
	buffer_store_dword v0, off, s[0:3], s32 offset:448 ; 4-byte Folded Spill
	v_cvt_f32_u32_e32 v0, v65
	v_sub_nc_u32_e32 v6, 0, v65
	v_add_co_ci_u32_e64 v2, null, v20, v24, vcc_lo
	v_add_co_u32 v1, vcc_lo, v1, v3
	v_rcp_iflag_f32_e32 v0, v0
	v_add_co_ci_u32_e64 v2, null, 0, v2, vcc_lo
	buffer_store_dword v1, off, s[0:3], s32 offset:452 ; 4-byte Folded Spill
	buffer_store_dword v2, off, s[0:3], s32 offset:456 ; 4-byte Folded Spill
	v_and_b32_e32 v5, 0x7c, v19
	v_and_b32_e32 v4, 1, v29
	v_mov_b32_e32 v97, v45
	v_mul_f32_e32 v0, 0x4f7ffffe, v0
	s_ashr_i32 s19, s18, 31
	v_add_co_u32 v3, vcc_lo, v5, v16
	v_lshlrev_b32_e32 v1, 5, v4
	v_cvt_u32_f32_e32 v0, v0
	v_add_co_ci_u32_e64 v4, null, 0, v17, vcc_lo
	v_add_co_u32 v19, vcc_lo, v18, v3
	v_mul_lo_u32 v6, v6, v0
	s_getpc_b64 s[8:9]
	s_add_u32 s8, s8, llvm.amdgcn.dynlds.offset.table@rel32@lo+4
	s_addc_u32 s9, s9, llvm.amdgcn.dynlds.offset.table@rel32@hi+12
	v_mov_b32_e32 v12, 0
	v_mov_b32_e32 v67, 0x80
	;; [unrolled: 1-line block ×6, first 2 shown]
	v_mul_hi_u32 v2, v0, v6
	v_mov_b32_e32 v113, 0
	v_mov_b32_e32 v85, 0
	s_lshl_b64 s[20:21], s[18:19], 2
	v_lshl_or_b32 v52, v97, 6, v1
	v_add_co_ci_u32_e64 v20, null, v11, v4, vcc_lo
	v_mov_b32_e32 v50, 0
	v_add_nc_u32_e32 v0, v0, v2
	buffer_load_dword v2, off, s[0:3], s32 offset:640 ; 4-byte Folded Reload
	v_mov_b32_e32 v36, 0
	v_mov_b32_e32 v31, 0
	;; [unrolled: 1-line block ×10, first 2 shown]
	s_mov_b32 s6, -1
	s_add_u32 s8, s8, s20
	s_mov_b32 s7, 0xffffff
	s_mov_b32 s17, 0
	s_addc_u32 s9, s9, s21
	buffer_store_dword v0, off, s[0:3], s32 offset:356 ; 4-byte Folded Spill
	s_branch .LBB331_1065
.LBB331_1063:                           ;   in Loop: Header=BB331_1065 Depth=1
	s_or_b32 exec_lo, exec_lo, s5
	v_bfe_u32 v71, v6, 16, 1
	v_or_b32_e32 v63, 0x400000, v6
	v_cmp_u_f32_e32 vcc_lo, v6, v6
	v_lshlrev_b32_e32 v68, 16, v68
	v_lshlrev_b32_e32 v41, 16, v41
	v_add3_u32 v71, v71, v6, 0x7fff
	v_lshlrev_b32_e32 v42, 16, v42
	v_lshlrev_b32_e32 v113, 16, v113
	;; [unrolled: 1-line block ×4, first 2 shown]
	v_cndmask_b32_e32 v6, v71, v63, vcc_lo
	v_bfe_u32 v71, v7, 16, 1
	v_or_b32_e32 v63, 0x400000, v7
	v_cmp_u_f32_e32 vcc_lo, v7, v7
	v_lshlrev_b32_e32 v98, 16, v98
	v_lshlrev_b32_e32 v64, 16, v64
	v_add3_u32 v71, v71, v7, 0x7fff
	v_lshlrev_b32_e32 v21, 16, v21
	v_lshlrev_b32_e32 v51, 16, v51
	;; [unrolled: 1-line block ×4, first 2 shown]
	v_cndmask_b32_e32 v7, v71, v63, vcc_lo
	v_bfe_u32 v71, v8, 16, 1
	v_or_b32_e32 v63, 0x400000, v8
	v_cmp_u_f32_e32 vcc_lo, v8, v8
	v_lshlrev_b32_e32 v50, 16, v50
	v_lshlrev_b32_e32 v55, 16, v55
	v_add3_u32 v71, v71, v8, 0x7fff
	v_bfe_u32 v8, v9, 16, 1
	v_lshlrev_b32_e32 v34, 16, v34
	v_lshlrev_b32_e32 v35, 16, v35
	;; [unrolled: 1-line block ×3, first 2 shown]
	v_cndmask_b32_e32 v71, v71, v63, vcc_lo
	v_add3_u32 v8, v8, v9, 0x7fff
	v_or_b32_e32 v63, 0x400000, v9
	v_cmp_u_f32_e32 vcc_lo, v9, v9
	v_or_b32_e32 v9, 0x400000, v2
	v_lshlrev_b32_e32 v33, 16, v33
	v_lshlrev_b32_e32 v36, 16, v36
	;; [unrolled: 1-line block ×3, first 2 shown]
	v_cndmask_b32_e32 v63, v8, v63, vcc_lo
	v_bfe_u32 v8, v2, 16, 1
	v_cmp_u_f32_e32 vcc_lo, v2, v2
	v_lshlrev_b32_e32 v18, 16, v18
	v_lshlrev_b32_e32 v16, 16, v16
	;; [unrolled: 1-line block ×3, first 2 shown]
	v_add3_u32 v8, v8, v2, 0x7fff
	v_lshlrev_b32_e32 v31, 16, v31
	v_lshlrev_b32_e32 v15, 16, v15
	;; [unrolled: 1-line block ×4, first 2 shown]
	v_cndmask_b32_e32 v2, v8, v9, vcc_lo
	v_bfe_u32 v8, v3, 16, 1
	v_or_b32_e32 v9, 0x400000, v3
	v_cmp_u_f32_e32 vcc_lo, v3, v3
	v_lshlrev_b32_e32 v1, 16, v1
	v_lshlrev_b32_e32 v0, 16, v0
	v_add3_u32 v8, v8, v3, 0x7fff
	v_cndmask_b32_e32 v3, v8, v9, vcc_lo
	v_bfe_u32 v8, v4, 16, 1
	v_or_b32_e32 v9, 0x400000, v4
	v_cmp_u_f32_e32 vcc_lo, v4, v4
	v_add3_u32 v8, v8, v4, 0x7fff
	v_bfe_u32 v4, v5, 16, 1
	v_cndmask_b32_e32 v72, v8, v9, vcc_lo
	v_add3_u32 v4, v4, v5, 0x7fff
	v_or_b32_e32 v8, 0x400000, v5
	v_cmp_u_f32_e32 vcc_lo, v5, v5
	v_and_b32_e32 v9, 0xffff0000, v6
	v_cndmask_b32_e32 v73, v4, v8, vcc_lo
	v_and_b32_e32 v8, 0xffff0000, v7
	v_lshlrev_b32_e32 v4, 16, v61
	v_mul_f32_e32 v21, v9, v21
	v_mul_f32_e32 v30, v9, v30
	;; [unrolled: 1-line block ×5, first 2 shown]
	v_bfe_u32 v5, v4, 16, 1
	v_or_b32_e32 v7, 0x400000, v4
	v_cmp_u_f32_e32 vcc_lo, v4, v4
	v_add3_u32 v5, v5, v4, 0x7fff
	v_lshlrev_b32_e32 v4, 16, v70
	v_cndmask_b32_e32 v61, v5, v7, vcc_lo
	v_mul_f32_e32 v4, v9, v4
	v_and_b32_e32 v61, 0xffff0000, v61
	v_bfe_u32 v5, v4, 16, 1
	v_or_b32_e32 v6, 0x400000, v4
	v_cmp_u_f32_e32 vcc_lo, v4, v4
	v_add3_u32 v5, v5, v4, 0x7fff
	v_lshlrev_b32_e32 v4, 16, v59
	v_cndmask_b32_e32 v70, v5, v6, vcc_lo
	v_and_b32_e32 v6, 0xffff0000, v63
	v_and_b32_e32 v70, 0xffff0000, v70
	v_mul_f32_e32 v4, v6, v4
	v_mul_f32_e32 v51, v6, v51
	;; [unrolled: 1-line block ×4, first 2 shown]
	v_add_f32_e32 v70, v70, v61
	v_bfe_u32 v5, v4, 16, 1
	v_or_b32_e32 v7, 0x400000, v4
	v_cmp_u_f32_e32 vcc_lo, v4, v4
	v_mul_f32_e32 v15, v6, v15
	v_add3_u32 v5, v5, v4, 0x7fff
	v_lshlrev_b32_e32 v4, 16, v60
	v_cndmask_b32_e32 v59, v5, v7, vcc_lo
	v_and_b32_e32 v7, 0xffff0000, v71
	v_and_b32_e32 v59, 0xffff0000, v59
	v_mul_f32_e32 v4, v7, v4
	v_mul_f32_e32 v54, v7, v54
	;; [unrolled: 1-line block ×4, first 2 shown]
	v_bfe_u32 v5, v4, 16, 1
	v_or_b32_e32 v71, 0x400000, v4
	v_cmp_u_f32_e32 vcc_lo, v4, v4
	v_add3_u32 v5, v5, v4, 0x7fff
	v_and_b32_e32 v4, 0xffff0000, v3
	v_lshlrev_b32_e32 v3, 16, v57
	v_cndmask_b32_e32 v71, v5, v71, vcc_lo
	v_mul_f32_e32 v41, v4, v41
	v_mul_f32_e32 v3, v4, v3
	;; [unrolled: 1-line block ×4, first 2 shown]
	v_and_b32_e32 v71, 0xffff0000, v71
	v_mul_f32_e32 v49, v4, v49
	v_bfe_u32 v5, v3, 16, 1
	v_or_b32_e32 v57, 0x400000, v3
	v_cmp_u_f32_e32 vcc_lo, v3, v3
	v_add_f32_e32 v71, v71, v59
	v_mul_f32_e32 v32, v4, v32
	v_add3_u32 v5, v5, v3, 0x7fff
	v_mul_f32_e32 v14, v4, v14
	v_add_f32_e32 v70, v70, v71
	v_cndmask_b32_e32 v57, v5, v57, vcc_lo
	v_and_b32_e32 v5, 0xffff0000, v2
	v_lshlrev_b32_e32 v2, 16, v58
	v_and_b32_e32 v57, 0xffff0000, v57
	v_mul_f32_e32 v42, v5, v42
	v_mul_f32_e32 v2, v5, v2
	;; [unrolled: 1-line block ×6, first 2 shown]
	v_bfe_u32 v3, v2, 16, 1
	v_or_b32_e32 v58, 0x400000, v2
	v_cmp_u_f32_e32 vcc_lo, v2, v2
	v_mul_f32_e32 v17, v5, v17
	v_add3_u32 v3, v3, v2, 0x7fff
	v_and_b32_e32 v2, 0xffff0000, v73
	v_cndmask_b32_e32 v58, v3, v58, vcc_lo
	v_lshlrev_b32_e32 v3, 16, v62
	v_mul_f32_e32 v31, v2, v31
	v_mul_f32_e32 v13, v2, v13
	;; [unrolled: 1-line block ×3, first 2 shown]
	v_and_b32_e32 v71, 0xffff0000, v58
	v_mul_f32_e32 v3, v2, v3
	v_add_f32_e32 v71, v71, v57
	buffer_load_dword v57, off, s[0:3], s32 offset:360 ; 4-byte Folded Reload
	v_bfe_u32 v60, v3, 16, 1
	v_or_b32_e32 v62, 0x400000, v3
	v_cmp_u_f32_e32 vcc_lo, v3, v3
	v_add_f32_e32 v70, v70, v71
	v_add3_u32 v60, v60, v3, 0x7fff
	v_and_b32_e32 v3, 0xffff0000, v72
	v_cndmask_b32_e32 v60, v60, v62, vcc_lo
	v_mul_f32_e32 v68, v3, v68
	v_mul_f32_e32 v55, v3, v55
	;; [unrolled: 1-line block ×3, first 2 shown]
	v_and_b32_e32 v71, 0xffff0000, v60
	v_bfe_u32 v62, v68, 16, 1
	v_or_b32_e32 v63, 0x400000, v68
	v_cmp_u_f32_e32 vcc_lo, v68, v68
	v_add3_u32 v62, v62, v68, 0x7fff
	v_cndmask_b32_e32 v68, v62, v63, vcc_lo
	v_and_b32_e32 v68, 0xffff0000, v68
	v_add_f32_e32 v68, v68, v71
	v_add_f32_e32 v68, v70, v68
	s_waitcnt vmcnt(0)
	v_add_f32_e32 v57, v57, v68
	v_lshlrev_b32_e32 v68, 16, v45
	v_mul_f32_e32 v68, v8, v68
	v_bfe_u32 v70, v68, 16, 1
	v_or_b32_e32 v71, 0x400000, v68
	v_cmp_u_f32_e32 vcc_lo, v68, v68
	v_add3_u32 v70, v70, v68, 0x7fff
	v_cndmask_b32_e32 v68, v70, v71, vcc_lo
	v_lshlrev_b32_e32 v70, 16, v47
	v_and_b32_e32 v68, 0xffff0000, v68
	v_mul_f32_e32 v70, v9, v70
	v_bfe_u32 v71, v70, 16, 1
	v_or_b32_e32 v45, 0x400000, v70
	v_cmp_u_f32_e32 vcc_lo, v70, v70
	v_add3_u32 v71, v71, v70, 0x7fff
	v_cndmask_b32_e32 v70, v71, v45, vcc_lo
	v_lshlrev_b32_e32 v71, 16, v43
	v_and_b32_e32 v70, 0xffff0000, v70
	v_mul_f32_e32 v71, v6, v71
	v_add_f32_e32 v68, v70, v68
	v_bfe_u32 v43, v71, 16, 1
	v_or_b32_e32 v45, 0x400000, v71
	v_cmp_u_f32_e32 vcc_lo, v71, v71
	v_add3_u32 v43, v43, v71, 0x7fff
	v_cndmask_b32_e32 v71, v43, v45, vcc_lo
	v_lshlrev_b32_e32 v43, 16, v44
	v_and_b32_e32 v71, 0xffff0000, v71
	v_mul_f32_e32 v43, v7, v43
	v_bfe_u32 v44, v43, 16, 1
	v_or_b32_e32 v45, 0x400000, v43
	v_cmp_u_f32_e32 vcc_lo, v43, v43
	v_add3_u32 v44, v44, v43, 0x7fff
	v_cndmask_b32_e32 v43, v44, v45, vcc_lo
	v_bfe_u32 v44, v41, 16, 1
	v_or_b32_e32 v45, 0x400000, v41
	v_cmp_u_f32_e32 vcc_lo, v41, v41
	v_and_b32_e32 v70, 0xffff0000, v43
	v_add3_u32 v44, v44, v41, 0x7fff
	v_add_f32_e32 v70, v70, v71
	v_cndmask_b32_e32 v41, v44, v45, vcc_lo
	v_bfe_u32 v44, v42, 16, 1
	v_or_b32_e32 v45, 0x400000, v42
	v_cmp_u_f32_e32 vcc_lo, v42, v42
	v_add_f32_e32 v68, v68, v70
	v_and_b32_e32 v71, 0xffff0000, v41
	buffer_load_dword v41, off, s[0:3], s32 offset:364 ; 4-byte Folded Reload
	v_add3_u32 v44, v44, v42, 0x7fff
	v_cndmask_b32_e32 v42, v44, v45, vcc_lo
	v_lshlrev_b32_e32 v44, 16, v56
	v_and_b32_e32 v70, 0xffff0000, v42
	v_mul_f32_e32 v44, v2, v44
	v_add_f32_e32 v70, v70, v71
	v_bfe_u32 v45, v44, 16, 1
	v_or_b32_e32 v47, 0x400000, v44
	v_cmp_u_f32_e32 vcc_lo, v44, v44
	v_add_f32_e32 v68, v68, v70
	v_add3_u32 v45, v45, v44, 0x7fff
	v_cndmask_b32_e32 v44, v45, v47, vcc_lo
	v_lshlrev_b32_e32 v45, 16, v46
	v_and_b32_e32 v71, 0xffff0000, v44
	v_mul_f32_e32 v45, v3, v45
	v_bfe_u32 v46, v45, 16, 1
	v_or_b32_e32 v47, 0x400000, v45
	v_cmp_u_f32_e32 vcc_lo, v45, v45
	v_add3_u32 v46, v46, v45, 0x7fff
	v_cndmask_b32_e32 v45, v46, v47, vcc_lo
	v_and_b32_e32 v70, 0xffff0000, v45
	v_add_f32_e32 v70, v70, v71
	v_add_f32_e32 v68, v68, v70
	s_waitcnt vmcnt(0)
	v_add_f32_e32 v41, v41, v68
	v_lshlrev_b32_e32 v68, 16, v117
	v_mul_f32_e32 v68, v8, v68
	v_bfe_u32 v70, v68, 16, 1
	v_or_b32_e32 v71, 0x400000, v68
	v_cmp_u_f32_e32 vcc_lo, v68, v68
	v_add3_u32 v70, v70, v68, 0x7fff
	v_cndmask_b32_e32 v68, v70, v71, vcc_lo
	v_lshlrev_b32_e32 v70, 16, v119
	v_and_b32_e32 v68, 0xffff0000, v68
	v_mul_f32_e32 v70, v9, v70
	v_bfe_u32 v71, v70, 16, 1
	v_or_b32_e32 v117, 0x400000, v70
	v_cmp_u_f32_e32 vcc_lo, v70, v70
	v_add3_u32 v71, v71, v70, 0x7fff
	v_cndmask_b32_e32 v70, v71, v117, vcc_lo
	v_lshlrev_b32_e32 v71, 16, v115
	v_and_b32_e32 v70, 0xffff0000, v70
	v_mul_f32_e32 v71, v6, v71
	v_add_f32_e32 v68, v70, v68
	v_bfe_u32 v115, v71, 16, 1
	v_or_b32_e32 v117, 0x400000, v71
	v_cmp_u_f32_e32 vcc_lo, v71, v71
	v_add3_u32 v115, v115, v71, 0x7fff
	v_cndmask_b32_e32 v71, v115, v117, vcc_lo
	v_lshlrev_b32_e32 v115, 16, v116
	v_and_b32_e32 v71, 0xffff0000, v71
	v_mul_f32_e32 v115, v7, v115
	v_bfe_u32 v116, v115, 16, 1
	v_or_b32_e32 v117, 0x400000, v115
	v_cmp_u_f32_e32 vcc_lo, v115, v115
	v_add3_u32 v116, v116, v115, 0x7fff
	v_cndmask_b32_e32 v115, v116, v117, vcc_lo
	v_bfe_u32 v116, v113, 16, 1
	v_or_b32_e32 v117, 0x400000, v113
	v_cmp_u_f32_e32 vcc_lo, v113, v113
	v_and_b32_e32 v70, 0xffff0000, v115
	v_add3_u32 v116, v116, v113, 0x7fff
	v_add_f32_e32 v70, v70, v71
	v_cndmask_b32_e32 v113, v116, v117, vcc_lo
	v_bfe_u32 v116, v114, 16, 1
	v_or_b32_e32 v117, 0x400000, v114
	v_cmp_u_f32_e32 vcc_lo, v114, v114
	v_add_f32_e32 v68, v68, v70
	v_and_b32_e32 v71, 0xffff0000, v113
	buffer_load_dword v113, off, s[0:3], s32 offset:368 ; 4-byte Folded Reload
	v_add3_u32 v116, v116, v114, 0x7fff
	v_cndmask_b32_e32 v114, v116, v117, vcc_lo
	v_lshlrev_b32_e32 v116, 16, v40
	v_and_b32_e32 v70, 0xffff0000, v114
	v_mul_f32_e32 v116, v2, v116
	v_add_f32_e32 v70, v70, v71
	v_bfe_u32 v117, v116, 16, 1
	v_or_b32_e32 v119, 0x400000, v116
	v_cmp_u_f32_e32 vcc_lo, v116, v116
	v_add_f32_e32 v68, v68, v70
	v_add3_u32 v117, v117, v116, 0x7fff
	v_cndmask_b32_e32 v116, v117, v119, vcc_lo
	v_lshlrev_b32_e32 v117, 16, v118
	v_and_b32_e32 v71, 0xffff0000, v116
	v_mul_f32_e32 v117, v3, v117
	v_bfe_u32 v118, v117, 16, 1
	v_or_b32_e32 v119, 0x400000, v117
	v_cmp_u_f32_e32 vcc_lo, v117, v117
	v_add3_u32 v118, v118, v117, 0x7fff
	v_cndmask_b32_e32 v117, v118, v119, vcc_lo
	v_and_b32_e32 v70, 0xffff0000, v117
	v_add_f32_e32 v70, v70, v71
	v_add_f32_e32 v68, v68, v70
	s_waitcnt vmcnt(0)
	v_add_f32_e32 v113, v113, v68
	v_lshlrev_b32_e32 v68, 16, v101
	v_mul_f32_e32 v68, v8, v68
	v_bfe_u32 v70, v68, 16, 1
	v_or_b32_e32 v71, 0x400000, v68
	v_cmp_u_f32_e32 vcc_lo, v68, v68
	v_add3_u32 v70, v70, v68, 0x7fff
	v_cndmask_b32_e32 v68, v70, v71, vcc_lo
	v_lshlrev_b32_e32 v70, 16, v103
	v_and_b32_e32 v68, 0xffff0000, v68
	v_mul_f32_e32 v70, v9, v70
	v_bfe_u32 v71, v70, 16, 1
	v_or_b32_e32 v101, 0x400000, v70
	v_cmp_u_f32_e32 vcc_lo, v70, v70
	v_add3_u32 v71, v71, v70, 0x7fff
	v_cndmask_b32_e32 v70, v71, v101, vcc_lo
	v_lshlrev_b32_e32 v71, 16, v99
	v_and_b32_e32 v70, 0xffff0000, v70
	v_mul_f32_e32 v71, v6, v71
	v_add_f32_e32 v68, v70, v68
	v_bfe_u32 v99, v71, 16, 1
	v_or_b32_e32 v101, 0x400000, v71
	v_cmp_u_f32_e32 vcc_lo, v71, v71
	v_add3_u32 v99, v99, v71, 0x7fff
	v_cndmask_b32_e32 v71, v99, v101, vcc_lo
	v_lshlrev_b32_e32 v99, 16, v100
	v_and_b32_e32 v71, 0xffff0000, v71
	v_mul_f32_e32 v99, v7, v99
	v_bfe_u32 v100, v99, 16, 1
	v_or_b32_e32 v101, 0x400000, v99
	v_cmp_u_f32_e32 vcc_lo, v99, v99
	v_add3_u32 v100, v100, v99, 0x7fff
	v_cndmask_b32_e32 v99, v100, v101, vcc_lo
	v_bfe_u32 v100, v85, 16, 1
	v_or_b32_e32 v101, 0x400000, v85
	v_cmp_u_f32_e32 vcc_lo, v85, v85
	v_and_b32_e32 v70, 0xffff0000, v99
	v_add3_u32 v100, v100, v85, 0x7fff
	v_add_f32_e32 v70, v70, v71
	v_cndmask_b32_e32 v85, v100, v101, vcc_lo
	v_bfe_u32 v100, v98, 16, 1
	v_or_b32_e32 v101, 0x400000, v98
	v_cmp_u_f32_e32 vcc_lo, v98, v98
	v_add_f32_e32 v68, v68, v70
	v_and_b32_e32 v71, 0xffff0000, v85
	buffer_load_dword v85, off, s[0:3], s32 offset:372 ; 4-byte Folded Reload
	v_add3_u32 v100, v100, v98, 0x7fff
	v_cndmask_b32_e32 v98, v100, v101, vcc_lo
	v_lshlrev_b32_e32 v100, 16, v112
	v_and_b32_e32 v70, 0xffff0000, v98
	v_mul_f32_e32 v100, v2, v100
	v_add_f32_e32 v70, v70, v71
	v_bfe_u32 v101, v100, 16, 1
	v_or_b32_e32 v103, 0x400000, v100
	v_cmp_u_f32_e32 vcc_lo, v100, v100
	v_add_f32_e32 v68, v68, v70
	v_add3_u32 v101, v101, v100, 0x7fff
	v_cndmask_b32_e32 v100, v101, v103, vcc_lo
	v_lshlrev_b32_e32 v101, 16, v102
	v_and_b32_e32 v71, 0xffff0000, v100
	v_mul_f32_e32 v101, v3, v101
	v_bfe_u32 v102, v101, 16, 1
	v_or_b32_e32 v103, 0x400000, v101
	v_cmp_u_f32_e32 vcc_lo, v101, v101
	v_add3_u32 v102, v102, v101, 0x7fff
	v_cndmask_b32_e32 v101, v102, v103, vcc_lo
	v_cmp_u_f32_e32 vcc_lo, v64, v64
	v_and_b32_e32 v70, 0xffff0000, v101
	v_add_f32_e32 v70, v70, v71
	v_add_f32_e32 v68, v68, v70
	v_or_b32_e32 v70, 0x400000, v64
	s_waitcnt vmcnt(0)
	v_add_f32_e32 v85, v85, v68
	v_bfe_u32 v68, v64, 16, 1
	v_add3_u32 v68, v68, v64, 0x7fff
	v_cndmask_b32_e32 v64, v68, v70, vcc_lo
	v_bfe_u32 v68, v21, 16, 1
	v_or_b32_e32 v70, 0x400000, v21
	v_cmp_u_f32_e32 vcc_lo, v21, v21
	v_and_b32_e32 v64, 0xffff0000, v64
	v_add3_u32 v68, v68, v21, 0x7fff
	v_cndmask_b32_e32 v21, v68, v70, vcc_lo
	v_bfe_u32 v68, v51, 16, 1
	v_or_b32_e32 v70, 0x400000, v51
	v_cmp_u_f32_e32 vcc_lo, v51, v51
	v_and_b32_e32 v21, 0xffff0000, v21
	v_add3_u32 v68, v68, v51, 0x7fff
	v_add_f32_e32 v21, v21, v64
	v_cndmask_b32_e32 v51, v68, v70, vcc_lo
	v_bfe_u32 v68, v54, 16, 1
	v_or_b32_e32 v70, 0x400000, v54
	v_cmp_u_f32_e32 vcc_lo, v54, v54
	v_and_b32_e32 v51, 0xffff0000, v51
	v_add3_u32 v68, v68, v54, 0x7fff
	v_cndmask_b32_e32 v54, v68, v70, vcc_lo
	v_bfe_u32 v68, v49, 16, 1
	v_or_b32_e32 v70, 0x400000, v49
	v_cmp_u_f32_e32 vcc_lo, v49, v49
	v_and_b32_e32 v54, 0xffff0000, v54
	v_add3_u32 v68, v68, v49, 0x7fff
	v_add_f32_e32 v51, v54, v51
	v_cndmask_b32_e32 v49, v68, v70, vcc_lo
	v_bfe_u32 v68, v50, 16, 1
	v_or_b32_e32 v70, 0x400000, v50
	v_cmp_u_f32_e32 vcc_lo, v50, v50
	v_add_f32_e32 v21, v21, v51
	v_and_b32_e32 v49, 0xffff0000, v49
	v_add3_u32 v68, v68, v50, 0x7fff
	v_cndmask_b32_e32 v50, v68, v70, vcc_lo
	v_lshlrev_b32_e32 v68, 16, v86
	v_and_b32_e32 v50, 0xffff0000, v50
	v_mul_f32_e32 v68, v2, v68
	v_add_f32_e32 v49, v50, v49
	v_bfe_u32 v70, v68, 16, 1
	v_or_b32_e32 v71, 0x400000, v68
	v_cmp_u_f32_e32 vcc_lo, v68, v68
	v_add_f32_e32 v21, v21, v49
	v_add3_u32 v70, v70, v68, 0x7fff
	v_cndmask_b32_e32 v68, v70, v71, vcc_lo
	v_bfe_u32 v70, v55, 16, 1
	v_or_b32_e32 v71, 0x400000, v55
	v_cmp_u_f32_e32 vcc_lo, v55, v55
	v_and_b32_e32 v50, 0xffff0000, v68
	v_add3_u32 v70, v70, v55, 0x7fff
	v_cndmask_b32_e32 v55, v70, v71, vcc_lo
	v_and_b32_e32 v49, 0xffff0000, v55
	v_add_f32_e32 v49, v49, v50
	buffer_load_dword v50, off, s[0:3], s32 offset:376 ; 4-byte Folded Reload
	v_add_f32_e32 v21, v21, v49
	s_waitcnt vmcnt(0)
	v_add_f32_e32 v50, v50, v21
	v_lshlrev_b32_e32 v21, 16, v37
	v_mul_f32_e32 v21, v8, v21
	v_bfe_u32 v37, v21, 16, 1
	v_or_b32_e32 v49, 0x400000, v21
	v_cmp_u_f32_e32 vcc_lo, v21, v21
	v_add3_u32 v37, v37, v21, 0x7fff
	v_cndmask_b32_e32 v21, v37, v49, vcc_lo
	v_lshlrev_b32_e32 v37, 16, v38
	v_and_b32_e32 v21, 0xffff0000, v21
	v_mul_f32_e32 v37, v9, v37
	v_bfe_u32 v38, v37, 16, 1
	v_or_b32_e32 v49, 0x400000, v37
	v_cmp_u_f32_e32 vcc_lo, v37, v37
	v_add3_u32 v38, v38, v37, 0x7fff
	v_cndmask_b32_e32 v37, v38, v49, vcc_lo
	v_bfe_u32 v38, v34, 16, 1
	v_or_b32_e32 v49, 0x400000, v34
	v_cmp_u_f32_e32 vcc_lo, v34, v34
	v_and_b32_e32 v37, 0xffff0000, v37
	v_add3_u32 v38, v38, v34, 0x7fff
	v_add_f32_e32 v21, v37, v21
	v_cndmask_b32_e32 v34, v38, v49, vcc_lo
	v_bfe_u32 v38, v35, 16, 1
	v_or_b32_e32 v49, 0x400000, v35
	v_cmp_u_f32_e32 vcc_lo, v35, v35
	buffer_load_dword v37, off, s[0:3], s32 offset:408 ; 4-byte Folded Reload
	v_and_b32_e32 v34, 0xffff0000, v34
	v_add3_u32 v38, v38, v35, 0x7fff
	v_cndmask_b32_e32 v35, v38, v49, vcc_lo
	v_bfe_u32 v38, v32, 16, 1
	v_or_b32_e32 v49, 0x400000, v32
	v_cmp_u_f32_e32 vcc_lo, v32, v32
	v_and_b32_e32 v35, 0xffff0000, v35
	v_add3_u32 v38, v38, v32, 0x7fff
	v_add_f32_e32 v34, v35, v34
	v_cndmask_b32_e32 v32, v38, v49, vcc_lo
	v_bfe_u32 v38, v33, 16, 1
	v_or_b32_e32 v49, 0x400000, v33
	v_cmp_u_f32_e32 vcc_lo, v33, v33
	v_add_f32_e32 v21, v21, v34
	v_and_b32_e32 v32, 0xffff0000, v32
	v_add3_u32 v38, v38, v33, 0x7fff
	v_cndmask_b32_e32 v33, v38, v49, vcc_lo
	v_lshlrev_b32_e32 v38, 16, v48
	v_and_b32_e32 v33, 0xffff0000, v33
	v_mul_f32_e32 v38, v2, v38
	v_add_f32_e32 v32, v33, v32
	v_bfe_u32 v48, v38, 16, 1
	v_or_b32_e32 v49, 0x400000, v38
	v_cmp_u_f32_e32 vcc_lo, v38, v38
	v_add_f32_e32 v21, v21, v32
	v_add3_u32 v48, v48, v38, 0x7fff
	v_cndmask_b32_e32 v38, v48, v49, vcc_lo
	v_bfe_u32 v48, v36, 16, 1
	v_or_b32_e32 v49, 0x400000, v36
	v_cmp_u_f32_e32 vcc_lo, v36, v36
	v_and_b32_e32 v33, 0xffff0000, v38
	v_add3_u32 v48, v48, v36, 0x7fff
	buffer_load_dword v38, off, s[0:3], s32 offset:424 ; 4-byte Folded Reload
	v_cndmask_b32_e32 v36, v48, v49, vcc_lo
	v_and_b32_e32 v32, 0xffff0000, v36
	buffer_load_dword v36, off, s[0:3], s32 offset:380 ; 4-byte Folded Reload
	v_add_f32_e32 v32, v32, v33
	v_add_f32_e32 v21, v21, v32
	s_waitcnt vmcnt(0)
	v_add_f32_e32 v36, v36, v21
	v_lshlrev_b32_e32 v21, 16, v84
	v_mul_f32_e32 v21, v8, v21
	v_bfe_u32 v32, v21, 16, 1
	v_or_b32_e32 v33, 0x400000, v21
	v_cmp_u_f32_e32 vcc_lo, v21, v21
	v_add3_u32 v32, v32, v21, 0x7fff
	v_cndmask_b32_e32 v21, v32, v33, vcc_lo
	v_bfe_u32 v32, v30, 16, 1
	v_or_b32_e32 v33, 0x400000, v30
	v_cmp_u_f32_e32 vcc_lo, v30, v30
	v_and_b32_e32 v21, 0xffff0000, v21
	v_add3_u32 v32, v32, v30, 0x7fff
	v_cndmask_b32_e32 v30, v32, v33, vcc_lo
	v_bfe_u32 v32, v18, 16, 1
	v_or_b32_e32 v33, 0x400000, v18
	v_cmp_u_f32_e32 vcc_lo, v18, v18
	v_and_b32_e32 v30, 0xffff0000, v30
	v_add3_u32 v32, v32, v18, 0x7fff
	v_add_f32_e32 v21, v30, v21
	v_cndmask_b32_e32 v18, v32, v33, vcc_lo
	v_bfe_u32 v32, v16, 16, 1
	v_or_b32_e32 v33, 0x400000, v16
	v_cmp_u_f32_e32 vcc_lo, v16, v16
	v_and_b32_e32 v18, 0xffff0000, v18
	v_add3_u32 v32, v32, v16, 0x7fff
	v_cndmask_b32_e32 v16, v32, v33, vcc_lo
	v_bfe_u32 v32, v14, 16, 1
	v_or_b32_e32 v33, 0x400000, v14
	v_cmp_u_f32_e32 vcc_lo, v14, v14
	v_and_b32_e32 v16, 0xffff0000, v16
	v_add3_u32 v32, v32, v14, 0x7fff
	v_add_f32_e32 v16, v16, v18
	v_cndmask_b32_e32 v14, v32, v33, vcc_lo
	v_lshlrev_b32_e32 v32, 16, v53
	v_add_f32_e32 v16, v21, v16
	v_and_b32_e32 v14, 0xffff0000, v14
	v_mul_f32_e32 v32, v5, v32
	v_bfe_u32 v33, v32, 16, 1
	v_or_b32_e32 v34, 0x400000, v32
	v_cmp_u_f32_e32 vcc_lo, v32, v32
	v_add3_u32 v33, v33, v32, 0x7fff
	v_cndmask_b32_e32 v32, v33, v34, vcc_lo
	v_bfe_u32 v33, v31, 16, 1
	v_or_b32_e32 v34, 0x400000, v31
	v_cmp_u_f32_e32 vcc_lo, v31, v31
	v_and_b32_e32 v18, 0xffff0000, v32
	v_add3_u32 v33, v33, v31, 0x7fff
	buffer_load_dword v32, off, s[0:3], s32 offset:392 ; 4-byte Folded Reload
	v_add_f32_e32 v14, v18, v14
	v_cndmask_b32_e32 v31, v33, v34, vcc_lo
	v_lshlrev_b32_e32 v33, 16, v96
	v_add_f32_e32 v14, v16, v14
	v_and_b32_e32 v18, 0xffff0000, v31
	buffer_load_dword v31, off, s[0:3], s32 offset:388 ; 4-byte Folded Reload
	v_mul_f32_e32 v33, v3, v33
	v_bfe_u32 v34, v33, 16, 1
	v_or_b32_e32 v35, 0x400000, v33
	v_cmp_u_f32_e32 vcc_lo, v33, v33
	v_add3_u32 v34, v34, v33, 0x7fff
	v_cndmask_b32_e32 v33, v34, v35, vcc_lo
	s_clause 0x1
	buffer_load_dword v34, off, s[0:3], s32 offset:400
	buffer_load_dword v35, off, s[0:3], s32 offset:404
	v_and_b32_e32 v16, 0xffff0000, v33
	buffer_load_dword v33, off, s[0:3], s32 offset:396 ; 4-byte Folded Reload
	v_add_f32_e32 v16, v16, v18
	v_add_f32_e32 v14, v14, v16
	s_waitcnt vmcnt(3)
	v_add_f32_e32 v31, v31, v14
	v_lshlrev_b32_e32 v14, 16, v22
	v_mul_f32_e32 v14, v8, v14
	v_bfe_u32 v16, v14, 16, 1
	v_or_b32_e32 v18, 0x400000, v14
	v_cmp_u_f32_e32 vcc_lo, v14, v14
	v_add3_u32 v16, v16, v14, 0x7fff
	v_cndmask_b32_e32 v14, v16, v18, vcc_lo
	v_lshlrev_b32_e32 v16, 16, v66
	v_and_b32_e32 v14, 0xffff0000, v14
	v_mul_f32_e32 v16, v9, v16
	v_bfe_u32 v18, v16, 16, 1
	v_or_b32_e32 v21, 0x400000, v16
	v_cmp_u_f32_e32 vcc_lo, v16, v16
	v_add3_u32 v18, v18, v16, 0x7fff
	v_cndmask_b32_e32 v16, v18, v21, vcc_lo
	v_bfe_u32 v18, v15, 16, 1
	v_or_b32_e32 v21, 0x400000, v15
	v_cmp_u_f32_e32 vcc_lo, v15, v15
	v_and_b32_e32 v16, 0xffff0000, v16
	v_add3_u32 v18, v18, v15, 0x7fff
	v_add_f32_e32 v14, v16, v14
	v_cndmask_b32_e32 v15, v18, v21, vcc_lo
	v_lshlrev_b32_e32 v18, 16, v80
	v_and_b32_e32 v15, 0xffff0000, v15
	v_mul_f32_e32 v18, v7, v18
	v_bfe_u32 v21, v18, 16, 1
	v_or_b32_e32 v22, 0x400000, v18
	v_cmp_u_f32_e32 vcc_lo, v18, v18
	v_add3_u32 v21, v21, v18, 0x7fff
	v_cndmask_b32_e32 v18, v21, v22, vcc_lo
	v_lshlrev_b32_e32 v21, 16, v81
	v_and_b32_e32 v16, 0xffff0000, v18
	v_mul_f32_e32 v21, v4, v21
	v_add_f32_e32 v15, v16, v15
	v_bfe_u32 v22, v21, 16, 1
	v_or_b32_e32 v30, 0x400000, v21
	v_cmp_u_f32_e32 vcc_lo, v21, v21
	v_add_f32_e32 v14, v14, v15
	v_add3_u32 v22, v22, v21, 0x7fff
	v_cndmask_b32_e32 v21, v22, v30, vcc_lo
	v_bfe_u32 v22, v17, 16, 1
	v_or_b32_e32 v30, 0x400000, v17
	v_cmp_u_f32_e32 vcc_lo, v17, v17
	v_and_b32_e32 v16, 0xffff0000, v21
	v_add3_u32 v22, v22, v17, 0x7fff
	v_cndmask_b32_e32 v17, v22, v30, vcc_lo
	v_bfe_u32 v22, v13, 16, 1
	v_or_b32_e32 v30, 0x400000, v13
	v_cmp_u_f32_e32 vcc_lo, v13, v13
	v_and_b32_e32 v15, 0xffff0000, v17
	v_add3_u32 v22, v22, v13, 0x7fff
	v_add_f32_e32 v15, v15, v16
	v_cndmask_b32_e32 v13, v22, v30, vcc_lo
	v_lshlrev_b32_e32 v22, 16, v23
	v_add_f32_e32 v14, v14, v15
	v_and_b32_e32 v13, 0xffff0000, v13
	v_mul_f32_e32 v22, v3, v22
	v_bfe_u32 v23, v22, 16, 1
	v_or_b32_e32 v30, 0x400000, v22
	v_cmp_u_f32_e32 vcc_lo, v22, v22
	v_add3_u32 v23, v23, v22, 0x7fff
	v_cndmask_b32_e32 v22, v23, v30, vcc_lo
	v_and_b32_e32 v15, 0xffff0000, v22
	v_add_f32_e32 v13, v15, v13
	v_add_f32_e32 v13, v14, v13
	v_add_f32_e32 v32, v32, v13
	v_lshlrev_b32_e32 v13, 16, v39
	buffer_load_dword v39, off, s[0:3], s32 offset:444 ; 4-byte Folded Reload
	v_mul_f32_e32 v13, v8, v13
	v_bfe_u32 v14, v13, 16, 1
	v_or_b32_e32 v15, 0x400000, v13
	v_cmp_u_f32_e32 vcc_lo, v13, v13
	v_add3_u32 v14, v14, v13, 0x7fff
	v_cndmask_b32_e32 v13, v14, v15, vcc_lo
	v_bfe_u32 v14, v1, 16, 1
	v_or_b32_e32 v15, 0x400000, v1
	v_cmp_u_f32_e32 vcc_lo, v1, v1
	v_and_b32_e32 v13, 0xffff0000, v13
	v_add3_u32 v14, v14, v1, 0x7fff
	v_cndmask_b32_e32 v1, v14, v15, vcc_lo
	v_lshlrev_b32_e32 v14, 16, v125
	v_and_b32_e32 v1, 0xffff0000, v1
	v_mul_f32_e32 v14, v6, v14
	v_add_f32_e32 v1, v1, v13
	v_bfe_u32 v15, v14, 16, 1
	v_or_b32_e32 v16, 0x400000, v14
	v_cmp_u_f32_e32 vcc_lo, v14, v14
	v_add3_u32 v15, v15, v14, 0x7fff
	v_cndmask_b32_e32 v14, v15, v16, vcc_lo
	v_lshlrev_b32_e32 v15, 16, v126
	v_and_b32_e32 v14, 0xffff0000, v14
	v_mul_f32_e32 v15, v7, v15
	v_bfe_u32 v16, v15, 16, 1
	v_or_b32_e32 v17, 0x400000, v15
	v_cmp_u_f32_e32 vcc_lo, v15, v15
	v_add3_u32 v16, v16, v15, 0x7fff
	v_cndmask_b32_e32 v15, v16, v17, vcc_lo
	v_lshlrev_b32_e32 v16, 16, v123
	v_and_b32_e32 v13, 0xffff0000, v15
	v_mul_f32_e32 v16, v4, v16
	v_add_f32_e32 v13, v13, v14
	v_bfe_u32 v17, v16, 16, 1
	v_or_b32_e32 v18, 0x400000, v16
	v_cmp_u_f32_e32 vcc_lo, v16, v16
	v_add_f32_e32 v1, v1, v13
	v_add3_u32 v17, v17, v16, 0x7fff
	v_cndmask_b32_e32 v16, v17, v18, vcc_lo
	v_lshlrev_b32_e32 v17, 16, v124
	v_and_b32_e32 v14, 0xffff0000, v16
	v_mul_f32_e32 v17, v5, v17
	v_bfe_u32 v18, v17, 16, 1
	v_or_b32_e32 v21, 0x400000, v17
	v_cmp_u_f32_e32 vcc_lo, v17, v17
	v_add3_u32 v18, v18, v17, 0x7fff
	v_cndmask_b32_e32 v17, v18, v21, vcc_lo
	v_bfe_u32 v18, v0, 16, 1
	v_or_b32_e32 v21, 0x400000, v0
	v_cmp_u_f32_e32 vcc_lo, v0, v0
	v_and_b32_e32 v13, 0xffff0000, v17
	v_add3_u32 v18, v18, v0, 0x7fff
	v_add_f32_e32 v13, v13, v14
	v_cndmask_b32_e32 v0, v18, v21, vcc_lo
	v_lshlrev_b32_e32 v18, 16, v127
	v_add_f32_e32 v1, v1, v13
	v_and_b32_e32 v0, 0xffff0000, v0
	v_mul_f32_e32 v18, v3, v18
	v_bfe_u32 v21, v18, 16, 1
	v_or_b32_e32 v22, 0x400000, v18
	v_cmp_u_f32_e32 vcc_lo, v18, v18
	v_add3_u32 v21, v21, v18, 0x7fff
	v_cndmask_b32_e32 v18, v21, v22, vcc_lo
	v_and_b32_e32 v13, 0xffff0000, v18
	v_add_f32_e32 v0, v13, v0
	v_add_f32_e32 v0, v1, v0
	s_waitcnt vmcnt(1)
	v_add_f32_e32 v33, v33, v0
	v_lshlrev_b32_e32 v0, 16, v122
	v_mul_f32_e32 v0, v8, v0
	v_bfe_u32 v1, v0, 16, 1
	v_or_b32_e32 v13, 0x400000, v0
	v_cmp_u_f32_e32 vcc_lo, v0, v0
	v_add3_u32 v1, v1, v0, 0x7fff
	v_cndmask_b32_e32 v0, v1, v13, vcc_lo
	v_lshlrev_b32_e32 v1, 16, v121
	v_and_b32_e32 v0, 0xffff0000, v0
	v_mul_f32_e32 v1, v9, v1
	v_bfe_u32 v13, v1, 16, 1
	v_or_b32_e32 v14, 0x400000, v1
	v_cmp_u_f32_e32 vcc_lo, v1, v1
	v_add3_u32 v13, v13, v1, 0x7fff
	v_cndmask_b32_e32 v1, v13, v14, vcc_lo
	v_lshlrev_b32_e32 v13, 16, v111
	v_and_b32_e32 v1, 0xffff0000, v1
	v_mul_f32_e32 v13, v6, v13
	v_add_f32_e32 v0, v1, v0
	v_bfe_u32 v14, v13, 16, 1
	v_or_b32_e32 v15, 0x400000, v13
	v_cmp_u_f32_e32 vcc_lo, v13, v13
	v_add3_u32 v14, v14, v13, 0x7fff
	v_cndmask_b32_e32 v13, v14, v15, vcc_lo
	v_lshlrev_b32_e32 v14, 16, v120
	v_and_b32_e32 v13, 0xffff0000, v13
	v_mul_f32_e32 v14, v7, v14
	v_bfe_u32 v15, v14, 16, 1
	v_or_b32_e32 v16, 0x400000, v14
	v_cmp_u_f32_e32 vcc_lo, v14, v14
	v_add3_u32 v15, v15, v14, 0x7fff
	v_cndmask_b32_e32 v14, v15, v16, vcc_lo
	v_lshlrev_b32_e32 v15, 16, v108
	v_and_b32_e32 v1, 0xffff0000, v14
	v_mul_f32_e32 v15, v4, v15
	v_add_f32_e32 v1, v1, v13
	v_bfe_u32 v16, v15, 16, 1
	v_or_b32_e32 v17, 0x400000, v15
	v_cmp_u_f32_e32 vcc_lo, v15, v15
	v_add_f32_e32 v0, v0, v1
	v_add3_u32 v16, v16, v15, 0x7fff
	v_cndmask_b32_e32 v15, v16, v17, vcc_lo
	v_lshlrev_b32_e32 v16, 16, v107
	v_and_b32_e32 v13, 0xffff0000, v15
	v_mul_f32_e32 v16, v5, v16
	v_bfe_u32 v17, v16, 16, 1
	v_or_b32_e32 v18, 0x400000, v16
	v_cmp_u_f32_e32 vcc_lo, v16, v16
	v_add3_u32 v17, v17, v16, 0x7fff
	v_cndmask_b32_e32 v16, v17, v18, vcc_lo
	v_lshlrev_b32_e32 v17, 16, v110
	v_and_b32_e32 v1, 0xffff0000, v16
	v_mul_f32_e32 v17, v2, v17
	v_add_f32_e32 v1, v1, v13
	v_bfe_u32 v18, v17, 16, 1
	v_or_b32_e32 v21, 0x400000, v17
	v_cmp_u_f32_e32 vcc_lo, v17, v17
	v_add_f32_e32 v0, v0, v1
	v_add3_u32 v18, v18, v17, 0x7fff
	v_cndmask_b32_e32 v17, v18, v21, vcc_lo
	v_lshlrev_b32_e32 v18, 16, v109
	v_and_b32_e32 v13, 0xffff0000, v17
	v_mul_f32_e32 v18, v3, v18
	v_bfe_u32 v21, v18, 16, 1
	v_or_b32_e32 v22, 0x400000, v18
	v_cmp_u_f32_e32 vcc_lo, v18, v18
	v_add3_u32 v21, v21, v18, 0x7fff
	v_cndmask_b32_e32 v18, v21, v22, vcc_lo
	v_and_b32_e32 v1, 0xffff0000, v18
	v_add_f32_e32 v1, v1, v13
	v_add_f32_e32 v0, v0, v1
	;; [unrolled: 1-line block ×3, first 2 shown]
	v_lshlrev_b32_e32 v0, 16, v106
	v_mul_f32_e32 v0, v8, v0
	v_bfe_u32 v1, v0, 16, 1
	v_or_b32_e32 v13, 0x400000, v0
	v_cmp_u_f32_e32 vcc_lo, v0, v0
	v_add3_u32 v1, v1, v0, 0x7fff
	v_cndmask_b32_e32 v0, v1, v13, vcc_lo
	v_lshlrev_b32_e32 v1, 16, v105
	v_and_b32_e32 v0, 0xffff0000, v0
	v_mul_f32_e32 v1, v9, v1
	v_bfe_u32 v13, v1, 16, 1
	v_or_b32_e32 v14, 0x400000, v1
	v_cmp_u_f32_e32 vcc_lo, v1, v1
	v_add3_u32 v13, v13, v1, 0x7fff
	v_cndmask_b32_e32 v1, v13, v14, vcc_lo
	v_lshlrev_b32_e32 v13, 16, v95
	v_and_b32_e32 v1, 0xffff0000, v1
	v_mul_f32_e32 v13, v6, v13
	v_add_f32_e32 v0, v1, v0
	v_bfe_u32 v14, v13, 16, 1
	v_or_b32_e32 v15, 0x400000, v13
	v_cmp_u_f32_e32 vcc_lo, v13, v13
	v_add3_u32 v14, v14, v13, 0x7fff
	v_cndmask_b32_e32 v13, v14, v15, vcc_lo
	v_lshlrev_b32_e32 v14, 16, v104
	v_and_b32_e32 v13, 0xffff0000, v13
	v_mul_f32_e32 v14, v7, v14
	v_bfe_u32 v15, v14, 16, 1
	v_or_b32_e32 v16, 0x400000, v14
	v_cmp_u_f32_e32 vcc_lo, v14, v14
	v_add3_u32 v15, v15, v14, 0x7fff
	v_cndmask_b32_e32 v14, v15, v16, vcc_lo
	buffer_load_dword v15, off, s[0:3], s32 offset:348 ; 4-byte Folded Reload
	v_and_b32_e32 v1, 0xffff0000, v14
	v_add_f32_e32 v1, v1, v13
	v_add_f32_e32 v0, v0, v1
	s_waitcnt vmcnt(0)
	v_lshlrev_b32_e32 v15, 16, v15
	v_mul_f32_e32 v15, v4, v15
	v_bfe_u32 v16, v15, 16, 1
	v_or_b32_e32 v17, 0x400000, v15
	v_cmp_u_f32_e32 vcc_lo, v15, v15
	v_add3_u32 v16, v16, v15, 0x7fff
	v_cndmask_b32_e32 v15, v16, v17, vcc_lo
	buffer_load_dword v16, off, s[0:3], s32 offset:344 ; 4-byte Folded Reload
	v_and_b32_e32 v13, 0xffff0000, v15
	s_waitcnt vmcnt(0)
	v_lshlrev_b32_e32 v16, 16, v16
	v_mul_f32_e32 v16, v5, v16
	v_bfe_u32 v17, v16, 16, 1
	v_or_b32_e32 v18, 0x400000, v16
	v_cmp_u_f32_e32 vcc_lo, v16, v16
	v_add3_u32 v17, v17, v16, 0x7fff
	v_cndmask_b32_e32 v16, v17, v18, vcc_lo
	v_lshlrev_b32_e32 v17, 16, v94
	v_and_b32_e32 v1, 0xffff0000, v16
	v_mul_f32_e32 v17, v2, v17
	v_add_f32_e32 v1, v1, v13
	v_bfe_u32 v18, v17, 16, 1
	v_or_b32_e32 v21, 0x400000, v17
	v_cmp_u_f32_e32 vcc_lo, v17, v17
	v_add_f32_e32 v0, v0, v1
	v_add3_u32 v18, v18, v17, 0x7fff
	v_cndmask_b32_e32 v17, v18, v21, vcc_lo
	buffer_load_dword v18, off, s[0:3], s32 offset:352 ; 4-byte Folded Reload
	v_and_b32_e32 v13, 0xffff0000, v17
	s_waitcnt vmcnt(0)
	v_lshlrev_b32_e32 v18, 16, v18
	v_mul_f32_e32 v18, v3, v18
	v_bfe_u32 v21, v18, 16, 1
	v_or_b32_e32 v22, 0x400000, v18
	v_cmp_u_f32_e32 vcc_lo, v18, v18
	v_add3_u32 v21, v21, v18, 0x7fff
	v_cndmask_b32_e32 v18, v21, v22, vcc_lo
	v_and_b32_e32 v1, 0xffff0000, v18
	v_add_f32_e32 v1, v1, v13
	v_add_f32_e32 v0, v0, v1
	;; [unrolled: 1-line block ×3, first 2 shown]
	buffer_load_dword v0, off, s[0:3], s32 offset:340 ; 4-byte Folded Reload
	s_waitcnt vmcnt(0)
	v_lshlrev_b32_e32 v0, 16, v0
	v_mul_f32_e32 v0, v8, v0
	v_bfe_u32 v1, v0, 16, 1
	v_or_b32_e32 v13, 0x400000, v0
	v_cmp_u_f32_e32 vcc_lo, v0, v0
	v_add3_u32 v1, v1, v0, 0x7fff
	v_cndmask_b32_e32 v0, v1, v13, vcc_lo
	buffer_load_dword v1, off, s[0:3], s32 offset:336 ; 4-byte Folded Reload
	v_and_b32_e32 v0, 0xffff0000, v0
	s_waitcnt vmcnt(0)
	v_lshlrev_b32_e32 v1, 16, v1
	v_mul_f32_e32 v1, v9, v1
	v_bfe_u32 v13, v1, 16, 1
	v_or_b32_e32 v14, 0x400000, v1
	v_cmp_u_f32_e32 vcc_lo, v1, v1
	v_add3_u32 v13, v13, v1, 0x7fff
	v_cndmask_b32_e32 v1, v13, v14, vcc_lo
	buffer_load_dword v13, off, s[0:3], s32 offset:328 ; 4-byte Folded Reload
	v_and_b32_e32 v1, 0xffff0000, v1
	v_add_f32_e32 v0, v1, v0
	s_waitcnt vmcnt(0)
	v_lshlrev_b32_e32 v13, 16, v13
	v_mul_f32_e32 v13, v6, v13
	v_bfe_u32 v14, v13, 16, 1
	v_or_b32_e32 v15, 0x400000, v13
	v_cmp_u_f32_e32 vcc_lo, v13, v13
	v_add3_u32 v14, v14, v13, 0x7fff
	v_cndmask_b32_e32 v13, v14, v15, vcc_lo
	buffer_load_dword v14, off, s[0:3], s32 offset:332 ; 4-byte Folded Reload
	v_and_b32_e32 v13, 0xffff0000, v13
	s_waitcnt vmcnt(0)
	v_lshlrev_b32_e32 v14, 16, v14
	v_mul_f32_e32 v14, v7, v14
	v_bfe_u32 v15, v14, 16, 1
	v_or_b32_e32 v16, 0x400000, v14
	v_cmp_u_f32_e32 vcc_lo, v14, v14
	v_add3_u32 v15, v15, v14, 0x7fff
	v_cndmask_b32_e32 v14, v15, v16, vcc_lo
	buffer_load_dword v15, off, s[0:3], s32 offset:316 ; 4-byte Folded Reload
	v_and_b32_e32 v1, 0xffff0000, v14
	v_add_f32_e32 v1, v1, v13
	v_add_f32_e32 v0, v0, v1
	s_waitcnt vmcnt(0)
	v_lshlrev_b32_e32 v15, 16, v15
	v_mul_f32_e32 v15, v4, v15
	v_bfe_u32 v16, v15, 16, 1
	v_or_b32_e32 v17, 0x400000, v15
	v_cmp_u_f32_e32 vcc_lo, v15, v15
	v_add3_u32 v16, v16, v15, 0x7fff
	v_cndmask_b32_e32 v15, v16, v17, vcc_lo
	buffer_load_dword v16, off, s[0:3], s32 offset:312 ; 4-byte Folded Reload
	v_and_b32_e32 v13, 0xffff0000, v15
	s_waitcnt vmcnt(0)
	v_lshlrev_b32_e32 v16, 16, v16
	v_mul_f32_e32 v16, v5, v16
	v_bfe_u32 v17, v16, 16, 1
	v_or_b32_e32 v18, 0x400000, v16
	v_cmp_u_f32_e32 vcc_lo, v16, v16
	v_add3_u32 v17, v17, v16, 0x7fff
	v_cndmask_b32_e32 v16, v17, v18, vcc_lo
	buffer_load_dword v17, off, s[0:3], s32 offset:324 ; 4-byte Folded Reload
	v_and_b32_e32 v1, 0xffff0000, v16
	v_add_f32_e32 v1, v1, v13
	v_add_f32_e32 v0, v0, v1
	s_waitcnt vmcnt(0)
	v_lshlrev_b32_e32 v17, 16, v17
	v_mul_f32_e32 v17, v2, v17
	v_bfe_u32 v18, v17, 16, 1
	v_or_b32_e32 v21, 0x400000, v17
	v_cmp_u_f32_e32 vcc_lo, v17, v17
	v_add3_u32 v18, v18, v17, 0x7fff
	v_cndmask_b32_e32 v17, v18, v21, vcc_lo
	buffer_load_dword v18, off, s[0:3], s32 offset:320 ; 4-byte Folded Reload
	v_and_b32_e32 v13, 0xffff0000, v17
	s_waitcnt vmcnt(0)
	v_lshlrev_b32_e32 v18, 16, v18
	v_mul_f32_e32 v18, v3, v18
	v_bfe_u32 v21, v18, 16, 1
	v_or_b32_e32 v22, 0x400000, v18
	v_cmp_u_f32_e32 vcc_lo, v18, v18
	v_add3_u32 v21, v21, v18, 0x7fff
	v_cndmask_b32_e32 v18, v21, v22, vcc_lo
	v_and_b32_e32 v1, 0xffff0000, v18
	v_add_f32_e32 v1, v1, v13
	v_add_f32_e32 v0, v0, v1
	;; [unrolled: 1-line block ×3, first 2 shown]
	buffer_load_dword v0, off, s[0:3], s32 offset:308 ; 4-byte Folded Reload
	s_waitcnt vmcnt(0)
	v_lshlrev_b32_e32 v0, 16, v0
	v_mul_f32_e32 v0, v8, v0
	v_bfe_u32 v1, v0, 16, 1
	v_or_b32_e32 v13, 0x400000, v0
	v_cmp_u_f32_e32 vcc_lo, v0, v0
	v_add3_u32 v1, v1, v0, 0x7fff
	v_cndmask_b32_e32 v0, v1, v13, vcc_lo
	buffer_load_dword v1, off, s[0:3], s32 offset:304 ; 4-byte Folded Reload
	v_and_b32_e32 v0, 0xffff0000, v0
	s_waitcnt vmcnt(0)
	v_lshlrev_b32_e32 v1, 16, v1
	v_mul_f32_e32 v1, v9, v1
	v_bfe_u32 v13, v1, 16, 1
	v_or_b32_e32 v14, 0x400000, v1
	v_cmp_u_f32_e32 vcc_lo, v1, v1
	v_add3_u32 v13, v13, v1, 0x7fff
	v_cndmask_b32_e32 v1, v13, v14, vcc_lo
	buffer_load_dword v13, off, s[0:3], s32 offset:296 ; 4-byte Folded Reload
	v_and_b32_e32 v1, 0xffff0000, v1
	v_add_f32_e32 v0, v1, v0
	s_waitcnt vmcnt(0)
	v_lshlrev_b32_e32 v13, 16, v13
	v_mul_f32_e32 v13, v6, v13
	v_bfe_u32 v14, v13, 16, 1
	v_or_b32_e32 v15, 0x400000, v13
	v_cmp_u_f32_e32 vcc_lo, v13, v13
	v_add3_u32 v14, v14, v13, 0x7fff
	v_cndmask_b32_e32 v13, v14, v15, vcc_lo
	buffer_load_dword v14, off, s[0:3], s32 offset:300 ; 4-byte Folded Reload
	v_and_b32_e32 v13, 0xffff0000, v13
	s_waitcnt vmcnt(0)
	v_lshlrev_b32_e32 v14, 16, v14
	v_mul_f32_e32 v14, v7, v14
	v_bfe_u32 v15, v14, 16, 1
	v_or_b32_e32 v16, 0x400000, v14
	v_cmp_u_f32_e32 vcc_lo, v14, v14
	v_add3_u32 v15, v15, v14, 0x7fff
	v_cndmask_b32_e32 v14, v15, v16, vcc_lo
	buffer_load_dword v15, off, s[0:3], s32 offset:292 ; 4-byte Folded Reload
	v_and_b32_e32 v1, 0xffff0000, v14
	v_add_f32_e32 v1, v1, v13
	v_add_f32_e32 v0, v0, v1
	s_waitcnt vmcnt(0)
	v_lshlrev_b32_e32 v15, 16, v15
	v_mul_f32_e32 v15, v4, v15
	v_bfe_u32 v16, v15, 16, 1
	v_or_b32_e32 v17, 0x400000, v15
	v_cmp_u_f32_e32 vcc_lo, v15, v15
	v_add3_u32 v16, v16, v15, 0x7fff
	v_cndmask_b32_e32 v15, v16, v17, vcc_lo
	buffer_load_dword v16, off, s[0:3], s32 offset:284 ; 4-byte Folded Reload
	v_and_b32_e32 v13, 0xffff0000, v15
	s_waitcnt vmcnt(0)
	v_lshlrev_b32_e32 v16, 16, v16
	v_mul_f32_e32 v16, v5, v16
	v_bfe_u32 v17, v16, 16, 1
	v_or_b32_e32 v18, 0x400000, v16
	v_cmp_u_f32_e32 vcc_lo, v16, v16
	v_add3_u32 v17, v17, v16, 0x7fff
	v_cndmask_b32_e32 v16, v17, v18, vcc_lo
	buffer_load_dword v17, off, s[0:3], s32 offset:288 ; 4-byte Folded Reload
	v_and_b32_e32 v1, 0xffff0000, v16
	v_add_f32_e32 v1, v1, v13
	v_add_f32_e32 v0, v0, v1
	s_waitcnt vmcnt(0)
	v_lshlrev_b32_e32 v17, 16, v17
	v_mul_f32_e32 v17, v2, v17
	v_bfe_u32 v18, v17, 16, 1
	v_or_b32_e32 v21, 0x400000, v17
	v_cmp_u_f32_e32 vcc_lo, v17, v17
	v_add3_u32 v18, v18, v17, 0x7fff
	v_cndmask_b32_e32 v17, v18, v21, vcc_lo
	buffer_load_dword v18, off, s[0:3], s32 offset:280 ; 4-byte Folded Reload
	v_and_b32_e32 v13, 0xffff0000, v17
	s_waitcnt vmcnt(0)
	v_lshlrev_b32_e32 v18, 16, v18
	v_mul_f32_e32 v18, v3, v18
	v_bfe_u32 v21, v18, 16, 1
	v_or_b32_e32 v22, 0x400000, v18
	v_cmp_u_f32_e32 vcc_lo, v18, v18
	v_add3_u32 v21, v21, v18, 0x7fff
	v_cndmask_b32_e32 v18, v21, v22, vcc_lo
	v_and_b32_e32 v1, 0xffff0000, v18
	v_add_f32_e32 v1, v1, v13
	v_add_f32_e32 v0, v0, v1
	;; [unrolled: 1-line block ×3, first 2 shown]
	buffer_load_dword v0, off, s[0:3], s32 offset:276 ; 4-byte Folded Reload
	s_waitcnt vmcnt(0)
	v_lshlrev_b32_e32 v0, 16, v0
	v_mul_f32_e32 v0, v8, v0
	v_bfe_u32 v1, v0, 16, 1
	v_or_b32_e32 v13, 0x400000, v0
	v_cmp_u_f32_e32 vcc_lo, v0, v0
	v_add3_u32 v1, v1, v0, 0x7fff
	v_cndmask_b32_e32 v0, v1, v13, vcc_lo
	buffer_load_dword v1, off, s[0:3], s32 offset:272 ; 4-byte Folded Reload
	v_and_b32_e32 v0, 0xffff0000, v0
	s_waitcnt vmcnt(0)
	v_lshlrev_b32_e32 v1, 16, v1
	v_mul_f32_e32 v1, v9, v1
	v_bfe_u32 v13, v1, 16, 1
	v_or_b32_e32 v14, 0x400000, v1
	v_cmp_u_f32_e32 vcc_lo, v1, v1
	v_add3_u32 v13, v13, v1, 0x7fff
	v_cndmask_b32_e32 v1, v13, v14, vcc_lo
	buffer_load_dword v13, off, s[0:3], s32 offset:268 ; 4-byte Folded Reload
	v_and_b32_e32 v1, 0xffff0000, v1
	v_add_f32_e32 v0, v1, v0
	s_waitcnt vmcnt(0)
	v_lshlrev_b32_e32 v13, 16, v13
	v_mul_f32_e32 v13, v6, v13
	v_bfe_u32 v14, v13, 16, 1
	v_or_b32_e32 v15, 0x400000, v13
	v_cmp_u_f32_e32 vcc_lo, v13, v13
	v_add3_u32 v14, v14, v13, 0x7fff
	v_cndmask_b32_e32 v13, v14, v15, vcc_lo
	buffer_load_dword v14, off, s[0:3], s32 offset:264 ; 4-byte Folded Reload
	v_and_b32_e32 v13, 0xffff0000, v13
	s_waitcnt vmcnt(0)
	v_lshlrev_b32_e32 v14, 16, v14
	v_mul_f32_e32 v14, v7, v14
	v_bfe_u32 v15, v14, 16, 1
	v_or_b32_e32 v16, 0x400000, v14
	v_cmp_u_f32_e32 vcc_lo, v14, v14
	v_add3_u32 v15, v15, v14, 0x7fff
	v_cndmask_b32_e32 v14, v15, v16, vcc_lo
	buffer_load_dword v15, off, s[0:3], s32 offset:260 ; 4-byte Folded Reload
	v_and_b32_e32 v1, 0xffff0000, v14
	v_add_f32_e32 v1, v1, v13
	v_add_f32_e32 v0, v0, v1
	s_waitcnt vmcnt(0)
	v_lshlrev_b32_e32 v15, 16, v15
	v_mul_f32_e32 v15, v4, v15
	v_bfe_u32 v16, v15, 16, 1
	v_or_b32_e32 v17, 0x400000, v15
	v_cmp_u_f32_e32 vcc_lo, v15, v15
	v_add3_u32 v16, v16, v15, 0x7fff
	v_cndmask_b32_e32 v15, v16, v17, vcc_lo
	buffer_load_dword v16, off, s[0:3], s32 offset:252 ; 4-byte Folded Reload
	v_and_b32_e32 v13, 0xffff0000, v15
	s_waitcnt vmcnt(0)
	v_lshlrev_b32_e32 v16, 16, v16
	v_mul_f32_e32 v16, v5, v16
	v_bfe_u32 v17, v16, 16, 1
	v_or_b32_e32 v18, 0x400000, v16
	v_cmp_u_f32_e32 vcc_lo, v16, v16
	v_add3_u32 v17, v17, v16, 0x7fff
	v_cndmask_b32_e32 v16, v17, v18, vcc_lo
	buffer_load_dword v17, off, s[0:3], s32 offset:256 ; 4-byte Folded Reload
	v_and_b32_e32 v1, 0xffff0000, v16
	v_add_f32_e32 v1, v1, v13
	v_add_f32_e32 v0, v0, v1
	s_waitcnt vmcnt(0)
	v_lshlrev_b32_e32 v17, 16, v17
	v_mul_f32_e32 v17, v2, v17
	v_bfe_u32 v18, v17, 16, 1
	v_or_b32_e32 v21, 0x400000, v17
	v_cmp_u_f32_e32 vcc_lo, v17, v17
	v_add3_u32 v18, v18, v17, 0x7fff
	v_cndmask_b32_e32 v17, v18, v21, vcc_lo
	buffer_load_dword v18, off, s[0:3], s32 offset:248 ; 4-byte Folded Reload
	v_and_b32_e32 v13, 0xffff0000, v17
	s_waitcnt vmcnt(0)
	v_lshlrev_b32_e32 v18, 16, v18
	v_mul_f32_e32 v18, v3, v18
	v_bfe_u32 v21, v18, 16, 1
	v_or_b32_e32 v22, 0x400000, v18
	v_cmp_u_f32_e32 vcc_lo, v18, v18
	v_add3_u32 v21, v21, v18, 0x7fff
	v_cndmask_b32_e32 v18, v21, v22, vcc_lo
	v_and_b32_e32 v1, 0xffff0000, v18
	v_add_f32_e32 v1, v1, v13
	v_add_f32_e32 v0, v0, v1
	;; [unrolled: 1-line block ×3, first 2 shown]
	buffer_load_dword v0, off, s[0:3], s32 offset:244 ; 4-byte Folded Reload
	s_waitcnt vmcnt(0)
	v_lshlrev_b32_e32 v0, 16, v0
	v_mul_f32_e32 v0, v8, v0
	v_bfe_u32 v1, v0, 16, 1
	v_or_b32_e32 v13, 0x400000, v0
	v_cmp_u_f32_e32 vcc_lo, v0, v0
	v_add3_u32 v1, v1, v0, 0x7fff
	v_cndmask_b32_e32 v0, v1, v13, vcc_lo
	buffer_load_dword v1, off, s[0:3], s32 offset:240 ; 4-byte Folded Reload
	v_and_b32_e32 v0, 0xffff0000, v0
	s_waitcnt vmcnt(0)
	v_lshlrev_b32_e32 v1, 16, v1
	v_mul_f32_e32 v1, v9, v1
	v_bfe_u32 v13, v1, 16, 1
	v_or_b32_e32 v14, 0x400000, v1
	v_cmp_u_f32_e32 vcc_lo, v1, v1
	v_add3_u32 v13, v13, v1, 0x7fff
	v_cndmask_b32_e32 v1, v13, v14, vcc_lo
	buffer_load_dword v13, off, s[0:3], s32 offset:236 ; 4-byte Folded Reload
	v_and_b32_e32 v1, 0xffff0000, v1
	v_add_f32_e32 v0, v1, v0
	s_waitcnt vmcnt(0)
	v_lshlrev_b32_e32 v13, 16, v13
	v_mul_f32_e32 v13, v6, v13
	v_bfe_u32 v14, v13, 16, 1
	v_or_b32_e32 v15, 0x400000, v13
	v_cmp_u_f32_e32 vcc_lo, v13, v13
	v_add3_u32 v14, v14, v13, 0x7fff
	v_cndmask_b32_e32 v13, v14, v15, vcc_lo
	buffer_load_dword v14, off, s[0:3], s32 offset:232 ; 4-byte Folded Reload
	v_and_b32_e32 v13, 0xffff0000, v13
	s_waitcnt vmcnt(0)
	v_lshlrev_b32_e32 v14, 16, v14
	v_mul_f32_e32 v14, v7, v14
	v_bfe_u32 v15, v14, 16, 1
	v_or_b32_e32 v16, 0x400000, v14
	v_cmp_u_f32_e32 vcc_lo, v14, v14
	v_add3_u32 v15, v15, v14, 0x7fff
	v_cndmask_b32_e32 v14, v15, v16, vcc_lo
	buffer_load_dword v15, off, s[0:3], s32 offset:208 ; 4-byte Folded Reload
	v_and_b32_e32 v1, 0xffff0000, v14
	buffer_load_dword v14, off, s[0:3], s32 offset:440 ; 4-byte Folded Reload
	v_add_f32_e32 v1, v1, v13
	v_add_f32_e32 v0, v0, v1
	s_waitcnt vmcnt(1)
	v_lshlrev_b32_e32 v15, 16, v15
	v_mul_f32_e32 v15, v4, v15
	v_bfe_u32 v16, v15, 16, 1
	v_or_b32_e32 v17, 0x400000, v15
	v_cmp_u_f32_e32 vcc_lo, v15, v15
	v_add3_u32 v16, v16, v15, 0x7fff
	v_cndmask_b32_e32 v15, v16, v17, vcc_lo
	buffer_load_dword v16, off, s[0:3], s32 offset:196 ; 4-byte Folded Reload
	v_and_b32_e32 v13, 0xffff0000, v15
	s_waitcnt vmcnt(0)
	v_lshlrev_b32_e32 v16, 16, v16
	v_mul_f32_e32 v16, v5, v16
	v_bfe_u32 v17, v16, 16, 1
	v_or_b32_e32 v18, 0x400000, v16
	v_cmp_u_f32_e32 vcc_lo, v16, v16
	v_add3_u32 v17, v17, v16, 0x7fff
	v_cndmask_b32_e32 v16, v17, v18, vcc_lo
	buffer_load_dword v17, off, s[0:3], s32 offset:204 ; 4-byte Folded Reload
	v_and_b32_e32 v1, 0xffff0000, v16
	v_add_f32_e32 v1, v1, v13
	v_add_f32_e32 v0, v0, v1
	s_waitcnt vmcnt(0)
	v_lshlrev_b32_e32 v17, 16, v17
	v_mul_f32_e32 v17, v2, v17
	v_bfe_u32 v18, v17, 16, 1
	v_or_b32_e32 v21, 0x400000, v17
	v_cmp_u_f32_e32 vcc_lo, v17, v17
	v_add3_u32 v18, v18, v17, 0x7fff
	v_cndmask_b32_e32 v17, v18, v21, vcc_lo
	buffer_load_dword v18, off, s[0:3], s32 offset:192 ; 4-byte Folded Reload
	v_and_b32_e32 v13, 0xffff0000, v17
	s_waitcnt vmcnt(0)
	v_lshlrev_b32_e32 v18, 16, v18
	v_mul_f32_e32 v18, v3, v18
	v_bfe_u32 v21, v18, 16, 1
	v_or_b32_e32 v22, 0x400000, v18
	v_cmp_u_f32_e32 vcc_lo, v18, v18
	v_add3_u32 v21, v21, v18, 0x7fff
	v_cndmask_b32_e32 v18, v21, v22, vcc_lo
	v_and_b32_e32 v1, 0xffff0000, v18
	v_add_f32_e32 v1, v1, v13
	v_add_f32_e32 v0, v0, v1
	;; [unrolled: 1-line block ×3, first 2 shown]
	v_lshlrev_b32_e32 v0, 16, v29
	v_mul_f32_e32 v0, v9, v0
	v_bfe_u32 v1, v0, 16, 1
	v_or_b32_e32 v9, 0x400000, v0
	v_cmp_u_f32_e32 vcc_lo, v0, v0
	v_add3_u32 v1, v1, v0, 0x7fff
	v_cndmask_b32_e32 v0, v1, v9, vcc_lo
	v_lshlrev_b32_e32 v1, 16, v28
	v_and_b32_e32 v0, 0xffff0000, v0
	v_mul_f32_e32 v1, v8, v1
	v_bfe_u32 v8, v1, 16, 1
	v_or_b32_e32 v9, 0x400000, v1
	v_cmp_u_f32_e32 vcc_lo, v1, v1
	v_add3_u32 v8, v8, v1, 0x7fff
	v_cndmask_b32_e32 v1, v8, v9, vcc_lo
	v_lshlrev_b32_e32 v8, 16, v26
	v_and_b32_e32 v1, 0xffff0000, v1
	v_mul_f32_e32 v7, v7, v8
	v_add_f32_e32 v0, v0, v1
	v_bfe_u32 v8, v7, 16, 1
	v_or_b32_e32 v9, 0x400000, v7
	v_cmp_u_f32_e32 vcc_lo, v7, v7
	v_add3_u32 v8, v8, v7, 0x7fff
	v_cndmask_b32_e32 v7, v8, v9, vcc_lo
	v_lshlrev_b32_e32 v8, 16, v24
	v_mul_f32_e32 v6, v6, v8
	v_bfe_u32 v8, v6, 16, 1
	v_or_b32_e32 v9, 0x400000, v6
	v_cmp_u_f32_e32 vcc_lo, v6, v6
	v_add3_u32 v8, v8, v6, 0x7fff
	v_cndmask_b32_e32 v6, v8, v9, vcc_lo
	v_lshlrev_b32_e32 v8, 16, v11
	v_and_b32_e32 v1, 0xffff0000, v6
	v_mul_f32_e32 v5, v5, v8
	v_and_b32_e32 v6, 0xffff0000, v7
	v_bfe_u32 v8, v5, 16, 1
	v_or_b32_e32 v9, 0x400000, v5
	v_cmp_u_f32_e32 vcc_lo, v5, v5
	v_add_f32_e32 v1, v6, v1
	v_add3_u32 v8, v8, v5, 0x7fff
	v_add_f32_e32 v0, v0, v1
	v_cndmask_b32_e32 v5, v8, v9, vcc_lo
	v_lshlrev_b32_e32 v8, 16, v10
	v_mul_f32_e32 v4, v4, v8
	v_bfe_u32 v8, v4, 16, 1
	v_or_b32_e32 v9, 0x400000, v4
	v_cmp_u_f32_e32 vcc_lo, v4, v4
	v_add3_u32 v8, v8, v4, 0x7fff
	v_cndmask_b32_e32 v4, v8, v9, vcc_lo
	v_lshlrev_b32_e32 v8, 16, v25
	v_and_b32_e32 v1, 0xffff0000, v4
	v_mul_f32_e32 v3, v3, v8
	v_and_b32_e32 v4, 0xffff0000, v5
	v_bfe_u32 v8, v3, 16, 1
	v_or_b32_e32 v9, 0x400000, v3
	v_cmp_u_f32_e32 vcc_lo, v3, v3
	v_add_f32_e32 v1, v4, v1
	v_add3_u32 v8, v8, v3, 0x7fff
	v_add_f32_e32 v0, v0, v1
	v_cndmask_b32_e32 v3, v8, v9, vcc_lo
	v_lshlrev_b32_e32 v8, 16, v27
	v_mul_f32_e32 v2, v2, v8
	v_bfe_u32 v8, v2, 16, 1
	v_or_b32_e32 v9, 0x400000, v2
	v_cmp_u_f32_e32 vcc_lo, v2, v2
	v_add3_u32 v8, v8, v2, 0x7fff
	v_cndmask_b32_e32 v2, v8, v9, vcc_lo
	v_and_b32_e32 v1, 0xffff0000, v2
	v_and_b32_e32 v2, 0xffff0000, v3
	v_add_f32_e32 v1, v2, v1
	v_add_f32_e32 v0, v0, v1
	;; [unrolled: 1-line block ×3, first 2 shown]
.LBB331_1064:                           ;   in Loop: Header=BB331_1065 Depth=1
	s_or_b32 exec_lo, exec_lo, s20
	buffer_load_dword v0, off, s[0:3], s32 offset:200 ; 4-byte Folded Reload
	v_add_nc_u32_e32 v97, 4, v97
	v_mov_b32_e32 v2, v87
	v_add_co_u32 v19, s5, v19, 16
	v_add_nc_u32_e32 v52, 0x100, v52
	v_add_co_ci_u32_e64 v20, null, 0, v20, s5
	v_add_nc_u32_e32 v2, 64, v2
	s_waitcnt vmcnt(0)
	v_cmp_ge_i32_e32 vcc_lo, v97, v0
	s_or_b32 s17, vcc_lo, s17
	s_andn2_b32 exec_lo, exec_lo, s17
	s_cbranch_execz .LBB331_2122
.LBB331_1065:                           ; =>This Inner Loop Header: Depth=1
	buffer_load_dword v0, off, s[0:3], s32 offset:224 ; 4-byte Folded Reload
	s_waitcnt vmcnt(1)
	v_mov_b32_e32 v87, v2
	s_waitcnt vmcnt(0)
	v_mul_hi_u32 v0, v2, v0
	v_mul_lo_u32 v1, v0, v83
	v_sub_nc_u32_e32 v1, v2, v1
	v_add_nc_u32_e32 v2, 1, v0
	v_sub_nc_u32_e32 v3, v1, v83
	v_cmp_ge_u32_e32 vcc_lo, v1, v83
	v_cndmask_b32_e32 v1, v1, v3, vcc_lo
	v_cndmask_b32_e32 v0, v0, v2, vcc_lo
	v_cmp_ge_u32_e32 vcc_lo, v1, v83
	buffer_load_dword v1, off, s[0:3], s32 offset:220 ; 4-byte Folded Reload
	v_add_nc_u32_e32 v2, 1, v0
	v_cndmask_b32_e32 v0, v0, v2, vcc_lo
	s_waitcnt vmcnt(0)
	v_xor_b32_e32 v0, v0, v1
	v_sub_nc_u32_e32 v0, v0, v1
	s_clause 0x2
	buffer_load_dword v1, off, s[0:3], s32 offset:212
	buffer_load_dword v2, off, s[0:3], s32 offset:216
	buffer_load_dword v3, off, s[0:3], s32 offset:356
	s_waitcnt vmcnt(2)
	v_add_nc_u32_e32 v1, v0, v1
	s_waitcnt vmcnt(1)
	v_sub_nc_u32_e32 v2, 0, v1
	v_max_i32_e32 v2, v1, v2
	v_ashrrev_i32_e32 v1, 31, v1
	s_waitcnt vmcnt(0)
	v_mul_hi_u32 v3, v2, v3
	v_mul_lo_u32 v3, v3, v65
	v_sub_nc_u32_e32 v2, v2, v3
	v_sub_nc_u32_e32 v3, v2, v65
	v_cmp_ge_u32_e32 vcc_lo, v2, v65
	v_cndmask_b32_e32 v2, v2, v3, vcc_lo
	v_sub_nc_u32_e32 v3, v2, v65
	v_cmp_ge_u32_e32 vcc_lo, v2, v65
	v_cndmask_b32_e32 v2, v2, v3, vcc_lo
	v_xor_b32_e32 v2, v2, v1
	v_sub_nc_u32_e32 v1, v2, v1
	v_cmp_eq_u32_e32 vcc_lo, 0, v1
	buffer_load_dword v1, off, s[0:3], s32 offset:228 ; 4-byte Folded Reload
	s_waitcnt vmcnt(0)
	v_cmp_gt_i32_e64 s5, v0, v1
	s_or_b32 s5, vcc_lo, s5
	s_and_saveexec_b32 s20, s5
	s_cbranch_execz .LBB331_1064
; %bb.1066:                             ;   in Loop: Header=BB331_1065 Depth=1
	buffer_store_dword v39, off, s[0:3], s32 offset:444 ; 4-byte Folded Spill
	buffer_store_dword v14, off, s[0:3], s32 offset:440 ; 4-byte Folded Spill
	;; [unrolled: 1-line block ×15, first 2 shown]
	flat_load_dword v0, v[19:20]
	s_clause 0x2
	buffer_load_dword v1, off, s[0:3], s32 offset:384
	buffer_load_dword v2, off, s[0:3], s32 offset:452
	buffer_load_dword v3, off, s[0:3], s32 offset:456
	s_waitcnt vmcnt(0) lgkmcnt(0)
	v_mad_i64_i32 v[24:25], null, v0, v1, v[2:3]
	flat_load_dwordx2 v[26:27], v[24:25]
	s_clause 0x1
	buffer_load_dword v0, off, s[0:3], s32 offset:568
	buffer_load_dword v1, off, s[0:3], s32 offset:572
	s_load_dword s5, s[8:9], 0x0
	s_waitcnt vmcnt(2) lgkmcnt(0)
	v_cmp_ne_u16_sdwa s21, v26, v12 src0_sel:BYTE_0 src1_sel:DWORD
	s_waitcnt vmcnt(0)
	flat_load_dword v72, v[0:1]
	v_add_nc_u32_e32 v0, s5, v52
	v_mov_b32_e32 v1, 0
	ds_read2_b64 v[6:9], v0 offset1:1
	ds_read2_b64 v[2:5], v0 offset0:2 offset1:3
	v_mov_b32_e32 v0, 0
	s_and_saveexec_b32 s5, s21
	s_cbranch_execz .LBB331_1074
; %bb.1067:                             ;   in Loop: Header=BB331_1065 Depth=1
	v_cmp_ne_u16_sdwa s22, v26, v67 src0_sel:BYTE_0 src1_sel:DWORD
	v_bfrev_b32_e32 v0, 1
	s_and_saveexec_b32 s21, s22
	s_cbranch_execz .LBB331_1073
; %bb.1068:                             ;   in Loop: Header=BB331_1065 Depth=1
	v_and_b32_e32 v10, 0x7f, v26
	v_mov_b32_e32 v0, 0x7f800001
	s_mov_b32 s22, exec_lo
	v_cmpx_ne_u32_e32 0x7f, v10
	s_cbranch_execz .LBB331_1072
; %bb.1069:                             ;   in Loop: Header=BB331_1065 Depth=1
	v_lshrrev_b32_e32 v0, 3, v10
	v_cmp_gt_u32_e32 vcc_lo, 8, v10
	v_mov_b32_e32 v10, v26
	v_mov_b32_e32 v11, v27
	s_and_saveexec_b32 s23, vcc_lo
; %bb.1070:                             ;   in Loop: Header=BB331_1065 Depth=1
	v_and_b32_e32 v0, 7, v26
	v_ffbh_u32_e32 v0, v0
	v_min_u32_e32 v0, 32, v0
	v_subrev_nc_u32_e32 v10, 28, v0
	v_sub_nc_u32_e32 v0, 29, v0
	v_lshlrev_b64 v[10:11], v10, v[26:27]
; %bb.1071:                             ;   in Loop: Header=BB331_1065 Depth=1
	s_or_b32 exec_lo, exec_lo, s23
	v_lshlrev_b32_e32 v10, 20, v10
	v_lshlrev_b32_e32 v11, 24, v26
	v_lshl_add_u32 v0, v0, 23, 0x3c000000
	v_and_b32_e32 v10, 0x700000, v10
	v_and_b32_e32 v11, 0x80000000, v11
	v_or3_b32 v0, v10, v11, v0
.LBB331_1072:                           ;   in Loop: Header=BB331_1065 Depth=1
	s_or_b32 exec_lo, exec_lo, s22
.LBB331_1073:                           ;   in Loop: Header=BB331_1065 Depth=1
	s_or_b32 exec_lo, exec_lo, s21
.LBB331_1074:                           ;   in Loop: Header=BB331_1065 Depth=1
	s_or_b32 exec_lo, exec_lo, s5
	v_cmp_ne_u16_sdwa s21, v26, v12 src0_sel:BYTE_1 src1_sel:DWORD
	s_and_saveexec_b32 s5, s21
	s_cbranch_execz .LBB331_1082
; %bb.1075:                             ;   in Loop: Header=BB331_1065 Depth=1
	v_cmp_ne_u16_sdwa s22, v26, v67 src0_sel:BYTE_1 src1_sel:DWORD
	v_bfrev_b32_e32 v1, 1
	s_and_saveexec_b32 s21, s22
	s_cbranch_execz .LBB331_1081
; %bb.1076:                             ;   in Loop: Header=BB331_1065 Depth=1
	v_mov_b32_e32 v1, 0xffff
	s_mov_b32 s22, exec_lo
	v_and_b32_sdwa v11, v1, v26 dst_sel:DWORD dst_unused:UNUSED_PAD src0_sel:DWORD src1_sel:BYTE_1
	v_mov_b32_e32 v1, 0x7f800001
	v_and_b32_e32 v10, 0x7f, v11
	v_cmpx_ne_u32_e32 0x7f, v10
	s_cbranch_execz .LBB331_1080
; %bb.1077:                             ;   in Loop: Header=BB331_1065 Depth=1
	v_and_b32_e32 v11, 7, v11
	v_mov_b32_e32 v29, v12
	v_lshrrev_b32_e32 v1, 3, v10
	s_mov_b32 s23, exec_lo
	v_mov_b32_e32 v28, v11
	v_cmpx_gt_u32_e32 8, v10
; %bb.1078:                             ;   in Loop: Header=BB331_1065 Depth=1
	v_ffbh_u32_e32 v1, v11
	v_min_u32_e32 v1, 32, v1
	v_subrev_nc_u32_e32 v10, 28, v1
	v_sub_nc_u32_e32 v1, 29, v1
	v_lshlrev_b64 v[10:11], v10, v[11:12]
	v_and_b32_e32 v28, 7, v10
; %bb.1079:                             ;   in Loop: Header=BB331_1065 Depth=1
	s_or_b32 exec_lo, exec_lo, s23
	v_lshlrev_b32_e32 v10, 16, v26
	v_lshlrev_b32_e32 v11, 20, v28
	v_lshl_add_u32 v1, v1, 23, 0x3c000000
	v_and_b32_e32 v10, 0x80000000, v10
	v_or3_b32 v1, v11, v10, v1
.LBB331_1080:                           ;   in Loop: Header=BB331_1065 Depth=1
	s_or_b32 exec_lo, exec_lo, s22
.LBB331_1081:                           ;   in Loop: Header=BB331_1065 Depth=1
	s_or_b32 exec_lo, exec_lo, s21
.LBB331_1082:                           ;   in Loop: Header=BB331_1065 Depth=1
	s_or_b32 exec_lo, exec_lo, s5
	v_and_b32_sdwa v11, v26, v69 dst_sel:DWORD dst_unused:UNUSED_PAD src0_sel:WORD_1 src1_sel:DWORD
	v_mov_b32_e32 v13, 0
	v_mov_b32_e32 v10, 0
	s_mov_b32 s5, exec_lo
	v_cmpx_ne_u16_e32 0, v11
	s_cbranch_execz .LBB331_1090
; %bb.1083:                             ;   in Loop: Header=BB331_1065 Depth=1
	v_bfrev_b32_e32 v10, 1
	s_mov_b32 s21, exec_lo
	v_cmpx_ne_u16_e32 0x80, v11
	s_cbranch_execz .LBB331_1089
; %bb.1084:                             ;   in Loop: Header=BB331_1065 Depth=1
	v_bfe_u32 v14, v26, 16, 7
	v_mov_b32_e32 v10, 0x7f800001
	s_mov_b32 s22, exec_lo
	v_cmpx_ne_u32_e32 0x7f, v14
	s_cbranch_execz .LBB331_1088
; %bb.1085:                             ;   in Loop: Header=BB331_1065 Depth=1
	v_mov_b32_e32 v10, 7
	s_mov_b32 s23, exec_lo
	v_and_b32_sdwa v11, v26, v10 dst_sel:DWORD dst_unused:UNUSED_PAD src0_sel:WORD_1 src1_sel:DWORD
	v_mov_b32_e32 v29, v12
	v_lshrrev_b32_e32 v10, 3, v14
	v_mov_b32_e32 v28, v11
	v_cmpx_gt_u32_e32 8, v14
; %bb.1086:                             ;   in Loop: Header=BB331_1065 Depth=1
	v_ffbh_u32_e32 v10, v11
	v_min_u32_e32 v10, 32, v10
	v_subrev_nc_u32_e32 v14, 28, v10
	v_sub_nc_u32_e32 v10, 29, v10
	v_lshlrev_b64 v[14:15], v14, v[11:12]
	v_and_b32_e32 v28, 7, v14
; %bb.1087:                             ;   in Loop: Header=BB331_1065 Depth=1
	s_or_b32 exec_lo, exec_lo, s23
	v_mov_b32_e32 v11, 24
	v_lshlrev_b32_e32 v14, 20, v28
	v_lshl_add_u32 v10, v10, 23, 0x3c000000
	v_lshlrev_b32_sdwa v11, v11, v26 dst_sel:DWORD dst_unused:UNUSED_PAD src0_sel:DWORD src1_sel:WORD_1
	v_and_b32_e32 v11, 0x80000000, v11
	v_or3_b32 v10, v14, v11, v10
.LBB331_1088:                           ;   in Loop: Header=BB331_1065 Depth=1
	s_or_b32 exec_lo, exec_lo, s22
.LBB331_1089:                           ;   in Loop: Header=BB331_1065 Depth=1
	s_or_b32 exec_lo, exec_lo, s21
.LBB331_1090:                           ;   in Loop: Header=BB331_1065 Depth=1
	s_or_b32 exec_lo, exec_lo, s5
	s_mov_b32 s5, exec_lo
	v_cmpx_lt_u32_e32 0xffffff, v26
	s_cbranch_execz .LBB331_1098
; %bb.1091:                             ;   in Loop: Header=BB331_1065 Depth=1
	v_cmp_ne_u32_sdwa s22, v26, v67 src0_sel:BYTE_3 src1_sel:DWORD
	v_bfrev_b32_e32 v13, 1
	s_and_saveexec_b32 s21, s22
	s_cbranch_execz .LBB331_1097
; %bb.1092:                             ;   in Loop: Header=BB331_1065 Depth=1
	v_bfe_u32 v14, v26, 24, 7
	v_mov_b32_e32 v13, 0x7f800001
	s_mov_b32 s22, exec_lo
	v_cmpx_ne_u32_e32 0x7f, v14
	s_cbranch_execz .LBB331_1096
; %bb.1093:                             ;   in Loop: Header=BB331_1065 Depth=1
	v_mov_b32_e32 v11, 7
	v_lshrrev_b32_e32 v13, 3, v14
	s_mov_b32 s23, exec_lo
	v_and_b32_sdwa v11, v26, v11 dst_sel:DWORD dst_unused:UNUSED_PAD src0_sel:BYTE_3 src1_sel:DWORD
	v_mov_b32_e32 v29, v12
	v_mov_b32_e32 v28, v11
	v_cmpx_gt_u32_e32 8, v14
; %bb.1094:                             ;   in Loop: Header=BB331_1065 Depth=1
	v_ffbh_u32_e32 v13, v11
	v_min_u32_e32 v13, 32, v13
	v_subrev_nc_u32_e32 v14, 28, v13
	v_sub_nc_u32_e32 v13, 29, v13
	v_lshlrev_b64 v[14:15], v14, v[11:12]
	v_and_b32_e32 v28, 7, v14
; %bb.1095:                             ;   in Loop: Header=BB331_1065 Depth=1
	s_or_b32 exec_lo, exec_lo, s23
	v_mov_b32_e32 v11, 24
	v_lshlrev_b32_e32 v14, 20, v28
	v_lshl_add_u32 v13, v13, 23, 0x3c000000
	v_lshlrev_b32_sdwa v11, v11, v26 dst_sel:DWORD dst_unused:UNUSED_PAD src0_sel:DWORD src1_sel:BYTE_3
	v_and_b32_e32 v11, 0x80000000, v11
	v_or3_b32 v13, v14, v11, v13
.LBB331_1096:                           ;   in Loop: Header=BB331_1065 Depth=1
	s_or_b32 exec_lo, exec_lo, s22
.LBB331_1097:                           ;   in Loop: Header=BB331_1065 Depth=1
	s_or_b32 exec_lo, exec_lo, s21
.LBB331_1098:                           ;   in Loop: Header=BB331_1065 Depth=1
	s_or_b32 exec_lo, exec_lo, s5
	v_mov_b32_e32 v11, v27
	v_cmp_ne_u16_sdwa s21, v27, v12 src0_sel:BYTE_0 src1_sel:DWORD
	v_mov_b32_e32 v15, 0
	v_mov_b32_e32 v14, 0
	s_and_saveexec_b32 s5, s21
	s_cbranch_execz .LBB331_1106
; %bb.1099:                             ;   in Loop: Header=BB331_1065 Depth=1
	v_cmp_ne_u16_sdwa s22, v27, v67 src0_sel:BYTE_0 src1_sel:DWORD
	v_bfrev_b32_e32 v14, 1
	s_and_saveexec_b32 s21, s22
	s_cbranch_execz .LBB331_1105
; %bb.1100:                             ;   in Loop: Header=BB331_1065 Depth=1
	v_and_b32_e32 v16, 0x7f, v27
	v_mov_b32_e32 v14, 0x7f800001
	s_mov_b32 s22, exec_lo
	v_cmpx_ne_u32_e32 0x7f, v16
	s_cbranch_execz .LBB331_1104
; %bb.1101:                             ;   in Loop: Header=BB331_1065 Depth=1
	v_mov_b32_e32 v29, v12
	v_lshrrev_b32_e32 v14, 3, v16
	v_mov_b32_e32 v28, v11
	s_mov_b32 s23, exec_lo
	v_cmpx_gt_u32_e32 8, v16
; %bb.1102:                             ;   in Loop: Header=BB331_1065 Depth=1
	v_and_b32_e32 v14, 7, v27
	v_ffbh_u32_e32 v14, v14
	v_min_u32_e32 v14, 32, v14
	v_subrev_nc_u32_e32 v16, 28, v14
	v_sub_nc_u32_e32 v14, 29, v14
	v_lshlrev_b64 v[28:29], v16, v[11:12]
; %bb.1103:                             ;   in Loop: Header=BB331_1065 Depth=1
	s_or_b32 exec_lo, exec_lo, s23
	v_lshlrev_b32_e32 v16, 20, v28
	v_lshlrev_b32_e32 v17, 24, v11
	v_lshl_add_u32 v14, v14, 23, 0x3c000000
	v_and_b32_e32 v16, 0x700000, v16
	v_and_b32_e32 v17, 0x80000000, v17
	v_or3_b32 v14, v16, v17, v14
.LBB331_1104:                           ;   in Loop: Header=BB331_1065 Depth=1
	s_or_b32 exec_lo, exec_lo, s22
.LBB331_1105:                           ;   in Loop: Header=BB331_1065 Depth=1
	s_or_b32 exec_lo, exec_lo, s21
.LBB331_1106:                           ;   in Loop: Header=BB331_1065 Depth=1
	s_or_b32 exec_lo, exec_lo, s5
	v_cmp_ne_u16_sdwa s21, v11, v12 src0_sel:BYTE_1 src1_sel:DWORD
	s_and_saveexec_b32 s5, s21
	s_cbranch_execz .LBB331_1114
; %bb.1107:                             ;   in Loop: Header=BB331_1065 Depth=1
	v_cmp_ne_u16_sdwa s22, v11, v67 src0_sel:BYTE_1 src1_sel:DWORD
	v_bfrev_b32_e32 v15, 1
	s_and_saveexec_b32 s21, s22
	s_cbranch_execz .LBB331_1113
; %bb.1108:                             ;   in Loop: Header=BB331_1065 Depth=1
	v_mov_b32_e32 v15, 0xffff
	s_mov_b32 s22, exec_lo
	v_and_b32_sdwa v17, v15, v11 dst_sel:DWORD dst_unused:UNUSED_PAD src0_sel:DWORD src1_sel:BYTE_1
	v_mov_b32_e32 v15, 0x7f800001
	v_and_b32_e32 v16, 0x7f, v17
	v_cmpx_ne_u32_e32 0x7f, v16
	s_cbranch_execz .LBB331_1112
; %bb.1109:                             ;   in Loop: Header=BB331_1065 Depth=1
	v_and_b32_e32 v28, 7, v17
	v_mov_b32_e32 v29, v12
	v_lshrrev_b32_e32 v15, 3, v16
	s_mov_b32 s23, exec_lo
	v_cmpx_gt_u32_e32 8, v16
; %bb.1110:                             ;   in Loop: Header=BB331_1065 Depth=1
	v_ffbh_u32_e32 v15, v28
	v_min_u32_e32 v15, 32, v15
	v_subrev_nc_u32_e32 v16, 28, v15
	v_sub_nc_u32_e32 v15, 29, v15
	v_lshlrev_b64 v[16:17], v16, v[28:29]
	v_and_b32_e32 v28, 7, v16
; %bb.1111:                             ;   in Loop: Header=BB331_1065 Depth=1
	s_or_b32 exec_lo, exec_lo, s23
	v_lshlrev_b32_e32 v11, 16, v11
	v_lshlrev_b32_e32 v16, 20, v28
	v_lshl_add_u32 v15, v15, 23, 0x3c000000
	v_and_b32_e32 v11, 0x80000000, v11
	v_or3_b32 v15, v16, v11, v15
.LBB331_1112:                           ;   in Loop: Header=BB331_1065 Depth=1
	s_or_b32 exec_lo, exec_lo, s22
.LBB331_1113:                           ;   in Loop: Header=BB331_1065 Depth=1
	s_or_b32 exec_lo, exec_lo, s21
.LBB331_1114:                           ;   in Loop: Header=BB331_1065 Depth=1
	s_or_b32 exec_lo, exec_lo, s5
	v_and_b32_sdwa v11, v27, v69 dst_sel:DWORD dst_unused:UNUSED_PAD src0_sel:WORD_1 src1_sel:DWORD
	v_mov_b32_e32 v16, 0
	v_mov_b32_e32 v17, 0
	s_mov_b32 s5, exec_lo
	v_cmpx_ne_u16_e32 0, v11
	s_cbranch_execz .LBB331_1122
; %bb.1115:                             ;   in Loop: Header=BB331_1065 Depth=1
	v_bfrev_b32_e32 v17, 1
	s_mov_b32 s21, exec_lo
	v_cmpx_ne_u16_e32 0x80, v11
	s_cbranch_execz .LBB331_1121
; %bb.1116:                             ;   in Loop: Header=BB331_1065 Depth=1
	v_bfe_u32 v18, v27, 16, 7
	v_mov_b32_e32 v17, 0x7f800001
	s_mov_b32 s22, exec_lo
	v_cmpx_ne_u32_e32 0x7f, v18
	s_cbranch_execz .LBB331_1120
; %bb.1117:                             ;   in Loop: Header=BB331_1065 Depth=1
	v_mov_b32_e32 v11, 7
	v_lshrrev_b32_e32 v17, 3, v18
	s_mov_b32 s23, exec_lo
	v_and_b32_sdwa v11, v27, v11 dst_sel:DWORD dst_unused:UNUSED_PAD src0_sel:WORD_1 src1_sel:DWORD
	v_mov_b32_e32 v29, v12
	v_mov_b32_e32 v28, v11
	v_cmpx_gt_u32_e32 8, v18
; %bb.1118:                             ;   in Loop: Header=BB331_1065 Depth=1
	v_ffbh_u32_e32 v17, v11
	v_min_u32_e32 v17, 32, v17
	v_subrev_nc_u32_e32 v18, 28, v17
	v_sub_nc_u32_e32 v17, 29, v17
	v_lshlrev_b64 v[21:22], v18, v[11:12]
	v_and_b32_e32 v28, 7, v21
; %bb.1119:                             ;   in Loop: Header=BB331_1065 Depth=1
	s_or_b32 exec_lo, exec_lo, s23
	v_mov_b32_e32 v11, 24
	v_lshlrev_b32_e32 v18, 20, v28
	v_lshl_add_u32 v17, v17, 23, 0x3c000000
	v_lshlrev_b32_sdwa v11, v11, v27 dst_sel:DWORD dst_unused:UNUSED_PAD src0_sel:DWORD src1_sel:WORD_1
	v_and_b32_e32 v11, 0x80000000, v11
	v_or3_b32 v17, v18, v11, v17
.LBB331_1120:                           ;   in Loop: Header=BB331_1065 Depth=1
	s_or_b32 exec_lo, exec_lo, s22
.LBB331_1121:                           ;   in Loop: Header=BB331_1065 Depth=1
	s_or_b32 exec_lo, exec_lo, s21
.LBB331_1122:                           ;   in Loop: Header=BB331_1065 Depth=1
	s_or_b32 exec_lo, exec_lo, s5
	s_mov_b32 s5, exec_lo
	v_cmpx_lt_u64_e64 s[6:7], v[26:27]
	s_cbranch_execz .LBB331_1130
; %bb.1123:                             ;   in Loop: Header=BB331_1065 Depth=1
	v_cmp_ne_u32_sdwa s22, v27, v67 src0_sel:BYTE_3 src1_sel:DWORD
	v_bfrev_b32_e32 v16, 1
	s_and_saveexec_b32 s21, s22
	s_cbranch_execz .LBB331_1129
; %bb.1124:                             ;   in Loop: Header=BB331_1065 Depth=1
	v_bfe_u32 v18, v27, 24, 7
	v_mov_b32_e32 v16, 0x7f800001
	s_mov_b32 s22, exec_lo
	v_cmpx_ne_u32_e32 0x7f, v18
	s_cbranch_execz .LBB331_1128
; %bb.1125:                             ;   in Loop: Header=BB331_1065 Depth=1
	v_mov_b32_e32 v11, 7
	v_lshrrev_b32_e32 v16, 3, v18
	s_mov_b32 s23, exec_lo
	v_and_b32_sdwa v11, v27, v11 dst_sel:DWORD dst_unused:UNUSED_PAD src0_sel:BYTE_3 src1_sel:DWORD
	v_mov_b32_e32 v29, v12
	v_mov_b32_e32 v28, v11
	v_cmpx_gt_u32_e32 8, v18
; %bb.1126:                             ;   in Loop: Header=BB331_1065 Depth=1
	v_ffbh_u32_e32 v16, v11
	v_min_u32_e32 v16, 32, v16
	v_subrev_nc_u32_e32 v18, 28, v16
	v_sub_nc_u32_e32 v16, 29, v16
	v_lshlrev_b64 v[21:22], v18, v[11:12]
	v_and_b32_e32 v28, 7, v21
; %bb.1127:                             ;   in Loop: Header=BB331_1065 Depth=1
	s_or_b32 exec_lo, exec_lo, s23
	v_mov_b32_e32 v11, 24
	v_lshlrev_b32_e32 v18, 20, v28
	v_lshl_add_u32 v16, v16, 23, 0x3c000000
	v_lshlrev_b32_sdwa v11, v11, v27 dst_sel:DWORD dst_unused:UNUSED_PAD src0_sel:DWORD src1_sel:BYTE_3
	v_and_b32_e32 v11, 0x80000000, v11
	v_or3_b32 v16, v18, v11, v16
.LBB331_1128:                           ;   in Loop: Header=BB331_1065 Depth=1
	s_or_b32 exec_lo, exec_lo, s22
.LBB331_1129:                           ;   in Loop: Header=BB331_1065 Depth=1
	s_or_b32 exec_lo, exec_lo, s21
.LBB331_1130:                           ;   in Loop: Header=BB331_1065 Depth=1
	s_or_b32 exec_lo, exec_lo, s5
	s_clause 0x1
	buffer_load_dword v11, off, s[0:3], s32 offset:200
	buffer_load_dword v18, off, s[0:3], s32 offset:448
	s_waitcnt vmcnt(2) lgkmcnt(2)
	v_mul_f32_e32 v15, v72, v15
	v_mul_f32_e32 v14, v72, v14
	;; [unrolled: 1-line block ×5, first 2 shown]
	v_cmp_u_f32_e64 s5, v15, v15
	v_bfe_u32 v21, v14, 16, 1
	v_or_b32_e32 v22, 0x400000, v14
	v_bfe_u32 v23, v13, 16, 1
	v_or_b32_e32 v26, 0x400000, v13
	v_mul_f32_e32 v0, v72, v0
	v_add3_u32 v21, v21, v14, 0x7fff
	s_waitcnt vmcnt(1)
	v_add_nc_u32_e32 v11, -1, v11
	s_waitcnt vmcnt(0)
	v_add_nc_u32_e32 v75, v18, v87
	v_or_b32_e32 v18, 0x400000, v15
	v_cmp_eq_u32_e32 vcc_lo, v11, v97
	v_bfe_u32 v11, v15, 16, 1
	v_add_nc_u32_e32 v90, 1, v75
	v_add_nc_u32_e32 v89, 2, v75
	;; [unrolled: 1-line block ×4, first 2 shown]
	v_add3_u32 v11, v11, v15, 0x7fff
	v_bfe_u32 v15, v10, 16, 1
	v_add_nc_u32_e32 v78, 5, v75
	v_add_nc_u32_e32 v77, 6, v75
	;; [unrolled: 1-line block ×3, first 2 shown]
	v_cndmask_b32_e64 v11, v11, v18, s5
	v_cmp_u_f32_e64 s5, v14, v14
	v_add3_u32 v18, v23, v13, 0x7fff
	v_lshrrev_b32_e32 v11, 16, v11
	v_cndmask_b32_e64 v14, v21, v22, s5
	v_cmp_u_f32_e64 s5, v13, v13
	v_add3_u32 v13, v15, v10, 0x7fff
	v_or_b32_e32 v15, 0x400000, v10
	buffer_store_dword v11, off, s[0:3], s32 offset:208 ; 4-byte Folded Spill
	v_lshrrev_b32_e32 v14, 16, v14
	v_cndmask_b32_e64 v11, v18, v26, s5
	v_cmp_u_f32_e64 s5, v10, v10
	buffer_store_dword v14, off, s[0:3], s32 offset:196 ; 4-byte Folded Spill
	v_lshrrev_b32_e32 v11, 16, v11
	v_cndmask_b32_e64 v10, v13, v15, s5
	v_mul_f32_e32 v13, v72, v17
	v_or_b32_e32 v14, 0x400000, v1
	v_mul_f32_e32 v15, v72, v16
	buffer_store_dword v11, off, s[0:3], s32 offset:236 ; 4-byte Folded Spill
	v_bfe_u32 v11, v1, 16, 1
	v_bfe_u32 v16, v0, 16, 1
	v_cmp_u_f32_e64 s5, v1, v1
	v_bfe_u32 v17, v13, 16, 1
	v_or_b32_e32 v18, 0x400000, v13
	v_add3_u32 v11, v11, v1, 0x7fff
	v_or_b32_e32 v21, 0x400000, v15
	v_lshrrev_b32_e32 v10, 16, v10
	v_add3_u32 v17, v17, v13, 0x7fff
	v_cndmask_b32_e64 v1, v11, v14, s5
	v_add3_u32 v14, v16, v0, 0x7fff
	v_or_b32_e32 v16, 0x400000, v0
	v_cmp_u_f32_e64 s5, v0, v0
	v_bfe_u32 v11, v15, 16, 1
	v_lshrrev_b32_e32 v1, 16, v1
	buffer_store_dword v10, off, s[0:3], s32 offset:232 ; 4-byte Folded Spill
	v_cndmask_b32_e64 v0, v14, v16, s5
	v_cmp_u_f32_e64 s5, v13, v13
	v_add3_u32 v11, v11, v15, 0x7fff
	buffer_store_dword v1, off, s[0:3], s32 offset:244 ; 4-byte Folded Spill
	v_lshrrev_b32_e32 v0, 16, v0
	v_cndmask_b32_e64 v13, v17, v18, s5
	v_cmp_u_f32_e64 s5, v15, v15
	buffer_store_dword v0, off, s[0:3], s32 offset:240 ; 4-byte Folded Spill
	v_lshrrev_b32_e32 v0, 16, v13
	v_cndmask_b32_e64 v11, v11, v21, s5
	buffer_store_dword v0, off, s[0:3], s32 offset:192 ; 4-byte Folded Spill
	v_lshrrev_b32_e32 v0, 16, v11
	buffer_store_dword v0, off, s[0:3], s32 offset:204 ; 4-byte Folded Spill
	s_and_saveexec_b32 s21, vcc_lo
	s_cbranch_execz .LBB331_1132
; %bb.1131:                             ;   in Loop: Header=BB331_1065 Depth=1
	buffer_load_dword v0, off, s[0:3], s32 offset:240 ; 4-byte Folded Reload
	v_cmp_lt_i32_e64 s5, v75, v82
	s_waitcnt vmcnt(0)
	v_cndmask_b32_e64 v0, 0, v0, s5
	v_cmp_lt_i32_e64 s5, v90, v82
	buffer_store_dword v0, off, s[0:3], s32 offset:240 ; 4-byte Folded Spill
	buffer_load_dword v0, off, s[0:3], s32 offset:244 ; 4-byte Folded Reload
	s_waitcnt vmcnt(0)
	v_cndmask_b32_e64 v0, 0, v0, s5
	v_cmp_lt_i32_e64 s5, v89, v82
	buffer_store_dword v0, off, s[0:3], s32 offset:244 ; 4-byte Folded Spill
	buffer_load_dword v0, off, s[0:3], s32 offset:232 ; 4-byte Folded Reload
	;; [unrolled: 5-line block ×7, first 2 shown]
	s_waitcnt vmcnt(0)
	v_cndmask_b32_e64 v0, 0, v0, s5
	buffer_store_dword v0, off, s[0:3], s32 offset:204 ; 4-byte Folded Spill
.LBB331_1132:                           ;   in Loop: Header=BB331_1065 Depth=1
	s_or_b32 exec_lo, exec_lo, s21
	flat_load_dwordx2 v[26:27], v[24:25] offset:256
	v_mov_b32_e32 v1, 0
	v_mov_b32_e32 v0, 0
	s_waitcnt vmcnt(0) lgkmcnt(0)
	v_cmp_ne_u16_sdwa s5, v26, v12 src0_sel:BYTE_0 src1_sel:DWORD
	s_and_saveexec_b32 s21, s5
	s_cbranch_execz .LBB331_1140
; %bb.1133:                             ;   in Loop: Header=BB331_1065 Depth=1
	v_cmp_ne_u16_sdwa s5, v26, v67 src0_sel:BYTE_0 src1_sel:DWORD
	v_bfrev_b32_e32 v0, 1
	s_and_saveexec_b32 s22, s5
	s_cbranch_execz .LBB331_1139
; %bb.1134:                             ;   in Loop: Header=BB331_1065 Depth=1
	v_and_b32_e32 v10, 0x7f, v26
	v_mov_b32_e32 v0, 0x7f800001
	s_mov_b32 s23, exec_lo
	v_cmpx_ne_u32_e32 0x7f, v10
	s_cbranch_execz .LBB331_1138
; %bb.1135:                             ;   in Loop: Header=BB331_1065 Depth=1
	v_lshrrev_b32_e32 v0, 3, v10
	v_cmp_gt_u32_e64 s5, 8, v10
	v_mov_b32_e32 v10, v26
	v_mov_b32_e32 v11, v27
	s_and_saveexec_b32 s24, s5
; %bb.1136:                             ;   in Loop: Header=BB331_1065 Depth=1
	v_and_b32_e32 v0, 7, v26
	v_ffbh_u32_e32 v0, v0
	v_min_u32_e32 v0, 32, v0
	v_subrev_nc_u32_e32 v10, 28, v0
	v_sub_nc_u32_e32 v0, 29, v0
	v_lshlrev_b64 v[10:11], v10, v[26:27]
; %bb.1137:                             ;   in Loop: Header=BB331_1065 Depth=1
	s_or_b32 exec_lo, exec_lo, s24
	v_lshlrev_b32_e32 v10, 20, v10
	v_lshlrev_b32_e32 v11, 24, v26
	v_lshl_add_u32 v0, v0, 23, 0x3c000000
	v_and_b32_e32 v10, 0x700000, v10
	v_and_b32_e32 v11, 0x80000000, v11
	v_or3_b32 v0, v10, v11, v0
.LBB331_1138:                           ;   in Loop: Header=BB331_1065 Depth=1
	s_or_b32 exec_lo, exec_lo, s23
.LBB331_1139:                           ;   in Loop: Header=BB331_1065 Depth=1
	s_or_b32 exec_lo, exec_lo, s22
.LBB331_1140:                           ;   in Loop: Header=BB331_1065 Depth=1
	s_or_b32 exec_lo, exec_lo, s21
	v_cmp_ne_u16_sdwa s5, v26, v12 src0_sel:BYTE_1 src1_sel:DWORD
	s_and_saveexec_b32 s21, s5
	s_cbranch_execz .LBB331_1148
; %bb.1141:                             ;   in Loop: Header=BB331_1065 Depth=1
	v_cmp_ne_u16_sdwa s5, v26, v67 src0_sel:BYTE_1 src1_sel:DWORD
	v_bfrev_b32_e32 v1, 1
	s_and_saveexec_b32 s22, s5
	s_cbranch_execz .LBB331_1147
; %bb.1142:                             ;   in Loop: Header=BB331_1065 Depth=1
	v_mov_b32_e32 v1, 0xffff
	s_mov_b32 s23, exec_lo
	v_and_b32_sdwa v11, v1, v26 dst_sel:DWORD dst_unused:UNUSED_PAD src0_sel:DWORD src1_sel:BYTE_1
	v_mov_b32_e32 v1, 0x7f800001
	v_and_b32_e32 v10, 0x7f, v11
	v_cmpx_ne_u32_e32 0x7f, v10
	s_cbranch_execz .LBB331_1146
; %bb.1143:                             ;   in Loop: Header=BB331_1065 Depth=1
	v_and_b32_e32 v11, 7, v11
	v_mov_b32_e32 v29, v12
	v_lshrrev_b32_e32 v1, 3, v10
	s_mov_b32 s24, exec_lo
	v_mov_b32_e32 v28, v11
	v_cmpx_gt_u32_e32 8, v10
; %bb.1144:                             ;   in Loop: Header=BB331_1065 Depth=1
	v_ffbh_u32_e32 v1, v11
	v_min_u32_e32 v1, 32, v1
	v_subrev_nc_u32_e32 v10, 28, v1
	v_sub_nc_u32_e32 v1, 29, v1
	v_lshlrev_b64 v[10:11], v10, v[11:12]
	v_and_b32_e32 v28, 7, v10
; %bb.1145:                             ;   in Loop: Header=BB331_1065 Depth=1
	s_or_b32 exec_lo, exec_lo, s24
	v_lshlrev_b32_e32 v10, 16, v26
	v_lshlrev_b32_e32 v11, 20, v28
	v_lshl_add_u32 v1, v1, 23, 0x3c000000
	v_and_b32_e32 v10, 0x80000000, v10
	v_or3_b32 v1, v11, v10, v1
.LBB331_1146:                           ;   in Loop: Header=BB331_1065 Depth=1
	s_or_b32 exec_lo, exec_lo, s23
.LBB331_1147:                           ;   in Loop: Header=BB331_1065 Depth=1
	s_or_b32 exec_lo, exec_lo, s22
.LBB331_1148:                           ;   in Loop: Header=BB331_1065 Depth=1
	s_or_b32 exec_lo, exec_lo, s21
	v_and_b32_sdwa v11, v26, v69 dst_sel:DWORD dst_unused:UNUSED_PAD src0_sel:WORD_1 src1_sel:DWORD
	v_mov_b32_e32 v13, 0
	v_mov_b32_e32 v10, 0
	s_mov_b32 s21, exec_lo
	v_cmpx_ne_u16_e32 0, v11
	s_cbranch_execz .LBB331_1156
; %bb.1149:                             ;   in Loop: Header=BB331_1065 Depth=1
	v_bfrev_b32_e32 v10, 1
	s_mov_b32 s22, exec_lo
	v_cmpx_ne_u16_e32 0x80, v11
	s_cbranch_execz .LBB331_1155
; %bb.1150:                             ;   in Loop: Header=BB331_1065 Depth=1
	v_bfe_u32 v14, v26, 16, 7
	v_mov_b32_e32 v10, 0x7f800001
	s_mov_b32 s23, exec_lo
	v_cmpx_ne_u32_e32 0x7f, v14
	s_cbranch_execz .LBB331_1154
; %bb.1151:                             ;   in Loop: Header=BB331_1065 Depth=1
	v_mov_b32_e32 v10, 7
	s_mov_b32 s24, exec_lo
	v_and_b32_sdwa v11, v26, v10 dst_sel:DWORD dst_unused:UNUSED_PAD src0_sel:WORD_1 src1_sel:DWORD
	v_mov_b32_e32 v29, v12
	v_lshrrev_b32_e32 v10, 3, v14
	v_mov_b32_e32 v28, v11
	v_cmpx_gt_u32_e32 8, v14
; %bb.1152:                             ;   in Loop: Header=BB331_1065 Depth=1
	v_ffbh_u32_e32 v10, v11
	v_min_u32_e32 v10, 32, v10
	v_subrev_nc_u32_e32 v14, 28, v10
	v_sub_nc_u32_e32 v10, 29, v10
	v_lshlrev_b64 v[14:15], v14, v[11:12]
	v_and_b32_e32 v28, 7, v14
; %bb.1153:                             ;   in Loop: Header=BB331_1065 Depth=1
	s_or_b32 exec_lo, exec_lo, s24
	v_mov_b32_e32 v11, 24
	v_lshlrev_b32_e32 v14, 20, v28
	v_lshl_add_u32 v10, v10, 23, 0x3c000000
	v_lshlrev_b32_sdwa v11, v11, v26 dst_sel:DWORD dst_unused:UNUSED_PAD src0_sel:DWORD src1_sel:WORD_1
	v_and_b32_e32 v11, 0x80000000, v11
	v_or3_b32 v10, v14, v11, v10
.LBB331_1154:                           ;   in Loop: Header=BB331_1065 Depth=1
	s_or_b32 exec_lo, exec_lo, s23
.LBB331_1155:                           ;   in Loop: Header=BB331_1065 Depth=1
	s_or_b32 exec_lo, exec_lo, s22
.LBB331_1156:                           ;   in Loop: Header=BB331_1065 Depth=1
	s_or_b32 exec_lo, exec_lo, s21
	s_mov_b32 s21, exec_lo
	v_cmpx_lt_u32_e32 0xffffff, v26
	s_cbranch_execz .LBB331_1164
; %bb.1157:                             ;   in Loop: Header=BB331_1065 Depth=1
	v_cmp_ne_u32_sdwa s5, v26, v67 src0_sel:BYTE_3 src1_sel:DWORD
	v_bfrev_b32_e32 v13, 1
	s_and_saveexec_b32 s22, s5
	s_cbranch_execz .LBB331_1163
; %bb.1158:                             ;   in Loop: Header=BB331_1065 Depth=1
	v_bfe_u32 v14, v26, 24, 7
	v_mov_b32_e32 v13, 0x7f800001
	s_mov_b32 s23, exec_lo
	v_cmpx_ne_u32_e32 0x7f, v14
	s_cbranch_execz .LBB331_1162
; %bb.1159:                             ;   in Loop: Header=BB331_1065 Depth=1
	v_mov_b32_e32 v11, 7
	v_lshrrev_b32_e32 v13, 3, v14
	s_mov_b32 s24, exec_lo
	v_and_b32_sdwa v11, v26, v11 dst_sel:DWORD dst_unused:UNUSED_PAD src0_sel:BYTE_3 src1_sel:DWORD
	v_mov_b32_e32 v29, v12
	v_mov_b32_e32 v28, v11
	v_cmpx_gt_u32_e32 8, v14
; %bb.1160:                             ;   in Loop: Header=BB331_1065 Depth=1
	v_ffbh_u32_e32 v13, v11
	v_min_u32_e32 v13, 32, v13
	v_subrev_nc_u32_e32 v14, 28, v13
	v_sub_nc_u32_e32 v13, 29, v13
	v_lshlrev_b64 v[14:15], v14, v[11:12]
	v_and_b32_e32 v28, 7, v14
; %bb.1161:                             ;   in Loop: Header=BB331_1065 Depth=1
	s_or_b32 exec_lo, exec_lo, s24
	v_mov_b32_e32 v11, 24
	v_lshlrev_b32_e32 v14, 20, v28
	v_lshl_add_u32 v13, v13, 23, 0x3c000000
	v_lshlrev_b32_sdwa v11, v11, v26 dst_sel:DWORD dst_unused:UNUSED_PAD src0_sel:DWORD src1_sel:BYTE_3
	v_and_b32_e32 v11, 0x80000000, v11
	v_or3_b32 v13, v14, v11, v13
.LBB331_1162:                           ;   in Loop: Header=BB331_1065 Depth=1
	s_or_b32 exec_lo, exec_lo, s23
.LBB331_1163:                           ;   in Loop: Header=BB331_1065 Depth=1
	s_or_b32 exec_lo, exec_lo, s22
.LBB331_1164:                           ;   in Loop: Header=BB331_1065 Depth=1
	s_or_b32 exec_lo, exec_lo, s21
	v_mov_b32_e32 v11, v27
	v_cmp_ne_u16_sdwa s5, v27, v12 src0_sel:BYTE_0 src1_sel:DWORD
	v_mov_b32_e32 v15, 0
	v_mov_b32_e32 v14, 0
	s_and_saveexec_b32 s21, s5
	s_cbranch_execz .LBB331_1172
; %bb.1165:                             ;   in Loop: Header=BB331_1065 Depth=1
	v_cmp_ne_u16_sdwa s5, v27, v67 src0_sel:BYTE_0 src1_sel:DWORD
	v_bfrev_b32_e32 v14, 1
	s_and_saveexec_b32 s22, s5
	s_cbranch_execz .LBB331_1171
; %bb.1166:                             ;   in Loop: Header=BB331_1065 Depth=1
	v_and_b32_e32 v16, 0x7f, v27
	v_mov_b32_e32 v14, 0x7f800001
	s_mov_b32 s23, exec_lo
	v_cmpx_ne_u32_e32 0x7f, v16
	s_cbranch_execz .LBB331_1170
; %bb.1167:                             ;   in Loop: Header=BB331_1065 Depth=1
	v_mov_b32_e32 v29, v12
	v_lshrrev_b32_e32 v14, 3, v16
	v_mov_b32_e32 v28, v11
	s_mov_b32 s24, exec_lo
	v_cmpx_gt_u32_e32 8, v16
; %bb.1168:                             ;   in Loop: Header=BB331_1065 Depth=1
	v_and_b32_e32 v14, 7, v27
	v_ffbh_u32_e32 v14, v14
	v_min_u32_e32 v14, 32, v14
	v_subrev_nc_u32_e32 v16, 28, v14
	v_sub_nc_u32_e32 v14, 29, v14
	v_lshlrev_b64 v[28:29], v16, v[11:12]
; %bb.1169:                             ;   in Loop: Header=BB331_1065 Depth=1
	s_or_b32 exec_lo, exec_lo, s24
	v_lshlrev_b32_e32 v16, 20, v28
	v_lshlrev_b32_e32 v17, 24, v11
	v_lshl_add_u32 v14, v14, 23, 0x3c000000
	v_and_b32_e32 v16, 0x700000, v16
	v_and_b32_e32 v17, 0x80000000, v17
	v_or3_b32 v14, v16, v17, v14
.LBB331_1170:                           ;   in Loop: Header=BB331_1065 Depth=1
	s_or_b32 exec_lo, exec_lo, s23
.LBB331_1171:                           ;   in Loop: Header=BB331_1065 Depth=1
	s_or_b32 exec_lo, exec_lo, s22
.LBB331_1172:                           ;   in Loop: Header=BB331_1065 Depth=1
	s_or_b32 exec_lo, exec_lo, s21
	v_cmp_ne_u16_sdwa s5, v11, v12 src0_sel:BYTE_1 src1_sel:DWORD
	s_and_saveexec_b32 s21, s5
	s_cbranch_execz .LBB331_1180
; %bb.1173:                             ;   in Loop: Header=BB331_1065 Depth=1
	v_cmp_ne_u16_sdwa s5, v11, v67 src0_sel:BYTE_1 src1_sel:DWORD
	v_bfrev_b32_e32 v15, 1
	s_and_saveexec_b32 s22, s5
	s_cbranch_execz .LBB331_1179
; %bb.1174:                             ;   in Loop: Header=BB331_1065 Depth=1
	v_mov_b32_e32 v15, 0xffff
	s_mov_b32 s23, exec_lo
	v_and_b32_sdwa v17, v15, v11 dst_sel:DWORD dst_unused:UNUSED_PAD src0_sel:DWORD src1_sel:BYTE_1
	v_mov_b32_e32 v15, 0x7f800001
	v_and_b32_e32 v16, 0x7f, v17
	v_cmpx_ne_u32_e32 0x7f, v16
	s_cbranch_execz .LBB331_1178
; %bb.1175:                             ;   in Loop: Header=BB331_1065 Depth=1
	v_and_b32_e32 v28, 7, v17
	v_mov_b32_e32 v29, v12
	v_lshrrev_b32_e32 v15, 3, v16
	s_mov_b32 s24, exec_lo
	v_cmpx_gt_u32_e32 8, v16
; %bb.1176:                             ;   in Loop: Header=BB331_1065 Depth=1
	v_ffbh_u32_e32 v15, v28
	v_min_u32_e32 v15, 32, v15
	v_subrev_nc_u32_e32 v16, 28, v15
	v_sub_nc_u32_e32 v15, 29, v15
	v_lshlrev_b64 v[16:17], v16, v[28:29]
	v_and_b32_e32 v28, 7, v16
; %bb.1177:                             ;   in Loop: Header=BB331_1065 Depth=1
	s_or_b32 exec_lo, exec_lo, s24
	v_lshlrev_b32_e32 v11, 16, v11
	v_lshlrev_b32_e32 v16, 20, v28
	v_lshl_add_u32 v15, v15, 23, 0x3c000000
	v_and_b32_e32 v11, 0x80000000, v11
	v_or3_b32 v15, v16, v11, v15
.LBB331_1178:                           ;   in Loop: Header=BB331_1065 Depth=1
	s_or_b32 exec_lo, exec_lo, s23
.LBB331_1179:                           ;   in Loop: Header=BB331_1065 Depth=1
	s_or_b32 exec_lo, exec_lo, s22
.LBB331_1180:                           ;   in Loop: Header=BB331_1065 Depth=1
	s_or_b32 exec_lo, exec_lo, s21
	v_and_b32_sdwa v11, v27, v69 dst_sel:DWORD dst_unused:UNUSED_PAD src0_sel:WORD_1 src1_sel:DWORD
	v_mov_b32_e32 v16, 0
	v_mov_b32_e32 v17, 0
	s_mov_b32 s21, exec_lo
	v_cmpx_ne_u16_e32 0, v11
	s_cbranch_execz .LBB331_1188
; %bb.1181:                             ;   in Loop: Header=BB331_1065 Depth=1
	v_bfrev_b32_e32 v17, 1
	s_mov_b32 s22, exec_lo
	v_cmpx_ne_u16_e32 0x80, v11
	s_cbranch_execz .LBB331_1187
; %bb.1182:                             ;   in Loop: Header=BB331_1065 Depth=1
	v_bfe_u32 v18, v27, 16, 7
	v_mov_b32_e32 v17, 0x7f800001
	s_mov_b32 s23, exec_lo
	v_cmpx_ne_u32_e32 0x7f, v18
	s_cbranch_execz .LBB331_1186
; %bb.1183:                             ;   in Loop: Header=BB331_1065 Depth=1
	v_mov_b32_e32 v11, 7
	v_lshrrev_b32_e32 v17, 3, v18
	s_mov_b32 s24, exec_lo
	v_and_b32_sdwa v11, v27, v11 dst_sel:DWORD dst_unused:UNUSED_PAD src0_sel:WORD_1 src1_sel:DWORD
	v_mov_b32_e32 v29, v12
	v_mov_b32_e32 v28, v11
	v_cmpx_gt_u32_e32 8, v18
; %bb.1184:                             ;   in Loop: Header=BB331_1065 Depth=1
	v_ffbh_u32_e32 v17, v11
	v_min_u32_e32 v17, 32, v17
	v_subrev_nc_u32_e32 v18, 28, v17
	v_sub_nc_u32_e32 v17, 29, v17
	v_lshlrev_b64 v[21:22], v18, v[11:12]
	v_and_b32_e32 v28, 7, v21
; %bb.1185:                             ;   in Loop: Header=BB331_1065 Depth=1
	s_or_b32 exec_lo, exec_lo, s24
	v_mov_b32_e32 v11, 24
	v_lshlrev_b32_e32 v18, 20, v28
	v_lshl_add_u32 v17, v17, 23, 0x3c000000
	v_lshlrev_b32_sdwa v11, v11, v27 dst_sel:DWORD dst_unused:UNUSED_PAD src0_sel:DWORD src1_sel:WORD_1
	v_and_b32_e32 v11, 0x80000000, v11
	v_or3_b32 v17, v18, v11, v17
.LBB331_1186:                           ;   in Loop: Header=BB331_1065 Depth=1
	s_or_b32 exec_lo, exec_lo, s23
.LBB331_1187:                           ;   in Loop: Header=BB331_1065 Depth=1
	s_or_b32 exec_lo, exec_lo, s22
.LBB331_1188:                           ;   in Loop: Header=BB331_1065 Depth=1
	s_or_b32 exec_lo, exec_lo, s21
	s_mov_b32 s21, exec_lo
	v_cmpx_lt_u64_e64 s[6:7], v[26:27]
	s_cbranch_execz .LBB331_1196
; %bb.1189:                             ;   in Loop: Header=BB331_1065 Depth=1
	v_cmp_ne_u32_sdwa s5, v27, v67 src0_sel:BYTE_3 src1_sel:DWORD
	v_bfrev_b32_e32 v16, 1
	s_and_saveexec_b32 s22, s5
	s_cbranch_execz .LBB331_1195
; %bb.1190:                             ;   in Loop: Header=BB331_1065 Depth=1
	v_bfe_u32 v18, v27, 24, 7
	v_mov_b32_e32 v16, 0x7f800001
	s_mov_b32 s23, exec_lo
	v_cmpx_ne_u32_e32 0x7f, v18
	s_cbranch_execz .LBB331_1194
; %bb.1191:                             ;   in Loop: Header=BB331_1065 Depth=1
	v_mov_b32_e32 v11, 7
	v_lshrrev_b32_e32 v16, 3, v18
	s_mov_b32 s24, exec_lo
	v_and_b32_sdwa v11, v27, v11 dst_sel:DWORD dst_unused:UNUSED_PAD src0_sel:BYTE_3 src1_sel:DWORD
	v_mov_b32_e32 v29, v12
	v_mov_b32_e32 v28, v11
	v_cmpx_gt_u32_e32 8, v18
; %bb.1192:                             ;   in Loop: Header=BB331_1065 Depth=1
	v_ffbh_u32_e32 v16, v11
	v_min_u32_e32 v16, 32, v16
	v_subrev_nc_u32_e32 v18, 28, v16
	v_sub_nc_u32_e32 v16, 29, v16
	v_lshlrev_b64 v[21:22], v18, v[11:12]
	v_and_b32_e32 v28, 7, v21
; %bb.1193:                             ;   in Loop: Header=BB331_1065 Depth=1
	s_or_b32 exec_lo, exec_lo, s24
	v_mov_b32_e32 v11, 24
	v_lshlrev_b32_e32 v18, 20, v28
	v_lshl_add_u32 v16, v16, 23, 0x3c000000
	v_lshlrev_b32_sdwa v11, v11, v27 dst_sel:DWORD dst_unused:UNUSED_PAD src0_sel:DWORD src1_sel:BYTE_3
	v_and_b32_e32 v11, 0x80000000, v11
	v_or3_b32 v16, v18, v11, v16
.LBB331_1194:                           ;   in Loop: Header=BB331_1065 Depth=1
	s_or_b32 exec_lo, exec_lo, s23
.LBB331_1195:                           ;   in Loop: Header=BB331_1065 Depth=1
	s_or_b32 exec_lo, exec_lo, s22
.LBB331_1196:                           ;   in Loop: Header=BB331_1065 Depth=1
	s_or_b32 exec_lo, exec_lo, s21
	v_mul_f32_e32 v11, v72, v15
	v_mul_f32_e32 v14, v72, v14
	;; [unrolled: 1-line block ×5, first 2 shown]
	v_bfe_u32 v15, v11, 16, 1
	v_or_b32_e32 v18, 0x400000, v11
	v_bfe_u32 v21, v14, 16, 1
	v_cmp_u_f32_e64 s5, v11, v11
	v_or_b32_e32 v22, 0x400000, v14
	v_add3_u32 v15, v15, v11, 0x7fff
	v_bfe_u32 v23, v13, 16, 1
	v_add3_u32 v21, v21, v14, 0x7fff
	v_or_b32_e32 v26, 0x400000, v13
	v_bfe_u32 v27, v10, 16, 1
	v_cndmask_b32_e64 v11, v15, v18, s5
	v_cmp_u_f32_e64 s5, v14, v14
	v_add3_u32 v23, v23, v13, 0x7fff
	v_or_b32_e32 v15, 0x400000, v10
	v_mul_f32_e32 v0, v72, v0
	v_lshrrev_b32_e32 v11, 16, v11
	v_cndmask_b32_e64 v14, v21, v22, s5
	v_cmp_u_f32_e64 s5, v13, v13
	buffer_store_dword v11, off, s[0:3], s32 offset:260 ; 4-byte Folded Spill
	v_add3_u32 v11, v27, v10, 0x7fff
	v_cndmask_b32_e64 v13, v23, v26, s5
	v_lshrrev_b32_e32 v14, 16, v14
	v_cmp_u_f32_e64 s5, v10, v10
	v_lshrrev_b32_e32 v13, 16, v13
	buffer_store_dword v14, off, s[0:3], s32 offset:252 ; 4-byte Folded Spill
	v_cndmask_b32_e64 v10, v11, v15, s5
	v_mul_f32_e32 v11, v72, v17
	v_or_b32_e32 v14, 0x400000, v1
	buffer_store_dword v13, off, s[0:3], s32 offset:268 ; 4-byte Folded Spill
	v_bfe_u32 v13, v1, 16, 1
	v_mul_f32_e32 v15, v72, v16
	v_bfe_u32 v16, v0, 16, 1
	v_cmp_u_f32_e64 s5, v1, v1
	v_bfe_u32 v17, v11, 16, 1
	v_add3_u32 v13, v13, v1, 0x7fff
	v_or_b32_e32 v18, 0x400000, v11
	v_or_b32_e32 v21, 0x400000, v15
	v_lshrrev_b32_e32 v10, 16, v10
	v_add3_u32 v17, v17, v11, 0x7fff
	v_cndmask_b32_e64 v1, v13, v14, s5
	v_add3_u32 v14, v16, v0, 0x7fff
	v_or_b32_e32 v16, 0x400000, v0
	v_cmp_u_f32_e64 s5, v0, v0
	v_bfe_u32 v13, v15, 16, 1
	v_lshrrev_b32_e32 v1, 16, v1
	buffer_store_dword v10, off, s[0:3], s32 offset:264 ; 4-byte Folded Spill
	v_cndmask_b32_e64 v0, v14, v16, s5
	v_cmp_u_f32_e64 s5, v11, v11
	v_add3_u32 v13, v13, v15, 0x7fff
	buffer_store_dword v1, off, s[0:3], s32 offset:276 ; 4-byte Folded Spill
	v_lshrrev_b32_e32 v0, 16, v0
	v_cndmask_b32_e64 v11, v17, v18, s5
	v_cmp_u_f32_e64 s5, v15, v15
	buffer_store_dword v0, off, s[0:3], s32 offset:272 ; 4-byte Folded Spill
	v_lshrrev_b32_e32 v0, 16, v11
	v_cndmask_b32_e64 v13, v13, v21, s5
	buffer_store_dword v0, off, s[0:3], s32 offset:248 ; 4-byte Folded Spill
	v_lshrrev_b32_e32 v0, 16, v13
	buffer_store_dword v0, off, s[0:3], s32 offset:256 ; 4-byte Folded Spill
	s_and_saveexec_b32 s21, vcc_lo
	s_cbranch_execz .LBB331_1198
; %bb.1197:                             ;   in Loop: Header=BB331_1065 Depth=1
	buffer_load_dword v0, off, s[0:3], s32 offset:272 ; 4-byte Folded Reload
	v_cmp_lt_i32_e64 s5, v75, v82
	s_waitcnt vmcnt(0)
	v_cndmask_b32_e64 v0, 0, v0, s5
	v_cmp_lt_i32_e64 s5, v90, v82
	buffer_store_dword v0, off, s[0:3], s32 offset:272 ; 4-byte Folded Spill
	buffer_load_dword v0, off, s[0:3], s32 offset:276 ; 4-byte Folded Reload
	s_waitcnt vmcnt(0)
	v_cndmask_b32_e64 v0, 0, v0, s5
	v_cmp_lt_i32_e64 s5, v89, v82
	buffer_store_dword v0, off, s[0:3], s32 offset:276 ; 4-byte Folded Spill
	buffer_load_dword v0, off, s[0:3], s32 offset:264 ; 4-byte Folded Reload
	;; [unrolled: 5-line block ×7, first 2 shown]
	s_waitcnt vmcnt(0)
	v_cndmask_b32_e64 v0, 0, v0, s5
	buffer_store_dword v0, off, s[0:3], s32 offset:256 ; 4-byte Folded Spill
.LBB331_1198:                           ;   in Loop: Header=BB331_1065 Depth=1
	s_or_b32 exec_lo, exec_lo, s21
	flat_load_dwordx2 v[26:27], v[24:25] offset:512
	v_mov_b32_e32 v1, 0
	v_mov_b32_e32 v0, 0
	s_waitcnt vmcnt(0) lgkmcnt(0)
	v_cmp_ne_u16_sdwa s5, v26, v12 src0_sel:BYTE_0 src1_sel:DWORD
	s_and_saveexec_b32 s21, s5
	s_cbranch_execz .LBB331_1206
; %bb.1199:                             ;   in Loop: Header=BB331_1065 Depth=1
	v_cmp_ne_u16_sdwa s5, v26, v67 src0_sel:BYTE_0 src1_sel:DWORD
	v_bfrev_b32_e32 v0, 1
	s_and_saveexec_b32 s22, s5
	s_cbranch_execz .LBB331_1205
; %bb.1200:                             ;   in Loop: Header=BB331_1065 Depth=1
	v_and_b32_e32 v10, 0x7f, v26
	v_mov_b32_e32 v0, 0x7f800001
	s_mov_b32 s23, exec_lo
	v_cmpx_ne_u32_e32 0x7f, v10
	s_cbranch_execz .LBB331_1204
; %bb.1201:                             ;   in Loop: Header=BB331_1065 Depth=1
	v_lshrrev_b32_e32 v0, 3, v10
	v_cmp_gt_u32_e64 s5, 8, v10
	v_mov_b32_e32 v10, v26
	v_mov_b32_e32 v11, v27
	s_and_saveexec_b32 s24, s5
; %bb.1202:                             ;   in Loop: Header=BB331_1065 Depth=1
	v_and_b32_e32 v0, 7, v26
	v_ffbh_u32_e32 v0, v0
	v_min_u32_e32 v0, 32, v0
	v_subrev_nc_u32_e32 v10, 28, v0
	v_sub_nc_u32_e32 v0, 29, v0
	v_lshlrev_b64 v[10:11], v10, v[26:27]
; %bb.1203:                             ;   in Loop: Header=BB331_1065 Depth=1
	s_or_b32 exec_lo, exec_lo, s24
	v_lshlrev_b32_e32 v10, 20, v10
	v_lshlrev_b32_e32 v11, 24, v26
	v_lshl_add_u32 v0, v0, 23, 0x3c000000
	v_and_b32_e32 v10, 0x700000, v10
	v_and_b32_e32 v11, 0x80000000, v11
	v_or3_b32 v0, v10, v11, v0
.LBB331_1204:                           ;   in Loop: Header=BB331_1065 Depth=1
	s_or_b32 exec_lo, exec_lo, s23
.LBB331_1205:                           ;   in Loop: Header=BB331_1065 Depth=1
	s_or_b32 exec_lo, exec_lo, s22
.LBB331_1206:                           ;   in Loop: Header=BB331_1065 Depth=1
	s_or_b32 exec_lo, exec_lo, s21
	v_cmp_ne_u16_sdwa s5, v26, v12 src0_sel:BYTE_1 src1_sel:DWORD
	s_and_saveexec_b32 s21, s5
	s_cbranch_execz .LBB331_1214
; %bb.1207:                             ;   in Loop: Header=BB331_1065 Depth=1
	v_cmp_ne_u16_sdwa s5, v26, v67 src0_sel:BYTE_1 src1_sel:DWORD
	v_bfrev_b32_e32 v1, 1
	s_and_saveexec_b32 s22, s5
	s_cbranch_execz .LBB331_1213
; %bb.1208:                             ;   in Loop: Header=BB331_1065 Depth=1
	v_mov_b32_e32 v1, 0xffff
	s_mov_b32 s23, exec_lo
	v_and_b32_sdwa v11, v1, v26 dst_sel:DWORD dst_unused:UNUSED_PAD src0_sel:DWORD src1_sel:BYTE_1
	v_mov_b32_e32 v1, 0x7f800001
	v_and_b32_e32 v10, 0x7f, v11
	v_cmpx_ne_u32_e32 0x7f, v10
	s_cbranch_execz .LBB331_1212
; %bb.1209:                             ;   in Loop: Header=BB331_1065 Depth=1
	v_and_b32_e32 v11, 7, v11
	v_mov_b32_e32 v29, v12
	v_lshrrev_b32_e32 v1, 3, v10
	s_mov_b32 s24, exec_lo
	v_mov_b32_e32 v28, v11
	v_cmpx_gt_u32_e32 8, v10
; %bb.1210:                             ;   in Loop: Header=BB331_1065 Depth=1
	v_ffbh_u32_e32 v1, v11
	v_min_u32_e32 v1, 32, v1
	v_subrev_nc_u32_e32 v10, 28, v1
	v_sub_nc_u32_e32 v1, 29, v1
	v_lshlrev_b64 v[10:11], v10, v[11:12]
	v_and_b32_e32 v28, 7, v10
; %bb.1211:                             ;   in Loop: Header=BB331_1065 Depth=1
	s_or_b32 exec_lo, exec_lo, s24
	v_lshlrev_b32_e32 v10, 16, v26
	v_lshlrev_b32_e32 v11, 20, v28
	v_lshl_add_u32 v1, v1, 23, 0x3c000000
	v_and_b32_e32 v10, 0x80000000, v10
	v_or3_b32 v1, v11, v10, v1
.LBB331_1212:                           ;   in Loop: Header=BB331_1065 Depth=1
	s_or_b32 exec_lo, exec_lo, s23
.LBB331_1213:                           ;   in Loop: Header=BB331_1065 Depth=1
	s_or_b32 exec_lo, exec_lo, s22
.LBB331_1214:                           ;   in Loop: Header=BB331_1065 Depth=1
	s_or_b32 exec_lo, exec_lo, s21
	v_and_b32_sdwa v11, v26, v69 dst_sel:DWORD dst_unused:UNUSED_PAD src0_sel:WORD_1 src1_sel:DWORD
	v_mov_b32_e32 v13, 0
	v_mov_b32_e32 v10, 0
	s_mov_b32 s21, exec_lo
	v_cmpx_ne_u16_e32 0, v11
	s_cbranch_execz .LBB331_1222
; %bb.1215:                             ;   in Loop: Header=BB331_1065 Depth=1
	v_bfrev_b32_e32 v10, 1
	s_mov_b32 s22, exec_lo
	v_cmpx_ne_u16_e32 0x80, v11
	s_cbranch_execz .LBB331_1221
; %bb.1216:                             ;   in Loop: Header=BB331_1065 Depth=1
	v_bfe_u32 v14, v26, 16, 7
	v_mov_b32_e32 v10, 0x7f800001
	s_mov_b32 s23, exec_lo
	v_cmpx_ne_u32_e32 0x7f, v14
	s_cbranch_execz .LBB331_1220
; %bb.1217:                             ;   in Loop: Header=BB331_1065 Depth=1
	v_mov_b32_e32 v10, 7
	s_mov_b32 s24, exec_lo
	v_and_b32_sdwa v11, v26, v10 dst_sel:DWORD dst_unused:UNUSED_PAD src0_sel:WORD_1 src1_sel:DWORD
	v_mov_b32_e32 v29, v12
	v_lshrrev_b32_e32 v10, 3, v14
	v_mov_b32_e32 v28, v11
	v_cmpx_gt_u32_e32 8, v14
; %bb.1218:                             ;   in Loop: Header=BB331_1065 Depth=1
	v_ffbh_u32_e32 v10, v11
	v_min_u32_e32 v10, 32, v10
	v_subrev_nc_u32_e32 v14, 28, v10
	v_sub_nc_u32_e32 v10, 29, v10
	v_lshlrev_b64 v[14:15], v14, v[11:12]
	v_and_b32_e32 v28, 7, v14
; %bb.1219:                             ;   in Loop: Header=BB331_1065 Depth=1
	s_or_b32 exec_lo, exec_lo, s24
	v_mov_b32_e32 v11, 24
	v_lshlrev_b32_e32 v14, 20, v28
	v_lshl_add_u32 v10, v10, 23, 0x3c000000
	v_lshlrev_b32_sdwa v11, v11, v26 dst_sel:DWORD dst_unused:UNUSED_PAD src0_sel:DWORD src1_sel:WORD_1
	v_and_b32_e32 v11, 0x80000000, v11
	v_or3_b32 v10, v14, v11, v10
.LBB331_1220:                           ;   in Loop: Header=BB331_1065 Depth=1
	s_or_b32 exec_lo, exec_lo, s23
.LBB331_1221:                           ;   in Loop: Header=BB331_1065 Depth=1
	s_or_b32 exec_lo, exec_lo, s22
.LBB331_1222:                           ;   in Loop: Header=BB331_1065 Depth=1
	s_or_b32 exec_lo, exec_lo, s21
	s_mov_b32 s21, exec_lo
	v_cmpx_lt_u32_e32 0xffffff, v26
	s_cbranch_execz .LBB331_1230
; %bb.1223:                             ;   in Loop: Header=BB331_1065 Depth=1
	v_cmp_ne_u32_sdwa s5, v26, v67 src0_sel:BYTE_3 src1_sel:DWORD
	v_bfrev_b32_e32 v13, 1
	s_and_saveexec_b32 s22, s5
	s_cbranch_execz .LBB331_1229
; %bb.1224:                             ;   in Loop: Header=BB331_1065 Depth=1
	v_bfe_u32 v14, v26, 24, 7
	v_mov_b32_e32 v13, 0x7f800001
	s_mov_b32 s23, exec_lo
	v_cmpx_ne_u32_e32 0x7f, v14
	s_cbranch_execz .LBB331_1228
; %bb.1225:                             ;   in Loop: Header=BB331_1065 Depth=1
	v_mov_b32_e32 v11, 7
	v_lshrrev_b32_e32 v13, 3, v14
	s_mov_b32 s24, exec_lo
	v_and_b32_sdwa v11, v26, v11 dst_sel:DWORD dst_unused:UNUSED_PAD src0_sel:BYTE_3 src1_sel:DWORD
	v_mov_b32_e32 v29, v12
	v_mov_b32_e32 v28, v11
	v_cmpx_gt_u32_e32 8, v14
; %bb.1226:                             ;   in Loop: Header=BB331_1065 Depth=1
	v_ffbh_u32_e32 v13, v11
	v_min_u32_e32 v13, 32, v13
	v_subrev_nc_u32_e32 v14, 28, v13
	v_sub_nc_u32_e32 v13, 29, v13
	v_lshlrev_b64 v[14:15], v14, v[11:12]
	v_and_b32_e32 v28, 7, v14
; %bb.1227:                             ;   in Loop: Header=BB331_1065 Depth=1
	s_or_b32 exec_lo, exec_lo, s24
	v_mov_b32_e32 v11, 24
	v_lshlrev_b32_e32 v14, 20, v28
	v_lshl_add_u32 v13, v13, 23, 0x3c000000
	v_lshlrev_b32_sdwa v11, v11, v26 dst_sel:DWORD dst_unused:UNUSED_PAD src0_sel:DWORD src1_sel:BYTE_3
	v_and_b32_e32 v11, 0x80000000, v11
	v_or3_b32 v13, v14, v11, v13
.LBB331_1228:                           ;   in Loop: Header=BB331_1065 Depth=1
	s_or_b32 exec_lo, exec_lo, s23
.LBB331_1229:                           ;   in Loop: Header=BB331_1065 Depth=1
	s_or_b32 exec_lo, exec_lo, s22
.LBB331_1230:                           ;   in Loop: Header=BB331_1065 Depth=1
	s_or_b32 exec_lo, exec_lo, s21
	v_mov_b32_e32 v11, v27
	v_cmp_ne_u16_sdwa s5, v27, v12 src0_sel:BYTE_0 src1_sel:DWORD
	v_mov_b32_e32 v15, 0
	v_mov_b32_e32 v14, 0
	s_and_saveexec_b32 s21, s5
	s_cbranch_execz .LBB331_1238
; %bb.1231:                             ;   in Loop: Header=BB331_1065 Depth=1
	v_cmp_ne_u16_sdwa s5, v27, v67 src0_sel:BYTE_0 src1_sel:DWORD
	v_bfrev_b32_e32 v14, 1
	s_and_saveexec_b32 s22, s5
	s_cbranch_execz .LBB331_1237
; %bb.1232:                             ;   in Loop: Header=BB331_1065 Depth=1
	v_and_b32_e32 v16, 0x7f, v27
	v_mov_b32_e32 v14, 0x7f800001
	s_mov_b32 s23, exec_lo
	v_cmpx_ne_u32_e32 0x7f, v16
	s_cbranch_execz .LBB331_1236
; %bb.1233:                             ;   in Loop: Header=BB331_1065 Depth=1
	v_mov_b32_e32 v29, v12
	v_lshrrev_b32_e32 v14, 3, v16
	v_mov_b32_e32 v28, v11
	s_mov_b32 s24, exec_lo
	v_cmpx_gt_u32_e32 8, v16
; %bb.1234:                             ;   in Loop: Header=BB331_1065 Depth=1
	v_and_b32_e32 v14, 7, v27
	v_ffbh_u32_e32 v14, v14
	v_min_u32_e32 v14, 32, v14
	v_subrev_nc_u32_e32 v16, 28, v14
	v_sub_nc_u32_e32 v14, 29, v14
	v_lshlrev_b64 v[28:29], v16, v[11:12]
; %bb.1235:                             ;   in Loop: Header=BB331_1065 Depth=1
	s_or_b32 exec_lo, exec_lo, s24
	v_lshlrev_b32_e32 v16, 20, v28
	v_lshlrev_b32_e32 v17, 24, v11
	v_lshl_add_u32 v14, v14, 23, 0x3c000000
	v_and_b32_e32 v16, 0x700000, v16
	v_and_b32_e32 v17, 0x80000000, v17
	v_or3_b32 v14, v16, v17, v14
.LBB331_1236:                           ;   in Loop: Header=BB331_1065 Depth=1
	s_or_b32 exec_lo, exec_lo, s23
.LBB331_1237:                           ;   in Loop: Header=BB331_1065 Depth=1
	s_or_b32 exec_lo, exec_lo, s22
.LBB331_1238:                           ;   in Loop: Header=BB331_1065 Depth=1
	s_or_b32 exec_lo, exec_lo, s21
	v_cmp_ne_u16_sdwa s5, v11, v12 src0_sel:BYTE_1 src1_sel:DWORD
	s_and_saveexec_b32 s21, s5
	s_cbranch_execz .LBB331_1246
; %bb.1239:                             ;   in Loop: Header=BB331_1065 Depth=1
	v_cmp_ne_u16_sdwa s5, v11, v67 src0_sel:BYTE_1 src1_sel:DWORD
	v_bfrev_b32_e32 v15, 1
	s_and_saveexec_b32 s22, s5
	s_cbranch_execz .LBB331_1245
; %bb.1240:                             ;   in Loop: Header=BB331_1065 Depth=1
	v_mov_b32_e32 v15, 0xffff
	s_mov_b32 s23, exec_lo
	v_and_b32_sdwa v17, v15, v11 dst_sel:DWORD dst_unused:UNUSED_PAD src0_sel:DWORD src1_sel:BYTE_1
	v_mov_b32_e32 v15, 0x7f800001
	v_and_b32_e32 v16, 0x7f, v17
	v_cmpx_ne_u32_e32 0x7f, v16
	s_cbranch_execz .LBB331_1244
; %bb.1241:                             ;   in Loop: Header=BB331_1065 Depth=1
	v_and_b32_e32 v28, 7, v17
	v_mov_b32_e32 v29, v12
	v_lshrrev_b32_e32 v15, 3, v16
	s_mov_b32 s24, exec_lo
	v_cmpx_gt_u32_e32 8, v16
; %bb.1242:                             ;   in Loop: Header=BB331_1065 Depth=1
	v_ffbh_u32_e32 v15, v28
	v_min_u32_e32 v15, 32, v15
	v_subrev_nc_u32_e32 v16, 28, v15
	v_sub_nc_u32_e32 v15, 29, v15
	v_lshlrev_b64 v[16:17], v16, v[28:29]
	v_and_b32_e32 v28, 7, v16
; %bb.1243:                             ;   in Loop: Header=BB331_1065 Depth=1
	s_or_b32 exec_lo, exec_lo, s24
	v_lshlrev_b32_e32 v11, 16, v11
	v_lshlrev_b32_e32 v16, 20, v28
	v_lshl_add_u32 v15, v15, 23, 0x3c000000
	v_and_b32_e32 v11, 0x80000000, v11
	v_or3_b32 v15, v16, v11, v15
.LBB331_1244:                           ;   in Loop: Header=BB331_1065 Depth=1
	s_or_b32 exec_lo, exec_lo, s23
.LBB331_1245:                           ;   in Loop: Header=BB331_1065 Depth=1
	s_or_b32 exec_lo, exec_lo, s22
.LBB331_1246:                           ;   in Loop: Header=BB331_1065 Depth=1
	s_or_b32 exec_lo, exec_lo, s21
	v_and_b32_sdwa v11, v27, v69 dst_sel:DWORD dst_unused:UNUSED_PAD src0_sel:WORD_1 src1_sel:DWORD
	v_mov_b32_e32 v16, 0
	v_mov_b32_e32 v17, 0
	s_mov_b32 s21, exec_lo
	v_cmpx_ne_u16_e32 0, v11
	s_cbranch_execz .LBB331_1254
; %bb.1247:                             ;   in Loop: Header=BB331_1065 Depth=1
	v_bfrev_b32_e32 v17, 1
	s_mov_b32 s22, exec_lo
	v_cmpx_ne_u16_e32 0x80, v11
	s_cbranch_execz .LBB331_1253
; %bb.1248:                             ;   in Loop: Header=BB331_1065 Depth=1
	v_bfe_u32 v18, v27, 16, 7
	v_mov_b32_e32 v17, 0x7f800001
	s_mov_b32 s23, exec_lo
	v_cmpx_ne_u32_e32 0x7f, v18
	s_cbranch_execz .LBB331_1252
; %bb.1249:                             ;   in Loop: Header=BB331_1065 Depth=1
	v_mov_b32_e32 v11, 7
	v_lshrrev_b32_e32 v17, 3, v18
	s_mov_b32 s24, exec_lo
	v_and_b32_sdwa v11, v27, v11 dst_sel:DWORD dst_unused:UNUSED_PAD src0_sel:WORD_1 src1_sel:DWORD
	v_mov_b32_e32 v29, v12
	v_mov_b32_e32 v28, v11
	v_cmpx_gt_u32_e32 8, v18
; %bb.1250:                             ;   in Loop: Header=BB331_1065 Depth=1
	v_ffbh_u32_e32 v17, v11
	v_min_u32_e32 v17, 32, v17
	v_subrev_nc_u32_e32 v18, 28, v17
	v_sub_nc_u32_e32 v17, 29, v17
	v_lshlrev_b64 v[21:22], v18, v[11:12]
	v_and_b32_e32 v28, 7, v21
; %bb.1251:                             ;   in Loop: Header=BB331_1065 Depth=1
	s_or_b32 exec_lo, exec_lo, s24
	v_mov_b32_e32 v11, 24
	v_lshlrev_b32_e32 v18, 20, v28
	v_lshl_add_u32 v17, v17, 23, 0x3c000000
	v_lshlrev_b32_sdwa v11, v11, v27 dst_sel:DWORD dst_unused:UNUSED_PAD src0_sel:DWORD src1_sel:WORD_1
	v_and_b32_e32 v11, 0x80000000, v11
	v_or3_b32 v17, v18, v11, v17
.LBB331_1252:                           ;   in Loop: Header=BB331_1065 Depth=1
	s_or_b32 exec_lo, exec_lo, s23
.LBB331_1253:                           ;   in Loop: Header=BB331_1065 Depth=1
	s_or_b32 exec_lo, exec_lo, s22
.LBB331_1254:                           ;   in Loop: Header=BB331_1065 Depth=1
	s_or_b32 exec_lo, exec_lo, s21
	s_mov_b32 s21, exec_lo
	v_cmpx_lt_u64_e64 s[6:7], v[26:27]
	s_cbranch_execz .LBB331_1262
; %bb.1255:                             ;   in Loop: Header=BB331_1065 Depth=1
	v_cmp_ne_u32_sdwa s5, v27, v67 src0_sel:BYTE_3 src1_sel:DWORD
	v_bfrev_b32_e32 v16, 1
	s_and_saveexec_b32 s22, s5
	s_cbranch_execz .LBB331_1261
; %bb.1256:                             ;   in Loop: Header=BB331_1065 Depth=1
	v_bfe_u32 v18, v27, 24, 7
	v_mov_b32_e32 v16, 0x7f800001
	s_mov_b32 s23, exec_lo
	v_cmpx_ne_u32_e32 0x7f, v18
	s_cbranch_execz .LBB331_1260
; %bb.1257:                             ;   in Loop: Header=BB331_1065 Depth=1
	v_mov_b32_e32 v11, 7
	v_lshrrev_b32_e32 v16, 3, v18
	s_mov_b32 s24, exec_lo
	v_and_b32_sdwa v11, v27, v11 dst_sel:DWORD dst_unused:UNUSED_PAD src0_sel:BYTE_3 src1_sel:DWORD
	v_mov_b32_e32 v29, v12
	v_mov_b32_e32 v28, v11
	v_cmpx_gt_u32_e32 8, v18
; %bb.1258:                             ;   in Loop: Header=BB331_1065 Depth=1
	v_ffbh_u32_e32 v16, v11
	v_min_u32_e32 v16, 32, v16
	v_subrev_nc_u32_e32 v18, 28, v16
	v_sub_nc_u32_e32 v16, 29, v16
	v_lshlrev_b64 v[21:22], v18, v[11:12]
	v_and_b32_e32 v28, 7, v21
; %bb.1259:                             ;   in Loop: Header=BB331_1065 Depth=1
	s_or_b32 exec_lo, exec_lo, s24
	v_mov_b32_e32 v11, 24
	v_lshlrev_b32_e32 v18, 20, v28
	v_lshl_add_u32 v16, v16, 23, 0x3c000000
	v_lshlrev_b32_sdwa v11, v11, v27 dst_sel:DWORD dst_unused:UNUSED_PAD src0_sel:DWORD src1_sel:BYTE_3
	v_and_b32_e32 v11, 0x80000000, v11
	v_or3_b32 v16, v18, v11, v16
.LBB331_1260:                           ;   in Loop: Header=BB331_1065 Depth=1
	s_or_b32 exec_lo, exec_lo, s23
.LBB331_1261:                           ;   in Loop: Header=BB331_1065 Depth=1
	s_or_b32 exec_lo, exec_lo, s22
.LBB331_1262:                           ;   in Loop: Header=BB331_1065 Depth=1
	s_or_b32 exec_lo, exec_lo, s21
	v_mul_f32_e32 v11, v72, v15
	v_mul_f32_e32 v14, v72, v14
	;; [unrolled: 1-line block ×5, first 2 shown]
	v_bfe_u32 v15, v11, 16, 1
	v_or_b32_e32 v18, 0x400000, v11
	v_bfe_u32 v21, v14, 16, 1
	v_cmp_u_f32_e64 s5, v11, v11
	v_or_b32_e32 v22, 0x400000, v14
	v_add3_u32 v15, v15, v11, 0x7fff
	v_bfe_u32 v23, v13, 16, 1
	v_add3_u32 v21, v21, v14, 0x7fff
	v_or_b32_e32 v26, 0x400000, v13
	v_bfe_u32 v27, v10, 16, 1
	v_cndmask_b32_e64 v11, v15, v18, s5
	v_cmp_u_f32_e64 s5, v14, v14
	v_add3_u32 v23, v23, v13, 0x7fff
	v_or_b32_e32 v15, 0x400000, v10
	v_mul_f32_e32 v0, v72, v0
	v_lshrrev_b32_e32 v11, 16, v11
	v_cndmask_b32_e64 v14, v21, v22, s5
	v_cmp_u_f32_e64 s5, v13, v13
	buffer_store_dword v11, off, s[0:3], s32 offset:292 ; 4-byte Folded Spill
	v_add3_u32 v11, v27, v10, 0x7fff
	v_cndmask_b32_e64 v13, v23, v26, s5
	v_lshrrev_b32_e32 v14, 16, v14
	v_cmp_u_f32_e64 s5, v10, v10
	v_lshrrev_b32_e32 v13, 16, v13
	buffer_store_dword v14, off, s[0:3], s32 offset:284 ; 4-byte Folded Spill
	v_cndmask_b32_e64 v10, v11, v15, s5
	v_mul_f32_e32 v11, v72, v17
	v_or_b32_e32 v14, 0x400000, v1
	buffer_store_dword v13, off, s[0:3], s32 offset:296 ; 4-byte Folded Spill
	v_bfe_u32 v13, v1, 16, 1
	v_mul_f32_e32 v15, v72, v16
	v_bfe_u32 v16, v0, 16, 1
	v_cmp_u_f32_e64 s5, v1, v1
	v_bfe_u32 v17, v11, 16, 1
	v_add3_u32 v13, v13, v1, 0x7fff
	v_or_b32_e32 v18, 0x400000, v11
	v_or_b32_e32 v21, 0x400000, v15
	v_lshrrev_b32_e32 v10, 16, v10
	v_add3_u32 v17, v17, v11, 0x7fff
	v_cndmask_b32_e64 v1, v13, v14, s5
	v_add3_u32 v14, v16, v0, 0x7fff
	v_or_b32_e32 v16, 0x400000, v0
	v_cmp_u_f32_e64 s5, v0, v0
	v_bfe_u32 v13, v15, 16, 1
	v_lshrrev_b32_e32 v1, 16, v1
	buffer_store_dword v10, off, s[0:3], s32 offset:300 ; 4-byte Folded Spill
	v_cndmask_b32_e64 v0, v14, v16, s5
	v_cmp_u_f32_e64 s5, v11, v11
	v_add3_u32 v13, v13, v15, 0x7fff
	buffer_store_dword v1, off, s[0:3], s32 offset:308 ; 4-byte Folded Spill
	v_lshrrev_b32_e32 v0, 16, v0
	v_cndmask_b32_e64 v11, v17, v18, s5
	v_cmp_u_f32_e64 s5, v15, v15
	buffer_store_dword v0, off, s[0:3], s32 offset:304 ; 4-byte Folded Spill
	v_lshrrev_b32_e32 v0, 16, v11
	v_cndmask_b32_e64 v13, v13, v21, s5
	buffer_store_dword v0, off, s[0:3], s32 offset:280 ; 4-byte Folded Spill
	v_lshrrev_b32_e32 v0, 16, v13
	buffer_store_dword v0, off, s[0:3], s32 offset:288 ; 4-byte Folded Spill
	s_and_saveexec_b32 s21, vcc_lo
	s_cbranch_execz .LBB331_1264
; %bb.1263:                             ;   in Loop: Header=BB331_1065 Depth=1
	buffer_load_dword v0, off, s[0:3], s32 offset:304 ; 4-byte Folded Reload
	v_cmp_lt_i32_e64 s5, v75, v82
	s_waitcnt vmcnt(0)
	v_cndmask_b32_e64 v0, 0, v0, s5
	v_cmp_lt_i32_e64 s5, v90, v82
	buffer_store_dword v0, off, s[0:3], s32 offset:304 ; 4-byte Folded Spill
	buffer_load_dword v0, off, s[0:3], s32 offset:308 ; 4-byte Folded Reload
	s_waitcnt vmcnt(0)
	v_cndmask_b32_e64 v0, 0, v0, s5
	v_cmp_lt_i32_e64 s5, v89, v82
	buffer_store_dword v0, off, s[0:3], s32 offset:308 ; 4-byte Folded Spill
	buffer_load_dword v0, off, s[0:3], s32 offset:300 ; 4-byte Folded Reload
	;; [unrolled: 5-line block ×7, first 2 shown]
	s_waitcnt vmcnt(0)
	v_cndmask_b32_e64 v0, 0, v0, s5
	buffer_store_dword v0, off, s[0:3], s32 offset:288 ; 4-byte Folded Spill
.LBB331_1264:                           ;   in Loop: Header=BB331_1065 Depth=1
	s_or_b32 exec_lo, exec_lo, s21
	flat_load_dwordx2 v[26:27], v[24:25] offset:768
	v_mov_b32_e32 v1, 0
	v_mov_b32_e32 v0, 0
	s_waitcnt vmcnt(0) lgkmcnt(0)
	v_cmp_ne_u16_sdwa s5, v26, v12 src0_sel:BYTE_0 src1_sel:DWORD
	s_and_saveexec_b32 s21, s5
	s_cbranch_execz .LBB331_1272
; %bb.1265:                             ;   in Loop: Header=BB331_1065 Depth=1
	v_cmp_ne_u16_sdwa s5, v26, v67 src0_sel:BYTE_0 src1_sel:DWORD
	v_bfrev_b32_e32 v0, 1
	s_and_saveexec_b32 s22, s5
	s_cbranch_execz .LBB331_1271
; %bb.1266:                             ;   in Loop: Header=BB331_1065 Depth=1
	v_and_b32_e32 v10, 0x7f, v26
	v_mov_b32_e32 v0, 0x7f800001
	s_mov_b32 s23, exec_lo
	v_cmpx_ne_u32_e32 0x7f, v10
	s_cbranch_execz .LBB331_1270
; %bb.1267:                             ;   in Loop: Header=BB331_1065 Depth=1
	v_lshrrev_b32_e32 v0, 3, v10
	v_cmp_gt_u32_e64 s5, 8, v10
	v_mov_b32_e32 v10, v26
	v_mov_b32_e32 v11, v27
	s_and_saveexec_b32 s24, s5
; %bb.1268:                             ;   in Loop: Header=BB331_1065 Depth=1
	v_and_b32_e32 v0, 7, v26
	v_ffbh_u32_e32 v0, v0
	v_min_u32_e32 v0, 32, v0
	v_subrev_nc_u32_e32 v10, 28, v0
	v_sub_nc_u32_e32 v0, 29, v0
	v_lshlrev_b64 v[10:11], v10, v[26:27]
; %bb.1269:                             ;   in Loop: Header=BB331_1065 Depth=1
	s_or_b32 exec_lo, exec_lo, s24
	v_lshlrev_b32_e32 v10, 20, v10
	v_lshlrev_b32_e32 v11, 24, v26
	v_lshl_add_u32 v0, v0, 23, 0x3c000000
	v_and_b32_e32 v10, 0x700000, v10
	v_and_b32_e32 v11, 0x80000000, v11
	v_or3_b32 v0, v10, v11, v0
.LBB331_1270:                           ;   in Loop: Header=BB331_1065 Depth=1
	s_or_b32 exec_lo, exec_lo, s23
.LBB331_1271:                           ;   in Loop: Header=BB331_1065 Depth=1
	s_or_b32 exec_lo, exec_lo, s22
.LBB331_1272:                           ;   in Loop: Header=BB331_1065 Depth=1
	s_or_b32 exec_lo, exec_lo, s21
	v_cmp_ne_u16_sdwa s5, v26, v12 src0_sel:BYTE_1 src1_sel:DWORD
	s_and_saveexec_b32 s21, s5
	s_cbranch_execz .LBB331_1280
; %bb.1273:                             ;   in Loop: Header=BB331_1065 Depth=1
	v_cmp_ne_u16_sdwa s5, v26, v67 src0_sel:BYTE_1 src1_sel:DWORD
	v_bfrev_b32_e32 v1, 1
	s_and_saveexec_b32 s22, s5
	s_cbranch_execz .LBB331_1279
; %bb.1274:                             ;   in Loop: Header=BB331_1065 Depth=1
	v_mov_b32_e32 v1, 0xffff
	s_mov_b32 s23, exec_lo
	v_and_b32_sdwa v11, v1, v26 dst_sel:DWORD dst_unused:UNUSED_PAD src0_sel:DWORD src1_sel:BYTE_1
	v_mov_b32_e32 v1, 0x7f800001
	v_and_b32_e32 v10, 0x7f, v11
	v_cmpx_ne_u32_e32 0x7f, v10
	s_cbranch_execz .LBB331_1278
; %bb.1275:                             ;   in Loop: Header=BB331_1065 Depth=1
	v_and_b32_e32 v11, 7, v11
	v_mov_b32_e32 v29, v12
	v_lshrrev_b32_e32 v1, 3, v10
	s_mov_b32 s24, exec_lo
	v_mov_b32_e32 v28, v11
	v_cmpx_gt_u32_e32 8, v10
; %bb.1276:                             ;   in Loop: Header=BB331_1065 Depth=1
	v_ffbh_u32_e32 v1, v11
	v_min_u32_e32 v1, 32, v1
	v_subrev_nc_u32_e32 v10, 28, v1
	v_sub_nc_u32_e32 v1, 29, v1
	v_lshlrev_b64 v[10:11], v10, v[11:12]
	v_and_b32_e32 v28, 7, v10
; %bb.1277:                             ;   in Loop: Header=BB331_1065 Depth=1
	s_or_b32 exec_lo, exec_lo, s24
	v_lshlrev_b32_e32 v10, 16, v26
	v_lshlrev_b32_e32 v11, 20, v28
	v_lshl_add_u32 v1, v1, 23, 0x3c000000
	v_and_b32_e32 v10, 0x80000000, v10
	v_or3_b32 v1, v11, v10, v1
.LBB331_1278:                           ;   in Loop: Header=BB331_1065 Depth=1
	s_or_b32 exec_lo, exec_lo, s23
.LBB331_1279:                           ;   in Loop: Header=BB331_1065 Depth=1
	s_or_b32 exec_lo, exec_lo, s22
.LBB331_1280:                           ;   in Loop: Header=BB331_1065 Depth=1
	s_or_b32 exec_lo, exec_lo, s21
	v_and_b32_sdwa v11, v26, v69 dst_sel:DWORD dst_unused:UNUSED_PAD src0_sel:WORD_1 src1_sel:DWORD
	v_mov_b32_e32 v13, 0
	v_mov_b32_e32 v10, 0
	s_mov_b32 s21, exec_lo
	v_cmpx_ne_u16_e32 0, v11
	s_cbranch_execz .LBB331_1288
; %bb.1281:                             ;   in Loop: Header=BB331_1065 Depth=1
	v_bfrev_b32_e32 v10, 1
	s_mov_b32 s22, exec_lo
	v_cmpx_ne_u16_e32 0x80, v11
	s_cbranch_execz .LBB331_1287
; %bb.1282:                             ;   in Loop: Header=BB331_1065 Depth=1
	v_bfe_u32 v14, v26, 16, 7
	v_mov_b32_e32 v10, 0x7f800001
	s_mov_b32 s23, exec_lo
	v_cmpx_ne_u32_e32 0x7f, v14
	s_cbranch_execz .LBB331_1286
; %bb.1283:                             ;   in Loop: Header=BB331_1065 Depth=1
	v_mov_b32_e32 v10, 7
	s_mov_b32 s24, exec_lo
	v_and_b32_sdwa v11, v26, v10 dst_sel:DWORD dst_unused:UNUSED_PAD src0_sel:WORD_1 src1_sel:DWORD
	v_mov_b32_e32 v29, v12
	v_lshrrev_b32_e32 v10, 3, v14
	v_mov_b32_e32 v28, v11
	v_cmpx_gt_u32_e32 8, v14
; %bb.1284:                             ;   in Loop: Header=BB331_1065 Depth=1
	v_ffbh_u32_e32 v10, v11
	v_min_u32_e32 v10, 32, v10
	v_subrev_nc_u32_e32 v14, 28, v10
	v_sub_nc_u32_e32 v10, 29, v10
	v_lshlrev_b64 v[14:15], v14, v[11:12]
	v_and_b32_e32 v28, 7, v14
; %bb.1285:                             ;   in Loop: Header=BB331_1065 Depth=1
	s_or_b32 exec_lo, exec_lo, s24
	v_mov_b32_e32 v11, 24
	v_lshlrev_b32_e32 v14, 20, v28
	v_lshl_add_u32 v10, v10, 23, 0x3c000000
	v_lshlrev_b32_sdwa v11, v11, v26 dst_sel:DWORD dst_unused:UNUSED_PAD src0_sel:DWORD src1_sel:WORD_1
	v_and_b32_e32 v11, 0x80000000, v11
	v_or3_b32 v10, v14, v11, v10
.LBB331_1286:                           ;   in Loop: Header=BB331_1065 Depth=1
	s_or_b32 exec_lo, exec_lo, s23
.LBB331_1287:                           ;   in Loop: Header=BB331_1065 Depth=1
	s_or_b32 exec_lo, exec_lo, s22
.LBB331_1288:                           ;   in Loop: Header=BB331_1065 Depth=1
	s_or_b32 exec_lo, exec_lo, s21
	s_mov_b32 s21, exec_lo
	v_cmpx_lt_u32_e32 0xffffff, v26
	s_cbranch_execz .LBB331_1296
; %bb.1289:                             ;   in Loop: Header=BB331_1065 Depth=1
	v_cmp_ne_u32_sdwa s5, v26, v67 src0_sel:BYTE_3 src1_sel:DWORD
	v_bfrev_b32_e32 v13, 1
	s_and_saveexec_b32 s22, s5
	s_cbranch_execz .LBB331_1295
; %bb.1290:                             ;   in Loop: Header=BB331_1065 Depth=1
	v_bfe_u32 v14, v26, 24, 7
	v_mov_b32_e32 v13, 0x7f800001
	s_mov_b32 s23, exec_lo
	v_cmpx_ne_u32_e32 0x7f, v14
	s_cbranch_execz .LBB331_1294
; %bb.1291:                             ;   in Loop: Header=BB331_1065 Depth=1
	v_mov_b32_e32 v11, 7
	v_lshrrev_b32_e32 v13, 3, v14
	s_mov_b32 s24, exec_lo
	v_and_b32_sdwa v11, v26, v11 dst_sel:DWORD dst_unused:UNUSED_PAD src0_sel:BYTE_3 src1_sel:DWORD
	v_mov_b32_e32 v29, v12
	v_mov_b32_e32 v28, v11
	v_cmpx_gt_u32_e32 8, v14
; %bb.1292:                             ;   in Loop: Header=BB331_1065 Depth=1
	v_ffbh_u32_e32 v13, v11
	v_min_u32_e32 v13, 32, v13
	v_subrev_nc_u32_e32 v14, 28, v13
	v_sub_nc_u32_e32 v13, 29, v13
	v_lshlrev_b64 v[14:15], v14, v[11:12]
	v_and_b32_e32 v28, 7, v14
; %bb.1293:                             ;   in Loop: Header=BB331_1065 Depth=1
	s_or_b32 exec_lo, exec_lo, s24
	v_mov_b32_e32 v11, 24
	v_lshlrev_b32_e32 v14, 20, v28
	v_lshl_add_u32 v13, v13, 23, 0x3c000000
	v_lshlrev_b32_sdwa v11, v11, v26 dst_sel:DWORD dst_unused:UNUSED_PAD src0_sel:DWORD src1_sel:BYTE_3
	v_and_b32_e32 v11, 0x80000000, v11
	v_or3_b32 v13, v14, v11, v13
.LBB331_1294:                           ;   in Loop: Header=BB331_1065 Depth=1
	s_or_b32 exec_lo, exec_lo, s23
.LBB331_1295:                           ;   in Loop: Header=BB331_1065 Depth=1
	s_or_b32 exec_lo, exec_lo, s22
.LBB331_1296:                           ;   in Loop: Header=BB331_1065 Depth=1
	s_or_b32 exec_lo, exec_lo, s21
	v_mov_b32_e32 v11, v27
	v_cmp_ne_u16_sdwa s5, v27, v12 src0_sel:BYTE_0 src1_sel:DWORD
	v_mov_b32_e32 v15, 0
	v_mov_b32_e32 v14, 0
	s_and_saveexec_b32 s21, s5
	s_cbranch_execz .LBB331_1304
; %bb.1297:                             ;   in Loop: Header=BB331_1065 Depth=1
	v_cmp_ne_u16_sdwa s5, v27, v67 src0_sel:BYTE_0 src1_sel:DWORD
	v_bfrev_b32_e32 v14, 1
	s_and_saveexec_b32 s22, s5
	s_cbranch_execz .LBB331_1303
; %bb.1298:                             ;   in Loop: Header=BB331_1065 Depth=1
	v_and_b32_e32 v16, 0x7f, v27
	v_mov_b32_e32 v14, 0x7f800001
	s_mov_b32 s23, exec_lo
	v_cmpx_ne_u32_e32 0x7f, v16
	s_cbranch_execz .LBB331_1302
; %bb.1299:                             ;   in Loop: Header=BB331_1065 Depth=1
	v_mov_b32_e32 v29, v12
	v_lshrrev_b32_e32 v14, 3, v16
	v_mov_b32_e32 v28, v11
	s_mov_b32 s24, exec_lo
	v_cmpx_gt_u32_e32 8, v16
; %bb.1300:                             ;   in Loop: Header=BB331_1065 Depth=1
	v_and_b32_e32 v14, 7, v27
	v_ffbh_u32_e32 v14, v14
	v_min_u32_e32 v14, 32, v14
	v_subrev_nc_u32_e32 v16, 28, v14
	v_sub_nc_u32_e32 v14, 29, v14
	v_lshlrev_b64 v[28:29], v16, v[11:12]
; %bb.1301:                             ;   in Loop: Header=BB331_1065 Depth=1
	s_or_b32 exec_lo, exec_lo, s24
	v_lshlrev_b32_e32 v16, 20, v28
	v_lshlrev_b32_e32 v17, 24, v11
	v_lshl_add_u32 v14, v14, 23, 0x3c000000
	v_and_b32_e32 v16, 0x700000, v16
	v_and_b32_e32 v17, 0x80000000, v17
	v_or3_b32 v14, v16, v17, v14
.LBB331_1302:                           ;   in Loop: Header=BB331_1065 Depth=1
	s_or_b32 exec_lo, exec_lo, s23
.LBB331_1303:                           ;   in Loop: Header=BB331_1065 Depth=1
	s_or_b32 exec_lo, exec_lo, s22
.LBB331_1304:                           ;   in Loop: Header=BB331_1065 Depth=1
	s_or_b32 exec_lo, exec_lo, s21
	v_cmp_ne_u16_sdwa s5, v11, v12 src0_sel:BYTE_1 src1_sel:DWORD
	s_and_saveexec_b32 s21, s5
	s_cbranch_execz .LBB331_1312
; %bb.1305:                             ;   in Loop: Header=BB331_1065 Depth=1
	v_cmp_ne_u16_sdwa s5, v11, v67 src0_sel:BYTE_1 src1_sel:DWORD
	v_bfrev_b32_e32 v15, 1
	s_and_saveexec_b32 s22, s5
	s_cbranch_execz .LBB331_1311
; %bb.1306:                             ;   in Loop: Header=BB331_1065 Depth=1
	v_mov_b32_e32 v15, 0xffff
	s_mov_b32 s23, exec_lo
	v_and_b32_sdwa v17, v15, v11 dst_sel:DWORD dst_unused:UNUSED_PAD src0_sel:DWORD src1_sel:BYTE_1
	v_mov_b32_e32 v15, 0x7f800001
	v_and_b32_e32 v16, 0x7f, v17
	v_cmpx_ne_u32_e32 0x7f, v16
	s_cbranch_execz .LBB331_1310
; %bb.1307:                             ;   in Loop: Header=BB331_1065 Depth=1
	v_and_b32_e32 v28, 7, v17
	v_mov_b32_e32 v29, v12
	v_lshrrev_b32_e32 v15, 3, v16
	s_mov_b32 s24, exec_lo
	v_cmpx_gt_u32_e32 8, v16
; %bb.1308:                             ;   in Loop: Header=BB331_1065 Depth=1
	v_ffbh_u32_e32 v15, v28
	v_min_u32_e32 v15, 32, v15
	v_subrev_nc_u32_e32 v16, 28, v15
	v_sub_nc_u32_e32 v15, 29, v15
	v_lshlrev_b64 v[16:17], v16, v[28:29]
	v_and_b32_e32 v28, 7, v16
; %bb.1309:                             ;   in Loop: Header=BB331_1065 Depth=1
	s_or_b32 exec_lo, exec_lo, s24
	v_lshlrev_b32_e32 v11, 16, v11
	v_lshlrev_b32_e32 v16, 20, v28
	v_lshl_add_u32 v15, v15, 23, 0x3c000000
	v_and_b32_e32 v11, 0x80000000, v11
	v_or3_b32 v15, v16, v11, v15
.LBB331_1310:                           ;   in Loop: Header=BB331_1065 Depth=1
	s_or_b32 exec_lo, exec_lo, s23
.LBB331_1311:                           ;   in Loop: Header=BB331_1065 Depth=1
	s_or_b32 exec_lo, exec_lo, s22
.LBB331_1312:                           ;   in Loop: Header=BB331_1065 Depth=1
	s_or_b32 exec_lo, exec_lo, s21
	v_and_b32_sdwa v11, v27, v69 dst_sel:DWORD dst_unused:UNUSED_PAD src0_sel:WORD_1 src1_sel:DWORD
	v_mov_b32_e32 v16, 0
	v_mov_b32_e32 v17, 0
	s_mov_b32 s21, exec_lo
	v_cmpx_ne_u16_e32 0, v11
	s_cbranch_execz .LBB331_1320
; %bb.1313:                             ;   in Loop: Header=BB331_1065 Depth=1
	v_bfrev_b32_e32 v17, 1
	s_mov_b32 s22, exec_lo
	v_cmpx_ne_u16_e32 0x80, v11
	s_cbranch_execz .LBB331_1319
; %bb.1314:                             ;   in Loop: Header=BB331_1065 Depth=1
	v_bfe_u32 v18, v27, 16, 7
	v_mov_b32_e32 v17, 0x7f800001
	s_mov_b32 s23, exec_lo
	v_cmpx_ne_u32_e32 0x7f, v18
	s_cbranch_execz .LBB331_1318
; %bb.1315:                             ;   in Loop: Header=BB331_1065 Depth=1
	v_mov_b32_e32 v11, 7
	v_lshrrev_b32_e32 v17, 3, v18
	s_mov_b32 s24, exec_lo
	v_and_b32_sdwa v11, v27, v11 dst_sel:DWORD dst_unused:UNUSED_PAD src0_sel:WORD_1 src1_sel:DWORD
	v_mov_b32_e32 v29, v12
	v_mov_b32_e32 v28, v11
	v_cmpx_gt_u32_e32 8, v18
; %bb.1316:                             ;   in Loop: Header=BB331_1065 Depth=1
	v_ffbh_u32_e32 v17, v11
	v_min_u32_e32 v17, 32, v17
	v_subrev_nc_u32_e32 v18, 28, v17
	v_sub_nc_u32_e32 v17, 29, v17
	v_lshlrev_b64 v[21:22], v18, v[11:12]
	v_and_b32_e32 v28, 7, v21
; %bb.1317:                             ;   in Loop: Header=BB331_1065 Depth=1
	s_or_b32 exec_lo, exec_lo, s24
	v_mov_b32_e32 v11, 24
	v_lshlrev_b32_e32 v18, 20, v28
	v_lshl_add_u32 v17, v17, 23, 0x3c000000
	v_lshlrev_b32_sdwa v11, v11, v27 dst_sel:DWORD dst_unused:UNUSED_PAD src0_sel:DWORD src1_sel:WORD_1
	v_and_b32_e32 v11, 0x80000000, v11
	v_or3_b32 v17, v18, v11, v17
.LBB331_1318:                           ;   in Loop: Header=BB331_1065 Depth=1
	s_or_b32 exec_lo, exec_lo, s23
.LBB331_1319:                           ;   in Loop: Header=BB331_1065 Depth=1
	s_or_b32 exec_lo, exec_lo, s22
.LBB331_1320:                           ;   in Loop: Header=BB331_1065 Depth=1
	s_or_b32 exec_lo, exec_lo, s21
	s_mov_b32 s21, exec_lo
	v_cmpx_lt_u64_e64 s[6:7], v[26:27]
	s_cbranch_execz .LBB331_1328
; %bb.1321:                             ;   in Loop: Header=BB331_1065 Depth=1
	v_cmp_ne_u32_sdwa s5, v27, v67 src0_sel:BYTE_3 src1_sel:DWORD
	v_bfrev_b32_e32 v16, 1
	s_and_saveexec_b32 s22, s5
	s_cbranch_execz .LBB331_1327
; %bb.1322:                             ;   in Loop: Header=BB331_1065 Depth=1
	v_bfe_u32 v18, v27, 24, 7
	v_mov_b32_e32 v16, 0x7f800001
	s_mov_b32 s23, exec_lo
	v_cmpx_ne_u32_e32 0x7f, v18
	s_cbranch_execz .LBB331_1326
; %bb.1323:                             ;   in Loop: Header=BB331_1065 Depth=1
	v_mov_b32_e32 v11, 7
	v_lshrrev_b32_e32 v16, 3, v18
	s_mov_b32 s24, exec_lo
	v_and_b32_sdwa v11, v27, v11 dst_sel:DWORD dst_unused:UNUSED_PAD src0_sel:BYTE_3 src1_sel:DWORD
	v_mov_b32_e32 v29, v12
	v_mov_b32_e32 v28, v11
	v_cmpx_gt_u32_e32 8, v18
; %bb.1324:                             ;   in Loop: Header=BB331_1065 Depth=1
	v_ffbh_u32_e32 v16, v11
	v_min_u32_e32 v16, 32, v16
	v_subrev_nc_u32_e32 v18, 28, v16
	v_sub_nc_u32_e32 v16, 29, v16
	v_lshlrev_b64 v[21:22], v18, v[11:12]
	v_and_b32_e32 v28, 7, v21
; %bb.1325:                             ;   in Loop: Header=BB331_1065 Depth=1
	s_or_b32 exec_lo, exec_lo, s24
	v_mov_b32_e32 v11, 24
	v_lshlrev_b32_e32 v18, 20, v28
	v_lshl_add_u32 v16, v16, 23, 0x3c000000
	v_lshlrev_b32_sdwa v11, v11, v27 dst_sel:DWORD dst_unused:UNUSED_PAD src0_sel:DWORD src1_sel:BYTE_3
	v_and_b32_e32 v11, 0x80000000, v11
	v_or3_b32 v16, v18, v11, v16
.LBB331_1326:                           ;   in Loop: Header=BB331_1065 Depth=1
	s_or_b32 exec_lo, exec_lo, s23
.LBB331_1327:                           ;   in Loop: Header=BB331_1065 Depth=1
	s_or_b32 exec_lo, exec_lo, s22
.LBB331_1328:                           ;   in Loop: Header=BB331_1065 Depth=1
	s_or_b32 exec_lo, exec_lo, s21
	v_mul_f32_e32 v11, v72, v15
	v_mul_f32_e32 v14, v72, v14
	;; [unrolled: 1-line block ×5, first 2 shown]
	v_bfe_u32 v15, v11, 16, 1
	v_or_b32_e32 v18, 0x400000, v11
	v_bfe_u32 v21, v14, 16, 1
	v_cmp_u_f32_e64 s5, v11, v11
	v_or_b32_e32 v22, 0x400000, v14
	v_add3_u32 v15, v15, v11, 0x7fff
	v_bfe_u32 v23, v13, 16, 1
	v_add3_u32 v21, v21, v14, 0x7fff
	v_or_b32_e32 v26, 0x400000, v13
	v_bfe_u32 v27, v10, 16, 1
	v_cndmask_b32_e64 v11, v15, v18, s5
	v_cmp_u_f32_e64 s5, v14, v14
	v_add3_u32 v23, v23, v13, 0x7fff
	v_or_b32_e32 v15, 0x400000, v10
	v_mul_f32_e32 v0, v72, v0
	v_lshrrev_b32_e32 v11, 16, v11
	v_cndmask_b32_e64 v14, v21, v22, s5
	v_cmp_u_f32_e64 s5, v13, v13
	buffer_store_dword v11, off, s[0:3], s32 offset:316 ; 4-byte Folded Spill
	v_add3_u32 v11, v27, v10, 0x7fff
	v_cndmask_b32_e64 v13, v23, v26, s5
	v_lshrrev_b32_e32 v14, 16, v14
	v_cmp_u_f32_e64 s5, v10, v10
	v_lshrrev_b32_e32 v13, 16, v13
	buffer_store_dword v14, off, s[0:3], s32 offset:312 ; 4-byte Folded Spill
	v_cndmask_b32_e64 v10, v11, v15, s5
	v_mul_f32_e32 v11, v72, v17
	v_or_b32_e32 v14, 0x400000, v1
	buffer_store_dword v13, off, s[0:3], s32 offset:328 ; 4-byte Folded Spill
	v_bfe_u32 v13, v1, 16, 1
	v_mul_f32_e32 v15, v72, v16
	v_bfe_u32 v16, v0, 16, 1
	v_cmp_u_f32_e64 s5, v1, v1
	v_bfe_u32 v17, v11, 16, 1
	v_add3_u32 v13, v13, v1, 0x7fff
	v_or_b32_e32 v18, 0x400000, v11
	v_or_b32_e32 v21, 0x400000, v15
	v_lshrrev_b32_e32 v10, 16, v10
	v_add3_u32 v17, v17, v11, 0x7fff
	v_cndmask_b32_e64 v1, v13, v14, s5
	v_add3_u32 v14, v16, v0, 0x7fff
	v_or_b32_e32 v16, 0x400000, v0
	v_cmp_u_f32_e64 s5, v0, v0
	v_bfe_u32 v13, v15, 16, 1
	v_lshrrev_b32_e32 v1, 16, v1
	buffer_store_dword v10, off, s[0:3], s32 offset:332 ; 4-byte Folded Spill
	v_cndmask_b32_e64 v0, v14, v16, s5
	v_cmp_u_f32_e64 s5, v11, v11
	v_add3_u32 v13, v13, v15, 0x7fff
	buffer_store_dword v1, off, s[0:3], s32 offset:340 ; 4-byte Folded Spill
	v_lshrrev_b32_e32 v0, 16, v0
	v_cndmask_b32_e64 v11, v17, v18, s5
	v_cmp_u_f32_e64 s5, v15, v15
	buffer_store_dword v0, off, s[0:3], s32 offset:336 ; 4-byte Folded Spill
	v_lshrrev_b32_e32 v0, 16, v11
	v_cndmask_b32_e64 v13, v13, v21, s5
	buffer_store_dword v0, off, s[0:3], s32 offset:320 ; 4-byte Folded Spill
	v_lshrrev_b32_e32 v0, 16, v13
	buffer_store_dword v0, off, s[0:3], s32 offset:324 ; 4-byte Folded Spill
	s_and_saveexec_b32 s21, vcc_lo
	s_cbranch_execz .LBB331_1330
; %bb.1329:                             ;   in Loop: Header=BB331_1065 Depth=1
	buffer_load_dword v0, off, s[0:3], s32 offset:336 ; 4-byte Folded Reload
	v_cmp_lt_i32_e64 s5, v75, v82
	s_waitcnt vmcnt(0)
	v_cndmask_b32_e64 v0, 0, v0, s5
	v_cmp_lt_i32_e64 s5, v90, v82
	buffer_store_dword v0, off, s[0:3], s32 offset:336 ; 4-byte Folded Spill
	buffer_load_dword v0, off, s[0:3], s32 offset:340 ; 4-byte Folded Reload
	s_waitcnt vmcnt(0)
	v_cndmask_b32_e64 v0, 0, v0, s5
	v_cmp_lt_i32_e64 s5, v89, v82
	buffer_store_dword v0, off, s[0:3], s32 offset:340 ; 4-byte Folded Spill
	buffer_load_dword v0, off, s[0:3], s32 offset:332 ; 4-byte Folded Reload
	;; [unrolled: 5-line block ×7, first 2 shown]
	s_waitcnt vmcnt(0)
	v_cndmask_b32_e64 v0, 0, v0, s5
	buffer_store_dword v0, off, s[0:3], s32 offset:324 ; 4-byte Folded Spill
.LBB331_1330:                           ;   in Loop: Header=BB331_1065 Depth=1
	s_or_b32 exec_lo, exec_lo, s21
	flat_load_dwordx2 v[26:27], v[24:25] offset:1024
	v_mov_b32_e32 v1, 0
	v_mov_b32_e32 v0, 0
	s_waitcnt vmcnt(0) lgkmcnt(0)
	v_cmp_ne_u16_sdwa s5, v26, v12 src0_sel:BYTE_0 src1_sel:DWORD
	s_and_saveexec_b32 s21, s5
	s_cbranch_execz .LBB331_1338
; %bb.1331:                             ;   in Loop: Header=BB331_1065 Depth=1
	v_cmp_ne_u16_sdwa s5, v26, v67 src0_sel:BYTE_0 src1_sel:DWORD
	v_bfrev_b32_e32 v0, 1
	s_and_saveexec_b32 s22, s5
	s_cbranch_execz .LBB331_1337
; %bb.1332:                             ;   in Loop: Header=BB331_1065 Depth=1
	v_and_b32_e32 v10, 0x7f, v26
	v_mov_b32_e32 v0, 0x7f800001
	s_mov_b32 s23, exec_lo
	v_cmpx_ne_u32_e32 0x7f, v10
	s_cbranch_execz .LBB331_1336
; %bb.1333:                             ;   in Loop: Header=BB331_1065 Depth=1
	v_lshrrev_b32_e32 v0, 3, v10
	v_cmp_gt_u32_e64 s5, 8, v10
	v_mov_b32_e32 v10, v26
	v_mov_b32_e32 v11, v27
	s_and_saveexec_b32 s24, s5
; %bb.1334:                             ;   in Loop: Header=BB331_1065 Depth=1
	v_and_b32_e32 v0, 7, v26
	v_ffbh_u32_e32 v0, v0
	v_min_u32_e32 v0, 32, v0
	v_subrev_nc_u32_e32 v10, 28, v0
	v_sub_nc_u32_e32 v0, 29, v0
	v_lshlrev_b64 v[10:11], v10, v[26:27]
; %bb.1335:                             ;   in Loop: Header=BB331_1065 Depth=1
	s_or_b32 exec_lo, exec_lo, s24
	v_lshlrev_b32_e32 v10, 20, v10
	v_lshlrev_b32_e32 v11, 24, v26
	v_lshl_add_u32 v0, v0, 23, 0x3c000000
	v_and_b32_e32 v10, 0x700000, v10
	v_and_b32_e32 v11, 0x80000000, v11
	v_or3_b32 v0, v10, v11, v0
.LBB331_1336:                           ;   in Loop: Header=BB331_1065 Depth=1
	s_or_b32 exec_lo, exec_lo, s23
.LBB331_1337:                           ;   in Loop: Header=BB331_1065 Depth=1
	s_or_b32 exec_lo, exec_lo, s22
.LBB331_1338:                           ;   in Loop: Header=BB331_1065 Depth=1
	s_or_b32 exec_lo, exec_lo, s21
	v_cmp_ne_u16_sdwa s5, v26, v12 src0_sel:BYTE_1 src1_sel:DWORD
	s_and_saveexec_b32 s21, s5
	s_cbranch_execz .LBB331_1346
; %bb.1339:                             ;   in Loop: Header=BB331_1065 Depth=1
	v_cmp_ne_u16_sdwa s5, v26, v67 src0_sel:BYTE_1 src1_sel:DWORD
	v_bfrev_b32_e32 v1, 1
	s_and_saveexec_b32 s22, s5
	s_cbranch_execz .LBB331_1345
; %bb.1340:                             ;   in Loop: Header=BB331_1065 Depth=1
	v_mov_b32_e32 v1, 0xffff
	s_mov_b32 s23, exec_lo
	v_and_b32_sdwa v11, v1, v26 dst_sel:DWORD dst_unused:UNUSED_PAD src0_sel:DWORD src1_sel:BYTE_1
	v_mov_b32_e32 v1, 0x7f800001
	v_and_b32_e32 v10, 0x7f, v11
	v_cmpx_ne_u32_e32 0x7f, v10
	s_cbranch_execz .LBB331_1344
; %bb.1341:                             ;   in Loop: Header=BB331_1065 Depth=1
	v_and_b32_e32 v11, 7, v11
	v_mov_b32_e32 v29, v12
	v_lshrrev_b32_e32 v1, 3, v10
	s_mov_b32 s24, exec_lo
	v_mov_b32_e32 v28, v11
	v_cmpx_gt_u32_e32 8, v10
; %bb.1342:                             ;   in Loop: Header=BB331_1065 Depth=1
	v_ffbh_u32_e32 v1, v11
	v_min_u32_e32 v1, 32, v1
	v_subrev_nc_u32_e32 v10, 28, v1
	v_sub_nc_u32_e32 v1, 29, v1
	v_lshlrev_b64 v[10:11], v10, v[11:12]
	v_and_b32_e32 v28, 7, v10
; %bb.1343:                             ;   in Loop: Header=BB331_1065 Depth=1
	s_or_b32 exec_lo, exec_lo, s24
	v_lshlrev_b32_e32 v10, 16, v26
	v_lshlrev_b32_e32 v11, 20, v28
	v_lshl_add_u32 v1, v1, 23, 0x3c000000
	v_and_b32_e32 v10, 0x80000000, v10
	v_or3_b32 v1, v11, v10, v1
.LBB331_1344:                           ;   in Loop: Header=BB331_1065 Depth=1
	s_or_b32 exec_lo, exec_lo, s23
.LBB331_1345:                           ;   in Loop: Header=BB331_1065 Depth=1
	s_or_b32 exec_lo, exec_lo, s22
.LBB331_1346:                           ;   in Loop: Header=BB331_1065 Depth=1
	s_or_b32 exec_lo, exec_lo, s21
	v_and_b32_sdwa v11, v26, v69 dst_sel:DWORD dst_unused:UNUSED_PAD src0_sel:WORD_1 src1_sel:DWORD
	v_mov_b32_e32 v13, 0
	v_mov_b32_e32 v10, 0
	s_mov_b32 s21, exec_lo
	v_cmpx_ne_u16_e32 0, v11
	s_cbranch_execz .LBB331_1354
; %bb.1347:                             ;   in Loop: Header=BB331_1065 Depth=1
	v_bfrev_b32_e32 v10, 1
	s_mov_b32 s22, exec_lo
	v_cmpx_ne_u16_e32 0x80, v11
	s_cbranch_execz .LBB331_1353
; %bb.1348:                             ;   in Loop: Header=BB331_1065 Depth=1
	v_bfe_u32 v14, v26, 16, 7
	v_mov_b32_e32 v10, 0x7f800001
	s_mov_b32 s23, exec_lo
	v_cmpx_ne_u32_e32 0x7f, v14
	s_cbranch_execz .LBB331_1352
; %bb.1349:                             ;   in Loop: Header=BB331_1065 Depth=1
	v_mov_b32_e32 v10, 7
	s_mov_b32 s24, exec_lo
	v_and_b32_sdwa v11, v26, v10 dst_sel:DWORD dst_unused:UNUSED_PAD src0_sel:WORD_1 src1_sel:DWORD
	v_mov_b32_e32 v29, v12
	v_lshrrev_b32_e32 v10, 3, v14
	v_mov_b32_e32 v28, v11
	v_cmpx_gt_u32_e32 8, v14
; %bb.1350:                             ;   in Loop: Header=BB331_1065 Depth=1
	v_ffbh_u32_e32 v10, v11
	v_min_u32_e32 v10, 32, v10
	v_subrev_nc_u32_e32 v14, 28, v10
	v_sub_nc_u32_e32 v10, 29, v10
	v_lshlrev_b64 v[14:15], v14, v[11:12]
	v_and_b32_e32 v28, 7, v14
; %bb.1351:                             ;   in Loop: Header=BB331_1065 Depth=1
	s_or_b32 exec_lo, exec_lo, s24
	v_mov_b32_e32 v11, 24
	v_lshlrev_b32_e32 v14, 20, v28
	v_lshl_add_u32 v10, v10, 23, 0x3c000000
	v_lshlrev_b32_sdwa v11, v11, v26 dst_sel:DWORD dst_unused:UNUSED_PAD src0_sel:DWORD src1_sel:WORD_1
	v_and_b32_e32 v11, 0x80000000, v11
	v_or3_b32 v10, v14, v11, v10
.LBB331_1352:                           ;   in Loop: Header=BB331_1065 Depth=1
	s_or_b32 exec_lo, exec_lo, s23
.LBB331_1353:                           ;   in Loop: Header=BB331_1065 Depth=1
	s_or_b32 exec_lo, exec_lo, s22
.LBB331_1354:                           ;   in Loop: Header=BB331_1065 Depth=1
	s_or_b32 exec_lo, exec_lo, s21
	s_mov_b32 s21, exec_lo
	v_cmpx_lt_u32_e32 0xffffff, v26
	s_cbranch_execz .LBB331_1362
; %bb.1355:                             ;   in Loop: Header=BB331_1065 Depth=1
	v_cmp_ne_u32_sdwa s5, v26, v67 src0_sel:BYTE_3 src1_sel:DWORD
	v_bfrev_b32_e32 v13, 1
	s_and_saveexec_b32 s22, s5
	s_cbranch_execz .LBB331_1361
; %bb.1356:                             ;   in Loop: Header=BB331_1065 Depth=1
	v_bfe_u32 v14, v26, 24, 7
	v_mov_b32_e32 v13, 0x7f800001
	s_mov_b32 s23, exec_lo
	v_cmpx_ne_u32_e32 0x7f, v14
	s_cbranch_execz .LBB331_1360
; %bb.1357:                             ;   in Loop: Header=BB331_1065 Depth=1
	v_mov_b32_e32 v11, 7
	v_lshrrev_b32_e32 v13, 3, v14
	s_mov_b32 s24, exec_lo
	v_and_b32_sdwa v11, v26, v11 dst_sel:DWORD dst_unused:UNUSED_PAD src0_sel:BYTE_3 src1_sel:DWORD
	v_mov_b32_e32 v29, v12
	v_mov_b32_e32 v28, v11
	v_cmpx_gt_u32_e32 8, v14
; %bb.1358:                             ;   in Loop: Header=BB331_1065 Depth=1
	v_ffbh_u32_e32 v13, v11
	v_min_u32_e32 v13, 32, v13
	v_subrev_nc_u32_e32 v14, 28, v13
	v_sub_nc_u32_e32 v13, 29, v13
	v_lshlrev_b64 v[14:15], v14, v[11:12]
	v_and_b32_e32 v28, 7, v14
; %bb.1359:                             ;   in Loop: Header=BB331_1065 Depth=1
	s_or_b32 exec_lo, exec_lo, s24
	v_mov_b32_e32 v11, 24
	v_lshlrev_b32_e32 v14, 20, v28
	v_lshl_add_u32 v13, v13, 23, 0x3c000000
	v_lshlrev_b32_sdwa v11, v11, v26 dst_sel:DWORD dst_unused:UNUSED_PAD src0_sel:DWORD src1_sel:BYTE_3
	v_and_b32_e32 v11, 0x80000000, v11
	v_or3_b32 v13, v14, v11, v13
.LBB331_1360:                           ;   in Loop: Header=BB331_1065 Depth=1
	s_or_b32 exec_lo, exec_lo, s23
.LBB331_1361:                           ;   in Loop: Header=BB331_1065 Depth=1
	s_or_b32 exec_lo, exec_lo, s22
.LBB331_1362:                           ;   in Loop: Header=BB331_1065 Depth=1
	s_or_b32 exec_lo, exec_lo, s21
	v_mov_b32_e32 v11, v27
	v_cmp_ne_u16_sdwa s5, v27, v12 src0_sel:BYTE_0 src1_sel:DWORD
	v_mov_b32_e32 v15, 0
	v_mov_b32_e32 v14, 0
	s_and_saveexec_b32 s21, s5
	s_cbranch_execz .LBB331_1370
; %bb.1363:                             ;   in Loop: Header=BB331_1065 Depth=1
	v_cmp_ne_u16_sdwa s5, v27, v67 src0_sel:BYTE_0 src1_sel:DWORD
	v_bfrev_b32_e32 v14, 1
	s_and_saveexec_b32 s22, s5
	s_cbranch_execz .LBB331_1369
; %bb.1364:                             ;   in Loop: Header=BB331_1065 Depth=1
	v_and_b32_e32 v16, 0x7f, v27
	v_mov_b32_e32 v14, 0x7f800001
	s_mov_b32 s23, exec_lo
	v_cmpx_ne_u32_e32 0x7f, v16
	s_cbranch_execz .LBB331_1368
; %bb.1365:                             ;   in Loop: Header=BB331_1065 Depth=1
	v_mov_b32_e32 v29, v12
	v_lshrrev_b32_e32 v14, 3, v16
	v_mov_b32_e32 v28, v11
	s_mov_b32 s24, exec_lo
	v_cmpx_gt_u32_e32 8, v16
; %bb.1366:                             ;   in Loop: Header=BB331_1065 Depth=1
	v_and_b32_e32 v14, 7, v27
	v_ffbh_u32_e32 v14, v14
	v_min_u32_e32 v14, 32, v14
	v_subrev_nc_u32_e32 v16, 28, v14
	v_sub_nc_u32_e32 v14, 29, v14
	v_lshlrev_b64 v[28:29], v16, v[11:12]
; %bb.1367:                             ;   in Loop: Header=BB331_1065 Depth=1
	s_or_b32 exec_lo, exec_lo, s24
	v_lshlrev_b32_e32 v16, 20, v28
	v_lshlrev_b32_e32 v17, 24, v11
	v_lshl_add_u32 v14, v14, 23, 0x3c000000
	v_and_b32_e32 v16, 0x700000, v16
	v_and_b32_e32 v17, 0x80000000, v17
	v_or3_b32 v14, v16, v17, v14
.LBB331_1368:                           ;   in Loop: Header=BB331_1065 Depth=1
	s_or_b32 exec_lo, exec_lo, s23
.LBB331_1369:                           ;   in Loop: Header=BB331_1065 Depth=1
	s_or_b32 exec_lo, exec_lo, s22
.LBB331_1370:                           ;   in Loop: Header=BB331_1065 Depth=1
	s_or_b32 exec_lo, exec_lo, s21
	v_cmp_ne_u16_sdwa s5, v11, v12 src0_sel:BYTE_1 src1_sel:DWORD
	s_and_saveexec_b32 s21, s5
	s_cbranch_execz .LBB331_1378
; %bb.1371:                             ;   in Loop: Header=BB331_1065 Depth=1
	v_cmp_ne_u16_sdwa s5, v11, v67 src0_sel:BYTE_1 src1_sel:DWORD
	v_bfrev_b32_e32 v15, 1
	s_and_saveexec_b32 s22, s5
	s_cbranch_execz .LBB331_1377
; %bb.1372:                             ;   in Loop: Header=BB331_1065 Depth=1
	v_mov_b32_e32 v15, 0xffff
	s_mov_b32 s23, exec_lo
	v_and_b32_sdwa v17, v15, v11 dst_sel:DWORD dst_unused:UNUSED_PAD src0_sel:DWORD src1_sel:BYTE_1
	v_mov_b32_e32 v15, 0x7f800001
	v_and_b32_e32 v16, 0x7f, v17
	v_cmpx_ne_u32_e32 0x7f, v16
	s_cbranch_execz .LBB331_1376
; %bb.1373:                             ;   in Loop: Header=BB331_1065 Depth=1
	v_and_b32_e32 v28, 7, v17
	v_mov_b32_e32 v29, v12
	v_lshrrev_b32_e32 v15, 3, v16
	s_mov_b32 s24, exec_lo
	v_cmpx_gt_u32_e32 8, v16
; %bb.1374:                             ;   in Loop: Header=BB331_1065 Depth=1
	v_ffbh_u32_e32 v15, v28
	v_min_u32_e32 v15, 32, v15
	v_subrev_nc_u32_e32 v16, 28, v15
	v_sub_nc_u32_e32 v15, 29, v15
	v_lshlrev_b64 v[16:17], v16, v[28:29]
	v_and_b32_e32 v28, 7, v16
; %bb.1375:                             ;   in Loop: Header=BB331_1065 Depth=1
	s_or_b32 exec_lo, exec_lo, s24
	v_lshlrev_b32_e32 v11, 16, v11
	v_lshlrev_b32_e32 v16, 20, v28
	v_lshl_add_u32 v15, v15, 23, 0x3c000000
	v_and_b32_e32 v11, 0x80000000, v11
	v_or3_b32 v15, v16, v11, v15
.LBB331_1376:                           ;   in Loop: Header=BB331_1065 Depth=1
	s_or_b32 exec_lo, exec_lo, s23
.LBB331_1377:                           ;   in Loop: Header=BB331_1065 Depth=1
	s_or_b32 exec_lo, exec_lo, s22
.LBB331_1378:                           ;   in Loop: Header=BB331_1065 Depth=1
	s_or_b32 exec_lo, exec_lo, s21
	v_and_b32_sdwa v11, v27, v69 dst_sel:DWORD dst_unused:UNUSED_PAD src0_sel:WORD_1 src1_sel:DWORD
	v_mov_b32_e32 v16, 0
	v_mov_b32_e32 v17, 0
	s_mov_b32 s21, exec_lo
	v_cmpx_ne_u16_e32 0, v11
	s_cbranch_execz .LBB331_1386
; %bb.1379:                             ;   in Loop: Header=BB331_1065 Depth=1
	v_bfrev_b32_e32 v17, 1
	s_mov_b32 s22, exec_lo
	v_cmpx_ne_u16_e32 0x80, v11
	s_cbranch_execz .LBB331_1385
; %bb.1380:                             ;   in Loop: Header=BB331_1065 Depth=1
	v_bfe_u32 v18, v27, 16, 7
	v_mov_b32_e32 v17, 0x7f800001
	s_mov_b32 s23, exec_lo
	v_cmpx_ne_u32_e32 0x7f, v18
	s_cbranch_execz .LBB331_1384
; %bb.1381:                             ;   in Loop: Header=BB331_1065 Depth=1
	v_mov_b32_e32 v11, 7
	v_lshrrev_b32_e32 v17, 3, v18
	s_mov_b32 s24, exec_lo
	v_and_b32_sdwa v11, v27, v11 dst_sel:DWORD dst_unused:UNUSED_PAD src0_sel:WORD_1 src1_sel:DWORD
	v_mov_b32_e32 v29, v12
	v_mov_b32_e32 v28, v11
	v_cmpx_gt_u32_e32 8, v18
; %bb.1382:                             ;   in Loop: Header=BB331_1065 Depth=1
	v_ffbh_u32_e32 v17, v11
	v_min_u32_e32 v17, 32, v17
	v_subrev_nc_u32_e32 v18, 28, v17
	v_sub_nc_u32_e32 v17, 29, v17
	v_lshlrev_b64 v[21:22], v18, v[11:12]
	v_and_b32_e32 v28, 7, v21
; %bb.1383:                             ;   in Loop: Header=BB331_1065 Depth=1
	s_or_b32 exec_lo, exec_lo, s24
	v_mov_b32_e32 v11, 24
	v_lshlrev_b32_e32 v18, 20, v28
	v_lshl_add_u32 v17, v17, 23, 0x3c000000
	v_lshlrev_b32_sdwa v11, v11, v27 dst_sel:DWORD dst_unused:UNUSED_PAD src0_sel:DWORD src1_sel:WORD_1
	v_and_b32_e32 v11, 0x80000000, v11
	v_or3_b32 v17, v18, v11, v17
.LBB331_1384:                           ;   in Loop: Header=BB331_1065 Depth=1
	s_or_b32 exec_lo, exec_lo, s23
.LBB331_1385:                           ;   in Loop: Header=BB331_1065 Depth=1
	s_or_b32 exec_lo, exec_lo, s22
.LBB331_1386:                           ;   in Loop: Header=BB331_1065 Depth=1
	s_or_b32 exec_lo, exec_lo, s21
	s_mov_b32 s21, exec_lo
	v_cmpx_lt_u64_e64 s[6:7], v[26:27]
	s_cbranch_execz .LBB331_1394
; %bb.1387:                             ;   in Loop: Header=BB331_1065 Depth=1
	v_cmp_ne_u32_sdwa s5, v27, v67 src0_sel:BYTE_3 src1_sel:DWORD
	v_bfrev_b32_e32 v16, 1
	s_and_saveexec_b32 s22, s5
	s_cbranch_execz .LBB331_1393
; %bb.1388:                             ;   in Loop: Header=BB331_1065 Depth=1
	v_bfe_u32 v18, v27, 24, 7
	v_mov_b32_e32 v16, 0x7f800001
	s_mov_b32 s23, exec_lo
	v_cmpx_ne_u32_e32 0x7f, v18
	s_cbranch_execz .LBB331_1392
; %bb.1389:                             ;   in Loop: Header=BB331_1065 Depth=1
	v_mov_b32_e32 v11, 7
	v_lshrrev_b32_e32 v16, 3, v18
	s_mov_b32 s24, exec_lo
	v_and_b32_sdwa v11, v27, v11 dst_sel:DWORD dst_unused:UNUSED_PAD src0_sel:BYTE_3 src1_sel:DWORD
	v_mov_b32_e32 v29, v12
	v_mov_b32_e32 v28, v11
	v_cmpx_gt_u32_e32 8, v18
; %bb.1390:                             ;   in Loop: Header=BB331_1065 Depth=1
	v_ffbh_u32_e32 v16, v11
	v_min_u32_e32 v16, 32, v16
	v_subrev_nc_u32_e32 v18, 28, v16
	v_sub_nc_u32_e32 v16, 29, v16
	v_lshlrev_b64 v[21:22], v18, v[11:12]
	v_and_b32_e32 v28, 7, v21
; %bb.1391:                             ;   in Loop: Header=BB331_1065 Depth=1
	s_or_b32 exec_lo, exec_lo, s24
	v_mov_b32_e32 v11, 24
	v_lshlrev_b32_e32 v18, 20, v28
	v_lshl_add_u32 v16, v16, 23, 0x3c000000
	v_lshlrev_b32_sdwa v11, v11, v27 dst_sel:DWORD dst_unused:UNUSED_PAD src0_sel:DWORD src1_sel:BYTE_3
	v_and_b32_e32 v11, 0x80000000, v11
	v_or3_b32 v16, v18, v11, v16
.LBB331_1392:                           ;   in Loop: Header=BB331_1065 Depth=1
	s_or_b32 exec_lo, exec_lo, s23
.LBB331_1393:                           ;   in Loop: Header=BB331_1065 Depth=1
	s_or_b32 exec_lo, exec_lo, s22
.LBB331_1394:                           ;   in Loop: Header=BB331_1065 Depth=1
	s_or_b32 exec_lo, exec_lo, s21
	v_mul_f32_e32 v11, v72, v15
	v_mul_f32_e32 v14, v72, v14
	;; [unrolled: 1-line block ×5, first 2 shown]
	v_bfe_u32 v15, v11, 16, 1
	v_or_b32_e32 v18, 0x400000, v11
	v_bfe_u32 v21, v14, 16, 1
	v_cmp_u_f32_e64 s5, v11, v11
	v_or_b32_e32 v22, 0x400000, v14
	v_add3_u32 v15, v15, v11, 0x7fff
	v_bfe_u32 v23, v13, 16, 1
	v_add3_u32 v21, v21, v14, 0x7fff
	v_or_b32_e32 v26, 0x400000, v13
	v_bfe_u32 v27, v10, 16, 1
	v_cndmask_b32_e64 v11, v15, v18, s5
	v_cmp_u_f32_e64 s5, v14, v14
	v_add3_u32 v23, v23, v13, 0x7fff
	v_or_b32_e32 v15, 0x400000, v10
	v_mul_f32_e32 v0, v72, v0
	v_lshrrev_b32_e32 v11, 16, v11
	v_cndmask_b32_e64 v14, v21, v22, s5
	v_cmp_u_f32_e64 s5, v13, v13
	buffer_store_dword v11, off, s[0:3], s32 offset:348 ; 4-byte Folded Spill
	v_add3_u32 v11, v27, v10, 0x7fff
	v_cndmask_b32_e64 v13, v23, v26, s5
	v_lshrrev_b32_e32 v14, 16, v14
	v_cmp_u_f32_e64 s5, v10, v10
	v_lshrrev_b32_e32 v95, 16, v13
	v_bfe_u32 v13, v1, 16, 1
	buffer_store_dword v14, off, s[0:3], s32 offset:344 ; 4-byte Folded Spill
	v_cndmask_b32_e64 v10, v11, v15, s5
	v_mul_f32_e32 v11, v72, v17
	v_or_b32_e32 v14, 0x400000, v1
	v_add3_u32 v13, v13, v1, 0x7fff
	v_mul_f32_e32 v15, v72, v16
	v_bfe_u32 v16, v0, 16, 1
	v_cmp_u_f32_e64 s5, v1, v1
	v_bfe_u32 v17, v11, 16, 1
	v_or_b32_e32 v18, 0x400000, v11
	v_or_b32_e32 v21, 0x400000, v15
	v_lshrrev_b32_e32 v104, 16, v10
	v_cndmask_b32_e64 v1, v13, v14, s5
	v_add3_u32 v14, v16, v0, 0x7fff
	v_or_b32_e32 v16, 0x400000, v0
	v_cmp_u_f32_e64 s5, v0, v0
	v_bfe_u32 v13, v15, 16, 1
	v_add3_u32 v17, v17, v11, 0x7fff
	v_lshrrev_b32_e32 v106, 16, v1
	v_cndmask_b32_e64 v0, v14, v16, s5
	v_cmp_u_f32_e64 s5, v11, v11
	v_add3_u32 v13, v13, v15, 0x7fff
	v_lshrrev_b32_e32 v105, 16, v0
	v_cndmask_b32_e64 v11, v17, v18, s5
	v_cmp_u_f32_e64 s5, v15, v15
	v_lshrrev_b32_e32 v0, 16, v11
	v_cndmask_b32_e64 v13, v13, v21, s5
	buffer_store_dword v0, off, s[0:3], s32 offset:352 ; 4-byte Folded Spill
	v_lshrrev_b32_e32 v94, 16, v13
	s_and_saveexec_b32 s21, vcc_lo
	s_cbranch_execz .LBB331_1396
; %bb.1395:                             ;   in Loop: Header=BB331_1065 Depth=1
	buffer_load_dword v0, off, s[0:3], s32 offset:344 ; 4-byte Folded Reload
	v_cmp_lt_i32_e64 s5, v75, v82
	v_cndmask_b32_e64 v105, 0, v105, s5
	v_cmp_lt_i32_e64 s5, v90, v82
	v_cndmask_b32_e64 v106, 0, v106, s5
	;; [unrolled: 2-line block ×4, first 2 shown]
	v_cmp_lt_i32_e64 s5, v79, v82
	s_waitcnt vmcnt(0)
	v_cndmask_b32_e64 v0, 0, v0, s5
	v_cmp_lt_i32_e64 s5, v78, v82
	buffer_store_dword v0, off, s[0:3], s32 offset:344 ; 4-byte Folded Spill
	buffer_load_dword v0, off, s[0:3], s32 offset:348 ; 4-byte Folded Reload
	s_waitcnt vmcnt(0)
	v_cndmask_b32_e64 v0, 0, v0, s5
	v_cmp_lt_i32_e64 s5, v77, v82
	buffer_store_dword v0, off, s[0:3], s32 offset:348 ; 4-byte Folded Spill
	buffer_load_dword v0, off, s[0:3], s32 offset:352 ; 4-byte Folded Reload
	s_waitcnt vmcnt(0)
	v_cndmask_b32_e64 v0, 0, v0, s5
	v_cmp_lt_i32_e64 s5, v76, v82
	buffer_store_dword v0, off, s[0:3], s32 offset:352 ; 4-byte Folded Spill
	v_cndmask_b32_e64 v94, 0, v94, s5
.LBB331_1396:                           ;   in Loop: Header=BB331_1065 Depth=1
	s_or_b32 exec_lo, exec_lo, s21
	flat_load_dwordx2 v[26:27], v[24:25] offset:1280
	v_mov_b32_e32 v1, 0
	v_mov_b32_e32 v0, 0
	s_waitcnt vmcnt(0) lgkmcnt(0)
	v_cmp_ne_u16_sdwa s5, v26, v12 src0_sel:BYTE_0 src1_sel:DWORD
	s_and_saveexec_b32 s21, s5
	s_cbranch_execz .LBB331_1404
; %bb.1397:                             ;   in Loop: Header=BB331_1065 Depth=1
	v_cmp_ne_u16_sdwa s5, v26, v67 src0_sel:BYTE_0 src1_sel:DWORD
	v_bfrev_b32_e32 v0, 1
	s_and_saveexec_b32 s22, s5
	s_cbranch_execz .LBB331_1403
; %bb.1398:                             ;   in Loop: Header=BB331_1065 Depth=1
	v_and_b32_e32 v10, 0x7f, v26
	v_mov_b32_e32 v0, 0x7f800001
	s_mov_b32 s23, exec_lo
	v_cmpx_ne_u32_e32 0x7f, v10
	s_cbranch_execz .LBB331_1402
; %bb.1399:                             ;   in Loop: Header=BB331_1065 Depth=1
	v_lshrrev_b32_e32 v0, 3, v10
	v_cmp_gt_u32_e64 s5, 8, v10
	v_mov_b32_e32 v10, v26
	v_mov_b32_e32 v11, v27
	s_and_saveexec_b32 s24, s5
; %bb.1400:                             ;   in Loop: Header=BB331_1065 Depth=1
	v_and_b32_e32 v0, 7, v26
	v_ffbh_u32_e32 v0, v0
	v_min_u32_e32 v0, 32, v0
	v_subrev_nc_u32_e32 v10, 28, v0
	v_sub_nc_u32_e32 v0, 29, v0
	v_lshlrev_b64 v[10:11], v10, v[26:27]
; %bb.1401:                             ;   in Loop: Header=BB331_1065 Depth=1
	s_or_b32 exec_lo, exec_lo, s24
	v_lshlrev_b32_e32 v10, 20, v10
	v_lshlrev_b32_e32 v11, 24, v26
	v_lshl_add_u32 v0, v0, 23, 0x3c000000
	v_and_b32_e32 v10, 0x700000, v10
	v_and_b32_e32 v11, 0x80000000, v11
	v_or3_b32 v0, v10, v11, v0
.LBB331_1402:                           ;   in Loop: Header=BB331_1065 Depth=1
	s_or_b32 exec_lo, exec_lo, s23
.LBB331_1403:                           ;   in Loop: Header=BB331_1065 Depth=1
	s_or_b32 exec_lo, exec_lo, s22
.LBB331_1404:                           ;   in Loop: Header=BB331_1065 Depth=1
	s_or_b32 exec_lo, exec_lo, s21
	v_cmp_ne_u16_sdwa s5, v26, v12 src0_sel:BYTE_1 src1_sel:DWORD
	s_and_saveexec_b32 s21, s5
	s_cbranch_execz .LBB331_1412
; %bb.1405:                             ;   in Loop: Header=BB331_1065 Depth=1
	v_cmp_ne_u16_sdwa s5, v26, v67 src0_sel:BYTE_1 src1_sel:DWORD
	v_bfrev_b32_e32 v1, 1
	s_and_saveexec_b32 s22, s5
	s_cbranch_execz .LBB331_1411
; %bb.1406:                             ;   in Loop: Header=BB331_1065 Depth=1
	v_mov_b32_e32 v1, 0xffff
	s_mov_b32 s23, exec_lo
	v_and_b32_sdwa v11, v1, v26 dst_sel:DWORD dst_unused:UNUSED_PAD src0_sel:DWORD src1_sel:BYTE_1
	v_mov_b32_e32 v1, 0x7f800001
	v_and_b32_e32 v10, 0x7f, v11
	v_cmpx_ne_u32_e32 0x7f, v10
	s_cbranch_execz .LBB331_1410
; %bb.1407:                             ;   in Loop: Header=BB331_1065 Depth=1
	v_and_b32_e32 v11, 7, v11
	v_mov_b32_e32 v29, v12
	v_lshrrev_b32_e32 v1, 3, v10
	s_mov_b32 s24, exec_lo
	v_mov_b32_e32 v28, v11
	v_cmpx_gt_u32_e32 8, v10
; %bb.1408:                             ;   in Loop: Header=BB331_1065 Depth=1
	v_ffbh_u32_e32 v1, v11
	v_min_u32_e32 v1, 32, v1
	v_subrev_nc_u32_e32 v10, 28, v1
	v_sub_nc_u32_e32 v1, 29, v1
	v_lshlrev_b64 v[10:11], v10, v[11:12]
	v_and_b32_e32 v28, 7, v10
; %bb.1409:                             ;   in Loop: Header=BB331_1065 Depth=1
	s_or_b32 exec_lo, exec_lo, s24
	v_lshlrev_b32_e32 v10, 16, v26
	v_lshlrev_b32_e32 v11, 20, v28
	v_lshl_add_u32 v1, v1, 23, 0x3c000000
	v_and_b32_e32 v10, 0x80000000, v10
	v_or3_b32 v1, v11, v10, v1
.LBB331_1410:                           ;   in Loop: Header=BB331_1065 Depth=1
	s_or_b32 exec_lo, exec_lo, s23
.LBB331_1411:                           ;   in Loop: Header=BB331_1065 Depth=1
	s_or_b32 exec_lo, exec_lo, s22
.LBB331_1412:                           ;   in Loop: Header=BB331_1065 Depth=1
	s_or_b32 exec_lo, exec_lo, s21
	v_and_b32_sdwa v11, v26, v69 dst_sel:DWORD dst_unused:UNUSED_PAD src0_sel:WORD_1 src1_sel:DWORD
	v_mov_b32_e32 v13, 0
	v_mov_b32_e32 v10, 0
	s_mov_b32 s21, exec_lo
	v_cmpx_ne_u16_e32 0, v11
	s_cbranch_execz .LBB331_1420
; %bb.1413:                             ;   in Loop: Header=BB331_1065 Depth=1
	v_bfrev_b32_e32 v10, 1
	s_mov_b32 s22, exec_lo
	v_cmpx_ne_u16_e32 0x80, v11
	s_cbranch_execz .LBB331_1419
; %bb.1414:                             ;   in Loop: Header=BB331_1065 Depth=1
	v_bfe_u32 v14, v26, 16, 7
	v_mov_b32_e32 v10, 0x7f800001
	s_mov_b32 s23, exec_lo
	v_cmpx_ne_u32_e32 0x7f, v14
	s_cbranch_execz .LBB331_1418
; %bb.1415:                             ;   in Loop: Header=BB331_1065 Depth=1
	v_mov_b32_e32 v10, 7
	s_mov_b32 s24, exec_lo
	v_and_b32_sdwa v11, v26, v10 dst_sel:DWORD dst_unused:UNUSED_PAD src0_sel:WORD_1 src1_sel:DWORD
	v_mov_b32_e32 v29, v12
	v_lshrrev_b32_e32 v10, 3, v14
	v_mov_b32_e32 v28, v11
	v_cmpx_gt_u32_e32 8, v14
; %bb.1416:                             ;   in Loop: Header=BB331_1065 Depth=1
	v_ffbh_u32_e32 v10, v11
	v_min_u32_e32 v10, 32, v10
	v_subrev_nc_u32_e32 v14, 28, v10
	v_sub_nc_u32_e32 v10, 29, v10
	v_lshlrev_b64 v[14:15], v14, v[11:12]
	v_and_b32_e32 v28, 7, v14
; %bb.1417:                             ;   in Loop: Header=BB331_1065 Depth=1
	s_or_b32 exec_lo, exec_lo, s24
	v_mov_b32_e32 v11, 24
	v_lshlrev_b32_e32 v14, 20, v28
	v_lshl_add_u32 v10, v10, 23, 0x3c000000
	v_lshlrev_b32_sdwa v11, v11, v26 dst_sel:DWORD dst_unused:UNUSED_PAD src0_sel:DWORD src1_sel:WORD_1
	v_and_b32_e32 v11, 0x80000000, v11
	v_or3_b32 v10, v14, v11, v10
.LBB331_1418:                           ;   in Loop: Header=BB331_1065 Depth=1
	s_or_b32 exec_lo, exec_lo, s23
.LBB331_1419:                           ;   in Loop: Header=BB331_1065 Depth=1
	s_or_b32 exec_lo, exec_lo, s22
.LBB331_1420:                           ;   in Loop: Header=BB331_1065 Depth=1
	s_or_b32 exec_lo, exec_lo, s21
	s_mov_b32 s21, exec_lo
	v_cmpx_lt_u32_e32 0xffffff, v26
	s_cbranch_execz .LBB331_1428
; %bb.1421:                             ;   in Loop: Header=BB331_1065 Depth=1
	v_cmp_ne_u32_sdwa s5, v26, v67 src0_sel:BYTE_3 src1_sel:DWORD
	v_bfrev_b32_e32 v13, 1
	s_and_saveexec_b32 s22, s5
	s_cbranch_execz .LBB331_1427
; %bb.1422:                             ;   in Loop: Header=BB331_1065 Depth=1
	v_bfe_u32 v14, v26, 24, 7
	v_mov_b32_e32 v13, 0x7f800001
	s_mov_b32 s23, exec_lo
	v_cmpx_ne_u32_e32 0x7f, v14
	s_cbranch_execz .LBB331_1426
; %bb.1423:                             ;   in Loop: Header=BB331_1065 Depth=1
	v_mov_b32_e32 v11, 7
	v_lshrrev_b32_e32 v13, 3, v14
	s_mov_b32 s24, exec_lo
	v_and_b32_sdwa v11, v26, v11 dst_sel:DWORD dst_unused:UNUSED_PAD src0_sel:BYTE_3 src1_sel:DWORD
	v_mov_b32_e32 v29, v12
	v_mov_b32_e32 v28, v11
	v_cmpx_gt_u32_e32 8, v14
; %bb.1424:                             ;   in Loop: Header=BB331_1065 Depth=1
	v_ffbh_u32_e32 v13, v11
	v_min_u32_e32 v13, 32, v13
	v_subrev_nc_u32_e32 v14, 28, v13
	v_sub_nc_u32_e32 v13, 29, v13
	v_lshlrev_b64 v[14:15], v14, v[11:12]
	v_and_b32_e32 v28, 7, v14
; %bb.1425:                             ;   in Loop: Header=BB331_1065 Depth=1
	s_or_b32 exec_lo, exec_lo, s24
	v_mov_b32_e32 v11, 24
	v_lshlrev_b32_e32 v14, 20, v28
	v_lshl_add_u32 v13, v13, 23, 0x3c000000
	v_lshlrev_b32_sdwa v11, v11, v26 dst_sel:DWORD dst_unused:UNUSED_PAD src0_sel:DWORD src1_sel:BYTE_3
	v_and_b32_e32 v11, 0x80000000, v11
	v_or3_b32 v13, v14, v11, v13
.LBB331_1426:                           ;   in Loop: Header=BB331_1065 Depth=1
	s_or_b32 exec_lo, exec_lo, s23
.LBB331_1427:                           ;   in Loop: Header=BB331_1065 Depth=1
	s_or_b32 exec_lo, exec_lo, s22
.LBB331_1428:                           ;   in Loop: Header=BB331_1065 Depth=1
	s_or_b32 exec_lo, exec_lo, s21
	v_mov_b32_e32 v11, v27
	v_cmp_ne_u16_sdwa s5, v27, v12 src0_sel:BYTE_0 src1_sel:DWORD
	v_mov_b32_e32 v15, 0
	v_mov_b32_e32 v14, 0
	s_and_saveexec_b32 s21, s5
	s_cbranch_execz .LBB331_1436
; %bb.1429:                             ;   in Loop: Header=BB331_1065 Depth=1
	v_cmp_ne_u16_sdwa s5, v27, v67 src0_sel:BYTE_0 src1_sel:DWORD
	v_bfrev_b32_e32 v14, 1
	s_and_saveexec_b32 s22, s5
	s_cbranch_execz .LBB331_1435
; %bb.1430:                             ;   in Loop: Header=BB331_1065 Depth=1
	v_and_b32_e32 v16, 0x7f, v27
	v_mov_b32_e32 v14, 0x7f800001
	s_mov_b32 s23, exec_lo
	v_cmpx_ne_u32_e32 0x7f, v16
	s_cbranch_execz .LBB331_1434
; %bb.1431:                             ;   in Loop: Header=BB331_1065 Depth=1
	v_mov_b32_e32 v29, v12
	v_lshrrev_b32_e32 v14, 3, v16
	v_mov_b32_e32 v28, v11
	s_mov_b32 s24, exec_lo
	v_cmpx_gt_u32_e32 8, v16
; %bb.1432:                             ;   in Loop: Header=BB331_1065 Depth=1
	v_and_b32_e32 v14, 7, v27
	v_ffbh_u32_e32 v14, v14
	v_min_u32_e32 v14, 32, v14
	v_subrev_nc_u32_e32 v16, 28, v14
	v_sub_nc_u32_e32 v14, 29, v14
	v_lshlrev_b64 v[28:29], v16, v[11:12]
; %bb.1433:                             ;   in Loop: Header=BB331_1065 Depth=1
	s_or_b32 exec_lo, exec_lo, s24
	v_lshlrev_b32_e32 v16, 20, v28
	v_lshlrev_b32_e32 v17, 24, v11
	v_lshl_add_u32 v14, v14, 23, 0x3c000000
	v_and_b32_e32 v16, 0x700000, v16
	v_and_b32_e32 v17, 0x80000000, v17
	v_or3_b32 v14, v16, v17, v14
.LBB331_1434:                           ;   in Loop: Header=BB331_1065 Depth=1
	s_or_b32 exec_lo, exec_lo, s23
.LBB331_1435:                           ;   in Loop: Header=BB331_1065 Depth=1
	s_or_b32 exec_lo, exec_lo, s22
.LBB331_1436:                           ;   in Loop: Header=BB331_1065 Depth=1
	s_or_b32 exec_lo, exec_lo, s21
	v_cmp_ne_u16_sdwa s5, v11, v12 src0_sel:BYTE_1 src1_sel:DWORD
	s_and_saveexec_b32 s21, s5
	s_cbranch_execz .LBB331_1444
; %bb.1437:                             ;   in Loop: Header=BB331_1065 Depth=1
	v_cmp_ne_u16_sdwa s5, v11, v67 src0_sel:BYTE_1 src1_sel:DWORD
	v_bfrev_b32_e32 v15, 1
	s_and_saveexec_b32 s22, s5
	s_cbranch_execz .LBB331_1443
; %bb.1438:                             ;   in Loop: Header=BB331_1065 Depth=1
	v_mov_b32_e32 v15, 0xffff
	s_mov_b32 s23, exec_lo
	v_and_b32_sdwa v17, v15, v11 dst_sel:DWORD dst_unused:UNUSED_PAD src0_sel:DWORD src1_sel:BYTE_1
	v_mov_b32_e32 v15, 0x7f800001
	v_and_b32_e32 v16, 0x7f, v17
	v_cmpx_ne_u32_e32 0x7f, v16
	s_cbranch_execz .LBB331_1442
; %bb.1439:                             ;   in Loop: Header=BB331_1065 Depth=1
	v_and_b32_e32 v28, 7, v17
	v_mov_b32_e32 v29, v12
	v_lshrrev_b32_e32 v15, 3, v16
	s_mov_b32 s24, exec_lo
	v_cmpx_gt_u32_e32 8, v16
; %bb.1440:                             ;   in Loop: Header=BB331_1065 Depth=1
	v_ffbh_u32_e32 v15, v28
	v_min_u32_e32 v15, 32, v15
	v_subrev_nc_u32_e32 v16, 28, v15
	v_sub_nc_u32_e32 v15, 29, v15
	v_lshlrev_b64 v[16:17], v16, v[28:29]
	v_and_b32_e32 v28, 7, v16
; %bb.1441:                             ;   in Loop: Header=BB331_1065 Depth=1
	s_or_b32 exec_lo, exec_lo, s24
	v_lshlrev_b32_e32 v11, 16, v11
	v_lshlrev_b32_e32 v16, 20, v28
	v_lshl_add_u32 v15, v15, 23, 0x3c000000
	v_and_b32_e32 v11, 0x80000000, v11
	v_or3_b32 v15, v16, v11, v15
.LBB331_1442:                           ;   in Loop: Header=BB331_1065 Depth=1
	s_or_b32 exec_lo, exec_lo, s23
.LBB331_1443:                           ;   in Loop: Header=BB331_1065 Depth=1
	s_or_b32 exec_lo, exec_lo, s22
.LBB331_1444:                           ;   in Loop: Header=BB331_1065 Depth=1
	s_or_b32 exec_lo, exec_lo, s21
	v_and_b32_sdwa v11, v27, v69 dst_sel:DWORD dst_unused:UNUSED_PAD src0_sel:WORD_1 src1_sel:DWORD
	v_mov_b32_e32 v16, 0
	v_mov_b32_e32 v17, 0
	s_mov_b32 s21, exec_lo
	v_cmpx_ne_u16_e32 0, v11
	s_cbranch_execz .LBB331_1452
; %bb.1445:                             ;   in Loop: Header=BB331_1065 Depth=1
	v_bfrev_b32_e32 v17, 1
	s_mov_b32 s22, exec_lo
	v_cmpx_ne_u16_e32 0x80, v11
	s_cbranch_execz .LBB331_1451
; %bb.1446:                             ;   in Loop: Header=BB331_1065 Depth=1
	v_bfe_u32 v18, v27, 16, 7
	v_mov_b32_e32 v17, 0x7f800001
	s_mov_b32 s23, exec_lo
	v_cmpx_ne_u32_e32 0x7f, v18
	s_cbranch_execz .LBB331_1450
; %bb.1447:                             ;   in Loop: Header=BB331_1065 Depth=1
	v_mov_b32_e32 v11, 7
	v_lshrrev_b32_e32 v17, 3, v18
	s_mov_b32 s24, exec_lo
	v_and_b32_sdwa v11, v27, v11 dst_sel:DWORD dst_unused:UNUSED_PAD src0_sel:WORD_1 src1_sel:DWORD
	v_mov_b32_e32 v29, v12
	v_mov_b32_e32 v28, v11
	v_cmpx_gt_u32_e32 8, v18
; %bb.1448:                             ;   in Loop: Header=BB331_1065 Depth=1
	v_ffbh_u32_e32 v17, v11
	v_min_u32_e32 v17, 32, v17
	v_subrev_nc_u32_e32 v18, 28, v17
	v_sub_nc_u32_e32 v17, 29, v17
	v_lshlrev_b64 v[21:22], v18, v[11:12]
	v_and_b32_e32 v28, 7, v21
; %bb.1449:                             ;   in Loop: Header=BB331_1065 Depth=1
	s_or_b32 exec_lo, exec_lo, s24
	v_mov_b32_e32 v11, 24
	v_lshlrev_b32_e32 v18, 20, v28
	v_lshl_add_u32 v17, v17, 23, 0x3c000000
	v_lshlrev_b32_sdwa v11, v11, v27 dst_sel:DWORD dst_unused:UNUSED_PAD src0_sel:DWORD src1_sel:WORD_1
	v_and_b32_e32 v11, 0x80000000, v11
	v_or3_b32 v17, v18, v11, v17
.LBB331_1450:                           ;   in Loop: Header=BB331_1065 Depth=1
	s_or_b32 exec_lo, exec_lo, s23
.LBB331_1451:                           ;   in Loop: Header=BB331_1065 Depth=1
	s_or_b32 exec_lo, exec_lo, s22
.LBB331_1452:                           ;   in Loop: Header=BB331_1065 Depth=1
	s_or_b32 exec_lo, exec_lo, s21
	s_mov_b32 s21, exec_lo
	v_cmpx_lt_u64_e64 s[6:7], v[26:27]
	s_cbranch_execz .LBB331_1460
; %bb.1453:                             ;   in Loop: Header=BB331_1065 Depth=1
	v_cmp_ne_u32_sdwa s5, v27, v67 src0_sel:BYTE_3 src1_sel:DWORD
	v_bfrev_b32_e32 v16, 1
	s_and_saveexec_b32 s22, s5
	s_cbranch_execz .LBB331_1459
; %bb.1454:                             ;   in Loop: Header=BB331_1065 Depth=1
	v_bfe_u32 v18, v27, 24, 7
	v_mov_b32_e32 v16, 0x7f800001
	s_mov_b32 s23, exec_lo
	v_cmpx_ne_u32_e32 0x7f, v18
	s_cbranch_execz .LBB331_1458
; %bb.1455:                             ;   in Loop: Header=BB331_1065 Depth=1
	v_mov_b32_e32 v11, 7
	v_lshrrev_b32_e32 v16, 3, v18
	s_mov_b32 s24, exec_lo
	v_and_b32_sdwa v11, v27, v11 dst_sel:DWORD dst_unused:UNUSED_PAD src0_sel:BYTE_3 src1_sel:DWORD
	v_mov_b32_e32 v29, v12
	v_mov_b32_e32 v28, v11
	v_cmpx_gt_u32_e32 8, v18
; %bb.1456:                             ;   in Loop: Header=BB331_1065 Depth=1
	v_ffbh_u32_e32 v16, v11
	v_min_u32_e32 v16, 32, v16
	v_subrev_nc_u32_e32 v18, 28, v16
	v_sub_nc_u32_e32 v16, 29, v16
	v_lshlrev_b64 v[21:22], v18, v[11:12]
	v_and_b32_e32 v28, 7, v21
; %bb.1457:                             ;   in Loop: Header=BB331_1065 Depth=1
	s_or_b32 exec_lo, exec_lo, s24
	v_mov_b32_e32 v11, 24
	v_lshlrev_b32_e32 v18, 20, v28
	v_lshl_add_u32 v16, v16, 23, 0x3c000000
	v_lshlrev_b32_sdwa v11, v11, v27 dst_sel:DWORD dst_unused:UNUSED_PAD src0_sel:DWORD src1_sel:BYTE_3
	v_and_b32_e32 v11, 0x80000000, v11
	v_or3_b32 v16, v18, v11, v16
.LBB331_1458:                           ;   in Loop: Header=BB331_1065 Depth=1
	s_or_b32 exec_lo, exec_lo, s23
.LBB331_1459:                           ;   in Loop: Header=BB331_1065 Depth=1
	s_or_b32 exec_lo, exec_lo, s22
.LBB331_1460:                           ;   in Loop: Header=BB331_1065 Depth=1
	s_or_b32 exec_lo, exec_lo, s21
	v_mul_f32_e32 v11, v72, v15
	v_mul_f32_e32 v14, v72, v14
	;; [unrolled: 1-line block ×5, first 2 shown]
	v_bfe_u32 v15, v11, 16, 1
	v_or_b32_e32 v18, 0x400000, v11
	v_bfe_u32 v21, v14, 16, 1
	v_cmp_u_f32_e64 s5, v11, v11
	v_or_b32_e32 v22, 0x400000, v14
	v_add3_u32 v15, v15, v11, 0x7fff
	v_bfe_u32 v23, v13, 16, 1
	v_add3_u32 v21, v21, v14, 0x7fff
	v_or_b32_e32 v26, 0x400000, v13
	v_bfe_u32 v27, v10, 16, 1
	v_cndmask_b32_e64 v11, v15, v18, s5
	v_cmp_u_f32_e64 s5, v14, v14
	v_add3_u32 v23, v23, v13, 0x7fff
	v_or_b32_e32 v15, 0x400000, v10
	v_mul_f32_e32 v0, v72, v0
	v_lshrrev_b32_e32 v108, 16, v11
	v_cndmask_b32_e64 v14, v21, v22, s5
	v_cmp_u_f32_e64 s5, v13, v13
	v_add3_u32 v11, v27, v10, 0x7fff
	v_lshrrev_b32_e32 v107, 16, v14
	v_cndmask_b32_e64 v13, v23, v26, s5
	v_cmp_u_f32_e64 s5, v10, v10
	v_or_b32_e32 v14, 0x400000, v1
	v_lshrrev_b32_e32 v111, 16, v13
	v_bfe_u32 v13, v1, 16, 1
	v_cndmask_b32_e64 v10, v11, v15, s5
	v_mul_f32_e32 v11, v72, v17
	v_mul_f32_e32 v15, v72, v16
	v_bfe_u32 v16, v0, 16, 1
	v_add3_u32 v13, v13, v1, 0x7fff
	v_cmp_u_f32_e64 s5, v1, v1
	v_bfe_u32 v17, v11, 16, 1
	v_or_b32_e32 v18, 0x400000, v11
	v_or_b32_e32 v21, 0x400000, v15
	v_lshrrev_b32_e32 v120, 16, v10
	v_cndmask_b32_e64 v1, v13, v14, s5
	v_add3_u32 v14, v16, v0, 0x7fff
	v_or_b32_e32 v16, 0x400000, v0
	v_cmp_u_f32_e64 s5, v0, v0
	v_bfe_u32 v13, v15, 16, 1
	v_add3_u32 v17, v17, v11, 0x7fff
	v_lshrrev_b32_e32 v122, 16, v1
	v_cndmask_b32_e64 v0, v14, v16, s5
	v_cmp_u_f32_e64 s5, v11, v11
	v_add3_u32 v13, v13, v15, 0x7fff
	v_lshrrev_b32_e32 v121, 16, v0
	v_cndmask_b32_e64 v11, v17, v18, s5
	v_cmp_u_f32_e64 s5, v15, v15
	v_lshrrev_b32_e32 v109, 16, v11
	v_cndmask_b32_e64 v13, v13, v21, s5
	v_lshrrev_b32_e32 v110, 16, v13
	s_and_saveexec_b32 s21, vcc_lo
	s_cbranch_execz .LBB331_1462
; %bb.1461:                             ;   in Loop: Header=BB331_1065 Depth=1
	v_cmp_lt_i32_e64 s5, v75, v82
	v_cndmask_b32_e64 v121, 0, v121, s5
	v_cmp_lt_i32_e64 s5, v90, v82
	v_cndmask_b32_e64 v122, 0, v122, s5
	;; [unrolled: 2-line block ×8, first 2 shown]
.LBB331_1462:                           ;   in Loop: Header=BB331_1065 Depth=1
	s_or_b32 exec_lo, exec_lo, s21
	flat_load_dwordx2 v[26:27], v[24:25] offset:1536
	v_mov_b32_e32 v1, 0
	v_mov_b32_e32 v0, 0
	s_waitcnt vmcnt(0) lgkmcnt(0)
	v_cmp_ne_u16_sdwa s5, v26, v12 src0_sel:BYTE_0 src1_sel:DWORD
	s_and_saveexec_b32 s21, s5
	s_cbranch_execz .LBB331_1470
; %bb.1463:                             ;   in Loop: Header=BB331_1065 Depth=1
	v_cmp_ne_u16_sdwa s5, v26, v67 src0_sel:BYTE_0 src1_sel:DWORD
	v_bfrev_b32_e32 v0, 1
	s_and_saveexec_b32 s22, s5
	s_cbranch_execz .LBB331_1469
; %bb.1464:                             ;   in Loop: Header=BB331_1065 Depth=1
	v_and_b32_e32 v10, 0x7f, v26
	v_mov_b32_e32 v0, 0x7f800001
	s_mov_b32 s23, exec_lo
	v_cmpx_ne_u32_e32 0x7f, v10
	s_cbranch_execz .LBB331_1468
; %bb.1465:                             ;   in Loop: Header=BB331_1065 Depth=1
	v_lshrrev_b32_e32 v0, 3, v10
	v_cmp_gt_u32_e64 s5, 8, v10
	v_mov_b32_e32 v10, v26
	v_mov_b32_e32 v11, v27
	s_and_saveexec_b32 s24, s5
; %bb.1466:                             ;   in Loop: Header=BB331_1065 Depth=1
	v_and_b32_e32 v0, 7, v26
	v_ffbh_u32_e32 v0, v0
	v_min_u32_e32 v0, 32, v0
	v_subrev_nc_u32_e32 v10, 28, v0
	v_sub_nc_u32_e32 v0, 29, v0
	v_lshlrev_b64 v[10:11], v10, v[26:27]
; %bb.1467:                             ;   in Loop: Header=BB331_1065 Depth=1
	s_or_b32 exec_lo, exec_lo, s24
	v_lshlrev_b32_e32 v10, 20, v10
	v_lshlrev_b32_e32 v11, 24, v26
	v_lshl_add_u32 v0, v0, 23, 0x3c000000
	v_and_b32_e32 v10, 0x700000, v10
	v_and_b32_e32 v11, 0x80000000, v11
	v_or3_b32 v0, v10, v11, v0
.LBB331_1468:                           ;   in Loop: Header=BB331_1065 Depth=1
	s_or_b32 exec_lo, exec_lo, s23
.LBB331_1469:                           ;   in Loop: Header=BB331_1065 Depth=1
	s_or_b32 exec_lo, exec_lo, s22
.LBB331_1470:                           ;   in Loop: Header=BB331_1065 Depth=1
	s_or_b32 exec_lo, exec_lo, s21
	v_cmp_ne_u16_sdwa s5, v26, v12 src0_sel:BYTE_1 src1_sel:DWORD
	s_and_saveexec_b32 s21, s5
	s_cbranch_execz .LBB331_1478
; %bb.1471:                             ;   in Loop: Header=BB331_1065 Depth=1
	v_cmp_ne_u16_sdwa s5, v26, v67 src0_sel:BYTE_1 src1_sel:DWORD
	v_bfrev_b32_e32 v1, 1
	s_and_saveexec_b32 s22, s5
	s_cbranch_execz .LBB331_1477
; %bb.1472:                             ;   in Loop: Header=BB331_1065 Depth=1
	v_mov_b32_e32 v1, 0xffff
	s_mov_b32 s23, exec_lo
	v_and_b32_sdwa v11, v1, v26 dst_sel:DWORD dst_unused:UNUSED_PAD src0_sel:DWORD src1_sel:BYTE_1
	v_mov_b32_e32 v1, 0x7f800001
	v_and_b32_e32 v10, 0x7f, v11
	v_cmpx_ne_u32_e32 0x7f, v10
	s_cbranch_execz .LBB331_1476
; %bb.1473:                             ;   in Loop: Header=BB331_1065 Depth=1
	v_and_b32_e32 v11, 7, v11
	v_mov_b32_e32 v29, v12
	v_lshrrev_b32_e32 v1, 3, v10
	s_mov_b32 s24, exec_lo
	v_mov_b32_e32 v28, v11
	v_cmpx_gt_u32_e32 8, v10
; %bb.1474:                             ;   in Loop: Header=BB331_1065 Depth=1
	v_ffbh_u32_e32 v1, v11
	v_min_u32_e32 v1, 32, v1
	v_subrev_nc_u32_e32 v10, 28, v1
	v_sub_nc_u32_e32 v1, 29, v1
	v_lshlrev_b64 v[10:11], v10, v[11:12]
	v_and_b32_e32 v28, 7, v10
; %bb.1475:                             ;   in Loop: Header=BB331_1065 Depth=1
	s_or_b32 exec_lo, exec_lo, s24
	v_lshlrev_b32_e32 v10, 16, v26
	v_lshlrev_b32_e32 v11, 20, v28
	v_lshl_add_u32 v1, v1, 23, 0x3c000000
	v_and_b32_e32 v10, 0x80000000, v10
	v_or3_b32 v1, v11, v10, v1
.LBB331_1476:                           ;   in Loop: Header=BB331_1065 Depth=1
	s_or_b32 exec_lo, exec_lo, s23
.LBB331_1477:                           ;   in Loop: Header=BB331_1065 Depth=1
	s_or_b32 exec_lo, exec_lo, s22
.LBB331_1478:                           ;   in Loop: Header=BB331_1065 Depth=1
	s_or_b32 exec_lo, exec_lo, s21
	v_and_b32_sdwa v11, v26, v69 dst_sel:DWORD dst_unused:UNUSED_PAD src0_sel:WORD_1 src1_sel:DWORD
	v_mov_b32_e32 v13, 0
	v_mov_b32_e32 v10, 0
	s_mov_b32 s21, exec_lo
	v_cmpx_ne_u16_e32 0, v11
	s_cbranch_execz .LBB331_1486
; %bb.1479:                             ;   in Loop: Header=BB331_1065 Depth=1
	v_bfrev_b32_e32 v10, 1
	s_mov_b32 s22, exec_lo
	v_cmpx_ne_u16_e32 0x80, v11
	s_cbranch_execz .LBB331_1485
; %bb.1480:                             ;   in Loop: Header=BB331_1065 Depth=1
	v_bfe_u32 v14, v26, 16, 7
	v_mov_b32_e32 v10, 0x7f800001
	s_mov_b32 s23, exec_lo
	v_cmpx_ne_u32_e32 0x7f, v14
	s_cbranch_execz .LBB331_1484
; %bb.1481:                             ;   in Loop: Header=BB331_1065 Depth=1
	v_mov_b32_e32 v10, 7
	s_mov_b32 s24, exec_lo
	v_and_b32_sdwa v11, v26, v10 dst_sel:DWORD dst_unused:UNUSED_PAD src0_sel:WORD_1 src1_sel:DWORD
	v_mov_b32_e32 v29, v12
	v_lshrrev_b32_e32 v10, 3, v14
	v_mov_b32_e32 v28, v11
	v_cmpx_gt_u32_e32 8, v14
; %bb.1482:                             ;   in Loop: Header=BB331_1065 Depth=1
	v_ffbh_u32_e32 v10, v11
	v_min_u32_e32 v10, 32, v10
	v_subrev_nc_u32_e32 v14, 28, v10
	v_sub_nc_u32_e32 v10, 29, v10
	v_lshlrev_b64 v[14:15], v14, v[11:12]
	v_and_b32_e32 v28, 7, v14
; %bb.1483:                             ;   in Loop: Header=BB331_1065 Depth=1
	s_or_b32 exec_lo, exec_lo, s24
	v_mov_b32_e32 v11, 24
	v_lshlrev_b32_e32 v14, 20, v28
	v_lshl_add_u32 v10, v10, 23, 0x3c000000
	v_lshlrev_b32_sdwa v11, v11, v26 dst_sel:DWORD dst_unused:UNUSED_PAD src0_sel:DWORD src1_sel:WORD_1
	v_and_b32_e32 v11, 0x80000000, v11
	v_or3_b32 v10, v14, v11, v10
.LBB331_1484:                           ;   in Loop: Header=BB331_1065 Depth=1
	s_or_b32 exec_lo, exec_lo, s23
.LBB331_1485:                           ;   in Loop: Header=BB331_1065 Depth=1
	s_or_b32 exec_lo, exec_lo, s22
.LBB331_1486:                           ;   in Loop: Header=BB331_1065 Depth=1
	s_or_b32 exec_lo, exec_lo, s21
	s_mov_b32 s21, exec_lo
	v_cmpx_lt_u32_e32 0xffffff, v26
	s_cbranch_execz .LBB331_1494
; %bb.1487:                             ;   in Loop: Header=BB331_1065 Depth=1
	v_cmp_ne_u32_sdwa s5, v26, v67 src0_sel:BYTE_3 src1_sel:DWORD
	v_bfrev_b32_e32 v13, 1
	s_and_saveexec_b32 s22, s5
	s_cbranch_execz .LBB331_1493
; %bb.1488:                             ;   in Loop: Header=BB331_1065 Depth=1
	v_bfe_u32 v14, v26, 24, 7
	v_mov_b32_e32 v13, 0x7f800001
	s_mov_b32 s23, exec_lo
	v_cmpx_ne_u32_e32 0x7f, v14
	s_cbranch_execz .LBB331_1492
; %bb.1489:                             ;   in Loop: Header=BB331_1065 Depth=1
	v_mov_b32_e32 v11, 7
	v_lshrrev_b32_e32 v13, 3, v14
	s_mov_b32 s24, exec_lo
	v_and_b32_sdwa v11, v26, v11 dst_sel:DWORD dst_unused:UNUSED_PAD src0_sel:BYTE_3 src1_sel:DWORD
	v_mov_b32_e32 v29, v12
	v_mov_b32_e32 v28, v11
	v_cmpx_gt_u32_e32 8, v14
; %bb.1490:                             ;   in Loop: Header=BB331_1065 Depth=1
	v_ffbh_u32_e32 v13, v11
	v_min_u32_e32 v13, 32, v13
	v_subrev_nc_u32_e32 v14, 28, v13
	v_sub_nc_u32_e32 v13, 29, v13
	v_lshlrev_b64 v[14:15], v14, v[11:12]
	v_and_b32_e32 v28, 7, v14
; %bb.1491:                             ;   in Loop: Header=BB331_1065 Depth=1
	s_or_b32 exec_lo, exec_lo, s24
	v_mov_b32_e32 v11, 24
	v_lshlrev_b32_e32 v14, 20, v28
	v_lshl_add_u32 v13, v13, 23, 0x3c000000
	v_lshlrev_b32_sdwa v11, v11, v26 dst_sel:DWORD dst_unused:UNUSED_PAD src0_sel:DWORD src1_sel:BYTE_3
	v_and_b32_e32 v11, 0x80000000, v11
	v_or3_b32 v13, v14, v11, v13
.LBB331_1492:                           ;   in Loop: Header=BB331_1065 Depth=1
	s_or_b32 exec_lo, exec_lo, s23
.LBB331_1493:                           ;   in Loop: Header=BB331_1065 Depth=1
	s_or_b32 exec_lo, exec_lo, s22
.LBB331_1494:                           ;   in Loop: Header=BB331_1065 Depth=1
	s_or_b32 exec_lo, exec_lo, s21
	v_mov_b32_e32 v11, v27
	v_cmp_ne_u16_sdwa s5, v27, v12 src0_sel:BYTE_0 src1_sel:DWORD
	v_mov_b32_e32 v17, 0
	v_mov_b32_e32 v16, 0
	s_and_saveexec_b32 s21, s5
	s_cbranch_execz .LBB331_1502
; %bb.1495:                             ;   in Loop: Header=BB331_1065 Depth=1
	v_cmp_ne_u16_sdwa s5, v27, v67 src0_sel:BYTE_0 src1_sel:DWORD
	v_bfrev_b32_e32 v16, 1
	s_and_saveexec_b32 s22, s5
	s_cbranch_execz .LBB331_1501
; %bb.1496:                             ;   in Loop: Header=BB331_1065 Depth=1
	v_and_b32_e32 v15, 0x7f, v27
	v_mov_b32_e32 v16, 0x7f800001
	s_mov_b32 s23, exec_lo
	v_cmpx_ne_u32_e32 0x7f, v15
	s_cbranch_execz .LBB331_1500
; %bb.1497:                             ;   in Loop: Header=BB331_1065 Depth=1
	v_mov_b32_e32 v29, v12
	v_lshrrev_b32_e32 v14, 3, v15
	v_mov_b32_e32 v28, v11
	s_mov_b32 s24, exec_lo
	v_cmpx_gt_u32_e32 8, v15
; %bb.1498:                             ;   in Loop: Header=BB331_1065 Depth=1
	v_and_b32_e32 v14, 7, v27
	v_ffbh_u32_e32 v14, v14
	v_min_u32_e32 v14, 32, v14
	v_subrev_nc_u32_e32 v15, 28, v14
	v_sub_nc_u32_e32 v14, 29, v14
	v_lshlrev_b64 v[28:29], v15, v[11:12]
; %bb.1499:                             ;   in Loop: Header=BB331_1065 Depth=1
	s_or_b32 exec_lo, exec_lo, s24
	v_lshlrev_b32_e32 v15, 20, v28
	v_lshlrev_b32_e32 v16, 24, v11
	v_lshl_add_u32 v14, v14, 23, 0x3c000000
	v_and_b32_e32 v15, 0x700000, v15
	v_and_b32_e32 v16, 0x80000000, v16
	v_or3_b32 v16, v15, v16, v14
.LBB331_1500:                           ;   in Loop: Header=BB331_1065 Depth=1
	s_or_b32 exec_lo, exec_lo, s23
.LBB331_1501:                           ;   in Loop: Header=BB331_1065 Depth=1
	s_or_b32 exec_lo, exec_lo, s22
.LBB331_1502:                           ;   in Loop: Header=BB331_1065 Depth=1
	s_or_b32 exec_lo, exec_lo, s21
	v_cmp_ne_u16_sdwa s5, v11, v12 src0_sel:BYTE_1 src1_sel:DWORD
	s_and_saveexec_b32 s21, s5
	s_cbranch_execz .LBB331_1510
; %bb.1503:                             ;   in Loop: Header=BB331_1065 Depth=1
	v_cmp_ne_u16_sdwa s5, v11, v67 src0_sel:BYTE_1 src1_sel:DWORD
	v_bfrev_b32_e32 v17, 1
	s_and_saveexec_b32 s22, s5
	s_cbranch_execz .LBB331_1509
; %bb.1504:                             ;   in Loop: Header=BB331_1065 Depth=1
	v_mov_b32_e32 v14, 0xffff
	v_mov_b32_e32 v17, 0x7f800001
	s_mov_b32 s23, exec_lo
	v_and_b32_sdwa v14, v14, v11 dst_sel:DWORD dst_unused:UNUSED_PAD src0_sel:DWORD src1_sel:BYTE_1
	v_and_b32_e32 v15, 0x7f, v14
	v_cmpx_ne_u32_e32 0x7f, v15
	s_cbranch_execz .LBB331_1508
; %bb.1505:                             ;   in Loop: Header=BB331_1065 Depth=1
	v_and_b32_e32 v28, 7, v14
	v_mov_b32_e32 v29, v12
	v_lshrrev_b32_e32 v14, 3, v15
	s_mov_b32 s24, exec_lo
	v_cmpx_gt_u32_e32 8, v15
; %bb.1506:                             ;   in Loop: Header=BB331_1065 Depth=1
	v_ffbh_u32_e32 v14, v28
	v_min_u32_e32 v14, 32, v14
	v_subrev_nc_u32_e32 v15, 28, v14
	v_sub_nc_u32_e32 v14, 29, v14
	v_lshlrev_b64 v[17:18], v15, v[28:29]
	v_and_b32_e32 v28, 7, v17
; %bb.1507:                             ;   in Loop: Header=BB331_1065 Depth=1
	s_or_b32 exec_lo, exec_lo, s24
	v_lshlrev_b32_e32 v11, 16, v11
	v_lshlrev_b32_e32 v15, 20, v28
	v_lshl_add_u32 v14, v14, 23, 0x3c000000
	v_and_b32_e32 v11, 0x80000000, v11
	v_or3_b32 v17, v15, v11, v14
.LBB331_1508:                           ;   in Loop: Header=BB331_1065 Depth=1
	s_or_b32 exec_lo, exec_lo, s23
.LBB331_1509:                           ;   in Loop: Header=BB331_1065 Depth=1
	s_or_b32 exec_lo, exec_lo, s22
.LBB331_1510:                           ;   in Loop: Header=BB331_1065 Depth=1
	s_or_b32 exec_lo, exec_lo, s21
	v_and_b32_sdwa v11, v27, v69 dst_sel:DWORD dst_unused:UNUSED_PAD src0_sel:WORD_1 src1_sel:DWORD
	v_mov_b32_e32 v14, 0
	v_mov_b32_e32 v15, 0
	s_mov_b32 s21, exec_lo
	v_cmpx_ne_u16_e32 0, v11
	s_cbranch_execz .LBB331_1518
; %bb.1511:                             ;   in Loop: Header=BB331_1065 Depth=1
	v_bfrev_b32_e32 v15, 1
	s_mov_b32 s22, exec_lo
	v_cmpx_ne_u16_e32 0x80, v11
	s_cbranch_execz .LBB331_1517
; %bb.1512:                             ;   in Loop: Header=BB331_1065 Depth=1
	v_bfe_u32 v18, v27, 16, 7
	v_mov_b32_e32 v15, 0x7f800001
	s_mov_b32 s23, exec_lo
	v_cmpx_ne_u32_e32 0x7f, v18
	s_cbranch_execz .LBB331_1516
; %bb.1513:                             ;   in Loop: Header=BB331_1065 Depth=1
	v_mov_b32_e32 v11, 7
	v_lshrrev_b32_e32 v15, 3, v18
	s_mov_b32 s24, exec_lo
	v_and_b32_sdwa v11, v27, v11 dst_sel:DWORD dst_unused:UNUSED_PAD src0_sel:WORD_1 src1_sel:DWORD
	v_mov_b32_e32 v29, v12
	v_mov_b32_e32 v28, v11
	v_cmpx_gt_u32_e32 8, v18
; %bb.1514:                             ;   in Loop: Header=BB331_1065 Depth=1
	v_ffbh_u32_e32 v15, v11
	v_min_u32_e32 v15, 32, v15
	v_subrev_nc_u32_e32 v18, 28, v15
	v_sub_nc_u32_e32 v15, 29, v15
	v_lshlrev_b64 v[21:22], v18, v[11:12]
	v_and_b32_e32 v28, 7, v21
; %bb.1515:                             ;   in Loop: Header=BB331_1065 Depth=1
	s_or_b32 exec_lo, exec_lo, s24
	v_mov_b32_e32 v11, 24
	v_lshlrev_b32_e32 v18, 20, v28
	v_lshl_add_u32 v15, v15, 23, 0x3c000000
	v_lshlrev_b32_sdwa v11, v11, v27 dst_sel:DWORD dst_unused:UNUSED_PAD src0_sel:DWORD src1_sel:WORD_1
	v_and_b32_e32 v11, 0x80000000, v11
	v_or3_b32 v15, v18, v11, v15
.LBB331_1516:                           ;   in Loop: Header=BB331_1065 Depth=1
	s_or_b32 exec_lo, exec_lo, s23
.LBB331_1517:                           ;   in Loop: Header=BB331_1065 Depth=1
	s_or_b32 exec_lo, exec_lo, s22
.LBB331_1518:                           ;   in Loop: Header=BB331_1065 Depth=1
	s_or_b32 exec_lo, exec_lo, s21
	s_mov_b32 s21, exec_lo
	v_cmpx_lt_u64_e64 s[6:7], v[26:27]
	s_cbranch_execz .LBB331_1526
; %bb.1519:                             ;   in Loop: Header=BB331_1065 Depth=1
	v_cmp_ne_u32_sdwa s5, v27, v67 src0_sel:BYTE_3 src1_sel:DWORD
	v_bfrev_b32_e32 v14, 1
	s_and_saveexec_b32 s22, s5
	s_cbranch_execz .LBB331_1525
; %bb.1520:                             ;   in Loop: Header=BB331_1065 Depth=1
	v_bfe_u32 v18, v27, 24, 7
	v_mov_b32_e32 v14, 0x7f800001
	s_mov_b32 s23, exec_lo
	v_cmpx_ne_u32_e32 0x7f, v18
	s_cbranch_execz .LBB331_1524
; %bb.1521:                             ;   in Loop: Header=BB331_1065 Depth=1
	v_mov_b32_e32 v11, 7
	v_lshrrev_b32_e32 v14, 3, v18
	s_mov_b32 s24, exec_lo
	v_and_b32_sdwa v11, v27, v11 dst_sel:DWORD dst_unused:UNUSED_PAD src0_sel:BYTE_3 src1_sel:DWORD
	v_mov_b32_e32 v29, v12
	v_mov_b32_e32 v28, v11
	v_cmpx_gt_u32_e32 8, v18
; %bb.1522:                             ;   in Loop: Header=BB331_1065 Depth=1
	v_ffbh_u32_e32 v14, v11
	v_min_u32_e32 v14, 32, v14
	v_subrev_nc_u32_e32 v18, 28, v14
	v_sub_nc_u32_e32 v14, 29, v14
	v_lshlrev_b64 v[21:22], v18, v[11:12]
	v_and_b32_e32 v28, 7, v21
; %bb.1523:                             ;   in Loop: Header=BB331_1065 Depth=1
	s_or_b32 exec_lo, exec_lo, s24
	v_mov_b32_e32 v11, 24
	v_lshlrev_b32_e32 v18, 20, v28
	v_lshl_add_u32 v14, v14, 23, 0x3c000000
	v_lshlrev_b32_sdwa v11, v11, v27 dst_sel:DWORD dst_unused:UNUSED_PAD src0_sel:DWORD src1_sel:BYTE_3
	v_and_b32_e32 v11, 0x80000000, v11
	v_or3_b32 v14, v18, v11, v14
.LBB331_1524:                           ;   in Loop: Header=BB331_1065 Depth=1
	s_or_b32 exec_lo, exec_lo, s23
.LBB331_1525:                           ;   in Loop: Header=BB331_1065 Depth=1
	s_or_b32 exec_lo, exec_lo, s22
.LBB331_1526:                           ;   in Loop: Header=BB331_1065 Depth=1
	s_or_b32 exec_lo, exec_lo, s21
	v_mul_f32_e32 v11, v72, v17
	v_mul_f32_e32 v10, v72, v10
	;; [unrolled: 1-line block ×4, first 2 shown]
	v_bfe_u32 v17, v11, 16, 1
	v_or_b32_e32 v18, 0x400000, v11
	v_cmp_u_f32_e64 s5, v11, v11
	v_add3_u32 v17, v17, v11, 0x7fff
	v_cndmask_b32_e64 v11, v17, v18, s5
	v_lshrrev_b32_e32 v123, 16, v11
	v_mul_f32_e32 v11, v72, v16
	v_bfe_u32 v16, v11, 16, 1
	v_or_b32_e32 v17, 0x400000, v11
	v_cmp_u_f32_e64 s5, v11, v11
	v_add3_u32 v16, v16, v11, 0x7fff
	v_cndmask_b32_e64 v11, v16, v17, s5
	v_lshrrev_b32_e32 v124, 16, v11
	v_mul_f32_e32 v11, v72, v13
	v_bfe_u32 v13, v11, 16, 1
	v_or_b32_e32 v16, 0x400000, v11
	v_cmp_u_f32_e64 s5, v11, v11
	v_add3_u32 v13, v13, v11, 0x7fff
	v_cndmask_b32_e64 v11, v13, v16, s5
	v_or_b32_e32 v13, 0x400000, v10
	v_cmp_u_f32_e64 s5, v10, v10
	v_lshrrev_b32_e32 v125, 16, v11
	v_bfe_u32 v11, v10, 16, 1
	v_add3_u32 v11, v11, v10, 0x7fff
	v_cndmask_b32_e64 v10, v11, v13, s5
	v_or_b32_e32 v11, 0x400000, v1
	v_cmp_u_f32_e64 s5, v1, v1
	v_lshrrev_b32_e32 v126, 16, v10
	v_bfe_u32 v10, v1, 16, 1
	v_add3_u32 v10, v10, v1, 0x7fff
	v_cndmask_b32_e64 v1, v10, v11, s5
	v_or_b32_e32 v10, 0x400000, v0
	v_cmp_u_f32_e64 s5, v0, v0
	v_lshrrev_b32_e32 v39, 16, v1
	v_bfe_u32 v1, v0, 16, 1
	v_add3_u32 v1, v1, v0, 0x7fff
	v_cndmask_b32_e64 v0, v1, v10, s5
	v_lshrrev_b32_e32 v1, 16, v0
	v_mul_f32_e32 v0, v72, v15
	v_bfe_u32 v10, v0, 16, 1
	v_or_b32_e32 v11, 0x400000, v0
	v_cmp_u_f32_e64 s5, v0, v0
	v_add3_u32 v10, v10, v0, 0x7fff
	v_cndmask_b32_e64 v0, v10, v11, s5
	v_lshrrev_b32_e32 v127, 16, v0
	v_mul_f32_e32 v0, v72, v14
	v_bfe_u32 v10, v0, 16, 1
	v_or_b32_e32 v11, 0x400000, v0
	v_cmp_u_f32_e64 s5, v0, v0
	v_add3_u32 v10, v10, v0, 0x7fff
	v_cndmask_b32_e64 v0, v10, v11, s5
	v_lshrrev_b32_e32 v0, 16, v0
	s_and_saveexec_b32 s21, vcc_lo
	s_cbranch_execz .LBB331_1528
; %bb.1527:                             ;   in Loop: Header=BB331_1065 Depth=1
	v_cmp_lt_i32_e64 s5, v75, v82
	v_cndmask_b32_e64 v1, 0, v1, s5
	v_cmp_lt_i32_e64 s5, v90, v82
	v_cndmask_b32_e64 v39, 0, v39, s5
	;; [unrolled: 2-line block ×8, first 2 shown]
.LBB331_1528:                           ;   in Loop: Header=BB331_1065 Depth=1
	s_or_b32 exec_lo, exec_lo, s21
	flat_load_dwordx2 v[26:27], v[24:25] offset:1792
	v_mov_b32_e32 v13, 0
	v_mov_b32_e32 v10, 0
	s_waitcnt vmcnt(0) lgkmcnt(0)
	v_cmp_ne_u16_sdwa s5, v26, v12 src0_sel:BYTE_0 src1_sel:DWORD
	s_and_saveexec_b32 s21, s5
	s_cbranch_execz .LBB331_1536
; %bb.1529:                             ;   in Loop: Header=BB331_1065 Depth=1
	v_cmp_ne_u16_sdwa s5, v26, v67 src0_sel:BYTE_0 src1_sel:DWORD
	v_bfrev_b32_e32 v10, 1
	s_and_saveexec_b32 s22, s5
	s_cbranch_execz .LBB331_1535
; %bb.1530:                             ;   in Loop: Header=BB331_1065 Depth=1
	v_and_b32_e32 v11, 0x7f, v26
	v_mov_b32_e32 v10, 0x7f800001
	s_mov_b32 s23, exec_lo
	v_cmpx_ne_u32_e32 0x7f, v11
	s_cbranch_execz .LBB331_1534
; %bb.1531:                             ;   in Loop: Header=BB331_1065 Depth=1
	v_lshrrev_b32_e32 v14, 3, v11
	v_cmp_gt_u32_e64 s5, 8, v11
	v_mov_b32_e32 v10, v26
	v_mov_b32_e32 v11, v27
	s_and_saveexec_b32 s24, s5
; %bb.1532:                             ;   in Loop: Header=BB331_1065 Depth=1
	v_and_b32_e32 v10, 7, v26
	v_ffbh_u32_e32 v10, v10
	v_min_u32_e32 v14, 32, v10
	v_subrev_nc_u32_e32 v10, 28, v14
	v_sub_nc_u32_e32 v14, 29, v14
	v_lshlrev_b64 v[10:11], v10, v[26:27]
; %bb.1533:                             ;   in Loop: Header=BB331_1065 Depth=1
	s_or_b32 exec_lo, exec_lo, s24
	v_lshlrev_b32_e32 v10, 20, v10
	v_lshlrev_b32_e32 v11, 24, v26
	v_lshl_add_u32 v14, v14, 23, 0x3c000000
	v_and_b32_e32 v10, 0x700000, v10
	v_and_b32_e32 v11, 0x80000000, v11
	v_or3_b32 v10, v10, v11, v14
.LBB331_1534:                           ;   in Loop: Header=BB331_1065 Depth=1
	s_or_b32 exec_lo, exec_lo, s23
.LBB331_1535:                           ;   in Loop: Header=BB331_1065 Depth=1
	s_or_b32 exec_lo, exec_lo, s22
.LBB331_1536:                           ;   in Loop: Header=BB331_1065 Depth=1
	s_or_b32 exec_lo, exec_lo, s21
	v_cmp_ne_u16_sdwa s5, v26, v12 src0_sel:BYTE_1 src1_sel:DWORD
	s_and_saveexec_b32 s21, s5
	s_cbranch_execz .LBB331_1544
; %bb.1537:                             ;   in Loop: Header=BB331_1065 Depth=1
	v_cmp_ne_u16_sdwa s5, v26, v67 src0_sel:BYTE_1 src1_sel:DWORD
	v_bfrev_b32_e32 v13, 1
	s_and_saveexec_b32 s22, s5
	s_cbranch_execz .LBB331_1543
; %bb.1538:                             ;   in Loop: Header=BB331_1065 Depth=1
	v_mov_b32_e32 v11, 0xffff
	v_mov_b32_e32 v13, 0x7f800001
	s_mov_b32 s23, exec_lo
	v_and_b32_sdwa v11, v11, v26 dst_sel:DWORD dst_unused:UNUSED_PAD src0_sel:DWORD src1_sel:BYTE_1
	v_and_b32_e32 v14, 0x7f, v11
	v_cmpx_ne_u32_e32 0x7f, v14
	s_cbranch_execz .LBB331_1542
; %bb.1539:                             ;   in Loop: Header=BB331_1065 Depth=1
	v_and_b32_e32 v11, 7, v11
	v_mov_b32_e32 v29, v12
	v_lshrrev_b32_e32 v13, 3, v14
	s_mov_b32 s24, exec_lo
	v_mov_b32_e32 v28, v11
	v_cmpx_gt_u32_e32 8, v14
; %bb.1540:                             ;   in Loop: Header=BB331_1065 Depth=1
	v_ffbh_u32_e32 v13, v11
	v_min_u32_e32 v13, 32, v13
	v_subrev_nc_u32_e32 v14, 28, v13
	v_sub_nc_u32_e32 v13, 29, v13
	v_lshlrev_b64 v[14:15], v14, v[11:12]
	v_and_b32_e32 v28, 7, v14
; %bb.1541:                             ;   in Loop: Header=BB331_1065 Depth=1
	s_or_b32 exec_lo, exec_lo, s24
	v_lshlrev_b32_e32 v11, 16, v26
	v_lshlrev_b32_e32 v14, 20, v28
	v_lshl_add_u32 v13, v13, 23, 0x3c000000
	v_and_b32_e32 v11, 0x80000000, v11
	v_or3_b32 v13, v14, v11, v13
.LBB331_1542:                           ;   in Loop: Header=BB331_1065 Depth=1
	s_or_b32 exec_lo, exec_lo, s23
.LBB331_1543:                           ;   in Loop: Header=BB331_1065 Depth=1
	s_or_b32 exec_lo, exec_lo, s22
.LBB331_1544:                           ;   in Loop: Header=BB331_1065 Depth=1
	s_or_b32 exec_lo, exec_lo, s21
	v_and_b32_sdwa v11, v26, v69 dst_sel:DWORD dst_unused:UNUSED_PAD src0_sel:WORD_1 src1_sel:DWORD
	v_mov_b32_e32 v15, 0
	v_mov_b32_e32 v14, 0
	s_mov_b32 s21, exec_lo
	v_cmpx_ne_u16_e32 0, v11
	s_cbranch_execz .LBB331_1552
; %bb.1545:                             ;   in Loop: Header=BB331_1065 Depth=1
	v_bfrev_b32_e32 v14, 1
	s_mov_b32 s22, exec_lo
	v_cmpx_ne_u16_e32 0x80, v11
	s_cbranch_execz .LBB331_1551
; %bb.1546:                             ;   in Loop: Header=BB331_1065 Depth=1
	v_bfe_u32 v16, v26, 16, 7
	v_mov_b32_e32 v14, 0x7f800001
	s_mov_b32 s23, exec_lo
	v_cmpx_ne_u32_e32 0x7f, v16
	s_cbranch_execz .LBB331_1550
; %bb.1547:                             ;   in Loop: Header=BB331_1065 Depth=1
	v_mov_b32_e32 v11, 7
	v_lshrrev_b32_e32 v14, 3, v16
	s_mov_b32 s24, exec_lo
	v_and_b32_sdwa v11, v26, v11 dst_sel:DWORD dst_unused:UNUSED_PAD src0_sel:WORD_1 src1_sel:DWORD
	v_mov_b32_e32 v29, v12
	v_mov_b32_e32 v28, v11
	v_cmpx_gt_u32_e32 8, v16
; %bb.1548:                             ;   in Loop: Header=BB331_1065 Depth=1
	v_ffbh_u32_e32 v14, v11
	v_min_u32_e32 v14, 32, v14
	v_subrev_nc_u32_e32 v16, 28, v14
	v_sub_nc_u32_e32 v14, 29, v14
	v_lshlrev_b64 v[16:17], v16, v[11:12]
	v_and_b32_e32 v28, 7, v16
; %bb.1549:                             ;   in Loop: Header=BB331_1065 Depth=1
	s_or_b32 exec_lo, exec_lo, s24
	v_mov_b32_e32 v11, 24
	v_lshlrev_b32_e32 v16, 20, v28
	v_lshl_add_u32 v14, v14, 23, 0x3c000000
	v_lshlrev_b32_sdwa v11, v11, v26 dst_sel:DWORD dst_unused:UNUSED_PAD src0_sel:DWORD src1_sel:WORD_1
	v_and_b32_e32 v11, 0x80000000, v11
	v_or3_b32 v14, v16, v11, v14
.LBB331_1550:                           ;   in Loop: Header=BB331_1065 Depth=1
	s_or_b32 exec_lo, exec_lo, s23
.LBB331_1551:                           ;   in Loop: Header=BB331_1065 Depth=1
	s_or_b32 exec_lo, exec_lo, s22
.LBB331_1552:                           ;   in Loop: Header=BB331_1065 Depth=1
	s_or_b32 exec_lo, exec_lo, s21
	s_mov_b32 s21, exec_lo
	v_cmpx_lt_u32_e32 0xffffff, v26
	s_cbranch_execz .LBB331_1560
; %bb.1553:                             ;   in Loop: Header=BB331_1065 Depth=1
	v_cmp_ne_u32_sdwa s5, v26, v67 src0_sel:BYTE_3 src1_sel:DWORD
	v_bfrev_b32_e32 v15, 1
	s_and_saveexec_b32 s22, s5
	s_cbranch_execz .LBB331_1559
; %bb.1554:                             ;   in Loop: Header=BB331_1065 Depth=1
	v_bfe_u32 v16, v26, 24, 7
	v_mov_b32_e32 v15, 0x7f800001
	s_mov_b32 s23, exec_lo
	v_cmpx_ne_u32_e32 0x7f, v16
	s_cbranch_execz .LBB331_1558
; %bb.1555:                             ;   in Loop: Header=BB331_1065 Depth=1
	v_mov_b32_e32 v11, 7
	v_lshrrev_b32_e32 v15, 3, v16
	s_mov_b32 s24, exec_lo
	v_and_b32_sdwa v11, v26, v11 dst_sel:DWORD dst_unused:UNUSED_PAD src0_sel:BYTE_3 src1_sel:DWORD
	v_mov_b32_e32 v29, v12
	v_mov_b32_e32 v28, v11
	v_cmpx_gt_u32_e32 8, v16
; %bb.1556:                             ;   in Loop: Header=BB331_1065 Depth=1
	v_ffbh_u32_e32 v15, v11
	v_min_u32_e32 v15, 32, v15
	v_subrev_nc_u32_e32 v16, 28, v15
	v_sub_nc_u32_e32 v15, 29, v15
	v_lshlrev_b64 v[16:17], v16, v[11:12]
	v_and_b32_e32 v28, 7, v16
; %bb.1557:                             ;   in Loop: Header=BB331_1065 Depth=1
	s_or_b32 exec_lo, exec_lo, s24
	v_mov_b32_e32 v11, 24
	v_lshlrev_b32_e32 v16, 20, v28
	v_lshl_add_u32 v15, v15, 23, 0x3c000000
	v_lshlrev_b32_sdwa v11, v11, v26 dst_sel:DWORD dst_unused:UNUSED_PAD src0_sel:DWORD src1_sel:BYTE_3
	v_and_b32_e32 v11, 0x80000000, v11
	v_or3_b32 v15, v16, v11, v15
.LBB331_1558:                           ;   in Loop: Header=BB331_1065 Depth=1
	s_or_b32 exec_lo, exec_lo, s23
.LBB331_1559:                           ;   in Loop: Header=BB331_1065 Depth=1
	s_or_b32 exec_lo, exec_lo, s22
.LBB331_1560:                           ;   in Loop: Header=BB331_1065 Depth=1
	s_or_b32 exec_lo, exec_lo, s21
	v_mov_b32_e32 v11, v27
	v_cmp_ne_u16_sdwa s5, v27, v12 src0_sel:BYTE_0 src1_sel:DWORD
	v_mov_b32_e32 v21, 0
	v_mov_b32_e32 v17, 0
	s_and_saveexec_b32 s21, s5
	s_cbranch_execz .LBB331_1568
; %bb.1561:                             ;   in Loop: Header=BB331_1065 Depth=1
	v_cmp_ne_u16_sdwa s5, v27, v67 src0_sel:BYTE_0 src1_sel:DWORD
	v_bfrev_b32_e32 v17, 1
	s_and_saveexec_b32 s22, s5
	s_cbranch_execz .LBB331_1567
; %bb.1562:                             ;   in Loop: Header=BB331_1065 Depth=1
	v_and_b32_e32 v18, 0x7f, v27
	v_mov_b32_e32 v17, 0x7f800001
	s_mov_b32 s23, exec_lo
	v_cmpx_ne_u32_e32 0x7f, v18
	s_cbranch_execz .LBB331_1566
; %bb.1563:                             ;   in Loop: Header=BB331_1065 Depth=1
	v_mov_b32_e32 v29, v12
	v_lshrrev_b32_e32 v16, 3, v18
	v_mov_b32_e32 v28, v11
	s_mov_b32 s24, exec_lo
	v_cmpx_gt_u32_e32 8, v18
; %bb.1564:                             ;   in Loop: Header=BB331_1065 Depth=1
	v_and_b32_e32 v16, 7, v27
	v_ffbh_u32_e32 v16, v16
	v_min_u32_e32 v16, 32, v16
	v_subrev_nc_u32_e32 v17, 28, v16
	v_sub_nc_u32_e32 v16, 29, v16
	v_lshlrev_b64 v[28:29], v17, v[11:12]
; %bb.1565:                             ;   in Loop: Header=BB331_1065 Depth=1
	s_or_b32 exec_lo, exec_lo, s24
	v_lshlrev_b32_e32 v17, 20, v28
	v_lshlrev_b32_e32 v18, 24, v11
	v_lshl_add_u32 v16, v16, 23, 0x3c000000
	v_and_b32_e32 v17, 0x700000, v17
	v_and_b32_e32 v18, 0x80000000, v18
	v_or3_b32 v17, v17, v18, v16
.LBB331_1566:                           ;   in Loop: Header=BB331_1065 Depth=1
	s_or_b32 exec_lo, exec_lo, s23
.LBB331_1567:                           ;   in Loop: Header=BB331_1065 Depth=1
	s_or_b32 exec_lo, exec_lo, s22
.LBB331_1568:                           ;   in Loop: Header=BB331_1065 Depth=1
	s_or_b32 exec_lo, exec_lo, s21
	v_cmp_ne_u16_sdwa s5, v11, v12 src0_sel:BYTE_1 src1_sel:DWORD
	s_and_saveexec_b32 s21, s5
	s_cbranch_execz .LBB331_1576
; %bb.1569:                             ;   in Loop: Header=BB331_1065 Depth=1
	v_cmp_ne_u16_sdwa s5, v11, v67 src0_sel:BYTE_1 src1_sel:DWORD
	v_bfrev_b32_e32 v21, 1
	s_and_saveexec_b32 s22, s5
	s_cbranch_execz .LBB331_1575
; %bb.1570:                             ;   in Loop: Header=BB331_1065 Depth=1
	v_mov_b32_e32 v16, 0xffff
	v_mov_b32_e32 v21, 0x7f800001
	s_mov_b32 s23, exec_lo
	v_and_b32_sdwa v16, v16, v11 dst_sel:DWORD dst_unused:UNUSED_PAD src0_sel:DWORD src1_sel:BYTE_1
	v_and_b32_e32 v18, 0x7f, v16
	v_cmpx_ne_u32_e32 0x7f, v18
	s_cbranch_execz .LBB331_1574
; %bb.1571:                             ;   in Loop: Header=BB331_1065 Depth=1
	v_and_b32_e32 v28, 7, v16
	v_mov_b32_e32 v29, v12
	v_lshrrev_b32_e32 v16, 3, v18
	s_mov_b32 s24, exec_lo
	v_cmpx_gt_u32_e32 8, v18
; %bb.1572:                             ;   in Loop: Header=BB331_1065 Depth=1
	v_ffbh_u32_e32 v16, v28
	v_min_u32_e32 v16, 32, v16
	v_subrev_nc_u32_e32 v18, 28, v16
	v_sub_nc_u32_e32 v16, 29, v16
	v_lshlrev_b64 v[21:22], v18, v[28:29]
	v_and_b32_e32 v28, 7, v21
; %bb.1573:                             ;   in Loop: Header=BB331_1065 Depth=1
	s_or_b32 exec_lo, exec_lo, s24
	v_lshlrev_b32_e32 v11, 16, v11
	v_lshlrev_b32_e32 v18, 20, v28
	v_lshl_add_u32 v16, v16, 23, 0x3c000000
	v_and_b32_e32 v11, 0x80000000, v11
	v_or3_b32 v21, v18, v11, v16
.LBB331_1574:                           ;   in Loop: Header=BB331_1065 Depth=1
	s_or_b32 exec_lo, exec_lo, s23
.LBB331_1575:                           ;   in Loop: Header=BB331_1065 Depth=1
	s_or_b32 exec_lo, exec_lo, s22
.LBB331_1576:                           ;   in Loop: Header=BB331_1065 Depth=1
	s_or_b32 exec_lo, exec_lo, s21
	v_and_b32_sdwa v11, v27, v69 dst_sel:DWORD dst_unused:UNUSED_PAD src0_sel:WORD_1 src1_sel:DWORD
	v_mov_b32_e32 v16, 0
	v_mov_b32_e32 v18, 0
	s_mov_b32 s21, exec_lo
	v_cmpx_ne_u16_e32 0, v11
	s_cbranch_execz .LBB331_1584
; %bb.1577:                             ;   in Loop: Header=BB331_1065 Depth=1
	v_bfrev_b32_e32 v18, 1
	s_mov_b32 s22, exec_lo
	v_cmpx_ne_u16_e32 0x80, v11
	s_cbranch_execz .LBB331_1583
; %bb.1578:                             ;   in Loop: Header=BB331_1065 Depth=1
	v_bfe_u32 v22, v27, 16, 7
	v_mov_b32_e32 v18, 0x7f800001
	s_mov_b32 s23, exec_lo
	v_cmpx_ne_u32_e32 0x7f, v22
	s_cbranch_execz .LBB331_1582
; %bb.1579:                             ;   in Loop: Header=BB331_1065 Depth=1
	v_mov_b32_e32 v11, 7
	v_lshrrev_b32_e32 v18, 3, v22
	s_mov_b32 s24, exec_lo
	v_and_b32_sdwa v11, v27, v11 dst_sel:DWORD dst_unused:UNUSED_PAD src0_sel:WORD_1 src1_sel:DWORD
	v_mov_b32_e32 v29, v12
	v_mov_b32_e32 v28, v11
	v_cmpx_gt_u32_e32 8, v22
; %bb.1580:                             ;   in Loop: Header=BB331_1065 Depth=1
	v_ffbh_u32_e32 v18, v11
	v_min_u32_e32 v18, 32, v18
	v_subrev_nc_u32_e32 v22, 28, v18
	v_sub_nc_u32_e32 v18, 29, v18
	v_lshlrev_b64 v[22:23], v22, v[11:12]
	v_and_b32_e32 v28, 7, v22
; %bb.1581:                             ;   in Loop: Header=BB331_1065 Depth=1
	s_or_b32 exec_lo, exec_lo, s24
	v_mov_b32_e32 v11, 24
	v_lshlrev_b32_e32 v22, 20, v28
	v_lshl_add_u32 v18, v18, 23, 0x3c000000
	v_lshlrev_b32_sdwa v11, v11, v27 dst_sel:DWORD dst_unused:UNUSED_PAD src0_sel:DWORD src1_sel:WORD_1
	v_and_b32_e32 v11, 0x80000000, v11
	v_or3_b32 v18, v22, v11, v18
.LBB331_1582:                           ;   in Loop: Header=BB331_1065 Depth=1
	s_or_b32 exec_lo, exec_lo, s23
.LBB331_1583:                           ;   in Loop: Header=BB331_1065 Depth=1
	s_or_b32 exec_lo, exec_lo, s22
.LBB331_1584:                           ;   in Loop: Header=BB331_1065 Depth=1
	s_or_b32 exec_lo, exec_lo, s21
	s_mov_b32 s21, exec_lo
	v_cmpx_lt_u64_e64 s[6:7], v[26:27]
	s_cbranch_execz .LBB331_1592
; %bb.1585:                             ;   in Loop: Header=BB331_1065 Depth=1
	v_cmp_ne_u32_sdwa s5, v27, v67 src0_sel:BYTE_3 src1_sel:DWORD
	v_bfrev_b32_e32 v16, 1
	s_and_saveexec_b32 s22, s5
	s_cbranch_execz .LBB331_1591
; %bb.1586:                             ;   in Loop: Header=BB331_1065 Depth=1
	v_bfe_u32 v22, v27, 24, 7
	v_mov_b32_e32 v16, 0x7f800001
	s_mov_b32 s23, exec_lo
	v_cmpx_ne_u32_e32 0x7f, v22
	s_cbranch_execz .LBB331_1590
; %bb.1587:                             ;   in Loop: Header=BB331_1065 Depth=1
	v_mov_b32_e32 v11, 7
	v_lshrrev_b32_e32 v16, 3, v22
	s_mov_b32 s24, exec_lo
	v_and_b32_sdwa v11, v27, v11 dst_sel:DWORD dst_unused:UNUSED_PAD src0_sel:BYTE_3 src1_sel:DWORD
	v_mov_b32_e32 v29, v12
	v_mov_b32_e32 v28, v11
	v_cmpx_gt_u32_e32 8, v22
; %bb.1588:                             ;   in Loop: Header=BB331_1065 Depth=1
	v_ffbh_u32_e32 v16, v11
	v_min_u32_e32 v16, 32, v16
	v_subrev_nc_u32_e32 v22, 28, v16
	v_sub_nc_u32_e32 v16, 29, v16
	v_lshlrev_b64 v[22:23], v22, v[11:12]
	v_and_b32_e32 v28, 7, v22
; %bb.1589:                             ;   in Loop: Header=BB331_1065 Depth=1
	s_or_b32 exec_lo, exec_lo, s24
	v_mov_b32_e32 v11, 24
	v_lshlrev_b32_e32 v22, 20, v28
	v_lshl_add_u32 v16, v16, 23, 0x3c000000
	v_lshlrev_b32_sdwa v11, v11, v27 dst_sel:DWORD dst_unused:UNUSED_PAD src0_sel:DWORD src1_sel:BYTE_3
	v_and_b32_e32 v11, 0x80000000, v11
	v_or3_b32 v16, v22, v11, v16
.LBB331_1590:                           ;   in Loop: Header=BB331_1065 Depth=1
	s_or_b32 exec_lo, exec_lo, s23
.LBB331_1591:                           ;   in Loop: Header=BB331_1065 Depth=1
	s_or_b32 exec_lo, exec_lo, s22
.LBB331_1592:                           ;   in Loop: Header=BB331_1065 Depth=1
	s_or_b32 exec_lo, exec_lo, s21
	v_mul_f32_e32 v11, v72, v21
	v_mul_f32_e32 v10, v72, v10
	v_bfe_u32 v21, v11, 16, 1
	v_or_b32_e32 v22, 0x400000, v11
	v_cmp_u_f32_e64 s5, v11, v11
	v_add3_u32 v21, v21, v11, 0x7fff
	v_cndmask_b32_e64 v11, v21, v22, s5
	v_lshrrev_b32_e32 v81, 16, v11
	v_mul_f32_e32 v11, v72, v17
	v_bfe_u32 v17, v11, 16, 1
	v_or_b32_e32 v21, 0x400000, v11
	v_cmp_u_f32_e64 s5, v11, v11
	v_add3_u32 v17, v17, v11, 0x7fff
	v_cndmask_b32_e64 v11, v17, v21, s5
	v_lshrrev_b32_e32 v17, 16, v11
	;; [unrolled: 7-line block ×4, first 2 shown]
	v_mul_f32_e32 v11, v72, v13
	v_bfe_u32 v13, v11, 16, 1
	v_or_b32_e32 v14, 0x400000, v11
	v_cmp_u_f32_e64 s5, v11, v11
	v_add3_u32 v13, v13, v11, 0x7fff
	v_cndmask_b32_e64 v11, v13, v14, s5
	v_or_b32_e32 v13, 0x400000, v10
	v_cmp_u_f32_e64 s5, v10, v10
	v_lshrrev_b32_e32 v22, 16, v11
	v_bfe_u32 v11, v10, 16, 1
	v_add3_u32 v11, v11, v10, 0x7fff
	v_cndmask_b32_e64 v10, v11, v13, s5
	v_lshrrev_b32_e32 v66, 16, v10
	v_mul_f32_e32 v10, v72, v18
	v_bfe_u32 v11, v10, 16, 1
	v_or_b32_e32 v13, 0x400000, v10
	v_cmp_u_f32_e64 s5, v10, v10
	v_add3_u32 v11, v11, v10, 0x7fff
	v_cndmask_b32_e64 v10, v11, v13, s5
	v_lshrrev_b32_e32 v23, 16, v10
	v_mul_f32_e32 v10, v72, v16
	v_bfe_u32 v11, v10, 16, 1
	v_or_b32_e32 v13, 0x400000, v10
	v_cmp_u_f32_e64 s5, v10, v10
	v_add3_u32 v11, v11, v10, 0x7fff
	v_cndmask_b32_e64 v10, v11, v13, s5
	v_lshrrev_b32_e32 v13, 16, v10
	s_and_saveexec_b32 s21, vcc_lo
	s_cbranch_execz .LBB331_1594
; %bb.1593:                             ;   in Loop: Header=BB331_1065 Depth=1
	v_cmp_lt_i32_e64 s5, v75, v82
	v_cndmask_b32_e64 v66, 0, v66, s5
	v_cmp_lt_i32_e64 s5, v90, v82
	v_cndmask_b32_e64 v22, 0, v22, s5
	;; [unrolled: 2-line block ×8, first 2 shown]
.LBB331_1594:                           ;   in Loop: Header=BB331_1065 Depth=1
	s_or_b32 exec_lo, exec_lo, s21
	v_add_co_u32 v24, s5, 0x800, v24
	v_add_co_ci_u32_e64 v25, null, 0, v25, s5
	v_mov_b32_e32 v21, 0
	v_mov_b32_e32 v10, 0
	flat_load_dwordx2 v[26:27], v[24:25]
	s_waitcnt vmcnt(0) lgkmcnt(0)
	v_cmp_ne_u16_sdwa s5, v26, v12 src0_sel:BYTE_0 src1_sel:DWORD
	s_and_saveexec_b32 s21, s5
	s_cbranch_execz .LBB331_1602
; %bb.1595:                             ;   in Loop: Header=BB331_1065 Depth=1
	v_cmp_ne_u16_sdwa s5, v26, v67 src0_sel:BYTE_0 src1_sel:DWORD
	v_bfrev_b32_e32 v10, 1
	s_and_saveexec_b32 s22, s5
	s_cbranch_execz .LBB331_1601
; %bb.1596:                             ;   in Loop: Header=BB331_1065 Depth=1
	v_and_b32_e32 v11, 0x7f, v26
	v_mov_b32_e32 v10, 0x7f800001
	s_mov_b32 s23, exec_lo
	v_cmpx_ne_u32_e32 0x7f, v11
	s_cbranch_execz .LBB331_1600
; %bb.1597:                             ;   in Loop: Header=BB331_1065 Depth=1
	v_lshrrev_b32_e32 v14, 3, v11
	v_cmp_gt_u32_e64 s5, 8, v11
	v_mov_b32_e32 v10, v26
	v_mov_b32_e32 v11, v27
	s_and_saveexec_b32 s24, s5
; %bb.1598:                             ;   in Loop: Header=BB331_1065 Depth=1
	v_and_b32_e32 v10, 7, v26
	v_ffbh_u32_e32 v10, v10
	v_min_u32_e32 v14, 32, v10
	v_subrev_nc_u32_e32 v10, 28, v14
	v_sub_nc_u32_e32 v14, 29, v14
	v_lshlrev_b64 v[10:11], v10, v[26:27]
; %bb.1599:                             ;   in Loop: Header=BB331_1065 Depth=1
	s_or_b32 exec_lo, exec_lo, s24
	v_lshlrev_b32_e32 v10, 20, v10
	v_lshlrev_b32_e32 v11, 24, v26
	v_lshl_add_u32 v14, v14, 23, 0x3c000000
	v_and_b32_e32 v10, 0x700000, v10
	v_and_b32_e32 v11, 0x80000000, v11
	v_or3_b32 v10, v10, v11, v14
.LBB331_1600:                           ;   in Loop: Header=BB331_1065 Depth=1
	s_or_b32 exec_lo, exec_lo, s23
.LBB331_1601:                           ;   in Loop: Header=BB331_1065 Depth=1
	s_or_b32 exec_lo, exec_lo, s22
.LBB331_1602:                           ;   in Loop: Header=BB331_1065 Depth=1
	s_or_b32 exec_lo, exec_lo, s21
	v_cmp_ne_u16_sdwa s5, v26, v12 src0_sel:BYTE_1 src1_sel:DWORD
	s_and_saveexec_b32 s21, s5
	s_cbranch_execz .LBB331_1610
; %bb.1603:                             ;   in Loop: Header=BB331_1065 Depth=1
	v_cmp_ne_u16_sdwa s5, v26, v67 src0_sel:BYTE_1 src1_sel:DWORD
	v_bfrev_b32_e32 v21, 1
	s_and_saveexec_b32 s22, s5
	s_cbranch_execz .LBB331_1609
; %bb.1604:                             ;   in Loop: Header=BB331_1065 Depth=1
	v_mov_b32_e32 v11, 0xffff
	v_mov_b32_e32 v21, 0x7f800001
	s_mov_b32 s23, exec_lo
	v_and_b32_sdwa v11, v11, v26 dst_sel:DWORD dst_unused:UNUSED_PAD src0_sel:DWORD src1_sel:BYTE_1
	v_and_b32_e32 v16, 0x7f, v11
	v_cmpx_ne_u32_e32 0x7f, v16
	s_cbranch_execz .LBB331_1608
; %bb.1605:                             ;   in Loop: Header=BB331_1065 Depth=1
	v_and_b32_e32 v11, 7, v11
	v_mov_b32_e32 v29, v12
	v_lshrrev_b32_e32 v14, 3, v16
	s_mov_b32 s24, exec_lo
	v_mov_b32_e32 v28, v11
	v_cmpx_gt_u32_e32 8, v16
; %bb.1606:                             ;   in Loop: Header=BB331_1065 Depth=1
	v_ffbh_u32_e32 v14, v11
	v_min_u32_e32 v14, 32, v14
	v_subrev_nc_u32_e32 v16, 28, v14
	v_sub_nc_u32_e32 v14, 29, v14
	v_lshlrev_b64 v[28:29], v16, v[11:12]
	v_and_b32_e32 v28, 7, v28
; %bb.1607:                             ;   in Loop: Header=BB331_1065 Depth=1
	s_or_b32 exec_lo, exec_lo, s24
	v_lshlrev_b32_e32 v11, 16, v26
	v_lshlrev_b32_e32 v16, 20, v28
	v_lshl_add_u32 v14, v14, 23, 0x3c000000
	v_and_b32_e32 v11, 0x80000000, v11
	v_or3_b32 v21, v16, v11, v14
.LBB331_1608:                           ;   in Loop: Header=BB331_1065 Depth=1
	s_or_b32 exec_lo, exec_lo, s23
.LBB331_1609:                           ;   in Loop: Header=BB331_1065 Depth=1
	s_or_b32 exec_lo, exec_lo, s22
.LBB331_1610:                           ;   in Loop: Header=BB331_1065 Depth=1
	s_or_b32 exec_lo, exec_lo, s21
	v_and_b32_sdwa v11, v26, v69 dst_sel:DWORD dst_unused:UNUSED_PAD src0_sel:WORD_1 src1_sel:DWORD
	v_mov_b32_e32 v18, 0
	v_mov_b32_e32 v16, 0
	s_mov_b32 s21, exec_lo
	v_cmpx_ne_u16_e32 0, v11
	s_cbranch_execz .LBB331_1618
; %bb.1611:                             ;   in Loop: Header=BB331_1065 Depth=1
	v_bfrev_b32_e32 v16, 1
	s_mov_b32 s22, exec_lo
	v_cmpx_ne_u16_e32 0x80, v11
	s_cbranch_execz .LBB331_1617
; %bb.1612:                             ;   in Loop: Header=BB331_1065 Depth=1
	v_bfe_u32 v28, v26, 16, 7
	v_mov_b32_e32 v16, 0x7f800001
	s_mov_b32 s23, exec_lo
	v_cmpx_ne_u32_e32 0x7f, v28
	s_cbranch_execz .LBB331_1616
; %bb.1613:                             ;   in Loop: Header=BB331_1065 Depth=1
	v_mov_b32_e32 v11, 7
	v_lshrrev_b32_e32 v14, 3, v28
	v_cmp_gt_u32_e64 s5, 8, v28
	v_and_b32_sdwa v11, v26, v11 dst_sel:DWORD dst_unused:UNUSED_PAD src0_sel:WORD_1 src1_sel:DWORD
	v_mov_b32_e32 v29, v12
	v_mov_b32_e32 v28, v11
	s_and_saveexec_b32 s24, s5
; %bb.1614:                             ;   in Loop: Header=BB331_1065 Depth=1
	v_ffbh_u32_e32 v14, v11
	v_min_u32_e32 v14, 32, v14
	v_subrev_nc_u32_e32 v16, 28, v14
	v_sub_nc_u32_e32 v14, 29, v14
	v_lshlrev_b64 v[28:29], v16, v[11:12]
	v_and_b32_e32 v28, 7, v28
; %bb.1615:                             ;   in Loop: Header=BB331_1065 Depth=1
	s_or_b32 exec_lo, exec_lo, s24
	v_mov_b32_e32 v11, 24
	v_lshlrev_b32_e32 v16, 20, v28
	v_lshl_add_u32 v14, v14, 23, 0x3c000000
	v_lshlrev_b32_sdwa v11, v11, v26 dst_sel:DWORD dst_unused:UNUSED_PAD src0_sel:DWORD src1_sel:WORD_1
	v_and_b32_e32 v11, 0x80000000, v11
	v_or3_b32 v16, v16, v11, v14
.LBB331_1616:                           ;   in Loop: Header=BB331_1065 Depth=1
	s_or_b32 exec_lo, exec_lo, s23
.LBB331_1617:                           ;   in Loop: Header=BB331_1065 Depth=1
	s_or_b32 exec_lo, exec_lo, s22
.LBB331_1618:                           ;   in Loop: Header=BB331_1065 Depth=1
	s_or_b32 exec_lo, exec_lo, s21
	s_mov_b32 s21, exec_lo
	v_cmpx_lt_u32_e32 0xffffff, v26
	s_cbranch_execz .LBB331_1626
; %bb.1619:                             ;   in Loop: Header=BB331_1065 Depth=1
	v_cmp_ne_u32_sdwa s5, v26, v67 src0_sel:BYTE_3 src1_sel:DWORD
	v_bfrev_b32_e32 v18, 1
	s_and_saveexec_b32 s22, s5
	s_cbranch_execz .LBB331_1625
; %bb.1620:                             ;   in Loop: Header=BB331_1065 Depth=1
	v_bfe_u32 v28, v26, 24, 7
	v_mov_b32_e32 v18, 0x7f800001
	s_mov_b32 s23, exec_lo
	v_cmpx_ne_u32_e32 0x7f, v28
	s_cbranch_execz .LBB331_1624
; %bb.1621:                             ;   in Loop: Header=BB331_1065 Depth=1
	v_mov_b32_e32 v11, 7
	v_lshrrev_b32_e32 v14, 3, v28
	v_cmp_gt_u32_e64 s5, 8, v28
	v_and_b32_sdwa v11, v26, v11 dst_sel:DWORD dst_unused:UNUSED_PAD src0_sel:BYTE_3 src1_sel:DWORD
	v_mov_b32_e32 v29, v12
	v_mov_b32_e32 v28, v11
	s_and_saveexec_b32 s24, s5
; %bb.1622:                             ;   in Loop: Header=BB331_1065 Depth=1
	v_ffbh_u32_e32 v14, v11
	v_min_u32_e32 v14, 32, v14
	v_subrev_nc_u32_e32 v18, 28, v14
	v_sub_nc_u32_e32 v14, 29, v14
	v_lshlrev_b64 v[28:29], v18, v[11:12]
	v_and_b32_e32 v28, 7, v28
; %bb.1623:                             ;   in Loop: Header=BB331_1065 Depth=1
	s_or_b32 exec_lo, exec_lo, s24
	v_mov_b32_e32 v11, 24
	v_lshlrev_b32_e32 v18, 20, v28
	v_lshl_add_u32 v14, v14, 23, 0x3c000000
	v_lshlrev_b32_sdwa v11, v11, v26 dst_sel:DWORD dst_unused:UNUSED_PAD src0_sel:DWORD src1_sel:BYTE_3
	v_and_b32_e32 v11, 0x80000000, v11
	v_or3_b32 v18, v18, v11, v14
.LBB331_1624:                           ;   in Loop: Header=BB331_1065 Depth=1
	s_or_b32 exec_lo, exec_lo, s23
.LBB331_1625:                           ;   in Loop: Header=BB331_1065 Depth=1
	s_or_b32 exec_lo, exec_lo, s22
.LBB331_1626:                           ;   in Loop: Header=BB331_1065 Depth=1
	s_or_b32 exec_lo, exec_lo, s21
	v_mov_b32_e32 v11, v27
	v_cmp_ne_u16_sdwa s5, v27, v12 src0_sel:BYTE_0 src1_sel:DWORD
	v_mov_b32_e32 v14, 0
	v_mov_b32_e32 v30, 0
	s_and_saveexec_b32 s21, s5
	s_cbranch_execz .LBB331_1634
; %bb.1627:                             ;   in Loop: Header=BB331_1065 Depth=1
	v_cmp_ne_u16_sdwa s5, v27, v67 src0_sel:BYTE_0 src1_sel:DWORD
	v_bfrev_b32_e32 v30, 1
	s_and_saveexec_b32 s22, s5
	s_cbranch_execz .LBB331_1633
; %bb.1628:                             ;   in Loop: Header=BB331_1065 Depth=1
	v_and_b32_e32 v28, 0x7f, v27
	v_mov_b32_e32 v30, 0x7f800001
	s_mov_b32 s23, exec_lo
	v_cmpx_ne_u32_e32 0x7f, v28
	s_cbranch_execz .LBB331_1632
; %bb.1629:                             ;   in Loop: Header=BB331_1065 Depth=1
	v_lshrrev_b32_e32 v30, 3, v28
	v_cmp_gt_u32_e64 s5, 8, v28
	v_mov_b32_e32 v29, v12
	v_mov_b32_e32 v28, v11
	s_and_saveexec_b32 s24, s5
; %bb.1630:                             ;   in Loop: Header=BB331_1065 Depth=1
	v_and_b32_e32 v28, 7, v27
	v_ffbh_u32_e32 v28, v28
	v_min_u32_e32 v30, 32, v28
	v_subrev_nc_u32_e32 v28, 28, v30
	v_sub_nc_u32_e32 v30, 29, v30
	v_lshlrev_b64 v[28:29], v28, v[11:12]
; %bb.1631:                             ;   in Loop: Header=BB331_1065 Depth=1
	s_or_b32 exec_lo, exec_lo, s24
	v_lshlrev_b32_e32 v28, 20, v28
	v_lshlrev_b32_e32 v29, 24, v11
	v_lshl_add_u32 v30, v30, 23, 0x3c000000
	v_and_b32_e32 v28, 0x700000, v28
	v_and_b32_e32 v29, 0x80000000, v29
	v_or3_b32 v30, v28, v29, v30
.LBB331_1632:                           ;   in Loop: Header=BB331_1065 Depth=1
	s_or_b32 exec_lo, exec_lo, s23
.LBB331_1633:                           ;   in Loop: Header=BB331_1065 Depth=1
	s_or_b32 exec_lo, exec_lo, s22
.LBB331_1634:                           ;   in Loop: Header=BB331_1065 Depth=1
	s_or_b32 exec_lo, exec_lo, s21
	v_cmp_ne_u16_sdwa s5, v11, v12 src0_sel:BYTE_1 src1_sel:DWORD
	s_and_saveexec_b32 s21, s5
	s_cbranch_execz .LBB331_1642
; %bb.1635:                             ;   in Loop: Header=BB331_1065 Depth=1
	v_cmp_ne_u16_sdwa s5, v11, v67 src0_sel:BYTE_1 src1_sel:DWORD
	v_bfrev_b32_e32 v14, 1
	s_and_saveexec_b32 s22, s5
	s_cbranch_execz .LBB331_1641
; %bb.1636:                             ;   in Loop: Header=BB331_1065 Depth=1
	v_mov_b32_e32 v14, 0xffff
	s_mov_b32 s23, exec_lo
	v_and_b32_sdwa v28, v14, v11 dst_sel:DWORD dst_unused:UNUSED_PAD src0_sel:DWORD src1_sel:BYTE_1
	v_mov_b32_e32 v14, 0x7f800001
	v_and_b32_e32 v31, 0x7f, v28
	v_cmpx_ne_u32_e32 0x7f, v31
	s_cbranch_execz .LBB331_1640
; %bb.1637:                             ;   in Loop: Header=BB331_1065 Depth=1
	v_and_b32_e32 v28, 7, v28
	v_mov_b32_e32 v29, v12
	v_lshrrev_b32_e32 v14, 3, v31
	s_mov_b32 s24, exec_lo
	v_cmpx_gt_u32_e32 8, v31
; %bb.1638:                             ;   in Loop: Header=BB331_1065 Depth=1
	v_ffbh_u32_e32 v14, v28
	v_min_u32_e32 v14, 32, v14
	v_subrev_nc_u32_e32 v31, 28, v14
	v_sub_nc_u32_e32 v14, 29, v14
	v_lshlrev_b64 v[28:29], v31, v[28:29]
	v_and_b32_e32 v28, 7, v28
; %bb.1639:                             ;   in Loop: Header=BB331_1065 Depth=1
	s_or_b32 exec_lo, exec_lo, s24
	v_lshlrev_b32_e32 v11, 16, v11
	v_lshlrev_b32_e32 v28, 20, v28
	v_lshl_add_u32 v14, v14, 23, 0x3c000000
	v_and_b32_e32 v11, 0x80000000, v11
	v_or3_b32 v14, v28, v11, v14
.LBB331_1640:                           ;   in Loop: Header=BB331_1065 Depth=1
	s_or_b32 exec_lo, exec_lo, s23
.LBB331_1641:                           ;   in Loop: Header=BB331_1065 Depth=1
	s_or_b32 exec_lo, exec_lo, s22
.LBB331_1642:                           ;   in Loop: Header=BB331_1065 Depth=1
	s_or_b32 exec_lo, exec_lo, s21
	v_and_b32_sdwa v11, v27, v69 dst_sel:DWORD dst_unused:UNUSED_PAD src0_sel:WORD_1 src1_sel:DWORD
	v_mov_b32_e32 v31, 0
	v_mov_b32_e32 v32, 0
	s_mov_b32 s21, exec_lo
	v_cmpx_ne_u16_e32 0, v11
	s_cbranch_execz .LBB331_1650
; %bb.1643:                             ;   in Loop: Header=BB331_1065 Depth=1
	v_bfrev_b32_e32 v32, 1
	s_mov_b32 s22, exec_lo
	v_cmpx_ne_u16_e32 0x80, v11
	s_cbranch_execz .LBB331_1649
; %bb.1644:                             ;   in Loop: Header=BB331_1065 Depth=1
	v_bfe_u32 v28, v27, 16, 7
	v_mov_b32_e32 v32, 0x7f800001
	s_mov_b32 s23, exec_lo
	v_cmpx_ne_u32_e32 0x7f, v28
	s_cbranch_execz .LBB331_1648
; %bb.1645:                             ;   in Loop: Header=BB331_1065 Depth=1
	v_mov_b32_e32 v11, 7
	v_lshrrev_b32_e32 v32, 3, v28
	v_cmp_gt_u32_e64 s5, 8, v28
	v_and_b32_sdwa v11, v27, v11 dst_sel:DWORD dst_unused:UNUSED_PAD src0_sel:WORD_1 src1_sel:DWORD
	v_mov_b32_e32 v29, v12
	v_mov_b32_e32 v28, v11
	s_and_saveexec_b32 s24, s5
; %bb.1646:                             ;   in Loop: Header=BB331_1065 Depth=1
	v_ffbh_u32_e32 v28, v11
	v_min_u32_e32 v32, 32, v28
	v_subrev_nc_u32_e32 v28, 28, v32
	v_sub_nc_u32_e32 v32, 29, v32
	v_lshlrev_b64 v[28:29], v28, v[11:12]
	v_and_b32_e32 v28, 7, v28
; %bb.1647:                             ;   in Loop: Header=BB331_1065 Depth=1
	s_or_b32 exec_lo, exec_lo, s24
	v_mov_b32_e32 v11, 24
	v_lshlrev_b32_e32 v28, 20, v28
	v_lshl_add_u32 v29, v32, 23, 0x3c000000
	v_lshlrev_b32_sdwa v11, v11, v27 dst_sel:DWORD dst_unused:UNUSED_PAD src0_sel:DWORD src1_sel:WORD_1
	v_and_b32_e32 v11, 0x80000000, v11
	v_or3_b32 v32, v28, v11, v29
.LBB331_1648:                           ;   in Loop: Header=BB331_1065 Depth=1
	s_or_b32 exec_lo, exec_lo, s23
.LBB331_1649:                           ;   in Loop: Header=BB331_1065 Depth=1
	s_or_b32 exec_lo, exec_lo, s22
.LBB331_1650:                           ;   in Loop: Header=BB331_1065 Depth=1
	s_or_b32 exec_lo, exec_lo, s21
	s_mov_b32 s21, exec_lo
	v_cmpx_lt_u64_e64 s[6:7], v[26:27]
	s_cbranch_execz .LBB331_1658
; %bb.1651:                             ;   in Loop: Header=BB331_1065 Depth=1
	v_cmp_ne_u32_sdwa s5, v27, v67 src0_sel:BYTE_3 src1_sel:DWORD
	v_bfrev_b32_e32 v31, 1
	s_and_saveexec_b32 s22, s5
	s_cbranch_execz .LBB331_1657
; %bb.1652:                             ;   in Loop: Header=BB331_1065 Depth=1
	v_bfe_u32 v28, v27, 24, 7
	v_mov_b32_e32 v31, 0x7f800001
	s_mov_b32 s23, exec_lo
	v_cmpx_ne_u32_e32 0x7f, v28
	s_cbranch_execz .LBB331_1656
; %bb.1653:                             ;   in Loop: Header=BB331_1065 Depth=1
	v_mov_b32_e32 v11, 7
	v_lshrrev_b32_e32 v26, 3, v28
	v_cmp_gt_u32_e64 s5, 8, v28
	v_and_b32_sdwa v11, v27, v11 dst_sel:DWORD dst_unused:UNUSED_PAD src0_sel:BYTE_3 src1_sel:DWORD
	v_mov_b32_e32 v29, v12
	v_mov_b32_e32 v28, v11
	s_and_saveexec_b32 s24, s5
; %bb.1654:                             ;   in Loop: Header=BB331_1065 Depth=1
	v_ffbh_u32_e32 v26, v11
	v_min_u32_e32 v26, 32, v26
	v_subrev_nc_u32_e32 v28, 28, v26
	v_sub_nc_u32_e32 v26, 29, v26
	v_lshlrev_b64 v[28:29], v28, v[11:12]
	v_and_b32_e32 v28, 7, v28
; %bb.1655:                             ;   in Loop: Header=BB331_1065 Depth=1
	s_or_b32 exec_lo, exec_lo, s24
	v_mov_b32_e32 v11, 24
	v_lshl_add_u32 v26, v26, 23, 0x3c000000
	v_lshlrev_b32_sdwa v11, v11, v27 dst_sel:DWORD dst_unused:UNUSED_PAD src0_sel:DWORD src1_sel:BYTE_3
	v_lshlrev_b32_e32 v27, 20, v28
	v_and_b32_e32 v11, 0x80000000, v11
	v_or3_b32 v31, v27, v11, v26
.LBB331_1656:                           ;   in Loop: Header=BB331_1065 Depth=1
	s_or_b32 exec_lo, exec_lo, s23
.LBB331_1657:                           ;   in Loop: Header=BB331_1065 Depth=1
	s_or_b32 exec_lo, exec_lo, s22
.LBB331_1658:                           ;   in Loop: Header=BB331_1065 Depth=1
	s_or_b32 exec_lo, exec_lo, s21
	v_mul_f32_e32 v11, v72, v14
	v_mul_f32_e32 v10, v72, v10
	v_bfe_u32 v14, v11, 16, 1
	v_or_b32_e32 v26, 0x400000, v11
	v_cmp_u_f32_e64 s5, v11, v11
	v_add3_u32 v14, v14, v11, 0x7fff
	v_cndmask_b32_e64 v11, v14, v26, s5
	v_lshrrev_b32_e32 v14, 16, v11
	v_mul_f32_e32 v11, v72, v30
	v_bfe_u32 v26, v11, 16, 1
	v_or_b32_e32 v27, 0x400000, v11
	v_cmp_u_f32_e64 s5, v11, v11
	v_add3_u32 v26, v26, v11, 0x7fff
	v_cndmask_b32_e64 v11, v26, v27, s5
	v_lshrrev_b32_e32 v53, 16, v11
	;; [unrolled: 7-line block ×4, first 2 shown]
	v_mul_f32_e32 v11, v72, v21
	v_bfe_u32 v21, v11, 16, 1
	v_or_b32_e32 v26, 0x400000, v11
	v_cmp_u_f32_e64 s5, v11, v11
	v_add3_u32 v21, v21, v11, 0x7fff
	v_cndmask_b32_e64 v11, v21, v26, s5
	v_or_b32_e32 v21, 0x400000, v10
	v_cmp_u_f32_e64 s5, v10, v10
	v_lshrrev_b32_e32 v84, 16, v11
	v_bfe_u32 v11, v10, 16, 1
	v_add3_u32 v11, v11, v10, 0x7fff
	v_cndmask_b32_e64 v10, v11, v21, s5
	v_lshrrev_b32_e32 v30, 16, v10
	v_mul_f32_e32 v10, v72, v32
	v_bfe_u32 v11, v10, 16, 1
	v_or_b32_e32 v21, 0x400000, v10
	v_cmp_u_f32_e64 s5, v10, v10
	v_add3_u32 v11, v11, v10, 0x7fff
	v_cndmask_b32_e64 v10, v11, v21, s5
	v_lshrrev_b32_e32 v96, 16, v10
	v_mul_f32_e32 v10, v72, v31
	v_bfe_u32 v11, v10, 16, 1
	v_or_b32_e32 v21, 0x400000, v10
	v_cmp_u_f32_e64 s5, v10, v10
	v_add3_u32 v11, v11, v10, 0x7fff
	v_cndmask_b32_e64 v10, v11, v21, s5
	v_lshrrev_b32_e32 v31, 16, v10
	s_and_saveexec_b32 s21, vcc_lo
	s_cbranch_execz .LBB331_1660
; %bb.1659:                             ;   in Loop: Header=BB331_1065 Depth=1
	v_cmp_lt_i32_e64 s5, v75, v82
	v_cndmask_b32_e64 v30, 0, v30, s5
	v_cmp_lt_i32_e64 s5, v90, v82
	v_cndmask_b32_e64 v84, 0, v84, s5
	v_cmp_lt_i32_e64 s5, v89, v82
	v_cndmask_b32_e64 v16, 0, v16, s5
	v_cmp_lt_i32_e64 s5, v88, v82
	v_cndmask_b32_e64 v18, 0, v18, s5
	v_cmp_lt_i32_e64 s5, v79, v82
	v_cndmask_b32_e64 v53, 0, v53, s5
	v_cmp_lt_i32_e64 s5, v78, v82
	v_cndmask_b32_e64 v14, 0, v14, s5
	v_cmp_lt_i32_e64 s5, v77, v82
	v_cndmask_b32_e64 v96, 0, v96, s5
	v_cmp_lt_i32_e64 s5, v76, v82
	v_cndmask_b32_e64 v31, 0, v31, s5
.LBB331_1660:                           ;   in Loop: Header=BB331_1065 Depth=1
	s_or_b32 exec_lo, exec_lo, s21
	flat_load_dwordx2 v[26:27], v[24:25] offset:256
	v_mov_b32_e32 v21, 0
	v_mov_b32_e32 v10, 0
	s_waitcnt vmcnt(0) lgkmcnt(0)
	v_cmp_ne_u16_sdwa s5, v26, v12 src0_sel:BYTE_0 src1_sel:DWORD
	s_and_saveexec_b32 s21, s5
	s_cbranch_execz .LBB331_1668
; %bb.1661:                             ;   in Loop: Header=BB331_1065 Depth=1
	v_cmp_ne_u16_sdwa s5, v26, v67 src0_sel:BYTE_0 src1_sel:DWORD
	v_bfrev_b32_e32 v10, 1
	s_and_saveexec_b32 s22, s5
	s_cbranch_execz .LBB331_1667
; %bb.1662:                             ;   in Loop: Header=BB331_1065 Depth=1
	v_and_b32_e32 v11, 0x7f, v26
	v_mov_b32_e32 v10, 0x7f800001
	s_mov_b32 s23, exec_lo
	v_cmpx_ne_u32_e32 0x7f, v11
	s_cbranch_execz .LBB331_1666
; %bb.1663:                             ;   in Loop: Header=BB331_1065 Depth=1
	v_lshrrev_b32_e32 v28, 3, v11
	v_cmp_gt_u32_e64 s5, 8, v11
	v_mov_b32_e32 v10, v26
	v_mov_b32_e32 v11, v27
	s_and_saveexec_b32 s24, s5
; %bb.1664:                             ;   in Loop: Header=BB331_1065 Depth=1
	v_and_b32_e32 v10, 7, v26
	v_ffbh_u32_e32 v10, v10
	v_min_u32_e32 v28, 32, v10
	v_subrev_nc_u32_e32 v10, 28, v28
	v_sub_nc_u32_e32 v28, 29, v28
	v_lshlrev_b64 v[10:11], v10, v[26:27]
; %bb.1665:                             ;   in Loop: Header=BB331_1065 Depth=1
	s_or_b32 exec_lo, exec_lo, s24
	v_lshlrev_b32_e32 v10, 20, v10
	v_lshlrev_b32_e32 v11, 24, v26
	v_lshl_add_u32 v28, v28, 23, 0x3c000000
	v_and_b32_e32 v10, 0x700000, v10
	v_and_b32_e32 v11, 0x80000000, v11
	v_or3_b32 v10, v10, v11, v28
.LBB331_1666:                           ;   in Loop: Header=BB331_1065 Depth=1
	s_or_b32 exec_lo, exec_lo, s23
.LBB331_1667:                           ;   in Loop: Header=BB331_1065 Depth=1
	s_or_b32 exec_lo, exec_lo, s22
.LBB331_1668:                           ;   in Loop: Header=BB331_1065 Depth=1
	s_or_b32 exec_lo, exec_lo, s21
	v_cmp_ne_u16_sdwa s5, v26, v12 src0_sel:BYTE_1 src1_sel:DWORD
	s_and_saveexec_b32 s21, s5
	s_cbranch_execz .LBB331_1676
; %bb.1669:                             ;   in Loop: Header=BB331_1065 Depth=1
	v_cmp_ne_u16_sdwa s5, v26, v67 src0_sel:BYTE_1 src1_sel:DWORD
	v_bfrev_b32_e32 v21, 1
	s_and_saveexec_b32 s22, s5
	s_cbranch_execz .LBB331_1675
; %bb.1670:                             ;   in Loop: Header=BB331_1065 Depth=1
	v_mov_b32_e32 v11, 0xffff
	v_mov_b32_e32 v21, 0x7f800001
	s_mov_b32 s23, exec_lo
	v_and_b32_sdwa v11, v11, v26 dst_sel:DWORD dst_unused:UNUSED_PAD src0_sel:DWORD src1_sel:BYTE_1
	v_and_b32_e32 v28, 0x7f, v11
	v_cmpx_ne_u32_e32 0x7f, v28
	s_cbranch_execz .LBB331_1674
; %bb.1671:                             ;   in Loop: Header=BB331_1065 Depth=1
	v_and_b32_e32 v11, 7, v11
	v_lshrrev_b32_e32 v21, 3, v28
	v_cmp_gt_u32_e64 s5, 8, v28
	v_mov_b32_e32 v29, v12
	v_mov_b32_e32 v28, v11
	s_and_saveexec_b32 s24, s5
; %bb.1672:                             ;   in Loop: Header=BB331_1065 Depth=1
	v_ffbh_u32_e32 v21, v11
	v_min_u32_e32 v21, 32, v21
	v_subrev_nc_u32_e32 v28, 28, v21
	v_sub_nc_u32_e32 v21, 29, v21
	v_lshlrev_b64 v[28:29], v28, v[11:12]
	v_and_b32_e32 v28, 7, v28
; %bb.1673:                             ;   in Loop: Header=BB331_1065 Depth=1
	s_or_b32 exec_lo, exec_lo, s24
	v_lshlrev_b32_e32 v11, 16, v26
	v_lshlrev_b32_e32 v28, 20, v28
	v_lshl_add_u32 v21, v21, 23, 0x3c000000
	v_and_b32_e32 v11, 0x80000000, v11
	v_or3_b32 v21, v28, v11, v21
.LBB331_1674:                           ;   in Loop: Header=BB331_1065 Depth=1
	s_or_b32 exec_lo, exec_lo, s23
.LBB331_1675:                           ;   in Loop: Header=BB331_1065 Depth=1
	s_or_b32 exec_lo, exec_lo, s22
.LBB331_1676:                           ;   in Loop: Header=BB331_1065 Depth=1
	s_or_b32 exec_lo, exec_lo, s21
	v_and_b32_sdwa v11, v26, v69 dst_sel:DWORD dst_unused:UNUSED_PAD src0_sel:WORD_1 src1_sel:DWORD
	v_mov_b32_e32 v34, 0
	v_mov_b32_e32 v35, 0
	s_mov_b32 s21, exec_lo
	v_cmpx_ne_u16_e32 0, v11
	s_cbranch_execz .LBB331_1684
; %bb.1677:                             ;   in Loop: Header=BB331_1065 Depth=1
	v_bfrev_b32_e32 v35, 1
	s_mov_b32 s22, exec_lo
	v_cmpx_ne_u16_e32 0x80, v11
	s_cbranch_execz .LBB331_1683
; %bb.1678:                             ;   in Loop: Header=BB331_1065 Depth=1
	v_bfe_u32 v28, v26, 16, 7
	v_mov_b32_e32 v35, 0x7f800001
	s_mov_b32 s23, exec_lo
	v_cmpx_ne_u32_e32 0x7f, v28
	s_cbranch_execz .LBB331_1682
; %bb.1679:                             ;   in Loop: Header=BB331_1065 Depth=1
	v_mov_b32_e32 v11, 7
	v_lshrrev_b32_e32 v32, 3, v28
	v_cmp_gt_u32_e64 s5, 8, v28
	v_and_b32_sdwa v11, v26, v11 dst_sel:DWORD dst_unused:UNUSED_PAD src0_sel:WORD_1 src1_sel:DWORD
	v_mov_b32_e32 v29, v12
	v_mov_b32_e32 v28, v11
	s_and_saveexec_b32 s24, s5
; %bb.1680:                             ;   in Loop: Header=BB331_1065 Depth=1
	v_ffbh_u32_e32 v28, v11
	v_min_u32_e32 v32, 32, v28
	v_subrev_nc_u32_e32 v28, 28, v32
	v_sub_nc_u32_e32 v32, 29, v32
	v_lshlrev_b64 v[28:29], v28, v[11:12]
	v_and_b32_e32 v28, 7, v28
; %bb.1681:                             ;   in Loop: Header=BB331_1065 Depth=1
	s_or_b32 exec_lo, exec_lo, s24
	v_mov_b32_e32 v11, 24
	v_lshlrev_b32_e32 v28, 20, v28
	v_lshl_add_u32 v29, v32, 23, 0x3c000000
	v_lshlrev_b32_sdwa v11, v11, v26 dst_sel:DWORD dst_unused:UNUSED_PAD src0_sel:DWORD src1_sel:WORD_1
	v_and_b32_e32 v11, 0x80000000, v11
	v_or3_b32 v35, v28, v11, v29
.LBB331_1682:                           ;   in Loop: Header=BB331_1065 Depth=1
	s_or_b32 exec_lo, exec_lo, s23
.LBB331_1683:                           ;   in Loop: Header=BB331_1065 Depth=1
	s_or_b32 exec_lo, exec_lo, s22
.LBB331_1684:                           ;   in Loop: Header=BB331_1065 Depth=1
	s_or_b32 exec_lo, exec_lo, s21
	s_mov_b32 s21, exec_lo
	v_cmpx_lt_u32_e32 0xffffff, v26
	s_cbranch_execz .LBB331_1692
; %bb.1685:                             ;   in Loop: Header=BB331_1065 Depth=1
	v_cmp_ne_u32_sdwa s5, v26, v67 src0_sel:BYTE_3 src1_sel:DWORD
	v_bfrev_b32_e32 v34, 1
	s_and_saveexec_b32 s22, s5
	s_cbranch_execz .LBB331_1691
; %bb.1686:                             ;   in Loop: Header=BB331_1065 Depth=1
	v_bfe_u32 v28, v26, 24, 7
	v_mov_b32_e32 v34, 0x7f800001
	s_mov_b32 s23, exec_lo
	v_cmpx_ne_u32_e32 0x7f, v28
	s_cbranch_execz .LBB331_1690
; %bb.1687:                             ;   in Loop: Header=BB331_1065 Depth=1
	v_mov_b32_e32 v11, 7
	v_lshrrev_b32_e32 v32, 3, v28
	v_cmp_gt_u32_e64 s5, 8, v28
	v_and_b32_sdwa v11, v26, v11 dst_sel:DWORD dst_unused:UNUSED_PAD src0_sel:BYTE_3 src1_sel:DWORD
	v_mov_b32_e32 v29, v12
	v_mov_b32_e32 v28, v11
	s_and_saveexec_b32 s24, s5
; %bb.1688:                             ;   in Loop: Header=BB331_1065 Depth=1
	v_ffbh_u32_e32 v28, v11
	v_min_u32_e32 v32, 32, v28
	v_subrev_nc_u32_e32 v28, 28, v32
	v_sub_nc_u32_e32 v32, 29, v32
	v_lshlrev_b64 v[28:29], v28, v[11:12]
	v_and_b32_e32 v28, 7, v28
; %bb.1689:                             ;   in Loop: Header=BB331_1065 Depth=1
	s_or_b32 exec_lo, exec_lo, s24
	v_mov_b32_e32 v11, 24
	v_lshlrev_b32_e32 v28, 20, v28
	v_lshl_add_u32 v29, v32, 23, 0x3c000000
	v_lshlrev_b32_sdwa v11, v11, v26 dst_sel:DWORD dst_unused:UNUSED_PAD src0_sel:DWORD src1_sel:BYTE_3
	v_and_b32_e32 v11, 0x80000000, v11
	v_or3_b32 v34, v28, v11, v29
.LBB331_1690:                           ;   in Loop: Header=BB331_1065 Depth=1
	s_or_b32 exec_lo, exec_lo, s23
.LBB331_1691:                           ;   in Loop: Header=BB331_1065 Depth=1
	s_or_b32 exec_lo, exec_lo, s22
.LBB331_1692:                           ;   in Loop: Header=BB331_1065 Depth=1
	s_or_b32 exec_lo, exec_lo, s21
	v_mov_b32_e32 v11, v27
	v_cmp_ne_u16_sdwa s5, v27, v12 src0_sel:BYTE_0 src1_sel:DWORD
	v_mov_b32_e32 v32, 0
	v_mov_b32_e32 v33, 0
	s_and_saveexec_b32 s21, s5
	s_cbranch_execz .LBB331_1700
; %bb.1693:                             ;   in Loop: Header=BB331_1065 Depth=1
	v_cmp_ne_u16_sdwa s5, v27, v67 src0_sel:BYTE_0 src1_sel:DWORD
	v_bfrev_b32_e32 v33, 1
	s_and_saveexec_b32 s22, s5
	s_cbranch_execz .LBB331_1699
; %bb.1694:                             ;   in Loop: Header=BB331_1065 Depth=1
	v_and_b32_e32 v28, 0x7f, v27
	v_mov_b32_e32 v33, 0x7f800001
	s_mov_b32 s23, exec_lo
	v_cmpx_ne_u32_e32 0x7f, v28
	s_cbranch_execz .LBB331_1698
; %bb.1695:                             ;   in Loop: Header=BB331_1065 Depth=1
	v_lshrrev_b32_e32 v33, 3, v28
	v_cmp_gt_u32_e64 s5, 8, v28
	v_mov_b32_e32 v29, v12
	v_mov_b32_e32 v28, v11
	s_and_saveexec_b32 s24, s5
; %bb.1696:                             ;   in Loop: Header=BB331_1065 Depth=1
	v_and_b32_e32 v28, 7, v27
	v_ffbh_u32_e32 v28, v28
	v_min_u32_e32 v33, 32, v28
	v_subrev_nc_u32_e32 v28, 28, v33
	v_sub_nc_u32_e32 v33, 29, v33
	v_lshlrev_b64 v[28:29], v28, v[11:12]
; %bb.1697:                             ;   in Loop: Header=BB331_1065 Depth=1
	s_or_b32 exec_lo, exec_lo, s24
	v_lshlrev_b32_e32 v28, 20, v28
	v_lshlrev_b32_e32 v29, 24, v11
	v_lshl_add_u32 v33, v33, 23, 0x3c000000
	v_and_b32_e32 v28, 0x700000, v28
	v_and_b32_e32 v29, 0x80000000, v29
	v_or3_b32 v33, v28, v29, v33
.LBB331_1698:                           ;   in Loop: Header=BB331_1065 Depth=1
	s_or_b32 exec_lo, exec_lo, s23
.LBB331_1699:                           ;   in Loop: Header=BB331_1065 Depth=1
	s_or_b32 exec_lo, exec_lo, s22
.LBB331_1700:                           ;   in Loop: Header=BB331_1065 Depth=1
	s_or_b32 exec_lo, exec_lo, s21
	v_cmp_ne_u16_sdwa s5, v11, v12 src0_sel:BYTE_1 src1_sel:DWORD
	s_and_saveexec_b32 s21, s5
	s_cbranch_execz .LBB331_1708
; %bb.1701:                             ;   in Loop: Header=BB331_1065 Depth=1
	v_cmp_ne_u16_sdwa s5, v11, v67 src0_sel:BYTE_1 src1_sel:DWORD
	v_bfrev_b32_e32 v32, 1
	s_and_saveexec_b32 s22, s5
	s_cbranch_execz .LBB331_1707
; %bb.1702:                             ;   in Loop: Header=BB331_1065 Depth=1
	v_mov_b32_e32 v28, 0xffff
	v_mov_b32_e32 v32, 0x7f800001
	s_mov_b32 s23, exec_lo
	v_and_b32_sdwa v28, v28, v11 dst_sel:DWORD dst_unused:UNUSED_PAD src0_sel:DWORD src1_sel:BYTE_1
	v_and_b32_e32 v36, 0x7f, v28
	v_cmpx_ne_u32_e32 0x7f, v36
	s_cbranch_execz .LBB331_1706
; %bb.1703:                             ;   in Loop: Header=BB331_1065 Depth=1
	v_and_b32_e32 v28, 7, v28
	v_mov_b32_e32 v29, v12
	v_lshrrev_b32_e32 v32, 3, v36
	s_mov_b32 s24, exec_lo
	v_cmpx_gt_u32_e32 8, v36
; %bb.1704:                             ;   in Loop: Header=BB331_1065 Depth=1
	v_ffbh_u32_e32 v32, v28
	v_min_u32_e32 v32, 32, v32
	v_subrev_nc_u32_e32 v36, 28, v32
	v_sub_nc_u32_e32 v32, 29, v32
	v_lshlrev_b64 v[28:29], v36, v[28:29]
	v_and_b32_e32 v28, 7, v28
; %bb.1705:                             ;   in Loop: Header=BB331_1065 Depth=1
	s_or_b32 exec_lo, exec_lo, s24
	v_lshlrev_b32_e32 v11, 16, v11
	v_lshlrev_b32_e32 v28, 20, v28
	v_lshl_add_u32 v29, v32, 23, 0x3c000000
	v_and_b32_e32 v11, 0x80000000, v11
	v_or3_b32 v32, v28, v11, v29
.LBB331_1706:                           ;   in Loop: Header=BB331_1065 Depth=1
	s_or_b32 exec_lo, exec_lo, s23
.LBB331_1707:                           ;   in Loop: Header=BB331_1065 Depth=1
	s_or_b32 exec_lo, exec_lo, s22
.LBB331_1708:                           ;   in Loop: Header=BB331_1065 Depth=1
	s_or_b32 exec_lo, exec_lo, s21
	v_and_b32_sdwa v11, v27, v69 dst_sel:DWORD dst_unused:UNUSED_PAD src0_sel:WORD_1 src1_sel:DWORD
	v_mov_b32_e32 v48, 0
	v_mov_b32_e32 v36, 0
	s_mov_b32 s21, exec_lo
	v_cmpx_ne_u16_e32 0, v11
	s_cbranch_execz .LBB331_1716
; %bb.1709:                             ;   in Loop: Header=BB331_1065 Depth=1
	v_bfrev_b32_e32 v36, 1
	s_mov_b32 s22, exec_lo
	v_cmpx_ne_u16_e32 0x80, v11
	s_cbranch_execz .LBB331_1715
; %bb.1710:                             ;   in Loop: Header=BB331_1065 Depth=1
	v_bfe_u32 v28, v27, 16, 7
	v_mov_b32_e32 v36, 0x7f800001
	s_mov_b32 s23, exec_lo
	v_cmpx_ne_u32_e32 0x7f, v28
	s_cbranch_execz .LBB331_1714
; %bb.1711:                             ;   in Loop: Header=BB331_1065 Depth=1
	v_mov_b32_e32 v11, 7
	v_lshrrev_b32_e32 v36, 3, v28
	v_cmp_gt_u32_e64 s5, 8, v28
	v_and_b32_sdwa v11, v27, v11 dst_sel:DWORD dst_unused:UNUSED_PAD src0_sel:WORD_1 src1_sel:DWORD
	v_mov_b32_e32 v29, v12
	v_mov_b32_e32 v28, v11
	s_and_saveexec_b32 s24, s5
; %bb.1712:                             ;   in Loop: Header=BB331_1065 Depth=1
	v_ffbh_u32_e32 v28, v11
	v_min_u32_e32 v36, 32, v28
	v_subrev_nc_u32_e32 v28, 28, v36
	v_sub_nc_u32_e32 v36, 29, v36
	v_lshlrev_b64 v[28:29], v28, v[11:12]
	v_and_b32_e32 v28, 7, v28
; %bb.1713:                             ;   in Loop: Header=BB331_1065 Depth=1
	s_or_b32 exec_lo, exec_lo, s24
	v_mov_b32_e32 v11, 24
	v_lshlrev_b32_e32 v28, 20, v28
	v_lshl_add_u32 v29, v36, 23, 0x3c000000
	v_lshlrev_b32_sdwa v11, v11, v27 dst_sel:DWORD dst_unused:UNUSED_PAD src0_sel:DWORD src1_sel:WORD_1
	v_and_b32_e32 v11, 0x80000000, v11
	v_or3_b32 v36, v28, v11, v29
.LBB331_1714:                           ;   in Loop: Header=BB331_1065 Depth=1
	s_or_b32 exec_lo, exec_lo, s23
.LBB331_1715:                           ;   in Loop: Header=BB331_1065 Depth=1
	s_or_b32 exec_lo, exec_lo, s22
.LBB331_1716:                           ;   in Loop: Header=BB331_1065 Depth=1
	s_or_b32 exec_lo, exec_lo, s21
	s_mov_b32 s21, exec_lo
	v_cmpx_lt_u64_e64 s[6:7], v[26:27]
	s_cbranch_execz .LBB331_1724
; %bb.1717:                             ;   in Loop: Header=BB331_1065 Depth=1
	v_cmp_ne_u32_sdwa s5, v27, v67 src0_sel:BYTE_3 src1_sel:DWORD
	v_bfrev_b32_e32 v48, 1
	s_and_saveexec_b32 s22, s5
	s_cbranch_execz .LBB331_1723
; %bb.1718:                             ;   in Loop: Header=BB331_1065 Depth=1
	v_bfe_u32 v28, v27, 24, 7
	v_mov_b32_e32 v48, 0x7f800001
	s_mov_b32 s23, exec_lo
	v_cmpx_ne_u32_e32 0x7f, v28
	s_cbranch_execz .LBB331_1722
; %bb.1719:                             ;   in Loop: Header=BB331_1065 Depth=1
	v_mov_b32_e32 v11, 7
	v_lshrrev_b32_e32 v26, 3, v28
	v_cmp_gt_u32_e64 s5, 8, v28
	v_and_b32_sdwa v11, v27, v11 dst_sel:DWORD dst_unused:UNUSED_PAD src0_sel:BYTE_3 src1_sel:DWORD
	v_mov_b32_e32 v29, v12
	v_mov_b32_e32 v28, v11
	s_and_saveexec_b32 s24, s5
; %bb.1720:                             ;   in Loop: Header=BB331_1065 Depth=1
	v_ffbh_u32_e32 v26, v11
	v_min_u32_e32 v26, 32, v26
	v_subrev_nc_u32_e32 v28, 28, v26
	v_sub_nc_u32_e32 v26, 29, v26
	v_lshlrev_b64 v[28:29], v28, v[11:12]
	v_and_b32_e32 v28, 7, v28
; %bb.1721:                             ;   in Loop: Header=BB331_1065 Depth=1
	s_or_b32 exec_lo, exec_lo, s24
	v_mov_b32_e32 v11, 24
	v_lshl_add_u32 v26, v26, 23, 0x3c000000
	v_lshlrev_b32_sdwa v11, v11, v27 dst_sel:DWORD dst_unused:UNUSED_PAD src0_sel:DWORD src1_sel:BYTE_3
	v_lshlrev_b32_e32 v27, 20, v28
	v_and_b32_e32 v11, 0x80000000, v11
	v_or3_b32 v48, v27, v11, v26
.LBB331_1722:                           ;   in Loop: Header=BB331_1065 Depth=1
	s_or_b32 exec_lo, exec_lo, s23
.LBB331_1723:                           ;   in Loop: Header=BB331_1065 Depth=1
	s_or_b32 exec_lo, exec_lo, s22
.LBB331_1724:                           ;   in Loop: Header=BB331_1065 Depth=1
	s_or_b32 exec_lo, exec_lo, s21
	v_mul_f32_e32 v11, v72, v32
	v_mul_f32_e32 v10, v72, v10
	v_bfe_u32 v26, v11, 16, 1
	v_or_b32_e32 v27, 0x400000, v11
	v_cmp_u_f32_e64 s5, v11, v11
	v_add3_u32 v26, v26, v11, 0x7fff
	v_cndmask_b32_e64 v11, v26, v27, s5
	v_lshrrev_b32_e32 v32, 16, v11
	v_mul_f32_e32 v11, v72, v33
	v_bfe_u32 v26, v11, 16, 1
	v_or_b32_e32 v27, 0x400000, v11
	v_cmp_u_f32_e64 s5, v11, v11
	v_add3_u32 v26, v26, v11, 0x7fff
	v_cndmask_b32_e64 v11, v26, v27, s5
	v_lshrrev_b32_e32 v33, 16, v11
	;; [unrolled: 7-line block ×4, first 2 shown]
	v_mul_f32_e32 v11, v72, v21
	v_bfe_u32 v21, v11, 16, 1
	v_or_b32_e32 v26, 0x400000, v11
	v_cmp_u_f32_e64 s5, v11, v11
	v_add3_u32 v21, v21, v11, 0x7fff
	v_cndmask_b32_e64 v11, v21, v26, s5
	v_or_b32_e32 v21, 0x400000, v10
	v_cmp_u_f32_e64 s5, v10, v10
	v_lshrrev_b32_e32 v37, 16, v11
	v_bfe_u32 v11, v10, 16, 1
	v_add3_u32 v11, v11, v10, 0x7fff
	v_cndmask_b32_e64 v10, v11, v21, s5
	v_lshrrev_b32_e32 v38, 16, v10
	v_mul_f32_e32 v10, v72, v36
	v_bfe_u32 v11, v10, 16, 1
	v_or_b32_e32 v21, 0x400000, v10
	v_cmp_u_f32_e64 s5, v10, v10
	v_add3_u32 v11, v11, v10, 0x7fff
	v_cndmask_b32_e64 v10, v11, v21, s5
	v_lshrrev_b32_e32 v36, 16, v10
	v_mul_f32_e32 v10, v72, v48
	v_bfe_u32 v11, v10, 16, 1
	v_or_b32_e32 v21, 0x400000, v10
	v_cmp_u_f32_e64 s5, v10, v10
	v_add3_u32 v11, v11, v10, 0x7fff
	v_cndmask_b32_e64 v10, v11, v21, s5
	v_lshrrev_b32_e32 v48, 16, v10
	s_and_saveexec_b32 s21, vcc_lo
	s_cbranch_execz .LBB331_1726
; %bb.1725:                             ;   in Loop: Header=BB331_1065 Depth=1
	v_cmp_lt_i32_e64 s5, v75, v82
	v_cndmask_b32_e64 v38, 0, v38, s5
	v_cmp_lt_i32_e64 s5, v90, v82
	v_cndmask_b32_e64 v37, 0, v37, s5
	;; [unrolled: 2-line block ×8, first 2 shown]
.LBB331_1726:                           ;   in Loop: Header=BB331_1065 Depth=1
	s_or_b32 exec_lo, exec_lo, s21
	flat_load_dwordx2 v[26:27], v[24:25] offset:512
	v_mov_b32_e32 v21, 0
	v_mov_b32_e32 v10, 0
	s_waitcnt vmcnt(0) lgkmcnt(0)
	v_cmp_ne_u16_sdwa s5, v26, v12 src0_sel:BYTE_0 src1_sel:DWORD
	s_and_saveexec_b32 s21, s5
	s_cbranch_execz .LBB331_1734
; %bb.1727:                             ;   in Loop: Header=BB331_1065 Depth=1
	v_cmp_ne_u16_sdwa s5, v26, v67 src0_sel:BYTE_0 src1_sel:DWORD
	v_bfrev_b32_e32 v10, 1
	s_and_saveexec_b32 s22, s5
	s_cbranch_execz .LBB331_1733
; %bb.1728:                             ;   in Loop: Header=BB331_1065 Depth=1
	v_and_b32_e32 v11, 0x7f, v26
	v_mov_b32_e32 v10, 0x7f800001
	s_mov_b32 s23, exec_lo
	v_cmpx_ne_u32_e32 0x7f, v11
	s_cbranch_execz .LBB331_1732
; %bb.1729:                             ;   in Loop: Header=BB331_1065 Depth=1
	v_lshrrev_b32_e32 v28, 3, v11
	v_cmp_gt_u32_e64 s5, 8, v11
	v_mov_b32_e32 v10, v26
	v_mov_b32_e32 v11, v27
	s_and_saveexec_b32 s24, s5
; %bb.1730:                             ;   in Loop: Header=BB331_1065 Depth=1
	v_and_b32_e32 v10, 7, v26
	v_ffbh_u32_e32 v10, v10
	v_min_u32_e32 v28, 32, v10
	v_subrev_nc_u32_e32 v10, 28, v28
	v_sub_nc_u32_e32 v28, 29, v28
	v_lshlrev_b64 v[10:11], v10, v[26:27]
; %bb.1731:                             ;   in Loop: Header=BB331_1065 Depth=1
	s_or_b32 exec_lo, exec_lo, s24
	v_lshlrev_b32_e32 v10, 20, v10
	v_lshlrev_b32_e32 v11, 24, v26
	v_lshl_add_u32 v28, v28, 23, 0x3c000000
	v_and_b32_e32 v10, 0x700000, v10
	v_and_b32_e32 v11, 0x80000000, v11
	v_or3_b32 v10, v10, v11, v28
.LBB331_1732:                           ;   in Loop: Header=BB331_1065 Depth=1
	s_or_b32 exec_lo, exec_lo, s23
.LBB331_1733:                           ;   in Loop: Header=BB331_1065 Depth=1
	s_or_b32 exec_lo, exec_lo, s22
.LBB331_1734:                           ;   in Loop: Header=BB331_1065 Depth=1
	s_or_b32 exec_lo, exec_lo, s21
	v_cmp_ne_u16_sdwa s5, v26, v12 src0_sel:BYTE_1 src1_sel:DWORD
	s_and_saveexec_b32 s21, s5
	s_cbranch_execz .LBB331_1742
; %bb.1735:                             ;   in Loop: Header=BB331_1065 Depth=1
	v_cmp_ne_u16_sdwa s5, v26, v67 src0_sel:BYTE_1 src1_sel:DWORD
	v_bfrev_b32_e32 v21, 1
	s_and_saveexec_b32 s22, s5
	s_cbranch_execz .LBB331_1741
; %bb.1736:                             ;   in Loop: Header=BB331_1065 Depth=1
	v_mov_b32_e32 v11, 0xffff
	v_mov_b32_e32 v21, 0x7f800001
	s_mov_b32 s23, exec_lo
	v_and_b32_sdwa v11, v11, v26 dst_sel:DWORD dst_unused:UNUSED_PAD src0_sel:DWORD src1_sel:BYTE_1
	v_and_b32_e32 v28, 0x7f, v11
	v_cmpx_ne_u32_e32 0x7f, v28
	s_cbranch_execz .LBB331_1740
; %bb.1737:                             ;   in Loop: Header=BB331_1065 Depth=1
	v_and_b32_e32 v11, 7, v11
	v_lshrrev_b32_e32 v21, 3, v28
	v_cmp_gt_u32_e64 s5, 8, v28
	v_mov_b32_e32 v29, v12
	v_mov_b32_e32 v28, v11
	s_and_saveexec_b32 s24, s5
; %bb.1738:                             ;   in Loop: Header=BB331_1065 Depth=1
	v_ffbh_u32_e32 v21, v11
	v_min_u32_e32 v21, 32, v21
	v_subrev_nc_u32_e32 v28, 28, v21
	v_sub_nc_u32_e32 v21, 29, v21
	v_lshlrev_b64 v[28:29], v28, v[11:12]
	v_and_b32_e32 v28, 7, v28
; %bb.1739:                             ;   in Loop: Header=BB331_1065 Depth=1
	s_or_b32 exec_lo, exec_lo, s24
	v_lshlrev_b32_e32 v11, 16, v26
	v_lshlrev_b32_e32 v28, 20, v28
	v_lshl_add_u32 v21, v21, 23, 0x3c000000
	v_and_b32_e32 v11, 0x80000000, v11
	v_or3_b32 v21, v28, v11, v21
.LBB331_1740:                           ;   in Loop: Header=BB331_1065 Depth=1
	s_or_b32 exec_lo, exec_lo, s23
.LBB331_1741:                           ;   in Loop: Header=BB331_1065 Depth=1
	s_or_b32 exec_lo, exec_lo, s22
.LBB331_1742:                           ;   in Loop: Header=BB331_1065 Depth=1
	s_or_b32 exec_lo, exec_lo, s21
	v_and_b32_sdwa v11, v26, v69 dst_sel:DWORD dst_unused:UNUSED_PAD src0_sel:WORD_1 src1_sel:DWORD
	v_mov_b32_e32 v51, 0
	v_mov_b32_e32 v54, 0
	s_mov_b32 s21, exec_lo
	v_cmpx_ne_u16_e32 0, v11
	s_cbranch_execz .LBB331_1750
; %bb.1743:                             ;   in Loop: Header=BB331_1065 Depth=1
	v_bfrev_b32_e32 v54, 1
	s_mov_b32 s22, exec_lo
	v_cmpx_ne_u16_e32 0x80, v11
	s_cbranch_execz .LBB331_1749
; %bb.1744:                             ;   in Loop: Header=BB331_1065 Depth=1
	v_bfe_u32 v28, v26, 16, 7
	v_mov_b32_e32 v54, 0x7f800001
	s_mov_b32 s23, exec_lo
	v_cmpx_ne_u32_e32 0x7f, v28
	s_cbranch_execz .LBB331_1748
; %bb.1745:                             ;   in Loop: Header=BB331_1065 Depth=1
	v_mov_b32_e32 v11, 7
	v_lshrrev_b32_e32 v49, 3, v28
	v_cmp_gt_u32_e64 s5, 8, v28
	v_and_b32_sdwa v11, v26, v11 dst_sel:DWORD dst_unused:UNUSED_PAD src0_sel:WORD_1 src1_sel:DWORD
	v_mov_b32_e32 v29, v12
	v_mov_b32_e32 v28, v11
	s_and_saveexec_b32 s24, s5
; %bb.1746:                             ;   in Loop: Header=BB331_1065 Depth=1
	v_ffbh_u32_e32 v28, v11
	v_min_u32_e32 v49, 32, v28
	v_subrev_nc_u32_e32 v28, 28, v49
	v_sub_nc_u32_e32 v49, 29, v49
	v_lshlrev_b64 v[28:29], v28, v[11:12]
	v_and_b32_e32 v28, 7, v28
; %bb.1747:                             ;   in Loop: Header=BB331_1065 Depth=1
	s_or_b32 exec_lo, exec_lo, s24
	v_mov_b32_e32 v11, 24
	v_lshlrev_b32_e32 v28, 20, v28
	v_lshl_add_u32 v29, v49, 23, 0x3c000000
	v_lshlrev_b32_sdwa v11, v11, v26 dst_sel:DWORD dst_unused:UNUSED_PAD src0_sel:DWORD src1_sel:WORD_1
	v_and_b32_e32 v11, 0x80000000, v11
	v_or3_b32 v54, v28, v11, v29
.LBB331_1748:                           ;   in Loop: Header=BB331_1065 Depth=1
	s_or_b32 exec_lo, exec_lo, s23
.LBB331_1749:                           ;   in Loop: Header=BB331_1065 Depth=1
	s_or_b32 exec_lo, exec_lo, s22
.LBB331_1750:                           ;   in Loop: Header=BB331_1065 Depth=1
	s_or_b32 exec_lo, exec_lo, s21
	s_mov_b32 s21, exec_lo
	v_cmpx_lt_u32_e32 0xffffff, v26
	s_cbranch_execz .LBB331_1758
; %bb.1751:                             ;   in Loop: Header=BB331_1065 Depth=1
	v_cmp_ne_u32_sdwa s5, v26, v67 src0_sel:BYTE_3 src1_sel:DWORD
	v_bfrev_b32_e32 v51, 1
	s_and_saveexec_b32 s22, s5
	s_cbranch_execz .LBB331_1757
; %bb.1752:                             ;   in Loop: Header=BB331_1065 Depth=1
	v_bfe_u32 v28, v26, 24, 7
	v_mov_b32_e32 v51, 0x7f800001
	s_mov_b32 s23, exec_lo
	v_cmpx_ne_u32_e32 0x7f, v28
	s_cbranch_execz .LBB331_1756
; %bb.1753:                             ;   in Loop: Header=BB331_1065 Depth=1
	v_mov_b32_e32 v11, 7
	v_lshrrev_b32_e32 v49, 3, v28
	v_cmp_gt_u32_e64 s5, 8, v28
	v_and_b32_sdwa v11, v26, v11 dst_sel:DWORD dst_unused:UNUSED_PAD src0_sel:BYTE_3 src1_sel:DWORD
	v_mov_b32_e32 v29, v12
	v_mov_b32_e32 v28, v11
	s_and_saveexec_b32 s24, s5
; %bb.1754:                             ;   in Loop: Header=BB331_1065 Depth=1
	v_ffbh_u32_e32 v28, v11
	v_min_u32_e32 v49, 32, v28
	v_subrev_nc_u32_e32 v28, 28, v49
	v_sub_nc_u32_e32 v49, 29, v49
	v_lshlrev_b64 v[28:29], v28, v[11:12]
	v_and_b32_e32 v28, 7, v28
; %bb.1755:                             ;   in Loop: Header=BB331_1065 Depth=1
	s_or_b32 exec_lo, exec_lo, s24
	v_mov_b32_e32 v11, 24
	v_lshlrev_b32_e32 v28, 20, v28
	v_lshl_add_u32 v29, v49, 23, 0x3c000000
	v_lshlrev_b32_sdwa v11, v11, v26 dst_sel:DWORD dst_unused:UNUSED_PAD src0_sel:DWORD src1_sel:BYTE_3
	v_and_b32_e32 v11, 0x80000000, v11
	v_or3_b32 v51, v28, v11, v29
.LBB331_1756:                           ;   in Loop: Header=BB331_1065 Depth=1
	s_or_b32 exec_lo, exec_lo, s23
.LBB331_1757:                           ;   in Loop: Header=BB331_1065 Depth=1
	s_or_b32 exec_lo, exec_lo, s22
.LBB331_1758:                           ;   in Loop: Header=BB331_1065 Depth=1
	s_or_b32 exec_lo, exec_lo, s21
	v_mov_b32_e32 v11, v27
	v_cmp_ne_u16_sdwa s5, v27, v12 src0_sel:BYTE_0 src1_sel:DWORD
	v_mov_b32_e32 v49, 0
	v_mov_b32_e32 v50, 0
	s_and_saveexec_b32 s21, s5
	s_cbranch_execz .LBB331_1766
; %bb.1759:                             ;   in Loop: Header=BB331_1065 Depth=1
	v_cmp_ne_u16_sdwa s5, v27, v67 src0_sel:BYTE_0 src1_sel:DWORD
	v_bfrev_b32_e32 v50, 1
	s_and_saveexec_b32 s22, s5
	s_cbranch_execz .LBB331_1765
; %bb.1760:                             ;   in Loop: Header=BB331_1065 Depth=1
	v_and_b32_e32 v28, 0x7f, v27
	v_mov_b32_e32 v50, 0x7f800001
	s_mov_b32 s23, exec_lo
	v_cmpx_ne_u32_e32 0x7f, v28
	s_cbranch_execz .LBB331_1764
; %bb.1761:                             ;   in Loop: Header=BB331_1065 Depth=1
	v_lshrrev_b32_e32 v50, 3, v28
	v_cmp_gt_u32_e64 s5, 8, v28
	v_mov_b32_e32 v29, v12
	v_mov_b32_e32 v28, v11
	s_and_saveexec_b32 s24, s5
; %bb.1762:                             ;   in Loop: Header=BB331_1065 Depth=1
	v_and_b32_e32 v28, 7, v27
	v_ffbh_u32_e32 v28, v28
	v_min_u32_e32 v50, 32, v28
	v_subrev_nc_u32_e32 v28, 28, v50
	v_sub_nc_u32_e32 v50, 29, v50
	v_lshlrev_b64 v[28:29], v28, v[11:12]
; %bb.1763:                             ;   in Loop: Header=BB331_1065 Depth=1
	s_or_b32 exec_lo, exec_lo, s24
	v_lshlrev_b32_e32 v28, 20, v28
	v_lshlrev_b32_e32 v29, 24, v11
	v_lshl_add_u32 v50, v50, 23, 0x3c000000
	v_and_b32_e32 v28, 0x700000, v28
	v_and_b32_e32 v29, 0x80000000, v29
	v_or3_b32 v50, v28, v29, v50
.LBB331_1764:                           ;   in Loop: Header=BB331_1065 Depth=1
	s_or_b32 exec_lo, exec_lo, s23
.LBB331_1765:                           ;   in Loop: Header=BB331_1065 Depth=1
	s_or_b32 exec_lo, exec_lo, s22
.LBB331_1766:                           ;   in Loop: Header=BB331_1065 Depth=1
	s_or_b32 exec_lo, exec_lo, s21
	v_cmp_ne_u16_sdwa s5, v11, v12 src0_sel:BYTE_1 src1_sel:DWORD
	s_and_saveexec_b32 s21, s5
	s_cbranch_execz .LBB331_1774
; %bb.1767:                             ;   in Loop: Header=BB331_1065 Depth=1
	v_cmp_ne_u16_sdwa s5, v11, v67 src0_sel:BYTE_1 src1_sel:DWORD
	v_bfrev_b32_e32 v49, 1
	s_and_saveexec_b32 s22, s5
	s_cbranch_execz .LBB331_1773
; %bb.1768:                             ;   in Loop: Header=BB331_1065 Depth=1
	v_mov_b32_e32 v28, 0xffff
	v_mov_b32_e32 v49, 0x7f800001
	s_mov_b32 s23, exec_lo
	v_and_b32_sdwa v28, v28, v11 dst_sel:DWORD dst_unused:UNUSED_PAD src0_sel:DWORD src1_sel:BYTE_1
	v_and_b32_e32 v55, 0x7f, v28
	v_cmpx_ne_u32_e32 0x7f, v55
	s_cbranch_execz .LBB331_1772
; %bb.1769:                             ;   in Loop: Header=BB331_1065 Depth=1
	v_and_b32_e32 v28, 7, v28
	v_mov_b32_e32 v29, v12
	v_lshrrev_b32_e32 v49, 3, v55
	s_mov_b32 s24, exec_lo
	v_cmpx_gt_u32_e32 8, v55
; %bb.1770:                             ;   in Loop: Header=BB331_1065 Depth=1
	v_ffbh_u32_e32 v49, v28
	v_min_u32_e32 v49, 32, v49
	v_subrev_nc_u32_e32 v55, 28, v49
	v_sub_nc_u32_e32 v49, 29, v49
	v_lshlrev_b64 v[28:29], v55, v[28:29]
	v_and_b32_e32 v28, 7, v28
; %bb.1771:                             ;   in Loop: Header=BB331_1065 Depth=1
	s_or_b32 exec_lo, exec_lo, s24
	v_lshlrev_b32_e32 v11, 16, v11
	v_lshlrev_b32_e32 v28, 20, v28
	v_lshl_add_u32 v29, v49, 23, 0x3c000000
	v_and_b32_e32 v11, 0x80000000, v11
	v_or3_b32 v49, v28, v11, v29
.LBB331_1772:                           ;   in Loop: Header=BB331_1065 Depth=1
	s_or_b32 exec_lo, exec_lo, s23
.LBB331_1773:                           ;   in Loop: Header=BB331_1065 Depth=1
	s_or_b32 exec_lo, exec_lo, s22
.LBB331_1774:                           ;   in Loop: Header=BB331_1065 Depth=1
	s_or_b32 exec_lo, exec_lo, s21
	v_and_b32_sdwa v11, v27, v69 dst_sel:DWORD dst_unused:UNUSED_PAD src0_sel:WORD_1 src1_sel:DWORD
	v_mov_b32_e32 v68, 0
	v_mov_b32_e32 v55, 0
	s_mov_b32 s21, exec_lo
	v_cmpx_ne_u16_e32 0, v11
	s_cbranch_execz .LBB331_1782
; %bb.1775:                             ;   in Loop: Header=BB331_1065 Depth=1
	v_bfrev_b32_e32 v55, 1
	s_mov_b32 s22, exec_lo
	v_cmpx_ne_u16_e32 0x80, v11
	s_cbranch_execz .LBB331_1781
; %bb.1776:                             ;   in Loop: Header=BB331_1065 Depth=1
	v_bfe_u32 v28, v27, 16, 7
	v_mov_b32_e32 v55, 0x7f800001
	s_mov_b32 s23, exec_lo
	v_cmpx_ne_u32_e32 0x7f, v28
	s_cbranch_execz .LBB331_1780
; %bb.1777:                             ;   in Loop: Header=BB331_1065 Depth=1
	v_mov_b32_e32 v11, 7
	v_lshrrev_b32_e32 v55, 3, v28
	v_cmp_gt_u32_e64 s5, 8, v28
	v_and_b32_sdwa v11, v27, v11 dst_sel:DWORD dst_unused:UNUSED_PAD src0_sel:WORD_1 src1_sel:DWORD
	v_mov_b32_e32 v29, v12
	v_mov_b32_e32 v28, v11
	s_and_saveexec_b32 s24, s5
; %bb.1778:                             ;   in Loop: Header=BB331_1065 Depth=1
	v_ffbh_u32_e32 v28, v11
	v_min_u32_e32 v55, 32, v28
	v_subrev_nc_u32_e32 v28, 28, v55
	v_sub_nc_u32_e32 v55, 29, v55
	v_lshlrev_b64 v[28:29], v28, v[11:12]
	v_and_b32_e32 v28, 7, v28
; %bb.1779:                             ;   in Loop: Header=BB331_1065 Depth=1
	s_or_b32 exec_lo, exec_lo, s24
	v_mov_b32_e32 v11, 24
	v_lshlrev_b32_e32 v28, 20, v28
	v_lshl_add_u32 v29, v55, 23, 0x3c000000
	v_lshlrev_b32_sdwa v11, v11, v27 dst_sel:DWORD dst_unused:UNUSED_PAD src0_sel:DWORD src1_sel:WORD_1
	v_and_b32_e32 v11, 0x80000000, v11
	v_or3_b32 v55, v28, v11, v29
.LBB331_1780:                           ;   in Loop: Header=BB331_1065 Depth=1
	s_or_b32 exec_lo, exec_lo, s23
.LBB331_1781:                           ;   in Loop: Header=BB331_1065 Depth=1
	s_or_b32 exec_lo, exec_lo, s22
.LBB331_1782:                           ;   in Loop: Header=BB331_1065 Depth=1
	s_or_b32 exec_lo, exec_lo, s21
	s_mov_b32 s21, exec_lo
	v_cmpx_lt_u64_e64 s[6:7], v[26:27]
	s_cbranch_execz .LBB331_1790
; %bb.1783:                             ;   in Loop: Header=BB331_1065 Depth=1
	v_cmp_ne_u32_sdwa s5, v27, v67 src0_sel:BYTE_3 src1_sel:DWORD
	v_bfrev_b32_e32 v68, 1
	s_and_saveexec_b32 s22, s5
	s_cbranch_execz .LBB331_1789
; %bb.1784:                             ;   in Loop: Header=BB331_1065 Depth=1
	v_bfe_u32 v28, v27, 24, 7
	v_mov_b32_e32 v68, 0x7f800001
	s_mov_b32 s23, exec_lo
	v_cmpx_ne_u32_e32 0x7f, v28
	s_cbranch_execz .LBB331_1788
; %bb.1785:                             ;   in Loop: Header=BB331_1065 Depth=1
	v_mov_b32_e32 v11, 7
	v_lshrrev_b32_e32 v26, 3, v28
	v_cmp_gt_u32_e64 s5, 8, v28
	v_and_b32_sdwa v11, v27, v11 dst_sel:DWORD dst_unused:UNUSED_PAD src0_sel:BYTE_3 src1_sel:DWORD
	v_mov_b32_e32 v29, v12
	v_mov_b32_e32 v28, v11
	s_and_saveexec_b32 s24, s5
; %bb.1786:                             ;   in Loop: Header=BB331_1065 Depth=1
	v_ffbh_u32_e32 v26, v11
	v_min_u32_e32 v26, 32, v26
	v_subrev_nc_u32_e32 v28, 28, v26
	v_sub_nc_u32_e32 v26, 29, v26
	v_lshlrev_b64 v[28:29], v28, v[11:12]
	v_and_b32_e32 v28, 7, v28
; %bb.1787:                             ;   in Loop: Header=BB331_1065 Depth=1
	s_or_b32 exec_lo, exec_lo, s24
	v_mov_b32_e32 v11, 24
	v_lshl_add_u32 v26, v26, 23, 0x3c000000
	v_lshlrev_b32_sdwa v11, v11, v27 dst_sel:DWORD dst_unused:UNUSED_PAD src0_sel:DWORD src1_sel:BYTE_3
	v_lshlrev_b32_e32 v27, 20, v28
	v_and_b32_e32 v11, 0x80000000, v11
	v_or3_b32 v68, v27, v11, v26
.LBB331_1788:                           ;   in Loop: Header=BB331_1065 Depth=1
	s_or_b32 exec_lo, exec_lo, s23
.LBB331_1789:                           ;   in Loop: Header=BB331_1065 Depth=1
	s_or_b32 exec_lo, exec_lo, s22
.LBB331_1790:                           ;   in Loop: Header=BB331_1065 Depth=1
	s_or_b32 exec_lo, exec_lo, s21
	v_mul_f32_e32 v11, v72, v49
	v_mul_f32_e32 v10, v72, v10
	v_bfe_u32 v26, v11, 16, 1
	v_or_b32_e32 v27, 0x400000, v11
	v_cmp_u_f32_e64 s5, v11, v11
	v_add3_u32 v26, v26, v11, 0x7fff
	v_cndmask_b32_e64 v11, v26, v27, s5
	v_lshrrev_b32_e32 v49, 16, v11
	v_mul_f32_e32 v11, v72, v50
	v_bfe_u32 v26, v11, 16, 1
	v_or_b32_e32 v27, 0x400000, v11
	v_cmp_u_f32_e64 s5, v11, v11
	v_add3_u32 v26, v26, v11, 0x7fff
	v_cndmask_b32_e64 v11, v26, v27, s5
	v_lshrrev_b32_e32 v50, 16, v11
	;; [unrolled: 7-line block ×4, first 2 shown]
	v_mul_f32_e32 v11, v72, v21
	v_bfe_u32 v21, v11, 16, 1
	v_or_b32_e32 v26, 0x400000, v11
	v_cmp_u_f32_e64 s5, v11, v11
	v_add3_u32 v21, v21, v11, 0x7fff
	v_cndmask_b32_e64 v11, v21, v26, s5
	v_or_b32_e32 v21, 0x400000, v10
	v_cmp_u_f32_e64 s5, v10, v10
	v_lshrrev_b32_e32 v64, 16, v11
	v_bfe_u32 v11, v10, 16, 1
	v_add3_u32 v11, v11, v10, 0x7fff
	v_cndmask_b32_e64 v10, v11, v21, s5
	v_lshrrev_b32_e32 v21, 16, v10
	v_mul_f32_e32 v10, v72, v55
	v_bfe_u32 v11, v10, 16, 1
	v_or_b32_e32 v26, 0x400000, v10
	v_cmp_u_f32_e64 s5, v10, v10
	v_add3_u32 v11, v11, v10, 0x7fff
	v_cndmask_b32_e64 v10, v11, v26, s5
	v_lshrrev_b32_e32 v55, 16, v10
	v_mul_f32_e32 v10, v72, v68
	v_bfe_u32 v11, v10, 16, 1
	v_or_b32_e32 v26, 0x400000, v10
	v_cmp_u_f32_e64 s5, v10, v10
	v_add3_u32 v11, v11, v10, 0x7fff
	v_cndmask_b32_e64 v10, v11, v26, s5
	v_lshrrev_b32_e32 v86, 16, v10
	s_and_saveexec_b32 s21, vcc_lo
	s_cbranch_execz .LBB331_1792
; %bb.1791:                             ;   in Loop: Header=BB331_1065 Depth=1
	v_cmp_lt_i32_e64 s5, v75, v82
	v_cndmask_b32_e64 v21, 0, v21, s5
	v_cmp_lt_i32_e64 s5, v90, v82
	v_cndmask_b32_e64 v64, 0, v64, s5
	;; [unrolled: 2-line block ×8, first 2 shown]
.LBB331_1792:                           ;   in Loop: Header=BB331_1065 Depth=1
	s_or_b32 exec_lo, exec_lo, s21
	flat_load_dwordx2 v[26:27], v[24:25] offset:768
	v_mov_b32_e32 v68, 0
	v_mov_b32_e32 v10, 0
	s_waitcnt vmcnt(0) lgkmcnt(0)
	v_cmp_ne_u16_sdwa s5, v26, v12 src0_sel:BYTE_0 src1_sel:DWORD
	s_and_saveexec_b32 s21, s5
	s_cbranch_execz .LBB331_1800
; %bb.1793:                             ;   in Loop: Header=BB331_1065 Depth=1
	v_cmp_ne_u16_sdwa s5, v26, v67 src0_sel:BYTE_0 src1_sel:DWORD
	v_bfrev_b32_e32 v10, 1
	s_and_saveexec_b32 s22, s5
	s_cbranch_execz .LBB331_1799
; %bb.1794:                             ;   in Loop: Header=BB331_1065 Depth=1
	v_and_b32_e32 v11, 0x7f, v26
	v_mov_b32_e32 v10, 0x7f800001
	s_mov_b32 s23, exec_lo
	v_cmpx_ne_u32_e32 0x7f, v11
	s_cbranch_execz .LBB331_1798
; %bb.1795:                             ;   in Loop: Header=BB331_1065 Depth=1
	v_lshrrev_b32_e32 v28, 3, v11
	v_cmp_gt_u32_e64 s5, 8, v11
	v_mov_b32_e32 v10, v26
	v_mov_b32_e32 v11, v27
	s_and_saveexec_b32 s24, s5
; %bb.1796:                             ;   in Loop: Header=BB331_1065 Depth=1
	v_and_b32_e32 v10, 7, v26
	v_ffbh_u32_e32 v10, v10
	v_min_u32_e32 v28, 32, v10
	v_subrev_nc_u32_e32 v10, 28, v28
	v_sub_nc_u32_e32 v28, 29, v28
	v_lshlrev_b64 v[10:11], v10, v[26:27]
; %bb.1797:                             ;   in Loop: Header=BB331_1065 Depth=1
	s_or_b32 exec_lo, exec_lo, s24
	v_lshlrev_b32_e32 v10, 20, v10
	v_lshlrev_b32_e32 v11, 24, v26
	v_lshl_add_u32 v28, v28, 23, 0x3c000000
	v_and_b32_e32 v10, 0x700000, v10
	v_and_b32_e32 v11, 0x80000000, v11
	v_or3_b32 v10, v10, v11, v28
.LBB331_1798:                           ;   in Loop: Header=BB331_1065 Depth=1
	s_or_b32 exec_lo, exec_lo, s23
.LBB331_1799:                           ;   in Loop: Header=BB331_1065 Depth=1
	s_or_b32 exec_lo, exec_lo, s22
.LBB331_1800:                           ;   in Loop: Header=BB331_1065 Depth=1
	s_or_b32 exec_lo, exec_lo, s21
	v_cmp_ne_u16_sdwa s5, v26, v12 src0_sel:BYTE_1 src1_sel:DWORD
	s_and_saveexec_b32 s21, s5
	s_cbranch_execz .LBB331_1808
; %bb.1801:                             ;   in Loop: Header=BB331_1065 Depth=1
	v_cmp_ne_u16_sdwa s5, v26, v67 src0_sel:BYTE_1 src1_sel:DWORD
	v_bfrev_b32_e32 v68, 1
	s_and_saveexec_b32 s22, s5
	s_cbranch_execz .LBB331_1807
; %bb.1802:                             ;   in Loop: Header=BB331_1065 Depth=1
	v_mov_b32_e32 v11, 0xffff
	v_mov_b32_e32 v68, 0x7f800001
	s_mov_b32 s23, exec_lo
	v_and_b32_sdwa v11, v11, v26 dst_sel:DWORD dst_unused:UNUSED_PAD src0_sel:DWORD src1_sel:BYTE_1
	v_and_b32_e32 v28, 0x7f, v11
	v_cmpx_ne_u32_e32 0x7f, v28
	s_cbranch_execz .LBB331_1806
; %bb.1803:                             ;   in Loop: Header=BB331_1065 Depth=1
	v_and_b32_e32 v11, 7, v11
	v_lshrrev_b32_e32 v68, 3, v28
	v_cmp_gt_u32_e64 s5, 8, v28
	v_mov_b32_e32 v29, v12
	v_mov_b32_e32 v28, v11
	s_and_saveexec_b32 s24, s5
; %bb.1804:                             ;   in Loop: Header=BB331_1065 Depth=1
	v_ffbh_u32_e32 v28, v11
	v_min_u32_e32 v68, 32, v28
	v_subrev_nc_u32_e32 v28, 28, v68
	v_sub_nc_u32_e32 v68, 29, v68
	v_lshlrev_b64 v[28:29], v28, v[11:12]
	v_and_b32_e32 v28, 7, v28
; %bb.1805:                             ;   in Loop: Header=BB331_1065 Depth=1
	s_or_b32 exec_lo, exec_lo, s24
	v_lshlrev_b32_e32 v11, 16, v26
	v_lshlrev_b32_e32 v28, 20, v28
	v_lshl_add_u32 v29, v68, 23, 0x3c000000
	v_and_b32_e32 v11, 0x80000000, v11
	v_or3_b32 v68, v28, v11, v29
.LBB331_1806:                           ;   in Loop: Header=BB331_1065 Depth=1
	s_or_b32 exec_lo, exec_lo, s23
.LBB331_1807:                           ;   in Loop: Header=BB331_1065 Depth=1
	s_or_b32 exec_lo, exec_lo, s22
.LBB331_1808:                           ;   in Loop: Header=BB331_1065 Depth=1
	s_or_b32 exec_lo, exec_lo, s21
	v_and_b32_sdwa v11, v26, v69 dst_sel:DWORD dst_unused:UNUSED_PAD src0_sel:WORD_1 src1_sel:DWORD
	v_mov_b32_e32 v71, 0
	v_mov_b32_e32 v70, 0
	s_mov_b32 s21, exec_lo
	v_cmpx_ne_u16_e32 0, v11
	s_cbranch_execz .LBB331_1816
; %bb.1809:                             ;   in Loop: Header=BB331_1065 Depth=1
	v_bfrev_b32_e32 v70, 1
	s_mov_b32 s22, exec_lo
	v_cmpx_ne_u16_e32 0x80, v11
	s_cbranch_execz .LBB331_1815
; %bb.1810:                             ;   in Loop: Header=BB331_1065 Depth=1
	v_bfe_u32 v28, v26, 16, 7
	v_mov_b32_e32 v70, 0x7f800001
	s_mov_b32 s23, exec_lo
	v_cmpx_ne_u32_e32 0x7f, v28
	s_cbranch_execz .LBB331_1814
; %bb.1811:                             ;   in Loop: Header=BB331_1065 Depth=1
	v_mov_b32_e32 v11, 7
	v_lshrrev_b32_e32 v70, 3, v28
	v_cmp_gt_u32_e64 s5, 8, v28
	v_and_b32_sdwa v11, v26, v11 dst_sel:DWORD dst_unused:UNUSED_PAD src0_sel:WORD_1 src1_sel:DWORD
	v_mov_b32_e32 v29, v12
	v_mov_b32_e32 v28, v11
	s_and_saveexec_b32 s24, s5
; %bb.1812:                             ;   in Loop: Header=BB331_1065 Depth=1
	v_ffbh_u32_e32 v28, v11
	v_min_u32_e32 v70, 32, v28
	v_subrev_nc_u32_e32 v28, 28, v70
	v_sub_nc_u32_e32 v70, 29, v70
	v_lshlrev_b64 v[28:29], v28, v[11:12]
	v_and_b32_e32 v28, 7, v28
; %bb.1813:                             ;   in Loop: Header=BB331_1065 Depth=1
	s_or_b32 exec_lo, exec_lo, s24
	v_mov_b32_e32 v11, 24
	v_lshlrev_b32_e32 v28, 20, v28
	v_lshl_add_u32 v29, v70, 23, 0x3c000000
	v_lshlrev_b32_sdwa v11, v11, v26 dst_sel:DWORD dst_unused:UNUSED_PAD src0_sel:DWORD src1_sel:WORD_1
	v_and_b32_e32 v11, 0x80000000, v11
	v_or3_b32 v70, v28, v11, v29
.LBB331_1814:                           ;   in Loop: Header=BB331_1065 Depth=1
	s_or_b32 exec_lo, exec_lo, s23
.LBB331_1815:                           ;   in Loop: Header=BB331_1065 Depth=1
	s_or_b32 exec_lo, exec_lo, s22
.LBB331_1816:                           ;   in Loop: Header=BB331_1065 Depth=1
	s_or_b32 exec_lo, exec_lo, s21
	s_mov_b32 s21, exec_lo
	v_cmpx_lt_u32_e32 0xffffff, v26
	s_cbranch_execz .LBB331_1824
; %bb.1817:                             ;   in Loop: Header=BB331_1065 Depth=1
	v_cmp_ne_u32_sdwa s5, v26, v67 src0_sel:BYTE_3 src1_sel:DWORD
	v_bfrev_b32_e32 v71, 1
	s_and_saveexec_b32 s22, s5
	s_cbranch_execz .LBB331_1823
; %bb.1818:                             ;   in Loop: Header=BB331_1065 Depth=1
	v_bfe_u32 v28, v26, 24, 7
	v_mov_b32_e32 v71, 0x7f800001
	s_mov_b32 s23, exec_lo
	v_cmpx_ne_u32_e32 0x7f, v28
	s_cbranch_execz .LBB331_1822
; %bb.1819:                             ;   in Loop: Header=BB331_1065 Depth=1
	v_mov_b32_e32 v11, 7
	v_lshrrev_b32_e32 v71, 3, v28
	v_cmp_gt_u32_e64 s5, 8, v28
	v_and_b32_sdwa v11, v26, v11 dst_sel:DWORD dst_unused:UNUSED_PAD src0_sel:BYTE_3 src1_sel:DWORD
	v_mov_b32_e32 v29, v12
	v_mov_b32_e32 v28, v11
	s_and_saveexec_b32 s24, s5
; %bb.1820:                             ;   in Loop: Header=BB331_1065 Depth=1
	v_ffbh_u32_e32 v28, v11
	v_min_u32_e32 v71, 32, v28
	v_subrev_nc_u32_e32 v28, 28, v71
	v_sub_nc_u32_e32 v71, 29, v71
	v_lshlrev_b64 v[28:29], v28, v[11:12]
	v_and_b32_e32 v28, 7, v28
; %bb.1821:                             ;   in Loop: Header=BB331_1065 Depth=1
	s_or_b32 exec_lo, exec_lo, s24
	v_mov_b32_e32 v11, 24
	v_lshlrev_b32_e32 v28, 20, v28
	v_lshl_add_u32 v29, v71, 23, 0x3c000000
	v_lshlrev_b32_sdwa v11, v11, v26 dst_sel:DWORD dst_unused:UNUSED_PAD src0_sel:DWORD src1_sel:BYTE_3
	v_and_b32_e32 v11, 0x80000000, v11
	v_or3_b32 v71, v28, v11, v29
.LBB331_1822:                           ;   in Loop: Header=BB331_1065 Depth=1
	s_or_b32 exec_lo, exec_lo, s23
.LBB331_1823:                           ;   in Loop: Header=BB331_1065 Depth=1
	s_or_b32 exec_lo, exec_lo, s22
.LBB331_1824:                           ;   in Loop: Header=BB331_1065 Depth=1
	s_or_b32 exec_lo, exec_lo, s21
	v_mov_b32_e32 v11, v27
	v_cmp_ne_u16_sdwa s5, v27, v12 src0_sel:BYTE_0 src1_sel:DWORD
	v_mov_b32_e32 v85, 0
	v_mov_b32_e32 v98, 0
	s_and_saveexec_b32 s21, s5
	s_cbranch_execz .LBB331_1832
; %bb.1825:                             ;   in Loop: Header=BB331_1065 Depth=1
	v_cmp_ne_u16_sdwa s5, v27, v67 src0_sel:BYTE_0 src1_sel:DWORD
	v_bfrev_b32_e32 v98, 1
	s_and_saveexec_b32 s22, s5
	s_cbranch_execz .LBB331_1831
; %bb.1826:                             ;   in Loop: Header=BB331_1065 Depth=1
	v_and_b32_e32 v28, 0x7f, v27
	v_mov_b32_e32 v98, 0x7f800001
	s_mov_b32 s23, exec_lo
	v_cmpx_ne_u32_e32 0x7f, v28
	s_cbranch_execz .LBB331_1830
; %bb.1827:                             ;   in Loop: Header=BB331_1065 Depth=1
	v_lshrrev_b32_e32 v98, 3, v28
	v_cmp_gt_u32_e64 s5, 8, v28
	v_mov_b32_e32 v29, v12
	v_mov_b32_e32 v28, v11
	s_and_saveexec_b32 s24, s5
; %bb.1828:                             ;   in Loop: Header=BB331_1065 Depth=1
	v_and_b32_e32 v28, 7, v27
	v_ffbh_u32_e32 v28, v28
	v_min_u32_e32 v98, 32, v28
	v_subrev_nc_u32_e32 v28, 28, v98
	v_sub_nc_u32_e32 v98, 29, v98
	v_lshlrev_b64 v[28:29], v28, v[11:12]
; %bb.1829:                             ;   in Loop: Header=BB331_1065 Depth=1
	s_or_b32 exec_lo, exec_lo, s24
	v_lshlrev_b32_e32 v28, 20, v28
	v_lshlrev_b32_e32 v29, 24, v11
	v_lshl_add_u32 v98, v98, 23, 0x3c000000
	v_and_b32_e32 v28, 0x700000, v28
	v_and_b32_e32 v29, 0x80000000, v29
	v_or3_b32 v98, v28, v29, v98
.LBB331_1830:                           ;   in Loop: Header=BB331_1065 Depth=1
	s_or_b32 exec_lo, exec_lo, s23
.LBB331_1831:                           ;   in Loop: Header=BB331_1065 Depth=1
	s_or_b32 exec_lo, exec_lo, s22
.LBB331_1832:                           ;   in Loop: Header=BB331_1065 Depth=1
	s_or_b32 exec_lo, exec_lo, s21
	v_cmp_ne_u16_sdwa s5, v11, v12 src0_sel:BYTE_1 src1_sel:DWORD
	s_and_saveexec_b32 s21, s5
	s_cbranch_execz .LBB331_1840
; %bb.1833:                             ;   in Loop: Header=BB331_1065 Depth=1
	v_cmp_ne_u16_sdwa s5, v11, v67 src0_sel:BYTE_1 src1_sel:DWORD
	v_bfrev_b32_e32 v85, 1
	s_and_saveexec_b32 s22, s5
	s_cbranch_execz .LBB331_1839
; %bb.1834:                             ;   in Loop: Header=BB331_1065 Depth=1
	v_mov_b32_e32 v28, 0xffff
	v_mov_b32_e32 v85, 0x7f800001
	s_mov_b32 s23, exec_lo
	v_and_b32_sdwa v28, v28, v11 dst_sel:DWORD dst_unused:UNUSED_PAD src0_sel:DWORD src1_sel:BYTE_1
	v_and_b32_e32 v99, 0x7f, v28
	v_cmpx_ne_u32_e32 0x7f, v99
	s_cbranch_execz .LBB331_1838
; %bb.1835:                             ;   in Loop: Header=BB331_1065 Depth=1
	v_and_b32_e32 v28, 7, v28
	v_mov_b32_e32 v29, v12
	v_lshrrev_b32_e32 v85, 3, v99
	s_mov_b32 s24, exec_lo
	v_cmpx_gt_u32_e32 8, v99
; %bb.1836:                             ;   in Loop: Header=BB331_1065 Depth=1
	v_ffbh_u32_e32 v85, v28
	v_min_u32_e32 v85, 32, v85
	v_subrev_nc_u32_e32 v99, 28, v85
	v_sub_nc_u32_e32 v85, 29, v85
	v_lshlrev_b64 v[28:29], v99, v[28:29]
	v_and_b32_e32 v28, 7, v28
; %bb.1837:                             ;   in Loop: Header=BB331_1065 Depth=1
	s_or_b32 exec_lo, exec_lo, s24
	v_lshlrev_b32_e32 v11, 16, v11
	v_lshlrev_b32_e32 v28, 20, v28
	v_lshl_add_u32 v29, v85, 23, 0x3c000000
	v_and_b32_e32 v11, 0x80000000, v11
	v_or3_b32 v85, v28, v11, v29
.LBB331_1838:                           ;   in Loop: Header=BB331_1065 Depth=1
	s_or_b32 exec_lo, exec_lo, s23
.LBB331_1839:                           ;   in Loop: Header=BB331_1065 Depth=1
	s_or_b32 exec_lo, exec_lo, s22
.LBB331_1840:                           ;   in Loop: Header=BB331_1065 Depth=1
	s_or_b32 exec_lo, exec_lo, s21
	v_and_b32_sdwa v11, v27, v69 dst_sel:DWORD dst_unused:UNUSED_PAD src0_sel:WORD_1 src1_sel:DWORD
	v_mov_b32_e32 v112, 0
	v_mov_b32_e32 v102, 0
	s_mov_b32 s21, exec_lo
	v_cmpx_ne_u16_e32 0, v11
	s_cbranch_execz .LBB331_1848
; %bb.1841:                             ;   in Loop: Header=BB331_1065 Depth=1
	v_bfrev_b32_e32 v102, 1
	s_mov_b32 s22, exec_lo
	v_cmpx_ne_u16_e32 0x80, v11
	s_cbranch_execz .LBB331_1847
; %bb.1842:                             ;   in Loop: Header=BB331_1065 Depth=1
	v_bfe_u32 v28, v27, 16, 7
	v_mov_b32_e32 v102, 0x7f800001
	s_mov_b32 s23, exec_lo
	v_cmpx_ne_u32_e32 0x7f, v28
	s_cbranch_execz .LBB331_1846
; %bb.1843:                             ;   in Loop: Header=BB331_1065 Depth=1
	v_mov_b32_e32 v11, 7
	v_lshrrev_b32_e32 v99, 3, v28
	v_cmp_gt_u32_e64 s5, 8, v28
	v_and_b32_sdwa v11, v27, v11 dst_sel:DWORD dst_unused:UNUSED_PAD src0_sel:WORD_1 src1_sel:DWORD
	v_mov_b32_e32 v29, v12
	v_mov_b32_e32 v28, v11
	s_and_saveexec_b32 s24, s5
; %bb.1844:                             ;   in Loop: Header=BB331_1065 Depth=1
	v_ffbh_u32_e32 v28, v11
	v_min_u32_e32 v99, 32, v28
	v_subrev_nc_u32_e32 v28, 28, v99
	v_sub_nc_u32_e32 v99, 29, v99
	v_lshlrev_b64 v[28:29], v28, v[11:12]
	v_and_b32_e32 v28, 7, v28
; %bb.1845:                             ;   in Loop: Header=BB331_1065 Depth=1
	s_or_b32 exec_lo, exec_lo, s24
	v_mov_b32_e32 v11, 24
	v_lshlrev_b32_e32 v28, 20, v28
	v_lshl_add_u32 v29, v99, 23, 0x3c000000
	v_lshlrev_b32_sdwa v11, v11, v27 dst_sel:DWORD dst_unused:UNUSED_PAD src0_sel:DWORD src1_sel:WORD_1
	v_and_b32_e32 v11, 0x80000000, v11
	v_or3_b32 v102, v28, v11, v29
.LBB331_1846:                           ;   in Loop: Header=BB331_1065 Depth=1
	s_or_b32 exec_lo, exec_lo, s23
.LBB331_1847:                           ;   in Loop: Header=BB331_1065 Depth=1
	s_or_b32 exec_lo, exec_lo, s22
.LBB331_1848:                           ;   in Loop: Header=BB331_1065 Depth=1
	s_or_b32 exec_lo, exec_lo, s21
	s_mov_b32 s21, exec_lo
	v_cmpx_lt_u64_e64 s[6:7], v[26:27]
	s_cbranch_execz .LBB331_1856
; %bb.1849:                             ;   in Loop: Header=BB331_1065 Depth=1
	v_cmp_ne_u32_sdwa s5, v27, v67 src0_sel:BYTE_3 src1_sel:DWORD
	v_bfrev_b32_e32 v112, 1
	s_and_saveexec_b32 s22, s5
	s_cbranch_execz .LBB331_1855
; %bb.1850:                             ;   in Loop: Header=BB331_1065 Depth=1
	v_bfe_u32 v28, v27, 24, 7
	v_mov_b32_e32 v112, 0x7f800001
	s_mov_b32 s23, exec_lo
	v_cmpx_ne_u32_e32 0x7f, v28
	s_cbranch_execz .LBB331_1854
; %bb.1851:                             ;   in Loop: Header=BB331_1065 Depth=1
	v_mov_b32_e32 v11, 7
	v_lshrrev_b32_e32 v26, 3, v28
	v_cmp_gt_u32_e64 s5, 8, v28
	v_and_b32_sdwa v11, v27, v11 dst_sel:DWORD dst_unused:UNUSED_PAD src0_sel:BYTE_3 src1_sel:DWORD
	v_mov_b32_e32 v29, v12
	v_mov_b32_e32 v28, v11
	s_and_saveexec_b32 s24, s5
; %bb.1852:                             ;   in Loop: Header=BB331_1065 Depth=1
	v_ffbh_u32_e32 v26, v11
	v_min_u32_e32 v26, 32, v26
	v_subrev_nc_u32_e32 v28, 28, v26
	v_sub_nc_u32_e32 v26, 29, v26
	v_lshlrev_b64 v[28:29], v28, v[11:12]
	v_and_b32_e32 v28, 7, v28
; %bb.1853:                             ;   in Loop: Header=BB331_1065 Depth=1
	s_or_b32 exec_lo, exec_lo, s24
	v_mov_b32_e32 v11, 24
	v_lshl_add_u32 v26, v26, 23, 0x3c000000
	v_lshlrev_b32_sdwa v11, v11, v27 dst_sel:DWORD dst_unused:UNUSED_PAD src0_sel:DWORD src1_sel:BYTE_3
	v_lshlrev_b32_e32 v27, 20, v28
	v_and_b32_e32 v11, 0x80000000, v11
	v_or3_b32 v112, v27, v11, v26
.LBB331_1854:                           ;   in Loop: Header=BB331_1065 Depth=1
	s_or_b32 exec_lo, exec_lo, s23
.LBB331_1855:                           ;   in Loop: Header=BB331_1065 Depth=1
	s_or_b32 exec_lo, exec_lo, s22
.LBB331_1856:                           ;   in Loop: Header=BB331_1065 Depth=1
	s_or_b32 exec_lo, exec_lo, s21
	v_mul_f32_e32 v11, v72, v85
	v_mul_f32_e32 v10, v72, v10
	v_bfe_u32 v26, v11, 16, 1
	v_or_b32_e32 v27, 0x400000, v11
	v_cmp_u_f32_e64 s5, v11, v11
	v_add3_u32 v26, v26, v11, 0x7fff
	v_cndmask_b32_e64 v11, v26, v27, s5
	v_lshrrev_b32_e32 v85, 16, v11
	v_mul_f32_e32 v11, v72, v98
	v_bfe_u32 v26, v11, 16, 1
	v_or_b32_e32 v27, 0x400000, v11
	v_cmp_u_f32_e64 s5, v11, v11
	v_add3_u32 v26, v26, v11, 0x7fff
	v_cndmask_b32_e64 v11, v26, v27, s5
	v_lshrrev_b32_e32 v98, 16, v11
	v_mul_f32_e32 v11, v72, v71
	v_bfe_u32 v26, v11, 16, 1
	v_or_b32_e32 v27, 0x400000, v11
	v_cmp_u_f32_e64 s5, v11, v11
	v_add3_u32 v26, v26, v11, 0x7fff
	v_cndmask_b32_e64 v11, v26, v27, s5
	v_lshrrev_b32_e32 v99, 16, v11
	v_mul_f32_e32 v11, v72, v70
	v_bfe_u32 v26, v11, 16, 1
	v_or_b32_e32 v27, 0x400000, v11
	v_cmp_u_f32_e64 s5, v11, v11
	v_add3_u32 v26, v26, v11, 0x7fff
	v_cndmask_b32_e64 v11, v26, v27, s5
	v_lshrrev_b32_e32 v100, 16, v11
	v_mul_f32_e32 v11, v72, v68
	v_bfe_u32 v26, v11, 16, 1
	v_or_b32_e32 v27, 0x400000, v11
	v_cmp_u_f32_e64 s5, v11, v11
	v_add3_u32 v26, v26, v11, 0x7fff
	v_cndmask_b32_e64 v11, v26, v27, s5
	v_or_b32_e32 v26, 0x400000, v10
	v_cmp_u_f32_e64 s5, v10, v10
	v_lshrrev_b32_e32 v101, 16, v11
	v_bfe_u32 v11, v10, 16, 1
	v_add3_u32 v11, v11, v10, 0x7fff
	v_cndmask_b32_e64 v10, v11, v26, s5
	v_lshrrev_b32_e32 v103, 16, v10
	v_mul_f32_e32 v10, v72, v102
	v_bfe_u32 v11, v10, 16, 1
	v_or_b32_e32 v26, 0x400000, v10
	v_cmp_u_f32_e64 s5, v10, v10
	v_add3_u32 v11, v11, v10, 0x7fff
	v_cndmask_b32_e64 v10, v11, v26, s5
	v_lshrrev_b32_e32 v102, 16, v10
	v_mul_f32_e32 v10, v72, v112
	v_bfe_u32 v11, v10, 16, 1
	v_or_b32_e32 v26, 0x400000, v10
	v_cmp_u_f32_e64 s5, v10, v10
	v_add3_u32 v11, v11, v10, 0x7fff
	v_cndmask_b32_e64 v10, v11, v26, s5
	v_lshrrev_b32_e32 v112, 16, v10
	s_and_saveexec_b32 s21, vcc_lo
	s_cbranch_execz .LBB331_1858
; %bb.1857:                             ;   in Loop: Header=BB331_1065 Depth=1
	v_cmp_lt_i32_e64 s5, v75, v82
	v_cndmask_b32_e64 v103, 0, v103, s5
	v_cmp_lt_i32_e64 s5, v90, v82
	v_cndmask_b32_e64 v101, 0, v101, s5
	;; [unrolled: 2-line block ×8, first 2 shown]
.LBB331_1858:                           ;   in Loop: Header=BB331_1065 Depth=1
	s_or_b32 exec_lo, exec_lo, s21
	flat_load_dwordx2 v[26:27], v[24:25] offset:1024
	v_mov_b32_e32 v68, 0
	v_mov_b32_e32 v10, 0
	s_waitcnt vmcnt(0) lgkmcnt(0)
	v_cmp_ne_u16_sdwa s5, v26, v12 src0_sel:BYTE_0 src1_sel:DWORD
	s_and_saveexec_b32 s21, s5
	s_cbranch_execz .LBB331_1866
; %bb.1859:                             ;   in Loop: Header=BB331_1065 Depth=1
	v_cmp_ne_u16_sdwa s5, v26, v67 src0_sel:BYTE_0 src1_sel:DWORD
	v_bfrev_b32_e32 v10, 1
	s_and_saveexec_b32 s22, s5
	s_cbranch_execz .LBB331_1865
; %bb.1860:                             ;   in Loop: Header=BB331_1065 Depth=1
	v_and_b32_e32 v11, 0x7f, v26
	v_mov_b32_e32 v10, 0x7f800001
	s_mov_b32 s23, exec_lo
	v_cmpx_ne_u32_e32 0x7f, v11
	s_cbranch_execz .LBB331_1864
; %bb.1861:                             ;   in Loop: Header=BB331_1065 Depth=1
	v_lshrrev_b32_e32 v28, 3, v11
	v_cmp_gt_u32_e64 s5, 8, v11
	v_mov_b32_e32 v10, v26
	v_mov_b32_e32 v11, v27
	s_and_saveexec_b32 s24, s5
; %bb.1862:                             ;   in Loop: Header=BB331_1065 Depth=1
	v_and_b32_e32 v10, 7, v26
	v_ffbh_u32_e32 v10, v10
	v_min_u32_e32 v28, 32, v10
	v_subrev_nc_u32_e32 v10, 28, v28
	v_sub_nc_u32_e32 v28, 29, v28
	v_lshlrev_b64 v[10:11], v10, v[26:27]
; %bb.1863:                             ;   in Loop: Header=BB331_1065 Depth=1
	s_or_b32 exec_lo, exec_lo, s24
	v_lshlrev_b32_e32 v10, 20, v10
	v_lshlrev_b32_e32 v11, 24, v26
	v_lshl_add_u32 v28, v28, 23, 0x3c000000
	v_and_b32_e32 v10, 0x700000, v10
	v_and_b32_e32 v11, 0x80000000, v11
	v_or3_b32 v10, v10, v11, v28
.LBB331_1864:                           ;   in Loop: Header=BB331_1065 Depth=1
	s_or_b32 exec_lo, exec_lo, s23
.LBB331_1865:                           ;   in Loop: Header=BB331_1065 Depth=1
	s_or_b32 exec_lo, exec_lo, s22
.LBB331_1866:                           ;   in Loop: Header=BB331_1065 Depth=1
	s_or_b32 exec_lo, exec_lo, s21
	v_cmp_ne_u16_sdwa s5, v26, v12 src0_sel:BYTE_1 src1_sel:DWORD
	s_and_saveexec_b32 s21, s5
	s_cbranch_execz .LBB331_1874
; %bb.1867:                             ;   in Loop: Header=BB331_1065 Depth=1
	v_cmp_ne_u16_sdwa s5, v26, v67 src0_sel:BYTE_1 src1_sel:DWORD
	v_bfrev_b32_e32 v68, 1
	s_and_saveexec_b32 s22, s5
	s_cbranch_execz .LBB331_1873
; %bb.1868:                             ;   in Loop: Header=BB331_1065 Depth=1
	v_mov_b32_e32 v11, 0xffff
	v_mov_b32_e32 v68, 0x7f800001
	s_mov_b32 s23, exec_lo
	v_and_b32_sdwa v11, v11, v26 dst_sel:DWORD dst_unused:UNUSED_PAD src0_sel:DWORD src1_sel:BYTE_1
	v_and_b32_e32 v28, 0x7f, v11
	v_cmpx_ne_u32_e32 0x7f, v28
	s_cbranch_execz .LBB331_1872
; %bb.1869:                             ;   in Loop: Header=BB331_1065 Depth=1
	v_and_b32_e32 v11, 7, v11
	v_lshrrev_b32_e32 v68, 3, v28
	v_cmp_gt_u32_e64 s5, 8, v28
	v_mov_b32_e32 v29, v12
	v_mov_b32_e32 v28, v11
	s_and_saveexec_b32 s24, s5
; %bb.1870:                             ;   in Loop: Header=BB331_1065 Depth=1
	v_ffbh_u32_e32 v28, v11
	v_min_u32_e32 v68, 32, v28
	v_subrev_nc_u32_e32 v28, 28, v68
	v_sub_nc_u32_e32 v68, 29, v68
	v_lshlrev_b64 v[28:29], v28, v[11:12]
	v_and_b32_e32 v28, 7, v28
; %bb.1871:                             ;   in Loop: Header=BB331_1065 Depth=1
	s_or_b32 exec_lo, exec_lo, s24
	v_lshlrev_b32_e32 v11, 16, v26
	v_lshlrev_b32_e32 v28, 20, v28
	v_lshl_add_u32 v29, v68, 23, 0x3c000000
	v_and_b32_e32 v11, 0x80000000, v11
	v_or3_b32 v68, v28, v11, v29
.LBB331_1872:                           ;   in Loop: Header=BB331_1065 Depth=1
	s_or_b32 exec_lo, exec_lo, s23
.LBB331_1873:                           ;   in Loop: Header=BB331_1065 Depth=1
	s_or_b32 exec_lo, exec_lo, s22
.LBB331_1874:                           ;   in Loop: Header=BB331_1065 Depth=1
	s_or_b32 exec_lo, exec_lo, s21
	v_and_b32_sdwa v11, v26, v69 dst_sel:DWORD dst_unused:UNUSED_PAD src0_sel:WORD_1 src1_sel:DWORD
	v_mov_b32_e32 v71, 0
	v_mov_b32_e32 v70, 0
	s_mov_b32 s21, exec_lo
	v_cmpx_ne_u16_e32 0, v11
	s_cbranch_execz .LBB331_1882
; %bb.1875:                             ;   in Loop: Header=BB331_1065 Depth=1
	v_bfrev_b32_e32 v70, 1
	s_mov_b32 s22, exec_lo
	v_cmpx_ne_u16_e32 0x80, v11
	s_cbranch_execz .LBB331_1881
; %bb.1876:                             ;   in Loop: Header=BB331_1065 Depth=1
	v_bfe_u32 v28, v26, 16, 7
	v_mov_b32_e32 v70, 0x7f800001
	s_mov_b32 s23, exec_lo
	v_cmpx_ne_u32_e32 0x7f, v28
	s_cbranch_execz .LBB331_1880
; %bb.1877:                             ;   in Loop: Header=BB331_1065 Depth=1
	v_mov_b32_e32 v11, 7
	v_lshrrev_b32_e32 v70, 3, v28
	v_cmp_gt_u32_e64 s5, 8, v28
	v_and_b32_sdwa v11, v26, v11 dst_sel:DWORD dst_unused:UNUSED_PAD src0_sel:WORD_1 src1_sel:DWORD
	v_mov_b32_e32 v29, v12
	v_mov_b32_e32 v28, v11
	s_and_saveexec_b32 s24, s5
; %bb.1878:                             ;   in Loop: Header=BB331_1065 Depth=1
	v_ffbh_u32_e32 v28, v11
	v_min_u32_e32 v70, 32, v28
	v_subrev_nc_u32_e32 v28, 28, v70
	v_sub_nc_u32_e32 v70, 29, v70
	v_lshlrev_b64 v[28:29], v28, v[11:12]
	v_and_b32_e32 v28, 7, v28
; %bb.1879:                             ;   in Loop: Header=BB331_1065 Depth=1
	s_or_b32 exec_lo, exec_lo, s24
	v_mov_b32_e32 v11, 24
	v_lshlrev_b32_e32 v28, 20, v28
	v_lshl_add_u32 v29, v70, 23, 0x3c000000
	v_lshlrev_b32_sdwa v11, v11, v26 dst_sel:DWORD dst_unused:UNUSED_PAD src0_sel:DWORD src1_sel:WORD_1
	v_and_b32_e32 v11, 0x80000000, v11
	v_or3_b32 v70, v28, v11, v29
.LBB331_1880:                           ;   in Loop: Header=BB331_1065 Depth=1
	s_or_b32 exec_lo, exec_lo, s23
.LBB331_1881:                           ;   in Loop: Header=BB331_1065 Depth=1
	s_or_b32 exec_lo, exec_lo, s22
.LBB331_1882:                           ;   in Loop: Header=BB331_1065 Depth=1
	s_or_b32 exec_lo, exec_lo, s21
	s_mov_b32 s21, exec_lo
	v_cmpx_lt_u32_e32 0xffffff, v26
	s_cbranch_execz .LBB331_1890
; %bb.1883:                             ;   in Loop: Header=BB331_1065 Depth=1
	v_cmp_ne_u32_sdwa s5, v26, v67 src0_sel:BYTE_3 src1_sel:DWORD
	v_bfrev_b32_e32 v71, 1
	s_and_saveexec_b32 s22, s5
	s_cbranch_execz .LBB331_1889
; %bb.1884:                             ;   in Loop: Header=BB331_1065 Depth=1
	v_bfe_u32 v28, v26, 24, 7
	v_mov_b32_e32 v71, 0x7f800001
	s_mov_b32 s23, exec_lo
	v_cmpx_ne_u32_e32 0x7f, v28
	s_cbranch_execz .LBB331_1888
; %bb.1885:                             ;   in Loop: Header=BB331_1065 Depth=1
	v_mov_b32_e32 v11, 7
	v_lshrrev_b32_e32 v71, 3, v28
	v_cmp_gt_u32_e64 s5, 8, v28
	v_and_b32_sdwa v11, v26, v11 dst_sel:DWORD dst_unused:UNUSED_PAD src0_sel:BYTE_3 src1_sel:DWORD
	v_mov_b32_e32 v29, v12
	v_mov_b32_e32 v28, v11
	s_and_saveexec_b32 s24, s5
; %bb.1886:                             ;   in Loop: Header=BB331_1065 Depth=1
	v_ffbh_u32_e32 v28, v11
	v_min_u32_e32 v71, 32, v28
	v_subrev_nc_u32_e32 v28, 28, v71
	v_sub_nc_u32_e32 v71, 29, v71
	v_lshlrev_b64 v[28:29], v28, v[11:12]
	v_and_b32_e32 v28, 7, v28
; %bb.1887:                             ;   in Loop: Header=BB331_1065 Depth=1
	s_or_b32 exec_lo, exec_lo, s24
	v_mov_b32_e32 v11, 24
	v_lshlrev_b32_e32 v28, 20, v28
	v_lshl_add_u32 v29, v71, 23, 0x3c000000
	v_lshlrev_b32_sdwa v11, v11, v26 dst_sel:DWORD dst_unused:UNUSED_PAD src0_sel:DWORD src1_sel:BYTE_3
	v_and_b32_e32 v11, 0x80000000, v11
	v_or3_b32 v71, v28, v11, v29
.LBB331_1888:                           ;   in Loop: Header=BB331_1065 Depth=1
	s_or_b32 exec_lo, exec_lo, s23
.LBB331_1889:                           ;   in Loop: Header=BB331_1065 Depth=1
	s_or_b32 exec_lo, exec_lo, s22
.LBB331_1890:                           ;   in Loop: Header=BB331_1065 Depth=1
	s_or_b32 exec_lo, exec_lo, s21
	v_mov_b32_e32 v11, v27
	v_cmp_ne_u16_sdwa s5, v27, v12 src0_sel:BYTE_0 src1_sel:DWORD
	v_mov_b32_e32 v113, 0
	v_mov_b32_e32 v114, 0
	s_and_saveexec_b32 s21, s5
	s_cbranch_execz .LBB331_1898
; %bb.1891:                             ;   in Loop: Header=BB331_1065 Depth=1
	v_cmp_ne_u16_sdwa s5, v27, v67 src0_sel:BYTE_0 src1_sel:DWORD
	v_bfrev_b32_e32 v114, 1
	s_and_saveexec_b32 s22, s5
	s_cbranch_execz .LBB331_1897
; %bb.1892:                             ;   in Loop: Header=BB331_1065 Depth=1
	v_and_b32_e32 v28, 0x7f, v27
	v_mov_b32_e32 v114, 0x7f800001
	s_mov_b32 s23, exec_lo
	v_cmpx_ne_u32_e32 0x7f, v28
	s_cbranch_execz .LBB331_1896
; %bb.1893:                             ;   in Loop: Header=BB331_1065 Depth=1
	v_lshrrev_b32_e32 v114, 3, v28
	v_cmp_gt_u32_e64 s5, 8, v28
	v_mov_b32_e32 v29, v12
	v_mov_b32_e32 v28, v11
	s_and_saveexec_b32 s24, s5
; %bb.1894:                             ;   in Loop: Header=BB331_1065 Depth=1
	v_and_b32_e32 v28, 7, v27
	v_ffbh_u32_e32 v28, v28
	v_min_u32_e32 v114, 32, v28
	v_subrev_nc_u32_e32 v28, 28, v114
	v_sub_nc_u32_e32 v114, 29, v114
	v_lshlrev_b64 v[28:29], v28, v[11:12]
; %bb.1895:                             ;   in Loop: Header=BB331_1065 Depth=1
	s_or_b32 exec_lo, exec_lo, s24
	v_lshlrev_b32_e32 v28, 20, v28
	v_lshlrev_b32_e32 v29, 24, v11
	v_lshl_add_u32 v114, v114, 23, 0x3c000000
	v_and_b32_e32 v28, 0x700000, v28
	v_and_b32_e32 v29, 0x80000000, v29
	v_or3_b32 v114, v28, v29, v114
.LBB331_1896:                           ;   in Loop: Header=BB331_1065 Depth=1
	s_or_b32 exec_lo, exec_lo, s23
.LBB331_1897:                           ;   in Loop: Header=BB331_1065 Depth=1
	s_or_b32 exec_lo, exec_lo, s22
.LBB331_1898:                           ;   in Loop: Header=BB331_1065 Depth=1
	s_or_b32 exec_lo, exec_lo, s21
	v_cmp_ne_u16_sdwa s5, v11, v12 src0_sel:BYTE_1 src1_sel:DWORD
	s_and_saveexec_b32 s21, s5
	s_cbranch_execz .LBB331_1906
; %bb.1899:                             ;   in Loop: Header=BB331_1065 Depth=1
	v_cmp_ne_u16_sdwa s5, v11, v67 src0_sel:BYTE_1 src1_sel:DWORD
	v_bfrev_b32_e32 v113, 1
	s_and_saveexec_b32 s22, s5
	s_cbranch_execz .LBB331_1905
; %bb.1900:                             ;   in Loop: Header=BB331_1065 Depth=1
	v_mov_b32_e32 v28, 0xffff
	v_mov_b32_e32 v113, 0x7f800001
	s_mov_b32 s23, exec_lo
	v_and_b32_sdwa v28, v28, v11 dst_sel:DWORD dst_unused:UNUSED_PAD src0_sel:DWORD src1_sel:BYTE_1
	v_and_b32_e32 v115, 0x7f, v28
	v_cmpx_ne_u32_e32 0x7f, v115
	s_cbranch_execz .LBB331_1904
; %bb.1901:                             ;   in Loop: Header=BB331_1065 Depth=1
	v_and_b32_e32 v28, 7, v28
	v_mov_b32_e32 v29, v12
	v_lshrrev_b32_e32 v113, 3, v115
	s_mov_b32 s24, exec_lo
	v_cmpx_gt_u32_e32 8, v115
; %bb.1902:                             ;   in Loop: Header=BB331_1065 Depth=1
	v_ffbh_u32_e32 v113, v28
	v_min_u32_e32 v113, 32, v113
	v_subrev_nc_u32_e32 v115, 28, v113
	v_sub_nc_u32_e32 v113, 29, v113
	v_lshlrev_b64 v[28:29], v115, v[28:29]
	v_and_b32_e32 v28, 7, v28
; %bb.1903:                             ;   in Loop: Header=BB331_1065 Depth=1
	s_or_b32 exec_lo, exec_lo, s24
	v_lshlrev_b32_e32 v11, 16, v11
	v_lshlrev_b32_e32 v28, 20, v28
	v_lshl_add_u32 v29, v113, 23, 0x3c000000
	v_and_b32_e32 v11, 0x80000000, v11
	v_or3_b32 v113, v28, v11, v29
.LBB331_1904:                           ;   in Loop: Header=BB331_1065 Depth=1
	s_or_b32 exec_lo, exec_lo, s23
.LBB331_1905:                           ;   in Loop: Header=BB331_1065 Depth=1
	s_or_b32 exec_lo, exec_lo, s22
.LBB331_1906:                           ;   in Loop: Header=BB331_1065 Depth=1
	s_or_b32 exec_lo, exec_lo, s21
	v_and_b32_sdwa v11, v27, v69 dst_sel:DWORD dst_unused:UNUSED_PAD src0_sel:WORD_1 src1_sel:DWORD
	v_mov_b32_e32 v40, 0
	v_mov_b32_e32 v118, 0
	s_mov_b32 s21, exec_lo
	v_cmpx_ne_u16_e32 0, v11
	s_cbranch_execz .LBB331_1914
; %bb.1907:                             ;   in Loop: Header=BB331_1065 Depth=1
	v_bfrev_b32_e32 v118, 1
	s_mov_b32 s22, exec_lo
	v_cmpx_ne_u16_e32 0x80, v11
	s_cbranch_execz .LBB331_1913
; %bb.1908:                             ;   in Loop: Header=BB331_1065 Depth=1
	v_bfe_u32 v28, v27, 16, 7
	v_mov_b32_e32 v118, 0x7f800001
	s_mov_b32 s23, exec_lo
	v_cmpx_ne_u32_e32 0x7f, v28
	s_cbranch_execz .LBB331_1912
; %bb.1909:                             ;   in Loop: Header=BB331_1065 Depth=1
	v_mov_b32_e32 v11, 7
	v_lshrrev_b32_e32 v115, 3, v28
	v_cmp_gt_u32_e64 s5, 8, v28
	v_and_b32_sdwa v11, v27, v11 dst_sel:DWORD dst_unused:UNUSED_PAD src0_sel:WORD_1 src1_sel:DWORD
	v_mov_b32_e32 v29, v12
	v_mov_b32_e32 v28, v11
	s_and_saveexec_b32 s24, s5
; %bb.1910:                             ;   in Loop: Header=BB331_1065 Depth=1
	v_ffbh_u32_e32 v28, v11
	v_min_u32_e32 v115, 32, v28
	v_subrev_nc_u32_e32 v28, 28, v115
	v_sub_nc_u32_e32 v115, 29, v115
	v_lshlrev_b64 v[28:29], v28, v[11:12]
	v_and_b32_e32 v28, 7, v28
; %bb.1911:                             ;   in Loop: Header=BB331_1065 Depth=1
	s_or_b32 exec_lo, exec_lo, s24
	v_mov_b32_e32 v11, 24
	v_lshlrev_b32_e32 v28, 20, v28
	v_lshl_add_u32 v29, v115, 23, 0x3c000000
	v_lshlrev_b32_sdwa v11, v11, v27 dst_sel:DWORD dst_unused:UNUSED_PAD src0_sel:DWORD src1_sel:WORD_1
	v_and_b32_e32 v11, 0x80000000, v11
	v_or3_b32 v118, v28, v11, v29
.LBB331_1912:                           ;   in Loop: Header=BB331_1065 Depth=1
	s_or_b32 exec_lo, exec_lo, s23
.LBB331_1913:                           ;   in Loop: Header=BB331_1065 Depth=1
	s_or_b32 exec_lo, exec_lo, s22
.LBB331_1914:                           ;   in Loop: Header=BB331_1065 Depth=1
	s_or_b32 exec_lo, exec_lo, s21
	s_mov_b32 s21, exec_lo
	v_cmpx_lt_u64_e64 s[6:7], v[26:27]
	s_cbranch_execz .LBB331_1922
; %bb.1915:                             ;   in Loop: Header=BB331_1065 Depth=1
	v_cmp_ne_u32_sdwa s5, v27, v67 src0_sel:BYTE_3 src1_sel:DWORD
	v_bfrev_b32_e32 v40, 1
	s_and_saveexec_b32 s22, s5
	s_cbranch_execz .LBB331_1921
; %bb.1916:                             ;   in Loop: Header=BB331_1065 Depth=1
	v_bfe_u32 v28, v27, 24, 7
	v_mov_b32_e32 v40, 0x7f800001
	s_mov_b32 s23, exec_lo
	v_cmpx_ne_u32_e32 0x7f, v28
	s_cbranch_execz .LBB331_1920
; %bb.1917:                             ;   in Loop: Header=BB331_1065 Depth=1
	v_mov_b32_e32 v11, 7
	v_lshrrev_b32_e32 v26, 3, v28
	v_cmp_gt_u32_e64 s5, 8, v28
	v_and_b32_sdwa v11, v27, v11 dst_sel:DWORD dst_unused:UNUSED_PAD src0_sel:BYTE_3 src1_sel:DWORD
	v_mov_b32_e32 v29, v12
	v_mov_b32_e32 v28, v11
	s_and_saveexec_b32 s24, s5
; %bb.1918:                             ;   in Loop: Header=BB331_1065 Depth=1
	v_ffbh_u32_e32 v26, v11
	v_min_u32_e32 v26, 32, v26
	v_subrev_nc_u32_e32 v28, 28, v26
	v_sub_nc_u32_e32 v26, 29, v26
	v_lshlrev_b64 v[28:29], v28, v[11:12]
	v_and_b32_e32 v28, 7, v28
; %bb.1919:                             ;   in Loop: Header=BB331_1065 Depth=1
	s_or_b32 exec_lo, exec_lo, s24
	v_mov_b32_e32 v11, 24
	v_lshl_add_u32 v26, v26, 23, 0x3c000000
	v_lshlrev_b32_sdwa v11, v11, v27 dst_sel:DWORD dst_unused:UNUSED_PAD src0_sel:DWORD src1_sel:BYTE_3
	v_lshlrev_b32_e32 v27, 20, v28
	v_and_b32_e32 v11, 0x80000000, v11
	v_or3_b32 v40, v27, v11, v26
.LBB331_1920:                           ;   in Loop: Header=BB331_1065 Depth=1
	s_or_b32 exec_lo, exec_lo, s23
.LBB331_1921:                           ;   in Loop: Header=BB331_1065 Depth=1
	s_or_b32 exec_lo, exec_lo, s22
.LBB331_1922:                           ;   in Loop: Header=BB331_1065 Depth=1
	s_or_b32 exec_lo, exec_lo, s21
	v_mul_f32_e32 v11, v72, v113
	v_mul_f32_e32 v10, v72, v10
	v_bfe_u32 v26, v11, 16, 1
	v_or_b32_e32 v27, 0x400000, v11
	v_cmp_u_f32_e64 s5, v11, v11
	v_add3_u32 v26, v26, v11, 0x7fff
	v_cndmask_b32_e64 v11, v26, v27, s5
	v_lshrrev_b32_e32 v113, 16, v11
	v_mul_f32_e32 v11, v72, v114
	v_bfe_u32 v26, v11, 16, 1
	v_or_b32_e32 v27, 0x400000, v11
	v_cmp_u_f32_e64 s5, v11, v11
	v_add3_u32 v26, v26, v11, 0x7fff
	v_cndmask_b32_e64 v11, v26, v27, s5
	v_lshrrev_b32_e32 v114, 16, v11
	;; [unrolled: 7-line block ×4, first 2 shown]
	v_mul_f32_e32 v11, v72, v68
	v_bfe_u32 v26, v11, 16, 1
	v_or_b32_e32 v27, 0x400000, v11
	v_cmp_u_f32_e64 s5, v11, v11
	v_add3_u32 v26, v26, v11, 0x7fff
	v_cndmask_b32_e64 v11, v26, v27, s5
	v_or_b32_e32 v26, 0x400000, v10
	v_cmp_u_f32_e64 s5, v10, v10
	v_lshrrev_b32_e32 v117, 16, v11
	v_bfe_u32 v11, v10, 16, 1
	v_add3_u32 v11, v11, v10, 0x7fff
	v_cndmask_b32_e64 v10, v11, v26, s5
	v_lshrrev_b32_e32 v119, 16, v10
	v_mul_f32_e32 v10, v72, v118
	v_bfe_u32 v11, v10, 16, 1
	v_or_b32_e32 v26, 0x400000, v10
	v_cmp_u_f32_e64 s5, v10, v10
	v_add3_u32 v11, v11, v10, 0x7fff
	v_cndmask_b32_e64 v10, v11, v26, s5
	v_lshrrev_b32_e32 v118, 16, v10
	v_mul_f32_e32 v10, v72, v40
	v_bfe_u32 v11, v10, 16, 1
	v_or_b32_e32 v26, 0x400000, v10
	v_cmp_u_f32_e64 s5, v10, v10
	v_add3_u32 v11, v11, v10, 0x7fff
	v_cndmask_b32_e64 v10, v11, v26, s5
	v_lshrrev_b32_e32 v40, 16, v10
	s_and_saveexec_b32 s21, vcc_lo
	s_cbranch_execz .LBB331_1924
; %bb.1923:                             ;   in Loop: Header=BB331_1065 Depth=1
	v_cmp_lt_i32_e64 s5, v75, v82
	v_cndmask_b32_e64 v119, 0, v119, s5
	v_cmp_lt_i32_e64 s5, v90, v82
	v_cndmask_b32_e64 v117, 0, v117, s5
	;; [unrolled: 2-line block ×8, first 2 shown]
.LBB331_1924:                           ;   in Loop: Header=BB331_1065 Depth=1
	s_or_b32 exec_lo, exec_lo, s21
	flat_load_dwordx2 v[26:27], v[24:25] offset:1280
	v_mov_b32_e32 v68, 0
	v_mov_b32_e32 v10, 0
	s_waitcnt vmcnt(0) lgkmcnt(0)
	v_cmp_ne_u16_sdwa s5, v26, v12 src0_sel:BYTE_0 src1_sel:DWORD
	s_and_saveexec_b32 s21, s5
	s_cbranch_execz .LBB331_1932
; %bb.1925:                             ;   in Loop: Header=BB331_1065 Depth=1
	v_cmp_ne_u16_sdwa s5, v26, v67 src0_sel:BYTE_0 src1_sel:DWORD
	v_bfrev_b32_e32 v10, 1
	s_and_saveexec_b32 s22, s5
	s_cbranch_execz .LBB331_1931
; %bb.1926:                             ;   in Loop: Header=BB331_1065 Depth=1
	v_and_b32_e32 v11, 0x7f, v26
	v_mov_b32_e32 v10, 0x7f800001
	s_mov_b32 s23, exec_lo
	v_cmpx_ne_u32_e32 0x7f, v11
	s_cbranch_execz .LBB331_1930
; %bb.1927:                             ;   in Loop: Header=BB331_1065 Depth=1
	v_lshrrev_b32_e32 v28, 3, v11
	v_cmp_gt_u32_e64 s5, 8, v11
	v_mov_b32_e32 v10, v26
	v_mov_b32_e32 v11, v27
	s_and_saveexec_b32 s24, s5
; %bb.1928:                             ;   in Loop: Header=BB331_1065 Depth=1
	v_and_b32_e32 v10, 7, v26
	v_ffbh_u32_e32 v10, v10
	v_min_u32_e32 v28, 32, v10
	v_subrev_nc_u32_e32 v10, 28, v28
	v_sub_nc_u32_e32 v28, 29, v28
	v_lshlrev_b64 v[10:11], v10, v[26:27]
; %bb.1929:                             ;   in Loop: Header=BB331_1065 Depth=1
	s_or_b32 exec_lo, exec_lo, s24
	v_lshlrev_b32_e32 v10, 20, v10
	v_lshlrev_b32_e32 v11, 24, v26
	v_lshl_add_u32 v28, v28, 23, 0x3c000000
	v_and_b32_e32 v10, 0x700000, v10
	v_and_b32_e32 v11, 0x80000000, v11
	v_or3_b32 v10, v10, v11, v28
.LBB331_1930:                           ;   in Loop: Header=BB331_1065 Depth=1
	s_or_b32 exec_lo, exec_lo, s23
.LBB331_1931:                           ;   in Loop: Header=BB331_1065 Depth=1
	s_or_b32 exec_lo, exec_lo, s22
.LBB331_1932:                           ;   in Loop: Header=BB331_1065 Depth=1
	s_or_b32 exec_lo, exec_lo, s21
	v_cmp_ne_u16_sdwa s5, v26, v12 src0_sel:BYTE_1 src1_sel:DWORD
	s_and_saveexec_b32 s21, s5
	s_cbranch_execz .LBB331_1940
; %bb.1933:                             ;   in Loop: Header=BB331_1065 Depth=1
	v_cmp_ne_u16_sdwa s5, v26, v67 src0_sel:BYTE_1 src1_sel:DWORD
	v_bfrev_b32_e32 v68, 1
	s_and_saveexec_b32 s22, s5
	s_cbranch_execz .LBB331_1939
; %bb.1934:                             ;   in Loop: Header=BB331_1065 Depth=1
	v_mov_b32_e32 v11, 0xffff
	v_mov_b32_e32 v68, 0x7f800001
	s_mov_b32 s23, exec_lo
	v_and_b32_sdwa v11, v11, v26 dst_sel:DWORD dst_unused:UNUSED_PAD src0_sel:DWORD src1_sel:BYTE_1
	v_and_b32_e32 v28, 0x7f, v11
	v_cmpx_ne_u32_e32 0x7f, v28
	s_cbranch_execz .LBB331_1938
; %bb.1935:                             ;   in Loop: Header=BB331_1065 Depth=1
	v_and_b32_e32 v11, 7, v11
	v_lshrrev_b32_e32 v68, 3, v28
	v_cmp_gt_u32_e64 s5, 8, v28
	v_mov_b32_e32 v29, v12
	v_mov_b32_e32 v28, v11
	s_and_saveexec_b32 s24, s5
; %bb.1936:                             ;   in Loop: Header=BB331_1065 Depth=1
	v_ffbh_u32_e32 v28, v11
	v_min_u32_e32 v68, 32, v28
	v_subrev_nc_u32_e32 v28, 28, v68
	v_sub_nc_u32_e32 v68, 29, v68
	v_lshlrev_b64 v[28:29], v28, v[11:12]
	v_and_b32_e32 v28, 7, v28
; %bb.1937:                             ;   in Loop: Header=BB331_1065 Depth=1
	s_or_b32 exec_lo, exec_lo, s24
	v_lshlrev_b32_e32 v11, 16, v26
	v_lshlrev_b32_e32 v28, 20, v28
	v_lshl_add_u32 v29, v68, 23, 0x3c000000
	v_and_b32_e32 v11, 0x80000000, v11
	v_or3_b32 v68, v28, v11, v29
.LBB331_1938:                           ;   in Loop: Header=BB331_1065 Depth=1
	s_or_b32 exec_lo, exec_lo, s23
.LBB331_1939:                           ;   in Loop: Header=BB331_1065 Depth=1
	s_or_b32 exec_lo, exec_lo, s22
.LBB331_1940:                           ;   in Loop: Header=BB331_1065 Depth=1
	s_or_b32 exec_lo, exec_lo, s21
	v_and_b32_sdwa v11, v26, v69 dst_sel:DWORD dst_unused:UNUSED_PAD src0_sel:WORD_1 src1_sel:DWORD
	v_mov_b32_e32 v71, 0
	v_mov_b32_e32 v70, 0
	s_mov_b32 s21, exec_lo
	v_cmpx_ne_u16_e32 0, v11
	s_cbranch_execz .LBB331_1948
; %bb.1941:                             ;   in Loop: Header=BB331_1065 Depth=1
	v_bfrev_b32_e32 v70, 1
	s_mov_b32 s22, exec_lo
	v_cmpx_ne_u16_e32 0x80, v11
	s_cbranch_execz .LBB331_1947
; %bb.1942:                             ;   in Loop: Header=BB331_1065 Depth=1
	v_bfe_u32 v28, v26, 16, 7
	v_mov_b32_e32 v70, 0x7f800001
	s_mov_b32 s23, exec_lo
	v_cmpx_ne_u32_e32 0x7f, v28
	s_cbranch_execz .LBB331_1946
; %bb.1943:                             ;   in Loop: Header=BB331_1065 Depth=1
	v_mov_b32_e32 v11, 7
	v_lshrrev_b32_e32 v70, 3, v28
	v_cmp_gt_u32_e64 s5, 8, v28
	v_and_b32_sdwa v11, v26, v11 dst_sel:DWORD dst_unused:UNUSED_PAD src0_sel:WORD_1 src1_sel:DWORD
	v_mov_b32_e32 v29, v12
	v_mov_b32_e32 v28, v11
	s_and_saveexec_b32 s24, s5
; %bb.1944:                             ;   in Loop: Header=BB331_1065 Depth=1
	v_ffbh_u32_e32 v28, v11
	v_min_u32_e32 v70, 32, v28
	v_subrev_nc_u32_e32 v28, 28, v70
	v_sub_nc_u32_e32 v70, 29, v70
	v_lshlrev_b64 v[28:29], v28, v[11:12]
	v_and_b32_e32 v28, 7, v28
; %bb.1945:                             ;   in Loop: Header=BB331_1065 Depth=1
	s_or_b32 exec_lo, exec_lo, s24
	v_mov_b32_e32 v11, 24
	v_lshlrev_b32_e32 v28, 20, v28
	v_lshl_add_u32 v29, v70, 23, 0x3c000000
	v_lshlrev_b32_sdwa v11, v11, v26 dst_sel:DWORD dst_unused:UNUSED_PAD src0_sel:DWORD src1_sel:WORD_1
	v_and_b32_e32 v11, 0x80000000, v11
	v_or3_b32 v70, v28, v11, v29
.LBB331_1946:                           ;   in Loop: Header=BB331_1065 Depth=1
	s_or_b32 exec_lo, exec_lo, s23
.LBB331_1947:                           ;   in Loop: Header=BB331_1065 Depth=1
	s_or_b32 exec_lo, exec_lo, s22
.LBB331_1948:                           ;   in Loop: Header=BB331_1065 Depth=1
	s_or_b32 exec_lo, exec_lo, s21
	s_mov_b32 s21, exec_lo
	v_cmpx_lt_u32_e32 0xffffff, v26
	s_cbranch_execz .LBB331_1956
; %bb.1949:                             ;   in Loop: Header=BB331_1065 Depth=1
	v_cmp_ne_u32_sdwa s5, v26, v67 src0_sel:BYTE_3 src1_sel:DWORD
	v_bfrev_b32_e32 v71, 1
	s_and_saveexec_b32 s22, s5
	s_cbranch_execz .LBB331_1955
; %bb.1950:                             ;   in Loop: Header=BB331_1065 Depth=1
	v_bfe_u32 v28, v26, 24, 7
	v_mov_b32_e32 v71, 0x7f800001
	s_mov_b32 s23, exec_lo
	v_cmpx_ne_u32_e32 0x7f, v28
	s_cbranch_execz .LBB331_1954
; %bb.1951:                             ;   in Loop: Header=BB331_1065 Depth=1
	v_mov_b32_e32 v11, 7
	v_lshrrev_b32_e32 v71, 3, v28
	v_cmp_gt_u32_e64 s5, 8, v28
	v_and_b32_sdwa v11, v26, v11 dst_sel:DWORD dst_unused:UNUSED_PAD src0_sel:BYTE_3 src1_sel:DWORD
	v_mov_b32_e32 v29, v12
	v_mov_b32_e32 v28, v11
	s_and_saveexec_b32 s24, s5
; %bb.1952:                             ;   in Loop: Header=BB331_1065 Depth=1
	v_ffbh_u32_e32 v28, v11
	v_min_u32_e32 v71, 32, v28
	v_subrev_nc_u32_e32 v28, 28, v71
	v_sub_nc_u32_e32 v71, 29, v71
	v_lshlrev_b64 v[28:29], v28, v[11:12]
	v_and_b32_e32 v28, 7, v28
; %bb.1953:                             ;   in Loop: Header=BB331_1065 Depth=1
	s_or_b32 exec_lo, exec_lo, s24
	v_mov_b32_e32 v11, 24
	v_lshlrev_b32_e32 v28, 20, v28
	v_lshl_add_u32 v29, v71, 23, 0x3c000000
	v_lshlrev_b32_sdwa v11, v11, v26 dst_sel:DWORD dst_unused:UNUSED_PAD src0_sel:DWORD src1_sel:BYTE_3
	v_and_b32_e32 v11, 0x80000000, v11
	v_or3_b32 v71, v28, v11, v29
.LBB331_1954:                           ;   in Loop: Header=BB331_1065 Depth=1
	s_or_b32 exec_lo, exec_lo, s23
.LBB331_1955:                           ;   in Loop: Header=BB331_1065 Depth=1
	s_or_b32 exec_lo, exec_lo, s22
.LBB331_1956:                           ;   in Loop: Header=BB331_1065 Depth=1
	s_or_b32 exec_lo, exec_lo, s21
	v_mov_b32_e32 v11, v27
	v_cmp_ne_u16_sdwa s5, v27, v12 src0_sel:BYTE_0 src1_sel:DWORD
	v_mov_b32_e32 v41, 0
	v_mov_b32_e32 v42, 0
	s_and_saveexec_b32 s21, s5
	s_cbranch_execz .LBB331_1964
; %bb.1957:                             ;   in Loop: Header=BB331_1065 Depth=1
	v_cmp_ne_u16_sdwa s5, v27, v67 src0_sel:BYTE_0 src1_sel:DWORD
	v_bfrev_b32_e32 v42, 1
	s_and_saveexec_b32 s22, s5
	s_cbranch_execz .LBB331_1963
; %bb.1958:                             ;   in Loop: Header=BB331_1065 Depth=1
	v_and_b32_e32 v28, 0x7f, v27
	v_mov_b32_e32 v42, 0x7f800001
	s_mov_b32 s23, exec_lo
	v_cmpx_ne_u32_e32 0x7f, v28
	s_cbranch_execz .LBB331_1962
; %bb.1959:                             ;   in Loop: Header=BB331_1065 Depth=1
	v_lshrrev_b32_e32 v42, 3, v28
	v_cmp_gt_u32_e64 s5, 8, v28
	v_mov_b32_e32 v29, v12
	v_mov_b32_e32 v28, v11
	s_and_saveexec_b32 s24, s5
; %bb.1960:                             ;   in Loop: Header=BB331_1065 Depth=1
	v_and_b32_e32 v28, 7, v27
	v_ffbh_u32_e32 v28, v28
	v_min_u32_e32 v42, 32, v28
	v_subrev_nc_u32_e32 v28, 28, v42
	v_sub_nc_u32_e32 v42, 29, v42
	v_lshlrev_b64 v[28:29], v28, v[11:12]
; %bb.1961:                             ;   in Loop: Header=BB331_1065 Depth=1
	s_or_b32 exec_lo, exec_lo, s24
	v_lshlrev_b32_e32 v28, 20, v28
	v_lshlrev_b32_e32 v29, 24, v11
	v_lshl_add_u32 v42, v42, 23, 0x3c000000
	v_and_b32_e32 v28, 0x700000, v28
	v_and_b32_e32 v29, 0x80000000, v29
	v_or3_b32 v42, v28, v29, v42
.LBB331_1962:                           ;   in Loop: Header=BB331_1065 Depth=1
	s_or_b32 exec_lo, exec_lo, s23
.LBB331_1963:                           ;   in Loop: Header=BB331_1065 Depth=1
	s_or_b32 exec_lo, exec_lo, s22
.LBB331_1964:                           ;   in Loop: Header=BB331_1065 Depth=1
	s_or_b32 exec_lo, exec_lo, s21
	v_cmp_ne_u16_sdwa s5, v11, v12 src0_sel:BYTE_1 src1_sel:DWORD
	s_and_saveexec_b32 s21, s5
	s_cbranch_execz .LBB331_1972
; %bb.1965:                             ;   in Loop: Header=BB331_1065 Depth=1
	v_cmp_ne_u16_sdwa s5, v11, v67 src0_sel:BYTE_1 src1_sel:DWORD
	v_bfrev_b32_e32 v41, 1
	s_and_saveexec_b32 s22, s5
	s_cbranch_execz .LBB331_1971
; %bb.1966:                             ;   in Loop: Header=BB331_1065 Depth=1
	v_mov_b32_e32 v28, 0xffff
	v_mov_b32_e32 v41, 0x7f800001
	s_mov_b32 s23, exec_lo
	v_and_b32_sdwa v28, v28, v11 dst_sel:DWORD dst_unused:UNUSED_PAD src0_sel:DWORD src1_sel:BYTE_1
	v_and_b32_e32 v43, 0x7f, v28
	v_cmpx_ne_u32_e32 0x7f, v43
	s_cbranch_execz .LBB331_1970
; %bb.1967:                             ;   in Loop: Header=BB331_1065 Depth=1
	v_and_b32_e32 v28, 7, v28
	v_mov_b32_e32 v29, v12
	v_lshrrev_b32_e32 v41, 3, v43
	s_mov_b32 s24, exec_lo
	v_cmpx_gt_u32_e32 8, v43
; %bb.1968:                             ;   in Loop: Header=BB331_1065 Depth=1
	v_ffbh_u32_e32 v41, v28
	v_min_u32_e32 v41, 32, v41
	v_subrev_nc_u32_e32 v43, 28, v41
	v_sub_nc_u32_e32 v41, 29, v41
	v_lshlrev_b64 v[28:29], v43, v[28:29]
	v_and_b32_e32 v28, 7, v28
; %bb.1969:                             ;   in Loop: Header=BB331_1065 Depth=1
	s_or_b32 exec_lo, exec_lo, s24
	v_lshlrev_b32_e32 v11, 16, v11
	v_lshlrev_b32_e32 v28, 20, v28
	v_lshl_add_u32 v29, v41, 23, 0x3c000000
	v_and_b32_e32 v11, 0x80000000, v11
	v_or3_b32 v41, v28, v11, v29
.LBB331_1970:                           ;   in Loop: Header=BB331_1065 Depth=1
	s_or_b32 exec_lo, exec_lo, s23
.LBB331_1971:                           ;   in Loop: Header=BB331_1065 Depth=1
	s_or_b32 exec_lo, exec_lo, s22
.LBB331_1972:                           ;   in Loop: Header=BB331_1065 Depth=1
	s_or_b32 exec_lo, exec_lo, s21
	v_and_b32_sdwa v11, v27, v69 dst_sel:DWORD dst_unused:UNUSED_PAD src0_sel:WORD_1 src1_sel:DWORD
	v_mov_b32_e32 v56, 0
	v_mov_b32_e32 v46, 0
	s_mov_b32 s21, exec_lo
	v_cmpx_ne_u16_e32 0, v11
	s_cbranch_execz .LBB331_1980
; %bb.1973:                             ;   in Loop: Header=BB331_1065 Depth=1
	v_bfrev_b32_e32 v46, 1
	s_mov_b32 s22, exec_lo
	v_cmpx_ne_u16_e32 0x80, v11
	s_cbranch_execz .LBB331_1979
; %bb.1974:                             ;   in Loop: Header=BB331_1065 Depth=1
	v_bfe_u32 v28, v27, 16, 7
	v_mov_b32_e32 v46, 0x7f800001
	s_mov_b32 s23, exec_lo
	v_cmpx_ne_u32_e32 0x7f, v28
	s_cbranch_execz .LBB331_1978
; %bb.1975:                             ;   in Loop: Header=BB331_1065 Depth=1
	v_mov_b32_e32 v11, 7
	v_lshrrev_b32_e32 v43, 3, v28
	v_cmp_gt_u32_e64 s5, 8, v28
	v_and_b32_sdwa v11, v27, v11 dst_sel:DWORD dst_unused:UNUSED_PAD src0_sel:WORD_1 src1_sel:DWORD
	v_mov_b32_e32 v29, v12
	v_mov_b32_e32 v28, v11
	s_and_saveexec_b32 s24, s5
; %bb.1976:                             ;   in Loop: Header=BB331_1065 Depth=1
	v_ffbh_u32_e32 v28, v11
	v_min_u32_e32 v43, 32, v28
	v_subrev_nc_u32_e32 v28, 28, v43
	v_sub_nc_u32_e32 v43, 29, v43
	v_lshlrev_b64 v[28:29], v28, v[11:12]
	v_and_b32_e32 v28, 7, v28
; %bb.1977:                             ;   in Loop: Header=BB331_1065 Depth=1
	s_or_b32 exec_lo, exec_lo, s24
	v_mov_b32_e32 v11, 24
	v_lshlrev_b32_e32 v28, 20, v28
	v_lshl_add_u32 v29, v43, 23, 0x3c000000
	v_lshlrev_b32_sdwa v11, v11, v27 dst_sel:DWORD dst_unused:UNUSED_PAD src0_sel:DWORD src1_sel:WORD_1
	v_and_b32_e32 v11, 0x80000000, v11
	v_or3_b32 v46, v28, v11, v29
.LBB331_1978:                           ;   in Loop: Header=BB331_1065 Depth=1
	s_or_b32 exec_lo, exec_lo, s23
.LBB331_1979:                           ;   in Loop: Header=BB331_1065 Depth=1
	s_or_b32 exec_lo, exec_lo, s22
.LBB331_1980:                           ;   in Loop: Header=BB331_1065 Depth=1
	s_or_b32 exec_lo, exec_lo, s21
	s_mov_b32 s21, exec_lo
	v_cmpx_lt_u64_e64 s[6:7], v[26:27]
	s_cbranch_execz .LBB331_1988
; %bb.1981:                             ;   in Loop: Header=BB331_1065 Depth=1
	v_cmp_ne_u32_sdwa s5, v27, v67 src0_sel:BYTE_3 src1_sel:DWORD
	v_bfrev_b32_e32 v56, 1
	s_and_saveexec_b32 s22, s5
	s_cbranch_execz .LBB331_1987
; %bb.1982:                             ;   in Loop: Header=BB331_1065 Depth=1
	v_bfe_u32 v28, v27, 24, 7
	v_mov_b32_e32 v56, 0x7f800001
	s_mov_b32 s23, exec_lo
	v_cmpx_ne_u32_e32 0x7f, v28
	s_cbranch_execz .LBB331_1986
; %bb.1983:                             ;   in Loop: Header=BB331_1065 Depth=1
	v_mov_b32_e32 v11, 7
	v_lshrrev_b32_e32 v26, 3, v28
	v_cmp_gt_u32_e64 s5, 8, v28
	v_and_b32_sdwa v11, v27, v11 dst_sel:DWORD dst_unused:UNUSED_PAD src0_sel:BYTE_3 src1_sel:DWORD
	v_mov_b32_e32 v29, v12
	v_mov_b32_e32 v28, v11
	s_and_saveexec_b32 s24, s5
; %bb.1984:                             ;   in Loop: Header=BB331_1065 Depth=1
	v_ffbh_u32_e32 v26, v11
	v_min_u32_e32 v26, 32, v26
	v_subrev_nc_u32_e32 v28, 28, v26
	v_sub_nc_u32_e32 v26, 29, v26
	v_lshlrev_b64 v[28:29], v28, v[11:12]
	v_and_b32_e32 v28, 7, v28
; %bb.1985:                             ;   in Loop: Header=BB331_1065 Depth=1
	s_or_b32 exec_lo, exec_lo, s24
	v_mov_b32_e32 v11, 24
	v_lshl_add_u32 v26, v26, 23, 0x3c000000
	v_lshlrev_b32_sdwa v11, v11, v27 dst_sel:DWORD dst_unused:UNUSED_PAD src0_sel:DWORD src1_sel:BYTE_3
	v_lshlrev_b32_e32 v27, 20, v28
	v_and_b32_e32 v11, 0x80000000, v11
	v_or3_b32 v56, v27, v11, v26
.LBB331_1986:                           ;   in Loop: Header=BB331_1065 Depth=1
	s_or_b32 exec_lo, exec_lo, s23
.LBB331_1987:                           ;   in Loop: Header=BB331_1065 Depth=1
	s_or_b32 exec_lo, exec_lo, s22
.LBB331_1988:                           ;   in Loop: Header=BB331_1065 Depth=1
	s_or_b32 exec_lo, exec_lo, s21
	v_mul_f32_e32 v11, v72, v41
	v_mul_f32_e32 v10, v72, v10
	v_bfe_u32 v26, v11, 16, 1
	v_or_b32_e32 v27, 0x400000, v11
	v_cmp_u_f32_e64 s5, v11, v11
	v_add3_u32 v26, v26, v11, 0x7fff
	v_cndmask_b32_e64 v11, v26, v27, s5
	v_lshrrev_b32_e32 v41, 16, v11
	v_mul_f32_e32 v11, v72, v42
	v_bfe_u32 v26, v11, 16, 1
	v_or_b32_e32 v27, 0x400000, v11
	v_cmp_u_f32_e64 s5, v11, v11
	v_add3_u32 v26, v26, v11, 0x7fff
	v_cndmask_b32_e64 v11, v26, v27, s5
	v_lshrrev_b32_e32 v42, 16, v11
	;; [unrolled: 7-line block ×4, first 2 shown]
	v_mul_f32_e32 v11, v72, v68
	v_bfe_u32 v26, v11, 16, 1
	v_or_b32_e32 v27, 0x400000, v11
	v_cmp_u_f32_e64 s5, v11, v11
	v_add3_u32 v26, v26, v11, 0x7fff
	v_cndmask_b32_e64 v11, v26, v27, s5
	v_or_b32_e32 v26, 0x400000, v10
	v_cmp_u_f32_e64 s5, v10, v10
	v_lshrrev_b32_e32 v45, 16, v11
	v_bfe_u32 v11, v10, 16, 1
	v_add3_u32 v11, v11, v10, 0x7fff
	v_cndmask_b32_e64 v10, v11, v26, s5
	v_lshrrev_b32_e32 v47, 16, v10
	v_mul_f32_e32 v10, v72, v46
	v_bfe_u32 v11, v10, 16, 1
	v_or_b32_e32 v26, 0x400000, v10
	v_cmp_u_f32_e64 s5, v10, v10
	v_add3_u32 v11, v11, v10, 0x7fff
	v_cndmask_b32_e64 v10, v11, v26, s5
	v_lshrrev_b32_e32 v46, 16, v10
	v_mul_f32_e32 v10, v72, v56
	v_bfe_u32 v11, v10, 16, 1
	v_or_b32_e32 v26, 0x400000, v10
	v_cmp_u_f32_e64 s5, v10, v10
	v_add3_u32 v11, v11, v10, 0x7fff
	v_cndmask_b32_e64 v10, v11, v26, s5
	v_lshrrev_b32_e32 v56, 16, v10
	s_and_saveexec_b32 s21, vcc_lo
	s_cbranch_execz .LBB331_1990
; %bb.1989:                             ;   in Loop: Header=BB331_1065 Depth=1
	v_cmp_lt_i32_e64 s5, v75, v82
	v_cndmask_b32_e64 v47, 0, v47, s5
	v_cmp_lt_i32_e64 s5, v90, v82
	v_cndmask_b32_e64 v45, 0, v45, s5
	;; [unrolled: 2-line block ×8, first 2 shown]
.LBB331_1990:                           ;   in Loop: Header=BB331_1065 Depth=1
	s_or_b32 exec_lo, exec_lo, s21
	flat_load_dwordx2 v[26:27], v[24:25] offset:1536
	v_mov_b32_e32 v68, 0
	v_mov_b32_e32 v10, 0
	s_waitcnt vmcnt(0) lgkmcnt(0)
	v_cmp_ne_u16_sdwa s5, v26, v12 src0_sel:BYTE_0 src1_sel:DWORD
	s_and_saveexec_b32 s21, s5
	s_cbranch_execz .LBB331_1998
; %bb.1991:                             ;   in Loop: Header=BB331_1065 Depth=1
	v_cmp_ne_u16_sdwa s5, v26, v67 src0_sel:BYTE_0 src1_sel:DWORD
	v_bfrev_b32_e32 v10, 1
	s_and_saveexec_b32 s22, s5
	s_cbranch_execz .LBB331_1997
; %bb.1992:                             ;   in Loop: Header=BB331_1065 Depth=1
	v_and_b32_e32 v11, 0x7f, v26
	v_mov_b32_e32 v10, 0x7f800001
	s_mov_b32 s23, exec_lo
	v_cmpx_ne_u32_e32 0x7f, v11
	s_cbranch_execz .LBB331_1996
; %bb.1993:                             ;   in Loop: Header=BB331_1065 Depth=1
	v_lshrrev_b32_e32 v28, 3, v11
	v_cmp_gt_u32_e64 s5, 8, v11
	v_mov_b32_e32 v10, v26
	v_mov_b32_e32 v11, v27
	s_and_saveexec_b32 s24, s5
; %bb.1994:                             ;   in Loop: Header=BB331_1065 Depth=1
	v_and_b32_e32 v10, 7, v26
	v_ffbh_u32_e32 v10, v10
	v_min_u32_e32 v28, 32, v10
	v_subrev_nc_u32_e32 v10, 28, v28
	v_sub_nc_u32_e32 v28, 29, v28
	v_lshlrev_b64 v[10:11], v10, v[26:27]
; %bb.1995:                             ;   in Loop: Header=BB331_1065 Depth=1
	s_or_b32 exec_lo, exec_lo, s24
	v_lshlrev_b32_e32 v10, 20, v10
	v_lshlrev_b32_e32 v11, 24, v26
	v_lshl_add_u32 v28, v28, 23, 0x3c000000
	v_and_b32_e32 v10, 0x700000, v10
	v_and_b32_e32 v11, 0x80000000, v11
	v_or3_b32 v10, v10, v11, v28
.LBB331_1996:                           ;   in Loop: Header=BB331_1065 Depth=1
	s_or_b32 exec_lo, exec_lo, s23
.LBB331_1997:                           ;   in Loop: Header=BB331_1065 Depth=1
	s_or_b32 exec_lo, exec_lo, s22
.LBB331_1998:                           ;   in Loop: Header=BB331_1065 Depth=1
	s_or_b32 exec_lo, exec_lo, s21
	v_cmp_ne_u16_sdwa s5, v26, v12 src0_sel:BYTE_1 src1_sel:DWORD
	s_and_saveexec_b32 s21, s5
	s_cbranch_execz .LBB331_2006
; %bb.1999:                             ;   in Loop: Header=BB331_1065 Depth=1
	v_cmp_ne_u16_sdwa s5, v26, v67 src0_sel:BYTE_1 src1_sel:DWORD
	v_bfrev_b32_e32 v68, 1
	s_and_saveexec_b32 s22, s5
	s_cbranch_execz .LBB331_2005
; %bb.2000:                             ;   in Loop: Header=BB331_1065 Depth=1
	v_mov_b32_e32 v11, 0xffff
	v_mov_b32_e32 v68, 0x7f800001
	s_mov_b32 s23, exec_lo
	v_and_b32_sdwa v11, v11, v26 dst_sel:DWORD dst_unused:UNUSED_PAD src0_sel:DWORD src1_sel:BYTE_1
	v_and_b32_e32 v28, 0x7f, v11
	v_cmpx_ne_u32_e32 0x7f, v28
	s_cbranch_execz .LBB331_2004
; %bb.2001:                             ;   in Loop: Header=BB331_1065 Depth=1
	v_and_b32_e32 v11, 7, v11
	v_lshrrev_b32_e32 v68, 3, v28
	v_cmp_gt_u32_e64 s5, 8, v28
	v_mov_b32_e32 v29, v12
	v_mov_b32_e32 v28, v11
	s_and_saveexec_b32 s24, s5
; %bb.2002:                             ;   in Loop: Header=BB331_1065 Depth=1
	v_ffbh_u32_e32 v28, v11
	v_min_u32_e32 v68, 32, v28
	v_subrev_nc_u32_e32 v28, 28, v68
	v_sub_nc_u32_e32 v68, 29, v68
	v_lshlrev_b64 v[28:29], v28, v[11:12]
	v_and_b32_e32 v28, 7, v28
; %bb.2003:                             ;   in Loop: Header=BB331_1065 Depth=1
	s_or_b32 exec_lo, exec_lo, s24
	v_lshlrev_b32_e32 v11, 16, v26
	v_lshlrev_b32_e32 v28, 20, v28
	v_lshl_add_u32 v29, v68, 23, 0x3c000000
	v_and_b32_e32 v11, 0x80000000, v11
	v_or3_b32 v68, v28, v11, v29
.LBB331_2004:                           ;   in Loop: Header=BB331_1065 Depth=1
	s_or_b32 exec_lo, exec_lo, s23
.LBB331_2005:                           ;   in Loop: Header=BB331_1065 Depth=1
	s_or_b32 exec_lo, exec_lo, s22
.LBB331_2006:                           ;   in Loop: Header=BB331_1065 Depth=1
	s_or_b32 exec_lo, exec_lo, s21
	v_and_b32_sdwa v11, v26, v69 dst_sel:DWORD dst_unused:UNUSED_PAD src0_sel:WORD_1 src1_sel:DWORD
	v_mov_b32_e32 v71, 0
	v_mov_b32_e32 v70, 0
	s_mov_b32 s21, exec_lo
	v_cmpx_ne_u16_e32 0, v11
	s_cbranch_execz .LBB331_2014
; %bb.2007:                             ;   in Loop: Header=BB331_1065 Depth=1
	v_bfrev_b32_e32 v70, 1
	s_mov_b32 s22, exec_lo
	v_cmpx_ne_u16_e32 0x80, v11
	s_cbranch_execz .LBB331_2013
; %bb.2008:                             ;   in Loop: Header=BB331_1065 Depth=1
	v_bfe_u32 v28, v26, 16, 7
	v_mov_b32_e32 v70, 0x7f800001
	s_mov_b32 s23, exec_lo
	v_cmpx_ne_u32_e32 0x7f, v28
	s_cbranch_execz .LBB331_2012
; %bb.2009:                             ;   in Loop: Header=BB331_1065 Depth=1
	v_mov_b32_e32 v11, 7
	v_lshrrev_b32_e32 v70, 3, v28
	v_cmp_gt_u32_e64 s5, 8, v28
	v_and_b32_sdwa v11, v26, v11 dst_sel:DWORD dst_unused:UNUSED_PAD src0_sel:WORD_1 src1_sel:DWORD
	v_mov_b32_e32 v29, v12
	v_mov_b32_e32 v28, v11
	s_and_saveexec_b32 s24, s5
; %bb.2010:                             ;   in Loop: Header=BB331_1065 Depth=1
	v_ffbh_u32_e32 v28, v11
	v_min_u32_e32 v70, 32, v28
	v_subrev_nc_u32_e32 v28, 28, v70
	v_sub_nc_u32_e32 v70, 29, v70
	v_lshlrev_b64 v[28:29], v28, v[11:12]
	v_and_b32_e32 v28, 7, v28
; %bb.2011:                             ;   in Loop: Header=BB331_1065 Depth=1
	s_or_b32 exec_lo, exec_lo, s24
	v_mov_b32_e32 v11, 24
	v_lshlrev_b32_e32 v28, 20, v28
	v_lshl_add_u32 v29, v70, 23, 0x3c000000
	v_lshlrev_b32_sdwa v11, v11, v26 dst_sel:DWORD dst_unused:UNUSED_PAD src0_sel:DWORD src1_sel:WORD_1
	v_and_b32_e32 v11, 0x80000000, v11
	v_or3_b32 v70, v28, v11, v29
.LBB331_2012:                           ;   in Loop: Header=BB331_1065 Depth=1
	s_or_b32 exec_lo, exec_lo, s23
.LBB331_2013:                           ;   in Loop: Header=BB331_1065 Depth=1
	s_or_b32 exec_lo, exec_lo, s22
.LBB331_2014:                           ;   in Loop: Header=BB331_1065 Depth=1
	s_or_b32 exec_lo, exec_lo, s21
	s_mov_b32 s21, exec_lo
	v_cmpx_lt_u32_e32 0xffffff, v26
	s_cbranch_execz .LBB331_2022
; %bb.2015:                             ;   in Loop: Header=BB331_1065 Depth=1
	v_cmp_ne_u32_sdwa s5, v26, v67 src0_sel:BYTE_3 src1_sel:DWORD
	v_bfrev_b32_e32 v71, 1
	s_and_saveexec_b32 s22, s5
	s_cbranch_execz .LBB331_2021
; %bb.2016:                             ;   in Loop: Header=BB331_1065 Depth=1
	v_bfe_u32 v28, v26, 24, 7
	v_mov_b32_e32 v71, 0x7f800001
	s_mov_b32 s23, exec_lo
	v_cmpx_ne_u32_e32 0x7f, v28
	s_cbranch_execz .LBB331_2020
; %bb.2017:                             ;   in Loop: Header=BB331_1065 Depth=1
	v_mov_b32_e32 v11, 7
	v_lshrrev_b32_e32 v71, 3, v28
	v_cmp_gt_u32_e64 s5, 8, v28
	v_and_b32_sdwa v11, v26, v11 dst_sel:DWORD dst_unused:UNUSED_PAD src0_sel:BYTE_3 src1_sel:DWORD
	v_mov_b32_e32 v29, v12
	v_mov_b32_e32 v28, v11
	s_and_saveexec_b32 s24, s5
; %bb.2018:                             ;   in Loop: Header=BB331_1065 Depth=1
	v_ffbh_u32_e32 v28, v11
	v_min_u32_e32 v71, 32, v28
	v_subrev_nc_u32_e32 v28, 28, v71
	v_sub_nc_u32_e32 v71, 29, v71
	v_lshlrev_b64 v[28:29], v28, v[11:12]
	v_and_b32_e32 v28, 7, v28
; %bb.2019:                             ;   in Loop: Header=BB331_1065 Depth=1
	s_or_b32 exec_lo, exec_lo, s24
	v_mov_b32_e32 v11, 24
	v_lshlrev_b32_e32 v28, 20, v28
	v_lshl_add_u32 v29, v71, 23, 0x3c000000
	v_lshlrev_b32_sdwa v11, v11, v26 dst_sel:DWORD dst_unused:UNUSED_PAD src0_sel:DWORD src1_sel:BYTE_3
	v_and_b32_e32 v11, 0x80000000, v11
	v_or3_b32 v71, v28, v11, v29
.LBB331_2020:                           ;   in Loop: Header=BB331_1065 Depth=1
	s_or_b32 exec_lo, exec_lo, s23
.LBB331_2021:                           ;   in Loop: Header=BB331_1065 Depth=1
	s_or_b32 exec_lo, exec_lo, s22
.LBB331_2022:                           ;   in Loop: Header=BB331_1065 Depth=1
	s_or_b32 exec_lo, exec_lo, s21
	v_mov_b32_e32 v11, v27
	v_cmp_ne_u16_sdwa s5, v27, v12 src0_sel:BYTE_0 src1_sel:DWORD
	v_mov_b32_e32 v57, 0
	v_mov_b32_e32 v58, 0
	s_and_saveexec_b32 s21, s5
	s_cbranch_execz .LBB331_2030
; %bb.2023:                             ;   in Loop: Header=BB331_1065 Depth=1
	v_cmp_ne_u16_sdwa s5, v27, v67 src0_sel:BYTE_0 src1_sel:DWORD
	v_bfrev_b32_e32 v58, 1
	s_and_saveexec_b32 s22, s5
	s_cbranch_execz .LBB331_2029
; %bb.2024:                             ;   in Loop: Header=BB331_1065 Depth=1
	v_and_b32_e32 v28, 0x7f, v27
	v_mov_b32_e32 v58, 0x7f800001
	s_mov_b32 s23, exec_lo
	v_cmpx_ne_u32_e32 0x7f, v28
	s_cbranch_execz .LBB331_2028
; %bb.2025:                             ;   in Loop: Header=BB331_1065 Depth=1
	v_lshrrev_b32_e32 v58, 3, v28
	v_cmp_gt_u32_e64 s5, 8, v28
	v_mov_b32_e32 v29, v12
	v_mov_b32_e32 v28, v11
	s_and_saveexec_b32 s24, s5
; %bb.2026:                             ;   in Loop: Header=BB331_1065 Depth=1
	v_and_b32_e32 v28, 7, v27
	v_ffbh_u32_e32 v28, v28
	v_min_u32_e32 v58, 32, v28
	v_subrev_nc_u32_e32 v28, 28, v58
	v_sub_nc_u32_e32 v58, 29, v58
	v_lshlrev_b64 v[28:29], v28, v[11:12]
; %bb.2027:                             ;   in Loop: Header=BB331_1065 Depth=1
	s_or_b32 exec_lo, exec_lo, s24
	v_lshlrev_b32_e32 v28, 20, v28
	v_lshlrev_b32_e32 v29, 24, v11
	v_lshl_add_u32 v58, v58, 23, 0x3c000000
	v_and_b32_e32 v28, 0x700000, v28
	v_and_b32_e32 v29, 0x80000000, v29
	v_or3_b32 v58, v28, v29, v58
.LBB331_2028:                           ;   in Loop: Header=BB331_1065 Depth=1
	s_or_b32 exec_lo, exec_lo, s23
.LBB331_2029:                           ;   in Loop: Header=BB331_1065 Depth=1
	s_or_b32 exec_lo, exec_lo, s22
.LBB331_2030:                           ;   in Loop: Header=BB331_1065 Depth=1
	s_or_b32 exec_lo, exec_lo, s21
	v_cmp_ne_u16_sdwa s5, v11, v12 src0_sel:BYTE_1 src1_sel:DWORD
	s_and_saveexec_b32 s21, s5
	s_cbranch_execz .LBB331_2038
; %bb.2031:                             ;   in Loop: Header=BB331_1065 Depth=1
	v_cmp_ne_u16_sdwa s5, v11, v67 src0_sel:BYTE_1 src1_sel:DWORD
	v_bfrev_b32_e32 v57, 1
	s_and_saveexec_b32 s22, s5
	s_cbranch_execz .LBB331_2037
; %bb.2032:                             ;   in Loop: Header=BB331_1065 Depth=1
	v_mov_b32_e32 v28, 0xffff
	v_mov_b32_e32 v57, 0x7f800001
	s_mov_b32 s23, exec_lo
	v_and_b32_sdwa v28, v28, v11 dst_sel:DWORD dst_unused:UNUSED_PAD src0_sel:DWORD src1_sel:BYTE_1
	v_and_b32_e32 v59, 0x7f, v28
	v_cmpx_ne_u32_e32 0x7f, v59
	s_cbranch_execz .LBB331_2036
; %bb.2033:                             ;   in Loop: Header=BB331_1065 Depth=1
	v_and_b32_e32 v28, 7, v28
	v_mov_b32_e32 v29, v12
	v_lshrrev_b32_e32 v57, 3, v59
	s_mov_b32 s24, exec_lo
	v_cmpx_gt_u32_e32 8, v59
; %bb.2034:                             ;   in Loop: Header=BB331_1065 Depth=1
	v_ffbh_u32_e32 v57, v28
	v_min_u32_e32 v57, 32, v57
	v_subrev_nc_u32_e32 v59, 28, v57
	v_sub_nc_u32_e32 v57, 29, v57
	v_lshlrev_b64 v[28:29], v59, v[28:29]
	v_and_b32_e32 v28, 7, v28
; %bb.2035:                             ;   in Loop: Header=BB331_1065 Depth=1
	s_or_b32 exec_lo, exec_lo, s24
	v_lshlrev_b32_e32 v11, 16, v11
	v_lshlrev_b32_e32 v28, 20, v28
	v_lshl_add_u32 v29, v57, 23, 0x3c000000
	v_and_b32_e32 v11, 0x80000000, v11
	v_or3_b32 v57, v28, v11, v29
.LBB331_2036:                           ;   in Loop: Header=BB331_1065 Depth=1
	s_or_b32 exec_lo, exec_lo, s23
.LBB331_2037:                           ;   in Loop: Header=BB331_1065 Depth=1
	s_or_b32 exec_lo, exec_lo, s22
.LBB331_2038:                           ;   in Loop: Header=BB331_1065 Depth=1
	s_or_b32 exec_lo, exec_lo, s21
	v_and_b32_sdwa v11, v27, v69 dst_sel:DWORD dst_unused:UNUSED_PAD src0_sel:WORD_1 src1_sel:DWORD
	v_mov_b32_e32 v62, 0
	v_mov_b32_e32 v63, 0
	s_mov_b32 s21, exec_lo
	v_cmpx_ne_u16_e32 0, v11
	s_cbranch_execz .LBB331_2046
; %bb.2039:                             ;   in Loop: Header=BB331_1065 Depth=1
	v_bfrev_b32_e32 v63, 1
	s_mov_b32 s22, exec_lo
	v_cmpx_ne_u16_e32 0x80, v11
	s_cbranch_execz .LBB331_2045
; %bb.2040:                             ;   in Loop: Header=BB331_1065 Depth=1
	v_bfe_u32 v28, v27, 16, 7
	v_mov_b32_e32 v63, 0x7f800001
	s_mov_b32 s23, exec_lo
	v_cmpx_ne_u32_e32 0x7f, v28
	s_cbranch_execz .LBB331_2044
; %bb.2041:                             ;   in Loop: Header=BB331_1065 Depth=1
	v_mov_b32_e32 v11, 7
	v_lshrrev_b32_e32 v59, 3, v28
	v_cmp_gt_u32_e64 s5, 8, v28
	v_and_b32_sdwa v11, v27, v11 dst_sel:DWORD dst_unused:UNUSED_PAD src0_sel:WORD_1 src1_sel:DWORD
	v_mov_b32_e32 v29, v12
	v_mov_b32_e32 v28, v11
	s_and_saveexec_b32 s24, s5
; %bb.2042:                             ;   in Loop: Header=BB331_1065 Depth=1
	v_ffbh_u32_e32 v28, v11
	v_min_u32_e32 v59, 32, v28
	v_subrev_nc_u32_e32 v28, 28, v59
	v_sub_nc_u32_e32 v59, 29, v59
	v_lshlrev_b64 v[28:29], v28, v[11:12]
	v_and_b32_e32 v28, 7, v28
; %bb.2043:                             ;   in Loop: Header=BB331_1065 Depth=1
	s_or_b32 exec_lo, exec_lo, s24
	v_mov_b32_e32 v11, 24
	v_lshlrev_b32_e32 v28, 20, v28
	v_lshl_add_u32 v29, v59, 23, 0x3c000000
	v_lshlrev_b32_sdwa v11, v11, v27 dst_sel:DWORD dst_unused:UNUSED_PAD src0_sel:DWORD src1_sel:WORD_1
	v_and_b32_e32 v11, 0x80000000, v11
	v_or3_b32 v63, v28, v11, v29
.LBB331_2044:                           ;   in Loop: Header=BB331_1065 Depth=1
	s_or_b32 exec_lo, exec_lo, s23
.LBB331_2045:                           ;   in Loop: Header=BB331_1065 Depth=1
	s_or_b32 exec_lo, exec_lo, s22
.LBB331_2046:                           ;   in Loop: Header=BB331_1065 Depth=1
	s_or_b32 exec_lo, exec_lo, s21
	s_mov_b32 s21, exec_lo
	v_cmpx_lt_u64_e64 s[6:7], v[26:27]
	s_cbranch_execz .LBB331_2054
; %bb.2047:                             ;   in Loop: Header=BB331_1065 Depth=1
	v_cmp_ne_u32_sdwa s5, v27, v67 src0_sel:BYTE_3 src1_sel:DWORD
	v_bfrev_b32_e32 v62, 1
	s_and_saveexec_b32 s22, s5
	s_cbranch_execz .LBB331_2053
; %bb.2048:                             ;   in Loop: Header=BB331_1065 Depth=1
	v_bfe_u32 v28, v27, 24, 7
	v_mov_b32_e32 v62, 0x7f800001
	s_mov_b32 s23, exec_lo
	v_cmpx_ne_u32_e32 0x7f, v28
	s_cbranch_execz .LBB331_2052
; %bb.2049:                             ;   in Loop: Header=BB331_1065 Depth=1
	v_mov_b32_e32 v11, 7
	v_lshrrev_b32_e32 v26, 3, v28
	v_cmp_gt_u32_e64 s5, 8, v28
	v_and_b32_sdwa v11, v27, v11 dst_sel:DWORD dst_unused:UNUSED_PAD src0_sel:BYTE_3 src1_sel:DWORD
	v_mov_b32_e32 v29, v12
	v_mov_b32_e32 v28, v11
	s_and_saveexec_b32 s24, s5
; %bb.2050:                             ;   in Loop: Header=BB331_1065 Depth=1
	v_ffbh_u32_e32 v26, v11
	v_min_u32_e32 v26, 32, v26
	v_subrev_nc_u32_e32 v28, 28, v26
	v_sub_nc_u32_e32 v26, 29, v26
	v_lshlrev_b64 v[28:29], v28, v[11:12]
	v_and_b32_e32 v28, 7, v28
; %bb.2051:                             ;   in Loop: Header=BB331_1065 Depth=1
	s_or_b32 exec_lo, exec_lo, s24
	v_mov_b32_e32 v11, 24
	v_lshl_add_u32 v26, v26, 23, 0x3c000000
	v_lshlrev_b32_sdwa v11, v11, v27 dst_sel:DWORD dst_unused:UNUSED_PAD src0_sel:DWORD src1_sel:BYTE_3
	v_lshlrev_b32_e32 v27, 20, v28
	v_and_b32_e32 v11, 0x80000000, v11
	v_or3_b32 v62, v27, v11, v26
.LBB331_2052:                           ;   in Loop: Header=BB331_1065 Depth=1
	s_or_b32 exec_lo, exec_lo, s23
.LBB331_2053:                           ;   in Loop: Header=BB331_1065 Depth=1
	s_or_b32 exec_lo, exec_lo, s22
.LBB331_2054:                           ;   in Loop: Header=BB331_1065 Depth=1
	s_or_b32 exec_lo, exec_lo, s21
	v_mul_f32_e32 v11, v72, v57
	v_mul_f32_e32 v10, v72, v10
	v_bfe_u32 v26, v11, 16, 1
	v_or_b32_e32 v27, 0x400000, v11
	v_cmp_u_f32_e64 s5, v11, v11
	v_add3_u32 v26, v26, v11, 0x7fff
	v_cndmask_b32_e64 v11, v26, v27, s5
	v_lshrrev_b32_e32 v57, 16, v11
	v_mul_f32_e32 v11, v72, v58
	v_bfe_u32 v26, v11, 16, 1
	v_or_b32_e32 v27, 0x400000, v11
	v_cmp_u_f32_e64 s5, v11, v11
	v_add3_u32 v26, v26, v11, 0x7fff
	v_cndmask_b32_e64 v11, v26, v27, s5
	v_lshrrev_b32_e32 v58, 16, v11
	;; [unrolled: 7-line block ×4, first 2 shown]
	v_mul_f32_e32 v11, v72, v68
	v_bfe_u32 v26, v11, 16, 1
	v_or_b32_e32 v27, 0x400000, v11
	v_cmp_u_f32_e64 s5, v11, v11
	v_add3_u32 v26, v26, v11, 0x7fff
	v_cndmask_b32_e64 v11, v26, v27, s5
	v_or_b32_e32 v26, 0x400000, v10
	v_cmp_u_f32_e64 s5, v10, v10
	v_lshrrev_b32_e32 v61, 16, v11
	v_bfe_u32 v11, v10, 16, 1
	v_add3_u32 v11, v11, v10, 0x7fff
	v_cndmask_b32_e64 v10, v11, v26, s5
	v_lshrrev_b32_e32 v70, 16, v10
	v_mul_f32_e32 v10, v72, v63
	v_bfe_u32 v11, v10, 16, 1
	v_or_b32_e32 v26, 0x400000, v10
	v_cmp_u_f32_e64 s5, v10, v10
	v_add3_u32 v11, v11, v10, 0x7fff
	v_cndmask_b32_e64 v10, v11, v26, s5
	v_lshrrev_b32_e32 v68, 16, v10
	v_mul_f32_e32 v10, v72, v62
	v_bfe_u32 v11, v10, 16, 1
	v_or_b32_e32 v26, 0x400000, v10
	v_cmp_u_f32_e64 s5, v10, v10
	v_add3_u32 v11, v11, v10, 0x7fff
	v_cndmask_b32_e64 v10, v11, v26, s5
	v_lshrrev_b32_e32 v62, 16, v10
	s_and_saveexec_b32 s21, vcc_lo
	s_cbranch_execz .LBB331_2056
; %bb.2055:                             ;   in Loop: Header=BB331_1065 Depth=1
	v_cmp_lt_i32_e64 s5, v75, v82
	v_cndmask_b32_e64 v70, 0, v70, s5
	v_cmp_lt_i32_e64 s5, v90, v82
	v_cndmask_b32_e64 v61, 0, v61, s5
	;; [unrolled: 2-line block ×8, first 2 shown]
.LBB331_2056:                           ;   in Loop: Header=BB331_1065 Depth=1
	s_or_b32 exec_lo, exec_lo, s21
	flat_load_dwordx2 v[24:25], v[24:25] offset:1792
	v_mov_b32_e32 v28, 0
	v_mov_b32_e32 v29, 0
	s_waitcnt vmcnt(0) lgkmcnt(0)
	v_cmp_ne_u16_sdwa s5, v24, v12 src0_sel:BYTE_0 src1_sel:DWORD
	s_and_saveexec_b32 s21, s5
	s_cbranch_execz .LBB331_2064
; %bb.2057:                             ;   in Loop: Header=BB331_1065 Depth=1
	v_cmp_ne_u16_sdwa s5, v24, v67 src0_sel:BYTE_0 src1_sel:DWORD
	v_bfrev_b32_e32 v29, 1
	s_and_saveexec_b32 s22, s5
	s_cbranch_execz .LBB331_2063
; %bb.2058:                             ;   in Loop: Header=BB331_1065 Depth=1
	v_and_b32_e32 v10, 0x7f, v24
	v_mov_b32_e32 v29, 0x7f800001
	s_mov_b32 s23, exec_lo
	v_cmpx_ne_u32_e32 0x7f, v10
	s_cbranch_execz .LBB331_2062
; %bb.2059:                             ;   in Loop: Header=BB331_1065 Depth=1
	v_lshrrev_b32_e32 v26, 3, v10
	v_cmp_gt_u32_e64 s5, 8, v10
	v_mov_b32_e32 v10, v24
	v_mov_b32_e32 v11, v25
	s_and_saveexec_b32 s24, s5
; %bb.2060:                             ;   in Loop: Header=BB331_1065 Depth=1
	v_and_b32_e32 v10, 7, v24
	v_ffbh_u32_e32 v10, v10
	v_min_u32_e32 v26, 32, v10
	v_subrev_nc_u32_e32 v10, 28, v26
	v_sub_nc_u32_e32 v26, 29, v26
	v_lshlrev_b64 v[10:11], v10, v[24:25]
; %bb.2061:                             ;   in Loop: Header=BB331_1065 Depth=1
	s_or_b32 exec_lo, exec_lo, s24
	v_lshlrev_b32_e32 v10, 20, v10
	v_lshlrev_b32_e32 v11, 24, v24
	v_lshl_add_u32 v26, v26, 23, 0x3c000000
	v_and_b32_e32 v10, 0x700000, v10
	v_and_b32_e32 v11, 0x80000000, v11
	v_or3_b32 v29, v10, v11, v26
.LBB331_2062:                           ;   in Loop: Header=BB331_1065 Depth=1
	s_or_b32 exec_lo, exec_lo, s23
.LBB331_2063:                           ;   in Loop: Header=BB331_1065 Depth=1
	s_or_b32 exec_lo, exec_lo, s22
.LBB331_2064:                           ;   in Loop: Header=BB331_1065 Depth=1
	s_or_b32 exec_lo, exec_lo, s21
	v_cmp_ne_u16_sdwa s5, v24, v12 src0_sel:BYTE_1 src1_sel:DWORD
	s_and_saveexec_b32 s21, s5
	s_cbranch_execz .LBB331_2072
; %bb.2065:                             ;   in Loop: Header=BB331_1065 Depth=1
	v_cmp_ne_u16_sdwa s5, v24, v67 src0_sel:BYTE_1 src1_sel:DWORD
	v_bfrev_b32_e32 v28, 1
	s_and_saveexec_b32 s22, s5
	s_cbranch_execz .LBB331_2071
; %bb.2066:                             ;   in Loop: Header=BB331_1065 Depth=1
	v_mov_b32_e32 v10, 0xffff
	v_mov_b32_e32 v28, 0x7f800001
	s_mov_b32 s23, exec_lo
	v_and_b32_sdwa v10, v10, v24 dst_sel:DWORD dst_unused:UNUSED_PAD src0_sel:DWORD src1_sel:BYTE_1
	v_and_b32_e32 v71, 0x7f, v10
	v_cmpx_ne_u32_e32 0x7f, v71
	s_cbranch_execz .LBB331_2070
; %bb.2067:                             ;   in Loop: Header=BB331_1065 Depth=1
	v_and_b32_e32 v11, 7, v10
	v_mov_b32_e32 v27, v12
	v_lshrrev_b32_e32 v10, 3, v71
	s_mov_b32 s24, exec_lo
	v_mov_b32_e32 v26, v11
	v_cmpx_gt_u32_e32 8, v71
; %bb.2068:                             ;   in Loop: Header=BB331_1065 Depth=1
	v_ffbh_u32_e32 v10, v11
	v_min_u32_e32 v10, 32, v10
	v_subrev_nc_u32_e32 v26, 28, v10
	v_sub_nc_u32_e32 v10, 29, v10
	v_lshlrev_b64 v[26:27], v26, v[11:12]
	v_and_b32_e32 v26, 7, v26
; %bb.2069:                             ;   in Loop: Header=BB331_1065 Depth=1
	s_or_b32 exec_lo, exec_lo, s24
	v_lshlrev_b32_e32 v11, 16, v24
	v_lshlrev_b32_e32 v26, 20, v26
	v_lshl_add_u32 v10, v10, 23, 0x3c000000
	v_and_b32_e32 v11, 0x80000000, v11
	v_or3_b32 v28, v26, v11, v10
.LBB331_2070:                           ;   in Loop: Header=BB331_1065 Depth=1
	s_or_b32 exec_lo, exec_lo, s23
.LBB331_2071:                           ;   in Loop: Header=BB331_1065 Depth=1
	s_or_b32 exec_lo, exec_lo, s22
.LBB331_2072:                           ;   in Loop: Header=BB331_1065 Depth=1
	s_or_b32 exec_lo, exec_lo, s21
	v_and_b32_sdwa v10, v24, v69 dst_sel:DWORD dst_unused:UNUSED_PAD src0_sel:WORD_1 src1_sel:DWORD
	v_mov_b32_e32 v63, 0
	v_mov_b32_e32 v71, 0
	s_mov_b32 s21, exec_lo
	v_cmpx_ne_u16_e32 0, v10
	s_cbranch_execz .LBB331_2080
; %bb.2073:                             ;   in Loop: Header=BB331_1065 Depth=1
	v_bfrev_b32_e32 v71, 1
	s_mov_b32 s22, exec_lo
	v_cmpx_ne_u16_e32 0x80, v10
	s_cbranch_execz .LBB331_2079
; %bb.2074:                             ;   in Loop: Header=BB331_1065 Depth=1
	v_bfe_u32 v73, v24, 16, 7
	v_mov_b32_e32 v71, 0x7f800001
	s_mov_b32 s23, exec_lo
	v_cmpx_ne_u32_e32 0x7f, v73
	s_cbranch_execz .LBB331_2078
; %bb.2075:                             ;   in Loop: Header=BB331_1065 Depth=1
	v_mov_b32_e32 v10, 7
	s_mov_b32 s24, exec_lo
	v_and_b32_sdwa v11, v24, v10 dst_sel:DWORD dst_unused:UNUSED_PAD src0_sel:WORD_1 src1_sel:DWORD
	v_mov_b32_e32 v27, v12
	v_lshrrev_b32_e32 v10, 3, v73
	v_mov_b32_e32 v26, v11
	v_cmpx_gt_u32_e32 8, v73
; %bb.2076:                             ;   in Loop: Header=BB331_1065 Depth=1
	v_ffbh_u32_e32 v10, v11
	v_min_u32_e32 v10, 32, v10
	v_subrev_nc_u32_e32 v26, 28, v10
	v_sub_nc_u32_e32 v10, 29, v10
	v_lshlrev_b64 v[26:27], v26, v[11:12]
	v_and_b32_e32 v26, 7, v26
; %bb.2077:                             ;   in Loop: Header=BB331_1065 Depth=1
	s_or_b32 exec_lo, exec_lo, s24
	v_mov_b32_e32 v11, 24
	v_lshlrev_b32_e32 v26, 20, v26
	v_lshl_add_u32 v10, v10, 23, 0x3c000000
	v_lshlrev_b32_sdwa v11, v11, v24 dst_sel:DWORD dst_unused:UNUSED_PAD src0_sel:DWORD src1_sel:WORD_1
	v_and_b32_e32 v11, 0x80000000, v11
	v_or3_b32 v71, v26, v11, v10
.LBB331_2078:                           ;   in Loop: Header=BB331_1065 Depth=1
	s_or_b32 exec_lo, exec_lo, s23
.LBB331_2079:                           ;   in Loop: Header=BB331_1065 Depth=1
	s_or_b32 exec_lo, exec_lo, s22
.LBB331_2080:                           ;   in Loop: Header=BB331_1065 Depth=1
	s_or_b32 exec_lo, exec_lo, s21
	s_mov_b32 s21, exec_lo
	v_cmpx_lt_u32_e32 0xffffff, v24
	s_cbranch_execz .LBB331_2088
; %bb.2081:                             ;   in Loop: Header=BB331_1065 Depth=1
	v_cmp_ne_u32_sdwa s5, v24, v67 src0_sel:BYTE_3 src1_sel:DWORD
	v_bfrev_b32_e32 v63, 1
	s_and_saveexec_b32 s22, s5
	s_cbranch_execz .LBB331_2087
; %bb.2082:                             ;   in Loop: Header=BB331_1065 Depth=1
	v_bfe_u32 v73, v24, 24, 7
	v_mov_b32_e32 v63, 0x7f800001
	s_mov_b32 s23, exec_lo
	v_cmpx_ne_u32_e32 0x7f, v73
	s_cbranch_execz .LBB331_2086
; %bb.2083:                             ;   in Loop: Header=BB331_1065 Depth=1
	v_mov_b32_e32 v10, 7
	s_mov_b32 s24, exec_lo
	v_and_b32_sdwa v11, v24, v10 dst_sel:DWORD dst_unused:UNUSED_PAD src0_sel:BYTE_3 src1_sel:DWORD
	v_mov_b32_e32 v27, v12
	v_lshrrev_b32_e32 v10, 3, v73
	v_mov_b32_e32 v26, v11
	v_cmpx_gt_u32_e32 8, v73
; %bb.2084:                             ;   in Loop: Header=BB331_1065 Depth=1
	v_ffbh_u32_e32 v10, v11
	v_min_u32_e32 v10, 32, v10
	v_subrev_nc_u32_e32 v26, 28, v10
	v_sub_nc_u32_e32 v10, 29, v10
	v_lshlrev_b64 v[26:27], v26, v[11:12]
	v_and_b32_e32 v26, 7, v26
; %bb.2085:                             ;   in Loop: Header=BB331_1065 Depth=1
	s_or_b32 exec_lo, exec_lo, s24
	v_mov_b32_e32 v11, 24
	v_lshlrev_b32_e32 v26, 20, v26
	v_lshl_add_u32 v10, v10, 23, 0x3c000000
	v_lshlrev_b32_sdwa v11, v11, v24 dst_sel:DWORD dst_unused:UNUSED_PAD src0_sel:DWORD src1_sel:BYTE_3
	v_and_b32_e32 v11, 0x80000000, v11
	v_or3_b32 v63, v26, v11, v10
.LBB331_2086:                           ;   in Loop: Header=BB331_1065 Depth=1
	s_or_b32 exec_lo, exec_lo, s23
.LBB331_2087:                           ;   in Loop: Header=BB331_1065 Depth=1
	s_or_b32 exec_lo, exec_lo, s22
.LBB331_2088:                           ;   in Loop: Header=BB331_1065 Depth=1
	s_or_b32 exec_lo, exec_lo, s21
	v_mov_b32_e32 v11, v25
	v_cmp_ne_u16_sdwa s5, v25, v12 src0_sel:BYTE_0 src1_sel:DWORD
	v_mov_b32_e32 v10, 0
	v_mov_b32_e32 v91, 0
	s_and_saveexec_b32 s21, s5
	s_cbranch_execz .LBB331_2096
; %bb.2089:                             ;   in Loop: Header=BB331_1065 Depth=1
	v_cmp_ne_u16_sdwa s5, v25, v67 src0_sel:BYTE_0 src1_sel:DWORD
	v_bfrev_b32_e32 v91, 1
	s_and_saveexec_b32 s22, s5
	s_cbranch_execz .LBB331_2095
; %bb.2090:                             ;   in Loop: Header=BB331_1065 Depth=1
	v_and_b32_e32 v73, 0x7f, v25
	v_mov_b32_e32 v91, 0x7f800001
	s_mov_b32 s23, exec_lo
	v_cmpx_ne_u32_e32 0x7f, v73
	s_cbranch_execz .LBB331_2094
; %bb.2091:                             ;   in Loop: Header=BB331_1065 Depth=1
	v_mov_b32_e32 v27, v12
	v_mov_b32_e32 v26, v11
	v_lshrrev_b32_e32 v27, 3, v73
	s_mov_b32 s24, exec_lo
	v_cmpx_gt_u32_e32 8, v73
; %bb.2092:                             ;   in Loop: Header=BB331_1065 Depth=1
	v_and_b32_e32 v26, 7, v25
	v_ffbh_u32_e32 v26, v26
	v_min_u32_e32 v73, 32, v26
	v_subrev_nc_u32_e32 v26, 28, v73
	v_lshlrev_b64 v[26:27], v26, v[11:12]
	v_sub_nc_u32_e32 v27, 29, v73
; %bb.2093:                             ;   in Loop: Header=BB331_1065 Depth=1
	s_or_b32 exec_lo, exec_lo, s24
	v_lshlrev_b32_e32 v26, 20, v26
	v_lshlrev_b32_e32 v73, 24, v11
	v_lshl_add_u32 v27, v27, 23, 0x3c000000
	v_and_b32_e32 v26, 0x700000, v26
	v_and_b32_e32 v73, 0x80000000, v73
	v_or3_b32 v91, v26, v73, v27
.LBB331_2094:                           ;   in Loop: Header=BB331_1065 Depth=1
	s_or_b32 exec_lo, exec_lo, s23
.LBB331_2095:                           ;   in Loop: Header=BB331_1065 Depth=1
	s_or_b32 exec_lo, exec_lo, s22
.LBB331_2096:                           ;   in Loop: Header=BB331_1065 Depth=1
	s_or_b32 exec_lo, exec_lo, s21
	v_cmp_ne_u16_sdwa s5, v11, v12 src0_sel:BYTE_1 src1_sel:DWORD
	s_and_saveexec_b32 s21, s5
	s_cbranch_execz .LBB331_2104
; %bb.2097:                             ;   in Loop: Header=BB331_1065 Depth=1
	v_cmp_ne_u16_sdwa s5, v11, v67 src0_sel:BYTE_1 src1_sel:DWORD
	v_bfrev_b32_e32 v10, 1
	s_and_saveexec_b32 s22, s5
	s_cbranch_execz .LBB331_2103
; %bb.2098:                             ;   in Loop: Header=BB331_1065 Depth=1
	v_mov_b32_e32 v10, 0xffff
	s_mov_b32 s23, exec_lo
	v_and_b32_sdwa v26, v10, v11 dst_sel:DWORD dst_unused:UNUSED_PAD src0_sel:DWORD src1_sel:BYTE_1
	v_mov_b32_e32 v10, 0x7f800001
	v_and_b32_e32 v73, 0x7f, v26
	v_cmpx_ne_u32_e32 0x7f, v73
	s_cbranch_execz .LBB331_2102
; %bb.2099:                             ;   in Loop: Header=BB331_1065 Depth=1
	v_and_b32_e32 v26, 7, v26
	v_mov_b32_e32 v27, v12
	v_lshrrev_b32_e32 v10, 3, v73
	s_mov_b32 s24, exec_lo
	v_cmpx_gt_u32_e32 8, v73
; %bb.2100:                             ;   in Loop: Header=BB331_1065 Depth=1
	v_ffbh_u32_e32 v10, v26
	v_min_u32_e32 v10, 32, v10
	v_subrev_nc_u32_e32 v73, 28, v10
	v_sub_nc_u32_e32 v10, 29, v10
	v_lshlrev_b64 v[26:27], v73, v[26:27]
	v_and_b32_e32 v26, 7, v26
; %bb.2101:                             ;   in Loop: Header=BB331_1065 Depth=1
	s_or_b32 exec_lo, exec_lo, s24
	v_lshlrev_b32_e32 v11, 16, v11
	v_lshlrev_b32_e32 v26, 20, v26
	v_lshl_add_u32 v10, v10, 23, 0x3c000000
	v_and_b32_e32 v11, 0x80000000, v11
	v_or3_b32 v10, v26, v11, v10
.LBB331_2102:                           ;   in Loop: Header=BB331_1065 Depth=1
	s_or_b32 exec_lo, exec_lo, s23
.LBB331_2103:                           ;   in Loop: Header=BB331_1065 Depth=1
	s_or_b32 exec_lo, exec_lo, s22
.LBB331_2104:                           ;   in Loop: Header=BB331_1065 Depth=1
	s_or_b32 exec_lo, exec_lo, s21
	v_and_b32_sdwa v11, v25, v69 dst_sel:DWORD dst_unused:UNUSED_PAD src0_sel:WORD_1 src1_sel:DWORD
	v_mov_b32_e32 v73, 0
	v_mov_b32_e32 v74, 0
	s_mov_b32 s21, exec_lo
	v_cmpx_ne_u16_e32 0, v11
	s_cbranch_execz .LBB331_2112
; %bb.2105:                             ;   in Loop: Header=BB331_1065 Depth=1
	v_bfrev_b32_e32 v74, 1
	s_mov_b32 s22, exec_lo
	v_cmpx_ne_u16_e32 0x80, v11
	s_cbranch_execz .LBB331_2111
; %bb.2106:                             ;   in Loop: Header=BB331_1065 Depth=1
	v_bfe_u32 v92, v25, 16, 7
	v_mov_b32_e32 v74, 0x7f800001
	s_mov_b32 s23, exec_lo
	v_cmpx_ne_u32_e32 0x7f, v92
	s_cbranch_execz .LBB331_2110
; %bb.2107:                             ;   in Loop: Header=BB331_1065 Depth=1
	v_mov_b32_e32 v11, 7
	s_mov_b32 s24, exec_lo
	v_and_b32_sdwa v11, v25, v11 dst_sel:DWORD dst_unused:UNUSED_PAD src0_sel:WORD_1 src1_sel:DWORD
	v_mov_b32_e32 v27, v12
	v_lshrrev_b32_e32 v27, 3, v92
	v_mov_b32_e32 v26, v11
	v_cmpx_gt_u32_e32 8, v92
; %bb.2108:                             ;   in Loop: Header=BB331_1065 Depth=1
	v_ffbh_u32_e32 v26, v11
	v_min_u32_e32 v74, 32, v26
	v_subrev_nc_u32_e32 v26, 28, v74
	v_lshlrev_b64 v[26:27], v26, v[11:12]
	v_sub_nc_u32_e32 v27, 29, v74
	v_and_b32_e32 v26, 7, v26
; %bb.2109:                             ;   in Loop: Header=BB331_1065 Depth=1
	s_or_b32 exec_lo, exec_lo, s24
	v_mov_b32_e32 v11, 24
	v_lshlrev_b32_e32 v26, 20, v26
	v_lshl_add_u32 v27, v27, 23, 0x3c000000
	v_lshlrev_b32_sdwa v11, v11, v25 dst_sel:DWORD dst_unused:UNUSED_PAD src0_sel:DWORD src1_sel:WORD_1
	v_and_b32_e32 v11, 0x80000000, v11
	v_or3_b32 v74, v26, v11, v27
.LBB331_2110:                           ;   in Loop: Header=BB331_1065 Depth=1
	s_or_b32 exec_lo, exec_lo, s23
.LBB331_2111:                           ;   in Loop: Header=BB331_1065 Depth=1
	s_or_b32 exec_lo, exec_lo, s22
.LBB331_2112:                           ;   in Loop: Header=BB331_1065 Depth=1
	s_or_b32 exec_lo, exec_lo, s21
	s_mov_b32 s21, exec_lo
	v_cmpx_lt_u64_e64 s[6:7], v[24:25]
	s_cbranch_execz .LBB331_2120
; %bb.2113:                             ;   in Loop: Header=BB331_1065 Depth=1
	v_cmp_ne_u32_sdwa s5, v25, v67 src0_sel:BYTE_3 src1_sel:DWORD
	v_bfrev_b32_e32 v73, 1
	s_and_saveexec_b32 s22, s5
	s_cbranch_execz .LBB331_2119
; %bb.2114:                             ;   in Loop: Header=BB331_1065 Depth=1
	v_bfe_u32 v92, v25, 24, 7
	v_mov_b32_e32 v73, 0x7f800001
	s_mov_b32 s23, exec_lo
	v_cmpx_ne_u32_e32 0x7f, v92
	s_cbranch_execz .LBB331_2118
; %bb.2115:                             ;   in Loop: Header=BB331_1065 Depth=1
	v_mov_b32_e32 v11, 7
	v_lshrrev_b32_e32 v24, 3, v92
	s_mov_b32 s24, exec_lo
	v_and_b32_sdwa v11, v25, v11 dst_sel:DWORD dst_unused:UNUSED_PAD src0_sel:BYTE_3 src1_sel:DWORD
	v_mov_b32_e32 v27, v12
	v_mov_b32_e32 v26, v11
	v_cmpx_gt_u32_e32 8, v92
; %bb.2116:                             ;   in Loop: Header=BB331_1065 Depth=1
	v_ffbh_u32_e32 v24, v11
	v_min_u32_e32 v24, 32, v24
	v_subrev_nc_u32_e32 v26, 28, v24
	v_sub_nc_u32_e32 v24, 29, v24
	v_lshlrev_b64 v[26:27], v26, v[11:12]
	v_and_b32_e32 v26, 7, v26
; %bb.2117:                             ;   in Loop: Header=BB331_1065 Depth=1
	s_or_b32 exec_lo, exec_lo, s24
	v_mov_b32_e32 v11, 24
	v_lshl_add_u32 v24, v24, 23, 0x3c000000
	v_lshlrev_b32_sdwa v11, v11, v25 dst_sel:DWORD dst_unused:UNUSED_PAD src0_sel:DWORD src1_sel:BYTE_3
	v_lshlrev_b32_e32 v25, 20, v26
	v_and_b32_e32 v11, 0x80000000, v11
	v_or3_b32 v73, v25, v11, v24
.LBB331_2118:                           ;   in Loop: Header=BB331_1065 Depth=1
	s_or_b32 exec_lo, exec_lo, s23
.LBB331_2119:                           ;   in Loop: Header=BB331_1065 Depth=1
	s_or_b32 exec_lo, exec_lo, s22
.LBB331_2120:                           ;   in Loop: Header=BB331_1065 Depth=1
	s_or_b32 exec_lo, exec_lo, s21
	v_mul_f32_e32 v10, v72, v10
	v_bfe_u32 v11, v10, 16, 1
	v_or_b32_e32 v24, 0x400000, v10
	v_cmp_u_f32_e64 s5, v10, v10
	v_add3_u32 v11, v11, v10, 0x7fff
	v_cndmask_b32_e64 v10, v11, v24, s5
	v_mul_f32_e32 v11, v72, v91
	v_lshrrev_b32_e32 v10, 16, v10
	v_bfe_u32 v24, v11, 16, 1
	v_or_b32_e32 v25, 0x400000, v11
	v_cmp_u_f32_e64 s5, v11, v11
	v_add3_u32 v24, v24, v11, 0x7fff
	v_cndmask_b32_e64 v11, v24, v25, s5
	v_mul_f32_e32 v24, v72, v63
	v_lshrrev_b32_e32 v11, 16, v11
	;; [unrolled: 7-line block ×3, first 2 shown]
	v_bfe_u32 v26, v25, 16, 1
	v_or_b32_e32 v27, 0x400000, v25
	v_cmp_u_f32_e64 s5, v25, v25
	v_add3_u32 v26, v26, v25, 0x7fff
	v_cndmask_b32_e64 v25, v26, v27, s5
	v_lshrrev_b32_e32 v26, 16, v25
	v_mul_f32_e32 v25, v72, v28
	v_bfe_u32 v27, v25, 16, 1
	v_or_b32_e32 v28, 0x400000, v25
	v_cmp_u_f32_e64 s5, v25, v25
	v_add3_u32 v27, v27, v25, 0x7fff
	v_cndmask_b32_e64 v25, v27, v28, s5
	v_lshrrev_b32_e32 v28, 16, v25
	v_mul_f32_e32 v25, v72, v29
	;; [unrolled: 7-line block ×3, first 2 shown]
	v_bfe_u32 v27, v25, 16, 1
	v_or_b32_e32 v71, 0x400000, v25
	v_cmp_u_f32_e64 s5, v25, v25
	v_add3_u32 v27, v27, v25, 0x7fff
	v_cndmask_b32_e64 v25, v27, v71, s5
	v_mul_f32_e32 v27, v72, v73
	v_lshrrev_b32_e32 v25, 16, v25
	v_bfe_u32 v71, v27, 16, 1
	v_or_b32_e32 v63, 0x400000, v27
	v_cmp_u_f32_e64 s5, v27, v27
	v_add3_u32 v71, v71, v27, 0x7fff
	v_cndmask_b32_e64 v27, v71, v63, s5
	v_lshrrev_b32_e32 v27, 16, v27
	s_and_saveexec_b32 s5, vcc_lo
	s_cbranch_execz .LBB331_1063
; %bb.2121:                             ;   in Loop: Header=BB331_1065 Depth=1
	v_cmp_lt_i32_e32 vcc_lo, v75, v82
	v_cndmask_b32_e32 v29, 0, v29, vcc_lo
	v_cmp_lt_i32_e32 vcc_lo, v90, v82
	v_cndmask_b32_e32 v28, 0, v28, vcc_lo
	;; [unrolled: 2-line block ×8, first 2 shown]
	s_branch .LBB331_1063
.LBB331_2122:
	s_or_b32 exec_lo, exec_lo, s17
	s_clause 0x4
	buffer_load_dword v29, off, s[0:3], s32 offset:620
	buffer_load_dword v30, off, s[0:3], s32 offset:624
	buffer_load_dword v45, off, s[0:3], s32 offset:628
	buffer_load_dword v12, off, s[0:3], s32 offset:460
	buffer_load_dword v13, off, s[0:3], s32 offset:464
	v_mov_b32_e32 v2, s18
	v_mov_b32_e32 v3, s19
.LBB331_2123:
	s_or_b32 exec_lo, exec_lo, s13
	v_lshlrev_b64 v[0:1], 2, v[2:3]
	s_getpc_b64 s[6:7]
	s_add_u32 s6, s6, llvm.amdgcn.dynlds.offset.table@rel32@lo+4
	s_addc_u32 s7, s7, llvm.amdgcn.dynlds.offset.table@rel32@hi+12
	s_waitcnt vmcnt(0)
	s_waitcnt_vscnt null, 0x0
	s_barrier
	buffer_gl0_inv
	ds_bpermute_b32 v2, v13, v38
	v_add_co_u32 v0, vcc_lo, s6, v0
	v_add_co_ci_u32_e64 v1, null, s7, v1, vcc_lo
	ds_bpermute_b32 v3, v13, v37
	ds_bpermute_b32 v4, v13, v35
	;; [unrolled: 1-line block ×3, first 2 shown]
	global_load_dword v16, v[0:1], off
	ds_bpermute_b32 v0, v13, v14
	ds_bpermute_b32 v1, v13, v39
	;; [unrolled: 1-line block ×12, first 2 shown]
	v_lshrrev_b32_e32 v18, 1, v12
	v_lshlrev_b32_e32 v19, 10, v45
	v_and_b32_e32 v27, 0x3c1, v29
	s_waitcnt lgkmcnt(15)
	v_add_f32_e32 v13, v38, v2
	s_waitcnt lgkmcnt(14)
	v_add_f32_e32 v12, v37, v3
	;; [unrolled: 2-line block ×4, first 2 shown]
	s_mov_b32 s5, exec_lo
	s_waitcnt lgkmcnt(11)
	v_add_f32_e32 v15, v14, v0
	s_waitcnt lgkmcnt(10)
	v_add_f32_e32 v14, v39, v1
	;; [unrolled: 2-line block ×12, first 2 shown]
	s_waitcnt vmcnt(0)
	v_lshl_add_u32 v17, v18, 2, v16
	v_cmpx_eq_u32_e32 64, v27
	s_cbranch_execz .LBB331_2125
; %bb.2124:
	v_add_nc_u32_e32 v20, v17, v19
	v_add_nc_u32_e32 v21, 0xfffff800, v20
	;; [unrolled: 1-line block ×7, first 2 shown]
	ds_write_b32 v21, v15
	ds_write_b32 v22, v14
	;; [unrolled: 1-line block ×6, first 2 shown]
	v_add_nc_u32_e32 v21, 0xfffff980, v20
	v_add_nc_u32_e32 v22, 0xfffff9c0, v20
	;; [unrolled: 1-line block ×5, first 2 shown]
	ds_write_b32 v21, v9
	ds_write_b32 v22, v8
	;; [unrolled: 1-line block ×5, first 2 shown]
	v_add_nc_u32_e32 v21, 0xfffffac0, v20
	v_add_nc_u32_e32 v22, 0xfffffb00, v20
	;; [unrolled: 1-line block ×5, first 2 shown]
	ds_write_b32 v21, v4
	ds_write_b32 v22, v3
	;; [unrolled: 1-line block ×5, first 2 shown]
.LBB331_2125:
	s_or_b32 exec_lo, exec_lo, s5
	v_lshlrev_b32_e32 v18, 2, v18
	v_cmp_eq_u32_e32 vcc_lo, 0, v30
	s_waitcnt lgkmcnt(0)
	s_barrier
	buffer_gl0_inv
	v_add3_u32 v16, v16, v19, v18
	s_and_saveexec_b32 s5, s4
	s_cbranch_execz .LBB331_2144
; %bb.2126:
	s_and_saveexec_b32 s4, vcc_lo
	s_cbranch_execnz .LBB331_2168
; %bb.2127:
	s_or_b32 exec_lo, exec_lo, s4
	s_and_saveexec_b32 s4, vcc_lo
	s_cbranch_execnz .LBB331_2169
.LBB331_2128:
	s_or_b32 exec_lo, exec_lo, s4
	s_and_saveexec_b32 s4, vcc_lo
	s_cbranch_execnz .LBB331_2170
.LBB331_2129:
	s_or_b32 exec_lo, exec_lo, s4
	s_and_saveexec_b32 s4, vcc_lo
	s_cbranch_execnz .LBB331_2171
.LBB331_2130:
	s_or_b32 exec_lo, exec_lo, s4
	s_and_saveexec_b32 s4, vcc_lo
	s_cbranch_execnz .LBB331_2172
.LBB331_2131:
	s_or_b32 exec_lo, exec_lo, s4
	s_and_saveexec_b32 s4, vcc_lo
	s_cbranch_execnz .LBB331_2173
.LBB331_2132:
	s_or_b32 exec_lo, exec_lo, s4
	s_and_saveexec_b32 s4, vcc_lo
	s_cbranch_execnz .LBB331_2174
.LBB331_2133:
	s_or_b32 exec_lo, exec_lo, s4
	s_and_saveexec_b32 s4, vcc_lo
	s_cbranch_execnz .LBB331_2175
.LBB331_2134:
	s_or_b32 exec_lo, exec_lo, s4
	s_and_saveexec_b32 s4, vcc_lo
	s_cbranch_execnz .LBB331_2176
.LBB331_2135:
	s_or_b32 exec_lo, exec_lo, s4
	s_and_saveexec_b32 s4, vcc_lo
	s_cbranch_execnz .LBB331_2177
.LBB331_2136:
	s_or_b32 exec_lo, exec_lo, s4
	s_and_saveexec_b32 s4, vcc_lo
	s_cbranch_execnz .LBB331_2178
.LBB331_2137:
	s_or_b32 exec_lo, exec_lo, s4
	s_and_saveexec_b32 s4, vcc_lo
	s_cbranch_execnz .LBB331_2179
.LBB331_2138:
	s_or_b32 exec_lo, exec_lo, s4
	s_and_saveexec_b32 s4, vcc_lo
	s_cbranch_execnz .LBB331_2180
.LBB331_2139:
	s_or_b32 exec_lo, exec_lo, s4
	s_and_saveexec_b32 s4, vcc_lo
	s_cbranch_execnz .LBB331_2181
.LBB331_2140:
	s_or_b32 exec_lo, exec_lo, s4
	s_and_saveexec_b32 s4, vcc_lo
	s_cbranch_execnz .LBB331_2182
.LBB331_2141:
	s_or_b32 exec_lo, exec_lo, s4
	s_and_saveexec_b32 s4, vcc_lo
	s_cbranch_execz .LBB331_2143
.LBB331_2142:
	ds_read_b32 v18, v16 offset:960
	s_waitcnt lgkmcnt(0)
	v_add_f32_e32 v0, v18, v0
.LBB331_2143:
	s_or_b32 exec_lo, exec_lo, s4
.LBB331_2144:
	s_or_b32 exec_lo, exec_lo, s5
	v_and_b32_e32 v18, 0x3e1, v29
	s_mov_b32 s5, exec_lo
	s_barrier
	buffer_gl0_inv
	v_cmpx_eq_u32_e32 32, v18
	s_cbranch_execz .LBB331_2146
; %bb.2145:
	ds_write2_b32 v17, v15, v14 offset1:16
	ds_write2_b32 v17, v13, v12 offset0:32 offset1:48
	ds_write2_b32 v17, v11, v10 offset0:64 offset1:80
	ds_write2_b32 v17, v9, v8 offset0:96 offset1:112
	ds_write2_b32 v17, v7, v6 offset0:128 offset1:144
	ds_write2_b32 v17, v5, v4 offset0:160 offset1:176
	ds_write2_b32 v17, v3, v2 offset0:192 offset1:208
	ds_write2_b32 v17, v1, v0 offset0:224 offset1:240
.LBB331_2146:
	s_or_b32 exec_lo, exec_lo, s5
	s_mov_b32 s5, exec_lo
	s_waitcnt lgkmcnt(0)
	s_barrier
	buffer_gl0_inv
	v_cmpx_gt_u32_e32 32, v29
	s_cbranch_execz .LBB331_2165
; %bb.2147:
	s_and_saveexec_b32 s4, vcc_lo
	s_cbranch_execnz .LBB331_2183
; %bb.2148:
	s_or_b32 exec_lo, exec_lo, s4
	s_and_saveexec_b32 s4, vcc_lo
	s_cbranch_execnz .LBB331_2184
.LBB331_2149:
	s_or_b32 exec_lo, exec_lo, s4
	s_and_saveexec_b32 s4, vcc_lo
	s_cbranch_execnz .LBB331_2185
.LBB331_2150:
	s_or_b32 exec_lo, exec_lo, s4
	s_and_saveexec_b32 s4, vcc_lo
	s_cbranch_execnz .LBB331_2186
.LBB331_2151:
	s_or_b32 exec_lo, exec_lo, s4
	s_and_saveexec_b32 s4, vcc_lo
	s_cbranch_execnz .LBB331_2187
.LBB331_2152:
	s_or_b32 exec_lo, exec_lo, s4
	s_and_saveexec_b32 s4, vcc_lo
	s_cbranch_execnz .LBB331_2188
.LBB331_2153:
	s_or_b32 exec_lo, exec_lo, s4
	s_and_saveexec_b32 s4, vcc_lo
	s_cbranch_execnz .LBB331_2189
.LBB331_2154:
	s_or_b32 exec_lo, exec_lo, s4
	s_and_saveexec_b32 s4, vcc_lo
	s_cbranch_execnz .LBB331_2190
.LBB331_2155:
	s_or_b32 exec_lo, exec_lo, s4
	s_and_saveexec_b32 s4, vcc_lo
	s_cbranch_execnz .LBB331_2191
.LBB331_2156:
	s_or_b32 exec_lo, exec_lo, s4
	s_and_saveexec_b32 s4, vcc_lo
	s_cbranch_execnz .LBB331_2192
.LBB331_2157:
	s_or_b32 exec_lo, exec_lo, s4
	s_and_saveexec_b32 s4, vcc_lo
	s_cbranch_execnz .LBB331_2193
.LBB331_2158:
	s_or_b32 exec_lo, exec_lo, s4
	s_and_saveexec_b32 s4, vcc_lo
	s_cbranch_execnz .LBB331_2194
.LBB331_2159:
	s_or_b32 exec_lo, exec_lo, s4
	s_and_saveexec_b32 s4, vcc_lo
	s_cbranch_execnz .LBB331_2195
.LBB331_2160:
	s_or_b32 exec_lo, exec_lo, s4
	s_and_saveexec_b32 s4, vcc_lo
	s_cbranch_execnz .LBB331_2196
.LBB331_2161:
	s_or_b32 exec_lo, exec_lo, s4
	s_and_saveexec_b32 s4, vcc_lo
	s_cbranch_execnz .LBB331_2197
.LBB331_2162:
	s_or_b32 exec_lo, exec_lo, s4
	s_and_saveexec_b32 s4, vcc_lo
	s_cbranch_execz .LBB331_2164
.LBB331_2163:
	ds_read_b32 v16, v16 offset:960
	s_waitcnt lgkmcnt(0)
	v_add_f32_e32 v0, v16, v0
.LBB331_2164:
	s_or_b32 exec_lo, exec_lo, s4
.LBB331_2165:
	s_or_b32 exec_lo, exec_lo, s5
	s_mov_b32 s4, exec_lo
	s_barrier
	buffer_gl0_inv
	v_cmpx_eq_u32_e32 0, v18
	s_cbranch_execz .LBB331_2167
; %bb.2166:
	s_clause 0x2
	buffer_load_dword v19, off, s[0:3], s32 offset:636
	buffer_load_dword v16, off, s[0:3], s32 offset:616
	;; [unrolled: 1-line block ×3, first 2 shown]
	s_and_b32 s5, 0xffff, s12
	v_bfe_u32 v17, v15, 16, 1
	s_cmp_lg_u32 s5, 0
	v_or_b32_e32 v18, 0x400000, v15
	s_cselect_b32 s5, -1, 0
	s_cmp_lg_u32 s5, 0
	v_add3_u32 v21, v17, v15, 0x7fff
	s_addc_u32 s5, s15, 0
	s_lshl_b32 s6, s14, 8
	s_mul_i32 s7, s10, s5
	s_mul_i32 s8, s16, s5
	;; [unrolled: 1-line block ×3, first 2 shown]
	s_ashr_i32 s9, s8, 31
	s_lshl_b32 s10, s7, 8
	s_lshl_b64 s[8:9], s[8:9], 1
	s_ashr_i32 s11, s10, 31
	s_ashr_i32 s7, s6, 31
	s_lshl_b64 s[10:11], s[10:11], 1
	s_lshl_b64 s[6:7], s[6:7], 1
	s_waitcnt vmcnt(2)
	v_add_co_u32 v19, vcc_lo, v19, s10
	s_waitcnt vmcnt(0)
	v_add_co_ci_u32_e64 v20, null, s11, v20, vcc_lo
	v_lshlrev_b32_e32 v16, 1, v16
	v_add_co_u32 v19, vcc_lo, v19, s8
	v_add_co_ci_u32_e64 v20, null, s9, v20, vcc_lo
	v_add_co_u32 v19, vcc_lo, v19, s6
	v_add_co_ci_u32_e64 v20, null, s7, v20, vcc_lo
	;; [unrolled: 2-line block ×3, first 2 shown]
	v_bfe_u32 v19, v14, 16, 1
	v_cmp_u_f32_e32 vcc_lo, v15, v15
	v_or_b32_e32 v20, 0x400000, v14
	v_add3_u32 v19, v19, v14, 0x7fff
	v_cndmask_b32_e32 v15, v21, v18, vcc_lo
	v_bfe_u32 v18, v13, 16, 1
	v_cmp_u_f32_e32 vcc_lo, v14, v14
	flat_store_short_d16_hi v[16:17], v15
	v_add3_u32 v15, v18, v13, 0x7fff
	v_or_b32_e32 v18, 0x400000, v13
	v_cndmask_b32_e32 v14, v19, v20, vcc_lo
	v_bfe_u32 v19, v12, 16, 1
	v_cmp_u_f32_e32 vcc_lo, v13, v13
	flat_store_short_d16_hi v[16:17], v14 offset:32
	v_add3_u32 v14, v19, v12, 0x7fff
	v_cndmask_b32_e32 v13, v15, v18, vcc_lo
	v_bfe_u32 v15, v11, 16, 1
	v_or_b32_e32 v18, 0x400000, v12
	v_cmp_u_f32_e32 vcc_lo, v12, v12
	flat_store_short_d16_hi v[16:17], v13 offset:64
	v_add3_u32 v13, v15, v11, 0x7fff
	v_or_b32_e32 v15, 0x400000, v11
	v_cndmask_b32_e32 v12, v14, v18, vcc_lo
	v_bfe_u32 v14, v10, 16, 1
	v_cmp_u_f32_e32 vcc_lo, v11, v11
	flat_store_short_d16_hi v[16:17], v12 offset:96
	v_add3_u32 v12, v14, v10, 0x7fff
	v_cndmask_b32_e32 v11, v13, v15, vcc_lo
	v_bfe_u32 v13, v9, 16, 1
	v_or_b32_e32 v14, 0x400000, v10
	v_cmp_u_f32_e32 vcc_lo, v10, v10
	flat_store_short_d16_hi v[16:17], v11 offset:128
	;; [unrolled: 12-line block ×4, first 2 shown]
	v_add3_u32 v7, v9, v5, 0x7fff
	v_or_b32_e32 v9, 0x400000, v5
	v_cndmask_b32_e32 v6, v8, v10, vcc_lo
	v_bfe_u32 v8, v4, 16, 1
	v_cmp_u_f32_e32 vcc_lo, v5, v5
	v_or_b32_e32 v10, 0x400000, v0
	flat_store_short_d16_hi v[16:17], v6 offset:288
	v_add3_u32 v6, v8, v4, 0x7fff
	v_cndmask_b32_e32 v5, v7, v9, vcc_lo
	v_bfe_u32 v7, v3, 16, 1
	v_or_b32_e32 v8, 0x400000, v4
	v_cmp_u_f32_e32 vcc_lo, v4, v4
	v_or_b32_e32 v9, 0x400000, v1
	flat_store_short_d16_hi v[16:17], v5 offset:320
	v_add3_u32 v5, v7, v3, 0x7fff
	v_or_b32_e32 v7, 0x400000, v3
	v_cndmask_b32_e32 v4, v6, v8, vcc_lo
	v_bfe_u32 v6, v2, 16, 1
	v_cmp_u_f32_e32 vcc_lo, v3, v3
	v_bfe_u32 v8, v1, 16, 1
	v_add3_u32 v6, v6, v2, 0x7fff
	v_cndmask_b32_e32 v3, v5, v7, vcc_lo
	v_or_b32_e32 v7, 0x400000, v2
	v_cmp_u_f32_e32 vcc_lo, v2, v2
	v_bfe_u32 v5, v0, 16, 1
	v_add3_u32 v8, v8, v1, 0x7fff
	v_cndmask_b32_e32 v2, v6, v7, vcc_lo
	v_cmp_u_f32_e32 vcc_lo, v1, v1
	v_add3_u32 v5, v5, v0, 0x7fff
	v_cndmask_b32_e32 v1, v8, v9, vcc_lo
	v_cmp_u_f32_e32 vcc_lo, v0, v0
	v_cndmask_b32_e32 v0, v5, v10, vcc_lo
	flat_store_short_d16_hi v[16:17], v4 offset:352
	flat_store_short_d16_hi v[16:17], v3 offset:384
	;; [unrolled: 1-line block ×5, first 2 shown]
.LBB331_2167:
	s_or_b32 exec_lo, exec_lo, s4
	s_clause 0x2f
	buffer_load_dword v127, off, s[0:3], s32
	buffer_load_dword v126, off, s[0:3], s32 offset:4
	buffer_load_dword v125, off, s[0:3], s32 offset:8
	;; [unrolled: 1-line block ×47, first 2 shown]
	s_waitcnt vmcnt(0) lgkmcnt(0)
	s_setpc_b64 s[30:31]
.LBB331_2168:
	ds_read_b32 v18, v16
	s_waitcnt lgkmcnt(0)
	v_add_f32_e32 v15, v18, v15
	s_or_b32 exec_lo, exec_lo, s4
	s_and_saveexec_b32 s4, vcc_lo
	s_cbranch_execz .LBB331_2128
.LBB331_2169:
	ds_read_b32 v18, v16 offset:64
	s_waitcnt lgkmcnt(0)
	v_add_f32_e32 v14, v18, v14
	s_or_b32 exec_lo, exec_lo, s4
	s_and_saveexec_b32 s4, vcc_lo
	s_cbranch_execz .LBB331_2129
.LBB331_2170:
	ds_read_b32 v18, v16 offset:128
	s_waitcnt lgkmcnt(0)
	v_add_f32_e32 v13, v18, v13
	s_or_b32 exec_lo, exec_lo, s4
	s_and_saveexec_b32 s4, vcc_lo
	s_cbranch_execz .LBB331_2130
.LBB331_2171:
	ds_read_b32 v18, v16 offset:192
	s_waitcnt lgkmcnt(0)
	v_add_f32_e32 v12, v18, v12
	s_or_b32 exec_lo, exec_lo, s4
	s_and_saveexec_b32 s4, vcc_lo
	s_cbranch_execz .LBB331_2131
.LBB331_2172:
	ds_read_b32 v18, v16 offset:256
	s_waitcnt lgkmcnt(0)
	v_add_f32_e32 v11, v18, v11
	s_or_b32 exec_lo, exec_lo, s4
	s_and_saveexec_b32 s4, vcc_lo
	s_cbranch_execz .LBB331_2132
.LBB331_2173:
	ds_read_b32 v18, v16 offset:320
	s_waitcnt lgkmcnt(0)
	v_add_f32_e32 v10, v18, v10
	s_or_b32 exec_lo, exec_lo, s4
	s_and_saveexec_b32 s4, vcc_lo
	s_cbranch_execz .LBB331_2133
.LBB331_2174:
	ds_read_b32 v18, v16 offset:384
	s_waitcnt lgkmcnt(0)
	v_add_f32_e32 v9, v18, v9
	s_or_b32 exec_lo, exec_lo, s4
	s_and_saveexec_b32 s4, vcc_lo
	s_cbranch_execz .LBB331_2134
.LBB331_2175:
	ds_read_b32 v18, v16 offset:448
	s_waitcnt lgkmcnt(0)
	v_add_f32_e32 v8, v18, v8
	s_or_b32 exec_lo, exec_lo, s4
	s_and_saveexec_b32 s4, vcc_lo
	s_cbranch_execz .LBB331_2135
.LBB331_2176:
	ds_read_b32 v18, v16 offset:512
	s_waitcnt lgkmcnt(0)
	v_add_f32_e32 v7, v18, v7
	s_or_b32 exec_lo, exec_lo, s4
	s_and_saveexec_b32 s4, vcc_lo
	s_cbranch_execz .LBB331_2136
.LBB331_2177:
	ds_read_b32 v18, v16 offset:576
	s_waitcnt lgkmcnt(0)
	v_add_f32_e32 v6, v18, v6
	s_or_b32 exec_lo, exec_lo, s4
	s_and_saveexec_b32 s4, vcc_lo
	s_cbranch_execz .LBB331_2137
.LBB331_2178:
	ds_read_b32 v18, v16 offset:640
	s_waitcnt lgkmcnt(0)
	v_add_f32_e32 v5, v18, v5
	s_or_b32 exec_lo, exec_lo, s4
	s_and_saveexec_b32 s4, vcc_lo
	s_cbranch_execz .LBB331_2138
.LBB331_2179:
	ds_read_b32 v18, v16 offset:704
	s_waitcnt lgkmcnt(0)
	v_add_f32_e32 v4, v18, v4
	s_or_b32 exec_lo, exec_lo, s4
	s_and_saveexec_b32 s4, vcc_lo
	s_cbranch_execz .LBB331_2139
.LBB331_2180:
	ds_read_b32 v18, v16 offset:768
	s_waitcnt lgkmcnt(0)
	v_add_f32_e32 v3, v18, v3
	s_or_b32 exec_lo, exec_lo, s4
	s_and_saveexec_b32 s4, vcc_lo
	s_cbranch_execz .LBB331_2140
.LBB331_2181:
	ds_read_b32 v18, v16 offset:832
	s_waitcnt lgkmcnt(0)
	v_add_f32_e32 v2, v18, v2
	s_or_b32 exec_lo, exec_lo, s4
	s_and_saveexec_b32 s4, vcc_lo
	s_cbranch_execz .LBB331_2141
.LBB331_2182:
	ds_read_b32 v18, v16 offset:896
	s_waitcnt lgkmcnt(0)
	v_add_f32_e32 v1, v18, v1
	s_or_b32 exec_lo, exec_lo, s4
	s_and_saveexec_b32 s4, vcc_lo
	s_cbranch_execnz .LBB331_2142
	s_branch .LBB331_2143
.LBB331_2183:
	ds_read_b32 v17, v16
	s_waitcnt lgkmcnt(0)
	v_add_f32_e32 v15, v17, v15
	s_or_b32 exec_lo, exec_lo, s4
	s_and_saveexec_b32 s4, vcc_lo
	s_cbranch_execz .LBB331_2149
.LBB331_2184:
	ds_read_b32 v17, v16 offset:64
	s_waitcnt lgkmcnt(0)
	v_add_f32_e32 v14, v17, v14
	s_or_b32 exec_lo, exec_lo, s4
	s_and_saveexec_b32 s4, vcc_lo
	s_cbranch_execz .LBB331_2150
.LBB331_2185:
	ds_read_b32 v17, v16 offset:128
	s_waitcnt lgkmcnt(0)
	v_add_f32_e32 v13, v17, v13
	s_or_b32 exec_lo, exec_lo, s4
	s_and_saveexec_b32 s4, vcc_lo
	s_cbranch_execz .LBB331_2151
.LBB331_2186:
	ds_read_b32 v17, v16 offset:192
	s_waitcnt lgkmcnt(0)
	v_add_f32_e32 v12, v17, v12
	s_or_b32 exec_lo, exec_lo, s4
	s_and_saveexec_b32 s4, vcc_lo
	s_cbranch_execz .LBB331_2152
.LBB331_2187:
	ds_read_b32 v17, v16 offset:256
	s_waitcnt lgkmcnt(0)
	v_add_f32_e32 v11, v17, v11
	s_or_b32 exec_lo, exec_lo, s4
	s_and_saveexec_b32 s4, vcc_lo
	s_cbranch_execz .LBB331_2153
.LBB331_2188:
	ds_read_b32 v17, v16 offset:320
	s_waitcnt lgkmcnt(0)
	v_add_f32_e32 v10, v17, v10
	s_or_b32 exec_lo, exec_lo, s4
	s_and_saveexec_b32 s4, vcc_lo
	s_cbranch_execz .LBB331_2154
.LBB331_2189:
	ds_read_b32 v17, v16 offset:384
	s_waitcnt lgkmcnt(0)
	v_add_f32_e32 v9, v17, v9
	s_or_b32 exec_lo, exec_lo, s4
	s_and_saveexec_b32 s4, vcc_lo
	s_cbranch_execz .LBB331_2155
.LBB331_2190:
	ds_read_b32 v17, v16 offset:448
	s_waitcnt lgkmcnt(0)
	v_add_f32_e32 v8, v17, v8
	s_or_b32 exec_lo, exec_lo, s4
	s_and_saveexec_b32 s4, vcc_lo
	s_cbranch_execz .LBB331_2156
.LBB331_2191:
	ds_read_b32 v17, v16 offset:512
	s_waitcnt lgkmcnt(0)
	v_add_f32_e32 v7, v17, v7
	s_or_b32 exec_lo, exec_lo, s4
	s_and_saveexec_b32 s4, vcc_lo
	s_cbranch_execz .LBB331_2157
.LBB331_2192:
	ds_read_b32 v17, v16 offset:576
	s_waitcnt lgkmcnt(0)
	v_add_f32_e32 v6, v17, v6
	s_or_b32 exec_lo, exec_lo, s4
	s_and_saveexec_b32 s4, vcc_lo
	s_cbranch_execz .LBB331_2158
.LBB331_2193:
	ds_read_b32 v17, v16 offset:640
	s_waitcnt lgkmcnt(0)
	v_add_f32_e32 v5, v17, v5
	s_or_b32 exec_lo, exec_lo, s4
	s_and_saveexec_b32 s4, vcc_lo
	s_cbranch_execz .LBB331_2159
.LBB331_2194:
	ds_read_b32 v17, v16 offset:704
	s_waitcnt lgkmcnt(0)
	v_add_f32_e32 v4, v17, v4
	s_or_b32 exec_lo, exec_lo, s4
	s_and_saveexec_b32 s4, vcc_lo
	s_cbranch_execz .LBB331_2160
.LBB331_2195:
	ds_read_b32 v17, v16 offset:768
	s_waitcnt lgkmcnt(0)
	v_add_f32_e32 v3, v17, v3
	s_or_b32 exec_lo, exec_lo, s4
	s_and_saveexec_b32 s4, vcc_lo
	s_cbranch_execz .LBB331_2161
.LBB331_2196:
	ds_read_b32 v17, v16 offset:832
	s_waitcnt lgkmcnt(0)
	v_add_f32_e32 v2, v17, v2
	s_or_b32 exec_lo, exec_lo, s4
	s_and_saveexec_b32 s4, vcc_lo
	s_cbranch_execz .LBB331_2162
.LBB331_2197:
	ds_read_b32 v17, v16 offset:896
	s_waitcnt lgkmcnt(0)
	v_add_f32_e32 v1, v17, v1
	s_or_b32 exec_lo, exec_lo, s4
	s_and_saveexec_b32 s4, vcc_lo
	s_cbranch_execnz .LBB331_2163
	s_branch .LBB331_2164
.Lfunc_end331:
	.size	_ZN4vllm22paged_attention_kernelI14__hip_bfloat16hLi256ELi16ELi128ELNS_18Fp8KVCacheDataTypeE1ELb1ELi0EEEvPfS3_PT_PKS4_PKT0_SA_ifPKiSC_iPKfiiiSE_SE_iiiii, .Lfunc_end331-_ZN4vllm22paged_attention_kernelI14__hip_bfloat16hLi256ELi16ELi128ELNS_18Fp8KVCacheDataTypeE1ELb1ELi0EEEvPfS3_PT_PKS4_PKT0_SA_ifPKiSC_iPKfiiiSE_SE_iiiii
                                        ; -- End function
	.set .L_ZN4vllm22paged_attention_kernelI14__hip_bfloat16hLi256ELi16ELi128ELNS_18Fp8KVCacheDataTypeE1ELb1ELi0EEEvPfS3_PT_PKS4_PKT0_SA_ifPKiSC_iPKfiiiSE_SE_iiiii.num_vgpr, 128
	.set .L_ZN4vllm22paged_attention_kernelI14__hip_bfloat16hLi256ELi16ELi128ELNS_18Fp8KVCacheDataTypeE1ELb1ELi0EEEvPfS3_PT_PKS4_PKT0_SA_ifPKiSC_iPKfiiiSE_SE_iiiii.num_agpr, 0
	.set .L_ZN4vllm22paged_attention_kernelI14__hip_bfloat16hLi256ELi16ELi128ELNS_18Fp8KVCacheDataTypeE1ELb1ELi0EEEvPfS3_PT_PKS4_PKT0_SA_ifPKiSC_iPKfiiiSE_SE_iiiii.numbered_sgpr, 33
	.set .L_ZN4vllm22paged_attention_kernelI14__hip_bfloat16hLi256ELi16ELi128ELNS_18Fp8KVCacheDataTypeE1ELb1ELi0EEEvPfS3_PT_PKS4_PKT0_SA_ifPKiSC_iPKfiiiSE_SE_iiiii.num_named_barrier, 0
	.set .L_ZN4vllm22paged_attention_kernelI14__hip_bfloat16hLi256ELi16ELi128ELNS_18Fp8KVCacheDataTypeE1ELb1ELi0EEEvPfS3_PT_PKS4_PKT0_SA_ifPKiSC_iPKfiiiSE_SE_iiiii.private_seg_size, 696
	.set .L_ZN4vllm22paged_attention_kernelI14__hip_bfloat16hLi256ELi16ELi128ELNS_18Fp8KVCacheDataTypeE1ELb1ELi0EEEvPfS3_PT_PKS4_PKT0_SA_ifPKiSC_iPKfiiiSE_SE_iiiii.uses_vcc, 1
	.set .L_ZN4vllm22paged_attention_kernelI14__hip_bfloat16hLi256ELi16ELi128ELNS_18Fp8KVCacheDataTypeE1ELb1ELi0EEEvPfS3_PT_PKS4_PKT0_SA_ifPKiSC_iPKfiiiSE_SE_iiiii.uses_flat_scratch, 0
	.set .L_ZN4vllm22paged_attention_kernelI14__hip_bfloat16hLi256ELi16ELi128ELNS_18Fp8KVCacheDataTypeE1ELb1ELi0EEEvPfS3_PT_PKS4_PKT0_SA_ifPKiSC_iPKfiiiSE_SE_iiiii.has_dyn_sized_stack, 0
	.set .L_ZN4vllm22paged_attention_kernelI14__hip_bfloat16hLi256ELi16ELi128ELNS_18Fp8KVCacheDataTypeE1ELb1ELi0EEEvPfS3_PT_PKS4_PKT0_SA_ifPKiSC_iPKfiiiSE_SE_iiiii.has_recursion, 0
	.set .L_ZN4vllm22paged_attention_kernelI14__hip_bfloat16hLi256ELi16ELi128ELNS_18Fp8KVCacheDataTypeE1ELb1ELi0EEEvPfS3_PT_PKS4_PKT0_SA_ifPKiSC_iPKfiiiSE_SE_iiiii.has_indirect_call, 0
	.section	.AMDGPU.csdata,"",@progbits
; Function info:
; codeLenInByte = 87852
; TotalNumSgprs: 35
; NumVgprs: 128
; ScratchSize: 696
; MemoryBound: 0
	.section	.text._ZN4vllm25paged_attention_v1_kernelI14__hip_bfloat16hLi256ELi16ELi128ELNS_18Fp8KVCacheDataTypeE1ELb1EEEvPT_PKS3_PKT0_S9_ifPKiSB_iPKfiiiSD_SD_iiiii,"axG",@progbits,_ZN4vllm25paged_attention_v1_kernelI14__hip_bfloat16hLi256ELi16ELi128ELNS_18Fp8KVCacheDataTypeE1ELb1EEEvPT_PKS3_PKT0_S9_ifPKiSB_iPKfiiiSD_SD_iiiii,comdat
	.protected	_ZN4vllm25paged_attention_v1_kernelI14__hip_bfloat16hLi256ELi16ELi128ELNS_18Fp8KVCacheDataTypeE1ELb1EEEvPT_PKS3_PKT0_S9_ifPKiSB_iPKfiiiSD_SD_iiiii ; -- Begin function _ZN4vllm25paged_attention_v1_kernelI14__hip_bfloat16hLi256ELi16ELi128ELNS_18Fp8KVCacheDataTypeE1ELb1EEEvPT_PKS3_PKT0_S9_ifPKiSB_iPKfiiiSD_SD_iiiii
	.globl	_ZN4vllm25paged_attention_v1_kernelI14__hip_bfloat16hLi256ELi16ELi128ELNS_18Fp8KVCacheDataTypeE1ELb1EEEvPT_PKS3_PKT0_S9_ifPKiSB_iPKfiiiSD_SD_iiiii
	.p2align	8
	.type	_ZN4vllm25paged_attention_v1_kernelI14__hip_bfloat16hLi256ELi16ELi128ELNS_18Fp8KVCacheDataTypeE1ELb1EEEvPT_PKS3_PKT0_S9_ifPKiSB_iPKfiiiSD_SD_iiiii,@function
_ZN4vllm25paged_attention_v1_kernelI14__hip_bfloat16hLi256ELi16ELi128ELNS_18Fp8KVCacheDataTypeE1ELb1EEEvPT_PKS3_PKT0_S9_ifPKiSB_iPKfiiiSD_SD_iiiii: ; @_ZN4vllm25paged_attention_v1_kernelI14__hip_bfloat16hLi256ELi16ELi128ELNS_18Fp8KVCacheDataTypeE1ELb1EEEvPT_PKS3_PKT0_S9_ifPKiSB_iPKfiiiSD_SD_iiiii
; %bb.0:
	s_clause 0x7
	s_load_dwordx8 s[16:23], s[4:5], 0x0
	s_load_dwordx4 s[36:39], s[4:5], 0x20
	s_load_dwordx2 s[10:11], s[4:5], 0x30
	s_load_dword s13, s[4:5], 0x38
	s_load_dwordx2 s[34:35], s[4:5], 0x40
	s_load_dwordx8 s[24:31], s[4:5], 0x48
	s_load_dword s15, s[4:5], 0x78
	s_load_dwordx4 s[40:43], s[4:5], 0x68
	s_add_u32 s0, s0, s9
	s_addc_u32 s1, s1, 0
	v_mov_b32_e32 v31, v0
	s_mov_b32 s14, s8
	s_add_u32 s8, s4, 0x80
	s_addc_u32 s9, s5, 0
	s_getpc_b64 s[4:5]
	s_add_u32 s4, s4, _ZN4vllm22paged_attention_kernelI14__hip_bfloat16hLi256ELi16ELi128ELNS_18Fp8KVCacheDataTypeE1ELb1ELi0EEEvPfS3_PT_PKS4_PKT0_SA_ifPKiSC_iPKfiiiSE_SE_iiiii@rel32@lo+4
	s_addc_u32 s5, s5, _ZN4vllm22paged_attention_kernelI14__hip_bfloat16hLi256ELi16ELi128ELNS_18Fp8KVCacheDataTypeE1ELb1ELi0EEEvPfS3_PT_PKS4_PKT0_SA_ifPKiSC_iPKfiiiSE_SE_iiiii@rel32@hi+12
	s_mov_b32 s12, s6
	s_mov_b32 s32, 0
	s_waitcnt lgkmcnt(0)
	v_mov_b32_e32 v0, s16
	v_mov_b32_e32 v1, s17
	v_mov_b32_e32 v2, s18
	v_mov_b32_e32 v3, s19
	v_mov_b32_e32 v4, s20
	v_mov_b32_e32 v5, s21
	v_mov_b32_e32 v6, s22
	v_mov_b32_e32 v7, s23
	v_mov_b32_e32 v8, s36
	v_mov_b32_e32 v9, s37
	v_mov_b32_e32 v10, s38
	v_mov_b32_e32 v11, s39
	v_mov_b32_e32 v12, s10
	v_mov_b32_e32 v13, s11
	v_mov_b32_e32 v14, s13
	v_mov_b32_e32 v15, s34
	v_mov_b32_e32 v16, s35
	v_mov_b32_e32 v17, s24
	v_mov_b32_e32 v18, s25
	v_mov_b32_e32 v19, s26
	v_mov_b32_e32 v20, s28
	v_mov_b32_e32 v21, s29
	v_mov_b32_e32 v22, s30
	v_mov_b32_e32 v23, s31
	v_mov_b32_e32 v24, s40
	v_mov_b32_e32 v25, s41
	v_mov_b32_e32 v26, s42
	v_mov_b32_e32 v27, s43
	v_mov_b32_e32 v28, s15
	s_mov_b32 s13, s7
	s_mov_b32 s15, 11
	s_swappc_b64 s[30:31], s[4:5]
	s_endpgm
	.section	.rodata,"a",@progbits
	.p2align	6, 0x0
	.amdhsa_kernel _ZN4vllm25paged_attention_v1_kernelI14__hip_bfloat16hLi256ELi16ELi128ELNS_18Fp8KVCacheDataTypeE1ELb1EEEvPT_PKS3_PKT0_S9_ifPKiSB_iPKfiiiSD_SD_iiiii
		.amdhsa_group_segment_fixed_size 544
		.amdhsa_private_segment_fixed_size 696
		.amdhsa_kernarg_size 384
		.amdhsa_user_sgpr_count 6
		.amdhsa_user_sgpr_private_segment_buffer 1
		.amdhsa_user_sgpr_dispatch_ptr 0
		.amdhsa_user_sgpr_queue_ptr 0
		.amdhsa_user_sgpr_kernarg_segment_ptr 1
		.amdhsa_user_sgpr_dispatch_id 0
		.amdhsa_user_sgpr_flat_scratch_init 0
		.amdhsa_user_sgpr_private_segment_size 0
		.amdhsa_wavefront_size32 1
		.amdhsa_uses_dynamic_stack 0
		.amdhsa_system_sgpr_private_segment_wavefront_offset 1
		.amdhsa_system_sgpr_workgroup_id_x 1
		.amdhsa_system_sgpr_workgroup_id_y 1
		.amdhsa_system_sgpr_workgroup_id_z 1
		.amdhsa_system_sgpr_workgroup_info 0
		.amdhsa_system_vgpr_workitem_id 0
		.amdhsa_next_free_vgpr 128
		.amdhsa_next_free_sgpr 44
		.amdhsa_reserve_vcc 1
		.amdhsa_reserve_flat_scratch 0
		.amdhsa_float_round_mode_32 0
		.amdhsa_float_round_mode_16_64 0
		.amdhsa_float_denorm_mode_32 3
		.amdhsa_float_denorm_mode_16_64 3
		.amdhsa_dx10_clamp 1
		.amdhsa_ieee_mode 1
		.amdhsa_fp16_overflow 0
		.amdhsa_workgroup_processor_mode 1
		.amdhsa_memory_ordered 1
		.amdhsa_forward_progress 1
		.amdhsa_shared_vgpr_count 0
		.amdhsa_exception_fp_ieee_invalid_op 0
		.amdhsa_exception_fp_denorm_src 0
		.amdhsa_exception_fp_ieee_div_zero 0
		.amdhsa_exception_fp_ieee_overflow 0
		.amdhsa_exception_fp_ieee_underflow 0
		.amdhsa_exception_fp_ieee_inexact 0
		.amdhsa_exception_int_div_zero 0
	.end_amdhsa_kernel
	.section	.text._ZN4vllm25paged_attention_v1_kernelI14__hip_bfloat16hLi256ELi16ELi128ELNS_18Fp8KVCacheDataTypeE1ELb1EEEvPT_PKS3_PKT0_S9_ifPKiSB_iPKfiiiSD_SD_iiiii,"axG",@progbits,_ZN4vllm25paged_attention_v1_kernelI14__hip_bfloat16hLi256ELi16ELi128ELNS_18Fp8KVCacheDataTypeE1ELb1EEEvPT_PKS3_PKT0_S9_ifPKiSB_iPKfiiiSD_SD_iiiii,comdat
.Lfunc_end332:
	.size	_ZN4vllm25paged_attention_v1_kernelI14__hip_bfloat16hLi256ELi16ELi128ELNS_18Fp8KVCacheDataTypeE1ELb1EEEvPT_PKS3_PKT0_S9_ifPKiSB_iPKfiiiSD_SD_iiiii, .Lfunc_end332-_ZN4vllm25paged_attention_v1_kernelI14__hip_bfloat16hLi256ELi16ELi128ELNS_18Fp8KVCacheDataTypeE1ELb1EEEvPT_PKS3_PKT0_S9_ifPKiSB_iPKfiiiSD_SD_iiiii
                                        ; -- End function
	.set _ZN4vllm25paged_attention_v1_kernelI14__hip_bfloat16hLi256ELi16ELi128ELNS_18Fp8KVCacheDataTypeE1ELb1EEEvPT_PKS3_PKT0_S9_ifPKiSB_iPKfiiiSD_SD_iiiii.num_vgpr, max(32, .L_ZN4vllm22paged_attention_kernelI14__hip_bfloat16hLi256ELi16ELi128ELNS_18Fp8KVCacheDataTypeE1ELb1ELi0EEEvPfS3_PT_PKS4_PKT0_SA_ifPKiSC_iPKfiiiSE_SE_iiiii.num_vgpr)
	.set _ZN4vllm25paged_attention_v1_kernelI14__hip_bfloat16hLi256ELi16ELi128ELNS_18Fp8KVCacheDataTypeE1ELb1EEEvPT_PKS3_PKT0_S9_ifPKiSB_iPKfiiiSD_SD_iiiii.num_agpr, max(0, .L_ZN4vllm22paged_attention_kernelI14__hip_bfloat16hLi256ELi16ELi128ELNS_18Fp8KVCacheDataTypeE1ELb1ELi0EEEvPfS3_PT_PKS4_PKT0_SA_ifPKiSC_iPKfiiiSE_SE_iiiii.num_agpr)
	.set _ZN4vllm25paged_attention_v1_kernelI14__hip_bfloat16hLi256ELi16ELi128ELNS_18Fp8KVCacheDataTypeE1ELb1EEEvPT_PKS3_PKT0_S9_ifPKiSB_iPKfiiiSD_SD_iiiii.numbered_sgpr, max(44, .L_ZN4vllm22paged_attention_kernelI14__hip_bfloat16hLi256ELi16ELi128ELNS_18Fp8KVCacheDataTypeE1ELb1ELi0EEEvPfS3_PT_PKS4_PKT0_SA_ifPKiSC_iPKfiiiSE_SE_iiiii.numbered_sgpr)
	.set _ZN4vllm25paged_attention_v1_kernelI14__hip_bfloat16hLi256ELi16ELi128ELNS_18Fp8KVCacheDataTypeE1ELb1EEEvPT_PKS3_PKT0_S9_ifPKiSB_iPKfiiiSD_SD_iiiii.num_named_barrier, max(0, .L_ZN4vllm22paged_attention_kernelI14__hip_bfloat16hLi256ELi16ELi128ELNS_18Fp8KVCacheDataTypeE1ELb1ELi0EEEvPfS3_PT_PKS4_PKT0_SA_ifPKiSC_iPKfiiiSE_SE_iiiii.num_named_barrier)
	.set _ZN4vllm25paged_attention_v1_kernelI14__hip_bfloat16hLi256ELi16ELi128ELNS_18Fp8KVCacheDataTypeE1ELb1EEEvPT_PKS3_PKT0_S9_ifPKiSB_iPKfiiiSD_SD_iiiii.private_seg_size, 0+max(.L_ZN4vllm22paged_attention_kernelI14__hip_bfloat16hLi256ELi16ELi128ELNS_18Fp8KVCacheDataTypeE1ELb1ELi0EEEvPfS3_PT_PKS4_PKT0_SA_ifPKiSC_iPKfiiiSE_SE_iiiii.private_seg_size)
	.set _ZN4vllm25paged_attention_v1_kernelI14__hip_bfloat16hLi256ELi16ELi128ELNS_18Fp8KVCacheDataTypeE1ELb1EEEvPT_PKS3_PKT0_S9_ifPKiSB_iPKfiiiSD_SD_iiiii.uses_vcc, or(1, .L_ZN4vllm22paged_attention_kernelI14__hip_bfloat16hLi256ELi16ELi128ELNS_18Fp8KVCacheDataTypeE1ELb1ELi0EEEvPfS3_PT_PKS4_PKT0_SA_ifPKiSC_iPKfiiiSE_SE_iiiii.uses_vcc)
	.set _ZN4vllm25paged_attention_v1_kernelI14__hip_bfloat16hLi256ELi16ELi128ELNS_18Fp8KVCacheDataTypeE1ELb1EEEvPT_PKS3_PKT0_S9_ifPKiSB_iPKfiiiSD_SD_iiiii.uses_flat_scratch, or(0, .L_ZN4vllm22paged_attention_kernelI14__hip_bfloat16hLi256ELi16ELi128ELNS_18Fp8KVCacheDataTypeE1ELb1ELi0EEEvPfS3_PT_PKS4_PKT0_SA_ifPKiSC_iPKfiiiSE_SE_iiiii.uses_flat_scratch)
	.set _ZN4vllm25paged_attention_v1_kernelI14__hip_bfloat16hLi256ELi16ELi128ELNS_18Fp8KVCacheDataTypeE1ELb1EEEvPT_PKS3_PKT0_S9_ifPKiSB_iPKfiiiSD_SD_iiiii.has_dyn_sized_stack, or(0, .L_ZN4vllm22paged_attention_kernelI14__hip_bfloat16hLi256ELi16ELi128ELNS_18Fp8KVCacheDataTypeE1ELb1ELi0EEEvPfS3_PT_PKS4_PKT0_SA_ifPKiSC_iPKfiiiSE_SE_iiiii.has_dyn_sized_stack)
	.set _ZN4vllm25paged_attention_v1_kernelI14__hip_bfloat16hLi256ELi16ELi128ELNS_18Fp8KVCacheDataTypeE1ELb1EEEvPT_PKS3_PKT0_S9_ifPKiSB_iPKfiiiSD_SD_iiiii.has_recursion, or(0, .L_ZN4vllm22paged_attention_kernelI14__hip_bfloat16hLi256ELi16ELi128ELNS_18Fp8KVCacheDataTypeE1ELb1ELi0EEEvPfS3_PT_PKS4_PKT0_SA_ifPKiSC_iPKfiiiSE_SE_iiiii.has_recursion)
	.set _ZN4vllm25paged_attention_v1_kernelI14__hip_bfloat16hLi256ELi16ELi128ELNS_18Fp8KVCacheDataTypeE1ELb1EEEvPT_PKS3_PKT0_S9_ifPKiSB_iPKfiiiSD_SD_iiiii.has_indirect_call, or(0, .L_ZN4vllm22paged_attention_kernelI14__hip_bfloat16hLi256ELi16ELi128ELNS_18Fp8KVCacheDataTypeE1ELb1ELi0EEEvPfS3_PT_PKS4_PKT0_SA_ifPKiSC_iPKfiiiSE_SE_iiiii.has_indirect_call)
	.section	.AMDGPU.csdata,"",@progbits
; Kernel info:
; codeLenInByte = 260
; TotalNumSgprs: 46
; NumVgprs: 128
; ScratchSize: 696
; MemoryBound: 0
; FloatMode: 240
; IeeeMode: 1
; LDSByteSize: 544 bytes/workgroup (compile time only)
; SGPRBlocks: 0
; VGPRBlocks: 15
; NumSGPRsForWavesPerEU: 46
; NumVGPRsForWavesPerEU: 128
; Occupancy: 8
; WaveLimiterHint : 1
; COMPUTE_PGM_RSRC2:SCRATCH_EN: 1
; COMPUTE_PGM_RSRC2:USER_SGPR: 6
; COMPUTE_PGM_RSRC2:TRAP_HANDLER: 0
; COMPUTE_PGM_RSRC2:TGID_X_EN: 1
; COMPUTE_PGM_RSRC2:TGID_Y_EN: 1
; COMPUTE_PGM_RSRC2:TGID_Z_EN: 1
; COMPUTE_PGM_RSRC2:TIDIG_COMP_CNT: 0
	.section	.text._ZN4vllm25paged_attention_v1_kernelI14__hip_bfloat16hLi32ELi16ELi128ELNS_18Fp8KVCacheDataTypeE1ELb0EEEvPT_PKS3_PKT0_S9_ifPKiSB_iPKfiiiSD_SD_iiiii,"axG",@progbits,_ZN4vllm25paged_attention_v1_kernelI14__hip_bfloat16hLi32ELi16ELi128ELNS_18Fp8KVCacheDataTypeE1ELb0EEEvPT_PKS3_PKT0_S9_ifPKiSB_iPKfiiiSD_SD_iiiii,comdat
	.protected	_ZN4vllm25paged_attention_v1_kernelI14__hip_bfloat16hLi32ELi16ELi128ELNS_18Fp8KVCacheDataTypeE1ELb0EEEvPT_PKS3_PKT0_S9_ifPKiSB_iPKfiiiSD_SD_iiiii ; -- Begin function _ZN4vllm25paged_attention_v1_kernelI14__hip_bfloat16hLi32ELi16ELi128ELNS_18Fp8KVCacheDataTypeE1ELb0EEEvPT_PKS3_PKT0_S9_ifPKiSB_iPKfiiiSD_SD_iiiii
	.globl	_ZN4vllm25paged_attention_v1_kernelI14__hip_bfloat16hLi32ELi16ELi128ELNS_18Fp8KVCacheDataTypeE1ELb0EEEvPT_PKS3_PKT0_S9_ifPKiSB_iPKfiiiSD_SD_iiiii
	.p2align	8
	.type	_ZN4vllm25paged_attention_v1_kernelI14__hip_bfloat16hLi32ELi16ELi128ELNS_18Fp8KVCacheDataTypeE1ELb0EEEvPT_PKS3_PKT0_S9_ifPKiSB_iPKfiiiSD_SD_iiiii,@function
_ZN4vllm25paged_attention_v1_kernelI14__hip_bfloat16hLi32ELi16ELi128ELNS_18Fp8KVCacheDataTypeE1ELb0EEEvPT_PKS3_PKT0_S9_ifPKiSB_iPKfiiiSD_SD_iiiii: ; @_ZN4vllm25paged_attention_v1_kernelI14__hip_bfloat16hLi32ELi16ELi128ELNS_18Fp8KVCacheDataTypeE1ELb0EEEvPT_PKS3_PKT0_S9_ifPKiSB_iPKfiiiSD_SD_iiiii
; %bb.0:
	s_clause 0x2
	s_load_dword s9, s[4:5], 0x80
	s_load_dwordx2 s[0:1], s[4:5], 0x30
	s_load_dwordx2 s[28:29], s[4:5], 0x20
	s_mov_b32 s10, s7
	s_ashr_i32 s11, s7, 31
	s_lshl_b64 s[2:3], s[10:11], 2
	s_waitcnt lgkmcnt(0)
	s_add_u32 s0, s0, s2
	s_addc_u32 s1, s1, s3
	s_abs_i32 s2, s28
	s_abs_i32 s11, s9
	v_cvt_f32_u32_e32 v1, s2
	s_sub_i32 s7, 0, s2
	v_rcp_iflag_f32_e32 v1, v1
	v_mul_f32_e32 v1, 0x4f7ffffe, v1
	v_cvt_u32_f32_e32 v1, v1
	v_readfirstlane_b32 s3, v1
	s_mul_i32 s7, s7, s3
	s_mul_hi_u32 s7, s3, s7
	s_add_i32 s3, s3, s7
	s_xor_b32 s7, s9, s28
	s_mul_hi_u32 s3, s11, s3
	s_ashr_i32 s7, s7, 31
	s_mul_i32 s12, s3, s2
	s_mov_b32 s28, 0
	s_sub_i32 s11, s11, s12
	s_add_i32 s12, s3, 1
	s_sub_i32 s13, s11, s2
	s_cmp_ge_u32 s11, s2
	s_cselect_b32 s3, s12, s3
	s_cselect_b32 s11, s13, s11
	s_add_i32 s12, s3, 1
	s_cmp_ge_u32 s11, s2
	s_cselect_b32 s2, s12, s3
	s_abs_i32 s17, s6
	s_xor_b32 s2, s2, s7
	s_sub_i32 s19, s2, s7
	s_load_dwordx2 s[2:3], s[4:5], 0x40
	s_abs_i32 s16, s19
	v_cvt_f32_u32_e32 v1, s16
	s_sub_i32 s11, 0, s16
	v_rcp_iflag_f32_e32 v1, v1
	v_mul_f32_e32 v1, 0x4f7ffffe, v1
	v_cvt_u32_f32_e32 v1, v1
	v_readfirstlane_b32 s7, v1
	s_mul_i32 s11, s11, s7
	s_mul_hi_u32 s11, s7, s11
	s_add_i32 s7, s7, s11
	s_waitcnt lgkmcnt(0)
	s_cmp_eq_u64 s[2:3], 0
	s_mul_hi_u32 s18, s17, s7
	s_cbranch_scc1 .LBB333_2
; %bb.1:
	s_ashr_i32 s7, s6, 31
	s_lshl_b64 s[12:13], s[6:7], 2
	s_add_u32 s2, s2, s12
	s_addc_u32 s3, s3, s13
	s_load_dword s28, s[2:3], 0x0
.LBB333_2:
	s_load_dword s11, s[0:1], 0x0
	s_load_dwordx4 s[12:15], s[4:5], 0x48
	v_lshrrev_b32_e32 v21, 1, v0
	v_and_b32_e32 v22, 1, v0
	v_lshlrev_b32_e32 v9, 3, v0
	s_ashr_i32 s0, s6, 31
	s_ashr_i32 s1, s19, 31
	s_lshl_b32 s6, s6, 5
	s_mov_b32 s2, exec_lo
	v_cmpx_gt_u32_e32 8, v0
	s_cbranch_execz .LBB333_4
; %bb.3:
	s_load_dwordx2 s[20:21], s[4:5], 0x8
	s_waitcnt lgkmcnt(0)
	s_mul_i32 s22, s12, s10
	v_lshlrev_b32_e32 v3, 3, v21
	s_ashr_i32 s23, s22, 31
	s_lshl_b64 s[22:23], s[22:23], 1
	v_lshl_add_u32 v3, v22, 5, v3
	s_add_u32 s3, s20, s22
	s_addc_u32 s12, s21, s23
	s_ashr_i32 s7, s6, 31
	s_lshl_b64 s[20:21], s[6:7], 1
	s_add_u32 s20, s3, s20
	s_addc_u32 s21, s12, s21
	global_load_dwordx2 v[1:2], v9, s[20:21]
	s_waitcnt vmcnt(0)
	ds_write_b64 v3, v[1:2]
.LBB333_4:
	s_or_b32 exec_lo, exec_lo, s2
	s_waitcnt lgkmcnt(0)
	s_add_i32 s2, s11, 15
	s_clause 0x1
	s_load_dwordx2 s[22:23], s[4:5], 0x28
	s_load_dword s7, s[4:5], 0x38
	s_ashr_i32 s3, s2, 31
	s_xor_b32 s0, s0, s1
	s_lshr_b32 s3, s3, 28
	s_mul_i32 s1, s18, s16
	s_add_i32 s2, s2, s3
	s_sub_i32 s1, s17, s1
	s_ashr_i32 s12, s2, 4
	s_add_i32 s2, s18, 1
	s_sub_i32 s3, s1, s16
	s_cmp_ge_u32 s1, s16
	v_lshrrev_b32_e32 v23, 5, v0
	s_cselect_b32 s2, s2, s18
	s_cselect_b32 s1, s3, s1
	s_add_i32 s3, s2, 1
	s_cmp_ge_u32 s1, s16
	v_mbcnt_lo_u32_b32 v10, -1, 0
	s_cselect_b32 s1, s3, s2
	s_mov_b32 s2, exec_lo
	s_xor_b32 s1, s1, s0
	s_waitcnt lgkmcnt(0)
	s_mul_i32 s24, s7, s10
	s_sub_i32 s1, s1, s0
	v_cmp_gt_i32_e64 s0, s12, v23
	s_ashr_i32 s25, s24, 31
	s_barrier
	buffer_gl0_inv
                                        ; implicit-def: $vgpr2
                                        ; implicit-def: $vgpr11
	v_cmpx_le_i32_e64 s12, v23
	s_xor_b32 s2, exec_lo, s2
; %bb.5:
	v_mov_b32_e32 v2, 0
	v_mbcnt_lo_u32_b32 v10, -1, 0
	v_mov_b32_e32 v11, 32
; %bb.6:
	s_or_saveexec_b32 s15, s2
	s_clause 0x3
	s_load_dwordx2 s[20:21], s[4:5], 0x0
	s_load_dwordx2 s[26:27], s[4:5], 0x18
	s_load_dword s7, s[4:5], 0x88
	s_load_dwordx4 s[16:19], s[4:5], 0x58
	v_mov_b32_e32 v26, 0xff7fffff
	v_lshrrev_b32_e32 v13, 3, v0
	s_mul_i32 s14, s1, s14
	s_xor_b32 exec_lo, exec_lo, s15
	s_cbranch_execz .LBB333_140
; %bb.7:
	v_lshlrev_b32_e32 v1, 5, v22
	s_load_dwordx2 s[2:3], s[4:5], 0x10
	v_bfe_u32 v7, v0, 1, 4
	v_xor_b32_e32 v11, 1, v10
	s_ashr_i32 s1, s14, 31
	ds_read_b128 v[3:6], v1
	ds_read_b128 v[29:32], v1 offset:16
	v_lshlrev_b32_e32 v8, 4, v7
	v_cmp_gt_i32_e32 vcc_lo, 32, v11
	s_waitcnt lgkmcnt(0)
	s_load_dword s4, s[16:17], 0x0
	v_lshlrev_b32_e32 v1, 2, v22
	v_mov_b32_e32 v2, 0
	v_lshl_or_b32 v34, v23, 4, v7
	v_mov_b32_e32 v36, 0x80
	v_mov_b32_e32 v37, 0xffff
	;; [unrolled: 1-line block ×6, first 2 shown]
	s_mov_b32 s17, s13
	s_mov_b32 s16, 0
	s_add_u32 s2, s2, s14
	s_addc_u32 s1, s3, s1
	v_add_co_u32 v8, s2, s2, v8
	v_lshlrev_b32_e32 v12, 16, v3
	v_and_b32_e32 v14, 0xffff0000, v3
	v_cndmask_b32_e32 v3, v10, v11, vcc_lo
	v_lshlrev_b32_e32 v17, 16, v5
	v_and_b32_e32 v18, 0xffff0000, v5
	v_lshlrev_b32_e32 v5, 2, v7
	v_add_co_ci_u32_e64 v26, null, s1, 0, s2
	v_lshlrev_b32_e32 v33, 2, v3
	v_add_co_u32 v3, s2, v8, v1
	v_lshl_or_b32 v1, v23, 6, v5
	v_and_b32_e32 v5, 0x7c, v13
	v_lshlrev_b32_e32 v15, 16, v4
	v_and_b32_e32 v16, 0xffff0000, v4
	v_add_co_ci_u32_e64 v4, null, 0, v26, s2
	s_lshl_b64 s[2:3], s[24:25], 2
	s_sub_i32 s5, 1, s11
	s_add_u32 s2, s22, s2
	s_addc_u32 s3, s23, s3
	v_add_co_u32 v5, s2, s2, v5
	v_lshlrev_b32_e32 v19, 16, v6
	v_and_b32_e32 v20, 0xffff0000, v6
	v_lshlrev_b32_e32 v24, 16, v29
	v_and_b32_e32 v25, 0xffff0000, v29
	;; [unrolled: 2-line block ×5, first 2 shown]
	v_mov_b32_e32 v11, 32
	v_cmp_neq_f32_e64 s1, s28, 0
	v_add_nc_u32_e32 v35, 0x60, v1
	v_add_co_ci_u32_e64 v6, null, s3, 0, s2
	v_mov_b32_e32 v26, 0xff7fffff
	v_cmp_eq_u32_e32 vcc_lo, 0, v22
	s_branch .LBB333_9
.LBB333_8:                              ;   in Loop: Header=BB333_9 Depth=1
	s_or_b32 exec_lo, exec_lo, s3
	v_add_nc_u32_e32 v41, 4, v41
	v_add_co_u32 v5, s3, v5, 16
	v_add_nc_u32_e32 v34, 64, v34
	v_add_nc_u32_e32 v35, 0x100, v35
	v_cmp_le_i32_e64 s2, s12, v41
	v_add_co_ci_u32_e64 v6, null, 0, v6, s3
	s_or_b32 s16, s2, s16
	s_andn2_b32 exec_lo, exec_lo, s16
	s_cbranch_execz .LBB333_139
.LBB333_9:                              ; =>This Inner Loop Header: Depth=1
	global_load_dword v1, v[5:6], off
	v_mov_b32_e32 v42, 0
	s_waitcnt vmcnt(0) lgkmcnt(0)
	v_mad_i64_i32 v[7:8], null, v1, s17, v[3:4]
	global_load_dword v46, v[7:8], off
	s_waitcnt vmcnt(0)
	v_cmp_ne_u16_sdwa s2, v46, v2 src0_sel:BYTE_0 src1_sel:DWORD
	s_and_saveexec_b32 s3, s2
	s_cbranch_execz .LBB333_17
; %bb.10:                               ;   in Loop: Header=BB333_9 Depth=1
	v_cmp_ne_u16_sdwa s2, v46, v36 src0_sel:BYTE_0 src1_sel:DWORD
	v_bfrev_b32_e32 v42, 1
	s_and_saveexec_b32 s30, s2
	s_cbranch_execz .LBB333_16
; %bb.11:                               ;   in Loop: Header=BB333_9 Depth=1
	v_and_b32_e32 v43, 0x7f, v46
	v_mov_b32_e32 v42, 0x7f800001
	s_mov_b32 s31, exec_lo
	v_cmpx_ne_u32_e32 0x7f, v43
	s_cbranch_execz .LBB333_15
; %bb.12:                               ;   in Loop: Header=BB333_9 Depth=1
	v_and_b32_e32 v1, 7, v46
	v_lshrrev_b32_e32 v42, 3, v43
	s_mov_b32 s33, exec_lo
	v_cmpx_gt_u32_e32 8, v43
; %bb.13:                               ;   in Loop: Header=BB333_9 Depth=1
	v_ffbh_u32_e32 v42, v1
	v_min_u32_e32 v42, 32, v42
	v_subrev_nc_u32_e32 v43, 28, v42
	v_sub_nc_u32_e32 v42, 29, v42
	v_lshlrev_b64 v[43:44], v43, v[1:2]
	v_and_b32_e32 v1, 7, v43
; %bb.14:                               ;   in Loop: Header=BB333_9 Depth=1
	s_or_b32 exec_lo, exec_lo, s33
	v_lshlrev_b32_e32 v43, 24, v46
	v_lshlrev_b32_e32 v1, 20, v1
	v_lshl_add_u32 v42, v42, 23, 0x3c000000
	v_and_b32_e32 v43, 0x80000000, v43
	v_or3_b32 v42, v1, v43, v42
.LBB333_15:                             ;   in Loop: Header=BB333_9 Depth=1
	s_or_b32 exec_lo, exec_lo, s31
.LBB333_16:                             ;   in Loop: Header=BB333_9 Depth=1
	s_or_b32 exec_lo, exec_lo, s30
.LBB333_17:                             ;   in Loop: Header=BB333_9 Depth=1
	s_or_b32 exec_lo, exec_lo, s3
	v_cmp_ne_u16_sdwa s2, v46, v2 src0_sel:BYTE_1 src1_sel:DWORD
	v_mov_b32_e32 v43, 0
	s_and_saveexec_b32 s3, s2
	s_cbranch_execz .LBB333_25
; %bb.18:                               ;   in Loop: Header=BB333_9 Depth=1
	v_cmp_ne_u16_sdwa s2, v46, v36 src0_sel:BYTE_1 src1_sel:DWORD
	v_bfrev_b32_e32 v43, 1
	s_and_saveexec_b32 s30, s2
	s_cbranch_execz .LBB333_24
; %bb.19:                               ;   in Loop: Header=BB333_9 Depth=1
	v_and_b32_sdwa v1, v37, v46 dst_sel:DWORD dst_unused:UNUSED_PAD src0_sel:DWORD src1_sel:BYTE_1
	v_mov_b32_e32 v43, 0x7f800001
	s_mov_b32 s31, exec_lo
	v_and_b32_e32 v44, 0x7f, v1
	v_cmpx_ne_u32_e32 0x7f, v44
	s_cbranch_execz .LBB333_23
; %bb.20:                               ;   in Loop: Header=BB333_9 Depth=1
	v_and_b32_e32 v1, 7, v1
	v_lshrrev_b32_e32 v43, 3, v44
	s_mov_b32 s33, exec_lo
	v_cmpx_gt_u32_e32 8, v44
; %bb.21:                               ;   in Loop: Header=BB333_9 Depth=1
	v_ffbh_u32_e32 v43, v1
	v_min_u32_e32 v43, 32, v43
	v_subrev_nc_u32_e32 v44, 28, v43
	v_sub_nc_u32_e32 v43, 29, v43
	v_lshlrev_b64 v[44:45], v44, v[1:2]
	v_and_b32_e32 v1, 7, v44
; %bb.22:                               ;   in Loop: Header=BB333_9 Depth=1
	s_or_b32 exec_lo, exec_lo, s33
	v_lshlrev_b32_e32 v44, 16, v46
	v_lshlrev_b32_e32 v1, 20, v1
	v_lshl_add_u32 v43, v43, 23, 0x3c000000
	v_and_b32_e32 v44, 0x80000000, v44
	v_or3_b32 v43, v1, v44, v43
.LBB333_23:                             ;   in Loop: Header=BB333_9 Depth=1
	s_or_b32 exec_lo, exec_lo, s31
.LBB333_24:                             ;   in Loop: Header=BB333_9 Depth=1
	s_or_b32 exec_lo, exec_lo, s30
.LBB333_25:                             ;   in Loop: Header=BB333_9 Depth=1
	s_or_b32 exec_lo, exec_lo, s3
	v_and_b32_sdwa v1, v46, v38 dst_sel:DWORD dst_unused:UNUSED_PAD src0_sel:WORD_1 src1_sel:DWORD
	v_mov_b32_e32 v44, 0
	v_mov_b32_e32 v45, 0
	s_mov_b32 s3, exec_lo
	v_cmpx_ne_u16_e32 0, v1
	s_cbranch_execz .LBB333_33
; %bb.26:                               ;   in Loop: Header=BB333_9 Depth=1
	v_bfrev_b32_e32 v45, 1
	s_mov_b32 s30, exec_lo
	v_cmpx_ne_u16_e32 0x80, v1
	s_cbranch_execz .LBB333_32
; %bb.27:                               ;   in Loop: Header=BB333_9 Depth=1
	v_bfe_u32 v47, v46, 16, 7
	v_mov_b32_e32 v45, 0x7f800001
	s_mov_b32 s31, exec_lo
	v_cmpx_ne_u32_e32 0x7f, v47
	s_cbranch_execz .LBB333_31
; %bb.28:                               ;   in Loop: Header=BB333_9 Depth=1
	v_and_b32_sdwa v1, v46, v39 dst_sel:DWORD dst_unused:UNUSED_PAD src0_sel:WORD_1 src1_sel:DWORD
	v_lshrrev_b32_e32 v45, 3, v47
	s_mov_b32 s33, exec_lo
	v_cmpx_gt_u32_e32 8, v47
; %bb.29:                               ;   in Loop: Header=BB333_9 Depth=1
	v_ffbh_u32_e32 v45, v1
	v_min_u32_e32 v45, 32, v45
	v_subrev_nc_u32_e32 v47, 28, v45
	v_sub_nc_u32_e32 v45, 29, v45
	v_lshlrev_b64 v[47:48], v47, v[1:2]
	v_and_b32_e32 v1, 7, v47
; %bb.30:                               ;   in Loop: Header=BB333_9 Depth=1
	s_or_b32 exec_lo, exec_lo, s33
	v_lshlrev_b32_sdwa v47, v40, v46 dst_sel:DWORD dst_unused:UNUSED_PAD src0_sel:DWORD src1_sel:WORD_1
	v_lshlrev_b32_e32 v1, 20, v1
	v_lshl_add_u32 v45, v45, 23, 0x3c000000
	v_and_b32_e32 v47, 0x80000000, v47
	v_or3_b32 v45, v1, v47, v45
.LBB333_31:                             ;   in Loop: Header=BB333_9 Depth=1
	s_or_b32 exec_lo, exec_lo, s31
.LBB333_32:                             ;   in Loop: Header=BB333_9 Depth=1
	s_or_b32 exec_lo, exec_lo, s30
.LBB333_33:                             ;   in Loop: Header=BB333_9 Depth=1
	s_or_b32 exec_lo, exec_lo, s3
	s_mov_b32 s3, exec_lo
	v_cmpx_lt_u32_e32 0xffffff, v46
	s_cbranch_execz .LBB333_41
; %bb.34:                               ;   in Loop: Header=BB333_9 Depth=1
	v_cmp_ne_u32_sdwa s2, v46, v36 src0_sel:BYTE_3 src1_sel:DWORD
	v_bfrev_b32_e32 v44, 1
	s_and_saveexec_b32 s30, s2
	s_cbranch_execz .LBB333_40
; %bb.35:                               ;   in Loop: Header=BB333_9 Depth=1
	v_bfe_u32 v47, v46, 24, 7
	v_mov_b32_e32 v44, 0x7f800001
	s_mov_b32 s31, exec_lo
	v_cmpx_ne_u32_e32 0x7f, v47
	s_cbranch_execz .LBB333_39
; %bb.36:                               ;   in Loop: Header=BB333_9 Depth=1
	v_and_b32_sdwa v1, v46, v39 dst_sel:DWORD dst_unused:UNUSED_PAD src0_sel:BYTE_3 src1_sel:DWORD
	v_lshrrev_b32_e32 v44, 3, v47
	s_mov_b32 s33, exec_lo
	v_cmpx_gt_u32_e32 8, v47
; %bb.37:                               ;   in Loop: Header=BB333_9 Depth=1
	v_ffbh_u32_e32 v44, v1
	v_min_u32_e32 v44, 32, v44
	v_subrev_nc_u32_e32 v47, 28, v44
	v_sub_nc_u32_e32 v44, 29, v44
	v_lshlrev_b64 v[47:48], v47, v[1:2]
	v_and_b32_e32 v1, 7, v47
; %bb.38:                               ;   in Loop: Header=BB333_9 Depth=1
	s_or_b32 exec_lo, exec_lo, s33
	v_lshlrev_b32_sdwa v46, v40, v46 dst_sel:DWORD dst_unused:UNUSED_PAD src0_sel:DWORD src1_sel:BYTE_3
	v_lshlrev_b32_e32 v1, 20, v1
	v_lshl_add_u32 v44, v44, 23, 0x3c000000
	v_and_b32_e32 v46, 0x80000000, v46
	v_or3_b32 v44, v1, v46, v44
.LBB333_39:                             ;   in Loop: Header=BB333_9 Depth=1
	s_or_b32 exec_lo, exec_lo, s31
.LBB333_40:                             ;   in Loop: Header=BB333_9 Depth=1
	s_or_b32 exec_lo, exec_lo, s30
.LBB333_41:                             ;   in Loop: Header=BB333_9 Depth=1
	s_or_b32 exec_lo, exec_lo, s3
	global_load_dword v50, v[7:8], off offset:8
	v_mov_b32_e32 v47, 0
	v_mov_b32_e32 v46, 0
	s_waitcnt vmcnt(0)
	v_cmp_ne_u16_sdwa s2, v50, v2 src0_sel:BYTE_0 src1_sel:DWORD
	s_and_saveexec_b32 s3, s2
	s_cbranch_execz .LBB333_49
; %bb.42:                               ;   in Loop: Header=BB333_9 Depth=1
	v_cmp_ne_u16_sdwa s2, v50, v36 src0_sel:BYTE_0 src1_sel:DWORD
	v_bfrev_b32_e32 v46, 1
	s_and_saveexec_b32 s30, s2
	s_cbranch_execz .LBB333_48
; %bb.43:                               ;   in Loop: Header=BB333_9 Depth=1
	v_and_b32_e32 v48, 0x7f, v50
	v_mov_b32_e32 v46, 0x7f800001
	s_mov_b32 s31, exec_lo
	v_cmpx_ne_u32_e32 0x7f, v48
	s_cbranch_execz .LBB333_47
; %bb.44:                               ;   in Loop: Header=BB333_9 Depth=1
	v_and_b32_e32 v1, 7, v50
	v_lshrrev_b32_e32 v46, 3, v48
	s_mov_b32 s33, exec_lo
	v_cmpx_gt_u32_e32 8, v48
; %bb.45:                               ;   in Loop: Header=BB333_9 Depth=1
	v_ffbh_u32_e32 v46, v1
	v_min_u32_e32 v46, 32, v46
	v_subrev_nc_u32_e32 v48, 28, v46
	v_sub_nc_u32_e32 v46, 29, v46
	v_lshlrev_b64 v[48:49], v48, v[1:2]
	v_and_b32_e32 v1, 7, v48
; %bb.46:                               ;   in Loop: Header=BB333_9 Depth=1
	s_or_b32 exec_lo, exec_lo, s33
	v_lshlrev_b32_e32 v48, 24, v50
	v_lshlrev_b32_e32 v1, 20, v1
	v_lshl_add_u32 v46, v46, 23, 0x3c000000
	v_and_b32_e32 v48, 0x80000000, v48
	v_or3_b32 v46, v1, v48, v46
.LBB333_47:                             ;   in Loop: Header=BB333_9 Depth=1
	s_or_b32 exec_lo, exec_lo, s31
.LBB333_48:                             ;   in Loop: Header=BB333_9 Depth=1
	s_or_b32 exec_lo, exec_lo, s30
.LBB333_49:                             ;   in Loop: Header=BB333_9 Depth=1
	s_or_b32 exec_lo, exec_lo, s3
	v_cmp_ne_u16_sdwa s2, v50, v2 src0_sel:BYTE_1 src1_sel:DWORD
	s_and_saveexec_b32 s3, s2
	s_cbranch_execz .LBB333_57
; %bb.50:                               ;   in Loop: Header=BB333_9 Depth=1
	v_cmp_ne_u16_sdwa s2, v50, v36 src0_sel:BYTE_1 src1_sel:DWORD
	v_bfrev_b32_e32 v47, 1
	s_and_saveexec_b32 s30, s2
	s_cbranch_execz .LBB333_56
; %bb.51:                               ;   in Loop: Header=BB333_9 Depth=1
	v_and_b32_sdwa v1, v37, v50 dst_sel:DWORD dst_unused:UNUSED_PAD src0_sel:DWORD src1_sel:BYTE_1
	v_mov_b32_e32 v47, 0x7f800001
	s_mov_b32 s31, exec_lo
	v_and_b32_e32 v48, 0x7f, v1
	v_cmpx_ne_u32_e32 0x7f, v48
	s_cbranch_execz .LBB333_55
; %bb.52:                               ;   in Loop: Header=BB333_9 Depth=1
	v_and_b32_e32 v1, 7, v1
	v_lshrrev_b32_e32 v47, 3, v48
	s_mov_b32 s33, exec_lo
	v_cmpx_gt_u32_e32 8, v48
; %bb.53:                               ;   in Loop: Header=BB333_9 Depth=1
	v_ffbh_u32_e32 v47, v1
	v_min_u32_e32 v47, 32, v47
	v_subrev_nc_u32_e32 v48, 28, v47
	v_sub_nc_u32_e32 v47, 29, v47
	v_lshlrev_b64 v[48:49], v48, v[1:2]
	v_and_b32_e32 v1, 7, v48
; %bb.54:                               ;   in Loop: Header=BB333_9 Depth=1
	s_or_b32 exec_lo, exec_lo, s33
	v_lshlrev_b32_e32 v48, 16, v50
	v_lshlrev_b32_e32 v1, 20, v1
	v_lshl_add_u32 v47, v47, 23, 0x3c000000
	v_and_b32_e32 v48, 0x80000000, v48
	v_or3_b32 v47, v1, v48, v47
.LBB333_55:                             ;   in Loop: Header=BB333_9 Depth=1
	s_or_b32 exec_lo, exec_lo, s31
.LBB333_56:                             ;   in Loop: Header=BB333_9 Depth=1
	s_or_b32 exec_lo, exec_lo, s30
.LBB333_57:                             ;   in Loop: Header=BB333_9 Depth=1
	s_or_b32 exec_lo, exec_lo, s3
	v_and_b32_sdwa v1, v50, v38 dst_sel:DWORD dst_unused:UNUSED_PAD src0_sel:WORD_1 src1_sel:DWORD
	v_mov_b32_e32 v48, 0
	v_mov_b32_e32 v49, 0
	s_mov_b32 s3, exec_lo
	v_cmpx_ne_u16_e32 0, v1
	s_cbranch_execz .LBB333_65
; %bb.58:                               ;   in Loop: Header=BB333_9 Depth=1
	v_bfrev_b32_e32 v49, 1
	s_mov_b32 s30, exec_lo
	v_cmpx_ne_u16_e32 0x80, v1
	s_cbranch_execz .LBB333_64
; %bb.59:                               ;   in Loop: Header=BB333_9 Depth=1
	v_bfe_u32 v51, v50, 16, 7
	v_mov_b32_e32 v49, 0x7f800001
	s_mov_b32 s31, exec_lo
	v_cmpx_ne_u32_e32 0x7f, v51
	s_cbranch_execz .LBB333_63
; %bb.60:                               ;   in Loop: Header=BB333_9 Depth=1
	v_and_b32_sdwa v1, v50, v39 dst_sel:DWORD dst_unused:UNUSED_PAD src0_sel:WORD_1 src1_sel:DWORD
	v_lshrrev_b32_e32 v49, 3, v51
	s_mov_b32 s33, exec_lo
	v_cmpx_gt_u32_e32 8, v51
; %bb.61:                               ;   in Loop: Header=BB333_9 Depth=1
	v_ffbh_u32_e32 v49, v1
	v_min_u32_e32 v49, 32, v49
	v_subrev_nc_u32_e32 v51, 28, v49
	v_sub_nc_u32_e32 v49, 29, v49
	v_lshlrev_b64 v[51:52], v51, v[1:2]
	v_and_b32_e32 v1, 7, v51
; %bb.62:                               ;   in Loop: Header=BB333_9 Depth=1
	s_or_b32 exec_lo, exec_lo, s33
	v_lshlrev_b32_sdwa v51, v40, v50 dst_sel:DWORD dst_unused:UNUSED_PAD src0_sel:DWORD src1_sel:WORD_1
	v_lshlrev_b32_e32 v1, 20, v1
	v_lshl_add_u32 v49, v49, 23, 0x3c000000
	v_and_b32_e32 v51, 0x80000000, v51
	v_or3_b32 v49, v1, v51, v49
.LBB333_63:                             ;   in Loop: Header=BB333_9 Depth=1
	s_or_b32 exec_lo, exec_lo, s31
.LBB333_64:                             ;   in Loop: Header=BB333_9 Depth=1
	s_or_b32 exec_lo, exec_lo, s30
.LBB333_65:                             ;   in Loop: Header=BB333_9 Depth=1
	s_or_b32 exec_lo, exec_lo, s3
	s_mov_b32 s3, exec_lo
	v_cmpx_lt_u32_e32 0xffffff, v50
	s_cbranch_execz .LBB333_73
; %bb.66:                               ;   in Loop: Header=BB333_9 Depth=1
	v_cmp_ne_u32_sdwa s2, v50, v36 src0_sel:BYTE_3 src1_sel:DWORD
	v_bfrev_b32_e32 v48, 1
	s_and_saveexec_b32 s30, s2
	s_cbranch_execz .LBB333_72
; %bb.67:                               ;   in Loop: Header=BB333_9 Depth=1
	v_bfe_u32 v51, v50, 24, 7
	v_mov_b32_e32 v48, 0x7f800001
	s_mov_b32 s31, exec_lo
	v_cmpx_ne_u32_e32 0x7f, v51
	s_cbranch_execz .LBB333_71
; %bb.68:                               ;   in Loop: Header=BB333_9 Depth=1
	v_and_b32_sdwa v1, v50, v39 dst_sel:DWORD dst_unused:UNUSED_PAD src0_sel:BYTE_3 src1_sel:DWORD
	v_lshrrev_b32_e32 v48, 3, v51
	s_mov_b32 s33, exec_lo
	v_cmpx_gt_u32_e32 8, v51
; %bb.69:                               ;   in Loop: Header=BB333_9 Depth=1
	v_ffbh_u32_e32 v48, v1
	v_min_u32_e32 v48, 32, v48
	v_subrev_nc_u32_e32 v51, 28, v48
	v_sub_nc_u32_e32 v48, 29, v48
	v_lshlrev_b64 v[51:52], v51, v[1:2]
	v_and_b32_e32 v1, 7, v51
; %bb.70:                               ;   in Loop: Header=BB333_9 Depth=1
	s_or_b32 exec_lo, exec_lo, s33
	v_lshlrev_b32_sdwa v50, v40, v50 dst_sel:DWORD dst_unused:UNUSED_PAD src0_sel:DWORD src1_sel:BYTE_3
	v_lshlrev_b32_e32 v1, 20, v1
	v_lshl_add_u32 v48, v48, 23, 0x3c000000
	v_and_b32_e32 v50, 0x80000000, v50
	v_or3_b32 v48, v1, v50, v48
.LBB333_71:                             ;   in Loop: Header=BB333_9 Depth=1
	s_or_b32 exec_lo, exec_lo, s31
.LBB333_72:                             ;   in Loop: Header=BB333_9 Depth=1
	s_or_b32 exec_lo, exec_lo, s30
.LBB333_73:                             ;   in Loop: Header=BB333_9 Depth=1
	s_or_b32 exec_lo, exec_lo, s3
	global_load_dword v54, v[7:8], off offset:256
	v_mov_b32_e32 v51, 0
	v_mov_b32_e32 v50, 0
	s_waitcnt vmcnt(0)
	v_cmp_ne_u16_sdwa s2, v54, v2 src0_sel:BYTE_0 src1_sel:DWORD
	s_and_saveexec_b32 s3, s2
	s_cbranch_execz .LBB333_81
; %bb.74:                               ;   in Loop: Header=BB333_9 Depth=1
	v_cmp_ne_u16_sdwa s2, v54, v36 src0_sel:BYTE_0 src1_sel:DWORD
	v_bfrev_b32_e32 v50, 1
	s_and_saveexec_b32 s30, s2
	s_cbranch_execz .LBB333_80
; %bb.75:                               ;   in Loop: Header=BB333_9 Depth=1
	v_and_b32_e32 v52, 0x7f, v54
	v_mov_b32_e32 v50, 0x7f800001
	s_mov_b32 s31, exec_lo
	v_cmpx_ne_u32_e32 0x7f, v52
	s_cbranch_execz .LBB333_79
; %bb.76:                               ;   in Loop: Header=BB333_9 Depth=1
	v_and_b32_e32 v1, 7, v54
	v_lshrrev_b32_e32 v50, 3, v52
	s_mov_b32 s33, exec_lo
	v_cmpx_gt_u32_e32 8, v52
; %bb.77:                               ;   in Loop: Header=BB333_9 Depth=1
	v_ffbh_u32_e32 v50, v1
	v_min_u32_e32 v50, 32, v50
	v_subrev_nc_u32_e32 v52, 28, v50
	v_sub_nc_u32_e32 v50, 29, v50
	v_lshlrev_b64 v[52:53], v52, v[1:2]
	v_and_b32_e32 v1, 7, v52
; %bb.78:                               ;   in Loop: Header=BB333_9 Depth=1
	s_or_b32 exec_lo, exec_lo, s33
	v_lshlrev_b32_e32 v52, 24, v54
	v_lshlrev_b32_e32 v1, 20, v1
	v_lshl_add_u32 v50, v50, 23, 0x3c000000
	v_and_b32_e32 v52, 0x80000000, v52
	v_or3_b32 v50, v1, v52, v50
.LBB333_79:                             ;   in Loop: Header=BB333_9 Depth=1
	s_or_b32 exec_lo, exec_lo, s31
.LBB333_80:                             ;   in Loop: Header=BB333_9 Depth=1
	s_or_b32 exec_lo, exec_lo, s30
.LBB333_81:                             ;   in Loop: Header=BB333_9 Depth=1
	s_or_b32 exec_lo, exec_lo, s3
	v_cmp_ne_u16_sdwa s2, v54, v2 src0_sel:BYTE_1 src1_sel:DWORD
	s_and_saveexec_b32 s3, s2
	s_cbranch_execz .LBB333_89
; %bb.82:                               ;   in Loop: Header=BB333_9 Depth=1
	v_cmp_ne_u16_sdwa s2, v54, v36 src0_sel:BYTE_1 src1_sel:DWORD
	v_bfrev_b32_e32 v51, 1
	s_and_saveexec_b32 s30, s2
	s_cbranch_execz .LBB333_88
; %bb.83:                               ;   in Loop: Header=BB333_9 Depth=1
	v_and_b32_sdwa v1, v37, v54 dst_sel:DWORD dst_unused:UNUSED_PAD src0_sel:DWORD src1_sel:BYTE_1
	v_mov_b32_e32 v51, 0x7f800001
	s_mov_b32 s31, exec_lo
	v_and_b32_e32 v52, 0x7f, v1
	v_cmpx_ne_u32_e32 0x7f, v52
	s_cbranch_execz .LBB333_87
; %bb.84:                               ;   in Loop: Header=BB333_9 Depth=1
	v_and_b32_e32 v1, 7, v1
	v_lshrrev_b32_e32 v51, 3, v52
	s_mov_b32 s33, exec_lo
	v_cmpx_gt_u32_e32 8, v52
; %bb.85:                               ;   in Loop: Header=BB333_9 Depth=1
	v_ffbh_u32_e32 v51, v1
	v_min_u32_e32 v51, 32, v51
	v_subrev_nc_u32_e32 v52, 28, v51
	v_sub_nc_u32_e32 v51, 29, v51
	v_lshlrev_b64 v[52:53], v52, v[1:2]
	v_and_b32_e32 v1, 7, v52
; %bb.86:                               ;   in Loop: Header=BB333_9 Depth=1
	s_or_b32 exec_lo, exec_lo, s33
	v_lshlrev_b32_e32 v52, 16, v54
	v_lshlrev_b32_e32 v1, 20, v1
	v_lshl_add_u32 v51, v51, 23, 0x3c000000
	v_and_b32_e32 v52, 0x80000000, v52
	v_or3_b32 v51, v1, v52, v51
.LBB333_87:                             ;   in Loop: Header=BB333_9 Depth=1
	s_or_b32 exec_lo, exec_lo, s31
.LBB333_88:                             ;   in Loop: Header=BB333_9 Depth=1
	s_or_b32 exec_lo, exec_lo, s30
.LBB333_89:                             ;   in Loop: Header=BB333_9 Depth=1
	s_or_b32 exec_lo, exec_lo, s3
	v_and_b32_sdwa v1, v54, v38 dst_sel:DWORD dst_unused:UNUSED_PAD src0_sel:WORD_1 src1_sel:DWORD
	v_mov_b32_e32 v52, 0
	v_mov_b32_e32 v53, 0
	s_mov_b32 s3, exec_lo
	v_cmpx_ne_u16_e32 0, v1
	s_cbranch_execz .LBB333_97
; %bb.90:                               ;   in Loop: Header=BB333_9 Depth=1
	v_bfrev_b32_e32 v53, 1
	s_mov_b32 s30, exec_lo
	v_cmpx_ne_u16_e32 0x80, v1
	s_cbranch_execz .LBB333_96
; %bb.91:                               ;   in Loop: Header=BB333_9 Depth=1
	v_bfe_u32 v55, v54, 16, 7
	v_mov_b32_e32 v53, 0x7f800001
	s_mov_b32 s31, exec_lo
	v_cmpx_ne_u32_e32 0x7f, v55
	s_cbranch_execz .LBB333_95
; %bb.92:                               ;   in Loop: Header=BB333_9 Depth=1
	v_and_b32_sdwa v1, v54, v39 dst_sel:DWORD dst_unused:UNUSED_PAD src0_sel:WORD_1 src1_sel:DWORD
	v_lshrrev_b32_e32 v53, 3, v55
	s_mov_b32 s33, exec_lo
	v_cmpx_gt_u32_e32 8, v55
; %bb.93:                               ;   in Loop: Header=BB333_9 Depth=1
	v_ffbh_u32_e32 v53, v1
	v_min_u32_e32 v53, 32, v53
	v_subrev_nc_u32_e32 v55, 28, v53
	v_sub_nc_u32_e32 v53, 29, v53
	v_lshlrev_b64 v[55:56], v55, v[1:2]
	v_and_b32_e32 v1, 7, v55
; %bb.94:                               ;   in Loop: Header=BB333_9 Depth=1
	s_or_b32 exec_lo, exec_lo, s33
	v_lshlrev_b32_sdwa v55, v40, v54 dst_sel:DWORD dst_unused:UNUSED_PAD src0_sel:DWORD src1_sel:WORD_1
	v_lshlrev_b32_e32 v1, 20, v1
	v_lshl_add_u32 v53, v53, 23, 0x3c000000
	v_and_b32_e32 v55, 0x80000000, v55
	v_or3_b32 v53, v1, v55, v53
.LBB333_95:                             ;   in Loop: Header=BB333_9 Depth=1
	s_or_b32 exec_lo, exec_lo, s31
.LBB333_96:                             ;   in Loop: Header=BB333_9 Depth=1
	s_or_b32 exec_lo, exec_lo, s30
.LBB333_97:                             ;   in Loop: Header=BB333_9 Depth=1
	s_or_b32 exec_lo, exec_lo, s3
	s_mov_b32 s3, exec_lo
	v_cmpx_lt_u32_e32 0xffffff, v54
	s_cbranch_execz .LBB333_105
; %bb.98:                               ;   in Loop: Header=BB333_9 Depth=1
	v_cmp_ne_u32_sdwa s2, v54, v36 src0_sel:BYTE_3 src1_sel:DWORD
	v_bfrev_b32_e32 v52, 1
	s_and_saveexec_b32 s30, s2
	s_cbranch_execz .LBB333_104
; %bb.99:                               ;   in Loop: Header=BB333_9 Depth=1
	v_bfe_u32 v55, v54, 24, 7
	v_mov_b32_e32 v52, 0x7f800001
	s_mov_b32 s31, exec_lo
	v_cmpx_ne_u32_e32 0x7f, v55
	s_cbranch_execz .LBB333_103
; %bb.100:                              ;   in Loop: Header=BB333_9 Depth=1
	v_and_b32_sdwa v1, v54, v39 dst_sel:DWORD dst_unused:UNUSED_PAD src0_sel:BYTE_3 src1_sel:DWORD
	v_lshrrev_b32_e32 v52, 3, v55
	s_mov_b32 s33, exec_lo
	v_cmpx_gt_u32_e32 8, v55
; %bb.101:                              ;   in Loop: Header=BB333_9 Depth=1
	v_ffbh_u32_e32 v52, v1
	v_min_u32_e32 v52, 32, v52
	v_subrev_nc_u32_e32 v55, 28, v52
	v_sub_nc_u32_e32 v52, 29, v52
	v_lshlrev_b64 v[55:56], v55, v[1:2]
	v_and_b32_e32 v1, 7, v55
; %bb.102:                              ;   in Loop: Header=BB333_9 Depth=1
	s_or_b32 exec_lo, exec_lo, s33
	v_lshlrev_b32_sdwa v54, v40, v54 dst_sel:DWORD dst_unused:UNUSED_PAD src0_sel:DWORD src1_sel:BYTE_3
	v_lshlrev_b32_e32 v1, 20, v1
	v_lshl_add_u32 v52, v52, 23, 0x3c000000
	v_and_b32_e32 v54, 0x80000000, v54
	v_or3_b32 v52, v1, v54, v52
.LBB333_103:                            ;   in Loop: Header=BB333_9 Depth=1
	s_or_b32 exec_lo, exec_lo, s31
.LBB333_104:                            ;   in Loop: Header=BB333_9 Depth=1
	s_or_b32 exec_lo, exec_lo, s30
.LBB333_105:                            ;   in Loop: Header=BB333_9 Depth=1
	s_or_b32 exec_lo, exec_lo, s3
	global_load_dword v7, v[7:8], off offset:264
	v_mov_b32_e32 v54, 0
	v_mov_b32_e32 v8, 0
	s_waitcnt vmcnt(0)
	v_cmp_ne_u16_sdwa s2, v7, v2 src0_sel:BYTE_0 src1_sel:DWORD
	s_and_saveexec_b32 s3, s2
	s_cbranch_execz .LBB333_113
; %bb.106:                              ;   in Loop: Header=BB333_9 Depth=1
	v_cmp_ne_u16_sdwa s2, v7, v36 src0_sel:BYTE_0 src1_sel:DWORD
	v_bfrev_b32_e32 v8, 1
	s_and_saveexec_b32 s30, s2
	s_cbranch_execz .LBB333_112
; %bb.107:                              ;   in Loop: Header=BB333_9 Depth=1
	v_and_b32_e32 v55, 0x7f, v7
	v_mov_b32_e32 v8, 0x7f800001
	s_mov_b32 s31, exec_lo
	v_cmpx_ne_u32_e32 0x7f, v55
	s_cbranch_execz .LBB333_111
; %bb.108:                              ;   in Loop: Header=BB333_9 Depth=1
	v_and_b32_e32 v1, 7, v7
	v_lshrrev_b32_e32 v8, 3, v55
	s_mov_b32 s33, exec_lo
	v_cmpx_gt_u32_e32 8, v55
; %bb.109:                              ;   in Loop: Header=BB333_9 Depth=1
	v_ffbh_u32_e32 v8, v1
	v_min_u32_e32 v8, 32, v8
	v_subrev_nc_u32_e32 v55, 28, v8
	v_sub_nc_u32_e32 v8, 29, v8
	v_lshlrev_b64 v[55:56], v55, v[1:2]
	v_and_b32_e32 v1, 7, v55
; %bb.110:                              ;   in Loop: Header=BB333_9 Depth=1
	s_or_b32 exec_lo, exec_lo, s33
	v_lshlrev_b32_e32 v55, 24, v7
	v_lshlrev_b32_e32 v1, 20, v1
	v_lshl_add_u32 v8, v8, 23, 0x3c000000
	v_and_b32_e32 v55, 0x80000000, v55
	v_or3_b32 v8, v1, v55, v8
.LBB333_111:                            ;   in Loop: Header=BB333_9 Depth=1
	s_or_b32 exec_lo, exec_lo, s31
.LBB333_112:                            ;   in Loop: Header=BB333_9 Depth=1
	s_or_b32 exec_lo, exec_lo, s30
.LBB333_113:                            ;   in Loop: Header=BB333_9 Depth=1
	s_or_b32 exec_lo, exec_lo, s3
	v_cmp_ne_u16_sdwa s2, v7, v2 src0_sel:BYTE_1 src1_sel:DWORD
	s_and_saveexec_b32 s3, s2
	s_cbranch_execz .LBB333_121
; %bb.114:                              ;   in Loop: Header=BB333_9 Depth=1
	v_cmp_ne_u16_sdwa s2, v7, v36 src0_sel:BYTE_1 src1_sel:DWORD
	v_bfrev_b32_e32 v54, 1
	s_and_saveexec_b32 s30, s2
	s_cbranch_execz .LBB333_120
; %bb.115:                              ;   in Loop: Header=BB333_9 Depth=1
	v_and_b32_sdwa v1, v37, v7 dst_sel:DWORD dst_unused:UNUSED_PAD src0_sel:DWORD src1_sel:BYTE_1
	v_mov_b32_e32 v54, 0x7f800001
	s_mov_b32 s31, exec_lo
	v_and_b32_e32 v55, 0x7f, v1
	v_cmpx_ne_u32_e32 0x7f, v55
	s_cbranch_execz .LBB333_119
; %bb.116:                              ;   in Loop: Header=BB333_9 Depth=1
	v_and_b32_e32 v1, 7, v1
	v_lshrrev_b32_e32 v54, 3, v55
	s_mov_b32 s33, exec_lo
	v_cmpx_gt_u32_e32 8, v55
; %bb.117:                              ;   in Loop: Header=BB333_9 Depth=1
	v_ffbh_u32_e32 v54, v1
	v_min_u32_e32 v54, 32, v54
	v_subrev_nc_u32_e32 v55, 28, v54
	v_sub_nc_u32_e32 v54, 29, v54
	v_lshlrev_b64 v[55:56], v55, v[1:2]
	v_and_b32_e32 v1, 7, v55
; %bb.118:                              ;   in Loop: Header=BB333_9 Depth=1
	s_or_b32 exec_lo, exec_lo, s33
	v_lshlrev_b32_e32 v55, 16, v7
	v_lshlrev_b32_e32 v1, 20, v1
	v_lshl_add_u32 v54, v54, 23, 0x3c000000
	v_and_b32_e32 v55, 0x80000000, v55
	v_or3_b32 v54, v1, v55, v54
.LBB333_119:                            ;   in Loop: Header=BB333_9 Depth=1
	s_or_b32 exec_lo, exec_lo, s31
.LBB333_120:                            ;   in Loop: Header=BB333_9 Depth=1
	s_or_b32 exec_lo, exec_lo, s30
.LBB333_121:                            ;   in Loop: Header=BB333_9 Depth=1
	s_or_b32 exec_lo, exec_lo, s3
	v_and_b32_sdwa v1, v7, v38 dst_sel:DWORD dst_unused:UNUSED_PAD src0_sel:WORD_1 src1_sel:DWORD
	v_mov_b32_e32 v55, 0
	v_mov_b32_e32 v56, 0
	s_mov_b32 s3, exec_lo
	v_cmpx_ne_u16_e32 0, v1
	s_cbranch_execz .LBB333_129
; %bb.122:                              ;   in Loop: Header=BB333_9 Depth=1
	v_bfrev_b32_e32 v56, 1
	s_mov_b32 s30, exec_lo
	v_cmpx_ne_u16_e32 0x80, v1
	s_cbranch_execz .LBB333_128
; %bb.123:                              ;   in Loop: Header=BB333_9 Depth=1
	v_bfe_u32 v57, v7, 16, 7
	v_mov_b32_e32 v56, 0x7f800001
	s_mov_b32 s31, exec_lo
	v_cmpx_ne_u32_e32 0x7f, v57
	s_cbranch_execz .LBB333_127
; %bb.124:                              ;   in Loop: Header=BB333_9 Depth=1
	v_and_b32_sdwa v1, v7, v39 dst_sel:DWORD dst_unused:UNUSED_PAD src0_sel:WORD_1 src1_sel:DWORD
	v_lshrrev_b32_e32 v56, 3, v57
	s_mov_b32 s33, exec_lo
	v_cmpx_gt_u32_e32 8, v57
; %bb.125:                              ;   in Loop: Header=BB333_9 Depth=1
	v_ffbh_u32_e32 v56, v1
	v_min_u32_e32 v56, 32, v56
	v_subrev_nc_u32_e32 v57, 28, v56
	v_sub_nc_u32_e32 v56, 29, v56
	v_lshlrev_b64 v[57:58], v57, v[1:2]
	v_and_b32_e32 v1, 7, v57
; %bb.126:                              ;   in Loop: Header=BB333_9 Depth=1
	s_or_b32 exec_lo, exec_lo, s33
	v_lshlrev_b32_sdwa v57, v40, v7 dst_sel:DWORD dst_unused:UNUSED_PAD src0_sel:DWORD src1_sel:WORD_1
	v_lshlrev_b32_e32 v1, 20, v1
	v_lshl_add_u32 v56, v56, 23, 0x3c000000
	v_and_b32_e32 v57, 0x80000000, v57
	v_or3_b32 v56, v1, v57, v56
.LBB333_127:                            ;   in Loop: Header=BB333_9 Depth=1
	s_or_b32 exec_lo, exec_lo, s31
.LBB333_128:                            ;   in Loop: Header=BB333_9 Depth=1
	s_or_b32 exec_lo, exec_lo, s30
.LBB333_129:                            ;   in Loop: Header=BB333_9 Depth=1
	s_or_b32 exec_lo, exec_lo, s3
	s_mov_b32 s3, exec_lo
	v_cmpx_lt_u32_e32 0xffffff, v7
	s_cbranch_execz .LBB333_137
; %bb.130:                              ;   in Loop: Header=BB333_9 Depth=1
	v_cmp_ne_u32_sdwa s2, v7, v36 src0_sel:BYTE_3 src1_sel:DWORD
	v_bfrev_b32_e32 v55, 1
	s_and_saveexec_b32 s30, s2
	s_cbranch_execz .LBB333_136
; %bb.131:                              ;   in Loop: Header=BB333_9 Depth=1
	v_bfe_u32 v57, v7, 24, 7
	v_mov_b32_e32 v55, 0x7f800001
	s_mov_b32 s31, exec_lo
	v_cmpx_ne_u32_e32 0x7f, v57
	s_cbranch_execz .LBB333_135
; %bb.132:                              ;   in Loop: Header=BB333_9 Depth=1
	v_and_b32_sdwa v1, v7, v39 dst_sel:DWORD dst_unused:UNUSED_PAD src0_sel:BYTE_3 src1_sel:DWORD
	v_lshrrev_b32_e32 v55, 3, v57
	s_mov_b32 s33, exec_lo
	v_cmpx_gt_u32_e32 8, v57
; %bb.133:                              ;   in Loop: Header=BB333_9 Depth=1
	v_ffbh_u32_e32 v55, v1
	v_min_u32_e32 v55, 32, v55
	v_subrev_nc_u32_e32 v57, 28, v55
	v_sub_nc_u32_e32 v55, 29, v55
	v_lshlrev_b64 v[57:58], v57, v[1:2]
	v_and_b32_e32 v1, 7, v57
; %bb.134:                              ;   in Loop: Header=BB333_9 Depth=1
	s_or_b32 exec_lo, exec_lo, s33
	v_lshlrev_b32_sdwa v7, v40, v7 dst_sel:DWORD dst_unused:UNUSED_PAD src0_sel:DWORD src1_sel:BYTE_3
	v_lshlrev_b32_e32 v1, 20, v1
	v_lshl_add_u32 v55, v55, 23, 0x3c000000
	v_and_b32_e32 v7, 0x80000000, v7
	v_or3_b32 v55, v1, v7, v55
.LBB333_135:                            ;   in Loop: Header=BB333_9 Depth=1
	s_or_b32 exec_lo, exec_lo, s31
.LBB333_136:                            ;   in Loop: Header=BB333_9 Depth=1
	s_or_b32 exec_lo, exec_lo, s30
.LBB333_137:                            ;   in Loop: Header=BB333_9 Depth=1
	s_or_b32 exec_lo, exec_lo, s3
	s_waitcnt lgkmcnt(0)
	v_mul_f32_e32 v1, s4, v54
	v_mul_f32_e32 v7, s4, v8
	;; [unrolled: 1-line block ×5, first 2 shown]
	v_bfe_u32 v53, v1, 16, 1
	v_bfe_u32 v54, v7, 16, 1
	v_or_b32_e32 v57, 0x400000, v1
	v_cmp_u_f32_e64 s2, v1, v1
	v_or_b32_e32 v58, 0x400000, v7
	v_add3_u32 v53, v53, v1, 0x7fff
	v_bfe_u32 v59, v8, 16, 1
	v_add3_u32 v54, v54, v7, 0x7fff
	v_bfe_u32 v60, v52, 16, 1
	v_mul_f32_e32 v50, s4, v50
	v_cndmask_b32_e64 v1, v53, v57, s2
	v_cmp_u_f32_e64 s2, v7, v7
	v_add3_u32 v53, v59, v8, 0x7fff
	v_add3_u32 v57, v60, v52, 0x7fff
	v_bfe_u32 v59, v51, 16, 1
	v_mul_f32_e32 v49, s4, v49
	v_cndmask_b32_e64 v7, v54, v58, s2
	v_or_b32_e32 v54, 0x400000, v8
	v_cmp_u_f32_e64 s2, v8, v8
	v_or_b32_e32 v58, 0x400000, v52
	v_mul_f32_e32 v48, s4, v48
	v_mul_f32_e32 v47, s4, v47
	;; [unrolled: 1-line block ×3, first 2 shown]
	v_cndmask_b32_e64 v8, v53, v54, s2
	v_cmp_u_f32_e64 s2, v52, v52
	v_bfe_u32 v53, v50, 16, 1
	v_add3_u32 v54, v59, v51, 0x7fff
	v_bfe_u32 v59, v49, 16, 1
	v_mul_f32_e32 v45, s4, v45
	v_cndmask_b32_e64 v52, v57, v58, s2
	v_or_b32_e32 v57, 0x400000, v51
	v_cmp_u_f32_e64 s2, v51, v51
	v_add3_u32 v53, v53, v50, 0x7fff
	v_or_b32_e32 v58, 0x400000, v50
	v_mul_f32_e32 v44, s4, v44
	v_mul_f32_e32 v43, s4, v43
	v_cndmask_b32_e64 v51, v54, v57, s2
	v_cmp_u_f32_e64 s2, v50, v50
	v_bfe_u32 v54, v48, 16, 1
	v_or_b32_e32 v57, 0x400000, v49
	v_mul_f32_e32 v42, s4, v42
	v_mul_f32_e32 v55, s4, v55
	v_cndmask_b32_e64 v50, v53, v58, s2
	v_add3_u32 v53, v59, v49, 0x7fff
	v_cmp_u_f32_e64 s2, v49, v49
	v_add3_u32 v54, v54, v48, 0x7fff
	v_or_b32_e32 v58, 0x400000, v48
	v_bfe_u32 v59, v47, 16, 1
	v_or_b32_e32 v60, 0x400000, v55
	v_cndmask_b32_e64 v49, v53, v57, s2
	v_cmp_u_f32_e64 s2, v48, v48
	v_bfe_u32 v53, v46, 16, 1
	v_or_b32_e32 v57, 0x400000, v47
	v_and_b32_e32 v8, 0xffff0000, v8
	v_and_b32_e32 v49, 0xffff0000, v49
	v_cndmask_b32_e64 v48, v54, v58, s2
	v_add3_u32 v54, v59, v47, 0x7fff
	v_cmp_u_f32_e64 s2, v47, v47
	v_add3_u32 v53, v53, v46, 0x7fff
	v_or_b32_e32 v58, 0x400000, v46
	v_bfe_u32 v59, v45, 16, 1
	v_and_b32_e32 v48, 0xffff0000, v48
	v_cndmask_b32_e64 v47, v54, v57, s2
	v_cmp_u_f32_e64 s2, v46, v46
	v_bfe_u32 v54, v44, 16, 1
	v_or_b32_e32 v57, 0x400000, v45
	v_mul_f32_e32 v49, v19, v49
	v_and_b32_e32 v47, 0xffff0000, v47
	v_cndmask_b32_e64 v46, v53, v58, s2
	v_add3_u32 v53, v59, v45, 0x7fff
	v_cmp_u_f32_e64 s2, v45, v45
	v_add3_u32 v54, v54, v44, 0x7fff
	v_or_b32_e32 v58, 0x400000, v44
	v_and_b32_e32 v46, 0xffff0000, v46
	v_mul_f32_e32 v47, v18, v47
	v_cndmask_b32_e64 v45, v53, v57, s2
	v_bfe_u32 v53, v43, 16, 1
	v_cmp_u_f32_e64 s2, v44, v44
	v_bfe_u32 v57, v42, 16, 1
	v_mul_f32_e32 v46, v17, v46
	v_and_b32_e32 v45, 0xffff0000, v45
	v_add3_u32 v53, v53, v43, 0x7fff
	v_cndmask_b32_e64 v44, v54, v58, s2
	v_mul_f32_e32 v54, s4, v56
	v_or_b32_e32 v56, 0x400000, v43
	v_cmp_u_f32_e64 s2, v43, v43
	v_fmac_f32_e32 v49, v15, v45
	v_and_b32_e32 v44, 0xffff0000, v44
	v_bfe_u32 v58, v54, 16, 1
	v_or_b32_e32 v59, 0x400000, v54
	v_cndmask_b32_e64 v43, v53, v56, s2
	v_add3_u32 v56, v57, v42, 0x7fff
	v_or_b32_e32 v57, 0x400000, v42
	v_cmp_u_f32_e64 s2, v42, v42
	v_bfe_u32 v53, v55, 16, 1
	v_and_b32_e32 v43, 0xffff0000, v43
	v_add3_u32 v58, v58, v54, 0x7fff
	v_and_b32_e32 v7, 0xffff0000, v7
	v_cndmask_b32_e64 v42, v56, v57, s2
	v_cmp_u_f32_e64 s2, v54, v54
	v_fmac_f32_e32 v47, v14, v43
	v_and_b32_e32 v43, 0xffff0000, v51
	v_add3_u32 v53, v53, v55, 0x7fff
	v_and_b32_e32 v42, 0xffff0000, v42
	v_cndmask_b32_e64 v54, v58, v59, s2
	v_cmp_u_f32_e64 s2, v55, v55
	v_fmac_f32_e32 v47, v25, v43
	v_and_b32_e32 v1, 0xffff0000, v1
	v_fmac_f32_e32 v46, v12, v42
	v_mul_f32_e32 v42, v20, v48
	v_and_b32_e32 v48, 0xffff0000, v50
	v_cndmask_b32_e64 v53, v53, v60, s2
	v_and_b32_e32 v43, 0xffff0000, v52
	v_fmac_f32_e32 v49, v27, v8
	v_fmac_f32_e32 v42, v16, v44
	;; [unrolled: 1-line block ×4, first 2 shown]
	v_and_b32_e32 v1, 0xffff0000, v53
	v_fmac_f32_e32 v42, v28, v43
	v_fmac_f32_e32 v46, v29, v7
	v_and_b32_e32 v7, 0xffff0000, v54
	v_fmac_f32_e32 v42, v32, v1
	v_fmac_f32_e32 v49, v31, v7
	v_add_f32_e32 v7, v46, v47
	v_add_f32_e32 v1, v7, v49
	;; [unrolled: 1-line block ×3, first 2 shown]
	ds_bpermute_b32 v7, v33, v1
	s_and_saveexec_b32 s3, vcc_lo
	s_cbranch_execz .LBB333_8
; %bb.138:                              ;   in Loop: Header=BB333_9 Depth=1
	v_add_nc_u32_e32 v8, s5, v34
	s_waitcnt lgkmcnt(0)
	v_add_f32_e32 v1, v1, v7
	v_cmp_gt_i32_e64 s2, s11, v34
	v_cvt_f32_i32_e32 v8, v8
	v_mul_f32_e32 v8, s28, v8
	v_cndmask_b32_e64 v7, 0, v8, s1
	v_max_f32_e32 v8, v26, v26
	v_fmac_f32_e32 v7, s29, v1
	v_max_f32_e32 v1, v8, v7
	v_cndmask_b32_e64 v7, 0, v7, s2
	v_cndmask_b32_e64 v26, v26, v1, s2
	ds_write_b32 v35, v7
	s_branch .LBB333_8
.LBB333_139:
	s_or_b32 exec_lo, exec_lo, s16
.LBB333_140:
	s_or_b32 exec_lo, exec_lo, s15
	v_xor_b32_e32 v1, 16, v10
	v_xor_b32_e32 v4, 8, v10
	v_max_f32_e32 v5, v26, v26
	v_xor_b32_e32 v6, 4, v10
	v_and_b32_e32 v24, 31, v0
	v_cmp_lt_i32_e32 vcc_lo, v1, v11
	v_cndmask_b32_e32 v1, v10, v1, vcc_lo
	v_cmp_lt_i32_e32 vcc_lo, v4, v11
	v_lshlrev_b32_e32 v3, 2, v1
	v_cndmask_b32_e32 v4, v10, v4, vcc_lo
	v_cmp_lt_i32_e32 vcc_lo, v6, v11
	ds_bpermute_b32 v1, v3, v26
	v_lshlrev_b32_e32 v4, 2, v4
	v_cndmask_b32_e32 v6, v10, v6, vcc_lo
	s_waitcnt lgkmcnt(0)
	v_max_f32_e32 v1, v1, v1
	v_max_f32_e32 v1, v5, v1
	ds_bpermute_b32 v5, v4, v1
	s_waitcnt lgkmcnt(0)
	v_max_f32_e32 v7, v5, v5
	v_lshlrev_b32_e32 v5, 2, v6
	v_max_f32_e32 v1, v1, v7
	v_xor_b32_e32 v7, 2, v10
	ds_bpermute_b32 v6, v5, v1
	v_cmp_lt_i32_e32 vcc_lo, v7, v11
	v_cndmask_b32_e32 v8, v10, v7, vcc_lo
	v_cmp_eq_u32_e32 vcc_lo, 0, v24
	s_waitcnt lgkmcnt(0)
	v_max_f32_e32 v6, v6, v6
	v_max_f32_e32 v7, v1, v6
	v_lshlrev_b32_e32 v1, 2, v8
	v_lshlrev_b32_e32 v6, 2, v23
	ds_bpermute_b32 v8, v1, v7
	s_and_saveexec_b32 s1, vcc_lo
	s_cbranch_execz .LBB333_142
; %bb.141:
	s_waitcnt lgkmcnt(0)
	v_max_f32_e32 v8, v8, v8
	v_max_f32_e32 v7, v7, v7
	;; [unrolled: 1-line block ×3, first 2 shown]
	ds_write_b32 v6, v7 offset:64
.LBB333_142:
	s_or_b32 exec_lo, exec_lo, s1
	v_cmp_gt_u32_e64 s1, 4, v24
	s_waitcnt lgkmcnt(0)
	v_mov_b32_e32 v8, 0xff7fffff
	v_lshlrev_b32_e32 v7, 2, v24
	s_barrier
	buffer_gl0_inv
	s_and_saveexec_b32 s2, s1
; %bb.143:
	ds_read_b32 v8, v7 offset:64
; %bb.144:
	s_or_b32 exec_lo, exec_lo, s2
	s_waitcnt lgkmcnt(0)
	ds_bpermute_b32 v12, v1, v8
	v_xor_b32_e32 v14, 1, v10
	v_max_f32_e32 v8, v8, v8
	v_lshlrev_b32_e32 v2, 2, v2
	v_cmp_lt_i32_e64 s2, v14, v11
	v_cndmask_b32_e64 v11, v10, v14, s2
	s_lshl_b32 s2, s12, 4
	s_min_i32 s4, s2, s11
	v_lshlrev_b32_e32 v25, 2, v11
	v_cmp_gt_i32_e64 s2, s4, v0
	s_waitcnt lgkmcnt(0)
	v_max_f32_e32 v12, v12, v12
	v_max_f32_e32 v8, v8, v12
	ds_bpermute_b32 v11, v25, v8
	s_waitcnt lgkmcnt(0)
	v_max_f32_e32 v11, v11, v11
	v_max_f32_e32 v8, v8, v11
	ds_bpermute_b32 v11, v2, v8
	v_mov_b32_e32 v8, 0
	v_lshl_add_u32 v2, v0, 2, 0x60
	s_and_saveexec_b32 s5, s2
	s_cbranch_execz .LBB333_148
; %bb.145:
	v_lshl_add_u32 v12, v0, 2, 0x60
	v_mov_b32_e32 v8, 0
	v_mov_b32_e32 v14, v0
	s_mov_b32 s15, 0
	.p2align	6
.LBB333_146:                            ; =>This Inner Loop Header: Depth=1
	ds_read_b32 v15, v12
	v_add_nc_u32_e32 v14, 0x80, v14
	v_cmp_le_i32_e64 s3, s4, v14
	s_or_b32 s15, s3, s15
	s_waitcnt lgkmcnt(0)
	v_sub_f32_e32 v15, v15, v11
	v_mul_f32_e32 v15, 0x3fb8aa3b, v15
	v_exp_f32_e32 v15, v15
	ds_write_b32 v12, v15
	v_add_f32_e32 v8, v8, v15
	v_add_nc_u32_e32 v12, 0x200, v12
	s_andn2_b32 exec_lo, exec_lo, s15
	s_cbranch_execnz .LBB333_146
; %bb.147:
	s_or_b32 exec_lo, exec_lo, s15
.LBB333_148:
	s_or_b32 exec_lo, exec_lo, s5
	ds_bpermute_b32 v3, v3, v8
	s_waitcnt lgkmcnt(0)
	v_add_f32_e32 v3, v8, v3
	ds_bpermute_b32 v4, v4, v3
	s_waitcnt lgkmcnt(0)
	v_add_f32_e32 v3, v3, v4
	;; [unrolled: 3-line block ×5, first 2 shown]
	s_and_saveexec_b32 s3, vcc_lo
; %bb.149:
	ds_write_b32 v6, v3 offset:80
; %bb.150:
	s_or_b32 exec_lo, exec_lo, s3
	s_waitcnt lgkmcnt(0)
	s_barrier
	buffer_gl0_inv
	s_and_saveexec_b32 s3, s1
; %bb.151:
	ds_read_b32 v3, v7 offset:80
; %bb.152:
	s_or_b32 exec_lo, exec_lo, s3
	s_waitcnt lgkmcnt(0)
	ds_bpermute_b32 v1, v1, v3
	v_lshlrev_b32_e32 v4, 2, v10
	s_waitcnt lgkmcnt(0)
	v_add_f32_e32 v1, v3, v1
	ds_bpermute_b32 v3, v25, v1
	s_waitcnt lgkmcnt(0)
	v_add_f32_e32 v1, v1, v3
	v_and_b32_e32 v3, 0xffffff80, v4
	ds_bpermute_b32 v1, v3, v1
	s_and_saveexec_b32 s1, s2
	s_cbranch_execz .LBB333_155
; %bb.153:
	s_waitcnt lgkmcnt(0)
	v_add_f32_e32 v1, 0x358637bd, v1
	s_mov_b32 s2, 0
	v_div_scale_f32 v3, null, v1, v1, 1.0
	v_div_scale_f32 v6, vcc_lo, 1.0, v1, 1.0
	v_rcp_f32_e32 v4, v3
	v_fma_f32 v5, -v3, v4, 1.0
	v_fmac_f32_e32 v4, v5, v4
	v_mul_f32_e32 v5, v6, v4
	v_fma_f32 v7, -v3, v5, v6
	v_fmac_f32_e32 v5, v7, v4
	v_fma_f32 v3, -v3, v5, v6
	v_div_fmas_f32 v3, v3, v4, v5
	v_div_fixup_f32 v1, v3, v1, 1.0
	v_mov_b32_e32 v3, v0
.LBB333_154:                            ; =>This Inner Loop Header: Depth=1
	ds_read_b32 v4, v2
	v_add_nc_u32_e32 v3, 0x80, v3
	v_cmp_le_i32_e32 vcc_lo, s4, v3
	s_or_b32 s2, vcc_lo, s2
	s_waitcnt lgkmcnt(0)
	v_mul_f32_e32 v4, v1, v4
	ds_write_b32 v2, v4
	v_add_nc_u32_e32 v2, 0x200, v2
	s_andn2_b32 exec_lo, exec_lo, s2
	s_cbranch_execnz .LBB333_154
.LBB333_155:
	s_or_b32 exec_lo, exec_lo, s1
	v_mov_b32_e32 v26, 0
	v_mov_b32_e32 v27, 0
	s_waitcnt lgkmcnt(0)
	s_barrier
	buffer_gl0_inv
	s_and_saveexec_b32 s1, s0
	s_cbranch_execz .LBB333_283
; %bb.156:
	s_load_dword s5, s[18:19], 0x0
	v_and_b32_e32 v2, 0xf8, v9
	v_and_b32_e32 v1, 8, v9
	v_lshlrev_b32_e32 v4, 4, v23
	s_ashr_i32 s0, s14, 31
	s_add_u32 s2, s26, s14
	v_lshlrev_b32_e32 v3, 5, v22
	s_addc_u32 s0, s27, s0
	v_add_co_u32 v11, s2, s2, v2
	v_or3_b32 v28, v4, v1, 7
	v_and_b32_e32 v1, 0x7c, v13
	v_add_co_ci_u32_e64 v12, null, s0, 0, s2
	s_lshl_b64 s[2:3], s[24:25], 2
	s_mov_b32 s4, s13
	s_add_i32 s13, s12, -1
	v_lshl_or_b32 v3, v23, 6, v3
	s_add_u32 s0, s22, s2
	s_addc_u32 s2, s23, s3
	v_add_co_u32 v13, s0, s0, v1
	v_mov_b32_e32 v10, 0
	v_add_nc_u32_e32 v29, 0x60, v3
	v_add_co_ci_u32_e64 v14, null, s2, 0, s0
	v_mov_b32_e32 v30, 0x80
	v_mov_b32_e32 v31, 0xffff
	;; [unrolled: 1-line block ×8, first 2 shown]
	s_mov_b32 s2, -1
	s_mov_b32 s3, 0xffffff
	s_mov_b32 s14, 0
	s_branch .LBB333_158
.LBB333_157:                            ;   in Loop: Header=BB333_158 Depth=1
	s_or_b32 exec_lo, exec_lo, s0
	v_bfe_u32 v41, v5, 16, 1
	v_or_b32_e32 v43, 0x400000, v5
	v_bfe_u32 v44, v6, 16, 1
	v_cmp_u_f32_e32 vcc_lo, v5, v5
	v_bfe_u32 v45, v7, 16, 1
	v_add3_u32 v41, v41, v5, 0x7fff
	v_or_b32_e32 v46, 0x400000, v6
	v_add3_u32 v44, v44, v6, 0x7fff
	v_or_b32_e32 v47, 0x400000, v7
	v_add3_u32 v45, v45, v7, 0x7fff
	v_cndmask_b32_e32 v5, v41, v43, vcc_lo
	v_cmp_u_f32_e32 vcc_lo, v6, v6
	v_bfe_u32 v41, v8, 16, 1
	v_bfe_u32 v43, v1, 16, 1
	v_lshlrev_b32_e32 v42, 16, v42
	v_and_b32_e32 v5, 0xffff0000, v5
	v_cndmask_b32_e32 v6, v44, v46, vcc_lo
	v_cmp_u_f32_e32 vcc_lo, v7, v7
	v_add3_u32 v41, v41, v8, 0x7fff
	v_or_b32_e32 v44, 0x400000, v8
	v_add3_u32 v43, v43, v1, 0x7fff
	v_bfe_u32 v46, v2, 16, 1
	v_cndmask_b32_e32 v7, v45, v47, vcc_lo
	v_cmp_u_f32_e32 vcc_lo, v8, v8
	v_or_b32_e32 v45, 0x400000, v1
	v_mul_f32_e32 v42, v5, v42
	v_and_b32_e32 v6, 0xffff0000, v6
	v_lshlrev_b32_e32 v40, 16, v40
	v_cndmask_b32_e32 v8, v41, v44, vcc_lo
	v_cmp_u_f32_e32 vcc_lo, v1, v1
	v_add3_u32 v41, v46, v2, 0x7fff
	v_bfe_u32 v44, v3, 16, 1
	v_mul_f32_e32 v40, v6, v40
	v_and_b32_e32 v7, 0xffff0000, v7
	v_cndmask_b32_e32 v1, v43, v45, vcc_lo
	v_or_b32_e32 v43, 0x400000, v2
	v_cmp_u_f32_e32 vcc_lo, v2, v2
	v_lshlrev_b32_e32 v39, 16, v39
	v_and_b32_e32 v8, 0xffff0000, v8
	v_lshlrev_b32_e32 v37, 16, v37
	v_and_b32_e32 v1, 0xffff0000, v1
	v_cndmask_b32_e32 v2, v41, v43, vcc_lo
	v_add3_u32 v41, v44, v3, 0x7fff
	v_or_b32_e32 v43, 0x400000, v3
	v_bfe_u32 v44, v4, 16, 1
	v_cmp_u_f32_e32 vcc_lo, v3, v3
	v_mul_f32_e32 v39, v7, v39
	v_mul_f32_e32 v37, v8, v37
	v_lshlrev_b32_e32 v20, 16, v20
	v_and_b32_e32 v2, 0xffff0000, v2
	v_cndmask_b32_e32 v3, v41, v43, vcc_lo
	v_add3_u32 v41, v44, v4, 0x7fff
	v_or_b32_e32 v43, 0x400000, v4
	v_bfe_u32 v44, v42, 16, 1
	v_cmp_u_f32_e32 vcc_lo, v4, v4
	v_or_b32_e32 v45, 0x400000, v39
	v_bfe_u32 v46, v37, 16, 1
	v_mul_f32_e32 v20, v1, v20
	v_lshlrev_b32_e32 v19, 16, v19
	v_cndmask_b32_e32 v4, v41, v43, vcc_lo
	v_add3_u32 v41, v44, v42, 0x7fff
	v_or_b32_e32 v43, 0x400000, v42
	v_bfe_u32 v44, v40, 16, 1
	v_cmp_u_f32_e32 vcc_lo, v42, v42
	v_mul_f32_e32 v19, v2, v19
	v_and_b32_e32 v3, 0xffff0000, v3
	v_lshlrev_b32_e32 v38, 16, v38
	v_add3_u32 v42, v44, v40, 0x7fff
	v_cndmask_b32_e32 v41, v41, v43, vcc_lo
	v_bfe_u32 v43, v39, 16, 1
	v_or_b32_e32 v44, 0x400000, v40
	v_cmp_u_f32_e32 vcc_lo, v40, v40
	v_mul_f32_e32 v38, v3, v38
	v_and_b32_e32 v4, 0xffff0000, v4
	v_add3_u32 v43, v43, v39, 0x7fff
	v_lshlrev_b32_e32 v36, 16, v36
	v_cndmask_b32_e32 v40, v42, v44, vcc_lo
	v_cmp_u_f32_e32 vcc_lo, v39, v39
	v_add3_u32 v42, v46, v37, 0x7fff
	v_or_b32_e32 v44, 0x400000, v37
	v_mul_f32_e32 v36, v4, v36
	v_and_b32_e32 v40, 0xffff0000, v40
	v_cndmask_b32_e32 v39, v43, v45, vcc_lo
	v_bfe_u32 v43, v20, 16, 1
	v_cmp_u_f32_e32 vcc_lo, v37, v37
	v_or_b32_e32 v45, 0x400000, v20
	v_and_b32_e32 v41, 0xffff0000, v41
	v_and_b32_e32 v39, 0xffff0000, v39
	v_add3_u32 v43, v43, v20, 0x7fff
	v_cndmask_b32_e32 v37, v42, v44, vcc_lo
	v_bfe_u32 v42, v19, 16, 1
	v_cmp_u_f32_e32 vcc_lo, v20, v20
	v_or_b32_e32 v44, 0x400000, v19
	v_add_f32_e32 v40, v41, v40
	v_and_b32_e32 v37, 0xffff0000, v37
	v_add3_u32 v42, v42, v19, 0x7fff
	v_cndmask_b32_e32 v20, v43, v45, vcc_lo
	v_cmp_u_f32_e32 vcc_lo, v19, v19
	v_bfe_u32 v43, v38, 16, 1
	v_or_b32_e32 v45, 0x400000, v38
	v_add_f32_e32 v37, v39, v37
	v_and_b32_e32 v20, 0xffff0000, v20
	v_cndmask_b32_e32 v19, v42, v44, vcc_lo
	v_lshlrev_b32_e32 v44, 16, v51
	v_add3_u32 v43, v43, v38, 0x7fff
	v_cmp_u_f32_e32 vcc_lo, v38, v38
	v_bfe_u32 v42, v36, 16, 1
	v_and_b32_e32 v19, 0xffff0000, v19
	v_mul_f32_e32 v5, v5, v44
	v_lshlrev_b32_e32 v39, 16, v50
	v_cndmask_b32_e32 v38, v43, v45, vcc_lo
	v_add3_u32 v42, v42, v36, 0x7fff
	v_or_b32_e32 v43, 0x400000, v36
	v_cmp_u_f32_e32 vcc_lo, v36, v36
	v_add_f32_e32 v37, v37, v40
	v_bfe_u32 v40, v5, 16, 1
	v_add_f32_e32 v19, v20, v19
	v_mul_f32_e32 v6, v6, v39
	v_lshlrev_b32_e32 v20, 16, v49
	v_cndmask_b32_e32 v36, v42, v43, vcc_lo
	v_add3_u32 v39, v40, v5, 0x7fff
	v_or_b32_e32 v40, 0x400000, v5
	v_bfe_u32 v41, v6, 16, 1
	v_mul_f32_e32 v7, v7, v20
	v_lshlrev_b32_e32 v16, 16, v16
	v_cmp_u_f32_e32 vcc_lo, v5, v5
	v_lshlrev_b32_e32 v15, 16, v15
	v_add3_u32 v20, v41, v6, 0x7fff
	v_lshlrev_b32_e32 v9, 16, v9
	v_mul_f32_e32 v8, v8, v16
	v_cndmask_b32_e32 v5, v39, v40, vcc_lo
	v_or_b32_e32 v39, 0x400000, v6
	v_bfe_u32 v40, v7, 16, 1
	v_cmp_u_f32_e32 vcc_lo, v6, v6
	v_mul_f32_e32 v1, v1, v15
	v_mul_f32_e32 v2, v2, v9
	v_lshlrev_b32_e32 v9, 16, v18
	v_add3_u32 v16, v40, v7, 0x7fff
	v_cndmask_b32_e32 v6, v20, v39, vcc_lo
	v_or_b32_e32 v20, 0x400000, v7
	v_bfe_u32 v39, v8, 16, 1
	v_cmp_u_f32_e32 vcc_lo, v7, v7
	v_lshlrev_b32_e32 v17, 16, v17
	v_mul_f32_e32 v3, v3, v9
	v_or_b32_e32 v9, 0x400000, v1
	v_add3_u32 v15, v39, v8, 0x7fff
	v_cndmask_b32_e32 v7, v16, v20, vcc_lo
	v_or_b32_e32 v16, 0x400000, v8
	v_bfe_u32 v20, v1, 16, 1
	v_cmp_u_f32_e32 vcc_lo, v8, v8
	v_mul_f32_e32 v4, v4, v17
	v_or_b32_e32 v17, 0x400000, v2
	v_bfe_u32 v18, v3, 16, 1
	v_and_b32_e32 v6, 0xffff0000, v6
	v_cndmask_b32_e32 v8, v15, v16, vcc_lo
	v_bfe_u32 v15, v2, 16, 1
	v_add3_u32 v16, v20, v1, 0x7fff
	v_cmp_u_f32_e32 vcc_lo, v1, v1
	v_bfe_u32 v20, v4, 16, 1
	v_and_b32_e32 v5, 0xffff0000, v5
	v_add3_u32 v15, v15, v2, 0x7fff
	v_and_b32_e32 v8, 0xffff0000, v8
	v_cndmask_b32_e32 v1, v16, v9, vcc_lo
	v_cmp_u_f32_e32 vcc_lo, v2, v2
	v_or_b32_e32 v16, 0x400000, v4
	v_add3_u32 v9, v18, v3, 0x7fff
	v_and_b32_e32 v7, 0xffff0000, v7
	v_add_f32_e32 v5, v5, v6
	v_cndmask_b32_e32 v2, v15, v17, vcc_lo
	v_add3_u32 v15, v20, v4, 0x7fff
	v_cmp_u_f32_e32 vcc_lo, v4, v4
	v_or_b32_e32 v17, 0x400000, v3
	v_add_f32_e32 v6, v7, v8
	v_and_b32_e32 v2, 0xffff0000, v2
	v_and_b32_e32 v1, 0xffff0000, v1
	v_cndmask_b32_e32 v4, v15, v16, vcc_lo
	v_cmp_u_f32_e32 vcc_lo, v3, v3
	v_and_b32_e32 v36, 0xffff0000, v36
	v_and_b32_e32 v7, 0xffff0000, v38
	v_add_f32_e32 v5, v6, v5
	v_add_f32_e32 v1, v1, v2
	v_cndmask_b32_e32 v3, v9, v17, vcc_lo
	v_and_b32_e32 v2, 0xffff0000, v4
	v_add_f32_e32 v4, v19, v37
	v_add_f32_e32 v6, v7, v36
	v_add_f32_e32 v1, v1, v5
	v_and_b32_e32 v3, 0xffff0000, v3
	v_add_nc_u32_e32 v35, 4, v35
	v_add_co_u32 v13, s0, v13, 16
	v_add_nc_u32_e32 v28, 64, v28
	v_add_f32_e32 v2, v3, v2
	v_add_f32_e32 v3, v6, v4
	v_cmp_le_i32_e32 vcc_lo, s12, v35
	v_add_nc_u32_e32 v29, 0x100, v29
	v_add_co_ci_u32_e64 v14, null, 0, v14, s0
	v_add_f32_e32 v1, v2, v1
	v_add_f32_e32 v27, v27, v3
	s_or_b32 s14, vcc_lo, s14
	v_add_f32_e32 v26, v26, v1
	s_andn2_b32 exec_lo, exec_lo, s14
	s_cbranch_execz .LBB333_282
.LBB333_158:                            ; =>This Inner Loop Header: Depth=1
	global_load_dword v1, v[13:14], off
	v_mov_b32_e32 v36, 0
	s_waitcnt vmcnt(0)
	v_mad_i64_i32 v[15:16], null, v1, s4, v[11:12]
	global_load_dwordx2 v[17:18], v[15:16], off
	ds_read2_b64 v[5:8], v29 offset1:1
	ds_read2_b64 v[1:4], v29 offset0:2 offset1:3
	s_waitcnt vmcnt(0)
	v_cmp_ne_u16_sdwa s15, v17, v10 src0_sel:BYTE_0 src1_sel:DWORD
	s_and_saveexec_b32 s0, s15
	s_cbranch_execz .LBB333_164
; %bb.159:                              ;   in Loop: Header=BB333_158 Depth=1
	v_cmp_ne_u16_sdwa s16, v17, v30 src0_sel:BYTE_0 src1_sel:DWORD
	v_bfrev_b32_e32 v36, 1
	s_and_saveexec_b32 s15, s16
	s_cbranch_execz .LBB333_163
; %bb.160:                              ;   in Loop: Header=BB333_158 Depth=1
	v_and_b32_e32 v9, 0x7f, v17
	v_mov_b32_e32 v36, 0x7f800001
	s_mov_b32 s16, exec_lo
	v_cmpx_ne_u32_e32 0x7f, v9
	s_cbranch_execz .LBB333_162
; %bb.161:                              ;   in Loop: Header=BB333_158 Depth=1
	v_and_b32_e32 v19, 7, v17
	v_lshrrev_b32_e32 v20, 3, v9
	v_cmp_gt_u32_e32 vcc_lo, 8, v9
	v_ffbh_u32_e32 v19, v19
	v_min_u32_e32 v19, 32, v19
	v_subrev_nc_u32_e32 v36, 28, v19
	v_sub_nc_u32_e32 v19, 29, v19
	v_cndmask_b32_e32 v9, v20, v19, vcc_lo
	v_cndmask_b32_e32 v19, 0, v36, vcc_lo
	v_lshl_add_u32 v9, v9, 23, 0x3c000000
	v_lshlrev_b64 v[19:20], v19, v[17:18]
	v_lshlrev_b32_e32 v20, 24, v17
	v_lshlrev_b32_e32 v19, 20, v19
	v_and_b32_e32 v20, 0x80000000, v20
	v_and_b32_e32 v19, 0x700000, v19
	v_or3_b32 v36, v19, v20, v9
.LBB333_162:                            ;   in Loop: Header=BB333_158 Depth=1
	s_or_b32 exec_lo, exec_lo, s16
.LBB333_163:                            ;   in Loop: Header=BB333_158 Depth=1
	s_or_b32 exec_lo, exec_lo, s15
.LBB333_164:                            ;   in Loop: Header=BB333_158 Depth=1
	s_or_b32 exec_lo, exec_lo, s0
	v_cmp_ne_u16_sdwa s15, v17, v10 src0_sel:BYTE_1 src1_sel:DWORD
	v_mov_b32_e32 v38, 0
	v_mov_b32_e32 v37, 0
	s_and_saveexec_b32 s0, s15
	s_cbranch_execz .LBB333_172
; %bb.165:                              ;   in Loop: Header=BB333_158 Depth=1
	v_cmp_ne_u16_sdwa s16, v17, v30 src0_sel:BYTE_1 src1_sel:DWORD
	v_bfrev_b32_e32 v37, 1
	s_and_saveexec_b32 s15, s16
	s_cbranch_execz .LBB333_171
; %bb.166:                              ;   in Loop: Header=BB333_158 Depth=1
	v_and_b32_sdwa v9, v31, v17 dst_sel:DWORD dst_unused:UNUSED_PAD src0_sel:DWORD src1_sel:BYTE_1
	v_mov_b32_e32 v37, 0x7f800001
	s_mov_b32 s16, exec_lo
	v_and_b32_e32 v20, 0x7f, v9
	v_cmpx_ne_u32_e32 0x7f, v20
	s_cbranch_execz .LBB333_170
; %bb.167:                              ;   in Loop: Header=BB333_158 Depth=1
	v_and_b32_e32 v9, 7, v9
	v_lshrrev_b32_e32 v19, 3, v20
	s_mov_b32 s17, exec_lo
	v_cmpx_gt_u32_e32 8, v20
; %bb.168:                              ;   in Loop: Header=BB333_158 Depth=1
	v_ffbh_u32_e32 v19, v9
	v_min_u32_e32 v19, 32, v19
	v_subrev_nc_u32_e32 v20, 28, v19
	v_sub_nc_u32_e32 v19, 29, v19
	v_lshlrev_b64 v[39:40], v20, v[9:10]
	v_and_b32_e32 v9, 7, v39
; %bb.169:                              ;   in Loop: Header=BB333_158 Depth=1
	s_or_b32 exec_lo, exec_lo, s17
	v_lshlrev_b32_e32 v20, 16, v17
	v_lshlrev_b32_e32 v9, 20, v9
	v_lshl_add_u32 v19, v19, 23, 0x3c000000
	v_and_b32_e32 v20, 0x80000000, v20
	v_or3_b32 v37, v9, v20, v19
.LBB333_170:                            ;   in Loop: Header=BB333_158 Depth=1
	s_or_b32 exec_lo, exec_lo, s16
.LBB333_171:                            ;   in Loop: Header=BB333_158 Depth=1
	s_or_b32 exec_lo, exec_lo, s15
.LBB333_172:                            ;   in Loop: Header=BB333_158 Depth=1
	s_or_b32 exec_lo, exec_lo, s0
	v_and_b32_sdwa v9, v17, v32 dst_sel:DWORD dst_unused:UNUSED_PAD src0_sel:WORD_1 src1_sel:DWORD
	s_mov_b32 s0, exec_lo
	v_cmpx_ne_u16_e32 0, v9
	s_cbranch_execz .LBB333_180
; %bb.173:                              ;   in Loop: Header=BB333_158 Depth=1
	v_bfrev_b32_e32 v38, 1
	s_mov_b32 s15, exec_lo
	v_cmpx_ne_u16_e32 0x80, v9
	s_cbranch_execz .LBB333_179
; %bb.174:                              ;   in Loop: Header=BB333_158 Depth=1
	v_bfe_u32 v20, v17, 16, 7
	v_mov_b32_e32 v38, 0x7f800001
	s_mov_b32 s16, exec_lo
	v_cmpx_ne_u32_e32 0x7f, v20
	s_cbranch_execz .LBB333_178
; %bb.175:                              ;   in Loop: Header=BB333_158 Depth=1
	v_and_b32_sdwa v9, v17, v33 dst_sel:DWORD dst_unused:UNUSED_PAD src0_sel:WORD_1 src1_sel:DWORD
	v_lshrrev_b32_e32 v19, 3, v20
	s_mov_b32 s17, exec_lo
	v_cmpx_gt_u32_e32 8, v20
; %bb.176:                              ;   in Loop: Header=BB333_158 Depth=1
	v_ffbh_u32_e32 v19, v9
	v_min_u32_e32 v19, 32, v19
	v_subrev_nc_u32_e32 v20, 28, v19
	v_sub_nc_u32_e32 v19, 29, v19
	v_lshlrev_b64 v[38:39], v20, v[9:10]
	v_and_b32_e32 v9, 7, v38
; %bb.177:                              ;   in Loop: Header=BB333_158 Depth=1
	s_or_b32 exec_lo, exec_lo, s17
	v_lshlrev_b32_sdwa v20, v34, v17 dst_sel:DWORD dst_unused:UNUSED_PAD src0_sel:DWORD src1_sel:WORD_1
	v_lshlrev_b32_e32 v9, 20, v9
	v_lshl_add_u32 v19, v19, 23, 0x3c000000
	v_and_b32_e32 v20, 0x80000000, v20
	v_or3_b32 v38, v9, v20, v19
.LBB333_178:                            ;   in Loop: Header=BB333_158 Depth=1
	s_or_b32 exec_lo, exec_lo, s16
.LBB333_179:                            ;   in Loop: Header=BB333_158 Depth=1
	s_or_b32 exec_lo, exec_lo, s15
.LBB333_180:                            ;   in Loop: Header=BB333_158 Depth=1
	s_or_b32 exec_lo, exec_lo, s0
	v_mov_b32_e32 v39, 0
	v_mov_b32_e32 v40, 0
	s_mov_b32 s0, exec_lo
	v_cmpx_lt_u32_e32 0xffffff, v17
	s_cbranch_execz .LBB333_188
; %bb.181:                              ;   in Loop: Header=BB333_158 Depth=1
	v_cmp_ne_u32_sdwa s16, v17, v30 src0_sel:BYTE_3 src1_sel:DWORD
	v_bfrev_b32_e32 v40, 1
	s_and_saveexec_b32 s15, s16
	s_cbranch_execz .LBB333_187
; %bb.182:                              ;   in Loop: Header=BB333_158 Depth=1
	v_bfe_u32 v20, v17, 24, 7
	v_mov_b32_e32 v40, 0x7f800001
	s_mov_b32 s16, exec_lo
	v_cmpx_ne_u32_e32 0x7f, v20
	s_cbranch_execz .LBB333_186
; %bb.183:                              ;   in Loop: Header=BB333_158 Depth=1
	v_and_b32_sdwa v9, v17, v33 dst_sel:DWORD dst_unused:UNUSED_PAD src0_sel:BYTE_3 src1_sel:DWORD
	v_lshrrev_b32_e32 v19, 3, v20
	s_mov_b32 s17, exec_lo
	v_cmpx_gt_u32_e32 8, v20
; %bb.184:                              ;   in Loop: Header=BB333_158 Depth=1
	v_ffbh_u32_e32 v19, v9
	v_min_u32_e32 v19, 32, v19
	v_subrev_nc_u32_e32 v20, 28, v19
	v_sub_nc_u32_e32 v19, 29, v19
	v_lshlrev_b64 v[40:41], v20, v[9:10]
	v_and_b32_e32 v9, 7, v40
; %bb.185:                              ;   in Loop: Header=BB333_158 Depth=1
	s_or_b32 exec_lo, exec_lo, s17
	v_lshlrev_b32_sdwa v20, v34, v17 dst_sel:DWORD dst_unused:UNUSED_PAD src0_sel:DWORD src1_sel:BYTE_3
	v_lshlrev_b32_e32 v9, 20, v9
	v_lshl_add_u32 v19, v19, 23, 0x3c000000
	v_and_b32_e32 v20, 0x80000000, v20
	v_or3_b32 v40, v9, v20, v19
.LBB333_186:                            ;   in Loop: Header=BB333_158 Depth=1
	s_or_b32 exec_lo, exec_lo, s16
.LBB333_187:                            ;   in Loop: Header=BB333_158 Depth=1
	s_or_b32 exec_lo, exec_lo, s15
.LBB333_188:                            ;   in Loop: Header=BB333_158 Depth=1
	s_or_b32 exec_lo, exec_lo, s0
	v_mov_b32_e32 v9, v18
	v_cmp_ne_u16_sdwa s15, v18, v10 src0_sel:BYTE_0 src1_sel:DWORD
	s_and_saveexec_b32 s0, s15
	s_cbranch_execz .LBB333_194
; %bb.189:                              ;   in Loop: Header=BB333_158 Depth=1
	v_cmp_ne_u16_sdwa s16, v18, v30 src0_sel:BYTE_0 src1_sel:DWORD
	v_bfrev_b32_e32 v39, 1
	s_and_saveexec_b32 s15, s16
	s_cbranch_execz .LBB333_193
; %bb.190:                              ;   in Loop: Header=BB333_158 Depth=1
	v_and_b32_e32 v19, 0x7f, v18
	v_mov_b32_e32 v39, 0x7f800001
	s_mov_b32 s16, exec_lo
	v_cmpx_ne_u32_e32 0x7f, v19
	s_cbranch_execz .LBB333_192
; %bb.191:                              ;   in Loop: Header=BB333_158 Depth=1
	v_and_b32_e32 v20, 7, v18
	v_cmp_gt_u32_e32 vcc_lo, 8, v19
	v_lshrrev_b32_e32 v39, 3, v19
	v_ffbh_u32_e32 v20, v20
	v_min_u32_e32 v20, 32, v20
	v_subrev_nc_u32_e32 v41, 28, v20
	v_sub_nc_u32_e32 v20, 29, v20
	v_cndmask_b32_e32 v19, 0, v41, vcc_lo
	v_cndmask_b32_e32 v39, v39, v20, vcc_lo
	v_lshlrev_b64 v[19:20], v19, v[9:10]
	v_lshlrev_b32_e32 v20, 24, v9
	v_lshl_add_u32 v39, v39, 23, 0x3c000000
	v_lshlrev_b32_e32 v19, 20, v19
	v_and_b32_e32 v20, 0x80000000, v20
	v_and_b32_e32 v19, 0x700000, v19
	v_or3_b32 v39, v19, v20, v39
.LBB333_192:                            ;   in Loop: Header=BB333_158 Depth=1
	s_or_b32 exec_lo, exec_lo, s16
.LBB333_193:                            ;   in Loop: Header=BB333_158 Depth=1
	s_or_b32 exec_lo, exec_lo, s15
.LBB333_194:                            ;   in Loop: Header=BB333_158 Depth=1
	s_or_b32 exec_lo, exec_lo, s0
	v_cmp_ne_u16_sdwa s15, v9, v10 src0_sel:BYTE_1 src1_sel:DWORD
	v_mov_b32_e32 v42, 0
	v_mov_b32_e32 v19, 0
	s_and_saveexec_b32 s0, s15
	s_cbranch_execz .LBB333_202
; %bb.195:                              ;   in Loop: Header=BB333_158 Depth=1
	v_cmp_ne_u16_sdwa s16, v9, v30 src0_sel:BYTE_1 src1_sel:DWORD
	v_bfrev_b32_e32 v19, 1
	s_and_saveexec_b32 s15, s16
	s_cbranch_execz .LBB333_201
; %bb.196:                              ;   in Loop: Header=BB333_158 Depth=1
	v_and_b32_sdwa v20, v31, v9 dst_sel:DWORD dst_unused:UNUSED_PAD src0_sel:DWORD src1_sel:BYTE_1
	v_mov_b32_e32 v19, 0x7f800001
	s_mov_b32 s16, exec_lo
	v_and_b32_e32 v43, 0x7f, v20
	v_cmpx_ne_u32_e32 0x7f, v43
	s_cbranch_execz .LBB333_200
; %bb.197:                              ;   in Loop: Header=BB333_158 Depth=1
	v_and_b32_e32 v19, 7, v20
	v_mov_b32_e32 v20, v10
	v_lshrrev_b32_e32 v41, 3, v43
	s_mov_b32 s17, exec_lo
	v_cmpx_gt_u32_e32 8, v43
; %bb.198:                              ;   in Loop: Header=BB333_158 Depth=1
	v_ffbh_u32_e32 v41, v19
	v_min_u32_e32 v41, 32, v41
	v_subrev_nc_u32_e32 v43, 28, v41
	v_sub_nc_u32_e32 v41, 29, v41
	v_lshlrev_b64 v[19:20], v43, v[19:20]
	v_and_b32_e32 v19, 7, v19
; %bb.199:                              ;   in Loop: Header=BB333_158 Depth=1
	s_or_b32 exec_lo, exec_lo, s17
	v_lshlrev_b32_e32 v9, 16, v9
	v_lshlrev_b32_e32 v19, 20, v19
	v_lshl_add_u32 v20, v41, 23, 0x3c000000
	v_and_b32_e32 v9, 0x80000000, v9
	v_or3_b32 v19, v19, v9, v20
.LBB333_200:                            ;   in Loop: Header=BB333_158 Depth=1
	s_or_b32 exec_lo, exec_lo, s16
.LBB333_201:                            ;   in Loop: Header=BB333_158 Depth=1
	s_or_b32 exec_lo, exec_lo, s15
.LBB333_202:                            ;   in Loop: Header=BB333_158 Depth=1
	s_or_b32 exec_lo, exec_lo, s0
	v_and_b32_sdwa v9, v18, v32 dst_sel:DWORD dst_unused:UNUSED_PAD src0_sel:WORD_1 src1_sel:DWORD
	s_mov_b32 s0, exec_lo
	v_cmpx_ne_u16_e32 0, v9
	s_cbranch_execz .LBB333_210
; %bb.203:                              ;   in Loop: Header=BB333_158 Depth=1
	v_bfrev_b32_e32 v42, 1
	s_mov_b32 s15, exec_lo
	v_cmpx_ne_u16_e32 0x80, v9
	s_cbranch_execz .LBB333_209
; %bb.204:                              ;   in Loop: Header=BB333_158 Depth=1
	v_bfe_u32 v41, v18, 16, 7
	v_mov_b32_e32 v42, 0x7f800001
	s_mov_b32 s16, exec_lo
	v_cmpx_ne_u32_e32 0x7f, v41
	s_cbranch_execz .LBB333_208
; %bb.205:                              ;   in Loop: Header=BB333_158 Depth=1
	v_and_b32_sdwa v9, v18, v33 dst_sel:DWORD dst_unused:UNUSED_PAD src0_sel:WORD_1 src1_sel:DWORD
	v_lshrrev_b32_e32 v20, 3, v41
	s_mov_b32 s17, exec_lo
	v_cmpx_gt_u32_e32 8, v41
; %bb.206:                              ;   in Loop: Header=BB333_158 Depth=1
	v_ffbh_u32_e32 v20, v9
	v_min_u32_e32 v20, 32, v20
	v_subrev_nc_u32_e32 v41, 28, v20
	v_sub_nc_u32_e32 v20, 29, v20
	v_lshlrev_b64 v[41:42], v41, v[9:10]
	v_and_b32_e32 v9, 7, v41
; %bb.207:                              ;   in Loop: Header=BB333_158 Depth=1
	s_or_b32 exec_lo, exec_lo, s17
	v_lshlrev_b32_sdwa v41, v34, v18 dst_sel:DWORD dst_unused:UNUSED_PAD src0_sel:DWORD src1_sel:WORD_1
	v_lshlrev_b32_e32 v9, 20, v9
	v_lshl_add_u32 v20, v20, 23, 0x3c000000
	v_and_b32_e32 v41, 0x80000000, v41
	v_or3_b32 v42, v9, v41, v20
.LBB333_208:                            ;   in Loop: Header=BB333_158 Depth=1
	s_or_b32 exec_lo, exec_lo, s16
.LBB333_209:                            ;   in Loop: Header=BB333_158 Depth=1
	s_or_b32 exec_lo, exec_lo, s15
.LBB333_210:                            ;   in Loop: Header=BB333_158 Depth=1
	s_or_b32 exec_lo, exec_lo, s0
	v_mov_b32_e32 v9, 0
	s_mov_b32 s0, exec_lo
	v_cmpx_lt_u64_e64 s[2:3], v[17:18]
	s_cbranch_execz .LBB333_218
; %bb.211:                              ;   in Loop: Header=BB333_158 Depth=1
	v_cmp_ne_u32_sdwa s16, v18, v30 src0_sel:BYTE_3 src1_sel:DWORD
	v_bfrev_b32_e32 v9, 1
	s_and_saveexec_b32 s15, s16
	s_cbranch_execz .LBB333_217
; %bb.212:                              ;   in Loop: Header=BB333_158 Depth=1
	v_bfe_u32 v20, v18, 24, 7
	v_mov_b32_e32 v9, 0x7f800001
	s_mov_b32 s16, exec_lo
	v_cmpx_ne_u32_e32 0x7f, v20
	s_cbranch_execz .LBB333_216
; %bb.213:                              ;   in Loop: Header=BB333_158 Depth=1
	v_and_b32_sdwa v9, v18, v33 dst_sel:DWORD dst_unused:UNUSED_PAD src0_sel:BYTE_3 src1_sel:DWORD
	v_lshrrev_b32_e32 v17, 3, v20
	s_mov_b32 s17, exec_lo
	v_cmpx_gt_u32_e32 8, v20
; %bb.214:                              ;   in Loop: Header=BB333_158 Depth=1
	v_ffbh_u32_e32 v17, v9
	v_min_u32_e32 v17, 32, v17
	v_subrev_nc_u32_e32 v20, 28, v17
	v_sub_nc_u32_e32 v17, 29, v17
	v_lshlrev_b64 v[43:44], v20, v[9:10]
	v_and_b32_e32 v9, 7, v43
; %bb.215:                              ;   in Loop: Header=BB333_158 Depth=1
	s_or_b32 exec_lo, exec_lo, s17
	v_lshlrev_b32_sdwa v18, v34, v18 dst_sel:DWORD dst_unused:UNUSED_PAD src0_sel:DWORD src1_sel:BYTE_3
	v_lshlrev_b32_e32 v9, 20, v9
	v_lshl_add_u32 v17, v17, 23, 0x3c000000
	v_and_b32_e32 v18, 0x80000000, v18
	v_or3_b32 v9, v9, v18, v17
.LBB333_216:                            ;   in Loop: Header=BB333_158 Depth=1
	s_or_b32 exec_lo, exec_lo, s16
.LBB333_217:                            ;   in Loop: Header=BB333_158 Depth=1
	s_or_b32 exec_lo, exec_lo, s15
.LBB333_218:                            ;   in Loop: Header=BB333_158 Depth=1
	s_or_b32 exec_lo, exec_lo, s0
	s_waitcnt lgkmcnt(0)
	v_mul_f32_e32 v17, s5, v19
	v_mul_f32_e32 v18, s5, v39
	;; [unrolled: 1-line block ×5, first 2 shown]
	v_bfe_u32 v19, v17, 16, 1
	v_or_b32_e32 v39, 0x400000, v17
	v_bfe_u32 v40, v18, 16, 1
	v_cmp_u_f32_e64 s0, v17, v17
	v_or_b32_e32 v43, 0x400000, v18
	v_add3_u32 v19, v19, v17, 0x7fff
	v_bfe_u32 v44, v20, 16, 1
	v_add3_u32 v40, v40, v18, 0x7fff
	v_or_b32_e32 v45, 0x400000, v20
	v_mul_f32_e32 v9, s5, v9
	v_cndmask_b32_e64 v17, v19, v39, s0
	v_cmp_u_f32_e64 s0, v18, v18
	v_add3_u32 v44, v44, v20, 0x7fff
	v_bfe_u32 v39, v38, 16, 1
	v_add_nc_u32_e32 v41, -7, v28
	v_lshrrev_b32_e32 v19, 16, v17
	v_cndmask_b32_e64 v18, v40, v43, s0
	v_cmp_u_f32_e64 s0, v20, v20
	v_mul_f32_e32 v40, s5, v37
	v_add3_u32 v39, v39, v38, 0x7fff
	v_or_b32_e32 v43, 0x400000, v38
	v_lshrrev_b32_e32 v20, 16, v18
	v_cndmask_b32_e64 v17, v44, v45, s0
	v_cmp_u_f32_e64 s0, v38, v38
	v_mul_f32_e32 v38, s5, v42
	v_bfe_u32 v42, v36, 16, 1
	v_or_b32_e32 v45, 0x400000, v9
	v_lshrrev_b32_e32 v37, 16, v17
	v_bfe_u32 v17, v40, 16, 1
	v_cndmask_b32_e64 v18, v39, v43, s0
	v_or_b32_e32 v39, 0x400000, v40
	v_cmp_u_f32_e64 s0, v40, v40
	v_bfe_u32 v43, v38, 16, 1
	v_add3_u32 v17, v17, v40, 0x7fff
	v_add3_u32 v40, v42, v36, 0x7fff
	v_or_b32_e32 v42, 0x400000, v36
	v_or_b32_e32 v44, 0x400000, v38
	v_add3_u32 v43, v43, v38, 0x7fff
	v_cndmask_b32_e64 v17, v17, v39, s0
	v_cmp_u_f32_e64 s0, v36, v36
	v_bfe_u32 v39, v9, 16, 1
	v_cmp_eq_u32_e32 vcc_lo, s13, v35
	v_add_nc_u32_e32 v48, -6, v28
	v_add_nc_u32_e32 v47, -5, v28
	v_cndmask_b32_e64 v36, v40, v42, s0
	v_cmp_u_f32_e64 s0, v38, v38
	v_add3_u32 v39, v39, v9, 0x7fff
	v_lshrrev_b32_e32 v40, 16, v17
	v_add_nc_u32_e32 v46, -4, v28
	v_lshrrev_b32_e32 v42, 16, v36
	v_cndmask_b32_e64 v38, v43, v44, s0
	v_cmp_u_f32_e64 s0, v9, v9
	v_add_nc_u32_e32 v44, -2, v28
	v_add_nc_u32_e32 v43, -1, v28
	v_lshrrev_b32_e32 v38, 16, v38
	v_cndmask_b32_e64 v9, v39, v45, s0
	v_lshrrev_b32_e32 v39, 16, v18
	v_add_nc_u32_e32 v45, -3, v28
	v_lshrrev_b32_e32 v36, 16, v9
	s_and_saveexec_b32 s15, vcc_lo
	s_cbranch_execz .LBB333_220
; %bb.219:                              ;   in Loop: Header=BB333_158 Depth=1
	v_cmp_gt_i32_e64 s0, s11, v41
	v_cndmask_b32_e64 v42, 0, v42, s0
	v_cmp_gt_i32_e64 s0, s11, v48
	v_cndmask_b32_e64 v40, 0, v40, s0
	;; [unrolled: 2-line block ×8, first 2 shown]
.LBB333_220:                            ;   in Loop: Header=BB333_158 Depth=1
	s_or_b32 exec_lo, exec_lo, s15
	global_load_dwordx2 v[15:16], v[15:16], off offset:256
	v_mov_b32_e32 v50, 0
	v_mov_b32_e32 v49, 0
	s_waitcnt vmcnt(0)
	v_cmp_ne_u16_sdwa s0, v15, v10 src0_sel:BYTE_0 src1_sel:DWORD
	s_and_saveexec_b32 s15, s0
	s_cbranch_execz .LBB333_226
; %bb.221:                              ;   in Loop: Header=BB333_158 Depth=1
	v_cmp_ne_u16_sdwa s0, v15, v30 src0_sel:BYTE_0 src1_sel:DWORD
	v_bfrev_b32_e32 v49, 1
	s_and_saveexec_b32 s16, s0
	s_cbranch_execz .LBB333_225
; %bb.222:                              ;   in Loop: Header=BB333_158 Depth=1
	v_and_b32_e32 v9, 0x7f, v15
	v_mov_b32_e32 v49, 0x7f800001
	s_mov_b32 s17, exec_lo
	v_cmpx_ne_u32_e32 0x7f, v9
	s_cbranch_execz .LBB333_224
; %bb.223:                              ;   in Loop: Header=BB333_158 Depth=1
	v_and_b32_e32 v17, 7, v15
	v_lshrrev_b32_e32 v18, 3, v9
	v_cmp_gt_u32_e64 s0, 8, v9
	v_ffbh_u32_e32 v17, v17
	v_min_u32_e32 v17, 32, v17
	v_subrev_nc_u32_e32 v49, 28, v17
	v_sub_nc_u32_e32 v17, 29, v17
	v_cndmask_b32_e64 v9, v18, v17, s0
	v_cndmask_b32_e64 v17, 0, v49, s0
	v_lshl_add_u32 v9, v9, 23, 0x3c000000
	v_lshlrev_b64 v[17:18], v17, v[15:16]
	v_lshlrev_b32_e32 v18, 24, v15
	v_lshlrev_b32_e32 v17, 20, v17
	v_and_b32_e32 v18, 0x80000000, v18
	v_and_b32_e32 v17, 0x700000, v17
	v_or3_b32 v49, v17, v18, v9
.LBB333_224:                            ;   in Loop: Header=BB333_158 Depth=1
	s_or_b32 exec_lo, exec_lo, s17
.LBB333_225:                            ;   in Loop: Header=BB333_158 Depth=1
	s_or_b32 exec_lo, exec_lo, s16
.LBB333_226:                            ;   in Loop: Header=BB333_158 Depth=1
	s_or_b32 exec_lo, exec_lo, s15
	v_cmp_ne_u16_sdwa s0, v15, v10 src0_sel:BYTE_1 src1_sel:DWORD
	s_and_saveexec_b32 s15, s0
	s_cbranch_execz .LBB333_234
; %bb.227:                              ;   in Loop: Header=BB333_158 Depth=1
	v_cmp_ne_u16_sdwa s0, v15, v30 src0_sel:BYTE_1 src1_sel:DWORD
	v_bfrev_b32_e32 v50, 1
	s_and_saveexec_b32 s16, s0
	s_cbranch_execz .LBB333_233
; %bb.228:                              ;   in Loop: Header=BB333_158 Depth=1
	v_and_b32_sdwa v9, v31, v15 dst_sel:DWORD dst_unused:UNUSED_PAD src0_sel:DWORD src1_sel:BYTE_1
	v_mov_b32_e32 v50, 0x7f800001
	s_mov_b32 s17, exec_lo
	v_and_b32_e32 v18, 0x7f, v9
	v_cmpx_ne_u32_e32 0x7f, v18
	s_cbranch_execz .LBB333_232
; %bb.229:                              ;   in Loop: Header=BB333_158 Depth=1
	v_and_b32_e32 v9, 7, v9
	v_lshrrev_b32_e32 v17, 3, v18
	s_mov_b32 s18, exec_lo
	v_cmpx_gt_u32_e32 8, v18
; %bb.230:                              ;   in Loop: Header=BB333_158 Depth=1
	v_ffbh_u32_e32 v17, v9
	v_min_u32_e32 v17, 32, v17
	v_subrev_nc_u32_e32 v18, 28, v17
	v_sub_nc_u32_e32 v17, 29, v17
	v_lshlrev_b64 v[50:51], v18, v[9:10]
	v_and_b32_e32 v9, 7, v50
; %bb.231:                              ;   in Loop: Header=BB333_158 Depth=1
	s_or_b32 exec_lo, exec_lo, s18
	v_lshlrev_b32_e32 v18, 16, v15
	v_lshlrev_b32_e32 v9, 20, v9
	v_lshl_add_u32 v17, v17, 23, 0x3c000000
	v_and_b32_e32 v18, 0x80000000, v18
	v_or3_b32 v50, v9, v18, v17
.LBB333_232:                            ;   in Loop: Header=BB333_158 Depth=1
	s_or_b32 exec_lo, exec_lo, s17
.LBB333_233:                            ;   in Loop: Header=BB333_158 Depth=1
	s_or_b32 exec_lo, exec_lo, s16
.LBB333_234:                            ;   in Loop: Header=BB333_158 Depth=1
	s_or_b32 exec_lo, exec_lo, s15
	v_and_b32_sdwa v9, v15, v32 dst_sel:DWORD dst_unused:UNUSED_PAD src0_sel:WORD_1 src1_sel:DWORD
	v_mov_b32_e32 v52, 0
	v_mov_b32_e32 v51, 0
	s_mov_b32 s15, exec_lo
	v_cmpx_ne_u16_e32 0, v9
	s_cbranch_execz .LBB333_242
; %bb.235:                              ;   in Loop: Header=BB333_158 Depth=1
	v_bfrev_b32_e32 v51, 1
	s_mov_b32 s16, exec_lo
	v_cmpx_ne_u16_e32 0x80, v9
	s_cbranch_execz .LBB333_241
; %bb.236:                              ;   in Loop: Header=BB333_158 Depth=1
	v_bfe_u32 v18, v15, 16, 7
	v_mov_b32_e32 v51, 0x7f800001
	s_mov_b32 s17, exec_lo
	v_cmpx_ne_u32_e32 0x7f, v18
	s_cbranch_execz .LBB333_240
; %bb.237:                              ;   in Loop: Header=BB333_158 Depth=1
	v_and_b32_sdwa v9, v15, v33 dst_sel:DWORD dst_unused:UNUSED_PAD src0_sel:WORD_1 src1_sel:DWORD
	v_lshrrev_b32_e32 v17, 3, v18
	s_mov_b32 s18, exec_lo
	v_cmpx_gt_u32_e32 8, v18
; %bb.238:                              ;   in Loop: Header=BB333_158 Depth=1
	v_ffbh_u32_e32 v17, v9
	v_min_u32_e32 v17, 32, v17
	v_subrev_nc_u32_e32 v18, 28, v17
	v_sub_nc_u32_e32 v17, 29, v17
	v_lshlrev_b64 v[53:54], v18, v[9:10]
	v_and_b32_e32 v9, 7, v53
; %bb.239:                              ;   in Loop: Header=BB333_158 Depth=1
	s_or_b32 exec_lo, exec_lo, s18
	v_lshlrev_b32_sdwa v18, v34, v15 dst_sel:DWORD dst_unused:UNUSED_PAD src0_sel:DWORD src1_sel:WORD_1
	v_lshlrev_b32_e32 v9, 20, v9
	v_lshl_add_u32 v17, v17, 23, 0x3c000000
	v_and_b32_e32 v18, 0x80000000, v18
	v_or3_b32 v51, v9, v18, v17
.LBB333_240:                            ;   in Loop: Header=BB333_158 Depth=1
	s_or_b32 exec_lo, exec_lo, s17
.LBB333_241:                            ;   in Loop: Header=BB333_158 Depth=1
	s_or_b32 exec_lo, exec_lo, s16
.LBB333_242:                            ;   in Loop: Header=BB333_158 Depth=1
	s_or_b32 exec_lo, exec_lo, s15
	s_mov_b32 s15, exec_lo
	v_cmpx_lt_u32_e32 0xffffff, v15
	s_cbranch_execz .LBB333_250
; %bb.243:                              ;   in Loop: Header=BB333_158 Depth=1
	v_cmp_ne_u32_sdwa s0, v15, v30 src0_sel:BYTE_3 src1_sel:DWORD
	v_bfrev_b32_e32 v52, 1
	s_and_saveexec_b32 s16, s0
	s_cbranch_execz .LBB333_249
; %bb.244:                              ;   in Loop: Header=BB333_158 Depth=1
	v_bfe_u32 v18, v15, 24, 7
	v_mov_b32_e32 v52, 0x7f800001
	s_mov_b32 s17, exec_lo
	v_cmpx_ne_u32_e32 0x7f, v18
	s_cbranch_execz .LBB333_248
; %bb.245:                              ;   in Loop: Header=BB333_158 Depth=1
	v_and_b32_sdwa v9, v15, v33 dst_sel:DWORD dst_unused:UNUSED_PAD src0_sel:BYTE_3 src1_sel:DWORD
	v_lshrrev_b32_e32 v17, 3, v18
	s_mov_b32 s18, exec_lo
	v_cmpx_gt_u32_e32 8, v18
; %bb.246:                              ;   in Loop: Header=BB333_158 Depth=1
	v_ffbh_u32_e32 v17, v9
	v_min_u32_e32 v17, 32, v17
	v_subrev_nc_u32_e32 v18, 28, v17
	v_sub_nc_u32_e32 v17, 29, v17
	v_lshlrev_b64 v[52:53], v18, v[9:10]
	v_and_b32_e32 v9, 7, v52
; %bb.247:                              ;   in Loop: Header=BB333_158 Depth=1
	s_or_b32 exec_lo, exec_lo, s18
	v_lshlrev_b32_sdwa v18, v34, v15 dst_sel:DWORD dst_unused:UNUSED_PAD src0_sel:DWORD src1_sel:BYTE_3
	v_lshlrev_b32_e32 v9, 20, v9
	v_lshl_add_u32 v17, v17, 23, 0x3c000000
	v_and_b32_e32 v18, 0x80000000, v18
	v_or3_b32 v52, v9, v18, v17
.LBB333_248:                            ;   in Loop: Header=BB333_158 Depth=1
	s_or_b32 exec_lo, exec_lo, s17
.LBB333_249:                            ;   in Loop: Header=BB333_158 Depth=1
	s_or_b32 exec_lo, exec_lo, s16
.LBB333_250:                            ;   in Loop: Header=BB333_158 Depth=1
	s_or_b32 exec_lo, exec_lo, s15
	v_mov_b32_e32 v9, v16
	v_cmp_ne_u16_sdwa s0, v16, v10 src0_sel:BYTE_0 src1_sel:DWORD
	v_mov_b32_e32 v17, 0
	v_mov_b32_e32 v53, 0
	s_and_saveexec_b32 s15, s0
	s_cbranch_execz .LBB333_256
; %bb.251:                              ;   in Loop: Header=BB333_158 Depth=1
	v_cmp_ne_u16_sdwa s0, v16, v30 src0_sel:BYTE_0 src1_sel:DWORD
	v_bfrev_b32_e32 v53, 1
	s_and_saveexec_b32 s16, s0
	s_cbranch_execz .LBB333_255
; %bb.252:                              ;   in Loop: Header=BB333_158 Depth=1
	v_and_b32_e32 v18, 0x7f, v16
	v_mov_b32_e32 v53, 0x7f800001
	s_mov_b32 s17, exec_lo
	v_cmpx_ne_u32_e32 0x7f, v18
	s_cbranch_execz .LBB333_254
; %bb.253:                              ;   in Loop: Header=BB333_158 Depth=1
	v_and_b32_e32 v53, 7, v16
	v_lshrrev_b32_e32 v54, 3, v18
	v_cmp_gt_u32_e64 s0, 8, v18
	v_ffbh_u32_e32 v53, v53
	v_min_u32_e32 v53, 32, v53
	v_subrev_nc_u32_e32 v55, 28, v53
	v_sub_nc_u32_e32 v53, 29, v53
	v_cndmask_b32_e64 v18, v54, v53, s0
	v_cndmask_b32_e64 v53, 0, v55, s0
	v_lshl_add_u32 v18, v18, 23, 0x3c000000
	v_lshlrev_b64 v[53:54], v53, v[9:10]
	v_lshlrev_b32_e32 v54, 24, v9
	v_lshlrev_b32_e32 v53, 20, v53
	v_and_b32_e32 v54, 0x80000000, v54
	v_and_b32_e32 v53, 0x700000, v53
	v_or3_b32 v53, v53, v54, v18
.LBB333_254:                            ;   in Loop: Header=BB333_158 Depth=1
	s_or_b32 exec_lo, exec_lo, s17
.LBB333_255:                            ;   in Loop: Header=BB333_158 Depth=1
	s_or_b32 exec_lo, exec_lo, s16
.LBB333_256:                            ;   in Loop: Header=BB333_158 Depth=1
	s_or_b32 exec_lo, exec_lo, s15
	v_cmp_ne_u16_sdwa s0, v9, v10 src0_sel:BYTE_1 src1_sel:DWORD
	s_and_saveexec_b32 s15, s0
	s_cbranch_execz .LBB333_264
; %bb.257:                              ;   in Loop: Header=BB333_158 Depth=1
	v_cmp_ne_u16_sdwa s0, v9, v30 src0_sel:BYTE_1 src1_sel:DWORD
	v_bfrev_b32_e32 v17, 1
	s_and_saveexec_b32 s16, s0
	s_cbranch_execz .LBB333_263
; %bb.258:                              ;   in Loop: Header=BB333_158 Depth=1
	v_and_b32_sdwa v18, v31, v9 dst_sel:DWORD dst_unused:UNUSED_PAD src0_sel:DWORD src1_sel:BYTE_1
	v_mov_b32_e32 v17, 0x7f800001
	s_mov_b32 s17, exec_lo
	v_and_b32_e32 v55, 0x7f, v18
	v_cmpx_ne_u32_e32 0x7f, v55
	s_cbranch_execz .LBB333_262
; %bb.259:                              ;   in Loop: Header=BB333_158 Depth=1
	v_and_b32_e32 v17, 7, v18
	v_mov_b32_e32 v18, v10
	v_lshrrev_b32_e32 v54, 3, v55
	s_mov_b32 s18, exec_lo
	v_cmpx_gt_u32_e32 8, v55
; %bb.260:                              ;   in Loop: Header=BB333_158 Depth=1
	v_ffbh_u32_e32 v54, v17
	v_min_u32_e32 v54, 32, v54
	v_subrev_nc_u32_e32 v55, 28, v54
	v_sub_nc_u32_e32 v54, 29, v54
	v_lshlrev_b64 v[17:18], v55, v[17:18]
	v_and_b32_e32 v17, 7, v17
; %bb.261:                              ;   in Loop: Header=BB333_158 Depth=1
	s_or_b32 exec_lo, exec_lo, s18
	v_lshlrev_b32_e32 v9, 16, v9
	v_lshlrev_b32_e32 v17, 20, v17
	v_lshl_add_u32 v18, v54, 23, 0x3c000000
	v_and_b32_e32 v9, 0x80000000, v9
	v_or3_b32 v17, v17, v9, v18
.LBB333_262:                            ;   in Loop: Header=BB333_158 Depth=1
	s_or_b32 exec_lo, exec_lo, s17
.LBB333_263:                            ;   in Loop: Header=BB333_158 Depth=1
	s_or_b32 exec_lo, exec_lo, s16
.LBB333_264:                            ;   in Loop: Header=BB333_158 Depth=1
	s_or_b32 exec_lo, exec_lo, s15
	v_and_b32_sdwa v9, v16, v32 dst_sel:DWORD dst_unused:UNUSED_PAD src0_sel:WORD_1 src1_sel:DWORD
	v_mov_b32_e32 v18, 0
	v_mov_b32_e32 v54, 0
	s_mov_b32 s15, exec_lo
	v_cmpx_ne_u16_e32 0, v9
	s_cbranch_execz .LBB333_272
; %bb.265:                              ;   in Loop: Header=BB333_158 Depth=1
	v_bfrev_b32_e32 v54, 1
	s_mov_b32 s16, exec_lo
	v_cmpx_ne_u16_e32 0x80, v9
	s_cbranch_execz .LBB333_271
; %bb.266:                              ;   in Loop: Header=BB333_158 Depth=1
	v_bfe_u32 v55, v16, 16, 7
	v_mov_b32_e32 v54, 0x7f800001
	s_mov_b32 s17, exec_lo
	v_cmpx_ne_u32_e32 0x7f, v55
	s_cbranch_execz .LBB333_270
; %bb.267:                              ;   in Loop: Header=BB333_158 Depth=1
	v_and_b32_sdwa v9, v16, v33 dst_sel:DWORD dst_unused:UNUSED_PAD src0_sel:WORD_1 src1_sel:DWORD
	v_lshrrev_b32_e32 v54, 3, v55
	s_mov_b32 s18, exec_lo
	v_cmpx_gt_u32_e32 8, v55
; %bb.268:                              ;   in Loop: Header=BB333_158 Depth=1
	v_ffbh_u32_e32 v54, v9
	v_min_u32_e32 v54, 32, v54
	v_subrev_nc_u32_e32 v55, 28, v54
	v_sub_nc_u32_e32 v54, 29, v54
	v_lshlrev_b64 v[55:56], v55, v[9:10]
	v_and_b32_e32 v9, 7, v55
; %bb.269:                              ;   in Loop: Header=BB333_158 Depth=1
	s_or_b32 exec_lo, exec_lo, s18
	v_lshlrev_b32_sdwa v55, v34, v16 dst_sel:DWORD dst_unused:UNUSED_PAD src0_sel:DWORD src1_sel:WORD_1
	v_lshlrev_b32_e32 v9, 20, v9
	v_lshl_add_u32 v54, v54, 23, 0x3c000000
	v_and_b32_e32 v55, 0x80000000, v55
	v_or3_b32 v54, v9, v55, v54
.LBB333_270:                            ;   in Loop: Header=BB333_158 Depth=1
	s_or_b32 exec_lo, exec_lo, s17
.LBB333_271:                            ;   in Loop: Header=BB333_158 Depth=1
	s_or_b32 exec_lo, exec_lo, s16
.LBB333_272:                            ;   in Loop: Header=BB333_158 Depth=1
	s_or_b32 exec_lo, exec_lo, s15
	s_mov_b32 s15, exec_lo
	v_cmpx_lt_u64_e64 s[2:3], v[15:16]
	s_cbranch_execz .LBB333_280
; %bb.273:                              ;   in Loop: Header=BB333_158 Depth=1
	v_cmp_ne_u32_sdwa s0, v16, v30 src0_sel:BYTE_3 src1_sel:DWORD
	v_bfrev_b32_e32 v18, 1
	s_and_saveexec_b32 s16, s0
	s_cbranch_execz .LBB333_279
; %bb.274:                              ;   in Loop: Header=BB333_158 Depth=1
	v_bfe_u32 v55, v16, 24, 7
	v_mov_b32_e32 v18, 0x7f800001
	s_mov_b32 s17, exec_lo
	v_cmpx_ne_u32_e32 0x7f, v55
	s_cbranch_execz .LBB333_278
; %bb.275:                              ;   in Loop: Header=BB333_158 Depth=1
	v_and_b32_sdwa v9, v16, v33 dst_sel:DWORD dst_unused:UNUSED_PAD src0_sel:BYTE_3 src1_sel:DWORD
	v_lshrrev_b32_e32 v15, 3, v55
	s_mov_b32 s18, exec_lo
	v_cmpx_gt_u32_e32 8, v55
; %bb.276:                              ;   in Loop: Header=BB333_158 Depth=1
	v_ffbh_u32_e32 v15, v9
	v_min_u32_e32 v15, 32, v15
	v_subrev_nc_u32_e32 v18, 28, v15
	v_sub_nc_u32_e32 v15, 29, v15
	v_lshlrev_b64 v[55:56], v18, v[9:10]
	v_and_b32_e32 v9, 7, v55
; %bb.277:                              ;   in Loop: Header=BB333_158 Depth=1
	s_or_b32 exec_lo, exec_lo, s18
	v_lshlrev_b32_sdwa v16, v34, v16 dst_sel:DWORD dst_unused:UNUSED_PAD src0_sel:DWORD src1_sel:BYTE_3
	v_lshlrev_b32_e32 v9, 20, v9
	v_lshl_add_u32 v15, v15, 23, 0x3c000000
	v_and_b32_e32 v16, 0x80000000, v16
	v_or3_b32 v18, v9, v16, v15
.LBB333_278:                            ;   in Loop: Header=BB333_158 Depth=1
	s_or_b32 exec_lo, exec_lo, s17
.LBB333_279:                            ;   in Loop: Header=BB333_158 Depth=1
	s_or_b32 exec_lo, exec_lo, s16
.LBB333_280:                            ;   in Loop: Header=BB333_158 Depth=1
	s_or_b32 exec_lo, exec_lo, s15
	v_mul_f32_e32 v9, s5, v17
	v_mul_f32_e32 v15, s5, v53
	;; [unrolled: 1-line block ×5, first 2 shown]
	v_bfe_u32 v51, v9, 16, 1
	v_or_b32_e32 v52, 0x400000, v9
	v_bfe_u32 v53, v15, 16, 1
	v_cmp_u_f32_e64 s0, v9, v9
	v_or_b32_e32 v55, 0x400000, v15
	v_add3_u32 v51, v51, v9, 0x7fff
	v_bfe_u32 v56, v16, 16, 1
	v_add3_u32 v53, v53, v15, 0x7fff
	v_or_b32_e32 v57, 0x400000, v16
	v_bfe_u32 v58, v17, 16, 1
	v_cndmask_b32_e64 v9, v51, v52, s0
	v_cmp_u_f32_e64 s0, v15, v15
	v_add3_u32 v56, v56, v16, 0x7fff
	v_or_b32_e32 v52, 0x400000, v17
	v_add3_u32 v51, v58, v17, 0x7fff
	v_mul_f32_e32 v49, s5, v49
	v_cndmask_b32_e64 v15, v53, v55, s0
	v_cmp_u_f32_e64 s0, v16, v16
	v_bfe_u32 v53, v50, 16, 1
	v_mul_f32_e32 v18, s5, v18
	v_lshrrev_b32_e32 v9, 16, v9
	v_lshrrev_b32_e32 v15, 16, v15
	v_cndmask_b32_e64 v16, v56, v57, s0
	v_cmp_u_f32_e64 s0, v17, v17
	v_or_b32_e32 v57, 0x400000, v18
	v_lshrrev_b32_e32 v16, 16, v16
	v_cndmask_b32_e64 v17, v51, v52, s0
	v_mul_f32_e32 v51, s5, v54
	v_add3_u32 v52, v53, v50, 0x7fff
	v_or_b32_e32 v53, 0x400000, v50
	v_bfe_u32 v54, v49, 16, 1
	v_cmp_u_f32_e64 s0, v50, v50
	v_bfe_u32 v55, v51, 16, 1
	v_or_b32_e32 v56, 0x400000, v51
	v_cndmask_b32_e64 v50, v52, v53, s0
	v_add3_u32 v53, v54, v49, 0x7fff
	v_or_b32_e32 v54, 0x400000, v49
	v_cmp_u_f32_e64 s0, v49, v49
	v_bfe_u32 v52, v18, 16, 1
	v_add3_u32 v55, v55, v51, 0x7fff
	v_lshrrev_b32_e32 v49, 16, v17
	v_lshrrev_b32_e32 v50, 16, v50
	v_cndmask_b32_e64 v53, v53, v54, s0
	v_cmp_u_f32_e64 s0, v51, v51
	v_add3_u32 v52, v52, v18, 0x7fff
	v_lshrrev_b32_e32 v51, 16, v53
	v_cndmask_b32_e64 v54, v55, v56, s0
	v_cmp_u_f32_e64 s0, v18, v18
	v_lshrrev_b32_e32 v18, 16, v54
	v_cndmask_b32_e64 v52, v52, v57, s0
	v_lshrrev_b32_e32 v17, 16, v52
	s_and_saveexec_b32 s0, vcc_lo
	s_cbranch_execz .LBB333_157
; %bb.281:                              ;   in Loop: Header=BB333_158 Depth=1
	v_cmp_gt_i32_e32 vcc_lo, s11, v41
	v_cndmask_b32_e32 v51, 0, v51, vcc_lo
	v_cmp_gt_i32_e32 vcc_lo, s11, v48
	v_cndmask_b32_e32 v50, 0, v50, vcc_lo
	;; [unrolled: 2-line block ×8, first 2 shown]
	s_branch .LBB333_157
.LBB333_282:
	s_or_b32 exec_lo, exec_lo, s14
.LBB333_283:
	s_or_b32 exec_lo, exec_lo, s1
	ds_bpermute_b32 v1, v25, v27
	ds_bpermute_b32 v5, v25, v26
	v_lshrrev_b32_e32 v3, 1, v24
	v_and_b32_e32 v6, 0x3c1, v0
	s_mov_b32 s0, exec_lo
	s_waitcnt lgkmcnt(0)
	s_barrier
	v_lshl_add_u32 v4, v3, 2, 0x60
	buffer_gl0_inv
	v_add_f32_e32 v2, v27, v1
	v_add_f32_e32 v1, v26, v5
	v_cmpx_eq_u32_e32 64, v6
	s_cbranch_execz .LBB333_285
; %bb.284:
	v_lshl_add_u32 v5, v23, 7, v4
	v_add_nc_u32_e32 v6, 0xffffff00, v5
	v_add_nc_u32_e32 v5, 0xffffff40, v5
	ds_write_b32 v6, v2
	ds_write_b32 v5, v1
.LBB333_285:
	s_or_b32 exec_lo, exec_lo, s0
	v_and_b32_e32 v5, 0x3e0, v0
	v_lshlrev_b32_e32 v3, 2, v3
	s_mov_b32 s1, exec_lo
	v_cmp_eq_u32_e32 vcc_lo, 0, v22
	s_waitcnt lgkmcnt(0)
	v_lshlrev_b32_e32 v5, 2, v5
	s_barrier
	buffer_gl0_inv
	v_add3_u32 v3, 0x60, v5, v3
	v_cmpx_gt_u32_e32 64, v0
	s_cbranch_execz .LBB333_291
; %bb.286:
	s_and_saveexec_b32 s0, vcc_lo
	s_cbranch_execz .LBB333_288
; %bb.287:
	ds_read_b32 v5, v3
	s_waitcnt lgkmcnt(0)
	v_add_f32_e32 v2, v2, v5
.LBB333_288:
	s_or_b32 exec_lo, exec_lo, s0
	s_and_saveexec_b32 s0, vcc_lo
	s_cbranch_execz .LBB333_290
; %bb.289:
	ds_read_b32 v5, v3 offset:64
	s_waitcnt lgkmcnt(0)
	v_add_f32_e32 v1, v1, v5
.LBB333_290:
	s_or_b32 exec_lo, exec_lo, s0
.LBB333_291:
	s_or_b32 exec_lo, exec_lo, s1
	v_and_b32_e32 v5, 0x3e1, v0
	s_mov_b32 s1, exec_lo
	s_barrier
	buffer_gl0_inv
	v_cmpx_eq_u32_e32 32, v5
; %bb.292:
	ds_write2_b32 v4, v2, v1 offset1:16
; %bb.293:
	s_or_b32 exec_lo, exec_lo, s1
	s_mov_b32 s1, exec_lo
	s_waitcnt lgkmcnt(0)
	s_barrier
	buffer_gl0_inv
	v_cmpx_gt_u32_e32 32, v0
	s_cbranch_execz .LBB333_299
; %bb.294:
	s_and_saveexec_b32 s0, vcc_lo
	s_cbranch_execz .LBB333_296
; %bb.295:
	ds_read_b32 v0, v3
	s_waitcnt lgkmcnt(0)
	v_add_f32_e32 v2, v2, v0
.LBB333_296:
	s_or_b32 exec_lo, exec_lo, s0
	s_and_saveexec_b32 s0, vcc_lo
	s_cbranch_execz .LBB333_298
; %bb.297:
	ds_read_b32 v0, v3 offset:64
	s_waitcnt lgkmcnt(0)
	v_add_f32_e32 v1, v1, v0
.LBB333_298:
	s_or_b32 exec_lo, exec_lo, s0
.LBB333_299:
	s_or_b32 exec_lo, exec_lo, s1
	s_barrier
	buffer_gl0_inv
	s_mov_b32 s0, exec_lo
	v_cmpx_eq_u32_e32 0, v5
	s_cbranch_execz .LBB333_301
; %bb.300:
	s_mul_i32 s0, s10, s7
	v_bfe_u32 v0, v2, 16, 1
	s_mul_i32 s0, s0, s9
	s_mul_i32 s2, s7, s6
	s_lshl_b32 s0, s0, 5
	v_or_b32_e32 v3, 0x400000, v2
	s_ashr_i32 s1, s0, 31
	v_bfe_u32 v4, v1, 16, 1
	s_lshl_b64 s[0:1], s[0:1], 1
	v_add3_u32 v0, v0, v2, 0x7fff
	s_add_u32 s4, s20, s0
	s_addc_u32 s5, s21, s1
	s_ashr_i32 s3, s2, 31
	v_cmp_u_f32_e32 vcc_lo, v2, v2
	s_lshl_b64 s[0:1], s[2:3], 1
	v_or_b32_e32 v5, 0x400000, v1
	s_add_u32 s2, s4, s0
	s_addc_u32 s3, s5, s1
	s_lshl_b32 s0, s8, 5
	v_add3_u32 v4, v4, v1, 0x7fff
	v_cndmask_b32_e32 v0, v0, v3, vcc_lo
	v_cmp_u_f32_e32 vcc_lo, v1, v1
	s_ashr_i32 s1, s0, 31
	v_lshlrev_b32_e32 v2, 1, v21
	s_lshl_b64 s[0:1], s[0:1], 1
	v_cndmask_b32_e32 v1, v4, v5, vcc_lo
	s_add_u32 s0, s2, s0
	s_addc_u32 s1, s3, s1
	global_store_short_d16_hi v2, v0, s[0:1]
	global_store_short_d16_hi v2, v1, s[0:1] offset:32
.LBB333_301:
	s_endpgm
	.section	.rodata,"a",@progbits
	.p2align	6, 0x0
	.amdhsa_kernel _ZN4vllm25paged_attention_v1_kernelI14__hip_bfloat16hLi32ELi16ELi128ELNS_18Fp8KVCacheDataTypeE1ELb0EEEvPT_PKS3_PKT0_S9_ifPKiSB_iPKfiiiSD_SD_iiiii
		.amdhsa_group_segment_fixed_size 96
		.amdhsa_private_segment_fixed_size 0
		.amdhsa_kernarg_size 384
		.amdhsa_user_sgpr_count 6
		.amdhsa_user_sgpr_private_segment_buffer 1
		.amdhsa_user_sgpr_dispatch_ptr 0
		.amdhsa_user_sgpr_queue_ptr 0
		.amdhsa_user_sgpr_kernarg_segment_ptr 1
		.amdhsa_user_sgpr_dispatch_id 0
		.amdhsa_user_sgpr_flat_scratch_init 0
		.amdhsa_user_sgpr_private_segment_size 0
		.amdhsa_wavefront_size32 1
		.amdhsa_uses_dynamic_stack 0
		.amdhsa_system_sgpr_private_segment_wavefront_offset 0
		.amdhsa_system_sgpr_workgroup_id_x 1
		.amdhsa_system_sgpr_workgroup_id_y 1
		.amdhsa_system_sgpr_workgroup_id_z 1
		.amdhsa_system_sgpr_workgroup_info 0
		.amdhsa_system_vgpr_workitem_id 0
		.amdhsa_next_free_vgpr 61
		.amdhsa_next_free_sgpr 34
		.amdhsa_reserve_vcc 1
		.amdhsa_reserve_flat_scratch 0
		.amdhsa_float_round_mode_32 0
		.amdhsa_float_round_mode_16_64 0
		.amdhsa_float_denorm_mode_32 3
		.amdhsa_float_denorm_mode_16_64 3
		.amdhsa_dx10_clamp 1
		.amdhsa_ieee_mode 1
		.amdhsa_fp16_overflow 0
		.amdhsa_workgroup_processor_mode 1
		.amdhsa_memory_ordered 1
		.amdhsa_forward_progress 1
		.amdhsa_shared_vgpr_count 0
		.amdhsa_exception_fp_ieee_invalid_op 0
		.amdhsa_exception_fp_denorm_src 0
		.amdhsa_exception_fp_ieee_div_zero 0
		.amdhsa_exception_fp_ieee_overflow 0
		.amdhsa_exception_fp_ieee_underflow 0
		.amdhsa_exception_fp_ieee_inexact 0
		.amdhsa_exception_int_div_zero 0
	.end_amdhsa_kernel
	.section	.text._ZN4vllm25paged_attention_v1_kernelI14__hip_bfloat16hLi32ELi16ELi128ELNS_18Fp8KVCacheDataTypeE1ELb0EEEvPT_PKS3_PKT0_S9_ifPKiSB_iPKfiiiSD_SD_iiiii,"axG",@progbits,_ZN4vllm25paged_attention_v1_kernelI14__hip_bfloat16hLi32ELi16ELi128ELNS_18Fp8KVCacheDataTypeE1ELb0EEEvPT_PKS3_PKT0_S9_ifPKiSB_iPKfiiiSD_SD_iiiii,comdat
.Lfunc_end333:
	.size	_ZN4vllm25paged_attention_v1_kernelI14__hip_bfloat16hLi32ELi16ELi128ELNS_18Fp8KVCacheDataTypeE1ELb0EEEvPT_PKS3_PKT0_S9_ifPKiSB_iPKfiiiSD_SD_iiiii, .Lfunc_end333-_ZN4vllm25paged_attention_v1_kernelI14__hip_bfloat16hLi32ELi16ELi128ELNS_18Fp8KVCacheDataTypeE1ELb0EEEvPT_PKS3_PKT0_S9_ifPKiSB_iPKfiiiSD_SD_iiiii
                                        ; -- End function
	.set _ZN4vllm25paged_attention_v1_kernelI14__hip_bfloat16hLi32ELi16ELi128ELNS_18Fp8KVCacheDataTypeE1ELb0EEEvPT_PKS3_PKT0_S9_ifPKiSB_iPKfiiiSD_SD_iiiii.num_vgpr, 61
	.set _ZN4vllm25paged_attention_v1_kernelI14__hip_bfloat16hLi32ELi16ELi128ELNS_18Fp8KVCacheDataTypeE1ELb0EEEvPT_PKS3_PKT0_S9_ifPKiSB_iPKfiiiSD_SD_iiiii.num_agpr, 0
	.set _ZN4vllm25paged_attention_v1_kernelI14__hip_bfloat16hLi32ELi16ELi128ELNS_18Fp8KVCacheDataTypeE1ELb0EEEvPT_PKS3_PKT0_S9_ifPKiSB_iPKfiiiSD_SD_iiiii.numbered_sgpr, 34
	.set _ZN4vllm25paged_attention_v1_kernelI14__hip_bfloat16hLi32ELi16ELi128ELNS_18Fp8KVCacheDataTypeE1ELb0EEEvPT_PKS3_PKT0_S9_ifPKiSB_iPKfiiiSD_SD_iiiii.num_named_barrier, 0
	.set _ZN4vllm25paged_attention_v1_kernelI14__hip_bfloat16hLi32ELi16ELi128ELNS_18Fp8KVCacheDataTypeE1ELb0EEEvPT_PKS3_PKT0_S9_ifPKiSB_iPKfiiiSD_SD_iiiii.private_seg_size, 0
	.set _ZN4vllm25paged_attention_v1_kernelI14__hip_bfloat16hLi32ELi16ELi128ELNS_18Fp8KVCacheDataTypeE1ELb0EEEvPT_PKS3_PKT0_S9_ifPKiSB_iPKfiiiSD_SD_iiiii.uses_vcc, 1
	.set _ZN4vllm25paged_attention_v1_kernelI14__hip_bfloat16hLi32ELi16ELi128ELNS_18Fp8KVCacheDataTypeE1ELb0EEEvPT_PKS3_PKT0_S9_ifPKiSB_iPKfiiiSD_SD_iiiii.uses_flat_scratch, 0
	.set _ZN4vllm25paged_attention_v1_kernelI14__hip_bfloat16hLi32ELi16ELi128ELNS_18Fp8KVCacheDataTypeE1ELb0EEEvPT_PKS3_PKT0_S9_ifPKiSB_iPKfiiiSD_SD_iiiii.has_dyn_sized_stack, 0
	.set _ZN4vllm25paged_attention_v1_kernelI14__hip_bfloat16hLi32ELi16ELi128ELNS_18Fp8KVCacheDataTypeE1ELb0EEEvPT_PKS3_PKT0_S9_ifPKiSB_iPKfiiiSD_SD_iiiii.has_recursion, 0
	.set _ZN4vllm25paged_attention_v1_kernelI14__hip_bfloat16hLi32ELi16ELi128ELNS_18Fp8KVCacheDataTypeE1ELb0EEEvPT_PKS3_PKT0_S9_ifPKiSB_iPKfiiiSD_SD_iiiii.has_indirect_call, 0
	.section	.AMDGPU.csdata,"",@progbits
; Kernel info:
; codeLenInByte = 11892
; TotalNumSgprs: 36
; NumVgprs: 61
; ScratchSize: 0
; MemoryBound: 0
; FloatMode: 240
; IeeeMode: 1
; LDSByteSize: 96 bytes/workgroup (compile time only)
; SGPRBlocks: 0
; VGPRBlocks: 7
; NumSGPRsForWavesPerEU: 36
; NumVGPRsForWavesPerEU: 61
; Occupancy: 16
; WaveLimiterHint : 1
; COMPUTE_PGM_RSRC2:SCRATCH_EN: 0
; COMPUTE_PGM_RSRC2:USER_SGPR: 6
; COMPUTE_PGM_RSRC2:TRAP_HANDLER: 0
; COMPUTE_PGM_RSRC2:TGID_X_EN: 1
; COMPUTE_PGM_RSRC2:TGID_Y_EN: 1
; COMPUTE_PGM_RSRC2:TGID_Z_EN: 1
; COMPUTE_PGM_RSRC2:TIDIG_COMP_CNT: 0
	.section	.text._ZN4vllm25paged_attention_v1_kernelI14__hip_bfloat16hLi64ELi16ELi128ELNS_18Fp8KVCacheDataTypeE1ELb0EEEvPT_PKS3_PKT0_S9_ifPKiSB_iPKfiiiSD_SD_iiiii,"axG",@progbits,_ZN4vllm25paged_attention_v1_kernelI14__hip_bfloat16hLi64ELi16ELi128ELNS_18Fp8KVCacheDataTypeE1ELb0EEEvPT_PKS3_PKT0_S9_ifPKiSB_iPKfiiiSD_SD_iiiii,comdat
	.protected	_ZN4vllm25paged_attention_v1_kernelI14__hip_bfloat16hLi64ELi16ELi128ELNS_18Fp8KVCacheDataTypeE1ELb0EEEvPT_PKS3_PKT0_S9_ifPKiSB_iPKfiiiSD_SD_iiiii ; -- Begin function _ZN4vllm25paged_attention_v1_kernelI14__hip_bfloat16hLi64ELi16ELi128ELNS_18Fp8KVCacheDataTypeE1ELb0EEEvPT_PKS3_PKT0_S9_ifPKiSB_iPKfiiiSD_SD_iiiii
	.globl	_ZN4vllm25paged_attention_v1_kernelI14__hip_bfloat16hLi64ELi16ELi128ELNS_18Fp8KVCacheDataTypeE1ELb0EEEvPT_PKS3_PKT0_S9_ifPKiSB_iPKfiiiSD_SD_iiiii
	.p2align	8
	.type	_ZN4vllm25paged_attention_v1_kernelI14__hip_bfloat16hLi64ELi16ELi128ELNS_18Fp8KVCacheDataTypeE1ELb0EEEvPT_PKS3_PKT0_S9_ifPKiSB_iPKfiiiSD_SD_iiiii,@function
_ZN4vllm25paged_attention_v1_kernelI14__hip_bfloat16hLi64ELi16ELi128ELNS_18Fp8KVCacheDataTypeE1ELb0EEEvPT_PKS3_PKT0_S9_ifPKiSB_iPKfiiiSD_SD_iiiii: ; @_ZN4vllm25paged_attention_v1_kernelI14__hip_bfloat16hLi64ELi16ELi128ELNS_18Fp8KVCacheDataTypeE1ELb0EEEvPT_PKS3_PKT0_S9_ifPKiSB_iPKfiiiSD_SD_iiiii
; %bb.0:
	s_clause 0x2
	s_load_dword s9, s[4:5], 0x80
	s_load_dwordx2 s[0:1], s[4:5], 0x30
	s_load_dwordx2 s[28:29], s[4:5], 0x20
	s_mov_b32 s10, s7
	s_ashr_i32 s11, s7, 31
	s_lshl_b64 s[2:3], s[10:11], 2
	s_waitcnt lgkmcnt(0)
	s_add_u32 s0, s0, s2
	s_addc_u32 s1, s1, s3
	s_abs_i32 s2, s28
	s_abs_i32 s11, s9
	v_cvt_f32_u32_e32 v1, s2
	s_sub_i32 s7, 0, s2
	v_rcp_iflag_f32_e32 v1, v1
	v_mul_f32_e32 v1, 0x4f7ffffe, v1
	v_cvt_u32_f32_e32 v1, v1
	v_readfirstlane_b32 s3, v1
	s_mul_i32 s7, s7, s3
	s_mul_hi_u32 s7, s3, s7
	s_add_i32 s3, s3, s7
	s_xor_b32 s7, s9, s28
	s_mul_hi_u32 s3, s11, s3
	s_ashr_i32 s7, s7, 31
	s_mul_i32 s12, s3, s2
	s_mov_b32 s28, 0
	s_sub_i32 s11, s11, s12
	s_add_i32 s12, s3, 1
	s_sub_i32 s13, s11, s2
	s_cmp_ge_u32 s11, s2
	s_cselect_b32 s3, s12, s3
	s_cselect_b32 s11, s13, s11
	s_add_i32 s12, s3, 1
	s_cmp_ge_u32 s11, s2
	s_cselect_b32 s2, s12, s3
	s_abs_i32 s17, s6
	s_xor_b32 s2, s2, s7
	s_sub_i32 s19, s2, s7
	s_load_dwordx2 s[2:3], s[4:5], 0x40
	s_abs_i32 s16, s19
	v_cvt_f32_u32_e32 v1, s16
	s_sub_i32 s11, 0, s16
	v_rcp_iflag_f32_e32 v1, v1
	v_mul_f32_e32 v1, 0x4f7ffffe, v1
	v_cvt_u32_f32_e32 v1, v1
	v_readfirstlane_b32 s7, v1
	s_mul_i32 s11, s11, s7
	s_mul_hi_u32 s11, s7, s11
	s_add_i32 s7, s7, s11
	s_waitcnt lgkmcnt(0)
	s_cmp_eq_u64 s[2:3], 0
	s_mul_hi_u32 s18, s17, s7
	s_cbranch_scc1 .LBB334_2
; %bb.1:
	s_ashr_i32 s7, s6, 31
	s_lshl_b64 s[12:13], s[6:7], 2
	s_add_u32 s2, s2, s12
	s_addc_u32 s3, s3, s13
	s_load_dword s28, s[2:3], 0x0
.LBB334_2:
	s_load_dword s11, s[0:1], 0x0
	s_load_dwordx4 s[12:15], s[4:5], 0x48
	v_lshrrev_b32_e32 v21, 1, v0
	v_and_b32_e32 v22, 1, v0
	v_lshlrev_b32_e32 v9, 3, v0
	s_ashr_i32 s0, s6, 31
	s_ashr_i32 s1, s19, 31
	s_lshl_b32 s6, s6, 6
	s_mov_b32 s2, exec_lo
	v_cmpx_gt_u32_e32 16, v0
	s_cbranch_execz .LBB334_4
; %bb.3:
	s_load_dwordx2 s[20:21], s[4:5], 0x8
	s_waitcnt lgkmcnt(0)
	s_mul_i32 s22, s12, s10
	v_lshlrev_b32_e32 v3, 3, v21
	s_ashr_i32 s23, s22, 31
	s_lshl_b64 s[22:23], s[22:23], 1
	v_lshl_add_u32 v3, v22, 6, v3
	s_add_u32 s3, s20, s22
	s_addc_u32 s12, s21, s23
	s_ashr_i32 s7, s6, 31
	s_lshl_b64 s[20:21], s[6:7], 1
	s_add_u32 s20, s3, s20
	s_addc_u32 s21, s12, s21
	global_load_dwordx2 v[1:2], v9, s[20:21]
	s_waitcnt vmcnt(0)
	ds_write_b64 v3, v[1:2]
.LBB334_4:
	s_or_b32 exec_lo, exec_lo, s2
	s_waitcnt lgkmcnt(0)
	s_add_i32 s2, s11, 15
	s_clause 0x1
	s_load_dwordx2 s[22:23], s[4:5], 0x28
	s_load_dword s7, s[4:5], 0x38
	s_ashr_i32 s3, s2, 31
	s_xor_b32 s0, s0, s1
	s_lshr_b32 s3, s3, 28
	s_mul_i32 s1, s18, s16
	s_add_i32 s2, s2, s3
	s_sub_i32 s1, s17, s1
	s_ashr_i32 s12, s2, 4
	s_add_i32 s2, s18, 1
	s_sub_i32 s3, s1, s16
	s_cmp_ge_u32 s1, s16
	v_lshrrev_b32_e32 v23, 5, v0
	s_cselect_b32 s2, s2, s18
	s_cselect_b32 s1, s3, s1
	s_add_i32 s3, s2, 1
	s_cmp_ge_u32 s1, s16
	v_mbcnt_lo_u32_b32 v10, -1, 0
	s_cselect_b32 s1, s3, s2
	s_mov_b32 s2, exec_lo
	s_xor_b32 s1, s1, s0
	s_waitcnt lgkmcnt(0)
	s_mul_i32 s24, s7, s10
	s_sub_i32 s1, s1, s0
	v_cmp_gt_i32_e64 s0, s12, v23
	s_ashr_i32 s25, s24, 31
	s_barrier
	buffer_gl0_inv
                                        ; implicit-def: $vgpr2
                                        ; implicit-def: $vgpr11
	v_cmpx_le_i32_e64 s12, v23
	s_xor_b32 s2, exec_lo, s2
; %bb.5:
	v_mov_b32_e32 v2, 0
	v_mbcnt_lo_u32_b32 v10, -1, 0
	v_mov_b32_e32 v11, 32
; %bb.6:
	s_or_saveexec_b32 s15, s2
	s_clause 0x3
	s_load_dwordx2 s[20:21], s[4:5], 0x0
	s_load_dwordx2 s[26:27], s[4:5], 0x18
	s_load_dword s7, s[4:5], 0x88
	s_load_dwordx4 s[16:19], s[4:5], 0x58
	v_mov_b32_e32 v42, 0xff7fffff
	v_lshrrev_b32_e32 v13, 3, v0
	s_mul_i32 s14, s1, s14
	s_xor_b32 exec_lo, exec_lo, s15
	s_cbranch_execz .LBB334_268
; %bb.7:
	v_lshlrev_b32_e32 v1, 6, v22
	s_load_dwordx2 s[2:3], s[4:5], 0x10
	v_bfe_u32 v7, v0, 1, 4
	s_ashr_i32 s1, s14, 31
	v_lshlrev_b32_e32 v8, 2, v22
	ds_read_b128 v[3:6], v1
	ds_read_b128 v[28:31], v1 offset:16
	ds_read_b128 v[36:39], v1 offset:32
	;; [unrolled: 1-line block ×3, first 2 shown]
	v_lshlrev_b32_e32 v11, 4, v7
	s_waitcnt lgkmcnt(0)
	s_load_dword s4, s[16:17], 0x0
	v_mov_b32_e32 v2, 0
	v_lshl_or_b32 v50, v23, 4, v7
	v_mov_b32_e32 v52, 0x80
	v_mov_b32_e32 v53, 0xffff
	;; [unrolled: 1-line block ×6, first 2 shown]
	s_mov_b32 s17, s13
	s_mov_b32 s16, 0
	s_add_u32 s2, s2, s14
	s_addc_u32 s1, s3, s1
	v_add_co_u32 v1, s2, s2, v11
	v_lshlrev_b32_e32 v12, 16, v3
	v_and_b32_e32 v14, 0xffff0000, v3
	v_xor_b32_e32 v3, 1, v10
	v_lshlrev_b32_e32 v17, 16, v5
	v_and_b32_e32 v18, 0xffff0000, v5
	v_lshlrev_b32_e32 v5, 2, v7
	v_add_co_ci_u32_e64 v42, null, s1, 0, s2
	v_cmp_gt_i32_e32 vcc_lo, 32, v3
	v_lshlrev_b32_e32 v15, 16, v4
	v_and_b32_e32 v16, 0xffff0000, v4
	s_sub_i32 s5, 1, s11
	v_lshlrev_b32_e32 v19, 16, v6
	v_cndmask_b32_e32 v3, v10, v3, vcc_lo
	v_and_b32_e32 v20, 0xffff0000, v6
	v_lshlrev_b32_e32 v24, 16, v28
	v_and_b32_e32 v25, 0xffff0000, v28
	v_lshlrev_b32_e32 v26, 16, v29
	v_lshlrev_b32_e32 v49, 2, v3
	v_add_co_u32 v3, s2, v1, v8
	v_lshl_or_b32 v1, v23, 6, v5
	v_and_b32_e32 v5, 0x7c, v13
	v_add_co_ci_u32_e64 v4, null, 0, v42, s2
	s_lshl_b64 s[2:3], s[24:25], 2
	v_and_b32_e32 v27, 0xffff0000, v29
	s_add_u32 s2, s22, s2
	s_addc_u32 s3, s23, s3
	v_add_co_u32 v5, s2, s2, v5
	v_lshlrev_b32_e32 v28, 16, v30
	v_and_b32_e32 v29, 0xffff0000, v30
	v_lshlrev_b32_e32 v30, 16, v31
	v_and_b32_e32 v31, 0xffff0000, v31
	;; [unrolled: 2-line block ×10, first 2 shown]
	v_mov_b32_e32 v11, 32
	v_cmp_neq_f32_e64 s1, s28, 0
	v_add_nc_u32_e32 v51, 0xa0, v1
	v_add_co_ci_u32_e64 v6, null, s3, 0, s2
	v_mov_b32_e32 v42, 0xff7fffff
	v_cmp_eq_u32_e32 vcc_lo, 0, v22
	s_branch .LBB334_9
.LBB334_8:                              ;   in Loop: Header=BB334_9 Depth=1
	s_or_b32 exec_lo, exec_lo, s3
	v_add_nc_u32_e32 v57, 4, v57
	v_add_co_u32 v5, s3, v5, 16
	v_add_nc_u32_e32 v50, 64, v50
	v_add_nc_u32_e32 v51, 0x100, v51
	v_cmp_le_i32_e64 s2, s12, v57
	v_add_co_ci_u32_e64 v6, null, 0, v6, s3
	s_or_b32 s16, s2, s16
	s_andn2_b32 exec_lo, exec_lo, s16
	s_cbranch_execz .LBB334_267
.LBB334_9:                              ; =>This Inner Loop Header: Depth=1
	global_load_dword v1, v[5:6], off
	v_mov_b32_e32 v58, 0
	s_waitcnt vmcnt(0) lgkmcnt(0)
	v_mad_i64_i32 v[7:8], null, v1, s17, v[3:4]
	global_load_dword v62, v[7:8], off
	s_waitcnt vmcnt(0)
	v_cmp_ne_u16_sdwa s2, v62, v2 src0_sel:BYTE_0 src1_sel:DWORD
	s_and_saveexec_b32 s3, s2
	s_cbranch_execz .LBB334_17
; %bb.10:                               ;   in Loop: Header=BB334_9 Depth=1
	v_cmp_ne_u16_sdwa s2, v62, v52 src0_sel:BYTE_0 src1_sel:DWORD
	v_bfrev_b32_e32 v58, 1
	s_and_saveexec_b32 s30, s2
	s_cbranch_execz .LBB334_16
; %bb.11:                               ;   in Loop: Header=BB334_9 Depth=1
	v_and_b32_e32 v59, 0x7f, v62
	v_mov_b32_e32 v58, 0x7f800001
	s_mov_b32 s31, exec_lo
	v_cmpx_ne_u32_e32 0x7f, v59
	s_cbranch_execz .LBB334_15
; %bb.12:                               ;   in Loop: Header=BB334_9 Depth=1
	v_and_b32_e32 v1, 7, v62
	v_lshrrev_b32_e32 v58, 3, v59
	s_mov_b32 s33, exec_lo
	v_cmpx_gt_u32_e32 8, v59
; %bb.13:                               ;   in Loop: Header=BB334_9 Depth=1
	v_ffbh_u32_e32 v58, v1
	v_min_u32_e32 v58, 32, v58
	v_subrev_nc_u32_e32 v59, 28, v58
	v_sub_nc_u32_e32 v58, 29, v58
	v_lshlrev_b64 v[59:60], v59, v[1:2]
	v_and_b32_e32 v1, 7, v59
; %bb.14:                               ;   in Loop: Header=BB334_9 Depth=1
	s_or_b32 exec_lo, exec_lo, s33
	v_lshlrev_b32_e32 v59, 24, v62
	v_lshlrev_b32_e32 v1, 20, v1
	v_lshl_add_u32 v58, v58, 23, 0x3c000000
	v_and_b32_e32 v59, 0x80000000, v59
	v_or3_b32 v58, v1, v59, v58
.LBB334_15:                             ;   in Loop: Header=BB334_9 Depth=1
	s_or_b32 exec_lo, exec_lo, s31
.LBB334_16:                             ;   in Loop: Header=BB334_9 Depth=1
	s_or_b32 exec_lo, exec_lo, s30
.LBB334_17:                             ;   in Loop: Header=BB334_9 Depth=1
	s_or_b32 exec_lo, exec_lo, s3
	v_cmp_ne_u16_sdwa s2, v62, v2 src0_sel:BYTE_1 src1_sel:DWORD
	v_mov_b32_e32 v59, 0
	s_and_saveexec_b32 s3, s2
	s_cbranch_execz .LBB334_25
; %bb.18:                               ;   in Loop: Header=BB334_9 Depth=1
	v_cmp_ne_u16_sdwa s2, v62, v52 src0_sel:BYTE_1 src1_sel:DWORD
	v_bfrev_b32_e32 v59, 1
	s_and_saveexec_b32 s30, s2
	s_cbranch_execz .LBB334_24
; %bb.19:                               ;   in Loop: Header=BB334_9 Depth=1
	v_and_b32_sdwa v1, v53, v62 dst_sel:DWORD dst_unused:UNUSED_PAD src0_sel:DWORD src1_sel:BYTE_1
	v_mov_b32_e32 v59, 0x7f800001
	s_mov_b32 s31, exec_lo
	v_and_b32_e32 v60, 0x7f, v1
	v_cmpx_ne_u32_e32 0x7f, v60
	s_cbranch_execz .LBB334_23
; %bb.20:                               ;   in Loop: Header=BB334_9 Depth=1
	v_and_b32_e32 v1, 7, v1
	v_lshrrev_b32_e32 v59, 3, v60
	s_mov_b32 s33, exec_lo
	v_cmpx_gt_u32_e32 8, v60
; %bb.21:                               ;   in Loop: Header=BB334_9 Depth=1
	v_ffbh_u32_e32 v59, v1
	v_min_u32_e32 v59, 32, v59
	v_subrev_nc_u32_e32 v60, 28, v59
	v_sub_nc_u32_e32 v59, 29, v59
	v_lshlrev_b64 v[60:61], v60, v[1:2]
	v_and_b32_e32 v1, 7, v60
; %bb.22:                               ;   in Loop: Header=BB334_9 Depth=1
	s_or_b32 exec_lo, exec_lo, s33
	v_lshlrev_b32_e32 v60, 16, v62
	v_lshlrev_b32_e32 v1, 20, v1
	v_lshl_add_u32 v59, v59, 23, 0x3c000000
	v_and_b32_e32 v60, 0x80000000, v60
	v_or3_b32 v59, v1, v60, v59
.LBB334_23:                             ;   in Loop: Header=BB334_9 Depth=1
	s_or_b32 exec_lo, exec_lo, s31
.LBB334_24:                             ;   in Loop: Header=BB334_9 Depth=1
	s_or_b32 exec_lo, exec_lo, s30
.LBB334_25:                             ;   in Loop: Header=BB334_9 Depth=1
	s_or_b32 exec_lo, exec_lo, s3
	v_and_b32_sdwa v1, v62, v54 dst_sel:DWORD dst_unused:UNUSED_PAD src0_sel:WORD_1 src1_sel:DWORD
	v_mov_b32_e32 v60, 0
	v_mov_b32_e32 v61, 0
	s_mov_b32 s3, exec_lo
	v_cmpx_ne_u16_e32 0, v1
	s_cbranch_execz .LBB334_33
; %bb.26:                               ;   in Loop: Header=BB334_9 Depth=1
	v_bfrev_b32_e32 v61, 1
	s_mov_b32 s30, exec_lo
	v_cmpx_ne_u16_e32 0x80, v1
	s_cbranch_execz .LBB334_32
; %bb.27:                               ;   in Loop: Header=BB334_9 Depth=1
	v_bfe_u32 v63, v62, 16, 7
	v_mov_b32_e32 v61, 0x7f800001
	s_mov_b32 s31, exec_lo
	v_cmpx_ne_u32_e32 0x7f, v63
	s_cbranch_execz .LBB334_31
; %bb.28:                               ;   in Loop: Header=BB334_9 Depth=1
	v_and_b32_sdwa v1, v62, v55 dst_sel:DWORD dst_unused:UNUSED_PAD src0_sel:WORD_1 src1_sel:DWORD
	v_lshrrev_b32_e32 v61, 3, v63
	s_mov_b32 s33, exec_lo
	v_cmpx_gt_u32_e32 8, v63
; %bb.29:                               ;   in Loop: Header=BB334_9 Depth=1
	v_ffbh_u32_e32 v61, v1
	v_min_u32_e32 v61, 32, v61
	v_subrev_nc_u32_e32 v63, 28, v61
	v_sub_nc_u32_e32 v61, 29, v61
	v_lshlrev_b64 v[63:64], v63, v[1:2]
	v_and_b32_e32 v1, 7, v63
; %bb.30:                               ;   in Loop: Header=BB334_9 Depth=1
	s_or_b32 exec_lo, exec_lo, s33
	v_lshlrev_b32_sdwa v63, v56, v62 dst_sel:DWORD dst_unused:UNUSED_PAD src0_sel:DWORD src1_sel:WORD_1
	v_lshlrev_b32_e32 v1, 20, v1
	v_lshl_add_u32 v61, v61, 23, 0x3c000000
	v_and_b32_e32 v63, 0x80000000, v63
	v_or3_b32 v61, v1, v63, v61
.LBB334_31:                             ;   in Loop: Header=BB334_9 Depth=1
	s_or_b32 exec_lo, exec_lo, s31
.LBB334_32:                             ;   in Loop: Header=BB334_9 Depth=1
	s_or_b32 exec_lo, exec_lo, s30
.LBB334_33:                             ;   in Loop: Header=BB334_9 Depth=1
	s_or_b32 exec_lo, exec_lo, s3
	s_mov_b32 s3, exec_lo
	v_cmpx_lt_u32_e32 0xffffff, v62
	s_cbranch_execz .LBB334_41
; %bb.34:                               ;   in Loop: Header=BB334_9 Depth=1
	v_cmp_ne_u32_sdwa s2, v62, v52 src0_sel:BYTE_3 src1_sel:DWORD
	v_bfrev_b32_e32 v60, 1
	s_and_saveexec_b32 s30, s2
	s_cbranch_execz .LBB334_40
; %bb.35:                               ;   in Loop: Header=BB334_9 Depth=1
	v_bfe_u32 v63, v62, 24, 7
	v_mov_b32_e32 v60, 0x7f800001
	s_mov_b32 s31, exec_lo
	v_cmpx_ne_u32_e32 0x7f, v63
	s_cbranch_execz .LBB334_39
; %bb.36:                               ;   in Loop: Header=BB334_9 Depth=1
	v_and_b32_sdwa v1, v62, v55 dst_sel:DWORD dst_unused:UNUSED_PAD src0_sel:BYTE_3 src1_sel:DWORD
	v_lshrrev_b32_e32 v60, 3, v63
	s_mov_b32 s33, exec_lo
	v_cmpx_gt_u32_e32 8, v63
; %bb.37:                               ;   in Loop: Header=BB334_9 Depth=1
	v_ffbh_u32_e32 v60, v1
	v_min_u32_e32 v60, 32, v60
	v_subrev_nc_u32_e32 v63, 28, v60
	v_sub_nc_u32_e32 v60, 29, v60
	v_lshlrev_b64 v[63:64], v63, v[1:2]
	v_and_b32_e32 v1, 7, v63
; %bb.38:                               ;   in Loop: Header=BB334_9 Depth=1
	s_or_b32 exec_lo, exec_lo, s33
	v_lshlrev_b32_sdwa v62, v56, v62 dst_sel:DWORD dst_unused:UNUSED_PAD src0_sel:DWORD src1_sel:BYTE_3
	v_lshlrev_b32_e32 v1, 20, v1
	v_lshl_add_u32 v60, v60, 23, 0x3c000000
	v_and_b32_e32 v62, 0x80000000, v62
	v_or3_b32 v60, v1, v62, v60
.LBB334_39:                             ;   in Loop: Header=BB334_9 Depth=1
	s_or_b32 exec_lo, exec_lo, s31
.LBB334_40:                             ;   in Loop: Header=BB334_9 Depth=1
	s_or_b32 exec_lo, exec_lo, s30
.LBB334_41:                             ;   in Loop: Header=BB334_9 Depth=1
	s_or_b32 exec_lo, exec_lo, s3
	global_load_dword v66, v[7:8], off offset:8
	v_mov_b32_e32 v63, 0
	v_mov_b32_e32 v62, 0
	s_waitcnt vmcnt(0)
	v_cmp_ne_u16_sdwa s2, v66, v2 src0_sel:BYTE_0 src1_sel:DWORD
	s_and_saveexec_b32 s3, s2
	s_cbranch_execz .LBB334_49
; %bb.42:                               ;   in Loop: Header=BB334_9 Depth=1
	v_cmp_ne_u16_sdwa s2, v66, v52 src0_sel:BYTE_0 src1_sel:DWORD
	v_bfrev_b32_e32 v62, 1
	s_and_saveexec_b32 s30, s2
	s_cbranch_execz .LBB334_48
; %bb.43:                               ;   in Loop: Header=BB334_9 Depth=1
	v_and_b32_e32 v64, 0x7f, v66
	v_mov_b32_e32 v62, 0x7f800001
	s_mov_b32 s31, exec_lo
	v_cmpx_ne_u32_e32 0x7f, v64
	s_cbranch_execz .LBB334_47
; %bb.44:                               ;   in Loop: Header=BB334_9 Depth=1
	v_and_b32_e32 v1, 7, v66
	v_lshrrev_b32_e32 v62, 3, v64
	s_mov_b32 s33, exec_lo
	v_cmpx_gt_u32_e32 8, v64
; %bb.45:                               ;   in Loop: Header=BB334_9 Depth=1
	v_ffbh_u32_e32 v62, v1
	v_min_u32_e32 v62, 32, v62
	v_subrev_nc_u32_e32 v64, 28, v62
	v_sub_nc_u32_e32 v62, 29, v62
	v_lshlrev_b64 v[64:65], v64, v[1:2]
	v_and_b32_e32 v1, 7, v64
; %bb.46:                               ;   in Loop: Header=BB334_9 Depth=1
	s_or_b32 exec_lo, exec_lo, s33
	v_lshlrev_b32_e32 v64, 24, v66
	v_lshlrev_b32_e32 v1, 20, v1
	v_lshl_add_u32 v62, v62, 23, 0x3c000000
	v_and_b32_e32 v64, 0x80000000, v64
	v_or3_b32 v62, v1, v64, v62
.LBB334_47:                             ;   in Loop: Header=BB334_9 Depth=1
	s_or_b32 exec_lo, exec_lo, s31
.LBB334_48:                             ;   in Loop: Header=BB334_9 Depth=1
	s_or_b32 exec_lo, exec_lo, s30
.LBB334_49:                             ;   in Loop: Header=BB334_9 Depth=1
	s_or_b32 exec_lo, exec_lo, s3
	v_cmp_ne_u16_sdwa s2, v66, v2 src0_sel:BYTE_1 src1_sel:DWORD
	s_and_saveexec_b32 s3, s2
	s_cbranch_execz .LBB334_57
; %bb.50:                               ;   in Loop: Header=BB334_9 Depth=1
	v_cmp_ne_u16_sdwa s2, v66, v52 src0_sel:BYTE_1 src1_sel:DWORD
	v_bfrev_b32_e32 v63, 1
	s_and_saveexec_b32 s30, s2
	s_cbranch_execz .LBB334_56
; %bb.51:                               ;   in Loop: Header=BB334_9 Depth=1
	v_and_b32_sdwa v1, v53, v66 dst_sel:DWORD dst_unused:UNUSED_PAD src0_sel:DWORD src1_sel:BYTE_1
	v_mov_b32_e32 v63, 0x7f800001
	s_mov_b32 s31, exec_lo
	v_and_b32_e32 v64, 0x7f, v1
	v_cmpx_ne_u32_e32 0x7f, v64
	s_cbranch_execz .LBB334_55
; %bb.52:                               ;   in Loop: Header=BB334_9 Depth=1
	v_and_b32_e32 v1, 7, v1
	v_lshrrev_b32_e32 v63, 3, v64
	s_mov_b32 s33, exec_lo
	v_cmpx_gt_u32_e32 8, v64
; %bb.53:                               ;   in Loop: Header=BB334_9 Depth=1
	v_ffbh_u32_e32 v63, v1
	v_min_u32_e32 v63, 32, v63
	v_subrev_nc_u32_e32 v64, 28, v63
	v_sub_nc_u32_e32 v63, 29, v63
	v_lshlrev_b64 v[64:65], v64, v[1:2]
	v_and_b32_e32 v1, 7, v64
; %bb.54:                               ;   in Loop: Header=BB334_9 Depth=1
	s_or_b32 exec_lo, exec_lo, s33
	v_lshlrev_b32_e32 v64, 16, v66
	v_lshlrev_b32_e32 v1, 20, v1
	v_lshl_add_u32 v63, v63, 23, 0x3c000000
	v_and_b32_e32 v64, 0x80000000, v64
	v_or3_b32 v63, v1, v64, v63
.LBB334_55:                             ;   in Loop: Header=BB334_9 Depth=1
	s_or_b32 exec_lo, exec_lo, s31
.LBB334_56:                             ;   in Loop: Header=BB334_9 Depth=1
	s_or_b32 exec_lo, exec_lo, s30
.LBB334_57:                             ;   in Loop: Header=BB334_9 Depth=1
	s_or_b32 exec_lo, exec_lo, s3
	v_and_b32_sdwa v1, v66, v54 dst_sel:DWORD dst_unused:UNUSED_PAD src0_sel:WORD_1 src1_sel:DWORD
	v_mov_b32_e32 v64, 0
	v_mov_b32_e32 v65, 0
	s_mov_b32 s3, exec_lo
	v_cmpx_ne_u16_e32 0, v1
	s_cbranch_execz .LBB334_65
; %bb.58:                               ;   in Loop: Header=BB334_9 Depth=1
	v_bfrev_b32_e32 v65, 1
	s_mov_b32 s30, exec_lo
	v_cmpx_ne_u16_e32 0x80, v1
	s_cbranch_execz .LBB334_64
; %bb.59:                               ;   in Loop: Header=BB334_9 Depth=1
	v_bfe_u32 v67, v66, 16, 7
	v_mov_b32_e32 v65, 0x7f800001
	s_mov_b32 s31, exec_lo
	v_cmpx_ne_u32_e32 0x7f, v67
	s_cbranch_execz .LBB334_63
; %bb.60:                               ;   in Loop: Header=BB334_9 Depth=1
	v_and_b32_sdwa v1, v66, v55 dst_sel:DWORD dst_unused:UNUSED_PAD src0_sel:WORD_1 src1_sel:DWORD
	v_lshrrev_b32_e32 v65, 3, v67
	s_mov_b32 s33, exec_lo
	v_cmpx_gt_u32_e32 8, v67
; %bb.61:                               ;   in Loop: Header=BB334_9 Depth=1
	v_ffbh_u32_e32 v65, v1
	v_min_u32_e32 v65, 32, v65
	v_subrev_nc_u32_e32 v67, 28, v65
	v_sub_nc_u32_e32 v65, 29, v65
	v_lshlrev_b64 v[67:68], v67, v[1:2]
	v_and_b32_e32 v1, 7, v67
; %bb.62:                               ;   in Loop: Header=BB334_9 Depth=1
	s_or_b32 exec_lo, exec_lo, s33
	v_lshlrev_b32_sdwa v67, v56, v66 dst_sel:DWORD dst_unused:UNUSED_PAD src0_sel:DWORD src1_sel:WORD_1
	v_lshlrev_b32_e32 v1, 20, v1
	v_lshl_add_u32 v65, v65, 23, 0x3c000000
	v_and_b32_e32 v67, 0x80000000, v67
	v_or3_b32 v65, v1, v67, v65
.LBB334_63:                             ;   in Loop: Header=BB334_9 Depth=1
	s_or_b32 exec_lo, exec_lo, s31
.LBB334_64:                             ;   in Loop: Header=BB334_9 Depth=1
	s_or_b32 exec_lo, exec_lo, s30
.LBB334_65:                             ;   in Loop: Header=BB334_9 Depth=1
	s_or_b32 exec_lo, exec_lo, s3
	s_mov_b32 s3, exec_lo
	v_cmpx_lt_u32_e32 0xffffff, v66
	s_cbranch_execz .LBB334_73
; %bb.66:                               ;   in Loop: Header=BB334_9 Depth=1
	v_cmp_ne_u32_sdwa s2, v66, v52 src0_sel:BYTE_3 src1_sel:DWORD
	v_bfrev_b32_e32 v64, 1
	s_and_saveexec_b32 s30, s2
	s_cbranch_execz .LBB334_72
; %bb.67:                               ;   in Loop: Header=BB334_9 Depth=1
	v_bfe_u32 v67, v66, 24, 7
	v_mov_b32_e32 v64, 0x7f800001
	s_mov_b32 s31, exec_lo
	v_cmpx_ne_u32_e32 0x7f, v67
	s_cbranch_execz .LBB334_71
; %bb.68:                               ;   in Loop: Header=BB334_9 Depth=1
	v_and_b32_sdwa v1, v66, v55 dst_sel:DWORD dst_unused:UNUSED_PAD src0_sel:BYTE_3 src1_sel:DWORD
	v_lshrrev_b32_e32 v64, 3, v67
	s_mov_b32 s33, exec_lo
	v_cmpx_gt_u32_e32 8, v67
; %bb.69:                               ;   in Loop: Header=BB334_9 Depth=1
	v_ffbh_u32_e32 v64, v1
	v_min_u32_e32 v64, 32, v64
	v_subrev_nc_u32_e32 v67, 28, v64
	v_sub_nc_u32_e32 v64, 29, v64
	v_lshlrev_b64 v[67:68], v67, v[1:2]
	v_and_b32_e32 v1, 7, v67
; %bb.70:                               ;   in Loop: Header=BB334_9 Depth=1
	s_or_b32 exec_lo, exec_lo, s33
	v_lshlrev_b32_sdwa v66, v56, v66 dst_sel:DWORD dst_unused:UNUSED_PAD src0_sel:DWORD src1_sel:BYTE_3
	v_lshlrev_b32_e32 v1, 20, v1
	v_lshl_add_u32 v64, v64, 23, 0x3c000000
	v_and_b32_e32 v66, 0x80000000, v66
	v_or3_b32 v64, v1, v66, v64
.LBB334_71:                             ;   in Loop: Header=BB334_9 Depth=1
	s_or_b32 exec_lo, exec_lo, s31
.LBB334_72:                             ;   in Loop: Header=BB334_9 Depth=1
	s_or_b32 exec_lo, exec_lo, s30
.LBB334_73:                             ;   in Loop: Header=BB334_9 Depth=1
	s_or_b32 exec_lo, exec_lo, s3
	global_load_dword v70, v[7:8], off offset:256
	v_mov_b32_e32 v67, 0
	v_mov_b32_e32 v66, 0
	s_waitcnt vmcnt(0)
	v_cmp_ne_u16_sdwa s2, v70, v2 src0_sel:BYTE_0 src1_sel:DWORD
	s_and_saveexec_b32 s3, s2
	s_cbranch_execz .LBB334_81
; %bb.74:                               ;   in Loop: Header=BB334_9 Depth=1
	v_cmp_ne_u16_sdwa s2, v70, v52 src0_sel:BYTE_0 src1_sel:DWORD
	v_bfrev_b32_e32 v66, 1
	s_and_saveexec_b32 s30, s2
	s_cbranch_execz .LBB334_80
; %bb.75:                               ;   in Loop: Header=BB334_9 Depth=1
	v_and_b32_e32 v68, 0x7f, v70
	v_mov_b32_e32 v66, 0x7f800001
	s_mov_b32 s31, exec_lo
	v_cmpx_ne_u32_e32 0x7f, v68
	s_cbranch_execz .LBB334_79
; %bb.76:                               ;   in Loop: Header=BB334_9 Depth=1
	v_and_b32_e32 v1, 7, v70
	v_lshrrev_b32_e32 v66, 3, v68
	s_mov_b32 s33, exec_lo
	v_cmpx_gt_u32_e32 8, v68
; %bb.77:                               ;   in Loop: Header=BB334_9 Depth=1
	v_ffbh_u32_e32 v66, v1
	v_min_u32_e32 v66, 32, v66
	v_subrev_nc_u32_e32 v68, 28, v66
	v_sub_nc_u32_e32 v66, 29, v66
	v_lshlrev_b64 v[68:69], v68, v[1:2]
	v_and_b32_e32 v1, 7, v68
; %bb.78:                               ;   in Loop: Header=BB334_9 Depth=1
	s_or_b32 exec_lo, exec_lo, s33
	v_lshlrev_b32_e32 v68, 24, v70
	v_lshlrev_b32_e32 v1, 20, v1
	v_lshl_add_u32 v66, v66, 23, 0x3c000000
	v_and_b32_e32 v68, 0x80000000, v68
	v_or3_b32 v66, v1, v68, v66
.LBB334_79:                             ;   in Loop: Header=BB334_9 Depth=1
	s_or_b32 exec_lo, exec_lo, s31
.LBB334_80:                             ;   in Loop: Header=BB334_9 Depth=1
	s_or_b32 exec_lo, exec_lo, s30
.LBB334_81:                             ;   in Loop: Header=BB334_9 Depth=1
	s_or_b32 exec_lo, exec_lo, s3
	v_cmp_ne_u16_sdwa s2, v70, v2 src0_sel:BYTE_1 src1_sel:DWORD
	s_and_saveexec_b32 s3, s2
	s_cbranch_execz .LBB334_89
; %bb.82:                               ;   in Loop: Header=BB334_9 Depth=1
	v_cmp_ne_u16_sdwa s2, v70, v52 src0_sel:BYTE_1 src1_sel:DWORD
	v_bfrev_b32_e32 v67, 1
	s_and_saveexec_b32 s30, s2
	s_cbranch_execz .LBB334_88
; %bb.83:                               ;   in Loop: Header=BB334_9 Depth=1
	v_and_b32_sdwa v1, v53, v70 dst_sel:DWORD dst_unused:UNUSED_PAD src0_sel:DWORD src1_sel:BYTE_1
	v_mov_b32_e32 v67, 0x7f800001
	s_mov_b32 s31, exec_lo
	v_and_b32_e32 v68, 0x7f, v1
	v_cmpx_ne_u32_e32 0x7f, v68
	s_cbranch_execz .LBB334_87
; %bb.84:                               ;   in Loop: Header=BB334_9 Depth=1
	v_and_b32_e32 v1, 7, v1
	v_lshrrev_b32_e32 v67, 3, v68
	s_mov_b32 s33, exec_lo
	v_cmpx_gt_u32_e32 8, v68
; %bb.85:                               ;   in Loop: Header=BB334_9 Depth=1
	v_ffbh_u32_e32 v67, v1
	v_min_u32_e32 v67, 32, v67
	v_subrev_nc_u32_e32 v68, 28, v67
	v_sub_nc_u32_e32 v67, 29, v67
	v_lshlrev_b64 v[68:69], v68, v[1:2]
	v_and_b32_e32 v1, 7, v68
; %bb.86:                               ;   in Loop: Header=BB334_9 Depth=1
	s_or_b32 exec_lo, exec_lo, s33
	v_lshlrev_b32_e32 v68, 16, v70
	v_lshlrev_b32_e32 v1, 20, v1
	v_lshl_add_u32 v67, v67, 23, 0x3c000000
	v_and_b32_e32 v68, 0x80000000, v68
	v_or3_b32 v67, v1, v68, v67
.LBB334_87:                             ;   in Loop: Header=BB334_9 Depth=1
	s_or_b32 exec_lo, exec_lo, s31
.LBB334_88:                             ;   in Loop: Header=BB334_9 Depth=1
	s_or_b32 exec_lo, exec_lo, s30
.LBB334_89:                             ;   in Loop: Header=BB334_9 Depth=1
	s_or_b32 exec_lo, exec_lo, s3
	v_and_b32_sdwa v1, v70, v54 dst_sel:DWORD dst_unused:UNUSED_PAD src0_sel:WORD_1 src1_sel:DWORD
	v_mov_b32_e32 v68, 0
	v_mov_b32_e32 v69, 0
	s_mov_b32 s3, exec_lo
	v_cmpx_ne_u16_e32 0, v1
	s_cbranch_execz .LBB334_97
; %bb.90:                               ;   in Loop: Header=BB334_9 Depth=1
	v_bfrev_b32_e32 v69, 1
	s_mov_b32 s30, exec_lo
	v_cmpx_ne_u16_e32 0x80, v1
	s_cbranch_execz .LBB334_96
; %bb.91:                               ;   in Loop: Header=BB334_9 Depth=1
	v_bfe_u32 v71, v70, 16, 7
	v_mov_b32_e32 v69, 0x7f800001
	s_mov_b32 s31, exec_lo
	v_cmpx_ne_u32_e32 0x7f, v71
	s_cbranch_execz .LBB334_95
; %bb.92:                               ;   in Loop: Header=BB334_9 Depth=1
	v_and_b32_sdwa v1, v70, v55 dst_sel:DWORD dst_unused:UNUSED_PAD src0_sel:WORD_1 src1_sel:DWORD
	v_lshrrev_b32_e32 v69, 3, v71
	s_mov_b32 s33, exec_lo
	v_cmpx_gt_u32_e32 8, v71
; %bb.93:                               ;   in Loop: Header=BB334_9 Depth=1
	v_ffbh_u32_e32 v69, v1
	v_min_u32_e32 v69, 32, v69
	v_subrev_nc_u32_e32 v71, 28, v69
	v_sub_nc_u32_e32 v69, 29, v69
	v_lshlrev_b64 v[71:72], v71, v[1:2]
	v_and_b32_e32 v1, 7, v71
; %bb.94:                               ;   in Loop: Header=BB334_9 Depth=1
	s_or_b32 exec_lo, exec_lo, s33
	v_lshlrev_b32_sdwa v71, v56, v70 dst_sel:DWORD dst_unused:UNUSED_PAD src0_sel:DWORD src1_sel:WORD_1
	v_lshlrev_b32_e32 v1, 20, v1
	v_lshl_add_u32 v69, v69, 23, 0x3c000000
	v_and_b32_e32 v71, 0x80000000, v71
	v_or3_b32 v69, v1, v71, v69
.LBB334_95:                             ;   in Loop: Header=BB334_9 Depth=1
	s_or_b32 exec_lo, exec_lo, s31
.LBB334_96:                             ;   in Loop: Header=BB334_9 Depth=1
	s_or_b32 exec_lo, exec_lo, s30
.LBB334_97:                             ;   in Loop: Header=BB334_9 Depth=1
	s_or_b32 exec_lo, exec_lo, s3
	s_mov_b32 s3, exec_lo
	v_cmpx_lt_u32_e32 0xffffff, v70
	s_cbranch_execz .LBB334_105
; %bb.98:                               ;   in Loop: Header=BB334_9 Depth=1
	v_cmp_ne_u32_sdwa s2, v70, v52 src0_sel:BYTE_3 src1_sel:DWORD
	v_bfrev_b32_e32 v68, 1
	s_and_saveexec_b32 s30, s2
	s_cbranch_execz .LBB334_104
; %bb.99:                               ;   in Loop: Header=BB334_9 Depth=1
	v_bfe_u32 v71, v70, 24, 7
	v_mov_b32_e32 v68, 0x7f800001
	s_mov_b32 s31, exec_lo
	v_cmpx_ne_u32_e32 0x7f, v71
	s_cbranch_execz .LBB334_103
; %bb.100:                              ;   in Loop: Header=BB334_9 Depth=1
	v_and_b32_sdwa v1, v70, v55 dst_sel:DWORD dst_unused:UNUSED_PAD src0_sel:BYTE_3 src1_sel:DWORD
	v_lshrrev_b32_e32 v68, 3, v71
	s_mov_b32 s33, exec_lo
	v_cmpx_gt_u32_e32 8, v71
; %bb.101:                              ;   in Loop: Header=BB334_9 Depth=1
	v_ffbh_u32_e32 v68, v1
	v_min_u32_e32 v68, 32, v68
	v_subrev_nc_u32_e32 v71, 28, v68
	v_sub_nc_u32_e32 v68, 29, v68
	v_lshlrev_b64 v[71:72], v71, v[1:2]
	v_and_b32_e32 v1, 7, v71
; %bb.102:                              ;   in Loop: Header=BB334_9 Depth=1
	s_or_b32 exec_lo, exec_lo, s33
	v_lshlrev_b32_sdwa v70, v56, v70 dst_sel:DWORD dst_unused:UNUSED_PAD src0_sel:DWORD src1_sel:BYTE_3
	v_lshlrev_b32_e32 v1, 20, v1
	v_lshl_add_u32 v68, v68, 23, 0x3c000000
	v_and_b32_e32 v70, 0x80000000, v70
	v_or3_b32 v68, v1, v70, v68
.LBB334_103:                            ;   in Loop: Header=BB334_9 Depth=1
	s_or_b32 exec_lo, exec_lo, s31
.LBB334_104:                            ;   in Loop: Header=BB334_9 Depth=1
	s_or_b32 exec_lo, exec_lo, s30
.LBB334_105:                            ;   in Loop: Header=BB334_9 Depth=1
	s_or_b32 exec_lo, exec_lo, s3
	global_load_dword v74, v[7:8], off offset:264
	v_mov_b32_e32 v71, 0
	v_mov_b32_e32 v70, 0
	s_waitcnt vmcnt(0)
	v_cmp_ne_u16_sdwa s2, v74, v2 src0_sel:BYTE_0 src1_sel:DWORD
	s_and_saveexec_b32 s3, s2
	s_cbranch_execz .LBB334_113
; %bb.106:                              ;   in Loop: Header=BB334_9 Depth=1
	v_cmp_ne_u16_sdwa s2, v74, v52 src0_sel:BYTE_0 src1_sel:DWORD
	v_bfrev_b32_e32 v70, 1
	s_and_saveexec_b32 s30, s2
	s_cbranch_execz .LBB334_112
; %bb.107:                              ;   in Loop: Header=BB334_9 Depth=1
	v_and_b32_e32 v72, 0x7f, v74
	v_mov_b32_e32 v70, 0x7f800001
	s_mov_b32 s31, exec_lo
	v_cmpx_ne_u32_e32 0x7f, v72
	s_cbranch_execz .LBB334_111
; %bb.108:                              ;   in Loop: Header=BB334_9 Depth=1
	v_and_b32_e32 v1, 7, v74
	v_lshrrev_b32_e32 v70, 3, v72
	s_mov_b32 s33, exec_lo
	v_cmpx_gt_u32_e32 8, v72
; %bb.109:                              ;   in Loop: Header=BB334_9 Depth=1
	v_ffbh_u32_e32 v70, v1
	v_min_u32_e32 v70, 32, v70
	v_subrev_nc_u32_e32 v72, 28, v70
	v_sub_nc_u32_e32 v70, 29, v70
	v_lshlrev_b64 v[72:73], v72, v[1:2]
	v_and_b32_e32 v1, 7, v72
; %bb.110:                              ;   in Loop: Header=BB334_9 Depth=1
	s_or_b32 exec_lo, exec_lo, s33
	v_lshlrev_b32_e32 v72, 24, v74
	v_lshlrev_b32_e32 v1, 20, v1
	v_lshl_add_u32 v70, v70, 23, 0x3c000000
	v_and_b32_e32 v72, 0x80000000, v72
	v_or3_b32 v70, v1, v72, v70
.LBB334_111:                            ;   in Loop: Header=BB334_9 Depth=1
	s_or_b32 exec_lo, exec_lo, s31
.LBB334_112:                            ;   in Loop: Header=BB334_9 Depth=1
	s_or_b32 exec_lo, exec_lo, s30
.LBB334_113:                            ;   in Loop: Header=BB334_9 Depth=1
	s_or_b32 exec_lo, exec_lo, s3
	v_cmp_ne_u16_sdwa s2, v74, v2 src0_sel:BYTE_1 src1_sel:DWORD
	s_and_saveexec_b32 s3, s2
	s_cbranch_execz .LBB334_121
; %bb.114:                              ;   in Loop: Header=BB334_9 Depth=1
	v_cmp_ne_u16_sdwa s2, v74, v52 src0_sel:BYTE_1 src1_sel:DWORD
	v_bfrev_b32_e32 v71, 1
	s_and_saveexec_b32 s30, s2
	s_cbranch_execz .LBB334_120
; %bb.115:                              ;   in Loop: Header=BB334_9 Depth=1
	v_and_b32_sdwa v1, v53, v74 dst_sel:DWORD dst_unused:UNUSED_PAD src0_sel:DWORD src1_sel:BYTE_1
	v_mov_b32_e32 v71, 0x7f800001
	s_mov_b32 s31, exec_lo
	v_and_b32_e32 v72, 0x7f, v1
	v_cmpx_ne_u32_e32 0x7f, v72
	s_cbranch_execz .LBB334_119
; %bb.116:                              ;   in Loop: Header=BB334_9 Depth=1
	v_and_b32_e32 v1, 7, v1
	v_lshrrev_b32_e32 v71, 3, v72
	s_mov_b32 s33, exec_lo
	v_cmpx_gt_u32_e32 8, v72
; %bb.117:                              ;   in Loop: Header=BB334_9 Depth=1
	v_ffbh_u32_e32 v71, v1
	v_min_u32_e32 v71, 32, v71
	v_subrev_nc_u32_e32 v72, 28, v71
	v_sub_nc_u32_e32 v71, 29, v71
	v_lshlrev_b64 v[72:73], v72, v[1:2]
	v_and_b32_e32 v1, 7, v72
; %bb.118:                              ;   in Loop: Header=BB334_9 Depth=1
	s_or_b32 exec_lo, exec_lo, s33
	v_lshlrev_b32_e32 v72, 16, v74
	v_lshlrev_b32_e32 v1, 20, v1
	v_lshl_add_u32 v71, v71, 23, 0x3c000000
	v_and_b32_e32 v72, 0x80000000, v72
	v_or3_b32 v71, v1, v72, v71
.LBB334_119:                            ;   in Loop: Header=BB334_9 Depth=1
	s_or_b32 exec_lo, exec_lo, s31
.LBB334_120:                            ;   in Loop: Header=BB334_9 Depth=1
	s_or_b32 exec_lo, exec_lo, s30
.LBB334_121:                            ;   in Loop: Header=BB334_9 Depth=1
	s_or_b32 exec_lo, exec_lo, s3
	v_and_b32_sdwa v1, v74, v54 dst_sel:DWORD dst_unused:UNUSED_PAD src0_sel:WORD_1 src1_sel:DWORD
	v_mov_b32_e32 v72, 0
	v_mov_b32_e32 v73, 0
	s_mov_b32 s3, exec_lo
	v_cmpx_ne_u16_e32 0, v1
	s_cbranch_execz .LBB334_129
; %bb.122:                              ;   in Loop: Header=BB334_9 Depth=1
	v_bfrev_b32_e32 v73, 1
	s_mov_b32 s30, exec_lo
	v_cmpx_ne_u16_e32 0x80, v1
	s_cbranch_execz .LBB334_128
; %bb.123:                              ;   in Loop: Header=BB334_9 Depth=1
	v_bfe_u32 v75, v74, 16, 7
	v_mov_b32_e32 v73, 0x7f800001
	s_mov_b32 s31, exec_lo
	v_cmpx_ne_u32_e32 0x7f, v75
	s_cbranch_execz .LBB334_127
; %bb.124:                              ;   in Loop: Header=BB334_9 Depth=1
	v_and_b32_sdwa v1, v74, v55 dst_sel:DWORD dst_unused:UNUSED_PAD src0_sel:WORD_1 src1_sel:DWORD
	v_lshrrev_b32_e32 v73, 3, v75
	s_mov_b32 s33, exec_lo
	v_cmpx_gt_u32_e32 8, v75
; %bb.125:                              ;   in Loop: Header=BB334_9 Depth=1
	v_ffbh_u32_e32 v73, v1
	v_min_u32_e32 v73, 32, v73
	v_subrev_nc_u32_e32 v75, 28, v73
	v_sub_nc_u32_e32 v73, 29, v73
	v_lshlrev_b64 v[75:76], v75, v[1:2]
	v_and_b32_e32 v1, 7, v75
; %bb.126:                              ;   in Loop: Header=BB334_9 Depth=1
	s_or_b32 exec_lo, exec_lo, s33
	v_lshlrev_b32_sdwa v75, v56, v74 dst_sel:DWORD dst_unused:UNUSED_PAD src0_sel:DWORD src1_sel:WORD_1
	v_lshlrev_b32_e32 v1, 20, v1
	v_lshl_add_u32 v73, v73, 23, 0x3c000000
	v_and_b32_e32 v75, 0x80000000, v75
	v_or3_b32 v73, v1, v75, v73
.LBB334_127:                            ;   in Loop: Header=BB334_9 Depth=1
	s_or_b32 exec_lo, exec_lo, s31
.LBB334_128:                            ;   in Loop: Header=BB334_9 Depth=1
	s_or_b32 exec_lo, exec_lo, s30
.LBB334_129:                            ;   in Loop: Header=BB334_9 Depth=1
	s_or_b32 exec_lo, exec_lo, s3
	s_mov_b32 s3, exec_lo
	v_cmpx_lt_u32_e32 0xffffff, v74
	s_cbranch_execz .LBB334_137
; %bb.130:                              ;   in Loop: Header=BB334_9 Depth=1
	v_cmp_ne_u32_sdwa s2, v74, v52 src0_sel:BYTE_3 src1_sel:DWORD
	v_bfrev_b32_e32 v72, 1
	s_and_saveexec_b32 s30, s2
	s_cbranch_execz .LBB334_136
; %bb.131:                              ;   in Loop: Header=BB334_9 Depth=1
	v_bfe_u32 v75, v74, 24, 7
	v_mov_b32_e32 v72, 0x7f800001
	s_mov_b32 s31, exec_lo
	v_cmpx_ne_u32_e32 0x7f, v75
	s_cbranch_execz .LBB334_135
; %bb.132:                              ;   in Loop: Header=BB334_9 Depth=1
	v_and_b32_sdwa v1, v74, v55 dst_sel:DWORD dst_unused:UNUSED_PAD src0_sel:BYTE_3 src1_sel:DWORD
	v_lshrrev_b32_e32 v72, 3, v75
	s_mov_b32 s33, exec_lo
	v_cmpx_gt_u32_e32 8, v75
; %bb.133:                              ;   in Loop: Header=BB334_9 Depth=1
	v_ffbh_u32_e32 v72, v1
	v_min_u32_e32 v72, 32, v72
	v_subrev_nc_u32_e32 v75, 28, v72
	v_sub_nc_u32_e32 v72, 29, v72
	v_lshlrev_b64 v[75:76], v75, v[1:2]
	v_and_b32_e32 v1, 7, v75
; %bb.134:                              ;   in Loop: Header=BB334_9 Depth=1
	s_or_b32 exec_lo, exec_lo, s33
	v_lshlrev_b32_sdwa v74, v56, v74 dst_sel:DWORD dst_unused:UNUSED_PAD src0_sel:DWORD src1_sel:BYTE_3
	v_lshlrev_b32_e32 v1, 20, v1
	v_lshl_add_u32 v72, v72, 23, 0x3c000000
	v_and_b32_e32 v74, 0x80000000, v74
	v_or3_b32 v72, v1, v74, v72
.LBB334_135:                            ;   in Loop: Header=BB334_9 Depth=1
	s_or_b32 exec_lo, exec_lo, s31
.LBB334_136:                            ;   in Loop: Header=BB334_9 Depth=1
	s_or_b32 exec_lo, exec_lo, s30
.LBB334_137:                            ;   in Loop: Header=BB334_9 Depth=1
	s_or_b32 exec_lo, exec_lo, s3
	global_load_dword v78, v[7:8], off offset:512
	v_mov_b32_e32 v75, 0
	v_mov_b32_e32 v74, 0
	s_waitcnt vmcnt(0)
	v_cmp_ne_u16_sdwa s2, v78, v2 src0_sel:BYTE_0 src1_sel:DWORD
	s_and_saveexec_b32 s3, s2
	s_cbranch_execz .LBB334_145
; %bb.138:                              ;   in Loop: Header=BB334_9 Depth=1
	v_cmp_ne_u16_sdwa s2, v78, v52 src0_sel:BYTE_0 src1_sel:DWORD
	v_bfrev_b32_e32 v74, 1
	s_and_saveexec_b32 s30, s2
	s_cbranch_execz .LBB334_144
; %bb.139:                              ;   in Loop: Header=BB334_9 Depth=1
	v_and_b32_e32 v76, 0x7f, v78
	v_mov_b32_e32 v74, 0x7f800001
	s_mov_b32 s31, exec_lo
	v_cmpx_ne_u32_e32 0x7f, v76
	s_cbranch_execz .LBB334_143
; %bb.140:                              ;   in Loop: Header=BB334_9 Depth=1
	v_and_b32_e32 v1, 7, v78
	v_lshrrev_b32_e32 v74, 3, v76
	s_mov_b32 s33, exec_lo
	v_cmpx_gt_u32_e32 8, v76
; %bb.141:                              ;   in Loop: Header=BB334_9 Depth=1
	v_ffbh_u32_e32 v74, v1
	v_min_u32_e32 v74, 32, v74
	v_subrev_nc_u32_e32 v76, 28, v74
	v_sub_nc_u32_e32 v74, 29, v74
	v_lshlrev_b64 v[76:77], v76, v[1:2]
	v_and_b32_e32 v1, 7, v76
; %bb.142:                              ;   in Loop: Header=BB334_9 Depth=1
	s_or_b32 exec_lo, exec_lo, s33
	v_lshlrev_b32_e32 v76, 24, v78
	v_lshlrev_b32_e32 v1, 20, v1
	v_lshl_add_u32 v74, v74, 23, 0x3c000000
	v_and_b32_e32 v76, 0x80000000, v76
	v_or3_b32 v74, v1, v76, v74
.LBB334_143:                            ;   in Loop: Header=BB334_9 Depth=1
	s_or_b32 exec_lo, exec_lo, s31
.LBB334_144:                            ;   in Loop: Header=BB334_9 Depth=1
	s_or_b32 exec_lo, exec_lo, s30
.LBB334_145:                            ;   in Loop: Header=BB334_9 Depth=1
	s_or_b32 exec_lo, exec_lo, s3
	v_cmp_ne_u16_sdwa s2, v78, v2 src0_sel:BYTE_1 src1_sel:DWORD
	s_and_saveexec_b32 s3, s2
	s_cbranch_execz .LBB334_153
; %bb.146:                              ;   in Loop: Header=BB334_9 Depth=1
	v_cmp_ne_u16_sdwa s2, v78, v52 src0_sel:BYTE_1 src1_sel:DWORD
	v_bfrev_b32_e32 v75, 1
	s_and_saveexec_b32 s30, s2
	s_cbranch_execz .LBB334_152
; %bb.147:                              ;   in Loop: Header=BB334_9 Depth=1
	v_and_b32_sdwa v1, v53, v78 dst_sel:DWORD dst_unused:UNUSED_PAD src0_sel:DWORD src1_sel:BYTE_1
	v_mov_b32_e32 v75, 0x7f800001
	s_mov_b32 s31, exec_lo
	v_and_b32_e32 v76, 0x7f, v1
	v_cmpx_ne_u32_e32 0x7f, v76
	s_cbranch_execz .LBB334_151
; %bb.148:                              ;   in Loop: Header=BB334_9 Depth=1
	v_and_b32_e32 v1, 7, v1
	v_lshrrev_b32_e32 v75, 3, v76
	s_mov_b32 s33, exec_lo
	v_cmpx_gt_u32_e32 8, v76
; %bb.149:                              ;   in Loop: Header=BB334_9 Depth=1
	v_ffbh_u32_e32 v75, v1
	v_min_u32_e32 v75, 32, v75
	v_subrev_nc_u32_e32 v76, 28, v75
	v_sub_nc_u32_e32 v75, 29, v75
	v_lshlrev_b64 v[76:77], v76, v[1:2]
	v_and_b32_e32 v1, 7, v76
; %bb.150:                              ;   in Loop: Header=BB334_9 Depth=1
	s_or_b32 exec_lo, exec_lo, s33
	v_lshlrev_b32_e32 v76, 16, v78
	v_lshlrev_b32_e32 v1, 20, v1
	v_lshl_add_u32 v75, v75, 23, 0x3c000000
	v_and_b32_e32 v76, 0x80000000, v76
	v_or3_b32 v75, v1, v76, v75
.LBB334_151:                            ;   in Loop: Header=BB334_9 Depth=1
	s_or_b32 exec_lo, exec_lo, s31
.LBB334_152:                            ;   in Loop: Header=BB334_9 Depth=1
	s_or_b32 exec_lo, exec_lo, s30
.LBB334_153:                            ;   in Loop: Header=BB334_9 Depth=1
	s_or_b32 exec_lo, exec_lo, s3
	v_and_b32_sdwa v1, v78, v54 dst_sel:DWORD dst_unused:UNUSED_PAD src0_sel:WORD_1 src1_sel:DWORD
	v_mov_b32_e32 v76, 0
	v_mov_b32_e32 v77, 0
	s_mov_b32 s3, exec_lo
	v_cmpx_ne_u16_e32 0, v1
	s_cbranch_execz .LBB334_161
; %bb.154:                              ;   in Loop: Header=BB334_9 Depth=1
	v_bfrev_b32_e32 v77, 1
	s_mov_b32 s30, exec_lo
	v_cmpx_ne_u16_e32 0x80, v1
	s_cbranch_execz .LBB334_160
; %bb.155:                              ;   in Loop: Header=BB334_9 Depth=1
	v_bfe_u32 v79, v78, 16, 7
	v_mov_b32_e32 v77, 0x7f800001
	s_mov_b32 s31, exec_lo
	v_cmpx_ne_u32_e32 0x7f, v79
	s_cbranch_execz .LBB334_159
; %bb.156:                              ;   in Loop: Header=BB334_9 Depth=1
	v_and_b32_sdwa v1, v78, v55 dst_sel:DWORD dst_unused:UNUSED_PAD src0_sel:WORD_1 src1_sel:DWORD
	v_lshrrev_b32_e32 v77, 3, v79
	s_mov_b32 s33, exec_lo
	v_cmpx_gt_u32_e32 8, v79
; %bb.157:                              ;   in Loop: Header=BB334_9 Depth=1
	v_ffbh_u32_e32 v77, v1
	v_min_u32_e32 v77, 32, v77
	v_subrev_nc_u32_e32 v79, 28, v77
	v_sub_nc_u32_e32 v77, 29, v77
	v_lshlrev_b64 v[79:80], v79, v[1:2]
	v_and_b32_e32 v1, 7, v79
; %bb.158:                              ;   in Loop: Header=BB334_9 Depth=1
	s_or_b32 exec_lo, exec_lo, s33
	v_lshlrev_b32_sdwa v79, v56, v78 dst_sel:DWORD dst_unused:UNUSED_PAD src0_sel:DWORD src1_sel:WORD_1
	v_lshlrev_b32_e32 v1, 20, v1
	v_lshl_add_u32 v77, v77, 23, 0x3c000000
	v_and_b32_e32 v79, 0x80000000, v79
	v_or3_b32 v77, v1, v79, v77
.LBB334_159:                            ;   in Loop: Header=BB334_9 Depth=1
	s_or_b32 exec_lo, exec_lo, s31
.LBB334_160:                            ;   in Loop: Header=BB334_9 Depth=1
	s_or_b32 exec_lo, exec_lo, s30
.LBB334_161:                            ;   in Loop: Header=BB334_9 Depth=1
	s_or_b32 exec_lo, exec_lo, s3
	s_mov_b32 s3, exec_lo
	v_cmpx_lt_u32_e32 0xffffff, v78
	s_cbranch_execz .LBB334_169
; %bb.162:                              ;   in Loop: Header=BB334_9 Depth=1
	v_cmp_ne_u32_sdwa s2, v78, v52 src0_sel:BYTE_3 src1_sel:DWORD
	v_bfrev_b32_e32 v76, 1
	s_and_saveexec_b32 s30, s2
	s_cbranch_execz .LBB334_168
; %bb.163:                              ;   in Loop: Header=BB334_9 Depth=1
	v_bfe_u32 v79, v78, 24, 7
	v_mov_b32_e32 v76, 0x7f800001
	s_mov_b32 s31, exec_lo
	v_cmpx_ne_u32_e32 0x7f, v79
	s_cbranch_execz .LBB334_167
; %bb.164:                              ;   in Loop: Header=BB334_9 Depth=1
	v_and_b32_sdwa v1, v78, v55 dst_sel:DWORD dst_unused:UNUSED_PAD src0_sel:BYTE_3 src1_sel:DWORD
	v_lshrrev_b32_e32 v76, 3, v79
	s_mov_b32 s33, exec_lo
	v_cmpx_gt_u32_e32 8, v79
; %bb.165:                              ;   in Loop: Header=BB334_9 Depth=1
	v_ffbh_u32_e32 v76, v1
	v_min_u32_e32 v76, 32, v76
	v_subrev_nc_u32_e32 v79, 28, v76
	v_sub_nc_u32_e32 v76, 29, v76
	v_lshlrev_b64 v[79:80], v79, v[1:2]
	v_and_b32_e32 v1, 7, v79
; %bb.166:                              ;   in Loop: Header=BB334_9 Depth=1
	s_or_b32 exec_lo, exec_lo, s33
	v_lshlrev_b32_sdwa v78, v56, v78 dst_sel:DWORD dst_unused:UNUSED_PAD src0_sel:DWORD src1_sel:BYTE_3
	v_lshlrev_b32_e32 v1, 20, v1
	v_lshl_add_u32 v76, v76, 23, 0x3c000000
	v_and_b32_e32 v78, 0x80000000, v78
	v_or3_b32 v76, v1, v78, v76
.LBB334_167:                            ;   in Loop: Header=BB334_9 Depth=1
	s_or_b32 exec_lo, exec_lo, s31
.LBB334_168:                            ;   in Loop: Header=BB334_9 Depth=1
	s_or_b32 exec_lo, exec_lo, s30
.LBB334_169:                            ;   in Loop: Header=BB334_9 Depth=1
	s_or_b32 exec_lo, exec_lo, s3
	global_load_dword v82, v[7:8], off offset:520
	v_mov_b32_e32 v79, 0
	v_mov_b32_e32 v78, 0
	s_waitcnt vmcnt(0)
	v_cmp_ne_u16_sdwa s2, v82, v2 src0_sel:BYTE_0 src1_sel:DWORD
	s_and_saveexec_b32 s3, s2
	s_cbranch_execz .LBB334_177
; %bb.170:                              ;   in Loop: Header=BB334_9 Depth=1
	v_cmp_ne_u16_sdwa s2, v82, v52 src0_sel:BYTE_0 src1_sel:DWORD
	v_bfrev_b32_e32 v78, 1
	s_and_saveexec_b32 s30, s2
	s_cbranch_execz .LBB334_176
; %bb.171:                              ;   in Loop: Header=BB334_9 Depth=1
	v_and_b32_e32 v80, 0x7f, v82
	v_mov_b32_e32 v78, 0x7f800001
	s_mov_b32 s31, exec_lo
	v_cmpx_ne_u32_e32 0x7f, v80
	s_cbranch_execz .LBB334_175
; %bb.172:                              ;   in Loop: Header=BB334_9 Depth=1
	v_and_b32_e32 v1, 7, v82
	v_lshrrev_b32_e32 v78, 3, v80
	s_mov_b32 s33, exec_lo
	v_cmpx_gt_u32_e32 8, v80
; %bb.173:                              ;   in Loop: Header=BB334_9 Depth=1
	v_ffbh_u32_e32 v78, v1
	v_min_u32_e32 v78, 32, v78
	v_subrev_nc_u32_e32 v80, 28, v78
	v_sub_nc_u32_e32 v78, 29, v78
	v_lshlrev_b64 v[80:81], v80, v[1:2]
	v_and_b32_e32 v1, 7, v80
; %bb.174:                              ;   in Loop: Header=BB334_9 Depth=1
	s_or_b32 exec_lo, exec_lo, s33
	v_lshlrev_b32_e32 v80, 24, v82
	v_lshlrev_b32_e32 v1, 20, v1
	v_lshl_add_u32 v78, v78, 23, 0x3c000000
	v_and_b32_e32 v80, 0x80000000, v80
	v_or3_b32 v78, v1, v80, v78
.LBB334_175:                            ;   in Loop: Header=BB334_9 Depth=1
	s_or_b32 exec_lo, exec_lo, s31
.LBB334_176:                            ;   in Loop: Header=BB334_9 Depth=1
	s_or_b32 exec_lo, exec_lo, s30
.LBB334_177:                            ;   in Loop: Header=BB334_9 Depth=1
	s_or_b32 exec_lo, exec_lo, s3
	v_cmp_ne_u16_sdwa s2, v82, v2 src0_sel:BYTE_1 src1_sel:DWORD
	s_and_saveexec_b32 s3, s2
	s_cbranch_execz .LBB334_185
; %bb.178:                              ;   in Loop: Header=BB334_9 Depth=1
	v_cmp_ne_u16_sdwa s2, v82, v52 src0_sel:BYTE_1 src1_sel:DWORD
	v_bfrev_b32_e32 v79, 1
	s_and_saveexec_b32 s30, s2
	s_cbranch_execz .LBB334_184
; %bb.179:                              ;   in Loop: Header=BB334_9 Depth=1
	v_and_b32_sdwa v1, v53, v82 dst_sel:DWORD dst_unused:UNUSED_PAD src0_sel:DWORD src1_sel:BYTE_1
	v_mov_b32_e32 v79, 0x7f800001
	s_mov_b32 s31, exec_lo
	v_and_b32_e32 v80, 0x7f, v1
	v_cmpx_ne_u32_e32 0x7f, v80
	s_cbranch_execz .LBB334_183
; %bb.180:                              ;   in Loop: Header=BB334_9 Depth=1
	v_and_b32_e32 v1, 7, v1
	v_lshrrev_b32_e32 v79, 3, v80
	s_mov_b32 s33, exec_lo
	v_cmpx_gt_u32_e32 8, v80
; %bb.181:                              ;   in Loop: Header=BB334_9 Depth=1
	v_ffbh_u32_e32 v79, v1
	v_min_u32_e32 v79, 32, v79
	v_subrev_nc_u32_e32 v80, 28, v79
	v_sub_nc_u32_e32 v79, 29, v79
	v_lshlrev_b64 v[80:81], v80, v[1:2]
	v_and_b32_e32 v1, 7, v80
; %bb.182:                              ;   in Loop: Header=BB334_9 Depth=1
	s_or_b32 exec_lo, exec_lo, s33
	v_lshlrev_b32_e32 v80, 16, v82
	v_lshlrev_b32_e32 v1, 20, v1
	v_lshl_add_u32 v79, v79, 23, 0x3c000000
	v_and_b32_e32 v80, 0x80000000, v80
	v_or3_b32 v79, v1, v80, v79
.LBB334_183:                            ;   in Loop: Header=BB334_9 Depth=1
	s_or_b32 exec_lo, exec_lo, s31
.LBB334_184:                            ;   in Loop: Header=BB334_9 Depth=1
	s_or_b32 exec_lo, exec_lo, s30
.LBB334_185:                            ;   in Loop: Header=BB334_9 Depth=1
	s_or_b32 exec_lo, exec_lo, s3
	v_and_b32_sdwa v1, v82, v54 dst_sel:DWORD dst_unused:UNUSED_PAD src0_sel:WORD_1 src1_sel:DWORD
	v_mov_b32_e32 v80, 0
	v_mov_b32_e32 v81, 0
	s_mov_b32 s3, exec_lo
	v_cmpx_ne_u16_e32 0, v1
	s_cbranch_execz .LBB334_193
; %bb.186:                              ;   in Loop: Header=BB334_9 Depth=1
	v_bfrev_b32_e32 v81, 1
	s_mov_b32 s30, exec_lo
	v_cmpx_ne_u16_e32 0x80, v1
	s_cbranch_execz .LBB334_192
; %bb.187:                              ;   in Loop: Header=BB334_9 Depth=1
	v_bfe_u32 v83, v82, 16, 7
	v_mov_b32_e32 v81, 0x7f800001
	s_mov_b32 s31, exec_lo
	v_cmpx_ne_u32_e32 0x7f, v83
	s_cbranch_execz .LBB334_191
; %bb.188:                              ;   in Loop: Header=BB334_9 Depth=1
	v_and_b32_sdwa v1, v82, v55 dst_sel:DWORD dst_unused:UNUSED_PAD src0_sel:WORD_1 src1_sel:DWORD
	v_lshrrev_b32_e32 v81, 3, v83
	s_mov_b32 s33, exec_lo
	v_cmpx_gt_u32_e32 8, v83
; %bb.189:                              ;   in Loop: Header=BB334_9 Depth=1
	v_ffbh_u32_e32 v81, v1
	v_min_u32_e32 v81, 32, v81
	v_subrev_nc_u32_e32 v83, 28, v81
	v_sub_nc_u32_e32 v81, 29, v81
	v_lshlrev_b64 v[83:84], v83, v[1:2]
	v_and_b32_e32 v1, 7, v83
; %bb.190:                              ;   in Loop: Header=BB334_9 Depth=1
	s_or_b32 exec_lo, exec_lo, s33
	v_lshlrev_b32_sdwa v83, v56, v82 dst_sel:DWORD dst_unused:UNUSED_PAD src0_sel:DWORD src1_sel:WORD_1
	v_lshlrev_b32_e32 v1, 20, v1
	v_lshl_add_u32 v81, v81, 23, 0x3c000000
	v_and_b32_e32 v83, 0x80000000, v83
	v_or3_b32 v81, v1, v83, v81
.LBB334_191:                            ;   in Loop: Header=BB334_9 Depth=1
	s_or_b32 exec_lo, exec_lo, s31
.LBB334_192:                            ;   in Loop: Header=BB334_9 Depth=1
	s_or_b32 exec_lo, exec_lo, s30
.LBB334_193:                            ;   in Loop: Header=BB334_9 Depth=1
	s_or_b32 exec_lo, exec_lo, s3
	s_mov_b32 s3, exec_lo
	v_cmpx_lt_u32_e32 0xffffff, v82
	s_cbranch_execz .LBB334_201
; %bb.194:                              ;   in Loop: Header=BB334_9 Depth=1
	v_cmp_ne_u32_sdwa s2, v82, v52 src0_sel:BYTE_3 src1_sel:DWORD
	v_bfrev_b32_e32 v80, 1
	s_and_saveexec_b32 s30, s2
	s_cbranch_execz .LBB334_200
; %bb.195:                              ;   in Loop: Header=BB334_9 Depth=1
	v_bfe_u32 v83, v82, 24, 7
	v_mov_b32_e32 v80, 0x7f800001
	s_mov_b32 s31, exec_lo
	v_cmpx_ne_u32_e32 0x7f, v83
	s_cbranch_execz .LBB334_199
; %bb.196:                              ;   in Loop: Header=BB334_9 Depth=1
	v_and_b32_sdwa v1, v82, v55 dst_sel:DWORD dst_unused:UNUSED_PAD src0_sel:BYTE_3 src1_sel:DWORD
	v_lshrrev_b32_e32 v80, 3, v83
	s_mov_b32 s33, exec_lo
	v_cmpx_gt_u32_e32 8, v83
; %bb.197:                              ;   in Loop: Header=BB334_9 Depth=1
	v_ffbh_u32_e32 v80, v1
	v_min_u32_e32 v80, 32, v80
	v_subrev_nc_u32_e32 v83, 28, v80
	v_sub_nc_u32_e32 v80, 29, v80
	v_lshlrev_b64 v[83:84], v83, v[1:2]
	v_and_b32_e32 v1, 7, v83
; %bb.198:                              ;   in Loop: Header=BB334_9 Depth=1
	s_or_b32 exec_lo, exec_lo, s33
	v_lshlrev_b32_sdwa v82, v56, v82 dst_sel:DWORD dst_unused:UNUSED_PAD src0_sel:DWORD src1_sel:BYTE_3
	v_lshlrev_b32_e32 v1, 20, v1
	v_lshl_add_u32 v80, v80, 23, 0x3c000000
	v_and_b32_e32 v82, 0x80000000, v82
	v_or3_b32 v80, v1, v82, v80
.LBB334_199:                            ;   in Loop: Header=BB334_9 Depth=1
	s_or_b32 exec_lo, exec_lo, s31
.LBB334_200:                            ;   in Loop: Header=BB334_9 Depth=1
	s_or_b32 exec_lo, exec_lo, s30
.LBB334_201:                            ;   in Loop: Header=BB334_9 Depth=1
	s_or_b32 exec_lo, exec_lo, s3
	global_load_dword v86, v[7:8], off offset:768
	v_mov_b32_e32 v83, 0
	v_mov_b32_e32 v82, 0
	s_waitcnt vmcnt(0)
	v_cmp_ne_u16_sdwa s2, v86, v2 src0_sel:BYTE_0 src1_sel:DWORD
	s_and_saveexec_b32 s3, s2
	s_cbranch_execz .LBB334_209
; %bb.202:                              ;   in Loop: Header=BB334_9 Depth=1
	v_cmp_ne_u16_sdwa s2, v86, v52 src0_sel:BYTE_0 src1_sel:DWORD
	v_bfrev_b32_e32 v82, 1
	s_and_saveexec_b32 s30, s2
	s_cbranch_execz .LBB334_208
; %bb.203:                              ;   in Loop: Header=BB334_9 Depth=1
	v_and_b32_e32 v84, 0x7f, v86
	v_mov_b32_e32 v82, 0x7f800001
	s_mov_b32 s31, exec_lo
	v_cmpx_ne_u32_e32 0x7f, v84
	s_cbranch_execz .LBB334_207
; %bb.204:                              ;   in Loop: Header=BB334_9 Depth=1
	v_and_b32_e32 v1, 7, v86
	v_lshrrev_b32_e32 v82, 3, v84
	s_mov_b32 s33, exec_lo
	v_cmpx_gt_u32_e32 8, v84
; %bb.205:                              ;   in Loop: Header=BB334_9 Depth=1
	v_ffbh_u32_e32 v82, v1
	v_min_u32_e32 v82, 32, v82
	v_subrev_nc_u32_e32 v84, 28, v82
	v_sub_nc_u32_e32 v82, 29, v82
	v_lshlrev_b64 v[84:85], v84, v[1:2]
	v_and_b32_e32 v1, 7, v84
; %bb.206:                              ;   in Loop: Header=BB334_9 Depth=1
	s_or_b32 exec_lo, exec_lo, s33
	v_lshlrev_b32_e32 v84, 24, v86
	v_lshlrev_b32_e32 v1, 20, v1
	v_lshl_add_u32 v82, v82, 23, 0x3c000000
	v_and_b32_e32 v84, 0x80000000, v84
	v_or3_b32 v82, v1, v84, v82
.LBB334_207:                            ;   in Loop: Header=BB334_9 Depth=1
	s_or_b32 exec_lo, exec_lo, s31
.LBB334_208:                            ;   in Loop: Header=BB334_9 Depth=1
	s_or_b32 exec_lo, exec_lo, s30
.LBB334_209:                            ;   in Loop: Header=BB334_9 Depth=1
	s_or_b32 exec_lo, exec_lo, s3
	v_cmp_ne_u16_sdwa s2, v86, v2 src0_sel:BYTE_1 src1_sel:DWORD
	s_and_saveexec_b32 s3, s2
	s_cbranch_execz .LBB334_217
; %bb.210:                              ;   in Loop: Header=BB334_9 Depth=1
	v_cmp_ne_u16_sdwa s2, v86, v52 src0_sel:BYTE_1 src1_sel:DWORD
	v_bfrev_b32_e32 v83, 1
	s_and_saveexec_b32 s30, s2
	s_cbranch_execz .LBB334_216
; %bb.211:                              ;   in Loop: Header=BB334_9 Depth=1
	v_and_b32_sdwa v1, v53, v86 dst_sel:DWORD dst_unused:UNUSED_PAD src0_sel:DWORD src1_sel:BYTE_1
	v_mov_b32_e32 v83, 0x7f800001
	s_mov_b32 s31, exec_lo
	v_and_b32_e32 v84, 0x7f, v1
	v_cmpx_ne_u32_e32 0x7f, v84
	s_cbranch_execz .LBB334_215
; %bb.212:                              ;   in Loop: Header=BB334_9 Depth=1
	v_and_b32_e32 v1, 7, v1
	v_lshrrev_b32_e32 v83, 3, v84
	s_mov_b32 s33, exec_lo
	v_cmpx_gt_u32_e32 8, v84
; %bb.213:                              ;   in Loop: Header=BB334_9 Depth=1
	v_ffbh_u32_e32 v83, v1
	v_min_u32_e32 v83, 32, v83
	v_subrev_nc_u32_e32 v84, 28, v83
	v_sub_nc_u32_e32 v83, 29, v83
	v_lshlrev_b64 v[84:85], v84, v[1:2]
	v_and_b32_e32 v1, 7, v84
; %bb.214:                              ;   in Loop: Header=BB334_9 Depth=1
	s_or_b32 exec_lo, exec_lo, s33
	v_lshlrev_b32_e32 v84, 16, v86
	v_lshlrev_b32_e32 v1, 20, v1
	v_lshl_add_u32 v83, v83, 23, 0x3c000000
	v_and_b32_e32 v84, 0x80000000, v84
	v_or3_b32 v83, v1, v84, v83
.LBB334_215:                            ;   in Loop: Header=BB334_9 Depth=1
	s_or_b32 exec_lo, exec_lo, s31
.LBB334_216:                            ;   in Loop: Header=BB334_9 Depth=1
	s_or_b32 exec_lo, exec_lo, s30
.LBB334_217:                            ;   in Loop: Header=BB334_9 Depth=1
	s_or_b32 exec_lo, exec_lo, s3
	v_and_b32_sdwa v1, v86, v54 dst_sel:DWORD dst_unused:UNUSED_PAD src0_sel:WORD_1 src1_sel:DWORD
	v_mov_b32_e32 v84, 0
	v_mov_b32_e32 v85, 0
	s_mov_b32 s3, exec_lo
	v_cmpx_ne_u16_e32 0, v1
	s_cbranch_execz .LBB334_225
; %bb.218:                              ;   in Loop: Header=BB334_9 Depth=1
	v_bfrev_b32_e32 v85, 1
	s_mov_b32 s30, exec_lo
	v_cmpx_ne_u16_e32 0x80, v1
	s_cbranch_execz .LBB334_224
; %bb.219:                              ;   in Loop: Header=BB334_9 Depth=1
	v_bfe_u32 v87, v86, 16, 7
	v_mov_b32_e32 v85, 0x7f800001
	s_mov_b32 s31, exec_lo
	v_cmpx_ne_u32_e32 0x7f, v87
	s_cbranch_execz .LBB334_223
; %bb.220:                              ;   in Loop: Header=BB334_9 Depth=1
	v_and_b32_sdwa v1, v86, v55 dst_sel:DWORD dst_unused:UNUSED_PAD src0_sel:WORD_1 src1_sel:DWORD
	v_lshrrev_b32_e32 v85, 3, v87
	s_mov_b32 s33, exec_lo
	v_cmpx_gt_u32_e32 8, v87
; %bb.221:                              ;   in Loop: Header=BB334_9 Depth=1
	v_ffbh_u32_e32 v85, v1
	v_min_u32_e32 v85, 32, v85
	v_subrev_nc_u32_e32 v87, 28, v85
	v_sub_nc_u32_e32 v85, 29, v85
	v_lshlrev_b64 v[87:88], v87, v[1:2]
	v_and_b32_e32 v1, 7, v87
; %bb.222:                              ;   in Loop: Header=BB334_9 Depth=1
	s_or_b32 exec_lo, exec_lo, s33
	v_lshlrev_b32_sdwa v87, v56, v86 dst_sel:DWORD dst_unused:UNUSED_PAD src0_sel:DWORD src1_sel:WORD_1
	v_lshlrev_b32_e32 v1, 20, v1
	v_lshl_add_u32 v85, v85, 23, 0x3c000000
	v_and_b32_e32 v87, 0x80000000, v87
	v_or3_b32 v85, v1, v87, v85
.LBB334_223:                            ;   in Loop: Header=BB334_9 Depth=1
	s_or_b32 exec_lo, exec_lo, s31
.LBB334_224:                            ;   in Loop: Header=BB334_9 Depth=1
	s_or_b32 exec_lo, exec_lo, s30
.LBB334_225:                            ;   in Loop: Header=BB334_9 Depth=1
	s_or_b32 exec_lo, exec_lo, s3
	s_mov_b32 s3, exec_lo
	v_cmpx_lt_u32_e32 0xffffff, v86
	s_cbranch_execz .LBB334_233
; %bb.226:                              ;   in Loop: Header=BB334_9 Depth=1
	v_cmp_ne_u32_sdwa s2, v86, v52 src0_sel:BYTE_3 src1_sel:DWORD
	v_bfrev_b32_e32 v84, 1
	s_and_saveexec_b32 s30, s2
	s_cbranch_execz .LBB334_232
; %bb.227:                              ;   in Loop: Header=BB334_9 Depth=1
	v_bfe_u32 v87, v86, 24, 7
	v_mov_b32_e32 v84, 0x7f800001
	s_mov_b32 s31, exec_lo
	v_cmpx_ne_u32_e32 0x7f, v87
	s_cbranch_execz .LBB334_231
; %bb.228:                              ;   in Loop: Header=BB334_9 Depth=1
	v_and_b32_sdwa v1, v86, v55 dst_sel:DWORD dst_unused:UNUSED_PAD src0_sel:BYTE_3 src1_sel:DWORD
	v_lshrrev_b32_e32 v84, 3, v87
	s_mov_b32 s33, exec_lo
	v_cmpx_gt_u32_e32 8, v87
; %bb.229:                              ;   in Loop: Header=BB334_9 Depth=1
	v_ffbh_u32_e32 v84, v1
	v_min_u32_e32 v84, 32, v84
	v_subrev_nc_u32_e32 v87, 28, v84
	v_sub_nc_u32_e32 v84, 29, v84
	v_lshlrev_b64 v[87:88], v87, v[1:2]
	v_and_b32_e32 v1, 7, v87
; %bb.230:                              ;   in Loop: Header=BB334_9 Depth=1
	s_or_b32 exec_lo, exec_lo, s33
	v_lshlrev_b32_sdwa v86, v56, v86 dst_sel:DWORD dst_unused:UNUSED_PAD src0_sel:DWORD src1_sel:BYTE_3
	v_lshlrev_b32_e32 v1, 20, v1
	v_lshl_add_u32 v84, v84, 23, 0x3c000000
	v_and_b32_e32 v86, 0x80000000, v86
	v_or3_b32 v84, v1, v86, v84
.LBB334_231:                            ;   in Loop: Header=BB334_9 Depth=1
	s_or_b32 exec_lo, exec_lo, s31
.LBB334_232:                            ;   in Loop: Header=BB334_9 Depth=1
	s_or_b32 exec_lo, exec_lo, s30
.LBB334_233:                            ;   in Loop: Header=BB334_9 Depth=1
	s_or_b32 exec_lo, exec_lo, s3
	global_load_dword v86, v[7:8], off offset:776
	v_mov_b32_e32 v88, 0
	v_mov_b32_e32 v87, 0
	s_waitcnt vmcnt(0)
	v_cmp_ne_u16_sdwa s2, v86, v2 src0_sel:BYTE_0 src1_sel:DWORD
	s_and_saveexec_b32 s3, s2
	s_cbranch_execz .LBB334_241
; %bb.234:                              ;   in Loop: Header=BB334_9 Depth=1
	v_cmp_ne_u16_sdwa s2, v86, v52 src0_sel:BYTE_0 src1_sel:DWORD
	v_bfrev_b32_e32 v87, 1
	s_and_saveexec_b32 s30, s2
	s_cbranch_execz .LBB334_240
; %bb.235:                              ;   in Loop: Header=BB334_9 Depth=1
	v_and_b32_e32 v8, 0x7f, v86
	v_mov_b32_e32 v87, 0x7f800001
	s_mov_b32 s31, exec_lo
	v_cmpx_ne_u32_e32 0x7f, v8
	s_cbranch_execz .LBB334_239
; %bb.236:                              ;   in Loop: Header=BB334_9 Depth=1
	v_and_b32_e32 v1, 7, v86
	v_lshrrev_b32_e32 v7, 3, v8
	s_mov_b32 s33, exec_lo
	v_cmpx_gt_u32_e32 8, v8
; %bb.237:                              ;   in Loop: Header=BB334_9 Depth=1
	v_ffbh_u32_e32 v7, v1
	v_min_u32_e32 v7, 32, v7
	v_subrev_nc_u32_e32 v8, 28, v7
	v_sub_nc_u32_e32 v7, 29, v7
	v_lshlrev_b64 v[89:90], v8, v[1:2]
	v_and_b32_e32 v1, 7, v89
; %bb.238:                              ;   in Loop: Header=BB334_9 Depth=1
	s_or_b32 exec_lo, exec_lo, s33
	v_lshlrev_b32_e32 v8, 24, v86
	v_lshlrev_b32_e32 v1, 20, v1
	v_lshl_add_u32 v7, v7, 23, 0x3c000000
	v_and_b32_e32 v8, 0x80000000, v8
	v_or3_b32 v87, v1, v8, v7
.LBB334_239:                            ;   in Loop: Header=BB334_9 Depth=1
	s_or_b32 exec_lo, exec_lo, s31
.LBB334_240:                            ;   in Loop: Header=BB334_9 Depth=1
	s_or_b32 exec_lo, exec_lo, s30
.LBB334_241:                            ;   in Loop: Header=BB334_9 Depth=1
	s_or_b32 exec_lo, exec_lo, s3
	v_cmp_ne_u16_sdwa s2, v86, v2 src0_sel:BYTE_1 src1_sel:DWORD
	s_and_saveexec_b32 s3, s2
	s_cbranch_execz .LBB334_249
; %bb.242:                              ;   in Loop: Header=BB334_9 Depth=1
	v_cmp_ne_u16_sdwa s2, v86, v52 src0_sel:BYTE_1 src1_sel:DWORD
	v_bfrev_b32_e32 v88, 1
	s_and_saveexec_b32 s30, s2
	s_cbranch_execz .LBB334_248
; %bb.243:                              ;   in Loop: Header=BB334_9 Depth=1
	v_and_b32_sdwa v1, v53, v86 dst_sel:DWORD dst_unused:UNUSED_PAD src0_sel:DWORD src1_sel:BYTE_1
	v_mov_b32_e32 v88, 0x7f800001
	s_mov_b32 s31, exec_lo
	v_and_b32_e32 v8, 0x7f, v1
	v_cmpx_ne_u32_e32 0x7f, v8
	s_cbranch_execz .LBB334_247
; %bb.244:                              ;   in Loop: Header=BB334_9 Depth=1
	v_and_b32_e32 v1, 7, v1
	v_lshrrev_b32_e32 v7, 3, v8
	s_mov_b32 s33, exec_lo
	v_cmpx_gt_u32_e32 8, v8
; %bb.245:                              ;   in Loop: Header=BB334_9 Depth=1
	v_ffbh_u32_e32 v7, v1
	v_min_u32_e32 v7, 32, v7
	v_subrev_nc_u32_e32 v8, 28, v7
	v_sub_nc_u32_e32 v7, 29, v7
	v_lshlrev_b64 v[88:89], v8, v[1:2]
	v_and_b32_e32 v1, 7, v88
; %bb.246:                              ;   in Loop: Header=BB334_9 Depth=1
	s_or_b32 exec_lo, exec_lo, s33
	v_lshlrev_b32_e32 v8, 16, v86
	v_lshlrev_b32_e32 v1, 20, v1
	v_lshl_add_u32 v7, v7, 23, 0x3c000000
	v_and_b32_e32 v8, 0x80000000, v8
	v_or3_b32 v88, v1, v8, v7
.LBB334_247:                            ;   in Loop: Header=BB334_9 Depth=1
	s_or_b32 exec_lo, exec_lo, s31
.LBB334_248:                            ;   in Loop: Header=BB334_9 Depth=1
	s_or_b32 exec_lo, exec_lo, s30
.LBB334_249:                            ;   in Loop: Header=BB334_9 Depth=1
	s_or_b32 exec_lo, exec_lo, s3
	v_and_b32_sdwa v1, v86, v54 dst_sel:DWORD dst_unused:UNUSED_PAD src0_sel:WORD_1 src1_sel:DWORD
	v_mov_b32_e32 v7, 0
	v_mov_b32_e32 v8, 0
	s_mov_b32 s3, exec_lo
	v_cmpx_ne_u16_e32 0, v1
	s_cbranch_execz .LBB334_257
; %bb.250:                              ;   in Loop: Header=BB334_9 Depth=1
	v_bfrev_b32_e32 v8, 1
	s_mov_b32 s30, exec_lo
	v_cmpx_ne_u16_e32 0x80, v1
	s_cbranch_execz .LBB334_256
; %bb.251:                              ;   in Loop: Header=BB334_9 Depth=1
	v_bfe_u32 v89, v86, 16, 7
	v_mov_b32_e32 v8, 0x7f800001
	s_mov_b32 s31, exec_lo
	v_cmpx_ne_u32_e32 0x7f, v89
	s_cbranch_execz .LBB334_255
; %bb.252:                              ;   in Loop: Header=BB334_9 Depth=1
	v_and_b32_sdwa v1, v86, v55 dst_sel:DWORD dst_unused:UNUSED_PAD src0_sel:WORD_1 src1_sel:DWORD
	v_lshrrev_b32_e32 v8, 3, v89
	s_mov_b32 s33, exec_lo
	v_cmpx_gt_u32_e32 8, v89
; %bb.253:                              ;   in Loop: Header=BB334_9 Depth=1
	v_ffbh_u32_e32 v8, v1
	v_min_u32_e32 v8, 32, v8
	v_subrev_nc_u32_e32 v89, 28, v8
	v_sub_nc_u32_e32 v8, 29, v8
	v_lshlrev_b64 v[89:90], v89, v[1:2]
	v_and_b32_e32 v1, 7, v89
; %bb.254:                              ;   in Loop: Header=BB334_9 Depth=1
	s_or_b32 exec_lo, exec_lo, s33
	v_lshlrev_b32_sdwa v89, v56, v86 dst_sel:DWORD dst_unused:UNUSED_PAD src0_sel:DWORD src1_sel:WORD_1
	v_lshlrev_b32_e32 v1, 20, v1
	v_lshl_add_u32 v8, v8, 23, 0x3c000000
	v_and_b32_e32 v89, 0x80000000, v89
	v_or3_b32 v8, v1, v89, v8
.LBB334_255:                            ;   in Loop: Header=BB334_9 Depth=1
	s_or_b32 exec_lo, exec_lo, s31
.LBB334_256:                            ;   in Loop: Header=BB334_9 Depth=1
	s_or_b32 exec_lo, exec_lo, s30
.LBB334_257:                            ;   in Loop: Header=BB334_9 Depth=1
	s_or_b32 exec_lo, exec_lo, s3
	s_mov_b32 s3, exec_lo
	v_cmpx_lt_u32_e32 0xffffff, v86
	s_cbranch_execz .LBB334_265
; %bb.258:                              ;   in Loop: Header=BB334_9 Depth=1
	v_cmp_ne_u32_sdwa s2, v86, v52 src0_sel:BYTE_3 src1_sel:DWORD
	v_bfrev_b32_e32 v7, 1
	s_and_saveexec_b32 s30, s2
	s_cbranch_execz .LBB334_264
; %bb.259:                              ;   in Loop: Header=BB334_9 Depth=1
	v_bfe_u32 v89, v86, 24, 7
	v_mov_b32_e32 v7, 0x7f800001
	s_mov_b32 s31, exec_lo
	v_cmpx_ne_u32_e32 0x7f, v89
	s_cbranch_execz .LBB334_263
; %bb.260:                              ;   in Loop: Header=BB334_9 Depth=1
	v_and_b32_sdwa v1, v86, v55 dst_sel:DWORD dst_unused:UNUSED_PAD src0_sel:BYTE_3 src1_sel:DWORD
	v_lshrrev_b32_e32 v7, 3, v89
	s_mov_b32 s33, exec_lo
	v_cmpx_gt_u32_e32 8, v89
; %bb.261:                              ;   in Loop: Header=BB334_9 Depth=1
	v_ffbh_u32_e32 v7, v1
	v_min_u32_e32 v7, 32, v7
	v_subrev_nc_u32_e32 v89, 28, v7
	v_sub_nc_u32_e32 v7, 29, v7
	v_lshlrev_b64 v[89:90], v89, v[1:2]
	v_and_b32_e32 v1, 7, v89
; %bb.262:                              ;   in Loop: Header=BB334_9 Depth=1
	s_or_b32 exec_lo, exec_lo, s33
	v_lshlrev_b32_sdwa v86, v56, v86 dst_sel:DWORD dst_unused:UNUSED_PAD src0_sel:DWORD src1_sel:BYTE_3
	v_lshlrev_b32_e32 v1, 20, v1
	v_lshl_add_u32 v7, v7, 23, 0x3c000000
	v_and_b32_e32 v86, 0x80000000, v86
	v_or3_b32 v7, v1, v86, v7
.LBB334_263:                            ;   in Loop: Header=BB334_9 Depth=1
	s_or_b32 exec_lo, exec_lo, s31
.LBB334_264:                            ;   in Loop: Header=BB334_9 Depth=1
	s_or_b32 exec_lo, exec_lo, s30
.LBB334_265:                            ;   in Loop: Header=BB334_9 Depth=1
	s_or_b32 exec_lo, exec_lo, s3
	s_waitcnt lgkmcnt(0)
	v_mul_f32_e32 v1, s4, v88
	v_mul_f32_e32 v86, s4, v87
	;; [unrolled: 1-line block ×5, first 2 shown]
	v_bfe_u32 v87, v1, 16, 1
	v_bfe_u32 v84, v86, 16, 1
	v_or_b32_e32 v89, 0x400000, v1
	v_cmp_u_f32_e64 s2, v1, v1
	v_or_b32_e32 v90, 0x400000, v86
	v_add3_u32 v87, v87, v1, 0x7fff
	v_bfe_u32 v91, v85, 16, 1
	v_add3_u32 v84, v84, v86, 0x7fff
	v_bfe_u32 v92, v88, 16, 1
	v_mul_f32_e32 v72, s4, v72
	v_cndmask_b32_e64 v1, v87, v89, s2
	v_cmp_u_f32_e64 s2, v86, v86
	v_add3_u32 v86, v91, v85, 0x7fff
	v_mul_f32_e32 v87, s4, v83
	v_or_b32_e32 v83, 0x400000, v85
	v_add3_u32 v89, v92, v88, 0x7fff
	v_cndmask_b32_e64 v84, v84, v90, s2
	v_cmp_u_f32_e64 s2, v85, v85
	v_mul_f32_e32 v90, s4, v82
	v_or_b32_e32 v82, 0x400000, v88
	v_bfe_u32 v91, v87, 16, 1
	v_mul_f32_e32 v71, s4, v71
	v_cndmask_b32_e64 v83, v86, v83, s2
	v_cmp_u_f32_e64 s2, v88, v88
	v_bfe_u32 v85, v90, 16, 1
	v_add3_u32 v86, v91, v87, 0x7fff
	v_mul_f32_e32 v88, s4, v81
	v_or_b32_e32 v81, 0x400000, v87
	v_cndmask_b32_e64 v82, v89, v82, s2
	v_cmp_u_f32_e64 s2, v87, v87
	v_add3_u32 v85, v85, v90, 0x7fff
	v_mul_f32_e32 v89, s4, v80
	v_or_b32_e32 v91, 0x400000, v90
	v_bfe_u32 v92, v88, 16, 1
	v_cndmask_b32_e64 v80, v86, v81, s2
	v_cmp_u_f32_e64 s2, v90, v90
	v_bfe_u32 v86, v89, 16, 1
	v_mul_f32_e32 v87, s4, v79
	v_or_b32_e32 v79, 0x400000, v88
	v_mul_f32_e32 v90, s4, v78
	v_cndmask_b32_e64 v81, v85, v91, s2
	v_add3_u32 v85, v92, v88, 0x7fff
	v_cmp_u_f32_e64 s2, v88, v88
	v_add3_u32 v86, v86, v89, 0x7fff
	v_or_b32_e32 v91, 0x400000, v89
	v_bfe_u32 v92, v87, 16, 1
	v_mul_f32_e32 v88, s4, v77
	v_cndmask_b32_e64 v78, v85, v79, s2
	v_cmp_u_f32_e64 s2, v89, v89
	v_bfe_u32 v85, v90, 16, 1
	v_or_b32_e32 v77, 0x400000, v87
	v_mul_f32_e32 v89, s4, v76
	v_mul_f32_e32 v70, s4, v70
	v_cndmask_b32_e64 v79, v86, v91, s2
	v_add3_u32 v86, v92, v87, 0x7fff
	v_cmp_u_f32_e64 s2, v87, v87
	v_add3_u32 v85, v85, v90, 0x7fff
	v_or_b32_e32 v91, 0x400000, v90
	v_bfe_u32 v92, v88, 16, 1
	v_mul_f32_e32 v87, s4, v75
	v_cndmask_b32_e64 v76, v86, v77, s2
	v_cmp_u_f32_e64 s2, v90, v90
	v_bfe_u32 v86, v89, 16, 1
	v_or_b32_e32 v75, 0x400000, v88
	v_mul_f32_e32 v90, s4, v74
	v_mul_f32_e32 v69, s4, v69
	v_cndmask_b32_e64 v77, v85, v91, s2
	v_add3_u32 v85, v92, v88, 0x7fff
	v_cmp_u_f32_e64 s2, v88, v88
	v_add3_u32 v86, v86, v89, 0x7fff
	v_or_b32_e32 v91, 0x400000, v89
	v_bfe_u32 v92, v87, 16, 1
	v_or_b32_e32 v88, 0x400000, v87
	v_cndmask_b32_e64 v74, v85, v75, s2
	v_cmp_u_f32_e64 s2, v89, v89
	v_bfe_u32 v85, v90, 16, 1
	v_or_b32_e32 v89, 0x400000, v90
	v_mul_f32_e32 v68, s4, v68
	v_mul_f32_e32 v67, s4, v67
	v_cndmask_b32_e64 v75, v86, v91, s2
	v_add3_u32 v86, v92, v87, 0x7fff
	v_cmp_u_f32_e64 s2, v87, v87
	v_add3_u32 v85, v85, v90, 0x7fff
	v_bfe_u32 v91, v73, 16, 1
	v_bfe_u32 v87, v72, 16, 1
	v_mul_f32_e32 v66, s4, v66
	v_cndmask_b32_e64 v86, v86, v88, s2
	v_cmp_u_f32_e64 s2, v90, v90
	v_add3_u32 v88, v91, v73, 0x7fff
	v_add3_u32 v87, v87, v72, 0x7fff
	v_or_b32_e32 v90, 0x400000, v72
	v_bfe_u32 v91, v71, 16, 1
	v_cndmask_b32_e64 v85, v85, v89, s2
	v_or_b32_e32 v89, 0x400000, v73
	v_cmp_u_f32_e64 s2, v73, v73
	v_mul_f32_e32 v65, s4, v65
	v_mul_f32_e32 v64, s4, v64
	;; [unrolled: 1-line block ×4, first 2 shown]
	v_cndmask_b32_e64 v73, v88, v89, s2
	v_cmp_u_f32_e64 s2, v72, v72
	v_bfe_u32 v88, v70, 16, 1
	v_or_b32_e32 v89, 0x400000, v71
	v_mul_f32_e32 v61, s4, v61
	v_mul_f32_e32 v60, s4, v60
	v_cndmask_b32_e64 v72, v87, v90, s2
	v_add3_u32 v87, v91, v71, 0x7fff
	v_cmp_u_f32_e64 s2, v71, v71
	v_add3_u32 v88, v88, v70, 0x7fff
	v_or_b32_e32 v90, 0x400000, v70
	v_bfe_u32 v91, v69, 16, 1
	v_mul_f32_e32 v59, s4, v59
	v_cndmask_b32_e64 v71, v87, v89, s2
	v_cmp_u_f32_e64 s2, v70, v70
	v_bfe_u32 v87, v68, 16, 1
	v_or_b32_e32 v89, 0x400000, v69
	v_mul_f32_e32 v58, s4, v58
	v_mul_f32_e32 v8, s4, v8
	v_cndmask_b32_e64 v70, v88, v90, s2
	v_add3_u32 v88, v91, v69, 0x7fff
	v_cmp_u_f32_e64 s2, v69, v69
	v_add3_u32 v87, v87, v68, 0x7fff
	v_or_b32_e32 v90, 0x400000, v68
	v_bfe_u32 v91, v67, 16, 1
	v_mul_f32_e32 v7, s4, v7
	v_cndmask_b32_e64 v69, v88, v89, s2
	v_cmp_u_f32_e64 s2, v68, v68
	v_bfe_u32 v88, v66, 16, 1
	v_or_b32_e32 v89, 0x400000, v67
	v_or_b32_e32 v92, 0x400000, v7
	v_and_b32_e32 v1, 0xffff0000, v1
	v_cndmask_b32_e64 v68, v87, v90, s2
	v_add3_u32 v87, v91, v67, 0x7fff
	v_cmp_u_f32_e64 s2, v67, v67
	v_add3_u32 v88, v88, v66, 0x7fff
	v_or_b32_e32 v90, 0x400000, v66
	v_bfe_u32 v91, v65, 16, 1
	v_cndmask_b32_e64 v67, v87, v89, s2
	v_cmp_u_f32_e64 s2, v66, v66
	v_bfe_u32 v87, v64, 16, 1
	v_or_b32_e32 v89, 0x400000, v65
	v_cndmask_b32_e64 v66, v88, v90, s2
	v_add3_u32 v88, v91, v65, 0x7fff
	v_cmp_u_f32_e64 s2, v65, v65
	v_add3_u32 v87, v87, v64, 0x7fff
	v_or_b32_e32 v90, 0x400000, v64
	v_bfe_u32 v91, v63, 16, 1
	v_cndmask_b32_e64 v65, v88, v89, s2
	v_cmp_u_f32_e64 s2, v64, v64
	v_bfe_u32 v88, v62, 16, 1
	v_or_b32_e32 v89, 0x400000, v63
	v_and_b32_e32 v65, 0xffff0000, v65
	v_cndmask_b32_e64 v64, v87, v90, s2
	v_add3_u32 v87, v91, v63, 0x7fff
	v_cmp_u_f32_e64 s2, v63, v63
	v_add3_u32 v88, v88, v62, 0x7fff
	v_or_b32_e32 v90, 0x400000, v62
	v_bfe_u32 v91, v61, 16, 1
	v_and_b32_e32 v64, 0xffff0000, v64
	v_cndmask_b32_e64 v63, v87, v89, s2
	v_cmp_u_f32_e64 s2, v62, v62
	v_bfe_u32 v87, v60, 16, 1
	v_or_b32_e32 v89, 0x400000, v61
	v_mul_f32_e32 v64, v20, v64
	v_and_b32_e32 v63, 0xffff0000, v63
	v_cndmask_b32_e64 v62, v88, v90, s2
	v_add3_u32 v88, v91, v61, 0x7fff
	v_cmp_u_f32_e64 s2, v61, v61
	v_add3_u32 v87, v87, v60, 0x7fff
	v_or_b32_e32 v90, 0x400000, v60
	v_and_b32_e32 v62, 0xffff0000, v62
	v_mul_f32_e32 v63, v18, v63
	v_cndmask_b32_e64 v61, v88, v89, s2
	v_bfe_u32 v88, v59, 16, 1
	v_cmp_u_f32_e64 s2, v60, v60
	v_bfe_u32 v89, v58, 16, 1
	v_mul_f32_e32 v62, v17, v62
	v_and_b32_e32 v61, 0xffff0000, v61
	v_or_b32_e32 v91, 0x400000, v8
	v_cndmask_b32_e64 v60, v87, v90, s2
	v_add3_u32 v87, v88, v59, 0x7fff
	v_or_b32_e32 v88, 0x400000, v59
	v_cmp_u_f32_e64 s2, v59, v59
	v_bfe_u32 v90, v8, 16, 1
	v_and_b32_e32 v60, 0xffff0000, v60
	v_cndmask_b32_e64 v59, v87, v88, s2
	v_add3_u32 v88, v89, v58, 0x7fff
	v_or_b32_e32 v89, 0x400000, v58
	v_cmp_u_f32_e64 s2, v58, v58
	v_fmac_f32_e32 v64, v16, v60
	v_and_b32_e32 v59, 0xffff0000, v59
	v_and_b32_e32 v60, 0xffff0000, v69
	v_bfe_u32 v87, v7, 16, 1
	v_cndmask_b32_e64 v58, v88, v89, s2
	v_add3_u32 v90, v90, v8, 0x7fff
	v_fmac_f32_e32 v63, v14, v59
	v_and_b32_e32 v59, 0xffff0000, v66
	v_cmp_u_f32_e64 s2, v8, v8
	v_and_b32_e32 v58, 0xffff0000, v58
	v_add3_u32 v87, v87, v7, 0x7fff
	v_cndmask_b32_e64 v8, v90, v91, s2
	v_fmac_f32_e32 v62, v12, v58
	v_mul_f32_e32 v58, v19, v65
	v_and_b32_e32 v65, 0xffff0000, v67
	v_cmp_u_f32_e64 s2, v7, v7
	v_and_b32_e32 v8, 0xffff0000, v8
	v_fmac_f32_e32 v62, v24, v59
	v_fmac_f32_e32 v58, v15, v61
	v_and_b32_e32 v59, 0xffff0000, v68
	v_fmac_f32_e32 v63, v25, v65
	v_and_b32_e32 v61, 0xffff0000, v70
	v_and_b32_e32 v65, 0xffff0000, v73
	v_fmac_f32_e32 v58, v26, v60
	v_and_b32_e32 v60, 0xffff0000, v71
	v_fmac_f32_e32 v64, v27, v59
	;; [unrolled: 2-line block ×3, first 2 shown]
	v_fmac_f32_e32 v58, v30, v65
	v_fmac_f32_e32 v63, v29, v60
	v_and_b32_e32 v60, 0xffff0000, v85
	v_and_b32_e32 v61, 0xffff0000, v86
	v_fmac_f32_e32 v64, v31, v59
	v_and_b32_e32 v59, 0xffff0000, v74
	v_and_b32_e32 v65, 0xffff0000, v75
	v_fmac_f32_e32 v62, v32, v60
	v_fmac_f32_e32 v63, v33, v61
	v_and_b32_e32 v60, 0xffff0000, v77
	v_fmac_f32_e32 v58, v34, v59
	v_and_b32_e32 v59, 0xffff0000, v76
	;; [unrolled: 2-line block ×4, first 2 shown]
	v_and_b32_e32 v65, 0xffff0000, v81
	v_fmac_f32_e32 v63, v37, v59
	v_and_b32_e32 v59, 0xffff0000, v80
	v_fmac_f32_e32 v58, v38, v61
	v_fmac_f32_e32 v64, v39, v60
	;; [unrolled: 1-line block ×3, first 2 shown]
	v_and_b32_e32 v60, 0xffff0000, v83
	v_and_b32_e32 v61, 0xffff0000, v84
	v_fmac_f32_e32 v63, v41, v59
	v_cndmask_b32_e64 v7, v87, v92, s2
	v_and_b32_e32 v59, 0xffff0000, v82
	v_fmac_f32_e32 v58, v43, v60
	v_fmac_f32_e32 v62, v45, v61
	;; [unrolled: 1-line block ×3, first 2 shown]
	v_and_b32_e32 v1, 0xffff0000, v7
	v_fmac_f32_e32 v64, v44, v59
	v_fmac_f32_e32 v58, v47, v8
	v_add_f32_e32 v7, v62, v63
	v_fmac_f32_e32 v64, v48, v1
	v_add_f32_e32 v1, v7, v58
	v_add_f32_e32 v1, v1, v64
	ds_bpermute_b32 v7, v49, v1
	s_and_saveexec_b32 s3, vcc_lo
	s_cbranch_execz .LBB334_8
; %bb.266:                              ;   in Loop: Header=BB334_9 Depth=1
	v_add_nc_u32_e32 v8, s5, v50
	s_waitcnt lgkmcnt(0)
	v_add_f32_e32 v1, v1, v7
	v_cmp_gt_i32_e64 s2, s11, v50
	v_cvt_f32_i32_e32 v8, v8
	v_mul_f32_e32 v8, s28, v8
	v_cndmask_b32_e64 v7, 0, v8, s1
	v_max_f32_e32 v8, v42, v42
	v_fmac_f32_e32 v7, s29, v1
	v_max_f32_e32 v1, v8, v7
	v_cndmask_b32_e64 v7, 0, v7, s2
	v_cndmask_b32_e64 v42, v42, v1, s2
	ds_write_b32 v51, v7
	s_branch .LBB334_8
.LBB334_267:
	s_or_b32 exec_lo, exec_lo, s16
.LBB334_268:
	s_or_b32 exec_lo, exec_lo, s15
	v_xor_b32_e32 v1, 16, v10
	v_xor_b32_e32 v4, 8, v10
	v_max_f32_e32 v5, v42, v42
	v_xor_b32_e32 v6, 4, v10
	v_and_b32_e32 v24, 31, v0
	v_cmp_lt_i32_e32 vcc_lo, v1, v11
	v_cndmask_b32_e32 v1, v10, v1, vcc_lo
	v_cmp_lt_i32_e32 vcc_lo, v4, v11
	v_lshlrev_b32_e32 v3, 2, v1
	v_cndmask_b32_e32 v4, v10, v4, vcc_lo
	v_cmp_lt_i32_e32 vcc_lo, v6, v11
	ds_bpermute_b32 v1, v3, v42
	v_lshlrev_b32_e32 v4, 2, v4
	v_cndmask_b32_e32 v6, v10, v6, vcc_lo
	s_waitcnt lgkmcnt(0)
	v_max_f32_e32 v1, v1, v1
	v_max_f32_e32 v1, v5, v1
	ds_bpermute_b32 v5, v4, v1
	s_waitcnt lgkmcnt(0)
	v_max_f32_e32 v7, v5, v5
	v_lshlrev_b32_e32 v5, 2, v6
	v_max_f32_e32 v1, v1, v7
	v_xor_b32_e32 v7, 2, v10
	ds_bpermute_b32 v6, v5, v1
	v_cmp_lt_i32_e32 vcc_lo, v7, v11
	v_cndmask_b32_e32 v8, v10, v7, vcc_lo
	v_cmp_eq_u32_e32 vcc_lo, 0, v24
	s_waitcnt lgkmcnt(0)
	v_max_f32_e32 v6, v6, v6
	v_max_f32_e32 v7, v1, v6
	v_lshlrev_b32_e32 v1, 2, v8
	v_lshlrev_b32_e32 v6, 2, v23
	ds_bpermute_b32 v8, v1, v7
	s_and_saveexec_b32 s1, vcc_lo
	s_cbranch_execz .LBB334_270
; %bb.269:
	s_waitcnt lgkmcnt(0)
	v_max_f32_e32 v8, v8, v8
	v_max_f32_e32 v7, v7, v7
	;; [unrolled: 1-line block ×3, first 2 shown]
	ds_write_b32 v6, v7 offset:128
.LBB334_270:
	s_or_b32 exec_lo, exec_lo, s1
	v_cmp_gt_u32_e64 s1, 4, v24
	s_waitcnt lgkmcnt(0)
	v_mov_b32_e32 v8, 0xff7fffff
	v_lshlrev_b32_e32 v7, 2, v24
	s_barrier
	buffer_gl0_inv
	s_and_saveexec_b32 s2, s1
; %bb.271:
	ds_read_b32 v8, v7 offset:128
; %bb.272:
	s_or_b32 exec_lo, exec_lo, s2
	s_waitcnt lgkmcnt(0)
	ds_bpermute_b32 v12, v1, v8
	v_xor_b32_e32 v14, 1, v10
	v_max_f32_e32 v8, v8, v8
	v_lshlrev_b32_e32 v2, 2, v2
	v_cmp_lt_i32_e64 s2, v14, v11
	v_cndmask_b32_e64 v11, v10, v14, s2
	s_lshl_b32 s2, s12, 4
	s_min_i32 s4, s2, s11
	v_lshlrev_b32_e32 v25, 2, v11
	v_cmp_gt_i32_e64 s2, s4, v0
	s_waitcnt lgkmcnt(0)
	v_max_f32_e32 v12, v12, v12
	v_max_f32_e32 v8, v8, v12
	ds_bpermute_b32 v11, v25, v8
	s_waitcnt lgkmcnt(0)
	v_max_f32_e32 v11, v11, v11
	v_max_f32_e32 v8, v8, v11
	ds_bpermute_b32 v11, v2, v8
	v_mov_b32_e32 v8, 0
	v_lshl_add_u32 v2, v0, 2, 0xa0
	s_and_saveexec_b32 s5, s2
	s_cbranch_execz .LBB334_276
; %bb.273:
	v_lshl_add_u32 v12, v0, 2, 0xa0
	v_mov_b32_e32 v8, 0
	v_mov_b32_e32 v14, v0
	s_mov_b32 s15, 0
	.p2align	6
.LBB334_274:                            ; =>This Inner Loop Header: Depth=1
	ds_read_b32 v15, v12
	v_add_nc_u32_e32 v14, 0x80, v14
	v_cmp_le_i32_e64 s3, s4, v14
	s_or_b32 s15, s3, s15
	s_waitcnt lgkmcnt(0)
	v_sub_f32_e32 v15, v15, v11
	v_mul_f32_e32 v15, 0x3fb8aa3b, v15
	v_exp_f32_e32 v15, v15
	ds_write_b32 v12, v15
	v_add_f32_e32 v8, v8, v15
	v_add_nc_u32_e32 v12, 0x200, v12
	s_andn2_b32 exec_lo, exec_lo, s15
	s_cbranch_execnz .LBB334_274
; %bb.275:
	s_or_b32 exec_lo, exec_lo, s15
.LBB334_276:
	s_or_b32 exec_lo, exec_lo, s5
	ds_bpermute_b32 v3, v3, v8
	s_waitcnt lgkmcnt(0)
	v_add_f32_e32 v3, v8, v3
	ds_bpermute_b32 v4, v4, v3
	s_waitcnt lgkmcnt(0)
	v_add_f32_e32 v3, v3, v4
	;; [unrolled: 3-line block ×5, first 2 shown]
	s_and_saveexec_b32 s3, vcc_lo
; %bb.277:
	ds_write_b32 v6, v3 offset:144
; %bb.278:
	s_or_b32 exec_lo, exec_lo, s3
	s_waitcnt lgkmcnt(0)
	s_barrier
	buffer_gl0_inv
	s_and_saveexec_b32 s3, s1
; %bb.279:
	ds_read_b32 v3, v7 offset:144
; %bb.280:
	s_or_b32 exec_lo, exec_lo, s3
	s_waitcnt lgkmcnt(0)
	ds_bpermute_b32 v1, v1, v3
	v_lshlrev_b32_e32 v4, 2, v10
	s_waitcnt lgkmcnt(0)
	v_add_f32_e32 v1, v3, v1
	ds_bpermute_b32 v3, v25, v1
	s_waitcnt lgkmcnt(0)
	v_add_f32_e32 v1, v1, v3
	v_and_b32_e32 v3, 0xffffff80, v4
	ds_bpermute_b32 v1, v3, v1
	s_and_saveexec_b32 s1, s2
	s_cbranch_execz .LBB334_283
; %bb.281:
	s_waitcnt lgkmcnt(0)
	v_add_f32_e32 v1, 0x358637bd, v1
	s_mov_b32 s2, 0
	v_div_scale_f32 v3, null, v1, v1, 1.0
	v_div_scale_f32 v6, vcc_lo, 1.0, v1, 1.0
	v_rcp_f32_e32 v4, v3
	v_fma_f32 v5, -v3, v4, 1.0
	v_fmac_f32_e32 v4, v5, v4
	v_mul_f32_e32 v5, v6, v4
	v_fma_f32 v7, -v3, v5, v6
	v_fmac_f32_e32 v5, v7, v4
	v_fma_f32 v3, -v3, v5, v6
	v_div_fmas_f32 v3, v3, v4, v5
	v_div_fixup_f32 v1, v3, v1, 1.0
	v_mov_b32_e32 v3, v0
.LBB334_282:                            ; =>This Inner Loop Header: Depth=1
	ds_read_b32 v4, v2
	v_add_nc_u32_e32 v3, 0x80, v3
	v_cmp_le_i32_e32 vcc_lo, s4, v3
	s_or_b32 s2, vcc_lo, s2
	s_waitcnt lgkmcnt(0)
	v_mul_f32_e32 v4, v1, v4
	ds_write_b32 v2, v4
	v_add_nc_u32_e32 v2, 0x200, v2
	s_andn2_b32 exec_lo, exec_lo, s2
	s_cbranch_execnz .LBB334_282
.LBB334_283:
	s_or_b32 exec_lo, exec_lo, s1
	v_mov_b32_e32 v28, 0
	v_mov_b32_e32 v29, 0
	;; [unrolled: 1-line block ×4, first 2 shown]
	s_waitcnt lgkmcnt(0)
	s_barrier
	buffer_gl0_inv
	s_and_saveexec_b32 s1, s0
	s_cbranch_execz .LBB334_535
; %bb.284:
	s_load_dword s5, s[18:19], 0x0
	v_and_b32_e32 v2, 0xf8, v9
	v_and_b32_e32 v1, 8, v9
	v_lshlrev_b32_e32 v4, 4, v23
	s_ashr_i32 s0, s14, 31
	s_add_u32 s2, s26, s14
	v_lshlrev_b32_e32 v3, 5, v22
	s_addc_u32 s0, s27, s0
	v_add_co_u32 v11, s2, s2, v2
	v_or3_b32 v30, v4, v1, 7
	v_and_b32_e32 v1, 0x7c, v13
	v_add_co_ci_u32_e64 v12, null, s0, 0, s2
	s_lshl_b64 s[2:3], s[24:25], 2
	s_mov_b32 s4, s13
	s_add_i32 s13, s12, -1
	v_lshl_or_b32 v3, v23, 6, v3
	s_add_u32 s0, s22, s2
	s_addc_u32 s2, s23, s3
	v_add_co_u32 v13, s0, s0, v1
	v_mov_b32_e32 v10, 0
	v_add_nc_u32_e32 v31, 0xa0, v3
	v_add_co_ci_u32_e64 v14, null, s2, 0, s0
	v_mov_b32_e32 v32, 0x80
	v_mov_b32_e32 v33, 0xffff
	;; [unrolled: 1-line block ×10, first 2 shown]
	s_mov_b32 s2, -1
	s_mov_b32 s3, 0xffffff
	s_mov_b32 s14, 0
	s_branch .LBB334_286
.LBB334_285:                            ;   in Loop: Header=BB334_286 Depth=1
	s_or_b32 exec_lo, exec_lo, s0
	v_bfe_u32 v46, v5, 16, 1
	v_bfe_u32 v47, v6, 16, 1
	v_or_b32_e32 v48, 0x400000, v5
	v_cmp_u_f32_e32 vcc_lo, v5, v5
	v_or_b32_e32 v49, 0x400000, v6
	v_add3_u32 v46, v46, v5, 0x7fff
	v_bfe_u32 v50, v7, 16, 1
	v_add3_u32 v47, v47, v6, 0x7fff
	v_bfe_u32 v51, v8, 16, 1
	v_lshlrev_b32_e32 v19, 16, v19
	v_cndmask_b32_e32 v5, v46, v48, vcc_lo
	v_cmp_u_f32_e32 vcc_lo, v6, v6
	v_add3_u32 v46, v50, v7, 0x7fff
	v_add3_u32 v48, v51, v8, 0x7fff
	v_bfe_u32 v50, v1, 16, 1
	v_and_b32_e32 v5, 0xffff0000, v5
	v_cndmask_b32_e32 v6, v47, v49, vcc_lo
	v_or_b32_e32 v47, 0x400000, v7
	v_cmp_u_f32_e32 vcc_lo, v7, v7
	v_or_b32_e32 v49, 0x400000, v8
	v_or_b32_e32 v51, 0x400000, v4
	v_lshlrev_b32_e32 v20, 16, v20
	v_lshlrev_b32_e32 v62, 16, v62
	v_cndmask_b32_e32 v7, v46, v47, vcc_lo
	v_cmp_u_f32_e32 vcc_lo, v8, v8
	v_bfe_u32 v46, v2, 16, 1
	v_add3_u32 v47, v50, v1, 0x7fff
	v_bfe_u32 v50, v3, 16, 1
	v_lshlrev_b32_e32 v58, 16, v58
	v_cndmask_b32_e32 v8, v48, v49, vcc_lo
	v_or_b32_e32 v48, 0x400000, v1
	v_cmp_u_f32_e32 vcc_lo, v1, v1
	v_add3_u32 v46, v46, v2, 0x7fff
	v_or_b32_e32 v49, 0x400000, v2
	v_and_b32_e32 v1, 0xffff0000, v6
	v_lshlrev_b32_e32 v6, 16, v66
	v_cndmask_b32_e32 v47, v47, v48, vcc_lo
	v_cmp_u_f32_e32 vcc_lo, v2, v2
	v_add3_u32 v2, v50, v3, 0x7fff
	v_bfe_u32 v48, v4, 16, 1
	v_or_b32_e32 v50, 0x400000, v3
	v_mul_f32_e32 v6, v1, v6
	v_cndmask_b32_e32 v46, v46, v49, vcc_lo
	v_lshlrev_b32_e32 v49, 16, v65
	v_cmp_u_f32_e32 vcc_lo, v3, v3
	v_add3_u32 v48, v48, v4, 0x7fff
	v_bfe_u32 v3, v6, 16, 1
	v_lshlrev_b32_e32 v45, 16, v45
	v_mul_f32_e32 v49, v5, v49
	v_cndmask_b32_e32 v50, v2, v50, vcc_lo
	v_cmp_u_f32_e32 vcc_lo, v4, v4
	v_and_b32_e32 v2, 0xffff0000, v8
	v_lshlrev_b32_e32 v8, 16, v63
	v_add3_u32 v3, v3, v6, 0x7fff
	v_or_b32_e32 v52, 0x400000, v49
	v_cndmask_b32_e32 v4, v48, v51, vcc_lo
	v_bfe_u32 v48, v49, 16, 1
	v_or_b32_e32 v51, 0x400000, v6
	v_mul_f32_e32 v63, v2, v8
	v_and_b32_e32 v8, 0xffff0000, v7
	v_lshlrev_b32_e32 v7, 16, v64
	v_cmp_u_f32_e32 vcc_lo, v6, v6
	v_add3_u32 v48, v48, v49, 0x7fff
	v_and_b32_e32 v6, 0xffff0000, v47
	v_or_b32_e32 v47, 0x400000, v63
	v_mul_f32_e32 v7, v8, v7
	v_cndmask_b32_e32 v51, v3, v51, vcc_lo
	v_cmp_u_f32_e32 vcc_lo, v49, v49
	v_bfe_u32 v49, v63, 16, 1
	v_and_b32_e32 v3, 0xffff0000, v46
	v_mul_f32_e32 v20, v6, v20
	v_and_b32_e32 v4, 0xffff0000, v4
	v_cndmask_b32_e32 v48, v48, v52, vcc_lo
	v_add3_u32 v46, v49, v63, 0x7fff
	v_bfe_u32 v49, v7, 16, 1
	v_mul_f32_e32 v19, v3, v19
	v_cmp_u_f32_e32 vcc_lo, v63, v63
	v_bfe_u32 v63, v20, 16, 1
	v_mul_f32_e32 v62, v4, v62
	v_and_b32_e32 v48, 0xffff0000, v48
	v_bfe_u32 v52, v19, 16, 1
	v_cndmask_b32_e32 v46, v46, v47, vcc_lo
	v_add3_u32 v47, v49, v7, 0x7fff
	v_or_b32_e32 v49, 0x400000, v7
	v_cmp_u_f32_e32 vcc_lo, v7, v7
	v_and_b32_e32 v7, 0xffff0000, v50
	v_lshlrev_b32_e32 v50, 16, v61
	v_add3_u32 v63, v63, v20, 0x7fff
	v_or_b32_e32 v61, 0x400000, v20
	v_cndmask_b32_e32 v47, v47, v49, vcc_lo
	v_add3_u32 v49, v52, v19, 0x7fff
	v_or_b32_e32 v52, 0x400000, v19
	v_cmp_u_f32_e32 vcc_lo, v19, v19
	v_bfe_u32 v64, v62, 16, 1
	v_and_b32_e32 v47, 0xffff0000, v47
	v_and_b32_e32 v46, 0xffff0000, v46
	;; [unrolled: 1-line block ×3, first 2 shown]
	v_cndmask_b32_e32 v19, v49, v52, vcc_lo
	v_mul_f32_e32 v49, v7, v50
	v_cmp_u_f32_e32 vcc_lo, v20, v20
	v_add3_u32 v50, v64, v62, 0x7fff
	v_or_b32_e32 v52, 0x400000, v62
	v_add_f32_e32 v46, v47, v46
	v_lshlrev_b32_e32 v47, 16, v60
	v_cndmask_b32_e32 v20, v63, v61, vcc_lo
	v_bfe_u32 v61, v49, 16, 1
	v_cmp_u_f32_e32 vcc_lo, v62, v62
	v_add_f32_e32 v48, v48, v51
	v_and_b32_e32 v19, 0xffff0000, v19
	v_and_b32_e32 v20, 0xffff0000, v20
	v_lshlrev_b32_e32 v51, 16, v59
	v_cndmask_b32_e32 v50, v50, v52, vcc_lo
	v_add3_u32 v52, v61, v49, 0x7fff
	v_or_b32_e32 v61, 0x400000, v49
	v_cmp_u_f32_e32 vcc_lo, v49, v49
	v_mul_f32_e32 v47, v1, v47
	v_add_f32_e32 v46, v46, v48
	v_add_f32_e32 v19, v20, v19
	v_mul_f32_e32 v48, v5, v51
	v_cndmask_b32_e32 v49, v52, v61, vcc_lo
	v_bfe_u32 v51, v47, 16, 1
	v_cmp_u_f32_e32 vcc_lo, v47, v47
	v_add_f32_e32 v19, v19, v46
	v_bfe_u32 v46, v48, 16, 1
	v_and_b32_e32 v20, 0xffff0000, v49
	v_and_b32_e32 v49, 0xffff0000, v50
	v_lshlrev_b32_e32 v50, 16, v56
	v_or_b32_e32 v52, 0x400000, v48
	v_add3_u32 v46, v46, v48, 0x7fff
	v_mul_f32_e32 v45, v1, v45
	v_add_f32_e32 v20, v20, v49
	v_mul_f32_e32 v49, v2, v50
	v_add3_u32 v50, v51, v47, 0x7fff
	v_or_b32_e32 v51, 0x400000, v47
	v_lshlrev_b32_e32 v44, 16, v44
	v_lshlrev_b32_e32 v41, 16, v41
	v_bfe_u32 v56, v49, 16, 1
	v_lshlrev_b32_e32 v43, 16, v43
	v_cndmask_b32_e32 v47, v50, v51, vcc_lo
	v_cmp_u_f32_e32 vcc_lo, v48, v48
	v_mul_f32_e32 v48, v8, v58
	v_add3_u32 v50, v56, v49, 0x7fff
	v_or_b32_e32 v51, 0x400000, v49
	v_and_b32_e32 v47, 0xffff0000, v47
	v_cndmask_b32_e32 v46, v46, v52, vcc_lo
	v_lshlrev_b32_e32 v52, 16, v53
	v_cmp_u_f32_e32 vcc_lo, v49, v49
	v_lshlrev_b32_e32 v53, 16, v54
	v_bfe_u32 v54, v48, 16, 1
	v_and_b32_e32 v46, 0xffff0000, v46
	v_mul_f32_e32 v44, v5, v44
	v_cndmask_b32_e32 v49, v50, v51, vcc_lo
	v_mul_f32_e32 v50, v3, v52
	v_mul_f32_e32 v51, v6, v53
	v_add3_u32 v52, v54, v48, 0x7fff
	v_or_b32_e32 v53, 0x400000, v48
	v_lshlrev_b32_e32 v54, 16, v57
	v_bfe_u32 v56, v50, 16, 1
	v_cmp_u_f32_e32 vcc_lo, v48, v48
	v_bfe_u32 v57, v51, 16, 1
	v_and_b32_e32 v49, 0xffff0000, v49
	v_add_f32_e32 v46, v46, v47
	v_mul_f32_e32 v41, v2, v41
	v_cndmask_b32_e32 v48, v52, v53, vcc_lo
	v_mul_f32_e32 v52, v4, v54
	v_add3_u32 v53, v56, v50, 0x7fff
	v_or_b32_e32 v54, 0x400000, v50
	v_cmp_u_f32_e32 vcc_lo, v50, v50
	v_add3_u32 v56, v57, v51, 0x7fff
	v_or_b32_e32 v57, 0x400000, v51
	v_bfe_u32 v58, v52, 16, 1
	v_and_b32_e32 v48, 0xffff0000, v48
	v_cndmask_b32_e32 v50, v53, v54, vcc_lo
	v_lshlrev_b32_e32 v53, 16, v55
	v_cmp_u_f32_e32 vcc_lo, v51, v51
	v_add3_u32 v54, v58, v52, 0x7fff
	v_or_b32_e32 v55, 0x400000, v52
	v_add_f32_e32 v47, v48, v49
	v_mul_f32_e32 v53, v7, v53
	v_cndmask_b32_e32 v51, v56, v57, vcc_lo
	v_cmp_u_f32_e32 vcc_lo, v52, v52
	v_and_b32_e32 v49, 0xffff0000, v50
	v_add_f32_e32 v46, v47, v46
	v_lshlrev_b32_e32 v39, 16, v39
	v_and_b32_e32 v48, 0xffff0000, v51
	v_cndmask_b32_e32 v52, v54, v55, vcc_lo
	v_bfe_u32 v54, v53, 16, 1
	v_or_b32_e32 v51, 0x400000, v53
	v_cmp_u_f32_e32 vcc_lo, v53, v53
	v_add_f32_e32 v47, v48, v49
	v_bfe_u32 v49, v45, 16, 1
	v_add3_u32 v50, v54, v53, 0x7fff
	v_mul_f32_e32 v43, v8, v43
	v_mul_f32_e32 v39, v3, v39
	v_add_f32_e32 v46, v47, v46
	v_lshlrev_b32_e32 v38, 16, v38
	v_cndmask_b32_e32 v48, v50, v51, vcc_lo
	v_bfe_u32 v51, v44, 16, 1
	v_cmp_u_f32_e32 vcc_lo, v45, v45
	v_and_b32_e32 v50, 0xffff0000, v52
	v_or_b32_e32 v52, 0x400000, v41
	v_and_b32_e32 v47, 0xffff0000, v48
	v_add3_u32 v48, v49, v45, 0x7fff
	v_or_b32_e32 v49, 0x400000, v45
	v_lshlrev_b32_e32 v42, 16, v42
	v_mul_f32_e32 v38, v6, v38
	v_lshlrev_b32_e32 v40, 16, v40
	v_lshlrev_b32_e32 v16, 16, v16
	v_cndmask_b32_e32 v45, v48, v49, vcc_lo
	v_bfe_u32 v48, v41, 16, 1
	v_add3_u32 v49, v51, v44, 0x7fff
	v_or_b32_e32 v51, 0x400000, v44
	v_cmp_u_f32_e32 vcc_lo, v44, v44
	v_mul_f32_e32 v42, v4, v42
	v_add3_u32 v48, v48, v41, 0x7fff
	v_mul_f32_e32 v40, v7, v40
	v_and_b32_e32 v45, 0xffff0000, v45
	v_cndmask_b32_e32 v44, v49, v51, vcc_lo
	v_bfe_u32 v49, v43, 16, 1
	v_cmp_u_f32_e32 vcc_lo, v41, v41
	v_or_b32_e32 v51, 0x400000, v43
	v_mul_f32_e32 v2, v2, v16
	v_and_b32_e32 v44, 0xffff0000, v44
	v_add3_u32 v49, v49, v43, 0x7fff
	v_cndmask_b32_e32 v41, v48, v52, vcc_lo
	v_bfe_u32 v48, v39, 16, 1
	v_cmp_u_f32_e32 vcc_lo, v43, v43
	v_or_b32_e32 v52, 0x400000, v39
	v_add_f32_e32 v44, v44, v45
	v_and_b32_e32 v41, 0xffff0000, v41
	v_add3_u32 v48, v48, v39, 0x7fff
	v_cndmask_b32_e32 v43, v49, v51, vcc_lo
	v_bfe_u32 v49, v38, 16, 1
	v_cmp_u_f32_e32 vcc_lo, v39, v39
	v_bfe_u32 v51, v42, 16, 1
	v_lshlrev_b32_e32 v15, 16, v15
	v_and_b32_e32 v43, 0xffff0000, v43
	v_lshlrev_b32_e32 v9, 16, v9
	v_cndmask_b32_e32 v39, v48, v52, vcc_lo
	v_add3_u32 v48, v49, v38, 0x7fff
	v_or_b32_e32 v49, 0x400000, v38
	v_cmp_u_f32_e32 vcc_lo, v38, v38
	v_add3_u32 v51, v51, v42, 0x7fff
	v_or_b32_e32 v52, 0x400000, v42
	v_add_f32_e32 v41, v43, v41
	v_and_b32_e32 v39, 0xffff0000, v39
	v_cndmask_b32_e32 v38, v48, v49, vcc_lo
	v_cmp_u_f32_e32 vcc_lo, v42, v42
	v_bfe_u32 v48, v40, 16, 1
	v_lshlrev_b32_e32 v43, 16, v68
	v_or_b32_e32 v49, 0x400000, v40
	v_and_b32_e32 v38, 0xffff0000, v38
	v_cndmask_b32_e32 v42, v51, v52, vcc_lo
	v_lshlrev_b32_e32 v51, 16, v69
	v_add3_u32 v48, v48, v40, 0x7fff
	v_cmp_u_f32_e32 vcc_lo, v40, v40
	v_add_f32_e32 v41, v41, v44
	v_add_f32_e32 v38, v38, v39
	v_mul_f32_e32 v5, v5, v51
	v_mul_f32_e32 v1, v1, v43
	v_lshlrev_b32_e32 v39, 16, v67
	v_cndmask_b32_e32 v40, v48, v49, vcc_lo
	v_mul_f32_e32 v6, v6, v15
	v_bfe_u32 v44, v5, 16, 1
	v_bfe_u32 v45, v1, 16, 1
	v_mul_f32_e32 v8, v8, v39
	v_cmp_u_f32_e32 vcc_lo, v5, v5
	v_mul_f32_e32 v3, v3, v9
	v_add3_u32 v43, v44, v5, 0x7fff
	v_or_b32_e32 v44, 0x400000, v5
	v_add3_u32 v39, v45, v1, 0x7fff
	v_lshlrev_b32_e32 v9, 16, v18
	v_lshlrev_b32_e32 v17, 16, v17
	v_and_b32_e32 v40, 0xffff0000, v40
	v_cndmask_b32_e32 v5, v43, v44, vcc_lo
	v_or_b32_e32 v43, 0x400000, v1
	v_bfe_u32 v44, v8, 16, 1
	v_cmp_u_f32_e32 vcc_lo, v1, v1
	v_mul_f32_e32 v7, v7, v9
	v_mul_f32_e32 v4, v4, v17
	v_or_b32_e32 v9, 0x400000, v6
	v_add3_u32 v16, v44, v8, 0x7fff
	v_cndmask_b32_e32 v1, v39, v43, vcc_lo
	v_or_b32_e32 v39, 0x400000, v8
	v_bfe_u32 v43, v2, 16, 1
	v_cmp_u_f32_e32 vcc_lo, v8, v8
	v_or_b32_e32 v17, 0x400000, v3
	v_bfe_u32 v18, v7, 16, 1
	v_and_b32_e32 v1, 0xffff0000, v1
	v_add3_u32 v15, v43, v2, 0x7fff
	v_cndmask_b32_e32 v8, v16, v39, vcc_lo
	v_or_b32_e32 v16, 0x400000, v2
	v_bfe_u32 v39, v6, 16, 1
	v_cmp_u_f32_e32 vcc_lo, v2, v2
	v_and_b32_e32 v5, 0xffff0000, v5
	v_and_b32_e32 v8, 0xffff0000, v8
	v_add_nc_u32_e32 v37, 4, v37
	v_add_co_u32 v13, s0, v13, 16
	v_cndmask_b32_e32 v2, v15, v16, vcc_lo
	v_bfe_u32 v15, v3, 16, 1
	v_add3_u32 v16, v39, v6, 0x7fff
	v_cmp_u_f32_e32 vcc_lo, v6, v6
	v_bfe_u32 v39, v4, 16, 1
	v_and_b32_e32 v2, 0xffff0000, v2
	v_add3_u32 v15, v15, v3, 0x7fff
	v_add_f32_e32 v1, v5, v1
	v_cndmask_b32_e32 v6, v16, v9, vcc_lo
	v_cmp_u_f32_e32 vcc_lo, v3, v3
	v_or_b32_e32 v16, 0x400000, v4
	v_add3_u32 v9, v18, v7, 0x7fff
	v_add_f32_e32 v2, v8, v2
	v_and_b32_e32 v5, 0xffff0000, v6
	v_cndmask_b32_e32 v3, v15, v17, vcc_lo
	v_add3_u32 v15, v39, v4, 0x7fff
	v_cmp_u_f32_e32 vcc_lo, v4, v4
	v_or_b32_e32 v17, 0x400000, v7
	v_add_f32_e32 v1, v2, v1
	v_and_b32_e32 v3, 0xffff0000, v3
	v_add_nc_u32_e32 v30, 64, v30
	v_cndmask_b32_e32 v4, v15, v16, vcc_lo
	v_cmp_u_f32_e32 vcc_lo, v7, v7
	v_and_b32_e32 v7, 0xffff0000, v42
	v_add_f32_e32 v2, v5, v3
	v_add_f32_e32 v5, v47, v50
	v_and_b32_e32 v3, 0xffff0000, v4
	v_cndmask_b32_e32 v6, v9, v17, vcc_lo
	v_add_f32_e32 v7, v40, v7
	v_add_f32_e32 v1, v2, v1
	v_cmp_le_i32_e32 vcc_lo, s12, v37
	v_add_nc_u32_e32 v31, 0x100, v31
	v_and_b32_e32 v4, 0xffff0000, v6
	v_add_f32_e32 v6, v38, v41
	v_add_co_ci_u32_e64 v14, null, 0, v14, s0
	s_or_b32 s14, vcc_lo, s14
	v_add_f32_e32 v2, v4, v3
	v_add_f32_e32 v3, v20, v19
	;; [unrolled: 1-line block ×9, first 2 shown]
	s_andn2_b32 exec_lo, exec_lo, s14
	s_cbranch_execz .LBB334_534
.LBB334_286:                            ; =>This Inner Loop Header: Depth=1
	global_load_dword v1, v[13:14], off
	v_mov_b32_e32 v40, 0
	s_waitcnt vmcnt(0)
	v_mad_i64_i32 v[15:16], null, v1, s4, v[11:12]
	global_load_dwordx2 v[17:18], v[15:16], off
	ds_read2_b64 v[5:8], v31 offset1:1
	ds_read2_b64 v[1:4], v31 offset0:2 offset1:3
	s_waitcnt vmcnt(0)
	v_cmp_ne_u16_sdwa s15, v17, v10 src0_sel:BYTE_0 src1_sel:DWORD
	s_and_saveexec_b32 s0, s15
	s_cbranch_execz .LBB334_292
; %bb.287:                              ;   in Loop: Header=BB334_286 Depth=1
	v_cmp_ne_u16_sdwa s16, v17, v32 src0_sel:BYTE_0 src1_sel:DWORD
	v_bfrev_b32_e32 v40, 1
	s_and_saveexec_b32 s15, s16
	s_cbranch_execz .LBB334_291
; %bb.288:                              ;   in Loop: Header=BB334_286 Depth=1
	v_and_b32_e32 v9, 0x7f, v17
	v_mov_b32_e32 v40, 0x7f800001
	s_mov_b32 s16, exec_lo
	v_cmpx_ne_u32_e32 0x7f, v9
	s_cbranch_execz .LBB334_290
; %bb.289:                              ;   in Loop: Header=BB334_286 Depth=1
	v_and_b32_e32 v19, 7, v17
	v_lshrrev_b32_e32 v20, 3, v9
	v_cmp_gt_u32_e32 vcc_lo, 8, v9
	v_ffbh_u32_e32 v19, v19
	v_min_u32_e32 v19, 32, v19
	v_subrev_nc_u32_e32 v38, 28, v19
	v_sub_nc_u32_e32 v19, 29, v19
	v_cndmask_b32_e32 v9, v20, v19, vcc_lo
	v_cndmask_b32_e32 v19, 0, v38, vcc_lo
	v_lshl_add_u32 v9, v9, 23, 0x3c000000
	v_lshlrev_b64 v[19:20], v19, v[17:18]
	v_lshlrev_b32_e32 v20, 24, v17
	v_lshlrev_b32_e32 v19, 20, v19
	v_and_b32_e32 v20, 0x80000000, v20
	v_and_b32_e32 v19, 0x700000, v19
	v_or3_b32 v40, v19, v20, v9
.LBB334_290:                            ;   in Loop: Header=BB334_286 Depth=1
	s_or_b32 exec_lo, exec_lo, s16
.LBB334_291:                            ;   in Loop: Header=BB334_286 Depth=1
	s_or_b32 exec_lo, exec_lo, s15
.LBB334_292:                            ;   in Loop: Header=BB334_286 Depth=1
	s_or_b32 exec_lo, exec_lo, s0
	v_cmp_ne_u16_sdwa s15, v17, v10 src0_sel:BYTE_1 src1_sel:DWORD
	v_mov_b32_e32 v39, 0
	v_mov_b32_e32 v38, 0
	s_and_saveexec_b32 s0, s15
	s_cbranch_execz .LBB334_300
; %bb.293:                              ;   in Loop: Header=BB334_286 Depth=1
	v_cmp_ne_u16_sdwa s16, v17, v32 src0_sel:BYTE_1 src1_sel:DWORD
	v_bfrev_b32_e32 v38, 1
	s_and_saveexec_b32 s15, s16
	s_cbranch_execz .LBB334_299
; %bb.294:                              ;   in Loop: Header=BB334_286 Depth=1
	v_and_b32_sdwa v9, v33, v17 dst_sel:DWORD dst_unused:UNUSED_PAD src0_sel:DWORD src1_sel:BYTE_1
	v_mov_b32_e32 v38, 0x7f800001
	s_mov_b32 s16, exec_lo
	v_and_b32_e32 v20, 0x7f, v9
	v_cmpx_ne_u32_e32 0x7f, v20
	s_cbranch_execz .LBB334_298
; %bb.295:                              ;   in Loop: Header=BB334_286 Depth=1
	v_and_b32_e32 v9, 7, v9
	v_lshrrev_b32_e32 v19, 3, v20
	s_mov_b32 s17, exec_lo
	v_cmpx_gt_u32_e32 8, v20
; %bb.296:                              ;   in Loop: Header=BB334_286 Depth=1
	v_ffbh_u32_e32 v19, v9
	v_min_u32_e32 v19, 32, v19
	v_subrev_nc_u32_e32 v20, 28, v19
	v_sub_nc_u32_e32 v19, 29, v19
	v_lshlrev_b64 v[41:42], v20, v[9:10]
	v_and_b32_e32 v9, 7, v41
; %bb.297:                              ;   in Loop: Header=BB334_286 Depth=1
	s_or_b32 exec_lo, exec_lo, s17
	v_lshlrev_b32_e32 v20, 16, v17
	v_lshlrev_b32_e32 v9, 20, v9
	v_lshl_add_u32 v19, v19, 23, 0x3c000000
	v_and_b32_e32 v20, 0x80000000, v20
	v_or3_b32 v38, v9, v20, v19
.LBB334_298:                            ;   in Loop: Header=BB334_286 Depth=1
	s_or_b32 exec_lo, exec_lo, s16
.LBB334_299:                            ;   in Loop: Header=BB334_286 Depth=1
	s_or_b32 exec_lo, exec_lo, s15
.LBB334_300:                            ;   in Loop: Header=BB334_286 Depth=1
	s_or_b32 exec_lo, exec_lo, s0
	v_and_b32_sdwa v9, v17, v34 dst_sel:DWORD dst_unused:UNUSED_PAD src0_sel:WORD_1 src1_sel:DWORD
	s_mov_b32 s0, exec_lo
	v_cmpx_ne_u16_e32 0, v9
	s_cbranch_execz .LBB334_308
; %bb.301:                              ;   in Loop: Header=BB334_286 Depth=1
	v_bfrev_b32_e32 v39, 1
	s_mov_b32 s15, exec_lo
	v_cmpx_ne_u16_e32 0x80, v9
	s_cbranch_execz .LBB334_307
; %bb.302:                              ;   in Loop: Header=BB334_286 Depth=1
	v_bfe_u32 v20, v17, 16, 7
	v_mov_b32_e32 v39, 0x7f800001
	s_mov_b32 s16, exec_lo
	v_cmpx_ne_u32_e32 0x7f, v20
	s_cbranch_execz .LBB334_306
; %bb.303:                              ;   in Loop: Header=BB334_286 Depth=1
	v_and_b32_sdwa v9, v17, v35 dst_sel:DWORD dst_unused:UNUSED_PAD src0_sel:WORD_1 src1_sel:DWORD
	v_lshrrev_b32_e32 v19, 3, v20
	s_mov_b32 s17, exec_lo
	v_cmpx_gt_u32_e32 8, v20
; %bb.304:                              ;   in Loop: Header=BB334_286 Depth=1
	v_ffbh_u32_e32 v19, v9
	v_min_u32_e32 v19, 32, v19
	v_subrev_nc_u32_e32 v20, 28, v19
	v_sub_nc_u32_e32 v19, 29, v19
	v_lshlrev_b64 v[41:42], v20, v[9:10]
	v_and_b32_e32 v9, 7, v41
; %bb.305:                              ;   in Loop: Header=BB334_286 Depth=1
	s_or_b32 exec_lo, exec_lo, s17
	v_lshlrev_b32_sdwa v20, v36, v17 dst_sel:DWORD dst_unused:UNUSED_PAD src0_sel:DWORD src1_sel:WORD_1
	v_lshlrev_b32_e32 v9, 20, v9
	v_lshl_add_u32 v19, v19, 23, 0x3c000000
	v_and_b32_e32 v20, 0x80000000, v20
	v_or3_b32 v39, v9, v20, v19
.LBB334_306:                            ;   in Loop: Header=BB334_286 Depth=1
	s_or_b32 exec_lo, exec_lo, s16
.LBB334_307:                            ;   in Loop: Header=BB334_286 Depth=1
	s_or_b32 exec_lo, exec_lo, s15
.LBB334_308:                            ;   in Loop: Header=BB334_286 Depth=1
	s_or_b32 exec_lo, exec_lo, s0
	v_mov_b32_e32 v41, 0
	v_mov_b32_e32 v42, 0
	s_mov_b32 s0, exec_lo
	v_cmpx_lt_u32_e32 0xffffff, v17
	s_cbranch_execz .LBB334_316
; %bb.309:                              ;   in Loop: Header=BB334_286 Depth=1
	v_cmp_ne_u32_sdwa s16, v17, v32 src0_sel:BYTE_3 src1_sel:DWORD
	v_bfrev_b32_e32 v42, 1
	s_and_saveexec_b32 s15, s16
	s_cbranch_execz .LBB334_315
; %bb.310:                              ;   in Loop: Header=BB334_286 Depth=1
	v_bfe_u32 v20, v17, 24, 7
	v_mov_b32_e32 v42, 0x7f800001
	s_mov_b32 s16, exec_lo
	v_cmpx_ne_u32_e32 0x7f, v20
	s_cbranch_execz .LBB334_314
; %bb.311:                              ;   in Loop: Header=BB334_286 Depth=1
	v_and_b32_sdwa v9, v17, v35 dst_sel:DWORD dst_unused:UNUSED_PAD src0_sel:BYTE_3 src1_sel:DWORD
	v_lshrrev_b32_e32 v19, 3, v20
	s_mov_b32 s17, exec_lo
	v_cmpx_gt_u32_e32 8, v20
; %bb.312:                              ;   in Loop: Header=BB334_286 Depth=1
	v_ffbh_u32_e32 v19, v9
	v_min_u32_e32 v19, 32, v19
	v_subrev_nc_u32_e32 v20, 28, v19
	v_sub_nc_u32_e32 v19, 29, v19
	v_lshlrev_b64 v[42:43], v20, v[9:10]
	v_and_b32_e32 v9, 7, v42
; %bb.313:                              ;   in Loop: Header=BB334_286 Depth=1
	s_or_b32 exec_lo, exec_lo, s17
	v_lshlrev_b32_sdwa v20, v36, v17 dst_sel:DWORD dst_unused:UNUSED_PAD src0_sel:DWORD src1_sel:BYTE_3
	v_lshlrev_b32_e32 v9, 20, v9
	v_lshl_add_u32 v19, v19, 23, 0x3c000000
	v_and_b32_e32 v20, 0x80000000, v20
	v_or3_b32 v42, v9, v20, v19
.LBB334_314:                            ;   in Loop: Header=BB334_286 Depth=1
	s_or_b32 exec_lo, exec_lo, s16
.LBB334_315:                            ;   in Loop: Header=BB334_286 Depth=1
	s_or_b32 exec_lo, exec_lo, s15
.LBB334_316:                            ;   in Loop: Header=BB334_286 Depth=1
	s_or_b32 exec_lo, exec_lo, s0
	v_mov_b32_e32 v9, v18
	v_cmp_ne_u16_sdwa s15, v18, v10 src0_sel:BYTE_0 src1_sel:DWORD
	s_and_saveexec_b32 s0, s15
	s_cbranch_execz .LBB334_322
; %bb.317:                              ;   in Loop: Header=BB334_286 Depth=1
	v_cmp_ne_u16_sdwa s16, v18, v32 src0_sel:BYTE_0 src1_sel:DWORD
	v_bfrev_b32_e32 v41, 1
	s_and_saveexec_b32 s15, s16
	s_cbranch_execz .LBB334_321
; %bb.318:                              ;   in Loop: Header=BB334_286 Depth=1
	v_and_b32_e32 v19, 0x7f, v18
	v_mov_b32_e32 v41, 0x7f800001
	s_mov_b32 s16, exec_lo
	v_cmpx_ne_u32_e32 0x7f, v19
	s_cbranch_execz .LBB334_320
; %bb.319:                              ;   in Loop: Header=BB334_286 Depth=1
	v_and_b32_e32 v20, 7, v18
	v_cmp_gt_u32_e32 vcc_lo, 8, v19
	v_lshrrev_b32_e32 v41, 3, v19
	v_ffbh_u32_e32 v20, v20
	v_min_u32_e32 v20, 32, v20
	v_subrev_nc_u32_e32 v43, 28, v20
	v_sub_nc_u32_e32 v20, 29, v20
	v_cndmask_b32_e32 v19, 0, v43, vcc_lo
	v_cndmask_b32_e32 v41, v41, v20, vcc_lo
	v_lshlrev_b64 v[19:20], v19, v[9:10]
	v_lshlrev_b32_e32 v20, 24, v9
	v_lshl_add_u32 v41, v41, 23, 0x3c000000
	v_lshlrev_b32_e32 v19, 20, v19
	v_and_b32_e32 v20, 0x80000000, v20
	v_and_b32_e32 v19, 0x700000, v19
	v_or3_b32 v41, v19, v20, v41
.LBB334_320:                            ;   in Loop: Header=BB334_286 Depth=1
	s_or_b32 exec_lo, exec_lo, s16
.LBB334_321:                            ;   in Loop: Header=BB334_286 Depth=1
	s_or_b32 exec_lo, exec_lo, s15
.LBB334_322:                            ;   in Loop: Header=BB334_286 Depth=1
	s_or_b32 exec_lo, exec_lo, s0
	v_cmp_ne_u16_sdwa s15, v9, v10 src0_sel:BYTE_1 src1_sel:DWORD
	v_mov_b32_e32 v43, 0
	v_mov_b32_e32 v19, 0
	s_and_saveexec_b32 s0, s15
	s_cbranch_execz .LBB334_330
; %bb.323:                              ;   in Loop: Header=BB334_286 Depth=1
	v_cmp_ne_u16_sdwa s16, v9, v32 src0_sel:BYTE_1 src1_sel:DWORD
	v_bfrev_b32_e32 v19, 1
	s_and_saveexec_b32 s15, s16
	s_cbranch_execz .LBB334_329
; %bb.324:                              ;   in Loop: Header=BB334_286 Depth=1
	v_and_b32_sdwa v20, v33, v9 dst_sel:DWORD dst_unused:UNUSED_PAD src0_sel:DWORD src1_sel:BYTE_1
	v_mov_b32_e32 v19, 0x7f800001
	s_mov_b32 s16, exec_lo
	v_and_b32_e32 v45, 0x7f, v20
	v_cmpx_ne_u32_e32 0x7f, v45
	s_cbranch_execz .LBB334_328
; %bb.325:                              ;   in Loop: Header=BB334_286 Depth=1
	v_and_b32_e32 v19, 7, v20
	v_mov_b32_e32 v20, v10
	v_lshrrev_b32_e32 v44, 3, v45
	s_mov_b32 s17, exec_lo
	v_cmpx_gt_u32_e32 8, v45
; %bb.326:                              ;   in Loop: Header=BB334_286 Depth=1
	v_ffbh_u32_e32 v44, v19
	v_min_u32_e32 v44, 32, v44
	v_subrev_nc_u32_e32 v45, 28, v44
	v_sub_nc_u32_e32 v44, 29, v44
	v_lshlrev_b64 v[19:20], v45, v[19:20]
	v_and_b32_e32 v19, 7, v19
; %bb.327:                              ;   in Loop: Header=BB334_286 Depth=1
	s_or_b32 exec_lo, exec_lo, s17
	v_lshlrev_b32_e32 v9, 16, v9
	v_lshlrev_b32_e32 v19, 20, v19
	v_lshl_add_u32 v20, v44, 23, 0x3c000000
	v_and_b32_e32 v9, 0x80000000, v9
	v_or3_b32 v19, v19, v9, v20
.LBB334_328:                            ;   in Loop: Header=BB334_286 Depth=1
	s_or_b32 exec_lo, exec_lo, s16
.LBB334_329:                            ;   in Loop: Header=BB334_286 Depth=1
	s_or_b32 exec_lo, exec_lo, s15
.LBB334_330:                            ;   in Loop: Header=BB334_286 Depth=1
	s_or_b32 exec_lo, exec_lo, s0
	v_and_b32_sdwa v9, v18, v34 dst_sel:DWORD dst_unused:UNUSED_PAD src0_sel:WORD_1 src1_sel:DWORD
	s_mov_b32 s0, exec_lo
	v_cmpx_ne_u16_e32 0, v9
	s_cbranch_execz .LBB334_338
; %bb.331:                              ;   in Loop: Header=BB334_286 Depth=1
	v_bfrev_b32_e32 v43, 1
	s_mov_b32 s15, exec_lo
	v_cmpx_ne_u16_e32 0x80, v9
	s_cbranch_execz .LBB334_337
; %bb.332:                              ;   in Loop: Header=BB334_286 Depth=1
	v_bfe_u32 v44, v18, 16, 7
	v_mov_b32_e32 v43, 0x7f800001
	s_mov_b32 s16, exec_lo
	v_cmpx_ne_u32_e32 0x7f, v44
	s_cbranch_execz .LBB334_336
; %bb.333:                              ;   in Loop: Header=BB334_286 Depth=1
	v_and_b32_sdwa v9, v18, v35 dst_sel:DWORD dst_unused:UNUSED_PAD src0_sel:WORD_1 src1_sel:DWORD
	v_lshrrev_b32_e32 v20, 3, v44
	s_mov_b32 s17, exec_lo
	v_cmpx_gt_u32_e32 8, v44
; %bb.334:                              ;   in Loop: Header=BB334_286 Depth=1
	v_ffbh_u32_e32 v20, v9
	v_min_u32_e32 v20, 32, v20
	v_subrev_nc_u32_e32 v43, 28, v20
	v_sub_nc_u32_e32 v20, 29, v20
	v_lshlrev_b64 v[43:44], v43, v[9:10]
	v_and_b32_e32 v9, 7, v43
; %bb.335:                              ;   in Loop: Header=BB334_286 Depth=1
	s_or_b32 exec_lo, exec_lo, s17
	v_lshlrev_b32_sdwa v43, v36, v18 dst_sel:DWORD dst_unused:UNUSED_PAD src0_sel:DWORD src1_sel:WORD_1
	v_lshlrev_b32_e32 v9, 20, v9
	v_lshl_add_u32 v20, v20, 23, 0x3c000000
	v_and_b32_e32 v43, 0x80000000, v43
	v_or3_b32 v43, v9, v43, v20
.LBB334_336:                            ;   in Loop: Header=BB334_286 Depth=1
	s_or_b32 exec_lo, exec_lo, s16
.LBB334_337:                            ;   in Loop: Header=BB334_286 Depth=1
	s_or_b32 exec_lo, exec_lo, s15
.LBB334_338:                            ;   in Loop: Header=BB334_286 Depth=1
	s_or_b32 exec_lo, exec_lo, s0
	v_mov_b32_e32 v9, 0
	s_mov_b32 s0, exec_lo
	v_cmpx_lt_u64_e64 s[2:3], v[17:18]
	s_cbranch_execz .LBB334_346
; %bb.339:                              ;   in Loop: Header=BB334_286 Depth=1
	v_cmp_ne_u32_sdwa s16, v18, v32 src0_sel:BYTE_3 src1_sel:DWORD
	v_bfrev_b32_e32 v9, 1
	s_and_saveexec_b32 s15, s16
	s_cbranch_execz .LBB334_345
; %bb.340:                              ;   in Loop: Header=BB334_286 Depth=1
	v_bfe_u32 v20, v18, 24, 7
	v_mov_b32_e32 v9, 0x7f800001
	s_mov_b32 s16, exec_lo
	v_cmpx_ne_u32_e32 0x7f, v20
	s_cbranch_execz .LBB334_344
; %bb.341:                              ;   in Loop: Header=BB334_286 Depth=1
	v_and_b32_sdwa v9, v18, v35 dst_sel:DWORD dst_unused:UNUSED_PAD src0_sel:BYTE_3 src1_sel:DWORD
	v_lshrrev_b32_e32 v17, 3, v20
	s_mov_b32 s17, exec_lo
	v_cmpx_gt_u32_e32 8, v20
; %bb.342:                              ;   in Loop: Header=BB334_286 Depth=1
	v_ffbh_u32_e32 v17, v9
	v_min_u32_e32 v17, 32, v17
	v_subrev_nc_u32_e32 v20, 28, v17
	v_sub_nc_u32_e32 v17, 29, v17
	v_lshlrev_b64 v[44:45], v20, v[9:10]
	v_and_b32_e32 v9, 7, v44
; %bb.343:                              ;   in Loop: Header=BB334_286 Depth=1
	s_or_b32 exec_lo, exec_lo, s17
	v_lshlrev_b32_sdwa v18, v36, v18 dst_sel:DWORD dst_unused:UNUSED_PAD src0_sel:DWORD src1_sel:BYTE_3
	v_lshlrev_b32_e32 v9, 20, v9
	v_lshl_add_u32 v17, v17, 23, 0x3c000000
	v_and_b32_e32 v18, 0x80000000, v18
	v_or3_b32 v9, v9, v18, v17
.LBB334_344:                            ;   in Loop: Header=BB334_286 Depth=1
	s_or_b32 exec_lo, exec_lo, s16
.LBB334_345:                            ;   in Loop: Header=BB334_286 Depth=1
	s_or_b32 exec_lo, exec_lo, s15
.LBB334_346:                            ;   in Loop: Header=BB334_286 Depth=1
	s_or_b32 exec_lo, exec_lo, s0
	s_waitcnt lgkmcnt(0)
	v_mul_f32_e32 v17, s5, v19
	v_mul_f32_e32 v18, s5, v41
	;; [unrolled: 1-line block ×5, first 2 shown]
	v_bfe_u32 v20, v17, 16, 1
	v_or_b32_e32 v39, 0x400000, v17
	v_bfe_u32 v41, v18, 16, 1
	v_cmp_u_f32_e64 s0, v17, v17
	v_or_b32_e32 v44, 0x400000, v18
	v_add3_u32 v20, v20, v17, 0x7fff
	v_bfe_u32 v45, v19, 16, 1
	v_add3_u32 v41, v41, v18, 0x7fff
	v_or_b32_e32 v47, 0x400000, v19
	v_add_nc_u32_e32 v46, -7, v30
	v_cndmask_b32_e64 v17, v20, v39, s0
	v_cmp_u_f32_e64 s0, v18, v18
	v_bfe_u32 v20, v42, 16, 1
	v_add3_u32 v45, v45, v19, 0x7fff
	v_cmp_eq_u32_e32 vcc_lo, s13, v37
	v_lshrrev_b32_e32 v39, 16, v17
	v_cndmask_b32_e64 v18, v41, v44, s0
	v_cmp_u_f32_e64 s0, v19, v19
	v_mul_f32_e32 v19, s5, v38
	v_add3_u32 v20, v20, v42, 0x7fff
	v_or_b32_e32 v44, 0x400000, v42
	v_lshrrev_b32_e32 v38, 16, v18
	v_cndmask_b32_e64 v17, v45, v47, s0
	v_cmp_u_f32_e64 s0, v42, v42
	v_or_b32_e32 v42, 0x400000, v19
	v_or_b32_e32 v47, 0x400000, v9
	v_add_nc_u32_e32 v52, -6, v30
	v_lshrrev_b32_e32 v41, 16, v17
	v_bfe_u32 v17, v19, 16, 1
	v_cndmask_b32_e64 v18, v20, v44, s0
	v_mul_f32_e32 v20, s5, v40
	v_mul_f32_e32 v40, s5, v43
	v_cmp_u_f32_e64 s0, v19, v19
	v_add3_u32 v17, v17, v19, 0x7fff
	v_bfe_u32 v19, v9, 16, 1
	v_bfe_u32 v43, v20, 16, 1
	v_bfe_u32 v44, v40, 16, 1
	v_or_b32_e32 v45, 0x400000, v40
	v_cndmask_b32_e64 v17, v17, v42, s0
	v_cmp_u_f32_e64 s0, v20, v20
	v_add3_u32 v42, v43, v20, 0x7fff
	v_or_b32_e32 v43, 0x400000, v20
	v_add3_u32 v44, v44, v40, 0x7fff
	v_add3_u32 v19, v19, v9, 0x7fff
	v_add_nc_u32_e32 v51, -5, v30
	v_add_nc_u32_e32 v50, -4, v30
	v_cndmask_b32_e64 v20, v42, v43, s0
	v_cmp_u_f32_e64 s0, v40, v40
	v_lshrrev_b32_e32 v43, 16, v18
	v_add_nc_u32_e32 v49, -3, v30
	v_add_nc_u32_e32 v48, -2, v30
	v_cndmask_b32_e64 v40, v44, v45, s0
	v_cmp_u_f32_e64 s0, v9, v9
	v_lshrrev_b32_e32 v45, 16, v17
	v_lshrrev_b32_e32 v44, 16, v20
	;; [unrolled: 1-line block ×3, first 2 shown]
	v_cndmask_b32_e64 v9, v19, v47, s0
	v_add_nc_u32_e32 v47, -1, v30
	v_lshrrev_b32_e32 v42, 16, v9
	s_and_saveexec_b32 s15, vcc_lo
	s_cbranch_execz .LBB334_348
; %bb.347:                              ;   in Loop: Header=BB334_286 Depth=1
	v_cmp_gt_i32_e64 s0, s11, v46
	v_cndmask_b32_e64 v44, 0, v44, s0
	v_cmp_gt_i32_e64 s0, s11, v52
	v_cndmask_b32_e64 v45, 0, v45, s0
	;; [unrolled: 2-line block ×8, first 2 shown]
.LBB334_348:                            ;   in Loop: Header=BB334_286 Depth=1
	s_or_b32 exec_lo, exec_lo, s15
	global_load_dwordx2 v[17:18], v[15:16], off offset:256
	v_mov_b32_e32 v54, 0
	v_mov_b32_e32 v55, 0
	s_waitcnt vmcnt(0)
	v_cmp_ne_u16_sdwa s0, v17, v10 src0_sel:BYTE_0 src1_sel:DWORD
	s_and_saveexec_b32 s15, s0
	s_cbranch_execz .LBB334_354
; %bb.349:                              ;   in Loop: Header=BB334_286 Depth=1
	v_cmp_ne_u16_sdwa s0, v17, v32 src0_sel:BYTE_0 src1_sel:DWORD
	v_bfrev_b32_e32 v55, 1
	s_and_saveexec_b32 s16, s0
	s_cbranch_execz .LBB334_353
; %bb.350:                              ;   in Loop: Header=BB334_286 Depth=1
	v_and_b32_e32 v9, 0x7f, v17
	v_mov_b32_e32 v55, 0x7f800001
	s_mov_b32 s17, exec_lo
	v_cmpx_ne_u32_e32 0x7f, v9
	s_cbranch_execz .LBB334_352
; %bb.351:                              ;   in Loop: Header=BB334_286 Depth=1
	v_and_b32_e32 v19, 7, v17
	v_lshrrev_b32_e32 v20, 3, v9
	v_cmp_gt_u32_e64 s0, 8, v9
	v_ffbh_u32_e32 v19, v19
	v_min_u32_e32 v19, 32, v19
	v_subrev_nc_u32_e32 v53, 28, v19
	v_sub_nc_u32_e32 v19, 29, v19
	v_cndmask_b32_e64 v9, v20, v19, s0
	v_cndmask_b32_e64 v19, 0, v53, s0
	v_lshl_add_u32 v9, v9, 23, 0x3c000000
	v_lshlrev_b64 v[19:20], v19, v[17:18]
	v_lshlrev_b32_e32 v20, 24, v17
	v_lshlrev_b32_e32 v19, 20, v19
	v_and_b32_e32 v20, 0x80000000, v20
	v_and_b32_e32 v19, 0x700000, v19
	v_or3_b32 v55, v19, v20, v9
.LBB334_352:                            ;   in Loop: Header=BB334_286 Depth=1
	s_or_b32 exec_lo, exec_lo, s17
.LBB334_353:                            ;   in Loop: Header=BB334_286 Depth=1
	s_or_b32 exec_lo, exec_lo, s16
.LBB334_354:                            ;   in Loop: Header=BB334_286 Depth=1
	s_or_b32 exec_lo, exec_lo, s15
	v_cmp_ne_u16_sdwa s0, v17, v10 src0_sel:BYTE_1 src1_sel:DWORD
	s_and_saveexec_b32 s15, s0
	s_cbranch_execz .LBB334_362
; %bb.355:                              ;   in Loop: Header=BB334_286 Depth=1
	v_cmp_ne_u16_sdwa s0, v17, v32 src0_sel:BYTE_1 src1_sel:DWORD
	v_bfrev_b32_e32 v54, 1
	s_and_saveexec_b32 s16, s0
	s_cbranch_execz .LBB334_361
; %bb.356:                              ;   in Loop: Header=BB334_286 Depth=1
	v_and_b32_sdwa v9, v33, v17 dst_sel:DWORD dst_unused:UNUSED_PAD src0_sel:DWORD src1_sel:BYTE_1
	v_mov_b32_e32 v54, 0x7f800001
	s_mov_b32 s17, exec_lo
	v_and_b32_e32 v20, 0x7f, v9
	v_cmpx_ne_u32_e32 0x7f, v20
	s_cbranch_execz .LBB334_360
; %bb.357:                              ;   in Loop: Header=BB334_286 Depth=1
	v_and_b32_e32 v9, 7, v9
	v_lshrrev_b32_e32 v19, 3, v20
	s_mov_b32 s18, exec_lo
	v_cmpx_gt_u32_e32 8, v20
; %bb.358:                              ;   in Loop: Header=BB334_286 Depth=1
	v_ffbh_u32_e32 v19, v9
	v_min_u32_e32 v19, 32, v19
	v_subrev_nc_u32_e32 v20, 28, v19
	v_sub_nc_u32_e32 v19, 29, v19
	v_lshlrev_b64 v[53:54], v20, v[9:10]
	v_and_b32_e32 v9, 7, v53
; %bb.359:                              ;   in Loop: Header=BB334_286 Depth=1
	s_or_b32 exec_lo, exec_lo, s18
	v_lshlrev_b32_e32 v20, 16, v17
	v_lshlrev_b32_e32 v9, 20, v9
	v_lshl_add_u32 v19, v19, 23, 0x3c000000
	v_and_b32_e32 v20, 0x80000000, v20
	v_or3_b32 v54, v9, v20, v19
.LBB334_360:                            ;   in Loop: Header=BB334_286 Depth=1
	s_or_b32 exec_lo, exec_lo, s17
.LBB334_361:                            ;   in Loop: Header=BB334_286 Depth=1
	s_or_b32 exec_lo, exec_lo, s16
.LBB334_362:                            ;   in Loop: Header=BB334_286 Depth=1
	s_or_b32 exec_lo, exec_lo, s15
	v_and_b32_sdwa v9, v17, v34 dst_sel:DWORD dst_unused:UNUSED_PAD src0_sel:WORD_1 src1_sel:DWORD
	v_mov_b32_e32 v56, 0
	v_mov_b32_e32 v53, 0
	s_mov_b32 s15, exec_lo
	v_cmpx_ne_u16_e32 0, v9
	s_cbranch_execz .LBB334_370
; %bb.363:                              ;   in Loop: Header=BB334_286 Depth=1
	v_bfrev_b32_e32 v53, 1
	s_mov_b32 s16, exec_lo
	v_cmpx_ne_u16_e32 0x80, v9
	s_cbranch_execz .LBB334_369
; %bb.364:                              ;   in Loop: Header=BB334_286 Depth=1
	v_bfe_u32 v20, v17, 16, 7
	v_mov_b32_e32 v53, 0x7f800001
	s_mov_b32 s17, exec_lo
	v_cmpx_ne_u32_e32 0x7f, v20
	s_cbranch_execz .LBB334_368
; %bb.365:                              ;   in Loop: Header=BB334_286 Depth=1
	v_and_b32_sdwa v9, v17, v35 dst_sel:DWORD dst_unused:UNUSED_PAD src0_sel:WORD_1 src1_sel:DWORD
	v_lshrrev_b32_e32 v19, 3, v20
	s_mov_b32 s18, exec_lo
	v_cmpx_gt_u32_e32 8, v20
; %bb.366:                              ;   in Loop: Header=BB334_286 Depth=1
	v_ffbh_u32_e32 v19, v9
	v_min_u32_e32 v19, 32, v19
	v_subrev_nc_u32_e32 v20, 28, v19
	v_sub_nc_u32_e32 v19, 29, v19
	v_lshlrev_b64 v[57:58], v20, v[9:10]
	v_and_b32_e32 v9, 7, v57
; %bb.367:                              ;   in Loop: Header=BB334_286 Depth=1
	s_or_b32 exec_lo, exec_lo, s18
	v_lshlrev_b32_sdwa v20, v36, v17 dst_sel:DWORD dst_unused:UNUSED_PAD src0_sel:DWORD src1_sel:WORD_1
	v_lshlrev_b32_e32 v9, 20, v9
	v_lshl_add_u32 v19, v19, 23, 0x3c000000
	v_and_b32_e32 v20, 0x80000000, v20
	v_or3_b32 v53, v9, v20, v19
.LBB334_368:                            ;   in Loop: Header=BB334_286 Depth=1
	s_or_b32 exec_lo, exec_lo, s17
.LBB334_369:                            ;   in Loop: Header=BB334_286 Depth=1
	s_or_b32 exec_lo, exec_lo, s16
.LBB334_370:                            ;   in Loop: Header=BB334_286 Depth=1
	s_or_b32 exec_lo, exec_lo, s15
	s_mov_b32 s15, exec_lo
	v_cmpx_lt_u32_e32 0xffffff, v17
	s_cbranch_execz .LBB334_378
; %bb.371:                              ;   in Loop: Header=BB334_286 Depth=1
	v_cmp_ne_u32_sdwa s0, v17, v32 src0_sel:BYTE_3 src1_sel:DWORD
	v_bfrev_b32_e32 v56, 1
	s_and_saveexec_b32 s16, s0
	s_cbranch_execz .LBB334_377
; %bb.372:                              ;   in Loop: Header=BB334_286 Depth=1
	v_bfe_u32 v20, v17, 24, 7
	v_mov_b32_e32 v56, 0x7f800001
	s_mov_b32 s17, exec_lo
	v_cmpx_ne_u32_e32 0x7f, v20
	s_cbranch_execz .LBB334_376
; %bb.373:                              ;   in Loop: Header=BB334_286 Depth=1
	v_and_b32_sdwa v9, v17, v35 dst_sel:DWORD dst_unused:UNUSED_PAD src0_sel:BYTE_3 src1_sel:DWORD
	v_lshrrev_b32_e32 v19, 3, v20
	s_mov_b32 s18, exec_lo
	v_cmpx_gt_u32_e32 8, v20
; %bb.374:                              ;   in Loop: Header=BB334_286 Depth=1
	v_ffbh_u32_e32 v19, v9
	v_min_u32_e32 v19, 32, v19
	v_subrev_nc_u32_e32 v20, 28, v19
	v_sub_nc_u32_e32 v19, 29, v19
	v_lshlrev_b64 v[56:57], v20, v[9:10]
	v_and_b32_e32 v9, 7, v56
; %bb.375:                              ;   in Loop: Header=BB334_286 Depth=1
	s_or_b32 exec_lo, exec_lo, s18
	v_lshlrev_b32_sdwa v20, v36, v17 dst_sel:DWORD dst_unused:UNUSED_PAD src0_sel:DWORD src1_sel:BYTE_3
	v_lshlrev_b32_e32 v9, 20, v9
	v_lshl_add_u32 v19, v19, 23, 0x3c000000
	v_and_b32_e32 v20, 0x80000000, v20
	v_or3_b32 v56, v9, v20, v19
.LBB334_376:                            ;   in Loop: Header=BB334_286 Depth=1
	s_or_b32 exec_lo, exec_lo, s17
.LBB334_377:                            ;   in Loop: Header=BB334_286 Depth=1
	s_or_b32 exec_lo, exec_lo, s16
.LBB334_378:                            ;   in Loop: Header=BB334_286 Depth=1
	s_or_b32 exec_lo, exec_lo, s15
	v_mov_b32_e32 v9, v18
	v_cmp_ne_u16_sdwa s0, v18, v10 src0_sel:BYTE_0 src1_sel:DWORD
	v_mov_b32_e32 v19, 0
	v_mov_b32_e32 v57, 0
	s_and_saveexec_b32 s15, s0
	s_cbranch_execz .LBB334_384
; %bb.379:                              ;   in Loop: Header=BB334_286 Depth=1
	v_cmp_ne_u16_sdwa s0, v18, v32 src0_sel:BYTE_0 src1_sel:DWORD
	v_bfrev_b32_e32 v57, 1
	s_and_saveexec_b32 s16, s0
	s_cbranch_execz .LBB334_383
; %bb.380:                              ;   in Loop: Header=BB334_286 Depth=1
	v_and_b32_e32 v20, 0x7f, v18
	v_mov_b32_e32 v57, 0x7f800001
	s_mov_b32 s17, exec_lo
	v_cmpx_ne_u32_e32 0x7f, v20
	s_cbranch_execz .LBB334_382
; %bb.381:                              ;   in Loop: Header=BB334_286 Depth=1
	v_and_b32_e32 v57, 7, v18
	v_lshrrev_b32_e32 v58, 3, v20
	v_cmp_gt_u32_e64 s0, 8, v20
	v_ffbh_u32_e32 v57, v57
	v_min_u32_e32 v57, 32, v57
	v_subrev_nc_u32_e32 v59, 28, v57
	v_sub_nc_u32_e32 v57, 29, v57
	v_cndmask_b32_e64 v20, v58, v57, s0
	v_cndmask_b32_e64 v57, 0, v59, s0
	v_lshl_add_u32 v20, v20, 23, 0x3c000000
	v_lshlrev_b64 v[57:58], v57, v[9:10]
	v_lshlrev_b32_e32 v58, 24, v9
	v_lshlrev_b32_e32 v57, 20, v57
	v_and_b32_e32 v58, 0x80000000, v58
	v_and_b32_e32 v57, 0x700000, v57
	v_or3_b32 v57, v57, v58, v20
.LBB334_382:                            ;   in Loop: Header=BB334_286 Depth=1
	s_or_b32 exec_lo, exec_lo, s17
.LBB334_383:                            ;   in Loop: Header=BB334_286 Depth=1
	s_or_b32 exec_lo, exec_lo, s16
.LBB334_384:                            ;   in Loop: Header=BB334_286 Depth=1
	s_or_b32 exec_lo, exec_lo, s15
	v_cmp_ne_u16_sdwa s0, v9, v10 src0_sel:BYTE_1 src1_sel:DWORD
	s_and_saveexec_b32 s15, s0
	s_cbranch_execz .LBB334_392
; %bb.385:                              ;   in Loop: Header=BB334_286 Depth=1
	v_cmp_ne_u16_sdwa s0, v9, v32 src0_sel:BYTE_1 src1_sel:DWORD
	v_bfrev_b32_e32 v19, 1
	s_and_saveexec_b32 s16, s0
	s_cbranch_execz .LBB334_391
; %bb.386:                              ;   in Loop: Header=BB334_286 Depth=1
	v_and_b32_sdwa v20, v33, v9 dst_sel:DWORD dst_unused:UNUSED_PAD src0_sel:DWORD src1_sel:BYTE_1
	v_mov_b32_e32 v19, 0x7f800001
	s_mov_b32 s17, exec_lo
	v_and_b32_e32 v59, 0x7f, v20
	v_cmpx_ne_u32_e32 0x7f, v59
	s_cbranch_execz .LBB334_390
; %bb.387:                              ;   in Loop: Header=BB334_286 Depth=1
	v_and_b32_e32 v19, 7, v20
	v_mov_b32_e32 v20, v10
	v_lshrrev_b32_e32 v58, 3, v59
	s_mov_b32 s18, exec_lo
	v_cmpx_gt_u32_e32 8, v59
; %bb.388:                              ;   in Loop: Header=BB334_286 Depth=1
	v_ffbh_u32_e32 v58, v19
	v_min_u32_e32 v58, 32, v58
	v_subrev_nc_u32_e32 v59, 28, v58
	v_sub_nc_u32_e32 v58, 29, v58
	v_lshlrev_b64 v[19:20], v59, v[19:20]
	v_and_b32_e32 v19, 7, v19
; %bb.389:                              ;   in Loop: Header=BB334_286 Depth=1
	s_or_b32 exec_lo, exec_lo, s18
	v_lshlrev_b32_e32 v9, 16, v9
	v_lshlrev_b32_e32 v19, 20, v19
	v_lshl_add_u32 v20, v58, 23, 0x3c000000
	v_and_b32_e32 v9, 0x80000000, v9
	v_or3_b32 v19, v19, v9, v20
.LBB334_390:                            ;   in Loop: Header=BB334_286 Depth=1
	s_or_b32 exec_lo, exec_lo, s17
.LBB334_391:                            ;   in Loop: Header=BB334_286 Depth=1
	s_or_b32 exec_lo, exec_lo, s16
.LBB334_392:                            ;   in Loop: Header=BB334_286 Depth=1
	s_or_b32 exec_lo, exec_lo, s15
	v_and_b32_sdwa v9, v18, v34 dst_sel:DWORD dst_unused:UNUSED_PAD src0_sel:WORD_1 src1_sel:DWORD
	v_mov_b32_e32 v20, 0
	v_mov_b32_e32 v58, 0
	s_mov_b32 s15, exec_lo
	v_cmpx_ne_u16_e32 0, v9
	s_cbranch_execz .LBB334_400
; %bb.393:                              ;   in Loop: Header=BB334_286 Depth=1
	v_bfrev_b32_e32 v58, 1
	s_mov_b32 s16, exec_lo
	v_cmpx_ne_u16_e32 0x80, v9
	s_cbranch_execz .LBB334_399
; %bb.394:                              ;   in Loop: Header=BB334_286 Depth=1
	v_bfe_u32 v59, v18, 16, 7
	v_mov_b32_e32 v58, 0x7f800001
	s_mov_b32 s17, exec_lo
	v_cmpx_ne_u32_e32 0x7f, v59
	s_cbranch_execz .LBB334_398
; %bb.395:                              ;   in Loop: Header=BB334_286 Depth=1
	v_and_b32_sdwa v9, v18, v35 dst_sel:DWORD dst_unused:UNUSED_PAD src0_sel:WORD_1 src1_sel:DWORD
	v_lshrrev_b32_e32 v58, 3, v59
	s_mov_b32 s18, exec_lo
	v_cmpx_gt_u32_e32 8, v59
; %bb.396:                              ;   in Loop: Header=BB334_286 Depth=1
	v_ffbh_u32_e32 v58, v9
	v_min_u32_e32 v58, 32, v58
	v_subrev_nc_u32_e32 v59, 28, v58
	v_sub_nc_u32_e32 v58, 29, v58
	v_lshlrev_b64 v[59:60], v59, v[9:10]
	v_and_b32_e32 v9, 7, v59
; %bb.397:                              ;   in Loop: Header=BB334_286 Depth=1
	s_or_b32 exec_lo, exec_lo, s18
	v_lshlrev_b32_sdwa v59, v36, v18 dst_sel:DWORD dst_unused:UNUSED_PAD src0_sel:DWORD src1_sel:WORD_1
	v_lshlrev_b32_e32 v9, 20, v9
	v_lshl_add_u32 v58, v58, 23, 0x3c000000
	v_and_b32_e32 v59, 0x80000000, v59
	v_or3_b32 v58, v9, v59, v58
.LBB334_398:                            ;   in Loop: Header=BB334_286 Depth=1
	s_or_b32 exec_lo, exec_lo, s17
.LBB334_399:                            ;   in Loop: Header=BB334_286 Depth=1
	s_or_b32 exec_lo, exec_lo, s16
.LBB334_400:                            ;   in Loop: Header=BB334_286 Depth=1
	s_or_b32 exec_lo, exec_lo, s15
	s_mov_b32 s15, exec_lo
	v_cmpx_lt_u64_e64 s[2:3], v[17:18]
	s_cbranch_execz .LBB334_408
; %bb.401:                              ;   in Loop: Header=BB334_286 Depth=1
	v_cmp_ne_u32_sdwa s0, v18, v32 src0_sel:BYTE_3 src1_sel:DWORD
	v_bfrev_b32_e32 v20, 1
	s_and_saveexec_b32 s16, s0
	s_cbranch_execz .LBB334_407
; %bb.402:                              ;   in Loop: Header=BB334_286 Depth=1
	v_bfe_u32 v59, v18, 24, 7
	v_mov_b32_e32 v20, 0x7f800001
	s_mov_b32 s17, exec_lo
	v_cmpx_ne_u32_e32 0x7f, v59
	s_cbranch_execz .LBB334_406
; %bb.403:                              ;   in Loop: Header=BB334_286 Depth=1
	v_and_b32_sdwa v9, v18, v35 dst_sel:DWORD dst_unused:UNUSED_PAD src0_sel:BYTE_3 src1_sel:DWORD
	v_lshrrev_b32_e32 v17, 3, v59
	s_mov_b32 s18, exec_lo
	v_cmpx_gt_u32_e32 8, v59
; %bb.404:                              ;   in Loop: Header=BB334_286 Depth=1
	v_ffbh_u32_e32 v17, v9
	v_min_u32_e32 v17, 32, v17
	v_subrev_nc_u32_e32 v20, 28, v17
	v_sub_nc_u32_e32 v17, 29, v17
	v_lshlrev_b64 v[59:60], v20, v[9:10]
	v_and_b32_e32 v9, 7, v59
; %bb.405:                              ;   in Loop: Header=BB334_286 Depth=1
	s_or_b32 exec_lo, exec_lo, s18
	v_lshlrev_b32_sdwa v18, v36, v18 dst_sel:DWORD dst_unused:UNUSED_PAD src0_sel:DWORD src1_sel:BYTE_3
	v_lshlrev_b32_e32 v9, 20, v9
	v_lshl_add_u32 v17, v17, 23, 0x3c000000
	v_and_b32_e32 v18, 0x80000000, v18
	v_or3_b32 v20, v9, v18, v17
.LBB334_406:                            ;   in Loop: Header=BB334_286 Depth=1
	s_or_b32 exec_lo, exec_lo, s17
.LBB334_407:                            ;   in Loop: Header=BB334_286 Depth=1
	s_or_b32 exec_lo, exec_lo, s16
.LBB334_408:                            ;   in Loop: Header=BB334_286 Depth=1
	s_or_b32 exec_lo, exec_lo, s15
	v_mul_f32_e32 v9, s5, v19
	v_mul_f32_e32 v17, s5, v57
	;; [unrolled: 1-line block ×5, first 2 shown]
	v_bfe_u32 v53, v9, 16, 1
	v_or_b32_e32 v56, 0x400000, v9
	v_bfe_u32 v57, v17, 16, 1
	v_cmp_u_f32_e64 s0, v9, v9
	v_or_b32_e32 v59, 0x400000, v17
	v_add3_u32 v53, v53, v9, 0x7fff
	v_bfe_u32 v60, v18, 16, 1
	v_add3_u32 v57, v57, v17, 0x7fff
	v_or_b32_e32 v61, 0x400000, v18
	v_bfe_u32 v62, v19, 16, 1
	v_cndmask_b32_e64 v9, v53, v56, s0
	v_cmp_u_f32_e64 s0, v17, v17
	v_add3_u32 v60, v60, v18, 0x7fff
	v_lshrrev_b32_e32 v53, 16, v9
	v_cndmask_b32_e64 v17, v57, v59, s0
	v_cmp_u_f32_e64 s0, v18, v18
	v_mul_f32_e32 v9, s5, v54
	v_add3_u32 v57, v62, v19, 0x7fff
	v_or_b32_e32 v59, 0x400000, v19
	v_lshrrev_b32_e32 v54, 16, v17
	v_cndmask_b32_e64 v18, v60, v61, s0
	v_bfe_u32 v17, v9, 16, 1
	v_cmp_u_f32_e64 s0, v19, v19
	v_mul_f32_e32 v19, s5, v55
	v_mul_f32_e32 v55, s5, v58
	v_lshrrev_b32_e32 v56, 16, v18
	v_add3_u32 v17, v17, v9, 0x7fff
	v_cndmask_b32_e64 v18, v57, v59, s0
	v_or_b32_e32 v57, 0x400000, v9
	v_bfe_u32 v58, v19, 16, 1
	v_cmp_u_f32_e64 s0, v9, v9
	v_bfe_u32 v59, v55, 16, 1
	v_or_b32_e32 v60, 0x400000, v55
	v_or_b32_e32 v61, 0x400000, v20
	v_cndmask_b32_e64 v9, v17, v57, s0
	v_add3_u32 v57, v58, v19, 0x7fff
	v_or_b32_e32 v58, 0x400000, v19
	v_cmp_u_f32_e64 s0, v19, v19
	v_bfe_u32 v17, v20, 16, 1
	v_add3_u32 v59, v59, v55, 0x7fff
	v_cndmask_b32_e64 v19, v57, v58, s0
	v_cmp_u_f32_e64 s0, v55, v55
	v_add3_u32 v17, v17, v20, 0x7fff
	v_lshrrev_b32_e32 v58, 16, v18
	v_cndmask_b32_e64 v55, v59, v60, s0
	v_cmp_u_f32_e64 s0, v20, v20
	v_lshrrev_b32_e32 v60, 16, v9
	v_lshrrev_b32_e32 v59, 16, v19
	;; [unrolled: 1-line block ×3, first 2 shown]
	v_cndmask_b32_e64 v17, v17, v61, s0
	v_lshrrev_b32_e32 v57, 16, v17
	s_and_saveexec_b32 s15, vcc_lo
	s_cbranch_execz .LBB334_410
; %bb.409:                              ;   in Loop: Header=BB334_286 Depth=1
	v_cmp_gt_i32_e64 s0, s11, v46
	v_cndmask_b32_e64 v59, 0, v59, s0
	v_cmp_gt_i32_e64 s0, s11, v52
	v_cndmask_b32_e64 v60, 0, v60, s0
	;; [unrolled: 2-line block ×8, first 2 shown]
.LBB334_410:                            ;   in Loop: Header=BB334_286 Depth=1
	s_or_b32 exec_lo, exec_lo, s15
	global_load_dwordx2 v[17:18], v[15:16], off offset:512
	v_mov_b32_e32 v62, 0
	v_mov_b32_e32 v61, 0
	s_waitcnt vmcnt(0)
	v_cmp_ne_u16_sdwa s0, v17, v10 src0_sel:BYTE_0 src1_sel:DWORD
	s_and_saveexec_b32 s15, s0
	s_cbranch_execz .LBB334_416
; %bb.411:                              ;   in Loop: Header=BB334_286 Depth=1
	v_cmp_ne_u16_sdwa s0, v17, v32 src0_sel:BYTE_0 src1_sel:DWORD
	v_bfrev_b32_e32 v61, 1
	s_and_saveexec_b32 s16, s0
	s_cbranch_execz .LBB334_415
; %bb.412:                              ;   in Loop: Header=BB334_286 Depth=1
	v_and_b32_e32 v9, 0x7f, v17
	v_mov_b32_e32 v61, 0x7f800001
	s_mov_b32 s17, exec_lo
	v_cmpx_ne_u32_e32 0x7f, v9
	s_cbranch_execz .LBB334_414
; %bb.413:                              ;   in Loop: Header=BB334_286 Depth=1
	v_and_b32_e32 v19, 7, v17
	v_lshrrev_b32_e32 v20, 3, v9
	v_cmp_gt_u32_e64 s0, 8, v9
	v_ffbh_u32_e32 v19, v19
	v_min_u32_e32 v19, 32, v19
	v_subrev_nc_u32_e32 v61, 28, v19
	v_sub_nc_u32_e32 v19, 29, v19
	v_cndmask_b32_e64 v9, v20, v19, s0
	v_cndmask_b32_e64 v19, 0, v61, s0
	v_lshl_add_u32 v9, v9, 23, 0x3c000000
	v_lshlrev_b64 v[19:20], v19, v[17:18]
	v_lshlrev_b32_e32 v20, 24, v17
	v_lshlrev_b32_e32 v19, 20, v19
	v_and_b32_e32 v20, 0x80000000, v20
	v_and_b32_e32 v19, 0x700000, v19
	v_or3_b32 v61, v19, v20, v9
.LBB334_414:                            ;   in Loop: Header=BB334_286 Depth=1
	s_or_b32 exec_lo, exec_lo, s17
.LBB334_415:                            ;   in Loop: Header=BB334_286 Depth=1
	s_or_b32 exec_lo, exec_lo, s16
.LBB334_416:                            ;   in Loop: Header=BB334_286 Depth=1
	s_or_b32 exec_lo, exec_lo, s15
	v_cmp_ne_u16_sdwa s0, v17, v10 src0_sel:BYTE_1 src1_sel:DWORD
	s_and_saveexec_b32 s15, s0
	s_cbranch_execz .LBB334_424
; %bb.417:                              ;   in Loop: Header=BB334_286 Depth=1
	v_cmp_ne_u16_sdwa s0, v17, v32 src0_sel:BYTE_1 src1_sel:DWORD
	v_bfrev_b32_e32 v62, 1
	s_and_saveexec_b32 s16, s0
	s_cbranch_execz .LBB334_423
; %bb.418:                              ;   in Loop: Header=BB334_286 Depth=1
	v_and_b32_sdwa v9, v33, v17 dst_sel:DWORD dst_unused:UNUSED_PAD src0_sel:DWORD src1_sel:BYTE_1
	v_mov_b32_e32 v62, 0x7f800001
	s_mov_b32 s17, exec_lo
	v_and_b32_e32 v20, 0x7f, v9
	v_cmpx_ne_u32_e32 0x7f, v20
	s_cbranch_execz .LBB334_422
; %bb.419:                              ;   in Loop: Header=BB334_286 Depth=1
	v_and_b32_e32 v9, 7, v9
	v_lshrrev_b32_e32 v19, 3, v20
	s_mov_b32 s18, exec_lo
	v_cmpx_gt_u32_e32 8, v20
; %bb.420:                              ;   in Loop: Header=BB334_286 Depth=1
	v_ffbh_u32_e32 v19, v9
	v_min_u32_e32 v19, 32, v19
	v_subrev_nc_u32_e32 v20, 28, v19
	v_sub_nc_u32_e32 v19, 29, v19
	v_lshlrev_b64 v[62:63], v20, v[9:10]
	v_and_b32_e32 v9, 7, v62
; %bb.421:                              ;   in Loop: Header=BB334_286 Depth=1
	s_or_b32 exec_lo, exec_lo, s18
	v_lshlrev_b32_e32 v20, 16, v17
	v_lshlrev_b32_e32 v9, 20, v9
	v_lshl_add_u32 v19, v19, 23, 0x3c000000
	v_and_b32_e32 v20, 0x80000000, v20
	v_or3_b32 v62, v9, v20, v19
.LBB334_422:                            ;   in Loop: Header=BB334_286 Depth=1
	s_or_b32 exec_lo, exec_lo, s17
.LBB334_423:                            ;   in Loop: Header=BB334_286 Depth=1
	s_or_b32 exec_lo, exec_lo, s16
.LBB334_424:                            ;   in Loop: Header=BB334_286 Depth=1
	s_or_b32 exec_lo, exec_lo, s15
	v_and_b32_sdwa v9, v17, v34 dst_sel:DWORD dst_unused:UNUSED_PAD src0_sel:WORD_1 src1_sel:DWORD
	v_mov_b32_e32 v64, 0
	v_mov_b32_e32 v63, 0
	s_mov_b32 s15, exec_lo
	v_cmpx_ne_u16_e32 0, v9
	s_cbranch_execz .LBB334_432
; %bb.425:                              ;   in Loop: Header=BB334_286 Depth=1
	v_bfrev_b32_e32 v63, 1
	s_mov_b32 s16, exec_lo
	v_cmpx_ne_u16_e32 0x80, v9
	s_cbranch_execz .LBB334_431
; %bb.426:                              ;   in Loop: Header=BB334_286 Depth=1
	v_bfe_u32 v20, v17, 16, 7
	v_mov_b32_e32 v63, 0x7f800001
	s_mov_b32 s17, exec_lo
	v_cmpx_ne_u32_e32 0x7f, v20
	s_cbranch_execz .LBB334_430
; %bb.427:                              ;   in Loop: Header=BB334_286 Depth=1
	v_and_b32_sdwa v9, v17, v35 dst_sel:DWORD dst_unused:UNUSED_PAD src0_sel:WORD_1 src1_sel:DWORD
	v_lshrrev_b32_e32 v19, 3, v20
	s_mov_b32 s18, exec_lo
	v_cmpx_gt_u32_e32 8, v20
; %bb.428:                              ;   in Loop: Header=BB334_286 Depth=1
	v_ffbh_u32_e32 v19, v9
	v_min_u32_e32 v19, 32, v19
	v_subrev_nc_u32_e32 v20, 28, v19
	v_sub_nc_u32_e32 v19, 29, v19
	v_lshlrev_b64 v[65:66], v20, v[9:10]
	v_and_b32_e32 v9, 7, v65
; %bb.429:                              ;   in Loop: Header=BB334_286 Depth=1
	s_or_b32 exec_lo, exec_lo, s18
	v_lshlrev_b32_sdwa v20, v36, v17 dst_sel:DWORD dst_unused:UNUSED_PAD src0_sel:DWORD src1_sel:WORD_1
	v_lshlrev_b32_e32 v9, 20, v9
	v_lshl_add_u32 v19, v19, 23, 0x3c000000
	v_and_b32_e32 v20, 0x80000000, v20
	v_or3_b32 v63, v9, v20, v19
.LBB334_430:                            ;   in Loop: Header=BB334_286 Depth=1
	s_or_b32 exec_lo, exec_lo, s17
.LBB334_431:                            ;   in Loop: Header=BB334_286 Depth=1
	s_or_b32 exec_lo, exec_lo, s16
.LBB334_432:                            ;   in Loop: Header=BB334_286 Depth=1
	s_or_b32 exec_lo, exec_lo, s15
	s_mov_b32 s15, exec_lo
	v_cmpx_lt_u32_e32 0xffffff, v17
	s_cbranch_execz .LBB334_440
; %bb.433:                              ;   in Loop: Header=BB334_286 Depth=1
	v_cmp_ne_u32_sdwa s0, v17, v32 src0_sel:BYTE_3 src1_sel:DWORD
	v_bfrev_b32_e32 v64, 1
	s_and_saveexec_b32 s16, s0
	s_cbranch_execz .LBB334_439
; %bb.434:                              ;   in Loop: Header=BB334_286 Depth=1
	v_bfe_u32 v20, v17, 24, 7
	v_mov_b32_e32 v64, 0x7f800001
	s_mov_b32 s17, exec_lo
	v_cmpx_ne_u32_e32 0x7f, v20
	s_cbranch_execz .LBB334_438
; %bb.435:                              ;   in Loop: Header=BB334_286 Depth=1
	v_and_b32_sdwa v9, v17, v35 dst_sel:DWORD dst_unused:UNUSED_PAD src0_sel:BYTE_3 src1_sel:DWORD
	v_lshrrev_b32_e32 v19, 3, v20
	s_mov_b32 s18, exec_lo
	v_cmpx_gt_u32_e32 8, v20
; %bb.436:                              ;   in Loop: Header=BB334_286 Depth=1
	v_ffbh_u32_e32 v19, v9
	v_min_u32_e32 v19, 32, v19
	v_subrev_nc_u32_e32 v20, 28, v19
	v_sub_nc_u32_e32 v19, 29, v19
	v_lshlrev_b64 v[64:65], v20, v[9:10]
	v_and_b32_e32 v9, 7, v64
; %bb.437:                              ;   in Loop: Header=BB334_286 Depth=1
	s_or_b32 exec_lo, exec_lo, s18
	v_lshlrev_b32_sdwa v20, v36, v17 dst_sel:DWORD dst_unused:UNUSED_PAD src0_sel:DWORD src1_sel:BYTE_3
	v_lshlrev_b32_e32 v9, 20, v9
	v_lshl_add_u32 v19, v19, 23, 0x3c000000
	v_and_b32_e32 v20, 0x80000000, v20
	v_or3_b32 v64, v9, v20, v19
.LBB334_438:                            ;   in Loop: Header=BB334_286 Depth=1
	s_or_b32 exec_lo, exec_lo, s17
.LBB334_439:                            ;   in Loop: Header=BB334_286 Depth=1
	s_or_b32 exec_lo, exec_lo, s16
.LBB334_440:                            ;   in Loop: Header=BB334_286 Depth=1
	s_or_b32 exec_lo, exec_lo, s15
	v_mov_b32_e32 v9, v18
	v_cmp_ne_u16_sdwa s0, v18, v10 src0_sel:BYTE_0 src1_sel:DWORD
	v_mov_b32_e32 v19, 0
	v_mov_b32_e32 v65, 0
	s_and_saveexec_b32 s15, s0
	s_cbranch_execz .LBB334_446
; %bb.441:                              ;   in Loop: Header=BB334_286 Depth=1
	v_cmp_ne_u16_sdwa s0, v18, v32 src0_sel:BYTE_0 src1_sel:DWORD
	v_bfrev_b32_e32 v65, 1
	s_and_saveexec_b32 s16, s0
	s_cbranch_execz .LBB334_445
; %bb.442:                              ;   in Loop: Header=BB334_286 Depth=1
	v_and_b32_e32 v20, 0x7f, v18
	v_mov_b32_e32 v65, 0x7f800001
	s_mov_b32 s17, exec_lo
	v_cmpx_ne_u32_e32 0x7f, v20
	s_cbranch_execz .LBB334_444
; %bb.443:                              ;   in Loop: Header=BB334_286 Depth=1
	v_and_b32_e32 v65, 7, v18
	v_lshrrev_b32_e32 v66, 3, v20
	v_cmp_gt_u32_e64 s0, 8, v20
	v_ffbh_u32_e32 v65, v65
	v_min_u32_e32 v65, 32, v65
	v_subrev_nc_u32_e32 v67, 28, v65
	v_sub_nc_u32_e32 v65, 29, v65
	v_cndmask_b32_e64 v20, v66, v65, s0
	v_cndmask_b32_e64 v65, 0, v67, s0
	v_lshl_add_u32 v20, v20, 23, 0x3c000000
	v_lshlrev_b64 v[65:66], v65, v[9:10]
	v_lshlrev_b32_e32 v66, 24, v9
	v_lshlrev_b32_e32 v65, 20, v65
	v_and_b32_e32 v66, 0x80000000, v66
	v_and_b32_e32 v65, 0x700000, v65
	v_or3_b32 v65, v65, v66, v20
.LBB334_444:                            ;   in Loop: Header=BB334_286 Depth=1
	s_or_b32 exec_lo, exec_lo, s17
.LBB334_445:                            ;   in Loop: Header=BB334_286 Depth=1
	s_or_b32 exec_lo, exec_lo, s16
.LBB334_446:                            ;   in Loop: Header=BB334_286 Depth=1
	s_or_b32 exec_lo, exec_lo, s15
	v_cmp_ne_u16_sdwa s0, v9, v10 src0_sel:BYTE_1 src1_sel:DWORD
	s_and_saveexec_b32 s15, s0
	s_cbranch_execz .LBB334_454
; %bb.447:                              ;   in Loop: Header=BB334_286 Depth=1
	v_cmp_ne_u16_sdwa s0, v9, v32 src0_sel:BYTE_1 src1_sel:DWORD
	v_bfrev_b32_e32 v19, 1
	s_and_saveexec_b32 s16, s0
	s_cbranch_execz .LBB334_453
; %bb.448:                              ;   in Loop: Header=BB334_286 Depth=1
	v_and_b32_sdwa v20, v33, v9 dst_sel:DWORD dst_unused:UNUSED_PAD src0_sel:DWORD src1_sel:BYTE_1
	v_mov_b32_e32 v19, 0x7f800001
	s_mov_b32 s17, exec_lo
	v_and_b32_e32 v67, 0x7f, v20
	v_cmpx_ne_u32_e32 0x7f, v67
	s_cbranch_execz .LBB334_452
; %bb.449:                              ;   in Loop: Header=BB334_286 Depth=1
	v_and_b32_e32 v19, 7, v20
	v_mov_b32_e32 v20, v10
	v_lshrrev_b32_e32 v66, 3, v67
	s_mov_b32 s18, exec_lo
	v_cmpx_gt_u32_e32 8, v67
; %bb.450:                              ;   in Loop: Header=BB334_286 Depth=1
	v_ffbh_u32_e32 v66, v19
	v_min_u32_e32 v66, 32, v66
	v_subrev_nc_u32_e32 v67, 28, v66
	v_sub_nc_u32_e32 v66, 29, v66
	v_lshlrev_b64 v[19:20], v67, v[19:20]
	v_and_b32_e32 v19, 7, v19
; %bb.451:                              ;   in Loop: Header=BB334_286 Depth=1
	s_or_b32 exec_lo, exec_lo, s18
	v_lshlrev_b32_e32 v9, 16, v9
	v_lshlrev_b32_e32 v19, 20, v19
	v_lshl_add_u32 v20, v66, 23, 0x3c000000
	v_and_b32_e32 v9, 0x80000000, v9
	v_or3_b32 v19, v19, v9, v20
.LBB334_452:                            ;   in Loop: Header=BB334_286 Depth=1
	s_or_b32 exec_lo, exec_lo, s17
.LBB334_453:                            ;   in Loop: Header=BB334_286 Depth=1
	s_or_b32 exec_lo, exec_lo, s16
.LBB334_454:                            ;   in Loop: Header=BB334_286 Depth=1
	s_or_b32 exec_lo, exec_lo, s15
	v_and_b32_sdwa v9, v18, v34 dst_sel:DWORD dst_unused:UNUSED_PAD src0_sel:WORD_1 src1_sel:DWORD
	v_mov_b32_e32 v66, 0
	v_mov_b32_e32 v67, 0
	s_mov_b32 s15, exec_lo
	v_cmpx_ne_u16_e32 0, v9
	s_cbranch_execz .LBB334_462
; %bb.455:                              ;   in Loop: Header=BB334_286 Depth=1
	v_bfrev_b32_e32 v67, 1
	s_mov_b32 s16, exec_lo
	v_cmpx_ne_u16_e32 0x80, v9
	s_cbranch_execz .LBB334_461
; %bb.456:                              ;   in Loop: Header=BB334_286 Depth=1
	v_bfe_u32 v68, v18, 16, 7
	v_mov_b32_e32 v67, 0x7f800001
	s_mov_b32 s17, exec_lo
	v_cmpx_ne_u32_e32 0x7f, v68
	s_cbranch_execz .LBB334_460
; %bb.457:                              ;   in Loop: Header=BB334_286 Depth=1
	v_and_b32_sdwa v9, v18, v35 dst_sel:DWORD dst_unused:UNUSED_PAD src0_sel:WORD_1 src1_sel:DWORD
	v_lshrrev_b32_e32 v20, 3, v68
	s_mov_b32 s18, exec_lo
	v_cmpx_gt_u32_e32 8, v68
; %bb.458:                              ;   in Loop: Header=BB334_286 Depth=1
	v_ffbh_u32_e32 v20, v9
	v_min_u32_e32 v20, 32, v20
	v_subrev_nc_u32_e32 v67, 28, v20
	v_sub_nc_u32_e32 v20, 29, v20
	v_lshlrev_b64 v[67:68], v67, v[9:10]
	v_and_b32_e32 v9, 7, v67
; %bb.459:                              ;   in Loop: Header=BB334_286 Depth=1
	s_or_b32 exec_lo, exec_lo, s18
	v_lshlrev_b32_sdwa v67, v36, v18 dst_sel:DWORD dst_unused:UNUSED_PAD src0_sel:DWORD src1_sel:WORD_1
	v_lshlrev_b32_e32 v9, 20, v9
	v_lshl_add_u32 v20, v20, 23, 0x3c000000
	v_and_b32_e32 v67, 0x80000000, v67
	v_or3_b32 v67, v9, v67, v20
.LBB334_460:                            ;   in Loop: Header=BB334_286 Depth=1
	s_or_b32 exec_lo, exec_lo, s17
.LBB334_461:                            ;   in Loop: Header=BB334_286 Depth=1
	s_or_b32 exec_lo, exec_lo, s16
.LBB334_462:                            ;   in Loop: Header=BB334_286 Depth=1
	s_or_b32 exec_lo, exec_lo, s15
	s_mov_b32 s15, exec_lo
	v_cmpx_lt_u64_e64 s[2:3], v[17:18]
	s_cbranch_execz .LBB334_470
; %bb.463:                              ;   in Loop: Header=BB334_286 Depth=1
	v_cmp_ne_u32_sdwa s0, v18, v32 src0_sel:BYTE_3 src1_sel:DWORD
	v_bfrev_b32_e32 v66, 1
	s_and_saveexec_b32 s16, s0
	s_cbranch_execz .LBB334_469
; %bb.464:                              ;   in Loop: Header=BB334_286 Depth=1
	v_bfe_u32 v20, v18, 24, 7
	v_mov_b32_e32 v66, 0x7f800001
	s_mov_b32 s17, exec_lo
	v_cmpx_ne_u32_e32 0x7f, v20
	s_cbranch_execz .LBB334_468
; %bb.465:                              ;   in Loop: Header=BB334_286 Depth=1
	v_and_b32_sdwa v9, v18, v35 dst_sel:DWORD dst_unused:UNUSED_PAD src0_sel:BYTE_3 src1_sel:DWORD
	v_lshrrev_b32_e32 v17, 3, v20
	s_mov_b32 s18, exec_lo
	v_cmpx_gt_u32_e32 8, v20
; %bb.466:                              ;   in Loop: Header=BB334_286 Depth=1
	v_ffbh_u32_e32 v17, v9
	v_min_u32_e32 v17, 32, v17
	v_subrev_nc_u32_e32 v20, 28, v17
	v_sub_nc_u32_e32 v17, 29, v17
	v_lshlrev_b64 v[68:69], v20, v[9:10]
	v_and_b32_e32 v9, 7, v68
; %bb.467:                              ;   in Loop: Header=BB334_286 Depth=1
	s_or_b32 exec_lo, exec_lo, s18
	v_lshlrev_b32_sdwa v18, v36, v18 dst_sel:DWORD dst_unused:UNUSED_PAD src0_sel:DWORD src1_sel:BYTE_3
	v_lshlrev_b32_e32 v9, 20, v9
	v_lshl_add_u32 v17, v17, 23, 0x3c000000
	v_and_b32_e32 v18, 0x80000000, v18
	v_or3_b32 v66, v9, v18, v17
.LBB334_468:                            ;   in Loop: Header=BB334_286 Depth=1
	s_or_b32 exec_lo, exec_lo, s17
.LBB334_469:                            ;   in Loop: Header=BB334_286 Depth=1
	s_or_b32 exec_lo, exec_lo, s16
.LBB334_470:                            ;   in Loop: Header=BB334_286 Depth=1
	s_or_b32 exec_lo, exec_lo, s15
	v_mul_f32_e32 v9, s5, v19
	v_mul_f32_e32 v17, s5, v65
	;; [unrolled: 1-line block ×5, first 2 shown]
	v_bfe_u32 v19, v9, 16, 1
	v_or_b32_e32 v20, 0x400000, v9
	v_bfe_u32 v63, v17, 16, 1
	v_cmp_u_f32_e64 s0, v9, v9
	v_or_b32_e32 v65, 0x400000, v17
	v_add3_u32 v19, v19, v9, 0x7fff
	v_bfe_u32 v68, v18, 16, 1
	v_add3_u32 v63, v63, v17, 0x7fff
	v_or_b32_e32 v69, 0x400000, v18
	v_bfe_u32 v70, v64, 16, 1
	v_cndmask_b32_e64 v9, v19, v20, s0
	v_cmp_u_f32_e64 s0, v17, v17
	v_add3_u32 v68, v68, v18, 0x7fff
	v_lshrrev_b32_e32 v19, 16, v9
	v_cndmask_b32_e64 v17, v63, v65, s0
	v_cmp_u_f32_e64 s0, v18, v18
	v_mul_f32_e32 v9, s5, v62
	v_add3_u32 v62, v70, v64, 0x7fff
	v_or_b32_e32 v65, 0x400000, v64
	v_lshrrev_b32_e32 v20, 16, v17
	v_cndmask_b32_e64 v18, v68, v69, s0
	v_bfe_u32 v17, v9, 16, 1
	v_cmp_u_f32_e64 s0, v64, v64
	v_or_b32_e32 v64, 0x400000, v9
	v_lshrrev_b32_e32 v63, 16, v18
	v_add3_u32 v17, v17, v9, 0x7fff
	v_cndmask_b32_e64 v18, v62, v65, s0
	v_mul_f32_e32 v62, s5, v67
	v_mul_f32_e32 v65, s5, v66
	v_bfe_u32 v66, v61, 16, 1
	v_cmp_u_f32_e64 s0, v9, v9
	v_bfe_u32 v67, v62, 16, 1
	v_or_b32_e32 v68, 0x400000, v62
	v_or_b32_e32 v69, 0x400000, v65
	v_cndmask_b32_e64 v9, v17, v64, s0
	v_add3_u32 v64, v66, v61, 0x7fff
	v_or_b32_e32 v66, 0x400000, v61
	v_cmp_u_f32_e64 s0, v61, v61
	v_bfe_u32 v17, v65, 16, 1
	v_add3_u32 v67, v67, v62, 0x7fff
	v_cndmask_b32_e64 v61, v64, v66, s0
	v_cmp_u_f32_e64 s0, v62, v62
	v_add3_u32 v17, v17, v65, 0x7fff
	v_lshrrev_b32_e32 v64, 16, v18
	v_lshrrev_b32_e32 v66, 16, v9
	v_cndmask_b32_e64 v62, v67, v68, s0
	v_cmp_u_f32_e64 s0, v65, v65
	v_lshrrev_b32_e32 v65, 16, v61
	v_lshrrev_b32_e32 v61, 16, v62
	v_cndmask_b32_e64 v17, v17, v69, s0
	v_lshrrev_b32_e32 v62, 16, v17
	s_and_saveexec_b32 s15, vcc_lo
	s_cbranch_execz .LBB334_472
; %bb.471:                              ;   in Loop: Header=BB334_286 Depth=1
	v_cmp_gt_i32_e64 s0, s11, v46
	v_cndmask_b32_e64 v65, 0, v65, s0
	v_cmp_gt_i32_e64 s0, s11, v52
	v_cndmask_b32_e64 v66, 0, v66, s0
	;; [unrolled: 2-line block ×8, first 2 shown]
.LBB334_472:                            ;   in Loop: Header=BB334_286 Depth=1
	s_or_b32 exec_lo, exec_lo, s15
	global_load_dwordx2 v[15:16], v[15:16], off offset:768
	v_mov_b32_e32 v68, 0
	v_mov_b32_e32 v67, 0
	s_waitcnt vmcnt(0)
	v_cmp_ne_u16_sdwa s0, v15, v10 src0_sel:BYTE_0 src1_sel:DWORD
	s_and_saveexec_b32 s15, s0
	s_cbranch_execz .LBB334_478
; %bb.473:                              ;   in Loop: Header=BB334_286 Depth=1
	v_cmp_ne_u16_sdwa s0, v15, v32 src0_sel:BYTE_0 src1_sel:DWORD
	v_bfrev_b32_e32 v67, 1
	s_and_saveexec_b32 s16, s0
	s_cbranch_execz .LBB334_477
; %bb.474:                              ;   in Loop: Header=BB334_286 Depth=1
	v_and_b32_e32 v9, 0x7f, v15
	v_mov_b32_e32 v67, 0x7f800001
	s_mov_b32 s17, exec_lo
	v_cmpx_ne_u32_e32 0x7f, v9
	s_cbranch_execz .LBB334_476
; %bb.475:                              ;   in Loop: Header=BB334_286 Depth=1
	v_and_b32_e32 v17, 7, v15
	v_lshrrev_b32_e32 v18, 3, v9
	v_cmp_gt_u32_e64 s0, 8, v9
	v_ffbh_u32_e32 v17, v17
	v_min_u32_e32 v17, 32, v17
	v_subrev_nc_u32_e32 v67, 28, v17
	v_sub_nc_u32_e32 v17, 29, v17
	v_cndmask_b32_e64 v9, v18, v17, s0
	v_cndmask_b32_e64 v17, 0, v67, s0
	v_lshl_add_u32 v9, v9, 23, 0x3c000000
	v_lshlrev_b64 v[17:18], v17, v[15:16]
	v_lshlrev_b32_e32 v18, 24, v15
	v_lshlrev_b32_e32 v17, 20, v17
	v_and_b32_e32 v18, 0x80000000, v18
	v_and_b32_e32 v17, 0x700000, v17
	v_or3_b32 v67, v17, v18, v9
.LBB334_476:                            ;   in Loop: Header=BB334_286 Depth=1
	s_or_b32 exec_lo, exec_lo, s17
.LBB334_477:                            ;   in Loop: Header=BB334_286 Depth=1
	s_or_b32 exec_lo, exec_lo, s16
.LBB334_478:                            ;   in Loop: Header=BB334_286 Depth=1
	s_or_b32 exec_lo, exec_lo, s15
	v_cmp_ne_u16_sdwa s0, v15, v10 src0_sel:BYTE_1 src1_sel:DWORD
	s_and_saveexec_b32 s15, s0
	s_cbranch_execz .LBB334_486
; %bb.479:                              ;   in Loop: Header=BB334_286 Depth=1
	v_cmp_ne_u16_sdwa s0, v15, v32 src0_sel:BYTE_1 src1_sel:DWORD
	v_bfrev_b32_e32 v68, 1
	s_and_saveexec_b32 s16, s0
	s_cbranch_execz .LBB334_485
; %bb.480:                              ;   in Loop: Header=BB334_286 Depth=1
	v_and_b32_sdwa v9, v33, v15 dst_sel:DWORD dst_unused:UNUSED_PAD src0_sel:DWORD src1_sel:BYTE_1
	v_mov_b32_e32 v68, 0x7f800001
	s_mov_b32 s17, exec_lo
	v_and_b32_e32 v18, 0x7f, v9
	v_cmpx_ne_u32_e32 0x7f, v18
	s_cbranch_execz .LBB334_484
; %bb.481:                              ;   in Loop: Header=BB334_286 Depth=1
	v_and_b32_e32 v9, 7, v9
	v_lshrrev_b32_e32 v17, 3, v18
	s_mov_b32 s18, exec_lo
	v_cmpx_gt_u32_e32 8, v18
; %bb.482:                              ;   in Loop: Header=BB334_286 Depth=1
	v_ffbh_u32_e32 v17, v9
	v_min_u32_e32 v17, 32, v17
	v_subrev_nc_u32_e32 v18, 28, v17
	v_sub_nc_u32_e32 v17, 29, v17
	v_lshlrev_b64 v[68:69], v18, v[9:10]
	v_and_b32_e32 v9, 7, v68
; %bb.483:                              ;   in Loop: Header=BB334_286 Depth=1
	s_or_b32 exec_lo, exec_lo, s18
	v_lshlrev_b32_e32 v18, 16, v15
	v_lshlrev_b32_e32 v9, 20, v9
	v_lshl_add_u32 v17, v17, 23, 0x3c000000
	v_and_b32_e32 v18, 0x80000000, v18
	v_or3_b32 v68, v9, v18, v17
.LBB334_484:                            ;   in Loop: Header=BB334_286 Depth=1
	s_or_b32 exec_lo, exec_lo, s17
.LBB334_485:                            ;   in Loop: Header=BB334_286 Depth=1
	s_or_b32 exec_lo, exec_lo, s16
.LBB334_486:                            ;   in Loop: Header=BB334_286 Depth=1
	s_or_b32 exec_lo, exec_lo, s15
	v_and_b32_sdwa v9, v15, v34 dst_sel:DWORD dst_unused:UNUSED_PAD src0_sel:WORD_1 src1_sel:DWORD
	v_mov_b32_e32 v70, 0
	v_mov_b32_e32 v69, 0
	s_mov_b32 s15, exec_lo
	v_cmpx_ne_u16_e32 0, v9
	s_cbranch_execz .LBB334_494
; %bb.487:                              ;   in Loop: Header=BB334_286 Depth=1
	v_bfrev_b32_e32 v69, 1
	s_mov_b32 s16, exec_lo
	v_cmpx_ne_u16_e32 0x80, v9
	s_cbranch_execz .LBB334_493
; %bb.488:                              ;   in Loop: Header=BB334_286 Depth=1
	v_bfe_u32 v18, v15, 16, 7
	v_mov_b32_e32 v69, 0x7f800001
	s_mov_b32 s17, exec_lo
	v_cmpx_ne_u32_e32 0x7f, v18
	s_cbranch_execz .LBB334_492
; %bb.489:                              ;   in Loop: Header=BB334_286 Depth=1
	v_and_b32_sdwa v9, v15, v35 dst_sel:DWORD dst_unused:UNUSED_PAD src0_sel:WORD_1 src1_sel:DWORD
	v_lshrrev_b32_e32 v17, 3, v18
	s_mov_b32 s18, exec_lo
	v_cmpx_gt_u32_e32 8, v18
; %bb.490:                              ;   in Loop: Header=BB334_286 Depth=1
	v_ffbh_u32_e32 v17, v9
	v_min_u32_e32 v17, 32, v17
	v_subrev_nc_u32_e32 v18, 28, v17
	v_sub_nc_u32_e32 v17, 29, v17
	v_lshlrev_b64 v[71:72], v18, v[9:10]
	v_and_b32_e32 v9, 7, v71
; %bb.491:                              ;   in Loop: Header=BB334_286 Depth=1
	s_or_b32 exec_lo, exec_lo, s18
	v_lshlrev_b32_sdwa v18, v36, v15 dst_sel:DWORD dst_unused:UNUSED_PAD src0_sel:DWORD src1_sel:WORD_1
	v_lshlrev_b32_e32 v9, 20, v9
	v_lshl_add_u32 v17, v17, 23, 0x3c000000
	v_and_b32_e32 v18, 0x80000000, v18
	v_or3_b32 v69, v9, v18, v17
.LBB334_492:                            ;   in Loop: Header=BB334_286 Depth=1
	s_or_b32 exec_lo, exec_lo, s17
.LBB334_493:                            ;   in Loop: Header=BB334_286 Depth=1
	s_or_b32 exec_lo, exec_lo, s16
.LBB334_494:                            ;   in Loop: Header=BB334_286 Depth=1
	s_or_b32 exec_lo, exec_lo, s15
	s_mov_b32 s15, exec_lo
	v_cmpx_lt_u32_e32 0xffffff, v15
	s_cbranch_execz .LBB334_502
; %bb.495:                              ;   in Loop: Header=BB334_286 Depth=1
	v_cmp_ne_u32_sdwa s0, v15, v32 src0_sel:BYTE_3 src1_sel:DWORD
	v_bfrev_b32_e32 v70, 1
	s_and_saveexec_b32 s16, s0
	s_cbranch_execz .LBB334_501
; %bb.496:                              ;   in Loop: Header=BB334_286 Depth=1
	v_bfe_u32 v18, v15, 24, 7
	v_mov_b32_e32 v70, 0x7f800001
	s_mov_b32 s17, exec_lo
	v_cmpx_ne_u32_e32 0x7f, v18
	s_cbranch_execz .LBB334_500
; %bb.497:                              ;   in Loop: Header=BB334_286 Depth=1
	v_and_b32_sdwa v9, v15, v35 dst_sel:DWORD dst_unused:UNUSED_PAD src0_sel:BYTE_3 src1_sel:DWORD
	v_lshrrev_b32_e32 v17, 3, v18
	s_mov_b32 s18, exec_lo
	v_cmpx_gt_u32_e32 8, v18
; %bb.498:                              ;   in Loop: Header=BB334_286 Depth=1
	v_ffbh_u32_e32 v17, v9
	v_min_u32_e32 v17, 32, v17
	v_subrev_nc_u32_e32 v18, 28, v17
	v_sub_nc_u32_e32 v17, 29, v17
	v_lshlrev_b64 v[70:71], v18, v[9:10]
	v_and_b32_e32 v9, 7, v70
; %bb.499:                              ;   in Loop: Header=BB334_286 Depth=1
	s_or_b32 exec_lo, exec_lo, s18
	v_lshlrev_b32_sdwa v18, v36, v15 dst_sel:DWORD dst_unused:UNUSED_PAD src0_sel:DWORD src1_sel:BYTE_3
	v_lshlrev_b32_e32 v9, 20, v9
	v_lshl_add_u32 v17, v17, 23, 0x3c000000
	v_and_b32_e32 v18, 0x80000000, v18
	v_or3_b32 v70, v9, v18, v17
.LBB334_500:                            ;   in Loop: Header=BB334_286 Depth=1
	s_or_b32 exec_lo, exec_lo, s17
.LBB334_501:                            ;   in Loop: Header=BB334_286 Depth=1
	s_or_b32 exec_lo, exec_lo, s16
.LBB334_502:                            ;   in Loop: Header=BB334_286 Depth=1
	s_or_b32 exec_lo, exec_lo, s15
	v_mov_b32_e32 v9, v16
	v_cmp_ne_u16_sdwa s0, v16, v10 src0_sel:BYTE_0 src1_sel:DWORD
	v_mov_b32_e32 v17, 0
	v_mov_b32_e32 v71, 0
	s_and_saveexec_b32 s15, s0
	s_cbranch_execz .LBB334_508
; %bb.503:                              ;   in Loop: Header=BB334_286 Depth=1
	v_cmp_ne_u16_sdwa s0, v16, v32 src0_sel:BYTE_0 src1_sel:DWORD
	v_bfrev_b32_e32 v71, 1
	s_and_saveexec_b32 s16, s0
	s_cbranch_execz .LBB334_507
; %bb.504:                              ;   in Loop: Header=BB334_286 Depth=1
	v_and_b32_e32 v18, 0x7f, v16
	v_mov_b32_e32 v71, 0x7f800001
	s_mov_b32 s17, exec_lo
	v_cmpx_ne_u32_e32 0x7f, v18
	s_cbranch_execz .LBB334_506
; %bb.505:                              ;   in Loop: Header=BB334_286 Depth=1
	v_and_b32_e32 v71, 7, v16
	v_lshrrev_b32_e32 v72, 3, v18
	v_cmp_gt_u32_e64 s0, 8, v18
	v_ffbh_u32_e32 v71, v71
	v_min_u32_e32 v71, 32, v71
	v_subrev_nc_u32_e32 v73, 28, v71
	v_sub_nc_u32_e32 v71, 29, v71
	v_cndmask_b32_e64 v18, v72, v71, s0
	v_cndmask_b32_e64 v71, 0, v73, s0
	v_lshl_add_u32 v18, v18, 23, 0x3c000000
	v_lshlrev_b64 v[71:72], v71, v[9:10]
	v_lshlrev_b32_e32 v72, 24, v9
	v_lshlrev_b32_e32 v71, 20, v71
	v_and_b32_e32 v72, 0x80000000, v72
	v_and_b32_e32 v71, 0x700000, v71
	v_or3_b32 v71, v71, v72, v18
.LBB334_506:                            ;   in Loop: Header=BB334_286 Depth=1
	s_or_b32 exec_lo, exec_lo, s17
.LBB334_507:                            ;   in Loop: Header=BB334_286 Depth=1
	s_or_b32 exec_lo, exec_lo, s16
.LBB334_508:                            ;   in Loop: Header=BB334_286 Depth=1
	s_or_b32 exec_lo, exec_lo, s15
	v_cmp_ne_u16_sdwa s0, v9, v10 src0_sel:BYTE_1 src1_sel:DWORD
	s_and_saveexec_b32 s15, s0
	s_cbranch_execz .LBB334_516
; %bb.509:                              ;   in Loop: Header=BB334_286 Depth=1
	v_cmp_ne_u16_sdwa s0, v9, v32 src0_sel:BYTE_1 src1_sel:DWORD
	v_bfrev_b32_e32 v17, 1
	s_and_saveexec_b32 s16, s0
	s_cbranch_execz .LBB334_515
; %bb.510:                              ;   in Loop: Header=BB334_286 Depth=1
	v_and_b32_sdwa v18, v33, v9 dst_sel:DWORD dst_unused:UNUSED_PAD src0_sel:DWORD src1_sel:BYTE_1
	v_mov_b32_e32 v17, 0x7f800001
	s_mov_b32 s17, exec_lo
	v_and_b32_e32 v73, 0x7f, v18
	v_cmpx_ne_u32_e32 0x7f, v73
	s_cbranch_execz .LBB334_514
; %bb.511:                              ;   in Loop: Header=BB334_286 Depth=1
	v_and_b32_e32 v17, 7, v18
	v_mov_b32_e32 v18, v10
	v_lshrrev_b32_e32 v72, 3, v73
	s_mov_b32 s18, exec_lo
	v_cmpx_gt_u32_e32 8, v73
; %bb.512:                              ;   in Loop: Header=BB334_286 Depth=1
	v_ffbh_u32_e32 v72, v17
	v_min_u32_e32 v72, 32, v72
	v_subrev_nc_u32_e32 v73, 28, v72
	v_sub_nc_u32_e32 v72, 29, v72
	v_lshlrev_b64 v[17:18], v73, v[17:18]
	v_and_b32_e32 v17, 7, v17
; %bb.513:                              ;   in Loop: Header=BB334_286 Depth=1
	s_or_b32 exec_lo, exec_lo, s18
	v_lshlrev_b32_e32 v9, 16, v9
	v_lshlrev_b32_e32 v17, 20, v17
	v_lshl_add_u32 v18, v72, 23, 0x3c000000
	v_and_b32_e32 v9, 0x80000000, v9
	v_or3_b32 v17, v17, v9, v18
.LBB334_514:                            ;   in Loop: Header=BB334_286 Depth=1
	s_or_b32 exec_lo, exec_lo, s17
.LBB334_515:                            ;   in Loop: Header=BB334_286 Depth=1
	s_or_b32 exec_lo, exec_lo, s16
.LBB334_516:                            ;   in Loop: Header=BB334_286 Depth=1
	s_or_b32 exec_lo, exec_lo, s15
	v_and_b32_sdwa v9, v16, v34 dst_sel:DWORD dst_unused:UNUSED_PAD src0_sel:WORD_1 src1_sel:DWORD
	v_mov_b32_e32 v18, 0
	v_mov_b32_e32 v72, 0
	s_mov_b32 s15, exec_lo
	v_cmpx_ne_u16_e32 0, v9
	s_cbranch_execz .LBB334_524
; %bb.517:                              ;   in Loop: Header=BB334_286 Depth=1
	v_bfrev_b32_e32 v72, 1
	s_mov_b32 s16, exec_lo
	v_cmpx_ne_u16_e32 0x80, v9
	s_cbranch_execz .LBB334_523
; %bb.518:                              ;   in Loop: Header=BB334_286 Depth=1
	v_bfe_u32 v73, v16, 16, 7
	v_mov_b32_e32 v72, 0x7f800001
	s_mov_b32 s17, exec_lo
	v_cmpx_ne_u32_e32 0x7f, v73
	s_cbranch_execz .LBB334_522
; %bb.519:                              ;   in Loop: Header=BB334_286 Depth=1
	v_and_b32_sdwa v9, v16, v35 dst_sel:DWORD dst_unused:UNUSED_PAD src0_sel:WORD_1 src1_sel:DWORD
	v_lshrrev_b32_e32 v72, 3, v73
	s_mov_b32 s18, exec_lo
	v_cmpx_gt_u32_e32 8, v73
; %bb.520:                              ;   in Loop: Header=BB334_286 Depth=1
	v_ffbh_u32_e32 v72, v9
	v_min_u32_e32 v72, 32, v72
	v_subrev_nc_u32_e32 v73, 28, v72
	v_sub_nc_u32_e32 v72, 29, v72
	v_lshlrev_b64 v[73:74], v73, v[9:10]
	v_and_b32_e32 v9, 7, v73
; %bb.521:                              ;   in Loop: Header=BB334_286 Depth=1
	s_or_b32 exec_lo, exec_lo, s18
	v_lshlrev_b32_sdwa v73, v36, v16 dst_sel:DWORD dst_unused:UNUSED_PAD src0_sel:DWORD src1_sel:WORD_1
	v_lshlrev_b32_e32 v9, 20, v9
	v_lshl_add_u32 v72, v72, 23, 0x3c000000
	v_and_b32_e32 v73, 0x80000000, v73
	v_or3_b32 v72, v9, v73, v72
.LBB334_522:                            ;   in Loop: Header=BB334_286 Depth=1
	s_or_b32 exec_lo, exec_lo, s17
.LBB334_523:                            ;   in Loop: Header=BB334_286 Depth=1
	s_or_b32 exec_lo, exec_lo, s16
.LBB334_524:                            ;   in Loop: Header=BB334_286 Depth=1
	s_or_b32 exec_lo, exec_lo, s15
	s_mov_b32 s15, exec_lo
	v_cmpx_lt_u64_e64 s[2:3], v[15:16]
	s_cbranch_execz .LBB334_532
; %bb.525:                              ;   in Loop: Header=BB334_286 Depth=1
	v_cmp_ne_u32_sdwa s0, v16, v32 src0_sel:BYTE_3 src1_sel:DWORD
	v_bfrev_b32_e32 v18, 1
	s_and_saveexec_b32 s16, s0
	s_cbranch_execz .LBB334_531
; %bb.526:                              ;   in Loop: Header=BB334_286 Depth=1
	v_bfe_u32 v73, v16, 24, 7
	v_mov_b32_e32 v18, 0x7f800001
	s_mov_b32 s17, exec_lo
	v_cmpx_ne_u32_e32 0x7f, v73
	s_cbranch_execz .LBB334_530
; %bb.527:                              ;   in Loop: Header=BB334_286 Depth=1
	v_and_b32_sdwa v9, v16, v35 dst_sel:DWORD dst_unused:UNUSED_PAD src0_sel:BYTE_3 src1_sel:DWORD
	v_lshrrev_b32_e32 v15, 3, v73
	s_mov_b32 s18, exec_lo
	v_cmpx_gt_u32_e32 8, v73
; %bb.528:                              ;   in Loop: Header=BB334_286 Depth=1
	v_ffbh_u32_e32 v15, v9
	v_min_u32_e32 v15, 32, v15
	v_subrev_nc_u32_e32 v18, 28, v15
	v_sub_nc_u32_e32 v15, 29, v15
	v_lshlrev_b64 v[73:74], v18, v[9:10]
	v_and_b32_e32 v9, 7, v73
; %bb.529:                              ;   in Loop: Header=BB334_286 Depth=1
	s_or_b32 exec_lo, exec_lo, s18
	v_lshlrev_b32_sdwa v16, v36, v16 dst_sel:DWORD dst_unused:UNUSED_PAD src0_sel:DWORD src1_sel:BYTE_3
	v_lshlrev_b32_e32 v9, 20, v9
	v_lshl_add_u32 v15, v15, 23, 0x3c000000
	v_and_b32_e32 v16, 0x80000000, v16
	v_or3_b32 v18, v9, v16, v15
.LBB334_530:                            ;   in Loop: Header=BB334_286 Depth=1
	s_or_b32 exec_lo, exec_lo, s17
.LBB334_531:                            ;   in Loop: Header=BB334_286 Depth=1
	s_or_b32 exec_lo, exec_lo, s16
.LBB334_532:                            ;   in Loop: Header=BB334_286 Depth=1
	s_or_b32 exec_lo, exec_lo, s15
	v_mul_f32_e32 v9, s5, v17
	v_mul_f32_e32 v15, s5, v71
	;; [unrolled: 1-line block ×5, first 2 shown]
	v_bfe_u32 v69, v9, 16, 1
	v_or_b32_e32 v70, 0x400000, v9
	v_bfe_u32 v71, v15, 16, 1
	v_cmp_u_f32_e64 s0, v9, v9
	v_or_b32_e32 v73, 0x400000, v15
	v_add3_u32 v69, v69, v9, 0x7fff
	v_bfe_u32 v74, v16, 16, 1
	v_add3_u32 v71, v71, v15, 0x7fff
	v_or_b32_e32 v75, 0x400000, v16
	v_bfe_u32 v76, v17, 16, 1
	v_cndmask_b32_e64 v9, v69, v70, s0
	v_cmp_u_f32_e64 s0, v15, v15
	v_add3_u32 v74, v74, v16, 0x7fff
	v_or_b32_e32 v70, 0x400000, v17
	v_add3_u32 v69, v76, v17, 0x7fff
	v_mul_f32_e32 v67, s5, v67
	v_cndmask_b32_e64 v15, v71, v73, s0
	v_cmp_u_f32_e64 s0, v16, v16
	v_bfe_u32 v71, v68, 16, 1
	v_mul_f32_e32 v18, s5, v18
	v_lshrrev_b32_e32 v9, 16, v9
	v_lshrrev_b32_e32 v15, 16, v15
	v_cndmask_b32_e64 v16, v74, v75, s0
	v_cmp_u_f32_e64 s0, v17, v17
	v_or_b32_e32 v75, 0x400000, v18
	v_lshrrev_b32_e32 v16, 16, v16
	v_cndmask_b32_e64 v17, v69, v70, s0
	v_mul_f32_e32 v69, s5, v72
	v_add3_u32 v70, v71, v68, 0x7fff
	v_or_b32_e32 v71, 0x400000, v68
	v_bfe_u32 v72, v67, 16, 1
	v_cmp_u_f32_e64 s0, v68, v68
	v_bfe_u32 v73, v69, 16, 1
	v_or_b32_e32 v74, 0x400000, v69
	v_cndmask_b32_e64 v68, v70, v71, s0
	v_add3_u32 v71, v72, v67, 0x7fff
	v_or_b32_e32 v72, 0x400000, v67
	v_cmp_u_f32_e64 s0, v67, v67
	v_bfe_u32 v70, v18, 16, 1
	v_add3_u32 v73, v73, v69, 0x7fff
	v_lshrrev_b32_e32 v67, 16, v17
	v_lshrrev_b32_e32 v68, 16, v68
	v_cndmask_b32_e64 v71, v71, v72, s0
	v_cmp_u_f32_e64 s0, v69, v69
	v_add3_u32 v70, v70, v18, 0x7fff
	v_lshrrev_b32_e32 v69, 16, v71
	v_cndmask_b32_e64 v72, v73, v74, s0
	v_cmp_u_f32_e64 s0, v18, v18
	v_lshrrev_b32_e32 v18, 16, v72
	v_cndmask_b32_e64 v70, v70, v75, s0
	v_lshrrev_b32_e32 v17, 16, v70
	s_and_saveexec_b32 s0, vcc_lo
	s_cbranch_execz .LBB334_285
; %bb.533:                              ;   in Loop: Header=BB334_286 Depth=1
	v_cmp_gt_i32_e32 vcc_lo, s11, v46
	v_cndmask_b32_e32 v69, 0, v69, vcc_lo
	v_cmp_gt_i32_e32 vcc_lo, s11, v52
	v_cndmask_b32_e32 v68, 0, v68, vcc_lo
	;; [unrolled: 2-line block ×8, first 2 shown]
	s_branch .LBB334_285
.LBB334_534:
	s_or_b32 exec_lo, exec_lo, s14
.LBB334_535:
	s_or_b32 exec_lo, exec_lo, s1
	ds_bpermute_b32 v1, v25, v28
	ds_bpermute_b32 v2, v25, v29
	;; [unrolled: 1-line block ×4, first 2 shown]
	v_lshrrev_b32_e32 v5, 1, v24
	v_lshlrev_b32_e32 v7, 8, v23
	v_and_b32_e32 v10, 0x3c1, v0
	s_mov_b32 s0, exec_lo
	s_waitcnt lgkmcnt(0)
	v_lshl_add_u32 v6, v5, 2, 0xa0
	s_barrier
	buffer_gl0_inv
	v_add_f32_e32 v4, v28, v1
	v_add_f32_e32 v3, v29, v2
	;; [unrolled: 1-line block ×4, first 2 shown]
	v_cmpx_eq_u32_e32 64, v10
	s_cbranch_execz .LBB334_537
; %bb.536:
	v_add_nc_u32_e32 v8, v6, v7
	v_add_nc_u32_e32 v9, 0xfffffe00, v8
	;; [unrolled: 1-line block ×5, first 2 shown]
	ds_write_b32 v9, v4
	ds_write_b32 v10, v3
	;; [unrolled: 1-line block ×4, first 2 shown]
.LBB334_537:
	s_or_b32 exec_lo, exec_lo, s0
	v_lshlrev_b32_e32 v5, 2, v5
	s_mov_b32 s1, exec_lo
	v_cmp_eq_u32_e32 vcc_lo, 0, v22
	s_waitcnt lgkmcnt(0)
	s_barrier
	v_add3_u32 v5, 0xa0, v7, v5
	buffer_gl0_inv
	v_cmpx_gt_u32_e32 64, v0
	s_cbranch_execz .LBB334_544
; %bb.538:
	s_and_saveexec_b32 s0, vcc_lo
	s_cbranch_execnz .LBB334_556
; %bb.539:
	s_or_b32 exec_lo, exec_lo, s0
	s_and_saveexec_b32 s0, vcc_lo
	s_cbranch_execnz .LBB334_557
.LBB334_540:
	s_or_b32 exec_lo, exec_lo, s0
	s_and_saveexec_b32 s0, vcc_lo
	s_cbranch_execnz .LBB334_558
.LBB334_541:
	s_or_b32 exec_lo, exec_lo, s0
	s_and_saveexec_b32 s0, vcc_lo
	s_cbranch_execz .LBB334_543
.LBB334_542:
	ds_read_b32 v7, v5 offset:192
	s_waitcnt lgkmcnt(0)
	v_add_f32_e32 v1, v1, v7
.LBB334_543:
	s_or_b32 exec_lo, exec_lo, s0
.LBB334_544:
	s_or_b32 exec_lo, exec_lo, s1
	v_and_b32_e32 v7, 0x3e1, v0
	s_mov_b32 s1, exec_lo
	s_barrier
	buffer_gl0_inv
	v_cmpx_eq_u32_e32 32, v7
	s_cbranch_execz .LBB334_546
; %bb.545:
	ds_write2_b32 v6, v4, v3 offset1:16
	ds_write2_b32 v6, v2, v1 offset0:32 offset1:48
.LBB334_546:
	s_or_b32 exec_lo, exec_lo, s1
	s_mov_b32 s1, exec_lo
	s_waitcnt lgkmcnt(0)
	s_barrier
	buffer_gl0_inv
	v_cmpx_gt_u32_e32 32, v0
	s_cbranch_execz .LBB334_553
; %bb.547:
	s_and_saveexec_b32 s0, vcc_lo
	s_cbranch_execnz .LBB334_559
; %bb.548:
	s_or_b32 exec_lo, exec_lo, s0
	s_and_saveexec_b32 s0, vcc_lo
	s_cbranch_execnz .LBB334_560
.LBB334_549:
	s_or_b32 exec_lo, exec_lo, s0
	s_and_saveexec_b32 s0, vcc_lo
	s_cbranch_execnz .LBB334_561
.LBB334_550:
	s_or_b32 exec_lo, exec_lo, s0
	s_and_saveexec_b32 s0, vcc_lo
	s_cbranch_execz .LBB334_552
.LBB334_551:
	ds_read_b32 v0, v5 offset:192
	s_waitcnt lgkmcnt(0)
	v_add_f32_e32 v1, v1, v0
.LBB334_552:
	s_or_b32 exec_lo, exec_lo, s0
.LBB334_553:
	s_or_b32 exec_lo, exec_lo, s1
	s_barrier
	buffer_gl0_inv
	s_mov_b32 s0, exec_lo
	v_cmpx_eq_u32_e32 0, v7
	s_cbranch_execz .LBB334_555
; %bb.554:
	v_bfe_u32 v5, v4, 16, 1
	s_mul_i32 s0, s10, s7
	v_or_b32_e32 v6, 0x400000, v4
	s_mul_i32 s0, s0, s9
	v_bfe_u32 v7, v3, 16, 1
	v_add3_u32 v5, v5, v4, 0x7fff
	v_cmp_u_f32_e32 vcc_lo, v4, v4
	s_lshl_b32 s0, s0, 6
	v_bfe_u32 v8, v2, 16, 1
	s_ashr_i32 s1, s0, 31
	s_mul_i32 s2, s7, s6
	s_lshl_b64 s[0:1], s[0:1], 1
	v_cndmask_b32_e32 v4, v5, v6, vcc_lo
	v_add3_u32 v6, v7, v3, 0x7fff
	v_or_b32_e32 v7, 0x400000, v3
	v_cmp_u_f32_e32 vcc_lo, v3, v3
	s_add_u32 s4, s20, s0
	s_addc_u32 s5, s21, s1
	s_ashr_i32 s3, s2, 31
	v_bfe_u32 v5, v1, 16, 1
	s_lshl_b64 s[0:1], s[2:3], 1
	v_add3_u32 v8, v8, v2, 0x7fff
	v_or_b32_e32 v9, 0x400000, v2
	v_cndmask_b32_e32 v3, v6, v7, vcc_lo
	v_cmp_u_f32_e32 vcc_lo, v2, v2
	s_add_u32 s2, s4, s0
	s_addc_u32 s3, s5, s1
	s_lshl_b32 s0, s8, 6
	v_add3_u32 v5, v5, v1, 0x7fff
	s_ashr_i32 s1, s0, 31
	v_or_b32_e32 v10, 0x400000, v1
	v_cndmask_b32_e32 v2, v8, v9, vcc_lo
	v_cmp_u_f32_e32 vcc_lo, v1, v1
	v_lshlrev_b32_e32 v0, 1, v21
	s_lshl_b64 s[0:1], s[0:1], 1
	s_add_u32 s0, s2, s0
	s_addc_u32 s1, s3, s1
	v_cndmask_b32_e32 v1, v5, v10, vcc_lo
	global_store_short_d16_hi v0, v4, s[0:1]
	global_store_short_d16_hi v0, v3, s[0:1] offset:32
	global_store_short_d16_hi v0, v2, s[0:1] offset:64
	;; [unrolled: 1-line block ×3, first 2 shown]
.LBB334_555:
	s_endpgm
.LBB334_556:
	ds_read_b32 v7, v5
	s_waitcnt lgkmcnt(0)
	v_add_f32_e32 v4, v4, v7
	s_or_b32 exec_lo, exec_lo, s0
	s_and_saveexec_b32 s0, vcc_lo
	s_cbranch_execz .LBB334_540
.LBB334_557:
	ds_read_b32 v7, v5 offset:64
	s_waitcnt lgkmcnt(0)
	v_add_f32_e32 v3, v3, v7
	s_or_b32 exec_lo, exec_lo, s0
	s_and_saveexec_b32 s0, vcc_lo
	s_cbranch_execz .LBB334_541
.LBB334_558:
	ds_read_b32 v7, v5 offset:128
	s_waitcnt lgkmcnt(0)
	v_add_f32_e32 v2, v2, v7
	s_or_b32 exec_lo, exec_lo, s0
	s_and_saveexec_b32 s0, vcc_lo
	s_cbranch_execnz .LBB334_542
	s_branch .LBB334_543
.LBB334_559:
	ds_read_b32 v0, v5
	s_waitcnt lgkmcnt(0)
	v_add_f32_e32 v4, v4, v0
	s_or_b32 exec_lo, exec_lo, s0
	s_and_saveexec_b32 s0, vcc_lo
	s_cbranch_execz .LBB334_549
.LBB334_560:
	ds_read_b32 v0, v5 offset:64
	s_waitcnt lgkmcnt(0)
	v_add_f32_e32 v3, v3, v0
	s_or_b32 exec_lo, exec_lo, s0
	s_and_saveexec_b32 s0, vcc_lo
	s_cbranch_execz .LBB334_550
.LBB334_561:
	ds_read_b32 v0, v5 offset:128
	s_waitcnt lgkmcnt(0)
	v_add_f32_e32 v2, v2, v0
	s_or_b32 exec_lo, exec_lo, s0
	s_and_saveexec_b32 s0, vcc_lo
	s_cbranch_execnz .LBB334_551
	s_branch .LBB334_552
	.section	.rodata,"a",@progbits
	.p2align	6, 0x0
	.amdhsa_kernel _ZN4vllm25paged_attention_v1_kernelI14__hip_bfloat16hLi64ELi16ELi128ELNS_18Fp8KVCacheDataTypeE1ELb0EEEvPT_PKS3_PKT0_S9_ifPKiSB_iPKfiiiSD_SD_iiiii
		.amdhsa_group_segment_fixed_size 160
		.amdhsa_private_segment_fixed_size 0
		.amdhsa_kernarg_size 384
		.amdhsa_user_sgpr_count 6
		.amdhsa_user_sgpr_private_segment_buffer 1
		.amdhsa_user_sgpr_dispatch_ptr 0
		.amdhsa_user_sgpr_queue_ptr 0
		.amdhsa_user_sgpr_kernarg_segment_ptr 1
		.amdhsa_user_sgpr_dispatch_id 0
		.amdhsa_user_sgpr_flat_scratch_init 0
		.amdhsa_user_sgpr_private_segment_size 0
		.amdhsa_wavefront_size32 1
		.amdhsa_uses_dynamic_stack 0
		.amdhsa_system_sgpr_private_segment_wavefront_offset 0
		.amdhsa_system_sgpr_workgroup_id_x 1
		.amdhsa_system_sgpr_workgroup_id_y 1
		.amdhsa_system_sgpr_workgroup_id_z 1
		.amdhsa_system_sgpr_workgroup_info 0
		.amdhsa_system_vgpr_workitem_id 0
		.amdhsa_next_free_vgpr 93
		.amdhsa_next_free_sgpr 34
		.amdhsa_reserve_vcc 1
		.amdhsa_reserve_flat_scratch 0
		.amdhsa_float_round_mode_32 0
		.amdhsa_float_round_mode_16_64 0
		.amdhsa_float_denorm_mode_32 3
		.amdhsa_float_denorm_mode_16_64 3
		.amdhsa_dx10_clamp 1
		.amdhsa_ieee_mode 1
		.amdhsa_fp16_overflow 0
		.amdhsa_workgroup_processor_mode 1
		.amdhsa_memory_ordered 1
		.amdhsa_forward_progress 1
		.amdhsa_shared_vgpr_count 0
		.amdhsa_exception_fp_ieee_invalid_op 0
		.amdhsa_exception_fp_denorm_src 0
		.amdhsa_exception_fp_ieee_div_zero 0
		.amdhsa_exception_fp_ieee_overflow 0
		.amdhsa_exception_fp_ieee_underflow 0
		.amdhsa_exception_fp_ieee_inexact 0
		.amdhsa_exception_int_div_zero 0
	.end_amdhsa_kernel
	.section	.text._ZN4vllm25paged_attention_v1_kernelI14__hip_bfloat16hLi64ELi16ELi128ELNS_18Fp8KVCacheDataTypeE1ELb0EEEvPT_PKS3_PKT0_S9_ifPKiSB_iPKfiiiSD_SD_iiiii,"axG",@progbits,_ZN4vllm25paged_attention_v1_kernelI14__hip_bfloat16hLi64ELi16ELi128ELNS_18Fp8KVCacheDataTypeE1ELb0EEEvPT_PKS3_PKT0_S9_ifPKiSB_iPKfiiiSD_SD_iiiii,comdat
.Lfunc_end334:
	.size	_ZN4vllm25paged_attention_v1_kernelI14__hip_bfloat16hLi64ELi16ELi128ELNS_18Fp8KVCacheDataTypeE1ELb0EEEvPT_PKS3_PKT0_S9_ifPKiSB_iPKfiiiSD_SD_iiiii, .Lfunc_end334-_ZN4vllm25paged_attention_v1_kernelI14__hip_bfloat16hLi64ELi16ELi128ELNS_18Fp8KVCacheDataTypeE1ELb0EEEvPT_PKS3_PKT0_S9_ifPKiSB_iPKfiiiSD_SD_iiiii
                                        ; -- End function
	.set _ZN4vllm25paged_attention_v1_kernelI14__hip_bfloat16hLi64ELi16ELi128ELNS_18Fp8KVCacheDataTypeE1ELb0EEEvPT_PKS3_PKT0_S9_ifPKiSB_iPKfiiiSD_SD_iiiii.num_vgpr, 93
	.set _ZN4vllm25paged_attention_v1_kernelI14__hip_bfloat16hLi64ELi16ELi128ELNS_18Fp8KVCacheDataTypeE1ELb0EEEvPT_PKS3_PKT0_S9_ifPKiSB_iPKfiiiSD_SD_iiiii.num_agpr, 0
	.set _ZN4vllm25paged_attention_v1_kernelI14__hip_bfloat16hLi64ELi16ELi128ELNS_18Fp8KVCacheDataTypeE1ELb0EEEvPT_PKS3_PKT0_S9_ifPKiSB_iPKfiiiSD_SD_iiiii.numbered_sgpr, 34
	.set _ZN4vllm25paged_attention_v1_kernelI14__hip_bfloat16hLi64ELi16ELi128ELNS_18Fp8KVCacheDataTypeE1ELb0EEEvPT_PKS3_PKT0_S9_ifPKiSB_iPKfiiiSD_SD_iiiii.num_named_barrier, 0
	.set _ZN4vllm25paged_attention_v1_kernelI14__hip_bfloat16hLi64ELi16ELi128ELNS_18Fp8KVCacheDataTypeE1ELb0EEEvPT_PKS3_PKT0_S9_ifPKiSB_iPKfiiiSD_SD_iiiii.private_seg_size, 0
	.set _ZN4vllm25paged_attention_v1_kernelI14__hip_bfloat16hLi64ELi16ELi128ELNS_18Fp8KVCacheDataTypeE1ELb0EEEvPT_PKS3_PKT0_S9_ifPKiSB_iPKfiiiSD_SD_iiiii.uses_vcc, 1
	.set _ZN4vllm25paged_attention_v1_kernelI14__hip_bfloat16hLi64ELi16ELi128ELNS_18Fp8KVCacheDataTypeE1ELb0EEEvPT_PKS3_PKT0_S9_ifPKiSB_iPKfiiiSD_SD_iiiii.uses_flat_scratch, 0
	.set _ZN4vllm25paged_attention_v1_kernelI14__hip_bfloat16hLi64ELi16ELi128ELNS_18Fp8KVCacheDataTypeE1ELb0EEEvPT_PKS3_PKT0_S9_ifPKiSB_iPKfiiiSD_SD_iiiii.has_dyn_sized_stack, 0
	.set _ZN4vllm25paged_attention_v1_kernelI14__hip_bfloat16hLi64ELi16ELi128ELNS_18Fp8KVCacheDataTypeE1ELb0EEEvPT_PKS3_PKT0_S9_ifPKiSB_iPKfiiiSD_SD_iiiii.has_recursion, 0
	.set _ZN4vllm25paged_attention_v1_kernelI14__hip_bfloat16hLi64ELi16ELi128ELNS_18Fp8KVCacheDataTypeE1ELb0EEEvPT_PKS3_PKT0_S9_ifPKiSB_iPKfiiiSD_SD_iiiii.has_indirect_call, 0
	.section	.AMDGPU.csdata,"",@progbits
; Kernel info:
; codeLenInByte = 21124
; TotalNumSgprs: 36
; NumVgprs: 93
; ScratchSize: 0
; MemoryBound: 0
; FloatMode: 240
; IeeeMode: 1
; LDSByteSize: 160 bytes/workgroup (compile time only)
; SGPRBlocks: 0
; VGPRBlocks: 11
; NumSGPRsForWavesPerEU: 36
; NumVGPRsForWavesPerEU: 93
; Occupancy: 10
; WaveLimiterHint : 1
; COMPUTE_PGM_RSRC2:SCRATCH_EN: 0
; COMPUTE_PGM_RSRC2:USER_SGPR: 6
; COMPUTE_PGM_RSRC2:TRAP_HANDLER: 0
; COMPUTE_PGM_RSRC2:TGID_X_EN: 1
; COMPUTE_PGM_RSRC2:TGID_Y_EN: 1
; COMPUTE_PGM_RSRC2:TGID_Z_EN: 1
; COMPUTE_PGM_RSRC2:TIDIG_COMP_CNT: 0
	.section	.text._ZN4vllm25paged_attention_v1_kernelI14__hip_bfloat16hLi80ELi16ELi128ELNS_18Fp8KVCacheDataTypeE1ELb0EEEvPT_PKS3_PKT0_S9_ifPKiSB_iPKfiiiSD_SD_iiiii,"axG",@progbits,_ZN4vllm25paged_attention_v1_kernelI14__hip_bfloat16hLi80ELi16ELi128ELNS_18Fp8KVCacheDataTypeE1ELb0EEEvPT_PKS3_PKT0_S9_ifPKiSB_iPKfiiiSD_SD_iiiii,comdat
	.protected	_ZN4vllm25paged_attention_v1_kernelI14__hip_bfloat16hLi80ELi16ELi128ELNS_18Fp8KVCacheDataTypeE1ELb0EEEvPT_PKS3_PKT0_S9_ifPKiSB_iPKfiiiSD_SD_iiiii ; -- Begin function _ZN4vllm25paged_attention_v1_kernelI14__hip_bfloat16hLi80ELi16ELi128ELNS_18Fp8KVCacheDataTypeE1ELb0EEEvPT_PKS3_PKT0_S9_ifPKiSB_iPKfiiiSD_SD_iiiii
	.globl	_ZN4vllm25paged_attention_v1_kernelI14__hip_bfloat16hLi80ELi16ELi128ELNS_18Fp8KVCacheDataTypeE1ELb0EEEvPT_PKS3_PKT0_S9_ifPKiSB_iPKfiiiSD_SD_iiiii
	.p2align	8
	.type	_ZN4vllm25paged_attention_v1_kernelI14__hip_bfloat16hLi80ELi16ELi128ELNS_18Fp8KVCacheDataTypeE1ELb0EEEvPT_PKS3_PKT0_S9_ifPKiSB_iPKfiiiSD_SD_iiiii,@function
_ZN4vllm25paged_attention_v1_kernelI14__hip_bfloat16hLi80ELi16ELi128ELNS_18Fp8KVCacheDataTypeE1ELb0EEEvPT_PKS3_PKT0_S9_ifPKiSB_iPKfiiiSD_SD_iiiii: ; @_ZN4vllm25paged_attention_v1_kernelI14__hip_bfloat16hLi80ELi16ELi128ELNS_18Fp8KVCacheDataTypeE1ELb0EEEvPT_PKS3_PKT0_S9_ifPKiSB_iPKfiiiSD_SD_iiiii
; %bb.0:
	s_clause 0x2
	s_load_dword s9, s[4:5], 0x80
	s_load_dwordx2 s[0:1], s[4:5], 0x30
	s_load_dwordx2 s[28:29], s[4:5], 0x20
	s_mov_b32 s10, s7
	s_ashr_i32 s11, s7, 31
	s_lshl_b64 s[2:3], s[10:11], 2
	s_waitcnt lgkmcnt(0)
	s_add_u32 s0, s0, s2
	s_addc_u32 s1, s1, s3
	s_abs_i32 s2, s28
	s_abs_i32 s11, s9
	v_cvt_f32_u32_e32 v1, s2
	s_sub_i32 s7, 0, s2
	v_rcp_iflag_f32_e32 v1, v1
	v_mul_f32_e32 v1, 0x4f7ffffe, v1
	v_cvt_u32_f32_e32 v1, v1
	v_readfirstlane_b32 s3, v1
	s_mul_i32 s7, s7, s3
	s_mul_hi_u32 s7, s3, s7
	s_add_i32 s3, s3, s7
	s_xor_b32 s7, s9, s28
	s_mul_hi_u32 s3, s11, s3
	s_ashr_i32 s7, s7, 31
	s_mul_i32 s12, s3, s2
	s_mov_b32 s28, 0
	s_sub_i32 s11, s11, s12
	s_add_i32 s12, s3, 1
	s_sub_i32 s13, s11, s2
	s_cmp_ge_u32 s11, s2
	s_cselect_b32 s3, s12, s3
	s_cselect_b32 s11, s13, s11
	s_add_i32 s12, s3, 1
	s_cmp_ge_u32 s11, s2
	s_cselect_b32 s2, s12, s3
	s_abs_i32 s17, s6
	s_xor_b32 s2, s2, s7
	s_sub_i32 s19, s2, s7
	s_load_dwordx2 s[2:3], s[4:5], 0x40
	s_abs_i32 s16, s19
	v_cvt_f32_u32_e32 v1, s16
	s_sub_i32 s11, 0, s16
	v_rcp_iflag_f32_e32 v1, v1
	v_mul_f32_e32 v1, 0x4f7ffffe, v1
	v_cvt_u32_f32_e32 v1, v1
	v_readfirstlane_b32 s7, v1
	s_mul_i32 s11, s11, s7
	s_mul_hi_u32 s11, s7, s11
	s_add_i32 s7, s7, s11
	s_waitcnt lgkmcnt(0)
	s_cmp_eq_u64 s[2:3], 0
	s_mul_hi_u32 s18, s17, s7
	s_cbranch_scc1 .LBB335_2
; %bb.1:
	s_ashr_i32 s7, s6, 31
	s_lshl_b64 s[12:13], s[6:7], 2
	s_add_u32 s2, s2, s12
	s_addc_u32 s3, s3, s13
	s_load_dword s28, s[2:3], 0x0
.LBB335_2:
	s_load_dword s11, s[0:1], 0x0
	s_load_dwordx4 s[12:15], s[4:5], 0x48
	v_lshrrev_b32_e32 v21, 1, v0
	v_and_b32_e32 v22, 1, v0
	v_lshlrev_b32_e32 v9, 3, v0
	s_ashr_i32 s0, s6, 31
	s_ashr_i32 s1, s19, 31
	s_mulk_i32 s6, 0x50
	s_mov_b32 s2, exec_lo
	v_cmpx_gt_u32_e32 20, v0
	s_cbranch_execz .LBB335_4
; %bb.3:
	s_load_dwordx2 s[20:21], s[4:5], 0x8
	s_waitcnt lgkmcnt(0)
	s_mul_i32 s22, s12, s10
	v_lshlrev_b32_e32 v3, 3, v21
	s_ashr_i32 s23, s22, 31
	s_lshl_b64 s[22:23], s[22:23], 1
	v_mad_u32_u24 v3, 0x50, v22, v3
	s_add_u32 s3, s20, s22
	s_addc_u32 s12, s21, s23
	s_ashr_i32 s7, s6, 31
	s_lshl_b64 s[20:21], s[6:7], 1
	s_add_u32 s20, s3, s20
	s_addc_u32 s21, s12, s21
	global_load_dwordx2 v[1:2], v9, s[20:21]
	s_waitcnt vmcnt(0)
	ds_write_b64 v3, v[1:2]
.LBB335_4:
	s_or_b32 exec_lo, exec_lo, s2
	s_waitcnt lgkmcnt(0)
	s_add_i32 s2, s11, 15
	s_clause 0x1
	s_load_dwordx2 s[22:23], s[4:5], 0x28
	s_load_dword s7, s[4:5], 0x38
	s_ashr_i32 s3, s2, 31
	s_xor_b32 s0, s0, s1
	s_lshr_b32 s3, s3, 28
	s_mul_i32 s1, s18, s16
	s_add_i32 s2, s2, s3
	s_sub_i32 s1, s17, s1
	s_ashr_i32 s12, s2, 4
	s_add_i32 s2, s18, 1
	s_sub_i32 s3, s1, s16
	s_cmp_ge_u32 s1, s16
	v_lshrrev_b32_e32 v23, 5, v0
	s_cselect_b32 s2, s2, s18
	s_cselect_b32 s1, s3, s1
	s_add_i32 s3, s2, 1
	s_cmp_ge_u32 s1, s16
	v_mbcnt_lo_u32_b32 v10, -1, 0
	s_cselect_b32 s1, s3, s2
	s_mov_b32 s2, exec_lo
	s_xor_b32 s1, s1, s0
	s_waitcnt lgkmcnt(0)
	s_mul_i32 s24, s7, s10
	s_sub_i32 s1, s1, s0
	v_cmp_gt_i32_e64 s0, s12, v23
	s_ashr_i32 s25, s24, 31
	s_barrier
	buffer_gl0_inv
                                        ; implicit-def: $vgpr2
                                        ; implicit-def: $vgpr11
	v_cmpx_le_i32_e64 s12, v23
	s_xor_b32 s2, exec_lo, s2
; %bb.5:
	v_mov_b32_e32 v2, 0
	v_mbcnt_lo_u32_b32 v10, -1, 0
	v_mov_b32_e32 v11, 32
; %bb.6:
	s_or_saveexec_b32 s15, s2
	s_clause 0x3
	s_load_dwordx2 s[20:21], s[4:5], 0x0
	s_load_dwordx2 s[26:27], s[4:5], 0x18
	s_load_dword s7, s[4:5], 0x88
	s_load_dwordx4 s[16:19], s[4:5], 0x58
	v_mov_b32_e32 v50, 0xff7fffff
	v_lshrrev_b32_e32 v13, 3, v0
	s_mul_i32 s14, s1, s14
	s_xor_b32 exec_lo, exec_lo, s15
	s_cbranch_execz .LBB335_332
; %bb.7:
	v_mul_u32_u24_e32 v11, 0x50, v22
	s_load_dwordx2 s[2:3], s[4:5], 0x10
	v_bfe_u32 v50, v0, 1, 4
	s_ashr_i32 s1, s14, 31
	v_lshlrev_b32_e32 v58, 2, v22
	ds_read_b128 v[1:4], v11
	ds_read_b128 v[5:8], v11 offset:16
	v_lshlrev_b32_e32 v12, 4, v50
	ds_read_b128 v[36:39], v11 offset:32
	ds_read_b128 v[44:47], v11 offset:48
	s_waitcnt lgkmcnt(0)
	s_load_dword s4, s[16:17], 0x0
	v_mov_b32_e32 v61, 0xffff
	v_mov_b32_e32 v62, 0xff
	;; [unrolled: 1-line block ×5, first 2 shown]
	s_mov_b32 s17, s13
	s_mov_b32 s16, 0
	s_add_u32 s2, s2, s14
	s_addc_u32 s1, s3, s1
	v_add_co_u32 v59, s2, s2, v12
	v_lshlrev_b32_e32 v12, 16, v1
	v_and_b32_e32 v14, 0xffff0000, v1
	v_lshlrev_b32_e32 v15, 16, v2
	v_and_b32_e32 v16, 0xffff0000, v2
	;; [unrolled: 2-line block ×4, first 2 shown]
	ds_read_b128 v[1:4], v11 offset:64
	v_lshlrev_b32_e32 v24, 16, v5
	v_and_b32_e32 v25, 0xffff0000, v5
	v_xor_b32_e32 v5, 1, v10
	v_add_co_ci_u32_e64 v60, null, s1, 0, s2
	s_sub_i32 s5, 1, s11
	v_lshlrev_b32_e32 v26, 16, v6
	v_cmp_gt_i32_e32 vcc_lo, 32, v5
	v_and_b32_e32 v27, 0xffff0000, v6
	v_lshlrev_b32_e32 v28, 16, v7
	v_and_b32_e32 v29, 0xffff0000, v7
	v_lshlrev_b32_e32 v30, 16, v8
	;; [unrolled: 2-line block ×5, first 2 shown]
	v_and_b32_e32 v37, 0xffff0000, v38
	s_waitcnt lgkmcnt(0)
	v_lshlrev_b32_e32 v48, 16, v1
	v_and_b32_e32 v49, 0xffff0000, v1
	v_cndmask_b32_e32 v1, v10, v5, vcc_lo
	v_lshlrev_b32_e32 v53, 16, v3
	v_and_b32_e32 v54, 0xffff0000, v3
	v_add_co_u32 v3, s2, v59, v58
	v_lshlrev_b32_e32 v57, 2, v1
	v_lshlrev_b32_e32 v1, 2, v50
	;; [unrolled: 1-line block ×3, first 2 shown]
	v_and_b32_e32 v52, 0xffff0000, v2
	v_and_b32_e32 v2, 0x7c, v13
	v_lshlrev_b32_e32 v55, 16, v4
	v_and_b32_e32 v56, 0xffff0000, v4
	v_add_co_ci_u32_e64 v4, null, 0, v60, s2
	s_lshl_b64 s[2:3], s[24:25], 2
	v_lshl_or_b32 v1, v23, 6, v1
	s_add_u32 s2, s22, s2
	s_addc_u32 s3, s23, s3
	v_add_co_u32 v5, s2, s2, v2
	v_lshlrev_b32_e32 v38, 16, v39
	v_and_b32_e32 v39, 0xffff0000, v39
	v_lshlrev_b32_e32 v40, 16, v44
	v_and_b32_e32 v41, 0xffff0000, v44
	;; [unrolled: 2-line block ×5, first 2 shown]
	v_mov_b32_e32 v11, 32
	v_cmp_neq_f32_e64 s1, s28, 0
	v_lshl_or_b32 v58, v23, 4, v50
	v_add_nc_u32_e32 v59, 0xc0, v1
	v_add_co_ci_u32_e64 v6, null, s3, 0, s2
	v_mov_b32_e32 v50, 0xff7fffff
	v_mov_b32_e32 v60, 0x80
	;; [unrolled: 1-line block ×3, first 2 shown]
	v_cmp_eq_u32_e32 vcc_lo, 0, v22
	s_branch .LBB335_9
.LBB335_8:                              ;   in Loop: Header=BB335_9 Depth=1
	s_or_b32 exec_lo, exec_lo, s3
	v_add_nc_u32_e32 v65, 4, v65
	v_add_co_u32 v5, s3, v5, 16
	v_add_nc_u32_e32 v58, 64, v58
	v_add_nc_u32_e32 v59, 0x100, v59
	v_cmp_le_i32_e64 s2, s12, v65
	v_add_co_ci_u32_e64 v6, null, 0, v6, s3
	s_or_b32 s16, s2, s16
	s_andn2_b32 exec_lo, exec_lo, s16
	s_cbranch_execz .LBB335_331
.LBB335_9:                              ; =>This Inner Loop Header: Depth=1
	global_load_dword v1, v[5:6], off
	v_mov_b32_e32 v66, 0
	s_waitcnt vmcnt(0) lgkmcnt(0)
	v_mad_i64_i32 v[7:8], null, v1, s17, v[3:4]
	global_load_dword v70, v[7:8], off
	s_waitcnt vmcnt(0)
	v_cmp_ne_u16_sdwa s2, v70, v2 src0_sel:BYTE_0 src1_sel:DWORD
	s_and_saveexec_b32 s3, s2
	s_cbranch_execz .LBB335_17
; %bb.10:                               ;   in Loop: Header=BB335_9 Depth=1
	v_cmp_ne_u16_sdwa s2, v70, v60 src0_sel:BYTE_0 src1_sel:DWORD
	v_bfrev_b32_e32 v66, 1
	s_and_saveexec_b32 s30, s2
	s_cbranch_execz .LBB335_16
; %bb.11:                               ;   in Loop: Header=BB335_9 Depth=1
	v_and_b32_e32 v67, 0x7f, v70
	v_mov_b32_e32 v66, 0x7f800001
	s_mov_b32 s31, exec_lo
	v_cmpx_ne_u32_e32 0x7f, v67
	s_cbranch_execz .LBB335_15
; %bb.12:                               ;   in Loop: Header=BB335_9 Depth=1
	v_and_b32_e32 v1, 7, v70
	v_lshrrev_b32_e32 v66, 3, v67
	s_mov_b32 s33, exec_lo
	v_cmpx_gt_u32_e32 8, v67
; %bb.13:                               ;   in Loop: Header=BB335_9 Depth=1
	v_ffbh_u32_e32 v66, v1
	v_min_u32_e32 v66, 32, v66
	v_subrev_nc_u32_e32 v67, 28, v66
	v_sub_nc_u32_e32 v66, 29, v66
	v_lshlrev_b64 v[67:68], v67, v[1:2]
	v_and_b32_e32 v1, 7, v67
; %bb.14:                               ;   in Loop: Header=BB335_9 Depth=1
	s_or_b32 exec_lo, exec_lo, s33
	v_lshlrev_b32_e32 v67, 24, v70
	v_lshlrev_b32_e32 v1, 20, v1
	v_lshl_add_u32 v66, v66, 23, 0x3c000000
	v_and_b32_e32 v67, 0x80000000, v67
	v_or3_b32 v66, v1, v67, v66
.LBB335_15:                             ;   in Loop: Header=BB335_9 Depth=1
	s_or_b32 exec_lo, exec_lo, s31
.LBB335_16:                             ;   in Loop: Header=BB335_9 Depth=1
	s_or_b32 exec_lo, exec_lo, s30
.LBB335_17:                             ;   in Loop: Header=BB335_9 Depth=1
	s_or_b32 exec_lo, exec_lo, s3
	v_cmp_ne_u16_sdwa s2, v70, v2 src0_sel:BYTE_1 src1_sel:DWORD
	v_mov_b32_e32 v67, 0
	s_and_saveexec_b32 s3, s2
	s_cbranch_execz .LBB335_25
; %bb.18:                               ;   in Loop: Header=BB335_9 Depth=1
	v_cmp_ne_u16_sdwa s2, v70, v60 src0_sel:BYTE_1 src1_sel:DWORD
	v_bfrev_b32_e32 v67, 1
	s_and_saveexec_b32 s30, s2
	s_cbranch_execz .LBB335_24
; %bb.19:                               ;   in Loop: Header=BB335_9 Depth=1
	v_and_b32_sdwa v1, v61, v70 dst_sel:DWORD dst_unused:UNUSED_PAD src0_sel:DWORD src1_sel:BYTE_1
	v_mov_b32_e32 v67, 0x7f800001
	s_mov_b32 s31, exec_lo
	v_and_b32_e32 v68, 0x7f, v1
	v_cmpx_ne_u32_e32 0x7f, v68
	s_cbranch_execz .LBB335_23
; %bb.20:                               ;   in Loop: Header=BB335_9 Depth=1
	v_and_b32_e32 v1, 7, v1
	v_lshrrev_b32_e32 v67, 3, v68
	s_mov_b32 s33, exec_lo
	v_cmpx_gt_u32_e32 8, v68
; %bb.21:                               ;   in Loop: Header=BB335_9 Depth=1
	v_ffbh_u32_e32 v67, v1
	v_min_u32_e32 v67, 32, v67
	v_subrev_nc_u32_e32 v68, 28, v67
	v_sub_nc_u32_e32 v67, 29, v67
	v_lshlrev_b64 v[68:69], v68, v[1:2]
	v_and_b32_e32 v1, 7, v68
; %bb.22:                               ;   in Loop: Header=BB335_9 Depth=1
	s_or_b32 exec_lo, exec_lo, s33
	v_lshlrev_b32_e32 v68, 16, v70
	v_lshlrev_b32_e32 v1, 20, v1
	v_lshl_add_u32 v67, v67, 23, 0x3c000000
	v_and_b32_e32 v68, 0x80000000, v68
	v_or3_b32 v67, v1, v68, v67
.LBB335_23:                             ;   in Loop: Header=BB335_9 Depth=1
	s_or_b32 exec_lo, exec_lo, s31
.LBB335_24:                             ;   in Loop: Header=BB335_9 Depth=1
	s_or_b32 exec_lo, exec_lo, s30
.LBB335_25:                             ;   in Loop: Header=BB335_9 Depth=1
	s_or_b32 exec_lo, exec_lo, s3
	v_and_b32_sdwa v1, v70, v62 dst_sel:DWORD dst_unused:UNUSED_PAD src0_sel:WORD_1 src1_sel:DWORD
	v_mov_b32_e32 v68, 0
	v_mov_b32_e32 v69, 0
	s_mov_b32 s3, exec_lo
	v_cmpx_ne_u16_e32 0, v1
	s_cbranch_execz .LBB335_33
; %bb.26:                               ;   in Loop: Header=BB335_9 Depth=1
	v_bfrev_b32_e32 v69, 1
	s_mov_b32 s30, exec_lo
	v_cmpx_ne_u16_e32 0x80, v1
	s_cbranch_execz .LBB335_32
; %bb.27:                               ;   in Loop: Header=BB335_9 Depth=1
	v_bfe_u32 v71, v70, 16, 7
	v_mov_b32_e32 v69, 0x7f800001
	s_mov_b32 s31, exec_lo
	v_cmpx_ne_u32_e32 0x7f, v71
	s_cbranch_execz .LBB335_31
; %bb.28:                               ;   in Loop: Header=BB335_9 Depth=1
	v_and_b32_sdwa v1, v70, v63 dst_sel:DWORD dst_unused:UNUSED_PAD src0_sel:WORD_1 src1_sel:DWORD
	v_lshrrev_b32_e32 v69, 3, v71
	s_mov_b32 s33, exec_lo
	v_cmpx_gt_u32_e32 8, v71
; %bb.29:                               ;   in Loop: Header=BB335_9 Depth=1
	v_ffbh_u32_e32 v69, v1
	v_min_u32_e32 v69, 32, v69
	v_subrev_nc_u32_e32 v71, 28, v69
	v_sub_nc_u32_e32 v69, 29, v69
	v_lshlrev_b64 v[71:72], v71, v[1:2]
	v_and_b32_e32 v1, 7, v71
; %bb.30:                               ;   in Loop: Header=BB335_9 Depth=1
	s_or_b32 exec_lo, exec_lo, s33
	v_lshlrev_b32_sdwa v71, v64, v70 dst_sel:DWORD dst_unused:UNUSED_PAD src0_sel:DWORD src1_sel:WORD_1
	v_lshlrev_b32_e32 v1, 20, v1
	v_lshl_add_u32 v69, v69, 23, 0x3c000000
	v_and_b32_e32 v71, 0x80000000, v71
	v_or3_b32 v69, v1, v71, v69
.LBB335_31:                             ;   in Loop: Header=BB335_9 Depth=1
	s_or_b32 exec_lo, exec_lo, s31
.LBB335_32:                             ;   in Loop: Header=BB335_9 Depth=1
	s_or_b32 exec_lo, exec_lo, s30
.LBB335_33:                             ;   in Loop: Header=BB335_9 Depth=1
	s_or_b32 exec_lo, exec_lo, s3
	s_mov_b32 s3, exec_lo
	v_cmpx_lt_u32_e32 0xffffff, v70
	s_cbranch_execz .LBB335_41
; %bb.34:                               ;   in Loop: Header=BB335_9 Depth=1
	v_cmp_ne_u32_sdwa s2, v70, v60 src0_sel:BYTE_3 src1_sel:DWORD
	v_bfrev_b32_e32 v68, 1
	s_and_saveexec_b32 s30, s2
	s_cbranch_execz .LBB335_40
; %bb.35:                               ;   in Loop: Header=BB335_9 Depth=1
	v_bfe_u32 v71, v70, 24, 7
	v_mov_b32_e32 v68, 0x7f800001
	s_mov_b32 s31, exec_lo
	v_cmpx_ne_u32_e32 0x7f, v71
	s_cbranch_execz .LBB335_39
; %bb.36:                               ;   in Loop: Header=BB335_9 Depth=1
	v_and_b32_sdwa v1, v70, v63 dst_sel:DWORD dst_unused:UNUSED_PAD src0_sel:BYTE_3 src1_sel:DWORD
	v_lshrrev_b32_e32 v68, 3, v71
	s_mov_b32 s33, exec_lo
	v_cmpx_gt_u32_e32 8, v71
; %bb.37:                               ;   in Loop: Header=BB335_9 Depth=1
	v_ffbh_u32_e32 v68, v1
	v_min_u32_e32 v68, 32, v68
	v_subrev_nc_u32_e32 v71, 28, v68
	v_sub_nc_u32_e32 v68, 29, v68
	v_lshlrev_b64 v[71:72], v71, v[1:2]
	v_and_b32_e32 v1, 7, v71
; %bb.38:                               ;   in Loop: Header=BB335_9 Depth=1
	s_or_b32 exec_lo, exec_lo, s33
	v_lshlrev_b32_sdwa v70, v64, v70 dst_sel:DWORD dst_unused:UNUSED_PAD src0_sel:DWORD src1_sel:BYTE_3
	v_lshlrev_b32_e32 v1, 20, v1
	v_lshl_add_u32 v68, v68, 23, 0x3c000000
	v_and_b32_e32 v70, 0x80000000, v70
	v_or3_b32 v68, v1, v70, v68
.LBB335_39:                             ;   in Loop: Header=BB335_9 Depth=1
	s_or_b32 exec_lo, exec_lo, s31
.LBB335_40:                             ;   in Loop: Header=BB335_9 Depth=1
	s_or_b32 exec_lo, exec_lo, s30
.LBB335_41:                             ;   in Loop: Header=BB335_9 Depth=1
	s_or_b32 exec_lo, exec_lo, s3
	global_load_dword v74, v[7:8], off offset:8
	v_mov_b32_e32 v71, 0
	v_mov_b32_e32 v70, 0
	s_waitcnt vmcnt(0)
	v_cmp_ne_u16_sdwa s2, v74, v2 src0_sel:BYTE_0 src1_sel:DWORD
	s_and_saveexec_b32 s3, s2
	s_cbranch_execz .LBB335_49
; %bb.42:                               ;   in Loop: Header=BB335_9 Depth=1
	v_cmp_ne_u16_sdwa s2, v74, v60 src0_sel:BYTE_0 src1_sel:DWORD
	v_bfrev_b32_e32 v70, 1
	s_and_saveexec_b32 s30, s2
	s_cbranch_execz .LBB335_48
; %bb.43:                               ;   in Loop: Header=BB335_9 Depth=1
	v_and_b32_e32 v72, 0x7f, v74
	v_mov_b32_e32 v70, 0x7f800001
	s_mov_b32 s31, exec_lo
	v_cmpx_ne_u32_e32 0x7f, v72
	s_cbranch_execz .LBB335_47
; %bb.44:                               ;   in Loop: Header=BB335_9 Depth=1
	v_and_b32_e32 v1, 7, v74
	v_lshrrev_b32_e32 v70, 3, v72
	s_mov_b32 s33, exec_lo
	v_cmpx_gt_u32_e32 8, v72
; %bb.45:                               ;   in Loop: Header=BB335_9 Depth=1
	v_ffbh_u32_e32 v70, v1
	v_min_u32_e32 v70, 32, v70
	v_subrev_nc_u32_e32 v72, 28, v70
	v_sub_nc_u32_e32 v70, 29, v70
	v_lshlrev_b64 v[72:73], v72, v[1:2]
	v_and_b32_e32 v1, 7, v72
; %bb.46:                               ;   in Loop: Header=BB335_9 Depth=1
	s_or_b32 exec_lo, exec_lo, s33
	v_lshlrev_b32_e32 v72, 24, v74
	v_lshlrev_b32_e32 v1, 20, v1
	v_lshl_add_u32 v70, v70, 23, 0x3c000000
	v_and_b32_e32 v72, 0x80000000, v72
	v_or3_b32 v70, v1, v72, v70
.LBB335_47:                             ;   in Loop: Header=BB335_9 Depth=1
	s_or_b32 exec_lo, exec_lo, s31
.LBB335_48:                             ;   in Loop: Header=BB335_9 Depth=1
	s_or_b32 exec_lo, exec_lo, s30
.LBB335_49:                             ;   in Loop: Header=BB335_9 Depth=1
	s_or_b32 exec_lo, exec_lo, s3
	v_cmp_ne_u16_sdwa s2, v74, v2 src0_sel:BYTE_1 src1_sel:DWORD
	s_and_saveexec_b32 s3, s2
	s_cbranch_execz .LBB335_57
; %bb.50:                               ;   in Loop: Header=BB335_9 Depth=1
	v_cmp_ne_u16_sdwa s2, v74, v60 src0_sel:BYTE_1 src1_sel:DWORD
	v_bfrev_b32_e32 v71, 1
	s_and_saveexec_b32 s30, s2
	s_cbranch_execz .LBB335_56
; %bb.51:                               ;   in Loop: Header=BB335_9 Depth=1
	v_and_b32_sdwa v1, v61, v74 dst_sel:DWORD dst_unused:UNUSED_PAD src0_sel:DWORD src1_sel:BYTE_1
	v_mov_b32_e32 v71, 0x7f800001
	s_mov_b32 s31, exec_lo
	v_and_b32_e32 v72, 0x7f, v1
	v_cmpx_ne_u32_e32 0x7f, v72
	s_cbranch_execz .LBB335_55
; %bb.52:                               ;   in Loop: Header=BB335_9 Depth=1
	v_and_b32_e32 v1, 7, v1
	v_lshrrev_b32_e32 v71, 3, v72
	s_mov_b32 s33, exec_lo
	v_cmpx_gt_u32_e32 8, v72
; %bb.53:                               ;   in Loop: Header=BB335_9 Depth=1
	v_ffbh_u32_e32 v71, v1
	v_min_u32_e32 v71, 32, v71
	v_subrev_nc_u32_e32 v72, 28, v71
	v_sub_nc_u32_e32 v71, 29, v71
	v_lshlrev_b64 v[72:73], v72, v[1:2]
	v_and_b32_e32 v1, 7, v72
; %bb.54:                               ;   in Loop: Header=BB335_9 Depth=1
	s_or_b32 exec_lo, exec_lo, s33
	v_lshlrev_b32_e32 v72, 16, v74
	v_lshlrev_b32_e32 v1, 20, v1
	v_lshl_add_u32 v71, v71, 23, 0x3c000000
	v_and_b32_e32 v72, 0x80000000, v72
	v_or3_b32 v71, v1, v72, v71
.LBB335_55:                             ;   in Loop: Header=BB335_9 Depth=1
	s_or_b32 exec_lo, exec_lo, s31
.LBB335_56:                             ;   in Loop: Header=BB335_9 Depth=1
	s_or_b32 exec_lo, exec_lo, s30
.LBB335_57:                             ;   in Loop: Header=BB335_9 Depth=1
	s_or_b32 exec_lo, exec_lo, s3
	v_and_b32_sdwa v1, v74, v62 dst_sel:DWORD dst_unused:UNUSED_PAD src0_sel:WORD_1 src1_sel:DWORD
	v_mov_b32_e32 v72, 0
	v_mov_b32_e32 v73, 0
	s_mov_b32 s3, exec_lo
	v_cmpx_ne_u16_e32 0, v1
	s_cbranch_execz .LBB335_65
; %bb.58:                               ;   in Loop: Header=BB335_9 Depth=1
	v_bfrev_b32_e32 v73, 1
	s_mov_b32 s30, exec_lo
	v_cmpx_ne_u16_e32 0x80, v1
	s_cbranch_execz .LBB335_64
; %bb.59:                               ;   in Loop: Header=BB335_9 Depth=1
	v_bfe_u32 v75, v74, 16, 7
	v_mov_b32_e32 v73, 0x7f800001
	s_mov_b32 s31, exec_lo
	v_cmpx_ne_u32_e32 0x7f, v75
	s_cbranch_execz .LBB335_63
; %bb.60:                               ;   in Loop: Header=BB335_9 Depth=1
	v_and_b32_sdwa v1, v74, v63 dst_sel:DWORD dst_unused:UNUSED_PAD src0_sel:WORD_1 src1_sel:DWORD
	v_lshrrev_b32_e32 v73, 3, v75
	s_mov_b32 s33, exec_lo
	v_cmpx_gt_u32_e32 8, v75
; %bb.61:                               ;   in Loop: Header=BB335_9 Depth=1
	v_ffbh_u32_e32 v73, v1
	v_min_u32_e32 v73, 32, v73
	v_subrev_nc_u32_e32 v75, 28, v73
	v_sub_nc_u32_e32 v73, 29, v73
	v_lshlrev_b64 v[75:76], v75, v[1:2]
	v_and_b32_e32 v1, 7, v75
; %bb.62:                               ;   in Loop: Header=BB335_9 Depth=1
	s_or_b32 exec_lo, exec_lo, s33
	v_lshlrev_b32_sdwa v75, v64, v74 dst_sel:DWORD dst_unused:UNUSED_PAD src0_sel:DWORD src1_sel:WORD_1
	v_lshlrev_b32_e32 v1, 20, v1
	v_lshl_add_u32 v73, v73, 23, 0x3c000000
	v_and_b32_e32 v75, 0x80000000, v75
	v_or3_b32 v73, v1, v75, v73
.LBB335_63:                             ;   in Loop: Header=BB335_9 Depth=1
	s_or_b32 exec_lo, exec_lo, s31
.LBB335_64:                             ;   in Loop: Header=BB335_9 Depth=1
	s_or_b32 exec_lo, exec_lo, s30
.LBB335_65:                             ;   in Loop: Header=BB335_9 Depth=1
	s_or_b32 exec_lo, exec_lo, s3
	s_mov_b32 s3, exec_lo
	v_cmpx_lt_u32_e32 0xffffff, v74
	s_cbranch_execz .LBB335_73
; %bb.66:                               ;   in Loop: Header=BB335_9 Depth=1
	v_cmp_ne_u32_sdwa s2, v74, v60 src0_sel:BYTE_3 src1_sel:DWORD
	v_bfrev_b32_e32 v72, 1
	s_and_saveexec_b32 s30, s2
	s_cbranch_execz .LBB335_72
; %bb.67:                               ;   in Loop: Header=BB335_9 Depth=1
	v_bfe_u32 v75, v74, 24, 7
	v_mov_b32_e32 v72, 0x7f800001
	s_mov_b32 s31, exec_lo
	v_cmpx_ne_u32_e32 0x7f, v75
	s_cbranch_execz .LBB335_71
; %bb.68:                               ;   in Loop: Header=BB335_9 Depth=1
	v_and_b32_sdwa v1, v74, v63 dst_sel:DWORD dst_unused:UNUSED_PAD src0_sel:BYTE_3 src1_sel:DWORD
	v_lshrrev_b32_e32 v72, 3, v75
	s_mov_b32 s33, exec_lo
	v_cmpx_gt_u32_e32 8, v75
; %bb.69:                               ;   in Loop: Header=BB335_9 Depth=1
	v_ffbh_u32_e32 v72, v1
	v_min_u32_e32 v72, 32, v72
	v_subrev_nc_u32_e32 v75, 28, v72
	v_sub_nc_u32_e32 v72, 29, v72
	v_lshlrev_b64 v[75:76], v75, v[1:2]
	v_and_b32_e32 v1, 7, v75
; %bb.70:                               ;   in Loop: Header=BB335_9 Depth=1
	s_or_b32 exec_lo, exec_lo, s33
	v_lshlrev_b32_sdwa v74, v64, v74 dst_sel:DWORD dst_unused:UNUSED_PAD src0_sel:DWORD src1_sel:BYTE_3
	v_lshlrev_b32_e32 v1, 20, v1
	v_lshl_add_u32 v72, v72, 23, 0x3c000000
	v_and_b32_e32 v74, 0x80000000, v74
	v_or3_b32 v72, v1, v74, v72
.LBB335_71:                             ;   in Loop: Header=BB335_9 Depth=1
	s_or_b32 exec_lo, exec_lo, s31
.LBB335_72:                             ;   in Loop: Header=BB335_9 Depth=1
	s_or_b32 exec_lo, exec_lo, s30
.LBB335_73:                             ;   in Loop: Header=BB335_9 Depth=1
	s_or_b32 exec_lo, exec_lo, s3
	global_load_dword v78, v[7:8], off offset:256
	v_mov_b32_e32 v75, 0
	v_mov_b32_e32 v74, 0
	s_waitcnt vmcnt(0)
	v_cmp_ne_u16_sdwa s2, v78, v2 src0_sel:BYTE_0 src1_sel:DWORD
	s_and_saveexec_b32 s3, s2
	s_cbranch_execz .LBB335_81
; %bb.74:                               ;   in Loop: Header=BB335_9 Depth=1
	v_cmp_ne_u16_sdwa s2, v78, v60 src0_sel:BYTE_0 src1_sel:DWORD
	v_bfrev_b32_e32 v74, 1
	s_and_saveexec_b32 s30, s2
	s_cbranch_execz .LBB335_80
; %bb.75:                               ;   in Loop: Header=BB335_9 Depth=1
	v_and_b32_e32 v76, 0x7f, v78
	v_mov_b32_e32 v74, 0x7f800001
	s_mov_b32 s31, exec_lo
	v_cmpx_ne_u32_e32 0x7f, v76
	s_cbranch_execz .LBB335_79
; %bb.76:                               ;   in Loop: Header=BB335_9 Depth=1
	v_and_b32_e32 v1, 7, v78
	v_lshrrev_b32_e32 v74, 3, v76
	s_mov_b32 s33, exec_lo
	v_cmpx_gt_u32_e32 8, v76
; %bb.77:                               ;   in Loop: Header=BB335_9 Depth=1
	v_ffbh_u32_e32 v74, v1
	v_min_u32_e32 v74, 32, v74
	v_subrev_nc_u32_e32 v76, 28, v74
	v_sub_nc_u32_e32 v74, 29, v74
	v_lshlrev_b64 v[76:77], v76, v[1:2]
	v_and_b32_e32 v1, 7, v76
; %bb.78:                               ;   in Loop: Header=BB335_9 Depth=1
	s_or_b32 exec_lo, exec_lo, s33
	v_lshlrev_b32_e32 v76, 24, v78
	v_lshlrev_b32_e32 v1, 20, v1
	v_lshl_add_u32 v74, v74, 23, 0x3c000000
	v_and_b32_e32 v76, 0x80000000, v76
	v_or3_b32 v74, v1, v76, v74
.LBB335_79:                             ;   in Loop: Header=BB335_9 Depth=1
	s_or_b32 exec_lo, exec_lo, s31
.LBB335_80:                             ;   in Loop: Header=BB335_9 Depth=1
	s_or_b32 exec_lo, exec_lo, s30
.LBB335_81:                             ;   in Loop: Header=BB335_9 Depth=1
	s_or_b32 exec_lo, exec_lo, s3
	v_cmp_ne_u16_sdwa s2, v78, v2 src0_sel:BYTE_1 src1_sel:DWORD
	s_and_saveexec_b32 s3, s2
	s_cbranch_execz .LBB335_89
; %bb.82:                               ;   in Loop: Header=BB335_9 Depth=1
	v_cmp_ne_u16_sdwa s2, v78, v60 src0_sel:BYTE_1 src1_sel:DWORD
	v_bfrev_b32_e32 v75, 1
	s_and_saveexec_b32 s30, s2
	s_cbranch_execz .LBB335_88
; %bb.83:                               ;   in Loop: Header=BB335_9 Depth=1
	v_and_b32_sdwa v1, v61, v78 dst_sel:DWORD dst_unused:UNUSED_PAD src0_sel:DWORD src1_sel:BYTE_1
	v_mov_b32_e32 v75, 0x7f800001
	s_mov_b32 s31, exec_lo
	v_and_b32_e32 v76, 0x7f, v1
	v_cmpx_ne_u32_e32 0x7f, v76
	s_cbranch_execz .LBB335_87
; %bb.84:                               ;   in Loop: Header=BB335_9 Depth=1
	v_and_b32_e32 v1, 7, v1
	v_lshrrev_b32_e32 v75, 3, v76
	s_mov_b32 s33, exec_lo
	v_cmpx_gt_u32_e32 8, v76
; %bb.85:                               ;   in Loop: Header=BB335_9 Depth=1
	v_ffbh_u32_e32 v75, v1
	v_min_u32_e32 v75, 32, v75
	v_subrev_nc_u32_e32 v76, 28, v75
	v_sub_nc_u32_e32 v75, 29, v75
	v_lshlrev_b64 v[76:77], v76, v[1:2]
	v_and_b32_e32 v1, 7, v76
; %bb.86:                               ;   in Loop: Header=BB335_9 Depth=1
	s_or_b32 exec_lo, exec_lo, s33
	v_lshlrev_b32_e32 v76, 16, v78
	v_lshlrev_b32_e32 v1, 20, v1
	v_lshl_add_u32 v75, v75, 23, 0x3c000000
	v_and_b32_e32 v76, 0x80000000, v76
	v_or3_b32 v75, v1, v76, v75
.LBB335_87:                             ;   in Loop: Header=BB335_9 Depth=1
	s_or_b32 exec_lo, exec_lo, s31
.LBB335_88:                             ;   in Loop: Header=BB335_9 Depth=1
	s_or_b32 exec_lo, exec_lo, s30
.LBB335_89:                             ;   in Loop: Header=BB335_9 Depth=1
	s_or_b32 exec_lo, exec_lo, s3
	v_and_b32_sdwa v1, v78, v62 dst_sel:DWORD dst_unused:UNUSED_PAD src0_sel:WORD_1 src1_sel:DWORD
	v_mov_b32_e32 v76, 0
	v_mov_b32_e32 v77, 0
	s_mov_b32 s3, exec_lo
	v_cmpx_ne_u16_e32 0, v1
	s_cbranch_execz .LBB335_97
; %bb.90:                               ;   in Loop: Header=BB335_9 Depth=1
	v_bfrev_b32_e32 v77, 1
	s_mov_b32 s30, exec_lo
	v_cmpx_ne_u16_e32 0x80, v1
	s_cbranch_execz .LBB335_96
; %bb.91:                               ;   in Loop: Header=BB335_9 Depth=1
	v_bfe_u32 v79, v78, 16, 7
	v_mov_b32_e32 v77, 0x7f800001
	s_mov_b32 s31, exec_lo
	v_cmpx_ne_u32_e32 0x7f, v79
	s_cbranch_execz .LBB335_95
; %bb.92:                               ;   in Loop: Header=BB335_9 Depth=1
	v_and_b32_sdwa v1, v78, v63 dst_sel:DWORD dst_unused:UNUSED_PAD src0_sel:WORD_1 src1_sel:DWORD
	v_lshrrev_b32_e32 v77, 3, v79
	s_mov_b32 s33, exec_lo
	v_cmpx_gt_u32_e32 8, v79
; %bb.93:                               ;   in Loop: Header=BB335_9 Depth=1
	v_ffbh_u32_e32 v77, v1
	v_min_u32_e32 v77, 32, v77
	v_subrev_nc_u32_e32 v79, 28, v77
	v_sub_nc_u32_e32 v77, 29, v77
	v_lshlrev_b64 v[79:80], v79, v[1:2]
	v_and_b32_e32 v1, 7, v79
; %bb.94:                               ;   in Loop: Header=BB335_9 Depth=1
	s_or_b32 exec_lo, exec_lo, s33
	v_lshlrev_b32_sdwa v79, v64, v78 dst_sel:DWORD dst_unused:UNUSED_PAD src0_sel:DWORD src1_sel:WORD_1
	v_lshlrev_b32_e32 v1, 20, v1
	v_lshl_add_u32 v77, v77, 23, 0x3c000000
	v_and_b32_e32 v79, 0x80000000, v79
	v_or3_b32 v77, v1, v79, v77
.LBB335_95:                             ;   in Loop: Header=BB335_9 Depth=1
	s_or_b32 exec_lo, exec_lo, s31
.LBB335_96:                             ;   in Loop: Header=BB335_9 Depth=1
	s_or_b32 exec_lo, exec_lo, s30
.LBB335_97:                             ;   in Loop: Header=BB335_9 Depth=1
	s_or_b32 exec_lo, exec_lo, s3
	s_mov_b32 s3, exec_lo
	v_cmpx_lt_u32_e32 0xffffff, v78
	s_cbranch_execz .LBB335_105
; %bb.98:                               ;   in Loop: Header=BB335_9 Depth=1
	v_cmp_ne_u32_sdwa s2, v78, v60 src0_sel:BYTE_3 src1_sel:DWORD
	v_bfrev_b32_e32 v76, 1
	s_and_saveexec_b32 s30, s2
	s_cbranch_execz .LBB335_104
; %bb.99:                               ;   in Loop: Header=BB335_9 Depth=1
	v_bfe_u32 v79, v78, 24, 7
	v_mov_b32_e32 v76, 0x7f800001
	s_mov_b32 s31, exec_lo
	v_cmpx_ne_u32_e32 0x7f, v79
	s_cbranch_execz .LBB335_103
; %bb.100:                              ;   in Loop: Header=BB335_9 Depth=1
	v_and_b32_sdwa v1, v78, v63 dst_sel:DWORD dst_unused:UNUSED_PAD src0_sel:BYTE_3 src1_sel:DWORD
	v_lshrrev_b32_e32 v76, 3, v79
	s_mov_b32 s33, exec_lo
	v_cmpx_gt_u32_e32 8, v79
; %bb.101:                              ;   in Loop: Header=BB335_9 Depth=1
	v_ffbh_u32_e32 v76, v1
	v_min_u32_e32 v76, 32, v76
	v_subrev_nc_u32_e32 v79, 28, v76
	v_sub_nc_u32_e32 v76, 29, v76
	v_lshlrev_b64 v[79:80], v79, v[1:2]
	v_and_b32_e32 v1, 7, v79
; %bb.102:                              ;   in Loop: Header=BB335_9 Depth=1
	s_or_b32 exec_lo, exec_lo, s33
	v_lshlrev_b32_sdwa v78, v64, v78 dst_sel:DWORD dst_unused:UNUSED_PAD src0_sel:DWORD src1_sel:BYTE_3
	v_lshlrev_b32_e32 v1, 20, v1
	v_lshl_add_u32 v76, v76, 23, 0x3c000000
	v_and_b32_e32 v78, 0x80000000, v78
	v_or3_b32 v76, v1, v78, v76
.LBB335_103:                            ;   in Loop: Header=BB335_9 Depth=1
	s_or_b32 exec_lo, exec_lo, s31
.LBB335_104:                            ;   in Loop: Header=BB335_9 Depth=1
	s_or_b32 exec_lo, exec_lo, s30
.LBB335_105:                            ;   in Loop: Header=BB335_9 Depth=1
	s_or_b32 exec_lo, exec_lo, s3
	global_load_dword v82, v[7:8], off offset:264
	v_mov_b32_e32 v79, 0
	v_mov_b32_e32 v78, 0
	s_waitcnt vmcnt(0)
	v_cmp_ne_u16_sdwa s2, v82, v2 src0_sel:BYTE_0 src1_sel:DWORD
	s_and_saveexec_b32 s3, s2
	s_cbranch_execz .LBB335_113
; %bb.106:                              ;   in Loop: Header=BB335_9 Depth=1
	v_cmp_ne_u16_sdwa s2, v82, v60 src0_sel:BYTE_0 src1_sel:DWORD
	v_bfrev_b32_e32 v78, 1
	s_and_saveexec_b32 s30, s2
	s_cbranch_execz .LBB335_112
; %bb.107:                              ;   in Loop: Header=BB335_9 Depth=1
	v_and_b32_e32 v80, 0x7f, v82
	v_mov_b32_e32 v78, 0x7f800001
	s_mov_b32 s31, exec_lo
	v_cmpx_ne_u32_e32 0x7f, v80
	s_cbranch_execz .LBB335_111
; %bb.108:                              ;   in Loop: Header=BB335_9 Depth=1
	v_and_b32_e32 v1, 7, v82
	v_lshrrev_b32_e32 v78, 3, v80
	s_mov_b32 s33, exec_lo
	v_cmpx_gt_u32_e32 8, v80
; %bb.109:                              ;   in Loop: Header=BB335_9 Depth=1
	v_ffbh_u32_e32 v78, v1
	v_min_u32_e32 v78, 32, v78
	v_subrev_nc_u32_e32 v80, 28, v78
	v_sub_nc_u32_e32 v78, 29, v78
	v_lshlrev_b64 v[80:81], v80, v[1:2]
	v_and_b32_e32 v1, 7, v80
; %bb.110:                              ;   in Loop: Header=BB335_9 Depth=1
	s_or_b32 exec_lo, exec_lo, s33
	v_lshlrev_b32_e32 v80, 24, v82
	v_lshlrev_b32_e32 v1, 20, v1
	v_lshl_add_u32 v78, v78, 23, 0x3c000000
	v_and_b32_e32 v80, 0x80000000, v80
	v_or3_b32 v78, v1, v80, v78
.LBB335_111:                            ;   in Loop: Header=BB335_9 Depth=1
	s_or_b32 exec_lo, exec_lo, s31
.LBB335_112:                            ;   in Loop: Header=BB335_9 Depth=1
	s_or_b32 exec_lo, exec_lo, s30
.LBB335_113:                            ;   in Loop: Header=BB335_9 Depth=1
	s_or_b32 exec_lo, exec_lo, s3
	v_cmp_ne_u16_sdwa s2, v82, v2 src0_sel:BYTE_1 src1_sel:DWORD
	s_and_saveexec_b32 s3, s2
	s_cbranch_execz .LBB335_121
; %bb.114:                              ;   in Loop: Header=BB335_9 Depth=1
	v_cmp_ne_u16_sdwa s2, v82, v60 src0_sel:BYTE_1 src1_sel:DWORD
	v_bfrev_b32_e32 v79, 1
	s_and_saveexec_b32 s30, s2
	s_cbranch_execz .LBB335_120
; %bb.115:                              ;   in Loop: Header=BB335_9 Depth=1
	v_and_b32_sdwa v1, v61, v82 dst_sel:DWORD dst_unused:UNUSED_PAD src0_sel:DWORD src1_sel:BYTE_1
	v_mov_b32_e32 v79, 0x7f800001
	s_mov_b32 s31, exec_lo
	v_and_b32_e32 v80, 0x7f, v1
	v_cmpx_ne_u32_e32 0x7f, v80
	s_cbranch_execz .LBB335_119
; %bb.116:                              ;   in Loop: Header=BB335_9 Depth=1
	v_and_b32_e32 v1, 7, v1
	v_lshrrev_b32_e32 v79, 3, v80
	s_mov_b32 s33, exec_lo
	v_cmpx_gt_u32_e32 8, v80
; %bb.117:                              ;   in Loop: Header=BB335_9 Depth=1
	v_ffbh_u32_e32 v79, v1
	v_min_u32_e32 v79, 32, v79
	v_subrev_nc_u32_e32 v80, 28, v79
	v_sub_nc_u32_e32 v79, 29, v79
	v_lshlrev_b64 v[80:81], v80, v[1:2]
	v_and_b32_e32 v1, 7, v80
; %bb.118:                              ;   in Loop: Header=BB335_9 Depth=1
	s_or_b32 exec_lo, exec_lo, s33
	v_lshlrev_b32_e32 v80, 16, v82
	v_lshlrev_b32_e32 v1, 20, v1
	v_lshl_add_u32 v79, v79, 23, 0x3c000000
	v_and_b32_e32 v80, 0x80000000, v80
	v_or3_b32 v79, v1, v80, v79
.LBB335_119:                            ;   in Loop: Header=BB335_9 Depth=1
	s_or_b32 exec_lo, exec_lo, s31
.LBB335_120:                            ;   in Loop: Header=BB335_9 Depth=1
	s_or_b32 exec_lo, exec_lo, s30
.LBB335_121:                            ;   in Loop: Header=BB335_9 Depth=1
	s_or_b32 exec_lo, exec_lo, s3
	v_and_b32_sdwa v1, v82, v62 dst_sel:DWORD dst_unused:UNUSED_PAD src0_sel:WORD_1 src1_sel:DWORD
	v_mov_b32_e32 v80, 0
	v_mov_b32_e32 v81, 0
	s_mov_b32 s3, exec_lo
	v_cmpx_ne_u16_e32 0, v1
	s_cbranch_execz .LBB335_129
; %bb.122:                              ;   in Loop: Header=BB335_9 Depth=1
	v_bfrev_b32_e32 v81, 1
	s_mov_b32 s30, exec_lo
	v_cmpx_ne_u16_e32 0x80, v1
	s_cbranch_execz .LBB335_128
; %bb.123:                              ;   in Loop: Header=BB335_9 Depth=1
	v_bfe_u32 v83, v82, 16, 7
	v_mov_b32_e32 v81, 0x7f800001
	s_mov_b32 s31, exec_lo
	v_cmpx_ne_u32_e32 0x7f, v83
	s_cbranch_execz .LBB335_127
; %bb.124:                              ;   in Loop: Header=BB335_9 Depth=1
	v_and_b32_sdwa v1, v82, v63 dst_sel:DWORD dst_unused:UNUSED_PAD src0_sel:WORD_1 src1_sel:DWORD
	v_lshrrev_b32_e32 v81, 3, v83
	s_mov_b32 s33, exec_lo
	v_cmpx_gt_u32_e32 8, v83
; %bb.125:                              ;   in Loop: Header=BB335_9 Depth=1
	v_ffbh_u32_e32 v81, v1
	v_min_u32_e32 v81, 32, v81
	v_subrev_nc_u32_e32 v83, 28, v81
	v_sub_nc_u32_e32 v81, 29, v81
	v_lshlrev_b64 v[83:84], v83, v[1:2]
	v_and_b32_e32 v1, 7, v83
; %bb.126:                              ;   in Loop: Header=BB335_9 Depth=1
	s_or_b32 exec_lo, exec_lo, s33
	v_lshlrev_b32_sdwa v83, v64, v82 dst_sel:DWORD dst_unused:UNUSED_PAD src0_sel:DWORD src1_sel:WORD_1
	v_lshlrev_b32_e32 v1, 20, v1
	v_lshl_add_u32 v81, v81, 23, 0x3c000000
	v_and_b32_e32 v83, 0x80000000, v83
	v_or3_b32 v81, v1, v83, v81
.LBB335_127:                            ;   in Loop: Header=BB335_9 Depth=1
	s_or_b32 exec_lo, exec_lo, s31
.LBB335_128:                            ;   in Loop: Header=BB335_9 Depth=1
	s_or_b32 exec_lo, exec_lo, s30
.LBB335_129:                            ;   in Loop: Header=BB335_9 Depth=1
	s_or_b32 exec_lo, exec_lo, s3
	s_mov_b32 s3, exec_lo
	v_cmpx_lt_u32_e32 0xffffff, v82
	s_cbranch_execz .LBB335_137
; %bb.130:                              ;   in Loop: Header=BB335_9 Depth=1
	v_cmp_ne_u32_sdwa s2, v82, v60 src0_sel:BYTE_3 src1_sel:DWORD
	v_bfrev_b32_e32 v80, 1
	s_and_saveexec_b32 s30, s2
	s_cbranch_execz .LBB335_136
; %bb.131:                              ;   in Loop: Header=BB335_9 Depth=1
	v_bfe_u32 v83, v82, 24, 7
	v_mov_b32_e32 v80, 0x7f800001
	s_mov_b32 s31, exec_lo
	v_cmpx_ne_u32_e32 0x7f, v83
	s_cbranch_execz .LBB335_135
; %bb.132:                              ;   in Loop: Header=BB335_9 Depth=1
	v_and_b32_sdwa v1, v82, v63 dst_sel:DWORD dst_unused:UNUSED_PAD src0_sel:BYTE_3 src1_sel:DWORD
	v_lshrrev_b32_e32 v80, 3, v83
	s_mov_b32 s33, exec_lo
	v_cmpx_gt_u32_e32 8, v83
; %bb.133:                              ;   in Loop: Header=BB335_9 Depth=1
	v_ffbh_u32_e32 v80, v1
	v_min_u32_e32 v80, 32, v80
	v_subrev_nc_u32_e32 v83, 28, v80
	v_sub_nc_u32_e32 v80, 29, v80
	v_lshlrev_b64 v[83:84], v83, v[1:2]
	v_and_b32_e32 v1, 7, v83
; %bb.134:                              ;   in Loop: Header=BB335_9 Depth=1
	s_or_b32 exec_lo, exec_lo, s33
	v_lshlrev_b32_sdwa v82, v64, v82 dst_sel:DWORD dst_unused:UNUSED_PAD src0_sel:DWORD src1_sel:BYTE_3
	v_lshlrev_b32_e32 v1, 20, v1
	v_lshl_add_u32 v80, v80, 23, 0x3c000000
	v_and_b32_e32 v82, 0x80000000, v82
	v_or3_b32 v80, v1, v82, v80
.LBB335_135:                            ;   in Loop: Header=BB335_9 Depth=1
	s_or_b32 exec_lo, exec_lo, s31
.LBB335_136:                            ;   in Loop: Header=BB335_9 Depth=1
	s_or_b32 exec_lo, exec_lo, s30
.LBB335_137:                            ;   in Loop: Header=BB335_9 Depth=1
	s_or_b32 exec_lo, exec_lo, s3
	global_load_dword v86, v[7:8], off offset:512
	v_mov_b32_e32 v83, 0
	v_mov_b32_e32 v82, 0
	s_waitcnt vmcnt(0)
	v_cmp_ne_u16_sdwa s2, v86, v2 src0_sel:BYTE_0 src1_sel:DWORD
	s_and_saveexec_b32 s3, s2
	s_cbranch_execz .LBB335_145
; %bb.138:                              ;   in Loop: Header=BB335_9 Depth=1
	v_cmp_ne_u16_sdwa s2, v86, v60 src0_sel:BYTE_0 src1_sel:DWORD
	v_bfrev_b32_e32 v82, 1
	s_and_saveexec_b32 s30, s2
	s_cbranch_execz .LBB335_144
; %bb.139:                              ;   in Loop: Header=BB335_9 Depth=1
	v_and_b32_e32 v84, 0x7f, v86
	v_mov_b32_e32 v82, 0x7f800001
	s_mov_b32 s31, exec_lo
	v_cmpx_ne_u32_e32 0x7f, v84
	s_cbranch_execz .LBB335_143
; %bb.140:                              ;   in Loop: Header=BB335_9 Depth=1
	v_and_b32_e32 v1, 7, v86
	v_lshrrev_b32_e32 v82, 3, v84
	s_mov_b32 s33, exec_lo
	v_cmpx_gt_u32_e32 8, v84
; %bb.141:                              ;   in Loop: Header=BB335_9 Depth=1
	v_ffbh_u32_e32 v82, v1
	v_min_u32_e32 v82, 32, v82
	v_subrev_nc_u32_e32 v84, 28, v82
	v_sub_nc_u32_e32 v82, 29, v82
	v_lshlrev_b64 v[84:85], v84, v[1:2]
	v_and_b32_e32 v1, 7, v84
; %bb.142:                              ;   in Loop: Header=BB335_9 Depth=1
	s_or_b32 exec_lo, exec_lo, s33
	v_lshlrev_b32_e32 v84, 24, v86
	v_lshlrev_b32_e32 v1, 20, v1
	v_lshl_add_u32 v82, v82, 23, 0x3c000000
	v_and_b32_e32 v84, 0x80000000, v84
	v_or3_b32 v82, v1, v84, v82
.LBB335_143:                            ;   in Loop: Header=BB335_9 Depth=1
	s_or_b32 exec_lo, exec_lo, s31
.LBB335_144:                            ;   in Loop: Header=BB335_9 Depth=1
	s_or_b32 exec_lo, exec_lo, s30
.LBB335_145:                            ;   in Loop: Header=BB335_9 Depth=1
	s_or_b32 exec_lo, exec_lo, s3
	v_cmp_ne_u16_sdwa s2, v86, v2 src0_sel:BYTE_1 src1_sel:DWORD
	s_and_saveexec_b32 s3, s2
	s_cbranch_execz .LBB335_153
; %bb.146:                              ;   in Loop: Header=BB335_9 Depth=1
	v_cmp_ne_u16_sdwa s2, v86, v60 src0_sel:BYTE_1 src1_sel:DWORD
	v_bfrev_b32_e32 v83, 1
	s_and_saveexec_b32 s30, s2
	s_cbranch_execz .LBB335_152
; %bb.147:                              ;   in Loop: Header=BB335_9 Depth=1
	v_and_b32_sdwa v1, v61, v86 dst_sel:DWORD dst_unused:UNUSED_PAD src0_sel:DWORD src1_sel:BYTE_1
	v_mov_b32_e32 v83, 0x7f800001
	s_mov_b32 s31, exec_lo
	v_and_b32_e32 v84, 0x7f, v1
	v_cmpx_ne_u32_e32 0x7f, v84
	s_cbranch_execz .LBB335_151
; %bb.148:                              ;   in Loop: Header=BB335_9 Depth=1
	v_and_b32_e32 v1, 7, v1
	v_lshrrev_b32_e32 v83, 3, v84
	s_mov_b32 s33, exec_lo
	v_cmpx_gt_u32_e32 8, v84
; %bb.149:                              ;   in Loop: Header=BB335_9 Depth=1
	v_ffbh_u32_e32 v83, v1
	v_min_u32_e32 v83, 32, v83
	v_subrev_nc_u32_e32 v84, 28, v83
	v_sub_nc_u32_e32 v83, 29, v83
	v_lshlrev_b64 v[84:85], v84, v[1:2]
	v_and_b32_e32 v1, 7, v84
; %bb.150:                              ;   in Loop: Header=BB335_9 Depth=1
	s_or_b32 exec_lo, exec_lo, s33
	v_lshlrev_b32_e32 v84, 16, v86
	v_lshlrev_b32_e32 v1, 20, v1
	v_lshl_add_u32 v83, v83, 23, 0x3c000000
	v_and_b32_e32 v84, 0x80000000, v84
	v_or3_b32 v83, v1, v84, v83
.LBB335_151:                            ;   in Loop: Header=BB335_9 Depth=1
	s_or_b32 exec_lo, exec_lo, s31
.LBB335_152:                            ;   in Loop: Header=BB335_9 Depth=1
	s_or_b32 exec_lo, exec_lo, s30
.LBB335_153:                            ;   in Loop: Header=BB335_9 Depth=1
	s_or_b32 exec_lo, exec_lo, s3
	v_and_b32_sdwa v1, v86, v62 dst_sel:DWORD dst_unused:UNUSED_PAD src0_sel:WORD_1 src1_sel:DWORD
	v_mov_b32_e32 v84, 0
	v_mov_b32_e32 v85, 0
	s_mov_b32 s3, exec_lo
	v_cmpx_ne_u16_e32 0, v1
	s_cbranch_execz .LBB335_161
; %bb.154:                              ;   in Loop: Header=BB335_9 Depth=1
	v_bfrev_b32_e32 v85, 1
	s_mov_b32 s30, exec_lo
	v_cmpx_ne_u16_e32 0x80, v1
	s_cbranch_execz .LBB335_160
; %bb.155:                              ;   in Loop: Header=BB335_9 Depth=1
	v_bfe_u32 v87, v86, 16, 7
	v_mov_b32_e32 v85, 0x7f800001
	s_mov_b32 s31, exec_lo
	v_cmpx_ne_u32_e32 0x7f, v87
	s_cbranch_execz .LBB335_159
; %bb.156:                              ;   in Loop: Header=BB335_9 Depth=1
	v_and_b32_sdwa v1, v86, v63 dst_sel:DWORD dst_unused:UNUSED_PAD src0_sel:WORD_1 src1_sel:DWORD
	v_lshrrev_b32_e32 v85, 3, v87
	s_mov_b32 s33, exec_lo
	v_cmpx_gt_u32_e32 8, v87
; %bb.157:                              ;   in Loop: Header=BB335_9 Depth=1
	v_ffbh_u32_e32 v85, v1
	v_min_u32_e32 v85, 32, v85
	v_subrev_nc_u32_e32 v87, 28, v85
	v_sub_nc_u32_e32 v85, 29, v85
	v_lshlrev_b64 v[87:88], v87, v[1:2]
	v_and_b32_e32 v1, 7, v87
; %bb.158:                              ;   in Loop: Header=BB335_9 Depth=1
	s_or_b32 exec_lo, exec_lo, s33
	v_lshlrev_b32_sdwa v87, v64, v86 dst_sel:DWORD dst_unused:UNUSED_PAD src0_sel:DWORD src1_sel:WORD_1
	v_lshlrev_b32_e32 v1, 20, v1
	v_lshl_add_u32 v85, v85, 23, 0x3c000000
	v_and_b32_e32 v87, 0x80000000, v87
	v_or3_b32 v85, v1, v87, v85
.LBB335_159:                            ;   in Loop: Header=BB335_9 Depth=1
	s_or_b32 exec_lo, exec_lo, s31
.LBB335_160:                            ;   in Loop: Header=BB335_9 Depth=1
	s_or_b32 exec_lo, exec_lo, s30
.LBB335_161:                            ;   in Loop: Header=BB335_9 Depth=1
	s_or_b32 exec_lo, exec_lo, s3
	s_mov_b32 s3, exec_lo
	v_cmpx_lt_u32_e32 0xffffff, v86
	s_cbranch_execz .LBB335_169
; %bb.162:                              ;   in Loop: Header=BB335_9 Depth=1
	v_cmp_ne_u32_sdwa s2, v86, v60 src0_sel:BYTE_3 src1_sel:DWORD
	v_bfrev_b32_e32 v84, 1
	s_and_saveexec_b32 s30, s2
	s_cbranch_execz .LBB335_168
; %bb.163:                              ;   in Loop: Header=BB335_9 Depth=1
	v_bfe_u32 v87, v86, 24, 7
	v_mov_b32_e32 v84, 0x7f800001
	s_mov_b32 s31, exec_lo
	v_cmpx_ne_u32_e32 0x7f, v87
	s_cbranch_execz .LBB335_167
; %bb.164:                              ;   in Loop: Header=BB335_9 Depth=1
	v_and_b32_sdwa v1, v86, v63 dst_sel:DWORD dst_unused:UNUSED_PAD src0_sel:BYTE_3 src1_sel:DWORD
	v_lshrrev_b32_e32 v84, 3, v87
	s_mov_b32 s33, exec_lo
	v_cmpx_gt_u32_e32 8, v87
; %bb.165:                              ;   in Loop: Header=BB335_9 Depth=1
	v_ffbh_u32_e32 v84, v1
	v_min_u32_e32 v84, 32, v84
	v_subrev_nc_u32_e32 v87, 28, v84
	v_sub_nc_u32_e32 v84, 29, v84
	v_lshlrev_b64 v[87:88], v87, v[1:2]
	v_and_b32_e32 v1, 7, v87
; %bb.166:                              ;   in Loop: Header=BB335_9 Depth=1
	s_or_b32 exec_lo, exec_lo, s33
	v_lshlrev_b32_sdwa v86, v64, v86 dst_sel:DWORD dst_unused:UNUSED_PAD src0_sel:DWORD src1_sel:BYTE_3
	v_lshlrev_b32_e32 v1, 20, v1
	v_lshl_add_u32 v84, v84, 23, 0x3c000000
	v_and_b32_e32 v86, 0x80000000, v86
	v_or3_b32 v84, v1, v86, v84
.LBB335_167:                            ;   in Loop: Header=BB335_9 Depth=1
	s_or_b32 exec_lo, exec_lo, s31
.LBB335_168:                            ;   in Loop: Header=BB335_9 Depth=1
	s_or_b32 exec_lo, exec_lo, s30
.LBB335_169:                            ;   in Loop: Header=BB335_9 Depth=1
	s_or_b32 exec_lo, exec_lo, s3
	global_load_dword v90, v[7:8], off offset:520
	v_mov_b32_e32 v87, 0
	v_mov_b32_e32 v86, 0
	s_waitcnt vmcnt(0)
	v_cmp_ne_u16_sdwa s2, v90, v2 src0_sel:BYTE_0 src1_sel:DWORD
	s_and_saveexec_b32 s3, s2
	s_cbranch_execz .LBB335_177
; %bb.170:                              ;   in Loop: Header=BB335_9 Depth=1
	v_cmp_ne_u16_sdwa s2, v90, v60 src0_sel:BYTE_0 src1_sel:DWORD
	v_bfrev_b32_e32 v86, 1
	s_and_saveexec_b32 s30, s2
	s_cbranch_execz .LBB335_176
; %bb.171:                              ;   in Loop: Header=BB335_9 Depth=1
	v_and_b32_e32 v88, 0x7f, v90
	v_mov_b32_e32 v86, 0x7f800001
	s_mov_b32 s31, exec_lo
	v_cmpx_ne_u32_e32 0x7f, v88
	s_cbranch_execz .LBB335_175
; %bb.172:                              ;   in Loop: Header=BB335_9 Depth=1
	v_and_b32_e32 v1, 7, v90
	v_lshrrev_b32_e32 v86, 3, v88
	s_mov_b32 s33, exec_lo
	v_cmpx_gt_u32_e32 8, v88
; %bb.173:                              ;   in Loop: Header=BB335_9 Depth=1
	v_ffbh_u32_e32 v86, v1
	v_min_u32_e32 v86, 32, v86
	v_subrev_nc_u32_e32 v88, 28, v86
	v_sub_nc_u32_e32 v86, 29, v86
	v_lshlrev_b64 v[88:89], v88, v[1:2]
	v_and_b32_e32 v1, 7, v88
; %bb.174:                              ;   in Loop: Header=BB335_9 Depth=1
	s_or_b32 exec_lo, exec_lo, s33
	v_lshlrev_b32_e32 v88, 24, v90
	v_lshlrev_b32_e32 v1, 20, v1
	v_lshl_add_u32 v86, v86, 23, 0x3c000000
	v_and_b32_e32 v88, 0x80000000, v88
	v_or3_b32 v86, v1, v88, v86
.LBB335_175:                            ;   in Loop: Header=BB335_9 Depth=1
	s_or_b32 exec_lo, exec_lo, s31
.LBB335_176:                            ;   in Loop: Header=BB335_9 Depth=1
	s_or_b32 exec_lo, exec_lo, s30
.LBB335_177:                            ;   in Loop: Header=BB335_9 Depth=1
	s_or_b32 exec_lo, exec_lo, s3
	v_cmp_ne_u16_sdwa s2, v90, v2 src0_sel:BYTE_1 src1_sel:DWORD
	s_and_saveexec_b32 s3, s2
	s_cbranch_execz .LBB335_185
; %bb.178:                              ;   in Loop: Header=BB335_9 Depth=1
	v_cmp_ne_u16_sdwa s2, v90, v60 src0_sel:BYTE_1 src1_sel:DWORD
	v_bfrev_b32_e32 v87, 1
	s_and_saveexec_b32 s30, s2
	s_cbranch_execz .LBB335_184
; %bb.179:                              ;   in Loop: Header=BB335_9 Depth=1
	v_and_b32_sdwa v1, v61, v90 dst_sel:DWORD dst_unused:UNUSED_PAD src0_sel:DWORD src1_sel:BYTE_1
	v_mov_b32_e32 v87, 0x7f800001
	s_mov_b32 s31, exec_lo
	v_and_b32_e32 v88, 0x7f, v1
	v_cmpx_ne_u32_e32 0x7f, v88
	s_cbranch_execz .LBB335_183
; %bb.180:                              ;   in Loop: Header=BB335_9 Depth=1
	v_and_b32_e32 v1, 7, v1
	v_lshrrev_b32_e32 v87, 3, v88
	s_mov_b32 s33, exec_lo
	v_cmpx_gt_u32_e32 8, v88
; %bb.181:                              ;   in Loop: Header=BB335_9 Depth=1
	v_ffbh_u32_e32 v87, v1
	v_min_u32_e32 v87, 32, v87
	v_subrev_nc_u32_e32 v88, 28, v87
	v_sub_nc_u32_e32 v87, 29, v87
	v_lshlrev_b64 v[88:89], v88, v[1:2]
	v_and_b32_e32 v1, 7, v88
; %bb.182:                              ;   in Loop: Header=BB335_9 Depth=1
	s_or_b32 exec_lo, exec_lo, s33
	v_lshlrev_b32_e32 v88, 16, v90
	v_lshlrev_b32_e32 v1, 20, v1
	v_lshl_add_u32 v87, v87, 23, 0x3c000000
	v_and_b32_e32 v88, 0x80000000, v88
	v_or3_b32 v87, v1, v88, v87
.LBB335_183:                            ;   in Loop: Header=BB335_9 Depth=1
	s_or_b32 exec_lo, exec_lo, s31
.LBB335_184:                            ;   in Loop: Header=BB335_9 Depth=1
	s_or_b32 exec_lo, exec_lo, s30
.LBB335_185:                            ;   in Loop: Header=BB335_9 Depth=1
	s_or_b32 exec_lo, exec_lo, s3
	v_and_b32_sdwa v1, v90, v62 dst_sel:DWORD dst_unused:UNUSED_PAD src0_sel:WORD_1 src1_sel:DWORD
	v_mov_b32_e32 v88, 0
	v_mov_b32_e32 v89, 0
	s_mov_b32 s3, exec_lo
	v_cmpx_ne_u16_e32 0, v1
	s_cbranch_execz .LBB335_193
; %bb.186:                              ;   in Loop: Header=BB335_9 Depth=1
	v_bfrev_b32_e32 v89, 1
	s_mov_b32 s30, exec_lo
	v_cmpx_ne_u16_e32 0x80, v1
	s_cbranch_execz .LBB335_192
; %bb.187:                              ;   in Loop: Header=BB335_9 Depth=1
	v_bfe_u32 v91, v90, 16, 7
	v_mov_b32_e32 v89, 0x7f800001
	s_mov_b32 s31, exec_lo
	v_cmpx_ne_u32_e32 0x7f, v91
	s_cbranch_execz .LBB335_191
; %bb.188:                              ;   in Loop: Header=BB335_9 Depth=1
	v_and_b32_sdwa v1, v90, v63 dst_sel:DWORD dst_unused:UNUSED_PAD src0_sel:WORD_1 src1_sel:DWORD
	v_lshrrev_b32_e32 v89, 3, v91
	s_mov_b32 s33, exec_lo
	v_cmpx_gt_u32_e32 8, v91
; %bb.189:                              ;   in Loop: Header=BB335_9 Depth=1
	v_ffbh_u32_e32 v89, v1
	v_min_u32_e32 v89, 32, v89
	v_subrev_nc_u32_e32 v91, 28, v89
	v_sub_nc_u32_e32 v89, 29, v89
	v_lshlrev_b64 v[91:92], v91, v[1:2]
	v_and_b32_e32 v1, 7, v91
; %bb.190:                              ;   in Loop: Header=BB335_9 Depth=1
	s_or_b32 exec_lo, exec_lo, s33
	v_lshlrev_b32_sdwa v91, v64, v90 dst_sel:DWORD dst_unused:UNUSED_PAD src0_sel:DWORD src1_sel:WORD_1
	v_lshlrev_b32_e32 v1, 20, v1
	v_lshl_add_u32 v89, v89, 23, 0x3c000000
	v_and_b32_e32 v91, 0x80000000, v91
	v_or3_b32 v89, v1, v91, v89
.LBB335_191:                            ;   in Loop: Header=BB335_9 Depth=1
	s_or_b32 exec_lo, exec_lo, s31
.LBB335_192:                            ;   in Loop: Header=BB335_9 Depth=1
	s_or_b32 exec_lo, exec_lo, s30
.LBB335_193:                            ;   in Loop: Header=BB335_9 Depth=1
	s_or_b32 exec_lo, exec_lo, s3
	s_mov_b32 s3, exec_lo
	v_cmpx_lt_u32_e32 0xffffff, v90
	s_cbranch_execz .LBB335_201
; %bb.194:                              ;   in Loop: Header=BB335_9 Depth=1
	v_cmp_ne_u32_sdwa s2, v90, v60 src0_sel:BYTE_3 src1_sel:DWORD
	v_bfrev_b32_e32 v88, 1
	s_and_saveexec_b32 s30, s2
	s_cbranch_execz .LBB335_200
; %bb.195:                              ;   in Loop: Header=BB335_9 Depth=1
	v_bfe_u32 v91, v90, 24, 7
	v_mov_b32_e32 v88, 0x7f800001
	s_mov_b32 s31, exec_lo
	v_cmpx_ne_u32_e32 0x7f, v91
	s_cbranch_execz .LBB335_199
; %bb.196:                              ;   in Loop: Header=BB335_9 Depth=1
	v_and_b32_sdwa v1, v90, v63 dst_sel:DWORD dst_unused:UNUSED_PAD src0_sel:BYTE_3 src1_sel:DWORD
	v_lshrrev_b32_e32 v88, 3, v91
	s_mov_b32 s33, exec_lo
	v_cmpx_gt_u32_e32 8, v91
; %bb.197:                              ;   in Loop: Header=BB335_9 Depth=1
	v_ffbh_u32_e32 v88, v1
	v_min_u32_e32 v88, 32, v88
	v_subrev_nc_u32_e32 v91, 28, v88
	v_sub_nc_u32_e32 v88, 29, v88
	v_lshlrev_b64 v[91:92], v91, v[1:2]
	v_and_b32_e32 v1, 7, v91
; %bb.198:                              ;   in Loop: Header=BB335_9 Depth=1
	s_or_b32 exec_lo, exec_lo, s33
	v_lshlrev_b32_sdwa v90, v64, v90 dst_sel:DWORD dst_unused:UNUSED_PAD src0_sel:DWORD src1_sel:BYTE_3
	v_lshlrev_b32_e32 v1, 20, v1
	v_lshl_add_u32 v88, v88, 23, 0x3c000000
	v_and_b32_e32 v90, 0x80000000, v90
	v_or3_b32 v88, v1, v90, v88
.LBB335_199:                            ;   in Loop: Header=BB335_9 Depth=1
	s_or_b32 exec_lo, exec_lo, s31
.LBB335_200:                            ;   in Loop: Header=BB335_9 Depth=1
	s_or_b32 exec_lo, exec_lo, s30
.LBB335_201:                            ;   in Loop: Header=BB335_9 Depth=1
	s_or_b32 exec_lo, exec_lo, s3
	global_load_dword v94, v[7:8], off offset:768
	v_mov_b32_e32 v91, 0
	v_mov_b32_e32 v90, 0
	s_waitcnt vmcnt(0)
	v_cmp_ne_u16_sdwa s2, v94, v2 src0_sel:BYTE_0 src1_sel:DWORD
	s_and_saveexec_b32 s3, s2
	s_cbranch_execz .LBB335_209
; %bb.202:                              ;   in Loop: Header=BB335_9 Depth=1
	v_cmp_ne_u16_sdwa s2, v94, v60 src0_sel:BYTE_0 src1_sel:DWORD
	v_bfrev_b32_e32 v90, 1
	s_and_saveexec_b32 s30, s2
	s_cbranch_execz .LBB335_208
; %bb.203:                              ;   in Loop: Header=BB335_9 Depth=1
	v_and_b32_e32 v92, 0x7f, v94
	v_mov_b32_e32 v90, 0x7f800001
	s_mov_b32 s31, exec_lo
	v_cmpx_ne_u32_e32 0x7f, v92
	s_cbranch_execz .LBB335_207
; %bb.204:                              ;   in Loop: Header=BB335_9 Depth=1
	v_and_b32_e32 v1, 7, v94
	v_lshrrev_b32_e32 v90, 3, v92
	s_mov_b32 s33, exec_lo
	v_cmpx_gt_u32_e32 8, v92
; %bb.205:                              ;   in Loop: Header=BB335_9 Depth=1
	v_ffbh_u32_e32 v90, v1
	v_min_u32_e32 v90, 32, v90
	v_subrev_nc_u32_e32 v92, 28, v90
	v_sub_nc_u32_e32 v90, 29, v90
	v_lshlrev_b64 v[92:93], v92, v[1:2]
	v_and_b32_e32 v1, 7, v92
; %bb.206:                              ;   in Loop: Header=BB335_9 Depth=1
	s_or_b32 exec_lo, exec_lo, s33
	v_lshlrev_b32_e32 v92, 24, v94
	v_lshlrev_b32_e32 v1, 20, v1
	v_lshl_add_u32 v90, v90, 23, 0x3c000000
	v_and_b32_e32 v92, 0x80000000, v92
	v_or3_b32 v90, v1, v92, v90
.LBB335_207:                            ;   in Loop: Header=BB335_9 Depth=1
	s_or_b32 exec_lo, exec_lo, s31
.LBB335_208:                            ;   in Loop: Header=BB335_9 Depth=1
	s_or_b32 exec_lo, exec_lo, s30
.LBB335_209:                            ;   in Loop: Header=BB335_9 Depth=1
	s_or_b32 exec_lo, exec_lo, s3
	v_cmp_ne_u16_sdwa s2, v94, v2 src0_sel:BYTE_1 src1_sel:DWORD
	s_and_saveexec_b32 s3, s2
	s_cbranch_execz .LBB335_217
; %bb.210:                              ;   in Loop: Header=BB335_9 Depth=1
	v_cmp_ne_u16_sdwa s2, v94, v60 src0_sel:BYTE_1 src1_sel:DWORD
	v_bfrev_b32_e32 v91, 1
	s_and_saveexec_b32 s30, s2
	s_cbranch_execz .LBB335_216
; %bb.211:                              ;   in Loop: Header=BB335_9 Depth=1
	v_and_b32_sdwa v1, v61, v94 dst_sel:DWORD dst_unused:UNUSED_PAD src0_sel:DWORD src1_sel:BYTE_1
	v_mov_b32_e32 v91, 0x7f800001
	s_mov_b32 s31, exec_lo
	v_and_b32_e32 v92, 0x7f, v1
	v_cmpx_ne_u32_e32 0x7f, v92
	s_cbranch_execz .LBB335_215
; %bb.212:                              ;   in Loop: Header=BB335_9 Depth=1
	v_and_b32_e32 v1, 7, v1
	v_lshrrev_b32_e32 v91, 3, v92
	s_mov_b32 s33, exec_lo
	v_cmpx_gt_u32_e32 8, v92
; %bb.213:                              ;   in Loop: Header=BB335_9 Depth=1
	v_ffbh_u32_e32 v91, v1
	v_min_u32_e32 v91, 32, v91
	v_subrev_nc_u32_e32 v92, 28, v91
	v_sub_nc_u32_e32 v91, 29, v91
	v_lshlrev_b64 v[92:93], v92, v[1:2]
	v_and_b32_e32 v1, 7, v92
; %bb.214:                              ;   in Loop: Header=BB335_9 Depth=1
	s_or_b32 exec_lo, exec_lo, s33
	v_lshlrev_b32_e32 v92, 16, v94
	v_lshlrev_b32_e32 v1, 20, v1
	v_lshl_add_u32 v91, v91, 23, 0x3c000000
	v_and_b32_e32 v92, 0x80000000, v92
	v_or3_b32 v91, v1, v92, v91
.LBB335_215:                            ;   in Loop: Header=BB335_9 Depth=1
	s_or_b32 exec_lo, exec_lo, s31
.LBB335_216:                            ;   in Loop: Header=BB335_9 Depth=1
	s_or_b32 exec_lo, exec_lo, s30
.LBB335_217:                            ;   in Loop: Header=BB335_9 Depth=1
	s_or_b32 exec_lo, exec_lo, s3
	v_and_b32_sdwa v1, v94, v62 dst_sel:DWORD dst_unused:UNUSED_PAD src0_sel:WORD_1 src1_sel:DWORD
	v_mov_b32_e32 v92, 0
	v_mov_b32_e32 v93, 0
	s_mov_b32 s3, exec_lo
	v_cmpx_ne_u16_e32 0, v1
	s_cbranch_execz .LBB335_225
; %bb.218:                              ;   in Loop: Header=BB335_9 Depth=1
	v_bfrev_b32_e32 v93, 1
	s_mov_b32 s30, exec_lo
	v_cmpx_ne_u16_e32 0x80, v1
	s_cbranch_execz .LBB335_224
; %bb.219:                              ;   in Loop: Header=BB335_9 Depth=1
	v_bfe_u32 v95, v94, 16, 7
	v_mov_b32_e32 v93, 0x7f800001
	s_mov_b32 s31, exec_lo
	v_cmpx_ne_u32_e32 0x7f, v95
	s_cbranch_execz .LBB335_223
; %bb.220:                              ;   in Loop: Header=BB335_9 Depth=1
	v_and_b32_sdwa v1, v94, v63 dst_sel:DWORD dst_unused:UNUSED_PAD src0_sel:WORD_1 src1_sel:DWORD
	v_lshrrev_b32_e32 v93, 3, v95
	s_mov_b32 s33, exec_lo
	v_cmpx_gt_u32_e32 8, v95
; %bb.221:                              ;   in Loop: Header=BB335_9 Depth=1
	v_ffbh_u32_e32 v93, v1
	v_min_u32_e32 v93, 32, v93
	v_subrev_nc_u32_e32 v95, 28, v93
	v_sub_nc_u32_e32 v93, 29, v93
	v_lshlrev_b64 v[95:96], v95, v[1:2]
	v_and_b32_e32 v1, 7, v95
; %bb.222:                              ;   in Loop: Header=BB335_9 Depth=1
	s_or_b32 exec_lo, exec_lo, s33
	v_lshlrev_b32_sdwa v95, v64, v94 dst_sel:DWORD dst_unused:UNUSED_PAD src0_sel:DWORD src1_sel:WORD_1
	v_lshlrev_b32_e32 v1, 20, v1
	v_lshl_add_u32 v93, v93, 23, 0x3c000000
	v_and_b32_e32 v95, 0x80000000, v95
	v_or3_b32 v93, v1, v95, v93
.LBB335_223:                            ;   in Loop: Header=BB335_9 Depth=1
	s_or_b32 exec_lo, exec_lo, s31
.LBB335_224:                            ;   in Loop: Header=BB335_9 Depth=1
	s_or_b32 exec_lo, exec_lo, s30
.LBB335_225:                            ;   in Loop: Header=BB335_9 Depth=1
	s_or_b32 exec_lo, exec_lo, s3
	s_mov_b32 s3, exec_lo
	v_cmpx_lt_u32_e32 0xffffff, v94
	s_cbranch_execz .LBB335_233
; %bb.226:                              ;   in Loop: Header=BB335_9 Depth=1
	v_cmp_ne_u32_sdwa s2, v94, v60 src0_sel:BYTE_3 src1_sel:DWORD
	v_bfrev_b32_e32 v92, 1
	s_and_saveexec_b32 s30, s2
	s_cbranch_execz .LBB335_232
; %bb.227:                              ;   in Loop: Header=BB335_9 Depth=1
	v_bfe_u32 v95, v94, 24, 7
	v_mov_b32_e32 v92, 0x7f800001
	s_mov_b32 s31, exec_lo
	v_cmpx_ne_u32_e32 0x7f, v95
	s_cbranch_execz .LBB335_231
; %bb.228:                              ;   in Loop: Header=BB335_9 Depth=1
	v_and_b32_sdwa v1, v94, v63 dst_sel:DWORD dst_unused:UNUSED_PAD src0_sel:BYTE_3 src1_sel:DWORD
	v_lshrrev_b32_e32 v92, 3, v95
	s_mov_b32 s33, exec_lo
	v_cmpx_gt_u32_e32 8, v95
; %bb.229:                              ;   in Loop: Header=BB335_9 Depth=1
	v_ffbh_u32_e32 v92, v1
	v_min_u32_e32 v92, 32, v92
	v_subrev_nc_u32_e32 v95, 28, v92
	v_sub_nc_u32_e32 v92, 29, v92
	v_lshlrev_b64 v[95:96], v95, v[1:2]
	v_and_b32_e32 v1, 7, v95
; %bb.230:                              ;   in Loop: Header=BB335_9 Depth=1
	s_or_b32 exec_lo, exec_lo, s33
	v_lshlrev_b32_sdwa v94, v64, v94 dst_sel:DWORD dst_unused:UNUSED_PAD src0_sel:DWORD src1_sel:BYTE_3
	v_lshlrev_b32_e32 v1, 20, v1
	v_lshl_add_u32 v92, v92, 23, 0x3c000000
	v_and_b32_e32 v94, 0x80000000, v94
	v_or3_b32 v92, v1, v94, v92
.LBB335_231:                            ;   in Loop: Header=BB335_9 Depth=1
	s_or_b32 exec_lo, exec_lo, s31
.LBB335_232:                            ;   in Loop: Header=BB335_9 Depth=1
	s_or_b32 exec_lo, exec_lo, s30
.LBB335_233:                            ;   in Loop: Header=BB335_9 Depth=1
	s_or_b32 exec_lo, exec_lo, s3
	global_load_dword v98, v[7:8], off offset:776
	v_mov_b32_e32 v95, 0
	v_mov_b32_e32 v94, 0
	s_waitcnt vmcnt(0)
	v_cmp_ne_u16_sdwa s2, v98, v2 src0_sel:BYTE_0 src1_sel:DWORD
	s_and_saveexec_b32 s3, s2
	s_cbranch_execz .LBB335_241
; %bb.234:                              ;   in Loop: Header=BB335_9 Depth=1
	v_cmp_ne_u16_sdwa s2, v98, v60 src0_sel:BYTE_0 src1_sel:DWORD
	v_bfrev_b32_e32 v94, 1
	s_and_saveexec_b32 s30, s2
	s_cbranch_execz .LBB335_240
; %bb.235:                              ;   in Loop: Header=BB335_9 Depth=1
	v_and_b32_e32 v96, 0x7f, v98
	v_mov_b32_e32 v94, 0x7f800001
	s_mov_b32 s31, exec_lo
	v_cmpx_ne_u32_e32 0x7f, v96
	s_cbranch_execz .LBB335_239
; %bb.236:                              ;   in Loop: Header=BB335_9 Depth=1
	v_and_b32_e32 v1, 7, v98
	v_lshrrev_b32_e32 v94, 3, v96
	s_mov_b32 s33, exec_lo
	v_cmpx_gt_u32_e32 8, v96
; %bb.237:                              ;   in Loop: Header=BB335_9 Depth=1
	v_ffbh_u32_e32 v94, v1
	v_min_u32_e32 v94, 32, v94
	v_subrev_nc_u32_e32 v96, 28, v94
	v_sub_nc_u32_e32 v94, 29, v94
	v_lshlrev_b64 v[96:97], v96, v[1:2]
	v_and_b32_e32 v1, 7, v96
; %bb.238:                              ;   in Loop: Header=BB335_9 Depth=1
	s_or_b32 exec_lo, exec_lo, s33
	v_lshlrev_b32_e32 v96, 24, v98
	v_lshlrev_b32_e32 v1, 20, v1
	v_lshl_add_u32 v94, v94, 23, 0x3c000000
	v_and_b32_e32 v96, 0x80000000, v96
	v_or3_b32 v94, v1, v96, v94
.LBB335_239:                            ;   in Loop: Header=BB335_9 Depth=1
	s_or_b32 exec_lo, exec_lo, s31
.LBB335_240:                            ;   in Loop: Header=BB335_9 Depth=1
	s_or_b32 exec_lo, exec_lo, s30
.LBB335_241:                            ;   in Loop: Header=BB335_9 Depth=1
	s_or_b32 exec_lo, exec_lo, s3
	v_cmp_ne_u16_sdwa s2, v98, v2 src0_sel:BYTE_1 src1_sel:DWORD
	s_and_saveexec_b32 s3, s2
	s_cbranch_execz .LBB335_249
; %bb.242:                              ;   in Loop: Header=BB335_9 Depth=1
	v_cmp_ne_u16_sdwa s2, v98, v60 src0_sel:BYTE_1 src1_sel:DWORD
	v_bfrev_b32_e32 v95, 1
	s_and_saveexec_b32 s30, s2
	s_cbranch_execz .LBB335_248
; %bb.243:                              ;   in Loop: Header=BB335_9 Depth=1
	v_and_b32_sdwa v1, v61, v98 dst_sel:DWORD dst_unused:UNUSED_PAD src0_sel:DWORD src1_sel:BYTE_1
	v_mov_b32_e32 v95, 0x7f800001
	s_mov_b32 s31, exec_lo
	v_and_b32_e32 v96, 0x7f, v1
	v_cmpx_ne_u32_e32 0x7f, v96
	s_cbranch_execz .LBB335_247
; %bb.244:                              ;   in Loop: Header=BB335_9 Depth=1
	v_and_b32_e32 v1, 7, v1
	v_lshrrev_b32_e32 v95, 3, v96
	s_mov_b32 s33, exec_lo
	v_cmpx_gt_u32_e32 8, v96
; %bb.245:                              ;   in Loop: Header=BB335_9 Depth=1
	v_ffbh_u32_e32 v95, v1
	v_min_u32_e32 v95, 32, v95
	v_subrev_nc_u32_e32 v96, 28, v95
	v_sub_nc_u32_e32 v95, 29, v95
	v_lshlrev_b64 v[96:97], v96, v[1:2]
	v_and_b32_e32 v1, 7, v96
; %bb.246:                              ;   in Loop: Header=BB335_9 Depth=1
	s_or_b32 exec_lo, exec_lo, s33
	v_lshlrev_b32_e32 v96, 16, v98
	v_lshlrev_b32_e32 v1, 20, v1
	v_lshl_add_u32 v95, v95, 23, 0x3c000000
	v_and_b32_e32 v96, 0x80000000, v96
	v_or3_b32 v95, v1, v96, v95
.LBB335_247:                            ;   in Loop: Header=BB335_9 Depth=1
	s_or_b32 exec_lo, exec_lo, s31
.LBB335_248:                            ;   in Loop: Header=BB335_9 Depth=1
	s_or_b32 exec_lo, exec_lo, s30
.LBB335_249:                            ;   in Loop: Header=BB335_9 Depth=1
	s_or_b32 exec_lo, exec_lo, s3
	v_and_b32_sdwa v1, v98, v62 dst_sel:DWORD dst_unused:UNUSED_PAD src0_sel:WORD_1 src1_sel:DWORD
	v_mov_b32_e32 v96, 0
	v_mov_b32_e32 v97, 0
	s_mov_b32 s3, exec_lo
	v_cmpx_ne_u16_e32 0, v1
	s_cbranch_execz .LBB335_257
; %bb.250:                              ;   in Loop: Header=BB335_9 Depth=1
	v_bfrev_b32_e32 v97, 1
	s_mov_b32 s30, exec_lo
	v_cmpx_ne_u16_e32 0x80, v1
	s_cbranch_execz .LBB335_256
; %bb.251:                              ;   in Loop: Header=BB335_9 Depth=1
	v_bfe_u32 v99, v98, 16, 7
	v_mov_b32_e32 v97, 0x7f800001
	s_mov_b32 s31, exec_lo
	v_cmpx_ne_u32_e32 0x7f, v99
	s_cbranch_execz .LBB335_255
; %bb.252:                              ;   in Loop: Header=BB335_9 Depth=1
	v_and_b32_sdwa v1, v98, v63 dst_sel:DWORD dst_unused:UNUSED_PAD src0_sel:WORD_1 src1_sel:DWORD
	v_lshrrev_b32_e32 v97, 3, v99
	s_mov_b32 s33, exec_lo
	v_cmpx_gt_u32_e32 8, v99
; %bb.253:                              ;   in Loop: Header=BB335_9 Depth=1
	v_ffbh_u32_e32 v97, v1
	v_min_u32_e32 v97, 32, v97
	v_subrev_nc_u32_e32 v99, 28, v97
	v_sub_nc_u32_e32 v97, 29, v97
	v_lshlrev_b64 v[99:100], v99, v[1:2]
	v_and_b32_e32 v1, 7, v99
; %bb.254:                              ;   in Loop: Header=BB335_9 Depth=1
	s_or_b32 exec_lo, exec_lo, s33
	v_lshlrev_b32_sdwa v99, v64, v98 dst_sel:DWORD dst_unused:UNUSED_PAD src0_sel:DWORD src1_sel:WORD_1
	v_lshlrev_b32_e32 v1, 20, v1
	v_lshl_add_u32 v97, v97, 23, 0x3c000000
	v_and_b32_e32 v99, 0x80000000, v99
	v_or3_b32 v97, v1, v99, v97
.LBB335_255:                            ;   in Loop: Header=BB335_9 Depth=1
	s_or_b32 exec_lo, exec_lo, s31
.LBB335_256:                            ;   in Loop: Header=BB335_9 Depth=1
	s_or_b32 exec_lo, exec_lo, s30
.LBB335_257:                            ;   in Loop: Header=BB335_9 Depth=1
	s_or_b32 exec_lo, exec_lo, s3
	s_mov_b32 s3, exec_lo
	v_cmpx_lt_u32_e32 0xffffff, v98
	s_cbranch_execz .LBB335_265
; %bb.258:                              ;   in Loop: Header=BB335_9 Depth=1
	v_cmp_ne_u32_sdwa s2, v98, v60 src0_sel:BYTE_3 src1_sel:DWORD
	v_bfrev_b32_e32 v96, 1
	s_and_saveexec_b32 s30, s2
	s_cbranch_execz .LBB335_264
; %bb.259:                              ;   in Loop: Header=BB335_9 Depth=1
	v_bfe_u32 v99, v98, 24, 7
	v_mov_b32_e32 v96, 0x7f800001
	s_mov_b32 s31, exec_lo
	v_cmpx_ne_u32_e32 0x7f, v99
	s_cbranch_execz .LBB335_263
; %bb.260:                              ;   in Loop: Header=BB335_9 Depth=1
	v_and_b32_sdwa v1, v98, v63 dst_sel:DWORD dst_unused:UNUSED_PAD src0_sel:BYTE_3 src1_sel:DWORD
	v_lshrrev_b32_e32 v96, 3, v99
	s_mov_b32 s33, exec_lo
	v_cmpx_gt_u32_e32 8, v99
; %bb.261:                              ;   in Loop: Header=BB335_9 Depth=1
	v_ffbh_u32_e32 v96, v1
	v_min_u32_e32 v96, 32, v96
	v_subrev_nc_u32_e32 v99, 28, v96
	v_sub_nc_u32_e32 v96, 29, v96
	v_lshlrev_b64 v[99:100], v99, v[1:2]
	v_and_b32_e32 v1, 7, v99
; %bb.262:                              ;   in Loop: Header=BB335_9 Depth=1
	s_or_b32 exec_lo, exec_lo, s33
	v_lshlrev_b32_sdwa v98, v64, v98 dst_sel:DWORD dst_unused:UNUSED_PAD src0_sel:DWORD src1_sel:BYTE_3
	v_lshlrev_b32_e32 v1, 20, v1
	v_lshl_add_u32 v96, v96, 23, 0x3c000000
	v_and_b32_e32 v98, 0x80000000, v98
	v_or3_b32 v96, v1, v98, v96
.LBB335_263:                            ;   in Loop: Header=BB335_9 Depth=1
	s_or_b32 exec_lo, exec_lo, s31
.LBB335_264:                            ;   in Loop: Header=BB335_9 Depth=1
	s_or_b32 exec_lo, exec_lo, s30
.LBB335_265:                            ;   in Loop: Header=BB335_9 Depth=1
	s_or_b32 exec_lo, exec_lo, s3
	global_load_dword v100, v[7:8], off offset:1024
	v_mov_b32_e32 v99, 0
	v_mov_b32_e32 v98, 0
	s_waitcnt vmcnt(0)
	v_cmp_ne_u16_sdwa s2, v100, v2 src0_sel:BYTE_0 src1_sel:DWORD
	s_and_saveexec_b32 s3, s2
	s_cbranch_execz .LBB335_273
; %bb.266:                              ;   in Loop: Header=BB335_9 Depth=1
	v_cmp_ne_u16_sdwa s2, v100, v60 src0_sel:BYTE_0 src1_sel:DWORD
	v_bfrev_b32_e32 v98, 1
	s_and_saveexec_b32 s30, s2
	s_cbranch_execz .LBB335_272
; %bb.267:                              ;   in Loop: Header=BB335_9 Depth=1
	v_and_b32_e32 v101, 0x7f, v100
	v_mov_b32_e32 v98, 0x7f800001
	s_mov_b32 s31, exec_lo
	v_cmpx_ne_u32_e32 0x7f, v101
	s_cbranch_execz .LBB335_271
; %bb.268:                              ;   in Loop: Header=BB335_9 Depth=1
	v_and_b32_e32 v1, 7, v100
	v_lshrrev_b32_e32 v98, 3, v101
	s_mov_b32 s33, exec_lo
	v_cmpx_gt_u32_e32 8, v101
; %bb.269:                              ;   in Loop: Header=BB335_9 Depth=1
	v_ffbh_u32_e32 v98, v1
	v_min_u32_e32 v98, 32, v98
	v_subrev_nc_u32_e32 v101, 28, v98
	v_sub_nc_u32_e32 v98, 29, v98
	v_lshlrev_b64 v[101:102], v101, v[1:2]
	v_and_b32_e32 v1, 7, v101
; %bb.270:                              ;   in Loop: Header=BB335_9 Depth=1
	s_or_b32 exec_lo, exec_lo, s33
	v_lshlrev_b32_e32 v101, 24, v100
	v_lshlrev_b32_e32 v1, 20, v1
	v_lshl_add_u32 v98, v98, 23, 0x3c000000
	v_and_b32_e32 v101, 0x80000000, v101
	v_or3_b32 v98, v1, v101, v98
.LBB335_271:                            ;   in Loop: Header=BB335_9 Depth=1
	s_or_b32 exec_lo, exec_lo, s31
.LBB335_272:                            ;   in Loop: Header=BB335_9 Depth=1
	s_or_b32 exec_lo, exec_lo, s30
.LBB335_273:                            ;   in Loop: Header=BB335_9 Depth=1
	s_or_b32 exec_lo, exec_lo, s3
	v_cmp_ne_u16_sdwa s2, v100, v2 src0_sel:BYTE_1 src1_sel:DWORD
	s_and_saveexec_b32 s3, s2
	s_cbranch_execz .LBB335_281
; %bb.274:                              ;   in Loop: Header=BB335_9 Depth=1
	v_cmp_ne_u16_sdwa s2, v100, v60 src0_sel:BYTE_1 src1_sel:DWORD
	v_bfrev_b32_e32 v99, 1
	s_and_saveexec_b32 s30, s2
	s_cbranch_execz .LBB335_280
; %bb.275:                              ;   in Loop: Header=BB335_9 Depth=1
	v_and_b32_sdwa v1, v61, v100 dst_sel:DWORD dst_unused:UNUSED_PAD src0_sel:DWORD src1_sel:BYTE_1
	v_mov_b32_e32 v99, 0x7f800001
	s_mov_b32 s31, exec_lo
	v_and_b32_e32 v101, 0x7f, v1
	v_cmpx_ne_u32_e32 0x7f, v101
	s_cbranch_execz .LBB335_279
; %bb.276:                              ;   in Loop: Header=BB335_9 Depth=1
	v_and_b32_e32 v1, 7, v1
	v_lshrrev_b32_e32 v99, 3, v101
	s_mov_b32 s33, exec_lo
	v_cmpx_gt_u32_e32 8, v101
; %bb.277:                              ;   in Loop: Header=BB335_9 Depth=1
	v_ffbh_u32_e32 v99, v1
	v_min_u32_e32 v99, 32, v99
	v_subrev_nc_u32_e32 v101, 28, v99
	v_sub_nc_u32_e32 v99, 29, v99
	v_lshlrev_b64 v[101:102], v101, v[1:2]
	v_and_b32_e32 v1, 7, v101
; %bb.278:                              ;   in Loop: Header=BB335_9 Depth=1
	s_or_b32 exec_lo, exec_lo, s33
	v_lshlrev_b32_e32 v101, 16, v100
	v_lshlrev_b32_e32 v1, 20, v1
	v_lshl_add_u32 v99, v99, 23, 0x3c000000
	v_and_b32_e32 v101, 0x80000000, v101
	v_or3_b32 v99, v1, v101, v99
.LBB335_279:                            ;   in Loop: Header=BB335_9 Depth=1
	s_or_b32 exec_lo, exec_lo, s31
.LBB335_280:                            ;   in Loop: Header=BB335_9 Depth=1
	s_or_b32 exec_lo, exec_lo, s30
.LBB335_281:                            ;   in Loop: Header=BB335_9 Depth=1
	s_or_b32 exec_lo, exec_lo, s3
	v_and_b32_sdwa v1, v100, v62 dst_sel:DWORD dst_unused:UNUSED_PAD src0_sel:WORD_1 src1_sel:DWORD
	v_mov_b32_e32 v101, 0
	v_mov_b32_e32 v102, 0
	s_mov_b32 s3, exec_lo
	v_cmpx_ne_u16_e32 0, v1
	s_cbranch_execz .LBB335_289
; %bb.282:                              ;   in Loop: Header=BB335_9 Depth=1
	v_bfrev_b32_e32 v102, 1
	s_mov_b32 s30, exec_lo
	v_cmpx_ne_u16_e32 0x80, v1
	s_cbranch_execz .LBB335_288
; %bb.283:                              ;   in Loop: Header=BB335_9 Depth=1
	v_bfe_u32 v103, v100, 16, 7
	v_mov_b32_e32 v102, 0x7f800001
	s_mov_b32 s31, exec_lo
	v_cmpx_ne_u32_e32 0x7f, v103
	s_cbranch_execz .LBB335_287
; %bb.284:                              ;   in Loop: Header=BB335_9 Depth=1
	v_and_b32_sdwa v1, v100, v63 dst_sel:DWORD dst_unused:UNUSED_PAD src0_sel:WORD_1 src1_sel:DWORD
	v_lshrrev_b32_e32 v102, 3, v103
	s_mov_b32 s33, exec_lo
	v_cmpx_gt_u32_e32 8, v103
; %bb.285:                              ;   in Loop: Header=BB335_9 Depth=1
	v_ffbh_u32_e32 v102, v1
	v_min_u32_e32 v102, 32, v102
	v_subrev_nc_u32_e32 v103, 28, v102
	v_sub_nc_u32_e32 v102, 29, v102
	v_lshlrev_b64 v[103:104], v103, v[1:2]
	v_and_b32_e32 v1, 7, v103
; %bb.286:                              ;   in Loop: Header=BB335_9 Depth=1
	s_or_b32 exec_lo, exec_lo, s33
	v_lshlrev_b32_sdwa v103, v64, v100 dst_sel:DWORD dst_unused:UNUSED_PAD src0_sel:DWORD src1_sel:WORD_1
	v_lshlrev_b32_e32 v1, 20, v1
	v_lshl_add_u32 v102, v102, 23, 0x3c000000
	v_and_b32_e32 v103, 0x80000000, v103
	v_or3_b32 v102, v1, v103, v102
.LBB335_287:                            ;   in Loop: Header=BB335_9 Depth=1
	s_or_b32 exec_lo, exec_lo, s31
.LBB335_288:                            ;   in Loop: Header=BB335_9 Depth=1
	s_or_b32 exec_lo, exec_lo, s30
.LBB335_289:                            ;   in Loop: Header=BB335_9 Depth=1
	s_or_b32 exec_lo, exec_lo, s3
	s_mov_b32 s3, exec_lo
	v_cmpx_lt_u32_e32 0xffffff, v100
	s_cbranch_execz .LBB335_297
; %bb.290:                              ;   in Loop: Header=BB335_9 Depth=1
	v_cmp_ne_u32_sdwa s2, v100, v60 src0_sel:BYTE_3 src1_sel:DWORD
	v_bfrev_b32_e32 v101, 1
	s_and_saveexec_b32 s30, s2
	s_cbranch_execz .LBB335_296
; %bb.291:                              ;   in Loop: Header=BB335_9 Depth=1
	v_bfe_u32 v103, v100, 24, 7
	v_mov_b32_e32 v101, 0x7f800001
	s_mov_b32 s31, exec_lo
	v_cmpx_ne_u32_e32 0x7f, v103
	s_cbranch_execz .LBB335_295
; %bb.292:                              ;   in Loop: Header=BB335_9 Depth=1
	v_and_b32_sdwa v1, v100, v63 dst_sel:DWORD dst_unused:UNUSED_PAD src0_sel:BYTE_3 src1_sel:DWORD
	v_lshrrev_b32_e32 v101, 3, v103
	s_mov_b32 s33, exec_lo
	v_cmpx_gt_u32_e32 8, v103
; %bb.293:                              ;   in Loop: Header=BB335_9 Depth=1
	v_ffbh_u32_e32 v101, v1
	v_min_u32_e32 v101, 32, v101
	v_subrev_nc_u32_e32 v103, 28, v101
	v_sub_nc_u32_e32 v101, 29, v101
	v_lshlrev_b64 v[103:104], v103, v[1:2]
	v_and_b32_e32 v1, 7, v103
; %bb.294:                              ;   in Loop: Header=BB335_9 Depth=1
	s_or_b32 exec_lo, exec_lo, s33
	v_lshlrev_b32_sdwa v100, v64, v100 dst_sel:DWORD dst_unused:UNUSED_PAD src0_sel:DWORD src1_sel:BYTE_3
	v_lshlrev_b32_e32 v1, 20, v1
	v_lshl_add_u32 v101, v101, 23, 0x3c000000
	v_and_b32_e32 v100, 0x80000000, v100
	v_or3_b32 v101, v1, v100, v101
.LBB335_295:                            ;   in Loop: Header=BB335_9 Depth=1
	s_or_b32 exec_lo, exec_lo, s31
.LBB335_296:                            ;   in Loop: Header=BB335_9 Depth=1
	s_or_b32 exec_lo, exec_lo, s30
.LBB335_297:                            ;   in Loop: Header=BB335_9 Depth=1
	s_or_b32 exec_lo, exec_lo, s3
	global_load_dword v7, v[7:8], off offset:1032
	v_mov_b32_e32 v104, 0
	v_mov_b32_e32 v103, 0
	s_waitcnt vmcnt(0)
	v_cmp_ne_u16_sdwa s2, v7, v2 src0_sel:BYTE_0 src1_sel:DWORD
	s_and_saveexec_b32 s3, s2
	s_cbranch_execz .LBB335_305
; %bb.298:                              ;   in Loop: Header=BB335_9 Depth=1
	v_cmp_ne_u16_sdwa s2, v7, v60 src0_sel:BYTE_0 src1_sel:DWORD
	v_bfrev_b32_e32 v103, 1
	s_and_saveexec_b32 s30, s2
	s_cbranch_execz .LBB335_304
; %bb.299:                              ;   in Loop: Header=BB335_9 Depth=1
	v_and_b32_e32 v100, 0x7f, v7
	v_mov_b32_e32 v103, 0x7f800001
	s_mov_b32 s31, exec_lo
	v_cmpx_ne_u32_e32 0x7f, v100
	s_cbranch_execz .LBB335_303
; %bb.300:                              ;   in Loop: Header=BB335_9 Depth=1
	v_and_b32_e32 v1, 7, v7
	v_lshrrev_b32_e32 v8, 3, v100
	s_mov_b32 s33, exec_lo
	v_cmpx_gt_u32_e32 8, v100
; %bb.301:                              ;   in Loop: Header=BB335_9 Depth=1
	v_ffbh_u32_e32 v8, v1
	v_min_u32_e32 v8, 32, v8
	v_subrev_nc_u32_e32 v100, 28, v8
	v_sub_nc_u32_e32 v8, 29, v8
	v_lshlrev_b64 v[105:106], v100, v[1:2]
	v_and_b32_e32 v1, 7, v105
; %bb.302:                              ;   in Loop: Header=BB335_9 Depth=1
	s_or_b32 exec_lo, exec_lo, s33
	v_lshlrev_b32_e32 v100, 24, v7
	v_lshlrev_b32_e32 v1, 20, v1
	v_lshl_add_u32 v8, v8, 23, 0x3c000000
	v_and_b32_e32 v100, 0x80000000, v100
	v_or3_b32 v103, v1, v100, v8
.LBB335_303:                            ;   in Loop: Header=BB335_9 Depth=1
	s_or_b32 exec_lo, exec_lo, s31
.LBB335_304:                            ;   in Loop: Header=BB335_9 Depth=1
	s_or_b32 exec_lo, exec_lo, s30
.LBB335_305:                            ;   in Loop: Header=BB335_9 Depth=1
	s_or_b32 exec_lo, exec_lo, s3
	v_cmp_ne_u16_sdwa s2, v7, v2 src0_sel:BYTE_1 src1_sel:DWORD
	s_and_saveexec_b32 s3, s2
	s_cbranch_execz .LBB335_313
; %bb.306:                              ;   in Loop: Header=BB335_9 Depth=1
	v_cmp_ne_u16_sdwa s2, v7, v60 src0_sel:BYTE_1 src1_sel:DWORD
	v_bfrev_b32_e32 v104, 1
	s_and_saveexec_b32 s30, s2
	s_cbranch_execz .LBB335_312
; %bb.307:                              ;   in Loop: Header=BB335_9 Depth=1
	v_and_b32_sdwa v1, v61, v7 dst_sel:DWORD dst_unused:UNUSED_PAD src0_sel:DWORD src1_sel:BYTE_1
	v_mov_b32_e32 v104, 0x7f800001
	s_mov_b32 s31, exec_lo
	v_and_b32_e32 v100, 0x7f, v1
	v_cmpx_ne_u32_e32 0x7f, v100
	s_cbranch_execz .LBB335_311
; %bb.308:                              ;   in Loop: Header=BB335_9 Depth=1
	v_and_b32_e32 v1, 7, v1
	v_lshrrev_b32_e32 v8, 3, v100
	s_mov_b32 s33, exec_lo
	v_cmpx_gt_u32_e32 8, v100
; %bb.309:                              ;   in Loop: Header=BB335_9 Depth=1
	v_ffbh_u32_e32 v8, v1
	v_min_u32_e32 v8, 32, v8
	v_subrev_nc_u32_e32 v100, 28, v8
	v_sub_nc_u32_e32 v8, 29, v8
	v_lshlrev_b64 v[104:105], v100, v[1:2]
	v_and_b32_e32 v1, 7, v104
; %bb.310:                              ;   in Loop: Header=BB335_9 Depth=1
	s_or_b32 exec_lo, exec_lo, s33
	v_lshlrev_b32_e32 v100, 16, v7
	v_lshlrev_b32_e32 v1, 20, v1
	v_lshl_add_u32 v8, v8, 23, 0x3c000000
	v_and_b32_e32 v100, 0x80000000, v100
	v_or3_b32 v104, v1, v100, v8
.LBB335_311:                            ;   in Loop: Header=BB335_9 Depth=1
	s_or_b32 exec_lo, exec_lo, s31
.LBB335_312:                            ;   in Loop: Header=BB335_9 Depth=1
	s_or_b32 exec_lo, exec_lo, s30
.LBB335_313:                            ;   in Loop: Header=BB335_9 Depth=1
	s_or_b32 exec_lo, exec_lo, s3
	v_and_b32_sdwa v1, v7, v62 dst_sel:DWORD dst_unused:UNUSED_PAD src0_sel:WORD_1 src1_sel:DWORD
	v_mov_b32_e32 v8, 0
	v_mov_b32_e32 v100, 0
	s_mov_b32 s3, exec_lo
	v_cmpx_ne_u16_e32 0, v1
	s_cbranch_execz .LBB335_321
; %bb.314:                              ;   in Loop: Header=BB335_9 Depth=1
	v_bfrev_b32_e32 v100, 1
	s_mov_b32 s30, exec_lo
	v_cmpx_ne_u16_e32 0x80, v1
	s_cbranch_execz .LBB335_320
; %bb.315:                              ;   in Loop: Header=BB335_9 Depth=1
	v_bfe_u32 v105, v7, 16, 7
	v_mov_b32_e32 v100, 0x7f800001
	s_mov_b32 s31, exec_lo
	v_cmpx_ne_u32_e32 0x7f, v105
	s_cbranch_execz .LBB335_319
; %bb.316:                              ;   in Loop: Header=BB335_9 Depth=1
	v_and_b32_sdwa v1, v7, v63 dst_sel:DWORD dst_unused:UNUSED_PAD src0_sel:WORD_1 src1_sel:DWORD
	v_lshrrev_b32_e32 v100, 3, v105
	s_mov_b32 s33, exec_lo
	v_cmpx_gt_u32_e32 8, v105
; %bb.317:                              ;   in Loop: Header=BB335_9 Depth=1
	v_ffbh_u32_e32 v100, v1
	v_min_u32_e32 v100, 32, v100
	v_subrev_nc_u32_e32 v105, 28, v100
	v_sub_nc_u32_e32 v100, 29, v100
	v_lshlrev_b64 v[105:106], v105, v[1:2]
	v_and_b32_e32 v1, 7, v105
; %bb.318:                              ;   in Loop: Header=BB335_9 Depth=1
	s_or_b32 exec_lo, exec_lo, s33
	v_lshlrev_b32_sdwa v105, v64, v7 dst_sel:DWORD dst_unused:UNUSED_PAD src0_sel:DWORD src1_sel:WORD_1
	v_lshlrev_b32_e32 v1, 20, v1
	v_lshl_add_u32 v100, v100, 23, 0x3c000000
	v_and_b32_e32 v105, 0x80000000, v105
	v_or3_b32 v100, v1, v105, v100
.LBB335_319:                            ;   in Loop: Header=BB335_9 Depth=1
	s_or_b32 exec_lo, exec_lo, s31
.LBB335_320:                            ;   in Loop: Header=BB335_9 Depth=1
	s_or_b32 exec_lo, exec_lo, s30
.LBB335_321:                            ;   in Loop: Header=BB335_9 Depth=1
	s_or_b32 exec_lo, exec_lo, s3
	s_mov_b32 s3, exec_lo
	v_cmpx_lt_u32_e32 0xffffff, v7
	s_cbranch_execz .LBB335_329
; %bb.322:                              ;   in Loop: Header=BB335_9 Depth=1
	v_cmp_ne_u32_sdwa s2, v7, v60 src0_sel:BYTE_3 src1_sel:DWORD
	v_bfrev_b32_e32 v8, 1
	s_and_saveexec_b32 s30, s2
	s_cbranch_execz .LBB335_328
; %bb.323:                              ;   in Loop: Header=BB335_9 Depth=1
	v_bfe_u32 v105, v7, 24, 7
	v_mov_b32_e32 v8, 0x7f800001
	s_mov_b32 s31, exec_lo
	v_cmpx_ne_u32_e32 0x7f, v105
	s_cbranch_execz .LBB335_327
; %bb.324:                              ;   in Loop: Header=BB335_9 Depth=1
	v_and_b32_sdwa v1, v7, v63 dst_sel:DWORD dst_unused:UNUSED_PAD src0_sel:BYTE_3 src1_sel:DWORD
	v_lshrrev_b32_e32 v8, 3, v105
	s_mov_b32 s33, exec_lo
	v_cmpx_gt_u32_e32 8, v105
; %bb.325:                              ;   in Loop: Header=BB335_9 Depth=1
	v_ffbh_u32_e32 v8, v1
	v_min_u32_e32 v8, 32, v8
	v_subrev_nc_u32_e32 v105, 28, v8
	v_sub_nc_u32_e32 v8, 29, v8
	v_lshlrev_b64 v[105:106], v105, v[1:2]
	v_and_b32_e32 v1, 7, v105
; %bb.326:                              ;   in Loop: Header=BB335_9 Depth=1
	s_or_b32 exec_lo, exec_lo, s33
	v_lshlrev_b32_sdwa v7, v64, v7 dst_sel:DWORD dst_unused:UNUSED_PAD src0_sel:DWORD src1_sel:BYTE_3
	v_lshlrev_b32_e32 v1, 20, v1
	v_lshl_add_u32 v8, v8, 23, 0x3c000000
	v_and_b32_e32 v7, 0x80000000, v7
	v_or3_b32 v8, v1, v7, v8
.LBB335_327:                            ;   in Loop: Header=BB335_9 Depth=1
	s_or_b32 exec_lo, exec_lo, s31
.LBB335_328:                            ;   in Loop: Header=BB335_9 Depth=1
	s_or_b32 exec_lo, exec_lo, s30
.LBB335_329:                            ;   in Loop: Header=BB335_9 Depth=1
	s_or_b32 exec_lo, exec_lo, s3
	v_mul_f32_e32 v1, s4, v104
	v_mul_f32_e32 v7, s4, v103
	v_mul_f32_e32 v102, s4, v102
	v_mul_f32_e32 v101, s4, v101
	v_mul_f32_e32 v81, s4, v81
	v_bfe_u32 v103, v1, 16, 1
	v_bfe_u32 v104, v7, 16, 1
	v_or_b32_e32 v105, 0x400000, v1
	v_cmp_u_f32_e64 s2, v1, v1
	v_or_b32_e32 v106, 0x400000, v7
	v_add3_u32 v103, v103, v1, 0x7fff
	v_bfe_u32 v107, v102, 16, 1
	v_add3_u32 v104, v104, v7, 0x7fff
	v_bfe_u32 v108, v101, 16, 1
	v_mul_f32_e32 v80, s4, v80
	v_cndmask_b32_e64 v1, v103, v105, s2
	v_cmp_u_f32_e64 s2, v7, v7
	v_add3_u32 v103, v107, v102, 0x7fff
	v_add3_u32 v105, v108, v101, 0x7fff
	v_mul_f32_e32 v79, s4, v79
	v_mul_f32_e32 v78, s4, v78
	v_cndmask_b32_e64 v7, v104, v106, s2
	v_mul_f32_e32 v104, s4, v99
	v_or_b32_e32 v99, 0x400000, v102
	v_cmp_u_f32_e64 s2, v102, v102
	v_mul_f32_e32 v106, s4, v98
	v_or_b32_e32 v98, 0x400000, v101
	v_bfe_u32 v107, v104, 16, 1
	v_mul_f32_e32 v77, s4, v77
	v_cndmask_b32_e64 v99, v103, v99, s2
	v_cmp_u_f32_e64 s2, v101, v101
	v_bfe_u32 v102, v106, 16, 1
	v_add3_u32 v101, v107, v104, 0x7fff
	v_mul_f32_e32 v103, s4, v97
	v_or_b32_e32 v97, 0x400000, v104
	v_cndmask_b32_e64 v98, v105, v98, s2
	v_cmp_u_f32_e64 s2, v104, v104
	v_add3_u32 v102, v102, v106, 0x7fff
	v_mul_f32_e32 v105, s4, v96
	v_or_b32_e32 v107, 0x400000, v106
	v_bfe_u32 v108, v103, 16, 1
	v_cndmask_b32_e64 v96, v101, v97, s2
	v_cmp_u_f32_e64 s2, v106, v106
	v_bfe_u32 v101, v105, 16, 1
	v_mul_f32_e32 v104, s4, v95
	v_or_b32_e32 v95, 0x400000, v103
	v_mul_f32_e32 v106, s4, v94
	v_cndmask_b32_e64 v97, v102, v107, s2
	v_add3_u32 v102, v108, v103, 0x7fff
	v_cmp_u_f32_e64 s2, v103, v103
	v_add3_u32 v101, v101, v105, 0x7fff
	v_or_b32_e32 v107, 0x400000, v105
	v_bfe_u32 v108, v104, 16, 1
	v_mul_f32_e32 v103, s4, v93
	v_cndmask_b32_e64 v94, v102, v95, s2
	v_cmp_u_f32_e64 s2, v105, v105
	v_bfe_u32 v102, v106, 16, 1
	v_or_b32_e32 v93, 0x400000, v104
	v_mul_f32_e32 v105, s4, v92
	v_mul_f32_e32 v76, s4, v76
	v_cndmask_b32_e64 v95, v101, v107, s2
	v_add3_u32 v101, v108, v104, 0x7fff
	v_cmp_u_f32_e64 s2, v104, v104
	v_add3_u32 v102, v102, v106, 0x7fff
	v_or_b32_e32 v107, 0x400000, v106
	v_bfe_u32 v108, v103, 16, 1
	v_mul_f32_e32 v104, s4, v91
	v_cndmask_b32_e64 v92, v101, v93, s2
	v_cmp_u_f32_e64 s2, v106, v106
	v_bfe_u32 v101, v105, 16, 1
	v_or_b32_e32 v91, 0x400000, v103
	v_mul_f32_e32 v106, s4, v90
	;; [unrolled: 13-line block ×6, first 2 shown]
	v_mul_f32_e32 v71, s4, v71
	v_cndmask_b32_e64 v85, v102, v107, s2
	v_add3_u32 v102, v108, v103, 0x7fff
	v_cmp_u_f32_e64 s2, v103, v103
	v_add3_u32 v101, v101, v105, 0x7fff
	v_or_b32_e32 v107, 0x400000, v105
	v_bfe_u32 v108, v104, 16, 1
	v_or_b32_e32 v103, 0x400000, v104
	v_cndmask_b32_e64 v82, v102, v83, s2
	v_cmp_u_f32_e64 s2, v105, v105
	v_bfe_u32 v102, v106, 16, 1
	v_or_b32_e32 v105, 0x400000, v106
	v_mul_f32_e32 v70, s4, v70
	v_mul_f32_e32 v69, s4, v69
	v_cndmask_b32_e64 v83, v101, v107, s2
	v_add3_u32 v101, v108, v104, 0x7fff
	v_cmp_u_f32_e64 s2, v104, v104
	v_add3_u32 v102, v102, v106, 0x7fff
	v_bfe_u32 v107, v81, 16, 1
	v_mul_f32_e32 v68, s4, v68
	v_mul_f32_e32 v67, s4, v67
	v_cndmask_b32_e64 v101, v101, v103, s2
	v_cmp_u_f32_e64 s2, v106, v106
	v_bfe_u32 v103, v80, 16, 1
	v_add3_u32 v104, v107, v81, 0x7fff
	v_or_b32_e32 v106, 0x400000, v80
	v_bfe_u32 v107, v79, 16, 1
	v_cndmask_b32_e64 v102, v102, v105, s2
	v_or_b32_e32 v105, 0x400000, v81
	v_cmp_u_f32_e64 s2, v81, v81
	v_add3_u32 v103, v103, v80, 0x7fff
	v_mul_f32_e32 v66, s4, v66
	v_mul_f32_e32 v100, s4, v100
	;; [unrolled: 1-line block ×3, first 2 shown]
	v_cndmask_b32_e64 v81, v104, v105, s2
	v_cmp_u_f32_e64 s2, v80, v80
	v_bfe_u32 v104, v78, 16, 1
	v_or_b32_e32 v105, 0x400000, v79
	v_or_b32_e32 v108, 0x400000, v8
	v_and_b32_e32 v7, 0xffff0000, v7
	v_cndmask_b32_e64 v80, v103, v106, s2
	v_add3_u32 v103, v107, v79, 0x7fff
	v_cmp_u_f32_e64 s2, v79, v79
	v_add3_u32 v104, v104, v78, 0x7fff
	v_or_b32_e32 v106, 0x400000, v78
	v_bfe_u32 v107, v77, 16, 1
	v_and_b32_e32 v1, 0xffff0000, v1
	v_cndmask_b32_e64 v79, v103, v105, s2
	v_cmp_u_f32_e64 s2, v78, v78
	v_bfe_u32 v103, v76, 16, 1
	v_or_b32_e32 v105, 0x400000, v77
	v_cndmask_b32_e64 v78, v104, v106, s2
	v_add3_u32 v104, v107, v77, 0x7fff
	v_cmp_u_f32_e64 s2, v77, v77
	v_add3_u32 v103, v103, v76, 0x7fff
	v_or_b32_e32 v106, 0x400000, v76
	v_bfe_u32 v107, v75, 16, 1
	v_cndmask_b32_e64 v77, v104, v105, s2
	v_cmp_u_f32_e64 s2, v76, v76
	v_bfe_u32 v104, v74, 16, 1
	v_or_b32_e32 v105, 0x400000, v75
	v_cndmask_b32_e64 v76, v103, v106, s2
	v_add3_u32 v103, v107, v75, 0x7fff
	v_cmp_u_f32_e64 s2, v75, v75
	v_add3_u32 v104, v104, v74, 0x7fff
	v_or_b32_e32 v106, 0x400000, v74
	v_bfe_u32 v107, v73, 16, 1
	;; [unrolled: 10-line block ×3, first 2 shown]
	v_cndmask_b32_e64 v73, v104, v105, s2
	v_cmp_u_f32_e64 s2, v72, v72
	v_bfe_u32 v104, v70, 16, 1
	v_or_b32_e32 v105, 0x400000, v71
	v_and_b32_e32 v73, 0xffff0000, v73
	v_cndmask_b32_e64 v72, v103, v106, s2
	v_add3_u32 v103, v107, v71, 0x7fff
	v_cmp_u_f32_e64 s2, v71, v71
	v_add3_u32 v104, v104, v70, 0x7fff
	v_or_b32_e32 v106, 0x400000, v70
	v_bfe_u32 v107, v69, 16, 1
	v_and_b32_e32 v72, 0xffff0000, v72
	v_cndmask_b32_e64 v71, v103, v105, s2
	v_cmp_u_f32_e64 s2, v70, v70
	v_bfe_u32 v103, v68, 16, 1
	v_or_b32_e32 v105, 0x400000, v69
	v_mul_f32_e32 v73, v19, v73
	v_and_b32_e32 v71, 0xffff0000, v71
	v_cndmask_b32_e64 v70, v104, v106, s2
	v_add3_u32 v104, v107, v69, 0x7fff
	v_cmp_u_f32_e64 s2, v69, v69
	v_add3_u32 v103, v103, v68, 0x7fff
	v_or_b32_e32 v106, 0x400000, v68
	v_and_b32_e32 v70, 0xffff0000, v70
	v_mul_f32_e32 v71, v18, v71
	v_cndmask_b32_e64 v69, v104, v105, s2
	v_bfe_u32 v104, v67, 16, 1
	v_cmp_u_f32_e64 s2, v68, v68
	v_bfe_u32 v105, v66, 16, 1
	v_mul_f32_e32 v70, v17, v70
	v_and_b32_e32 v69, 0xffff0000, v69
	v_mul_f32_e32 v72, v20, v72
	v_cndmask_b32_e64 v68, v103, v106, s2
	v_add3_u32 v103, v104, v67, 0x7fff
	v_or_b32_e32 v104, 0x400000, v67
	v_cmp_u_f32_e64 s2, v67, v67
	v_fmac_f32_e32 v73, v15, v69
	v_and_b32_e32 v68, 0xffff0000, v68
	v_and_b32_e32 v69, 0xffff0000, v78
	v_bfe_u32 v106, v100, 16, 1
	v_cndmask_b32_e64 v67, v103, v104, s2
	v_add3_u32 v104, v105, v66, 0x7fff
	v_or_b32_e32 v105, 0x400000, v66
	v_cmp_u_f32_e64 s2, v66, v66
	v_fmac_f32_e32 v72, v16, v68
	v_and_b32_e32 v67, 0xffff0000, v67
	v_and_b32_e32 v68, 0xffff0000, v77
	v_bfe_u32 v103, v8, 16, 1
	v_cndmask_b32_e64 v66, v104, v105, s2
	v_add3_u32 v106, v106, v100, 0x7fff
	v_fmac_f32_e32 v71, v14, v67
	v_and_b32_e32 v67, 0xffff0000, v75
	v_fmac_f32_e32 v73, v26, v68
	v_and_b32_e32 v66, 0xffff0000, v66
	v_and_b32_e32 v68, 0xffff0000, v80
	v_or_b32_e32 v107, 0x400000, v100
	v_fmac_f32_e32 v71, v25, v67
	v_and_b32_e32 v67, 0xffff0000, v79
	v_fmac_f32_e32 v70, v12, v66
	v_and_b32_e32 v66, 0xffff0000, v74
	v_cmp_u_f32_e64 s2, v100, v100
	v_add3_u32 v103, v103, v8, 0x7fff
	v_fmac_f32_e32 v71, v29, v67
	v_and_b32_e32 v67, 0xffff0000, v102
	v_fmac_f32_e32 v70, v24, v66
	v_and_b32_e32 v66, 0xffff0000, v76
	v_cndmask_b32_e64 v100, v106, v107, s2
	v_cmp_u_f32_e64 s2, v8, v8
	v_fmac_f32_e32 v70, v28, v69
	v_fmac_f32_e32 v72, v27, v66
	v_and_b32_e32 v66, 0xffff0000, v81
	v_and_b32_e32 v69, 0xffff0000, v101
	v_cndmask_b32_e64 v8, v103, v108, s2
	v_fmac_f32_e32 v70, v32, v67
	v_fmac_f32_e32 v72, v31, v68
	v_fmac_f32_e32 v73, v30, v66
	v_and_b32_e32 v66, 0xffff0000, v82
	v_and_b32_e32 v67, 0xffff0000, v83
	v_fmac_f32_e32 v71, v33, v69
	v_and_b32_e32 v68, 0xffff0000, v85
	v_and_b32_e32 v69, 0xffff0000, v86
	v_fmac_f32_e32 v73, v34, v66
	v_and_b32_e32 v66, 0xffff0000, v84
	v_fmac_f32_e32 v72, v35, v67
	;; [unrolled: 2-line block ×3, first 2 shown]
	v_fmac_f32_e32 v73, v38, v69
	v_fmac_f32_e32 v71, v37, v66
	v_and_b32_e32 v66, 0xffff0000, v89
	v_and_b32_e32 v68, 0xffff0000, v88
	v_fmac_f32_e32 v72, v39, v67
	v_and_b32_e32 v67, 0xffff0000, v90
	v_and_b32_e32 v69, 0xffff0000, v91
	v_fmac_f32_e32 v70, v40, v66
	v_fmac_f32_e32 v71, v41, v68
	v_and_b32_e32 v66, 0xffff0000, v93
	v_fmac_f32_e32 v73, v42, v67
	v_and_b32_e32 v67, 0xffff0000, v92
	;; [unrolled: 2-line block ×4, first 2 shown]
	v_and_b32_e32 v69, 0xffff0000, v97
	v_fmac_f32_e32 v71, v45, v67
	v_and_b32_e32 v67, 0xffff0000, v96
	v_fmac_f32_e32 v73, v46, v68
	v_fmac_f32_e32 v72, v47, v66
	;; [unrolled: 1-line block ×3, first 2 shown]
	v_and_b32_e32 v66, 0xffff0000, v99
	v_fmac_f32_e32 v71, v49, v67
	v_and_b32_e32 v67, 0xffff0000, v98
	v_fmac_f32_e32 v70, v53, v7
	v_fmac_f32_e32 v73, v51, v66
	v_and_b32_e32 v7, 0xffff0000, v100
	v_fmac_f32_e32 v71, v54, v1
	;; [unrolled: 3-line block ×3, first 2 shown]
	v_add_f32_e32 v7, v70, v71
	v_fmac_f32_e32 v72, v56, v1
	v_add_f32_e32 v1, v7, v73
	v_add_f32_e32 v1, v1, v72
	ds_bpermute_b32 v7, v57, v1
	s_and_saveexec_b32 s3, vcc_lo
	s_cbranch_execz .LBB335_8
; %bb.330:                              ;   in Loop: Header=BB335_9 Depth=1
	v_add_nc_u32_e32 v8, s5, v58
	s_waitcnt lgkmcnt(0)
	v_add_f32_e32 v1, v1, v7
	v_cmp_gt_i32_e64 s2, s11, v58
	v_cvt_f32_i32_e32 v8, v8
	v_mul_f32_e32 v8, s28, v8
	v_cndmask_b32_e64 v7, 0, v8, s1
	v_max_f32_e32 v8, v50, v50
	v_fmac_f32_e32 v7, s29, v1
	v_max_f32_e32 v1, v8, v7
	v_cndmask_b32_e64 v7, 0, v7, s2
	v_cndmask_b32_e64 v50, v50, v1, s2
	ds_write_b32 v59, v7
	s_branch .LBB335_8
.LBB335_331:
	s_or_b32 exec_lo, exec_lo, s16
.LBB335_332:
	s_or_b32 exec_lo, exec_lo, s15
	v_xor_b32_e32 v1, 16, v10
	v_xor_b32_e32 v4, 8, v10
	v_max_f32_e32 v5, v50, v50
	v_xor_b32_e32 v6, 4, v10
	v_and_b32_e32 v24, 31, v0
	v_cmp_lt_i32_e32 vcc_lo, v1, v11
	v_cndmask_b32_e32 v1, v10, v1, vcc_lo
	v_cmp_lt_i32_e32 vcc_lo, v4, v11
	v_lshlrev_b32_e32 v3, 2, v1
	v_cndmask_b32_e32 v4, v10, v4, vcc_lo
	v_cmp_lt_i32_e32 vcc_lo, v6, v11
	ds_bpermute_b32 v1, v3, v50
	v_lshlrev_b32_e32 v4, 2, v4
	v_cndmask_b32_e32 v6, v10, v6, vcc_lo
	s_waitcnt lgkmcnt(0)
	v_max_f32_e32 v1, v1, v1
	v_max_f32_e32 v1, v5, v1
	ds_bpermute_b32 v5, v4, v1
	s_waitcnt lgkmcnt(0)
	v_max_f32_e32 v7, v5, v5
	v_lshlrev_b32_e32 v5, 2, v6
	v_max_f32_e32 v1, v1, v7
	v_xor_b32_e32 v7, 2, v10
	ds_bpermute_b32 v6, v5, v1
	v_cmp_lt_i32_e32 vcc_lo, v7, v11
	v_cndmask_b32_e32 v8, v10, v7, vcc_lo
	v_cmp_eq_u32_e32 vcc_lo, 0, v24
	s_waitcnt lgkmcnt(0)
	v_max_f32_e32 v6, v6, v6
	v_max_f32_e32 v7, v1, v6
	v_lshlrev_b32_e32 v1, 2, v8
	v_lshlrev_b32_e32 v6, 2, v23
	ds_bpermute_b32 v8, v1, v7
	s_and_saveexec_b32 s1, vcc_lo
	s_cbranch_execz .LBB335_334
; %bb.333:
	s_waitcnt lgkmcnt(0)
	v_max_f32_e32 v8, v8, v8
	v_max_f32_e32 v7, v7, v7
	;; [unrolled: 1-line block ×3, first 2 shown]
	ds_write_b32 v6, v7 offset:160
.LBB335_334:
	s_or_b32 exec_lo, exec_lo, s1
	v_cmp_gt_u32_e64 s1, 4, v24
	s_waitcnt lgkmcnt(0)
	v_mov_b32_e32 v8, 0xff7fffff
	v_lshlrev_b32_e32 v7, 2, v24
	s_barrier
	buffer_gl0_inv
	s_and_saveexec_b32 s2, s1
; %bb.335:
	ds_read_b32 v8, v7 offset:160
; %bb.336:
	s_or_b32 exec_lo, exec_lo, s2
	s_waitcnt lgkmcnt(0)
	ds_bpermute_b32 v12, v1, v8
	v_xor_b32_e32 v14, 1, v10
	v_max_f32_e32 v8, v8, v8
	v_lshlrev_b32_e32 v2, 2, v2
	v_cmp_lt_i32_e64 s2, v14, v11
	v_cndmask_b32_e64 v11, v10, v14, s2
	s_lshl_b32 s2, s12, 4
	s_min_i32 s4, s2, s11
	v_lshlrev_b32_e32 v25, 2, v11
	v_cmp_gt_i32_e64 s2, s4, v0
	s_waitcnt lgkmcnt(0)
	v_max_f32_e32 v12, v12, v12
	v_max_f32_e32 v8, v8, v12
	ds_bpermute_b32 v11, v25, v8
	s_waitcnt lgkmcnt(0)
	v_max_f32_e32 v11, v11, v11
	v_max_f32_e32 v8, v8, v11
	ds_bpermute_b32 v11, v2, v8
	v_mov_b32_e32 v8, 0
	v_lshl_add_u32 v2, v0, 2, 0xc0
	s_and_saveexec_b32 s5, s2
	s_cbranch_execz .LBB335_340
; %bb.337:
	v_lshl_add_u32 v12, v0, 2, 0xc0
	v_mov_b32_e32 v8, 0
	v_mov_b32_e32 v14, v0
	s_mov_b32 s15, 0
	.p2align	6
.LBB335_338:                            ; =>This Inner Loop Header: Depth=1
	ds_read_b32 v15, v12
	v_add_nc_u32_e32 v14, 0x80, v14
	v_cmp_le_i32_e64 s3, s4, v14
	s_or_b32 s15, s3, s15
	s_waitcnt lgkmcnt(0)
	v_sub_f32_e32 v15, v15, v11
	v_mul_f32_e32 v15, 0x3fb8aa3b, v15
	v_exp_f32_e32 v15, v15
	ds_write_b32 v12, v15
	v_add_f32_e32 v8, v8, v15
	v_add_nc_u32_e32 v12, 0x200, v12
	s_andn2_b32 exec_lo, exec_lo, s15
	s_cbranch_execnz .LBB335_338
; %bb.339:
	s_or_b32 exec_lo, exec_lo, s15
.LBB335_340:
	s_or_b32 exec_lo, exec_lo, s5
	ds_bpermute_b32 v3, v3, v8
	s_waitcnt lgkmcnt(0)
	v_add_f32_e32 v3, v8, v3
	ds_bpermute_b32 v4, v4, v3
	s_waitcnt lgkmcnt(0)
	v_add_f32_e32 v3, v3, v4
	;; [unrolled: 3-line block ×5, first 2 shown]
	s_and_saveexec_b32 s3, vcc_lo
; %bb.341:
	ds_write_b32 v6, v3 offset:176
; %bb.342:
	s_or_b32 exec_lo, exec_lo, s3
	s_waitcnt lgkmcnt(0)
	s_barrier
	buffer_gl0_inv
	s_and_saveexec_b32 s3, s1
; %bb.343:
	ds_read_b32 v3, v7 offset:176
; %bb.344:
	s_or_b32 exec_lo, exec_lo, s3
	s_waitcnt lgkmcnt(0)
	ds_bpermute_b32 v1, v1, v3
	v_lshlrev_b32_e32 v4, 2, v10
	s_waitcnt lgkmcnt(0)
	v_add_f32_e32 v1, v3, v1
	ds_bpermute_b32 v3, v25, v1
	s_waitcnt lgkmcnt(0)
	v_add_f32_e32 v1, v1, v3
	v_and_b32_e32 v3, 0xffffff80, v4
	ds_bpermute_b32 v1, v3, v1
	s_and_saveexec_b32 s1, s2
	s_cbranch_execz .LBB335_347
; %bb.345:
	s_waitcnt lgkmcnt(0)
	v_add_f32_e32 v1, 0x358637bd, v1
	s_mov_b32 s2, 0
	v_div_scale_f32 v3, null, v1, v1, 1.0
	v_div_scale_f32 v6, vcc_lo, 1.0, v1, 1.0
	v_rcp_f32_e32 v4, v3
	v_fma_f32 v5, -v3, v4, 1.0
	v_fmac_f32_e32 v4, v5, v4
	v_mul_f32_e32 v5, v6, v4
	v_fma_f32 v7, -v3, v5, v6
	v_fmac_f32_e32 v5, v7, v4
	v_fma_f32 v3, -v3, v5, v6
	v_div_fmas_f32 v3, v3, v4, v5
	v_div_fixup_f32 v1, v3, v1, 1.0
	v_mov_b32_e32 v3, v0
.LBB335_346:                            ; =>This Inner Loop Header: Depth=1
	ds_read_b32 v4, v2
	v_add_nc_u32_e32 v3, 0x80, v3
	v_cmp_le_i32_e32 vcc_lo, s4, v3
	s_or_b32 s2, vcc_lo, s2
	s_waitcnt lgkmcnt(0)
	v_mul_f32_e32 v4, v1, v4
	ds_write_b32 v2, v4
	v_add_nc_u32_e32 v2, 0x200, v2
	s_andn2_b32 exec_lo, exec_lo, s2
	s_cbranch_execnz .LBB335_346
.LBB335_347:
	s_or_b32 exec_lo, exec_lo, s1
	v_mov_b32_e32 v29, 0
	v_mov_b32_e32 v30, 0
	;; [unrolled: 1-line block ×5, first 2 shown]
	s_waitcnt lgkmcnt(0)
	s_barrier
	buffer_gl0_inv
	s_and_saveexec_b32 s1, s0
	s_cbranch_execz .LBB335_661
; %bb.348:
	s_load_dword s5, s[18:19], 0x0
	v_and_b32_e32 v2, 0xf8, v9
	v_and_b32_e32 v1, 8, v9
	v_lshlrev_b32_e32 v4, 4, v23
	s_ashr_i32 s0, s14, 31
	s_add_u32 s2, s26, s14
	v_lshlrev_b32_e32 v3, 5, v22
	s_addc_u32 s0, s27, s0
	v_add_co_u32 v11, s2, s2, v2
	v_or3_b32 v31, v4, v1, 7
	v_and_b32_e32 v1, 0x7c, v13
	v_add_co_ci_u32_e64 v12, null, s0, 0, s2
	s_lshl_b64 s[2:3], s[24:25], 2
	s_mov_b32 s4, s13
	s_add_i32 s13, s12, -1
	v_lshl_or_b32 v3, v23, 6, v3
	s_add_u32 s0, s22, s2
	s_addc_u32 s2, s23, s3
	v_add_co_u32 v13, s0, s0, v1
	v_mov_b32_e32 v10, 0
	v_add_nc_u32_e32 v32, 0xc0, v3
	v_add_co_ci_u32_e64 v14, null, s2, 0, s0
	v_mov_b32_e32 v33, 0x80
	v_mov_b32_e32 v34, 0xffff
	;; [unrolled: 1-line block ×11, first 2 shown]
	s_mov_b32 s2, -1
	s_mov_b32 s3, 0xffffff
	s_mov_b32 s14, 0
	s_branch .LBB335_350
.LBB335_349:                            ;   in Loop: Header=BB335_350 Depth=1
	s_or_b32 exec_lo, exec_lo, s0
	v_bfe_u32 v47, v5, 16, 1
	v_bfe_u32 v48, v6, 16, 1
	v_or_b32_e32 v49, 0x400000, v5
	v_cmp_u_f32_e32 vcc_lo, v5, v5
	v_or_b32_e32 v50, 0x400000, v6
	v_add3_u32 v47, v47, v5, 0x7fff
	v_bfe_u32 v51, v7, 16, 1
	v_add3_u32 v48, v48, v6, 0x7fff
	v_bfe_u32 v52, v8, 16, 1
	v_lshlrev_b32_e32 v19, 16, v19
	v_cndmask_b32_e32 v5, v47, v49, vcc_lo
	v_cmp_u_f32_e32 vcc_lo, v6, v6
	v_add3_u32 v47, v51, v7, 0x7fff
	v_add3_u32 v49, v52, v8, 0x7fff
	v_bfe_u32 v51, v1, 16, 1
	v_and_b32_e32 v5, 0xffff0000, v5
	v_cndmask_b32_e32 v6, v48, v50, vcc_lo
	v_or_b32_e32 v48, 0x400000, v7
	v_cmp_u_f32_e32 vcc_lo, v7, v7
	v_or_b32_e32 v50, 0x400000, v8
	v_or_b32_e32 v52, 0x400000, v4
	v_lshlrev_b32_e32 v20, 16, v20
	v_lshlrev_b32_e32 v71, 16, v71
	v_cndmask_b32_e32 v7, v47, v48, vcc_lo
	v_cmp_u_f32_e32 vcc_lo, v8, v8
	v_bfe_u32 v47, v2, 16, 1
	v_add3_u32 v48, v51, v1, 0x7fff
	v_bfe_u32 v51, v3, 16, 1
	v_lshlrev_b32_e32 v64, 16, v64
	v_cndmask_b32_e32 v8, v49, v50, vcc_lo
	v_or_b32_e32 v49, 0x400000, v1
	v_cmp_u_f32_e32 vcc_lo, v1, v1
	v_add3_u32 v47, v47, v2, 0x7fff
	v_or_b32_e32 v50, 0x400000, v2
	v_and_b32_e32 v1, 0xffff0000, v6
	v_lshlrev_b32_e32 v6, 16, v75
	v_cndmask_b32_e32 v48, v48, v49, vcc_lo
	v_cmp_u_f32_e32 vcc_lo, v2, v2
	v_add3_u32 v2, v51, v3, 0x7fff
	v_bfe_u32 v49, v4, 16, 1
	v_or_b32_e32 v51, 0x400000, v3
	v_mul_f32_e32 v6, v1, v6
	v_cndmask_b32_e32 v47, v47, v50, vcc_lo
	v_lshlrev_b32_e32 v50, 16, v74
	v_cmp_u_f32_e32 vcc_lo, v3, v3
	v_add3_u32 v49, v49, v4, 0x7fff
	v_bfe_u32 v3, v6, 16, 1
	v_lshlrev_b32_e32 v59, 16, v59
	v_mul_f32_e32 v50, v5, v50
	v_cndmask_b32_e32 v51, v2, v51, vcc_lo
	v_cmp_u_f32_e32 vcc_lo, v4, v4
	v_and_b32_e32 v2, 0xffff0000, v8
	v_lshlrev_b32_e32 v8, 16, v72
	v_add3_u32 v3, v3, v6, 0x7fff
	v_or_b32_e32 v53, 0x400000, v50
	v_cndmask_b32_e32 v4, v49, v52, vcc_lo
	v_bfe_u32 v49, v50, 16, 1
	v_or_b32_e32 v52, 0x400000, v6
	v_mul_f32_e32 v72, v2, v8
	v_and_b32_e32 v8, 0xffff0000, v7
	v_lshlrev_b32_e32 v7, 16, v73
	v_cmp_u_f32_e32 vcc_lo, v6, v6
	v_add3_u32 v49, v49, v50, 0x7fff
	v_and_b32_e32 v6, 0xffff0000, v48
	v_or_b32_e32 v48, 0x400000, v72
	v_mul_f32_e32 v7, v8, v7
	v_cndmask_b32_e32 v52, v3, v52, vcc_lo
	v_cmp_u_f32_e32 vcc_lo, v50, v50
	v_bfe_u32 v50, v72, 16, 1
	v_and_b32_e32 v3, 0xffff0000, v47
	v_mul_f32_e32 v20, v6, v20
	v_and_b32_e32 v4, 0xffff0000, v4
	v_cndmask_b32_e32 v49, v49, v53, vcc_lo
	v_add3_u32 v47, v50, v72, 0x7fff
	v_bfe_u32 v50, v7, 16, 1
	v_mul_f32_e32 v19, v3, v19
	v_cmp_u_f32_e32 vcc_lo, v72, v72
	v_bfe_u32 v72, v20, 16, 1
	v_mul_f32_e32 v71, v4, v71
	v_and_b32_e32 v49, 0xffff0000, v49
	v_bfe_u32 v53, v19, 16, 1
	v_cndmask_b32_e32 v47, v47, v48, vcc_lo
	v_add3_u32 v48, v50, v7, 0x7fff
	v_or_b32_e32 v50, 0x400000, v7
	v_cmp_u_f32_e32 vcc_lo, v7, v7
	v_and_b32_e32 v7, 0xffff0000, v51
	v_lshlrev_b32_e32 v51, 16, v70
	v_add3_u32 v72, v72, v20, 0x7fff
	v_or_b32_e32 v70, 0x400000, v20
	v_cndmask_b32_e32 v48, v48, v50, vcc_lo
	v_add3_u32 v50, v53, v19, 0x7fff
	v_or_b32_e32 v53, 0x400000, v19
	v_cmp_u_f32_e32 vcc_lo, v19, v19
	v_bfe_u32 v73, v71, 16, 1
	v_and_b32_e32 v52, 0xffff0000, v52
	v_and_b32_e32 v48, 0xffff0000, v48
	;; [unrolled: 1-line block ×3, first 2 shown]
	v_cndmask_b32_e32 v19, v50, v53, vcc_lo
	v_mul_f32_e32 v50, v7, v51
	v_cmp_u_f32_e32 vcc_lo, v20, v20
	v_add3_u32 v51, v73, v71, 0x7fff
	v_or_b32_e32 v53, 0x400000, v71
	v_add_f32_e32 v49, v49, v52
	v_add_f32_e32 v47, v48, v47
	v_cndmask_b32_e32 v20, v72, v70, vcc_lo
	v_bfe_u32 v70, v50, 16, 1
	v_cmp_u_f32_e32 vcc_lo, v71, v71
	v_and_b32_e32 v19, 0xffff0000, v19
	v_add_f32_e32 v47, v47, v49
	v_and_b32_e32 v20, 0xffff0000, v20
	v_lshlrev_b32_e32 v49, 16, v69
	v_cndmask_b32_e32 v51, v51, v53, vcc_lo
	v_add3_u32 v53, v70, v50, 0x7fff
	v_or_b32_e32 v70, 0x400000, v50
	v_cmp_u_f32_e32 vcc_lo, v50, v50
	v_add_f32_e32 v19, v20, v19
	v_lshlrev_b32_e32 v20, 16, v68
	v_and_b32_e32 v50, 0xffff0000, v51
	v_mul_f32_e32 v49, v1, v49
	v_cndmask_b32_e32 v48, v53, v70, vcc_lo
	v_add_f32_e32 v19, v19, v47
	v_mul_f32_e32 v20, v5, v20
	v_lshlrev_b32_e32 v51, 16, v65
	v_cmp_u_f32_e32 vcc_lo, v49, v49
	v_and_b32_e32 v48, 0xffff0000, v48
	v_lshlrev_b32_e32 v53, 16, v67
	v_or_b32_e32 v52, 0x400000, v20
	v_mul_f32_e32 v51, v2, v51
	v_lshlrev_b32_e32 v54, 16, v54
	v_add_f32_e32 v47, v48, v50
	v_bfe_u32 v48, v49, 16, 1
	v_bfe_u32 v50, v20, 16, 1
	v_lshlrev_b32_e32 v55, 16, v55
	v_lshlrev_b32_e32 v46, 16, v46
	v_add_f32_e32 v19, v47, v19
	v_add3_u32 v47, v48, v49, 0x7fff
	v_or_b32_e32 v48, 0x400000, v49
	v_add3_u32 v50, v50, v20, 0x7fff
	v_mul_f32_e32 v49, v8, v53
	v_lshlrev_b32_e32 v53, 16, v63
	v_lshlrev_b32_e32 v63, 16, v66
	v_cndmask_b32_e32 v47, v47, v48, vcc_lo
	v_cmp_u_f32_e32 vcc_lo, v20, v20
	v_bfe_u32 v48, v51, 16, 1
	v_mul_f32_e32 v46, v1, v46
	v_lshlrev_b32_e32 v45, 16, v45
	v_and_b32_e32 v47, 0xffff0000, v47
	v_cndmask_b32_e32 v20, v50, v52, vcc_lo
	v_lshlrev_b32_e32 v50, 16, v62
	v_add3_u32 v48, v48, v51, 0x7fff
	v_or_b32_e32 v52, 0x400000, v51
	v_bfe_u32 v62, v49, 16, 1
	v_cmp_u_f32_e32 vcc_lo, v51, v51
	v_mul_f32_e32 v50, v3, v50
	v_mul_f32_e32 v51, v6, v53
	v_or_b32_e32 v53, 0x400000, v49
	v_and_b32_e32 v20, 0xffff0000, v20
	v_cndmask_b32_e32 v48, v48, v52, vcc_lo
	v_add3_u32 v52, v62, v49, 0x7fff
	v_bfe_u32 v62, v50, 16, 1
	v_cmp_u_f32_e32 vcc_lo, v49, v49
	v_bfe_u32 v65, v51, 16, 1
	v_and_b32_e32 v48, 0xffff0000, v48
	v_add_f32_e32 v20, v20, v47
	v_lshlrev_b32_e32 v42, 16, v42
	v_cndmask_b32_e32 v49, v52, v53, vcc_lo
	v_add3_u32 v52, v62, v50, 0x7fff
	v_mul_f32_e32 v53, v4, v63
	v_or_b32_e32 v62, 0x400000, v50
	v_cmp_u_f32_e32 vcc_lo, v50, v50
	v_add3_u32 v63, v65, v51, 0x7fff
	v_or_b32_e32 v65, 0x400000, v51
	v_bfe_u32 v66, v53, 16, 1
	v_and_b32_e32 v49, 0xffff0000, v49
	v_cndmask_b32_e32 v50, v52, v62, vcc_lo
	v_mul_f32_e32 v52, v7, v64
	v_cmp_u_f32_e32 vcc_lo, v51, v51
	v_add3_u32 v62, v66, v53, 0x7fff
	v_add_f32_e32 v47, v49, v48
	v_and_b32_e32 v49, 0xffff0000, v50
	v_bfe_u32 v64, v52, 16, 1
	v_cndmask_b32_e32 v51, v63, v65, vcc_lo
	v_or_b32_e32 v63, 0x400000, v53
	v_cmp_u_f32_e32 vcc_lo, v53, v53
	v_lshlrev_b32_e32 v50, 16, v61
	v_add_f32_e32 v20, v47, v20
	v_and_b32_e32 v48, 0xffff0000, v51
	v_mul_f32_e32 v45, v5, v45
	v_cndmask_b32_e32 v53, v62, v63, vcc_lo
	v_add3_u32 v62, v64, v52, 0x7fff
	v_or_b32_e32 v63, 0x400000, v52
	v_cmp_u_f32_e32 vcc_lo, v52, v52
	v_lshlrev_b32_e32 v52, 16, v60
	v_add_f32_e32 v47, v48, v49
	v_mul_f32_e32 v48, v1, v50
	v_mul_f32_e32 v42, v2, v42
	v_cndmask_b32_e32 v51, v62, v63, vcc_lo
	v_mul_f32_e32 v50, v5, v52
	v_lshlrev_b32_e32 v52, 16, v57
	v_add_f32_e32 v20, v47, v20
	v_cmp_u_f32_e32 vcc_lo, v48, v48
	v_and_b32_e32 v49, 0xffff0000, v51
	v_and_b32_e32 v51, 0xffff0000, v53
	v_bfe_u32 v53, v48, 16, 1
	v_bfe_u32 v57, v50, 16, 1
	v_lshlrev_b32_e32 v44, 16, v44
	v_lshlrev_b32_e32 v40, 16, v40
	v_add_f32_e32 v47, v49, v51
	v_mul_f32_e32 v49, v2, v52
	v_add3_u32 v51, v53, v48, 0x7fff
	v_or_b32_e32 v52, 0x400000, v48
	v_add3_u32 v53, v57, v50, 0x7fff
	v_or_b32_e32 v57, 0x400000, v50
	v_bfe_u32 v60, v49, 16, 1
	v_mul_f32_e32 v44, v8, v44
	v_cndmask_b32_e32 v48, v51, v52, vcc_lo
	v_cmp_u_f32_e32 vcc_lo, v50, v50
	v_mul_f32_e32 v51, v8, v59
	v_add3_u32 v52, v60, v49, 0x7fff
	v_mul_f32_e32 v40, v3, v40
	v_and_b32_e32 v48, 0xffff0000, v48
	v_cndmask_b32_e32 v50, v53, v57, vcc_lo
	v_or_b32_e32 v53, 0x400000, v49
	v_cmp_u_f32_e32 vcc_lo, v49, v49
	v_bfe_u32 v57, v51, 16, 1
	v_lshlrev_b32_e32 v39, 16, v39
	v_and_b32_e32 v50, 0xffff0000, v50
	v_lshlrev_b32_e32 v43, 16, v43
	v_cndmask_b32_e32 v49, v52, v53, vcc_lo
	v_mul_f32_e32 v52, v3, v54
	v_mul_f32_e32 v53, v6, v55
	v_add3_u32 v54, v57, v51, 0x7fff
	v_or_b32_e32 v55, 0x400000, v51
	v_lshlrev_b32_e32 v57, 16, v58
	v_bfe_u32 v58, v52, 16, 1
	v_cmp_u_f32_e32 vcc_lo, v51, v51
	v_bfe_u32 v59, v53, 16, 1
	v_and_b32_e32 v49, 0xffff0000, v49
	v_add_f32_e32 v48, v50, v48
	v_mul_f32_e32 v39, v6, v39
	v_cndmask_b32_e32 v51, v54, v55, vcc_lo
	v_mul_f32_e32 v54, v4, v57
	v_add3_u32 v55, v58, v52, 0x7fff
	v_or_b32_e32 v57, 0x400000, v52
	v_cmp_u_f32_e32 vcc_lo, v52, v52
	v_add3_u32 v58, v59, v53, 0x7fff
	v_or_b32_e32 v59, 0x400000, v53
	v_bfe_u32 v60, v54, 16, 1
	v_and_b32_e32 v51, 0xffff0000, v51
	v_cndmask_b32_e32 v52, v55, v57, vcc_lo
	v_lshlrev_b32_e32 v55, 16, v56
	v_cmp_u_f32_e32 vcc_lo, v53, v53
	v_add3_u32 v56, v60, v54, 0x7fff
	v_or_b32_e32 v57, 0x400000, v54
	v_add_f32_e32 v49, v51, v49
	v_mul_f32_e32 v55, v7, v55
	v_cndmask_b32_e32 v53, v58, v59, vcc_lo
	v_cmp_u_f32_e32 vcc_lo, v54, v54
	v_and_b32_e32 v51, 0xffff0000, v52
	v_add_f32_e32 v48, v49, v48
	v_mul_f32_e32 v43, v4, v43
	v_and_b32_e32 v50, 0xffff0000, v53
	v_cndmask_b32_e32 v54, v56, v57, vcc_lo
	v_bfe_u32 v56, v55, 16, 1
	v_or_b32_e32 v53, 0x400000, v55
	v_cmp_u_f32_e32 vcc_lo, v55, v55
	v_add_f32_e32 v49, v50, v51
	v_bfe_u32 v51, v46, 16, 1
	v_add3_u32 v52, v56, v55, 0x7fff
	v_lshlrev_b32_e32 v41, 16, v41
	v_lshlrev_b32_e32 v16, 16, v16
	v_add_f32_e32 v48, v49, v48
	v_lshlrev_b32_e32 v15, 16, v15
	v_cndmask_b32_e32 v50, v52, v53, vcc_lo
	v_bfe_u32 v53, v45, 16, 1
	v_cmp_u_f32_e32 vcc_lo, v46, v46
	v_and_b32_e32 v52, 0xffff0000, v54
	v_or_b32_e32 v54, 0x400000, v42
	v_and_b32_e32 v49, 0xffff0000, v50
	v_add3_u32 v50, v51, v46, 0x7fff
	v_or_b32_e32 v51, 0x400000, v46
	v_mul_f32_e32 v41, v7, v41
	v_mul_f32_e32 v2, v2, v16
	;; [unrolled: 1-line block ×3, first 2 shown]
	v_lshlrev_b32_e32 v9, 16, v9
	v_cndmask_b32_e32 v46, v50, v51, vcc_lo
	v_bfe_u32 v50, v42, 16, 1
	v_add3_u32 v51, v53, v45, 0x7fff
	v_or_b32_e32 v53, 0x400000, v45
	v_cmp_u_f32_e32 vcc_lo, v45, v45
	v_and_b32_e32 v46, 0xffff0000, v46
	v_add3_u32 v50, v50, v42, 0x7fff
	v_mul_f32_e32 v3, v3, v9
	v_lshlrev_b32_e32 v9, 16, v18
	v_cndmask_b32_e32 v45, v51, v53, vcc_lo
	v_bfe_u32 v51, v44, 16, 1
	v_cmp_u_f32_e32 vcc_lo, v42, v42
	v_or_b32_e32 v53, 0x400000, v44
	v_lshlrev_b32_e32 v17, 16, v17
	v_and_b32_e32 v45, 0xffff0000, v45
	v_add3_u32 v51, v51, v44, 0x7fff
	v_cndmask_b32_e32 v42, v50, v54, vcc_lo
	v_bfe_u32 v50, v40, 16, 1
	v_cmp_u_f32_e32 vcc_lo, v44, v44
	v_or_b32_e32 v54, 0x400000, v40
	v_add_f32_e32 v45, v45, v46
	v_and_b32_e32 v42, 0xffff0000, v42
	v_add3_u32 v50, v50, v40, 0x7fff
	v_cndmask_b32_e32 v44, v51, v53, vcc_lo
	v_bfe_u32 v51, v39, 16, 1
	v_cmp_u_f32_e32 vcc_lo, v40, v40
	v_bfe_u32 v53, v43, 16, 1
	v_mul_f32_e32 v7, v7, v9
	v_and_b32_e32 v44, 0xffff0000, v44
	v_mul_f32_e32 v4, v4, v17
	v_cndmask_b32_e32 v40, v50, v54, vcc_lo
	v_add3_u32 v50, v51, v39, 0x7fff
	v_or_b32_e32 v51, 0x400000, v39
	v_cmp_u_f32_e32 vcc_lo, v39, v39
	v_add3_u32 v53, v53, v43, 0x7fff
	v_or_b32_e32 v54, 0x400000, v43
	v_add_f32_e32 v42, v44, v42
	v_and_b32_e32 v40, 0xffff0000, v40
	v_cndmask_b32_e32 v39, v50, v51, vcc_lo
	v_cmp_u_f32_e32 vcc_lo, v43, v43
	v_bfe_u32 v50, v41, 16, 1
	v_lshlrev_b32_e32 v44, 16, v77
	v_or_b32_e32 v51, 0x400000, v41
	v_and_b32_e32 v39, 0xffff0000, v39
	v_cndmask_b32_e32 v43, v53, v54, vcc_lo
	v_lshlrev_b32_e32 v53, 16, v78
	v_add3_u32 v50, v50, v41, 0x7fff
	v_cmp_u_f32_e32 vcc_lo, v41, v41
	v_add_f32_e32 v42, v42, v45
	v_add_f32_e32 v39, v39, v40
	v_mul_f32_e32 v5, v5, v53
	v_mul_f32_e32 v1, v1, v44
	v_lshlrev_b32_e32 v40, 16, v76
	v_cndmask_b32_e32 v41, v50, v51, vcc_lo
	v_or_b32_e32 v9, 0x400000, v6
	v_bfe_u32 v45, v5, 16, 1
	v_bfe_u32 v46, v1, 16, 1
	v_mul_f32_e32 v8, v8, v40
	v_cmp_u_f32_e32 vcc_lo, v5, v5
	v_or_b32_e32 v17, 0x400000, v3
	v_add3_u32 v44, v45, v5, 0x7fff
	v_or_b32_e32 v45, 0x400000, v5
	v_add3_u32 v40, v46, v1, 0x7fff
	v_bfe_u32 v18, v7, 16, 1
	v_and_b32_e32 v41, 0xffff0000, v41
	v_add_nc_u32_e32 v38, 4, v38
	v_cndmask_b32_e32 v5, v44, v45, vcc_lo
	v_or_b32_e32 v44, 0x400000, v1
	v_bfe_u32 v45, v8, 16, 1
	v_cmp_u_f32_e32 vcc_lo, v1, v1
	v_add_co_u32 v13, s0, v13, 16
	v_and_b32_e32 v5, 0xffff0000, v5
	v_add3_u32 v16, v45, v8, 0x7fff
	v_cndmask_b32_e32 v1, v40, v44, vcc_lo
	v_or_b32_e32 v40, 0x400000, v8
	v_bfe_u32 v44, v2, 16, 1
	v_cmp_u_f32_e32 vcc_lo, v8, v8
	v_add_f32_e32 v27, v27, v19
	v_and_b32_e32 v1, 0xffff0000, v1
	v_add_nc_u32_e32 v31, 64, v31
	v_add3_u32 v15, v44, v2, 0x7fff
	v_cndmask_b32_e32 v8, v16, v40, vcc_lo
	v_or_b32_e32 v16, 0x400000, v2
	v_bfe_u32 v40, v6, 16, 1
	v_cmp_u_f32_e32 vcc_lo, v2, v2
	v_add_f32_e32 v1, v5, v1
	v_and_b32_e32 v8, 0xffff0000, v8
	v_add_nc_u32_e32 v32, 0x100, v32
	v_add_co_ci_u32_e64 v14, null, 0, v14, s0
	v_cndmask_b32_e32 v2, v15, v16, vcc_lo
	v_bfe_u32 v15, v3, 16, 1
	v_add3_u32 v16, v40, v6, 0x7fff
	v_cmp_u_f32_e32 vcc_lo, v6, v6
	v_bfe_u32 v40, v4, 16, 1
	v_and_b32_e32 v2, 0xffff0000, v2
	v_add3_u32 v15, v15, v3, 0x7fff
	v_cndmask_b32_e32 v6, v16, v9, vcc_lo
	v_cmp_u_f32_e32 vcc_lo, v3, v3
	v_or_b32_e32 v16, 0x400000, v4
	v_add3_u32 v9, v18, v7, 0x7fff
	v_add_f32_e32 v2, v8, v2
	v_and_b32_e32 v5, 0xffff0000, v6
	v_cndmask_b32_e32 v3, v15, v17, vcc_lo
	v_add3_u32 v15, v40, v4, 0x7fff
	v_cmp_u_f32_e32 vcc_lo, v4, v4
	v_or_b32_e32 v17, 0x400000, v7
	v_add_f32_e32 v1, v2, v1
	v_and_b32_e32 v3, 0xffff0000, v3
	v_cndmask_b32_e32 v4, v15, v16, vcc_lo
	v_cmp_u_f32_e32 vcc_lo, v7, v7
	v_and_b32_e32 v7, 0xffff0000, v43
	v_add_f32_e32 v2, v5, v3
	v_add_f32_e32 v5, v49, v52
	v_and_b32_e32 v3, 0xffff0000, v4
	v_cndmask_b32_e32 v6, v9, v17, vcc_lo
	v_add_f32_e32 v7, v41, v7
	v_add_f32_e32 v1, v2, v1
	v_cmp_le_i32_e32 vcc_lo, s12, v38
	v_and_b32_e32 v4, 0xffff0000, v6
	v_add_f32_e32 v6, v39, v42
	s_or_b32 s14, vcc_lo, s14
	v_add_f32_e32 v2, v4, v3
	v_add_f32_e32 v3, v47, v20
	;; [unrolled: 1-line block ×9, first 2 shown]
	s_andn2_b32 exec_lo, exec_lo, s14
	s_cbranch_execz .LBB335_660
.LBB335_350:                            ; =>This Inner Loop Header: Depth=1
	global_load_dword v1, v[13:14], off
	v_mov_b32_e32 v41, 0
	s_waitcnt vmcnt(0)
	v_mad_i64_i32 v[15:16], null, v1, s4, v[11:12]
	global_load_dwordx2 v[17:18], v[15:16], off
	ds_read2_b64 v[5:8], v32 offset1:1
	ds_read2_b64 v[1:4], v32 offset0:2 offset1:3
	s_waitcnt vmcnt(0)
	v_cmp_ne_u16_sdwa s15, v17, v10 src0_sel:BYTE_0 src1_sel:DWORD
	s_and_saveexec_b32 s0, s15
	s_cbranch_execz .LBB335_356
; %bb.351:                              ;   in Loop: Header=BB335_350 Depth=1
	v_cmp_ne_u16_sdwa s16, v17, v33 src0_sel:BYTE_0 src1_sel:DWORD
	v_bfrev_b32_e32 v41, 1
	s_and_saveexec_b32 s15, s16
	s_cbranch_execz .LBB335_355
; %bb.352:                              ;   in Loop: Header=BB335_350 Depth=1
	v_and_b32_e32 v9, 0x7f, v17
	v_mov_b32_e32 v41, 0x7f800001
	s_mov_b32 s16, exec_lo
	v_cmpx_ne_u32_e32 0x7f, v9
	s_cbranch_execz .LBB335_354
; %bb.353:                              ;   in Loop: Header=BB335_350 Depth=1
	v_and_b32_e32 v19, 7, v17
	v_lshrrev_b32_e32 v20, 3, v9
	v_cmp_gt_u32_e32 vcc_lo, 8, v9
	v_ffbh_u32_e32 v19, v19
	v_min_u32_e32 v19, 32, v19
	v_subrev_nc_u32_e32 v39, 28, v19
	v_sub_nc_u32_e32 v19, 29, v19
	v_cndmask_b32_e32 v9, v20, v19, vcc_lo
	v_cndmask_b32_e32 v19, 0, v39, vcc_lo
	v_lshl_add_u32 v9, v9, 23, 0x3c000000
	v_lshlrev_b64 v[19:20], v19, v[17:18]
	v_lshlrev_b32_e32 v20, 24, v17
	v_lshlrev_b32_e32 v19, 20, v19
	v_and_b32_e32 v20, 0x80000000, v20
	v_and_b32_e32 v19, 0x700000, v19
	v_or3_b32 v41, v19, v20, v9
.LBB335_354:                            ;   in Loop: Header=BB335_350 Depth=1
	s_or_b32 exec_lo, exec_lo, s16
.LBB335_355:                            ;   in Loop: Header=BB335_350 Depth=1
	s_or_b32 exec_lo, exec_lo, s15
.LBB335_356:                            ;   in Loop: Header=BB335_350 Depth=1
	s_or_b32 exec_lo, exec_lo, s0
	v_cmp_ne_u16_sdwa s15, v17, v10 src0_sel:BYTE_1 src1_sel:DWORD
	v_mov_b32_e32 v40, 0
	v_mov_b32_e32 v39, 0
	s_and_saveexec_b32 s0, s15
	s_cbranch_execz .LBB335_364
; %bb.357:                              ;   in Loop: Header=BB335_350 Depth=1
	v_cmp_ne_u16_sdwa s16, v17, v33 src0_sel:BYTE_1 src1_sel:DWORD
	v_bfrev_b32_e32 v39, 1
	s_and_saveexec_b32 s15, s16
	s_cbranch_execz .LBB335_363
; %bb.358:                              ;   in Loop: Header=BB335_350 Depth=1
	v_and_b32_sdwa v9, v34, v17 dst_sel:DWORD dst_unused:UNUSED_PAD src0_sel:DWORD src1_sel:BYTE_1
	v_mov_b32_e32 v39, 0x7f800001
	s_mov_b32 s16, exec_lo
	v_and_b32_e32 v20, 0x7f, v9
	v_cmpx_ne_u32_e32 0x7f, v20
	s_cbranch_execz .LBB335_362
; %bb.359:                              ;   in Loop: Header=BB335_350 Depth=1
	v_and_b32_e32 v9, 7, v9
	v_lshrrev_b32_e32 v19, 3, v20
	s_mov_b32 s17, exec_lo
	v_cmpx_gt_u32_e32 8, v20
; %bb.360:                              ;   in Loop: Header=BB335_350 Depth=1
	v_ffbh_u32_e32 v19, v9
	v_min_u32_e32 v19, 32, v19
	v_subrev_nc_u32_e32 v20, 28, v19
	v_sub_nc_u32_e32 v19, 29, v19
	v_lshlrev_b64 v[42:43], v20, v[9:10]
	v_and_b32_e32 v9, 7, v42
; %bb.361:                              ;   in Loop: Header=BB335_350 Depth=1
	s_or_b32 exec_lo, exec_lo, s17
	v_lshlrev_b32_e32 v20, 16, v17
	v_lshlrev_b32_e32 v9, 20, v9
	v_lshl_add_u32 v19, v19, 23, 0x3c000000
	v_and_b32_e32 v20, 0x80000000, v20
	v_or3_b32 v39, v9, v20, v19
.LBB335_362:                            ;   in Loop: Header=BB335_350 Depth=1
	s_or_b32 exec_lo, exec_lo, s16
.LBB335_363:                            ;   in Loop: Header=BB335_350 Depth=1
	s_or_b32 exec_lo, exec_lo, s15
.LBB335_364:                            ;   in Loop: Header=BB335_350 Depth=1
	s_or_b32 exec_lo, exec_lo, s0
	v_and_b32_sdwa v9, v17, v35 dst_sel:DWORD dst_unused:UNUSED_PAD src0_sel:WORD_1 src1_sel:DWORD
	s_mov_b32 s0, exec_lo
	v_cmpx_ne_u16_e32 0, v9
	s_cbranch_execz .LBB335_372
; %bb.365:                              ;   in Loop: Header=BB335_350 Depth=1
	v_bfrev_b32_e32 v40, 1
	s_mov_b32 s15, exec_lo
	v_cmpx_ne_u16_e32 0x80, v9
	s_cbranch_execz .LBB335_371
; %bb.366:                              ;   in Loop: Header=BB335_350 Depth=1
	v_bfe_u32 v20, v17, 16, 7
	v_mov_b32_e32 v40, 0x7f800001
	s_mov_b32 s16, exec_lo
	v_cmpx_ne_u32_e32 0x7f, v20
	s_cbranch_execz .LBB335_370
; %bb.367:                              ;   in Loop: Header=BB335_350 Depth=1
	v_and_b32_sdwa v9, v17, v36 dst_sel:DWORD dst_unused:UNUSED_PAD src0_sel:WORD_1 src1_sel:DWORD
	v_lshrrev_b32_e32 v19, 3, v20
	s_mov_b32 s17, exec_lo
	v_cmpx_gt_u32_e32 8, v20
; %bb.368:                              ;   in Loop: Header=BB335_350 Depth=1
	v_ffbh_u32_e32 v19, v9
	v_min_u32_e32 v19, 32, v19
	v_subrev_nc_u32_e32 v20, 28, v19
	v_sub_nc_u32_e32 v19, 29, v19
	v_lshlrev_b64 v[42:43], v20, v[9:10]
	v_and_b32_e32 v9, 7, v42
; %bb.369:                              ;   in Loop: Header=BB335_350 Depth=1
	s_or_b32 exec_lo, exec_lo, s17
	v_lshlrev_b32_sdwa v20, v37, v17 dst_sel:DWORD dst_unused:UNUSED_PAD src0_sel:DWORD src1_sel:WORD_1
	v_lshlrev_b32_e32 v9, 20, v9
	v_lshl_add_u32 v19, v19, 23, 0x3c000000
	v_and_b32_e32 v20, 0x80000000, v20
	v_or3_b32 v40, v9, v20, v19
.LBB335_370:                            ;   in Loop: Header=BB335_350 Depth=1
	s_or_b32 exec_lo, exec_lo, s16
.LBB335_371:                            ;   in Loop: Header=BB335_350 Depth=1
	s_or_b32 exec_lo, exec_lo, s15
.LBB335_372:                            ;   in Loop: Header=BB335_350 Depth=1
	s_or_b32 exec_lo, exec_lo, s0
	v_mov_b32_e32 v42, 0
	v_mov_b32_e32 v43, 0
	s_mov_b32 s0, exec_lo
	v_cmpx_lt_u32_e32 0xffffff, v17
	s_cbranch_execz .LBB335_380
; %bb.373:                              ;   in Loop: Header=BB335_350 Depth=1
	v_cmp_ne_u32_sdwa s16, v17, v33 src0_sel:BYTE_3 src1_sel:DWORD
	v_bfrev_b32_e32 v43, 1
	s_and_saveexec_b32 s15, s16
	s_cbranch_execz .LBB335_379
; %bb.374:                              ;   in Loop: Header=BB335_350 Depth=1
	v_bfe_u32 v20, v17, 24, 7
	v_mov_b32_e32 v43, 0x7f800001
	s_mov_b32 s16, exec_lo
	v_cmpx_ne_u32_e32 0x7f, v20
	s_cbranch_execz .LBB335_378
; %bb.375:                              ;   in Loop: Header=BB335_350 Depth=1
	v_and_b32_sdwa v9, v17, v36 dst_sel:DWORD dst_unused:UNUSED_PAD src0_sel:BYTE_3 src1_sel:DWORD
	v_lshrrev_b32_e32 v19, 3, v20
	s_mov_b32 s17, exec_lo
	v_cmpx_gt_u32_e32 8, v20
; %bb.376:                              ;   in Loop: Header=BB335_350 Depth=1
	v_ffbh_u32_e32 v19, v9
	v_min_u32_e32 v19, 32, v19
	v_subrev_nc_u32_e32 v20, 28, v19
	v_sub_nc_u32_e32 v19, 29, v19
	v_lshlrev_b64 v[43:44], v20, v[9:10]
	v_and_b32_e32 v9, 7, v43
; %bb.377:                              ;   in Loop: Header=BB335_350 Depth=1
	s_or_b32 exec_lo, exec_lo, s17
	v_lshlrev_b32_sdwa v20, v37, v17 dst_sel:DWORD dst_unused:UNUSED_PAD src0_sel:DWORD src1_sel:BYTE_3
	v_lshlrev_b32_e32 v9, 20, v9
	v_lshl_add_u32 v19, v19, 23, 0x3c000000
	v_and_b32_e32 v20, 0x80000000, v20
	v_or3_b32 v43, v9, v20, v19
.LBB335_378:                            ;   in Loop: Header=BB335_350 Depth=1
	s_or_b32 exec_lo, exec_lo, s16
.LBB335_379:                            ;   in Loop: Header=BB335_350 Depth=1
	s_or_b32 exec_lo, exec_lo, s15
.LBB335_380:                            ;   in Loop: Header=BB335_350 Depth=1
	s_or_b32 exec_lo, exec_lo, s0
	v_mov_b32_e32 v9, v18
	v_cmp_ne_u16_sdwa s15, v18, v10 src0_sel:BYTE_0 src1_sel:DWORD
	s_and_saveexec_b32 s0, s15
	s_cbranch_execz .LBB335_386
; %bb.381:                              ;   in Loop: Header=BB335_350 Depth=1
	v_cmp_ne_u16_sdwa s16, v18, v33 src0_sel:BYTE_0 src1_sel:DWORD
	v_bfrev_b32_e32 v42, 1
	s_and_saveexec_b32 s15, s16
	s_cbranch_execz .LBB335_385
; %bb.382:                              ;   in Loop: Header=BB335_350 Depth=1
	v_and_b32_e32 v19, 0x7f, v18
	v_mov_b32_e32 v42, 0x7f800001
	s_mov_b32 s16, exec_lo
	v_cmpx_ne_u32_e32 0x7f, v19
	s_cbranch_execz .LBB335_384
; %bb.383:                              ;   in Loop: Header=BB335_350 Depth=1
	v_and_b32_e32 v20, 7, v18
	v_cmp_gt_u32_e32 vcc_lo, 8, v19
	v_lshrrev_b32_e32 v42, 3, v19
	v_ffbh_u32_e32 v20, v20
	v_min_u32_e32 v20, 32, v20
	v_subrev_nc_u32_e32 v44, 28, v20
	v_sub_nc_u32_e32 v20, 29, v20
	v_cndmask_b32_e32 v19, 0, v44, vcc_lo
	v_cndmask_b32_e32 v42, v42, v20, vcc_lo
	v_lshlrev_b64 v[19:20], v19, v[9:10]
	v_lshlrev_b32_e32 v20, 24, v9
	v_lshl_add_u32 v42, v42, 23, 0x3c000000
	v_lshlrev_b32_e32 v19, 20, v19
	v_and_b32_e32 v20, 0x80000000, v20
	v_and_b32_e32 v19, 0x700000, v19
	v_or3_b32 v42, v19, v20, v42
.LBB335_384:                            ;   in Loop: Header=BB335_350 Depth=1
	s_or_b32 exec_lo, exec_lo, s16
.LBB335_385:                            ;   in Loop: Header=BB335_350 Depth=1
	s_or_b32 exec_lo, exec_lo, s15
.LBB335_386:                            ;   in Loop: Header=BB335_350 Depth=1
	s_or_b32 exec_lo, exec_lo, s0
	v_cmp_ne_u16_sdwa s15, v9, v10 src0_sel:BYTE_1 src1_sel:DWORD
	v_mov_b32_e32 v44, 0
	v_mov_b32_e32 v19, 0
	s_and_saveexec_b32 s0, s15
	s_cbranch_execz .LBB335_394
; %bb.387:                              ;   in Loop: Header=BB335_350 Depth=1
	v_cmp_ne_u16_sdwa s16, v9, v33 src0_sel:BYTE_1 src1_sel:DWORD
	v_bfrev_b32_e32 v19, 1
	s_and_saveexec_b32 s15, s16
	s_cbranch_execz .LBB335_393
; %bb.388:                              ;   in Loop: Header=BB335_350 Depth=1
	v_and_b32_sdwa v20, v34, v9 dst_sel:DWORD dst_unused:UNUSED_PAD src0_sel:DWORD src1_sel:BYTE_1
	v_mov_b32_e32 v19, 0x7f800001
	s_mov_b32 s16, exec_lo
	v_and_b32_e32 v46, 0x7f, v20
	v_cmpx_ne_u32_e32 0x7f, v46
	s_cbranch_execz .LBB335_392
; %bb.389:                              ;   in Loop: Header=BB335_350 Depth=1
	v_and_b32_e32 v19, 7, v20
	v_mov_b32_e32 v20, v10
	v_lshrrev_b32_e32 v45, 3, v46
	s_mov_b32 s17, exec_lo
	v_cmpx_gt_u32_e32 8, v46
; %bb.390:                              ;   in Loop: Header=BB335_350 Depth=1
	v_ffbh_u32_e32 v45, v19
	v_min_u32_e32 v45, 32, v45
	v_subrev_nc_u32_e32 v46, 28, v45
	v_sub_nc_u32_e32 v45, 29, v45
	v_lshlrev_b64 v[19:20], v46, v[19:20]
	v_and_b32_e32 v19, 7, v19
; %bb.391:                              ;   in Loop: Header=BB335_350 Depth=1
	s_or_b32 exec_lo, exec_lo, s17
	v_lshlrev_b32_e32 v9, 16, v9
	v_lshlrev_b32_e32 v19, 20, v19
	v_lshl_add_u32 v20, v45, 23, 0x3c000000
	v_and_b32_e32 v9, 0x80000000, v9
	v_or3_b32 v19, v19, v9, v20
.LBB335_392:                            ;   in Loop: Header=BB335_350 Depth=1
	s_or_b32 exec_lo, exec_lo, s16
.LBB335_393:                            ;   in Loop: Header=BB335_350 Depth=1
	s_or_b32 exec_lo, exec_lo, s15
.LBB335_394:                            ;   in Loop: Header=BB335_350 Depth=1
	s_or_b32 exec_lo, exec_lo, s0
	v_and_b32_sdwa v9, v18, v35 dst_sel:DWORD dst_unused:UNUSED_PAD src0_sel:WORD_1 src1_sel:DWORD
	s_mov_b32 s0, exec_lo
	v_cmpx_ne_u16_e32 0, v9
	s_cbranch_execz .LBB335_402
; %bb.395:                              ;   in Loop: Header=BB335_350 Depth=1
	v_bfrev_b32_e32 v44, 1
	s_mov_b32 s15, exec_lo
	v_cmpx_ne_u16_e32 0x80, v9
	s_cbranch_execz .LBB335_401
; %bb.396:                              ;   in Loop: Header=BB335_350 Depth=1
	v_bfe_u32 v45, v18, 16, 7
	v_mov_b32_e32 v44, 0x7f800001
	s_mov_b32 s16, exec_lo
	v_cmpx_ne_u32_e32 0x7f, v45
	s_cbranch_execz .LBB335_400
; %bb.397:                              ;   in Loop: Header=BB335_350 Depth=1
	v_and_b32_sdwa v9, v18, v36 dst_sel:DWORD dst_unused:UNUSED_PAD src0_sel:WORD_1 src1_sel:DWORD
	v_lshrrev_b32_e32 v20, 3, v45
	s_mov_b32 s17, exec_lo
	v_cmpx_gt_u32_e32 8, v45
; %bb.398:                              ;   in Loop: Header=BB335_350 Depth=1
	v_ffbh_u32_e32 v20, v9
	v_min_u32_e32 v20, 32, v20
	v_subrev_nc_u32_e32 v44, 28, v20
	v_sub_nc_u32_e32 v20, 29, v20
	v_lshlrev_b64 v[44:45], v44, v[9:10]
	v_and_b32_e32 v9, 7, v44
; %bb.399:                              ;   in Loop: Header=BB335_350 Depth=1
	s_or_b32 exec_lo, exec_lo, s17
	v_lshlrev_b32_sdwa v44, v37, v18 dst_sel:DWORD dst_unused:UNUSED_PAD src0_sel:DWORD src1_sel:WORD_1
	v_lshlrev_b32_e32 v9, 20, v9
	v_lshl_add_u32 v20, v20, 23, 0x3c000000
	v_and_b32_e32 v44, 0x80000000, v44
	v_or3_b32 v44, v9, v44, v20
.LBB335_400:                            ;   in Loop: Header=BB335_350 Depth=1
	s_or_b32 exec_lo, exec_lo, s16
.LBB335_401:                            ;   in Loop: Header=BB335_350 Depth=1
	s_or_b32 exec_lo, exec_lo, s15
.LBB335_402:                            ;   in Loop: Header=BB335_350 Depth=1
	s_or_b32 exec_lo, exec_lo, s0
	v_mov_b32_e32 v9, 0
	s_mov_b32 s0, exec_lo
	v_cmpx_lt_u64_e64 s[2:3], v[17:18]
	s_cbranch_execz .LBB335_410
; %bb.403:                              ;   in Loop: Header=BB335_350 Depth=1
	v_cmp_ne_u32_sdwa s16, v18, v33 src0_sel:BYTE_3 src1_sel:DWORD
	v_bfrev_b32_e32 v9, 1
	s_and_saveexec_b32 s15, s16
	s_cbranch_execz .LBB335_409
; %bb.404:                              ;   in Loop: Header=BB335_350 Depth=1
	v_bfe_u32 v20, v18, 24, 7
	v_mov_b32_e32 v9, 0x7f800001
	s_mov_b32 s16, exec_lo
	v_cmpx_ne_u32_e32 0x7f, v20
	s_cbranch_execz .LBB335_408
; %bb.405:                              ;   in Loop: Header=BB335_350 Depth=1
	v_and_b32_sdwa v9, v18, v36 dst_sel:DWORD dst_unused:UNUSED_PAD src0_sel:BYTE_3 src1_sel:DWORD
	v_lshrrev_b32_e32 v17, 3, v20
	s_mov_b32 s17, exec_lo
	v_cmpx_gt_u32_e32 8, v20
; %bb.406:                              ;   in Loop: Header=BB335_350 Depth=1
	v_ffbh_u32_e32 v17, v9
	v_min_u32_e32 v17, 32, v17
	v_subrev_nc_u32_e32 v20, 28, v17
	v_sub_nc_u32_e32 v17, 29, v17
	v_lshlrev_b64 v[45:46], v20, v[9:10]
	v_and_b32_e32 v9, 7, v45
; %bb.407:                              ;   in Loop: Header=BB335_350 Depth=1
	s_or_b32 exec_lo, exec_lo, s17
	v_lshlrev_b32_sdwa v18, v37, v18 dst_sel:DWORD dst_unused:UNUSED_PAD src0_sel:DWORD src1_sel:BYTE_3
	v_lshlrev_b32_e32 v9, 20, v9
	v_lshl_add_u32 v17, v17, 23, 0x3c000000
	v_and_b32_e32 v18, 0x80000000, v18
	v_or3_b32 v9, v9, v18, v17
.LBB335_408:                            ;   in Loop: Header=BB335_350 Depth=1
	s_or_b32 exec_lo, exec_lo, s16
.LBB335_409:                            ;   in Loop: Header=BB335_350 Depth=1
	s_or_b32 exec_lo, exec_lo, s15
.LBB335_410:                            ;   in Loop: Header=BB335_350 Depth=1
	s_or_b32 exec_lo, exec_lo, s0
	s_waitcnt lgkmcnt(0)
	v_mul_f32_e32 v17, s5, v19
	v_mul_f32_e32 v18, s5, v42
	;; [unrolled: 1-line block ×5, first 2 shown]
	v_bfe_u32 v20, v17, 16, 1
	v_or_b32_e32 v40, 0x400000, v17
	v_bfe_u32 v42, v18, 16, 1
	v_cmp_u_f32_e64 s0, v17, v17
	v_or_b32_e32 v45, 0x400000, v18
	v_add3_u32 v20, v20, v17, 0x7fff
	v_bfe_u32 v46, v19, 16, 1
	v_add3_u32 v42, v42, v18, 0x7fff
	v_or_b32_e32 v48, 0x400000, v19
	v_add_nc_u32_e32 v47, -7, v31
	v_cndmask_b32_e64 v17, v20, v40, s0
	v_cmp_u_f32_e64 s0, v18, v18
	v_bfe_u32 v20, v43, 16, 1
	v_add3_u32 v46, v46, v19, 0x7fff
	v_cmp_eq_u32_e32 vcc_lo, s13, v38
	v_lshrrev_b32_e32 v40, 16, v17
	v_cndmask_b32_e64 v18, v42, v45, s0
	v_cmp_u_f32_e64 s0, v19, v19
	v_mul_f32_e32 v19, s5, v39
	v_add3_u32 v20, v20, v43, 0x7fff
	v_or_b32_e32 v45, 0x400000, v43
	v_lshrrev_b32_e32 v39, 16, v18
	v_cndmask_b32_e64 v17, v46, v48, s0
	v_cmp_u_f32_e64 s0, v43, v43
	v_or_b32_e32 v43, 0x400000, v19
	v_or_b32_e32 v48, 0x400000, v9
	v_add_nc_u32_e32 v53, -6, v31
	v_lshrrev_b32_e32 v42, 16, v17
	v_bfe_u32 v17, v19, 16, 1
	v_cndmask_b32_e64 v18, v20, v45, s0
	v_mul_f32_e32 v20, s5, v41
	v_mul_f32_e32 v41, s5, v44
	v_cmp_u_f32_e64 s0, v19, v19
	v_add3_u32 v17, v17, v19, 0x7fff
	v_bfe_u32 v19, v9, 16, 1
	v_bfe_u32 v44, v20, 16, 1
	;; [unrolled: 1-line block ×3, first 2 shown]
	v_or_b32_e32 v46, 0x400000, v41
	v_cndmask_b32_e64 v17, v17, v43, s0
	v_cmp_u_f32_e64 s0, v20, v20
	v_add3_u32 v43, v44, v20, 0x7fff
	v_or_b32_e32 v44, 0x400000, v20
	v_add3_u32 v45, v45, v41, 0x7fff
	v_add3_u32 v19, v19, v9, 0x7fff
	v_add_nc_u32_e32 v52, -5, v31
	v_add_nc_u32_e32 v51, -4, v31
	v_cndmask_b32_e64 v20, v43, v44, s0
	v_cmp_u_f32_e64 s0, v41, v41
	v_lshrrev_b32_e32 v44, 16, v18
	v_add_nc_u32_e32 v50, -3, v31
	v_add_nc_u32_e32 v49, -2, v31
	v_cndmask_b32_e64 v41, v45, v46, s0
	v_cmp_u_f32_e64 s0, v9, v9
	v_lshrrev_b32_e32 v46, 16, v17
	v_lshrrev_b32_e32 v45, 16, v20
	;; [unrolled: 1-line block ×3, first 2 shown]
	v_cndmask_b32_e64 v9, v19, v48, s0
	v_add_nc_u32_e32 v48, -1, v31
	v_lshrrev_b32_e32 v43, 16, v9
	s_and_saveexec_b32 s15, vcc_lo
	s_cbranch_execz .LBB335_412
; %bb.411:                              ;   in Loop: Header=BB335_350 Depth=1
	v_cmp_gt_i32_e64 s0, s11, v47
	v_cndmask_b32_e64 v45, 0, v45, s0
	v_cmp_gt_i32_e64 s0, s11, v53
	v_cndmask_b32_e64 v46, 0, v46, s0
	;; [unrolled: 2-line block ×8, first 2 shown]
.LBB335_412:                            ;   in Loop: Header=BB335_350 Depth=1
	s_or_b32 exec_lo, exec_lo, s15
	global_load_dwordx2 v[17:18], v[15:16], off offset:256
	v_mov_b32_e32 v55, 0
	v_mov_b32_e32 v56, 0
	s_waitcnt vmcnt(0)
	v_cmp_ne_u16_sdwa s0, v17, v10 src0_sel:BYTE_0 src1_sel:DWORD
	s_and_saveexec_b32 s15, s0
	s_cbranch_execz .LBB335_418
; %bb.413:                              ;   in Loop: Header=BB335_350 Depth=1
	v_cmp_ne_u16_sdwa s0, v17, v33 src0_sel:BYTE_0 src1_sel:DWORD
	v_bfrev_b32_e32 v56, 1
	s_and_saveexec_b32 s16, s0
	s_cbranch_execz .LBB335_417
; %bb.414:                              ;   in Loop: Header=BB335_350 Depth=1
	v_and_b32_e32 v9, 0x7f, v17
	v_mov_b32_e32 v56, 0x7f800001
	s_mov_b32 s17, exec_lo
	v_cmpx_ne_u32_e32 0x7f, v9
	s_cbranch_execz .LBB335_416
; %bb.415:                              ;   in Loop: Header=BB335_350 Depth=1
	v_and_b32_e32 v19, 7, v17
	v_lshrrev_b32_e32 v20, 3, v9
	v_cmp_gt_u32_e64 s0, 8, v9
	v_ffbh_u32_e32 v19, v19
	v_min_u32_e32 v19, 32, v19
	v_subrev_nc_u32_e32 v54, 28, v19
	v_sub_nc_u32_e32 v19, 29, v19
	v_cndmask_b32_e64 v9, v20, v19, s0
	v_cndmask_b32_e64 v19, 0, v54, s0
	v_lshl_add_u32 v9, v9, 23, 0x3c000000
	v_lshlrev_b64 v[19:20], v19, v[17:18]
	v_lshlrev_b32_e32 v20, 24, v17
	v_lshlrev_b32_e32 v19, 20, v19
	v_and_b32_e32 v20, 0x80000000, v20
	v_and_b32_e32 v19, 0x700000, v19
	v_or3_b32 v56, v19, v20, v9
.LBB335_416:                            ;   in Loop: Header=BB335_350 Depth=1
	s_or_b32 exec_lo, exec_lo, s17
.LBB335_417:                            ;   in Loop: Header=BB335_350 Depth=1
	s_or_b32 exec_lo, exec_lo, s16
.LBB335_418:                            ;   in Loop: Header=BB335_350 Depth=1
	s_or_b32 exec_lo, exec_lo, s15
	v_cmp_ne_u16_sdwa s0, v17, v10 src0_sel:BYTE_1 src1_sel:DWORD
	s_and_saveexec_b32 s15, s0
	s_cbranch_execz .LBB335_426
; %bb.419:                              ;   in Loop: Header=BB335_350 Depth=1
	v_cmp_ne_u16_sdwa s0, v17, v33 src0_sel:BYTE_1 src1_sel:DWORD
	v_bfrev_b32_e32 v55, 1
	s_and_saveexec_b32 s16, s0
	s_cbranch_execz .LBB335_425
; %bb.420:                              ;   in Loop: Header=BB335_350 Depth=1
	v_and_b32_sdwa v9, v34, v17 dst_sel:DWORD dst_unused:UNUSED_PAD src0_sel:DWORD src1_sel:BYTE_1
	v_mov_b32_e32 v55, 0x7f800001
	s_mov_b32 s17, exec_lo
	v_and_b32_e32 v20, 0x7f, v9
	v_cmpx_ne_u32_e32 0x7f, v20
	s_cbranch_execz .LBB335_424
; %bb.421:                              ;   in Loop: Header=BB335_350 Depth=1
	v_and_b32_e32 v9, 7, v9
	v_lshrrev_b32_e32 v19, 3, v20
	s_mov_b32 s18, exec_lo
	v_cmpx_gt_u32_e32 8, v20
; %bb.422:                              ;   in Loop: Header=BB335_350 Depth=1
	v_ffbh_u32_e32 v19, v9
	v_min_u32_e32 v19, 32, v19
	v_subrev_nc_u32_e32 v20, 28, v19
	v_sub_nc_u32_e32 v19, 29, v19
	v_lshlrev_b64 v[54:55], v20, v[9:10]
	v_and_b32_e32 v9, 7, v54
; %bb.423:                              ;   in Loop: Header=BB335_350 Depth=1
	s_or_b32 exec_lo, exec_lo, s18
	v_lshlrev_b32_e32 v20, 16, v17
	v_lshlrev_b32_e32 v9, 20, v9
	v_lshl_add_u32 v19, v19, 23, 0x3c000000
	v_and_b32_e32 v20, 0x80000000, v20
	v_or3_b32 v55, v9, v20, v19
.LBB335_424:                            ;   in Loop: Header=BB335_350 Depth=1
	s_or_b32 exec_lo, exec_lo, s17
.LBB335_425:                            ;   in Loop: Header=BB335_350 Depth=1
	s_or_b32 exec_lo, exec_lo, s16
.LBB335_426:                            ;   in Loop: Header=BB335_350 Depth=1
	s_or_b32 exec_lo, exec_lo, s15
	v_and_b32_sdwa v9, v17, v35 dst_sel:DWORD dst_unused:UNUSED_PAD src0_sel:WORD_1 src1_sel:DWORD
	v_mov_b32_e32 v57, 0
	v_mov_b32_e32 v54, 0
	s_mov_b32 s15, exec_lo
	v_cmpx_ne_u16_e32 0, v9
	s_cbranch_execz .LBB335_434
; %bb.427:                              ;   in Loop: Header=BB335_350 Depth=1
	v_bfrev_b32_e32 v54, 1
	s_mov_b32 s16, exec_lo
	v_cmpx_ne_u16_e32 0x80, v9
	s_cbranch_execz .LBB335_433
; %bb.428:                              ;   in Loop: Header=BB335_350 Depth=1
	v_bfe_u32 v20, v17, 16, 7
	v_mov_b32_e32 v54, 0x7f800001
	s_mov_b32 s17, exec_lo
	v_cmpx_ne_u32_e32 0x7f, v20
	s_cbranch_execz .LBB335_432
; %bb.429:                              ;   in Loop: Header=BB335_350 Depth=1
	v_and_b32_sdwa v9, v17, v36 dst_sel:DWORD dst_unused:UNUSED_PAD src0_sel:WORD_1 src1_sel:DWORD
	v_lshrrev_b32_e32 v19, 3, v20
	s_mov_b32 s18, exec_lo
	v_cmpx_gt_u32_e32 8, v20
; %bb.430:                              ;   in Loop: Header=BB335_350 Depth=1
	v_ffbh_u32_e32 v19, v9
	v_min_u32_e32 v19, 32, v19
	v_subrev_nc_u32_e32 v20, 28, v19
	v_sub_nc_u32_e32 v19, 29, v19
	v_lshlrev_b64 v[58:59], v20, v[9:10]
	v_and_b32_e32 v9, 7, v58
; %bb.431:                              ;   in Loop: Header=BB335_350 Depth=1
	s_or_b32 exec_lo, exec_lo, s18
	v_lshlrev_b32_sdwa v20, v37, v17 dst_sel:DWORD dst_unused:UNUSED_PAD src0_sel:DWORD src1_sel:WORD_1
	v_lshlrev_b32_e32 v9, 20, v9
	v_lshl_add_u32 v19, v19, 23, 0x3c000000
	v_and_b32_e32 v20, 0x80000000, v20
	v_or3_b32 v54, v9, v20, v19
.LBB335_432:                            ;   in Loop: Header=BB335_350 Depth=1
	s_or_b32 exec_lo, exec_lo, s17
.LBB335_433:                            ;   in Loop: Header=BB335_350 Depth=1
	s_or_b32 exec_lo, exec_lo, s16
.LBB335_434:                            ;   in Loop: Header=BB335_350 Depth=1
	s_or_b32 exec_lo, exec_lo, s15
	s_mov_b32 s15, exec_lo
	v_cmpx_lt_u32_e32 0xffffff, v17
	s_cbranch_execz .LBB335_442
; %bb.435:                              ;   in Loop: Header=BB335_350 Depth=1
	v_cmp_ne_u32_sdwa s0, v17, v33 src0_sel:BYTE_3 src1_sel:DWORD
	v_bfrev_b32_e32 v57, 1
	s_and_saveexec_b32 s16, s0
	s_cbranch_execz .LBB335_441
; %bb.436:                              ;   in Loop: Header=BB335_350 Depth=1
	v_bfe_u32 v20, v17, 24, 7
	v_mov_b32_e32 v57, 0x7f800001
	s_mov_b32 s17, exec_lo
	v_cmpx_ne_u32_e32 0x7f, v20
	s_cbranch_execz .LBB335_440
; %bb.437:                              ;   in Loop: Header=BB335_350 Depth=1
	v_and_b32_sdwa v9, v17, v36 dst_sel:DWORD dst_unused:UNUSED_PAD src0_sel:BYTE_3 src1_sel:DWORD
	v_lshrrev_b32_e32 v19, 3, v20
	s_mov_b32 s18, exec_lo
	v_cmpx_gt_u32_e32 8, v20
; %bb.438:                              ;   in Loop: Header=BB335_350 Depth=1
	v_ffbh_u32_e32 v19, v9
	v_min_u32_e32 v19, 32, v19
	v_subrev_nc_u32_e32 v20, 28, v19
	v_sub_nc_u32_e32 v19, 29, v19
	v_lshlrev_b64 v[57:58], v20, v[9:10]
	v_and_b32_e32 v9, 7, v57
; %bb.439:                              ;   in Loop: Header=BB335_350 Depth=1
	s_or_b32 exec_lo, exec_lo, s18
	v_lshlrev_b32_sdwa v20, v37, v17 dst_sel:DWORD dst_unused:UNUSED_PAD src0_sel:DWORD src1_sel:BYTE_3
	v_lshlrev_b32_e32 v9, 20, v9
	v_lshl_add_u32 v19, v19, 23, 0x3c000000
	v_and_b32_e32 v20, 0x80000000, v20
	v_or3_b32 v57, v9, v20, v19
.LBB335_440:                            ;   in Loop: Header=BB335_350 Depth=1
	s_or_b32 exec_lo, exec_lo, s17
.LBB335_441:                            ;   in Loop: Header=BB335_350 Depth=1
	s_or_b32 exec_lo, exec_lo, s16
.LBB335_442:                            ;   in Loop: Header=BB335_350 Depth=1
	s_or_b32 exec_lo, exec_lo, s15
	v_mov_b32_e32 v9, v18
	v_cmp_ne_u16_sdwa s0, v18, v10 src0_sel:BYTE_0 src1_sel:DWORD
	v_mov_b32_e32 v19, 0
	v_mov_b32_e32 v58, 0
	s_and_saveexec_b32 s15, s0
	s_cbranch_execz .LBB335_448
; %bb.443:                              ;   in Loop: Header=BB335_350 Depth=1
	v_cmp_ne_u16_sdwa s0, v18, v33 src0_sel:BYTE_0 src1_sel:DWORD
	v_bfrev_b32_e32 v58, 1
	s_and_saveexec_b32 s16, s0
	s_cbranch_execz .LBB335_447
; %bb.444:                              ;   in Loop: Header=BB335_350 Depth=1
	v_and_b32_e32 v20, 0x7f, v18
	v_mov_b32_e32 v58, 0x7f800001
	s_mov_b32 s17, exec_lo
	v_cmpx_ne_u32_e32 0x7f, v20
	s_cbranch_execz .LBB335_446
; %bb.445:                              ;   in Loop: Header=BB335_350 Depth=1
	v_and_b32_e32 v58, 7, v18
	v_lshrrev_b32_e32 v59, 3, v20
	v_cmp_gt_u32_e64 s0, 8, v20
	v_ffbh_u32_e32 v58, v58
	v_min_u32_e32 v58, 32, v58
	v_subrev_nc_u32_e32 v60, 28, v58
	v_sub_nc_u32_e32 v58, 29, v58
	v_cndmask_b32_e64 v20, v59, v58, s0
	v_cndmask_b32_e64 v58, 0, v60, s0
	v_lshl_add_u32 v20, v20, 23, 0x3c000000
	v_lshlrev_b64 v[58:59], v58, v[9:10]
	v_lshlrev_b32_e32 v59, 24, v9
	v_lshlrev_b32_e32 v58, 20, v58
	v_and_b32_e32 v59, 0x80000000, v59
	v_and_b32_e32 v58, 0x700000, v58
	v_or3_b32 v58, v58, v59, v20
.LBB335_446:                            ;   in Loop: Header=BB335_350 Depth=1
	s_or_b32 exec_lo, exec_lo, s17
.LBB335_447:                            ;   in Loop: Header=BB335_350 Depth=1
	s_or_b32 exec_lo, exec_lo, s16
.LBB335_448:                            ;   in Loop: Header=BB335_350 Depth=1
	s_or_b32 exec_lo, exec_lo, s15
	v_cmp_ne_u16_sdwa s0, v9, v10 src0_sel:BYTE_1 src1_sel:DWORD
	s_and_saveexec_b32 s15, s0
	s_cbranch_execz .LBB335_456
; %bb.449:                              ;   in Loop: Header=BB335_350 Depth=1
	v_cmp_ne_u16_sdwa s0, v9, v33 src0_sel:BYTE_1 src1_sel:DWORD
	v_bfrev_b32_e32 v19, 1
	s_and_saveexec_b32 s16, s0
	s_cbranch_execz .LBB335_455
; %bb.450:                              ;   in Loop: Header=BB335_350 Depth=1
	v_and_b32_sdwa v20, v34, v9 dst_sel:DWORD dst_unused:UNUSED_PAD src0_sel:DWORD src1_sel:BYTE_1
	v_mov_b32_e32 v19, 0x7f800001
	s_mov_b32 s17, exec_lo
	v_and_b32_e32 v60, 0x7f, v20
	v_cmpx_ne_u32_e32 0x7f, v60
	s_cbranch_execz .LBB335_454
; %bb.451:                              ;   in Loop: Header=BB335_350 Depth=1
	v_and_b32_e32 v19, 7, v20
	v_mov_b32_e32 v20, v10
	v_lshrrev_b32_e32 v59, 3, v60
	s_mov_b32 s18, exec_lo
	v_cmpx_gt_u32_e32 8, v60
; %bb.452:                              ;   in Loop: Header=BB335_350 Depth=1
	v_ffbh_u32_e32 v59, v19
	v_min_u32_e32 v59, 32, v59
	v_subrev_nc_u32_e32 v60, 28, v59
	v_sub_nc_u32_e32 v59, 29, v59
	v_lshlrev_b64 v[19:20], v60, v[19:20]
	v_and_b32_e32 v19, 7, v19
; %bb.453:                              ;   in Loop: Header=BB335_350 Depth=1
	s_or_b32 exec_lo, exec_lo, s18
	v_lshlrev_b32_e32 v9, 16, v9
	v_lshlrev_b32_e32 v19, 20, v19
	v_lshl_add_u32 v20, v59, 23, 0x3c000000
	v_and_b32_e32 v9, 0x80000000, v9
	v_or3_b32 v19, v19, v9, v20
.LBB335_454:                            ;   in Loop: Header=BB335_350 Depth=1
	s_or_b32 exec_lo, exec_lo, s17
.LBB335_455:                            ;   in Loop: Header=BB335_350 Depth=1
	s_or_b32 exec_lo, exec_lo, s16
.LBB335_456:                            ;   in Loop: Header=BB335_350 Depth=1
	s_or_b32 exec_lo, exec_lo, s15
	v_and_b32_sdwa v9, v18, v35 dst_sel:DWORD dst_unused:UNUSED_PAD src0_sel:WORD_1 src1_sel:DWORD
	v_mov_b32_e32 v20, 0
	v_mov_b32_e32 v59, 0
	s_mov_b32 s15, exec_lo
	v_cmpx_ne_u16_e32 0, v9
	s_cbranch_execz .LBB335_464
; %bb.457:                              ;   in Loop: Header=BB335_350 Depth=1
	v_bfrev_b32_e32 v59, 1
	s_mov_b32 s16, exec_lo
	v_cmpx_ne_u16_e32 0x80, v9
	s_cbranch_execz .LBB335_463
; %bb.458:                              ;   in Loop: Header=BB335_350 Depth=1
	v_bfe_u32 v60, v18, 16, 7
	v_mov_b32_e32 v59, 0x7f800001
	s_mov_b32 s17, exec_lo
	v_cmpx_ne_u32_e32 0x7f, v60
	s_cbranch_execz .LBB335_462
; %bb.459:                              ;   in Loop: Header=BB335_350 Depth=1
	v_and_b32_sdwa v9, v18, v36 dst_sel:DWORD dst_unused:UNUSED_PAD src0_sel:WORD_1 src1_sel:DWORD
	v_lshrrev_b32_e32 v59, 3, v60
	s_mov_b32 s18, exec_lo
	v_cmpx_gt_u32_e32 8, v60
; %bb.460:                              ;   in Loop: Header=BB335_350 Depth=1
	v_ffbh_u32_e32 v59, v9
	v_min_u32_e32 v59, 32, v59
	v_subrev_nc_u32_e32 v60, 28, v59
	v_sub_nc_u32_e32 v59, 29, v59
	v_lshlrev_b64 v[60:61], v60, v[9:10]
	v_and_b32_e32 v9, 7, v60
; %bb.461:                              ;   in Loop: Header=BB335_350 Depth=1
	s_or_b32 exec_lo, exec_lo, s18
	v_lshlrev_b32_sdwa v60, v37, v18 dst_sel:DWORD dst_unused:UNUSED_PAD src0_sel:DWORD src1_sel:WORD_1
	v_lshlrev_b32_e32 v9, 20, v9
	v_lshl_add_u32 v59, v59, 23, 0x3c000000
	v_and_b32_e32 v60, 0x80000000, v60
	v_or3_b32 v59, v9, v60, v59
.LBB335_462:                            ;   in Loop: Header=BB335_350 Depth=1
	s_or_b32 exec_lo, exec_lo, s17
.LBB335_463:                            ;   in Loop: Header=BB335_350 Depth=1
	s_or_b32 exec_lo, exec_lo, s16
.LBB335_464:                            ;   in Loop: Header=BB335_350 Depth=1
	s_or_b32 exec_lo, exec_lo, s15
	s_mov_b32 s15, exec_lo
	v_cmpx_lt_u64_e64 s[2:3], v[17:18]
	s_cbranch_execz .LBB335_472
; %bb.465:                              ;   in Loop: Header=BB335_350 Depth=1
	v_cmp_ne_u32_sdwa s0, v18, v33 src0_sel:BYTE_3 src1_sel:DWORD
	v_bfrev_b32_e32 v20, 1
	s_and_saveexec_b32 s16, s0
	s_cbranch_execz .LBB335_471
; %bb.466:                              ;   in Loop: Header=BB335_350 Depth=1
	v_bfe_u32 v60, v18, 24, 7
	v_mov_b32_e32 v20, 0x7f800001
	s_mov_b32 s17, exec_lo
	v_cmpx_ne_u32_e32 0x7f, v60
	s_cbranch_execz .LBB335_470
; %bb.467:                              ;   in Loop: Header=BB335_350 Depth=1
	v_and_b32_sdwa v9, v18, v36 dst_sel:DWORD dst_unused:UNUSED_PAD src0_sel:BYTE_3 src1_sel:DWORD
	v_lshrrev_b32_e32 v17, 3, v60
	s_mov_b32 s18, exec_lo
	v_cmpx_gt_u32_e32 8, v60
; %bb.468:                              ;   in Loop: Header=BB335_350 Depth=1
	v_ffbh_u32_e32 v17, v9
	v_min_u32_e32 v17, 32, v17
	v_subrev_nc_u32_e32 v20, 28, v17
	v_sub_nc_u32_e32 v17, 29, v17
	v_lshlrev_b64 v[60:61], v20, v[9:10]
	v_and_b32_e32 v9, 7, v60
; %bb.469:                              ;   in Loop: Header=BB335_350 Depth=1
	s_or_b32 exec_lo, exec_lo, s18
	v_lshlrev_b32_sdwa v18, v37, v18 dst_sel:DWORD dst_unused:UNUSED_PAD src0_sel:DWORD src1_sel:BYTE_3
	v_lshlrev_b32_e32 v9, 20, v9
	v_lshl_add_u32 v17, v17, 23, 0x3c000000
	v_and_b32_e32 v18, 0x80000000, v18
	v_or3_b32 v20, v9, v18, v17
.LBB335_470:                            ;   in Loop: Header=BB335_350 Depth=1
	s_or_b32 exec_lo, exec_lo, s17
.LBB335_471:                            ;   in Loop: Header=BB335_350 Depth=1
	s_or_b32 exec_lo, exec_lo, s16
.LBB335_472:                            ;   in Loop: Header=BB335_350 Depth=1
	s_or_b32 exec_lo, exec_lo, s15
	v_mul_f32_e32 v9, s5, v19
	v_mul_f32_e32 v17, s5, v58
	;; [unrolled: 1-line block ×5, first 2 shown]
	v_bfe_u32 v54, v9, 16, 1
	v_or_b32_e32 v57, 0x400000, v9
	v_bfe_u32 v58, v17, 16, 1
	v_cmp_u_f32_e64 s0, v9, v9
	v_or_b32_e32 v60, 0x400000, v17
	v_add3_u32 v54, v54, v9, 0x7fff
	v_bfe_u32 v61, v18, 16, 1
	v_add3_u32 v58, v58, v17, 0x7fff
	v_or_b32_e32 v62, 0x400000, v18
	v_bfe_u32 v63, v19, 16, 1
	v_cndmask_b32_e64 v9, v54, v57, s0
	v_cmp_u_f32_e64 s0, v17, v17
	v_add3_u32 v61, v61, v18, 0x7fff
	v_lshrrev_b32_e32 v54, 16, v9
	v_cndmask_b32_e64 v17, v58, v60, s0
	v_cmp_u_f32_e64 s0, v18, v18
	v_mul_f32_e32 v9, s5, v55
	v_add3_u32 v58, v63, v19, 0x7fff
	v_or_b32_e32 v60, 0x400000, v19
	v_lshrrev_b32_e32 v55, 16, v17
	v_cndmask_b32_e64 v18, v61, v62, s0
	v_bfe_u32 v17, v9, 16, 1
	v_cmp_u_f32_e64 s0, v19, v19
	v_mul_f32_e32 v19, s5, v56
	v_mul_f32_e32 v56, s5, v59
	v_lshrrev_b32_e32 v57, 16, v18
	v_add3_u32 v17, v17, v9, 0x7fff
	v_cndmask_b32_e64 v18, v58, v60, s0
	v_or_b32_e32 v58, 0x400000, v9
	v_bfe_u32 v59, v19, 16, 1
	v_cmp_u_f32_e64 s0, v9, v9
	v_bfe_u32 v60, v56, 16, 1
	v_or_b32_e32 v61, 0x400000, v56
	v_or_b32_e32 v62, 0x400000, v20
	v_cndmask_b32_e64 v9, v17, v58, s0
	v_add3_u32 v58, v59, v19, 0x7fff
	v_or_b32_e32 v59, 0x400000, v19
	v_cmp_u_f32_e64 s0, v19, v19
	v_bfe_u32 v17, v20, 16, 1
	v_add3_u32 v60, v60, v56, 0x7fff
	v_cndmask_b32_e64 v19, v58, v59, s0
	v_cmp_u_f32_e64 s0, v56, v56
	v_add3_u32 v17, v17, v20, 0x7fff
	v_lshrrev_b32_e32 v59, 16, v18
	v_cndmask_b32_e64 v56, v60, v61, s0
	v_cmp_u_f32_e64 s0, v20, v20
	v_lshrrev_b32_e32 v61, 16, v9
	v_lshrrev_b32_e32 v60, 16, v19
	;; [unrolled: 1-line block ×3, first 2 shown]
	v_cndmask_b32_e64 v17, v17, v62, s0
	v_lshrrev_b32_e32 v58, 16, v17
	s_and_saveexec_b32 s15, vcc_lo
	s_cbranch_execz .LBB335_474
; %bb.473:                              ;   in Loop: Header=BB335_350 Depth=1
	v_cmp_gt_i32_e64 s0, s11, v47
	v_cndmask_b32_e64 v60, 0, v60, s0
	v_cmp_gt_i32_e64 s0, s11, v53
	v_cndmask_b32_e64 v61, 0, v61, s0
	;; [unrolled: 2-line block ×8, first 2 shown]
.LBB335_474:                            ;   in Loop: Header=BB335_350 Depth=1
	s_or_b32 exec_lo, exec_lo, s15
	global_load_dwordx2 v[17:18], v[15:16], off offset:512
	v_mov_b32_e32 v63, 0
	v_mov_b32_e32 v64, 0
	s_waitcnt vmcnt(0)
	v_cmp_ne_u16_sdwa s0, v17, v10 src0_sel:BYTE_0 src1_sel:DWORD
	s_and_saveexec_b32 s15, s0
	s_cbranch_execz .LBB335_480
; %bb.475:                              ;   in Loop: Header=BB335_350 Depth=1
	v_cmp_ne_u16_sdwa s0, v17, v33 src0_sel:BYTE_0 src1_sel:DWORD
	v_bfrev_b32_e32 v64, 1
	s_and_saveexec_b32 s16, s0
	s_cbranch_execz .LBB335_479
; %bb.476:                              ;   in Loop: Header=BB335_350 Depth=1
	v_and_b32_e32 v9, 0x7f, v17
	v_mov_b32_e32 v64, 0x7f800001
	s_mov_b32 s17, exec_lo
	v_cmpx_ne_u32_e32 0x7f, v9
	s_cbranch_execz .LBB335_478
; %bb.477:                              ;   in Loop: Header=BB335_350 Depth=1
	v_and_b32_e32 v19, 7, v17
	v_lshrrev_b32_e32 v20, 3, v9
	v_cmp_gt_u32_e64 s0, 8, v9
	v_ffbh_u32_e32 v19, v19
	v_min_u32_e32 v19, 32, v19
	v_subrev_nc_u32_e32 v62, 28, v19
	v_sub_nc_u32_e32 v19, 29, v19
	v_cndmask_b32_e64 v9, v20, v19, s0
	v_cndmask_b32_e64 v19, 0, v62, s0
	v_lshl_add_u32 v9, v9, 23, 0x3c000000
	v_lshlrev_b64 v[19:20], v19, v[17:18]
	v_lshlrev_b32_e32 v20, 24, v17
	v_lshlrev_b32_e32 v19, 20, v19
	v_and_b32_e32 v20, 0x80000000, v20
	v_and_b32_e32 v19, 0x700000, v19
	v_or3_b32 v64, v19, v20, v9
.LBB335_478:                            ;   in Loop: Header=BB335_350 Depth=1
	s_or_b32 exec_lo, exec_lo, s17
.LBB335_479:                            ;   in Loop: Header=BB335_350 Depth=1
	s_or_b32 exec_lo, exec_lo, s16
.LBB335_480:                            ;   in Loop: Header=BB335_350 Depth=1
	s_or_b32 exec_lo, exec_lo, s15
	v_cmp_ne_u16_sdwa s0, v17, v10 src0_sel:BYTE_1 src1_sel:DWORD
	s_and_saveexec_b32 s15, s0
	s_cbranch_execz .LBB335_488
; %bb.481:                              ;   in Loop: Header=BB335_350 Depth=1
	v_cmp_ne_u16_sdwa s0, v17, v33 src0_sel:BYTE_1 src1_sel:DWORD
	v_bfrev_b32_e32 v63, 1
	s_and_saveexec_b32 s16, s0
	s_cbranch_execz .LBB335_487
; %bb.482:                              ;   in Loop: Header=BB335_350 Depth=1
	v_and_b32_sdwa v9, v34, v17 dst_sel:DWORD dst_unused:UNUSED_PAD src0_sel:DWORD src1_sel:BYTE_1
	v_mov_b32_e32 v63, 0x7f800001
	s_mov_b32 s17, exec_lo
	v_and_b32_e32 v20, 0x7f, v9
	v_cmpx_ne_u32_e32 0x7f, v20
	s_cbranch_execz .LBB335_486
; %bb.483:                              ;   in Loop: Header=BB335_350 Depth=1
	v_and_b32_e32 v9, 7, v9
	v_lshrrev_b32_e32 v19, 3, v20
	s_mov_b32 s18, exec_lo
	v_cmpx_gt_u32_e32 8, v20
; %bb.484:                              ;   in Loop: Header=BB335_350 Depth=1
	v_ffbh_u32_e32 v19, v9
	v_min_u32_e32 v19, 32, v19
	v_subrev_nc_u32_e32 v20, 28, v19
	v_sub_nc_u32_e32 v19, 29, v19
	v_lshlrev_b64 v[62:63], v20, v[9:10]
	v_and_b32_e32 v9, 7, v62
; %bb.485:                              ;   in Loop: Header=BB335_350 Depth=1
	s_or_b32 exec_lo, exec_lo, s18
	v_lshlrev_b32_e32 v20, 16, v17
	v_lshlrev_b32_e32 v9, 20, v9
	v_lshl_add_u32 v19, v19, 23, 0x3c000000
	v_and_b32_e32 v20, 0x80000000, v20
	v_or3_b32 v63, v9, v20, v19
.LBB335_486:                            ;   in Loop: Header=BB335_350 Depth=1
	s_or_b32 exec_lo, exec_lo, s17
.LBB335_487:                            ;   in Loop: Header=BB335_350 Depth=1
	s_or_b32 exec_lo, exec_lo, s16
.LBB335_488:                            ;   in Loop: Header=BB335_350 Depth=1
	s_or_b32 exec_lo, exec_lo, s15
	v_and_b32_sdwa v9, v17, v35 dst_sel:DWORD dst_unused:UNUSED_PAD src0_sel:WORD_1 src1_sel:DWORD
	v_mov_b32_e32 v65, 0
	v_mov_b32_e32 v62, 0
	s_mov_b32 s15, exec_lo
	v_cmpx_ne_u16_e32 0, v9
	s_cbranch_execz .LBB335_496
; %bb.489:                              ;   in Loop: Header=BB335_350 Depth=1
	v_bfrev_b32_e32 v62, 1
	s_mov_b32 s16, exec_lo
	v_cmpx_ne_u16_e32 0x80, v9
	s_cbranch_execz .LBB335_495
; %bb.490:                              ;   in Loop: Header=BB335_350 Depth=1
	v_bfe_u32 v20, v17, 16, 7
	v_mov_b32_e32 v62, 0x7f800001
	s_mov_b32 s17, exec_lo
	v_cmpx_ne_u32_e32 0x7f, v20
	s_cbranch_execz .LBB335_494
; %bb.491:                              ;   in Loop: Header=BB335_350 Depth=1
	v_and_b32_sdwa v9, v17, v36 dst_sel:DWORD dst_unused:UNUSED_PAD src0_sel:WORD_1 src1_sel:DWORD
	v_lshrrev_b32_e32 v19, 3, v20
	s_mov_b32 s18, exec_lo
	v_cmpx_gt_u32_e32 8, v20
; %bb.492:                              ;   in Loop: Header=BB335_350 Depth=1
	v_ffbh_u32_e32 v19, v9
	v_min_u32_e32 v19, 32, v19
	v_subrev_nc_u32_e32 v20, 28, v19
	v_sub_nc_u32_e32 v19, 29, v19
	v_lshlrev_b64 v[66:67], v20, v[9:10]
	v_and_b32_e32 v9, 7, v66
; %bb.493:                              ;   in Loop: Header=BB335_350 Depth=1
	s_or_b32 exec_lo, exec_lo, s18
	v_lshlrev_b32_sdwa v20, v37, v17 dst_sel:DWORD dst_unused:UNUSED_PAD src0_sel:DWORD src1_sel:WORD_1
	v_lshlrev_b32_e32 v9, 20, v9
	v_lshl_add_u32 v19, v19, 23, 0x3c000000
	v_and_b32_e32 v20, 0x80000000, v20
	v_or3_b32 v62, v9, v20, v19
.LBB335_494:                            ;   in Loop: Header=BB335_350 Depth=1
	s_or_b32 exec_lo, exec_lo, s17
.LBB335_495:                            ;   in Loop: Header=BB335_350 Depth=1
	s_or_b32 exec_lo, exec_lo, s16
.LBB335_496:                            ;   in Loop: Header=BB335_350 Depth=1
	s_or_b32 exec_lo, exec_lo, s15
	s_mov_b32 s15, exec_lo
	v_cmpx_lt_u32_e32 0xffffff, v17
	s_cbranch_execz .LBB335_504
; %bb.497:                              ;   in Loop: Header=BB335_350 Depth=1
	v_cmp_ne_u32_sdwa s0, v17, v33 src0_sel:BYTE_3 src1_sel:DWORD
	v_bfrev_b32_e32 v65, 1
	s_and_saveexec_b32 s16, s0
	s_cbranch_execz .LBB335_503
; %bb.498:                              ;   in Loop: Header=BB335_350 Depth=1
	v_bfe_u32 v20, v17, 24, 7
	v_mov_b32_e32 v65, 0x7f800001
	s_mov_b32 s17, exec_lo
	v_cmpx_ne_u32_e32 0x7f, v20
	s_cbranch_execz .LBB335_502
; %bb.499:                              ;   in Loop: Header=BB335_350 Depth=1
	v_and_b32_sdwa v9, v17, v36 dst_sel:DWORD dst_unused:UNUSED_PAD src0_sel:BYTE_3 src1_sel:DWORD
	v_lshrrev_b32_e32 v19, 3, v20
	s_mov_b32 s18, exec_lo
	v_cmpx_gt_u32_e32 8, v20
; %bb.500:                              ;   in Loop: Header=BB335_350 Depth=1
	v_ffbh_u32_e32 v19, v9
	v_min_u32_e32 v19, 32, v19
	v_subrev_nc_u32_e32 v20, 28, v19
	v_sub_nc_u32_e32 v19, 29, v19
	v_lshlrev_b64 v[65:66], v20, v[9:10]
	v_and_b32_e32 v9, 7, v65
; %bb.501:                              ;   in Loop: Header=BB335_350 Depth=1
	s_or_b32 exec_lo, exec_lo, s18
	v_lshlrev_b32_sdwa v20, v37, v17 dst_sel:DWORD dst_unused:UNUSED_PAD src0_sel:DWORD src1_sel:BYTE_3
	v_lshlrev_b32_e32 v9, 20, v9
	v_lshl_add_u32 v19, v19, 23, 0x3c000000
	v_and_b32_e32 v20, 0x80000000, v20
	v_or3_b32 v65, v9, v20, v19
.LBB335_502:                            ;   in Loop: Header=BB335_350 Depth=1
	s_or_b32 exec_lo, exec_lo, s17
.LBB335_503:                            ;   in Loop: Header=BB335_350 Depth=1
	s_or_b32 exec_lo, exec_lo, s16
.LBB335_504:                            ;   in Loop: Header=BB335_350 Depth=1
	s_or_b32 exec_lo, exec_lo, s15
	v_mov_b32_e32 v9, v18
	v_cmp_ne_u16_sdwa s0, v18, v10 src0_sel:BYTE_0 src1_sel:DWORD
	v_mov_b32_e32 v19, 0
	v_mov_b32_e32 v66, 0
	s_and_saveexec_b32 s15, s0
	s_cbranch_execz .LBB335_510
; %bb.505:                              ;   in Loop: Header=BB335_350 Depth=1
	v_cmp_ne_u16_sdwa s0, v18, v33 src0_sel:BYTE_0 src1_sel:DWORD
	v_bfrev_b32_e32 v66, 1
	s_and_saveexec_b32 s16, s0
	s_cbranch_execz .LBB335_509
; %bb.506:                              ;   in Loop: Header=BB335_350 Depth=1
	v_and_b32_e32 v20, 0x7f, v18
	v_mov_b32_e32 v66, 0x7f800001
	s_mov_b32 s17, exec_lo
	v_cmpx_ne_u32_e32 0x7f, v20
	s_cbranch_execz .LBB335_508
; %bb.507:                              ;   in Loop: Header=BB335_350 Depth=1
	v_and_b32_e32 v66, 7, v18
	v_lshrrev_b32_e32 v67, 3, v20
	v_cmp_gt_u32_e64 s0, 8, v20
	v_ffbh_u32_e32 v66, v66
	v_min_u32_e32 v66, 32, v66
	v_subrev_nc_u32_e32 v68, 28, v66
	v_sub_nc_u32_e32 v66, 29, v66
	v_cndmask_b32_e64 v20, v67, v66, s0
	v_cndmask_b32_e64 v66, 0, v68, s0
	v_lshl_add_u32 v20, v20, 23, 0x3c000000
	v_lshlrev_b64 v[66:67], v66, v[9:10]
	v_lshlrev_b32_e32 v67, 24, v9
	v_lshlrev_b32_e32 v66, 20, v66
	v_and_b32_e32 v67, 0x80000000, v67
	v_and_b32_e32 v66, 0x700000, v66
	v_or3_b32 v66, v66, v67, v20
.LBB335_508:                            ;   in Loop: Header=BB335_350 Depth=1
	s_or_b32 exec_lo, exec_lo, s17
.LBB335_509:                            ;   in Loop: Header=BB335_350 Depth=1
	s_or_b32 exec_lo, exec_lo, s16
.LBB335_510:                            ;   in Loop: Header=BB335_350 Depth=1
	s_or_b32 exec_lo, exec_lo, s15
	v_cmp_ne_u16_sdwa s0, v9, v10 src0_sel:BYTE_1 src1_sel:DWORD
	s_and_saveexec_b32 s15, s0
	s_cbranch_execz .LBB335_518
; %bb.511:                              ;   in Loop: Header=BB335_350 Depth=1
	v_cmp_ne_u16_sdwa s0, v9, v33 src0_sel:BYTE_1 src1_sel:DWORD
	v_bfrev_b32_e32 v19, 1
	s_and_saveexec_b32 s16, s0
	s_cbranch_execz .LBB335_517
; %bb.512:                              ;   in Loop: Header=BB335_350 Depth=1
	v_and_b32_sdwa v20, v34, v9 dst_sel:DWORD dst_unused:UNUSED_PAD src0_sel:DWORD src1_sel:BYTE_1
	v_mov_b32_e32 v19, 0x7f800001
	s_mov_b32 s17, exec_lo
	v_and_b32_e32 v68, 0x7f, v20
	v_cmpx_ne_u32_e32 0x7f, v68
	s_cbranch_execz .LBB335_516
; %bb.513:                              ;   in Loop: Header=BB335_350 Depth=1
	v_and_b32_e32 v19, 7, v20
	v_mov_b32_e32 v20, v10
	v_lshrrev_b32_e32 v67, 3, v68
	s_mov_b32 s18, exec_lo
	v_cmpx_gt_u32_e32 8, v68
; %bb.514:                              ;   in Loop: Header=BB335_350 Depth=1
	v_ffbh_u32_e32 v67, v19
	v_min_u32_e32 v67, 32, v67
	v_subrev_nc_u32_e32 v68, 28, v67
	v_sub_nc_u32_e32 v67, 29, v67
	v_lshlrev_b64 v[19:20], v68, v[19:20]
	v_and_b32_e32 v19, 7, v19
; %bb.515:                              ;   in Loop: Header=BB335_350 Depth=1
	s_or_b32 exec_lo, exec_lo, s18
	v_lshlrev_b32_e32 v9, 16, v9
	v_lshlrev_b32_e32 v19, 20, v19
	v_lshl_add_u32 v20, v67, 23, 0x3c000000
	v_and_b32_e32 v9, 0x80000000, v9
	v_or3_b32 v19, v19, v9, v20
.LBB335_516:                            ;   in Loop: Header=BB335_350 Depth=1
	s_or_b32 exec_lo, exec_lo, s17
.LBB335_517:                            ;   in Loop: Header=BB335_350 Depth=1
	s_or_b32 exec_lo, exec_lo, s16
.LBB335_518:                            ;   in Loop: Header=BB335_350 Depth=1
	s_or_b32 exec_lo, exec_lo, s15
	v_and_b32_sdwa v9, v18, v35 dst_sel:DWORD dst_unused:UNUSED_PAD src0_sel:WORD_1 src1_sel:DWORD
	v_mov_b32_e32 v20, 0
	v_mov_b32_e32 v67, 0
	s_mov_b32 s15, exec_lo
	v_cmpx_ne_u16_e32 0, v9
	s_cbranch_execz .LBB335_526
; %bb.519:                              ;   in Loop: Header=BB335_350 Depth=1
	v_bfrev_b32_e32 v67, 1
	s_mov_b32 s16, exec_lo
	v_cmpx_ne_u16_e32 0x80, v9
	s_cbranch_execz .LBB335_525
; %bb.520:                              ;   in Loop: Header=BB335_350 Depth=1
	v_bfe_u32 v68, v18, 16, 7
	v_mov_b32_e32 v67, 0x7f800001
	s_mov_b32 s17, exec_lo
	v_cmpx_ne_u32_e32 0x7f, v68
	s_cbranch_execz .LBB335_524
; %bb.521:                              ;   in Loop: Header=BB335_350 Depth=1
	v_and_b32_sdwa v9, v18, v36 dst_sel:DWORD dst_unused:UNUSED_PAD src0_sel:WORD_1 src1_sel:DWORD
	v_lshrrev_b32_e32 v67, 3, v68
	s_mov_b32 s18, exec_lo
	v_cmpx_gt_u32_e32 8, v68
; %bb.522:                              ;   in Loop: Header=BB335_350 Depth=1
	v_ffbh_u32_e32 v67, v9
	v_min_u32_e32 v67, 32, v67
	v_subrev_nc_u32_e32 v68, 28, v67
	v_sub_nc_u32_e32 v67, 29, v67
	v_lshlrev_b64 v[68:69], v68, v[9:10]
	v_and_b32_e32 v9, 7, v68
; %bb.523:                              ;   in Loop: Header=BB335_350 Depth=1
	s_or_b32 exec_lo, exec_lo, s18
	v_lshlrev_b32_sdwa v68, v37, v18 dst_sel:DWORD dst_unused:UNUSED_PAD src0_sel:DWORD src1_sel:WORD_1
	v_lshlrev_b32_e32 v9, 20, v9
	v_lshl_add_u32 v67, v67, 23, 0x3c000000
	v_and_b32_e32 v68, 0x80000000, v68
	v_or3_b32 v67, v9, v68, v67
.LBB335_524:                            ;   in Loop: Header=BB335_350 Depth=1
	s_or_b32 exec_lo, exec_lo, s17
.LBB335_525:                            ;   in Loop: Header=BB335_350 Depth=1
	s_or_b32 exec_lo, exec_lo, s16
.LBB335_526:                            ;   in Loop: Header=BB335_350 Depth=1
	s_or_b32 exec_lo, exec_lo, s15
	s_mov_b32 s15, exec_lo
	v_cmpx_lt_u64_e64 s[2:3], v[17:18]
	s_cbranch_execz .LBB335_534
; %bb.527:                              ;   in Loop: Header=BB335_350 Depth=1
	v_cmp_ne_u32_sdwa s0, v18, v33 src0_sel:BYTE_3 src1_sel:DWORD
	v_bfrev_b32_e32 v20, 1
	s_and_saveexec_b32 s16, s0
	s_cbranch_execz .LBB335_533
; %bb.528:                              ;   in Loop: Header=BB335_350 Depth=1
	v_bfe_u32 v68, v18, 24, 7
	v_mov_b32_e32 v20, 0x7f800001
	s_mov_b32 s17, exec_lo
	v_cmpx_ne_u32_e32 0x7f, v68
	s_cbranch_execz .LBB335_532
; %bb.529:                              ;   in Loop: Header=BB335_350 Depth=1
	v_and_b32_sdwa v9, v18, v36 dst_sel:DWORD dst_unused:UNUSED_PAD src0_sel:BYTE_3 src1_sel:DWORD
	v_lshrrev_b32_e32 v17, 3, v68
	s_mov_b32 s18, exec_lo
	v_cmpx_gt_u32_e32 8, v68
; %bb.530:                              ;   in Loop: Header=BB335_350 Depth=1
	v_ffbh_u32_e32 v17, v9
	v_min_u32_e32 v17, 32, v17
	v_subrev_nc_u32_e32 v20, 28, v17
	v_sub_nc_u32_e32 v17, 29, v17
	v_lshlrev_b64 v[68:69], v20, v[9:10]
	v_and_b32_e32 v9, 7, v68
; %bb.531:                              ;   in Loop: Header=BB335_350 Depth=1
	s_or_b32 exec_lo, exec_lo, s18
	v_lshlrev_b32_sdwa v18, v37, v18 dst_sel:DWORD dst_unused:UNUSED_PAD src0_sel:DWORD src1_sel:BYTE_3
	v_lshlrev_b32_e32 v9, 20, v9
	v_lshl_add_u32 v17, v17, 23, 0x3c000000
	v_and_b32_e32 v18, 0x80000000, v18
	v_or3_b32 v20, v9, v18, v17
.LBB335_532:                            ;   in Loop: Header=BB335_350 Depth=1
	s_or_b32 exec_lo, exec_lo, s17
.LBB335_533:                            ;   in Loop: Header=BB335_350 Depth=1
	s_or_b32 exec_lo, exec_lo, s16
.LBB335_534:                            ;   in Loop: Header=BB335_350 Depth=1
	s_or_b32 exec_lo, exec_lo, s15
	v_mul_f32_e32 v9, s5, v19
	v_mul_f32_e32 v17, s5, v66
	;; [unrolled: 1-line block ×5, first 2 shown]
	v_bfe_u32 v62, v9, 16, 1
	v_or_b32_e32 v65, 0x400000, v9
	v_bfe_u32 v66, v17, 16, 1
	v_cmp_u_f32_e64 s0, v9, v9
	v_or_b32_e32 v68, 0x400000, v17
	v_add3_u32 v62, v62, v9, 0x7fff
	v_bfe_u32 v69, v18, 16, 1
	v_add3_u32 v66, v66, v17, 0x7fff
	v_or_b32_e32 v70, 0x400000, v18
	v_bfe_u32 v71, v19, 16, 1
	v_cndmask_b32_e64 v9, v62, v65, s0
	v_cmp_u_f32_e64 s0, v17, v17
	v_add3_u32 v69, v69, v18, 0x7fff
	v_lshrrev_b32_e32 v62, 16, v9
	v_cndmask_b32_e64 v17, v66, v68, s0
	v_cmp_u_f32_e64 s0, v18, v18
	v_mul_f32_e32 v9, s5, v63
	v_add3_u32 v66, v71, v19, 0x7fff
	v_or_b32_e32 v68, 0x400000, v19
	v_lshrrev_b32_e32 v63, 16, v17
	v_cndmask_b32_e64 v18, v69, v70, s0
	v_bfe_u32 v17, v9, 16, 1
	v_cmp_u_f32_e64 s0, v19, v19
	v_mul_f32_e32 v19, s5, v64
	v_mul_f32_e32 v64, s5, v67
	v_lshrrev_b32_e32 v65, 16, v18
	v_add3_u32 v17, v17, v9, 0x7fff
	v_cndmask_b32_e64 v18, v66, v68, s0
	v_or_b32_e32 v66, 0x400000, v9
	v_bfe_u32 v67, v19, 16, 1
	v_cmp_u_f32_e64 s0, v9, v9
	v_bfe_u32 v68, v64, 16, 1
	v_or_b32_e32 v69, 0x400000, v64
	v_or_b32_e32 v70, 0x400000, v20
	v_cndmask_b32_e64 v9, v17, v66, s0
	v_add3_u32 v66, v67, v19, 0x7fff
	v_or_b32_e32 v67, 0x400000, v19
	v_cmp_u_f32_e64 s0, v19, v19
	v_bfe_u32 v17, v20, 16, 1
	v_add3_u32 v68, v68, v64, 0x7fff
	v_cndmask_b32_e64 v19, v66, v67, s0
	v_cmp_u_f32_e64 s0, v64, v64
	v_add3_u32 v17, v17, v20, 0x7fff
	v_lshrrev_b32_e32 v67, 16, v18
	v_cndmask_b32_e64 v64, v68, v69, s0
	v_cmp_u_f32_e64 s0, v20, v20
	v_lshrrev_b32_e32 v69, 16, v9
	v_lshrrev_b32_e32 v68, 16, v19
	;; [unrolled: 1-line block ×3, first 2 shown]
	v_cndmask_b32_e64 v17, v17, v70, s0
	v_lshrrev_b32_e32 v66, 16, v17
	s_and_saveexec_b32 s15, vcc_lo
	s_cbranch_execz .LBB335_536
; %bb.535:                              ;   in Loop: Header=BB335_350 Depth=1
	v_cmp_gt_i32_e64 s0, s11, v47
	v_cndmask_b32_e64 v68, 0, v68, s0
	v_cmp_gt_i32_e64 s0, s11, v53
	v_cndmask_b32_e64 v69, 0, v69, s0
	;; [unrolled: 2-line block ×8, first 2 shown]
.LBB335_536:                            ;   in Loop: Header=BB335_350 Depth=1
	s_or_b32 exec_lo, exec_lo, s15
	global_load_dwordx2 v[17:18], v[15:16], off offset:768
	v_mov_b32_e32 v71, 0
	v_mov_b32_e32 v70, 0
	s_waitcnt vmcnt(0)
	v_cmp_ne_u16_sdwa s0, v17, v10 src0_sel:BYTE_0 src1_sel:DWORD
	s_and_saveexec_b32 s15, s0
	s_cbranch_execz .LBB335_542
; %bb.537:                              ;   in Loop: Header=BB335_350 Depth=1
	v_cmp_ne_u16_sdwa s0, v17, v33 src0_sel:BYTE_0 src1_sel:DWORD
	v_bfrev_b32_e32 v70, 1
	s_and_saveexec_b32 s16, s0
	s_cbranch_execz .LBB335_541
; %bb.538:                              ;   in Loop: Header=BB335_350 Depth=1
	v_and_b32_e32 v9, 0x7f, v17
	v_mov_b32_e32 v70, 0x7f800001
	s_mov_b32 s17, exec_lo
	v_cmpx_ne_u32_e32 0x7f, v9
	s_cbranch_execz .LBB335_540
; %bb.539:                              ;   in Loop: Header=BB335_350 Depth=1
	v_and_b32_e32 v19, 7, v17
	v_lshrrev_b32_e32 v20, 3, v9
	v_cmp_gt_u32_e64 s0, 8, v9
	v_ffbh_u32_e32 v19, v19
	v_min_u32_e32 v19, 32, v19
	v_subrev_nc_u32_e32 v70, 28, v19
	v_sub_nc_u32_e32 v19, 29, v19
	v_cndmask_b32_e64 v9, v20, v19, s0
	v_cndmask_b32_e64 v19, 0, v70, s0
	v_lshl_add_u32 v9, v9, 23, 0x3c000000
	v_lshlrev_b64 v[19:20], v19, v[17:18]
	v_lshlrev_b32_e32 v20, 24, v17
	v_lshlrev_b32_e32 v19, 20, v19
	v_and_b32_e32 v20, 0x80000000, v20
	v_and_b32_e32 v19, 0x700000, v19
	v_or3_b32 v70, v19, v20, v9
.LBB335_540:                            ;   in Loop: Header=BB335_350 Depth=1
	s_or_b32 exec_lo, exec_lo, s17
.LBB335_541:                            ;   in Loop: Header=BB335_350 Depth=1
	s_or_b32 exec_lo, exec_lo, s16
.LBB335_542:                            ;   in Loop: Header=BB335_350 Depth=1
	s_or_b32 exec_lo, exec_lo, s15
	v_cmp_ne_u16_sdwa s0, v17, v10 src0_sel:BYTE_1 src1_sel:DWORD
	s_and_saveexec_b32 s15, s0
	s_cbranch_execz .LBB335_550
; %bb.543:                              ;   in Loop: Header=BB335_350 Depth=1
	v_cmp_ne_u16_sdwa s0, v17, v33 src0_sel:BYTE_1 src1_sel:DWORD
	v_bfrev_b32_e32 v71, 1
	s_and_saveexec_b32 s16, s0
	s_cbranch_execz .LBB335_549
; %bb.544:                              ;   in Loop: Header=BB335_350 Depth=1
	v_and_b32_sdwa v9, v34, v17 dst_sel:DWORD dst_unused:UNUSED_PAD src0_sel:DWORD src1_sel:BYTE_1
	v_mov_b32_e32 v71, 0x7f800001
	s_mov_b32 s17, exec_lo
	v_and_b32_e32 v20, 0x7f, v9
	v_cmpx_ne_u32_e32 0x7f, v20
	s_cbranch_execz .LBB335_548
; %bb.545:                              ;   in Loop: Header=BB335_350 Depth=1
	v_and_b32_e32 v9, 7, v9
	v_lshrrev_b32_e32 v19, 3, v20
	s_mov_b32 s18, exec_lo
	v_cmpx_gt_u32_e32 8, v20
; %bb.546:                              ;   in Loop: Header=BB335_350 Depth=1
	v_ffbh_u32_e32 v19, v9
	v_min_u32_e32 v19, 32, v19
	v_subrev_nc_u32_e32 v20, 28, v19
	v_sub_nc_u32_e32 v19, 29, v19
	v_lshlrev_b64 v[71:72], v20, v[9:10]
	v_and_b32_e32 v9, 7, v71
; %bb.547:                              ;   in Loop: Header=BB335_350 Depth=1
	s_or_b32 exec_lo, exec_lo, s18
	v_lshlrev_b32_e32 v20, 16, v17
	v_lshlrev_b32_e32 v9, 20, v9
	v_lshl_add_u32 v19, v19, 23, 0x3c000000
	v_and_b32_e32 v20, 0x80000000, v20
	v_or3_b32 v71, v9, v20, v19
.LBB335_548:                            ;   in Loop: Header=BB335_350 Depth=1
	s_or_b32 exec_lo, exec_lo, s17
.LBB335_549:                            ;   in Loop: Header=BB335_350 Depth=1
	s_or_b32 exec_lo, exec_lo, s16
.LBB335_550:                            ;   in Loop: Header=BB335_350 Depth=1
	s_or_b32 exec_lo, exec_lo, s15
	v_and_b32_sdwa v9, v17, v35 dst_sel:DWORD dst_unused:UNUSED_PAD src0_sel:WORD_1 src1_sel:DWORD
	v_mov_b32_e32 v73, 0
	v_mov_b32_e32 v72, 0
	s_mov_b32 s15, exec_lo
	v_cmpx_ne_u16_e32 0, v9
	s_cbranch_execz .LBB335_558
; %bb.551:                              ;   in Loop: Header=BB335_350 Depth=1
	v_bfrev_b32_e32 v72, 1
	s_mov_b32 s16, exec_lo
	v_cmpx_ne_u16_e32 0x80, v9
	s_cbranch_execz .LBB335_557
; %bb.552:                              ;   in Loop: Header=BB335_350 Depth=1
	v_bfe_u32 v20, v17, 16, 7
	v_mov_b32_e32 v72, 0x7f800001
	s_mov_b32 s17, exec_lo
	v_cmpx_ne_u32_e32 0x7f, v20
	s_cbranch_execz .LBB335_556
; %bb.553:                              ;   in Loop: Header=BB335_350 Depth=1
	v_and_b32_sdwa v9, v17, v36 dst_sel:DWORD dst_unused:UNUSED_PAD src0_sel:WORD_1 src1_sel:DWORD
	v_lshrrev_b32_e32 v19, 3, v20
	s_mov_b32 s18, exec_lo
	v_cmpx_gt_u32_e32 8, v20
; %bb.554:                              ;   in Loop: Header=BB335_350 Depth=1
	v_ffbh_u32_e32 v19, v9
	v_min_u32_e32 v19, 32, v19
	v_subrev_nc_u32_e32 v20, 28, v19
	v_sub_nc_u32_e32 v19, 29, v19
	v_lshlrev_b64 v[74:75], v20, v[9:10]
	v_and_b32_e32 v9, 7, v74
; %bb.555:                              ;   in Loop: Header=BB335_350 Depth=1
	s_or_b32 exec_lo, exec_lo, s18
	v_lshlrev_b32_sdwa v20, v37, v17 dst_sel:DWORD dst_unused:UNUSED_PAD src0_sel:DWORD src1_sel:WORD_1
	v_lshlrev_b32_e32 v9, 20, v9
	v_lshl_add_u32 v19, v19, 23, 0x3c000000
	v_and_b32_e32 v20, 0x80000000, v20
	v_or3_b32 v72, v9, v20, v19
.LBB335_556:                            ;   in Loop: Header=BB335_350 Depth=1
	s_or_b32 exec_lo, exec_lo, s17
.LBB335_557:                            ;   in Loop: Header=BB335_350 Depth=1
	s_or_b32 exec_lo, exec_lo, s16
.LBB335_558:                            ;   in Loop: Header=BB335_350 Depth=1
	s_or_b32 exec_lo, exec_lo, s15
	s_mov_b32 s15, exec_lo
	v_cmpx_lt_u32_e32 0xffffff, v17
	s_cbranch_execz .LBB335_566
; %bb.559:                              ;   in Loop: Header=BB335_350 Depth=1
	v_cmp_ne_u32_sdwa s0, v17, v33 src0_sel:BYTE_3 src1_sel:DWORD
	v_bfrev_b32_e32 v73, 1
	s_and_saveexec_b32 s16, s0
	s_cbranch_execz .LBB335_565
; %bb.560:                              ;   in Loop: Header=BB335_350 Depth=1
	v_bfe_u32 v20, v17, 24, 7
	v_mov_b32_e32 v73, 0x7f800001
	s_mov_b32 s17, exec_lo
	v_cmpx_ne_u32_e32 0x7f, v20
	s_cbranch_execz .LBB335_564
; %bb.561:                              ;   in Loop: Header=BB335_350 Depth=1
	v_and_b32_sdwa v9, v17, v36 dst_sel:DWORD dst_unused:UNUSED_PAD src0_sel:BYTE_3 src1_sel:DWORD
	v_lshrrev_b32_e32 v19, 3, v20
	s_mov_b32 s18, exec_lo
	v_cmpx_gt_u32_e32 8, v20
; %bb.562:                              ;   in Loop: Header=BB335_350 Depth=1
	v_ffbh_u32_e32 v19, v9
	v_min_u32_e32 v19, 32, v19
	v_subrev_nc_u32_e32 v20, 28, v19
	v_sub_nc_u32_e32 v19, 29, v19
	v_lshlrev_b64 v[73:74], v20, v[9:10]
	v_and_b32_e32 v9, 7, v73
; %bb.563:                              ;   in Loop: Header=BB335_350 Depth=1
	s_or_b32 exec_lo, exec_lo, s18
	v_lshlrev_b32_sdwa v20, v37, v17 dst_sel:DWORD dst_unused:UNUSED_PAD src0_sel:DWORD src1_sel:BYTE_3
	v_lshlrev_b32_e32 v9, 20, v9
	v_lshl_add_u32 v19, v19, 23, 0x3c000000
	v_and_b32_e32 v20, 0x80000000, v20
	v_or3_b32 v73, v9, v20, v19
.LBB335_564:                            ;   in Loop: Header=BB335_350 Depth=1
	s_or_b32 exec_lo, exec_lo, s17
.LBB335_565:                            ;   in Loop: Header=BB335_350 Depth=1
	s_or_b32 exec_lo, exec_lo, s16
.LBB335_566:                            ;   in Loop: Header=BB335_350 Depth=1
	s_or_b32 exec_lo, exec_lo, s15
	v_mov_b32_e32 v9, v18
	v_cmp_ne_u16_sdwa s0, v18, v10 src0_sel:BYTE_0 src1_sel:DWORD
	v_mov_b32_e32 v19, 0
	v_mov_b32_e32 v74, 0
	s_and_saveexec_b32 s15, s0
	s_cbranch_execz .LBB335_572
; %bb.567:                              ;   in Loop: Header=BB335_350 Depth=1
	v_cmp_ne_u16_sdwa s0, v18, v33 src0_sel:BYTE_0 src1_sel:DWORD
	v_bfrev_b32_e32 v74, 1
	s_and_saveexec_b32 s16, s0
	s_cbranch_execz .LBB335_571
; %bb.568:                              ;   in Loop: Header=BB335_350 Depth=1
	v_and_b32_e32 v20, 0x7f, v18
	v_mov_b32_e32 v74, 0x7f800001
	s_mov_b32 s17, exec_lo
	v_cmpx_ne_u32_e32 0x7f, v20
	s_cbranch_execz .LBB335_570
; %bb.569:                              ;   in Loop: Header=BB335_350 Depth=1
	v_and_b32_e32 v74, 7, v18
	v_lshrrev_b32_e32 v75, 3, v20
	v_cmp_gt_u32_e64 s0, 8, v20
	v_ffbh_u32_e32 v74, v74
	v_min_u32_e32 v74, 32, v74
	v_subrev_nc_u32_e32 v76, 28, v74
	v_sub_nc_u32_e32 v74, 29, v74
	v_cndmask_b32_e64 v20, v75, v74, s0
	v_cndmask_b32_e64 v74, 0, v76, s0
	v_lshl_add_u32 v20, v20, 23, 0x3c000000
	v_lshlrev_b64 v[74:75], v74, v[9:10]
	v_lshlrev_b32_e32 v75, 24, v9
	v_lshlrev_b32_e32 v74, 20, v74
	v_and_b32_e32 v75, 0x80000000, v75
	v_and_b32_e32 v74, 0x700000, v74
	v_or3_b32 v74, v74, v75, v20
.LBB335_570:                            ;   in Loop: Header=BB335_350 Depth=1
	s_or_b32 exec_lo, exec_lo, s17
.LBB335_571:                            ;   in Loop: Header=BB335_350 Depth=1
	s_or_b32 exec_lo, exec_lo, s16
.LBB335_572:                            ;   in Loop: Header=BB335_350 Depth=1
	s_or_b32 exec_lo, exec_lo, s15
	v_cmp_ne_u16_sdwa s0, v9, v10 src0_sel:BYTE_1 src1_sel:DWORD
	s_and_saveexec_b32 s15, s0
	s_cbranch_execz .LBB335_580
; %bb.573:                              ;   in Loop: Header=BB335_350 Depth=1
	v_cmp_ne_u16_sdwa s0, v9, v33 src0_sel:BYTE_1 src1_sel:DWORD
	v_bfrev_b32_e32 v19, 1
	s_and_saveexec_b32 s16, s0
	s_cbranch_execz .LBB335_579
; %bb.574:                              ;   in Loop: Header=BB335_350 Depth=1
	v_and_b32_sdwa v20, v34, v9 dst_sel:DWORD dst_unused:UNUSED_PAD src0_sel:DWORD src1_sel:BYTE_1
	v_mov_b32_e32 v19, 0x7f800001
	s_mov_b32 s17, exec_lo
	v_and_b32_e32 v76, 0x7f, v20
	v_cmpx_ne_u32_e32 0x7f, v76
	s_cbranch_execz .LBB335_578
; %bb.575:                              ;   in Loop: Header=BB335_350 Depth=1
	v_and_b32_e32 v19, 7, v20
	v_mov_b32_e32 v20, v10
	v_lshrrev_b32_e32 v75, 3, v76
	s_mov_b32 s18, exec_lo
	v_cmpx_gt_u32_e32 8, v76
; %bb.576:                              ;   in Loop: Header=BB335_350 Depth=1
	v_ffbh_u32_e32 v75, v19
	v_min_u32_e32 v75, 32, v75
	v_subrev_nc_u32_e32 v76, 28, v75
	v_sub_nc_u32_e32 v75, 29, v75
	v_lshlrev_b64 v[19:20], v76, v[19:20]
	v_and_b32_e32 v19, 7, v19
; %bb.577:                              ;   in Loop: Header=BB335_350 Depth=1
	s_or_b32 exec_lo, exec_lo, s18
	v_lshlrev_b32_e32 v9, 16, v9
	v_lshlrev_b32_e32 v19, 20, v19
	v_lshl_add_u32 v20, v75, 23, 0x3c000000
	v_and_b32_e32 v9, 0x80000000, v9
	v_or3_b32 v19, v19, v9, v20
.LBB335_578:                            ;   in Loop: Header=BB335_350 Depth=1
	s_or_b32 exec_lo, exec_lo, s17
.LBB335_579:                            ;   in Loop: Header=BB335_350 Depth=1
	s_or_b32 exec_lo, exec_lo, s16
.LBB335_580:                            ;   in Loop: Header=BB335_350 Depth=1
	s_or_b32 exec_lo, exec_lo, s15
	v_and_b32_sdwa v9, v18, v35 dst_sel:DWORD dst_unused:UNUSED_PAD src0_sel:WORD_1 src1_sel:DWORD
	v_mov_b32_e32 v75, 0
	v_mov_b32_e32 v76, 0
	s_mov_b32 s15, exec_lo
	v_cmpx_ne_u16_e32 0, v9
	s_cbranch_execz .LBB335_588
; %bb.581:                              ;   in Loop: Header=BB335_350 Depth=1
	v_bfrev_b32_e32 v76, 1
	s_mov_b32 s16, exec_lo
	v_cmpx_ne_u16_e32 0x80, v9
	s_cbranch_execz .LBB335_587
; %bb.582:                              ;   in Loop: Header=BB335_350 Depth=1
	v_bfe_u32 v77, v18, 16, 7
	v_mov_b32_e32 v76, 0x7f800001
	s_mov_b32 s17, exec_lo
	v_cmpx_ne_u32_e32 0x7f, v77
	s_cbranch_execz .LBB335_586
; %bb.583:                              ;   in Loop: Header=BB335_350 Depth=1
	v_and_b32_sdwa v9, v18, v36 dst_sel:DWORD dst_unused:UNUSED_PAD src0_sel:WORD_1 src1_sel:DWORD
	v_lshrrev_b32_e32 v20, 3, v77
	s_mov_b32 s18, exec_lo
	v_cmpx_gt_u32_e32 8, v77
; %bb.584:                              ;   in Loop: Header=BB335_350 Depth=1
	v_ffbh_u32_e32 v20, v9
	v_min_u32_e32 v20, 32, v20
	v_subrev_nc_u32_e32 v76, 28, v20
	v_sub_nc_u32_e32 v20, 29, v20
	v_lshlrev_b64 v[76:77], v76, v[9:10]
	v_and_b32_e32 v9, 7, v76
; %bb.585:                              ;   in Loop: Header=BB335_350 Depth=1
	s_or_b32 exec_lo, exec_lo, s18
	v_lshlrev_b32_sdwa v76, v37, v18 dst_sel:DWORD dst_unused:UNUSED_PAD src0_sel:DWORD src1_sel:WORD_1
	v_lshlrev_b32_e32 v9, 20, v9
	v_lshl_add_u32 v20, v20, 23, 0x3c000000
	v_and_b32_e32 v76, 0x80000000, v76
	v_or3_b32 v76, v9, v76, v20
.LBB335_586:                            ;   in Loop: Header=BB335_350 Depth=1
	s_or_b32 exec_lo, exec_lo, s17
.LBB335_587:                            ;   in Loop: Header=BB335_350 Depth=1
	s_or_b32 exec_lo, exec_lo, s16
.LBB335_588:                            ;   in Loop: Header=BB335_350 Depth=1
	s_or_b32 exec_lo, exec_lo, s15
	s_mov_b32 s15, exec_lo
	v_cmpx_lt_u64_e64 s[2:3], v[17:18]
	s_cbranch_execz .LBB335_596
; %bb.589:                              ;   in Loop: Header=BB335_350 Depth=1
	v_cmp_ne_u32_sdwa s0, v18, v33 src0_sel:BYTE_3 src1_sel:DWORD
	v_bfrev_b32_e32 v75, 1
	s_and_saveexec_b32 s16, s0
	s_cbranch_execz .LBB335_595
; %bb.590:                              ;   in Loop: Header=BB335_350 Depth=1
	v_bfe_u32 v20, v18, 24, 7
	v_mov_b32_e32 v75, 0x7f800001
	s_mov_b32 s17, exec_lo
	v_cmpx_ne_u32_e32 0x7f, v20
	s_cbranch_execz .LBB335_594
; %bb.591:                              ;   in Loop: Header=BB335_350 Depth=1
	v_and_b32_sdwa v9, v18, v36 dst_sel:DWORD dst_unused:UNUSED_PAD src0_sel:BYTE_3 src1_sel:DWORD
	v_lshrrev_b32_e32 v17, 3, v20
	s_mov_b32 s18, exec_lo
	v_cmpx_gt_u32_e32 8, v20
; %bb.592:                              ;   in Loop: Header=BB335_350 Depth=1
	v_ffbh_u32_e32 v17, v9
	v_min_u32_e32 v17, 32, v17
	v_subrev_nc_u32_e32 v20, 28, v17
	v_sub_nc_u32_e32 v17, 29, v17
	v_lshlrev_b64 v[77:78], v20, v[9:10]
	v_and_b32_e32 v9, 7, v77
; %bb.593:                              ;   in Loop: Header=BB335_350 Depth=1
	s_or_b32 exec_lo, exec_lo, s18
	v_lshlrev_b32_sdwa v18, v37, v18 dst_sel:DWORD dst_unused:UNUSED_PAD src0_sel:DWORD src1_sel:BYTE_3
	v_lshlrev_b32_e32 v9, 20, v9
	v_lshl_add_u32 v17, v17, 23, 0x3c000000
	v_and_b32_e32 v18, 0x80000000, v18
	v_or3_b32 v75, v9, v18, v17
.LBB335_594:                            ;   in Loop: Header=BB335_350 Depth=1
	s_or_b32 exec_lo, exec_lo, s17
.LBB335_595:                            ;   in Loop: Header=BB335_350 Depth=1
	s_or_b32 exec_lo, exec_lo, s16
.LBB335_596:                            ;   in Loop: Header=BB335_350 Depth=1
	s_or_b32 exec_lo, exec_lo, s15
	v_mul_f32_e32 v9, s5, v19
	v_mul_f32_e32 v17, s5, v74
	;; [unrolled: 1-line block ×5, first 2 shown]
	v_bfe_u32 v19, v9, 16, 1
	v_or_b32_e32 v20, 0x400000, v9
	v_bfe_u32 v72, v17, 16, 1
	v_cmp_u_f32_e64 s0, v9, v9
	v_or_b32_e32 v74, 0x400000, v17
	v_add3_u32 v19, v19, v9, 0x7fff
	v_bfe_u32 v77, v18, 16, 1
	v_add3_u32 v72, v72, v17, 0x7fff
	v_or_b32_e32 v78, 0x400000, v18
	v_bfe_u32 v79, v73, 16, 1
	v_cndmask_b32_e64 v9, v19, v20, s0
	v_cmp_u_f32_e64 s0, v17, v17
	v_add3_u32 v77, v77, v18, 0x7fff
	v_lshrrev_b32_e32 v19, 16, v9
	v_cndmask_b32_e64 v17, v72, v74, s0
	v_cmp_u_f32_e64 s0, v18, v18
	v_mul_f32_e32 v9, s5, v71
	v_add3_u32 v71, v79, v73, 0x7fff
	v_or_b32_e32 v74, 0x400000, v73
	v_lshrrev_b32_e32 v20, 16, v17
	v_cndmask_b32_e64 v18, v77, v78, s0
	v_bfe_u32 v17, v9, 16, 1
	v_cmp_u_f32_e64 s0, v73, v73
	v_or_b32_e32 v73, 0x400000, v9
	v_lshrrev_b32_e32 v72, 16, v18
	v_add3_u32 v17, v17, v9, 0x7fff
	v_cndmask_b32_e64 v18, v71, v74, s0
	v_mul_f32_e32 v71, s5, v76
	v_mul_f32_e32 v74, s5, v75
	v_bfe_u32 v75, v70, 16, 1
	v_cmp_u_f32_e64 s0, v9, v9
	v_bfe_u32 v76, v71, 16, 1
	v_or_b32_e32 v77, 0x400000, v71
	v_or_b32_e32 v78, 0x400000, v74
	v_cndmask_b32_e64 v9, v17, v73, s0
	v_add3_u32 v73, v75, v70, 0x7fff
	v_or_b32_e32 v75, 0x400000, v70
	v_cmp_u_f32_e64 s0, v70, v70
	v_bfe_u32 v17, v74, 16, 1
	v_add3_u32 v76, v76, v71, 0x7fff
	v_cndmask_b32_e64 v70, v73, v75, s0
	v_cmp_u_f32_e64 s0, v71, v71
	v_add3_u32 v17, v17, v74, 0x7fff
	v_lshrrev_b32_e32 v73, 16, v18
	v_lshrrev_b32_e32 v75, 16, v9
	v_cndmask_b32_e64 v71, v76, v77, s0
	v_cmp_u_f32_e64 s0, v74, v74
	v_lshrrev_b32_e32 v74, 16, v70
	v_lshrrev_b32_e32 v70, 16, v71
	v_cndmask_b32_e64 v17, v17, v78, s0
	v_lshrrev_b32_e32 v71, 16, v17
	s_and_saveexec_b32 s15, vcc_lo
	s_cbranch_execz .LBB335_598
; %bb.597:                              ;   in Loop: Header=BB335_350 Depth=1
	v_cmp_gt_i32_e64 s0, s11, v47
	v_cndmask_b32_e64 v74, 0, v74, s0
	v_cmp_gt_i32_e64 s0, s11, v53
	v_cndmask_b32_e64 v75, 0, v75, s0
	;; [unrolled: 2-line block ×8, first 2 shown]
.LBB335_598:                            ;   in Loop: Header=BB335_350 Depth=1
	s_or_b32 exec_lo, exec_lo, s15
	global_load_dwordx2 v[15:16], v[15:16], off offset:1024
	v_mov_b32_e32 v77, 0
	v_mov_b32_e32 v76, 0
	s_waitcnt vmcnt(0)
	v_cmp_ne_u16_sdwa s0, v15, v10 src0_sel:BYTE_0 src1_sel:DWORD
	s_and_saveexec_b32 s15, s0
	s_cbranch_execz .LBB335_604
; %bb.599:                              ;   in Loop: Header=BB335_350 Depth=1
	v_cmp_ne_u16_sdwa s0, v15, v33 src0_sel:BYTE_0 src1_sel:DWORD
	v_bfrev_b32_e32 v76, 1
	s_and_saveexec_b32 s16, s0
	s_cbranch_execz .LBB335_603
; %bb.600:                              ;   in Loop: Header=BB335_350 Depth=1
	v_and_b32_e32 v9, 0x7f, v15
	v_mov_b32_e32 v76, 0x7f800001
	s_mov_b32 s17, exec_lo
	v_cmpx_ne_u32_e32 0x7f, v9
	s_cbranch_execz .LBB335_602
; %bb.601:                              ;   in Loop: Header=BB335_350 Depth=1
	v_and_b32_e32 v17, 7, v15
	v_lshrrev_b32_e32 v18, 3, v9
	v_cmp_gt_u32_e64 s0, 8, v9
	v_ffbh_u32_e32 v17, v17
	v_min_u32_e32 v17, 32, v17
	v_subrev_nc_u32_e32 v76, 28, v17
	v_sub_nc_u32_e32 v17, 29, v17
	v_cndmask_b32_e64 v9, v18, v17, s0
	v_cndmask_b32_e64 v17, 0, v76, s0
	v_lshl_add_u32 v9, v9, 23, 0x3c000000
	v_lshlrev_b64 v[17:18], v17, v[15:16]
	v_lshlrev_b32_e32 v18, 24, v15
	v_lshlrev_b32_e32 v17, 20, v17
	v_and_b32_e32 v18, 0x80000000, v18
	v_and_b32_e32 v17, 0x700000, v17
	v_or3_b32 v76, v17, v18, v9
.LBB335_602:                            ;   in Loop: Header=BB335_350 Depth=1
	s_or_b32 exec_lo, exec_lo, s17
.LBB335_603:                            ;   in Loop: Header=BB335_350 Depth=1
	s_or_b32 exec_lo, exec_lo, s16
.LBB335_604:                            ;   in Loop: Header=BB335_350 Depth=1
	s_or_b32 exec_lo, exec_lo, s15
	v_cmp_ne_u16_sdwa s0, v15, v10 src0_sel:BYTE_1 src1_sel:DWORD
	s_and_saveexec_b32 s15, s0
	s_cbranch_execz .LBB335_612
; %bb.605:                              ;   in Loop: Header=BB335_350 Depth=1
	v_cmp_ne_u16_sdwa s0, v15, v33 src0_sel:BYTE_1 src1_sel:DWORD
	v_bfrev_b32_e32 v77, 1
	s_and_saveexec_b32 s16, s0
	s_cbranch_execz .LBB335_611
; %bb.606:                              ;   in Loop: Header=BB335_350 Depth=1
	v_and_b32_sdwa v9, v34, v15 dst_sel:DWORD dst_unused:UNUSED_PAD src0_sel:DWORD src1_sel:BYTE_1
	v_mov_b32_e32 v77, 0x7f800001
	s_mov_b32 s17, exec_lo
	v_and_b32_e32 v18, 0x7f, v9
	v_cmpx_ne_u32_e32 0x7f, v18
	s_cbranch_execz .LBB335_610
; %bb.607:                              ;   in Loop: Header=BB335_350 Depth=1
	v_and_b32_e32 v9, 7, v9
	v_lshrrev_b32_e32 v17, 3, v18
	s_mov_b32 s18, exec_lo
	v_cmpx_gt_u32_e32 8, v18
; %bb.608:                              ;   in Loop: Header=BB335_350 Depth=1
	v_ffbh_u32_e32 v17, v9
	v_min_u32_e32 v17, 32, v17
	v_subrev_nc_u32_e32 v18, 28, v17
	v_sub_nc_u32_e32 v17, 29, v17
	v_lshlrev_b64 v[77:78], v18, v[9:10]
	v_and_b32_e32 v9, 7, v77
; %bb.609:                              ;   in Loop: Header=BB335_350 Depth=1
	s_or_b32 exec_lo, exec_lo, s18
	v_lshlrev_b32_e32 v18, 16, v15
	v_lshlrev_b32_e32 v9, 20, v9
	v_lshl_add_u32 v17, v17, 23, 0x3c000000
	v_and_b32_e32 v18, 0x80000000, v18
	v_or3_b32 v77, v9, v18, v17
.LBB335_610:                            ;   in Loop: Header=BB335_350 Depth=1
	s_or_b32 exec_lo, exec_lo, s17
.LBB335_611:                            ;   in Loop: Header=BB335_350 Depth=1
	s_or_b32 exec_lo, exec_lo, s16
.LBB335_612:                            ;   in Loop: Header=BB335_350 Depth=1
	s_or_b32 exec_lo, exec_lo, s15
	v_and_b32_sdwa v9, v15, v35 dst_sel:DWORD dst_unused:UNUSED_PAD src0_sel:WORD_1 src1_sel:DWORD
	v_mov_b32_e32 v79, 0
	v_mov_b32_e32 v78, 0
	s_mov_b32 s15, exec_lo
	v_cmpx_ne_u16_e32 0, v9
	s_cbranch_execz .LBB335_620
; %bb.613:                              ;   in Loop: Header=BB335_350 Depth=1
	v_bfrev_b32_e32 v78, 1
	s_mov_b32 s16, exec_lo
	v_cmpx_ne_u16_e32 0x80, v9
	s_cbranch_execz .LBB335_619
; %bb.614:                              ;   in Loop: Header=BB335_350 Depth=1
	v_bfe_u32 v18, v15, 16, 7
	v_mov_b32_e32 v78, 0x7f800001
	s_mov_b32 s17, exec_lo
	v_cmpx_ne_u32_e32 0x7f, v18
	s_cbranch_execz .LBB335_618
; %bb.615:                              ;   in Loop: Header=BB335_350 Depth=1
	v_and_b32_sdwa v9, v15, v36 dst_sel:DWORD dst_unused:UNUSED_PAD src0_sel:WORD_1 src1_sel:DWORD
	v_lshrrev_b32_e32 v17, 3, v18
	s_mov_b32 s18, exec_lo
	v_cmpx_gt_u32_e32 8, v18
; %bb.616:                              ;   in Loop: Header=BB335_350 Depth=1
	v_ffbh_u32_e32 v17, v9
	v_min_u32_e32 v17, 32, v17
	v_subrev_nc_u32_e32 v18, 28, v17
	v_sub_nc_u32_e32 v17, 29, v17
	v_lshlrev_b64 v[80:81], v18, v[9:10]
	v_and_b32_e32 v9, 7, v80
; %bb.617:                              ;   in Loop: Header=BB335_350 Depth=1
	s_or_b32 exec_lo, exec_lo, s18
	v_lshlrev_b32_sdwa v18, v37, v15 dst_sel:DWORD dst_unused:UNUSED_PAD src0_sel:DWORD src1_sel:WORD_1
	v_lshlrev_b32_e32 v9, 20, v9
	v_lshl_add_u32 v17, v17, 23, 0x3c000000
	v_and_b32_e32 v18, 0x80000000, v18
	v_or3_b32 v78, v9, v18, v17
.LBB335_618:                            ;   in Loop: Header=BB335_350 Depth=1
	s_or_b32 exec_lo, exec_lo, s17
.LBB335_619:                            ;   in Loop: Header=BB335_350 Depth=1
	s_or_b32 exec_lo, exec_lo, s16
.LBB335_620:                            ;   in Loop: Header=BB335_350 Depth=1
	s_or_b32 exec_lo, exec_lo, s15
	s_mov_b32 s15, exec_lo
	v_cmpx_lt_u32_e32 0xffffff, v15
	s_cbranch_execz .LBB335_628
; %bb.621:                              ;   in Loop: Header=BB335_350 Depth=1
	v_cmp_ne_u32_sdwa s0, v15, v33 src0_sel:BYTE_3 src1_sel:DWORD
	v_bfrev_b32_e32 v79, 1
	s_and_saveexec_b32 s16, s0
	s_cbranch_execz .LBB335_627
; %bb.622:                              ;   in Loop: Header=BB335_350 Depth=1
	v_bfe_u32 v18, v15, 24, 7
	v_mov_b32_e32 v79, 0x7f800001
	s_mov_b32 s17, exec_lo
	v_cmpx_ne_u32_e32 0x7f, v18
	s_cbranch_execz .LBB335_626
; %bb.623:                              ;   in Loop: Header=BB335_350 Depth=1
	v_and_b32_sdwa v9, v15, v36 dst_sel:DWORD dst_unused:UNUSED_PAD src0_sel:BYTE_3 src1_sel:DWORD
	v_lshrrev_b32_e32 v17, 3, v18
	s_mov_b32 s18, exec_lo
	v_cmpx_gt_u32_e32 8, v18
; %bb.624:                              ;   in Loop: Header=BB335_350 Depth=1
	v_ffbh_u32_e32 v17, v9
	v_min_u32_e32 v17, 32, v17
	v_subrev_nc_u32_e32 v18, 28, v17
	v_sub_nc_u32_e32 v17, 29, v17
	v_lshlrev_b64 v[79:80], v18, v[9:10]
	v_and_b32_e32 v9, 7, v79
; %bb.625:                              ;   in Loop: Header=BB335_350 Depth=1
	s_or_b32 exec_lo, exec_lo, s18
	v_lshlrev_b32_sdwa v18, v37, v15 dst_sel:DWORD dst_unused:UNUSED_PAD src0_sel:DWORD src1_sel:BYTE_3
	v_lshlrev_b32_e32 v9, 20, v9
	v_lshl_add_u32 v17, v17, 23, 0x3c000000
	v_and_b32_e32 v18, 0x80000000, v18
	v_or3_b32 v79, v9, v18, v17
.LBB335_626:                            ;   in Loop: Header=BB335_350 Depth=1
	s_or_b32 exec_lo, exec_lo, s17
.LBB335_627:                            ;   in Loop: Header=BB335_350 Depth=1
	s_or_b32 exec_lo, exec_lo, s16
.LBB335_628:                            ;   in Loop: Header=BB335_350 Depth=1
	s_or_b32 exec_lo, exec_lo, s15
	v_mov_b32_e32 v9, v16
	v_cmp_ne_u16_sdwa s0, v16, v10 src0_sel:BYTE_0 src1_sel:DWORD
	v_mov_b32_e32 v17, 0
	v_mov_b32_e32 v80, 0
	s_and_saveexec_b32 s15, s0
	s_cbranch_execz .LBB335_634
; %bb.629:                              ;   in Loop: Header=BB335_350 Depth=1
	v_cmp_ne_u16_sdwa s0, v16, v33 src0_sel:BYTE_0 src1_sel:DWORD
	v_bfrev_b32_e32 v80, 1
	s_and_saveexec_b32 s16, s0
	s_cbranch_execz .LBB335_633
; %bb.630:                              ;   in Loop: Header=BB335_350 Depth=1
	v_and_b32_e32 v18, 0x7f, v16
	v_mov_b32_e32 v80, 0x7f800001
	s_mov_b32 s17, exec_lo
	v_cmpx_ne_u32_e32 0x7f, v18
	s_cbranch_execz .LBB335_632
; %bb.631:                              ;   in Loop: Header=BB335_350 Depth=1
	v_and_b32_e32 v80, 7, v16
	v_lshrrev_b32_e32 v81, 3, v18
	v_cmp_gt_u32_e64 s0, 8, v18
	v_ffbh_u32_e32 v80, v80
	v_min_u32_e32 v80, 32, v80
	v_subrev_nc_u32_e32 v82, 28, v80
	v_sub_nc_u32_e32 v80, 29, v80
	v_cndmask_b32_e64 v18, v81, v80, s0
	v_cndmask_b32_e64 v80, 0, v82, s0
	v_lshl_add_u32 v18, v18, 23, 0x3c000000
	v_lshlrev_b64 v[80:81], v80, v[9:10]
	v_lshlrev_b32_e32 v81, 24, v9
	v_lshlrev_b32_e32 v80, 20, v80
	v_and_b32_e32 v81, 0x80000000, v81
	v_and_b32_e32 v80, 0x700000, v80
	v_or3_b32 v80, v80, v81, v18
.LBB335_632:                            ;   in Loop: Header=BB335_350 Depth=1
	s_or_b32 exec_lo, exec_lo, s17
.LBB335_633:                            ;   in Loop: Header=BB335_350 Depth=1
	s_or_b32 exec_lo, exec_lo, s16
.LBB335_634:                            ;   in Loop: Header=BB335_350 Depth=1
	s_or_b32 exec_lo, exec_lo, s15
	v_cmp_ne_u16_sdwa s0, v9, v10 src0_sel:BYTE_1 src1_sel:DWORD
	s_and_saveexec_b32 s15, s0
	s_cbranch_execz .LBB335_642
; %bb.635:                              ;   in Loop: Header=BB335_350 Depth=1
	v_cmp_ne_u16_sdwa s0, v9, v33 src0_sel:BYTE_1 src1_sel:DWORD
	v_bfrev_b32_e32 v17, 1
	s_and_saveexec_b32 s16, s0
	s_cbranch_execz .LBB335_641
; %bb.636:                              ;   in Loop: Header=BB335_350 Depth=1
	v_and_b32_sdwa v18, v34, v9 dst_sel:DWORD dst_unused:UNUSED_PAD src0_sel:DWORD src1_sel:BYTE_1
	v_mov_b32_e32 v17, 0x7f800001
	s_mov_b32 s17, exec_lo
	v_and_b32_e32 v82, 0x7f, v18
	v_cmpx_ne_u32_e32 0x7f, v82
	s_cbranch_execz .LBB335_640
; %bb.637:                              ;   in Loop: Header=BB335_350 Depth=1
	v_and_b32_e32 v17, 7, v18
	v_mov_b32_e32 v18, v10
	v_lshrrev_b32_e32 v81, 3, v82
	s_mov_b32 s18, exec_lo
	v_cmpx_gt_u32_e32 8, v82
; %bb.638:                              ;   in Loop: Header=BB335_350 Depth=1
	v_ffbh_u32_e32 v81, v17
	v_min_u32_e32 v81, 32, v81
	v_subrev_nc_u32_e32 v82, 28, v81
	v_sub_nc_u32_e32 v81, 29, v81
	v_lshlrev_b64 v[17:18], v82, v[17:18]
	v_and_b32_e32 v17, 7, v17
; %bb.639:                              ;   in Loop: Header=BB335_350 Depth=1
	s_or_b32 exec_lo, exec_lo, s18
	v_lshlrev_b32_e32 v9, 16, v9
	v_lshlrev_b32_e32 v17, 20, v17
	v_lshl_add_u32 v18, v81, 23, 0x3c000000
	v_and_b32_e32 v9, 0x80000000, v9
	v_or3_b32 v17, v17, v9, v18
.LBB335_640:                            ;   in Loop: Header=BB335_350 Depth=1
	s_or_b32 exec_lo, exec_lo, s17
.LBB335_641:                            ;   in Loop: Header=BB335_350 Depth=1
	s_or_b32 exec_lo, exec_lo, s16
.LBB335_642:                            ;   in Loop: Header=BB335_350 Depth=1
	s_or_b32 exec_lo, exec_lo, s15
	v_and_b32_sdwa v9, v16, v35 dst_sel:DWORD dst_unused:UNUSED_PAD src0_sel:WORD_1 src1_sel:DWORD
	v_mov_b32_e32 v18, 0
	v_mov_b32_e32 v81, 0
	s_mov_b32 s15, exec_lo
	v_cmpx_ne_u16_e32 0, v9
	s_cbranch_execz .LBB335_650
; %bb.643:                              ;   in Loop: Header=BB335_350 Depth=1
	v_bfrev_b32_e32 v81, 1
	s_mov_b32 s16, exec_lo
	v_cmpx_ne_u16_e32 0x80, v9
	s_cbranch_execz .LBB335_649
; %bb.644:                              ;   in Loop: Header=BB335_350 Depth=1
	v_bfe_u32 v82, v16, 16, 7
	v_mov_b32_e32 v81, 0x7f800001
	s_mov_b32 s17, exec_lo
	v_cmpx_ne_u32_e32 0x7f, v82
	s_cbranch_execz .LBB335_648
; %bb.645:                              ;   in Loop: Header=BB335_350 Depth=1
	v_and_b32_sdwa v9, v16, v36 dst_sel:DWORD dst_unused:UNUSED_PAD src0_sel:WORD_1 src1_sel:DWORD
	v_lshrrev_b32_e32 v81, 3, v82
	s_mov_b32 s18, exec_lo
	v_cmpx_gt_u32_e32 8, v82
; %bb.646:                              ;   in Loop: Header=BB335_350 Depth=1
	v_ffbh_u32_e32 v81, v9
	v_min_u32_e32 v81, 32, v81
	v_subrev_nc_u32_e32 v82, 28, v81
	v_sub_nc_u32_e32 v81, 29, v81
	v_lshlrev_b64 v[82:83], v82, v[9:10]
	v_and_b32_e32 v9, 7, v82
; %bb.647:                              ;   in Loop: Header=BB335_350 Depth=1
	s_or_b32 exec_lo, exec_lo, s18
	v_lshlrev_b32_sdwa v82, v37, v16 dst_sel:DWORD dst_unused:UNUSED_PAD src0_sel:DWORD src1_sel:WORD_1
	v_lshlrev_b32_e32 v9, 20, v9
	v_lshl_add_u32 v81, v81, 23, 0x3c000000
	v_and_b32_e32 v82, 0x80000000, v82
	v_or3_b32 v81, v9, v82, v81
.LBB335_648:                            ;   in Loop: Header=BB335_350 Depth=1
	s_or_b32 exec_lo, exec_lo, s17
.LBB335_649:                            ;   in Loop: Header=BB335_350 Depth=1
	s_or_b32 exec_lo, exec_lo, s16
.LBB335_650:                            ;   in Loop: Header=BB335_350 Depth=1
	s_or_b32 exec_lo, exec_lo, s15
	s_mov_b32 s15, exec_lo
	v_cmpx_lt_u64_e64 s[2:3], v[15:16]
	s_cbranch_execz .LBB335_658
; %bb.651:                              ;   in Loop: Header=BB335_350 Depth=1
	v_cmp_ne_u32_sdwa s0, v16, v33 src0_sel:BYTE_3 src1_sel:DWORD
	v_bfrev_b32_e32 v18, 1
	s_and_saveexec_b32 s16, s0
	s_cbranch_execz .LBB335_657
; %bb.652:                              ;   in Loop: Header=BB335_350 Depth=1
	v_bfe_u32 v82, v16, 24, 7
	v_mov_b32_e32 v18, 0x7f800001
	s_mov_b32 s17, exec_lo
	v_cmpx_ne_u32_e32 0x7f, v82
	s_cbranch_execz .LBB335_656
; %bb.653:                              ;   in Loop: Header=BB335_350 Depth=1
	v_and_b32_sdwa v9, v16, v36 dst_sel:DWORD dst_unused:UNUSED_PAD src0_sel:BYTE_3 src1_sel:DWORD
	v_lshrrev_b32_e32 v15, 3, v82
	s_mov_b32 s18, exec_lo
	v_cmpx_gt_u32_e32 8, v82
; %bb.654:                              ;   in Loop: Header=BB335_350 Depth=1
	v_ffbh_u32_e32 v15, v9
	v_min_u32_e32 v15, 32, v15
	v_subrev_nc_u32_e32 v18, 28, v15
	v_sub_nc_u32_e32 v15, 29, v15
	v_lshlrev_b64 v[82:83], v18, v[9:10]
	v_and_b32_e32 v9, 7, v82
; %bb.655:                              ;   in Loop: Header=BB335_350 Depth=1
	s_or_b32 exec_lo, exec_lo, s18
	v_lshlrev_b32_sdwa v16, v37, v16 dst_sel:DWORD dst_unused:UNUSED_PAD src0_sel:DWORD src1_sel:BYTE_3
	v_lshlrev_b32_e32 v9, 20, v9
	v_lshl_add_u32 v15, v15, 23, 0x3c000000
	v_and_b32_e32 v16, 0x80000000, v16
	v_or3_b32 v18, v9, v16, v15
.LBB335_656:                            ;   in Loop: Header=BB335_350 Depth=1
	s_or_b32 exec_lo, exec_lo, s17
.LBB335_657:                            ;   in Loop: Header=BB335_350 Depth=1
	s_or_b32 exec_lo, exec_lo, s16
.LBB335_658:                            ;   in Loop: Header=BB335_350 Depth=1
	s_or_b32 exec_lo, exec_lo, s15
	v_mul_f32_e32 v9, s5, v17
	v_mul_f32_e32 v15, s5, v80
	;; [unrolled: 1-line block ×5, first 2 shown]
	v_bfe_u32 v78, v9, 16, 1
	v_or_b32_e32 v79, 0x400000, v9
	v_bfe_u32 v80, v15, 16, 1
	v_cmp_u_f32_e64 s0, v9, v9
	v_or_b32_e32 v82, 0x400000, v15
	v_add3_u32 v78, v78, v9, 0x7fff
	v_bfe_u32 v83, v16, 16, 1
	v_add3_u32 v80, v80, v15, 0x7fff
	v_or_b32_e32 v84, 0x400000, v16
	v_bfe_u32 v85, v17, 16, 1
	v_cndmask_b32_e64 v9, v78, v79, s0
	v_cmp_u_f32_e64 s0, v15, v15
	v_add3_u32 v83, v83, v16, 0x7fff
	v_or_b32_e32 v79, 0x400000, v17
	v_add3_u32 v78, v85, v17, 0x7fff
	v_mul_f32_e32 v76, s5, v76
	v_cndmask_b32_e64 v15, v80, v82, s0
	v_cmp_u_f32_e64 s0, v16, v16
	v_bfe_u32 v80, v77, 16, 1
	v_mul_f32_e32 v18, s5, v18
	v_lshrrev_b32_e32 v9, 16, v9
	v_lshrrev_b32_e32 v15, 16, v15
	v_cndmask_b32_e64 v16, v83, v84, s0
	v_cmp_u_f32_e64 s0, v17, v17
	v_or_b32_e32 v84, 0x400000, v18
	v_lshrrev_b32_e32 v16, 16, v16
	v_cndmask_b32_e64 v17, v78, v79, s0
	v_mul_f32_e32 v78, s5, v81
	v_add3_u32 v79, v80, v77, 0x7fff
	v_or_b32_e32 v80, 0x400000, v77
	v_bfe_u32 v81, v76, 16, 1
	v_cmp_u_f32_e64 s0, v77, v77
	v_bfe_u32 v82, v78, 16, 1
	v_or_b32_e32 v83, 0x400000, v78
	v_cndmask_b32_e64 v77, v79, v80, s0
	v_add3_u32 v80, v81, v76, 0x7fff
	v_or_b32_e32 v81, 0x400000, v76
	v_cmp_u_f32_e64 s0, v76, v76
	v_bfe_u32 v79, v18, 16, 1
	v_add3_u32 v82, v82, v78, 0x7fff
	v_lshrrev_b32_e32 v76, 16, v17
	v_lshrrev_b32_e32 v77, 16, v77
	v_cndmask_b32_e64 v80, v80, v81, s0
	v_cmp_u_f32_e64 s0, v78, v78
	v_add3_u32 v79, v79, v18, 0x7fff
	v_lshrrev_b32_e32 v78, 16, v80
	v_cndmask_b32_e64 v81, v82, v83, s0
	v_cmp_u_f32_e64 s0, v18, v18
	v_lshrrev_b32_e32 v18, 16, v81
	v_cndmask_b32_e64 v79, v79, v84, s0
	v_lshrrev_b32_e32 v17, 16, v79
	s_and_saveexec_b32 s0, vcc_lo
	s_cbranch_execz .LBB335_349
; %bb.659:                              ;   in Loop: Header=BB335_350 Depth=1
	v_cmp_gt_i32_e32 vcc_lo, s11, v47
	v_cndmask_b32_e32 v78, 0, v78, vcc_lo
	v_cmp_gt_i32_e32 vcc_lo, s11, v53
	v_cndmask_b32_e32 v77, 0, v77, vcc_lo
	;; [unrolled: 2-line block ×8, first 2 shown]
	s_branch .LBB335_349
.LBB335_660:
	s_or_b32 exec_lo, exec_lo, s14
.LBB335_661:
	s_or_b32 exec_lo, exec_lo, s1
	ds_bpermute_b32 v1, v25, v29
	ds_bpermute_b32 v2, v25, v30
	;; [unrolled: 1-line block ×5, first 2 shown]
	v_lshrrev_b32_e32 v6, 1, v24
	v_mul_u32_u24_e32 v8, 0x140, v23
	v_and_b32_e32 v11, 0x3c1, v0
	s_mov_b32 s0, exec_lo
	s_waitcnt lgkmcnt(0)
	v_lshl_add_u32 v7, v6, 2, 0xc0
	s_barrier
	buffer_gl0_inv
	v_add_f32_e32 v5, v29, v1
	v_add_f32_e32 v4, v30, v2
	;; [unrolled: 1-line block ×5, first 2 shown]
	v_cmpx_eq_u32_e32 64, v11
	s_cbranch_execz .LBB335_663
; %bb.662:
	v_add_nc_u32_e32 v9, v7, v8
	v_add_nc_u32_e32 v10, 0xfffffd80, v9
	;; [unrolled: 1-line block ×6, first 2 shown]
	ds_write_b32 v10, v5
	ds_write_b32 v11, v4
	;; [unrolled: 1-line block ×5, first 2 shown]
.LBB335_663:
	s_or_b32 exec_lo, exec_lo, s0
	v_lshlrev_b32_e32 v6, 2, v6
	s_mov_b32 s1, exec_lo
	v_cmp_eq_u32_e32 vcc_lo, 0, v22
	s_waitcnt lgkmcnt(0)
	s_barrier
	v_add3_u32 v6, 0xc0, v8, v6
	buffer_gl0_inv
	v_cmpx_gt_u32_e32 64, v0
	s_cbranch_execz .LBB335_671
; %bb.664:
	s_and_saveexec_b32 s0, vcc_lo
	s_cbranch_execnz .LBB335_684
; %bb.665:
	s_or_b32 exec_lo, exec_lo, s0
	s_and_saveexec_b32 s0, vcc_lo
	s_cbranch_execnz .LBB335_685
.LBB335_666:
	s_or_b32 exec_lo, exec_lo, s0
	s_and_saveexec_b32 s0, vcc_lo
	s_cbranch_execnz .LBB335_686
.LBB335_667:
	s_or_b32 exec_lo, exec_lo, s0
	s_and_saveexec_b32 s0, vcc_lo
	s_cbranch_execnz .LBB335_687
.LBB335_668:
	s_or_b32 exec_lo, exec_lo, s0
	s_and_saveexec_b32 s0, vcc_lo
	s_cbranch_execz .LBB335_670
.LBB335_669:
	ds_read_b32 v8, v6 offset:256
	s_waitcnt lgkmcnt(0)
	v_add_f32_e32 v1, v1, v8
.LBB335_670:
	s_or_b32 exec_lo, exec_lo, s0
.LBB335_671:
	s_or_b32 exec_lo, exec_lo, s1
	v_and_b32_e32 v8, 0x3e1, v0
	s_mov_b32 s1, exec_lo
	s_barrier
	buffer_gl0_inv
	v_cmpx_eq_u32_e32 32, v8
	s_cbranch_execz .LBB335_673
; %bb.672:
	ds_write2_b32 v7, v5, v4 offset1:16
	ds_write2_b32 v7, v3, v2 offset0:32 offset1:48
	ds_write_b32 v7, v1 offset:256
.LBB335_673:
	s_or_b32 exec_lo, exec_lo, s1
	s_mov_b32 s1, exec_lo
	s_waitcnt lgkmcnt(0)
	s_barrier
	buffer_gl0_inv
	v_cmpx_gt_u32_e32 32, v0
	s_cbranch_execz .LBB335_681
; %bb.674:
	s_and_saveexec_b32 s0, vcc_lo
	s_cbranch_execnz .LBB335_688
; %bb.675:
	s_or_b32 exec_lo, exec_lo, s0
	s_and_saveexec_b32 s0, vcc_lo
	s_cbranch_execnz .LBB335_689
.LBB335_676:
	s_or_b32 exec_lo, exec_lo, s0
	s_and_saveexec_b32 s0, vcc_lo
	s_cbranch_execnz .LBB335_690
.LBB335_677:
	s_or_b32 exec_lo, exec_lo, s0
	s_and_saveexec_b32 s0, vcc_lo
	s_cbranch_execnz .LBB335_691
.LBB335_678:
	s_or_b32 exec_lo, exec_lo, s0
	s_and_saveexec_b32 s0, vcc_lo
	s_cbranch_execz .LBB335_680
.LBB335_679:
	ds_read_b32 v0, v6 offset:256
	s_waitcnt lgkmcnt(0)
	v_add_f32_e32 v1, v1, v0
.LBB335_680:
	s_or_b32 exec_lo, exec_lo, s0
.LBB335_681:
	s_or_b32 exec_lo, exec_lo, s1
	s_barrier
	buffer_gl0_inv
	s_mov_b32 s0, exec_lo
	v_cmpx_eq_u32_e32 0, v8
	s_cbranch_execz .LBB335_683
; %bb.682:
	v_bfe_u32 v6, v5, 16, 1
	v_or_b32_e32 v7, 0x400000, v5
	v_bfe_u32 v8, v4, 16, 1
	v_cmp_u_f32_e32 vcc_lo, v5, v5
	s_mul_i32 s0, s10, s7
	v_add3_u32 v6, v6, v5, 0x7fff
	s_mul_i32 s0, s0, s9
	v_add3_u32 v8, v8, v4, 0x7fff
	v_or_b32_e32 v9, 0x400000, v4
	s_mulk_i32 s0, 0x50
	v_cndmask_b32_e32 v5, v6, v7, vcc_lo
	v_bfe_u32 v6, v3, 16, 1
	v_cmp_u_f32_e32 vcc_lo, v4, v4
	s_ashr_i32 s1, s0, 31
	v_bfe_u32 v7, v2, 16, 1
	s_lshl_b64 s[0:1], s[0:1], 1
	v_add3_u32 v6, v6, v3, 0x7fff
	v_cndmask_b32_e32 v4, v8, v9, vcc_lo
	v_or_b32_e32 v9, 0x400000, v3
	v_cmp_u_f32_e32 vcc_lo, v3, v3
	s_mul_i32 s2, s7, s6
	s_add_u32 s5, s20, s0
	s_addc_u32 s6, s21, s1
	s_ashr_i32 s3, s2, 31
	v_bfe_u32 v8, v1, 16, 1
	v_add3_u32 v7, v7, v2, 0x7fff
	v_or_b32_e32 v10, 0x400000, v2
	v_cndmask_b32_e32 v3, v6, v9, vcc_lo
	v_cmp_u_f32_e32 vcc_lo, v2, v2
	s_lshl_b64 s[0:1], s[2:3], 1
	s_mul_i32 s4, s8, 0x50
	s_add_u32 s2, s5, s0
	s_addc_u32 s3, s6, s1
	s_ashr_i32 s5, s4, 31
	v_add3_u32 v8, v8, v1, 0x7fff
	v_or_b32_e32 v11, 0x400000, v1
	v_cndmask_b32_e32 v2, v7, v10, vcc_lo
	v_cmp_u_f32_e32 vcc_lo, v1, v1
	v_lshlrev_b32_e32 v0, 1, v21
	s_lshl_b64 s[0:1], s[4:5], 1
	s_add_u32 s0, s2, s0
	s_addc_u32 s1, s3, s1
	v_cndmask_b32_e32 v1, v8, v11, vcc_lo
	global_store_short_d16_hi v0, v5, s[0:1]
	global_store_short_d16_hi v0, v4, s[0:1] offset:32
	global_store_short_d16_hi v0, v3, s[0:1] offset:64
	global_store_short_d16_hi v0, v2, s[0:1] offset:96
	global_store_short_d16_hi v0, v1, s[0:1] offset:128
.LBB335_683:
	s_endpgm
.LBB335_684:
	ds_read_b32 v8, v6
	s_waitcnt lgkmcnt(0)
	v_add_f32_e32 v5, v5, v8
	s_or_b32 exec_lo, exec_lo, s0
	s_and_saveexec_b32 s0, vcc_lo
	s_cbranch_execz .LBB335_666
.LBB335_685:
	ds_read_b32 v8, v6 offset:64
	s_waitcnt lgkmcnt(0)
	v_add_f32_e32 v4, v4, v8
	s_or_b32 exec_lo, exec_lo, s0
	s_and_saveexec_b32 s0, vcc_lo
	s_cbranch_execz .LBB335_667
.LBB335_686:
	ds_read_b32 v8, v6 offset:128
	s_waitcnt lgkmcnt(0)
	v_add_f32_e32 v3, v3, v8
	s_or_b32 exec_lo, exec_lo, s0
	s_and_saveexec_b32 s0, vcc_lo
	s_cbranch_execz .LBB335_668
.LBB335_687:
	ds_read_b32 v8, v6 offset:192
	s_waitcnt lgkmcnt(0)
	v_add_f32_e32 v2, v2, v8
	s_or_b32 exec_lo, exec_lo, s0
	s_and_saveexec_b32 s0, vcc_lo
	s_cbranch_execnz .LBB335_669
	s_branch .LBB335_670
.LBB335_688:
	ds_read_b32 v0, v6
	s_waitcnt lgkmcnt(0)
	v_add_f32_e32 v5, v5, v0
	s_or_b32 exec_lo, exec_lo, s0
	s_and_saveexec_b32 s0, vcc_lo
	s_cbranch_execz .LBB335_676
.LBB335_689:
	ds_read_b32 v0, v6 offset:64
	s_waitcnt lgkmcnt(0)
	v_add_f32_e32 v4, v4, v0
	s_or_b32 exec_lo, exec_lo, s0
	s_and_saveexec_b32 s0, vcc_lo
	s_cbranch_execz .LBB335_677
.LBB335_690:
	ds_read_b32 v0, v6 offset:128
	s_waitcnt lgkmcnt(0)
	v_add_f32_e32 v3, v3, v0
	s_or_b32 exec_lo, exec_lo, s0
	s_and_saveexec_b32 s0, vcc_lo
	s_cbranch_execz .LBB335_678
.LBB335_691:
	ds_read_b32 v0, v6 offset:192
	s_waitcnt lgkmcnt(0)
	v_add_f32_e32 v2, v2, v0
	s_or_b32 exec_lo, exec_lo, s0
	s_and_saveexec_b32 s0, vcc_lo
	s_cbranch_execnz .LBB335_679
	s_branch .LBB335_680
	.section	.rodata,"a",@progbits
	.p2align	6, 0x0
	.amdhsa_kernel _ZN4vllm25paged_attention_v1_kernelI14__hip_bfloat16hLi80ELi16ELi128ELNS_18Fp8KVCacheDataTypeE1ELb0EEEvPT_PKS3_PKT0_S9_ifPKiSB_iPKfiiiSD_SD_iiiii
		.amdhsa_group_segment_fixed_size 192
		.amdhsa_private_segment_fixed_size 0
		.amdhsa_kernarg_size 384
		.amdhsa_user_sgpr_count 6
		.amdhsa_user_sgpr_private_segment_buffer 1
		.amdhsa_user_sgpr_dispatch_ptr 0
		.amdhsa_user_sgpr_queue_ptr 0
		.amdhsa_user_sgpr_kernarg_segment_ptr 1
		.amdhsa_user_sgpr_dispatch_id 0
		.amdhsa_user_sgpr_flat_scratch_init 0
		.amdhsa_user_sgpr_private_segment_size 0
		.amdhsa_wavefront_size32 1
		.amdhsa_uses_dynamic_stack 0
		.amdhsa_system_sgpr_private_segment_wavefront_offset 0
		.amdhsa_system_sgpr_workgroup_id_x 1
		.amdhsa_system_sgpr_workgroup_id_y 1
		.amdhsa_system_sgpr_workgroup_id_z 1
		.amdhsa_system_sgpr_workgroup_info 0
		.amdhsa_system_vgpr_workitem_id 0
		.amdhsa_next_free_vgpr 109
		.amdhsa_next_free_sgpr 34
		.amdhsa_reserve_vcc 1
		.amdhsa_reserve_flat_scratch 0
		.amdhsa_float_round_mode_32 0
		.amdhsa_float_round_mode_16_64 0
		.amdhsa_float_denorm_mode_32 3
		.amdhsa_float_denorm_mode_16_64 3
		.amdhsa_dx10_clamp 1
		.amdhsa_ieee_mode 1
		.amdhsa_fp16_overflow 0
		.amdhsa_workgroup_processor_mode 1
		.amdhsa_memory_ordered 1
		.amdhsa_forward_progress 1
		.amdhsa_shared_vgpr_count 0
		.amdhsa_exception_fp_ieee_invalid_op 0
		.amdhsa_exception_fp_denorm_src 0
		.amdhsa_exception_fp_ieee_div_zero 0
		.amdhsa_exception_fp_ieee_overflow 0
		.amdhsa_exception_fp_ieee_underflow 0
		.amdhsa_exception_fp_ieee_inexact 0
		.amdhsa_exception_int_div_zero 0
	.end_amdhsa_kernel
	.section	.text._ZN4vllm25paged_attention_v1_kernelI14__hip_bfloat16hLi80ELi16ELi128ELNS_18Fp8KVCacheDataTypeE1ELb0EEEvPT_PKS3_PKT0_S9_ifPKiSB_iPKfiiiSD_SD_iiiii,"axG",@progbits,_ZN4vllm25paged_attention_v1_kernelI14__hip_bfloat16hLi80ELi16ELi128ELNS_18Fp8KVCacheDataTypeE1ELb0EEEvPT_PKS3_PKT0_S9_ifPKiSB_iPKfiiiSD_SD_iiiii,comdat
.Lfunc_end335:
	.size	_ZN4vllm25paged_attention_v1_kernelI14__hip_bfloat16hLi80ELi16ELi128ELNS_18Fp8KVCacheDataTypeE1ELb0EEEvPT_PKS3_PKT0_S9_ifPKiSB_iPKfiiiSD_SD_iiiii, .Lfunc_end335-_ZN4vllm25paged_attention_v1_kernelI14__hip_bfloat16hLi80ELi16ELi128ELNS_18Fp8KVCacheDataTypeE1ELb0EEEvPT_PKS3_PKT0_S9_ifPKiSB_iPKfiiiSD_SD_iiiii
                                        ; -- End function
	.set _ZN4vllm25paged_attention_v1_kernelI14__hip_bfloat16hLi80ELi16ELi128ELNS_18Fp8KVCacheDataTypeE1ELb0EEEvPT_PKS3_PKT0_S9_ifPKiSB_iPKfiiiSD_SD_iiiii.num_vgpr, 109
	.set _ZN4vllm25paged_attention_v1_kernelI14__hip_bfloat16hLi80ELi16ELi128ELNS_18Fp8KVCacheDataTypeE1ELb0EEEvPT_PKS3_PKT0_S9_ifPKiSB_iPKfiiiSD_SD_iiiii.num_agpr, 0
	.set _ZN4vllm25paged_attention_v1_kernelI14__hip_bfloat16hLi80ELi16ELi128ELNS_18Fp8KVCacheDataTypeE1ELb0EEEvPT_PKS3_PKT0_S9_ifPKiSB_iPKfiiiSD_SD_iiiii.numbered_sgpr, 34
	.set _ZN4vllm25paged_attention_v1_kernelI14__hip_bfloat16hLi80ELi16ELi128ELNS_18Fp8KVCacheDataTypeE1ELb0EEEvPT_PKS3_PKT0_S9_ifPKiSB_iPKfiiiSD_SD_iiiii.num_named_barrier, 0
	.set _ZN4vllm25paged_attention_v1_kernelI14__hip_bfloat16hLi80ELi16ELi128ELNS_18Fp8KVCacheDataTypeE1ELb0EEEvPT_PKS3_PKT0_S9_ifPKiSB_iPKfiiiSD_SD_iiiii.private_seg_size, 0
	.set _ZN4vllm25paged_attention_v1_kernelI14__hip_bfloat16hLi80ELi16ELi128ELNS_18Fp8KVCacheDataTypeE1ELb0EEEvPT_PKS3_PKT0_S9_ifPKiSB_iPKfiiiSD_SD_iiiii.uses_vcc, 1
	.set _ZN4vllm25paged_attention_v1_kernelI14__hip_bfloat16hLi80ELi16ELi128ELNS_18Fp8KVCacheDataTypeE1ELb0EEEvPT_PKS3_PKT0_S9_ifPKiSB_iPKfiiiSD_SD_iiiii.uses_flat_scratch, 0
	.set _ZN4vllm25paged_attention_v1_kernelI14__hip_bfloat16hLi80ELi16ELi128ELNS_18Fp8KVCacheDataTypeE1ELb0EEEvPT_PKS3_PKT0_S9_ifPKiSB_iPKfiiiSD_SD_iiiii.has_dyn_sized_stack, 0
	.set _ZN4vllm25paged_attention_v1_kernelI14__hip_bfloat16hLi80ELi16ELi128ELNS_18Fp8KVCacheDataTypeE1ELb0EEEvPT_PKS3_PKT0_S9_ifPKiSB_iPKfiiiSD_SD_iiiii.has_recursion, 0
	.set _ZN4vllm25paged_attention_v1_kernelI14__hip_bfloat16hLi80ELi16ELi128ELNS_18Fp8KVCacheDataTypeE1ELb0EEEvPT_PKS3_PKT0_S9_ifPKiSB_iPKfiiiSD_SD_iiiii.has_indirect_call, 0
	.section	.AMDGPU.csdata,"",@progbits
; Kernel info:
; codeLenInByte = 25676
; TotalNumSgprs: 36
; NumVgprs: 109
; ScratchSize: 0
; MemoryBound: 0
; FloatMode: 240
; IeeeMode: 1
; LDSByteSize: 192 bytes/workgroup (compile time only)
; SGPRBlocks: 0
; VGPRBlocks: 13
; NumSGPRsForWavesPerEU: 36
; NumVGPRsForWavesPerEU: 109
; Occupancy: 9
; WaveLimiterHint : 1
; COMPUTE_PGM_RSRC2:SCRATCH_EN: 0
; COMPUTE_PGM_RSRC2:USER_SGPR: 6
; COMPUTE_PGM_RSRC2:TRAP_HANDLER: 0
; COMPUTE_PGM_RSRC2:TGID_X_EN: 1
; COMPUTE_PGM_RSRC2:TGID_Y_EN: 1
; COMPUTE_PGM_RSRC2:TGID_Z_EN: 1
; COMPUTE_PGM_RSRC2:TIDIG_COMP_CNT: 0
	.section	.text._ZN4vllm25paged_attention_v1_kernelI14__hip_bfloat16hLi96ELi16ELi128ELNS_18Fp8KVCacheDataTypeE1ELb0EEEvPT_PKS3_PKT0_S9_ifPKiSB_iPKfiiiSD_SD_iiiii,"axG",@progbits,_ZN4vllm25paged_attention_v1_kernelI14__hip_bfloat16hLi96ELi16ELi128ELNS_18Fp8KVCacheDataTypeE1ELb0EEEvPT_PKS3_PKT0_S9_ifPKiSB_iPKfiiiSD_SD_iiiii,comdat
	.protected	_ZN4vllm25paged_attention_v1_kernelI14__hip_bfloat16hLi96ELi16ELi128ELNS_18Fp8KVCacheDataTypeE1ELb0EEEvPT_PKS3_PKT0_S9_ifPKiSB_iPKfiiiSD_SD_iiiii ; -- Begin function _ZN4vllm25paged_attention_v1_kernelI14__hip_bfloat16hLi96ELi16ELi128ELNS_18Fp8KVCacheDataTypeE1ELb0EEEvPT_PKS3_PKT0_S9_ifPKiSB_iPKfiiiSD_SD_iiiii
	.globl	_ZN4vllm25paged_attention_v1_kernelI14__hip_bfloat16hLi96ELi16ELi128ELNS_18Fp8KVCacheDataTypeE1ELb0EEEvPT_PKS3_PKT0_S9_ifPKiSB_iPKfiiiSD_SD_iiiii
	.p2align	8
	.type	_ZN4vllm25paged_attention_v1_kernelI14__hip_bfloat16hLi96ELi16ELi128ELNS_18Fp8KVCacheDataTypeE1ELb0EEEvPT_PKS3_PKT0_S9_ifPKiSB_iPKfiiiSD_SD_iiiii,@function
_ZN4vllm25paged_attention_v1_kernelI14__hip_bfloat16hLi96ELi16ELi128ELNS_18Fp8KVCacheDataTypeE1ELb0EEEvPT_PKS3_PKT0_S9_ifPKiSB_iPKfiiiSD_SD_iiiii: ; @_ZN4vllm25paged_attention_v1_kernelI14__hip_bfloat16hLi96ELi16ELi128ELNS_18Fp8KVCacheDataTypeE1ELb0EEEvPT_PKS3_PKT0_S9_ifPKiSB_iPKfiiiSD_SD_iiiii
; %bb.0:
	s_clause 0x2
	s_load_dword s9, s[4:5], 0x80
	s_load_dwordx2 s[0:1], s[4:5], 0x30
	s_load_dwordx2 s[28:29], s[4:5], 0x20
	s_mov_b32 s10, s7
	s_ashr_i32 s11, s7, 31
	s_lshl_b64 s[2:3], s[10:11], 2
	s_waitcnt lgkmcnt(0)
	s_add_u32 s0, s0, s2
	s_addc_u32 s1, s1, s3
	s_abs_i32 s2, s28
	s_abs_i32 s11, s9
	v_cvt_f32_u32_e32 v1, s2
	s_sub_i32 s7, 0, s2
	v_rcp_iflag_f32_e32 v1, v1
	v_mul_f32_e32 v1, 0x4f7ffffe, v1
	v_cvt_u32_f32_e32 v1, v1
	v_readfirstlane_b32 s3, v1
	s_mul_i32 s7, s7, s3
	s_mul_hi_u32 s7, s3, s7
	s_add_i32 s3, s3, s7
	s_xor_b32 s7, s9, s28
	s_mul_hi_u32 s3, s11, s3
	s_ashr_i32 s7, s7, 31
	s_mul_i32 s12, s3, s2
	s_mov_b32 s28, 0
	s_sub_i32 s11, s11, s12
	s_add_i32 s12, s3, 1
	s_sub_i32 s13, s11, s2
	s_cmp_ge_u32 s11, s2
	s_cselect_b32 s3, s12, s3
	s_cselect_b32 s11, s13, s11
	s_add_i32 s12, s3, 1
	s_cmp_ge_u32 s11, s2
	s_cselect_b32 s2, s12, s3
	s_abs_i32 s17, s6
	s_xor_b32 s2, s2, s7
	s_sub_i32 s19, s2, s7
	s_load_dwordx2 s[2:3], s[4:5], 0x40
	s_abs_i32 s16, s19
	v_cvt_f32_u32_e32 v1, s16
	s_sub_i32 s11, 0, s16
	v_rcp_iflag_f32_e32 v1, v1
	v_mul_f32_e32 v1, 0x4f7ffffe, v1
	v_cvt_u32_f32_e32 v1, v1
	v_readfirstlane_b32 s7, v1
	s_mul_i32 s11, s11, s7
	s_mul_hi_u32 s11, s7, s11
	s_add_i32 s7, s7, s11
	s_waitcnt lgkmcnt(0)
	s_cmp_eq_u64 s[2:3], 0
	s_mul_hi_u32 s18, s17, s7
	s_cbranch_scc1 .LBB336_2
; %bb.1:
	s_ashr_i32 s7, s6, 31
	s_lshl_b64 s[12:13], s[6:7], 2
	s_add_u32 s2, s2, s12
	s_addc_u32 s3, s3, s13
	s_load_dword s28, s[2:3], 0x0
.LBB336_2:
	s_load_dword s11, s[0:1], 0x0
	s_load_dwordx4 s[12:15], s[4:5], 0x48
	v_lshrrev_b32_e32 v21, 1, v0
	v_and_b32_e32 v22, 1, v0
	v_lshlrev_b32_e32 v9, 3, v0
	s_ashr_i32 s0, s6, 31
	s_ashr_i32 s1, s19, 31
	s_mulk_i32 s6, 0x60
	s_mov_b32 s2, exec_lo
	v_cmpx_gt_u32_e32 24, v0
	s_cbranch_execz .LBB336_4
; %bb.3:
	s_load_dwordx2 s[20:21], s[4:5], 0x8
	s_waitcnt lgkmcnt(0)
	s_mul_i32 s22, s12, s10
	v_lshlrev_b32_e32 v3, 3, v21
	s_ashr_i32 s23, s22, 31
	s_lshl_b64 s[22:23], s[22:23], 1
	v_mad_u32_u24 v3, 0x60, v22, v3
	s_add_u32 s3, s20, s22
	s_addc_u32 s12, s21, s23
	s_ashr_i32 s7, s6, 31
	s_lshl_b64 s[20:21], s[6:7], 1
	s_add_u32 s20, s3, s20
	s_addc_u32 s21, s12, s21
	global_load_dwordx2 v[1:2], v9, s[20:21]
	s_waitcnt vmcnt(0)
	ds_write_b64 v3, v[1:2]
.LBB336_4:
	s_or_b32 exec_lo, exec_lo, s2
	s_waitcnt lgkmcnt(0)
	s_add_i32 s2, s11, 15
	s_clause 0x1
	s_load_dwordx2 s[22:23], s[4:5], 0x28
	s_load_dword s7, s[4:5], 0x38
	s_ashr_i32 s3, s2, 31
	s_xor_b32 s0, s0, s1
	s_lshr_b32 s3, s3, 28
	s_mul_i32 s1, s18, s16
	s_add_i32 s2, s2, s3
	s_sub_i32 s1, s17, s1
	s_ashr_i32 s12, s2, 4
	s_add_i32 s2, s18, 1
	s_sub_i32 s3, s1, s16
	s_cmp_ge_u32 s1, s16
	v_lshrrev_b32_e32 v23, 5, v0
	s_cselect_b32 s2, s2, s18
	s_cselect_b32 s1, s3, s1
	s_add_i32 s3, s2, 1
	s_cmp_ge_u32 s1, s16
	v_mbcnt_lo_u32_b32 v10, -1, 0
	s_cselect_b32 s1, s3, s2
	s_mov_b32 s2, exec_lo
	s_xor_b32 s1, s1, s0
	s_waitcnt lgkmcnt(0)
	s_mul_i32 s24, s7, s10
	s_sub_i32 s1, s1, s0
	v_cmp_gt_i32_e64 s0, s12, v23
	s_ashr_i32 s25, s24, 31
	s_barrier
	buffer_gl0_inv
                                        ; implicit-def: $vgpr2
                                        ; implicit-def: $vgpr11
	v_cmpx_le_i32_e64 s12, v23
	s_xor_b32 s2, exec_lo, s2
; %bb.5:
	v_mov_b32_e32 v2, 0
	v_mbcnt_lo_u32_b32 v10, -1, 0
	v_mov_b32_e32 v11, 32
; %bb.6:
	s_or_saveexec_b32 s15, s2
	s_clause 0x3
	s_load_dwordx2 s[20:21], s[4:5], 0x0
	s_load_dwordx2 s[26:27], s[4:5], 0x18
	s_load_dword s7, s[4:5], 0x88
	s_load_dwordx4 s[16:19], s[4:5], 0x58
	v_mov_b32_e32 v59, 0xff7fffff
	v_lshrrev_b32_e32 v13, 3, v0
	s_mul_i32 s14, s1, s14
	s_xor_b32 exec_lo, exec_lo, s15
	s_cbranch_execz .LBB336_396
; %bb.7:
	v_mul_u32_u24_e32 v11, 0x60, v22
	s_load_dwordx2 s[2:3], s[4:5], 0x10
	v_bfe_u32 v59, v0, 1, 4
	s_ashr_i32 s1, s14, 31
	v_mov_b32_e32 v68, 0x80
	ds_read_b128 v[1:4], v11
	ds_read_b128 v[5:8], v11 offset:16
	v_lshlrev_b32_e32 v12, 4, v59
	ds_read_b128 v[36:39], v11 offset:32
	ds_read_b128 v[44:47], v11 offset:48
	s_waitcnt lgkmcnt(0)
	s_load_dword s4, s[16:17], 0x0
	v_mov_b32_e32 v69, 0xffff
	v_mov_b32_e32 v70, 0xff
	v_mov_b32_e32 v71, 7
	v_mov_b32_e32 v72, 24
	v_mov_b32_e32 v73, v23
	s_mov_b32 s17, s13
	s_mov_b32 s16, 0
	s_add_u32 s2, s2, s14
	s_addc_u32 s1, s3, s1
	v_add_co_u32 v66, s2, s2, v12
	v_lshlrev_b32_e32 v12, 16, v1
	v_and_b32_e32 v14, 0xffff0000, v1
	v_lshlrev_b32_e32 v15, 16, v2
	v_and_b32_e32 v16, 0xffff0000, v2
	;; [unrolled: 2-line block ×4, first 2 shown]
	ds_read_b128 v[1:4], v11 offset:64
	v_lshlrev_b32_e32 v24, 16, v5
	v_and_b32_e32 v25, 0xffff0000, v5
	v_lshlrev_b32_e32 v26, 16, v6
	v_and_b32_e32 v27, 0xffff0000, v6
	;; [unrolled: 2-line block ×4, first 2 shown]
	ds_read_b128 v[5:8], v11 offset:80
	v_add_co_ci_u32_e64 v67, null, s1, 0, s2
	s_sub_i32 s5, 1, s11
	v_lshlrev_b32_e32 v32, 16, v36
	v_and_b32_e32 v33, 0xffff0000, v36
	v_lshlrev_b32_e32 v34, 16, v37
	v_and_b32_e32 v35, 0xffff0000, v37
	;; [unrolled: 2-line block ×3, first 2 shown]
	v_lshlrev_b32_e32 v38, 16, v39
	s_waitcnt lgkmcnt(0)
	v_lshlrev_b32_e32 v48, 16, v1
	v_and_b32_e32 v49, 0xffff0000, v1
	v_xor_b32_e32 v1, 1, v10
	v_lshlrev_b32_e32 v50, 16, v2
	v_and_b32_e32 v51, 0xffff0000, v2
	v_lshlrev_b32_e32 v2, 2, v22
	v_lshlrev_b32_e32 v52, 16, v3
	v_cmp_gt_i32_e32 vcc_lo, 32, v1
	v_and_b32_e32 v53, 0xffff0000, v3
	v_lshlrev_b32_e32 v54, 16, v4
	v_add_co_u32 v3, s2, v66, v2
	v_cndmask_b32_e32 v1, v10, v1, vcc_lo
	v_and_b32_e32 v2, 0x7c, v13
	v_and_b32_e32 v55, 0xffff0000, v4
	v_add_co_ci_u32_e64 v4, null, 0, v67, s2
	v_lshlrev_b32_e32 v65, 2, v1
	v_lshlrev_b32_e32 v1, 2, v59
	s_lshl_b64 s[2:3], s[24:25], 2
	v_lshlrev_b32_e32 v56, 16, v5
	s_add_u32 s2, s22, s2
	v_and_b32_e32 v57, 0xffff0000, v5
	v_lshl_or_b32 v1, v23, 6, v1
	s_addc_u32 s3, s23, s3
	v_add_co_u32 v5, s2, s2, v2
	v_and_b32_e32 v39, 0xffff0000, v39
	v_lshlrev_b32_e32 v40, 16, v44
	v_and_b32_e32 v41, 0xffff0000, v44
	v_lshlrev_b32_e32 v42, 16, v45
	;; [unrolled: 2-line block ×7, first 2 shown]
	v_and_b32_e32 v64, 0xffff0000, v8
	v_cmp_neq_f32_e64 s1, s28, 0
	v_lshl_or_b32 v66, v23, 4, v59
	v_add_nc_u32_e32 v67, 0xe0, v1
	v_add_co_ci_u32_e64 v6, null, s3, 0, s2
	v_mov_b32_e32 v11, 32
	v_mov_b32_e32 v59, 0xff7fffff
	;; [unrolled: 1-line block ×3, first 2 shown]
	v_cmp_eq_u32_e32 vcc_lo, 0, v22
	s_branch .LBB336_9
.LBB336_8:                              ;   in Loop: Header=BB336_9 Depth=1
	s_or_b32 exec_lo, exec_lo, s3
	v_add_nc_u32_e32 v73, 4, v73
	v_add_co_u32 v5, s3, v5, 16
	v_add_nc_u32_e32 v66, 64, v66
	v_add_nc_u32_e32 v67, 0x100, v67
	v_cmp_le_i32_e64 s2, s12, v73
	v_add_co_ci_u32_e64 v6, null, 0, v6, s3
	s_or_b32 s16, s2, s16
	s_andn2_b32 exec_lo, exec_lo, s16
	s_cbranch_execz .LBB336_395
.LBB336_9:                              ; =>This Inner Loop Header: Depth=1
	global_load_dword v1, v[5:6], off
	v_mov_b32_e32 v74, 0
	s_waitcnt vmcnt(0) lgkmcnt(0)
	v_mad_i64_i32 v[7:8], null, v1, s17, v[3:4]
	global_load_dword v78, v[7:8], off
	s_waitcnt vmcnt(0)
	v_cmp_ne_u16_sdwa s2, v78, v2 src0_sel:BYTE_0 src1_sel:DWORD
	s_and_saveexec_b32 s3, s2
	s_cbranch_execz .LBB336_17
; %bb.10:                               ;   in Loop: Header=BB336_9 Depth=1
	v_cmp_ne_u16_sdwa s2, v78, v68 src0_sel:BYTE_0 src1_sel:DWORD
	v_bfrev_b32_e32 v74, 1
	s_and_saveexec_b32 s30, s2
	s_cbranch_execz .LBB336_16
; %bb.11:                               ;   in Loop: Header=BB336_9 Depth=1
	v_and_b32_e32 v75, 0x7f, v78
	v_mov_b32_e32 v74, 0x7f800001
	s_mov_b32 s31, exec_lo
	v_cmpx_ne_u32_e32 0x7f, v75
	s_cbranch_execz .LBB336_15
; %bb.12:                               ;   in Loop: Header=BB336_9 Depth=1
	v_and_b32_e32 v1, 7, v78
	v_lshrrev_b32_e32 v74, 3, v75
	s_mov_b32 s33, exec_lo
	v_cmpx_gt_u32_e32 8, v75
; %bb.13:                               ;   in Loop: Header=BB336_9 Depth=1
	v_ffbh_u32_e32 v74, v1
	v_min_u32_e32 v74, 32, v74
	v_subrev_nc_u32_e32 v75, 28, v74
	v_sub_nc_u32_e32 v74, 29, v74
	v_lshlrev_b64 v[75:76], v75, v[1:2]
	v_and_b32_e32 v1, 7, v75
; %bb.14:                               ;   in Loop: Header=BB336_9 Depth=1
	s_or_b32 exec_lo, exec_lo, s33
	v_lshlrev_b32_e32 v75, 24, v78
	v_lshlrev_b32_e32 v1, 20, v1
	v_lshl_add_u32 v74, v74, 23, 0x3c000000
	v_and_b32_e32 v75, 0x80000000, v75
	v_or3_b32 v74, v1, v75, v74
.LBB336_15:                             ;   in Loop: Header=BB336_9 Depth=1
	s_or_b32 exec_lo, exec_lo, s31
.LBB336_16:                             ;   in Loop: Header=BB336_9 Depth=1
	s_or_b32 exec_lo, exec_lo, s30
.LBB336_17:                             ;   in Loop: Header=BB336_9 Depth=1
	s_or_b32 exec_lo, exec_lo, s3
	v_cmp_ne_u16_sdwa s2, v78, v2 src0_sel:BYTE_1 src1_sel:DWORD
	v_mov_b32_e32 v75, 0
	s_and_saveexec_b32 s3, s2
	s_cbranch_execz .LBB336_25
; %bb.18:                               ;   in Loop: Header=BB336_9 Depth=1
	v_cmp_ne_u16_sdwa s2, v78, v68 src0_sel:BYTE_1 src1_sel:DWORD
	v_bfrev_b32_e32 v75, 1
	s_and_saveexec_b32 s30, s2
	s_cbranch_execz .LBB336_24
; %bb.19:                               ;   in Loop: Header=BB336_9 Depth=1
	v_and_b32_sdwa v1, v69, v78 dst_sel:DWORD dst_unused:UNUSED_PAD src0_sel:DWORD src1_sel:BYTE_1
	v_mov_b32_e32 v75, 0x7f800001
	s_mov_b32 s31, exec_lo
	v_and_b32_e32 v76, 0x7f, v1
	v_cmpx_ne_u32_e32 0x7f, v76
	s_cbranch_execz .LBB336_23
; %bb.20:                               ;   in Loop: Header=BB336_9 Depth=1
	v_and_b32_e32 v1, 7, v1
	v_lshrrev_b32_e32 v75, 3, v76
	s_mov_b32 s33, exec_lo
	v_cmpx_gt_u32_e32 8, v76
; %bb.21:                               ;   in Loop: Header=BB336_9 Depth=1
	v_ffbh_u32_e32 v75, v1
	v_min_u32_e32 v75, 32, v75
	v_subrev_nc_u32_e32 v76, 28, v75
	v_sub_nc_u32_e32 v75, 29, v75
	v_lshlrev_b64 v[76:77], v76, v[1:2]
	v_and_b32_e32 v1, 7, v76
; %bb.22:                               ;   in Loop: Header=BB336_9 Depth=1
	s_or_b32 exec_lo, exec_lo, s33
	v_lshlrev_b32_e32 v76, 16, v78
	v_lshlrev_b32_e32 v1, 20, v1
	v_lshl_add_u32 v75, v75, 23, 0x3c000000
	v_and_b32_e32 v76, 0x80000000, v76
	v_or3_b32 v75, v1, v76, v75
.LBB336_23:                             ;   in Loop: Header=BB336_9 Depth=1
	s_or_b32 exec_lo, exec_lo, s31
.LBB336_24:                             ;   in Loop: Header=BB336_9 Depth=1
	s_or_b32 exec_lo, exec_lo, s30
.LBB336_25:                             ;   in Loop: Header=BB336_9 Depth=1
	s_or_b32 exec_lo, exec_lo, s3
	v_and_b32_sdwa v1, v78, v70 dst_sel:DWORD dst_unused:UNUSED_PAD src0_sel:WORD_1 src1_sel:DWORD
	v_mov_b32_e32 v76, 0
	v_mov_b32_e32 v77, 0
	s_mov_b32 s3, exec_lo
	v_cmpx_ne_u16_e32 0, v1
	s_cbranch_execz .LBB336_33
; %bb.26:                               ;   in Loop: Header=BB336_9 Depth=1
	v_bfrev_b32_e32 v77, 1
	s_mov_b32 s30, exec_lo
	v_cmpx_ne_u16_e32 0x80, v1
	s_cbranch_execz .LBB336_32
; %bb.27:                               ;   in Loop: Header=BB336_9 Depth=1
	v_bfe_u32 v79, v78, 16, 7
	v_mov_b32_e32 v77, 0x7f800001
	s_mov_b32 s31, exec_lo
	v_cmpx_ne_u32_e32 0x7f, v79
	s_cbranch_execz .LBB336_31
; %bb.28:                               ;   in Loop: Header=BB336_9 Depth=1
	v_and_b32_sdwa v1, v78, v71 dst_sel:DWORD dst_unused:UNUSED_PAD src0_sel:WORD_1 src1_sel:DWORD
	v_lshrrev_b32_e32 v77, 3, v79
	s_mov_b32 s33, exec_lo
	v_cmpx_gt_u32_e32 8, v79
; %bb.29:                               ;   in Loop: Header=BB336_9 Depth=1
	v_ffbh_u32_e32 v77, v1
	v_min_u32_e32 v77, 32, v77
	v_subrev_nc_u32_e32 v79, 28, v77
	v_sub_nc_u32_e32 v77, 29, v77
	v_lshlrev_b64 v[79:80], v79, v[1:2]
	v_and_b32_e32 v1, 7, v79
; %bb.30:                               ;   in Loop: Header=BB336_9 Depth=1
	s_or_b32 exec_lo, exec_lo, s33
	v_lshlrev_b32_sdwa v79, v72, v78 dst_sel:DWORD dst_unused:UNUSED_PAD src0_sel:DWORD src1_sel:WORD_1
	v_lshlrev_b32_e32 v1, 20, v1
	v_lshl_add_u32 v77, v77, 23, 0x3c000000
	v_and_b32_e32 v79, 0x80000000, v79
	v_or3_b32 v77, v1, v79, v77
.LBB336_31:                             ;   in Loop: Header=BB336_9 Depth=1
	s_or_b32 exec_lo, exec_lo, s31
.LBB336_32:                             ;   in Loop: Header=BB336_9 Depth=1
	s_or_b32 exec_lo, exec_lo, s30
.LBB336_33:                             ;   in Loop: Header=BB336_9 Depth=1
	s_or_b32 exec_lo, exec_lo, s3
	s_mov_b32 s3, exec_lo
	v_cmpx_lt_u32_e32 0xffffff, v78
	s_cbranch_execz .LBB336_41
; %bb.34:                               ;   in Loop: Header=BB336_9 Depth=1
	v_cmp_ne_u32_sdwa s2, v78, v68 src0_sel:BYTE_3 src1_sel:DWORD
	v_bfrev_b32_e32 v76, 1
	s_and_saveexec_b32 s30, s2
	s_cbranch_execz .LBB336_40
; %bb.35:                               ;   in Loop: Header=BB336_9 Depth=1
	v_bfe_u32 v79, v78, 24, 7
	v_mov_b32_e32 v76, 0x7f800001
	s_mov_b32 s31, exec_lo
	v_cmpx_ne_u32_e32 0x7f, v79
	s_cbranch_execz .LBB336_39
; %bb.36:                               ;   in Loop: Header=BB336_9 Depth=1
	v_and_b32_sdwa v1, v78, v71 dst_sel:DWORD dst_unused:UNUSED_PAD src0_sel:BYTE_3 src1_sel:DWORD
	v_lshrrev_b32_e32 v76, 3, v79
	s_mov_b32 s33, exec_lo
	v_cmpx_gt_u32_e32 8, v79
; %bb.37:                               ;   in Loop: Header=BB336_9 Depth=1
	v_ffbh_u32_e32 v76, v1
	v_min_u32_e32 v76, 32, v76
	v_subrev_nc_u32_e32 v79, 28, v76
	v_sub_nc_u32_e32 v76, 29, v76
	v_lshlrev_b64 v[79:80], v79, v[1:2]
	v_and_b32_e32 v1, 7, v79
; %bb.38:                               ;   in Loop: Header=BB336_9 Depth=1
	s_or_b32 exec_lo, exec_lo, s33
	v_lshlrev_b32_sdwa v78, v72, v78 dst_sel:DWORD dst_unused:UNUSED_PAD src0_sel:DWORD src1_sel:BYTE_3
	v_lshlrev_b32_e32 v1, 20, v1
	v_lshl_add_u32 v76, v76, 23, 0x3c000000
	v_and_b32_e32 v78, 0x80000000, v78
	v_or3_b32 v76, v1, v78, v76
.LBB336_39:                             ;   in Loop: Header=BB336_9 Depth=1
	s_or_b32 exec_lo, exec_lo, s31
.LBB336_40:                             ;   in Loop: Header=BB336_9 Depth=1
	s_or_b32 exec_lo, exec_lo, s30
.LBB336_41:                             ;   in Loop: Header=BB336_9 Depth=1
	s_or_b32 exec_lo, exec_lo, s3
	global_load_dword v82, v[7:8], off offset:8
	v_mov_b32_e32 v79, 0
	v_mov_b32_e32 v78, 0
	s_waitcnt vmcnt(0)
	v_cmp_ne_u16_sdwa s2, v82, v2 src0_sel:BYTE_0 src1_sel:DWORD
	s_and_saveexec_b32 s3, s2
	s_cbranch_execz .LBB336_49
; %bb.42:                               ;   in Loop: Header=BB336_9 Depth=1
	v_cmp_ne_u16_sdwa s2, v82, v68 src0_sel:BYTE_0 src1_sel:DWORD
	v_bfrev_b32_e32 v78, 1
	s_and_saveexec_b32 s30, s2
	s_cbranch_execz .LBB336_48
; %bb.43:                               ;   in Loop: Header=BB336_9 Depth=1
	v_and_b32_e32 v80, 0x7f, v82
	v_mov_b32_e32 v78, 0x7f800001
	s_mov_b32 s31, exec_lo
	v_cmpx_ne_u32_e32 0x7f, v80
	s_cbranch_execz .LBB336_47
; %bb.44:                               ;   in Loop: Header=BB336_9 Depth=1
	v_and_b32_e32 v1, 7, v82
	v_lshrrev_b32_e32 v78, 3, v80
	s_mov_b32 s33, exec_lo
	v_cmpx_gt_u32_e32 8, v80
; %bb.45:                               ;   in Loop: Header=BB336_9 Depth=1
	v_ffbh_u32_e32 v78, v1
	v_min_u32_e32 v78, 32, v78
	v_subrev_nc_u32_e32 v80, 28, v78
	v_sub_nc_u32_e32 v78, 29, v78
	v_lshlrev_b64 v[80:81], v80, v[1:2]
	v_and_b32_e32 v1, 7, v80
; %bb.46:                               ;   in Loop: Header=BB336_9 Depth=1
	s_or_b32 exec_lo, exec_lo, s33
	v_lshlrev_b32_e32 v80, 24, v82
	v_lshlrev_b32_e32 v1, 20, v1
	v_lshl_add_u32 v78, v78, 23, 0x3c000000
	v_and_b32_e32 v80, 0x80000000, v80
	v_or3_b32 v78, v1, v80, v78
.LBB336_47:                             ;   in Loop: Header=BB336_9 Depth=1
	s_or_b32 exec_lo, exec_lo, s31
.LBB336_48:                             ;   in Loop: Header=BB336_9 Depth=1
	s_or_b32 exec_lo, exec_lo, s30
.LBB336_49:                             ;   in Loop: Header=BB336_9 Depth=1
	s_or_b32 exec_lo, exec_lo, s3
	v_cmp_ne_u16_sdwa s2, v82, v2 src0_sel:BYTE_1 src1_sel:DWORD
	s_and_saveexec_b32 s3, s2
	s_cbranch_execz .LBB336_57
; %bb.50:                               ;   in Loop: Header=BB336_9 Depth=1
	v_cmp_ne_u16_sdwa s2, v82, v68 src0_sel:BYTE_1 src1_sel:DWORD
	v_bfrev_b32_e32 v79, 1
	s_and_saveexec_b32 s30, s2
	s_cbranch_execz .LBB336_56
; %bb.51:                               ;   in Loop: Header=BB336_9 Depth=1
	v_and_b32_sdwa v1, v69, v82 dst_sel:DWORD dst_unused:UNUSED_PAD src0_sel:DWORD src1_sel:BYTE_1
	v_mov_b32_e32 v79, 0x7f800001
	s_mov_b32 s31, exec_lo
	v_and_b32_e32 v80, 0x7f, v1
	v_cmpx_ne_u32_e32 0x7f, v80
	s_cbranch_execz .LBB336_55
; %bb.52:                               ;   in Loop: Header=BB336_9 Depth=1
	v_and_b32_e32 v1, 7, v1
	v_lshrrev_b32_e32 v79, 3, v80
	s_mov_b32 s33, exec_lo
	v_cmpx_gt_u32_e32 8, v80
; %bb.53:                               ;   in Loop: Header=BB336_9 Depth=1
	v_ffbh_u32_e32 v79, v1
	v_min_u32_e32 v79, 32, v79
	v_subrev_nc_u32_e32 v80, 28, v79
	v_sub_nc_u32_e32 v79, 29, v79
	v_lshlrev_b64 v[80:81], v80, v[1:2]
	v_and_b32_e32 v1, 7, v80
; %bb.54:                               ;   in Loop: Header=BB336_9 Depth=1
	s_or_b32 exec_lo, exec_lo, s33
	v_lshlrev_b32_e32 v80, 16, v82
	v_lshlrev_b32_e32 v1, 20, v1
	v_lshl_add_u32 v79, v79, 23, 0x3c000000
	v_and_b32_e32 v80, 0x80000000, v80
	v_or3_b32 v79, v1, v80, v79
.LBB336_55:                             ;   in Loop: Header=BB336_9 Depth=1
	s_or_b32 exec_lo, exec_lo, s31
.LBB336_56:                             ;   in Loop: Header=BB336_9 Depth=1
	s_or_b32 exec_lo, exec_lo, s30
.LBB336_57:                             ;   in Loop: Header=BB336_9 Depth=1
	s_or_b32 exec_lo, exec_lo, s3
	v_and_b32_sdwa v1, v82, v70 dst_sel:DWORD dst_unused:UNUSED_PAD src0_sel:WORD_1 src1_sel:DWORD
	v_mov_b32_e32 v80, 0
	v_mov_b32_e32 v81, 0
	s_mov_b32 s3, exec_lo
	v_cmpx_ne_u16_e32 0, v1
	s_cbranch_execz .LBB336_65
; %bb.58:                               ;   in Loop: Header=BB336_9 Depth=1
	v_bfrev_b32_e32 v81, 1
	s_mov_b32 s30, exec_lo
	v_cmpx_ne_u16_e32 0x80, v1
	s_cbranch_execz .LBB336_64
; %bb.59:                               ;   in Loop: Header=BB336_9 Depth=1
	v_bfe_u32 v83, v82, 16, 7
	v_mov_b32_e32 v81, 0x7f800001
	s_mov_b32 s31, exec_lo
	v_cmpx_ne_u32_e32 0x7f, v83
	s_cbranch_execz .LBB336_63
; %bb.60:                               ;   in Loop: Header=BB336_9 Depth=1
	v_and_b32_sdwa v1, v82, v71 dst_sel:DWORD dst_unused:UNUSED_PAD src0_sel:WORD_1 src1_sel:DWORD
	v_lshrrev_b32_e32 v81, 3, v83
	s_mov_b32 s33, exec_lo
	v_cmpx_gt_u32_e32 8, v83
; %bb.61:                               ;   in Loop: Header=BB336_9 Depth=1
	v_ffbh_u32_e32 v81, v1
	v_min_u32_e32 v81, 32, v81
	v_subrev_nc_u32_e32 v83, 28, v81
	v_sub_nc_u32_e32 v81, 29, v81
	v_lshlrev_b64 v[83:84], v83, v[1:2]
	v_and_b32_e32 v1, 7, v83
; %bb.62:                               ;   in Loop: Header=BB336_9 Depth=1
	s_or_b32 exec_lo, exec_lo, s33
	v_lshlrev_b32_sdwa v83, v72, v82 dst_sel:DWORD dst_unused:UNUSED_PAD src0_sel:DWORD src1_sel:WORD_1
	v_lshlrev_b32_e32 v1, 20, v1
	v_lshl_add_u32 v81, v81, 23, 0x3c000000
	v_and_b32_e32 v83, 0x80000000, v83
	v_or3_b32 v81, v1, v83, v81
.LBB336_63:                             ;   in Loop: Header=BB336_9 Depth=1
	s_or_b32 exec_lo, exec_lo, s31
.LBB336_64:                             ;   in Loop: Header=BB336_9 Depth=1
	s_or_b32 exec_lo, exec_lo, s30
.LBB336_65:                             ;   in Loop: Header=BB336_9 Depth=1
	s_or_b32 exec_lo, exec_lo, s3
	s_mov_b32 s3, exec_lo
	v_cmpx_lt_u32_e32 0xffffff, v82
	s_cbranch_execz .LBB336_73
; %bb.66:                               ;   in Loop: Header=BB336_9 Depth=1
	v_cmp_ne_u32_sdwa s2, v82, v68 src0_sel:BYTE_3 src1_sel:DWORD
	v_bfrev_b32_e32 v80, 1
	s_and_saveexec_b32 s30, s2
	s_cbranch_execz .LBB336_72
; %bb.67:                               ;   in Loop: Header=BB336_9 Depth=1
	v_bfe_u32 v83, v82, 24, 7
	v_mov_b32_e32 v80, 0x7f800001
	s_mov_b32 s31, exec_lo
	v_cmpx_ne_u32_e32 0x7f, v83
	s_cbranch_execz .LBB336_71
; %bb.68:                               ;   in Loop: Header=BB336_9 Depth=1
	v_and_b32_sdwa v1, v82, v71 dst_sel:DWORD dst_unused:UNUSED_PAD src0_sel:BYTE_3 src1_sel:DWORD
	v_lshrrev_b32_e32 v80, 3, v83
	s_mov_b32 s33, exec_lo
	v_cmpx_gt_u32_e32 8, v83
; %bb.69:                               ;   in Loop: Header=BB336_9 Depth=1
	v_ffbh_u32_e32 v80, v1
	v_min_u32_e32 v80, 32, v80
	v_subrev_nc_u32_e32 v83, 28, v80
	v_sub_nc_u32_e32 v80, 29, v80
	v_lshlrev_b64 v[83:84], v83, v[1:2]
	v_and_b32_e32 v1, 7, v83
; %bb.70:                               ;   in Loop: Header=BB336_9 Depth=1
	s_or_b32 exec_lo, exec_lo, s33
	v_lshlrev_b32_sdwa v82, v72, v82 dst_sel:DWORD dst_unused:UNUSED_PAD src0_sel:DWORD src1_sel:BYTE_3
	v_lshlrev_b32_e32 v1, 20, v1
	v_lshl_add_u32 v80, v80, 23, 0x3c000000
	v_and_b32_e32 v82, 0x80000000, v82
	v_or3_b32 v80, v1, v82, v80
.LBB336_71:                             ;   in Loop: Header=BB336_9 Depth=1
	s_or_b32 exec_lo, exec_lo, s31
.LBB336_72:                             ;   in Loop: Header=BB336_9 Depth=1
	s_or_b32 exec_lo, exec_lo, s30
.LBB336_73:                             ;   in Loop: Header=BB336_9 Depth=1
	s_or_b32 exec_lo, exec_lo, s3
	global_load_dword v86, v[7:8], off offset:256
	v_mov_b32_e32 v83, 0
	v_mov_b32_e32 v82, 0
	s_waitcnt vmcnt(0)
	v_cmp_ne_u16_sdwa s2, v86, v2 src0_sel:BYTE_0 src1_sel:DWORD
	s_and_saveexec_b32 s3, s2
	s_cbranch_execz .LBB336_81
; %bb.74:                               ;   in Loop: Header=BB336_9 Depth=1
	v_cmp_ne_u16_sdwa s2, v86, v68 src0_sel:BYTE_0 src1_sel:DWORD
	v_bfrev_b32_e32 v82, 1
	s_and_saveexec_b32 s30, s2
	s_cbranch_execz .LBB336_80
; %bb.75:                               ;   in Loop: Header=BB336_9 Depth=1
	v_and_b32_e32 v84, 0x7f, v86
	v_mov_b32_e32 v82, 0x7f800001
	s_mov_b32 s31, exec_lo
	v_cmpx_ne_u32_e32 0x7f, v84
	s_cbranch_execz .LBB336_79
; %bb.76:                               ;   in Loop: Header=BB336_9 Depth=1
	v_and_b32_e32 v1, 7, v86
	v_lshrrev_b32_e32 v82, 3, v84
	s_mov_b32 s33, exec_lo
	v_cmpx_gt_u32_e32 8, v84
; %bb.77:                               ;   in Loop: Header=BB336_9 Depth=1
	v_ffbh_u32_e32 v82, v1
	v_min_u32_e32 v82, 32, v82
	v_subrev_nc_u32_e32 v84, 28, v82
	v_sub_nc_u32_e32 v82, 29, v82
	v_lshlrev_b64 v[84:85], v84, v[1:2]
	v_and_b32_e32 v1, 7, v84
; %bb.78:                               ;   in Loop: Header=BB336_9 Depth=1
	s_or_b32 exec_lo, exec_lo, s33
	v_lshlrev_b32_e32 v84, 24, v86
	v_lshlrev_b32_e32 v1, 20, v1
	v_lshl_add_u32 v82, v82, 23, 0x3c000000
	v_and_b32_e32 v84, 0x80000000, v84
	v_or3_b32 v82, v1, v84, v82
.LBB336_79:                             ;   in Loop: Header=BB336_9 Depth=1
	s_or_b32 exec_lo, exec_lo, s31
.LBB336_80:                             ;   in Loop: Header=BB336_9 Depth=1
	s_or_b32 exec_lo, exec_lo, s30
.LBB336_81:                             ;   in Loop: Header=BB336_9 Depth=1
	s_or_b32 exec_lo, exec_lo, s3
	v_cmp_ne_u16_sdwa s2, v86, v2 src0_sel:BYTE_1 src1_sel:DWORD
	s_and_saveexec_b32 s3, s2
	s_cbranch_execz .LBB336_89
; %bb.82:                               ;   in Loop: Header=BB336_9 Depth=1
	v_cmp_ne_u16_sdwa s2, v86, v68 src0_sel:BYTE_1 src1_sel:DWORD
	v_bfrev_b32_e32 v83, 1
	s_and_saveexec_b32 s30, s2
	s_cbranch_execz .LBB336_88
; %bb.83:                               ;   in Loop: Header=BB336_9 Depth=1
	v_and_b32_sdwa v1, v69, v86 dst_sel:DWORD dst_unused:UNUSED_PAD src0_sel:DWORD src1_sel:BYTE_1
	v_mov_b32_e32 v83, 0x7f800001
	s_mov_b32 s31, exec_lo
	v_and_b32_e32 v84, 0x7f, v1
	v_cmpx_ne_u32_e32 0x7f, v84
	s_cbranch_execz .LBB336_87
; %bb.84:                               ;   in Loop: Header=BB336_9 Depth=1
	v_and_b32_e32 v1, 7, v1
	v_lshrrev_b32_e32 v83, 3, v84
	s_mov_b32 s33, exec_lo
	v_cmpx_gt_u32_e32 8, v84
; %bb.85:                               ;   in Loop: Header=BB336_9 Depth=1
	v_ffbh_u32_e32 v83, v1
	v_min_u32_e32 v83, 32, v83
	v_subrev_nc_u32_e32 v84, 28, v83
	v_sub_nc_u32_e32 v83, 29, v83
	v_lshlrev_b64 v[84:85], v84, v[1:2]
	v_and_b32_e32 v1, 7, v84
; %bb.86:                               ;   in Loop: Header=BB336_9 Depth=1
	s_or_b32 exec_lo, exec_lo, s33
	v_lshlrev_b32_e32 v84, 16, v86
	v_lshlrev_b32_e32 v1, 20, v1
	v_lshl_add_u32 v83, v83, 23, 0x3c000000
	v_and_b32_e32 v84, 0x80000000, v84
	v_or3_b32 v83, v1, v84, v83
.LBB336_87:                             ;   in Loop: Header=BB336_9 Depth=1
	s_or_b32 exec_lo, exec_lo, s31
.LBB336_88:                             ;   in Loop: Header=BB336_9 Depth=1
	s_or_b32 exec_lo, exec_lo, s30
.LBB336_89:                             ;   in Loop: Header=BB336_9 Depth=1
	s_or_b32 exec_lo, exec_lo, s3
	v_and_b32_sdwa v1, v86, v70 dst_sel:DWORD dst_unused:UNUSED_PAD src0_sel:WORD_1 src1_sel:DWORD
	v_mov_b32_e32 v84, 0
	v_mov_b32_e32 v85, 0
	s_mov_b32 s3, exec_lo
	v_cmpx_ne_u16_e32 0, v1
	s_cbranch_execz .LBB336_97
; %bb.90:                               ;   in Loop: Header=BB336_9 Depth=1
	v_bfrev_b32_e32 v85, 1
	s_mov_b32 s30, exec_lo
	v_cmpx_ne_u16_e32 0x80, v1
	s_cbranch_execz .LBB336_96
; %bb.91:                               ;   in Loop: Header=BB336_9 Depth=1
	v_bfe_u32 v87, v86, 16, 7
	v_mov_b32_e32 v85, 0x7f800001
	s_mov_b32 s31, exec_lo
	v_cmpx_ne_u32_e32 0x7f, v87
	s_cbranch_execz .LBB336_95
; %bb.92:                               ;   in Loop: Header=BB336_9 Depth=1
	v_and_b32_sdwa v1, v86, v71 dst_sel:DWORD dst_unused:UNUSED_PAD src0_sel:WORD_1 src1_sel:DWORD
	v_lshrrev_b32_e32 v85, 3, v87
	s_mov_b32 s33, exec_lo
	v_cmpx_gt_u32_e32 8, v87
; %bb.93:                               ;   in Loop: Header=BB336_9 Depth=1
	v_ffbh_u32_e32 v85, v1
	v_min_u32_e32 v85, 32, v85
	v_subrev_nc_u32_e32 v87, 28, v85
	v_sub_nc_u32_e32 v85, 29, v85
	v_lshlrev_b64 v[87:88], v87, v[1:2]
	v_and_b32_e32 v1, 7, v87
; %bb.94:                               ;   in Loop: Header=BB336_9 Depth=1
	s_or_b32 exec_lo, exec_lo, s33
	v_lshlrev_b32_sdwa v87, v72, v86 dst_sel:DWORD dst_unused:UNUSED_PAD src0_sel:DWORD src1_sel:WORD_1
	v_lshlrev_b32_e32 v1, 20, v1
	v_lshl_add_u32 v85, v85, 23, 0x3c000000
	v_and_b32_e32 v87, 0x80000000, v87
	v_or3_b32 v85, v1, v87, v85
.LBB336_95:                             ;   in Loop: Header=BB336_9 Depth=1
	s_or_b32 exec_lo, exec_lo, s31
.LBB336_96:                             ;   in Loop: Header=BB336_9 Depth=1
	s_or_b32 exec_lo, exec_lo, s30
.LBB336_97:                             ;   in Loop: Header=BB336_9 Depth=1
	s_or_b32 exec_lo, exec_lo, s3
	s_mov_b32 s3, exec_lo
	v_cmpx_lt_u32_e32 0xffffff, v86
	s_cbranch_execz .LBB336_105
; %bb.98:                               ;   in Loop: Header=BB336_9 Depth=1
	v_cmp_ne_u32_sdwa s2, v86, v68 src0_sel:BYTE_3 src1_sel:DWORD
	v_bfrev_b32_e32 v84, 1
	s_and_saveexec_b32 s30, s2
	s_cbranch_execz .LBB336_104
; %bb.99:                               ;   in Loop: Header=BB336_9 Depth=1
	v_bfe_u32 v87, v86, 24, 7
	v_mov_b32_e32 v84, 0x7f800001
	s_mov_b32 s31, exec_lo
	v_cmpx_ne_u32_e32 0x7f, v87
	s_cbranch_execz .LBB336_103
; %bb.100:                              ;   in Loop: Header=BB336_9 Depth=1
	v_and_b32_sdwa v1, v86, v71 dst_sel:DWORD dst_unused:UNUSED_PAD src0_sel:BYTE_3 src1_sel:DWORD
	v_lshrrev_b32_e32 v84, 3, v87
	s_mov_b32 s33, exec_lo
	v_cmpx_gt_u32_e32 8, v87
; %bb.101:                              ;   in Loop: Header=BB336_9 Depth=1
	v_ffbh_u32_e32 v84, v1
	v_min_u32_e32 v84, 32, v84
	v_subrev_nc_u32_e32 v87, 28, v84
	v_sub_nc_u32_e32 v84, 29, v84
	v_lshlrev_b64 v[87:88], v87, v[1:2]
	v_and_b32_e32 v1, 7, v87
; %bb.102:                              ;   in Loop: Header=BB336_9 Depth=1
	s_or_b32 exec_lo, exec_lo, s33
	v_lshlrev_b32_sdwa v86, v72, v86 dst_sel:DWORD dst_unused:UNUSED_PAD src0_sel:DWORD src1_sel:BYTE_3
	v_lshlrev_b32_e32 v1, 20, v1
	v_lshl_add_u32 v84, v84, 23, 0x3c000000
	v_and_b32_e32 v86, 0x80000000, v86
	v_or3_b32 v84, v1, v86, v84
.LBB336_103:                            ;   in Loop: Header=BB336_9 Depth=1
	s_or_b32 exec_lo, exec_lo, s31
.LBB336_104:                            ;   in Loop: Header=BB336_9 Depth=1
	s_or_b32 exec_lo, exec_lo, s30
.LBB336_105:                            ;   in Loop: Header=BB336_9 Depth=1
	s_or_b32 exec_lo, exec_lo, s3
	global_load_dword v90, v[7:8], off offset:264
	v_mov_b32_e32 v87, 0
	v_mov_b32_e32 v86, 0
	s_waitcnt vmcnt(0)
	v_cmp_ne_u16_sdwa s2, v90, v2 src0_sel:BYTE_0 src1_sel:DWORD
	s_and_saveexec_b32 s3, s2
	s_cbranch_execz .LBB336_113
; %bb.106:                              ;   in Loop: Header=BB336_9 Depth=1
	v_cmp_ne_u16_sdwa s2, v90, v68 src0_sel:BYTE_0 src1_sel:DWORD
	v_bfrev_b32_e32 v86, 1
	s_and_saveexec_b32 s30, s2
	s_cbranch_execz .LBB336_112
; %bb.107:                              ;   in Loop: Header=BB336_9 Depth=1
	v_and_b32_e32 v88, 0x7f, v90
	v_mov_b32_e32 v86, 0x7f800001
	s_mov_b32 s31, exec_lo
	v_cmpx_ne_u32_e32 0x7f, v88
	s_cbranch_execz .LBB336_111
; %bb.108:                              ;   in Loop: Header=BB336_9 Depth=1
	v_and_b32_e32 v1, 7, v90
	v_lshrrev_b32_e32 v86, 3, v88
	s_mov_b32 s33, exec_lo
	v_cmpx_gt_u32_e32 8, v88
; %bb.109:                              ;   in Loop: Header=BB336_9 Depth=1
	v_ffbh_u32_e32 v86, v1
	v_min_u32_e32 v86, 32, v86
	v_subrev_nc_u32_e32 v88, 28, v86
	v_sub_nc_u32_e32 v86, 29, v86
	v_lshlrev_b64 v[88:89], v88, v[1:2]
	v_and_b32_e32 v1, 7, v88
; %bb.110:                              ;   in Loop: Header=BB336_9 Depth=1
	s_or_b32 exec_lo, exec_lo, s33
	v_lshlrev_b32_e32 v88, 24, v90
	v_lshlrev_b32_e32 v1, 20, v1
	v_lshl_add_u32 v86, v86, 23, 0x3c000000
	v_and_b32_e32 v88, 0x80000000, v88
	v_or3_b32 v86, v1, v88, v86
.LBB336_111:                            ;   in Loop: Header=BB336_9 Depth=1
	s_or_b32 exec_lo, exec_lo, s31
.LBB336_112:                            ;   in Loop: Header=BB336_9 Depth=1
	s_or_b32 exec_lo, exec_lo, s30
.LBB336_113:                            ;   in Loop: Header=BB336_9 Depth=1
	s_or_b32 exec_lo, exec_lo, s3
	v_cmp_ne_u16_sdwa s2, v90, v2 src0_sel:BYTE_1 src1_sel:DWORD
	s_and_saveexec_b32 s3, s2
	s_cbranch_execz .LBB336_121
; %bb.114:                              ;   in Loop: Header=BB336_9 Depth=1
	v_cmp_ne_u16_sdwa s2, v90, v68 src0_sel:BYTE_1 src1_sel:DWORD
	v_bfrev_b32_e32 v87, 1
	s_and_saveexec_b32 s30, s2
	s_cbranch_execz .LBB336_120
; %bb.115:                              ;   in Loop: Header=BB336_9 Depth=1
	v_and_b32_sdwa v1, v69, v90 dst_sel:DWORD dst_unused:UNUSED_PAD src0_sel:DWORD src1_sel:BYTE_1
	v_mov_b32_e32 v87, 0x7f800001
	s_mov_b32 s31, exec_lo
	v_and_b32_e32 v88, 0x7f, v1
	v_cmpx_ne_u32_e32 0x7f, v88
	s_cbranch_execz .LBB336_119
; %bb.116:                              ;   in Loop: Header=BB336_9 Depth=1
	v_and_b32_e32 v1, 7, v1
	v_lshrrev_b32_e32 v87, 3, v88
	s_mov_b32 s33, exec_lo
	v_cmpx_gt_u32_e32 8, v88
; %bb.117:                              ;   in Loop: Header=BB336_9 Depth=1
	v_ffbh_u32_e32 v87, v1
	v_min_u32_e32 v87, 32, v87
	v_subrev_nc_u32_e32 v88, 28, v87
	v_sub_nc_u32_e32 v87, 29, v87
	v_lshlrev_b64 v[88:89], v88, v[1:2]
	v_and_b32_e32 v1, 7, v88
; %bb.118:                              ;   in Loop: Header=BB336_9 Depth=1
	s_or_b32 exec_lo, exec_lo, s33
	v_lshlrev_b32_e32 v88, 16, v90
	v_lshlrev_b32_e32 v1, 20, v1
	v_lshl_add_u32 v87, v87, 23, 0x3c000000
	v_and_b32_e32 v88, 0x80000000, v88
	v_or3_b32 v87, v1, v88, v87
.LBB336_119:                            ;   in Loop: Header=BB336_9 Depth=1
	s_or_b32 exec_lo, exec_lo, s31
.LBB336_120:                            ;   in Loop: Header=BB336_9 Depth=1
	s_or_b32 exec_lo, exec_lo, s30
.LBB336_121:                            ;   in Loop: Header=BB336_9 Depth=1
	s_or_b32 exec_lo, exec_lo, s3
	v_and_b32_sdwa v1, v90, v70 dst_sel:DWORD dst_unused:UNUSED_PAD src0_sel:WORD_1 src1_sel:DWORD
	v_mov_b32_e32 v88, 0
	v_mov_b32_e32 v89, 0
	s_mov_b32 s3, exec_lo
	v_cmpx_ne_u16_e32 0, v1
	s_cbranch_execz .LBB336_129
; %bb.122:                              ;   in Loop: Header=BB336_9 Depth=1
	v_bfrev_b32_e32 v89, 1
	s_mov_b32 s30, exec_lo
	v_cmpx_ne_u16_e32 0x80, v1
	s_cbranch_execz .LBB336_128
; %bb.123:                              ;   in Loop: Header=BB336_9 Depth=1
	v_bfe_u32 v91, v90, 16, 7
	v_mov_b32_e32 v89, 0x7f800001
	s_mov_b32 s31, exec_lo
	v_cmpx_ne_u32_e32 0x7f, v91
	s_cbranch_execz .LBB336_127
; %bb.124:                              ;   in Loop: Header=BB336_9 Depth=1
	v_and_b32_sdwa v1, v90, v71 dst_sel:DWORD dst_unused:UNUSED_PAD src0_sel:WORD_1 src1_sel:DWORD
	v_lshrrev_b32_e32 v89, 3, v91
	s_mov_b32 s33, exec_lo
	v_cmpx_gt_u32_e32 8, v91
; %bb.125:                              ;   in Loop: Header=BB336_9 Depth=1
	v_ffbh_u32_e32 v89, v1
	v_min_u32_e32 v89, 32, v89
	v_subrev_nc_u32_e32 v91, 28, v89
	v_sub_nc_u32_e32 v89, 29, v89
	v_lshlrev_b64 v[91:92], v91, v[1:2]
	v_and_b32_e32 v1, 7, v91
; %bb.126:                              ;   in Loop: Header=BB336_9 Depth=1
	s_or_b32 exec_lo, exec_lo, s33
	v_lshlrev_b32_sdwa v91, v72, v90 dst_sel:DWORD dst_unused:UNUSED_PAD src0_sel:DWORD src1_sel:WORD_1
	v_lshlrev_b32_e32 v1, 20, v1
	v_lshl_add_u32 v89, v89, 23, 0x3c000000
	v_and_b32_e32 v91, 0x80000000, v91
	v_or3_b32 v89, v1, v91, v89
.LBB336_127:                            ;   in Loop: Header=BB336_9 Depth=1
	s_or_b32 exec_lo, exec_lo, s31
.LBB336_128:                            ;   in Loop: Header=BB336_9 Depth=1
	s_or_b32 exec_lo, exec_lo, s30
.LBB336_129:                            ;   in Loop: Header=BB336_9 Depth=1
	s_or_b32 exec_lo, exec_lo, s3
	s_mov_b32 s3, exec_lo
	v_cmpx_lt_u32_e32 0xffffff, v90
	s_cbranch_execz .LBB336_137
; %bb.130:                              ;   in Loop: Header=BB336_9 Depth=1
	v_cmp_ne_u32_sdwa s2, v90, v68 src0_sel:BYTE_3 src1_sel:DWORD
	v_bfrev_b32_e32 v88, 1
	s_and_saveexec_b32 s30, s2
	s_cbranch_execz .LBB336_136
; %bb.131:                              ;   in Loop: Header=BB336_9 Depth=1
	v_bfe_u32 v91, v90, 24, 7
	v_mov_b32_e32 v88, 0x7f800001
	s_mov_b32 s31, exec_lo
	v_cmpx_ne_u32_e32 0x7f, v91
	s_cbranch_execz .LBB336_135
; %bb.132:                              ;   in Loop: Header=BB336_9 Depth=1
	v_and_b32_sdwa v1, v90, v71 dst_sel:DWORD dst_unused:UNUSED_PAD src0_sel:BYTE_3 src1_sel:DWORD
	v_lshrrev_b32_e32 v88, 3, v91
	s_mov_b32 s33, exec_lo
	v_cmpx_gt_u32_e32 8, v91
; %bb.133:                              ;   in Loop: Header=BB336_9 Depth=1
	v_ffbh_u32_e32 v88, v1
	v_min_u32_e32 v88, 32, v88
	v_subrev_nc_u32_e32 v91, 28, v88
	v_sub_nc_u32_e32 v88, 29, v88
	v_lshlrev_b64 v[91:92], v91, v[1:2]
	v_and_b32_e32 v1, 7, v91
; %bb.134:                              ;   in Loop: Header=BB336_9 Depth=1
	s_or_b32 exec_lo, exec_lo, s33
	v_lshlrev_b32_sdwa v90, v72, v90 dst_sel:DWORD dst_unused:UNUSED_PAD src0_sel:DWORD src1_sel:BYTE_3
	v_lshlrev_b32_e32 v1, 20, v1
	v_lshl_add_u32 v88, v88, 23, 0x3c000000
	v_and_b32_e32 v90, 0x80000000, v90
	v_or3_b32 v88, v1, v90, v88
.LBB336_135:                            ;   in Loop: Header=BB336_9 Depth=1
	s_or_b32 exec_lo, exec_lo, s31
.LBB336_136:                            ;   in Loop: Header=BB336_9 Depth=1
	s_or_b32 exec_lo, exec_lo, s30
.LBB336_137:                            ;   in Loop: Header=BB336_9 Depth=1
	s_or_b32 exec_lo, exec_lo, s3
	global_load_dword v94, v[7:8], off offset:512
	v_mov_b32_e32 v91, 0
	v_mov_b32_e32 v90, 0
	s_waitcnt vmcnt(0)
	v_cmp_ne_u16_sdwa s2, v94, v2 src0_sel:BYTE_0 src1_sel:DWORD
	s_and_saveexec_b32 s3, s2
	s_cbranch_execz .LBB336_145
; %bb.138:                              ;   in Loop: Header=BB336_9 Depth=1
	v_cmp_ne_u16_sdwa s2, v94, v68 src0_sel:BYTE_0 src1_sel:DWORD
	v_bfrev_b32_e32 v90, 1
	s_and_saveexec_b32 s30, s2
	s_cbranch_execz .LBB336_144
; %bb.139:                              ;   in Loop: Header=BB336_9 Depth=1
	v_and_b32_e32 v92, 0x7f, v94
	v_mov_b32_e32 v90, 0x7f800001
	s_mov_b32 s31, exec_lo
	v_cmpx_ne_u32_e32 0x7f, v92
	s_cbranch_execz .LBB336_143
; %bb.140:                              ;   in Loop: Header=BB336_9 Depth=1
	v_and_b32_e32 v1, 7, v94
	v_lshrrev_b32_e32 v90, 3, v92
	s_mov_b32 s33, exec_lo
	v_cmpx_gt_u32_e32 8, v92
; %bb.141:                              ;   in Loop: Header=BB336_9 Depth=1
	v_ffbh_u32_e32 v90, v1
	v_min_u32_e32 v90, 32, v90
	v_subrev_nc_u32_e32 v92, 28, v90
	v_sub_nc_u32_e32 v90, 29, v90
	v_lshlrev_b64 v[92:93], v92, v[1:2]
	v_and_b32_e32 v1, 7, v92
; %bb.142:                              ;   in Loop: Header=BB336_9 Depth=1
	s_or_b32 exec_lo, exec_lo, s33
	v_lshlrev_b32_e32 v92, 24, v94
	v_lshlrev_b32_e32 v1, 20, v1
	v_lshl_add_u32 v90, v90, 23, 0x3c000000
	v_and_b32_e32 v92, 0x80000000, v92
	v_or3_b32 v90, v1, v92, v90
.LBB336_143:                            ;   in Loop: Header=BB336_9 Depth=1
	s_or_b32 exec_lo, exec_lo, s31
.LBB336_144:                            ;   in Loop: Header=BB336_9 Depth=1
	s_or_b32 exec_lo, exec_lo, s30
.LBB336_145:                            ;   in Loop: Header=BB336_9 Depth=1
	s_or_b32 exec_lo, exec_lo, s3
	v_cmp_ne_u16_sdwa s2, v94, v2 src0_sel:BYTE_1 src1_sel:DWORD
	s_and_saveexec_b32 s3, s2
	s_cbranch_execz .LBB336_153
; %bb.146:                              ;   in Loop: Header=BB336_9 Depth=1
	v_cmp_ne_u16_sdwa s2, v94, v68 src0_sel:BYTE_1 src1_sel:DWORD
	v_bfrev_b32_e32 v91, 1
	s_and_saveexec_b32 s30, s2
	s_cbranch_execz .LBB336_152
; %bb.147:                              ;   in Loop: Header=BB336_9 Depth=1
	v_and_b32_sdwa v1, v69, v94 dst_sel:DWORD dst_unused:UNUSED_PAD src0_sel:DWORD src1_sel:BYTE_1
	v_mov_b32_e32 v91, 0x7f800001
	s_mov_b32 s31, exec_lo
	v_and_b32_e32 v92, 0x7f, v1
	v_cmpx_ne_u32_e32 0x7f, v92
	s_cbranch_execz .LBB336_151
; %bb.148:                              ;   in Loop: Header=BB336_9 Depth=1
	v_and_b32_e32 v1, 7, v1
	v_lshrrev_b32_e32 v91, 3, v92
	s_mov_b32 s33, exec_lo
	v_cmpx_gt_u32_e32 8, v92
; %bb.149:                              ;   in Loop: Header=BB336_9 Depth=1
	v_ffbh_u32_e32 v91, v1
	v_min_u32_e32 v91, 32, v91
	v_subrev_nc_u32_e32 v92, 28, v91
	v_sub_nc_u32_e32 v91, 29, v91
	v_lshlrev_b64 v[92:93], v92, v[1:2]
	v_and_b32_e32 v1, 7, v92
; %bb.150:                              ;   in Loop: Header=BB336_9 Depth=1
	s_or_b32 exec_lo, exec_lo, s33
	v_lshlrev_b32_e32 v92, 16, v94
	v_lshlrev_b32_e32 v1, 20, v1
	v_lshl_add_u32 v91, v91, 23, 0x3c000000
	v_and_b32_e32 v92, 0x80000000, v92
	v_or3_b32 v91, v1, v92, v91
.LBB336_151:                            ;   in Loop: Header=BB336_9 Depth=1
	s_or_b32 exec_lo, exec_lo, s31
.LBB336_152:                            ;   in Loop: Header=BB336_9 Depth=1
	s_or_b32 exec_lo, exec_lo, s30
.LBB336_153:                            ;   in Loop: Header=BB336_9 Depth=1
	s_or_b32 exec_lo, exec_lo, s3
	v_and_b32_sdwa v1, v94, v70 dst_sel:DWORD dst_unused:UNUSED_PAD src0_sel:WORD_1 src1_sel:DWORD
	v_mov_b32_e32 v92, 0
	v_mov_b32_e32 v93, 0
	s_mov_b32 s3, exec_lo
	v_cmpx_ne_u16_e32 0, v1
	s_cbranch_execz .LBB336_161
; %bb.154:                              ;   in Loop: Header=BB336_9 Depth=1
	v_bfrev_b32_e32 v93, 1
	s_mov_b32 s30, exec_lo
	v_cmpx_ne_u16_e32 0x80, v1
	s_cbranch_execz .LBB336_160
; %bb.155:                              ;   in Loop: Header=BB336_9 Depth=1
	v_bfe_u32 v95, v94, 16, 7
	v_mov_b32_e32 v93, 0x7f800001
	s_mov_b32 s31, exec_lo
	v_cmpx_ne_u32_e32 0x7f, v95
	s_cbranch_execz .LBB336_159
; %bb.156:                              ;   in Loop: Header=BB336_9 Depth=1
	v_and_b32_sdwa v1, v94, v71 dst_sel:DWORD dst_unused:UNUSED_PAD src0_sel:WORD_1 src1_sel:DWORD
	v_lshrrev_b32_e32 v93, 3, v95
	s_mov_b32 s33, exec_lo
	v_cmpx_gt_u32_e32 8, v95
; %bb.157:                              ;   in Loop: Header=BB336_9 Depth=1
	v_ffbh_u32_e32 v93, v1
	v_min_u32_e32 v93, 32, v93
	v_subrev_nc_u32_e32 v95, 28, v93
	v_sub_nc_u32_e32 v93, 29, v93
	v_lshlrev_b64 v[95:96], v95, v[1:2]
	v_and_b32_e32 v1, 7, v95
; %bb.158:                              ;   in Loop: Header=BB336_9 Depth=1
	s_or_b32 exec_lo, exec_lo, s33
	v_lshlrev_b32_sdwa v95, v72, v94 dst_sel:DWORD dst_unused:UNUSED_PAD src0_sel:DWORD src1_sel:WORD_1
	v_lshlrev_b32_e32 v1, 20, v1
	v_lshl_add_u32 v93, v93, 23, 0x3c000000
	v_and_b32_e32 v95, 0x80000000, v95
	v_or3_b32 v93, v1, v95, v93
.LBB336_159:                            ;   in Loop: Header=BB336_9 Depth=1
	s_or_b32 exec_lo, exec_lo, s31
.LBB336_160:                            ;   in Loop: Header=BB336_9 Depth=1
	s_or_b32 exec_lo, exec_lo, s30
.LBB336_161:                            ;   in Loop: Header=BB336_9 Depth=1
	s_or_b32 exec_lo, exec_lo, s3
	s_mov_b32 s3, exec_lo
	v_cmpx_lt_u32_e32 0xffffff, v94
	s_cbranch_execz .LBB336_169
; %bb.162:                              ;   in Loop: Header=BB336_9 Depth=1
	v_cmp_ne_u32_sdwa s2, v94, v68 src0_sel:BYTE_3 src1_sel:DWORD
	v_bfrev_b32_e32 v92, 1
	s_and_saveexec_b32 s30, s2
	s_cbranch_execz .LBB336_168
; %bb.163:                              ;   in Loop: Header=BB336_9 Depth=1
	v_bfe_u32 v95, v94, 24, 7
	v_mov_b32_e32 v92, 0x7f800001
	s_mov_b32 s31, exec_lo
	v_cmpx_ne_u32_e32 0x7f, v95
	s_cbranch_execz .LBB336_167
; %bb.164:                              ;   in Loop: Header=BB336_9 Depth=1
	v_and_b32_sdwa v1, v94, v71 dst_sel:DWORD dst_unused:UNUSED_PAD src0_sel:BYTE_3 src1_sel:DWORD
	v_lshrrev_b32_e32 v92, 3, v95
	s_mov_b32 s33, exec_lo
	v_cmpx_gt_u32_e32 8, v95
; %bb.165:                              ;   in Loop: Header=BB336_9 Depth=1
	v_ffbh_u32_e32 v92, v1
	v_min_u32_e32 v92, 32, v92
	v_subrev_nc_u32_e32 v95, 28, v92
	v_sub_nc_u32_e32 v92, 29, v92
	v_lshlrev_b64 v[95:96], v95, v[1:2]
	v_and_b32_e32 v1, 7, v95
; %bb.166:                              ;   in Loop: Header=BB336_9 Depth=1
	s_or_b32 exec_lo, exec_lo, s33
	v_lshlrev_b32_sdwa v94, v72, v94 dst_sel:DWORD dst_unused:UNUSED_PAD src0_sel:DWORD src1_sel:BYTE_3
	v_lshlrev_b32_e32 v1, 20, v1
	v_lshl_add_u32 v92, v92, 23, 0x3c000000
	v_and_b32_e32 v94, 0x80000000, v94
	v_or3_b32 v92, v1, v94, v92
.LBB336_167:                            ;   in Loop: Header=BB336_9 Depth=1
	s_or_b32 exec_lo, exec_lo, s31
.LBB336_168:                            ;   in Loop: Header=BB336_9 Depth=1
	s_or_b32 exec_lo, exec_lo, s30
.LBB336_169:                            ;   in Loop: Header=BB336_9 Depth=1
	s_or_b32 exec_lo, exec_lo, s3
	global_load_dword v98, v[7:8], off offset:520
	v_mov_b32_e32 v95, 0
	v_mov_b32_e32 v94, 0
	s_waitcnt vmcnt(0)
	v_cmp_ne_u16_sdwa s2, v98, v2 src0_sel:BYTE_0 src1_sel:DWORD
	s_and_saveexec_b32 s3, s2
	s_cbranch_execz .LBB336_177
; %bb.170:                              ;   in Loop: Header=BB336_9 Depth=1
	v_cmp_ne_u16_sdwa s2, v98, v68 src0_sel:BYTE_0 src1_sel:DWORD
	v_bfrev_b32_e32 v94, 1
	s_and_saveexec_b32 s30, s2
	s_cbranch_execz .LBB336_176
; %bb.171:                              ;   in Loop: Header=BB336_9 Depth=1
	v_and_b32_e32 v96, 0x7f, v98
	v_mov_b32_e32 v94, 0x7f800001
	s_mov_b32 s31, exec_lo
	v_cmpx_ne_u32_e32 0x7f, v96
	s_cbranch_execz .LBB336_175
; %bb.172:                              ;   in Loop: Header=BB336_9 Depth=1
	v_and_b32_e32 v1, 7, v98
	v_lshrrev_b32_e32 v94, 3, v96
	s_mov_b32 s33, exec_lo
	v_cmpx_gt_u32_e32 8, v96
; %bb.173:                              ;   in Loop: Header=BB336_9 Depth=1
	v_ffbh_u32_e32 v94, v1
	v_min_u32_e32 v94, 32, v94
	v_subrev_nc_u32_e32 v96, 28, v94
	v_sub_nc_u32_e32 v94, 29, v94
	v_lshlrev_b64 v[96:97], v96, v[1:2]
	v_and_b32_e32 v1, 7, v96
; %bb.174:                              ;   in Loop: Header=BB336_9 Depth=1
	s_or_b32 exec_lo, exec_lo, s33
	v_lshlrev_b32_e32 v96, 24, v98
	v_lshlrev_b32_e32 v1, 20, v1
	v_lshl_add_u32 v94, v94, 23, 0x3c000000
	v_and_b32_e32 v96, 0x80000000, v96
	v_or3_b32 v94, v1, v96, v94
.LBB336_175:                            ;   in Loop: Header=BB336_9 Depth=1
	s_or_b32 exec_lo, exec_lo, s31
.LBB336_176:                            ;   in Loop: Header=BB336_9 Depth=1
	s_or_b32 exec_lo, exec_lo, s30
.LBB336_177:                            ;   in Loop: Header=BB336_9 Depth=1
	s_or_b32 exec_lo, exec_lo, s3
	v_cmp_ne_u16_sdwa s2, v98, v2 src0_sel:BYTE_1 src1_sel:DWORD
	s_and_saveexec_b32 s3, s2
	s_cbranch_execz .LBB336_185
; %bb.178:                              ;   in Loop: Header=BB336_9 Depth=1
	v_cmp_ne_u16_sdwa s2, v98, v68 src0_sel:BYTE_1 src1_sel:DWORD
	v_bfrev_b32_e32 v95, 1
	s_and_saveexec_b32 s30, s2
	s_cbranch_execz .LBB336_184
; %bb.179:                              ;   in Loop: Header=BB336_9 Depth=1
	v_and_b32_sdwa v1, v69, v98 dst_sel:DWORD dst_unused:UNUSED_PAD src0_sel:DWORD src1_sel:BYTE_1
	v_mov_b32_e32 v95, 0x7f800001
	s_mov_b32 s31, exec_lo
	v_and_b32_e32 v96, 0x7f, v1
	v_cmpx_ne_u32_e32 0x7f, v96
	s_cbranch_execz .LBB336_183
; %bb.180:                              ;   in Loop: Header=BB336_9 Depth=1
	v_and_b32_e32 v1, 7, v1
	v_lshrrev_b32_e32 v95, 3, v96
	s_mov_b32 s33, exec_lo
	v_cmpx_gt_u32_e32 8, v96
; %bb.181:                              ;   in Loop: Header=BB336_9 Depth=1
	v_ffbh_u32_e32 v95, v1
	v_min_u32_e32 v95, 32, v95
	v_subrev_nc_u32_e32 v96, 28, v95
	v_sub_nc_u32_e32 v95, 29, v95
	v_lshlrev_b64 v[96:97], v96, v[1:2]
	v_and_b32_e32 v1, 7, v96
; %bb.182:                              ;   in Loop: Header=BB336_9 Depth=1
	s_or_b32 exec_lo, exec_lo, s33
	v_lshlrev_b32_e32 v96, 16, v98
	v_lshlrev_b32_e32 v1, 20, v1
	v_lshl_add_u32 v95, v95, 23, 0x3c000000
	v_and_b32_e32 v96, 0x80000000, v96
	v_or3_b32 v95, v1, v96, v95
.LBB336_183:                            ;   in Loop: Header=BB336_9 Depth=1
	s_or_b32 exec_lo, exec_lo, s31
.LBB336_184:                            ;   in Loop: Header=BB336_9 Depth=1
	s_or_b32 exec_lo, exec_lo, s30
.LBB336_185:                            ;   in Loop: Header=BB336_9 Depth=1
	s_or_b32 exec_lo, exec_lo, s3
	v_and_b32_sdwa v1, v98, v70 dst_sel:DWORD dst_unused:UNUSED_PAD src0_sel:WORD_1 src1_sel:DWORD
	v_mov_b32_e32 v96, 0
	v_mov_b32_e32 v97, 0
	s_mov_b32 s3, exec_lo
	v_cmpx_ne_u16_e32 0, v1
	s_cbranch_execz .LBB336_193
; %bb.186:                              ;   in Loop: Header=BB336_9 Depth=1
	v_bfrev_b32_e32 v97, 1
	s_mov_b32 s30, exec_lo
	v_cmpx_ne_u16_e32 0x80, v1
	s_cbranch_execz .LBB336_192
; %bb.187:                              ;   in Loop: Header=BB336_9 Depth=1
	v_bfe_u32 v99, v98, 16, 7
	v_mov_b32_e32 v97, 0x7f800001
	s_mov_b32 s31, exec_lo
	v_cmpx_ne_u32_e32 0x7f, v99
	s_cbranch_execz .LBB336_191
; %bb.188:                              ;   in Loop: Header=BB336_9 Depth=1
	v_and_b32_sdwa v1, v98, v71 dst_sel:DWORD dst_unused:UNUSED_PAD src0_sel:WORD_1 src1_sel:DWORD
	v_lshrrev_b32_e32 v97, 3, v99
	s_mov_b32 s33, exec_lo
	v_cmpx_gt_u32_e32 8, v99
; %bb.189:                              ;   in Loop: Header=BB336_9 Depth=1
	v_ffbh_u32_e32 v97, v1
	v_min_u32_e32 v97, 32, v97
	v_subrev_nc_u32_e32 v99, 28, v97
	v_sub_nc_u32_e32 v97, 29, v97
	v_lshlrev_b64 v[99:100], v99, v[1:2]
	v_and_b32_e32 v1, 7, v99
; %bb.190:                              ;   in Loop: Header=BB336_9 Depth=1
	s_or_b32 exec_lo, exec_lo, s33
	v_lshlrev_b32_sdwa v99, v72, v98 dst_sel:DWORD dst_unused:UNUSED_PAD src0_sel:DWORD src1_sel:WORD_1
	v_lshlrev_b32_e32 v1, 20, v1
	v_lshl_add_u32 v97, v97, 23, 0x3c000000
	v_and_b32_e32 v99, 0x80000000, v99
	v_or3_b32 v97, v1, v99, v97
.LBB336_191:                            ;   in Loop: Header=BB336_9 Depth=1
	s_or_b32 exec_lo, exec_lo, s31
.LBB336_192:                            ;   in Loop: Header=BB336_9 Depth=1
	s_or_b32 exec_lo, exec_lo, s30
.LBB336_193:                            ;   in Loop: Header=BB336_9 Depth=1
	s_or_b32 exec_lo, exec_lo, s3
	s_mov_b32 s3, exec_lo
	v_cmpx_lt_u32_e32 0xffffff, v98
	s_cbranch_execz .LBB336_201
; %bb.194:                              ;   in Loop: Header=BB336_9 Depth=1
	v_cmp_ne_u32_sdwa s2, v98, v68 src0_sel:BYTE_3 src1_sel:DWORD
	v_bfrev_b32_e32 v96, 1
	s_and_saveexec_b32 s30, s2
	s_cbranch_execz .LBB336_200
; %bb.195:                              ;   in Loop: Header=BB336_9 Depth=1
	v_bfe_u32 v99, v98, 24, 7
	v_mov_b32_e32 v96, 0x7f800001
	s_mov_b32 s31, exec_lo
	v_cmpx_ne_u32_e32 0x7f, v99
	s_cbranch_execz .LBB336_199
; %bb.196:                              ;   in Loop: Header=BB336_9 Depth=1
	v_and_b32_sdwa v1, v98, v71 dst_sel:DWORD dst_unused:UNUSED_PAD src0_sel:BYTE_3 src1_sel:DWORD
	v_lshrrev_b32_e32 v96, 3, v99
	s_mov_b32 s33, exec_lo
	v_cmpx_gt_u32_e32 8, v99
; %bb.197:                              ;   in Loop: Header=BB336_9 Depth=1
	v_ffbh_u32_e32 v96, v1
	v_min_u32_e32 v96, 32, v96
	v_subrev_nc_u32_e32 v99, 28, v96
	v_sub_nc_u32_e32 v96, 29, v96
	v_lshlrev_b64 v[99:100], v99, v[1:2]
	v_and_b32_e32 v1, 7, v99
; %bb.198:                              ;   in Loop: Header=BB336_9 Depth=1
	s_or_b32 exec_lo, exec_lo, s33
	v_lshlrev_b32_sdwa v98, v72, v98 dst_sel:DWORD dst_unused:UNUSED_PAD src0_sel:DWORD src1_sel:BYTE_3
	v_lshlrev_b32_e32 v1, 20, v1
	v_lshl_add_u32 v96, v96, 23, 0x3c000000
	v_and_b32_e32 v98, 0x80000000, v98
	v_or3_b32 v96, v1, v98, v96
.LBB336_199:                            ;   in Loop: Header=BB336_9 Depth=1
	s_or_b32 exec_lo, exec_lo, s31
.LBB336_200:                            ;   in Loop: Header=BB336_9 Depth=1
	s_or_b32 exec_lo, exec_lo, s30
.LBB336_201:                            ;   in Loop: Header=BB336_9 Depth=1
	s_or_b32 exec_lo, exec_lo, s3
	global_load_dword v102, v[7:8], off offset:768
	v_mov_b32_e32 v99, 0
	v_mov_b32_e32 v98, 0
	s_waitcnt vmcnt(0)
	v_cmp_ne_u16_sdwa s2, v102, v2 src0_sel:BYTE_0 src1_sel:DWORD
	s_and_saveexec_b32 s3, s2
	s_cbranch_execz .LBB336_209
; %bb.202:                              ;   in Loop: Header=BB336_9 Depth=1
	v_cmp_ne_u16_sdwa s2, v102, v68 src0_sel:BYTE_0 src1_sel:DWORD
	v_bfrev_b32_e32 v98, 1
	s_and_saveexec_b32 s30, s2
	s_cbranch_execz .LBB336_208
; %bb.203:                              ;   in Loop: Header=BB336_9 Depth=1
	v_and_b32_e32 v100, 0x7f, v102
	v_mov_b32_e32 v98, 0x7f800001
	s_mov_b32 s31, exec_lo
	v_cmpx_ne_u32_e32 0x7f, v100
	s_cbranch_execz .LBB336_207
; %bb.204:                              ;   in Loop: Header=BB336_9 Depth=1
	v_and_b32_e32 v1, 7, v102
	v_lshrrev_b32_e32 v98, 3, v100
	s_mov_b32 s33, exec_lo
	v_cmpx_gt_u32_e32 8, v100
; %bb.205:                              ;   in Loop: Header=BB336_9 Depth=1
	v_ffbh_u32_e32 v98, v1
	v_min_u32_e32 v98, 32, v98
	v_subrev_nc_u32_e32 v100, 28, v98
	v_sub_nc_u32_e32 v98, 29, v98
	v_lshlrev_b64 v[100:101], v100, v[1:2]
	v_and_b32_e32 v1, 7, v100
; %bb.206:                              ;   in Loop: Header=BB336_9 Depth=1
	s_or_b32 exec_lo, exec_lo, s33
	v_lshlrev_b32_e32 v100, 24, v102
	v_lshlrev_b32_e32 v1, 20, v1
	v_lshl_add_u32 v98, v98, 23, 0x3c000000
	v_and_b32_e32 v100, 0x80000000, v100
	v_or3_b32 v98, v1, v100, v98
.LBB336_207:                            ;   in Loop: Header=BB336_9 Depth=1
	s_or_b32 exec_lo, exec_lo, s31
.LBB336_208:                            ;   in Loop: Header=BB336_9 Depth=1
	s_or_b32 exec_lo, exec_lo, s30
.LBB336_209:                            ;   in Loop: Header=BB336_9 Depth=1
	s_or_b32 exec_lo, exec_lo, s3
	v_cmp_ne_u16_sdwa s2, v102, v2 src0_sel:BYTE_1 src1_sel:DWORD
	s_and_saveexec_b32 s3, s2
	s_cbranch_execz .LBB336_217
; %bb.210:                              ;   in Loop: Header=BB336_9 Depth=1
	v_cmp_ne_u16_sdwa s2, v102, v68 src0_sel:BYTE_1 src1_sel:DWORD
	v_bfrev_b32_e32 v99, 1
	s_and_saveexec_b32 s30, s2
	s_cbranch_execz .LBB336_216
; %bb.211:                              ;   in Loop: Header=BB336_9 Depth=1
	v_and_b32_sdwa v1, v69, v102 dst_sel:DWORD dst_unused:UNUSED_PAD src0_sel:DWORD src1_sel:BYTE_1
	v_mov_b32_e32 v99, 0x7f800001
	s_mov_b32 s31, exec_lo
	v_and_b32_e32 v100, 0x7f, v1
	v_cmpx_ne_u32_e32 0x7f, v100
	s_cbranch_execz .LBB336_215
; %bb.212:                              ;   in Loop: Header=BB336_9 Depth=1
	v_and_b32_e32 v1, 7, v1
	v_lshrrev_b32_e32 v99, 3, v100
	s_mov_b32 s33, exec_lo
	v_cmpx_gt_u32_e32 8, v100
; %bb.213:                              ;   in Loop: Header=BB336_9 Depth=1
	v_ffbh_u32_e32 v99, v1
	v_min_u32_e32 v99, 32, v99
	v_subrev_nc_u32_e32 v100, 28, v99
	v_sub_nc_u32_e32 v99, 29, v99
	v_lshlrev_b64 v[100:101], v100, v[1:2]
	v_and_b32_e32 v1, 7, v100
; %bb.214:                              ;   in Loop: Header=BB336_9 Depth=1
	s_or_b32 exec_lo, exec_lo, s33
	v_lshlrev_b32_e32 v100, 16, v102
	v_lshlrev_b32_e32 v1, 20, v1
	v_lshl_add_u32 v99, v99, 23, 0x3c000000
	v_and_b32_e32 v100, 0x80000000, v100
	v_or3_b32 v99, v1, v100, v99
.LBB336_215:                            ;   in Loop: Header=BB336_9 Depth=1
	s_or_b32 exec_lo, exec_lo, s31
.LBB336_216:                            ;   in Loop: Header=BB336_9 Depth=1
	s_or_b32 exec_lo, exec_lo, s30
.LBB336_217:                            ;   in Loop: Header=BB336_9 Depth=1
	s_or_b32 exec_lo, exec_lo, s3
	v_and_b32_sdwa v1, v102, v70 dst_sel:DWORD dst_unused:UNUSED_PAD src0_sel:WORD_1 src1_sel:DWORD
	v_mov_b32_e32 v100, 0
	v_mov_b32_e32 v101, 0
	s_mov_b32 s3, exec_lo
	v_cmpx_ne_u16_e32 0, v1
	s_cbranch_execz .LBB336_225
; %bb.218:                              ;   in Loop: Header=BB336_9 Depth=1
	v_bfrev_b32_e32 v101, 1
	s_mov_b32 s30, exec_lo
	v_cmpx_ne_u16_e32 0x80, v1
	s_cbranch_execz .LBB336_224
; %bb.219:                              ;   in Loop: Header=BB336_9 Depth=1
	v_bfe_u32 v103, v102, 16, 7
	v_mov_b32_e32 v101, 0x7f800001
	s_mov_b32 s31, exec_lo
	v_cmpx_ne_u32_e32 0x7f, v103
	s_cbranch_execz .LBB336_223
; %bb.220:                              ;   in Loop: Header=BB336_9 Depth=1
	v_and_b32_sdwa v1, v102, v71 dst_sel:DWORD dst_unused:UNUSED_PAD src0_sel:WORD_1 src1_sel:DWORD
	v_lshrrev_b32_e32 v101, 3, v103
	s_mov_b32 s33, exec_lo
	v_cmpx_gt_u32_e32 8, v103
; %bb.221:                              ;   in Loop: Header=BB336_9 Depth=1
	v_ffbh_u32_e32 v101, v1
	v_min_u32_e32 v101, 32, v101
	v_subrev_nc_u32_e32 v103, 28, v101
	v_sub_nc_u32_e32 v101, 29, v101
	v_lshlrev_b64 v[103:104], v103, v[1:2]
	v_and_b32_e32 v1, 7, v103
; %bb.222:                              ;   in Loop: Header=BB336_9 Depth=1
	s_or_b32 exec_lo, exec_lo, s33
	v_lshlrev_b32_sdwa v103, v72, v102 dst_sel:DWORD dst_unused:UNUSED_PAD src0_sel:DWORD src1_sel:WORD_1
	v_lshlrev_b32_e32 v1, 20, v1
	v_lshl_add_u32 v101, v101, 23, 0x3c000000
	v_and_b32_e32 v103, 0x80000000, v103
	v_or3_b32 v101, v1, v103, v101
.LBB336_223:                            ;   in Loop: Header=BB336_9 Depth=1
	s_or_b32 exec_lo, exec_lo, s31
.LBB336_224:                            ;   in Loop: Header=BB336_9 Depth=1
	s_or_b32 exec_lo, exec_lo, s30
.LBB336_225:                            ;   in Loop: Header=BB336_9 Depth=1
	s_or_b32 exec_lo, exec_lo, s3
	s_mov_b32 s3, exec_lo
	v_cmpx_lt_u32_e32 0xffffff, v102
	s_cbranch_execz .LBB336_233
; %bb.226:                              ;   in Loop: Header=BB336_9 Depth=1
	v_cmp_ne_u32_sdwa s2, v102, v68 src0_sel:BYTE_3 src1_sel:DWORD
	v_bfrev_b32_e32 v100, 1
	s_and_saveexec_b32 s30, s2
	s_cbranch_execz .LBB336_232
; %bb.227:                              ;   in Loop: Header=BB336_9 Depth=1
	v_bfe_u32 v103, v102, 24, 7
	v_mov_b32_e32 v100, 0x7f800001
	s_mov_b32 s31, exec_lo
	v_cmpx_ne_u32_e32 0x7f, v103
	s_cbranch_execz .LBB336_231
; %bb.228:                              ;   in Loop: Header=BB336_9 Depth=1
	v_and_b32_sdwa v1, v102, v71 dst_sel:DWORD dst_unused:UNUSED_PAD src0_sel:BYTE_3 src1_sel:DWORD
	v_lshrrev_b32_e32 v100, 3, v103
	s_mov_b32 s33, exec_lo
	v_cmpx_gt_u32_e32 8, v103
; %bb.229:                              ;   in Loop: Header=BB336_9 Depth=1
	v_ffbh_u32_e32 v100, v1
	v_min_u32_e32 v100, 32, v100
	v_subrev_nc_u32_e32 v103, 28, v100
	v_sub_nc_u32_e32 v100, 29, v100
	v_lshlrev_b64 v[103:104], v103, v[1:2]
	v_and_b32_e32 v1, 7, v103
; %bb.230:                              ;   in Loop: Header=BB336_9 Depth=1
	s_or_b32 exec_lo, exec_lo, s33
	v_lshlrev_b32_sdwa v102, v72, v102 dst_sel:DWORD dst_unused:UNUSED_PAD src0_sel:DWORD src1_sel:BYTE_3
	v_lshlrev_b32_e32 v1, 20, v1
	v_lshl_add_u32 v100, v100, 23, 0x3c000000
	v_and_b32_e32 v102, 0x80000000, v102
	v_or3_b32 v100, v1, v102, v100
.LBB336_231:                            ;   in Loop: Header=BB336_9 Depth=1
	s_or_b32 exec_lo, exec_lo, s31
.LBB336_232:                            ;   in Loop: Header=BB336_9 Depth=1
	s_or_b32 exec_lo, exec_lo, s30
.LBB336_233:                            ;   in Loop: Header=BB336_9 Depth=1
	s_or_b32 exec_lo, exec_lo, s3
	global_load_dword v106, v[7:8], off offset:776
	v_mov_b32_e32 v103, 0
	v_mov_b32_e32 v102, 0
	s_waitcnt vmcnt(0)
	v_cmp_ne_u16_sdwa s2, v106, v2 src0_sel:BYTE_0 src1_sel:DWORD
	s_and_saveexec_b32 s3, s2
	s_cbranch_execz .LBB336_241
; %bb.234:                              ;   in Loop: Header=BB336_9 Depth=1
	v_cmp_ne_u16_sdwa s2, v106, v68 src0_sel:BYTE_0 src1_sel:DWORD
	v_bfrev_b32_e32 v102, 1
	s_and_saveexec_b32 s30, s2
	s_cbranch_execz .LBB336_240
; %bb.235:                              ;   in Loop: Header=BB336_9 Depth=1
	v_and_b32_e32 v104, 0x7f, v106
	v_mov_b32_e32 v102, 0x7f800001
	s_mov_b32 s31, exec_lo
	v_cmpx_ne_u32_e32 0x7f, v104
	s_cbranch_execz .LBB336_239
; %bb.236:                              ;   in Loop: Header=BB336_9 Depth=1
	v_and_b32_e32 v1, 7, v106
	v_lshrrev_b32_e32 v102, 3, v104
	s_mov_b32 s33, exec_lo
	v_cmpx_gt_u32_e32 8, v104
; %bb.237:                              ;   in Loop: Header=BB336_9 Depth=1
	v_ffbh_u32_e32 v102, v1
	v_min_u32_e32 v102, 32, v102
	v_subrev_nc_u32_e32 v104, 28, v102
	v_sub_nc_u32_e32 v102, 29, v102
	v_lshlrev_b64 v[104:105], v104, v[1:2]
	v_and_b32_e32 v1, 7, v104
; %bb.238:                              ;   in Loop: Header=BB336_9 Depth=1
	s_or_b32 exec_lo, exec_lo, s33
	v_lshlrev_b32_e32 v104, 24, v106
	v_lshlrev_b32_e32 v1, 20, v1
	v_lshl_add_u32 v102, v102, 23, 0x3c000000
	v_and_b32_e32 v104, 0x80000000, v104
	v_or3_b32 v102, v1, v104, v102
.LBB336_239:                            ;   in Loop: Header=BB336_9 Depth=1
	s_or_b32 exec_lo, exec_lo, s31
.LBB336_240:                            ;   in Loop: Header=BB336_9 Depth=1
	s_or_b32 exec_lo, exec_lo, s30
.LBB336_241:                            ;   in Loop: Header=BB336_9 Depth=1
	s_or_b32 exec_lo, exec_lo, s3
	v_cmp_ne_u16_sdwa s2, v106, v2 src0_sel:BYTE_1 src1_sel:DWORD
	s_and_saveexec_b32 s3, s2
	s_cbranch_execz .LBB336_249
; %bb.242:                              ;   in Loop: Header=BB336_9 Depth=1
	v_cmp_ne_u16_sdwa s2, v106, v68 src0_sel:BYTE_1 src1_sel:DWORD
	v_bfrev_b32_e32 v103, 1
	s_and_saveexec_b32 s30, s2
	s_cbranch_execz .LBB336_248
; %bb.243:                              ;   in Loop: Header=BB336_9 Depth=1
	v_and_b32_sdwa v1, v69, v106 dst_sel:DWORD dst_unused:UNUSED_PAD src0_sel:DWORD src1_sel:BYTE_1
	v_mov_b32_e32 v103, 0x7f800001
	s_mov_b32 s31, exec_lo
	v_and_b32_e32 v104, 0x7f, v1
	v_cmpx_ne_u32_e32 0x7f, v104
	s_cbranch_execz .LBB336_247
; %bb.244:                              ;   in Loop: Header=BB336_9 Depth=1
	v_and_b32_e32 v1, 7, v1
	v_lshrrev_b32_e32 v103, 3, v104
	s_mov_b32 s33, exec_lo
	v_cmpx_gt_u32_e32 8, v104
; %bb.245:                              ;   in Loop: Header=BB336_9 Depth=1
	v_ffbh_u32_e32 v103, v1
	v_min_u32_e32 v103, 32, v103
	v_subrev_nc_u32_e32 v104, 28, v103
	v_sub_nc_u32_e32 v103, 29, v103
	v_lshlrev_b64 v[104:105], v104, v[1:2]
	v_and_b32_e32 v1, 7, v104
; %bb.246:                              ;   in Loop: Header=BB336_9 Depth=1
	s_or_b32 exec_lo, exec_lo, s33
	v_lshlrev_b32_e32 v104, 16, v106
	v_lshlrev_b32_e32 v1, 20, v1
	v_lshl_add_u32 v103, v103, 23, 0x3c000000
	v_and_b32_e32 v104, 0x80000000, v104
	v_or3_b32 v103, v1, v104, v103
.LBB336_247:                            ;   in Loop: Header=BB336_9 Depth=1
	s_or_b32 exec_lo, exec_lo, s31
.LBB336_248:                            ;   in Loop: Header=BB336_9 Depth=1
	s_or_b32 exec_lo, exec_lo, s30
.LBB336_249:                            ;   in Loop: Header=BB336_9 Depth=1
	s_or_b32 exec_lo, exec_lo, s3
	v_and_b32_sdwa v1, v106, v70 dst_sel:DWORD dst_unused:UNUSED_PAD src0_sel:WORD_1 src1_sel:DWORD
	v_mov_b32_e32 v104, 0
	v_mov_b32_e32 v105, 0
	s_mov_b32 s3, exec_lo
	v_cmpx_ne_u16_e32 0, v1
	s_cbranch_execz .LBB336_257
; %bb.250:                              ;   in Loop: Header=BB336_9 Depth=1
	v_bfrev_b32_e32 v105, 1
	s_mov_b32 s30, exec_lo
	v_cmpx_ne_u16_e32 0x80, v1
	s_cbranch_execz .LBB336_256
; %bb.251:                              ;   in Loop: Header=BB336_9 Depth=1
	v_bfe_u32 v107, v106, 16, 7
	v_mov_b32_e32 v105, 0x7f800001
	s_mov_b32 s31, exec_lo
	v_cmpx_ne_u32_e32 0x7f, v107
	s_cbranch_execz .LBB336_255
; %bb.252:                              ;   in Loop: Header=BB336_9 Depth=1
	v_and_b32_sdwa v1, v106, v71 dst_sel:DWORD dst_unused:UNUSED_PAD src0_sel:WORD_1 src1_sel:DWORD
	v_lshrrev_b32_e32 v105, 3, v107
	s_mov_b32 s33, exec_lo
	v_cmpx_gt_u32_e32 8, v107
; %bb.253:                              ;   in Loop: Header=BB336_9 Depth=1
	v_ffbh_u32_e32 v105, v1
	v_min_u32_e32 v105, 32, v105
	v_subrev_nc_u32_e32 v107, 28, v105
	v_sub_nc_u32_e32 v105, 29, v105
	v_lshlrev_b64 v[107:108], v107, v[1:2]
	v_and_b32_e32 v1, 7, v107
; %bb.254:                              ;   in Loop: Header=BB336_9 Depth=1
	s_or_b32 exec_lo, exec_lo, s33
	v_lshlrev_b32_sdwa v107, v72, v106 dst_sel:DWORD dst_unused:UNUSED_PAD src0_sel:DWORD src1_sel:WORD_1
	v_lshlrev_b32_e32 v1, 20, v1
	v_lshl_add_u32 v105, v105, 23, 0x3c000000
	v_and_b32_e32 v107, 0x80000000, v107
	v_or3_b32 v105, v1, v107, v105
.LBB336_255:                            ;   in Loop: Header=BB336_9 Depth=1
	s_or_b32 exec_lo, exec_lo, s31
.LBB336_256:                            ;   in Loop: Header=BB336_9 Depth=1
	s_or_b32 exec_lo, exec_lo, s30
.LBB336_257:                            ;   in Loop: Header=BB336_9 Depth=1
	s_or_b32 exec_lo, exec_lo, s3
	s_mov_b32 s3, exec_lo
	v_cmpx_lt_u32_e32 0xffffff, v106
	s_cbranch_execz .LBB336_265
; %bb.258:                              ;   in Loop: Header=BB336_9 Depth=1
	v_cmp_ne_u32_sdwa s2, v106, v68 src0_sel:BYTE_3 src1_sel:DWORD
	v_bfrev_b32_e32 v104, 1
	s_and_saveexec_b32 s30, s2
	s_cbranch_execz .LBB336_264
; %bb.259:                              ;   in Loop: Header=BB336_9 Depth=1
	v_bfe_u32 v107, v106, 24, 7
	v_mov_b32_e32 v104, 0x7f800001
	s_mov_b32 s31, exec_lo
	v_cmpx_ne_u32_e32 0x7f, v107
	s_cbranch_execz .LBB336_263
; %bb.260:                              ;   in Loop: Header=BB336_9 Depth=1
	v_and_b32_sdwa v1, v106, v71 dst_sel:DWORD dst_unused:UNUSED_PAD src0_sel:BYTE_3 src1_sel:DWORD
	v_lshrrev_b32_e32 v104, 3, v107
	s_mov_b32 s33, exec_lo
	v_cmpx_gt_u32_e32 8, v107
; %bb.261:                              ;   in Loop: Header=BB336_9 Depth=1
	v_ffbh_u32_e32 v104, v1
	v_min_u32_e32 v104, 32, v104
	v_subrev_nc_u32_e32 v107, 28, v104
	v_sub_nc_u32_e32 v104, 29, v104
	v_lshlrev_b64 v[107:108], v107, v[1:2]
	v_and_b32_e32 v1, 7, v107
; %bb.262:                              ;   in Loop: Header=BB336_9 Depth=1
	s_or_b32 exec_lo, exec_lo, s33
	v_lshlrev_b32_sdwa v106, v72, v106 dst_sel:DWORD dst_unused:UNUSED_PAD src0_sel:DWORD src1_sel:BYTE_3
	v_lshlrev_b32_e32 v1, 20, v1
	v_lshl_add_u32 v104, v104, 23, 0x3c000000
	v_and_b32_e32 v106, 0x80000000, v106
	v_or3_b32 v104, v1, v106, v104
.LBB336_263:                            ;   in Loop: Header=BB336_9 Depth=1
	s_or_b32 exec_lo, exec_lo, s31
.LBB336_264:                            ;   in Loop: Header=BB336_9 Depth=1
	s_or_b32 exec_lo, exec_lo, s30
.LBB336_265:                            ;   in Loop: Header=BB336_9 Depth=1
	s_or_b32 exec_lo, exec_lo, s3
	global_load_dword v110, v[7:8], off offset:1024
	v_mov_b32_e32 v107, 0
	v_mov_b32_e32 v106, 0
	s_waitcnt vmcnt(0)
	v_cmp_ne_u16_sdwa s2, v110, v2 src0_sel:BYTE_0 src1_sel:DWORD
	s_and_saveexec_b32 s3, s2
	s_cbranch_execz .LBB336_273
; %bb.266:                              ;   in Loop: Header=BB336_9 Depth=1
	v_cmp_ne_u16_sdwa s2, v110, v68 src0_sel:BYTE_0 src1_sel:DWORD
	v_bfrev_b32_e32 v106, 1
	s_and_saveexec_b32 s30, s2
	s_cbranch_execz .LBB336_272
; %bb.267:                              ;   in Loop: Header=BB336_9 Depth=1
	v_and_b32_e32 v108, 0x7f, v110
	v_mov_b32_e32 v106, 0x7f800001
	s_mov_b32 s31, exec_lo
	v_cmpx_ne_u32_e32 0x7f, v108
	s_cbranch_execz .LBB336_271
; %bb.268:                              ;   in Loop: Header=BB336_9 Depth=1
	v_and_b32_e32 v1, 7, v110
	v_lshrrev_b32_e32 v106, 3, v108
	s_mov_b32 s33, exec_lo
	v_cmpx_gt_u32_e32 8, v108
; %bb.269:                              ;   in Loop: Header=BB336_9 Depth=1
	v_ffbh_u32_e32 v106, v1
	v_min_u32_e32 v106, 32, v106
	v_subrev_nc_u32_e32 v108, 28, v106
	v_sub_nc_u32_e32 v106, 29, v106
	v_lshlrev_b64 v[108:109], v108, v[1:2]
	v_and_b32_e32 v1, 7, v108
; %bb.270:                              ;   in Loop: Header=BB336_9 Depth=1
	s_or_b32 exec_lo, exec_lo, s33
	v_lshlrev_b32_e32 v108, 24, v110
	v_lshlrev_b32_e32 v1, 20, v1
	v_lshl_add_u32 v106, v106, 23, 0x3c000000
	v_and_b32_e32 v108, 0x80000000, v108
	v_or3_b32 v106, v1, v108, v106
.LBB336_271:                            ;   in Loop: Header=BB336_9 Depth=1
	s_or_b32 exec_lo, exec_lo, s31
.LBB336_272:                            ;   in Loop: Header=BB336_9 Depth=1
	s_or_b32 exec_lo, exec_lo, s30
.LBB336_273:                            ;   in Loop: Header=BB336_9 Depth=1
	s_or_b32 exec_lo, exec_lo, s3
	v_cmp_ne_u16_sdwa s2, v110, v2 src0_sel:BYTE_1 src1_sel:DWORD
	s_and_saveexec_b32 s3, s2
	s_cbranch_execz .LBB336_281
; %bb.274:                              ;   in Loop: Header=BB336_9 Depth=1
	v_cmp_ne_u16_sdwa s2, v110, v68 src0_sel:BYTE_1 src1_sel:DWORD
	v_bfrev_b32_e32 v107, 1
	s_and_saveexec_b32 s30, s2
	s_cbranch_execz .LBB336_280
; %bb.275:                              ;   in Loop: Header=BB336_9 Depth=1
	v_and_b32_sdwa v1, v69, v110 dst_sel:DWORD dst_unused:UNUSED_PAD src0_sel:DWORD src1_sel:BYTE_1
	v_mov_b32_e32 v107, 0x7f800001
	s_mov_b32 s31, exec_lo
	v_and_b32_e32 v108, 0x7f, v1
	v_cmpx_ne_u32_e32 0x7f, v108
	s_cbranch_execz .LBB336_279
; %bb.276:                              ;   in Loop: Header=BB336_9 Depth=1
	v_and_b32_e32 v1, 7, v1
	v_lshrrev_b32_e32 v107, 3, v108
	s_mov_b32 s33, exec_lo
	v_cmpx_gt_u32_e32 8, v108
; %bb.277:                              ;   in Loop: Header=BB336_9 Depth=1
	v_ffbh_u32_e32 v107, v1
	v_min_u32_e32 v107, 32, v107
	v_subrev_nc_u32_e32 v108, 28, v107
	v_sub_nc_u32_e32 v107, 29, v107
	v_lshlrev_b64 v[108:109], v108, v[1:2]
	v_and_b32_e32 v1, 7, v108
; %bb.278:                              ;   in Loop: Header=BB336_9 Depth=1
	s_or_b32 exec_lo, exec_lo, s33
	v_lshlrev_b32_e32 v108, 16, v110
	v_lshlrev_b32_e32 v1, 20, v1
	v_lshl_add_u32 v107, v107, 23, 0x3c000000
	v_and_b32_e32 v108, 0x80000000, v108
	v_or3_b32 v107, v1, v108, v107
.LBB336_279:                            ;   in Loop: Header=BB336_9 Depth=1
	s_or_b32 exec_lo, exec_lo, s31
.LBB336_280:                            ;   in Loop: Header=BB336_9 Depth=1
	s_or_b32 exec_lo, exec_lo, s30
.LBB336_281:                            ;   in Loop: Header=BB336_9 Depth=1
	s_or_b32 exec_lo, exec_lo, s3
	v_and_b32_sdwa v1, v110, v70 dst_sel:DWORD dst_unused:UNUSED_PAD src0_sel:WORD_1 src1_sel:DWORD
	v_mov_b32_e32 v108, 0
	v_mov_b32_e32 v109, 0
	s_mov_b32 s3, exec_lo
	v_cmpx_ne_u16_e32 0, v1
	s_cbranch_execz .LBB336_289
; %bb.282:                              ;   in Loop: Header=BB336_9 Depth=1
	v_bfrev_b32_e32 v109, 1
	s_mov_b32 s30, exec_lo
	v_cmpx_ne_u16_e32 0x80, v1
	s_cbranch_execz .LBB336_288
; %bb.283:                              ;   in Loop: Header=BB336_9 Depth=1
	v_bfe_u32 v111, v110, 16, 7
	v_mov_b32_e32 v109, 0x7f800001
	s_mov_b32 s31, exec_lo
	v_cmpx_ne_u32_e32 0x7f, v111
	s_cbranch_execz .LBB336_287
; %bb.284:                              ;   in Loop: Header=BB336_9 Depth=1
	v_and_b32_sdwa v1, v110, v71 dst_sel:DWORD dst_unused:UNUSED_PAD src0_sel:WORD_1 src1_sel:DWORD
	v_lshrrev_b32_e32 v109, 3, v111
	s_mov_b32 s33, exec_lo
	v_cmpx_gt_u32_e32 8, v111
; %bb.285:                              ;   in Loop: Header=BB336_9 Depth=1
	v_ffbh_u32_e32 v109, v1
	v_min_u32_e32 v109, 32, v109
	v_subrev_nc_u32_e32 v111, 28, v109
	v_sub_nc_u32_e32 v109, 29, v109
	v_lshlrev_b64 v[111:112], v111, v[1:2]
	v_and_b32_e32 v1, 7, v111
; %bb.286:                              ;   in Loop: Header=BB336_9 Depth=1
	s_or_b32 exec_lo, exec_lo, s33
	v_lshlrev_b32_sdwa v111, v72, v110 dst_sel:DWORD dst_unused:UNUSED_PAD src0_sel:DWORD src1_sel:WORD_1
	v_lshlrev_b32_e32 v1, 20, v1
	v_lshl_add_u32 v109, v109, 23, 0x3c000000
	v_and_b32_e32 v111, 0x80000000, v111
	v_or3_b32 v109, v1, v111, v109
.LBB336_287:                            ;   in Loop: Header=BB336_9 Depth=1
	s_or_b32 exec_lo, exec_lo, s31
.LBB336_288:                            ;   in Loop: Header=BB336_9 Depth=1
	s_or_b32 exec_lo, exec_lo, s30
.LBB336_289:                            ;   in Loop: Header=BB336_9 Depth=1
	s_or_b32 exec_lo, exec_lo, s3
	s_mov_b32 s3, exec_lo
	v_cmpx_lt_u32_e32 0xffffff, v110
	s_cbranch_execz .LBB336_297
; %bb.290:                              ;   in Loop: Header=BB336_9 Depth=1
	v_cmp_ne_u32_sdwa s2, v110, v68 src0_sel:BYTE_3 src1_sel:DWORD
	v_bfrev_b32_e32 v108, 1
	s_and_saveexec_b32 s30, s2
	s_cbranch_execz .LBB336_296
; %bb.291:                              ;   in Loop: Header=BB336_9 Depth=1
	v_bfe_u32 v111, v110, 24, 7
	v_mov_b32_e32 v108, 0x7f800001
	s_mov_b32 s31, exec_lo
	v_cmpx_ne_u32_e32 0x7f, v111
	s_cbranch_execz .LBB336_295
; %bb.292:                              ;   in Loop: Header=BB336_9 Depth=1
	v_and_b32_sdwa v1, v110, v71 dst_sel:DWORD dst_unused:UNUSED_PAD src0_sel:BYTE_3 src1_sel:DWORD
	v_lshrrev_b32_e32 v108, 3, v111
	s_mov_b32 s33, exec_lo
	v_cmpx_gt_u32_e32 8, v111
; %bb.293:                              ;   in Loop: Header=BB336_9 Depth=1
	v_ffbh_u32_e32 v108, v1
	v_min_u32_e32 v108, 32, v108
	v_subrev_nc_u32_e32 v111, 28, v108
	v_sub_nc_u32_e32 v108, 29, v108
	v_lshlrev_b64 v[111:112], v111, v[1:2]
	v_and_b32_e32 v1, 7, v111
; %bb.294:                              ;   in Loop: Header=BB336_9 Depth=1
	s_or_b32 exec_lo, exec_lo, s33
	v_lshlrev_b32_sdwa v110, v72, v110 dst_sel:DWORD dst_unused:UNUSED_PAD src0_sel:DWORD src1_sel:BYTE_3
	v_lshlrev_b32_e32 v1, 20, v1
	v_lshl_add_u32 v108, v108, 23, 0x3c000000
	v_and_b32_e32 v110, 0x80000000, v110
	v_or3_b32 v108, v1, v110, v108
.LBB336_295:                            ;   in Loop: Header=BB336_9 Depth=1
	s_or_b32 exec_lo, exec_lo, s31
.LBB336_296:                            ;   in Loop: Header=BB336_9 Depth=1
	s_or_b32 exec_lo, exec_lo, s30
.LBB336_297:                            ;   in Loop: Header=BB336_9 Depth=1
	s_or_b32 exec_lo, exec_lo, s3
	global_load_dword v114, v[7:8], off offset:1032
	v_mov_b32_e32 v111, 0
	v_mov_b32_e32 v110, 0
	s_waitcnt vmcnt(0)
	v_cmp_ne_u16_sdwa s2, v114, v2 src0_sel:BYTE_0 src1_sel:DWORD
	s_and_saveexec_b32 s3, s2
	s_cbranch_execz .LBB336_305
; %bb.298:                              ;   in Loop: Header=BB336_9 Depth=1
	v_cmp_ne_u16_sdwa s2, v114, v68 src0_sel:BYTE_0 src1_sel:DWORD
	v_bfrev_b32_e32 v110, 1
	s_and_saveexec_b32 s30, s2
	s_cbranch_execz .LBB336_304
; %bb.299:                              ;   in Loop: Header=BB336_9 Depth=1
	v_and_b32_e32 v112, 0x7f, v114
	v_mov_b32_e32 v110, 0x7f800001
	s_mov_b32 s31, exec_lo
	v_cmpx_ne_u32_e32 0x7f, v112
	s_cbranch_execz .LBB336_303
; %bb.300:                              ;   in Loop: Header=BB336_9 Depth=1
	v_and_b32_e32 v1, 7, v114
	v_lshrrev_b32_e32 v110, 3, v112
	s_mov_b32 s33, exec_lo
	v_cmpx_gt_u32_e32 8, v112
; %bb.301:                              ;   in Loop: Header=BB336_9 Depth=1
	v_ffbh_u32_e32 v110, v1
	v_min_u32_e32 v110, 32, v110
	v_subrev_nc_u32_e32 v112, 28, v110
	v_sub_nc_u32_e32 v110, 29, v110
	v_lshlrev_b64 v[112:113], v112, v[1:2]
	v_and_b32_e32 v1, 7, v112
; %bb.302:                              ;   in Loop: Header=BB336_9 Depth=1
	s_or_b32 exec_lo, exec_lo, s33
	v_lshlrev_b32_e32 v112, 24, v114
	v_lshlrev_b32_e32 v1, 20, v1
	v_lshl_add_u32 v110, v110, 23, 0x3c000000
	v_and_b32_e32 v112, 0x80000000, v112
	v_or3_b32 v110, v1, v112, v110
.LBB336_303:                            ;   in Loop: Header=BB336_9 Depth=1
	s_or_b32 exec_lo, exec_lo, s31
.LBB336_304:                            ;   in Loop: Header=BB336_9 Depth=1
	s_or_b32 exec_lo, exec_lo, s30
.LBB336_305:                            ;   in Loop: Header=BB336_9 Depth=1
	s_or_b32 exec_lo, exec_lo, s3
	v_cmp_ne_u16_sdwa s2, v114, v2 src0_sel:BYTE_1 src1_sel:DWORD
	s_and_saveexec_b32 s3, s2
	s_cbranch_execz .LBB336_313
; %bb.306:                              ;   in Loop: Header=BB336_9 Depth=1
	v_cmp_ne_u16_sdwa s2, v114, v68 src0_sel:BYTE_1 src1_sel:DWORD
	v_bfrev_b32_e32 v111, 1
	s_and_saveexec_b32 s30, s2
	s_cbranch_execz .LBB336_312
; %bb.307:                              ;   in Loop: Header=BB336_9 Depth=1
	v_and_b32_sdwa v1, v69, v114 dst_sel:DWORD dst_unused:UNUSED_PAD src0_sel:DWORD src1_sel:BYTE_1
	v_mov_b32_e32 v111, 0x7f800001
	s_mov_b32 s31, exec_lo
	v_and_b32_e32 v112, 0x7f, v1
	v_cmpx_ne_u32_e32 0x7f, v112
	s_cbranch_execz .LBB336_311
; %bb.308:                              ;   in Loop: Header=BB336_9 Depth=1
	v_and_b32_e32 v1, 7, v1
	v_lshrrev_b32_e32 v111, 3, v112
	s_mov_b32 s33, exec_lo
	v_cmpx_gt_u32_e32 8, v112
; %bb.309:                              ;   in Loop: Header=BB336_9 Depth=1
	v_ffbh_u32_e32 v111, v1
	v_min_u32_e32 v111, 32, v111
	v_subrev_nc_u32_e32 v112, 28, v111
	v_sub_nc_u32_e32 v111, 29, v111
	v_lshlrev_b64 v[112:113], v112, v[1:2]
	v_and_b32_e32 v1, 7, v112
; %bb.310:                              ;   in Loop: Header=BB336_9 Depth=1
	s_or_b32 exec_lo, exec_lo, s33
	v_lshlrev_b32_e32 v112, 16, v114
	v_lshlrev_b32_e32 v1, 20, v1
	v_lshl_add_u32 v111, v111, 23, 0x3c000000
	v_and_b32_e32 v112, 0x80000000, v112
	v_or3_b32 v111, v1, v112, v111
.LBB336_311:                            ;   in Loop: Header=BB336_9 Depth=1
	s_or_b32 exec_lo, exec_lo, s31
.LBB336_312:                            ;   in Loop: Header=BB336_9 Depth=1
	s_or_b32 exec_lo, exec_lo, s30
.LBB336_313:                            ;   in Loop: Header=BB336_9 Depth=1
	s_or_b32 exec_lo, exec_lo, s3
	v_and_b32_sdwa v1, v114, v70 dst_sel:DWORD dst_unused:UNUSED_PAD src0_sel:WORD_1 src1_sel:DWORD
	v_mov_b32_e32 v112, 0
	v_mov_b32_e32 v113, 0
	s_mov_b32 s3, exec_lo
	v_cmpx_ne_u16_e32 0, v1
	s_cbranch_execz .LBB336_321
; %bb.314:                              ;   in Loop: Header=BB336_9 Depth=1
	v_bfrev_b32_e32 v113, 1
	s_mov_b32 s30, exec_lo
	v_cmpx_ne_u16_e32 0x80, v1
	s_cbranch_execz .LBB336_320
; %bb.315:                              ;   in Loop: Header=BB336_9 Depth=1
	v_bfe_u32 v115, v114, 16, 7
	v_mov_b32_e32 v113, 0x7f800001
	s_mov_b32 s31, exec_lo
	v_cmpx_ne_u32_e32 0x7f, v115
	s_cbranch_execz .LBB336_319
; %bb.316:                              ;   in Loop: Header=BB336_9 Depth=1
	v_and_b32_sdwa v1, v114, v71 dst_sel:DWORD dst_unused:UNUSED_PAD src0_sel:WORD_1 src1_sel:DWORD
	v_lshrrev_b32_e32 v113, 3, v115
	s_mov_b32 s33, exec_lo
	v_cmpx_gt_u32_e32 8, v115
; %bb.317:                              ;   in Loop: Header=BB336_9 Depth=1
	v_ffbh_u32_e32 v113, v1
	v_min_u32_e32 v113, 32, v113
	v_subrev_nc_u32_e32 v115, 28, v113
	v_sub_nc_u32_e32 v113, 29, v113
	v_lshlrev_b64 v[115:116], v115, v[1:2]
	v_and_b32_e32 v1, 7, v115
; %bb.318:                              ;   in Loop: Header=BB336_9 Depth=1
	s_or_b32 exec_lo, exec_lo, s33
	v_lshlrev_b32_sdwa v115, v72, v114 dst_sel:DWORD dst_unused:UNUSED_PAD src0_sel:DWORD src1_sel:WORD_1
	v_lshlrev_b32_e32 v1, 20, v1
	v_lshl_add_u32 v113, v113, 23, 0x3c000000
	v_and_b32_e32 v115, 0x80000000, v115
	v_or3_b32 v113, v1, v115, v113
.LBB336_319:                            ;   in Loop: Header=BB336_9 Depth=1
	s_or_b32 exec_lo, exec_lo, s31
.LBB336_320:                            ;   in Loop: Header=BB336_9 Depth=1
	s_or_b32 exec_lo, exec_lo, s30
.LBB336_321:                            ;   in Loop: Header=BB336_9 Depth=1
	s_or_b32 exec_lo, exec_lo, s3
	s_mov_b32 s3, exec_lo
	v_cmpx_lt_u32_e32 0xffffff, v114
	s_cbranch_execz .LBB336_329
; %bb.322:                              ;   in Loop: Header=BB336_9 Depth=1
	v_cmp_ne_u32_sdwa s2, v114, v68 src0_sel:BYTE_3 src1_sel:DWORD
	v_bfrev_b32_e32 v112, 1
	s_and_saveexec_b32 s30, s2
	s_cbranch_execz .LBB336_328
; %bb.323:                              ;   in Loop: Header=BB336_9 Depth=1
	v_bfe_u32 v115, v114, 24, 7
	v_mov_b32_e32 v112, 0x7f800001
	s_mov_b32 s31, exec_lo
	v_cmpx_ne_u32_e32 0x7f, v115
	s_cbranch_execz .LBB336_327
; %bb.324:                              ;   in Loop: Header=BB336_9 Depth=1
	v_and_b32_sdwa v1, v114, v71 dst_sel:DWORD dst_unused:UNUSED_PAD src0_sel:BYTE_3 src1_sel:DWORD
	v_lshrrev_b32_e32 v112, 3, v115
	s_mov_b32 s33, exec_lo
	v_cmpx_gt_u32_e32 8, v115
; %bb.325:                              ;   in Loop: Header=BB336_9 Depth=1
	v_ffbh_u32_e32 v112, v1
	v_min_u32_e32 v112, 32, v112
	v_subrev_nc_u32_e32 v115, 28, v112
	v_sub_nc_u32_e32 v112, 29, v112
	v_lshlrev_b64 v[115:116], v115, v[1:2]
	v_and_b32_e32 v1, 7, v115
; %bb.326:                              ;   in Loop: Header=BB336_9 Depth=1
	s_or_b32 exec_lo, exec_lo, s33
	v_lshlrev_b32_sdwa v114, v72, v114 dst_sel:DWORD dst_unused:UNUSED_PAD src0_sel:DWORD src1_sel:BYTE_3
	v_lshlrev_b32_e32 v1, 20, v1
	v_lshl_add_u32 v112, v112, 23, 0x3c000000
	v_and_b32_e32 v114, 0x80000000, v114
	v_or3_b32 v112, v1, v114, v112
.LBB336_327:                            ;   in Loop: Header=BB336_9 Depth=1
	s_or_b32 exec_lo, exec_lo, s31
.LBB336_328:                            ;   in Loop: Header=BB336_9 Depth=1
	s_or_b32 exec_lo, exec_lo, s30
.LBB336_329:                            ;   in Loop: Header=BB336_9 Depth=1
	s_or_b32 exec_lo, exec_lo, s3
	global_load_dword v116, v[7:8], off offset:1280
	v_mov_b32_e32 v115, 0
	v_mov_b32_e32 v114, 0
	s_waitcnt vmcnt(0)
	v_cmp_ne_u16_sdwa s2, v116, v2 src0_sel:BYTE_0 src1_sel:DWORD
	s_and_saveexec_b32 s3, s2
	s_cbranch_execz .LBB336_337
; %bb.330:                              ;   in Loop: Header=BB336_9 Depth=1
	v_cmp_ne_u16_sdwa s2, v116, v68 src0_sel:BYTE_0 src1_sel:DWORD
	v_bfrev_b32_e32 v114, 1
	s_and_saveexec_b32 s30, s2
	s_cbranch_execz .LBB336_336
; %bb.331:                              ;   in Loop: Header=BB336_9 Depth=1
	v_and_b32_e32 v117, 0x7f, v116
	v_mov_b32_e32 v114, 0x7f800001
	s_mov_b32 s31, exec_lo
	v_cmpx_ne_u32_e32 0x7f, v117
	s_cbranch_execz .LBB336_335
; %bb.332:                              ;   in Loop: Header=BB336_9 Depth=1
	v_and_b32_e32 v1, 7, v116
	v_lshrrev_b32_e32 v114, 3, v117
	s_mov_b32 s33, exec_lo
	v_cmpx_gt_u32_e32 8, v117
; %bb.333:                              ;   in Loop: Header=BB336_9 Depth=1
	v_ffbh_u32_e32 v114, v1
	v_min_u32_e32 v114, 32, v114
	v_subrev_nc_u32_e32 v117, 28, v114
	v_sub_nc_u32_e32 v114, 29, v114
	v_lshlrev_b64 v[117:118], v117, v[1:2]
	v_and_b32_e32 v1, 7, v117
; %bb.334:                              ;   in Loop: Header=BB336_9 Depth=1
	s_or_b32 exec_lo, exec_lo, s33
	v_lshlrev_b32_e32 v117, 24, v116
	v_lshlrev_b32_e32 v1, 20, v1
	v_lshl_add_u32 v114, v114, 23, 0x3c000000
	v_and_b32_e32 v117, 0x80000000, v117
	v_or3_b32 v114, v1, v117, v114
.LBB336_335:                            ;   in Loop: Header=BB336_9 Depth=1
	s_or_b32 exec_lo, exec_lo, s31
.LBB336_336:                            ;   in Loop: Header=BB336_9 Depth=1
	s_or_b32 exec_lo, exec_lo, s30
.LBB336_337:                            ;   in Loop: Header=BB336_9 Depth=1
	s_or_b32 exec_lo, exec_lo, s3
	v_cmp_ne_u16_sdwa s2, v116, v2 src0_sel:BYTE_1 src1_sel:DWORD
	s_and_saveexec_b32 s3, s2
	s_cbranch_execz .LBB336_345
; %bb.338:                              ;   in Loop: Header=BB336_9 Depth=1
	v_cmp_ne_u16_sdwa s2, v116, v68 src0_sel:BYTE_1 src1_sel:DWORD
	v_bfrev_b32_e32 v115, 1
	s_and_saveexec_b32 s30, s2
	s_cbranch_execz .LBB336_344
; %bb.339:                              ;   in Loop: Header=BB336_9 Depth=1
	v_and_b32_sdwa v1, v69, v116 dst_sel:DWORD dst_unused:UNUSED_PAD src0_sel:DWORD src1_sel:BYTE_1
	v_mov_b32_e32 v115, 0x7f800001
	s_mov_b32 s31, exec_lo
	v_and_b32_e32 v117, 0x7f, v1
	v_cmpx_ne_u32_e32 0x7f, v117
	s_cbranch_execz .LBB336_343
; %bb.340:                              ;   in Loop: Header=BB336_9 Depth=1
	v_and_b32_e32 v1, 7, v1
	v_lshrrev_b32_e32 v115, 3, v117
	s_mov_b32 s33, exec_lo
	v_cmpx_gt_u32_e32 8, v117
; %bb.341:                              ;   in Loop: Header=BB336_9 Depth=1
	v_ffbh_u32_e32 v115, v1
	v_min_u32_e32 v115, 32, v115
	v_subrev_nc_u32_e32 v117, 28, v115
	v_sub_nc_u32_e32 v115, 29, v115
	v_lshlrev_b64 v[117:118], v117, v[1:2]
	v_and_b32_e32 v1, 7, v117
; %bb.342:                              ;   in Loop: Header=BB336_9 Depth=1
	s_or_b32 exec_lo, exec_lo, s33
	v_lshlrev_b32_e32 v117, 16, v116
	v_lshlrev_b32_e32 v1, 20, v1
	v_lshl_add_u32 v115, v115, 23, 0x3c000000
	v_and_b32_e32 v117, 0x80000000, v117
	v_or3_b32 v115, v1, v117, v115
.LBB336_343:                            ;   in Loop: Header=BB336_9 Depth=1
	s_or_b32 exec_lo, exec_lo, s31
.LBB336_344:                            ;   in Loop: Header=BB336_9 Depth=1
	s_or_b32 exec_lo, exec_lo, s30
.LBB336_345:                            ;   in Loop: Header=BB336_9 Depth=1
	s_or_b32 exec_lo, exec_lo, s3
	v_and_b32_sdwa v1, v116, v70 dst_sel:DWORD dst_unused:UNUSED_PAD src0_sel:WORD_1 src1_sel:DWORD
	v_mov_b32_e32 v118, 0
	v_mov_b32_e32 v119, 0
	s_mov_b32 s3, exec_lo
	v_cmpx_ne_u16_e32 0, v1
	s_cbranch_execz .LBB336_353
; %bb.346:                              ;   in Loop: Header=BB336_9 Depth=1
	v_bfrev_b32_e32 v119, 1
	s_mov_b32 s30, exec_lo
	v_cmpx_ne_u16_e32 0x80, v1
	s_cbranch_execz .LBB336_352
; %bb.347:                              ;   in Loop: Header=BB336_9 Depth=1
	v_bfe_u32 v120, v116, 16, 7
	v_mov_b32_e32 v119, 0x7f800001
	s_mov_b32 s31, exec_lo
	v_cmpx_ne_u32_e32 0x7f, v120
	s_cbranch_execz .LBB336_351
; %bb.348:                              ;   in Loop: Header=BB336_9 Depth=1
	v_and_b32_sdwa v1, v116, v71 dst_sel:DWORD dst_unused:UNUSED_PAD src0_sel:WORD_1 src1_sel:DWORD
	v_lshrrev_b32_e32 v117, 3, v120
	s_mov_b32 s33, exec_lo
	v_cmpx_gt_u32_e32 8, v120
; %bb.349:                              ;   in Loop: Header=BB336_9 Depth=1
	v_ffbh_u32_e32 v117, v1
	v_min_u32_e32 v117, 32, v117
	v_subrev_nc_u32_e32 v119, 28, v117
	v_sub_nc_u32_e32 v117, 29, v117
	v_lshlrev_b64 v[119:120], v119, v[1:2]
	v_and_b32_e32 v1, 7, v119
; %bb.350:                              ;   in Loop: Header=BB336_9 Depth=1
	s_or_b32 exec_lo, exec_lo, s33
	v_lshlrev_b32_sdwa v119, v72, v116 dst_sel:DWORD dst_unused:UNUSED_PAD src0_sel:DWORD src1_sel:WORD_1
	v_lshlrev_b32_e32 v1, 20, v1
	v_lshl_add_u32 v117, v117, 23, 0x3c000000
	v_and_b32_e32 v119, 0x80000000, v119
	v_or3_b32 v119, v1, v119, v117
.LBB336_351:                            ;   in Loop: Header=BB336_9 Depth=1
	s_or_b32 exec_lo, exec_lo, s31
.LBB336_352:                            ;   in Loop: Header=BB336_9 Depth=1
	s_or_b32 exec_lo, exec_lo, s30
.LBB336_353:                            ;   in Loop: Header=BB336_9 Depth=1
	s_or_b32 exec_lo, exec_lo, s3
	s_mov_b32 s3, exec_lo
	v_cmpx_lt_u32_e32 0xffffff, v116
	s_cbranch_execz .LBB336_361
; %bb.354:                              ;   in Loop: Header=BB336_9 Depth=1
	v_cmp_ne_u32_sdwa s2, v116, v68 src0_sel:BYTE_3 src1_sel:DWORD
	v_bfrev_b32_e32 v118, 1
	s_and_saveexec_b32 s30, s2
	s_cbranch_execz .LBB336_360
; %bb.355:                              ;   in Loop: Header=BB336_9 Depth=1
	v_bfe_u32 v120, v116, 24, 7
	v_mov_b32_e32 v118, 0x7f800001
	s_mov_b32 s31, exec_lo
	v_cmpx_ne_u32_e32 0x7f, v120
	s_cbranch_execz .LBB336_359
; %bb.356:                              ;   in Loop: Header=BB336_9 Depth=1
	v_and_b32_sdwa v1, v116, v71 dst_sel:DWORD dst_unused:UNUSED_PAD src0_sel:BYTE_3 src1_sel:DWORD
	v_lshrrev_b32_e32 v117, 3, v120
	s_mov_b32 s33, exec_lo
	v_cmpx_gt_u32_e32 8, v120
; %bb.357:                              ;   in Loop: Header=BB336_9 Depth=1
	v_ffbh_u32_e32 v117, v1
	v_min_u32_e32 v117, 32, v117
	v_subrev_nc_u32_e32 v118, 28, v117
	v_sub_nc_u32_e32 v117, 29, v117
	v_lshlrev_b64 v[120:121], v118, v[1:2]
	v_and_b32_e32 v1, 7, v120
; %bb.358:                              ;   in Loop: Header=BB336_9 Depth=1
	s_or_b32 exec_lo, exec_lo, s33
	v_lshlrev_b32_sdwa v116, v72, v116 dst_sel:DWORD dst_unused:UNUSED_PAD src0_sel:DWORD src1_sel:BYTE_3
	v_lshlrev_b32_e32 v1, 20, v1
	v_lshl_add_u32 v117, v117, 23, 0x3c000000
	v_and_b32_e32 v116, 0x80000000, v116
	v_or3_b32 v118, v1, v116, v117
.LBB336_359:                            ;   in Loop: Header=BB336_9 Depth=1
	s_or_b32 exec_lo, exec_lo, s31
.LBB336_360:                            ;   in Loop: Header=BB336_9 Depth=1
	s_or_b32 exec_lo, exec_lo, s30
.LBB336_361:                            ;   in Loop: Header=BB336_9 Depth=1
	s_or_b32 exec_lo, exec_lo, s3
	global_load_dword v7, v[7:8], off offset:1288
	v_mov_b32_e32 v120, 0
	v_mov_b32_e32 v8, 0
	s_waitcnt vmcnt(0)
	v_cmp_ne_u16_sdwa s2, v7, v2 src0_sel:BYTE_0 src1_sel:DWORD
	s_and_saveexec_b32 s3, s2
	s_cbranch_execz .LBB336_369
; %bb.362:                              ;   in Loop: Header=BB336_9 Depth=1
	v_cmp_ne_u16_sdwa s2, v7, v68 src0_sel:BYTE_0 src1_sel:DWORD
	v_bfrev_b32_e32 v8, 1
	s_and_saveexec_b32 s30, s2
	s_cbranch_execz .LBB336_368
; %bb.363:                              ;   in Loop: Header=BB336_9 Depth=1
	v_and_b32_e32 v116, 0x7f, v7
	v_mov_b32_e32 v8, 0x7f800001
	s_mov_b32 s31, exec_lo
	v_cmpx_ne_u32_e32 0x7f, v116
	s_cbranch_execz .LBB336_367
; %bb.364:                              ;   in Loop: Header=BB336_9 Depth=1
	v_and_b32_e32 v1, 7, v7
	v_lshrrev_b32_e32 v8, 3, v116
	s_mov_b32 s33, exec_lo
	v_cmpx_gt_u32_e32 8, v116
; %bb.365:                              ;   in Loop: Header=BB336_9 Depth=1
	v_ffbh_u32_e32 v8, v1
	v_min_u32_e32 v8, 32, v8
	v_subrev_nc_u32_e32 v116, 28, v8
	v_sub_nc_u32_e32 v8, 29, v8
	v_lshlrev_b64 v[116:117], v116, v[1:2]
	v_and_b32_e32 v1, 7, v116
; %bb.366:                              ;   in Loop: Header=BB336_9 Depth=1
	s_or_b32 exec_lo, exec_lo, s33
	v_lshlrev_b32_e32 v116, 24, v7
	v_lshlrev_b32_e32 v1, 20, v1
	v_lshl_add_u32 v8, v8, 23, 0x3c000000
	v_and_b32_e32 v116, 0x80000000, v116
	v_or3_b32 v8, v1, v116, v8
.LBB336_367:                            ;   in Loop: Header=BB336_9 Depth=1
	s_or_b32 exec_lo, exec_lo, s31
.LBB336_368:                            ;   in Loop: Header=BB336_9 Depth=1
	s_or_b32 exec_lo, exec_lo, s30
.LBB336_369:                            ;   in Loop: Header=BB336_9 Depth=1
	s_or_b32 exec_lo, exec_lo, s3
	v_cmp_ne_u16_sdwa s2, v7, v2 src0_sel:BYTE_1 src1_sel:DWORD
	s_and_saveexec_b32 s3, s2
	s_cbranch_execz .LBB336_377
; %bb.370:                              ;   in Loop: Header=BB336_9 Depth=1
	v_cmp_ne_u16_sdwa s2, v7, v68 src0_sel:BYTE_1 src1_sel:DWORD
	v_bfrev_b32_e32 v120, 1
	s_and_saveexec_b32 s30, s2
	s_cbranch_execz .LBB336_376
; %bb.371:                              ;   in Loop: Header=BB336_9 Depth=1
	v_and_b32_sdwa v1, v69, v7 dst_sel:DWORD dst_unused:UNUSED_PAD src0_sel:DWORD src1_sel:BYTE_1
	v_mov_b32_e32 v120, 0x7f800001
	s_mov_b32 s31, exec_lo
	v_and_b32_e32 v117, 0x7f, v1
	v_cmpx_ne_u32_e32 0x7f, v117
	s_cbranch_execz .LBB336_375
; %bb.372:                              ;   in Loop: Header=BB336_9 Depth=1
	v_and_b32_e32 v1, 7, v1
	v_lshrrev_b32_e32 v116, 3, v117
	s_mov_b32 s33, exec_lo
	v_cmpx_gt_u32_e32 8, v117
; %bb.373:                              ;   in Loop: Header=BB336_9 Depth=1
	v_ffbh_u32_e32 v116, v1
	v_min_u32_e32 v116, 32, v116
	v_subrev_nc_u32_e32 v117, 28, v116
	v_sub_nc_u32_e32 v116, 29, v116
	v_lshlrev_b64 v[120:121], v117, v[1:2]
	v_and_b32_e32 v1, 7, v120
; %bb.374:                              ;   in Loop: Header=BB336_9 Depth=1
	s_or_b32 exec_lo, exec_lo, s33
	v_lshlrev_b32_e32 v117, 16, v7
	v_lshlrev_b32_e32 v1, 20, v1
	v_lshl_add_u32 v116, v116, 23, 0x3c000000
	v_and_b32_e32 v117, 0x80000000, v117
	v_or3_b32 v120, v1, v117, v116
.LBB336_375:                            ;   in Loop: Header=BB336_9 Depth=1
	s_or_b32 exec_lo, exec_lo, s31
.LBB336_376:                            ;   in Loop: Header=BB336_9 Depth=1
	s_or_b32 exec_lo, exec_lo, s30
.LBB336_377:                            ;   in Loop: Header=BB336_9 Depth=1
	s_or_b32 exec_lo, exec_lo, s3
	v_and_b32_sdwa v1, v7, v70 dst_sel:DWORD dst_unused:UNUSED_PAD src0_sel:WORD_1 src1_sel:DWORD
	v_mov_b32_e32 v116, 0
	v_mov_b32_e32 v117, 0
	s_mov_b32 s3, exec_lo
	v_cmpx_ne_u16_e32 0, v1
	s_cbranch_execz .LBB336_385
; %bb.378:                              ;   in Loop: Header=BB336_9 Depth=1
	v_bfrev_b32_e32 v117, 1
	s_mov_b32 s30, exec_lo
	v_cmpx_ne_u16_e32 0x80, v1
	s_cbranch_execz .LBB336_384
; %bb.379:                              ;   in Loop: Header=BB336_9 Depth=1
	v_bfe_u32 v121, v7, 16, 7
	v_mov_b32_e32 v117, 0x7f800001
	s_mov_b32 s31, exec_lo
	v_cmpx_ne_u32_e32 0x7f, v121
	s_cbranch_execz .LBB336_383
; %bb.380:                              ;   in Loop: Header=BB336_9 Depth=1
	v_and_b32_sdwa v1, v7, v71 dst_sel:DWORD dst_unused:UNUSED_PAD src0_sel:WORD_1 src1_sel:DWORD
	v_lshrrev_b32_e32 v117, 3, v121
	s_mov_b32 s33, exec_lo
	v_cmpx_gt_u32_e32 8, v121
; %bb.381:                              ;   in Loop: Header=BB336_9 Depth=1
	v_ffbh_u32_e32 v117, v1
	v_min_u32_e32 v117, 32, v117
	v_subrev_nc_u32_e32 v121, 28, v117
	v_sub_nc_u32_e32 v117, 29, v117
	v_lshlrev_b64 v[121:122], v121, v[1:2]
	v_and_b32_e32 v1, 7, v121
; %bb.382:                              ;   in Loop: Header=BB336_9 Depth=1
	s_or_b32 exec_lo, exec_lo, s33
	v_lshlrev_b32_sdwa v121, v72, v7 dst_sel:DWORD dst_unused:UNUSED_PAD src0_sel:DWORD src1_sel:WORD_1
	v_lshlrev_b32_e32 v1, 20, v1
	v_lshl_add_u32 v117, v117, 23, 0x3c000000
	v_and_b32_e32 v121, 0x80000000, v121
	v_or3_b32 v117, v1, v121, v117
.LBB336_383:                            ;   in Loop: Header=BB336_9 Depth=1
	s_or_b32 exec_lo, exec_lo, s31
.LBB336_384:                            ;   in Loop: Header=BB336_9 Depth=1
	s_or_b32 exec_lo, exec_lo, s30
.LBB336_385:                            ;   in Loop: Header=BB336_9 Depth=1
	s_or_b32 exec_lo, exec_lo, s3
	s_mov_b32 s3, exec_lo
	v_cmpx_lt_u32_e32 0xffffff, v7
	s_cbranch_execz .LBB336_393
; %bb.386:                              ;   in Loop: Header=BB336_9 Depth=1
	v_cmp_ne_u32_sdwa s2, v7, v68 src0_sel:BYTE_3 src1_sel:DWORD
	v_bfrev_b32_e32 v116, 1
	s_and_saveexec_b32 s30, s2
	s_cbranch_execz .LBB336_392
; %bb.387:                              ;   in Loop: Header=BB336_9 Depth=1
	v_bfe_u32 v121, v7, 24, 7
	v_mov_b32_e32 v116, 0x7f800001
	s_mov_b32 s31, exec_lo
	v_cmpx_ne_u32_e32 0x7f, v121
	s_cbranch_execz .LBB336_391
; %bb.388:                              ;   in Loop: Header=BB336_9 Depth=1
	v_and_b32_sdwa v1, v7, v71 dst_sel:DWORD dst_unused:UNUSED_PAD src0_sel:BYTE_3 src1_sel:DWORD
	v_lshrrev_b32_e32 v116, 3, v121
	s_mov_b32 s33, exec_lo
	v_cmpx_gt_u32_e32 8, v121
; %bb.389:                              ;   in Loop: Header=BB336_9 Depth=1
	v_ffbh_u32_e32 v116, v1
	v_min_u32_e32 v116, 32, v116
	v_subrev_nc_u32_e32 v121, 28, v116
	v_sub_nc_u32_e32 v116, 29, v116
	v_lshlrev_b64 v[121:122], v121, v[1:2]
	v_and_b32_e32 v1, 7, v121
; %bb.390:                              ;   in Loop: Header=BB336_9 Depth=1
	s_or_b32 exec_lo, exec_lo, s33
	v_lshlrev_b32_sdwa v7, v72, v7 dst_sel:DWORD dst_unused:UNUSED_PAD src0_sel:DWORD src1_sel:BYTE_3
	v_lshlrev_b32_e32 v1, 20, v1
	v_lshl_add_u32 v116, v116, 23, 0x3c000000
	v_and_b32_e32 v7, 0x80000000, v7
	v_or3_b32 v116, v1, v7, v116
.LBB336_391:                            ;   in Loop: Header=BB336_9 Depth=1
	s_or_b32 exec_lo, exec_lo, s31
.LBB336_392:                            ;   in Loop: Header=BB336_9 Depth=1
	s_or_b32 exec_lo, exec_lo, s30
.LBB336_393:                            ;   in Loop: Header=BB336_9 Depth=1
	s_or_b32 exec_lo, exec_lo, s3
	v_mul_f32_e32 v1, s4, v120
	v_mul_f32_e32 v7, s4, v8
	;; [unrolled: 1-line block ×5, first 2 shown]
	v_bfe_u32 v119, v1, 16, 1
	v_bfe_u32 v120, v7, 16, 1
	v_or_b32_e32 v121, 0x400000, v1
	v_cmp_u_f32_e64 s2, v1, v1
	v_or_b32_e32 v122, 0x400000, v7
	v_add3_u32 v119, v119, v1, 0x7fff
	v_bfe_u32 v123, v8, 16, 1
	v_add3_u32 v120, v120, v7, 0x7fff
	v_bfe_u32 v124, v118, 16, 1
	v_mul_f32_e32 v89, s4, v89
	v_cndmask_b32_e64 v1, v119, v121, s2
	v_cmp_u_f32_e64 s2, v7, v7
	v_add3_u32 v119, v123, v8, 0x7fff
	v_add3_u32 v121, v124, v118, 0x7fff
	v_or_b32_e32 v123, 0x400000, v118
	v_bfe_u32 v124, v115, 16, 1
	v_cndmask_b32_e64 v7, v120, v122, s2
	v_or_b32_e32 v120, 0x400000, v8
	v_cmp_u_f32_e64 s2, v8, v8
	v_mul_f32_e32 v122, s4, v114
	v_mul_f32_e32 v88, s4, v88
	;; [unrolled: 1-line block ×4, first 2 shown]
	v_cndmask_b32_e64 v114, v119, v120, s2
	v_cmp_u_f32_e64 s2, v118, v118
	v_bfe_u32 v119, v122, 16, 1
	v_add3_u32 v118, v124, v115, 0x7fff
	v_mul_f32_e32 v120, s4, v113
	v_or_b32_e32 v113, 0x400000, v115
	v_cndmask_b32_e64 v8, v121, v123, s2
	v_cmp_u_f32_e64 s2, v115, v115
	v_add3_u32 v119, v119, v122, 0x7fff
	v_mul_f32_e32 v121, s4, v112
	v_or_b32_e32 v123, 0x400000, v122
	v_bfe_u32 v124, v120, 16, 1
	v_cndmask_b32_e64 v112, v118, v113, s2
	v_cmp_u_f32_e64 s2, v122, v122
	v_bfe_u32 v115, v121, 16, 1
	v_mul_f32_e32 v122, s4, v110
	v_add3_u32 v118, v124, v120, 0x7fff
	v_mul_f32_e32 v85, s4, v85
	v_cndmask_b32_e64 v113, v119, v123, s2
	v_mul_f32_e32 v119, s4, v111
	v_or_b32_e32 v111, 0x400000, v120
	v_cmp_u_f32_e64 s2, v120, v120
	v_add3_u32 v115, v115, v121, 0x7fff
	v_or_b32_e32 v123, 0x400000, v121
	v_bfe_u32 v124, v119, 16, 1
	v_mul_f32_e32 v120, s4, v109
	v_cndmask_b32_e64 v110, v118, v111, s2
	v_cmp_u_f32_e64 s2, v121, v121
	v_bfe_u32 v118, v122, 16, 1
	v_or_b32_e32 v109, 0x400000, v119
	v_mul_f32_e32 v121, s4, v108
	v_mul_f32_e32 v84, s4, v84
	v_cndmask_b32_e64 v111, v115, v123, s2
	v_add3_u32 v115, v124, v119, 0x7fff
	v_cmp_u_f32_e64 s2, v119, v119
	v_add3_u32 v118, v118, v122, 0x7fff
	v_or_b32_e32 v123, 0x400000, v122
	v_bfe_u32 v124, v120, 16, 1
	v_mul_f32_e32 v119, s4, v107
	v_cndmask_b32_e64 v108, v115, v109, s2
	v_cmp_u_f32_e64 s2, v122, v122
	v_bfe_u32 v115, v121, 16, 1
	v_or_b32_e32 v107, 0x400000, v120
	v_mul_f32_e32 v122, s4, v106
	v_mul_f32_e32 v83, s4, v83
	v_cndmask_b32_e64 v109, v118, v123, s2
	v_add3_u32 v118, v124, v120, 0x7fff
	;; [unrolled: 13-line block ×10, first 2 shown]
	v_cmp_u_f32_e64 s2, v120, v120
	v_add3_u32 v115, v115, v121, 0x7fff
	v_or_b32_e32 v123, 0x400000, v121
	v_bfe_u32 v124, v119, 16, 1
	v_or_b32_e32 v120, 0x400000, v119
	v_cndmask_b32_e64 v90, v118, v91, s2
	v_cmp_u_f32_e64 s2, v121, v121
	v_bfe_u32 v118, v122, 16, 1
	v_or_b32_e32 v121, 0x400000, v122
	v_mul_f32_e32 v74, s4, v74
	v_mul_f32_e32 v117, s4, v117
	v_cndmask_b32_e64 v91, v115, v123, s2
	v_add3_u32 v115, v124, v119, 0x7fff
	v_cmp_u_f32_e64 s2, v119, v119
	v_add3_u32 v118, v118, v122, 0x7fff
	v_bfe_u32 v123, v89, 16, 1
	v_bfe_u32 v119, v88, 16, 1
	v_mul_f32_e32 v116, s4, v116
	v_cndmask_b32_e64 v115, v115, v120, s2
	v_cmp_u_f32_e64 s2, v122, v122
	v_add3_u32 v120, v123, v89, 0x7fff
	v_add3_u32 v119, v119, v88, 0x7fff
	v_or_b32_e32 v122, 0x400000, v88
	v_bfe_u32 v123, v87, 16, 1
	v_cndmask_b32_e64 v118, v118, v121, s2
	v_or_b32_e32 v121, 0x400000, v89
	v_cmp_u_f32_e64 s2, v89, v89
	v_or_b32_e32 v124, 0x400000, v116
	v_and_b32_e32 v7, 0xffff0000, v7
	v_and_b32_e32 v1, 0xffff0000, v1
	;; [unrolled: 1-line block ×3, first 2 shown]
	v_cndmask_b32_e64 v89, v120, v121, s2
	v_cmp_u_f32_e64 s2, v88, v88
	v_bfe_u32 v120, v86, 16, 1
	v_or_b32_e32 v121, 0x400000, v87
	v_cndmask_b32_e64 v88, v119, v122, s2
	v_add3_u32 v119, v123, v87, 0x7fff
	v_cmp_u_f32_e64 s2, v87, v87
	v_add3_u32 v120, v120, v86, 0x7fff
	v_or_b32_e32 v122, 0x400000, v86
	v_bfe_u32 v123, v85, 16, 1
	v_cndmask_b32_e64 v87, v119, v121, s2
	v_cmp_u_f32_e64 s2, v86, v86
	v_bfe_u32 v119, v84, 16, 1
	v_or_b32_e32 v121, 0x400000, v85
	v_cndmask_b32_e64 v86, v120, v122, s2
	v_add3_u32 v120, v123, v85, 0x7fff
	v_cmp_u_f32_e64 s2, v85, v85
	v_add3_u32 v119, v119, v84, 0x7fff
	v_or_b32_e32 v122, 0x400000, v84
	v_bfe_u32 v123, v83, 16, 1
	v_cndmask_b32_e64 v85, v120, v121, s2
	v_cmp_u_f32_e64 s2, v84, v84
	v_bfe_u32 v120, v82, 16, 1
	v_or_b32_e32 v121, 0x400000, v83
	v_cndmask_b32_e64 v84, v119, v122, s2
	v_add3_u32 v119, v123, v83, 0x7fff
	v_cmp_u_f32_e64 s2, v83, v83
	v_add3_u32 v120, v120, v82, 0x7fff
	v_or_b32_e32 v122, 0x400000, v82
	v_bfe_u32 v123, v81, 16, 1
	v_cndmask_b32_e64 v83, v119, v121, s2
	v_cmp_u_f32_e64 s2, v82, v82
	v_bfe_u32 v119, v80, 16, 1
	v_or_b32_e32 v121, 0x400000, v81
	v_cndmask_b32_e64 v82, v120, v122, s2
	v_add3_u32 v120, v123, v81, 0x7fff
	v_cmp_u_f32_e64 s2, v81, v81
	v_add3_u32 v119, v119, v80, 0x7fff
	v_or_b32_e32 v122, 0x400000, v80
	v_bfe_u32 v123, v79, 16, 1
	v_cndmask_b32_e64 v81, v120, v121, s2
	v_cmp_u_f32_e64 s2, v80, v80
	v_bfe_u32 v120, v78, 16, 1
	v_or_b32_e32 v121, 0x400000, v79
	v_and_b32_e32 v81, 0xffff0000, v81
	v_cndmask_b32_e64 v80, v119, v122, s2
	v_add3_u32 v119, v123, v79, 0x7fff
	v_cmp_u_f32_e64 s2, v79, v79
	v_add3_u32 v120, v120, v78, 0x7fff
	v_or_b32_e32 v122, 0x400000, v78
	v_bfe_u32 v123, v77, 16, 1
	v_and_b32_e32 v80, 0xffff0000, v80
	v_cndmask_b32_e64 v79, v119, v121, s2
	v_cmp_u_f32_e64 s2, v78, v78
	v_bfe_u32 v119, v76, 16, 1
	v_or_b32_e32 v121, 0x400000, v77
	v_mul_f32_e32 v81, v19, v81
	v_and_b32_e32 v79, 0xffff0000, v79
	v_cndmask_b32_e64 v78, v120, v122, s2
	v_add3_u32 v120, v123, v77, 0x7fff
	v_cmp_u_f32_e64 s2, v77, v77
	v_add3_u32 v119, v119, v76, 0x7fff
	v_or_b32_e32 v122, 0x400000, v76
	v_and_b32_e32 v78, 0xffff0000, v78
	v_mul_f32_e32 v79, v18, v79
	v_cndmask_b32_e64 v77, v120, v121, s2
	v_bfe_u32 v120, v75, 16, 1
	v_cmp_u_f32_e64 s2, v76, v76
	v_bfe_u32 v121, v74, 16, 1
	v_mul_f32_e32 v78, v17, v78
	v_and_b32_e32 v77, 0xffff0000, v77
	v_or_b32_e32 v123, 0x400000, v117
	v_cndmask_b32_e64 v76, v119, v122, s2
	v_add3_u32 v119, v120, v75, 0x7fff
	v_or_b32_e32 v120, 0x400000, v75
	v_cmp_u_f32_e64 s2, v75, v75
	v_fmac_f32_e32 v81, v15, v77
	v_and_b32_e32 v76, 0xffff0000, v76
	v_and_b32_e32 v77, 0xffff0000, v83
	v_bfe_u32 v122, v117, 16, 1
	v_cndmask_b32_e64 v75, v119, v120, s2
	v_add3_u32 v120, v121, v74, 0x7fff
	v_or_b32_e32 v121, 0x400000, v74
	v_cmp_u_f32_e64 s2, v74, v74
	v_bfe_u32 v119, v116, 16, 1
	v_and_b32_e32 v75, 0xffff0000, v75
	v_add3_u32 v122, v122, v117, 0x7fff
	v_cndmask_b32_e64 v74, v120, v121, s2
	v_cmp_u_f32_e64 s2, v117, v117
	v_fmac_f32_e32 v79, v14, v75
	v_and_b32_e32 v75, 0xffff0000, v82
	v_add3_u32 v119, v119, v116, 0x7fff
	v_and_b32_e32 v74, 0xffff0000, v74
	v_cndmask_b32_e64 v117, v122, v123, s2
	v_fmac_f32_e32 v79, v25, v77
	v_and_b32_e32 v77, 0xffff0000, v87
	v_cmp_u_f32_e64 s2, v116, v116
	v_fmac_f32_e32 v78, v12, v74
	v_mul_f32_e32 v74, v20, v80
	v_and_b32_e32 v80, 0xffff0000, v85
	v_fmac_f32_e32 v79, v29, v77
	v_and_b32_e32 v77, 0xffff0000, v90
	v_fmac_f32_e32 v78, v24, v75
	v_fmac_f32_e32 v74, v16, v76
	v_and_b32_e32 v75, 0xffff0000, v84
	v_fmac_f32_e32 v81, v26, v80
	v_and_b32_e32 v76, 0xffff0000, v86
	v_and_b32_e32 v80, 0xffff0000, v88
	v_cndmask_b32_e64 v116, v119, v124, s2
	v_fmac_f32_e32 v74, v27, v75
	v_and_b32_e32 v75, 0xffff0000, v89
	v_fmac_f32_e32 v78, v28, v76
	v_and_b32_e32 v76, 0xffff0000, v118
	v_fmac_f32_e32 v74, v31, v80
	v_fmac_f32_e32 v81, v30, v75
	v_and_b32_e32 v75, 0xffff0000, v115
	v_fmac_f32_e32 v78, v32, v76
	v_and_b32_e32 v76, 0xffff0000, v91
	v_and_b32_e32 v80, 0xffff0000, v93
	v_fmac_f32_e32 v81, v34, v77
	v_fmac_f32_e32 v79, v33, v75
	v_and_b32_e32 v75, 0xffff0000, v92
	v_fmac_f32_e32 v74, v35, v76
	v_fmac_f32_e32 v78, v36, v80
	v_and_b32_e32 v76, 0xffff0000, v94
	v_and_b32_e32 v77, 0xffff0000, v95
	v_fmac_f32_e32 v79, v37, v75
	v_and_b32_e32 v75, 0xffff0000, v97
	v_and_b32_e32 v80, 0xffff0000, v96
	v_fmac_f32_e32 v81, v38, v76
	v_fmac_f32_e32 v74, v39, v77
	v_and_b32_e32 v76, 0xffff0000, v98
	v_fmac_f32_e32 v78, v40, v75
	v_and_b32_e32 v75, 0xffff0000, v99
	v_fmac_f32_e32 v79, v41, v80
	v_and_b32_e32 v77, 0xffff0000, v101
	v_fmac_f32_e32 v81, v42, v76
	v_and_b32_e32 v76, 0xffff0000, v100
	v_and_b32_e32 v80, 0xffff0000, v102
	v_fmac_f32_e32 v74, v43, v75
	v_and_b32_e32 v75, 0xffff0000, v103
	v_fmac_f32_e32 v78, v44, v77
	v_fmac_f32_e32 v79, v45, v76
	;; [unrolled: 1-line block ×3, first 2 shown]
	v_and_b32_e32 v76, 0xffff0000, v105
	v_and_b32_e32 v77, 0xffff0000, v104
	v_fmac_f32_e32 v74, v47, v75
	v_and_b32_e32 v75, 0xffff0000, v106
	v_and_b32_e32 v80, 0xffff0000, v107
	v_fmac_f32_e32 v78, v48, v76
	v_fmac_f32_e32 v79, v49, v77
	v_and_b32_e32 v76, 0xffff0000, v109
	v_fmac_f32_e32 v81, v50, v75
	v_and_b32_e32 v75, 0xffff0000, v108
	;; [unrolled: 2-line block ×4, first 2 shown]
	v_and_b32_e32 v80, 0xffff0000, v113
	v_fmac_f32_e32 v79, v53, v75
	v_and_b32_e32 v75, 0xffff0000, v112
	v_fmac_f32_e32 v81, v54, v77
	v_fmac_f32_e32 v74, v55, v76
	;; [unrolled: 1-line block ×3, first 2 shown]
	v_and_b32_e32 v76, 0xffff0000, v114
	v_fmac_f32_e32 v79, v57, v75
	v_fmac_f32_e32 v74, v60, v8
	;; [unrolled: 1-line block ×4, first 2 shown]
	v_and_b32_e32 v7, 0xffff0000, v117
	v_fmac_f32_e32 v79, v62, v1
	v_and_b32_e32 v1, 0xffff0000, v116
	v_fmac_f32_e32 v81, v63, v7
	v_add_f32_e32 v7, v78, v79
	v_fmac_f32_e32 v74, v64, v1
	v_add_f32_e32 v1, v7, v81
	v_add_f32_e32 v1, v1, v74
	ds_bpermute_b32 v7, v65, v1
	s_and_saveexec_b32 s3, vcc_lo
	s_cbranch_execz .LBB336_8
; %bb.394:                              ;   in Loop: Header=BB336_9 Depth=1
	v_add_nc_u32_e32 v8, s5, v66
	s_waitcnt lgkmcnt(0)
	v_add_f32_e32 v1, v1, v7
	v_cmp_gt_i32_e64 s2, s11, v66
	v_cvt_f32_i32_e32 v8, v8
	v_mul_f32_e32 v8, s28, v8
	v_cndmask_b32_e64 v7, 0, v8, s1
	v_max_f32_e32 v8, v59, v59
	v_fmac_f32_e32 v7, s29, v1
	v_max_f32_e32 v1, v8, v7
	v_cndmask_b32_e64 v7, 0, v7, s2
	v_cndmask_b32_e64 v59, v59, v1, s2
	ds_write_b32 v67, v7
	s_branch .LBB336_8
.LBB336_395:
	s_or_b32 exec_lo, exec_lo, s16
.LBB336_396:
	s_or_b32 exec_lo, exec_lo, s15
	v_xor_b32_e32 v1, 16, v10
	v_xor_b32_e32 v4, 8, v10
	v_max_f32_e32 v5, v59, v59
	v_xor_b32_e32 v6, 4, v10
	v_and_b32_e32 v24, 31, v0
	v_cmp_lt_i32_e32 vcc_lo, v1, v11
	v_cndmask_b32_e32 v1, v10, v1, vcc_lo
	v_cmp_lt_i32_e32 vcc_lo, v4, v11
	v_lshlrev_b32_e32 v3, 2, v1
	v_cndmask_b32_e32 v4, v10, v4, vcc_lo
	v_cmp_lt_i32_e32 vcc_lo, v6, v11
	ds_bpermute_b32 v1, v3, v59
	v_lshlrev_b32_e32 v4, 2, v4
	v_cndmask_b32_e32 v6, v10, v6, vcc_lo
	s_waitcnt lgkmcnt(0)
	v_max_f32_e32 v1, v1, v1
	v_max_f32_e32 v1, v5, v1
	ds_bpermute_b32 v5, v4, v1
	s_waitcnt lgkmcnt(0)
	v_max_f32_e32 v7, v5, v5
	v_lshlrev_b32_e32 v5, 2, v6
	v_max_f32_e32 v1, v1, v7
	v_xor_b32_e32 v7, 2, v10
	ds_bpermute_b32 v6, v5, v1
	v_cmp_lt_i32_e32 vcc_lo, v7, v11
	v_cndmask_b32_e32 v8, v10, v7, vcc_lo
	v_cmp_eq_u32_e32 vcc_lo, 0, v24
	s_waitcnt lgkmcnt(0)
	v_max_f32_e32 v6, v6, v6
	v_max_f32_e32 v7, v1, v6
	v_lshlrev_b32_e32 v1, 2, v8
	v_lshlrev_b32_e32 v6, 2, v23
	ds_bpermute_b32 v8, v1, v7
	s_and_saveexec_b32 s1, vcc_lo
	s_cbranch_execz .LBB336_398
; %bb.397:
	s_waitcnt lgkmcnt(0)
	v_max_f32_e32 v8, v8, v8
	v_max_f32_e32 v7, v7, v7
	;; [unrolled: 1-line block ×3, first 2 shown]
	ds_write_b32 v6, v7 offset:192
.LBB336_398:
	s_or_b32 exec_lo, exec_lo, s1
	v_cmp_gt_u32_e64 s1, 4, v24
	s_waitcnt lgkmcnt(0)
	v_mov_b32_e32 v8, 0xff7fffff
	v_lshlrev_b32_e32 v7, 2, v24
	s_barrier
	buffer_gl0_inv
	s_and_saveexec_b32 s2, s1
; %bb.399:
	ds_read_b32 v8, v7 offset:192
; %bb.400:
	s_or_b32 exec_lo, exec_lo, s2
	s_waitcnt lgkmcnt(0)
	ds_bpermute_b32 v12, v1, v8
	v_xor_b32_e32 v14, 1, v10
	v_max_f32_e32 v8, v8, v8
	v_lshlrev_b32_e32 v2, 2, v2
	v_cmp_lt_i32_e64 s2, v14, v11
	v_cndmask_b32_e64 v11, v10, v14, s2
	s_lshl_b32 s2, s12, 4
	s_min_i32 s4, s2, s11
	v_lshlrev_b32_e32 v25, 2, v11
	v_cmp_gt_i32_e64 s2, s4, v0
	s_waitcnt lgkmcnt(0)
	v_max_f32_e32 v12, v12, v12
	v_max_f32_e32 v8, v8, v12
	ds_bpermute_b32 v11, v25, v8
	s_waitcnt lgkmcnt(0)
	v_max_f32_e32 v11, v11, v11
	v_max_f32_e32 v8, v8, v11
	ds_bpermute_b32 v11, v2, v8
	v_mov_b32_e32 v8, 0
	v_lshl_add_u32 v2, v0, 2, 0xe0
	s_and_saveexec_b32 s5, s2
	s_cbranch_execz .LBB336_404
; %bb.401:
	v_lshl_add_u32 v12, v0, 2, 0xe0
	v_mov_b32_e32 v8, 0
	v_mov_b32_e32 v14, v0
	s_mov_b32 s15, 0
	.p2align	6
.LBB336_402:                            ; =>This Inner Loop Header: Depth=1
	ds_read_b32 v15, v12
	v_add_nc_u32_e32 v14, 0x80, v14
	v_cmp_le_i32_e64 s3, s4, v14
	s_or_b32 s15, s3, s15
	s_waitcnt lgkmcnt(0)
	v_sub_f32_e32 v15, v15, v11
	v_mul_f32_e32 v15, 0x3fb8aa3b, v15
	v_exp_f32_e32 v15, v15
	ds_write_b32 v12, v15
	v_add_f32_e32 v8, v8, v15
	v_add_nc_u32_e32 v12, 0x200, v12
	s_andn2_b32 exec_lo, exec_lo, s15
	s_cbranch_execnz .LBB336_402
; %bb.403:
	s_or_b32 exec_lo, exec_lo, s15
.LBB336_404:
	s_or_b32 exec_lo, exec_lo, s5
	ds_bpermute_b32 v3, v3, v8
	s_waitcnt lgkmcnt(0)
	v_add_f32_e32 v3, v8, v3
	ds_bpermute_b32 v4, v4, v3
	s_waitcnt lgkmcnt(0)
	v_add_f32_e32 v3, v3, v4
	;; [unrolled: 3-line block ×5, first 2 shown]
	s_and_saveexec_b32 s3, vcc_lo
; %bb.405:
	ds_write_b32 v6, v3 offset:208
; %bb.406:
	s_or_b32 exec_lo, exec_lo, s3
	s_waitcnt lgkmcnt(0)
	s_barrier
	buffer_gl0_inv
	s_and_saveexec_b32 s3, s1
; %bb.407:
	ds_read_b32 v3, v7 offset:208
; %bb.408:
	s_or_b32 exec_lo, exec_lo, s3
	s_waitcnt lgkmcnt(0)
	ds_bpermute_b32 v1, v1, v3
	v_lshlrev_b32_e32 v4, 2, v10
	s_waitcnt lgkmcnt(0)
	v_add_f32_e32 v1, v3, v1
	ds_bpermute_b32 v3, v25, v1
	s_waitcnt lgkmcnt(0)
	v_add_f32_e32 v1, v1, v3
	v_and_b32_e32 v3, 0xffffff80, v4
	ds_bpermute_b32 v1, v3, v1
	s_and_saveexec_b32 s1, s2
	s_cbranch_execz .LBB336_411
; %bb.409:
	s_waitcnt lgkmcnt(0)
	v_add_f32_e32 v1, 0x358637bd, v1
	s_mov_b32 s2, 0
	v_div_scale_f32 v3, null, v1, v1, 1.0
	v_div_scale_f32 v6, vcc_lo, 1.0, v1, 1.0
	v_rcp_f32_e32 v4, v3
	v_fma_f32 v5, -v3, v4, 1.0
	v_fmac_f32_e32 v4, v5, v4
	v_mul_f32_e32 v5, v6, v4
	v_fma_f32 v7, -v3, v5, v6
	v_fmac_f32_e32 v5, v7, v4
	v_fma_f32 v3, -v3, v5, v6
	v_div_fmas_f32 v3, v3, v4, v5
	v_div_fixup_f32 v1, v3, v1, 1.0
	v_mov_b32_e32 v3, v0
.LBB336_410:                            ; =>This Inner Loop Header: Depth=1
	ds_read_b32 v4, v2
	v_add_nc_u32_e32 v3, 0x80, v3
	v_cmp_le_i32_e32 vcc_lo, s4, v3
	s_or_b32 s2, vcc_lo, s2
	s_waitcnt lgkmcnt(0)
	v_mul_f32_e32 v4, v1, v4
	ds_write_b32 v2, v4
	v_add_nc_u32_e32 v2, 0x200, v2
	s_andn2_b32 exec_lo, exec_lo, s2
	s_cbranch_execnz .LBB336_410
.LBB336_411:
	s_or_b32 exec_lo, exec_lo, s1
	v_mov_b32_e32 v30, 0
	v_mov_b32_e32 v31, 0
	;; [unrolled: 1-line block ×6, first 2 shown]
	s_waitcnt lgkmcnt(0)
	s_barrier
	buffer_gl0_inv
	s_and_saveexec_b32 s1, s0
	s_cbranch_execz .LBB336_787
; %bb.412:
	s_load_dword s5, s[18:19], 0x0
	v_and_b32_e32 v2, 0xf8, v9
	v_and_b32_e32 v1, 8, v9
	v_lshlrev_b32_e32 v4, 4, v23
	s_ashr_i32 s0, s14, 31
	s_add_u32 s2, s26, s14
	v_lshlrev_b32_e32 v3, 5, v22
	s_addc_u32 s0, s27, s0
	v_add_co_u32 v11, s2, s2, v2
	v_or3_b32 v32, v4, v1, 7
	v_and_b32_e32 v1, 0x7c, v13
	v_add_co_ci_u32_e64 v12, null, s0, 0, s2
	s_lshl_b64 s[2:3], s[24:25], 2
	s_mov_b32 s4, s13
	s_add_i32 s13, s12, -1
	v_lshl_or_b32 v3, v23, 6, v3
	s_add_u32 s0, s22, s2
	s_addc_u32 s2, s23, s3
	v_add_co_u32 v13, s0, s0, v1
	v_mov_b32_e32 v10, 0
	v_add_nc_u32_e32 v33, 0xe0, v3
	v_add_co_ci_u32_e64 v14, null, s2, 0, s0
	v_mov_b32_e32 v34, 0x80
	v_mov_b32_e32 v35, 0xffff
	;; [unrolled: 1-line block ×12, first 2 shown]
	s_mov_b32 s2, -1
	s_mov_b32 s3, 0xffffff
	s_mov_b32 s14, 0
	s_branch .LBB336_414
.LBB336_413:                            ;   in Loop: Header=BB336_414 Depth=1
	s_or_b32 exec_lo, exec_lo, s0
	v_bfe_u32 v48, v5, 16, 1
	v_bfe_u32 v49, v6, 16, 1
	v_or_b32_e32 v50, 0x400000, v5
	v_cmp_u_f32_e32 vcc_lo, v5, v5
	v_or_b32_e32 v51, 0x400000, v6
	v_add3_u32 v48, v48, v5, 0x7fff
	v_bfe_u32 v52, v7, 16, 1
	v_add3_u32 v49, v49, v6, 0x7fff
	v_bfe_u32 v53, v8, 16, 1
	v_lshlrev_b32_e32 v19, 16, v19
	v_cndmask_b32_e32 v5, v48, v50, vcc_lo
	v_cmp_u_f32_e32 vcc_lo, v6, v6
	v_add3_u32 v48, v52, v7, 0x7fff
	v_add3_u32 v50, v53, v8, 0x7fff
	v_bfe_u32 v52, v1, 16, 1
	v_and_b32_e32 v5, 0xffff0000, v5
	v_cndmask_b32_e32 v6, v49, v51, vcc_lo
	v_or_b32_e32 v49, 0x400000, v7
	v_cmp_u_f32_e32 vcc_lo, v7, v7
	v_or_b32_e32 v51, 0x400000, v8
	v_or_b32_e32 v53, 0x400000, v4
	v_lshlrev_b32_e32 v20, 16, v20
	v_lshlrev_b32_e32 v80, 16, v80
	v_cndmask_b32_e32 v7, v48, v49, vcc_lo
	v_cmp_u_f32_e32 vcc_lo, v8, v8
	v_bfe_u32 v48, v2, 16, 1
	v_add3_u32 v49, v52, v1, 0x7fff
	v_bfe_u32 v52, v3, 16, 1
	v_lshlrev_b32_e32 v73, 16, v73
	v_cndmask_b32_e32 v8, v50, v51, vcc_lo
	v_or_b32_e32 v50, 0x400000, v1
	v_cmp_u_f32_e32 vcc_lo, v1, v1
	v_add3_u32 v48, v48, v2, 0x7fff
	v_or_b32_e32 v51, 0x400000, v2
	v_and_b32_e32 v1, 0xffff0000, v6
	v_lshlrev_b32_e32 v6, 16, v84
	v_cndmask_b32_e32 v49, v49, v50, vcc_lo
	v_cmp_u_f32_e32 vcc_lo, v2, v2
	v_add3_u32 v2, v52, v3, 0x7fff
	v_bfe_u32 v50, v4, 16, 1
	v_or_b32_e32 v52, 0x400000, v3
	v_mul_f32_e32 v6, v1, v6
	v_cndmask_b32_e32 v48, v48, v51, vcc_lo
	v_lshlrev_b32_e32 v51, 16, v83
	v_cmp_u_f32_e32 vcc_lo, v3, v3
	v_add3_u32 v50, v50, v4, 0x7fff
	v_bfe_u32 v3, v6, 16, 1
	v_lshlrev_b32_e32 v65, 16, v65
	v_mul_f32_e32 v51, v5, v51
	v_cndmask_b32_e32 v52, v2, v52, vcc_lo
	v_cmp_u_f32_e32 vcc_lo, v4, v4
	v_and_b32_e32 v2, 0xffff0000, v8
	v_lshlrev_b32_e32 v8, 16, v81
	v_add3_u32 v3, v3, v6, 0x7fff
	v_or_b32_e32 v54, 0x400000, v51
	v_cndmask_b32_e32 v4, v50, v53, vcc_lo
	v_bfe_u32 v50, v51, 16, 1
	v_or_b32_e32 v53, 0x400000, v6
	v_mul_f32_e32 v81, v2, v8
	v_and_b32_e32 v8, 0xffff0000, v7
	v_lshlrev_b32_e32 v7, 16, v82
	v_cmp_u_f32_e32 vcc_lo, v6, v6
	v_add3_u32 v50, v50, v51, 0x7fff
	v_and_b32_e32 v6, 0xffff0000, v49
	v_or_b32_e32 v49, 0x400000, v81
	v_mul_f32_e32 v7, v8, v7
	v_cndmask_b32_e32 v53, v3, v53, vcc_lo
	v_cmp_u_f32_e32 vcc_lo, v51, v51
	v_bfe_u32 v51, v81, 16, 1
	v_and_b32_e32 v3, 0xffff0000, v48
	v_mul_f32_e32 v20, v6, v20
	v_and_b32_e32 v4, 0xffff0000, v4
	v_cndmask_b32_e32 v50, v50, v54, vcc_lo
	v_add3_u32 v48, v51, v81, 0x7fff
	v_bfe_u32 v51, v7, 16, 1
	v_mul_f32_e32 v19, v3, v19
	v_cmp_u_f32_e32 vcc_lo, v81, v81
	v_bfe_u32 v81, v20, 16, 1
	v_mul_f32_e32 v80, v4, v80
	v_and_b32_e32 v50, 0xffff0000, v50
	v_bfe_u32 v54, v19, 16, 1
	v_cndmask_b32_e32 v48, v48, v49, vcc_lo
	v_add3_u32 v49, v51, v7, 0x7fff
	v_or_b32_e32 v51, 0x400000, v7
	v_cmp_u_f32_e32 vcc_lo, v7, v7
	v_and_b32_e32 v7, 0xffff0000, v52
	v_lshlrev_b32_e32 v52, 16, v79
	v_add3_u32 v81, v81, v20, 0x7fff
	v_or_b32_e32 v79, 0x400000, v20
	v_cndmask_b32_e32 v49, v49, v51, vcc_lo
	v_add3_u32 v51, v54, v19, 0x7fff
	v_or_b32_e32 v54, 0x400000, v19
	v_cmp_u_f32_e32 vcc_lo, v19, v19
	v_bfe_u32 v82, v80, 16, 1
	v_and_b32_e32 v49, 0xffff0000, v49
	v_and_b32_e32 v48, 0xffff0000, v48
	;; [unrolled: 1-line block ×3, first 2 shown]
	v_cndmask_b32_e32 v19, v51, v54, vcc_lo
	v_mul_f32_e32 v51, v7, v52
	v_cmp_u_f32_e32 vcc_lo, v20, v20
	v_add3_u32 v52, v82, v80, 0x7fff
	v_or_b32_e32 v54, 0x400000, v80
	v_add_f32_e32 v48, v49, v48
	v_lshlrev_b32_e32 v49, 16, v78
	v_cndmask_b32_e32 v20, v81, v79, vcc_lo
	v_bfe_u32 v79, v51, 16, 1
	v_cmp_u_f32_e32 vcc_lo, v80, v80
	v_add_f32_e32 v50, v50, v53
	v_and_b32_e32 v19, 0xffff0000, v19
	v_and_b32_e32 v20, 0xffff0000, v20
	v_lshlrev_b32_e32 v53, 16, v77
	v_cndmask_b32_e32 v52, v52, v54, vcc_lo
	v_add3_u32 v54, v79, v51, 0x7fff
	v_or_b32_e32 v79, 0x400000, v51
	v_cmp_u_f32_e32 vcc_lo, v51, v51
	v_mul_f32_e32 v49, v1, v49
	v_add_f32_e32 v48, v48, v50
	v_add_f32_e32 v19, v20, v19
	v_mul_f32_e32 v20, v5, v53
	v_cndmask_b32_e32 v51, v54, v79, vcc_lo
	v_lshlrev_b32_e32 v53, 16, v74
	v_cmp_u_f32_e32 vcc_lo, v49, v49
	v_add_f32_e32 v19, v19, v48
	v_bfe_u32 v48, v20, 16, 1
	v_and_b32_e32 v50, 0xffff0000, v51
	v_and_b32_e32 v51, 0xffff0000, v52
	v_bfe_u32 v52, v49, 16, 1
	v_mul_f32_e32 v53, v2, v53
	v_add3_u32 v48, v48, v20, 0x7fff
	v_or_b32_e32 v54, 0x400000, v20
	v_add_f32_e32 v50, v50, v51
	v_add3_u32 v51, v52, v49, 0x7fff
	v_or_b32_e32 v52, 0x400000, v49
	v_lshlrev_b32_e32 v74, 16, v76
	v_lshlrev_b32_e32 v60, 16, v60
	v_add_f32_e32 v19, v50, v19
	v_lshlrev_b32_e32 v55, 16, v55
	v_cndmask_b32_e32 v49, v51, v52, vcc_lo
	v_cmp_u_f32_e32 vcc_lo, v20, v20
	v_bfe_u32 v51, v53, 16, 1
	v_lshlrev_b32_e32 v52, 16, v71
	v_lshlrev_b32_e32 v71, 16, v72
	v_and_b32_e32 v49, 0xffff0000, v49
	v_cndmask_b32_e32 v20, v48, v54, vcc_lo
	v_mul_f32_e32 v48, v8, v74
	v_add3_u32 v51, v51, v53, 0x7fff
	v_or_b32_e32 v54, 0x400000, v53
	v_mul_f32_e32 v52, v3, v52
	v_cmp_u_f32_e32 vcc_lo, v53, v53
	v_bfe_u32 v72, v48, 16, 1
	v_mul_f32_e32 v53, v6, v71
	v_or_b32_e32 v71, 0x400000, v48
	v_lshlrev_b32_e32 v74, 16, v75
	v_cndmask_b32_e32 v51, v51, v54, vcc_lo
	v_add3_u32 v54, v72, v48, 0x7fff
	v_bfe_u32 v72, v52, 16, 1
	v_cmp_u_f32_e32 vcc_lo, v48, v48
	v_bfe_u32 v75, v53, 16, 1
	v_and_b32_e32 v20, 0xffff0000, v20
	v_and_b32_e32 v51, 0xffff0000, v51
	v_add_f32_e32 v27, v27, v19
	v_cndmask_b32_e32 v48, v54, v71, vcc_lo
	v_add3_u32 v54, v72, v52, 0x7fff
	v_mul_f32_e32 v71, v4, v74
	v_or_b32_e32 v72, 0x400000, v52
	v_cmp_u_f32_e32 vcc_lo, v52, v52
	v_add3_u32 v74, v75, v53, 0x7fff
	v_or_b32_e32 v75, 0x400000, v53
	v_bfe_u32 v76, v71, 16, 1
	v_and_b32_e32 v48, 0xffff0000, v48
	v_cndmask_b32_e32 v52, v54, v72, vcc_lo
	v_mul_f32_e32 v54, v7, v73
	v_cmp_u_f32_e32 vcc_lo, v53, v53
	v_add3_u32 v72, v76, v71, 0x7fff
	v_or_b32_e32 v73, 0x400000, v71
	v_add_f32_e32 v20, v20, v49
	v_add_f32_e32 v48, v48, v51
	v_cndmask_b32_e32 v53, v74, v75, vcc_lo
	v_bfe_u32 v74, v54, 16, 1
	v_cmp_u_f32_e32 vcc_lo, v71, v71
	v_and_b32_e32 v51, 0xffff0000, v52
	v_add_f32_e32 v20, v48, v20
	v_and_b32_e32 v49, 0xffff0000, v53
	v_lshlrev_b32_e32 v48, 16, v70
	v_cndmask_b32_e32 v71, v72, v73, vcc_lo
	v_add3_u32 v72, v74, v54, 0x7fff
	v_or_b32_e32 v73, 0x400000, v54
	v_cmp_u_f32_e32 vcc_lo, v54, v54
	v_add_f32_e32 v49, v49, v51
	v_lshlrev_b32_e32 v51, 16, v69
	v_and_b32_e32 v53, 0xffff0000, v71
	v_mul_f32_e32 v48, v1, v48
	v_cndmask_b32_e32 v52, v72, v73, vcc_lo
	v_add_f32_e32 v20, v49, v20
	v_mul_f32_e32 v50, v5, v51
	v_lshlrev_b32_e32 v54, 16, v68
	v_bfe_u32 v51, v48, 16, 1
	v_and_b32_e32 v52, 0xffff0000, v52
	v_cmp_u_f32_e32 vcc_lo, v48, v48
	v_lshlrev_b32_e32 v56, 16, v56
	v_lshlrev_b32_e32 v47, 16, v47
	;; [unrolled: 1-line block ×3, first 2 shown]
	v_add_f32_e32 v49, v52, v53
	v_bfe_u32 v52, v50, 16, 1
	v_lshlrev_b32_e32 v53, 16, v66
	v_mul_f32_e32 v47, v1, v47
	v_lshlrev_b32_e32 v43, 16, v43
	v_add_f32_e32 v19, v49, v20
	v_add3_u32 v20, v51, v48, 0x7fff
	v_or_b32_e32 v49, 0x400000, v48
	v_add3_u32 v51, v52, v50, 0x7fff
	v_mul_f32_e32 v52, v2, v53
	v_or_b32_e32 v53, 0x400000, v50
	v_mul_f32_e32 v46, v5, v46
	v_cndmask_b32_e32 v20, v20, v49, vcc_lo
	v_cmp_u_f32_e32 vcc_lo, v50, v50
	v_bfe_u32 v48, v52, 16, 1
	v_mul_f32_e32 v50, v8, v54
	v_lshlrev_b32_e32 v54, 16, v64
	v_lshlrev_b32_e32 v64, 16, v67
	v_cndmask_b32_e32 v49, v51, v53, vcc_lo
	v_lshlrev_b32_e32 v51, 16, v63
	v_add3_u32 v48, v48, v52, 0x7fff
	v_or_b32_e32 v53, 0x400000, v52
	v_bfe_u32 v63, v50, 16, 1
	v_cmp_u_f32_e32 vcc_lo, v52, v52
	v_mul_f32_e32 v51, v3, v51
	v_mul_f32_e32 v52, v6, v54
	v_or_b32_e32 v54, 0x400000, v50
	v_and_b32_e32 v49, 0xffff0000, v49
	v_cndmask_b32_e32 v48, v48, v53, vcc_lo
	v_add3_u32 v53, v63, v50, 0x7fff
	v_bfe_u32 v63, v51, 16, 1
	v_cmp_u_f32_e32 vcc_lo, v50, v50
	v_bfe_u32 v66, v52, 16, 1
	v_and_b32_e32 v20, 0xffff0000, v20
	v_and_b32_e32 v48, 0xffff0000, v48
	v_mul_f32_e32 v43, v2, v43
	v_cndmask_b32_e32 v50, v53, v54, vcc_lo
	v_add3_u32 v53, v63, v51, 0x7fff
	v_mul_f32_e32 v54, v4, v64
	v_or_b32_e32 v63, 0x400000, v51
	v_cmp_u_f32_e32 vcc_lo, v51, v51
	v_add3_u32 v64, v66, v52, 0x7fff
	v_or_b32_e32 v66, 0x400000, v52
	v_bfe_u32 v67, v54, 16, 1
	v_and_b32_e32 v50, 0xffff0000, v50
	v_cndmask_b32_e32 v51, v53, v63, vcc_lo
	v_mul_f32_e32 v53, v7, v65
	v_cmp_u_f32_e32 vcc_lo, v52, v52
	v_add3_u32 v63, v67, v54, 0x7fff
	v_add_f32_e32 v20, v49, v20
	v_add_f32_e32 v48, v50, v48
	v_bfe_u32 v65, v53, 16, 1
	v_cndmask_b32_e32 v52, v64, v66, vcc_lo
	v_or_b32_e32 v64, 0x400000, v54
	v_cmp_u_f32_e32 vcc_lo, v54, v54
	v_and_b32_e32 v50, 0xffff0000, v51
	v_lshlrev_b32_e32 v51, 16, v62
	v_and_b32_e32 v49, 0xffff0000, v52
	v_add_f32_e32 v20, v48, v20
	v_cndmask_b32_e32 v54, v63, v64, vcc_lo
	v_add3_u32 v63, v65, v53, 0x7fff
	v_or_b32_e32 v64, 0x400000, v53
	v_cmp_u_f32_e32 vcc_lo, v53, v53
	v_lshlrev_b32_e32 v53, 16, v61
	v_add_f32_e32 v48, v49, v50
	v_mul_f32_e32 v49, v1, v51
	v_lshlrev_b32_e32 v45, 16, v45
	v_cndmask_b32_e32 v52, v63, v64, vcc_lo
	v_mul_f32_e32 v51, v5, v53
	v_lshlrev_b32_e32 v53, 16, v58
	v_add_f32_e32 v20, v48, v20
	v_cmp_u_f32_e32 vcc_lo, v49, v49
	v_and_b32_e32 v50, 0xffff0000, v52
	v_and_b32_e32 v52, 0xffff0000, v54
	v_bfe_u32 v54, v49, 16, 1
	v_bfe_u32 v58, v51, 16, 1
	v_lshlrev_b32_e32 v41, 16, v41
	v_mul_f32_e32 v45, v8, v45
	v_add_f32_e32 v48, v50, v52
	v_mul_f32_e32 v50, v2, v53
	v_add3_u32 v52, v54, v49, 0x7fff
	v_or_b32_e32 v53, 0x400000, v49
	v_add3_u32 v54, v58, v51, 0x7fff
	v_or_b32_e32 v58, 0x400000, v51
	v_bfe_u32 v61, v50, 16, 1
	v_mul_f32_e32 v41, v3, v41
	v_cndmask_b32_e32 v49, v52, v53, vcc_lo
	v_cmp_u_f32_e32 vcc_lo, v51, v51
	v_mul_f32_e32 v52, v8, v60
	v_add3_u32 v53, v61, v50, 0x7fff
	v_lshlrev_b32_e32 v40, 16, v40
	v_and_b32_e32 v49, 0xffff0000, v49
	v_cndmask_b32_e32 v51, v54, v58, vcc_lo
	v_or_b32_e32 v54, 0x400000, v50
	v_cmp_u_f32_e32 vcc_lo, v50, v50
	v_bfe_u32 v58, v52, 16, 1
	v_lshlrev_b32_e32 v44, 16, v44
	v_and_b32_e32 v51, 0xffff0000, v51
	v_mul_f32_e32 v40, v6, v40
	v_cndmask_b32_e32 v50, v53, v54, vcc_lo
	v_mul_f32_e32 v53, v3, v55
	v_mul_f32_e32 v54, v6, v56
	v_add3_u32 v55, v58, v52, 0x7fff
	v_or_b32_e32 v56, 0x400000, v52
	v_lshlrev_b32_e32 v58, 16, v59
	v_bfe_u32 v59, v53, 16, 1
	v_cmp_u_f32_e32 vcc_lo, v52, v52
	v_bfe_u32 v60, v54, 16, 1
	v_and_b32_e32 v50, 0xffff0000, v50
	v_add_f32_e32 v49, v51, v49
	v_mul_f32_e32 v44, v4, v44
	v_cndmask_b32_e32 v52, v55, v56, vcc_lo
	v_mul_f32_e32 v55, v4, v58
	v_add3_u32 v56, v59, v53, 0x7fff
	v_or_b32_e32 v58, 0x400000, v53
	v_cmp_u_f32_e32 vcc_lo, v53, v53
	v_add3_u32 v59, v60, v54, 0x7fff
	v_or_b32_e32 v60, 0x400000, v54
	v_bfe_u32 v61, v55, 16, 1
	v_and_b32_e32 v52, 0xffff0000, v52
	v_cndmask_b32_e32 v53, v56, v58, vcc_lo
	v_lshlrev_b32_e32 v56, 16, v57
	v_cmp_u_f32_e32 vcc_lo, v54, v54
	v_add3_u32 v57, v61, v55, 0x7fff
	v_or_b32_e32 v58, 0x400000, v55
	v_add_f32_e32 v50, v52, v50
	v_mul_f32_e32 v56, v7, v56
	v_cndmask_b32_e32 v54, v59, v60, vcc_lo
	v_cmp_u_f32_e32 vcc_lo, v55, v55
	v_and_b32_e32 v52, 0xffff0000, v53
	v_add_f32_e32 v49, v50, v49
	v_lshlrev_b32_e32 v42, 16, v42
	v_and_b32_e32 v51, 0xffff0000, v54
	v_cndmask_b32_e32 v55, v57, v58, vcc_lo
	v_bfe_u32 v57, v56, 16, 1
	v_or_b32_e32 v54, 0x400000, v56
	v_cmp_u_f32_e32 vcc_lo, v56, v56
	v_add_f32_e32 v50, v51, v52
	v_bfe_u32 v52, v47, 16, 1
	v_add3_u32 v53, v57, v56, 0x7fff
	v_mul_f32_e32 v42, v7, v42
	v_lshlrev_b32_e32 v16, 16, v16
	v_add_f32_e32 v49, v50, v49
	v_lshlrev_b32_e32 v15, 16, v15
	v_cndmask_b32_e32 v51, v53, v54, vcc_lo
	v_bfe_u32 v54, v46, 16, 1
	v_cmp_u_f32_e32 vcc_lo, v47, v47
	v_and_b32_e32 v53, 0xffff0000, v55
	v_or_b32_e32 v55, 0x400000, v43
	v_and_b32_e32 v50, 0xffff0000, v51
	v_add3_u32 v51, v52, v47, 0x7fff
	v_or_b32_e32 v52, 0x400000, v47
	v_mul_f32_e32 v2, v2, v16
	v_mul_f32_e32 v6, v6, v15
	v_lshlrev_b32_e32 v9, 16, v9
	v_lshlrev_b32_e32 v17, 16, v17
	v_cndmask_b32_e32 v47, v51, v52, vcc_lo
	v_bfe_u32 v51, v43, 16, 1
	v_add3_u32 v52, v54, v46, 0x7fff
	v_or_b32_e32 v54, 0x400000, v46
	v_cmp_u_f32_e32 vcc_lo, v46, v46
	v_and_b32_e32 v47, 0xffff0000, v47
	v_add3_u32 v51, v51, v43, 0x7fff
	v_mul_f32_e32 v3, v3, v9
	v_lshlrev_b32_e32 v9, 16, v18
	v_cndmask_b32_e32 v46, v52, v54, vcc_lo
	v_bfe_u32 v52, v45, 16, 1
	v_cmp_u_f32_e32 vcc_lo, v43, v43
	v_or_b32_e32 v54, 0x400000, v45
	v_mul_f32_e32 v7, v7, v9
	v_and_b32_e32 v46, 0xffff0000, v46
	v_add3_u32 v52, v52, v45, 0x7fff
	v_cndmask_b32_e32 v43, v51, v55, vcc_lo
	v_bfe_u32 v51, v41, 16, 1
	v_cmp_u_f32_e32 vcc_lo, v45, v45
	v_or_b32_e32 v55, 0x400000, v41
	v_add_f32_e32 v46, v46, v47
	v_and_b32_e32 v43, 0xffff0000, v43
	v_add3_u32 v51, v51, v41, 0x7fff
	v_cndmask_b32_e32 v45, v52, v54, vcc_lo
	v_bfe_u32 v52, v40, 16, 1
	v_cmp_u_f32_e32 vcc_lo, v41, v41
	v_bfe_u32 v54, v44, 16, 1
	v_mul_f32_e32 v4, v4, v17
	v_and_b32_e32 v45, 0xffff0000, v45
	v_or_b32_e32 v9, 0x400000, v6
	v_cndmask_b32_e32 v41, v51, v55, vcc_lo
	v_add3_u32 v51, v52, v40, 0x7fff
	v_or_b32_e32 v52, 0x400000, v40
	v_cmp_u_f32_e32 vcc_lo, v40, v40
	v_add3_u32 v54, v54, v44, 0x7fff
	v_or_b32_e32 v55, 0x400000, v44
	v_add_f32_e32 v43, v45, v43
	v_and_b32_e32 v41, 0xffff0000, v41
	v_cndmask_b32_e32 v40, v51, v52, vcc_lo
	v_cmp_u_f32_e32 vcc_lo, v44, v44
	v_bfe_u32 v51, v42, 16, 1
	v_lshlrev_b32_e32 v45, 16, v86
	v_or_b32_e32 v52, 0x400000, v42
	v_and_b32_e32 v40, 0xffff0000, v40
	v_cndmask_b32_e32 v44, v54, v55, vcc_lo
	v_lshlrev_b32_e32 v54, 16, v87
	v_add3_u32 v51, v51, v42, 0x7fff
	v_cmp_u_f32_e32 vcc_lo, v42, v42
	v_add_f32_e32 v43, v43, v46
	v_add_f32_e32 v40, v40, v41
	v_mul_f32_e32 v5, v5, v54
	v_mul_f32_e32 v1, v1, v45
	v_lshlrev_b32_e32 v41, 16, v85
	v_cndmask_b32_e32 v42, v51, v52, vcc_lo
	v_or_b32_e32 v17, 0x400000, v3
	v_bfe_u32 v46, v5, 16, 1
	v_bfe_u32 v47, v1, 16, 1
	v_mul_f32_e32 v8, v8, v41
	v_cmp_u_f32_e32 vcc_lo, v5, v5
	v_bfe_u32 v18, v7, 16, 1
	v_add3_u32 v45, v46, v5, 0x7fff
	v_or_b32_e32 v46, 0x400000, v5
	v_add3_u32 v41, v47, v1, 0x7fff
	v_and_b32_e32 v42, 0xffff0000, v42
	v_add_nc_u32_e32 v39, 4, v39
	v_add_co_u32 v13, s0, v13, 16
	v_cndmask_b32_e32 v5, v45, v46, vcc_lo
	v_or_b32_e32 v45, 0x400000, v1
	v_bfe_u32 v46, v8, 16, 1
	v_cmp_u_f32_e32 vcc_lo, v1, v1
	v_add_f32_e32 v28, v28, v19
	v_and_b32_e32 v5, 0xffff0000, v5
	v_add_nc_u32_e32 v32, 64, v32
	v_add3_u32 v16, v46, v8, 0x7fff
	v_cndmask_b32_e32 v1, v41, v45, vcc_lo
	v_or_b32_e32 v41, 0x400000, v8
	v_bfe_u32 v45, v2, 16, 1
	v_cmp_u_f32_e32 vcc_lo, v8, v8
	v_add_nc_u32_e32 v33, 0x100, v33
	v_and_b32_e32 v1, 0xffff0000, v1
	v_add_co_ci_u32_e64 v14, null, 0, v14, s0
	v_cndmask_b32_e32 v8, v16, v41, vcc_lo
	v_add3_u32 v15, v45, v2, 0x7fff
	v_or_b32_e32 v16, 0x400000, v2
	v_bfe_u32 v41, v6, 16, 1
	v_cmp_u_f32_e32 vcc_lo, v2, v2
	v_and_b32_e32 v8, 0xffff0000, v8
	v_add_f32_e32 v1, v5, v1
	v_cndmask_b32_e32 v2, v15, v16, vcc_lo
	v_bfe_u32 v15, v3, 16, 1
	v_add3_u32 v16, v41, v6, 0x7fff
	v_cmp_u_f32_e32 vcc_lo, v6, v6
	v_bfe_u32 v41, v4, 16, 1
	v_and_b32_e32 v2, 0xffff0000, v2
	v_add3_u32 v15, v15, v3, 0x7fff
	v_cndmask_b32_e32 v6, v16, v9, vcc_lo
	v_cmp_u_f32_e32 vcc_lo, v3, v3
	v_or_b32_e32 v16, 0x400000, v4
	v_add3_u32 v9, v18, v7, 0x7fff
	v_add_f32_e32 v2, v8, v2
	v_and_b32_e32 v5, 0xffff0000, v6
	v_cndmask_b32_e32 v3, v15, v17, vcc_lo
	v_add3_u32 v15, v41, v4, 0x7fff
	v_cmp_u_f32_e32 vcc_lo, v4, v4
	v_or_b32_e32 v17, 0x400000, v7
	v_add_f32_e32 v1, v2, v1
	v_and_b32_e32 v3, 0xffff0000, v3
	v_cndmask_b32_e32 v4, v15, v16, vcc_lo
	v_cmp_u_f32_e32 vcc_lo, v7, v7
	v_and_b32_e32 v7, 0xffff0000, v44
	v_add_f32_e32 v2, v5, v3
	v_add_f32_e32 v5, v50, v53
	v_and_b32_e32 v3, 0xffff0000, v4
	v_cndmask_b32_e32 v6, v9, v17, vcc_lo
	v_add_f32_e32 v7, v42, v7
	v_add_f32_e32 v1, v2, v1
	v_cmp_le_i32_e32 vcc_lo, s12, v39
	v_and_b32_e32 v4, 0xffff0000, v6
	v_add_f32_e32 v6, v40, v43
	s_or_b32 s14, vcc_lo, s14
	v_add_f32_e32 v2, v4, v3
	v_add_f32_e32 v3, v48, v20
	;; [unrolled: 1-line block ×9, first 2 shown]
	s_andn2_b32 exec_lo, exec_lo, s14
	s_cbranch_execz .LBB336_786
.LBB336_414:                            ; =>This Inner Loop Header: Depth=1
	global_load_dword v1, v[13:14], off
	v_mov_b32_e32 v42, 0
	s_waitcnt vmcnt(0)
	v_mad_i64_i32 v[15:16], null, v1, s4, v[11:12]
	global_load_dwordx2 v[17:18], v[15:16], off
	ds_read2_b64 v[5:8], v33 offset1:1
	ds_read2_b64 v[1:4], v33 offset0:2 offset1:3
	s_waitcnt vmcnt(0)
	v_cmp_ne_u16_sdwa s15, v17, v10 src0_sel:BYTE_0 src1_sel:DWORD
	s_and_saveexec_b32 s0, s15
	s_cbranch_execz .LBB336_420
; %bb.415:                              ;   in Loop: Header=BB336_414 Depth=1
	v_cmp_ne_u16_sdwa s16, v17, v34 src0_sel:BYTE_0 src1_sel:DWORD
	v_bfrev_b32_e32 v42, 1
	s_and_saveexec_b32 s15, s16
	s_cbranch_execz .LBB336_419
; %bb.416:                              ;   in Loop: Header=BB336_414 Depth=1
	v_and_b32_e32 v9, 0x7f, v17
	v_mov_b32_e32 v42, 0x7f800001
	s_mov_b32 s16, exec_lo
	v_cmpx_ne_u32_e32 0x7f, v9
	s_cbranch_execz .LBB336_418
; %bb.417:                              ;   in Loop: Header=BB336_414 Depth=1
	v_and_b32_e32 v19, 7, v17
	v_lshrrev_b32_e32 v20, 3, v9
	v_cmp_gt_u32_e32 vcc_lo, 8, v9
	v_ffbh_u32_e32 v19, v19
	v_min_u32_e32 v19, 32, v19
	v_subrev_nc_u32_e32 v40, 28, v19
	v_sub_nc_u32_e32 v19, 29, v19
	v_cndmask_b32_e32 v9, v20, v19, vcc_lo
	v_cndmask_b32_e32 v19, 0, v40, vcc_lo
	v_lshl_add_u32 v9, v9, 23, 0x3c000000
	v_lshlrev_b64 v[19:20], v19, v[17:18]
	v_lshlrev_b32_e32 v20, 24, v17
	v_lshlrev_b32_e32 v19, 20, v19
	v_and_b32_e32 v20, 0x80000000, v20
	v_and_b32_e32 v19, 0x700000, v19
	v_or3_b32 v42, v19, v20, v9
.LBB336_418:                            ;   in Loop: Header=BB336_414 Depth=1
	s_or_b32 exec_lo, exec_lo, s16
.LBB336_419:                            ;   in Loop: Header=BB336_414 Depth=1
	s_or_b32 exec_lo, exec_lo, s15
.LBB336_420:                            ;   in Loop: Header=BB336_414 Depth=1
	s_or_b32 exec_lo, exec_lo, s0
	v_cmp_ne_u16_sdwa s15, v17, v10 src0_sel:BYTE_1 src1_sel:DWORD
	v_mov_b32_e32 v41, 0
	v_mov_b32_e32 v40, 0
	s_and_saveexec_b32 s0, s15
	s_cbranch_execz .LBB336_428
; %bb.421:                              ;   in Loop: Header=BB336_414 Depth=1
	v_cmp_ne_u16_sdwa s16, v17, v34 src0_sel:BYTE_1 src1_sel:DWORD
	v_bfrev_b32_e32 v40, 1
	s_and_saveexec_b32 s15, s16
	s_cbranch_execz .LBB336_427
; %bb.422:                              ;   in Loop: Header=BB336_414 Depth=1
	v_and_b32_sdwa v9, v35, v17 dst_sel:DWORD dst_unused:UNUSED_PAD src0_sel:DWORD src1_sel:BYTE_1
	v_mov_b32_e32 v40, 0x7f800001
	s_mov_b32 s16, exec_lo
	v_and_b32_e32 v20, 0x7f, v9
	v_cmpx_ne_u32_e32 0x7f, v20
	s_cbranch_execz .LBB336_426
; %bb.423:                              ;   in Loop: Header=BB336_414 Depth=1
	v_and_b32_e32 v9, 7, v9
	v_lshrrev_b32_e32 v19, 3, v20
	s_mov_b32 s17, exec_lo
	v_cmpx_gt_u32_e32 8, v20
; %bb.424:                              ;   in Loop: Header=BB336_414 Depth=1
	v_ffbh_u32_e32 v19, v9
	v_min_u32_e32 v19, 32, v19
	v_subrev_nc_u32_e32 v20, 28, v19
	v_sub_nc_u32_e32 v19, 29, v19
	v_lshlrev_b64 v[43:44], v20, v[9:10]
	v_and_b32_e32 v9, 7, v43
; %bb.425:                              ;   in Loop: Header=BB336_414 Depth=1
	s_or_b32 exec_lo, exec_lo, s17
	v_lshlrev_b32_e32 v20, 16, v17
	v_lshlrev_b32_e32 v9, 20, v9
	v_lshl_add_u32 v19, v19, 23, 0x3c000000
	v_and_b32_e32 v20, 0x80000000, v20
	v_or3_b32 v40, v9, v20, v19
.LBB336_426:                            ;   in Loop: Header=BB336_414 Depth=1
	s_or_b32 exec_lo, exec_lo, s16
.LBB336_427:                            ;   in Loop: Header=BB336_414 Depth=1
	s_or_b32 exec_lo, exec_lo, s15
.LBB336_428:                            ;   in Loop: Header=BB336_414 Depth=1
	s_or_b32 exec_lo, exec_lo, s0
	v_and_b32_sdwa v9, v17, v36 dst_sel:DWORD dst_unused:UNUSED_PAD src0_sel:WORD_1 src1_sel:DWORD
	s_mov_b32 s0, exec_lo
	v_cmpx_ne_u16_e32 0, v9
	s_cbranch_execz .LBB336_436
; %bb.429:                              ;   in Loop: Header=BB336_414 Depth=1
	v_bfrev_b32_e32 v41, 1
	s_mov_b32 s15, exec_lo
	v_cmpx_ne_u16_e32 0x80, v9
	s_cbranch_execz .LBB336_435
; %bb.430:                              ;   in Loop: Header=BB336_414 Depth=1
	v_bfe_u32 v20, v17, 16, 7
	v_mov_b32_e32 v41, 0x7f800001
	s_mov_b32 s16, exec_lo
	v_cmpx_ne_u32_e32 0x7f, v20
	s_cbranch_execz .LBB336_434
; %bb.431:                              ;   in Loop: Header=BB336_414 Depth=1
	v_and_b32_sdwa v9, v17, v37 dst_sel:DWORD dst_unused:UNUSED_PAD src0_sel:WORD_1 src1_sel:DWORD
	v_lshrrev_b32_e32 v19, 3, v20
	s_mov_b32 s17, exec_lo
	v_cmpx_gt_u32_e32 8, v20
; %bb.432:                              ;   in Loop: Header=BB336_414 Depth=1
	v_ffbh_u32_e32 v19, v9
	v_min_u32_e32 v19, 32, v19
	v_subrev_nc_u32_e32 v20, 28, v19
	v_sub_nc_u32_e32 v19, 29, v19
	v_lshlrev_b64 v[43:44], v20, v[9:10]
	v_and_b32_e32 v9, 7, v43
; %bb.433:                              ;   in Loop: Header=BB336_414 Depth=1
	s_or_b32 exec_lo, exec_lo, s17
	v_lshlrev_b32_sdwa v20, v38, v17 dst_sel:DWORD dst_unused:UNUSED_PAD src0_sel:DWORD src1_sel:WORD_1
	v_lshlrev_b32_e32 v9, 20, v9
	v_lshl_add_u32 v19, v19, 23, 0x3c000000
	v_and_b32_e32 v20, 0x80000000, v20
	v_or3_b32 v41, v9, v20, v19
.LBB336_434:                            ;   in Loop: Header=BB336_414 Depth=1
	s_or_b32 exec_lo, exec_lo, s16
.LBB336_435:                            ;   in Loop: Header=BB336_414 Depth=1
	s_or_b32 exec_lo, exec_lo, s15
.LBB336_436:                            ;   in Loop: Header=BB336_414 Depth=1
	s_or_b32 exec_lo, exec_lo, s0
	v_mov_b32_e32 v43, 0
	v_mov_b32_e32 v44, 0
	s_mov_b32 s0, exec_lo
	v_cmpx_lt_u32_e32 0xffffff, v17
	s_cbranch_execz .LBB336_444
; %bb.437:                              ;   in Loop: Header=BB336_414 Depth=1
	v_cmp_ne_u32_sdwa s16, v17, v34 src0_sel:BYTE_3 src1_sel:DWORD
	v_bfrev_b32_e32 v44, 1
	s_and_saveexec_b32 s15, s16
	s_cbranch_execz .LBB336_443
; %bb.438:                              ;   in Loop: Header=BB336_414 Depth=1
	v_bfe_u32 v20, v17, 24, 7
	v_mov_b32_e32 v44, 0x7f800001
	s_mov_b32 s16, exec_lo
	v_cmpx_ne_u32_e32 0x7f, v20
	s_cbranch_execz .LBB336_442
; %bb.439:                              ;   in Loop: Header=BB336_414 Depth=1
	v_and_b32_sdwa v9, v17, v37 dst_sel:DWORD dst_unused:UNUSED_PAD src0_sel:BYTE_3 src1_sel:DWORD
	v_lshrrev_b32_e32 v19, 3, v20
	s_mov_b32 s17, exec_lo
	v_cmpx_gt_u32_e32 8, v20
; %bb.440:                              ;   in Loop: Header=BB336_414 Depth=1
	v_ffbh_u32_e32 v19, v9
	v_min_u32_e32 v19, 32, v19
	v_subrev_nc_u32_e32 v20, 28, v19
	v_sub_nc_u32_e32 v19, 29, v19
	v_lshlrev_b64 v[44:45], v20, v[9:10]
	v_and_b32_e32 v9, 7, v44
; %bb.441:                              ;   in Loop: Header=BB336_414 Depth=1
	s_or_b32 exec_lo, exec_lo, s17
	v_lshlrev_b32_sdwa v20, v38, v17 dst_sel:DWORD dst_unused:UNUSED_PAD src0_sel:DWORD src1_sel:BYTE_3
	v_lshlrev_b32_e32 v9, 20, v9
	v_lshl_add_u32 v19, v19, 23, 0x3c000000
	v_and_b32_e32 v20, 0x80000000, v20
	v_or3_b32 v44, v9, v20, v19
.LBB336_442:                            ;   in Loop: Header=BB336_414 Depth=1
	s_or_b32 exec_lo, exec_lo, s16
.LBB336_443:                            ;   in Loop: Header=BB336_414 Depth=1
	s_or_b32 exec_lo, exec_lo, s15
.LBB336_444:                            ;   in Loop: Header=BB336_414 Depth=1
	s_or_b32 exec_lo, exec_lo, s0
	v_mov_b32_e32 v9, v18
	v_cmp_ne_u16_sdwa s15, v18, v10 src0_sel:BYTE_0 src1_sel:DWORD
	s_and_saveexec_b32 s0, s15
	s_cbranch_execz .LBB336_450
; %bb.445:                              ;   in Loop: Header=BB336_414 Depth=1
	v_cmp_ne_u16_sdwa s16, v18, v34 src0_sel:BYTE_0 src1_sel:DWORD
	v_bfrev_b32_e32 v43, 1
	s_and_saveexec_b32 s15, s16
	s_cbranch_execz .LBB336_449
; %bb.446:                              ;   in Loop: Header=BB336_414 Depth=1
	v_and_b32_e32 v19, 0x7f, v18
	v_mov_b32_e32 v43, 0x7f800001
	s_mov_b32 s16, exec_lo
	v_cmpx_ne_u32_e32 0x7f, v19
	s_cbranch_execz .LBB336_448
; %bb.447:                              ;   in Loop: Header=BB336_414 Depth=1
	v_and_b32_e32 v20, 7, v18
	v_cmp_gt_u32_e32 vcc_lo, 8, v19
	v_lshrrev_b32_e32 v43, 3, v19
	v_ffbh_u32_e32 v20, v20
	v_min_u32_e32 v20, 32, v20
	v_subrev_nc_u32_e32 v45, 28, v20
	v_sub_nc_u32_e32 v20, 29, v20
	v_cndmask_b32_e32 v19, 0, v45, vcc_lo
	v_cndmask_b32_e32 v43, v43, v20, vcc_lo
	v_lshlrev_b64 v[19:20], v19, v[9:10]
	v_lshlrev_b32_e32 v20, 24, v9
	v_lshl_add_u32 v43, v43, 23, 0x3c000000
	v_lshlrev_b32_e32 v19, 20, v19
	v_and_b32_e32 v20, 0x80000000, v20
	v_and_b32_e32 v19, 0x700000, v19
	v_or3_b32 v43, v19, v20, v43
.LBB336_448:                            ;   in Loop: Header=BB336_414 Depth=1
	s_or_b32 exec_lo, exec_lo, s16
.LBB336_449:                            ;   in Loop: Header=BB336_414 Depth=1
	s_or_b32 exec_lo, exec_lo, s15
.LBB336_450:                            ;   in Loop: Header=BB336_414 Depth=1
	s_or_b32 exec_lo, exec_lo, s0
	v_cmp_ne_u16_sdwa s15, v9, v10 src0_sel:BYTE_1 src1_sel:DWORD
	v_mov_b32_e32 v45, 0
	v_mov_b32_e32 v19, 0
	s_and_saveexec_b32 s0, s15
	s_cbranch_execz .LBB336_458
; %bb.451:                              ;   in Loop: Header=BB336_414 Depth=1
	v_cmp_ne_u16_sdwa s16, v9, v34 src0_sel:BYTE_1 src1_sel:DWORD
	v_bfrev_b32_e32 v19, 1
	s_and_saveexec_b32 s15, s16
	s_cbranch_execz .LBB336_457
; %bb.452:                              ;   in Loop: Header=BB336_414 Depth=1
	v_and_b32_sdwa v20, v35, v9 dst_sel:DWORD dst_unused:UNUSED_PAD src0_sel:DWORD src1_sel:BYTE_1
	v_mov_b32_e32 v19, 0x7f800001
	s_mov_b32 s16, exec_lo
	v_and_b32_e32 v47, 0x7f, v20
	v_cmpx_ne_u32_e32 0x7f, v47
	s_cbranch_execz .LBB336_456
; %bb.453:                              ;   in Loop: Header=BB336_414 Depth=1
	v_and_b32_e32 v19, 7, v20
	v_mov_b32_e32 v20, v10
	v_lshrrev_b32_e32 v46, 3, v47
	s_mov_b32 s17, exec_lo
	v_cmpx_gt_u32_e32 8, v47
; %bb.454:                              ;   in Loop: Header=BB336_414 Depth=1
	v_ffbh_u32_e32 v46, v19
	v_min_u32_e32 v46, 32, v46
	v_subrev_nc_u32_e32 v47, 28, v46
	v_sub_nc_u32_e32 v46, 29, v46
	v_lshlrev_b64 v[19:20], v47, v[19:20]
	v_and_b32_e32 v19, 7, v19
; %bb.455:                              ;   in Loop: Header=BB336_414 Depth=1
	s_or_b32 exec_lo, exec_lo, s17
	v_lshlrev_b32_e32 v9, 16, v9
	v_lshlrev_b32_e32 v19, 20, v19
	v_lshl_add_u32 v20, v46, 23, 0x3c000000
	v_and_b32_e32 v9, 0x80000000, v9
	v_or3_b32 v19, v19, v9, v20
.LBB336_456:                            ;   in Loop: Header=BB336_414 Depth=1
	s_or_b32 exec_lo, exec_lo, s16
.LBB336_457:                            ;   in Loop: Header=BB336_414 Depth=1
	s_or_b32 exec_lo, exec_lo, s15
.LBB336_458:                            ;   in Loop: Header=BB336_414 Depth=1
	s_or_b32 exec_lo, exec_lo, s0
	v_and_b32_sdwa v9, v18, v36 dst_sel:DWORD dst_unused:UNUSED_PAD src0_sel:WORD_1 src1_sel:DWORD
	s_mov_b32 s0, exec_lo
	v_cmpx_ne_u16_e32 0, v9
	s_cbranch_execz .LBB336_466
; %bb.459:                              ;   in Loop: Header=BB336_414 Depth=1
	v_bfrev_b32_e32 v45, 1
	s_mov_b32 s15, exec_lo
	v_cmpx_ne_u16_e32 0x80, v9
	s_cbranch_execz .LBB336_465
; %bb.460:                              ;   in Loop: Header=BB336_414 Depth=1
	v_bfe_u32 v46, v18, 16, 7
	v_mov_b32_e32 v45, 0x7f800001
	s_mov_b32 s16, exec_lo
	v_cmpx_ne_u32_e32 0x7f, v46
	s_cbranch_execz .LBB336_464
; %bb.461:                              ;   in Loop: Header=BB336_414 Depth=1
	v_and_b32_sdwa v9, v18, v37 dst_sel:DWORD dst_unused:UNUSED_PAD src0_sel:WORD_1 src1_sel:DWORD
	v_lshrrev_b32_e32 v20, 3, v46
	s_mov_b32 s17, exec_lo
	v_cmpx_gt_u32_e32 8, v46
; %bb.462:                              ;   in Loop: Header=BB336_414 Depth=1
	v_ffbh_u32_e32 v20, v9
	v_min_u32_e32 v20, 32, v20
	v_subrev_nc_u32_e32 v45, 28, v20
	v_sub_nc_u32_e32 v20, 29, v20
	v_lshlrev_b64 v[45:46], v45, v[9:10]
	v_and_b32_e32 v9, 7, v45
; %bb.463:                              ;   in Loop: Header=BB336_414 Depth=1
	s_or_b32 exec_lo, exec_lo, s17
	v_lshlrev_b32_sdwa v45, v38, v18 dst_sel:DWORD dst_unused:UNUSED_PAD src0_sel:DWORD src1_sel:WORD_1
	v_lshlrev_b32_e32 v9, 20, v9
	v_lshl_add_u32 v20, v20, 23, 0x3c000000
	v_and_b32_e32 v45, 0x80000000, v45
	v_or3_b32 v45, v9, v45, v20
.LBB336_464:                            ;   in Loop: Header=BB336_414 Depth=1
	s_or_b32 exec_lo, exec_lo, s16
.LBB336_465:                            ;   in Loop: Header=BB336_414 Depth=1
	s_or_b32 exec_lo, exec_lo, s15
.LBB336_466:                            ;   in Loop: Header=BB336_414 Depth=1
	s_or_b32 exec_lo, exec_lo, s0
	v_mov_b32_e32 v9, 0
	s_mov_b32 s0, exec_lo
	v_cmpx_lt_u64_e64 s[2:3], v[17:18]
	s_cbranch_execz .LBB336_474
; %bb.467:                              ;   in Loop: Header=BB336_414 Depth=1
	v_cmp_ne_u32_sdwa s16, v18, v34 src0_sel:BYTE_3 src1_sel:DWORD
	v_bfrev_b32_e32 v9, 1
	s_and_saveexec_b32 s15, s16
	s_cbranch_execz .LBB336_473
; %bb.468:                              ;   in Loop: Header=BB336_414 Depth=1
	v_bfe_u32 v20, v18, 24, 7
	v_mov_b32_e32 v9, 0x7f800001
	s_mov_b32 s16, exec_lo
	v_cmpx_ne_u32_e32 0x7f, v20
	s_cbranch_execz .LBB336_472
; %bb.469:                              ;   in Loop: Header=BB336_414 Depth=1
	v_and_b32_sdwa v9, v18, v37 dst_sel:DWORD dst_unused:UNUSED_PAD src0_sel:BYTE_3 src1_sel:DWORD
	v_lshrrev_b32_e32 v17, 3, v20
	s_mov_b32 s17, exec_lo
	v_cmpx_gt_u32_e32 8, v20
; %bb.470:                              ;   in Loop: Header=BB336_414 Depth=1
	v_ffbh_u32_e32 v17, v9
	v_min_u32_e32 v17, 32, v17
	v_subrev_nc_u32_e32 v20, 28, v17
	v_sub_nc_u32_e32 v17, 29, v17
	v_lshlrev_b64 v[46:47], v20, v[9:10]
	v_and_b32_e32 v9, 7, v46
; %bb.471:                              ;   in Loop: Header=BB336_414 Depth=1
	s_or_b32 exec_lo, exec_lo, s17
	v_lshlrev_b32_sdwa v18, v38, v18 dst_sel:DWORD dst_unused:UNUSED_PAD src0_sel:DWORD src1_sel:BYTE_3
	v_lshlrev_b32_e32 v9, 20, v9
	v_lshl_add_u32 v17, v17, 23, 0x3c000000
	v_and_b32_e32 v18, 0x80000000, v18
	v_or3_b32 v9, v9, v18, v17
.LBB336_472:                            ;   in Loop: Header=BB336_414 Depth=1
	s_or_b32 exec_lo, exec_lo, s16
.LBB336_473:                            ;   in Loop: Header=BB336_414 Depth=1
	s_or_b32 exec_lo, exec_lo, s15
.LBB336_474:                            ;   in Loop: Header=BB336_414 Depth=1
	s_or_b32 exec_lo, exec_lo, s0
	s_waitcnt lgkmcnt(0)
	v_mul_f32_e32 v17, s5, v19
	v_mul_f32_e32 v18, s5, v43
	;; [unrolled: 1-line block ×5, first 2 shown]
	v_bfe_u32 v20, v17, 16, 1
	v_or_b32_e32 v41, 0x400000, v17
	v_bfe_u32 v43, v18, 16, 1
	v_cmp_u_f32_e64 s0, v17, v17
	v_or_b32_e32 v46, 0x400000, v18
	v_add3_u32 v20, v20, v17, 0x7fff
	v_bfe_u32 v47, v19, 16, 1
	v_add3_u32 v43, v43, v18, 0x7fff
	v_or_b32_e32 v49, 0x400000, v19
	v_add_nc_u32_e32 v48, -7, v32
	v_cndmask_b32_e64 v17, v20, v41, s0
	v_cmp_u_f32_e64 s0, v18, v18
	v_bfe_u32 v20, v44, 16, 1
	v_add3_u32 v47, v47, v19, 0x7fff
	v_cmp_eq_u32_e32 vcc_lo, s13, v39
	v_lshrrev_b32_e32 v41, 16, v17
	v_cndmask_b32_e64 v18, v43, v46, s0
	v_cmp_u_f32_e64 s0, v19, v19
	v_mul_f32_e32 v19, s5, v40
	v_add3_u32 v20, v20, v44, 0x7fff
	v_or_b32_e32 v46, 0x400000, v44
	v_lshrrev_b32_e32 v40, 16, v18
	v_cndmask_b32_e64 v17, v47, v49, s0
	v_cmp_u_f32_e64 s0, v44, v44
	v_or_b32_e32 v44, 0x400000, v19
	v_or_b32_e32 v49, 0x400000, v9
	v_add_nc_u32_e32 v54, -6, v32
	v_lshrrev_b32_e32 v43, 16, v17
	v_bfe_u32 v17, v19, 16, 1
	v_cndmask_b32_e64 v18, v20, v46, s0
	v_mul_f32_e32 v20, s5, v42
	v_mul_f32_e32 v42, s5, v45
	v_cmp_u_f32_e64 s0, v19, v19
	v_add3_u32 v17, v17, v19, 0x7fff
	v_bfe_u32 v19, v9, 16, 1
	v_bfe_u32 v45, v20, 16, 1
	;; [unrolled: 1-line block ×3, first 2 shown]
	v_or_b32_e32 v47, 0x400000, v42
	v_cndmask_b32_e64 v17, v17, v44, s0
	v_cmp_u_f32_e64 s0, v20, v20
	v_add3_u32 v44, v45, v20, 0x7fff
	v_or_b32_e32 v45, 0x400000, v20
	v_add3_u32 v46, v46, v42, 0x7fff
	v_add3_u32 v19, v19, v9, 0x7fff
	v_add_nc_u32_e32 v53, -5, v32
	v_add_nc_u32_e32 v52, -4, v32
	v_cndmask_b32_e64 v20, v44, v45, s0
	v_cmp_u_f32_e64 s0, v42, v42
	v_lshrrev_b32_e32 v45, 16, v18
	v_add_nc_u32_e32 v51, -3, v32
	v_add_nc_u32_e32 v50, -2, v32
	v_cndmask_b32_e64 v42, v46, v47, s0
	v_cmp_u_f32_e64 s0, v9, v9
	v_lshrrev_b32_e32 v47, 16, v17
	v_lshrrev_b32_e32 v46, 16, v20
	;; [unrolled: 1-line block ×3, first 2 shown]
	v_cndmask_b32_e64 v9, v19, v49, s0
	v_add_nc_u32_e32 v49, -1, v32
	v_lshrrev_b32_e32 v44, 16, v9
	s_and_saveexec_b32 s15, vcc_lo
	s_cbranch_execz .LBB336_476
; %bb.475:                              ;   in Loop: Header=BB336_414 Depth=1
	v_cmp_gt_i32_e64 s0, s11, v48
	v_cndmask_b32_e64 v46, 0, v46, s0
	v_cmp_gt_i32_e64 s0, s11, v54
	v_cndmask_b32_e64 v47, 0, v47, s0
	;; [unrolled: 2-line block ×8, first 2 shown]
.LBB336_476:                            ;   in Loop: Header=BB336_414 Depth=1
	s_or_b32 exec_lo, exec_lo, s15
	global_load_dwordx2 v[17:18], v[15:16], off offset:256
	v_mov_b32_e32 v56, 0
	v_mov_b32_e32 v57, 0
	s_waitcnt vmcnt(0)
	v_cmp_ne_u16_sdwa s0, v17, v10 src0_sel:BYTE_0 src1_sel:DWORD
	s_and_saveexec_b32 s15, s0
	s_cbranch_execz .LBB336_482
; %bb.477:                              ;   in Loop: Header=BB336_414 Depth=1
	v_cmp_ne_u16_sdwa s0, v17, v34 src0_sel:BYTE_0 src1_sel:DWORD
	v_bfrev_b32_e32 v57, 1
	s_and_saveexec_b32 s16, s0
	s_cbranch_execz .LBB336_481
; %bb.478:                              ;   in Loop: Header=BB336_414 Depth=1
	v_and_b32_e32 v9, 0x7f, v17
	v_mov_b32_e32 v57, 0x7f800001
	s_mov_b32 s17, exec_lo
	v_cmpx_ne_u32_e32 0x7f, v9
	s_cbranch_execz .LBB336_480
; %bb.479:                              ;   in Loop: Header=BB336_414 Depth=1
	v_and_b32_e32 v19, 7, v17
	v_lshrrev_b32_e32 v20, 3, v9
	v_cmp_gt_u32_e64 s0, 8, v9
	v_ffbh_u32_e32 v19, v19
	v_min_u32_e32 v19, 32, v19
	v_subrev_nc_u32_e32 v55, 28, v19
	v_sub_nc_u32_e32 v19, 29, v19
	v_cndmask_b32_e64 v9, v20, v19, s0
	v_cndmask_b32_e64 v19, 0, v55, s0
	v_lshl_add_u32 v9, v9, 23, 0x3c000000
	v_lshlrev_b64 v[19:20], v19, v[17:18]
	v_lshlrev_b32_e32 v20, 24, v17
	v_lshlrev_b32_e32 v19, 20, v19
	v_and_b32_e32 v20, 0x80000000, v20
	v_and_b32_e32 v19, 0x700000, v19
	v_or3_b32 v57, v19, v20, v9
.LBB336_480:                            ;   in Loop: Header=BB336_414 Depth=1
	s_or_b32 exec_lo, exec_lo, s17
.LBB336_481:                            ;   in Loop: Header=BB336_414 Depth=1
	s_or_b32 exec_lo, exec_lo, s16
.LBB336_482:                            ;   in Loop: Header=BB336_414 Depth=1
	s_or_b32 exec_lo, exec_lo, s15
	v_cmp_ne_u16_sdwa s0, v17, v10 src0_sel:BYTE_1 src1_sel:DWORD
	s_and_saveexec_b32 s15, s0
	s_cbranch_execz .LBB336_490
; %bb.483:                              ;   in Loop: Header=BB336_414 Depth=1
	v_cmp_ne_u16_sdwa s0, v17, v34 src0_sel:BYTE_1 src1_sel:DWORD
	v_bfrev_b32_e32 v56, 1
	s_and_saveexec_b32 s16, s0
	s_cbranch_execz .LBB336_489
; %bb.484:                              ;   in Loop: Header=BB336_414 Depth=1
	v_and_b32_sdwa v9, v35, v17 dst_sel:DWORD dst_unused:UNUSED_PAD src0_sel:DWORD src1_sel:BYTE_1
	v_mov_b32_e32 v56, 0x7f800001
	s_mov_b32 s17, exec_lo
	v_and_b32_e32 v20, 0x7f, v9
	v_cmpx_ne_u32_e32 0x7f, v20
	s_cbranch_execz .LBB336_488
; %bb.485:                              ;   in Loop: Header=BB336_414 Depth=1
	v_and_b32_e32 v9, 7, v9
	v_lshrrev_b32_e32 v19, 3, v20
	s_mov_b32 s18, exec_lo
	v_cmpx_gt_u32_e32 8, v20
; %bb.486:                              ;   in Loop: Header=BB336_414 Depth=1
	v_ffbh_u32_e32 v19, v9
	v_min_u32_e32 v19, 32, v19
	v_subrev_nc_u32_e32 v20, 28, v19
	v_sub_nc_u32_e32 v19, 29, v19
	v_lshlrev_b64 v[55:56], v20, v[9:10]
	v_and_b32_e32 v9, 7, v55
; %bb.487:                              ;   in Loop: Header=BB336_414 Depth=1
	s_or_b32 exec_lo, exec_lo, s18
	v_lshlrev_b32_e32 v20, 16, v17
	v_lshlrev_b32_e32 v9, 20, v9
	v_lshl_add_u32 v19, v19, 23, 0x3c000000
	v_and_b32_e32 v20, 0x80000000, v20
	v_or3_b32 v56, v9, v20, v19
.LBB336_488:                            ;   in Loop: Header=BB336_414 Depth=1
	s_or_b32 exec_lo, exec_lo, s17
.LBB336_489:                            ;   in Loop: Header=BB336_414 Depth=1
	s_or_b32 exec_lo, exec_lo, s16
.LBB336_490:                            ;   in Loop: Header=BB336_414 Depth=1
	s_or_b32 exec_lo, exec_lo, s15
	v_and_b32_sdwa v9, v17, v36 dst_sel:DWORD dst_unused:UNUSED_PAD src0_sel:WORD_1 src1_sel:DWORD
	v_mov_b32_e32 v58, 0
	v_mov_b32_e32 v55, 0
	s_mov_b32 s15, exec_lo
	v_cmpx_ne_u16_e32 0, v9
	s_cbranch_execz .LBB336_498
; %bb.491:                              ;   in Loop: Header=BB336_414 Depth=1
	v_bfrev_b32_e32 v55, 1
	s_mov_b32 s16, exec_lo
	v_cmpx_ne_u16_e32 0x80, v9
	s_cbranch_execz .LBB336_497
; %bb.492:                              ;   in Loop: Header=BB336_414 Depth=1
	v_bfe_u32 v20, v17, 16, 7
	v_mov_b32_e32 v55, 0x7f800001
	s_mov_b32 s17, exec_lo
	v_cmpx_ne_u32_e32 0x7f, v20
	s_cbranch_execz .LBB336_496
; %bb.493:                              ;   in Loop: Header=BB336_414 Depth=1
	v_and_b32_sdwa v9, v17, v37 dst_sel:DWORD dst_unused:UNUSED_PAD src0_sel:WORD_1 src1_sel:DWORD
	v_lshrrev_b32_e32 v19, 3, v20
	s_mov_b32 s18, exec_lo
	v_cmpx_gt_u32_e32 8, v20
; %bb.494:                              ;   in Loop: Header=BB336_414 Depth=1
	v_ffbh_u32_e32 v19, v9
	v_min_u32_e32 v19, 32, v19
	v_subrev_nc_u32_e32 v20, 28, v19
	v_sub_nc_u32_e32 v19, 29, v19
	v_lshlrev_b64 v[59:60], v20, v[9:10]
	v_and_b32_e32 v9, 7, v59
; %bb.495:                              ;   in Loop: Header=BB336_414 Depth=1
	s_or_b32 exec_lo, exec_lo, s18
	v_lshlrev_b32_sdwa v20, v38, v17 dst_sel:DWORD dst_unused:UNUSED_PAD src0_sel:DWORD src1_sel:WORD_1
	v_lshlrev_b32_e32 v9, 20, v9
	v_lshl_add_u32 v19, v19, 23, 0x3c000000
	v_and_b32_e32 v20, 0x80000000, v20
	v_or3_b32 v55, v9, v20, v19
.LBB336_496:                            ;   in Loop: Header=BB336_414 Depth=1
	s_or_b32 exec_lo, exec_lo, s17
.LBB336_497:                            ;   in Loop: Header=BB336_414 Depth=1
	s_or_b32 exec_lo, exec_lo, s16
.LBB336_498:                            ;   in Loop: Header=BB336_414 Depth=1
	s_or_b32 exec_lo, exec_lo, s15
	s_mov_b32 s15, exec_lo
	v_cmpx_lt_u32_e32 0xffffff, v17
	s_cbranch_execz .LBB336_506
; %bb.499:                              ;   in Loop: Header=BB336_414 Depth=1
	v_cmp_ne_u32_sdwa s0, v17, v34 src0_sel:BYTE_3 src1_sel:DWORD
	v_bfrev_b32_e32 v58, 1
	s_and_saveexec_b32 s16, s0
	s_cbranch_execz .LBB336_505
; %bb.500:                              ;   in Loop: Header=BB336_414 Depth=1
	v_bfe_u32 v20, v17, 24, 7
	v_mov_b32_e32 v58, 0x7f800001
	s_mov_b32 s17, exec_lo
	v_cmpx_ne_u32_e32 0x7f, v20
	s_cbranch_execz .LBB336_504
; %bb.501:                              ;   in Loop: Header=BB336_414 Depth=1
	v_and_b32_sdwa v9, v17, v37 dst_sel:DWORD dst_unused:UNUSED_PAD src0_sel:BYTE_3 src1_sel:DWORD
	v_lshrrev_b32_e32 v19, 3, v20
	s_mov_b32 s18, exec_lo
	v_cmpx_gt_u32_e32 8, v20
; %bb.502:                              ;   in Loop: Header=BB336_414 Depth=1
	v_ffbh_u32_e32 v19, v9
	v_min_u32_e32 v19, 32, v19
	v_subrev_nc_u32_e32 v20, 28, v19
	v_sub_nc_u32_e32 v19, 29, v19
	v_lshlrev_b64 v[58:59], v20, v[9:10]
	v_and_b32_e32 v9, 7, v58
; %bb.503:                              ;   in Loop: Header=BB336_414 Depth=1
	s_or_b32 exec_lo, exec_lo, s18
	v_lshlrev_b32_sdwa v20, v38, v17 dst_sel:DWORD dst_unused:UNUSED_PAD src0_sel:DWORD src1_sel:BYTE_3
	v_lshlrev_b32_e32 v9, 20, v9
	v_lshl_add_u32 v19, v19, 23, 0x3c000000
	v_and_b32_e32 v20, 0x80000000, v20
	v_or3_b32 v58, v9, v20, v19
.LBB336_504:                            ;   in Loop: Header=BB336_414 Depth=1
	s_or_b32 exec_lo, exec_lo, s17
.LBB336_505:                            ;   in Loop: Header=BB336_414 Depth=1
	s_or_b32 exec_lo, exec_lo, s16
.LBB336_506:                            ;   in Loop: Header=BB336_414 Depth=1
	s_or_b32 exec_lo, exec_lo, s15
	v_mov_b32_e32 v9, v18
	v_cmp_ne_u16_sdwa s0, v18, v10 src0_sel:BYTE_0 src1_sel:DWORD
	v_mov_b32_e32 v19, 0
	v_mov_b32_e32 v59, 0
	s_and_saveexec_b32 s15, s0
	s_cbranch_execz .LBB336_512
; %bb.507:                              ;   in Loop: Header=BB336_414 Depth=1
	v_cmp_ne_u16_sdwa s0, v18, v34 src0_sel:BYTE_0 src1_sel:DWORD
	v_bfrev_b32_e32 v59, 1
	s_and_saveexec_b32 s16, s0
	s_cbranch_execz .LBB336_511
; %bb.508:                              ;   in Loop: Header=BB336_414 Depth=1
	v_and_b32_e32 v20, 0x7f, v18
	v_mov_b32_e32 v59, 0x7f800001
	s_mov_b32 s17, exec_lo
	v_cmpx_ne_u32_e32 0x7f, v20
	s_cbranch_execz .LBB336_510
; %bb.509:                              ;   in Loop: Header=BB336_414 Depth=1
	v_and_b32_e32 v59, 7, v18
	v_lshrrev_b32_e32 v60, 3, v20
	v_cmp_gt_u32_e64 s0, 8, v20
	v_ffbh_u32_e32 v59, v59
	v_min_u32_e32 v59, 32, v59
	v_subrev_nc_u32_e32 v61, 28, v59
	v_sub_nc_u32_e32 v59, 29, v59
	v_cndmask_b32_e64 v20, v60, v59, s0
	v_cndmask_b32_e64 v59, 0, v61, s0
	v_lshl_add_u32 v20, v20, 23, 0x3c000000
	v_lshlrev_b64 v[59:60], v59, v[9:10]
	v_lshlrev_b32_e32 v60, 24, v9
	v_lshlrev_b32_e32 v59, 20, v59
	v_and_b32_e32 v60, 0x80000000, v60
	v_and_b32_e32 v59, 0x700000, v59
	v_or3_b32 v59, v59, v60, v20
.LBB336_510:                            ;   in Loop: Header=BB336_414 Depth=1
	s_or_b32 exec_lo, exec_lo, s17
.LBB336_511:                            ;   in Loop: Header=BB336_414 Depth=1
	s_or_b32 exec_lo, exec_lo, s16
.LBB336_512:                            ;   in Loop: Header=BB336_414 Depth=1
	s_or_b32 exec_lo, exec_lo, s15
	v_cmp_ne_u16_sdwa s0, v9, v10 src0_sel:BYTE_1 src1_sel:DWORD
	s_and_saveexec_b32 s15, s0
	s_cbranch_execz .LBB336_520
; %bb.513:                              ;   in Loop: Header=BB336_414 Depth=1
	v_cmp_ne_u16_sdwa s0, v9, v34 src0_sel:BYTE_1 src1_sel:DWORD
	v_bfrev_b32_e32 v19, 1
	s_and_saveexec_b32 s16, s0
	s_cbranch_execz .LBB336_519
; %bb.514:                              ;   in Loop: Header=BB336_414 Depth=1
	v_and_b32_sdwa v20, v35, v9 dst_sel:DWORD dst_unused:UNUSED_PAD src0_sel:DWORD src1_sel:BYTE_1
	v_mov_b32_e32 v19, 0x7f800001
	s_mov_b32 s17, exec_lo
	v_and_b32_e32 v61, 0x7f, v20
	v_cmpx_ne_u32_e32 0x7f, v61
	s_cbranch_execz .LBB336_518
; %bb.515:                              ;   in Loop: Header=BB336_414 Depth=1
	v_and_b32_e32 v19, 7, v20
	v_mov_b32_e32 v20, v10
	v_lshrrev_b32_e32 v60, 3, v61
	s_mov_b32 s18, exec_lo
	v_cmpx_gt_u32_e32 8, v61
; %bb.516:                              ;   in Loop: Header=BB336_414 Depth=1
	v_ffbh_u32_e32 v60, v19
	v_min_u32_e32 v60, 32, v60
	v_subrev_nc_u32_e32 v61, 28, v60
	v_sub_nc_u32_e32 v60, 29, v60
	v_lshlrev_b64 v[19:20], v61, v[19:20]
	v_and_b32_e32 v19, 7, v19
; %bb.517:                              ;   in Loop: Header=BB336_414 Depth=1
	s_or_b32 exec_lo, exec_lo, s18
	v_lshlrev_b32_e32 v9, 16, v9
	v_lshlrev_b32_e32 v19, 20, v19
	v_lshl_add_u32 v20, v60, 23, 0x3c000000
	v_and_b32_e32 v9, 0x80000000, v9
	v_or3_b32 v19, v19, v9, v20
.LBB336_518:                            ;   in Loop: Header=BB336_414 Depth=1
	s_or_b32 exec_lo, exec_lo, s17
.LBB336_519:                            ;   in Loop: Header=BB336_414 Depth=1
	s_or_b32 exec_lo, exec_lo, s16
.LBB336_520:                            ;   in Loop: Header=BB336_414 Depth=1
	s_or_b32 exec_lo, exec_lo, s15
	v_and_b32_sdwa v9, v18, v36 dst_sel:DWORD dst_unused:UNUSED_PAD src0_sel:WORD_1 src1_sel:DWORD
	v_mov_b32_e32 v20, 0
	v_mov_b32_e32 v60, 0
	s_mov_b32 s15, exec_lo
	v_cmpx_ne_u16_e32 0, v9
	s_cbranch_execz .LBB336_528
; %bb.521:                              ;   in Loop: Header=BB336_414 Depth=1
	v_bfrev_b32_e32 v60, 1
	s_mov_b32 s16, exec_lo
	v_cmpx_ne_u16_e32 0x80, v9
	s_cbranch_execz .LBB336_527
; %bb.522:                              ;   in Loop: Header=BB336_414 Depth=1
	v_bfe_u32 v61, v18, 16, 7
	v_mov_b32_e32 v60, 0x7f800001
	s_mov_b32 s17, exec_lo
	v_cmpx_ne_u32_e32 0x7f, v61
	s_cbranch_execz .LBB336_526
; %bb.523:                              ;   in Loop: Header=BB336_414 Depth=1
	v_and_b32_sdwa v9, v18, v37 dst_sel:DWORD dst_unused:UNUSED_PAD src0_sel:WORD_1 src1_sel:DWORD
	v_lshrrev_b32_e32 v60, 3, v61
	s_mov_b32 s18, exec_lo
	v_cmpx_gt_u32_e32 8, v61
; %bb.524:                              ;   in Loop: Header=BB336_414 Depth=1
	v_ffbh_u32_e32 v60, v9
	v_min_u32_e32 v60, 32, v60
	v_subrev_nc_u32_e32 v61, 28, v60
	v_sub_nc_u32_e32 v60, 29, v60
	v_lshlrev_b64 v[61:62], v61, v[9:10]
	v_and_b32_e32 v9, 7, v61
; %bb.525:                              ;   in Loop: Header=BB336_414 Depth=1
	s_or_b32 exec_lo, exec_lo, s18
	v_lshlrev_b32_sdwa v61, v38, v18 dst_sel:DWORD dst_unused:UNUSED_PAD src0_sel:DWORD src1_sel:WORD_1
	v_lshlrev_b32_e32 v9, 20, v9
	v_lshl_add_u32 v60, v60, 23, 0x3c000000
	v_and_b32_e32 v61, 0x80000000, v61
	v_or3_b32 v60, v9, v61, v60
.LBB336_526:                            ;   in Loop: Header=BB336_414 Depth=1
	s_or_b32 exec_lo, exec_lo, s17
.LBB336_527:                            ;   in Loop: Header=BB336_414 Depth=1
	s_or_b32 exec_lo, exec_lo, s16
.LBB336_528:                            ;   in Loop: Header=BB336_414 Depth=1
	s_or_b32 exec_lo, exec_lo, s15
	s_mov_b32 s15, exec_lo
	v_cmpx_lt_u64_e64 s[2:3], v[17:18]
	s_cbranch_execz .LBB336_536
; %bb.529:                              ;   in Loop: Header=BB336_414 Depth=1
	v_cmp_ne_u32_sdwa s0, v18, v34 src0_sel:BYTE_3 src1_sel:DWORD
	v_bfrev_b32_e32 v20, 1
	s_and_saveexec_b32 s16, s0
	s_cbranch_execz .LBB336_535
; %bb.530:                              ;   in Loop: Header=BB336_414 Depth=1
	v_bfe_u32 v61, v18, 24, 7
	v_mov_b32_e32 v20, 0x7f800001
	s_mov_b32 s17, exec_lo
	v_cmpx_ne_u32_e32 0x7f, v61
	s_cbranch_execz .LBB336_534
; %bb.531:                              ;   in Loop: Header=BB336_414 Depth=1
	v_and_b32_sdwa v9, v18, v37 dst_sel:DWORD dst_unused:UNUSED_PAD src0_sel:BYTE_3 src1_sel:DWORD
	v_lshrrev_b32_e32 v17, 3, v61
	s_mov_b32 s18, exec_lo
	v_cmpx_gt_u32_e32 8, v61
; %bb.532:                              ;   in Loop: Header=BB336_414 Depth=1
	v_ffbh_u32_e32 v17, v9
	v_min_u32_e32 v17, 32, v17
	v_subrev_nc_u32_e32 v20, 28, v17
	v_sub_nc_u32_e32 v17, 29, v17
	v_lshlrev_b64 v[61:62], v20, v[9:10]
	v_and_b32_e32 v9, 7, v61
; %bb.533:                              ;   in Loop: Header=BB336_414 Depth=1
	s_or_b32 exec_lo, exec_lo, s18
	v_lshlrev_b32_sdwa v18, v38, v18 dst_sel:DWORD dst_unused:UNUSED_PAD src0_sel:DWORD src1_sel:BYTE_3
	v_lshlrev_b32_e32 v9, 20, v9
	v_lshl_add_u32 v17, v17, 23, 0x3c000000
	v_and_b32_e32 v18, 0x80000000, v18
	v_or3_b32 v20, v9, v18, v17
.LBB336_534:                            ;   in Loop: Header=BB336_414 Depth=1
	s_or_b32 exec_lo, exec_lo, s17
.LBB336_535:                            ;   in Loop: Header=BB336_414 Depth=1
	s_or_b32 exec_lo, exec_lo, s16
.LBB336_536:                            ;   in Loop: Header=BB336_414 Depth=1
	s_or_b32 exec_lo, exec_lo, s15
	v_mul_f32_e32 v9, s5, v19
	v_mul_f32_e32 v17, s5, v59
	;; [unrolled: 1-line block ×5, first 2 shown]
	v_bfe_u32 v55, v9, 16, 1
	v_or_b32_e32 v58, 0x400000, v9
	v_bfe_u32 v59, v17, 16, 1
	v_cmp_u_f32_e64 s0, v9, v9
	v_or_b32_e32 v61, 0x400000, v17
	v_add3_u32 v55, v55, v9, 0x7fff
	v_bfe_u32 v62, v18, 16, 1
	v_add3_u32 v59, v59, v17, 0x7fff
	v_or_b32_e32 v63, 0x400000, v18
	v_bfe_u32 v64, v19, 16, 1
	v_cndmask_b32_e64 v9, v55, v58, s0
	v_cmp_u_f32_e64 s0, v17, v17
	v_add3_u32 v62, v62, v18, 0x7fff
	v_lshrrev_b32_e32 v55, 16, v9
	v_cndmask_b32_e64 v17, v59, v61, s0
	v_cmp_u_f32_e64 s0, v18, v18
	v_mul_f32_e32 v9, s5, v56
	v_add3_u32 v59, v64, v19, 0x7fff
	v_or_b32_e32 v61, 0x400000, v19
	v_lshrrev_b32_e32 v56, 16, v17
	v_cndmask_b32_e64 v18, v62, v63, s0
	v_bfe_u32 v17, v9, 16, 1
	v_cmp_u_f32_e64 s0, v19, v19
	v_mul_f32_e32 v19, s5, v57
	v_mul_f32_e32 v57, s5, v60
	v_lshrrev_b32_e32 v58, 16, v18
	v_add3_u32 v17, v17, v9, 0x7fff
	v_cndmask_b32_e64 v18, v59, v61, s0
	v_or_b32_e32 v59, 0x400000, v9
	v_bfe_u32 v60, v19, 16, 1
	v_cmp_u_f32_e64 s0, v9, v9
	v_bfe_u32 v61, v57, 16, 1
	v_or_b32_e32 v62, 0x400000, v57
	v_or_b32_e32 v63, 0x400000, v20
	v_cndmask_b32_e64 v9, v17, v59, s0
	v_add3_u32 v59, v60, v19, 0x7fff
	v_or_b32_e32 v60, 0x400000, v19
	v_cmp_u_f32_e64 s0, v19, v19
	v_bfe_u32 v17, v20, 16, 1
	v_add3_u32 v61, v61, v57, 0x7fff
	v_cndmask_b32_e64 v19, v59, v60, s0
	v_cmp_u_f32_e64 s0, v57, v57
	v_add3_u32 v17, v17, v20, 0x7fff
	v_lshrrev_b32_e32 v60, 16, v18
	v_cndmask_b32_e64 v57, v61, v62, s0
	v_cmp_u_f32_e64 s0, v20, v20
	v_lshrrev_b32_e32 v62, 16, v9
	v_lshrrev_b32_e32 v61, 16, v19
	;; [unrolled: 1-line block ×3, first 2 shown]
	v_cndmask_b32_e64 v17, v17, v63, s0
	v_lshrrev_b32_e32 v59, 16, v17
	s_and_saveexec_b32 s15, vcc_lo
	s_cbranch_execz .LBB336_538
; %bb.537:                              ;   in Loop: Header=BB336_414 Depth=1
	v_cmp_gt_i32_e64 s0, s11, v48
	v_cndmask_b32_e64 v61, 0, v61, s0
	v_cmp_gt_i32_e64 s0, s11, v54
	v_cndmask_b32_e64 v62, 0, v62, s0
	;; [unrolled: 2-line block ×8, first 2 shown]
.LBB336_538:                            ;   in Loop: Header=BB336_414 Depth=1
	s_or_b32 exec_lo, exec_lo, s15
	global_load_dwordx2 v[17:18], v[15:16], off offset:512
	v_mov_b32_e32 v64, 0
	v_mov_b32_e32 v65, 0
	s_waitcnt vmcnt(0)
	v_cmp_ne_u16_sdwa s0, v17, v10 src0_sel:BYTE_0 src1_sel:DWORD
	s_and_saveexec_b32 s15, s0
	s_cbranch_execz .LBB336_544
; %bb.539:                              ;   in Loop: Header=BB336_414 Depth=1
	v_cmp_ne_u16_sdwa s0, v17, v34 src0_sel:BYTE_0 src1_sel:DWORD
	v_bfrev_b32_e32 v65, 1
	s_and_saveexec_b32 s16, s0
	s_cbranch_execz .LBB336_543
; %bb.540:                              ;   in Loop: Header=BB336_414 Depth=1
	v_and_b32_e32 v9, 0x7f, v17
	v_mov_b32_e32 v65, 0x7f800001
	s_mov_b32 s17, exec_lo
	v_cmpx_ne_u32_e32 0x7f, v9
	s_cbranch_execz .LBB336_542
; %bb.541:                              ;   in Loop: Header=BB336_414 Depth=1
	v_and_b32_e32 v19, 7, v17
	v_lshrrev_b32_e32 v20, 3, v9
	v_cmp_gt_u32_e64 s0, 8, v9
	v_ffbh_u32_e32 v19, v19
	v_min_u32_e32 v19, 32, v19
	v_subrev_nc_u32_e32 v63, 28, v19
	v_sub_nc_u32_e32 v19, 29, v19
	v_cndmask_b32_e64 v9, v20, v19, s0
	v_cndmask_b32_e64 v19, 0, v63, s0
	v_lshl_add_u32 v9, v9, 23, 0x3c000000
	v_lshlrev_b64 v[19:20], v19, v[17:18]
	v_lshlrev_b32_e32 v20, 24, v17
	v_lshlrev_b32_e32 v19, 20, v19
	v_and_b32_e32 v20, 0x80000000, v20
	v_and_b32_e32 v19, 0x700000, v19
	v_or3_b32 v65, v19, v20, v9
.LBB336_542:                            ;   in Loop: Header=BB336_414 Depth=1
	s_or_b32 exec_lo, exec_lo, s17
.LBB336_543:                            ;   in Loop: Header=BB336_414 Depth=1
	s_or_b32 exec_lo, exec_lo, s16
.LBB336_544:                            ;   in Loop: Header=BB336_414 Depth=1
	s_or_b32 exec_lo, exec_lo, s15
	v_cmp_ne_u16_sdwa s0, v17, v10 src0_sel:BYTE_1 src1_sel:DWORD
	s_and_saveexec_b32 s15, s0
	s_cbranch_execz .LBB336_552
; %bb.545:                              ;   in Loop: Header=BB336_414 Depth=1
	v_cmp_ne_u16_sdwa s0, v17, v34 src0_sel:BYTE_1 src1_sel:DWORD
	v_bfrev_b32_e32 v64, 1
	s_and_saveexec_b32 s16, s0
	s_cbranch_execz .LBB336_551
; %bb.546:                              ;   in Loop: Header=BB336_414 Depth=1
	v_and_b32_sdwa v9, v35, v17 dst_sel:DWORD dst_unused:UNUSED_PAD src0_sel:DWORD src1_sel:BYTE_1
	v_mov_b32_e32 v64, 0x7f800001
	s_mov_b32 s17, exec_lo
	v_and_b32_e32 v20, 0x7f, v9
	v_cmpx_ne_u32_e32 0x7f, v20
	s_cbranch_execz .LBB336_550
; %bb.547:                              ;   in Loop: Header=BB336_414 Depth=1
	v_and_b32_e32 v9, 7, v9
	v_lshrrev_b32_e32 v19, 3, v20
	s_mov_b32 s18, exec_lo
	v_cmpx_gt_u32_e32 8, v20
; %bb.548:                              ;   in Loop: Header=BB336_414 Depth=1
	v_ffbh_u32_e32 v19, v9
	v_min_u32_e32 v19, 32, v19
	v_subrev_nc_u32_e32 v20, 28, v19
	v_sub_nc_u32_e32 v19, 29, v19
	v_lshlrev_b64 v[63:64], v20, v[9:10]
	v_and_b32_e32 v9, 7, v63
; %bb.549:                              ;   in Loop: Header=BB336_414 Depth=1
	s_or_b32 exec_lo, exec_lo, s18
	v_lshlrev_b32_e32 v20, 16, v17
	v_lshlrev_b32_e32 v9, 20, v9
	v_lshl_add_u32 v19, v19, 23, 0x3c000000
	v_and_b32_e32 v20, 0x80000000, v20
	v_or3_b32 v64, v9, v20, v19
.LBB336_550:                            ;   in Loop: Header=BB336_414 Depth=1
	s_or_b32 exec_lo, exec_lo, s17
.LBB336_551:                            ;   in Loop: Header=BB336_414 Depth=1
	s_or_b32 exec_lo, exec_lo, s16
.LBB336_552:                            ;   in Loop: Header=BB336_414 Depth=1
	s_or_b32 exec_lo, exec_lo, s15
	v_and_b32_sdwa v9, v17, v36 dst_sel:DWORD dst_unused:UNUSED_PAD src0_sel:WORD_1 src1_sel:DWORD
	v_mov_b32_e32 v66, 0
	v_mov_b32_e32 v63, 0
	s_mov_b32 s15, exec_lo
	v_cmpx_ne_u16_e32 0, v9
	s_cbranch_execz .LBB336_560
; %bb.553:                              ;   in Loop: Header=BB336_414 Depth=1
	v_bfrev_b32_e32 v63, 1
	s_mov_b32 s16, exec_lo
	v_cmpx_ne_u16_e32 0x80, v9
	s_cbranch_execz .LBB336_559
; %bb.554:                              ;   in Loop: Header=BB336_414 Depth=1
	v_bfe_u32 v20, v17, 16, 7
	v_mov_b32_e32 v63, 0x7f800001
	s_mov_b32 s17, exec_lo
	v_cmpx_ne_u32_e32 0x7f, v20
	s_cbranch_execz .LBB336_558
; %bb.555:                              ;   in Loop: Header=BB336_414 Depth=1
	v_and_b32_sdwa v9, v17, v37 dst_sel:DWORD dst_unused:UNUSED_PAD src0_sel:WORD_1 src1_sel:DWORD
	v_lshrrev_b32_e32 v19, 3, v20
	s_mov_b32 s18, exec_lo
	v_cmpx_gt_u32_e32 8, v20
; %bb.556:                              ;   in Loop: Header=BB336_414 Depth=1
	v_ffbh_u32_e32 v19, v9
	v_min_u32_e32 v19, 32, v19
	v_subrev_nc_u32_e32 v20, 28, v19
	v_sub_nc_u32_e32 v19, 29, v19
	v_lshlrev_b64 v[67:68], v20, v[9:10]
	v_and_b32_e32 v9, 7, v67
; %bb.557:                              ;   in Loop: Header=BB336_414 Depth=1
	s_or_b32 exec_lo, exec_lo, s18
	v_lshlrev_b32_sdwa v20, v38, v17 dst_sel:DWORD dst_unused:UNUSED_PAD src0_sel:DWORD src1_sel:WORD_1
	v_lshlrev_b32_e32 v9, 20, v9
	v_lshl_add_u32 v19, v19, 23, 0x3c000000
	v_and_b32_e32 v20, 0x80000000, v20
	v_or3_b32 v63, v9, v20, v19
.LBB336_558:                            ;   in Loop: Header=BB336_414 Depth=1
	s_or_b32 exec_lo, exec_lo, s17
.LBB336_559:                            ;   in Loop: Header=BB336_414 Depth=1
	s_or_b32 exec_lo, exec_lo, s16
.LBB336_560:                            ;   in Loop: Header=BB336_414 Depth=1
	s_or_b32 exec_lo, exec_lo, s15
	s_mov_b32 s15, exec_lo
	v_cmpx_lt_u32_e32 0xffffff, v17
	s_cbranch_execz .LBB336_568
; %bb.561:                              ;   in Loop: Header=BB336_414 Depth=1
	v_cmp_ne_u32_sdwa s0, v17, v34 src0_sel:BYTE_3 src1_sel:DWORD
	v_bfrev_b32_e32 v66, 1
	s_and_saveexec_b32 s16, s0
	s_cbranch_execz .LBB336_567
; %bb.562:                              ;   in Loop: Header=BB336_414 Depth=1
	v_bfe_u32 v20, v17, 24, 7
	v_mov_b32_e32 v66, 0x7f800001
	s_mov_b32 s17, exec_lo
	v_cmpx_ne_u32_e32 0x7f, v20
	s_cbranch_execz .LBB336_566
; %bb.563:                              ;   in Loop: Header=BB336_414 Depth=1
	v_and_b32_sdwa v9, v17, v37 dst_sel:DWORD dst_unused:UNUSED_PAD src0_sel:BYTE_3 src1_sel:DWORD
	v_lshrrev_b32_e32 v19, 3, v20
	s_mov_b32 s18, exec_lo
	v_cmpx_gt_u32_e32 8, v20
; %bb.564:                              ;   in Loop: Header=BB336_414 Depth=1
	v_ffbh_u32_e32 v19, v9
	v_min_u32_e32 v19, 32, v19
	v_subrev_nc_u32_e32 v20, 28, v19
	v_sub_nc_u32_e32 v19, 29, v19
	v_lshlrev_b64 v[66:67], v20, v[9:10]
	v_and_b32_e32 v9, 7, v66
; %bb.565:                              ;   in Loop: Header=BB336_414 Depth=1
	s_or_b32 exec_lo, exec_lo, s18
	v_lshlrev_b32_sdwa v20, v38, v17 dst_sel:DWORD dst_unused:UNUSED_PAD src0_sel:DWORD src1_sel:BYTE_3
	v_lshlrev_b32_e32 v9, 20, v9
	v_lshl_add_u32 v19, v19, 23, 0x3c000000
	v_and_b32_e32 v20, 0x80000000, v20
	v_or3_b32 v66, v9, v20, v19
.LBB336_566:                            ;   in Loop: Header=BB336_414 Depth=1
	s_or_b32 exec_lo, exec_lo, s17
.LBB336_567:                            ;   in Loop: Header=BB336_414 Depth=1
	s_or_b32 exec_lo, exec_lo, s16
.LBB336_568:                            ;   in Loop: Header=BB336_414 Depth=1
	s_or_b32 exec_lo, exec_lo, s15
	v_mov_b32_e32 v9, v18
	v_cmp_ne_u16_sdwa s0, v18, v10 src0_sel:BYTE_0 src1_sel:DWORD
	v_mov_b32_e32 v19, 0
	v_mov_b32_e32 v67, 0
	s_and_saveexec_b32 s15, s0
	s_cbranch_execz .LBB336_574
; %bb.569:                              ;   in Loop: Header=BB336_414 Depth=1
	v_cmp_ne_u16_sdwa s0, v18, v34 src0_sel:BYTE_0 src1_sel:DWORD
	v_bfrev_b32_e32 v67, 1
	s_and_saveexec_b32 s16, s0
	s_cbranch_execz .LBB336_573
; %bb.570:                              ;   in Loop: Header=BB336_414 Depth=1
	v_and_b32_e32 v20, 0x7f, v18
	v_mov_b32_e32 v67, 0x7f800001
	s_mov_b32 s17, exec_lo
	v_cmpx_ne_u32_e32 0x7f, v20
	s_cbranch_execz .LBB336_572
; %bb.571:                              ;   in Loop: Header=BB336_414 Depth=1
	v_and_b32_e32 v67, 7, v18
	v_lshrrev_b32_e32 v68, 3, v20
	v_cmp_gt_u32_e64 s0, 8, v20
	v_ffbh_u32_e32 v67, v67
	v_min_u32_e32 v67, 32, v67
	v_subrev_nc_u32_e32 v69, 28, v67
	v_sub_nc_u32_e32 v67, 29, v67
	v_cndmask_b32_e64 v20, v68, v67, s0
	v_cndmask_b32_e64 v67, 0, v69, s0
	v_lshl_add_u32 v20, v20, 23, 0x3c000000
	v_lshlrev_b64 v[67:68], v67, v[9:10]
	v_lshlrev_b32_e32 v68, 24, v9
	v_lshlrev_b32_e32 v67, 20, v67
	v_and_b32_e32 v68, 0x80000000, v68
	v_and_b32_e32 v67, 0x700000, v67
	v_or3_b32 v67, v67, v68, v20
.LBB336_572:                            ;   in Loop: Header=BB336_414 Depth=1
	s_or_b32 exec_lo, exec_lo, s17
.LBB336_573:                            ;   in Loop: Header=BB336_414 Depth=1
	s_or_b32 exec_lo, exec_lo, s16
.LBB336_574:                            ;   in Loop: Header=BB336_414 Depth=1
	s_or_b32 exec_lo, exec_lo, s15
	v_cmp_ne_u16_sdwa s0, v9, v10 src0_sel:BYTE_1 src1_sel:DWORD
	s_and_saveexec_b32 s15, s0
	s_cbranch_execz .LBB336_582
; %bb.575:                              ;   in Loop: Header=BB336_414 Depth=1
	v_cmp_ne_u16_sdwa s0, v9, v34 src0_sel:BYTE_1 src1_sel:DWORD
	v_bfrev_b32_e32 v19, 1
	s_and_saveexec_b32 s16, s0
	s_cbranch_execz .LBB336_581
; %bb.576:                              ;   in Loop: Header=BB336_414 Depth=1
	v_and_b32_sdwa v20, v35, v9 dst_sel:DWORD dst_unused:UNUSED_PAD src0_sel:DWORD src1_sel:BYTE_1
	v_mov_b32_e32 v19, 0x7f800001
	s_mov_b32 s17, exec_lo
	v_and_b32_e32 v69, 0x7f, v20
	v_cmpx_ne_u32_e32 0x7f, v69
	s_cbranch_execz .LBB336_580
; %bb.577:                              ;   in Loop: Header=BB336_414 Depth=1
	v_and_b32_e32 v19, 7, v20
	v_mov_b32_e32 v20, v10
	v_lshrrev_b32_e32 v68, 3, v69
	s_mov_b32 s18, exec_lo
	v_cmpx_gt_u32_e32 8, v69
; %bb.578:                              ;   in Loop: Header=BB336_414 Depth=1
	v_ffbh_u32_e32 v68, v19
	v_min_u32_e32 v68, 32, v68
	v_subrev_nc_u32_e32 v69, 28, v68
	v_sub_nc_u32_e32 v68, 29, v68
	v_lshlrev_b64 v[19:20], v69, v[19:20]
	v_and_b32_e32 v19, 7, v19
; %bb.579:                              ;   in Loop: Header=BB336_414 Depth=1
	s_or_b32 exec_lo, exec_lo, s18
	v_lshlrev_b32_e32 v9, 16, v9
	v_lshlrev_b32_e32 v19, 20, v19
	v_lshl_add_u32 v20, v68, 23, 0x3c000000
	v_and_b32_e32 v9, 0x80000000, v9
	v_or3_b32 v19, v19, v9, v20
.LBB336_580:                            ;   in Loop: Header=BB336_414 Depth=1
	s_or_b32 exec_lo, exec_lo, s17
.LBB336_581:                            ;   in Loop: Header=BB336_414 Depth=1
	s_or_b32 exec_lo, exec_lo, s16
.LBB336_582:                            ;   in Loop: Header=BB336_414 Depth=1
	s_or_b32 exec_lo, exec_lo, s15
	v_and_b32_sdwa v9, v18, v36 dst_sel:DWORD dst_unused:UNUSED_PAD src0_sel:WORD_1 src1_sel:DWORD
	v_mov_b32_e32 v20, 0
	v_mov_b32_e32 v68, 0
	s_mov_b32 s15, exec_lo
	v_cmpx_ne_u16_e32 0, v9
	s_cbranch_execz .LBB336_590
; %bb.583:                              ;   in Loop: Header=BB336_414 Depth=1
	v_bfrev_b32_e32 v68, 1
	s_mov_b32 s16, exec_lo
	v_cmpx_ne_u16_e32 0x80, v9
	s_cbranch_execz .LBB336_589
; %bb.584:                              ;   in Loop: Header=BB336_414 Depth=1
	v_bfe_u32 v69, v18, 16, 7
	v_mov_b32_e32 v68, 0x7f800001
	s_mov_b32 s17, exec_lo
	v_cmpx_ne_u32_e32 0x7f, v69
	s_cbranch_execz .LBB336_588
; %bb.585:                              ;   in Loop: Header=BB336_414 Depth=1
	v_and_b32_sdwa v9, v18, v37 dst_sel:DWORD dst_unused:UNUSED_PAD src0_sel:WORD_1 src1_sel:DWORD
	v_lshrrev_b32_e32 v68, 3, v69
	s_mov_b32 s18, exec_lo
	v_cmpx_gt_u32_e32 8, v69
; %bb.586:                              ;   in Loop: Header=BB336_414 Depth=1
	v_ffbh_u32_e32 v68, v9
	v_min_u32_e32 v68, 32, v68
	v_subrev_nc_u32_e32 v69, 28, v68
	v_sub_nc_u32_e32 v68, 29, v68
	v_lshlrev_b64 v[69:70], v69, v[9:10]
	v_and_b32_e32 v9, 7, v69
; %bb.587:                              ;   in Loop: Header=BB336_414 Depth=1
	s_or_b32 exec_lo, exec_lo, s18
	v_lshlrev_b32_sdwa v69, v38, v18 dst_sel:DWORD dst_unused:UNUSED_PAD src0_sel:DWORD src1_sel:WORD_1
	v_lshlrev_b32_e32 v9, 20, v9
	v_lshl_add_u32 v68, v68, 23, 0x3c000000
	v_and_b32_e32 v69, 0x80000000, v69
	v_or3_b32 v68, v9, v69, v68
.LBB336_588:                            ;   in Loop: Header=BB336_414 Depth=1
	s_or_b32 exec_lo, exec_lo, s17
.LBB336_589:                            ;   in Loop: Header=BB336_414 Depth=1
	s_or_b32 exec_lo, exec_lo, s16
.LBB336_590:                            ;   in Loop: Header=BB336_414 Depth=1
	s_or_b32 exec_lo, exec_lo, s15
	s_mov_b32 s15, exec_lo
	v_cmpx_lt_u64_e64 s[2:3], v[17:18]
	s_cbranch_execz .LBB336_598
; %bb.591:                              ;   in Loop: Header=BB336_414 Depth=1
	v_cmp_ne_u32_sdwa s0, v18, v34 src0_sel:BYTE_3 src1_sel:DWORD
	v_bfrev_b32_e32 v20, 1
	s_and_saveexec_b32 s16, s0
	s_cbranch_execz .LBB336_597
; %bb.592:                              ;   in Loop: Header=BB336_414 Depth=1
	v_bfe_u32 v69, v18, 24, 7
	v_mov_b32_e32 v20, 0x7f800001
	s_mov_b32 s17, exec_lo
	v_cmpx_ne_u32_e32 0x7f, v69
	s_cbranch_execz .LBB336_596
; %bb.593:                              ;   in Loop: Header=BB336_414 Depth=1
	v_and_b32_sdwa v9, v18, v37 dst_sel:DWORD dst_unused:UNUSED_PAD src0_sel:BYTE_3 src1_sel:DWORD
	v_lshrrev_b32_e32 v17, 3, v69
	s_mov_b32 s18, exec_lo
	v_cmpx_gt_u32_e32 8, v69
; %bb.594:                              ;   in Loop: Header=BB336_414 Depth=1
	v_ffbh_u32_e32 v17, v9
	v_min_u32_e32 v17, 32, v17
	v_subrev_nc_u32_e32 v20, 28, v17
	v_sub_nc_u32_e32 v17, 29, v17
	v_lshlrev_b64 v[69:70], v20, v[9:10]
	v_and_b32_e32 v9, 7, v69
; %bb.595:                              ;   in Loop: Header=BB336_414 Depth=1
	s_or_b32 exec_lo, exec_lo, s18
	v_lshlrev_b32_sdwa v18, v38, v18 dst_sel:DWORD dst_unused:UNUSED_PAD src0_sel:DWORD src1_sel:BYTE_3
	v_lshlrev_b32_e32 v9, 20, v9
	v_lshl_add_u32 v17, v17, 23, 0x3c000000
	v_and_b32_e32 v18, 0x80000000, v18
	v_or3_b32 v20, v9, v18, v17
.LBB336_596:                            ;   in Loop: Header=BB336_414 Depth=1
	s_or_b32 exec_lo, exec_lo, s17
.LBB336_597:                            ;   in Loop: Header=BB336_414 Depth=1
	s_or_b32 exec_lo, exec_lo, s16
.LBB336_598:                            ;   in Loop: Header=BB336_414 Depth=1
	s_or_b32 exec_lo, exec_lo, s15
	v_mul_f32_e32 v9, s5, v19
	v_mul_f32_e32 v17, s5, v67
	v_mul_f32_e32 v19, s5, v63
	v_mul_f32_e32 v18, s5, v66
	v_mul_f32_e32 v20, s5, v20
	v_bfe_u32 v63, v9, 16, 1
	v_or_b32_e32 v66, 0x400000, v9
	v_bfe_u32 v67, v17, 16, 1
	v_cmp_u_f32_e64 s0, v9, v9
	v_or_b32_e32 v69, 0x400000, v17
	v_add3_u32 v63, v63, v9, 0x7fff
	v_bfe_u32 v70, v18, 16, 1
	v_add3_u32 v67, v67, v17, 0x7fff
	v_or_b32_e32 v71, 0x400000, v18
	v_bfe_u32 v72, v19, 16, 1
	v_cndmask_b32_e64 v9, v63, v66, s0
	v_cmp_u_f32_e64 s0, v17, v17
	v_add3_u32 v70, v70, v18, 0x7fff
	v_lshrrev_b32_e32 v63, 16, v9
	v_cndmask_b32_e64 v17, v67, v69, s0
	v_cmp_u_f32_e64 s0, v18, v18
	v_mul_f32_e32 v9, s5, v64
	v_add3_u32 v67, v72, v19, 0x7fff
	v_or_b32_e32 v69, 0x400000, v19
	v_lshrrev_b32_e32 v64, 16, v17
	v_cndmask_b32_e64 v18, v70, v71, s0
	v_bfe_u32 v17, v9, 16, 1
	v_cmp_u_f32_e64 s0, v19, v19
	v_mul_f32_e32 v19, s5, v65
	v_mul_f32_e32 v65, s5, v68
	v_lshrrev_b32_e32 v66, 16, v18
	v_add3_u32 v17, v17, v9, 0x7fff
	v_cndmask_b32_e64 v18, v67, v69, s0
	v_or_b32_e32 v67, 0x400000, v9
	v_bfe_u32 v68, v19, 16, 1
	v_cmp_u_f32_e64 s0, v9, v9
	v_bfe_u32 v69, v65, 16, 1
	v_or_b32_e32 v70, 0x400000, v65
	v_or_b32_e32 v71, 0x400000, v20
	v_cndmask_b32_e64 v9, v17, v67, s0
	v_add3_u32 v67, v68, v19, 0x7fff
	v_or_b32_e32 v68, 0x400000, v19
	v_cmp_u_f32_e64 s0, v19, v19
	v_bfe_u32 v17, v20, 16, 1
	v_add3_u32 v69, v69, v65, 0x7fff
	v_cndmask_b32_e64 v19, v67, v68, s0
	v_cmp_u_f32_e64 s0, v65, v65
	v_add3_u32 v17, v17, v20, 0x7fff
	v_lshrrev_b32_e32 v68, 16, v18
	v_cndmask_b32_e64 v65, v69, v70, s0
	v_cmp_u_f32_e64 s0, v20, v20
	v_lshrrev_b32_e32 v70, 16, v9
	v_lshrrev_b32_e32 v69, 16, v19
	;; [unrolled: 1-line block ×3, first 2 shown]
	v_cndmask_b32_e64 v17, v17, v71, s0
	v_lshrrev_b32_e32 v67, 16, v17
	s_and_saveexec_b32 s15, vcc_lo
	s_cbranch_execz .LBB336_600
; %bb.599:                              ;   in Loop: Header=BB336_414 Depth=1
	v_cmp_gt_i32_e64 s0, s11, v48
	v_cndmask_b32_e64 v69, 0, v69, s0
	v_cmp_gt_i32_e64 s0, s11, v54
	v_cndmask_b32_e64 v70, 0, v70, s0
	;; [unrolled: 2-line block ×8, first 2 shown]
.LBB336_600:                            ;   in Loop: Header=BB336_414 Depth=1
	s_or_b32 exec_lo, exec_lo, s15
	global_load_dwordx2 v[17:18], v[15:16], off offset:768
	v_mov_b32_e32 v72, 0
	v_mov_b32_e32 v73, 0
	s_waitcnt vmcnt(0)
	v_cmp_ne_u16_sdwa s0, v17, v10 src0_sel:BYTE_0 src1_sel:DWORD
	s_and_saveexec_b32 s15, s0
	s_cbranch_execz .LBB336_606
; %bb.601:                              ;   in Loop: Header=BB336_414 Depth=1
	v_cmp_ne_u16_sdwa s0, v17, v34 src0_sel:BYTE_0 src1_sel:DWORD
	v_bfrev_b32_e32 v73, 1
	s_and_saveexec_b32 s16, s0
	s_cbranch_execz .LBB336_605
; %bb.602:                              ;   in Loop: Header=BB336_414 Depth=1
	v_and_b32_e32 v9, 0x7f, v17
	v_mov_b32_e32 v73, 0x7f800001
	s_mov_b32 s17, exec_lo
	v_cmpx_ne_u32_e32 0x7f, v9
	s_cbranch_execz .LBB336_604
; %bb.603:                              ;   in Loop: Header=BB336_414 Depth=1
	v_and_b32_e32 v19, 7, v17
	v_lshrrev_b32_e32 v20, 3, v9
	v_cmp_gt_u32_e64 s0, 8, v9
	v_ffbh_u32_e32 v19, v19
	v_min_u32_e32 v19, 32, v19
	v_subrev_nc_u32_e32 v71, 28, v19
	v_sub_nc_u32_e32 v19, 29, v19
	v_cndmask_b32_e64 v9, v20, v19, s0
	v_cndmask_b32_e64 v19, 0, v71, s0
	v_lshl_add_u32 v9, v9, 23, 0x3c000000
	v_lshlrev_b64 v[19:20], v19, v[17:18]
	v_lshlrev_b32_e32 v20, 24, v17
	v_lshlrev_b32_e32 v19, 20, v19
	v_and_b32_e32 v20, 0x80000000, v20
	v_and_b32_e32 v19, 0x700000, v19
	v_or3_b32 v73, v19, v20, v9
.LBB336_604:                            ;   in Loop: Header=BB336_414 Depth=1
	s_or_b32 exec_lo, exec_lo, s17
.LBB336_605:                            ;   in Loop: Header=BB336_414 Depth=1
	s_or_b32 exec_lo, exec_lo, s16
.LBB336_606:                            ;   in Loop: Header=BB336_414 Depth=1
	s_or_b32 exec_lo, exec_lo, s15
	v_cmp_ne_u16_sdwa s0, v17, v10 src0_sel:BYTE_1 src1_sel:DWORD
	s_and_saveexec_b32 s15, s0
	s_cbranch_execz .LBB336_614
; %bb.607:                              ;   in Loop: Header=BB336_414 Depth=1
	v_cmp_ne_u16_sdwa s0, v17, v34 src0_sel:BYTE_1 src1_sel:DWORD
	v_bfrev_b32_e32 v72, 1
	s_and_saveexec_b32 s16, s0
	s_cbranch_execz .LBB336_613
; %bb.608:                              ;   in Loop: Header=BB336_414 Depth=1
	v_and_b32_sdwa v9, v35, v17 dst_sel:DWORD dst_unused:UNUSED_PAD src0_sel:DWORD src1_sel:BYTE_1
	v_mov_b32_e32 v72, 0x7f800001
	s_mov_b32 s17, exec_lo
	v_and_b32_e32 v20, 0x7f, v9
	v_cmpx_ne_u32_e32 0x7f, v20
	s_cbranch_execz .LBB336_612
; %bb.609:                              ;   in Loop: Header=BB336_414 Depth=1
	v_and_b32_e32 v9, 7, v9
	v_lshrrev_b32_e32 v19, 3, v20
	s_mov_b32 s18, exec_lo
	v_cmpx_gt_u32_e32 8, v20
; %bb.610:                              ;   in Loop: Header=BB336_414 Depth=1
	v_ffbh_u32_e32 v19, v9
	v_min_u32_e32 v19, 32, v19
	v_subrev_nc_u32_e32 v20, 28, v19
	v_sub_nc_u32_e32 v19, 29, v19
	v_lshlrev_b64 v[71:72], v20, v[9:10]
	v_and_b32_e32 v9, 7, v71
; %bb.611:                              ;   in Loop: Header=BB336_414 Depth=1
	s_or_b32 exec_lo, exec_lo, s18
	v_lshlrev_b32_e32 v20, 16, v17
	v_lshlrev_b32_e32 v9, 20, v9
	v_lshl_add_u32 v19, v19, 23, 0x3c000000
	v_and_b32_e32 v20, 0x80000000, v20
	v_or3_b32 v72, v9, v20, v19
.LBB336_612:                            ;   in Loop: Header=BB336_414 Depth=1
	s_or_b32 exec_lo, exec_lo, s17
.LBB336_613:                            ;   in Loop: Header=BB336_414 Depth=1
	s_or_b32 exec_lo, exec_lo, s16
.LBB336_614:                            ;   in Loop: Header=BB336_414 Depth=1
	s_or_b32 exec_lo, exec_lo, s15
	v_and_b32_sdwa v9, v17, v36 dst_sel:DWORD dst_unused:UNUSED_PAD src0_sel:WORD_1 src1_sel:DWORD
	v_mov_b32_e32 v74, 0
	v_mov_b32_e32 v71, 0
	s_mov_b32 s15, exec_lo
	v_cmpx_ne_u16_e32 0, v9
	s_cbranch_execz .LBB336_622
; %bb.615:                              ;   in Loop: Header=BB336_414 Depth=1
	v_bfrev_b32_e32 v71, 1
	s_mov_b32 s16, exec_lo
	v_cmpx_ne_u16_e32 0x80, v9
	s_cbranch_execz .LBB336_621
; %bb.616:                              ;   in Loop: Header=BB336_414 Depth=1
	v_bfe_u32 v20, v17, 16, 7
	v_mov_b32_e32 v71, 0x7f800001
	s_mov_b32 s17, exec_lo
	v_cmpx_ne_u32_e32 0x7f, v20
	s_cbranch_execz .LBB336_620
; %bb.617:                              ;   in Loop: Header=BB336_414 Depth=1
	v_and_b32_sdwa v9, v17, v37 dst_sel:DWORD dst_unused:UNUSED_PAD src0_sel:WORD_1 src1_sel:DWORD
	v_lshrrev_b32_e32 v19, 3, v20
	s_mov_b32 s18, exec_lo
	v_cmpx_gt_u32_e32 8, v20
; %bb.618:                              ;   in Loop: Header=BB336_414 Depth=1
	v_ffbh_u32_e32 v19, v9
	v_min_u32_e32 v19, 32, v19
	v_subrev_nc_u32_e32 v20, 28, v19
	v_sub_nc_u32_e32 v19, 29, v19
	v_lshlrev_b64 v[75:76], v20, v[9:10]
	v_and_b32_e32 v9, 7, v75
; %bb.619:                              ;   in Loop: Header=BB336_414 Depth=1
	s_or_b32 exec_lo, exec_lo, s18
	v_lshlrev_b32_sdwa v20, v38, v17 dst_sel:DWORD dst_unused:UNUSED_PAD src0_sel:DWORD src1_sel:WORD_1
	v_lshlrev_b32_e32 v9, 20, v9
	v_lshl_add_u32 v19, v19, 23, 0x3c000000
	v_and_b32_e32 v20, 0x80000000, v20
	v_or3_b32 v71, v9, v20, v19
.LBB336_620:                            ;   in Loop: Header=BB336_414 Depth=1
	s_or_b32 exec_lo, exec_lo, s17
.LBB336_621:                            ;   in Loop: Header=BB336_414 Depth=1
	s_or_b32 exec_lo, exec_lo, s16
.LBB336_622:                            ;   in Loop: Header=BB336_414 Depth=1
	s_or_b32 exec_lo, exec_lo, s15
	s_mov_b32 s15, exec_lo
	v_cmpx_lt_u32_e32 0xffffff, v17
	s_cbranch_execz .LBB336_630
; %bb.623:                              ;   in Loop: Header=BB336_414 Depth=1
	v_cmp_ne_u32_sdwa s0, v17, v34 src0_sel:BYTE_3 src1_sel:DWORD
	v_bfrev_b32_e32 v74, 1
	s_and_saveexec_b32 s16, s0
	s_cbranch_execz .LBB336_629
; %bb.624:                              ;   in Loop: Header=BB336_414 Depth=1
	v_bfe_u32 v20, v17, 24, 7
	v_mov_b32_e32 v74, 0x7f800001
	s_mov_b32 s17, exec_lo
	v_cmpx_ne_u32_e32 0x7f, v20
	s_cbranch_execz .LBB336_628
; %bb.625:                              ;   in Loop: Header=BB336_414 Depth=1
	v_and_b32_sdwa v9, v17, v37 dst_sel:DWORD dst_unused:UNUSED_PAD src0_sel:BYTE_3 src1_sel:DWORD
	v_lshrrev_b32_e32 v19, 3, v20
	s_mov_b32 s18, exec_lo
	v_cmpx_gt_u32_e32 8, v20
; %bb.626:                              ;   in Loop: Header=BB336_414 Depth=1
	v_ffbh_u32_e32 v19, v9
	v_min_u32_e32 v19, 32, v19
	v_subrev_nc_u32_e32 v20, 28, v19
	v_sub_nc_u32_e32 v19, 29, v19
	v_lshlrev_b64 v[74:75], v20, v[9:10]
	v_and_b32_e32 v9, 7, v74
; %bb.627:                              ;   in Loop: Header=BB336_414 Depth=1
	s_or_b32 exec_lo, exec_lo, s18
	v_lshlrev_b32_sdwa v20, v38, v17 dst_sel:DWORD dst_unused:UNUSED_PAD src0_sel:DWORD src1_sel:BYTE_3
	v_lshlrev_b32_e32 v9, 20, v9
	v_lshl_add_u32 v19, v19, 23, 0x3c000000
	v_and_b32_e32 v20, 0x80000000, v20
	v_or3_b32 v74, v9, v20, v19
.LBB336_628:                            ;   in Loop: Header=BB336_414 Depth=1
	s_or_b32 exec_lo, exec_lo, s17
.LBB336_629:                            ;   in Loop: Header=BB336_414 Depth=1
	s_or_b32 exec_lo, exec_lo, s16
.LBB336_630:                            ;   in Loop: Header=BB336_414 Depth=1
	s_or_b32 exec_lo, exec_lo, s15
	v_mov_b32_e32 v9, v18
	v_cmp_ne_u16_sdwa s0, v18, v10 src0_sel:BYTE_0 src1_sel:DWORD
	v_mov_b32_e32 v19, 0
	v_mov_b32_e32 v75, 0
	s_and_saveexec_b32 s15, s0
	s_cbranch_execz .LBB336_636
; %bb.631:                              ;   in Loop: Header=BB336_414 Depth=1
	v_cmp_ne_u16_sdwa s0, v18, v34 src0_sel:BYTE_0 src1_sel:DWORD
	v_bfrev_b32_e32 v75, 1
	s_and_saveexec_b32 s16, s0
	s_cbranch_execz .LBB336_635
; %bb.632:                              ;   in Loop: Header=BB336_414 Depth=1
	v_and_b32_e32 v20, 0x7f, v18
	v_mov_b32_e32 v75, 0x7f800001
	s_mov_b32 s17, exec_lo
	v_cmpx_ne_u32_e32 0x7f, v20
	s_cbranch_execz .LBB336_634
; %bb.633:                              ;   in Loop: Header=BB336_414 Depth=1
	v_and_b32_e32 v75, 7, v18
	v_lshrrev_b32_e32 v76, 3, v20
	v_cmp_gt_u32_e64 s0, 8, v20
	v_ffbh_u32_e32 v75, v75
	v_min_u32_e32 v75, 32, v75
	v_subrev_nc_u32_e32 v77, 28, v75
	v_sub_nc_u32_e32 v75, 29, v75
	v_cndmask_b32_e64 v20, v76, v75, s0
	v_cndmask_b32_e64 v75, 0, v77, s0
	v_lshl_add_u32 v20, v20, 23, 0x3c000000
	v_lshlrev_b64 v[75:76], v75, v[9:10]
	v_lshlrev_b32_e32 v76, 24, v9
	v_lshlrev_b32_e32 v75, 20, v75
	v_and_b32_e32 v76, 0x80000000, v76
	v_and_b32_e32 v75, 0x700000, v75
	v_or3_b32 v75, v75, v76, v20
.LBB336_634:                            ;   in Loop: Header=BB336_414 Depth=1
	s_or_b32 exec_lo, exec_lo, s17
.LBB336_635:                            ;   in Loop: Header=BB336_414 Depth=1
	s_or_b32 exec_lo, exec_lo, s16
.LBB336_636:                            ;   in Loop: Header=BB336_414 Depth=1
	s_or_b32 exec_lo, exec_lo, s15
	v_cmp_ne_u16_sdwa s0, v9, v10 src0_sel:BYTE_1 src1_sel:DWORD
	s_and_saveexec_b32 s15, s0
	s_cbranch_execz .LBB336_644
; %bb.637:                              ;   in Loop: Header=BB336_414 Depth=1
	v_cmp_ne_u16_sdwa s0, v9, v34 src0_sel:BYTE_1 src1_sel:DWORD
	v_bfrev_b32_e32 v19, 1
	s_and_saveexec_b32 s16, s0
	s_cbranch_execz .LBB336_643
; %bb.638:                              ;   in Loop: Header=BB336_414 Depth=1
	v_and_b32_sdwa v20, v35, v9 dst_sel:DWORD dst_unused:UNUSED_PAD src0_sel:DWORD src1_sel:BYTE_1
	v_mov_b32_e32 v19, 0x7f800001
	s_mov_b32 s17, exec_lo
	v_and_b32_e32 v77, 0x7f, v20
	v_cmpx_ne_u32_e32 0x7f, v77
	s_cbranch_execz .LBB336_642
; %bb.639:                              ;   in Loop: Header=BB336_414 Depth=1
	v_and_b32_e32 v19, 7, v20
	v_mov_b32_e32 v20, v10
	v_lshrrev_b32_e32 v76, 3, v77
	s_mov_b32 s18, exec_lo
	v_cmpx_gt_u32_e32 8, v77
; %bb.640:                              ;   in Loop: Header=BB336_414 Depth=1
	v_ffbh_u32_e32 v76, v19
	v_min_u32_e32 v76, 32, v76
	v_subrev_nc_u32_e32 v77, 28, v76
	v_sub_nc_u32_e32 v76, 29, v76
	v_lshlrev_b64 v[19:20], v77, v[19:20]
	v_and_b32_e32 v19, 7, v19
; %bb.641:                              ;   in Loop: Header=BB336_414 Depth=1
	s_or_b32 exec_lo, exec_lo, s18
	v_lshlrev_b32_e32 v9, 16, v9
	v_lshlrev_b32_e32 v19, 20, v19
	v_lshl_add_u32 v20, v76, 23, 0x3c000000
	v_and_b32_e32 v9, 0x80000000, v9
	v_or3_b32 v19, v19, v9, v20
.LBB336_642:                            ;   in Loop: Header=BB336_414 Depth=1
	s_or_b32 exec_lo, exec_lo, s17
.LBB336_643:                            ;   in Loop: Header=BB336_414 Depth=1
	s_or_b32 exec_lo, exec_lo, s16
.LBB336_644:                            ;   in Loop: Header=BB336_414 Depth=1
	s_or_b32 exec_lo, exec_lo, s15
	v_and_b32_sdwa v9, v18, v36 dst_sel:DWORD dst_unused:UNUSED_PAD src0_sel:WORD_1 src1_sel:DWORD
	v_mov_b32_e32 v20, 0
	v_mov_b32_e32 v76, 0
	s_mov_b32 s15, exec_lo
	v_cmpx_ne_u16_e32 0, v9
	s_cbranch_execz .LBB336_652
; %bb.645:                              ;   in Loop: Header=BB336_414 Depth=1
	v_bfrev_b32_e32 v76, 1
	s_mov_b32 s16, exec_lo
	v_cmpx_ne_u16_e32 0x80, v9
	s_cbranch_execz .LBB336_651
; %bb.646:                              ;   in Loop: Header=BB336_414 Depth=1
	v_bfe_u32 v77, v18, 16, 7
	v_mov_b32_e32 v76, 0x7f800001
	s_mov_b32 s17, exec_lo
	v_cmpx_ne_u32_e32 0x7f, v77
	s_cbranch_execz .LBB336_650
; %bb.647:                              ;   in Loop: Header=BB336_414 Depth=1
	v_and_b32_sdwa v9, v18, v37 dst_sel:DWORD dst_unused:UNUSED_PAD src0_sel:WORD_1 src1_sel:DWORD
	v_lshrrev_b32_e32 v76, 3, v77
	s_mov_b32 s18, exec_lo
	v_cmpx_gt_u32_e32 8, v77
; %bb.648:                              ;   in Loop: Header=BB336_414 Depth=1
	v_ffbh_u32_e32 v76, v9
	v_min_u32_e32 v76, 32, v76
	v_subrev_nc_u32_e32 v77, 28, v76
	v_sub_nc_u32_e32 v76, 29, v76
	v_lshlrev_b64 v[77:78], v77, v[9:10]
	v_and_b32_e32 v9, 7, v77
; %bb.649:                              ;   in Loop: Header=BB336_414 Depth=1
	s_or_b32 exec_lo, exec_lo, s18
	v_lshlrev_b32_sdwa v77, v38, v18 dst_sel:DWORD dst_unused:UNUSED_PAD src0_sel:DWORD src1_sel:WORD_1
	v_lshlrev_b32_e32 v9, 20, v9
	v_lshl_add_u32 v76, v76, 23, 0x3c000000
	v_and_b32_e32 v77, 0x80000000, v77
	v_or3_b32 v76, v9, v77, v76
.LBB336_650:                            ;   in Loop: Header=BB336_414 Depth=1
	s_or_b32 exec_lo, exec_lo, s17
.LBB336_651:                            ;   in Loop: Header=BB336_414 Depth=1
	s_or_b32 exec_lo, exec_lo, s16
.LBB336_652:                            ;   in Loop: Header=BB336_414 Depth=1
	s_or_b32 exec_lo, exec_lo, s15
	s_mov_b32 s15, exec_lo
	v_cmpx_lt_u64_e64 s[2:3], v[17:18]
	s_cbranch_execz .LBB336_660
; %bb.653:                              ;   in Loop: Header=BB336_414 Depth=1
	v_cmp_ne_u32_sdwa s0, v18, v34 src0_sel:BYTE_3 src1_sel:DWORD
	v_bfrev_b32_e32 v20, 1
	s_and_saveexec_b32 s16, s0
	s_cbranch_execz .LBB336_659
; %bb.654:                              ;   in Loop: Header=BB336_414 Depth=1
	v_bfe_u32 v77, v18, 24, 7
	v_mov_b32_e32 v20, 0x7f800001
	s_mov_b32 s17, exec_lo
	v_cmpx_ne_u32_e32 0x7f, v77
	s_cbranch_execz .LBB336_658
; %bb.655:                              ;   in Loop: Header=BB336_414 Depth=1
	v_and_b32_sdwa v9, v18, v37 dst_sel:DWORD dst_unused:UNUSED_PAD src0_sel:BYTE_3 src1_sel:DWORD
	v_lshrrev_b32_e32 v17, 3, v77
	s_mov_b32 s18, exec_lo
	v_cmpx_gt_u32_e32 8, v77
; %bb.656:                              ;   in Loop: Header=BB336_414 Depth=1
	v_ffbh_u32_e32 v17, v9
	v_min_u32_e32 v17, 32, v17
	v_subrev_nc_u32_e32 v20, 28, v17
	v_sub_nc_u32_e32 v17, 29, v17
	v_lshlrev_b64 v[77:78], v20, v[9:10]
	v_and_b32_e32 v9, 7, v77
; %bb.657:                              ;   in Loop: Header=BB336_414 Depth=1
	s_or_b32 exec_lo, exec_lo, s18
	v_lshlrev_b32_sdwa v18, v38, v18 dst_sel:DWORD dst_unused:UNUSED_PAD src0_sel:DWORD src1_sel:BYTE_3
	v_lshlrev_b32_e32 v9, 20, v9
	v_lshl_add_u32 v17, v17, 23, 0x3c000000
	v_and_b32_e32 v18, 0x80000000, v18
	v_or3_b32 v20, v9, v18, v17
.LBB336_658:                            ;   in Loop: Header=BB336_414 Depth=1
	s_or_b32 exec_lo, exec_lo, s17
.LBB336_659:                            ;   in Loop: Header=BB336_414 Depth=1
	s_or_b32 exec_lo, exec_lo, s16
.LBB336_660:                            ;   in Loop: Header=BB336_414 Depth=1
	s_or_b32 exec_lo, exec_lo, s15
	v_mul_f32_e32 v9, s5, v19
	v_mul_f32_e32 v17, s5, v75
	;; [unrolled: 1-line block ×5, first 2 shown]
	v_bfe_u32 v71, v9, 16, 1
	v_or_b32_e32 v74, 0x400000, v9
	v_bfe_u32 v75, v17, 16, 1
	v_cmp_u_f32_e64 s0, v9, v9
	v_or_b32_e32 v77, 0x400000, v17
	v_add3_u32 v71, v71, v9, 0x7fff
	v_bfe_u32 v78, v18, 16, 1
	v_add3_u32 v75, v75, v17, 0x7fff
	v_or_b32_e32 v79, 0x400000, v18
	v_bfe_u32 v80, v19, 16, 1
	v_cndmask_b32_e64 v9, v71, v74, s0
	v_cmp_u_f32_e64 s0, v17, v17
	v_add3_u32 v78, v78, v18, 0x7fff
	v_lshrrev_b32_e32 v71, 16, v9
	v_cndmask_b32_e64 v17, v75, v77, s0
	v_cmp_u_f32_e64 s0, v18, v18
	v_mul_f32_e32 v9, s5, v72
	v_add3_u32 v75, v80, v19, 0x7fff
	v_or_b32_e32 v77, 0x400000, v19
	v_lshrrev_b32_e32 v72, 16, v17
	v_cndmask_b32_e64 v18, v78, v79, s0
	v_bfe_u32 v17, v9, 16, 1
	v_cmp_u_f32_e64 s0, v19, v19
	v_mul_f32_e32 v19, s5, v73
	v_mul_f32_e32 v73, s5, v76
	v_lshrrev_b32_e32 v74, 16, v18
	v_add3_u32 v17, v17, v9, 0x7fff
	v_cndmask_b32_e64 v18, v75, v77, s0
	v_or_b32_e32 v75, 0x400000, v9
	v_bfe_u32 v76, v19, 16, 1
	v_cmp_u_f32_e64 s0, v9, v9
	v_bfe_u32 v77, v73, 16, 1
	v_or_b32_e32 v78, 0x400000, v73
	v_or_b32_e32 v79, 0x400000, v20
	v_cndmask_b32_e64 v9, v17, v75, s0
	v_add3_u32 v75, v76, v19, 0x7fff
	v_or_b32_e32 v76, 0x400000, v19
	v_cmp_u_f32_e64 s0, v19, v19
	v_bfe_u32 v17, v20, 16, 1
	v_add3_u32 v77, v77, v73, 0x7fff
	v_cndmask_b32_e64 v19, v75, v76, s0
	v_cmp_u_f32_e64 s0, v73, v73
	v_add3_u32 v17, v17, v20, 0x7fff
	v_lshrrev_b32_e32 v76, 16, v18
	v_cndmask_b32_e64 v73, v77, v78, s0
	v_cmp_u_f32_e64 s0, v20, v20
	v_lshrrev_b32_e32 v78, 16, v9
	v_lshrrev_b32_e32 v77, 16, v19
	;; [unrolled: 1-line block ×3, first 2 shown]
	v_cndmask_b32_e64 v17, v17, v79, s0
	v_lshrrev_b32_e32 v75, 16, v17
	s_and_saveexec_b32 s15, vcc_lo
	s_cbranch_execz .LBB336_662
; %bb.661:                              ;   in Loop: Header=BB336_414 Depth=1
	v_cmp_gt_i32_e64 s0, s11, v48
	v_cndmask_b32_e64 v77, 0, v77, s0
	v_cmp_gt_i32_e64 s0, s11, v54
	v_cndmask_b32_e64 v78, 0, v78, s0
	;; [unrolled: 2-line block ×8, first 2 shown]
.LBB336_662:                            ;   in Loop: Header=BB336_414 Depth=1
	s_or_b32 exec_lo, exec_lo, s15
	global_load_dwordx2 v[17:18], v[15:16], off offset:1024
	v_mov_b32_e32 v80, 0
	v_mov_b32_e32 v79, 0
	s_waitcnt vmcnt(0)
	v_cmp_ne_u16_sdwa s0, v17, v10 src0_sel:BYTE_0 src1_sel:DWORD
	s_and_saveexec_b32 s15, s0
	s_cbranch_execz .LBB336_668
; %bb.663:                              ;   in Loop: Header=BB336_414 Depth=1
	v_cmp_ne_u16_sdwa s0, v17, v34 src0_sel:BYTE_0 src1_sel:DWORD
	v_bfrev_b32_e32 v79, 1
	s_and_saveexec_b32 s16, s0
	s_cbranch_execz .LBB336_667
; %bb.664:                              ;   in Loop: Header=BB336_414 Depth=1
	v_and_b32_e32 v9, 0x7f, v17
	v_mov_b32_e32 v79, 0x7f800001
	s_mov_b32 s17, exec_lo
	v_cmpx_ne_u32_e32 0x7f, v9
	s_cbranch_execz .LBB336_666
; %bb.665:                              ;   in Loop: Header=BB336_414 Depth=1
	v_and_b32_e32 v19, 7, v17
	v_lshrrev_b32_e32 v20, 3, v9
	v_cmp_gt_u32_e64 s0, 8, v9
	v_ffbh_u32_e32 v19, v19
	v_min_u32_e32 v19, 32, v19
	v_subrev_nc_u32_e32 v79, 28, v19
	v_sub_nc_u32_e32 v19, 29, v19
	v_cndmask_b32_e64 v9, v20, v19, s0
	v_cndmask_b32_e64 v19, 0, v79, s0
	v_lshl_add_u32 v9, v9, 23, 0x3c000000
	v_lshlrev_b64 v[19:20], v19, v[17:18]
	v_lshlrev_b32_e32 v20, 24, v17
	v_lshlrev_b32_e32 v19, 20, v19
	v_and_b32_e32 v20, 0x80000000, v20
	v_and_b32_e32 v19, 0x700000, v19
	v_or3_b32 v79, v19, v20, v9
.LBB336_666:                            ;   in Loop: Header=BB336_414 Depth=1
	s_or_b32 exec_lo, exec_lo, s17
.LBB336_667:                            ;   in Loop: Header=BB336_414 Depth=1
	s_or_b32 exec_lo, exec_lo, s16
.LBB336_668:                            ;   in Loop: Header=BB336_414 Depth=1
	s_or_b32 exec_lo, exec_lo, s15
	v_cmp_ne_u16_sdwa s0, v17, v10 src0_sel:BYTE_1 src1_sel:DWORD
	s_and_saveexec_b32 s15, s0
	s_cbranch_execz .LBB336_676
; %bb.669:                              ;   in Loop: Header=BB336_414 Depth=1
	v_cmp_ne_u16_sdwa s0, v17, v34 src0_sel:BYTE_1 src1_sel:DWORD
	v_bfrev_b32_e32 v80, 1
	s_and_saveexec_b32 s16, s0
	s_cbranch_execz .LBB336_675
; %bb.670:                              ;   in Loop: Header=BB336_414 Depth=1
	v_and_b32_sdwa v9, v35, v17 dst_sel:DWORD dst_unused:UNUSED_PAD src0_sel:DWORD src1_sel:BYTE_1
	v_mov_b32_e32 v80, 0x7f800001
	s_mov_b32 s17, exec_lo
	v_and_b32_e32 v20, 0x7f, v9
	v_cmpx_ne_u32_e32 0x7f, v20
	s_cbranch_execz .LBB336_674
; %bb.671:                              ;   in Loop: Header=BB336_414 Depth=1
	v_and_b32_e32 v9, 7, v9
	v_lshrrev_b32_e32 v19, 3, v20
	s_mov_b32 s18, exec_lo
	v_cmpx_gt_u32_e32 8, v20
; %bb.672:                              ;   in Loop: Header=BB336_414 Depth=1
	v_ffbh_u32_e32 v19, v9
	v_min_u32_e32 v19, 32, v19
	v_subrev_nc_u32_e32 v20, 28, v19
	v_sub_nc_u32_e32 v19, 29, v19
	v_lshlrev_b64 v[80:81], v20, v[9:10]
	v_and_b32_e32 v9, 7, v80
; %bb.673:                              ;   in Loop: Header=BB336_414 Depth=1
	s_or_b32 exec_lo, exec_lo, s18
	v_lshlrev_b32_e32 v20, 16, v17
	v_lshlrev_b32_e32 v9, 20, v9
	v_lshl_add_u32 v19, v19, 23, 0x3c000000
	v_and_b32_e32 v20, 0x80000000, v20
	v_or3_b32 v80, v9, v20, v19
.LBB336_674:                            ;   in Loop: Header=BB336_414 Depth=1
	s_or_b32 exec_lo, exec_lo, s17
.LBB336_675:                            ;   in Loop: Header=BB336_414 Depth=1
	s_or_b32 exec_lo, exec_lo, s16
.LBB336_676:                            ;   in Loop: Header=BB336_414 Depth=1
	s_or_b32 exec_lo, exec_lo, s15
	v_and_b32_sdwa v9, v17, v36 dst_sel:DWORD dst_unused:UNUSED_PAD src0_sel:WORD_1 src1_sel:DWORD
	v_mov_b32_e32 v82, 0
	v_mov_b32_e32 v81, 0
	s_mov_b32 s15, exec_lo
	v_cmpx_ne_u16_e32 0, v9
	s_cbranch_execz .LBB336_684
; %bb.677:                              ;   in Loop: Header=BB336_414 Depth=1
	v_bfrev_b32_e32 v81, 1
	s_mov_b32 s16, exec_lo
	v_cmpx_ne_u16_e32 0x80, v9
	s_cbranch_execz .LBB336_683
; %bb.678:                              ;   in Loop: Header=BB336_414 Depth=1
	v_bfe_u32 v20, v17, 16, 7
	v_mov_b32_e32 v81, 0x7f800001
	s_mov_b32 s17, exec_lo
	v_cmpx_ne_u32_e32 0x7f, v20
	s_cbranch_execz .LBB336_682
; %bb.679:                              ;   in Loop: Header=BB336_414 Depth=1
	v_and_b32_sdwa v9, v17, v37 dst_sel:DWORD dst_unused:UNUSED_PAD src0_sel:WORD_1 src1_sel:DWORD
	v_lshrrev_b32_e32 v19, 3, v20
	s_mov_b32 s18, exec_lo
	v_cmpx_gt_u32_e32 8, v20
; %bb.680:                              ;   in Loop: Header=BB336_414 Depth=1
	v_ffbh_u32_e32 v19, v9
	v_min_u32_e32 v19, 32, v19
	v_subrev_nc_u32_e32 v20, 28, v19
	v_sub_nc_u32_e32 v19, 29, v19
	v_lshlrev_b64 v[83:84], v20, v[9:10]
	v_and_b32_e32 v9, 7, v83
; %bb.681:                              ;   in Loop: Header=BB336_414 Depth=1
	s_or_b32 exec_lo, exec_lo, s18
	v_lshlrev_b32_sdwa v20, v38, v17 dst_sel:DWORD dst_unused:UNUSED_PAD src0_sel:DWORD src1_sel:WORD_1
	v_lshlrev_b32_e32 v9, 20, v9
	v_lshl_add_u32 v19, v19, 23, 0x3c000000
	v_and_b32_e32 v20, 0x80000000, v20
	v_or3_b32 v81, v9, v20, v19
.LBB336_682:                            ;   in Loop: Header=BB336_414 Depth=1
	s_or_b32 exec_lo, exec_lo, s17
.LBB336_683:                            ;   in Loop: Header=BB336_414 Depth=1
	s_or_b32 exec_lo, exec_lo, s16
.LBB336_684:                            ;   in Loop: Header=BB336_414 Depth=1
	s_or_b32 exec_lo, exec_lo, s15
	s_mov_b32 s15, exec_lo
	v_cmpx_lt_u32_e32 0xffffff, v17
	s_cbranch_execz .LBB336_692
; %bb.685:                              ;   in Loop: Header=BB336_414 Depth=1
	v_cmp_ne_u32_sdwa s0, v17, v34 src0_sel:BYTE_3 src1_sel:DWORD
	v_bfrev_b32_e32 v82, 1
	s_and_saveexec_b32 s16, s0
	s_cbranch_execz .LBB336_691
; %bb.686:                              ;   in Loop: Header=BB336_414 Depth=1
	v_bfe_u32 v20, v17, 24, 7
	v_mov_b32_e32 v82, 0x7f800001
	s_mov_b32 s17, exec_lo
	v_cmpx_ne_u32_e32 0x7f, v20
	s_cbranch_execz .LBB336_690
; %bb.687:                              ;   in Loop: Header=BB336_414 Depth=1
	v_and_b32_sdwa v9, v17, v37 dst_sel:DWORD dst_unused:UNUSED_PAD src0_sel:BYTE_3 src1_sel:DWORD
	v_lshrrev_b32_e32 v19, 3, v20
	s_mov_b32 s18, exec_lo
	v_cmpx_gt_u32_e32 8, v20
; %bb.688:                              ;   in Loop: Header=BB336_414 Depth=1
	v_ffbh_u32_e32 v19, v9
	v_min_u32_e32 v19, 32, v19
	v_subrev_nc_u32_e32 v20, 28, v19
	v_sub_nc_u32_e32 v19, 29, v19
	v_lshlrev_b64 v[82:83], v20, v[9:10]
	v_and_b32_e32 v9, 7, v82
; %bb.689:                              ;   in Loop: Header=BB336_414 Depth=1
	s_or_b32 exec_lo, exec_lo, s18
	v_lshlrev_b32_sdwa v20, v38, v17 dst_sel:DWORD dst_unused:UNUSED_PAD src0_sel:DWORD src1_sel:BYTE_3
	v_lshlrev_b32_e32 v9, 20, v9
	v_lshl_add_u32 v19, v19, 23, 0x3c000000
	v_and_b32_e32 v20, 0x80000000, v20
	v_or3_b32 v82, v9, v20, v19
.LBB336_690:                            ;   in Loop: Header=BB336_414 Depth=1
	s_or_b32 exec_lo, exec_lo, s17
.LBB336_691:                            ;   in Loop: Header=BB336_414 Depth=1
	s_or_b32 exec_lo, exec_lo, s16
.LBB336_692:                            ;   in Loop: Header=BB336_414 Depth=1
	s_or_b32 exec_lo, exec_lo, s15
	v_mov_b32_e32 v9, v18
	v_cmp_ne_u16_sdwa s0, v18, v10 src0_sel:BYTE_0 src1_sel:DWORD
	v_mov_b32_e32 v19, 0
	v_mov_b32_e32 v83, 0
	s_and_saveexec_b32 s15, s0
	s_cbranch_execz .LBB336_698
; %bb.693:                              ;   in Loop: Header=BB336_414 Depth=1
	v_cmp_ne_u16_sdwa s0, v18, v34 src0_sel:BYTE_0 src1_sel:DWORD
	v_bfrev_b32_e32 v83, 1
	s_and_saveexec_b32 s16, s0
	s_cbranch_execz .LBB336_697
; %bb.694:                              ;   in Loop: Header=BB336_414 Depth=1
	v_and_b32_e32 v20, 0x7f, v18
	v_mov_b32_e32 v83, 0x7f800001
	s_mov_b32 s17, exec_lo
	v_cmpx_ne_u32_e32 0x7f, v20
	s_cbranch_execz .LBB336_696
; %bb.695:                              ;   in Loop: Header=BB336_414 Depth=1
	v_and_b32_e32 v83, 7, v18
	v_lshrrev_b32_e32 v84, 3, v20
	v_cmp_gt_u32_e64 s0, 8, v20
	v_ffbh_u32_e32 v83, v83
	v_min_u32_e32 v83, 32, v83
	v_subrev_nc_u32_e32 v85, 28, v83
	v_sub_nc_u32_e32 v83, 29, v83
	v_cndmask_b32_e64 v20, v84, v83, s0
	v_cndmask_b32_e64 v83, 0, v85, s0
	v_lshl_add_u32 v20, v20, 23, 0x3c000000
	v_lshlrev_b64 v[83:84], v83, v[9:10]
	v_lshlrev_b32_e32 v84, 24, v9
	v_lshlrev_b32_e32 v83, 20, v83
	v_and_b32_e32 v84, 0x80000000, v84
	v_and_b32_e32 v83, 0x700000, v83
	v_or3_b32 v83, v83, v84, v20
.LBB336_696:                            ;   in Loop: Header=BB336_414 Depth=1
	s_or_b32 exec_lo, exec_lo, s17
.LBB336_697:                            ;   in Loop: Header=BB336_414 Depth=1
	s_or_b32 exec_lo, exec_lo, s16
.LBB336_698:                            ;   in Loop: Header=BB336_414 Depth=1
	s_or_b32 exec_lo, exec_lo, s15
	v_cmp_ne_u16_sdwa s0, v9, v10 src0_sel:BYTE_1 src1_sel:DWORD
	s_and_saveexec_b32 s15, s0
	s_cbranch_execz .LBB336_706
; %bb.699:                              ;   in Loop: Header=BB336_414 Depth=1
	v_cmp_ne_u16_sdwa s0, v9, v34 src0_sel:BYTE_1 src1_sel:DWORD
	v_bfrev_b32_e32 v19, 1
	s_and_saveexec_b32 s16, s0
	s_cbranch_execz .LBB336_705
; %bb.700:                              ;   in Loop: Header=BB336_414 Depth=1
	v_and_b32_sdwa v20, v35, v9 dst_sel:DWORD dst_unused:UNUSED_PAD src0_sel:DWORD src1_sel:BYTE_1
	v_mov_b32_e32 v19, 0x7f800001
	s_mov_b32 s17, exec_lo
	v_and_b32_e32 v85, 0x7f, v20
	v_cmpx_ne_u32_e32 0x7f, v85
	s_cbranch_execz .LBB336_704
; %bb.701:                              ;   in Loop: Header=BB336_414 Depth=1
	v_and_b32_e32 v19, 7, v20
	v_mov_b32_e32 v20, v10
	v_lshrrev_b32_e32 v84, 3, v85
	s_mov_b32 s18, exec_lo
	v_cmpx_gt_u32_e32 8, v85
; %bb.702:                              ;   in Loop: Header=BB336_414 Depth=1
	v_ffbh_u32_e32 v84, v19
	v_min_u32_e32 v84, 32, v84
	v_subrev_nc_u32_e32 v85, 28, v84
	v_sub_nc_u32_e32 v84, 29, v84
	v_lshlrev_b64 v[19:20], v85, v[19:20]
	v_and_b32_e32 v19, 7, v19
; %bb.703:                              ;   in Loop: Header=BB336_414 Depth=1
	s_or_b32 exec_lo, exec_lo, s18
	v_lshlrev_b32_e32 v9, 16, v9
	v_lshlrev_b32_e32 v19, 20, v19
	v_lshl_add_u32 v20, v84, 23, 0x3c000000
	v_and_b32_e32 v9, 0x80000000, v9
	v_or3_b32 v19, v19, v9, v20
.LBB336_704:                            ;   in Loop: Header=BB336_414 Depth=1
	s_or_b32 exec_lo, exec_lo, s17
.LBB336_705:                            ;   in Loop: Header=BB336_414 Depth=1
	s_or_b32 exec_lo, exec_lo, s16
.LBB336_706:                            ;   in Loop: Header=BB336_414 Depth=1
	s_or_b32 exec_lo, exec_lo, s15
	v_and_b32_sdwa v9, v18, v36 dst_sel:DWORD dst_unused:UNUSED_PAD src0_sel:WORD_1 src1_sel:DWORD
	v_mov_b32_e32 v84, 0
	v_mov_b32_e32 v85, 0
	s_mov_b32 s15, exec_lo
	v_cmpx_ne_u16_e32 0, v9
	s_cbranch_execz .LBB336_714
; %bb.707:                              ;   in Loop: Header=BB336_414 Depth=1
	v_bfrev_b32_e32 v85, 1
	s_mov_b32 s16, exec_lo
	v_cmpx_ne_u16_e32 0x80, v9
	s_cbranch_execz .LBB336_713
; %bb.708:                              ;   in Loop: Header=BB336_414 Depth=1
	v_bfe_u32 v86, v18, 16, 7
	v_mov_b32_e32 v85, 0x7f800001
	s_mov_b32 s17, exec_lo
	v_cmpx_ne_u32_e32 0x7f, v86
	s_cbranch_execz .LBB336_712
; %bb.709:                              ;   in Loop: Header=BB336_414 Depth=1
	v_and_b32_sdwa v9, v18, v37 dst_sel:DWORD dst_unused:UNUSED_PAD src0_sel:WORD_1 src1_sel:DWORD
	v_lshrrev_b32_e32 v20, 3, v86
	s_mov_b32 s18, exec_lo
	v_cmpx_gt_u32_e32 8, v86
; %bb.710:                              ;   in Loop: Header=BB336_414 Depth=1
	v_ffbh_u32_e32 v20, v9
	v_min_u32_e32 v20, 32, v20
	v_subrev_nc_u32_e32 v85, 28, v20
	v_sub_nc_u32_e32 v20, 29, v20
	v_lshlrev_b64 v[85:86], v85, v[9:10]
	v_and_b32_e32 v9, 7, v85
; %bb.711:                              ;   in Loop: Header=BB336_414 Depth=1
	s_or_b32 exec_lo, exec_lo, s18
	v_lshlrev_b32_sdwa v85, v38, v18 dst_sel:DWORD dst_unused:UNUSED_PAD src0_sel:DWORD src1_sel:WORD_1
	v_lshlrev_b32_e32 v9, 20, v9
	v_lshl_add_u32 v20, v20, 23, 0x3c000000
	v_and_b32_e32 v85, 0x80000000, v85
	v_or3_b32 v85, v9, v85, v20
.LBB336_712:                            ;   in Loop: Header=BB336_414 Depth=1
	s_or_b32 exec_lo, exec_lo, s17
.LBB336_713:                            ;   in Loop: Header=BB336_414 Depth=1
	s_or_b32 exec_lo, exec_lo, s16
.LBB336_714:                            ;   in Loop: Header=BB336_414 Depth=1
	s_or_b32 exec_lo, exec_lo, s15
	s_mov_b32 s15, exec_lo
	v_cmpx_lt_u64_e64 s[2:3], v[17:18]
	s_cbranch_execz .LBB336_722
; %bb.715:                              ;   in Loop: Header=BB336_414 Depth=1
	v_cmp_ne_u32_sdwa s0, v18, v34 src0_sel:BYTE_3 src1_sel:DWORD
	v_bfrev_b32_e32 v84, 1
	s_and_saveexec_b32 s16, s0
	s_cbranch_execz .LBB336_721
; %bb.716:                              ;   in Loop: Header=BB336_414 Depth=1
	v_bfe_u32 v20, v18, 24, 7
	v_mov_b32_e32 v84, 0x7f800001
	s_mov_b32 s17, exec_lo
	v_cmpx_ne_u32_e32 0x7f, v20
	s_cbranch_execz .LBB336_720
; %bb.717:                              ;   in Loop: Header=BB336_414 Depth=1
	v_and_b32_sdwa v9, v18, v37 dst_sel:DWORD dst_unused:UNUSED_PAD src0_sel:BYTE_3 src1_sel:DWORD
	v_lshrrev_b32_e32 v17, 3, v20
	s_mov_b32 s18, exec_lo
	v_cmpx_gt_u32_e32 8, v20
; %bb.718:                              ;   in Loop: Header=BB336_414 Depth=1
	v_ffbh_u32_e32 v17, v9
	v_min_u32_e32 v17, 32, v17
	v_subrev_nc_u32_e32 v20, 28, v17
	v_sub_nc_u32_e32 v17, 29, v17
	v_lshlrev_b64 v[86:87], v20, v[9:10]
	v_and_b32_e32 v9, 7, v86
; %bb.719:                              ;   in Loop: Header=BB336_414 Depth=1
	s_or_b32 exec_lo, exec_lo, s18
	v_lshlrev_b32_sdwa v18, v38, v18 dst_sel:DWORD dst_unused:UNUSED_PAD src0_sel:DWORD src1_sel:BYTE_3
	v_lshlrev_b32_e32 v9, 20, v9
	v_lshl_add_u32 v17, v17, 23, 0x3c000000
	v_and_b32_e32 v18, 0x80000000, v18
	v_or3_b32 v84, v9, v18, v17
.LBB336_720:                            ;   in Loop: Header=BB336_414 Depth=1
	s_or_b32 exec_lo, exec_lo, s17
.LBB336_721:                            ;   in Loop: Header=BB336_414 Depth=1
	s_or_b32 exec_lo, exec_lo, s16
.LBB336_722:                            ;   in Loop: Header=BB336_414 Depth=1
	s_or_b32 exec_lo, exec_lo, s15
	v_mul_f32_e32 v9, s5, v19
	v_mul_f32_e32 v17, s5, v83
	;; [unrolled: 1-line block ×5, first 2 shown]
	v_bfe_u32 v19, v9, 16, 1
	v_or_b32_e32 v20, 0x400000, v9
	v_bfe_u32 v81, v17, 16, 1
	v_cmp_u_f32_e64 s0, v9, v9
	v_or_b32_e32 v83, 0x400000, v17
	v_add3_u32 v19, v19, v9, 0x7fff
	v_bfe_u32 v86, v18, 16, 1
	v_add3_u32 v81, v81, v17, 0x7fff
	v_or_b32_e32 v87, 0x400000, v18
	v_bfe_u32 v88, v82, 16, 1
	v_cndmask_b32_e64 v9, v19, v20, s0
	v_cmp_u_f32_e64 s0, v17, v17
	v_add3_u32 v86, v86, v18, 0x7fff
	v_lshrrev_b32_e32 v19, 16, v9
	v_cndmask_b32_e64 v17, v81, v83, s0
	v_cmp_u_f32_e64 s0, v18, v18
	v_mul_f32_e32 v9, s5, v80
	v_add3_u32 v80, v88, v82, 0x7fff
	v_or_b32_e32 v83, 0x400000, v82
	v_lshrrev_b32_e32 v20, 16, v17
	v_cndmask_b32_e64 v18, v86, v87, s0
	v_bfe_u32 v17, v9, 16, 1
	v_cmp_u_f32_e64 s0, v82, v82
	v_or_b32_e32 v82, 0x400000, v9
	v_lshrrev_b32_e32 v81, 16, v18
	v_add3_u32 v17, v17, v9, 0x7fff
	v_cndmask_b32_e64 v18, v80, v83, s0
	v_mul_f32_e32 v80, s5, v85
	v_mul_f32_e32 v83, s5, v84
	v_bfe_u32 v84, v79, 16, 1
	v_cmp_u_f32_e64 s0, v9, v9
	v_bfe_u32 v85, v80, 16, 1
	v_or_b32_e32 v86, 0x400000, v80
	v_or_b32_e32 v87, 0x400000, v83
	v_cndmask_b32_e64 v9, v17, v82, s0
	v_add3_u32 v82, v84, v79, 0x7fff
	v_or_b32_e32 v84, 0x400000, v79
	v_cmp_u_f32_e64 s0, v79, v79
	v_bfe_u32 v17, v83, 16, 1
	v_add3_u32 v85, v85, v80, 0x7fff
	v_cndmask_b32_e64 v79, v82, v84, s0
	v_cmp_u_f32_e64 s0, v80, v80
	v_add3_u32 v17, v17, v83, 0x7fff
	v_lshrrev_b32_e32 v82, 16, v18
	v_lshrrev_b32_e32 v84, 16, v9
	v_cndmask_b32_e64 v80, v85, v86, s0
	v_cmp_u_f32_e64 s0, v83, v83
	v_lshrrev_b32_e32 v83, 16, v79
	v_lshrrev_b32_e32 v79, 16, v80
	v_cndmask_b32_e64 v17, v17, v87, s0
	v_lshrrev_b32_e32 v80, 16, v17
	s_and_saveexec_b32 s15, vcc_lo
	s_cbranch_execz .LBB336_724
; %bb.723:                              ;   in Loop: Header=BB336_414 Depth=1
	v_cmp_gt_i32_e64 s0, s11, v48
	v_cndmask_b32_e64 v83, 0, v83, s0
	v_cmp_gt_i32_e64 s0, s11, v54
	v_cndmask_b32_e64 v84, 0, v84, s0
	;; [unrolled: 2-line block ×8, first 2 shown]
.LBB336_724:                            ;   in Loop: Header=BB336_414 Depth=1
	s_or_b32 exec_lo, exec_lo, s15
	global_load_dwordx2 v[15:16], v[15:16], off offset:1280
	v_mov_b32_e32 v86, 0
	v_mov_b32_e32 v85, 0
	s_waitcnt vmcnt(0)
	v_cmp_ne_u16_sdwa s0, v15, v10 src0_sel:BYTE_0 src1_sel:DWORD
	s_and_saveexec_b32 s15, s0
	s_cbranch_execz .LBB336_730
; %bb.725:                              ;   in Loop: Header=BB336_414 Depth=1
	v_cmp_ne_u16_sdwa s0, v15, v34 src0_sel:BYTE_0 src1_sel:DWORD
	v_bfrev_b32_e32 v85, 1
	s_and_saveexec_b32 s16, s0
	s_cbranch_execz .LBB336_729
; %bb.726:                              ;   in Loop: Header=BB336_414 Depth=1
	v_and_b32_e32 v9, 0x7f, v15
	v_mov_b32_e32 v85, 0x7f800001
	s_mov_b32 s17, exec_lo
	v_cmpx_ne_u32_e32 0x7f, v9
	s_cbranch_execz .LBB336_728
; %bb.727:                              ;   in Loop: Header=BB336_414 Depth=1
	v_and_b32_e32 v17, 7, v15
	v_lshrrev_b32_e32 v18, 3, v9
	v_cmp_gt_u32_e64 s0, 8, v9
	v_ffbh_u32_e32 v17, v17
	v_min_u32_e32 v17, 32, v17
	v_subrev_nc_u32_e32 v85, 28, v17
	v_sub_nc_u32_e32 v17, 29, v17
	v_cndmask_b32_e64 v9, v18, v17, s0
	v_cndmask_b32_e64 v17, 0, v85, s0
	v_lshl_add_u32 v9, v9, 23, 0x3c000000
	v_lshlrev_b64 v[17:18], v17, v[15:16]
	v_lshlrev_b32_e32 v18, 24, v15
	v_lshlrev_b32_e32 v17, 20, v17
	v_and_b32_e32 v18, 0x80000000, v18
	v_and_b32_e32 v17, 0x700000, v17
	v_or3_b32 v85, v17, v18, v9
.LBB336_728:                            ;   in Loop: Header=BB336_414 Depth=1
	s_or_b32 exec_lo, exec_lo, s17
.LBB336_729:                            ;   in Loop: Header=BB336_414 Depth=1
	s_or_b32 exec_lo, exec_lo, s16
.LBB336_730:                            ;   in Loop: Header=BB336_414 Depth=1
	s_or_b32 exec_lo, exec_lo, s15
	v_cmp_ne_u16_sdwa s0, v15, v10 src0_sel:BYTE_1 src1_sel:DWORD
	s_and_saveexec_b32 s15, s0
	s_cbranch_execz .LBB336_738
; %bb.731:                              ;   in Loop: Header=BB336_414 Depth=1
	v_cmp_ne_u16_sdwa s0, v15, v34 src0_sel:BYTE_1 src1_sel:DWORD
	v_bfrev_b32_e32 v86, 1
	s_and_saveexec_b32 s16, s0
	s_cbranch_execz .LBB336_737
; %bb.732:                              ;   in Loop: Header=BB336_414 Depth=1
	v_and_b32_sdwa v9, v35, v15 dst_sel:DWORD dst_unused:UNUSED_PAD src0_sel:DWORD src1_sel:BYTE_1
	v_mov_b32_e32 v86, 0x7f800001
	s_mov_b32 s17, exec_lo
	v_and_b32_e32 v18, 0x7f, v9
	v_cmpx_ne_u32_e32 0x7f, v18
	s_cbranch_execz .LBB336_736
; %bb.733:                              ;   in Loop: Header=BB336_414 Depth=1
	v_and_b32_e32 v9, 7, v9
	v_lshrrev_b32_e32 v17, 3, v18
	s_mov_b32 s18, exec_lo
	v_cmpx_gt_u32_e32 8, v18
; %bb.734:                              ;   in Loop: Header=BB336_414 Depth=1
	v_ffbh_u32_e32 v17, v9
	v_min_u32_e32 v17, 32, v17
	v_subrev_nc_u32_e32 v18, 28, v17
	v_sub_nc_u32_e32 v17, 29, v17
	v_lshlrev_b64 v[86:87], v18, v[9:10]
	v_and_b32_e32 v9, 7, v86
; %bb.735:                              ;   in Loop: Header=BB336_414 Depth=1
	s_or_b32 exec_lo, exec_lo, s18
	v_lshlrev_b32_e32 v18, 16, v15
	v_lshlrev_b32_e32 v9, 20, v9
	v_lshl_add_u32 v17, v17, 23, 0x3c000000
	v_and_b32_e32 v18, 0x80000000, v18
	v_or3_b32 v86, v9, v18, v17
.LBB336_736:                            ;   in Loop: Header=BB336_414 Depth=1
	s_or_b32 exec_lo, exec_lo, s17
.LBB336_737:                            ;   in Loop: Header=BB336_414 Depth=1
	s_or_b32 exec_lo, exec_lo, s16
.LBB336_738:                            ;   in Loop: Header=BB336_414 Depth=1
	s_or_b32 exec_lo, exec_lo, s15
	v_and_b32_sdwa v9, v15, v36 dst_sel:DWORD dst_unused:UNUSED_PAD src0_sel:WORD_1 src1_sel:DWORD
	v_mov_b32_e32 v88, 0
	v_mov_b32_e32 v87, 0
	s_mov_b32 s15, exec_lo
	v_cmpx_ne_u16_e32 0, v9
	s_cbranch_execz .LBB336_746
; %bb.739:                              ;   in Loop: Header=BB336_414 Depth=1
	v_bfrev_b32_e32 v87, 1
	s_mov_b32 s16, exec_lo
	v_cmpx_ne_u16_e32 0x80, v9
	s_cbranch_execz .LBB336_745
; %bb.740:                              ;   in Loop: Header=BB336_414 Depth=1
	v_bfe_u32 v18, v15, 16, 7
	v_mov_b32_e32 v87, 0x7f800001
	s_mov_b32 s17, exec_lo
	v_cmpx_ne_u32_e32 0x7f, v18
	s_cbranch_execz .LBB336_744
; %bb.741:                              ;   in Loop: Header=BB336_414 Depth=1
	v_and_b32_sdwa v9, v15, v37 dst_sel:DWORD dst_unused:UNUSED_PAD src0_sel:WORD_1 src1_sel:DWORD
	v_lshrrev_b32_e32 v17, 3, v18
	s_mov_b32 s18, exec_lo
	v_cmpx_gt_u32_e32 8, v18
; %bb.742:                              ;   in Loop: Header=BB336_414 Depth=1
	v_ffbh_u32_e32 v17, v9
	v_min_u32_e32 v17, 32, v17
	v_subrev_nc_u32_e32 v18, 28, v17
	v_sub_nc_u32_e32 v17, 29, v17
	v_lshlrev_b64 v[89:90], v18, v[9:10]
	v_and_b32_e32 v9, 7, v89
; %bb.743:                              ;   in Loop: Header=BB336_414 Depth=1
	s_or_b32 exec_lo, exec_lo, s18
	v_lshlrev_b32_sdwa v18, v38, v15 dst_sel:DWORD dst_unused:UNUSED_PAD src0_sel:DWORD src1_sel:WORD_1
	v_lshlrev_b32_e32 v9, 20, v9
	v_lshl_add_u32 v17, v17, 23, 0x3c000000
	v_and_b32_e32 v18, 0x80000000, v18
	v_or3_b32 v87, v9, v18, v17
.LBB336_744:                            ;   in Loop: Header=BB336_414 Depth=1
	s_or_b32 exec_lo, exec_lo, s17
.LBB336_745:                            ;   in Loop: Header=BB336_414 Depth=1
	s_or_b32 exec_lo, exec_lo, s16
.LBB336_746:                            ;   in Loop: Header=BB336_414 Depth=1
	s_or_b32 exec_lo, exec_lo, s15
	s_mov_b32 s15, exec_lo
	v_cmpx_lt_u32_e32 0xffffff, v15
	s_cbranch_execz .LBB336_754
; %bb.747:                              ;   in Loop: Header=BB336_414 Depth=1
	v_cmp_ne_u32_sdwa s0, v15, v34 src0_sel:BYTE_3 src1_sel:DWORD
	v_bfrev_b32_e32 v88, 1
	s_and_saveexec_b32 s16, s0
	s_cbranch_execz .LBB336_753
; %bb.748:                              ;   in Loop: Header=BB336_414 Depth=1
	v_bfe_u32 v18, v15, 24, 7
	v_mov_b32_e32 v88, 0x7f800001
	s_mov_b32 s17, exec_lo
	v_cmpx_ne_u32_e32 0x7f, v18
	s_cbranch_execz .LBB336_752
; %bb.749:                              ;   in Loop: Header=BB336_414 Depth=1
	v_and_b32_sdwa v9, v15, v37 dst_sel:DWORD dst_unused:UNUSED_PAD src0_sel:BYTE_3 src1_sel:DWORD
	v_lshrrev_b32_e32 v17, 3, v18
	s_mov_b32 s18, exec_lo
	v_cmpx_gt_u32_e32 8, v18
; %bb.750:                              ;   in Loop: Header=BB336_414 Depth=1
	v_ffbh_u32_e32 v17, v9
	v_min_u32_e32 v17, 32, v17
	v_subrev_nc_u32_e32 v18, 28, v17
	v_sub_nc_u32_e32 v17, 29, v17
	v_lshlrev_b64 v[88:89], v18, v[9:10]
	v_and_b32_e32 v9, 7, v88
; %bb.751:                              ;   in Loop: Header=BB336_414 Depth=1
	s_or_b32 exec_lo, exec_lo, s18
	v_lshlrev_b32_sdwa v18, v38, v15 dst_sel:DWORD dst_unused:UNUSED_PAD src0_sel:DWORD src1_sel:BYTE_3
	v_lshlrev_b32_e32 v9, 20, v9
	v_lshl_add_u32 v17, v17, 23, 0x3c000000
	v_and_b32_e32 v18, 0x80000000, v18
	v_or3_b32 v88, v9, v18, v17
.LBB336_752:                            ;   in Loop: Header=BB336_414 Depth=1
	s_or_b32 exec_lo, exec_lo, s17
.LBB336_753:                            ;   in Loop: Header=BB336_414 Depth=1
	s_or_b32 exec_lo, exec_lo, s16
.LBB336_754:                            ;   in Loop: Header=BB336_414 Depth=1
	s_or_b32 exec_lo, exec_lo, s15
	v_mov_b32_e32 v9, v16
	v_cmp_ne_u16_sdwa s0, v16, v10 src0_sel:BYTE_0 src1_sel:DWORD
	v_mov_b32_e32 v17, 0
	v_mov_b32_e32 v89, 0
	s_and_saveexec_b32 s15, s0
	s_cbranch_execz .LBB336_760
; %bb.755:                              ;   in Loop: Header=BB336_414 Depth=1
	v_cmp_ne_u16_sdwa s0, v16, v34 src0_sel:BYTE_0 src1_sel:DWORD
	v_bfrev_b32_e32 v89, 1
	s_and_saveexec_b32 s16, s0
	s_cbranch_execz .LBB336_759
; %bb.756:                              ;   in Loop: Header=BB336_414 Depth=1
	v_and_b32_e32 v18, 0x7f, v16
	v_mov_b32_e32 v89, 0x7f800001
	s_mov_b32 s17, exec_lo
	v_cmpx_ne_u32_e32 0x7f, v18
	s_cbranch_execz .LBB336_758
; %bb.757:                              ;   in Loop: Header=BB336_414 Depth=1
	v_and_b32_e32 v89, 7, v16
	v_lshrrev_b32_e32 v90, 3, v18
	v_cmp_gt_u32_e64 s0, 8, v18
	v_ffbh_u32_e32 v89, v89
	v_min_u32_e32 v89, 32, v89
	v_subrev_nc_u32_e32 v91, 28, v89
	v_sub_nc_u32_e32 v89, 29, v89
	v_cndmask_b32_e64 v18, v90, v89, s0
	v_cndmask_b32_e64 v89, 0, v91, s0
	v_lshl_add_u32 v18, v18, 23, 0x3c000000
	v_lshlrev_b64 v[89:90], v89, v[9:10]
	v_lshlrev_b32_e32 v90, 24, v9
	v_lshlrev_b32_e32 v89, 20, v89
	v_and_b32_e32 v90, 0x80000000, v90
	v_and_b32_e32 v89, 0x700000, v89
	v_or3_b32 v89, v89, v90, v18
.LBB336_758:                            ;   in Loop: Header=BB336_414 Depth=1
	s_or_b32 exec_lo, exec_lo, s17
.LBB336_759:                            ;   in Loop: Header=BB336_414 Depth=1
	s_or_b32 exec_lo, exec_lo, s16
.LBB336_760:                            ;   in Loop: Header=BB336_414 Depth=1
	s_or_b32 exec_lo, exec_lo, s15
	v_cmp_ne_u16_sdwa s0, v9, v10 src0_sel:BYTE_1 src1_sel:DWORD
	s_and_saveexec_b32 s15, s0
	s_cbranch_execz .LBB336_768
; %bb.761:                              ;   in Loop: Header=BB336_414 Depth=1
	v_cmp_ne_u16_sdwa s0, v9, v34 src0_sel:BYTE_1 src1_sel:DWORD
	v_bfrev_b32_e32 v17, 1
	s_and_saveexec_b32 s16, s0
	s_cbranch_execz .LBB336_767
; %bb.762:                              ;   in Loop: Header=BB336_414 Depth=1
	v_and_b32_sdwa v18, v35, v9 dst_sel:DWORD dst_unused:UNUSED_PAD src0_sel:DWORD src1_sel:BYTE_1
	v_mov_b32_e32 v17, 0x7f800001
	s_mov_b32 s17, exec_lo
	v_and_b32_e32 v91, 0x7f, v18
	v_cmpx_ne_u32_e32 0x7f, v91
	s_cbranch_execz .LBB336_766
; %bb.763:                              ;   in Loop: Header=BB336_414 Depth=1
	v_and_b32_e32 v17, 7, v18
	v_mov_b32_e32 v18, v10
	v_lshrrev_b32_e32 v90, 3, v91
	s_mov_b32 s18, exec_lo
	v_cmpx_gt_u32_e32 8, v91
; %bb.764:                              ;   in Loop: Header=BB336_414 Depth=1
	v_ffbh_u32_e32 v90, v17
	v_min_u32_e32 v90, 32, v90
	v_subrev_nc_u32_e32 v91, 28, v90
	v_sub_nc_u32_e32 v90, 29, v90
	v_lshlrev_b64 v[17:18], v91, v[17:18]
	v_and_b32_e32 v17, 7, v17
; %bb.765:                              ;   in Loop: Header=BB336_414 Depth=1
	s_or_b32 exec_lo, exec_lo, s18
	v_lshlrev_b32_e32 v9, 16, v9
	v_lshlrev_b32_e32 v17, 20, v17
	v_lshl_add_u32 v18, v90, 23, 0x3c000000
	v_and_b32_e32 v9, 0x80000000, v9
	v_or3_b32 v17, v17, v9, v18
.LBB336_766:                            ;   in Loop: Header=BB336_414 Depth=1
	s_or_b32 exec_lo, exec_lo, s17
.LBB336_767:                            ;   in Loop: Header=BB336_414 Depth=1
	s_or_b32 exec_lo, exec_lo, s16
.LBB336_768:                            ;   in Loop: Header=BB336_414 Depth=1
	s_or_b32 exec_lo, exec_lo, s15
	v_and_b32_sdwa v9, v16, v36 dst_sel:DWORD dst_unused:UNUSED_PAD src0_sel:WORD_1 src1_sel:DWORD
	v_mov_b32_e32 v18, 0
	v_mov_b32_e32 v90, 0
	s_mov_b32 s15, exec_lo
	v_cmpx_ne_u16_e32 0, v9
	s_cbranch_execz .LBB336_776
; %bb.769:                              ;   in Loop: Header=BB336_414 Depth=1
	v_bfrev_b32_e32 v90, 1
	s_mov_b32 s16, exec_lo
	v_cmpx_ne_u16_e32 0x80, v9
	s_cbranch_execz .LBB336_775
; %bb.770:                              ;   in Loop: Header=BB336_414 Depth=1
	v_bfe_u32 v91, v16, 16, 7
	v_mov_b32_e32 v90, 0x7f800001
	s_mov_b32 s17, exec_lo
	v_cmpx_ne_u32_e32 0x7f, v91
	s_cbranch_execz .LBB336_774
; %bb.771:                              ;   in Loop: Header=BB336_414 Depth=1
	v_and_b32_sdwa v9, v16, v37 dst_sel:DWORD dst_unused:UNUSED_PAD src0_sel:WORD_1 src1_sel:DWORD
	v_lshrrev_b32_e32 v90, 3, v91
	s_mov_b32 s18, exec_lo
	v_cmpx_gt_u32_e32 8, v91
; %bb.772:                              ;   in Loop: Header=BB336_414 Depth=1
	v_ffbh_u32_e32 v90, v9
	v_min_u32_e32 v90, 32, v90
	v_subrev_nc_u32_e32 v91, 28, v90
	v_sub_nc_u32_e32 v90, 29, v90
	v_lshlrev_b64 v[91:92], v91, v[9:10]
	v_and_b32_e32 v9, 7, v91
; %bb.773:                              ;   in Loop: Header=BB336_414 Depth=1
	s_or_b32 exec_lo, exec_lo, s18
	v_lshlrev_b32_sdwa v91, v38, v16 dst_sel:DWORD dst_unused:UNUSED_PAD src0_sel:DWORD src1_sel:WORD_1
	v_lshlrev_b32_e32 v9, 20, v9
	v_lshl_add_u32 v90, v90, 23, 0x3c000000
	v_and_b32_e32 v91, 0x80000000, v91
	v_or3_b32 v90, v9, v91, v90
.LBB336_774:                            ;   in Loop: Header=BB336_414 Depth=1
	s_or_b32 exec_lo, exec_lo, s17
.LBB336_775:                            ;   in Loop: Header=BB336_414 Depth=1
	s_or_b32 exec_lo, exec_lo, s16
.LBB336_776:                            ;   in Loop: Header=BB336_414 Depth=1
	s_or_b32 exec_lo, exec_lo, s15
	s_mov_b32 s15, exec_lo
	v_cmpx_lt_u64_e64 s[2:3], v[15:16]
	s_cbranch_execz .LBB336_784
; %bb.777:                              ;   in Loop: Header=BB336_414 Depth=1
	v_cmp_ne_u32_sdwa s0, v16, v34 src0_sel:BYTE_3 src1_sel:DWORD
	v_bfrev_b32_e32 v18, 1
	s_and_saveexec_b32 s16, s0
	s_cbranch_execz .LBB336_783
; %bb.778:                              ;   in Loop: Header=BB336_414 Depth=1
	v_bfe_u32 v91, v16, 24, 7
	v_mov_b32_e32 v18, 0x7f800001
	s_mov_b32 s17, exec_lo
	v_cmpx_ne_u32_e32 0x7f, v91
	s_cbranch_execz .LBB336_782
; %bb.779:                              ;   in Loop: Header=BB336_414 Depth=1
	v_and_b32_sdwa v9, v16, v37 dst_sel:DWORD dst_unused:UNUSED_PAD src0_sel:BYTE_3 src1_sel:DWORD
	v_lshrrev_b32_e32 v15, 3, v91
	s_mov_b32 s18, exec_lo
	v_cmpx_gt_u32_e32 8, v91
; %bb.780:                              ;   in Loop: Header=BB336_414 Depth=1
	v_ffbh_u32_e32 v15, v9
	v_min_u32_e32 v15, 32, v15
	v_subrev_nc_u32_e32 v18, 28, v15
	v_sub_nc_u32_e32 v15, 29, v15
	v_lshlrev_b64 v[91:92], v18, v[9:10]
	v_and_b32_e32 v9, 7, v91
; %bb.781:                              ;   in Loop: Header=BB336_414 Depth=1
	s_or_b32 exec_lo, exec_lo, s18
	v_lshlrev_b32_sdwa v16, v38, v16 dst_sel:DWORD dst_unused:UNUSED_PAD src0_sel:DWORD src1_sel:BYTE_3
	v_lshlrev_b32_e32 v9, 20, v9
	v_lshl_add_u32 v15, v15, 23, 0x3c000000
	v_and_b32_e32 v16, 0x80000000, v16
	v_or3_b32 v18, v9, v16, v15
.LBB336_782:                            ;   in Loop: Header=BB336_414 Depth=1
	s_or_b32 exec_lo, exec_lo, s17
.LBB336_783:                            ;   in Loop: Header=BB336_414 Depth=1
	s_or_b32 exec_lo, exec_lo, s16
.LBB336_784:                            ;   in Loop: Header=BB336_414 Depth=1
	s_or_b32 exec_lo, exec_lo, s15
	v_mul_f32_e32 v9, s5, v17
	v_mul_f32_e32 v15, s5, v89
	;; [unrolled: 1-line block ×5, first 2 shown]
	v_bfe_u32 v87, v9, 16, 1
	v_or_b32_e32 v88, 0x400000, v9
	v_bfe_u32 v89, v15, 16, 1
	v_cmp_u_f32_e64 s0, v9, v9
	v_or_b32_e32 v91, 0x400000, v15
	v_add3_u32 v87, v87, v9, 0x7fff
	v_bfe_u32 v92, v16, 16, 1
	v_add3_u32 v89, v89, v15, 0x7fff
	v_or_b32_e32 v93, 0x400000, v16
	v_bfe_u32 v94, v17, 16, 1
	v_cndmask_b32_e64 v9, v87, v88, s0
	v_cmp_u_f32_e64 s0, v15, v15
	v_add3_u32 v92, v92, v16, 0x7fff
	v_or_b32_e32 v88, 0x400000, v17
	v_add3_u32 v87, v94, v17, 0x7fff
	v_mul_f32_e32 v85, s5, v85
	v_cndmask_b32_e64 v15, v89, v91, s0
	v_cmp_u_f32_e64 s0, v16, v16
	v_bfe_u32 v89, v86, 16, 1
	v_mul_f32_e32 v18, s5, v18
	v_lshrrev_b32_e32 v9, 16, v9
	v_lshrrev_b32_e32 v15, 16, v15
	v_cndmask_b32_e64 v16, v92, v93, s0
	v_cmp_u_f32_e64 s0, v17, v17
	v_or_b32_e32 v93, 0x400000, v18
	v_lshrrev_b32_e32 v16, 16, v16
	v_cndmask_b32_e64 v17, v87, v88, s0
	v_mul_f32_e32 v87, s5, v90
	v_add3_u32 v88, v89, v86, 0x7fff
	v_or_b32_e32 v89, 0x400000, v86
	v_bfe_u32 v90, v85, 16, 1
	v_cmp_u_f32_e64 s0, v86, v86
	v_bfe_u32 v91, v87, 16, 1
	v_or_b32_e32 v92, 0x400000, v87
	v_cndmask_b32_e64 v86, v88, v89, s0
	v_add3_u32 v89, v90, v85, 0x7fff
	v_or_b32_e32 v90, 0x400000, v85
	v_cmp_u_f32_e64 s0, v85, v85
	v_bfe_u32 v88, v18, 16, 1
	v_add3_u32 v91, v91, v87, 0x7fff
	v_lshrrev_b32_e32 v85, 16, v17
	v_lshrrev_b32_e32 v86, 16, v86
	v_cndmask_b32_e64 v89, v89, v90, s0
	v_cmp_u_f32_e64 s0, v87, v87
	v_add3_u32 v88, v88, v18, 0x7fff
	v_lshrrev_b32_e32 v87, 16, v89
	v_cndmask_b32_e64 v90, v91, v92, s0
	v_cmp_u_f32_e64 s0, v18, v18
	v_lshrrev_b32_e32 v18, 16, v90
	v_cndmask_b32_e64 v88, v88, v93, s0
	v_lshrrev_b32_e32 v17, 16, v88
	s_and_saveexec_b32 s0, vcc_lo
	s_cbranch_execz .LBB336_413
; %bb.785:                              ;   in Loop: Header=BB336_414 Depth=1
	v_cmp_gt_i32_e32 vcc_lo, s11, v48
	v_cndmask_b32_e32 v87, 0, v87, vcc_lo
	v_cmp_gt_i32_e32 vcc_lo, s11, v54
	v_cndmask_b32_e32 v86, 0, v86, vcc_lo
	;; [unrolled: 2-line block ×8, first 2 shown]
	s_branch .LBB336_413
.LBB336_786:
	s_or_b32 exec_lo, exec_lo, s14
.LBB336_787:
	s_or_b32 exec_lo, exec_lo, s1
	ds_bpermute_b32 v1, v25, v30
	ds_bpermute_b32 v2, v25, v31
	;; [unrolled: 1-line block ×6, first 2 shown]
	v_lshrrev_b32_e32 v7, 1, v24
	v_mul_u32_u24_e32 v9, 0x180, v23
	v_and_b32_e32 v13, 0x3c1, v0
	s_mov_b32 s0, exec_lo
	s_waitcnt lgkmcnt(0)
	v_lshl_add_u32 v8, v7, 2, 0xe0
	s_barrier
	buffer_gl0_inv
	v_add_f32_e32 v6, v30, v1
	v_add_f32_e32 v5, v31, v2
	;; [unrolled: 1-line block ×6, first 2 shown]
	v_cmpx_eq_u32_e32 64, v13
	s_cbranch_execz .LBB336_789
; %bb.788:
	v_add_nc_u32_e32 v10, v8, v9
	v_add_nc_u32_e32 v11, 0xfffffd00, v10
	;; [unrolled: 1-line block ×7, first 2 shown]
	ds_write_b32 v11, v6
	ds_write_b32 v12, v5
	ds_write_b32 v13, v4
	ds_write_b32 v14, v3
	ds_write_b32 v15, v2
	ds_write_b32 v10, v1
.LBB336_789:
	s_or_b32 exec_lo, exec_lo, s0
	v_lshlrev_b32_e32 v7, 2, v7
	s_mov_b32 s1, exec_lo
	v_cmp_eq_u32_e32 vcc_lo, 0, v22
	s_waitcnt lgkmcnt(0)
	s_barrier
	v_add3_u32 v7, 0xe0, v9, v7
	buffer_gl0_inv
	v_cmpx_gt_u32_e32 64, v0
	s_cbranch_execz .LBB336_798
; %bb.790:
	s_and_saveexec_b32 s0, vcc_lo
	s_cbranch_execnz .LBB336_812
; %bb.791:
	s_or_b32 exec_lo, exec_lo, s0
	s_and_saveexec_b32 s0, vcc_lo
	s_cbranch_execnz .LBB336_813
.LBB336_792:
	s_or_b32 exec_lo, exec_lo, s0
	s_and_saveexec_b32 s0, vcc_lo
	s_cbranch_execnz .LBB336_814
.LBB336_793:
	s_or_b32 exec_lo, exec_lo, s0
	s_and_saveexec_b32 s0, vcc_lo
	s_cbranch_execnz .LBB336_815
.LBB336_794:
	s_or_b32 exec_lo, exec_lo, s0
	s_and_saveexec_b32 s0, vcc_lo
	s_cbranch_execnz .LBB336_816
.LBB336_795:
	s_or_b32 exec_lo, exec_lo, s0
	s_and_saveexec_b32 s0, vcc_lo
	s_cbranch_execz .LBB336_797
.LBB336_796:
	ds_read_b32 v9, v7 offset:320
	s_waitcnt lgkmcnt(0)
	v_add_f32_e32 v1, v1, v9
.LBB336_797:
	s_or_b32 exec_lo, exec_lo, s0
.LBB336_798:
	s_or_b32 exec_lo, exec_lo, s1
	v_and_b32_e32 v9, 0x3e1, v0
	s_mov_b32 s1, exec_lo
	s_barrier
	buffer_gl0_inv
	v_cmpx_eq_u32_e32 32, v9
	s_cbranch_execz .LBB336_800
; %bb.799:
	ds_write2_b32 v8, v6, v5 offset1:16
	ds_write2_b32 v8, v4, v3 offset0:32 offset1:48
	ds_write2_b32 v8, v2, v1 offset0:64 offset1:80
.LBB336_800:
	s_or_b32 exec_lo, exec_lo, s1
	s_mov_b32 s1, exec_lo
	s_waitcnt lgkmcnt(0)
	s_barrier
	buffer_gl0_inv
	v_cmpx_gt_u32_e32 32, v0
	s_cbranch_execz .LBB336_809
; %bb.801:
	s_and_saveexec_b32 s0, vcc_lo
	s_cbranch_execnz .LBB336_817
; %bb.802:
	s_or_b32 exec_lo, exec_lo, s0
	s_and_saveexec_b32 s0, vcc_lo
	s_cbranch_execnz .LBB336_818
.LBB336_803:
	s_or_b32 exec_lo, exec_lo, s0
	s_and_saveexec_b32 s0, vcc_lo
	s_cbranch_execnz .LBB336_819
.LBB336_804:
	s_or_b32 exec_lo, exec_lo, s0
	s_and_saveexec_b32 s0, vcc_lo
	s_cbranch_execnz .LBB336_820
.LBB336_805:
	s_or_b32 exec_lo, exec_lo, s0
	s_and_saveexec_b32 s0, vcc_lo
	s_cbranch_execnz .LBB336_821
.LBB336_806:
	s_or_b32 exec_lo, exec_lo, s0
	s_and_saveexec_b32 s0, vcc_lo
	s_cbranch_execz .LBB336_808
.LBB336_807:
	ds_read_b32 v0, v7 offset:320
	s_waitcnt lgkmcnt(0)
	v_add_f32_e32 v1, v1, v0
.LBB336_808:
	s_or_b32 exec_lo, exec_lo, s0
.LBB336_809:
	s_or_b32 exec_lo, exec_lo, s1
	s_barrier
	buffer_gl0_inv
	s_mov_b32 s0, exec_lo
	v_cmpx_eq_u32_e32 0, v9
	s_cbranch_execz .LBB336_811
; %bb.810:
	s_mul_i32 s0, s10, s7
	v_bfe_u32 v7, v6, 16, 1
	s_mul_i32 s0, s0, s9
	s_mul_i32 s2, s7, s6
	s_mulk_i32 s0, 0x60
	v_or_b32_e32 v8, 0x400000, v6
	s_ashr_i32 s1, s0, 31
	v_add3_u32 v7, v7, v6, 0x7fff
	s_lshl_b64 s[0:1], s[0:1], 1
	v_bfe_u32 v9, v5, 16, 1
	s_add_u32 s5, s20, s0
	s_addc_u32 s6, s21, s1
	s_ashr_i32 s3, s2, 31
	v_cmp_u_f32_e32 vcc_lo, v6, v6
	s_lshl_b64 s[0:1], s[2:3], 1
	s_mul_i32 s4, s8, 0x60
	s_add_u32 s2, s5, s0
	s_addc_u32 s3, s6, s1
	s_ashr_i32 s5, s4, 31
	v_lshlrev_b32_e32 v0, 1, v21
	s_lshl_b64 s[0:1], s[4:5], 1
	v_cndmask_b32_e32 v6, v7, v8, vcc_lo
	v_bfe_u32 v7, v4, 16, 1
	v_add3_u32 v8, v9, v5, 0x7fff
	v_or_b32_e32 v9, 0x400000, v5
	v_cmp_u_f32_e32 vcc_lo, v5, v5
	s_add_u32 s0, s2, s0
	s_addc_u32 s1, s3, s1
	v_or_b32_e32 v10, 0x400000, v2
	global_store_short_d16_hi v0, v6, s[0:1]
	v_add3_u32 v6, v7, v4, 0x7fff
	v_or_b32_e32 v7, 0x400000, v4
	v_cndmask_b32_e32 v5, v8, v9, vcc_lo
	v_bfe_u32 v8, v3, 16, 1
	v_cmp_u_f32_e32 vcc_lo, v4, v4
	v_bfe_u32 v9, v2, 16, 1
	v_or_b32_e32 v11, 0x400000, v1
	v_cndmask_b32_e32 v4, v6, v7, vcc_lo
	v_add3_u32 v7, v8, v3, 0x7fff
	v_or_b32_e32 v8, 0x400000, v3
	v_cmp_u_f32_e32 vcc_lo, v3, v3
	v_bfe_u32 v6, v1, 16, 1
	v_add3_u32 v9, v9, v2, 0x7fff
	v_cndmask_b32_e32 v3, v7, v8, vcc_lo
	v_cmp_u_f32_e32 vcc_lo, v2, v2
	v_add3_u32 v6, v6, v1, 0x7fff
	v_cndmask_b32_e32 v2, v9, v10, vcc_lo
	v_cmp_u_f32_e32 vcc_lo, v1, v1
	v_cndmask_b32_e32 v1, v6, v11, vcc_lo
	global_store_short_d16_hi v0, v5, s[0:1] offset:32
	global_store_short_d16_hi v0, v4, s[0:1] offset:64
	;; [unrolled: 1-line block ×5, first 2 shown]
.LBB336_811:
	s_endpgm
.LBB336_812:
	ds_read_b32 v9, v7
	s_waitcnt lgkmcnt(0)
	v_add_f32_e32 v6, v6, v9
	s_or_b32 exec_lo, exec_lo, s0
	s_and_saveexec_b32 s0, vcc_lo
	s_cbranch_execz .LBB336_792
.LBB336_813:
	ds_read_b32 v9, v7 offset:64
	s_waitcnt lgkmcnt(0)
	v_add_f32_e32 v5, v5, v9
	s_or_b32 exec_lo, exec_lo, s0
	s_and_saveexec_b32 s0, vcc_lo
	s_cbranch_execz .LBB336_793
.LBB336_814:
	ds_read_b32 v9, v7 offset:128
	s_waitcnt lgkmcnt(0)
	v_add_f32_e32 v4, v4, v9
	s_or_b32 exec_lo, exec_lo, s0
	s_and_saveexec_b32 s0, vcc_lo
	s_cbranch_execz .LBB336_794
.LBB336_815:
	ds_read_b32 v9, v7 offset:192
	s_waitcnt lgkmcnt(0)
	v_add_f32_e32 v3, v3, v9
	s_or_b32 exec_lo, exec_lo, s0
	s_and_saveexec_b32 s0, vcc_lo
	s_cbranch_execz .LBB336_795
.LBB336_816:
	ds_read_b32 v9, v7 offset:256
	s_waitcnt lgkmcnt(0)
	v_add_f32_e32 v2, v2, v9
	s_or_b32 exec_lo, exec_lo, s0
	s_and_saveexec_b32 s0, vcc_lo
	s_cbranch_execnz .LBB336_796
	s_branch .LBB336_797
.LBB336_817:
	ds_read_b32 v0, v7
	s_waitcnt lgkmcnt(0)
	v_add_f32_e32 v6, v6, v0
	s_or_b32 exec_lo, exec_lo, s0
	s_and_saveexec_b32 s0, vcc_lo
	s_cbranch_execz .LBB336_803
.LBB336_818:
	ds_read_b32 v0, v7 offset:64
	s_waitcnt lgkmcnt(0)
	v_add_f32_e32 v5, v5, v0
	s_or_b32 exec_lo, exec_lo, s0
	s_and_saveexec_b32 s0, vcc_lo
	s_cbranch_execz .LBB336_804
.LBB336_819:
	ds_read_b32 v0, v7 offset:128
	s_waitcnt lgkmcnt(0)
	v_add_f32_e32 v4, v4, v0
	s_or_b32 exec_lo, exec_lo, s0
	s_and_saveexec_b32 s0, vcc_lo
	s_cbranch_execz .LBB336_805
.LBB336_820:
	ds_read_b32 v0, v7 offset:192
	s_waitcnt lgkmcnt(0)
	v_add_f32_e32 v3, v3, v0
	s_or_b32 exec_lo, exec_lo, s0
	s_and_saveexec_b32 s0, vcc_lo
	s_cbranch_execz .LBB336_806
.LBB336_821:
	ds_read_b32 v0, v7 offset:256
	s_waitcnt lgkmcnt(0)
	v_add_f32_e32 v2, v2, v0
	s_or_b32 exec_lo, exec_lo, s0
	s_and_saveexec_b32 s0, vcc_lo
	s_cbranch_execnz .LBB336_807
	s_branch .LBB336_808
	.section	.rodata,"a",@progbits
	.p2align	6, 0x0
	.amdhsa_kernel _ZN4vllm25paged_attention_v1_kernelI14__hip_bfloat16hLi96ELi16ELi128ELNS_18Fp8KVCacheDataTypeE1ELb0EEEvPT_PKS3_PKT0_S9_ifPKiSB_iPKfiiiSD_SD_iiiii
		.amdhsa_group_segment_fixed_size 224
		.amdhsa_private_segment_fixed_size 0
		.amdhsa_kernarg_size 384
		.amdhsa_user_sgpr_count 6
		.amdhsa_user_sgpr_private_segment_buffer 1
		.amdhsa_user_sgpr_dispatch_ptr 0
		.amdhsa_user_sgpr_queue_ptr 0
		.amdhsa_user_sgpr_kernarg_segment_ptr 1
		.amdhsa_user_sgpr_dispatch_id 0
		.amdhsa_user_sgpr_flat_scratch_init 0
		.amdhsa_user_sgpr_private_segment_size 0
		.amdhsa_wavefront_size32 1
		.amdhsa_uses_dynamic_stack 0
		.amdhsa_system_sgpr_private_segment_wavefront_offset 0
		.amdhsa_system_sgpr_workgroup_id_x 1
		.amdhsa_system_sgpr_workgroup_id_y 1
		.amdhsa_system_sgpr_workgroup_id_z 1
		.amdhsa_system_sgpr_workgroup_info 0
		.amdhsa_system_vgpr_workitem_id 0
		.amdhsa_next_free_vgpr 125
		.amdhsa_next_free_sgpr 34
		.amdhsa_reserve_vcc 1
		.amdhsa_reserve_flat_scratch 0
		.amdhsa_float_round_mode_32 0
		.amdhsa_float_round_mode_16_64 0
		.amdhsa_float_denorm_mode_32 3
		.amdhsa_float_denorm_mode_16_64 3
		.amdhsa_dx10_clamp 1
		.amdhsa_ieee_mode 1
		.amdhsa_fp16_overflow 0
		.amdhsa_workgroup_processor_mode 1
		.amdhsa_memory_ordered 1
		.amdhsa_forward_progress 1
		.amdhsa_shared_vgpr_count 0
		.amdhsa_exception_fp_ieee_invalid_op 0
		.amdhsa_exception_fp_denorm_src 0
		.amdhsa_exception_fp_ieee_div_zero 0
		.amdhsa_exception_fp_ieee_overflow 0
		.amdhsa_exception_fp_ieee_underflow 0
		.amdhsa_exception_fp_ieee_inexact 0
		.amdhsa_exception_int_div_zero 0
	.end_amdhsa_kernel
	.section	.text._ZN4vllm25paged_attention_v1_kernelI14__hip_bfloat16hLi96ELi16ELi128ELNS_18Fp8KVCacheDataTypeE1ELb0EEEvPT_PKS3_PKT0_S9_ifPKiSB_iPKfiiiSD_SD_iiiii,"axG",@progbits,_ZN4vllm25paged_attention_v1_kernelI14__hip_bfloat16hLi96ELi16ELi128ELNS_18Fp8KVCacheDataTypeE1ELb0EEEvPT_PKS3_PKT0_S9_ifPKiSB_iPKfiiiSD_SD_iiiii,comdat
.Lfunc_end336:
	.size	_ZN4vllm25paged_attention_v1_kernelI14__hip_bfloat16hLi96ELi16ELi128ELNS_18Fp8KVCacheDataTypeE1ELb0EEEvPT_PKS3_PKT0_S9_ifPKiSB_iPKfiiiSD_SD_iiiii, .Lfunc_end336-_ZN4vllm25paged_attention_v1_kernelI14__hip_bfloat16hLi96ELi16ELi128ELNS_18Fp8KVCacheDataTypeE1ELb0EEEvPT_PKS3_PKT0_S9_ifPKiSB_iPKfiiiSD_SD_iiiii
                                        ; -- End function
	.set _ZN4vllm25paged_attention_v1_kernelI14__hip_bfloat16hLi96ELi16ELi128ELNS_18Fp8KVCacheDataTypeE1ELb0EEEvPT_PKS3_PKT0_S9_ifPKiSB_iPKfiiiSD_SD_iiiii.num_vgpr, 125
	.set _ZN4vllm25paged_attention_v1_kernelI14__hip_bfloat16hLi96ELi16ELi128ELNS_18Fp8KVCacheDataTypeE1ELb0EEEvPT_PKS3_PKT0_S9_ifPKiSB_iPKfiiiSD_SD_iiiii.num_agpr, 0
	.set _ZN4vllm25paged_attention_v1_kernelI14__hip_bfloat16hLi96ELi16ELi128ELNS_18Fp8KVCacheDataTypeE1ELb0EEEvPT_PKS3_PKT0_S9_ifPKiSB_iPKfiiiSD_SD_iiiii.numbered_sgpr, 34
	.set _ZN4vllm25paged_attention_v1_kernelI14__hip_bfloat16hLi96ELi16ELi128ELNS_18Fp8KVCacheDataTypeE1ELb0EEEvPT_PKS3_PKT0_S9_ifPKiSB_iPKfiiiSD_SD_iiiii.num_named_barrier, 0
	.set _ZN4vllm25paged_attention_v1_kernelI14__hip_bfloat16hLi96ELi16ELi128ELNS_18Fp8KVCacheDataTypeE1ELb0EEEvPT_PKS3_PKT0_S9_ifPKiSB_iPKfiiiSD_SD_iiiii.private_seg_size, 0
	.set _ZN4vllm25paged_attention_v1_kernelI14__hip_bfloat16hLi96ELi16ELi128ELNS_18Fp8KVCacheDataTypeE1ELb0EEEvPT_PKS3_PKT0_S9_ifPKiSB_iPKfiiiSD_SD_iiiii.uses_vcc, 1
	.set _ZN4vllm25paged_attention_v1_kernelI14__hip_bfloat16hLi96ELi16ELi128ELNS_18Fp8KVCacheDataTypeE1ELb0EEEvPT_PKS3_PKT0_S9_ifPKiSB_iPKfiiiSD_SD_iiiii.uses_flat_scratch, 0
	.set _ZN4vllm25paged_attention_v1_kernelI14__hip_bfloat16hLi96ELi16ELi128ELNS_18Fp8KVCacheDataTypeE1ELb0EEEvPT_PKS3_PKT0_S9_ifPKiSB_iPKfiiiSD_SD_iiiii.has_dyn_sized_stack, 0
	.set _ZN4vllm25paged_attention_v1_kernelI14__hip_bfloat16hLi96ELi16ELi128ELNS_18Fp8KVCacheDataTypeE1ELb0EEEvPT_PKS3_PKT0_S9_ifPKiSB_iPKfiiiSD_SD_iiiii.has_recursion, 0
	.set _ZN4vllm25paged_attention_v1_kernelI14__hip_bfloat16hLi96ELi16ELi128ELNS_18Fp8KVCacheDataTypeE1ELb0EEEvPT_PKS3_PKT0_S9_ifPKiSB_iPKfiiiSD_SD_iiiii.has_indirect_call, 0
	.section	.AMDGPU.csdata,"",@progbits
; Kernel info:
; codeLenInByte = 30276
; TotalNumSgprs: 36
; NumVgprs: 125
; ScratchSize: 0
; MemoryBound: 0
; FloatMode: 240
; IeeeMode: 1
; LDSByteSize: 224 bytes/workgroup (compile time only)
; SGPRBlocks: 0
; VGPRBlocks: 15
; NumSGPRsForWavesPerEU: 36
; NumVGPRsForWavesPerEU: 125
; Occupancy: 8
; WaveLimiterHint : 1
; COMPUTE_PGM_RSRC2:SCRATCH_EN: 0
; COMPUTE_PGM_RSRC2:USER_SGPR: 6
; COMPUTE_PGM_RSRC2:TRAP_HANDLER: 0
; COMPUTE_PGM_RSRC2:TGID_X_EN: 1
; COMPUTE_PGM_RSRC2:TGID_Y_EN: 1
; COMPUTE_PGM_RSRC2:TGID_Z_EN: 1
; COMPUTE_PGM_RSRC2:TIDIG_COMP_CNT: 0
	.section	.text._ZN4vllm25paged_attention_v1_kernelI14__hip_bfloat16hLi112ELi16ELi128ELNS_18Fp8KVCacheDataTypeE1ELb0EEEvPT_PKS3_PKT0_S9_ifPKiSB_iPKfiiiSD_SD_iiiii,"axG",@progbits,_ZN4vllm25paged_attention_v1_kernelI14__hip_bfloat16hLi112ELi16ELi128ELNS_18Fp8KVCacheDataTypeE1ELb0EEEvPT_PKS3_PKT0_S9_ifPKiSB_iPKfiiiSD_SD_iiiii,comdat
	.protected	_ZN4vllm25paged_attention_v1_kernelI14__hip_bfloat16hLi112ELi16ELi128ELNS_18Fp8KVCacheDataTypeE1ELb0EEEvPT_PKS3_PKT0_S9_ifPKiSB_iPKfiiiSD_SD_iiiii ; -- Begin function _ZN4vllm25paged_attention_v1_kernelI14__hip_bfloat16hLi112ELi16ELi128ELNS_18Fp8KVCacheDataTypeE1ELb0EEEvPT_PKS3_PKT0_S9_ifPKiSB_iPKfiiiSD_SD_iiiii
	.globl	_ZN4vllm25paged_attention_v1_kernelI14__hip_bfloat16hLi112ELi16ELi128ELNS_18Fp8KVCacheDataTypeE1ELb0EEEvPT_PKS3_PKT0_S9_ifPKiSB_iPKfiiiSD_SD_iiiii
	.p2align	8
	.type	_ZN4vllm25paged_attention_v1_kernelI14__hip_bfloat16hLi112ELi16ELi128ELNS_18Fp8KVCacheDataTypeE1ELb0EEEvPT_PKS3_PKT0_S9_ifPKiSB_iPKfiiiSD_SD_iiiii,@function
_ZN4vllm25paged_attention_v1_kernelI14__hip_bfloat16hLi112ELi16ELi128ELNS_18Fp8KVCacheDataTypeE1ELb0EEEvPT_PKS3_PKT0_S9_ifPKiSB_iPKfiiiSD_SD_iiiii: ; @_ZN4vllm25paged_attention_v1_kernelI14__hip_bfloat16hLi112ELi16ELi128ELNS_18Fp8KVCacheDataTypeE1ELb0EEEvPT_PKS3_PKT0_S9_ifPKiSB_iPKfiiiSD_SD_iiiii
; %bb.0:
	s_mov_b64 s[38:39], s[2:3]
	s_mov_b64 s[36:37], s[0:1]
	s_mov_b32 s10, s7
	s_add_u32 s36, s36, s9
	s_clause 0x2
	s_load_dword s9, s[4:5], 0x80
	s_load_dwordx2 s[0:1], s[4:5], 0x30
	s_load_dwordx2 s[28:29], s[4:5], 0x20
	s_addc_u32 s37, s37, 0
	s_ashr_i32 s11, s7, 31
	v_mov_b32_e32 v21, v0
	s_lshl_b64 s[2:3], s[10:11], 2
	s_waitcnt lgkmcnt(0)
	s_add_u32 s0, s0, s2
	s_addc_u32 s1, s1, s3
	s_abs_i32 s2, s28
	s_abs_i32 s11, s9
	v_cvt_f32_u32_e32 v0, s2
	s_sub_i32 s7, 0, s2
	v_rcp_iflag_f32_e32 v0, v0
	v_mul_f32_e32 v0, 0x4f7ffffe, v0
	v_cvt_u32_f32_e32 v0, v0
	v_readfirstlane_b32 s3, v0
	s_mul_i32 s7, s7, s3
	s_mul_hi_u32 s7, s3, s7
	s_add_i32 s3, s3, s7
	s_xor_b32 s7, s9, s28
	s_mul_hi_u32 s3, s11, s3
	s_ashr_i32 s7, s7, 31
	s_mul_i32 s12, s3, s2
	s_mov_b32 s28, 0
	s_sub_i32 s11, s11, s12
	s_add_i32 s12, s3, 1
	s_sub_i32 s13, s11, s2
	s_cmp_ge_u32 s11, s2
	s_cselect_b32 s3, s12, s3
	s_cselect_b32 s11, s13, s11
	s_add_i32 s12, s3, 1
	s_cmp_ge_u32 s11, s2
	s_cselect_b32 s2, s12, s3
	s_abs_i32 s17, s6
	s_xor_b32 s2, s2, s7
	s_sub_i32 s19, s2, s7
	s_load_dwordx2 s[2:3], s[4:5], 0x40
	s_abs_i32 s16, s19
	v_cvt_f32_u32_e32 v0, s16
	s_sub_i32 s11, 0, s16
	v_rcp_iflag_f32_e32 v0, v0
	v_mul_f32_e32 v0, 0x4f7ffffe, v0
	v_cvt_u32_f32_e32 v0, v0
	v_readfirstlane_b32 s7, v0
	s_mul_i32 s11, s11, s7
	s_mul_hi_u32 s11, s7, s11
	s_add_i32 s7, s7, s11
	s_waitcnt lgkmcnt(0)
	s_cmp_eq_u64 s[2:3], 0
	s_mul_hi_u32 s18, s17, s7
	s_cbranch_scc1 .LBB337_2
; %bb.1:
	s_ashr_i32 s7, s6, 31
	s_lshl_b64 s[12:13], s[6:7], 2
	s_add_u32 s2, s2, s12
	s_addc_u32 s3, s3, s13
	s_load_dword s28, s[2:3], 0x0
.LBB337_2:
	s_load_dword s11, s[0:1], 0x0
	s_load_dwordx4 s[12:15], s[4:5], 0x48
	v_lshrrev_b32_e32 v3, 1, v21
	v_and_b32_e32 v22, 1, v21
	v_lshlrev_b32_e32 v12, 3, v21
	s_ashr_i32 s0, s6, 31
	s_ashr_i32 s1, s19, 31
	s_mulk_i32 s6, 0x70
	s_mov_b32 s2, exec_lo
	v_cmpx_gt_u32_e32 28, v21
	s_cbranch_execz .LBB337_4
; %bb.3:
	s_load_dwordx2 s[20:21], s[4:5], 0x8
	s_waitcnt lgkmcnt(0)
	s_mul_i32 s22, s12, s10
	v_lshlrev_b32_e32 v2, 3, v3
	s_ashr_i32 s23, s22, 31
	s_lshl_b64 s[22:23], s[22:23], 1
	v_mad_u32_u24 v2, 0x70, v22, v2
	s_add_u32 s3, s20, s22
	s_addc_u32 s12, s21, s23
	s_ashr_i32 s7, s6, 31
	s_lshl_b64 s[20:21], s[6:7], 1
	s_add_u32 s20, s3, s20
	s_addc_u32 s21, s12, s21
	global_load_dwordx2 v[0:1], v12, s[20:21]
	s_waitcnt vmcnt(0)
	ds_write_b64 v2, v[0:1]
.LBB337_4:
	s_or_b32 exec_lo, exec_lo, s2
	s_waitcnt lgkmcnt(0)
	s_add_i32 s2, s11, 15
	s_clause 0x1
	s_load_dwordx2 s[22:23], s[4:5], 0x28
	s_load_dword s7, s[4:5], 0x38
	s_ashr_i32 s3, s2, 31
	s_xor_b32 s0, s0, s1
	s_lshr_b32 s3, s3, 28
	s_mul_i32 s1, s18, s16
	s_add_i32 s2, s2, s3
	s_sub_i32 s1, s17, s1
	s_ashr_i32 s12, s2, 4
	s_add_i32 s2, s18, 1
	s_sub_i32 s3, s1, s16
	s_cmp_ge_u32 s1, s16
	v_lshrrev_b32_e32 v81, 5, v21
	s_cselect_b32 s2, s2, s18
	s_cselect_b32 s1, s3, s1
	s_add_i32 s3, s2, 1
	s_cmp_ge_u32 s1, s16
	v_mbcnt_lo_u32_b32 v14, -1, 0
	s_cselect_b32 s1, s3, s2
	s_mov_b32 s2, exec_lo
	s_xor_b32 s1, s1, s0
	s_waitcnt lgkmcnt(0)
	s_mul_i32 s24, s7, s10
	s_sub_i32 s1, s1, s0
	v_cmp_gt_i32_e64 s0, s12, v81
	s_ashr_i32 s25, s24, 31
	s_barrier
	buffer_gl0_inv
                                        ; implicit-def: $vgpr2
                                        ; implicit-def: $vgpr10
	v_cmpx_le_i32_e64 s12, v81
	s_xor_b32 s2, exec_lo, s2
; %bb.5:
	v_mov_b32_e32 v2, 0
	v_mbcnt_lo_u32_b32 v14, -1, 0
	v_mov_b32_e32 v10, 32
; %bb.6:
	s_or_saveexec_b32 s15, s2
	buffer_store_dword v3, off, s[36:39], 0 offset:16 ; 4-byte Folded Spill
	s_clause 0x3
	s_load_dwordx2 s[20:21], s[4:5], 0x0
	s_load_dwordx2 s[26:27], s[4:5], 0x18
	s_load_dword s7, s[4:5], 0x88
	s_load_dwordx4 s[16:19], s[4:5], 0x58
	v_mov_b32_e32 v72, 0xff7fffff
	v_lshrrev_b32_e32 v13, 3, v21
	s_mul_i32 s14, s1, s14
	s_xor_b32 exec_lo, exec_lo, s15
	s_cbranch_execz .LBB337_460
; %bb.7:
	buffer_store_dword v12, off, s[36:39], 0 offset:32 ; 4-byte Folded Spill
	v_mul_u32_u24_e32 v12, 0x70, v22
	s_load_dwordx2 s[2:3], s[4:5], 0x10
	s_ashr_i32 s1, s14, 31
	v_mov_b32_e32 v72, 0xff7fffff
	ds_read_b128 v[0:3], v12
	ds_read_b128 v[4:7], v12 offset:16
	ds_read_b128 v[8:11], v12 offset:32
	;; [unrolled: 1-line block ×4, first 2 shown]
	s_waitcnt lgkmcnt(0)
	s_load_dword s4, s[16:17], 0x0
	v_mov_b32_e32 v76, 0x80
	v_mov_b32_e32 v77, 0xffff
	;; [unrolled: 1-line block ×5, first 2 shown]
	s_mov_b32 s17, s13
	s_mov_b32 s16, 0
	buffer_store_dword v21, off, s[36:39], 0 offset:20 ; 4-byte Folded Spill
	buffer_store_dword v14, off, s[36:39], 0 offset:40 ; 4-byte Folded Spill
	;; [unrolled: 1-line block ×5, first 2 shown]
	s_add_u32 s2, s2, s14
	v_lshlrev_b32_e32 v15, 16, v0
	v_and_b32_e32 v0, 0xffff0000, v0
	v_lshlrev_b32_e32 v16, 16, v2
	v_and_b32_e32 v17, 0xffff0000, v2
	;; [unrolled: 2-line block ×3, first 2 shown]
	buffer_store_dword v0, off, s[36:39], 0 offset:4 ; 4-byte Folded Spill
	v_lshlrev_b32_e32 v0, 16, v1
	v_lshlrev_b32_e32 v20, 16, v4
	v_and_b32_e32 v24, 0xffff0000, v4
	v_lshlrev_b32_e32 v25, 16, v5
	v_and_b32_e32 v26, 0xffff0000, v5
	buffer_store_dword v0, off, s[36:39], 0 offset:8 ; 4-byte Folded Spill
	v_and_b32_e32 v0, 0xffff0000, v1
	v_lshlrev_b32_e32 v27, 16, v6
	v_and_b32_e32 v28, 0xffff0000, v6
	v_lshlrev_b32_e32 v29, 16, v7
	v_and_b32_e32 v30, 0xffff0000, v7
	buffer_store_dword v0, off, s[36:39], 0 offset:12 ; 4-byte Folded Spill
	ds_read_b128 v[0:3], v12 offset:80
	ds_read_b128 v[4:7], v12 offset:96
	s_addc_u32 s1, s3, s1
	s_sub_i32 s5, 1, s11
	v_lshlrev_b32_e32 v31, 16, v8
	v_and_b32_e32 v33, 0xffff0000, v8
	v_lshlrev_b32_e32 v34, 16, v9
	v_and_b32_e32 v35, 0xffff0000, v9
	;; [unrolled: 2-line block ×8, first 2 shown]
	s_waitcnt lgkmcnt(0)
	v_lshlrev_b32_e32 v56, 16, v0
	v_and_b32_e32 v57, 0xffff0000, v0
	v_bfe_u32 v0, v21, 1, 4
	v_lshlrev_b32_e32 v62, 16, v3
	v_and_b32_e32 v63, 0xffff0000, v3
	v_xor_b32_e32 v3, 1, v14
	v_lshlrev_b32_e32 v58, 16, v1
	v_and_b32_e32 v59, 0xffff0000, v1
	v_lshlrev_b32_e32 v1, 4, v0
	v_lshlrev_b32_e32 v60, 16, v2
	v_cmp_gt_i32_e32 vcc_lo, 32, v3
	v_and_b32_e32 v61, 0xffff0000, v2
	v_lshlrev_b32_e32 v68, 16, v6
	v_and_b32_e32 v69, 0xffff0000, v6
	v_lshlrev_b32_e32 v2, 2, v22
	v_add_co_u32 v1, s2, s2, v1
	v_lshlrev_b32_e32 v6, 2, v0
	v_lshlrev_b32_e32 v66, 16, v5
	v_and_b32_e32 v67, 0xffff0000, v5
	v_cndmask_b32_e32 v5, v14, v3, vcc_lo
	v_lshl_or_b32 v74, v81, 4, v0
	v_and_b32_e32 v0, 0x7c, v13
	v_lshlrev_b32_e32 v64, 16, v4
	v_and_b32_e32 v65, 0xffff0000, v4
	v_add_co_ci_u32_e64 v4, null, s1, 0, s2
	s_lshl_b64 s[2:3], s[24:25], 2
	v_add_co_u32 v3, vcc_lo, v1, v2
	v_lshl_or_b32 v1, v81, 6, v6
	s_add_u32 s2, s22, s2
	v_lshlrev_b32_e32 v73, 2, v5
	s_addc_u32 s3, s23, s3
	v_add_co_u32 v5, s2, s2, v0
	v_lshlrev_b32_e32 v48, 16, v52
	v_and_b32_e32 v49, 0xffff0000, v52
	v_lshlrev_b32_e32 v50, 16, v53
	v_and_b32_e32 v51, 0xffff0000, v53
	;; [unrolled: 2-line block ×5, first 2 shown]
	v_add_co_ci_u32_e64 v4, null, 0, v4, vcc_lo
	v_cmp_neq_f32_e64 s1, s28, 0
	v_add_nc_u32_e32 v75, 0x100, v1
	v_add_co_ci_u32_e64 v6, null, s3, 0, s2
	v_mov_b32_e32 v2, 0
	buffer_store_dword v15, off, s[36:39], 0 ; 4-byte Folded Spill
	v_cmp_eq_u32_e32 vcc_lo, 0, v22
	s_branch .LBB337_9
.LBB337_8:                              ;   in Loop: Header=BB337_9 Depth=1
	s_or_b32 exec_lo, exec_lo, s3
	v_add_nc_u32_e32 v81, 4, v81
	v_add_co_u32 v5, s3, v5, 16
	v_add_nc_u32_e32 v74, 64, v74
	v_add_nc_u32_e32 v75, 0x100, v75
	v_cmp_le_i32_e64 s2, s12, v81
	v_add_co_ci_u32_e64 v6, null, 0, v6, s3
	s_or_b32 s16, s2, s16
	s_andn2_b32 exec_lo, exec_lo, s16
	s_cbranch_execz .LBB337_459
.LBB337_9:                              ; =>This Inner Loop Header: Depth=1
	global_load_dword v0, v[5:6], off
	v_mov_b32_e32 v82, 0
	s_waitcnt vmcnt(0)
	v_mad_i64_i32 v[7:8], null, v0, s17, v[3:4]
	global_load_dword v0, v[7:8], off
	s_waitcnt vmcnt(0)
	v_cmp_ne_u16_sdwa s2, v0, v2 src0_sel:BYTE_0 src1_sel:DWORD
	s_and_saveexec_b32 s3, s2
	s_cbranch_execz .LBB337_17
; %bb.10:                               ;   in Loop: Header=BB337_9 Depth=1
	v_cmp_ne_u16_sdwa s2, v0, v76 src0_sel:BYTE_0 src1_sel:DWORD
	v_bfrev_b32_e32 v82, 1
	s_and_saveexec_b32 s30, s2
	s_cbranch_execz .LBB337_16
; %bb.11:                               ;   in Loop: Header=BB337_9 Depth=1
	v_and_b32_e32 v10, 0x7f, v0
	v_mov_b32_e32 v82, 0x7f800001
	s_mov_b32 s31, exec_lo
	v_cmpx_ne_u32_e32 0x7f, v10
	s_cbranch_execz .LBB337_15
; %bb.12:                               ;   in Loop: Header=BB337_9 Depth=1
	s_waitcnt lgkmcnt(0)
	v_and_b32_e32 v1, 7, v0
	v_lshrrev_b32_e32 v9, 3, v10
	s_mov_b32 s33, exec_lo
	v_cmpx_gt_u32_e32 8, v10
; %bb.13:                               ;   in Loop: Header=BB337_9 Depth=1
	v_ffbh_u32_e32 v9, v1
	v_min_u32_e32 v9, 32, v9
	v_subrev_nc_u32_e32 v10, 28, v9
	v_sub_nc_u32_e32 v9, 29, v9
	v_lshlrev_b64 v[10:11], v10, v[1:2]
	v_and_b32_e32 v1, 7, v10
; %bb.14:                               ;   in Loop: Header=BB337_9 Depth=1
	s_or_b32 exec_lo, exec_lo, s33
	v_lshlrev_b32_e32 v10, 24, v0
	v_lshlrev_b32_e32 v1, 20, v1
	v_lshl_add_u32 v9, v9, 23, 0x3c000000
	v_and_b32_e32 v10, 0x80000000, v10
	v_or3_b32 v82, v1, v10, v9
.LBB337_15:                             ;   in Loop: Header=BB337_9 Depth=1
	s_or_b32 exec_lo, exec_lo, s31
.LBB337_16:                             ;   in Loop: Header=BB337_9 Depth=1
	s_or_b32 exec_lo, exec_lo, s30
.LBB337_17:                             ;   in Loop: Header=BB337_9 Depth=1
	s_or_b32 exec_lo, exec_lo, s3
	v_cmp_ne_u16_sdwa s2, v0, v2 src0_sel:BYTE_1 src1_sel:DWORD
	v_mov_b32_e32 v83, 0
	s_and_saveexec_b32 s3, s2
	s_cbranch_execz .LBB337_25
; %bb.18:                               ;   in Loop: Header=BB337_9 Depth=1
	v_cmp_ne_u16_sdwa s2, v0, v76 src0_sel:BYTE_1 src1_sel:DWORD
	v_bfrev_b32_e32 v83, 1
	s_and_saveexec_b32 s30, s2
	s_cbranch_execz .LBB337_24
; %bb.19:                               ;   in Loop: Header=BB337_9 Depth=1
	s_waitcnt lgkmcnt(0)
	v_and_b32_sdwa v1, v77, v0 dst_sel:DWORD dst_unused:UNUSED_PAD src0_sel:DWORD src1_sel:BYTE_1
	v_mov_b32_e32 v83, 0x7f800001
	s_mov_b32 s31, exec_lo
	v_and_b32_e32 v10, 0x7f, v1
	v_cmpx_ne_u32_e32 0x7f, v10
	s_cbranch_execz .LBB337_23
; %bb.20:                               ;   in Loop: Header=BB337_9 Depth=1
	v_and_b32_e32 v1, 7, v1
	v_lshrrev_b32_e32 v9, 3, v10
	s_mov_b32 s33, exec_lo
	v_cmpx_gt_u32_e32 8, v10
; %bb.21:                               ;   in Loop: Header=BB337_9 Depth=1
	v_ffbh_u32_e32 v9, v1
	v_min_u32_e32 v9, 32, v9
	v_subrev_nc_u32_e32 v10, 28, v9
	v_sub_nc_u32_e32 v9, 29, v9
	v_lshlrev_b64 v[10:11], v10, v[1:2]
	v_and_b32_e32 v1, 7, v10
; %bb.22:                               ;   in Loop: Header=BB337_9 Depth=1
	s_or_b32 exec_lo, exec_lo, s33
	v_lshlrev_b32_e32 v10, 16, v0
	v_lshlrev_b32_e32 v1, 20, v1
	v_lshl_add_u32 v9, v9, 23, 0x3c000000
	v_and_b32_e32 v10, 0x80000000, v10
	v_or3_b32 v83, v1, v10, v9
.LBB337_23:                             ;   in Loop: Header=BB337_9 Depth=1
	s_or_b32 exec_lo, exec_lo, s31
.LBB337_24:                             ;   in Loop: Header=BB337_9 Depth=1
	s_or_b32 exec_lo, exec_lo, s30
.LBB337_25:                             ;   in Loop: Header=BB337_9 Depth=1
	s_or_b32 exec_lo, exec_lo, s3
	s_waitcnt lgkmcnt(0)
	v_and_b32_sdwa v1, v0, v78 dst_sel:DWORD dst_unused:UNUSED_PAD src0_sel:WORD_1 src1_sel:DWORD
	v_mov_b32_e32 v84, 0
	v_mov_b32_e32 v85, 0
	s_mov_b32 s3, exec_lo
	v_cmpx_ne_u16_e32 0, v1
	s_cbranch_execz .LBB337_33
; %bb.26:                               ;   in Loop: Header=BB337_9 Depth=1
	v_bfrev_b32_e32 v85, 1
	s_mov_b32 s30, exec_lo
	v_cmpx_ne_u16_e32 0x80, v1
	s_cbranch_execz .LBB337_32
; %bb.27:                               ;   in Loop: Header=BB337_9 Depth=1
	v_bfe_u32 v10, v0, 16, 7
	v_mov_b32_e32 v85, 0x7f800001
	s_mov_b32 s31, exec_lo
	v_cmpx_ne_u32_e32 0x7f, v10
	s_cbranch_execz .LBB337_31
; %bb.28:                               ;   in Loop: Header=BB337_9 Depth=1
	v_and_b32_sdwa v1, v0, v79 dst_sel:DWORD dst_unused:UNUSED_PAD src0_sel:WORD_1 src1_sel:DWORD
	v_lshrrev_b32_e32 v9, 3, v10
	s_mov_b32 s33, exec_lo
	v_cmpx_gt_u32_e32 8, v10
; %bb.29:                               ;   in Loop: Header=BB337_9 Depth=1
	v_ffbh_u32_e32 v9, v1
	v_min_u32_e32 v9, 32, v9
	v_subrev_nc_u32_e32 v10, 28, v9
	v_sub_nc_u32_e32 v9, 29, v9
	v_lshlrev_b64 v[10:11], v10, v[1:2]
	v_and_b32_e32 v1, 7, v10
; %bb.30:                               ;   in Loop: Header=BB337_9 Depth=1
	s_or_b32 exec_lo, exec_lo, s33
	v_lshlrev_b32_sdwa v10, v80, v0 dst_sel:DWORD dst_unused:UNUSED_PAD src0_sel:DWORD src1_sel:WORD_1
	v_lshlrev_b32_e32 v1, 20, v1
	v_lshl_add_u32 v9, v9, 23, 0x3c000000
	v_and_b32_e32 v10, 0x80000000, v10
	v_or3_b32 v85, v1, v10, v9
.LBB337_31:                             ;   in Loop: Header=BB337_9 Depth=1
	s_or_b32 exec_lo, exec_lo, s31
.LBB337_32:                             ;   in Loop: Header=BB337_9 Depth=1
	s_or_b32 exec_lo, exec_lo, s30
.LBB337_33:                             ;   in Loop: Header=BB337_9 Depth=1
	s_or_b32 exec_lo, exec_lo, s3
	s_mov_b32 s3, exec_lo
	v_cmpx_lt_u32_e32 0xffffff, v0
	s_cbranch_execz .LBB337_41
; %bb.34:                               ;   in Loop: Header=BB337_9 Depth=1
	v_cmp_ne_u32_sdwa s2, v0, v76 src0_sel:BYTE_3 src1_sel:DWORD
	v_bfrev_b32_e32 v84, 1
	s_and_saveexec_b32 s30, s2
	s_cbranch_execz .LBB337_40
; %bb.35:                               ;   in Loop: Header=BB337_9 Depth=1
	v_bfe_u32 v10, v0, 24, 7
	v_mov_b32_e32 v84, 0x7f800001
	s_mov_b32 s31, exec_lo
	v_cmpx_ne_u32_e32 0x7f, v10
	s_cbranch_execz .LBB337_39
; %bb.36:                               ;   in Loop: Header=BB337_9 Depth=1
	v_and_b32_sdwa v1, v0, v79 dst_sel:DWORD dst_unused:UNUSED_PAD src0_sel:BYTE_3 src1_sel:DWORD
	v_lshrrev_b32_e32 v9, 3, v10
	s_mov_b32 s33, exec_lo
	v_cmpx_gt_u32_e32 8, v10
; %bb.37:                               ;   in Loop: Header=BB337_9 Depth=1
	v_ffbh_u32_e32 v9, v1
	v_min_u32_e32 v9, 32, v9
	v_subrev_nc_u32_e32 v10, 28, v9
	v_sub_nc_u32_e32 v9, 29, v9
	v_lshlrev_b64 v[10:11], v10, v[1:2]
	v_and_b32_e32 v1, 7, v10
; %bb.38:                               ;   in Loop: Header=BB337_9 Depth=1
	s_or_b32 exec_lo, exec_lo, s33
	v_lshlrev_b32_sdwa v0, v80, v0 dst_sel:DWORD dst_unused:UNUSED_PAD src0_sel:DWORD src1_sel:BYTE_3
	v_lshlrev_b32_e32 v1, 20, v1
	v_lshl_add_u32 v9, v9, 23, 0x3c000000
	v_and_b32_e32 v0, 0x80000000, v0
	v_or3_b32 v84, v1, v0, v9
.LBB337_39:                             ;   in Loop: Header=BB337_9 Depth=1
	s_or_b32 exec_lo, exec_lo, s31
.LBB337_40:                             ;   in Loop: Header=BB337_9 Depth=1
	s_or_b32 exec_lo, exec_lo, s30
.LBB337_41:                             ;   in Loop: Header=BB337_9 Depth=1
	s_or_b32 exec_lo, exec_lo, s3
	global_load_dword v0, v[7:8], off offset:8
	v_mov_b32_e32 v87, 0
	v_mov_b32_e32 v86, 0
	s_waitcnt vmcnt(0)
	v_cmp_ne_u16_sdwa s2, v0, v2 src0_sel:BYTE_0 src1_sel:DWORD
	s_and_saveexec_b32 s3, s2
	s_cbranch_execz .LBB337_49
; %bb.42:                               ;   in Loop: Header=BB337_9 Depth=1
	v_cmp_ne_u16_sdwa s2, v0, v76 src0_sel:BYTE_0 src1_sel:DWORD
	v_bfrev_b32_e32 v86, 1
	s_and_saveexec_b32 s30, s2
	s_cbranch_execz .LBB337_48
; %bb.43:                               ;   in Loop: Header=BB337_9 Depth=1
	v_and_b32_e32 v10, 0x7f, v0
	v_mov_b32_e32 v86, 0x7f800001
	s_mov_b32 s31, exec_lo
	v_cmpx_ne_u32_e32 0x7f, v10
	s_cbranch_execz .LBB337_47
; %bb.44:                               ;   in Loop: Header=BB337_9 Depth=1
	v_and_b32_e32 v1, 7, v0
	v_lshrrev_b32_e32 v9, 3, v10
	s_mov_b32 s33, exec_lo
	v_cmpx_gt_u32_e32 8, v10
; %bb.45:                               ;   in Loop: Header=BB337_9 Depth=1
	v_ffbh_u32_e32 v9, v1
	v_min_u32_e32 v9, 32, v9
	v_subrev_nc_u32_e32 v10, 28, v9
	v_sub_nc_u32_e32 v9, 29, v9
	v_lshlrev_b64 v[10:11], v10, v[1:2]
	v_and_b32_e32 v1, 7, v10
; %bb.46:                               ;   in Loop: Header=BB337_9 Depth=1
	s_or_b32 exec_lo, exec_lo, s33
	v_lshlrev_b32_e32 v10, 24, v0
	v_lshlrev_b32_e32 v1, 20, v1
	v_lshl_add_u32 v9, v9, 23, 0x3c000000
	v_and_b32_e32 v10, 0x80000000, v10
	v_or3_b32 v86, v1, v10, v9
.LBB337_47:                             ;   in Loop: Header=BB337_9 Depth=1
	s_or_b32 exec_lo, exec_lo, s31
.LBB337_48:                             ;   in Loop: Header=BB337_9 Depth=1
	s_or_b32 exec_lo, exec_lo, s30
.LBB337_49:                             ;   in Loop: Header=BB337_9 Depth=1
	s_or_b32 exec_lo, exec_lo, s3
	v_cmp_ne_u16_sdwa s2, v0, v2 src0_sel:BYTE_1 src1_sel:DWORD
	s_and_saveexec_b32 s3, s2
	s_cbranch_execz .LBB337_57
; %bb.50:                               ;   in Loop: Header=BB337_9 Depth=1
	v_cmp_ne_u16_sdwa s2, v0, v76 src0_sel:BYTE_1 src1_sel:DWORD
	v_bfrev_b32_e32 v87, 1
	s_and_saveexec_b32 s30, s2
	s_cbranch_execz .LBB337_56
; %bb.51:                               ;   in Loop: Header=BB337_9 Depth=1
	v_and_b32_sdwa v1, v77, v0 dst_sel:DWORD dst_unused:UNUSED_PAD src0_sel:DWORD src1_sel:BYTE_1
	v_mov_b32_e32 v87, 0x7f800001
	s_mov_b32 s31, exec_lo
	v_and_b32_e32 v10, 0x7f, v1
	v_cmpx_ne_u32_e32 0x7f, v10
	s_cbranch_execz .LBB337_55
; %bb.52:                               ;   in Loop: Header=BB337_9 Depth=1
	v_and_b32_e32 v1, 7, v1
	v_lshrrev_b32_e32 v9, 3, v10
	s_mov_b32 s33, exec_lo
	v_cmpx_gt_u32_e32 8, v10
; %bb.53:                               ;   in Loop: Header=BB337_9 Depth=1
	v_ffbh_u32_e32 v9, v1
	v_min_u32_e32 v9, 32, v9
	v_subrev_nc_u32_e32 v10, 28, v9
	v_sub_nc_u32_e32 v9, 29, v9
	v_lshlrev_b64 v[10:11], v10, v[1:2]
	v_and_b32_e32 v1, 7, v10
; %bb.54:                               ;   in Loop: Header=BB337_9 Depth=1
	s_or_b32 exec_lo, exec_lo, s33
	v_lshlrev_b32_e32 v10, 16, v0
	v_lshlrev_b32_e32 v1, 20, v1
	v_lshl_add_u32 v9, v9, 23, 0x3c000000
	v_and_b32_e32 v10, 0x80000000, v10
	v_or3_b32 v87, v1, v10, v9
.LBB337_55:                             ;   in Loop: Header=BB337_9 Depth=1
	s_or_b32 exec_lo, exec_lo, s31
.LBB337_56:                             ;   in Loop: Header=BB337_9 Depth=1
	s_or_b32 exec_lo, exec_lo, s30
.LBB337_57:                             ;   in Loop: Header=BB337_9 Depth=1
	s_or_b32 exec_lo, exec_lo, s3
	v_and_b32_sdwa v1, v0, v78 dst_sel:DWORD dst_unused:UNUSED_PAD src0_sel:WORD_1 src1_sel:DWORD
	v_mov_b32_e32 v88, 0
	v_mov_b32_e32 v89, 0
	s_mov_b32 s3, exec_lo
	v_cmpx_ne_u16_e32 0, v1
	s_cbranch_execz .LBB337_65
; %bb.58:                               ;   in Loop: Header=BB337_9 Depth=1
	v_bfrev_b32_e32 v89, 1
	s_mov_b32 s30, exec_lo
	v_cmpx_ne_u16_e32 0x80, v1
	s_cbranch_execz .LBB337_64
; %bb.59:                               ;   in Loop: Header=BB337_9 Depth=1
	v_bfe_u32 v10, v0, 16, 7
	v_mov_b32_e32 v89, 0x7f800001
	s_mov_b32 s31, exec_lo
	v_cmpx_ne_u32_e32 0x7f, v10
	s_cbranch_execz .LBB337_63
; %bb.60:                               ;   in Loop: Header=BB337_9 Depth=1
	v_and_b32_sdwa v1, v0, v79 dst_sel:DWORD dst_unused:UNUSED_PAD src0_sel:WORD_1 src1_sel:DWORD
	v_lshrrev_b32_e32 v9, 3, v10
	s_mov_b32 s33, exec_lo
	v_cmpx_gt_u32_e32 8, v10
; %bb.61:                               ;   in Loop: Header=BB337_9 Depth=1
	v_ffbh_u32_e32 v9, v1
	v_min_u32_e32 v9, 32, v9
	v_subrev_nc_u32_e32 v10, 28, v9
	v_sub_nc_u32_e32 v9, 29, v9
	v_lshlrev_b64 v[10:11], v10, v[1:2]
	v_and_b32_e32 v1, 7, v10
; %bb.62:                               ;   in Loop: Header=BB337_9 Depth=1
	s_or_b32 exec_lo, exec_lo, s33
	v_lshlrev_b32_sdwa v10, v80, v0 dst_sel:DWORD dst_unused:UNUSED_PAD src0_sel:DWORD src1_sel:WORD_1
	v_lshlrev_b32_e32 v1, 20, v1
	v_lshl_add_u32 v9, v9, 23, 0x3c000000
	v_and_b32_e32 v10, 0x80000000, v10
	v_or3_b32 v89, v1, v10, v9
.LBB337_63:                             ;   in Loop: Header=BB337_9 Depth=1
	s_or_b32 exec_lo, exec_lo, s31
.LBB337_64:                             ;   in Loop: Header=BB337_9 Depth=1
	s_or_b32 exec_lo, exec_lo, s30
.LBB337_65:                             ;   in Loop: Header=BB337_9 Depth=1
	s_or_b32 exec_lo, exec_lo, s3
	s_mov_b32 s3, exec_lo
	v_cmpx_lt_u32_e32 0xffffff, v0
	s_cbranch_execz .LBB337_73
; %bb.66:                               ;   in Loop: Header=BB337_9 Depth=1
	v_cmp_ne_u32_sdwa s2, v0, v76 src0_sel:BYTE_3 src1_sel:DWORD
	v_bfrev_b32_e32 v88, 1
	s_and_saveexec_b32 s30, s2
	s_cbranch_execz .LBB337_72
; %bb.67:                               ;   in Loop: Header=BB337_9 Depth=1
	v_bfe_u32 v10, v0, 24, 7
	v_mov_b32_e32 v88, 0x7f800001
	s_mov_b32 s31, exec_lo
	v_cmpx_ne_u32_e32 0x7f, v10
	s_cbranch_execz .LBB337_71
; %bb.68:                               ;   in Loop: Header=BB337_9 Depth=1
	v_and_b32_sdwa v1, v0, v79 dst_sel:DWORD dst_unused:UNUSED_PAD src0_sel:BYTE_3 src1_sel:DWORD
	v_lshrrev_b32_e32 v9, 3, v10
	s_mov_b32 s33, exec_lo
	v_cmpx_gt_u32_e32 8, v10
; %bb.69:                               ;   in Loop: Header=BB337_9 Depth=1
	v_ffbh_u32_e32 v9, v1
	v_min_u32_e32 v9, 32, v9
	v_subrev_nc_u32_e32 v10, 28, v9
	v_sub_nc_u32_e32 v9, 29, v9
	v_lshlrev_b64 v[10:11], v10, v[1:2]
	v_and_b32_e32 v1, 7, v10
; %bb.70:                               ;   in Loop: Header=BB337_9 Depth=1
	s_or_b32 exec_lo, exec_lo, s33
	v_lshlrev_b32_sdwa v0, v80, v0 dst_sel:DWORD dst_unused:UNUSED_PAD src0_sel:DWORD src1_sel:BYTE_3
	v_lshlrev_b32_e32 v1, 20, v1
	v_lshl_add_u32 v9, v9, 23, 0x3c000000
	v_and_b32_e32 v0, 0x80000000, v0
	v_or3_b32 v88, v1, v0, v9
.LBB337_71:                             ;   in Loop: Header=BB337_9 Depth=1
	s_or_b32 exec_lo, exec_lo, s31
.LBB337_72:                             ;   in Loop: Header=BB337_9 Depth=1
	s_or_b32 exec_lo, exec_lo, s30
.LBB337_73:                             ;   in Loop: Header=BB337_9 Depth=1
	s_or_b32 exec_lo, exec_lo, s3
	global_load_dword v0, v[7:8], off offset:256
	v_mov_b32_e32 v91, 0
	v_mov_b32_e32 v90, 0
	s_waitcnt vmcnt(0)
	v_cmp_ne_u16_sdwa s2, v0, v2 src0_sel:BYTE_0 src1_sel:DWORD
	s_and_saveexec_b32 s3, s2
	s_cbranch_execz .LBB337_81
; %bb.74:                               ;   in Loop: Header=BB337_9 Depth=1
	v_cmp_ne_u16_sdwa s2, v0, v76 src0_sel:BYTE_0 src1_sel:DWORD
	v_bfrev_b32_e32 v90, 1
	s_and_saveexec_b32 s30, s2
	s_cbranch_execz .LBB337_80
; %bb.75:                               ;   in Loop: Header=BB337_9 Depth=1
	v_and_b32_e32 v10, 0x7f, v0
	v_mov_b32_e32 v90, 0x7f800001
	s_mov_b32 s31, exec_lo
	v_cmpx_ne_u32_e32 0x7f, v10
	s_cbranch_execz .LBB337_79
; %bb.76:                               ;   in Loop: Header=BB337_9 Depth=1
	v_and_b32_e32 v1, 7, v0
	v_lshrrev_b32_e32 v9, 3, v10
	s_mov_b32 s33, exec_lo
	v_cmpx_gt_u32_e32 8, v10
; %bb.77:                               ;   in Loop: Header=BB337_9 Depth=1
	v_ffbh_u32_e32 v9, v1
	v_min_u32_e32 v9, 32, v9
	v_subrev_nc_u32_e32 v10, 28, v9
	v_sub_nc_u32_e32 v9, 29, v9
	v_lshlrev_b64 v[10:11], v10, v[1:2]
	v_and_b32_e32 v1, 7, v10
; %bb.78:                               ;   in Loop: Header=BB337_9 Depth=1
	s_or_b32 exec_lo, exec_lo, s33
	v_lshlrev_b32_e32 v10, 24, v0
	v_lshlrev_b32_e32 v1, 20, v1
	v_lshl_add_u32 v9, v9, 23, 0x3c000000
	v_and_b32_e32 v10, 0x80000000, v10
	v_or3_b32 v90, v1, v10, v9
.LBB337_79:                             ;   in Loop: Header=BB337_9 Depth=1
	s_or_b32 exec_lo, exec_lo, s31
.LBB337_80:                             ;   in Loop: Header=BB337_9 Depth=1
	s_or_b32 exec_lo, exec_lo, s30
.LBB337_81:                             ;   in Loop: Header=BB337_9 Depth=1
	s_or_b32 exec_lo, exec_lo, s3
	v_cmp_ne_u16_sdwa s2, v0, v2 src0_sel:BYTE_1 src1_sel:DWORD
	s_and_saveexec_b32 s3, s2
	s_cbranch_execz .LBB337_89
; %bb.82:                               ;   in Loop: Header=BB337_9 Depth=1
	v_cmp_ne_u16_sdwa s2, v0, v76 src0_sel:BYTE_1 src1_sel:DWORD
	v_bfrev_b32_e32 v91, 1
	s_and_saveexec_b32 s30, s2
	s_cbranch_execz .LBB337_88
; %bb.83:                               ;   in Loop: Header=BB337_9 Depth=1
	v_and_b32_sdwa v1, v77, v0 dst_sel:DWORD dst_unused:UNUSED_PAD src0_sel:DWORD src1_sel:BYTE_1
	v_mov_b32_e32 v91, 0x7f800001
	s_mov_b32 s31, exec_lo
	v_and_b32_e32 v10, 0x7f, v1
	v_cmpx_ne_u32_e32 0x7f, v10
	s_cbranch_execz .LBB337_87
; %bb.84:                               ;   in Loop: Header=BB337_9 Depth=1
	v_and_b32_e32 v1, 7, v1
	v_lshrrev_b32_e32 v9, 3, v10
	s_mov_b32 s33, exec_lo
	v_cmpx_gt_u32_e32 8, v10
; %bb.85:                               ;   in Loop: Header=BB337_9 Depth=1
	v_ffbh_u32_e32 v9, v1
	v_min_u32_e32 v9, 32, v9
	v_subrev_nc_u32_e32 v10, 28, v9
	v_sub_nc_u32_e32 v9, 29, v9
	v_lshlrev_b64 v[10:11], v10, v[1:2]
	v_and_b32_e32 v1, 7, v10
; %bb.86:                               ;   in Loop: Header=BB337_9 Depth=1
	s_or_b32 exec_lo, exec_lo, s33
	v_lshlrev_b32_e32 v10, 16, v0
	v_lshlrev_b32_e32 v1, 20, v1
	v_lshl_add_u32 v9, v9, 23, 0x3c000000
	v_and_b32_e32 v10, 0x80000000, v10
	v_or3_b32 v91, v1, v10, v9
.LBB337_87:                             ;   in Loop: Header=BB337_9 Depth=1
	s_or_b32 exec_lo, exec_lo, s31
.LBB337_88:                             ;   in Loop: Header=BB337_9 Depth=1
	s_or_b32 exec_lo, exec_lo, s30
.LBB337_89:                             ;   in Loop: Header=BB337_9 Depth=1
	s_or_b32 exec_lo, exec_lo, s3
	v_and_b32_sdwa v1, v0, v78 dst_sel:DWORD dst_unused:UNUSED_PAD src0_sel:WORD_1 src1_sel:DWORD
	v_mov_b32_e32 v92, 0
	v_mov_b32_e32 v93, 0
	s_mov_b32 s3, exec_lo
	v_cmpx_ne_u16_e32 0, v1
	s_cbranch_execz .LBB337_97
; %bb.90:                               ;   in Loop: Header=BB337_9 Depth=1
	v_bfrev_b32_e32 v93, 1
	s_mov_b32 s30, exec_lo
	v_cmpx_ne_u16_e32 0x80, v1
	s_cbranch_execz .LBB337_96
; %bb.91:                               ;   in Loop: Header=BB337_9 Depth=1
	v_bfe_u32 v10, v0, 16, 7
	v_mov_b32_e32 v93, 0x7f800001
	s_mov_b32 s31, exec_lo
	v_cmpx_ne_u32_e32 0x7f, v10
	s_cbranch_execz .LBB337_95
; %bb.92:                               ;   in Loop: Header=BB337_9 Depth=1
	v_and_b32_sdwa v1, v0, v79 dst_sel:DWORD dst_unused:UNUSED_PAD src0_sel:WORD_1 src1_sel:DWORD
	v_lshrrev_b32_e32 v9, 3, v10
	s_mov_b32 s33, exec_lo
	v_cmpx_gt_u32_e32 8, v10
; %bb.93:                               ;   in Loop: Header=BB337_9 Depth=1
	v_ffbh_u32_e32 v9, v1
	v_min_u32_e32 v9, 32, v9
	v_subrev_nc_u32_e32 v10, 28, v9
	v_sub_nc_u32_e32 v9, 29, v9
	v_lshlrev_b64 v[10:11], v10, v[1:2]
	v_and_b32_e32 v1, 7, v10
; %bb.94:                               ;   in Loop: Header=BB337_9 Depth=1
	s_or_b32 exec_lo, exec_lo, s33
	v_lshlrev_b32_sdwa v10, v80, v0 dst_sel:DWORD dst_unused:UNUSED_PAD src0_sel:DWORD src1_sel:WORD_1
	v_lshlrev_b32_e32 v1, 20, v1
	v_lshl_add_u32 v9, v9, 23, 0x3c000000
	v_and_b32_e32 v10, 0x80000000, v10
	v_or3_b32 v93, v1, v10, v9
.LBB337_95:                             ;   in Loop: Header=BB337_9 Depth=1
	s_or_b32 exec_lo, exec_lo, s31
.LBB337_96:                             ;   in Loop: Header=BB337_9 Depth=1
	s_or_b32 exec_lo, exec_lo, s30
.LBB337_97:                             ;   in Loop: Header=BB337_9 Depth=1
	s_or_b32 exec_lo, exec_lo, s3
	s_mov_b32 s3, exec_lo
	v_cmpx_lt_u32_e32 0xffffff, v0
	s_cbranch_execz .LBB337_105
; %bb.98:                               ;   in Loop: Header=BB337_9 Depth=1
	v_cmp_ne_u32_sdwa s2, v0, v76 src0_sel:BYTE_3 src1_sel:DWORD
	v_bfrev_b32_e32 v92, 1
	s_and_saveexec_b32 s30, s2
	s_cbranch_execz .LBB337_104
; %bb.99:                               ;   in Loop: Header=BB337_9 Depth=1
	v_bfe_u32 v10, v0, 24, 7
	v_mov_b32_e32 v92, 0x7f800001
	s_mov_b32 s31, exec_lo
	v_cmpx_ne_u32_e32 0x7f, v10
	s_cbranch_execz .LBB337_103
; %bb.100:                              ;   in Loop: Header=BB337_9 Depth=1
	v_and_b32_sdwa v1, v0, v79 dst_sel:DWORD dst_unused:UNUSED_PAD src0_sel:BYTE_3 src1_sel:DWORD
	v_lshrrev_b32_e32 v9, 3, v10
	s_mov_b32 s33, exec_lo
	v_cmpx_gt_u32_e32 8, v10
; %bb.101:                              ;   in Loop: Header=BB337_9 Depth=1
	v_ffbh_u32_e32 v9, v1
	v_min_u32_e32 v9, 32, v9
	v_subrev_nc_u32_e32 v10, 28, v9
	v_sub_nc_u32_e32 v9, 29, v9
	v_lshlrev_b64 v[10:11], v10, v[1:2]
	v_and_b32_e32 v1, 7, v10
; %bb.102:                              ;   in Loop: Header=BB337_9 Depth=1
	s_or_b32 exec_lo, exec_lo, s33
	v_lshlrev_b32_sdwa v0, v80, v0 dst_sel:DWORD dst_unused:UNUSED_PAD src0_sel:DWORD src1_sel:BYTE_3
	v_lshlrev_b32_e32 v1, 20, v1
	v_lshl_add_u32 v9, v9, 23, 0x3c000000
	v_and_b32_e32 v0, 0x80000000, v0
	v_or3_b32 v92, v1, v0, v9
.LBB337_103:                            ;   in Loop: Header=BB337_9 Depth=1
	s_or_b32 exec_lo, exec_lo, s31
.LBB337_104:                            ;   in Loop: Header=BB337_9 Depth=1
	s_or_b32 exec_lo, exec_lo, s30
.LBB337_105:                            ;   in Loop: Header=BB337_9 Depth=1
	s_or_b32 exec_lo, exec_lo, s3
	global_load_dword v0, v[7:8], off offset:264
	v_mov_b32_e32 v95, 0
	v_mov_b32_e32 v94, 0
	s_waitcnt vmcnt(0)
	v_cmp_ne_u16_sdwa s2, v0, v2 src0_sel:BYTE_0 src1_sel:DWORD
	s_and_saveexec_b32 s3, s2
	s_cbranch_execz .LBB337_113
; %bb.106:                              ;   in Loop: Header=BB337_9 Depth=1
	v_cmp_ne_u16_sdwa s2, v0, v76 src0_sel:BYTE_0 src1_sel:DWORD
	v_bfrev_b32_e32 v94, 1
	s_and_saveexec_b32 s30, s2
	s_cbranch_execz .LBB337_112
; %bb.107:                              ;   in Loop: Header=BB337_9 Depth=1
	v_and_b32_e32 v10, 0x7f, v0
	v_mov_b32_e32 v94, 0x7f800001
	s_mov_b32 s31, exec_lo
	v_cmpx_ne_u32_e32 0x7f, v10
	s_cbranch_execz .LBB337_111
; %bb.108:                              ;   in Loop: Header=BB337_9 Depth=1
	v_and_b32_e32 v1, 7, v0
	v_lshrrev_b32_e32 v9, 3, v10
	s_mov_b32 s33, exec_lo
	v_cmpx_gt_u32_e32 8, v10
; %bb.109:                              ;   in Loop: Header=BB337_9 Depth=1
	v_ffbh_u32_e32 v9, v1
	v_min_u32_e32 v9, 32, v9
	v_subrev_nc_u32_e32 v10, 28, v9
	v_sub_nc_u32_e32 v9, 29, v9
	v_lshlrev_b64 v[10:11], v10, v[1:2]
	v_and_b32_e32 v1, 7, v10
; %bb.110:                              ;   in Loop: Header=BB337_9 Depth=1
	s_or_b32 exec_lo, exec_lo, s33
	v_lshlrev_b32_e32 v10, 24, v0
	v_lshlrev_b32_e32 v1, 20, v1
	v_lshl_add_u32 v9, v9, 23, 0x3c000000
	v_and_b32_e32 v10, 0x80000000, v10
	v_or3_b32 v94, v1, v10, v9
.LBB337_111:                            ;   in Loop: Header=BB337_9 Depth=1
	s_or_b32 exec_lo, exec_lo, s31
.LBB337_112:                            ;   in Loop: Header=BB337_9 Depth=1
	s_or_b32 exec_lo, exec_lo, s30
.LBB337_113:                            ;   in Loop: Header=BB337_9 Depth=1
	s_or_b32 exec_lo, exec_lo, s3
	v_cmp_ne_u16_sdwa s2, v0, v2 src0_sel:BYTE_1 src1_sel:DWORD
	s_and_saveexec_b32 s3, s2
	s_cbranch_execz .LBB337_121
; %bb.114:                              ;   in Loop: Header=BB337_9 Depth=1
	v_cmp_ne_u16_sdwa s2, v0, v76 src0_sel:BYTE_1 src1_sel:DWORD
	v_bfrev_b32_e32 v95, 1
	s_and_saveexec_b32 s30, s2
	s_cbranch_execz .LBB337_120
; %bb.115:                              ;   in Loop: Header=BB337_9 Depth=1
	v_and_b32_sdwa v1, v77, v0 dst_sel:DWORD dst_unused:UNUSED_PAD src0_sel:DWORD src1_sel:BYTE_1
	v_mov_b32_e32 v95, 0x7f800001
	s_mov_b32 s31, exec_lo
	v_and_b32_e32 v10, 0x7f, v1
	v_cmpx_ne_u32_e32 0x7f, v10
	s_cbranch_execz .LBB337_119
; %bb.116:                              ;   in Loop: Header=BB337_9 Depth=1
	v_and_b32_e32 v1, 7, v1
	v_lshrrev_b32_e32 v9, 3, v10
	s_mov_b32 s33, exec_lo
	v_cmpx_gt_u32_e32 8, v10
; %bb.117:                              ;   in Loop: Header=BB337_9 Depth=1
	v_ffbh_u32_e32 v9, v1
	v_min_u32_e32 v9, 32, v9
	v_subrev_nc_u32_e32 v10, 28, v9
	v_sub_nc_u32_e32 v9, 29, v9
	v_lshlrev_b64 v[10:11], v10, v[1:2]
	v_and_b32_e32 v1, 7, v10
; %bb.118:                              ;   in Loop: Header=BB337_9 Depth=1
	s_or_b32 exec_lo, exec_lo, s33
	v_lshlrev_b32_e32 v10, 16, v0
	v_lshlrev_b32_e32 v1, 20, v1
	v_lshl_add_u32 v9, v9, 23, 0x3c000000
	v_and_b32_e32 v10, 0x80000000, v10
	v_or3_b32 v95, v1, v10, v9
.LBB337_119:                            ;   in Loop: Header=BB337_9 Depth=1
	s_or_b32 exec_lo, exec_lo, s31
.LBB337_120:                            ;   in Loop: Header=BB337_9 Depth=1
	s_or_b32 exec_lo, exec_lo, s30
.LBB337_121:                            ;   in Loop: Header=BB337_9 Depth=1
	s_or_b32 exec_lo, exec_lo, s3
	v_and_b32_sdwa v1, v0, v78 dst_sel:DWORD dst_unused:UNUSED_PAD src0_sel:WORD_1 src1_sel:DWORD
	v_mov_b32_e32 v96, 0
	v_mov_b32_e32 v97, 0
	s_mov_b32 s3, exec_lo
	v_cmpx_ne_u16_e32 0, v1
	s_cbranch_execz .LBB337_129
; %bb.122:                              ;   in Loop: Header=BB337_9 Depth=1
	v_bfrev_b32_e32 v97, 1
	s_mov_b32 s30, exec_lo
	v_cmpx_ne_u16_e32 0x80, v1
	s_cbranch_execz .LBB337_128
; %bb.123:                              ;   in Loop: Header=BB337_9 Depth=1
	v_bfe_u32 v10, v0, 16, 7
	v_mov_b32_e32 v97, 0x7f800001
	s_mov_b32 s31, exec_lo
	v_cmpx_ne_u32_e32 0x7f, v10
	s_cbranch_execz .LBB337_127
; %bb.124:                              ;   in Loop: Header=BB337_9 Depth=1
	v_and_b32_sdwa v1, v0, v79 dst_sel:DWORD dst_unused:UNUSED_PAD src0_sel:WORD_1 src1_sel:DWORD
	v_lshrrev_b32_e32 v9, 3, v10
	s_mov_b32 s33, exec_lo
	v_cmpx_gt_u32_e32 8, v10
; %bb.125:                              ;   in Loop: Header=BB337_9 Depth=1
	v_ffbh_u32_e32 v9, v1
	v_min_u32_e32 v9, 32, v9
	v_subrev_nc_u32_e32 v10, 28, v9
	v_sub_nc_u32_e32 v9, 29, v9
	v_lshlrev_b64 v[10:11], v10, v[1:2]
	v_and_b32_e32 v1, 7, v10
; %bb.126:                              ;   in Loop: Header=BB337_9 Depth=1
	s_or_b32 exec_lo, exec_lo, s33
	v_lshlrev_b32_sdwa v10, v80, v0 dst_sel:DWORD dst_unused:UNUSED_PAD src0_sel:DWORD src1_sel:WORD_1
	v_lshlrev_b32_e32 v1, 20, v1
	v_lshl_add_u32 v9, v9, 23, 0x3c000000
	v_and_b32_e32 v10, 0x80000000, v10
	v_or3_b32 v97, v1, v10, v9
.LBB337_127:                            ;   in Loop: Header=BB337_9 Depth=1
	s_or_b32 exec_lo, exec_lo, s31
.LBB337_128:                            ;   in Loop: Header=BB337_9 Depth=1
	s_or_b32 exec_lo, exec_lo, s30
.LBB337_129:                            ;   in Loop: Header=BB337_9 Depth=1
	s_or_b32 exec_lo, exec_lo, s3
	s_mov_b32 s3, exec_lo
	v_cmpx_lt_u32_e32 0xffffff, v0
	s_cbranch_execz .LBB337_137
; %bb.130:                              ;   in Loop: Header=BB337_9 Depth=1
	v_cmp_ne_u32_sdwa s2, v0, v76 src0_sel:BYTE_3 src1_sel:DWORD
	v_bfrev_b32_e32 v96, 1
	s_and_saveexec_b32 s30, s2
	s_cbranch_execz .LBB337_136
; %bb.131:                              ;   in Loop: Header=BB337_9 Depth=1
	v_bfe_u32 v10, v0, 24, 7
	v_mov_b32_e32 v96, 0x7f800001
	s_mov_b32 s31, exec_lo
	v_cmpx_ne_u32_e32 0x7f, v10
	s_cbranch_execz .LBB337_135
; %bb.132:                              ;   in Loop: Header=BB337_9 Depth=1
	v_and_b32_sdwa v1, v0, v79 dst_sel:DWORD dst_unused:UNUSED_PAD src0_sel:BYTE_3 src1_sel:DWORD
	v_lshrrev_b32_e32 v9, 3, v10
	s_mov_b32 s33, exec_lo
	v_cmpx_gt_u32_e32 8, v10
; %bb.133:                              ;   in Loop: Header=BB337_9 Depth=1
	v_ffbh_u32_e32 v9, v1
	v_min_u32_e32 v9, 32, v9
	v_subrev_nc_u32_e32 v10, 28, v9
	v_sub_nc_u32_e32 v9, 29, v9
	v_lshlrev_b64 v[10:11], v10, v[1:2]
	v_and_b32_e32 v1, 7, v10
; %bb.134:                              ;   in Loop: Header=BB337_9 Depth=1
	s_or_b32 exec_lo, exec_lo, s33
	v_lshlrev_b32_sdwa v0, v80, v0 dst_sel:DWORD dst_unused:UNUSED_PAD src0_sel:DWORD src1_sel:BYTE_3
	v_lshlrev_b32_e32 v1, 20, v1
	v_lshl_add_u32 v9, v9, 23, 0x3c000000
	v_and_b32_e32 v0, 0x80000000, v0
	v_or3_b32 v96, v1, v0, v9
.LBB337_135:                            ;   in Loop: Header=BB337_9 Depth=1
	s_or_b32 exec_lo, exec_lo, s31
.LBB337_136:                            ;   in Loop: Header=BB337_9 Depth=1
	s_or_b32 exec_lo, exec_lo, s30
.LBB337_137:                            ;   in Loop: Header=BB337_9 Depth=1
	s_or_b32 exec_lo, exec_lo, s3
	global_load_dword v0, v[7:8], off offset:512
	v_mov_b32_e32 v99, 0
	v_mov_b32_e32 v98, 0
	s_waitcnt vmcnt(0)
	v_cmp_ne_u16_sdwa s2, v0, v2 src0_sel:BYTE_0 src1_sel:DWORD
	s_and_saveexec_b32 s3, s2
	s_cbranch_execz .LBB337_145
; %bb.138:                              ;   in Loop: Header=BB337_9 Depth=1
	v_cmp_ne_u16_sdwa s2, v0, v76 src0_sel:BYTE_0 src1_sel:DWORD
	v_bfrev_b32_e32 v98, 1
	s_and_saveexec_b32 s30, s2
	s_cbranch_execz .LBB337_144
; %bb.139:                              ;   in Loop: Header=BB337_9 Depth=1
	v_and_b32_e32 v10, 0x7f, v0
	v_mov_b32_e32 v98, 0x7f800001
	s_mov_b32 s31, exec_lo
	v_cmpx_ne_u32_e32 0x7f, v10
	s_cbranch_execz .LBB337_143
; %bb.140:                              ;   in Loop: Header=BB337_9 Depth=1
	v_and_b32_e32 v1, 7, v0
	v_lshrrev_b32_e32 v9, 3, v10
	s_mov_b32 s33, exec_lo
	v_cmpx_gt_u32_e32 8, v10
; %bb.141:                              ;   in Loop: Header=BB337_9 Depth=1
	v_ffbh_u32_e32 v9, v1
	v_min_u32_e32 v9, 32, v9
	v_subrev_nc_u32_e32 v10, 28, v9
	v_sub_nc_u32_e32 v9, 29, v9
	v_lshlrev_b64 v[10:11], v10, v[1:2]
	v_and_b32_e32 v1, 7, v10
; %bb.142:                              ;   in Loop: Header=BB337_9 Depth=1
	s_or_b32 exec_lo, exec_lo, s33
	v_lshlrev_b32_e32 v10, 24, v0
	v_lshlrev_b32_e32 v1, 20, v1
	v_lshl_add_u32 v9, v9, 23, 0x3c000000
	v_and_b32_e32 v10, 0x80000000, v10
	v_or3_b32 v98, v1, v10, v9
.LBB337_143:                            ;   in Loop: Header=BB337_9 Depth=1
	s_or_b32 exec_lo, exec_lo, s31
.LBB337_144:                            ;   in Loop: Header=BB337_9 Depth=1
	s_or_b32 exec_lo, exec_lo, s30
.LBB337_145:                            ;   in Loop: Header=BB337_9 Depth=1
	s_or_b32 exec_lo, exec_lo, s3
	v_cmp_ne_u16_sdwa s2, v0, v2 src0_sel:BYTE_1 src1_sel:DWORD
	s_and_saveexec_b32 s3, s2
	s_cbranch_execz .LBB337_153
; %bb.146:                              ;   in Loop: Header=BB337_9 Depth=1
	v_cmp_ne_u16_sdwa s2, v0, v76 src0_sel:BYTE_1 src1_sel:DWORD
	v_bfrev_b32_e32 v99, 1
	s_and_saveexec_b32 s30, s2
	s_cbranch_execz .LBB337_152
; %bb.147:                              ;   in Loop: Header=BB337_9 Depth=1
	v_and_b32_sdwa v1, v77, v0 dst_sel:DWORD dst_unused:UNUSED_PAD src0_sel:DWORD src1_sel:BYTE_1
	v_mov_b32_e32 v99, 0x7f800001
	s_mov_b32 s31, exec_lo
	v_and_b32_e32 v10, 0x7f, v1
	v_cmpx_ne_u32_e32 0x7f, v10
	s_cbranch_execz .LBB337_151
; %bb.148:                              ;   in Loop: Header=BB337_9 Depth=1
	v_and_b32_e32 v1, 7, v1
	v_lshrrev_b32_e32 v9, 3, v10
	s_mov_b32 s33, exec_lo
	v_cmpx_gt_u32_e32 8, v10
; %bb.149:                              ;   in Loop: Header=BB337_9 Depth=1
	v_ffbh_u32_e32 v9, v1
	v_min_u32_e32 v9, 32, v9
	v_subrev_nc_u32_e32 v10, 28, v9
	v_sub_nc_u32_e32 v9, 29, v9
	v_lshlrev_b64 v[10:11], v10, v[1:2]
	v_and_b32_e32 v1, 7, v10
; %bb.150:                              ;   in Loop: Header=BB337_9 Depth=1
	s_or_b32 exec_lo, exec_lo, s33
	v_lshlrev_b32_e32 v10, 16, v0
	v_lshlrev_b32_e32 v1, 20, v1
	v_lshl_add_u32 v9, v9, 23, 0x3c000000
	v_and_b32_e32 v10, 0x80000000, v10
	v_or3_b32 v99, v1, v10, v9
.LBB337_151:                            ;   in Loop: Header=BB337_9 Depth=1
	s_or_b32 exec_lo, exec_lo, s31
.LBB337_152:                            ;   in Loop: Header=BB337_9 Depth=1
	s_or_b32 exec_lo, exec_lo, s30
.LBB337_153:                            ;   in Loop: Header=BB337_9 Depth=1
	s_or_b32 exec_lo, exec_lo, s3
	v_and_b32_sdwa v1, v0, v78 dst_sel:DWORD dst_unused:UNUSED_PAD src0_sel:WORD_1 src1_sel:DWORD
	v_mov_b32_e32 v100, 0
	v_mov_b32_e32 v101, 0
	s_mov_b32 s3, exec_lo
	v_cmpx_ne_u16_e32 0, v1
	s_cbranch_execz .LBB337_161
; %bb.154:                              ;   in Loop: Header=BB337_9 Depth=1
	v_bfrev_b32_e32 v101, 1
	s_mov_b32 s30, exec_lo
	v_cmpx_ne_u16_e32 0x80, v1
	s_cbranch_execz .LBB337_160
; %bb.155:                              ;   in Loop: Header=BB337_9 Depth=1
	v_bfe_u32 v10, v0, 16, 7
	v_mov_b32_e32 v101, 0x7f800001
	s_mov_b32 s31, exec_lo
	v_cmpx_ne_u32_e32 0x7f, v10
	s_cbranch_execz .LBB337_159
; %bb.156:                              ;   in Loop: Header=BB337_9 Depth=1
	v_and_b32_sdwa v1, v0, v79 dst_sel:DWORD dst_unused:UNUSED_PAD src0_sel:WORD_1 src1_sel:DWORD
	v_lshrrev_b32_e32 v9, 3, v10
	s_mov_b32 s33, exec_lo
	v_cmpx_gt_u32_e32 8, v10
; %bb.157:                              ;   in Loop: Header=BB337_9 Depth=1
	v_ffbh_u32_e32 v9, v1
	v_min_u32_e32 v9, 32, v9
	v_subrev_nc_u32_e32 v10, 28, v9
	v_sub_nc_u32_e32 v9, 29, v9
	v_lshlrev_b64 v[10:11], v10, v[1:2]
	v_and_b32_e32 v1, 7, v10
; %bb.158:                              ;   in Loop: Header=BB337_9 Depth=1
	s_or_b32 exec_lo, exec_lo, s33
	v_lshlrev_b32_sdwa v10, v80, v0 dst_sel:DWORD dst_unused:UNUSED_PAD src0_sel:DWORD src1_sel:WORD_1
	v_lshlrev_b32_e32 v1, 20, v1
	v_lshl_add_u32 v9, v9, 23, 0x3c000000
	v_and_b32_e32 v10, 0x80000000, v10
	v_or3_b32 v101, v1, v10, v9
.LBB337_159:                            ;   in Loop: Header=BB337_9 Depth=1
	s_or_b32 exec_lo, exec_lo, s31
.LBB337_160:                            ;   in Loop: Header=BB337_9 Depth=1
	s_or_b32 exec_lo, exec_lo, s30
.LBB337_161:                            ;   in Loop: Header=BB337_9 Depth=1
	s_or_b32 exec_lo, exec_lo, s3
	s_mov_b32 s3, exec_lo
	v_cmpx_lt_u32_e32 0xffffff, v0
	s_cbranch_execz .LBB337_169
; %bb.162:                              ;   in Loop: Header=BB337_9 Depth=1
	v_cmp_ne_u32_sdwa s2, v0, v76 src0_sel:BYTE_3 src1_sel:DWORD
	v_bfrev_b32_e32 v100, 1
	s_and_saveexec_b32 s30, s2
	s_cbranch_execz .LBB337_168
; %bb.163:                              ;   in Loop: Header=BB337_9 Depth=1
	v_bfe_u32 v10, v0, 24, 7
	v_mov_b32_e32 v100, 0x7f800001
	s_mov_b32 s31, exec_lo
	v_cmpx_ne_u32_e32 0x7f, v10
	s_cbranch_execz .LBB337_167
; %bb.164:                              ;   in Loop: Header=BB337_9 Depth=1
	v_and_b32_sdwa v1, v0, v79 dst_sel:DWORD dst_unused:UNUSED_PAD src0_sel:BYTE_3 src1_sel:DWORD
	v_lshrrev_b32_e32 v9, 3, v10
	s_mov_b32 s33, exec_lo
	v_cmpx_gt_u32_e32 8, v10
; %bb.165:                              ;   in Loop: Header=BB337_9 Depth=1
	v_ffbh_u32_e32 v9, v1
	v_min_u32_e32 v9, 32, v9
	v_subrev_nc_u32_e32 v10, 28, v9
	v_sub_nc_u32_e32 v9, 29, v9
	v_lshlrev_b64 v[10:11], v10, v[1:2]
	v_and_b32_e32 v1, 7, v10
; %bb.166:                              ;   in Loop: Header=BB337_9 Depth=1
	s_or_b32 exec_lo, exec_lo, s33
	v_lshlrev_b32_sdwa v0, v80, v0 dst_sel:DWORD dst_unused:UNUSED_PAD src0_sel:DWORD src1_sel:BYTE_3
	v_lshlrev_b32_e32 v1, 20, v1
	v_lshl_add_u32 v9, v9, 23, 0x3c000000
	v_and_b32_e32 v0, 0x80000000, v0
	v_or3_b32 v100, v1, v0, v9
.LBB337_167:                            ;   in Loop: Header=BB337_9 Depth=1
	s_or_b32 exec_lo, exec_lo, s31
.LBB337_168:                            ;   in Loop: Header=BB337_9 Depth=1
	s_or_b32 exec_lo, exec_lo, s30
.LBB337_169:                            ;   in Loop: Header=BB337_9 Depth=1
	s_or_b32 exec_lo, exec_lo, s3
	global_load_dword v0, v[7:8], off offset:520
	v_mov_b32_e32 v103, 0
	v_mov_b32_e32 v102, 0
	s_waitcnt vmcnt(0)
	v_cmp_ne_u16_sdwa s2, v0, v2 src0_sel:BYTE_0 src1_sel:DWORD
	s_and_saveexec_b32 s3, s2
	s_cbranch_execz .LBB337_177
; %bb.170:                              ;   in Loop: Header=BB337_9 Depth=1
	v_cmp_ne_u16_sdwa s2, v0, v76 src0_sel:BYTE_0 src1_sel:DWORD
	v_bfrev_b32_e32 v102, 1
	s_and_saveexec_b32 s30, s2
	s_cbranch_execz .LBB337_176
; %bb.171:                              ;   in Loop: Header=BB337_9 Depth=1
	v_and_b32_e32 v10, 0x7f, v0
	v_mov_b32_e32 v102, 0x7f800001
	s_mov_b32 s31, exec_lo
	v_cmpx_ne_u32_e32 0x7f, v10
	s_cbranch_execz .LBB337_175
; %bb.172:                              ;   in Loop: Header=BB337_9 Depth=1
	v_and_b32_e32 v1, 7, v0
	v_lshrrev_b32_e32 v9, 3, v10
	s_mov_b32 s33, exec_lo
	v_cmpx_gt_u32_e32 8, v10
; %bb.173:                              ;   in Loop: Header=BB337_9 Depth=1
	v_ffbh_u32_e32 v9, v1
	v_min_u32_e32 v9, 32, v9
	v_subrev_nc_u32_e32 v10, 28, v9
	v_sub_nc_u32_e32 v9, 29, v9
	v_lshlrev_b64 v[10:11], v10, v[1:2]
	v_and_b32_e32 v1, 7, v10
; %bb.174:                              ;   in Loop: Header=BB337_9 Depth=1
	s_or_b32 exec_lo, exec_lo, s33
	v_lshlrev_b32_e32 v10, 24, v0
	v_lshlrev_b32_e32 v1, 20, v1
	v_lshl_add_u32 v9, v9, 23, 0x3c000000
	v_and_b32_e32 v10, 0x80000000, v10
	v_or3_b32 v102, v1, v10, v9
.LBB337_175:                            ;   in Loop: Header=BB337_9 Depth=1
	s_or_b32 exec_lo, exec_lo, s31
.LBB337_176:                            ;   in Loop: Header=BB337_9 Depth=1
	s_or_b32 exec_lo, exec_lo, s30
.LBB337_177:                            ;   in Loop: Header=BB337_9 Depth=1
	s_or_b32 exec_lo, exec_lo, s3
	v_cmp_ne_u16_sdwa s2, v0, v2 src0_sel:BYTE_1 src1_sel:DWORD
	s_and_saveexec_b32 s3, s2
	s_cbranch_execz .LBB337_185
; %bb.178:                              ;   in Loop: Header=BB337_9 Depth=1
	v_cmp_ne_u16_sdwa s2, v0, v76 src0_sel:BYTE_1 src1_sel:DWORD
	v_bfrev_b32_e32 v103, 1
	s_and_saveexec_b32 s30, s2
	s_cbranch_execz .LBB337_184
; %bb.179:                              ;   in Loop: Header=BB337_9 Depth=1
	v_and_b32_sdwa v1, v77, v0 dst_sel:DWORD dst_unused:UNUSED_PAD src0_sel:DWORD src1_sel:BYTE_1
	v_mov_b32_e32 v103, 0x7f800001
	s_mov_b32 s31, exec_lo
	v_and_b32_e32 v10, 0x7f, v1
	v_cmpx_ne_u32_e32 0x7f, v10
	s_cbranch_execz .LBB337_183
; %bb.180:                              ;   in Loop: Header=BB337_9 Depth=1
	v_and_b32_e32 v1, 7, v1
	v_lshrrev_b32_e32 v9, 3, v10
	s_mov_b32 s33, exec_lo
	v_cmpx_gt_u32_e32 8, v10
; %bb.181:                              ;   in Loop: Header=BB337_9 Depth=1
	v_ffbh_u32_e32 v9, v1
	v_min_u32_e32 v9, 32, v9
	v_subrev_nc_u32_e32 v10, 28, v9
	v_sub_nc_u32_e32 v9, 29, v9
	v_lshlrev_b64 v[10:11], v10, v[1:2]
	v_and_b32_e32 v1, 7, v10
; %bb.182:                              ;   in Loop: Header=BB337_9 Depth=1
	s_or_b32 exec_lo, exec_lo, s33
	v_lshlrev_b32_e32 v10, 16, v0
	v_lshlrev_b32_e32 v1, 20, v1
	v_lshl_add_u32 v9, v9, 23, 0x3c000000
	v_and_b32_e32 v10, 0x80000000, v10
	v_or3_b32 v103, v1, v10, v9
.LBB337_183:                            ;   in Loop: Header=BB337_9 Depth=1
	s_or_b32 exec_lo, exec_lo, s31
.LBB337_184:                            ;   in Loop: Header=BB337_9 Depth=1
	s_or_b32 exec_lo, exec_lo, s30
.LBB337_185:                            ;   in Loop: Header=BB337_9 Depth=1
	s_or_b32 exec_lo, exec_lo, s3
	v_and_b32_sdwa v1, v0, v78 dst_sel:DWORD dst_unused:UNUSED_PAD src0_sel:WORD_1 src1_sel:DWORD
	v_mov_b32_e32 v104, 0
	v_mov_b32_e32 v105, 0
	s_mov_b32 s3, exec_lo
	v_cmpx_ne_u16_e32 0, v1
	s_cbranch_execz .LBB337_193
; %bb.186:                              ;   in Loop: Header=BB337_9 Depth=1
	v_bfrev_b32_e32 v105, 1
	s_mov_b32 s30, exec_lo
	v_cmpx_ne_u16_e32 0x80, v1
	s_cbranch_execz .LBB337_192
; %bb.187:                              ;   in Loop: Header=BB337_9 Depth=1
	v_bfe_u32 v10, v0, 16, 7
	v_mov_b32_e32 v105, 0x7f800001
	s_mov_b32 s31, exec_lo
	v_cmpx_ne_u32_e32 0x7f, v10
	s_cbranch_execz .LBB337_191
; %bb.188:                              ;   in Loop: Header=BB337_9 Depth=1
	v_and_b32_sdwa v1, v0, v79 dst_sel:DWORD dst_unused:UNUSED_PAD src0_sel:WORD_1 src1_sel:DWORD
	v_lshrrev_b32_e32 v9, 3, v10
	s_mov_b32 s33, exec_lo
	v_cmpx_gt_u32_e32 8, v10
; %bb.189:                              ;   in Loop: Header=BB337_9 Depth=1
	v_ffbh_u32_e32 v9, v1
	v_min_u32_e32 v9, 32, v9
	v_subrev_nc_u32_e32 v10, 28, v9
	v_sub_nc_u32_e32 v9, 29, v9
	v_lshlrev_b64 v[10:11], v10, v[1:2]
	v_and_b32_e32 v1, 7, v10
; %bb.190:                              ;   in Loop: Header=BB337_9 Depth=1
	s_or_b32 exec_lo, exec_lo, s33
	v_lshlrev_b32_sdwa v10, v80, v0 dst_sel:DWORD dst_unused:UNUSED_PAD src0_sel:DWORD src1_sel:WORD_1
	v_lshlrev_b32_e32 v1, 20, v1
	v_lshl_add_u32 v9, v9, 23, 0x3c000000
	v_and_b32_e32 v10, 0x80000000, v10
	v_or3_b32 v105, v1, v10, v9
.LBB337_191:                            ;   in Loop: Header=BB337_9 Depth=1
	s_or_b32 exec_lo, exec_lo, s31
.LBB337_192:                            ;   in Loop: Header=BB337_9 Depth=1
	s_or_b32 exec_lo, exec_lo, s30
.LBB337_193:                            ;   in Loop: Header=BB337_9 Depth=1
	s_or_b32 exec_lo, exec_lo, s3
	s_mov_b32 s3, exec_lo
	v_cmpx_lt_u32_e32 0xffffff, v0
	s_cbranch_execz .LBB337_201
; %bb.194:                              ;   in Loop: Header=BB337_9 Depth=1
	v_cmp_ne_u32_sdwa s2, v0, v76 src0_sel:BYTE_3 src1_sel:DWORD
	v_bfrev_b32_e32 v104, 1
	s_and_saveexec_b32 s30, s2
	s_cbranch_execz .LBB337_200
; %bb.195:                              ;   in Loop: Header=BB337_9 Depth=1
	v_bfe_u32 v10, v0, 24, 7
	v_mov_b32_e32 v104, 0x7f800001
	s_mov_b32 s31, exec_lo
	v_cmpx_ne_u32_e32 0x7f, v10
	s_cbranch_execz .LBB337_199
; %bb.196:                              ;   in Loop: Header=BB337_9 Depth=1
	v_and_b32_sdwa v1, v0, v79 dst_sel:DWORD dst_unused:UNUSED_PAD src0_sel:BYTE_3 src1_sel:DWORD
	v_lshrrev_b32_e32 v9, 3, v10
	s_mov_b32 s33, exec_lo
	v_cmpx_gt_u32_e32 8, v10
; %bb.197:                              ;   in Loop: Header=BB337_9 Depth=1
	v_ffbh_u32_e32 v9, v1
	v_min_u32_e32 v9, 32, v9
	v_subrev_nc_u32_e32 v10, 28, v9
	v_sub_nc_u32_e32 v9, 29, v9
	v_lshlrev_b64 v[10:11], v10, v[1:2]
	v_and_b32_e32 v1, 7, v10
; %bb.198:                              ;   in Loop: Header=BB337_9 Depth=1
	s_or_b32 exec_lo, exec_lo, s33
	v_lshlrev_b32_sdwa v0, v80, v0 dst_sel:DWORD dst_unused:UNUSED_PAD src0_sel:DWORD src1_sel:BYTE_3
	v_lshlrev_b32_e32 v1, 20, v1
	v_lshl_add_u32 v9, v9, 23, 0x3c000000
	v_and_b32_e32 v0, 0x80000000, v0
	v_or3_b32 v104, v1, v0, v9
.LBB337_199:                            ;   in Loop: Header=BB337_9 Depth=1
	s_or_b32 exec_lo, exec_lo, s31
.LBB337_200:                            ;   in Loop: Header=BB337_9 Depth=1
	s_or_b32 exec_lo, exec_lo, s30
.LBB337_201:                            ;   in Loop: Header=BB337_9 Depth=1
	s_or_b32 exec_lo, exec_lo, s3
	global_load_dword v0, v[7:8], off offset:768
	v_mov_b32_e32 v107, 0
	v_mov_b32_e32 v106, 0
	s_waitcnt vmcnt(0)
	v_cmp_ne_u16_sdwa s2, v0, v2 src0_sel:BYTE_0 src1_sel:DWORD
	s_and_saveexec_b32 s3, s2
	s_cbranch_execz .LBB337_209
; %bb.202:                              ;   in Loop: Header=BB337_9 Depth=1
	v_cmp_ne_u16_sdwa s2, v0, v76 src0_sel:BYTE_0 src1_sel:DWORD
	v_bfrev_b32_e32 v106, 1
	s_and_saveexec_b32 s30, s2
	s_cbranch_execz .LBB337_208
; %bb.203:                              ;   in Loop: Header=BB337_9 Depth=1
	v_and_b32_e32 v10, 0x7f, v0
	v_mov_b32_e32 v106, 0x7f800001
	s_mov_b32 s31, exec_lo
	v_cmpx_ne_u32_e32 0x7f, v10
	s_cbranch_execz .LBB337_207
; %bb.204:                              ;   in Loop: Header=BB337_9 Depth=1
	v_and_b32_e32 v1, 7, v0
	v_lshrrev_b32_e32 v9, 3, v10
	s_mov_b32 s33, exec_lo
	v_cmpx_gt_u32_e32 8, v10
; %bb.205:                              ;   in Loop: Header=BB337_9 Depth=1
	v_ffbh_u32_e32 v9, v1
	v_min_u32_e32 v9, 32, v9
	v_subrev_nc_u32_e32 v10, 28, v9
	v_sub_nc_u32_e32 v9, 29, v9
	v_lshlrev_b64 v[10:11], v10, v[1:2]
	v_and_b32_e32 v1, 7, v10
; %bb.206:                              ;   in Loop: Header=BB337_9 Depth=1
	s_or_b32 exec_lo, exec_lo, s33
	v_lshlrev_b32_e32 v10, 24, v0
	v_lshlrev_b32_e32 v1, 20, v1
	v_lshl_add_u32 v9, v9, 23, 0x3c000000
	v_and_b32_e32 v10, 0x80000000, v10
	v_or3_b32 v106, v1, v10, v9
.LBB337_207:                            ;   in Loop: Header=BB337_9 Depth=1
	s_or_b32 exec_lo, exec_lo, s31
.LBB337_208:                            ;   in Loop: Header=BB337_9 Depth=1
	s_or_b32 exec_lo, exec_lo, s30
.LBB337_209:                            ;   in Loop: Header=BB337_9 Depth=1
	s_or_b32 exec_lo, exec_lo, s3
	v_cmp_ne_u16_sdwa s2, v0, v2 src0_sel:BYTE_1 src1_sel:DWORD
	s_and_saveexec_b32 s3, s2
	s_cbranch_execz .LBB337_217
; %bb.210:                              ;   in Loop: Header=BB337_9 Depth=1
	v_cmp_ne_u16_sdwa s2, v0, v76 src0_sel:BYTE_1 src1_sel:DWORD
	v_bfrev_b32_e32 v107, 1
	s_and_saveexec_b32 s30, s2
	s_cbranch_execz .LBB337_216
; %bb.211:                              ;   in Loop: Header=BB337_9 Depth=1
	v_and_b32_sdwa v1, v77, v0 dst_sel:DWORD dst_unused:UNUSED_PAD src0_sel:DWORD src1_sel:BYTE_1
	v_mov_b32_e32 v107, 0x7f800001
	s_mov_b32 s31, exec_lo
	v_and_b32_e32 v10, 0x7f, v1
	v_cmpx_ne_u32_e32 0x7f, v10
	s_cbranch_execz .LBB337_215
; %bb.212:                              ;   in Loop: Header=BB337_9 Depth=1
	v_and_b32_e32 v1, 7, v1
	v_lshrrev_b32_e32 v9, 3, v10
	s_mov_b32 s33, exec_lo
	v_cmpx_gt_u32_e32 8, v10
; %bb.213:                              ;   in Loop: Header=BB337_9 Depth=1
	v_ffbh_u32_e32 v9, v1
	v_min_u32_e32 v9, 32, v9
	v_subrev_nc_u32_e32 v10, 28, v9
	v_sub_nc_u32_e32 v9, 29, v9
	v_lshlrev_b64 v[10:11], v10, v[1:2]
	v_and_b32_e32 v1, 7, v10
; %bb.214:                              ;   in Loop: Header=BB337_9 Depth=1
	s_or_b32 exec_lo, exec_lo, s33
	v_lshlrev_b32_e32 v10, 16, v0
	v_lshlrev_b32_e32 v1, 20, v1
	v_lshl_add_u32 v9, v9, 23, 0x3c000000
	v_and_b32_e32 v10, 0x80000000, v10
	v_or3_b32 v107, v1, v10, v9
.LBB337_215:                            ;   in Loop: Header=BB337_9 Depth=1
	s_or_b32 exec_lo, exec_lo, s31
.LBB337_216:                            ;   in Loop: Header=BB337_9 Depth=1
	s_or_b32 exec_lo, exec_lo, s30
.LBB337_217:                            ;   in Loop: Header=BB337_9 Depth=1
	s_or_b32 exec_lo, exec_lo, s3
	v_and_b32_sdwa v1, v0, v78 dst_sel:DWORD dst_unused:UNUSED_PAD src0_sel:WORD_1 src1_sel:DWORD
	v_mov_b32_e32 v108, 0
	v_mov_b32_e32 v109, 0
	s_mov_b32 s3, exec_lo
	v_cmpx_ne_u16_e32 0, v1
	s_cbranch_execz .LBB337_225
; %bb.218:                              ;   in Loop: Header=BB337_9 Depth=1
	v_bfrev_b32_e32 v109, 1
	s_mov_b32 s30, exec_lo
	v_cmpx_ne_u16_e32 0x80, v1
	s_cbranch_execz .LBB337_224
; %bb.219:                              ;   in Loop: Header=BB337_9 Depth=1
	v_bfe_u32 v10, v0, 16, 7
	v_mov_b32_e32 v109, 0x7f800001
	s_mov_b32 s31, exec_lo
	v_cmpx_ne_u32_e32 0x7f, v10
	s_cbranch_execz .LBB337_223
; %bb.220:                              ;   in Loop: Header=BB337_9 Depth=1
	v_and_b32_sdwa v1, v0, v79 dst_sel:DWORD dst_unused:UNUSED_PAD src0_sel:WORD_1 src1_sel:DWORD
	v_lshrrev_b32_e32 v9, 3, v10
	s_mov_b32 s33, exec_lo
	v_cmpx_gt_u32_e32 8, v10
; %bb.221:                              ;   in Loop: Header=BB337_9 Depth=1
	v_ffbh_u32_e32 v9, v1
	v_min_u32_e32 v9, 32, v9
	v_subrev_nc_u32_e32 v10, 28, v9
	v_sub_nc_u32_e32 v9, 29, v9
	v_lshlrev_b64 v[10:11], v10, v[1:2]
	v_and_b32_e32 v1, 7, v10
; %bb.222:                              ;   in Loop: Header=BB337_9 Depth=1
	s_or_b32 exec_lo, exec_lo, s33
	v_lshlrev_b32_sdwa v10, v80, v0 dst_sel:DWORD dst_unused:UNUSED_PAD src0_sel:DWORD src1_sel:WORD_1
	v_lshlrev_b32_e32 v1, 20, v1
	v_lshl_add_u32 v9, v9, 23, 0x3c000000
	v_and_b32_e32 v10, 0x80000000, v10
	v_or3_b32 v109, v1, v10, v9
.LBB337_223:                            ;   in Loop: Header=BB337_9 Depth=1
	s_or_b32 exec_lo, exec_lo, s31
.LBB337_224:                            ;   in Loop: Header=BB337_9 Depth=1
	s_or_b32 exec_lo, exec_lo, s30
.LBB337_225:                            ;   in Loop: Header=BB337_9 Depth=1
	s_or_b32 exec_lo, exec_lo, s3
	s_mov_b32 s3, exec_lo
	v_cmpx_lt_u32_e32 0xffffff, v0
	s_cbranch_execz .LBB337_233
; %bb.226:                              ;   in Loop: Header=BB337_9 Depth=1
	v_cmp_ne_u32_sdwa s2, v0, v76 src0_sel:BYTE_3 src1_sel:DWORD
	v_bfrev_b32_e32 v108, 1
	s_and_saveexec_b32 s30, s2
	s_cbranch_execz .LBB337_232
; %bb.227:                              ;   in Loop: Header=BB337_9 Depth=1
	v_bfe_u32 v10, v0, 24, 7
	v_mov_b32_e32 v108, 0x7f800001
	s_mov_b32 s31, exec_lo
	v_cmpx_ne_u32_e32 0x7f, v10
	s_cbranch_execz .LBB337_231
; %bb.228:                              ;   in Loop: Header=BB337_9 Depth=1
	v_and_b32_sdwa v1, v0, v79 dst_sel:DWORD dst_unused:UNUSED_PAD src0_sel:BYTE_3 src1_sel:DWORD
	v_lshrrev_b32_e32 v9, 3, v10
	s_mov_b32 s33, exec_lo
	v_cmpx_gt_u32_e32 8, v10
; %bb.229:                              ;   in Loop: Header=BB337_9 Depth=1
	v_ffbh_u32_e32 v9, v1
	v_min_u32_e32 v9, 32, v9
	v_subrev_nc_u32_e32 v10, 28, v9
	v_sub_nc_u32_e32 v9, 29, v9
	v_lshlrev_b64 v[10:11], v10, v[1:2]
	v_and_b32_e32 v1, 7, v10
; %bb.230:                              ;   in Loop: Header=BB337_9 Depth=1
	s_or_b32 exec_lo, exec_lo, s33
	v_lshlrev_b32_sdwa v0, v80, v0 dst_sel:DWORD dst_unused:UNUSED_PAD src0_sel:DWORD src1_sel:BYTE_3
	v_lshlrev_b32_e32 v1, 20, v1
	v_lshl_add_u32 v9, v9, 23, 0x3c000000
	v_and_b32_e32 v0, 0x80000000, v0
	v_or3_b32 v108, v1, v0, v9
.LBB337_231:                            ;   in Loop: Header=BB337_9 Depth=1
	s_or_b32 exec_lo, exec_lo, s31
.LBB337_232:                            ;   in Loop: Header=BB337_9 Depth=1
	s_or_b32 exec_lo, exec_lo, s30
.LBB337_233:                            ;   in Loop: Header=BB337_9 Depth=1
	s_or_b32 exec_lo, exec_lo, s3
	global_load_dword v0, v[7:8], off offset:776
	v_mov_b32_e32 v111, 0
	v_mov_b32_e32 v110, 0
	s_waitcnt vmcnt(0)
	v_cmp_ne_u16_sdwa s2, v0, v2 src0_sel:BYTE_0 src1_sel:DWORD
	s_and_saveexec_b32 s3, s2
	s_cbranch_execz .LBB337_241
; %bb.234:                              ;   in Loop: Header=BB337_9 Depth=1
	v_cmp_ne_u16_sdwa s2, v0, v76 src0_sel:BYTE_0 src1_sel:DWORD
	v_bfrev_b32_e32 v110, 1
	s_and_saveexec_b32 s30, s2
	s_cbranch_execz .LBB337_240
; %bb.235:                              ;   in Loop: Header=BB337_9 Depth=1
	v_and_b32_e32 v10, 0x7f, v0
	v_mov_b32_e32 v110, 0x7f800001
	s_mov_b32 s31, exec_lo
	v_cmpx_ne_u32_e32 0x7f, v10
	s_cbranch_execz .LBB337_239
; %bb.236:                              ;   in Loop: Header=BB337_9 Depth=1
	v_and_b32_e32 v1, 7, v0
	v_lshrrev_b32_e32 v9, 3, v10
	s_mov_b32 s33, exec_lo
	v_cmpx_gt_u32_e32 8, v10
; %bb.237:                              ;   in Loop: Header=BB337_9 Depth=1
	v_ffbh_u32_e32 v9, v1
	v_min_u32_e32 v9, 32, v9
	v_subrev_nc_u32_e32 v10, 28, v9
	v_sub_nc_u32_e32 v9, 29, v9
	v_lshlrev_b64 v[10:11], v10, v[1:2]
	v_and_b32_e32 v1, 7, v10
; %bb.238:                              ;   in Loop: Header=BB337_9 Depth=1
	s_or_b32 exec_lo, exec_lo, s33
	v_lshlrev_b32_e32 v10, 24, v0
	v_lshlrev_b32_e32 v1, 20, v1
	v_lshl_add_u32 v9, v9, 23, 0x3c000000
	v_and_b32_e32 v10, 0x80000000, v10
	v_or3_b32 v110, v1, v10, v9
.LBB337_239:                            ;   in Loop: Header=BB337_9 Depth=1
	s_or_b32 exec_lo, exec_lo, s31
.LBB337_240:                            ;   in Loop: Header=BB337_9 Depth=1
	s_or_b32 exec_lo, exec_lo, s30
.LBB337_241:                            ;   in Loop: Header=BB337_9 Depth=1
	s_or_b32 exec_lo, exec_lo, s3
	v_cmp_ne_u16_sdwa s2, v0, v2 src0_sel:BYTE_1 src1_sel:DWORD
	s_and_saveexec_b32 s3, s2
	s_cbranch_execz .LBB337_249
; %bb.242:                              ;   in Loop: Header=BB337_9 Depth=1
	v_cmp_ne_u16_sdwa s2, v0, v76 src0_sel:BYTE_1 src1_sel:DWORD
	v_bfrev_b32_e32 v111, 1
	s_and_saveexec_b32 s30, s2
	s_cbranch_execz .LBB337_248
; %bb.243:                              ;   in Loop: Header=BB337_9 Depth=1
	v_and_b32_sdwa v1, v77, v0 dst_sel:DWORD dst_unused:UNUSED_PAD src0_sel:DWORD src1_sel:BYTE_1
	v_mov_b32_e32 v111, 0x7f800001
	s_mov_b32 s31, exec_lo
	v_and_b32_e32 v10, 0x7f, v1
	v_cmpx_ne_u32_e32 0x7f, v10
	s_cbranch_execz .LBB337_247
; %bb.244:                              ;   in Loop: Header=BB337_9 Depth=1
	v_and_b32_e32 v1, 7, v1
	v_lshrrev_b32_e32 v9, 3, v10
	s_mov_b32 s33, exec_lo
	v_cmpx_gt_u32_e32 8, v10
; %bb.245:                              ;   in Loop: Header=BB337_9 Depth=1
	v_ffbh_u32_e32 v9, v1
	v_min_u32_e32 v9, 32, v9
	v_subrev_nc_u32_e32 v10, 28, v9
	v_sub_nc_u32_e32 v9, 29, v9
	v_lshlrev_b64 v[10:11], v10, v[1:2]
	v_and_b32_e32 v1, 7, v10
; %bb.246:                              ;   in Loop: Header=BB337_9 Depth=1
	s_or_b32 exec_lo, exec_lo, s33
	v_lshlrev_b32_e32 v10, 16, v0
	v_lshlrev_b32_e32 v1, 20, v1
	v_lshl_add_u32 v9, v9, 23, 0x3c000000
	v_and_b32_e32 v10, 0x80000000, v10
	v_or3_b32 v111, v1, v10, v9
.LBB337_247:                            ;   in Loop: Header=BB337_9 Depth=1
	s_or_b32 exec_lo, exec_lo, s31
.LBB337_248:                            ;   in Loop: Header=BB337_9 Depth=1
	s_or_b32 exec_lo, exec_lo, s30
.LBB337_249:                            ;   in Loop: Header=BB337_9 Depth=1
	s_or_b32 exec_lo, exec_lo, s3
	v_and_b32_sdwa v1, v0, v78 dst_sel:DWORD dst_unused:UNUSED_PAD src0_sel:WORD_1 src1_sel:DWORD
	v_mov_b32_e32 v112, 0
	v_mov_b32_e32 v113, 0
	s_mov_b32 s3, exec_lo
	v_cmpx_ne_u16_e32 0, v1
	s_cbranch_execz .LBB337_257
; %bb.250:                              ;   in Loop: Header=BB337_9 Depth=1
	v_bfrev_b32_e32 v113, 1
	s_mov_b32 s30, exec_lo
	v_cmpx_ne_u16_e32 0x80, v1
	s_cbranch_execz .LBB337_256
; %bb.251:                              ;   in Loop: Header=BB337_9 Depth=1
	v_bfe_u32 v10, v0, 16, 7
	v_mov_b32_e32 v113, 0x7f800001
	s_mov_b32 s31, exec_lo
	v_cmpx_ne_u32_e32 0x7f, v10
	s_cbranch_execz .LBB337_255
; %bb.252:                              ;   in Loop: Header=BB337_9 Depth=1
	v_and_b32_sdwa v1, v0, v79 dst_sel:DWORD dst_unused:UNUSED_PAD src0_sel:WORD_1 src1_sel:DWORD
	v_lshrrev_b32_e32 v9, 3, v10
	s_mov_b32 s33, exec_lo
	v_cmpx_gt_u32_e32 8, v10
; %bb.253:                              ;   in Loop: Header=BB337_9 Depth=1
	v_ffbh_u32_e32 v9, v1
	v_min_u32_e32 v9, 32, v9
	v_subrev_nc_u32_e32 v10, 28, v9
	v_sub_nc_u32_e32 v9, 29, v9
	v_lshlrev_b64 v[10:11], v10, v[1:2]
	v_and_b32_e32 v1, 7, v10
; %bb.254:                              ;   in Loop: Header=BB337_9 Depth=1
	s_or_b32 exec_lo, exec_lo, s33
	v_lshlrev_b32_sdwa v10, v80, v0 dst_sel:DWORD dst_unused:UNUSED_PAD src0_sel:DWORD src1_sel:WORD_1
	v_lshlrev_b32_e32 v1, 20, v1
	v_lshl_add_u32 v9, v9, 23, 0x3c000000
	v_and_b32_e32 v10, 0x80000000, v10
	v_or3_b32 v113, v1, v10, v9
.LBB337_255:                            ;   in Loop: Header=BB337_9 Depth=1
	s_or_b32 exec_lo, exec_lo, s31
.LBB337_256:                            ;   in Loop: Header=BB337_9 Depth=1
	s_or_b32 exec_lo, exec_lo, s30
.LBB337_257:                            ;   in Loop: Header=BB337_9 Depth=1
	s_or_b32 exec_lo, exec_lo, s3
	s_mov_b32 s3, exec_lo
	v_cmpx_lt_u32_e32 0xffffff, v0
	s_cbranch_execz .LBB337_265
; %bb.258:                              ;   in Loop: Header=BB337_9 Depth=1
	v_cmp_ne_u32_sdwa s2, v0, v76 src0_sel:BYTE_3 src1_sel:DWORD
	v_bfrev_b32_e32 v112, 1
	s_and_saveexec_b32 s30, s2
	s_cbranch_execz .LBB337_264
; %bb.259:                              ;   in Loop: Header=BB337_9 Depth=1
	v_bfe_u32 v10, v0, 24, 7
	v_mov_b32_e32 v112, 0x7f800001
	s_mov_b32 s31, exec_lo
	v_cmpx_ne_u32_e32 0x7f, v10
	s_cbranch_execz .LBB337_263
; %bb.260:                              ;   in Loop: Header=BB337_9 Depth=1
	v_and_b32_sdwa v1, v0, v79 dst_sel:DWORD dst_unused:UNUSED_PAD src0_sel:BYTE_3 src1_sel:DWORD
	v_lshrrev_b32_e32 v9, 3, v10
	s_mov_b32 s33, exec_lo
	v_cmpx_gt_u32_e32 8, v10
; %bb.261:                              ;   in Loop: Header=BB337_9 Depth=1
	v_ffbh_u32_e32 v9, v1
	v_min_u32_e32 v9, 32, v9
	v_subrev_nc_u32_e32 v10, 28, v9
	v_sub_nc_u32_e32 v9, 29, v9
	v_lshlrev_b64 v[10:11], v10, v[1:2]
	v_and_b32_e32 v1, 7, v10
; %bb.262:                              ;   in Loop: Header=BB337_9 Depth=1
	s_or_b32 exec_lo, exec_lo, s33
	v_lshlrev_b32_sdwa v0, v80, v0 dst_sel:DWORD dst_unused:UNUSED_PAD src0_sel:DWORD src1_sel:BYTE_3
	v_lshlrev_b32_e32 v1, 20, v1
	v_lshl_add_u32 v9, v9, 23, 0x3c000000
	v_and_b32_e32 v0, 0x80000000, v0
	v_or3_b32 v112, v1, v0, v9
.LBB337_263:                            ;   in Loop: Header=BB337_9 Depth=1
	s_or_b32 exec_lo, exec_lo, s31
.LBB337_264:                            ;   in Loop: Header=BB337_9 Depth=1
	s_or_b32 exec_lo, exec_lo, s30
.LBB337_265:                            ;   in Loop: Header=BB337_9 Depth=1
	s_or_b32 exec_lo, exec_lo, s3
	global_load_dword v0, v[7:8], off offset:1024
	v_mov_b32_e32 v115, 0
	v_mov_b32_e32 v114, 0
	s_waitcnt vmcnt(0)
	v_cmp_ne_u16_sdwa s2, v0, v2 src0_sel:BYTE_0 src1_sel:DWORD
	s_and_saveexec_b32 s3, s2
	s_cbranch_execz .LBB337_273
; %bb.266:                              ;   in Loop: Header=BB337_9 Depth=1
	v_cmp_ne_u16_sdwa s2, v0, v76 src0_sel:BYTE_0 src1_sel:DWORD
	v_bfrev_b32_e32 v114, 1
	s_and_saveexec_b32 s30, s2
	s_cbranch_execz .LBB337_272
; %bb.267:                              ;   in Loop: Header=BB337_9 Depth=1
	v_and_b32_e32 v10, 0x7f, v0
	v_mov_b32_e32 v114, 0x7f800001
	s_mov_b32 s31, exec_lo
	v_cmpx_ne_u32_e32 0x7f, v10
	s_cbranch_execz .LBB337_271
; %bb.268:                              ;   in Loop: Header=BB337_9 Depth=1
	v_and_b32_e32 v1, 7, v0
	v_lshrrev_b32_e32 v9, 3, v10
	s_mov_b32 s33, exec_lo
	v_cmpx_gt_u32_e32 8, v10
; %bb.269:                              ;   in Loop: Header=BB337_9 Depth=1
	v_ffbh_u32_e32 v9, v1
	v_min_u32_e32 v9, 32, v9
	v_subrev_nc_u32_e32 v10, 28, v9
	v_sub_nc_u32_e32 v9, 29, v9
	v_lshlrev_b64 v[10:11], v10, v[1:2]
	v_and_b32_e32 v1, 7, v10
; %bb.270:                              ;   in Loop: Header=BB337_9 Depth=1
	s_or_b32 exec_lo, exec_lo, s33
	v_lshlrev_b32_e32 v10, 24, v0
	v_lshlrev_b32_e32 v1, 20, v1
	v_lshl_add_u32 v9, v9, 23, 0x3c000000
	v_and_b32_e32 v10, 0x80000000, v10
	v_or3_b32 v114, v1, v10, v9
.LBB337_271:                            ;   in Loop: Header=BB337_9 Depth=1
	s_or_b32 exec_lo, exec_lo, s31
.LBB337_272:                            ;   in Loop: Header=BB337_9 Depth=1
	s_or_b32 exec_lo, exec_lo, s30
.LBB337_273:                            ;   in Loop: Header=BB337_9 Depth=1
	s_or_b32 exec_lo, exec_lo, s3
	v_cmp_ne_u16_sdwa s2, v0, v2 src0_sel:BYTE_1 src1_sel:DWORD
	s_and_saveexec_b32 s3, s2
	s_cbranch_execz .LBB337_281
; %bb.274:                              ;   in Loop: Header=BB337_9 Depth=1
	v_cmp_ne_u16_sdwa s2, v0, v76 src0_sel:BYTE_1 src1_sel:DWORD
	v_bfrev_b32_e32 v115, 1
	s_and_saveexec_b32 s30, s2
	s_cbranch_execz .LBB337_280
; %bb.275:                              ;   in Loop: Header=BB337_9 Depth=1
	v_and_b32_sdwa v1, v77, v0 dst_sel:DWORD dst_unused:UNUSED_PAD src0_sel:DWORD src1_sel:BYTE_1
	v_mov_b32_e32 v115, 0x7f800001
	s_mov_b32 s31, exec_lo
	v_and_b32_e32 v10, 0x7f, v1
	v_cmpx_ne_u32_e32 0x7f, v10
	s_cbranch_execz .LBB337_279
; %bb.276:                              ;   in Loop: Header=BB337_9 Depth=1
	v_and_b32_e32 v1, 7, v1
	v_lshrrev_b32_e32 v9, 3, v10
	s_mov_b32 s33, exec_lo
	v_cmpx_gt_u32_e32 8, v10
; %bb.277:                              ;   in Loop: Header=BB337_9 Depth=1
	v_ffbh_u32_e32 v9, v1
	v_min_u32_e32 v9, 32, v9
	v_subrev_nc_u32_e32 v10, 28, v9
	v_sub_nc_u32_e32 v9, 29, v9
	v_lshlrev_b64 v[10:11], v10, v[1:2]
	v_and_b32_e32 v1, 7, v10
; %bb.278:                              ;   in Loop: Header=BB337_9 Depth=1
	s_or_b32 exec_lo, exec_lo, s33
	v_lshlrev_b32_e32 v10, 16, v0
	v_lshlrev_b32_e32 v1, 20, v1
	v_lshl_add_u32 v9, v9, 23, 0x3c000000
	v_and_b32_e32 v10, 0x80000000, v10
	v_or3_b32 v115, v1, v10, v9
.LBB337_279:                            ;   in Loop: Header=BB337_9 Depth=1
	s_or_b32 exec_lo, exec_lo, s31
.LBB337_280:                            ;   in Loop: Header=BB337_9 Depth=1
	s_or_b32 exec_lo, exec_lo, s30
.LBB337_281:                            ;   in Loop: Header=BB337_9 Depth=1
	s_or_b32 exec_lo, exec_lo, s3
	v_and_b32_sdwa v1, v0, v78 dst_sel:DWORD dst_unused:UNUSED_PAD src0_sel:WORD_1 src1_sel:DWORD
	v_mov_b32_e32 v116, 0
	v_mov_b32_e32 v117, 0
	s_mov_b32 s3, exec_lo
	v_cmpx_ne_u16_e32 0, v1
	s_cbranch_execz .LBB337_289
; %bb.282:                              ;   in Loop: Header=BB337_9 Depth=1
	v_bfrev_b32_e32 v117, 1
	s_mov_b32 s30, exec_lo
	v_cmpx_ne_u16_e32 0x80, v1
	s_cbranch_execz .LBB337_288
; %bb.283:                              ;   in Loop: Header=BB337_9 Depth=1
	v_bfe_u32 v10, v0, 16, 7
	v_mov_b32_e32 v117, 0x7f800001
	s_mov_b32 s31, exec_lo
	v_cmpx_ne_u32_e32 0x7f, v10
	s_cbranch_execz .LBB337_287
; %bb.284:                              ;   in Loop: Header=BB337_9 Depth=1
	v_and_b32_sdwa v1, v0, v79 dst_sel:DWORD dst_unused:UNUSED_PAD src0_sel:WORD_1 src1_sel:DWORD
	v_lshrrev_b32_e32 v9, 3, v10
	s_mov_b32 s33, exec_lo
	v_cmpx_gt_u32_e32 8, v10
; %bb.285:                              ;   in Loop: Header=BB337_9 Depth=1
	v_ffbh_u32_e32 v9, v1
	v_min_u32_e32 v9, 32, v9
	v_subrev_nc_u32_e32 v10, 28, v9
	v_sub_nc_u32_e32 v9, 29, v9
	v_lshlrev_b64 v[10:11], v10, v[1:2]
	v_and_b32_e32 v1, 7, v10
; %bb.286:                              ;   in Loop: Header=BB337_9 Depth=1
	s_or_b32 exec_lo, exec_lo, s33
	v_lshlrev_b32_sdwa v10, v80, v0 dst_sel:DWORD dst_unused:UNUSED_PAD src0_sel:DWORD src1_sel:WORD_1
	v_lshlrev_b32_e32 v1, 20, v1
	v_lshl_add_u32 v9, v9, 23, 0x3c000000
	v_and_b32_e32 v10, 0x80000000, v10
	v_or3_b32 v117, v1, v10, v9
.LBB337_287:                            ;   in Loop: Header=BB337_9 Depth=1
	s_or_b32 exec_lo, exec_lo, s31
.LBB337_288:                            ;   in Loop: Header=BB337_9 Depth=1
	s_or_b32 exec_lo, exec_lo, s30
.LBB337_289:                            ;   in Loop: Header=BB337_9 Depth=1
	s_or_b32 exec_lo, exec_lo, s3
	s_mov_b32 s3, exec_lo
	v_cmpx_lt_u32_e32 0xffffff, v0
	s_cbranch_execz .LBB337_297
; %bb.290:                              ;   in Loop: Header=BB337_9 Depth=1
	v_cmp_ne_u32_sdwa s2, v0, v76 src0_sel:BYTE_3 src1_sel:DWORD
	v_bfrev_b32_e32 v116, 1
	s_and_saveexec_b32 s30, s2
	s_cbranch_execz .LBB337_296
; %bb.291:                              ;   in Loop: Header=BB337_9 Depth=1
	v_bfe_u32 v10, v0, 24, 7
	v_mov_b32_e32 v116, 0x7f800001
	s_mov_b32 s31, exec_lo
	v_cmpx_ne_u32_e32 0x7f, v10
	s_cbranch_execz .LBB337_295
; %bb.292:                              ;   in Loop: Header=BB337_9 Depth=1
	v_and_b32_sdwa v1, v0, v79 dst_sel:DWORD dst_unused:UNUSED_PAD src0_sel:BYTE_3 src1_sel:DWORD
	v_lshrrev_b32_e32 v9, 3, v10
	s_mov_b32 s33, exec_lo
	v_cmpx_gt_u32_e32 8, v10
; %bb.293:                              ;   in Loop: Header=BB337_9 Depth=1
	v_ffbh_u32_e32 v9, v1
	v_min_u32_e32 v9, 32, v9
	v_subrev_nc_u32_e32 v10, 28, v9
	v_sub_nc_u32_e32 v9, 29, v9
	v_lshlrev_b64 v[10:11], v10, v[1:2]
	v_and_b32_e32 v1, 7, v10
; %bb.294:                              ;   in Loop: Header=BB337_9 Depth=1
	s_or_b32 exec_lo, exec_lo, s33
	v_lshlrev_b32_sdwa v0, v80, v0 dst_sel:DWORD dst_unused:UNUSED_PAD src0_sel:DWORD src1_sel:BYTE_3
	v_lshlrev_b32_e32 v1, 20, v1
	v_lshl_add_u32 v9, v9, 23, 0x3c000000
	v_and_b32_e32 v0, 0x80000000, v0
	v_or3_b32 v116, v1, v0, v9
.LBB337_295:                            ;   in Loop: Header=BB337_9 Depth=1
	s_or_b32 exec_lo, exec_lo, s31
.LBB337_296:                            ;   in Loop: Header=BB337_9 Depth=1
	s_or_b32 exec_lo, exec_lo, s30
.LBB337_297:                            ;   in Loop: Header=BB337_9 Depth=1
	s_or_b32 exec_lo, exec_lo, s3
	global_load_dword v0, v[7:8], off offset:1032
	v_mov_b32_e32 v119, 0
	v_mov_b32_e32 v118, 0
	s_waitcnt vmcnt(0)
	v_cmp_ne_u16_sdwa s2, v0, v2 src0_sel:BYTE_0 src1_sel:DWORD
	s_and_saveexec_b32 s3, s2
	s_cbranch_execz .LBB337_305
; %bb.298:                              ;   in Loop: Header=BB337_9 Depth=1
	v_cmp_ne_u16_sdwa s2, v0, v76 src0_sel:BYTE_0 src1_sel:DWORD
	v_bfrev_b32_e32 v118, 1
	s_and_saveexec_b32 s30, s2
	s_cbranch_execz .LBB337_304
; %bb.299:                              ;   in Loop: Header=BB337_9 Depth=1
	v_and_b32_e32 v10, 0x7f, v0
	v_mov_b32_e32 v118, 0x7f800001
	s_mov_b32 s31, exec_lo
	v_cmpx_ne_u32_e32 0x7f, v10
	s_cbranch_execz .LBB337_303
; %bb.300:                              ;   in Loop: Header=BB337_9 Depth=1
	v_and_b32_e32 v1, 7, v0
	v_lshrrev_b32_e32 v9, 3, v10
	s_mov_b32 s33, exec_lo
	v_cmpx_gt_u32_e32 8, v10
; %bb.301:                              ;   in Loop: Header=BB337_9 Depth=1
	v_ffbh_u32_e32 v9, v1
	v_min_u32_e32 v9, 32, v9
	v_subrev_nc_u32_e32 v10, 28, v9
	v_sub_nc_u32_e32 v9, 29, v9
	v_lshlrev_b64 v[10:11], v10, v[1:2]
	v_and_b32_e32 v1, 7, v10
; %bb.302:                              ;   in Loop: Header=BB337_9 Depth=1
	s_or_b32 exec_lo, exec_lo, s33
	v_lshlrev_b32_e32 v10, 24, v0
	v_lshlrev_b32_e32 v1, 20, v1
	v_lshl_add_u32 v9, v9, 23, 0x3c000000
	v_and_b32_e32 v10, 0x80000000, v10
	v_or3_b32 v118, v1, v10, v9
.LBB337_303:                            ;   in Loop: Header=BB337_9 Depth=1
	s_or_b32 exec_lo, exec_lo, s31
.LBB337_304:                            ;   in Loop: Header=BB337_9 Depth=1
	s_or_b32 exec_lo, exec_lo, s30
.LBB337_305:                            ;   in Loop: Header=BB337_9 Depth=1
	s_or_b32 exec_lo, exec_lo, s3
	v_cmp_ne_u16_sdwa s2, v0, v2 src0_sel:BYTE_1 src1_sel:DWORD
	s_and_saveexec_b32 s3, s2
	s_cbranch_execz .LBB337_313
; %bb.306:                              ;   in Loop: Header=BB337_9 Depth=1
	v_cmp_ne_u16_sdwa s2, v0, v76 src0_sel:BYTE_1 src1_sel:DWORD
	v_bfrev_b32_e32 v119, 1
	s_and_saveexec_b32 s30, s2
	s_cbranch_execz .LBB337_312
; %bb.307:                              ;   in Loop: Header=BB337_9 Depth=1
	v_and_b32_sdwa v1, v77, v0 dst_sel:DWORD dst_unused:UNUSED_PAD src0_sel:DWORD src1_sel:BYTE_1
	v_mov_b32_e32 v119, 0x7f800001
	s_mov_b32 s31, exec_lo
	v_and_b32_e32 v10, 0x7f, v1
	v_cmpx_ne_u32_e32 0x7f, v10
	s_cbranch_execz .LBB337_311
; %bb.308:                              ;   in Loop: Header=BB337_9 Depth=1
	v_and_b32_e32 v1, 7, v1
	v_lshrrev_b32_e32 v9, 3, v10
	s_mov_b32 s33, exec_lo
	v_cmpx_gt_u32_e32 8, v10
; %bb.309:                              ;   in Loop: Header=BB337_9 Depth=1
	v_ffbh_u32_e32 v9, v1
	v_min_u32_e32 v9, 32, v9
	v_subrev_nc_u32_e32 v10, 28, v9
	v_sub_nc_u32_e32 v9, 29, v9
	v_lshlrev_b64 v[10:11], v10, v[1:2]
	v_and_b32_e32 v1, 7, v10
; %bb.310:                              ;   in Loop: Header=BB337_9 Depth=1
	s_or_b32 exec_lo, exec_lo, s33
	v_lshlrev_b32_e32 v10, 16, v0
	v_lshlrev_b32_e32 v1, 20, v1
	v_lshl_add_u32 v9, v9, 23, 0x3c000000
	v_and_b32_e32 v10, 0x80000000, v10
	v_or3_b32 v119, v1, v10, v9
.LBB337_311:                            ;   in Loop: Header=BB337_9 Depth=1
	s_or_b32 exec_lo, exec_lo, s31
.LBB337_312:                            ;   in Loop: Header=BB337_9 Depth=1
	s_or_b32 exec_lo, exec_lo, s30
.LBB337_313:                            ;   in Loop: Header=BB337_9 Depth=1
	s_or_b32 exec_lo, exec_lo, s3
	v_and_b32_sdwa v1, v0, v78 dst_sel:DWORD dst_unused:UNUSED_PAD src0_sel:WORD_1 src1_sel:DWORD
	v_mov_b32_e32 v120, 0
	v_mov_b32_e32 v121, 0
	s_mov_b32 s3, exec_lo
	v_cmpx_ne_u16_e32 0, v1
	s_cbranch_execz .LBB337_321
; %bb.314:                              ;   in Loop: Header=BB337_9 Depth=1
	v_bfrev_b32_e32 v121, 1
	s_mov_b32 s30, exec_lo
	v_cmpx_ne_u16_e32 0x80, v1
	s_cbranch_execz .LBB337_320
; %bb.315:                              ;   in Loop: Header=BB337_9 Depth=1
	v_bfe_u32 v10, v0, 16, 7
	v_mov_b32_e32 v121, 0x7f800001
	s_mov_b32 s31, exec_lo
	v_cmpx_ne_u32_e32 0x7f, v10
	s_cbranch_execz .LBB337_319
; %bb.316:                              ;   in Loop: Header=BB337_9 Depth=1
	v_and_b32_sdwa v1, v0, v79 dst_sel:DWORD dst_unused:UNUSED_PAD src0_sel:WORD_1 src1_sel:DWORD
	v_lshrrev_b32_e32 v9, 3, v10
	s_mov_b32 s33, exec_lo
	v_cmpx_gt_u32_e32 8, v10
; %bb.317:                              ;   in Loop: Header=BB337_9 Depth=1
	v_ffbh_u32_e32 v9, v1
	v_min_u32_e32 v9, 32, v9
	v_subrev_nc_u32_e32 v10, 28, v9
	v_sub_nc_u32_e32 v9, 29, v9
	v_lshlrev_b64 v[10:11], v10, v[1:2]
	v_and_b32_e32 v1, 7, v10
; %bb.318:                              ;   in Loop: Header=BB337_9 Depth=1
	s_or_b32 exec_lo, exec_lo, s33
	v_lshlrev_b32_sdwa v10, v80, v0 dst_sel:DWORD dst_unused:UNUSED_PAD src0_sel:DWORD src1_sel:WORD_1
	v_lshlrev_b32_e32 v1, 20, v1
	v_lshl_add_u32 v9, v9, 23, 0x3c000000
	v_and_b32_e32 v10, 0x80000000, v10
	v_or3_b32 v121, v1, v10, v9
.LBB337_319:                            ;   in Loop: Header=BB337_9 Depth=1
	s_or_b32 exec_lo, exec_lo, s31
.LBB337_320:                            ;   in Loop: Header=BB337_9 Depth=1
	s_or_b32 exec_lo, exec_lo, s30
.LBB337_321:                            ;   in Loop: Header=BB337_9 Depth=1
	s_or_b32 exec_lo, exec_lo, s3
	s_mov_b32 s3, exec_lo
	v_cmpx_lt_u32_e32 0xffffff, v0
	s_cbranch_execz .LBB337_329
; %bb.322:                              ;   in Loop: Header=BB337_9 Depth=1
	v_cmp_ne_u32_sdwa s2, v0, v76 src0_sel:BYTE_3 src1_sel:DWORD
	v_bfrev_b32_e32 v120, 1
	s_and_saveexec_b32 s30, s2
	s_cbranch_execz .LBB337_328
; %bb.323:                              ;   in Loop: Header=BB337_9 Depth=1
	v_bfe_u32 v10, v0, 24, 7
	v_mov_b32_e32 v120, 0x7f800001
	s_mov_b32 s31, exec_lo
	v_cmpx_ne_u32_e32 0x7f, v10
	s_cbranch_execz .LBB337_327
; %bb.324:                              ;   in Loop: Header=BB337_9 Depth=1
	v_and_b32_sdwa v1, v0, v79 dst_sel:DWORD dst_unused:UNUSED_PAD src0_sel:BYTE_3 src1_sel:DWORD
	v_lshrrev_b32_e32 v9, 3, v10
	s_mov_b32 s33, exec_lo
	v_cmpx_gt_u32_e32 8, v10
; %bb.325:                              ;   in Loop: Header=BB337_9 Depth=1
	v_ffbh_u32_e32 v9, v1
	v_min_u32_e32 v9, 32, v9
	v_subrev_nc_u32_e32 v10, 28, v9
	v_sub_nc_u32_e32 v9, 29, v9
	v_lshlrev_b64 v[10:11], v10, v[1:2]
	v_and_b32_e32 v1, 7, v10
; %bb.326:                              ;   in Loop: Header=BB337_9 Depth=1
	s_or_b32 exec_lo, exec_lo, s33
	v_lshlrev_b32_sdwa v0, v80, v0 dst_sel:DWORD dst_unused:UNUSED_PAD src0_sel:DWORD src1_sel:BYTE_3
	v_lshlrev_b32_e32 v1, 20, v1
	v_lshl_add_u32 v9, v9, 23, 0x3c000000
	v_and_b32_e32 v0, 0x80000000, v0
	v_or3_b32 v120, v1, v0, v9
.LBB337_327:                            ;   in Loop: Header=BB337_9 Depth=1
	s_or_b32 exec_lo, exec_lo, s31
.LBB337_328:                            ;   in Loop: Header=BB337_9 Depth=1
	s_or_b32 exec_lo, exec_lo, s30
.LBB337_329:                            ;   in Loop: Header=BB337_9 Depth=1
	s_or_b32 exec_lo, exec_lo, s3
	global_load_dword v0, v[7:8], off offset:1280
	v_mov_b32_e32 v123, 0
	v_mov_b32_e32 v122, 0
	s_waitcnt vmcnt(0)
	v_cmp_ne_u16_sdwa s2, v0, v2 src0_sel:BYTE_0 src1_sel:DWORD
	s_and_saveexec_b32 s3, s2
	s_cbranch_execz .LBB337_337
; %bb.330:                              ;   in Loop: Header=BB337_9 Depth=1
	v_cmp_ne_u16_sdwa s2, v0, v76 src0_sel:BYTE_0 src1_sel:DWORD
	v_bfrev_b32_e32 v122, 1
	s_and_saveexec_b32 s30, s2
	s_cbranch_execz .LBB337_336
; %bb.331:                              ;   in Loop: Header=BB337_9 Depth=1
	v_and_b32_e32 v10, 0x7f, v0
	v_mov_b32_e32 v122, 0x7f800001
	s_mov_b32 s31, exec_lo
	v_cmpx_ne_u32_e32 0x7f, v10
	s_cbranch_execz .LBB337_335
; %bb.332:                              ;   in Loop: Header=BB337_9 Depth=1
	v_and_b32_e32 v1, 7, v0
	v_lshrrev_b32_e32 v9, 3, v10
	s_mov_b32 s33, exec_lo
	v_cmpx_gt_u32_e32 8, v10
; %bb.333:                              ;   in Loop: Header=BB337_9 Depth=1
	v_ffbh_u32_e32 v9, v1
	v_min_u32_e32 v9, 32, v9
	v_subrev_nc_u32_e32 v10, 28, v9
	v_sub_nc_u32_e32 v9, 29, v9
	v_lshlrev_b64 v[10:11], v10, v[1:2]
	v_and_b32_e32 v1, 7, v10
; %bb.334:                              ;   in Loop: Header=BB337_9 Depth=1
	s_or_b32 exec_lo, exec_lo, s33
	v_lshlrev_b32_e32 v10, 24, v0
	v_lshlrev_b32_e32 v1, 20, v1
	v_lshl_add_u32 v9, v9, 23, 0x3c000000
	v_and_b32_e32 v10, 0x80000000, v10
	v_or3_b32 v122, v1, v10, v9
.LBB337_335:                            ;   in Loop: Header=BB337_9 Depth=1
	s_or_b32 exec_lo, exec_lo, s31
.LBB337_336:                            ;   in Loop: Header=BB337_9 Depth=1
	s_or_b32 exec_lo, exec_lo, s30
.LBB337_337:                            ;   in Loop: Header=BB337_9 Depth=1
	s_or_b32 exec_lo, exec_lo, s3
	v_cmp_ne_u16_sdwa s2, v0, v2 src0_sel:BYTE_1 src1_sel:DWORD
	s_and_saveexec_b32 s3, s2
	s_cbranch_execz .LBB337_345
; %bb.338:                              ;   in Loop: Header=BB337_9 Depth=1
	v_cmp_ne_u16_sdwa s2, v0, v76 src0_sel:BYTE_1 src1_sel:DWORD
	v_bfrev_b32_e32 v123, 1
	s_and_saveexec_b32 s30, s2
	s_cbranch_execz .LBB337_344
; %bb.339:                              ;   in Loop: Header=BB337_9 Depth=1
	v_and_b32_sdwa v1, v77, v0 dst_sel:DWORD dst_unused:UNUSED_PAD src0_sel:DWORD src1_sel:BYTE_1
	v_mov_b32_e32 v123, 0x7f800001
	s_mov_b32 s31, exec_lo
	v_and_b32_e32 v10, 0x7f, v1
	v_cmpx_ne_u32_e32 0x7f, v10
	s_cbranch_execz .LBB337_343
; %bb.340:                              ;   in Loop: Header=BB337_9 Depth=1
	v_and_b32_e32 v1, 7, v1
	v_lshrrev_b32_e32 v9, 3, v10
	s_mov_b32 s33, exec_lo
	v_cmpx_gt_u32_e32 8, v10
; %bb.341:                              ;   in Loop: Header=BB337_9 Depth=1
	v_ffbh_u32_e32 v9, v1
	v_min_u32_e32 v9, 32, v9
	v_subrev_nc_u32_e32 v10, 28, v9
	v_sub_nc_u32_e32 v9, 29, v9
	v_lshlrev_b64 v[10:11], v10, v[1:2]
	v_and_b32_e32 v1, 7, v10
; %bb.342:                              ;   in Loop: Header=BB337_9 Depth=1
	s_or_b32 exec_lo, exec_lo, s33
	v_lshlrev_b32_e32 v10, 16, v0
	v_lshlrev_b32_e32 v1, 20, v1
	v_lshl_add_u32 v9, v9, 23, 0x3c000000
	v_and_b32_e32 v10, 0x80000000, v10
	v_or3_b32 v123, v1, v10, v9
.LBB337_343:                            ;   in Loop: Header=BB337_9 Depth=1
	s_or_b32 exec_lo, exec_lo, s31
.LBB337_344:                            ;   in Loop: Header=BB337_9 Depth=1
	s_or_b32 exec_lo, exec_lo, s30
.LBB337_345:                            ;   in Loop: Header=BB337_9 Depth=1
	s_or_b32 exec_lo, exec_lo, s3
	v_and_b32_sdwa v1, v0, v78 dst_sel:DWORD dst_unused:UNUSED_PAD src0_sel:WORD_1 src1_sel:DWORD
	v_mov_b32_e32 v124, 0
	v_mov_b32_e32 v125, 0
	s_mov_b32 s3, exec_lo
	v_cmpx_ne_u16_e32 0, v1
	s_cbranch_execz .LBB337_353
; %bb.346:                              ;   in Loop: Header=BB337_9 Depth=1
	v_bfrev_b32_e32 v125, 1
	s_mov_b32 s30, exec_lo
	v_cmpx_ne_u16_e32 0x80, v1
	s_cbranch_execz .LBB337_352
; %bb.347:                              ;   in Loop: Header=BB337_9 Depth=1
	v_bfe_u32 v10, v0, 16, 7
	v_mov_b32_e32 v125, 0x7f800001
	s_mov_b32 s31, exec_lo
	v_cmpx_ne_u32_e32 0x7f, v10
	s_cbranch_execz .LBB337_351
; %bb.348:                              ;   in Loop: Header=BB337_9 Depth=1
	v_and_b32_sdwa v1, v0, v79 dst_sel:DWORD dst_unused:UNUSED_PAD src0_sel:WORD_1 src1_sel:DWORD
	v_lshrrev_b32_e32 v9, 3, v10
	s_mov_b32 s33, exec_lo
	v_cmpx_gt_u32_e32 8, v10
; %bb.349:                              ;   in Loop: Header=BB337_9 Depth=1
	v_ffbh_u32_e32 v9, v1
	v_min_u32_e32 v9, 32, v9
	v_subrev_nc_u32_e32 v10, 28, v9
	v_sub_nc_u32_e32 v9, 29, v9
	v_lshlrev_b64 v[10:11], v10, v[1:2]
	v_and_b32_e32 v1, 7, v10
; %bb.350:                              ;   in Loop: Header=BB337_9 Depth=1
	s_or_b32 exec_lo, exec_lo, s33
	v_lshlrev_b32_sdwa v10, v80, v0 dst_sel:DWORD dst_unused:UNUSED_PAD src0_sel:DWORD src1_sel:WORD_1
	v_lshlrev_b32_e32 v1, 20, v1
	v_lshl_add_u32 v9, v9, 23, 0x3c000000
	v_and_b32_e32 v10, 0x80000000, v10
	v_or3_b32 v125, v1, v10, v9
.LBB337_351:                            ;   in Loop: Header=BB337_9 Depth=1
	s_or_b32 exec_lo, exec_lo, s31
.LBB337_352:                            ;   in Loop: Header=BB337_9 Depth=1
	s_or_b32 exec_lo, exec_lo, s30
.LBB337_353:                            ;   in Loop: Header=BB337_9 Depth=1
	s_or_b32 exec_lo, exec_lo, s3
	s_mov_b32 s3, exec_lo
	v_cmpx_lt_u32_e32 0xffffff, v0
	s_cbranch_execz .LBB337_361
; %bb.354:                              ;   in Loop: Header=BB337_9 Depth=1
	v_cmp_ne_u32_sdwa s2, v0, v76 src0_sel:BYTE_3 src1_sel:DWORD
	v_bfrev_b32_e32 v124, 1
	s_and_saveexec_b32 s30, s2
	s_cbranch_execz .LBB337_360
; %bb.355:                              ;   in Loop: Header=BB337_9 Depth=1
	v_bfe_u32 v10, v0, 24, 7
	v_mov_b32_e32 v124, 0x7f800001
	s_mov_b32 s31, exec_lo
	v_cmpx_ne_u32_e32 0x7f, v10
	s_cbranch_execz .LBB337_359
; %bb.356:                              ;   in Loop: Header=BB337_9 Depth=1
	v_and_b32_sdwa v1, v0, v79 dst_sel:DWORD dst_unused:UNUSED_PAD src0_sel:BYTE_3 src1_sel:DWORD
	v_lshrrev_b32_e32 v9, 3, v10
	s_mov_b32 s33, exec_lo
	v_cmpx_gt_u32_e32 8, v10
; %bb.357:                              ;   in Loop: Header=BB337_9 Depth=1
	v_ffbh_u32_e32 v9, v1
	v_min_u32_e32 v9, 32, v9
	v_subrev_nc_u32_e32 v10, 28, v9
	v_sub_nc_u32_e32 v9, 29, v9
	v_lshlrev_b64 v[10:11], v10, v[1:2]
	v_and_b32_e32 v1, 7, v10
; %bb.358:                              ;   in Loop: Header=BB337_9 Depth=1
	s_or_b32 exec_lo, exec_lo, s33
	v_lshlrev_b32_sdwa v0, v80, v0 dst_sel:DWORD dst_unused:UNUSED_PAD src0_sel:DWORD src1_sel:BYTE_3
	v_lshlrev_b32_e32 v1, 20, v1
	v_lshl_add_u32 v9, v9, 23, 0x3c000000
	v_and_b32_e32 v0, 0x80000000, v0
	v_or3_b32 v124, v1, v0, v9
.LBB337_359:                            ;   in Loop: Header=BB337_9 Depth=1
	s_or_b32 exec_lo, exec_lo, s31
.LBB337_360:                            ;   in Loop: Header=BB337_9 Depth=1
	s_or_b32 exec_lo, exec_lo, s30
.LBB337_361:                            ;   in Loop: Header=BB337_9 Depth=1
	s_or_b32 exec_lo, exec_lo, s3
	global_load_dword v0, v[7:8], off offset:1288
	v_mov_b32_e32 v9, 0
	v_mov_b32_e32 v23, 0
	s_waitcnt vmcnt(0)
	v_cmp_ne_u16_sdwa s2, v0, v2 src0_sel:BYTE_0 src1_sel:DWORD
	s_and_saveexec_b32 s3, s2
	s_cbranch_execz .LBB337_369
; %bb.362:                              ;   in Loop: Header=BB337_9 Depth=1
	v_cmp_ne_u16_sdwa s2, v0, v76 src0_sel:BYTE_0 src1_sel:DWORD
	v_bfrev_b32_e32 v23, 1
	s_and_saveexec_b32 s30, s2
	s_cbranch_execz .LBB337_368
; %bb.363:                              ;   in Loop: Header=BB337_9 Depth=1
	v_and_b32_e32 v11, 0x7f, v0
	v_mov_b32_e32 v23, 0x7f800001
	s_mov_b32 s31, exec_lo
	v_cmpx_ne_u32_e32 0x7f, v11
	s_cbranch_execz .LBB337_367
; %bb.364:                              ;   in Loop: Header=BB337_9 Depth=1
	v_and_b32_e32 v1, 7, v0
	v_lshrrev_b32_e32 v10, 3, v11
	s_mov_b32 s33, exec_lo
	v_cmpx_gt_u32_e32 8, v11
; %bb.365:                              ;   in Loop: Header=BB337_9 Depth=1
	v_ffbh_u32_e32 v10, v1
	v_min_u32_e32 v10, 32, v10
	v_subrev_nc_u32_e32 v11, 28, v10
	v_sub_nc_u32_e32 v10, 29, v10
	v_lshlrev_b64 v[11:12], v11, v[1:2]
	v_and_b32_e32 v1, 7, v11
; %bb.366:                              ;   in Loop: Header=BB337_9 Depth=1
	s_or_b32 exec_lo, exec_lo, s33
	v_lshlrev_b32_e32 v11, 24, v0
	v_lshlrev_b32_e32 v1, 20, v1
	v_lshl_add_u32 v10, v10, 23, 0x3c000000
	v_and_b32_e32 v11, 0x80000000, v11
	v_or3_b32 v23, v1, v11, v10
.LBB337_367:                            ;   in Loop: Header=BB337_9 Depth=1
	s_or_b32 exec_lo, exec_lo, s31
.LBB337_368:                            ;   in Loop: Header=BB337_9 Depth=1
	s_or_b32 exec_lo, exec_lo, s30
.LBB337_369:                            ;   in Loop: Header=BB337_9 Depth=1
	s_or_b32 exec_lo, exec_lo, s3
	v_cmp_ne_u16_sdwa s2, v0, v2 src0_sel:BYTE_1 src1_sel:DWORD
	s_and_saveexec_b32 s3, s2
	s_cbranch_execz .LBB337_377
; %bb.370:                              ;   in Loop: Header=BB337_9 Depth=1
	v_cmp_ne_u16_sdwa s2, v0, v76 src0_sel:BYTE_1 src1_sel:DWORD
	v_bfrev_b32_e32 v9, 1
	s_and_saveexec_b32 s30, s2
	s_cbranch_execz .LBB337_376
; %bb.371:                              ;   in Loop: Header=BB337_9 Depth=1
	v_and_b32_sdwa v1, v77, v0 dst_sel:DWORD dst_unused:UNUSED_PAD src0_sel:DWORD src1_sel:BYTE_1
	v_mov_b32_e32 v9, 0x7f800001
	s_mov_b32 s31, exec_lo
	v_and_b32_e32 v10, 0x7f, v1
	v_cmpx_ne_u32_e32 0x7f, v10
	s_cbranch_execz .LBB337_375
; %bb.372:                              ;   in Loop: Header=BB337_9 Depth=1
	v_and_b32_e32 v1, 7, v1
	v_lshrrev_b32_e32 v9, 3, v10
	s_mov_b32 s33, exec_lo
	v_cmpx_gt_u32_e32 8, v10
; %bb.373:                              ;   in Loop: Header=BB337_9 Depth=1
	v_ffbh_u32_e32 v9, v1
	v_min_u32_e32 v9, 32, v9
	v_subrev_nc_u32_e32 v10, 28, v9
	v_sub_nc_u32_e32 v9, 29, v9
	v_lshlrev_b64 v[10:11], v10, v[1:2]
	v_and_b32_e32 v1, 7, v10
; %bb.374:                              ;   in Loop: Header=BB337_9 Depth=1
	s_or_b32 exec_lo, exec_lo, s33
	v_lshlrev_b32_e32 v10, 16, v0
	v_lshlrev_b32_e32 v1, 20, v1
	v_lshl_add_u32 v9, v9, 23, 0x3c000000
	v_and_b32_e32 v10, 0x80000000, v10
	v_or3_b32 v9, v1, v10, v9
.LBB337_375:                            ;   in Loop: Header=BB337_9 Depth=1
	s_or_b32 exec_lo, exec_lo, s31
.LBB337_376:                            ;   in Loop: Header=BB337_9 Depth=1
	s_or_b32 exec_lo, exec_lo, s30
.LBB337_377:                            ;   in Loop: Header=BB337_9 Depth=1
	s_or_b32 exec_lo, exec_lo, s3
	v_and_b32_sdwa v1, v0, v78 dst_sel:DWORD dst_unused:UNUSED_PAD src0_sel:WORD_1 src1_sel:DWORD
	v_mov_b32_e32 v22, 0
	v_mov_b32_e32 v13, 0
	s_mov_b32 s3, exec_lo
	v_cmpx_ne_u16_e32 0, v1
	s_cbranch_execz .LBB337_385
; %bb.378:                              ;   in Loop: Header=BB337_9 Depth=1
	v_bfrev_b32_e32 v13, 1
	s_mov_b32 s30, exec_lo
	v_cmpx_ne_u16_e32 0x80, v1
	s_cbranch_execz .LBB337_384
; %bb.379:                              ;   in Loop: Header=BB337_9 Depth=1
	v_bfe_u32 v11, v0, 16, 7
	v_mov_b32_e32 v13, 0x7f800001
	s_mov_b32 s31, exec_lo
	v_cmpx_ne_u32_e32 0x7f, v11
	s_cbranch_execz .LBB337_383
; %bb.380:                              ;   in Loop: Header=BB337_9 Depth=1
	v_and_b32_sdwa v1, v0, v79 dst_sel:DWORD dst_unused:UNUSED_PAD src0_sel:WORD_1 src1_sel:DWORD
	v_lshrrev_b32_e32 v10, 3, v11
	s_mov_b32 s33, exec_lo
	v_cmpx_gt_u32_e32 8, v11
; %bb.381:                              ;   in Loop: Header=BB337_9 Depth=1
	v_ffbh_u32_e32 v10, v1
	v_min_u32_e32 v10, 32, v10
	v_subrev_nc_u32_e32 v11, 28, v10
	v_sub_nc_u32_e32 v10, 29, v10
	v_lshlrev_b64 v[11:12], v11, v[1:2]
	v_and_b32_e32 v1, 7, v11
; %bb.382:                              ;   in Loop: Header=BB337_9 Depth=1
	s_or_b32 exec_lo, exec_lo, s33
	v_lshlrev_b32_sdwa v11, v80, v0 dst_sel:DWORD dst_unused:UNUSED_PAD src0_sel:DWORD src1_sel:WORD_1
	v_lshlrev_b32_e32 v1, 20, v1
	v_lshl_add_u32 v10, v10, 23, 0x3c000000
	v_and_b32_e32 v11, 0x80000000, v11
	v_or3_b32 v13, v1, v11, v10
.LBB337_383:                            ;   in Loop: Header=BB337_9 Depth=1
	s_or_b32 exec_lo, exec_lo, s31
.LBB337_384:                            ;   in Loop: Header=BB337_9 Depth=1
	s_or_b32 exec_lo, exec_lo, s30
.LBB337_385:                            ;   in Loop: Header=BB337_9 Depth=1
	s_or_b32 exec_lo, exec_lo, s3
	s_mov_b32 s3, exec_lo
	v_cmpx_lt_u32_e32 0xffffff, v0
	s_cbranch_execz .LBB337_393
; %bb.386:                              ;   in Loop: Header=BB337_9 Depth=1
	v_cmp_ne_u32_sdwa s2, v0, v76 src0_sel:BYTE_3 src1_sel:DWORD
	v_bfrev_b32_e32 v22, 1
	s_and_saveexec_b32 s30, s2
	s_cbranch_execz .LBB337_392
; %bb.387:                              ;   in Loop: Header=BB337_9 Depth=1
	v_bfe_u32 v11, v0, 24, 7
	v_mov_b32_e32 v22, 0x7f800001
	s_mov_b32 s31, exec_lo
	v_cmpx_ne_u32_e32 0x7f, v11
	s_cbranch_execz .LBB337_391
; %bb.388:                              ;   in Loop: Header=BB337_9 Depth=1
	v_and_b32_sdwa v1, v0, v79 dst_sel:DWORD dst_unused:UNUSED_PAD src0_sel:BYTE_3 src1_sel:DWORD
	v_lshrrev_b32_e32 v10, 3, v11
	s_mov_b32 s33, exec_lo
	v_cmpx_gt_u32_e32 8, v11
; %bb.389:                              ;   in Loop: Header=BB337_9 Depth=1
	v_ffbh_u32_e32 v10, v1
	v_min_u32_e32 v10, 32, v10
	v_subrev_nc_u32_e32 v11, 28, v10
	v_sub_nc_u32_e32 v10, 29, v10
	v_lshlrev_b64 v[11:12], v11, v[1:2]
	v_and_b32_e32 v1, 7, v11
; %bb.390:                              ;   in Loop: Header=BB337_9 Depth=1
	s_or_b32 exec_lo, exec_lo, s33
	v_lshlrev_b32_sdwa v0, v80, v0 dst_sel:DWORD dst_unused:UNUSED_PAD src0_sel:DWORD src1_sel:BYTE_3
	v_lshlrev_b32_e32 v1, 20, v1
	v_lshl_add_u32 v10, v10, 23, 0x3c000000
	v_and_b32_e32 v0, 0x80000000, v0
	v_or3_b32 v22, v1, v0, v10
.LBB337_391:                            ;   in Loop: Header=BB337_9 Depth=1
	s_or_b32 exec_lo, exec_lo, s31
.LBB337_392:                            ;   in Loop: Header=BB337_9 Depth=1
	s_or_b32 exec_lo, exec_lo, s30
.LBB337_393:                            ;   in Loop: Header=BB337_9 Depth=1
	s_or_b32 exec_lo, exec_lo, s3
	global_load_dword v10, v[7:8], off offset:1536
	v_mov_b32_e32 v127, 0
	v_mov_b32_e32 v21, 0
	s_waitcnt vmcnt(0)
	v_cmp_ne_u16_sdwa s2, v10, v2 src0_sel:BYTE_0 src1_sel:DWORD
	s_and_saveexec_b32 s3, s2
	s_cbranch_execz .LBB337_401
; %bb.394:                              ;   in Loop: Header=BB337_9 Depth=1
	v_cmp_ne_u16_sdwa s2, v10, v76 src0_sel:BYTE_0 src1_sel:DWORD
	v_bfrev_b32_e32 v21, 1
	s_and_saveexec_b32 s30, s2
	s_cbranch_execz .LBB337_400
; %bb.395:                              ;   in Loop: Header=BB337_9 Depth=1
	v_and_b32_e32 v11, 0x7f, v10
	v_mov_b32_e32 v21, 0x7f800001
	s_mov_b32 s31, exec_lo
	v_cmpx_ne_u32_e32 0x7f, v11
	s_cbranch_execz .LBB337_399
; %bb.396:                              ;   in Loop: Header=BB337_9 Depth=1
	v_and_b32_e32 v1, 7, v10
	v_lshrrev_b32_e32 v0, 3, v11
	s_mov_b32 s33, exec_lo
	v_cmpx_gt_u32_e32 8, v11
; %bb.397:                              ;   in Loop: Header=BB337_9 Depth=1
	v_ffbh_u32_e32 v0, v1
	v_min_u32_e32 v0, 32, v0
	v_subrev_nc_u32_e32 v11, 28, v0
	v_sub_nc_u32_e32 v0, 29, v0
	v_lshlrev_b64 v[11:12], v11, v[1:2]
	v_and_b32_e32 v1, 7, v11
; %bb.398:                              ;   in Loop: Header=BB337_9 Depth=1
	s_or_b32 exec_lo, exec_lo, s33
	v_lshlrev_b32_e32 v11, 24, v10
	v_lshlrev_b32_e32 v1, 20, v1
	v_lshl_add_u32 v0, v0, 23, 0x3c000000
	v_and_b32_e32 v11, 0x80000000, v11
	v_or3_b32 v21, v1, v11, v0
.LBB337_399:                            ;   in Loop: Header=BB337_9 Depth=1
	s_or_b32 exec_lo, exec_lo, s31
.LBB337_400:                            ;   in Loop: Header=BB337_9 Depth=1
	s_or_b32 exec_lo, exec_lo, s30
.LBB337_401:                            ;   in Loop: Header=BB337_9 Depth=1
	s_or_b32 exec_lo, exec_lo, s3
	v_cmp_ne_u16_sdwa s2, v10, v2 src0_sel:BYTE_1 src1_sel:DWORD
	s_and_saveexec_b32 s3, s2
	s_cbranch_execz .LBB337_409
; %bb.402:                              ;   in Loop: Header=BB337_9 Depth=1
	v_cmp_ne_u16_sdwa s2, v10, v76 src0_sel:BYTE_1 src1_sel:DWORD
	v_bfrev_b32_e32 v127, 1
	s_and_saveexec_b32 s30, s2
	s_cbranch_execz .LBB337_408
; %bb.403:                              ;   in Loop: Header=BB337_9 Depth=1
	v_and_b32_sdwa v0, v77, v10 dst_sel:DWORD dst_unused:UNUSED_PAD src0_sel:DWORD src1_sel:BYTE_1
	v_mov_b32_e32 v127, 0x7f800001
	s_mov_b32 s31, exec_lo
	v_and_b32_e32 v11, 0x7f, v0
	v_cmpx_ne_u32_e32 0x7f, v11
	s_cbranch_execz .LBB337_407
; %bb.404:                              ;   in Loop: Header=BB337_9 Depth=1
	v_and_b32_e32 v1, 7, v0
	v_lshrrev_b32_e32 v0, 3, v11
	s_mov_b32 s33, exec_lo
	v_cmpx_gt_u32_e32 8, v11
; %bb.405:                              ;   in Loop: Header=BB337_9 Depth=1
	v_ffbh_u32_e32 v0, v1
	v_min_u32_e32 v0, 32, v0
	v_subrev_nc_u32_e32 v11, 28, v0
	v_sub_nc_u32_e32 v0, 29, v0
	v_lshlrev_b64 v[11:12], v11, v[1:2]
	v_and_b32_e32 v1, 7, v11
; %bb.406:                              ;   in Loop: Header=BB337_9 Depth=1
	s_or_b32 exec_lo, exec_lo, s33
	v_lshlrev_b32_e32 v11, 16, v10
	v_lshlrev_b32_e32 v1, 20, v1
	v_lshl_add_u32 v0, v0, 23, 0x3c000000
	v_and_b32_e32 v11, 0x80000000, v11
	v_or3_b32 v127, v1, v11, v0
.LBB337_407:                            ;   in Loop: Header=BB337_9 Depth=1
	s_or_b32 exec_lo, exec_lo, s31
.LBB337_408:                            ;   in Loop: Header=BB337_9 Depth=1
	s_or_b32 exec_lo, exec_lo, s30
.LBB337_409:                            ;   in Loop: Header=BB337_9 Depth=1
	s_or_b32 exec_lo, exec_lo, s3
	v_and_b32_sdwa v1, v10, v78 dst_sel:DWORD dst_unused:UNUSED_PAD src0_sel:WORD_1 src1_sel:DWORD
	v_mov_b32_e32 v126, 0
	v_mov_b32_e32 v0, 0
	s_mov_b32 s3, exec_lo
	v_cmpx_ne_u16_e32 0, v1
	s_cbranch_execz .LBB337_417
; %bb.410:                              ;   in Loop: Header=BB337_9 Depth=1
	v_bfrev_b32_e32 v0, 1
	s_mov_b32 s30, exec_lo
	v_cmpx_ne_u16_e32 0x80, v1
	s_cbranch_execz .LBB337_416
; %bb.411:                              ;   in Loop: Header=BB337_9 Depth=1
	v_bfe_u32 v11, v10, 16, 7
	v_mov_b32_e32 v0, 0x7f800001
	s_mov_b32 s31, exec_lo
	v_cmpx_ne_u32_e32 0x7f, v11
	s_cbranch_execz .LBB337_415
; %bb.412:                              ;   in Loop: Header=BB337_9 Depth=1
	v_and_b32_sdwa v1, v10, v79 dst_sel:DWORD dst_unused:UNUSED_PAD src0_sel:WORD_1 src1_sel:DWORD
	v_lshrrev_b32_e32 v0, 3, v11
	s_mov_b32 s33, exec_lo
	v_cmpx_gt_u32_e32 8, v11
; %bb.413:                              ;   in Loop: Header=BB337_9 Depth=1
	v_ffbh_u32_e32 v0, v1
	v_min_u32_e32 v0, 32, v0
	v_subrev_nc_u32_e32 v11, 28, v0
	v_sub_nc_u32_e32 v0, 29, v0
	v_lshlrev_b64 v[11:12], v11, v[1:2]
	v_and_b32_e32 v1, 7, v11
; %bb.414:                              ;   in Loop: Header=BB337_9 Depth=1
	s_or_b32 exec_lo, exec_lo, s33
	v_lshlrev_b32_sdwa v11, v80, v10 dst_sel:DWORD dst_unused:UNUSED_PAD src0_sel:DWORD src1_sel:WORD_1
	v_lshlrev_b32_e32 v1, 20, v1
	v_lshl_add_u32 v0, v0, 23, 0x3c000000
	v_and_b32_e32 v11, 0x80000000, v11
	v_or3_b32 v0, v1, v11, v0
.LBB337_415:                            ;   in Loop: Header=BB337_9 Depth=1
	s_or_b32 exec_lo, exec_lo, s31
.LBB337_416:                            ;   in Loop: Header=BB337_9 Depth=1
	s_or_b32 exec_lo, exec_lo, s30
.LBB337_417:                            ;   in Loop: Header=BB337_9 Depth=1
	s_or_b32 exec_lo, exec_lo, s3
	s_mov_b32 s3, exec_lo
	v_cmpx_lt_u32_e32 0xffffff, v10
	s_cbranch_execz .LBB337_425
; %bb.418:                              ;   in Loop: Header=BB337_9 Depth=1
	v_cmp_ne_u32_sdwa s2, v10, v76 src0_sel:BYTE_3 src1_sel:DWORD
	v_bfrev_b32_e32 v126, 1
	s_and_saveexec_b32 s30, s2
	s_cbranch_execz .LBB337_424
; %bb.419:                              ;   in Loop: Header=BB337_9 Depth=1
	v_bfe_u32 v32, v10, 24, 7
	v_mov_b32_e32 v126, 0x7f800001
	s_mov_b32 s31, exec_lo
	v_cmpx_ne_u32_e32 0x7f, v32
	s_cbranch_execz .LBB337_423
; %bb.420:                              ;   in Loop: Header=BB337_9 Depth=1
	v_and_b32_sdwa v1, v10, v79 dst_sel:DWORD dst_unused:UNUSED_PAD src0_sel:BYTE_3 src1_sel:DWORD
	v_lshrrev_b32_e32 v11, 3, v32
	s_mov_b32 s33, exec_lo
	v_cmpx_gt_u32_e32 8, v32
; %bb.421:                              ;   in Loop: Header=BB337_9 Depth=1
	v_ffbh_u32_e32 v11, v1
	v_min_u32_e32 v11, 32, v11
	v_subrev_nc_u32_e32 v12, 28, v11
	v_sub_nc_u32_e32 v11, 29, v11
	v_lshlrev_b64 v[14:15], v12, v[1:2]
	v_and_b32_e32 v1, 7, v14
; %bb.422:                              ;   in Loop: Header=BB337_9 Depth=1
	s_or_b32 exec_lo, exec_lo, s33
	v_lshlrev_b32_sdwa v10, v80, v10 dst_sel:DWORD dst_unused:UNUSED_PAD src0_sel:DWORD src1_sel:BYTE_3
	v_lshlrev_b32_e32 v1, 20, v1
	v_lshl_add_u32 v11, v11, 23, 0x3c000000
	v_and_b32_e32 v10, 0x80000000, v10
	v_or3_b32 v126, v1, v10, v11
.LBB337_423:                            ;   in Loop: Header=BB337_9 Depth=1
	s_or_b32 exec_lo, exec_lo, s31
.LBB337_424:                            ;   in Loop: Header=BB337_9 Depth=1
	s_or_b32 exec_lo, exec_lo, s30
.LBB337_425:                            ;   in Loop: Header=BB337_9 Depth=1
	s_or_b32 exec_lo, exec_lo, s3
	global_load_dword v7, v[7:8], off offset:1544
	v_mov_b32_e32 v11, 0
	v_mov_b32_e32 v8, 0
	s_waitcnt vmcnt(0)
	v_cmp_ne_u16_sdwa s2, v7, v2 src0_sel:BYTE_0 src1_sel:DWORD
	s_and_saveexec_b32 s3, s2
	s_cbranch_execz .LBB337_433
; %bb.426:                              ;   in Loop: Header=BB337_9 Depth=1
	v_cmp_ne_u16_sdwa s2, v7, v76 src0_sel:BYTE_0 src1_sel:DWORD
	v_bfrev_b32_e32 v8, 1
	s_and_saveexec_b32 s30, s2
	s_cbranch_execz .LBB337_432
; %bb.427:                              ;   in Loop: Header=BB337_9 Depth=1
	v_and_b32_e32 v10, 0x7f, v7
	v_mov_b32_e32 v8, 0x7f800001
	s_mov_b32 s31, exec_lo
	v_cmpx_ne_u32_e32 0x7f, v10
	s_cbranch_execz .LBB337_431
; %bb.428:                              ;   in Loop: Header=BB337_9 Depth=1
	v_and_b32_e32 v1, 7, v7
	v_lshrrev_b32_e32 v8, 3, v10
	s_mov_b32 s33, exec_lo
	v_cmpx_gt_u32_e32 8, v10
; %bb.429:                              ;   in Loop: Header=BB337_9 Depth=1
	v_ffbh_u32_e32 v8, v1
	v_min_u32_e32 v8, 32, v8
	v_subrev_nc_u32_e32 v10, 28, v8
	v_sub_nc_u32_e32 v8, 29, v8
	v_lshlrev_b64 v[14:15], v10, v[1:2]
	v_and_b32_e32 v1, 7, v14
; %bb.430:                              ;   in Loop: Header=BB337_9 Depth=1
	s_or_b32 exec_lo, exec_lo, s33
	v_lshlrev_b32_e32 v10, 24, v7
	v_lshlrev_b32_e32 v1, 20, v1
	v_lshl_add_u32 v8, v8, 23, 0x3c000000
	v_and_b32_e32 v10, 0x80000000, v10
	v_or3_b32 v8, v1, v10, v8
.LBB337_431:                            ;   in Loop: Header=BB337_9 Depth=1
	s_or_b32 exec_lo, exec_lo, s31
.LBB337_432:                            ;   in Loop: Header=BB337_9 Depth=1
	s_or_b32 exec_lo, exec_lo, s30
.LBB337_433:                            ;   in Loop: Header=BB337_9 Depth=1
	s_or_b32 exec_lo, exec_lo, s3
	v_cmp_ne_u16_sdwa s2, v7, v2 src0_sel:BYTE_1 src1_sel:DWORD
	s_and_saveexec_b32 s3, s2
	s_cbranch_execz .LBB337_441
; %bb.434:                              ;   in Loop: Header=BB337_9 Depth=1
	v_cmp_ne_u16_sdwa s2, v7, v76 src0_sel:BYTE_1 src1_sel:DWORD
	v_bfrev_b32_e32 v11, 1
	s_and_saveexec_b32 s30, s2
	s_cbranch_execz .LBB337_440
; %bb.435:                              ;   in Loop: Header=BB337_9 Depth=1
	v_and_b32_sdwa v1, v77, v7 dst_sel:DWORD dst_unused:UNUSED_PAD src0_sel:DWORD src1_sel:BYTE_1
	v_mov_b32_e32 v11, 0x7f800001
	s_mov_b32 s31, exec_lo
	v_and_b32_e32 v32, 0x7f, v1
	v_cmpx_ne_u32_e32 0x7f, v32
	s_cbranch_execz .LBB337_439
; %bb.436:                              ;   in Loop: Header=BB337_9 Depth=1
	v_and_b32_e32 v1, 7, v1
	v_lshrrev_b32_e32 v10, 3, v32
	s_mov_b32 s33, exec_lo
	v_cmpx_gt_u32_e32 8, v32
; %bb.437:                              ;   in Loop: Header=BB337_9 Depth=1
	v_ffbh_u32_e32 v10, v1
	v_min_u32_e32 v10, 32, v10
	v_subrev_nc_u32_e32 v11, 28, v10
	v_sub_nc_u32_e32 v10, 29, v10
	v_lshlrev_b64 v[11:12], v11, v[1:2]
	v_and_b32_e32 v1, 7, v11
; %bb.438:                              ;   in Loop: Header=BB337_9 Depth=1
	s_or_b32 exec_lo, exec_lo, s33
	v_lshlrev_b32_e32 v11, 16, v7
	v_lshlrev_b32_e32 v1, 20, v1
	v_lshl_add_u32 v10, v10, 23, 0x3c000000
	v_and_b32_e32 v11, 0x80000000, v11
	v_or3_b32 v11, v1, v11, v10
.LBB337_439:                            ;   in Loop: Header=BB337_9 Depth=1
	s_or_b32 exec_lo, exec_lo, s31
.LBB337_440:                            ;   in Loop: Header=BB337_9 Depth=1
	s_or_b32 exec_lo, exec_lo, s30
.LBB337_441:                            ;   in Loop: Header=BB337_9 Depth=1
	s_or_b32 exec_lo, exec_lo, s3
	v_and_b32_sdwa v1, v7, v78 dst_sel:DWORD dst_unused:UNUSED_PAD src0_sel:WORD_1 src1_sel:DWORD
	v_mov_b32_e32 v32, 0
	v_mov_b32_e32 v10, 0
	s_mov_b32 s3, exec_lo
	v_cmpx_ne_u16_e32 0, v1
	s_cbranch_execz .LBB337_449
; %bb.442:                              ;   in Loop: Header=BB337_9 Depth=1
	v_bfrev_b32_e32 v10, 1
	s_mov_b32 s30, exec_lo
	v_cmpx_ne_u16_e32 0x80, v1
	s_cbranch_execz .LBB337_448
; %bb.443:                              ;   in Loop: Header=BB337_9 Depth=1
	v_bfe_u32 v12, v7, 16, 7
	v_mov_b32_e32 v10, 0x7f800001
	s_mov_b32 s31, exec_lo
	v_cmpx_ne_u32_e32 0x7f, v12
	s_cbranch_execz .LBB337_447
; %bb.444:                              ;   in Loop: Header=BB337_9 Depth=1
	v_and_b32_sdwa v1, v7, v79 dst_sel:DWORD dst_unused:UNUSED_PAD src0_sel:WORD_1 src1_sel:DWORD
	v_lshrrev_b32_e32 v10, 3, v12
	s_mov_b32 s33, exec_lo
	v_cmpx_gt_u32_e32 8, v12
; %bb.445:                              ;   in Loop: Header=BB337_9 Depth=1
	v_ffbh_u32_e32 v10, v1
	v_min_u32_e32 v10, 32, v10
	v_subrev_nc_u32_e32 v12, 28, v10
	v_sub_nc_u32_e32 v10, 29, v10
	v_lshlrev_b64 v[14:15], v12, v[1:2]
	v_and_b32_e32 v1, 7, v14
; %bb.446:                              ;   in Loop: Header=BB337_9 Depth=1
	s_or_b32 exec_lo, exec_lo, s33
	v_lshlrev_b32_sdwa v12, v80, v7 dst_sel:DWORD dst_unused:UNUSED_PAD src0_sel:DWORD src1_sel:WORD_1
	v_lshlrev_b32_e32 v1, 20, v1
	v_lshl_add_u32 v10, v10, 23, 0x3c000000
	v_and_b32_e32 v12, 0x80000000, v12
	v_or3_b32 v10, v1, v12, v10
.LBB337_447:                            ;   in Loop: Header=BB337_9 Depth=1
	s_or_b32 exec_lo, exec_lo, s31
.LBB337_448:                            ;   in Loop: Header=BB337_9 Depth=1
	s_or_b32 exec_lo, exec_lo, s30
.LBB337_449:                            ;   in Loop: Header=BB337_9 Depth=1
	s_or_b32 exec_lo, exec_lo, s3
	s_mov_b32 s3, exec_lo
	v_cmpx_lt_u32_e32 0xffffff, v7
	s_cbranch_execz .LBB337_457
; %bb.450:                              ;   in Loop: Header=BB337_9 Depth=1
	v_cmp_ne_u32_sdwa s2, v7, v76 src0_sel:BYTE_3 src1_sel:DWORD
	v_bfrev_b32_e32 v32, 1
	s_and_saveexec_b32 s30, s2
	s_cbranch_execz .LBB337_456
; %bb.451:                              ;   in Loop: Header=BB337_9 Depth=1
	v_bfe_u32 v12, v7, 24, 7
	v_mov_b32_e32 v32, 0x7f800001
	s_mov_b32 s31, exec_lo
	v_cmpx_ne_u32_e32 0x7f, v12
	s_cbranch_execz .LBB337_455
; %bb.452:                              ;   in Loop: Header=BB337_9 Depth=1
	v_and_b32_sdwa v1, v7, v79 dst_sel:DWORD dst_unused:UNUSED_PAD src0_sel:BYTE_3 src1_sel:DWORD
	v_lshrrev_b32_e32 v32, 3, v12
	s_mov_b32 s33, exec_lo
	v_cmpx_gt_u32_e32 8, v12
; %bb.453:                              ;   in Loop: Header=BB337_9 Depth=1
	v_ffbh_u32_e32 v12, v1
	v_min_u32_e32 v12, 32, v12
	v_subrev_nc_u32_e32 v14, 28, v12
	v_sub_nc_u32_e32 v32, 29, v12
	v_lshlrev_b64 v[14:15], v14, v[1:2]
	v_and_b32_e32 v1, 7, v14
; %bb.454:                              ;   in Loop: Header=BB337_9 Depth=1
	s_or_b32 exec_lo, exec_lo, s33
	v_lshlrev_b32_sdwa v7, v80, v7 dst_sel:DWORD dst_unused:UNUSED_PAD src0_sel:DWORD src1_sel:BYTE_3
	v_lshlrev_b32_e32 v1, 20, v1
	v_lshl_add_u32 v12, v32, 23, 0x3c000000
	v_and_b32_e32 v7, 0x80000000, v7
	v_or3_b32 v32, v1, v7, v12
.LBB337_455:                            ;   in Loop: Header=BB337_9 Depth=1
	s_or_b32 exec_lo, exec_lo, s31
.LBB337_456:                            ;   in Loop: Header=BB337_9 Depth=1
	s_or_b32 exec_lo, exec_lo, s30
.LBB337_457:                            ;   in Loop: Header=BB337_9 Depth=1
	s_or_b32 exec_lo, exec_lo, s3
	v_mul_f32_e32 v1, s4, v11
	v_mul_f32_e32 v0, s4, v0
	;; [unrolled: 1-line block ×5, first 2 shown]
	v_bfe_u32 v7, v1, 16, 1
	v_or_b32_e32 v11, 0x400000, v1
	v_cmp_u_f32_e64 s2, v1, v1
	v_mul_f32_e32 v84, s4, v84
	v_mul_f32_e32 v83, s4, v83
	v_add3_u32 v7, v7, v1, 0x7fff
	v_mul_f32_e32 v82, s4, v82
	v_mul_f32_e32 v10, s4, v10
	;; [unrolled: 1-line block ×3, first 2 shown]
	v_cndmask_b32_e64 v1, v7, v11, s2
	v_mul_f32_e32 v7, s4, v8
	v_bfe_u32 v8, v7, 16, 1
	v_or_b32_e32 v11, 0x400000, v7
	v_cmp_u_f32_e64 s2, v7, v7
	v_add3_u32 v8, v8, v7, 0x7fff
	v_cndmask_b32_e64 v7, v8, v11, s2
	v_bfe_u32 v8, v0, 16, 1
	v_or_b32_e32 v11, 0x400000, v0
	v_cmp_u_f32_e64 s2, v0, v0
	v_add3_u32 v8, v8, v0, 0x7fff
	v_mul_f32_e32 v0, s4, v126
	v_cndmask_b32_e64 v8, v8, v11, s2
	v_bfe_u32 v11, v0, 16, 1
	v_or_b32_e32 v12, 0x400000, v0
	v_cmp_u_f32_e64 s2, v0, v0
	v_add3_u32 v11, v11, v0, 0x7fff
	v_mul_f32_e32 v0, s4, v127
	;; [unrolled: 6-line block ×34, first 2 shown]
	v_cndmask_b32_e64 v100, v11, v12, s2
	v_bfe_u32 v11, v0, 16, 1
	v_or_b32_e32 v12, 0x400000, v0
	v_cmp_u_f32_e64 s2, v0, v0
	v_add3_u32 v11, v11, v0, 0x7fff
	v_cndmask_b32_e64 v0, v11, v12, s2
	v_mul_f32_e32 v11, s4, v98
	v_and_b32_e32 v0, 0xffff0000, v0
	v_bfe_u32 v12, v11, 16, 1
	v_or_b32_e32 v14, 0x400000, v11
	v_cmp_u_f32_e64 s2, v11, v11
	v_add3_u32 v12, v12, v11, 0x7fff
	v_mul_f32_e32 v11, s4, v97
	v_cndmask_b32_e64 v98, v12, v14, s2
	v_bfe_u32 v12, v11, 16, 1
	v_or_b32_e32 v14, 0x400000, v11
	v_cmp_u_f32_e64 s2, v11, v11
	v_add3_u32 v12, v12, v11, 0x7fff
	v_mul_f32_e32 v11, s4, v96
	v_cndmask_b32_e64 v97, v12, v14, s2
	;; [unrolled: 6-line block ×7, first 2 shown]
	v_bfe_u32 v12, v11, 16, 1
	v_or_b32_e32 v14, 0x400000, v11
	v_cmp_u_f32_e64 s2, v11, v11
	v_add3_u32 v12, v12, v11, 0x7fff
	v_cndmask_b32_e64 v11, v12, v14, s2
	v_mul_f32_e32 v12, s4, v90
	v_and_b32_e32 v11, 0xffff0000, v11
	v_bfe_u32 v14, v12, 16, 1
	v_or_b32_e32 v15, 0x400000, v12
	v_cmp_u_f32_e64 s2, v12, v12
	v_add3_u32 v14, v14, v12, 0x7fff
	v_cndmask_b32_e64 v12, v14, v15, s2
	v_mul_f32_e32 v14, s4, v89
	v_and_b32_e32 v12, 0xffff0000, v12
	;; [unrolled: 7-line block ×3, first 2 shown]
	v_bfe_u32 v88, v15, 16, 1
	v_or_b32_e32 v89, 0x400000, v15
	v_cmp_u_f32_e64 s2, v15, v15
	v_add3_u32 v88, v88, v15, 0x7fff
	v_cndmask_b32_e64 v15, v88, v89, s2
	v_bfe_u32 v88, v87, 16, 1
	v_or_b32_e32 v89, 0x400000, v87
	v_cmp_u_f32_e64 s2, v87, v87
	v_add3_u32 v88, v88, v87, 0x7fff
	v_cndmask_b32_e64 v87, v88, v89, s2
	;; [unrolled: 5-line block ×4, first 2 shown]
	v_bfe_u32 v88, v84, 16, 1
	v_or_b32_e32 v89, 0x400000, v84
	v_cmp_u_f32_e64 s2, v84, v84
	v_and_b32_e32 v85, 0xffff0000, v85
	v_add3_u32 v88, v88, v84, 0x7fff
	v_bfe_u32 v84, v83, 16, 1
	v_cndmask_b32_e64 v88, v88, v89, s2
	v_add3_u32 v84, v84, v83, 0x7fff
	v_or_b32_e32 v89, 0x400000, v83
	v_cmp_u_f32_e64 s2, v83, v83
	v_cndmask_b32_e64 v83, v84, v89, s2
	v_bfe_u32 v84, v82, 16, 1
	v_or_b32_e32 v89, 0x400000, v82
	v_cmp_u_f32_e64 s2, v82, v82
	v_add3_u32 v84, v84, v82, 0x7fff
	v_cndmask_b32_e64 v82, v84, v89, s2
	v_bfe_u32 v84, v10, 16, 1
	v_or_b32_e32 v89, 0x400000, v10
	v_cmp_u_f32_e64 s2, v10, v10
	v_add3_u32 v84, v84, v10, 0x7fff
	;; [unrolled: 5-line block ×3, first 2 shown]
	v_cndmask_b32_e64 v32, v84, v89, s2
	v_and_b32_e32 v84, 0xffff0000, v86
	v_and_b32_e32 v86, 0xffff0000, v82
	v_mul_f32_e32 v82, v16, v84
	buffer_load_dword v84, off, s[36:39], 0 ; 4-byte Folded Reload
	s_waitcnt vmcnt(0)
	v_fmac_f32_e32 v82, v84, v86
	v_and_b32_e32 v84, 0xffff0000, v87
	v_and_b32_e32 v86, 0xffff0000, v83
	v_fmac_f32_e32 v82, v20, v12
	v_mul_f32_e32 v83, v17, v84
	buffer_load_dword v84, off, s[36:39], 0 offset:4 ; 4-byte Folded Reload
	s_waitcnt vmcnt(0)
	v_fmac_f32_e32 v83, v84, v86
	v_mul_f32_e32 v84, v18, v14
	buffer_load_dword v14, off, s[36:39], 0 offset:8 ; 4-byte Folded Reload
	v_fmac_f32_e32 v83, v24, v11
	v_and_b32_e32 v11, 0xffff0000, v93
	s_waitcnt vmcnt(0)
	v_fmac_f32_e32 v84, v14, v85
	v_and_b32_e32 v14, 0xffff0000, v15
	v_and_b32_e32 v15, 0xffff0000, v88
	v_fmac_f32_e32 v84, v25, v11
	v_mul_f32_e32 v85, v19, v14
	buffer_load_dword v14, off, s[36:39], 0 offset:12 ; 4-byte Folded Reload
	v_and_b32_e32 v11, 0xffff0000, v92
	s_waitcnt vmcnt(0)
	v_fmac_f32_e32 v85, v14, v15
	v_fmac_f32_e32 v85, v26, v11
	v_and_b32_e32 v11, 0xffff0000, v94
	v_fmac_f32_e32 v82, v27, v11
	v_and_b32_e32 v11, 0xffff0000, v95
	;; [unrolled: 2-line block ×3, first 2 shown]
	v_fmac_f32_e32 v83, v33, v0
	v_fmac_f32_e32 v84, v29, v11
	v_and_b32_e32 v11, 0xffff0000, v96
	v_and_b32_e32 v0, 0xffff0000, v101
	v_fmac_f32_e32 v85, v30, v11
	v_and_b32_e32 v11, 0xffff0000, v98
	v_fmac_f32_e32 v84, v34, v0
	;; [unrolled: 2-line block ×3, first 2 shown]
	v_fmac_f32_e32 v85, v35, v0
	v_and_b32_e32 v0, 0xffff0000, v102
	v_fmac_f32_e32 v82, v36, v0
	v_and_b32_e32 v0, 0xffff0000, v103
	;; [unrolled: 2-line block ×34, first 2 shown]
	v_and_b32_e32 v1, 0xffff0000, v32
	v_fmac_f32_e32 v83, v69, v0
	v_and_b32_e32 v0, 0xffff0000, v10
	v_fmac_f32_e32 v85, v71, v1
	v_fmac_f32_e32 v84, v70, v0
	v_add_f32_e32 v0, v82, v83
	v_add_f32_e32 v0, v0, v84
	;; [unrolled: 1-line block ×3, first 2 shown]
	ds_bpermute_b32 v1, v73, v0
	s_and_saveexec_b32 s3, vcc_lo
	s_cbranch_execz .LBB337_8
; %bb.458:                              ;   in Loop: Header=BB337_9 Depth=1
	v_add_nc_u32_e32 v7, s5, v74
	s_waitcnt lgkmcnt(0)
	v_add_f32_e32 v0, v0, v1
	v_cmp_gt_i32_e64 s2, s11, v74
	v_cvt_f32_i32_e32 v7, v7
	v_mul_f32_e32 v7, s28, v7
	v_cndmask_b32_e64 v1, 0, v7, s1
	v_max_f32_e32 v7, v72, v72
	v_fmac_f32_e32 v1, s29, v0
	v_max_f32_e32 v0, v7, v1
	v_cndmask_b32_e64 v1, 0, v1, s2
	v_cndmask_b32_e64 v72, v72, v0, s2
	ds_write_b32 v75, v1
	s_branch .LBB337_8
.LBB337_459:
	s_or_b32 exec_lo, exec_lo, s16
	s_clause 0x5
	buffer_load_dword v21, off, s[36:39], 0 offset:20
	buffer_load_dword v22, off, s[36:39], 0 offset:24
	;; [unrolled: 1-line block ×6, first 2 shown]
	v_mov_b32_e32 v10, 32
.LBB337_460:
	s_or_b32 exec_lo, exec_lo, s15
	s_waitcnt vmcnt(0)
	v_xor_b32_e32 v0, 16, v14
	v_xor_b32_e32 v3, 8, v14
	v_max_f32_e32 v4, v72, v72
	v_xor_b32_e32 v5, 4, v14
	v_and_b32_e32 v24, 31, v21
	v_cmp_lt_i32_e32 vcc_lo, v0, v10
	v_cndmask_b32_e32 v0, v14, v0, vcc_lo
	v_cmp_lt_i32_e32 vcc_lo, v3, v10
	s_waitcnt lgkmcnt(0)
	v_lshlrev_b32_e32 v1, 2, v0
	v_cndmask_b32_e32 v3, v14, v3, vcc_lo
	v_cmp_lt_i32_e32 vcc_lo, v5, v10
	ds_bpermute_b32 v0, v1, v72
	v_lshlrev_b32_e32 v3, 2, v3
	v_cndmask_b32_e32 v5, v14, v5, vcc_lo
	s_waitcnt lgkmcnt(0)
	v_max_f32_e32 v0, v0, v0
	v_max_f32_e32 v0, v4, v0
	ds_bpermute_b32 v4, v3, v0
	s_waitcnt lgkmcnt(0)
	v_max_f32_e32 v6, v4, v4
	v_lshlrev_b32_e32 v4, 2, v5
	v_max_f32_e32 v0, v0, v6
	v_xor_b32_e32 v6, 2, v14
	ds_bpermute_b32 v5, v4, v0
	v_cmp_lt_i32_e32 vcc_lo, v6, v10
	v_cndmask_b32_e32 v7, v14, v6, vcc_lo
	v_cmp_eq_u32_e32 vcc_lo, 0, v24
	s_waitcnt lgkmcnt(0)
	v_max_f32_e32 v5, v5, v5
	v_max_f32_e32 v6, v0, v5
	v_lshlrev_b32_e32 v0, 2, v7
	v_lshlrev_b32_e32 v5, 2, v81
	ds_bpermute_b32 v7, v0, v6
	s_and_saveexec_b32 s1, vcc_lo
	s_cbranch_execz .LBB337_462
; %bb.461:
	s_waitcnt lgkmcnt(0)
	v_max_f32_e32 v7, v7, v7
	v_max_f32_e32 v6, v6, v6
	;; [unrolled: 1-line block ×3, first 2 shown]
	ds_write_b32 v5, v6 offset:224
.LBB337_462:
	s_or_b32 exec_lo, exec_lo, s1
	v_cmp_gt_u32_e64 s1, 4, v24
	s_waitcnt lgkmcnt(0)
	v_mov_b32_e32 v7, 0xff7fffff
	v_lshlrev_b32_e32 v6, 2, v24
	s_waitcnt_vscnt null, 0x0
	s_barrier
	buffer_gl0_inv
	s_and_saveexec_b32 s2, s1
; %bb.463:
	ds_read_b32 v7, v6 offset:224
; %bb.464:
	s_or_b32 exec_lo, exec_lo, s2
	s_waitcnt lgkmcnt(0)
	ds_bpermute_b32 v8, v0, v7
	v_xor_b32_e32 v9, 1, v14
	v_max_f32_e32 v7, v7, v7
	v_lshlrev_b32_e32 v2, 2, v2
	v_cmp_lt_i32_e64 s2, v9, v10
	v_cndmask_b32_e64 v9, v14, v9, s2
	s_lshl_b32 s2, s12, 4
	s_min_i32 s4, s2, s11
	v_lshlrev_b32_e32 v25, 2, v9
	v_cmp_gt_i32_e64 s2, s4, v21
	s_waitcnt lgkmcnt(0)
	v_max_f32_e32 v8, v8, v8
	v_max_f32_e32 v7, v7, v8
	ds_bpermute_b32 v8, v25, v7
	s_waitcnt lgkmcnt(0)
	v_max_f32_e32 v8, v8, v8
	v_max_f32_e32 v7, v7, v8
	ds_bpermute_b32 v8, v2, v7
	v_mov_b32_e32 v7, 0
	v_lshl_add_u32 v2, v21, 2, 0x100
	s_and_saveexec_b32 s5, s2
	s_cbranch_execz .LBB337_468
; %bb.465:
	v_lshl_add_u32 v9, v21, 2, 0x100
	v_mov_b32_e32 v7, 0
	v_mov_b32_e32 v10, v21
	s_mov_b32 s15, 0
	.p2align	6
.LBB337_466:                            ; =>This Inner Loop Header: Depth=1
	ds_read_b32 v11, v9
	v_add_nc_u32_e32 v10, 0x80, v10
	v_cmp_le_i32_e64 s3, s4, v10
	s_or_b32 s15, s3, s15
	s_waitcnt lgkmcnt(0)
	v_sub_f32_e32 v11, v11, v8
	v_mul_f32_e32 v11, 0x3fb8aa3b, v11
	v_exp_f32_e32 v11, v11
	ds_write_b32 v9, v11
	v_add_f32_e32 v7, v7, v11
	v_add_nc_u32_e32 v9, 0x200, v9
	s_andn2_b32 exec_lo, exec_lo, s15
	s_cbranch_execnz .LBB337_466
; %bb.467:
	s_or_b32 exec_lo, exec_lo, s15
.LBB337_468:
	s_or_b32 exec_lo, exec_lo, s5
	ds_bpermute_b32 v1, v1, v7
	s_waitcnt lgkmcnt(0)
	v_add_f32_e32 v1, v7, v1
	ds_bpermute_b32 v3, v3, v1
	s_waitcnt lgkmcnt(0)
	v_add_f32_e32 v1, v1, v3
	;; [unrolled: 3-line block ×5, first 2 shown]
	s_and_saveexec_b32 s3, vcc_lo
; %bb.469:
	ds_write_b32 v5, v1 offset:240
; %bb.470:
	s_or_b32 exec_lo, exec_lo, s3
	s_waitcnt lgkmcnt(0)
	s_barrier
	buffer_gl0_inv
	s_and_saveexec_b32 s3, s1
; %bb.471:
	ds_read_b32 v1, v6 offset:240
; %bb.472:
	s_or_b32 exec_lo, exec_lo, s3
	s_waitcnt lgkmcnt(0)
	ds_bpermute_b32 v0, v0, v1
	v_lshlrev_b32_e32 v3, 2, v14
	s_waitcnt lgkmcnt(0)
	v_add_f32_e32 v0, v1, v0
	ds_bpermute_b32 v1, v25, v0
	s_waitcnt lgkmcnt(0)
	v_add_f32_e32 v0, v0, v1
	v_and_b32_e32 v1, 0xffffff80, v3
	ds_bpermute_b32 v0, v1, v0
	s_and_saveexec_b32 s1, s2
	s_cbranch_execz .LBB337_475
; %bb.473:
	s_waitcnt lgkmcnt(0)
	v_add_f32_e32 v0, 0x358637bd, v0
	s_mov_b32 s2, 0
	v_div_scale_f32 v1, null, v0, v0, 1.0
	v_div_scale_f32 v5, vcc_lo, 1.0, v0, 1.0
	v_rcp_f32_e32 v3, v1
	v_fma_f32 v4, -v1, v3, 1.0
	v_fmac_f32_e32 v3, v4, v3
	v_mul_f32_e32 v4, v5, v3
	v_fma_f32 v6, -v1, v4, v5
	v_fmac_f32_e32 v4, v6, v3
	v_fma_f32 v1, -v1, v4, v5
	v_div_fmas_f32 v1, v1, v3, v4
	v_div_fixup_f32 v0, v1, v0, 1.0
	v_mov_b32_e32 v1, v21
.LBB337_474:                            ; =>This Inner Loop Header: Depth=1
	ds_read_b32 v3, v2
	v_add_nc_u32_e32 v1, 0x80, v1
	v_cmp_le_i32_e32 vcc_lo, s4, v1
	s_or_b32 s2, vcc_lo, s2
	s_waitcnt lgkmcnt(0)
	v_mul_f32_e32 v3, v0, v3
	ds_write_b32 v2, v3
	v_add_nc_u32_e32 v2, 0x200, v2
	s_andn2_b32 exec_lo, exec_lo, s2
	s_cbranch_execnz .LBB337_474
.LBB337_475:
	s_or_b32 exec_lo, exec_lo, s1
	v_mov_b32_e32 v31, 0
	v_mov_b32_e32 v32, 0
	;; [unrolled: 1-line block ×7, first 2 shown]
	s_waitcnt lgkmcnt(0)
	s_barrier
	buffer_gl0_inv
	s_and_saveexec_b32 s1, s0
	s_cbranch_execz .LBB337_913
; %bb.476:
	s_load_dword s5, s[18:19], 0x0
	v_and_b32_e32 v1, 0xf8, v12
	v_and_b32_e32 v0, 8, v12
	v_lshlrev_b32_e32 v3, 4, v81
	s_ashr_i32 s0, s14, 31
	s_add_u32 s2, s26, s14
	v_lshlrev_b32_e32 v2, 5, v22
	s_addc_u32 s0, s27, s0
	v_add_co_u32 v11, s2, s2, v1
	v_or3_b32 v33, v3, v0, 7
	v_and_b32_e32 v0, 0x7c, v13
	v_add_co_ci_u32_e64 v12, null, s0, 0, s2
	s_lshl_b64 s[2:3], s[24:25], 2
	s_mov_b32 s4, s13
	s_add_i32 s13, s12, -1
	v_lshl_or_b32 v2, v81, 6, v2
	s_add_u32 s0, s22, s2
	s_addc_u32 s2, s23, s3
	v_add_co_u32 v13, s0, s0, v0
	v_mov_b32_e32 v100, v21
	v_mov_b32_e32 v101, v22
	;; [unrolled: 1-line block ×3, first 2 shown]
	v_add_nc_u32_e32 v34, 0x100, v2
	v_add_co_ci_u32_e64 v14, null, s2, 0, s0
	v_mov_b32_e32 v35, 0x80
	v_mov_b32_e32 v36, 0xffff
	;; [unrolled: 1-line block ×14, first 2 shown]
	s_mov_b32 s2, -1
	s_mov_b32 s3, 0xffffff
	s_mov_b32 s14, 0
	s_branch .LBB337_478
.LBB337_477:                            ;   in Loop: Header=BB337_478 Depth=1
	s_or_b32 exec_lo, exec_lo, s0
	v_bfe_u32 v49, v5, 16, 1
	v_or_b32_e32 v50, 0x400000, v5
	v_bfe_u32 v51, v6, 16, 1
	v_cmp_u_f32_e32 vcc_lo, v5, v5
	v_bfe_u32 v52, v7, 16, 1
	v_add3_u32 v49, v49, v5, 0x7fff
	v_or_b32_e32 v53, 0x400000, v6
	v_add3_u32 v51, v51, v6, 0x7fff
	v_or_b32_e32 v54, 0x400000, v7
	v_add3_u32 v52, v52, v7, 0x7fff
	v_cndmask_b32_e32 v5, v49, v50, vcc_lo
	v_cmp_u_f32_e32 vcc_lo, v6, v6
	v_bfe_u32 v49, v8, 16, 1
	v_bfe_u32 v50, v1, 16, 1
	v_lshlrev_b32_e32 v0, 16, v0
	v_and_b32_e32 v5, 0xffff0000, v5
	v_cndmask_b32_e32 v6, v51, v53, vcc_lo
	v_cmp_u_f32_e32 vcc_lo, v7, v7
	v_add3_u32 v49, v49, v8, 0x7fff
	v_or_b32_e32 v51, 0x400000, v8
	v_add3_u32 v50, v50, v1, 0x7fff
	v_bfe_u32 v53, v2, 16, 1
	v_cndmask_b32_e32 v7, v52, v54, vcc_lo
	v_cmp_u_f32_e32 vcc_lo, v8, v8
	v_or_b32_e32 v52, 0x400000, v1
	v_lshlrev_b32_e32 v20, 16, v20
	v_lshlrev_b32_e32 v21, 16, v21
	;; [unrolled: 1-line block ×3, first 2 shown]
	v_cndmask_b32_e32 v8, v49, v51, vcc_lo
	v_cmp_u_f32_e32 vcc_lo, v1, v1
	v_or_b32_e32 v51, 0x400000, v2
	v_and_b32_e32 v1, 0xffff0000, v6
	v_lshlrev_b32_e32 v6, 16, v90
	v_lshlrev_b32_e32 v47, 16, v47
	v_cndmask_b32_e32 v49, v50, v52, vcc_lo
	v_add3_u32 v50, v53, v2, 0x7fff
	v_bfe_u32 v52, v3, 16, 1
	v_cmp_u_f32_e32 vcc_lo, v2, v2
	v_mul_f32_e32 v53, v1, v6
	v_lshlrev_b32_e32 v6, 16, v88
	v_mul_f32_e32 v47, v5, v47
	v_add3_u32 v2, v52, v3, 0x7fff
	v_cndmask_b32_e32 v50, v50, v51, vcc_lo
	v_or_b32_e32 v51, 0x400000, v3
	v_bfe_u32 v52, v4, 16, 1
	v_cmp_u_f32_e32 vcc_lo, v3, v3
	v_bfe_u32 v54, v53, 16, 1
	v_mul_f32_e32 v55, v5, v6
	v_lshlrev_b32_e32 v6, 16, v22
	v_add3_u32 v3, v52, v4, 0x7fff
	v_cndmask_b32_e32 v51, v2, v51, vcc_lo
	v_or_b32_e32 v52, 0x400000, v4
	v_and_b32_e32 v2, 0xffff0000, v8
	v_cmp_u_f32_e32 vcc_lo, v4, v4
	v_or_b32_e32 v8, 0x400000, v53
	v_bfe_u32 v22, v55, 16, 1
	v_lshlrev_b32_e32 v46, 16, v46
	v_lshlrev_b32_e32 v42, 16, v42
	v_cndmask_b32_e32 v4, v3, v52, vcc_lo
	v_add3_u32 v3, v54, v53, 0x7fff
	v_mul_f32_e32 v52, v2, v6
	v_and_b32_e32 v6, 0xffff0000, v7
	v_lshlrev_b32_e32 v7, 16, v23
	v_cmp_u_f32_e32 vcc_lo, v53, v53
	v_add3_u32 v22, v22, v55, 0x7fff
	v_or_b32_e32 v23, 0x400000, v55
	v_bfe_u32 v53, v52, 16, 1
	v_mul_f32_e32 v54, v6, v7
	v_cndmask_b32_e32 v8, v3, v8, vcc_lo
	v_and_b32_e32 v3, 0xffff0000, v50
	v_lshlrev_b32_e32 v7, 16, v19
	v_cmp_u_f32_e32 vcc_lo, v55, v55
	v_bfe_u32 v50, v54, 16, 1
	v_and_b32_e32 v8, 0xffff0000, v8
	v_mul_f32_e32 v46, v6, v46
	v_mul_f32_e32 v42, v3, v42
	v_cndmask_b32_e32 v19, v22, v23, vcc_lo
	v_add3_u32 v22, v53, v52, 0x7fff
	v_or_b32_e32 v23, 0x400000, v52
	v_mul_f32_e32 v53, v3, v7
	v_and_b32_e32 v7, 0xffff0000, v49
	v_cmp_u_f32_e32 vcc_lo, v52, v52
	v_or_b32_e32 v49, 0x400000, v54
	v_and_b32_e32 v19, 0xffff0000, v19
	v_lshlrev_b32_e32 v41, 16, v41
	v_mul_f32_e32 v52, v7, v0
	v_cndmask_b32_e32 v22, v22, v23, vcc_lo
	v_add3_u32 v23, v50, v54, 0x7fff
	v_bfe_u32 v50, v53, 16, 1
	v_and_b32_e32 v0, 0xffff0000, v4
	v_and_b32_e32 v4, 0xffff0000, v51
	v_cmp_u_f32_e32 vcc_lo, v54, v54
	v_or_b32_e32 v51, 0x400000, v53
	v_add3_u32 v50, v50, v53, 0x7fff
	v_mul_f32_e32 v21, v0, v21
	v_mul_f32_e32 v20, v4, v20
	v_cndmask_b32_e32 v23, v23, v49, vcc_lo
	v_bfe_u32 v49, v52, 16, 1
	v_cmp_u_f32_e32 vcc_lo, v53, v53
	v_or_b32_e32 v54, 0x400000, v52
	v_bfe_u32 v88, v20, 16, 1
	v_bfe_u32 v55, v21, 16, 1
	v_add3_u32 v49, v49, v52, 0x7fff
	v_cndmask_b32_e32 v50, v50, v51, vcc_lo
	v_cmp_u_f32_e32 vcc_lo, v52, v52
	v_add3_u32 v52, v88, v20, 0x7fff
	v_or_b32_e32 v53, 0x400000, v20
	v_add3_u32 v51, v55, v21, 0x7fff
	v_and_b32_e32 v23, 0xffff0000, v23
	v_cndmask_b32_e32 v49, v49, v54, vcc_lo
	v_cmp_u_f32_e32 vcc_lo, v20, v20
	v_and_b32_e32 v22, 0xffff0000, v22
	v_or_b32_e32 v54, 0x400000, v21
	v_add_f32_e32 v8, v19, v8
	v_lshlrev_b32_e32 v45, 16, v45
	v_cndmask_b32_e32 v20, v52, v53, vcc_lo
	v_cmp_u_f32_e32 vcc_lo, v21, v21
	v_add_f32_e32 v19, v23, v22
	v_and_b32_e32 v22, 0xffff0000, v49
	v_and_b32_e32 v23, 0xffff0000, v50
	;; [unrolled: 1-line block ×3, first 2 shown]
	v_cndmask_b32_e32 v21, v51, v54, vcc_lo
	v_add_f32_e32 v8, v19, v8
	v_lshlrev_b32_e32 v50, 16, v85
	v_add_f32_e32 v19, v22, v23
	v_lshlrev_b32_e32 v22, 16, v87
	v_and_b32_e32 v21, 0xffff0000, v21
	v_lshlrev_b32_e32 v23, 16, v86
	v_lshlrev_b32_e32 v52, 16, v84
	v_add_f32_e32 v8, v19, v8
	v_mul_f32_e32 v41, v7, v41
	v_add_f32_e32 v19, v20, v21
	v_mul_f32_e32 v20, v1, v22
	v_mul_f32_e32 v21, v5, v23
	v_lshlrev_b32_e32 v23, 16, v83
	v_mul_f32_e32 v45, v0, v45
	v_add_f32_e32 v8, v19, v8
	v_bfe_u32 v19, v20, 16, 1
	v_bfe_u32 v22, v21, 16, 1
	v_cmp_u_f32_e32 vcc_lo, v20, v20
	v_mul_f32_e32 v23, v2, v23
	v_add_f32_e32 v27, v27, v8
	v_add3_u32 v8, v19, v20, 0x7fff
	v_or_b32_e32 v19, 0x400000, v20
	v_add3_u32 v22, v22, v21, 0x7fff
	v_or_b32_e32 v49, 0x400000, v21
	v_lshlrev_b32_e32 v43, 16, v43
	v_lshlrev_b32_e32 v16, 16, v16
	v_cndmask_b32_e32 v8, v8, v19, vcc_lo
	v_cmp_u_f32_e32 vcc_lo, v21, v21
	v_bfe_u32 v19, v23, 16, 1
	v_mul_f32_e32 v21, v6, v50
	v_lshlrev_b32_e32 v50, 16, v81
	v_and_b32_e32 v8, 0xffff0000, v8
	v_cndmask_b32_e32 v20, v22, v49, vcc_lo
	v_lshlrev_b32_e32 v22, 16, v80
	v_add3_u32 v19, v19, v23, 0x7fff
	v_or_b32_e32 v49, 0x400000, v23
	v_bfe_u32 v51, v21, 16, 1
	v_cmp_u_f32_e32 vcc_lo, v23, v23
	v_mul_f32_e32 v22, v3, v22
	v_mul_f32_e32 v23, v7, v50
	v_or_b32_e32 v50, 0x400000, v21
	v_and_b32_e32 v20, 0xffff0000, v20
	v_cndmask_b32_e32 v19, v19, v49, vcc_lo
	v_add3_u32 v49, v51, v21, 0x7fff
	v_bfe_u32 v51, v22, 16, 1
	v_bfe_u32 v53, v23, 16, 1
	v_cmp_u_f32_e32 vcc_lo, v21, v21
	v_or_b32_e32 v54, 0x400000, v23
	v_and_b32_e32 v19, 0xffff0000, v19
	v_add_f32_e32 v8, v20, v8
	v_mul_f32_e32 v43, v4, v43
	v_cndmask_b32_e32 v21, v49, v50, vcc_lo
	v_add3_u32 v49, v51, v22, 0x7fff
	v_mul_f32_e32 v50, v0, v52
	v_or_b32_e32 v51, 0x400000, v22
	v_add3_u32 v52, v53, v23, 0x7fff
	v_lshlrev_b32_e32 v53, 16, v82
	v_cmp_u_f32_e32 vcc_lo, v22, v22
	v_bfe_u32 v55, v50, 16, 1
	v_and_b32_e32 v21, 0xffff0000, v21
	v_lshlrev_b32_e32 v15, 16, v15
	v_lshlrev_b32_e32 v9, 16, v9
	v_cndmask_b32_e32 v22, v49, v51, vcc_lo
	v_mul_f32_e32 v49, v4, v53
	v_cmp_u_f32_e32 vcc_lo, v23, v23
	v_add3_u32 v51, v55, v50, 0x7fff
	v_add_f32_e32 v19, v21, v19
	v_and_b32_e32 v21, 0xffff0000, v22
	v_bfe_u32 v53, v49, 16, 1
	v_cndmask_b32_e32 v23, v52, v54, vcc_lo
	v_or_b32_e32 v52, 0x400000, v50
	v_cmp_u_f32_e32 vcc_lo, v50, v50
	v_lshlrev_b32_e32 v22, 16, v79
	v_add_f32_e32 v8, v19, v8
	v_and_b32_e32 v20, 0xffff0000, v23
	v_lshlrev_b32_e32 v23, 16, v78
	v_cndmask_b32_e32 v50, v51, v52, vcc_lo
	v_add3_u32 v51, v53, v49, 0x7fff
	v_or_b32_e32 v52, 0x400000, v49
	v_cmp_u_f32_e32 vcc_lo, v49, v49
	v_mul_f32_e32 v19, v1, v22
	v_add_f32_e32 v20, v20, v21
	v_mul_f32_e32 v21, v5, v23
	v_and_b32_e32 v23, 0xffff0000, v50
	v_cndmask_b32_e32 v49, v51, v52, vcc_lo
	v_lshlrev_b32_e32 v50, 16, v75
	v_add_f32_e32 v8, v20, v8
	v_bfe_u32 v20, v21, 16, 1
	v_lshlrev_b32_e32 v52, 16, v77
	v_and_b32_e32 v22, 0xffff0000, v49
	v_bfe_u32 v49, v19, 16, 1
	v_mul_f32_e32 v50, v2, v50
	v_cmp_u_f32_e32 vcc_lo, v19, v19
	v_add3_u32 v20, v20, v21, 0x7fff
	v_add_f32_e32 v22, v22, v23
	v_add3_u32 v23, v49, v19, 0x7fff
	v_or_b32_e32 v49, 0x400000, v19
	v_or_b32_e32 v51, 0x400000, v21
	v_lshlrev_b32_e32 v54, 16, v76
	v_add_f32_e32 v8, v22, v8
	v_lshlrev_b32_e32 v17, 16, v17
	v_cndmask_b32_e32 v19, v23, v49, vcc_lo
	v_bfe_u32 v23, v50, 16, 1
	v_cmp_u_f32_e32 vcc_lo, v21, v21
	v_mul_f32_e32 v21, v6, v52
	v_lshlrev_b32_e32 v49, 16, v72
	v_lshlrev_b32_e32 v52, 16, v73
	v_add3_u32 v23, v23, v50, 0x7fff
	v_cndmask_b32_e32 v20, v20, v51, vcc_lo
	v_or_b32_e32 v51, 0x400000, v50
	v_bfe_u32 v53, v21, 16, 1
	v_mul_f32_e32 v49, v3, v49
	v_cmp_u_f32_e32 vcc_lo, v50, v50
	v_mul_f32_e32 v50, v7, v52
	v_or_b32_e32 v52, 0x400000, v21
	v_and_b32_e32 v20, 0xffff0000, v20
	v_and_b32_e32 v19, 0xffff0000, v19
	v_cndmask_b32_e32 v23, v23, v51, vcc_lo
	v_add3_u32 v51, v53, v21, 0x7fff
	v_bfe_u32 v53, v49, 16, 1
	v_bfe_u32 v55, v50, 16, 1
	v_cmp_u_f32_e32 vcc_lo, v21, v21
	v_or_b32_e32 v72, 0x400000, v50
	v_and_b32_e32 v23, 0xffff0000, v23
	v_add_f32_e32 v19, v20, v19
	v_add_f32_e32 v28, v28, v8
	v_cndmask_b32_e32 v21, v51, v52, vcc_lo
	v_add3_u32 v51, v53, v49, 0x7fff
	v_mul_f32_e32 v52, v0, v54
	v_or_b32_e32 v53, 0x400000, v49
	v_add3_u32 v54, v55, v50, 0x7fff
	v_lshlrev_b32_e32 v55, 16, v74
	v_cmp_u_f32_e32 vcc_lo, v49, v49
	v_bfe_u32 v73, v52, 16, 1
	v_and_b32_e32 v21, 0xffff0000, v21
	v_add_nc_u32_e32 v40, 4, v40
	v_add_co_u32 v13, s0, v13, 16
	v_cndmask_b32_e32 v49, v51, v53, vcc_lo
	v_mul_f32_e32 v51, v4, v55
	v_cmp_u_f32_e32 vcc_lo, v50, v50
	v_add3_u32 v53, v73, v52, 0x7fff
	v_add_f32_e32 v20, v21, v23
	v_and_b32_e32 v23, 0xffff0000, v49
	v_bfe_u32 v55, v51, 16, 1
	v_cndmask_b32_e32 v50, v54, v72, vcc_lo
	v_or_b32_e32 v54, 0x400000, v52
	v_cmp_u_f32_e32 vcc_lo, v52, v52
	v_add_f32_e32 v19, v20, v19
	v_lshlrev_b32_e32 v20, 16, v71
	v_and_b32_e32 v21, 0xffff0000, v50
	v_add_nc_u32_e32 v33, 64, v33
	v_cndmask_b32_e32 v52, v53, v54, vcc_lo
	v_add3_u32 v53, v55, v51, 0x7fff
	v_or_b32_e32 v54, 0x400000, v51
	v_cmp_u_f32_e32 vcc_lo, v51, v51
	v_add_f32_e32 v21, v21, v23
	v_lshlrev_b32_e32 v23, 16, v70
	v_and_b32_e32 v50, 0xffff0000, v52
	v_mul_f32_e32 v20, v1, v20
	v_cndmask_b32_e32 v49, v53, v54, vcc_lo
	v_add_f32_e32 v19, v21, v19
	v_mul_f32_e32 v22, v5, v23
	v_lshlrev_b32_e32 v51, 16, v69
	v_bfe_u32 v23, v20, 16, 1
	v_and_b32_e32 v49, 0xffff0000, v49
	v_cmp_u_f32_e32 vcc_lo, v20, v20
	v_lshlrev_b32_e32 v53, 16, v68
	v_add_nc_u32_e32 v34, 0x100, v34
	v_add_co_ci_u32_e64 v14, null, 0, v14, s0
	v_add_f32_e32 v21, v49, v50
	v_bfe_u32 v49, v22, 16, 1
	v_lshlrev_b32_e32 v50, 16, v67
	v_add_f32_e32 v8, v21, v19
	v_add3_u32 v19, v23, v20, 0x7fff
	v_or_b32_e32 v21, 0x400000, v20
	v_add3_u32 v23, v49, v22, 0x7fff
	v_mul_f32_e32 v49, v2, v50
	v_or_b32_e32 v50, 0x400000, v22
	v_add_f32_e32 v29, v29, v8
	v_cndmask_b32_e32 v19, v19, v21, vcc_lo
	v_cmp_u_f32_e32 vcc_lo, v22, v22
	v_bfe_u32 v20, v49, 16, 1
	v_mul_f32_e32 v22, v6, v51
	v_lshlrev_b32_e32 v51, 16, v65
	v_and_b32_e32 v19, 0xffff0000, v19
	v_cndmask_b32_e32 v21, v23, v50, vcc_lo
	v_lshlrev_b32_e32 v23, 16, v64
	v_add3_u32 v20, v20, v49, 0x7fff
	v_or_b32_e32 v50, 0x400000, v49
	v_bfe_u32 v52, v22, 16, 1
	v_cmp_u_f32_e32 vcc_lo, v49, v49
	v_mul_f32_e32 v23, v3, v23
	v_mul_f32_e32 v49, v7, v51
	v_or_b32_e32 v51, 0x400000, v22
	v_and_b32_e32 v21, 0xffff0000, v21
	v_cndmask_b32_e32 v20, v20, v50, vcc_lo
	v_add3_u32 v50, v52, v22, 0x7fff
	v_bfe_u32 v52, v23, 16, 1
	v_bfe_u32 v54, v49, 16, 1
	v_cmp_u_f32_e32 vcc_lo, v22, v22
	v_or_b32_e32 v55, 0x400000, v49
	v_and_b32_e32 v20, 0xffff0000, v20
	v_add_f32_e32 v19, v21, v19
	v_cndmask_b32_e32 v22, v50, v51, vcc_lo
	v_add3_u32 v50, v52, v23, 0x7fff
	v_mul_f32_e32 v51, v0, v53
	v_or_b32_e32 v52, 0x400000, v23
	v_add3_u32 v53, v54, v49, 0x7fff
	v_lshlrev_b32_e32 v54, 16, v66
	v_cmp_u_f32_e32 vcc_lo, v23, v23
	v_bfe_u32 v64, v51, 16, 1
	v_and_b32_e32 v22, 0xffff0000, v22
	v_cndmask_b32_e32 v23, v50, v52, vcc_lo
	v_mul_f32_e32 v50, v4, v54
	v_cmp_u_f32_e32 vcc_lo, v49, v49
	v_add3_u32 v52, v64, v51, 0x7fff
	v_add_f32_e32 v20, v22, v20
	v_and_b32_e32 v22, 0xffff0000, v23
	v_bfe_u32 v54, v50, 16, 1
	v_cndmask_b32_e32 v49, v53, v55, vcc_lo
	v_or_b32_e32 v53, 0x400000, v51
	v_cmp_u_f32_e32 vcc_lo, v51, v51
	v_lshlrev_b32_e32 v23, 16, v63
	v_add_f32_e32 v19, v20, v19
	v_and_b32_e32 v21, 0xffff0000, v49
	v_cndmask_b32_e32 v51, v52, v53, vcc_lo
	v_add3_u32 v52, v54, v50, 0x7fff
	v_or_b32_e32 v53, 0x400000, v50
	v_cmp_u_f32_e32 vcc_lo, v50, v50
	v_lshlrev_b32_e32 v50, 16, v62
	v_add_f32_e32 v20, v21, v22
	v_mul_f32_e32 v21, v1, v23
	v_lshlrev_b32_e32 v54, 16, v61
	v_cndmask_b32_e32 v49, v52, v53, vcc_lo
	v_mul_f32_e32 v23, v5, v50
	v_lshlrev_b32_e32 v50, 16, v59
	v_add_f32_e32 v19, v20, v19
	v_cmp_u_f32_e32 vcc_lo, v21, v21
	v_and_b32_e32 v22, 0xffff0000, v49
	v_and_b32_e32 v49, 0xffff0000, v51
	v_bfe_u32 v51, v21, 16, 1
	v_bfe_u32 v52, v23, 16, 1
	v_add_f32_e32 v20, v22, v49
	v_mul_f32_e32 v22, v2, v50
	v_add3_u32 v49, v51, v21, 0x7fff
	v_or_b32_e32 v50, 0x400000, v21
	v_add3_u32 v51, v52, v23, 0x7fff
	v_or_b32_e32 v52, 0x400000, v23
	v_bfe_u32 v53, v22, 16, 1
	v_cndmask_b32_e32 v21, v49, v50, vcc_lo
	v_cmp_u_f32_e32 vcc_lo, v23, v23
	v_mul_f32_e32 v49, v6, v54
	v_add3_u32 v50, v53, v22, 0x7fff
	v_lshlrev_b32_e32 v53, 16, v57
	v_and_b32_e32 v21, 0xffff0000, v21
	v_cndmask_b32_e32 v23, v51, v52, vcc_lo
	v_or_b32_e32 v51, 0x400000, v22
	v_lshlrev_b32_e32 v52, 16, v56
	v_cmp_u_f32_e32 vcc_lo, v22, v22
	v_bfe_u32 v54, v49, 16, 1
	v_and_b32_e32 v23, 0xffff0000, v23
	v_cndmask_b32_e32 v22, v50, v51, vcc_lo
	v_mul_f32_e32 v50, v3, v52
	v_mul_f32_e32 v51, v7, v53
	v_add3_u32 v52, v54, v49, 0x7fff
	v_or_b32_e32 v53, 0x400000, v49
	v_lshlrev_b32_e32 v54, 16, v60
	v_bfe_u32 v55, v50, 16, 1
	v_cmp_u_f32_e32 vcc_lo, v49, v49
	v_bfe_u32 v56, v51, 16, 1
	v_and_b32_e32 v22, 0xffff0000, v22
	v_add_f32_e32 v21, v23, v21
	v_mul_f32_e32 v7, v7, v15
	v_cndmask_b32_e32 v49, v52, v53, vcc_lo
	v_mul_f32_e32 v52, v0, v54
	v_add3_u32 v53, v55, v50, 0x7fff
	v_or_b32_e32 v54, 0x400000, v50
	v_cmp_u_f32_e32 vcc_lo, v50, v50
	v_add3_u32 v55, v56, v51, 0x7fff
	v_or_b32_e32 v56, 0x400000, v51
	v_bfe_u32 v57, v52, 16, 1
	v_and_b32_e32 v49, 0xffff0000, v49
	v_cndmask_b32_e32 v50, v53, v54, vcc_lo
	v_lshlrev_b32_e32 v53, 16, v58
	v_cmp_u_f32_e32 vcc_lo, v51, v51
	v_add3_u32 v54, v57, v52, 0x7fff
	v_add_f32_e32 v22, v49, v22
	v_and_b32_e32 v49, 0xffff0000, v50
	v_mul_f32_e32 v53, v4, v53
	v_cndmask_b32_e32 v51, v55, v56, vcc_lo
	v_or_b32_e32 v55, 0x400000, v52
	v_cmp_u_f32_e32 vcc_lo, v52, v52
	v_add_f32_e32 v21, v22, v21
	v_mul_f32_e32 v22, v1, v48
	v_and_b32_e32 v23, 0xffff0000, v51
	v_or_b32_e32 v51, 0x400000, v53
	v_cndmask_b32_e32 v52, v54, v55, vcc_lo
	v_bfe_u32 v54, v53, 16, 1
	v_cmp_u_f32_e32 vcc_lo, v53, v53
	v_add_f32_e32 v23, v23, v49
	v_bfe_u32 v49, v22, 16, 1
	v_mul_f32_e32 v3, v3, v9
	v_add3_u32 v50, v54, v53, 0x7fff
	v_lshlrev_b32_e32 v9, 16, v18
	v_add_f32_e32 v21, v23, v21
	v_lshlrev_b32_e32 v23, 16, v44
	v_mul_f32_e32 v0, v0, v17
	v_cndmask_b32_e32 v48, v50, v51, vcc_lo
	v_bfe_u32 v51, v47, 16, 1
	v_cmp_u_f32_e32 vcc_lo, v22, v22
	v_mul_f32_e32 v23, v2, v23
	v_and_b32_e32 v50, 0xffff0000, v52
	v_and_b32_e32 v44, 0xffff0000, v48
	v_add3_u32 v48, v49, v22, 0x7fff
	v_or_b32_e32 v49, 0x400000, v22
	v_or_b32_e32 v52, 0x400000, v23
	v_mul_f32_e32 v2, v2, v16
	v_mul_f32_e32 v4, v4, v9
	v_or_b32_e32 v9, 0x400000, v7
	v_cndmask_b32_e32 v22, v48, v49, vcc_lo
	v_bfe_u32 v48, v23, 16, 1
	v_add3_u32 v49, v51, v47, 0x7fff
	v_or_b32_e32 v51, 0x400000, v47
	v_cmp_u_f32_e32 vcc_lo, v47, v47
	v_and_b32_e32 v22, 0xffff0000, v22
	v_add3_u32 v48, v48, v23, 0x7fff
	v_or_b32_e32 v17, 0x400000, v3
	v_bfe_u32 v18, v4, 16, 1
	v_cndmask_b32_e32 v47, v49, v51, vcc_lo
	v_bfe_u32 v49, v46, 16, 1
	v_cmp_u_f32_e32 vcc_lo, v23, v23
	v_or_b32_e32 v51, 0x400000, v46
	v_and_b32_e32 v47, 0xffff0000, v47
	v_add3_u32 v49, v49, v46, 0x7fff
	v_cndmask_b32_e32 v23, v48, v52, vcc_lo
	v_bfe_u32 v48, v42, 16, 1
	v_cmp_u_f32_e32 vcc_lo, v46, v46
	v_or_b32_e32 v52, 0x400000, v42
	v_add_f32_e32 v22, v47, v22
	v_and_b32_e32 v23, 0xffff0000, v23
	v_add3_u32 v48, v48, v42, 0x7fff
	v_cndmask_b32_e32 v46, v49, v51, vcc_lo
	v_bfe_u32 v49, v41, 16, 1
	v_cmp_u_f32_e32 vcc_lo, v42, v42
	v_bfe_u32 v51, v45, 16, 1
	v_and_b32_e32 v46, 0xffff0000, v46
	v_cndmask_b32_e32 v42, v48, v52, vcc_lo
	v_add3_u32 v48, v49, v41, 0x7fff
	v_or_b32_e32 v49, 0x400000, v41
	v_cmp_u_f32_e32 vcc_lo, v41, v41
	v_add3_u32 v51, v51, v45, 0x7fff
	v_or_b32_e32 v52, 0x400000, v45
	v_add_f32_e32 v23, v46, v23
	v_and_b32_e32 v42, 0xffff0000, v42
	v_cndmask_b32_e32 v41, v48, v49, vcc_lo
	v_cmp_u_f32_e32 vcc_lo, v45, v45
	v_bfe_u32 v48, v43, 16, 1
	v_lshlrev_b32_e32 v46, 16, v91
	v_or_b32_e32 v49, 0x400000, v43
	v_and_b32_e32 v41, 0xffff0000, v41
	v_cndmask_b32_e32 v45, v51, v52, vcc_lo
	v_lshlrev_b32_e32 v51, 16, v92
	v_add3_u32 v48, v48, v43, 0x7fff
	v_cmp_u_f32_e32 vcc_lo, v43, v43
	v_add_f32_e32 v22, v23, v22
	v_add_f32_e32 v41, v41, v42
	v_mul_f32_e32 v5, v5, v51
	v_mul_f32_e32 v1, v1, v46
	v_lshlrev_b32_e32 v42, 16, v89
	v_cndmask_b32_e32 v43, v48, v49, vcc_lo
	v_bfe_u32 v23, v5, 16, 1
	v_or_b32_e32 v46, 0x400000, v5
	v_bfe_u32 v47, v1, 16, 1
	v_mul_f32_e32 v6, v6, v42
	v_cmp_u_f32_e32 vcc_lo, v5, v5
	v_add3_u32 v23, v23, v5, 0x7fff
	v_or_b32_e32 v42, 0x400000, v1
	v_and_b32_e32 v43, 0xffff0000, v43
	v_cndmask_b32_e32 v5, v23, v46, vcc_lo
	v_add3_u32 v23, v47, v1, 0x7fff
	v_bfe_u32 v46, v6, 16, 1
	v_cmp_u_f32_e32 vcc_lo, v1, v1
	v_and_b32_e32 v5, 0xffff0000, v5
	v_add3_u32 v16, v46, v6, 0x7fff
	v_cndmask_b32_e32 v1, v23, v42, vcc_lo
	v_or_b32_e32 v23, 0x400000, v6
	v_bfe_u32 v42, v2, 16, 1
	v_cmp_u_f32_e32 vcc_lo, v6, v6
	v_and_b32_e32 v1, 0xffff0000, v1
	v_add3_u32 v15, v42, v2, 0x7fff
	v_cndmask_b32_e32 v6, v16, v23, vcc_lo
	v_or_b32_e32 v16, 0x400000, v2
	v_bfe_u32 v23, v7, 16, 1
	v_cmp_u_f32_e32 vcc_lo, v2, v2
	v_add_f32_e32 v1, v5, v1
	v_and_b32_e32 v6, 0xffff0000, v6
	v_cndmask_b32_e32 v2, v15, v16, vcc_lo
	v_bfe_u32 v15, v3, 16, 1
	v_add3_u32 v16, v23, v7, 0x7fff
	v_cmp_u_f32_e32 vcc_lo, v7, v7
	v_bfe_u32 v23, v0, 16, 1
	v_and_b32_e32 v2, 0xffff0000, v2
	v_add3_u32 v15, v15, v3, 0x7fff
	v_cndmask_b32_e32 v7, v16, v9, vcc_lo
	v_cmp_u_f32_e32 vcc_lo, v3, v3
	v_or_b32_e32 v16, 0x400000, v0
	v_add3_u32 v9, v18, v4, 0x7fff
	v_add_f32_e32 v2, v6, v2
	v_and_b32_e32 v5, 0xffff0000, v7
	v_cndmask_b32_e32 v3, v15, v17, vcc_lo
	v_add3_u32 v15, v23, v0, 0x7fff
	v_cmp_u_f32_e32 vcc_lo, v0, v0
	v_or_b32_e32 v17, 0x400000, v4
	v_and_b32_e32 v6, 0xffff0000, v45
	v_and_b32_e32 v3, 0xffff0000, v3
	v_add_f32_e32 v1, v2, v1
	v_cndmask_b32_e32 v0, v15, v16, vcc_lo
	v_cmp_u_f32_e32 vcc_lo, v4, v4
	v_add_f32_e32 v6, v43, v6
	v_add_f32_e32 v2, v5, v3
	;; [unrolled: 1-line block ×3, first 2 shown]
	v_and_b32_e32 v0, 0xffff0000, v0
	v_cndmask_b32_e32 v4, v9, v17, vcc_lo
	v_cmp_le_i32_e32 vcc_lo, s12, v40
	v_add_f32_e32 v1, v2, v1
	v_add_f32_e32 v2, v20, v19
	v_and_b32_e32 v3, 0xffff0000, v4
	v_add_f32_e32 v4, v44, v50
	s_or_b32 s14, vcc_lo, s14
	v_add_f32_e32 v30, v30, v2
	v_add_f32_e32 v0, v3, v0
	;; [unrolled: 1-line block ×8, first 2 shown]
	s_andn2_b32 exec_lo, exec_lo, s14
	s_cbranch_execz .LBB337_912
.LBB337_478:                            ; =>This Inner Loop Header: Depth=1
	global_load_dword v0, v[13:14], off
	s_waitcnt vmcnt(0)
	v_mad_i64_i32 v[15:16], null, v0, s4, v[11:12]
	v_mov_b32_e32 v0, 0
	global_load_dwordx2 v[17:18], v[15:16], off
	ds_read2_b64 v[5:8], v34 offset1:1
	ds_read2_b64 v[1:4], v34 offset0:2 offset1:3
	s_waitcnt vmcnt(0)
	v_cmp_ne_u16_sdwa s15, v17, v10 src0_sel:BYTE_0 src1_sel:DWORD
	s_and_saveexec_b32 s0, s15
	s_cbranch_execz .LBB337_484
; %bb.479:                              ;   in Loop: Header=BB337_478 Depth=1
	v_cmp_ne_u16_sdwa s16, v17, v35 src0_sel:BYTE_0 src1_sel:DWORD
	v_bfrev_b32_e32 v0, 1
	s_and_saveexec_b32 s15, s16
	s_cbranch_execz .LBB337_483
; %bb.480:                              ;   in Loop: Header=BB337_478 Depth=1
	v_and_b32_e32 v9, 0x7f, v17
	v_mov_b32_e32 v0, 0x7f800001
	s_mov_b32 s16, exec_lo
	v_cmpx_ne_u32_e32 0x7f, v9
	s_cbranch_execz .LBB337_482
; %bb.481:                              ;   in Loop: Header=BB337_478 Depth=1
	v_and_b32_e32 v0, 7, v17
	v_cmp_gt_u32_e32 vcc_lo, 8, v9
	v_lshrrev_b32_e32 v19, 3, v9
	v_ffbh_u32_e32 v0, v0
	v_min_u32_e32 v0, 32, v0
	v_subrev_nc_u32_e32 v20, 28, v0
	v_sub_nc_u32_e32 v0, 29, v0
	v_cndmask_b32_e32 v9, 0, v20, vcc_lo
	v_cndmask_b32_e32 v0, v19, v0, vcc_lo
	v_lshlrev_b64 v[19:20], v9, v[17:18]
	v_lshlrev_b32_e32 v9, 24, v17
	v_lshl_add_u32 v0, v0, 23, 0x3c000000
	v_and_b32_e32 v9, 0x80000000, v9
	v_lshlrev_b32_e32 v19, 20, v19
	v_and_b32_e32 v19, 0x700000, v19
	v_or3_b32 v0, v19, v9, v0
.LBB337_482:                            ;   in Loop: Header=BB337_478 Depth=1
	s_or_b32 exec_lo, exec_lo, s16
.LBB337_483:                            ;   in Loop: Header=BB337_478 Depth=1
	s_or_b32 exec_lo, exec_lo, s15
.LBB337_484:                            ;   in Loop: Header=BB337_478 Depth=1
	s_or_b32 exec_lo, exec_lo, s0
	v_cmp_ne_u16_sdwa s15, v17, v10 src0_sel:BYTE_1 src1_sel:DWORD
	v_mov_b32_e32 v22, 0
	v_mov_b32_e32 v21, 0
	s_and_saveexec_b32 s0, s15
	s_cbranch_execz .LBB337_492
; %bb.485:                              ;   in Loop: Header=BB337_478 Depth=1
	v_cmp_ne_u16_sdwa s16, v17, v35 src0_sel:BYTE_1 src1_sel:DWORD
	v_bfrev_b32_e32 v21, 1
	s_and_saveexec_b32 s15, s16
	s_cbranch_execz .LBB337_491
; %bb.486:                              ;   in Loop: Header=BB337_478 Depth=1
	v_and_b32_sdwa v9, v36, v17 dst_sel:DWORD dst_unused:UNUSED_PAD src0_sel:DWORD src1_sel:BYTE_1
	v_mov_b32_e32 v21, 0x7f800001
	s_mov_b32 s16, exec_lo
	v_and_b32_e32 v20, 0x7f, v9
	v_cmpx_ne_u32_e32 0x7f, v20
	s_cbranch_execz .LBB337_490
; %bb.487:                              ;   in Loop: Header=BB337_478 Depth=1
	v_and_b32_e32 v9, 7, v9
	v_lshrrev_b32_e32 v19, 3, v20
	s_mov_b32 s17, exec_lo
	v_cmpx_gt_u32_e32 8, v20
; %bb.488:                              ;   in Loop: Header=BB337_478 Depth=1
	v_ffbh_u32_e32 v19, v9
	v_min_u32_e32 v19, 32, v19
	v_subrev_nc_u32_e32 v20, 28, v19
	v_sub_nc_u32_e32 v19, 29, v19
	v_lshlrev_b64 v[20:21], v20, v[9:10]
	v_and_b32_e32 v9, 7, v20
; %bb.489:                              ;   in Loop: Header=BB337_478 Depth=1
	s_or_b32 exec_lo, exec_lo, s17
	v_lshlrev_b32_e32 v20, 16, v17
	v_lshlrev_b32_e32 v9, 20, v9
	v_lshl_add_u32 v19, v19, 23, 0x3c000000
	v_and_b32_e32 v20, 0x80000000, v20
	v_or3_b32 v21, v9, v20, v19
.LBB337_490:                            ;   in Loop: Header=BB337_478 Depth=1
	s_or_b32 exec_lo, exec_lo, s16
.LBB337_491:                            ;   in Loop: Header=BB337_478 Depth=1
	s_or_b32 exec_lo, exec_lo, s15
.LBB337_492:                            ;   in Loop: Header=BB337_478 Depth=1
	s_or_b32 exec_lo, exec_lo, s0
	v_and_b32_sdwa v9, v17, v37 dst_sel:DWORD dst_unused:UNUSED_PAD src0_sel:WORD_1 src1_sel:DWORD
	s_mov_b32 s0, exec_lo
	v_cmpx_ne_u16_e32 0, v9
	s_cbranch_execz .LBB337_500
; %bb.493:                              ;   in Loop: Header=BB337_478 Depth=1
	v_bfrev_b32_e32 v22, 1
	s_mov_b32 s15, exec_lo
	v_cmpx_ne_u16_e32 0x80, v9
	s_cbranch_execz .LBB337_499
; %bb.494:                              ;   in Loop: Header=BB337_478 Depth=1
	v_bfe_u32 v20, v17, 16, 7
	v_mov_b32_e32 v22, 0x7f800001
	s_mov_b32 s16, exec_lo
	v_cmpx_ne_u32_e32 0x7f, v20
	s_cbranch_execz .LBB337_498
; %bb.495:                              ;   in Loop: Header=BB337_478 Depth=1
	v_and_b32_sdwa v9, v17, v38 dst_sel:DWORD dst_unused:UNUSED_PAD src0_sel:WORD_1 src1_sel:DWORD
	v_lshrrev_b32_e32 v19, 3, v20
	s_mov_b32 s17, exec_lo
	v_cmpx_gt_u32_e32 8, v20
; %bb.496:                              ;   in Loop: Header=BB337_478 Depth=1
	v_ffbh_u32_e32 v19, v9
	v_min_u32_e32 v19, 32, v19
	v_subrev_nc_u32_e32 v20, 28, v19
	v_sub_nc_u32_e32 v19, 29, v19
	v_lshlrev_b64 v[22:23], v20, v[9:10]
	v_and_b32_e32 v9, 7, v22
; %bb.497:                              ;   in Loop: Header=BB337_478 Depth=1
	s_or_b32 exec_lo, exec_lo, s17
	v_lshlrev_b32_sdwa v20, v39, v17 dst_sel:DWORD dst_unused:UNUSED_PAD src0_sel:DWORD src1_sel:WORD_1
	v_lshlrev_b32_e32 v9, 20, v9
	v_lshl_add_u32 v19, v19, 23, 0x3c000000
	v_and_b32_e32 v20, 0x80000000, v20
	v_or3_b32 v22, v9, v20, v19
.LBB337_498:                            ;   in Loop: Header=BB337_478 Depth=1
	s_or_b32 exec_lo, exec_lo, s16
.LBB337_499:                            ;   in Loop: Header=BB337_478 Depth=1
	s_or_b32 exec_lo, exec_lo, s15
.LBB337_500:                            ;   in Loop: Header=BB337_478 Depth=1
	s_or_b32 exec_lo, exec_lo, s0
	v_mov_b32_e32 v23, 0
	v_mov_b32_e32 v41, 0
	s_mov_b32 s0, exec_lo
	v_cmpx_lt_u32_e32 0xffffff, v17
	s_cbranch_execz .LBB337_508
; %bb.501:                              ;   in Loop: Header=BB337_478 Depth=1
	v_cmp_ne_u32_sdwa s16, v17, v35 src0_sel:BYTE_3 src1_sel:DWORD
	v_bfrev_b32_e32 v41, 1
	s_and_saveexec_b32 s15, s16
	s_cbranch_execz .LBB337_507
; %bb.502:                              ;   in Loop: Header=BB337_478 Depth=1
	v_bfe_u32 v20, v17, 24, 7
	v_mov_b32_e32 v41, 0x7f800001
	s_mov_b32 s16, exec_lo
	v_cmpx_ne_u32_e32 0x7f, v20
	s_cbranch_execz .LBB337_506
; %bb.503:                              ;   in Loop: Header=BB337_478 Depth=1
	v_and_b32_sdwa v9, v17, v38 dst_sel:DWORD dst_unused:UNUSED_PAD src0_sel:BYTE_3 src1_sel:DWORD
	v_lshrrev_b32_e32 v19, 3, v20
	s_mov_b32 s17, exec_lo
	v_cmpx_gt_u32_e32 8, v20
; %bb.504:                              ;   in Loop: Header=BB337_478 Depth=1
	v_ffbh_u32_e32 v19, v9
	v_min_u32_e32 v19, 32, v19
	v_subrev_nc_u32_e32 v20, 28, v19
	v_sub_nc_u32_e32 v19, 29, v19
	v_lshlrev_b64 v[41:42], v20, v[9:10]
	v_and_b32_e32 v9, 7, v41
; %bb.505:                              ;   in Loop: Header=BB337_478 Depth=1
	s_or_b32 exec_lo, exec_lo, s17
	v_lshlrev_b32_sdwa v20, v39, v17 dst_sel:DWORD dst_unused:UNUSED_PAD src0_sel:DWORD src1_sel:BYTE_3
	v_lshlrev_b32_e32 v9, 20, v9
	v_lshl_add_u32 v19, v19, 23, 0x3c000000
	v_and_b32_e32 v20, 0x80000000, v20
	v_or3_b32 v41, v9, v20, v19
.LBB337_506:                            ;   in Loop: Header=BB337_478 Depth=1
	s_or_b32 exec_lo, exec_lo, s16
.LBB337_507:                            ;   in Loop: Header=BB337_478 Depth=1
	s_or_b32 exec_lo, exec_lo, s15
.LBB337_508:                            ;   in Loop: Header=BB337_478 Depth=1
	s_or_b32 exec_lo, exec_lo, s0
	v_mov_b32_e32 v9, v18
	v_cmp_ne_u16_sdwa s15, v18, v10 src0_sel:BYTE_0 src1_sel:DWORD
	s_and_saveexec_b32 s0, s15
	s_cbranch_execz .LBB337_514
; %bb.509:                              ;   in Loop: Header=BB337_478 Depth=1
	v_cmp_ne_u16_sdwa s16, v18, v35 src0_sel:BYTE_0 src1_sel:DWORD
	v_bfrev_b32_e32 v23, 1
	s_and_saveexec_b32 s15, s16
	s_cbranch_execz .LBB337_513
; %bb.510:                              ;   in Loop: Header=BB337_478 Depth=1
	v_and_b32_e32 v19, 0x7f, v18
	v_mov_b32_e32 v23, 0x7f800001
	s_mov_b32 s16, exec_lo
	v_cmpx_ne_u32_e32 0x7f, v19
	s_cbranch_execz .LBB337_512
; %bb.511:                              ;   in Loop: Header=BB337_478 Depth=1
	v_and_b32_e32 v20, 7, v18
	v_cmp_gt_u32_e32 vcc_lo, 8, v19
	v_lshrrev_b32_e32 v23, 3, v19
	v_ffbh_u32_e32 v20, v20
	v_min_u32_e32 v20, 32, v20
	v_subrev_nc_u32_e32 v42, 28, v20
	v_sub_nc_u32_e32 v20, 29, v20
	v_cndmask_b32_e32 v19, 0, v42, vcc_lo
	v_cndmask_b32_e32 v23, v23, v20, vcc_lo
	v_lshlrev_b64 v[19:20], v19, v[9:10]
	v_lshlrev_b32_e32 v20, 24, v9
	v_lshl_add_u32 v23, v23, 23, 0x3c000000
	v_lshlrev_b32_e32 v19, 20, v19
	v_and_b32_e32 v20, 0x80000000, v20
	v_and_b32_e32 v19, 0x700000, v19
	v_or3_b32 v23, v19, v20, v23
.LBB337_512:                            ;   in Loop: Header=BB337_478 Depth=1
	s_or_b32 exec_lo, exec_lo, s16
.LBB337_513:                            ;   in Loop: Header=BB337_478 Depth=1
	s_or_b32 exec_lo, exec_lo, s15
.LBB337_514:                            ;   in Loop: Header=BB337_478 Depth=1
	s_or_b32 exec_lo, exec_lo, s0
	v_cmp_ne_u16_sdwa s15, v9, v10 src0_sel:BYTE_1 src1_sel:DWORD
	v_mov_b32_e32 v43, 0
	v_mov_b32_e32 v19, 0
	s_and_saveexec_b32 s0, s15
	s_cbranch_execz .LBB337_522
; %bb.515:                              ;   in Loop: Header=BB337_478 Depth=1
	v_cmp_ne_u16_sdwa s16, v9, v35 src0_sel:BYTE_1 src1_sel:DWORD
	v_bfrev_b32_e32 v19, 1
	s_and_saveexec_b32 s15, s16
	s_cbranch_execz .LBB337_521
; %bb.516:                              ;   in Loop: Header=BB337_478 Depth=1
	v_and_b32_sdwa v20, v36, v9 dst_sel:DWORD dst_unused:UNUSED_PAD src0_sel:DWORD src1_sel:BYTE_1
	v_mov_b32_e32 v19, 0x7f800001
	s_mov_b32 s16, exec_lo
	v_and_b32_e32 v44, 0x7f, v20
	v_cmpx_ne_u32_e32 0x7f, v44
	s_cbranch_execz .LBB337_520
; %bb.517:                              ;   in Loop: Header=BB337_478 Depth=1
	v_and_b32_e32 v19, 7, v20
	v_mov_b32_e32 v20, v10
	v_lshrrev_b32_e32 v42, 3, v44
	s_mov_b32 s17, exec_lo
	v_cmpx_gt_u32_e32 8, v44
; %bb.518:                              ;   in Loop: Header=BB337_478 Depth=1
	v_ffbh_u32_e32 v42, v19
	v_min_u32_e32 v42, 32, v42
	v_subrev_nc_u32_e32 v44, 28, v42
	v_sub_nc_u32_e32 v42, 29, v42
	v_lshlrev_b64 v[19:20], v44, v[19:20]
	v_and_b32_e32 v19, 7, v19
; %bb.519:                              ;   in Loop: Header=BB337_478 Depth=1
	s_or_b32 exec_lo, exec_lo, s17
	v_lshlrev_b32_e32 v9, 16, v9
	v_lshlrev_b32_e32 v19, 20, v19
	v_lshl_add_u32 v20, v42, 23, 0x3c000000
	v_and_b32_e32 v9, 0x80000000, v9
	v_or3_b32 v19, v19, v9, v20
.LBB337_520:                            ;   in Loop: Header=BB337_478 Depth=1
	s_or_b32 exec_lo, exec_lo, s16
.LBB337_521:                            ;   in Loop: Header=BB337_478 Depth=1
	s_or_b32 exec_lo, exec_lo, s15
.LBB337_522:                            ;   in Loop: Header=BB337_478 Depth=1
	s_or_b32 exec_lo, exec_lo, s0
	v_and_b32_sdwa v9, v18, v37 dst_sel:DWORD dst_unused:UNUSED_PAD src0_sel:WORD_1 src1_sel:DWORD
	s_mov_b32 s0, exec_lo
	v_cmpx_ne_u16_e32 0, v9
	s_cbranch_execz .LBB337_530
; %bb.523:                              ;   in Loop: Header=BB337_478 Depth=1
	v_bfrev_b32_e32 v43, 1
	s_mov_b32 s15, exec_lo
	v_cmpx_ne_u16_e32 0x80, v9
	s_cbranch_execz .LBB337_529
; %bb.524:                              ;   in Loop: Header=BB337_478 Depth=1
	v_bfe_u32 v42, v18, 16, 7
	v_mov_b32_e32 v43, 0x7f800001
	s_mov_b32 s16, exec_lo
	v_cmpx_ne_u32_e32 0x7f, v42
	s_cbranch_execz .LBB337_528
; %bb.525:                              ;   in Loop: Header=BB337_478 Depth=1
	v_and_b32_sdwa v9, v18, v38 dst_sel:DWORD dst_unused:UNUSED_PAD src0_sel:WORD_1 src1_sel:DWORD
	v_lshrrev_b32_e32 v20, 3, v42
	s_mov_b32 s17, exec_lo
	v_cmpx_gt_u32_e32 8, v42
; %bb.526:                              ;   in Loop: Header=BB337_478 Depth=1
	v_ffbh_u32_e32 v20, v9
	v_min_u32_e32 v20, 32, v20
	v_subrev_nc_u32_e32 v42, 28, v20
	v_sub_nc_u32_e32 v20, 29, v20
	v_lshlrev_b64 v[42:43], v42, v[9:10]
	v_and_b32_e32 v9, 7, v42
; %bb.527:                              ;   in Loop: Header=BB337_478 Depth=1
	s_or_b32 exec_lo, exec_lo, s17
	v_lshlrev_b32_sdwa v42, v39, v18 dst_sel:DWORD dst_unused:UNUSED_PAD src0_sel:DWORD src1_sel:WORD_1
	v_lshlrev_b32_e32 v9, 20, v9
	v_lshl_add_u32 v20, v20, 23, 0x3c000000
	v_and_b32_e32 v42, 0x80000000, v42
	v_or3_b32 v43, v9, v42, v20
.LBB337_528:                            ;   in Loop: Header=BB337_478 Depth=1
	s_or_b32 exec_lo, exec_lo, s16
.LBB337_529:                            ;   in Loop: Header=BB337_478 Depth=1
	s_or_b32 exec_lo, exec_lo, s15
.LBB337_530:                            ;   in Loop: Header=BB337_478 Depth=1
	s_or_b32 exec_lo, exec_lo, s0
	v_mov_b32_e32 v9, 0
	s_mov_b32 s0, exec_lo
	v_cmpx_lt_u64_e64 s[2:3], v[17:18]
	s_cbranch_execz .LBB337_538
; %bb.531:                              ;   in Loop: Header=BB337_478 Depth=1
	v_cmp_ne_u32_sdwa s16, v18, v35 src0_sel:BYTE_3 src1_sel:DWORD
	v_bfrev_b32_e32 v9, 1
	s_and_saveexec_b32 s15, s16
	s_cbranch_execz .LBB337_537
; %bb.532:                              ;   in Loop: Header=BB337_478 Depth=1
	v_bfe_u32 v20, v18, 24, 7
	v_mov_b32_e32 v9, 0x7f800001
	s_mov_b32 s16, exec_lo
	v_cmpx_ne_u32_e32 0x7f, v20
	s_cbranch_execz .LBB337_536
; %bb.533:                              ;   in Loop: Header=BB337_478 Depth=1
	v_and_b32_sdwa v9, v18, v38 dst_sel:DWORD dst_unused:UNUSED_PAD src0_sel:BYTE_3 src1_sel:DWORD
	v_lshrrev_b32_e32 v17, 3, v20
	s_mov_b32 s17, exec_lo
	v_cmpx_gt_u32_e32 8, v20
; %bb.534:                              ;   in Loop: Header=BB337_478 Depth=1
	v_ffbh_u32_e32 v17, v9
	v_min_u32_e32 v17, 32, v17
	v_subrev_nc_u32_e32 v20, 28, v17
	v_sub_nc_u32_e32 v17, 29, v17
	v_lshlrev_b64 v[44:45], v20, v[9:10]
	v_and_b32_e32 v9, 7, v44
; %bb.535:                              ;   in Loop: Header=BB337_478 Depth=1
	s_or_b32 exec_lo, exec_lo, s17
	v_lshlrev_b32_sdwa v18, v39, v18 dst_sel:DWORD dst_unused:UNUSED_PAD src0_sel:DWORD src1_sel:BYTE_3
	v_lshlrev_b32_e32 v9, 20, v9
	v_lshl_add_u32 v17, v17, 23, 0x3c000000
	v_and_b32_e32 v18, 0x80000000, v18
	v_or3_b32 v9, v9, v18, v17
.LBB337_536:                            ;   in Loop: Header=BB337_478 Depth=1
	s_or_b32 exec_lo, exec_lo, s16
.LBB337_537:                            ;   in Loop: Header=BB337_478 Depth=1
	s_or_b32 exec_lo, exec_lo, s15
.LBB337_538:                            ;   in Loop: Header=BB337_478 Depth=1
	s_or_b32 exec_lo, exec_lo, s0
	s_waitcnt lgkmcnt(0)
	v_mul_f32_e32 v17, s5, v19
	v_mul_f32_e32 v18, s5, v23
	v_mul_f32_e32 v19, s5, v41
	v_mul_f32_e32 v22, s5, v22
	v_mul_f32_e32 v0, s5, v0
	v_bfe_u32 v20, v17, 16, 1
	v_or_b32_e32 v23, 0x400000, v17
	v_bfe_u32 v41, v18, 16, 1
	v_cmp_u_f32_e64 s0, v17, v17
	v_or_b32_e32 v42, 0x400000, v18
	v_add3_u32 v20, v20, v17, 0x7fff
	v_bfe_u32 v44, v19, 16, 1
	v_add3_u32 v41, v41, v18, 0x7fff
	v_or_b32_e32 v45, 0x400000, v19
	v_mul_f32_e32 v9, s5, v9
	v_cndmask_b32_e64 v17, v20, v23, s0
	v_cmp_u_f32_e64 s0, v18, v18
	v_add3_u32 v23, v44, v19, 0x7fff
	v_bfe_u32 v20, v22, 16, 1
	v_add_nc_u32_e32 v49, -7, v33
	v_cmp_eq_u32_e32 vcc_lo, s13, v40
	v_cndmask_b32_e64 v18, v41, v42, s0
	v_cmp_u_f32_e64 s0, v19, v19
	v_lshrrev_b32_e32 v42, 16, v17
	v_mul_f32_e32 v19, s5, v21
	v_add3_u32 v20, v20, v22, 0x7fff
	v_or_b32_e32 v21, 0x400000, v22
	v_cndmask_b32_e64 v17, v23, v45, s0
	v_cmp_u_f32_e64 s0, v22, v22
	v_lshrrev_b32_e32 v41, 16, v18
	v_bfe_u32 v22, v0, 16, 1
	v_or_b32_e32 v45, 0x400000, v9
	v_lshrrev_b32_e32 v44, 16, v17
	v_bfe_u32 v17, v19, 16, 1
	v_cndmask_b32_e64 v18, v20, v21, s0
	v_mul_f32_e32 v20, s5, v43
	v_or_b32_e32 v21, 0x400000, v19
	v_cmp_u_f32_e64 s0, v19, v19
	v_add3_u32 v17, v17, v19, 0x7fff
	v_bfe_u32 v19, v9, 16, 1
	v_bfe_u32 v23, v20, 16, 1
	v_or_b32_e32 v43, 0x400000, v20
	v_lshrrev_b32_e32 v46, 16, v18
	v_cndmask_b32_e64 v17, v17, v21, s0
	v_add3_u32 v21, v22, v0, 0x7fff
	v_or_b32_e32 v22, 0x400000, v0
	v_cmp_u_f32_e64 s0, v0, v0
	v_add3_u32 v23, v23, v20, 0x7fff
	v_add3_u32 v19, v19, v9, 0x7fff
	v_lshrrev_b32_e32 v48, 16, v17
	v_add_nc_u32_e32 v55, -6, v33
	v_cndmask_b32_e64 v0, v21, v22, s0
	v_cmp_u_f32_e64 s0, v20, v20
	v_add_nc_u32_e32 v54, -5, v33
	v_add_nc_u32_e32 v53, -4, v33
	;; [unrolled: 1-line block ×3, first 2 shown]
	v_lshrrev_b32_e32 v47, 16, v0
	v_cndmask_b32_e64 v20, v23, v43, s0
	v_cmp_u_f32_e64 s0, v9, v9
	v_add_nc_u32_e32 v51, -2, v33
	v_add_nc_u32_e32 v50, -1, v33
	v_lshrrev_b32_e32 v43, 16, v20
	v_cndmask_b32_e64 v9, v19, v45, s0
	v_lshrrev_b32_e32 v45, 16, v9
	s_and_saveexec_b32 s15, vcc_lo
	s_cbranch_execz .LBB337_540
; %bb.539:                              ;   in Loop: Header=BB337_478 Depth=1
	v_cmp_gt_i32_e64 s0, s11, v49
	v_cndmask_b32_e64 v47, 0, v47, s0
	v_cmp_gt_i32_e64 s0, s11, v55
	v_cndmask_b32_e64 v48, 0, v48, s0
	;; [unrolled: 2-line block ×8, first 2 shown]
.LBB337_540:                            ;   in Loop: Header=BB337_478 Depth=1
	s_or_b32 exec_lo, exec_lo, s15
	global_load_dwordx2 v[17:18], v[15:16], off offset:256
	v_mov_b32_e32 v21, 0
	v_mov_b32_e32 v0, 0
	s_waitcnt vmcnt(0)
	v_cmp_ne_u16_sdwa s0, v17, v10 src0_sel:BYTE_0 src1_sel:DWORD
	s_and_saveexec_b32 s15, s0
	s_cbranch_execz .LBB337_546
; %bb.541:                              ;   in Loop: Header=BB337_478 Depth=1
	v_cmp_ne_u16_sdwa s0, v17, v35 src0_sel:BYTE_0 src1_sel:DWORD
	v_bfrev_b32_e32 v0, 1
	s_and_saveexec_b32 s16, s0
	s_cbranch_execz .LBB337_545
; %bb.542:                              ;   in Loop: Header=BB337_478 Depth=1
	v_and_b32_e32 v9, 0x7f, v17
	v_mov_b32_e32 v0, 0x7f800001
	s_mov_b32 s17, exec_lo
	v_cmpx_ne_u32_e32 0x7f, v9
	s_cbranch_execz .LBB337_544
; %bb.543:                              ;   in Loop: Header=BB337_478 Depth=1
	v_and_b32_e32 v0, 7, v17
	v_cmp_gt_u32_e64 s0, 8, v9
	v_lshrrev_b32_e32 v19, 3, v9
	v_ffbh_u32_e32 v0, v0
	v_min_u32_e32 v0, 32, v0
	v_subrev_nc_u32_e32 v20, 28, v0
	v_sub_nc_u32_e32 v0, 29, v0
	v_cndmask_b32_e64 v9, 0, v20, s0
	v_cndmask_b32_e64 v0, v19, v0, s0
	v_lshlrev_b64 v[19:20], v9, v[17:18]
	v_lshlrev_b32_e32 v9, 24, v17
	v_lshl_add_u32 v0, v0, 23, 0x3c000000
	v_and_b32_e32 v9, 0x80000000, v9
	v_lshlrev_b32_e32 v19, 20, v19
	v_and_b32_e32 v19, 0x700000, v19
	v_or3_b32 v0, v19, v9, v0
.LBB337_544:                            ;   in Loop: Header=BB337_478 Depth=1
	s_or_b32 exec_lo, exec_lo, s17
.LBB337_545:                            ;   in Loop: Header=BB337_478 Depth=1
	s_or_b32 exec_lo, exec_lo, s16
.LBB337_546:                            ;   in Loop: Header=BB337_478 Depth=1
	s_or_b32 exec_lo, exec_lo, s15
	v_cmp_ne_u16_sdwa s0, v17, v10 src0_sel:BYTE_1 src1_sel:DWORD
	s_and_saveexec_b32 s15, s0
	s_cbranch_execz .LBB337_554
; %bb.547:                              ;   in Loop: Header=BB337_478 Depth=1
	v_cmp_ne_u16_sdwa s0, v17, v35 src0_sel:BYTE_1 src1_sel:DWORD
	v_bfrev_b32_e32 v21, 1
	s_and_saveexec_b32 s16, s0
	s_cbranch_execz .LBB337_553
; %bb.548:                              ;   in Loop: Header=BB337_478 Depth=1
	v_and_b32_sdwa v9, v36, v17 dst_sel:DWORD dst_unused:UNUSED_PAD src0_sel:DWORD src1_sel:BYTE_1
	v_mov_b32_e32 v21, 0x7f800001
	s_mov_b32 s17, exec_lo
	v_and_b32_e32 v20, 0x7f, v9
	v_cmpx_ne_u32_e32 0x7f, v20
	s_cbranch_execz .LBB337_552
; %bb.549:                              ;   in Loop: Header=BB337_478 Depth=1
	v_and_b32_e32 v9, 7, v9
	v_lshrrev_b32_e32 v19, 3, v20
	s_mov_b32 s18, exec_lo
	v_cmpx_gt_u32_e32 8, v20
; %bb.550:                              ;   in Loop: Header=BB337_478 Depth=1
	v_ffbh_u32_e32 v19, v9
	v_min_u32_e32 v19, 32, v19
	v_subrev_nc_u32_e32 v20, 28, v19
	v_sub_nc_u32_e32 v19, 29, v19
	v_lshlrev_b64 v[20:21], v20, v[9:10]
	v_and_b32_e32 v9, 7, v20
; %bb.551:                              ;   in Loop: Header=BB337_478 Depth=1
	s_or_b32 exec_lo, exec_lo, s18
	v_lshlrev_b32_e32 v20, 16, v17
	v_lshlrev_b32_e32 v9, 20, v9
	v_lshl_add_u32 v19, v19, 23, 0x3c000000
	v_and_b32_e32 v20, 0x80000000, v20
	v_or3_b32 v21, v9, v20, v19
.LBB337_552:                            ;   in Loop: Header=BB337_478 Depth=1
	s_or_b32 exec_lo, exec_lo, s17
.LBB337_553:                            ;   in Loop: Header=BB337_478 Depth=1
	s_or_b32 exec_lo, exec_lo, s16
.LBB337_554:                            ;   in Loop: Header=BB337_478 Depth=1
	s_or_b32 exec_lo, exec_lo, s15
	v_and_b32_sdwa v9, v17, v37 dst_sel:DWORD dst_unused:UNUSED_PAD src0_sel:WORD_1 src1_sel:DWORD
	v_mov_b32_e32 v23, 0
	v_mov_b32_e32 v22, 0
	s_mov_b32 s15, exec_lo
	v_cmpx_ne_u16_e32 0, v9
	s_cbranch_execz .LBB337_562
; %bb.555:                              ;   in Loop: Header=BB337_478 Depth=1
	v_bfrev_b32_e32 v22, 1
	s_mov_b32 s16, exec_lo
	v_cmpx_ne_u16_e32 0x80, v9
	s_cbranch_execz .LBB337_561
; %bb.556:                              ;   in Loop: Header=BB337_478 Depth=1
	v_bfe_u32 v20, v17, 16, 7
	v_mov_b32_e32 v22, 0x7f800001
	s_mov_b32 s17, exec_lo
	v_cmpx_ne_u32_e32 0x7f, v20
	s_cbranch_execz .LBB337_560
; %bb.557:                              ;   in Loop: Header=BB337_478 Depth=1
	v_and_b32_sdwa v9, v17, v38 dst_sel:DWORD dst_unused:UNUSED_PAD src0_sel:WORD_1 src1_sel:DWORD
	v_lshrrev_b32_e32 v19, 3, v20
	s_mov_b32 s18, exec_lo
	v_cmpx_gt_u32_e32 8, v20
; %bb.558:                              ;   in Loop: Header=BB337_478 Depth=1
	v_ffbh_u32_e32 v19, v9
	v_min_u32_e32 v19, 32, v19
	v_subrev_nc_u32_e32 v20, 28, v19
	v_sub_nc_u32_e32 v19, 29, v19
	v_lshlrev_b64 v[56:57], v20, v[9:10]
	v_and_b32_e32 v9, 7, v56
; %bb.559:                              ;   in Loop: Header=BB337_478 Depth=1
	s_or_b32 exec_lo, exec_lo, s18
	v_lshlrev_b32_sdwa v20, v39, v17 dst_sel:DWORD dst_unused:UNUSED_PAD src0_sel:DWORD src1_sel:WORD_1
	v_lshlrev_b32_e32 v9, 20, v9
	v_lshl_add_u32 v19, v19, 23, 0x3c000000
	v_and_b32_e32 v20, 0x80000000, v20
	v_or3_b32 v22, v9, v20, v19
.LBB337_560:                            ;   in Loop: Header=BB337_478 Depth=1
	s_or_b32 exec_lo, exec_lo, s17
.LBB337_561:                            ;   in Loop: Header=BB337_478 Depth=1
	s_or_b32 exec_lo, exec_lo, s16
.LBB337_562:                            ;   in Loop: Header=BB337_478 Depth=1
	s_or_b32 exec_lo, exec_lo, s15
	s_mov_b32 s15, exec_lo
	v_cmpx_lt_u32_e32 0xffffff, v17
	s_cbranch_execz .LBB337_570
; %bb.563:                              ;   in Loop: Header=BB337_478 Depth=1
	v_cmp_ne_u32_sdwa s0, v17, v35 src0_sel:BYTE_3 src1_sel:DWORD
	v_bfrev_b32_e32 v23, 1
	s_and_saveexec_b32 s16, s0
	s_cbranch_execz .LBB337_569
; %bb.564:                              ;   in Loop: Header=BB337_478 Depth=1
	v_bfe_u32 v20, v17, 24, 7
	v_mov_b32_e32 v23, 0x7f800001
	s_mov_b32 s17, exec_lo
	v_cmpx_ne_u32_e32 0x7f, v20
	s_cbranch_execz .LBB337_568
; %bb.565:                              ;   in Loop: Header=BB337_478 Depth=1
	v_and_b32_sdwa v9, v17, v38 dst_sel:DWORD dst_unused:UNUSED_PAD src0_sel:BYTE_3 src1_sel:DWORD
	v_lshrrev_b32_e32 v19, 3, v20
	s_mov_b32 s18, exec_lo
	v_cmpx_gt_u32_e32 8, v20
; %bb.566:                              ;   in Loop: Header=BB337_478 Depth=1
	v_ffbh_u32_e32 v19, v9
	v_min_u32_e32 v19, 32, v19
	v_subrev_nc_u32_e32 v20, 28, v19
	v_sub_nc_u32_e32 v19, 29, v19
	v_lshlrev_b64 v[56:57], v20, v[9:10]
	v_and_b32_e32 v9, 7, v56
; %bb.567:                              ;   in Loop: Header=BB337_478 Depth=1
	s_or_b32 exec_lo, exec_lo, s18
	v_lshlrev_b32_sdwa v20, v39, v17 dst_sel:DWORD dst_unused:UNUSED_PAD src0_sel:DWORD src1_sel:BYTE_3
	v_lshlrev_b32_e32 v9, 20, v9
	v_lshl_add_u32 v19, v19, 23, 0x3c000000
	v_and_b32_e32 v20, 0x80000000, v20
	v_or3_b32 v23, v9, v20, v19
.LBB337_568:                            ;   in Loop: Header=BB337_478 Depth=1
	s_or_b32 exec_lo, exec_lo, s17
.LBB337_569:                            ;   in Loop: Header=BB337_478 Depth=1
	s_or_b32 exec_lo, exec_lo, s16
.LBB337_570:                            ;   in Loop: Header=BB337_478 Depth=1
	s_or_b32 exec_lo, exec_lo, s15
	v_mov_b32_e32 v9, v18
	v_cmp_ne_u16_sdwa s0, v18, v10 src0_sel:BYTE_0 src1_sel:DWORD
	v_mov_b32_e32 v19, 0
	v_mov_b32_e32 v56, 0
	s_and_saveexec_b32 s15, s0
	s_cbranch_execz .LBB337_576
; %bb.571:                              ;   in Loop: Header=BB337_478 Depth=1
	v_cmp_ne_u16_sdwa s0, v18, v35 src0_sel:BYTE_0 src1_sel:DWORD
	v_bfrev_b32_e32 v56, 1
	s_and_saveexec_b32 s16, s0
	s_cbranch_execz .LBB337_575
; %bb.572:                              ;   in Loop: Header=BB337_478 Depth=1
	v_and_b32_e32 v20, 0x7f, v18
	v_mov_b32_e32 v56, 0x7f800001
	s_mov_b32 s17, exec_lo
	v_cmpx_ne_u32_e32 0x7f, v20
	s_cbranch_execz .LBB337_574
; %bb.573:                              ;   in Loop: Header=BB337_478 Depth=1
	v_and_b32_e32 v56, 7, v18
	v_lshrrev_b32_e32 v57, 3, v20
	v_cmp_gt_u32_e64 s0, 8, v20
	v_ffbh_u32_e32 v56, v56
	v_min_u32_e32 v56, 32, v56
	v_subrev_nc_u32_e32 v58, 28, v56
	v_sub_nc_u32_e32 v56, 29, v56
	v_cndmask_b32_e64 v20, v57, v56, s0
	v_cndmask_b32_e64 v56, 0, v58, s0
	v_lshl_add_u32 v20, v20, 23, 0x3c000000
	v_lshlrev_b64 v[56:57], v56, v[9:10]
	v_lshlrev_b32_e32 v57, 24, v9
	v_lshlrev_b32_e32 v56, 20, v56
	v_and_b32_e32 v57, 0x80000000, v57
	v_and_b32_e32 v56, 0x700000, v56
	v_or3_b32 v56, v56, v57, v20
.LBB337_574:                            ;   in Loop: Header=BB337_478 Depth=1
	s_or_b32 exec_lo, exec_lo, s17
.LBB337_575:                            ;   in Loop: Header=BB337_478 Depth=1
	s_or_b32 exec_lo, exec_lo, s16
.LBB337_576:                            ;   in Loop: Header=BB337_478 Depth=1
	s_or_b32 exec_lo, exec_lo, s15
	v_cmp_ne_u16_sdwa s0, v9, v10 src0_sel:BYTE_1 src1_sel:DWORD
	s_and_saveexec_b32 s15, s0
	s_cbranch_execz .LBB337_584
; %bb.577:                              ;   in Loop: Header=BB337_478 Depth=1
	v_cmp_ne_u16_sdwa s0, v9, v35 src0_sel:BYTE_1 src1_sel:DWORD
	v_bfrev_b32_e32 v19, 1
	s_and_saveexec_b32 s16, s0
	s_cbranch_execz .LBB337_583
; %bb.578:                              ;   in Loop: Header=BB337_478 Depth=1
	v_and_b32_sdwa v20, v36, v9 dst_sel:DWORD dst_unused:UNUSED_PAD src0_sel:DWORD src1_sel:BYTE_1
	v_mov_b32_e32 v19, 0x7f800001
	s_mov_b32 s17, exec_lo
	v_and_b32_e32 v58, 0x7f, v20
	v_cmpx_ne_u32_e32 0x7f, v58
	s_cbranch_execz .LBB337_582
; %bb.579:                              ;   in Loop: Header=BB337_478 Depth=1
	v_and_b32_e32 v19, 7, v20
	v_mov_b32_e32 v20, v10
	v_lshrrev_b32_e32 v57, 3, v58
	s_mov_b32 s18, exec_lo
	v_cmpx_gt_u32_e32 8, v58
; %bb.580:                              ;   in Loop: Header=BB337_478 Depth=1
	v_ffbh_u32_e32 v57, v19
	v_min_u32_e32 v57, 32, v57
	v_subrev_nc_u32_e32 v58, 28, v57
	v_sub_nc_u32_e32 v57, 29, v57
	v_lshlrev_b64 v[19:20], v58, v[19:20]
	v_and_b32_e32 v19, 7, v19
; %bb.581:                              ;   in Loop: Header=BB337_478 Depth=1
	s_or_b32 exec_lo, exec_lo, s18
	v_lshlrev_b32_e32 v9, 16, v9
	v_lshlrev_b32_e32 v19, 20, v19
	v_lshl_add_u32 v20, v57, 23, 0x3c000000
	v_and_b32_e32 v9, 0x80000000, v9
	v_or3_b32 v19, v19, v9, v20
.LBB337_582:                            ;   in Loop: Header=BB337_478 Depth=1
	s_or_b32 exec_lo, exec_lo, s17
.LBB337_583:                            ;   in Loop: Header=BB337_478 Depth=1
	s_or_b32 exec_lo, exec_lo, s16
.LBB337_584:                            ;   in Loop: Header=BB337_478 Depth=1
	s_or_b32 exec_lo, exec_lo, s15
	v_and_b32_sdwa v9, v18, v37 dst_sel:DWORD dst_unused:UNUSED_PAD src0_sel:WORD_1 src1_sel:DWORD
	v_mov_b32_e32 v20, 0
	v_mov_b32_e32 v58, 0
	s_mov_b32 s15, exec_lo
	v_cmpx_ne_u16_e32 0, v9
	s_cbranch_execz .LBB337_592
; %bb.585:                              ;   in Loop: Header=BB337_478 Depth=1
	v_bfrev_b32_e32 v58, 1
	s_mov_b32 s16, exec_lo
	v_cmpx_ne_u16_e32 0x80, v9
	s_cbranch_execz .LBB337_591
; %bb.586:                              ;   in Loop: Header=BB337_478 Depth=1
	v_bfe_u32 v59, v18, 16, 7
	v_mov_b32_e32 v58, 0x7f800001
	s_mov_b32 s17, exec_lo
	v_cmpx_ne_u32_e32 0x7f, v59
	s_cbranch_execz .LBB337_590
; %bb.587:                              ;   in Loop: Header=BB337_478 Depth=1
	v_and_b32_sdwa v9, v18, v38 dst_sel:DWORD dst_unused:UNUSED_PAD src0_sel:WORD_1 src1_sel:DWORD
	v_lshrrev_b32_e32 v57, 3, v59
	s_mov_b32 s18, exec_lo
	v_cmpx_gt_u32_e32 8, v59
; %bb.588:                              ;   in Loop: Header=BB337_478 Depth=1
	v_ffbh_u32_e32 v57, v9
	v_min_u32_e32 v57, 32, v57
	v_subrev_nc_u32_e32 v58, 28, v57
	v_sub_nc_u32_e32 v57, 29, v57
	v_lshlrev_b64 v[58:59], v58, v[9:10]
	v_and_b32_e32 v9, 7, v58
; %bb.589:                              ;   in Loop: Header=BB337_478 Depth=1
	s_or_b32 exec_lo, exec_lo, s18
	v_lshlrev_b32_sdwa v58, v39, v18 dst_sel:DWORD dst_unused:UNUSED_PAD src0_sel:DWORD src1_sel:WORD_1
	v_lshlrev_b32_e32 v9, 20, v9
	v_lshl_add_u32 v57, v57, 23, 0x3c000000
	v_and_b32_e32 v58, 0x80000000, v58
	v_or3_b32 v58, v9, v58, v57
.LBB337_590:                            ;   in Loop: Header=BB337_478 Depth=1
	s_or_b32 exec_lo, exec_lo, s17
.LBB337_591:                            ;   in Loop: Header=BB337_478 Depth=1
	s_or_b32 exec_lo, exec_lo, s16
.LBB337_592:                            ;   in Loop: Header=BB337_478 Depth=1
	s_or_b32 exec_lo, exec_lo, s15
	s_mov_b32 s15, exec_lo
	v_cmpx_lt_u64_e64 s[2:3], v[17:18]
	s_cbranch_execz .LBB337_600
; %bb.593:                              ;   in Loop: Header=BB337_478 Depth=1
	v_cmp_ne_u32_sdwa s0, v18, v35 src0_sel:BYTE_3 src1_sel:DWORD
	v_bfrev_b32_e32 v20, 1
	s_and_saveexec_b32 s16, s0
	s_cbranch_execz .LBB337_599
; %bb.594:                              ;   in Loop: Header=BB337_478 Depth=1
	v_bfe_u32 v57, v18, 24, 7
	v_mov_b32_e32 v20, 0x7f800001
	s_mov_b32 s17, exec_lo
	v_cmpx_ne_u32_e32 0x7f, v57
	s_cbranch_execz .LBB337_598
; %bb.595:                              ;   in Loop: Header=BB337_478 Depth=1
	v_and_b32_sdwa v9, v18, v38 dst_sel:DWORD dst_unused:UNUSED_PAD src0_sel:BYTE_3 src1_sel:DWORD
	v_lshrrev_b32_e32 v17, 3, v57
	s_mov_b32 s18, exec_lo
	v_cmpx_gt_u32_e32 8, v57
; %bb.596:                              ;   in Loop: Header=BB337_478 Depth=1
	v_ffbh_u32_e32 v17, v9
	v_min_u32_e32 v17, 32, v17
	v_subrev_nc_u32_e32 v20, 28, v17
	v_sub_nc_u32_e32 v17, 29, v17
	v_lshlrev_b64 v[59:60], v20, v[9:10]
	v_and_b32_e32 v9, 7, v59
; %bb.597:                              ;   in Loop: Header=BB337_478 Depth=1
	s_or_b32 exec_lo, exec_lo, s18
	v_lshlrev_b32_sdwa v18, v39, v18 dst_sel:DWORD dst_unused:UNUSED_PAD src0_sel:DWORD src1_sel:BYTE_3
	v_lshlrev_b32_e32 v9, 20, v9
	v_lshl_add_u32 v17, v17, 23, 0x3c000000
	v_and_b32_e32 v18, 0x80000000, v18
	v_or3_b32 v20, v9, v18, v17
.LBB337_598:                            ;   in Loop: Header=BB337_478 Depth=1
	s_or_b32 exec_lo, exec_lo, s17
.LBB337_599:                            ;   in Loop: Header=BB337_478 Depth=1
	s_or_b32 exec_lo, exec_lo, s16
.LBB337_600:                            ;   in Loop: Header=BB337_478 Depth=1
	s_or_b32 exec_lo, exec_lo, s15
	v_mul_f32_e32 v9, s5, v19
	v_mul_f32_e32 v17, s5, v56
	;; [unrolled: 1-line block ×5, first 2 shown]
	v_bfe_u32 v22, v9, 16, 1
	v_or_b32_e32 v23, 0x400000, v9
	v_bfe_u32 v56, v17, 16, 1
	v_cmp_u_f32_e64 s0, v9, v9
	v_or_b32_e32 v57, 0x400000, v17
	v_add3_u32 v22, v22, v9, 0x7fff
	v_bfe_u32 v59, v18, 16, 1
	v_add3_u32 v56, v56, v17, 0x7fff
	v_or_b32_e32 v60, 0x400000, v18
	v_bfe_u32 v61, v19, 16, 1
	v_cndmask_b32_e64 v9, v22, v23, s0
	v_cmp_u_f32_e64 s0, v17, v17
	v_add3_u32 v59, v59, v18, 0x7fff
	v_or_b32_e32 v22, 0x400000, v19
	v_mul_f32_e32 v20, s5, v20
	v_cndmask_b32_e64 v17, v56, v57, s0
	v_cmp_u_f32_e64 s0, v18, v18
	v_lshrrev_b32_e32 v56, 16, v9
	v_mul_f32_e32 v9, s5, v21
	v_add3_u32 v21, v61, v19, 0x7fff
	v_lshrrev_b32_e32 v57, 16, v17
	v_cndmask_b32_e64 v18, v59, v60, s0
	v_cmp_u_f32_e64 s0, v19, v19
	v_bfe_u32 v17, v9, 16, 1
	v_mul_f32_e32 v19, s5, v58
	v_or_b32_e32 v60, 0x400000, v20
	v_lshrrev_b32_e32 v59, 16, v18
	v_cndmask_b32_e64 v18, v21, v22, s0
	v_add3_u32 v17, v17, v9, 0x7fff
	v_or_b32_e32 v21, 0x400000, v9
	v_bfe_u32 v22, v0, 16, 1
	v_cmp_u_f32_e64 s0, v9, v9
	v_bfe_u32 v23, v19, 16, 1
	v_or_b32_e32 v58, 0x400000, v19
	v_lshrrev_b32_e32 v61, 16, v18
	v_cndmask_b32_e64 v9, v17, v21, s0
	v_add3_u32 v21, v22, v0, 0x7fff
	v_or_b32_e32 v22, 0x400000, v0
	v_cmp_u_f32_e64 s0, v0, v0
	v_bfe_u32 v17, v20, 16, 1
	v_add3_u32 v23, v23, v19, 0x7fff
	v_lshrrev_b32_e32 v63, 16, v9
	v_cndmask_b32_e64 v0, v21, v22, s0
	v_cmp_u_f32_e64 s0, v19, v19
	v_add3_u32 v17, v17, v20, 0x7fff
	v_lshrrev_b32_e32 v62, 16, v0
	v_cndmask_b32_e64 v19, v23, v58, s0
	v_cmp_u_f32_e64 s0, v20, v20
	v_lshrrev_b32_e32 v58, 16, v19
	v_cndmask_b32_e64 v17, v17, v60, s0
	v_lshrrev_b32_e32 v60, 16, v17
	s_and_saveexec_b32 s15, vcc_lo
	s_cbranch_execz .LBB337_602
; %bb.601:                              ;   in Loop: Header=BB337_478 Depth=1
	v_cmp_gt_i32_e64 s0, s11, v49
	v_cndmask_b32_e64 v62, 0, v62, s0
	v_cmp_gt_i32_e64 s0, s11, v55
	v_cndmask_b32_e64 v63, 0, v63, s0
	;; [unrolled: 2-line block ×8, first 2 shown]
.LBB337_602:                            ;   in Loop: Header=BB337_478 Depth=1
	s_or_b32 exec_lo, exec_lo, s15
	global_load_dwordx2 v[17:18], v[15:16], off offset:512
	v_mov_b32_e32 v21, 0
	v_mov_b32_e32 v0, 0
	s_waitcnt vmcnt(0)
	v_cmp_ne_u16_sdwa s0, v17, v10 src0_sel:BYTE_0 src1_sel:DWORD
	s_and_saveexec_b32 s15, s0
	s_cbranch_execz .LBB337_608
; %bb.603:                              ;   in Loop: Header=BB337_478 Depth=1
	v_cmp_ne_u16_sdwa s0, v17, v35 src0_sel:BYTE_0 src1_sel:DWORD
	v_bfrev_b32_e32 v0, 1
	s_and_saveexec_b32 s16, s0
	s_cbranch_execz .LBB337_607
; %bb.604:                              ;   in Loop: Header=BB337_478 Depth=1
	v_and_b32_e32 v9, 0x7f, v17
	v_mov_b32_e32 v0, 0x7f800001
	s_mov_b32 s17, exec_lo
	v_cmpx_ne_u32_e32 0x7f, v9
	s_cbranch_execz .LBB337_606
; %bb.605:                              ;   in Loop: Header=BB337_478 Depth=1
	v_and_b32_e32 v0, 7, v17
	v_cmp_gt_u32_e64 s0, 8, v9
	v_lshrrev_b32_e32 v19, 3, v9
	v_ffbh_u32_e32 v0, v0
	v_min_u32_e32 v0, 32, v0
	v_subrev_nc_u32_e32 v20, 28, v0
	v_sub_nc_u32_e32 v0, 29, v0
	v_cndmask_b32_e64 v9, 0, v20, s0
	v_cndmask_b32_e64 v0, v19, v0, s0
	v_lshlrev_b64 v[19:20], v9, v[17:18]
	v_lshlrev_b32_e32 v9, 24, v17
	v_lshl_add_u32 v0, v0, 23, 0x3c000000
	v_and_b32_e32 v9, 0x80000000, v9
	v_lshlrev_b32_e32 v19, 20, v19
	v_and_b32_e32 v19, 0x700000, v19
	v_or3_b32 v0, v19, v9, v0
.LBB337_606:                            ;   in Loop: Header=BB337_478 Depth=1
	s_or_b32 exec_lo, exec_lo, s17
.LBB337_607:                            ;   in Loop: Header=BB337_478 Depth=1
	s_or_b32 exec_lo, exec_lo, s16
.LBB337_608:                            ;   in Loop: Header=BB337_478 Depth=1
	s_or_b32 exec_lo, exec_lo, s15
	v_cmp_ne_u16_sdwa s0, v17, v10 src0_sel:BYTE_1 src1_sel:DWORD
	s_and_saveexec_b32 s15, s0
	s_cbranch_execz .LBB337_616
; %bb.609:                              ;   in Loop: Header=BB337_478 Depth=1
	v_cmp_ne_u16_sdwa s0, v17, v35 src0_sel:BYTE_1 src1_sel:DWORD
	v_bfrev_b32_e32 v21, 1
	s_and_saveexec_b32 s16, s0
	s_cbranch_execz .LBB337_615
; %bb.610:                              ;   in Loop: Header=BB337_478 Depth=1
	v_and_b32_sdwa v9, v36, v17 dst_sel:DWORD dst_unused:UNUSED_PAD src0_sel:DWORD src1_sel:BYTE_1
	v_mov_b32_e32 v21, 0x7f800001
	s_mov_b32 s17, exec_lo
	v_and_b32_e32 v20, 0x7f, v9
	v_cmpx_ne_u32_e32 0x7f, v20
	s_cbranch_execz .LBB337_614
; %bb.611:                              ;   in Loop: Header=BB337_478 Depth=1
	v_and_b32_e32 v9, 7, v9
	v_lshrrev_b32_e32 v19, 3, v20
	s_mov_b32 s18, exec_lo
	v_cmpx_gt_u32_e32 8, v20
; %bb.612:                              ;   in Loop: Header=BB337_478 Depth=1
	v_ffbh_u32_e32 v19, v9
	v_min_u32_e32 v19, 32, v19
	v_subrev_nc_u32_e32 v20, 28, v19
	v_sub_nc_u32_e32 v19, 29, v19
	v_lshlrev_b64 v[20:21], v20, v[9:10]
	v_and_b32_e32 v9, 7, v20
; %bb.613:                              ;   in Loop: Header=BB337_478 Depth=1
	s_or_b32 exec_lo, exec_lo, s18
	v_lshlrev_b32_e32 v20, 16, v17
	v_lshlrev_b32_e32 v9, 20, v9
	v_lshl_add_u32 v19, v19, 23, 0x3c000000
	v_and_b32_e32 v20, 0x80000000, v20
	v_or3_b32 v21, v9, v20, v19
.LBB337_614:                            ;   in Loop: Header=BB337_478 Depth=1
	s_or_b32 exec_lo, exec_lo, s17
.LBB337_615:                            ;   in Loop: Header=BB337_478 Depth=1
	s_or_b32 exec_lo, exec_lo, s16
.LBB337_616:                            ;   in Loop: Header=BB337_478 Depth=1
	s_or_b32 exec_lo, exec_lo, s15
	v_and_b32_sdwa v9, v17, v37 dst_sel:DWORD dst_unused:UNUSED_PAD src0_sel:WORD_1 src1_sel:DWORD
	v_mov_b32_e32 v23, 0
	v_mov_b32_e32 v22, 0
	s_mov_b32 s15, exec_lo
	v_cmpx_ne_u16_e32 0, v9
	s_cbranch_execz .LBB337_624
; %bb.617:                              ;   in Loop: Header=BB337_478 Depth=1
	v_bfrev_b32_e32 v22, 1
	s_mov_b32 s16, exec_lo
	v_cmpx_ne_u16_e32 0x80, v9
	s_cbranch_execz .LBB337_623
; %bb.618:                              ;   in Loop: Header=BB337_478 Depth=1
	v_bfe_u32 v20, v17, 16, 7
	v_mov_b32_e32 v22, 0x7f800001
	s_mov_b32 s17, exec_lo
	v_cmpx_ne_u32_e32 0x7f, v20
	s_cbranch_execz .LBB337_622
; %bb.619:                              ;   in Loop: Header=BB337_478 Depth=1
	v_and_b32_sdwa v9, v17, v38 dst_sel:DWORD dst_unused:UNUSED_PAD src0_sel:WORD_1 src1_sel:DWORD
	v_lshrrev_b32_e32 v19, 3, v20
	s_mov_b32 s18, exec_lo
	v_cmpx_gt_u32_e32 8, v20
; %bb.620:                              ;   in Loop: Header=BB337_478 Depth=1
	v_ffbh_u32_e32 v19, v9
	v_min_u32_e32 v19, 32, v19
	v_subrev_nc_u32_e32 v20, 28, v19
	v_sub_nc_u32_e32 v19, 29, v19
	v_lshlrev_b64 v[64:65], v20, v[9:10]
	v_and_b32_e32 v9, 7, v64
; %bb.621:                              ;   in Loop: Header=BB337_478 Depth=1
	s_or_b32 exec_lo, exec_lo, s18
	v_lshlrev_b32_sdwa v20, v39, v17 dst_sel:DWORD dst_unused:UNUSED_PAD src0_sel:DWORD src1_sel:WORD_1
	v_lshlrev_b32_e32 v9, 20, v9
	v_lshl_add_u32 v19, v19, 23, 0x3c000000
	v_and_b32_e32 v20, 0x80000000, v20
	v_or3_b32 v22, v9, v20, v19
.LBB337_622:                            ;   in Loop: Header=BB337_478 Depth=1
	s_or_b32 exec_lo, exec_lo, s17
.LBB337_623:                            ;   in Loop: Header=BB337_478 Depth=1
	s_or_b32 exec_lo, exec_lo, s16
.LBB337_624:                            ;   in Loop: Header=BB337_478 Depth=1
	s_or_b32 exec_lo, exec_lo, s15
	s_mov_b32 s15, exec_lo
	v_cmpx_lt_u32_e32 0xffffff, v17
	s_cbranch_execz .LBB337_632
; %bb.625:                              ;   in Loop: Header=BB337_478 Depth=1
	v_cmp_ne_u32_sdwa s0, v17, v35 src0_sel:BYTE_3 src1_sel:DWORD
	v_bfrev_b32_e32 v23, 1
	s_and_saveexec_b32 s16, s0
	s_cbranch_execz .LBB337_631
; %bb.626:                              ;   in Loop: Header=BB337_478 Depth=1
	v_bfe_u32 v20, v17, 24, 7
	v_mov_b32_e32 v23, 0x7f800001
	s_mov_b32 s17, exec_lo
	v_cmpx_ne_u32_e32 0x7f, v20
	s_cbranch_execz .LBB337_630
; %bb.627:                              ;   in Loop: Header=BB337_478 Depth=1
	v_and_b32_sdwa v9, v17, v38 dst_sel:DWORD dst_unused:UNUSED_PAD src0_sel:BYTE_3 src1_sel:DWORD
	v_lshrrev_b32_e32 v19, 3, v20
	s_mov_b32 s18, exec_lo
	v_cmpx_gt_u32_e32 8, v20
; %bb.628:                              ;   in Loop: Header=BB337_478 Depth=1
	v_ffbh_u32_e32 v19, v9
	v_min_u32_e32 v19, 32, v19
	v_subrev_nc_u32_e32 v20, 28, v19
	v_sub_nc_u32_e32 v19, 29, v19
	v_lshlrev_b64 v[64:65], v20, v[9:10]
	v_and_b32_e32 v9, 7, v64
; %bb.629:                              ;   in Loop: Header=BB337_478 Depth=1
	s_or_b32 exec_lo, exec_lo, s18
	v_lshlrev_b32_sdwa v20, v39, v17 dst_sel:DWORD dst_unused:UNUSED_PAD src0_sel:DWORD src1_sel:BYTE_3
	v_lshlrev_b32_e32 v9, 20, v9
	v_lshl_add_u32 v19, v19, 23, 0x3c000000
	v_and_b32_e32 v20, 0x80000000, v20
	v_or3_b32 v23, v9, v20, v19
.LBB337_630:                            ;   in Loop: Header=BB337_478 Depth=1
	s_or_b32 exec_lo, exec_lo, s17
.LBB337_631:                            ;   in Loop: Header=BB337_478 Depth=1
	s_or_b32 exec_lo, exec_lo, s16
.LBB337_632:                            ;   in Loop: Header=BB337_478 Depth=1
	s_or_b32 exec_lo, exec_lo, s15
	v_mov_b32_e32 v9, v18
	v_cmp_ne_u16_sdwa s0, v18, v10 src0_sel:BYTE_0 src1_sel:DWORD
	v_mov_b32_e32 v19, 0
	v_mov_b32_e32 v64, 0
	s_and_saveexec_b32 s15, s0
	s_cbranch_execz .LBB337_638
; %bb.633:                              ;   in Loop: Header=BB337_478 Depth=1
	v_cmp_ne_u16_sdwa s0, v18, v35 src0_sel:BYTE_0 src1_sel:DWORD
	v_bfrev_b32_e32 v64, 1
	s_and_saveexec_b32 s16, s0
	s_cbranch_execz .LBB337_637
; %bb.634:                              ;   in Loop: Header=BB337_478 Depth=1
	v_and_b32_e32 v20, 0x7f, v18
	v_mov_b32_e32 v64, 0x7f800001
	s_mov_b32 s17, exec_lo
	v_cmpx_ne_u32_e32 0x7f, v20
	s_cbranch_execz .LBB337_636
; %bb.635:                              ;   in Loop: Header=BB337_478 Depth=1
	v_and_b32_e32 v64, 7, v18
	v_lshrrev_b32_e32 v65, 3, v20
	v_cmp_gt_u32_e64 s0, 8, v20
	v_ffbh_u32_e32 v64, v64
	v_min_u32_e32 v64, 32, v64
	v_subrev_nc_u32_e32 v66, 28, v64
	v_sub_nc_u32_e32 v64, 29, v64
	v_cndmask_b32_e64 v20, v65, v64, s0
	v_cndmask_b32_e64 v64, 0, v66, s0
	v_lshl_add_u32 v20, v20, 23, 0x3c000000
	v_lshlrev_b64 v[64:65], v64, v[9:10]
	v_lshlrev_b32_e32 v65, 24, v9
	v_lshlrev_b32_e32 v64, 20, v64
	v_and_b32_e32 v65, 0x80000000, v65
	v_and_b32_e32 v64, 0x700000, v64
	v_or3_b32 v64, v64, v65, v20
.LBB337_636:                            ;   in Loop: Header=BB337_478 Depth=1
	s_or_b32 exec_lo, exec_lo, s17
.LBB337_637:                            ;   in Loop: Header=BB337_478 Depth=1
	s_or_b32 exec_lo, exec_lo, s16
.LBB337_638:                            ;   in Loop: Header=BB337_478 Depth=1
	s_or_b32 exec_lo, exec_lo, s15
	v_cmp_ne_u16_sdwa s0, v9, v10 src0_sel:BYTE_1 src1_sel:DWORD
	s_and_saveexec_b32 s15, s0
	s_cbranch_execz .LBB337_646
; %bb.639:                              ;   in Loop: Header=BB337_478 Depth=1
	v_cmp_ne_u16_sdwa s0, v9, v35 src0_sel:BYTE_1 src1_sel:DWORD
	v_bfrev_b32_e32 v19, 1
	s_and_saveexec_b32 s16, s0
	s_cbranch_execz .LBB337_645
; %bb.640:                              ;   in Loop: Header=BB337_478 Depth=1
	v_and_b32_sdwa v20, v36, v9 dst_sel:DWORD dst_unused:UNUSED_PAD src0_sel:DWORD src1_sel:BYTE_1
	v_mov_b32_e32 v19, 0x7f800001
	s_mov_b32 s17, exec_lo
	v_and_b32_e32 v66, 0x7f, v20
	v_cmpx_ne_u32_e32 0x7f, v66
	s_cbranch_execz .LBB337_644
; %bb.641:                              ;   in Loop: Header=BB337_478 Depth=1
	v_and_b32_e32 v19, 7, v20
	v_mov_b32_e32 v20, v10
	v_lshrrev_b32_e32 v65, 3, v66
	s_mov_b32 s18, exec_lo
	v_cmpx_gt_u32_e32 8, v66
; %bb.642:                              ;   in Loop: Header=BB337_478 Depth=1
	v_ffbh_u32_e32 v65, v19
	v_min_u32_e32 v65, 32, v65
	v_subrev_nc_u32_e32 v66, 28, v65
	v_sub_nc_u32_e32 v65, 29, v65
	v_lshlrev_b64 v[19:20], v66, v[19:20]
	v_and_b32_e32 v19, 7, v19
; %bb.643:                              ;   in Loop: Header=BB337_478 Depth=1
	s_or_b32 exec_lo, exec_lo, s18
	v_lshlrev_b32_e32 v9, 16, v9
	v_lshlrev_b32_e32 v19, 20, v19
	v_lshl_add_u32 v20, v65, 23, 0x3c000000
	v_and_b32_e32 v9, 0x80000000, v9
	v_or3_b32 v19, v19, v9, v20
.LBB337_644:                            ;   in Loop: Header=BB337_478 Depth=1
	s_or_b32 exec_lo, exec_lo, s17
.LBB337_645:                            ;   in Loop: Header=BB337_478 Depth=1
	s_or_b32 exec_lo, exec_lo, s16
.LBB337_646:                            ;   in Loop: Header=BB337_478 Depth=1
	s_or_b32 exec_lo, exec_lo, s15
	v_and_b32_sdwa v9, v18, v37 dst_sel:DWORD dst_unused:UNUSED_PAD src0_sel:WORD_1 src1_sel:DWORD
	v_mov_b32_e32 v20, 0
	v_mov_b32_e32 v66, 0
	s_mov_b32 s15, exec_lo
	v_cmpx_ne_u16_e32 0, v9
	s_cbranch_execz .LBB337_654
; %bb.647:                              ;   in Loop: Header=BB337_478 Depth=1
	v_bfrev_b32_e32 v66, 1
	s_mov_b32 s16, exec_lo
	v_cmpx_ne_u16_e32 0x80, v9
	s_cbranch_execz .LBB337_653
; %bb.648:                              ;   in Loop: Header=BB337_478 Depth=1
	v_bfe_u32 v67, v18, 16, 7
	v_mov_b32_e32 v66, 0x7f800001
	s_mov_b32 s17, exec_lo
	v_cmpx_ne_u32_e32 0x7f, v67
	s_cbranch_execz .LBB337_652
; %bb.649:                              ;   in Loop: Header=BB337_478 Depth=1
	v_and_b32_sdwa v9, v18, v38 dst_sel:DWORD dst_unused:UNUSED_PAD src0_sel:WORD_1 src1_sel:DWORD
	v_lshrrev_b32_e32 v65, 3, v67
	s_mov_b32 s18, exec_lo
	v_cmpx_gt_u32_e32 8, v67
; %bb.650:                              ;   in Loop: Header=BB337_478 Depth=1
	v_ffbh_u32_e32 v65, v9
	v_min_u32_e32 v65, 32, v65
	v_subrev_nc_u32_e32 v66, 28, v65
	v_sub_nc_u32_e32 v65, 29, v65
	v_lshlrev_b64 v[66:67], v66, v[9:10]
	v_and_b32_e32 v9, 7, v66
; %bb.651:                              ;   in Loop: Header=BB337_478 Depth=1
	s_or_b32 exec_lo, exec_lo, s18
	v_lshlrev_b32_sdwa v66, v39, v18 dst_sel:DWORD dst_unused:UNUSED_PAD src0_sel:DWORD src1_sel:WORD_1
	v_lshlrev_b32_e32 v9, 20, v9
	v_lshl_add_u32 v65, v65, 23, 0x3c000000
	v_and_b32_e32 v66, 0x80000000, v66
	v_or3_b32 v66, v9, v66, v65
.LBB337_652:                            ;   in Loop: Header=BB337_478 Depth=1
	s_or_b32 exec_lo, exec_lo, s17
.LBB337_653:                            ;   in Loop: Header=BB337_478 Depth=1
	s_or_b32 exec_lo, exec_lo, s16
.LBB337_654:                            ;   in Loop: Header=BB337_478 Depth=1
	s_or_b32 exec_lo, exec_lo, s15
	s_mov_b32 s15, exec_lo
	v_cmpx_lt_u64_e64 s[2:3], v[17:18]
	s_cbranch_execz .LBB337_662
; %bb.655:                              ;   in Loop: Header=BB337_478 Depth=1
	v_cmp_ne_u32_sdwa s0, v18, v35 src0_sel:BYTE_3 src1_sel:DWORD
	v_bfrev_b32_e32 v20, 1
	s_and_saveexec_b32 s16, s0
	s_cbranch_execz .LBB337_661
; %bb.656:                              ;   in Loop: Header=BB337_478 Depth=1
	v_bfe_u32 v65, v18, 24, 7
	v_mov_b32_e32 v20, 0x7f800001
	s_mov_b32 s17, exec_lo
	v_cmpx_ne_u32_e32 0x7f, v65
	s_cbranch_execz .LBB337_660
; %bb.657:                              ;   in Loop: Header=BB337_478 Depth=1
	v_and_b32_sdwa v9, v18, v38 dst_sel:DWORD dst_unused:UNUSED_PAD src0_sel:BYTE_3 src1_sel:DWORD
	v_lshrrev_b32_e32 v17, 3, v65
	s_mov_b32 s18, exec_lo
	v_cmpx_gt_u32_e32 8, v65
; %bb.658:                              ;   in Loop: Header=BB337_478 Depth=1
	v_ffbh_u32_e32 v17, v9
	v_min_u32_e32 v17, 32, v17
	v_subrev_nc_u32_e32 v20, 28, v17
	v_sub_nc_u32_e32 v17, 29, v17
	v_lshlrev_b64 v[67:68], v20, v[9:10]
	v_and_b32_e32 v9, 7, v67
; %bb.659:                              ;   in Loop: Header=BB337_478 Depth=1
	s_or_b32 exec_lo, exec_lo, s18
	v_lshlrev_b32_sdwa v18, v39, v18 dst_sel:DWORD dst_unused:UNUSED_PAD src0_sel:DWORD src1_sel:BYTE_3
	v_lshlrev_b32_e32 v9, 20, v9
	v_lshl_add_u32 v17, v17, 23, 0x3c000000
	v_and_b32_e32 v18, 0x80000000, v18
	v_or3_b32 v20, v9, v18, v17
.LBB337_660:                            ;   in Loop: Header=BB337_478 Depth=1
	s_or_b32 exec_lo, exec_lo, s17
.LBB337_661:                            ;   in Loop: Header=BB337_478 Depth=1
	s_or_b32 exec_lo, exec_lo, s16
.LBB337_662:                            ;   in Loop: Header=BB337_478 Depth=1
	s_or_b32 exec_lo, exec_lo, s15
	v_mul_f32_e32 v9, s5, v19
	v_mul_f32_e32 v17, s5, v64
	;; [unrolled: 1-line block ×5, first 2 shown]
	v_bfe_u32 v22, v9, 16, 1
	v_or_b32_e32 v23, 0x400000, v9
	v_bfe_u32 v64, v17, 16, 1
	v_cmp_u_f32_e64 s0, v9, v9
	v_or_b32_e32 v65, 0x400000, v17
	v_add3_u32 v22, v22, v9, 0x7fff
	v_bfe_u32 v67, v18, 16, 1
	v_add3_u32 v64, v64, v17, 0x7fff
	v_or_b32_e32 v68, 0x400000, v18
	v_bfe_u32 v69, v19, 16, 1
	v_cndmask_b32_e64 v9, v22, v23, s0
	v_cmp_u_f32_e64 s0, v17, v17
	v_add3_u32 v67, v67, v18, 0x7fff
	v_or_b32_e32 v22, 0x400000, v19
	v_mul_f32_e32 v20, s5, v20
	v_cndmask_b32_e64 v17, v64, v65, s0
	v_cmp_u_f32_e64 s0, v18, v18
	v_lshrrev_b32_e32 v64, 16, v9
	v_mul_f32_e32 v9, s5, v21
	v_add3_u32 v21, v69, v19, 0x7fff
	v_lshrrev_b32_e32 v65, 16, v17
	v_cndmask_b32_e64 v18, v67, v68, s0
	v_cmp_u_f32_e64 s0, v19, v19
	v_bfe_u32 v17, v9, 16, 1
	v_mul_f32_e32 v19, s5, v66
	v_or_b32_e32 v68, 0x400000, v20
	v_lshrrev_b32_e32 v67, 16, v18
	v_cndmask_b32_e64 v18, v21, v22, s0
	v_add3_u32 v17, v17, v9, 0x7fff
	v_or_b32_e32 v21, 0x400000, v9
	v_bfe_u32 v22, v0, 16, 1
	v_cmp_u_f32_e64 s0, v9, v9
	v_bfe_u32 v23, v19, 16, 1
	v_or_b32_e32 v66, 0x400000, v19
	v_lshrrev_b32_e32 v69, 16, v18
	v_cndmask_b32_e64 v9, v17, v21, s0
	v_add3_u32 v21, v22, v0, 0x7fff
	v_or_b32_e32 v22, 0x400000, v0
	v_cmp_u_f32_e64 s0, v0, v0
	v_bfe_u32 v17, v20, 16, 1
	v_add3_u32 v23, v23, v19, 0x7fff
	v_lshrrev_b32_e32 v71, 16, v9
	v_cndmask_b32_e64 v0, v21, v22, s0
	v_cmp_u_f32_e64 s0, v19, v19
	v_add3_u32 v17, v17, v20, 0x7fff
	v_lshrrev_b32_e32 v70, 16, v0
	v_cndmask_b32_e64 v19, v23, v66, s0
	v_cmp_u_f32_e64 s0, v20, v20
	v_lshrrev_b32_e32 v66, 16, v19
	v_cndmask_b32_e64 v17, v17, v68, s0
	v_lshrrev_b32_e32 v68, 16, v17
	s_and_saveexec_b32 s15, vcc_lo
	s_cbranch_execz .LBB337_664
; %bb.663:                              ;   in Loop: Header=BB337_478 Depth=1
	v_cmp_gt_i32_e64 s0, s11, v49
	v_cndmask_b32_e64 v70, 0, v70, s0
	v_cmp_gt_i32_e64 s0, s11, v55
	v_cndmask_b32_e64 v71, 0, v71, s0
	;; [unrolled: 2-line block ×8, first 2 shown]
.LBB337_664:                            ;   in Loop: Header=BB337_478 Depth=1
	s_or_b32 exec_lo, exec_lo, s15
	global_load_dwordx2 v[17:18], v[15:16], off offset:768
	v_mov_b32_e32 v21, 0
	v_mov_b32_e32 v0, 0
	s_waitcnt vmcnt(0)
	v_cmp_ne_u16_sdwa s0, v17, v10 src0_sel:BYTE_0 src1_sel:DWORD
	s_and_saveexec_b32 s15, s0
	s_cbranch_execz .LBB337_670
; %bb.665:                              ;   in Loop: Header=BB337_478 Depth=1
	v_cmp_ne_u16_sdwa s0, v17, v35 src0_sel:BYTE_0 src1_sel:DWORD
	v_bfrev_b32_e32 v0, 1
	s_and_saveexec_b32 s16, s0
	s_cbranch_execz .LBB337_669
; %bb.666:                              ;   in Loop: Header=BB337_478 Depth=1
	v_and_b32_e32 v9, 0x7f, v17
	v_mov_b32_e32 v0, 0x7f800001
	s_mov_b32 s17, exec_lo
	v_cmpx_ne_u32_e32 0x7f, v9
	s_cbranch_execz .LBB337_668
; %bb.667:                              ;   in Loop: Header=BB337_478 Depth=1
	v_and_b32_e32 v0, 7, v17
	v_cmp_gt_u32_e64 s0, 8, v9
	v_lshrrev_b32_e32 v19, 3, v9
	v_ffbh_u32_e32 v0, v0
	v_min_u32_e32 v0, 32, v0
	v_subrev_nc_u32_e32 v20, 28, v0
	v_sub_nc_u32_e32 v0, 29, v0
	v_cndmask_b32_e64 v9, 0, v20, s0
	v_cndmask_b32_e64 v0, v19, v0, s0
	v_lshlrev_b64 v[19:20], v9, v[17:18]
	v_lshlrev_b32_e32 v9, 24, v17
	v_lshl_add_u32 v0, v0, 23, 0x3c000000
	v_and_b32_e32 v9, 0x80000000, v9
	v_lshlrev_b32_e32 v19, 20, v19
	v_and_b32_e32 v19, 0x700000, v19
	v_or3_b32 v0, v19, v9, v0
.LBB337_668:                            ;   in Loop: Header=BB337_478 Depth=1
	s_or_b32 exec_lo, exec_lo, s17
.LBB337_669:                            ;   in Loop: Header=BB337_478 Depth=1
	s_or_b32 exec_lo, exec_lo, s16
.LBB337_670:                            ;   in Loop: Header=BB337_478 Depth=1
	s_or_b32 exec_lo, exec_lo, s15
	v_cmp_ne_u16_sdwa s0, v17, v10 src0_sel:BYTE_1 src1_sel:DWORD
	s_and_saveexec_b32 s15, s0
	s_cbranch_execz .LBB337_678
; %bb.671:                              ;   in Loop: Header=BB337_478 Depth=1
	v_cmp_ne_u16_sdwa s0, v17, v35 src0_sel:BYTE_1 src1_sel:DWORD
	v_bfrev_b32_e32 v21, 1
	s_and_saveexec_b32 s16, s0
	s_cbranch_execz .LBB337_677
; %bb.672:                              ;   in Loop: Header=BB337_478 Depth=1
	v_and_b32_sdwa v9, v36, v17 dst_sel:DWORD dst_unused:UNUSED_PAD src0_sel:DWORD src1_sel:BYTE_1
	v_mov_b32_e32 v21, 0x7f800001
	s_mov_b32 s17, exec_lo
	v_and_b32_e32 v20, 0x7f, v9
	v_cmpx_ne_u32_e32 0x7f, v20
	s_cbranch_execz .LBB337_676
; %bb.673:                              ;   in Loop: Header=BB337_478 Depth=1
	v_and_b32_e32 v9, 7, v9
	v_lshrrev_b32_e32 v19, 3, v20
	s_mov_b32 s18, exec_lo
	v_cmpx_gt_u32_e32 8, v20
; %bb.674:                              ;   in Loop: Header=BB337_478 Depth=1
	v_ffbh_u32_e32 v19, v9
	v_min_u32_e32 v19, 32, v19
	v_subrev_nc_u32_e32 v20, 28, v19
	v_sub_nc_u32_e32 v19, 29, v19
	v_lshlrev_b64 v[20:21], v20, v[9:10]
	v_and_b32_e32 v9, 7, v20
; %bb.675:                              ;   in Loop: Header=BB337_478 Depth=1
	s_or_b32 exec_lo, exec_lo, s18
	v_lshlrev_b32_e32 v20, 16, v17
	v_lshlrev_b32_e32 v9, 20, v9
	v_lshl_add_u32 v19, v19, 23, 0x3c000000
	v_and_b32_e32 v20, 0x80000000, v20
	v_or3_b32 v21, v9, v20, v19
.LBB337_676:                            ;   in Loop: Header=BB337_478 Depth=1
	s_or_b32 exec_lo, exec_lo, s17
.LBB337_677:                            ;   in Loop: Header=BB337_478 Depth=1
	s_or_b32 exec_lo, exec_lo, s16
.LBB337_678:                            ;   in Loop: Header=BB337_478 Depth=1
	s_or_b32 exec_lo, exec_lo, s15
	v_and_b32_sdwa v9, v17, v37 dst_sel:DWORD dst_unused:UNUSED_PAD src0_sel:WORD_1 src1_sel:DWORD
	v_mov_b32_e32 v23, 0
	v_mov_b32_e32 v22, 0
	s_mov_b32 s15, exec_lo
	v_cmpx_ne_u16_e32 0, v9
	s_cbranch_execz .LBB337_686
; %bb.679:                              ;   in Loop: Header=BB337_478 Depth=1
	v_bfrev_b32_e32 v22, 1
	s_mov_b32 s16, exec_lo
	v_cmpx_ne_u16_e32 0x80, v9
	s_cbranch_execz .LBB337_685
; %bb.680:                              ;   in Loop: Header=BB337_478 Depth=1
	v_bfe_u32 v20, v17, 16, 7
	v_mov_b32_e32 v22, 0x7f800001
	s_mov_b32 s17, exec_lo
	v_cmpx_ne_u32_e32 0x7f, v20
	s_cbranch_execz .LBB337_684
; %bb.681:                              ;   in Loop: Header=BB337_478 Depth=1
	v_and_b32_sdwa v9, v17, v38 dst_sel:DWORD dst_unused:UNUSED_PAD src0_sel:WORD_1 src1_sel:DWORD
	v_lshrrev_b32_e32 v19, 3, v20
	s_mov_b32 s18, exec_lo
	v_cmpx_gt_u32_e32 8, v20
; %bb.682:                              ;   in Loop: Header=BB337_478 Depth=1
	v_ffbh_u32_e32 v19, v9
	v_min_u32_e32 v19, 32, v19
	v_subrev_nc_u32_e32 v20, 28, v19
	v_sub_nc_u32_e32 v19, 29, v19
	v_lshlrev_b64 v[72:73], v20, v[9:10]
	v_and_b32_e32 v9, 7, v72
; %bb.683:                              ;   in Loop: Header=BB337_478 Depth=1
	s_or_b32 exec_lo, exec_lo, s18
	v_lshlrev_b32_sdwa v20, v39, v17 dst_sel:DWORD dst_unused:UNUSED_PAD src0_sel:DWORD src1_sel:WORD_1
	v_lshlrev_b32_e32 v9, 20, v9
	v_lshl_add_u32 v19, v19, 23, 0x3c000000
	v_and_b32_e32 v20, 0x80000000, v20
	v_or3_b32 v22, v9, v20, v19
.LBB337_684:                            ;   in Loop: Header=BB337_478 Depth=1
	s_or_b32 exec_lo, exec_lo, s17
.LBB337_685:                            ;   in Loop: Header=BB337_478 Depth=1
	s_or_b32 exec_lo, exec_lo, s16
.LBB337_686:                            ;   in Loop: Header=BB337_478 Depth=1
	s_or_b32 exec_lo, exec_lo, s15
	s_mov_b32 s15, exec_lo
	v_cmpx_lt_u32_e32 0xffffff, v17
	s_cbranch_execz .LBB337_694
; %bb.687:                              ;   in Loop: Header=BB337_478 Depth=1
	v_cmp_ne_u32_sdwa s0, v17, v35 src0_sel:BYTE_3 src1_sel:DWORD
	v_bfrev_b32_e32 v23, 1
	s_and_saveexec_b32 s16, s0
	s_cbranch_execz .LBB337_693
; %bb.688:                              ;   in Loop: Header=BB337_478 Depth=1
	v_bfe_u32 v20, v17, 24, 7
	v_mov_b32_e32 v23, 0x7f800001
	s_mov_b32 s17, exec_lo
	v_cmpx_ne_u32_e32 0x7f, v20
	s_cbranch_execz .LBB337_692
; %bb.689:                              ;   in Loop: Header=BB337_478 Depth=1
	v_and_b32_sdwa v9, v17, v38 dst_sel:DWORD dst_unused:UNUSED_PAD src0_sel:BYTE_3 src1_sel:DWORD
	v_lshrrev_b32_e32 v19, 3, v20
	s_mov_b32 s18, exec_lo
	v_cmpx_gt_u32_e32 8, v20
; %bb.690:                              ;   in Loop: Header=BB337_478 Depth=1
	v_ffbh_u32_e32 v19, v9
	v_min_u32_e32 v19, 32, v19
	v_subrev_nc_u32_e32 v20, 28, v19
	v_sub_nc_u32_e32 v19, 29, v19
	v_lshlrev_b64 v[72:73], v20, v[9:10]
	v_and_b32_e32 v9, 7, v72
; %bb.691:                              ;   in Loop: Header=BB337_478 Depth=1
	s_or_b32 exec_lo, exec_lo, s18
	v_lshlrev_b32_sdwa v20, v39, v17 dst_sel:DWORD dst_unused:UNUSED_PAD src0_sel:DWORD src1_sel:BYTE_3
	v_lshlrev_b32_e32 v9, 20, v9
	v_lshl_add_u32 v19, v19, 23, 0x3c000000
	v_and_b32_e32 v20, 0x80000000, v20
	v_or3_b32 v23, v9, v20, v19
.LBB337_692:                            ;   in Loop: Header=BB337_478 Depth=1
	s_or_b32 exec_lo, exec_lo, s17
.LBB337_693:                            ;   in Loop: Header=BB337_478 Depth=1
	s_or_b32 exec_lo, exec_lo, s16
.LBB337_694:                            ;   in Loop: Header=BB337_478 Depth=1
	s_or_b32 exec_lo, exec_lo, s15
	v_mov_b32_e32 v9, v18
	v_cmp_ne_u16_sdwa s0, v18, v10 src0_sel:BYTE_0 src1_sel:DWORD
	v_mov_b32_e32 v19, 0
	v_mov_b32_e32 v72, 0
	s_and_saveexec_b32 s15, s0
	s_cbranch_execz .LBB337_700
; %bb.695:                              ;   in Loop: Header=BB337_478 Depth=1
	v_cmp_ne_u16_sdwa s0, v18, v35 src0_sel:BYTE_0 src1_sel:DWORD
	v_bfrev_b32_e32 v72, 1
	s_and_saveexec_b32 s16, s0
	s_cbranch_execz .LBB337_699
; %bb.696:                              ;   in Loop: Header=BB337_478 Depth=1
	v_and_b32_e32 v20, 0x7f, v18
	v_mov_b32_e32 v72, 0x7f800001
	s_mov_b32 s17, exec_lo
	v_cmpx_ne_u32_e32 0x7f, v20
	s_cbranch_execz .LBB337_698
; %bb.697:                              ;   in Loop: Header=BB337_478 Depth=1
	v_and_b32_e32 v72, 7, v18
	v_lshrrev_b32_e32 v73, 3, v20
	v_cmp_gt_u32_e64 s0, 8, v20
	v_ffbh_u32_e32 v72, v72
	v_min_u32_e32 v72, 32, v72
	v_subrev_nc_u32_e32 v74, 28, v72
	v_sub_nc_u32_e32 v72, 29, v72
	v_cndmask_b32_e64 v20, v73, v72, s0
	v_cndmask_b32_e64 v72, 0, v74, s0
	v_lshl_add_u32 v20, v20, 23, 0x3c000000
	v_lshlrev_b64 v[72:73], v72, v[9:10]
	v_lshlrev_b32_e32 v73, 24, v9
	v_lshlrev_b32_e32 v72, 20, v72
	v_and_b32_e32 v73, 0x80000000, v73
	v_and_b32_e32 v72, 0x700000, v72
	v_or3_b32 v72, v72, v73, v20
.LBB337_698:                            ;   in Loop: Header=BB337_478 Depth=1
	s_or_b32 exec_lo, exec_lo, s17
.LBB337_699:                            ;   in Loop: Header=BB337_478 Depth=1
	s_or_b32 exec_lo, exec_lo, s16
.LBB337_700:                            ;   in Loop: Header=BB337_478 Depth=1
	s_or_b32 exec_lo, exec_lo, s15
	v_cmp_ne_u16_sdwa s0, v9, v10 src0_sel:BYTE_1 src1_sel:DWORD
	s_and_saveexec_b32 s15, s0
	s_cbranch_execz .LBB337_708
; %bb.701:                              ;   in Loop: Header=BB337_478 Depth=1
	v_cmp_ne_u16_sdwa s0, v9, v35 src0_sel:BYTE_1 src1_sel:DWORD
	v_bfrev_b32_e32 v19, 1
	s_and_saveexec_b32 s16, s0
	s_cbranch_execz .LBB337_707
; %bb.702:                              ;   in Loop: Header=BB337_478 Depth=1
	v_and_b32_sdwa v20, v36, v9 dst_sel:DWORD dst_unused:UNUSED_PAD src0_sel:DWORD src1_sel:BYTE_1
	v_mov_b32_e32 v19, 0x7f800001
	s_mov_b32 s17, exec_lo
	v_and_b32_e32 v74, 0x7f, v20
	v_cmpx_ne_u32_e32 0x7f, v74
	s_cbranch_execz .LBB337_706
; %bb.703:                              ;   in Loop: Header=BB337_478 Depth=1
	v_and_b32_e32 v19, 7, v20
	v_mov_b32_e32 v20, v10
	v_lshrrev_b32_e32 v73, 3, v74
	s_mov_b32 s18, exec_lo
	v_cmpx_gt_u32_e32 8, v74
; %bb.704:                              ;   in Loop: Header=BB337_478 Depth=1
	v_ffbh_u32_e32 v73, v19
	v_min_u32_e32 v73, 32, v73
	v_subrev_nc_u32_e32 v74, 28, v73
	v_sub_nc_u32_e32 v73, 29, v73
	v_lshlrev_b64 v[19:20], v74, v[19:20]
	v_and_b32_e32 v19, 7, v19
; %bb.705:                              ;   in Loop: Header=BB337_478 Depth=1
	s_or_b32 exec_lo, exec_lo, s18
	v_lshlrev_b32_e32 v9, 16, v9
	v_lshlrev_b32_e32 v19, 20, v19
	v_lshl_add_u32 v20, v73, 23, 0x3c000000
	v_and_b32_e32 v9, 0x80000000, v9
	v_or3_b32 v19, v19, v9, v20
.LBB337_706:                            ;   in Loop: Header=BB337_478 Depth=1
	s_or_b32 exec_lo, exec_lo, s17
.LBB337_707:                            ;   in Loop: Header=BB337_478 Depth=1
	s_or_b32 exec_lo, exec_lo, s16
.LBB337_708:                            ;   in Loop: Header=BB337_478 Depth=1
	s_or_b32 exec_lo, exec_lo, s15
	v_and_b32_sdwa v9, v18, v37 dst_sel:DWORD dst_unused:UNUSED_PAD src0_sel:WORD_1 src1_sel:DWORD
	v_mov_b32_e32 v20, 0
	v_mov_b32_e32 v74, 0
	s_mov_b32 s15, exec_lo
	v_cmpx_ne_u16_e32 0, v9
	s_cbranch_execz .LBB337_716
; %bb.709:                              ;   in Loop: Header=BB337_478 Depth=1
	v_bfrev_b32_e32 v74, 1
	s_mov_b32 s16, exec_lo
	v_cmpx_ne_u16_e32 0x80, v9
	s_cbranch_execz .LBB337_715
; %bb.710:                              ;   in Loop: Header=BB337_478 Depth=1
	v_bfe_u32 v75, v18, 16, 7
	v_mov_b32_e32 v74, 0x7f800001
	s_mov_b32 s17, exec_lo
	v_cmpx_ne_u32_e32 0x7f, v75
	s_cbranch_execz .LBB337_714
; %bb.711:                              ;   in Loop: Header=BB337_478 Depth=1
	v_and_b32_sdwa v9, v18, v38 dst_sel:DWORD dst_unused:UNUSED_PAD src0_sel:WORD_1 src1_sel:DWORD
	v_lshrrev_b32_e32 v73, 3, v75
	s_mov_b32 s18, exec_lo
	v_cmpx_gt_u32_e32 8, v75
; %bb.712:                              ;   in Loop: Header=BB337_478 Depth=1
	v_ffbh_u32_e32 v73, v9
	v_min_u32_e32 v73, 32, v73
	v_subrev_nc_u32_e32 v74, 28, v73
	v_sub_nc_u32_e32 v73, 29, v73
	v_lshlrev_b64 v[74:75], v74, v[9:10]
	v_and_b32_e32 v9, 7, v74
; %bb.713:                              ;   in Loop: Header=BB337_478 Depth=1
	s_or_b32 exec_lo, exec_lo, s18
	v_lshlrev_b32_sdwa v74, v39, v18 dst_sel:DWORD dst_unused:UNUSED_PAD src0_sel:DWORD src1_sel:WORD_1
	v_lshlrev_b32_e32 v9, 20, v9
	v_lshl_add_u32 v73, v73, 23, 0x3c000000
	v_and_b32_e32 v74, 0x80000000, v74
	v_or3_b32 v74, v9, v74, v73
.LBB337_714:                            ;   in Loop: Header=BB337_478 Depth=1
	s_or_b32 exec_lo, exec_lo, s17
.LBB337_715:                            ;   in Loop: Header=BB337_478 Depth=1
	s_or_b32 exec_lo, exec_lo, s16
.LBB337_716:                            ;   in Loop: Header=BB337_478 Depth=1
	s_or_b32 exec_lo, exec_lo, s15
	s_mov_b32 s15, exec_lo
	v_cmpx_lt_u64_e64 s[2:3], v[17:18]
	s_cbranch_execz .LBB337_724
; %bb.717:                              ;   in Loop: Header=BB337_478 Depth=1
	v_cmp_ne_u32_sdwa s0, v18, v35 src0_sel:BYTE_3 src1_sel:DWORD
	v_bfrev_b32_e32 v20, 1
	s_and_saveexec_b32 s16, s0
	s_cbranch_execz .LBB337_723
; %bb.718:                              ;   in Loop: Header=BB337_478 Depth=1
	v_bfe_u32 v73, v18, 24, 7
	v_mov_b32_e32 v20, 0x7f800001
	s_mov_b32 s17, exec_lo
	v_cmpx_ne_u32_e32 0x7f, v73
	s_cbranch_execz .LBB337_722
; %bb.719:                              ;   in Loop: Header=BB337_478 Depth=1
	v_and_b32_sdwa v9, v18, v38 dst_sel:DWORD dst_unused:UNUSED_PAD src0_sel:BYTE_3 src1_sel:DWORD
	v_lshrrev_b32_e32 v17, 3, v73
	s_mov_b32 s18, exec_lo
	v_cmpx_gt_u32_e32 8, v73
; %bb.720:                              ;   in Loop: Header=BB337_478 Depth=1
	v_ffbh_u32_e32 v17, v9
	v_min_u32_e32 v17, 32, v17
	v_subrev_nc_u32_e32 v20, 28, v17
	v_sub_nc_u32_e32 v17, 29, v17
	v_lshlrev_b64 v[75:76], v20, v[9:10]
	v_and_b32_e32 v9, 7, v75
; %bb.721:                              ;   in Loop: Header=BB337_478 Depth=1
	s_or_b32 exec_lo, exec_lo, s18
	v_lshlrev_b32_sdwa v18, v39, v18 dst_sel:DWORD dst_unused:UNUSED_PAD src0_sel:DWORD src1_sel:BYTE_3
	v_lshlrev_b32_e32 v9, 20, v9
	v_lshl_add_u32 v17, v17, 23, 0x3c000000
	v_and_b32_e32 v18, 0x80000000, v18
	v_or3_b32 v20, v9, v18, v17
.LBB337_722:                            ;   in Loop: Header=BB337_478 Depth=1
	s_or_b32 exec_lo, exec_lo, s17
.LBB337_723:                            ;   in Loop: Header=BB337_478 Depth=1
	s_or_b32 exec_lo, exec_lo, s16
.LBB337_724:                            ;   in Loop: Header=BB337_478 Depth=1
	s_or_b32 exec_lo, exec_lo, s15
	v_mul_f32_e32 v9, s5, v19
	v_mul_f32_e32 v17, s5, v72
	;; [unrolled: 1-line block ×5, first 2 shown]
	v_bfe_u32 v22, v9, 16, 1
	v_or_b32_e32 v23, 0x400000, v9
	v_bfe_u32 v72, v17, 16, 1
	v_cmp_u_f32_e64 s0, v9, v9
	v_or_b32_e32 v73, 0x400000, v17
	v_add3_u32 v22, v22, v9, 0x7fff
	v_bfe_u32 v75, v18, 16, 1
	v_add3_u32 v72, v72, v17, 0x7fff
	v_or_b32_e32 v76, 0x400000, v18
	v_bfe_u32 v77, v19, 16, 1
	v_cndmask_b32_e64 v9, v22, v23, s0
	v_cmp_u_f32_e64 s0, v17, v17
	v_add3_u32 v75, v75, v18, 0x7fff
	v_or_b32_e32 v22, 0x400000, v19
	v_mul_f32_e32 v20, s5, v20
	v_cndmask_b32_e64 v17, v72, v73, s0
	v_cmp_u_f32_e64 s0, v18, v18
	v_lshrrev_b32_e32 v72, 16, v9
	v_mul_f32_e32 v9, s5, v21
	v_add3_u32 v21, v77, v19, 0x7fff
	v_lshrrev_b32_e32 v73, 16, v17
	v_cndmask_b32_e64 v18, v75, v76, s0
	v_cmp_u_f32_e64 s0, v19, v19
	v_bfe_u32 v17, v9, 16, 1
	v_mul_f32_e32 v19, s5, v74
	v_or_b32_e32 v76, 0x400000, v20
	v_lshrrev_b32_e32 v75, 16, v18
	v_cndmask_b32_e64 v18, v21, v22, s0
	v_add3_u32 v17, v17, v9, 0x7fff
	v_or_b32_e32 v21, 0x400000, v9
	v_bfe_u32 v22, v0, 16, 1
	v_cmp_u_f32_e64 s0, v9, v9
	v_bfe_u32 v23, v19, 16, 1
	v_or_b32_e32 v74, 0x400000, v19
	v_lshrrev_b32_e32 v77, 16, v18
	v_cndmask_b32_e64 v9, v17, v21, s0
	v_add3_u32 v21, v22, v0, 0x7fff
	v_or_b32_e32 v22, 0x400000, v0
	v_cmp_u_f32_e64 s0, v0, v0
	v_bfe_u32 v17, v20, 16, 1
	v_add3_u32 v23, v23, v19, 0x7fff
	v_lshrrev_b32_e32 v79, 16, v9
	v_cndmask_b32_e64 v0, v21, v22, s0
	v_cmp_u_f32_e64 s0, v19, v19
	v_add3_u32 v17, v17, v20, 0x7fff
	v_lshrrev_b32_e32 v78, 16, v0
	v_cndmask_b32_e64 v19, v23, v74, s0
	v_cmp_u_f32_e64 s0, v20, v20
	v_lshrrev_b32_e32 v74, 16, v19
	v_cndmask_b32_e64 v17, v17, v76, s0
	v_lshrrev_b32_e32 v76, 16, v17
	s_and_saveexec_b32 s15, vcc_lo
	s_cbranch_execz .LBB337_726
; %bb.725:                              ;   in Loop: Header=BB337_478 Depth=1
	v_cmp_gt_i32_e64 s0, s11, v49
	v_cndmask_b32_e64 v78, 0, v78, s0
	v_cmp_gt_i32_e64 s0, s11, v55
	v_cndmask_b32_e64 v79, 0, v79, s0
	;; [unrolled: 2-line block ×8, first 2 shown]
.LBB337_726:                            ;   in Loop: Header=BB337_478 Depth=1
	s_or_b32 exec_lo, exec_lo, s15
	global_load_dwordx2 v[17:18], v[15:16], off offset:1024
	v_mov_b32_e32 v21, 0
	v_mov_b32_e32 v0, 0
	s_waitcnt vmcnt(0)
	v_cmp_ne_u16_sdwa s0, v17, v10 src0_sel:BYTE_0 src1_sel:DWORD
	s_and_saveexec_b32 s15, s0
	s_cbranch_execz .LBB337_732
; %bb.727:                              ;   in Loop: Header=BB337_478 Depth=1
	v_cmp_ne_u16_sdwa s0, v17, v35 src0_sel:BYTE_0 src1_sel:DWORD
	v_bfrev_b32_e32 v0, 1
	s_and_saveexec_b32 s16, s0
	s_cbranch_execz .LBB337_731
; %bb.728:                              ;   in Loop: Header=BB337_478 Depth=1
	v_and_b32_e32 v9, 0x7f, v17
	v_mov_b32_e32 v0, 0x7f800001
	s_mov_b32 s17, exec_lo
	v_cmpx_ne_u32_e32 0x7f, v9
	s_cbranch_execz .LBB337_730
; %bb.729:                              ;   in Loop: Header=BB337_478 Depth=1
	v_and_b32_e32 v0, 7, v17
	v_cmp_gt_u32_e64 s0, 8, v9
	v_lshrrev_b32_e32 v19, 3, v9
	v_ffbh_u32_e32 v0, v0
	v_min_u32_e32 v0, 32, v0
	v_subrev_nc_u32_e32 v20, 28, v0
	v_sub_nc_u32_e32 v0, 29, v0
	v_cndmask_b32_e64 v9, 0, v20, s0
	v_cndmask_b32_e64 v0, v19, v0, s0
	v_lshlrev_b64 v[19:20], v9, v[17:18]
	v_lshlrev_b32_e32 v9, 24, v17
	v_lshl_add_u32 v0, v0, 23, 0x3c000000
	v_and_b32_e32 v9, 0x80000000, v9
	v_lshlrev_b32_e32 v19, 20, v19
	v_and_b32_e32 v19, 0x700000, v19
	v_or3_b32 v0, v19, v9, v0
.LBB337_730:                            ;   in Loop: Header=BB337_478 Depth=1
	s_or_b32 exec_lo, exec_lo, s17
.LBB337_731:                            ;   in Loop: Header=BB337_478 Depth=1
	s_or_b32 exec_lo, exec_lo, s16
.LBB337_732:                            ;   in Loop: Header=BB337_478 Depth=1
	s_or_b32 exec_lo, exec_lo, s15
	v_cmp_ne_u16_sdwa s0, v17, v10 src0_sel:BYTE_1 src1_sel:DWORD
	s_and_saveexec_b32 s15, s0
	s_cbranch_execz .LBB337_740
; %bb.733:                              ;   in Loop: Header=BB337_478 Depth=1
	v_cmp_ne_u16_sdwa s0, v17, v35 src0_sel:BYTE_1 src1_sel:DWORD
	v_bfrev_b32_e32 v21, 1
	s_and_saveexec_b32 s16, s0
	s_cbranch_execz .LBB337_739
; %bb.734:                              ;   in Loop: Header=BB337_478 Depth=1
	v_and_b32_sdwa v9, v36, v17 dst_sel:DWORD dst_unused:UNUSED_PAD src0_sel:DWORD src1_sel:BYTE_1
	v_mov_b32_e32 v21, 0x7f800001
	s_mov_b32 s17, exec_lo
	v_and_b32_e32 v20, 0x7f, v9
	v_cmpx_ne_u32_e32 0x7f, v20
	s_cbranch_execz .LBB337_738
; %bb.735:                              ;   in Loop: Header=BB337_478 Depth=1
	v_and_b32_e32 v9, 7, v9
	v_lshrrev_b32_e32 v19, 3, v20
	s_mov_b32 s18, exec_lo
	v_cmpx_gt_u32_e32 8, v20
; %bb.736:                              ;   in Loop: Header=BB337_478 Depth=1
	v_ffbh_u32_e32 v19, v9
	v_min_u32_e32 v19, 32, v19
	v_subrev_nc_u32_e32 v20, 28, v19
	v_sub_nc_u32_e32 v19, 29, v19
	v_lshlrev_b64 v[20:21], v20, v[9:10]
	v_and_b32_e32 v9, 7, v20
; %bb.737:                              ;   in Loop: Header=BB337_478 Depth=1
	s_or_b32 exec_lo, exec_lo, s18
	v_lshlrev_b32_e32 v20, 16, v17
	v_lshlrev_b32_e32 v9, 20, v9
	v_lshl_add_u32 v19, v19, 23, 0x3c000000
	v_and_b32_e32 v20, 0x80000000, v20
	v_or3_b32 v21, v9, v20, v19
.LBB337_738:                            ;   in Loop: Header=BB337_478 Depth=1
	s_or_b32 exec_lo, exec_lo, s17
.LBB337_739:                            ;   in Loop: Header=BB337_478 Depth=1
	s_or_b32 exec_lo, exec_lo, s16
.LBB337_740:                            ;   in Loop: Header=BB337_478 Depth=1
	s_or_b32 exec_lo, exec_lo, s15
	v_and_b32_sdwa v9, v17, v37 dst_sel:DWORD dst_unused:UNUSED_PAD src0_sel:WORD_1 src1_sel:DWORD
	v_mov_b32_e32 v23, 0
	v_mov_b32_e32 v22, 0
	s_mov_b32 s15, exec_lo
	v_cmpx_ne_u16_e32 0, v9
	s_cbranch_execz .LBB337_748
; %bb.741:                              ;   in Loop: Header=BB337_478 Depth=1
	v_bfrev_b32_e32 v22, 1
	s_mov_b32 s16, exec_lo
	v_cmpx_ne_u16_e32 0x80, v9
	s_cbranch_execz .LBB337_747
; %bb.742:                              ;   in Loop: Header=BB337_478 Depth=1
	v_bfe_u32 v20, v17, 16, 7
	v_mov_b32_e32 v22, 0x7f800001
	s_mov_b32 s17, exec_lo
	v_cmpx_ne_u32_e32 0x7f, v20
	s_cbranch_execz .LBB337_746
; %bb.743:                              ;   in Loop: Header=BB337_478 Depth=1
	v_and_b32_sdwa v9, v17, v38 dst_sel:DWORD dst_unused:UNUSED_PAD src0_sel:WORD_1 src1_sel:DWORD
	v_lshrrev_b32_e32 v19, 3, v20
	s_mov_b32 s18, exec_lo
	v_cmpx_gt_u32_e32 8, v20
; %bb.744:                              ;   in Loop: Header=BB337_478 Depth=1
	v_ffbh_u32_e32 v19, v9
	v_min_u32_e32 v19, 32, v19
	v_subrev_nc_u32_e32 v20, 28, v19
	v_sub_nc_u32_e32 v19, 29, v19
	v_lshlrev_b64 v[80:81], v20, v[9:10]
	v_and_b32_e32 v9, 7, v80
; %bb.745:                              ;   in Loop: Header=BB337_478 Depth=1
	s_or_b32 exec_lo, exec_lo, s18
	v_lshlrev_b32_sdwa v20, v39, v17 dst_sel:DWORD dst_unused:UNUSED_PAD src0_sel:DWORD src1_sel:WORD_1
	v_lshlrev_b32_e32 v9, 20, v9
	v_lshl_add_u32 v19, v19, 23, 0x3c000000
	v_and_b32_e32 v20, 0x80000000, v20
	v_or3_b32 v22, v9, v20, v19
.LBB337_746:                            ;   in Loop: Header=BB337_478 Depth=1
	s_or_b32 exec_lo, exec_lo, s17
.LBB337_747:                            ;   in Loop: Header=BB337_478 Depth=1
	s_or_b32 exec_lo, exec_lo, s16
.LBB337_748:                            ;   in Loop: Header=BB337_478 Depth=1
	s_or_b32 exec_lo, exec_lo, s15
	s_mov_b32 s15, exec_lo
	v_cmpx_lt_u32_e32 0xffffff, v17
	s_cbranch_execz .LBB337_756
; %bb.749:                              ;   in Loop: Header=BB337_478 Depth=1
	v_cmp_ne_u32_sdwa s0, v17, v35 src0_sel:BYTE_3 src1_sel:DWORD
	v_bfrev_b32_e32 v23, 1
	s_and_saveexec_b32 s16, s0
	s_cbranch_execz .LBB337_755
; %bb.750:                              ;   in Loop: Header=BB337_478 Depth=1
	v_bfe_u32 v20, v17, 24, 7
	v_mov_b32_e32 v23, 0x7f800001
	s_mov_b32 s17, exec_lo
	v_cmpx_ne_u32_e32 0x7f, v20
	s_cbranch_execz .LBB337_754
; %bb.751:                              ;   in Loop: Header=BB337_478 Depth=1
	v_and_b32_sdwa v9, v17, v38 dst_sel:DWORD dst_unused:UNUSED_PAD src0_sel:BYTE_3 src1_sel:DWORD
	v_lshrrev_b32_e32 v19, 3, v20
	s_mov_b32 s18, exec_lo
	v_cmpx_gt_u32_e32 8, v20
; %bb.752:                              ;   in Loop: Header=BB337_478 Depth=1
	v_ffbh_u32_e32 v19, v9
	v_min_u32_e32 v19, 32, v19
	v_subrev_nc_u32_e32 v20, 28, v19
	v_sub_nc_u32_e32 v19, 29, v19
	v_lshlrev_b64 v[80:81], v20, v[9:10]
	v_and_b32_e32 v9, 7, v80
; %bb.753:                              ;   in Loop: Header=BB337_478 Depth=1
	s_or_b32 exec_lo, exec_lo, s18
	v_lshlrev_b32_sdwa v20, v39, v17 dst_sel:DWORD dst_unused:UNUSED_PAD src0_sel:DWORD src1_sel:BYTE_3
	v_lshlrev_b32_e32 v9, 20, v9
	v_lshl_add_u32 v19, v19, 23, 0x3c000000
	v_and_b32_e32 v20, 0x80000000, v20
	v_or3_b32 v23, v9, v20, v19
.LBB337_754:                            ;   in Loop: Header=BB337_478 Depth=1
	s_or_b32 exec_lo, exec_lo, s17
.LBB337_755:                            ;   in Loop: Header=BB337_478 Depth=1
	s_or_b32 exec_lo, exec_lo, s16
.LBB337_756:                            ;   in Loop: Header=BB337_478 Depth=1
	s_or_b32 exec_lo, exec_lo, s15
	v_mov_b32_e32 v9, v18
	v_cmp_ne_u16_sdwa s0, v18, v10 src0_sel:BYTE_0 src1_sel:DWORD
	v_mov_b32_e32 v19, 0
	v_mov_b32_e32 v80, 0
	s_and_saveexec_b32 s15, s0
	s_cbranch_execz .LBB337_762
; %bb.757:                              ;   in Loop: Header=BB337_478 Depth=1
	v_cmp_ne_u16_sdwa s0, v18, v35 src0_sel:BYTE_0 src1_sel:DWORD
	v_bfrev_b32_e32 v80, 1
	s_and_saveexec_b32 s16, s0
	s_cbranch_execz .LBB337_761
; %bb.758:                              ;   in Loop: Header=BB337_478 Depth=1
	v_and_b32_e32 v20, 0x7f, v18
	v_mov_b32_e32 v80, 0x7f800001
	s_mov_b32 s17, exec_lo
	v_cmpx_ne_u32_e32 0x7f, v20
	s_cbranch_execz .LBB337_760
; %bb.759:                              ;   in Loop: Header=BB337_478 Depth=1
	v_and_b32_e32 v80, 7, v18
	v_lshrrev_b32_e32 v81, 3, v20
	v_cmp_gt_u32_e64 s0, 8, v20
	v_ffbh_u32_e32 v80, v80
	v_min_u32_e32 v80, 32, v80
	v_subrev_nc_u32_e32 v82, 28, v80
	v_sub_nc_u32_e32 v80, 29, v80
	v_cndmask_b32_e64 v20, v81, v80, s0
	v_cndmask_b32_e64 v80, 0, v82, s0
	v_lshl_add_u32 v20, v20, 23, 0x3c000000
	v_lshlrev_b64 v[80:81], v80, v[9:10]
	v_lshlrev_b32_e32 v81, 24, v9
	v_lshlrev_b32_e32 v80, 20, v80
	v_and_b32_e32 v81, 0x80000000, v81
	v_and_b32_e32 v80, 0x700000, v80
	v_or3_b32 v80, v80, v81, v20
.LBB337_760:                            ;   in Loop: Header=BB337_478 Depth=1
	s_or_b32 exec_lo, exec_lo, s17
.LBB337_761:                            ;   in Loop: Header=BB337_478 Depth=1
	s_or_b32 exec_lo, exec_lo, s16
.LBB337_762:                            ;   in Loop: Header=BB337_478 Depth=1
	s_or_b32 exec_lo, exec_lo, s15
	v_cmp_ne_u16_sdwa s0, v9, v10 src0_sel:BYTE_1 src1_sel:DWORD
	s_and_saveexec_b32 s15, s0
	s_cbranch_execz .LBB337_770
; %bb.763:                              ;   in Loop: Header=BB337_478 Depth=1
	v_cmp_ne_u16_sdwa s0, v9, v35 src0_sel:BYTE_1 src1_sel:DWORD
	v_bfrev_b32_e32 v19, 1
	s_and_saveexec_b32 s16, s0
	s_cbranch_execz .LBB337_769
; %bb.764:                              ;   in Loop: Header=BB337_478 Depth=1
	v_and_b32_sdwa v20, v36, v9 dst_sel:DWORD dst_unused:UNUSED_PAD src0_sel:DWORD src1_sel:BYTE_1
	v_mov_b32_e32 v19, 0x7f800001
	s_mov_b32 s17, exec_lo
	v_and_b32_e32 v82, 0x7f, v20
	v_cmpx_ne_u32_e32 0x7f, v82
	s_cbranch_execz .LBB337_768
; %bb.765:                              ;   in Loop: Header=BB337_478 Depth=1
	v_and_b32_e32 v19, 7, v20
	v_mov_b32_e32 v20, v10
	v_lshrrev_b32_e32 v81, 3, v82
	s_mov_b32 s18, exec_lo
	v_cmpx_gt_u32_e32 8, v82
; %bb.766:                              ;   in Loop: Header=BB337_478 Depth=1
	v_ffbh_u32_e32 v81, v19
	v_min_u32_e32 v81, 32, v81
	v_subrev_nc_u32_e32 v82, 28, v81
	v_sub_nc_u32_e32 v81, 29, v81
	v_lshlrev_b64 v[19:20], v82, v[19:20]
	v_and_b32_e32 v19, 7, v19
; %bb.767:                              ;   in Loop: Header=BB337_478 Depth=1
	s_or_b32 exec_lo, exec_lo, s18
	v_lshlrev_b32_e32 v9, 16, v9
	v_lshlrev_b32_e32 v19, 20, v19
	v_lshl_add_u32 v20, v81, 23, 0x3c000000
	v_and_b32_e32 v9, 0x80000000, v9
	v_or3_b32 v19, v19, v9, v20
.LBB337_768:                            ;   in Loop: Header=BB337_478 Depth=1
	s_or_b32 exec_lo, exec_lo, s17
.LBB337_769:                            ;   in Loop: Header=BB337_478 Depth=1
	s_or_b32 exec_lo, exec_lo, s16
.LBB337_770:                            ;   in Loop: Header=BB337_478 Depth=1
	s_or_b32 exec_lo, exec_lo, s15
	v_and_b32_sdwa v9, v18, v37 dst_sel:DWORD dst_unused:UNUSED_PAD src0_sel:WORD_1 src1_sel:DWORD
	v_mov_b32_e32 v20, 0
	v_mov_b32_e32 v82, 0
	s_mov_b32 s15, exec_lo
	v_cmpx_ne_u16_e32 0, v9
	s_cbranch_execz .LBB337_778
; %bb.771:                              ;   in Loop: Header=BB337_478 Depth=1
	v_bfrev_b32_e32 v82, 1
	s_mov_b32 s16, exec_lo
	v_cmpx_ne_u16_e32 0x80, v9
	s_cbranch_execz .LBB337_777
; %bb.772:                              ;   in Loop: Header=BB337_478 Depth=1
	v_bfe_u32 v83, v18, 16, 7
	v_mov_b32_e32 v82, 0x7f800001
	s_mov_b32 s17, exec_lo
	v_cmpx_ne_u32_e32 0x7f, v83
	s_cbranch_execz .LBB337_776
; %bb.773:                              ;   in Loop: Header=BB337_478 Depth=1
	v_and_b32_sdwa v9, v18, v38 dst_sel:DWORD dst_unused:UNUSED_PAD src0_sel:WORD_1 src1_sel:DWORD
	v_lshrrev_b32_e32 v81, 3, v83
	s_mov_b32 s18, exec_lo
	v_cmpx_gt_u32_e32 8, v83
; %bb.774:                              ;   in Loop: Header=BB337_478 Depth=1
	v_ffbh_u32_e32 v81, v9
	v_min_u32_e32 v81, 32, v81
	v_subrev_nc_u32_e32 v82, 28, v81
	v_sub_nc_u32_e32 v81, 29, v81
	v_lshlrev_b64 v[82:83], v82, v[9:10]
	v_and_b32_e32 v9, 7, v82
; %bb.775:                              ;   in Loop: Header=BB337_478 Depth=1
	s_or_b32 exec_lo, exec_lo, s18
	v_lshlrev_b32_sdwa v82, v39, v18 dst_sel:DWORD dst_unused:UNUSED_PAD src0_sel:DWORD src1_sel:WORD_1
	v_lshlrev_b32_e32 v9, 20, v9
	v_lshl_add_u32 v81, v81, 23, 0x3c000000
	v_and_b32_e32 v82, 0x80000000, v82
	v_or3_b32 v82, v9, v82, v81
.LBB337_776:                            ;   in Loop: Header=BB337_478 Depth=1
	s_or_b32 exec_lo, exec_lo, s17
.LBB337_777:                            ;   in Loop: Header=BB337_478 Depth=1
	s_or_b32 exec_lo, exec_lo, s16
.LBB337_778:                            ;   in Loop: Header=BB337_478 Depth=1
	s_or_b32 exec_lo, exec_lo, s15
	s_mov_b32 s15, exec_lo
	v_cmpx_lt_u64_e64 s[2:3], v[17:18]
	s_cbranch_execz .LBB337_786
; %bb.779:                              ;   in Loop: Header=BB337_478 Depth=1
	v_cmp_ne_u32_sdwa s0, v18, v35 src0_sel:BYTE_3 src1_sel:DWORD
	v_bfrev_b32_e32 v20, 1
	s_and_saveexec_b32 s16, s0
	s_cbranch_execz .LBB337_785
; %bb.780:                              ;   in Loop: Header=BB337_478 Depth=1
	v_bfe_u32 v81, v18, 24, 7
	v_mov_b32_e32 v20, 0x7f800001
	s_mov_b32 s17, exec_lo
	v_cmpx_ne_u32_e32 0x7f, v81
	s_cbranch_execz .LBB337_784
; %bb.781:                              ;   in Loop: Header=BB337_478 Depth=1
	v_and_b32_sdwa v9, v18, v38 dst_sel:DWORD dst_unused:UNUSED_PAD src0_sel:BYTE_3 src1_sel:DWORD
	v_lshrrev_b32_e32 v17, 3, v81
	s_mov_b32 s18, exec_lo
	v_cmpx_gt_u32_e32 8, v81
; %bb.782:                              ;   in Loop: Header=BB337_478 Depth=1
	v_ffbh_u32_e32 v17, v9
	v_min_u32_e32 v17, 32, v17
	v_subrev_nc_u32_e32 v20, 28, v17
	v_sub_nc_u32_e32 v17, 29, v17
	v_lshlrev_b64 v[83:84], v20, v[9:10]
	v_and_b32_e32 v9, 7, v83
; %bb.783:                              ;   in Loop: Header=BB337_478 Depth=1
	s_or_b32 exec_lo, exec_lo, s18
	v_lshlrev_b32_sdwa v18, v39, v18 dst_sel:DWORD dst_unused:UNUSED_PAD src0_sel:DWORD src1_sel:BYTE_3
	v_lshlrev_b32_e32 v9, 20, v9
	v_lshl_add_u32 v17, v17, 23, 0x3c000000
	v_and_b32_e32 v18, 0x80000000, v18
	v_or3_b32 v20, v9, v18, v17
.LBB337_784:                            ;   in Loop: Header=BB337_478 Depth=1
	s_or_b32 exec_lo, exec_lo, s17
.LBB337_785:                            ;   in Loop: Header=BB337_478 Depth=1
	s_or_b32 exec_lo, exec_lo, s16
.LBB337_786:                            ;   in Loop: Header=BB337_478 Depth=1
	s_or_b32 exec_lo, exec_lo, s15
	v_mul_f32_e32 v9, s5, v19
	v_mul_f32_e32 v17, s5, v80
	;; [unrolled: 1-line block ×5, first 2 shown]
	v_bfe_u32 v22, v9, 16, 1
	v_or_b32_e32 v23, 0x400000, v9
	v_bfe_u32 v80, v17, 16, 1
	v_cmp_u_f32_e64 s0, v9, v9
	v_or_b32_e32 v81, 0x400000, v17
	v_add3_u32 v22, v22, v9, 0x7fff
	v_bfe_u32 v83, v18, 16, 1
	v_add3_u32 v80, v80, v17, 0x7fff
	v_or_b32_e32 v84, 0x400000, v18
	v_bfe_u32 v85, v19, 16, 1
	v_cndmask_b32_e64 v9, v22, v23, s0
	v_cmp_u_f32_e64 s0, v17, v17
	v_add3_u32 v83, v83, v18, 0x7fff
	v_or_b32_e32 v22, 0x400000, v19
	v_mul_f32_e32 v20, s5, v20
	v_cndmask_b32_e64 v17, v80, v81, s0
	v_cmp_u_f32_e64 s0, v18, v18
	v_lshrrev_b32_e32 v80, 16, v9
	v_mul_f32_e32 v9, s5, v21
	v_add3_u32 v21, v85, v19, 0x7fff
	v_lshrrev_b32_e32 v81, 16, v17
	v_cndmask_b32_e64 v18, v83, v84, s0
	v_cmp_u_f32_e64 s0, v19, v19
	v_bfe_u32 v17, v9, 16, 1
	v_mul_f32_e32 v19, s5, v82
	v_or_b32_e32 v84, 0x400000, v20
	v_lshrrev_b32_e32 v83, 16, v18
	v_cndmask_b32_e64 v18, v21, v22, s0
	v_add3_u32 v17, v17, v9, 0x7fff
	v_or_b32_e32 v21, 0x400000, v9
	v_bfe_u32 v22, v0, 16, 1
	v_cmp_u_f32_e64 s0, v9, v9
	v_bfe_u32 v23, v19, 16, 1
	v_or_b32_e32 v82, 0x400000, v19
	v_lshrrev_b32_e32 v85, 16, v18
	v_cndmask_b32_e64 v9, v17, v21, s0
	v_add3_u32 v21, v22, v0, 0x7fff
	v_or_b32_e32 v22, 0x400000, v0
	v_cmp_u_f32_e64 s0, v0, v0
	v_bfe_u32 v17, v20, 16, 1
	v_add3_u32 v23, v23, v19, 0x7fff
	v_lshrrev_b32_e32 v87, 16, v9
	v_cndmask_b32_e64 v0, v21, v22, s0
	v_cmp_u_f32_e64 s0, v19, v19
	v_add3_u32 v17, v17, v20, 0x7fff
	v_lshrrev_b32_e32 v86, 16, v0
	v_cndmask_b32_e64 v19, v23, v82, s0
	v_cmp_u_f32_e64 s0, v20, v20
	v_lshrrev_b32_e32 v82, 16, v19
	v_cndmask_b32_e64 v17, v17, v84, s0
	v_lshrrev_b32_e32 v84, 16, v17
	s_and_saveexec_b32 s15, vcc_lo
	s_cbranch_execz .LBB337_788
; %bb.787:                              ;   in Loop: Header=BB337_478 Depth=1
	v_cmp_gt_i32_e64 s0, s11, v49
	v_cndmask_b32_e64 v86, 0, v86, s0
	v_cmp_gt_i32_e64 s0, s11, v55
	v_cndmask_b32_e64 v87, 0, v87, s0
	;; [unrolled: 2-line block ×8, first 2 shown]
.LBB337_788:                            ;   in Loop: Header=BB337_478 Depth=1
	s_or_b32 exec_lo, exec_lo, s15
	global_load_dwordx2 v[17:18], v[15:16], off offset:1280
	v_mov_b32_e32 v0, 0
	v_mov_b32_e32 v21, 0
	s_waitcnt vmcnt(0)
	v_cmp_ne_u16_sdwa s0, v17, v10 src0_sel:BYTE_0 src1_sel:DWORD
	s_and_saveexec_b32 s15, s0
	s_cbranch_execz .LBB337_794
; %bb.789:                              ;   in Loop: Header=BB337_478 Depth=1
	v_cmp_ne_u16_sdwa s0, v17, v35 src0_sel:BYTE_0 src1_sel:DWORD
	v_bfrev_b32_e32 v21, 1
	s_and_saveexec_b32 s16, s0
	s_cbranch_execz .LBB337_793
; %bb.790:                              ;   in Loop: Header=BB337_478 Depth=1
	v_and_b32_e32 v9, 0x7f, v17
	v_mov_b32_e32 v21, 0x7f800001
	s_mov_b32 s17, exec_lo
	v_cmpx_ne_u32_e32 0x7f, v9
	s_cbranch_execz .LBB337_792
; %bb.791:                              ;   in Loop: Header=BB337_478 Depth=1
	v_and_b32_e32 v19, 7, v17
	v_lshrrev_b32_e32 v20, 3, v9
	v_cmp_gt_u32_e64 s0, 8, v9
	v_ffbh_u32_e32 v19, v19
	v_min_u32_e32 v19, 32, v19
	v_subrev_nc_u32_e32 v21, 28, v19
	v_sub_nc_u32_e32 v19, 29, v19
	v_cndmask_b32_e64 v9, v20, v19, s0
	v_cndmask_b32_e64 v19, 0, v21, s0
	v_lshl_add_u32 v9, v9, 23, 0x3c000000
	v_lshlrev_b64 v[19:20], v19, v[17:18]
	v_lshlrev_b32_e32 v20, 24, v17
	v_lshlrev_b32_e32 v19, 20, v19
	v_and_b32_e32 v20, 0x80000000, v20
	v_and_b32_e32 v19, 0x700000, v19
	v_or3_b32 v21, v19, v20, v9
.LBB337_792:                            ;   in Loop: Header=BB337_478 Depth=1
	s_or_b32 exec_lo, exec_lo, s17
.LBB337_793:                            ;   in Loop: Header=BB337_478 Depth=1
	s_or_b32 exec_lo, exec_lo, s16
.LBB337_794:                            ;   in Loop: Header=BB337_478 Depth=1
	s_or_b32 exec_lo, exec_lo, s15
	v_cmp_ne_u16_sdwa s0, v17, v10 src0_sel:BYTE_1 src1_sel:DWORD
	s_and_saveexec_b32 s15, s0
	s_cbranch_execz .LBB337_802
; %bb.795:                              ;   in Loop: Header=BB337_478 Depth=1
	v_cmp_ne_u16_sdwa s0, v17, v35 src0_sel:BYTE_1 src1_sel:DWORD
	v_bfrev_b32_e32 v0, 1
	s_and_saveexec_b32 s16, s0
	s_cbranch_execz .LBB337_801
; %bb.796:                              ;   in Loop: Header=BB337_478 Depth=1
	v_and_b32_sdwa v9, v36, v17 dst_sel:DWORD dst_unused:UNUSED_PAD src0_sel:DWORD src1_sel:BYTE_1
	v_mov_b32_e32 v0, 0x7f800001
	s_mov_b32 s17, exec_lo
	v_and_b32_e32 v19, 0x7f, v9
	v_cmpx_ne_u32_e32 0x7f, v19
	s_cbranch_execz .LBB337_800
; %bb.797:                              ;   in Loop: Header=BB337_478 Depth=1
	v_and_b32_e32 v9, 7, v9
	v_lshrrev_b32_e32 v0, 3, v19
	s_mov_b32 s18, exec_lo
	v_cmpx_gt_u32_e32 8, v19
; %bb.798:                              ;   in Loop: Header=BB337_478 Depth=1
	v_ffbh_u32_e32 v0, v9
	v_min_u32_e32 v0, 32, v0
	v_subrev_nc_u32_e32 v19, 28, v0
	v_sub_nc_u32_e32 v0, 29, v0
	v_lshlrev_b64 v[19:20], v19, v[9:10]
	v_and_b32_e32 v9, 7, v19
; %bb.799:                              ;   in Loop: Header=BB337_478 Depth=1
	s_or_b32 exec_lo, exec_lo, s18
	v_lshlrev_b32_e32 v19, 16, v17
	v_lshlrev_b32_e32 v9, 20, v9
	v_lshl_add_u32 v0, v0, 23, 0x3c000000
	v_and_b32_e32 v19, 0x80000000, v19
	v_or3_b32 v0, v9, v19, v0
.LBB337_800:                            ;   in Loop: Header=BB337_478 Depth=1
	s_or_b32 exec_lo, exec_lo, s17
.LBB337_801:                            ;   in Loop: Header=BB337_478 Depth=1
	s_or_b32 exec_lo, exec_lo, s16
.LBB337_802:                            ;   in Loop: Header=BB337_478 Depth=1
	s_or_b32 exec_lo, exec_lo, s15
	v_and_b32_sdwa v9, v17, v37 dst_sel:DWORD dst_unused:UNUSED_PAD src0_sel:WORD_1 src1_sel:DWORD
	v_mov_b32_e32 v23, 0
	v_mov_b32_e32 v22, 0
	s_mov_b32 s15, exec_lo
	v_cmpx_ne_u16_e32 0, v9
	s_cbranch_execz .LBB337_810
; %bb.803:                              ;   in Loop: Header=BB337_478 Depth=1
	v_bfrev_b32_e32 v22, 1
	s_mov_b32 s16, exec_lo
	v_cmpx_ne_u16_e32 0x80, v9
	s_cbranch_execz .LBB337_809
; %bb.804:                              ;   in Loop: Header=BB337_478 Depth=1
	v_bfe_u32 v20, v17, 16, 7
	v_mov_b32_e32 v22, 0x7f800001
	s_mov_b32 s17, exec_lo
	v_cmpx_ne_u32_e32 0x7f, v20
	s_cbranch_execz .LBB337_808
; %bb.805:                              ;   in Loop: Header=BB337_478 Depth=1
	v_and_b32_sdwa v9, v17, v38 dst_sel:DWORD dst_unused:UNUSED_PAD src0_sel:WORD_1 src1_sel:DWORD
	v_lshrrev_b32_e32 v19, 3, v20
	s_mov_b32 s18, exec_lo
	v_cmpx_gt_u32_e32 8, v20
; %bb.806:                              ;   in Loop: Header=BB337_478 Depth=1
	v_ffbh_u32_e32 v19, v9
	v_min_u32_e32 v19, 32, v19
	v_subrev_nc_u32_e32 v20, 28, v19
	v_sub_nc_u32_e32 v19, 29, v19
	v_lshlrev_b64 v[88:89], v20, v[9:10]
	v_and_b32_e32 v9, 7, v88
; %bb.807:                              ;   in Loop: Header=BB337_478 Depth=1
	s_or_b32 exec_lo, exec_lo, s18
	v_lshlrev_b32_sdwa v20, v39, v17 dst_sel:DWORD dst_unused:UNUSED_PAD src0_sel:DWORD src1_sel:WORD_1
	v_lshlrev_b32_e32 v9, 20, v9
	v_lshl_add_u32 v19, v19, 23, 0x3c000000
	v_and_b32_e32 v20, 0x80000000, v20
	v_or3_b32 v22, v9, v20, v19
.LBB337_808:                            ;   in Loop: Header=BB337_478 Depth=1
	s_or_b32 exec_lo, exec_lo, s17
.LBB337_809:                            ;   in Loop: Header=BB337_478 Depth=1
	s_or_b32 exec_lo, exec_lo, s16
.LBB337_810:                            ;   in Loop: Header=BB337_478 Depth=1
	s_or_b32 exec_lo, exec_lo, s15
	s_mov_b32 s15, exec_lo
	v_cmpx_lt_u32_e32 0xffffff, v17
	s_cbranch_execz .LBB337_818
; %bb.811:                              ;   in Loop: Header=BB337_478 Depth=1
	v_cmp_ne_u32_sdwa s0, v17, v35 src0_sel:BYTE_3 src1_sel:DWORD
	v_bfrev_b32_e32 v23, 1
	s_and_saveexec_b32 s16, s0
	s_cbranch_execz .LBB337_817
; %bb.812:                              ;   in Loop: Header=BB337_478 Depth=1
	v_bfe_u32 v20, v17, 24, 7
	v_mov_b32_e32 v23, 0x7f800001
	s_mov_b32 s17, exec_lo
	v_cmpx_ne_u32_e32 0x7f, v20
	s_cbranch_execz .LBB337_816
; %bb.813:                              ;   in Loop: Header=BB337_478 Depth=1
	v_and_b32_sdwa v9, v17, v38 dst_sel:DWORD dst_unused:UNUSED_PAD src0_sel:BYTE_3 src1_sel:DWORD
	v_lshrrev_b32_e32 v19, 3, v20
	s_mov_b32 s18, exec_lo
	v_cmpx_gt_u32_e32 8, v20
; %bb.814:                              ;   in Loop: Header=BB337_478 Depth=1
	v_ffbh_u32_e32 v19, v9
	v_min_u32_e32 v19, 32, v19
	v_subrev_nc_u32_e32 v20, 28, v19
	v_sub_nc_u32_e32 v19, 29, v19
	v_lshlrev_b64 v[88:89], v20, v[9:10]
	v_and_b32_e32 v9, 7, v88
; %bb.815:                              ;   in Loop: Header=BB337_478 Depth=1
	s_or_b32 exec_lo, exec_lo, s18
	v_lshlrev_b32_sdwa v20, v39, v17 dst_sel:DWORD dst_unused:UNUSED_PAD src0_sel:DWORD src1_sel:BYTE_3
	v_lshlrev_b32_e32 v9, 20, v9
	v_lshl_add_u32 v19, v19, 23, 0x3c000000
	v_and_b32_e32 v20, 0x80000000, v20
	v_or3_b32 v23, v9, v20, v19
.LBB337_816:                            ;   in Loop: Header=BB337_478 Depth=1
	s_or_b32 exec_lo, exec_lo, s17
.LBB337_817:                            ;   in Loop: Header=BB337_478 Depth=1
	s_or_b32 exec_lo, exec_lo, s16
.LBB337_818:                            ;   in Loop: Header=BB337_478 Depth=1
	s_or_b32 exec_lo, exec_lo, s15
	v_mov_b32_e32 v9, v18
	v_cmp_ne_u16_sdwa s0, v18, v10 src0_sel:BYTE_0 src1_sel:DWORD
	v_mov_b32_e32 v19, 0
	v_mov_b32_e32 v88, 0
	s_and_saveexec_b32 s15, s0
	s_cbranch_execz .LBB337_824
; %bb.819:                              ;   in Loop: Header=BB337_478 Depth=1
	v_cmp_ne_u16_sdwa s0, v18, v35 src0_sel:BYTE_0 src1_sel:DWORD
	v_bfrev_b32_e32 v88, 1
	s_and_saveexec_b32 s16, s0
	s_cbranch_execz .LBB337_823
; %bb.820:                              ;   in Loop: Header=BB337_478 Depth=1
	v_and_b32_e32 v20, 0x7f, v18
	v_mov_b32_e32 v88, 0x7f800001
	s_mov_b32 s17, exec_lo
	v_cmpx_ne_u32_e32 0x7f, v20
	s_cbranch_execz .LBB337_822
; %bb.821:                              ;   in Loop: Header=BB337_478 Depth=1
	v_and_b32_e32 v88, 7, v18
	v_lshrrev_b32_e32 v89, 3, v20
	v_cmp_gt_u32_e64 s0, 8, v20
	v_ffbh_u32_e32 v88, v88
	v_min_u32_e32 v88, 32, v88
	v_subrev_nc_u32_e32 v90, 28, v88
	v_sub_nc_u32_e32 v88, 29, v88
	v_cndmask_b32_e64 v20, v89, v88, s0
	v_cndmask_b32_e64 v88, 0, v90, s0
	v_lshl_add_u32 v20, v20, 23, 0x3c000000
	v_lshlrev_b64 v[88:89], v88, v[9:10]
	v_lshlrev_b32_e32 v89, 24, v9
	v_lshlrev_b32_e32 v88, 20, v88
	v_and_b32_e32 v89, 0x80000000, v89
	v_and_b32_e32 v88, 0x700000, v88
	v_or3_b32 v88, v88, v89, v20
.LBB337_822:                            ;   in Loop: Header=BB337_478 Depth=1
	s_or_b32 exec_lo, exec_lo, s17
.LBB337_823:                            ;   in Loop: Header=BB337_478 Depth=1
	s_or_b32 exec_lo, exec_lo, s16
.LBB337_824:                            ;   in Loop: Header=BB337_478 Depth=1
	s_or_b32 exec_lo, exec_lo, s15
	v_cmp_ne_u16_sdwa s0, v9, v10 src0_sel:BYTE_1 src1_sel:DWORD
	s_and_saveexec_b32 s15, s0
	s_cbranch_execz .LBB337_832
; %bb.825:                              ;   in Loop: Header=BB337_478 Depth=1
	v_cmp_ne_u16_sdwa s0, v9, v35 src0_sel:BYTE_1 src1_sel:DWORD
	v_bfrev_b32_e32 v19, 1
	s_and_saveexec_b32 s16, s0
	s_cbranch_execz .LBB337_831
; %bb.826:                              ;   in Loop: Header=BB337_478 Depth=1
	v_and_b32_sdwa v20, v36, v9 dst_sel:DWORD dst_unused:UNUSED_PAD src0_sel:DWORD src1_sel:BYTE_1
	v_mov_b32_e32 v19, 0x7f800001
	s_mov_b32 s17, exec_lo
	v_and_b32_e32 v90, 0x7f, v20
	v_cmpx_ne_u32_e32 0x7f, v90
	s_cbranch_execz .LBB337_830
; %bb.827:                              ;   in Loop: Header=BB337_478 Depth=1
	v_and_b32_e32 v19, 7, v20
	v_mov_b32_e32 v20, v10
	v_lshrrev_b32_e32 v89, 3, v90
	s_mov_b32 s18, exec_lo
	v_cmpx_gt_u32_e32 8, v90
; %bb.828:                              ;   in Loop: Header=BB337_478 Depth=1
	v_ffbh_u32_e32 v89, v19
	v_min_u32_e32 v89, 32, v89
	v_subrev_nc_u32_e32 v90, 28, v89
	v_sub_nc_u32_e32 v89, 29, v89
	v_lshlrev_b64 v[19:20], v90, v[19:20]
	v_and_b32_e32 v19, 7, v19
; %bb.829:                              ;   in Loop: Header=BB337_478 Depth=1
	s_or_b32 exec_lo, exec_lo, s18
	v_lshlrev_b32_e32 v9, 16, v9
	v_lshlrev_b32_e32 v19, 20, v19
	v_lshl_add_u32 v20, v89, 23, 0x3c000000
	v_and_b32_e32 v9, 0x80000000, v9
	v_or3_b32 v19, v19, v9, v20
.LBB337_830:                            ;   in Loop: Header=BB337_478 Depth=1
	s_or_b32 exec_lo, exec_lo, s17
.LBB337_831:                            ;   in Loop: Header=BB337_478 Depth=1
	s_or_b32 exec_lo, exec_lo, s16
.LBB337_832:                            ;   in Loop: Header=BB337_478 Depth=1
	s_or_b32 exec_lo, exec_lo, s15
	v_and_b32_sdwa v9, v18, v37 dst_sel:DWORD dst_unused:UNUSED_PAD src0_sel:WORD_1 src1_sel:DWORD
	v_mov_b32_e32 v20, 0
	v_mov_b32_e32 v89, 0
	s_mov_b32 s15, exec_lo
	v_cmpx_ne_u16_e32 0, v9
	s_cbranch_execz .LBB337_840
; %bb.833:                              ;   in Loop: Header=BB337_478 Depth=1
	v_bfrev_b32_e32 v89, 1
	s_mov_b32 s16, exec_lo
	v_cmpx_ne_u16_e32 0x80, v9
	s_cbranch_execz .LBB337_839
; %bb.834:                              ;   in Loop: Header=BB337_478 Depth=1
	v_bfe_u32 v90, v18, 16, 7
	v_mov_b32_e32 v89, 0x7f800001
	s_mov_b32 s17, exec_lo
	v_cmpx_ne_u32_e32 0x7f, v90
	s_cbranch_execz .LBB337_838
; %bb.835:                              ;   in Loop: Header=BB337_478 Depth=1
	v_and_b32_sdwa v9, v18, v38 dst_sel:DWORD dst_unused:UNUSED_PAD src0_sel:WORD_1 src1_sel:DWORD
	v_lshrrev_b32_e32 v89, 3, v90
	s_mov_b32 s18, exec_lo
	v_cmpx_gt_u32_e32 8, v90
; %bb.836:                              ;   in Loop: Header=BB337_478 Depth=1
	v_ffbh_u32_e32 v89, v9
	v_min_u32_e32 v89, 32, v89
	v_subrev_nc_u32_e32 v90, 28, v89
	v_sub_nc_u32_e32 v89, 29, v89
	v_lshlrev_b64 v[90:91], v90, v[9:10]
	v_and_b32_e32 v9, 7, v90
; %bb.837:                              ;   in Loop: Header=BB337_478 Depth=1
	s_or_b32 exec_lo, exec_lo, s18
	v_lshlrev_b32_sdwa v90, v39, v18 dst_sel:DWORD dst_unused:UNUSED_PAD src0_sel:DWORD src1_sel:WORD_1
	v_lshlrev_b32_e32 v9, 20, v9
	v_lshl_add_u32 v89, v89, 23, 0x3c000000
	v_and_b32_e32 v90, 0x80000000, v90
	v_or3_b32 v89, v9, v90, v89
.LBB337_838:                            ;   in Loop: Header=BB337_478 Depth=1
	s_or_b32 exec_lo, exec_lo, s17
.LBB337_839:                            ;   in Loop: Header=BB337_478 Depth=1
	s_or_b32 exec_lo, exec_lo, s16
.LBB337_840:                            ;   in Loop: Header=BB337_478 Depth=1
	s_or_b32 exec_lo, exec_lo, s15
	s_mov_b32 s15, exec_lo
	v_cmpx_lt_u64_e64 s[2:3], v[17:18]
	s_cbranch_execz .LBB337_848
; %bb.841:                              ;   in Loop: Header=BB337_478 Depth=1
	v_cmp_ne_u32_sdwa s0, v18, v35 src0_sel:BYTE_3 src1_sel:DWORD
	v_bfrev_b32_e32 v20, 1
	s_and_saveexec_b32 s16, s0
	s_cbranch_execz .LBB337_847
; %bb.842:                              ;   in Loop: Header=BB337_478 Depth=1
	v_bfe_u32 v90, v18, 24, 7
	v_mov_b32_e32 v20, 0x7f800001
	s_mov_b32 s17, exec_lo
	v_cmpx_ne_u32_e32 0x7f, v90
	s_cbranch_execz .LBB337_846
; %bb.843:                              ;   in Loop: Header=BB337_478 Depth=1
	v_and_b32_sdwa v9, v18, v38 dst_sel:DWORD dst_unused:UNUSED_PAD src0_sel:BYTE_3 src1_sel:DWORD
	v_lshrrev_b32_e32 v17, 3, v90
	s_mov_b32 s18, exec_lo
	v_cmpx_gt_u32_e32 8, v90
; %bb.844:                              ;   in Loop: Header=BB337_478 Depth=1
	v_ffbh_u32_e32 v17, v9
	v_min_u32_e32 v17, 32, v17
	v_subrev_nc_u32_e32 v20, 28, v17
	v_sub_nc_u32_e32 v17, 29, v17
	v_lshlrev_b64 v[90:91], v20, v[9:10]
	v_and_b32_e32 v9, 7, v90
; %bb.845:                              ;   in Loop: Header=BB337_478 Depth=1
	s_or_b32 exec_lo, exec_lo, s18
	v_lshlrev_b32_sdwa v18, v39, v18 dst_sel:DWORD dst_unused:UNUSED_PAD src0_sel:DWORD src1_sel:BYTE_3
	v_lshlrev_b32_e32 v9, 20, v9
	v_lshl_add_u32 v17, v17, 23, 0x3c000000
	v_and_b32_e32 v18, 0x80000000, v18
	v_or3_b32 v20, v9, v18, v17
.LBB337_846:                            ;   in Loop: Header=BB337_478 Depth=1
	s_or_b32 exec_lo, exec_lo, s17
.LBB337_847:                            ;   in Loop: Header=BB337_478 Depth=1
	s_or_b32 exec_lo, exec_lo, s16
.LBB337_848:                            ;   in Loop: Header=BB337_478 Depth=1
	s_or_b32 exec_lo, exec_lo, s15
	v_mul_f32_e32 v9, s5, v19
	v_mul_f32_e32 v17, s5, v88
	;; [unrolled: 1-line block ×5, first 2 shown]
	v_bfe_u32 v19, v9, 16, 1
	v_or_b32_e32 v22, 0x400000, v9
	v_bfe_u32 v88, v17, 16, 1
	v_cmp_u_f32_e64 s0, v9, v9
	v_or_b32_e32 v90, 0x400000, v17
	v_add3_u32 v19, v19, v9, 0x7fff
	v_bfe_u32 v91, v18, 16, 1
	v_add3_u32 v88, v88, v17, 0x7fff
	v_or_b32_e32 v92, 0x400000, v18
	v_bfe_u32 v93, v23, 16, 1
	v_cndmask_b32_e64 v9, v19, v22, s0
	v_cmp_u_f32_e64 s0, v17, v17
	v_add3_u32 v91, v91, v18, 0x7fff
	v_mul_f32_e32 v20, s5, v20
	v_lshrrev_b32_e32 v19, 16, v9
	v_cndmask_b32_e64 v17, v88, v90, s0
	v_cmp_u_f32_e64 s0, v18, v18
	v_mul_f32_e32 v9, s5, v0
	v_add3_u32 v88, v93, v23, 0x7fff
	v_or_b32_e32 v90, 0x400000, v23
	v_lshrrev_b32_e32 v0, 16, v17
	v_cndmask_b32_e64 v18, v91, v92, s0
	v_bfe_u32 v17, v9, 16, 1
	v_cmp_u_f32_e64 s0, v23, v23
	v_mul_f32_e32 v23, s5, v89
	v_bfe_u32 v89, v21, 16, 1
	v_lshrrev_b32_e32 v22, 16, v18
	v_add3_u32 v17, v17, v9, 0x7fff
	v_cndmask_b32_e64 v18, v88, v90, s0
	v_or_b32_e32 v88, 0x400000, v9
	v_cmp_u_f32_e64 s0, v9, v9
	v_bfe_u32 v90, v23, 16, 1
	v_or_b32_e32 v91, 0x400000, v23
	v_or_b32_e32 v92, 0x400000, v20
	v_cndmask_b32_e64 v9, v17, v88, s0
	v_add3_u32 v88, v89, v21, 0x7fff
	v_or_b32_e32 v89, 0x400000, v21
	v_cmp_u_f32_e64 s0, v21, v21
	v_bfe_u32 v17, v20, 16, 1
	v_add3_u32 v90, v90, v23, 0x7fff
	v_cndmask_b32_e64 v21, v88, v89, s0
	v_cmp_u_f32_e64 s0, v23, v23
	v_add3_u32 v17, v17, v20, 0x7fff
	v_lshrrev_b32_e32 v23, 16, v18
	v_lshrrev_b32_e32 v88, 16, v21
	v_cndmask_b32_e64 v89, v90, v91, s0
	v_cmp_u_f32_e64 s0, v20, v20
	v_lshrrev_b32_e32 v90, 16, v9
	v_lshrrev_b32_e32 v20, 16, v89
	v_cndmask_b32_e64 v17, v17, v92, s0
	v_lshrrev_b32_e32 v21, 16, v17
	s_and_saveexec_b32 s15, vcc_lo
	s_cbranch_execz .LBB337_850
; %bb.849:                              ;   in Loop: Header=BB337_478 Depth=1
	v_cmp_gt_i32_e64 s0, s11, v49
	v_cndmask_b32_e64 v88, 0, v88, s0
	v_cmp_gt_i32_e64 s0, s11, v55
	v_cndmask_b32_e64 v90, 0, v90, s0
	;; [unrolled: 2-line block ×8, first 2 shown]
.LBB337_850:                            ;   in Loop: Header=BB337_478 Depth=1
	s_or_b32 exec_lo, exec_lo, s15
	global_load_dwordx2 v[15:16], v[15:16], off offset:1536
	v_mov_b32_e32 v91, 0
	v_mov_b32_e32 v89, 0
	s_waitcnt vmcnt(0)
	v_cmp_ne_u16_sdwa s0, v15, v10 src0_sel:BYTE_0 src1_sel:DWORD
	s_and_saveexec_b32 s15, s0
	s_cbranch_execz .LBB337_856
; %bb.851:                              ;   in Loop: Header=BB337_478 Depth=1
	v_cmp_ne_u16_sdwa s0, v15, v35 src0_sel:BYTE_0 src1_sel:DWORD
	v_bfrev_b32_e32 v89, 1
	s_and_saveexec_b32 s16, s0
	s_cbranch_execz .LBB337_855
; %bb.852:                              ;   in Loop: Header=BB337_478 Depth=1
	v_and_b32_e32 v9, 0x7f, v15
	v_mov_b32_e32 v89, 0x7f800001
	s_mov_b32 s17, exec_lo
	v_cmpx_ne_u32_e32 0x7f, v9
	s_cbranch_execz .LBB337_854
; %bb.853:                              ;   in Loop: Header=BB337_478 Depth=1
	v_and_b32_e32 v17, 7, v15
	v_lshrrev_b32_e32 v18, 3, v9
	v_cmp_gt_u32_e64 s0, 8, v9
	v_ffbh_u32_e32 v17, v17
	v_min_u32_e32 v17, 32, v17
	v_subrev_nc_u32_e32 v89, 28, v17
	v_sub_nc_u32_e32 v17, 29, v17
	v_cndmask_b32_e64 v9, v18, v17, s0
	v_cndmask_b32_e64 v17, 0, v89, s0
	v_lshl_add_u32 v9, v9, 23, 0x3c000000
	v_lshlrev_b64 v[17:18], v17, v[15:16]
	v_lshlrev_b32_e32 v18, 24, v15
	v_lshlrev_b32_e32 v17, 20, v17
	v_and_b32_e32 v18, 0x80000000, v18
	v_and_b32_e32 v17, 0x700000, v17
	v_or3_b32 v89, v17, v18, v9
.LBB337_854:                            ;   in Loop: Header=BB337_478 Depth=1
	s_or_b32 exec_lo, exec_lo, s17
.LBB337_855:                            ;   in Loop: Header=BB337_478 Depth=1
	s_or_b32 exec_lo, exec_lo, s16
.LBB337_856:                            ;   in Loop: Header=BB337_478 Depth=1
	s_or_b32 exec_lo, exec_lo, s15
	v_cmp_ne_u16_sdwa s0, v15, v10 src0_sel:BYTE_1 src1_sel:DWORD
	s_and_saveexec_b32 s15, s0
	s_cbranch_execz .LBB337_864
; %bb.857:                              ;   in Loop: Header=BB337_478 Depth=1
	v_cmp_ne_u16_sdwa s0, v15, v35 src0_sel:BYTE_1 src1_sel:DWORD
	v_bfrev_b32_e32 v91, 1
	s_and_saveexec_b32 s16, s0
	s_cbranch_execz .LBB337_863
; %bb.858:                              ;   in Loop: Header=BB337_478 Depth=1
	v_and_b32_sdwa v9, v36, v15 dst_sel:DWORD dst_unused:UNUSED_PAD src0_sel:DWORD src1_sel:BYTE_1
	v_mov_b32_e32 v91, 0x7f800001
	s_mov_b32 s17, exec_lo
	v_and_b32_e32 v18, 0x7f, v9
	v_cmpx_ne_u32_e32 0x7f, v18
	s_cbranch_execz .LBB337_862
; %bb.859:                              ;   in Loop: Header=BB337_478 Depth=1
	v_and_b32_e32 v9, 7, v9
	v_lshrrev_b32_e32 v17, 3, v18
	s_mov_b32 s18, exec_lo
	v_cmpx_gt_u32_e32 8, v18
; %bb.860:                              ;   in Loop: Header=BB337_478 Depth=1
	v_ffbh_u32_e32 v17, v9
	v_min_u32_e32 v17, 32, v17
	v_subrev_nc_u32_e32 v18, 28, v17
	v_sub_nc_u32_e32 v17, 29, v17
	v_lshlrev_b64 v[91:92], v18, v[9:10]
	v_and_b32_e32 v9, 7, v91
; %bb.861:                              ;   in Loop: Header=BB337_478 Depth=1
	s_or_b32 exec_lo, exec_lo, s18
	v_lshlrev_b32_e32 v18, 16, v15
	v_lshlrev_b32_e32 v9, 20, v9
	v_lshl_add_u32 v17, v17, 23, 0x3c000000
	v_and_b32_e32 v18, 0x80000000, v18
	v_or3_b32 v91, v9, v18, v17
.LBB337_862:                            ;   in Loop: Header=BB337_478 Depth=1
	s_or_b32 exec_lo, exec_lo, s17
.LBB337_863:                            ;   in Loop: Header=BB337_478 Depth=1
	s_or_b32 exec_lo, exec_lo, s16
.LBB337_864:                            ;   in Loop: Header=BB337_478 Depth=1
	s_or_b32 exec_lo, exec_lo, s15
	v_and_b32_sdwa v9, v15, v37 dst_sel:DWORD dst_unused:UNUSED_PAD src0_sel:WORD_1 src1_sel:DWORD
	v_mov_b32_e32 v93, 0
	v_mov_b32_e32 v92, 0
	s_mov_b32 s15, exec_lo
	v_cmpx_ne_u16_e32 0, v9
	s_cbranch_execz .LBB337_872
; %bb.865:                              ;   in Loop: Header=BB337_478 Depth=1
	v_bfrev_b32_e32 v92, 1
	s_mov_b32 s16, exec_lo
	v_cmpx_ne_u16_e32 0x80, v9
	s_cbranch_execz .LBB337_871
; %bb.866:                              ;   in Loop: Header=BB337_478 Depth=1
	v_bfe_u32 v18, v15, 16, 7
	v_mov_b32_e32 v92, 0x7f800001
	s_mov_b32 s17, exec_lo
	v_cmpx_ne_u32_e32 0x7f, v18
	s_cbranch_execz .LBB337_870
; %bb.867:                              ;   in Loop: Header=BB337_478 Depth=1
	v_and_b32_sdwa v9, v15, v38 dst_sel:DWORD dst_unused:UNUSED_PAD src0_sel:WORD_1 src1_sel:DWORD
	v_lshrrev_b32_e32 v17, 3, v18
	s_mov_b32 s18, exec_lo
	v_cmpx_gt_u32_e32 8, v18
; %bb.868:                              ;   in Loop: Header=BB337_478 Depth=1
	v_ffbh_u32_e32 v17, v9
	v_min_u32_e32 v17, 32, v17
	v_subrev_nc_u32_e32 v18, 28, v17
	v_sub_nc_u32_e32 v17, 29, v17
	v_lshlrev_b64 v[94:95], v18, v[9:10]
	v_and_b32_e32 v9, 7, v94
; %bb.869:                              ;   in Loop: Header=BB337_478 Depth=1
	s_or_b32 exec_lo, exec_lo, s18
	v_lshlrev_b32_sdwa v18, v39, v15 dst_sel:DWORD dst_unused:UNUSED_PAD src0_sel:DWORD src1_sel:WORD_1
	v_lshlrev_b32_e32 v9, 20, v9
	v_lshl_add_u32 v17, v17, 23, 0x3c000000
	v_and_b32_e32 v18, 0x80000000, v18
	v_or3_b32 v92, v9, v18, v17
.LBB337_870:                            ;   in Loop: Header=BB337_478 Depth=1
	s_or_b32 exec_lo, exec_lo, s17
.LBB337_871:                            ;   in Loop: Header=BB337_478 Depth=1
	s_or_b32 exec_lo, exec_lo, s16
.LBB337_872:                            ;   in Loop: Header=BB337_478 Depth=1
	s_or_b32 exec_lo, exec_lo, s15
	s_mov_b32 s15, exec_lo
	v_cmpx_lt_u32_e32 0xffffff, v15
	s_cbranch_execz .LBB337_880
; %bb.873:                              ;   in Loop: Header=BB337_478 Depth=1
	v_cmp_ne_u32_sdwa s0, v15, v35 src0_sel:BYTE_3 src1_sel:DWORD
	v_bfrev_b32_e32 v93, 1
	s_and_saveexec_b32 s16, s0
	s_cbranch_execz .LBB337_879
; %bb.874:                              ;   in Loop: Header=BB337_478 Depth=1
	v_bfe_u32 v18, v15, 24, 7
	v_mov_b32_e32 v93, 0x7f800001
	s_mov_b32 s17, exec_lo
	v_cmpx_ne_u32_e32 0x7f, v18
	s_cbranch_execz .LBB337_878
; %bb.875:                              ;   in Loop: Header=BB337_478 Depth=1
	v_and_b32_sdwa v9, v15, v38 dst_sel:DWORD dst_unused:UNUSED_PAD src0_sel:BYTE_3 src1_sel:DWORD
	v_lshrrev_b32_e32 v17, 3, v18
	s_mov_b32 s18, exec_lo
	v_cmpx_gt_u32_e32 8, v18
; %bb.876:                              ;   in Loop: Header=BB337_478 Depth=1
	v_ffbh_u32_e32 v17, v9
	v_min_u32_e32 v17, 32, v17
	v_subrev_nc_u32_e32 v18, 28, v17
	v_sub_nc_u32_e32 v17, 29, v17
	v_lshlrev_b64 v[93:94], v18, v[9:10]
	v_and_b32_e32 v9, 7, v93
; %bb.877:                              ;   in Loop: Header=BB337_478 Depth=1
	s_or_b32 exec_lo, exec_lo, s18
	v_lshlrev_b32_sdwa v18, v39, v15 dst_sel:DWORD dst_unused:UNUSED_PAD src0_sel:DWORD src1_sel:BYTE_3
	v_lshlrev_b32_e32 v9, 20, v9
	v_lshl_add_u32 v17, v17, 23, 0x3c000000
	v_and_b32_e32 v18, 0x80000000, v18
	v_or3_b32 v93, v9, v18, v17
.LBB337_878:                            ;   in Loop: Header=BB337_478 Depth=1
	s_or_b32 exec_lo, exec_lo, s17
.LBB337_879:                            ;   in Loop: Header=BB337_478 Depth=1
	s_or_b32 exec_lo, exec_lo, s16
.LBB337_880:                            ;   in Loop: Header=BB337_478 Depth=1
	s_or_b32 exec_lo, exec_lo, s15
	v_mov_b32_e32 v9, v16
	v_cmp_ne_u16_sdwa s0, v16, v10 src0_sel:BYTE_0 src1_sel:DWORD
	v_mov_b32_e32 v17, 0
	v_mov_b32_e32 v94, 0
	s_and_saveexec_b32 s15, s0
	s_cbranch_execz .LBB337_886
; %bb.881:                              ;   in Loop: Header=BB337_478 Depth=1
	v_cmp_ne_u16_sdwa s0, v16, v35 src0_sel:BYTE_0 src1_sel:DWORD
	v_bfrev_b32_e32 v94, 1
	s_and_saveexec_b32 s16, s0
	s_cbranch_execz .LBB337_885
; %bb.882:                              ;   in Loop: Header=BB337_478 Depth=1
	v_and_b32_e32 v18, 0x7f, v16
	v_mov_b32_e32 v94, 0x7f800001
	s_mov_b32 s17, exec_lo
	v_cmpx_ne_u32_e32 0x7f, v18
	s_cbranch_execz .LBB337_884
; %bb.883:                              ;   in Loop: Header=BB337_478 Depth=1
	v_and_b32_e32 v94, 7, v16
	v_lshrrev_b32_e32 v95, 3, v18
	v_cmp_gt_u32_e64 s0, 8, v18
	v_ffbh_u32_e32 v94, v94
	v_min_u32_e32 v94, 32, v94
	v_subrev_nc_u32_e32 v96, 28, v94
	v_sub_nc_u32_e32 v94, 29, v94
	v_cndmask_b32_e64 v18, v95, v94, s0
	v_cndmask_b32_e64 v94, 0, v96, s0
	v_lshl_add_u32 v18, v18, 23, 0x3c000000
	v_lshlrev_b64 v[94:95], v94, v[9:10]
	v_lshlrev_b32_e32 v95, 24, v9
	v_lshlrev_b32_e32 v94, 20, v94
	v_and_b32_e32 v95, 0x80000000, v95
	v_and_b32_e32 v94, 0x700000, v94
	v_or3_b32 v94, v94, v95, v18
.LBB337_884:                            ;   in Loop: Header=BB337_478 Depth=1
	s_or_b32 exec_lo, exec_lo, s17
.LBB337_885:                            ;   in Loop: Header=BB337_478 Depth=1
	s_or_b32 exec_lo, exec_lo, s16
.LBB337_886:                            ;   in Loop: Header=BB337_478 Depth=1
	s_or_b32 exec_lo, exec_lo, s15
	v_cmp_ne_u16_sdwa s0, v9, v10 src0_sel:BYTE_1 src1_sel:DWORD
	s_and_saveexec_b32 s15, s0
	s_cbranch_execz .LBB337_894
; %bb.887:                              ;   in Loop: Header=BB337_478 Depth=1
	v_cmp_ne_u16_sdwa s0, v9, v35 src0_sel:BYTE_1 src1_sel:DWORD
	v_bfrev_b32_e32 v17, 1
	s_and_saveexec_b32 s16, s0
	s_cbranch_execz .LBB337_893
; %bb.888:                              ;   in Loop: Header=BB337_478 Depth=1
	v_and_b32_sdwa v18, v36, v9 dst_sel:DWORD dst_unused:UNUSED_PAD src0_sel:DWORD src1_sel:BYTE_1
	v_mov_b32_e32 v17, 0x7f800001
	s_mov_b32 s17, exec_lo
	v_and_b32_e32 v96, 0x7f, v18
	v_cmpx_ne_u32_e32 0x7f, v96
	s_cbranch_execz .LBB337_892
; %bb.889:                              ;   in Loop: Header=BB337_478 Depth=1
	v_and_b32_e32 v17, 7, v18
	v_mov_b32_e32 v18, v10
	v_lshrrev_b32_e32 v95, 3, v96
	s_mov_b32 s18, exec_lo
	v_cmpx_gt_u32_e32 8, v96
; %bb.890:                              ;   in Loop: Header=BB337_478 Depth=1
	v_ffbh_u32_e32 v95, v17
	v_min_u32_e32 v95, 32, v95
	v_subrev_nc_u32_e32 v96, 28, v95
	v_sub_nc_u32_e32 v95, 29, v95
	v_lshlrev_b64 v[17:18], v96, v[17:18]
	v_and_b32_e32 v17, 7, v17
; %bb.891:                              ;   in Loop: Header=BB337_478 Depth=1
	s_or_b32 exec_lo, exec_lo, s18
	v_lshlrev_b32_e32 v9, 16, v9
	v_lshlrev_b32_e32 v17, 20, v17
	v_lshl_add_u32 v18, v95, 23, 0x3c000000
	v_and_b32_e32 v9, 0x80000000, v9
	v_or3_b32 v17, v17, v9, v18
.LBB337_892:                            ;   in Loop: Header=BB337_478 Depth=1
	s_or_b32 exec_lo, exec_lo, s17
.LBB337_893:                            ;   in Loop: Header=BB337_478 Depth=1
	s_or_b32 exec_lo, exec_lo, s16
.LBB337_894:                            ;   in Loop: Header=BB337_478 Depth=1
	s_or_b32 exec_lo, exec_lo, s15
	v_and_b32_sdwa v9, v16, v37 dst_sel:DWORD dst_unused:UNUSED_PAD src0_sel:WORD_1 src1_sel:DWORD
	v_mov_b32_e32 v18, 0
	v_mov_b32_e32 v95, 0
	s_mov_b32 s15, exec_lo
	v_cmpx_ne_u16_e32 0, v9
	s_cbranch_execz .LBB337_902
; %bb.895:                              ;   in Loop: Header=BB337_478 Depth=1
	v_bfrev_b32_e32 v95, 1
	s_mov_b32 s16, exec_lo
	v_cmpx_ne_u16_e32 0x80, v9
	s_cbranch_execz .LBB337_901
; %bb.896:                              ;   in Loop: Header=BB337_478 Depth=1
	v_bfe_u32 v96, v16, 16, 7
	v_mov_b32_e32 v95, 0x7f800001
	s_mov_b32 s17, exec_lo
	v_cmpx_ne_u32_e32 0x7f, v96
	s_cbranch_execz .LBB337_900
; %bb.897:                              ;   in Loop: Header=BB337_478 Depth=1
	v_and_b32_sdwa v9, v16, v38 dst_sel:DWORD dst_unused:UNUSED_PAD src0_sel:WORD_1 src1_sel:DWORD
	v_lshrrev_b32_e32 v95, 3, v96
	s_mov_b32 s18, exec_lo
	v_cmpx_gt_u32_e32 8, v96
; %bb.898:                              ;   in Loop: Header=BB337_478 Depth=1
	v_ffbh_u32_e32 v95, v9
	v_min_u32_e32 v95, 32, v95
	v_subrev_nc_u32_e32 v96, 28, v95
	v_sub_nc_u32_e32 v95, 29, v95
	v_lshlrev_b64 v[96:97], v96, v[9:10]
	v_and_b32_e32 v9, 7, v96
; %bb.899:                              ;   in Loop: Header=BB337_478 Depth=1
	s_or_b32 exec_lo, exec_lo, s18
	v_lshlrev_b32_sdwa v96, v39, v16 dst_sel:DWORD dst_unused:UNUSED_PAD src0_sel:DWORD src1_sel:WORD_1
	v_lshlrev_b32_e32 v9, 20, v9
	v_lshl_add_u32 v95, v95, 23, 0x3c000000
	v_and_b32_e32 v96, 0x80000000, v96
	v_or3_b32 v95, v9, v96, v95
.LBB337_900:                            ;   in Loop: Header=BB337_478 Depth=1
	s_or_b32 exec_lo, exec_lo, s17
.LBB337_901:                            ;   in Loop: Header=BB337_478 Depth=1
	s_or_b32 exec_lo, exec_lo, s16
.LBB337_902:                            ;   in Loop: Header=BB337_478 Depth=1
	s_or_b32 exec_lo, exec_lo, s15
	s_mov_b32 s15, exec_lo
	v_cmpx_lt_u64_e64 s[2:3], v[15:16]
	s_cbranch_execz .LBB337_910
; %bb.903:                              ;   in Loop: Header=BB337_478 Depth=1
	v_cmp_ne_u32_sdwa s0, v16, v35 src0_sel:BYTE_3 src1_sel:DWORD
	v_bfrev_b32_e32 v18, 1
	s_and_saveexec_b32 s16, s0
	s_cbranch_execz .LBB337_909
; %bb.904:                              ;   in Loop: Header=BB337_478 Depth=1
	v_bfe_u32 v96, v16, 24, 7
	v_mov_b32_e32 v18, 0x7f800001
	s_mov_b32 s17, exec_lo
	v_cmpx_ne_u32_e32 0x7f, v96
	s_cbranch_execz .LBB337_908
; %bb.905:                              ;   in Loop: Header=BB337_478 Depth=1
	v_and_b32_sdwa v9, v16, v38 dst_sel:DWORD dst_unused:UNUSED_PAD src0_sel:BYTE_3 src1_sel:DWORD
	v_lshrrev_b32_e32 v15, 3, v96
	s_mov_b32 s18, exec_lo
	v_cmpx_gt_u32_e32 8, v96
; %bb.906:                              ;   in Loop: Header=BB337_478 Depth=1
	v_ffbh_u32_e32 v15, v9
	v_min_u32_e32 v15, 32, v15
	v_subrev_nc_u32_e32 v18, 28, v15
	v_sub_nc_u32_e32 v15, 29, v15
	v_lshlrev_b64 v[96:97], v18, v[9:10]
	v_and_b32_e32 v9, 7, v96
; %bb.907:                              ;   in Loop: Header=BB337_478 Depth=1
	s_or_b32 exec_lo, exec_lo, s18
	v_lshlrev_b32_sdwa v16, v39, v16 dst_sel:DWORD dst_unused:UNUSED_PAD src0_sel:DWORD src1_sel:BYTE_3
	v_lshlrev_b32_e32 v9, 20, v9
	v_lshl_add_u32 v15, v15, 23, 0x3c000000
	v_and_b32_e32 v16, 0x80000000, v16
	v_or3_b32 v18, v9, v16, v15
.LBB337_908:                            ;   in Loop: Header=BB337_478 Depth=1
	s_or_b32 exec_lo, exec_lo, s17
.LBB337_909:                            ;   in Loop: Header=BB337_478 Depth=1
	s_or_b32 exec_lo, exec_lo, s16
.LBB337_910:                            ;   in Loop: Header=BB337_478 Depth=1
	s_or_b32 exec_lo, exec_lo, s15
	v_mul_f32_e32 v9, s5, v17
	v_mul_f32_e32 v15, s5, v94
	;; [unrolled: 1-line block ×5, first 2 shown]
	v_bfe_u32 v92, v9, 16, 1
	v_or_b32_e32 v93, 0x400000, v9
	v_bfe_u32 v94, v15, 16, 1
	v_cmp_u_f32_e64 s0, v9, v9
	v_or_b32_e32 v96, 0x400000, v15
	v_add3_u32 v92, v92, v9, 0x7fff
	v_bfe_u32 v97, v16, 16, 1
	v_add3_u32 v94, v94, v15, 0x7fff
	v_or_b32_e32 v98, 0x400000, v16
	v_bfe_u32 v99, v17, 16, 1
	v_cndmask_b32_e64 v9, v92, v93, s0
	v_cmp_u_f32_e64 s0, v15, v15
	v_add3_u32 v97, v97, v16, 0x7fff
	v_or_b32_e32 v93, 0x400000, v17
	v_add3_u32 v92, v99, v17, 0x7fff
	v_mul_f32_e32 v89, s5, v89
	v_cndmask_b32_e64 v15, v94, v96, s0
	v_cmp_u_f32_e64 s0, v16, v16
	v_bfe_u32 v94, v91, 16, 1
	v_mul_f32_e32 v18, s5, v18
	v_lshrrev_b32_e32 v9, 16, v9
	v_lshrrev_b32_e32 v15, 16, v15
	v_cndmask_b32_e64 v16, v97, v98, s0
	v_cmp_u_f32_e64 s0, v17, v17
	v_or_b32_e32 v98, 0x400000, v18
	v_lshrrev_b32_e32 v16, 16, v16
	v_cndmask_b32_e64 v17, v92, v93, s0
	v_mul_f32_e32 v92, s5, v95
	v_add3_u32 v93, v94, v91, 0x7fff
	v_or_b32_e32 v94, 0x400000, v91
	v_bfe_u32 v95, v89, 16, 1
	v_cmp_u_f32_e64 s0, v91, v91
	v_bfe_u32 v96, v92, 16, 1
	v_or_b32_e32 v97, 0x400000, v92
	v_cndmask_b32_e64 v91, v93, v94, s0
	v_add3_u32 v94, v95, v89, 0x7fff
	v_or_b32_e32 v95, 0x400000, v89
	v_cmp_u_f32_e64 s0, v89, v89
	v_bfe_u32 v93, v18, 16, 1
	v_add3_u32 v96, v96, v92, 0x7fff
	v_lshrrev_b32_e32 v89, 16, v17
	v_lshrrev_b32_e32 v91, 16, v91
	v_cndmask_b32_e64 v94, v94, v95, s0
	v_cmp_u_f32_e64 s0, v92, v92
	v_add3_u32 v93, v93, v18, 0x7fff
	v_lshrrev_b32_e32 v92, 16, v94
	v_cndmask_b32_e64 v95, v96, v97, s0
	v_cmp_u_f32_e64 s0, v18, v18
	v_lshrrev_b32_e32 v18, 16, v95
	v_cndmask_b32_e64 v93, v93, v98, s0
	v_lshrrev_b32_e32 v17, 16, v93
	s_and_saveexec_b32 s0, vcc_lo
	s_cbranch_execz .LBB337_477
; %bb.911:                              ;   in Loop: Header=BB337_478 Depth=1
	v_cmp_gt_i32_e32 vcc_lo, s11, v49
	v_cndmask_b32_e32 v92, 0, v92, vcc_lo
	v_cmp_gt_i32_e32 vcc_lo, s11, v55
	v_cndmask_b32_e32 v91, 0, v91, vcc_lo
	;; [unrolled: 2-line block ×8, first 2 shown]
	s_branch .LBB337_477
.LBB337_912:
	s_or_b32 exec_lo, exec_lo, s14
	v_mov_b32_e32 v21, v100
	v_mov_b32_e32 v22, v101
	;; [unrolled: 1-line block ×3, first 2 shown]
.LBB337_913:
	s_or_b32 exec_lo, exec_lo, s1
	ds_bpermute_b32 v0, v25, v31
	ds_bpermute_b32 v1, v25, v32
	;; [unrolled: 1-line block ×7, first 2 shown]
	v_lshrrev_b32_e32 v7, 1, v24
	v_mul_u32_u24_e32 v9, 0x1c0, v81
	v_and_b32_e32 v13, 0x3c1, v21
	s_mov_b32 s0, exec_lo
	s_waitcnt lgkmcnt(0)
	v_lshl_add_u32 v8, v7, 2, 0x100
	s_barrier
	buffer_gl0_inv
	v_add_f32_e32 v6, v31, v0
	v_add_f32_e32 v5, v32, v1
	;; [unrolled: 1-line block ×7, first 2 shown]
	v_cmpx_eq_u32_e32 64, v13
	s_cbranch_execz .LBB337_915
; %bb.914:
	v_add_nc_u32_e32 v10, v8, v9
	v_add_nc_u32_e32 v11, 0xfffffc80, v10
	;; [unrolled: 1-line block ×8, first 2 shown]
	ds_write_b32 v11, v6
	ds_write_b32 v12, v5
	;; [unrolled: 1-line block ×7, first 2 shown]
.LBB337_915:
	s_or_b32 exec_lo, exec_lo, s0
	v_lshlrev_b32_e32 v7, 2, v7
	s_mov_b32 s1, exec_lo
	v_cmp_eq_u32_e32 vcc_lo, 0, v22
	s_waitcnt lgkmcnt(0)
	s_barrier
	v_add3_u32 v7, 0x100, v9, v7
	buffer_gl0_inv
	v_cmpx_gt_u32_e32 64, v21
	s_cbranch_execz .LBB337_925
; %bb.916:
	s_and_saveexec_b32 s0, vcc_lo
	s_cbranch_execnz .LBB337_940
; %bb.917:
	s_or_b32 exec_lo, exec_lo, s0
	s_and_saveexec_b32 s0, vcc_lo
	s_cbranch_execnz .LBB337_941
.LBB337_918:
	s_or_b32 exec_lo, exec_lo, s0
	s_and_saveexec_b32 s0, vcc_lo
	s_cbranch_execnz .LBB337_942
.LBB337_919:
	s_or_b32 exec_lo, exec_lo, s0
	s_and_saveexec_b32 s0, vcc_lo
	s_cbranch_execnz .LBB337_943
.LBB337_920:
	s_or_b32 exec_lo, exec_lo, s0
	s_and_saveexec_b32 s0, vcc_lo
	s_cbranch_execnz .LBB337_944
.LBB337_921:
	s_or_b32 exec_lo, exec_lo, s0
	s_and_saveexec_b32 s0, vcc_lo
	s_cbranch_execnz .LBB337_945
.LBB337_922:
	s_or_b32 exec_lo, exec_lo, s0
	s_and_saveexec_b32 s0, vcc_lo
	s_cbranch_execz .LBB337_924
.LBB337_923:
	ds_read_b32 v9, v7 offset:384
	s_waitcnt lgkmcnt(0)
	v_add_f32_e32 v0, v0, v9
.LBB337_924:
	s_or_b32 exec_lo, exec_lo, s0
.LBB337_925:
	s_or_b32 exec_lo, exec_lo, s1
	v_and_b32_e32 v9, 0x3e1, v21
	s_mov_b32 s1, exec_lo
	s_barrier
	buffer_gl0_inv
	v_cmpx_eq_u32_e32 32, v9
	s_cbranch_execz .LBB337_927
; %bb.926:
	ds_write2_b32 v8, v6, v5 offset1:16
	ds_write2_b32 v8, v4, v3 offset0:32 offset1:48
	ds_write2_b32 v8, v2, v1 offset0:64 offset1:80
	ds_write_b32 v8, v0 offset:384
.LBB337_927:
	s_or_b32 exec_lo, exec_lo, s1
	s_mov_b32 s1, exec_lo
	s_waitcnt lgkmcnt(0)
	s_barrier
	buffer_gl0_inv
	v_cmpx_gt_u32_e32 32, v21
	s_cbranch_execz .LBB337_937
; %bb.928:
	s_and_saveexec_b32 s0, vcc_lo
	s_cbranch_execnz .LBB337_946
; %bb.929:
	s_or_b32 exec_lo, exec_lo, s0
	s_and_saveexec_b32 s0, vcc_lo
	s_cbranch_execnz .LBB337_947
.LBB337_930:
	s_or_b32 exec_lo, exec_lo, s0
	s_and_saveexec_b32 s0, vcc_lo
	s_cbranch_execnz .LBB337_948
.LBB337_931:
	s_or_b32 exec_lo, exec_lo, s0
	s_and_saveexec_b32 s0, vcc_lo
	s_cbranch_execnz .LBB337_949
.LBB337_932:
	s_or_b32 exec_lo, exec_lo, s0
	s_and_saveexec_b32 s0, vcc_lo
	s_cbranch_execnz .LBB337_950
.LBB337_933:
	s_or_b32 exec_lo, exec_lo, s0
	s_and_saveexec_b32 s0, vcc_lo
	s_cbranch_execnz .LBB337_951
.LBB337_934:
	s_or_b32 exec_lo, exec_lo, s0
	s_and_saveexec_b32 s0, vcc_lo
	s_cbranch_execz .LBB337_936
.LBB337_935:
	ds_read_b32 v7, v7 offset:384
	s_waitcnt lgkmcnt(0)
	v_add_f32_e32 v0, v0, v7
.LBB337_936:
	s_or_b32 exec_lo, exec_lo, s0
.LBB337_937:
	s_or_b32 exec_lo, exec_lo, s1
	s_barrier
	buffer_gl0_inv
	s_mov_b32 s0, exec_lo
	v_cmpx_eq_u32_e32 0, v9
	s_cbranch_execz .LBB337_939
; %bb.938:
	buffer_load_dword v7, off, s[36:39], 0 offset:16 ; 4-byte Folded Reload
	s_mul_i32 s0, s10, s7
	v_bfe_u32 v8, v6, 16, 1
	s_mul_i32 s0, s0, s9
	s_mul_i32 s2, s7, s6
	s_mulk_i32 s0, 0x70
	v_or_b32_e32 v9, 0x400000, v6
	s_ashr_i32 s1, s0, 31
	v_bfe_u32 v10, v5, 16, 1
	s_lshl_b64 s[0:1], s[0:1], 1
	v_add3_u32 v8, v8, v6, 0x7fff
	s_add_u32 s5, s20, s0
	s_addc_u32 s6, s21, s1
	s_ashr_i32 s3, s2, 31
	v_cmp_u_f32_e32 vcc_lo, v6, v6
	s_lshl_b64 s[0:1], s[2:3], 1
	s_mul_i32 s4, s8, 0x70
	s_add_u32 s2, s5, s0
	s_addc_u32 s3, s6, s1
	s_ashr_i32 s5, s4, 31
	v_add3_u32 v10, v10, v5, 0x7fff
	s_lshl_b64 s[0:1], s[4:5], 1
	v_or_b32_e32 v11, 0x400000, v5
	v_cndmask_b32_e32 v6, v8, v9, vcc_lo
	v_bfe_u32 v8, v4, 16, 1
	v_cmp_u_f32_e32 vcc_lo, v5, v5
	s_add_u32 s0, s2, s0
	s_addc_u32 s1, s3, s1
	v_bfe_u32 v9, v3, 16, 1
	v_cndmask_b32_e32 v5, v10, v11, vcc_lo
	v_cmp_u_f32_e32 vcc_lo, v4, v4
	v_or_b32_e32 v10, 0x400000, v1
	v_or_b32_e32 v11, 0x400000, v0
	s_waitcnt vmcnt(0)
	v_lshlrev_b32_e32 v7, 1, v7
	global_store_short_d16_hi v7, v6, s[0:1]
	v_add3_u32 v6, v8, v4, 0x7fff
	v_or_b32_e32 v8, 0x400000, v4
	global_store_short_d16_hi v7, v5, s[0:1] offset:32
	v_add3_u32 v5, v9, v3, 0x7fff
	v_or_b32_e32 v9, 0x400000, v3
	v_cndmask_b32_e32 v4, v6, v8, vcc_lo
	v_bfe_u32 v6, v2, 16, 1
	v_cmp_u_f32_e32 vcc_lo, v3, v3
	v_bfe_u32 v8, v1, 16, 1
	v_add3_u32 v6, v6, v2, 0x7fff
	v_cndmask_b32_e32 v3, v5, v9, vcc_lo
	v_or_b32_e32 v9, 0x400000, v2
	v_cmp_u_f32_e32 vcc_lo, v2, v2
	v_bfe_u32 v5, v0, 16, 1
	v_add3_u32 v8, v8, v1, 0x7fff
	v_cndmask_b32_e32 v2, v6, v9, vcc_lo
	v_cmp_u_f32_e32 vcc_lo, v1, v1
	v_add3_u32 v5, v5, v0, 0x7fff
	v_cndmask_b32_e32 v1, v8, v10, vcc_lo
	v_cmp_u_f32_e32 vcc_lo, v0, v0
	v_cndmask_b32_e32 v0, v5, v11, vcc_lo
	global_store_short_d16_hi v7, v4, s[0:1] offset:64
	global_store_short_d16_hi v7, v3, s[0:1] offset:96
	;; [unrolled: 1-line block ×5, first 2 shown]
.LBB337_939:
	s_endpgm
.LBB337_940:
	ds_read_b32 v9, v7
	s_waitcnt lgkmcnt(0)
	v_add_f32_e32 v6, v6, v9
	s_or_b32 exec_lo, exec_lo, s0
	s_and_saveexec_b32 s0, vcc_lo
	s_cbranch_execz .LBB337_918
.LBB337_941:
	ds_read_b32 v9, v7 offset:64
	s_waitcnt lgkmcnt(0)
	v_add_f32_e32 v5, v5, v9
	s_or_b32 exec_lo, exec_lo, s0
	s_and_saveexec_b32 s0, vcc_lo
	s_cbranch_execz .LBB337_919
.LBB337_942:
	ds_read_b32 v9, v7 offset:128
	s_waitcnt lgkmcnt(0)
	v_add_f32_e32 v4, v4, v9
	s_or_b32 exec_lo, exec_lo, s0
	s_and_saveexec_b32 s0, vcc_lo
	s_cbranch_execz .LBB337_920
.LBB337_943:
	ds_read_b32 v9, v7 offset:192
	s_waitcnt lgkmcnt(0)
	v_add_f32_e32 v3, v3, v9
	s_or_b32 exec_lo, exec_lo, s0
	s_and_saveexec_b32 s0, vcc_lo
	s_cbranch_execz .LBB337_921
.LBB337_944:
	ds_read_b32 v9, v7 offset:256
	s_waitcnt lgkmcnt(0)
	v_add_f32_e32 v2, v2, v9
	s_or_b32 exec_lo, exec_lo, s0
	s_and_saveexec_b32 s0, vcc_lo
	s_cbranch_execz .LBB337_922
.LBB337_945:
	ds_read_b32 v9, v7 offset:320
	s_waitcnt lgkmcnt(0)
	v_add_f32_e32 v1, v1, v9
	s_or_b32 exec_lo, exec_lo, s0
	s_and_saveexec_b32 s0, vcc_lo
	s_cbranch_execnz .LBB337_923
	s_branch .LBB337_924
.LBB337_946:
	ds_read_b32 v8, v7
	s_waitcnt lgkmcnt(0)
	v_add_f32_e32 v6, v6, v8
	s_or_b32 exec_lo, exec_lo, s0
	s_and_saveexec_b32 s0, vcc_lo
	s_cbranch_execz .LBB337_930
.LBB337_947:
	ds_read_b32 v8, v7 offset:64
	s_waitcnt lgkmcnt(0)
	v_add_f32_e32 v5, v5, v8
	s_or_b32 exec_lo, exec_lo, s0
	s_and_saveexec_b32 s0, vcc_lo
	s_cbranch_execz .LBB337_931
.LBB337_948:
	ds_read_b32 v8, v7 offset:128
	s_waitcnt lgkmcnt(0)
	v_add_f32_e32 v4, v4, v8
	s_or_b32 exec_lo, exec_lo, s0
	s_and_saveexec_b32 s0, vcc_lo
	s_cbranch_execz .LBB337_932
.LBB337_949:
	ds_read_b32 v8, v7 offset:192
	s_waitcnt lgkmcnt(0)
	v_add_f32_e32 v3, v3, v8
	s_or_b32 exec_lo, exec_lo, s0
	s_and_saveexec_b32 s0, vcc_lo
	s_cbranch_execz .LBB337_933
.LBB337_950:
	ds_read_b32 v8, v7 offset:256
	s_waitcnt lgkmcnt(0)
	v_add_f32_e32 v2, v2, v8
	s_or_b32 exec_lo, exec_lo, s0
	s_and_saveexec_b32 s0, vcc_lo
	s_cbranch_execz .LBB337_934
.LBB337_951:
	ds_read_b32 v8, v7 offset:320
	s_waitcnt lgkmcnt(0)
	v_add_f32_e32 v1, v1, v8
	s_or_b32 exec_lo, exec_lo, s0
	s_and_saveexec_b32 s0, vcc_lo
	s_cbranch_execnz .LBB337_935
	s_branch .LBB337_936
	.section	.rodata,"a",@progbits
	.p2align	6, 0x0
	.amdhsa_kernel _ZN4vllm25paged_attention_v1_kernelI14__hip_bfloat16hLi112ELi16ELi128ELNS_18Fp8KVCacheDataTypeE1ELb0EEEvPT_PKS3_PKT0_S9_ifPKiSB_iPKfiiiSD_SD_iiiii
		.amdhsa_group_segment_fixed_size 256
		.amdhsa_private_segment_fixed_size 48
		.amdhsa_kernarg_size 384
		.amdhsa_user_sgpr_count 6
		.amdhsa_user_sgpr_private_segment_buffer 1
		.amdhsa_user_sgpr_dispatch_ptr 0
		.amdhsa_user_sgpr_queue_ptr 0
		.amdhsa_user_sgpr_kernarg_segment_ptr 1
		.amdhsa_user_sgpr_dispatch_id 0
		.amdhsa_user_sgpr_flat_scratch_init 0
		.amdhsa_user_sgpr_private_segment_size 0
		.amdhsa_wavefront_size32 1
		.amdhsa_uses_dynamic_stack 0
		.amdhsa_system_sgpr_private_segment_wavefront_offset 1
		.amdhsa_system_sgpr_workgroup_id_x 1
		.amdhsa_system_sgpr_workgroup_id_y 1
		.amdhsa_system_sgpr_workgroup_id_z 1
		.amdhsa_system_sgpr_workgroup_info 0
		.amdhsa_system_vgpr_workitem_id 0
		.amdhsa_next_free_vgpr 128
		.amdhsa_next_free_sgpr 40
		.amdhsa_reserve_vcc 1
		.amdhsa_reserve_flat_scratch 0
		.amdhsa_float_round_mode_32 0
		.amdhsa_float_round_mode_16_64 0
		.amdhsa_float_denorm_mode_32 3
		.amdhsa_float_denorm_mode_16_64 3
		.amdhsa_dx10_clamp 1
		.amdhsa_ieee_mode 1
		.amdhsa_fp16_overflow 0
		.amdhsa_workgroup_processor_mode 1
		.amdhsa_memory_ordered 1
		.amdhsa_forward_progress 1
		.amdhsa_shared_vgpr_count 0
		.amdhsa_exception_fp_ieee_invalid_op 0
		.amdhsa_exception_fp_denorm_src 0
		.amdhsa_exception_fp_ieee_div_zero 0
		.amdhsa_exception_fp_ieee_overflow 0
		.amdhsa_exception_fp_ieee_underflow 0
		.amdhsa_exception_fp_ieee_inexact 0
		.amdhsa_exception_int_div_zero 0
	.end_amdhsa_kernel
	.section	.text._ZN4vllm25paged_attention_v1_kernelI14__hip_bfloat16hLi112ELi16ELi128ELNS_18Fp8KVCacheDataTypeE1ELb0EEEvPT_PKS3_PKT0_S9_ifPKiSB_iPKfiiiSD_SD_iiiii,"axG",@progbits,_ZN4vllm25paged_attention_v1_kernelI14__hip_bfloat16hLi112ELi16ELi128ELNS_18Fp8KVCacheDataTypeE1ELb0EEEvPT_PKS3_PKT0_S9_ifPKiSB_iPKfiiiSD_SD_iiiii,comdat
.Lfunc_end337:
	.size	_ZN4vllm25paged_attention_v1_kernelI14__hip_bfloat16hLi112ELi16ELi128ELNS_18Fp8KVCacheDataTypeE1ELb0EEEvPT_PKS3_PKT0_S9_ifPKiSB_iPKfiiiSD_SD_iiiii, .Lfunc_end337-_ZN4vllm25paged_attention_v1_kernelI14__hip_bfloat16hLi112ELi16ELi128ELNS_18Fp8KVCacheDataTypeE1ELb0EEEvPT_PKS3_PKT0_S9_ifPKiSB_iPKfiiiSD_SD_iiiii
                                        ; -- End function
	.set _ZN4vllm25paged_attention_v1_kernelI14__hip_bfloat16hLi112ELi16ELi128ELNS_18Fp8KVCacheDataTypeE1ELb0EEEvPT_PKS3_PKT0_S9_ifPKiSB_iPKfiiiSD_SD_iiiii.num_vgpr, 128
	.set _ZN4vllm25paged_attention_v1_kernelI14__hip_bfloat16hLi112ELi16ELi128ELNS_18Fp8KVCacheDataTypeE1ELb0EEEvPT_PKS3_PKT0_S9_ifPKiSB_iPKfiiiSD_SD_iiiii.num_agpr, 0
	.set _ZN4vllm25paged_attention_v1_kernelI14__hip_bfloat16hLi112ELi16ELi128ELNS_18Fp8KVCacheDataTypeE1ELb0EEEvPT_PKS3_PKT0_S9_ifPKiSB_iPKfiiiSD_SD_iiiii.numbered_sgpr, 40
	.set _ZN4vllm25paged_attention_v1_kernelI14__hip_bfloat16hLi112ELi16ELi128ELNS_18Fp8KVCacheDataTypeE1ELb0EEEvPT_PKS3_PKT0_S9_ifPKiSB_iPKfiiiSD_SD_iiiii.num_named_barrier, 0
	.set _ZN4vllm25paged_attention_v1_kernelI14__hip_bfloat16hLi112ELi16ELi128ELNS_18Fp8KVCacheDataTypeE1ELb0EEEvPT_PKS3_PKT0_S9_ifPKiSB_iPKfiiiSD_SD_iiiii.private_seg_size, 48
	.set _ZN4vllm25paged_attention_v1_kernelI14__hip_bfloat16hLi112ELi16ELi128ELNS_18Fp8KVCacheDataTypeE1ELb0EEEvPT_PKS3_PKT0_S9_ifPKiSB_iPKfiiiSD_SD_iiiii.uses_vcc, 1
	.set _ZN4vllm25paged_attention_v1_kernelI14__hip_bfloat16hLi112ELi16ELi128ELNS_18Fp8KVCacheDataTypeE1ELb0EEEvPT_PKS3_PKT0_S9_ifPKiSB_iPKfiiiSD_SD_iiiii.uses_flat_scratch, 0
	.set _ZN4vllm25paged_attention_v1_kernelI14__hip_bfloat16hLi112ELi16ELi128ELNS_18Fp8KVCacheDataTypeE1ELb0EEEvPT_PKS3_PKT0_S9_ifPKiSB_iPKfiiiSD_SD_iiiii.has_dyn_sized_stack, 0
	.set _ZN4vllm25paged_attention_v1_kernelI14__hip_bfloat16hLi112ELi16ELi128ELNS_18Fp8KVCacheDataTypeE1ELb0EEEvPT_PKS3_PKT0_S9_ifPKiSB_iPKfiiiSD_SD_iiiii.has_recursion, 0
	.set _ZN4vllm25paged_attention_v1_kernelI14__hip_bfloat16hLi112ELi16ELi128ELNS_18Fp8KVCacheDataTypeE1ELb0EEEvPT_PKS3_PKT0_S9_ifPKiSB_iPKfiiiSD_SD_iiiii.has_indirect_call, 0
	.section	.AMDGPU.csdata,"",@progbits
; Kernel info:
; codeLenInByte = 35112
; TotalNumSgprs: 42
; NumVgprs: 128
; ScratchSize: 48
; MemoryBound: 0
; FloatMode: 240
; IeeeMode: 1
; LDSByteSize: 256 bytes/workgroup (compile time only)
; SGPRBlocks: 0
; VGPRBlocks: 15
; NumSGPRsForWavesPerEU: 42
; NumVGPRsForWavesPerEU: 128
; Occupancy: 8
; WaveLimiterHint : 1
; COMPUTE_PGM_RSRC2:SCRATCH_EN: 1
; COMPUTE_PGM_RSRC2:USER_SGPR: 6
; COMPUTE_PGM_RSRC2:TRAP_HANDLER: 0
; COMPUTE_PGM_RSRC2:TGID_X_EN: 1
; COMPUTE_PGM_RSRC2:TGID_Y_EN: 1
; COMPUTE_PGM_RSRC2:TGID_Z_EN: 1
; COMPUTE_PGM_RSRC2:TIDIG_COMP_CNT: 0
	.section	.text._ZN4vllm25paged_attention_v1_kernelI14__hip_bfloat16hLi120ELi16ELi128ELNS_18Fp8KVCacheDataTypeE1ELb0EEEvPT_PKS3_PKT0_S9_ifPKiSB_iPKfiiiSD_SD_iiiii,"axG",@progbits,_ZN4vllm25paged_attention_v1_kernelI14__hip_bfloat16hLi120ELi16ELi128ELNS_18Fp8KVCacheDataTypeE1ELb0EEEvPT_PKS3_PKT0_S9_ifPKiSB_iPKfiiiSD_SD_iiiii,comdat
	.protected	_ZN4vllm25paged_attention_v1_kernelI14__hip_bfloat16hLi120ELi16ELi128ELNS_18Fp8KVCacheDataTypeE1ELb0EEEvPT_PKS3_PKT0_S9_ifPKiSB_iPKfiiiSD_SD_iiiii ; -- Begin function _ZN4vllm25paged_attention_v1_kernelI14__hip_bfloat16hLi120ELi16ELi128ELNS_18Fp8KVCacheDataTypeE1ELb0EEEvPT_PKS3_PKT0_S9_ifPKiSB_iPKfiiiSD_SD_iiiii
	.globl	_ZN4vllm25paged_attention_v1_kernelI14__hip_bfloat16hLi120ELi16ELi128ELNS_18Fp8KVCacheDataTypeE1ELb0EEEvPT_PKS3_PKT0_S9_ifPKiSB_iPKfiiiSD_SD_iiiii
	.p2align	8
	.type	_ZN4vllm25paged_attention_v1_kernelI14__hip_bfloat16hLi120ELi16ELi128ELNS_18Fp8KVCacheDataTypeE1ELb0EEEvPT_PKS3_PKT0_S9_ifPKiSB_iPKfiiiSD_SD_iiiii,@function
_ZN4vllm25paged_attention_v1_kernelI14__hip_bfloat16hLi120ELi16ELi128ELNS_18Fp8KVCacheDataTypeE1ELb0EEEvPT_PKS3_PKT0_S9_ifPKiSB_iPKfiiiSD_SD_iiiii: ; @_ZN4vllm25paged_attention_v1_kernelI14__hip_bfloat16hLi120ELi16ELi128ELNS_18Fp8KVCacheDataTypeE1ELb0EEEvPT_PKS3_PKT0_S9_ifPKiSB_iPKfiiiSD_SD_iiiii
; %bb.0:
	s_mov_b64 s[38:39], s[2:3]
	s_mov_b64 s[36:37], s[0:1]
	s_mov_b32 s10, s7
	s_add_u32 s36, s36, s9
	s_clause 0x2
	s_load_dword s9, s[4:5], 0x80
	s_load_dwordx2 s[0:1], s[4:5], 0x30
	s_load_dwordx2 s[28:29], s[4:5], 0x20
	s_addc_u32 s37, s37, 0
	s_ashr_i32 s11, s7, 31
	v_mov_b32_e32 v21, v0
	s_lshl_b64 s[2:3], s[10:11], 2
	s_waitcnt lgkmcnt(0)
	s_add_u32 s0, s0, s2
	s_addc_u32 s1, s1, s3
	s_abs_i32 s2, s28
	s_abs_i32 s11, s9
	v_cvt_f32_u32_e32 v0, s2
	s_sub_i32 s7, 0, s2
	v_rcp_iflag_f32_e32 v0, v0
	v_mul_f32_e32 v0, 0x4f7ffffe, v0
	v_cvt_u32_f32_e32 v0, v0
	v_readfirstlane_b32 s3, v0
	s_mul_i32 s7, s7, s3
	s_mul_hi_u32 s7, s3, s7
	s_add_i32 s3, s3, s7
	s_xor_b32 s7, s9, s28
	s_mul_hi_u32 s3, s11, s3
	s_ashr_i32 s7, s7, 31
	s_mul_i32 s12, s3, s2
	s_mov_b32 s28, 0
	s_sub_i32 s11, s11, s12
	s_add_i32 s12, s3, 1
	s_sub_i32 s13, s11, s2
	s_cmp_ge_u32 s11, s2
	s_cselect_b32 s3, s12, s3
	s_cselect_b32 s11, s13, s11
	s_add_i32 s12, s3, 1
	s_cmp_ge_u32 s11, s2
	s_cselect_b32 s2, s12, s3
	s_abs_i32 s17, s6
	s_xor_b32 s2, s2, s7
	s_sub_i32 s19, s2, s7
	s_load_dwordx2 s[2:3], s[4:5], 0x40
	s_abs_i32 s16, s19
	v_cvt_f32_u32_e32 v0, s16
	s_sub_i32 s11, 0, s16
	v_rcp_iflag_f32_e32 v0, v0
	v_mul_f32_e32 v0, 0x4f7ffffe, v0
	v_cvt_u32_f32_e32 v0, v0
	v_readfirstlane_b32 s7, v0
	s_mul_i32 s11, s11, s7
	s_mul_hi_u32 s11, s7, s11
	s_add_i32 s7, s7, s11
	s_waitcnt lgkmcnt(0)
	s_cmp_eq_u64 s[2:3], 0
	s_mul_hi_u32 s18, s17, s7
	s_cbranch_scc1 .LBB338_2
; %bb.1:
	s_ashr_i32 s7, s6, 31
	s_lshl_b64 s[12:13], s[6:7], 2
	s_add_u32 s2, s2, s12
	s_addc_u32 s3, s3, s13
	s_load_dword s28, s[2:3], 0x0
.LBB338_2:
	s_load_dword s11, s[0:1], 0x0
	s_load_dwordx4 s[12:15], s[4:5], 0x48
	v_lshrrev_b32_e32 v99, 1, v21
	v_and_b32_e32 v22, 1, v21
	v_lshlrev_b32_e32 v13, 3, v21
	s_ashr_i32 s0, s6, 31
	s_ashr_i32 s1, s19, 31
	s_mulk_i32 s6, 0x78
	s_mov_b32 s2, exec_lo
	v_cmpx_gt_u32_e32 30, v21
	s_cbranch_execz .LBB338_4
; %bb.3:
	s_load_dwordx2 s[20:21], s[4:5], 0x8
	s_waitcnt lgkmcnt(0)
	s_mul_i32 s22, s12, s10
	v_lshlrev_b32_e32 v2, 3, v99
	s_ashr_i32 s23, s22, 31
	s_lshl_b64 s[22:23], s[22:23], 1
	v_mad_u32_u24 v2, 0x78, v22, v2
	s_add_u32 s3, s20, s22
	s_addc_u32 s12, s21, s23
	s_ashr_i32 s7, s6, 31
	s_lshl_b64 s[20:21], s[6:7], 1
	s_add_u32 s20, s3, s20
	s_addc_u32 s21, s12, s21
	global_load_dwordx2 v[0:1], v13, s[20:21]
	s_waitcnt vmcnt(0)
	ds_write_b64 v2, v[0:1]
.LBB338_4:
	s_or_b32 exec_lo, exec_lo, s2
	s_waitcnt lgkmcnt(0)
	s_add_i32 s2, s11, 15
	s_clause 0x1
	s_load_dwordx2 s[22:23], s[4:5], 0x28
	s_load_dword s7, s[4:5], 0x38
	s_ashr_i32 s3, s2, 31
	s_xor_b32 s0, s0, s1
	s_lshr_b32 s3, s3, 28
	s_mul_i32 s1, s18, s16
	s_add_i32 s2, s2, s3
	s_sub_i32 s1, s17, s1
	s_ashr_i32 s12, s2, 4
	s_add_i32 s2, s18, 1
	s_sub_i32 s3, s1, s16
	s_cmp_ge_u32 s1, s16
	v_lshrrev_b32_e32 v85, 5, v21
	s_cselect_b32 s2, s2, s18
	s_cselect_b32 s1, s3, s1
	s_add_i32 s3, s2, 1
	s_cmp_ge_u32 s1, s16
	v_mbcnt_lo_u32_b32 v24, -1, 0
	s_cselect_b32 s1, s3, s2
	s_waitcnt lgkmcnt(0)
	s_xor_b32 s1, s1, s0
	s_mul_i32 s24, s7, s10
	s_sub_i32 s15, s1, s0
	v_cmp_le_i32_e64 s0, s12, v85
	s_ashr_i32 s25, s24, 31
	s_barrier
	buffer_gl0_inv
                                        ; implicit-def: $vgpr2
                                        ; implicit-def: $vgpr11
	s_and_saveexec_b32 s1, s0
	s_xor_b32 s1, exec_lo, s1
; %bb.5:
	v_mov_b32_e32 v2, 0
	v_mbcnt_lo_u32_b32 v24, -1, 0
	v_mov_b32_e32 v11, 32
; %bb.6:
	s_or_saveexec_b32 s30, s1
	s_clause 0x3
	s_load_dwordx2 s[20:21], s[4:5], 0x0
	s_load_dwordx2 s[26:27], s[4:5], 0x18
	s_load_dword s7, s[4:5], 0x88
	s_load_dwordx4 s[16:19], s[4:5], 0x58
	v_mov_b32_e32 v76, 0xff7fffff
	v_lshrrev_b32_e32 v23, 3, v21
	s_mul_i32 s15, s15, s14
	s_xor_b32 exec_lo, exec_lo, s30
	s_cbranch_execz .LBB338_492
; %bb.7:
	v_mul_u32_u24_e32 v20, 0x78, v22
	buffer_store_dword v13, off, s[36:39], 0 offset:56 ; 4-byte Folded Spill
	s_load_dwordx2 s[2:3], s[4:5], 0x10
	s_ashr_i32 s1, s15, 31
	v_mov_b32_e32 v76, 0xff7fffff
	ds_read2_b64 v[0:3], v20 offset1:1
	ds_read2_b64 v[4:7], v20 offset0:2 offset1:3
	ds_read2_b64 v[8:11], v20 offset0:4 offset1:5
	;; [unrolled: 1-line block ×4, first 2 shown]
	s_waitcnt lgkmcnt(0)
	s_load_dword s4, s[16:17], 0x0
	v_mov_b32_e32 v80, 0x80
	v_mov_b32_e32 v81, 0xffff
	;; [unrolled: 1-line block ×5, first 2 shown]
	s_mov_b32 s16, s13
	s_mov_b32 s14, 0
	buffer_store_dword v21, off, s[36:39], 0 offset:44 ; 4-byte Folded Spill
	buffer_store_dword v24, off, s[36:39], 0 offset:64 ; 4-byte Folded Spill
	;; [unrolled: 1-line block ×5, first 2 shown]
	v_lshlrev_b32_e32 v25, 16, v0
	v_and_b32_e32 v0, 0xffff0000, v0
	v_and_b32_e32 v26, 0xffff0000, v5
	v_lshlrev_b32_e32 v27, 16, v6
	v_and_b32_e32 v28, 0xffff0000, v6
	v_lshlrev_b32_e32 v29, 16, v7
	buffer_store_dword v0, off, s[36:39], 0 offset:4 ; 4-byte Folded Spill
	v_lshlrev_b32_e32 v0, 16, v1
	v_and_b32_e32 v30, 0xffff0000, v7
	v_lshlrev_b32_e32 v31, 16, v8
	v_and_b32_e32 v32, 0xffff0000, v8
	v_lshlrev_b32_e32 v33, 16, v9
	buffer_store_dword v0, off, s[36:39], 0 offset:8 ; 4-byte Folded Spill
	v_and_b32_e32 v0, 0xffff0000, v1
	v_and_b32_e32 v34, 0xffff0000, v9
	ds_read_b64 v[8:9], v20 offset:112
	s_add_u32 s2, s2, s15
	s_addc_u32 s1, s3, s1
	buffer_store_dword v0, off, s[36:39], 0 offset:12 ; 4-byte Folded Spill
	v_lshlrev_b32_e32 v0, 16, v2
	s_sub_i32 s5, 1, s11
	v_lshlrev_b32_e32 v35, 16, v10
	v_and_b32_e32 v36, 0xffff0000, v10
	v_lshlrev_b32_e32 v37, 16, v11
	buffer_store_dword v0, off, s[36:39], 0 offset:16 ; 4-byte Folded Spill
	v_and_b32_e32 v0, 0xffff0000, v2
	v_and_b32_e32 v38, 0xffff0000, v11
	v_lshlrev_b32_e32 v39, 16, v12
	v_and_b32_e32 v41, 0xffff0000, v12
	v_lshlrev_b32_e32 v42, 16, v13
	buffer_store_dword v0, off, s[36:39], 0 offset:20 ; 4-byte Folded Spill
	v_lshlrev_b32_e32 v0, 16, v3
	v_and_b32_e32 v43, 0xffff0000, v13
	v_lshlrev_b32_e32 v44, 16, v14
	v_and_b32_e32 v45, 0xffff0000, v14
	v_lshlrev_b32_e32 v46, 16, v15
	buffer_store_dword v0, off, s[36:39], 0 offset:24 ; 4-byte Folded Spill
	v_and_b32_e32 v0, 0xffff0000, v3
	v_and_b32_e32 v47, 0xffff0000, v15
	v_lshlrev_b32_e32 v48, 16, v16
	v_and_b32_e32 v49, 0xffff0000, v16
	v_lshlrev_b32_e32 v50, 16, v17
	buffer_store_dword v0, off, s[36:39], 0 offset:28 ; 4-byte Folded Spill
	v_lshlrev_b32_e32 v0, 16, v4
	v_and_b32_e32 v51, 0xffff0000, v17
	v_lshlrev_b32_e32 v52, 16, v18
	v_and_b32_e32 v53, 0xffff0000, v18
	v_lshlrev_b32_e32 v54, 16, v19
	buffer_store_dword v0, off, s[36:39], 0 offset:32 ; 4-byte Folded Spill
	v_and_b32_e32 v0, 0xffff0000, v4
	v_and_b32_e32 v55, 0xffff0000, v19
	s_waitcnt lgkmcnt(0)
	v_lshlrev_b32_e32 v72, 16, v8
	v_and_b32_e32 v73, 0xffff0000, v8
	v_lshlrev_b32_e32 v74, 16, v9
	buffer_store_dword v0, off, s[36:39], 0 offset:36 ; 4-byte Folded Spill
	v_lshlrev_b32_e32 v0, 16, v5
	ds_read2_b64 v[4:7], v20 offset0:12 offset1:13
	v_and_b32_e32 v75, 0xffff0000, v9
	buffer_store_dword v25, off, s[36:39], 0 ; 4-byte Folded Spill
	buffer_store_dword v0, off, s[36:39], 0 offset:40 ; 4-byte Folded Spill
	ds_read2_b64 v[0:3], v20 offset0:10 offset1:11
	s_waitcnt lgkmcnt(1)
	v_lshlrev_b32_e32 v68, 16, v6
	v_and_b32_e32 v69, 0xffff0000, v6
	v_lshlrev_b32_e32 v66, 16, v5
	v_and_b32_e32 v67, 0xffff0000, v5
	v_lshlrev_b32_e32 v64, 16, v4
	s_waitcnt lgkmcnt(0)
	v_lshlrev_b32_e32 v56, 16, v0
	v_and_b32_e32 v57, 0xffff0000, v0
	v_bfe_u32 v0, v21, 1, 4
	v_lshlrev_b32_e32 v62, 16, v3
	v_and_b32_e32 v63, 0xffff0000, v3
	v_xor_b32_e32 v3, 1, v24
	v_lshlrev_b32_e32 v58, 16, v1
	v_and_b32_e32 v59, 0xffff0000, v1
	v_lshlrev_b32_e32 v1, 4, v0
	v_lshlrev_b32_e32 v60, 16, v2
	v_cmp_gt_i32_e32 vcc_lo, 32, v3
	v_and_b32_e32 v61, 0xffff0000, v2
	v_lshlrev_b32_e32 v2, 2, v22
	v_add_co_u32 v1, s2, s2, v1
	v_lshlrev_b32_e32 v6, 2, v0
	v_cndmask_b32_e32 v5, v24, v3, vcc_lo
	v_lshl_or_b32 v78, v85, 4, v0
	v_and_b32_e32 v0, 0x7c, v23
	v_and_b32_e32 v65, 0xffff0000, v4
	v_add_co_ci_u32_e64 v4, null, s1, 0, s2
	s_lshl_b64 s[2:3], s[24:25], 2
	v_add_co_u32 v3, vcc_lo, v1, v2
	v_lshl_or_b32 v1, v85, 6, v6
	s_add_u32 s2, s22, s2
	v_lshlrev_b32_e32 v77, 2, v5
	s_addc_u32 s3, s23, s3
	v_add_co_u32 v5, s2, s2, v0
	v_lshlrev_b32_e32 v70, 16, v7
	v_and_b32_e32 v71, 0xffff0000, v7
	v_add_co_ci_u32_e64 v4, null, 0, v4, vcc_lo
	v_cmp_neq_f32_e64 s1, s28, 0
	v_add_nc_u32_e32 v79, 0x110, v1
	v_add_co_ci_u32_e64 v6, null, s3, 0, s2
	v_mov_b32_e32 v2, 0
	v_cmp_eq_u32_e32 vcc_lo, 0, v22
	s_branch .LBB338_9
.LBB338_8:                              ;   in Loop: Header=BB338_9 Depth=1
	s_or_b32 exec_lo, exec_lo, s3
	v_add_nc_u32_e32 v85, 4, v85
	v_add_co_u32 v5, s3, v5, 16
	v_add_nc_u32_e32 v78, 64, v78
	v_add_nc_u32_e32 v79, 0x100, v79
	v_cmp_le_i32_e64 s2, s12, v85
	v_add_co_ci_u32_e64 v6, null, 0, v6, s3
	s_or_b32 s14, s2, s14
	s_andn2_b32 exec_lo, exec_lo, s14
	s_cbranch_execz .LBB338_491
.LBB338_9:                              ; =>This Inner Loop Header: Depth=1
	global_load_dword v0, v[5:6], off
	v_mov_b32_e32 v86, 0
	s_waitcnt vmcnt(0)
	v_mad_i64_i32 v[7:8], null, v0, s16, v[3:4]
	global_load_dword v0, v[7:8], off
	s_waitcnt vmcnt(0)
	v_cmp_ne_u16_sdwa s2, v0, v2 src0_sel:BYTE_0 src1_sel:DWORD
	s_and_saveexec_b32 s3, s2
	s_cbranch_execz .LBB338_17
; %bb.10:                               ;   in Loop: Header=BB338_9 Depth=1
	v_cmp_ne_u16_sdwa s2, v0, v80 src0_sel:BYTE_0 src1_sel:DWORD
	v_bfrev_b32_e32 v86, 1
	s_and_saveexec_b32 s17, s2
	s_cbranch_execz .LBB338_16
; %bb.11:                               ;   in Loop: Header=BB338_9 Depth=1
	v_and_b32_e32 v10, 0x7f, v0
	v_mov_b32_e32 v86, 0x7f800001
	s_mov_b32 s31, exec_lo
	v_cmpx_ne_u32_e32 0x7f, v10
	s_cbranch_execz .LBB338_15
; %bb.12:                               ;   in Loop: Header=BB338_9 Depth=1
	s_waitcnt lgkmcnt(0)
	v_and_b32_e32 v1, 7, v0
	v_lshrrev_b32_e32 v9, 3, v10
	s_mov_b32 s33, exec_lo
	v_cmpx_gt_u32_e32 8, v10
; %bb.13:                               ;   in Loop: Header=BB338_9 Depth=1
	v_ffbh_u32_e32 v9, v1
	v_min_u32_e32 v9, 32, v9
	v_subrev_nc_u32_e32 v10, 28, v9
	v_sub_nc_u32_e32 v9, 29, v9
	v_lshlrev_b64 v[10:11], v10, v[1:2]
	v_and_b32_e32 v1, 7, v10
; %bb.14:                               ;   in Loop: Header=BB338_9 Depth=1
	s_or_b32 exec_lo, exec_lo, s33
	v_lshlrev_b32_e32 v10, 24, v0
	v_lshlrev_b32_e32 v1, 20, v1
	v_lshl_add_u32 v9, v9, 23, 0x3c000000
	v_and_b32_e32 v10, 0x80000000, v10
	v_or3_b32 v86, v1, v10, v9
.LBB338_15:                             ;   in Loop: Header=BB338_9 Depth=1
	s_or_b32 exec_lo, exec_lo, s31
.LBB338_16:                             ;   in Loop: Header=BB338_9 Depth=1
	s_or_b32 exec_lo, exec_lo, s17
.LBB338_17:                             ;   in Loop: Header=BB338_9 Depth=1
	s_or_b32 exec_lo, exec_lo, s3
	v_cmp_ne_u16_sdwa s2, v0, v2 src0_sel:BYTE_1 src1_sel:DWORD
	v_mov_b32_e32 v87, 0
	s_and_saveexec_b32 s3, s2
	s_cbranch_execz .LBB338_25
; %bb.18:                               ;   in Loop: Header=BB338_9 Depth=1
	v_cmp_ne_u16_sdwa s2, v0, v80 src0_sel:BYTE_1 src1_sel:DWORD
	v_bfrev_b32_e32 v87, 1
	s_and_saveexec_b32 s17, s2
	s_cbranch_execz .LBB338_24
; %bb.19:                               ;   in Loop: Header=BB338_9 Depth=1
	s_waitcnt lgkmcnt(0)
	v_and_b32_sdwa v1, v81, v0 dst_sel:DWORD dst_unused:UNUSED_PAD src0_sel:DWORD src1_sel:BYTE_1
	v_mov_b32_e32 v87, 0x7f800001
	s_mov_b32 s31, exec_lo
	v_and_b32_e32 v10, 0x7f, v1
	v_cmpx_ne_u32_e32 0x7f, v10
	s_cbranch_execz .LBB338_23
; %bb.20:                               ;   in Loop: Header=BB338_9 Depth=1
	v_and_b32_e32 v1, 7, v1
	v_lshrrev_b32_e32 v9, 3, v10
	s_mov_b32 s33, exec_lo
	v_cmpx_gt_u32_e32 8, v10
; %bb.21:                               ;   in Loop: Header=BB338_9 Depth=1
	v_ffbh_u32_e32 v9, v1
	v_min_u32_e32 v9, 32, v9
	v_subrev_nc_u32_e32 v10, 28, v9
	v_sub_nc_u32_e32 v9, 29, v9
	v_lshlrev_b64 v[10:11], v10, v[1:2]
	v_and_b32_e32 v1, 7, v10
; %bb.22:                               ;   in Loop: Header=BB338_9 Depth=1
	s_or_b32 exec_lo, exec_lo, s33
	v_lshlrev_b32_e32 v10, 16, v0
	v_lshlrev_b32_e32 v1, 20, v1
	v_lshl_add_u32 v9, v9, 23, 0x3c000000
	v_and_b32_e32 v10, 0x80000000, v10
	v_or3_b32 v87, v1, v10, v9
.LBB338_23:                             ;   in Loop: Header=BB338_9 Depth=1
	s_or_b32 exec_lo, exec_lo, s31
.LBB338_24:                             ;   in Loop: Header=BB338_9 Depth=1
	s_or_b32 exec_lo, exec_lo, s17
.LBB338_25:                             ;   in Loop: Header=BB338_9 Depth=1
	s_or_b32 exec_lo, exec_lo, s3
	s_waitcnt lgkmcnt(0)
	v_and_b32_sdwa v1, v0, v82 dst_sel:DWORD dst_unused:UNUSED_PAD src0_sel:WORD_1 src1_sel:DWORD
	v_mov_b32_e32 v88, 0
	v_mov_b32_e32 v89, 0
	s_mov_b32 s3, exec_lo
	v_cmpx_ne_u16_e32 0, v1
	s_cbranch_execz .LBB338_33
; %bb.26:                               ;   in Loop: Header=BB338_9 Depth=1
	v_bfrev_b32_e32 v89, 1
	s_mov_b32 s17, exec_lo
	v_cmpx_ne_u16_e32 0x80, v1
	s_cbranch_execz .LBB338_32
; %bb.27:                               ;   in Loop: Header=BB338_9 Depth=1
	v_bfe_u32 v10, v0, 16, 7
	v_mov_b32_e32 v89, 0x7f800001
	s_mov_b32 s31, exec_lo
	v_cmpx_ne_u32_e32 0x7f, v10
	s_cbranch_execz .LBB338_31
; %bb.28:                               ;   in Loop: Header=BB338_9 Depth=1
	v_and_b32_sdwa v1, v0, v83 dst_sel:DWORD dst_unused:UNUSED_PAD src0_sel:WORD_1 src1_sel:DWORD
	v_lshrrev_b32_e32 v9, 3, v10
	s_mov_b32 s33, exec_lo
	v_cmpx_gt_u32_e32 8, v10
; %bb.29:                               ;   in Loop: Header=BB338_9 Depth=1
	v_ffbh_u32_e32 v9, v1
	v_min_u32_e32 v9, 32, v9
	v_subrev_nc_u32_e32 v10, 28, v9
	v_sub_nc_u32_e32 v9, 29, v9
	v_lshlrev_b64 v[10:11], v10, v[1:2]
	v_and_b32_e32 v1, 7, v10
; %bb.30:                               ;   in Loop: Header=BB338_9 Depth=1
	s_or_b32 exec_lo, exec_lo, s33
	v_lshlrev_b32_sdwa v10, v84, v0 dst_sel:DWORD dst_unused:UNUSED_PAD src0_sel:DWORD src1_sel:WORD_1
	v_lshlrev_b32_e32 v1, 20, v1
	v_lshl_add_u32 v9, v9, 23, 0x3c000000
	v_and_b32_e32 v10, 0x80000000, v10
	v_or3_b32 v89, v1, v10, v9
.LBB338_31:                             ;   in Loop: Header=BB338_9 Depth=1
	s_or_b32 exec_lo, exec_lo, s31
.LBB338_32:                             ;   in Loop: Header=BB338_9 Depth=1
	s_or_b32 exec_lo, exec_lo, s17
.LBB338_33:                             ;   in Loop: Header=BB338_9 Depth=1
	s_or_b32 exec_lo, exec_lo, s3
	s_mov_b32 s3, exec_lo
	v_cmpx_lt_u32_e32 0xffffff, v0
	s_cbranch_execz .LBB338_41
; %bb.34:                               ;   in Loop: Header=BB338_9 Depth=1
	v_cmp_ne_u32_sdwa s2, v0, v80 src0_sel:BYTE_3 src1_sel:DWORD
	v_bfrev_b32_e32 v88, 1
	s_and_saveexec_b32 s17, s2
	s_cbranch_execz .LBB338_40
; %bb.35:                               ;   in Loop: Header=BB338_9 Depth=1
	v_bfe_u32 v10, v0, 24, 7
	v_mov_b32_e32 v88, 0x7f800001
	s_mov_b32 s31, exec_lo
	v_cmpx_ne_u32_e32 0x7f, v10
	s_cbranch_execz .LBB338_39
; %bb.36:                               ;   in Loop: Header=BB338_9 Depth=1
	v_and_b32_sdwa v1, v0, v83 dst_sel:DWORD dst_unused:UNUSED_PAD src0_sel:BYTE_3 src1_sel:DWORD
	v_lshrrev_b32_e32 v9, 3, v10
	s_mov_b32 s33, exec_lo
	v_cmpx_gt_u32_e32 8, v10
; %bb.37:                               ;   in Loop: Header=BB338_9 Depth=1
	v_ffbh_u32_e32 v9, v1
	v_min_u32_e32 v9, 32, v9
	v_subrev_nc_u32_e32 v10, 28, v9
	v_sub_nc_u32_e32 v9, 29, v9
	v_lshlrev_b64 v[10:11], v10, v[1:2]
	v_and_b32_e32 v1, 7, v10
; %bb.38:                               ;   in Loop: Header=BB338_9 Depth=1
	s_or_b32 exec_lo, exec_lo, s33
	v_lshlrev_b32_sdwa v0, v84, v0 dst_sel:DWORD dst_unused:UNUSED_PAD src0_sel:DWORD src1_sel:BYTE_3
	v_lshlrev_b32_e32 v1, 20, v1
	v_lshl_add_u32 v9, v9, 23, 0x3c000000
	v_and_b32_e32 v0, 0x80000000, v0
	v_or3_b32 v88, v1, v0, v9
.LBB338_39:                             ;   in Loop: Header=BB338_9 Depth=1
	s_or_b32 exec_lo, exec_lo, s31
.LBB338_40:                             ;   in Loop: Header=BB338_9 Depth=1
	s_or_b32 exec_lo, exec_lo, s17
.LBB338_41:                             ;   in Loop: Header=BB338_9 Depth=1
	s_or_b32 exec_lo, exec_lo, s3
	global_load_dword v0, v[7:8], off offset:8
	v_mov_b32_e32 v91, 0
	v_mov_b32_e32 v90, 0
	s_waitcnt vmcnt(0)
	v_cmp_ne_u16_sdwa s2, v0, v2 src0_sel:BYTE_0 src1_sel:DWORD
	s_and_saveexec_b32 s3, s2
	s_cbranch_execz .LBB338_49
; %bb.42:                               ;   in Loop: Header=BB338_9 Depth=1
	v_cmp_ne_u16_sdwa s2, v0, v80 src0_sel:BYTE_0 src1_sel:DWORD
	v_bfrev_b32_e32 v90, 1
	s_and_saveexec_b32 s17, s2
	s_cbranch_execz .LBB338_48
; %bb.43:                               ;   in Loop: Header=BB338_9 Depth=1
	v_and_b32_e32 v10, 0x7f, v0
	v_mov_b32_e32 v90, 0x7f800001
	s_mov_b32 s31, exec_lo
	v_cmpx_ne_u32_e32 0x7f, v10
	s_cbranch_execz .LBB338_47
; %bb.44:                               ;   in Loop: Header=BB338_9 Depth=1
	v_and_b32_e32 v1, 7, v0
	v_lshrrev_b32_e32 v9, 3, v10
	s_mov_b32 s33, exec_lo
	v_cmpx_gt_u32_e32 8, v10
; %bb.45:                               ;   in Loop: Header=BB338_9 Depth=1
	v_ffbh_u32_e32 v9, v1
	v_min_u32_e32 v9, 32, v9
	v_subrev_nc_u32_e32 v10, 28, v9
	v_sub_nc_u32_e32 v9, 29, v9
	v_lshlrev_b64 v[10:11], v10, v[1:2]
	v_and_b32_e32 v1, 7, v10
; %bb.46:                               ;   in Loop: Header=BB338_9 Depth=1
	s_or_b32 exec_lo, exec_lo, s33
	v_lshlrev_b32_e32 v10, 24, v0
	v_lshlrev_b32_e32 v1, 20, v1
	v_lshl_add_u32 v9, v9, 23, 0x3c000000
	v_and_b32_e32 v10, 0x80000000, v10
	v_or3_b32 v90, v1, v10, v9
.LBB338_47:                             ;   in Loop: Header=BB338_9 Depth=1
	s_or_b32 exec_lo, exec_lo, s31
.LBB338_48:                             ;   in Loop: Header=BB338_9 Depth=1
	s_or_b32 exec_lo, exec_lo, s17
.LBB338_49:                             ;   in Loop: Header=BB338_9 Depth=1
	s_or_b32 exec_lo, exec_lo, s3
	v_cmp_ne_u16_sdwa s2, v0, v2 src0_sel:BYTE_1 src1_sel:DWORD
	s_and_saveexec_b32 s3, s2
	s_cbranch_execz .LBB338_57
; %bb.50:                               ;   in Loop: Header=BB338_9 Depth=1
	v_cmp_ne_u16_sdwa s2, v0, v80 src0_sel:BYTE_1 src1_sel:DWORD
	v_bfrev_b32_e32 v91, 1
	s_and_saveexec_b32 s17, s2
	s_cbranch_execz .LBB338_56
; %bb.51:                               ;   in Loop: Header=BB338_9 Depth=1
	v_and_b32_sdwa v1, v81, v0 dst_sel:DWORD dst_unused:UNUSED_PAD src0_sel:DWORD src1_sel:BYTE_1
	v_mov_b32_e32 v91, 0x7f800001
	s_mov_b32 s31, exec_lo
	v_and_b32_e32 v10, 0x7f, v1
	v_cmpx_ne_u32_e32 0x7f, v10
	s_cbranch_execz .LBB338_55
; %bb.52:                               ;   in Loop: Header=BB338_9 Depth=1
	v_and_b32_e32 v1, 7, v1
	v_lshrrev_b32_e32 v9, 3, v10
	s_mov_b32 s33, exec_lo
	v_cmpx_gt_u32_e32 8, v10
; %bb.53:                               ;   in Loop: Header=BB338_9 Depth=1
	v_ffbh_u32_e32 v9, v1
	v_min_u32_e32 v9, 32, v9
	v_subrev_nc_u32_e32 v10, 28, v9
	v_sub_nc_u32_e32 v9, 29, v9
	v_lshlrev_b64 v[10:11], v10, v[1:2]
	v_and_b32_e32 v1, 7, v10
; %bb.54:                               ;   in Loop: Header=BB338_9 Depth=1
	s_or_b32 exec_lo, exec_lo, s33
	v_lshlrev_b32_e32 v10, 16, v0
	v_lshlrev_b32_e32 v1, 20, v1
	v_lshl_add_u32 v9, v9, 23, 0x3c000000
	v_and_b32_e32 v10, 0x80000000, v10
	v_or3_b32 v91, v1, v10, v9
.LBB338_55:                             ;   in Loop: Header=BB338_9 Depth=1
	s_or_b32 exec_lo, exec_lo, s31
.LBB338_56:                             ;   in Loop: Header=BB338_9 Depth=1
	s_or_b32 exec_lo, exec_lo, s17
.LBB338_57:                             ;   in Loop: Header=BB338_9 Depth=1
	s_or_b32 exec_lo, exec_lo, s3
	v_and_b32_sdwa v1, v0, v82 dst_sel:DWORD dst_unused:UNUSED_PAD src0_sel:WORD_1 src1_sel:DWORD
	v_mov_b32_e32 v92, 0
	v_mov_b32_e32 v93, 0
	s_mov_b32 s3, exec_lo
	v_cmpx_ne_u16_e32 0, v1
	s_cbranch_execz .LBB338_65
; %bb.58:                               ;   in Loop: Header=BB338_9 Depth=1
	v_bfrev_b32_e32 v93, 1
	s_mov_b32 s17, exec_lo
	v_cmpx_ne_u16_e32 0x80, v1
	s_cbranch_execz .LBB338_64
; %bb.59:                               ;   in Loop: Header=BB338_9 Depth=1
	v_bfe_u32 v10, v0, 16, 7
	v_mov_b32_e32 v93, 0x7f800001
	s_mov_b32 s31, exec_lo
	v_cmpx_ne_u32_e32 0x7f, v10
	s_cbranch_execz .LBB338_63
; %bb.60:                               ;   in Loop: Header=BB338_9 Depth=1
	v_and_b32_sdwa v1, v0, v83 dst_sel:DWORD dst_unused:UNUSED_PAD src0_sel:WORD_1 src1_sel:DWORD
	v_lshrrev_b32_e32 v9, 3, v10
	s_mov_b32 s33, exec_lo
	v_cmpx_gt_u32_e32 8, v10
; %bb.61:                               ;   in Loop: Header=BB338_9 Depth=1
	v_ffbh_u32_e32 v9, v1
	v_min_u32_e32 v9, 32, v9
	v_subrev_nc_u32_e32 v10, 28, v9
	v_sub_nc_u32_e32 v9, 29, v9
	v_lshlrev_b64 v[10:11], v10, v[1:2]
	v_and_b32_e32 v1, 7, v10
; %bb.62:                               ;   in Loop: Header=BB338_9 Depth=1
	s_or_b32 exec_lo, exec_lo, s33
	v_lshlrev_b32_sdwa v10, v84, v0 dst_sel:DWORD dst_unused:UNUSED_PAD src0_sel:DWORD src1_sel:WORD_1
	v_lshlrev_b32_e32 v1, 20, v1
	v_lshl_add_u32 v9, v9, 23, 0x3c000000
	v_and_b32_e32 v10, 0x80000000, v10
	v_or3_b32 v93, v1, v10, v9
.LBB338_63:                             ;   in Loop: Header=BB338_9 Depth=1
	s_or_b32 exec_lo, exec_lo, s31
.LBB338_64:                             ;   in Loop: Header=BB338_9 Depth=1
	s_or_b32 exec_lo, exec_lo, s17
.LBB338_65:                             ;   in Loop: Header=BB338_9 Depth=1
	s_or_b32 exec_lo, exec_lo, s3
	s_mov_b32 s3, exec_lo
	v_cmpx_lt_u32_e32 0xffffff, v0
	s_cbranch_execz .LBB338_73
; %bb.66:                               ;   in Loop: Header=BB338_9 Depth=1
	v_cmp_ne_u32_sdwa s2, v0, v80 src0_sel:BYTE_3 src1_sel:DWORD
	v_bfrev_b32_e32 v92, 1
	s_and_saveexec_b32 s17, s2
	s_cbranch_execz .LBB338_72
; %bb.67:                               ;   in Loop: Header=BB338_9 Depth=1
	v_bfe_u32 v10, v0, 24, 7
	v_mov_b32_e32 v92, 0x7f800001
	s_mov_b32 s31, exec_lo
	v_cmpx_ne_u32_e32 0x7f, v10
	s_cbranch_execz .LBB338_71
; %bb.68:                               ;   in Loop: Header=BB338_9 Depth=1
	v_and_b32_sdwa v1, v0, v83 dst_sel:DWORD dst_unused:UNUSED_PAD src0_sel:BYTE_3 src1_sel:DWORD
	v_lshrrev_b32_e32 v9, 3, v10
	s_mov_b32 s33, exec_lo
	v_cmpx_gt_u32_e32 8, v10
; %bb.69:                               ;   in Loop: Header=BB338_9 Depth=1
	v_ffbh_u32_e32 v9, v1
	v_min_u32_e32 v9, 32, v9
	v_subrev_nc_u32_e32 v10, 28, v9
	v_sub_nc_u32_e32 v9, 29, v9
	v_lshlrev_b64 v[10:11], v10, v[1:2]
	v_and_b32_e32 v1, 7, v10
; %bb.70:                               ;   in Loop: Header=BB338_9 Depth=1
	s_or_b32 exec_lo, exec_lo, s33
	v_lshlrev_b32_sdwa v0, v84, v0 dst_sel:DWORD dst_unused:UNUSED_PAD src0_sel:DWORD src1_sel:BYTE_3
	v_lshlrev_b32_e32 v1, 20, v1
	v_lshl_add_u32 v9, v9, 23, 0x3c000000
	v_and_b32_e32 v0, 0x80000000, v0
	v_or3_b32 v92, v1, v0, v9
.LBB338_71:                             ;   in Loop: Header=BB338_9 Depth=1
	s_or_b32 exec_lo, exec_lo, s31
.LBB338_72:                             ;   in Loop: Header=BB338_9 Depth=1
	s_or_b32 exec_lo, exec_lo, s17
.LBB338_73:                             ;   in Loop: Header=BB338_9 Depth=1
	s_or_b32 exec_lo, exec_lo, s3
	global_load_dword v0, v[7:8], off offset:256
	v_mov_b32_e32 v95, 0
	v_mov_b32_e32 v94, 0
	s_waitcnt vmcnt(0)
	v_cmp_ne_u16_sdwa s2, v0, v2 src0_sel:BYTE_0 src1_sel:DWORD
	s_and_saveexec_b32 s3, s2
	s_cbranch_execz .LBB338_81
; %bb.74:                               ;   in Loop: Header=BB338_9 Depth=1
	v_cmp_ne_u16_sdwa s2, v0, v80 src0_sel:BYTE_0 src1_sel:DWORD
	v_bfrev_b32_e32 v94, 1
	s_and_saveexec_b32 s17, s2
	s_cbranch_execz .LBB338_80
; %bb.75:                               ;   in Loop: Header=BB338_9 Depth=1
	v_and_b32_e32 v10, 0x7f, v0
	v_mov_b32_e32 v94, 0x7f800001
	s_mov_b32 s31, exec_lo
	v_cmpx_ne_u32_e32 0x7f, v10
	s_cbranch_execz .LBB338_79
; %bb.76:                               ;   in Loop: Header=BB338_9 Depth=1
	v_and_b32_e32 v1, 7, v0
	v_lshrrev_b32_e32 v9, 3, v10
	s_mov_b32 s33, exec_lo
	v_cmpx_gt_u32_e32 8, v10
; %bb.77:                               ;   in Loop: Header=BB338_9 Depth=1
	v_ffbh_u32_e32 v9, v1
	v_min_u32_e32 v9, 32, v9
	v_subrev_nc_u32_e32 v10, 28, v9
	v_sub_nc_u32_e32 v9, 29, v9
	v_lshlrev_b64 v[10:11], v10, v[1:2]
	v_and_b32_e32 v1, 7, v10
; %bb.78:                               ;   in Loop: Header=BB338_9 Depth=1
	s_or_b32 exec_lo, exec_lo, s33
	v_lshlrev_b32_e32 v10, 24, v0
	v_lshlrev_b32_e32 v1, 20, v1
	v_lshl_add_u32 v9, v9, 23, 0x3c000000
	v_and_b32_e32 v10, 0x80000000, v10
	v_or3_b32 v94, v1, v10, v9
.LBB338_79:                             ;   in Loop: Header=BB338_9 Depth=1
	s_or_b32 exec_lo, exec_lo, s31
.LBB338_80:                             ;   in Loop: Header=BB338_9 Depth=1
	s_or_b32 exec_lo, exec_lo, s17
.LBB338_81:                             ;   in Loop: Header=BB338_9 Depth=1
	s_or_b32 exec_lo, exec_lo, s3
	v_cmp_ne_u16_sdwa s2, v0, v2 src0_sel:BYTE_1 src1_sel:DWORD
	s_and_saveexec_b32 s3, s2
	s_cbranch_execz .LBB338_89
; %bb.82:                               ;   in Loop: Header=BB338_9 Depth=1
	v_cmp_ne_u16_sdwa s2, v0, v80 src0_sel:BYTE_1 src1_sel:DWORD
	v_bfrev_b32_e32 v95, 1
	s_and_saveexec_b32 s17, s2
	s_cbranch_execz .LBB338_88
; %bb.83:                               ;   in Loop: Header=BB338_9 Depth=1
	v_and_b32_sdwa v1, v81, v0 dst_sel:DWORD dst_unused:UNUSED_PAD src0_sel:DWORD src1_sel:BYTE_1
	v_mov_b32_e32 v95, 0x7f800001
	s_mov_b32 s31, exec_lo
	v_and_b32_e32 v10, 0x7f, v1
	v_cmpx_ne_u32_e32 0x7f, v10
	s_cbranch_execz .LBB338_87
; %bb.84:                               ;   in Loop: Header=BB338_9 Depth=1
	v_and_b32_e32 v1, 7, v1
	v_lshrrev_b32_e32 v9, 3, v10
	s_mov_b32 s33, exec_lo
	v_cmpx_gt_u32_e32 8, v10
; %bb.85:                               ;   in Loop: Header=BB338_9 Depth=1
	v_ffbh_u32_e32 v9, v1
	v_min_u32_e32 v9, 32, v9
	v_subrev_nc_u32_e32 v10, 28, v9
	v_sub_nc_u32_e32 v9, 29, v9
	v_lshlrev_b64 v[10:11], v10, v[1:2]
	v_and_b32_e32 v1, 7, v10
; %bb.86:                               ;   in Loop: Header=BB338_9 Depth=1
	s_or_b32 exec_lo, exec_lo, s33
	v_lshlrev_b32_e32 v10, 16, v0
	v_lshlrev_b32_e32 v1, 20, v1
	v_lshl_add_u32 v9, v9, 23, 0x3c000000
	v_and_b32_e32 v10, 0x80000000, v10
	v_or3_b32 v95, v1, v10, v9
.LBB338_87:                             ;   in Loop: Header=BB338_9 Depth=1
	s_or_b32 exec_lo, exec_lo, s31
.LBB338_88:                             ;   in Loop: Header=BB338_9 Depth=1
	s_or_b32 exec_lo, exec_lo, s17
.LBB338_89:                             ;   in Loop: Header=BB338_9 Depth=1
	s_or_b32 exec_lo, exec_lo, s3
	v_and_b32_sdwa v1, v0, v82 dst_sel:DWORD dst_unused:UNUSED_PAD src0_sel:WORD_1 src1_sel:DWORD
	v_mov_b32_e32 v96, 0
	v_mov_b32_e32 v97, 0
	s_mov_b32 s3, exec_lo
	v_cmpx_ne_u16_e32 0, v1
	s_cbranch_execz .LBB338_97
; %bb.90:                               ;   in Loop: Header=BB338_9 Depth=1
	v_bfrev_b32_e32 v97, 1
	s_mov_b32 s17, exec_lo
	v_cmpx_ne_u16_e32 0x80, v1
	s_cbranch_execz .LBB338_96
; %bb.91:                               ;   in Loop: Header=BB338_9 Depth=1
	v_bfe_u32 v10, v0, 16, 7
	v_mov_b32_e32 v97, 0x7f800001
	s_mov_b32 s31, exec_lo
	v_cmpx_ne_u32_e32 0x7f, v10
	s_cbranch_execz .LBB338_95
; %bb.92:                               ;   in Loop: Header=BB338_9 Depth=1
	v_and_b32_sdwa v1, v0, v83 dst_sel:DWORD dst_unused:UNUSED_PAD src0_sel:WORD_1 src1_sel:DWORD
	v_lshrrev_b32_e32 v9, 3, v10
	s_mov_b32 s33, exec_lo
	v_cmpx_gt_u32_e32 8, v10
; %bb.93:                               ;   in Loop: Header=BB338_9 Depth=1
	v_ffbh_u32_e32 v9, v1
	v_min_u32_e32 v9, 32, v9
	v_subrev_nc_u32_e32 v10, 28, v9
	v_sub_nc_u32_e32 v9, 29, v9
	v_lshlrev_b64 v[10:11], v10, v[1:2]
	v_and_b32_e32 v1, 7, v10
; %bb.94:                               ;   in Loop: Header=BB338_9 Depth=1
	s_or_b32 exec_lo, exec_lo, s33
	v_lshlrev_b32_sdwa v10, v84, v0 dst_sel:DWORD dst_unused:UNUSED_PAD src0_sel:DWORD src1_sel:WORD_1
	v_lshlrev_b32_e32 v1, 20, v1
	v_lshl_add_u32 v9, v9, 23, 0x3c000000
	v_and_b32_e32 v10, 0x80000000, v10
	v_or3_b32 v97, v1, v10, v9
.LBB338_95:                             ;   in Loop: Header=BB338_9 Depth=1
	s_or_b32 exec_lo, exec_lo, s31
.LBB338_96:                             ;   in Loop: Header=BB338_9 Depth=1
	s_or_b32 exec_lo, exec_lo, s17
.LBB338_97:                             ;   in Loop: Header=BB338_9 Depth=1
	s_or_b32 exec_lo, exec_lo, s3
	s_mov_b32 s3, exec_lo
	v_cmpx_lt_u32_e32 0xffffff, v0
	s_cbranch_execz .LBB338_105
; %bb.98:                               ;   in Loop: Header=BB338_9 Depth=1
	v_cmp_ne_u32_sdwa s2, v0, v80 src0_sel:BYTE_3 src1_sel:DWORD
	v_bfrev_b32_e32 v96, 1
	s_and_saveexec_b32 s17, s2
	s_cbranch_execz .LBB338_104
; %bb.99:                               ;   in Loop: Header=BB338_9 Depth=1
	v_bfe_u32 v10, v0, 24, 7
	v_mov_b32_e32 v96, 0x7f800001
	s_mov_b32 s31, exec_lo
	v_cmpx_ne_u32_e32 0x7f, v10
	s_cbranch_execz .LBB338_103
; %bb.100:                              ;   in Loop: Header=BB338_9 Depth=1
	v_and_b32_sdwa v1, v0, v83 dst_sel:DWORD dst_unused:UNUSED_PAD src0_sel:BYTE_3 src1_sel:DWORD
	v_lshrrev_b32_e32 v9, 3, v10
	s_mov_b32 s33, exec_lo
	v_cmpx_gt_u32_e32 8, v10
; %bb.101:                              ;   in Loop: Header=BB338_9 Depth=1
	v_ffbh_u32_e32 v9, v1
	v_min_u32_e32 v9, 32, v9
	v_subrev_nc_u32_e32 v10, 28, v9
	v_sub_nc_u32_e32 v9, 29, v9
	v_lshlrev_b64 v[10:11], v10, v[1:2]
	v_and_b32_e32 v1, 7, v10
; %bb.102:                              ;   in Loop: Header=BB338_9 Depth=1
	s_or_b32 exec_lo, exec_lo, s33
	v_lshlrev_b32_sdwa v0, v84, v0 dst_sel:DWORD dst_unused:UNUSED_PAD src0_sel:DWORD src1_sel:BYTE_3
	v_lshlrev_b32_e32 v1, 20, v1
	v_lshl_add_u32 v9, v9, 23, 0x3c000000
	v_and_b32_e32 v0, 0x80000000, v0
	v_or3_b32 v96, v1, v0, v9
.LBB338_103:                            ;   in Loop: Header=BB338_9 Depth=1
	s_or_b32 exec_lo, exec_lo, s31
.LBB338_104:                            ;   in Loop: Header=BB338_9 Depth=1
	s_or_b32 exec_lo, exec_lo, s17
.LBB338_105:                            ;   in Loop: Header=BB338_9 Depth=1
	s_or_b32 exec_lo, exec_lo, s3
	global_load_dword v0, v[7:8], off offset:264
	v_mov_b32_e32 v99, 0
	v_mov_b32_e32 v98, 0
	s_waitcnt vmcnt(0)
	v_cmp_ne_u16_sdwa s2, v0, v2 src0_sel:BYTE_0 src1_sel:DWORD
	s_and_saveexec_b32 s3, s2
	s_cbranch_execz .LBB338_113
; %bb.106:                              ;   in Loop: Header=BB338_9 Depth=1
	v_cmp_ne_u16_sdwa s2, v0, v80 src0_sel:BYTE_0 src1_sel:DWORD
	v_bfrev_b32_e32 v98, 1
	s_and_saveexec_b32 s17, s2
	s_cbranch_execz .LBB338_112
; %bb.107:                              ;   in Loop: Header=BB338_9 Depth=1
	v_and_b32_e32 v10, 0x7f, v0
	v_mov_b32_e32 v98, 0x7f800001
	s_mov_b32 s31, exec_lo
	v_cmpx_ne_u32_e32 0x7f, v10
	s_cbranch_execz .LBB338_111
; %bb.108:                              ;   in Loop: Header=BB338_9 Depth=1
	v_and_b32_e32 v1, 7, v0
	v_lshrrev_b32_e32 v9, 3, v10
	s_mov_b32 s33, exec_lo
	v_cmpx_gt_u32_e32 8, v10
; %bb.109:                              ;   in Loop: Header=BB338_9 Depth=1
	v_ffbh_u32_e32 v9, v1
	v_min_u32_e32 v9, 32, v9
	v_subrev_nc_u32_e32 v10, 28, v9
	v_sub_nc_u32_e32 v9, 29, v9
	v_lshlrev_b64 v[10:11], v10, v[1:2]
	v_and_b32_e32 v1, 7, v10
; %bb.110:                              ;   in Loop: Header=BB338_9 Depth=1
	s_or_b32 exec_lo, exec_lo, s33
	v_lshlrev_b32_e32 v10, 24, v0
	v_lshlrev_b32_e32 v1, 20, v1
	v_lshl_add_u32 v9, v9, 23, 0x3c000000
	v_and_b32_e32 v10, 0x80000000, v10
	v_or3_b32 v98, v1, v10, v9
.LBB338_111:                            ;   in Loop: Header=BB338_9 Depth=1
	s_or_b32 exec_lo, exec_lo, s31
.LBB338_112:                            ;   in Loop: Header=BB338_9 Depth=1
	s_or_b32 exec_lo, exec_lo, s17
.LBB338_113:                            ;   in Loop: Header=BB338_9 Depth=1
	s_or_b32 exec_lo, exec_lo, s3
	v_cmp_ne_u16_sdwa s2, v0, v2 src0_sel:BYTE_1 src1_sel:DWORD
	s_and_saveexec_b32 s3, s2
	s_cbranch_execz .LBB338_121
; %bb.114:                              ;   in Loop: Header=BB338_9 Depth=1
	v_cmp_ne_u16_sdwa s2, v0, v80 src0_sel:BYTE_1 src1_sel:DWORD
	v_bfrev_b32_e32 v99, 1
	s_and_saveexec_b32 s17, s2
	s_cbranch_execz .LBB338_120
; %bb.115:                              ;   in Loop: Header=BB338_9 Depth=1
	v_and_b32_sdwa v1, v81, v0 dst_sel:DWORD dst_unused:UNUSED_PAD src0_sel:DWORD src1_sel:BYTE_1
	v_mov_b32_e32 v99, 0x7f800001
	s_mov_b32 s31, exec_lo
	v_and_b32_e32 v10, 0x7f, v1
	v_cmpx_ne_u32_e32 0x7f, v10
	s_cbranch_execz .LBB338_119
; %bb.116:                              ;   in Loop: Header=BB338_9 Depth=1
	v_and_b32_e32 v1, 7, v1
	v_lshrrev_b32_e32 v9, 3, v10
	s_mov_b32 s33, exec_lo
	v_cmpx_gt_u32_e32 8, v10
; %bb.117:                              ;   in Loop: Header=BB338_9 Depth=1
	v_ffbh_u32_e32 v9, v1
	v_min_u32_e32 v9, 32, v9
	v_subrev_nc_u32_e32 v10, 28, v9
	v_sub_nc_u32_e32 v9, 29, v9
	v_lshlrev_b64 v[10:11], v10, v[1:2]
	v_and_b32_e32 v1, 7, v10
; %bb.118:                              ;   in Loop: Header=BB338_9 Depth=1
	s_or_b32 exec_lo, exec_lo, s33
	v_lshlrev_b32_e32 v10, 16, v0
	v_lshlrev_b32_e32 v1, 20, v1
	v_lshl_add_u32 v9, v9, 23, 0x3c000000
	v_and_b32_e32 v10, 0x80000000, v10
	v_or3_b32 v99, v1, v10, v9
.LBB338_119:                            ;   in Loop: Header=BB338_9 Depth=1
	s_or_b32 exec_lo, exec_lo, s31
.LBB338_120:                            ;   in Loop: Header=BB338_9 Depth=1
	s_or_b32 exec_lo, exec_lo, s17
.LBB338_121:                            ;   in Loop: Header=BB338_9 Depth=1
	s_or_b32 exec_lo, exec_lo, s3
	v_and_b32_sdwa v1, v0, v82 dst_sel:DWORD dst_unused:UNUSED_PAD src0_sel:WORD_1 src1_sel:DWORD
	v_mov_b32_e32 v100, 0
	v_mov_b32_e32 v101, 0
	s_mov_b32 s3, exec_lo
	v_cmpx_ne_u16_e32 0, v1
	s_cbranch_execz .LBB338_129
; %bb.122:                              ;   in Loop: Header=BB338_9 Depth=1
	v_bfrev_b32_e32 v101, 1
	s_mov_b32 s17, exec_lo
	v_cmpx_ne_u16_e32 0x80, v1
	s_cbranch_execz .LBB338_128
; %bb.123:                              ;   in Loop: Header=BB338_9 Depth=1
	v_bfe_u32 v10, v0, 16, 7
	v_mov_b32_e32 v101, 0x7f800001
	s_mov_b32 s31, exec_lo
	v_cmpx_ne_u32_e32 0x7f, v10
	s_cbranch_execz .LBB338_127
; %bb.124:                              ;   in Loop: Header=BB338_9 Depth=1
	v_and_b32_sdwa v1, v0, v83 dst_sel:DWORD dst_unused:UNUSED_PAD src0_sel:WORD_1 src1_sel:DWORD
	v_lshrrev_b32_e32 v9, 3, v10
	s_mov_b32 s33, exec_lo
	v_cmpx_gt_u32_e32 8, v10
; %bb.125:                              ;   in Loop: Header=BB338_9 Depth=1
	v_ffbh_u32_e32 v9, v1
	v_min_u32_e32 v9, 32, v9
	v_subrev_nc_u32_e32 v10, 28, v9
	v_sub_nc_u32_e32 v9, 29, v9
	v_lshlrev_b64 v[10:11], v10, v[1:2]
	v_and_b32_e32 v1, 7, v10
; %bb.126:                              ;   in Loop: Header=BB338_9 Depth=1
	s_or_b32 exec_lo, exec_lo, s33
	v_lshlrev_b32_sdwa v10, v84, v0 dst_sel:DWORD dst_unused:UNUSED_PAD src0_sel:DWORD src1_sel:WORD_1
	v_lshlrev_b32_e32 v1, 20, v1
	v_lshl_add_u32 v9, v9, 23, 0x3c000000
	v_and_b32_e32 v10, 0x80000000, v10
	v_or3_b32 v101, v1, v10, v9
.LBB338_127:                            ;   in Loop: Header=BB338_9 Depth=1
	s_or_b32 exec_lo, exec_lo, s31
.LBB338_128:                            ;   in Loop: Header=BB338_9 Depth=1
	s_or_b32 exec_lo, exec_lo, s17
.LBB338_129:                            ;   in Loop: Header=BB338_9 Depth=1
	s_or_b32 exec_lo, exec_lo, s3
	s_mov_b32 s3, exec_lo
	v_cmpx_lt_u32_e32 0xffffff, v0
	s_cbranch_execz .LBB338_137
; %bb.130:                              ;   in Loop: Header=BB338_9 Depth=1
	v_cmp_ne_u32_sdwa s2, v0, v80 src0_sel:BYTE_3 src1_sel:DWORD
	v_bfrev_b32_e32 v100, 1
	s_and_saveexec_b32 s17, s2
	s_cbranch_execz .LBB338_136
; %bb.131:                              ;   in Loop: Header=BB338_9 Depth=1
	v_bfe_u32 v10, v0, 24, 7
	v_mov_b32_e32 v100, 0x7f800001
	s_mov_b32 s31, exec_lo
	v_cmpx_ne_u32_e32 0x7f, v10
	s_cbranch_execz .LBB338_135
; %bb.132:                              ;   in Loop: Header=BB338_9 Depth=1
	v_and_b32_sdwa v1, v0, v83 dst_sel:DWORD dst_unused:UNUSED_PAD src0_sel:BYTE_3 src1_sel:DWORD
	v_lshrrev_b32_e32 v9, 3, v10
	s_mov_b32 s33, exec_lo
	v_cmpx_gt_u32_e32 8, v10
; %bb.133:                              ;   in Loop: Header=BB338_9 Depth=1
	v_ffbh_u32_e32 v9, v1
	v_min_u32_e32 v9, 32, v9
	v_subrev_nc_u32_e32 v10, 28, v9
	v_sub_nc_u32_e32 v9, 29, v9
	v_lshlrev_b64 v[10:11], v10, v[1:2]
	v_and_b32_e32 v1, 7, v10
; %bb.134:                              ;   in Loop: Header=BB338_9 Depth=1
	s_or_b32 exec_lo, exec_lo, s33
	v_lshlrev_b32_sdwa v0, v84, v0 dst_sel:DWORD dst_unused:UNUSED_PAD src0_sel:DWORD src1_sel:BYTE_3
	v_lshlrev_b32_e32 v1, 20, v1
	v_lshl_add_u32 v9, v9, 23, 0x3c000000
	v_and_b32_e32 v0, 0x80000000, v0
	v_or3_b32 v100, v1, v0, v9
.LBB338_135:                            ;   in Loop: Header=BB338_9 Depth=1
	s_or_b32 exec_lo, exec_lo, s31
.LBB338_136:                            ;   in Loop: Header=BB338_9 Depth=1
	s_or_b32 exec_lo, exec_lo, s17
.LBB338_137:                            ;   in Loop: Header=BB338_9 Depth=1
	s_or_b32 exec_lo, exec_lo, s3
	global_load_dword v0, v[7:8], off offset:512
	v_mov_b32_e32 v103, 0
	v_mov_b32_e32 v102, 0
	s_waitcnt vmcnt(0)
	v_cmp_ne_u16_sdwa s2, v0, v2 src0_sel:BYTE_0 src1_sel:DWORD
	s_and_saveexec_b32 s3, s2
	s_cbranch_execz .LBB338_145
; %bb.138:                              ;   in Loop: Header=BB338_9 Depth=1
	v_cmp_ne_u16_sdwa s2, v0, v80 src0_sel:BYTE_0 src1_sel:DWORD
	v_bfrev_b32_e32 v102, 1
	s_and_saveexec_b32 s17, s2
	s_cbranch_execz .LBB338_144
; %bb.139:                              ;   in Loop: Header=BB338_9 Depth=1
	v_and_b32_e32 v10, 0x7f, v0
	v_mov_b32_e32 v102, 0x7f800001
	s_mov_b32 s31, exec_lo
	v_cmpx_ne_u32_e32 0x7f, v10
	s_cbranch_execz .LBB338_143
; %bb.140:                              ;   in Loop: Header=BB338_9 Depth=1
	v_and_b32_e32 v1, 7, v0
	v_lshrrev_b32_e32 v9, 3, v10
	s_mov_b32 s33, exec_lo
	v_cmpx_gt_u32_e32 8, v10
; %bb.141:                              ;   in Loop: Header=BB338_9 Depth=1
	v_ffbh_u32_e32 v9, v1
	v_min_u32_e32 v9, 32, v9
	v_subrev_nc_u32_e32 v10, 28, v9
	v_sub_nc_u32_e32 v9, 29, v9
	v_lshlrev_b64 v[10:11], v10, v[1:2]
	v_and_b32_e32 v1, 7, v10
; %bb.142:                              ;   in Loop: Header=BB338_9 Depth=1
	s_or_b32 exec_lo, exec_lo, s33
	v_lshlrev_b32_e32 v10, 24, v0
	v_lshlrev_b32_e32 v1, 20, v1
	v_lshl_add_u32 v9, v9, 23, 0x3c000000
	v_and_b32_e32 v10, 0x80000000, v10
	v_or3_b32 v102, v1, v10, v9
.LBB338_143:                            ;   in Loop: Header=BB338_9 Depth=1
	s_or_b32 exec_lo, exec_lo, s31
.LBB338_144:                            ;   in Loop: Header=BB338_9 Depth=1
	s_or_b32 exec_lo, exec_lo, s17
.LBB338_145:                            ;   in Loop: Header=BB338_9 Depth=1
	s_or_b32 exec_lo, exec_lo, s3
	v_cmp_ne_u16_sdwa s2, v0, v2 src0_sel:BYTE_1 src1_sel:DWORD
	s_and_saveexec_b32 s3, s2
	s_cbranch_execz .LBB338_153
; %bb.146:                              ;   in Loop: Header=BB338_9 Depth=1
	v_cmp_ne_u16_sdwa s2, v0, v80 src0_sel:BYTE_1 src1_sel:DWORD
	v_bfrev_b32_e32 v103, 1
	s_and_saveexec_b32 s17, s2
	s_cbranch_execz .LBB338_152
; %bb.147:                              ;   in Loop: Header=BB338_9 Depth=1
	v_and_b32_sdwa v1, v81, v0 dst_sel:DWORD dst_unused:UNUSED_PAD src0_sel:DWORD src1_sel:BYTE_1
	v_mov_b32_e32 v103, 0x7f800001
	s_mov_b32 s31, exec_lo
	v_and_b32_e32 v10, 0x7f, v1
	v_cmpx_ne_u32_e32 0x7f, v10
	s_cbranch_execz .LBB338_151
; %bb.148:                              ;   in Loop: Header=BB338_9 Depth=1
	v_and_b32_e32 v1, 7, v1
	v_lshrrev_b32_e32 v9, 3, v10
	s_mov_b32 s33, exec_lo
	v_cmpx_gt_u32_e32 8, v10
; %bb.149:                              ;   in Loop: Header=BB338_9 Depth=1
	v_ffbh_u32_e32 v9, v1
	v_min_u32_e32 v9, 32, v9
	v_subrev_nc_u32_e32 v10, 28, v9
	v_sub_nc_u32_e32 v9, 29, v9
	v_lshlrev_b64 v[10:11], v10, v[1:2]
	v_and_b32_e32 v1, 7, v10
; %bb.150:                              ;   in Loop: Header=BB338_9 Depth=1
	s_or_b32 exec_lo, exec_lo, s33
	v_lshlrev_b32_e32 v10, 16, v0
	v_lshlrev_b32_e32 v1, 20, v1
	v_lshl_add_u32 v9, v9, 23, 0x3c000000
	v_and_b32_e32 v10, 0x80000000, v10
	v_or3_b32 v103, v1, v10, v9
.LBB338_151:                            ;   in Loop: Header=BB338_9 Depth=1
	s_or_b32 exec_lo, exec_lo, s31
.LBB338_152:                            ;   in Loop: Header=BB338_9 Depth=1
	s_or_b32 exec_lo, exec_lo, s17
.LBB338_153:                            ;   in Loop: Header=BB338_9 Depth=1
	s_or_b32 exec_lo, exec_lo, s3
	v_and_b32_sdwa v1, v0, v82 dst_sel:DWORD dst_unused:UNUSED_PAD src0_sel:WORD_1 src1_sel:DWORD
	v_mov_b32_e32 v104, 0
	v_mov_b32_e32 v105, 0
	s_mov_b32 s3, exec_lo
	v_cmpx_ne_u16_e32 0, v1
	s_cbranch_execz .LBB338_161
; %bb.154:                              ;   in Loop: Header=BB338_9 Depth=1
	v_bfrev_b32_e32 v105, 1
	s_mov_b32 s17, exec_lo
	v_cmpx_ne_u16_e32 0x80, v1
	s_cbranch_execz .LBB338_160
; %bb.155:                              ;   in Loop: Header=BB338_9 Depth=1
	v_bfe_u32 v10, v0, 16, 7
	v_mov_b32_e32 v105, 0x7f800001
	s_mov_b32 s31, exec_lo
	v_cmpx_ne_u32_e32 0x7f, v10
	s_cbranch_execz .LBB338_159
; %bb.156:                              ;   in Loop: Header=BB338_9 Depth=1
	v_and_b32_sdwa v1, v0, v83 dst_sel:DWORD dst_unused:UNUSED_PAD src0_sel:WORD_1 src1_sel:DWORD
	v_lshrrev_b32_e32 v9, 3, v10
	s_mov_b32 s33, exec_lo
	v_cmpx_gt_u32_e32 8, v10
; %bb.157:                              ;   in Loop: Header=BB338_9 Depth=1
	v_ffbh_u32_e32 v9, v1
	v_min_u32_e32 v9, 32, v9
	v_subrev_nc_u32_e32 v10, 28, v9
	v_sub_nc_u32_e32 v9, 29, v9
	v_lshlrev_b64 v[10:11], v10, v[1:2]
	v_and_b32_e32 v1, 7, v10
; %bb.158:                              ;   in Loop: Header=BB338_9 Depth=1
	s_or_b32 exec_lo, exec_lo, s33
	v_lshlrev_b32_sdwa v10, v84, v0 dst_sel:DWORD dst_unused:UNUSED_PAD src0_sel:DWORD src1_sel:WORD_1
	v_lshlrev_b32_e32 v1, 20, v1
	v_lshl_add_u32 v9, v9, 23, 0x3c000000
	v_and_b32_e32 v10, 0x80000000, v10
	v_or3_b32 v105, v1, v10, v9
.LBB338_159:                            ;   in Loop: Header=BB338_9 Depth=1
	s_or_b32 exec_lo, exec_lo, s31
.LBB338_160:                            ;   in Loop: Header=BB338_9 Depth=1
	s_or_b32 exec_lo, exec_lo, s17
.LBB338_161:                            ;   in Loop: Header=BB338_9 Depth=1
	s_or_b32 exec_lo, exec_lo, s3
	s_mov_b32 s3, exec_lo
	v_cmpx_lt_u32_e32 0xffffff, v0
	s_cbranch_execz .LBB338_169
; %bb.162:                              ;   in Loop: Header=BB338_9 Depth=1
	v_cmp_ne_u32_sdwa s2, v0, v80 src0_sel:BYTE_3 src1_sel:DWORD
	v_bfrev_b32_e32 v104, 1
	s_and_saveexec_b32 s17, s2
	s_cbranch_execz .LBB338_168
; %bb.163:                              ;   in Loop: Header=BB338_9 Depth=1
	v_bfe_u32 v10, v0, 24, 7
	v_mov_b32_e32 v104, 0x7f800001
	s_mov_b32 s31, exec_lo
	v_cmpx_ne_u32_e32 0x7f, v10
	s_cbranch_execz .LBB338_167
; %bb.164:                              ;   in Loop: Header=BB338_9 Depth=1
	v_and_b32_sdwa v1, v0, v83 dst_sel:DWORD dst_unused:UNUSED_PAD src0_sel:BYTE_3 src1_sel:DWORD
	v_lshrrev_b32_e32 v9, 3, v10
	s_mov_b32 s33, exec_lo
	v_cmpx_gt_u32_e32 8, v10
; %bb.165:                              ;   in Loop: Header=BB338_9 Depth=1
	v_ffbh_u32_e32 v9, v1
	v_min_u32_e32 v9, 32, v9
	v_subrev_nc_u32_e32 v10, 28, v9
	v_sub_nc_u32_e32 v9, 29, v9
	v_lshlrev_b64 v[10:11], v10, v[1:2]
	v_and_b32_e32 v1, 7, v10
; %bb.166:                              ;   in Loop: Header=BB338_9 Depth=1
	s_or_b32 exec_lo, exec_lo, s33
	v_lshlrev_b32_sdwa v0, v84, v0 dst_sel:DWORD dst_unused:UNUSED_PAD src0_sel:DWORD src1_sel:BYTE_3
	v_lshlrev_b32_e32 v1, 20, v1
	v_lshl_add_u32 v9, v9, 23, 0x3c000000
	v_and_b32_e32 v0, 0x80000000, v0
	v_or3_b32 v104, v1, v0, v9
.LBB338_167:                            ;   in Loop: Header=BB338_9 Depth=1
	s_or_b32 exec_lo, exec_lo, s31
.LBB338_168:                            ;   in Loop: Header=BB338_9 Depth=1
	s_or_b32 exec_lo, exec_lo, s17
.LBB338_169:                            ;   in Loop: Header=BB338_9 Depth=1
	s_or_b32 exec_lo, exec_lo, s3
	global_load_dword v0, v[7:8], off offset:520
	v_mov_b32_e32 v107, 0
	v_mov_b32_e32 v106, 0
	s_waitcnt vmcnt(0)
	v_cmp_ne_u16_sdwa s2, v0, v2 src0_sel:BYTE_0 src1_sel:DWORD
	s_and_saveexec_b32 s3, s2
	s_cbranch_execz .LBB338_177
; %bb.170:                              ;   in Loop: Header=BB338_9 Depth=1
	v_cmp_ne_u16_sdwa s2, v0, v80 src0_sel:BYTE_0 src1_sel:DWORD
	v_bfrev_b32_e32 v106, 1
	s_and_saveexec_b32 s17, s2
	s_cbranch_execz .LBB338_176
; %bb.171:                              ;   in Loop: Header=BB338_9 Depth=1
	v_and_b32_e32 v10, 0x7f, v0
	v_mov_b32_e32 v106, 0x7f800001
	s_mov_b32 s31, exec_lo
	v_cmpx_ne_u32_e32 0x7f, v10
	s_cbranch_execz .LBB338_175
; %bb.172:                              ;   in Loop: Header=BB338_9 Depth=1
	v_and_b32_e32 v1, 7, v0
	v_lshrrev_b32_e32 v9, 3, v10
	s_mov_b32 s33, exec_lo
	v_cmpx_gt_u32_e32 8, v10
; %bb.173:                              ;   in Loop: Header=BB338_9 Depth=1
	v_ffbh_u32_e32 v9, v1
	v_min_u32_e32 v9, 32, v9
	v_subrev_nc_u32_e32 v10, 28, v9
	v_sub_nc_u32_e32 v9, 29, v9
	v_lshlrev_b64 v[10:11], v10, v[1:2]
	v_and_b32_e32 v1, 7, v10
; %bb.174:                              ;   in Loop: Header=BB338_9 Depth=1
	s_or_b32 exec_lo, exec_lo, s33
	v_lshlrev_b32_e32 v10, 24, v0
	v_lshlrev_b32_e32 v1, 20, v1
	v_lshl_add_u32 v9, v9, 23, 0x3c000000
	v_and_b32_e32 v10, 0x80000000, v10
	v_or3_b32 v106, v1, v10, v9
.LBB338_175:                            ;   in Loop: Header=BB338_9 Depth=1
	s_or_b32 exec_lo, exec_lo, s31
.LBB338_176:                            ;   in Loop: Header=BB338_9 Depth=1
	s_or_b32 exec_lo, exec_lo, s17
.LBB338_177:                            ;   in Loop: Header=BB338_9 Depth=1
	s_or_b32 exec_lo, exec_lo, s3
	v_cmp_ne_u16_sdwa s2, v0, v2 src0_sel:BYTE_1 src1_sel:DWORD
	s_and_saveexec_b32 s3, s2
	s_cbranch_execz .LBB338_185
; %bb.178:                              ;   in Loop: Header=BB338_9 Depth=1
	v_cmp_ne_u16_sdwa s2, v0, v80 src0_sel:BYTE_1 src1_sel:DWORD
	v_bfrev_b32_e32 v107, 1
	s_and_saveexec_b32 s17, s2
	s_cbranch_execz .LBB338_184
; %bb.179:                              ;   in Loop: Header=BB338_9 Depth=1
	v_and_b32_sdwa v1, v81, v0 dst_sel:DWORD dst_unused:UNUSED_PAD src0_sel:DWORD src1_sel:BYTE_1
	v_mov_b32_e32 v107, 0x7f800001
	s_mov_b32 s31, exec_lo
	v_and_b32_e32 v10, 0x7f, v1
	v_cmpx_ne_u32_e32 0x7f, v10
	s_cbranch_execz .LBB338_183
; %bb.180:                              ;   in Loop: Header=BB338_9 Depth=1
	v_and_b32_e32 v1, 7, v1
	v_lshrrev_b32_e32 v9, 3, v10
	s_mov_b32 s33, exec_lo
	v_cmpx_gt_u32_e32 8, v10
; %bb.181:                              ;   in Loop: Header=BB338_9 Depth=1
	v_ffbh_u32_e32 v9, v1
	v_min_u32_e32 v9, 32, v9
	v_subrev_nc_u32_e32 v10, 28, v9
	v_sub_nc_u32_e32 v9, 29, v9
	v_lshlrev_b64 v[10:11], v10, v[1:2]
	v_and_b32_e32 v1, 7, v10
; %bb.182:                              ;   in Loop: Header=BB338_9 Depth=1
	s_or_b32 exec_lo, exec_lo, s33
	v_lshlrev_b32_e32 v10, 16, v0
	v_lshlrev_b32_e32 v1, 20, v1
	v_lshl_add_u32 v9, v9, 23, 0x3c000000
	v_and_b32_e32 v10, 0x80000000, v10
	v_or3_b32 v107, v1, v10, v9
.LBB338_183:                            ;   in Loop: Header=BB338_9 Depth=1
	s_or_b32 exec_lo, exec_lo, s31
.LBB338_184:                            ;   in Loop: Header=BB338_9 Depth=1
	s_or_b32 exec_lo, exec_lo, s17
.LBB338_185:                            ;   in Loop: Header=BB338_9 Depth=1
	s_or_b32 exec_lo, exec_lo, s3
	v_and_b32_sdwa v1, v0, v82 dst_sel:DWORD dst_unused:UNUSED_PAD src0_sel:WORD_1 src1_sel:DWORD
	v_mov_b32_e32 v108, 0
	v_mov_b32_e32 v109, 0
	s_mov_b32 s3, exec_lo
	v_cmpx_ne_u16_e32 0, v1
	s_cbranch_execz .LBB338_193
; %bb.186:                              ;   in Loop: Header=BB338_9 Depth=1
	v_bfrev_b32_e32 v109, 1
	s_mov_b32 s17, exec_lo
	v_cmpx_ne_u16_e32 0x80, v1
	s_cbranch_execz .LBB338_192
; %bb.187:                              ;   in Loop: Header=BB338_9 Depth=1
	v_bfe_u32 v10, v0, 16, 7
	v_mov_b32_e32 v109, 0x7f800001
	s_mov_b32 s31, exec_lo
	v_cmpx_ne_u32_e32 0x7f, v10
	s_cbranch_execz .LBB338_191
; %bb.188:                              ;   in Loop: Header=BB338_9 Depth=1
	v_and_b32_sdwa v1, v0, v83 dst_sel:DWORD dst_unused:UNUSED_PAD src0_sel:WORD_1 src1_sel:DWORD
	v_lshrrev_b32_e32 v9, 3, v10
	s_mov_b32 s33, exec_lo
	v_cmpx_gt_u32_e32 8, v10
; %bb.189:                              ;   in Loop: Header=BB338_9 Depth=1
	v_ffbh_u32_e32 v9, v1
	v_min_u32_e32 v9, 32, v9
	v_subrev_nc_u32_e32 v10, 28, v9
	v_sub_nc_u32_e32 v9, 29, v9
	v_lshlrev_b64 v[10:11], v10, v[1:2]
	v_and_b32_e32 v1, 7, v10
; %bb.190:                              ;   in Loop: Header=BB338_9 Depth=1
	s_or_b32 exec_lo, exec_lo, s33
	v_lshlrev_b32_sdwa v10, v84, v0 dst_sel:DWORD dst_unused:UNUSED_PAD src0_sel:DWORD src1_sel:WORD_1
	v_lshlrev_b32_e32 v1, 20, v1
	v_lshl_add_u32 v9, v9, 23, 0x3c000000
	v_and_b32_e32 v10, 0x80000000, v10
	v_or3_b32 v109, v1, v10, v9
.LBB338_191:                            ;   in Loop: Header=BB338_9 Depth=1
	s_or_b32 exec_lo, exec_lo, s31
.LBB338_192:                            ;   in Loop: Header=BB338_9 Depth=1
	s_or_b32 exec_lo, exec_lo, s17
.LBB338_193:                            ;   in Loop: Header=BB338_9 Depth=1
	s_or_b32 exec_lo, exec_lo, s3
	s_mov_b32 s3, exec_lo
	v_cmpx_lt_u32_e32 0xffffff, v0
	s_cbranch_execz .LBB338_201
; %bb.194:                              ;   in Loop: Header=BB338_9 Depth=1
	v_cmp_ne_u32_sdwa s2, v0, v80 src0_sel:BYTE_3 src1_sel:DWORD
	v_bfrev_b32_e32 v108, 1
	s_and_saveexec_b32 s17, s2
	s_cbranch_execz .LBB338_200
; %bb.195:                              ;   in Loop: Header=BB338_9 Depth=1
	v_bfe_u32 v10, v0, 24, 7
	v_mov_b32_e32 v108, 0x7f800001
	s_mov_b32 s31, exec_lo
	v_cmpx_ne_u32_e32 0x7f, v10
	s_cbranch_execz .LBB338_199
; %bb.196:                              ;   in Loop: Header=BB338_9 Depth=1
	v_and_b32_sdwa v1, v0, v83 dst_sel:DWORD dst_unused:UNUSED_PAD src0_sel:BYTE_3 src1_sel:DWORD
	v_lshrrev_b32_e32 v9, 3, v10
	s_mov_b32 s33, exec_lo
	v_cmpx_gt_u32_e32 8, v10
; %bb.197:                              ;   in Loop: Header=BB338_9 Depth=1
	v_ffbh_u32_e32 v9, v1
	v_min_u32_e32 v9, 32, v9
	v_subrev_nc_u32_e32 v10, 28, v9
	v_sub_nc_u32_e32 v9, 29, v9
	v_lshlrev_b64 v[10:11], v10, v[1:2]
	v_and_b32_e32 v1, 7, v10
; %bb.198:                              ;   in Loop: Header=BB338_9 Depth=1
	s_or_b32 exec_lo, exec_lo, s33
	v_lshlrev_b32_sdwa v0, v84, v0 dst_sel:DWORD dst_unused:UNUSED_PAD src0_sel:DWORD src1_sel:BYTE_3
	v_lshlrev_b32_e32 v1, 20, v1
	v_lshl_add_u32 v9, v9, 23, 0x3c000000
	v_and_b32_e32 v0, 0x80000000, v0
	v_or3_b32 v108, v1, v0, v9
.LBB338_199:                            ;   in Loop: Header=BB338_9 Depth=1
	s_or_b32 exec_lo, exec_lo, s31
.LBB338_200:                            ;   in Loop: Header=BB338_9 Depth=1
	s_or_b32 exec_lo, exec_lo, s17
.LBB338_201:                            ;   in Loop: Header=BB338_9 Depth=1
	s_or_b32 exec_lo, exec_lo, s3
	global_load_dword v0, v[7:8], off offset:768
	v_mov_b32_e32 v111, 0
	v_mov_b32_e32 v110, 0
	s_waitcnt vmcnt(0)
	v_cmp_ne_u16_sdwa s2, v0, v2 src0_sel:BYTE_0 src1_sel:DWORD
	s_and_saveexec_b32 s3, s2
	s_cbranch_execz .LBB338_209
; %bb.202:                              ;   in Loop: Header=BB338_9 Depth=1
	v_cmp_ne_u16_sdwa s2, v0, v80 src0_sel:BYTE_0 src1_sel:DWORD
	v_bfrev_b32_e32 v110, 1
	s_and_saveexec_b32 s17, s2
	s_cbranch_execz .LBB338_208
; %bb.203:                              ;   in Loop: Header=BB338_9 Depth=1
	v_and_b32_e32 v10, 0x7f, v0
	v_mov_b32_e32 v110, 0x7f800001
	s_mov_b32 s31, exec_lo
	v_cmpx_ne_u32_e32 0x7f, v10
	s_cbranch_execz .LBB338_207
; %bb.204:                              ;   in Loop: Header=BB338_9 Depth=1
	v_and_b32_e32 v1, 7, v0
	v_lshrrev_b32_e32 v9, 3, v10
	s_mov_b32 s33, exec_lo
	v_cmpx_gt_u32_e32 8, v10
; %bb.205:                              ;   in Loop: Header=BB338_9 Depth=1
	v_ffbh_u32_e32 v9, v1
	v_min_u32_e32 v9, 32, v9
	v_subrev_nc_u32_e32 v10, 28, v9
	v_sub_nc_u32_e32 v9, 29, v9
	v_lshlrev_b64 v[10:11], v10, v[1:2]
	v_and_b32_e32 v1, 7, v10
; %bb.206:                              ;   in Loop: Header=BB338_9 Depth=1
	s_or_b32 exec_lo, exec_lo, s33
	v_lshlrev_b32_e32 v10, 24, v0
	v_lshlrev_b32_e32 v1, 20, v1
	v_lshl_add_u32 v9, v9, 23, 0x3c000000
	v_and_b32_e32 v10, 0x80000000, v10
	v_or3_b32 v110, v1, v10, v9
.LBB338_207:                            ;   in Loop: Header=BB338_9 Depth=1
	s_or_b32 exec_lo, exec_lo, s31
.LBB338_208:                            ;   in Loop: Header=BB338_9 Depth=1
	s_or_b32 exec_lo, exec_lo, s17
.LBB338_209:                            ;   in Loop: Header=BB338_9 Depth=1
	s_or_b32 exec_lo, exec_lo, s3
	v_cmp_ne_u16_sdwa s2, v0, v2 src0_sel:BYTE_1 src1_sel:DWORD
	s_and_saveexec_b32 s3, s2
	s_cbranch_execz .LBB338_217
; %bb.210:                              ;   in Loop: Header=BB338_9 Depth=1
	v_cmp_ne_u16_sdwa s2, v0, v80 src0_sel:BYTE_1 src1_sel:DWORD
	v_bfrev_b32_e32 v111, 1
	s_and_saveexec_b32 s17, s2
	s_cbranch_execz .LBB338_216
; %bb.211:                              ;   in Loop: Header=BB338_9 Depth=1
	v_and_b32_sdwa v1, v81, v0 dst_sel:DWORD dst_unused:UNUSED_PAD src0_sel:DWORD src1_sel:BYTE_1
	v_mov_b32_e32 v111, 0x7f800001
	s_mov_b32 s31, exec_lo
	v_and_b32_e32 v10, 0x7f, v1
	v_cmpx_ne_u32_e32 0x7f, v10
	s_cbranch_execz .LBB338_215
; %bb.212:                              ;   in Loop: Header=BB338_9 Depth=1
	v_and_b32_e32 v1, 7, v1
	v_lshrrev_b32_e32 v9, 3, v10
	s_mov_b32 s33, exec_lo
	v_cmpx_gt_u32_e32 8, v10
; %bb.213:                              ;   in Loop: Header=BB338_9 Depth=1
	v_ffbh_u32_e32 v9, v1
	v_min_u32_e32 v9, 32, v9
	v_subrev_nc_u32_e32 v10, 28, v9
	v_sub_nc_u32_e32 v9, 29, v9
	v_lshlrev_b64 v[10:11], v10, v[1:2]
	v_and_b32_e32 v1, 7, v10
; %bb.214:                              ;   in Loop: Header=BB338_9 Depth=1
	s_or_b32 exec_lo, exec_lo, s33
	v_lshlrev_b32_e32 v10, 16, v0
	v_lshlrev_b32_e32 v1, 20, v1
	v_lshl_add_u32 v9, v9, 23, 0x3c000000
	v_and_b32_e32 v10, 0x80000000, v10
	v_or3_b32 v111, v1, v10, v9
.LBB338_215:                            ;   in Loop: Header=BB338_9 Depth=1
	s_or_b32 exec_lo, exec_lo, s31
.LBB338_216:                            ;   in Loop: Header=BB338_9 Depth=1
	s_or_b32 exec_lo, exec_lo, s17
.LBB338_217:                            ;   in Loop: Header=BB338_9 Depth=1
	s_or_b32 exec_lo, exec_lo, s3
	v_and_b32_sdwa v1, v0, v82 dst_sel:DWORD dst_unused:UNUSED_PAD src0_sel:WORD_1 src1_sel:DWORD
	v_mov_b32_e32 v112, 0
	v_mov_b32_e32 v113, 0
	s_mov_b32 s3, exec_lo
	v_cmpx_ne_u16_e32 0, v1
	s_cbranch_execz .LBB338_225
; %bb.218:                              ;   in Loop: Header=BB338_9 Depth=1
	v_bfrev_b32_e32 v113, 1
	s_mov_b32 s17, exec_lo
	v_cmpx_ne_u16_e32 0x80, v1
	s_cbranch_execz .LBB338_224
; %bb.219:                              ;   in Loop: Header=BB338_9 Depth=1
	v_bfe_u32 v10, v0, 16, 7
	v_mov_b32_e32 v113, 0x7f800001
	s_mov_b32 s31, exec_lo
	v_cmpx_ne_u32_e32 0x7f, v10
	s_cbranch_execz .LBB338_223
; %bb.220:                              ;   in Loop: Header=BB338_9 Depth=1
	v_and_b32_sdwa v1, v0, v83 dst_sel:DWORD dst_unused:UNUSED_PAD src0_sel:WORD_1 src1_sel:DWORD
	v_lshrrev_b32_e32 v9, 3, v10
	s_mov_b32 s33, exec_lo
	v_cmpx_gt_u32_e32 8, v10
; %bb.221:                              ;   in Loop: Header=BB338_9 Depth=1
	v_ffbh_u32_e32 v9, v1
	v_min_u32_e32 v9, 32, v9
	v_subrev_nc_u32_e32 v10, 28, v9
	v_sub_nc_u32_e32 v9, 29, v9
	v_lshlrev_b64 v[10:11], v10, v[1:2]
	v_and_b32_e32 v1, 7, v10
; %bb.222:                              ;   in Loop: Header=BB338_9 Depth=1
	s_or_b32 exec_lo, exec_lo, s33
	v_lshlrev_b32_sdwa v10, v84, v0 dst_sel:DWORD dst_unused:UNUSED_PAD src0_sel:DWORD src1_sel:WORD_1
	v_lshlrev_b32_e32 v1, 20, v1
	v_lshl_add_u32 v9, v9, 23, 0x3c000000
	v_and_b32_e32 v10, 0x80000000, v10
	v_or3_b32 v113, v1, v10, v9
.LBB338_223:                            ;   in Loop: Header=BB338_9 Depth=1
	s_or_b32 exec_lo, exec_lo, s31
.LBB338_224:                            ;   in Loop: Header=BB338_9 Depth=1
	s_or_b32 exec_lo, exec_lo, s17
.LBB338_225:                            ;   in Loop: Header=BB338_9 Depth=1
	s_or_b32 exec_lo, exec_lo, s3
	s_mov_b32 s3, exec_lo
	v_cmpx_lt_u32_e32 0xffffff, v0
	s_cbranch_execz .LBB338_233
; %bb.226:                              ;   in Loop: Header=BB338_9 Depth=1
	v_cmp_ne_u32_sdwa s2, v0, v80 src0_sel:BYTE_3 src1_sel:DWORD
	v_bfrev_b32_e32 v112, 1
	s_and_saveexec_b32 s17, s2
	s_cbranch_execz .LBB338_232
; %bb.227:                              ;   in Loop: Header=BB338_9 Depth=1
	v_bfe_u32 v10, v0, 24, 7
	v_mov_b32_e32 v112, 0x7f800001
	s_mov_b32 s31, exec_lo
	v_cmpx_ne_u32_e32 0x7f, v10
	s_cbranch_execz .LBB338_231
; %bb.228:                              ;   in Loop: Header=BB338_9 Depth=1
	v_and_b32_sdwa v1, v0, v83 dst_sel:DWORD dst_unused:UNUSED_PAD src0_sel:BYTE_3 src1_sel:DWORD
	v_lshrrev_b32_e32 v9, 3, v10
	s_mov_b32 s33, exec_lo
	v_cmpx_gt_u32_e32 8, v10
; %bb.229:                              ;   in Loop: Header=BB338_9 Depth=1
	v_ffbh_u32_e32 v9, v1
	v_min_u32_e32 v9, 32, v9
	v_subrev_nc_u32_e32 v10, 28, v9
	v_sub_nc_u32_e32 v9, 29, v9
	v_lshlrev_b64 v[10:11], v10, v[1:2]
	v_and_b32_e32 v1, 7, v10
; %bb.230:                              ;   in Loop: Header=BB338_9 Depth=1
	s_or_b32 exec_lo, exec_lo, s33
	v_lshlrev_b32_sdwa v0, v84, v0 dst_sel:DWORD dst_unused:UNUSED_PAD src0_sel:DWORD src1_sel:BYTE_3
	v_lshlrev_b32_e32 v1, 20, v1
	v_lshl_add_u32 v9, v9, 23, 0x3c000000
	v_and_b32_e32 v0, 0x80000000, v0
	v_or3_b32 v112, v1, v0, v9
.LBB338_231:                            ;   in Loop: Header=BB338_9 Depth=1
	s_or_b32 exec_lo, exec_lo, s31
.LBB338_232:                            ;   in Loop: Header=BB338_9 Depth=1
	s_or_b32 exec_lo, exec_lo, s17
.LBB338_233:                            ;   in Loop: Header=BB338_9 Depth=1
	s_or_b32 exec_lo, exec_lo, s3
	global_load_dword v0, v[7:8], off offset:776
	v_mov_b32_e32 v115, 0
	v_mov_b32_e32 v114, 0
	s_waitcnt vmcnt(0)
	v_cmp_ne_u16_sdwa s2, v0, v2 src0_sel:BYTE_0 src1_sel:DWORD
	s_and_saveexec_b32 s3, s2
	s_cbranch_execz .LBB338_241
; %bb.234:                              ;   in Loop: Header=BB338_9 Depth=1
	v_cmp_ne_u16_sdwa s2, v0, v80 src0_sel:BYTE_0 src1_sel:DWORD
	v_bfrev_b32_e32 v114, 1
	s_and_saveexec_b32 s17, s2
	s_cbranch_execz .LBB338_240
; %bb.235:                              ;   in Loop: Header=BB338_9 Depth=1
	v_and_b32_e32 v10, 0x7f, v0
	v_mov_b32_e32 v114, 0x7f800001
	s_mov_b32 s31, exec_lo
	v_cmpx_ne_u32_e32 0x7f, v10
	s_cbranch_execz .LBB338_239
; %bb.236:                              ;   in Loop: Header=BB338_9 Depth=1
	v_and_b32_e32 v1, 7, v0
	v_lshrrev_b32_e32 v9, 3, v10
	s_mov_b32 s33, exec_lo
	v_cmpx_gt_u32_e32 8, v10
; %bb.237:                              ;   in Loop: Header=BB338_9 Depth=1
	v_ffbh_u32_e32 v9, v1
	v_min_u32_e32 v9, 32, v9
	v_subrev_nc_u32_e32 v10, 28, v9
	v_sub_nc_u32_e32 v9, 29, v9
	v_lshlrev_b64 v[10:11], v10, v[1:2]
	v_and_b32_e32 v1, 7, v10
; %bb.238:                              ;   in Loop: Header=BB338_9 Depth=1
	s_or_b32 exec_lo, exec_lo, s33
	v_lshlrev_b32_e32 v10, 24, v0
	v_lshlrev_b32_e32 v1, 20, v1
	v_lshl_add_u32 v9, v9, 23, 0x3c000000
	v_and_b32_e32 v10, 0x80000000, v10
	v_or3_b32 v114, v1, v10, v9
.LBB338_239:                            ;   in Loop: Header=BB338_9 Depth=1
	s_or_b32 exec_lo, exec_lo, s31
.LBB338_240:                            ;   in Loop: Header=BB338_9 Depth=1
	s_or_b32 exec_lo, exec_lo, s17
.LBB338_241:                            ;   in Loop: Header=BB338_9 Depth=1
	s_or_b32 exec_lo, exec_lo, s3
	v_cmp_ne_u16_sdwa s2, v0, v2 src0_sel:BYTE_1 src1_sel:DWORD
	s_and_saveexec_b32 s3, s2
	s_cbranch_execz .LBB338_249
; %bb.242:                              ;   in Loop: Header=BB338_9 Depth=1
	v_cmp_ne_u16_sdwa s2, v0, v80 src0_sel:BYTE_1 src1_sel:DWORD
	v_bfrev_b32_e32 v115, 1
	s_and_saveexec_b32 s17, s2
	s_cbranch_execz .LBB338_248
; %bb.243:                              ;   in Loop: Header=BB338_9 Depth=1
	v_and_b32_sdwa v1, v81, v0 dst_sel:DWORD dst_unused:UNUSED_PAD src0_sel:DWORD src1_sel:BYTE_1
	v_mov_b32_e32 v115, 0x7f800001
	s_mov_b32 s31, exec_lo
	v_and_b32_e32 v10, 0x7f, v1
	v_cmpx_ne_u32_e32 0x7f, v10
	s_cbranch_execz .LBB338_247
; %bb.244:                              ;   in Loop: Header=BB338_9 Depth=1
	v_and_b32_e32 v1, 7, v1
	v_lshrrev_b32_e32 v9, 3, v10
	s_mov_b32 s33, exec_lo
	v_cmpx_gt_u32_e32 8, v10
; %bb.245:                              ;   in Loop: Header=BB338_9 Depth=1
	v_ffbh_u32_e32 v9, v1
	v_min_u32_e32 v9, 32, v9
	v_subrev_nc_u32_e32 v10, 28, v9
	v_sub_nc_u32_e32 v9, 29, v9
	v_lshlrev_b64 v[10:11], v10, v[1:2]
	v_and_b32_e32 v1, 7, v10
; %bb.246:                              ;   in Loop: Header=BB338_9 Depth=1
	s_or_b32 exec_lo, exec_lo, s33
	v_lshlrev_b32_e32 v10, 16, v0
	v_lshlrev_b32_e32 v1, 20, v1
	v_lshl_add_u32 v9, v9, 23, 0x3c000000
	v_and_b32_e32 v10, 0x80000000, v10
	v_or3_b32 v115, v1, v10, v9
.LBB338_247:                            ;   in Loop: Header=BB338_9 Depth=1
	s_or_b32 exec_lo, exec_lo, s31
.LBB338_248:                            ;   in Loop: Header=BB338_9 Depth=1
	s_or_b32 exec_lo, exec_lo, s17
.LBB338_249:                            ;   in Loop: Header=BB338_9 Depth=1
	s_or_b32 exec_lo, exec_lo, s3
	v_and_b32_sdwa v1, v0, v82 dst_sel:DWORD dst_unused:UNUSED_PAD src0_sel:WORD_1 src1_sel:DWORD
	v_mov_b32_e32 v116, 0
	v_mov_b32_e32 v117, 0
	s_mov_b32 s3, exec_lo
	v_cmpx_ne_u16_e32 0, v1
	s_cbranch_execz .LBB338_257
; %bb.250:                              ;   in Loop: Header=BB338_9 Depth=1
	v_bfrev_b32_e32 v117, 1
	s_mov_b32 s17, exec_lo
	v_cmpx_ne_u16_e32 0x80, v1
	s_cbranch_execz .LBB338_256
; %bb.251:                              ;   in Loop: Header=BB338_9 Depth=1
	v_bfe_u32 v10, v0, 16, 7
	v_mov_b32_e32 v117, 0x7f800001
	s_mov_b32 s31, exec_lo
	v_cmpx_ne_u32_e32 0x7f, v10
	s_cbranch_execz .LBB338_255
; %bb.252:                              ;   in Loop: Header=BB338_9 Depth=1
	v_and_b32_sdwa v1, v0, v83 dst_sel:DWORD dst_unused:UNUSED_PAD src0_sel:WORD_1 src1_sel:DWORD
	v_lshrrev_b32_e32 v9, 3, v10
	s_mov_b32 s33, exec_lo
	v_cmpx_gt_u32_e32 8, v10
; %bb.253:                              ;   in Loop: Header=BB338_9 Depth=1
	v_ffbh_u32_e32 v9, v1
	v_min_u32_e32 v9, 32, v9
	v_subrev_nc_u32_e32 v10, 28, v9
	v_sub_nc_u32_e32 v9, 29, v9
	v_lshlrev_b64 v[10:11], v10, v[1:2]
	v_and_b32_e32 v1, 7, v10
; %bb.254:                              ;   in Loop: Header=BB338_9 Depth=1
	s_or_b32 exec_lo, exec_lo, s33
	v_lshlrev_b32_sdwa v10, v84, v0 dst_sel:DWORD dst_unused:UNUSED_PAD src0_sel:DWORD src1_sel:WORD_1
	v_lshlrev_b32_e32 v1, 20, v1
	v_lshl_add_u32 v9, v9, 23, 0x3c000000
	v_and_b32_e32 v10, 0x80000000, v10
	v_or3_b32 v117, v1, v10, v9
.LBB338_255:                            ;   in Loop: Header=BB338_9 Depth=1
	s_or_b32 exec_lo, exec_lo, s31
.LBB338_256:                            ;   in Loop: Header=BB338_9 Depth=1
	s_or_b32 exec_lo, exec_lo, s17
.LBB338_257:                            ;   in Loop: Header=BB338_9 Depth=1
	s_or_b32 exec_lo, exec_lo, s3
	s_mov_b32 s3, exec_lo
	v_cmpx_lt_u32_e32 0xffffff, v0
	s_cbranch_execz .LBB338_265
; %bb.258:                              ;   in Loop: Header=BB338_9 Depth=1
	v_cmp_ne_u32_sdwa s2, v0, v80 src0_sel:BYTE_3 src1_sel:DWORD
	v_bfrev_b32_e32 v116, 1
	s_and_saveexec_b32 s17, s2
	s_cbranch_execz .LBB338_264
; %bb.259:                              ;   in Loop: Header=BB338_9 Depth=1
	v_bfe_u32 v10, v0, 24, 7
	v_mov_b32_e32 v116, 0x7f800001
	s_mov_b32 s31, exec_lo
	v_cmpx_ne_u32_e32 0x7f, v10
	s_cbranch_execz .LBB338_263
; %bb.260:                              ;   in Loop: Header=BB338_9 Depth=1
	v_and_b32_sdwa v1, v0, v83 dst_sel:DWORD dst_unused:UNUSED_PAD src0_sel:BYTE_3 src1_sel:DWORD
	v_lshrrev_b32_e32 v9, 3, v10
	s_mov_b32 s33, exec_lo
	v_cmpx_gt_u32_e32 8, v10
; %bb.261:                              ;   in Loop: Header=BB338_9 Depth=1
	v_ffbh_u32_e32 v9, v1
	v_min_u32_e32 v9, 32, v9
	v_subrev_nc_u32_e32 v10, 28, v9
	v_sub_nc_u32_e32 v9, 29, v9
	v_lshlrev_b64 v[10:11], v10, v[1:2]
	v_and_b32_e32 v1, 7, v10
; %bb.262:                              ;   in Loop: Header=BB338_9 Depth=1
	s_or_b32 exec_lo, exec_lo, s33
	v_lshlrev_b32_sdwa v0, v84, v0 dst_sel:DWORD dst_unused:UNUSED_PAD src0_sel:DWORD src1_sel:BYTE_3
	v_lshlrev_b32_e32 v1, 20, v1
	v_lshl_add_u32 v9, v9, 23, 0x3c000000
	v_and_b32_e32 v0, 0x80000000, v0
	v_or3_b32 v116, v1, v0, v9
.LBB338_263:                            ;   in Loop: Header=BB338_9 Depth=1
	s_or_b32 exec_lo, exec_lo, s31
.LBB338_264:                            ;   in Loop: Header=BB338_9 Depth=1
	s_or_b32 exec_lo, exec_lo, s17
.LBB338_265:                            ;   in Loop: Header=BB338_9 Depth=1
	s_or_b32 exec_lo, exec_lo, s3
	global_load_dword v0, v[7:8], off offset:1024
	v_mov_b32_e32 v119, 0
	v_mov_b32_e32 v118, 0
	s_waitcnt vmcnt(0)
	v_cmp_ne_u16_sdwa s2, v0, v2 src0_sel:BYTE_0 src1_sel:DWORD
	s_and_saveexec_b32 s3, s2
	s_cbranch_execz .LBB338_273
; %bb.266:                              ;   in Loop: Header=BB338_9 Depth=1
	v_cmp_ne_u16_sdwa s2, v0, v80 src0_sel:BYTE_0 src1_sel:DWORD
	v_bfrev_b32_e32 v118, 1
	s_and_saveexec_b32 s17, s2
	s_cbranch_execz .LBB338_272
; %bb.267:                              ;   in Loop: Header=BB338_9 Depth=1
	v_and_b32_e32 v10, 0x7f, v0
	v_mov_b32_e32 v118, 0x7f800001
	s_mov_b32 s31, exec_lo
	v_cmpx_ne_u32_e32 0x7f, v10
	s_cbranch_execz .LBB338_271
; %bb.268:                              ;   in Loop: Header=BB338_9 Depth=1
	v_and_b32_e32 v1, 7, v0
	v_lshrrev_b32_e32 v9, 3, v10
	s_mov_b32 s33, exec_lo
	v_cmpx_gt_u32_e32 8, v10
; %bb.269:                              ;   in Loop: Header=BB338_9 Depth=1
	v_ffbh_u32_e32 v9, v1
	v_min_u32_e32 v9, 32, v9
	v_subrev_nc_u32_e32 v10, 28, v9
	v_sub_nc_u32_e32 v9, 29, v9
	v_lshlrev_b64 v[10:11], v10, v[1:2]
	v_and_b32_e32 v1, 7, v10
; %bb.270:                              ;   in Loop: Header=BB338_9 Depth=1
	s_or_b32 exec_lo, exec_lo, s33
	v_lshlrev_b32_e32 v10, 24, v0
	v_lshlrev_b32_e32 v1, 20, v1
	v_lshl_add_u32 v9, v9, 23, 0x3c000000
	v_and_b32_e32 v10, 0x80000000, v10
	v_or3_b32 v118, v1, v10, v9
.LBB338_271:                            ;   in Loop: Header=BB338_9 Depth=1
	s_or_b32 exec_lo, exec_lo, s31
.LBB338_272:                            ;   in Loop: Header=BB338_9 Depth=1
	s_or_b32 exec_lo, exec_lo, s17
.LBB338_273:                            ;   in Loop: Header=BB338_9 Depth=1
	s_or_b32 exec_lo, exec_lo, s3
	v_cmp_ne_u16_sdwa s2, v0, v2 src0_sel:BYTE_1 src1_sel:DWORD
	s_and_saveexec_b32 s3, s2
	s_cbranch_execz .LBB338_281
; %bb.274:                              ;   in Loop: Header=BB338_9 Depth=1
	v_cmp_ne_u16_sdwa s2, v0, v80 src0_sel:BYTE_1 src1_sel:DWORD
	v_bfrev_b32_e32 v119, 1
	s_and_saveexec_b32 s17, s2
	s_cbranch_execz .LBB338_280
; %bb.275:                              ;   in Loop: Header=BB338_9 Depth=1
	v_and_b32_sdwa v1, v81, v0 dst_sel:DWORD dst_unused:UNUSED_PAD src0_sel:DWORD src1_sel:BYTE_1
	v_mov_b32_e32 v119, 0x7f800001
	s_mov_b32 s31, exec_lo
	v_and_b32_e32 v10, 0x7f, v1
	v_cmpx_ne_u32_e32 0x7f, v10
	s_cbranch_execz .LBB338_279
; %bb.276:                              ;   in Loop: Header=BB338_9 Depth=1
	v_and_b32_e32 v1, 7, v1
	v_lshrrev_b32_e32 v9, 3, v10
	s_mov_b32 s33, exec_lo
	v_cmpx_gt_u32_e32 8, v10
; %bb.277:                              ;   in Loop: Header=BB338_9 Depth=1
	v_ffbh_u32_e32 v9, v1
	v_min_u32_e32 v9, 32, v9
	v_subrev_nc_u32_e32 v10, 28, v9
	v_sub_nc_u32_e32 v9, 29, v9
	v_lshlrev_b64 v[10:11], v10, v[1:2]
	v_and_b32_e32 v1, 7, v10
; %bb.278:                              ;   in Loop: Header=BB338_9 Depth=1
	s_or_b32 exec_lo, exec_lo, s33
	v_lshlrev_b32_e32 v10, 16, v0
	v_lshlrev_b32_e32 v1, 20, v1
	v_lshl_add_u32 v9, v9, 23, 0x3c000000
	v_and_b32_e32 v10, 0x80000000, v10
	v_or3_b32 v119, v1, v10, v9
.LBB338_279:                            ;   in Loop: Header=BB338_9 Depth=1
	s_or_b32 exec_lo, exec_lo, s31
.LBB338_280:                            ;   in Loop: Header=BB338_9 Depth=1
	s_or_b32 exec_lo, exec_lo, s17
.LBB338_281:                            ;   in Loop: Header=BB338_9 Depth=1
	s_or_b32 exec_lo, exec_lo, s3
	v_and_b32_sdwa v1, v0, v82 dst_sel:DWORD dst_unused:UNUSED_PAD src0_sel:WORD_1 src1_sel:DWORD
	v_mov_b32_e32 v120, 0
	v_mov_b32_e32 v121, 0
	s_mov_b32 s3, exec_lo
	v_cmpx_ne_u16_e32 0, v1
	s_cbranch_execz .LBB338_289
; %bb.282:                              ;   in Loop: Header=BB338_9 Depth=1
	v_bfrev_b32_e32 v121, 1
	s_mov_b32 s17, exec_lo
	v_cmpx_ne_u16_e32 0x80, v1
	s_cbranch_execz .LBB338_288
; %bb.283:                              ;   in Loop: Header=BB338_9 Depth=1
	v_bfe_u32 v10, v0, 16, 7
	v_mov_b32_e32 v121, 0x7f800001
	s_mov_b32 s31, exec_lo
	v_cmpx_ne_u32_e32 0x7f, v10
	s_cbranch_execz .LBB338_287
; %bb.284:                              ;   in Loop: Header=BB338_9 Depth=1
	v_and_b32_sdwa v1, v0, v83 dst_sel:DWORD dst_unused:UNUSED_PAD src0_sel:WORD_1 src1_sel:DWORD
	v_lshrrev_b32_e32 v9, 3, v10
	s_mov_b32 s33, exec_lo
	v_cmpx_gt_u32_e32 8, v10
; %bb.285:                              ;   in Loop: Header=BB338_9 Depth=1
	v_ffbh_u32_e32 v9, v1
	v_min_u32_e32 v9, 32, v9
	v_subrev_nc_u32_e32 v10, 28, v9
	v_sub_nc_u32_e32 v9, 29, v9
	v_lshlrev_b64 v[10:11], v10, v[1:2]
	v_and_b32_e32 v1, 7, v10
; %bb.286:                              ;   in Loop: Header=BB338_9 Depth=1
	s_or_b32 exec_lo, exec_lo, s33
	v_lshlrev_b32_sdwa v10, v84, v0 dst_sel:DWORD dst_unused:UNUSED_PAD src0_sel:DWORD src1_sel:WORD_1
	v_lshlrev_b32_e32 v1, 20, v1
	v_lshl_add_u32 v9, v9, 23, 0x3c000000
	v_and_b32_e32 v10, 0x80000000, v10
	v_or3_b32 v121, v1, v10, v9
.LBB338_287:                            ;   in Loop: Header=BB338_9 Depth=1
	s_or_b32 exec_lo, exec_lo, s31
.LBB338_288:                            ;   in Loop: Header=BB338_9 Depth=1
	s_or_b32 exec_lo, exec_lo, s17
.LBB338_289:                            ;   in Loop: Header=BB338_9 Depth=1
	s_or_b32 exec_lo, exec_lo, s3
	s_mov_b32 s3, exec_lo
	v_cmpx_lt_u32_e32 0xffffff, v0
	s_cbranch_execz .LBB338_297
; %bb.290:                              ;   in Loop: Header=BB338_9 Depth=1
	v_cmp_ne_u32_sdwa s2, v0, v80 src0_sel:BYTE_3 src1_sel:DWORD
	v_bfrev_b32_e32 v120, 1
	s_and_saveexec_b32 s17, s2
	s_cbranch_execz .LBB338_296
; %bb.291:                              ;   in Loop: Header=BB338_9 Depth=1
	v_bfe_u32 v10, v0, 24, 7
	v_mov_b32_e32 v120, 0x7f800001
	s_mov_b32 s31, exec_lo
	v_cmpx_ne_u32_e32 0x7f, v10
	s_cbranch_execz .LBB338_295
; %bb.292:                              ;   in Loop: Header=BB338_9 Depth=1
	v_and_b32_sdwa v1, v0, v83 dst_sel:DWORD dst_unused:UNUSED_PAD src0_sel:BYTE_3 src1_sel:DWORD
	v_lshrrev_b32_e32 v9, 3, v10
	s_mov_b32 s33, exec_lo
	v_cmpx_gt_u32_e32 8, v10
; %bb.293:                              ;   in Loop: Header=BB338_9 Depth=1
	v_ffbh_u32_e32 v9, v1
	v_min_u32_e32 v9, 32, v9
	v_subrev_nc_u32_e32 v10, 28, v9
	v_sub_nc_u32_e32 v9, 29, v9
	v_lshlrev_b64 v[10:11], v10, v[1:2]
	v_and_b32_e32 v1, 7, v10
; %bb.294:                              ;   in Loop: Header=BB338_9 Depth=1
	s_or_b32 exec_lo, exec_lo, s33
	v_lshlrev_b32_sdwa v0, v84, v0 dst_sel:DWORD dst_unused:UNUSED_PAD src0_sel:DWORD src1_sel:BYTE_3
	v_lshlrev_b32_e32 v1, 20, v1
	v_lshl_add_u32 v9, v9, 23, 0x3c000000
	v_and_b32_e32 v0, 0x80000000, v0
	v_or3_b32 v120, v1, v0, v9
.LBB338_295:                            ;   in Loop: Header=BB338_9 Depth=1
	s_or_b32 exec_lo, exec_lo, s31
.LBB338_296:                            ;   in Loop: Header=BB338_9 Depth=1
	s_or_b32 exec_lo, exec_lo, s17
.LBB338_297:                            ;   in Loop: Header=BB338_9 Depth=1
	s_or_b32 exec_lo, exec_lo, s3
	global_load_dword v0, v[7:8], off offset:1032
	v_mov_b32_e32 v123, 0
	v_mov_b32_e32 v122, 0
	s_waitcnt vmcnt(0)
	v_cmp_ne_u16_sdwa s2, v0, v2 src0_sel:BYTE_0 src1_sel:DWORD
	s_and_saveexec_b32 s3, s2
	s_cbranch_execz .LBB338_305
; %bb.298:                              ;   in Loop: Header=BB338_9 Depth=1
	v_cmp_ne_u16_sdwa s2, v0, v80 src0_sel:BYTE_0 src1_sel:DWORD
	v_bfrev_b32_e32 v122, 1
	s_and_saveexec_b32 s17, s2
	s_cbranch_execz .LBB338_304
; %bb.299:                              ;   in Loop: Header=BB338_9 Depth=1
	v_and_b32_e32 v10, 0x7f, v0
	v_mov_b32_e32 v122, 0x7f800001
	s_mov_b32 s31, exec_lo
	v_cmpx_ne_u32_e32 0x7f, v10
	s_cbranch_execz .LBB338_303
; %bb.300:                              ;   in Loop: Header=BB338_9 Depth=1
	v_and_b32_e32 v1, 7, v0
	v_lshrrev_b32_e32 v9, 3, v10
	s_mov_b32 s33, exec_lo
	v_cmpx_gt_u32_e32 8, v10
; %bb.301:                              ;   in Loop: Header=BB338_9 Depth=1
	v_ffbh_u32_e32 v9, v1
	v_min_u32_e32 v9, 32, v9
	v_subrev_nc_u32_e32 v10, 28, v9
	v_sub_nc_u32_e32 v9, 29, v9
	v_lshlrev_b64 v[10:11], v10, v[1:2]
	v_and_b32_e32 v1, 7, v10
; %bb.302:                              ;   in Loop: Header=BB338_9 Depth=1
	s_or_b32 exec_lo, exec_lo, s33
	v_lshlrev_b32_e32 v10, 24, v0
	v_lshlrev_b32_e32 v1, 20, v1
	v_lshl_add_u32 v9, v9, 23, 0x3c000000
	v_and_b32_e32 v10, 0x80000000, v10
	v_or3_b32 v122, v1, v10, v9
.LBB338_303:                            ;   in Loop: Header=BB338_9 Depth=1
	s_or_b32 exec_lo, exec_lo, s31
.LBB338_304:                            ;   in Loop: Header=BB338_9 Depth=1
	s_or_b32 exec_lo, exec_lo, s17
.LBB338_305:                            ;   in Loop: Header=BB338_9 Depth=1
	s_or_b32 exec_lo, exec_lo, s3
	v_cmp_ne_u16_sdwa s2, v0, v2 src0_sel:BYTE_1 src1_sel:DWORD
	s_and_saveexec_b32 s3, s2
	s_cbranch_execz .LBB338_313
; %bb.306:                              ;   in Loop: Header=BB338_9 Depth=1
	v_cmp_ne_u16_sdwa s2, v0, v80 src0_sel:BYTE_1 src1_sel:DWORD
	v_bfrev_b32_e32 v123, 1
	s_and_saveexec_b32 s17, s2
	s_cbranch_execz .LBB338_312
; %bb.307:                              ;   in Loop: Header=BB338_9 Depth=1
	v_and_b32_sdwa v1, v81, v0 dst_sel:DWORD dst_unused:UNUSED_PAD src0_sel:DWORD src1_sel:BYTE_1
	v_mov_b32_e32 v123, 0x7f800001
	s_mov_b32 s31, exec_lo
	v_and_b32_e32 v10, 0x7f, v1
	v_cmpx_ne_u32_e32 0x7f, v10
	s_cbranch_execz .LBB338_311
; %bb.308:                              ;   in Loop: Header=BB338_9 Depth=1
	v_and_b32_e32 v1, 7, v1
	v_lshrrev_b32_e32 v9, 3, v10
	s_mov_b32 s33, exec_lo
	v_cmpx_gt_u32_e32 8, v10
; %bb.309:                              ;   in Loop: Header=BB338_9 Depth=1
	v_ffbh_u32_e32 v9, v1
	v_min_u32_e32 v9, 32, v9
	v_subrev_nc_u32_e32 v10, 28, v9
	v_sub_nc_u32_e32 v9, 29, v9
	v_lshlrev_b64 v[10:11], v10, v[1:2]
	v_and_b32_e32 v1, 7, v10
; %bb.310:                              ;   in Loop: Header=BB338_9 Depth=1
	s_or_b32 exec_lo, exec_lo, s33
	v_lshlrev_b32_e32 v10, 16, v0
	v_lshlrev_b32_e32 v1, 20, v1
	v_lshl_add_u32 v9, v9, 23, 0x3c000000
	v_and_b32_e32 v10, 0x80000000, v10
	v_or3_b32 v123, v1, v10, v9
.LBB338_311:                            ;   in Loop: Header=BB338_9 Depth=1
	s_or_b32 exec_lo, exec_lo, s31
.LBB338_312:                            ;   in Loop: Header=BB338_9 Depth=1
	s_or_b32 exec_lo, exec_lo, s17
.LBB338_313:                            ;   in Loop: Header=BB338_9 Depth=1
	s_or_b32 exec_lo, exec_lo, s3
	v_and_b32_sdwa v1, v0, v82 dst_sel:DWORD dst_unused:UNUSED_PAD src0_sel:WORD_1 src1_sel:DWORD
	v_mov_b32_e32 v124, 0
	v_mov_b32_e32 v125, 0
	s_mov_b32 s3, exec_lo
	v_cmpx_ne_u16_e32 0, v1
	s_cbranch_execz .LBB338_321
; %bb.314:                              ;   in Loop: Header=BB338_9 Depth=1
	v_bfrev_b32_e32 v125, 1
	s_mov_b32 s17, exec_lo
	v_cmpx_ne_u16_e32 0x80, v1
	s_cbranch_execz .LBB338_320
; %bb.315:                              ;   in Loop: Header=BB338_9 Depth=1
	v_bfe_u32 v10, v0, 16, 7
	v_mov_b32_e32 v125, 0x7f800001
	s_mov_b32 s31, exec_lo
	v_cmpx_ne_u32_e32 0x7f, v10
	s_cbranch_execz .LBB338_319
; %bb.316:                              ;   in Loop: Header=BB338_9 Depth=1
	v_and_b32_sdwa v1, v0, v83 dst_sel:DWORD dst_unused:UNUSED_PAD src0_sel:WORD_1 src1_sel:DWORD
	v_lshrrev_b32_e32 v9, 3, v10
	s_mov_b32 s33, exec_lo
	v_cmpx_gt_u32_e32 8, v10
; %bb.317:                              ;   in Loop: Header=BB338_9 Depth=1
	v_ffbh_u32_e32 v9, v1
	v_min_u32_e32 v9, 32, v9
	v_subrev_nc_u32_e32 v10, 28, v9
	v_sub_nc_u32_e32 v9, 29, v9
	v_lshlrev_b64 v[10:11], v10, v[1:2]
	v_and_b32_e32 v1, 7, v10
; %bb.318:                              ;   in Loop: Header=BB338_9 Depth=1
	s_or_b32 exec_lo, exec_lo, s33
	v_lshlrev_b32_sdwa v10, v84, v0 dst_sel:DWORD dst_unused:UNUSED_PAD src0_sel:DWORD src1_sel:WORD_1
	v_lshlrev_b32_e32 v1, 20, v1
	v_lshl_add_u32 v9, v9, 23, 0x3c000000
	v_and_b32_e32 v10, 0x80000000, v10
	v_or3_b32 v125, v1, v10, v9
.LBB338_319:                            ;   in Loop: Header=BB338_9 Depth=1
	s_or_b32 exec_lo, exec_lo, s31
.LBB338_320:                            ;   in Loop: Header=BB338_9 Depth=1
	s_or_b32 exec_lo, exec_lo, s17
.LBB338_321:                            ;   in Loop: Header=BB338_9 Depth=1
	s_or_b32 exec_lo, exec_lo, s3
	s_mov_b32 s3, exec_lo
	v_cmpx_lt_u32_e32 0xffffff, v0
	s_cbranch_execz .LBB338_329
; %bb.322:                              ;   in Loop: Header=BB338_9 Depth=1
	v_cmp_ne_u32_sdwa s2, v0, v80 src0_sel:BYTE_3 src1_sel:DWORD
	v_bfrev_b32_e32 v124, 1
	s_and_saveexec_b32 s17, s2
	s_cbranch_execz .LBB338_328
; %bb.323:                              ;   in Loop: Header=BB338_9 Depth=1
	v_bfe_u32 v10, v0, 24, 7
	v_mov_b32_e32 v124, 0x7f800001
	s_mov_b32 s31, exec_lo
	v_cmpx_ne_u32_e32 0x7f, v10
	s_cbranch_execz .LBB338_327
; %bb.324:                              ;   in Loop: Header=BB338_9 Depth=1
	v_and_b32_sdwa v1, v0, v83 dst_sel:DWORD dst_unused:UNUSED_PAD src0_sel:BYTE_3 src1_sel:DWORD
	v_lshrrev_b32_e32 v9, 3, v10
	s_mov_b32 s33, exec_lo
	v_cmpx_gt_u32_e32 8, v10
; %bb.325:                              ;   in Loop: Header=BB338_9 Depth=1
	v_ffbh_u32_e32 v9, v1
	v_min_u32_e32 v9, 32, v9
	v_subrev_nc_u32_e32 v10, 28, v9
	v_sub_nc_u32_e32 v9, 29, v9
	v_lshlrev_b64 v[10:11], v10, v[1:2]
	v_and_b32_e32 v1, 7, v10
; %bb.326:                              ;   in Loop: Header=BB338_9 Depth=1
	s_or_b32 exec_lo, exec_lo, s33
	v_lshlrev_b32_sdwa v0, v84, v0 dst_sel:DWORD dst_unused:UNUSED_PAD src0_sel:DWORD src1_sel:BYTE_3
	v_lshlrev_b32_e32 v1, 20, v1
	v_lshl_add_u32 v9, v9, 23, 0x3c000000
	v_and_b32_e32 v0, 0x80000000, v0
	v_or3_b32 v124, v1, v0, v9
.LBB338_327:                            ;   in Loop: Header=BB338_9 Depth=1
	s_or_b32 exec_lo, exec_lo, s31
.LBB338_328:                            ;   in Loop: Header=BB338_9 Depth=1
	s_or_b32 exec_lo, exec_lo, s17
.LBB338_329:                            ;   in Loop: Header=BB338_9 Depth=1
	s_or_b32 exec_lo, exec_lo, s3
	global_load_dword v0, v[7:8], off offset:1280
	v_mov_b32_e32 v127, 0
	v_mov_b32_e32 v126, 0
	s_waitcnt vmcnt(0)
	v_cmp_ne_u16_sdwa s2, v0, v2 src0_sel:BYTE_0 src1_sel:DWORD
	s_and_saveexec_b32 s3, s2
	s_cbranch_execz .LBB338_337
; %bb.330:                              ;   in Loop: Header=BB338_9 Depth=1
	v_cmp_ne_u16_sdwa s2, v0, v80 src0_sel:BYTE_0 src1_sel:DWORD
	v_bfrev_b32_e32 v126, 1
	s_and_saveexec_b32 s17, s2
	s_cbranch_execz .LBB338_336
; %bb.331:                              ;   in Loop: Header=BB338_9 Depth=1
	v_and_b32_e32 v10, 0x7f, v0
	v_mov_b32_e32 v126, 0x7f800001
	s_mov_b32 s31, exec_lo
	v_cmpx_ne_u32_e32 0x7f, v10
	s_cbranch_execz .LBB338_335
; %bb.332:                              ;   in Loop: Header=BB338_9 Depth=1
	v_and_b32_e32 v1, 7, v0
	v_lshrrev_b32_e32 v9, 3, v10
	s_mov_b32 s33, exec_lo
	v_cmpx_gt_u32_e32 8, v10
; %bb.333:                              ;   in Loop: Header=BB338_9 Depth=1
	v_ffbh_u32_e32 v9, v1
	v_min_u32_e32 v9, 32, v9
	v_subrev_nc_u32_e32 v10, 28, v9
	v_sub_nc_u32_e32 v9, 29, v9
	v_lshlrev_b64 v[10:11], v10, v[1:2]
	v_and_b32_e32 v1, 7, v10
; %bb.334:                              ;   in Loop: Header=BB338_9 Depth=1
	s_or_b32 exec_lo, exec_lo, s33
	v_lshlrev_b32_e32 v10, 24, v0
	v_lshlrev_b32_e32 v1, 20, v1
	v_lshl_add_u32 v9, v9, 23, 0x3c000000
	v_and_b32_e32 v10, 0x80000000, v10
	v_or3_b32 v126, v1, v10, v9
.LBB338_335:                            ;   in Loop: Header=BB338_9 Depth=1
	s_or_b32 exec_lo, exec_lo, s31
.LBB338_336:                            ;   in Loop: Header=BB338_9 Depth=1
	s_or_b32 exec_lo, exec_lo, s17
.LBB338_337:                            ;   in Loop: Header=BB338_9 Depth=1
	s_or_b32 exec_lo, exec_lo, s3
	v_cmp_ne_u16_sdwa s2, v0, v2 src0_sel:BYTE_1 src1_sel:DWORD
	s_and_saveexec_b32 s3, s2
	s_cbranch_execz .LBB338_345
; %bb.338:                              ;   in Loop: Header=BB338_9 Depth=1
	v_cmp_ne_u16_sdwa s2, v0, v80 src0_sel:BYTE_1 src1_sel:DWORD
	v_bfrev_b32_e32 v127, 1
	s_and_saveexec_b32 s17, s2
	s_cbranch_execz .LBB338_344
; %bb.339:                              ;   in Loop: Header=BB338_9 Depth=1
	v_and_b32_sdwa v1, v81, v0 dst_sel:DWORD dst_unused:UNUSED_PAD src0_sel:DWORD src1_sel:BYTE_1
	v_mov_b32_e32 v127, 0x7f800001
	s_mov_b32 s31, exec_lo
	v_and_b32_e32 v10, 0x7f, v1
	v_cmpx_ne_u32_e32 0x7f, v10
	s_cbranch_execz .LBB338_343
; %bb.340:                              ;   in Loop: Header=BB338_9 Depth=1
	v_and_b32_e32 v1, 7, v1
	v_lshrrev_b32_e32 v9, 3, v10
	s_mov_b32 s33, exec_lo
	v_cmpx_gt_u32_e32 8, v10
; %bb.341:                              ;   in Loop: Header=BB338_9 Depth=1
	v_ffbh_u32_e32 v9, v1
	v_min_u32_e32 v9, 32, v9
	v_subrev_nc_u32_e32 v10, 28, v9
	v_sub_nc_u32_e32 v9, 29, v9
	v_lshlrev_b64 v[10:11], v10, v[1:2]
	v_and_b32_e32 v1, 7, v10
; %bb.342:                              ;   in Loop: Header=BB338_9 Depth=1
	s_or_b32 exec_lo, exec_lo, s33
	v_lshlrev_b32_e32 v10, 16, v0
	v_lshlrev_b32_e32 v1, 20, v1
	v_lshl_add_u32 v9, v9, 23, 0x3c000000
	v_and_b32_e32 v10, 0x80000000, v10
	v_or3_b32 v127, v1, v10, v9
.LBB338_343:                            ;   in Loop: Header=BB338_9 Depth=1
	s_or_b32 exec_lo, exec_lo, s31
.LBB338_344:                            ;   in Loop: Header=BB338_9 Depth=1
	s_or_b32 exec_lo, exec_lo, s17
.LBB338_345:                            ;   in Loop: Header=BB338_9 Depth=1
	s_or_b32 exec_lo, exec_lo, s3
	v_and_b32_sdwa v1, v0, v82 dst_sel:DWORD dst_unused:UNUSED_PAD src0_sel:WORD_1 src1_sel:DWORD
	v_mov_b32_e32 v22, 0
	v_mov_b32_e32 v23, 0
	s_mov_b32 s3, exec_lo
	v_cmpx_ne_u16_e32 0, v1
	s_cbranch_execz .LBB338_353
; %bb.346:                              ;   in Loop: Header=BB338_9 Depth=1
	v_bfrev_b32_e32 v23, 1
	s_mov_b32 s17, exec_lo
	v_cmpx_ne_u16_e32 0x80, v1
	s_cbranch_execz .LBB338_352
; %bb.347:                              ;   in Loop: Header=BB338_9 Depth=1
	v_bfe_u32 v10, v0, 16, 7
	v_mov_b32_e32 v23, 0x7f800001
	s_mov_b32 s31, exec_lo
	v_cmpx_ne_u32_e32 0x7f, v10
	s_cbranch_execz .LBB338_351
; %bb.348:                              ;   in Loop: Header=BB338_9 Depth=1
	v_and_b32_sdwa v1, v0, v83 dst_sel:DWORD dst_unused:UNUSED_PAD src0_sel:WORD_1 src1_sel:DWORD
	v_lshrrev_b32_e32 v9, 3, v10
	s_mov_b32 s33, exec_lo
	v_cmpx_gt_u32_e32 8, v10
; %bb.349:                              ;   in Loop: Header=BB338_9 Depth=1
	v_ffbh_u32_e32 v9, v1
	v_min_u32_e32 v9, 32, v9
	v_subrev_nc_u32_e32 v10, 28, v9
	v_sub_nc_u32_e32 v9, 29, v9
	v_lshlrev_b64 v[10:11], v10, v[1:2]
	v_and_b32_e32 v1, 7, v10
; %bb.350:                              ;   in Loop: Header=BB338_9 Depth=1
	s_or_b32 exec_lo, exec_lo, s33
	v_lshlrev_b32_sdwa v10, v84, v0 dst_sel:DWORD dst_unused:UNUSED_PAD src0_sel:DWORD src1_sel:WORD_1
	v_lshlrev_b32_e32 v1, 20, v1
	v_lshl_add_u32 v9, v9, 23, 0x3c000000
	v_and_b32_e32 v10, 0x80000000, v10
	v_or3_b32 v23, v1, v10, v9
.LBB338_351:                            ;   in Loop: Header=BB338_9 Depth=1
	s_or_b32 exec_lo, exec_lo, s31
.LBB338_352:                            ;   in Loop: Header=BB338_9 Depth=1
	s_or_b32 exec_lo, exec_lo, s17
.LBB338_353:                            ;   in Loop: Header=BB338_9 Depth=1
	s_or_b32 exec_lo, exec_lo, s3
	s_mov_b32 s3, exec_lo
	v_cmpx_lt_u32_e32 0xffffff, v0
	s_cbranch_execz .LBB338_361
; %bb.354:                              ;   in Loop: Header=BB338_9 Depth=1
	v_cmp_ne_u32_sdwa s2, v0, v80 src0_sel:BYTE_3 src1_sel:DWORD
	v_bfrev_b32_e32 v22, 1
	s_and_saveexec_b32 s17, s2
	s_cbranch_execz .LBB338_360
; %bb.355:                              ;   in Loop: Header=BB338_9 Depth=1
	v_bfe_u32 v10, v0, 24, 7
	v_mov_b32_e32 v22, 0x7f800001
	s_mov_b32 s31, exec_lo
	v_cmpx_ne_u32_e32 0x7f, v10
	s_cbranch_execz .LBB338_359
; %bb.356:                              ;   in Loop: Header=BB338_9 Depth=1
	v_and_b32_sdwa v1, v0, v83 dst_sel:DWORD dst_unused:UNUSED_PAD src0_sel:BYTE_3 src1_sel:DWORD
	v_lshrrev_b32_e32 v9, 3, v10
	s_mov_b32 s33, exec_lo
	v_cmpx_gt_u32_e32 8, v10
; %bb.357:                              ;   in Loop: Header=BB338_9 Depth=1
	v_ffbh_u32_e32 v9, v1
	v_min_u32_e32 v9, 32, v9
	v_subrev_nc_u32_e32 v10, 28, v9
	v_sub_nc_u32_e32 v9, 29, v9
	v_lshlrev_b64 v[10:11], v10, v[1:2]
	v_and_b32_e32 v1, 7, v10
; %bb.358:                              ;   in Loop: Header=BB338_9 Depth=1
	s_or_b32 exec_lo, exec_lo, s33
	v_lshlrev_b32_sdwa v0, v84, v0 dst_sel:DWORD dst_unused:UNUSED_PAD src0_sel:DWORD src1_sel:BYTE_3
	v_lshlrev_b32_e32 v1, 20, v1
	v_lshl_add_u32 v9, v9, 23, 0x3c000000
	v_and_b32_e32 v0, 0x80000000, v0
	v_or3_b32 v22, v1, v0, v9
.LBB338_359:                            ;   in Loop: Header=BB338_9 Depth=1
	s_or_b32 exec_lo, exec_lo, s31
.LBB338_360:                            ;   in Loop: Header=BB338_9 Depth=1
	s_or_b32 exec_lo, exec_lo, s17
.LBB338_361:                            ;   in Loop: Header=BB338_9 Depth=1
	s_or_b32 exec_lo, exec_lo, s3
	global_load_dword v10, v[7:8], off offset:1288
	v_mov_b32_e32 v11, 0
	v_mov_b32_e32 v9, 0
	s_waitcnt vmcnt(0)
	v_cmp_ne_u16_sdwa s2, v10, v2 src0_sel:BYTE_0 src1_sel:DWORD
	s_and_saveexec_b32 s3, s2
	s_cbranch_execz .LBB338_369
; %bb.362:                              ;   in Loop: Header=BB338_9 Depth=1
	v_cmp_ne_u16_sdwa s2, v10, v80 src0_sel:BYTE_0 src1_sel:DWORD
	v_bfrev_b32_e32 v9, 1
	s_and_saveexec_b32 s17, s2
	s_cbranch_execz .LBB338_368
; %bb.363:                              ;   in Loop: Header=BB338_9 Depth=1
	v_and_b32_e32 v12, 0x7f, v10
	v_mov_b32_e32 v9, 0x7f800001
	s_mov_b32 s31, exec_lo
	v_cmpx_ne_u32_e32 0x7f, v12
	s_cbranch_execz .LBB338_367
; %bb.364:                              ;   in Loop: Header=BB338_9 Depth=1
	v_and_b32_e32 v1, 7, v10
	v_lshrrev_b32_e32 v0, 3, v12
	s_mov_b32 s33, exec_lo
	v_cmpx_gt_u32_e32 8, v12
; %bb.365:                              ;   in Loop: Header=BB338_9 Depth=1
	v_ffbh_u32_e32 v0, v1
	v_min_u32_e32 v0, 32, v0
	v_subrev_nc_u32_e32 v9, 28, v0
	v_sub_nc_u32_e32 v0, 29, v0
	v_lshlrev_b64 v[12:13], v9, v[1:2]
	v_and_b32_e32 v1, 7, v12
; %bb.366:                              ;   in Loop: Header=BB338_9 Depth=1
	s_or_b32 exec_lo, exec_lo, s33
	v_lshlrev_b32_e32 v9, 24, v10
	v_lshlrev_b32_e32 v1, 20, v1
	v_lshl_add_u32 v0, v0, 23, 0x3c000000
	v_and_b32_e32 v9, 0x80000000, v9
	v_or3_b32 v9, v1, v9, v0
.LBB338_367:                            ;   in Loop: Header=BB338_9 Depth=1
	s_or_b32 exec_lo, exec_lo, s31
.LBB338_368:                            ;   in Loop: Header=BB338_9 Depth=1
	s_or_b32 exec_lo, exec_lo, s17
.LBB338_369:                            ;   in Loop: Header=BB338_9 Depth=1
	s_or_b32 exec_lo, exec_lo, s3
	v_cmp_ne_u16_sdwa s2, v10, v2 src0_sel:BYTE_1 src1_sel:DWORD
	s_and_saveexec_b32 s3, s2
	s_cbranch_execz .LBB338_377
; %bb.370:                              ;   in Loop: Header=BB338_9 Depth=1
	v_cmp_ne_u16_sdwa s2, v10, v80 src0_sel:BYTE_1 src1_sel:DWORD
	v_bfrev_b32_e32 v11, 1
	s_and_saveexec_b32 s17, s2
	s_cbranch_execz .LBB338_376
; %bb.371:                              ;   in Loop: Header=BB338_9 Depth=1
	v_and_b32_sdwa v0, v81, v10 dst_sel:DWORD dst_unused:UNUSED_PAD src0_sel:DWORD src1_sel:BYTE_1
	v_mov_b32_e32 v11, 0x7f800001
	s_mov_b32 s31, exec_lo
	v_and_b32_e32 v12, 0x7f, v0
	v_cmpx_ne_u32_e32 0x7f, v12
	s_cbranch_execz .LBB338_375
; %bb.372:                              ;   in Loop: Header=BB338_9 Depth=1
	v_and_b32_e32 v1, 7, v0
	v_lshrrev_b32_e32 v0, 3, v12
	s_mov_b32 s33, exec_lo
	v_cmpx_gt_u32_e32 8, v12
; %bb.373:                              ;   in Loop: Header=BB338_9 Depth=1
	v_ffbh_u32_e32 v0, v1
	v_min_u32_e32 v0, 32, v0
	v_subrev_nc_u32_e32 v11, 28, v0
	v_sub_nc_u32_e32 v0, 29, v0
	v_lshlrev_b64 v[11:12], v11, v[1:2]
	v_and_b32_e32 v1, 7, v11
; %bb.374:                              ;   in Loop: Header=BB338_9 Depth=1
	s_or_b32 exec_lo, exec_lo, s33
	v_lshlrev_b32_e32 v11, 16, v10
	v_lshlrev_b32_e32 v1, 20, v1
	v_lshl_add_u32 v0, v0, 23, 0x3c000000
	v_and_b32_e32 v11, 0x80000000, v11
	v_or3_b32 v11, v1, v11, v0
.LBB338_375:                            ;   in Loop: Header=BB338_9 Depth=1
	s_or_b32 exec_lo, exec_lo, s31
.LBB338_376:                            ;   in Loop: Header=BB338_9 Depth=1
	s_or_b32 exec_lo, exec_lo, s17
.LBB338_377:                            ;   in Loop: Header=BB338_9 Depth=1
	s_or_b32 exec_lo, exec_lo, s3
	v_and_b32_sdwa v1, v10, v82 dst_sel:DWORD dst_unused:UNUSED_PAD src0_sel:WORD_1 src1_sel:DWORD
	v_mov_b32_e32 v40, 0
	v_mov_b32_e32 v0, 0
	s_mov_b32 s3, exec_lo
	v_cmpx_ne_u16_e32 0, v1
	s_cbranch_execz .LBB338_385
; %bb.378:                              ;   in Loop: Header=BB338_9 Depth=1
	v_bfrev_b32_e32 v0, 1
	s_mov_b32 s17, exec_lo
	v_cmpx_ne_u16_e32 0x80, v1
	s_cbranch_execz .LBB338_384
; %bb.379:                              ;   in Loop: Header=BB338_9 Depth=1
	v_bfe_u32 v12, v10, 16, 7
	v_mov_b32_e32 v0, 0x7f800001
	s_mov_b32 s31, exec_lo
	v_cmpx_ne_u32_e32 0x7f, v12
	s_cbranch_execz .LBB338_383
; %bb.380:                              ;   in Loop: Header=BB338_9 Depth=1
	v_and_b32_sdwa v1, v10, v83 dst_sel:DWORD dst_unused:UNUSED_PAD src0_sel:WORD_1 src1_sel:DWORD
	v_lshrrev_b32_e32 v0, 3, v12
	s_mov_b32 s33, exec_lo
	v_cmpx_gt_u32_e32 8, v12
; %bb.381:                              ;   in Loop: Header=BB338_9 Depth=1
	v_ffbh_u32_e32 v0, v1
	v_min_u32_e32 v0, 32, v0
	v_subrev_nc_u32_e32 v12, 28, v0
	v_sub_nc_u32_e32 v0, 29, v0
	v_lshlrev_b64 v[12:13], v12, v[1:2]
	v_and_b32_e32 v1, 7, v12
; %bb.382:                              ;   in Loop: Header=BB338_9 Depth=1
	s_or_b32 exec_lo, exec_lo, s33
	v_lshlrev_b32_sdwa v12, v84, v10 dst_sel:DWORD dst_unused:UNUSED_PAD src0_sel:DWORD src1_sel:WORD_1
	v_lshlrev_b32_e32 v1, 20, v1
	v_lshl_add_u32 v0, v0, 23, 0x3c000000
	v_and_b32_e32 v12, 0x80000000, v12
	v_or3_b32 v0, v1, v12, v0
.LBB338_383:                            ;   in Loop: Header=BB338_9 Depth=1
	s_or_b32 exec_lo, exec_lo, s31
.LBB338_384:                            ;   in Loop: Header=BB338_9 Depth=1
	s_or_b32 exec_lo, exec_lo, s17
.LBB338_385:                            ;   in Loop: Header=BB338_9 Depth=1
	s_or_b32 exec_lo, exec_lo, s3
	s_mov_b32 s3, exec_lo
	v_cmpx_lt_u32_e32 0xffffff, v10
	s_cbranch_execz .LBB338_393
; %bb.386:                              ;   in Loop: Header=BB338_9 Depth=1
	v_cmp_ne_u32_sdwa s2, v10, v80 src0_sel:BYTE_3 src1_sel:DWORD
	v_bfrev_b32_e32 v40, 1
	s_and_saveexec_b32 s17, s2
	s_cbranch_execz .LBB338_392
; %bb.387:                              ;   in Loop: Header=BB338_9 Depth=1
	v_bfe_u32 v13, v10, 24, 7
	v_mov_b32_e32 v40, 0x7f800001
	s_mov_b32 s31, exec_lo
	v_cmpx_ne_u32_e32 0x7f, v13
	s_cbranch_execz .LBB338_391
; %bb.388:                              ;   in Loop: Header=BB338_9 Depth=1
	v_and_b32_sdwa v1, v10, v83 dst_sel:DWORD dst_unused:UNUSED_PAD src0_sel:BYTE_3 src1_sel:DWORD
	v_lshrrev_b32_e32 v12, 3, v13
	s_mov_b32 s33, exec_lo
	v_cmpx_gt_u32_e32 8, v13
; %bb.389:                              ;   in Loop: Header=BB338_9 Depth=1
	v_ffbh_u32_e32 v12, v1
	v_min_u32_e32 v12, 32, v12
	v_subrev_nc_u32_e32 v13, 28, v12
	v_sub_nc_u32_e32 v12, 29, v12
	v_lshlrev_b64 v[13:14], v13, v[1:2]
	v_and_b32_e32 v1, 7, v13
; %bb.390:                              ;   in Loop: Header=BB338_9 Depth=1
	s_or_b32 exec_lo, exec_lo, s33
	v_lshlrev_b32_sdwa v10, v84, v10 dst_sel:DWORD dst_unused:UNUSED_PAD src0_sel:DWORD src1_sel:BYTE_3
	v_lshlrev_b32_e32 v1, 20, v1
	v_lshl_add_u32 v12, v12, 23, 0x3c000000
	v_and_b32_e32 v10, 0x80000000, v10
	v_or3_b32 v40, v1, v10, v12
.LBB338_391:                            ;   in Loop: Header=BB338_9 Depth=1
	s_or_b32 exec_lo, exec_lo, s31
.LBB338_392:                            ;   in Loop: Header=BB338_9 Depth=1
	s_or_b32 exec_lo, exec_lo, s17
.LBB338_393:                            ;   in Loop: Header=BB338_9 Depth=1
	s_or_b32 exec_lo, exec_lo, s3
	global_load_dword v10, v[7:8], off offset:1536
	v_mov_b32_e32 v15, 0
	v_mov_b32_e32 v16, 0
	s_waitcnt vmcnt(0)
	v_cmp_ne_u16_sdwa s2, v10, v2 src0_sel:BYTE_0 src1_sel:DWORD
	s_and_saveexec_b32 s3, s2
	s_cbranch_execz .LBB338_401
; %bb.394:                              ;   in Loop: Header=BB338_9 Depth=1
	v_cmp_ne_u16_sdwa s2, v10, v80 src0_sel:BYTE_0 src1_sel:DWORD
	v_bfrev_b32_e32 v16, 1
	s_and_saveexec_b32 s17, s2
	s_cbranch_execz .LBB338_400
; %bb.395:                              ;   in Loop: Header=BB338_9 Depth=1
	v_and_b32_e32 v13, 0x7f, v10
	v_mov_b32_e32 v16, 0x7f800001
	s_mov_b32 s31, exec_lo
	v_cmpx_ne_u32_e32 0x7f, v13
	s_cbranch_execz .LBB338_399
; %bb.396:                              ;   in Loop: Header=BB338_9 Depth=1
	v_and_b32_e32 v1, 7, v10
	v_lshrrev_b32_e32 v12, 3, v13
	s_mov_b32 s33, exec_lo
	v_cmpx_gt_u32_e32 8, v13
; %bb.397:                              ;   in Loop: Header=BB338_9 Depth=1
	v_ffbh_u32_e32 v12, v1
	v_min_u32_e32 v12, 32, v12
	v_subrev_nc_u32_e32 v13, 28, v12
	v_sub_nc_u32_e32 v12, 29, v12
	v_lshlrev_b64 v[13:14], v13, v[1:2]
	v_and_b32_e32 v1, 7, v13
; %bb.398:                              ;   in Loop: Header=BB338_9 Depth=1
	s_or_b32 exec_lo, exec_lo, s33
	v_lshlrev_b32_e32 v13, 24, v10
	v_lshlrev_b32_e32 v1, 20, v1
	v_lshl_add_u32 v12, v12, 23, 0x3c000000
	v_and_b32_e32 v13, 0x80000000, v13
	v_or3_b32 v16, v1, v13, v12
.LBB338_399:                            ;   in Loop: Header=BB338_9 Depth=1
	s_or_b32 exec_lo, exec_lo, s31
.LBB338_400:                            ;   in Loop: Header=BB338_9 Depth=1
	s_or_b32 exec_lo, exec_lo, s17
.LBB338_401:                            ;   in Loop: Header=BB338_9 Depth=1
	s_or_b32 exec_lo, exec_lo, s3
	v_cmp_ne_u16_sdwa s2, v10, v2 src0_sel:BYTE_1 src1_sel:DWORD
	s_and_saveexec_b32 s3, s2
	s_cbranch_execz .LBB338_409
; %bb.402:                              ;   in Loop: Header=BB338_9 Depth=1
	v_cmp_ne_u16_sdwa s2, v10, v80 src0_sel:BYTE_1 src1_sel:DWORD
	v_bfrev_b32_e32 v15, 1
	s_and_saveexec_b32 s17, s2
	s_cbranch_execz .LBB338_408
; %bb.403:                              ;   in Loop: Header=BB338_9 Depth=1
	v_and_b32_sdwa v1, v81, v10 dst_sel:DWORD dst_unused:UNUSED_PAD src0_sel:DWORD src1_sel:BYTE_1
	v_mov_b32_e32 v15, 0x7f800001
	s_mov_b32 s31, exec_lo
	v_and_b32_e32 v13, 0x7f, v1
	v_cmpx_ne_u32_e32 0x7f, v13
	s_cbranch_execz .LBB338_407
; %bb.404:                              ;   in Loop: Header=BB338_9 Depth=1
	v_and_b32_e32 v1, 7, v1
	v_lshrrev_b32_e32 v12, 3, v13
	s_mov_b32 s33, exec_lo
	v_cmpx_gt_u32_e32 8, v13
; %bb.405:                              ;   in Loop: Header=BB338_9 Depth=1
	v_ffbh_u32_e32 v12, v1
	v_min_u32_e32 v12, 32, v12
	v_subrev_nc_u32_e32 v13, 28, v12
	v_sub_nc_u32_e32 v12, 29, v12
	v_lshlrev_b64 v[13:14], v13, v[1:2]
	v_and_b32_e32 v1, 7, v13
; %bb.406:                              ;   in Loop: Header=BB338_9 Depth=1
	s_or_b32 exec_lo, exec_lo, s33
	v_lshlrev_b32_e32 v13, 16, v10
	v_lshlrev_b32_e32 v1, 20, v1
	v_lshl_add_u32 v12, v12, 23, 0x3c000000
	v_and_b32_e32 v13, 0x80000000, v13
	v_or3_b32 v15, v1, v13, v12
.LBB338_407:                            ;   in Loop: Header=BB338_9 Depth=1
	s_or_b32 exec_lo, exec_lo, s31
.LBB338_408:                            ;   in Loop: Header=BB338_9 Depth=1
	s_or_b32 exec_lo, exec_lo, s17
.LBB338_409:                            ;   in Loop: Header=BB338_9 Depth=1
	s_or_b32 exec_lo, exec_lo, s3
	v_and_b32_sdwa v1, v10, v82 dst_sel:DWORD dst_unused:UNUSED_PAD src0_sel:WORD_1 src1_sel:DWORD
	v_mov_b32_e32 v14, 0
	v_mov_b32_e32 v13, 0
	s_mov_b32 s3, exec_lo
	v_cmpx_ne_u16_e32 0, v1
	s_cbranch_execz .LBB338_417
; %bb.410:                              ;   in Loop: Header=BB338_9 Depth=1
	v_bfrev_b32_e32 v13, 1
	s_mov_b32 s17, exec_lo
	v_cmpx_ne_u16_e32 0x80, v1
	s_cbranch_execz .LBB338_416
; %bb.411:                              ;   in Loop: Header=BB338_9 Depth=1
	v_bfe_u32 v17, v10, 16, 7
	v_mov_b32_e32 v13, 0x7f800001
	s_mov_b32 s31, exec_lo
	v_cmpx_ne_u32_e32 0x7f, v17
	s_cbranch_execz .LBB338_415
; %bb.412:                              ;   in Loop: Header=BB338_9 Depth=1
	v_and_b32_sdwa v1, v10, v83 dst_sel:DWORD dst_unused:UNUSED_PAD src0_sel:WORD_1 src1_sel:DWORD
	v_lshrrev_b32_e32 v12, 3, v17
	s_mov_b32 s33, exec_lo
	v_cmpx_gt_u32_e32 8, v17
; %bb.413:                              ;   in Loop: Header=BB338_9 Depth=1
	v_ffbh_u32_e32 v12, v1
	v_min_u32_e32 v12, 32, v12
	v_subrev_nc_u32_e32 v13, 28, v12
	v_sub_nc_u32_e32 v12, 29, v12
	v_lshlrev_b64 v[17:18], v13, v[1:2]
	v_and_b32_e32 v1, 7, v17
; %bb.414:                              ;   in Loop: Header=BB338_9 Depth=1
	s_or_b32 exec_lo, exec_lo, s33
	v_lshlrev_b32_sdwa v13, v84, v10 dst_sel:DWORD dst_unused:UNUSED_PAD src0_sel:DWORD src1_sel:WORD_1
	v_lshlrev_b32_e32 v1, 20, v1
	v_lshl_add_u32 v12, v12, 23, 0x3c000000
	v_and_b32_e32 v13, 0x80000000, v13
	v_or3_b32 v13, v1, v13, v12
.LBB338_415:                            ;   in Loop: Header=BB338_9 Depth=1
	s_or_b32 exec_lo, exec_lo, s31
.LBB338_416:                            ;   in Loop: Header=BB338_9 Depth=1
	s_or_b32 exec_lo, exec_lo, s17
.LBB338_417:                            ;   in Loop: Header=BB338_9 Depth=1
	s_or_b32 exec_lo, exec_lo, s3
	s_mov_b32 s3, exec_lo
	v_cmpx_lt_u32_e32 0xffffff, v10
	s_cbranch_execz .LBB338_425
; %bb.418:                              ;   in Loop: Header=BB338_9 Depth=1
	v_cmp_ne_u32_sdwa s2, v10, v80 src0_sel:BYTE_3 src1_sel:DWORD
	v_bfrev_b32_e32 v14, 1
	s_and_saveexec_b32 s17, s2
	s_cbranch_execz .LBB338_424
; %bb.419:                              ;   in Loop: Header=BB338_9 Depth=1
	v_bfe_u32 v17, v10, 24, 7
	v_mov_b32_e32 v14, 0x7f800001
	s_mov_b32 s31, exec_lo
	v_cmpx_ne_u32_e32 0x7f, v17
	s_cbranch_execz .LBB338_423
; %bb.420:                              ;   in Loop: Header=BB338_9 Depth=1
	v_and_b32_sdwa v1, v10, v83 dst_sel:DWORD dst_unused:UNUSED_PAD src0_sel:BYTE_3 src1_sel:DWORD
	v_lshrrev_b32_e32 v12, 3, v17
	s_mov_b32 s33, exec_lo
	v_cmpx_gt_u32_e32 8, v17
; %bb.421:                              ;   in Loop: Header=BB338_9 Depth=1
	v_ffbh_u32_e32 v12, v1
	v_min_u32_e32 v12, 32, v12
	v_subrev_nc_u32_e32 v14, 28, v12
	v_sub_nc_u32_e32 v12, 29, v12
	v_lshlrev_b64 v[17:18], v14, v[1:2]
	v_and_b32_e32 v1, 7, v17
; %bb.422:                              ;   in Loop: Header=BB338_9 Depth=1
	s_or_b32 exec_lo, exec_lo, s33
	v_lshlrev_b32_sdwa v10, v84, v10 dst_sel:DWORD dst_unused:UNUSED_PAD src0_sel:DWORD src1_sel:BYTE_3
	v_lshlrev_b32_e32 v1, 20, v1
	v_lshl_add_u32 v12, v12, 23, 0x3c000000
	v_and_b32_e32 v10, 0x80000000, v10
	v_or3_b32 v14, v1, v10, v12
.LBB338_423:                            ;   in Loop: Header=BB338_9 Depth=1
	s_or_b32 exec_lo, exec_lo, s31
.LBB338_424:                            ;   in Loop: Header=BB338_9 Depth=1
	s_or_b32 exec_lo, exec_lo, s17
.LBB338_425:                            ;   in Loop: Header=BB338_9 Depth=1
	s_or_b32 exec_lo, exec_lo, s3
	global_load_dword v17, v[7:8], off offset:1544
	v_mov_b32_e32 v10, 0
	v_mov_b32_e32 v12, 0
	s_waitcnt vmcnt(0)
	v_cmp_ne_u16_sdwa s2, v17, v2 src0_sel:BYTE_0 src1_sel:DWORD
	s_and_saveexec_b32 s3, s2
	s_cbranch_execz .LBB338_433
; %bb.426:                              ;   in Loop: Header=BB338_9 Depth=1
	v_cmp_ne_u16_sdwa s2, v17, v80 src0_sel:BYTE_0 src1_sel:DWORD
	v_bfrev_b32_e32 v12, 1
	s_and_saveexec_b32 s17, s2
	s_cbranch_execz .LBB338_432
; %bb.427:                              ;   in Loop: Header=BB338_9 Depth=1
	v_and_b32_e32 v18, 0x7f, v17
	v_mov_b32_e32 v12, 0x7f800001
	s_mov_b32 s31, exec_lo
	v_cmpx_ne_u32_e32 0x7f, v18
	s_cbranch_execz .LBB338_431
; %bb.428:                              ;   in Loop: Header=BB338_9 Depth=1
	v_and_b32_e32 v1, 7, v17
	v_lshrrev_b32_e32 v12, 3, v18
	s_mov_b32 s33, exec_lo
	v_cmpx_gt_u32_e32 8, v18
; %bb.429:                              ;   in Loop: Header=BB338_9 Depth=1
	v_ffbh_u32_e32 v12, v1
	v_min_u32_e32 v12, 32, v12
	v_subrev_nc_u32_e32 v18, 28, v12
	v_sub_nc_u32_e32 v12, 29, v12
	v_lshlrev_b64 v[18:19], v18, v[1:2]
	v_and_b32_e32 v1, 7, v18
; %bb.430:                              ;   in Loop: Header=BB338_9 Depth=1
	s_or_b32 exec_lo, exec_lo, s33
	v_lshlrev_b32_e32 v18, 24, v17
	v_lshlrev_b32_e32 v1, 20, v1
	v_lshl_add_u32 v12, v12, 23, 0x3c000000
	v_and_b32_e32 v18, 0x80000000, v18
	v_or3_b32 v12, v1, v18, v12
.LBB338_431:                            ;   in Loop: Header=BB338_9 Depth=1
	s_or_b32 exec_lo, exec_lo, s31
.LBB338_432:                            ;   in Loop: Header=BB338_9 Depth=1
	s_or_b32 exec_lo, exec_lo, s17
.LBB338_433:                            ;   in Loop: Header=BB338_9 Depth=1
	s_or_b32 exec_lo, exec_lo, s3
	v_cmp_ne_u16_sdwa s2, v17, v2 src0_sel:BYTE_1 src1_sel:DWORD
	s_and_saveexec_b32 s3, s2
	s_cbranch_execz .LBB338_441
; %bb.434:                              ;   in Loop: Header=BB338_9 Depth=1
	v_cmp_ne_u16_sdwa s2, v17, v80 src0_sel:BYTE_1 src1_sel:DWORD
	v_bfrev_b32_e32 v10, 1
	s_and_saveexec_b32 s17, s2
	s_cbranch_execz .LBB338_440
; %bb.435:                              ;   in Loop: Header=BB338_9 Depth=1
	v_and_b32_sdwa v1, v81, v17 dst_sel:DWORD dst_unused:UNUSED_PAD src0_sel:DWORD src1_sel:BYTE_1
	v_mov_b32_e32 v10, 0x7f800001
	s_mov_b32 s31, exec_lo
	v_and_b32_e32 v18, 0x7f, v1
	v_cmpx_ne_u32_e32 0x7f, v18
	s_cbranch_execz .LBB338_439
; %bb.436:                              ;   in Loop: Header=BB338_9 Depth=1
	v_and_b32_e32 v1, 7, v1
	v_lshrrev_b32_e32 v10, 3, v18
	s_mov_b32 s33, exec_lo
	v_cmpx_gt_u32_e32 8, v18
; %bb.437:                              ;   in Loop: Header=BB338_9 Depth=1
	v_ffbh_u32_e32 v10, v1
	v_min_u32_e32 v10, 32, v10
	v_subrev_nc_u32_e32 v18, 28, v10
	v_sub_nc_u32_e32 v10, 29, v10
	v_lshlrev_b64 v[18:19], v18, v[1:2]
	v_and_b32_e32 v1, 7, v18
; %bb.438:                              ;   in Loop: Header=BB338_9 Depth=1
	s_or_b32 exec_lo, exec_lo, s33
	v_lshlrev_b32_e32 v18, 16, v17
	v_lshlrev_b32_e32 v1, 20, v1
	v_lshl_add_u32 v10, v10, 23, 0x3c000000
	v_and_b32_e32 v18, 0x80000000, v18
	v_or3_b32 v10, v1, v18, v10
.LBB338_439:                            ;   in Loop: Header=BB338_9 Depth=1
	s_or_b32 exec_lo, exec_lo, s31
.LBB338_440:                            ;   in Loop: Header=BB338_9 Depth=1
	s_or_b32 exec_lo, exec_lo, s17
.LBB338_441:                            ;   in Loop: Header=BB338_9 Depth=1
	s_or_b32 exec_lo, exec_lo, s3
	v_and_b32_sdwa v1, v17, v82 dst_sel:DWORD dst_unused:UNUSED_PAD src0_sel:WORD_1 src1_sel:DWORD
	v_mov_b32_e32 v21, 0
	v_mov_b32_e32 v19, 0
	s_mov_b32 s3, exec_lo
	v_cmpx_ne_u16_e32 0, v1
	s_cbranch_execz .LBB338_449
; %bb.442:                              ;   in Loop: Header=BB338_9 Depth=1
	v_bfrev_b32_e32 v19, 1
	s_mov_b32 s17, exec_lo
	v_cmpx_ne_u16_e32 0x80, v1
	s_cbranch_execz .LBB338_448
; %bb.443:                              ;   in Loop: Header=BB338_9 Depth=1
	v_bfe_u32 v20, v17, 16, 7
	v_mov_b32_e32 v19, 0x7f800001
	s_mov_b32 s31, exec_lo
	v_cmpx_ne_u32_e32 0x7f, v20
	s_cbranch_execz .LBB338_447
; %bb.444:                              ;   in Loop: Header=BB338_9 Depth=1
	v_and_b32_sdwa v1, v17, v83 dst_sel:DWORD dst_unused:UNUSED_PAD src0_sel:WORD_1 src1_sel:DWORD
	v_lshrrev_b32_e32 v18, 3, v20
	s_mov_b32 s33, exec_lo
	v_cmpx_gt_u32_e32 8, v20
; %bb.445:                              ;   in Loop: Header=BB338_9 Depth=1
	v_ffbh_u32_e32 v18, v1
	v_min_u32_e32 v18, 32, v18
	v_subrev_nc_u32_e32 v19, 28, v18
	v_sub_nc_u32_e32 v18, 29, v18
	v_lshlrev_b64 v[19:20], v19, v[1:2]
	v_and_b32_e32 v1, 7, v19
; %bb.446:                              ;   in Loop: Header=BB338_9 Depth=1
	s_or_b32 exec_lo, exec_lo, s33
	v_lshlrev_b32_sdwa v19, v84, v17 dst_sel:DWORD dst_unused:UNUSED_PAD src0_sel:DWORD src1_sel:WORD_1
	v_lshlrev_b32_e32 v1, 20, v1
	v_lshl_add_u32 v18, v18, 23, 0x3c000000
	v_and_b32_e32 v19, 0x80000000, v19
	v_or3_b32 v19, v1, v19, v18
.LBB338_447:                            ;   in Loop: Header=BB338_9 Depth=1
	s_or_b32 exec_lo, exec_lo, s31
.LBB338_448:                            ;   in Loop: Header=BB338_9 Depth=1
	s_or_b32 exec_lo, exec_lo, s17
.LBB338_449:                            ;   in Loop: Header=BB338_9 Depth=1
	s_or_b32 exec_lo, exec_lo, s3
	s_mov_b32 s3, exec_lo
	v_cmpx_lt_u32_e32 0xffffff, v17
	s_cbranch_execz .LBB338_457
; %bb.450:                              ;   in Loop: Header=BB338_9 Depth=1
	v_cmp_ne_u32_sdwa s2, v17, v80 src0_sel:BYTE_3 src1_sel:DWORD
	v_bfrev_b32_e32 v21, 1
	s_and_saveexec_b32 s17, s2
	s_cbranch_execz .LBB338_456
; %bb.451:                              ;   in Loop: Header=BB338_9 Depth=1
	v_bfe_u32 v20, v17, 24, 7
	v_mov_b32_e32 v21, 0x7f800001
	s_mov_b32 s31, exec_lo
	v_cmpx_ne_u32_e32 0x7f, v20
	s_cbranch_execz .LBB338_455
; %bb.452:                              ;   in Loop: Header=BB338_9 Depth=1
	v_and_b32_sdwa v1, v17, v83 dst_sel:DWORD dst_unused:UNUSED_PAD src0_sel:BYTE_3 src1_sel:DWORD
	v_lshrrev_b32_e32 v18, 3, v20
	s_mov_b32 s33, exec_lo
	v_cmpx_gt_u32_e32 8, v20
; %bb.453:                              ;   in Loop: Header=BB338_9 Depth=1
	v_ffbh_u32_e32 v18, v1
	v_min_u32_e32 v18, 32, v18
	v_subrev_nc_u32_e32 v20, 28, v18
	v_sub_nc_u32_e32 v18, 29, v18
	v_lshlrev_b64 v[20:21], v20, v[1:2]
	v_and_b32_e32 v1, 7, v20
; %bb.454:                              ;   in Loop: Header=BB338_9 Depth=1
	s_or_b32 exec_lo, exec_lo, s33
	v_lshlrev_b32_sdwa v17, v84, v17 dst_sel:DWORD dst_unused:UNUSED_PAD src0_sel:DWORD src1_sel:BYTE_3
	v_lshlrev_b32_e32 v1, 20, v1
	v_lshl_add_u32 v18, v18, 23, 0x3c000000
	v_and_b32_e32 v17, 0x80000000, v17
	v_or3_b32 v21, v1, v17, v18
.LBB338_455:                            ;   in Loop: Header=BB338_9 Depth=1
	s_or_b32 exec_lo, exec_lo, s31
.LBB338_456:                            ;   in Loop: Header=BB338_9 Depth=1
	s_or_b32 exec_lo, exec_lo, s17
.LBB338_457:                            ;   in Loop: Header=BB338_9 Depth=1
	s_or_b32 exec_lo, exec_lo, s3
	global_load_dword v7, v[7:8], off offset:1792
	v_mov_b32_e32 v20, 0
	v_mov_b32_e32 v8, 0
	s_waitcnt vmcnt(0)
	v_cmp_ne_u16_sdwa s2, v7, v2 src0_sel:BYTE_0 src1_sel:DWORD
	s_and_saveexec_b32 s3, s2
	s_cbranch_execz .LBB338_465
; %bb.458:                              ;   in Loop: Header=BB338_9 Depth=1
	v_cmp_ne_u16_sdwa s2, v7, v80 src0_sel:BYTE_0 src1_sel:DWORD
	v_bfrev_b32_e32 v8, 1
	s_and_saveexec_b32 s17, s2
	s_cbranch_execz .LBB338_464
; %bb.459:                              ;   in Loop: Header=BB338_9 Depth=1
	v_and_b32_e32 v17, 0x7f, v7
	v_mov_b32_e32 v8, 0x7f800001
	s_mov_b32 s31, exec_lo
	v_cmpx_ne_u32_e32 0x7f, v17
	s_cbranch_execz .LBB338_463
; %bb.460:                              ;   in Loop: Header=BB338_9 Depth=1
	v_and_b32_e32 v1, 7, v7
	v_lshrrev_b32_e32 v8, 3, v17
	s_mov_b32 s33, exec_lo
	v_cmpx_gt_u32_e32 8, v17
; %bb.461:                              ;   in Loop: Header=BB338_9 Depth=1
	v_ffbh_u32_e32 v8, v1
	v_min_u32_e32 v8, 32, v8
	v_subrev_nc_u32_e32 v17, 28, v8
	v_sub_nc_u32_e32 v8, 29, v8
	v_lshlrev_b64 v[17:18], v17, v[1:2]
	v_and_b32_e32 v1, 7, v17
; %bb.462:                              ;   in Loop: Header=BB338_9 Depth=1
	s_or_b32 exec_lo, exec_lo, s33
	v_lshlrev_b32_e32 v17, 24, v7
	v_lshlrev_b32_e32 v1, 20, v1
	v_lshl_add_u32 v8, v8, 23, 0x3c000000
	v_and_b32_e32 v17, 0x80000000, v17
	v_or3_b32 v8, v1, v17, v8
.LBB338_463:                            ;   in Loop: Header=BB338_9 Depth=1
	s_or_b32 exec_lo, exec_lo, s31
.LBB338_464:                            ;   in Loop: Header=BB338_9 Depth=1
	s_or_b32 exec_lo, exec_lo, s17
.LBB338_465:                            ;   in Loop: Header=BB338_9 Depth=1
	s_or_b32 exec_lo, exec_lo, s3
	v_cmp_ne_u16_sdwa s2, v7, v2 src0_sel:BYTE_1 src1_sel:DWORD
	s_and_saveexec_b32 s3, s2
	s_cbranch_execz .LBB338_473
; %bb.466:                              ;   in Loop: Header=BB338_9 Depth=1
	v_cmp_ne_u16_sdwa s2, v7, v80 src0_sel:BYTE_1 src1_sel:DWORD
	v_bfrev_b32_e32 v20, 1
	s_and_saveexec_b32 s17, s2
	s_cbranch_execz .LBB338_472
; %bb.467:                              ;   in Loop: Header=BB338_9 Depth=1
	v_and_b32_sdwa v1, v81, v7 dst_sel:DWORD dst_unused:UNUSED_PAD src0_sel:DWORD src1_sel:BYTE_1
	v_mov_b32_e32 v20, 0x7f800001
	s_mov_b32 s31, exec_lo
	v_and_b32_e32 v18, 0x7f, v1
	v_cmpx_ne_u32_e32 0x7f, v18
	s_cbranch_execz .LBB338_471
; %bb.468:                              ;   in Loop: Header=BB338_9 Depth=1
	v_and_b32_e32 v1, 7, v1
	v_lshrrev_b32_e32 v17, 3, v18
	s_mov_b32 s33, exec_lo
	v_cmpx_gt_u32_e32 8, v18
; %bb.469:                              ;   in Loop: Header=BB338_9 Depth=1
	v_ffbh_u32_e32 v17, v1
	v_min_u32_e32 v17, 32, v17
	v_subrev_nc_u32_e32 v18, 28, v17
	v_sub_nc_u32_e32 v17, 29, v17
	v_lshlrev_b64 v[24:25], v18, v[1:2]
	v_and_b32_e32 v1, 7, v24
; %bb.470:                              ;   in Loop: Header=BB338_9 Depth=1
	s_or_b32 exec_lo, exec_lo, s33
	v_lshlrev_b32_e32 v18, 16, v7
	v_lshlrev_b32_e32 v1, 20, v1
	v_lshl_add_u32 v17, v17, 23, 0x3c000000
	v_and_b32_e32 v18, 0x80000000, v18
	v_or3_b32 v20, v1, v18, v17
.LBB338_471:                            ;   in Loop: Header=BB338_9 Depth=1
	s_or_b32 exec_lo, exec_lo, s31
.LBB338_472:                            ;   in Loop: Header=BB338_9 Depth=1
	s_or_b32 exec_lo, exec_lo, s17
.LBB338_473:                            ;   in Loop: Header=BB338_9 Depth=1
	s_or_b32 exec_lo, exec_lo, s3
	v_and_b32_sdwa v1, v7, v82 dst_sel:DWORD dst_unused:UNUSED_PAD src0_sel:WORD_1 src1_sel:DWORD
	v_mov_b32_e32 v17, 0
	v_mov_b32_e32 v18, 0
	s_mov_b32 s3, exec_lo
	v_cmpx_ne_u16_e32 0, v1
	s_cbranch_execz .LBB338_481
; %bb.474:                              ;   in Loop: Header=BB338_9 Depth=1
	v_bfrev_b32_e32 v18, 1
	s_mov_b32 s17, exec_lo
	v_cmpx_ne_u16_e32 0x80, v1
	s_cbranch_execz .LBB338_480
; %bb.475:                              ;   in Loop: Header=BB338_9 Depth=1
	v_bfe_u32 v24, v7, 16, 7
	v_mov_b32_e32 v18, 0x7f800001
	s_mov_b32 s31, exec_lo
	v_cmpx_ne_u32_e32 0x7f, v24
	s_cbranch_execz .LBB338_479
; %bb.476:                              ;   in Loop: Header=BB338_9 Depth=1
	v_and_b32_sdwa v1, v7, v83 dst_sel:DWORD dst_unused:UNUSED_PAD src0_sel:WORD_1 src1_sel:DWORD
	v_lshrrev_b32_e32 v18, 3, v24
	s_mov_b32 s33, exec_lo
	v_cmpx_gt_u32_e32 8, v24
; %bb.477:                              ;   in Loop: Header=BB338_9 Depth=1
	v_ffbh_u32_e32 v18, v1
	v_min_u32_e32 v18, 32, v18
	v_subrev_nc_u32_e32 v24, 28, v18
	v_sub_nc_u32_e32 v18, 29, v18
	v_lshlrev_b64 v[24:25], v24, v[1:2]
	v_and_b32_e32 v1, 7, v24
; %bb.478:                              ;   in Loop: Header=BB338_9 Depth=1
	s_or_b32 exec_lo, exec_lo, s33
	v_lshlrev_b32_sdwa v24, v84, v7 dst_sel:DWORD dst_unused:UNUSED_PAD src0_sel:DWORD src1_sel:WORD_1
	v_lshlrev_b32_e32 v1, 20, v1
	v_lshl_add_u32 v18, v18, 23, 0x3c000000
	v_and_b32_e32 v24, 0x80000000, v24
	v_or3_b32 v18, v1, v24, v18
.LBB338_479:                            ;   in Loop: Header=BB338_9 Depth=1
	s_or_b32 exec_lo, exec_lo, s31
.LBB338_480:                            ;   in Loop: Header=BB338_9 Depth=1
	s_or_b32 exec_lo, exec_lo, s17
.LBB338_481:                            ;   in Loop: Header=BB338_9 Depth=1
	s_or_b32 exec_lo, exec_lo, s3
	s_mov_b32 s3, exec_lo
	v_cmpx_lt_u32_e32 0xffffff, v7
	s_cbranch_execz .LBB338_489
; %bb.482:                              ;   in Loop: Header=BB338_9 Depth=1
	v_cmp_ne_u32_sdwa s2, v7, v80 src0_sel:BYTE_3 src1_sel:DWORD
	v_bfrev_b32_e32 v17, 1
	s_and_saveexec_b32 s17, s2
	s_cbranch_execz .LBB338_488
; %bb.483:                              ;   in Loop: Header=BB338_9 Depth=1
	v_bfe_u32 v24, v7, 24, 7
	v_mov_b32_e32 v17, 0x7f800001
	s_mov_b32 s31, exec_lo
	v_cmpx_ne_u32_e32 0x7f, v24
	s_cbranch_execz .LBB338_487
; %bb.484:                              ;   in Loop: Header=BB338_9 Depth=1
	v_and_b32_sdwa v1, v7, v83 dst_sel:DWORD dst_unused:UNUSED_PAD src0_sel:BYTE_3 src1_sel:DWORD
	v_lshrrev_b32_e32 v17, 3, v24
	s_mov_b32 s33, exec_lo
	v_cmpx_gt_u32_e32 8, v24
; %bb.485:                              ;   in Loop: Header=BB338_9 Depth=1
	v_ffbh_u32_e32 v17, v1
	v_min_u32_e32 v17, 32, v17
	v_subrev_nc_u32_e32 v24, 28, v17
	v_sub_nc_u32_e32 v17, 29, v17
	v_lshlrev_b64 v[24:25], v24, v[1:2]
	v_and_b32_e32 v1, 7, v24
; %bb.486:                              ;   in Loop: Header=BB338_9 Depth=1
	s_or_b32 exec_lo, exec_lo, s33
	v_lshlrev_b32_sdwa v7, v84, v7 dst_sel:DWORD dst_unused:UNUSED_PAD src0_sel:DWORD src1_sel:BYTE_3
	v_lshlrev_b32_e32 v1, 20, v1
	v_lshl_add_u32 v17, v17, 23, 0x3c000000
	v_and_b32_e32 v7, 0x80000000, v7
	v_or3_b32 v17, v1, v7, v17
.LBB338_487:                            ;   in Loop: Header=BB338_9 Depth=1
	s_or_b32 exec_lo, exec_lo, s31
.LBB338_488:                            ;   in Loop: Header=BB338_9 Depth=1
	s_or_b32 exec_lo, exec_lo, s17
.LBB338_489:                            ;   in Loop: Header=BB338_9 Depth=1
	s_or_b32 exec_lo, exec_lo, s3
	v_mul_f32_e32 v1, s4, v20
	v_mul_f32_e32 v10, s4, v10
	;; [unrolled: 1-line block ×5, first 2 shown]
	v_bfe_u32 v7, v1, 16, 1
	v_or_b32_e32 v20, 0x400000, v1
	v_cmp_u_f32_e64 s2, v1, v1
	v_mul_f32_e32 v15, s4, v15
	v_mul_f32_e32 v16, s4, v16
	v_add3_u32 v7, v7, v1, 0x7fff
	v_mul_f32_e32 v0, s4, v0
	v_mul_f32_e32 v11, s4, v11
	;; [unrolled: 1-line block ×4, first 2 shown]
	v_cndmask_b32_e64 v1, v7, v20, s2
	v_mul_f32_e32 v7, s4, v8
	v_mul_f32_e32 v92, s4, v92
	v_mul_f32_e32 v91, s4, v91
	v_mul_f32_e32 v90, s4, v90
	v_mul_f32_e32 v89, s4, v89
	v_bfe_u32 v8, v7, 16, 1
	v_or_b32_e32 v20, 0x400000, v7
	v_cmp_u_f32_e64 s2, v7, v7
	v_mul_f32_e32 v88, s4, v88
	v_mul_f32_e32 v87, s4, v87
	v_add3_u32 v8, v8, v7, 0x7fff
	v_mul_f32_e32 v86, s4, v86
	v_mul_f32_e32 v18, s4, v18
	;; [unrolled: 1-line block ×3, first 2 shown]
	v_cndmask_b32_e64 v7, v8, v20, s2
	v_mul_f32_e32 v8, s4, v19
	v_bfe_u32 v19, v8, 16, 1
	v_or_b32_e32 v20, 0x400000, v8
	v_cmp_u_f32_e64 s2, v8, v8
	v_add3_u32 v19, v19, v8, 0x7fff
	v_cndmask_b32_e64 v8, v19, v20, s2
	v_mul_f32_e32 v19, s4, v21
	v_bfe_u32 v20, v19, 16, 1
	v_or_b32_e32 v21, 0x400000, v19
	v_cmp_u_f32_e64 s2, v19, v19
	v_add3_u32 v20, v20, v19, 0x7fff
	v_bfe_u32 v19, v10, 16, 1
	v_cndmask_b32_e64 v21, v20, v21, s2
	v_add3_u32 v19, v19, v10, 0x7fff
	v_or_b32_e32 v20, 0x400000, v10
	v_cmp_u_f32_e64 s2, v10, v10
	v_cndmask_b32_e64 v10, v19, v20, s2
	v_bfe_u32 v19, v12, 16, 1
	v_or_b32_e32 v20, 0x400000, v12
	v_cmp_u_f32_e64 s2, v12, v12
	v_add3_u32 v19, v19, v12, 0x7fff
	v_cndmask_b32_e64 v12, v19, v20, s2
	v_bfe_u32 v19, v13, 16, 1
	v_or_b32_e32 v20, 0x400000, v13
	v_cmp_u_f32_e64 s2, v13, v13
	v_add3_u32 v19, v19, v13, 0x7fff
	;; [unrolled: 5-line block ×6, first 2 shown]
	v_cndmask_b32_e64 v0, v19, v20, s2
	v_mul_f32_e32 v19, s4, v40
	v_and_b32_e32 v0, 0xffff0000, v0
	v_bfe_u32 v20, v19, 16, 1
	v_or_b32_e32 v24, 0x400000, v19
	v_cmp_u_f32_e64 s2, v19, v19
	v_add3_u32 v20, v20, v19, 0x7fff
	v_bfe_u32 v19, v11, 16, 1
	v_cndmask_b32_e64 v40, v20, v24, s2
	v_add3_u32 v19, v19, v11, 0x7fff
	v_or_b32_e32 v20, 0x400000, v11
	v_cmp_u_f32_e64 s2, v11, v11
	v_cndmask_b32_e64 v11, v19, v20, s2
	v_bfe_u32 v19, v9, 16, 1
	v_or_b32_e32 v20, 0x400000, v9
	v_cmp_u_f32_e64 s2, v9, v9
	v_add3_u32 v19, v19, v9, 0x7fff
	v_cndmask_b32_e64 v9, v19, v20, s2
	v_mul_f32_e32 v19, s4, v23
	v_and_b32_e32 v9, 0xffff0000, v9
	v_bfe_u32 v20, v19, 16, 1
	v_or_b32_e32 v23, 0x400000, v19
	v_cmp_u_f32_e64 s2, v19, v19
	v_add3_u32 v20, v20, v19, 0x7fff
	v_mul_f32_e32 v19, s4, v22
	v_cndmask_b32_e64 v23, v20, v23, s2
	v_bfe_u32 v20, v19, 16, 1
	v_or_b32_e32 v22, 0x400000, v19
	v_cmp_u_f32_e64 s2, v19, v19
	v_add3_u32 v20, v20, v19, 0x7fff
	v_mul_f32_e32 v19, s4, v127
	v_cndmask_b32_e64 v22, v20, v22, s2
	;; [unrolled: 6-line block ×25, first 2 shown]
	v_bfe_u32 v20, v19, 16, 1
	v_or_b32_e32 v24, 0x400000, v19
	v_cmp_u_f32_e64 s2, v19, v19
	v_add3_u32 v20, v20, v19, 0x7fff
	v_cndmask_b32_e64 v19, v20, v24, s2
	v_mul_f32_e32 v20, s4, v103
	v_and_b32_e32 v19, 0xffff0000, v19
	v_bfe_u32 v24, v20, 16, 1
	v_or_b32_e32 v25, 0x400000, v20
	v_cmp_u_f32_e64 s2, v20, v20
	v_add3_u32 v24, v24, v20, 0x7fff
	v_mul_f32_e32 v20, s4, v102
	v_cndmask_b32_e64 v103, v24, v25, s2
	v_bfe_u32 v24, v20, 16, 1
	v_or_b32_e32 v25, 0x400000, v20
	v_cmp_u_f32_e64 s2, v20, v20
	v_add3_u32 v24, v24, v20, 0x7fff
	v_mul_f32_e32 v20, s4, v101
	v_cndmask_b32_e64 v102, v24, v25, s2
	;; [unrolled: 6-line block ×7, first 2 shown]
	v_bfe_u32 v24, v20, 16, 1
	v_or_b32_e32 v25, 0x400000, v20
	v_cmp_u_f32_e64 s2, v20, v20
	v_add3_u32 v24, v24, v20, 0x7fff
	v_cndmask_b32_e64 v20, v24, v25, s2
	v_mul_f32_e32 v24, s4, v95
	v_and_b32_e32 v20, 0xffff0000, v20
	v_bfe_u32 v25, v24, 16, 1
	v_or_b32_e32 v95, 0x400000, v24
	v_cmp_u_f32_e64 s2, v24, v24
	v_add3_u32 v25, v25, v24, 0x7fff
	v_cndmask_b32_e64 v24, v25, v95, s2
	v_mul_f32_e32 v25, s4, v94
	v_and_b32_e32 v24, 0xffff0000, v24
	v_bfe_u32 v94, v25, 16, 1
	v_or_b32_e32 v95, 0x400000, v25
	v_cmp_u_f32_e64 s2, v25, v25
	v_add3_u32 v94, v94, v25, 0x7fff
	v_cndmask_b32_e64 v25, v94, v95, s2
	v_bfe_u32 v94, v93, 16, 1
	v_or_b32_e32 v95, 0x400000, v93
	v_cmp_u_f32_e64 s2, v93, v93
	v_and_b32_e32 v25, 0xffff0000, v25
	v_add3_u32 v94, v94, v93, 0x7fff
	v_cndmask_b32_e64 v93, v94, v95, s2
	v_bfe_u32 v94, v92, 16, 1
	v_or_b32_e32 v95, 0x400000, v92
	v_cmp_u_f32_e64 s2, v92, v92
	v_add3_u32 v94, v94, v92, 0x7fff
	v_cndmask_b32_e64 v92, v94, v95, s2
	v_bfe_u32 v94, v91, 16, 1
	v_or_b32_e32 v95, 0x400000, v91
	v_cmp_u_f32_e64 s2, v91, v91
	;; [unrolled: 5-line block ×5, first 2 shown]
	v_and_b32_e32 v89, 0xffff0000, v89
	v_add3_u32 v94, v94, v88, 0x7fff
	v_bfe_u32 v88, v87, 16, 1
	v_cndmask_b32_e64 v94, v94, v95, s2
	v_add3_u32 v88, v88, v87, 0x7fff
	v_or_b32_e32 v95, 0x400000, v87
	v_cmp_u_f32_e64 s2, v87, v87
	v_cndmask_b32_e64 v87, v88, v95, s2
	v_bfe_u32 v88, v86, 16, 1
	v_or_b32_e32 v95, 0x400000, v86
	v_cmp_u_f32_e64 s2, v86, v86
	v_add3_u32 v88, v88, v86, 0x7fff
	v_cndmask_b32_e64 v86, v88, v95, s2
	v_bfe_u32 v88, v18, 16, 1
	v_or_b32_e32 v95, 0x400000, v18
	v_cmp_u_f32_e64 s2, v18, v18
	v_add3_u32 v88, v88, v18, 0x7fff
	;; [unrolled: 5-line block ×3, first 2 shown]
	v_cndmask_b32_e64 v17, v88, v95, s2
	v_and_b32_e32 v88, 0xffff0000, v90
	v_and_b32_e32 v90, 0xffff0000, v86
	buffer_load_dword v86, off, s[36:39], 0 offset:16 ; 4-byte Folded Reload
	s_waitcnt vmcnt(0)
	v_mul_f32_e32 v86, v86, v88
	buffer_load_dword v88, off, s[36:39], 0 ; 4-byte Folded Reload
	s_waitcnt vmcnt(0)
	v_fmac_f32_e32 v86, v88, v90
	v_and_b32_e32 v90, 0xffff0000, v87
	buffer_load_dword v87, off, s[36:39], 0 offset:20 ; 4-byte Folded Reload
	v_and_b32_e32 v88, 0xffff0000, v91
	buffer_load_dword v91, off, s[36:39], 0 offset:28 ; 4-byte Folded Reload
	s_waitcnt vmcnt(1)
	v_mul_f32_e32 v87, v87, v88
	buffer_load_dword v88, off, s[36:39], 0 offset:4 ; 4-byte Folded Reload
	s_waitcnt vmcnt(0)
	v_fmac_f32_e32 v87, v88, v90
	buffer_load_dword v90, off, s[36:39], 0 offset:24 ; 4-byte Folded Reload
	v_and_b32_e32 v88, 0xffff0000, v93
	s_waitcnt vmcnt(0)
	v_mul_f32_e32 v88, v90, v88
	buffer_load_dword v90, off, s[36:39], 0 offset:8 ; 4-byte Folded Reload
	s_waitcnt vmcnt(0)
	v_fmac_f32_e32 v88, v90, v89
	v_and_b32_e32 v89, 0xffff0000, v92
	v_and_b32_e32 v90, 0xffff0000, v94
	v_mul_f32_e32 v89, v91, v89
	buffer_load_dword v91, off, s[36:39], 0 offset:12 ; 4-byte Folded Reload
	s_waitcnt vmcnt(0)
	v_fmac_f32_e32 v89, v91, v90
	buffer_load_dword v90, off, s[36:39], 0 offset:32 ; 4-byte Folded Reload
	v_fmac_f32_e32 v89, v26, v20
	v_and_b32_e32 v20, 0xffff0000, v98
	s_waitcnt vmcnt(0)
	v_fmac_f32_e32 v86, v90, v25
	buffer_load_dword v25, off, s[36:39], 0 offset:36 ; 4-byte Folded Reload
	v_fmac_f32_e32 v86, v27, v20
	v_and_b32_e32 v20, 0xffff0000, v99
	s_waitcnt vmcnt(0)
	v_fmac_f32_e32 v87, v25, v24
	buffer_load_dword v25, off, s[36:39], 0 offset:40 ; 4-byte Folded Reload
	v_and_b32_e32 v24, 0xffff0000, v97
	v_fmac_f32_e32 v87, v28, v20
	v_and_b32_e32 v20, 0xffff0000, v101
	s_waitcnt vmcnt(0)
	v_fmac_f32_e32 v88, v25, v24
	v_fmac_f32_e32 v88, v29, v20
	v_and_b32_e32 v20, 0xffff0000, v100
	v_fmac_f32_e32 v89, v30, v20
	v_and_b32_e32 v20, 0xffff0000, v102
	v_fmac_f32_e32 v89, v34, v19
	v_fmac_f32_e32 v86, v31, v20
	v_and_b32_e32 v20, 0xffff0000, v103
	v_and_b32_e32 v19, 0xffff0000, v106
	v_fmac_f32_e32 v87, v32, v20
	v_and_b32_e32 v20, 0xffff0000, v105
	v_fmac_f32_e32 v86, v35, v19
	v_and_b32_e32 v19, 0xffff0000, v107
	v_fmac_f32_e32 v88, v33, v20
	v_fmac_f32_e32 v87, v36, v19
	v_and_b32_e32 v19, 0xffff0000, v109
	v_fmac_f32_e32 v88, v37, v19
	v_and_b32_e32 v19, 0xffff0000, v108
	v_fmac_f32_e32 v89, v38, v19
	v_and_b32_e32 v19, 0xffff0000, v110
	v_fmac_f32_e32 v86, v39, v19
	v_and_b32_e32 v19, 0xffff0000, v111
	v_fmac_f32_e32 v87, v41, v19
	v_and_b32_e32 v19, 0xffff0000, v113
	v_fmac_f32_e32 v88, v42, v19
	v_and_b32_e32 v19, 0xffff0000, v112
	v_fmac_f32_e32 v89, v43, v19
	v_and_b32_e32 v19, 0xffff0000, v114
	v_fmac_f32_e32 v86, v44, v19
	v_and_b32_e32 v19, 0xffff0000, v115
	v_fmac_f32_e32 v87, v45, v19
	v_and_b32_e32 v19, 0xffff0000, v117
	v_fmac_f32_e32 v88, v46, v19
	v_and_b32_e32 v19, 0xffff0000, v116
	v_fmac_f32_e32 v89, v47, v19
	v_and_b32_e32 v19, 0xffff0000, v118
	v_fmac_f32_e32 v86, v48, v19
	v_and_b32_e32 v19, 0xffff0000, v119
	v_fmac_f32_e32 v87, v49, v19
	v_and_b32_e32 v19, 0xffff0000, v121
	v_fmac_f32_e32 v88, v50, v19
	v_and_b32_e32 v19, 0xffff0000, v120
	v_fmac_f32_e32 v89, v51, v19
	v_and_b32_e32 v19, 0xffff0000, v122
	v_fmac_f32_e32 v86, v52, v19
	v_and_b32_e32 v19, 0xffff0000, v123
	v_fmac_f32_e32 v87, v53, v19
	v_and_b32_e32 v19, 0xffff0000, v125
	v_fmac_f32_e32 v88, v54, v19
	v_and_b32_e32 v19, 0xffff0000, v124
	v_fmac_f32_e32 v89, v55, v19
	v_and_b32_e32 v19, 0xffff0000, v126
	v_fmac_f32_e32 v86, v56, v19
	v_and_b32_e32 v19, 0xffff0000, v127
	v_fmac_f32_e32 v86, v60, v9
	v_fmac_f32_e32 v87, v57, v19
	v_and_b32_e32 v19, 0xffff0000, v23
	v_and_b32_e32 v9, 0xffff0000, v11
	v_fmac_f32_e32 v88, v58, v19
	v_and_b32_e32 v19, 0xffff0000, v22
	v_fmac_f32_e32 v87, v61, v9
	v_fmac_f32_e32 v88, v62, v0
	;; [unrolled: 1-line block ×3, first 2 shown]
	v_and_b32_e32 v0, 0xffff0000, v40
	v_fmac_f32_e32 v89, v63, v0
	v_and_b32_e32 v0, 0xffff0000, v16
	v_fmac_f32_e32 v86, v64, v0
	;; [unrolled: 2-line block ×10, first 2 shown]
	v_and_b32_e32 v0, 0xffff0000, v1
	v_and_b32_e32 v1, 0xffff0000, v17
	v_fmac_f32_e32 v87, v73, v0
	v_and_b32_e32 v0, 0xffff0000, v18
	v_fmac_f32_e32 v89, v75, v1
	v_fmac_f32_e32 v88, v74, v0
	v_add_f32_e32 v0, v86, v87
	v_add_f32_e32 v0, v0, v88
	;; [unrolled: 1-line block ×3, first 2 shown]
	ds_bpermute_b32 v1, v77, v0
	s_and_saveexec_b32 s3, vcc_lo
	s_cbranch_execz .LBB338_8
; %bb.490:                              ;   in Loop: Header=BB338_9 Depth=1
	v_add_nc_u32_e32 v7, s5, v78
	s_waitcnt lgkmcnt(0)
	v_add_f32_e32 v0, v0, v1
	v_cmp_gt_i32_e64 s2, s11, v78
	v_cvt_f32_i32_e32 v7, v7
	v_mul_f32_e32 v7, s28, v7
	v_cndmask_b32_e64 v1, 0, v7, s1
	v_max_f32_e32 v7, v76, v76
	v_fmac_f32_e32 v1, s29, v0
	v_max_f32_e32 v0, v7, v1
	v_cndmask_b32_e64 v1, 0, v1, s2
	v_cndmask_b32_e64 v76, v76, v0, s2
	ds_write_b32 v79, v1
	s_branch .LBB338_8
.LBB338_491:
	s_or_b32 exec_lo, exec_lo, s14
	s_clause 0x5
	buffer_load_dword v21, off, s[36:39], 0 offset:44
	buffer_load_dword v22, off, s[36:39], 0 offset:48
	;; [unrolled: 1-line block ×6, first 2 shown]
	v_mov_b32_e32 v11, 32
	s_waitcnt vmcnt(5)
	v_lshrrev_b32_e32 v99, 1, v21
.LBB338_492:
	s_or_b32 exec_lo, exec_lo, s30
	s_waitcnt vmcnt(0)
	v_xor_b32_e32 v0, 16, v24
	s_waitcnt lgkmcnt(0)
	v_xor_b32_e32 v1, 8, v24
	v_max_f32_e32 v5, v76, v76
	v_xor_b32_e32 v6, 2, v24
	v_cmp_lt_i32_e32 vcc_lo, v0, v11
	v_cndmask_b32_e32 v0, v24, v0, vcc_lo
	v_cmp_lt_i32_e32 vcc_lo, v1, v11
	v_lshlrev_b32_e32 v3, 2, v0
	v_cndmask_b32_e32 v1, v24, v1, vcc_lo
	ds_bpermute_b32 v0, v3, v76
	v_lshlrev_b32_e32 v4, 2, v1
	s_waitcnt lgkmcnt(0)
	v_max_f32_e32 v0, v0, v0
	v_max_f32_e32 v0, v5, v0
	v_xor_b32_e32 v5, 4, v24
	ds_bpermute_b32 v1, v4, v0
	v_cmp_lt_i32_e32 vcc_lo, v5, v11
	v_cndmask_b32_e32 v5, v24, v5, vcc_lo
	v_cmp_lt_i32_e32 vcc_lo, v6, v11
	v_lshlrev_b32_e32 v5, 2, v5
	v_cndmask_b32_e32 v6, v24, v6, vcc_lo
	s_waitcnt lgkmcnt(0)
	v_max_f32_e32 v1, v1, v1
	v_max_f32_e32 v0, v0, v1
	ds_bpermute_b32 v1, v5, v0
	s_waitcnt lgkmcnt(0)
	v_max_f32_e32 v1, v1, v1
	v_max_f32_e32 v7, v0, v1
	v_lshlrev_b32_e32 v1, 2, v6
	v_and_b32_e32 v0, 31, v21
	v_lshlrev_b32_e32 v6, 2, v85
	ds_bpermute_b32 v8, v1, v7
	v_cmp_eq_u32_e32 vcc_lo, 0, v0
	s_and_saveexec_b32 s1, vcc_lo
	s_cbranch_execz .LBB338_494
; %bb.493:
	s_waitcnt lgkmcnt(0)
	v_max_f32_e32 v8, v8, v8
	v_max_f32_e32 v7, v7, v7
	;; [unrolled: 1-line block ×3, first 2 shown]
	ds_write_b32 v6, v7 offset:240
.LBB338_494:
	s_or_b32 exec_lo, exec_lo, s1
	v_cmp_gt_u32_e64 s1, 4, v0
	s_waitcnt lgkmcnt(0)
	v_mov_b32_e32 v8, 0xff7fffff
	v_lshlrev_b32_e32 v7, 2, v0
	s_waitcnt_vscnt null, 0x0
	s_barrier
	buffer_gl0_inv
	s_and_saveexec_b32 s2, s1
; %bb.495:
	ds_read_b32 v8, v7 offset:240
; %bb.496:
	s_or_b32 exec_lo, exec_lo, s2
	s_waitcnt lgkmcnt(0)
	ds_bpermute_b32 v9, v1, v8
	v_xor_b32_e32 v10, 1, v24
	v_max_f32_e32 v8, v8, v8
	v_lshlrev_b32_e32 v2, 2, v2
	v_cmp_lt_i32_e64 s2, v10, v11
	v_cndmask_b32_e64 v10, v24, v10, s2
	s_lshl_b32 s2, s12, 4
	s_min_i32 s4, s2, s11
	v_lshlrev_b32_e32 v25, 2, v10
	v_cmp_gt_i32_e64 s2, s4, v21
	s_waitcnt lgkmcnt(0)
	v_max_f32_e32 v9, v9, v9
	v_max_f32_e32 v8, v8, v9
	ds_bpermute_b32 v9, v25, v8
	s_waitcnt lgkmcnt(0)
	v_max_f32_e32 v9, v9, v9
	v_max_f32_e32 v8, v8, v9
	ds_bpermute_b32 v9, v2, v8
	v_mov_b32_e32 v8, 0
	v_lshl_add_u32 v2, v21, 2, 0x110
	s_and_saveexec_b32 s5, s2
	s_cbranch_execz .LBB338_500
; %bb.497:
	v_lshl_add_u32 v10, v21, 2, 0x110
	v_mov_b32_e32 v8, 0
	v_mov_b32_e32 v11, v21
	s_mov_b32 s14, 0
	.p2align	6
.LBB338_498:                            ; =>This Inner Loop Header: Depth=1
	ds_read_b32 v12, v10
	v_add_nc_u32_e32 v11, 0x80, v11
	v_cmp_le_i32_e64 s3, s4, v11
	s_or_b32 s14, s3, s14
	s_waitcnt lgkmcnt(0)
	v_sub_f32_e32 v12, v12, v9
	v_mul_f32_e32 v12, 0x3fb8aa3b, v12
	v_exp_f32_e32 v12, v12
	ds_write_b32 v10, v12
	v_add_f32_e32 v8, v8, v12
	v_add_nc_u32_e32 v10, 0x200, v10
	s_andn2_b32 exec_lo, exec_lo, s14
	s_cbranch_execnz .LBB338_498
; %bb.499:
	s_or_b32 exec_lo, exec_lo, s14
.LBB338_500:
	s_or_b32 exec_lo, exec_lo, s5
	ds_bpermute_b32 v3, v3, v8
	s_waitcnt lgkmcnt(0)
	v_add_f32_e32 v3, v8, v3
	ds_bpermute_b32 v4, v4, v3
	s_waitcnt lgkmcnt(0)
	v_add_f32_e32 v3, v3, v4
	;; [unrolled: 3-line block ×5, first 2 shown]
	s_and_saveexec_b32 s3, vcc_lo
; %bb.501:
	ds_write_b32 v6, v3 offset:256
; %bb.502:
	s_or_b32 exec_lo, exec_lo, s3
	s_waitcnt lgkmcnt(0)
	s_barrier
	buffer_gl0_inv
	s_and_saveexec_b32 s3, s1
; %bb.503:
	ds_read_b32 v3, v7 offset:256
; %bb.504:
	s_or_b32 exec_lo, exec_lo, s3
	s_waitcnt lgkmcnt(0)
	ds_bpermute_b32 v1, v1, v3
	v_lshlrev_b32_e32 v4, 2, v24
	s_waitcnt lgkmcnt(0)
	v_add_f32_e32 v1, v3, v1
	ds_bpermute_b32 v3, v25, v1
	s_waitcnt lgkmcnt(0)
	v_add_f32_e32 v1, v1, v3
	v_and_b32_e32 v3, 0xffffff80, v4
	ds_bpermute_b32 v1, v3, v1
	s_and_saveexec_b32 s1, s2
	s_cbranch_execz .LBB338_507
; %bb.505:
	s_waitcnt lgkmcnt(0)
	v_add_f32_e32 v1, 0x358637bd, v1
	s_mov_b32 s2, 0
	v_div_scale_f32 v3, null, v1, v1, 1.0
	v_div_scale_f32 v6, vcc_lo, 1.0, v1, 1.0
	v_rcp_f32_e32 v4, v3
	v_fma_f32 v5, -v3, v4, 1.0
	v_fmac_f32_e32 v4, v5, v4
	v_mul_f32_e32 v5, v6, v4
	v_fma_f32 v7, -v3, v5, v6
	v_fmac_f32_e32 v5, v7, v4
	v_fma_f32 v3, -v3, v5, v6
	v_div_fmas_f32 v3, v3, v4, v5
	v_div_fixup_f32 v1, v3, v1, 1.0
	v_mov_b32_e32 v3, v21
.LBB338_506:                            ; =>This Inner Loop Header: Depth=1
	ds_read_b32 v4, v2
	v_add_nc_u32_e32 v3, 0x80, v3
	v_cmp_le_i32_e32 vcc_lo, s4, v3
	s_or_b32 s2, vcc_lo, s2
	s_waitcnt lgkmcnt(0)
	v_mul_f32_e32 v4, v1, v4
	ds_write_b32 v2, v4
	v_add_nc_u32_e32 v2, 0x200, v2
	s_andn2_b32 exec_lo, exec_lo, s2
	s_cbranch_execnz .LBB338_506
.LBB338_507:
	s_or_b32 exec_lo, exec_lo, s1
	v_lshrrev_b32_e32 v24, 1, v0
	s_waitcnt lgkmcnt(0)
	s_barrier
	buffer_gl0_inv
	s_and_saveexec_b32 s1, s0
	s_xor_b32 s0, exec_lo, s1
; %bb.508:
	v_lshrrev_b32_e32 v24, 1, v0
                                        ; implicit-def: $vgpr13
                                        ; implicit-def: $vgpr23
; %bb.509:
	s_or_saveexec_b32 s14, s0
	v_mov_b32_e32 v32, 0
	v_mov_b32_e32 v33, 0
	;; [unrolled: 1-line block ×8, first 2 shown]
	s_xor_b32 exec_lo, exec_lo, s14
	s_cbranch_execz .LBB338_1011
; %bb.510:
	s_load_dword s16, s[18:19], 0x0
	v_and_b32_e32 v0, 8, v13
	v_or_b32_e32 v1, 0x70, v24
	v_lshlrev_b32_e32 v3, 4, v85
	v_lshlrev_b32_e32 v2, 5, v22
	s_ashr_i32 s0, s15, 31
	s_add_u32 s2, s26, s15
	v_lshl_or_b32 v34, v24, 4, v0
	v_lshl_or_b32 v35, v1, 4, v0
	v_or3_b32 v36, v3, v0, 7
	v_and_b32_e32 v0, 0x7c, v23
	s_addc_u32 s3, s27, s0
	s_lshl_b64 s[0:1], s[24:25], 2
	s_add_i32 s15, s12, -1
	v_lshl_or_b32 v2, v85, 6, v2
	s_add_u32 s0, s22, s0
	s_addc_u32 s1, s23, s1
	v_add_co_u32 v11, s0, s0, v0
	v_mov_b32_e32 v100, v21
	v_mov_b32_e32 v101, v22
	;; [unrolled: 1-line block ×3, first 2 shown]
	v_add_nc_u32_e32 v37, 0x110, v2
	v_add_co_ci_u32_e64 v12, null, s1, 0, s0
	v_mov_b32_e32 v38, 0x80
	v_mov_b32_e32 v39, 0xffff
	;; [unrolled: 1-line block ×15, first 2 shown]
	s_mov_b32 s4, -1
	s_mov_b32 s5, 0xffffff
	s_mov_b32 s17, 0
	v_cmp_gt_u32_e32 vcc_lo, 0x78, v1
	s_branch .LBB338_513
.LBB338_511:                            ;   in Loop: Header=BB338_513 Depth=1
	s_or_b32 exec_lo, exec_lo, s1
	v_lshlrev_b32_e32 v54, 16, v8
	v_lshlrev_b32_e32 v91, 16, v91
	v_and_b32_e32 v92, 0xffff0000, v8
	v_lshlrev_b32_e32 v14, 16, v14
	v_lshlrev_b32_e32 v93, 16, v7
	v_lshlrev_b32_e32 v13, 16, v13
	v_mul_f32_e32 v54, v54, v91
	v_and_b32_e32 v91, 0xffff0000, v7
	v_lshlrev_b32_e32 v9, 16, v9
	v_mul_f32_e32 v14, v92, v14
	v_mul_f32_e32 v13, v93, v13
	v_bfe_u32 v92, v54, 16, 1
	v_or_b32_e32 v93, 0x400000, v54
	v_mul_f32_e32 v9, v91, v9
	v_bfe_u32 v91, v14, 16, 1
	v_cmp_u_f32_e64 s0, v54, v54
	v_add3_u32 v92, v92, v54, 0x7fff
	v_or_b32_e32 v94, 0x400000, v14
	v_bfe_u32 v95, v13, 16, 1
	v_add3_u32 v91, v91, v14, 0x7fff
	v_lshlrev_b32_e32 v2, 16, v2
	v_cndmask_b32_e64 v54, v92, v93, s0
	v_lshlrev_b32_e32 v92, 16, v6
	v_cmp_u_f32_e64 s0, v14, v14
	v_or_b32_e32 v93, 0x400000, v13
	v_lshlrev_b32_e32 v1, 16, v1
	v_lshlrev_b32_e32 v4, 16, v4
	v_mul_f32_e32 v2, v92, v2
	v_cndmask_b32_e64 v14, v91, v94, s0
	v_add3_u32 v91, v95, v13, 0x7fff
	v_bfe_u32 v94, v9, 16, 1
	v_and_b32_e32 v92, 0xffff0000, v6
	v_cmp_u_f32_e64 s0, v13, v13
	v_and_b32_e32 v95, 0xffff0000, v5
	v_lshlrev_b32_e32 v3, 16, v3
	v_and_b32_e32 v14, 0xffff0000, v14
	v_mul_f32_e32 v1, v92, v1
	v_cndmask_b32_e64 v13, v91, v93, s0
	v_add3_u32 v91, v94, v9, 0x7fff
	v_or_b32_e32 v93, 0x400000, v9
	v_bfe_u32 v94, v2, 16, 1
	v_lshlrev_b32_e32 v92, 16, v5
	v_cmp_u_f32_e64 s0, v9, v9
	v_mul_f32_e32 v3, v95, v3
	v_and_b32_e32 v54, 0xffff0000, v54
	v_and_b32_e32 v13, 0xffff0000, v13
	v_mul_f32_e32 v4, v92, v4
	v_cndmask_b32_e64 v9, v91, v93, s0
	v_bfe_u32 v91, v1, 16, 1
	v_add3_u32 v93, v94, v2, 0x7fff
	v_or_b32_e32 v92, 0x400000, v2
	v_cmp_u_f32_e64 s0, v2, v2
	v_or_b32_e32 v94, 0x400000, v1
	v_add3_u32 v91, v91, v1, 0x7fff
	v_bfe_u32 v96, v3, 16, 1
	v_bfe_u32 v95, v4, 16, 1
	v_cndmask_b32_e64 v2, v93, v92, s0
	v_cmp_u_f32_e64 s0, v1, v1
	v_or_b32_e32 v93, 0x400000, v3
	v_add3_u32 v92, v96, v3, 0x7fff
	v_and_b32_e32 v9, 0xffff0000, v9
	v_add_f32_e32 v14, v54, v14
	v_cndmask_b32_e64 v1, v91, v94, s0
	v_cmp_u_f32_e64 s0, v3, v3
	v_add3_u32 v91, v95, v4, 0x7fff
	v_or_b32_e32 v94, 0x400000, v4
	v_add_f32_e32 v9, v13, v9
	v_and_b32_e32 v1, 0xffff0000, v1
	v_cndmask_b32_e64 v3, v92, v93, s0
	v_cmp_u_f32_e64 s0, v4, v4
	v_and_b32_e32 v2, 0xffff0000, v2
	v_add_f32_e32 v9, v9, v14
	v_cndmask_b32_e64 v4, v91, v94, s0
	v_add_f32_e32 v1, v2, v1
	v_and_b32_e32 v2, 0xffff0000, v3
	v_and_b32_e32 v3, 0xffff0000, v4
	v_add_f32_e32 v1, v1, v9
	v_add_f32_e32 v2, v3, v2
	;; [unrolled: 1-line block ×4, first 2 shown]
.LBB338_512:                            ;   in Loop: Header=BB338_513 Depth=1
	s_or_b32 exec_lo, exec_lo, s18
	v_and_b32_e32 v9, 0xffff0000, v8
	v_lshlrev_b32_e32 v1, 16, v23
	v_lshlrev_b32_e32 v3, 16, v8
	;; [unrolled: 1-line block ×3, first 2 shown]
	v_and_b32_e32 v2, 0xffff0000, v7
	v_lshlrev_b32_e32 v13, 16, v18
	v_mul_f32_e32 v8, v9, v1
	v_lshlrev_b32_e32 v1, 16, v7
	v_mul_f32_e32 v14, v3, v4
	;; [unrolled: 2-line block ×3, first 2 shown]
	v_bfe_u32 v4, v8, 16, 1
	v_or_b32_e32 v21, 0x400000, v8
	v_bfe_u32 v18, v14, 16, 1
	v_cmp_u_f32_e64 s0, v8, v8
	v_mul_f32_e32 v7, v1, v7
	v_add3_u32 v4, v4, v8, 0x7fff
	v_or_b32_e32 v22, 0x400000, v14
	v_bfe_u32 v23, v13, 16, 1
	v_add3_u32 v18, v18, v14, 0x7fff
	v_lshlrev_b32_e32 v15, 16, v15
	v_cndmask_b32_e64 v8, v4, v21, s0
	v_and_b32_e32 v4, 0xffff0000, v6
	v_cmp_u_f32_e64 s0, v14, v14
	v_or_b32_e32 v21, 0x400000, v13
	v_lshlrev_b32_e32 v6, 16, v6
	v_lshlrev_b32_e32 v0, 16, v0
	v_mul_f32_e32 v15, v4, v15
	v_cndmask_b32_e64 v14, v18, v22, s0
	v_add3_u32 v18, v23, v13, 0x7fff
	v_bfe_u32 v22, v7, 16, 1
	v_cmp_u_f32_e64 s0, v13, v13
	v_mul_f32_e32 v23, v6, v0
	v_and_b32_e32 v0, 0xffff0000, v5
	v_lshlrev_b32_e32 v5, 16, v5
	v_lshlrev_b32_e32 v16, 16, v16
	v_cndmask_b32_e64 v13, v18, v21, s0
	v_add3_u32 v18, v22, v7, 0x7fff
	v_or_b32_e32 v21, 0x400000, v7
	v_bfe_u32 v22, v15, 16, 1
	v_cmp_u_f32_e64 s0, v7, v7
	v_lshlrev_b32_e32 v17, 16, v17
	v_mul_f32_e32 v16, v5, v16
	v_or_b32_e32 v54, 0x400000, v23
	v_and_b32_e32 v14, 0xffff0000, v14
	v_cndmask_b32_e64 v7, v18, v21, s0
	v_bfe_u32 v18, v23, 16, 1
	v_add3_u32 v21, v22, v15, 0x7fff
	v_or_b32_e32 v22, 0x400000, v15
	v_cmp_u_f32_e64 s0, v15, v15
	v_mul_f32_e32 v17, v0, v17
	v_add3_u32 v18, v18, v23, 0x7fff
	v_bfe_u32 v92, v16, 16, 1
	v_and_b32_e32 v8, 0xffff0000, v8
	v_cndmask_b32_e64 v15, v21, v22, s0
	v_cmp_u_f32_e64 s0, v23, v23
	v_bfe_u32 v91, v17, 16, 1
	v_add3_u32 v22, v92, v16, 0x7fff
	v_or_b32_e32 v23, 0x400000, v16
	v_and_b32_e32 v7, 0xffff0000, v7
	v_cndmask_b32_e64 v18, v18, v54, s0
	v_cmp_u_f32_e64 s0, v16, v16
	v_add3_u32 v21, v91, v17, 0x7fff
	v_and_b32_e32 v13, 0xffff0000, v13
	v_or_b32_e32 v54, 0x400000, v17
	v_add_f32_e32 v8, v14, v8
	v_cndmask_b32_e64 v16, v22, v23, s0
	v_cmp_u_f32_e64 s0, v17, v17
	v_add_f32_e32 v7, v7, v13
	v_and_b32_e32 v13, 0xffff0000, v18
	v_and_b32_e32 v14, 0xffff0000, v15
	v_lshlrev_b32_e32 v18, 16, v88
	v_cndmask_b32_e64 v15, v21, v54, s0
	v_add_f32_e32 v7, v7, v8
	v_lshlrev_b32_e32 v52, 16, v52
	v_add_f32_e32 v8, v13, v14
	v_and_b32_e32 v13, 0xffff0000, v16
	v_and_b32_e32 v14, 0xffff0000, v15
	v_lshlrev_b32_e32 v15, 16, v90
	v_lshlrev_b32_e32 v16, 16, v89
	v_add_f32_e32 v7, v8, v7
	v_mul_f32_e32 v52, v6, v52
	v_add_f32_e32 v8, v13, v14
	v_mul_f32_e32 v13, v9, v15
	v_mul_f32_e32 v14, v3, v16
	v_lshlrev_b32_e32 v16, 16, v86
	v_lshlrev_b32_e32 v51, 16, v51
	v_add_f32_e32 v7, v8, v7
	v_bfe_u32 v8, v13, 16, 1
	v_bfe_u32 v15, v14, 16, 1
	v_cmp_u_f32_e64 s0, v13, v13
	v_mul_f32_e32 v16, v2, v16
	v_add_f32_e32 v27, v27, v7
	v_add3_u32 v7, v8, v13, 0x7fff
	v_or_b32_e32 v8, 0x400000, v13
	v_add3_u32 v15, v15, v14, 0x7fff
	v_or_b32_e32 v17, 0x400000, v14
	v_add_nc_u32_e32 v43, 4, v43
	v_add_co_u32 v11, s1, v11, 16
	v_cndmask_b32_e64 v7, v7, v8, s0
	v_cmp_u_f32_e64 s0, v14, v14
	v_bfe_u32 v8, v16, 16, 1
	v_mul_f32_e32 v14, v1, v18
	v_lshlrev_b32_e32 v18, 16, v20
	v_lshlrev_b32_e32 v20, 16, v87
	v_cndmask_b32_e64 v13, v15, v17, s0
	v_lshlrev_b32_e32 v15, 16, v19
	v_add3_u32 v8, v8, v16, 0x7fff
	v_or_b32_e32 v17, 0x400000, v16
	v_bfe_u32 v19, v14, 16, 1
	v_cmp_u_f32_e64 s0, v16, v16
	v_mul_f32_e32 v15, v4, v15
	v_mul_f32_e32 v16, v6, v18
	v_or_b32_e32 v18, 0x400000, v14
	v_and_b32_e32 v13, 0xffff0000, v13
	v_cndmask_b32_e64 v8, v8, v17, s0
	v_add3_u32 v17, v19, v14, 0x7fff
	v_bfe_u32 v19, v15, 16, 1
	v_bfe_u32 v21, v16, 16, 1
	v_cmp_u_f32_e64 s0, v14, v14
	v_or_b32_e32 v22, 0x400000, v16
	v_and_b32_e32 v7, 0xffff0000, v7
	v_and_b32_e32 v8, 0xffff0000, v8
	v_add_nc_u32_e32 v36, 64, v36
	v_cndmask_b32_e64 v14, v17, v18, s0
	v_add3_u32 v17, v19, v15, 0x7fff
	v_mul_f32_e32 v18, v0, v20
	v_or_b32_e32 v19, 0x400000, v15
	v_add3_u32 v20, v21, v16, 0x7fff
	v_lshlrev_b32_e32 v21, 16, v85
	v_cmp_u_f32_e64 s0, v15, v15
	v_bfe_u32 v23, v18, 16, 1
	v_and_b32_e32 v14, 0xffff0000, v14
	v_add_f32_e32 v7, v13, v7
	v_add_nc_u32_e32 v37, 0x100, v37
	v_cndmask_b32_e64 v15, v17, v19, s0
	v_mul_f32_e32 v17, v5, v21
	v_cmp_u_f32_e64 s0, v16, v16
	v_add3_u32 v19, v23, v18, 0x7fff
	v_add_f32_e32 v8, v14, v8
	v_and_b32_e32 v14, 0xffff0000, v15
	v_bfe_u32 v21, v17, 16, 1
	v_cndmask_b32_e64 v16, v20, v22, s0
	v_or_b32_e32 v20, 0x400000, v18
	v_cmp_u_f32_e64 s0, v18, v18
	v_lshlrev_b32_e32 v15, 16, v84
	v_add_f32_e32 v7, v8, v7
	v_and_b32_e32 v13, 0xffff0000, v16
	v_lshlrev_b32_e32 v16, 16, v83
	v_cndmask_b32_e64 v18, v19, v20, s0
	v_add3_u32 v19, v21, v17, 0x7fff
	v_or_b32_e32 v20, 0x400000, v17
	v_cmp_u_f32_e64 s0, v17, v17
	v_mul_f32_e32 v8, v9, v15
	v_add_f32_e32 v13, v13, v14
	v_mul_f32_e32 v14, v3, v16
	v_and_b32_e32 v16, 0xffff0000, v18
	v_cndmask_b32_e64 v17, v19, v20, s0
	v_lshlrev_b32_e32 v18, 16, v80
	v_add_f32_e32 v7, v13, v7
	v_bfe_u32 v13, v14, 16, 1
	v_lshlrev_b32_e32 v20, 16, v82
	v_and_b32_e32 v15, 0xffff0000, v17
	v_bfe_u32 v17, v8, 16, 1
	v_mul_f32_e32 v18, v2, v18
	v_cmp_u_f32_e64 s0, v8, v8
	v_add3_u32 v13, v13, v14, 0x7fff
	v_add_f32_e32 v15, v15, v16
	v_add3_u32 v16, v17, v8, 0x7fff
	v_or_b32_e32 v17, 0x400000, v8
	v_or_b32_e32 v19, 0x400000, v14
	v_lshlrev_b32_e32 v22, 16, v81
	v_add_f32_e32 v7, v15, v7
	v_add_co_ci_u32_e64 v12, null, 0, v12, s1
	v_cndmask_b32_e64 v8, v16, v17, s0
	v_bfe_u32 v16, v18, 16, 1
	v_cmp_u_f32_e64 s0, v14, v14
	v_mul_f32_e32 v14, v1, v20
	v_lshlrev_b32_e32 v17, 16, v77
	v_lshlrev_b32_e32 v20, 16, v78
	v_add3_u32 v16, v16, v18, 0x7fff
	v_cndmask_b32_e64 v13, v13, v19, s0
	v_or_b32_e32 v19, 0x400000, v18
	v_bfe_u32 v21, v14, 16, 1
	v_mul_f32_e32 v17, v4, v17
	v_cmp_u_f32_e64 s0, v18, v18
	v_mul_f32_e32 v18, v6, v20
	v_or_b32_e32 v20, 0x400000, v14
	v_and_b32_e32 v13, 0xffff0000, v13
	v_and_b32_e32 v8, 0xffff0000, v8
	v_cndmask_b32_e64 v16, v16, v19, s0
	v_add3_u32 v19, v21, v14, 0x7fff
	v_bfe_u32 v21, v17, 16, 1
	v_bfe_u32 v23, v18, 16, 1
	v_cmp_u_f32_e64 s0, v14, v14
	v_or_b32_e32 v54, 0x400000, v18
	v_and_b32_e32 v16, 0xffff0000, v16
	v_add_f32_e32 v8, v13, v8
	v_add_f32_e32 v28, v28, v7
	v_cndmask_b32_e64 v14, v19, v20, s0
	v_add3_u32 v19, v21, v17, 0x7fff
	v_mul_f32_e32 v20, v0, v22
	v_or_b32_e32 v21, 0x400000, v17
	v_add3_u32 v22, v23, v18, 0x7fff
	v_lshlrev_b32_e32 v23, 16, v79
	v_cmp_u_f32_e64 s0, v17, v17
	v_bfe_u32 v77, v20, 16, 1
	v_and_b32_e32 v14, 0xffff0000, v14
	v_cndmask_b32_e64 v17, v19, v21, s0
	v_mul_f32_e32 v19, v5, v23
	v_cmp_u_f32_e64 s0, v18, v18
	v_add3_u32 v21, v77, v20, 0x7fff
	v_add_f32_e32 v13, v14, v16
	v_and_b32_e32 v16, 0xffff0000, v17
	v_bfe_u32 v23, v19, 16, 1
	v_cndmask_b32_e64 v18, v22, v54, s0
	v_or_b32_e32 v22, 0x400000, v20
	v_cmp_u_f32_e64 s0, v20, v20
	v_add_f32_e32 v8, v13, v8
	v_lshlrev_b32_e32 v13, 16, v76
	v_and_b32_e32 v14, 0xffff0000, v18
	v_cndmask_b32_e64 v20, v21, v22, s0
	v_add3_u32 v21, v23, v19, 0x7fff
	v_or_b32_e32 v22, 0x400000, v19
	v_cmp_u_f32_e64 s0, v19, v19
	v_add_f32_e32 v14, v14, v16
	v_lshlrev_b32_e32 v16, 16, v75
	v_and_b32_e32 v18, 0xffff0000, v20
	v_mul_f32_e32 v13, v9, v13
	v_cndmask_b32_e64 v17, v21, v22, s0
	v_add_f32_e32 v8, v14, v8
	v_mul_f32_e32 v15, v3, v16
	v_lshlrev_b32_e32 v19, 16, v74
	v_bfe_u32 v16, v13, 16, 1
	v_and_b32_e32 v17, 0xffff0000, v17
	v_cmp_u_f32_e64 s0, v13, v13
	v_lshlrev_b32_e32 v21, 16, v73
	v_add_f32_e32 v14, v17, v18
	v_bfe_u32 v17, v15, 16, 1
	v_lshlrev_b32_e32 v18, 16, v72
	v_add_f32_e32 v7, v14, v8
	v_add3_u32 v8, v16, v13, 0x7fff
	v_or_b32_e32 v14, 0x400000, v13
	v_add3_u32 v16, v17, v15, 0x7fff
	v_mul_f32_e32 v17, v2, v18
	v_or_b32_e32 v18, 0x400000, v15
	v_add_f32_e32 v29, v29, v7
	v_cndmask_b32_e64 v8, v8, v14, s0
	v_cmp_u_f32_e64 s0, v15, v15
	v_bfe_u32 v13, v17, 16, 1
	v_mul_f32_e32 v15, v1, v19
	v_lshlrev_b32_e32 v19, 16, v70
	v_and_b32_e32 v8, 0xffff0000, v8
	v_cndmask_b32_e64 v14, v16, v18, s0
	v_lshlrev_b32_e32 v16, 16, v69
	v_add3_u32 v13, v13, v17, 0x7fff
	v_or_b32_e32 v18, 0x400000, v17
	v_bfe_u32 v20, v15, 16, 1
	v_cmp_u_f32_e64 s0, v17, v17
	v_mul_f32_e32 v16, v4, v16
	v_mul_f32_e32 v17, v6, v19
	v_or_b32_e32 v19, 0x400000, v15
	v_and_b32_e32 v14, 0xffff0000, v14
	v_cndmask_b32_e64 v13, v13, v18, s0
	v_add3_u32 v18, v20, v15, 0x7fff
	v_bfe_u32 v20, v16, 16, 1
	v_bfe_u32 v22, v17, 16, 1
	v_cmp_u_f32_e64 s0, v15, v15
	v_or_b32_e32 v23, 0x400000, v17
	v_and_b32_e32 v13, 0xffff0000, v13
	v_add_f32_e32 v8, v14, v8
	v_cndmask_b32_e64 v15, v18, v19, s0
	v_add3_u32 v18, v20, v16, 0x7fff
	v_mul_f32_e32 v19, v0, v21
	v_or_b32_e32 v20, 0x400000, v16
	v_add3_u32 v21, v22, v17, 0x7fff
	v_lshlrev_b32_e32 v22, 16, v71
	v_cmp_u_f32_e64 s0, v16, v16
	v_bfe_u32 v54, v19, 16, 1
	v_and_b32_e32 v15, 0xffff0000, v15
	v_cndmask_b32_e64 v16, v18, v20, s0
	v_mul_f32_e32 v18, v5, v22
	v_cmp_u_f32_e64 s0, v17, v17
	v_add3_u32 v20, v54, v19, 0x7fff
	v_add_f32_e32 v13, v15, v13
	v_and_b32_e32 v15, 0xffff0000, v16
	v_bfe_u32 v22, v18, 16, 1
	v_cndmask_b32_e64 v17, v21, v23, s0
	v_or_b32_e32 v21, 0x400000, v19
	v_cmp_u_f32_e64 s0, v19, v19
	v_lshlrev_b32_e32 v16, 16, v68
	v_add_f32_e32 v8, v13, v8
	v_and_b32_e32 v14, 0xffff0000, v17
	v_cndmask_b32_e64 v19, v20, v21, s0
	v_add3_u32 v20, v22, v18, 0x7fff
	v_or_b32_e32 v21, 0x400000, v18
	v_cmp_u_f32_e64 s0, v18, v18
	v_lshlrev_b32_e32 v18, 16, v67
	v_add_f32_e32 v13, v14, v15
	v_mul_f32_e32 v14, v9, v16
	v_lshlrev_b32_e32 v22, 16, v66
	v_cndmask_b32_e64 v17, v20, v21, s0
	v_mul_f32_e32 v16, v3, v18
	v_lshlrev_b32_e32 v18, 16, v64
	v_add_f32_e32 v8, v13, v8
	v_cmp_u_f32_e64 s0, v14, v14
	v_and_b32_e32 v15, 0xffff0000, v17
	v_and_b32_e32 v17, 0xffff0000, v19
	v_bfe_u32 v19, v14, 16, 1
	v_bfe_u32 v20, v16, 16, 1
	v_add_f32_e32 v13, v15, v17
	v_mul_f32_e32 v15, v2, v18
	v_add3_u32 v17, v19, v14, 0x7fff
	v_or_b32_e32 v18, 0x400000, v14
	v_add3_u32 v19, v20, v16, 0x7fff
	v_or_b32_e32 v20, 0x400000, v16
	v_bfe_u32 v21, v15, 16, 1
	v_cndmask_b32_e64 v14, v17, v18, s0
	v_cmp_u_f32_e64 s0, v16, v16
	v_mul_f32_e32 v17, v1, v22
	v_add3_u32 v18, v21, v15, 0x7fff
	v_lshlrev_b32_e32 v21, 16, v62
	v_and_b32_e32 v14, 0xffff0000, v14
	v_cndmask_b32_e64 v16, v19, v20, s0
	v_or_b32_e32 v19, 0x400000, v15
	v_lshlrev_b32_e32 v20, 16, v61
	v_cmp_u_f32_e64 s0, v15, v15
	v_bfe_u32 v22, v17, 16, 1
	v_and_b32_e32 v16, 0xffff0000, v16
	v_cndmask_b32_e64 v15, v18, v19, s0
	v_mul_f32_e32 v18, v4, v20
	v_mul_f32_e32 v19, v6, v21
	v_add3_u32 v20, v22, v17, 0x7fff
	v_or_b32_e32 v21, 0x400000, v17
	v_lshlrev_b32_e32 v22, 16, v65
	v_bfe_u32 v23, v18, 16, 1
	v_cmp_u_f32_e64 s0, v17, v17
	v_bfe_u32 v54, v19, 16, 1
	v_and_b32_e32 v15, 0xffff0000, v15
	v_add_f32_e32 v14, v16, v14
	v_cndmask_b32_e64 v17, v20, v21, s0
	v_mul_f32_e32 v20, v0, v22
	v_add3_u32 v21, v23, v18, 0x7fff
	v_or_b32_e32 v22, 0x400000, v18
	v_cmp_u_f32_e64 s0, v18, v18
	v_add3_u32 v23, v54, v19, 0x7fff
	v_or_b32_e32 v54, 0x400000, v19
	v_bfe_u32 v61, v20, 16, 1
	v_and_b32_e32 v17, 0xffff0000, v17
	v_cndmask_b32_e64 v18, v21, v22, s0
	v_lshlrev_b32_e32 v21, 16, v63
	v_cmp_u_f32_e64 s0, v19, v19
	v_add3_u32 v22, v61, v20, 0x7fff
	v_add_f32_e32 v15, v17, v15
	v_lshlrev_b32_e32 v17, 16, v60
	v_mul_f32_e32 v21, v5, v21
	v_cndmask_b32_e64 v19, v23, v54, s0
	v_or_b32_e32 v23, 0x400000, v20
	v_cmp_u_f32_e64 s0, v20, v20
	v_and_b32_e32 v18, 0xffff0000, v18
	v_add_f32_e32 v14, v15, v14
	v_and_b32_e32 v16, 0xffff0000, v19
	v_mul_f32_e32 v15, v9, v17
	v_cndmask_b32_e64 v20, v22, v23, s0
	v_bfe_u32 v22, v21, 16, 1
	v_cmp_u_f32_e64 s0, v21, v21
	v_add_f32_e32 v16, v16, v18
	v_lshlrev_b32_e32 v18, 16, v59
	v_lshlrev_b32_e32 v23, 16, v53
	v_add3_u32 v19, v22, v21, 0x7fff
	v_or_b32_e32 v22, 0x400000, v21
	v_add_f32_e32 v14, v16, v14
	v_lshlrev_b32_e32 v16, 16, v56
	v_mul_f32_e32 v18, v3, v18
	v_or_b32_e32 v21, 0x400000, v15
	v_cndmask_b32_e64 v17, v19, v22, s0
	v_bfe_u32 v19, v15, 16, 1
	v_cmp_u_f32_e64 s0, v15, v15
	v_mul_f32_e32 v16, v2, v16
	v_bfe_u32 v22, v18, 16, 1
	v_or_b32_e32 v53, 0x400000, v18
	v_add3_u32 v19, v19, v15, 0x7fff
	v_mul_f32_e32 v23, v4, v23
	v_or_b32_e32 v54, 0x400000, v16
	v_add3_u32 v22, v22, v18, 0x7fff
	v_mul_f32_e32 v9, v9, v51
	v_cndmask_b32_e64 v15, v19, v21, s0
	v_lshlrev_b32_e32 v21, 16, v58
	v_bfe_u32 v19, v16, 16, 1
	v_cmp_u_f32_e64 s0, v18, v18
	v_or_b32_e32 v56, 0x400000, v23
	v_and_b32_e32 v15, 0xffff0000, v15
	v_mul_f32_e32 v21, v1, v21
	v_add3_u32 v19, v19, v16, 0x7fff
	v_cndmask_b32_e64 v18, v22, v53, s0
	v_cmp_u_f32_e64 s0, v16, v16
	v_lshlrev_b32_e32 v53, 16, v57
	v_bfe_u32 v22, v21, 16, 1
	v_and_b32_e32 v17, 0xffff0000, v17
	v_and_b32_e32 v18, 0xffff0000, v18
	v_cndmask_b32_e64 v16, v19, v54, s0
	v_bfe_u32 v19, v23, 16, 1
	v_add3_u32 v22, v22, v21, 0x7fff
	v_or_b32_e32 v54, 0x400000, v21
	v_cmp_u_f32_e64 s0, v21, v21
	v_mul_f32_e32 v53, v0, v53
	v_add3_u32 v19, v19, v23, 0x7fff
	v_and_b32_e32 v16, 0xffff0000, v16
	v_add_f32_e32 v15, v18, v15
	v_cndmask_b32_e64 v21, v22, v54, s0
	v_bfe_u32 v22, v52, 16, 1
	v_cmp_u_f32_e64 s0, v23, v23
	v_lshlrev_b32_e32 v23, 16, v55
	v_bfe_u32 v54, v53, 16, 1
	v_or_b32_e32 v55, 0x400000, v52
	v_add3_u32 v22, v22, v52, 0x7fff
	v_cndmask_b32_e64 v19, v19, v56, s0
	v_mul_f32_e32 v23, v5, v23
	v_cmp_u_f32_e64 s0, v52, v52
	v_add3_u32 v54, v54, v53, 0x7fff
	v_or_b32_e32 v56, 0x400000, v53
	v_and_b32_e32 v21, 0xffff0000, v21
	v_and_b32_e32 v19, 0xffff0000, v19
	v_cndmask_b32_e64 v22, v22, v55, s0
	v_cmp_u_f32_e64 s0, v53, v53
	v_bfe_u32 v53, v23, 16, 1
	v_add_f32_e32 v16, v21, v16
	v_lshlrev_b32_e32 v21, 16, v50
	v_and_b32_e32 v18, 0xffff0000, v22
	v_cndmask_b32_e64 v52, v54, v56, s0
	v_add3_u32 v53, v53, v23, 0x7fff
	v_or_b32_e32 v54, 0x400000, v23
	v_cmp_u_f32_e64 s0, v23, v23
	v_add_f32_e32 v15, v16, v15
	v_bfe_u32 v16, v9, 16, 1
	v_add_f32_e32 v18, v18, v19
	v_mul_f32_e32 v3, v3, v21
	v_cndmask_b32_e64 v22, v53, v54, s0
	v_lshlrev_b32_e32 v19, 16, v47
	v_add3_u32 v16, v16, v9, 0x7fff
	v_cmp_u_f32_e64 s0, v9, v9
	v_bfe_u32 v23, v3, 16, 1
	v_and_b32_e32 v21, 0xffff0000, v22
	v_or_b32_e32 v22, 0x400000, v9
	v_mul_f32_e32 v2, v2, v19
	v_lshlrev_b32_e32 v19, 16, v49
	v_and_b32_e32 v20, 0xffff0000, v20
	v_cndmask_b32_e64 v9, v16, v22, s0
	v_add3_u32 v16, v23, v3, 0x7fff
	v_or_b32_e32 v22, 0x400000, v3
	v_bfe_u32 v23, v2, 16, 1
	v_mul_f32_e32 v1, v1, v19
	v_lshlrev_b32_e32 v19, 16, v44
	v_cmp_u_f32_e64 s0, v3, v3
	v_lshlrev_b32_e32 v44, 16, v46
	v_and_b32_e32 v9, 0xffff0000, v9
	v_mul_f32_e32 v4, v4, v19
	v_cndmask_b32_e64 v3, v16, v22, s0
	v_add3_u32 v16, v23, v2, 0x7fff
	v_or_b32_e32 v22, 0x400000, v2
	v_bfe_u32 v23, v1, 16, 1
	v_lshlrev_b32_e32 v19, 16, v45
	v_cmp_u_f32_e64 s0, v2, v2
	v_mul_f32_e32 v5, v5, v44
	v_and_b32_e32 v3, 0xffff0000, v3
	v_mul_f32_e32 v6, v6, v19
	v_cndmask_b32_e64 v2, v16, v22, s0
	v_add3_u32 v16, v23, v1, 0x7fff
	v_or_b32_e32 v22, 0x400000, v1
	v_bfe_u32 v23, v4, 16, 1
	v_lshlrev_b32_e32 v19, 16, v48
	v_cmp_u_f32_e64 s0, v1, v1
	v_bfe_u32 v45, v5, 16, 1
	v_and_b32_e32 v2, 0xffff0000, v2
	v_add_f32_e32 v3, v3, v9
	v_mul_f32_e32 v0, v0, v19
	v_cndmask_b32_e64 v1, v16, v22, s0
	v_bfe_u32 v16, v6, 16, 1
	v_add3_u32 v22, v23, v4, 0x7fff
	v_or_b32_e32 v19, 0x400000, v4
	v_cmp_u_f32_e64 s0, v4, v4
	v_or_b32_e32 v23, 0x400000, v6
	v_add3_u32 v16, v16, v6, 0x7fff
	v_bfe_u32 v44, v0, 16, 1
	v_and_b32_e32 v1, 0xffff0000, v1
	v_cndmask_b32_e64 v4, v22, v19, s0
	v_cmp_u_f32_e64 s0, v6, v6
	v_add3_u32 v19, v45, v5, 0x7fff
	v_or_b32_e32 v22, 0x400000, v5
	v_add_f32_e32 v1, v1, v2
	v_and_b32_e32 v4, 0xffff0000, v4
	v_cndmask_b32_e64 v6, v16, v23, s0
	v_cmp_u_f32_e64 s0, v5, v5
	v_add3_u32 v16, v44, v0, 0x7fff
	v_or_b32_e32 v23, 0x400000, v0
	v_add_f32_e32 v1, v1, v3
	v_and_b32_e32 v2, 0xffff0000, v6
	v_cndmask_b32_e64 v5, v19, v22, s0
	v_cmp_u_f32_e64 s0, v0, v0
	v_and_b32_e32 v6, 0xffff0000, v52
	v_add_f32_e32 v2, v2, v4
	v_and_b32_e32 v3, 0xffff0000, v5
	v_cndmask_b32_e64 v0, v16, v23, s0
	v_add_f32_e32 v4, v17, v20
	v_add_f32_e32 v5, v18, v15
	;; [unrolled: 1-line block ×4, first 2 shown]
	v_and_b32_e32 v0, 0xffff0000, v0
	v_add_f32_e32 v2, v13, v8
	v_cmp_le_i32_e64 s0, s12, v43
	v_add_f32_e32 v0, v3, v0
	v_add_f32_e32 v3, v4, v14
	;; [unrolled: 1-line block ×4, first 2 shown]
	s_or_b32 s17, s0, s17
	v_add_f32_e32 v0, v0, v1
	v_add_f32_e32 v31, v31, v3
	;; [unrolled: 1-line block ×4, first 2 shown]
	s_andn2_b32 exec_lo, exec_lo, s17
	s_cbranch_execz .LBB338_1010
.LBB338_513:                            ; =>This Inner Loop Header: Depth=1
	global_load_dword v0, v[11:12], off
	s_waitcnt vmcnt(0)
	v_mad_i64_i32 v[13:14], null, v0, s13, s[2:3]
	v_mov_b32_e32 v0, 0
	v_add_co_u32 v15, s0, v13, v34
	v_add_co_ci_u32_e64 v16, null, 0, v14, s0
	global_load_dwordx2 v[17:18], v[15:16], off
	ds_read2_b64 v[5:8], v37 offset1:1
	ds_read2_b64 v[1:4], v37 offset0:2 offset1:3
	s_waitcnt vmcnt(0)
	v_cmp_ne_u16_sdwa s0, v17, v10 src0_sel:BYTE_0 src1_sel:DWORD
	s_and_saveexec_b32 s1, s0
	s_cbranch_execz .LBB338_519
; %bb.514:                              ;   in Loop: Header=BB338_513 Depth=1
	v_cmp_ne_u16_sdwa s0, v17, v38 src0_sel:BYTE_0 src1_sel:DWORD
	v_bfrev_b32_e32 v0, 1
	s_and_saveexec_b32 s18, s0
	s_cbranch_execz .LBB338_518
; %bb.515:                              ;   in Loop: Header=BB338_513 Depth=1
	v_and_b32_e32 v9, 0x7f, v17
	v_mov_b32_e32 v0, 0x7f800001
	s_mov_b32 s19, exec_lo
	v_cmpx_ne_u32_e32 0x7f, v9
	s_cbranch_execz .LBB338_517
; %bb.516:                              ;   in Loop: Header=BB338_513 Depth=1
	v_and_b32_e32 v0, 7, v17
	v_cmp_gt_u32_e64 s0, 8, v9
	v_lshrrev_b32_e32 v19, 3, v9
	v_ffbh_u32_e32 v0, v0
	v_min_u32_e32 v0, 32, v0
	v_subrev_nc_u32_e32 v20, 28, v0
	v_sub_nc_u32_e32 v0, 29, v0
	v_cndmask_b32_e64 v9, 0, v20, s0
	v_cndmask_b32_e64 v0, v19, v0, s0
	v_lshlrev_b64 v[19:20], v9, v[17:18]
	v_lshlrev_b32_e32 v9, 24, v17
	v_lshl_add_u32 v0, v0, 23, 0x3c000000
	v_and_b32_e32 v9, 0x80000000, v9
	v_lshlrev_b32_e32 v19, 20, v19
	v_and_b32_e32 v19, 0x700000, v19
	v_or3_b32 v0, v19, v9, v0
.LBB338_517:                            ;   in Loop: Header=BB338_513 Depth=1
	s_or_b32 exec_lo, exec_lo, s19
.LBB338_518:                            ;   in Loop: Header=BB338_513 Depth=1
	s_or_b32 exec_lo, exec_lo, s18
.LBB338_519:                            ;   in Loop: Header=BB338_513 Depth=1
	s_or_b32 exec_lo, exec_lo, s1
	v_cmp_ne_u16_sdwa s0, v17, v10 src0_sel:BYTE_1 src1_sel:DWORD
	v_mov_b32_e32 v22, 0
	v_mov_b32_e32 v21, 0
	s_and_saveexec_b32 s1, s0
	s_cbranch_execz .LBB338_527
; %bb.520:                              ;   in Loop: Header=BB338_513 Depth=1
	v_cmp_ne_u16_sdwa s0, v17, v38 src0_sel:BYTE_1 src1_sel:DWORD
	v_bfrev_b32_e32 v21, 1
	s_and_saveexec_b32 s18, s0
	s_cbranch_execz .LBB338_526
; %bb.521:                              ;   in Loop: Header=BB338_513 Depth=1
	v_and_b32_sdwa v9, v39, v17 dst_sel:DWORD dst_unused:UNUSED_PAD src0_sel:DWORD src1_sel:BYTE_1
	v_mov_b32_e32 v21, 0x7f800001
	s_mov_b32 s19, exec_lo
	v_and_b32_e32 v20, 0x7f, v9
	v_cmpx_ne_u32_e32 0x7f, v20
	s_cbranch_execz .LBB338_525
; %bb.522:                              ;   in Loop: Header=BB338_513 Depth=1
	v_and_b32_e32 v9, 7, v9
	v_lshrrev_b32_e32 v19, 3, v20
	s_mov_b32 s22, exec_lo
	v_cmpx_gt_u32_e32 8, v20
; %bb.523:                              ;   in Loop: Header=BB338_513 Depth=1
	v_ffbh_u32_e32 v19, v9
	v_min_u32_e32 v19, 32, v19
	v_subrev_nc_u32_e32 v20, 28, v19
	v_sub_nc_u32_e32 v19, 29, v19
	v_lshlrev_b64 v[20:21], v20, v[9:10]
	v_and_b32_e32 v9, 7, v20
; %bb.524:                              ;   in Loop: Header=BB338_513 Depth=1
	s_or_b32 exec_lo, exec_lo, s22
	v_lshlrev_b32_e32 v20, 16, v17
	v_lshlrev_b32_e32 v9, 20, v9
	v_lshl_add_u32 v19, v19, 23, 0x3c000000
	v_and_b32_e32 v20, 0x80000000, v20
	v_or3_b32 v21, v9, v20, v19
.LBB338_525:                            ;   in Loop: Header=BB338_513 Depth=1
	s_or_b32 exec_lo, exec_lo, s19
.LBB338_526:                            ;   in Loop: Header=BB338_513 Depth=1
	s_or_b32 exec_lo, exec_lo, s18
.LBB338_527:                            ;   in Loop: Header=BB338_513 Depth=1
	s_or_b32 exec_lo, exec_lo, s1
	v_and_b32_sdwa v9, v17, v40 dst_sel:DWORD dst_unused:UNUSED_PAD src0_sel:WORD_1 src1_sel:DWORD
	s_mov_b32 s1, exec_lo
	v_cmpx_ne_u16_e32 0, v9
	s_cbranch_execz .LBB338_535
; %bb.528:                              ;   in Loop: Header=BB338_513 Depth=1
	v_bfrev_b32_e32 v22, 1
	s_mov_b32 s18, exec_lo
	v_cmpx_ne_u16_e32 0x80, v9
	s_cbranch_execz .LBB338_534
; %bb.529:                              ;   in Loop: Header=BB338_513 Depth=1
	v_bfe_u32 v20, v17, 16, 7
	v_mov_b32_e32 v22, 0x7f800001
	s_mov_b32 s19, exec_lo
	v_cmpx_ne_u32_e32 0x7f, v20
	s_cbranch_execz .LBB338_533
; %bb.530:                              ;   in Loop: Header=BB338_513 Depth=1
	v_and_b32_sdwa v9, v17, v41 dst_sel:DWORD dst_unused:UNUSED_PAD src0_sel:WORD_1 src1_sel:DWORD
	v_lshrrev_b32_e32 v19, 3, v20
	s_mov_b32 s22, exec_lo
	v_cmpx_gt_u32_e32 8, v20
; %bb.531:                              ;   in Loop: Header=BB338_513 Depth=1
	v_ffbh_u32_e32 v19, v9
	v_min_u32_e32 v19, 32, v19
	v_subrev_nc_u32_e32 v20, 28, v19
	v_sub_nc_u32_e32 v19, 29, v19
	v_lshlrev_b64 v[22:23], v20, v[9:10]
	v_and_b32_e32 v9, 7, v22
; %bb.532:                              ;   in Loop: Header=BB338_513 Depth=1
	s_or_b32 exec_lo, exec_lo, s22
	v_lshlrev_b32_sdwa v20, v42, v17 dst_sel:DWORD dst_unused:UNUSED_PAD src0_sel:DWORD src1_sel:WORD_1
	v_lshlrev_b32_e32 v9, 20, v9
	v_lshl_add_u32 v19, v19, 23, 0x3c000000
	v_and_b32_e32 v20, 0x80000000, v20
	v_or3_b32 v22, v9, v20, v19
.LBB338_533:                            ;   in Loop: Header=BB338_513 Depth=1
	s_or_b32 exec_lo, exec_lo, s19
.LBB338_534:                            ;   in Loop: Header=BB338_513 Depth=1
	s_or_b32 exec_lo, exec_lo, s18
.LBB338_535:                            ;   in Loop: Header=BB338_513 Depth=1
	s_or_b32 exec_lo, exec_lo, s1
	v_mov_b32_e32 v23, 0
	v_mov_b32_e32 v44, 0
	s_mov_b32 s1, exec_lo
	v_cmpx_lt_u32_e32 0xffffff, v17
	s_cbranch_execz .LBB338_543
; %bb.536:                              ;   in Loop: Header=BB338_513 Depth=1
	v_cmp_ne_u32_sdwa s0, v17, v38 src0_sel:BYTE_3 src1_sel:DWORD
	v_bfrev_b32_e32 v44, 1
	s_and_saveexec_b32 s18, s0
	s_cbranch_execz .LBB338_542
; %bb.537:                              ;   in Loop: Header=BB338_513 Depth=1
	v_bfe_u32 v20, v17, 24, 7
	v_mov_b32_e32 v44, 0x7f800001
	s_mov_b32 s19, exec_lo
	v_cmpx_ne_u32_e32 0x7f, v20
	s_cbranch_execz .LBB338_541
; %bb.538:                              ;   in Loop: Header=BB338_513 Depth=1
	v_and_b32_sdwa v9, v17, v41 dst_sel:DWORD dst_unused:UNUSED_PAD src0_sel:BYTE_3 src1_sel:DWORD
	v_lshrrev_b32_e32 v19, 3, v20
	s_mov_b32 s22, exec_lo
	v_cmpx_gt_u32_e32 8, v20
; %bb.539:                              ;   in Loop: Header=BB338_513 Depth=1
	v_ffbh_u32_e32 v19, v9
	v_min_u32_e32 v19, 32, v19
	v_subrev_nc_u32_e32 v20, 28, v19
	v_sub_nc_u32_e32 v19, 29, v19
	v_lshlrev_b64 v[44:45], v20, v[9:10]
	v_and_b32_e32 v9, 7, v44
; %bb.540:                              ;   in Loop: Header=BB338_513 Depth=1
	s_or_b32 exec_lo, exec_lo, s22
	v_lshlrev_b32_sdwa v20, v42, v17 dst_sel:DWORD dst_unused:UNUSED_PAD src0_sel:DWORD src1_sel:BYTE_3
	v_lshlrev_b32_e32 v9, 20, v9
	v_lshl_add_u32 v19, v19, 23, 0x3c000000
	v_and_b32_e32 v20, 0x80000000, v20
	v_or3_b32 v44, v9, v20, v19
.LBB338_541:                            ;   in Loop: Header=BB338_513 Depth=1
	s_or_b32 exec_lo, exec_lo, s19
.LBB338_542:                            ;   in Loop: Header=BB338_513 Depth=1
	s_or_b32 exec_lo, exec_lo, s18
.LBB338_543:                            ;   in Loop: Header=BB338_513 Depth=1
	s_or_b32 exec_lo, exec_lo, s1
	v_mov_b32_e32 v9, v18
	v_cmp_ne_u16_sdwa s0, v18, v10 src0_sel:BYTE_0 src1_sel:DWORD
	s_and_saveexec_b32 s1, s0
	s_cbranch_execz .LBB338_549
; %bb.544:                              ;   in Loop: Header=BB338_513 Depth=1
	v_cmp_ne_u16_sdwa s0, v18, v38 src0_sel:BYTE_0 src1_sel:DWORD
	v_bfrev_b32_e32 v23, 1
	s_and_saveexec_b32 s18, s0
	s_cbranch_execz .LBB338_548
; %bb.545:                              ;   in Loop: Header=BB338_513 Depth=1
	v_and_b32_e32 v19, 0x7f, v18
	v_mov_b32_e32 v23, 0x7f800001
	s_mov_b32 s19, exec_lo
	v_cmpx_ne_u32_e32 0x7f, v19
	s_cbranch_execz .LBB338_547
; %bb.546:                              ;   in Loop: Header=BB338_513 Depth=1
	v_and_b32_e32 v20, 7, v18
	v_cmp_gt_u32_e64 s0, 8, v19
	v_lshrrev_b32_e32 v23, 3, v19
	v_ffbh_u32_e32 v20, v20
	v_min_u32_e32 v20, 32, v20
	v_subrev_nc_u32_e32 v45, 28, v20
	v_sub_nc_u32_e32 v20, 29, v20
	v_cndmask_b32_e64 v19, 0, v45, s0
	v_cndmask_b32_e64 v23, v23, v20, s0
	v_lshlrev_b64 v[19:20], v19, v[9:10]
	v_lshlrev_b32_e32 v20, 24, v9
	v_lshl_add_u32 v23, v23, 23, 0x3c000000
	v_lshlrev_b32_e32 v19, 20, v19
	v_and_b32_e32 v20, 0x80000000, v20
	v_and_b32_e32 v19, 0x700000, v19
	v_or3_b32 v23, v19, v20, v23
.LBB338_547:                            ;   in Loop: Header=BB338_513 Depth=1
	s_or_b32 exec_lo, exec_lo, s19
.LBB338_548:                            ;   in Loop: Header=BB338_513 Depth=1
	s_or_b32 exec_lo, exec_lo, s18
.LBB338_549:                            ;   in Loop: Header=BB338_513 Depth=1
	s_or_b32 exec_lo, exec_lo, s1
	v_cmp_ne_u16_sdwa s0, v9, v10 src0_sel:BYTE_1 src1_sel:DWORD
	v_mov_b32_e32 v46, 0
	v_mov_b32_e32 v19, 0
	s_and_saveexec_b32 s1, s0
	s_cbranch_execz .LBB338_557
; %bb.550:                              ;   in Loop: Header=BB338_513 Depth=1
	v_cmp_ne_u16_sdwa s0, v9, v38 src0_sel:BYTE_1 src1_sel:DWORD
	v_bfrev_b32_e32 v19, 1
	s_and_saveexec_b32 s18, s0
	s_cbranch_execz .LBB338_556
; %bb.551:                              ;   in Loop: Header=BB338_513 Depth=1
	v_and_b32_sdwa v20, v39, v9 dst_sel:DWORD dst_unused:UNUSED_PAD src0_sel:DWORD src1_sel:BYTE_1
	v_mov_b32_e32 v19, 0x7f800001
	s_mov_b32 s19, exec_lo
	v_and_b32_e32 v47, 0x7f, v20
	v_cmpx_ne_u32_e32 0x7f, v47
	s_cbranch_execz .LBB338_555
; %bb.552:                              ;   in Loop: Header=BB338_513 Depth=1
	v_and_b32_e32 v19, 7, v20
	v_mov_b32_e32 v20, v10
	v_lshrrev_b32_e32 v45, 3, v47
	s_mov_b32 s22, exec_lo
	v_cmpx_gt_u32_e32 8, v47
; %bb.553:                              ;   in Loop: Header=BB338_513 Depth=1
	v_ffbh_u32_e32 v45, v19
	v_min_u32_e32 v45, 32, v45
	v_subrev_nc_u32_e32 v47, 28, v45
	v_sub_nc_u32_e32 v45, 29, v45
	v_lshlrev_b64 v[19:20], v47, v[19:20]
	v_and_b32_e32 v19, 7, v19
; %bb.554:                              ;   in Loop: Header=BB338_513 Depth=1
	s_or_b32 exec_lo, exec_lo, s22
	v_lshlrev_b32_e32 v9, 16, v9
	v_lshlrev_b32_e32 v19, 20, v19
	v_lshl_add_u32 v20, v45, 23, 0x3c000000
	v_and_b32_e32 v9, 0x80000000, v9
	v_or3_b32 v19, v19, v9, v20
.LBB338_555:                            ;   in Loop: Header=BB338_513 Depth=1
	s_or_b32 exec_lo, exec_lo, s19
.LBB338_556:                            ;   in Loop: Header=BB338_513 Depth=1
	s_or_b32 exec_lo, exec_lo, s18
.LBB338_557:                            ;   in Loop: Header=BB338_513 Depth=1
	s_or_b32 exec_lo, exec_lo, s1
	v_and_b32_sdwa v9, v18, v40 dst_sel:DWORD dst_unused:UNUSED_PAD src0_sel:WORD_1 src1_sel:DWORD
	s_mov_b32 s1, exec_lo
	v_cmpx_ne_u16_e32 0, v9
	s_cbranch_execz .LBB338_565
; %bb.558:                              ;   in Loop: Header=BB338_513 Depth=1
	v_bfrev_b32_e32 v46, 1
	s_mov_b32 s18, exec_lo
	v_cmpx_ne_u16_e32 0x80, v9
	s_cbranch_execz .LBB338_564
; %bb.559:                              ;   in Loop: Header=BB338_513 Depth=1
	v_bfe_u32 v45, v18, 16, 7
	v_mov_b32_e32 v46, 0x7f800001
	s_mov_b32 s19, exec_lo
	v_cmpx_ne_u32_e32 0x7f, v45
	s_cbranch_execz .LBB338_563
; %bb.560:                              ;   in Loop: Header=BB338_513 Depth=1
	v_and_b32_sdwa v9, v18, v41 dst_sel:DWORD dst_unused:UNUSED_PAD src0_sel:WORD_1 src1_sel:DWORD
	v_lshrrev_b32_e32 v20, 3, v45
	s_mov_b32 s22, exec_lo
	v_cmpx_gt_u32_e32 8, v45
; %bb.561:                              ;   in Loop: Header=BB338_513 Depth=1
	v_ffbh_u32_e32 v20, v9
	v_min_u32_e32 v20, 32, v20
	v_subrev_nc_u32_e32 v45, 28, v20
	v_sub_nc_u32_e32 v20, 29, v20
	v_lshlrev_b64 v[45:46], v45, v[9:10]
	v_and_b32_e32 v9, 7, v45
; %bb.562:                              ;   in Loop: Header=BB338_513 Depth=1
	s_or_b32 exec_lo, exec_lo, s22
	v_lshlrev_b32_sdwa v45, v42, v18 dst_sel:DWORD dst_unused:UNUSED_PAD src0_sel:DWORD src1_sel:WORD_1
	v_lshlrev_b32_e32 v9, 20, v9
	v_lshl_add_u32 v20, v20, 23, 0x3c000000
	v_and_b32_e32 v45, 0x80000000, v45
	v_or3_b32 v46, v9, v45, v20
.LBB338_563:                            ;   in Loop: Header=BB338_513 Depth=1
	s_or_b32 exec_lo, exec_lo, s19
.LBB338_564:                            ;   in Loop: Header=BB338_513 Depth=1
	s_or_b32 exec_lo, exec_lo, s18
.LBB338_565:                            ;   in Loop: Header=BB338_513 Depth=1
	s_or_b32 exec_lo, exec_lo, s1
	v_mov_b32_e32 v9, 0
	s_mov_b32 s1, exec_lo
	v_cmpx_lt_u64_e64 s[4:5], v[17:18]
	s_cbranch_execz .LBB338_573
; %bb.566:                              ;   in Loop: Header=BB338_513 Depth=1
	v_cmp_ne_u32_sdwa s0, v18, v38 src0_sel:BYTE_3 src1_sel:DWORD
	v_bfrev_b32_e32 v9, 1
	s_and_saveexec_b32 s18, s0
	s_cbranch_execz .LBB338_572
; %bb.567:                              ;   in Loop: Header=BB338_513 Depth=1
	v_bfe_u32 v20, v18, 24, 7
	v_mov_b32_e32 v9, 0x7f800001
	s_mov_b32 s19, exec_lo
	v_cmpx_ne_u32_e32 0x7f, v20
	s_cbranch_execz .LBB338_571
; %bb.568:                              ;   in Loop: Header=BB338_513 Depth=1
	v_and_b32_sdwa v9, v18, v41 dst_sel:DWORD dst_unused:UNUSED_PAD src0_sel:BYTE_3 src1_sel:DWORD
	v_lshrrev_b32_e32 v17, 3, v20
	s_mov_b32 s22, exec_lo
	v_cmpx_gt_u32_e32 8, v20
; %bb.569:                              ;   in Loop: Header=BB338_513 Depth=1
	v_ffbh_u32_e32 v17, v9
	v_min_u32_e32 v17, 32, v17
	v_subrev_nc_u32_e32 v20, 28, v17
	v_sub_nc_u32_e32 v17, 29, v17
	v_lshlrev_b64 v[47:48], v20, v[9:10]
	v_and_b32_e32 v9, 7, v47
; %bb.570:                              ;   in Loop: Header=BB338_513 Depth=1
	s_or_b32 exec_lo, exec_lo, s22
	v_lshlrev_b32_sdwa v18, v42, v18 dst_sel:DWORD dst_unused:UNUSED_PAD src0_sel:DWORD src1_sel:BYTE_3
	v_lshlrev_b32_e32 v9, 20, v9
	v_lshl_add_u32 v17, v17, 23, 0x3c000000
	v_and_b32_e32 v18, 0x80000000, v18
	v_or3_b32 v9, v9, v18, v17
.LBB338_571:                            ;   in Loop: Header=BB338_513 Depth=1
	s_or_b32 exec_lo, exec_lo, s19
.LBB338_572:                            ;   in Loop: Header=BB338_513 Depth=1
	s_or_b32 exec_lo, exec_lo, s18
.LBB338_573:                            ;   in Loop: Header=BB338_513 Depth=1
	s_or_b32 exec_lo, exec_lo, s1
	s_waitcnt lgkmcnt(0)
	v_mul_f32_e32 v17, s16, v19
	v_mul_f32_e32 v18, s16, v23
	;; [unrolled: 1-line block ×5, first 2 shown]
	v_bfe_u32 v20, v17, 16, 1
	v_or_b32_e32 v23, 0x400000, v17
	v_bfe_u32 v44, v18, 16, 1
	v_cmp_u_f32_e64 s1, v17, v17
	v_or_b32_e32 v45, 0x400000, v18
	v_add3_u32 v20, v20, v17, 0x7fff
	v_bfe_u32 v47, v19, 16, 1
	v_add3_u32 v44, v44, v18, 0x7fff
	v_or_b32_e32 v48, 0x400000, v19
	v_mul_f32_e32 v9, s16, v9
	v_cndmask_b32_e64 v17, v20, v23, s1
	v_cmp_u_f32_e64 s1, v18, v18
	v_add3_u32 v23, v47, v19, 0x7fff
	v_bfe_u32 v20, v22, 16, 1
	v_add_nc_u32_e32 v54, -7, v36
	v_cmp_eq_u32_e64 s0, s15, v43
	v_cndmask_b32_e64 v18, v44, v45, s1
	v_cmp_u_f32_e64 s1, v19, v19
	v_lshrrev_b32_e32 v44, 16, v17
	v_mul_f32_e32 v19, s16, v21
	v_add3_u32 v20, v20, v22, 0x7fff
	v_or_b32_e32 v21, 0x400000, v22
	v_cndmask_b32_e64 v17, v23, v48, s1
	v_cmp_u_f32_e64 s1, v22, v22
	v_lshrrev_b32_e32 v45, 16, v18
	v_bfe_u32 v22, v0, 16, 1
	v_or_b32_e32 v48, 0x400000, v9
	v_lshrrev_b32_e32 v47, 16, v17
	v_bfe_u32 v17, v19, 16, 1
	v_cndmask_b32_e64 v18, v20, v21, s1
	v_mul_f32_e32 v20, s16, v46
	v_or_b32_e32 v21, 0x400000, v19
	v_cmp_u_f32_e64 s1, v19, v19
	v_add3_u32 v17, v17, v19, 0x7fff
	v_bfe_u32 v19, v9, 16, 1
	v_bfe_u32 v23, v20, 16, 1
	v_or_b32_e32 v46, 0x400000, v20
	v_lshrrev_b32_e32 v49, 16, v18
	v_cndmask_b32_e64 v17, v17, v21, s1
	v_add3_u32 v21, v22, v0, 0x7fff
	v_or_b32_e32 v22, 0x400000, v0
	v_cmp_u_f32_e64 s1, v0, v0
	v_add3_u32 v23, v23, v20, 0x7fff
	v_add3_u32 v19, v19, v9, 0x7fff
	v_lshrrev_b32_e32 v51, 16, v17
	v_cndmask_b32_e64 v0, v21, v22, s1
	v_cmp_u_f32_e64 s1, v20, v20
	v_lshrrev_b32_e32 v50, 16, v0
	v_cndmask_b32_e64 v20, v23, v46, s1
	v_cmp_u_f32_e64 s1, v9, v9
	v_lshrrev_b32_e32 v46, 16, v20
	v_cndmask_b32_e64 v9, v19, v48, s1
	v_lshrrev_b32_e32 v48, 16, v9
	s_and_saveexec_b32 s18, s0
	s_cbranch_execz .LBB338_575
; %bb.574:                              ;   in Loop: Header=BB338_513 Depth=1
	v_add_nc_u32_e32 v0, -6, v36
	v_cmp_gt_i32_e64 s1, s11, v54
	v_add_nc_u32_e32 v9, -5, v36
	v_add_nc_u32_e32 v17, -2, v36
	v_cndmask_b32_e64 v50, 0, v50, s1
	v_cmp_gt_i32_e64 s1, s11, v0
	v_add_nc_u32_e32 v0, -4, v36
	v_cndmask_b32_e64 v51, 0, v51, s1
	v_cmp_gt_i32_e64 s1, s11, v9
	;; [unrolled: 3-line block ×4, first 2 shown]
	v_cndmask_b32_e64 v45, 0, v45, s1
	v_cmp_gt_i32_e64 s1, s11, v17
	v_cndmask_b32_e64 v44, 0, v44, s1
	v_cmp_gt_i32_e64 s1, s11, v0
	;; [unrolled: 2-line block ×3, first 2 shown]
	v_cndmask_b32_e64 v48, 0, v48, s1
.LBB338_575:                            ;   in Loop: Header=BB338_513 Depth=1
	s_or_b32 exec_lo, exec_lo, s18
	global_load_dwordx2 v[17:18], v[15:16], off offset:256
	v_mov_b32_e32 v21, 0
	v_mov_b32_e32 v0, 0
	s_waitcnt vmcnt(0)
	v_cmp_ne_u16_sdwa s1, v17, v10 src0_sel:BYTE_0 src1_sel:DWORD
	s_and_saveexec_b32 s18, s1
	s_cbranch_execz .LBB338_581
; %bb.576:                              ;   in Loop: Header=BB338_513 Depth=1
	v_cmp_ne_u16_sdwa s1, v17, v38 src0_sel:BYTE_0 src1_sel:DWORD
	v_bfrev_b32_e32 v0, 1
	s_and_saveexec_b32 s19, s1
	s_cbranch_execz .LBB338_580
; %bb.577:                              ;   in Loop: Header=BB338_513 Depth=1
	v_and_b32_e32 v9, 0x7f, v17
	v_mov_b32_e32 v0, 0x7f800001
	s_mov_b32 s22, exec_lo
	v_cmpx_ne_u32_e32 0x7f, v9
	s_cbranch_execz .LBB338_579
; %bb.578:                              ;   in Loop: Header=BB338_513 Depth=1
	v_and_b32_e32 v0, 7, v17
	v_cmp_gt_u32_e64 s1, 8, v9
	v_lshrrev_b32_e32 v19, 3, v9
	v_ffbh_u32_e32 v0, v0
	v_min_u32_e32 v0, 32, v0
	v_subrev_nc_u32_e32 v20, 28, v0
	v_sub_nc_u32_e32 v0, 29, v0
	v_cndmask_b32_e64 v9, 0, v20, s1
	v_cndmask_b32_e64 v0, v19, v0, s1
	v_lshlrev_b64 v[19:20], v9, v[17:18]
	v_lshlrev_b32_e32 v9, 24, v17
	v_lshl_add_u32 v0, v0, 23, 0x3c000000
	v_and_b32_e32 v9, 0x80000000, v9
	v_lshlrev_b32_e32 v19, 20, v19
	v_and_b32_e32 v19, 0x700000, v19
	v_or3_b32 v0, v19, v9, v0
.LBB338_579:                            ;   in Loop: Header=BB338_513 Depth=1
	s_or_b32 exec_lo, exec_lo, s22
.LBB338_580:                            ;   in Loop: Header=BB338_513 Depth=1
	s_or_b32 exec_lo, exec_lo, s19
.LBB338_581:                            ;   in Loop: Header=BB338_513 Depth=1
	s_or_b32 exec_lo, exec_lo, s18
	v_cmp_ne_u16_sdwa s1, v17, v10 src0_sel:BYTE_1 src1_sel:DWORD
	s_and_saveexec_b32 s18, s1
	s_cbranch_execz .LBB338_589
; %bb.582:                              ;   in Loop: Header=BB338_513 Depth=1
	v_cmp_ne_u16_sdwa s1, v17, v38 src0_sel:BYTE_1 src1_sel:DWORD
	v_bfrev_b32_e32 v21, 1
	s_and_saveexec_b32 s19, s1
	s_cbranch_execz .LBB338_588
; %bb.583:                              ;   in Loop: Header=BB338_513 Depth=1
	v_and_b32_sdwa v9, v39, v17 dst_sel:DWORD dst_unused:UNUSED_PAD src0_sel:DWORD src1_sel:BYTE_1
	v_mov_b32_e32 v21, 0x7f800001
	s_mov_b32 s22, exec_lo
	v_and_b32_e32 v20, 0x7f, v9
	v_cmpx_ne_u32_e32 0x7f, v20
	s_cbranch_execz .LBB338_587
; %bb.584:                              ;   in Loop: Header=BB338_513 Depth=1
	v_and_b32_e32 v9, 7, v9
	v_lshrrev_b32_e32 v19, 3, v20
	s_mov_b32 s23, exec_lo
	v_cmpx_gt_u32_e32 8, v20
; %bb.585:                              ;   in Loop: Header=BB338_513 Depth=1
	v_ffbh_u32_e32 v19, v9
	v_min_u32_e32 v19, 32, v19
	v_subrev_nc_u32_e32 v20, 28, v19
	v_sub_nc_u32_e32 v19, 29, v19
	v_lshlrev_b64 v[20:21], v20, v[9:10]
	v_and_b32_e32 v9, 7, v20
; %bb.586:                              ;   in Loop: Header=BB338_513 Depth=1
	s_or_b32 exec_lo, exec_lo, s23
	v_lshlrev_b32_e32 v20, 16, v17
	v_lshlrev_b32_e32 v9, 20, v9
	v_lshl_add_u32 v19, v19, 23, 0x3c000000
	v_and_b32_e32 v20, 0x80000000, v20
	v_or3_b32 v21, v9, v20, v19
.LBB338_587:                            ;   in Loop: Header=BB338_513 Depth=1
	s_or_b32 exec_lo, exec_lo, s22
.LBB338_588:                            ;   in Loop: Header=BB338_513 Depth=1
	s_or_b32 exec_lo, exec_lo, s19
.LBB338_589:                            ;   in Loop: Header=BB338_513 Depth=1
	s_or_b32 exec_lo, exec_lo, s18
	v_and_b32_sdwa v9, v17, v40 dst_sel:DWORD dst_unused:UNUSED_PAD src0_sel:WORD_1 src1_sel:DWORD
	v_mov_b32_e32 v23, 0
	v_mov_b32_e32 v22, 0
	s_mov_b32 s18, exec_lo
	v_cmpx_ne_u16_e32 0, v9
	s_cbranch_execz .LBB338_597
; %bb.590:                              ;   in Loop: Header=BB338_513 Depth=1
	v_bfrev_b32_e32 v22, 1
	s_mov_b32 s19, exec_lo
	v_cmpx_ne_u16_e32 0x80, v9
	s_cbranch_execz .LBB338_596
; %bb.591:                              ;   in Loop: Header=BB338_513 Depth=1
	v_bfe_u32 v20, v17, 16, 7
	v_mov_b32_e32 v22, 0x7f800001
	s_mov_b32 s22, exec_lo
	v_cmpx_ne_u32_e32 0x7f, v20
	s_cbranch_execz .LBB338_595
; %bb.592:                              ;   in Loop: Header=BB338_513 Depth=1
	v_and_b32_sdwa v9, v17, v41 dst_sel:DWORD dst_unused:UNUSED_PAD src0_sel:WORD_1 src1_sel:DWORD
	v_lshrrev_b32_e32 v19, 3, v20
	s_mov_b32 s23, exec_lo
	v_cmpx_gt_u32_e32 8, v20
; %bb.593:                              ;   in Loop: Header=BB338_513 Depth=1
	v_ffbh_u32_e32 v19, v9
	v_min_u32_e32 v19, 32, v19
	v_subrev_nc_u32_e32 v20, 28, v19
	v_sub_nc_u32_e32 v19, 29, v19
	v_lshlrev_b64 v[52:53], v20, v[9:10]
	v_and_b32_e32 v9, 7, v52
; %bb.594:                              ;   in Loop: Header=BB338_513 Depth=1
	s_or_b32 exec_lo, exec_lo, s23
	v_lshlrev_b32_sdwa v20, v42, v17 dst_sel:DWORD dst_unused:UNUSED_PAD src0_sel:DWORD src1_sel:WORD_1
	v_lshlrev_b32_e32 v9, 20, v9
	v_lshl_add_u32 v19, v19, 23, 0x3c000000
	v_and_b32_e32 v20, 0x80000000, v20
	v_or3_b32 v22, v9, v20, v19
.LBB338_595:                            ;   in Loop: Header=BB338_513 Depth=1
	s_or_b32 exec_lo, exec_lo, s22
.LBB338_596:                            ;   in Loop: Header=BB338_513 Depth=1
	s_or_b32 exec_lo, exec_lo, s19
.LBB338_597:                            ;   in Loop: Header=BB338_513 Depth=1
	s_or_b32 exec_lo, exec_lo, s18
	s_mov_b32 s18, exec_lo
	v_cmpx_lt_u32_e32 0xffffff, v17
	s_cbranch_execz .LBB338_605
; %bb.598:                              ;   in Loop: Header=BB338_513 Depth=1
	v_cmp_ne_u32_sdwa s1, v17, v38 src0_sel:BYTE_3 src1_sel:DWORD
	v_bfrev_b32_e32 v23, 1
	s_and_saveexec_b32 s19, s1
	s_cbranch_execz .LBB338_604
; %bb.599:                              ;   in Loop: Header=BB338_513 Depth=1
	v_bfe_u32 v20, v17, 24, 7
	v_mov_b32_e32 v23, 0x7f800001
	s_mov_b32 s22, exec_lo
	v_cmpx_ne_u32_e32 0x7f, v20
	s_cbranch_execz .LBB338_603
; %bb.600:                              ;   in Loop: Header=BB338_513 Depth=1
	v_and_b32_sdwa v9, v17, v41 dst_sel:DWORD dst_unused:UNUSED_PAD src0_sel:BYTE_3 src1_sel:DWORD
	v_lshrrev_b32_e32 v19, 3, v20
	s_mov_b32 s23, exec_lo
	v_cmpx_gt_u32_e32 8, v20
; %bb.601:                              ;   in Loop: Header=BB338_513 Depth=1
	v_ffbh_u32_e32 v19, v9
	v_min_u32_e32 v19, 32, v19
	v_subrev_nc_u32_e32 v20, 28, v19
	v_sub_nc_u32_e32 v19, 29, v19
	v_lshlrev_b64 v[52:53], v20, v[9:10]
	v_and_b32_e32 v9, 7, v52
; %bb.602:                              ;   in Loop: Header=BB338_513 Depth=1
	s_or_b32 exec_lo, exec_lo, s23
	v_lshlrev_b32_sdwa v20, v42, v17 dst_sel:DWORD dst_unused:UNUSED_PAD src0_sel:DWORD src1_sel:BYTE_3
	v_lshlrev_b32_e32 v9, 20, v9
	v_lshl_add_u32 v19, v19, 23, 0x3c000000
	v_and_b32_e32 v20, 0x80000000, v20
	v_or3_b32 v23, v9, v20, v19
.LBB338_603:                            ;   in Loop: Header=BB338_513 Depth=1
	s_or_b32 exec_lo, exec_lo, s22
.LBB338_604:                            ;   in Loop: Header=BB338_513 Depth=1
	s_or_b32 exec_lo, exec_lo, s19
.LBB338_605:                            ;   in Loop: Header=BB338_513 Depth=1
	s_or_b32 exec_lo, exec_lo, s18
	v_mov_b32_e32 v9, v18
	v_cmp_ne_u16_sdwa s1, v18, v10 src0_sel:BYTE_0 src1_sel:DWORD
	v_mov_b32_e32 v19, 0
	v_mov_b32_e32 v52, 0
	s_and_saveexec_b32 s18, s1
	s_cbranch_execz .LBB338_611
; %bb.606:                              ;   in Loop: Header=BB338_513 Depth=1
	v_cmp_ne_u16_sdwa s1, v18, v38 src0_sel:BYTE_0 src1_sel:DWORD
	v_bfrev_b32_e32 v52, 1
	s_and_saveexec_b32 s19, s1
	s_cbranch_execz .LBB338_610
; %bb.607:                              ;   in Loop: Header=BB338_513 Depth=1
	v_and_b32_e32 v20, 0x7f, v18
	v_mov_b32_e32 v52, 0x7f800001
	s_mov_b32 s22, exec_lo
	v_cmpx_ne_u32_e32 0x7f, v20
	s_cbranch_execz .LBB338_609
; %bb.608:                              ;   in Loop: Header=BB338_513 Depth=1
	v_and_b32_e32 v52, 7, v18
	v_lshrrev_b32_e32 v53, 3, v20
	v_cmp_gt_u32_e64 s1, 8, v20
	v_ffbh_u32_e32 v52, v52
	v_min_u32_e32 v52, 32, v52
	v_subrev_nc_u32_e32 v55, 28, v52
	v_sub_nc_u32_e32 v52, 29, v52
	v_cndmask_b32_e64 v20, v53, v52, s1
	v_cndmask_b32_e64 v52, 0, v55, s1
	v_lshl_add_u32 v20, v20, 23, 0x3c000000
	v_lshlrev_b64 v[52:53], v52, v[9:10]
	v_lshlrev_b32_e32 v53, 24, v9
	v_lshlrev_b32_e32 v52, 20, v52
	v_and_b32_e32 v53, 0x80000000, v53
	v_and_b32_e32 v52, 0x700000, v52
	v_or3_b32 v52, v52, v53, v20
.LBB338_609:                            ;   in Loop: Header=BB338_513 Depth=1
	s_or_b32 exec_lo, exec_lo, s22
.LBB338_610:                            ;   in Loop: Header=BB338_513 Depth=1
	s_or_b32 exec_lo, exec_lo, s19
.LBB338_611:                            ;   in Loop: Header=BB338_513 Depth=1
	s_or_b32 exec_lo, exec_lo, s18
	v_cmp_ne_u16_sdwa s1, v9, v10 src0_sel:BYTE_1 src1_sel:DWORD
	s_and_saveexec_b32 s18, s1
	s_cbranch_execz .LBB338_619
; %bb.612:                              ;   in Loop: Header=BB338_513 Depth=1
	v_cmp_ne_u16_sdwa s1, v9, v38 src0_sel:BYTE_1 src1_sel:DWORD
	v_bfrev_b32_e32 v19, 1
	s_and_saveexec_b32 s19, s1
	s_cbranch_execz .LBB338_618
; %bb.613:                              ;   in Loop: Header=BB338_513 Depth=1
	v_and_b32_sdwa v20, v39, v9 dst_sel:DWORD dst_unused:UNUSED_PAD src0_sel:DWORD src1_sel:BYTE_1
	v_mov_b32_e32 v19, 0x7f800001
	s_mov_b32 s22, exec_lo
	v_and_b32_e32 v55, 0x7f, v20
	v_cmpx_ne_u32_e32 0x7f, v55
	s_cbranch_execz .LBB338_617
; %bb.614:                              ;   in Loop: Header=BB338_513 Depth=1
	v_and_b32_e32 v19, 7, v20
	v_mov_b32_e32 v20, v10
	v_lshrrev_b32_e32 v53, 3, v55
	s_mov_b32 s23, exec_lo
	v_cmpx_gt_u32_e32 8, v55
; %bb.615:                              ;   in Loop: Header=BB338_513 Depth=1
	v_ffbh_u32_e32 v53, v19
	v_min_u32_e32 v53, 32, v53
	v_subrev_nc_u32_e32 v55, 28, v53
	v_sub_nc_u32_e32 v53, 29, v53
	v_lshlrev_b64 v[19:20], v55, v[19:20]
	v_and_b32_e32 v19, 7, v19
; %bb.616:                              ;   in Loop: Header=BB338_513 Depth=1
	s_or_b32 exec_lo, exec_lo, s23
	v_lshlrev_b32_e32 v9, 16, v9
	v_lshlrev_b32_e32 v19, 20, v19
	v_lshl_add_u32 v20, v53, 23, 0x3c000000
	v_and_b32_e32 v9, 0x80000000, v9
	v_or3_b32 v19, v19, v9, v20
.LBB338_617:                            ;   in Loop: Header=BB338_513 Depth=1
	s_or_b32 exec_lo, exec_lo, s22
.LBB338_618:                            ;   in Loop: Header=BB338_513 Depth=1
	s_or_b32 exec_lo, exec_lo, s19
.LBB338_619:                            ;   in Loop: Header=BB338_513 Depth=1
	s_or_b32 exec_lo, exec_lo, s18
	v_and_b32_sdwa v9, v18, v40 dst_sel:DWORD dst_unused:UNUSED_PAD src0_sel:WORD_1 src1_sel:DWORD
	v_mov_b32_e32 v20, 0
	v_mov_b32_e32 v55, 0
	s_mov_b32 s18, exec_lo
	v_cmpx_ne_u16_e32 0, v9
	s_cbranch_execz .LBB338_627
; %bb.620:                              ;   in Loop: Header=BB338_513 Depth=1
	v_bfrev_b32_e32 v55, 1
	s_mov_b32 s19, exec_lo
	v_cmpx_ne_u16_e32 0x80, v9
	s_cbranch_execz .LBB338_626
; %bb.621:                              ;   in Loop: Header=BB338_513 Depth=1
	v_bfe_u32 v56, v18, 16, 7
	v_mov_b32_e32 v55, 0x7f800001
	s_mov_b32 s22, exec_lo
	v_cmpx_ne_u32_e32 0x7f, v56
	s_cbranch_execz .LBB338_625
; %bb.622:                              ;   in Loop: Header=BB338_513 Depth=1
	v_and_b32_sdwa v9, v18, v41 dst_sel:DWORD dst_unused:UNUSED_PAD src0_sel:WORD_1 src1_sel:DWORD
	v_lshrrev_b32_e32 v53, 3, v56
	s_mov_b32 s23, exec_lo
	v_cmpx_gt_u32_e32 8, v56
; %bb.623:                              ;   in Loop: Header=BB338_513 Depth=1
	v_ffbh_u32_e32 v53, v9
	v_min_u32_e32 v53, 32, v53
	v_subrev_nc_u32_e32 v55, 28, v53
	v_sub_nc_u32_e32 v53, 29, v53
	v_lshlrev_b64 v[55:56], v55, v[9:10]
	v_and_b32_e32 v9, 7, v55
; %bb.624:                              ;   in Loop: Header=BB338_513 Depth=1
	s_or_b32 exec_lo, exec_lo, s23
	v_lshlrev_b32_sdwa v55, v42, v18 dst_sel:DWORD dst_unused:UNUSED_PAD src0_sel:DWORD src1_sel:WORD_1
	v_lshlrev_b32_e32 v9, 20, v9
	v_lshl_add_u32 v53, v53, 23, 0x3c000000
	v_and_b32_e32 v55, 0x80000000, v55
	v_or3_b32 v55, v9, v55, v53
.LBB338_625:                            ;   in Loop: Header=BB338_513 Depth=1
	s_or_b32 exec_lo, exec_lo, s22
.LBB338_626:                            ;   in Loop: Header=BB338_513 Depth=1
	s_or_b32 exec_lo, exec_lo, s19
.LBB338_627:                            ;   in Loop: Header=BB338_513 Depth=1
	s_or_b32 exec_lo, exec_lo, s18
	s_mov_b32 s18, exec_lo
	v_cmpx_lt_u64_e64 s[4:5], v[17:18]
	s_cbranch_execz .LBB338_635
; %bb.628:                              ;   in Loop: Header=BB338_513 Depth=1
	v_cmp_ne_u32_sdwa s1, v18, v38 src0_sel:BYTE_3 src1_sel:DWORD
	v_bfrev_b32_e32 v20, 1
	s_and_saveexec_b32 s19, s1
	s_cbranch_execz .LBB338_634
; %bb.629:                              ;   in Loop: Header=BB338_513 Depth=1
	v_bfe_u32 v53, v18, 24, 7
	v_mov_b32_e32 v20, 0x7f800001
	s_mov_b32 s22, exec_lo
	v_cmpx_ne_u32_e32 0x7f, v53
	s_cbranch_execz .LBB338_633
; %bb.630:                              ;   in Loop: Header=BB338_513 Depth=1
	v_and_b32_sdwa v9, v18, v41 dst_sel:DWORD dst_unused:UNUSED_PAD src0_sel:BYTE_3 src1_sel:DWORD
	v_lshrrev_b32_e32 v17, 3, v53
	s_mov_b32 s23, exec_lo
	v_cmpx_gt_u32_e32 8, v53
; %bb.631:                              ;   in Loop: Header=BB338_513 Depth=1
	v_ffbh_u32_e32 v17, v9
	v_min_u32_e32 v17, 32, v17
	v_subrev_nc_u32_e32 v20, 28, v17
	v_sub_nc_u32_e32 v17, 29, v17
	v_lshlrev_b64 v[56:57], v20, v[9:10]
	v_and_b32_e32 v9, 7, v56
; %bb.632:                              ;   in Loop: Header=BB338_513 Depth=1
	s_or_b32 exec_lo, exec_lo, s23
	v_lshlrev_b32_sdwa v18, v42, v18 dst_sel:DWORD dst_unused:UNUSED_PAD src0_sel:DWORD src1_sel:BYTE_3
	v_lshlrev_b32_e32 v9, 20, v9
	v_lshl_add_u32 v17, v17, 23, 0x3c000000
	v_and_b32_e32 v18, 0x80000000, v18
	v_or3_b32 v20, v9, v18, v17
.LBB338_633:                            ;   in Loop: Header=BB338_513 Depth=1
	s_or_b32 exec_lo, exec_lo, s22
.LBB338_634:                            ;   in Loop: Header=BB338_513 Depth=1
	s_or_b32 exec_lo, exec_lo, s19
.LBB338_635:                            ;   in Loop: Header=BB338_513 Depth=1
	s_or_b32 exec_lo, exec_lo, s18
	v_mul_f32_e32 v9, s16, v19
	v_mul_f32_e32 v17, s16, v52
	;; [unrolled: 1-line block ×5, first 2 shown]
	v_bfe_u32 v22, v9, 16, 1
	v_or_b32_e32 v23, 0x400000, v9
	v_bfe_u32 v52, v17, 16, 1
	v_cmp_u_f32_e64 s1, v9, v9
	v_or_b32_e32 v53, 0x400000, v17
	v_add3_u32 v22, v22, v9, 0x7fff
	v_bfe_u32 v56, v18, 16, 1
	v_add3_u32 v52, v52, v17, 0x7fff
	v_or_b32_e32 v57, 0x400000, v18
	v_bfe_u32 v58, v19, 16, 1
	v_cndmask_b32_e64 v9, v22, v23, s1
	v_cmp_u_f32_e64 s1, v17, v17
	v_add3_u32 v56, v56, v18, 0x7fff
	v_or_b32_e32 v22, 0x400000, v19
	v_mul_f32_e32 v20, s16, v20
	v_cndmask_b32_e64 v17, v52, v53, s1
	v_cmp_u_f32_e64 s1, v18, v18
	v_lshrrev_b32_e32 v53, 16, v9
	v_mul_f32_e32 v9, s16, v21
	v_add3_u32 v21, v58, v19, 0x7fff
	v_lshrrev_b32_e32 v52, 16, v17
	v_cndmask_b32_e64 v18, v56, v57, s1
	v_cmp_u_f32_e64 s1, v19, v19
	v_bfe_u32 v17, v9, 16, 1
	v_mul_f32_e32 v19, s16, v55
	v_or_b32_e32 v57, 0x400000, v20
	v_lshrrev_b32_e32 v56, 16, v18
	v_cndmask_b32_e64 v18, v21, v22, s1
	v_add3_u32 v17, v17, v9, 0x7fff
	v_or_b32_e32 v21, 0x400000, v9
	v_bfe_u32 v22, v0, 16, 1
	v_cmp_u_f32_e64 s1, v9, v9
	v_bfe_u32 v23, v19, 16, 1
	v_or_b32_e32 v55, 0x400000, v19
	v_lshrrev_b32_e32 v58, 16, v18
	v_cndmask_b32_e64 v9, v17, v21, s1
	v_add3_u32 v21, v22, v0, 0x7fff
	v_or_b32_e32 v22, 0x400000, v0
	v_cmp_u_f32_e64 s1, v0, v0
	v_bfe_u32 v17, v20, 16, 1
	v_add3_u32 v23, v23, v19, 0x7fff
	v_lshrrev_b32_e32 v60, 16, v9
	v_cndmask_b32_e64 v0, v21, v22, s1
	v_cmp_u_f32_e64 s1, v19, v19
	v_add3_u32 v17, v17, v20, 0x7fff
	v_lshrrev_b32_e32 v59, 16, v0
	v_cndmask_b32_e64 v19, v23, v55, s1
	v_cmp_u_f32_e64 s1, v20, v20
	v_lshrrev_b32_e32 v55, 16, v19
	v_cndmask_b32_e64 v17, v17, v57, s1
	v_lshrrev_b32_e32 v57, 16, v17
	s_and_saveexec_b32 s18, s0
	s_cbranch_execz .LBB338_637
; %bb.636:                              ;   in Loop: Header=BB338_513 Depth=1
	v_add_nc_u32_e32 v0, -6, v36
	v_cmp_gt_i32_e64 s1, s11, v54
	v_add_nc_u32_e32 v9, -5, v36
	v_add_nc_u32_e32 v17, -2, v36
	v_cndmask_b32_e64 v59, 0, v59, s1
	v_cmp_gt_i32_e64 s1, s11, v0
	v_add_nc_u32_e32 v0, -4, v36
	v_cndmask_b32_e64 v60, 0, v60, s1
	v_cmp_gt_i32_e64 s1, s11, v9
	v_add_nc_u32_e32 v9, -3, v36
	v_cndmask_b32_e64 v58, 0, v58, s1
	v_cmp_gt_i32_e64 s1, s11, v0
	v_add_nc_u32_e32 v0, -1, v36
	v_cndmask_b32_e64 v56, 0, v56, s1
	v_cmp_gt_i32_e64 s1, s11, v9
	v_cndmask_b32_e64 v52, 0, v52, s1
	v_cmp_gt_i32_e64 s1, s11, v17
	v_cndmask_b32_e64 v53, 0, v53, s1
	v_cmp_gt_i32_e64 s1, s11, v0
	v_cndmask_b32_e64 v55, 0, v55, s1
	v_cmp_gt_i32_e64 s1, s11, v36
	v_cndmask_b32_e64 v57, 0, v57, s1
.LBB338_637:                            ;   in Loop: Header=BB338_513 Depth=1
	s_or_b32 exec_lo, exec_lo, s18
	global_load_dwordx2 v[17:18], v[15:16], off offset:512
	v_mov_b32_e32 v21, 0
	v_mov_b32_e32 v0, 0
	s_waitcnt vmcnt(0)
	v_cmp_ne_u16_sdwa s1, v17, v10 src0_sel:BYTE_0 src1_sel:DWORD
	s_and_saveexec_b32 s18, s1
	s_cbranch_execz .LBB338_643
; %bb.638:                              ;   in Loop: Header=BB338_513 Depth=1
	v_cmp_ne_u16_sdwa s1, v17, v38 src0_sel:BYTE_0 src1_sel:DWORD
	v_bfrev_b32_e32 v0, 1
	s_and_saveexec_b32 s19, s1
	s_cbranch_execz .LBB338_642
; %bb.639:                              ;   in Loop: Header=BB338_513 Depth=1
	v_and_b32_e32 v9, 0x7f, v17
	v_mov_b32_e32 v0, 0x7f800001
	s_mov_b32 s22, exec_lo
	v_cmpx_ne_u32_e32 0x7f, v9
	s_cbranch_execz .LBB338_641
; %bb.640:                              ;   in Loop: Header=BB338_513 Depth=1
	v_and_b32_e32 v0, 7, v17
	v_cmp_gt_u32_e64 s1, 8, v9
	v_lshrrev_b32_e32 v19, 3, v9
	v_ffbh_u32_e32 v0, v0
	v_min_u32_e32 v0, 32, v0
	v_subrev_nc_u32_e32 v20, 28, v0
	v_sub_nc_u32_e32 v0, 29, v0
	v_cndmask_b32_e64 v9, 0, v20, s1
	v_cndmask_b32_e64 v0, v19, v0, s1
	v_lshlrev_b64 v[19:20], v9, v[17:18]
	v_lshlrev_b32_e32 v9, 24, v17
	v_lshl_add_u32 v0, v0, 23, 0x3c000000
	v_and_b32_e32 v9, 0x80000000, v9
	v_lshlrev_b32_e32 v19, 20, v19
	v_and_b32_e32 v19, 0x700000, v19
	v_or3_b32 v0, v19, v9, v0
.LBB338_641:                            ;   in Loop: Header=BB338_513 Depth=1
	s_or_b32 exec_lo, exec_lo, s22
.LBB338_642:                            ;   in Loop: Header=BB338_513 Depth=1
	s_or_b32 exec_lo, exec_lo, s19
.LBB338_643:                            ;   in Loop: Header=BB338_513 Depth=1
	s_or_b32 exec_lo, exec_lo, s18
	v_cmp_ne_u16_sdwa s1, v17, v10 src0_sel:BYTE_1 src1_sel:DWORD
	s_and_saveexec_b32 s18, s1
	s_cbranch_execz .LBB338_651
; %bb.644:                              ;   in Loop: Header=BB338_513 Depth=1
	v_cmp_ne_u16_sdwa s1, v17, v38 src0_sel:BYTE_1 src1_sel:DWORD
	v_bfrev_b32_e32 v21, 1
	s_and_saveexec_b32 s19, s1
	s_cbranch_execz .LBB338_650
; %bb.645:                              ;   in Loop: Header=BB338_513 Depth=1
	v_and_b32_sdwa v9, v39, v17 dst_sel:DWORD dst_unused:UNUSED_PAD src0_sel:DWORD src1_sel:BYTE_1
	v_mov_b32_e32 v21, 0x7f800001
	s_mov_b32 s22, exec_lo
	v_and_b32_e32 v20, 0x7f, v9
	v_cmpx_ne_u32_e32 0x7f, v20
	s_cbranch_execz .LBB338_649
; %bb.646:                              ;   in Loop: Header=BB338_513 Depth=1
	v_and_b32_e32 v9, 7, v9
	v_lshrrev_b32_e32 v19, 3, v20
	s_mov_b32 s23, exec_lo
	v_cmpx_gt_u32_e32 8, v20
; %bb.647:                              ;   in Loop: Header=BB338_513 Depth=1
	v_ffbh_u32_e32 v19, v9
	v_min_u32_e32 v19, 32, v19
	v_subrev_nc_u32_e32 v20, 28, v19
	v_sub_nc_u32_e32 v19, 29, v19
	v_lshlrev_b64 v[20:21], v20, v[9:10]
	v_and_b32_e32 v9, 7, v20
; %bb.648:                              ;   in Loop: Header=BB338_513 Depth=1
	s_or_b32 exec_lo, exec_lo, s23
	v_lshlrev_b32_e32 v20, 16, v17
	v_lshlrev_b32_e32 v9, 20, v9
	v_lshl_add_u32 v19, v19, 23, 0x3c000000
	v_and_b32_e32 v20, 0x80000000, v20
	v_or3_b32 v21, v9, v20, v19
.LBB338_649:                            ;   in Loop: Header=BB338_513 Depth=1
	s_or_b32 exec_lo, exec_lo, s22
.LBB338_650:                            ;   in Loop: Header=BB338_513 Depth=1
	s_or_b32 exec_lo, exec_lo, s19
.LBB338_651:                            ;   in Loop: Header=BB338_513 Depth=1
	s_or_b32 exec_lo, exec_lo, s18
	v_and_b32_sdwa v9, v17, v40 dst_sel:DWORD dst_unused:UNUSED_PAD src0_sel:WORD_1 src1_sel:DWORD
	v_mov_b32_e32 v23, 0
	v_mov_b32_e32 v22, 0
	s_mov_b32 s18, exec_lo
	v_cmpx_ne_u16_e32 0, v9
	s_cbranch_execz .LBB338_659
; %bb.652:                              ;   in Loop: Header=BB338_513 Depth=1
	v_bfrev_b32_e32 v22, 1
	s_mov_b32 s19, exec_lo
	v_cmpx_ne_u16_e32 0x80, v9
	s_cbranch_execz .LBB338_658
; %bb.653:                              ;   in Loop: Header=BB338_513 Depth=1
	v_bfe_u32 v20, v17, 16, 7
	v_mov_b32_e32 v22, 0x7f800001
	s_mov_b32 s22, exec_lo
	v_cmpx_ne_u32_e32 0x7f, v20
	s_cbranch_execz .LBB338_657
; %bb.654:                              ;   in Loop: Header=BB338_513 Depth=1
	v_and_b32_sdwa v9, v17, v41 dst_sel:DWORD dst_unused:UNUSED_PAD src0_sel:WORD_1 src1_sel:DWORD
	v_lshrrev_b32_e32 v19, 3, v20
	s_mov_b32 s23, exec_lo
	v_cmpx_gt_u32_e32 8, v20
; %bb.655:                              ;   in Loop: Header=BB338_513 Depth=1
	v_ffbh_u32_e32 v19, v9
	v_min_u32_e32 v19, 32, v19
	v_subrev_nc_u32_e32 v20, 28, v19
	v_sub_nc_u32_e32 v19, 29, v19
	v_lshlrev_b64 v[61:62], v20, v[9:10]
	v_and_b32_e32 v9, 7, v61
; %bb.656:                              ;   in Loop: Header=BB338_513 Depth=1
	s_or_b32 exec_lo, exec_lo, s23
	v_lshlrev_b32_sdwa v20, v42, v17 dst_sel:DWORD dst_unused:UNUSED_PAD src0_sel:DWORD src1_sel:WORD_1
	v_lshlrev_b32_e32 v9, 20, v9
	v_lshl_add_u32 v19, v19, 23, 0x3c000000
	v_and_b32_e32 v20, 0x80000000, v20
	v_or3_b32 v22, v9, v20, v19
.LBB338_657:                            ;   in Loop: Header=BB338_513 Depth=1
	s_or_b32 exec_lo, exec_lo, s22
.LBB338_658:                            ;   in Loop: Header=BB338_513 Depth=1
	s_or_b32 exec_lo, exec_lo, s19
.LBB338_659:                            ;   in Loop: Header=BB338_513 Depth=1
	s_or_b32 exec_lo, exec_lo, s18
	s_mov_b32 s18, exec_lo
	v_cmpx_lt_u32_e32 0xffffff, v17
	s_cbranch_execz .LBB338_667
; %bb.660:                              ;   in Loop: Header=BB338_513 Depth=1
	v_cmp_ne_u32_sdwa s1, v17, v38 src0_sel:BYTE_3 src1_sel:DWORD
	v_bfrev_b32_e32 v23, 1
	s_and_saveexec_b32 s19, s1
	s_cbranch_execz .LBB338_666
; %bb.661:                              ;   in Loop: Header=BB338_513 Depth=1
	v_bfe_u32 v20, v17, 24, 7
	v_mov_b32_e32 v23, 0x7f800001
	s_mov_b32 s22, exec_lo
	v_cmpx_ne_u32_e32 0x7f, v20
	s_cbranch_execz .LBB338_665
; %bb.662:                              ;   in Loop: Header=BB338_513 Depth=1
	v_and_b32_sdwa v9, v17, v41 dst_sel:DWORD dst_unused:UNUSED_PAD src0_sel:BYTE_3 src1_sel:DWORD
	v_lshrrev_b32_e32 v19, 3, v20
	s_mov_b32 s23, exec_lo
	v_cmpx_gt_u32_e32 8, v20
; %bb.663:                              ;   in Loop: Header=BB338_513 Depth=1
	v_ffbh_u32_e32 v19, v9
	v_min_u32_e32 v19, 32, v19
	v_subrev_nc_u32_e32 v20, 28, v19
	v_sub_nc_u32_e32 v19, 29, v19
	v_lshlrev_b64 v[61:62], v20, v[9:10]
	v_and_b32_e32 v9, 7, v61
; %bb.664:                              ;   in Loop: Header=BB338_513 Depth=1
	s_or_b32 exec_lo, exec_lo, s23
	v_lshlrev_b32_sdwa v20, v42, v17 dst_sel:DWORD dst_unused:UNUSED_PAD src0_sel:DWORD src1_sel:BYTE_3
	v_lshlrev_b32_e32 v9, 20, v9
	v_lshl_add_u32 v19, v19, 23, 0x3c000000
	v_and_b32_e32 v20, 0x80000000, v20
	v_or3_b32 v23, v9, v20, v19
.LBB338_665:                            ;   in Loop: Header=BB338_513 Depth=1
	s_or_b32 exec_lo, exec_lo, s22
.LBB338_666:                            ;   in Loop: Header=BB338_513 Depth=1
	s_or_b32 exec_lo, exec_lo, s19
.LBB338_667:                            ;   in Loop: Header=BB338_513 Depth=1
	s_or_b32 exec_lo, exec_lo, s18
	v_mov_b32_e32 v9, v18
	v_cmp_ne_u16_sdwa s1, v18, v10 src0_sel:BYTE_0 src1_sel:DWORD
	v_mov_b32_e32 v19, 0
	v_mov_b32_e32 v61, 0
	s_and_saveexec_b32 s18, s1
	s_cbranch_execz .LBB338_673
; %bb.668:                              ;   in Loop: Header=BB338_513 Depth=1
	v_cmp_ne_u16_sdwa s1, v18, v38 src0_sel:BYTE_0 src1_sel:DWORD
	v_bfrev_b32_e32 v61, 1
	s_and_saveexec_b32 s19, s1
	s_cbranch_execz .LBB338_672
; %bb.669:                              ;   in Loop: Header=BB338_513 Depth=1
	v_and_b32_e32 v20, 0x7f, v18
	v_mov_b32_e32 v61, 0x7f800001
	s_mov_b32 s22, exec_lo
	v_cmpx_ne_u32_e32 0x7f, v20
	s_cbranch_execz .LBB338_671
; %bb.670:                              ;   in Loop: Header=BB338_513 Depth=1
	v_and_b32_e32 v61, 7, v18
	v_lshrrev_b32_e32 v62, 3, v20
	v_cmp_gt_u32_e64 s1, 8, v20
	v_ffbh_u32_e32 v61, v61
	v_min_u32_e32 v61, 32, v61
	v_subrev_nc_u32_e32 v63, 28, v61
	v_sub_nc_u32_e32 v61, 29, v61
	v_cndmask_b32_e64 v20, v62, v61, s1
	v_cndmask_b32_e64 v61, 0, v63, s1
	v_lshl_add_u32 v20, v20, 23, 0x3c000000
	v_lshlrev_b64 v[61:62], v61, v[9:10]
	v_lshlrev_b32_e32 v62, 24, v9
	v_lshlrev_b32_e32 v61, 20, v61
	v_and_b32_e32 v62, 0x80000000, v62
	v_and_b32_e32 v61, 0x700000, v61
	v_or3_b32 v61, v61, v62, v20
.LBB338_671:                            ;   in Loop: Header=BB338_513 Depth=1
	s_or_b32 exec_lo, exec_lo, s22
.LBB338_672:                            ;   in Loop: Header=BB338_513 Depth=1
	s_or_b32 exec_lo, exec_lo, s19
.LBB338_673:                            ;   in Loop: Header=BB338_513 Depth=1
	s_or_b32 exec_lo, exec_lo, s18
	v_cmp_ne_u16_sdwa s1, v9, v10 src0_sel:BYTE_1 src1_sel:DWORD
	s_and_saveexec_b32 s18, s1
	s_cbranch_execz .LBB338_681
; %bb.674:                              ;   in Loop: Header=BB338_513 Depth=1
	v_cmp_ne_u16_sdwa s1, v9, v38 src0_sel:BYTE_1 src1_sel:DWORD
	v_bfrev_b32_e32 v19, 1
	s_and_saveexec_b32 s19, s1
	s_cbranch_execz .LBB338_680
; %bb.675:                              ;   in Loop: Header=BB338_513 Depth=1
	v_and_b32_sdwa v20, v39, v9 dst_sel:DWORD dst_unused:UNUSED_PAD src0_sel:DWORD src1_sel:BYTE_1
	v_mov_b32_e32 v19, 0x7f800001
	s_mov_b32 s22, exec_lo
	v_and_b32_e32 v63, 0x7f, v20
	v_cmpx_ne_u32_e32 0x7f, v63
	s_cbranch_execz .LBB338_679
; %bb.676:                              ;   in Loop: Header=BB338_513 Depth=1
	v_and_b32_e32 v19, 7, v20
	v_mov_b32_e32 v20, v10
	v_lshrrev_b32_e32 v62, 3, v63
	s_mov_b32 s23, exec_lo
	v_cmpx_gt_u32_e32 8, v63
; %bb.677:                              ;   in Loop: Header=BB338_513 Depth=1
	v_ffbh_u32_e32 v62, v19
	v_min_u32_e32 v62, 32, v62
	v_subrev_nc_u32_e32 v63, 28, v62
	v_sub_nc_u32_e32 v62, 29, v62
	v_lshlrev_b64 v[19:20], v63, v[19:20]
	v_and_b32_e32 v19, 7, v19
; %bb.678:                              ;   in Loop: Header=BB338_513 Depth=1
	s_or_b32 exec_lo, exec_lo, s23
	v_lshlrev_b32_e32 v9, 16, v9
	v_lshlrev_b32_e32 v19, 20, v19
	v_lshl_add_u32 v20, v62, 23, 0x3c000000
	v_and_b32_e32 v9, 0x80000000, v9
	v_or3_b32 v19, v19, v9, v20
.LBB338_679:                            ;   in Loop: Header=BB338_513 Depth=1
	s_or_b32 exec_lo, exec_lo, s22
.LBB338_680:                            ;   in Loop: Header=BB338_513 Depth=1
	s_or_b32 exec_lo, exec_lo, s19
.LBB338_681:                            ;   in Loop: Header=BB338_513 Depth=1
	s_or_b32 exec_lo, exec_lo, s18
	v_and_b32_sdwa v9, v18, v40 dst_sel:DWORD dst_unused:UNUSED_PAD src0_sel:WORD_1 src1_sel:DWORD
	v_mov_b32_e32 v20, 0
	v_mov_b32_e32 v63, 0
	s_mov_b32 s18, exec_lo
	v_cmpx_ne_u16_e32 0, v9
	s_cbranch_execz .LBB338_689
; %bb.682:                              ;   in Loop: Header=BB338_513 Depth=1
	v_bfrev_b32_e32 v63, 1
	s_mov_b32 s19, exec_lo
	v_cmpx_ne_u16_e32 0x80, v9
	s_cbranch_execz .LBB338_688
; %bb.683:                              ;   in Loop: Header=BB338_513 Depth=1
	v_bfe_u32 v64, v18, 16, 7
	v_mov_b32_e32 v63, 0x7f800001
	s_mov_b32 s22, exec_lo
	v_cmpx_ne_u32_e32 0x7f, v64
	s_cbranch_execz .LBB338_687
; %bb.684:                              ;   in Loop: Header=BB338_513 Depth=1
	v_and_b32_sdwa v9, v18, v41 dst_sel:DWORD dst_unused:UNUSED_PAD src0_sel:WORD_1 src1_sel:DWORD
	v_lshrrev_b32_e32 v62, 3, v64
	s_mov_b32 s23, exec_lo
	v_cmpx_gt_u32_e32 8, v64
; %bb.685:                              ;   in Loop: Header=BB338_513 Depth=1
	v_ffbh_u32_e32 v62, v9
	v_min_u32_e32 v62, 32, v62
	v_subrev_nc_u32_e32 v63, 28, v62
	v_sub_nc_u32_e32 v62, 29, v62
	v_lshlrev_b64 v[63:64], v63, v[9:10]
	v_and_b32_e32 v9, 7, v63
; %bb.686:                              ;   in Loop: Header=BB338_513 Depth=1
	s_or_b32 exec_lo, exec_lo, s23
	v_lshlrev_b32_sdwa v63, v42, v18 dst_sel:DWORD dst_unused:UNUSED_PAD src0_sel:DWORD src1_sel:WORD_1
	v_lshlrev_b32_e32 v9, 20, v9
	v_lshl_add_u32 v62, v62, 23, 0x3c000000
	v_and_b32_e32 v63, 0x80000000, v63
	v_or3_b32 v63, v9, v63, v62
.LBB338_687:                            ;   in Loop: Header=BB338_513 Depth=1
	s_or_b32 exec_lo, exec_lo, s22
.LBB338_688:                            ;   in Loop: Header=BB338_513 Depth=1
	s_or_b32 exec_lo, exec_lo, s19
.LBB338_689:                            ;   in Loop: Header=BB338_513 Depth=1
	s_or_b32 exec_lo, exec_lo, s18
	s_mov_b32 s18, exec_lo
	v_cmpx_lt_u64_e64 s[4:5], v[17:18]
	s_cbranch_execz .LBB338_697
; %bb.690:                              ;   in Loop: Header=BB338_513 Depth=1
	v_cmp_ne_u32_sdwa s1, v18, v38 src0_sel:BYTE_3 src1_sel:DWORD
	v_bfrev_b32_e32 v20, 1
	s_and_saveexec_b32 s19, s1
	s_cbranch_execz .LBB338_696
; %bb.691:                              ;   in Loop: Header=BB338_513 Depth=1
	v_bfe_u32 v62, v18, 24, 7
	v_mov_b32_e32 v20, 0x7f800001
	s_mov_b32 s22, exec_lo
	v_cmpx_ne_u32_e32 0x7f, v62
	s_cbranch_execz .LBB338_695
; %bb.692:                              ;   in Loop: Header=BB338_513 Depth=1
	v_and_b32_sdwa v9, v18, v41 dst_sel:DWORD dst_unused:UNUSED_PAD src0_sel:BYTE_3 src1_sel:DWORD
	v_lshrrev_b32_e32 v17, 3, v62
	s_mov_b32 s23, exec_lo
	v_cmpx_gt_u32_e32 8, v62
; %bb.693:                              ;   in Loop: Header=BB338_513 Depth=1
	v_ffbh_u32_e32 v17, v9
	v_min_u32_e32 v17, 32, v17
	v_subrev_nc_u32_e32 v20, 28, v17
	v_sub_nc_u32_e32 v17, 29, v17
	v_lshlrev_b64 v[64:65], v20, v[9:10]
	v_and_b32_e32 v9, 7, v64
; %bb.694:                              ;   in Loop: Header=BB338_513 Depth=1
	s_or_b32 exec_lo, exec_lo, s23
	v_lshlrev_b32_sdwa v18, v42, v18 dst_sel:DWORD dst_unused:UNUSED_PAD src0_sel:DWORD src1_sel:BYTE_3
	v_lshlrev_b32_e32 v9, 20, v9
	v_lshl_add_u32 v17, v17, 23, 0x3c000000
	v_and_b32_e32 v18, 0x80000000, v18
	v_or3_b32 v20, v9, v18, v17
.LBB338_695:                            ;   in Loop: Header=BB338_513 Depth=1
	s_or_b32 exec_lo, exec_lo, s22
.LBB338_696:                            ;   in Loop: Header=BB338_513 Depth=1
	s_or_b32 exec_lo, exec_lo, s19
.LBB338_697:                            ;   in Loop: Header=BB338_513 Depth=1
	s_or_b32 exec_lo, exec_lo, s18
	v_mul_f32_e32 v9, s16, v19
	v_mul_f32_e32 v17, s16, v61
	v_mul_f32_e32 v19, s16, v22
	v_mul_f32_e32 v18, s16, v23
	v_mul_f32_e32 v0, s16, v0
	v_bfe_u32 v22, v9, 16, 1
	v_or_b32_e32 v23, 0x400000, v9
	v_bfe_u32 v61, v17, 16, 1
	v_cmp_u_f32_e64 s1, v9, v9
	v_or_b32_e32 v62, 0x400000, v17
	v_add3_u32 v22, v22, v9, 0x7fff
	v_bfe_u32 v64, v18, 16, 1
	v_add3_u32 v61, v61, v17, 0x7fff
	v_or_b32_e32 v65, 0x400000, v18
	v_bfe_u32 v66, v19, 16, 1
	v_cndmask_b32_e64 v9, v22, v23, s1
	v_cmp_u_f32_e64 s1, v17, v17
	v_add3_u32 v64, v64, v18, 0x7fff
	v_or_b32_e32 v22, 0x400000, v19
	v_mul_f32_e32 v20, s16, v20
	v_cndmask_b32_e64 v17, v61, v62, s1
	v_cmp_u_f32_e64 s1, v18, v18
	v_lshrrev_b32_e32 v61, 16, v9
	v_mul_f32_e32 v9, s16, v21
	v_add3_u32 v21, v66, v19, 0x7fff
	v_lshrrev_b32_e32 v62, 16, v17
	v_cndmask_b32_e64 v18, v64, v65, s1
	v_cmp_u_f32_e64 s1, v19, v19
	v_bfe_u32 v17, v9, 16, 1
	v_mul_f32_e32 v19, s16, v63
	v_or_b32_e32 v65, 0x400000, v20
	v_lshrrev_b32_e32 v64, 16, v18
	v_cndmask_b32_e64 v18, v21, v22, s1
	v_add3_u32 v17, v17, v9, 0x7fff
	v_or_b32_e32 v21, 0x400000, v9
	v_bfe_u32 v22, v0, 16, 1
	v_cmp_u_f32_e64 s1, v9, v9
	v_bfe_u32 v23, v19, 16, 1
	v_or_b32_e32 v63, 0x400000, v19
	v_lshrrev_b32_e32 v66, 16, v18
	v_cndmask_b32_e64 v9, v17, v21, s1
	v_add3_u32 v21, v22, v0, 0x7fff
	v_or_b32_e32 v22, 0x400000, v0
	v_cmp_u_f32_e64 s1, v0, v0
	v_bfe_u32 v17, v20, 16, 1
	v_add3_u32 v23, v23, v19, 0x7fff
	v_lshrrev_b32_e32 v68, 16, v9
	v_cndmask_b32_e64 v0, v21, v22, s1
	v_cmp_u_f32_e64 s1, v19, v19
	v_add3_u32 v17, v17, v20, 0x7fff
	v_lshrrev_b32_e32 v67, 16, v0
	v_cndmask_b32_e64 v19, v23, v63, s1
	v_cmp_u_f32_e64 s1, v20, v20
	v_lshrrev_b32_e32 v63, 16, v19
	v_cndmask_b32_e64 v17, v17, v65, s1
	v_lshrrev_b32_e32 v65, 16, v17
	s_and_saveexec_b32 s18, s0
	s_cbranch_execz .LBB338_699
; %bb.698:                              ;   in Loop: Header=BB338_513 Depth=1
	v_add_nc_u32_e32 v0, -6, v36
	v_cmp_gt_i32_e64 s1, s11, v54
	v_add_nc_u32_e32 v9, -5, v36
	v_add_nc_u32_e32 v17, -2, v36
	v_cndmask_b32_e64 v67, 0, v67, s1
	v_cmp_gt_i32_e64 s1, s11, v0
	v_add_nc_u32_e32 v0, -4, v36
	v_cndmask_b32_e64 v68, 0, v68, s1
	v_cmp_gt_i32_e64 s1, s11, v9
	;; [unrolled: 3-line block ×4, first 2 shown]
	v_cndmask_b32_e64 v62, 0, v62, s1
	v_cmp_gt_i32_e64 s1, s11, v17
	v_cndmask_b32_e64 v61, 0, v61, s1
	v_cmp_gt_i32_e64 s1, s11, v0
	;; [unrolled: 2-line block ×3, first 2 shown]
	v_cndmask_b32_e64 v65, 0, v65, s1
.LBB338_699:                            ;   in Loop: Header=BB338_513 Depth=1
	s_or_b32 exec_lo, exec_lo, s18
	global_load_dwordx2 v[17:18], v[15:16], off offset:768
	v_mov_b32_e32 v21, 0
	v_mov_b32_e32 v0, 0
	s_waitcnt vmcnt(0)
	v_cmp_ne_u16_sdwa s1, v17, v10 src0_sel:BYTE_0 src1_sel:DWORD
	s_and_saveexec_b32 s18, s1
	s_cbranch_execz .LBB338_705
; %bb.700:                              ;   in Loop: Header=BB338_513 Depth=1
	v_cmp_ne_u16_sdwa s1, v17, v38 src0_sel:BYTE_0 src1_sel:DWORD
	v_bfrev_b32_e32 v0, 1
	s_and_saveexec_b32 s19, s1
	s_cbranch_execz .LBB338_704
; %bb.701:                              ;   in Loop: Header=BB338_513 Depth=1
	v_and_b32_e32 v9, 0x7f, v17
	v_mov_b32_e32 v0, 0x7f800001
	s_mov_b32 s22, exec_lo
	v_cmpx_ne_u32_e32 0x7f, v9
	s_cbranch_execz .LBB338_703
; %bb.702:                              ;   in Loop: Header=BB338_513 Depth=1
	v_and_b32_e32 v0, 7, v17
	v_cmp_gt_u32_e64 s1, 8, v9
	v_lshrrev_b32_e32 v19, 3, v9
	v_ffbh_u32_e32 v0, v0
	v_min_u32_e32 v0, 32, v0
	v_subrev_nc_u32_e32 v20, 28, v0
	v_sub_nc_u32_e32 v0, 29, v0
	v_cndmask_b32_e64 v9, 0, v20, s1
	v_cndmask_b32_e64 v0, v19, v0, s1
	v_lshlrev_b64 v[19:20], v9, v[17:18]
	v_lshlrev_b32_e32 v9, 24, v17
	v_lshl_add_u32 v0, v0, 23, 0x3c000000
	v_and_b32_e32 v9, 0x80000000, v9
	v_lshlrev_b32_e32 v19, 20, v19
	v_and_b32_e32 v19, 0x700000, v19
	v_or3_b32 v0, v19, v9, v0
.LBB338_703:                            ;   in Loop: Header=BB338_513 Depth=1
	s_or_b32 exec_lo, exec_lo, s22
.LBB338_704:                            ;   in Loop: Header=BB338_513 Depth=1
	s_or_b32 exec_lo, exec_lo, s19
.LBB338_705:                            ;   in Loop: Header=BB338_513 Depth=1
	s_or_b32 exec_lo, exec_lo, s18
	v_cmp_ne_u16_sdwa s1, v17, v10 src0_sel:BYTE_1 src1_sel:DWORD
	s_and_saveexec_b32 s18, s1
	s_cbranch_execz .LBB338_713
; %bb.706:                              ;   in Loop: Header=BB338_513 Depth=1
	v_cmp_ne_u16_sdwa s1, v17, v38 src0_sel:BYTE_1 src1_sel:DWORD
	v_bfrev_b32_e32 v21, 1
	s_and_saveexec_b32 s19, s1
	s_cbranch_execz .LBB338_712
; %bb.707:                              ;   in Loop: Header=BB338_513 Depth=1
	v_and_b32_sdwa v9, v39, v17 dst_sel:DWORD dst_unused:UNUSED_PAD src0_sel:DWORD src1_sel:BYTE_1
	v_mov_b32_e32 v21, 0x7f800001
	s_mov_b32 s22, exec_lo
	v_and_b32_e32 v20, 0x7f, v9
	v_cmpx_ne_u32_e32 0x7f, v20
	s_cbranch_execz .LBB338_711
; %bb.708:                              ;   in Loop: Header=BB338_513 Depth=1
	v_and_b32_e32 v9, 7, v9
	v_lshrrev_b32_e32 v19, 3, v20
	s_mov_b32 s23, exec_lo
	v_cmpx_gt_u32_e32 8, v20
; %bb.709:                              ;   in Loop: Header=BB338_513 Depth=1
	v_ffbh_u32_e32 v19, v9
	v_min_u32_e32 v19, 32, v19
	v_subrev_nc_u32_e32 v20, 28, v19
	v_sub_nc_u32_e32 v19, 29, v19
	v_lshlrev_b64 v[20:21], v20, v[9:10]
	v_and_b32_e32 v9, 7, v20
; %bb.710:                              ;   in Loop: Header=BB338_513 Depth=1
	s_or_b32 exec_lo, exec_lo, s23
	v_lshlrev_b32_e32 v20, 16, v17
	v_lshlrev_b32_e32 v9, 20, v9
	v_lshl_add_u32 v19, v19, 23, 0x3c000000
	v_and_b32_e32 v20, 0x80000000, v20
	v_or3_b32 v21, v9, v20, v19
.LBB338_711:                            ;   in Loop: Header=BB338_513 Depth=1
	s_or_b32 exec_lo, exec_lo, s22
.LBB338_712:                            ;   in Loop: Header=BB338_513 Depth=1
	s_or_b32 exec_lo, exec_lo, s19
.LBB338_713:                            ;   in Loop: Header=BB338_513 Depth=1
	s_or_b32 exec_lo, exec_lo, s18
	v_and_b32_sdwa v9, v17, v40 dst_sel:DWORD dst_unused:UNUSED_PAD src0_sel:WORD_1 src1_sel:DWORD
	v_mov_b32_e32 v23, 0
	v_mov_b32_e32 v22, 0
	s_mov_b32 s18, exec_lo
	v_cmpx_ne_u16_e32 0, v9
	s_cbranch_execz .LBB338_721
; %bb.714:                              ;   in Loop: Header=BB338_513 Depth=1
	v_bfrev_b32_e32 v22, 1
	s_mov_b32 s19, exec_lo
	v_cmpx_ne_u16_e32 0x80, v9
	s_cbranch_execz .LBB338_720
; %bb.715:                              ;   in Loop: Header=BB338_513 Depth=1
	v_bfe_u32 v20, v17, 16, 7
	v_mov_b32_e32 v22, 0x7f800001
	s_mov_b32 s22, exec_lo
	v_cmpx_ne_u32_e32 0x7f, v20
	s_cbranch_execz .LBB338_719
; %bb.716:                              ;   in Loop: Header=BB338_513 Depth=1
	v_and_b32_sdwa v9, v17, v41 dst_sel:DWORD dst_unused:UNUSED_PAD src0_sel:WORD_1 src1_sel:DWORD
	v_lshrrev_b32_e32 v19, 3, v20
	s_mov_b32 s23, exec_lo
	v_cmpx_gt_u32_e32 8, v20
; %bb.717:                              ;   in Loop: Header=BB338_513 Depth=1
	v_ffbh_u32_e32 v19, v9
	v_min_u32_e32 v19, 32, v19
	v_subrev_nc_u32_e32 v20, 28, v19
	v_sub_nc_u32_e32 v19, 29, v19
	v_lshlrev_b64 v[69:70], v20, v[9:10]
	v_and_b32_e32 v9, 7, v69
; %bb.718:                              ;   in Loop: Header=BB338_513 Depth=1
	s_or_b32 exec_lo, exec_lo, s23
	v_lshlrev_b32_sdwa v20, v42, v17 dst_sel:DWORD dst_unused:UNUSED_PAD src0_sel:DWORD src1_sel:WORD_1
	v_lshlrev_b32_e32 v9, 20, v9
	v_lshl_add_u32 v19, v19, 23, 0x3c000000
	v_and_b32_e32 v20, 0x80000000, v20
	v_or3_b32 v22, v9, v20, v19
.LBB338_719:                            ;   in Loop: Header=BB338_513 Depth=1
	s_or_b32 exec_lo, exec_lo, s22
.LBB338_720:                            ;   in Loop: Header=BB338_513 Depth=1
	s_or_b32 exec_lo, exec_lo, s19
.LBB338_721:                            ;   in Loop: Header=BB338_513 Depth=1
	s_or_b32 exec_lo, exec_lo, s18
	s_mov_b32 s18, exec_lo
	v_cmpx_lt_u32_e32 0xffffff, v17
	s_cbranch_execz .LBB338_729
; %bb.722:                              ;   in Loop: Header=BB338_513 Depth=1
	v_cmp_ne_u32_sdwa s1, v17, v38 src0_sel:BYTE_3 src1_sel:DWORD
	v_bfrev_b32_e32 v23, 1
	s_and_saveexec_b32 s19, s1
	s_cbranch_execz .LBB338_728
; %bb.723:                              ;   in Loop: Header=BB338_513 Depth=1
	v_bfe_u32 v20, v17, 24, 7
	v_mov_b32_e32 v23, 0x7f800001
	s_mov_b32 s22, exec_lo
	v_cmpx_ne_u32_e32 0x7f, v20
	s_cbranch_execz .LBB338_727
; %bb.724:                              ;   in Loop: Header=BB338_513 Depth=1
	v_and_b32_sdwa v9, v17, v41 dst_sel:DWORD dst_unused:UNUSED_PAD src0_sel:BYTE_3 src1_sel:DWORD
	v_lshrrev_b32_e32 v19, 3, v20
	s_mov_b32 s23, exec_lo
	v_cmpx_gt_u32_e32 8, v20
; %bb.725:                              ;   in Loop: Header=BB338_513 Depth=1
	v_ffbh_u32_e32 v19, v9
	v_min_u32_e32 v19, 32, v19
	v_subrev_nc_u32_e32 v20, 28, v19
	v_sub_nc_u32_e32 v19, 29, v19
	v_lshlrev_b64 v[69:70], v20, v[9:10]
	v_and_b32_e32 v9, 7, v69
; %bb.726:                              ;   in Loop: Header=BB338_513 Depth=1
	s_or_b32 exec_lo, exec_lo, s23
	v_lshlrev_b32_sdwa v20, v42, v17 dst_sel:DWORD dst_unused:UNUSED_PAD src0_sel:DWORD src1_sel:BYTE_3
	v_lshlrev_b32_e32 v9, 20, v9
	v_lshl_add_u32 v19, v19, 23, 0x3c000000
	v_and_b32_e32 v20, 0x80000000, v20
	v_or3_b32 v23, v9, v20, v19
.LBB338_727:                            ;   in Loop: Header=BB338_513 Depth=1
	s_or_b32 exec_lo, exec_lo, s22
.LBB338_728:                            ;   in Loop: Header=BB338_513 Depth=1
	s_or_b32 exec_lo, exec_lo, s19
.LBB338_729:                            ;   in Loop: Header=BB338_513 Depth=1
	s_or_b32 exec_lo, exec_lo, s18
	v_mov_b32_e32 v9, v18
	v_cmp_ne_u16_sdwa s1, v18, v10 src0_sel:BYTE_0 src1_sel:DWORD
	v_mov_b32_e32 v19, 0
	v_mov_b32_e32 v69, 0
	s_and_saveexec_b32 s18, s1
	s_cbranch_execz .LBB338_735
; %bb.730:                              ;   in Loop: Header=BB338_513 Depth=1
	v_cmp_ne_u16_sdwa s1, v18, v38 src0_sel:BYTE_0 src1_sel:DWORD
	v_bfrev_b32_e32 v69, 1
	s_and_saveexec_b32 s19, s1
	s_cbranch_execz .LBB338_734
; %bb.731:                              ;   in Loop: Header=BB338_513 Depth=1
	v_and_b32_e32 v20, 0x7f, v18
	v_mov_b32_e32 v69, 0x7f800001
	s_mov_b32 s22, exec_lo
	v_cmpx_ne_u32_e32 0x7f, v20
	s_cbranch_execz .LBB338_733
; %bb.732:                              ;   in Loop: Header=BB338_513 Depth=1
	v_and_b32_e32 v69, 7, v18
	v_lshrrev_b32_e32 v70, 3, v20
	v_cmp_gt_u32_e64 s1, 8, v20
	v_ffbh_u32_e32 v69, v69
	v_min_u32_e32 v69, 32, v69
	v_subrev_nc_u32_e32 v71, 28, v69
	v_sub_nc_u32_e32 v69, 29, v69
	v_cndmask_b32_e64 v20, v70, v69, s1
	v_cndmask_b32_e64 v69, 0, v71, s1
	v_lshl_add_u32 v20, v20, 23, 0x3c000000
	v_lshlrev_b64 v[69:70], v69, v[9:10]
	v_lshlrev_b32_e32 v70, 24, v9
	v_lshlrev_b32_e32 v69, 20, v69
	v_and_b32_e32 v70, 0x80000000, v70
	v_and_b32_e32 v69, 0x700000, v69
	v_or3_b32 v69, v69, v70, v20
.LBB338_733:                            ;   in Loop: Header=BB338_513 Depth=1
	s_or_b32 exec_lo, exec_lo, s22
.LBB338_734:                            ;   in Loop: Header=BB338_513 Depth=1
	s_or_b32 exec_lo, exec_lo, s19
.LBB338_735:                            ;   in Loop: Header=BB338_513 Depth=1
	s_or_b32 exec_lo, exec_lo, s18
	v_cmp_ne_u16_sdwa s1, v9, v10 src0_sel:BYTE_1 src1_sel:DWORD
	s_and_saveexec_b32 s18, s1
	s_cbranch_execz .LBB338_743
; %bb.736:                              ;   in Loop: Header=BB338_513 Depth=1
	v_cmp_ne_u16_sdwa s1, v9, v38 src0_sel:BYTE_1 src1_sel:DWORD
	v_bfrev_b32_e32 v19, 1
	s_and_saveexec_b32 s19, s1
	s_cbranch_execz .LBB338_742
; %bb.737:                              ;   in Loop: Header=BB338_513 Depth=1
	v_and_b32_sdwa v20, v39, v9 dst_sel:DWORD dst_unused:UNUSED_PAD src0_sel:DWORD src1_sel:BYTE_1
	v_mov_b32_e32 v19, 0x7f800001
	s_mov_b32 s22, exec_lo
	v_and_b32_e32 v71, 0x7f, v20
	v_cmpx_ne_u32_e32 0x7f, v71
	s_cbranch_execz .LBB338_741
; %bb.738:                              ;   in Loop: Header=BB338_513 Depth=1
	v_and_b32_e32 v19, 7, v20
	v_mov_b32_e32 v20, v10
	v_lshrrev_b32_e32 v70, 3, v71
	s_mov_b32 s23, exec_lo
	v_cmpx_gt_u32_e32 8, v71
; %bb.739:                              ;   in Loop: Header=BB338_513 Depth=1
	v_ffbh_u32_e32 v70, v19
	v_min_u32_e32 v70, 32, v70
	v_subrev_nc_u32_e32 v71, 28, v70
	v_sub_nc_u32_e32 v70, 29, v70
	v_lshlrev_b64 v[19:20], v71, v[19:20]
	v_and_b32_e32 v19, 7, v19
; %bb.740:                              ;   in Loop: Header=BB338_513 Depth=1
	s_or_b32 exec_lo, exec_lo, s23
	v_lshlrev_b32_e32 v9, 16, v9
	v_lshlrev_b32_e32 v19, 20, v19
	v_lshl_add_u32 v20, v70, 23, 0x3c000000
	v_and_b32_e32 v9, 0x80000000, v9
	v_or3_b32 v19, v19, v9, v20
.LBB338_741:                            ;   in Loop: Header=BB338_513 Depth=1
	s_or_b32 exec_lo, exec_lo, s22
.LBB338_742:                            ;   in Loop: Header=BB338_513 Depth=1
	s_or_b32 exec_lo, exec_lo, s19
.LBB338_743:                            ;   in Loop: Header=BB338_513 Depth=1
	s_or_b32 exec_lo, exec_lo, s18
	v_and_b32_sdwa v9, v18, v40 dst_sel:DWORD dst_unused:UNUSED_PAD src0_sel:WORD_1 src1_sel:DWORD
	v_mov_b32_e32 v20, 0
	v_mov_b32_e32 v71, 0
	s_mov_b32 s18, exec_lo
	v_cmpx_ne_u16_e32 0, v9
	s_cbranch_execz .LBB338_751
; %bb.744:                              ;   in Loop: Header=BB338_513 Depth=1
	v_bfrev_b32_e32 v71, 1
	s_mov_b32 s19, exec_lo
	v_cmpx_ne_u16_e32 0x80, v9
	s_cbranch_execz .LBB338_750
; %bb.745:                              ;   in Loop: Header=BB338_513 Depth=1
	v_bfe_u32 v72, v18, 16, 7
	v_mov_b32_e32 v71, 0x7f800001
	s_mov_b32 s22, exec_lo
	v_cmpx_ne_u32_e32 0x7f, v72
	s_cbranch_execz .LBB338_749
; %bb.746:                              ;   in Loop: Header=BB338_513 Depth=1
	v_and_b32_sdwa v9, v18, v41 dst_sel:DWORD dst_unused:UNUSED_PAD src0_sel:WORD_1 src1_sel:DWORD
	v_lshrrev_b32_e32 v70, 3, v72
	s_mov_b32 s23, exec_lo
	v_cmpx_gt_u32_e32 8, v72
; %bb.747:                              ;   in Loop: Header=BB338_513 Depth=1
	v_ffbh_u32_e32 v70, v9
	v_min_u32_e32 v70, 32, v70
	v_subrev_nc_u32_e32 v71, 28, v70
	v_sub_nc_u32_e32 v70, 29, v70
	v_lshlrev_b64 v[71:72], v71, v[9:10]
	v_and_b32_e32 v9, 7, v71
; %bb.748:                              ;   in Loop: Header=BB338_513 Depth=1
	s_or_b32 exec_lo, exec_lo, s23
	v_lshlrev_b32_sdwa v71, v42, v18 dst_sel:DWORD dst_unused:UNUSED_PAD src0_sel:DWORD src1_sel:WORD_1
	v_lshlrev_b32_e32 v9, 20, v9
	v_lshl_add_u32 v70, v70, 23, 0x3c000000
	v_and_b32_e32 v71, 0x80000000, v71
	v_or3_b32 v71, v9, v71, v70
.LBB338_749:                            ;   in Loop: Header=BB338_513 Depth=1
	s_or_b32 exec_lo, exec_lo, s22
.LBB338_750:                            ;   in Loop: Header=BB338_513 Depth=1
	s_or_b32 exec_lo, exec_lo, s19
.LBB338_751:                            ;   in Loop: Header=BB338_513 Depth=1
	s_or_b32 exec_lo, exec_lo, s18
	s_mov_b32 s18, exec_lo
	v_cmpx_lt_u64_e64 s[4:5], v[17:18]
	s_cbranch_execz .LBB338_759
; %bb.752:                              ;   in Loop: Header=BB338_513 Depth=1
	v_cmp_ne_u32_sdwa s1, v18, v38 src0_sel:BYTE_3 src1_sel:DWORD
	v_bfrev_b32_e32 v20, 1
	s_and_saveexec_b32 s19, s1
	s_cbranch_execz .LBB338_758
; %bb.753:                              ;   in Loop: Header=BB338_513 Depth=1
	v_bfe_u32 v70, v18, 24, 7
	v_mov_b32_e32 v20, 0x7f800001
	s_mov_b32 s22, exec_lo
	v_cmpx_ne_u32_e32 0x7f, v70
	s_cbranch_execz .LBB338_757
; %bb.754:                              ;   in Loop: Header=BB338_513 Depth=1
	v_and_b32_sdwa v9, v18, v41 dst_sel:DWORD dst_unused:UNUSED_PAD src0_sel:BYTE_3 src1_sel:DWORD
	v_lshrrev_b32_e32 v17, 3, v70
	s_mov_b32 s23, exec_lo
	v_cmpx_gt_u32_e32 8, v70
; %bb.755:                              ;   in Loop: Header=BB338_513 Depth=1
	v_ffbh_u32_e32 v17, v9
	v_min_u32_e32 v17, 32, v17
	v_subrev_nc_u32_e32 v20, 28, v17
	v_sub_nc_u32_e32 v17, 29, v17
	v_lshlrev_b64 v[72:73], v20, v[9:10]
	v_and_b32_e32 v9, 7, v72
; %bb.756:                              ;   in Loop: Header=BB338_513 Depth=1
	s_or_b32 exec_lo, exec_lo, s23
	v_lshlrev_b32_sdwa v18, v42, v18 dst_sel:DWORD dst_unused:UNUSED_PAD src0_sel:DWORD src1_sel:BYTE_3
	v_lshlrev_b32_e32 v9, 20, v9
	v_lshl_add_u32 v17, v17, 23, 0x3c000000
	v_and_b32_e32 v18, 0x80000000, v18
	v_or3_b32 v20, v9, v18, v17
.LBB338_757:                            ;   in Loop: Header=BB338_513 Depth=1
	s_or_b32 exec_lo, exec_lo, s22
.LBB338_758:                            ;   in Loop: Header=BB338_513 Depth=1
	s_or_b32 exec_lo, exec_lo, s19
.LBB338_759:                            ;   in Loop: Header=BB338_513 Depth=1
	s_or_b32 exec_lo, exec_lo, s18
	v_mul_f32_e32 v9, s16, v19
	v_mul_f32_e32 v17, s16, v69
	;; [unrolled: 1-line block ×5, first 2 shown]
	v_bfe_u32 v22, v9, 16, 1
	v_or_b32_e32 v23, 0x400000, v9
	v_bfe_u32 v69, v17, 16, 1
	v_cmp_u_f32_e64 s1, v9, v9
	v_or_b32_e32 v70, 0x400000, v17
	v_add3_u32 v22, v22, v9, 0x7fff
	v_bfe_u32 v72, v18, 16, 1
	v_add3_u32 v69, v69, v17, 0x7fff
	v_or_b32_e32 v73, 0x400000, v18
	v_bfe_u32 v74, v19, 16, 1
	v_cndmask_b32_e64 v9, v22, v23, s1
	v_cmp_u_f32_e64 s1, v17, v17
	v_add3_u32 v72, v72, v18, 0x7fff
	v_or_b32_e32 v22, 0x400000, v19
	v_mul_f32_e32 v20, s16, v20
	v_cndmask_b32_e64 v17, v69, v70, s1
	v_cmp_u_f32_e64 s1, v18, v18
	v_lshrrev_b32_e32 v69, 16, v9
	v_mul_f32_e32 v9, s16, v21
	v_add3_u32 v21, v74, v19, 0x7fff
	v_lshrrev_b32_e32 v70, 16, v17
	v_cndmask_b32_e64 v18, v72, v73, s1
	v_cmp_u_f32_e64 s1, v19, v19
	v_bfe_u32 v17, v9, 16, 1
	v_mul_f32_e32 v19, s16, v71
	v_or_b32_e32 v73, 0x400000, v20
	v_lshrrev_b32_e32 v72, 16, v18
	v_cndmask_b32_e64 v18, v21, v22, s1
	v_add3_u32 v17, v17, v9, 0x7fff
	v_or_b32_e32 v21, 0x400000, v9
	v_bfe_u32 v22, v0, 16, 1
	v_cmp_u_f32_e64 s1, v9, v9
	v_bfe_u32 v23, v19, 16, 1
	v_or_b32_e32 v71, 0x400000, v19
	v_lshrrev_b32_e32 v74, 16, v18
	v_cndmask_b32_e64 v9, v17, v21, s1
	v_add3_u32 v21, v22, v0, 0x7fff
	v_or_b32_e32 v22, 0x400000, v0
	v_cmp_u_f32_e64 s1, v0, v0
	v_bfe_u32 v17, v20, 16, 1
	v_add3_u32 v23, v23, v19, 0x7fff
	v_lshrrev_b32_e32 v76, 16, v9
	v_cndmask_b32_e64 v0, v21, v22, s1
	v_cmp_u_f32_e64 s1, v19, v19
	v_add3_u32 v17, v17, v20, 0x7fff
	v_lshrrev_b32_e32 v75, 16, v0
	v_cndmask_b32_e64 v19, v23, v71, s1
	v_cmp_u_f32_e64 s1, v20, v20
	v_lshrrev_b32_e32 v71, 16, v19
	v_cndmask_b32_e64 v17, v17, v73, s1
	v_lshrrev_b32_e32 v73, 16, v17
	s_and_saveexec_b32 s18, s0
	s_cbranch_execz .LBB338_761
; %bb.760:                              ;   in Loop: Header=BB338_513 Depth=1
	v_add_nc_u32_e32 v0, -6, v36
	v_cmp_gt_i32_e64 s1, s11, v54
	v_add_nc_u32_e32 v9, -5, v36
	v_add_nc_u32_e32 v17, -2, v36
	v_cndmask_b32_e64 v75, 0, v75, s1
	v_cmp_gt_i32_e64 s1, s11, v0
	v_add_nc_u32_e32 v0, -4, v36
	v_cndmask_b32_e64 v76, 0, v76, s1
	v_cmp_gt_i32_e64 s1, s11, v9
	;; [unrolled: 3-line block ×4, first 2 shown]
	v_cndmask_b32_e64 v70, 0, v70, s1
	v_cmp_gt_i32_e64 s1, s11, v17
	v_cndmask_b32_e64 v69, 0, v69, s1
	v_cmp_gt_i32_e64 s1, s11, v0
	;; [unrolled: 2-line block ×3, first 2 shown]
	v_cndmask_b32_e64 v73, 0, v73, s1
.LBB338_761:                            ;   in Loop: Header=BB338_513 Depth=1
	s_or_b32 exec_lo, exec_lo, s18
	global_load_dwordx2 v[17:18], v[15:16], off offset:1024
	v_mov_b32_e32 v21, 0
	v_mov_b32_e32 v0, 0
	s_waitcnt vmcnt(0)
	v_cmp_ne_u16_sdwa s1, v17, v10 src0_sel:BYTE_0 src1_sel:DWORD
	s_and_saveexec_b32 s18, s1
	s_cbranch_execz .LBB338_767
; %bb.762:                              ;   in Loop: Header=BB338_513 Depth=1
	v_cmp_ne_u16_sdwa s1, v17, v38 src0_sel:BYTE_0 src1_sel:DWORD
	v_bfrev_b32_e32 v0, 1
	s_and_saveexec_b32 s19, s1
	s_cbranch_execz .LBB338_766
; %bb.763:                              ;   in Loop: Header=BB338_513 Depth=1
	v_and_b32_e32 v9, 0x7f, v17
	v_mov_b32_e32 v0, 0x7f800001
	s_mov_b32 s22, exec_lo
	v_cmpx_ne_u32_e32 0x7f, v9
	s_cbranch_execz .LBB338_765
; %bb.764:                              ;   in Loop: Header=BB338_513 Depth=1
	v_and_b32_e32 v0, 7, v17
	v_cmp_gt_u32_e64 s1, 8, v9
	v_lshrrev_b32_e32 v19, 3, v9
	v_ffbh_u32_e32 v0, v0
	v_min_u32_e32 v0, 32, v0
	v_subrev_nc_u32_e32 v20, 28, v0
	v_sub_nc_u32_e32 v0, 29, v0
	v_cndmask_b32_e64 v9, 0, v20, s1
	v_cndmask_b32_e64 v0, v19, v0, s1
	v_lshlrev_b64 v[19:20], v9, v[17:18]
	v_lshlrev_b32_e32 v9, 24, v17
	v_lshl_add_u32 v0, v0, 23, 0x3c000000
	v_and_b32_e32 v9, 0x80000000, v9
	v_lshlrev_b32_e32 v19, 20, v19
	v_and_b32_e32 v19, 0x700000, v19
	v_or3_b32 v0, v19, v9, v0
.LBB338_765:                            ;   in Loop: Header=BB338_513 Depth=1
	s_or_b32 exec_lo, exec_lo, s22
.LBB338_766:                            ;   in Loop: Header=BB338_513 Depth=1
	s_or_b32 exec_lo, exec_lo, s19
.LBB338_767:                            ;   in Loop: Header=BB338_513 Depth=1
	s_or_b32 exec_lo, exec_lo, s18
	v_cmp_ne_u16_sdwa s1, v17, v10 src0_sel:BYTE_1 src1_sel:DWORD
	s_and_saveexec_b32 s18, s1
	s_cbranch_execz .LBB338_775
; %bb.768:                              ;   in Loop: Header=BB338_513 Depth=1
	v_cmp_ne_u16_sdwa s1, v17, v38 src0_sel:BYTE_1 src1_sel:DWORD
	v_bfrev_b32_e32 v21, 1
	s_and_saveexec_b32 s19, s1
	s_cbranch_execz .LBB338_774
; %bb.769:                              ;   in Loop: Header=BB338_513 Depth=1
	v_and_b32_sdwa v9, v39, v17 dst_sel:DWORD dst_unused:UNUSED_PAD src0_sel:DWORD src1_sel:BYTE_1
	v_mov_b32_e32 v21, 0x7f800001
	s_mov_b32 s22, exec_lo
	v_and_b32_e32 v20, 0x7f, v9
	v_cmpx_ne_u32_e32 0x7f, v20
	s_cbranch_execz .LBB338_773
; %bb.770:                              ;   in Loop: Header=BB338_513 Depth=1
	v_and_b32_e32 v9, 7, v9
	v_lshrrev_b32_e32 v19, 3, v20
	s_mov_b32 s23, exec_lo
	v_cmpx_gt_u32_e32 8, v20
; %bb.771:                              ;   in Loop: Header=BB338_513 Depth=1
	v_ffbh_u32_e32 v19, v9
	v_min_u32_e32 v19, 32, v19
	v_subrev_nc_u32_e32 v20, 28, v19
	v_sub_nc_u32_e32 v19, 29, v19
	v_lshlrev_b64 v[20:21], v20, v[9:10]
	v_and_b32_e32 v9, 7, v20
; %bb.772:                              ;   in Loop: Header=BB338_513 Depth=1
	s_or_b32 exec_lo, exec_lo, s23
	v_lshlrev_b32_e32 v20, 16, v17
	v_lshlrev_b32_e32 v9, 20, v9
	v_lshl_add_u32 v19, v19, 23, 0x3c000000
	v_and_b32_e32 v20, 0x80000000, v20
	v_or3_b32 v21, v9, v20, v19
.LBB338_773:                            ;   in Loop: Header=BB338_513 Depth=1
	s_or_b32 exec_lo, exec_lo, s22
.LBB338_774:                            ;   in Loop: Header=BB338_513 Depth=1
	s_or_b32 exec_lo, exec_lo, s19
.LBB338_775:                            ;   in Loop: Header=BB338_513 Depth=1
	s_or_b32 exec_lo, exec_lo, s18
	v_and_b32_sdwa v9, v17, v40 dst_sel:DWORD dst_unused:UNUSED_PAD src0_sel:WORD_1 src1_sel:DWORD
	v_mov_b32_e32 v23, 0
	v_mov_b32_e32 v22, 0
	s_mov_b32 s18, exec_lo
	v_cmpx_ne_u16_e32 0, v9
	s_cbranch_execz .LBB338_783
; %bb.776:                              ;   in Loop: Header=BB338_513 Depth=1
	v_bfrev_b32_e32 v22, 1
	s_mov_b32 s19, exec_lo
	v_cmpx_ne_u16_e32 0x80, v9
	s_cbranch_execz .LBB338_782
; %bb.777:                              ;   in Loop: Header=BB338_513 Depth=1
	v_bfe_u32 v20, v17, 16, 7
	v_mov_b32_e32 v22, 0x7f800001
	s_mov_b32 s22, exec_lo
	v_cmpx_ne_u32_e32 0x7f, v20
	s_cbranch_execz .LBB338_781
; %bb.778:                              ;   in Loop: Header=BB338_513 Depth=1
	v_and_b32_sdwa v9, v17, v41 dst_sel:DWORD dst_unused:UNUSED_PAD src0_sel:WORD_1 src1_sel:DWORD
	v_lshrrev_b32_e32 v19, 3, v20
	s_mov_b32 s23, exec_lo
	v_cmpx_gt_u32_e32 8, v20
; %bb.779:                              ;   in Loop: Header=BB338_513 Depth=1
	v_ffbh_u32_e32 v19, v9
	v_min_u32_e32 v19, 32, v19
	v_subrev_nc_u32_e32 v20, 28, v19
	v_sub_nc_u32_e32 v19, 29, v19
	v_lshlrev_b64 v[77:78], v20, v[9:10]
	v_and_b32_e32 v9, 7, v77
; %bb.780:                              ;   in Loop: Header=BB338_513 Depth=1
	s_or_b32 exec_lo, exec_lo, s23
	v_lshlrev_b32_sdwa v20, v42, v17 dst_sel:DWORD dst_unused:UNUSED_PAD src0_sel:DWORD src1_sel:WORD_1
	v_lshlrev_b32_e32 v9, 20, v9
	v_lshl_add_u32 v19, v19, 23, 0x3c000000
	v_and_b32_e32 v20, 0x80000000, v20
	v_or3_b32 v22, v9, v20, v19
.LBB338_781:                            ;   in Loop: Header=BB338_513 Depth=1
	s_or_b32 exec_lo, exec_lo, s22
.LBB338_782:                            ;   in Loop: Header=BB338_513 Depth=1
	s_or_b32 exec_lo, exec_lo, s19
.LBB338_783:                            ;   in Loop: Header=BB338_513 Depth=1
	s_or_b32 exec_lo, exec_lo, s18
	s_mov_b32 s18, exec_lo
	v_cmpx_lt_u32_e32 0xffffff, v17
	s_cbranch_execz .LBB338_791
; %bb.784:                              ;   in Loop: Header=BB338_513 Depth=1
	v_cmp_ne_u32_sdwa s1, v17, v38 src0_sel:BYTE_3 src1_sel:DWORD
	v_bfrev_b32_e32 v23, 1
	s_and_saveexec_b32 s19, s1
	s_cbranch_execz .LBB338_790
; %bb.785:                              ;   in Loop: Header=BB338_513 Depth=1
	v_bfe_u32 v20, v17, 24, 7
	v_mov_b32_e32 v23, 0x7f800001
	s_mov_b32 s22, exec_lo
	v_cmpx_ne_u32_e32 0x7f, v20
	s_cbranch_execz .LBB338_789
; %bb.786:                              ;   in Loop: Header=BB338_513 Depth=1
	v_and_b32_sdwa v9, v17, v41 dst_sel:DWORD dst_unused:UNUSED_PAD src0_sel:BYTE_3 src1_sel:DWORD
	v_lshrrev_b32_e32 v19, 3, v20
	s_mov_b32 s23, exec_lo
	v_cmpx_gt_u32_e32 8, v20
; %bb.787:                              ;   in Loop: Header=BB338_513 Depth=1
	v_ffbh_u32_e32 v19, v9
	v_min_u32_e32 v19, 32, v19
	v_subrev_nc_u32_e32 v20, 28, v19
	v_sub_nc_u32_e32 v19, 29, v19
	v_lshlrev_b64 v[77:78], v20, v[9:10]
	v_and_b32_e32 v9, 7, v77
; %bb.788:                              ;   in Loop: Header=BB338_513 Depth=1
	s_or_b32 exec_lo, exec_lo, s23
	v_lshlrev_b32_sdwa v20, v42, v17 dst_sel:DWORD dst_unused:UNUSED_PAD src0_sel:DWORD src1_sel:BYTE_3
	v_lshlrev_b32_e32 v9, 20, v9
	v_lshl_add_u32 v19, v19, 23, 0x3c000000
	v_and_b32_e32 v20, 0x80000000, v20
	v_or3_b32 v23, v9, v20, v19
.LBB338_789:                            ;   in Loop: Header=BB338_513 Depth=1
	s_or_b32 exec_lo, exec_lo, s22
.LBB338_790:                            ;   in Loop: Header=BB338_513 Depth=1
	s_or_b32 exec_lo, exec_lo, s19
.LBB338_791:                            ;   in Loop: Header=BB338_513 Depth=1
	s_or_b32 exec_lo, exec_lo, s18
	v_mov_b32_e32 v9, v18
	v_cmp_ne_u16_sdwa s1, v18, v10 src0_sel:BYTE_0 src1_sel:DWORD
	v_mov_b32_e32 v19, 0
	v_mov_b32_e32 v77, 0
	s_and_saveexec_b32 s18, s1
	s_cbranch_execz .LBB338_797
; %bb.792:                              ;   in Loop: Header=BB338_513 Depth=1
	v_cmp_ne_u16_sdwa s1, v18, v38 src0_sel:BYTE_0 src1_sel:DWORD
	v_bfrev_b32_e32 v77, 1
	s_and_saveexec_b32 s19, s1
	s_cbranch_execz .LBB338_796
; %bb.793:                              ;   in Loop: Header=BB338_513 Depth=1
	v_and_b32_e32 v20, 0x7f, v18
	v_mov_b32_e32 v77, 0x7f800001
	s_mov_b32 s22, exec_lo
	v_cmpx_ne_u32_e32 0x7f, v20
	s_cbranch_execz .LBB338_795
; %bb.794:                              ;   in Loop: Header=BB338_513 Depth=1
	v_and_b32_e32 v77, 7, v18
	v_lshrrev_b32_e32 v78, 3, v20
	v_cmp_gt_u32_e64 s1, 8, v20
	v_ffbh_u32_e32 v77, v77
	v_min_u32_e32 v77, 32, v77
	v_subrev_nc_u32_e32 v79, 28, v77
	v_sub_nc_u32_e32 v77, 29, v77
	v_cndmask_b32_e64 v20, v78, v77, s1
	v_cndmask_b32_e64 v77, 0, v79, s1
	v_lshl_add_u32 v20, v20, 23, 0x3c000000
	v_lshlrev_b64 v[77:78], v77, v[9:10]
	v_lshlrev_b32_e32 v78, 24, v9
	v_lshlrev_b32_e32 v77, 20, v77
	v_and_b32_e32 v78, 0x80000000, v78
	v_and_b32_e32 v77, 0x700000, v77
	v_or3_b32 v77, v77, v78, v20
.LBB338_795:                            ;   in Loop: Header=BB338_513 Depth=1
	s_or_b32 exec_lo, exec_lo, s22
.LBB338_796:                            ;   in Loop: Header=BB338_513 Depth=1
	s_or_b32 exec_lo, exec_lo, s19
.LBB338_797:                            ;   in Loop: Header=BB338_513 Depth=1
	s_or_b32 exec_lo, exec_lo, s18
	v_cmp_ne_u16_sdwa s1, v9, v10 src0_sel:BYTE_1 src1_sel:DWORD
	s_and_saveexec_b32 s18, s1
	s_cbranch_execz .LBB338_805
; %bb.798:                              ;   in Loop: Header=BB338_513 Depth=1
	v_cmp_ne_u16_sdwa s1, v9, v38 src0_sel:BYTE_1 src1_sel:DWORD
	v_bfrev_b32_e32 v19, 1
	s_and_saveexec_b32 s19, s1
	s_cbranch_execz .LBB338_804
; %bb.799:                              ;   in Loop: Header=BB338_513 Depth=1
	v_and_b32_sdwa v20, v39, v9 dst_sel:DWORD dst_unused:UNUSED_PAD src0_sel:DWORD src1_sel:BYTE_1
	v_mov_b32_e32 v19, 0x7f800001
	s_mov_b32 s22, exec_lo
	v_and_b32_e32 v79, 0x7f, v20
	v_cmpx_ne_u32_e32 0x7f, v79
	s_cbranch_execz .LBB338_803
; %bb.800:                              ;   in Loop: Header=BB338_513 Depth=1
	v_and_b32_e32 v19, 7, v20
	v_mov_b32_e32 v20, v10
	v_lshrrev_b32_e32 v78, 3, v79
	s_mov_b32 s23, exec_lo
	v_cmpx_gt_u32_e32 8, v79
; %bb.801:                              ;   in Loop: Header=BB338_513 Depth=1
	v_ffbh_u32_e32 v78, v19
	v_min_u32_e32 v78, 32, v78
	v_subrev_nc_u32_e32 v79, 28, v78
	v_sub_nc_u32_e32 v78, 29, v78
	v_lshlrev_b64 v[19:20], v79, v[19:20]
	v_and_b32_e32 v19, 7, v19
; %bb.802:                              ;   in Loop: Header=BB338_513 Depth=1
	s_or_b32 exec_lo, exec_lo, s23
	v_lshlrev_b32_e32 v9, 16, v9
	v_lshlrev_b32_e32 v19, 20, v19
	v_lshl_add_u32 v20, v78, 23, 0x3c000000
	v_and_b32_e32 v9, 0x80000000, v9
	v_or3_b32 v19, v19, v9, v20
.LBB338_803:                            ;   in Loop: Header=BB338_513 Depth=1
	s_or_b32 exec_lo, exec_lo, s22
.LBB338_804:                            ;   in Loop: Header=BB338_513 Depth=1
	s_or_b32 exec_lo, exec_lo, s19
.LBB338_805:                            ;   in Loop: Header=BB338_513 Depth=1
	s_or_b32 exec_lo, exec_lo, s18
	v_and_b32_sdwa v9, v18, v40 dst_sel:DWORD dst_unused:UNUSED_PAD src0_sel:WORD_1 src1_sel:DWORD
	v_mov_b32_e32 v20, 0
	v_mov_b32_e32 v79, 0
	s_mov_b32 s18, exec_lo
	v_cmpx_ne_u16_e32 0, v9
	s_cbranch_execz .LBB338_813
; %bb.806:                              ;   in Loop: Header=BB338_513 Depth=1
	v_bfrev_b32_e32 v79, 1
	s_mov_b32 s19, exec_lo
	v_cmpx_ne_u16_e32 0x80, v9
	s_cbranch_execz .LBB338_812
; %bb.807:                              ;   in Loop: Header=BB338_513 Depth=1
	v_bfe_u32 v80, v18, 16, 7
	v_mov_b32_e32 v79, 0x7f800001
	s_mov_b32 s22, exec_lo
	v_cmpx_ne_u32_e32 0x7f, v80
	s_cbranch_execz .LBB338_811
; %bb.808:                              ;   in Loop: Header=BB338_513 Depth=1
	v_and_b32_sdwa v9, v18, v41 dst_sel:DWORD dst_unused:UNUSED_PAD src0_sel:WORD_1 src1_sel:DWORD
	v_lshrrev_b32_e32 v78, 3, v80
	s_mov_b32 s23, exec_lo
	v_cmpx_gt_u32_e32 8, v80
; %bb.809:                              ;   in Loop: Header=BB338_513 Depth=1
	v_ffbh_u32_e32 v78, v9
	v_min_u32_e32 v78, 32, v78
	v_subrev_nc_u32_e32 v79, 28, v78
	v_sub_nc_u32_e32 v78, 29, v78
	v_lshlrev_b64 v[79:80], v79, v[9:10]
	v_and_b32_e32 v9, 7, v79
; %bb.810:                              ;   in Loop: Header=BB338_513 Depth=1
	s_or_b32 exec_lo, exec_lo, s23
	v_lshlrev_b32_sdwa v79, v42, v18 dst_sel:DWORD dst_unused:UNUSED_PAD src0_sel:DWORD src1_sel:WORD_1
	v_lshlrev_b32_e32 v9, 20, v9
	v_lshl_add_u32 v78, v78, 23, 0x3c000000
	v_and_b32_e32 v79, 0x80000000, v79
	v_or3_b32 v79, v9, v79, v78
.LBB338_811:                            ;   in Loop: Header=BB338_513 Depth=1
	s_or_b32 exec_lo, exec_lo, s22
.LBB338_812:                            ;   in Loop: Header=BB338_513 Depth=1
	s_or_b32 exec_lo, exec_lo, s19
.LBB338_813:                            ;   in Loop: Header=BB338_513 Depth=1
	s_or_b32 exec_lo, exec_lo, s18
	s_mov_b32 s18, exec_lo
	v_cmpx_lt_u64_e64 s[4:5], v[17:18]
	s_cbranch_execz .LBB338_821
; %bb.814:                              ;   in Loop: Header=BB338_513 Depth=1
	v_cmp_ne_u32_sdwa s1, v18, v38 src0_sel:BYTE_3 src1_sel:DWORD
	v_bfrev_b32_e32 v20, 1
	s_and_saveexec_b32 s19, s1
	s_cbranch_execz .LBB338_820
; %bb.815:                              ;   in Loop: Header=BB338_513 Depth=1
	v_bfe_u32 v78, v18, 24, 7
	v_mov_b32_e32 v20, 0x7f800001
	s_mov_b32 s22, exec_lo
	v_cmpx_ne_u32_e32 0x7f, v78
	s_cbranch_execz .LBB338_819
; %bb.816:                              ;   in Loop: Header=BB338_513 Depth=1
	v_and_b32_sdwa v9, v18, v41 dst_sel:DWORD dst_unused:UNUSED_PAD src0_sel:BYTE_3 src1_sel:DWORD
	v_lshrrev_b32_e32 v17, 3, v78
	s_mov_b32 s23, exec_lo
	v_cmpx_gt_u32_e32 8, v78
; %bb.817:                              ;   in Loop: Header=BB338_513 Depth=1
	v_ffbh_u32_e32 v17, v9
	v_min_u32_e32 v17, 32, v17
	v_subrev_nc_u32_e32 v20, 28, v17
	v_sub_nc_u32_e32 v17, 29, v17
	v_lshlrev_b64 v[80:81], v20, v[9:10]
	v_and_b32_e32 v9, 7, v80
; %bb.818:                              ;   in Loop: Header=BB338_513 Depth=1
	s_or_b32 exec_lo, exec_lo, s23
	v_lshlrev_b32_sdwa v18, v42, v18 dst_sel:DWORD dst_unused:UNUSED_PAD src0_sel:DWORD src1_sel:BYTE_3
	v_lshlrev_b32_e32 v9, 20, v9
	v_lshl_add_u32 v17, v17, 23, 0x3c000000
	v_and_b32_e32 v18, 0x80000000, v18
	v_or3_b32 v20, v9, v18, v17
.LBB338_819:                            ;   in Loop: Header=BB338_513 Depth=1
	s_or_b32 exec_lo, exec_lo, s22
.LBB338_820:                            ;   in Loop: Header=BB338_513 Depth=1
	s_or_b32 exec_lo, exec_lo, s19
.LBB338_821:                            ;   in Loop: Header=BB338_513 Depth=1
	s_or_b32 exec_lo, exec_lo, s18
	v_mul_f32_e32 v9, s16, v19
	v_mul_f32_e32 v17, s16, v77
	;; [unrolled: 1-line block ×5, first 2 shown]
	v_bfe_u32 v22, v9, 16, 1
	v_or_b32_e32 v23, 0x400000, v9
	v_bfe_u32 v77, v17, 16, 1
	v_cmp_u_f32_e64 s1, v9, v9
	v_or_b32_e32 v78, 0x400000, v17
	v_add3_u32 v22, v22, v9, 0x7fff
	v_bfe_u32 v80, v18, 16, 1
	v_add3_u32 v77, v77, v17, 0x7fff
	v_or_b32_e32 v81, 0x400000, v18
	v_bfe_u32 v82, v19, 16, 1
	v_cndmask_b32_e64 v9, v22, v23, s1
	v_cmp_u_f32_e64 s1, v17, v17
	v_add3_u32 v80, v80, v18, 0x7fff
	v_or_b32_e32 v22, 0x400000, v19
	v_mul_f32_e32 v20, s16, v20
	v_cndmask_b32_e64 v17, v77, v78, s1
	v_cmp_u_f32_e64 s1, v18, v18
	v_lshrrev_b32_e32 v77, 16, v9
	v_mul_f32_e32 v9, s16, v21
	v_add3_u32 v21, v82, v19, 0x7fff
	v_lshrrev_b32_e32 v78, 16, v17
	v_cndmask_b32_e64 v18, v80, v81, s1
	v_cmp_u_f32_e64 s1, v19, v19
	v_bfe_u32 v17, v9, 16, 1
	v_mul_f32_e32 v19, s16, v79
	v_or_b32_e32 v81, 0x400000, v20
	v_lshrrev_b32_e32 v80, 16, v18
	v_cndmask_b32_e64 v18, v21, v22, s1
	v_add3_u32 v17, v17, v9, 0x7fff
	v_or_b32_e32 v21, 0x400000, v9
	v_bfe_u32 v22, v0, 16, 1
	v_cmp_u_f32_e64 s1, v9, v9
	v_bfe_u32 v23, v19, 16, 1
	v_or_b32_e32 v79, 0x400000, v19
	v_lshrrev_b32_e32 v82, 16, v18
	v_cndmask_b32_e64 v9, v17, v21, s1
	v_add3_u32 v21, v22, v0, 0x7fff
	v_or_b32_e32 v22, 0x400000, v0
	v_cmp_u_f32_e64 s1, v0, v0
	v_bfe_u32 v17, v20, 16, 1
	v_add3_u32 v23, v23, v19, 0x7fff
	v_lshrrev_b32_e32 v84, 16, v9
	v_cndmask_b32_e64 v0, v21, v22, s1
	v_cmp_u_f32_e64 s1, v19, v19
	v_add3_u32 v17, v17, v20, 0x7fff
	v_lshrrev_b32_e32 v83, 16, v0
	v_cndmask_b32_e64 v19, v23, v79, s1
	v_cmp_u_f32_e64 s1, v20, v20
	v_lshrrev_b32_e32 v79, 16, v19
	v_cndmask_b32_e64 v17, v17, v81, s1
	v_lshrrev_b32_e32 v81, 16, v17
	s_and_saveexec_b32 s18, s0
	s_cbranch_execz .LBB338_823
; %bb.822:                              ;   in Loop: Header=BB338_513 Depth=1
	v_add_nc_u32_e32 v0, -6, v36
	v_cmp_gt_i32_e64 s1, s11, v54
	v_add_nc_u32_e32 v9, -5, v36
	v_add_nc_u32_e32 v17, -2, v36
	v_cndmask_b32_e64 v83, 0, v83, s1
	v_cmp_gt_i32_e64 s1, s11, v0
	v_add_nc_u32_e32 v0, -4, v36
	v_cndmask_b32_e64 v84, 0, v84, s1
	v_cmp_gt_i32_e64 s1, s11, v9
	;; [unrolled: 3-line block ×4, first 2 shown]
	v_cndmask_b32_e64 v78, 0, v78, s1
	v_cmp_gt_i32_e64 s1, s11, v17
	v_cndmask_b32_e64 v77, 0, v77, s1
	v_cmp_gt_i32_e64 s1, s11, v0
	;; [unrolled: 2-line block ×3, first 2 shown]
	v_cndmask_b32_e64 v81, 0, v81, s1
.LBB338_823:                            ;   in Loop: Header=BB338_513 Depth=1
	s_or_b32 exec_lo, exec_lo, s18
	global_load_dwordx2 v[17:18], v[15:16], off offset:1280
	v_mov_b32_e32 v21, 0
	v_mov_b32_e32 v0, 0
	s_waitcnt vmcnt(0)
	v_cmp_ne_u16_sdwa s1, v17, v10 src0_sel:BYTE_0 src1_sel:DWORD
	s_and_saveexec_b32 s18, s1
	s_cbranch_execz .LBB338_829
; %bb.824:                              ;   in Loop: Header=BB338_513 Depth=1
	v_cmp_ne_u16_sdwa s1, v17, v38 src0_sel:BYTE_0 src1_sel:DWORD
	v_bfrev_b32_e32 v0, 1
	s_and_saveexec_b32 s19, s1
	s_cbranch_execz .LBB338_828
; %bb.825:                              ;   in Loop: Header=BB338_513 Depth=1
	v_and_b32_e32 v9, 0x7f, v17
	v_mov_b32_e32 v0, 0x7f800001
	s_mov_b32 s22, exec_lo
	v_cmpx_ne_u32_e32 0x7f, v9
	s_cbranch_execz .LBB338_827
; %bb.826:                              ;   in Loop: Header=BB338_513 Depth=1
	v_and_b32_e32 v0, 7, v17
	v_cmp_gt_u32_e64 s1, 8, v9
	v_lshrrev_b32_e32 v19, 3, v9
	v_ffbh_u32_e32 v0, v0
	v_min_u32_e32 v0, 32, v0
	v_subrev_nc_u32_e32 v20, 28, v0
	v_sub_nc_u32_e32 v0, 29, v0
	v_cndmask_b32_e64 v9, 0, v20, s1
	v_cndmask_b32_e64 v0, v19, v0, s1
	v_lshlrev_b64 v[19:20], v9, v[17:18]
	v_lshlrev_b32_e32 v9, 24, v17
	v_lshl_add_u32 v0, v0, 23, 0x3c000000
	v_and_b32_e32 v9, 0x80000000, v9
	v_lshlrev_b32_e32 v19, 20, v19
	v_and_b32_e32 v19, 0x700000, v19
	v_or3_b32 v0, v19, v9, v0
.LBB338_827:                            ;   in Loop: Header=BB338_513 Depth=1
	s_or_b32 exec_lo, exec_lo, s22
.LBB338_828:                            ;   in Loop: Header=BB338_513 Depth=1
	s_or_b32 exec_lo, exec_lo, s19
.LBB338_829:                            ;   in Loop: Header=BB338_513 Depth=1
	s_or_b32 exec_lo, exec_lo, s18
	v_cmp_ne_u16_sdwa s1, v17, v10 src0_sel:BYTE_1 src1_sel:DWORD
	s_and_saveexec_b32 s18, s1
	s_cbranch_execz .LBB338_837
; %bb.830:                              ;   in Loop: Header=BB338_513 Depth=1
	v_cmp_ne_u16_sdwa s1, v17, v38 src0_sel:BYTE_1 src1_sel:DWORD
	v_bfrev_b32_e32 v21, 1
	s_and_saveexec_b32 s19, s1
	s_cbranch_execz .LBB338_836
; %bb.831:                              ;   in Loop: Header=BB338_513 Depth=1
	v_and_b32_sdwa v9, v39, v17 dst_sel:DWORD dst_unused:UNUSED_PAD src0_sel:DWORD src1_sel:BYTE_1
	v_mov_b32_e32 v21, 0x7f800001
	s_mov_b32 s22, exec_lo
	v_and_b32_e32 v20, 0x7f, v9
	v_cmpx_ne_u32_e32 0x7f, v20
	s_cbranch_execz .LBB338_835
; %bb.832:                              ;   in Loop: Header=BB338_513 Depth=1
	v_and_b32_e32 v9, 7, v9
	v_lshrrev_b32_e32 v19, 3, v20
	s_mov_b32 s23, exec_lo
	v_cmpx_gt_u32_e32 8, v20
; %bb.833:                              ;   in Loop: Header=BB338_513 Depth=1
	v_ffbh_u32_e32 v19, v9
	v_min_u32_e32 v19, 32, v19
	v_subrev_nc_u32_e32 v20, 28, v19
	v_sub_nc_u32_e32 v19, 29, v19
	v_lshlrev_b64 v[20:21], v20, v[9:10]
	v_and_b32_e32 v9, 7, v20
; %bb.834:                              ;   in Loop: Header=BB338_513 Depth=1
	s_or_b32 exec_lo, exec_lo, s23
	v_lshlrev_b32_e32 v20, 16, v17
	v_lshlrev_b32_e32 v9, 20, v9
	v_lshl_add_u32 v19, v19, 23, 0x3c000000
	v_and_b32_e32 v20, 0x80000000, v20
	v_or3_b32 v21, v9, v20, v19
.LBB338_835:                            ;   in Loop: Header=BB338_513 Depth=1
	s_or_b32 exec_lo, exec_lo, s22
.LBB338_836:                            ;   in Loop: Header=BB338_513 Depth=1
	s_or_b32 exec_lo, exec_lo, s19
.LBB338_837:                            ;   in Loop: Header=BB338_513 Depth=1
	s_or_b32 exec_lo, exec_lo, s18
	v_and_b32_sdwa v9, v17, v40 dst_sel:DWORD dst_unused:UNUSED_PAD src0_sel:WORD_1 src1_sel:DWORD
	v_mov_b32_e32 v23, 0
	v_mov_b32_e32 v22, 0
	s_mov_b32 s18, exec_lo
	v_cmpx_ne_u16_e32 0, v9
	s_cbranch_execz .LBB338_845
; %bb.838:                              ;   in Loop: Header=BB338_513 Depth=1
	v_bfrev_b32_e32 v22, 1
	s_mov_b32 s19, exec_lo
	v_cmpx_ne_u16_e32 0x80, v9
	s_cbranch_execz .LBB338_844
; %bb.839:                              ;   in Loop: Header=BB338_513 Depth=1
	v_bfe_u32 v20, v17, 16, 7
	v_mov_b32_e32 v22, 0x7f800001
	s_mov_b32 s22, exec_lo
	v_cmpx_ne_u32_e32 0x7f, v20
	s_cbranch_execz .LBB338_843
; %bb.840:                              ;   in Loop: Header=BB338_513 Depth=1
	v_and_b32_sdwa v9, v17, v41 dst_sel:DWORD dst_unused:UNUSED_PAD src0_sel:WORD_1 src1_sel:DWORD
	v_lshrrev_b32_e32 v19, 3, v20
	s_mov_b32 s23, exec_lo
	v_cmpx_gt_u32_e32 8, v20
; %bb.841:                              ;   in Loop: Header=BB338_513 Depth=1
	v_ffbh_u32_e32 v19, v9
	v_min_u32_e32 v19, 32, v19
	v_subrev_nc_u32_e32 v20, 28, v19
	v_sub_nc_u32_e32 v19, 29, v19
	v_lshlrev_b64 v[85:86], v20, v[9:10]
	v_and_b32_e32 v9, 7, v85
; %bb.842:                              ;   in Loop: Header=BB338_513 Depth=1
	s_or_b32 exec_lo, exec_lo, s23
	v_lshlrev_b32_sdwa v20, v42, v17 dst_sel:DWORD dst_unused:UNUSED_PAD src0_sel:DWORD src1_sel:WORD_1
	v_lshlrev_b32_e32 v9, 20, v9
	v_lshl_add_u32 v19, v19, 23, 0x3c000000
	v_and_b32_e32 v20, 0x80000000, v20
	v_or3_b32 v22, v9, v20, v19
.LBB338_843:                            ;   in Loop: Header=BB338_513 Depth=1
	s_or_b32 exec_lo, exec_lo, s22
.LBB338_844:                            ;   in Loop: Header=BB338_513 Depth=1
	s_or_b32 exec_lo, exec_lo, s19
.LBB338_845:                            ;   in Loop: Header=BB338_513 Depth=1
	s_or_b32 exec_lo, exec_lo, s18
	s_mov_b32 s18, exec_lo
	v_cmpx_lt_u32_e32 0xffffff, v17
	s_cbranch_execz .LBB338_853
; %bb.846:                              ;   in Loop: Header=BB338_513 Depth=1
	v_cmp_ne_u32_sdwa s1, v17, v38 src0_sel:BYTE_3 src1_sel:DWORD
	v_bfrev_b32_e32 v23, 1
	s_and_saveexec_b32 s19, s1
	s_cbranch_execz .LBB338_852
; %bb.847:                              ;   in Loop: Header=BB338_513 Depth=1
	v_bfe_u32 v20, v17, 24, 7
	v_mov_b32_e32 v23, 0x7f800001
	s_mov_b32 s22, exec_lo
	v_cmpx_ne_u32_e32 0x7f, v20
	s_cbranch_execz .LBB338_851
; %bb.848:                              ;   in Loop: Header=BB338_513 Depth=1
	v_and_b32_sdwa v9, v17, v41 dst_sel:DWORD dst_unused:UNUSED_PAD src0_sel:BYTE_3 src1_sel:DWORD
	v_lshrrev_b32_e32 v19, 3, v20
	s_mov_b32 s23, exec_lo
	v_cmpx_gt_u32_e32 8, v20
; %bb.849:                              ;   in Loop: Header=BB338_513 Depth=1
	v_ffbh_u32_e32 v19, v9
	v_min_u32_e32 v19, 32, v19
	v_subrev_nc_u32_e32 v20, 28, v19
	v_sub_nc_u32_e32 v19, 29, v19
	v_lshlrev_b64 v[85:86], v20, v[9:10]
	v_and_b32_e32 v9, 7, v85
; %bb.850:                              ;   in Loop: Header=BB338_513 Depth=1
	s_or_b32 exec_lo, exec_lo, s23
	v_lshlrev_b32_sdwa v20, v42, v17 dst_sel:DWORD dst_unused:UNUSED_PAD src0_sel:DWORD src1_sel:BYTE_3
	v_lshlrev_b32_e32 v9, 20, v9
	v_lshl_add_u32 v19, v19, 23, 0x3c000000
	v_and_b32_e32 v20, 0x80000000, v20
	v_or3_b32 v23, v9, v20, v19
.LBB338_851:                            ;   in Loop: Header=BB338_513 Depth=1
	s_or_b32 exec_lo, exec_lo, s22
.LBB338_852:                            ;   in Loop: Header=BB338_513 Depth=1
	s_or_b32 exec_lo, exec_lo, s19
.LBB338_853:                            ;   in Loop: Header=BB338_513 Depth=1
	s_or_b32 exec_lo, exec_lo, s18
	v_mov_b32_e32 v9, v18
	v_cmp_ne_u16_sdwa s1, v18, v10 src0_sel:BYTE_0 src1_sel:DWORD
	v_mov_b32_e32 v19, 0
	v_mov_b32_e32 v85, 0
	s_and_saveexec_b32 s18, s1
	s_cbranch_execz .LBB338_859
; %bb.854:                              ;   in Loop: Header=BB338_513 Depth=1
	v_cmp_ne_u16_sdwa s1, v18, v38 src0_sel:BYTE_0 src1_sel:DWORD
	v_bfrev_b32_e32 v85, 1
	s_and_saveexec_b32 s19, s1
	s_cbranch_execz .LBB338_858
; %bb.855:                              ;   in Loop: Header=BB338_513 Depth=1
	v_and_b32_e32 v20, 0x7f, v18
	v_mov_b32_e32 v85, 0x7f800001
	s_mov_b32 s22, exec_lo
	v_cmpx_ne_u32_e32 0x7f, v20
	s_cbranch_execz .LBB338_857
; %bb.856:                              ;   in Loop: Header=BB338_513 Depth=1
	v_and_b32_e32 v85, 7, v18
	v_lshrrev_b32_e32 v86, 3, v20
	v_cmp_gt_u32_e64 s1, 8, v20
	v_ffbh_u32_e32 v85, v85
	v_min_u32_e32 v85, 32, v85
	v_subrev_nc_u32_e32 v87, 28, v85
	v_sub_nc_u32_e32 v85, 29, v85
	v_cndmask_b32_e64 v20, v86, v85, s1
	v_cndmask_b32_e64 v85, 0, v87, s1
	v_lshl_add_u32 v20, v20, 23, 0x3c000000
	v_lshlrev_b64 v[85:86], v85, v[9:10]
	v_lshlrev_b32_e32 v86, 24, v9
	v_lshlrev_b32_e32 v85, 20, v85
	v_and_b32_e32 v86, 0x80000000, v86
	v_and_b32_e32 v85, 0x700000, v85
	v_or3_b32 v85, v85, v86, v20
.LBB338_857:                            ;   in Loop: Header=BB338_513 Depth=1
	s_or_b32 exec_lo, exec_lo, s22
.LBB338_858:                            ;   in Loop: Header=BB338_513 Depth=1
	s_or_b32 exec_lo, exec_lo, s19
.LBB338_859:                            ;   in Loop: Header=BB338_513 Depth=1
	s_or_b32 exec_lo, exec_lo, s18
	v_cmp_ne_u16_sdwa s1, v9, v10 src0_sel:BYTE_1 src1_sel:DWORD
	s_and_saveexec_b32 s18, s1
	s_cbranch_execz .LBB338_867
; %bb.860:                              ;   in Loop: Header=BB338_513 Depth=1
	v_cmp_ne_u16_sdwa s1, v9, v38 src0_sel:BYTE_1 src1_sel:DWORD
	v_bfrev_b32_e32 v19, 1
	s_and_saveexec_b32 s19, s1
	s_cbranch_execz .LBB338_866
; %bb.861:                              ;   in Loop: Header=BB338_513 Depth=1
	v_and_b32_sdwa v20, v39, v9 dst_sel:DWORD dst_unused:UNUSED_PAD src0_sel:DWORD src1_sel:BYTE_1
	v_mov_b32_e32 v19, 0x7f800001
	s_mov_b32 s22, exec_lo
	v_and_b32_e32 v87, 0x7f, v20
	v_cmpx_ne_u32_e32 0x7f, v87
	s_cbranch_execz .LBB338_865
; %bb.862:                              ;   in Loop: Header=BB338_513 Depth=1
	v_and_b32_e32 v19, 7, v20
	v_mov_b32_e32 v20, v10
	v_lshrrev_b32_e32 v86, 3, v87
	s_mov_b32 s23, exec_lo
	v_cmpx_gt_u32_e32 8, v87
; %bb.863:                              ;   in Loop: Header=BB338_513 Depth=1
	v_ffbh_u32_e32 v86, v19
	v_min_u32_e32 v86, 32, v86
	v_subrev_nc_u32_e32 v87, 28, v86
	v_sub_nc_u32_e32 v86, 29, v86
	v_lshlrev_b64 v[19:20], v87, v[19:20]
	v_and_b32_e32 v19, 7, v19
; %bb.864:                              ;   in Loop: Header=BB338_513 Depth=1
	s_or_b32 exec_lo, exec_lo, s23
	v_lshlrev_b32_e32 v9, 16, v9
	v_lshlrev_b32_e32 v19, 20, v19
	v_lshl_add_u32 v20, v86, 23, 0x3c000000
	v_and_b32_e32 v9, 0x80000000, v9
	v_or3_b32 v19, v19, v9, v20
.LBB338_865:                            ;   in Loop: Header=BB338_513 Depth=1
	s_or_b32 exec_lo, exec_lo, s22
.LBB338_866:                            ;   in Loop: Header=BB338_513 Depth=1
	s_or_b32 exec_lo, exec_lo, s19
.LBB338_867:                            ;   in Loop: Header=BB338_513 Depth=1
	s_or_b32 exec_lo, exec_lo, s18
	v_and_b32_sdwa v9, v18, v40 dst_sel:DWORD dst_unused:UNUSED_PAD src0_sel:WORD_1 src1_sel:DWORD
	v_mov_b32_e32 v87, 0
	v_mov_b32_e32 v88, 0
	s_mov_b32 s18, exec_lo
	v_cmpx_ne_u16_e32 0, v9
	s_cbranch_execz .LBB338_875
; %bb.868:                              ;   in Loop: Header=BB338_513 Depth=1
	v_bfrev_b32_e32 v88, 1
	s_mov_b32 s19, exec_lo
	v_cmpx_ne_u16_e32 0x80, v9
	s_cbranch_execz .LBB338_874
; %bb.869:                              ;   in Loop: Header=BB338_513 Depth=1
	v_bfe_u32 v86, v18, 16, 7
	v_mov_b32_e32 v88, 0x7f800001
	s_mov_b32 s22, exec_lo
	v_cmpx_ne_u32_e32 0x7f, v86
	s_cbranch_execz .LBB338_873
; %bb.870:                              ;   in Loop: Header=BB338_513 Depth=1
	v_and_b32_sdwa v9, v18, v41 dst_sel:DWORD dst_unused:UNUSED_PAD src0_sel:WORD_1 src1_sel:DWORD
	v_lshrrev_b32_e32 v20, 3, v86
	s_mov_b32 s23, exec_lo
	v_cmpx_gt_u32_e32 8, v86
; %bb.871:                              ;   in Loop: Header=BB338_513 Depth=1
	v_ffbh_u32_e32 v20, v9
	v_min_u32_e32 v20, 32, v20
	v_subrev_nc_u32_e32 v86, 28, v20
	v_sub_nc_u32_e32 v20, 29, v20
	v_lshlrev_b64 v[88:89], v86, v[9:10]
	v_and_b32_e32 v9, 7, v88
; %bb.872:                              ;   in Loop: Header=BB338_513 Depth=1
	s_or_b32 exec_lo, exec_lo, s23
	v_lshlrev_b32_sdwa v86, v42, v18 dst_sel:DWORD dst_unused:UNUSED_PAD src0_sel:DWORD src1_sel:WORD_1
	v_lshlrev_b32_e32 v9, 20, v9
	v_lshl_add_u32 v20, v20, 23, 0x3c000000
	v_and_b32_e32 v86, 0x80000000, v86
	v_or3_b32 v88, v9, v86, v20
.LBB338_873:                            ;   in Loop: Header=BB338_513 Depth=1
	s_or_b32 exec_lo, exec_lo, s22
.LBB338_874:                            ;   in Loop: Header=BB338_513 Depth=1
	s_or_b32 exec_lo, exec_lo, s19
.LBB338_875:                            ;   in Loop: Header=BB338_513 Depth=1
	s_or_b32 exec_lo, exec_lo, s18
	s_mov_b32 s18, exec_lo
	v_cmpx_lt_u64_e64 s[4:5], v[17:18]
	s_cbranch_execz .LBB338_883
; %bb.876:                              ;   in Loop: Header=BB338_513 Depth=1
	v_cmp_ne_u32_sdwa s1, v18, v38 src0_sel:BYTE_3 src1_sel:DWORD
	v_bfrev_b32_e32 v87, 1
	s_and_saveexec_b32 s19, s1
	s_cbranch_execz .LBB338_882
; %bb.877:                              ;   in Loop: Header=BB338_513 Depth=1
	v_bfe_u32 v20, v18, 24, 7
	v_mov_b32_e32 v87, 0x7f800001
	s_mov_b32 s22, exec_lo
	v_cmpx_ne_u32_e32 0x7f, v20
	s_cbranch_execz .LBB338_881
; %bb.878:                              ;   in Loop: Header=BB338_513 Depth=1
	v_and_b32_sdwa v9, v18, v41 dst_sel:DWORD dst_unused:UNUSED_PAD src0_sel:BYTE_3 src1_sel:DWORD
	v_lshrrev_b32_e32 v17, 3, v20
	s_mov_b32 s23, exec_lo
	v_cmpx_gt_u32_e32 8, v20
; %bb.879:                              ;   in Loop: Header=BB338_513 Depth=1
	v_ffbh_u32_e32 v17, v9
	v_min_u32_e32 v17, 32, v17
	v_subrev_nc_u32_e32 v20, 28, v17
	v_sub_nc_u32_e32 v17, 29, v17
	v_lshlrev_b64 v[86:87], v20, v[9:10]
	v_and_b32_e32 v9, 7, v86
; %bb.880:                              ;   in Loop: Header=BB338_513 Depth=1
	s_or_b32 exec_lo, exec_lo, s23
	v_lshlrev_b32_sdwa v18, v42, v18 dst_sel:DWORD dst_unused:UNUSED_PAD src0_sel:DWORD src1_sel:BYTE_3
	v_lshlrev_b32_e32 v9, 20, v9
	v_lshl_add_u32 v17, v17, 23, 0x3c000000
	v_and_b32_e32 v18, 0x80000000, v18
	v_or3_b32 v87, v9, v18, v17
.LBB338_881:                            ;   in Loop: Header=BB338_513 Depth=1
	s_or_b32 exec_lo, exec_lo, s22
.LBB338_882:                            ;   in Loop: Header=BB338_513 Depth=1
	s_or_b32 exec_lo, exec_lo, s19
.LBB338_883:                            ;   in Loop: Header=BB338_513 Depth=1
	s_or_b32 exec_lo, exec_lo, s18
	v_mul_f32_e32 v9, s16, v19
	v_mul_f32_e32 v17, s16, v85
	;; [unrolled: 1-line block ×5, first 2 shown]
	v_bfe_u32 v19, v9, 16, 1
	v_or_b32_e32 v20, 0x400000, v9
	v_bfe_u32 v23, v17, 16, 1
	v_cmp_u_f32_e64 s1, v9, v9
	v_or_b32_e32 v85, 0x400000, v17
	v_add3_u32 v19, v19, v9, 0x7fff
	v_bfe_u32 v86, v18, 16, 1
	v_add3_u32 v23, v23, v17, 0x7fff
	v_or_b32_e32 v89, 0x400000, v18
	v_bfe_u32 v90, v22, 16, 1
	v_cndmask_b32_e64 v9, v19, v20, s1
	v_cmp_u_f32_e64 s1, v17, v17
	v_add3_u32 v86, v86, v18, 0x7fff
	v_lshrrev_b32_e32 v19, 16, v9
	v_cndmask_b32_e64 v17, v23, v85, s1
	v_cmp_u_f32_e64 s1, v18, v18
	v_mul_f32_e32 v9, s16, v21
	v_add3_u32 v21, v90, v22, 0x7fff
	v_or_b32_e32 v23, 0x400000, v22
	v_lshrrev_b32_e32 v20, 16, v17
	v_cndmask_b32_e64 v18, v86, v89, s1
	v_bfe_u32 v17, v9, 16, 1
	v_cmp_u_f32_e64 s1, v22, v22
	v_or_b32_e32 v22, 0x400000, v9
	v_bfe_u32 v85, v0, 16, 1
	v_lshrrev_b32_e32 v86, 16, v18
	v_add3_u32 v17, v17, v9, 0x7fff
	v_cndmask_b32_e64 v18, v21, v23, s1
	v_mul_f32_e32 v21, s16, v88
	v_cmp_u_f32_e64 s1, v9, v9
	v_mul_f32_e32 v23, s16, v87
	v_bfe_u32 v87, v21, 16, 1
	v_cndmask_b32_e64 v9, v17, v22, s1
	v_add3_u32 v22, v85, v0, 0x7fff
	v_or_b32_e32 v85, 0x400000, v0
	v_cmp_u_f32_e64 s1, v0, v0
	v_bfe_u32 v17, v23, 16, 1
	v_add3_u32 v87, v87, v21, 0x7fff
	v_or_b32_e32 v88, 0x400000, v21
	v_or_b32_e32 v89, 0x400000, v23
	v_cndmask_b32_e64 v0, v22, v85, s1
	v_cmp_u_f32_e64 s1, v21, v21
	v_add3_u32 v17, v17, v23, 0x7fff
	v_lshrrev_b32_e32 v90, 16, v9
	v_cndmask_b32_e64 v21, v87, v88, s1
	v_cmp_u_f32_e64 s1, v23, v23
	v_lshrrev_b32_e32 v88, 16, v18
	v_lshrrev_b32_e32 v85, 16, v21
	v_cndmask_b32_e64 v17, v17, v89, s1
	v_lshrrev_b32_e32 v89, 16, v0
	v_lshrrev_b32_e32 v87, 16, v17
	s_and_saveexec_b32 s18, s0
	s_cbranch_execz .LBB338_885
; %bb.884:                              ;   in Loop: Header=BB338_513 Depth=1
	v_add_nc_u32_e32 v0, -6, v36
	v_cmp_gt_i32_e64 s1, s11, v54
	v_add_nc_u32_e32 v9, -5, v36
	v_add_nc_u32_e32 v17, -2, v36
	v_cndmask_b32_e64 v89, 0, v89, s1
	v_cmp_gt_i32_e64 s1, s11, v0
	v_add_nc_u32_e32 v0, -4, v36
	v_cndmask_b32_e64 v90, 0, v90, s1
	v_cmp_gt_i32_e64 s1, s11, v9
	;; [unrolled: 3-line block ×4, first 2 shown]
	v_cndmask_b32_e64 v20, 0, v20, s1
	v_cmp_gt_i32_e64 s1, s11, v17
	v_cndmask_b32_e64 v19, 0, v19, s1
	v_cmp_gt_i32_e64 s1, s11, v0
	;; [unrolled: 2-line block ×3, first 2 shown]
	v_cndmask_b32_e64 v87, 0, v87, s1
.LBB338_885:                            ;   in Loop: Header=BB338_513 Depth=1
	s_or_b32 exec_lo, exec_lo, s18
	global_load_dwordx2 v[15:16], v[15:16], off offset:1536
	v_mov_b32_e32 v0, 0
	v_mov_b32_e32 v21, 0
	s_waitcnt vmcnt(0)
	v_cmp_ne_u16_sdwa s1, v15, v10 src0_sel:BYTE_0 src1_sel:DWORD
	s_and_saveexec_b32 s18, s1
	s_cbranch_execz .LBB338_891
; %bb.886:                              ;   in Loop: Header=BB338_513 Depth=1
	v_cmp_ne_u16_sdwa s1, v15, v38 src0_sel:BYTE_0 src1_sel:DWORD
	v_bfrev_b32_e32 v21, 1
	s_and_saveexec_b32 s19, s1
	s_cbranch_execz .LBB338_890
; %bb.887:                              ;   in Loop: Header=BB338_513 Depth=1
	v_and_b32_e32 v9, 0x7f, v15
	v_mov_b32_e32 v21, 0x7f800001
	s_mov_b32 s22, exec_lo
	v_cmpx_ne_u32_e32 0x7f, v9
	s_cbranch_execz .LBB338_889
; %bb.888:                              ;   in Loop: Header=BB338_513 Depth=1
	v_and_b32_e32 v17, 7, v15
	v_lshrrev_b32_e32 v18, 3, v9
	v_cmp_gt_u32_e64 s1, 8, v9
	v_ffbh_u32_e32 v17, v17
	v_min_u32_e32 v17, 32, v17
	v_subrev_nc_u32_e32 v21, 28, v17
	v_sub_nc_u32_e32 v17, 29, v17
	v_cndmask_b32_e64 v9, v18, v17, s1
	v_cndmask_b32_e64 v17, 0, v21, s1
	v_lshl_add_u32 v9, v9, 23, 0x3c000000
	v_lshlrev_b64 v[17:18], v17, v[15:16]
	v_lshlrev_b32_e32 v18, 24, v15
	v_lshlrev_b32_e32 v17, 20, v17
	v_and_b32_e32 v18, 0x80000000, v18
	v_and_b32_e32 v17, 0x700000, v17
	v_or3_b32 v21, v17, v18, v9
.LBB338_889:                            ;   in Loop: Header=BB338_513 Depth=1
	s_or_b32 exec_lo, exec_lo, s22
.LBB338_890:                            ;   in Loop: Header=BB338_513 Depth=1
	s_or_b32 exec_lo, exec_lo, s19
.LBB338_891:                            ;   in Loop: Header=BB338_513 Depth=1
	s_or_b32 exec_lo, exec_lo, s18
	v_cmp_ne_u16_sdwa s1, v15, v10 src0_sel:BYTE_1 src1_sel:DWORD
	s_and_saveexec_b32 s18, s1
	s_cbranch_execz .LBB338_899
; %bb.892:                              ;   in Loop: Header=BB338_513 Depth=1
	v_cmp_ne_u16_sdwa s1, v15, v38 src0_sel:BYTE_1 src1_sel:DWORD
	v_bfrev_b32_e32 v0, 1
	s_and_saveexec_b32 s19, s1
	s_cbranch_execz .LBB338_898
; %bb.893:                              ;   in Loop: Header=BB338_513 Depth=1
	v_and_b32_sdwa v9, v39, v15 dst_sel:DWORD dst_unused:UNUSED_PAD src0_sel:DWORD src1_sel:BYTE_1
	v_mov_b32_e32 v0, 0x7f800001
	s_mov_b32 s22, exec_lo
	v_and_b32_e32 v17, 0x7f, v9
	v_cmpx_ne_u32_e32 0x7f, v17
	s_cbranch_execz .LBB338_897
; %bb.894:                              ;   in Loop: Header=BB338_513 Depth=1
	v_and_b32_e32 v9, 7, v9
	v_lshrrev_b32_e32 v0, 3, v17
	s_mov_b32 s23, exec_lo
	v_cmpx_gt_u32_e32 8, v17
; %bb.895:                              ;   in Loop: Header=BB338_513 Depth=1
	v_ffbh_u32_e32 v0, v9
	v_min_u32_e32 v0, 32, v0
	v_subrev_nc_u32_e32 v17, 28, v0
	v_sub_nc_u32_e32 v0, 29, v0
	v_lshlrev_b64 v[17:18], v17, v[9:10]
	v_and_b32_e32 v9, 7, v17
; %bb.896:                              ;   in Loop: Header=BB338_513 Depth=1
	s_or_b32 exec_lo, exec_lo, s23
	v_lshlrev_b32_e32 v17, 16, v15
	v_lshlrev_b32_e32 v9, 20, v9
	v_lshl_add_u32 v0, v0, 23, 0x3c000000
	v_and_b32_e32 v17, 0x80000000, v17
	v_or3_b32 v0, v9, v17, v0
.LBB338_897:                            ;   in Loop: Header=BB338_513 Depth=1
	s_or_b32 exec_lo, exec_lo, s22
.LBB338_898:                            ;   in Loop: Header=BB338_513 Depth=1
	s_or_b32 exec_lo, exec_lo, s19
.LBB338_899:                            ;   in Loop: Header=BB338_513 Depth=1
	s_or_b32 exec_lo, exec_lo, s18
	v_and_b32_sdwa v9, v15, v40 dst_sel:DWORD dst_unused:UNUSED_PAD src0_sel:WORD_1 src1_sel:DWORD
	v_mov_b32_e32 v23, 0
	v_mov_b32_e32 v22, 0
	s_mov_b32 s18, exec_lo
	v_cmpx_ne_u16_e32 0, v9
	s_cbranch_execz .LBB338_907
; %bb.900:                              ;   in Loop: Header=BB338_513 Depth=1
	v_bfrev_b32_e32 v22, 1
	s_mov_b32 s19, exec_lo
	v_cmpx_ne_u16_e32 0x80, v9
	s_cbranch_execz .LBB338_906
; %bb.901:                              ;   in Loop: Header=BB338_513 Depth=1
	v_bfe_u32 v18, v15, 16, 7
	v_mov_b32_e32 v22, 0x7f800001
	s_mov_b32 s22, exec_lo
	v_cmpx_ne_u32_e32 0x7f, v18
	s_cbranch_execz .LBB338_905
; %bb.902:                              ;   in Loop: Header=BB338_513 Depth=1
	v_and_b32_sdwa v9, v15, v41 dst_sel:DWORD dst_unused:UNUSED_PAD src0_sel:WORD_1 src1_sel:DWORD
	v_lshrrev_b32_e32 v17, 3, v18
	s_mov_b32 s23, exec_lo
	v_cmpx_gt_u32_e32 8, v18
; %bb.903:                              ;   in Loop: Header=BB338_513 Depth=1
	v_ffbh_u32_e32 v17, v9
	v_min_u32_e32 v17, 32, v17
	v_subrev_nc_u32_e32 v18, 28, v17
	v_sub_nc_u32_e32 v17, 29, v17
	v_lshlrev_b64 v[91:92], v18, v[9:10]
	v_and_b32_e32 v9, 7, v91
; %bb.904:                              ;   in Loop: Header=BB338_513 Depth=1
	s_or_b32 exec_lo, exec_lo, s23
	v_lshlrev_b32_sdwa v18, v42, v15 dst_sel:DWORD dst_unused:UNUSED_PAD src0_sel:DWORD src1_sel:WORD_1
	v_lshlrev_b32_e32 v9, 20, v9
	v_lshl_add_u32 v17, v17, 23, 0x3c000000
	v_and_b32_e32 v18, 0x80000000, v18
	v_or3_b32 v22, v9, v18, v17
.LBB338_905:                            ;   in Loop: Header=BB338_513 Depth=1
	s_or_b32 exec_lo, exec_lo, s22
.LBB338_906:                            ;   in Loop: Header=BB338_513 Depth=1
	s_or_b32 exec_lo, exec_lo, s19
.LBB338_907:                            ;   in Loop: Header=BB338_513 Depth=1
	s_or_b32 exec_lo, exec_lo, s18
	s_mov_b32 s18, exec_lo
	v_cmpx_lt_u32_e32 0xffffff, v15
	s_cbranch_execz .LBB338_915
; %bb.908:                              ;   in Loop: Header=BB338_513 Depth=1
	v_cmp_ne_u32_sdwa s1, v15, v38 src0_sel:BYTE_3 src1_sel:DWORD
	v_bfrev_b32_e32 v23, 1
	s_and_saveexec_b32 s19, s1
	s_cbranch_execz .LBB338_914
; %bb.909:                              ;   in Loop: Header=BB338_513 Depth=1
	v_bfe_u32 v18, v15, 24, 7
	v_mov_b32_e32 v23, 0x7f800001
	s_mov_b32 s22, exec_lo
	v_cmpx_ne_u32_e32 0x7f, v18
	s_cbranch_execz .LBB338_913
; %bb.910:                              ;   in Loop: Header=BB338_513 Depth=1
	v_and_b32_sdwa v9, v15, v41 dst_sel:DWORD dst_unused:UNUSED_PAD src0_sel:BYTE_3 src1_sel:DWORD
	v_lshrrev_b32_e32 v17, 3, v18
	s_mov_b32 s23, exec_lo
	v_cmpx_gt_u32_e32 8, v18
; %bb.911:                              ;   in Loop: Header=BB338_513 Depth=1
	v_ffbh_u32_e32 v17, v9
	v_min_u32_e32 v17, 32, v17
	v_subrev_nc_u32_e32 v18, 28, v17
	v_sub_nc_u32_e32 v17, 29, v17
	v_lshlrev_b64 v[91:92], v18, v[9:10]
	v_and_b32_e32 v9, 7, v91
; %bb.912:                              ;   in Loop: Header=BB338_513 Depth=1
	s_or_b32 exec_lo, exec_lo, s23
	v_lshlrev_b32_sdwa v18, v42, v15 dst_sel:DWORD dst_unused:UNUSED_PAD src0_sel:DWORD src1_sel:BYTE_3
	v_lshlrev_b32_e32 v9, 20, v9
	v_lshl_add_u32 v17, v17, 23, 0x3c000000
	v_and_b32_e32 v18, 0x80000000, v18
	v_or3_b32 v23, v9, v18, v17
.LBB338_913:                            ;   in Loop: Header=BB338_513 Depth=1
	s_or_b32 exec_lo, exec_lo, s22
.LBB338_914:                            ;   in Loop: Header=BB338_513 Depth=1
	s_or_b32 exec_lo, exec_lo, s19
.LBB338_915:                            ;   in Loop: Header=BB338_513 Depth=1
	s_or_b32 exec_lo, exec_lo, s18
	v_mov_b32_e32 v9, v16
	v_cmp_ne_u16_sdwa s1, v16, v10 src0_sel:BYTE_0 src1_sel:DWORD
	v_mov_b32_e32 v17, 0
	v_mov_b32_e32 v91, 0
	s_and_saveexec_b32 s18, s1
	s_cbranch_execz .LBB338_921
; %bb.916:                              ;   in Loop: Header=BB338_513 Depth=1
	v_cmp_ne_u16_sdwa s1, v16, v38 src0_sel:BYTE_0 src1_sel:DWORD
	v_bfrev_b32_e32 v91, 1
	s_and_saveexec_b32 s19, s1
	s_cbranch_execz .LBB338_920
; %bb.917:                              ;   in Loop: Header=BB338_513 Depth=1
	v_and_b32_e32 v18, 0x7f, v16
	v_mov_b32_e32 v91, 0x7f800001
	s_mov_b32 s22, exec_lo
	v_cmpx_ne_u32_e32 0x7f, v18
	s_cbranch_execz .LBB338_919
; %bb.918:                              ;   in Loop: Header=BB338_513 Depth=1
	v_and_b32_e32 v91, 7, v16
	v_lshrrev_b32_e32 v92, 3, v18
	v_cmp_gt_u32_e64 s1, 8, v18
	v_ffbh_u32_e32 v91, v91
	v_min_u32_e32 v91, 32, v91
	v_subrev_nc_u32_e32 v93, 28, v91
	v_sub_nc_u32_e32 v91, 29, v91
	v_cndmask_b32_e64 v18, v92, v91, s1
	v_cndmask_b32_e64 v91, 0, v93, s1
	v_lshl_add_u32 v18, v18, 23, 0x3c000000
	v_lshlrev_b64 v[91:92], v91, v[9:10]
	v_lshlrev_b32_e32 v92, 24, v9
	v_lshlrev_b32_e32 v91, 20, v91
	v_and_b32_e32 v92, 0x80000000, v92
	v_and_b32_e32 v91, 0x700000, v91
	v_or3_b32 v91, v91, v92, v18
.LBB338_919:                            ;   in Loop: Header=BB338_513 Depth=1
	s_or_b32 exec_lo, exec_lo, s22
.LBB338_920:                            ;   in Loop: Header=BB338_513 Depth=1
	s_or_b32 exec_lo, exec_lo, s19
.LBB338_921:                            ;   in Loop: Header=BB338_513 Depth=1
	s_or_b32 exec_lo, exec_lo, s18
	v_cmp_ne_u16_sdwa s1, v9, v10 src0_sel:BYTE_1 src1_sel:DWORD
	s_and_saveexec_b32 s18, s1
	s_cbranch_execz .LBB338_929
; %bb.922:                              ;   in Loop: Header=BB338_513 Depth=1
	v_cmp_ne_u16_sdwa s1, v9, v38 src0_sel:BYTE_1 src1_sel:DWORD
	v_bfrev_b32_e32 v17, 1
	s_and_saveexec_b32 s19, s1
	s_cbranch_execz .LBB338_928
; %bb.923:                              ;   in Loop: Header=BB338_513 Depth=1
	v_and_b32_sdwa v18, v39, v9 dst_sel:DWORD dst_unused:UNUSED_PAD src0_sel:DWORD src1_sel:BYTE_1
	v_mov_b32_e32 v17, 0x7f800001
	s_mov_b32 s22, exec_lo
	v_and_b32_e32 v93, 0x7f, v18
	v_cmpx_ne_u32_e32 0x7f, v93
	s_cbranch_execz .LBB338_927
; %bb.924:                              ;   in Loop: Header=BB338_513 Depth=1
	v_and_b32_e32 v17, 7, v18
	v_mov_b32_e32 v18, v10
	v_lshrrev_b32_e32 v92, 3, v93
	s_mov_b32 s23, exec_lo
	v_cmpx_gt_u32_e32 8, v93
; %bb.925:                              ;   in Loop: Header=BB338_513 Depth=1
	v_ffbh_u32_e32 v92, v17
	v_min_u32_e32 v92, 32, v92
	v_subrev_nc_u32_e32 v93, 28, v92
	v_sub_nc_u32_e32 v92, 29, v92
	v_lshlrev_b64 v[17:18], v93, v[17:18]
	v_and_b32_e32 v17, 7, v17
; %bb.926:                              ;   in Loop: Header=BB338_513 Depth=1
	s_or_b32 exec_lo, exec_lo, s23
	v_lshlrev_b32_e32 v9, 16, v9
	v_lshlrev_b32_e32 v17, 20, v17
	v_lshl_add_u32 v18, v92, 23, 0x3c000000
	v_and_b32_e32 v9, 0x80000000, v9
	v_or3_b32 v17, v17, v9, v18
.LBB338_927:                            ;   in Loop: Header=BB338_513 Depth=1
	s_or_b32 exec_lo, exec_lo, s22
.LBB338_928:                            ;   in Loop: Header=BB338_513 Depth=1
	s_or_b32 exec_lo, exec_lo, s19
.LBB338_929:                            ;   in Loop: Header=BB338_513 Depth=1
	s_or_b32 exec_lo, exec_lo, s18
	v_and_b32_sdwa v9, v16, v40 dst_sel:DWORD dst_unused:UNUSED_PAD src0_sel:WORD_1 src1_sel:DWORD
	v_mov_b32_e32 v92, 0
	v_mov_b32_e32 v93, 0
	s_mov_b32 s18, exec_lo
	v_cmpx_ne_u16_e32 0, v9
	s_cbranch_execz .LBB338_937
; %bb.930:                              ;   in Loop: Header=BB338_513 Depth=1
	v_bfrev_b32_e32 v93, 1
	s_mov_b32 s19, exec_lo
	v_cmpx_ne_u16_e32 0x80, v9
	s_cbranch_execz .LBB338_936
; %bb.931:                              ;   in Loop: Header=BB338_513 Depth=1
	v_bfe_u32 v94, v16, 16, 7
	v_mov_b32_e32 v93, 0x7f800001
	s_mov_b32 s22, exec_lo
	v_cmpx_ne_u32_e32 0x7f, v94
	s_cbranch_execz .LBB338_935
; %bb.932:                              ;   in Loop: Header=BB338_513 Depth=1
	v_and_b32_sdwa v9, v16, v41 dst_sel:DWORD dst_unused:UNUSED_PAD src0_sel:WORD_1 src1_sel:DWORD
	v_lshrrev_b32_e32 v18, 3, v94
	s_mov_b32 s23, exec_lo
	v_cmpx_gt_u32_e32 8, v94
; %bb.933:                              ;   in Loop: Header=BB338_513 Depth=1
	v_ffbh_u32_e32 v18, v9
	v_min_u32_e32 v18, 32, v18
	v_subrev_nc_u32_e32 v93, 28, v18
	v_sub_nc_u32_e32 v18, 29, v18
	v_lshlrev_b64 v[93:94], v93, v[9:10]
	v_and_b32_e32 v9, 7, v93
; %bb.934:                              ;   in Loop: Header=BB338_513 Depth=1
	s_or_b32 exec_lo, exec_lo, s23
	v_lshlrev_b32_sdwa v93, v42, v16 dst_sel:DWORD dst_unused:UNUSED_PAD src0_sel:DWORD src1_sel:WORD_1
	v_lshlrev_b32_e32 v9, 20, v9
	v_lshl_add_u32 v18, v18, 23, 0x3c000000
	v_and_b32_e32 v93, 0x80000000, v93
	v_or3_b32 v93, v9, v93, v18
.LBB338_935:                            ;   in Loop: Header=BB338_513 Depth=1
	s_or_b32 exec_lo, exec_lo, s22
.LBB338_936:                            ;   in Loop: Header=BB338_513 Depth=1
	s_or_b32 exec_lo, exec_lo, s19
.LBB338_937:                            ;   in Loop: Header=BB338_513 Depth=1
	s_or_b32 exec_lo, exec_lo, s18
	s_mov_b32 s18, exec_lo
	v_cmpx_lt_u64_e64 s[4:5], v[15:16]
	s_cbranch_execz .LBB338_945
; %bb.938:                              ;   in Loop: Header=BB338_513 Depth=1
	v_cmp_ne_u32_sdwa s1, v16, v38 src0_sel:BYTE_3 src1_sel:DWORD
	v_bfrev_b32_e32 v92, 1
	s_and_saveexec_b32 s19, s1
	s_cbranch_execz .LBB338_944
; %bb.939:                              ;   in Loop: Header=BB338_513 Depth=1
	v_bfe_u32 v18, v16, 24, 7
	v_mov_b32_e32 v92, 0x7f800001
	s_mov_b32 s22, exec_lo
	v_cmpx_ne_u32_e32 0x7f, v18
	s_cbranch_execz .LBB338_943
; %bb.940:                              ;   in Loop: Header=BB338_513 Depth=1
	v_and_b32_sdwa v9, v16, v41 dst_sel:DWORD dst_unused:UNUSED_PAD src0_sel:BYTE_3 src1_sel:DWORD
	v_lshrrev_b32_e32 v15, 3, v18
	s_mov_b32 s23, exec_lo
	v_cmpx_gt_u32_e32 8, v18
; %bb.941:                              ;   in Loop: Header=BB338_513 Depth=1
	v_ffbh_u32_e32 v15, v9
	v_min_u32_e32 v15, 32, v15
	v_subrev_nc_u32_e32 v18, 28, v15
	v_sub_nc_u32_e32 v15, 29, v15
	v_lshlrev_b64 v[94:95], v18, v[9:10]
	v_and_b32_e32 v9, 7, v94
; %bb.942:                              ;   in Loop: Header=BB338_513 Depth=1
	s_or_b32 exec_lo, exec_lo, s23
	v_lshlrev_b32_sdwa v16, v42, v16 dst_sel:DWORD dst_unused:UNUSED_PAD src0_sel:DWORD src1_sel:BYTE_3
	v_lshlrev_b32_e32 v9, 20, v9
	v_lshl_add_u32 v15, v15, 23, 0x3c000000
	v_and_b32_e32 v16, 0x80000000, v16
	v_or3_b32 v92, v9, v16, v15
.LBB338_943:                            ;   in Loop: Header=BB338_513 Depth=1
	s_or_b32 exec_lo, exec_lo, s22
.LBB338_944:                            ;   in Loop: Header=BB338_513 Depth=1
	s_or_b32 exec_lo, exec_lo, s19
.LBB338_945:                            ;   in Loop: Header=BB338_513 Depth=1
	s_or_b32 exec_lo, exec_lo, s18
	v_mul_f32_e32 v9, s16, v17
	v_mul_f32_e32 v15, s16, v91
	;; [unrolled: 1-line block ×5, first 2 shown]
	v_bfe_u32 v18, v9, 16, 1
	v_or_b32_e32 v22, 0x400000, v9
	v_bfe_u32 v23, v15, 16, 1
	v_cmp_u_f32_e64 s1, v9, v9
	v_or_b32_e32 v91, 0x400000, v15
	v_add3_u32 v18, v18, v9, 0x7fff
	v_bfe_u32 v94, v16, 16, 1
	v_add3_u32 v23, v23, v15, 0x7fff
	v_or_b32_e32 v95, 0x400000, v16
	v_bfe_u32 v96, v17, 16, 1
	v_cndmask_b32_e64 v9, v18, v22, s1
	v_cmp_u_f32_e64 s1, v15, v15
	v_add3_u32 v94, v94, v16, 0x7fff
	v_add3_u32 v22, v96, v17, 0x7fff
	v_lshrrev_b32_e32 v15, 16, v9
	v_cndmask_b32_e64 v18, v23, v91, s1
	v_cmp_u_f32_e64 s1, v16, v16
	v_mul_f32_e32 v9, s16, v0
	v_or_b32_e32 v23, 0x400000, v17
	v_mul_f32_e32 v91, s16, v92
	v_lshrrev_b32_e32 v0, 16, v18
	v_cndmask_b32_e64 v16, v94, v95, s1
	v_cmp_u_f32_e64 s1, v17, v17
	v_bfe_u32 v92, v21, 16, 1
	v_or_b32_e32 v95, 0x400000, v91
	v_lshrrev_b32_e32 v18, 16, v16
	v_bfe_u32 v16, v9, 16, 1
	v_cndmask_b32_e64 v17, v22, v23, s1
	v_mul_f32_e32 v22, s16, v93
	v_or_b32_e32 v23, 0x400000, v9
	v_cmp_u_f32_e64 s1, v9, v9
	v_add3_u32 v16, v16, v9, 0x7fff
	v_bfe_u32 v93, v22, 16, 1
	v_or_b32_e32 v94, 0x400000, v22
	v_cndmask_b32_e64 v9, v16, v23, s1
	v_add3_u32 v23, v92, v21, 0x7fff
	v_or_b32_e32 v92, 0x400000, v21
	v_cmp_u_f32_e64 s1, v21, v21
	v_bfe_u32 v16, v91, 16, 1
	v_add3_u32 v93, v93, v22, 0x7fff
	v_lshrrev_b32_e32 v21, 16, v17
	v_cndmask_b32_e64 v92, v23, v92, s1
	v_cmp_u_f32_e64 s1, v22, v22
	v_add3_u32 v16, v16, v91, 0x7fff
	v_lshrrev_b32_e32 v23, 16, v9
	v_lshrrev_b32_e32 v22, 16, v92
	v_cndmask_b32_e64 v93, v93, v94, s1
	v_cmp_u_f32_e64 s1, v91, v91
	v_cndmask_b32_e64 v91, v16, v95, s1
	v_lshrrev_b32_e32 v16, 16, v93
	v_lshrrev_b32_e32 v17, 16, v91
	s_and_saveexec_b32 s18, s0
	s_cbranch_execz .LBB338_947
; %bb.946:                              ;   in Loop: Header=BB338_513 Depth=1
	v_add_nc_u32_e32 v9, -6, v36
	v_cmp_gt_i32_e64 s1, s11, v54
	v_add_nc_u32_e32 v91, -5, v36
	v_add_nc_u32_e32 v92, -2, v36
	v_cndmask_b32_e64 v22, 0, v22, s1
	v_cmp_gt_i32_e64 s1, s11, v9
	v_add_nc_u32_e32 v9, -4, v36
	v_cndmask_b32_e64 v23, 0, v23, s1
	v_cmp_gt_i32_e64 s1, s11, v91
	;; [unrolled: 3-line block ×4, first 2 shown]
	v_cndmask_b32_e64 v0, 0, v0, s1
	v_cmp_gt_i32_e64 s1, s11, v92
	v_cndmask_b32_e64 v15, 0, v15, s1
	v_cmp_gt_i32_e64 s1, s11, v9
	;; [unrolled: 2-line block ×3, first 2 shown]
	v_cndmask_b32_e64 v17, 0, v17, s1
.LBB338_947:                            ;   in Loop: Header=BB338_513 Depth=1
	s_or_b32 exec_lo, exec_lo, s18
	v_bfe_u32 v9, v5, 16, 1
	v_bfe_u32 v91, v6, 16, 1
	v_or_b32_e32 v92, 0x400000, v5
	v_cmp_u_f32_e64 s1, v5, v5
	v_or_b32_e32 v93, 0x400000, v6
	v_add3_u32 v9, v9, v5, 0x7fff
	v_bfe_u32 v94, v7, 16, 1
	v_add3_u32 v91, v91, v6, 0x7fff
	v_bfe_u32 v95, v8, 16, 1
	v_cndmask_b32_e64 v5, v9, v92, s1
	v_cmp_u_f32_e64 s1, v6, v6
	v_add3_u32 v9, v94, v7, 0x7fff
	v_bfe_u32 v92, v1, 16, 1
	v_or_b32_e32 v94, 0x400000, v8
	v_cndmask_b32_e64 v6, v91, v93, s1
	v_or_b32_e32 v91, 0x400000, v7
	v_cmp_u_f32_e64 s1, v7, v7
	v_add3_u32 v93, v95, v8, 0x7fff
	v_or_b32_e32 v95, 0x400000, v4
	v_cndmask_b32_e64 v7, v9, v91, s1
	v_cmp_u_f32_e64 s1, v8, v8
	v_add3_u32 v9, v92, v1, 0x7fff
	v_or_b32_e32 v91, 0x400000, v1
	v_bfe_u32 v8, v2, 16, 1
	v_cndmask_b32_e64 v92, v93, v94, s1
	v_cmp_u_f32_e64 s1, v1, v1
	v_bfe_u32 v93, v3, 16, 1
	v_add3_u32 v8, v8, v2, 0x7fff
	v_or_b32_e32 v94, 0x400000, v3
	v_perm_b32 v7, v92, v7, 0x7060302
	v_cndmask_b32_e64 v1, v9, v91, s1
	v_or_b32_e32 v91, 0x400000, v2
	v_cmp_u_f32_e64 s1, v2, v2
	v_bfe_u32 v9, v4, 16, 1
	v_add3_u32 v93, v93, v3, 0x7fff
	v_cndmask_b32_e64 v2, v8, v91, s1
	v_cmp_u_f32_e64 s1, v3, v3
	v_add3_u32 v9, v9, v4, 0x7fff
	v_perm_b32 v8, v6, v5, 0x7060302
	v_perm_b32 v6, v2, v1, 0x7060302
	v_cndmask_b32_e64 v3, v93, v94, s1
	v_cmp_u_f32_e64 s1, v4, v4
	v_cndmask_b32_e64 v4, v9, v95, s1
	v_perm_b32 v5, v4, v3, 0x7060302
	s_and_saveexec_b32 s18, vcc_lo
	s_cbranch_execz .LBB338_512
; %bb.948:                              ;   in Loop: Header=BB338_513 Depth=1
	v_add_co_u32 v1, s1, v13, v35
	v_add_co_ci_u32_e64 v2, null, 0, v14, s1
	v_mov_b32_e32 v14, 0
	v_mov_b32_e32 v13, 0
	global_load_dwordx2 v[1:2], v[1:2], off
	s_waitcnt vmcnt(0)
	v_cmp_ne_u16_sdwa s1, v1, v10 src0_sel:BYTE_0 src1_sel:DWORD
	s_and_saveexec_b32 s19, s1
	s_cbranch_execz .LBB338_954
; %bb.949:                              ;   in Loop: Header=BB338_513 Depth=1
	v_cmp_ne_u16_sdwa s1, v1, v38 src0_sel:BYTE_0 src1_sel:DWORD
	v_bfrev_b32_e32 v13, 1
	s_and_saveexec_b32 s22, s1
	s_cbranch_execz .LBB338_953
; %bb.950:                              ;   in Loop: Header=BB338_513 Depth=1
	v_and_b32_e32 v3, 0x7f, v1
	v_mov_b32_e32 v13, 0x7f800001
	s_mov_b32 s23, exec_lo
	v_cmpx_ne_u32_e32 0x7f, v3
	s_cbranch_execz .LBB338_952
; %bb.951:                              ;   in Loop: Header=BB338_513 Depth=1
	v_and_b32_e32 v4, 7, v1
	v_cmp_gt_u32_e64 s1, 8, v3
	v_lshrrev_b32_e32 v9, 3, v3
	v_ffbh_u32_e32 v4, v4
	v_min_u32_e32 v4, 32, v4
	v_subrev_nc_u32_e32 v13, 28, v4
	v_sub_nc_u32_e32 v4, 29, v4
	v_cndmask_b32_e64 v3, 0, v13, s1
	v_cndmask_b32_e64 v9, v9, v4, s1
	v_lshlrev_b64 v[3:4], v3, v[1:2]
	v_lshlrev_b32_e32 v4, 24, v1
	v_lshl_add_u32 v9, v9, 23, 0x3c000000
	v_lshlrev_b32_e32 v3, 20, v3
	v_and_b32_e32 v4, 0x80000000, v4
	v_and_b32_e32 v3, 0x700000, v3
	v_or3_b32 v13, v3, v4, v9
.LBB338_952:                            ;   in Loop: Header=BB338_513 Depth=1
	s_or_b32 exec_lo, exec_lo, s23
.LBB338_953:                            ;   in Loop: Header=BB338_513 Depth=1
	s_or_b32 exec_lo, exec_lo, s22
.LBB338_954:                            ;   in Loop: Header=BB338_513 Depth=1
	s_or_b32 exec_lo, exec_lo, s19
	v_cmp_ne_u16_sdwa s1, v1, v10 src0_sel:BYTE_1 src1_sel:DWORD
	s_and_saveexec_b32 s19, s1
	s_cbranch_execz .LBB338_962
; %bb.955:                              ;   in Loop: Header=BB338_513 Depth=1
	v_cmp_ne_u16_sdwa s1, v1, v38 src0_sel:BYTE_1 src1_sel:DWORD
	v_bfrev_b32_e32 v14, 1
	s_and_saveexec_b32 s22, s1
	s_cbranch_execz .LBB338_961
; %bb.956:                              ;   in Loop: Header=BB338_513 Depth=1
	v_and_b32_sdwa v3, v39, v1 dst_sel:DWORD dst_unused:UNUSED_PAD src0_sel:DWORD src1_sel:BYTE_1
	v_mov_b32_e32 v14, 0x7f800001
	s_mov_b32 s23, exec_lo
	v_and_b32_e32 v4, 0x7f, v3
	v_cmpx_ne_u32_e32 0x7f, v4
	s_cbranch_execz .LBB338_960
; %bb.957:                              ;   in Loop: Header=BB338_513 Depth=1
	v_and_b32_e32 v9, 7, v3
	v_lshrrev_b32_e32 v3, 3, v4
	s_mov_b32 s24, exec_lo
	v_cmpx_gt_u32_e32 8, v4
; %bb.958:                              ;   in Loop: Header=BB338_513 Depth=1
	v_ffbh_u32_e32 v3, v9
	v_min_u32_e32 v3, 32, v3
	v_subrev_nc_u32_e32 v4, 28, v3
	v_sub_nc_u32_e32 v3, 29, v3
	v_lshlrev_b64 v[91:92], v4, v[9:10]
	v_and_b32_e32 v9, 7, v91
; %bb.959:                              ;   in Loop: Header=BB338_513 Depth=1
	s_or_b32 exec_lo, exec_lo, s24
	v_lshlrev_b32_e32 v4, 16, v1
	v_lshlrev_b32_e32 v9, 20, v9
	v_lshl_add_u32 v3, v3, 23, 0x3c000000
	v_and_b32_e32 v4, 0x80000000, v4
	v_or3_b32 v14, v9, v4, v3
.LBB338_960:                            ;   in Loop: Header=BB338_513 Depth=1
	s_or_b32 exec_lo, exec_lo, s23
.LBB338_961:                            ;   in Loop: Header=BB338_513 Depth=1
	s_or_b32 exec_lo, exec_lo, s22
.LBB338_962:                            ;   in Loop: Header=BB338_513 Depth=1
	s_or_b32 exec_lo, exec_lo, s19
	v_and_b32_sdwa v3, v1, v40 dst_sel:DWORD dst_unused:UNUSED_PAD src0_sel:WORD_1 src1_sel:DWORD
	v_mov_b32_e32 v92, 0
	v_mov_b32_e32 v91, 0
	s_mov_b32 s19, exec_lo
	v_cmpx_ne_u16_e32 0, v3
	s_cbranch_execz .LBB338_970
; %bb.963:                              ;   in Loop: Header=BB338_513 Depth=1
	v_bfrev_b32_e32 v91, 1
	s_mov_b32 s22, exec_lo
	v_cmpx_ne_u16_e32 0x80, v3
	s_cbranch_execz .LBB338_969
; %bb.964:                              ;   in Loop: Header=BB338_513 Depth=1
	v_bfe_u32 v4, v1, 16, 7
	v_mov_b32_e32 v91, 0x7f800001
	s_mov_b32 s23, exec_lo
	v_cmpx_ne_u32_e32 0x7f, v4
	s_cbranch_execz .LBB338_968
; %bb.965:                              ;   in Loop: Header=BB338_513 Depth=1
	v_and_b32_sdwa v9, v1, v41 dst_sel:DWORD dst_unused:UNUSED_PAD src0_sel:WORD_1 src1_sel:DWORD
	v_lshrrev_b32_e32 v3, 3, v4
	s_mov_b32 s24, exec_lo
	v_cmpx_gt_u32_e32 8, v4
; %bb.966:                              ;   in Loop: Header=BB338_513 Depth=1
	v_ffbh_u32_e32 v3, v9
	v_min_u32_e32 v3, 32, v3
	v_subrev_nc_u32_e32 v4, 28, v3
	v_sub_nc_u32_e32 v3, 29, v3
	v_lshlrev_b64 v[93:94], v4, v[9:10]
	v_and_b32_e32 v9, 7, v93
; %bb.967:                              ;   in Loop: Header=BB338_513 Depth=1
	s_or_b32 exec_lo, exec_lo, s24
	v_lshlrev_b32_sdwa v4, v42, v1 dst_sel:DWORD dst_unused:UNUSED_PAD src0_sel:DWORD src1_sel:WORD_1
	v_lshlrev_b32_e32 v9, 20, v9
	v_lshl_add_u32 v3, v3, 23, 0x3c000000
	v_and_b32_e32 v4, 0x80000000, v4
	v_or3_b32 v91, v9, v4, v3
.LBB338_968:                            ;   in Loop: Header=BB338_513 Depth=1
	s_or_b32 exec_lo, exec_lo, s23
.LBB338_969:                            ;   in Loop: Header=BB338_513 Depth=1
	s_or_b32 exec_lo, exec_lo, s22
.LBB338_970:                            ;   in Loop: Header=BB338_513 Depth=1
	s_or_b32 exec_lo, exec_lo, s19
	s_mov_b32 s19, exec_lo
	v_cmpx_lt_u32_e32 0xffffff, v1
	s_cbranch_execz .LBB338_978
; %bb.971:                              ;   in Loop: Header=BB338_513 Depth=1
	v_cmp_ne_u32_sdwa s1, v1, v38 src0_sel:BYTE_3 src1_sel:DWORD
	v_bfrev_b32_e32 v92, 1
	s_and_saveexec_b32 s22, s1
	s_cbranch_execz .LBB338_977
; %bb.972:                              ;   in Loop: Header=BB338_513 Depth=1
	v_bfe_u32 v4, v1, 24, 7
	v_mov_b32_e32 v92, 0x7f800001
	s_mov_b32 s23, exec_lo
	v_cmpx_ne_u32_e32 0x7f, v4
	s_cbranch_execz .LBB338_976
; %bb.973:                              ;   in Loop: Header=BB338_513 Depth=1
	v_and_b32_sdwa v9, v1, v41 dst_sel:DWORD dst_unused:UNUSED_PAD src0_sel:BYTE_3 src1_sel:DWORD
	v_lshrrev_b32_e32 v3, 3, v4
	s_mov_b32 s24, exec_lo
	v_cmpx_gt_u32_e32 8, v4
; %bb.974:                              ;   in Loop: Header=BB338_513 Depth=1
	v_ffbh_u32_e32 v3, v9
	v_min_u32_e32 v3, 32, v3
	v_subrev_nc_u32_e32 v4, 28, v3
	v_sub_nc_u32_e32 v3, 29, v3
	v_lshlrev_b64 v[92:93], v4, v[9:10]
	v_and_b32_e32 v9, 7, v92
; %bb.975:                              ;   in Loop: Header=BB338_513 Depth=1
	s_or_b32 exec_lo, exec_lo, s24
	v_lshlrev_b32_sdwa v4, v42, v1 dst_sel:DWORD dst_unused:UNUSED_PAD src0_sel:DWORD src1_sel:BYTE_3
	v_lshlrev_b32_e32 v9, 20, v9
	v_lshl_add_u32 v3, v3, 23, 0x3c000000
	v_and_b32_e32 v4, 0x80000000, v4
	v_or3_b32 v92, v9, v4, v3
.LBB338_976:                            ;   in Loop: Header=BB338_513 Depth=1
	s_or_b32 exec_lo, exec_lo, s23
.LBB338_977:                            ;   in Loop: Header=BB338_513 Depth=1
	s_or_b32 exec_lo, exec_lo, s22
.LBB338_978:                            ;   in Loop: Header=BB338_513 Depth=1
	s_or_b32 exec_lo, exec_lo, s19
	v_mov_b32_e32 v9, v2
	v_cmp_ne_u16_sdwa s1, v2, v10 src0_sel:BYTE_0 src1_sel:DWORD
	v_mov_b32_e32 v3, 0
	v_mov_b32_e32 v93, 0
	s_and_saveexec_b32 s19, s1
	s_cbranch_execz .LBB338_984
; %bb.979:                              ;   in Loop: Header=BB338_513 Depth=1
	v_cmp_ne_u16_sdwa s1, v2, v38 src0_sel:BYTE_0 src1_sel:DWORD
	v_bfrev_b32_e32 v93, 1
	s_and_saveexec_b32 s22, s1
	s_cbranch_execz .LBB338_983
; %bb.980:                              ;   in Loop: Header=BB338_513 Depth=1
	v_and_b32_e32 v4, 0x7f, v2
	v_mov_b32_e32 v93, 0x7f800001
	s_mov_b32 s23, exec_lo
	v_cmpx_ne_u32_e32 0x7f, v4
	s_cbranch_execz .LBB338_982
; %bb.981:                              ;   in Loop: Header=BB338_513 Depth=1
	v_and_b32_e32 v93, 7, v2
	v_lshrrev_b32_e32 v94, 3, v4
	v_cmp_gt_u32_e64 s1, 8, v4
	v_ffbh_u32_e32 v93, v93
	v_min_u32_e32 v93, 32, v93
	v_subrev_nc_u32_e32 v95, 28, v93
	v_sub_nc_u32_e32 v93, 29, v93
	v_cndmask_b32_e64 v4, v94, v93, s1
	v_cndmask_b32_e64 v93, 0, v95, s1
	v_lshl_add_u32 v4, v4, 23, 0x3c000000
	v_lshlrev_b64 v[93:94], v93, v[9:10]
	v_lshlrev_b32_e32 v94, 24, v9
	v_lshlrev_b32_e32 v93, 20, v93
	v_and_b32_e32 v94, 0x80000000, v94
	v_and_b32_e32 v93, 0x700000, v93
	v_or3_b32 v93, v93, v94, v4
.LBB338_982:                            ;   in Loop: Header=BB338_513 Depth=1
	s_or_b32 exec_lo, exec_lo, s23
.LBB338_983:                            ;   in Loop: Header=BB338_513 Depth=1
	s_or_b32 exec_lo, exec_lo, s22
.LBB338_984:                            ;   in Loop: Header=BB338_513 Depth=1
	s_or_b32 exec_lo, exec_lo, s19
	v_cmp_ne_u16_sdwa s1, v9, v10 src0_sel:BYTE_1 src1_sel:DWORD
	s_and_saveexec_b32 s19, s1
	s_cbranch_execz .LBB338_992
; %bb.985:                              ;   in Loop: Header=BB338_513 Depth=1
	v_cmp_ne_u16_sdwa s1, v9, v38 src0_sel:BYTE_1 src1_sel:DWORD
	v_bfrev_b32_e32 v3, 1
	s_and_saveexec_b32 s22, s1
	s_cbranch_execz .LBB338_991
; %bb.986:                              ;   in Loop: Header=BB338_513 Depth=1
	v_and_b32_sdwa v4, v39, v9 dst_sel:DWORD dst_unused:UNUSED_PAD src0_sel:DWORD src1_sel:BYTE_1
	v_mov_b32_e32 v3, 0x7f800001
	s_mov_b32 s23, exec_lo
	v_and_b32_e32 v95, 0x7f, v4
	v_cmpx_ne_u32_e32 0x7f, v95
	s_cbranch_execz .LBB338_990
; %bb.987:                              ;   in Loop: Header=BB338_513 Depth=1
	v_and_b32_e32 v3, 7, v4
	v_mov_b32_e32 v4, v10
	v_lshrrev_b32_e32 v94, 3, v95
	s_mov_b32 s24, exec_lo
	v_cmpx_gt_u32_e32 8, v95
; %bb.988:                              ;   in Loop: Header=BB338_513 Depth=1
	v_ffbh_u32_e32 v94, v3
	v_min_u32_e32 v94, 32, v94
	v_subrev_nc_u32_e32 v95, 28, v94
	v_sub_nc_u32_e32 v94, 29, v94
	v_lshlrev_b64 v[3:4], v95, v[3:4]
	v_and_b32_e32 v3, 7, v3
; %bb.989:                              ;   in Loop: Header=BB338_513 Depth=1
	s_or_b32 exec_lo, exec_lo, s24
	v_lshlrev_b32_e32 v4, 16, v9
	v_lshlrev_b32_e32 v3, 20, v3
	v_lshl_add_u32 v9, v94, 23, 0x3c000000
	v_and_b32_e32 v4, 0x80000000, v4
	v_or3_b32 v3, v3, v4, v9
.LBB338_990:                            ;   in Loop: Header=BB338_513 Depth=1
	s_or_b32 exec_lo, exec_lo, s23
.LBB338_991:                            ;   in Loop: Header=BB338_513 Depth=1
	s_or_b32 exec_lo, exec_lo, s22
.LBB338_992:                            ;   in Loop: Header=BB338_513 Depth=1
	s_or_b32 exec_lo, exec_lo, s19
	v_and_b32_sdwa v9, v2, v40 dst_sel:DWORD dst_unused:UNUSED_PAD src0_sel:WORD_1 src1_sel:DWORD
	v_mov_b32_e32 v4, 0
	v_mov_b32_e32 v94, 0
	s_mov_b32 s19, exec_lo
	v_cmpx_ne_u16_e32 0, v9
	s_cbranch_execz .LBB338_1000
; %bb.993:                              ;   in Loop: Header=BB338_513 Depth=1
	v_bfrev_b32_e32 v94, 1
	s_mov_b32 s22, exec_lo
	v_cmpx_ne_u16_e32 0x80, v9
	s_cbranch_execz .LBB338_999
; %bb.994:                              ;   in Loop: Header=BB338_513 Depth=1
	v_bfe_u32 v95, v2, 16, 7
	v_mov_b32_e32 v94, 0x7f800001
	s_mov_b32 s23, exec_lo
	v_cmpx_ne_u32_e32 0x7f, v95
	s_cbranch_execz .LBB338_998
; %bb.995:                              ;   in Loop: Header=BB338_513 Depth=1
	v_and_b32_sdwa v9, v2, v41 dst_sel:DWORD dst_unused:UNUSED_PAD src0_sel:WORD_1 src1_sel:DWORD
	v_lshrrev_b32_e32 v94, 3, v95
	s_mov_b32 s24, exec_lo
	v_cmpx_gt_u32_e32 8, v95
; %bb.996:                              ;   in Loop: Header=BB338_513 Depth=1
	v_ffbh_u32_e32 v94, v9
	v_min_u32_e32 v94, 32, v94
	v_subrev_nc_u32_e32 v95, 28, v94
	v_sub_nc_u32_e32 v94, 29, v94
	v_lshlrev_b64 v[95:96], v95, v[9:10]
	v_and_b32_e32 v9, 7, v95
; %bb.997:                              ;   in Loop: Header=BB338_513 Depth=1
	s_or_b32 exec_lo, exec_lo, s24
	v_lshlrev_b32_sdwa v95, v42, v2 dst_sel:DWORD dst_unused:UNUSED_PAD src0_sel:DWORD src1_sel:WORD_1
	v_lshlrev_b32_e32 v9, 20, v9
	v_lshl_add_u32 v94, v94, 23, 0x3c000000
	v_and_b32_e32 v95, 0x80000000, v95
	v_or3_b32 v94, v9, v95, v94
.LBB338_998:                            ;   in Loop: Header=BB338_513 Depth=1
	s_or_b32 exec_lo, exec_lo, s23
.LBB338_999:                            ;   in Loop: Header=BB338_513 Depth=1
	s_or_b32 exec_lo, exec_lo, s22
.LBB338_1000:                           ;   in Loop: Header=BB338_513 Depth=1
	s_or_b32 exec_lo, exec_lo, s19
	s_mov_b32 s19, exec_lo
	v_cmpx_lt_u64_e64 s[4:5], v[1:2]
	s_cbranch_execz .LBB338_1008
; %bb.1001:                             ;   in Loop: Header=BB338_513 Depth=1
	v_cmp_ne_u32_sdwa s1, v2, v38 src0_sel:BYTE_3 src1_sel:DWORD
	v_bfrev_b32_e32 v4, 1
	s_and_saveexec_b32 s22, s1
	s_cbranch_execz .LBB338_1007
; %bb.1002:                             ;   in Loop: Header=BB338_513 Depth=1
	v_bfe_u32 v95, v2, 24, 7
	v_mov_b32_e32 v4, 0x7f800001
	s_mov_b32 s23, exec_lo
	v_cmpx_ne_u32_e32 0x7f, v95
	s_cbranch_execz .LBB338_1006
; %bb.1003:                             ;   in Loop: Header=BB338_513 Depth=1
	v_and_b32_sdwa v9, v2, v41 dst_sel:DWORD dst_unused:UNUSED_PAD src0_sel:BYTE_3 src1_sel:DWORD
	v_lshrrev_b32_e32 v1, 3, v95
	s_mov_b32 s24, exec_lo
	v_cmpx_gt_u32_e32 8, v95
; %bb.1004:                             ;   in Loop: Header=BB338_513 Depth=1
	v_ffbh_u32_e32 v1, v9
	v_min_u32_e32 v1, 32, v1
	v_subrev_nc_u32_e32 v4, 28, v1
	v_sub_nc_u32_e32 v1, 29, v1
	v_lshlrev_b64 v[95:96], v4, v[9:10]
	v_and_b32_e32 v9, 7, v95
; %bb.1005:                             ;   in Loop: Header=BB338_513 Depth=1
	s_or_b32 exec_lo, exec_lo, s24
	v_lshlrev_b32_sdwa v2, v42, v2 dst_sel:DWORD dst_unused:UNUSED_PAD src0_sel:DWORD src1_sel:BYTE_3
	v_lshlrev_b32_e32 v4, 20, v9
	v_lshl_add_u32 v1, v1, 23, 0x3c000000
	v_and_b32_e32 v2, 0x80000000, v2
	v_or3_b32 v4, v4, v2, v1
.LBB338_1006:                           ;   in Loop: Header=BB338_513 Depth=1
	s_or_b32 exec_lo, exec_lo, s23
.LBB338_1007:                           ;   in Loop: Header=BB338_513 Depth=1
	s_or_b32 exec_lo, exec_lo, s22
.LBB338_1008:                           ;   in Loop: Header=BB338_513 Depth=1
	s_or_b32 exec_lo, exec_lo, s19
	v_mul_f32_e32 v1, s16, v3
	v_mul_f32_e32 v2, s16, v93
	;; [unrolled: 1-line block ×5, first 2 shown]
	v_bfe_u32 v9, v1, 16, 1
	v_or_b32_e32 v92, 0x400000, v1
	v_bfe_u32 v93, v2, 16, 1
	v_cmp_u_f32_e64 s1, v1, v1
	v_or_b32_e32 v95, 0x400000, v2
	v_add3_u32 v9, v9, v1, 0x7fff
	v_bfe_u32 v96, v3, 16, 1
	v_add3_u32 v93, v93, v2, 0x7fff
	v_or_b32_e32 v97, 0x400000, v3
	v_bfe_u32 v98, v91, 16, 1
	v_cndmask_b32_e64 v1, v9, v92, s1
	v_cmp_u_f32_e64 s1, v2, v2
	v_add3_u32 v96, v96, v3, 0x7fff
	v_mul_f32_e32 v13, s16, v13
	v_add3_u32 v92, v98, v91, 0x7fff
	v_mul_f32_e32 v4, s16, v4
	v_cndmask_b32_e64 v2, v93, v95, s1
	v_cmp_u_f32_e64 s1, v3, v3
	v_or_b32_e32 v93, 0x400000, v91
	v_lshrrev_b32_e32 v1, 16, v1
	v_lshrrev_b32_e32 v2, 16, v2
	v_cndmask_b32_e64 v3, v96, v97, s1
	v_cmp_u_f32_e64 s1, v91, v91
	v_or_b32_e32 v97, 0x400000, v4
	v_lshrrev_b32_e32 v9, 16, v3
	v_bfe_u32 v3, v14, 16, 1
	v_cndmask_b32_e64 v91, v92, v93, s1
	v_mul_f32_e32 v92, s16, v94
	v_or_b32_e32 v93, 0x400000, v14
	v_bfe_u32 v94, v13, 16, 1
	v_add3_u32 v3, v3, v14, 0x7fff
	v_cmp_u_f32_e64 s1, v14, v14
	v_bfe_u32 v95, v92, 16, 1
	v_bfe_u32 v14, v4, 16, 1
	v_or_b32_e32 v96, 0x400000, v92
	v_cndmask_b32_e64 v3, v3, v93, s1
	v_add3_u32 v93, v94, v13, 0x7fff
	v_or_b32_e32 v94, 0x400000, v13
	v_cmp_u_f32_e64 s1, v13, v13
	v_add3_u32 v95, v95, v92, 0x7fff
	v_add3_u32 v14, v14, v4, 0x7fff
	v_lshrrev_b32_e32 v13, 16, v91
	v_cndmask_b32_e64 v93, v93, v94, s1
	v_cmp_u_f32_e64 s1, v92, v92
	v_lshrrev_b32_e32 v91, 16, v93
	v_cndmask_b32_e64 v92, v95, v96, s1
	v_cmp_u_f32_e64 s1, v4, v4
	v_lshrrev_b32_e32 v4, 16, v92
	v_cndmask_b32_e64 v94, v14, v97, s1
	v_lshrrev_b32_e32 v14, 16, v3
	v_lshrrev_b32_e32 v3, 16, v94
	s_and_saveexec_b32 s1, s0
	s_cbranch_execz .LBB338_511
; %bb.1009:                             ;   in Loop: Header=BB338_513 Depth=1
	v_add_nc_u32_e32 v92, -6, v36
	v_cmp_gt_i32_e64 s0, s11, v54
	v_add_nc_u32_e32 v93, -5, v36
	v_add_nc_u32_e32 v54, -4, v36
	v_cndmask_b32_e64 v91, 0, v91, s0
	v_cmp_gt_i32_e64 s0, s11, v92
	v_add_nc_u32_e32 v92, -3, v36
	v_cndmask_b32_e64 v14, 0, v14, s0
	v_cmp_gt_i32_e64 s0, s11, v93
	;; [unrolled: 3-line block ×4, first 2 shown]
	v_cndmask_b32_e64 v2, 0, v2, s0
	v_cmp_gt_i32_e64 s0, s11, v93
	v_cndmask_b32_e64 v1, 0, v1, s0
	v_cmp_gt_i32_e64 s0, s11, v54
	;; [unrolled: 2-line block ×3, first 2 shown]
	v_cndmask_b32_e64 v3, 0, v3, s0
	s_branch .LBB338_511
.LBB338_1010:
	s_or_b32 exec_lo, exec_lo, s17
	v_mov_b32_e32 v21, v100
	v_mov_b32_e32 v22, v101
	;; [unrolled: 1-line block ×3, first 2 shown]
.LBB338_1011:
	s_or_b32 exec_lo, exec_lo, s14
	ds_bpermute_b32 v0, v25, v32
	ds_bpermute_b32 v1, v25, v33
	;; [unrolled: 1-line block ×8, first 2 shown]
	s_movk_i32 s0, 0x1e0
	v_and_b32_e32 v13, 0x3c0, v21
	v_mad_u32_u24 v8, v85, s0, 0x110
	s_mov_b32 s1, exec_lo
	v_cmp_eq_u32_e32 vcc_lo, 0, v22
	s_waitcnt lgkmcnt(0)
	s_barrier
	buffer_gl0_inv
	v_add_f32_e32 v7, v32, v0
	v_add_f32_e32 v6, v33, v1
	;; [unrolled: 1-line block ×8, first 2 shown]
	v_cmpx_eq_u32_e32 64, v13
	s_cbranch_execz .LBB338_1016
; %bb.1012:
	v_add_nc_u32_e32 v9, 0xfffffc40, v8
	s_and_saveexec_b32 s0, vcc_lo
	s_cbranch_execz .LBB338_1014
; %bb.1013:
	v_lshl_add_u32 v10, v24, 2, v9
	ds_write2_b32 v10, v7, v6 offset1:16
	ds_write2_b32 v10, v5, v4 offset0:32 offset1:48
	ds_write2_b32 v10, v3, v2 offset0:64 offset1:80
	ds_write_b32 v10, v1 offset:384
.LBB338_1014:
	s_or_b32 exec_lo, exec_lo, s0
	v_or_b32_e32 v10, 0x70, v24
	v_cmp_gt_u32_e64 s0, 0x78, v10
	s_and_b32 s0, vcc_lo, s0
	s_and_b32 exec_lo, exec_lo, s0
; %bb.1015:
	v_lshl_add_u32 v9, v10, 2, v9
	ds_write_b32 v9, v0
.LBB338_1016:
	s_or_b32 exec_lo, exec_lo, s1
	s_mov_b32 s1, exec_lo
	s_waitcnt lgkmcnt(0)
	s_barrier
	buffer_gl0_inv
	v_cmpx_gt_u32_e32 64, v21
	s_cbranch_execz .LBB338_1028
; %bb.1017:
	s_and_saveexec_b32 s0, vcc_lo
	s_cbranch_execnz .LBB338_1063
; %bb.1018:
	s_or_b32 exec_lo, exec_lo, s0
	s_and_saveexec_b32 s0, vcc_lo
	s_cbranch_execnz .LBB338_1064
.LBB338_1019:
	s_or_b32 exec_lo, exec_lo, s0
	s_and_saveexec_b32 s0, vcc_lo
	s_cbranch_execnz .LBB338_1065
.LBB338_1020:
	s_or_b32 exec_lo, exec_lo, s0
	s_and_saveexec_b32 s0, vcc_lo
	s_cbranch_execnz .LBB338_1066
.LBB338_1021:
	s_or_b32 exec_lo, exec_lo, s0
	s_and_saveexec_b32 s0, vcc_lo
	s_cbranch_execnz .LBB338_1067
.LBB338_1022:
	s_or_b32 exec_lo, exec_lo, s0
	s_and_saveexec_b32 s0, vcc_lo
	s_cbranch_execnz .LBB338_1068
.LBB338_1023:
	s_or_b32 exec_lo, exec_lo, s0
	s_and_saveexec_b32 s0, vcc_lo
	s_cbranch_execz .LBB338_1025
.LBB338_1024:
	v_lshl_add_u32 v9, v24, 2, v8
	ds_read_b32 v9, v9 offset:384
	s_waitcnt lgkmcnt(0)
	v_add_f32_e32 v1, v1, v9
.LBB338_1025:
	s_or_b32 exec_lo, exec_lo, s0
	v_or_b32_e32 v9, 0x70, v24
	v_cmp_gt_u32_e64 s0, 0x78, v9
	s_and_b32 s2, vcc_lo, s0
	s_and_saveexec_b32 s0, s2
	s_cbranch_execz .LBB338_1027
; %bb.1026:
	v_lshl_add_u32 v9, v24, 2, v8
	ds_read_b32 v9, v9 offset:448
	s_waitcnt lgkmcnt(0)
	v_add_f32_e32 v0, v0, v9
.LBB338_1027:
	s_or_b32 exec_lo, exec_lo, s0
.LBB338_1028:
	s_or_b32 exec_lo, exec_lo, s1
	v_and_b32_e32 v9, 0x3e0, v21
	s_mov_b32 s1, exec_lo
	s_barrier
	buffer_gl0_inv
	v_cmpx_eq_u32_e32 32, v9
	s_cbranch_execz .LBB338_1033
; %bb.1029:
	v_lshl_add_u32 v9, v24, 2, 0x110
	s_and_saveexec_b32 s0, vcc_lo
	s_cbranch_execz .LBB338_1031
; %bb.1030:
	ds_write2_b32 v9, v7, v6 offset1:16
	ds_write2_b32 v9, v5, v4 offset0:32 offset1:48
	ds_write2_b32 v9, v3, v2 offset0:64 offset1:80
	ds_write_b32 v9, v1 offset:384
.LBB338_1031:
	s_or_b32 exec_lo, exec_lo, s0
	v_or_b32_e32 v10, 0x70, v24
	v_cmp_gt_u32_e64 s0, 0x78, v10
	s_and_b32 s0, vcc_lo, s0
	s_and_b32 exec_lo, exec_lo, s0
; %bb.1032:
	ds_write_b32 v9, v0 offset:448
.LBB338_1033:
	s_or_b32 exec_lo, exec_lo, s1
	v_cmp_gt_u32_e64 s0, 32, v21
	s_waitcnt lgkmcnt(0)
	s_barrier
	buffer_gl0_inv
	s_and_saveexec_b32 s2, s0
	s_cbranch_execz .LBB338_1045
; %bb.1034:
	v_lshl_add_u32 v8, v24, 2, v8
	s_and_saveexec_b32 s1, vcc_lo
	s_cbranch_execnz .LBB338_1069
; %bb.1035:
	s_or_b32 exec_lo, exec_lo, s1
	s_and_saveexec_b32 s1, vcc_lo
	s_cbranch_execnz .LBB338_1070
.LBB338_1036:
	s_or_b32 exec_lo, exec_lo, s1
	s_and_saveexec_b32 s1, vcc_lo
	s_cbranch_execnz .LBB338_1071
.LBB338_1037:
	s_or_b32 exec_lo, exec_lo, s1
	s_and_saveexec_b32 s1, vcc_lo
	s_cbranch_execnz .LBB338_1072
.LBB338_1038:
	s_or_b32 exec_lo, exec_lo, s1
	s_and_saveexec_b32 s1, vcc_lo
	s_cbranch_execnz .LBB338_1073
.LBB338_1039:
	s_or_b32 exec_lo, exec_lo, s1
	s_and_saveexec_b32 s1, vcc_lo
	s_cbranch_execnz .LBB338_1074
.LBB338_1040:
	s_or_b32 exec_lo, exec_lo, s1
	s_and_saveexec_b32 s1, vcc_lo
	s_cbranch_execz .LBB338_1042
.LBB338_1041:
	ds_read_b32 v9, v8 offset:384
	s_waitcnt lgkmcnt(0)
	v_add_f32_e32 v1, v1, v9
.LBB338_1042:
	s_or_b32 exec_lo, exec_lo, s1
	v_or_b32_e32 v9, 0x70, v24
	v_cmp_gt_u32_e64 s1, 0x78, v9
	s_and_b32 s3, vcc_lo, s1
	s_and_saveexec_b32 s1, s3
	s_cbranch_execz .LBB338_1044
; %bb.1043:
	ds_read_b32 v8, v8 offset:448
	s_waitcnt lgkmcnt(0)
	v_add_f32_e32 v0, v0, v8
.LBB338_1044:
	s_or_b32 exec_lo, exec_lo, s1
.LBB338_1045:
	s_or_b32 exec_lo, exec_lo, s2
	s_barrier
	buffer_gl0_inv
	s_and_saveexec_b32 s1, s0
	s_cbranch_execz .LBB338_1062
; %bb.1046:
	s_mul_i32 s0, s10, s7
	s_mul_i32 s2, s7, s6
	s_mul_i32 s0, s0, s9
	v_lshlrev_b32_e32 v8, 1, v99
	s_mulk_i32 s0, 0x78
	s_ashr_i32 s1, s0, 31
	s_lshl_b64 s[0:1], s[0:1], 1
	s_add_u32 s4, s20, s0
	s_addc_u32 s5, s21, s1
	s_ashr_i32 s3, s2, 31
	s_lshl_b64 s[0:1], s[2:3], 1
	s_mul_i32 s2, s8, 0x78
	s_add_u32 s4, s4, s0
	s_addc_u32 s5, s5, s1
	s_ashr_i32 s3, s2, 31
	s_lshl_b64 s[0:1], s[2:3], 1
	s_add_u32 s2, s4, s0
	s_addc_u32 s3, s5, s1
	s_and_saveexec_b32 s1, vcc_lo
	s_cbranch_execz .LBB338_1048
; %bb.1047:
	v_bfe_u32 v9, v7, 16, 1
	v_or_b32_e32 v10, 0x400000, v7
	v_cmp_u_f32_e64 s0, v7, v7
	v_add3_u32 v9, v9, v7, 0x7fff
	v_cndmask_b32_e64 v7, v9, v10, s0
	global_store_short_d16_hi v8, v7, s[2:3]
.LBB338_1048:
	s_or_b32 exec_lo, exec_lo, s1
	v_or_b32_e32 v7, 16, v99
	v_cmp_gt_u32_e64 s0, 0x78, v7
	s_and_b32 s0, vcc_lo, s0
	s_and_saveexec_b32 s1, s0
	s_cbranch_execz .LBB338_1050
; %bb.1049:
	v_bfe_u32 v7, v6, 16, 1
	v_or_b32_e32 v9, 0x400000, v6
	v_cmp_u_f32_e64 s0, v6, v6
	v_add3_u32 v7, v7, v6, 0x7fff
	v_cndmask_b32_e64 v6, v7, v9, s0
	global_store_short_d16_hi v8, v6, s[2:3] offset:32
.LBB338_1050:
	s_or_b32 exec_lo, exec_lo, s1
	v_or_b32_e32 v6, 32, v99
	v_cmp_gt_u32_e64 s0, 0x78, v6
	s_and_b32 s0, vcc_lo, s0
	s_and_saveexec_b32 s1, s0
	s_cbranch_execz .LBB338_1052
; %bb.1051:
	v_bfe_u32 v6, v5, 16, 1
	v_or_b32_e32 v7, 0x400000, v5
	v_cmp_u_f32_e64 s0, v5, v5
	v_add3_u32 v6, v6, v5, 0x7fff
	v_cndmask_b32_e64 v5, v6, v7, s0
	global_store_short_d16_hi v8, v5, s[2:3] offset:64
.LBB338_1052:
	;; [unrolled: 14-line block ×6, first 2 shown]
	s_or_b32 exec_lo, exec_lo, s1
	v_or_b32_e32 v1, 0x70, v99
	v_cmp_gt_u32_e64 s0, 0x78, v1
	s_and_b32 s0, vcc_lo, s0
	s_and_b32 exec_lo, exec_lo, s0
	s_cbranch_execz .LBB338_1062
; %bb.1061:
	v_bfe_u32 v1, v0, 16, 1
	v_or_b32_e32 v2, 0x400000, v0
	v_cmp_u_f32_e32 vcc_lo, v0, v0
	v_add3_u32 v1, v1, v0, 0x7fff
	v_cndmask_b32_e32 v0, v1, v2, vcc_lo
	global_store_short_d16_hi v8, v0, s[2:3] offset:224
.LBB338_1062:
	s_endpgm
.LBB338_1063:
	v_lshl_add_u32 v9, v24, 2, v8
	ds_read_b32 v9, v9
	s_waitcnt lgkmcnt(0)
	v_add_f32_e32 v7, v7, v9
	s_or_b32 exec_lo, exec_lo, s0
	s_and_saveexec_b32 s0, vcc_lo
	s_cbranch_execz .LBB338_1019
.LBB338_1064:
	v_lshl_add_u32 v9, v24, 2, v8
	ds_read_b32 v9, v9 offset:64
	s_waitcnt lgkmcnt(0)
	v_add_f32_e32 v6, v6, v9
	s_or_b32 exec_lo, exec_lo, s0
	s_and_saveexec_b32 s0, vcc_lo
	s_cbranch_execz .LBB338_1020
.LBB338_1065:
	v_lshl_add_u32 v9, v24, 2, v8
	ds_read_b32 v9, v9 offset:128
	s_waitcnt lgkmcnt(0)
	v_add_f32_e32 v5, v5, v9
	s_or_b32 exec_lo, exec_lo, s0
	s_and_saveexec_b32 s0, vcc_lo
	s_cbranch_execz .LBB338_1021
.LBB338_1066:
	v_lshl_add_u32 v9, v24, 2, v8
	ds_read_b32 v9, v9 offset:192
	s_waitcnt lgkmcnt(0)
	v_add_f32_e32 v4, v4, v9
	s_or_b32 exec_lo, exec_lo, s0
	s_and_saveexec_b32 s0, vcc_lo
	s_cbranch_execz .LBB338_1022
.LBB338_1067:
	v_lshl_add_u32 v9, v24, 2, v8
	ds_read_b32 v9, v9 offset:256
	s_waitcnt lgkmcnt(0)
	v_add_f32_e32 v3, v3, v9
	s_or_b32 exec_lo, exec_lo, s0
	s_and_saveexec_b32 s0, vcc_lo
	s_cbranch_execz .LBB338_1023
.LBB338_1068:
	v_lshl_add_u32 v9, v24, 2, v8
	ds_read_b32 v9, v9 offset:320
	s_waitcnt lgkmcnt(0)
	v_add_f32_e32 v2, v2, v9
	s_or_b32 exec_lo, exec_lo, s0
	s_and_saveexec_b32 s0, vcc_lo
	s_cbranch_execnz .LBB338_1024
	s_branch .LBB338_1025
.LBB338_1069:
	ds_read_b32 v9, v8
	s_waitcnt lgkmcnt(0)
	v_add_f32_e32 v7, v7, v9
	s_or_b32 exec_lo, exec_lo, s1
	s_and_saveexec_b32 s1, vcc_lo
	s_cbranch_execz .LBB338_1036
.LBB338_1070:
	ds_read_b32 v9, v8 offset:64
	s_waitcnt lgkmcnt(0)
	v_add_f32_e32 v6, v6, v9
	s_or_b32 exec_lo, exec_lo, s1
	s_and_saveexec_b32 s1, vcc_lo
	s_cbranch_execz .LBB338_1037
.LBB338_1071:
	ds_read_b32 v9, v8 offset:128
	s_waitcnt lgkmcnt(0)
	v_add_f32_e32 v5, v5, v9
	s_or_b32 exec_lo, exec_lo, s1
	s_and_saveexec_b32 s1, vcc_lo
	s_cbranch_execz .LBB338_1038
.LBB338_1072:
	ds_read_b32 v9, v8 offset:192
	s_waitcnt lgkmcnt(0)
	v_add_f32_e32 v4, v4, v9
	s_or_b32 exec_lo, exec_lo, s1
	s_and_saveexec_b32 s1, vcc_lo
	s_cbranch_execz .LBB338_1039
.LBB338_1073:
	ds_read_b32 v9, v8 offset:256
	s_waitcnt lgkmcnt(0)
	v_add_f32_e32 v3, v3, v9
	s_or_b32 exec_lo, exec_lo, s1
	s_and_saveexec_b32 s1, vcc_lo
	s_cbranch_execz .LBB338_1040
.LBB338_1074:
	ds_read_b32 v9, v8 offset:320
	s_waitcnt lgkmcnt(0)
	v_add_f32_e32 v2, v2, v9
	s_or_b32 exec_lo, exec_lo, s1
	s_and_saveexec_b32 s1, vcc_lo
	s_cbranch_execnz .LBB338_1041
	s_branch .LBB338_1042
	.section	.rodata,"a",@progbits
	.p2align	6, 0x0
	.amdhsa_kernel _ZN4vllm25paged_attention_v1_kernelI14__hip_bfloat16hLi120ELi16ELi128ELNS_18Fp8KVCacheDataTypeE1ELb0EEEvPT_PKS3_PKT0_S9_ifPKiSB_iPKfiiiSD_SD_iiiii
		.amdhsa_group_segment_fixed_size 272
		.amdhsa_private_segment_fixed_size 72
		.amdhsa_kernarg_size 384
		.amdhsa_user_sgpr_count 6
		.amdhsa_user_sgpr_private_segment_buffer 1
		.amdhsa_user_sgpr_dispatch_ptr 0
		.amdhsa_user_sgpr_queue_ptr 0
		.amdhsa_user_sgpr_kernarg_segment_ptr 1
		.amdhsa_user_sgpr_dispatch_id 0
		.amdhsa_user_sgpr_flat_scratch_init 0
		.amdhsa_user_sgpr_private_segment_size 0
		.amdhsa_wavefront_size32 1
		.amdhsa_uses_dynamic_stack 0
		.amdhsa_system_sgpr_private_segment_wavefront_offset 1
		.amdhsa_system_sgpr_workgroup_id_x 1
		.amdhsa_system_sgpr_workgroup_id_y 1
		.amdhsa_system_sgpr_workgroup_id_z 1
		.amdhsa_system_sgpr_workgroup_info 0
		.amdhsa_system_vgpr_workitem_id 0
		.amdhsa_next_free_vgpr 128
		.amdhsa_next_free_sgpr 40
		.amdhsa_reserve_vcc 1
		.amdhsa_reserve_flat_scratch 0
		.amdhsa_float_round_mode_32 0
		.amdhsa_float_round_mode_16_64 0
		.amdhsa_float_denorm_mode_32 3
		.amdhsa_float_denorm_mode_16_64 3
		.amdhsa_dx10_clamp 1
		.amdhsa_ieee_mode 1
		.amdhsa_fp16_overflow 0
		.amdhsa_workgroup_processor_mode 1
		.amdhsa_memory_ordered 1
		.amdhsa_forward_progress 1
		.amdhsa_shared_vgpr_count 0
		.amdhsa_exception_fp_ieee_invalid_op 0
		.amdhsa_exception_fp_denorm_src 0
		.amdhsa_exception_fp_ieee_div_zero 0
		.amdhsa_exception_fp_ieee_overflow 0
		.amdhsa_exception_fp_ieee_underflow 0
		.amdhsa_exception_fp_ieee_inexact 0
		.amdhsa_exception_int_div_zero 0
	.end_amdhsa_kernel
	.section	.text._ZN4vllm25paged_attention_v1_kernelI14__hip_bfloat16hLi120ELi16ELi128ELNS_18Fp8KVCacheDataTypeE1ELb0EEEvPT_PKS3_PKT0_S9_ifPKiSB_iPKfiiiSD_SD_iiiii,"axG",@progbits,_ZN4vllm25paged_attention_v1_kernelI14__hip_bfloat16hLi120ELi16ELi128ELNS_18Fp8KVCacheDataTypeE1ELb0EEEvPT_PKS3_PKT0_S9_ifPKiSB_iPKfiiiSD_SD_iiiii,comdat
.Lfunc_end338:
	.size	_ZN4vllm25paged_attention_v1_kernelI14__hip_bfloat16hLi120ELi16ELi128ELNS_18Fp8KVCacheDataTypeE1ELb0EEEvPT_PKS3_PKT0_S9_ifPKiSB_iPKfiiiSD_SD_iiiii, .Lfunc_end338-_ZN4vllm25paged_attention_v1_kernelI14__hip_bfloat16hLi120ELi16ELi128ELNS_18Fp8KVCacheDataTypeE1ELb0EEEvPT_PKS3_PKT0_S9_ifPKiSB_iPKfiiiSD_SD_iiiii
                                        ; -- End function
	.set _ZN4vllm25paged_attention_v1_kernelI14__hip_bfloat16hLi120ELi16ELi128ELNS_18Fp8KVCacheDataTypeE1ELb0EEEvPT_PKS3_PKT0_S9_ifPKiSB_iPKfiiiSD_SD_iiiii.num_vgpr, 128
	.set _ZN4vllm25paged_attention_v1_kernelI14__hip_bfloat16hLi120ELi16ELi128ELNS_18Fp8KVCacheDataTypeE1ELb0EEEvPT_PKS3_PKT0_S9_ifPKiSB_iPKfiiiSD_SD_iiiii.num_agpr, 0
	.set _ZN4vllm25paged_attention_v1_kernelI14__hip_bfloat16hLi120ELi16ELi128ELNS_18Fp8KVCacheDataTypeE1ELb0EEEvPT_PKS3_PKT0_S9_ifPKiSB_iPKfiiiSD_SD_iiiii.numbered_sgpr, 40
	.set _ZN4vllm25paged_attention_v1_kernelI14__hip_bfloat16hLi120ELi16ELi128ELNS_18Fp8KVCacheDataTypeE1ELb0EEEvPT_PKS3_PKT0_S9_ifPKiSB_iPKfiiiSD_SD_iiiii.num_named_barrier, 0
	.set _ZN4vllm25paged_attention_v1_kernelI14__hip_bfloat16hLi120ELi16ELi128ELNS_18Fp8KVCacheDataTypeE1ELb0EEEvPT_PKS3_PKT0_S9_ifPKiSB_iPKfiiiSD_SD_iiiii.private_seg_size, 72
	.set _ZN4vllm25paged_attention_v1_kernelI14__hip_bfloat16hLi120ELi16ELi128ELNS_18Fp8KVCacheDataTypeE1ELb0EEEvPT_PKS3_PKT0_S9_ifPKiSB_iPKfiiiSD_SD_iiiii.uses_vcc, 1
	.set _ZN4vllm25paged_attention_v1_kernelI14__hip_bfloat16hLi120ELi16ELi128ELNS_18Fp8KVCacheDataTypeE1ELb0EEEvPT_PKS3_PKT0_S9_ifPKiSB_iPKfiiiSD_SD_iiiii.uses_flat_scratch, 0
	.set _ZN4vllm25paged_attention_v1_kernelI14__hip_bfloat16hLi120ELi16ELi128ELNS_18Fp8KVCacheDataTypeE1ELb0EEEvPT_PKS3_PKT0_S9_ifPKiSB_iPKfiiiSD_SD_iiiii.has_dyn_sized_stack, 0
	.set _ZN4vllm25paged_attention_v1_kernelI14__hip_bfloat16hLi120ELi16ELi128ELNS_18Fp8KVCacheDataTypeE1ELb0EEEvPT_PKS3_PKT0_S9_ifPKiSB_iPKfiiiSD_SD_iiiii.has_recursion, 0
	.set _ZN4vllm25paged_attention_v1_kernelI14__hip_bfloat16hLi120ELi16ELi128ELNS_18Fp8KVCacheDataTypeE1ELb0EEEvPT_PKS3_PKT0_S9_ifPKiSB_iPKfiiiSD_SD_iiiii.has_indirect_call, 0
	.section	.AMDGPU.csdata,"",@progbits
; Kernel info:
; codeLenInByte = 40260
; TotalNumSgprs: 42
; NumVgprs: 128
; ScratchSize: 72
; MemoryBound: 0
; FloatMode: 240
; IeeeMode: 1
; LDSByteSize: 272 bytes/workgroup (compile time only)
; SGPRBlocks: 0
; VGPRBlocks: 15
; NumSGPRsForWavesPerEU: 42
; NumVGPRsForWavesPerEU: 128
; Occupancy: 8
; WaveLimiterHint : 1
; COMPUTE_PGM_RSRC2:SCRATCH_EN: 1
; COMPUTE_PGM_RSRC2:USER_SGPR: 6
; COMPUTE_PGM_RSRC2:TRAP_HANDLER: 0
; COMPUTE_PGM_RSRC2:TGID_X_EN: 1
; COMPUTE_PGM_RSRC2:TGID_Y_EN: 1
; COMPUTE_PGM_RSRC2:TGID_Z_EN: 1
; COMPUTE_PGM_RSRC2:TIDIG_COMP_CNT: 0
	.section	.text._ZN4vllm25paged_attention_v1_kernelI14__hip_bfloat16hLi128ELi16ELi128ELNS_18Fp8KVCacheDataTypeE1ELb0EEEvPT_PKS3_PKT0_S9_ifPKiSB_iPKfiiiSD_SD_iiiii,"axG",@progbits,_ZN4vllm25paged_attention_v1_kernelI14__hip_bfloat16hLi128ELi16ELi128ELNS_18Fp8KVCacheDataTypeE1ELb0EEEvPT_PKS3_PKT0_S9_ifPKiSB_iPKfiiiSD_SD_iiiii,comdat
	.protected	_ZN4vllm25paged_attention_v1_kernelI14__hip_bfloat16hLi128ELi16ELi128ELNS_18Fp8KVCacheDataTypeE1ELb0EEEvPT_PKS3_PKT0_S9_ifPKiSB_iPKfiiiSD_SD_iiiii ; -- Begin function _ZN4vllm25paged_attention_v1_kernelI14__hip_bfloat16hLi128ELi16ELi128ELNS_18Fp8KVCacheDataTypeE1ELb0EEEvPT_PKS3_PKT0_S9_ifPKiSB_iPKfiiiSD_SD_iiiii
	.globl	_ZN4vllm25paged_attention_v1_kernelI14__hip_bfloat16hLi128ELi16ELi128ELNS_18Fp8KVCacheDataTypeE1ELb0EEEvPT_PKS3_PKT0_S9_ifPKiSB_iPKfiiiSD_SD_iiiii
	.p2align	8
	.type	_ZN4vllm25paged_attention_v1_kernelI14__hip_bfloat16hLi128ELi16ELi128ELNS_18Fp8KVCacheDataTypeE1ELb0EEEvPT_PKS3_PKT0_S9_ifPKiSB_iPKfiiiSD_SD_iiiii,@function
_ZN4vllm25paged_attention_v1_kernelI14__hip_bfloat16hLi128ELi16ELi128ELNS_18Fp8KVCacheDataTypeE1ELb0EEEvPT_PKS3_PKT0_S9_ifPKiSB_iPKfiiiSD_SD_iiiii: ; @_ZN4vllm25paged_attention_v1_kernelI14__hip_bfloat16hLi128ELi16ELi128ELNS_18Fp8KVCacheDataTypeE1ELb0EEEvPT_PKS3_PKT0_S9_ifPKiSB_iPKfiiiSD_SD_iiiii
; %bb.0:
	s_mov_b64 s[38:39], s[2:3]
	s_mov_b64 s[36:37], s[0:1]
	s_mov_b32 s10, s7
	s_add_u32 s36, s36, s9
	s_clause 0x2
	s_load_dword s9, s[4:5], 0x80
	s_load_dwordx2 s[0:1], s[4:5], 0x30
	s_load_dwordx2 s[28:29], s[4:5], 0x20
	s_addc_u32 s37, s37, 0
	s_ashr_i32 s11, s7, 31
	v_mov_b32_e32 v21, v0
	s_lshl_b64 s[2:3], s[10:11], 2
	s_waitcnt lgkmcnt(0)
	s_add_u32 s0, s0, s2
	s_addc_u32 s1, s1, s3
	s_abs_i32 s2, s28
	s_abs_i32 s11, s9
	v_cvt_f32_u32_e32 v0, s2
	s_sub_i32 s7, 0, s2
	v_rcp_iflag_f32_e32 v0, v0
	v_mul_f32_e32 v0, 0x4f7ffffe, v0
	v_cvt_u32_f32_e32 v0, v0
	v_readfirstlane_b32 s3, v0
	s_mul_i32 s7, s7, s3
	s_mul_hi_u32 s7, s3, s7
	s_add_i32 s3, s3, s7
	s_xor_b32 s7, s9, s28
	s_mul_hi_u32 s3, s11, s3
	s_ashr_i32 s7, s7, 31
	s_mul_i32 s12, s3, s2
	s_mov_b32 s28, 0
	s_sub_i32 s11, s11, s12
	s_add_i32 s12, s3, 1
	s_sub_i32 s13, s11, s2
	s_cmp_ge_u32 s11, s2
	s_cselect_b32 s3, s12, s3
	s_cselect_b32 s11, s13, s11
	s_add_i32 s12, s3, 1
	s_cmp_ge_u32 s11, s2
	s_cselect_b32 s2, s12, s3
	s_abs_i32 s17, s6
	s_xor_b32 s2, s2, s7
	s_sub_i32 s19, s2, s7
	s_load_dwordx2 s[2:3], s[4:5], 0x40
	s_abs_i32 s16, s19
	v_cvt_f32_u32_e32 v0, s16
	s_sub_i32 s11, 0, s16
	v_rcp_iflag_f32_e32 v0, v0
	v_mul_f32_e32 v0, 0x4f7ffffe, v0
	v_cvt_u32_f32_e32 v0, v0
	v_readfirstlane_b32 s7, v0
	s_mul_i32 s11, s11, s7
	s_mul_hi_u32 s11, s7, s11
	s_add_i32 s7, s7, s11
	s_waitcnt lgkmcnt(0)
	s_cmp_eq_u64 s[2:3], 0
	s_mul_hi_u32 s18, s17, s7
	s_cbranch_scc1 .LBB339_2
; %bb.1:
	s_ashr_i32 s7, s6, 31
	s_lshl_b64 s[12:13], s[6:7], 2
	s_add_u32 s2, s2, s12
	s_addc_u32 s3, s3, s13
	s_load_dword s28, s[2:3], 0x0
.LBB339_2:
	s_load_dword s11, s[0:1], 0x0
	s_load_dwordx4 s[12:15], s[4:5], 0x48
	v_lshrrev_b32_e32 v3, 1, v21
	v_and_b32_e32 v22, 1, v21
	v_cmp_gt_u32_e64 s0, 32, v21
	v_lshlrev_b32_e32 v12, 3, v21
	s_ashr_i32 s1, s6, 31
	s_ashr_i32 s2, s19, 31
	s_lshl_b32 s6, s6, 7
	s_and_saveexec_b32 s3, s0
	s_cbranch_execz .LBB339_4
; %bb.3:
	s_load_dwordx2 s[20:21], s[4:5], 0x8
	s_waitcnt lgkmcnt(0)
	s_mul_i32 s22, s12, s10
	v_lshlrev_b32_e32 v2, 3, v3
	s_ashr_i32 s23, s22, 31
	s_lshl_b64 s[22:23], s[22:23], 1
	v_lshl_add_u32 v2, v22, 7, v2
	s_add_u32 s12, s20, s22
	s_addc_u32 s15, s21, s23
	s_ashr_i32 s7, s6, 31
	s_lshl_b64 s[20:21], s[6:7], 1
	s_add_u32 s20, s12, s20
	s_addc_u32 s21, s15, s21
	global_load_dwordx2 v[0:1], v12, s[20:21]
	s_waitcnt vmcnt(0)
	ds_write_b64 v2, v[0:1]
.LBB339_4:
	s_or_b32 exec_lo, exec_lo, s3
	s_waitcnt lgkmcnt(0)
	s_add_i32 s3, s11, 15
	s_clause 0x1
	s_load_dwordx2 s[22:23], s[4:5], 0x28
	s_load_dword s15, s[4:5], 0x38
	s_ashr_i32 s7, s3, 31
	s_xor_b32 s1, s1, s2
	s_lshr_b32 s7, s7, 28
	s_mul_i32 s2, s18, s16
	s_add_i32 s3, s3, s7
	s_sub_i32 s2, s17, s2
	s_ashr_i32 s12, s3, 4
	s_add_i32 s3, s18, 1
	s_sub_i32 s7, s2, s16
	s_cmp_ge_u32 s2, s16
	v_lshrrev_b32_e32 v89, 5, v21
	s_cselect_b32 s3, s3, s18
	s_cselect_b32 s2, s7, s2
	s_add_i32 s7, s3, 1
	s_cmp_ge_u32 s2, s16
	v_mbcnt_lo_u32_b32 v26, -1, 0
	s_cselect_b32 s2, s7, s3
	s_mov_b32 s3, exec_lo
	s_xor_b32 s2, s2, s1
	s_waitcnt lgkmcnt(0)
	s_mul_i32 s24, s15, s10
	s_sub_i32 s2, s2, s1
	v_cmp_gt_i32_e64 s1, s12, v89
	s_ashr_i32 s25, s24, 31
	s_barrier
	buffer_gl0_inv
                                        ; implicit-def: $vgpr2
                                        ; implicit-def: $vgpr10
	v_cmpx_le_i32_e64 s12, v89
	s_xor_b32 s3, exec_lo, s3
; %bb.5:
	v_mov_b32_e32 v2, 0
	v_mbcnt_lo_u32_b32 v26, -1, 0
	v_mov_b32_e32 v10, 32
; %bb.6:
	s_or_saveexec_b32 s15, s3
	buffer_store_dword v3, off, s[36:39], 0 offset:76 ; 4-byte Folded Spill
	s_clause 0x3
	s_load_dwordx2 s[20:21], s[4:5], 0x0
	s_load_dwordx2 s[26:27], s[4:5], 0x18
	s_load_dword s7, s[4:5], 0x88
	s_load_dwordx4 s[16:19], s[4:5], 0x58
	v_mov_b32_e32 v80, 0xff7fffff
	v_lshrrev_b32_e32 v23, 3, v21
	s_mul_i32 s14, s2, s14
	s_xor_b32 exec_lo, exec_lo, s15
	s_cbranch_execz .LBB339_524
; %bb.7:
	v_lshlrev_b32_e32 v20, 7, v22
	buffer_store_dword v12, off, s[36:39], 0 offset:92 ; 4-byte Folded Spill
	s_load_dwordx2 s[2:3], s[4:5], 0x10
	s_ashr_i32 s4, s14, 31
	v_mov_b32_e32 v80, 0xff7fffff
	ds_read_b128 v[0:3], v20
	ds_read_b128 v[4:7], v20 offset:16
	ds_read_b128 v[8:11], v20 offset:32
	;; [unrolled: 1-line block ×4, first 2 shown]
	s_waitcnt lgkmcnt(0)
	s_load_dword s5, s[16:17], 0x0
	v_mov_b32_e32 v84, 0x80
	v_mov_b32_e32 v85, 0xffff
	;; [unrolled: 1-line block ×5, first 2 shown]
	s_mov_b32 s17, 0
	buffer_store_dword v21, off, s[36:39], 0 offset:80 ; 4-byte Folded Spill
	buffer_store_dword v26, off, s[36:39], 0 offset:100 ; 4-byte Folded Spill
	;; [unrolled: 1-line block ×5, first 2 shown]
	v_lshlrev_b32_e32 v24, 16, v0
	v_and_b32_e32 v0, 0xffff0000, v0
	v_and_b32_e32 v34, 0xffff0000, v9
	v_lshlrev_b32_e32 v35, 16, v10
	v_and_b32_e32 v36, 0xffff0000, v10
	v_lshlrev_b32_e32 v37, 16, v11
	buffer_store_dword v0, off, s[36:39], 0 offset:4 ; 4-byte Folded Spill
	v_lshlrev_b32_e32 v0, 16, v1
	v_and_b32_e32 v38, 0xffff0000, v11
	s_add_u32 s2, s2, s14
	s_addc_u32 s3, s3, s4
	s_lshl_b64 s[30:31], s[24:25], 2
	buffer_store_dword v0, off, s[36:39], 0 offset:8 ; 4-byte Folded Spill
	v_and_b32_e32 v0, 0xffff0000, v1
	s_sub_i32 s16, 1, s11
	v_lshlrev_b32_e32 v39, 16, v12
	v_and_b32_e32 v40, 0xffff0000, v12
	v_lshlrev_b32_e32 v41, 16, v13
	buffer_store_dword v0, off, s[36:39], 0 offset:12 ; 4-byte Folded Spill
	v_lshlrev_b32_e32 v0, 16, v2
	v_and_b32_e32 v42, 0xffff0000, v13
	v_lshlrev_b32_e32 v43, 16, v14
	v_and_b32_e32 v44, 0xffff0000, v14
	v_lshlrev_b32_e32 v45, 16, v15
	buffer_store_dword v0, off, s[36:39], 0 offset:16 ; 4-byte Folded Spill
	v_and_b32_e32 v0, 0xffff0000, v2
	v_and_b32_e32 v47, 0xffff0000, v15
	v_lshlrev_b32_e32 v48, 16, v16
	v_and_b32_e32 v49, 0xffff0000, v16
	v_lshlrev_b32_e32 v50, 16, v17
	buffer_store_dword v0, off, s[36:39], 0 offset:20 ; 4-byte Folded Spill
	v_lshlrev_b32_e32 v0, 16, v3
	v_and_b32_e32 v51, 0xffff0000, v17
	v_lshlrev_b32_e32 v52, 16, v18
	v_and_b32_e32 v53, 0xffff0000, v18
	v_lshlrev_b32_e32 v54, 16, v19
	buffer_store_dword v0, off, s[36:39], 0 offset:24 ; 4-byte Folded Spill
	v_and_b32_e32 v0, 0xffff0000, v3
	v_and_b32_e32 v55, 0xffff0000, v19
	buffer_store_dword v24, off, s[36:39], 0 ; 4-byte Folded Spill
	buffer_store_dword v0, off, s[36:39], 0 offset:28 ; 4-byte Folded Spill
	v_lshlrev_b32_e32 v0, 16, v4
	buffer_store_dword v0, off, s[36:39], 0 offset:32 ; 4-byte Folded Spill
	v_and_b32_e32 v0, 0xffff0000, v4
	buffer_store_dword v0, off, s[36:39], 0 offset:36 ; 4-byte Folded Spill
	v_lshlrev_b32_e32 v0, 16, v5
	buffer_store_dword v0, off, s[36:39], 0 offset:40 ; 4-byte Folded Spill
	v_and_b32_e32 v0, 0xffff0000, v5
	;; [unrolled: 4-line block ×4, first 2 shown]
	ds_read_b128 v[4:7], v20 offset:96
	buffer_store_dword v0, off, s[36:39], 0 offset:60 ; 4-byte Folded Spill
	v_lshlrev_b32_e32 v0, 16, v8
	buffer_store_dword v0, off, s[36:39], 0 offset:64 ; 4-byte Folded Spill
	v_and_b32_e32 v0, 0xffff0000, v8
	buffer_store_dword v0, off, s[36:39], 0 offset:68 ; 4-byte Folded Spill
	v_lshlrev_b32_e32 v0, 16, v9
	ds_read_b128 v[8:11], v20 offset:112
	s_waitcnt lgkmcnt(0)
	v_lshlrev_b32_e32 v68, 16, v6
	v_and_b32_e32 v69, 0xffff0000, v6
	buffer_store_dword v0, off, s[36:39], 0 offset:72 ; 4-byte Folded Spill
	ds_read_b128 v[0:3], v20 offset:80
	v_lshlrev_b32_e32 v66, 16, v5
	v_and_b32_e32 v67, 0xffff0000, v5
	v_lshlrev_b32_e32 v64, 16, v4
	v_and_b32_e32 v65, 0xffff0000, v4
	;; [unrolled: 2-line block ×5, first 2 shown]
	v_lshlrev_b32_e32 v76, 16, v10
	s_waitcnt lgkmcnt(0)
	v_lshlrev_b32_e32 v56, 16, v0
	v_and_b32_e32 v57, 0xffff0000, v0
	v_bfe_u32 v0, v21, 1, 4
	v_lshlrev_b32_e32 v62, 16, v3
	v_and_b32_e32 v63, 0xffff0000, v3
	v_xor_b32_e32 v3, 1, v26
	v_lshlrev_b32_e32 v58, 16, v1
	v_and_b32_e32 v59, 0xffff0000, v1
	v_lshlrev_b32_e32 v1, 4, v0
	v_lshlrev_b32_e32 v60, 16, v2
	v_cmp_gt_i32_e32 vcc_lo, 32, v3
	v_and_b32_e32 v61, 0xffff0000, v2
	v_lshlrev_b32_e32 v2, 2, v22
	v_add_co_u32 v1, s2, s2, v1
	v_lshlrev_b32_e32 v6, 2, v0
	v_cndmask_b32_e32 v5, v26, v3, vcc_lo
	v_lshl_or_b32 v82, v89, 4, v0
	v_and_b32_e32 v0, 0x7c, v23
	v_add_co_ci_u32_e64 v4, null, s3, 0, s2
	v_add_co_u32 v3, vcc_lo, v1, v2
	v_lshl_or_b32 v1, v89, 6, v6
	s_add_u32 s3, s22, s30
	v_lshlrev_b32_e32 v81, 2, v5
	s_addc_u32 s4, s23, s31
	v_add_co_u32 v5, s3, s3, v0
	v_and_b32_e32 v77, 0xffff0000, v10
	v_lshlrev_b32_e32 v78, 16, v11
	v_and_b32_e32 v79, 0xffff0000, v11
	v_add_co_ci_u32_e64 v4, null, 0, v4, vcc_lo
	v_cmp_neq_f32_e64 s2, s28, 0
	v_add_nc_u32_e32 v83, 0x120, v1
	v_add_co_ci_u32_e64 v6, null, s4, 0, s3
	v_mov_b32_e32 v2, 0
	s_mov_b32 s30, s13
	v_cmp_eq_u32_e32 vcc_lo, 0, v22
	s_branch .LBB339_9
.LBB339_8:                              ;   in Loop: Header=BB339_9 Depth=1
	s_or_b32 exec_lo, exec_lo, s4
	v_add_nc_u32_e32 v89, 4, v89
	v_add_co_u32 v5, s4, v5, 16
	v_add_nc_u32_e32 v82, 64, v82
	v_add_nc_u32_e32 v83, 0x100, v83
	v_cmp_le_i32_e64 s3, s12, v89
	v_add_co_ci_u32_e64 v6, null, 0, v6, s4
	s_or_b32 s17, s3, s17
	s_andn2_b32 exec_lo, exec_lo, s17
	s_cbranch_execz .LBB339_523
.LBB339_9:                              ; =>This Inner Loop Header: Depth=1
	global_load_dword v0, v[5:6], off
	v_mov_b32_e32 v90, 0
	s_waitcnt vmcnt(0)
	v_mad_i64_i32 v[7:8], null, v0, s30, v[3:4]
	global_load_dword v0, v[7:8], off
	s_waitcnt vmcnt(0)
	v_cmp_ne_u16_sdwa s3, v0, v2 src0_sel:BYTE_0 src1_sel:DWORD
	s_and_saveexec_b32 s4, s3
	s_cbranch_execz .LBB339_17
; %bb.10:                               ;   in Loop: Header=BB339_9 Depth=1
	v_cmp_ne_u16_sdwa s3, v0, v84 src0_sel:BYTE_0 src1_sel:DWORD
	v_bfrev_b32_e32 v90, 1
	s_and_saveexec_b32 s31, s3
	s_cbranch_execz .LBB339_16
; %bb.11:                               ;   in Loop: Header=BB339_9 Depth=1
	v_and_b32_e32 v10, 0x7f, v0
	v_mov_b32_e32 v90, 0x7f800001
	s_mov_b32 s33, exec_lo
	v_cmpx_ne_u32_e32 0x7f, v10
	s_cbranch_execz .LBB339_15
; %bb.12:                               ;   in Loop: Header=BB339_9 Depth=1
	s_waitcnt lgkmcnt(0)
	v_and_b32_e32 v1, 7, v0
	v_lshrrev_b32_e32 v9, 3, v10
	s_mov_b32 s34, exec_lo
	v_cmpx_gt_u32_e32 8, v10
; %bb.13:                               ;   in Loop: Header=BB339_9 Depth=1
	v_ffbh_u32_e32 v9, v1
	v_min_u32_e32 v9, 32, v9
	v_subrev_nc_u32_e32 v10, 28, v9
	v_sub_nc_u32_e32 v9, 29, v9
	v_lshlrev_b64 v[10:11], v10, v[1:2]
	v_and_b32_e32 v1, 7, v10
; %bb.14:                               ;   in Loop: Header=BB339_9 Depth=1
	s_or_b32 exec_lo, exec_lo, s34
	v_lshlrev_b32_e32 v10, 24, v0
	v_lshlrev_b32_e32 v1, 20, v1
	v_lshl_add_u32 v9, v9, 23, 0x3c000000
	v_and_b32_e32 v10, 0x80000000, v10
	v_or3_b32 v90, v1, v10, v9
.LBB339_15:                             ;   in Loop: Header=BB339_9 Depth=1
	s_or_b32 exec_lo, exec_lo, s33
.LBB339_16:                             ;   in Loop: Header=BB339_9 Depth=1
	s_or_b32 exec_lo, exec_lo, s31
.LBB339_17:                             ;   in Loop: Header=BB339_9 Depth=1
	s_or_b32 exec_lo, exec_lo, s4
	v_cmp_ne_u16_sdwa s3, v0, v2 src0_sel:BYTE_1 src1_sel:DWORD
	v_mov_b32_e32 v91, 0
	s_and_saveexec_b32 s4, s3
	s_cbranch_execz .LBB339_25
; %bb.18:                               ;   in Loop: Header=BB339_9 Depth=1
	v_cmp_ne_u16_sdwa s3, v0, v84 src0_sel:BYTE_1 src1_sel:DWORD
	v_bfrev_b32_e32 v91, 1
	s_and_saveexec_b32 s31, s3
	s_cbranch_execz .LBB339_24
; %bb.19:                               ;   in Loop: Header=BB339_9 Depth=1
	s_waitcnt lgkmcnt(0)
	v_and_b32_sdwa v1, v85, v0 dst_sel:DWORD dst_unused:UNUSED_PAD src0_sel:DWORD src1_sel:BYTE_1
	v_mov_b32_e32 v91, 0x7f800001
	s_mov_b32 s33, exec_lo
	v_and_b32_e32 v10, 0x7f, v1
	v_cmpx_ne_u32_e32 0x7f, v10
	s_cbranch_execz .LBB339_23
; %bb.20:                               ;   in Loop: Header=BB339_9 Depth=1
	v_and_b32_e32 v1, 7, v1
	v_lshrrev_b32_e32 v9, 3, v10
	s_mov_b32 s34, exec_lo
	v_cmpx_gt_u32_e32 8, v10
; %bb.21:                               ;   in Loop: Header=BB339_9 Depth=1
	v_ffbh_u32_e32 v9, v1
	v_min_u32_e32 v9, 32, v9
	v_subrev_nc_u32_e32 v10, 28, v9
	v_sub_nc_u32_e32 v9, 29, v9
	v_lshlrev_b64 v[10:11], v10, v[1:2]
	v_and_b32_e32 v1, 7, v10
; %bb.22:                               ;   in Loop: Header=BB339_9 Depth=1
	s_or_b32 exec_lo, exec_lo, s34
	v_lshlrev_b32_e32 v10, 16, v0
	v_lshlrev_b32_e32 v1, 20, v1
	v_lshl_add_u32 v9, v9, 23, 0x3c000000
	v_and_b32_e32 v10, 0x80000000, v10
	v_or3_b32 v91, v1, v10, v9
.LBB339_23:                             ;   in Loop: Header=BB339_9 Depth=1
	s_or_b32 exec_lo, exec_lo, s33
.LBB339_24:                             ;   in Loop: Header=BB339_9 Depth=1
	s_or_b32 exec_lo, exec_lo, s31
.LBB339_25:                             ;   in Loop: Header=BB339_9 Depth=1
	s_or_b32 exec_lo, exec_lo, s4
	s_waitcnt lgkmcnt(0)
	v_and_b32_sdwa v1, v0, v86 dst_sel:DWORD dst_unused:UNUSED_PAD src0_sel:WORD_1 src1_sel:DWORD
	v_mov_b32_e32 v92, 0
	v_mov_b32_e32 v93, 0
	s_mov_b32 s4, exec_lo
	v_cmpx_ne_u16_e32 0, v1
	s_cbranch_execz .LBB339_33
; %bb.26:                               ;   in Loop: Header=BB339_9 Depth=1
	v_bfrev_b32_e32 v93, 1
	s_mov_b32 s31, exec_lo
	v_cmpx_ne_u16_e32 0x80, v1
	s_cbranch_execz .LBB339_32
; %bb.27:                               ;   in Loop: Header=BB339_9 Depth=1
	v_bfe_u32 v10, v0, 16, 7
	v_mov_b32_e32 v93, 0x7f800001
	s_mov_b32 s33, exec_lo
	v_cmpx_ne_u32_e32 0x7f, v10
	s_cbranch_execz .LBB339_31
; %bb.28:                               ;   in Loop: Header=BB339_9 Depth=1
	v_and_b32_sdwa v1, v0, v87 dst_sel:DWORD dst_unused:UNUSED_PAD src0_sel:WORD_1 src1_sel:DWORD
	v_lshrrev_b32_e32 v9, 3, v10
	s_mov_b32 s34, exec_lo
	v_cmpx_gt_u32_e32 8, v10
; %bb.29:                               ;   in Loop: Header=BB339_9 Depth=1
	v_ffbh_u32_e32 v9, v1
	v_min_u32_e32 v9, 32, v9
	v_subrev_nc_u32_e32 v10, 28, v9
	v_sub_nc_u32_e32 v9, 29, v9
	v_lshlrev_b64 v[10:11], v10, v[1:2]
	v_and_b32_e32 v1, 7, v10
; %bb.30:                               ;   in Loop: Header=BB339_9 Depth=1
	s_or_b32 exec_lo, exec_lo, s34
	v_lshlrev_b32_sdwa v10, v88, v0 dst_sel:DWORD dst_unused:UNUSED_PAD src0_sel:DWORD src1_sel:WORD_1
	v_lshlrev_b32_e32 v1, 20, v1
	v_lshl_add_u32 v9, v9, 23, 0x3c000000
	v_and_b32_e32 v10, 0x80000000, v10
	v_or3_b32 v93, v1, v10, v9
.LBB339_31:                             ;   in Loop: Header=BB339_9 Depth=1
	s_or_b32 exec_lo, exec_lo, s33
.LBB339_32:                             ;   in Loop: Header=BB339_9 Depth=1
	s_or_b32 exec_lo, exec_lo, s31
.LBB339_33:                             ;   in Loop: Header=BB339_9 Depth=1
	s_or_b32 exec_lo, exec_lo, s4
	s_mov_b32 s4, exec_lo
	v_cmpx_lt_u32_e32 0xffffff, v0
	s_cbranch_execz .LBB339_41
; %bb.34:                               ;   in Loop: Header=BB339_9 Depth=1
	v_cmp_ne_u32_sdwa s3, v0, v84 src0_sel:BYTE_3 src1_sel:DWORD
	v_bfrev_b32_e32 v92, 1
	s_and_saveexec_b32 s31, s3
	s_cbranch_execz .LBB339_40
; %bb.35:                               ;   in Loop: Header=BB339_9 Depth=1
	v_bfe_u32 v10, v0, 24, 7
	v_mov_b32_e32 v92, 0x7f800001
	s_mov_b32 s33, exec_lo
	v_cmpx_ne_u32_e32 0x7f, v10
	s_cbranch_execz .LBB339_39
; %bb.36:                               ;   in Loop: Header=BB339_9 Depth=1
	v_and_b32_sdwa v1, v0, v87 dst_sel:DWORD dst_unused:UNUSED_PAD src0_sel:BYTE_3 src1_sel:DWORD
	v_lshrrev_b32_e32 v9, 3, v10
	s_mov_b32 s34, exec_lo
	v_cmpx_gt_u32_e32 8, v10
; %bb.37:                               ;   in Loop: Header=BB339_9 Depth=1
	v_ffbh_u32_e32 v9, v1
	v_min_u32_e32 v9, 32, v9
	v_subrev_nc_u32_e32 v10, 28, v9
	v_sub_nc_u32_e32 v9, 29, v9
	v_lshlrev_b64 v[10:11], v10, v[1:2]
	v_and_b32_e32 v1, 7, v10
; %bb.38:                               ;   in Loop: Header=BB339_9 Depth=1
	s_or_b32 exec_lo, exec_lo, s34
	v_lshlrev_b32_sdwa v0, v88, v0 dst_sel:DWORD dst_unused:UNUSED_PAD src0_sel:DWORD src1_sel:BYTE_3
	v_lshlrev_b32_e32 v1, 20, v1
	v_lshl_add_u32 v9, v9, 23, 0x3c000000
	v_and_b32_e32 v0, 0x80000000, v0
	v_or3_b32 v92, v1, v0, v9
.LBB339_39:                             ;   in Loop: Header=BB339_9 Depth=1
	s_or_b32 exec_lo, exec_lo, s33
.LBB339_40:                             ;   in Loop: Header=BB339_9 Depth=1
	s_or_b32 exec_lo, exec_lo, s31
.LBB339_41:                             ;   in Loop: Header=BB339_9 Depth=1
	s_or_b32 exec_lo, exec_lo, s4
	global_load_dword v0, v[7:8], off offset:8
	v_mov_b32_e32 v95, 0
	v_mov_b32_e32 v94, 0
	s_waitcnt vmcnt(0)
	v_cmp_ne_u16_sdwa s3, v0, v2 src0_sel:BYTE_0 src1_sel:DWORD
	s_and_saveexec_b32 s4, s3
	s_cbranch_execz .LBB339_49
; %bb.42:                               ;   in Loop: Header=BB339_9 Depth=1
	v_cmp_ne_u16_sdwa s3, v0, v84 src0_sel:BYTE_0 src1_sel:DWORD
	v_bfrev_b32_e32 v94, 1
	s_and_saveexec_b32 s31, s3
	s_cbranch_execz .LBB339_48
; %bb.43:                               ;   in Loop: Header=BB339_9 Depth=1
	v_and_b32_e32 v10, 0x7f, v0
	v_mov_b32_e32 v94, 0x7f800001
	s_mov_b32 s33, exec_lo
	v_cmpx_ne_u32_e32 0x7f, v10
	s_cbranch_execz .LBB339_47
; %bb.44:                               ;   in Loop: Header=BB339_9 Depth=1
	v_and_b32_e32 v1, 7, v0
	v_lshrrev_b32_e32 v9, 3, v10
	s_mov_b32 s34, exec_lo
	v_cmpx_gt_u32_e32 8, v10
; %bb.45:                               ;   in Loop: Header=BB339_9 Depth=1
	v_ffbh_u32_e32 v9, v1
	v_min_u32_e32 v9, 32, v9
	v_subrev_nc_u32_e32 v10, 28, v9
	v_sub_nc_u32_e32 v9, 29, v9
	v_lshlrev_b64 v[10:11], v10, v[1:2]
	v_and_b32_e32 v1, 7, v10
; %bb.46:                               ;   in Loop: Header=BB339_9 Depth=1
	s_or_b32 exec_lo, exec_lo, s34
	v_lshlrev_b32_e32 v10, 24, v0
	v_lshlrev_b32_e32 v1, 20, v1
	v_lshl_add_u32 v9, v9, 23, 0x3c000000
	v_and_b32_e32 v10, 0x80000000, v10
	v_or3_b32 v94, v1, v10, v9
.LBB339_47:                             ;   in Loop: Header=BB339_9 Depth=1
	s_or_b32 exec_lo, exec_lo, s33
.LBB339_48:                             ;   in Loop: Header=BB339_9 Depth=1
	s_or_b32 exec_lo, exec_lo, s31
.LBB339_49:                             ;   in Loop: Header=BB339_9 Depth=1
	s_or_b32 exec_lo, exec_lo, s4
	v_cmp_ne_u16_sdwa s3, v0, v2 src0_sel:BYTE_1 src1_sel:DWORD
	s_and_saveexec_b32 s4, s3
	s_cbranch_execz .LBB339_57
; %bb.50:                               ;   in Loop: Header=BB339_9 Depth=1
	v_cmp_ne_u16_sdwa s3, v0, v84 src0_sel:BYTE_1 src1_sel:DWORD
	v_bfrev_b32_e32 v95, 1
	s_and_saveexec_b32 s31, s3
	s_cbranch_execz .LBB339_56
; %bb.51:                               ;   in Loop: Header=BB339_9 Depth=1
	v_and_b32_sdwa v1, v85, v0 dst_sel:DWORD dst_unused:UNUSED_PAD src0_sel:DWORD src1_sel:BYTE_1
	v_mov_b32_e32 v95, 0x7f800001
	s_mov_b32 s33, exec_lo
	v_and_b32_e32 v10, 0x7f, v1
	v_cmpx_ne_u32_e32 0x7f, v10
	s_cbranch_execz .LBB339_55
; %bb.52:                               ;   in Loop: Header=BB339_9 Depth=1
	v_and_b32_e32 v1, 7, v1
	v_lshrrev_b32_e32 v9, 3, v10
	s_mov_b32 s34, exec_lo
	v_cmpx_gt_u32_e32 8, v10
; %bb.53:                               ;   in Loop: Header=BB339_9 Depth=1
	v_ffbh_u32_e32 v9, v1
	v_min_u32_e32 v9, 32, v9
	v_subrev_nc_u32_e32 v10, 28, v9
	v_sub_nc_u32_e32 v9, 29, v9
	v_lshlrev_b64 v[10:11], v10, v[1:2]
	v_and_b32_e32 v1, 7, v10
; %bb.54:                               ;   in Loop: Header=BB339_9 Depth=1
	s_or_b32 exec_lo, exec_lo, s34
	v_lshlrev_b32_e32 v10, 16, v0
	v_lshlrev_b32_e32 v1, 20, v1
	v_lshl_add_u32 v9, v9, 23, 0x3c000000
	v_and_b32_e32 v10, 0x80000000, v10
	v_or3_b32 v95, v1, v10, v9
.LBB339_55:                             ;   in Loop: Header=BB339_9 Depth=1
	s_or_b32 exec_lo, exec_lo, s33
.LBB339_56:                             ;   in Loop: Header=BB339_9 Depth=1
	s_or_b32 exec_lo, exec_lo, s31
.LBB339_57:                             ;   in Loop: Header=BB339_9 Depth=1
	s_or_b32 exec_lo, exec_lo, s4
	v_and_b32_sdwa v1, v0, v86 dst_sel:DWORD dst_unused:UNUSED_PAD src0_sel:WORD_1 src1_sel:DWORD
	v_mov_b32_e32 v96, 0
	v_mov_b32_e32 v97, 0
	s_mov_b32 s4, exec_lo
	v_cmpx_ne_u16_e32 0, v1
	s_cbranch_execz .LBB339_65
; %bb.58:                               ;   in Loop: Header=BB339_9 Depth=1
	v_bfrev_b32_e32 v97, 1
	s_mov_b32 s31, exec_lo
	v_cmpx_ne_u16_e32 0x80, v1
	s_cbranch_execz .LBB339_64
; %bb.59:                               ;   in Loop: Header=BB339_9 Depth=1
	v_bfe_u32 v10, v0, 16, 7
	v_mov_b32_e32 v97, 0x7f800001
	s_mov_b32 s33, exec_lo
	v_cmpx_ne_u32_e32 0x7f, v10
	s_cbranch_execz .LBB339_63
; %bb.60:                               ;   in Loop: Header=BB339_9 Depth=1
	v_and_b32_sdwa v1, v0, v87 dst_sel:DWORD dst_unused:UNUSED_PAD src0_sel:WORD_1 src1_sel:DWORD
	v_lshrrev_b32_e32 v9, 3, v10
	s_mov_b32 s34, exec_lo
	v_cmpx_gt_u32_e32 8, v10
; %bb.61:                               ;   in Loop: Header=BB339_9 Depth=1
	v_ffbh_u32_e32 v9, v1
	v_min_u32_e32 v9, 32, v9
	v_subrev_nc_u32_e32 v10, 28, v9
	v_sub_nc_u32_e32 v9, 29, v9
	v_lshlrev_b64 v[10:11], v10, v[1:2]
	v_and_b32_e32 v1, 7, v10
; %bb.62:                               ;   in Loop: Header=BB339_9 Depth=1
	s_or_b32 exec_lo, exec_lo, s34
	v_lshlrev_b32_sdwa v10, v88, v0 dst_sel:DWORD dst_unused:UNUSED_PAD src0_sel:DWORD src1_sel:WORD_1
	v_lshlrev_b32_e32 v1, 20, v1
	v_lshl_add_u32 v9, v9, 23, 0x3c000000
	v_and_b32_e32 v10, 0x80000000, v10
	v_or3_b32 v97, v1, v10, v9
.LBB339_63:                             ;   in Loop: Header=BB339_9 Depth=1
	s_or_b32 exec_lo, exec_lo, s33
.LBB339_64:                             ;   in Loop: Header=BB339_9 Depth=1
	s_or_b32 exec_lo, exec_lo, s31
.LBB339_65:                             ;   in Loop: Header=BB339_9 Depth=1
	s_or_b32 exec_lo, exec_lo, s4
	s_mov_b32 s4, exec_lo
	v_cmpx_lt_u32_e32 0xffffff, v0
	s_cbranch_execz .LBB339_73
; %bb.66:                               ;   in Loop: Header=BB339_9 Depth=1
	v_cmp_ne_u32_sdwa s3, v0, v84 src0_sel:BYTE_3 src1_sel:DWORD
	v_bfrev_b32_e32 v96, 1
	s_and_saveexec_b32 s31, s3
	s_cbranch_execz .LBB339_72
; %bb.67:                               ;   in Loop: Header=BB339_9 Depth=1
	v_bfe_u32 v10, v0, 24, 7
	v_mov_b32_e32 v96, 0x7f800001
	s_mov_b32 s33, exec_lo
	v_cmpx_ne_u32_e32 0x7f, v10
	s_cbranch_execz .LBB339_71
; %bb.68:                               ;   in Loop: Header=BB339_9 Depth=1
	v_and_b32_sdwa v1, v0, v87 dst_sel:DWORD dst_unused:UNUSED_PAD src0_sel:BYTE_3 src1_sel:DWORD
	v_lshrrev_b32_e32 v9, 3, v10
	s_mov_b32 s34, exec_lo
	v_cmpx_gt_u32_e32 8, v10
; %bb.69:                               ;   in Loop: Header=BB339_9 Depth=1
	v_ffbh_u32_e32 v9, v1
	v_min_u32_e32 v9, 32, v9
	v_subrev_nc_u32_e32 v10, 28, v9
	v_sub_nc_u32_e32 v9, 29, v9
	v_lshlrev_b64 v[10:11], v10, v[1:2]
	v_and_b32_e32 v1, 7, v10
; %bb.70:                               ;   in Loop: Header=BB339_9 Depth=1
	s_or_b32 exec_lo, exec_lo, s34
	v_lshlrev_b32_sdwa v0, v88, v0 dst_sel:DWORD dst_unused:UNUSED_PAD src0_sel:DWORD src1_sel:BYTE_3
	v_lshlrev_b32_e32 v1, 20, v1
	v_lshl_add_u32 v9, v9, 23, 0x3c000000
	v_and_b32_e32 v0, 0x80000000, v0
	v_or3_b32 v96, v1, v0, v9
.LBB339_71:                             ;   in Loop: Header=BB339_9 Depth=1
	s_or_b32 exec_lo, exec_lo, s33
.LBB339_72:                             ;   in Loop: Header=BB339_9 Depth=1
	s_or_b32 exec_lo, exec_lo, s31
.LBB339_73:                             ;   in Loop: Header=BB339_9 Depth=1
	s_or_b32 exec_lo, exec_lo, s4
	global_load_dword v0, v[7:8], off offset:256
	v_mov_b32_e32 v99, 0
	v_mov_b32_e32 v98, 0
	s_waitcnt vmcnt(0)
	v_cmp_ne_u16_sdwa s3, v0, v2 src0_sel:BYTE_0 src1_sel:DWORD
	s_and_saveexec_b32 s4, s3
	s_cbranch_execz .LBB339_81
; %bb.74:                               ;   in Loop: Header=BB339_9 Depth=1
	v_cmp_ne_u16_sdwa s3, v0, v84 src0_sel:BYTE_0 src1_sel:DWORD
	v_bfrev_b32_e32 v98, 1
	s_and_saveexec_b32 s31, s3
	s_cbranch_execz .LBB339_80
; %bb.75:                               ;   in Loop: Header=BB339_9 Depth=1
	v_and_b32_e32 v10, 0x7f, v0
	v_mov_b32_e32 v98, 0x7f800001
	s_mov_b32 s33, exec_lo
	v_cmpx_ne_u32_e32 0x7f, v10
	s_cbranch_execz .LBB339_79
; %bb.76:                               ;   in Loop: Header=BB339_9 Depth=1
	v_and_b32_e32 v1, 7, v0
	v_lshrrev_b32_e32 v9, 3, v10
	s_mov_b32 s34, exec_lo
	v_cmpx_gt_u32_e32 8, v10
; %bb.77:                               ;   in Loop: Header=BB339_9 Depth=1
	v_ffbh_u32_e32 v9, v1
	v_min_u32_e32 v9, 32, v9
	v_subrev_nc_u32_e32 v10, 28, v9
	v_sub_nc_u32_e32 v9, 29, v9
	v_lshlrev_b64 v[10:11], v10, v[1:2]
	v_and_b32_e32 v1, 7, v10
; %bb.78:                               ;   in Loop: Header=BB339_9 Depth=1
	s_or_b32 exec_lo, exec_lo, s34
	v_lshlrev_b32_e32 v10, 24, v0
	v_lshlrev_b32_e32 v1, 20, v1
	v_lshl_add_u32 v9, v9, 23, 0x3c000000
	v_and_b32_e32 v10, 0x80000000, v10
	v_or3_b32 v98, v1, v10, v9
.LBB339_79:                             ;   in Loop: Header=BB339_9 Depth=1
	s_or_b32 exec_lo, exec_lo, s33
.LBB339_80:                             ;   in Loop: Header=BB339_9 Depth=1
	s_or_b32 exec_lo, exec_lo, s31
.LBB339_81:                             ;   in Loop: Header=BB339_9 Depth=1
	s_or_b32 exec_lo, exec_lo, s4
	v_cmp_ne_u16_sdwa s3, v0, v2 src0_sel:BYTE_1 src1_sel:DWORD
	s_and_saveexec_b32 s4, s3
	s_cbranch_execz .LBB339_89
; %bb.82:                               ;   in Loop: Header=BB339_9 Depth=1
	v_cmp_ne_u16_sdwa s3, v0, v84 src0_sel:BYTE_1 src1_sel:DWORD
	v_bfrev_b32_e32 v99, 1
	s_and_saveexec_b32 s31, s3
	s_cbranch_execz .LBB339_88
; %bb.83:                               ;   in Loop: Header=BB339_9 Depth=1
	v_and_b32_sdwa v1, v85, v0 dst_sel:DWORD dst_unused:UNUSED_PAD src0_sel:DWORD src1_sel:BYTE_1
	v_mov_b32_e32 v99, 0x7f800001
	s_mov_b32 s33, exec_lo
	v_and_b32_e32 v10, 0x7f, v1
	v_cmpx_ne_u32_e32 0x7f, v10
	s_cbranch_execz .LBB339_87
; %bb.84:                               ;   in Loop: Header=BB339_9 Depth=1
	v_and_b32_e32 v1, 7, v1
	v_lshrrev_b32_e32 v9, 3, v10
	s_mov_b32 s34, exec_lo
	v_cmpx_gt_u32_e32 8, v10
; %bb.85:                               ;   in Loop: Header=BB339_9 Depth=1
	v_ffbh_u32_e32 v9, v1
	v_min_u32_e32 v9, 32, v9
	v_subrev_nc_u32_e32 v10, 28, v9
	v_sub_nc_u32_e32 v9, 29, v9
	v_lshlrev_b64 v[10:11], v10, v[1:2]
	v_and_b32_e32 v1, 7, v10
; %bb.86:                               ;   in Loop: Header=BB339_9 Depth=1
	s_or_b32 exec_lo, exec_lo, s34
	v_lshlrev_b32_e32 v10, 16, v0
	v_lshlrev_b32_e32 v1, 20, v1
	v_lshl_add_u32 v9, v9, 23, 0x3c000000
	v_and_b32_e32 v10, 0x80000000, v10
	v_or3_b32 v99, v1, v10, v9
.LBB339_87:                             ;   in Loop: Header=BB339_9 Depth=1
	s_or_b32 exec_lo, exec_lo, s33
.LBB339_88:                             ;   in Loop: Header=BB339_9 Depth=1
	s_or_b32 exec_lo, exec_lo, s31
.LBB339_89:                             ;   in Loop: Header=BB339_9 Depth=1
	s_or_b32 exec_lo, exec_lo, s4
	v_and_b32_sdwa v1, v0, v86 dst_sel:DWORD dst_unused:UNUSED_PAD src0_sel:WORD_1 src1_sel:DWORD
	v_mov_b32_e32 v100, 0
	v_mov_b32_e32 v101, 0
	s_mov_b32 s4, exec_lo
	v_cmpx_ne_u16_e32 0, v1
	s_cbranch_execz .LBB339_97
; %bb.90:                               ;   in Loop: Header=BB339_9 Depth=1
	v_bfrev_b32_e32 v101, 1
	s_mov_b32 s31, exec_lo
	v_cmpx_ne_u16_e32 0x80, v1
	s_cbranch_execz .LBB339_96
; %bb.91:                               ;   in Loop: Header=BB339_9 Depth=1
	v_bfe_u32 v10, v0, 16, 7
	v_mov_b32_e32 v101, 0x7f800001
	s_mov_b32 s33, exec_lo
	v_cmpx_ne_u32_e32 0x7f, v10
	s_cbranch_execz .LBB339_95
; %bb.92:                               ;   in Loop: Header=BB339_9 Depth=1
	v_and_b32_sdwa v1, v0, v87 dst_sel:DWORD dst_unused:UNUSED_PAD src0_sel:WORD_1 src1_sel:DWORD
	v_lshrrev_b32_e32 v9, 3, v10
	s_mov_b32 s34, exec_lo
	v_cmpx_gt_u32_e32 8, v10
; %bb.93:                               ;   in Loop: Header=BB339_9 Depth=1
	v_ffbh_u32_e32 v9, v1
	v_min_u32_e32 v9, 32, v9
	v_subrev_nc_u32_e32 v10, 28, v9
	v_sub_nc_u32_e32 v9, 29, v9
	v_lshlrev_b64 v[10:11], v10, v[1:2]
	v_and_b32_e32 v1, 7, v10
; %bb.94:                               ;   in Loop: Header=BB339_9 Depth=1
	s_or_b32 exec_lo, exec_lo, s34
	v_lshlrev_b32_sdwa v10, v88, v0 dst_sel:DWORD dst_unused:UNUSED_PAD src0_sel:DWORD src1_sel:WORD_1
	v_lshlrev_b32_e32 v1, 20, v1
	v_lshl_add_u32 v9, v9, 23, 0x3c000000
	v_and_b32_e32 v10, 0x80000000, v10
	v_or3_b32 v101, v1, v10, v9
.LBB339_95:                             ;   in Loop: Header=BB339_9 Depth=1
	s_or_b32 exec_lo, exec_lo, s33
.LBB339_96:                             ;   in Loop: Header=BB339_9 Depth=1
	s_or_b32 exec_lo, exec_lo, s31
.LBB339_97:                             ;   in Loop: Header=BB339_9 Depth=1
	s_or_b32 exec_lo, exec_lo, s4
	s_mov_b32 s4, exec_lo
	v_cmpx_lt_u32_e32 0xffffff, v0
	s_cbranch_execz .LBB339_105
; %bb.98:                               ;   in Loop: Header=BB339_9 Depth=1
	v_cmp_ne_u32_sdwa s3, v0, v84 src0_sel:BYTE_3 src1_sel:DWORD
	v_bfrev_b32_e32 v100, 1
	s_and_saveexec_b32 s31, s3
	s_cbranch_execz .LBB339_104
; %bb.99:                               ;   in Loop: Header=BB339_9 Depth=1
	v_bfe_u32 v10, v0, 24, 7
	v_mov_b32_e32 v100, 0x7f800001
	s_mov_b32 s33, exec_lo
	v_cmpx_ne_u32_e32 0x7f, v10
	s_cbranch_execz .LBB339_103
; %bb.100:                              ;   in Loop: Header=BB339_9 Depth=1
	v_and_b32_sdwa v1, v0, v87 dst_sel:DWORD dst_unused:UNUSED_PAD src0_sel:BYTE_3 src1_sel:DWORD
	v_lshrrev_b32_e32 v9, 3, v10
	s_mov_b32 s34, exec_lo
	v_cmpx_gt_u32_e32 8, v10
; %bb.101:                              ;   in Loop: Header=BB339_9 Depth=1
	v_ffbh_u32_e32 v9, v1
	v_min_u32_e32 v9, 32, v9
	v_subrev_nc_u32_e32 v10, 28, v9
	v_sub_nc_u32_e32 v9, 29, v9
	v_lshlrev_b64 v[10:11], v10, v[1:2]
	v_and_b32_e32 v1, 7, v10
; %bb.102:                              ;   in Loop: Header=BB339_9 Depth=1
	s_or_b32 exec_lo, exec_lo, s34
	v_lshlrev_b32_sdwa v0, v88, v0 dst_sel:DWORD dst_unused:UNUSED_PAD src0_sel:DWORD src1_sel:BYTE_3
	v_lshlrev_b32_e32 v1, 20, v1
	v_lshl_add_u32 v9, v9, 23, 0x3c000000
	v_and_b32_e32 v0, 0x80000000, v0
	v_or3_b32 v100, v1, v0, v9
.LBB339_103:                            ;   in Loop: Header=BB339_9 Depth=1
	s_or_b32 exec_lo, exec_lo, s33
.LBB339_104:                            ;   in Loop: Header=BB339_9 Depth=1
	s_or_b32 exec_lo, exec_lo, s31
.LBB339_105:                            ;   in Loop: Header=BB339_9 Depth=1
	s_or_b32 exec_lo, exec_lo, s4
	global_load_dword v0, v[7:8], off offset:264
	v_mov_b32_e32 v103, 0
	v_mov_b32_e32 v102, 0
	s_waitcnt vmcnt(0)
	v_cmp_ne_u16_sdwa s3, v0, v2 src0_sel:BYTE_0 src1_sel:DWORD
	s_and_saveexec_b32 s4, s3
	s_cbranch_execz .LBB339_113
; %bb.106:                              ;   in Loop: Header=BB339_9 Depth=1
	v_cmp_ne_u16_sdwa s3, v0, v84 src0_sel:BYTE_0 src1_sel:DWORD
	v_bfrev_b32_e32 v102, 1
	s_and_saveexec_b32 s31, s3
	s_cbranch_execz .LBB339_112
; %bb.107:                              ;   in Loop: Header=BB339_9 Depth=1
	v_and_b32_e32 v10, 0x7f, v0
	v_mov_b32_e32 v102, 0x7f800001
	s_mov_b32 s33, exec_lo
	v_cmpx_ne_u32_e32 0x7f, v10
	s_cbranch_execz .LBB339_111
; %bb.108:                              ;   in Loop: Header=BB339_9 Depth=1
	v_and_b32_e32 v1, 7, v0
	v_lshrrev_b32_e32 v9, 3, v10
	s_mov_b32 s34, exec_lo
	v_cmpx_gt_u32_e32 8, v10
; %bb.109:                              ;   in Loop: Header=BB339_9 Depth=1
	v_ffbh_u32_e32 v9, v1
	v_min_u32_e32 v9, 32, v9
	v_subrev_nc_u32_e32 v10, 28, v9
	v_sub_nc_u32_e32 v9, 29, v9
	v_lshlrev_b64 v[10:11], v10, v[1:2]
	v_and_b32_e32 v1, 7, v10
; %bb.110:                              ;   in Loop: Header=BB339_9 Depth=1
	s_or_b32 exec_lo, exec_lo, s34
	v_lshlrev_b32_e32 v10, 24, v0
	v_lshlrev_b32_e32 v1, 20, v1
	v_lshl_add_u32 v9, v9, 23, 0x3c000000
	v_and_b32_e32 v10, 0x80000000, v10
	v_or3_b32 v102, v1, v10, v9
.LBB339_111:                            ;   in Loop: Header=BB339_9 Depth=1
	s_or_b32 exec_lo, exec_lo, s33
.LBB339_112:                            ;   in Loop: Header=BB339_9 Depth=1
	s_or_b32 exec_lo, exec_lo, s31
.LBB339_113:                            ;   in Loop: Header=BB339_9 Depth=1
	s_or_b32 exec_lo, exec_lo, s4
	v_cmp_ne_u16_sdwa s3, v0, v2 src0_sel:BYTE_1 src1_sel:DWORD
	s_and_saveexec_b32 s4, s3
	s_cbranch_execz .LBB339_121
; %bb.114:                              ;   in Loop: Header=BB339_9 Depth=1
	v_cmp_ne_u16_sdwa s3, v0, v84 src0_sel:BYTE_1 src1_sel:DWORD
	v_bfrev_b32_e32 v103, 1
	s_and_saveexec_b32 s31, s3
	s_cbranch_execz .LBB339_120
; %bb.115:                              ;   in Loop: Header=BB339_9 Depth=1
	v_and_b32_sdwa v1, v85, v0 dst_sel:DWORD dst_unused:UNUSED_PAD src0_sel:DWORD src1_sel:BYTE_1
	v_mov_b32_e32 v103, 0x7f800001
	s_mov_b32 s33, exec_lo
	v_and_b32_e32 v10, 0x7f, v1
	v_cmpx_ne_u32_e32 0x7f, v10
	s_cbranch_execz .LBB339_119
; %bb.116:                              ;   in Loop: Header=BB339_9 Depth=1
	v_and_b32_e32 v1, 7, v1
	v_lshrrev_b32_e32 v9, 3, v10
	s_mov_b32 s34, exec_lo
	v_cmpx_gt_u32_e32 8, v10
; %bb.117:                              ;   in Loop: Header=BB339_9 Depth=1
	v_ffbh_u32_e32 v9, v1
	v_min_u32_e32 v9, 32, v9
	v_subrev_nc_u32_e32 v10, 28, v9
	v_sub_nc_u32_e32 v9, 29, v9
	v_lshlrev_b64 v[10:11], v10, v[1:2]
	v_and_b32_e32 v1, 7, v10
; %bb.118:                              ;   in Loop: Header=BB339_9 Depth=1
	s_or_b32 exec_lo, exec_lo, s34
	v_lshlrev_b32_e32 v10, 16, v0
	v_lshlrev_b32_e32 v1, 20, v1
	v_lshl_add_u32 v9, v9, 23, 0x3c000000
	v_and_b32_e32 v10, 0x80000000, v10
	v_or3_b32 v103, v1, v10, v9
.LBB339_119:                            ;   in Loop: Header=BB339_9 Depth=1
	s_or_b32 exec_lo, exec_lo, s33
.LBB339_120:                            ;   in Loop: Header=BB339_9 Depth=1
	s_or_b32 exec_lo, exec_lo, s31
.LBB339_121:                            ;   in Loop: Header=BB339_9 Depth=1
	s_or_b32 exec_lo, exec_lo, s4
	v_and_b32_sdwa v1, v0, v86 dst_sel:DWORD dst_unused:UNUSED_PAD src0_sel:WORD_1 src1_sel:DWORD
	v_mov_b32_e32 v104, 0
	v_mov_b32_e32 v105, 0
	s_mov_b32 s4, exec_lo
	v_cmpx_ne_u16_e32 0, v1
	s_cbranch_execz .LBB339_129
; %bb.122:                              ;   in Loop: Header=BB339_9 Depth=1
	v_bfrev_b32_e32 v105, 1
	s_mov_b32 s31, exec_lo
	v_cmpx_ne_u16_e32 0x80, v1
	s_cbranch_execz .LBB339_128
; %bb.123:                              ;   in Loop: Header=BB339_9 Depth=1
	v_bfe_u32 v10, v0, 16, 7
	v_mov_b32_e32 v105, 0x7f800001
	s_mov_b32 s33, exec_lo
	v_cmpx_ne_u32_e32 0x7f, v10
	s_cbranch_execz .LBB339_127
; %bb.124:                              ;   in Loop: Header=BB339_9 Depth=1
	v_and_b32_sdwa v1, v0, v87 dst_sel:DWORD dst_unused:UNUSED_PAD src0_sel:WORD_1 src1_sel:DWORD
	v_lshrrev_b32_e32 v9, 3, v10
	s_mov_b32 s34, exec_lo
	v_cmpx_gt_u32_e32 8, v10
; %bb.125:                              ;   in Loop: Header=BB339_9 Depth=1
	v_ffbh_u32_e32 v9, v1
	v_min_u32_e32 v9, 32, v9
	v_subrev_nc_u32_e32 v10, 28, v9
	v_sub_nc_u32_e32 v9, 29, v9
	v_lshlrev_b64 v[10:11], v10, v[1:2]
	v_and_b32_e32 v1, 7, v10
; %bb.126:                              ;   in Loop: Header=BB339_9 Depth=1
	s_or_b32 exec_lo, exec_lo, s34
	v_lshlrev_b32_sdwa v10, v88, v0 dst_sel:DWORD dst_unused:UNUSED_PAD src0_sel:DWORD src1_sel:WORD_1
	v_lshlrev_b32_e32 v1, 20, v1
	v_lshl_add_u32 v9, v9, 23, 0x3c000000
	v_and_b32_e32 v10, 0x80000000, v10
	v_or3_b32 v105, v1, v10, v9
.LBB339_127:                            ;   in Loop: Header=BB339_9 Depth=1
	s_or_b32 exec_lo, exec_lo, s33
.LBB339_128:                            ;   in Loop: Header=BB339_9 Depth=1
	s_or_b32 exec_lo, exec_lo, s31
.LBB339_129:                            ;   in Loop: Header=BB339_9 Depth=1
	s_or_b32 exec_lo, exec_lo, s4
	s_mov_b32 s4, exec_lo
	v_cmpx_lt_u32_e32 0xffffff, v0
	s_cbranch_execz .LBB339_137
; %bb.130:                              ;   in Loop: Header=BB339_9 Depth=1
	v_cmp_ne_u32_sdwa s3, v0, v84 src0_sel:BYTE_3 src1_sel:DWORD
	v_bfrev_b32_e32 v104, 1
	s_and_saveexec_b32 s31, s3
	s_cbranch_execz .LBB339_136
; %bb.131:                              ;   in Loop: Header=BB339_9 Depth=1
	v_bfe_u32 v10, v0, 24, 7
	v_mov_b32_e32 v104, 0x7f800001
	s_mov_b32 s33, exec_lo
	v_cmpx_ne_u32_e32 0x7f, v10
	s_cbranch_execz .LBB339_135
; %bb.132:                              ;   in Loop: Header=BB339_9 Depth=1
	v_and_b32_sdwa v1, v0, v87 dst_sel:DWORD dst_unused:UNUSED_PAD src0_sel:BYTE_3 src1_sel:DWORD
	v_lshrrev_b32_e32 v9, 3, v10
	s_mov_b32 s34, exec_lo
	v_cmpx_gt_u32_e32 8, v10
; %bb.133:                              ;   in Loop: Header=BB339_9 Depth=1
	v_ffbh_u32_e32 v9, v1
	v_min_u32_e32 v9, 32, v9
	v_subrev_nc_u32_e32 v10, 28, v9
	v_sub_nc_u32_e32 v9, 29, v9
	v_lshlrev_b64 v[10:11], v10, v[1:2]
	v_and_b32_e32 v1, 7, v10
; %bb.134:                              ;   in Loop: Header=BB339_9 Depth=1
	s_or_b32 exec_lo, exec_lo, s34
	v_lshlrev_b32_sdwa v0, v88, v0 dst_sel:DWORD dst_unused:UNUSED_PAD src0_sel:DWORD src1_sel:BYTE_3
	v_lshlrev_b32_e32 v1, 20, v1
	v_lshl_add_u32 v9, v9, 23, 0x3c000000
	v_and_b32_e32 v0, 0x80000000, v0
	v_or3_b32 v104, v1, v0, v9
.LBB339_135:                            ;   in Loop: Header=BB339_9 Depth=1
	s_or_b32 exec_lo, exec_lo, s33
.LBB339_136:                            ;   in Loop: Header=BB339_9 Depth=1
	s_or_b32 exec_lo, exec_lo, s31
.LBB339_137:                            ;   in Loop: Header=BB339_9 Depth=1
	s_or_b32 exec_lo, exec_lo, s4
	global_load_dword v0, v[7:8], off offset:512
	v_mov_b32_e32 v107, 0
	v_mov_b32_e32 v106, 0
	s_waitcnt vmcnt(0)
	v_cmp_ne_u16_sdwa s3, v0, v2 src0_sel:BYTE_0 src1_sel:DWORD
	s_and_saveexec_b32 s4, s3
	s_cbranch_execz .LBB339_145
; %bb.138:                              ;   in Loop: Header=BB339_9 Depth=1
	v_cmp_ne_u16_sdwa s3, v0, v84 src0_sel:BYTE_0 src1_sel:DWORD
	v_bfrev_b32_e32 v106, 1
	s_and_saveexec_b32 s31, s3
	s_cbranch_execz .LBB339_144
; %bb.139:                              ;   in Loop: Header=BB339_9 Depth=1
	v_and_b32_e32 v10, 0x7f, v0
	v_mov_b32_e32 v106, 0x7f800001
	s_mov_b32 s33, exec_lo
	v_cmpx_ne_u32_e32 0x7f, v10
	s_cbranch_execz .LBB339_143
; %bb.140:                              ;   in Loop: Header=BB339_9 Depth=1
	v_and_b32_e32 v1, 7, v0
	v_lshrrev_b32_e32 v9, 3, v10
	s_mov_b32 s34, exec_lo
	v_cmpx_gt_u32_e32 8, v10
; %bb.141:                              ;   in Loop: Header=BB339_9 Depth=1
	v_ffbh_u32_e32 v9, v1
	v_min_u32_e32 v9, 32, v9
	v_subrev_nc_u32_e32 v10, 28, v9
	v_sub_nc_u32_e32 v9, 29, v9
	v_lshlrev_b64 v[10:11], v10, v[1:2]
	v_and_b32_e32 v1, 7, v10
; %bb.142:                              ;   in Loop: Header=BB339_9 Depth=1
	s_or_b32 exec_lo, exec_lo, s34
	v_lshlrev_b32_e32 v10, 24, v0
	v_lshlrev_b32_e32 v1, 20, v1
	v_lshl_add_u32 v9, v9, 23, 0x3c000000
	v_and_b32_e32 v10, 0x80000000, v10
	v_or3_b32 v106, v1, v10, v9
.LBB339_143:                            ;   in Loop: Header=BB339_9 Depth=1
	s_or_b32 exec_lo, exec_lo, s33
.LBB339_144:                            ;   in Loop: Header=BB339_9 Depth=1
	s_or_b32 exec_lo, exec_lo, s31
.LBB339_145:                            ;   in Loop: Header=BB339_9 Depth=1
	s_or_b32 exec_lo, exec_lo, s4
	v_cmp_ne_u16_sdwa s3, v0, v2 src0_sel:BYTE_1 src1_sel:DWORD
	s_and_saveexec_b32 s4, s3
	s_cbranch_execz .LBB339_153
; %bb.146:                              ;   in Loop: Header=BB339_9 Depth=1
	v_cmp_ne_u16_sdwa s3, v0, v84 src0_sel:BYTE_1 src1_sel:DWORD
	v_bfrev_b32_e32 v107, 1
	s_and_saveexec_b32 s31, s3
	s_cbranch_execz .LBB339_152
; %bb.147:                              ;   in Loop: Header=BB339_9 Depth=1
	v_and_b32_sdwa v1, v85, v0 dst_sel:DWORD dst_unused:UNUSED_PAD src0_sel:DWORD src1_sel:BYTE_1
	v_mov_b32_e32 v107, 0x7f800001
	s_mov_b32 s33, exec_lo
	v_and_b32_e32 v10, 0x7f, v1
	v_cmpx_ne_u32_e32 0x7f, v10
	s_cbranch_execz .LBB339_151
; %bb.148:                              ;   in Loop: Header=BB339_9 Depth=1
	v_and_b32_e32 v1, 7, v1
	v_lshrrev_b32_e32 v9, 3, v10
	s_mov_b32 s34, exec_lo
	v_cmpx_gt_u32_e32 8, v10
; %bb.149:                              ;   in Loop: Header=BB339_9 Depth=1
	v_ffbh_u32_e32 v9, v1
	v_min_u32_e32 v9, 32, v9
	v_subrev_nc_u32_e32 v10, 28, v9
	v_sub_nc_u32_e32 v9, 29, v9
	v_lshlrev_b64 v[10:11], v10, v[1:2]
	v_and_b32_e32 v1, 7, v10
; %bb.150:                              ;   in Loop: Header=BB339_9 Depth=1
	s_or_b32 exec_lo, exec_lo, s34
	v_lshlrev_b32_e32 v10, 16, v0
	v_lshlrev_b32_e32 v1, 20, v1
	v_lshl_add_u32 v9, v9, 23, 0x3c000000
	v_and_b32_e32 v10, 0x80000000, v10
	v_or3_b32 v107, v1, v10, v9
.LBB339_151:                            ;   in Loop: Header=BB339_9 Depth=1
	s_or_b32 exec_lo, exec_lo, s33
.LBB339_152:                            ;   in Loop: Header=BB339_9 Depth=1
	s_or_b32 exec_lo, exec_lo, s31
.LBB339_153:                            ;   in Loop: Header=BB339_9 Depth=1
	s_or_b32 exec_lo, exec_lo, s4
	v_and_b32_sdwa v1, v0, v86 dst_sel:DWORD dst_unused:UNUSED_PAD src0_sel:WORD_1 src1_sel:DWORD
	v_mov_b32_e32 v108, 0
	v_mov_b32_e32 v109, 0
	s_mov_b32 s4, exec_lo
	v_cmpx_ne_u16_e32 0, v1
	s_cbranch_execz .LBB339_161
; %bb.154:                              ;   in Loop: Header=BB339_9 Depth=1
	v_bfrev_b32_e32 v109, 1
	s_mov_b32 s31, exec_lo
	v_cmpx_ne_u16_e32 0x80, v1
	s_cbranch_execz .LBB339_160
; %bb.155:                              ;   in Loop: Header=BB339_9 Depth=1
	v_bfe_u32 v10, v0, 16, 7
	v_mov_b32_e32 v109, 0x7f800001
	s_mov_b32 s33, exec_lo
	v_cmpx_ne_u32_e32 0x7f, v10
	s_cbranch_execz .LBB339_159
; %bb.156:                              ;   in Loop: Header=BB339_9 Depth=1
	v_and_b32_sdwa v1, v0, v87 dst_sel:DWORD dst_unused:UNUSED_PAD src0_sel:WORD_1 src1_sel:DWORD
	v_lshrrev_b32_e32 v9, 3, v10
	s_mov_b32 s34, exec_lo
	v_cmpx_gt_u32_e32 8, v10
; %bb.157:                              ;   in Loop: Header=BB339_9 Depth=1
	v_ffbh_u32_e32 v9, v1
	v_min_u32_e32 v9, 32, v9
	v_subrev_nc_u32_e32 v10, 28, v9
	v_sub_nc_u32_e32 v9, 29, v9
	v_lshlrev_b64 v[10:11], v10, v[1:2]
	v_and_b32_e32 v1, 7, v10
; %bb.158:                              ;   in Loop: Header=BB339_9 Depth=1
	s_or_b32 exec_lo, exec_lo, s34
	v_lshlrev_b32_sdwa v10, v88, v0 dst_sel:DWORD dst_unused:UNUSED_PAD src0_sel:DWORD src1_sel:WORD_1
	v_lshlrev_b32_e32 v1, 20, v1
	v_lshl_add_u32 v9, v9, 23, 0x3c000000
	v_and_b32_e32 v10, 0x80000000, v10
	v_or3_b32 v109, v1, v10, v9
.LBB339_159:                            ;   in Loop: Header=BB339_9 Depth=1
	s_or_b32 exec_lo, exec_lo, s33
.LBB339_160:                            ;   in Loop: Header=BB339_9 Depth=1
	s_or_b32 exec_lo, exec_lo, s31
.LBB339_161:                            ;   in Loop: Header=BB339_9 Depth=1
	s_or_b32 exec_lo, exec_lo, s4
	s_mov_b32 s4, exec_lo
	v_cmpx_lt_u32_e32 0xffffff, v0
	s_cbranch_execz .LBB339_169
; %bb.162:                              ;   in Loop: Header=BB339_9 Depth=1
	v_cmp_ne_u32_sdwa s3, v0, v84 src0_sel:BYTE_3 src1_sel:DWORD
	v_bfrev_b32_e32 v108, 1
	s_and_saveexec_b32 s31, s3
	s_cbranch_execz .LBB339_168
; %bb.163:                              ;   in Loop: Header=BB339_9 Depth=1
	v_bfe_u32 v10, v0, 24, 7
	v_mov_b32_e32 v108, 0x7f800001
	s_mov_b32 s33, exec_lo
	v_cmpx_ne_u32_e32 0x7f, v10
	s_cbranch_execz .LBB339_167
; %bb.164:                              ;   in Loop: Header=BB339_9 Depth=1
	v_and_b32_sdwa v1, v0, v87 dst_sel:DWORD dst_unused:UNUSED_PAD src0_sel:BYTE_3 src1_sel:DWORD
	v_lshrrev_b32_e32 v9, 3, v10
	s_mov_b32 s34, exec_lo
	v_cmpx_gt_u32_e32 8, v10
; %bb.165:                              ;   in Loop: Header=BB339_9 Depth=1
	v_ffbh_u32_e32 v9, v1
	v_min_u32_e32 v9, 32, v9
	v_subrev_nc_u32_e32 v10, 28, v9
	v_sub_nc_u32_e32 v9, 29, v9
	v_lshlrev_b64 v[10:11], v10, v[1:2]
	v_and_b32_e32 v1, 7, v10
; %bb.166:                              ;   in Loop: Header=BB339_9 Depth=1
	s_or_b32 exec_lo, exec_lo, s34
	v_lshlrev_b32_sdwa v0, v88, v0 dst_sel:DWORD dst_unused:UNUSED_PAD src0_sel:DWORD src1_sel:BYTE_3
	v_lshlrev_b32_e32 v1, 20, v1
	v_lshl_add_u32 v9, v9, 23, 0x3c000000
	v_and_b32_e32 v0, 0x80000000, v0
	v_or3_b32 v108, v1, v0, v9
.LBB339_167:                            ;   in Loop: Header=BB339_9 Depth=1
	s_or_b32 exec_lo, exec_lo, s33
.LBB339_168:                            ;   in Loop: Header=BB339_9 Depth=1
	s_or_b32 exec_lo, exec_lo, s31
.LBB339_169:                            ;   in Loop: Header=BB339_9 Depth=1
	s_or_b32 exec_lo, exec_lo, s4
	global_load_dword v0, v[7:8], off offset:520
	v_mov_b32_e32 v111, 0
	v_mov_b32_e32 v110, 0
	s_waitcnt vmcnt(0)
	v_cmp_ne_u16_sdwa s3, v0, v2 src0_sel:BYTE_0 src1_sel:DWORD
	s_and_saveexec_b32 s4, s3
	s_cbranch_execz .LBB339_177
; %bb.170:                              ;   in Loop: Header=BB339_9 Depth=1
	v_cmp_ne_u16_sdwa s3, v0, v84 src0_sel:BYTE_0 src1_sel:DWORD
	v_bfrev_b32_e32 v110, 1
	s_and_saveexec_b32 s31, s3
	s_cbranch_execz .LBB339_176
; %bb.171:                              ;   in Loop: Header=BB339_9 Depth=1
	v_and_b32_e32 v10, 0x7f, v0
	v_mov_b32_e32 v110, 0x7f800001
	s_mov_b32 s33, exec_lo
	v_cmpx_ne_u32_e32 0x7f, v10
	s_cbranch_execz .LBB339_175
; %bb.172:                              ;   in Loop: Header=BB339_9 Depth=1
	v_and_b32_e32 v1, 7, v0
	v_lshrrev_b32_e32 v9, 3, v10
	s_mov_b32 s34, exec_lo
	v_cmpx_gt_u32_e32 8, v10
; %bb.173:                              ;   in Loop: Header=BB339_9 Depth=1
	v_ffbh_u32_e32 v9, v1
	v_min_u32_e32 v9, 32, v9
	v_subrev_nc_u32_e32 v10, 28, v9
	v_sub_nc_u32_e32 v9, 29, v9
	v_lshlrev_b64 v[10:11], v10, v[1:2]
	v_and_b32_e32 v1, 7, v10
; %bb.174:                              ;   in Loop: Header=BB339_9 Depth=1
	s_or_b32 exec_lo, exec_lo, s34
	v_lshlrev_b32_e32 v10, 24, v0
	v_lshlrev_b32_e32 v1, 20, v1
	v_lshl_add_u32 v9, v9, 23, 0x3c000000
	v_and_b32_e32 v10, 0x80000000, v10
	v_or3_b32 v110, v1, v10, v9
.LBB339_175:                            ;   in Loop: Header=BB339_9 Depth=1
	s_or_b32 exec_lo, exec_lo, s33
.LBB339_176:                            ;   in Loop: Header=BB339_9 Depth=1
	s_or_b32 exec_lo, exec_lo, s31
.LBB339_177:                            ;   in Loop: Header=BB339_9 Depth=1
	s_or_b32 exec_lo, exec_lo, s4
	v_cmp_ne_u16_sdwa s3, v0, v2 src0_sel:BYTE_1 src1_sel:DWORD
	s_and_saveexec_b32 s4, s3
	s_cbranch_execz .LBB339_185
; %bb.178:                              ;   in Loop: Header=BB339_9 Depth=1
	v_cmp_ne_u16_sdwa s3, v0, v84 src0_sel:BYTE_1 src1_sel:DWORD
	v_bfrev_b32_e32 v111, 1
	s_and_saveexec_b32 s31, s3
	s_cbranch_execz .LBB339_184
; %bb.179:                              ;   in Loop: Header=BB339_9 Depth=1
	v_and_b32_sdwa v1, v85, v0 dst_sel:DWORD dst_unused:UNUSED_PAD src0_sel:DWORD src1_sel:BYTE_1
	v_mov_b32_e32 v111, 0x7f800001
	s_mov_b32 s33, exec_lo
	v_and_b32_e32 v10, 0x7f, v1
	v_cmpx_ne_u32_e32 0x7f, v10
	s_cbranch_execz .LBB339_183
; %bb.180:                              ;   in Loop: Header=BB339_9 Depth=1
	v_and_b32_e32 v1, 7, v1
	v_lshrrev_b32_e32 v9, 3, v10
	s_mov_b32 s34, exec_lo
	v_cmpx_gt_u32_e32 8, v10
; %bb.181:                              ;   in Loop: Header=BB339_9 Depth=1
	v_ffbh_u32_e32 v9, v1
	v_min_u32_e32 v9, 32, v9
	v_subrev_nc_u32_e32 v10, 28, v9
	v_sub_nc_u32_e32 v9, 29, v9
	v_lshlrev_b64 v[10:11], v10, v[1:2]
	v_and_b32_e32 v1, 7, v10
; %bb.182:                              ;   in Loop: Header=BB339_9 Depth=1
	s_or_b32 exec_lo, exec_lo, s34
	v_lshlrev_b32_e32 v10, 16, v0
	v_lshlrev_b32_e32 v1, 20, v1
	v_lshl_add_u32 v9, v9, 23, 0x3c000000
	v_and_b32_e32 v10, 0x80000000, v10
	v_or3_b32 v111, v1, v10, v9
.LBB339_183:                            ;   in Loop: Header=BB339_9 Depth=1
	s_or_b32 exec_lo, exec_lo, s33
.LBB339_184:                            ;   in Loop: Header=BB339_9 Depth=1
	s_or_b32 exec_lo, exec_lo, s31
.LBB339_185:                            ;   in Loop: Header=BB339_9 Depth=1
	s_or_b32 exec_lo, exec_lo, s4
	v_and_b32_sdwa v1, v0, v86 dst_sel:DWORD dst_unused:UNUSED_PAD src0_sel:WORD_1 src1_sel:DWORD
	v_mov_b32_e32 v112, 0
	v_mov_b32_e32 v113, 0
	s_mov_b32 s4, exec_lo
	v_cmpx_ne_u16_e32 0, v1
	s_cbranch_execz .LBB339_193
; %bb.186:                              ;   in Loop: Header=BB339_9 Depth=1
	v_bfrev_b32_e32 v113, 1
	s_mov_b32 s31, exec_lo
	v_cmpx_ne_u16_e32 0x80, v1
	s_cbranch_execz .LBB339_192
; %bb.187:                              ;   in Loop: Header=BB339_9 Depth=1
	v_bfe_u32 v10, v0, 16, 7
	v_mov_b32_e32 v113, 0x7f800001
	s_mov_b32 s33, exec_lo
	v_cmpx_ne_u32_e32 0x7f, v10
	s_cbranch_execz .LBB339_191
; %bb.188:                              ;   in Loop: Header=BB339_9 Depth=1
	v_and_b32_sdwa v1, v0, v87 dst_sel:DWORD dst_unused:UNUSED_PAD src0_sel:WORD_1 src1_sel:DWORD
	v_lshrrev_b32_e32 v9, 3, v10
	s_mov_b32 s34, exec_lo
	v_cmpx_gt_u32_e32 8, v10
; %bb.189:                              ;   in Loop: Header=BB339_9 Depth=1
	v_ffbh_u32_e32 v9, v1
	v_min_u32_e32 v9, 32, v9
	v_subrev_nc_u32_e32 v10, 28, v9
	v_sub_nc_u32_e32 v9, 29, v9
	v_lshlrev_b64 v[10:11], v10, v[1:2]
	v_and_b32_e32 v1, 7, v10
; %bb.190:                              ;   in Loop: Header=BB339_9 Depth=1
	s_or_b32 exec_lo, exec_lo, s34
	v_lshlrev_b32_sdwa v10, v88, v0 dst_sel:DWORD dst_unused:UNUSED_PAD src0_sel:DWORD src1_sel:WORD_1
	v_lshlrev_b32_e32 v1, 20, v1
	v_lshl_add_u32 v9, v9, 23, 0x3c000000
	v_and_b32_e32 v10, 0x80000000, v10
	v_or3_b32 v113, v1, v10, v9
.LBB339_191:                            ;   in Loop: Header=BB339_9 Depth=1
	s_or_b32 exec_lo, exec_lo, s33
.LBB339_192:                            ;   in Loop: Header=BB339_9 Depth=1
	s_or_b32 exec_lo, exec_lo, s31
.LBB339_193:                            ;   in Loop: Header=BB339_9 Depth=1
	s_or_b32 exec_lo, exec_lo, s4
	s_mov_b32 s4, exec_lo
	v_cmpx_lt_u32_e32 0xffffff, v0
	s_cbranch_execz .LBB339_201
; %bb.194:                              ;   in Loop: Header=BB339_9 Depth=1
	v_cmp_ne_u32_sdwa s3, v0, v84 src0_sel:BYTE_3 src1_sel:DWORD
	v_bfrev_b32_e32 v112, 1
	s_and_saveexec_b32 s31, s3
	s_cbranch_execz .LBB339_200
; %bb.195:                              ;   in Loop: Header=BB339_9 Depth=1
	v_bfe_u32 v10, v0, 24, 7
	v_mov_b32_e32 v112, 0x7f800001
	s_mov_b32 s33, exec_lo
	v_cmpx_ne_u32_e32 0x7f, v10
	s_cbranch_execz .LBB339_199
; %bb.196:                              ;   in Loop: Header=BB339_9 Depth=1
	v_and_b32_sdwa v1, v0, v87 dst_sel:DWORD dst_unused:UNUSED_PAD src0_sel:BYTE_3 src1_sel:DWORD
	v_lshrrev_b32_e32 v9, 3, v10
	s_mov_b32 s34, exec_lo
	v_cmpx_gt_u32_e32 8, v10
; %bb.197:                              ;   in Loop: Header=BB339_9 Depth=1
	v_ffbh_u32_e32 v9, v1
	v_min_u32_e32 v9, 32, v9
	v_subrev_nc_u32_e32 v10, 28, v9
	v_sub_nc_u32_e32 v9, 29, v9
	v_lshlrev_b64 v[10:11], v10, v[1:2]
	v_and_b32_e32 v1, 7, v10
; %bb.198:                              ;   in Loop: Header=BB339_9 Depth=1
	s_or_b32 exec_lo, exec_lo, s34
	v_lshlrev_b32_sdwa v0, v88, v0 dst_sel:DWORD dst_unused:UNUSED_PAD src0_sel:DWORD src1_sel:BYTE_3
	v_lshlrev_b32_e32 v1, 20, v1
	v_lshl_add_u32 v9, v9, 23, 0x3c000000
	v_and_b32_e32 v0, 0x80000000, v0
	v_or3_b32 v112, v1, v0, v9
.LBB339_199:                            ;   in Loop: Header=BB339_9 Depth=1
	s_or_b32 exec_lo, exec_lo, s33
.LBB339_200:                            ;   in Loop: Header=BB339_9 Depth=1
	s_or_b32 exec_lo, exec_lo, s31
.LBB339_201:                            ;   in Loop: Header=BB339_9 Depth=1
	s_or_b32 exec_lo, exec_lo, s4
	global_load_dword v0, v[7:8], off offset:768
	v_mov_b32_e32 v115, 0
	v_mov_b32_e32 v114, 0
	s_waitcnt vmcnt(0)
	v_cmp_ne_u16_sdwa s3, v0, v2 src0_sel:BYTE_0 src1_sel:DWORD
	s_and_saveexec_b32 s4, s3
	s_cbranch_execz .LBB339_209
; %bb.202:                              ;   in Loop: Header=BB339_9 Depth=1
	v_cmp_ne_u16_sdwa s3, v0, v84 src0_sel:BYTE_0 src1_sel:DWORD
	v_bfrev_b32_e32 v114, 1
	s_and_saveexec_b32 s31, s3
	s_cbranch_execz .LBB339_208
; %bb.203:                              ;   in Loop: Header=BB339_9 Depth=1
	v_and_b32_e32 v10, 0x7f, v0
	v_mov_b32_e32 v114, 0x7f800001
	s_mov_b32 s33, exec_lo
	v_cmpx_ne_u32_e32 0x7f, v10
	s_cbranch_execz .LBB339_207
; %bb.204:                              ;   in Loop: Header=BB339_9 Depth=1
	v_and_b32_e32 v1, 7, v0
	v_lshrrev_b32_e32 v9, 3, v10
	s_mov_b32 s34, exec_lo
	v_cmpx_gt_u32_e32 8, v10
; %bb.205:                              ;   in Loop: Header=BB339_9 Depth=1
	v_ffbh_u32_e32 v9, v1
	v_min_u32_e32 v9, 32, v9
	v_subrev_nc_u32_e32 v10, 28, v9
	v_sub_nc_u32_e32 v9, 29, v9
	v_lshlrev_b64 v[10:11], v10, v[1:2]
	v_and_b32_e32 v1, 7, v10
; %bb.206:                              ;   in Loop: Header=BB339_9 Depth=1
	s_or_b32 exec_lo, exec_lo, s34
	v_lshlrev_b32_e32 v10, 24, v0
	v_lshlrev_b32_e32 v1, 20, v1
	v_lshl_add_u32 v9, v9, 23, 0x3c000000
	v_and_b32_e32 v10, 0x80000000, v10
	v_or3_b32 v114, v1, v10, v9
.LBB339_207:                            ;   in Loop: Header=BB339_9 Depth=1
	s_or_b32 exec_lo, exec_lo, s33
.LBB339_208:                            ;   in Loop: Header=BB339_9 Depth=1
	s_or_b32 exec_lo, exec_lo, s31
.LBB339_209:                            ;   in Loop: Header=BB339_9 Depth=1
	s_or_b32 exec_lo, exec_lo, s4
	v_cmp_ne_u16_sdwa s3, v0, v2 src0_sel:BYTE_1 src1_sel:DWORD
	s_and_saveexec_b32 s4, s3
	s_cbranch_execz .LBB339_217
; %bb.210:                              ;   in Loop: Header=BB339_9 Depth=1
	v_cmp_ne_u16_sdwa s3, v0, v84 src0_sel:BYTE_1 src1_sel:DWORD
	v_bfrev_b32_e32 v115, 1
	s_and_saveexec_b32 s31, s3
	s_cbranch_execz .LBB339_216
; %bb.211:                              ;   in Loop: Header=BB339_9 Depth=1
	v_and_b32_sdwa v1, v85, v0 dst_sel:DWORD dst_unused:UNUSED_PAD src0_sel:DWORD src1_sel:BYTE_1
	v_mov_b32_e32 v115, 0x7f800001
	s_mov_b32 s33, exec_lo
	v_and_b32_e32 v10, 0x7f, v1
	v_cmpx_ne_u32_e32 0x7f, v10
	s_cbranch_execz .LBB339_215
; %bb.212:                              ;   in Loop: Header=BB339_9 Depth=1
	v_and_b32_e32 v1, 7, v1
	v_lshrrev_b32_e32 v9, 3, v10
	s_mov_b32 s34, exec_lo
	v_cmpx_gt_u32_e32 8, v10
; %bb.213:                              ;   in Loop: Header=BB339_9 Depth=1
	v_ffbh_u32_e32 v9, v1
	v_min_u32_e32 v9, 32, v9
	v_subrev_nc_u32_e32 v10, 28, v9
	v_sub_nc_u32_e32 v9, 29, v9
	v_lshlrev_b64 v[10:11], v10, v[1:2]
	v_and_b32_e32 v1, 7, v10
; %bb.214:                              ;   in Loop: Header=BB339_9 Depth=1
	s_or_b32 exec_lo, exec_lo, s34
	v_lshlrev_b32_e32 v10, 16, v0
	v_lshlrev_b32_e32 v1, 20, v1
	v_lshl_add_u32 v9, v9, 23, 0x3c000000
	v_and_b32_e32 v10, 0x80000000, v10
	v_or3_b32 v115, v1, v10, v9
.LBB339_215:                            ;   in Loop: Header=BB339_9 Depth=1
	s_or_b32 exec_lo, exec_lo, s33
.LBB339_216:                            ;   in Loop: Header=BB339_9 Depth=1
	s_or_b32 exec_lo, exec_lo, s31
.LBB339_217:                            ;   in Loop: Header=BB339_9 Depth=1
	s_or_b32 exec_lo, exec_lo, s4
	v_and_b32_sdwa v1, v0, v86 dst_sel:DWORD dst_unused:UNUSED_PAD src0_sel:WORD_1 src1_sel:DWORD
	v_mov_b32_e32 v116, 0
	v_mov_b32_e32 v117, 0
	s_mov_b32 s4, exec_lo
	v_cmpx_ne_u16_e32 0, v1
	s_cbranch_execz .LBB339_225
; %bb.218:                              ;   in Loop: Header=BB339_9 Depth=1
	v_bfrev_b32_e32 v117, 1
	s_mov_b32 s31, exec_lo
	v_cmpx_ne_u16_e32 0x80, v1
	s_cbranch_execz .LBB339_224
; %bb.219:                              ;   in Loop: Header=BB339_9 Depth=1
	v_bfe_u32 v10, v0, 16, 7
	v_mov_b32_e32 v117, 0x7f800001
	s_mov_b32 s33, exec_lo
	v_cmpx_ne_u32_e32 0x7f, v10
	s_cbranch_execz .LBB339_223
; %bb.220:                              ;   in Loop: Header=BB339_9 Depth=1
	v_and_b32_sdwa v1, v0, v87 dst_sel:DWORD dst_unused:UNUSED_PAD src0_sel:WORD_1 src1_sel:DWORD
	v_lshrrev_b32_e32 v9, 3, v10
	s_mov_b32 s34, exec_lo
	v_cmpx_gt_u32_e32 8, v10
; %bb.221:                              ;   in Loop: Header=BB339_9 Depth=1
	v_ffbh_u32_e32 v9, v1
	v_min_u32_e32 v9, 32, v9
	v_subrev_nc_u32_e32 v10, 28, v9
	v_sub_nc_u32_e32 v9, 29, v9
	v_lshlrev_b64 v[10:11], v10, v[1:2]
	v_and_b32_e32 v1, 7, v10
; %bb.222:                              ;   in Loop: Header=BB339_9 Depth=1
	s_or_b32 exec_lo, exec_lo, s34
	v_lshlrev_b32_sdwa v10, v88, v0 dst_sel:DWORD dst_unused:UNUSED_PAD src0_sel:DWORD src1_sel:WORD_1
	v_lshlrev_b32_e32 v1, 20, v1
	v_lshl_add_u32 v9, v9, 23, 0x3c000000
	v_and_b32_e32 v10, 0x80000000, v10
	v_or3_b32 v117, v1, v10, v9
.LBB339_223:                            ;   in Loop: Header=BB339_9 Depth=1
	s_or_b32 exec_lo, exec_lo, s33
.LBB339_224:                            ;   in Loop: Header=BB339_9 Depth=1
	s_or_b32 exec_lo, exec_lo, s31
.LBB339_225:                            ;   in Loop: Header=BB339_9 Depth=1
	s_or_b32 exec_lo, exec_lo, s4
	s_mov_b32 s4, exec_lo
	v_cmpx_lt_u32_e32 0xffffff, v0
	s_cbranch_execz .LBB339_233
; %bb.226:                              ;   in Loop: Header=BB339_9 Depth=1
	v_cmp_ne_u32_sdwa s3, v0, v84 src0_sel:BYTE_3 src1_sel:DWORD
	v_bfrev_b32_e32 v116, 1
	s_and_saveexec_b32 s31, s3
	s_cbranch_execz .LBB339_232
; %bb.227:                              ;   in Loop: Header=BB339_9 Depth=1
	v_bfe_u32 v10, v0, 24, 7
	v_mov_b32_e32 v116, 0x7f800001
	s_mov_b32 s33, exec_lo
	v_cmpx_ne_u32_e32 0x7f, v10
	s_cbranch_execz .LBB339_231
; %bb.228:                              ;   in Loop: Header=BB339_9 Depth=1
	v_and_b32_sdwa v1, v0, v87 dst_sel:DWORD dst_unused:UNUSED_PAD src0_sel:BYTE_3 src1_sel:DWORD
	v_lshrrev_b32_e32 v9, 3, v10
	s_mov_b32 s34, exec_lo
	v_cmpx_gt_u32_e32 8, v10
; %bb.229:                              ;   in Loop: Header=BB339_9 Depth=1
	v_ffbh_u32_e32 v9, v1
	v_min_u32_e32 v9, 32, v9
	v_subrev_nc_u32_e32 v10, 28, v9
	v_sub_nc_u32_e32 v9, 29, v9
	v_lshlrev_b64 v[10:11], v10, v[1:2]
	v_and_b32_e32 v1, 7, v10
; %bb.230:                              ;   in Loop: Header=BB339_9 Depth=1
	s_or_b32 exec_lo, exec_lo, s34
	v_lshlrev_b32_sdwa v0, v88, v0 dst_sel:DWORD dst_unused:UNUSED_PAD src0_sel:DWORD src1_sel:BYTE_3
	v_lshlrev_b32_e32 v1, 20, v1
	v_lshl_add_u32 v9, v9, 23, 0x3c000000
	v_and_b32_e32 v0, 0x80000000, v0
	v_or3_b32 v116, v1, v0, v9
.LBB339_231:                            ;   in Loop: Header=BB339_9 Depth=1
	s_or_b32 exec_lo, exec_lo, s33
.LBB339_232:                            ;   in Loop: Header=BB339_9 Depth=1
	s_or_b32 exec_lo, exec_lo, s31
.LBB339_233:                            ;   in Loop: Header=BB339_9 Depth=1
	s_or_b32 exec_lo, exec_lo, s4
	global_load_dword v0, v[7:8], off offset:776
	v_mov_b32_e32 v119, 0
	v_mov_b32_e32 v118, 0
	s_waitcnt vmcnt(0)
	v_cmp_ne_u16_sdwa s3, v0, v2 src0_sel:BYTE_0 src1_sel:DWORD
	s_and_saveexec_b32 s4, s3
	s_cbranch_execz .LBB339_241
; %bb.234:                              ;   in Loop: Header=BB339_9 Depth=1
	v_cmp_ne_u16_sdwa s3, v0, v84 src0_sel:BYTE_0 src1_sel:DWORD
	v_bfrev_b32_e32 v118, 1
	s_and_saveexec_b32 s31, s3
	s_cbranch_execz .LBB339_240
; %bb.235:                              ;   in Loop: Header=BB339_9 Depth=1
	v_and_b32_e32 v10, 0x7f, v0
	v_mov_b32_e32 v118, 0x7f800001
	s_mov_b32 s33, exec_lo
	v_cmpx_ne_u32_e32 0x7f, v10
	s_cbranch_execz .LBB339_239
; %bb.236:                              ;   in Loop: Header=BB339_9 Depth=1
	v_and_b32_e32 v1, 7, v0
	v_lshrrev_b32_e32 v9, 3, v10
	s_mov_b32 s34, exec_lo
	v_cmpx_gt_u32_e32 8, v10
; %bb.237:                              ;   in Loop: Header=BB339_9 Depth=1
	v_ffbh_u32_e32 v9, v1
	v_min_u32_e32 v9, 32, v9
	v_subrev_nc_u32_e32 v10, 28, v9
	v_sub_nc_u32_e32 v9, 29, v9
	v_lshlrev_b64 v[10:11], v10, v[1:2]
	v_and_b32_e32 v1, 7, v10
; %bb.238:                              ;   in Loop: Header=BB339_9 Depth=1
	s_or_b32 exec_lo, exec_lo, s34
	v_lshlrev_b32_e32 v10, 24, v0
	v_lshlrev_b32_e32 v1, 20, v1
	v_lshl_add_u32 v9, v9, 23, 0x3c000000
	v_and_b32_e32 v10, 0x80000000, v10
	v_or3_b32 v118, v1, v10, v9
.LBB339_239:                            ;   in Loop: Header=BB339_9 Depth=1
	s_or_b32 exec_lo, exec_lo, s33
.LBB339_240:                            ;   in Loop: Header=BB339_9 Depth=1
	s_or_b32 exec_lo, exec_lo, s31
.LBB339_241:                            ;   in Loop: Header=BB339_9 Depth=1
	s_or_b32 exec_lo, exec_lo, s4
	v_cmp_ne_u16_sdwa s3, v0, v2 src0_sel:BYTE_1 src1_sel:DWORD
	s_and_saveexec_b32 s4, s3
	s_cbranch_execz .LBB339_249
; %bb.242:                              ;   in Loop: Header=BB339_9 Depth=1
	v_cmp_ne_u16_sdwa s3, v0, v84 src0_sel:BYTE_1 src1_sel:DWORD
	v_bfrev_b32_e32 v119, 1
	s_and_saveexec_b32 s31, s3
	s_cbranch_execz .LBB339_248
; %bb.243:                              ;   in Loop: Header=BB339_9 Depth=1
	v_and_b32_sdwa v1, v85, v0 dst_sel:DWORD dst_unused:UNUSED_PAD src0_sel:DWORD src1_sel:BYTE_1
	v_mov_b32_e32 v119, 0x7f800001
	s_mov_b32 s33, exec_lo
	v_and_b32_e32 v10, 0x7f, v1
	v_cmpx_ne_u32_e32 0x7f, v10
	s_cbranch_execz .LBB339_247
; %bb.244:                              ;   in Loop: Header=BB339_9 Depth=1
	v_and_b32_e32 v1, 7, v1
	v_lshrrev_b32_e32 v9, 3, v10
	s_mov_b32 s34, exec_lo
	v_cmpx_gt_u32_e32 8, v10
; %bb.245:                              ;   in Loop: Header=BB339_9 Depth=1
	v_ffbh_u32_e32 v9, v1
	v_min_u32_e32 v9, 32, v9
	v_subrev_nc_u32_e32 v10, 28, v9
	v_sub_nc_u32_e32 v9, 29, v9
	v_lshlrev_b64 v[10:11], v10, v[1:2]
	v_and_b32_e32 v1, 7, v10
; %bb.246:                              ;   in Loop: Header=BB339_9 Depth=1
	s_or_b32 exec_lo, exec_lo, s34
	v_lshlrev_b32_e32 v10, 16, v0
	v_lshlrev_b32_e32 v1, 20, v1
	v_lshl_add_u32 v9, v9, 23, 0x3c000000
	v_and_b32_e32 v10, 0x80000000, v10
	v_or3_b32 v119, v1, v10, v9
.LBB339_247:                            ;   in Loop: Header=BB339_9 Depth=1
	s_or_b32 exec_lo, exec_lo, s33
.LBB339_248:                            ;   in Loop: Header=BB339_9 Depth=1
	s_or_b32 exec_lo, exec_lo, s31
.LBB339_249:                            ;   in Loop: Header=BB339_9 Depth=1
	s_or_b32 exec_lo, exec_lo, s4
	v_and_b32_sdwa v1, v0, v86 dst_sel:DWORD dst_unused:UNUSED_PAD src0_sel:WORD_1 src1_sel:DWORD
	v_mov_b32_e32 v120, 0
	v_mov_b32_e32 v121, 0
	s_mov_b32 s4, exec_lo
	v_cmpx_ne_u16_e32 0, v1
	s_cbranch_execz .LBB339_257
; %bb.250:                              ;   in Loop: Header=BB339_9 Depth=1
	v_bfrev_b32_e32 v121, 1
	s_mov_b32 s31, exec_lo
	v_cmpx_ne_u16_e32 0x80, v1
	s_cbranch_execz .LBB339_256
; %bb.251:                              ;   in Loop: Header=BB339_9 Depth=1
	v_bfe_u32 v10, v0, 16, 7
	v_mov_b32_e32 v121, 0x7f800001
	s_mov_b32 s33, exec_lo
	v_cmpx_ne_u32_e32 0x7f, v10
	s_cbranch_execz .LBB339_255
; %bb.252:                              ;   in Loop: Header=BB339_9 Depth=1
	v_and_b32_sdwa v1, v0, v87 dst_sel:DWORD dst_unused:UNUSED_PAD src0_sel:WORD_1 src1_sel:DWORD
	v_lshrrev_b32_e32 v9, 3, v10
	s_mov_b32 s34, exec_lo
	v_cmpx_gt_u32_e32 8, v10
; %bb.253:                              ;   in Loop: Header=BB339_9 Depth=1
	v_ffbh_u32_e32 v9, v1
	v_min_u32_e32 v9, 32, v9
	v_subrev_nc_u32_e32 v10, 28, v9
	v_sub_nc_u32_e32 v9, 29, v9
	v_lshlrev_b64 v[10:11], v10, v[1:2]
	v_and_b32_e32 v1, 7, v10
; %bb.254:                              ;   in Loop: Header=BB339_9 Depth=1
	s_or_b32 exec_lo, exec_lo, s34
	v_lshlrev_b32_sdwa v10, v88, v0 dst_sel:DWORD dst_unused:UNUSED_PAD src0_sel:DWORD src1_sel:WORD_1
	v_lshlrev_b32_e32 v1, 20, v1
	v_lshl_add_u32 v9, v9, 23, 0x3c000000
	v_and_b32_e32 v10, 0x80000000, v10
	v_or3_b32 v121, v1, v10, v9
.LBB339_255:                            ;   in Loop: Header=BB339_9 Depth=1
	s_or_b32 exec_lo, exec_lo, s33
.LBB339_256:                            ;   in Loop: Header=BB339_9 Depth=1
	s_or_b32 exec_lo, exec_lo, s31
.LBB339_257:                            ;   in Loop: Header=BB339_9 Depth=1
	s_or_b32 exec_lo, exec_lo, s4
	s_mov_b32 s4, exec_lo
	v_cmpx_lt_u32_e32 0xffffff, v0
	s_cbranch_execz .LBB339_265
; %bb.258:                              ;   in Loop: Header=BB339_9 Depth=1
	v_cmp_ne_u32_sdwa s3, v0, v84 src0_sel:BYTE_3 src1_sel:DWORD
	v_bfrev_b32_e32 v120, 1
	s_and_saveexec_b32 s31, s3
	s_cbranch_execz .LBB339_264
; %bb.259:                              ;   in Loop: Header=BB339_9 Depth=1
	v_bfe_u32 v10, v0, 24, 7
	v_mov_b32_e32 v120, 0x7f800001
	s_mov_b32 s33, exec_lo
	v_cmpx_ne_u32_e32 0x7f, v10
	s_cbranch_execz .LBB339_263
; %bb.260:                              ;   in Loop: Header=BB339_9 Depth=1
	v_and_b32_sdwa v1, v0, v87 dst_sel:DWORD dst_unused:UNUSED_PAD src0_sel:BYTE_3 src1_sel:DWORD
	v_lshrrev_b32_e32 v9, 3, v10
	s_mov_b32 s34, exec_lo
	v_cmpx_gt_u32_e32 8, v10
; %bb.261:                              ;   in Loop: Header=BB339_9 Depth=1
	v_ffbh_u32_e32 v9, v1
	v_min_u32_e32 v9, 32, v9
	v_subrev_nc_u32_e32 v10, 28, v9
	v_sub_nc_u32_e32 v9, 29, v9
	v_lshlrev_b64 v[10:11], v10, v[1:2]
	v_and_b32_e32 v1, 7, v10
; %bb.262:                              ;   in Loop: Header=BB339_9 Depth=1
	s_or_b32 exec_lo, exec_lo, s34
	v_lshlrev_b32_sdwa v0, v88, v0 dst_sel:DWORD dst_unused:UNUSED_PAD src0_sel:DWORD src1_sel:BYTE_3
	v_lshlrev_b32_e32 v1, 20, v1
	v_lshl_add_u32 v9, v9, 23, 0x3c000000
	v_and_b32_e32 v0, 0x80000000, v0
	v_or3_b32 v120, v1, v0, v9
.LBB339_263:                            ;   in Loop: Header=BB339_9 Depth=1
	s_or_b32 exec_lo, exec_lo, s33
.LBB339_264:                            ;   in Loop: Header=BB339_9 Depth=1
	s_or_b32 exec_lo, exec_lo, s31
.LBB339_265:                            ;   in Loop: Header=BB339_9 Depth=1
	s_or_b32 exec_lo, exec_lo, s4
	global_load_dword v0, v[7:8], off offset:1024
	v_mov_b32_e32 v123, 0
	v_mov_b32_e32 v122, 0
	s_waitcnt vmcnt(0)
	v_cmp_ne_u16_sdwa s3, v0, v2 src0_sel:BYTE_0 src1_sel:DWORD
	s_and_saveexec_b32 s4, s3
	s_cbranch_execz .LBB339_273
; %bb.266:                              ;   in Loop: Header=BB339_9 Depth=1
	v_cmp_ne_u16_sdwa s3, v0, v84 src0_sel:BYTE_0 src1_sel:DWORD
	v_bfrev_b32_e32 v122, 1
	s_and_saveexec_b32 s31, s3
	s_cbranch_execz .LBB339_272
; %bb.267:                              ;   in Loop: Header=BB339_9 Depth=1
	v_and_b32_e32 v10, 0x7f, v0
	v_mov_b32_e32 v122, 0x7f800001
	s_mov_b32 s33, exec_lo
	v_cmpx_ne_u32_e32 0x7f, v10
	s_cbranch_execz .LBB339_271
; %bb.268:                              ;   in Loop: Header=BB339_9 Depth=1
	v_and_b32_e32 v1, 7, v0
	v_lshrrev_b32_e32 v9, 3, v10
	s_mov_b32 s34, exec_lo
	v_cmpx_gt_u32_e32 8, v10
; %bb.269:                              ;   in Loop: Header=BB339_9 Depth=1
	v_ffbh_u32_e32 v9, v1
	v_min_u32_e32 v9, 32, v9
	v_subrev_nc_u32_e32 v10, 28, v9
	v_sub_nc_u32_e32 v9, 29, v9
	v_lshlrev_b64 v[10:11], v10, v[1:2]
	v_and_b32_e32 v1, 7, v10
; %bb.270:                              ;   in Loop: Header=BB339_9 Depth=1
	s_or_b32 exec_lo, exec_lo, s34
	v_lshlrev_b32_e32 v10, 24, v0
	v_lshlrev_b32_e32 v1, 20, v1
	v_lshl_add_u32 v9, v9, 23, 0x3c000000
	v_and_b32_e32 v10, 0x80000000, v10
	v_or3_b32 v122, v1, v10, v9
.LBB339_271:                            ;   in Loop: Header=BB339_9 Depth=1
	s_or_b32 exec_lo, exec_lo, s33
.LBB339_272:                            ;   in Loop: Header=BB339_9 Depth=1
	s_or_b32 exec_lo, exec_lo, s31
.LBB339_273:                            ;   in Loop: Header=BB339_9 Depth=1
	s_or_b32 exec_lo, exec_lo, s4
	v_cmp_ne_u16_sdwa s3, v0, v2 src0_sel:BYTE_1 src1_sel:DWORD
	s_and_saveexec_b32 s4, s3
	s_cbranch_execz .LBB339_281
; %bb.274:                              ;   in Loop: Header=BB339_9 Depth=1
	v_cmp_ne_u16_sdwa s3, v0, v84 src0_sel:BYTE_1 src1_sel:DWORD
	v_bfrev_b32_e32 v123, 1
	s_and_saveexec_b32 s31, s3
	s_cbranch_execz .LBB339_280
; %bb.275:                              ;   in Loop: Header=BB339_9 Depth=1
	v_and_b32_sdwa v1, v85, v0 dst_sel:DWORD dst_unused:UNUSED_PAD src0_sel:DWORD src1_sel:BYTE_1
	v_mov_b32_e32 v123, 0x7f800001
	s_mov_b32 s33, exec_lo
	v_and_b32_e32 v10, 0x7f, v1
	v_cmpx_ne_u32_e32 0x7f, v10
	s_cbranch_execz .LBB339_279
; %bb.276:                              ;   in Loop: Header=BB339_9 Depth=1
	v_and_b32_e32 v1, 7, v1
	v_lshrrev_b32_e32 v9, 3, v10
	s_mov_b32 s34, exec_lo
	v_cmpx_gt_u32_e32 8, v10
; %bb.277:                              ;   in Loop: Header=BB339_9 Depth=1
	v_ffbh_u32_e32 v9, v1
	v_min_u32_e32 v9, 32, v9
	v_subrev_nc_u32_e32 v10, 28, v9
	v_sub_nc_u32_e32 v9, 29, v9
	v_lshlrev_b64 v[10:11], v10, v[1:2]
	v_and_b32_e32 v1, 7, v10
; %bb.278:                              ;   in Loop: Header=BB339_9 Depth=1
	s_or_b32 exec_lo, exec_lo, s34
	v_lshlrev_b32_e32 v10, 16, v0
	v_lshlrev_b32_e32 v1, 20, v1
	v_lshl_add_u32 v9, v9, 23, 0x3c000000
	v_and_b32_e32 v10, 0x80000000, v10
	v_or3_b32 v123, v1, v10, v9
.LBB339_279:                            ;   in Loop: Header=BB339_9 Depth=1
	s_or_b32 exec_lo, exec_lo, s33
.LBB339_280:                            ;   in Loop: Header=BB339_9 Depth=1
	s_or_b32 exec_lo, exec_lo, s31
.LBB339_281:                            ;   in Loop: Header=BB339_9 Depth=1
	s_or_b32 exec_lo, exec_lo, s4
	v_and_b32_sdwa v1, v0, v86 dst_sel:DWORD dst_unused:UNUSED_PAD src0_sel:WORD_1 src1_sel:DWORD
	v_mov_b32_e32 v124, 0
	v_mov_b32_e32 v125, 0
	s_mov_b32 s4, exec_lo
	v_cmpx_ne_u16_e32 0, v1
	s_cbranch_execz .LBB339_289
; %bb.282:                              ;   in Loop: Header=BB339_9 Depth=1
	v_bfrev_b32_e32 v125, 1
	s_mov_b32 s31, exec_lo
	v_cmpx_ne_u16_e32 0x80, v1
	s_cbranch_execz .LBB339_288
; %bb.283:                              ;   in Loop: Header=BB339_9 Depth=1
	v_bfe_u32 v10, v0, 16, 7
	v_mov_b32_e32 v125, 0x7f800001
	s_mov_b32 s33, exec_lo
	v_cmpx_ne_u32_e32 0x7f, v10
	s_cbranch_execz .LBB339_287
; %bb.284:                              ;   in Loop: Header=BB339_9 Depth=1
	v_and_b32_sdwa v1, v0, v87 dst_sel:DWORD dst_unused:UNUSED_PAD src0_sel:WORD_1 src1_sel:DWORD
	v_lshrrev_b32_e32 v9, 3, v10
	s_mov_b32 s34, exec_lo
	v_cmpx_gt_u32_e32 8, v10
; %bb.285:                              ;   in Loop: Header=BB339_9 Depth=1
	v_ffbh_u32_e32 v9, v1
	v_min_u32_e32 v9, 32, v9
	v_subrev_nc_u32_e32 v10, 28, v9
	v_sub_nc_u32_e32 v9, 29, v9
	v_lshlrev_b64 v[10:11], v10, v[1:2]
	v_and_b32_e32 v1, 7, v10
; %bb.286:                              ;   in Loop: Header=BB339_9 Depth=1
	s_or_b32 exec_lo, exec_lo, s34
	v_lshlrev_b32_sdwa v10, v88, v0 dst_sel:DWORD dst_unused:UNUSED_PAD src0_sel:DWORD src1_sel:WORD_1
	v_lshlrev_b32_e32 v1, 20, v1
	v_lshl_add_u32 v9, v9, 23, 0x3c000000
	v_and_b32_e32 v10, 0x80000000, v10
	v_or3_b32 v125, v1, v10, v9
.LBB339_287:                            ;   in Loop: Header=BB339_9 Depth=1
	s_or_b32 exec_lo, exec_lo, s33
.LBB339_288:                            ;   in Loop: Header=BB339_9 Depth=1
	s_or_b32 exec_lo, exec_lo, s31
.LBB339_289:                            ;   in Loop: Header=BB339_9 Depth=1
	s_or_b32 exec_lo, exec_lo, s4
	s_mov_b32 s4, exec_lo
	v_cmpx_lt_u32_e32 0xffffff, v0
	s_cbranch_execz .LBB339_297
; %bb.290:                              ;   in Loop: Header=BB339_9 Depth=1
	v_cmp_ne_u32_sdwa s3, v0, v84 src0_sel:BYTE_3 src1_sel:DWORD
	v_bfrev_b32_e32 v124, 1
	s_and_saveexec_b32 s31, s3
	s_cbranch_execz .LBB339_296
; %bb.291:                              ;   in Loop: Header=BB339_9 Depth=1
	v_bfe_u32 v10, v0, 24, 7
	v_mov_b32_e32 v124, 0x7f800001
	s_mov_b32 s33, exec_lo
	v_cmpx_ne_u32_e32 0x7f, v10
	s_cbranch_execz .LBB339_295
; %bb.292:                              ;   in Loop: Header=BB339_9 Depth=1
	v_and_b32_sdwa v1, v0, v87 dst_sel:DWORD dst_unused:UNUSED_PAD src0_sel:BYTE_3 src1_sel:DWORD
	v_lshrrev_b32_e32 v9, 3, v10
	s_mov_b32 s34, exec_lo
	v_cmpx_gt_u32_e32 8, v10
; %bb.293:                              ;   in Loop: Header=BB339_9 Depth=1
	v_ffbh_u32_e32 v9, v1
	v_min_u32_e32 v9, 32, v9
	v_subrev_nc_u32_e32 v10, 28, v9
	v_sub_nc_u32_e32 v9, 29, v9
	v_lshlrev_b64 v[10:11], v10, v[1:2]
	v_and_b32_e32 v1, 7, v10
; %bb.294:                              ;   in Loop: Header=BB339_9 Depth=1
	s_or_b32 exec_lo, exec_lo, s34
	v_lshlrev_b32_sdwa v0, v88, v0 dst_sel:DWORD dst_unused:UNUSED_PAD src0_sel:DWORD src1_sel:BYTE_3
	v_lshlrev_b32_e32 v1, 20, v1
	v_lshl_add_u32 v9, v9, 23, 0x3c000000
	v_and_b32_e32 v0, 0x80000000, v0
	v_or3_b32 v124, v1, v0, v9
.LBB339_295:                            ;   in Loop: Header=BB339_9 Depth=1
	s_or_b32 exec_lo, exec_lo, s33
.LBB339_296:                            ;   in Loop: Header=BB339_9 Depth=1
	s_or_b32 exec_lo, exec_lo, s31
.LBB339_297:                            ;   in Loop: Header=BB339_9 Depth=1
	s_or_b32 exec_lo, exec_lo, s4
	global_load_dword v0, v[7:8], off offset:1032
	v_mov_b32_e32 v127, 0
	v_mov_b32_e32 v126, 0
	s_waitcnt vmcnt(0)
	v_cmp_ne_u16_sdwa s3, v0, v2 src0_sel:BYTE_0 src1_sel:DWORD
	s_and_saveexec_b32 s4, s3
	s_cbranch_execz .LBB339_305
; %bb.298:                              ;   in Loop: Header=BB339_9 Depth=1
	v_cmp_ne_u16_sdwa s3, v0, v84 src0_sel:BYTE_0 src1_sel:DWORD
	v_bfrev_b32_e32 v126, 1
	s_and_saveexec_b32 s31, s3
	s_cbranch_execz .LBB339_304
; %bb.299:                              ;   in Loop: Header=BB339_9 Depth=1
	v_and_b32_e32 v10, 0x7f, v0
	v_mov_b32_e32 v126, 0x7f800001
	s_mov_b32 s33, exec_lo
	v_cmpx_ne_u32_e32 0x7f, v10
	s_cbranch_execz .LBB339_303
; %bb.300:                              ;   in Loop: Header=BB339_9 Depth=1
	v_and_b32_e32 v1, 7, v0
	v_lshrrev_b32_e32 v9, 3, v10
	s_mov_b32 s34, exec_lo
	v_cmpx_gt_u32_e32 8, v10
; %bb.301:                              ;   in Loop: Header=BB339_9 Depth=1
	v_ffbh_u32_e32 v9, v1
	v_min_u32_e32 v9, 32, v9
	v_subrev_nc_u32_e32 v10, 28, v9
	v_sub_nc_u32_e32 v9, 29, v9
	v_lshlrev_b64 v[10:11], v10, v[1:2]
	v_and_b32_e32 v1, 7, v10
; %bb.302:                              ;   in Loop: Header=BB339_9 Depth=1
	s_or_b32 exec_lo, exec_lo, s34
	v_lshlrev_b32_e32 v10, 24, v0
	v_lshlrev_b32_e32 v1, 20, v1
	v_lshl_add_u32 v9, v9, 23, 0x3c000000
	v_and_b32_e32 v10, 0x80000000, v10
	v_or3_b32 v126, v1, v10, v9
.LBB339_303:                            ;   in Loop: Header=BB339_9 Depth=1
	s_or_b32 exec_lo, exec_lo, s33
.LBB339_304:                            ;   in Loop: Header=BB339_9 Depth=1
	s_or_b32 exec_lo, exec_lo, s31
.LBB339_305:                            ;   in Loop: Header=BB339_9 Depth=1
	s_or_b32 exec_lo, exec_lo, s4
	v_cmp_ne_u16_sdwa s3, v0, v2 src0_sel:BYTE_1 src1_sel:DWORD
	s_and_saveexec_b32 s4, s3
	s_cbranch_execz .LBB339_313
; %bb.306:                              ;   in Loop: Header=BB339_9 Depth=1
	v_cmp_ne_u16_sdwa s3, v0, v84 src0_sel:BYTE_1 src1_sel:DWORD
	v_bfrev_b32_e32 v127, 1
	s_and_saveexec_b32 s31, s3
	s_cbranch_execz .LBB339_312
; %bb.307:                              ;   in Loop: Header=BB339_9 Depth=1
	v_and_b32_sdwa v1, v85, v0 dst_sel:DWORD dst_unused:UNUSED_PAD src0_sel:DWORD src1_sel:BYTE_1
	v_mov_b32_e32 v127, 0x7f800001
	s_mov_b32 s33, exec_lo
	v_and_b32_e32 v10, 0x7f, v1
	v_cmpx_ne_u32_e32 0x7f, v10
	s_cbranch_execz .LBB339_311
; %bb.308:                              ;   in Loop: Header=BB339_9 Depth=1
	v_and_b32_e32 v1, 7, v1
	v_lshrrev_b32_e32 v9, 3, v10
	s_mov_b32 s34, exec_lo
	v_cmpx_gt_u32_e32 8, v10
; %bb.309:                              ;   in Loop: Header=BB339_9 Depth=1
	v_ffbh_u32_e32 v9, v1
	v_min_u32_e32 v9, 32, v9
	v_subrev_nc_u32_e32 v10, 28, v9
	v_sub_nc_u32_e32 v9, 29, v9
	v_lshlrev_b64 v[10:11], v10, v[1:2]
	v_and_b32_e32 v1, 7, v10
; %bb.310:                              ;   in Loop: Header=BB339_9 Depth=1
	s_or_b32 exec_lo, exec_lo, s34
	v_lshlrev_b32_e32 v10, 16, v0
	v_lshlrev_b32_e32 v1, 20, v1
	v_lshl_add_u32 v9, v9, 23, 0x3c000000
	v_and_b32_e32 v10, 0x80000000, v10
	v_or3_b32 v127, v1, v10, v9
.LBB339_311:                            ;   in Loop: Header=BB339_9 Depth=1
	s_or_b32 exec_lo, exec_lo, s33
.LBB339_312:                            ;   in Loop: Header=BB339_9 Depth=1
	s_or_b32 exec_lo, exec_lo, s31
.LBB339_313:                            ;   in Loop: Header=BB339_9 Depth=1
	s_or_b32 exec_lo, exec_lo, s4
	v_and_b32_sdwa v1, v0, v86 dst_sel:DWORD dst_unused:UNUSED_PAD src0_sel:WORD_1 src1_sel:DWORD
	v_mov_b32_e32 v21, 0
	v_mov_b32_e32 v13, 0
	s_mov_b32 s4, exec_lo
	v_cmpx_ne_u16_e32 0, v1
	s_cbranch_execz .LBB339_321
; %bb.314:                              ;   in Loop: Header=BB339_9 Depth=1
	v_bfrev_b32_e32 v13, 1
	s_mov_b32 s31, exec_lo
	v_cmpx_ne_u16_e32 0x80, v1
	s_cbranch_execz .LBB339_320
; %bb.315:                              ;   in Loop: Header=BB339_9 Depth=1
	v_bfe_u32 v10, v0, 16, 7
	v_mov_b32_e32 v13, 0x7f800001
	s_mov_b32 s33, exec_lo
	v_cmpx_ne_u32_e32 0x7f, v10
	s_cbranch_execz .LBB339_319
; %bb.316:                              ;   in Loop: Header=BB339_9 Depth=1
	v_and_b32_sdwa v1, v0, v87 dst_sel:DWORD dst_unused:UNUSED_PAD src0_sel:WORD_1 src1_sel:DWORD
	v_lshrrev_b32_e32 v9, 3, v10
	s_mov_b32 s34, exec_lo
	v_cmpx_gt_u32_e32 8, v10
; %bb.317:                              ;   in Loop: Header=BB339_9 Depth=1
	v_ffbh_u32_e32 v9, v1
	v_min_u32_e32 v9, 32, v9
	v_subrev_nc_u32_e32 v10, 28, v9
	v_sub_nc_u32_e32 v9, 29, v9
	v_lshlrev_b64 v[10:11], v10, v[1:2]
	v_and_b32_e32 v1, 7, v10
; %bb.318:                              ;   in Loop: Header=BB339_9 Depth=1
	s_or_b32 exec_lo, exec_lo, s34
	v_lshlrev_b32_sdwa v10, v88, v0 dst_sel:DWORD dst_unused:UNUSED_PAD src0_sel:DWORD src1_sel:WORD_1
	v_lshlrev_b32_e32 v1, 20, v1
	v_lshl_add_u32 v9, v9, 23, 0x3c000000
	v_and_b32_e32 v10, 0x80000000, v10
	v_or3_b32 v13, v1, v10, v9
.LBB339_319:                            ;   in Loop: Header=BB339_9 Depth=1
	s_or_b32 exec_lo, exec_lo, s33
.LBB339_320:                            ;   in Loop: Header=BB339_9 Depth=1
	s_or_b32 exec_lo, exec_lo, s31
.LBB339_321:                            ;   in Loop: Header=BB339_9 Depth=1
	s_or_b32 exec_lo, exec_lo, s4
	s_mov_b32 s4, exec_lo
	v_cmpx_lt_u32_e32 0xffffff, v0
	s_cbranch_execz .LBB339_329
; %bb.322:                              ;   in Loop: Header=BB339_9 Depth=1
	v_cmp_ne_u32_sdwa s3, v0, v84 src0_sel:BYTE_3 src1_sel:DWORD
	v_bfrev_b32_e32 v21, 1
	s_and_saveexec_b32 s31, s3
	s_cbranch_execz .LBB339_328
; %bb.323:                              ;   in Loop: Header=BB339_9 Depth=1
	v_bfe_u32 v10, v0, 24, 7
	v_mov_b32_e32 v21, 0x7f800001
	s_mov_b32 s33, exec_lo
	v_cmpx_ne_u32_e32 0x7f, v10
	s_cbranch_execz .LBB339_327
; %bb.324:                              ;   in Loop: Header=BB339_9 Depth=1
	v_and_b32_sdwa v1, v0, v87 dst_sel:DWORD dst_unused:UNUSED_PAD src0_sel:BYTE_3 src1_sel:DWORD
	v_lshrrev_b32_e32 v9, 3, v10
	s_mov_b32 s34, exec_lo
	v_cmpx_gt_u32_e32 8, v10
; %bb.325:                              ;   in Loop: Header=BB339_9 Depth=1
	v_ffbh_u32_e32 v9, v1
	v_min_u32_e32 v9, 32, v9
	v_subrev_nc_u32_e32 v10, 28, v9
	v_sub_nc_u32_e32 v9, 29, v9
	v_lshlrev_b64 v[10:11], v10, v[1:2]
	v_and_b32_e32 v1, 7, v10
; %bb.326:                              ;   in Loop: Header=BB339_9 Depth=1
	s_or_b32 exec_lo, exec_lo, s34
	v_lshlrev_b32_sdwa v0, v88, v0 dst_sel:DWORD dst_unused:UNUSED_PAD src0_sel:DWORD src1_sel:BYTE_3
	v_lshlrev_b32_e32 v1, 20, v1
	v_lshl_add_u32 v9, v9, 23, 0x3c000000
	v_and_b32_e32 v0, 0x80000000, v0
	v_or3_b32 v21, v1, v0, v9
.LBB339_327:                            ;   in Loop: Header=BB339_9 Depth=1
	s_or_b32 exec_lo, exec_lo, s33
.LBB339_328:                            ;   in Loop: Header=BB339_9 Depth=1
	s_or_b32 exec_lo, exec_lo, s31
.LBB339_329:                            ;   in Loop: Header=BB339_9 Depth=1
	s_or_b32 exec_lo, exec_lo, s4
	global_load_dword v0, v[7:8], off offset:1280
	v_mov_b32_e32 v9, 0
	v_mov_b32_e32 v22, 0
	s_waitcnt vmcnt(0)
	v_cmp_ne_u16_sdwa s3, v0, v2 src0_sel:BYTE_0 src1_sel:DWORD
	s_and_saveexec_b32 s4, s3
	s_cbranch_execz .LBB339_337
; %bb.330:                              ;   in Loop: Header=BB339_9 Depth=1
	v_cmp_ne_u16_sdwa s3, v0, v84 src0_sel:BYTE_0 src1_sel:DWORD
	v_bfrev_b32_e32 v22, 1
	s_and_saveexec_b32 s31, s3
	s_cbranch_execz .LBB339_336
; %bb.331:                              ;   in Loop: Header=BB339_9 Depth=1
	v_and_b32_e32 v11, 0x7f, v0
	v_mov_b32_e32 v22, 0x7f800001
	s_mov_b32 s33, exec_lo
	v_cmpx_ne_u32_e32 0x7f, v11
	s_cbranch_execz .LBB339_335
; %bb.332:                              ;   in Loop: Header=BB339_9 Depth=1
	v_and_b32_e32 v1, 7, v0
	v_lshrrev_b32_e32 v10, 3, v11
	s_mov_b32 s34, exec_lo
	v_cmpx_gt_u32_e32 8, v11
; %bb.333:                              ;   in Loop: Header=BB339_9 Depth=1
	v_ffbh_u32_e32 v10, v1
	v_min_u32_e32 v10, 32, v10
	v_subrev_nc_u32_e32 v11, 28, v10
	v_sub_nc_u32_e32 v10, 29, v10
	v_lshlrev_b64 v[11:12], v11, v[1:2]
	v_and_b32_e32 v1, 7, v11
; %bb.334:                              ;   in Loop: Header=BB339_9 Depth=1
	s_or_b32 exec_lo, exec_lo, s34
	v_lshlrev_b32_e32 v11, 24, v0
	v_lshlrev_b32_e32 v1, 20, v1
	v_lshl_add_u32 v10, v10, 23, 0x3c000000
	v_and_b32_e32 v11, 0x80000000, v11
	v_or3_b32 v22, v1, v11, v10
.LBB339_335:                            ;   in Loop: Header=BB339_9 Depth=1
	s_or_b32 exec_lo, exec_lo, s33
.LBB339_336:                            ;   in Loop: Header=BB339_9 Depth=1
	s_or_b32 exec_lo, exec_lo, s31
.LBB339_337:                            ;   in Loop: Header=BB339_9 Depth=1
	s_or_b32 exec_lo, exec_lo, s4
	v_cmp_ne_u16_sdwa s3, v0, v2 src0_sel:BYTE_1 src1_sel:DWORD
	s_and_saveexec_b32 s4, s3
	s_cbranch_execz .LBB339_345
; %bb.338:                              ;   in Loop: Header=BB339_9 Depth=1
	v_cmp_ne_u16_sdwa s3, v0, v84 src0_sel:BYTE_1 src1_sel:DWORD
	v_bfrev_b32_e32 v9, 1
	s_and_saveexec_b32 s31, s3
	s_cbranch_execz .LBB339_344
; %bb.339:                              ;   in Loop: Header=BB339_9 Depth=1
	v_and_b32_sdwa v1, v85, v0 dst_sel:DWORD dst_unused:UNUSED_PAD src0_sel:DWORD src1_sel:BYTE_1
	v_mov_b32_e32 v9, 0x7f800001
	s_mov_b32 s33, exec_lo
	v_and_b32_e32 v10, 0x7f, v1
	v_cmpx_ne_u32_e32 0x7f, v10
	s_cbranch_execz .LBB339_343
; %bb.340:                              ;   in Loop: Header=BB339_9 Depth=1
	v_and_b32_e32 v1, 7, v1
	v_lshrrev_b32_e32 v9, 3, v10
	s_mov_b32 s34, exec_lo
	v_cmpx_gt_u32_e32 8, v10
; %bb.341:                              ;   in Loop: Header=BB339_9 Depth=1
	v_ffbh_u32_e32 v9, v1
	v_min_u32_e32 v9, 32, v9
	v_subrev_nc_u32_e32 v10, 28, v9
	v_sub_nc_u32_e32 v9, 29, v9
	v_lshlrev_b64 v[10:11], v10, v[1:2]
	v_and_b32_e32 v1, 7, v10
; %bb.342:                              ;   in Loop: Header=BB339_9 Depth=1
	s_or_b32 exec_lo, exec_lo, s34
	v_lshlrev_b32_e32 v10, 16, v0
	v_lshlrev_b32_e32 v1, 20, v1
	v_lshl_add_u32 v9, v9, 23, 0x3c000000
	v_and_b32_e32 v10, 0x80000000, v10
	v_or3_b32 v9, v1, v10, v9
.LBB339_343:                            ;   in Loop: Header=BB339_9 Depth=1
	s_or_b32 exec_lo, exec_lo, s33
.LBB339_344:                            ;   in Loop: Header=BB339_9 Depth=1
	s_or_b32 exec_lo, exec_lo, s31
.LBB339_345:                            ;   in Loop: Header=BB339_9 Depth=1
	s_or_b32 exec_lo, exec_lo, s4
	v_and_b32_sdwa v1, v0, v86 dst_sel:DWORD dst_unused:UNUSED_PAD src0_sel:WORD_1 src1_sel:DWORD
	v_mov_b32_e32 v23, 0
	v_mov_b32_e32 v46, 0
	s_mov_b32 s4, exec_lo
	v_cmpx_ne_u16_e32 0, v1
	s_cbranch_execz .LBB339_353
; %bb.346:                              ;   in Loop: Header=BB339_9 Depth=1
	v_bfrev_b32_e32 v46, 1
	s_mov_b32 s31, exec_lo
	v_cmpx_ne_u16_e32 0x80, v1
	s_cbranch_execz .LBB339_352
; %bb.347:                              ;   in Loop: Header=BB339_9 Depth=1
	v_bfe_u32 v11, v0, 16, 7
	v_mov_b32_e32 v46, 0x7f800001
	s_mov_b32 s33, exec_lo
	v_cmpx_ne_u32_e32 0x7f, v11
	s_cbranch_execz .LBB339_351
; %bb.348:                              ;   in Loop: Header=BB339_9 Depth=1
	v_and_b32_sdwa v1, v0, v87 dst_sel:DWORD dst_unused:UNUSED_PAD src0_sel:WORD_1 src1_sel:DWORD
	v_lshrrev_b32_e32 v10, 3, v11
	s_mov_b32 s34, exec_lo
	v_cmpx_gt_u32_e32 8, v11
; %bb.349:                              ;   in Loop: Header=BB339_9 Depth=1
	v_ffbh_u32_e32 v10, v1
	v_min_u32_e32 v10, 32, v10
	v_subrev_nc_u32_e32 v11, 28, v10
	v_sub_nc_u32_e32 v10, 29, v10
	v_lshlrev_b64 v[11:12], v11, v[1:2]
	v_and_b32_e32 v1, 7, v11
; %bb.350:                              ;   in Loop: Header=BB339_9 Depth=1
	s_or_b32 exec_lo, exec_lo, s34
	v_lshlrev_b32_sdwa v11, v88, v0 dst_sel:DWORD dst_unused:UNUSED_PAD src0_sel:DWORD src1_sel:WORD_1
	v_lshlrev_b32_e32 v1, 20, v1
	v_lshl_add_u32 v10, v10, 23, 0x3c000000
	v_and_b32_e32 v11, 0x80000000, v11
	v_or3_b32 v46, v1, v11, v10
.LBB339_351:                            ;   in Loop: Header=BB339_9 Depth=1
	s_or_b32 exec_lo, exec_lo, s33
.LBB339_352:                            ;   in Loop: Header=BB339_9 Depth=1
	s_or_b32 exec_lo, exec_lo, s31
.LBB339_353:                            ;   in Loop: Header=BB339_9 Depth=1
	s_or_b32 exec_lo, exec_lo, s4
	s_mov_b32 s4, exec_lo
	v_cmpx_lt_u32_e32 0xffffff, v0
	s_cbranch_execz .LBB339_361
; %bb.354:                              ;   in Loop: Header=BB339_9 Depth=1
	v_cmp_ne_u32_sdwa s3, v0, v84 src0_sel:BYTE_3 src1_sel:DWORD
	v_bfrev_b32_e32 v23, 1
	s_and_saveexec_b32 s31, s3
	s_cbranch_execz .LBB339_360
; %bb.355:                              ;   in Loop: Header=BB339_9 Depth=1
	v_bfe_u32 v11, v0, 24, 7
	v_mov_b32_e32 v23, 0x7f800001
	s_mov_b32 s33, exec_lo
	v_cmpx_ne_u32_e32 0x7f, v11
	s_cbranch_execz .LBB339_359
; %bb.356:                              ;   in Loop: Header=BB339_9 Depth=1
	v_and_b32_sdwa v1, v0, v87 dst_sel:DWORD dst_unused:UNUSED_PAD src0_sel:BYTE_3 src1_sel:DWORD
	v_lshrrev_b32_e32 v10, 3, v11
	s_mov_b32 s34, exec_lo
	v_cmpx_gt_u32_e32 8, v11
; %bb.357:                              ;   in Loop: Header=BB339_9 Depth=1
	v_ffbh_u32_e32 v10, v1
	v_min_u32_e32 v10, 32, v10
	v_subrev_nc_u32_e32 v11, 28, v10
	v_sub_nc_u32_e32 v10, 29, v10
	v_lshlrev_b64 v[11:12], v11, v[1:2]
	v_and_b32_e32 v1, 7, v11
; %bb.358:                              ;   in Loop: Header=BB339_9 Depth=1
	s_or_b32 exec_lo, exec_lo, s34
	v_lshlrev_b32_sdwa v0, v88, v0 dst_sel:DWORD dst_unused:UNUSED_PAD src0_sel:DWORD src1_sel:BYTE_3
	v_lshlrev_b32_e32 v1, 20, v1
	v_lshl_add_u32 v10, v10, 23, 0x3c000000
	v_and_b32_e32 v0, 0x80000000, v0
	v_or3_b32 v23, v1, v0, v10
.LBB339_359:                            ;   in Loop: Header=BB339_9 Depth=1
	s_or_b32 exec_lo, exec_lo, s33
.LBB339_360:                            ;   in Loop: Header=BB339_9 Depth=1
	s_or_b32 exec_lo, exec_lo, s31
.LBB339_361:                            ;   in Loop: Header=BB339_9 Depth=1
	s_or_b32 exec_lo, exec_lo, s4
	global_load_dword v14, v[7:8], off offset:1288
	v_mov_b32_e32 v0, 0
	v_mov_b32_e32 v10, 0
	s_waitcnt vmcnt(0)
	v_cmp_ne_u16_sdwa s3, v14, v2 src0_sel:BYTE_0 src1_sel:DWORD
	s_and_saveexec_b32 s4, s3
	s_cbranch_execz .LBB339_369
; %bb.362:                              ;   in Loop: Header=BB339_9 Depth=1
	v_cmp_ne_u16_sdwa s3, v14, v84 src0_sel:BYTE_0 src1_sel:DWORD
	v_bfrev_b32_e32 v10, 1
	s_and_saveexec_b32 s31, s3
	s_cbranch_execz .LBB339_368
; %bb.363:                              ;   in Loop: Header=BB339_9 Depth=1
	v_and_b32_e32 v11, 0x7f, v14
	v_mov_b32_e32 v10, 0x7f800001
	s_mov_b32 s33, exec_lo
	v_cmpx_ne_u32_e32 0x7f, v11
	s_cbranch_execz .LBB339_367
; %bb.364:                              ;   in Loop: Header=BB339_9 Depth=1
	v_and_b32_e32 v1, 7, v14
	v_lshrrev_b32_e32 v10, 3, v11
	s_mov_b32 s34, exec_lo
	v_cmpx_gt_u32_e32 8, v11
; %bb.365:                              ;   in Loop: Header=BB339_9 Depth=1
	v_ffbh_u32_e32 v10, v1
	v_min_u32_e32 v10, 32, v10
	v_subrev_nc_u32_e32 v11, 28, v10
	v_sub_nc_u32_e32 v10, 29, v10
	v_lshlrev_b64 v[11:12], v11, v[1:2]
	v_and_b32_e32 v1, 7, v11
; %bb.366:                              ;   in Loop: Header=BB339_9 Depth=1
	s_or_b32 exec_lo, exec_lo, s34
	v_lshlrev_b32_e32 v11, 24, v14
	v_lshlrev_b32_e32 v1, 20, v1
	v_lshl_add_u32 v10, v10, 23, 0x3c000000
	v_and_b32_e32 v11, 0x80000000, v11
	v_or3_b32 v10, v1, v11, v10
.LBB339_367:                            ;   in Loop: Header=BB339_9 Depth=1
	s_or_b32 exec_lo, exec_lo, s33
.LBB339_368:                            ;   in Loop: Header=BB339_9 Depth=1
	s_or_b32 exec_lo, exec_lo, s31
.LBB339_369:                            ;   in Loop: Header=BB339_9 Depth=1
	s_or_b32 exec_lo, exec_lo, s4
	v_cmp_ne_u16_sdwa s3, v14, v2 src0_sel:BYTE_1 src1_sel:DWORD
	s_and_saveexec_b32 s4, s3
	s_cbranch_execz .LBB339_377
; %bb.370:                              ;   in Loop: Header=BB339_9 Depth=1
	v_cmp_ne_u16_sdwa s3, v14, v84 src0_sel:BYTE_1 src1_sel:DWORD
	v_bfrev_b32_e32 v0, 1
	s_and_saveexec_b32 s31, s3
	s_cbranch_execz .LBB339_376
; %bb.371:                              ;   in Loop: Header=BB339_9 Depth=1
	v_and_b32_sdwa v1, v85, v14 dst_sel:DWORD dst_unused:UNUSED_PAD src0_sel:DWORD src1_sel:BYTE_1
	v_mov_b32_e32 v0, 0x7f800001
	s_mov_b32 s33, exec_lo
	v_and_b32_e32 v11, 0x7f, v1
	v_cmpx_ne_u32_e32 0x7f, v11
	s_cbranch_execz .LBB339_375
; %bb.372:                              ;   in Loop: Header=BB339_9 Depth=1
	v_and_b32_e32 v1, 7, v1
	v_lshrrev_b32_e32 v0, 3, v11
	s_mov_b32 s34, exec_lo
	v_cmpx_gt_u32_e32 8, v11
; %bb.373:                              ;   in Loop: Header=BB339_9 Depth=1
	v_ffbh_u32_e32 v0, v1
	v_min_u32_e32 v0, 32, v0
	v_subrev_nc_u32_e32 v11, 28, v0
	v_sub_nc_u32_e32 v0, 29, v0
	v_lshlrev_b64 v[11:12], v11, v[1:2]
	v_and_b32_e32 v1, 7, v11
; %bb.374:                              ;   in Loop: Header=BB339_9 Depth=1
	s_or_b32 exec_lo, exec_lo, s34
	v_lshlrev_b32_e32 v11, 16, v14
	v_lshlrev_b32_e32 v1, 20, v1
	v_lshl_add_u32 v0, v0, 23, 0x3c000000
	v_and_b32_e32 v11, 0x80000000, v11
	v_or3_b32 v0, v1, v11, v0
.LBB339_375:                            ;   in Loop: Header=BB339_9 Depth=1
	s_or_b32 exec_lo, exec_lo, s33
.LBB339_376:                            ;   in Loop: Header=BB339_9 Depth=1
	s_or_b32 exec_lo, exec_lo, s31
.LBB339_377:                            ;   in Loop: Header=BB339_9 Depth=1
	s_or_b32 exec_lo, exec_lo, s4
	v_and_b32_sdwa v1, v14, v86 dst_sel:DWORD dst_unused:UNUSED_PAD src0_sel:WORD_1 src1_sel:DWORD
	v_mov_b32_e32 v11, 0
	v_mov_b32_e32 v12, 0
	s_mov_b32 s4, exec_lo
	v_cmpx_ne_u16_e32 0, v1
	s_cbranch_execz .LBB339_385
; %bb.378:                              ;   in Loop: Header=BB339_9 Depth=1
	v_bfrev_b32_e32 v12, 1
	s_mov_b32 s31, exec_lo
	v_cmpx_ne_u16_e32 0x80, v1
	s_cbranch_execz .LBB339_384
; %bb.379:                              ;   in Loop: Header=BB339_9 Depth=1
	v_bfe_u32 v15, v14, 16, 7
	v_mov_b32_e32 v12, 0x7f800001
	s_mov_b32 s33, exec_lo
	v_cmpx_ne_u32_e32 0x7f, v15
	s_cbranch_execz .LBB339_383
; %bb.380:                              ;   in Loop: Header=BB339_9 Depth=1
	v_and_b32_sdwa v1, v14, v87 dst_sel:DWORD dst_unused:UNUSED_PAD src0_sel:WORD_1 src1_sel:DWORD
	v_lshrrev_b32_e32 v12, 3, v15
	s_mov_b32 s34, exec_lo
	v_cmpx_gt_u32_e32 8, v15
; %bb.381:                              ;   in Loop: Header=BB339_9 Depth=1
	v_ffbh_u32_e32 v12, v1
	v_min_u32_e32 v12, 32, v12
	v_subrev_nc_u32_e32 v15, 28, v12
	v_sub_nc_u32_e32 v12, 29, v12
	v_lshlrev_b64 v[15:16], v15, v[1:2]
	v_and_b32_e32 v1, 7, v15
; %bb.382:                              ;   in Loop: Header=BB339_9 Depth=1
	s_or_b32 exec_lo, exec_lo, s34
	v_lshlrev_b32_sdwa v15, v88, v14 dst_sel:DWORD dst_unused:UNUSED_PAD src0_sel:DWORD src1_sel:WORD_1
	v_lshlrev_b32_e32 v1, 20, v1
	v_lshl_add_u32 v12, v12, 23, 0x3c000000
	v_and_b32_e32 v15, 0x80000000, v15
	v_or3_b32 v12, v1, v15, v12
.LBB339_383:                            ;   in Loop: Header=BB339_9 Depth=1
	s_or_b32 exec_lo, exec_lo, s33
.LBB339_384:                            ;   in Loop: Header=BB339_9 Depth=1
	s_or_b32 exec_lo, exec_lo, s31
.LBB339_385:                            ;   in Loop: Header=BB339_9 Depth=1
	s_or_b32 exec_lo, exec_lo, s4
	s_mov_b32 s4, exec_lo
	v_cmpx_lt_u32_e32 0xffffff, v14
	s_cbranch_execz .LBB339_393
; %bb.386:                              ;   in Loop: Header=BB339_9 Depth=1
	v_cmp_ne_u32_sdwa s3, v14, v84 src0_sel:BYTE_3 src1_sel:DWORD
	v_bfrev_b32_e32 v11, 1
	s_and_saveexec_b32 s31, s3
	s_cbranch_execz .LBB339_392
; %bb.387:                              ;   in Loop: Header=BB339_9 Depth=1
	v_bfe_u32 v15, v14, 24, 7
	v_mov_b32_e32 v11, 0x7f800001
	s_mov_b32 s33, exec_lo
	v_cmpx_ne_u32_e32 0x7f, v15
	s_cbranch_execz .LBB339_391
; %bb.388:                              ;   in Loop: Header=BB339_9 Depth=1
	v_and_b32_sdwa v1, v14, v87 dst_sel:DWORD dst_unused:UNUSED_PAD src0_sel:BYTE_3 src1_sel:DWORD
	v_lshrrev_b32_e32 v11, 3, v15
	s_mov_b32 s34, exec_lo
	v_cmpx_gt_u32_e32 8, v15
; %bb.389:                              ;   in Loop: Header=BB339_9 Depth=1
	v_ffbh_u32_e32 v11, v1
	v_min_u32_e32 v11, 32, v11
	v_subrev_nc_u32_e32 v15, 28, v11
	v_sub_nc_u32_e32 v11, 29, v11
	v_lshlrev_b64 v[15:16], v15, v[1:2]
	v_and_b32_e32 v1, 7, v15
; %bb.390:                              ;   in Loop: Header=BB339_9 Depth=1
	s_or_b32 exec_lo, exec_lo, s34
	v_lshlrev_b32_sdwa v14, v88, v14 dst_sel:DWORD dst_unused:UNUSED_PAD src0_sel:DWORD src1_sel:BYTE_3
	v_lshlrev_b32_e32 v1, 20, v1
	v_lshl_add_u32 v11, v11, 23, 0x3c000000
	v_and_b32_e32 v14, 0x80000000, v14
	v_or3_b32 v11, v1, v14, v11
.LBB339_391:                            ;   in Loop: Header=BB339_9 Depth=1
	s_or_b32 exec_lo, exec_lo, s33
.LBB339_392:                            ;   in Loop: Header=BB339_9 Depth=1
	s_or_b32 exec_lo, exec_lo, s31
.LBB339_393:                            ;   in Loop: Header=BB339_9 Depth=1
	s_or_b32 exec_lo, exec_lo, s4
	global_load_dword v18, v[7:8], off offset:1536
	v_mov_b32_e32 v15, 0
	v_mov_b32_e32 v14, 0
	s_waitcnt vmcnt(0)
	v_cmp_ne_u16_sdwa s3, v18, v2 src0_sel:BYTE_0 src1_sel:DWORD
	s_and_saveexec_b32 s4, s3
	s_cbranch_execz .LBB339_401
; %bb.394:                              ;   in Loop: Header=BB339_9 Depth=1
	v_cmp_ne_u16_sdwa s3, v18, v84 src0_sel:BYTE_0 src1_sel:DWORD
	v_bfrev_b32_e32 v14, 1
	s_and_saveexec_b32 s31, s3
	s_cbranch_execz .LBB339_400
; %bb.395:                              ;   in Loop: Header=BB339_9 Depth=1
	v_and_b32_e32 v16, 0x7f, v18
	v_mov_b32_e32 v14, 0x7f800001
	s_mov_b32 s33, exec_lo
	v_cmpx_ne_u32_e32 0x7f, v16
	s_cbranch_execz .LBB339_399
; %bb.396:                              ;   in Loop: Header=BB339_9 Depth=1
	v_and_b32_e32 v1, 7, v18
	v_lshrrev_b32_e32 v14, 3, v16
	s_mov_b32 s34, exec_lo
	v_cmpx_gt_u32_e32 8, v16
; %bb.397:                              ;   in Loop: Header=BB339_9 Depth=1
	v_ffbh_u32_e32 v14, v1
	v_min_u32_e32 v14, 32, v14
	v_subrev_nc_u32_e32 v16, 28, v14
	v_sub_nc_u32_e32 v14, 29, v14
	v_lshlrev_b64 v[16:17], v16, v[1:2]
	v_and_b32_e32 v1, 7, v16
; %bb.398:                              ;   in Loop: Header=BB339_9 Depth=1
	s_or_b32 exec_lo, exec_lo, s34
	v_lshlrev_b32_e32 v16, 24, v18
	v_lshlrev_b32_e32 v1, 20, v1
	v_lshl_add_u32 v14, v14, 23, 0x3c000000
	v_and_b32_e32 v16, 0x80000000, v16
	v_or3_b32 v14, v1, v16, v14
.LBB339_399:                            ;   in Loop: Header=BB339_9 Depth=1
	s_or_b32 exec_lo, exec_lo, s33
.LBB339_400:                            ;   in Loop: Header=BB339_9 Depth=1
	s_or_b32 exec_lo, exec_lo, s31
.LBB339_401:                            ;   in Loop: Header=BB339_9 Depth=1
	s_or_b32 exec_lo, exec_lo, s4
	v_cmp_ne_u16_sdwa s3, v18, v2 src0_sel:BYTE_1 src1_sel:DWORD
	s_and_saveexec_b32 s4, s3
	s_cbranch_execz .LBB339_409
; %bb.402:                              ;   in Loop: Header=BB339_9 Depth=1
	v_cmp_ne_u16_sdwa s3, v18, v84 src0_sel:BYTE_1 src1_sel:DWORD
	v_bfrev_b32_e32 v15, 1
	s_and_saveexec_b32 s31, s3
	s_cbranch_execz .LBB339_408
; %bb.403:                              ;   in Loop: Header=BB339_9 Depth=1
	v_and_b32_sdwa v1, v85, v18 dst_sel:DWORD dst_unused:UNUSED_PAD src0_sel:DWORD src1_sel:BYTE_1
	v_mov_b32_e32 v15, 0x7f800001
	s_mov_b32 s33, exec_lo
	v_and_b32_e32 v16, 0x7f, v1
	v_cmpx_ne_u32_e32 0x7f, v16
	s_cbranch_execz .LBB339_407
; %bb.404:                              ;   in Loop: Header=BB339_9 Depth=1
	v_and_b32_e32 v1, 7, v1
	v_lshrrev_b32_e32 v15, 3, v16
	s_mov_b32 s34, exec_lo
	v_cmpx_gt_u32_e32 8, v16
; %bb.405:                              ;   in Loop: Header=BB339_9 Depth=1
	v_ffbh_u32_e32 v15, v1
	v_min_u32_e32 v15, 32, v15
	v_subrev_nc_u32_e32 v16, 28, v15
	v_sub_nc_u32_e32 v15, 29, v15
	v_lshlrev_b64 v[16:17], v16, v[1:2]
	v_and_b32_e32 v1, 7, v16
; %bb.406:                              ;   in Loop: Header=BB339_9 Depth=1
	s_or_b32 exec_lo, exec_lo, s34
	v_lshlrev_b32_e32 v16, 16, v18
	v_lshlrev_b32_e32 v1, 20, v1
	v_lshl_add_u32 v15, v15, 23, 0x3c000000
	v_and_b32_e32 v16, 0x80000000, v16
	v_or3_b32 v15, v1, v16, v15
.LBB339_407:                            ;   in Loop: Header=BB339_9 Depth=1
	s_or_b32 exec_lo, exec_lo, s33
.LBB339_408:                            ;   in Loop: Header=BB339_9 Depth=1
	s_or_b32 exec_lo, exec_lo, s31
.LBB339_409:                            ;   in Loop: Header=BB339_9 Depth=1
	s_or_b32 exec_lo, exec_lo, s4
	v_and_b32_sdwa v1, v18, v86 dst_sel:DWORD dst_unused:UNUSED_PAD src0_sel:WORD_1 src1_sel:DWORD
	v_mov_b32_e32 v16, 0
	v_mov_b32_e32 v17, 0
	s_mov_b32 s4, exec_lo
	v_cmpx_ne_u16_e32 0, v1
	s_cbranch_execz .LBB339_417
; %bb.410:                              ;   in Loop: Header=BB339_9 Depth=1
	v_bfrev_b32_e32 v17, 1
	s_mov_b32 s31, exec_lo
	v_cmpx_ne_u16_e32 0x80, v1
	s_cbranch_execz .LBB339_416
; %bb.411:                              ;   in Loop: Header=BB339_9 Depth=1
	v_bfe_u32 v19, v18, 16, 7
	v_mov_b32_e32 v17, 0x7f800001
	s_mov_b32 s33, exec_lo
	v_cmpx_ne_u32_e32 0x7f, v19
	s_cbranch_execz .LBB339_415
; %bb.412:                              ;   in Loop: Header=BB339_9 Depth=1
	v_and_b32_sdwa v1, v18, v87 dst_sel:DWORD dst_unused:UNUSED_PAD src0_sel:WORD_1 src1_sel:DWORD
	v_lshrrev_b32_e32 v17, 3, v19
	s_mov_b32 s34, exec_lo
	v_cmpx_gt_u32_e32 8, v19
; %bb.413:                              ;   in Loop: Header=BB339_9 Depth=1
	v_ffbh_u32_e32 v17, v1
	v_min_u32_e32 v17, 32, v17
	v_subrev_nc_u32_e32 v19, 28, v17
	v_sub_nc_u32_e32 v17, 29, v17
	v_lshlrev_b64 v[19:20], v19, v[1:2]
	v_and_b32_e32 v1, 7, v19
; %bb.414:                              ;   in Loop: Header=BB339_9 Depth=1
	s_or_b32 exec_lo, exec_lo, s34
	v_lshlrev_b32_sdwa v19, v88, v18 dst_sel:DWORD dst_unused:UNUSED_PAD src0_sel:DWORD src1_sel:WORD_1
	v_lshlrev_b32_e32 v1, 20, v1
	v_lshl_add_u32 v17, v17, 23, 0x3c000000
	v_and_b32_e32 v19, 0x80000000, v19
	v_or3_b32 v17, v1, v19, v17
.LBB339_415:                            ;   in Loop: Header=BB339_9 Depth=1
	s_or_b32 exec_lo, exec_lo, s33
.LBB339_416:                            ;   in Loop: Header=BB339_9 Depth=1
	s_or_b32 exec_lo, exec_lo, s31
.LBB339_417:                            ;   in Loop: Header=BB339_9 Depth=1
	s_or_b32 exec_lo, exec_lo, s4
	s_mov_b32 s4, exec_lo
	v_cmpx_lt_u32_e32 0xffffff, v18
	s_cbranch_execz .LBB339_425
; %bb.418:                              ;   in Loop: Header=BB339_9 Depth=1
	v_cmp_ne_u32_sdwa s3, v18, v84 src0_sel:BYTE_3 src1_sel:DWORD
	v_bfrev_b32_e32 v16, 1
	s_and_saveexec_b32 s31, s3
	s_cbranch_execz .LBB339_424
; %bb.419:                              ;   in Loop: Header=BB339_9 Depth=1
	v_bfe_u32 v19, v18, 24, 7
	v_mov_b32_e32 v16, 0x7f800001
	s_mov_b32 s33, exec_lo
	v_cmpx_ne_u32_e32 0x7f, v19
	s_cbranch_execz .LBB339_423
; %bb.420:                              ;   in Loop: Header=BB339_9 Depth=1
	v_and_b32_sdwa v1, v18, v87 dst_sel:DWORD dst_unused:UNUSED_PAD src0_sel:BYTE_3 src1_sel:DWORD
	v_lshrrev_b32_e32 v16, 3, v19
	s_mov_b32 s34, exec_lo
	v_cmpx_gt_u32_e32 8, v19
; %bb.421:                              ;   in Loop: Header=BB339_9 Depth=1
	v_ffbh_u32_e32 v16, v1
	v_min_u32_e32 v16, 32, v16
	v_subrev_nc_u32_e32 v19, 28, v16
	v_sub_nc_u32_e32 v16, 29, v16
	v_lshlrev_b64 v[19:20], v19, v[1:2]
	v_and_b32_e32 v1, 7, v19
; %bb.422:                              ;   in Loop: Header=BB339_9 Depth=1
	s_or_b32 exec_lo, exec_lo, s34
	v_lshlrev_b32_sdwa v18, v88, v18 dst_sel:DWORD dst_unused:UNUSED_PAD src0_sel:DWORD src1_sel:BYTE_3
	v_lshlrev_b32_e32 v1, 20, v1
	v_lshl_add_u32 v16, v16, 23, 0x3c000000
	v_and_b32_e32 v18, 0x80000000, v18
	v_or3_b32 v16, v1, v18, v16
.LBB339_423:                            ;   in Loop: Header=BB339_9 Depth=1
	s_or_b32 exec_lo, exec_lo, s33
.LBB339_424:                            ;   in Loop: Header=BB339_9 Depth=1
	s_or_b32 exec_lo, exec_lo, s31
.LBB339_425:                            ;   in Loop: Header=BB339_9 Depth=1
	s_or_b32 exec_lo, exec_lo, s4
	global_load_dword v20, v[7:8], off offset:1544
	v_mov_b32_e32 v19, 0
	v_mov_b32_e32 v18, 0
	s_waitcnt vmcnt(0)
	v_cmp_ne_u16_sdwa s3, v20, v2 src0_sel:BYTE_0 src1_sel:DWORD
	s_and_saveexec_b32 s4, s3
	s_cbranch_execz .LBB339_433
; %bb.426:                              ;   in Loop: Header=BB339_9 Depth=1
	v_cmp_ne_u16_sdwa s3, v20, v84 src0_sel:BYTE_0 src1_sel:DWORD
	v_bfrev_b32_e32 v18, 1
	s_and_saveexec_b32 s31, s3
	s_cbranch_execz .LBB339_432
; %bb.427:                              ;   in Loop: Header=BB339_9 Depth=1
	v_and_b32_e32 v24, 0x7f, v20
	v_mov_b32_e32 v18, 0x7f800001
	s_mov_b32 s33, exec_lo
	v_cmpx_ne_u32_e32 0x7f, v24
	s_cbranch_execz .LBB339_431
; %bb.428:                              ;   in Loop: Header=BB339_9 Depth=1
	v_and_b32_e32 v1, 7, v20
	v_lshrrev_b32_e32 v18, 3, v24
	s_mov_b32 s34, exec_lo
	v_cmpx_gt_u32_e32 8, v24
; %bb.429:                              ;   in Loop: Header=BB339_9 Depth=1
	v_ffbh_u32_e32 v18, v1
	v_min_u32_e32 v18, 32, v18
	v_subrev_nc_u32_e32 v24, 28, v18
	v_sub_nc_u32_e32 v18, 29, v18
	v_lshlrev_b64 v[24:25], v24, v[1:2]
	v_and_b32_e32 v1, 7, v24
; %bb.430:                              ;   in Loop: Header=BB339_9 Depth=1
	s_or_b32 exec_lo, exec_lo, s34
	v_lshlrev_b32_e32 v24, 24, v20
	v_lshlrev_b32_e32 v1, 20, v1
	v_lshl_add_u32 v18, v18, 23, 0x3c000000
	v_and_b32_e32 v24, 0x80000000, v24
	v_or3_b32 v18, v1, v24, v18
.LBB339_431:                            ;   in Loop: Header=BB339_9 Depth=1
	s_or_b32 exec_lo, exec_lo, s33
.LBB339_432:                            ;   in Loop: Header=BB339_9 Depth=1
	s_or_b32 exec_lo, exec_lo, s31
.LBB339_433:                            ;   in Loop: Header=BB339_9 Depth=1
	s_or_b32 exec_lo, exec_lo, s4
	v_cmp_ne_u16_sdwa s3, v20, v2 src0_sel:BYTE_1 src1_sel:DWORD
	s_and_saveexec_b32 s4, s3
	s_cbranch_execz .LBB339_441
; %bb.434:                              ;   in Loop: Header=BB339_9 Depth=1
	v_cmp_ne_u16_sdwa s3, v20, v84 src0_sel:BYTE_1 src1_sel:DWORD
	v_bfrev_b32_e32 v19, 1
	s_and_saveexec_b32 s31, s3
	s_cbranch_execz .LBB339_440
; %bb.435:                              ;   in Loop: Header=BB339_9 Depth=1
	v_and_b32_sdwa v1, v85, v20 dst_sel:DWORD dst_unused:UNUSED_PAD src0_sel:DWORD src1_sel:BYTE_1
	v_mov_b32_e32 v19, 0x7f800001
	s_mov_b32 s33, exec_lo
	v_and_b32_e32 v24, 0x7f, v1
	v_cmpx_ne_u32_e32 0x7f, v24
	s_cbranch_execz .LBB339_439
; %bb.436:                              ;   in Loop: Header=BB339_9 Depth=1
	v_and_b32_e32 v1, 7, v1
	v_lshrrev_b32_e32 v19, 3, v24
	s_mov_b32 s34, exec_lo
	v_cmpx_gt_u32_e32 8, v24
; %bb.437:                              ;   in Loop: Header=BB339_9 Depth=1
	v_ffbh_u32_e32 v19, v1
	v_min_u32_e32 v19, 32, v19
	v_subrev_nc_u32_e32 v24, 28, v19
	v_sub_nc_u32_e32 v19, 29, v19
	v_lshlrev_b64 v[24:25], v24, v[1:2]
	v_and_b32_e32 v1, 7, v24
; %bb.438:                              ;   in Loop: Header=BB339_9 Depth=1
	s_or_b32 exec_lo, exec_lo, s34
	v_lshlrev_b32_e32 v24, 16, v20
	v_lshlrev_b32_e32 v1, 20, v1
	v_lshl_add_u32 v19, v19, 23, 0x3c000000
	v_and_b32_e32 v24, 0x80000000, v24
	v_or3_b32 v19, v1, v24, v19
.LBB339_439:                            ;   in Loop: Header=BB339_9 Depth=1
	s_or_b32 exec_lo, exec_lo, s33
.LBB339_440:                            ;   in Loop: Header=BB339_9 Depth=1
	s_or_b32 exec_lo, exec_lo, s31
.LBB339_441:                            ;   in Loop: Header=BB339_9 Depth=1
	s_or_b32 exec_lo, exec_lo, s4
	v_and_b32_sdwa v1, v20, v86 dst_sel:DWORD dst_unused:UNUSED_PAD src0_sel:WORD_1 src1_sel:DWORD
	v_mov_b32_e32 v27, 0
	v_mov_b32_e32 v26, 0
	s_mov_b32 s4, exec_lo
	v_cmpx_ne_u16_e32 0, v1
	s_cbranch_execz .LBB339_449
; %bb.442:                              ;   in Loop: Header=BB339_9 Depth=1
	v_bfrev_b32_e32 v26, 1
	s_mov_b32 s31, exec_lo
	v_cmpx_ne_u16_e32 0x80, v1
	s_cbranch_execz .LBB339_448
; %bb.443:                              ;   in Loop: Header=BB339_9 Depth=1
	v_bfe_u32 v25, v20, 16, 7
	v_mov_b32_e32 v26, 0x7f800001
	s_mov_b32 s33, exec_lo
	v_cmpx_ne_u32_e32 0x7f, v25
	s_cbranch_execz .LBB339_447
; %bb.444:                              ;   in Loop: Header=BB339_9 Depth=1
	v_and_b32_sdwa v1, v20, v87 dst_sel:DWORD dst_unused:UNUSED_PAD src0_sel:WORD_1 src1_sel:DWORD
	v_lshrrev_b32_e32 v24, 3, v25
	s_mov_b32 s34, exec_lo
	v_cmpx_gt_u32_e32 8, v25
; %bb.445:                              ;   in Loop: Header=BB339_9 Depth=1
	v_ffbh_u32_e32 v24, v1
	v_min_u32_e32 v24, 32, v24
	v_subrev_nc_u32_e32 v25, 28, v24
	v_sub_nc_u32_e32 v24, 29, v24
	v_lshlrev_b64 v[25:26], v25, v[1:2]
	v_and_b32_e32 v1, 7, v25
; %bb.446:                              ;   in Loop: Header=BB339_9 Depth=1
	s_or_b32 exec_lo, exec_lo, s34
	v_lshlrev_b32_sdwa v25, v88, v20 dst_sel:DWORD dst_unused:UNUSED_PAD src0_sel:DWORD src1_sel:WORD_1
	v_lshlrev_b32_e32 v1, 20, v1
	v_lshl_add_u32 v24, v24, 23, 0x3c000000
	v_and_b32_e32 v25, 0x80000000, v25
	v_or3_b32 v26, v1, v25, v24
.LBB339_447:                            ;   in Loop: Header=BB339_9 Depth=1
	s_or_b32 exec_lo, exec_lo, s33
.LBB339_448:                            ;   in Loop: Header=BB339_9 Depth=1
	s_or_b32 exec_lo, exec_lo, s31
.LBB339_449:                            ;   in Loop: Header=BB339_9 Depth=1
	s_or_b32 exec_lo, exec_lo, s4
	s_mov_b32 s4, exec_lo
	v_cmpx_lt_u32_e32 0xffffff, v20
	s_cbranch_execz .LBB339_457
; %bb.450:                              ;   in Loop: Header=BB339_9 Depth=1
	v_cmp_ne_u32_sdwa s3, v20, v84 src0_sel:BYTE_3 src1_sel:DWORD
	v_bfrev_b32_e32 v27, 1
	s_and_saveexec_b32 s31, s3
	s_cbranch_execz .LBB339_456
; %bb.451:                              ;   in Loop: Header=BB339_9 Depth=1
	v_bfe_u32 v25, v20, 24, 7
	v_mov_b32_e32 v27, 0x7f800001
	s_mov_b32 s33, exec_lo
	v_cmpx_ne_u32_e32 0x7f, v25
	s_cbranch_execz .LBB339_455
; %bb.452:                              ;   in Loop: Header=BB339_9 Depth=1
	v_and_b32_sdwa v1, v20, v87 dst_sel:DWORD dst_unused:UNUSED_PAD src0_sel:BYTE_3 src1_sel:DWORD
	v_lshrrev_b32_e32 v24, 3, v25
	s_mov_b32 s34, exec_lo
	v_cmpx_gt_u32_e32 8, v25
; %bb.453:                              ;   in Loop: Header=BB339_9 Depth=1
	v_ffbh_u32_e32 v24, v1
	v_min_u32_e32 v24, 32, v24
	v_subrev_nc_u32_e32 v25, 28, v24
	v_sub_nc_u32_e32 v24, 29, v24
	v_lshlrev_b64 v[27:28], v25, v[1:2]
	v_and_b32_e32 v1, 7, v27
; %bb.454:                              ;   in Loop: Header=BB339_9 Depth=1
	s_or_b32 exec_lo, exec_lo, s34
	v_lshlrev_b32_sdwa v20, v88, v20 dst_sel:DWORD dst_unused:UNUSED_PAD src0_sel:DWORD src1_sel:BYTE_3
	v_lshlrev_b32_e32 v1, 20, v1
	v_lshl_add_u32 v24, v24, 23, 0x3c000000
	v_and_b32_e32 v20, 0x80000000, v20
	v_or3_b32 v27, v1, v20, v24
.LBB339_455:                            ;   in Loop: Header=BB339_9 Depth=1
	s_or_b32 exec_lo, exec_lo, s33
.LBB339_456:                            ;   in Loop: Header=BB339_9 Depth=1
	s_or_b32 exec_lo, exec_lo, s31
.LBB339_457:                            ;   in Loop: Header=BB339_9 Depth=1
	s_or_b32 exec_lo, exec_lo, s4
	global_load_dword v28, v[7:8], off offset:1792
	v_mov_b32_e32 v24, 0
	v_mov_b32_e32 v25, 0
	s_waitcnt vmcnt(0)
	v_cmp_ne_u16_sdwa s3, v28, v2 src0_sel:BYTE_0 src1_sel:DWORD
	s_and_saveexec_b32 s4, s3
	s_cbranch_execz .LBB339_465
; %bb.458:                              ;   in Loop: Header=BB339_9 Depth=1
	v_cmp_ne_u16_sdwa s3, v28, v84 src0_sel:BYTE_0 src1_sel:DWORD
	v_bfrev_b32_e32 v25, 1
	s_and_saveexec_b32 s31, s3
	s_cbranch_execz .LBB339_464
; %bb.459:                              ;   in Loop: Header=BB339_9 Depth=1
	v_and_b32_e32 v29, 0x7f, v28
	v_mov_b32_e32 v25, 0x7f800001
	s_mov_b32 s33, exec_lo
	v_cmpx_ne_u32_e32 0x7f, v29
	s_cbranch_execz .LBB339_463
; %bb.460:                              ;   in Loop: Header=BB339_9 Depth=1
	v_and_b32_e32 v1, 7, v28
	v_lshrrev_b32_e32 v20, 3, v29
	s_mov_b32 s34, exec_lo
	v_cmpx_gt_u32_e32 8, v29
; %bb.461:                              ;   in Loop: Header=BB339_9 Depth=1
	v_ffbh_u32_e32 v20, v1
	v_min_u32_e32 v20, 32, v20
	v_subrev_nc_u32_e32 v25, 28, v20
	v_sub_nc_u32_e32 v20, 29, v20
	v_lshlrev_b64 v[29:30], v25, v[1:2]
	v_and_b32_e32 v1, 7, v29
; %bb.462:                              ;   in Loop: Header=BB339_9 Depth=1
	s_or_b32 exec_lo, exec_lo, s34
	v_lshlrev_b32_e32 v25, 24, v28
	v_lshlrev_b32_e32 v1, 20, v1
	v_lshl_add_u32 v20, v20, 23, 0x3c000000
	v_and_b32_e32 v25, 0x80000000, v25
	v_or3_b32 v25, v1, v25, v20
.LBB339_463:                            ;   in Loop: Header=BB339_9 Depth=1
	s_or_b32 exec_lo, exec_lo, s33
.LBB339_464:                            ;   in Loop: Header=BB339_9 Depth=1
	s_or_b32 exec_lo, exec_lo, s31
.LBB339_465:                            ;   in Loop: Header=BB339_9 Depth=1
	s_or_b32 exec_lo, exec_lo, s4
	v_cmp_ne_u16_sdwa s3, v28, v2 src0_sel:BYTE_1 src1_sel:DWORD
	s_and_saveexec_b32 s4, s3
	s_cbranch_execz .LBB339_473
; %bb.466:                              ;   in Loop: Header=BB339_9 Depth=1
	v_cmp_ne_u16_sdwa s3, v28, v84 src0_sel:BYTE_1 src1_sel:DWORD
	v_bfrev_b32_e32 v24, 1
	s_and_saveexec_b32 s31, s3
	s_cbranch_execz .LBB339_472
; %bb.467:                              ;   in Loop: Header=BB339_9 Depth=1
	v_and_b32_sdwa v1, v85, v28 dst_sel:DWORD dst_unused:UNUSED_PAD src0_sel:DWORD src1_sel:BYTE_1
	v_mov_b32_e32 v24, 0x7f800001
	s_mov_b32 s33, exec_lo
	v_and_b32_e32 v29, 0x7f, v1
	v_cmpx_ne_u32_e32 0x7f, v29
	s_cbranch_execz .LBB339_471
; %bb.468:                              ;   in Loop: Header=BB339_9 Depth=1
	v_and_b32_e32 v1, 7, v1
	v_lshrrev_b32_e32 v20, 3, v29
	s_mov_b32 s34, exec_lo
	v_cmpx_gt_u32_e32 8, v29
; %bb.469:                              ;   in Loop: Header=BB339_9 Depth=1
	v_ffbh_u32_e32 v20, v1
	v_min_u32_e32 v20, 32, v20
	v_subrev_nc_u32_e32 v24, 28, v20
	v_sub_nc_u32_e32 v20, 29, v20
	v_lshlrev_b64 v[29:30], v24, v[1:2]
	v_and_b32_e32 v1, 7, v29
; %bb.470:                              ;   in Loop: Header=BB339_9 Depth=1
	s_or_b32 exec_lo, exec_lo, s34
	v_lshlrev_b32_e32 v24, 16, v28
	v_lshlrev_b32_e32 v1, 20, v1
	v_lshl_add_u32 v20, v20, 23, 0x3c000000
	v_and_b32_e32 v24, 0x80000000, v24
	v_or3_b32 v24, v1, v24, v20
.LBB339_471:                            ;   in Loop: Header=BB339_9 Depth=1
	s_or_b32 exec_lo, exec_lo, s33
.LBB339_472:                            ;   in Loop: Header=BB339_9 Depth=1
	s_or_b32 exec_lo, exec_lo, s31
.LBB339_473:                            ;   in Loop: Header=BB339_9 Depth=1
	s_or_b32 exec_lo, exec_lo, s4
	v_and_b32_sdwa v1, v28, v86 dst_sel:DWORD dst_unused:UNUSED_PAD src0_sel:WORD_1 src1_sel:DWORD
	v_mov_b32_e32 v30, 0
	v_mov_b32_e32 v20, 0
	s_mov_b32 s4, exec_lo
	v_cmpx_ne_u16_e32 0, v1
	s_cbranch_execz .LBB339_481
; %bb.474:                              ;   in Loop: Header=BB339_9 Depth=1
	v_bfrev_b32_e32 v20, 1
	s_mov_b32 s31, exec_lo
	v_cmpx_ne_u16_e32 0x80, v1
	s_cbranch_execz .LBB339_480
; %bb.475:                              ;   in Loop: Header=BB339_9 Depth=1
	v_bfe_u32 v29, v28, 16, 7
	v_mov_b32_e32 v20, 0x7f800001
	s_mov_b32 s33, exec_lo
	v_cmpx_ne_u32_e32 0x7f, v29
	s_cbranch_execz .LBB339_479
; %bb.476:                              ;   in Loop: Header=BB339_9 Depth=1
	v_and_b32_sdwa v1, v28, v87 dst_sel:DWORD dst_unused:UNUSED_PAD src0_sel:WORD_1 src1_sel:DWORD
	v_lshrrev_b32_e32 v20, 3, v29
	s_mov_b32 s34, exec_lo
	v_cmpx_gt_u32_e32 8, v29
; %bb.477:                              ;   in Loop: Header=BB339_9 Depth=1
	v_ffbh_u32_e32 v20, v1
	v_min_u32_e32 v20, 32, v20
	v_subrev_nc_u32_e32 v29, 28, v20
	v_sub_nc_u32_e32 v20, 29, v20
	v_lshlrev_b64 v[31:32], v29, v[1:2]
	v_and_b32_e32 v1, 7, v31
; %bb.478:                              ;   in Loop: Header=BB339_9 Depth=1
	s_or_b32 exec_lo, exec_lo, s34
	v_lshlrev_b32_sdwa v29, v88, v28 dst_sel:DWORD dst_unused:UNUSED_PAD src0_sel:DWORD src1_sel:WORD_1
	v_lshlrev_b32_e32 v1, 20, v1
	v_lshl_add_u32 v20, v20, 23, 0x3c000000
	v_and_b32_e32 v29, 0x80000000, v29
	v_or3_b32 v20, v1, v29, v20
.LBB339_479:                            ;   in Loop: Header=BB339_9 Depth=1
	s_or_b32 exec_lo, exec_lo, s33
.LBB339_480:                            ;   in Loop: Header=BB339_9 Depth=1
	s_or_b32 exec_lo, exec_lo, s31
.LBB339_481:                            ;   in Loop: Header=BB339_9 Depth=1
	s_or_b32 exec_lo, exec_lo, s4
	s_mov_b32 s4, exec_lo
	v_cmpx_lt_u32_e32 0xffffff, v28
	s_cbranch_execz .LBB339_489
; %bb.482:                              ;   in Loop: Header=BB339_9 Depth=1
	v_cmp_ne_u32_sdwa s3, v28, v84 src0_sel:BYTE_3 src1_sel:DWORD
	v_bfrev_b32_e32 v30, 1
	s_and_saveexec_b32 s31, s3
	s_cbranch_execz .LBB339_488
; %bb.483:                              ;   in Loop: Header=BB339_9 Depth=1
	v_bfe_u32 v31, v28, 24, 7
	v_mov_b32_e32 v30, 0x7f800001
	s_mov_b32 s33, exec_lo
	v_cmpx_ne_u32_e32 0x7f, v31
	s_cbranch_execz .LBB339_487
; %bb.484:                              ;   in Loop: Header=BB339_9 Depth=1
	v_and_b32_sdwa v1, v28, v87 dst_sel:DWORD dst_unused:UNUSED_PAD src0_sel:BYTE_3 src1_sel:DWORD
	v_lshrrev_b32_e32 v29, 3, v31
	s_mov_b32 s34, exec_lo
	v_cmpx_gt_u32_e32 8, v31
; %bb.485:                              ;   in Loop: Header=BB339_9 Depth=1
	v_ffbh_u32_e32 v29, v1
	v_min_u32_e32 v29, 32, v29
	v_subrev_nc_u32_e32 v30, 28, v29
	v_sub_nc_u32_e32 v29, 29, v29
	v_lshlrev_b64 v[30:31], v30, v[1:2]
	v_and_b32_e32 v1, 7, v30
; %bb.486:                              ;   in Loop: Header=BB339_9 Depth=1
	s_or_b32 exec_lo, exec_lo, s34
	v_lshlrev_b32_sdwa v28, v88, v28 dst_sel:DWORD dst_unused:UNUSED_PAD src0_sel:DWORD src1_sel:BYTE_3
	v_lshlrev_b32_e32 v1, 20, v1
	v_lshl_add_u32 v29, v29, 23, 0x3c000000
	v_and_b32_e32 v28, 0x80000000, v28
	v_or3_b32 v30, v1, v28, v29
.LBB339_487:                            ;   in Loop: Header=BB339_9 Depth=1
	s_or_b32 exec_lo, exec_lo, s33
.LBB339_488:                            ;   in Loop: Header=BB339_9 Depth=1
	s_or_b32 exec_lo, exec_lo, s31
.LBB339_489:                            ;   in Loop: Header=BB339_9 Depth=1
	s_or_b32 exec_lo, exec_lo, s4
	global_load_dword v31, v[7:8], off offset:1800
	v_mov_b32_e32 v33, 0
	v_mov_b32_e32 v32, 0
	s_waitcnt vmcnt(0)
	v_cmp_ne_u16_sdwa s3, v31, v2 src0_sel:BYTE_0 src1_sel:DWORD
	s_and_saveexec_b32 s4, s3
	s_cbranch_execz .LBB339_497
; %bb.490:                              ;   in Loop: Header=BB339_9 Depth=1
	v_cmp_ne_u16_sdwa s3, v31, v84 src0_sel:BYTE_0 src1_sel:DWORD
	v_bfrev_b32_e32 v32, 1
	s_and_saveexec_b32 s31, s3
	s_cbranch_execz .LBB339_496
; %bb.491:                              ;   in Loop: Header=BB339_9 Depth=1
	v_and_b32_e32 v8, 0x7f, v31
	v_mov_b32_e32 v32, 0x7f800001
	s_mov_b32 s33, exec_lo
	v_cmpx_ne_u32_e32 0x7f, v8
	s_cbranch_execz .LBB339_495
; %bb.492:                              ;   in Loop: Header=BB339_9 Depth=1
	v_and_b32_e32 v1, 7, v31
	v_lshrrev_b32_e32 v7, 3, v8
	s_mov_b32 s34, exec_lo
	v_cmpx_gt_u32_e32 8, v8
; %bb.493:                              ;   in Loop: Header=BB339_9 Depth=1
	v_ffbh_u32_e32 v7, v1
	v_min_u32_e32 v7, 32, v7
	v_subrev_nc_u32_e32 v8, 28, v7
	v_sub_nc_u32_e32 v7, 29, v7
	v_lshlrev_b64 v[28:29], v8, v[1:2]
	v_and_b32_e32 v1, 7, v28
; %bb.494:                              ;   in Loop: Header=BB339_9 Depth=1
	s_or_b32 exec_lo, exec_lo, s34
	v_lshlrev_b32_e32 v8, 24, v31
	v_lshlrev_b32_e32 v1, 20, v1
	v_lshl_add_u32 v7, v7, 23, 0x3c000000
	v_and_b32_e32 v8, 0x80000000, v8
	v_or3_b32 v32, v1, v8, v7
.LBB339_495:                            ;   in Loop: Header=BB339_9 Depth=1
	s_or_b32 exec_lo, exec_lo, s33
.LBB339_496:                            ;   in Loop: Header=BB339_9 Depth=1
	s_or_b32 exec_lo, exec_lo, s31
.LBB339_497:                            ;   in Loop: Header=BB339_9 Depth=1
	s_or_b32 exec_lo, exec_lo, s4
	v_cmp_ne_u16_sdwa s3, v31, v2 src0_sel:BYTE_1 src1_sel:DWORD
	s_and_saveexec_b32 s4, s3
	s_cbranch_execz .LBB339_505
; %bb.498:                              ;   in Loop: Header=BB339_9 Depth=1
	v_cmp_ne_u16_sdwa s3, v31, v84 src0_sel:BYTE_1 src1_sel:DWORD
	v_bfrev_b32_e32 v33, 1
	s_and_saveexec_b32 s31, s3
	s_cbranch_execz .LBB339_504
; %bb.499:                              ;   in Loop: Header=BB339_9 Depth=1
	v_and_b32_sdwa v1, v85, v31 dst_sel:DWORD dst_unused:UNUSED_PAD src0_sel:DWORD src1_sel:BYTE_1
	v_mov_b32_e32 v33, 0x7f800001
	s_mov_b32 s33, exec_lo
	v_and_b32_e32 v7, 0x7f, v1
	v_cmpx_ne_u32_e32 0x7f, v7
	s_cbranch_execz .LBB339_503
; %bb.500:                              ;   in Loop: Header=BB339_9 Depth=1
	v_and_b32_e32 v1, 7, v1
	v_lshrrev_b32_e32 v28, 3, v7
	v_cmp_gt_u32_e64 s3, 8, v7
	v_mov_b32_e32 v8, v2
	v_mov_b32_e32 v7, v1
	s_and_saveexec_b32 s34, s3
; %bb.501:                              ;   in Loop: Header=BB339_9 Depth=1
	v_ffbh_u32_e32 v7, v1
	v_min_u32_e32 v28, 32, v7
	v_subrev_nc_u32_e32 v7, 28, v28
	v_sub_nc_u32_e32 v28, 29, v28
	v_lshlrev_b64 v[7:8], v7, v[1:2]
	v_and_b32_e32 v7, 7, v7
; %bb.502:                              ;   in Loop: Header=BB339_9 Depth=1
	s_or_b32 exec_lo, exec_lo, s34
	v_lshlrev_b32_e32 v1, 16, v31
	v_lshlrev_b32_e32 v7, 20, v7
	v_lshl_add_u32 v8, v28, 23, 0x3c000000
	v_and_b32_e32 v1, 0x80000000, v1
	v_or3_b32 v33, v7, v1, v8
.LBB339_503:                            ;   in Loop: Header=BB339_9 Depth=1
	s_or_b32 exec_lo, exec_lo, s33
.LBB339_504:                            ;   in Loop: Header=BB339_9 Depth=1
	s_or_b32 exec_lo, exec_lo, s31
.LBB339_505:                            ;   in Loop: Header=BB339_9 Depth=1
	s_or_b32 exec_lo, exec_lo, s4
	v_and_b32_sdwa v1, v31, v86 dst_sel:DWORD dst_unused:UNUSED_PAD src0_sel:WORD_1 src1_sel:DWORD
	v_mov_b32_e32 v28, 0
	v_mov_b32_e32 v29, 0
	s_mov_b32 s4, exec_lo
	v_cmpx_ne_u16_e32 0, v1
	s_cbranch_execz .LBB339_513
; %bb.506:                              ;   in Loop: Header=BB339_9 Depth=1
	v_bfrev_b32_e32 v29, 1
	s_mov_b32 s31, exec_lo
	v_cmpx_ne_u16_e32 0x80, v1
	s_cbranch_execz .LBB339_512
; %bb.507:                              ;   in Loop: Header=BB339_9 Depth=1
	v_bfe_u32 v7, v31, 16, 7
	v_mov_b32_e32 v29, 0x7f800001
	s_mov_b32 s33, exec_lo
	v_cmpx_ne_u32_e32 0x7f, v7
	s_cbranch_execz .LBB339_511
; %bb.508:                              ;   in Loop: Header=BB339_9 Depth=1
	v_and_b32_sdwa v1, v31, v87 dst_sel:DWORD dst_unused:UNUSED_PAD src0_sel:WORD_1 src1_sel:DWORD
	v_lshrrev_b32_e32 v29, 3, v7
	v_cmp_gt_u32_e64 s3, 8, v7
	v_mov_b32_e32 v8, v2
	v_mov_b32_e32 v7, v1
	s_and_saveexec_b32 s34, s3
; %bb.509:                              ;   in Loop: Header=BB339_9 Depth=1
	v_ffbh_u32_e32 v7, v1
	v_min_u32_e32 v29, 32, v7
	v_subrev_nc_u32_e32 v7, 28, v29
	v_sub_nc_u32_e32 v29, 29, v29
	v_lshlrev_b64 v[7:8], v7, v[1:2]
	v_and_b32_e32 v7, 7, v7
; %bb.510:                              ;   in Loop: Header=BB339_9 Depth=1
	s_or_b32 exec_lo, exec_lo, s34
	v_lshlrev_b32_sdwa v1, v88, v31 dst_sel:DWORD dst_unused:UNUSED_PAD src0_sel:DWORD src1_sel:WORD_1
	v_lshlrev_b32_e32 v7, 20, v7
	v_lshl_add_u32 v8, v29, 23, 0x3c000000
	v_and_b32_e32 v1, 0x80000000, v1
	v_or3_b32 v29, v7, v1, v8
.LBB339_511:                            ;   in Loop: Header=BB339_9 Depth=1
	s_or_b32 exec_lo, exec_lo, s33
.LBB339_512:                            ;   in Loop: Header=BB339_9 Depth=1
	s_or_b32 exec_lo, exec_lo, s31
.LBB339_513:                            ;   in Loop: Header=BB339_9 Depth=1
	s_or_b32 exec_lo, exec_lo, s4
	s_mov_b32 s4, exec_lo
	v_cmpx_lt_u32_e32 0xffffff, v31
	s_cbranch_execz .LBB339_521
; %bb.514:                              ;   in Loop: Header=BB339_9 Depth=1
	v_cmp_ne_u32_sdwa s3, v31, v84 src0_sel:BYTE_3 src1_sel:DWORD
	v_bfrev_b32_e32 v28, 1
	s_and_saveexec_b32 s31, s3
	s_cbranch_execz .LBB339_520
; %bb.515:                              ;   in Loop: Header=BB339_9 Depth=1
	v_bfe_u32 v7, v31, 24, 7
	v_mov_b32_e32 v28, 0x7f800001
	s_mov_b32 s33, exec_lo
	v_cmpx_ne_u32_e32 0x7f, v7
	s_cbranch_execz .LBB339_519
; %bb.516:                              ;   in Loop: Header=BB339_9 Depth=1
	v_and_b32_sdwa v1, v31, v87 dst_sel:DWORD dst_unused:UNUSED_PAD src0_sel:BYTE_3 src1_sel:DWORD
	v_lshrrev_b32_e32 v28, 3, v7
	v_cmp_gt_u32_e64 s3, 8, v7
	v_mov_b32_e32 v8, v2
	v_mov_b32_e32 v7, v1
	s_and_saveexec_b32 s34, s3
; %bb.517:                              ;   in Loop: Header=BB339_9 Depth=1
	v_ffbh_u32_e32 v7, v1
	v_min_u32_e32 v28, 32, v7
	v_subrev_nc_u32_e32 v7, 28, v28
	v_sub_nc_u32_e32 v28, 29, v28
	v_lshlrev_b64 v[7:8], v7, v[1:2]
	v_and_b32_e32 v7, 7, v7
; %bb.518:                              ;   in Loop: Header=BB339_9 Depth=1
	s_or_b32 exec_lo, exec_lo, s34
	v_lshlrev_b32_sdwa v1, v88, v31 dst_sel:DWORD dst_unused:UNUSED_PAD src0_sel:DWORD src1_sel:BYTE_3
	v_lshlrev_b32_e32 v7, 20, v7
	v_lshl_add_u32 v8, v28, 23, 0x3c000000
	v_and_b32_e32 v1, 0x80000000, v1
	v_or3_b32 v28, v7, v1, v8
.LBB339_519:                            ;   in Loop: Header=BB339_9 Depth=1
	s_or_b32 exec_lo, exec_lo, s33
.LBB339_520:                            ;   in Loop: Header=BB339_9 Depth=1
	s_or_b32 exec_lo, exec_lo, s31
.LBB339_521:                            ;   in Loop: Header=BB339_9 Depth=1
	s_or_b32 exec_lo, exec_lo, s4
	v_mul_f32_e32 v1, s5, v33
	v_mul_f32_e32 v24, s5, v24
	v_mul_f32_e32 v25, s5, v25
	v_mul_f32_e32 v26, s5, v26
	v_mul_f32_e32 v27, s5, v27
	v_bfe_u32 v7, v1, 16, 1
	v_or_b32_e32 v8, 0x400000, v1
	v_cmp_u_f32_e64 s3, v1, v1
	v_mul_f32_e32 v19, s5, v19
	v_mul_f32_e32 v18, s5, v18
	v_add3_u32 v7, v7, v1, 0x7fff
	v_mul_f32_e32 v17, s5, v17
	v_mul_f32_e32 v16, s5, v16
	v_mul_f32_e32 v15, s5, v15
	v_mul_f32_e32 v14, s5, v14
	v_cndmask_b32_e64 v1, v7, v8, s3
	v_mul_f32_e32 v7, s5, v32
	v_mul_f32_e32 v12, s5, v12
	v_mul_f32_e32 v11, s5, v11
	v_mul_f32_e32 v0, s5, v0
	v_mul_f32_e32 v10, s5, v10
	v_bfe_u32 v8, v7, 16, 1
	v_or_b32_e32 v31, 0x400000, v7
	v_cmp_u_f32_e64 s3, v7, v7
	v_mul_f32_e32 v23, s5, v23
	v_mul_f32_e32 v9, s5, v9
	v_add3_u32 v8, v8, v7, 0x7fff
	v_mul_f32_e32 v22, s5, v22
	v_mul_f32_e32 v13, s5, v13
	v_mul_f32_e32 v107, s5, v107
	v_mul_f32_e32 v106, s5, v106
	v_cndmask_b32_e64 v7, v8, v31, s3
	;; [unrolled: 16-line block ×3, first 2 shown]
	v_bfe_u32 v30, v8, 16, 1
	v_or_b32_e32 v31, 0x400000, v8
	v_cmp_u_f32_e64 s3, v8, v8
	v_mul_f32_e32 v96, s5, v96
	v_mul_f32_e32 v95, s5, v95
	v_add3_u32 v30, v30, v8, 0x7fff
	v_mul_f32_e32 v94, s5, v94
	v_mul_f32_e32 v93, s5, v93
	;; [unrolled: 1-line block ×4, first 2 shown]
	v_cndmask_b32_e64 v8, v30, v31, s3
	v_bfe_u32 v30, v24, 16, 1
	v_or_b32_e32 v31, 0x400000, v24
	v_cmp_u_f32_e64 s3, v24, v24
	v_mul_f32_e32 v90, s5, v90
	v_mul_f32_e32 v29, s5, v29
	v_add3_u32 v30, v30, v24, 0x7fff
	v_mul_f32_e32 v28, s5, v28
	v_cndmask_b32_e64 v24, v30, v31, s3
	v_bfe_u32 v30, v25, 16, 1
	v_or_b32_e32 v31, 0x400000, v25
	v_cmp_u_f32_e64 s3, v25, v25
	v_add3_u32 v30, v30, v25, 0x7fff
	v_cndmask_b32_e64 v25, v30, v31, s3
	v_bfe_u32 v30, v26, 16, 1
	v_or_b32_e32 v31, 0x400000, v26
	v_cmp_u_f32_e64 s3, v26, v26
	v_add3_u32 v30, v30, v26, 0x7fff
	;; [unrolled: 5-line block ×12, first 2 shown]
	v_cndmask_b32_e64 v0, v30, v31, s3
	v_bfe_u32 v30, v10, 16, 1
	v_or_b32_e32 v31, 0x400000, v10
	v_cmp_u_f32_e64 s3, v10, v10
	v_and_b32_e32 v0, 0xffff0000, v0
	v_add3_u32 v30, v30, v10, 0x7fff
	v_cndmask_b32_e64 v10, v30, v31, s3
	v_mul_f32_e32 v30, s5, v46
	v_bfe_u32 v31, v30, 16, 1
	v_or_b32_e32 v32, 0x400000, v30
	v_cmp_u_f32_e64 s3, v30, v30
	v_add3_u32 v31, v31, v30, 0x7fff
	v_bfe_u32 v30, v23, 16, 1
	v_cndmask_b32_e64 v46, v31, v32, s3
	v_add3_u32 v30, v30, v23, 0x7fff
	v_or_b32_e32 v31, 0x400000, v23
	v_cmp_u_f32_e64 s3, v23, v23
	v_cndmask_b32_e64 v23, v30, v31, s3
	v_bfe_u32 v30, v9, 16, 1
	v_or_b32_e32 v31, 0x400000, v9
	v_cmp_u_f32_e64 s3, v9, v9
	v_add3_u32 v30, v30, v9, 0x7fff
	v_cndmask_b32_e64 v9, v30, v31, s3
	v_bfe_u32 v30, v22, 16, 1
	v_or_b32_e32 v31, 0x400000, v22
	v_cmp_u_f32_e64 s3, v22, v22
	v_and_b32_e32 v9, 0xffff0000, v9
	v_add3_u32 v30, v30, v22, 0x7fff
	v_cndmask_b32_e64 v22, v30, v31, s3
	v_bfe_u32 v30, v13, 16, 1
	v_or_b32_e32 v31, 0x400000, v13
	v_cmp_u_f32_e64 s3, v13, v13
	v_add3_u32 v30, v30, v13, 0x7fff
	v_mul_f32_e32 v13, s5, v21
	v_cndmask_b32_e64 v30, v30, v31, s3
	v_bfe_u32 v21, v13, 16, 1
	v_or_b32_e32 v31, 0x400000, v13
	v_cmp_u_f32_e64 s3, v13, v13
	v_add3_u32 v21, v21, v13, 0x7fff
	v_cndmask_b32_e64 v13, v21, v31, s3
	v_mul_f32_e32 v21, s5, v127
	v_and_b32_e32 v13, 0xffff0000, v13
	v_bfe_u32 v31, v21, 16, 1
	v_or_b32_e32 v32, 0x400000, v21
	v_cmp_u_f32_e64 s3, v21, v21
	v_add3_u32 v31, v31, v21, 0x7fff
	v_cndmask_b32_e64 v21, v31, v32, s3
	v_mul_f32_e32 v31, s5, v126
	v_and_b32_e32 v21, 0xffff0000, v21
	v_bfe_u32 v32, v31, 16, 1
	v_or_b32_e32 v33, 0x400000, v31
	v_cmp_u_f32_e64 s3, v31, v31
	v_add3_u32 v32, v32, v31, 0x7fff
	v_mul_f32_e32 v31, s5, v125
	v_cndmask_b32_e64 v126, v32, v33, s3
	v_bfe_u32 v32, v31, 16, 1
	v_or_b32_e32 v33, 0x400000, v31
	v_cmp_u_f32_e64 s3, v31, v31
	v_add3_u32 v32, v32, v31, 0x7fff
	v_mul_f32_e32 v31, s5, v124
	v_cndmask_b32_e64 v125, v32, v33, s3
	;; [unrolled: 6-line block ×16, first 2 shown]
	v_bfe_u32 v32, v31, 16, 1
	v_or_b32_e32 v33, 0x400000, v31
	v_cmp_u_f32_e64 s3, v31, v31
	v_add3_u32 v32, v32, v31, 0x7fff
	v_cndmask_b32_e64 v31, v32, v33, s3
	v_mul_f32_e32 v32, s5, v109
	v_and_b32_e32 v31, 0xffff0000, v31
	v_bfe_u32 v33, v32, 16, 1
	v_or_b32_e32 v109, 0x400000, v32
	v_cmp_u_f32_e64 s3, v32, v32
	v_add3_u32 v33, v33, v32, 0x7fff
	v_mul_f32_e32 v32, s5, v108
	v_cndmask_b32_e64 v33, v33, v109, s3
	v_bfe_u32 v108, v32, 16, 1
	v_or_b32_e32 v109, 0x400000, v32
	v_cmp_u_f32_e64 s3, v32, v32
	v_and_b32_e32 v33, 0xffff0000, v33
	v_add3_u32 v108, v108, v32, 0x7fff
	v_cndmask_b32_e64 v32, v108, v109, s3
	v_bfe_u32 v108, v107, 16, 1
	v_or_b32_e32 v109, 0x400000, v107
	v_cmp_u_f32_e64 s3, v107, v107
	v_and_b32_e32 v32, 0xffff0000, v32
	v_add3_u32 v108, v108, v107, 0x7fff
	v_cndmask_b32_e64 v107, v108, v109, s3
	v_bfe_u32 v108, v106, 16, 1
	v_or_b32_e32 v109, 0x400000, v106
	v_cmp_u_f32_e64 s3, v106, v106
	v_add3_u32 v108, v108, v106, 0x7fff
	v_cndmask_b32_e64 v106, v108, v109, s3
	v_bfe_u32 v108, v105, 16, 1
	v_or_b32_e32 v109, 0x400000, v105
	v_cmp_u_f32_e64 s3, v105, v105
	;; [unrolled: 5-line block ×15, first 2 shown]
	v_and_b32_e32 v93, 0xffff0000, v93
	v_add3_u32 v108, v108, v92, 0x7fff
	v_bfe_u32 v92, v91, 16, 1
	v_cndmask_b32_e64 v108, v108, v109, s3
	v_add3_u32 v92, v92, v91, 0x7fff
	v_or_b32_e32 v109, 0x400000, v91
	v_cmp_u_f32_e64 s3, v91, v91
	v_cndmask_b32_e64 v91, v92, v109, s3
	v_bfe_u32 v92, v90, 16, 1
	v_or_b32_e32 v109, 0x400000, v90
	v_cmp_u_f32_e64 s3, v90, v90
	v_add3_u32 v92, v92, v90, 0x7fff
	v_cndmask_b32_e64 v90, v92, v109, s3
	v_bfe_u32 v92, v29, 16, 1
	v_or_b32_e32 v109, 0x400000, v29
	v_cmp_u_f32_e64 s3, v29, v29
	v_add3_u32 v92, v92, v29, 0x7fff
	;; [unrolled: 5-line block ×3, first 2 shown]
	v_cndmask_b32_e64 v28, v92, v109, s3
	v_and_b32_e32 v92, 0xffff0000, v94
	v_and_b32_e32 v94, 0xffff0000, v90
	buffer_load_dword v90, off, s[36:39], 0 offset:16 ; 4-byte Folded Reload
	s_waitcnt vmcnt(0)
	v_mul_f32_e32 v90, v90, v92
	buffer_load_dword v92, off, s[36:39], 0 ; 4-byte Folded Reload
	s_waitcnt vmcnt(0)
	v_fmac_f32_e32 v90, v92, v94
	v_and_b32_e32 v94, 0xffff0000, v91
	buffer_load_dword v91, off, s[36:39], 0 offset:20 ; 4-byte Folded Reload
	v_and_b32_e32 v92, 0xffff0000, v95
	buffer_load_dword v95, off, s[36:39], 0 offset:28 ; 4-byte Folded Reload
	s_waitcnt vmcnt(1)
	v_mul_f32_e32 v91, v91, v92
	buffer_load_dword v92, off, s[36:39], 0 offset:4 ; 4-byte Folded Reload
	s_waitcnt vmcnt(0)
	v_fmac_f32_e32 v91, v92, v94
	buffer_load_dword v94, off, s[36:39], 0 offset:24 ; 4-byte Folded Reload
	v_and_b32_e32 v92, 0xffff0000, v97
	s_waitcnt vmcnt(0)
	v_mul_f32_e32 v92, v94, v92
	buffer_load_dword v94, off, s[36:39], 0 offset:8 ; 4-byte Folded Reload
	s_waitcnt vmcnt(0)
	v_fmac_f32_e32 v92, v94, v93
	v_and_b32_e32 v93, 0xffff0000, v96
	v_and_b32_e32 v94, 0xffff0000, v108
	v_mul_f32_e32 v93, v95, v93
	buffer_load_dword v95, off, s[36:39], 0 offset:12 ; 4-byte Folded Reload
	s_waitcnt vmcnt(0)
	v_fmac_f32_e32 v93, v95, v94
	buffer_load_dword v95, off, s[36:39], 0 offset:32 ; 4-byte Folded Reload
	v_and_b32_e32 v94, 0xffff0000, v98
	s_waitcnt vmcnt(0)
	v_fmac_f32_e32 v90, v95, v94
	buffer_load_dword v95, off, s[36:39], 0 offset:36 ; 4-byte Folded Reload
	v_and_b32_e32 v94, 0xffff0000, v99
	;; [unrolled: 4-line block ×9, first 2 shown]
	v_fmac_f32_e32 v93, v34, v32
	s_waitcnt vmcnt(0)
	v_fmac_f32_e32 v90, v95, v94
	buffer_load_dword v95, off, s[36:39], 0 offset:68 ; 4-byte Folded Reload
	v_and_b32_e32 v94, 0xffff0000, v107
	v_fmac_f32_e32 v90, v35, v31
	v_and_b32_e32 v31, 0xffff0000, v111
	s_waitcnt vmcnt(0)
	v_fmac_f32_e32 v91, v95, v94
	buffer_load_dword v94, off, s[36:39], 0 offset:72 ; 4-byte Folded Reload
	v_fmac_f32_e32 v91, v36, v31
	v_and_b32_e32 v31, 0xffff0000, v113
	s_waitcnt vmcnt(0)
	v_fmac_f32_e32 v92, v94, v33
	v_fmac_f32_e32 v92, v37, v31
	v_and_b32_e32 v31, 0xffff0000, v112
	v_fmac_f32_e32 v93, v38, v31
	v_and_b32_e32 v31, 0xffff0000, v114
	;; [unrolled: 2-line block ×12, first 2 shown]
	v_fmac_f32_e32 v91, v53, v21
	v_fmac_f32_e32 v92, v50, v31
	v_and_b32_e32 v31, 0xffff0000, v124
	v_and_b32_e32 v21, 0xffff0000, v30
	v_fmac_f32_e32 v91, v57, v9
	v_and_b32_e32 v9, 0xffff0000, v46
	v_fmac_f32_e32 v93, v51, v31
	;; [unrolled: 2-line block ×3, first 2 shown]
	v_fmac_f32_e32 v91, v61, v0
	v_and_b32_e32 v0, 0xffff0000, v12
	v_fmac_f32_e32 v93, v55, v13
	v_fmac_f32_e32 v90, v52, v31
	v_and_b32_e32 v13, 0xffff0000, v22
	v_fmac_f32_e32 v92, v58, v9
	v_and_b32_e32 v9, 0xffff0000, v23
	v_fmac_f32_e32 v90, v56, v13
	v_fmac_f32_e32 v92, v62, v0
	v_fmac_f32_e32 v93, v59, v9
	v_and_b32_e32 v9, 0xffff0000, v10
	v_and_b32_e32 v0, 0xffff0000, v11
	v_fmac_f32_e32 v90, v60, v9
	v_fmac_f32_e32 v93, v63, v0
	v_and_b32_e32 v0, 0xffff0000, v14
	v_fmac_f32_e32 v90, v64, v0
	v_and_b32_e32 v0, 0xffff0000, v15
	v_fmac_f32_e32 v91, v65, v0
	v_and_b32_e32 v0, 0xffff0000, v17
	v_fmac_f32_e32 v92, v66, v0
	v_and_b32_e32 v0, 0xffff0000, v16
	v_fmac_f32_e32 v93, v67, v0
	v_and_b32_e32 v0, 0xffff0000, v18
	v_fmac_f32_e32 v90, v68, v0
	v_and_b32_e32 v0, 0xffff0000, v19
	v_fmac_f32_e32 v91, v69, v0
	v_and_b32_e32 v0, 0xffff0000, v26
	v_fmac_f32_e32 v92, v70, v0
	v_and_b32_e32 v0, 0xffff0000, v27
	v_fmac_f32_e32 v93, v71, v0
	v_and_b32_e32 v0, 0xffff0000, v25
	v_fmac_f32_e32 v90, v72, v0
	v_and_b32_e32 v0, 0xffff0000, v24
	v_fmac_f32_e32 v91, v73, v0
	v_and_b32_e32 v0, 0xffff0000, v20
	v_fmac_f32_e32 v92, v74, v0
	v_and_b32_e32 v0, 0xffff0000, v7
	v_fmac_f32_e32 v90, v76, v0
	v_and_b32_e32 v0, 0xffff0000, v1
	v_and_b32_e32 v1, 0xffff0000, v28
	v_fmac_f32_e32 v91, v77, v0
	v_and_b32_e32 v0, 0xffff0000, v8
	v_fmac_f32_e32 v93, v75, v0
	v_and_b32_e32 v0, 0xffff0000, v29
	v_fmac_f32_e32 v93, v79, v1
	v_fmac_f32_e32 v92, v78, v0
	v_add_f32_e32 v0, v90, v91
	v_add_f32_e32 v0, v0, v92
	;; [unrolled: 1-line block ×3, first 2 shown]
	ds_bpermute_b32 v1, v81, v0
	s_and_saveexec_b32 s4, vcc_lo
	s_cbranch_execz .LBB339_8
; %bb.522:                              ;   in Loop: Header=BB339_9 Depth=1
	v_add_nc_u32_e32 v7, s16, v82
	s_waitcnt lgkmcnt(0)
	v_add_f32_e32 v0, v0, v1
	v_cmp_gt_i32_e64 s3, s11, v82
	v_cvt_f32_i32_e32 v7, v7
	v_mul_f32_e32 v7, s28, v7
	v_cndmask_b32_e64 v1, 0, v7, s2
	v_max_f32_e32 v7, v80, v80
	v_fmac_f32_e32 v1, s29, v0
	v_max_f32_e32 v0, v7, v1
	v_cndmask_b32_e64 v1, 0, v1, s3
	v_cndmask_b32_e64 v80, v80, v0, s3
	ds_write_b32 v83, v1
	s_branch .LBB339_8
.LBB339_523:
	s_or_b32 exec_lo, exec_lo, s17
	s_clause 0x5
	buffer_load_dword v21, off, s[36:39], 0 offset:80
	buffer_load_dword v22, off, s[36:39], 0 offset:84
	;; [unrolled: 1-line block ×6, first 2 shown]
	v_mov_b32_e32 v10, 32
.LBB339_524:
	s_or_b32 exec_lo, exec_lo, s15
	s_waitcnt vmcnt(0)
	v_xor_b32_e32 v0, 16, v26
	v_xor_b32_e32 v3, 8, v26
	v_max_f32_e32 v4, v80, v80
	v_xor_b32_e32 v5, 4, v26
	v_and_b32_e32 v24, 31, v21
	v_cmp_lt_i32_e32 vcc_lo, v0, v10
	v_cndmask_b32_e32 v0, v26, v0, vcc_lo
	v_cmp_lt_i32_e32 vcc_lo, v3, v10
	s_waitcnt lgkmcnt(0)
	v_lshlrev_b32_e32 v1, 2, v0
	v_cndmask_b32_e32 v3, v26, v3, vcc_lo
	v_cmp_lt_i32_e32 vcc_lo, v5, v10
	ds_bpermute_b32 v0, v1, v80
	v_lshlrev_b32_e32 v3, 2, v3
	v_cndmask_b32_e32 v5, v26, v5, vcc_lo
	s_waitcnt lgkmcnt(0)
	v_max_f32_e32 v0, v0, v0
	v_max_f32_e32 v0, v4, v0
	ds_bpermute_b32 v4, v3, v0
	s_waitcnt lgkmcnt(0)
	v_max_f32_e32 v6, v4, v4
	v_lshlrev_b32_e32 v4, 2, v5
	v_max_f32_e32 v0, v0, v6
	v_xor_b32_e32 v6, 2, v26
	ds_bpermute_b32 v5, v4, v0
	v_cmp_lt_i32_e32 vcc_lo, v6, v10
	v_cndmask_b32_e32 v7, v26, v6, vcc_lo
	v_cmp_eq_u32_e32 vcc_lo, 0, v24
	s_waitcnt lgkmcnt(0)
	v_max_f32_e32 v5, v5, v5
	v_max_f32_e32 v6, v0, v5
	v_lshlrev_b32_e32 v0, 2, v7
	v_lshlrev_b32_e32 v5, 2, v89
	ds_bpermute_b32 v7, v0, v6
	s_and_saveexec_b32 s2, vcc_lo
	s_cbranch_execz .LBB339_526
; %bb.525:
	s_waitcnt lgkmcnt(0)
	v_max_f32_e32 v7, v7, v7
	v_max_f32_e32 v6, v6, v6
	v_max_f32_e32 v6, v6, v7
	ds_write_b32 v5, v6 offset:256
.LBB339_526:
	s_or_b32 exec_lo, exec_lo, s2
	v_cmp_gt_u32_e64 s2, 4, v24
	s_waitcnt lgkmcnt(0)
	v_mov_b32_e32 v7, 0xff7fffff
	v_lshlrev_b32_e32 v6, 2, v24
	s_waitcnt_vscnt null, 0x0
	s_barrier
	buffer_gl0_inv
	s_and_saveexec_b32 s3, s2
; %bb.527:
	ds_read_b32 v7, v6 offset:256
; %bb.528:
	s_or_b32 exec_lo, exec_lo, s3
	s_waitcnt lgkmcnt(0)
	ds_bpermute_b32 v8, v0, v7
	v_xor_b32_e32 v9, 1, v26
	v_max_f32_e32 v7, v7, v7
	v_lshlrev_b32_e32 v2, 2, v2
	v_cmp_lt_i32_e64 s3, v9, v10
	v_cndmask_b32_e64 v9, v26, v9, s3
	s_lshl_b32 s3, s12, 4
	s_min_i32 s5, s3, s11
	v_lshlrev_b32_e32 v25, 2, v9
	v_cmp_gt_i32_e64 s3, s5, v21
	s_waitcnt lgkmcnt(0)
	v_max_f32_e32 v8, v8, v8
	v_max_f32_e32 v7, v7, v8
	ds_bpermute_b32 v8, v25, v7
	s_waitcnt lgkmcnt(0)
	v_max_f32_e32 v8, v8, v8
	v_max_f32_e32 v7, v7, v8
	ds_bpermute_b32 v8, v2, v7
	v_mov_b32_e32 v7, 0
	v_lshl_add_u32 v2, v21, 2, 0x120
	s_and_saveexec_b32 s15, s3
	s_cbranch_execz .LBB339_532
; %bb.529:
	v_lshl_add_u32 v9, v21, 2, 0x120
	v_mov_b32_e32 v7, 0
	v_mov_b32_e32 v10, v21
	s_mov_b32 s16, 0
	.p2align	6
.LBB339_530:                            ; =>This Inner Loop Header: Depth=1
	ds_read_b32 v11, v9
	v_add_nc_u32_e32 v10, 0x80, v10
	v_cmp_le_i32_e64 s4, s5, v10
	s_or_b32 s16, s4, s16
	s_waitcnt lgkmcnt(0)
	v_sub_f32_e32 v11, v11, v8
	v_mul_f32_e32 v11, 0x3fb8aa3b, v11
	v_exp_f32_e32 v11, v11
	ds_write_b32 v9, v11
	v_add_f32_e32 v7, v7, v11
	v_add_nc_u32_e32 v9, 0x200, v9
	s_andn2_b32 exec_lo, exec_lo, s16
	s_cbranch_execnz .LBB339_530
; %bb.531:
	s_or_b32 exec_lo, exec_lo, s16
.LBB339_532:
	s_or_b32 exec_lo, exec_lo, s15
	ds_bpermute_b32 v1, v1, v7
	s_waitcnt lgkmcnt(0)
	v_add_f32_e32 v1, v7, v1
	ds_bpermute_b32 v3, v3, v1
	s_waitcnt lgkmcnt(0)
	v_add_f32_e32 v1, v1, v3
	;; [unrolled: 3-line block ×5, first 2 shown]
	s_and_saveexec_b32 s4, vcc_lo
; %bb.533:
	ds_write_b32 v5, v1 offset:272
; %bb.534:
	s_or_b32 exec_lo, exec_lo, s4
	s_waitcnt lgkmcnt(0)
	s_barrier
	buffer_gl0_inv
	s_and_saveexec_b32 s4, s2
; %bb.535:
	ds_read_b32 v1, v6 offset:272
; %bb.536:
	s_or_b32 exec_lo, exec_lo, s4
	s_waitcnt lgkmcnt(0)
	ds_bpermute_b32 v0, v0, v1
	v_lshlrev_b32_e32 v3, 2, v26
	s_waitcnt lgkmcnt(0)
	v_add_f32_e32 v0, v1, v0
	ds_bpermute_b32 v1, v25, v0
	s_waitcnt lgkmcnt(0)
	v_add_f32_e32 v0, v0, v1
	v_and_b32_e32 v1, 0xffffff80, v3
	ds_bpermute_b32 v0, v1, v0
	s_and_saveexec_b32 s2, s3
	s_cbranch_execz .LBB339_539
; %bb.537:
	s_waitcnt lgkmcnt(0)
	v_add_f32_e32 v0, 0x358637bd, v0
	s_mov_b32 s3, 0
	v_div_scale_f32 v1, null, v0, v0, 1.0
	v_div_scale_f32 v5, vcc_lo, 1.0, v0, 1.0
	v_rcp_f32_e32 v3, v1
	v_fma_f32 v4, -v1, v3, 1.0
	v_fmac_f32_e32 v3, v4, v3
	v_mul_f32_e32 v4, v5, v3
	v_fma_f32 v6, -v1, v4, v5
	v_fmac_f32_e32 v4, v6, v3
	v_fma_f32 v1, -v1, v4, v5
	v_div_fmas_f32 v1, v1, v3, v4
	v_div_fixup_f32 v0, v1, v0, 1.0
	v_mov_b32_e32 v1, v21
.LBB339_538:                            ; =>This Inner Loop Header: Depth=1
	ds_read_b32 v3, v2
	v_add_nc_u32_e32 v1, 0x80, v1
	v_cmp_le_i32_e32 vcc_lo, s5, v1
	s_or_b32 s3, vcc_lo, s3
	s_waitcnt lgkmcnt(0)
	v_mul_f32_e32 v3, v0, v3
	ds_write_b32 v2, v3
	v_add_nc_u32_e32 v2, 0x200, v2
	s_andn2_b32 exec_lo, exec_lo, s3
	s_cbranch_execnz .LBB339_538
.LBB339_539:
	s_or_b32 exec_lo, exec_lo, s2
	v_mov_b32_e32 v32, 0
	v_mov_b32_e32 v33, 0
	;; [unrolled: 1-line block ×8, first 2 shown]
	s_waitcnt lgkmcnt(0)
	s_barrier
	buffer_gl0_inv
	s_and_saveexec_b32 s4, s1
	s_cbranch_execz .LBB339_1039
; %bb.540:
	s_mov_b32 s5, s13
	s_load_dword s13, s[18:19], 0x0
	v_and_b32_e32 v1, 0xf8, v12
	v_and_b32_e32 v0, 8, v12
	v_lshlrev_b32_e32 v3, 4, v89
	s_ashr_i32 s1, s14, 31
	s_add_u32 s2, s26, s14
	v_lshlrev_b32_e32 v2, 5, v22
	s_addc_u32 s1, s27, s1
	v_add_co_u32 v11, s2, s2, v1
	v_or3_b32 v34, v3, v0, 7
	v_and_b32_e32 v0, 0x7c, v23
	v_add_co_ci_u32_e64 v12, null, s1, 0, s2
	s_lshl_b64 s[2:3], s[24:25], 2
	s_add_i32 s14, s12, -1
	v_lshl_or_b32 v2, v89, 6, v2
	s_add_u32 s1, s22, s2
	s_addc_u32 s2, s23, s3
	v_add_co_u32 v13, s1, s1, v0
	v_mov_b32_e32 v109, v21
	v_mov_b32_e32 v110, v22
	v_mov_b32_e32 v10, 0
	v_add_nc_u32_e32 v35, 0x120, v2
	v_add_co_ci_u32_e64 v14, null, s2, 0, s1
	v_mov_b32_e32 v36, 0x80
	v_mov_b32_e32 v37, 0xffff
	;; [unrolled: 1-line block ×15, first 2 shown]
	s_mov_b32 s2, -1
	s_mov_b32 s3, 0xffffff
	s_mov_b32 s15, 0
	s_branch .LBB339_542
.LBB339_541:                            ;   in Loop: Header=BB339_542 Depth=1
	s_or_b32 exec_lo, exec_lo, s1
	v_bfe_u32 v50, v5, 16, 1
	v_bfe_u32 v56, v6, 16, 1
	v_or_b32_e32 v57, 0x400000, v5
	v_cmp_u_f32_e32 vcc_lo, v5, v5
	v_or_b32_e32 v58, 0x400000, v6
	v_add3_u32 v50, v50, v5, 0x7fff
	v_bfe_u32 v59, v7, 16, 1
	v_add3_u32 v56, v56, v6, 0x7fff
	v_bfe_u32 v60, v8, 16, 1
	v_lshlrev_b32_e32 v19, 16, v19
	v_cndmask_b32_e32 v5, v50, v57, vcc_lo
	v_cmp_u_f32_e32 vcc_lo, v6, v6
	v_add3_u32 v50, v59, v7, 0x7fff
	v_bfe_u32 v57, v1, 16, 1
	v_or_b32_e32 v59, 0x400000, v8
	v_and_b32_e32 v5, 0xffff0000, v5
	v_cndmask_b32_e32 v6, v56, v58, vcc_lo
	v_or_b32_e32 v56, 0x400000, v7
	v_cmp_u_f32_e32 vcc_lo, v7, v7
	v_add3_u32 v58, v60, v8, 0x7fff
	v_lshlrev_b32_e32 v91, 16, v91
	v_lshlrev_b32_e32 v22, 16, v22
	;; [unrolled: 1-line block ×3, first 2 shown]
	v_cndmask_b32_e32 v7, v50, v56, vcc_lo
	v_cmp_u_f32_e32 vcc_lo, v8, v8
	v_add3_u32 v50, v57, v1, 0x7fff
	v_or_b32_e32 v56, 0x400000, v1
	v_bfe_u32 v57, v2, 16, 1
	v_lshlrev_b32_e32 v23, 16, v23
	v_cndmask_b32_e32 v8, v58, v59, vcc_lo
	v_cmp_u_f32_e32 vcc_lo, v1, v1
	v_and_b32_e32 v1, 0xffff0000, v6
	v_lshlrev_b32_e32 v6, 16, v101
	v_add3_u32 v57, v57, v2, 0x7fff
	v_or_b32_e32 v58, 0x400000, v2
	v_cndmask_b32_e32 v50, v50, v56, vcc_lo
	v_bfe_u32 v56, v3, 16, 1
	v_cmp_u_f32_e32 vcc_lo, v2, v2
	v_or_b32_e32 v59, 0x400000, v3
	v_mul_f32_e32 v6, v1, v6
	v_lshlrev_b32_e32 v90, 16, v90
	v_add3_u32 v56, v56, v3, 0x7fff
	v_cndmask_b32_e32 v2, v57, v58, vcc_lo
	v_bfe_u32 v57, v4, 16, 1
	v_cmp_u_f32_e32 vcc_lo, v3, v3
	v_bfe_u32 v3, v6, 16, 1
	v_lshlrev_b32_e32 v58, 16, v100
	v_or_b32_e32 v61, 0x400000, v6
	v_add3_u32 v57, v57, v4, 0x7fff
	v_cndmask_b32_e32 v56, v56, v59, vcc_lo
	v_or_b32_e32 v59, 0x400000, v4
	v_cmp_u_f32_e32 vcc_lo, v4, v4
	v_add3_u32 v60, v3, v6, 0x7fff
	v_mul_f32_e32 v58, v5, v58
	v_and_b32_e32 v3, 0xffff0000, v8
	v_lshlrev_b32_e32 v8, 16, v98
	v_cndmask_b32_e32 v4, v57, v59, vcc_lo
	v_cmp_u_f32_e32 vcc_lo, v6, v6
	v_bfe_u32 v59, v58, 16, 1
	v_and_b32_e32 v6, 0xffff0000, v7
	v_lshlrev_b32_e32 v7, 16, v99
	v_and_b32_e32 v2, 0xffff0000, v2
	v_cndmask_b32_e32 v57, v60, v61, vcc_lo
	v_mul_f32_e32 v60, v3, v8
	v_lshlrev_b32_e32 v8, 16, v94
	v_add3_u32 v59, v59, v58, 0x7fff
	v_or_b32_e32 v61, 0x400000, v58
	v_mul_f32_e32 v7, v6, v7
	v_bfe_u32 v94, v60, 16, 1
	v_cmp_u_f32_e32 vcc_lo, v58, v58
	v_mul_f32_e32 v98, v2, v8
	v_and_b32_e32 v8, 0xffff0000, v50
	v_and_b32_e32 v4, 0xffff0000, v4
	;; [unrolled: 1-line block ×3, first 2 shown]
	v_cndmask_b32_e32 v58, v59, v61, vcc_lo
	v_add3_u32 v59, v94, v60, 0x7fff
	v_or_b32_e32 v61, 0x400000, v60
	v_bfe_u32 v94, v7, 16, 1
	v_cmp_u_f32_e32 vcc_lo, v60, v60
	v_bfe_u32 v99, v98, 16, 1
	v_or_b32_e32 v60, 0x400000, v7
	v_mul_f32_e32 v19, v8, v19
	v_and_b32_e32 v58, 0xffff0000, v58
	v_cndmask_b32_e32 v50, v59, v61, vcc_lo
	v_add3_u32 v59, v94, v7, 0x7fff
	v_cmp_u_f32_e32 vcc_lo, v7, v7
	v_add3_u32 v61, v99, v98, 0x7fff
	v_lshlrev_b32_e32 v94, 16, v97
	v_or_b32_e32 v97, 0x400000, v98
	v_bfe_u32 v99, v19, 16, 1
	v_cndmask_b32_e32 v59, v59, v60, vcc_lo
	v_cmp_u_f32_e32 vcc_lo, v98, v98
	v_mul_f32_e32 v60, v4, v94
	v_and_b32_e32 v7, 0xffff0000, v56
	v_add3_u32 v94, v99, v19, 0x7fff
	v_lshlrev_b32_e32 v56, 16, v96
	v_cndmask_b32_e32 v61, v61, v97, vcc_lo
	v_or_b32_e32 v97, 0x400000, v19
	v_cmp_u_f32_e32 vcc_lo, v19, v19
	v_bfe_u32 v98, v60, 16, 1
	v_and_b32_e32 v59, 0xffff0000, v59
	v_and_b32_e32 v50, 0xffff0000, v50
	v_or_b32_e32 v96, 0x400000, v60
	v_cndmask_b32_e32 v19, v94, v97, vcc_lo
	v_add3_u32 v94, v98, v60, 0x7fff
	v_mul_f32_e32 v56, v7, v56
	v_cmp_u_f32_e32 vcc_lo, v60, v60
	v_add_f32_e32 v57, v58, v57
	v_add_f32_e32 v50, v59, v50
	v_and_b32_e32 v19, 0xffff0000, v19
	v_lshlrev_b32_e32 v58, 16, v93
	v_and_b32_e32 v59, 0xffff0000, v61
	v_cndmask_b32_e32 v60, v94, v96, vcc_lo
	v_bfe_u32 v94, v56, 16, 1
	v_add_f32_e32 v50, v50, v57
	v_mul_f32_e32 v57, v1, v58
	v_add_f32_e32 v19, v19, v59
	v_lshlrev_b32_e32 v58, 16, v92
	v_add3_u32 v61, v94, v56, 0x7fff
	v_or_b32_e32 v93, 0x400000, v56
	v_cmp_u_f32_e32 vcc_lo, v56, v56
	v_bfe_u32 v59, v57, 16, 1
	v_add_f32_e32 v19, v19, v50
	v_mul_f32_e32 v50, v5, v58
	v_lshlrev_b32_e32 v58, 16, v89
	v_cndmask_b32_e32 v56, v61, v93, vcc_lo
	v_add3_u32 v59, v59, v57, 0x7fff
	v_or_b32_e32 v61, 0x400000, v57
	v_bfe_u32 v89, v50, 16, 1
	v_mul_f32_e32 v58, v3, v58
	v_cmp_u_f32_e32 vcc_lo, v57, v57
	v_mul_f32_e32 v91, v6, v91
	v_mul_f32_e32 v22, v2, v22
	;; [unrolled: 1-line block ×4, first 2 shown]
	v_cndmask_b32_e32 v57, v59, v61, vcc_lo
	v_add3_u32 v59, v89, v50, 0x7fff
	v_or_b32_e32 v61, 0x400000, v50
	v_bfe_u32 v89, v58, 16, 1
	v_cmp_u_f32_e32 vcc_lo, v50, v50
	v_mul_f32_e32 v90, v4, v90
	v_or_b32_e32 v92, 0x400000, v21
	v_bfe_u32 v94, v23, 16, 1
	v_and_b32_e32 v57, 0xffff0000, v57
	v_cndmask_b32_e32 v50, v59, v61, vcc_lo
	v_add3_u32 v59, v89, v58, 0x7fff
	v_or_b32_e32 v61, 0x400000, v58
	v_bfe_u32 v89, v91, 16, 1
	v_cmp_u_f32_e32 vcc_lo, v58, v58
	v_bfe_u32 v93, v90, 16, 1
	v_and_b32_e32 v50, 0xffff0000, v50
	v_and_b32_e32 v56, 0xffff0000, v56
	v_lshlrev_b32_e32 v54, 16, v54
	v_cndmask_b32_e32 v58, v59, v61, vcc_lo
	v_add3_u32 v59, v89, v91, 0x7fff
	v_or_b32_e32 v61, 0x400000, v91
	v_bfe_u32 v89, v22, 16, 1
	v_cmp_u_f32_e32 vcc_lo, v91, v91
	v_or_b32_e32 v91, 0x400000, v22
	v_and_b32_e32 v58, 0xffff0000, v58
	v_add_f32_e32 v50, v50, v57
	v_add3_u32 v89, v89, v22, 0x7fff
	v_cndmask_b32_e32 v59, v59, v61, vcc_lo
	v_bfe_u32 v61, v21, 16, 1
	v_cmp_u_f32_e32 vcc_lo, v22, v22
	v_lshlrev_b32_e32 v51, 16, v51
	v_lshlrev_b32_e32 v52, 16, v52
	v_and_b32_e32 v59, 0xffff0000, v59
	v_add3_u32 v61, v61, v21, 0x7fff
	v_cndmask_b32_e32 v22, v89, v91, vcc_lo
	v_cmp_u_f32_e32 vcc_lo, v21, v21
	v_add3_u32 v89, v94, v23, 0x7fff
	v_or_b32_e32 v91, 0x400000, v23
	v_add_f32_e32 v57, v59, v58
	v_and_b32_e32 v22, 0xffff0000, v22
	v_cndmask_b32_e32 v21, v61, v92, vcc_lo
	v_cmp_u_f32_e32 vcc_lo, v23, v23
	v_add3_u32 v61, v93, v90, 0x7fff
	v_or_b32_e32 v92, 0x400000, v90
	v_and_b32_e32 v59, 0xffff0000, v60
	v_and_b32_e32 v21, 0xffff0000, v21
	v_cndmask_b32_e32 v23, v89, v91, vcc_lo
	v_cmp_u_f32_e32 vcc_lo, v90, v90
	v_add_f32_e32 v50, v57, v50
	v_lshlrev_b32_e32 v57, 16, v88
	v_add_f32_e32 v21, v21, v22
	v_and_b32_e32 v22, 0xffff0000, v23
	v_cndmask_b32_e32 v58, v61, v92, vcc_lo
	v_add_f32_e32 v56, v56, v59
	v_lshlrev_b32_e32 v60, 16, v85
	v_add_f32_e32 v21, v21, v50
	v_mul_f32_e32 v51, v2, v51
	v_and_b32_e32 v23, 0xffff0000, v58
	v_lshlrev_b32_e32 v58, 16, v87
	v_add_f32_e32 v19, v56, v19
	v_lshlrev_b32_e32 v56, 16, v84
	v_mul_f32_e32 v52, v8, v52
	v_add_f32_e32 v22, v22, v23
	v_mul_f32_e32 v23, v1, v57
	v_mul_f32_e32 v50, v5, v58
	v_add_f32_e32 v27, v27, v19
	v_mul_f32_e32 v56, v3, v56
	v_add_f32_e32 v21, v22, v21
	v_bfe_u32 v22, v23, 16, 1
	v_bfe_u32 v19, v50, 16, 1
	v_lshlrev_b32_e32 v58, 16, v86
	v_cmp_u_f32_e32 vcc_lo, v23, v23
	v_add_f32_e32 v28, v28, v21
	v_add3_u32 v21, v22, v23, 0x7fff
	v_or_b32_e32 v22, 0x400000, v23
	v_add3_u32 v19, v19, v50, 0x7fff
	v_or_b32_e32 v57, 0x400000, v50
	v_mul_f32_e32 v23, v6, v58
	v_lshlrev_b32_e32 v58, 16, v82
	v_cndmask_b32_e32 v21, v21, v22, vcc_lo
	v_bfe_u32 v22, v56, 16, 1
	v_cmp_u_f32_e32 vcc_lo, v50, v50
	v_lshlrev_b32_e32 v50, 16, v81
	v_bfe_u32 v59, v23, 16, 1
	v_and_b32_e32 v21, 0xffff0000, v21
	v_add3_u32 v22, v22, v56, 0x7fff
	v_cndmask_b32_e32 v19, v19, v57, vcc_lo
	v_or_b32_e32 v57, 0x400000, v56
	v_mul_f32_e32 v50, v2, v50
	v_cmp_u_f32_e32 vcc_lo, v56, v56
	v_mul_f32_e32 v56, v8, v58
	v_or_b32_e32 v58, 0x400000, v23
	v_and_b32_e32 v19, 0xffff0000, v19
	v_lshlrev_b32_e32 v55, 16, v55
	v_cndmask_b32_e32 v22, v22, v57, vcc_lo
	v_add3_u32 v57, v59, v23, 0x7fff
	v_bfe_u32 v59, v50, 16, 1
	v_bfe_u32 v61, v56, 16, 1
	v_cmp_u_f32_e32 vcc_lo, v23, v23
	v_or_b32_e32 v81, 0x400000, v56
	v_and_b32_e32 v22, 0xffff0000, v22
	v_add_f32_e32 v19, v19, v21
	v_mul_f32_e32 v55, v4, v55
	v_cndmask_b32_e32 v23, v57, v58, vcc_lo
	v_add3_u32 v57, v59, v50, 0x7fff
	v_mul_f32_e32 v58, v4, v60
	v_or_b32_e32 v59, 0x400000, v50
	v_add3_u32 v60, v61, v56, 0x7fff
	v_lshlrev_b32_e32 v61, 16, v83
	v_cmp_u_f32_e32 vcc_lo, v50, v50
	v_bfe_u32 v82, v58, 16, 1
	v_and_b32_e32 v23, 0xffff0000, v23
	v_lshlrev_b32_e32 v53, 16, v53
	v_lshlrev_b32_e32 v49, 16, v49
	v_cndmask_b32_e32 v50, v57, v59, vcc_lo
	v_mul_f32_e32 v57, v7, v61
	v_cmp_u_f32_e32 vcc_lo, v56, v56
	v_add3_u32 v59, v82, v58, 0x7fff
	v_add_f32_e32 v21, v23, v22
	v_and_b32_e32 v23, 0xffff0000, v50
	v_bfe_u32 v61, v57, 16, 1
	v_cndmask_b32_e32 v56, v60, v81, vcc_lo
	v_or_b32_e32 v60, 0x400000, v58
	v_cmp_u_f32_e32 vcc_lo, v58, v58
	v_lshlrev_b32_e32 v50, 16, v80
	v_add_f32_e32 v19, v21, v19
	v_and_b32_e32 v22, 0xffff0000, v56
	v_lshlrev_b32_e32 v56, 16, v79
	v_cndmask_b32_e32 v58, v59, v60, vcc_lo
	v_add3_u32 v59, v61, v57, 0x7fff
	v_or_b32_e32 v60, 0x400000, v57
	v_cmp_u_f32_e32 vcc_lo, v57, v57
	v_mul_f32_e32 v21, v1, v50
	v_add_f32_e32 v22, v22, v23
	v_mul_f32_e32 v23, v5, v56
	v_and_b32_e32 v56, 0xffff0000, v58
	v_cndmask_b32_e32 v57, v59, v60, vcc_lo
	v_lshlrev_b32_e32 v58, 16, v76
	v_add_f32_e32 v19, v22, v19
	v_bfe_u32 v22, v23, 16, 1
	v_lshlrev_b32_e32 v60, 16, v78
	v_and_b32_e32 v50, 0xffff0000, v57
	v_bfe_u32 v57, v21, 16, 1
	v_mul_f32_e32 v58, v3, v58
	v_cmp_u_f32_e32 vcc_lo, v21, v21
	v_add3_u32 v22, v22, v23, 0x7fff
	v_add_f32_e32 v50, v50, v56
	v_add3_u32 v56, v57, v21, 0x7fff
	v_or_b32_e32 v57, 0x400000, v21
	v_or_b32_e32 v59, 0x400000, v23
	v_mul_f32_e32 v53, v7, v53
	v_add_f32_e32 v19, v50, v19
	v_mul_f32_e32 v49, v1, v49
	v_cndmask_b32_e32 v21, v56, v57, vcc_lo
	v_bfe_u32 v56, v58, 16, 1
	v_cmp_u_f32_e32 vcc_lo, v23, v23
	v_mul_f32_e32 v23, v6, v60
	v_lshlrev_b32_e32 v57, 16, v73
	v_lshlrev_b32_e32 v60, 16, v74
	v_add3_u32 v56, v56, v58, 0x7fff
	v_cndmask_b32_e32 v22, v22, v59, vcc_lo
	v_or_b32_e32 v59, 0x400000, v58
	v_bfe_u32 v61, v23, 16, 1
	v_mul_f32_e32 v57, v2, v57
	v_cmp_u_f32_e32 vcc_lo, v58, v58
	v_mul_f32_e32 v58, v8, v60
	v_or_b32_e32 v60, 0x400000, v23
	v_lshlrev_b32_e32 v73, 16, v77
	v_and_b32_e32 v22, 0xffff0000, v22
	v_cndmask_b32_e32 v56, v56, v59, vcc_lo
	v_add3_u32 v59, v61, v23, 0x7fff
	v_bfe_u32 v61, v57, 16, 1
	v_bfe_u32 v74, v58, 16, 1
	v_cmp_u_f32_e32 vcc_lo, v23, v23
	v_and_b32_e32 v21, 0xffff0000, v21
	v_and_b32_e32 v56, 0xffff0000, v56
	v_add_f32_e32 v29, v29, v19
	v_lshlrev_b32_e32 v48, 16, v48
	v_cndmask_b32_e32 v23, v59, v60, vcc_lo
	v_add3_u32 v59, v61, v57, 0x7fff
	v_mul_f32_e32 v60, v4, v73
	v_or_b32_e32 v61, 0x400000, v57
	v_add3_u32 v73, v74, v58, 0x7fff
	v_lshlrev_b32_e32 v74, 16, v75
	v_cmp_u_f32_e32 vcc_lo, v57, v57
	v_or_b32_e32 v75, 0x400000, v58
	v_bfe_u32 v76, v60, 16, 1
	v_and_b32_e32 v23, 0xffff0000, v23
	v_add_f32_e32 v21, v22, v21
	v_cndmask_b32_e32 v57, v59, v61, vcc_lo
	v_mul_f32_e32 v59, v7, v74
	v_cmp_u_f32_e32 vcc_lo, v58, v58
	v_add3_u32 v61, v76, v60, 0x7fff
	v_add_f32_e32 v22, v23, v56
	v_and_b32_e32 v56, 0xffff0000, v57
	v_bfe_u32 v74, v59, 16, 1
	v_cndmask_b32_e32 v58, v73, v75, vcc_lo
	v_or_b32_e32 v73, 0x400000, v60
	v_cmp_u_f32_e32 vcc_lo, v60, v60
	v_add_f32_e32 v21, v22, v21
	v_lshlrev_b32_e32 v22, 16, v72
	v_and_b32_e32 v23, 0xffff0000, v58
	v_lshlrev_b32_e32 v45, 16, v45
	v_cndmask_b32_e32 v60, v61, v73, vcc_lo
	v_add3_u32 v61, v74, v59, 0x7fff
	v_or_b32_e32 v73, 0x400000, v59
	v_cmp_u_f32_e32 vcc_lo, v59, v59
	v_add_f32_e32 v23, v23, v56
	v_lshlrev_b32_e32 v56, 16, v71
	v_and_b32_e32 v58, 0xffff0000, v60
	v_mul_f32_e32 v22, v1, v22
	v_cndmask_b32_e32 v57, v61, v73, vcc_lo
	v_add_f32_e32 v21, v23, v21
	v_mul_f32_e32 v50, v5, v56
	v_lshlrev_b32_e32 v59, 16, v70
	v_bfe_u32 v56, v22, 16, 1
	v_and_b32_e32 v57, 0xffff0000, v57
	v_cmp_u_f32_e32 vcc_lo, v22, v22
	v_lshlrev_b32_e32 v61, 16, v69
	v_mul_f32_e32 v48, v5, v48
	v_mul_f32_e32 v45, v3, v45
	v_add_f32_e32 v23, v57, v58
	v_bfe_u32 v57, v50, 16, 1
	v_lshlrev_b32_e32 v58, 16, v68
	v_lshlrev_b32_e32 v47, 16, v47
	;; [unrolled: 1-line block ×3, first 2 shown]
	v_add_f32_e32 v19, v23, v21
	v_add3_u32 v21, v56, v22, 0x7fff
	v_or_b32_e32 v23, 0x400000, v22
	v_add3_u32 v56, v57, v50, 0x7fff
	v_mul_f32_e32 v57, v3, v58
	v_or_b32_e32 v58, 0x400000, v50
	v_mul_f32_e32 v47, v6, v47
	v_cndmask_b32_e32 v21, v21, v23, vcc_lo
	v_cmp_u_f32_e32 vcc_lo, v50, v50
	v_bfe_u32 v22, v57, 16, 1
	v_mul_f32_e32 v50, v6, v59
	v_lshlrev_b32_e32 v59, 16, v66
	v_and_b32_e32 v21, 0xffff0000, v21
	v_cndmask_b32_e32 v23, v56, v58, vcc_lo
	v_lshlrev_b32_e32 v56, 16, v65
	v_add3_u32 v22, v22, v57, 0x7fff
	v_or_b32_e32 v58, 0x400000, v57
	v_bfe_u32 v60, v50, 16, 1
	v_cmp_u_f32_e32 vcc_lo, v57, v57
	v_mul_f32_e32 v56, v2, v56
	v_mul_f32_e32 v57, v8, v59
	v_or_b32_e32 v59, 0x400000, v50
	v_and_b32_e32 v23, 0xffff0000, v23
	v_cndmask_b32_e32 v22, v22, v58, vcc_lo
	v_add3_u32 v58, v60, v50, 0x7fff
	v_bfe_u32 v60, v56, 16, 1
	v_bfe_u32 v65, v57, 16, 1
	v_cmp_u_f32_e32 vcc_lo, v50, v50
	v_or_b32_e32 v66, 0x400000, v57
	v_and_b32_e32 v22, 0xffff0000, v22
	v_add_f32_e32 v21, v23, v21
	v_mul_f32_e32 v43, v2, v43
	v_cndmask_b32_e32 v50, v58, v59, vcc_lo
	v_add3_u32 v58, v60, v56, 0x7fff
	v_mul_f32_e32 v59, v4, v61
	v_or_b32_e32 v60, 0x400000, v56
	v_add3_u32 v61, v65, v57, 0x7fff
	v_lshlrev_b32_e32 v65, 16, v67
	v_cmp_u_f32_e32 vcc_lo, v56, v56
	v_bfe_u32 v67, v59, 16, 1
	v_and_b32_e32 v50, 0xffff0000, v50
	v_lshlrev_b32_e32 v42, 16, v42
	v_lshlrev_b32_e32 v46, 16, v46
	v_cndmask_b32_e32 v56, v58, v60, vcc_lo
	v_mul_f32_e32 v58, v7, v65
	v_cmp_u_f32_e32 vcc_lo, v57, v57
	v_add3_u32 v60, v67, v59, 0x7fff
	v_add_f32_e32 v22, v50, v22
	v_and_b32_e32 v50, 0xffff0000, v56
	v_bfe_u32 v65, v58, 16, 1
	v_cndmask_b32_e32 v57, v61, v66, vcc_lo
	v_or_b32_e32 v61, 0x400000, v59
	v_cmp_u_f32_e32 vcc_lo, v59, v59
	v_lshlrev_b32_e32 v56, 16, v64
	v_add_f32_e32 v21, v22, v21
	v_and_b32_e32 v23, 0xffff0000, v57
	v_mul_f32_e32 v42, v8, v42
	v_cndmask_b32_e32 v59, v60, v61, vcc_lo
	v_add3_u32 v60, v65, v58, 0x7fff
	v_or_b32_e32 v61, 0x400000, v58
	v_cmp_u_f32_e32 vcc_lo, v58, v58
	v_lshlrev_b32_e32 v58, 16, v63
	v_add_f32_e32 v22, v23, v50
	v_mul_f32_e32 v23, v1, v56
	v_mul_f32_e32 v46, v4, v46
	v_cndmask_b32_e32 v57, v60, v61, vcc_lo
	v_mul_f32_e32 v56, v5, v58
	v_add_f32_e32 v21, v22, v21
	v_bfe_u32 v58, v23, 16, 1
	v_lshlrev_b32_e32 v61, 16, v62
	v_and_b32_e32 v50, 0xffff0000, v57
	v_and_b32_e32 v57, 0xffff0000, v59
	v_bfe_u32 v59, v56, 16, 1
	v_cmp_u_f32_e32 vcc_lo, v23, v23
	v_lshlrev_b32_e32 v44, 16, v44
	v_lshlrev_b32_e32 v20, 16, v20
	v_add_f32_e32 v22, v50, v57
	v_mul_f32_e32 v50, v3, v54
	v_add3_u32 v54, v58, v23, 0x7fff
	v_or_b32_e32 v57, 0x400000, v23
	v_add3_u32 v58, v59, v56, 0x7fff
	v_or_b32_e32 v59, 0x400000, v56
	v_bfe_u32 v60, v50, 16, 1
	v_mul_f32_e32 v44, v7, v44
	v_cndmask_b32_e32 v23, v54, v57, vcc_lo
	v_cmp_u_f32_e32 vcc_lo, v56, v56
	v_mul_f32_e32 v56, v6, v61
	v_add3_u32 v57, v60, v50, 0x7fff
	v_bfe_u32 v60, v52, 16, 1
	v_bfe_u32 v61, v55, 16, 1
	v_cndmask_b32_e32 v54, v58, v59, vcc_lo
	v_or_b32_e32 v58, 0x400000, v50
	v_bfe_u32 v59, v56, 16, 1
	v_cmp_u_f32_e32 vcc_lo, v50, v50
	v_and_b32_e32 v23, 0xffff0000, v23
	v_and_b32_e32 v54, 0xffff0000, v54
	v_mul_f32_e32 v1, v1, v20
	v_lshlrev_b32_e32 v18, 16, v18
	v_cndmask_b32_e32 v50, v57, v58, vcc_lo
	v_add3_u32 v57, v59, v56, 0x7fff
	v_or_b32_e32 v58, 0x400000, v56
	v_bfe_u32 v59, v51, 16, 1
	v_cmp_u_f32_e32 vcc_lo, v56, v56
	v_and_b32_e32 v50, 0xffff0000, v50
	v_add_f32_e32 v23, v54, v23
	v_mul_f32_e32 v6, v6, v18
	v_lshlrev_b32_e32 v15, 16, v15
	v_cndmask_b32_e32 v56, v57, v58, vcc_lo
	v_add3_u32 v57, v59, v51, 0x7fff
	v_or_b32_e32 v58, 0x400000, v51
	v_cmp_u_f32_e32 vcc_lo, v51, v51
	v_add3_u32 v59, v60, v52, 0x7fff
	v_or_b32_e32 v60, 0x400000, v52
	v_and_b32_e32 v56, 0xffff0000, v56
	v_mul_f32_e32 v3, v3, v15
	v_cndmask_b32_e32 v51, v57, v58, vcc_lo
	v_cmp_u_f32_e32 vcc_lo, v52, v52
	v_add3_u32 v57, v61, v55, 0x7fff
	v_or_b32_e32 v58, 0x400000, v55
	v_add_f32_e32 v50, v56, v50
	v_and_b32_e32 v51, 0xffff0000, v51
	v_cndmask_b32_e32 v52, v59, v60, vcc_lo
	v_cmp_u_f32_e32 vcc_lo, v55, v55
	v_or_b32_e32 v56, 0x400000, v53
	v_add_f32_e32 v23, v50, v23
	v_lshlrev_b32_e32 v9, 16, v9
	v_and_b32_e32 v52, 0xffff0000, v52
	v_cndmask_b32_e32 v55, v57, v58, vcc_lo
	v_bfe_u32 v57, v53, 16, 1
	v_cmp_u_f32_e32 vcc_lo, v53, v53
	v_mul_f32_e32 v8, v8, v9
	v_add_f32_e32 v50, v52, v51
	v_bfe_u32 v52, v49, 16, 1
	v_add3_u32 v54, v57, v53, 0x7fff
	v_and_b32_e32 v53, 0xffff0000, v55
	v_or_b32_e32 v55, 0x400000, v45
	v_add_f32_e32 v23, v50, v23
	v_lshlrev_b32_e32 v0, 16, v0
	v_cndmask_b32_e32 v51, v54, v56, vcc_lo
	v_bfe_u32 v54, v48, 16, 1
	v_cmp_u_f32_e32 vcc_lo, v49, v49
	v_lshlrev_b32_e32 v16, 16, v16
	v_mul_f32_e32 v0, v2, v0
	v_and_b32_e32 v50, 0xffff0000, v51
	v_add3_u32 v51, v52, v49, 0x7fff
	v_or_b32_e32 v52, 0x400000, v49
	v_lshlrev_b32_e32 v2, 16, v17
	v_mul_f32_e32 v4, v4, v16
	v_or_b32_e32 v16, 0x400000, v0
	v_add_nc_u32_e32 v41, 4, v41
	v_cndmask_b32_e32 v49, v51, v52, vcc_lo
	v_bfe_u32 v51, v45, 16, 1
	v_add3_u32 v52, v54, v48, 0x7fff
	v_or_b32_e32 v54, 0x400000, v48
	v_cmp_u_f32_e32 vcc_lo, v48, v48
	v_mul_f32_e32 v2, v7, v2
	v_add3_u32 v51, v51, v45, 0x7fff
	v_or_b32_e32 v7, 0x400000, v8
	v_and_b32_e32 v49, 0xffff0000, v49
	v_cndmask_b32_e32 v48, v52, v54, vcc_lo
	v_bfe_u32 v52, v47, 16, 1
	v_cmp_u_f32_e32 vcc_lo, v45, v45
	v_or_b32_e32 v54, 0x400000, v47
	v_bfe_u32 v17, v2, 16, 1
	v_and_b32_e32 v48, 0xffff0000, v48
	v_add3_u32 v52, v52, v47, 0x7fff
	v_cndmask_b32_e32 v45, v51, v55, vcc_lo
	v_bfe_u32 v51, v43, 16, 1
	v_cmp_u_f32_e32 vcc_lo, v47, v47
	v_or_b32_e32 v55, 0x400000, v43
	v_add_f32_e32 v48, v48, v49
	v_and_b32_e32 v45, 0xffff0000, v45
	v_add3_u32 v51, v51, v43, 0x7fff
	v_cndmask_b32_e32 v47, v52, v54, vcc_lo
	v_bfe_u32 v52, v42, 16, 1
	v_cmp_u_f32_e32 vcc_lo, v43, v43
	v_bfe_u32 v54, v46, 16, 1
	v_add_co_u32 v13, s1, v13, 16
	v_and_b32_e32 v47, 0xffff0000, v47
	v_cndmask_b32_e32 v43, v51, v55, vcc_lo
	v_add3_u32 v51, v52, v42, 0x7fff
	v_or_b32_e32 v52, 0x400000, v42
	v_cmp_u_f32_e32 vcc_lo, v42, v42
	v_add3_u32 v54, v54, v46, 0x7fff
	v_or_b32_e32 v55, 0x400000, v46
	v_add_f32_e32 v45, v47, v45
	v_and_b32_e32 v43, 0xffff0000, v43
	v_cndmask_b32_e32 v42, v51, v52, vcc_lo
	v_cmp_u_f32_e32 vcc_lo, v46, v46
	v_bfe_u32 v51, v44, 16, 1
	v_or_b32_e32 v52, 0x400000, v44
	v_add_f32_e32 v45, v45, v48
	v_and_b32_e32 v42, 0xffff0000, v42
	v_cndmask_b32_e32 v46, v54, v55, vcc_lo
	v_lshlrev_b32_e32 v54, 16, v95
	v_add3_u32 v51, v51, v44, 0x7fff
	v_cmp_u_f32_e32 vcc_lo, v44, v44
	v_add_f32_e32 v42, v42, v43
	v_add_f32_e32 v30, v30, v19
	v_mul_f32_e32 v5, v5, v54
	v_add_nc_u32_e32 v34, 64, v34
	v_cndmask_b32_e32 v44, v51, v52, vcc_lo
	v_add_nc_u32_e32 v35, 0x100, v35
	v_add_co_ci_u32_e64 v14, null, 0, v14, s1
	v_bfe_u32 v47, v5, 16, 1
	v_and_b32_e32 v20, 0xffff0000, v44
	v_or_b32_e32 v44, 0x400000, v5
	v_cmp_u_f32_e32 vcc_lo, v5, v5
	v_add3_u32 v43, v47, v5, 0x7fff
	v_bfe_u32 v47, v1, 16, 1
	v_cndmask_b32_e32 v5, v43, v44, vcc_lo
	v_add3_u32 v18, v47, v1, 0x7fff
	v_or_b32_e32 v43, 0x400000, v1
	v_bfe_u32 v44, v6, 16, 1
	v_cmp_u_f32_e32 vcc_lo, v1, v1
	v_and_b32_e32 v5, 0xffff0000, v5
	v_add3_u32 v15, v44, v6, 0x7fff
	v_cndmask_b32_e32 v1, v18, v43, vcc_lo
	v_or_b32_e32 v18, 0x400000, v6
	v_bfe_u32 v43, v3, 16, 1
	v_cmp_u_f32_e32 vcc_lo, v6, v6
	v_and_b32_e32 v1, 0xffff0000, v1
	v_add3_u32 v9, v43, v3, 0x7fff
	v_cndmask_b32_e32 v6, v15, v18, vcc_lo
	v_or_b32_e32 v15, 0x400000, v3
	v_bfe_u32 v18, v8, 16, 1
	v_cmp_u_f32_e32 vcc_lo, v3, v3
	v_add_f32_e32 v1, v5, v1
	v_and_b32_e32 v6, 0xffff0000, v6
	v_cndmask_b32_e32 v3, v9, v15, vcc_lo
	v_bfe_u32 v9, v0, 16, 1
	v_add3_u32 v15, v18, v8, 0x7fff
	v_cmp_u_f32_e32 vcc_lo, v8, v8
	v_bfe_u32 v18, v4, 16, 1
	v_add3_u32 v8, v17, v2, 0x7fff
	v_add3_u32 v9, v9, v0, 0x7fff
	v_and_b32_e32 v3, 0xffff0000, v3
	v_cndmask_b32_e32 v7, v15, v7, vcc_lo
	v_cmp_u_f32_e32 vcc_lo, v0, v0
	v_or_b32_e32 v15, 0x400000, v4
	v_add_f32_e32 v3, v6, v3
	v_and_b32_e32 v5, 0xffff0000, v7
	v_cndmask_b32_e32 v0, v9, v16, vcc_lo
	v_add3_u32 v9, v18, v4, 0x7fff
	v_cmp_u_f32_e32 vcc_lo, v4, v4
	v_or_b32_e32 v16, 0x400000, v2
	v_and_b32_e32 v6, 0xffff0000, v46
	v_and_b32_e32 v0, 0xffff0000, v0
	v_add_f32_e32 v1, v3, v1
	v_cndmask_b32_e32 v4, v9, v15, vcc_lo
	v_cmp_u_f32_e32 vcc_lo, v2, v2
	v_add_f32_e32 v6, v20, v6
	v_add_f32_e32 v0, v5, v0
	;; [unrolled: 1-line block ×3, first 2 shown]
	v_and_b32_e32 v3, 0xffff0000, v4
	v_cndmask_b32_e32 v2, v8, v16, vcc_lo
	v_add_f32_e32 v4, v50, v53
	v_add_f32_e32 v0, v0, v1
	v_cmp_le_i32_e32 vcc_lo, s12, v41
	v_and_b32_e32 v2, 0xffff0000, v2
	s_or_b32 s15, vcc_lo, s15
	v_add_f32_e32 v1, v2, v3
	v_add_f32_e32 v2, v22, v21
	;; [unrolled: 1-line block ×9, first 2 shown]
	s_andn2_b32 exec_lo, exec_lo, s15
	s_cbranch_execz .LBB339_1038
.LBB339_542:                            ; =>This Inner Loop Header: Depth=1
	global_load_dword v0, v[13:14], off
	s_waitcnt vmcnt(0)
	v_mad_i64_i32 v[15:16], null, v0, s5, v[11:12]
	v_mov_b32_e32 v0, 0
	global_load_dwordx2 v[17:18], v[15:16], off
	ds_read2_b64 v[5:8], v35 offset1:1
	ds_read2_b64 v[1:4], v35 offset0:2 offset1:3
	s_waitcnt vmcnt(0)
	v_cmp_ne_u16_sdwa s16, v17, v10 src0_sel:BYTE_0 src1_sel:DWORD
	s_and_saveexec_b32 s1, s16
	s_cbranch_execz .LBB339_548
; %bb.543:                              ;   in Loop: Header=BB339_542 Depth=1
	v_cmp_ne_u16_sdwa s17, v17, v36 src0_sel:BYTE_0 src1_sel:DWORD
	v_bfrev_b32_e32 v0, 1
	s_and_saveexec_b32 s16, s17
	s_cbranch_execz .LBB339_547
; %bb.544:                              ;   in Loop: Header=BB339_542 Depth=1
	v_and_b32_e32 v9, 0x7f, v17
	v_mov_b32_e32 v0, 0x7f800001
	s_mov_b32 s17, exec_lo
	v_cmpx_ne_u32_e32 0x7f, v9
	s_cbranch_execz .LBB339_546
; %bb.545:                              ;   in Loop: Header=BB339_542 Depth=1
	v_and_b32_e32 v0, 7, v17
	v_cmp_gt_u32_e32 vcc_lo, 8, v9
	v_lshrrev_b32_e32 v19, 3, v9
	v_ffbh_u32_e32 v0, v0
	v_min_u32_e32 v0, 32, v0
	v_subrev_nc_u32_e32 v20, 28, v0
	v_sub_nc_u32_e32 v0, 29, v0
	v_cndmask_b32_e32 v9, 0, v20, vcc_lo
	v_cndmask_b32_e32 v0, v19, v0, vcc_lo
	v_lshlrev_b64 v[19:20], v9, v[17:18]
	v_lshlrev_b32_e32 v9, 24, v17
	v_lshl_add_u32 v0, v0, 23, 0x3c000000
	v_and_b32_e32 v9, 0x80000000, v9
	v_lshlrev_b32_e32 v19, 20, v19
	v_and_b32_e32 v19, 0x700000, v19
	v_or3_b32 v0, v19, v9, v0
.LBB339_546:                            ;   in Loop: Header=BB339_542 Depth=1
	s_or_b32 exec_lo, exec_lo, s17
.LBB339_547:                            ;   in Loop: Header=BB339_542 Depth=1
	s_or_b32 exec_lo, exec_lo, s16
.LBB339_548:                            ;   in Loop: Header=BB339_542 Depth=1
	s_or_b32 exec_lo, exec_lo, s1
	v_cmp_ne_u16_sdwa s16, v17, v10 src0_sel:BYTE_1 src1_sel:DWORD
	v_mov_b32_e32 v22, 0
	v_mov_b32_e32 v21, 0
	s_and_saveexec_b32 s1, s16
	s_cbranch_execz .LBB339_556
; %bb.549:                              ;   in Loop: Header=BB339_542 Depth=1
	v_cmp_ne_u16_sdwa s17, v17, v36 src0_sel:BYTE_1 src1_sel:DWORD
	v_bfrev_b32_e32 v21, 1
	s_and_saveexec_b32 s16, s17
	s_cbranch_execz .LBB339_555
; %bb.550:                              ;   in Loop: Header=BB339_542 Depth=1
	v_and_b32_sdwa v9, v37, v17 dst_sel:DWORD dst_unused:UNUSED_PAD src0_sel:DWORD src1_sel:BYTE_1
	v_mov_b32_e32 v21, 0x7f800001
	s_mov_b32 s17, exec_lo
	v_and_b32_e32 v20, 0x7f, v9
	v_cmpx_ne_u32_e32 0x7f, v20
	s_cbranch_execz .LBB339_554
; %bb.551:                              ;   in Loop: Header=BB339_542 Depth=1
	v_and_b32_e32 v9, 7, v9
	v_lshrrev_b32_e32 v19, 3, v20
	s_mov_b32 s18, exec_lo
	v_cmpx_gt_u32_e32 8, v20
; %bb.552:                              ;   in Loop: Header=BB339_542 Depth=1
	v_ffbh_u32_e32 v19, v9
	v_min_u32_e32 v19, 32, v19
	v_subrev_nc_u32_e32 v20, 28, v19
	v_sub_nc_u32_e32 v19, 29, v19
	v_lshlrev_b64 v[20:21], v20, v[9:10]
	v_and_b32_e32 v9, 7, v20
; %bb.553:                              ;   in Loop: Header=BB339_542 Depth=1
	s_or_b32 exec_lo, exec_lo, s18
	v_lshlrev_b32_e32 v20, 16, v17
	v_lshlrev_b32_e32 v9, 20, v9
	v_lshl_add_u32 v19, v19, 23, 0x3c000000
	v_and_b32_e32 v20, 0x80000000, v20
	v_or3_b32 v21, v9, v20, v19
.LBB339_554:                            ;   in Loop: Header=BB339_542 Depth=1
	s_or_b32 exec_lo, exec_lo, s17
.LBB339_555:                            ;   in Loop: Header=BB339_542 Depth=1
	s_or_b32 exec_lo, exec_lo, s16
.LBB339_556:                            ;   in Loop: Header=BB339_542 Depth=1
	s_or_b32 exec_lo, exec_lo, s1
	v_and_b32_sdwa v9, v17, v38 dst_sel:DWORD dst_unused:UNUSED_PAD src0_sel:WORD_1 src1_sel:DWORD
	s_mov_b32 s1, exec_lo
	v_cmpx_ne_u16_e32 0, v9
	s_cbranch_execz .LBB339_564
; %bb.557:                              ;   in Loop: Header=BB339_542 Depth=1
	v_bfrev_b32_e32 v22, 1
	s_mov_b32 s16, exec_lo
	v_cmpx_ne_u16_e32 0x80, v9
	s_cbranch_execz .LBB339_563
; %bb.558:                              ;   in Loop: Header=BB339_542 Depth=1
	v_bfe_u32 v20, v17, 16, 7
	v_mov_b32_e32 v22, 0x7f800001
	s_mov_b32 s17, exec_lo
	v_cmpx_ne_u32_e32 0x7f, v20
	s_cbranch_execz .LBB339_562
; %bb.559:                              ;   in Loop: Header=BB339_542 Depth=1
	v_and_b32_sdwa v9, v17, v39 dst_sel:DWORD dst_unused:UNUSED_PAD src0_sel:WORD_1 src1_sel:DWORD
	v_lshrrev_b32_e32 v19, 3, v20
	s_mov_b32 s18, exec_lo
	v_cmpx_gt_u32_e32 8, v20
; %bb.560:                              ;   in Loop: Header=BB339_542 Depth=1
	v_ffbh_u32_e32 v19, v9
	v_min_u32_e32 v19, 32, v19
	v_subrev_nc_u32_e32 v20, 28, v19
	v_sub_nc_u32_e32 v19, 29, v19
	v_lshlrev_b64 v[22:23], v20, v[9:10]
	v_and_b32_e32 v9, 7, v22
; %bb.561:                              ;   in Loop: Header=BB339_542 Depth=1
	s_or_b32 exec_lo, exec_lo, s18
	v_lshlrev_b32_sdwa v20, v40, v17 dst_sel:DWORD dst_unused:UNUSED_PAD src0_sel:DWORD src1_sel:WORD_1
	v_lshlrev_b32_e32 v9, 20, v9
	v_lshl_add_u32 v19, v19, 23, 0x3c000000
	v_and_b32_e32 v20, 0x80000000, v20
	v_or3_b32 v22, v9, v20, v19
.LBB339_562:                            ;   in Loop: Header=BB339_542 Depth=1
	s_or_b32 exec_lo, exec_lo, s17
.LBB339_563:                            ;   in Loop: Header=BB339_542 Depth=1
	s_or_b32 exec_lo, exec_lo, s16
.LBB339_564:                            ;   in Loop: Header=BB339_542 Depth=1
	s_or_b32 exec_lo, exec_lo, s1
	v_mov_b32_e32 v23, 0
	v_mov_b32_e32 v42, 0
	s_mov_b32 s1, exec_lo
	v_cmpx_lt_u32_e32 0xffffff, v17
	s_cbranch_execz .LBB339_572
; %bb.565:                              ;   in Loop: Header=BB339_542 Depth=1
	v_cmp_ne_u32_sdwa s17, v17, v36 src0_sel:BYTE_3 src1_sel:DWORD
	v_bfrev_b32_e32 v42, 1
	s_and_saveexec_b32 s16, s17
	s_cbranch_execz .LBB339_571
; %bb.566:                              ;   in Loop: Header=BB339_542 Depth=1
	v_bfe_u32 v20, v17, 24, 7
	v_mov_b32_e32 v42, 0x7f800001
	s_mov_b32 s17, exec_lo
	v_cmpx_ne_u32_e32 0x7f, v20
	s_cbranch_execz .LBB339_570
; %bb.567:                              ;   in Loop: Header=BB339_542 Depth=1
	v_and_b32_sdwa v9, v17, v39 dst_sel:DWORD dst_unused:UNUSED_PAD src0_sel:BYTE_3 src1_sel:DWORD
	v_lshrrev_b32_e32 v19, 3, v20
	s_mov_b32 s18, exec_lo
	v_cmpx_gt_u32_e32 8, v20
; %bb.568:                              ;   in Loop: Header=BB339_542 Depth=1
	v_ffbh_u32_e32 v19, v9
	v_min_u32_e32 v19, 32, v19
	v_subrev_nc_u32_e32 v20, 28, v19
	v_sub_nc_u32_e32 v19, 29, v19
	v_lshlrev_b64 v[42:43], v20, v[9:10]
	v_and_b32_e32 v9, 7, v42
; %bb.569:                              ;   in Loop: Header=BB339_542 Depth=1
	s_or_b32 exec_lo, exec_lo, s18
	v_lshlrev_b32_sdwa v20, v40, v17 dst_sel:DWORD dst_unused:UNUSED_PAD src0_sel:DWORD src1_sel:BYTE_3
	v_lshlrev_b32_e32 v9, 20, v9
	v_lshl_add_u32 v19, v19, 23, 0x3c000000
	v_and_b32_e32 v20, 0x80000000, v20
	v_or3_b32 v42, v9, v20, v19
.LBB339_570:                            ;   in Loop: Header=BB339_542 Depth=1
	s_or_b32 exec_lo, exec_lo, s17
.LBB339_571:                            ;   in Loop: Header=BB339_542 Depth=1
	s_or_b32 exec_lo, exec_lo, s16
.LBB339_572:                            ;   in Loop: Header=BB339_542 Depth=1
	s_or_b32 exec_lo, exec_lo, s1
	v_mov_b32_e32 v9, v18
	v_cmp_ne_u16_sdwa s16, v18, v10 src0_sel:BYTE_0 src1_sel:DWORD
	s_and_saveexec_b32 s1, s16
	s_cbranch_execz .LBB339_578
; %bb.573:                              ;   in Loop: Header=BB339_542 Depth=1
	v_cmp_ne_u16_sdwa s17, v18, v36 src0_sel:BYTE_0 src1_sel:DWORD
	v_bfrev_b32_e32 v23, 1
	s_and_saveexec_b32 s16, s17
	s_cbranch_execz .LBB339_577
; %bb.574:                              ;   in Loop: Header=BB339_542 Depth=1
	v_and_b32_e32 v19, 0x7f, v18
	v_mov_b32_e32 v23, 0x7f800001
	s_mov_b32 s17, exec_lo
	v_cmpx_ne_u32_e32 0x7f, v19
	s_cbranch_execz .LBB339_576
; %bb.575:                              ;   in Loop: Header=BB339_542 Depth=1
	v_and_b32_e32 v20, 7, v18
	v_cmp_gt_u32_e32 vcc_lo, 8, v19
	v_lshrrev_b32_e32 v23, 3, v19
	v_ffbh_u32_e32 v20, v20
	v_min_u32_e32 v20, 32, v20
	v_subrev_nc_u32_e32 v43, 28, v20
	v_sub_nc_u32_e32 v20, 29, v20
	v_cndmask_b32_e32 v19, 0, v43, vcc_lo
	v_cndmask_b32_e32 v23, v23, v20, vcc_lo
	v_lshlrev_b64 v[19:20], v19, v[9:10]
	v_lshlrev_b32_e32 v20, 24, v9
	v_lshl_add_u32 v23, v23, 23, 0x3c000000
	v_lshlrev_b32_e32 v19, 20, v19
	v_and_b32_e32 v20, 0x80000000, v20
	v_and_b32_e32 v19, 0x700000, v19
	v_or3_b32 v23, v19, v20, v23
.LBB339_576:                            ;   in Loop: Header=BB339_542 Depth=1
	s_or_b32 exec_lo, exec_lo, s17
.LBB339_577:                            ;   in Loop: Header=BB339_542 Depth=1
	s_or_b32 exec_lo, exec_lo, s16
.LBB339_578:                            ;   in Loop: Header=BB339_542 Depth=1
	s_or_b32 exec_lo, exec_lo, s1
	v_cmp_ne_u16_sdwa s16, v9, v10 src0_sel:BYTE_1 src1_sel:DWORD
	v_mov_b32_e32 v44, 0
	v_mov_b32_e32 v19, 0
	s_and_saveexec_b32 s1, s16
	s_cbranch_execz .LBB339_586
; %bb.579:                              ;   in Loop: Header=BB339_542 Depth=1
	v_cmp_ne_u16_sdwa s17, v9, v36 src0_sel:BYTE_1 src1_sel:DWORD
	v_bfrev_b32_e32 v19, 1
	s_and_saveexec_b32 s16, s17
	s_cbranch_execz .LBB339_585
; %bb.580:                              ;   in Loop: Header=BB339_542 Depth=1
	v_and_b32_sdwa v20, v37, v9 dst_sel:DWORD dst_unused:UNUSED_PAD src0_sel:DWORD src1_sel:BYTE_1
	v_mov_b32_e32 v19, 0x7f800001
	s_mov_b32 s17, exec_lo
	v_and_b32_e32 v45, 0x7f, v20
	v_cmpx_ne_u32_e32 0x7f, v45
	s_cbranch_execz .LBB339_584
; %bb.581:                              ;   in Loop: Header=BB339_542 Depth=1
	v_and_b32_e32 v19, 7, v20
	v_mov_b32_e32 v20, v10
	v_lshrrev_b32_e32 v43, 3, v45
	s_mov_b32 s18, exec_lo
	v_cmpx_gt_u32_e32 8, v45
; %bb.582:                              ;   in Loop: Header=BB339_542 Depth=1
	v_ffbh_u32_e32 v43, v19
	v_min_u32_e32 v43, 32, v43
	v_subrev_nc_u32_e32 v45, 28, v43
	v_sub_nc_u32_e32 v43, 29, v43
	v_lshlrev_b64 v[19:20], v45, v[19:20]
	v_and_b32_e32 v19, 7, v19
; %bb.583:                              ;   in Loop: Header=BB339_542 Depth=1
	s_or_b32 exec_lo, exec_lo, s18
	v_lshlrev_b32_e32 v9, 16, v9
	v_lshlrev_b32_e32 v19, 20, v19
	v_lshl_add_u32 v20, v43, 23, 0x3c000000
	v_and_b32_e32 v9, 0x80000000, v9
	v_or3_b32 v19, v19, v9, v20
.LBB339_584:                            ;   in Loop: Header=BB339_542 Depth=1
	s_or_b32 exec_lo, exec_lo, s17
.LBB339_585:                            ;   in Loop: Header=BB339_542 Depth=1
	s_or_b32 exec_lo, exec_lo, s16
.LBB339_586:                            ;   in Loop: Header=BB339_542 Depth=1
	s_or_b32 exec_lo, exec_lo, s1
	v_and_b32_sdwa v9, v18, v38 dst_sel:DWORD dst_unused:UNUSED_PAD src0_sel:WORD_1 src1_sel:DWORD
	s_mov_b32 s1, exec_lo
	v_cmpx_ne_u16_e32 0, v9
	s_cbranch_execz .LBB339_594
; %bb.587:                              ;   in Loop: Header=BB339_542 Depth=1
	v_bfrev_b32_e32 v44, 1
	s_mov_b32 s16, exec_lo
	v_cmpx_ne_u16_e32 0x80, v9
	s_cbranch_execz .LBB339_593
; %bb.588:                              ;   in Loop: Header=BB339_542 Depth=1
	v_bfe_u32 v43, v18, 16, 7
	v_mov_b32_e32 v44, 0x7f800001
	s_mov_b32 s17, exec_lo
	v_cmpx_ne_u32_e32 0x7f, v43
	s_cbranch_execz .LBB339_592
; %bb.589:                              ;   in Loop: Header=BB339_542 Depth=1
	v_and_b32_sdwa v9, v18, v39 dst_sel:DWORD dst_unused:UNUSED_PAD src0_sel:WORD_1 src1_sel:DWORD
	v_lshrrev_b32_e32 v20, 3, v43
	s_mov_b32 s18, exec_lo
	v_cmpx_gt_u32_e32 8, v43
; %bb.590:                              ;   in Loop: Header=BB339_542 Depth=1
	v_ffbh_u32_e32 v20, v9
	v_min_u32_e32 v20, 32, v20
	v_subrev_nc_u32_e32 v43, 28, v20
	v_sub_nc_u32_e32 v20, 29, v20
	v_lshlrev_b64 v[43:44], v43, v[9:10]
	v_and_b32_e32 v9, 7, v43
; %bb.591:                              ;   in Loop: Header=BB339_542 Depth=1
	s_or_b32 exec_lo, exec_lo, s18
	v_lshlrev_b32_sdwa v43, v40, v18 dst_sel:DWORD dst_unused:UNUSED_PAD src0_sel:DWORD src1_sel:WORD_1
	v_lshlrev_b32_e32 v9, 20, v9
	v_lshl_add_u32 v20, v20, 23, 0x3c000000
	v_and_b32_e32 v43, 0x80000000, v43
	v_or3_b32 v44, v9, v43, v20
.LBB339_592:                            ;   in Loop: Header=BB339_542 Depth=1
	s_or_b32 exec_lo, exec_lo, s17
.LBB339_593:                            ;   in Loop: Header=BB339_542 Depth=1
	s_or_b32 exec_lo, exec_lo, s16
.LBB339_594:                            ;   in Loop: Header=BB339_542 Depth=1
	s_or_b32 exec_lo, exec_lo, s1
	v_mov_b32_e32 v9, 0
	s_mov_b32 s1, exec_lo
	v_cmpx_lt_u64_e64 s[2:3], v[17:18]
	s_cbranch_execz .LBB339_602
; %bb.595:                              ;   in Loop: Header=BB339_542 Depth=1
	v_cmp_ne_u32_sdwa s17, v18, v36 src0_sel:BYTE_3 src1_sel:DWORD
	v_bfrev_b32_e32 v9, 1
	s_and_saveexec_b32 s16, s17
	s_cbranch_execz .LBB339_601
; %bb.596:                              ;   in Loop: Header=BB339_542 Depth=1
	v_bfe_u32 v20, v18, 24, 7
	v_mov_b32_e32 v9, 0x7f800001
	s_mov_b32 s17, exec_lo
	v_cmpx_ne_u32_e32 0x7f, v20
	s_cbranch_execz .LBB339_600
; %bb.597:                              ;   in Loop: Header=BB339_542 Depth=1
	v_and_b32_sdwa v9, v18, v39 dst_sel:DWORD dst_unused:UNUSED_PAD src0_sel:BYTE_3 src1_sel:DWORD
	v_lshrrev_b32_e32 v17, 3, v20
	s_mov_b32 s18, exec_lo
	v_cmpx_gt_u32_e32 8, v20
; %bb.598:                              ;   in Loop: Header=BB339_542 Depth=1
	v_ffbh_u32_e32 v17, v9
	v_min_u32_e32 v17, 32, v17
	v_subrev_nc_u32_e32 v20, 28, v17
	v_sub_nc_u32_e32 v17, 29, v17
	v_lshlrev_b64 v[45:46], v20, v[9:10]
	v_and_b32_e32 v9, 7, v45
; %bb.599:                              ;   in Loop: Header=BB339_542 Depth=1
	s_or_b32 exec_lo, exec_lo, s18
	v_lshlrev_b32_sdwa v18, v40, v18 dst_sel:DWORD dst_unused:UNUSED_PAD src0_sel:DWORD src1_sel:BYTE_3
	v_lshlrev_b32_e32 v9, 20, v9
	v_lshl_add_u32 v17, v17, 23, 0x3c000000
	v_and_b32_e32 v18, 0x80000000, v18
	v_or3_b32 v9, v9, v18, v17
.LBB339_600:                            ;   in Loop: Header=BB339_542 Depth=1
	s_or_b32 exec_lo, exec_lo, s17
.LBB339_601:                            ;   in Loop: Header=BB339_542 Depth=1
	s_or_b32 exec_lo, exec_lo, s16
.LBB339_602:                            ;   in Loop: Header=BB339_542 Depth=1
	s_or_b32 exec_lo, exec_lo, s1
	s_waitcnt lgkmcnt(0)
	v_mul_f32_e32 v17, s13, v19
	v_mul_f32_e32 v18, s13, v23
	;; [unrolled: 1-line block ×5, first 2 shown]
	v_bfe_u32 v20, v17, 16, 1
	v_or_b32_e32 v23, 0x400000, v17
	v_bfe_u32 v42, v18, 16, 1
	v_cmp_u_f32_e64 s1, v17, v17
	v_or_b32_e32 v43, 0x400000, v18
	v_add3_u32 v20, v20, v17, 0x7fff
	v_bfe_u32 v45, v19, 16, 1
	v_add3_u32 v42, v42, v18, 0x7fff
	v_or_b32_e32 v46, 0x400000, v19
	v_mul_f32_e32 v9, s13, v9
	v_cndmask_b32_e64 v17, v20, v23, s1
	v_cmp_u_f32_e64 s1, v18, v18
	v_add3_u32 v23, v45, v19, 0x7fff
	v_bfe_u32 v20, v22, 16, 1
	v_add_nc_u32_e32 v50, -7, v34
	v_cmp_eq_u32_e32 vcc_lo, s14, v41
	v_cndmask_b32_e64 v18, v42, v43, s1
	v_cmp_u_f32_e64 s1, v19, v19
	v_lshrrev_b32_e32 v43, 16, v17
	v_mul_f32_e32 v19, s13, v21
	v_add3_u32 v20, v20, v22, 0x7fff
	v_or_b32_e32 v21, 0x400000, v22
	v_cndmask_b32_e64 v17, v23, v46, s1
	v_cmp_u_f32_e64 s1, v22, v22
	v_lshrrev_b32_e32 v42, 16, v18
	v_bfe_u32 v22, v0, 16, 1
	v_or_b32_e32 v46, 0x400000, v9
	v_lshrrev_b32_e32 v45, 16, v17
	v_bfe_u32 v17, v19, 16, 1
	v_cndmask_b32_e64 v18, v20, v21, s1
	v_mul_f32_e32 v20, s13, v44
	v_or_b32_e32 v21, 0x400000, v19
	v_cmp_u_f32_e64 s1, v19, v19
	v_add3_u32 v17, v17, v19, 0x7fff
	v_bfe_u32 v19, v9, 16, 1
	v_bfe_u32 v23, v20, 16, 1
	v_or_b32_e32 v44, 0x400000, v20
	v_lshrrev_b32_e32 v47, 16, v18
	v_cndmask_b32_e64 v17, v17, v21, s1
	v_add3_u32 v21, v22, v0, 0x7fff
	v_or_b32_e32 v22, 0x400000, v0
	v_cmp_u_f32_e64 s1, v0, v0
	v_add3_u32 v23, v23, v20, 0x7fff
	v_add3_u32 v19, v19, v9, 0x7fff
	v_lshrrev_b32_e32 v49, 16, v17
	v_add_nc_u32_e32 v61, -6, v34
	v_cndmask_b32_e64 v0, v21, v22, s1
	v_cmp_u_f32_e64 s1, v20, v20
	v_add_nc_u32_e32 v60, -5, v34
	v_add_nc_u32_e32 v59, -4, v34
	;; [unrolled: 1-line block ×3, first 2 shown]
	v_lshrrev_b32_e32 v48, 16, v0
	v_cndmask_b32_e64 v20, v23, v44, s1
	v_cmp_u_f32_e64 s1, v9, v9
	v_add_nc_u32_e32 v57, -2, v34
	v_add_nc_u32_e32 v56, -1, v34
	v_lshrrev_b32_e32 v44, 16, v20
	v_cndmask_b32_e64 v9, v19, v46, s1
	v_lshrrev_b32_e32 v46, 16, v9
	s_and_saveexec_b32 s16, vcc_lo
	s_cbranch_execz .LBB339_604
; %bb.603:                              ;   in Loop: Header=BB339_542 Depth=1
	v_cmp_gt_i32_e64 s1, s11, v50
	v_cndmask_b32_e64 v48, 0, v48, s1
	v_cmp_gt_i32_e64 s1, s11, v61
	v_cndmask_b32_e64 v49, 0, v49, s1
	;; [unrolled: 2-line block ×8, first 2 shown]
.LBB339_604:                            ;   in Loop: Header=BB339_542 Depth=1
	s_or_b32 exec_lo, exec_lo, s16
	global_load_dwordx2 v[17:18], v[15:16], off offset:256
	v_mov_b32_e32 v21, 0
	v_mov_b32_e32 v0, 0
	s_waitcnt vmcnt(0)
	v_cmp_ne_u16_sdwa s1, v17, v10 src0_sel:BYTE_0 src1_sel:DWORD
	s_and_saveexec_b32 s16, s1
	s_cbranch_execz .LBB339_610
; %bb.605:                              ;   in Loop: Header=BB339_542 Depth=1
	v_cmp_ne_u16_sdwa s1, v17, v36 src0_sel:BYTE_0 src1_sel:DWORD
	v_bfrev_b32_e32 v0, 1
	s_and_saveexec_b32 s17, s1
	s_cbranch_execz .LBB339_609
; %bb.606:                              ;   in Loop: Header=BB339_542 Depth=1
	v_and_b32_e32 v9, 0x7f, v17
	v_mov_b32_e32 v0, 0x7f800001
	s_mov_b32 s18, exec_lo
	v_cmpx_ne_u32_e32 0x7f, v9
	s_cbranch_execz .LBB339_608
; %bb.607:                              ;   in Loop: Header=BB339_542 Depth=1
	v_and_b32_e32 v0, 7, v17
	v_cmp_gt_u32_e64 s1, 8, v9
	v_lshrrev_b32_e32 v19, 3, v9
	v_ffbh_u32_e32 v0, v0
	v_min_u32_e32 v0, 32, v0
	v_subrev_nc_u32_e32 v20, 28, v0
	v_sub_nc_u32_e32 v0, 29, v0
	v_cndmask_b32_e64 v9, 0, v20, s1
	v_cndmask_b32_e64 v0, v19, v0, s1
	v_lshlrev_b64 v[19:20], v9, v[17:18]
	v_lshlrev_b32_e32 v9, 24, v17
	v_lshl_add_u32 v0, v0, 23, 0x3c000000
	v_and_b32_e32 v9, 0x80000000, v9
	v_lshlrev_b32_e32 v19, 20, v19
	v_and_b32_e32 v19, 0x700000, v19
	v_or3_b32 v0, v19, v9, v0
.LBB339_608:                            ;   in Loop: Header=BB339_542 Depth=1
	s_or_b32 exec_lo, exec_lo, s18
.LBB339_609:                            ;   in Loop: Header=BB339_542 Depth=1
	s_or_b32 exec_lo, exec_lo, s17
.LBB339_610:                            ;   in Loop: Header=BB339_542 Depth=1
	s_or_b32 exec_lo, exec_lo, s16
	v_cmp_ne_u16_sdwa s1, v17, v10 src0_sel:BYTE_1 src1_sel:DWORD
	s_and_saveexec_b32 s16, s1
	s_cbranch_execz .LBB339_618
; %bb.611:                              ;   in Loop: Header=BB339_542 Depth=1
	v_cmp_ne_u16_sdwa s1, v17, v36 src0_sel:BYTE_1 src1_sel:DWORD
	v_bfrev_b32_e32 v21, 1
	s_and_saveexec_b32 s17, s1
	s_cbranch_execz .LBB339_617
; %bb.612:                              ;   in Loop: Header=BB339_542 Depth=1
	v_and_b32_sdwa v9, v37, v17 dst_sel:DWORD dst_unused:UNUSED_PAD src0_sel:DWORD src1_sel:BYTE_1
	v_mov_b32_e32 v21, 0x7f800001
	s_mov_b32 s18, exec_lo
	v_and_b32_e32 v20, 0x7f, v9
	v_cmpx_ne_u32_e32 0x7f, v20
	s_cbranch_execz .LBB339_616
; %bb.613:                              ;   in Loop: Header=BB339_542 Depth=1
	v_and_b32_e32 v9, 7, v9
	v_lshrrev_b32_e32 v19, 3, v20
	s_mov_b32 s19, exec_lo
	v_cmpx_gt_u32_e32 8, v20
; %bb.614:                              ;   in Loop: Header=BB339_542 Depth=1
	v_ffbh_u32_e32 v19, v9
	v_min_u32_e32 v19, 32, v19
	v_subrev_nc_u32_e32 v20, 28, v19
	v_sub_nc_u32_e32 v19, 29, v19
	v_lshlrev_b64 v[20:21], v20, v[9:10]
	v_and_b32_e32 v9, 7, v20
; %bb.615:                              ;   in Loop: Header=BB339_542 Depth=1
	s_or_b32 exec_lo, exec_lo, s19
	v_lshlrev_b32_e32 v20, 16, v17
	v_lshlrev_b32_e32 v9, 20, v9
	v_lshl_add_u32 v19, v19, 23, 0x3c000000
	v_and_b32_e32 v20, 0x80000000, v20
	v_or3_b32 v21, v9, v20, v19
.LBB339_616:                            ;   in Loop: Header=BB339_542 Depth=1
	s_or_b32 exec_lo, exec_lo, s18
.LBB339_617:                            ;   in Loop: Header=BB339_542 Depth=1
	s_or_b32 exec_lo, exec_lo, s17
.LBB339_618:                            ;   in Loop: Header=BB339_542 Depth=1
	s_or_b32 exec_lo, exec_lo, s16
	v_and_b32_sdwa v9, v17, v38 dst_sel:DWORD dst_unused:UNUSED_PAD src0_sel:WORD_1 src1_sel:DWORD
	v_mov_b32_e32 v23, 0
	v_mov_b32_e32 v22, 0
	s_mov_b32 s16, exec_lo
	v_cmpx_ne_u16_e32 0, v9
	s_cbranch_execz .LBB339_626
; %bb.619:                              ;   in Loop: Header=BB339_542 Depth=1
	v_bfrev_b32_e32 v22, 1
	s_mov_b32 s17, exec_lo
	v_cmpx_ne_u16_e32 0x80, v9
	s_cbranch_execz .LBB339_625
; %bb.620:                              ;   in Loop: Header=BB339_542 Depth=1
	v_bfe_u32 v20, v17, 16, 7
	v_mov_b32_e32 v22, 0x7f800001
	s_mov_b32 s18, exec_lo
	v_cmpx_ne_u32_e32 0x7f, v20
	s_cbranch_execz .LBB339_624
; %bb.621:                              ;   in Loop: Header=BB339_542 Depth=1
	v_and_b32_sdwa v9, v17, v39 dst_sel:DWORD dst_unused:UNUSED_PAD src0_sel:WORD_1 src1_sel:DWORD
	v_lshrrev_b32_e32 v19, 3, v20
	s_mov_b32 s19, exec_lo
	v_cmpx_gt_u32_e32 8, v20
; %bb.622:                              ;   in Loop: Header=BB339_542 Depth=1
	v_ffbh_u32_e32 v19, v9
	v_min_u32_e32 v19, 32, v19
	v_subrev_nc_u32_e32 v20, 28, v19
	v_sub_nc_u32_e32 v19, 29, v19
	v_lshlrev_b64 v[51:52], v20, v[9:10]
	v_and_b32_e32 v9, 7, v51
; %bb.623:                              ;   in Loop: Header=BB339_542 Depth=1
	s_or_b32 exec_lo, exec_lo, s19
	v_lshlrev_b32_sdwa v20, v40, v17 dst_sel:DWORD dst_unused:UNUSED_PAD src0_sel:DWORD src1_sel:WORD_1
	v_lshlrev_b32_e32 v9, 20, v9
	v_lshl_add_u32 v19, v19, 23, 0x3c000000
	v_and_b32_e32 v20, 0x80000000, v20
	v_or3_b32 v22, v9, v20, v19
.LBB339_624:                            ;   in Loop: Header=BB339_542 Depth=1
	s_or_b32 exec_lo, exec_lo, s18
.LBB339_625:                            ;   in Loop: Header=BB339_542 Depth=1
	s_or_b32 exec_lo, exec_lo, s17
.LBB339_626:                            ;   in Loop: Header=BB339_542 Depth=1
	s_or_b32 exec_lo, exec_lo, s16
	s_mov_b32 s16, exec_lo
	v_cmpx_lt_u32_e32 0xffffff, v17
	s_cbranch_execz .LBB339_634
; %bb.627:                              ;   in Loop: Header=BB339_542 Depth=1
	v_cmp_ne_u32_sdwa s1, v17, v36 src0_sel:BYTE_3 src1_sel:DWORD
	v_bfrev_b32_e32 v23, 1
	s_and_saveexec_b32 s17, s1
	s_cbranch_execz .LBB339_633
; %bb.628:                              ;   in Loop: Header=BB339_542 Depth=1
	v_bfe_u32 v20, v17, 24, 7
	v_mov_b32_e32 v23, 0x7f800001
	s_mov_b32 s18, exec_lo
	v_cmpx_ne_u32_e32 0x7f, v20
	s_cbranch_execz .LBB339_632
; %bb.629:                              ;   in Loop: Header=BB339_542 Depth=1
	v_and_b32_sdwa v9, v17, v39 dst_sel:DWORD dst_unused:UNUSED_PAD src0_sel:BYTE_3 src1_sel:DWORD
	v_lshrrev_b32_e32 v19, 3, v20
	s_mov_b32 s19, exec_lo
	v_cmpx_gt_u32_e32 8, v20
; %bb.630:                              ;   in Loop: Header=BB339_542 Depth=1
	v_ffbh_u32_e32 v19, v9
	v_min_u32_e32 v19, 32, v19
	v_subrev_nc_u32_e32 v20, 28, v19
	v_sub_nc_u32_e32 v19, 29, v19
	v_lshlrev_b64 v[51:52], v20, v[9:10]
	v_and_b32_e32 v9, 7, v51
; %bb.631:                              ;   in Loop: Header=BB339_542 Depth=1
	s_or_b32 exec_lo, exec_lo, s19
	v_lshlrev_b32_sdwa v20, v40, v17 dst_sel:DWORD dst_unused:UNUSED_PAD src0_sel:DWORD src1_sel:BYTE_3
	v_lshlrev_b32_e32 v9, 20, v9
	v_lshl_add_u32 v19, v19, 23, 0x3c000000
	v_and_b32_e32 v20, 0x80000000, v20
	v_or3_b32 v23, v9, v20, v19
.LBB339_632:                            ;   in Loop: Header=BB339_542 Depth=1
	s_or_b32 exec_lo, exec_lo, s18
.LBB339_633:                            ;   in Loop: Header=BB339_542 Depth=1
	s_or_b32 exec_lo, exec_lo, s17
.LBB339_634:                            ;   in Loop: Header=BB339_542 Depth=1
	s_or_b32 exec_lo, exec_lo, s16
	v_mov_b32_e32 v9, v18
	v_cmp_ne_u16_sdwa s1, v18, v10 src0_sel:BYTE_0 src1_sel:DWORD
	v_mov_b32_e32 v19, 0
	v_mov_b32_e32 v51, 0
	s_and_saveexec_b32 s16, s1
	s_cbranch_execz .LBB339_640
; %bb.635:                              ;   in Loop: Header=BB339_542 Depth=1
	v_cmp_ne_u16_sdwa s1, v18, v36 src0_sel:BYTE_0 src1_sel:DWORD
	v_bfrev_b32_e32 v51, 1
	s_and_saveexec_b32 s17, s1
	s_cbranch_execz .LBB339_639
; %bb.636:                              ;   in Loop: Header=BB339_542 Depth=1
	v_and_b32_e32 v20, 0x7f, v18
	v_mov_b32_e32 v51, 0x7f800001
	s_mov_b32 s18, exec_lo
	v_cmpx_ne_u32_e32 0x7f, v20
	s_cbranch_execz .LBB339_638
; %bb.637:                              ;   in Loop: Header=BB339_542 Depth=1
	v_and_b32_e32 v51, 7, v18
	v_lshrrev_b32_e32 v52, 3, v20
	v_cmp_gt_u32_e64 s1, 8, v20
	v_ffbh_u32_e32 v51, v51
	v_min_u32_e32 v51, 32, v51
	v_subrev_nc_u32_e32 v53, 28, v51
	v_sub_nc_u32_e32 v51, 29, v51
	v_cndmask_b32_e64 v20, v52, v51, s1
	v_cndmask_b32_e64 v51, 0, v53, s1
	v_lshl_add_u32 v20, v20, 23, 0x3c000000
	v_lshlrev_b64 v[51:52], v51, v[9:10]
	v_lshlrev_b32_e32 v52, 24, v9
	v_lshlrev_b32_e32 v51, 20, v51
	v_and_b32_e32 v52, 0x80000000, v52
	v_and_b32_e32 v51, 0x700000, v51
	v_or3_b32 v51, v51, v52, v20
.LBB339_638:                            ;   in Loop: Header=BB339_542 Depth=1
	s_or_b32 exec_lo, exec_lo, s18
.LBB339_639:                            ;   in Loop: Header=BB339_542 Depth=1
	s_or_b32 exec_lo, exec_lo, s17
.LBB339_640:                            ;   in Loop: Header=BB339_542 Depth=1
	s_or_b32 exec_lo, exec_lo, s16
	v_cmp_ne_u16_sdwa s1, v9, v10 src0_sel:BYTE_1 src1_sel:DWORD
	s_and_saveexec_b32 s16, s1
	s_cbranch_execz .LBB339_648
; %bb.641:                              ;   in Loop: Header=BB339_542 Depth=1
	v_cmp_ne_u16_sdwa s1, v9, v36 src0_sel:BYTE_1 src1_sel:DWORD
	v_bfrev_b32_e32 v19, 1
	s_and_saveexec_b32 s17, s1
	s_cbranch_execz .LBB339_647
; %bb.642:                              ;   in Loop: Header=BB339_542 Depth=1
	v_and_b32_sdwa v20, v37, v9 dst_sel:DWORD dst_unused:UNUSED_PAD src0_sel:DWORD src1_sel:BYTE_1
	v_mov_b32_e32 v19, 0x7f800001
	s_mov_b32 s18, exec_lo
	v_and_b32_e32 v53, 0x7f, v20
	v_cmpx_ne_u32_e32 0x7f, v53
	s_cbranch_execz .LBB339_646
; %bb.643:                              ;   in Loop: Header=BB339_542 Depth=1
	v_and_b32_e32 v19, 7, v20
	v_mov_b32_e32 v20, v10
	v_lshrrev_b32_e32 v52, 3, v53
	s_mov_b32 s19, exec_lo
	v_cmpx_gt_u32_e32 8, v53
; %bb.644:                              ;   in Loop: Header=BB339_542 Depth=1
	v_ffbh_u32_e32 v52, v19
	v_min_u32_e32 v52, 32, v52
	v_subrev_nc_u32_e32 v53, 28, v52
	v_sub_nc_u32_e32 v52, 29, v52
	v_lshlrev_b64 v[19:20], v53, v[19:20]
	v_and_b32_e32 v19, 7, v19
; %bb.645:                              ;   in Loop: Header=BB339_542 Depth=1
	s_or_b32 exec_lo, exec_lo, s19
	v_lshlrev_b32_e32 v9, 16, v9
	v_lshlrev_b32_e32 v19, 20, v19
	v_lshl_add_u32 v20, v52, 23, 0x3c000000
	v_and_b32_e32 v9, 0x80000000, v9
	v_or3_b32 v19, v19, v9, v20
.LBB339_646:                            ;   in Loop: Header=BB339_542 Depth=1
	s_or_b32 exec_lo, exec_lo, s18
.LBB339_647:                            ;   in Loop: Header=BB339_542 Depth=1
	s_or_b32 exec_lo, exec_lo, s17
.LBB339_648:                            ;   in Loop: Header=BB339_542 Depth=1
	s_or_b32 exec_lo, exec_lo, s16
	v_and_b32_sdwa v9, v18, v38 dst_sel:DWORD dst_unused:UNUSED_PAD src0_sel:WORD_1 src1_sel:DWORD
	v_mov_b32_e32 v20, 0
	v_mov_b32_e32 v53, 0
	s_mov_b32 s16, exec_lo
	v_cmpx_ne_u16_e32 0, v9
	s_cbranch_execz .LBB339_656
; %bb.649:                              ;   in Loop: Header=BB339_542 Depth=1
	v_bfrev_b32_e32 v53, 1
	s_mov_b32 s17, exec_lo
	v_cmpx_ne_u16_e32 0x80, v9
	s_cbranch_execz .LBB339_655
; %bb.650:                              ;   in Loop: Header=BB339_542 Depth=1
	v_bfe_u32 v54, v18, 16, 7
	v_mov_b32_e32 v53, 0x7f800001
	s_mov_b32 s18, exec_lo
	v_cmpx_ne_u32_e32 0x7f, v54
	s_cbranch_execz .LBB339_654
; %bb.651:                              ;   in Loop: Header=BB339_542 Depth=1
	v_and_b32_sdwa v9, v18, v39 dst_sel:DWORD dst_unused:UNUSED_PAD src0_sel:WORD_1 src1_sel:DWORD
	v_lshrrev_b32_e32 v52, 3, v54
	s_mov_b32 s19, exec_lo
	v_cmpx_gt_u32_e32 8, v54
; %bb.652:                              ;   in Loop: Header=BB339_542 Depth=1
	v_ffbh_u32_e32 v52, v9
	v_min_u32_e32 v52, 32, v52
	v_subrev_nc_u32_e32 v53, 28, v52
	v_sub_nc_u32_e32 v52, 29, v52
	v_lshlrev_b64 v[53:54], v53, v[9:10]
	v_and_b32_e32 v9, 7, v53
; %bb.653:                              ;   in Loop: Header=BB339_542 Depth=1
	s_or_b32 exec_lo, exec_lo, s19
	v_lshlrev_b32_sdwa v53, v40, v18 dst_sel:DWORD dst_unused:UNUSED_PAD src0_sel:DWORD src1_sel:WORD_1
	v_lshlrev_b32_e32 v9, 20, v9
	v_lshl_add_u32 v52, v52, 23, 0x3c000000
	v_and_b32_e32 v53, 0x80000000, v53
	v_or3_b32 v53, v9, v53, v52
.LBB339_654:                            ;   in Loop: Header=BB339_542 Depth=1
	s_or_b32 exec_lo, exec_lo, s18
.LBB339_655:                            ;   in Loop: Header=BB339_542 Depth=1
	s_or_b32 exec_lo, exec_lo, s17
.LBB339_656:                            ;   in Loop: Header=BB339_542 Depth=1
	s_or_b32 exec_lo, exec_lo, s16
	s_mov_b32 s16, exec_lo
	v_cmpx_lt_u64_e64 s[2:3], v[17:18]
	s_cbranch_execz .LBB339_664
; %bb.657:                              ;   in Loop: Header=BB339_542 Depth=1
	v_cmp_ne_u32_sdwa s1, v18, v36 src0_sel:BYTE_3 src1_sel:DWORD
	v_bfrev_b32_e32 v20, 1
	s_and_saveexec_b32 s17, s1
	s_cbranch_execz .LBB339_663
; %bb.658:                              ;   in Loop: Header=BB339_542 Depth=1
	v_bfe_u32 v52, v18, 24, 7
	v_mov_b32_e32 v20, 0x7f800001
	s_mov_b32 s18, exec_lo
	v_cmpx_ne_u32_e32 0x7f, v52
	s_cbranch_execz .LBB339_662
; %bb.659:                              ;   in Loop: Header=BB339_542 Depth=1
	v_and_b32_sdwa v9, v18, v39 dst_sel:DWORD dst_unused:UNUSED_PAD src0_sel:BYTE_3 src1_sel:DWORD
	v_lshrrev_b32_e32 v17, 3, v52
	s_mov_b32 s19, exec_lo
	v_cmpx_gt_u32_e32 8, v52
; %bb.660:                              ;   in Loop: Header=BB339_542 Depth=1
	v_ffbh_u32_e32 v17, v9
	v_min_u32_e32 v17, 32, v17
	v_subrev_nc_u32_e32 v20, 28, v17
	v_sub_nc_u32_e32 v17, 29, v17
	v_lshlrev_b64 v[54:55], v20, v[9:10]
	v_and_b32_e32 v9, 7, v54
; %bb.661:                              ;   in Loop: Header=BB339_542 Depth=1
	s_or_b32 exec_lo, exec_lo, s19
	v_lshlrev_b32_sdwa v18, v40, v18 dst_sel:DWORD dst_unused:UNUSED_PAD src0_sel:DWORD src1_sel:BYTE_3
	v_lshlrev_b32_e32 v9, 20, v9
	v_lshl_add_u32 v17, v17, 23, 0x3c000000
	v_and_b32_e32 v18, 0x80000000, v18
	v_or3_b32 v20, v9, v18, v17
.LBB339_662:                            ;   in Loop: Header=BB339_542 Depth=1
	s_or_b32 exec_lo, exec_lo, s18
.LBB339_663:                            ;   in Loop: Header=BB339_542 Depth=1
	s_or_b32 exec_lo, exec_lo, s17
.LBB339_664:                            ;   in Loop: Header=BB339_542 Depth=1
	s_or_b32 exec_lo, exec_lo, s16
	v_mul_f32_e32 v9, s13, v19
	v_mul_f32_e32 v17, s13, v51
	;; [unrolled: 1-line block ×5, first 2 shown]
	v_bfe_u32 v22, v9, 16, 1
	v_or_b32_e32 v23, 0x400000, v9
	v_bfe_u32 v51, v17, 16, 1
	v_cmp_u_f32_e64 s1, v9, v9
	v_or_b32_e32 v52, 0x400000, v17
	v_add3_u32 v22, v22, v9, 0x7fff
	v_bfe_u32 v54, v18, 16, 1
	v_add3_u32 v51, v51, v17, 0x7fff
	v_or_b32_e32 v55, 0x400000, v18
	v_bfe_u32 v62, v19, 16, 1
	v_cndmask_b32_e64 v9, v22, v23, s1
	v_cmp_u_f32_e64 s1, v17, v17
	v_add3_u32 v54, v54, v18, 0x7fff
	v_or_b32_e32 v22, 0x400000, v19
	v_mul_f32_e32 v20, s13, v20
	v_cndmask_b32_e64 v17, v51, v52, s1
	v_cmp_u_f32_e64 s1, v18, v18
	v_lshrrev_b32_e32 v51, 16, v9
	v_mul_f32_e32 v9, s13, v21
	v_add3_u32 v21, v62, v19, 0x7fff
	v_lshrrev_b32_e32 v52, 16, v17
	v_cndmask_b32_e64 v18, v54, v55, s1
	v_cmp_u_f32_e64 s1, v19, v19
	v_bfe_u32 v17, v9, 16, 1
	v_mul_f32_e32 v19, s13, v53
	v_or_b32_e32 v55, 0x400000, v20
	v_lshrrev_b32_e32 v54, 16, v18
	v_cndmask_b32_e64 v18, v21, v22, s1
	v_add3_u32 v17, v17, v9, 0x7fff
	v_or_b32_e32 v21, 0x400000, v9
	v_bfe_u32 v22, v0, 16, 1
	v_cmp_u_f32_e64 s1, v9, v9
	v_bfe_u32 v23, v19, 16, 1
	v_or_b32_e32 v53, 0x400000, v19
	v_lshrrev_b32_e32 v62, 16, v18
	v_cndmask_b32_e64 v9, v17, v21, s1
	v_add3_u32 v21, v22, v0, 0x7fff
	v_or_b32_e32 v22, 0x400000, v0
	v_cmp_u_f32_e64 s1, v0, v0
	v_bfe_u32 v17, v20, 16, 1
	v_add3_u32 v23, v23, v19, 0x7fff
	v_lshrrev_b32_e32 v64, 16, v9
	v_cndmask_b32_e64 v0, v21, v22, s1
	v_cmp_u_f32_e64 s1, v19, v19
	v_add3_u32 v17, v17, v20, 0x7fff
	v_lshrrev_b32_e32 v63, 16, v0
	v_cndmask_b32_e64 v19, v23, v53, s1
	v_cmp_u_f32_e64 s1, v20, v20
	v_lshrrev_b32_e32 v53, 16, v19
	v_cndmask_b32_e64 v17, v17, v55, s1
	v_lshrrev_b32_e32 v55, 16, v17
	s_and_saveexec_b32 s16, vcc_lo
	s_cbranch_execz .LBB339_666
; %bb.665:                              ;   in Loop: Header=BB339_542 Depth=1
	v_cmp_gt_i32_e64 s1, s11, v50
	v_cndmask_b32_e64 v63, 0, v63, s1
	v_cmp_gt_i32_e64 s1, s11, v61
	v_cndmask_b32_e64 v64, 0, v64, s1
	;; [unrolled: 2-line block ×8, first 2 shown]
.LBB339_666:                            ;   in Loop: Header=BB339_542 Depth=1
	s_or_b32 exec_lo, exec_lo, s16
	global_load_dwordx2 v[17:18], v[15:16], off offset:512
	v_mov_b32_e32 v21, 0
	v_mov_b32_e32 v0, 0
	s_waitcnt vmcnt(0)
	v_cmp_ne_u16_sdwa s1, v17, v10 src0_sel:BYTE_0 src1_sel:DWORD
	s_and_saveexec_b32 s16, s1
	s_cbranch_execz .LBB339_672
; %bb.667:                              ;   in Loop: Header=BB339_542 Depth=1
	v_cmp_ne_u16_sdwa s1, v17, v36 src0_sel:BYTE_0 src1_sel:DWORD
	v_bfrev_b32_e32 v0, 1
	s_and_saveexec_b32 s17, s1
	s_cbranch_execz .LBB339_671
; %bb.668:                              ;   in Loop: Header=BB339_542 Depth=1
	v_and_b32_e32 v9, 0x7f, v17
	v_mov_b32_e32 v0, 0x7f800001
	s_mov_b32 s18, exec_lo
	v_cmpx_ne_u32_e32 0x7f, v9
	s_cbranch_execz .LBB339_670
; %bb.669:                              ;   in Loop: Header=BB339_542 Depth=1
	v_and_b32_e32 v0, 7, v17
	v_cmp_gt_u32_e64 s1, 8, v9
	v_lshrrev_b32_e32 v19, 3, v9
	v_ffbh_u32_e32 v0, v0
	v_min_u32_e32 v0, 32, v0
	v_subrev_nc_u32_e32 v20, 28, v0
	v_sub_nc_u32_e32 v0, 29, v0
	v_cndmask_b32_e64 v9, 0, v20, s1
	v_cndmask_b32_e64 v0, v19, v0, s1
	v_lshlrev_b64 v[19:20], v9, v[17:18]
	v_lshlrev_b32_e32 v9, 24, v17
	v_lshl_add_u32 v0, v0, 23, 0x3c000000
	v_and_b32_e32 v9, 0x80000000, v9
	v_lshlrev_b32_e32 v19, 20, v19
	v_and_b32_e32 v19, 0x700000, v19
	v_or3_b32 v0, v19, v9, v0
.LBB339_670:                            ;   in Loop: Header=BB339_542 Depth=1
	s_or_b32 exec_lo, exec_lo, s18
.LBB339_671:                            ;   in Loop: Header=BB339_542 Depth=1
	s_or_b32 exec_lo, exec_lo, s17
.LBB339_672:                            ;   in Loop: Header=BB339_542 Depth=1
	s_or_b32 exec_lo, exec_lo, s16
	v_cmp_ne_u16_sdwa s1, v17, v10 src0_sel:BYTE_1 src1_sel:DWORD
	s_and_saveexec_b32 s16, s1
	s_cbranch_execz .LBB339_680
; %bb.673:                              ;   in Loop: Header=BB339_542 Depth=1
	v_cmp_ne_u16_sdwa s1, v17, v36 src0_sel:BYTE_1 src1_sel:DWORD
	v_bfrev_b32_e32 v21, 1
	s_and_saveexec_b32 s17, s1
	s_cbranch_execz .LBB339_679
; %bb.674:                              ;   in Loop: Header=BB339_542 Depth=1
	v_and_b32_sdwa v9, v37, v17 dst_sel:DWORD dst_unused:UNUSED_PAD src0_sel:DWORD src1_sel:BYTE_1
	v_mov_b32_e32 v21, 0x7f800001
	s_mov_b32 s18, exec_lo
	v_and_b32_e32 v20, 0x7f, v9
	v_cmpx_ne_u32_e32 0x7f, v20
	s_cbranch_execz .LBB339_678
; %bb.675:                              ;   in Loop: Header=BB339_542 Depth=1
	v_and_b32_e32 v9, 7, v9
	v_lshrrev_b32_e32 v19, 3, v20
	s_mov_b32 s19, exec_lo
	v_cmpx_gt_u32_e32 8, v20
; %bb.676:                              ;   in Loop: Header=BB339_542 Depth=1
	v_ffbh_u32_e32 v19, v9
	v_min_u32_e32 v19, 32, v19
	v_subrev_nc_u32_e32 v20, 28, v19
	v_sub_nc_u32_e32 v19, 29, v19
	v_lshlrev_b64 v[20:21], v20, v[9:10]
	v_and_b32_e32 v9, 7, v20
; %bb.677:                              ;   in Loop: Header=BB339_542 Depth=1
	s_or_b32 exec_lo, exec_lo, s19
	v_lshlrev_b32_e32 v20, 16, v17
	v_lshlrev_b32_e32 v9, 20, v9
	v_lshl_add_u32 v19, v19, 23, 0x3c000000
	v_and_b32_e32 v20, 0x80000000, v20
	v_or3_b32 v21, v9, v20, v19
.LBB339_678:                            ;   in Loop: Header=BB339_542 Depth=1
	s_or_b32 exec_lo, exec_lo, s18
.LBB339_679:                            ;   in Loop: Header=BB339_542 Depth=1
	s_or_b32 exec_lo, exec_lo, s17
.LBB339_680:                            ;   in Loop: Header=BB339_542 Depth=1
	s_or_b32 exec_lo, exec_lo, s16
	v_and_b32_sdwa v9, v17, v38 dst_sel:DWORD dst_unused:UNUSED_PAD src0_sel:WORD_1 src1_sel:DWORD
	v_mov_b32_e32 v23, 0
	v_mov_b32_e32 v22, 0
	s_mov_b32 s16, exec_lo
	v_cmpx_ne_u16_e32 0, v9
	s_cbranch_execz .LBB339_688
; %bb.681:                              ;   in Loop: Header=BB339_542 Depth=1
	v_bfrev_b32_e32 v22, 1
	s_mov_b32 s17, exec_lo
	v_cmpx_ne_u16_e32 0x80, v9
	s_cbranch_execz .LBB339_687
; %bb.682:                              ;   in Loop: Header=BB339_542 Depth=1
	v_bfe_u32 v20, v17, 16, 7
	v_mov_b32_e32 v22, 0x7f800001
	s_mov_b32 s18, exec_lo
	v_cmpx_ne_u32_e32 0x7f, v20
	s_cbranch_execz .LBB339_686
; %bb.683:                              ;   in Loop: Header=BB339_542 Depth=1
	v_and_b32_sdwa v9, v17, v39 dst_sel:DWORD dst_unused:UNUSED_PAD src0_sel:WORD_1 src1_sel:DWORD
	v_lshrrev_b32_e32 v19, 3, v20
	s_mov_b32 s19, exec_lo
	v_cmpx_gt_u32_e32 8, v20
; %bb.684:                              ;   in Loop: Header=BB339_542 Depth=1
	v_ffbh_u32_e32 v19, v9
	v_min_u32_e32 v19, 32, v19
	v_subrev_nc_u32_e32 v20, 28, v19
	v_sub_nc_u32_e32 v19, 29, v19
	v_lshlrev_b64 v[65:66], v20, v[9:10]
	v_and_b32_e32 v9, 7, v65
; %bb.685:                              ;   in Loop: Header=BB339_542 Depth=1
	s_or_b32 exec_lo, exec_lo, s19
	v_lshlrev_b32_sdwa v20, v40, v17 dst_sel:DWORD dst_unused:UNUSED_PAD src0_sel:DWORD src1_sel:WORD_1
	v_lshlrev_b32_e32 v9, 20, v9
	v_lshl_add_u32 v19, v19, 23, 0x3c000000
	v_and_b32_e32 v20, 0x80000000, v20
	v_or3_b32 v22, v9, v20, v19
.LBB339_686:                            ;   in Loop: Header=BB339_542 Depth=1
	s_or_b32 exec_lo, exec_lo, s18
.LBB339_687:                            ;   in Loop: Header=BB339_542 Depth=1
	s_or_b32 exec_lo, exec_lo, s17
.LBB339_688:                            ;   in Loop: Header=BB339_542 Depth=1
	s_or_b32 exec_lo, exec_lo, s16
	s_mov_b32 s16, exec_lo
	v_cmpx_lt_u32_e32 0xffffff, v17
	s_cbranch_execz .LBB339_696
; %bb.689:                              ;   in Loop: Header=BB339_542 Depth=1
	v_cmp_ne_u32_sdwa s1, v17, v36 src0_sel:BYTE_3 src1_sel:DWORD
	v_bfrev_b32_e32 v23, 1
	s_and_saveexec_b32 s17, s1
	s_cbranch_execz .LBB339_695
; %bb.690:                              ;   in Loop: Header=BB339_542 Depth=1
	v_bfe_u32 v20, v17, 24, 7
	v_mov_b32_e32 v23, 0x7f800001
	s_mov_b32 s18, exec_lo
	v_cmpx_ne_u32_e32 0x7f, v20
	s_cbranch_execz .LBB339_694
; %bb.691:                              ;   in Loop: Header=BB339_542 Depth=1
	v_and_b32_sdwa v9, v17, v39 dst_sel:DWORD dst_unused:UNUSED_PAD src0_sel:BYTE_3 src1_sel:DWORD
	v_lshrrev_b32_e32 v19, 3, v20
	s_mov_b32 s19, exec_lo
	v_cmpx_gt_u32_e32 8, v20
; %bb.692:                              ;   in Loop: Header=BB339_542 Depth=1
	v_ffbh_u32_e32 v19, v9
	v_min_u32_e32 v19, 32, v19
	v_subrev_nc_u32_e32 v20, 28, v19
	v_sub_nc_u32_e32 v19, 29, v19
	v_lshlrev_b64 v[65:66], v20, v[9:10]
	v_and_b32_e32 v9, 7, v65
; %bb.693:                              ;   in Loop: Header=BB339_542 Depth=1
	s_or_b32 exec_lo, exec_lo, s19
	v_lshlrev_b32_sdwa v20, v40, v17 dst_sel:DWORD dst_unused:UNUSED_PAD src0_sel:DWORD src1_sel:BYTE_3
	v_lshlrev_b32_e32 v9, 20, v9
	v_lshl_add_u32 v19, v19, 23, 0x3c000000
	v_and_b32_e32 v20, 0x80000000, v20
	v_or3_b32 v23, v9, v20, v19
.LBB339_694:                            ;   in Loop: Header=BB339_542 Depth=1
	s_or_b32 exec_lo, exec_lo, s18
.LBB339_695:                            ;   in Loop: Header=BB339_542 Depth=1
	s_or_b32 exec_lo, exec_lo, s17
.LBB339_696:                            ;   in Loop: Header=BB339_542 Depth=1
	s_or_b32 exec_lo, exec_lo, s16
	v_mov_b32_e32 v9, v18
	v_cmp_ne_u16_sdwa s1, v18, v10 src0_sel:BYTE_0 src1_sel:DWORD
	v_mov_b32_e32 v19, 0
	v_mov_b32_e32 v65, 0
	s_and_saveexec_b32 s16, s1
	s_cbranch_execz .LBB339_702
; %bb.697:                              ;   in Loop: Header=BB339_542 Depth=1
	v_cmp_ne_u16_sdwa s1, v18, v36 src0_sel:BYTE_0 src1_sel:DWORD
	v_bfrev_b32_e32 v65, 1
	s_and_saveexec_b32 s17, s1
	s_cbranch_execz .LBB339_701
; %bb.698:                              ;   in Loop: Header=BB339_542 Depth=1
	v_and_b32_e32 v20, 0x7f, v18
	v_mov_b32_e32 v65, 0x7f800001
	s_mov_b32 s18, exec_lo
	v_cmpx_ne_u32_e32 0x7f, v20
	s_cbranch_execz .LBB339_700
; %bb.699:                              ;   in Loop: Header=BB339_542 Depth=1
	v_and_b32_e32 v65, 7, v18
	v_lshrrev_b32_e32 v66, 3, v20
	v_cmp_gt_u32_e64 s1, 8, v20
	v_ffbh_u32_e32 v65, v65
	v_min_u32_e32 v65, 32, v65
	v_subrev_nc_u32_e32 v67, 28, v65
	v_sub_nc_u32_e32 v65, 29, v65
	v_cndmask_b32_e64 v20, v66, v65, s1
	v_cndmask_b32_e64 v65, 0, v67, s1
	v_lshl_add_u32 v20, v20, 23, 0x3c000000
	v_lshlrev_b64 v[65:66], v65, v[9:10]
	v_lshlrev_b32_e32 v66, 24, v9
	v_lshlrev_b32_e32 v65, 20, v65
	v_and_b32_e32 v66, 0x80000000, v66
	v_and_b32_e32 v65, 0x700000, v65
	v_or3_b32 v65, v65, v66, v20
.LBB339_700:                            ;   in Loop: Header=BB339_542 Depth=1
	s_or_b32 exec_lo, exec_lo, s18
.LBB339_701:                            ;   in Loop: Header=BB339_542 Depth=1
	s_or_b32 exec_lo, exec_lo, s17
.LBB339_702:                            ;   in Loop: Header=BB339_542 Depth=1
	s_or_b32 exec_lo, exec_lo, s16
	v_cmp_ne_u16_sdwa s1, v9, v10 src0_sel:BYTE_1 src1_sel:DWORD
	s_and_saveexec_b32 s16, s1
	s_cbranch_execz .LBB339_710
; %bb.703:                              ;   in Loop: Header=BB339_542 Depth=1
	v_cmp_ne_u16_sdwa s1, v9, v36 src0_sel:BYTE_1 src1_sel:DWORD
	v_bfrev_b32_e32 v19, 1
	s_and_saveexec_b32 s17, s1
	s_cbranch_execz .LBB339_709
; %bb.704:                              ;   in Loop: Header=BB339_542 Depth=1
	v_and_b32_sdwa v20, v37, v9 dst_sel:DWORD dst_unused:UNUSED_PAD src0_sel:DWORD src1_sel:BYTE_1
	v_mov_b32_e32 v19, 0x7f800001
	s_mov_b32 s18, exec_lo
	v_and_b32_e32 v67, 0x7f, v20
	v_cmpx_ne_u32_e32 0x7f, v67
	s_cbranch_execz .LBB339_708
; %bb.705:                              ;   in Loop: Header=BB339_542 Depth=1
	v_and_b32_e32 v19, 7, v20
	v_mov_b32_e32 v20, v10
	v_lshrrev_b32_e32 v66, 3, v67
	s_mov_b32 s19, exec_lo
	v_cmpx_gt_u32_e32 8, v67
; %bb.706:                              ;   in Loop: Header=BB339_542 Depth=1
	v_ffbh_u32_e32 v66, v19
	v_min_u32_e32 v66, 32, v66
	v_subrev_nc_u32_e32 v67, 28, v66
	v_sub_nc_u32_e32 v66, 29, v66
	v_lshlrev_b64 v[19:20], v67, v[19:20]
	v_and_b32_e32 v19, 7, v19
; %bb.707:                              ;   in Loop: Header=BB339_542 Depth=1
	s_or_b32 exec_lo, exec_lo, s19
	v_lshlrev_b32_e32 v9, 16, v9
	v_lshlrev_b32_e32 v19, 20, v19
	v_lshl_add_u32 v20, v66, 23, 0x3c000000
	v_and_b32_e32 v9, 0x80000000, v9
	v_or3_b32 v19, v19, v9, v20
.LBB339_708:                            ;   in Loop: Header=BB339_542 Depth=1
	s_or_b32 exec_lo, exec_lo, s18
.LBB339_709:                            ;   in Loop: Header=BB339_542 Depth=1
	s_or_b32 exec_lo, exec_lo, s17
.LBB339_710:                            ;   in Loop: Header=BB339_542 Depth=1
	s_or_b32 exec_lo, exec_lo, s16
	v_and_b32_sdwa v9, v18, v38 dst_sel:DWORD dst_unused:UNUSED_PAD src0_sel:WORD_1 src1_sel:DWORD
	v_mov_b32_e32 v20, 0
	v_mov_b32_e32 v67, 0
	s_mov_b32 s16, exec_lo
	v_cmpx_ne_u16_e32 0, v9
	s_cbranch_execz .LBB339_718
; %bb.711:                              ;   in Loop: Header=BB339_542 Depth=1
	v_bfrev_b32_e32 v67, 1
	s_mov_b32 s17, exec_lo
	v_cmpx_ne_u16_e32 0x80, v9
	s_cbranch_execz .LBB339_717
; %bb.712:                              ;   in Loop: Header=BB339_542 Depth=1
	v_bfe_u32 v68, v18, 16, 7
	v_mov_b32_e32 v67, 0x7f800001
	s_mov_b32 s18, exec_lo
	v_cmpx_ne_u32_e32 0x7f, v68
	s_cbranch_execz .LBB339_716
; %bb.713:                              ;   in Loop: Header=BB339_542 Depth=1
	v_and_b32_sdwa v9, v18, v39 dst_sel:DWORD dst_unused:UNUSED_PAD src0_sel:WORD_1 src1_sel:DWORD
	v_lshrrev_b32_e32 v66, 3, v68
	s_mov_b32 s19, exec_lo
	v_cmpx_gt_u32_e32 8, v68
; %bb.714:                              ;   in Loop: Header=BB339_542 Depth=1
	v_ffbh_u32_e32 v66, v9
	v_min_u32_e32 v66, 32, v66
	v_subrev_nc_u32_e32 v67, 28, v66
	v_sub_nc_u32_e32 v66, 29, v66
	v_lshlrev_b64 v[67:68], v67, v[9:10]
	v_and_b32_e32 v9, 7, v67
; %bb.715:                              ;   in Loop: Header=BB339_542 Depth=1
	s_or_b32 exec_lo, exec_lo, s19
	v_lshlrev_b32_sdwa v67, v40, v18 dst_sel:DWORD dst_unused:UNUSED_PAD src0_sel:DWORD src1_sel:WORD_1
	v_lshlrev_b32_e32 v9, 20, v9
	v_lshl_add_u32 v66, v66, 23, 0x3c000000
	v_and_b32_e32 v67, 0x80000000, v67
	v_or3_b32 v67, v9, v67, v66
.LBB339_716:                            ;   in Loop: Header=BB339_542 Depth=1
	s_or_b32 exec_lo, exec_lo, s18
.LBB339_717:                            ;   in Loop: Header=BB339_542 Depth=1
	s_or_b32 exec_lo, exec_lo, s17
.LBB339_718:                            ;   in Loop: Header=BB339_542 Depth=1
	s_or_b32 exec_lo, exec_lo, s16
	s_mov_b32 s16, exec_lo
	v_cmpx_lt_u64_e64 s[2:3], v[17:18]
	s_cbranch_execz .LBB339_726
; %bb.719:                              ;   in Loop: Header=BB339_542 Depth=1
	v_cmp_ne_u32_sdwa s1, v18, v36 src0_sel:BYTE_3 src1_sel:DWORD
	v_bfrev_b32_e32 v20, 1
	s_and_saveexec_b32 s17, s1
	s_cbranch_execz .LBB339_725
; %bb.720:                              ;   in Loop: Header=BB339_542 Depth=1
	v_bfe_u32 v66, v18, 24, 7
	v_mov_b32_e32 v20, 0x7f800001
	s_mov_b32 s18, exec_lo
	v_cmpx_ne_u32_e32 0x7f, v66
	s_cbranch_execz .LBB339_724
; %bb.721:                              ;   in Loop: Header=BB339_542 Depth=1
	v_and_b32_sdwa v9, v18, v39 dst_sel:DWORD dst_unused:UNUSED_PAD src0_sel:BYTE_3 src1_sel:DWORD
	v_lshrrev_b32_e32 v17, 3, v66
	s_mov_b32 s19, exec_lo
	v_cmpx_gt_u32_e32 8, v66
; %bb.722:                              ;   in Loop: Header=BB339_542 Depth=1
	v_ffbh_u32_e32 v17, v9
	v_min_u32_e32 v17, 32, v17
	v_subrev_nc_u32_e32 v20, 28, v17
	v_sub_nc_u32_e32 v17, 29, v17
	v_lshlrev_b64 v[68:69], v20, v[9:10]
	v_and_b32_e32 v9, 7, v68
; %bb.723:                              ;   in Loop: Header=BB339_542 Depth=1
	s_or_b32 exec_lo, exec_lo, s19
	v_lshlrev_b32_sdwa v18, v40, v18 dst_sel:DWORD dst_unused:UNUSED_PAD src0_sel:DWORD src1_sel:BYTE_3
	v_lshlrev_b32_e32 v9, 20, v9
	v_lshl_add_u32 v17, v17, 23, 0x3c000000
	v_and_b32_e32 v18, 0x80000000, v18
	v_or3_b32 v20, v9, v18, v17
.LBB339_724:                            ;   in Loop: Header=BB339_542 Depth=1
	s_or_b32 exec_lo, exec_lo, s18
.LBB339_725:                            ;   in Loop: Header=BB339_542 Depth=1
	s_or_b32 exec_lo, exec_lo, s17
.LBB339_726:                            ;   in Loop: Header=BB339_542 Depth=1
	s_or_b32 exec_lo, exec_lo, s16
	v_mul_f32_e32 v9, s13, v19
	v_mul_f32_e32 v17, s13, v65
	;; [unrolled: 1-line block ×5, first 2 shown]
	v_bfe_u32 v22, v9, 16, 1
	v_or_b32_e32 v23, 0x400000, v9
	v_bfe_u32 v65, v17, 16, 1
	v_cmp_u_f32_e64 s1, v9, v9
	v_or_b32_e32 v66, 0x400000, v17
	v_add3_u32 v22, v22, v9, 0x7fff
	v_bfe_u32 v68, v18, 16, 1
	v_add3_u32 v65, v65, v17, 0x7fff
	v_or_b32_e32 v69, 0x400000, v18
	v_bfe_u32 v70, v19, 16, 1
	v_cndmask_b32_e64 v9, v22, v23, s1
	v_cmp_u_f32_e64 s1, v17, v17
	v_add3_u32 v68, v68, v18, 0x7fff
	v_or_b32_e32 v22, 0x400000, v19
	v_mul_f32_e32 v20, s13, v20
	v_cndmask_b32_e64 v17, v65, v66, s1
	v_cmp_u_f32_e64 s1, v18, v18
	v_lshrrev_b32_e32 v65, 16, v9
	v_mul_f32_e32 v9, s13, v21
	v_add3_u32 v21, v70, v19, 0x7fff
	v_lshrrev_b32_e32 v66, 16, v17
	v_cndmask_b32_e64 v18, v68, v69, s1
	v_cmp_u_f32_e64 s1, v19, v19
	v_bfe_u32 v17, v9, 16, 1
	v_mul_f32_e32 v19, s13, v67
	v_or_b32_e32 v69, 0x400000, v20
	v_lshrrev_b32_e32 v68, 16, v18
	v_cndmask_b32_e64 v18, v21, v22, s1
	v_add3_u32 v17, v17, v9, 0x7fff
	v_or_b32_e32 v21, 0x400000, v9
	v_bfe_u32 v22, v0, 16, 1
	v_cmp_u_f32_e64 s1, v9, v9
	v_bfe_u32 v23, v19, 16, 1
	v_or_b32_e32 v67, 0x400000, v19
	v_lshrrev_b32_e32 v70, 16, v18
	v_cndmask_b32_e64 v9, v17, v21, s1
	v_add3_u32 v21, v22, v0, 0x7fff
	v_or_b32_e32 v22, 0x400000, v0
	v_cmp_u_f32_e64 s1, v0, v0
	v_bfe_u32 v17, v20, 16, 1
	v_add3_u32 v23, v23, v19, 0x7fff
	v_lshrrev_b32_e32 v72, 16, v9
	v_cndmask_b32_e64 v0, v21, v22, s1
	v_cmp_u_f32_e64 s1, v19, v19
	v_add3_u32 v17, v17, v20, 0x7fff
	v_lshrrev_b32_e32 v71, 16, v0
	v_cndmask_b32_e64 v19, v23, v67, s1
	v_cmp_u_f32_e64 s1, v20, v20
	v_lshrrev_b32_e32 v67, 16, v19
	v_cndmask_b32_e64 v17, v17, v69, s1
	v_lshrrev_b32_e32 v69, 16, v17
	s_and_saveexec_b32 s16, vcc_lo
	s_cbranch_execz .LBB339_728
; %bb.727:                              ;   in Loop: Header=BB339_542 Depth=1
	v_cmp_gt_i32_e64 s1, s11, v50
	v_cndmask_b32_e64 v71, 0, v71, s1
	v_cmp_gt_i32_e64 s1, s11, v61
	v_cndmask_b32_e64 v72, 0, v72, s1
	;; [unrolled: 2-line block ×8, first 2 shown]
.LBB339_728:                            ;   in Loop: Header=BB339_542 Depth=1
	s_or_b32 exec_lo, exec_lo, s16
	global_load_dwordx2 v[17:18], v[15:16], off offset:768
	v_mov_b32_e32 v21, 0
	v_mov_b32_e32 v0, 0
	s_waitcnt vmcnt(0)
	v_cmp_ne_u16_sdwa s1, v17, v10 src0_sel:BYTE_0 src1_sel:DWORD
	s_and_saveexec_b32 s16, s1
	s_cbranch_execz .LBB339_734
; %bb.729:                              ;   in Loop: Header=BB339_542 Depth=1
	v_cmp_ne_u16_sdwa s1, v17, v36 src0_sel:BYTE_0 src1_sel:DWORD
	v_bfrev_b32_e32 v0, 1
	s_and_saveexec_b32 s17, s1
	s_cbranch_execz .LBB339_733
; %bb.730:                              ;   in Loop: Header=BB339_542 Depth=1
	v_and_b32_e32 v9, 0x7f, v17
	v_mov_b32_e32 v0, 0x7f800001
	s_mov_b32 s18, exec_lo
	v_cmpx_ne_u32_e32 0x7f, v9
	s_cbranch_execz .LBB339_732
; %bb.731:                              ;   in Loop: Header=BB339_542 Depth=1
	v_and_b32_e32 v0, 7, v17
	v_cmp_gt_u32_e64 s1, 8, v9
	v_lshrrev_b32_e32 v19, 3, v9
	v_ffbh_u32_e32 v0, v0
	v_min_u32_e32 v0, 32, v0
	v_subrev_nc_u32_e32 v20, 28, v0
	v_sub_nc_u32_e32 v0, 29, v0
	v_cndmask_b32_e64 v9, 0, v20, s1
	v_cndmask_b32_e64 v0, v19, v0, s1
	v_lshlrev_b64 v[19:20], v9, v[17:18]
	v_lshlrev_b32_e32 v9, 24, v17
	v_lshl_add_u32 v0, v0, 23, 0x3c000000
	v_and_b32_e32 v9, 0x80000000, v9
	v_lshlrev_b32_e32 v19, 20, v19
	v_and_b32_e32 v19, 0x700000, v19
	v_or3_b32 v0, v19, v9, v0
.LBB339_732:                            ;   in Loop: Header=BB339_542 Depth=1
	s_or_b32 exec_lo, exec_lo, s18
.LBB339_733:                            ;   in Loop: Header=BB339_542 Depth=1
	s_or_b32 exec_lo, exec_lo, s17
.LBB339_734:                            ;   in Loop: Header=BB339_542 Depth=1
	s_or_b32 exec_lo, exec_lo, s16
	v_cmp_ne_u16_sdwa s1, v17, v10 src0_sel:BYTE_1 src1_sel:DWORD
	s_and_saveexec_b32 s16, s1
	s_cbranch_execz .LBB339_742
; %bb.735:                              ;   in Loop: Header=BB339_542 Depth=1
	v_cmp_ne_u16_sdwa s1, v17, v36 src0_sel:BYTE_1 src1_sel:DWORD
	v_bfrev_b32_e32 v21, 1
	s_and_saveexec_b32 s17, s1
	s_cbranch_execz .LBB339_741
; %bb.736:                              ;   in Loop: Header=BB339_542 Depth=1
	v_and_b32_sdwa v9, v37, v17 dst_sel:DWORD dst_unused:UNUSED_PAD src0_sel:DWORD src1_sel:BYTE_1
	v_mov_b32_e32 v21, 0x7f800001
	s_mov_b32 s18, exec_lo
	v_and_b32_e32 v20, 0x7f, v9
	v_cmpx_ne_u32_e32 0x7f, v20
	s_cbranch_execz .LBB339_740
; %bb.737:                              ;   in Loop: Header=BB339_542 Depth=1
	v_and_b32_e32 v9, 7, v9
	v_lshrrev_b32_e32 v19, 3, v20
	s_mov_b32 s19, exec_lo
	v_cmpx_gt_u32_e32 8, v20
; %bb.738:                              ;   in Loop: Header=BB339_542 Depth=1
	v_ffbh_u32_e32 v19, v9
	v_min_u32_e32 v19, 32, v19
	v_subrev_nc_u32_e32 v20, 28, v19
	v_sub_nc_u32_e32 v19, 29, v19
	v_lshlrev_b64 v[20:21], v20, v[9:10]
	v_and_b32_e32 v9, 7, v20
; %bb.739:                              ;   in Loop: Header=BB339_542 Depth=1
	s_or_b32 exec_lo, exec_lo, s19
	v_lshlrev_b32_e32 v20, 16, v17
	v_lshlrev_b32_e32 v9, 20, v9
	v_lshl_add_u32 v19, v19, 23, 0x3c000000
	v_and_b32_e32 v20, 0x80000000, v20
	v_or3_b32 v21, v9, v20, v19
.LBB339_740:                            ;   in Loop: Header=BB339_542 Depth=1
	s_or_b32 exec_lo, exec_lo, s18
.LBB339_741:                            ;   in Loop: Header=BB339_542 Depth=1
	s_or_b32 exec_lo, exec_lo, s17
.LBB339_742:                            ;   in Loop: Header=BB339_542 Depth=1
	s_or_b32 exec_lo, exec_lo, s16
	v_and_b32_sdwa v9, v17, v38 dst_sel:DWORD dst_unused:UNUSED_PAD src0_sel:WORD_1 src1_sel:DWORD
	v_mov_b32_e32 v23, 0
	v_mov_b32_e32 v22, 0
	s_mov_b32 s16, exec_lo
	v_cmpx_ne_u16_e32 0, v9
	s_cbranch_execz .LBB339_750
; %bb.743:                              ;   in Loop: Header=BB339_542 Depth=1
	v_bfrev_b32_e32 v22, 1
	s_mov_b32 s17, exec_lo
	v_cmpx_ne_u16_e32 0x80, v9
	s_cbranch_execz .LBB339_749
; %bb.744:                              ;   in Loop: Header=BB339_542 Depth=1
	v_bfe_u32 v20, v17, 16, 7
	v_mov_b32_e32 v22, 0x7f800001
	s_mov_b32 s18, exec_lo
	v_cmpx_ne_u32_e32 0x7f, v20
	s_cbranch_execz .LBB339_748
; %bb.745:                              ;   in Loop: Header=BB339_542 Depth=1
	v_and_b32_sdwa v9, v17, v39 dst_sel:DWORD dst_unused:UNUSED_PAD src0_sel:WORD_1 src1_sel:DWORD
	v_lshrrev_b32_e32 v19, 3, v20
	s_mov_b32 s19, exec_lo
	v_cmpx_gt_u32_e32 8, v20
; %bb.746:                              ;   in Loop: Header=BB339_542 Depth=1
	v_ffbh_u32_e32 v19, v9
	v_min_u32_e32 v19, 32, v19
	v_subrev_nc_u32_e32 v20, 28, v19
	v_sub_nc_u32_e32 v19, 29, v19
	v_lshlrev_b64 v[73:74], v20, v[9:10]
	v_and_b32_e32 v9, 7, v73
; %bb.747:                              ;   in Loop: Header=BB339_542 Depth=1
	s_or_b32 exec_lo, exec_lo, s19
	v_lshlrev_b32_sdwa v20, v40, v17 dst_sel:DWORD dst_unused:UNUSED_PAD src0_sel:DWORD src1_sel:WORD_1
	v_lshlrev_b32_e32 v9, 20, v9
	v_lshl_add_u32 v19, v19, 23, 0x3c000000
	v_and_b32_e32 v20, 0x80000000, v20
	v_or3_b32 v22, v9, v20, v19
.LBB339_748:                            ;   in Loop: Header=BB339_542 Depth=1
	s_or_b32 exec_lo, exec_lo, s18
.LBB339_749:                            ;   in Loop: Header=BB339_542 Depth=1
	s_or_b32 exec_lo, exec_lo, s17
.LBB339_750:                            ;   in Loop: Header=BB339_542 Depth=1
	s_or_b32 exec_lo, exec_lo, s16
	s_mov_b32 s16, exec_lo
	v_cmpx_lt_u32_e32 0xffffff, v17
	s_cbranch_execz .LBB339_758
; %bb.751:                              ;   in Loop: Header=BB339_542 Depth=1
	v_cmp_ne_u32_sdwa s1, v17, v36 src0_sel:BYTE_3 src1_sel:DWORD
	v_bfrev_b32_e32 v23, 1
	s_and_saveexec_b32 s17, s1
	s_cbranch_execz .LBB339_757
; %bb.752:                              ;   in Loop: Header=BB339_542 Depth=1
	v_bfe_u32 v20, v17, 24, 7
	v_mov_b32_e32 v23, 0x7f800001
	s_mov_b32 s18, exec_lo
	v_cmpx_ne_u32_e32 0x7f, v20
	s_cbranch_execz .LBB339_756
; %bb.753:                              ;   in Loop: Header=BB339_542 Depth=1
	v_and_b32_sdwa v9, v17, v39 dst_sel:DWORD dst_unused:UNUSED_PAD src0_sel:BYTE_3 src1_sel:DWORD
	v_lshrrev_b32_e32 v19, 3, v20
	s_mov_b32 s19, exec_lo
	v_cmpx_gt_u32_e32 8, v20
; %bb.754:                              ;   in Loop: Header=BB339_542 Depth=1
	v_ffbh_u32_e32 v19, v9
	v_min_u32_e32 v19, 32, v19
	v_subrev_nc_u32_e32 v20, 28, v19
	v_sub_nc_u32_e32 v19, 29, v19
	v_lshlrev_b64 v[73:74], v20, v[9:10]
	v_and_b32_e32 v9, 7, v73
; %bb.755:                              ;   in Loop: Header=BB339_542 Depth=1
	s_or_b32 exec_lo, exec_lo, s19
	v_lshlrev_b32_sdwa v20, v40, v17 dst_sel:DWORD dst_unused:UNUSED_PAD src0_sel:DWORD src1_sel:BYTE_3
	v_lshlrev_b32_e32 v9, 20, v9
	v_lshl_add_u32 v19, v19, 23, 0x3c000000
	v_and_b32_e32 v20, 0x80000000, v20
	v_or3_b32 v23, v9, v20, v19
.LBB339_756:                            ;   in Loop: Header=BB339_542 Depth=1
	s_or_b32 exec_lo, exec_lo, s18
.LBB339_757:                            ;   in Loop: Header=BB339_542 Depth=1
	s_or_b32 exec_lo, exec_lo, s17
.LBB339_758:                            ;   in Loop: Header=BB339_542 Depth=1
	s_or_b32 exec_lo, exec_lo, s16
	v_mov_b32_e32 v9, v18
	v_cmp_ne_u16_sdwa s1, v18, v10 src0_sel:BYTE_0 src1_sel:DWORD
	v_mov_b32_e32 v19, 0
	v_mov_b32_e32 v73, 0
	s_and_saveexec_b32 s16, s1
	s_cbranch_execz .LBB339_764
; %bb.759:                              ;   in Loop: Header=BB339_542 Depth=1
	v_cmp_ne_u16_sdwa s1, v18, v36 src0_sel:BYTE_0 src1_sel:DWORD
	v_bfrev_b32_e32 v73, 1
	s_and_saveexec_b32 s17, s1
	s_cbranch_execz .LBB339_763
; %bb.760:                              ;   in Loop: Header=BB339_542 Depth=1
	v_and_b32_e32 v20, 0x7f, v18
	v_mov_b32_e32 v73, 0x7f800001
	s_mov_b32 s18, exec_lo
	v_cmpx_ne_u32_e32 0x7f, v20
	s_cbranch_execz .LBB339_762
; %bb.761:                              ;   in Loop: Header=BB339_542 Depth=1
	v_and_b32_e32 v73, 7, v18
	v_lshrrev_b32_e32 v74, 3, v20
	v_cmp_gt_u32_e64 s1, 8, v20
	v_ffbh_u32_e32 v73, v73
	v_min_u32_e32 v73, 32, v73
	v_subrev_nc_u32_e32 v75, 28, v73
	v_sub_nc_u32_e32 v73, 29, v73
	v_cndmask_b32_e64 v20, v74, v73, s1
	v_cndmask_b32_e64 v73, 0, v75, s1
	v_lshl_add_u32 v20, v20, 23, 0x3c000000
	v_lshlrev_b64 v[73:74], v73, v[9:10]
	v_lshlrev_b32_e32 v74, 24, v9
	v_lshlrev_b32_e32 v73, 20, v73
	v_and_b32_e32 v74, 0x80000000, v74
	v_and_b32_e32 v73, 0x700000, v73
	v_or3_b32 v73, v73, v74, v20
.LBB339_762:                            ;   in Loop: Header=BB339_542 Depth=1
	s_or_b32 exec_lo, exec_lo, s18
.LBB339_763:                            ;   in Loop: Header=BB339_542 Depth=1
	s_or_b32 exec_lo, exec_lo, s17
.LBB339_764:                            ;   in Loop: Header=BB339_542 Depth=1
	s_or_b32 exec_lo, exec_lo, s16
	v_cmp_ne_u16_sdwa s1, v9, v10 src0_sel:BYTE_1 src1_sel:DWORD
	s_and_saveexec_b32 s16, s1
	s_cbranch_execz .LBB339_772
; %bb.765:                              ;   in Loop: Header=BB339_542 Depth=1
	v_cmp_ne_u16_sdwa s1, v9, v36 src0_sel:BYTE_1 src1_sel:DWORD
	v_bfrev_b32_e32 v19, 1
	s_and_saveexec_b32 s17, s1
	s_cbranch_execz .LBB339_771
; %bb.766:                              ;   in Loop: Header=BB339_542 Depth=1
	v_and_b32_sdwa v20, v37, v9 dst_sel:DWORD dst_unused:UNUSED_PAD src0_sel:DWORD src1_sel:BYTE_1
	v_mov_b32_e32 v19, 0x7f800001
	s_mov_b32 s18, exec_lo
	v_and_b32_e32 v75, 0x7f, v20
	v_cmpx_ne_u32_e32 0x7f, v75
	s_cbranch_execz .LBB339_770
; %bb.767:                              ;   in Loop: Header=BB339_542 Depth=1
	v_and_b32_e32 v19, 7, v20
	v_mov_b32_e32 v20, v10
	v_lshrrev_b32_e32 v74, 3, v75
	s_mov_b32 s19, exec_lo
	v_cmpx_gt_u32_e32 8, v75
; %bb.768:                              ;   in Loop: Header=BB339_542 Depth=1
	v_ffbh_u32_e32 v74, v19
	v_min_u32_e32 v74, 32, v74
	v_subrev_nc_u32_e32 v75, 28, v74
	v_sub_nc_u32_e32 v74, 29, v74
	v_lshlrev_b64 v[19:20], v75, v[19:20]
	v_and_b32_e32 v19, 7, v19
; %bb.769:                              ;   in Loop: Header=BB339_542 Depth=1
	s_or_b32 exec_lo, exec_lo, s19
	v_lshlrev_b32_e32 v9, 16, v9
	v_lshlrev_b32_e32 v19, 20, v19
	v_lshl_add_u32 v20, v74, 23, 0x3c000000
	v_and_b32_e32 v9, 0x80000000, v9
	v_or3_b32 v19, v19, v9, v20
.LBB339_770:                            ;   in Loop: Header=BB339_542 Depth=1
	s_or_b32 exec_lo, exec_lo, s18
.LBB339_771:                            ;   in Loop: Header=BB339_542 Depth=1
	s_or_b32 exec_lo, exec_lo, s17
.LBB339_772:                            ;   in Loop: Header=BB339_542 Depth=1
	s_or_b32 exec_lo, exec_lo, s16
	v_and_b32_sdwa v9, v18, v38 dst_sel:DWORD dst_unused:UNUSED_PAD src0_sel:WORD_1 src1_sel:DWORD
	v_mov_b32_e32 v20, 0
	v_mov_b32_e32 v75, 0
	s_mov_b32 s16, exec_lo
	v_cmpx_ne_u16_e32 0, v9
	s_cbranch_execz .LBB339_780
; %bb.773:                              ;   in Loop: Header=BB339_542 Depth=1
	v_bfrev_b32_e32 v75, 1
	s_mov_b32 s17, exec_lo
	v_cmpx_ne_u16_e32 0x80, v9
	s_cbranch_execz .LBB339_779
; %bb.774:                              ;   in Loop: Header=BB339_542 Depth=1
	v_bfe_u32 v76, v18, 16, 7
	v_mov_b32_e32 v75, 0x7f800001
	s_mov_b32 s18, exec_lo
	v_cmpx_ne_u32_e32 0x7f, v76
	s_cbranch_execz .LBB339_778
; %bb.775:                              ;   in Loop: Header=BB339_542 Depth=1
	v_and_b32_sdwa v9, v18, v39 dst_sel:DWORD dst_unused:UNUSED_PAD src0_sel:WORD_1 src1_sel:DWORD
	v_lshrrev_b32_e32 v74, 3, v76
	s_mov_b32 s19, exec_lo
	v_cmpx_gt_u32_e32 8, v76
; %bb.776:                              ;   in Loop: Header=BB339_542 Depth=1
	v_ffbh_u32_e32 v74, v9
	v_min_u32_e32 v74, 32, v74
	v_subrev_nc_u32_e32 v75, 28, v74
	v_sub_nc_u32_e32 v74, 29, v74
	v_lshlrev_b64 v[75:76], v75, v[9:10]
	v_and_b32_e32 v9, 7, v75
; %bb.777:                              ;   in Loop: Header=BB339_542 Depth=1
	s_or_b32 exec_lo, exec_lo, s19
	v_lshlrev_b32_sdwa v75, v40, v18 dst_sel:DWORD dst_unused:UNUSED_PAD src0_sel:DWORD src1_sel:WORD_1
	v_lshlrev_b32_e32 v9, 20, v9
	v_lshl_add_u32 v74, v74, 23, 0x3c000000
	v_and_b32_e32 v75, 0x80000000, v75
	v_or3_b32 v75, v9, v75, v74
.LBB339_778:                            ;   in Loop: Header=BB339_542 Depth=1
	s_or_b32 exec_lo, exec_lo, s18
.LBB339_779:                            ;   in Loop: Header=BB339_542 Depth=1
	s_or_b32 exec_lo, exec_lo, s17
.LBB339_780:                            ;   in Loop: Header=BB339_542 Depth=1
	s_or_b32 exec_lo, exec_lo, s16
	s_mov_b32 s16, exec_lo
	v_cmpx_lt_u64_e64 s[2:3], v[17:18]
	s_cbranch_execz .LBB339_788
; %bb.781:                              ;   in Loop: Header=BB339_542 Depth=1
	v_cmp_ne_u32_sdwa s1, v18, v36 src0_sel:BYTE_3 src1_sel:DWORD
	v_bfrev_b32_e32 v20, 1
	s_and_saveexec_b32 s17, s1
	s_cbranch_execz .LBB339_787
; %bb.782:                              ;   in Loop: Header=BB339_542 Depth=1
	v_bfe_u32 v74, v18, 24, 7
	v_mov_b32_e32 v20, 0x7f800001
	s_mov_b32 s18, exec_lo
	v_cmpx_ne_u32_e32 0x7f, v74
	s_cbranch_execz .LBB339_786
; %bb.783:                              ;   in Loop: Header=BB339_542 Depth=1
	v_and_b32_sdwa v9, v18, v39 dst_sel:DWORD dst_unused:UNUSED_PAD src0_sel:BYTE_3 src1_sel:DWORD
	v_lshrrev_b32_e32 v17, 3, v74
	s_mov_b32 s19, exec_lo
	v_cmpx_gt_u32_e32 8, v74
; %bb.784:                              ;   in Loop: Header=BB339_542 Depth=1
	v_ffbh_u32_e32 v17, v9
	v_min_u32_e32 v17, 32, v17
	v_subrev_nc_u32_e32 v20, 28, v17
	v_sub_nc_u32_e32 v17, 29, v17
	v_lshlrev_b64 v[76:77], v20, v[9:10]
	v_and_b32_e32 v9, 7, v76
; %bb.785:                              ;   in Loop: Header=BB339_542 Depth=1
	s_or_b32 exec_lo, exec_lo, s19
	v_lshlrev_b32_sdwa v18, v40, v18 dst_sel:DWORD dst_unused:UNUSED_PAD src0_sel:DWORD src1_sel:BYTE_3
	v_lshlrev_b32_e32 v9, 20, v9
	v_lshl_add_u32 v17, v17, 23, 0x3c000000
	v_and_b32_e32 v18, 0x80000000, v18
	v_or3_b32 v20, v9, v18, v17
.LBB339_786:                            ;   in Loop: Header=BB339_542 Depth=1
	s_or_b32 exec_lo, exec_lo, s18
.LBB339_787:                            ;   in Loop: Header=BB339_542 Depth=1
	s_or_b32 exec_lo, exec_lo, s17
.LBB339_788:                            ;   in Loop: Header=BB339_542 Depth=1
	s_or_b32 exec_lo, exec_lo, s16
	v_mul_f32_e32 v9, s13, v19
	v_mul_f32_e32 v17, s13, v73
	;; [unrolled: 1-line block ×5, first 2 shown]
	v_bfe_u32 v22, v9, 16, 1
	v_or_b32_e32 v23, 0x400000, v9
	v_bfe_u32 v73, v17, 16, 1
	v_cmp_u_f32_e64 s1, v9, v9
	v_or_b32_e32 v74, 0x400000, v17
	v_add3_u32 v22, v22, v9, 0x7fff
	v_bfe_u32 v76, v18, 16, 1
	v_add3_u32 v73, v73, v17, 0x7fff
	v_or_b32_e32 v77, 0x400000, v18
	v_bfe_u32 v78, v19, 16, 1
	v_cndmask_b32_e64 v9, v22, v23, s1
	v_cmp_u_f32_e64 s1, v17, v17
	v_add3_u32 v76, v76, v18, 0x7fff
	v_or_b32_e32 v22, 0x400000, v19
	v_mul_f32_e32 v20, s13, v20
	v_cndmask_b32_e64 v17, v73, v74, s1
	v_cmp_u_f32_e64 s1, v18, v18
	v_lshrrev_b32_e32 v73, 16, v9
	v_mul_f32_e32 v9, s13, v21
	v_add3_u32 v21, v78, v19, 0x7fff
	v_lshrrev_b32_e32 v74, 16, v17
	v_cndmask_b32_e64 v18, v76, v77, s1
	v_cmp_u_f32_e64 s1, v19, v19
	v_bfe_u32 v17, v9, 16, 1
	v_mul_f32_e32 v19, s13, v75
	v_or_b32_e32 v77, 0x400000, v20
	v_lshrrev_b32_e32 v76, 16, v18
	v_cndmask_b32_e64 v18, v21, v22, s1
	v_add3_u32 v17, v17, v9, 0x7fff
	v_or_b32_e32 v21, 0x400000, v9
	v_bfe_u32 v22, v0, 16, 1
	v_cmp_u_f32_e64 s1, v9, v9
	v_bfe_u32 v23, v19, 16, 1
	v_or_b32_e32 v75, 0x400000, v19
	v_lshrrev_b32_e32 v78, 16, v18
	v_cndmask_b32_e64 v9, v17, v21, s1
	v_add3_u32 v21, v22, v0, 0x7fff
	v_or_b32_e32 v22, 0x400000, v0
	v_cmp_u_f32_e64 s1, v0, v0
	v_bfe_u32 v17, v20, 16, 1
	v_add3_u32 v23, v23, v19, 0x7fff
	v_lshrrev_b32_e32 v80, 16, v9
	v_cndmask_b32_e64 v0, v21, v22, s1
	v_cmp_u_f32_e64 s1, v19, v19
	v_add3_u32 v17, v17, v20, 0x7fff
	v_lshrrev_b32_e32 v79, 16, v0
	v_cndmask_b32_e64 v19, v23, v75, s1
	v_cmp_u_f32_e64 s1, v20, v20
	v_lshrrev_b32_e32 v75, 16, v19
	v_cndmask_b32_e64 v17, v17, v77, s1
	v_lshrrev_b32_e32 v77, 16, v17
	s_and_saveexec_b32 s16, vcc_lo
	s_cbranch_execz .LBB339_790
; %bb.789:                              ;   in Loop: Header=BB339_542 Depth=1
	v_cmp_gt_i32_e64 s1, s11, v50
	v_cndmask_b32_e64 v79, 0, v79, s1
	v_cmp_gt_i32_e64 s1, s11, v61
	v_cndmask_b32_e64 v80, 0, v80, s1
	;; [unrolled: 2-line block ×8, first 2 shown]
.LBB339_790:                            ;   in Loop: Header=BB339_542 Depth=1
	s_or_b32 exec_lo, exec_lo, s16
	global_load_dwordx2 v[17:18], v[15:16], off offset:1024
	v_mov_b32_e32 v21, 0
	v_mov_b32_e32 v0, 0
	s_waitcnt vmcnt(0)
	v_cmp_ne_u16_sdwa s1, v17, v10 src0_sel:BYTE_0 src1_sel:DWORD
	s_and_saveexec_b32 s16, s1
	s_cbranch_execz .LBB339_796
; %bb.791:                              ;   in Loop: Header=BB339_542 Depth=1
	v_cmp_ne_u16_sdwa s1, v17, v36 src0_sel:BYTE_0 src1_sel:DWORD
	v_bfrev_b32_e32 v0, 1
	s_and_saveexec_b32 s17, s1
	s_cbranch_execz .LBB339_795
; %bb.792:                              ;   in Loop: Header=BB339_542 Depth=1
	v_and_b32_e32 v9, 0x7f, v17
	v_mov_b32_e32 v0, 0x7f800001
	s_mov_b32 s18, exec_lo
	v_cmpx_ne_u32_e32 0x7f, v9
	s_cbranch_execz .LBB339_794
; %bb.793:                              ;   in Loop: Header=BB339_542 Depth=1
	v_and_b32_e32 v0, 7, v17
	v_cmp_gt_u32_e64 s1, 8, v9
	v_lshrrev_b32_e32 v19, 3, v9
	v_ffbh_u32_e32 v0, v0
	v_min_u32_e32 v0, 32, v0
	v_subrev_nc_u32_e32 v20, 28, v0
	v_sub_nc_u32_e32 v0, 29, v0
	v_cndmask_b32_e64 v9, 0, v20, s1
	v_cndmask_b32_e64 v0, v19, v0, s1
	v_lshlrev_b64 v[19:20], v9, v[17:18]
	v_lshlrev_b32_e32 v9, 24, v17
	v_lshl_add_u32 v0, v0, 23, 0x3c000000
	v_and_b32_e32 v9, 0x80000000, v9
	v_lshlrev_b32_e32 v19, 20, v19
	v_and_b32_e32 v19, 0x700000, v19
	v_or3_b32 v0, v19, v9, v0
.LBB339_794:                            ;   in Loop: Header=BB339_542 Depth=1
	s_or_b32 exec_lo, exec_lo, s18
.LBB339_795:                            ;   in Loop: Header=BB339_542 Depth=1
	s_or_b32 exec_lo, exec_lo, s17
.LBB339_796:                            ;   in Loop: Header=BB339_542 Depth=1
	s_or_b32 exec_lo, exec_lo, s16
	v_cmp_ne_u16_sdwa s1, v17, v10 src0_sel:BYTE_1 src1_sel:DWORD
	s_and_saveexec_b32 s16, s1
	s_cbranch_execz .LBB339_804
; %bb.797:                              ;   in Loop: Header=BB339_542 Depth=1
	v_cmp_ne_u16_sdwa s1, v17, v36 src0_sel:BYTE_1 src1_sel:DWORD
	v_bfrev_b32_e32 v21, 1
	s_and_saveexec_b32 s17, s1
	s_cbranch_execz .LBB339_803
; %bb.798:                              ;   in Loop: Header=BB339_542 Depth=1
	v_and_b32_sdwa v9, v37, v17 dst_sel:DWORD dst_unused:UNUSED_PAD src0_sel:DWORD src1_sel:BYTE_1
	v_mov_b32_e32 v21, 0x7f800001
	s_mov_b32 s18, exec_lo
	v_and_b32_e32 v20, 0x7f, v9
	v_cmpx_ne_u32_e32 0x7f, v20
	s_cbranch_execz .LBB339_802
; %bb.799:                              ;   in Loop: Header=BB339_542 Depth=1
	v_and_b32_e32 v9, 7, v9
	v_lshrrev_b32_e32 v19, 3, v20
	s_mov_b32 s19, exec_lo
	v_cmpx_gt_u32_e32 8, v20
; %bb.800:                              ;   in Loop: Header=BB339_542 Depth=1
	v_ffbh_u32_e32 v19, v9
	v_min_u32_e32 v19, 32, v19
	v_subrev_nc_u32_e32 v20, 28, v19
	v_sub_nc_u32_e32 v19, 29, v19
	v_lshlrev_b64 v[20:21], v20, v[9:10]
	v_and_b32_e32 v9, 7, v20
; %bb.801:                              ;   in Loop: Header=BB339_542 Depth=1
	s_or_b32 exec_lo, exec_lo, s19
	v_lshlrev_b32_e32 v20, 16, v17
	v_lshlrev_b32_e32 v9, 20, v9
	v_lshl_add_u32 v19, v19, 23, 0x3c000000
	v_and_b32_e32 v20, 0x80000000, v20
	v_or3_b32 v21, v9, v20, v19
.LBB339_802:                            ;   in Loop: Header=BB339_542 Depth=1
	s_or_b32 exec_lo, exec_lo, s18
.LBB339_803:                            ;   in Loop: Header=BB339_542 Depth=1
	s_or_b32 exec_lo, exec_lo, s17
.LBB339_804:                            ;   in Loop: Header=BB339_542 Depth=1
	s_or_b32 exec_lo, exec_lo, s16
	v_and_b32_sdwa v9, v17, v38 dst_sel:DWORD dst_unused:UNUSED_PAD src0_sel:WORD_1 src1_sel:DWORD
	v_mov_b32_e32 v23, 0
	v_mov_b32_e32 v22, 0
	s_mov_b32 s16, exec_lo
	v_cmpx_ne_u16_e32 0, v9
	s_cbranch_execz .LBB339_812
; %bb.805:                              ;   in Loop: Header=BB339_542 Depth=1
	v_bfrev_b32_e32 v22, 1
	s_mov_b32 s17, exec_lo
	v_cmpx_ne_u16_e32 0x80, v9
	s_cbranch_execz .LBB339_811
; %bb.806:                              ;   in Loop: Header=BB339_542 Depth=1
	v_bfe_u32 v20, v17, 16, 7
	v_mov_b32_e32 v22, 0x7f800001
	s_mov_b32 s18, exec_lo
	v_cmpx_ne_u32_e32 0x7f, v20
	s_cbranch_execz .LBB339_810
; %bb.807:                              ;   in Loop: Header=BB339_542 Depth=1
	v_and_b32_sdwa v9, v17, v39 dst_sel:DWORD dst_unused:UNUSED_PAD src0_sel:WORD_1 src1_sel:DWORD
	v_lshrrev_b32_e32 v19, 3, v20
	s_mov_b32 s19, exec_lo
	v_cmpx_gt_u32_e32 8, v20
; %bb.808:                              ;   in Loop: Header=BB339_542 Depth=1
	v_ffbh_u32_e32 v19, v9
	v_min_u32_e32 v19, 32, v19
	v_subrev_nc_u32_e32 v20, 28, v19
	v_sub_nc_u32_e32 v19, 29, v19
	v_lshlrev_b64 v[81:82], v20, v[9:10]
	v_and_b32_e32 v9, 7, v81
; %bb.809:                              ;   in Loop: Header=BB339_542 Depth=1
	s_or_b32 exec_lo, exec_lo, s19
	v_lshlrev_b32_sdwa v20, v40, v17 dst_sel:DWORD dst_unused:UNUSED_PAD src0_sel:DWORD src1_sel:WORD_1
	v_lshlrev_b32_e32 v9, 20, v9
	v_lshl_add_u32 v19, v19, 23, 0x3c000000
	v_and_b32_e32 v20, 0x80000000, v20
	v_or3_b32 v22, v9, v20, v19
.LBB339_810:                            ;   in Loop: Header=BB339_542 Depth=1
	s_or_b32 exec_lo, exec_lo, s18
.LBB339_811:                            ;   in Loop: Header=BB339_542 Depth=1
	s_or_b32 exec_lo, exec_lo, s17
.LBB339_812:                            ;   in Loop: Header=BB339_542 Depth=1
	s_or_b32 exec_lo, exec_lo, s16
	s_mov_b32 s16, exec_lo
	v_cmpx_lt_u32_e32 0xffffff, v17
	s_cbranch_execz .LBB339_820
; %bb.813:                              ;   in Loop: Header=BB339_542 Depth=1
	v_cmp_ne_u32_sdwa s1, v17, v36 src0_sel:BYTE_3 src1_sel:DWORD
	v_bfrev_b32_e32 v23, 1
	s_and_saveexec_b32 s17, s1
	s_cbranch_execz .LBB339_819
; %bb.814:                              ;   in Loop: Header=BB339_542 Depth=1
	v_bfe_u32 v20, v17, 24, 7
	v_mov_b32_e32 v23, 0x7f800001
	s_mov_b32 s18, exec_lo
	v_cmpx_ne_u32_e32 0x7f, v20
	s_cbranch_execz .LBB339_818
; %bb.815:                              ;   in Loop: Header=BB339_542 Depth=1
	v_and_b32_sdwa v9, v17, v39 dst_sel:DWORD dst_unused:UNUSED_PAD src0_sel:BYTE_3 src1_sel:DWORD
	v_lshrrev_b32_e32 v19, 3, v20
	s_mov_b32 s19, exec_lo
	v_cmpx_gt_u32_e32 8, v20
; %bb.816:                              ;   in Loop: Header=BB339_542 Depth=1
	v_ffbh_u32_e32 v19, v9
	v_min_u32_e32 v19, 32, v19
	v_subrev_nc_u32_e32 v20, 28, v19
	v_sub_nc_u32_e32 v19, 29, v19
	v_lshlrev_b64 v[81:82], v20, v[9:10]
	v_and_b32_e32 v9, 7, v81
; %bb.817:                              ;   in Loop: Header=BB339_542 Depth=1
	s_or_b32 exec_lo, exec_lo, s19
	v_lshlrev_b32_sdwa v20, v40, v17 dst_sel:DWORD dst_unused:UNUSED_PAD src0_sel:DWORD src1_sel:BYTE_3
	v_lshlrev_b32_e32 v9, 20, v9
	v_lshl_add_u32 v19, v19, 23, 0x3c000000
	v_and_b32_e32 v20, 0x80000000, v20
	v_or3_b32 v23, v9, v20, v19
.LBB339_818:                            ;   in Loop: Header=BB339_542 Depth=1
	s_or_b32 exec_lo, exec_lo, s18
.LBB339_819:                            ;   in Loop: Header=BB339_542 Depth=1
	s_or_b32 exec_lo, exec_lo, s17
.LBB339_820:                            ;   in Loop: Header=BB339_542 Depth=1
	s_or_b32 exec_lo, exec_lo, s16
	v_mov_b32_e32 v9, v18
	v_cmp_ne_u16_sdwa s1, v18, v10 src0_sel:BYTE_0 src1_sel:DWORD
	v_mov_b32_e32 v19, 0
	v_mov_b32_e32 v81, 0
	s_and_saveexec_b32 s16, s1
	s_cbranch_execz .LBB339_826
; %bb.821:                              ;   in Loop: Header=BB339_542 Depth=1
	v_cmp_ne_u16_sdwa s1, v18, v36 src0_sel:BYTE_0 src1_sel:DWORD
	v_bfrev_b32_e32 v81, 1
	s_and_saveexec_b32 s17, s1
	s_cbranch_execz .LBB339_825
; %bb.822:                              ;   in Loop: Header=BB339_542 Depth=1
	v_and_b32_e32 v20, 0x7f, v18
	v_mov_b32_e32 v81, 0x7f800001
	s_mov_b32 s18, exec_lo
	v_cmpx_ne_u32_e32 0x7f, v20
	s_cbranch_execz .LBB339_824
; %bb.823:                              ;   in Loop: Header=BB339_542 Depth=1
	v_and_b32_e32 v81, 7, v18
	v_lshrrev_b32_e32 v82, 3, v20
	v_cmp_gt_u32_e64 s1, 8, v20
	v_ffbh_u32_e32 v81, v81
	v_min_u32_e32 v81, 32, v81
	v_subrev_nc_u32_e32 v83, 28, v81
	v_sub_nc_u32_e32 v81, 29, v81
	v_cndmask_b32_e64 v20, v82, v81, s1
	v_cndmask_b32_e64 v81, 0, v83, s1
	v_lshl_add_u32 v20, v20, 23, 0x3c000000
	v_lshlrev_b64 v[81:82], v81, v[9:10]
	v_lshlrev_b32_e32 v82, 24, v9
	v_lshlrev_b32_e32 v81, 20, v81
	v_and_b32_e32 v82, 0x80000000, v82
	v_and_b32_e32 v81, 0x700000, v81
	v_or3_b32 v81, v81, v82, v20
.LBB339_824:                            ;   in Loop: Header=BB339_542 Depth=1
	s_or_b32 exec_lo, exec_lo, s18
.LBB339_825:                            ;   in Loop: Header=BB339_542 Depth=1
	s_or_b32 exec_lo, exec_lo, s17
.LBB339_826:                            ;   in Loop: Header=BB339_542 Depth=1
	s_or_b32 exec_lo, exec_lo, s16
	v_cmp_ne_u16_sdwa s1, v9, v10 src0_sel:BYTE_1 src1_sel:DWORD
	s_and_saveexec_b32 s16, s1
	s_cbranch_execz .LBB339_834
; %bb.827:                              ;   in Loop: Header=BB339_542 Depth=1
	v_cmp_ne_u16_sdwa s1, v9, v36 src0_sel:BYTE_1 src1_sel:DWORD
	v_bfrev_b32_e32 v19, 1
	s_and_saveexec_b32 s17, s1
	s_cbranch_execz .LBB339_833
; %bb.828:                              ;   in Loop: Header=BB339_542 Depth=1
	v_and_b32_sdwa v20, v37, v9 dst_sel:DWORD dst_unused:UNUSED_PAD src0_sel:DWORD src1_sel:BYTE_1
	v_mov_b32_e32 v19, 0x7f800001
	s_mov_b32 s18, exec_lo
	v_and_b32_e32 v83, 0x7f, v20
	v_cmpx_ne_u32_e32 0x7f, v83
	s_cbranch_execz .LBB339_832
; %bb.829:                              ;   in Loop: Header=BB339_542 Depth=1
	v_and_b32_e32 v19, 7, v20
	v_mov_b32_e32 v20, v10
	v_lshrrev_b32_e32 v82, 3, v83
	s_mov_b32 s19, exec_lo
	v_cmpx_gt_u32_e32 8, v83
; %bb.830:                              ;   in Loop: Header=BB339_542 Depth=1
	v_ffbh_u32_e32 v82, v19
	v_min_u32_e32 v82, 32, v82
	v_subrev_nc_u32_e32 v83, 28, v82
	v_sub_nc_u32_e32 v82, 29, v82
	v_lshlrev_b64 v[19:20], v83, v[19:20]
	v_and_b32_e32 v19, 7, v19
; %bb.831:                              ;   in Loop: Header=BB339_542 Depth=1
	s_or_b32 exec_lo, exec_lo, s19
	v_lshlrev_b32_e32 v9, 16, v9
	v_lshlrev_b32_e32 v19, 20, v19
	v_lshl_add_u32 v20, v82, 23, 0x3c000000
	v_and_b32_e32 v9, 0x80000000, v9
	v_or3_b32 v19, v19, v9, v20
.LBB339_832:                            ;   in Loop: Header=BB339_542 Depth=1
	s_or_b32 exec_lo, exec_lo, s18
.LBB339_833:                            ;   in Loop: Header=BB339_542 Depth=1
	s_or_b32 exec_lo, exec_lo, s17
.LBB339_834:                            ;   in Loop: Header=BB339_542 Depth=1
	s_or_b32 exec_lo, exec_lo, s16
	v_and_b32_sdwa v9, v18, v38 dst_sel:DWORD dst_unused:UNUSED_PAD src0_sel:WORD_1 src1_sel:DWORD
	v_mov_b32_e32 v20, 0
	v_mov_b32_e32 v83, 0
	s_mov_b32 s16, exec_lo
	v_cmpx_ne_u16_e32 0, v9
	s_cbranch_execz .LBB339_842
; %bb.835:                              ;   in Loop: Header=BB339_542 Depth=1
	v_bfrev_b32_e32 v83, 1
	s_mov_b32 s17, exec_lo
	v_cmpx_ne_u16_e32 0x80, v9
	s_cbranch_execz .LBB339_841
; %bb.836:                              ;   in Loop: Header=BB339_542 Depth=1
	v_bfe_u32 v84, v18, 16, 7
	v_mov_b32_e32 v83, 0x7f800001
	s_mov_b32 s18, exec_lo
	v_cmpx_ne_u32_e32 0x7f, v84
	s_cbranch_execz .LBB339_840
; %bb.837:                              ;   in Loop: Header=BB339_542 Depth=1
	v_and_b32_sdwa v9, v18, v39 dst_sel:DWORD dst_unused:UNUSED_PAD src0_sel:WORD_1 src1_sel:DWORD
	v_lshrrev_b32_e32 v82, 3, v84
	s_mov_b32 s19, exec_lo
	v_cmpx_gt_u32_e32 8, v84
; %bb.838:                              ;   in Loop: Header=BB339_542 Depth=1
	v_ffbh_u32_e32 v82, v9
	v_min_u32_e32 v82, 32, v82
	v_subrev_nc_u32_e32 v83, 28, v82
	v_sub_nc_u32_e32 v82, 29, v82
	v_lshlrev_b64 v[83:84], v83, v[9:10]
	v_and_b32_e32 v9, 7, v83
; %bb.839:                              ;   in Loop: Header=BB339_542 Depth=1
	s_or_b32 exec_lo, exec_lo, s19
	v_lshlrev_b32_sdwa v83, v40, v18 dst_sel:DWORD dst_unused:UNUSED_PAD src0_sel:DWORD src1_sel:WORD_1
	v_lshlrev_b32_e32 v9, 20, v9
	v_lshl_add_u32 v82, v82, 23, 0x3c000000
	v_and_b32_e32 v83, 0x80000000, v83
	v_or3_b32 v83, v9, v83, v82
.LBB339_840:                            ;   in Loop: Header=BB339_542 Depth=1
	s_or_b32 exec_lo, exec_lo, s18
.LBB339_841:                            ;   in Loop: Header=BB339_542 Depth=1
	s_or_b32 exec_lo, exec_lo, s17
.LBB339_842:                            ;   in Loop: Header=BB339_542 Depth=1
	s_or_b32 exec_lo, exec_lo, s16
	s_mov_b32 s16, exec_lo
	v_cmpx_lt_u64_e64 s[2:3], v[17:18]
	s_cbranch_execz .LBB339_850
; %bb.843:                              ;   in Loop: Header=BB339_542 Depth=1
	v_cmp_ne_u32_sdwa s1, v18, v36 src0_sel:BYTE_3 src1_sel:DWORD
	v_bfrev_b32_e32 v20, 1
	s_and_saveexec_b32 s17, s1
	s_cbranch_execz .LBB339_849
; %bb.844:                              ;   in Loop: Header=BB339_542 Depth=1
	v_bfe_u32 v82, v18, 24, 7
	v_mov_b32_e32 v20, 0x7f800001
	s_mov_b32 s18, exec_lo
	v_cmpx_ne_u32_e32 0x7f, v82
	s_cbranch_execz .LBB339_848
; %bb.845:                              ;   in Loop: Header=BB339_542 Depth=1
	v_and_b32_sdwa v9, v18, v39 dst_sel:DWORD dst_unused:UNUSED_PAD src0_sel:BYTE_3 src1_sel:DWORD
	v_lshrrev_b32_e32 v17, 3, v82
	s_mov_b32 s19, exec_lo
	v_cmpx_gt_u32_e32 8, v82
; %bb.846:                              ;   in Loop: Header=BB339_542 Depth=1
	v_ffbh_u32_e32 v17, v9
	v_min_u32_e32 v17, 32, v17
	v_subrev_nc_u32_e32 v20, 28, v17
	v_sub_nc_u32_e32 v17, 29, v17
	v_lshlrev_b64 v[84:85], v20, v[9:10]
	v_and_b32_e32 v9, 7, v84
; %bb.847:                              ;   in Loop: Header=BB339_542 Depth=1
	s_or_b32 exec_lo, exec_lo, s19
	v_lshlrev_b32_sdwa v18, v40, v18 dst_sel:DWORD dst_unused:UNUSED_PAD src0_sel:DWORD src1_sel:BYTE_3
	v_lshlrev_b32_e32 v9, 20, v9
	v_lshl_add_u32 v17, v17, 23, 0x3c000000
	v_and_b32_e32 v18, 0x80000000, v18
	v_or3_b32 v20, v9, v18, v17
.LBB339_848:                            ;   in Loop: Header=BB339_542 Depth=1
	s_or_b32 exec_lo, exec_lo, s18
.LBB339_849:                            ;   in Loop: Header=BB339_542 Depth=1
	s_or_b32 exec_lo, exec_lo, s17
.LBB339_850:                            ;   in Loop: Header=BB339_542 Depth=1
	s_or_b32 exec_lo, exec_lo, s16
	v_mul_f32_e32 v9, s13, v19
	v_mul_f32_e32 v17, s13, v81
	;; [unrolled: 1-line block ×5, first 2 shown]
	v_bfe_u32 v22, v9, 16, 1
	v_or_b32_e32 v23, 0x400000, v9
	v_bfe_u32 v81, v17, 16, 1
	v_cmp_u_f32_e64 s1, v9, v9
	v_or_b32_e32 v82, 0x400000, v17
	v_add3_u32 v22, v22, v9, 0x7fff
	v_bfe_u32 v84, v18, 16, 1
	v_add3_u32 v81, v81, v17, 0x7fff
	v_or_b32_e32 v85, 0x400000, v18
	v_bfe_u32 v86, v19, 16, 1
	v_cndmask_b32_e64 v9, v22, v23, s1
	v_cmp_u_f32_e64 s1, v17, v17
	v_add3_u32 v84, v84, v18, 0x7fff
	v_or_b32_e32 v22, 0x400000, v19
	v_mul_f32_e32 v20, s13, v20
	v_cndmask_b32_e64 v17, v81, v82, s1
	v_cmp_u_f32_e64 s1, v18, v18
	v_lshrrev_b32_e32 v81, 16, v9
	v_mul_f32_e32 v9, s13, v21
	v_add3_u32 v21, v86, v19, 0x7fff
	v_lshrrev_b32_e32 v82, 16, v17
	v_cndmask_b32_e64 v18, v84, v85, s1
	v_cmp_u_f32_e64 s1, v19, v19
	v_bfe_u32 v17, v9, 16, 1
	v_mul_f32_e32 v19, s13, v83
	v_or_b32_e32 v85, 0x400000, v20
	v_lshrrev_b32_e32 v84, 16, v18
	v_cndmask_b32_e64 v18, v21, v22, s1
	v_add3_u32 v17, v17, v9, 0x7fff
	v_or_b32_e32 v21, 0x400000, v9
	v_bfe_u32 v22, v0, 16, 1
	v_cmp_u_f32_e64 s1, v9, v9
	v_bfe_u32 v23, v19, 16, 1
	v_or_b32_e32 v83, 0x400000, v19
	v_lshrrev_b32_e32 v86, 16, v18
	v_cndmask_b32_e64 v9, v17, v21, s1
	v_add3_u32 v21, v22, v0, 0x7fff
	v_or_b32_e32 v22, 0x400000, v0
	v_cmp_u_f32_e64 s1, v0, v0
	v_bfe_u32 v17, v20, 16, 1
	v_add3_u32 v23, v23, v19, 0x7fff
	v_lshrrev_b32_e32 v88, 16, v9
	v_cndmask_b32_e64 v0, v21, v22, s1
	v_cmp_u_f32_e64 s1, v19, v19
	v_add3_u32 v17, v17, v20, 0x7fff
	v_lshrrev_b32_e32 v87, 16, v0
	v_cndmask_b32_e64 v19, v23, v83, s1
	v_cmp_u_f32_e64 s1, v20, v20
	v_lshrrev_b32_e32 v83, 16, v19
	v_cndmask_b32_e64 v17, v17, v85, s1
	v_lshrrev_b32_e32 v85, 16, v17
	s_and_saveexec_b32 s16, vcc_lo
	s_cbranch_execz .LBB339_852
; %bb.851:                              ;   in Loop: Header=BB339_542 Depth=1
	v_cmp_gt_i32_e64 s1, s11, v50
	v_cndmask_b32_e64 v87, 0, v87, s1
	v_cmp_gt_i32_e64 s1, s11, v61
	v_cndmask_b32_e64 v88, 0, v88, s1
	;; [unrolled: 2-line block ×8, first 2 shown]
.LBB339_852:                            ;   in Loop: Header=BB339_542 Depth=1
	s_or_b32 exec_lo, exec_lo, s16
	global_load_dwordx2 v[17:18], v[15:16], off offset:1280
	v_mov_b32_e32 v21, 0
	v_mov_b32_e32 v0, 0
	s_waitcnt vmcnt(0)
	v_cmp_ne_u16_sdwa s1, v17, v10 src0_sel:BYTE_0 src1_sel:DWORD
	s_and_saveexec_b32 s16, s1
	s_cbranch_execz .LBB339_858
; %bb.853:                              ;   in Loop: Header=BB339_542 Depth=1
	v_cmp_ne_u16_sdwa s1, v17, v36 src0_sel:BYTE_0 src1_sel:DWORD
	v_bfrev_b32_e32 v0, 1
	s_and_saveexec_b32 s17, s1
	s_cbranch_execz .LBB339_857
; %bb.854:                              ;   in Loop: Header=BB339_542 Depth=1
	v_and_b32_e32 v9, 0x7f, v17
	v_mov_b32_e32 v0, 0x7f800001
	s_mov_b32 s18, exec_lo
	v_cmpx_ne_u32_e32 0x7f, v9
	s_cbranch_execz .LBB339_856
; %bb.855:                              ;   in Loop: Header=BB339_542 Depth=1
	v_and_b32_e32 v0, 7, v17
	v_cmp_gt_u32_e64 s1, 8, v9
	v_lshrrev_b32_e32 v19, 3, v9
	v_ffbh_u32_e32 v0, v0
	v_min_u32_e32 v0, 32, v0
	v_subrev_nc_u32_e32 v20, 28, v0
	v_sub_nc_u32_e32 v0, 29, v0
	v_cndmask_b32_e64 v9, 0, v20, s1
	v_cndmask_b32_e64 v0, v19, v0, s1
	v_lshlrev_b64 v[19:20], v9, v[17:18]
	v_lshlrev_b32_e32 v9, 24, v17
	v_lshl_add_u32 v0, v0, 23, 0x3c000000
	v_and_b32_e32 v9, 0x80000000, v9
	v_lshlrev_b32_e32 v19, 20, v19
	v_and_b32_e32 v19, 0x700000, v19
	v_or3_b32 v0, v19, v9, v0
.LBB339_856:                            ;   in Loop: Header=BB339_542 Depth=1
	s_or_b32 exec_lo, exec_lo, s18
.LBB339_857:                            ;   in Loop: Header=BB339_542 Depth=1
	s_or_b32 exec_lo, exec_lo, s17
.LBB339_858:                            ;   in Loop: Header=BB339_542 Depth=1
	s_or_b32 exec_lo, exec_lo, s16
	v_cmp_ne_u16_sdwa s1, v17, v10 src0_sel:BYTE_1 src1_sel:DWORD
	s_and_saveexec_b32 s16, s1
	s_cbranch_execz .LBB339_866
; %bb.859:                              ;   in Loop: Header=BB339_542 Depth=1
	v_cmp_ne_u16_sdwa s1, v17, v36 src0_sel:BYTE_1 src1_sel:DWORD
	v_bfrev_b32_e32 v21, 1
	s_and_saveexec_b32 s17, s1
	s_cbranch_execz .LBB339_865
; %bb.860:                              ;   in Loop: Header=BB339_542 Depth=1
	v_and_b32_sdwa v9, v37, v17 dst_sel:DWORD dst_unused:UNUSED_PAD src0_sel:DWORD src1_sel:BYTE_1
	v_mov_b32_e32 v21, 0x7f800001
	s_mov_b32 s18, exec_lo
	v_and_b32_e32 v20, 0x7f, v9
	v_cmpx_ne_u32_e32 0x7f, v20
	s_cbranch_execz .LBB339_864
; %bb.861:                              ;   in Loop: Header=BB339_542 Depth=1
	v_and_b32_e32 v9, 7, v9
	v_lshrrev_b32_e32 v19, 3, v20
	s_mov_b32 s19, exec_lo
	v_cmpx_gt_u32_e32 8, v20
; %bb.862:                              ;   in Loop: Header=BB339_542 Depth=1
	v_ffbh_u32_e32 v19, v9
	v_min_u32_e32 v19, 32, v19
	v_subrev_nc_u32_e32 v20, 28, v19
	v_sub_nc_u32_e32 v19, 29, v19
	v_lshlrev_b64 v[20:21], v20, v[9:10]
	v_and_b32_e32 v9, 7, v20
; %bb.863:                              ;   in Loop: Header=BB339_542 Depth=1
	s_or_b32 exec_lo, exec_lo, s19
	v_lshlrev_b32_e32 v20, 16, v17
	v_lshlrev_b32_e32 v9, 20, v9
	v_lshl_add_u32 v19, v19, 23, 0x3c000000
	v_and_b32_e32 v20, 0x80000000, v20
	v_or3_b32 v21, v9, v20, v19
.LBB339_864:                            ;   in Loop: Header=BB339_542 Depth=1
	s_or_b32 exec_lo, exec_lo, s18
.LBB339_865:                            ;   in Loop: Header=BB339_542 Depth=1
	s_or_b32 exec_lo, exec_lo, s17
.LBB339_866:                            ;   in Loop: Header=BB339_542 Depth=1
	s_or_b32 exec_lo, exec_lo, s16
	v_and_b32_sdwa v9, v17, v38 dst_sel:DWORD dst_unused:UNUSED_PAD src0_sel:WORD_1 src1_sel:DWORD
	v_mov_b32_e32 v23, 0
	v_mov_b32_e32 v22, 0
	s_mov_b32 s16, exec_lo
	v_cmpx_ne_u16_e32 0, v9
	s_cbranch_execz .LBB339_874
; %bb.867:                              ;   in Loop: Header=BB339_542 Depth=1
	v_bfrev_b32_e32 v22, 1
	s_mov_b32 s17, exec_lo
	v_cmpx_ne_u16_e32 0x80, v9
	s_cbranch_execz .LBB339_873
; %bb.868:                              ;   in Loop: Header=BB339_542 Depth=1
	v_bfe_u32 v20, v17, 16, 7
	v_mov_b32_e32 v22, 0x7f800001
	s_mov_b32 s18, exec_lo
	v_cmpx_ne_u32_e32 0x7f, v20
	s_cbranch_execz .LBB339_872
; %bb.869:                              ;   in Loop: Header=BB339_542 Depth=1
	v_and_b32_sdwa v9, v17, v39 dst_sel:DWORD dst_unused:UNUSED_PAD src0_sel:WORD_1 src1_sel:DWORD
	v_lshrrev_b32_e32 v19, 3, v20
	s_mov_b32 s19, exec_lo
	v_cmpx_gt_u32_e32 8, v20
; %bb.870:                              ;   in Loop: Header=BB339_542 Depth=1
	v_ffbh_u32_e32 v19, v9
	v_min_u32_e32 v19, 32, v19
	v_subrev_nc_u32_e32 v20, 28, v19
	v_sub_nc_u32_e32 v19, 29, v19
	v_lshlrev_b64 v[89:90], v20, v[9:10]
	v_and_b32_e32 v9, 7, v89
; %bb.871:                              ;   in Loop: Header=BB339_542 Depth=1
	s_or_b32 exec_lo, exec_lo, s19
	v_lshlrev_b32_sdwa v20, v40, v17 dst_sel:DWORD dst_unused:UNUSED_PAD src0_sel:DWORD src1_sel:WORD_1
	v_lshlrev_b32_e32 v9, 20, v9
	v_lshl_add_u32 v19, v19, 23, 0x3c000000
	v_and_b32_e32 v20, 0x80000000, v20
	v_or3_b32 v22, v9, v20, v19
.LBB339_872:                            ;   in Loop: Header=BB339_542 Depth=1
	s_or_b32 exec_lo, exec_lo, s18
.LBB339_873:                            ;   in Loop: Header=BB339_542 Depth=1
	s_or_b32 exec_lo, exec_lo, s17
.LBB339_874:                            ;   in Loop: Header=BB339_542 Depth=1
	s_or_b32 exec_lo, exec_lo, s16
	s_mov_b32 s16, exec_lo
	v_cmpx_lt_u32_e32 0xffffff, v17
	s_cbranch_execz .LBB339_882
; %bb.875:                              ;   in Loop: Header=BB339_542 Depth=1
	v_cmp_ne_u32_sdwa s1, v17, v36 src0_sel:BYTE_3 src1_sel:DWORD
	v_bfrev_b32_e32 v23, 1
	s_and_saveexec_b32 s17, s1
	s_cbranch_execz .LBB339_881
; %bb.876:                              ;   in Loop: Header=BB339_542 Depth=1
	v_bfe_u32 v20, v17, 24, 7
	v_mov_b32_e32 v23, 0x7f800001
	s_mov_b32 s18, exec_lo
	v_cmpx_ne_u32_e32 0x7f, v20
	s_cbranch_execz .LBB339_880
; %bb.877:                              ;   in Loop: Header=BB339_542 Depth=1
	v_and_b32_sdwa v9, v17, v39 dst_sel:DWORD dst_unused:UNUSED_PAD src0_sel:BYTE_3 src1_sel:DWORD
	v_lshrrev_b32_e32 v19, 3, v20
	s_mov_b32 s19, exec_lo
	v_cmpx_gt_u32_e32 8, v20
; %bb.878:                              ;   in Loop: Header=BB339_542 Depth=1
	v_ffbh_u32_e32 v19, v9
	v_min_u32_e32 v19, 32, v19
	v_subrev_nc_u32_e32 v20, 28, v19
	v_sub_nc_u32_e32 v19, 29, v19
	v_lshlrev_b64 v[89:90], v20, v[9:10]
	v_and_b32_e32 v9, 7, v89
; %bb.879:                              ;   in Loop: Header=BB339_542 Depth=1
	s_or_b32 exec_lo, exec_lo, s19
	v_lshlrev_b32_sdwa v20, v40, v17 dst_sel:DWORD dst_unused:UNUSED_PAD src0_sel:DWORD src1_sel:BYTE_3
	v_lshlrev_b32_e32 v9, 20, v9
	v_lshl_add_u32 v19, v19, 23, 0x3c000000
	v_and_b32_e32 v20, 0x80000000, v20
	v_or3_b32 v23, v9, v20, v19
.LBB339_880:                            ;   in Loop: Header=BB339_542 Depth=1
	s_or_b32 exec_lo, exec_lo, s18
.LBB339_881:                            ;   in Loop: Header=BB339_542 Depth=1
	s_or_b32 exec_lo, exec_lo, s17
.LBB339_882:                            ;   in Loop: Header=BB339_542 Depth=1
	s_or_b32 exec_lo, exec_lo, s16
	v_mov_b32_e32 v9, v18
	v_cmp_ne_u16_sdwa s1, v18, v10 src0_sel:BYTE_0 src1_sel:DWORD
	v_mov_b32_e32 v19, 0
	v_mov_b32_e32 v89, 0
	s_and_saveexec_b32 s16, s1
	s_cbranch_execz .LBB339_888
; %bb.883:                              ;   in Loop: Header=BB339_542 Depth=1
	v_cmp_ne_u16_sdwa s1, v18, v36 src0_sel:BYTE_0 src1_sel:DWORD
	v_bfrev_b32_e32 v89, 1
	s_and_saveexec_b32 s17, s1
	s_cbranch_execz .LBB339_887
; %bb.884:                              ;   in Loop: Header=BB339_542 Depth=1
	v_and_b32_e32 v20, 0x7f, v18
	v_mov_b32_e32 v89, 0x7f800001
	s_mov_b32 s18, exec_lo
	v_cmpx_ne_u32_e32 0x7f, v20
	s_cbranch_execz .LBB339_886
; %bb.885:                              ;   in Loop: Header=BB339_542 Depth=1
	v_and_b32_e32 v89, 7, v18
	v_lshrrev_b32_e32 v90, 3, v20
	v_cmp_gt_u32_e64 s1, 8, v20
	v_ffbh_u32_e32 v89, v89
	v_min_u32_e32 v89, 32, v89
	v_subrev_nc_u32_e32 v91, 28, v89
	v_sub_nc_u32_e32 v89, 29, v89
	v_cndmask_b32_e64 v20, v90, v89, s1
	v_cndmask_b32_e64 v89, 0, v91, s1
	v_lshl_add_u32 v20, v20, 23, 0x3c000000
	v_lshlrev_b64 v[89:90], v89, v[9:10]
	v_lshlrev_b32_e32 v90, 24, v9
	v_lshlrev_b32_e32 v89, 20, v89
	v_and_b32_e32 v90, 0x80000000, v90
	v_and_b32_e32 v89, 0x700000, v89
	v_or3_b32 v89, v89, v90, v20
.LBB339_886:                            ;   in Loop: Header=BB339_542 Depth=1
	s_or_b32 exec_lo, exec_lo, s18
.LBB339_887:                            ;   in Loop: Header=BB339_542 Depth=1
	s_or_b32 exec_lo, exec_lo, s17
.LBB339_888:                            ;   in Loop: Header=BB339_542 Depth=1
	s_or_b32 exec_lo, exec_lo, s16
	v_cmp_ne_u16_sdwa s1, v9, v10 src0_sel:BYTE_1 src1_sel:DWORD
	s_and_saveexec_b32 s16, s1
	s_cbranch_execz .LBB339_896
; %bb.889:                              ;   in Loop: Header=BB339_542 Depth=1
	v_cmp_ne_u16_sdwa s1, v9, v36 src0_sel:BYTE_1 src1_sel:DWORD
	v_bfrev_b32_e32 v19, 1
	s_and_saveexec_b32 s17, s1
	s_cbranch_execz .LBB339_895
; %bb.890:                              ;   in Loop: Header=BB339_542 Depth=1
	v_and_b32_sdwa v20, v37, v9 dst_sel:DWORD dst_unused:UNUSED_PAD src0_sel:DWORD src1_sel:BYTE_1
	v_mov_b32_e32 v19, 0x7f800001
	s_mov_b32 s18, exec_lo
	v_and_b32_e32 v91, 0x7f, v20
	v_cmpx_ne_u32_e32 0x7f, v91
	s_cbranch_execz .LBB339_894
; %bb.891:                              ;   in Loop: Header=BB339_542 Depth=1
	v_and_b32_e32 v19, 7, v20
	v_mov_b32_e32 v20, v10
	v_lshrrev_b32_e32 v90, 3, v91
	s_mov_b32 s19, exec_lo
	v_cmpx_gt_u32_e32 8, v91
; %bb.892:                              ;   in Loop: Header=BB339_542 Depth=1
	v_ffbh_u32_e32 v90, v19
	v_min_u32_e32 v90, 32, v90
	v_subrev_nc_u32_e32 v91, 28, v90
	v_sub_nc_u32_e32 v90, 29, v90
	v_lshlrev_b64 v[19:20], v91, v[19:20]
	v_and_b32_e32 v19, 7, v19
; %bb.893:                              ;   in Loop: Header=BB339_542 Depth=1
	s_or_b32 exec_lo, exec_lo, s19
	v_lshlrev_b32_e32 v9, 16, v9
	v_lshlrev_b32_e32 v19, 20, v19
	v_lshl_add_u32 v20, v90, 23, 0x3c000000
	v_and_b32_e32 v9, 0x80000000, v9
	v_or3_b32 v19, v19, v9, v20
.LBB339_894:                            ;   in Loop: Header=BB339_542 Depth=1
	s_or_b32 exec_lo, exec_lo, s18
.LBB339_895:                            ;   in Loop: Header=BB339_542 Depth=1
	s_or_b32 exec_lo, exec_lo, s17
.LBB339_896:                            ;   in Loop: Header=BB339_542 Depth=1
	s_or_b32 exec_lo, exec_lo, s16
	v_and_b32_sdwa v9, v18, v38 dst_sel:DWORD dst_unused:UNUSED_PAD src0_sel:WORD_1 src1_sel:DWORD
	v_mov_b32_e32 v20, 0
	v_mov_b32_e32 v90, 0
	s_mov_b32 s16, exec_lo
	v_cmpx_ne_u16_e32 0, v9
	s_cbranch_execz .LBB339_904
; %bb.897:                              ;   in Loop: Header=BB339_542 Depth=1
	v_bfrev_b32_e32 v90, 1
	s_mov_b32 s17, exec_lo
	v_cmpx_ne_u16_e32 0x80, v9
	s_cbranch_execz .LBB339_903
; %bb.898:                              ;   in Loop: Header=BB339_542 Depth=1
	v_bfe_u32 v91, v18, 16, 7
	v_mov_b32_e32 v90, 0x7f800001
	s_mov_b32 s18, exec_lo
	v_cmpx_ne_u32_e32 0x7f, v91
	s_cbranch_execz .LBB339_902
; %bb.899:                              ;   in Loop: Header=BB339_542 Depth=1
	v_and_b32_sdwa v9, v18, v39 dst_sel:DWORD dst_unused:UNUSED_PAD src0_sel:WORD_1 src1_sel:DWORD
	v_lshrrev_b32_e32 v90, 3, v91
	s_mov_b32 s19, exec_lo
	v_cmpx_gt_u32_e32 8, v91
; %bb.900:                              ;   in Loop: Header=BB339_542 Depth=1
	v_ffbh_u32_e32 v90, v9
	v_min_u32_e32 v90, 32, v90
	v_subrev_nc_u32_e32 v91, 28, v90
	v_sub_nc_u32_e32 v90, 29, v90
	v_lshlrev_b64 v[91:92], v91, v[9:10]
	v_and_b32_e32 v9, 7, v91
; %bb.901:                              ;   in Loop: Header=BB339_542 Depth=1
	s_or_b32 exec_lo, exec_lo, s19
	v_lshlrev_b32_sdwa v91, v40, v18 dst_sel:DWORD dst_unused:UNUSED_PAD src0_sel:DWORD src1_sel:WORD_1
	v_lshlrev_b32_e32 v9, 20, v9
	v_lshl_add_u32 v90, v90, 23, 0x3c000000
	v_and_b32_e32 v91, 0x80000000, v91
	v_or3_b32 v90, v9, v91, v90
.LBB339_902:                            ;   in Loop: Header=BB339_542 Depth=1
	s_or_b32 exec_lo, exec_lo, s18
.LBB339_903:                            ;   in Loop: Header=BB339_542 Depth=1
	s_or_b32 exec_lo, exec_lo, s17
.LBB339_904:                            ;   in Loop: Header=BB339_542 Depth=1
	s_or_b32 exec_lo, exec_lo, s16
	s_mov_b32 s16, exec_lo
	v_cmpx_lt_u64_e64 s[2:3], v[17:18]
	s_cbranch_execz .LBB339_912
; %bb.905:                              ;   in Loop: Header=BB339_542 Depth=1
	v_cmp_ne_u32_sdwa s1, v18, v36 src0_sel:BYTE_3 src1_sel:DWORD
	v_bfrev_b32_e32 v20, 1
	s_and_saveexec_b32 s17, s1
	s_cbranch_execz .LBB339_911
; %bb.906:                              ;   in Loop: Header=BB339_542 Depth=1
	v_bfe_u32 v91, v18, 24, 7
	v_mov_b32_e32 v20, 0x7f800001
	s_mov_b32 s18, exec_lo
	v_cmpx_ne_u32_e32 0x7f, v91
	s_cbranch_execz .LBB339_910
; %bb.907:                              ;   in Loop: Header=BB339_542 Depth=1
	v_and_b32_sdwa v9, v18, v39 dst_sel:DWORD dst_unused:UNUSED_PAD src0_sel:BYTE_3 src1_sel:DWORD
	v_lshrrev_b32_e32 v17, 3, v91
	s_mov_b32 s19, exec_lo
	v_cmpx_gt_u32_e32 8, v91
; %bb.908:                              ;   in Loop: Header=BB339_542 Depth=1
	v_ffbh_u32_e32 v17, v9
	v_min_u32_e32 v17, 32, v17
	v_subrev_nc_u32_e32 v20, 28, v17
	v_sub_nc_u32_e32 v17, 29, v17
	v_lshlrev_b64 v[91:92], v20, v[9:10]
	v_and_b32_e32 v9, 7, v91
; %bb.909:                              ;   in Loop: Header=BB339_542 Depth=1
	s_or_b32 exec_lo, exec_lo, s19
	v_lshlrev_b32_sdwa v18, v40, v18 dst_sel:DWORD dst_unused:UNUSED_PAD src0_sel:DWORD src1_sel:BYTE_3
	v_lshlrev_b32_e32 v9, 20, v9
	v_lshl_add_u32 v17, v17, 23, 0x3c000000
	v_and_b32_e32 v18, 0x80000000, v18
	v_or3_b32 v20, v9, v18, v17
.LBB339_910:                            ;   in Loop: Header=BB339_542 Depth=1
	s_or_b32 exec_lo, exec_lo, s18
.LBB339_911:                            ;   in Loop: Header=BB339_542 Depth=1
	s_or_b32 exec_lo, exec_lo, s17
.LBB339_912:                            ;   in Loop: Header=BB339_542 Depth=1
	s_or_b32 exec_lo, exec_lo, s16
	v_mul_f32_e32 v9, s13, v19
	v_mul_f32_e32 v17, s13, v89
	;; [unrolled: 1-line block ×5, first 2 shown]
	v_bfe_u32 v22, v9, 16, 1
	v_or_b32_e32 v23, 0x400000, v9
	v_bfe_u32 v89, v17, 16, 1
	v_cmp_u_f32_e64 s1, v9, v9
	v_or_b32_e32 v91, 0x400000, v17
	v_add3_u32 v22, v22, v9, 0x7fff
	v_bfe_u32 v92, v18, 16, 1
	v_add3_u32 v89, v89, v17, 0x7fff
	v_or_b32_e32 v93, 0x400000, v18
	v_bfe_u32 v94, v19, 16, 1
	v_cndmask_b32_e64 v9, v22, v23, s1
	v_cmp_u_f32_e64 s1, v17, v17
	v_add3_u32 v92, v92, v18, 0x7fff
	v_mul_f32_e32 v20, s13, v20
	v_add3_u32 v23, v94, v19, 0x7fff
	v_lshrrev_b32_e32 v22, 16, v9
	v_cndmask_b32_e64 v17, v89, v91, s1
	v_cmp_u_f32_e64 s1, v18, v18
	v_mul_f32_e32 v9, s13, v21
	v_or_b32_e32 v91, 0x400000, v19
	v_lshrrev_b32_e32 v21, 16, v17
	v_cndmask_b32_e64 v18, v92, v93, s1
	v_bfe_u32 v17, v9, 16, 1
	v_cmp_u_f32_e64 s1, v19, v19
	v_mul_f32_e32 v19, s13, v90
	v_bfe_u32 v90, v0, 16, 1
	v_lshrrev_b32_e32 v89, 16, v18
	v_add3_u32 v17, v17, v9, 0x7fff
	v_cndmask_b32_e64 v18, v23, v91, s1
	v_or_b32_e32 v23, 0x400000, v9
	v_cmp_u_f32_e64 s1, v9, v9
	v_bfe_u32 v91, v19, 16, 1
	v_or_b32_e32 v92, 0x400000, v19
	v_or_b32_e32 v93, 0x400000, v20
	v_cndmask_b32_e64 v9, v17, v23, s1
	v_add3_u32 v23, v90, v0, 0x7fff
	v_or_b32_e32 v90, 0x400000, v0
	v_cmp_u_f32_e64 s1, v0, v0
	v_bfe_u32 v17, v20, 16, 1
	v_add3_u32 v91, v91, v19, 0x7fff
	v_cndmask_b32_e64 v0, v23, v90, s1
	v_cmp_u_f32_e64 s1, v19, v19
	v_add3_u32 v17, v17, v20, 0x7fff
	v_cndmask_b32_e64 v19, v91, v92, s1
	v_cmp_u_f32_e64 s1, v20, v20
	v_lshrrev_b32_e32 v91, 16, v18
	v_lshrrev_b32_e32 v92, 16, v0
	;; [unrolled: 1-line block ×3, first 2 shown]
	v_cndmask_b32_e64 v17, v17, v93, s1
	v_lshrrev_b32_e32 v93, 16, v9
	v_lshrrev_b32_e32 v90, 16, v17
	s_and_saveexec_b32 s16, vcc_lo
	s_cbranch_execz .LBB339_914
; %bb.913:                              ;   in Loop: Header=BB339_542 Depth=1
	v_cmp_gt_i32_e64 s1, s11, v50
	v_cndmask_b32_e64 v92, 0, v92, s1
	v_cmp_gt_i32_e64 s1, s11, v61
	v_cndmask_b32_e64 v93, 0, v93, s1
	;; [unrolled: 2-line block ×8, first 2 shown]
.LBB339_914:                            ;   in Loop: Header=BB339_542 Depth=1
	s_or_b32 exec_lo, exec_lo, s16
	global_load_dwordx2 v[17:18], v[15:16], off offset:1536
	v_mov_b32_e32 v95, 0
	v_mov_b32_e32 v0, 0
	s_waitcnt vmcnt(0)
	v_cmp_ne_u16_sdwa s1, v17, v10 src0_sel:BYTE_0 src1_sel:DWORD
	s_and_saveexec_b32 s16, s1
	s_cbranch_execz .LBB339_920
; %bb.915:                              ;   in Loop: Header=BB339_542 Depth=1
	v_cmp_ne_u16_sdwa s1, v17, v36 src0_sel:BYTE_0 src1_sel:DWORD
	v_bfrev_b32_e32 v0, 1
	s_and_saveexec_b32 s17, s1
	s_cbranch_execz .LBB339_919
; %bb.916:                              ;   in Loop: Header=BB339_542 Depth=1
	v_and_b32_e32 v9, 0x7f, v17
	v_mov_b32_e32 v0, 0x7f800001
	s_mov_b32 s18, exec_lo
	v_cmpx_ne_u32_e32 0x7f, v9
	s_cbranch_execz .LBB339_918
; %bb.917:                              ;   in Loop: Header=BB339_542 Depth=1
	v_and_b32_e32 v0, 7, v17
	v_cmp_gt_u32_e64 s1, 8, v9
	v_lshrrev_b32_e32 v19, 3, v9
	v_ffbh_u32_e32 v0, v0
	v_min_u32_e32 v0, 32, v0
	v_subrev_nc_u32_e32 v20, 28, v0
	v_sub_nc_u32_e32 v0, 29, v0
	v_cndmask_b32_e64 v9, 0, v20, s1
	v_cndmask_b32_e64 v0, v19, v0, s1
	v_lshlrev_b64 v[19:20], v9, v[17:18]
	v_lshlrev_b32_e32 v9, 24, v17
	v_lshl_add_u32 v0, v0, 23, 0x3c000000
	v_and_b32_e32 v9, 0x80000000, v9
	v_lshlrev_b32_e32 v19, 20, v19
	v_and_b32_e32 v19, 0x700000, v19
	v_or3_b32 v0, v19, v9, v0
.LBB339_918:                            ;   in Loop: Header=BB339_542 Depth=1
	s_or_b32 exec_lo, exec_lo, s18
.LBB339_919:                            ;   in Loop: Header=BB339_542 Depth=1
	s_or_b32 exec_lo, exec_lo, s17
.LBB339_920:                            ;   in Loop: Header=BB339_542 Depth=1
	s_or_b32 exec_lo, exec_lo, s16
	v_cmp_ne_u16_sdwa s1, v17, v10 src0_sel:BYTE_1 src1_sel:DWORD
	s_and_saveexec_b32 s16, s1
	s_cbranch_execz .LBB339_928
; %bb.921:                              ;   in Loop: Header=BB339_542 Depth=1
	v_cmp_ne_u16_sdwa s1, v17, v36 src0_sel:BYTE_1 src1_sel:DWORD
	v_bfrev_b32_e32 v95, 1
	s_and_saveexec_b32 s17, s1
	s_cbranch_execz .LBB339_927
; %bb.922:                              ;   in Loop: Header=BB339_542 Depth=1
	v_and_b32_sdwa v9, v37, v17 dst_sel:DWORD dst_unused:UNUSED_PAD src0_sel:DWORD src1_sel:BYTE_1
	v_mov_b32_e32 v95, 0x7f800001
	s_mov_b32 s18, exec_lo
	v_and_b32_e32 v20, 0x7f, v9
	v_cmpx_ne_u32_e32 0x7f, v20
	s_cbranch_execz .LBB339_926
; %bb.923:                              ;   in Loop: Header=BB339_542 Depth=1
	v_and_b32_e32 v9, 7, v9
	v_lshrrev_b32_e32 v19, 3, v20
	s_mov_b32 s19, exec_lo
	v_cmpx_gt_u32_e32 8, v20
; %bb.924:                              ;   in Loop: Header=BB339_542 Depth=1
	v_ffbh_u32_e32 v19, v9
	v_min_u32_e32 v19, 32, v19
	v_subrev_nc_u32_e32 v20, 28, v19
	v_sub_nc_u32_e32 v19, 29, v19
	v_lshlrev_b64 v[94:95], v20, v[9:10]
	v_and_b32_e32 v9, 7, v94
; %bb.925:                              ;   in Loop: Header=BB339_542 Depth=1
	s_or_b32 exec_lo, exec_lo, s19
	v_lshlrev_b32_e32 v20, 16, v17
	v_lshlrev_b32_e32 v9, 20, v9
	v_lshl_add_u32 v19, v19, 23, 0x3c000000
	v_and_b32_e32 v20, 0x80000000, v20
	v_or3_b32 v95, v9, v20, v19
.LBB339_926:                            ;   in Loop: Header=BB339_542 Depth=1
	s_or_b32 exec_lo, exec_lo, s18
.LBB339_927:                            ;   in Loop: Header=BB339_542 Depth=1
	s_or_b32 exec_lo, exec_lo, s17
.LBB339_928:                            ;   in Loop: Header=BB339_542 Depth=1
	s_or_b32 exec_lo, exec_lo, s16
	v_and_b32_sdwa v9, v17, v38 dst_sel:DWORD dst_unused:UNUSED_PAD src0_sel:WORD_1 src1_sel:DWORD
	v_mov_b32_e32 v96, 0
	v_mov_b32_e32 v94, 0
	s_mov_b32 s16, exec_lo
	v_cmpx_ne_u16_e32 0, v9
	s_cbranch_execz .LBB339_936
; %bb.929:                              ;   in Loop: Header=BB339_542 Depth=1
	v_bfrev_b32_e32 v94, 1
	s_mov_b32 s17, exec_lo
	v_cmpx_ne_u16_e32 0x80, v9
	s_cbranch_execz .LBB339_935
; %bb.930:                              ;   in Loop: Header=BB339_542 Depth=1
	v_bfe_u32 v20, v17, 16, 7
	v_mov_b32_e32 v94, 0x7f800001
	s_mov_b32 s18, exec_lo
	v_cmpx_ne_u32_e32 0x7f, v20
	s_cbranch_execz .LBB339_934
; %bb.931:                              ;   in Loop: Header=BB339_542 Depth=1
	v_and_b32_sdwa v9, v17, v39 dst_sel:DWORD dst_unused:UNUSED_PAD src0_sel:WORD_1 src1_sel:DWORD
	v_lshrrev_b32_e32 v19, 3, v20
	s_mov_b32 s19, exec_lo
	v_cmpx_gt_u32_e32 8, v20
; %bb.932:                              ;   in Loop: Header=BB339_542 Depth=1
	v_ffbh_u32_e32 v19, v9
	v_min_u32_e32 v19, 32, v19
	v_subrev_nc_u32_e32 v20, 28, v19
	v_sub_nc_u32_e32 v19, 29, v19
	v_lshlrev_b64 v[97:98], v20, v[9:10]
	v_and_b32_e32 v9, 7, v97
; %bb.933:                              ;   in Loop: Header=BB339_542 Depth=1
	s_or_b32 exec_lo, exec_lo, s19
	v_lshlrev_b32_sdwa v20, v40, v17 dst_sel:DWORD dst_unused:UNUSED_PAD src0_sel:DWORD src1_sel:WORD_1
	v_lshlrev_b32_e32 v9, 20, v9
	v_lshl_add_u32 v19, v19, 23, 0x3c000000
	v_and_b32_e32 v20, 0x80000000, v20
	v_or3_b32 v94, v9, v20, v19
.LBB339_934:                            ;   in Loop: Header=BB339_542 Depth=1
	s_or_b32 exec_lo, exec_lo, s18
.LBB339_935:                            ;   in Loop: Header=BB339_542 Depth=1
	s_or_b32 exec_lo, exec_lo, s17
.LBB339_936:                            ;   in Loop: Header=BB339_542 Depth=1
	s_or_b32 exec_lo, exec_lo, s16
	s_mov_b32 s16, exec_lo
	v_cmpx_lt_u32_e32 0xffffff, v17
	s_cbranch_execz .LBB339_944
; %bb.937:                              ;   in Loop: Header=BB339_542 Depth=1
	v_cmp_ne_u32_sdwa s1, v17, v36 src0_sel:BYTE_3 src1_sel:DWORD
	v_bfrev_b32_e32 v96, 1
	s_and_saveexec_b32 s17, s1
	s_cbranch_execz .LBB339_943
; %bb.938:                              ;   in Loop: Header=BB339_542 Depth=1
	v_bfe_u32 v20, v17, 24, 7
	v_mov_b32_e32 v96, 0x7f800001
	s_mov_b32 s18, exec_lo
	v_cmpx_ne_u32_e32 0x7f, v20
	s_cbranch_execz .LBB339_942
; %bb.939:                              ;   in Loop: Header=BB339_542 Depth=1
	v_and_b32_sdwa v9, v17, v39 dst_sel:DWORD dst_unused:UNUSED_PAD src0_sel:BYTE_3 src1_sel:DWORD
	v_lshrrev_b32_e32 v19, 3, v20
	s_mov_b32 s19, exec_lo
	v_cmpx_gt_u32_e32 8, v20
; %bb.940:                              ;   in Loop: Header=BB339_542 Depth=1
	v_ffbh_u32_e32 v19, v9
	v_min_u32_e32 v19, 32, v19
	v_subrev_nc_u32_e32 v20, 28, v19
	v_sub_nc_u32_e32 v19, 29, v19
	v_lshlrev_b64 v[96:97], v20, v[9:10]
	v_and_b32_e32 v9, 7, v96
; %bb.941:                              ;   in Loop: Header=BB339_542 Depth=1
	s_or_b32 exec_lo, exec_lo, s19
	v_lshlrev_b32_sdwa v20, v40, v17 dst_sel:DWORD dst_unused:UNUSED_PAD src0_sel:DWORD src1_sel:BYTE_3
	v_lshlrev_b32_e32 v9, 20, v9
	v_lshl_add_u32 v19, v19, 23, 0x3c000000
	v_and_b32_e32 v20, 0x80000000, v20
	v_or3_b32 v96, v9, v20, v19
.LBB339_942:                            ;   in Loop: Header=BB339_542 Depth=1
	s_or_b32 exec_lo, exec_lo, s18
.LBB339_943:                            ;   in Loop: Header=BB339_542 Depth=1
	s_or_b32 exec_lo, exec_lo, s17
.LBB339_944:                            ;   in Loop: Header=BB339_542 Depth=1
	s_or_b32 exec_lo, exec_lo, s16
	v_mov_b32_e32 v9, v18
	v_cmp_ne_u16_sdwa s1, v18, v10 src0_sel:BYTE_0 src1_sel:DWORD
	v_mov_b32_e32 v19, 0
	v_mov_b32_e32 v97, 0
	s_and_saveexec_b32 s16, s1
	s_cbranch_execz .LBB339_950
; %bb.945:                              ;   in Loop: Header=BB339_542 Depth=1
	v_cmp_ne_u16_sdwa s1, v18, v36 src0_sel:BYTE_0 src1_sel:DWORD
	v_bfrev_b32_e32 v97, 1
	s_and_saveexec_b32 s17, s1
	s_cbranch_execz .LBB339_949
; %bb.946:                              ;   in Loop: Header=BB339_542 Depth=1
	v_and_b32_e32 v20, 0x7f, v18
	v_mov_b32_e32 v97, 0x7f800001
	s_mov_b32 s18, exec_lo
	v_cmpx_ne_u32_e32 0x7f, v20
	s_cbranch_execz .LBB339_948
; %bb.947:                              ;   in Loop: Header=BB339_542 Depth=1
	v_and_b32_e32 v97, 7, v18
	v_lshrrev_b32_e32 v98, 3, v20
	v_cmp_gt_u32_e64 s1, 8, v20
	v_ffbh_u32_e32 v97, v97
	v_min_u32_e32 v97, 32, v97
	v_subrev_nc_u32_e32 v99, 28, v97
	v_sub_nc_u32_e32 v97, 29, v97
	v_cndmask_b32_e64 v20, v98, v97, s1
	v_cndmask_b32_e64 v97, 0, v99, s1
	v_lshl_add_u32 v20, v20, 23, 0x3c000000
	v_lshlrev_b64 v[97:98], v97, v[9:10]
	v_lshlrev_b32_e32 v98, 24, v9
	v_lshlrev_b32_e32 v97, 20, v97
	v_and_b32_e32 v98, 0x80000000, v98
	v_and_b32_e32 v97, 0x700000, v97
	v_or3_b32 v97, v97, v98, v20
.LBB339_948:                            ;   in Loop: Header=BB339_542 Depth=1
	s_or_b32 exec_lo, exec_lo, s18
.LBB339_949:                            ;   in Loop: Header=BB339_542 Depth=1
	s_or_b32 exec_lo, exec_lo, s17
.LBB339_950:                            ;   in Loop: Header=BB339_542 Depth=1
	s_or_b32 exec_lo, exec_lo, s16
	v_cmp_ne_u16_sdwa s1, v9, v10 src0_sel:BYTE_1 src1_sel:DWORD
	s_and_saveexec_b32 s16, s1
	s_cbranch_execz .LBB339_958
; %bb.951:                              ;   in Loop: Header=BB339_542 Depth=1
	v_cmp_ne_u16_sdwa s1, v9, v36 src0_sel:BYTE_1 src1_sel:DWORD
	v_bfrev_b32_e32 v19, 1
	s_and_saveexec_b32 s17, s1
	s_cbranch_execz .LBB339_957
; %bb.952:                              ;   in Loop: Header=BB339_542 Depth=1
	v_and_b32_sdwa v20, v37, v9 dst_sel:DWORD dst_unused:UNUSED_PAD src0_sel:DWORD src1_sel:BYTE_1
	v_mov_b32_e32 v19, 0x7f800001
	s_mov_b32 s18, exec_lo
	v_and_b32_e32 v99, 0x7f, v20
	v_cmpx_ne_u32_e32 0x7f, v99
	s_cbranch_execz .LBB339_956
; %bb.953:                              ;   in Loop: Header=BB339_542 Depth=1
	v_and_b32_e32 v19, 7, v20
	v_mov_b32_e32 v20, v10
	v_lshrrev_b32_e32 v98, 3, v99
	s_mov_b32 s19, exec_lo
	v_cmpx_gt_u32_e32 8, v99
; %bb.954:                              ;   in Loop: Header=BB339_542 Depth=1
	v_ffbh_u32_e32 v98, v19
	v_min_u32_e32 v98, 32, v98
	v_subrev_nc_u32_e32 v99, 28, v98
	v_sub_nc_u32_e32 v98, 29, v98
	v_lshlrev_b64 v[19:20], v99, v[19:20]
	v_and_b32_e32 v19, 7, v19
; %bb.955:                              ;   in Loop: Header=BB339_542 Depth=1
	s_or_b32 exec_lo, exec_lo, s19
	v_lshlrev_b32_e32 v9, 16, v9
	v_lshlrev_b32_e32 v19, 20, v19
	v_lshl_add_u32 v20, v98, 23, 0x3c000000
	v_and_b32_e32 v9, 0x80000000, v9
	v_or3_b32 v19, v19, v9, v20
.LBB339_956:                            ;   in Loop: Header=BB339_542 Depth=1
	s_or_b32 exec_lo, exec_lo, s18
.LBB339_957:                            ;   in Loop: Header=BB339_542 Depth=1
	s_or_b32 exec_lo, exec_lo, s17
.LBB339_958:                            ;   in Loop: Header=BB339_542 Depth=1
	s_or_b32 exec_lo, exec_lo, s16
	v_and_b32_sdwa v9, v18, v38 dst_sel:DWORD dst_unused:UNUSED_PAD src0_sel:WORD_1 src1_sel:DWORD
	v_mov_b32_e32 v20, 0
	v_mov_b32_e32 v99, 0
	s_mov_b32 s16, exec_lo
	v_cmpx_ne_u16_e32 0, v9
	s_cbranch_execz .LBB339_966
; %bb.959:                              ;   in Loop: Header=BB339_542 Depth=1
	v_bfrev_b32_e32 v99, 1
	s_mov_b32 s17, exec_lo
	v_cmpx_ne_u16_e32 0x80, v9
	s_cbranch_execz .LBB339_965
; %bb.960:                              ;   in Loop: Header=BB339_542 Depth=1
	v_bfe_u32 v100, v18, 16, 7
	v_mov_b32_e32 v99, 0x7f800001
	s_mov_b32 s18, exec_lo
	v_cmpx_ne_u32_e32 0x7f, v100
	s_cbranch_execz .LBB339_964
; %bb.961:                              ;   in Loop: Header=BB339_542 Depth=1
	v_and_b32_sdwa v9, v18, v39 dst_sel:DWORD dst_unused:UNUSED_PAD src0_sel:WORD_1 src1_sel:DWORD
	v_lshrrev_b32_e32 v98, 3, v100
	s_mov_b32 s19, exec_lo
	v_cmpx_gt_u32_e32 8, v100
; %bb.962:                              ;   in Loop: Header=BB339_542 Depth=1
	v_ffbh_u32_e32 v98, v9
	v_min_u32_e32 v98, 32, v98
	v_subrev_nc_u32_e32 v99, 28, v98
	v_sub_nc_u32_e32 v98, 29, v98
	v_lshlrev_b64 v[99:100], v99, v[9:10]
	v_and_b32_e32 v9, 7, v99
; %bb.963:                              ;   in Loop: Header=BB339_542 Depth=1
	s_or_b32 exec_lo, exec_lo, s19
	v_lshlrev_b32_sdwa v99, v40, v18 dst_sel:DWORD dst_unused:UNUSED_PAD src0_sel:DWORD src1_sel:WORD_1
	v_lshlrev_b32_e32 v9, 20, v9
	v_lshl_add_u32 v98, v98, 23, 0x3c000000
	v_and_b32_e32 v99, 0x80000000, v99
	v_or3_b32 v99, v9, v99, v98
.LBB339_964:                            ;   in Loop: Header=BB339_542 Depth=1
	s_or_b32 exec_lo, exec_lo, s18
.LBB339_965:                            ;   in Loop: Header=BB339_542 Depth=1
	s_or_b32 exec_lo, exec_lo, s17
.LBB339_966:                            ;   in Loop: Header=BB339_542 Depth=1
	s_or_b32 exec_lo, exec_lo, s16
	s_mov_b32 s16, exec_lo
	v_cmpx_lt_u64_e64 s[2:3], v[17:18]
	s_cbranch_execz .LBB339_974
; %bb.967:                              ;   in Loop: Header=BB339_542 Depth=1
	v_cmp_ne_u32_sdwa s1, v18, v36 src0_sel:BYTE_3 src1_sel:DWORD
	v_bfrev_b32_e32 v20, 1
	s_and_saveexec_b32 s17, s1
	s_cbranch_execz .LBB339_973
; %bb.968:                              ;   in Loop: Header=BB339_542 Depth=1
	v_bfe_u32 v98, v18, 24, 7
	v_mov_b32_e32 v20, 0x7f800001
	s_mov_b32 s18, exec_lo
	v_cmpx_ne_u32_e32 0x7f, v98
	s_cbranch_execz .LBB339_972
; %bb.969:                              ;   in Loop: Header=BB339_542 Depth=1
	v_and_b32_sdwa v9, v18, v39 dst_sel:DWORD dst_unused:UNUSED_PAD src0_sel:BYTE_3 src1_sel:DWORD
	v_lshrrev_b32_e32 v17, 3, v98
	s_mov_b32 s19, exec_lo
	v_cmpx_gt_u32_e32 8, v98
; %bb.970:                              ;   in Loop: Header=BB339_542 Depth=1
	v_ffbh_u32_e32 v17, v9
	v_min_u32_e32 v17, 32, v17
	v_subrev_nc_u32_e32 v20, 28, v17
	v_sub_nc_u32_e32 v17, 29, v17
	v_lshlrev_b64 v[100:101], v20, v[9:10]
	v_and_b32_e32 v9, 7, v100
; %bb.971:                              ;   in Loop: Header=BB339_542 Depth=1
	s_or_b32 exec_lo, exec_lo, s19
	v_lshlrev_b32_sdwa v18, v40, v18 dst_sel:DWORD dst_unused:UNUSED_PAD src0_sel:DWORD src1_sel:BYTE_3
	v_lshlrev_b32_e32 v9, 20, v9
	v_lshl_add_u32 v17, v17, 23, 0x3c000000
	v_and_b32_e32 v18, 0x80000000, v18
	v_or3_b32 v20, v9, v18, v17
.LBB339_972:                            ;   in Loop: Header=BB339_542 Depth=1
	s_or_b32 exec_lo, exec_lo, s18
.LBB339_973:                            ;   in Loop: Header=BB339_542 Depth=1
	s_or_b32 exec_lo, exec_lo, s17
.LBB339_974:                            ;   in Loop: Header=BB339_542 Depth=1
	s_or_b32 exec_lo, exec_lo, s16
	v_mul_f32_e32 v9, s13, v19
	v_mul_f32_e32 v17, s13, v97
	v_mul_f32_e32 v18, s13, v96
	v_mul_f32_e32 v96, s13, v94
	v_mul_f32_e32 v0, s13, v0
	v_bfe_u32 v19, v9, 16, 1
	v_or_b32_e32 v94, 0x400000, v9
	v_bfe_u32 v97, v17, 16, 1
	v_cmp_u_f32_e64 s1, v9, v9
	v_or_b32_e32 v98, 0x400000, v17
	v_add3_u32 v19, v19, v9, 0x7fff
	v_bfe_u32 v100, v18, 16, 1
	v_add3_u32 v97, v97, v17, 0x7fff
	v_or_b32_e32 v101, 0x400000, v18
	v_bfe_u32 v102, v96, 16, 1
	v_cndmask_b32_e64 v9, v19, v94, s1
	v_cmp_u_f32_e64 s1, v17, v17
	v_add3_u32 v100, v100, v18, 0x7fff
	v_mul_f32_e32 v20, s13, v20
	v_lshrrev_b32_e32 v94, 16, v9
	v_cndmask_b32_e64 v17, v97, v98, s1
	v_cmp_u_f32_e64 s1, v18, v18
	v_mul_f32_e32 v9, s13, v95
	v_add3_u32 v95, v102, v96, 0x7fff
	v_or_b32_e32 v97, 0x400000, v96
	v_lshrrev_b32_e32 v19, 16, v17
	v_cndmask_b32_e64 v18, v100, v101, s1
	v_bfe_u32 v17, v9, 16, 1
	v_cmp_u_f32_e64 s1, v96, v96
	v_or_b32_e32 v96, 0x400000, v9
	v_or_b32_e32 v101, 0x400000, v20
	v_lshrrev_b32_e32 v98, 16, v18
	v_add3_u32 v17, v17, v9, 0x7fff
	v_cndmask_b32_e64 v18, v95, v97, s1
	v_mul_f32_e32 v95, s13, v99
	v_bfe_u32 v97, v0, 16, 1
	v_cmp_u_f32_e64 s1, v9, v9
	v_bfe_u32 v99, v95, 16, 1
	v_or_b32_e32 v100, 0x400000, v95
	v_cndmask_b32_e64 v9, v17, v96, s1
	v_add3_u32 v96, v97, v0, 0x7fff
	v_or_b32_e32 v97, 0x400000, v0
	v_cmp_u_f32_e64 s1, v0, v0
	v_bfe_u32 v17, v20, 16, 1
	v_add3_u32 v99, v99, v95, 0x7fff
	v_cndmask_b32_e64 v0, v96, v97, s1
	v_cmp_u_f32_e64 s1, v95, v95
	v_add3_u32 v17, v17, v20, 0x7fff
	v_cndmask_b32_e64 v95, v99, v100, s1
	v_cmp_u_f32_e64 s1, v20, v20
	v_lshrrev_b32_e32 v99, 16, v18
	v_lshrrev_b32_e32 v100, 16, v0
	;; [unrolled: 1-line block ×3, first 2 shown]
	v_cndmask_b32_e64 v17, v17, v101, s1
	v_lshrrev_b32_e32 v101, 16, v9
	v_lshrrev_b32_e32 v97, 16, v17
	s_and_saveexec_b32 s16, vcc_lo
	s_cbranch_execz .LBB339_976
; %bb.975:                              ;   in Loop: Header=BB339_542 Depth=1
	v_cmp_gt_i32_e64 s1, s11, v50
	v_cndmask_b32_e64 v100, 0, v100, s1
	v_cmp_gt_i32_e64 s1, s11, v61
	v_cndmask_b32_e64 v101, 0, v101, s1
	;; [unrolled: 2-line block ×8, first 2 shown]
.LBB339_976:                            ;   in Loop: Header=BB339_542 Depth=1
	s_or_b32 exec_lo, exec_lo, s16
	global_load_dwordx2 v[15:16], v[15:16], off offset:1792
	v_mov_b32_e32 v95, 0
	v_mov_b32_e32 v20, 0
	s_waitcnt vmcnt(0)
	v_cmp_ne_u16_sdwa s1, v15, v10 src0_sel:BYTE_0 src1_sel:DWORD
	s_and_saveexec_b32 s16, s1
	s_cbranch_execz .LBB339_982
; %bb.977:                              ;   in Loop: Header=BB339_542 Depth=1
	v_cmp_ne_u16_sdwa s1, v15, v36 src0_sel:BYTE_0 src1_sel:DWORD
	v_bfrev_b32_e32 v20, 1
	s_and_saveexec_b32 s17, s1
	s_cbranch_execz .LBB339_981
; %bb.978:                              ;   in Loop: Header=BB339_542 Depth=1
	v_and_b32_e32 v0, 0x7f, v15
	v_mov_b32_e32 v20, 0x7f800001
	s_mov_b32 s18, exec_lo
	v_cmpx_ne_u32_e32 0x7f, v0
	s_cbranch_execz .LBB339_980
; %bb.979:                              ;   in Loop: Header=BB339_542 Depth=1
	v_and_b32_e32 v9, 7, v15
	v_lshrrev_b32_e32 v17, 3, v0
	v_cmp_gt_u32_e64 s1, 8, v0
	v_ffbh_u32_e32 v9, v9
	v_min_u32_e32 v9, 32, v9
	v_subrev_nc_u32_e32 v18, 28, v9
	v_sub_nc_u32_e32 v9, 29, v9
	v_cndmask_b32_e64 v0, v17, v9, s1
	v_cndmask_b32_e64 v9, 0, v18, s1
	v_lshl_add_u32 v0, v0, 23, 0x3c000000
	v_lshlrev_b64 v[17:18], v9, v[15:16]
	v_lshlrev_b32_e32 v9, 24, v15
	v_and_b32_e32 v9, 0x80000000, v9
	v_lshlrev_b32_e32 v17, 20, v17
	v_and_b32_e32 v17, 0x700000, v17
	v_or3_b32 v20, v17, v9, v0
.LBB339_980:                            ;   in Loop: Header=BB339_542 Depth=1
	s_or_b32 exec_lo, exec_lo, s18
.LBB339_981:                            ;   in Loop: Header=BB339_542 Depth=1
	s_or_b32 exec_lo, exec_lo, s17
.LBB339_982:                            ;   in Loop: Header=BB339_542 Depth=1
	s_or_b32 exec_lo, exec_lo, s16
	v_cmp_ne_u16_sdwa s1, v15, v10 src0_sel:BYTE_1 src1_sel:DWORD
	s_and_saveexec_b32 s16, s1
	s_cbranch_execz .LBB339_990
; %bb.983:                              ;   in Loop: Header=BB339_542 Depth=1
	v_cmp_ne_u16_sdwa s1, v15, v36 src0_sel:BYTE_1 src1_sel:DWORD
	v_bfrev_b32_e32 v95, 1
	s_and_saveexec_b32 s17, s1
	s_cbranch_execz .LBB339_989
; %bb.984:                              ;   in Loop: Header=BB339_542 Depth=1
	v_and_b32_sdwa v0, v37, v15 dst_sel:DWORD dst_unused:UNUSED_PAD src0_sel:DWORD src1_sel:BYTE_1
	v_mov_b32_e32 v95, 0x7f800001
	s_mov_b32 s18, exec_lo
	v_and_b32_e32 v17, 0x7f, v0
	v_cmpx_ne_u32_e32 0x7f, v17
	s_cbranch_execz .LBB339_988
; %bb.985:                              ;   in Loop: Header=BB339_542 Depth=1
	v_and_b32_e32 v9, 7, v0
	v_lshrrev_b32_e32 v0, 3, v17
	s_mov_b32 s19, exec_lo
	v_cmpx_gt_u32_e32 8, v17
; %bb.986:                              ;   in Loop: Header=BB339_542 Depth=1
	v_ffbh_u32_e32 v0, v9
	v_min_u32_e32 v0, 32, v0
	v_subrev_nc_u32_e32 v17, 28, v0
	v_sub_nc_u32_e32 v0, 29, v0
	v_lshlrev_b64 v[17:18], v17, v[9:10]
	v_and_b32_e32 v9, 7, v17
; %bb.987:                              ;   in Loop: Header=BB339_542 Depth=1
	s_or_b32 exec_lo, exec_lo, s19
	v_lshlrev_b32_e32 v17, 16, v15
	v_lshlrev_b32_e32 v9, 20, v9
	v_lshl_add_u32 v0, v0, 23, 0x3c000000
	v_and_b32_e32 v17, 0x80000000, v17
	v_or3_b32 v95, v9, v17, v0
.LBB339_988:                            ;   in Loop: Header=BB339_542 Depth=1
	s_or_b32 exec_lo, exec_lo, s18
.LBB339_989:                            ;   in Loop: Header=BB339_542 Depth=1
	s_or_b32 exec_lo, exec_lo, s17
.LBB339_990:                            ;   in Loop: Header=BB339_542 Depth=1
	s_or_b32 exec_lo, exec_lo, s16
	v_and_b32_sdwa v9, v15, v38 dst_sel:DWORD dst_unused:UNUSED_PAD src0_sel:WORD_1 src1_sel:DWORD
	v_mov_b32_e32 v102, 0
	v_mov_b32_e32 v0, 0
	s_mov_b32 s16, exec_lo
	v_cmpx_ne_u16_e32 0, v9
	s_cbranch_execz .LBB339_998
; %bb.991:                              ;   in Loop: Header=BB339_542 Depth=1
	v_bfrev_b32_e32 v0, 1
	s_mov_b32 s17, exec_lo
	v_cmpx_ne_u16_e32 0x80, v9
	s_cbranch_execz .LBB339_997
; %bb.992:                              ;   in Loop: Header=BB339_542 Depth=1
	v_bfe_u32 v17, v15, 16, 7
	v_mov_b32_e32 v0, 0x7f800001
	s_mov_b32 s18, exec_lo
	v_cmpx_ne_u32_e32 0x7f, v17
	s_cbranch_execz .LBB339_996
; %bb.993:                              ;   in Loop: Header=BB339_542 Depth=1
	v_and_b32_sdwa v9, v15, v39 dst_sel:DWORD dst_unused:UNUSED_PAD src0_sel:WORD_1 src1_sel:DWORD
	v_lshrrev_b32_e32 v0, 3, v17
	s_mov_b32 s19, exec_lo
	v_cmpx_gt_u32_e32 8, v17
; %bb.994:                              ;   in Loop: Header=BB339_542 Depth=1
	v_ffbh_u32_e32 v0, v9
	v_min_u32_e32 v0, 32, v0
	v_subrev_nc_u32_e32 v17, 28, v0
	v_sub_nc_u32_e32 v0, 29, v0
	v_lshlrev_b64 v[17:18], v17, v[9:10]
	v_and_b32_e32 v9, 7, v17
; %bb.995:                              ;   in Loop: Header=BB339_542 Depth=1
	s_or_b32 exec_lo, exec_lo, s19
	v_lshlrev_b32_sdwa v17, v40, v15 dst_sel:DWORD dst_unused:UNUSED_PAD src0_sel:DWORD src1_sel:WORD_1
	v_lshlrev_b32_e32 v9, 20, v9
	v_lshl_add_u32 v0, v0, 23, 0x3c000000
	v_and_b32_e32 v17, 0x80000000, v17
	v_or3_b32 v0, v9, v17, v0
.LBB339_996:                            ;   in Loop: Header=BB339_542 Depth=1
	s_or_b32 exec_lo, exec_lo, s18
.LBB339_997:                            ;   in Loop: Header=BB339_542 Depth=1
	s_or_b32 exec_lo, exec_lo, s17
.LBB339_998:                            ;   in Loop: Header=BB339_542 Depth=1
	s_or_b32 exec_lo, exec_lo, s16
	s_mov_b32 s16, exec_lo
	v_cmpx_lt_u32_e32 0xffffff, v15
	s_cbranch_execz .LBB339_1006
; %bb.999:                              ;   in Loop: Header=BB339_542 Depth=1
	v_cmp_ne_u32_sdwa s1, v15, v36 src0_sel:BYTE_3 src1_sel:DWORD
	v_bfrev_b32_e32 v102, 1
	s_and_saveexec_b32 s17, s1
	s_cbranch_execz .LBB339_1005
; %bb.1000:                             ;   in Loop: Header=BB339_542 Depth=1
	v_bfe_u32 v18, v15, 24, 7
	v_mov_b32_e32 v102, 0x7f800001
	s_mov_b32 s18, exec_lo
	v_cmpx_ne_u32_e32 0x7f, v18
	s_cbranch_execz .LBB339_1004
; %bb.1001:                             ;   in Loop: Header=BB339_542 Depth=1
	v_and_b32_sdwa v9, v15, v39 dst_sel:DWORD dst_unused:UNUSED_PAD src0_sel:BYTE_3 src1_sel:DWORD
	v_lshrrev_b32_e32 v17, 3, v18
	s_mov_b32 s19, exec_lo
	v_cmpx_gt_u32_e32 8, v18
; %bb.1002:                             ;   in Loop: Header=BB339_542 Depth=1
	v_ffbh_u32_e32 v17, v9
	v_min_u32_e32 v17, 32, v17
	v_subrev_nc_u32_e32 v18, 28, v17
	v_sub_nc_u32_e32 v17, 29, v17
	v_lshlrev_b64 v[102:103], v18, v[9:10]
	v_and_b32_e32 v9, 7, v102
; %bb.1003:                             ;   in Loop: Header=BB339_542 Depth=1
	s_or_b32 exec_lo, exec_lo, s19
	v_lshlrev_b32_sdwa v18, v40, v15 dst_sel:DWORD dst_unused:UNUSED_PAD src0_sel:DWORD src1_sel:BYTE_3
	v_lshlrev_b32_e32 v9, 20, v9
	v_lshl_add_u32 v17, v17, 23, 0x3c000000
	v_and_b32_e32 v18, 0x80000000, v18
	v_or3_b32 v102, v9, v18, v17
.LBB339_1004:                           ;   in Loop: Header=BB339_542 Depth=1
	s_or_b32 exec_lo, exec_lo, s18
.LBB339_1005:                           ;   in Loop: Header=BB339_542 Depth=1
	s_or_b32 exec_lo, exec_lo, s17
.LBB339_1006:                           ;   in Loop: Header=BB339_542 Depth=1
	s_or_b32 exec_lo, exec_lo, s16
	v_mov_b32_e32 v9, v16
	v_cmp_ne_u16_sdwa s1, v16, v10 src0_sel:BYTE_0 src1_sel:DWORD
	v_mov_b32_e32 v17, 0
	v_mov_b32_e32 v103, 0
	s_and_saveexec_b32 s16, s1
	s_cbranch_execz .LBB339_1012
; %bb.1007:                             ;   in Loop: Header=BB339_542 Depth=1
	v_cmp_ne_u16_sdwa s1, v16, v36 src0_sel:BYTE_0 src1_sel:DWORD
	v_bfrev_b32_e32 v103, 1
	s_and_saveexec_b32 s17, s1
	s_cbranch_execz .LBB339_1011
; %bb.1008:                             ;   in Loop: Header=BB339_542 Depth=1
	v_and_b32_e32 v18, 0x7f, v16
	v_mov_b32_e32 v103, 0x7f800001
	s_mov_b32 s18, exec_lo
	v_cmpx_ne_u32_e32 0x7f, v18
	s_cbranch_execz .LBB339_1010
; %bb.1009:                             ;   in Loop: Header=BB339_542 Depth=1
	v_and_b32_e32 v103, 7, v16
	v_lshrrev_b32_e32 v104, 3, v18
	v_cmp_gt_u32_e64 s1, 8, v18
	v_ffbh_u32_e32 v103, v103
	v_min_u32_e32 v103, 32, v103
	v_subrev_nc_u32_e32 v105, 28, v103
	v_sub_nc_u32_e32 v103, 29, v103
	v_cndmask_b32_e64 v18, v104, v103, s1
	v_cndmask_b32_e64 v103, 0, v105, s1
	v_lshl_add_u32 v18, v18, 23, 0x3c000000
	v_lshlrev_b64 v[103:104], v103, v[9:10]
	v_lshlrev_b32_e32 v104, 24, v9
	v_lshlrev_b32_e32 v103, 20, v103
	v_and_b32_e32 v104, 0x80000000, v104
	v_and_b32_e32 v103, 0x700000, v103
	v_or3_b32 v103, v103, v104, v18
.LBB339_1010:                           ;   in Loop: Header=BB339_542 Depth=1
	s_or_b32 exec_lo, exec_lo, s18
.LBB339_1011:                           ;   in Loop: Header=BB339_542 Depth=1
	s_or_b32 exec_lo, exec_lo, s17
.LBB339_1012:                           ;   in Loop: Header=BB339_542 Depth=1
	s_or_b32 exec_lo, exec_lo, s16
	v_cmp_ne_u16_sdwa s1, v9, v10 src0_sel:BYTE_1 src1_sel:DWORD
	s_and_saveexec_b32 s16, s1
	s_cbranch_execz .LBB339_1020
; %bb.1013:                             ;   in Loop: Header=BB339_542 Depth=1
	v_cmp_ne_u16_sdwa s1, v9, v36 src0_sel:BYTE_1 src1_sel:DWORD
	v_bfrev_b32_e32 v17, 1
	s_and_saveexec_b32 s17, s1
	s_cbranch_execz .LBB339_1019
; %bb.1014:                             ;   in Loop: Header=BB339_542 Depth=1
	v_and_b32_sdwa v18, v37, v9 dst_sel:DWORD dst_unused:UNUSED_PAD src0_sel:DWORD src1_sel:BYTE_1
	v_mov_b32_e32 v17, 0x7f800001
	s_mov_b32 s18, exec_lo
	v_and_b32_e32 v105, 0x7f, v18
	v_cmpx_ne_u32_e32 0x7f, v105
	s_cbranch_execz .LBB339_1018
; %bb.1015:                             ;   in Loop: Header=BB339_542 Depth=1
	v_and_b32_e32 v17, 7, v18
	v_mov_b32_e32 v18, v10
	v_lshrrev_b32_e32 v104, 3, v105
	s_mov_b32 s19, exec_lo
	v_cmpx_gt_u32_e32 8, v105
; %bb.1016:                             ;   in Loop: Header=BB339_542 Depth=1
	v_ffbh_u32_e32 v104, v17
	v_min_u32_e32 v104, 32, v104
	v_subrev_nc_u32_e32 v105, 28, v104
	v_sub_nc_u32_e32 v104, 29, v104
	v_lshlrev_b64 v[17:18], v105, v[17:18]
	v_and_b32_e32 v17, 7, v17
; %bb.1017:                             ;   in Loop: Header=BB339_542 Depth=1
	s_or_b32 exec_lo, exec_lo, s19
	v_lshlrev_b32_e32 v9, 16, v9
	v_lshlrev_b32_e32 v17, 20, v17
	v_lshl_add_u32 v18, v104, 23, 0x3c000000
	v_and_b32_e32 v9, 0x80000000, v9
	v_or3_b32 v17, v17, v9, v18
.LBB339_1018:                           ;   in Loop: Header=BB339_542 Depth=1
	s_or_b32 exec_lo, exec_lo, s18
.LBB339_1019:                           ;   in Loop: Header=BB339_542 Depth=1
	s_or_b32 exec_lo, exec_lo, s17
.LBB339_1020:                           ;   in Loop: Header=BB339_542 Depth=1
	s_or_b32 exec_lo, exec_lo, s16
	v_and_b32_sdwa v9, v16, v38 dst_sel:DWORD dst_unused:UNUSED_PAD src0_sel:WORD_1 src1_sel:DWORD
	v_mov_b32_e32 v18, 0
	v_mov_b32_e32 v104, 0
	s_mov_b32 s16, exec_lo
	v_cmpx_ne_u16_e32 0, v9
	s_cbranch_execz .LBB339_1028
; %bb.1021:                             ;   in Loop: Header=BB339_542 Depth=1
	v_bfrev_b32_e32 v104, 1
	s_mov_b32 s17, exec_lo
	v_cmpx_ne_u16_e32 0x80, v9
	s_cbranch_execz .LBB339_1027
; %bb.1022:                             ;   in Loop: Header=BB339_542 Depth=1
	v_bfe_u32 v105, v16, 16, 7
	v_mov_b32_e32 v104, 0x7f800001
	s_mov_b32 s18, exec_lo
	v_cmpx_ne_u32_e32 0x7f, v105
	s_cbranch_execz .LBB339_1026
; %bb.1023:                             ;   in Loop: Header=BB339_542 Depth=1
	v_and_b32_sdwa v9, v16, v39 dst_sel:DWORD dst_unused:UNUSED_PAD src0_sel:WORD_1 src1_sel:DWORD
	v_lshrrev_b32_e32 v104, 3, v105
	s_mov_b32 s19, exec_lo
	v_cmpx_gt_u32_e32 8, v105
; %bb.1024:                             ;   in Loop: Header=BB339_542 Depth=1
	v_ffbh_u32_e32 v104, v9
	v_min_u32_e32 v104, 32, v104
	v_subrev_nc_u32_e32 v105, 28, v104
	v_sub_nc_u32_e32 v104, 29, v104
	v_lshlrev_b64 v[105:106], v105, v[9:10]
	v_and_b32_e32 v9, 7, v105
; %bb.1025:                             ;   in Loop: Header=BB339_542 Depth=1
	s_or_b32 exec_lo, exec_lo, s19
	v_lshlrev_b32_sdwa v105, v40, v16 dst_sel:DWORD dst_unused:UNUSED_PAD src0_sel:DWORD src1_sel:WORD_1
	v_lshlrev_b32_e32 v9, 20, v9
	v_lshl_add_u32 v104, v104, 23, 0x3c000000
	v_and_b32_e32 v105, 0x80000000, v105
	v_or3_b32 v104, v9, v105, v104
.LBB339_1026:                           ;   in Loop: Header=BB339_542 Depth=1
	s_or_b32 exec_lo, exec_lo, s18
.LBB339_1027:                           ;   in Loop: Header=BB339_542 Depth=1
	s_or_b32 exec_lo, exec_lo, s17
.LBB339_1028:                           ;   in Loop: Header=BB339_542 Depth=1
	s_or_b32 exec_lo, exec_lo, s16
	s_mov_b32 s16, exec_lo
	v_cmpx_lt_u64_e64 s[2:3], v[15:16]
	s_cbranch_execz .LBB339_1036
; %bb.1029:                             ;   in Loop: Header=BB339_542 Depth=1
	v_cmp_ne_u32_sdwa s1, v16, v36 src0_sel:BYTE_3 src1_sel:DWORD
	v_bfrev_b32_e32 v18, 1
	s_and_saveexec_b32 s17, s1
	s_cbranch_execz .LBB339_1035
; %bb.1030:                             ;   in Loop: Header=BB339_542 Depth=1
	v_bfe_u32 v105, v16, 24, 7
	v_mov_b32_e32 v18, 0x7f800001
	s_mov_b32 s18, exec_lo
	v_cmpx_ne_u32_e32 0x7f, v105
	s_cbranch_execz .LBB339_1034
; %bb.1031:                             ;   in Loop: Header=BB339_542 Depth=1
	v_and_b32_sdwa v9, v16, v39 dst_sel:DWORD dst_unused:UNUSED_PAD src0_sel:BYTE_3 src1_sel:DWORD
	v_lshrrev_b32_e32 v15, 3, v105
	s_mov_b32 s19, exec_lo
	v_cmpx_gt_u32_e32 8, v105
; %bb.1032:                             ;   in Loop: Header=BB339_542 Depth=1
	v_ffbh_u32_e32 v15, v9
	v_min_u32_e32 v15, 32, v15
	v_subrev_nc_u32_e32 v18, 28, v15
	v_sub_nc_u32_e32 v15, 29, v15
	v_lshlrev_b64 v[105:106], v18, v[9:10]
	v_and_b32_e32 v9, 7, v105
; %bb.1033:                             ;   in Loop: Header=BB339_542 Depth=1
	s_or_b32 exec_lo, exec_lo, s19
	v_lshlrev_b32_sdwa v16, v40, v16 dst_sel:DWORD dst_unused:UNUSED_PAD src0_sel:DWORD src1_sel:BYTE_3
	v_lshlrev_b32_e32 v9, 20, v9
	v_lshl_add_u32 v15, v15, 23, 0x3c000000
	v_and_b32_e32 v16, 0x80000000, v16
	v_or3_b32 v18, v9, v16, v15
.LBB339_1034:                           ;   in Loop: Header=BB339_542 Depth=1
	s_or_b32 exec_lo, exec_lo, s18
.LBB339_1035:                           ;   in Loop: Header=BB339_542 Depth=1
	s_or_b32 exec_lo, exec_lo, s17
.LBB339_1036:                           ;   in Loop: Header=BB339_542 Depth=1
	s_or_b32 exec_lo, exec_lo, s16
	v_mul_f32_e32 v9, s13, v17
	v_mul_f32_e32 v15, s13, v103
	;; [unrolled: 1-line block ×5, first 2 shown]
	v_bfe_u32 v0, v9, 16, 1
	v_or_b32_e32 v102, 0x400000, v9
	v_bfe_u32 v103, v15, 16, 1
	v_cmp_u_f32_e64 s1, v9, v9
	v_or_b32_e32 v105, 0x400000, v15
	v_add3_u32 v0, v0, v9, 0x7fff
	v_bfe_u32 v106, v16, 16, 1
	v_add3_u32 v103, v103, v15, 0x7fff
	v_or_b32_e32 v107, 0x400000, v16
	v_bfe_u32 v108, v17, 16, 1
	v_cndmask_b32_e64 v0, v0, v102, s1
	v_cmp_u_f32_e64 s1, v15, v15
	v_add3_u32 v106, v106, v16, 0x7fff
	v_or_b32_e32 v102, 0x400000, v17
	v_mul_f32_e32 v18, s13, v18
	v_lshrrev_b32_e32 v0, 16, v0
	v_cndmask_b32_e64 v9, v103, v105, s1
	v_cmp_u_f32_e64 s1, v16, v16
	v_mul_f32_e32 v16, s13, v95
	v_add3_u32 v95, v108, v17, 0x7fff
	v_lshrrev_b32_e32 v9, 16, v9
	v_cndmask_b32_e64 v15, v106, v107, s1
	v_bfe_u32 v103, v16, 16, 1
	v_cmp_u_f32_e64 s1, v17, v17
	v_or_b32_e32 v107, 0x400000, v18
	v_lshrrev_b32_e32 v15, 16, v15
	v_cndmask_b32_e64 v17, v95, v102, s1
	v_mul_f32_e32 v95, s13, v104
	v_add3_u32 v102, v103, v16, 0x7fff
	v_or_b32_e32 v103, 0x400000, v16
	v_bfe_u32 v104, v20, 16, 1
	v_cmp_u_f32_e64 s1, v16, v16
	v_bfe_u32 v105, v95, 16, 1
	v_or_b32_e32 v106, 0x400000, v95
	v_cndmask_b32_e64 v16, v102, v103, s1
	v_add3_u32 v103, v104, v20, 0x7fff
	v_or_b32_e32 v104, 0x400000, v20
	v_cmp_u_f32_e64 s1, v20, v20
	v_bfe_u32 v102, v18, 16, 1
	v_add3_u32 v105, v105, v95, 0x7fff
	v_lshrrev_b32_e32 v20, 16, v16
	v_cndmask_b32_e64 v103, v103, v104, s1
	v_cmp_u_f32_e64 s1, v95, v95
	v_add3_u32 v102, v102, v18, 0x7fff
	v_lshrrev_b32_e32 v95, 16, v103
	v_cndmask_b32_e64 v104, v105, v106, s1
	v_cmp_u_f32_e64 s1, v18, v18
	v_lshrrev_b32_e32 v18, 16, v17
	v_lshrrev_b32_e32 v17, 16, v104
	v_cndmask_b32_e64 v102, v102, v107, s1
	v_lshrrev_b32_e32 v16, 16, v102
	s_and_saveexec_b32 s1, vcc_lo
	s_cbranch_execz .LBB339_541
; %bb.1037:                             ;   in Loop: Header=BB339_542 Depth=1
	v_cmp_gt_i32_e32 vcc_lo, s11, v50
	v_cndmask_b32_e32 v95, 0, v95, vcc_lo
	v_cmp_gt_i32_e32 vcc_lo, s11, v61
	v_cndmask_b32_e32 v20, 0, v20, vcc_lo
	;; [unrolled: 2-line block ×8, first 2 shown]
	s_branch .LBB339_541
.LBB339_1038:
	s_or_b32 exec_lo, exec_lo, s15
	v_mov_b32_e32 v21, v109
	v_mov_b32_e32 v22, v110
	;; [unrolled: 1-line block ×3, first 2 shown]
.LBB339_1039:
	s_or_b32 exec_lo, exec_lo, s4
	ds_bpermute_b32 v0, v25, v32
	ds_bpermute_b32 v1, v25, v33
	;; [unrolled: 1-line block ×8, first 2 shown]
	v_lshrrev_b32_e32 v8, 1, v24
	v_lshlrev_b32_e32 v10, 9, v89
	v_and_b32_e32 v15, 0x3c1, v21
	s_mov_b32 s1, exec_lo
	s_waitcnt lgkmcnt(0)
	v_lshl_add_u32 v9, v8, 2, 0x120
	s_barrier
	buffer_gl0_inv
	v_add_f32_e32 v7, v32, v0
	v_add_f32_e32 v6, v33, v1
	;; [unrolled: 1-line block ×8, first 2 shown]
	v_cmpx_eq_u32_e32 64, v15
	s_cbranch_execz .LBB339_1041
; %bb.1040:
	v_add_nc_u32_e32 v11, v9, v10
	v_add_nc_u32_e32 v12, 0xfffffc00, v11
	;; [unrolled: 1-line block ×9, first 2 shown]
	ds_write_b32 v12, v7
	ds_write_b32 v13, v6
	;; [unrolled: 1-line block ×8, first 2 shown]
.LBB339_1041:
	s_or_b32 exec_lo, exec_lo, s1
	v_lshlrev_b32_e32 v8, 2, v8
	s_mov_b32 s2, exec_lo
	v_cmp_eq_u32_e32 vcc_lo, 0, v22
	s_waitcnt lgkmcnt(0)
	s_barrier
	v_add3_u32 v8, 0x120, v10, v8
	buffer_gl0_inv
	v_cmpx_gt_u32_e32 64, v21
	s_cbranch_execz .LBB339_1052
; %bb.1042:
	s_and_saveexec_b32 s1, vcc_lo
	s_cbranch_execnz .LBB339_1068
; %bb.1043:
	s_or_b32 exec_lo, exec_lo, s1
	s_and_saveexec_b32 s1, vcc_lo
	s_cbranch_execnz .LBB339_1069
.LBB339_1044:
	s_or_b32 exec_lo, exec_lo, s1
	s_and_saveexec_b32 s1, vcc_lo
	s_cbranch_execnz .LBB339_1070
.LBB339_1045:
	s_or_b32 exec_lo, exec_lo, s1
	s_and_saveexec_b32 s1, vcc_lo
	s_cbranch_execnz .LBB339_1071
.LBB339_1046:
	s_or_b32 exec_lo, exec_lo, s1
	s_and_saveexec_b32 s1, vcc_lo
	s_cbranch_execnz .LBB339_1072
.LBB339_1047:
	s_or_b32 exec_lo, exec_lo, s1
	s_and_saveexec_b32 s1, vcc_lo
	s_cbranch_execnz .LBB339_1073
.LBB339_1048:
	s_or_b32 exec_lo, exec_lo, s1
	s_and_saveexec_b32 s1, vcc_lo
	s_cbranch_execnz .LBB339_1074
.LBB339_1049:
	s_or_b32 exec_lo, exec_lo, s1
	s_and_saveexec_b32 s1, vcc_lo
	s_cbranch_execz .LBB339_1051
.LBB339_1050:
	ds_read_b32 v10, v8 offset:448
	s_waitcnt lgkmcnt(0)
	v_add_f32_e32 v0, v0, v10
.LBB339_1051:
	s_or_b32 exec_lo, exec_lo, s1
.LBB339_1052:
	s_or_b32 exec_lo, exec_lo, s2
	v_and_b32_e32 v10, 0x3e1, v21
	s_mov_b32 s2, exec_lo
	s_barrier
	buffer_gl0_inv
	v_cmpx_eq_u32_e32 32, v10
	s_cbranch_execz .LBB339_1054
; %bb.1053:
	ds_write2_b32 v9, v7, v6 offset1:16
	ds_write2_b32 v9, v5, v4 offset0:32 offset1:48
	ds_write2_b32 v9, v3, v2 offset0:64 offset1:80
	ds_write2_b32 v9, v1, v0 offset0:96 offset1:112
.LBB339_1054:
	s_or_b32 exec_lo, exec_lo, s2
	s_waitcnt lgkmcnt(0)
	s_barrier
	buffer_gl0_inv
	s_and_saveexec_b32 s1, s0
	s_cbranch_execz .LBB339_1065
; %bb.1055:
	s_and_saveexec_b32 s0, vcc_lo
	s_cbranch_execnz .LBB339_1075
; %bb.1056:
	s_or_b32 exec_lo, exec_lo, s0
	s_and_saveexec_b32 s0, vcc_lo
	s_cbranch_execnz .LBB339_1076
.LBB339_1057:
	s_or_b32 exec_lo, exec_lo, s0
	s_and_saveexec_b32 s0, vcc_lo
	s_cbranch_execnz .LBB339_1077
.LBB339_1058:
	s_or_b32 exec_lo, exec_lo, s0
	s_and_saveexec_b32 s0, vcc_lo
	s_cbranch_execnz .LBB339_1078
.LBB339_1059:
	s_or_b32 exec_lo, exec_lo, s0
	s_and_saveexec_b32 s0, vcc_lo
	s_cbranch_execnz .LBB339_1079
.LBB339_1060:
	s_or_b32 exec_lo, exec_lo, s0
	s_and_saveexec_b32 s0, vcc_lo
	s_cbranch_execnz .LBB339_1080
.LBB339_1061:
	s_or_b32 exec_lo, exec_lo, s0
	s_and_saveexec_b32 s0, vcc_lo
	s_cbranch_execnz .LBB339_1081
.LBB339_1062:
	s_or_b32 exec_lo, exec_lo, s0
	s_and_saveexec_b32 s0, vcc_lo
	s_cbranch_execz .LBB339_1064
.LBB339_1063:
	ds_read_b32 v8, v8 offset:448
	s_waitcnt lgkmcnt(0)
	v_add_f32_e32 v0, v0, v8
.LBB339_1064:
	s_or_b32 exec_lo, exec_lo, s0
.LBB339_1065:
	s_or_b32 exec_lo, exec_lo, s1
	s_barrier
	buffer_gl0_inv
	s_mov_b32 s0, exec_lo
	v_cmpx_eq_u32_e32 0, v10
	s_cbranch_execz .LBB339_1067
; %bb.1066:
	buffer_load_dword v8, off, s[36:39], 0 offset:76 ; 4-byte Folded Reload
	s_mul_i32 s0, s10, s7
	s_mul_i32 s2, s7, s6
	;; [unrolled: 1-line block ×3, first 2 shown]
	v_bfe_u32 v9, v7, 16, 1
	s_lshl_b32 s0, s0, 7
	v_or_b32_e32 v10, 0x400000, v7
	s_ashr_i32 s1, s0, 31
	v_bfe_u32 v11, v6, 16, 1
	s_lshl_b64 s[0:1], s[0:1], 1
	v_add3_u32 v9, v9, v7, 0x7fff
	s_add_u32 s4, s20, s0
	s_addc_u32 s5, s21, s1
	s_ashr_i32 s3, s2, 31
	v_cmp_u_f32_e32 vcc_lo, v7, v7
	s_lshl_b64 s[0:1], s[2:3], 1
	s_add_u32 s2, s4, s0
	s_addc_u32 s3, s5, s1
	s_lshl_b32 s0, s8, 7
	v_cndmask_b32_e32 v7, v9, v10, vcc_lo
	s_ashr_i32 s1, s0, 31
	v_bfe_u32 v9, v5, 16, 1
	s_lshl_b64 s[0:1], s[0:1], 1
	v_add3_u32 v10, v11, v6, 0x7fff
	v_or_b32_e32 v11, 0x400000, v6
	v_cmp_u_f32_e32 vcc_lo, v6, v6
	s_add_u32 s0, s2, s0
	s_addc_u32 s1, s3, s1
	v_cndmask_b32_e32 v6, v10, v11, vcc_lo
	v_bfe_u32 v10, v4, 16, 1
	v_cmp_u_f32_e32 vcc_lo, v5, v5
	v_or_b32_e32 v11, 0x400000, v0
	s_waitcnt vmcnt(0)
	v_lshlrev_b32_e32 v8, 1, v8
	global_store_short_d16_hi v8, v7, s[0:1]
	v_add3_u32 v7, v9, v5, 0x7fff
	v_or_b32_e32 v9, 0x400000, v5
	global_store_short_d16_hi v8, v6, s[0:1] offset:32
	v_add3_u32 v6, v10, v4, 0x7fff
	v_or_b32_e32 v10, 0x400000, v1
	v_cndmask_b32_e32 v5, v7, v9, vcc_lo
	v_bfe_u32 v7, v3, 16, 1
	v_or_b32_e32 v9, 0x400000, v4
	v_cmp_u_f32_e32 vcc_lo, v4, v4
	global_store_short_d16_hi v8, v5, s[0:1] offset:64
	v_add3_u32 v5, v7, v3, 0x7fff
	v_or_b32_e32 v7, 0x400000, v3
	v_cndmask_b32_e32 v4, v6, v9, vcc_lo
	v_bfe_u32 v6, v2, 16, 1
	v_cmp_u_f32_e32 vcc_lo, v3, v3
	v_bfe_u32 v9, v1, 16, 1
	v_add3_u32 v6, v6, v2, 0x7fff
	v_cndmask_b32_e32 v3, v5, v7, vcc_lo
	v_or_b32_e32 v7, 0x400000, v2
	v_cmp_u_f32_e32 vcc_lo, v2, v2
	v_bfe_u32 v5, v0, 16, 1
	v_add3_u32 v9, v9, v1, 0x7fff
	v_cndmask_b32_e32 v2, v6, v7, vcc_lo
	v_cmp_u_f32_e32 vcc_lo, v1, v1
	v_add3_u32 v5, v5, v0, 0x7fff
	v_cndmask_b32_e32 v1, v9, v10, vcc_lo
	v_cmp_u_f32_e32 vcc_lo, v0, v0
	v_cndmask_b32_e32 v0, v5, v11, vcc_lo
	global_store_short_d16_hi v8, v4, s[0:1] offset:96
	global_store_short_d16_hi v8, v3, s[0:1] offset:128
	;; [unrolled: 1-line block ×5, first 2 shown]
.LBB339_1067:
	s_endpgm
.LBB339_1068:
	ds_read_b32 v10, v8
	s_waitcnt lgkmcnt(0)
	v_add_f32_e32 v7, v7, v10
	s_or_b32 exec_lo, exec_lo, s1
	s_and_saveexec_b32 s1, vcc_lo
	s_cbranch_execz .LBB339_1044
.LBB339_1069:
	ds_read_b32 v10, v8 offset:64
	s_waitcnt lgkmcnt(0)
	v_add_f32_e32 v6, v6, v10
	s_or_b32 exec_lo, exec_lo, s1
	s_and_saveexec_b32 s1, vcc_lo
	s_cbranch_execz .LBB339_1045
.LBB339_1070:
	ds_read_b32 v10, v8 offset:128
	s_waitcnt lgkmcnt(0)
	v_add_f32_e32 v5, v5, v10
	s_or_b32 exec_lo, exec_lo, s1
	s_and_saveexec_b32 s1, vcc_lo
	s_cbranch_execz .LBB339_1046
.LBB339_1071:
	ds_read_b32 v10, v8 offset:192
	s_waitcnt lgkmcnt(0)
	v_add_f32_e32 v4, v4, v10
	s_or_b32 exec_lo, exec_lo, s1
	s_and_saveexec_b32 s1, vcc_lo
	s_cbranch_execz .LBB339_1047
.LBB339_1072:
	ds_read_b32 v10, v8 offset:256
	s_waitcnt lgkmcnt(0)
	v_add_f32_e32 v3, v3, v10
	s_or_b32 exec_lo, exec_lo, s1
	s_and_saveexec_b32 s1, vcc_lo
	s_cbranch_execz .LBB339_1048
.LBB339_1073:
	ds_read_b32 v10, v8 offset:320
	s_waitcnt lgkmcnt(0)
	v_add_f32_e32 v2, v2, v10
	s_or_b32 exec_lo, exec_lo, s1
	s_and_saveexec_b32 s1, vcc_lo
	s_cbranch_execz .LBB339_1049
.LBB339_1074:
	ds_read_b32 v10, v8 offset:384
	s_waitcnt lgkmcnt(0)
	v_add_f32_e32 v1, v1, v10
	s_or_b32 exec_lo, exec_lo, s1
	s_and_saveexec_b32 s1, vcc_lo
	s_cbranch_execnz .LBB339_1050
	s_branch .LBB339_1051
.LBB339_1075:
	ds_read_b32 v9, v8
	s_waitcnt lgkmcnt(0)
	v_add_f32_e32 v7, v7, v9
	s_or_b32 exec_lo, exec_lo, s0
	s_and_saveexec_b32 s0, vcc_lo
	s_cbranch_execz .LBB339_1057
.LBB339_1076:
	ds_read_b32 v9, v8 offset:64
	s_waitcnt lgkmcnt(0)
	v_add_f32_e32 v6, v6, v9
	s_or_b32 exec_lo, exec_lo, s0
	s_and_saveexec_b32 s0, vcc_lo
	s_cbranch_execz .LBB339_1058
.LBB339_1077:
	ds_read_b32 v9, v8 offset:128
	s_waitcnt lgkmcnt(0)
	v_add_f32_e32 v5, v5, v9
	s_or_b32 exec_lo, exec_lo, s0
	s_and_saveexec_b32 s0, vcc_lo
	s_cbranch_execz .LBB339_1059
.LBB339_1078:
	ds_read_b32 v9, v8 offset:192
	s_waitcnt lgkmcnt(0)
	v_add_f32_e32 v4, v4, v9
	s_or_b32 exec_lo, exec_lo, s0
	s_and_saveexec_b32 s0, vcc_lo
	s_cbranch_execz .LBB339_1060
.LBB339_1079:
	ds_read_b32 v9, v8 offset:256
	s_waitcnt lgkmcnt(0)
	v_add_f32_e32 v3, v3, v9
	s_or_b32 exec_lo, exec_lo, s0
	s_and_saveexec_b32 s0, vcc_lo
	s_cbranch_execz .LBB339_1061
.LBB339_1080:
	ds_read_b32 v9, v8 offset:320
	s_waitcnt lgkmcnt(0)
	v_add_f32_e32 v2, v2, v9
	s_or_b32 exec_lo, exec_lo, s0
	s_and_saveexec_b32 s0, vcc_lo
	s_cbranch_execz .LBB339_1062
.LBB339_1081:
	ds_read_b32 v9, v8 offset:384
	s_waitcnt lgkmcnt(0)
	v_add_f32_e32 v1, v1, v9
	s_or_b32 exec_lo, exec_lo, s0
	s_and_saveexec_b32 s0, vcc_lo
	s_cbranch_execnz .LBB339_1063
	s_branch .LBB339_1064
	.section	.rodata,"a",@progbits
	.p2align	6, 0x0
	.amdhsa_kernel _ZN4vllm25paged_attention_v1_kernelI14__hip_bfloat16hLi128ELi16ELi128ELNS_18Fp8KVCacheDataTypeE1ELb0EEEvPT_PKS3_PKT0_S9_ifPKiSB_iPKfiiiSD_SD_iiiii
		.amdhsa_group_segment_fixed_size 288
		.amdhsa_private_segment_fixed_size 108
		.amdhsa_kernarg_size 384
		.amdhsa_user_sgpr_count 6
		.amdhsa_user_sgpr_private_segment_buffer 1
		.amdhsa_user_sgpr_dispatch_ptr 0
		.amdhsa_user_sgpr_queue_ptr 0
		.amdhsa_user_sgpr_kernarg_segment_ptr 1
		.amdhsa_user_sgpr_dispatch_id 0
		.amdhsa_user_sgpr_flat_scratch_init 0
		.amdhsa_user_sgpr_private_segment_size 0
		.amdhsa_wavefront_size32 1
		.amdhsa_uses_dynamic_stack 0
		.amdhsa_system_sgpr_private_segment_wavefront_offset 1
		.amdhsa_system_sgpr_workgroup_id_x 1
		.amdhsa_system_sgpr_workgroup_id_y 1
		.amdhsa_system_sgpr_workgroup_id_z 1
		.amdhsa_system_sgpr_workgroup_info 0
		.amdhsa_system_vgpr_workitem_id 0
		.amdhsa_next_free_vgpr 128
		.amdhsa_next_free_sgpr 40
		.amdhsa_reserve_vcc 1
		.amdhsa_reserve_flat_scratch 0
		.amdhsa_float_round_mode_32 0
		.amdhsa_float_round_mode_16_64 0
		.amdhsa_float_denorm_mode_32 3
		.amdhsa_float_denorm_mode_16_64 3
		.amdhsa_dx10_clamp 1
		.amdhsa_ieee_mode 1
		.amdhsa_fp16_overflow 0
		.amdhsa_workgroup_processor_mode 1
		.amdhsa_memory_ordered 1
		.amdhsa_forward_progress 1
		.amdhsa_shared_vgpr_count 0
		.amdhsa_exception_fp_ieee_invalid_op 0
		.amdhsa_exception_fp_denorm_src 0
		.amdhsa_exception_fp_ieee_div_zero 0
		.amdhsa_exception_fp_ieee_overflow 0
		.amdhsa_exception_fp_ieee_underflow 0
		.amdhsa_exception_fp_ieee_inexact 0
		.amdhsa_exception_int_div_zero 0
	.end_amdhsa_kernel
	.section	.text._ZN4vllm25paged_attention_v1_kernelI14__hip_bfloat16hLi128ELi16ELi128ELNS_18Fp8KVCacheDataTypeE1ELb0EEEvPT_PKS3_PKT0_S9_ifPKiSB_iPKfiiiSD_SD_iiiii,"axG",@progbits,_ZN4vllm25paged_attention_v1_kernelI14__hip_bfloat16hLi128ELi16ELi128ELNS_18Fp8KVCacheDataTypeE1ELb0EEEvPT_PKS3_PKT0_S9_ifPKiSB_iPKfiiiSD_SD_iiiii,comdat
.Lfunc_end339:
	.size	_ZN4vllm25paged_attention_v1_kernelI14__hip_bfloat16hLi128ELi16ELi128ELNS_18Fp8KVCacheDataTypeE1ELb0EEEvPT_PKS3_PKT0_S9_ifPKiSB_iPKfiiiSD_SD_iiiii, .Lfunc_end339-_ZN4vllm25paged_attention_v1_kernelI14__hip_bfloat16hLi128ELi16ELi128ELNS_18Fp8KVCacheDataTypeE1ELb0EEEvPT_PKS3_PKT0_S9_ifPKiSB_iPKfiiiSD_SD_iiiii
                                        ; -- End function
	.set _ZN4vllm25paged_attention_v1_kernelI14__hip_bfloat16hLi128ELi16ELi128ELNS_18Fp8KVCacheDataTypeE1ELb0EEEvPT_PKS3_PKT0_S9_ifPKiSB_iPKfiiiSD_SD_iiiii.num_vgpr, 128
	.set _ZN4vllm25paged_attention_v1_kernelI14__hip_bfloat16hLi128ELi16ELi128ELNS_18Fp8KVCacheDataTypeE1ELb0EEEvPT_PKS3_PKT0_S9_ifPKiSB_iPKfiiiSD_SD_iiiii.num_agpr, 0
	.set _ZN4vllm25paged_attention_v1_kernelI14__hip_bfloat16hLi128ELi16ELi128ELNS_18Fp8KVCacheDataTypeE1ELb0EEEvPT_PKS3_PKT0_S9_ifPKiSB_iPKfiiiSD_SD_iiiii.numbered_sgpr, 40
	.set _ZN4vllm25paged_attention_v1_kernelI14__hip_bfloat16hLi128ELi16ELi128ELNS_18Fp8KVCacheDataTypeE1ELb0EEEvPT_PKS3_PKT0_S9_ifPKiSB_iPKfiiiSD_SD_iiiii.num_named_barrier, 0
	.set _ZN4vllm25paged_attention_v1_kernelI14__hip_bfloat16hLi128ELi16ELi128ELNS_18Fp8KVCacheDataTypeE1ELb0EEEvPT_PKS3_PKT0_S9_ifPKiSB_iPKfiiiSD_SD_iiiii.private_seg_size, 108
	.set _ZN4vllm25paged_attention_v1_kernelI14__hip_bfloat16hLi128ELi16ELi128ELNS_18Fp8KVCacheDataTypeE1ELb0EEEvPT_PKS3_PKT0_S9_ifPKiSB_iPKfiiiSD_SD_iiiii.uses_vcc, 1
	.set _ZN4vllm25paged_attention_v1_kernelI14__hip_bfloat16hLi128ELi16ELi128ELNS_18Fp8KVCacheDataTypeE1ELb0EEEvPT_PKS3_PKT0_S9_ifPKiSB_iPKfiiiSD_SD_iiiii.uses_flat_scratch, 0
	.set _ZN4vllm25paged_attention_v1_kernelI14__hip_bfloat16hLi128ELi16ELi128ELNS_18Fp8KVCacheDataTypeE1ELb0EEEvPT_PKS3_PKT0_S9_ifPKiSB_iPKfiiiSD_SD_iiiii.has_dyn_sized_stack, 0
	.set _ZN4vllm25paged_attention_v1_kernelI14__hip_bfloat16hLi128ELi16ELi128ELNS_18Fp8KVCacheDataTypeE1ELb0EEEvPT_PKS3_PKT0_S9_ifPKiSB_iPKfiiiSD_SD_iiiii.has_recursion, 0
	.set _ZN4vllm25paged_attention_v1_kernelI14__hip_bfloat16hLi128ELi16ELi128ELNS_18Fp8KVCacheDataTypeE1ELb0EEEvPT_PKS3_PKT0_S9_ifPKiSB_iPKfiiiSD_SD_iiiii.has_indirect_call, 0
	.section	.AMDGPU.csdata,"",@progbits
; Kernel info:
; codeLenInByte = 40020
; TotalNumSgprs: 42
; NumVgprs: 128
; ScratchSize: 108
; MemoryBound: 0
; FloatMode: 240
; IeeeMode: 1
; LDSByteSize: 288 bytes/workgroup (compile time only)
; SGPRBlocks: 0
; VGPRBlocks: 15
; NumSGPRsForWavesPerEU: 42
; NumVGPRsForWavesPerEU: 128
; Occupancy: 8
; WaveLimiterHint : 1
; COMPUTE_PGM_RSRC2:SCRATCH_EN: 1
; COMPUTE_PGM_RSRC2:USER_SGPR: 6
; COMPUTE_PGM_RSRC2:TRAP_HANDLER: 0
; COMPUTE_PGM_RSRC2:TGID_X_EN: 1
; COMPUTE_PGM_RSRC2:TGID_Y_EN: 1
; COMPUTE_PGM_RSRC2:TGID_Z_EN: 1
; COMPUTE_PGM_RSRC2:TIDIG_COMP_CNT: 0
	.text
	.p2align	2                               ; -- Begin function _ZN4vllm22paged_attention_kernelI14__hip_bfloat16hLi192ELi16ELi128ELNS_18Fp8KVCacheDataTypeE1ELb0ELi0EEEvPfS3_PT_PKS4_PKT0_SA_ifPKiSC_iPKfiiiSE_SE_iiiii
	.type	_ZN4vllm22paged_attention_kernelI14__hip_bfloat16hLi192ELi16ELi128ELNS_18Fp8KVCacheDataTypeE1ELb0ELi0EEEvPfS3_PT_PKS4_PKT0_SA_ifPKiSC_iPKfiiiSE_SE_iiiii,@function
_ZN4vllm22paged_attention_kernelI14__hip_bfloat16hLi192ELi16ELi128ELNS_18Fp8KVCacheDataTypeE1ELb0ELi0EEEvPfS3_PT_PKS4_PKT0_SA_ifPKiSC_iPKfiiiSE_SE_iiiii: ; @_ZN4vllm22paged_attention_kernelI14__hip_bfloat16hLi192ELi16ELi128ELNS_18Fp8KVCacheDataTypeE1ELb0ELi0EEEvPfS3_PT_PKS4_PKT0_SA_ifPKiSC_iPKfiiiSE_SE_iiiii
; %bb.0:
	s_waitcnt vmcnt(0) expcnt(0) lgkmcnt(0)
	buffer_store_dword v40, off, s[0:3], s32 offset:188 ; 4-byte Folded Spill
	buffer_store_dword v41, off, s[0:3], s32 offset:184 ; 4-byte Folded Spill
	;; [unrolled: 1-line block ×47, first 2 shown]
	buffer_store_dword v127, off, s[0:3], s32 ; 4-byte Folded Spill
	s_mov_b32 s10, s13
	s_ashr_i32 s11, s13, 31
	buffer_store_dword v18, off, s[0:3], s32 offset:236 ; 4-byte Folded Spill
	buffer_store_dword v9, off, s[0:3], s32 offset:568 ; 4-byte Folded Spill
	s_lshl_b64 s[4:5], s[10:11], 2
	buffer_store_dword v1, off, s[0:3], s32 offset:588 ; 4-byte Folded Spill
	buffer_store_dword v0, off, s[0:3], s32 offset:592 ; 4-byte Folded Spill
	v_add_co_u32 v0, vcc_lo, v12, s4
	v_add_co_ci_u32_e64 v1, null, s5, v13, vcc_lo
	s_clause 0x1
	s_load_dword s4, s[8:9], 0x10
	s_load_dword s5, s[8:9], 0x0
	v_mov_b32_e32 v28, v6
	flat_load_dword v32, v[0:1]
	v_sub_nc_u32_e32 v0, 0, v8
	v_mov_b32_e32 v18, v7
	s_mov_b32 s16, s15
	v_max_i32_e32 v0, v8, v0
	v_cvt_f32_u32_e32 v1, v0
	v_sub_nc_u32_e32 v6, 0, v0
	v_rcp_iflag_f32_e32 v1, v1
	s_waitcnt lgkmcnt(0)
	s_lshr_b32 s4, s4, 16
	s_cmp_lg_u32 s4, 0
	s_cselect_b32 s4, -1, 0
	s_cmp_lg_u32 s4, 0
	s_addc_u32 s11, s5, 0
	v_mul_f32_e32 v1, 0x4f7ffffe, v1
	s_abs_i32 s4, s11
	s_mov_b32 s5, exec_lo
	v_cvt_u32_f32_e32 v1, v1
	v_mul_lo_u32 v6, v6, v1
	v_mul_hi_u32 v6, v1, v6
	v_add_nc_u32_e32 v1, v1, v6
	v_mul_hi_u32 v1, s4, v1
	v_mul_lo_u32 v6, v1, v0
	v_add_nc_u32_e32 v7, 1, v1
	v_sub_nc_u32_e32 v6, s4, v6
	s_abs_i32 s4, s12
	v_sub_nc_u32_e32 v9, v6, v0
	v_cmp_ge_u32_e32 vcc_lo, v6, v0
	v_cndmask_b32_e32 v1, v1, v7, vcc_lo
	v_cndmask_b32_e32 v6, v6, v9, vcc_lo
	v_xor_b32_e32 v7, s11, v8
	v_add_nc_u32_e32 v8, 1, v1
	v_cmp_ge_u32_e32 vcc_lo, v6, v0
	v_ashrrev_i32_e32 v7, 31, v7
	v_cndmask_b32_e32 v0, v1, v8, vcc_lo
	v_xor_b32_e32 v0, v0, v7
	v_sub_nc_u32_e32 v1, v0, v7
	v_sub_nc_u32_e32 v0, 0, v1
	v_max_i32_e32 v0, v1, v0
	v_cvt_f32_u32_e32 v6, v0
	v_sub_nc_u32_e32 v7, 0, v0
	v_rcp_iflag_f32_e32 v6, v6
	v_mul_f32_e32 v6, 0x4f7ffffe, v6
	v_cvt_u32_f32_e32 v6, v6
	v_mul_lo_u32 v7, v7, v6
	v_mul_hi_u32 v7, v6, v7
	v_add_nc_u32_e32 v6, v6, v7
	v_mad_u64_u32 v[12:13], null, s4, v6, 0
	v_mov_b32_e32 v6, 0
	buffer_store_dword v6, off, s[0:3], s32 offset:564 ; 4-byte Folded Spill
	v_cmpx_ne_u64_e32 0, v[15:16]
	s_cbranch_execz .LBB340_2
; %bb.1:
	s_ashr_i32 s13, s12, 31
	s_lshl_b64 s[6:7], s[12:13], 2
	v_add_co_u32 v6, vcc_lo, v15, s6
	v_add_co_ci_u32_e64 v7, null, s7, v16, vcc_lo
	flat_load_dword v6, v[6:7]
	s_waitcnt vmcnt(0) lgkmcnt(0)
	buffer_store_dword v6, off, s[0:3], s32 offset:564 ; 4-byte Folded Spill
.LBB340_2:
	s_or_b32 exec_lo, exec_lo, s5
	v_and_b32_e32 v24, 0x3ff, v31
	v_ashrrev_i32_e32 v1, 31, v1
	v_bfe_u32 v6, v31, 1, 9
	v_and_b32_e32 v25, 1, v31
	s_ashr_i32 s5, s12, 31
	v_lshlrev_b32_e32 v16, 3, v24
	s_mulk_i32 s12, 0xc0
	s_mov_b32 s6, exec_lo
	buffer_store_dword v6, off, s[0:3], s32 offset:572 ; 4-byte Folded Spill
	v_cmpx_gt_u32_e32 48, v24
	s_cbranch_execz .LBB340_4
; %bb.3:
	v_mul_lo_u32 v6, v17, s10
	s_ashr_i32 s13, s12, 31
	s_lshl_b64 s[18:19], s[12:13], 1
	v_ashrrev_i32_e32 v7, 31, v6
	v_lshlrev_b64 v[6:7], 1, v[6:7]
	v_add_co_u32 v2, vcc_lo, v2, v6
	v_add_co_ci_u32_e64 v3, null, v3, v7, vcc_lo
	buffer_load_dword v6, off, s[0:3], s32 offset:572 ; 4-byte Folded Reload
	v_add_co_u32 v2, vcc_lo, v2, s18
	v_add_co_ci_u32_e64 v3, null, s19, v3, vcc_lo
	v_add_co_u32 v2, vcc_lo, v2, v16
	v_add_co_ci_u32_e64 v3, null, 0, v3, vcc_lo
	flat_load_dwordx2 v[2:3], v[2:3]
	s_waitcnt vmcnt(1)
	v_lshlrev_b32_e32 v6, 3, v6
	v_mad_u32_u24 v6, 0xc0, v25, v6
	s_waitcnt vmcnt(0) lgkmcnt(0)
	ds_write_b64 v6, v[2:3]
.LBB340_4:
	s_or_b32 exec_lo, exec_lo, s6
	v_mul_lo_u32 v2, v13, v0
	s_waitcnt vmcnt(0)
	v_add_nc_u32_e32 v3, 15, v32
	v_add_nc_u32_e32 v6, 1, v13
	v_xor_b32_e32 v1, s5, v1
	v_lshrrev_b32_e32 v68, 5, v24
	v_mbcnt_lo_u32_b32 v26, -1, 0
	v_ashrrev_i32_e32 v7, 31, v3
                                        ; implicit-def: $vgpr12
	v_sub_nc_u32_e32 v2, s4, v2
	v_lshrrev_b32_e32 v7, 28, v7
	v_sub_nc_u32_e32 v8, v2, v0
	v_cmp_ge_u32_e32 vcc_lo, v2, v0
	v_add_nc_u32_e32 v3, v3, v7
	v_cndmask_b32_e32 v6, v13, v6, vcc_lo
	v_cndmask_b32_e32 v2, v2, v8, vcc_lo
	v_add_nc_u32_e32 v8, 1, v6
	v_cmp_ge_u32_e32 vcc_lo, v2, v0
	v_mul_lo_u32 v2, v14, s10
	v_cndmask_b32_e32 v0, v6, v8, vcc_lo
	v_ashrrev_i32_e32 v6, 4, v3
	v_ashrrev_i32_e32 v3, 31, v2
	v_xor_b32_e32 v0, v0, v1
	v_cmp_ge_i32_e64 s4, v68, v6
	buffer_store_dword v6, off, s[0:3], s32 offset:192 ; 4-byte Folded Spill
	s_waitcnt lgkmcnt(0)
	s_waitcnt_vscnt null, 0x0
	s_barrier
	v_sub_nc_u32_e32 v1, v0, v1
	buffer_gl0_inv
                                        ; implicit-def: $vgpr0
	s_and_saveexec_b32 s5, s4
	s_xor_b32 s5, exec_lo, s5
; %bb.5:
	v_mov_b32_e32 v0, 0
	v_mbcnt_lo_u32_b32 v26, -1, 0
	v_mov_b32_e32 v12, 32
                                        ; implicit-def: $vgpr4
                                        ; kill: killed $vgpr4
                                        ; implicit-def: $vgpr4
                                        ; kill: killed $vgpr4
                                        ; implicit-def: $vgpr20
                                        ; implicit-def: $vgpr4
                                        ; implicit-def: $vgpr5
; %bb.6:
	s_or_saveexec_b32 s7, s5
	s_clause 0x1
	s_load_dword s15, s[8:9], 0x14
	s_load_dword s13, s[8:9], 0x8
	v_mul_lo_u32 v29, v1, v19
	v_lshlrev_b64 v[53:54], 2, v[2:3]
	v_mov_b32_e32 v6, 0xff7fffff
	v_lshrrev_b32_e32 v17, 3, v24
	buffer_store_dword v24, off, s[0:3], s32 offset:576 ; 4-byte Folded Spill
	buffer_store_dword v25, off, s[0:3], s32 offset:580 ; 4-byte Folded Spill
	;; [unrolled: 1-line block ×3, first 2 shown]
	v_ashrrev_i32_e32 v33, 31, v29
	s_xor_b32 exec_lo, exec_lo, s7
	s_cbranch_execz .LBB340_780
; %bb.7:
	v_mul_u32_u24_e32 v0, 0xc0, v25
	buffer_store_dword v16, off, s[0:3], s32 offset:620 ; 4-byte Folded Spill
	buffer_store_dword v22, off, s[0:3], s32 offset:612 ; 4-byte Folded Spill
	;; [unrolled: 1-line block ×5, first 2 shown]
	v_add_co_u32 v2, vcc_lo, v4, v29
	v_add_co_ci_u32_e64 v3, null, v5, v33, vcc_lo
	ds_read_b128 v[6:9], v0
	ds_read_b128 v[12:15], v0 offset:16
	buffer_store_dword v29, off, s[0:3], s32 offset:636 ; 4-byte Folded Spill
	buffer_store_dword v33, off, s[0:3], s32 offset:640 ; 4-byte Folded Spill
	;; [unrolled: 1-line block ×3, first 2 shown]
	s_getpc_b64 s[8:9]
	s_add_u32 s8, s8, llvm.amdgcn.dynlds.offset.table@rel32@lo+4
	s_addc_u32 s9, s9, llvm.amdgcn.dynlds.offset.table@rel32@hi+12
	s_ashr_i32 s17, s16, 31
	v_mov_b32_e32 v22, v68
	s_lshl_b64 s[20:21], s[16:17], 2
	v_mov_b32_e32 v29, 0xff
	v_mov_b32_e32 v90, 7
	v_mov_b32_e32 v23, 24
	s_add_u32 s8, s8, s20
	s_mov_b32 s18, 0
	s_addc_u32 s9, s9, s21
	s_waitcnt lgkmcnt(0)
	v_lshlrev_b32_e32 v1, 16, v6
	buffer_store_dword v1, off, s[0:3], s32 offset:196 ; 4-byte Folded Spill
	v_and_b32_e32 v1, 0xffff0000, v6
	buffer_store_dword v1, off, s[0:3], s32 offset:200 ; 4-byte Folded Spill
	v_lshlrev_b32_e32 v1, 16, v7
	buffer_store_dword v1, off, s[0:3], s32 offset:204 ; 4-byte Folded Spill
	v_and_b32_e32 v1, 0xffff0000, v7
	buffer_store_dword v1, off, s[0:3], s32 offset:208 ; 4-byte Folded Spill
	;; [unrolled: 4-line block ×3, first 2 shown]
	v_lshlrev_b32_e32 v1, 16, v9
	buffer_store_dword v1, off, s[0:3], s32 offset:220 ; 4-byte Folded Spill
	v_and_b32_e32 v1, 0xffff0000, v9
	ds_read_b128 v[6:9], v0 offset:32
	buffer_store_dword v1, off, s[0:3], s32 offset:224 ; 4-byte Folded Spill
	v_lshlrev_b32_e32 v1, 16, v12
	buffer_store_dword v1, off, s[0:3], s32 offset:228 ; 4-byte Folded Spill
	v_and_b32_e32 v1, 0xffff0000, v12
	buffer_store_dword v1, off, s[0:3], s32 offset:232 ; 4-byte Folded Spill
	v_lshlrev_b32_e32 v1, 16, v13
	buffer_store_dword v1, off, s[0:3], s32 offset:240 ; 4-byte Folded Spill
	v_and_b32_e32 v1, 0xffff0000, v13
	;; [unrolled: 4-line block ×4, first 2 shown]
	v_mov_b32_e32 v15, 0
	buffer_store_dword v1, off, s[0:3], s32 offset:264 ; 4-byte Folded Spill
	s_waitcnt lgkmcnt(0)
	v_lshlrev_b32_e32 v1, 16, v6
	buffer_store_dword v1, off, s[0:3], s32 offset:268 ; 4-byte Folded Spill
	v_and_b32_e32 v1, 0xffff0000, v6
	buffer_store_dword v1, off, s[0:3], s32 offset:272 ; 4-byte Folded Spill
	v_lshlrev_b32_e32 v1, 16, v7
	buffer_store_dword v1, off, s[0:3], s32 offset:276 ; 4-byte Folded Spill
	v_and_b32_e32 v1, 0xffff0000, v7
	buffer_store_dword v1, off, s[0:3], s32 offset:280 ; 4-byte Folded Spill
	v_lshlrev_b32_e32 v1, 16, v8
	buffer_store_dword v1, off, s[0:3], s32 offset:284 ; 4-byte Folded Spill
	v_and_b32_e32 v1, 0xffff0000, v8
	buffer_store_dword v1, off, s[0:3], s32 offset:288 ; 4-byte Folded Spill
	v_lshlrev_b32_e32 v1, 16, v9
	buffer_store_dword v1, off, s[0:3], s32 offset:292 ; 4-byte Folded Spill
	v_and_b32_e32 v1, 0xffff0000, v9
	ds_read_b128 v[6:9], v0 offset:48
	buffer_store_dword v1, off, s[0:3], s32 offset:296 ; 4-byte Folded Spill
	s_waitcnt lgkmcnt(0)
	v_lshlrev_b32_e32 v1, 16, v6
	buffer_store_dword v1, off, s[0:3], s32 offset:300 ; 4-byte Folded Spill
	v_and_b32_e32 v1, 0xffff0000, v6
	buffer_store_dword v1, off, s[0:3], s32 offset:304 ; 4-byte Folded Spill
	v_lshlrev_b32_e32 v1, 16, v7
	buffer_store_dword v1, off, s[0:3], s32 offset:308 ; 4-byte Folded Spill
	v_and_b32_e32 v1, 0xffff0000, v7
	buffer_store_dword v1, off, s[0:3], s32 offset:312 ; 4-byte Folded Spill
	v_lshlrev_b32_e32 v1, 16, v8
	buffer_store_dword v1, off, s[0:3], s32 offset:316 ; 4-byte Folded Spill
	v_and_b32_e32 v1, 0xffff0000, v8
	buffer_store_dword v1, off, s[0:3], s32 offset:320 ; 4-byte Folded Spill
	v_lshlrev_b32_e32 v1, 16, v9
	buffer_store_dword v1, off, s[0:3], s32 offset:324 ; 4-byte Folded Spill
	v_and_b32_e32 v1, 0xffff0000, v9
	ds_read_b128 v[6:9], v0 offset:64
	;; [unrolled: 18-line block ×9, first 2 shown]
	buffer_store_dword v1, off, s[0:3], s32 offset:552 ; 4-byte Folded Spill
	s_waitcnt lgkmcnt(0)
	v_lshlrev_b32_e32 v0, 16, v6
	v_lshlrev_b32_e32 v31, 16, v8
	v_and_b32_e32 v30, 0xffff0000, v8
	v_lshlrev_b32_e32 v8, 2, v25
	v_lshlrev_b32_e32 v1, 16, v7
	buffer_store_dword v0, off, s[0:3], s32 offset:556 ; 4-byte Folded Spill
	v_and_b32_e32 v0, 0xffff0000, v6
	v_bfe_u32 v6, v24, 1, 4
	v_lshlrev_b32_e32 v19, 16, v9
	buffer_store_dword v0, off, s[0:3], s32 offset:560 ; 4-byte Folded Spill
	v_lshlrev_b32_e32 v4, 4, v6
	v_and_b32_e32 v0, 0xffff0000, v7
	v_and_b32_e32 v7, 0xffff0000, v9
	v_add_co_u32 v4, vcc_lo, v2, v4
	v_and_b32_e32 v2, 0x7c, v17
	v_add_co_ci_u32_e64 v5, null, 0, v3, vcc_lo
	v_add_co_u32 v2, vcc_lo, v2, v53
	buffer_store_dword v53, off, s[0:3], s32 offset:624 ; 4-byte Folded Spill
	buffer_store_dword v54, off, s[0:3], s32 offset:628 ; 4-byte Folded Spill
	buffer_store_dword v11, off, s[0:3], s32 offset:596 ; 4-byte Folded Spill
	buffer_store_dword v10, off, s[0:3], s32 offset:600 ; 4-byte Folded Spill
	v_mov_b32_e32 v53, 0xffff
	buffer_store_dword v26, off, s[0:3], s32 offset:644 ; 4-byte Folded Spill
	v_add_co_ci_u32_e64 v3, null, 0, v54, vcc_lo
	v_add_co_u32 v12, vcc_lo, v10, v2
	v_xor_b32_e32 v2, 1, v26
	v_add_co_ci_u32_e64 v13, null, v11, v3, vcc_lo
	v_lshl_or_b32 v10, v68, 4, v6
	v_mov_b32_e32 v3, 0x80
	v_cmp_gt_i32_e32 vcc_lo, 32, v2
	v_cndmask_b32_e32 v2, v26, v2, vcc_lo
	v_cmp_eq_u32_e32 vcc_lo, 0, v25
	v_lshlrev_b32_e32 v11, 2, v2
	buffer_load_dword v2, off, s[0:3], s32 offset:564 ; 4-byte Folded Reload
	s_waitcnt vmcnt(0)
	v_cmp_neq_f32_e64 s5, 0, v2
	v_lshlrev_b32_e32 v2, 2, v6
	v_mov_b32_e32 v6, 0xff7fffff
	v_lshl_or_b32 v54, v68, 6, v2
	v_or_b32_e32 v2, 8, v8
	s_branch .LBB340_9
.LBB340_8:                              ;   in Loop: Header=BB340_9 Depth=1
	s_or_b32 exec_lo, exec_lo, s17
	buffer_load_dword v9, off, s[0:3], s32 offset:192 ; 4-byte Folded Reload
	v_add_nc_u32_e32 v22, 4, v22
	v_add_co_u32 v12, s6, v12, 16
	v_add_co_ci_u32_e64 v13, null, 0, v13, s6
	v_add_nc_u32_e32 v10, 64, v10
	v_add_nc_u32_e32 v54, 0x100, v54
	s_waitcnt vmcnt(0)
	v_cmp_ge_i32_e64 s6, v22, v9
	s_or_b32 s18, s6, s18
	s_andn2_b32 exec_lo, exec_lo, s18
	s_cbranch_execz .LBB340_779
.LBB340_9:                              ; =>This Inner Loop Header: Depth=1
	flat_load_dword v9, v[12:13]
	s_waitcnt lgkmcnt(1)
	buffer_load_dword v14, off, s[0:3], s32 offset:236 ; 4-byte Folded Reload
	s_waitcnt vmcnt(0) lgkmcnt(0)
	v_mad_i64_i32 v[16:17], null, v9, v14, v[4:5]
	v_mov_b32_e32 v9, 0
	v_add_co_u32 v24, s6, v16, v8
	v_add_co_ci_u32_e64 v25, null, 0, v17, s6
	flat_load_dword v33, v[24:25]
	flat_load_dword v35, v[20:21]
	s_waitcnt vmcnt(1) lgkmcnt(1)
	v_cmp_ne_u16_sdwa s6, v33, v15 src0_sel:BYTE_0 src1_sel:DWORD
	s_and_saveexec_b32 s17, s6
	s_cbranch_execz .LBB340_17
; %bb.10:                               ;   in Loop: Header=BB340_9 Depth=1
	v_cmp_ne_u16_sdwa s6, v33, v3 src0_sel:BYTE_0 src1_sel:DWORD
	v_bfrev_b32_e32 v9, 1
	s_and_saveexec_b32 s19, s6
	s_cbranch_execz .LBB340_16
; %bb.11:                               ;   in Loop: Header=BB340_9 Depth=1
	v_and_b32_e32 v18, 0x7f, v33
	v_mov_b32_e32 v9, 0x7f800001
	s_mov_b32 s20, exec_lo
	v_cmpx_ne_u32_e32 0x7f, v18
	s_cbranch_execz .LBB340_15
; %bb.12:                               ;   in Loop: Header=BB340_9 Depth=1
	v_and_b32_e32 v14, 7, v33
	v_mov_b32_e32 v27, v15
	v_lshrrev_b32_e32 v9, 3, v18
	s_mov_b32 s21, exec_lo
	v_mov_b32_e32 v26, v14
	v_cmpx_gt_u32_e32 8, v18
; %bb.13:                               ;   in Loop: Header=BB340_9 Depth=1
	v_ffbh_u32_e32 v9, v14
	v_min_u32_e32 v9, 32, v9
	v_subrev_nc_u32_e32 v18, 28, v9
	v_sub_nc_u32_e32 v9, 29, v9
	v_lshlrev_b64 v[26:27], v18, v[14:15]
	v_and_b32_e32 v26, 7, v26
; %bb.14:                               ;   in Loop: Header=BB340_9 Depth=1
	s_or_b32 exec_lo, exec_lo, s21
	v_lshlrev_b32_e32 v14, 24, v33
	v_lshlrev_b32_e32 v18, 20, v26
	v_lshl_add_u32 v9, v9, 23, 0x3c000000
	v_and_b32_e32 v14, 0x80000000, v14
	v_or3_b32 v9, v18, v14, v9
.LBB340_15:                             ;   in Loop: Header=BB340_9 Depth=1
	s_or_b32 exec_lo, exec_lo, s20
.LBB340_16:                             ;   in Loop: Header=BB340_9 Depth=1
	s_or_b32 exec_lo, exec_lo, s19
.LBB340_17:                             ;   in Loop: Header=BB340_9 Depth=1
	s_or_b32 exec_lo, exec_lo, s17
	v_cmp_ne_u16_sdwa s6, v33, v15 src0_sel:BYTE_1 src1_sel:DWORD
	v_mov_b32_e32 v34, 0
	s_and_saveexec_b32 s17, s6
	s_cbranch_execz .LBB340_25
; %bb.18:                               ;   in Loop: Header=BB340_9 Depth=1
	v_cmp_ne_u16_sdwa s6, v33, v3 src0_sel:BYTE_1 src1_sel:DWORD
	v_bfrev_b32_e32 v34, 1
	s_and_saveexec_b32 s19, s6
	s_cbranch_execz .LBB340_24
; %bb.19:                               ;   in Loop: Header=BB340_9 Depth=1
	v_and_b32_sdwa v14, v53, v33 dst_sel:DWORD dst_unused:UNUSED_PAD src0_sel:DWORD src1_sel:BYTE_1
	v_mov_b32_e32 v34, 0x7f800001
	s_mov_b32 s20, exec_lo
	v_and_b32_e32 v26, 0x7f, v14
	v_cmpx_ne_u32_e32 0x7f, v26
	s_cbranch_execz .LBB340_23
; %bb.20:                               ;   in Loop: Header=BB340_9 Depth=1
	v_and_b32_e32 v14, 7, v14
	v_lshrrev_b32_e32 v18, 3, v26
	v_cmp_gt_u32_e64 s6, 8, v26
	v_mov_b32_e32 v27, v15
	v_mov_b32_e32 v26, v14
	s_and_saveexec_b32 s21, s6
; %bb.21:                               ;   in Loop: Header=BB340_9 Depth=1
	v_ffbh_u32_e32 v18, v14
	v_min_u32_e32 v18, 32, v18
	v_subrev_nc_u32_e32 v26, 28, v18
	v_sub_nc_u32_e32 v18, 29, v18
	v_lshlrev_b64 v[26:27], v26, v[14:15]
	v_and_b32_e32 v26, 7, v26
; %bb.22:                               ;   in Loop: Header=BB340_9 Depth=1
	s_or_b32 exec_lo, exec_lo, s21
	v_lshlrev_b32_e32 v14, 16, v33
	v_lshlrev_b32_e32 v26, 20, v26
	v_lshl_add_u32 v18, v18, 23, 0x3c000000
	v_and_b32_e32 v14, 0x80000000, v14
	v_or3_b32 v34, v26, v14, v18
.LBB340_23:                             ;   in Loop: Header=BB340_9 Depth=1
	s_or_b32 exec_lo, exec_lo, s20
.LBB340_24:                             ;   in Loop: Header=BB340_9 Depth=1
	s_or_b32 exec_lo, exec_lo, s19
.LBB340_25:                             ;   in Loop: Header=BB340_9 Depth=1
	s_or_b32 exec_lo, exec_lo, s17
	v_and_b32_sdwa v14, v33, v29 dst_sel:DWORD dst_unused:UNUSED_PAD src0_sel:WORD_1 src1_sel:DWORD
	v_mov_b32_e32 v18, 0
	v_mov_b32_e32 v36, 0
	s_mov_b32 s17, exec_lo
	v_cmpx_ne_u16_e32 0, v14
	s_cbranch_execz .LBB340_33
; %bb.26:                               ;   in Loop: Header=BB340_9 Depth=1
	v_bfrev_b32_e32 v36, 1
	s_mov_b32 s19, exec_lo
	v_cmpx_ne_u16_e32 0x80, v14
	s_cbranch_execz .LBB340_32
; %bb.27:                               ;   in Loop: Header=BB340_9 Depth=1
	v_bfe_u32 v26, v33, 16, 7
	v_mov_b32_e32 v36, 0x7f800001
	s_mov_b32 s20, exec_lo
	v_cmpx_ne_u32_e32 0x7f, v26
	s_cbranch_execz .LBB340_31
; %bb.28:                               ;   in Loop: Header=BB340_9 Depth=1
	v_and_b32_sdwa v14, v33, v90 dst_sel:DWORD dst_unused:UNUSED_PAD src0_sel:WORD_1 src1_sel:DWORD
	v_lshrrev_b32_e32 v36, 3, v26
	v_cmp_gt_u32_e64 s6, 8, v26
	v_mov_b32_e32 v27, v15
	v_mov_b32_e32 v26, v14
	s_and_saveexec_b32 s21, s6
; %bb.29:                               ;   in Loop: Header=BB340_9 Depth=1
	v_ffbh_u32_e32 v26, v14
	v_min_u32_e32 v28, 32, v26
	v_subrev_nc_u32_e32 v26, 28, v28
	v_sub_nc_u32_e32 v36, 29, v28
	v_lshlrev_b64 v[26:27], v26, v[14:15]
	v_and_b32_e32 v26, 7, v26
; %bb.30:                               ;   in Loop: Header=BB340_9 Depth=1
	s_or_b32 exec_lo, exec_lo, s21
	v_lshlrev_b32_sdwa v14, v23, v33 dst_sel:DWORD dst_unused:UNUSED_PAD src0_sel:DWORD src1_sel:WORD_1
	v_lshlrev_b32_e32 v26, 20, v26
	v_lshl_add_u32 v27, v36, 23, 0x3c000000
	v_and_b32_e32 v14, 0x80000000, v14
	v_or3_b32 v36, v26, v14, v27
.LBB340_31:                             ;   in Loop: Header=BB340_9 Depth=1
	s_or_b32 exec_lo, exec_lo, s20
.LBB340_32:                             ;   in Loop: Header=BB340_9 Depth=1
	s_or_b32 exec_lo, exec_lo, s19
.LBB340_33:                             ;   in Loop: Header=BB340_9 Depth=1
	s_or_b32 exec_lo, exec_lo, s17
	s_mov_b32 s17, exec_lo
	v_cmpx_lt_u32_e32 0xffffff, v33
	s_cbranch_execz .LBB340_41
; %bb.34:                               ;   in Loop: Header=BB340_9 Depth=1
	v_cmp_ne_u32_sdwa s6, v33, v3 src0_sel:BYTE_3 src1_sel:DWORD
	v_bfrev_b32_e32 v18, 1
	s_and_saveexec_b32 s19, s6
	s_cbranch_execz .LBB340_40
; %bb.35:                               ;   in Loop: Header=BB340_9 Depth=1
	v_bfe_u32 v26, v33, 24, 7
	v_mov_b32_e32 v18, 0x7f800001
	s_mov_b32 s20, exec_lo
	v_cmpx_ne_u32_e32 0x7f, v26
	s_cbranch_execz .LBB340_39
; %bb.36:                               ;   in Loop: Header=BB340_9 Depth=1
	v_and_b32_sdwa v14, v33, v90 dst_sel:DWORD dst_unused:UNUSED_PAD src0_sel:BYTE_3 src1_sel:DWORD
	v_lshrrev_b32_e32 v18, 3, v26
	v_cmp_gt_u32_e64 s6, 8, v26
	v_mov_b32_e32 v27, v15
	v_mov_b32_e32 v26, v14
	s_and_saveexec_b32 s21, s6
; %bb.37:                               ;   in Loop: Header=BB340_9 Depth=1
	v_ffbh_u32_e32 v18, v14
	v_min_u32_e32 v18, 32, v18
	v_subrev_nc_u32_e32 v26, 28, v18
	v_sub_nc_u32_e32 v18, 29, v18
	v_lshlrev_b64 v[26:27], v26, v[14:15]
	v_and_b32_e32 v26, 7, v26
; %bb.38:                               ;   in Loop: Header=BB340_9 Depth=1
	s_or_b32 exec_lo, exec_lo, s21
	v_lshlrev_b32_sdwa v14, v23, v33 dst_sel:DWORD dst_unused:UNUSED_PAD src0_sel:DWORD src1_sel:BYTE_3
	v_lshlrev_b32_e32 v26, 20, v26
	v_lshl_add_u32 v18, v18, 23, 0x3c000000
	v_and_b32_e32 v14, 0x80000000, v14
	v_or3_b32 v18, v26, v14, v18
.LBB340_39:                             ;   in Loop: Header=BB340_9 Depth=1
	s_or_b32 exec_lo, exec_lo, s20
.LBB340_40:                             ;   in Loop: Header=BB340_9 Depth=1
	s_or_b32 exec_lo, exec_lo, s19
.LBB340_41:                             ;   in Loop: Header=BB340_9 Depth=1
	s_or_b32 exec_lo, exec_lo, s17
	flat_load_dword v33, v[24:25] offset:8
	v_mov_b32_e32 v38, 0
	v_mov_b32_e32 v37, 0
	s_waitcnt vmcnt(0) lgkmcnt(0)
	v_cmp_ne_u16_sdwa s6, v33, v15 src0_sel:BYTE_0 src1_sel:DWORD
	s_and_saveexec_b32 s17, s6
	s_cbranch_execz .LBB340_49
; %bb.42:                               ;   in Loop: Header=BB340_9 Depth=1
	v_cmp_ne_u16_sdwa s6, v33, v3 src0_sel:BYTE_0 src1_sel:DWORD
	v_bfrev_b32_e32 v37, 1
	s_and_saveexec_b32 s19, s6
	s_cbranch_execz .LBB340_48
; %bb.43:                               ;   in Loop: Header=BB340_9 Depth=1
	v_and_b32_e32 v26, 0x7f, v33
	v_mov_b32_e32 v37, 0x7f800001
	s_mov_b32 s20, exec_lo
	v_cmpx_ne_u32_e32 0x7f, v26
	s_cbranch_execz .LBB340_47
; %bb.44:                               ;   in Loop: Header=BB340_9 Depth=1
	v_and_b32_e32 v14, 7, v33
	v_lshrrev_b32_e32 v37, 3, v26
	v_cmp_gt_u32_e64 s6, 8, v26
	v_mov_b32_e32 v27, v15
	v_mov_b32_e32 v26, v14
	s_and_saveexec_b32 s21, s6
; %bb.45:                               ;   in Loop: Header=BB340_9 Depth=1
	v_ffbh_u32_e32 v26, v14
	v_min_u32_e32 v28, 32, v26
	v_subrev_nc_u32_e32 v26, 28, v28
	v_sub_nc_u32_e32 v37, 29, v28
	v_lshlrev_b64 v[26:27], v26, v[14:15]
	v_and_b32_e32 v26, 7, v26
; %bb.46:                               ;   in Loop: Header=BB340_9 Depth=1
	s_or_b32 exec_lo, exec_lo, s21
	v_lshlrev_b32_e32 v14, 24, v33
	v_lshlrev_b32_e32 v26, 20, v26
	v_lshl_add_u32 v27, v37, 23, 0x3c000000
	v_and_b32_e32 v14, 0x80000000, v14
	v_or3_b32 v37, v26, v14, v27
.LBB340_47:                             ;   in Loop: Header=BB340_9 Depth=1
	s_or_b32 exec_lo, exec_lo, s20
.LBB340_48:                             ;   in Loop: Header=BB340_9 Depth=1
	s_or_b32 exec_lo, exec_lo, s19
.LBB340_49:                             ;   in Loop: Header=BB340_9 Depth=1
	s_or_b32 exec_lo, exec_lo, s17
	v_cmp_ne_u16_sdwa s6, v33, v15 src0_sel:BYTE_1 src1_sel:DWORD
	s_and_saveexec_b32 s17, s6
	s_cbranch_execz .LBB340_57
; %bb.50:                               ;   in Loop: Header=BB340_9 Depth=1
	v_cmp_ne_u16_sdwa s6, v33, v3 src0_sel:BYTE_1 src1_sel:DWORD
	v_bfrev_b32_e32 v38, 1
	s_and_saveexec_b32 s19, s6
	s_cbranch_execz .LBB340_56
; %bb.51:                               ;   in Loop: Header=BB340_9 Depth=1
	v_and_b32_sdwa v14, v53, v33 dst_sel:DWORD dst_unused:UNUSED_PAD src0_sel:DWORD src1_sel:BYTE_1
	v_mov_b32_e32 v38, 0x7f800001
	s_mov_b32 s20, exec_lo
	v_and_b32_e32 v26, 0x7f, v14
	v_cmpx_ne_u32_e32 0x7f, v26
	s_cbranch_execz .LBB340_55
; %bb.52:                               ;   in Loop: Header=BB340_9 Depth=1
	v_and_b32_e32 v14, 7, v14
	v_lshrrev_b32_e32 v38, 3, v26
	v_cmp_gt_u32_e64 s6, 8, v26
	v_mov_b32_e32 v27, v15
	v_mov_b32_e32 v26, v14
	s_and_saveexec_b32 s21, s6
; %bb.53:                               ;   in Loop: Header=BB340_9 Depth=1
	v_ffbh_u32_e32 v26, v14
	v_min_u32_e32 v28, 32, v26
	v_subrev_nc_u32_e32 v26, 28, v28
	v_sub_nc_u32_e32 v38, 29, v28
	v_lshlrev_b64 v[26:27], v26, v[14:15]
	v_and_b32_e32 v26, 7, v26
; %bb.54:                               ;   in Loop: Header=BB340_9 Depth=1
	s_or_b32 exec_lo, exec_lo, s21
	v_lshlrev_b32_e32 v14, 16, v33
	v_lshlrev_b32_e32 v26, 20, v26
	v_lshl_add_u32 v27, v38, 23, 0x3c000000
	v_and_b32_e32 v14, 0x80000000, v14
	v_or3_b32 v38, v26, v14, v27
.LBB340_55:                             ;   in Loop: Header=BB340_9 Depth=1
	s_or_b32 exec_lo, exec_lo, s20
.LBB340_56:                             ;   in Loop: Header=BB340_9 Depth=1
	s_or_b32 exec_lo, exec_lo, s19
.LBB340_57:                             ;   in Loop: Header=BB340_9 Depth=1
	s_or_b32 exec_lo, exec_lo, s17
	v_and_b32_sdwa v14, v33, v29 dst_sel:DWORD dst_unused:UNUSED_PAD src0_sel:WORD_1 src1_sel:DWORD
	v_mov_b32_e32 v39, 0
	v_mov_b32_e32 v48, 0
	s_mov_b32 s17, exec_lo
	v_cmpx_ne_u16_e32 0, v14
	s_cbranch_execz .LBB340_65
; %bb.58:                               ;   in Loop: Header=BB340_9 Depth=1
	v_bfrev_b32_e32 v48, 1
	s_mov_b32 s19, exec_lo
	v_cmpx_ne_u16_e32 0x80, v14
	s_cbranch_execz .LBB340_64
; %bb.59:                               ;   in Loop: Header=BB340_9 Depth=1
	v_bfe_u32 v26, v33, 16, 7
	v_mov_b32_e32 v48, 0x7f800001
	s_mov_b32 s20, exec_lo
	v_cmpx_ne_u32_e32 0x7f, v26
	s_cbranch_execz .LBB340_63
; %bb.60:                               ;   in Loop: Header=BB340_9 Depth=1
	v_and_b32_sdwa v14, v33, v90 dst_sel:DWORD dst_unused:UNUSED_PAD src0_sel:WORD_1 src1_sel:DWORD
	v_lshrrev_b32_e32 v48, 3, v26
	v_cmp_gt_u32_e64 s6, 8, v26
	v_mov_b32_e32 v27, v15
	v_mov_b32_e32 v26, v14
	s_and_saveexec_b32 s21, s6
; %bb.61:                               ;   in Loop: Header=BB340_9 Depth=1
	v_ffbh_u32_e32 v26, v14
	v_min_u32_e32 v28, 32, v26
	v_subrev_nc_u32_e32 v26, 28, v28
	v_sub_nc_u32_e32 v48, 29, v28
	v_lshlrev_b64 v[26:27], v26, v[14:15]
	v_and_b32_e32 v26, 7, v26
; %bb.62:                               ;   in Loop: Header=BB340_9 Depth=1
	s_or_b32 exec_lo, exec_lo, s21
	v_lshlrev_b32_sdwa v14, v23, v33 dst_sel:DWORD dst_unused:UNUSED_PAD src0_sel:DWORD src1_sel:WORD_1
	v_lshlrev_b32_e32 v26, 20, v26
	v_lshl_add_u32 v27, v48, 23, 0x3c000000
	v_and_b32_e32 v14, 0x80000000, v14
	v_or3_b32 v48, v26, v14, v27
.LBB340_63:                             ;   in Loop: Header=BB340_9 Depth=1
	s_or_b32 exec_lo, exec_lo, s20
.LBB340_64:                             ;   in Loop: Header=BB340_9 Depth=1
	s_or_b32 exec_lo, exec_lo, s19
.LBB340_65:                             ;   in Loop: Header=BB340_9 Depth=1
	s_or_b32 exec_lo, exec_lo, s17
	s_mov_b32 s17, exec_lo
	v_cmpx_lt_u32_e32 0xffffff, v33
	s_cbranch_execz .LBB340_73
; %bb.66:                               ;   in Loop: Header=BB340_9 Depth=1
	v_cmp_ne_u32_sdwa s6, v33, v3 src0_sel:BYTE_3 src1_sel:DWORD
	v_bfrev_b32_e32 v39, 1
	s_and_saveexec_b32 s19, s6
	s_cbranch_execz .LBB340_72
; %bb.67:                               ;   in Loop: Header=BB340_9 Depth=1
	v_bfe_u32 v26, v33, 24, 7
	v_mov_b32_e32 v39, 0x7f800001
	s_mov_b32 s20, exec_lo
	v_cmpx_ne_u32_e32 0x7f, v26
	s_cbranch_execz .LBB340_71
; %bb.68:                               ;   in Loop: Header=BB340_9 Depth=1
	v_and_b32_sdwa v14, v33, v90 dst_sel:DWORD dst_unused:UNUSED_PAD src0_sel:BYTE_3 src1_sel:DWORD
	v_lshrrev_b32_e32 v39, 3, v26
	v_cmp_gt_u32_e64 s6, 8, v26
	v_mov_b32_e32 v27, v15
	v_mov_b32_e32 v26, v14
	s_and_saveexec_b32 s21, s6
; %bb.69:                               ;   in Loop: Header=BB340_9 Depth=1
	v_ffbh_u32_e32 v26, v14
	v_min_u32_e32 v28, 32, v26
	v_subrev_nc_u32_e32 v26, 28, v28
	v_sub_nc_u32_e32 v39, 29, v28
	v_lshlrev_b64 v[26:27], v26, v[14:15]
	v_and_b32_e32 v26, 7, v26
; %bb.70:                               ;   in Loop: Header=BB340_9 Depth=1
	s_or_b32 exec_lo, exec_lo, s21
	v_lshlrev_b32_sdwa v14, v23, v33 dst_sel:DWORD dst_unused:UNUSED_PAD src0_sel:DWORD src1_sel:BYTE_3
	v_lshlrev_b32_e32 v26, 20, v26
	v_lshl_add_u32 v27, v39, 23, 0x3c000000
	v_and_b32_e32 v14, 0x80000000, v14
	v_or3_b32 v39, v26, v14, v27
.LBB340_71:                             ;   in Loop: Header=BB340_9 Depth=1
	s_or_b32 exec_lo, exec_lo, s20
.LBB340_72:                             ;   in Loop: Header=BB340_9 Depth=1
	s_or_b32 exec_lo, exec_lo, s19
.LBB340_73:                             ;   in Loop: Header=BB340_9 Depth=1
	s_or_b32 exec_lo, exec_lo, s17
	flat_load_dword v33, v[24:25] offset:256
	v_mov_b32_e32 v50, 0
	v_mov_b32_e32 v49, 0
	s_waitcnt vmcnt(0) lgkmcnt(0)
	v_cmp_ne_u16_sdwa s6, v33, v15 src0_sel:BYTE_0 src1_sel:DWORD
	s_and_saveexec_b32 s17, s6
	s_cbranch_execz .LBB340_81
; %bb.74:                               ;   in Loop: Header=BB340_9 Depth=1
	v_cmp_ne_u16_sdwa s6, v33, v3 src0_sel:BYTE_0 src1_sel:DWORD
	v_bfrev_b32_e32 v49, 1
	s_and_saveexec_b32 s19, s6
	s_cbranch_execz .LBB340_80
; %bb.75:                               ;   in Loop: Header=BB340_9 Depth=1
	v_and_b32_e32 v26, 0x7f, v33
	v_mov_b32_e32 v49, 0x7f800001
	s_mov_b32 s20, exec_lo
	v_cmpx_ne_u32_e32 0x7f, v26
	s_cbranch_execz .LBB340_79
; %bb.76:                               ;   in Loop: Header=BB340_9 Depth=1
	v_and_b32_e32 v14, 7, v33
	v_lshrrev_b32_e32 v49, 3, v26
	v_cmp_gt_u32_e64 s6, 8, v26
	v_mov_b32_e32 v27, v15
	v_mov_b32_e32 v26, v14
	s_and_saveexec_b32 s21, s6
; %bb.77:                               ;   in Loop: Header=BB340_9 Depth=1
	v_ffbh_u32_e32 v26, v14
	v_min_u32_e32 v28, 32, v26
	v_subrev_nc_u32_e32 v26, 28, v28
	v_sub_nc_u32_e32 v49, 29, v28
	v_lshlrev_b64 v[26:27], v26, v[14:15]
	v_and_b32_e32 v26, 7, v26
; %bb.78:                               ;   in Loop: Header=BB340_9 Depth=1
	s_or_b32 exec_lo, exec_lo, s21
	v_lshlrev_b32_e32 v14, 24, v33
	v_lshlrev_b32_e32 v26, 20, v26
	v_lshl_add_u32 v27, v49, 23, 0x3c000000
	v_and_b32_e32 v14, 0x80000000, v14
	v_or3_b32 v49, v26, v14, v27
.LBB340_79:                             ;   in Loop: Header=BB340_9 Depth=1
	s_or_b32 exec_lo, exec_lo, s20
.LBB340_80:                             ;   in Loop: Header=BB340_9 Depth=1
	s_or_b32 exec_lo, exec_lo, s19
.LBB340_81:                             ;   in Loop: Header=BB340_9 Depth=1
	s_or_b32 exec_lo, exec_lo, s17
	v_cmp_ne_u16_sdwa s6, v33, v15 src0_sel:BYTE_1 src1_sel:DWORD
	s_and_saveexec_b32 s17, s6
	s_cbranch_execz .LBB340_89
; %bb.82:                               ;   in Loop: Header=BB340_9 Depth=1
	v_cmp_ne_u16_sdwa s6, v33, v3 src0_sel:BYTE_1 src1_sel:DWORD
	v_bfrev_b32_e32 v50, 1
	s_and_saveexec_b32 s19, s6
	s_cbranch_execz .LBB340_88
; %bb.83:                               ;   in Loop: Header=BB340_9 Depth=1
	v_and_b32_sdwa v14, v53, v33 dst_sel:DWORD dst_unused:UNUSED_PAD src0_sel:DWORD src1_sel:BYTE_1
	v_mov_b32_e32 v50, 0x7f800001
	s_mov_b32 s20, exec_lo
	v_and_b32_e32 v26, 0x7f, v14
	v_cmpx_ne_u32_e32 0x7f, v26
	s_cbranch_execz .LBB340_87
; %bb.84:                               ;   in Loop: Header=BB340_9 Depth=1
	v_and_b32_e32 v14, 7, v14
	v_lshrrev_b32_e32 v50, 3, v26
	v_cmp_gt_u32_e64 s6, 8, v26
	v_mov_b32_e32 v27, v15
	v_mov_b32_e32 v26, v14
	s_and_saveexec_b32 s21, s6
; %bb.85:                               ;   in Loop: Header=BB340_9 Depth=1
	v_ffbh_u32_e32 v26, v14
	v_min_u32_e32 v28, 32, v26
	v_subrev_nc_u32_e32 v26, 28, v28
	v_sub_nc_u32_e32 v50, 29, v28
	v_lshlrev_b64 v[26:27], v26, v[14:15]
	v_and_b32_e32 v26, 7, v26
; %bb.86:                               ;   in Loop: Header=BB340_9 Depth=1
	s_or_b32 exec_lo, exec_lo, s21
	v_lshlrev_b32_e32 v14, 16, v33
	v_lshlrev_b32_e32 v26, 20, v26
	v_lshl_add_u32 v27, v50, 23, 0x3c000000
	v_and_b32_e32 v14, 0x80000000, v14
	v_or3_b32 v50, v26, v14, v27
.LBB340_87:                             ;   in Loop: Header=BB340_9 Depth=1
	s_or_b32 exec_lo, exec_lo, s20
.LBB340_88:                             ;   in Loop: Header=BB340_9 Depth=1
	s_or_b32 exec_lo, exec_lo, s19
.LBB340_89:                             ;   in Loop: Header=BB340_9 Depth=1
	s_or_b32 exec_lo, exec_lo, s17
	v_and_b32_sdwa v14, v33, v29 dst_sel:DWORD dst_unused:UNUSED_PAD src0_sel:WORD_1 src1_sel:DWORD
	v_mov_b32_e32 v51, 0
	v_mov_b32_e32 v52, 0
	s_mov_b32 s17, exec_lo
	v_cmpx_ne_u16_e32 0, v14
	s_cbranch_execz .LBB340_97
; %bb.90:                               ;   in Loop: Header=BB340_9 Depth=1
	v_bfrev_b32_e32 v52, 1
	s_mov_b32 s19, exec_lo
	v_cmpx_ne_u16_e32 0x80, v14
	s_cbranch_execz .LBB340_96
; %bb.91:                               ;   in Loop: Header=BB340_9 Depth=1
	v_bfe_u32 v26, v33, 16, 7
	v_mov_b32_e32 v52, 0x7f800001
	s_mov_b32 s20, exec_lo
	v_cmpx_ne_u32_e32 0x7f, v26
	s_cbranch_execz .LBB340_95
; %bb.92:                               ;   in Loop: Header=BB340_9 Depth=1
	v_and_b32_sdwa v14, v33, v90 dst_sel:DWORD dst_unused:UNUSED_PAD src0_sel:WORD_1 src1_sel:DWORD
	v_lshrrev_b32_e32 v52, 3, v26
	v_cmp_gt_u32_e64 s6, 8, v26
	v_mov_b32_e32 v27, v15
	v_mov_b32_e32 v26, v14
	s_and_saveexec_b32 s21, s6
; %bb.93:                               ;   in Loop: Header=BB340_9 Depth=1
	v_ffbh_u32_e32 v26, v14
	v_min_u32_e32 v28, 32, v26
	v_subrev_nc_u32_e32 v26, 28, v28
	v_sub_nc_u32_e32 v52, 29, v28
	v_lshlrev_b64 v[26:27], v26, v[14:15]
	v_and_b32_e32 v26, 7, v26
; %bb.94:                               ;   in Loop: Header=BB340_9 Depth=1
	s_or_b32 exec_lo, exec_lo, s21
	v_lshlrev_b32_sdwa v14, v23, v33 dst_sel:DWORD dst_unused:UNUSED_PAD src0_sel:DWORD src1_sel:WORD_1
	v_lshlrev_b32_e32 v26, 20, v26
	v_lshl_add_u32 v27, v52, 23, 0x3c000000
	v_and_b32_e32 v14, 0x80000000, v14
	v_or3_b32 v52, v26, v14, v27
.LBB340_95:                             ;   in Loop: Header=BB340_9 Depth=1
	s_or_b32 exec_lo, exec_lo, s20
.LBB340_96:                             ;   in Loop: Header=BB340_9 Depth=1
	s_or_b32 exec_lo, exec_lo, s19
.LBB340_97:                             ;   in Loop: Header=BB340_9 Depth=1
	s_or_b32 exec_lo, exec_lo, s17
	s_mov_b32 s17, exec_lo
	v_cmpx_lt_u32_e32 0xffffff, v33
	s_cbranch_execz .LBB340_105
; %bb.98:                               ;   in Loop: Header=BB340_9 Depth=1
	v_cmp_ne_u32_sdwa s6, v33, v3 src0_sel:BYTE_3 src1_sel:DWORD
	v_bfrev_b32_e32 v51, 1
	s_and_saveexec_b32 s19, s6
	s_cbranch_execz .LBB340_104
; %bb.99:                               ;   in Loop: Header=BB340_9 Depth=1
	v_bfe_u32 v26, v33, 24, 7
	v_mov_b32_e32 v51, 0x7f800001
	s_mov_b32 s20, exec_lo
	v_cmpx_ne_u32_e32 0x7f, v26
	s_cbranch_execz .LBB340_103
; %bb.100:                              ;   in Loop: Header=BB340_9 Depth=1
	v_and_b32_sdwa v14, v33, v90 dst_sel:DWORD dst_unused:UNUSED_PAD src0_sel:BYTE_3 src1_sel:DWORD
	v_lshrrev_b32_e32 v51, 3, v26
	v_cmp_gt_u32_e64 s6, 8, v26
	v_mov_b32_e32 v27, v15
	v_mov_b32_e32 v26, v14
	s_and_saveexec_b32 s21, s6
; %bb.101:                              ;   in Loop: Header=BB340_9 Depth=1
	v_ffbh_u32_e32 v26, v14
	v_min_u32_e32 v28, 32, v26
	v_subrev_nc_u32_e32 v26, 28, v28
	v_sub_nc_u32_e32 v51, 29, v28
	v_lshlrev_b64 v[26:27], v26, v[14:15]
	v_and_b32_e32 v26, 7, v26
; %bb.102:                              ;   in Loop: Header=BB340_9 Depth=1
	s_or_b32 exec_lo, exec_lo, s21
	v_lshlrev_b32_sdwa v14, v23, v33 dst_sel:DWORD dst_unused:UNUSED_PAD src0_sel:DWORD src1_sel:BYTE_3
	v_lshlrev_b32_e32 v26, 20, v26
	v_lshl_add_u32 v27, v51, 23, 0x3c000000
	v_and_b32_e32 v14, 0x80000000, v14
	v_or3_b32 v51, v26, v14, v27
.LBB340_103:                            ;   in Loop: Header=BB340_9 Depth=1
	s_or_b32 exec_lo, exec_lo, s20
.LBB340_104:                            ;   in Loop: Header=BB340_9 Depth=1
	s_or_b32 exec_lo, exec_lo, s19
.LBB340_105:                            ;   in Loop: Header=BB340_9 Depth=1
	s_or_b32 exec_lo, exec_lo, s17
	flat_load_dword v33, v[24:25] offset:264
	v_mov_b32_e32 v64, 0
	v_mov_b32_e32 v55, 0
	s_waitcnt vmcnt(0) lgkmcnt(0)
	v_cmp_ne_u16_sdwa s6, v33, v15 src0_sel:BYTE_0 src1_sel:DWORD
	s_and_saveexec_b32 s17, s6
	s_cbranch_execz .LBB340_113
; %bb.106:                              ;   in Loop: Header=BB340_9 Depth=1
	v_cmp_ne_u16_sdwa s6, v33, v3 src0_sel:BYTE_0 src1_sel:DWORD
	v_bfrev_b32_e32 v55, 1
	s_and_saveexec_b32 s19, s6
	s_cbranch_execz .LBB340_112
; %bb.107:                              ;   in Loop: Header=BB340_9 Depth=1
	v_and_b32_e32 v26, 0x7f, v33
	v_mov_b32_e32 v55, 0x7f800001
	s_mov_b32 s20, exec_lo
	v_cmpx_ne_u32_e32 0x7f, v26
	s_cbranch_execz .LBB340_111
; %bb.108:                              ;   in Loop: Header=BB340_9 Depth=1
	v_and_b32_e32 v14, 7, v33
	v_lshrrev_b32_e32 v55, 3, v26
	v_cmp_gt_u32_e64 s6, 8, v26
	v_mov_b32_e32 v27, v15
	v_mov_b32_e32 v26, v14
	s_and_saveexec_b32 s21, s6
; %bb.109:                              ;   in Loop: Header=BB340_9 Depth=1
	v_ffbh_u32_e32 v26, v14
	v_min_u32_e32 v28, 32, v26
	v_subrev_nc_u32_e32 v26, 28, v28
	v_sub_nc_u32_e32 v55, 29, v28
	v_lshlrev_b64 v[26:27], v26, v[14:15]
	v_and_b32_e32 v26, 7, v26
; %bb.110:                              ;   in Loop: Header=BB340_9 Depth=1
	s_or_b32 exec_lo, exec_lo, s21
	v_lshlrev_b32_e32 v14, 24, v33
	v_lshlrev_b32_e32 v26, 20, v26
	v_lshl_add_u32 v27, v55, 23, 0x3c000000
	v_and_b32_e32 v14, 0x80000000, v14
	v_or3_b32 v55, v26, v14, v27
.LBB340_111:                            ;   in Loop: Header=BB340_9 Depth=1
	s_or_b32 exec_lo, exec_lo, s20
.LBB340_112:                            ;   in Loop: Header=BB340_9 Depth=1
	s_or_b32 exec_lo, exec_lo, s19
.LBB340_113:                            ;   in Loop: Header=BB340_9 Depth=1
	s_or_b32 exec_lo, exec_lo, s17
	v_cmp_ne_u16_sdwa s6, v33, v15 src0_sel:BYTE_1 src1_sel:DWORD
	s_and_saveexec_b32 s17, s6
	s_cbranch_execz .LBB340_121
; %bb.114:                              ;   in Loop: Header=BB340_9 Depth=1
	v_cmp_ne_u16_sdwa s6, v33, v3 src0_sel:BYTE_1 src1_sel:DWORD
	v_bfrev_b32_e32 v64, 1
	s_and_saveexec_b32 s19, s6
	s_cbranch_execz .LBB340_120
; %bb.115:                              ;   in Loop: Header=BB340_9 Depth=1
	v_and_b32_sdwa v14, v53, v33 dst_sel:DWORD dst_unused:UNUSED_PAD src0_sel:DWORD src1_sel:BYTE_1
	v_mov_b32_e32 v64, 0x7f800001
	s_mov_b32 s20, exec_lo
	v_and_b32_e32 v26, 0x7f, v14
	v_cmpx_ne_u32_e32 0x7f, v26
	s_cbranch_execz .LBB340_119
; %bb.116:                              ;   in Loop: Header=BB340_9 Depth=1
	v_and_b32_e32 v14, 7, v14
	v_lshrrev_b32_e32 v64, 3, v26
	v_cmp_gt_u32_e64 s6, 8, v26
	v_mov_b32_e32 v27, v15
	v_mov_b32_e32 v26, v14
	s_and_saveexec_b32 s21, s6
; %bb.117:                              ;   in Loop: Header=BB340_9 Depth=1
	v_ffbh_u32_e32 v26, v14
	v_min_u32_e32 v28, 32, v26
	v_subrev_nc_u32_e32 v26, 28, v28
	v_sub_nc_u32_e32 v64, 29, v28
	v_lshlrev_b64 v[26:27], v26, v[14:15]
	v_and_b32_e32 v26, 7, v26
; %bb.118:                              ;   in Loop: Header=BB340_9 Depth=1
	s_or_b32 exec_lo, exec_lo, s21
	v_lshlrev_b32_e32 v14, 16, v33
	v_lshlrev_b32_e32 v26, 20, v26
	v_lshl_add_u32 v27, v64, 23, 0x3c000000
	v_and_b32_e32 v14, 0x80000000, v14
	v_or3_b32 v64, v26, v14, v27
.LBB340_119:                            ;   in Loop: Header=BB340_9 Depth=1
	s_or_b32 exec_lo, exec_lo, s20
.LBB340_120:                            ;   in Loop: Header=BB340_9 Depth=1
	s_or_b32 exec_lo, exec_lo, s19
.LBB340_121:                            ;   in Loop: Header=BB340_9 Depth=1
	s_or_b32 exec_lo, exec_lo, s17
	v_and_b32_sdwa v14, v33, v29 dst_sel:DWORD dst_unused:UNUSED_PAD src0_sel:WORD_1 src1_sel:DWORD
	v_mov_b32_e32 v65, 0
	v_mov_b32_e32 v66, 0
	s_mov_b32 s17, exec_lo
	v_cmpx_ne_u16_e32 0, v14
	s_cbranch_execz .LBB340_129
; %bb.122:                              ;   in Loop: Header=BB340_9 Depth=1
	v_bfrev_b32_e32 v66, 1
	s_mov_b32 s19, exec_lo
	v_cmpx_ne_u16_e32 0x80, v14
	s_cbranch_execz .LBB340_128
; %bb.123:                              ;   in Loop: Header=BB340_9 Depth=1
	v_bfe_u32 v26, v33, 16, 7
	v_mov_b32_e32 v66, 0x7f800001
	s_mov_b32 s20, exec_lo
	v_cmpx_ne_u32_e32 0x7f, v26
	s_cbranch_execz .LBB340_127
; %bb.124:                              ;   in Loop: Header=BB340_9 Depth=1
	v_and_b32_sdwa v14, v33, v90 dst_sel:DWORD dst_unused:UNUSED_PAD src0_sel:WORD_1 src1_sel:DWORD
	v_lshrrev_b32_e32 v66, 3, v26
	v_cmp_gt_u32_e64 s6, 8, v26
	v_mov_b32_e32 v27, v15
	v_mov_b32_e32 v26, v14
	s_and_saveexec_b32 s21, s6
; %bb.125:                              ;   in Loop: Header=BB340_9 Depth=1
	v_ffbh_u32_e32 v26, v14
	v_min_u32_e32 v28, 32, v26
	v_subrev_nc_u32_e32 v26, 28, v28
	v_sub_nc_u32_e32 v66, 29, v28
	v_lshlrev_b64 v[26:27], v26, v[14:15]
	v_and_b32_e32 v26, 7, v26
; %bb.126:                              ;   in Loop: Header=BB340_9 Depth=1
	s_or_b32 exec_lo, exec_lo, s21
	v_lshlrev_b32_sdwa v14, v23, v33 dst_sel:DWORD dst_unused:UNUSED_PAD src0_sel:DWORD src1_sel:WORD_1
	v_lshlrev_b32_e32 v26, 20, v26
	v_lshl_add_u32 v27, v66, 23, 0x3c000000
	v_and_b32_e32 v14, 0x80000000, v14
	v_or3_b32 v66, v26, v14, v27
.LBB340_127:                            ;   in Loop: Header=BB340_9 Depth=1
	s_or_b32 exec_lo, exec_lo, s20
.LBB340_128:                            ;   in Loop: Header=BB340_9 Depth=1
	s_or_b32 exec_lo, exec_lo, s19
.LBB340_129:                            ;   in Loop: Header=BB340_9 Depth=1
	s_or_b32 exec_lo, exec_lo, s17
	s_mov_b32 s17, exec_lo
	v_cmpx_lt_u32_e32 0xffffff, v33
	s_cbranch_execz .LBB340_137
; %bb.130:                              ;   in Loop: Header=BB340_9 Depth=1
	v_cmp_ne_u32_sdwa s6, v33, v3 src0_sel:BYTE_3 src1_sel:DWORD
	v_bfrev_b32_e32 v65, 1
	s_and_saveexec_b32 s19, s6
	s_cbranch_execz .LBB340_136
; %bb.131:                              ;   in Loop: Header=BB340_9 Depth=1
	v_bfe_u32 v26, v33, 24, 7
	v_mov_b32_e32 v65, 0x7f800001
	s_mov_b32 s20, exec_lo
	v_cmpx_ne_u32_e32 0x7f, v26
	s_cbranch_execz .LBB340_135
; %bb.132:                              ;   in Loop: Header=BB340_9 Depth=1
	v_and_b32_sdwa v14, v33, v90 dst_sel:DWORD dst_unused:UNUSED_PAD src0_sel:BYTE_3 src1_sel:DWORD
	v_lshrrev_b32_e32 v65, 3, v26
	v_cmp_gt_u32_e64 s6, 8, v26
	v_mov_b32_e32 v27, v15
	v_mov_b32_e32 v26, v14
	s_and_saveexec_b32 s21, s6
; %bb.133:                              ;   in Loop: Header=BB340_9 Depth=1
	v_ffbh_u32_e32 v26, v14
	v_min_u32_e32 v28, 32, v26
	v_subrev_nc_u32_e32 v26, 28, v28
	v_sub_nc_u32_e32 v65, 29, v28
	v_lshlrev_b64 v[26:27], v26, v[14:15]
	v_and_b32_e32 v26, 7, v26
; %bb.134:                              ;   in Loop: Header=BB340_9 Depth=1
	s_or_b32 exec_lo, exec_lo, s21
	v_lshlrev_b32_sdwa v14, v23, v33 dst_sel:DWORD dst_unused:UNUSED_PAD src0_sel:DWORD src1_sel:BYTE_3
	v_lshlrev_b32_e32 v26, 20, v26
	v_lshl_add_u32 v27, v65, 23, 0x3c000000
	v_and_b32_e32 v14, 0x80000000, v14
	v_or3_b32 v65, v26, v14, v27
.LBB340_135:                            ;   in Loop: Header=BB340_9 Depth=1
	s_or_b32 exec_lo, exec_lo, s20
.LBB340_136:                            ;   in Loop: Header=BB340_9 Depth=1
	s_or_b32 exec_lo, exec_lo, s19
.LBB340_137:                            ;   in Loop: Header=BB340_9 Depth=1
	s_or_b32 exec_lo, exec_lo, s17
	flat_load_dword v33, v[24:25] offset:512
	v_mov_b32_e32 v68, 0
	v_mov_b32_e32 v67, 0
	s_waitcnt vmcnt(0) lgkmcnt(0)
	v_cmp_ne_u16_sdwa s6, v33, v15 src0_sel:BYTE_0 src1_sel:DWORD
	s_and_saveexec_b32 s17, s6
	s_cbranch_execz .LBB340_145
; %bb.138:                              ;   in Loop: Header=BB340_9 Depth=1
	v_cmp_ne_u16_sdwa s6, v33, v3 src0_sel:BYTE_0 src1_sel:DWORD
	v_bfrev_b32_e32 v67, 1
	s_and_saveexec_b32 s19, s6
	s_cbranch_execz .LBB340_144
; %bb.139:                              ;   in Loop: Header=BB340_9 Depth=1
	v_and_b32_e32 v26, 0x7f, v33
	v_mov_b32_e32 v67, 0x7f800001
	s_mov_b32 s20, exec_lo
	v_cmpx_ne_u32_e32 0x7f, v26
	s_cbranch_execz .LBB340_143
; %bb.140:                              ;   in Loop: Header=BB340_9 Depth=1
	v_and_b32_e32 v14, 7, v33
	v_lshrrev_b32_e32 v67, 3, v26
	v_cmp_gt_u32_e64 s6, 8, v26
	v_mov_b32_e32 v27, v15
	v_mov_b32_e32 v26, v14
	s_and_saveexec_b32 s21, s6
; %bb.141:                              ;   in Loop: Header=BB340_9 Depth=1
	v_ffbh_u32_e32 v26, v14
	v_min_u32_e32 v28, 32, v26
	v_subrev_nc_u32_e32 v26, 28, v28
	v_sub_nc_u32_e32 v67, 29, v28
	v_lshlrev_b64 v[26:27], v26, v[14:15]
	v_and_b32_e32 v26, 7, v26
; %bb.142:                              ;   in Loop: Header=BB340_9 Depth=1
	s_or_b32 exec_lo, exec_lo, s21
	v_lshlrev_b32_e32 v14, 24, v33
	v_lshlrev_b32_e32 v26, 20, v26
	v_lshl_add_u32 v27, v67, 23, 0x3c000000
	v_and_b32_e32 v14, 0x80000000, v14
	v_or3_b32 v67, v26, v14, v27
.LBB340_143:                            ;   in Loop: Header=BB340_9 Depth=1
	s_or_b32 exec_lo, exec_lo, s20
.LBB340_144:                            ;   in Loop: Header=BB340_9 Depth=1
	s_or_b32 exec_lo, exec_lo, s19
.LBB340_145:                            ;   in Loop: Header=BB340_9 Depth=1
	s_or_b32 exec_lo, exec_lo, s17
	v_cmp_ne_u16_sdwa s6, v33, v15 src0_sel:BYTE_1 src1_sel:DWORD
	s_and_saveexec_b32 s17, s6
	s_cbranch_execz .LBB340_153
; %bb.146:                              ;   in Loop: Header=BB340_9 Depth=1
	v_cmp_ne_u16_sdwa s6, v33, v3 src0_sel:BYTE_1 src1_sel:DWORD
	v_bfrev_b32_e32 v68, 1
	s_and_saveexec_b32 s19, s6
	s_cbranch_execz .LBB340_152
; %bb.147:                              ;   in Loop: Header=BB340_9 Depth=1
	v_and_b32_sdwa v14, v53, v33 dst_sel:DWORD dst_unused:UNUSED_PAD src0_sel:DWORD src1_sel:BYTE_1
	v_mov_b32_e32 v68, 0x7f800001
	s_mov_b32 s20, exec_lo
	v_and_b32_e32 v26, 0x7f, v14
	v_cmpx_ne_u32_e32 0x7f, v26
	s_cbranch_execz .LBB340_151
; %bb.148:                              ;   in Loop: Header=BB340_9 Depth=1
	v_and_b32_e32 v14, 7, v14
	v_lshrrev_b32_e32 v68, 3, v26
	v_cmp_gt_u32_e64 s6, 8, v26
	v_mov_b32_e32 v27, v15
	v_mov_b32_e32 v26, v14
	s_and_saveexec_b32 s21, s6
; %bb.149:                              ;   in Loop: Header=BB340_9 Depth=1
	v_ffbh_u32_e32 v26, v14
	v_min_u32_e32 v28, 32, v26
	v_subrev_nc_u32_e32 v26, 28, v28
	v_sub_nc_u32_e32 v68, 29, v28
	v_lshlrev_b64 v[26:27], v26, v[14:15]
	v_and_b32_e32 v26, 7, v26
; %bb.150:                              ;   in Loop: Header=BB340_9 Depth=1
	s_or_b32 exec_lo, exec_lo, s21
	v_lshlrev_b32_e32 v14, 16, v33
	v_lshlrev_b32_e32 v26, 20, v26
	v_lshl_add_u32 v27, v68, 23, 0x3c000000
	v_and_b32_e32 v14, 0x80000000, v14
	v_or3_b32 v68, v26, v14, v27
.LBB340_151:                            ;   in Loop: Header=BB340_9 Depth=1
	s_or_b32 exec_lo, exec_lo, s20
.LBB340_152:                            ;   in Loop: Header=BB340_9 Depth=1
	s_or_b32 exec_lo, exec_lo, s19
.LBB340_153:                            ;   in Loop: Header=BB340_9 Depth=1
	s_or_b32 exec_lo, exec_lo, s17
	v_and_b32_sdwa v14, v33, v29 dst_sel:DWORD dst_unused:UNUSED_PAD src0_sel:WORD_1 src1_sel:DWORD
	v_mov_b32_e32 v69, 0
	v_mov_b32_e32 v70, 0
	s_mov_b32 s17, exec_lo
	v_cmpx_ne_u16_e32 0, v14
	s_cbranch_execz .LBB340_161
; %bb.154:                              ;   in Loop: Header=BB340_9 Depth=1
	v_bfrev_b32_e32 v70, 1
	s_mov_b32 s19, exec_lo
	v_cmpx_ne_u16_e32 0x80, v14
	s_cbranch_execz .LBB340_160
; %bb.155:                              ;   in Loop: Header=BB340_9 Depth=1
	v_bfe_u32 v26, v33, 16, 7
	v_mov_b32_e32 v70, 0x7f800001
	s_mov_b32 s20, exec_lo
	v_cmpx_ne_u32_e32 0x7f, v26
	s_cbranch_execz .LBB340_159
; %bb.156:                              ;   in Loop: Header=BB340_9 Depth=1
	v_and_b32_sdwa v14, v33, v90 dst_sel:DWORD dst_unused:UNUSED_PAD src0_sel:WORD_1 src1_sel:DWORD
	v_lshrrev_b32_e32 v70, 3, v26
	v_cmp_gt_u32_e64 s6, 8, v26
	v_mov_b32_e32 v27, v15
	v_mov_b32_e32 v26, v14
	s_and_saveexec_b32 s21, s6
; %bb.157:                              ;   in Loop: Header=BB340_9 Depth=1
	v_ffbh_u32_e32 v26, v14
	v_min_u32_e32 v28, 32, v26
	v_subrev_nc_u32_e32 v26, 28, v28
	v_sub_nc_u32_e32 v70, 29, v28
	v_lshlrev_b64 v[26:27], v26, v[14:15]
	v_and_b32_e32 v26, 7, v26
; %bb.158:                              ;   in Loop: Header=BB340_9 Depth=1
	s_or_b32 exec_lo, exec_lo, s21
	v_lshlrev_b32_sdwa v14, v23, v33 dst_sel:DWORD dst_unused:UNUSED_PAD src0_sel:DWORD src1_sel:WORD_1
	v_lshlrev_b32_e32 v26, 20, v26
	v_lshl_add_u32 v27, v70, 23, 0x3c000000
	v_and_b32_e32 v14, 0x80000000, v14
	v_or3_b32 v70, v26, v14, v27
.LBB340_159:                            ;   in Loop: Header=BB340_9 Depth=1
	s_or_b32 exec_lo, exec_lo, s20
.LBB340_160:                            ;   in Loop: Header=BB340_9 Depth=1
	s_or_b32 exec_lo, exec_lo, s19
.LBB340_161:                            ;   in Loop: Header=BB340_9 Depth=1
	s_or_b32 exec_lo, exec_lo, s17
	s_mov_b32 s17, exec_lo
	v_cmpx_lt_u32_e32 0xffffff, v33
	s_cbranch_execz .LBB340_169
; %bb.162:                              ;   in Loop: Header=BB340_9 Depth=1
	v_cmp_ne_u32_sdwa s6, v33, v3 src0_sel:BYTE_3 src1_sel:DWORD
	v_bfrev_b32_e32 v69, 1
	s_and_saveexec_b32 s19, s6
	s_cbranch_execz .LBB340_168
; %bb.163:                              ;   in Loop: Header=BB340_9 Depth=1
	v_bfe_u32 v26, v33, 24, 7
	v_mov_b32_e32 v69, 0x7f800001
	s_mov_b32 s20, exec_lo
	v_cmpx_ne_u32_e32 0x7f, v26
	s_cbranch_execz .LBB340_167
; %bb.164:                              ;   in Loop: Header=BB340_9 Depth=1
	v_and_b32_sdwa v14, v33, v90 dst_sel:DWORD dst_unused:UNUSED_PAD src0_sel:BYTE_3 src1_sel:DWORD
	v_lshrrev_b32_e32 v69, 3, v26
	v_cmp_gt_u32_e64 s6, 8, v26
	v_mov_b32_e32 v27, v15
	v_mov_b32_e32 v26, v14
	s_and_saveexec_b32 s21, s6
; %bb.165:                              ;   in Loop: Header=BB340_9 Depth=1
	v_ffbh_u32_e32 v26, v14
	v_min_u32_e32 v28, 32, v26
	v_subrev_nc_u32_e32 v26, 28, v28
	v_sub_nc_u32_e32 v69, 29, v28
	v_lshlrev_b64 v[26:27], v26, v[14:15]
	v_and_b32_e32 v26, 7, v26
; %bb.166:                              ;   in Loop: Header=BB340_9 Depth=1
	s_or_b32 exec_lo, exec_lo, s21
	v_lshlrev_b32_sdwa v14, v23, v33 dst_sel:DWORD dst_unused:UNUSED_PAD src0_sel:DWORD src1_sel:BYTE_3
	v_lshlrev_b32_e32 v26, 20, v26
	v_lshl_add_u32 v27, v69, 23, 0x3c000000
	v_and_b32_e32 v14, 0x80000000, v14
	v_or3_b32 v69, v26, v14, v27
.LBB340_167:                            ;   in Loop: Header=BB340_9 Depth=1
	s_or_b32 exec_lo, exec_lo, s20
.LBB340_168:                            ;   in Loop: Header=BB340_9 Depth=1
	s_or_b32 exec_lo, exec_lo, s19
.LBB340_169:                            ;   in Loop: Header=BB340_9 Depth=1
	s_or_b32 exec_lo, exec_lo, s17
	flat_load_dword v33, v[24:25] offset:520
	v_mov_b32_e32 v80, 0
	v_mov_b32_e32 v71, 0
	s_waitcnt vmcnt(0) lgkmcnt(0)
	v_cmp_ne_u16_sdwa s6, v33, v15 src0_sel:BYTE_0 src1_sel:DWORD
	s_and_saveexec_b32 s17, s6
	s_cbranch_execz .LBB340_177
; %bb.170:                              ;   in Loop: Header=BB340_9 Depth=1
	v_cmp_ne_u16_sdwa s6, v33, v3 src0_sel:BYTE_0 src1_sel:DWORD
	v_bfrev_b32_e32 v71, 1
	s_and_saveexec_b32 s19, s6
	s_cbranch_execz .LBB340_176
; %bb.171:                              ;   in Loop: Header=BB340_9 Depth=1
	v_and_b32_e32 v26, 0x7f, v33
	v_mov_b32_e32 v71, 0x7f800001
	s_mov_b32 s20, exec_lo
	v_cmpx_ne_u32_e32 0x7f, v26
	s_cbranch_execz .LBB340_175
; %bb.172:                              ;   in Loop: Header=BB340_9 Depth=1
	v_and_b32_e32 v14, 7, v33
	v_lshrrev_b32_e32 v71, 3, v26
	v_cmp_gt_u32_e64 s6, 8, v26
	v_mov_b32_e32 v27, v15
	v_mov_b32_e32 v26, v14
	s_and_saveexec_b32 s21, s6
; %bb.173:                              ;   in Loop: Header=BB340_9 Depth=1
	v_ffbh_u32_e32 v26, v14
	v_min_u32_e32 v28, 32, v26
	v_subrev_nc_u32_e32 v26, 28, v28
	v_sub_nc_u32_e32 v71, 29, v28
	v_lshlrev_b64 v[26:27], v26, v[14:15]
	v_and_b32_e32 v26, 7, v26
; %bb.174:                              ;   in Loop: Header=BB340_9 Depth=1
	s_or_b32 exec_lo, exec_lo, s21
	v_lshlrev_b32_e32 v14, 24, v33
	v_lshlrev_b32_e32 v26, 20, v26
	v_lshl_add_u32 v27, v71, 23, 0x3c000000
	v_and_b32_e32 v14, 0x80000000, v14
	v_or3_b32 v71, v26, v14, v27
.LBB340_175:                            ;   in Loop: Header=BB340_9 Depth=1
	s_or_b32 exec_lo, exec_lo, s20
.LBB340_176:                            ;   in Loop: Header=BB340_9 Depth=1
	s_or_b32 exec_lo, exec_lo, s19
.LBB340_177:                            ;   in Loop: Header=BB340_9 Depth=1
	s_or_b32 exec_lo, exec_lo, s17
	v_cmp_ne_u16_sdwa s6, v33, v15 src0_sel:BYTE_1 src1_sel:DWORD
	s_and_saveexec_b32 s17, s6
	s_cbranch_execz .LBB340_185
; %bb.178:                              ;   in Loop: Header=BB340_9 Depth=1
	v_cmp_ne_u16_sdwa s6, v33, v3 src0_sel:BYTE_1 src1_sel:DWORD
	v_bfrev_b32_e32 v80, 1
	s_and_saveexec_b32 s19, s6
	s_cbranch_execz .LBB340_184
; %bb.179:                              ;   in Loop: Header=BB340_9 Depth=1
	v_and_b32_sdwa v14, v53, v33 dst_sel:DWORD dst_unused:UNUSED_PAD src0_sel:DWORD src1_sel:BYTE_1
	v_mov_b32_e32 v80, 0x7f800001
	s_mov_b32 s20, exec_lo
	v_and_b32_e32 v26, 0x7f, v14
	v_cmpx_ne_u32_e32 0x7f, v26
	s_cbranch_execz .LBB340_183
; %bb.180:                              ;   in Loop: Header=BB340_9 Depth=1
	v_and_b32_e32 v14, 7, v14
	v_lshrrev_b32_e32 v80, 3, v26
	v_cmp_gt_u32_e64 s6, 8, v26
	v_mov_b32_e32 v27, v15
	v_mov_b32_e32 v26, v14
	s_and_saveexec_b32 s21, s6
; %bb.181:                              ;   in Loop: Header=BB340_9 Depth=1
	v_ffbh_u32_e32 v26, v14
	v_min_u32_e32 v28, 32, v26
	v_subrev_nc_u32_e32 v26, 28, v28
	v_sub_nc_u32_e32 v80, 29, v28
	v_lshlrev_b64 v[26:27], v26, v[14:15]
	v_and_b32_e32 v26, 7, v26
; %bb.182:                              ;   in Loop: Header=BB340_9 Depth=1
	s_or_b32 exec_lo, exec_lo, s21
	v_lshlrev_b32_e32 v14, 16, v33
	v_lshlrev_b32_e32 v26, 20, v26
	v_lshl_add_u32 v27, v80, 23, 0x3c000000
	v_and_b32_e32 v14, 0x80000000, v14
	v_or3_b32 v80, v26, v14, v27
.LBB340_183:                            ;   in Loop: Header=BB340_9 Depth=1
	s_or_b32 exec_lo, exec_lo, s20
.LBB340_184:                            ;   in Loop: Header=BB340_9 Depth=1
	s_or_b32 exec_lo, exec_lo, s19
.LBB340_185:                            ;   in Loop: Header=BB340_9 Depth=1
	s_or_b32 exec_lo, exec_lo, s17
	v_and_b32_sdwa v14, v33, v29 dst_sel:DWORD dst_unused:UNUSED_PAD src0_sel:WORD_1 src1_sel:DWORD
	v_mov_b32_e32 v81, 0
	v_mov_b32_e32 v82, 0
	s_mov_b32 s17, exec_lo
	v_cmpx_ne_u16_e32 0, v14
	s_cbranch_execz .LBB340_193
; %bb.186:                              ;   in Loop: Header=BB340_9 Depth=1
	v_bfrev_b32_e32 v82, 1
	s_mov_b32 s19, exec_lo
	v_cmpx_ne_u16_e32 0x80, v14
	s_cbranch_execz .LBB340_192
; %bb.187:                              ;   in Loop: Header=BB340_9 Depth=1
	v_bfe_u32 v26, v33, 16, 7
	v_mov_b32_e32 v82, 0x7f800001
	s_mov_b32 s20, exec_lo
	v_cmpx_ne_u32_e32 0x7f, v26
	s_cbranch_execz .LBB340_191
; %bb.188:                              ;   in Loop: Header=BB340_9 Depth=1
	v_and_b32_sdwa v14, v33, v90 dst_sel:DWORD dst_unused:UNUSED_PAD src0_sel:WORD_1 src1_sel:DWORD
	v_lshrrev_b32_e32 v82, 3, v26
	v_cmp_gt_u32_e64 s6, 8, v26
	v_mov_b32_e32 v27, v15
	v_mov_b32_e32 v26, v14
	s_and_saveexec_b32 s21, s6
; %bb.189:                              ;   in Loop: Header=BB340_9 Depth=1
	v_ffbh_u32_e32 v26, v14
	v_min_u32_e32 v28, 32, v26
	v_subrev_nc_u32_e32 v26, 28, v28
	v_sub_nc_u32_e32 v82, 29, v28
	v_lshlrev_b64 v[26:27], v26, v[14:15]
	v_and_b32_e32 v26, 7, v26
; %bb.190:                              ;   in Loop: Header=BB340_9 Depth=1
	s_or_b32 exec_lo, exec_lo, s21
	v_lshlrev_b32_sdwa v14, v23, v33 dst_sel:DWORD dst_unused:UNUSED_PAD src0_sel:DWORD src1_sel:WORD_1
	v_lshlrev_b32_e32 v26, 20, v26
	v_lshl_add_u32 v27, v82, 23, 0x3c000000
	v_and_b32_e32 v14, 0x80000000, v14
	v_or3_b32 v82, v26, v14, v27
.LBB340_191:                            ;   in Loop: Header=BB340_9 Depth=1
	s_or_b32 exec_lo, exec_lo, s20
.LBB340_192:                            ;   in Loop: Header=BB340_9 Depth=1
	s_or_b32 exec_lo, exec_lo, s19
.LBB340_193:                            ;   in Loop: Header=BB340_9 Depth=1
	s_or_b32 exec_lo, exec_lo, s17
	s_mov_b32 s17, exec_lo
	v_cmpx_lt_u32_e32 0xffffff, v33
	s_cbranch_execz .LBB340_201
; %bb.194:                              ;   in Loop: Header=BB340_9 Depth=1
	v_cmp_ne_u32_sdwa s6, v33, v3 src0_sel:BYTE_3 src1_sel:DWORD
	v_bfrev_b32_e32 v81, 1
	s_and_saveexec_b32 s19, s6
	s_cbranch_execz .LBB340_200
; %bb.195:                              ;   in Loop: Header=BB340_9 Depth=1
	v_bfe_u32 v26, v33, 24, 7
	v_mov_b32_e32 v81, 0x7f800001
	s_mov_b32 s20, exec_lo
	v_cmpx_ne_u32_e32 0x7f, v26
	s_cbranch_execz .LBB340_199
; %bb.196:                              ;   in Loop: Header=BB340_9 Depth=1
	v_and_b32_sdwa v14, v33, v90 dst_sel:DWORD dst_unused:UNUSED_PAD src0_sel:BYTE_3 src1_sel:DWORD
	v_lshrrev_b32_e32 v81, 3, v26
	v_cmp_gt_u32_e64 s6, 8, v26
	v_mov_b32_e32 v27, v15
	v_mov_b32_e32 v26, v14
	s_and_saveexec_b32 s21, s6
; %bb.197:                              ;   in Loop: Header=BB340_9 Depth=1
	v_ffbh_u32_e32 v26, v14
	v_min_u32_e32 v28, 32, v26
	v_subrev_nc_u32_e32 v26, 28, v28
	v_sub_nc_u32_e32 v81, 29, v28
	v_lshlrev_b64 v[26:27], v26, v[14:15]
	v_and_b32_e32 v26, 7, v26
; %bb.198:                              ;   in Loop: Header=BB340_9 Depth=1
	s_or_b32 exec_lo, exec_lo, s21
	v_lshlrev_b32_sdwa v14, v23, v33 dst_sel:DWORD dst_unused:UNUSED_PAD src0_sel:DWORD src1_sel:BYTE_3
	v_lshlrev_b32_e32 v26, 20, v26
	v_lshl_add_u32 v27, v81, 23, 0x3c000000
	v_and_b32_e32 v14, 0x80000000, v14
	v_or3_b32 v81, v26, v14, v27
.LBB340_199:                            ;   in Loop: Header=BB340_9 Depth=1
	s_or_b32 exec_lo, exec_lo, s20
.LBB340_200:                            ;   in Loop: Header=BB340_9 Depth=1
	s_or_b32 exec_lo, exec_lo, s19
.LBB340_201:                            ;   in Loop: Header=BB340_9 Depth=1
	s_or_b32 exec_lo, exec_lo, s17
	flat_load_dword v33, v[24:25] offset:768
	v_mov_b32_e32 v84, 0
	v_mov_b32_e32 v83, 0
	s_waitcnt vmcnt(0) lgkmcnt(0)
	v_cmp_ne_u16_sdwa s6, v33, v15 src0_sel:BYTE_0 src1_sel:DWORD
	s_and_saveexec_b32 s17, s6
	s_cbranch_execz .LBB340_209
; %bb.202:                              ;   in Loop: Header=BB340_9 Depth=1
	v_cmp_ne_u16_sdwa s6, v33, v3 src0_sel:BYTE_0 src1_sel:DWORD
	v_bfrev_b32_e32 v83, 1
	s_and_saveexec_b32 s19, s6
	s_cbranch_execz .LBB340_208
; %bb.203:                              ;   in Loop: Header=BB340_9 Depth=1
	v_and_b32_e32 v26, 0x7f, v33
	v_mov_b32_e32 v83, 0x7f800001
	s_mov_b32 s20, exec_lo
	v_cmpx_ne_u32_e32 0x7f, v26
	s_cbranch_execz .LBB340_207
; %bb.204:                              ;   in Loop: Header=BB340_9 Depth=1
	v_and_b32_e32 v14, 7, v33
	v_lshrrev_b32_e32 v83, 3, v26
	v_cmp_gt_u32_e64 s6, 8, v26
	v_mov_b32_e32 v27, v15
	v_mov_b32_e32 v26, v14
	s_and_saveexec_b32 s21, s6
; %bb.205:                              ;   in Loop: Header=BB340_9 Depth=1
	v_ffbh_u32_e32 v26, v14
	v_min_u32_e32 v28, 32, v26
	v_subrev_nc_u32_e32 v26, 28, v28
	v_sub_nc_u32_e32 v83, 29, v28
	v_lshlrev_b64 v[26:27], v26, v[14:15]
	v_and_b32_e32 v26, 7, v26
; %bb.206:                              ;   in Loop: Header=BB340_9 Depth=1
	s_or_b32 exec_lo, exec_lo, s21
	v_lshlrev_b32_e32 v14, 24, v33
	v_lshlrev_b32_e32 v26, 20, v26
	v_lshl_add_u32 v27, v83, 23, 0x3c000000
	v_and_b32_e32 v14, 0x80000000, v14
	v_or3_b32 v83, v26, v14, v27
.LBB340_207:                            ;   in Loop: Header=BB340_9 Depth=1
	s_or_b32 exec_lo, exec_lo, s20
.LBB340_208:                            ;   in Loop: Header=BB340_9 Depth=1
	s_or_b32 exec_lo, exec_lo, s19
.LBB340_209:                            ;   in Loop: Header=BB340_9 Depth=1
	s_or_b32 exec_lo, exec_lo, s17
	v_cmp_ne_u16_sdwa s6, v33, v15 src0_sel:BYTE_1 src1_sel:DWORD
	s_and_saveexec_b32 s17, s6
	s_cbranch_execz .LBB340_217
; %bb.210:                              ;   in Loop: Header=BB340_9 Depth=1
	v_cmp_ne_u16_sdwa s6, v33, v3 src0_sel:BYTE_1 src1_sel:DWORD
	v_bfrev_b32_e32 v84, 1
	s_and_saveexec_b32 s19, s6
	s_cbranch_execz .LBB340_216
; %bb.211:                              ;   in Loop: Header=BB340_9 Depth=1
	v_and_b32_sdwa v14, v53, v33 dst_sel:DWORD dst_unused:UNUSED_PAD src0_sel:DWORD src1_sel:BYTE_1
	v_mov_b32_e32 v84, 0x7f800001
	s_mov_b32 s20, exec_lo
	v_and_b32_e32 v26, 0x7f, v14
	v_cmpx_ne_u32_e32 0x7f, v26
	s_cbranch_execz .LBB340_215
; %bb.212:                              ;   in Loop: Header=BB340_9 Depth=1
	v_and_b32_e32 v14, 7, v14
	v_lshrrev_b32_e32 v84, 3, v26
	v_cmp_gt_u32_e64 s6, 8, v26
	v_mov_b32_e32 v27, v15
	v_mov_b32_e32 v26, v14
	s_and_saveexec_b32 s21, s6
; %bb.213:                              ;   in Loop: Header=BB340_9 Depth=1
	v_ffbh_u32_e32 v26, v14
	v_min_u32_e32 v28, 32, v26
	v_subrev_nc_u32_e32 v26, 28, v28
	v_sub_nc_u32_e32 v84, 29, v28
	v_lshlrev_b64 v[26:27], v26, v[14:15]
	v_and_b32_e32 v26, 7, v26
; %bb.214:                              ;   in Loop: Header=BB340_9 Depth=1
	s_or_b32 exec_lo, exec_lo, s21
	v_lshlrev_b32_e32 v14, 16, v33
	v_lshlrev_b32_e32 v26, 20, v26
	v_lshl_add_u32 v27, v84, 23, 0x3c000000
	v_and_b32_e32 v14, 0x80000000, v14
	v_or3_b32 v84, v26, v14, v27
.LBB340_215:                            ;   in Loop: Header=BB340_9 Depth=1
	s_or_b32 exec_lo, exec_lo, s20
.LBB340_216:                            ;   in Loop: Header=BB340_9 Depth=1
	s_or_b32 exec_lo, exec_lo, s19
.LBB340_217:                            ;   in Loop: Header=BB340_9 Depth=1
	s_or_b32 exec_lo, exec_lo, s17
	v_and_b32_sdwa v14, v33, v29 dst_sel:DWORD dst_unused:UNUSED_PAD src0_sel:WORD_1 src1_sel:DWORD
	v_mov_b32_e32 v85, 0
	v_mov_b32_e32 v86, 0
	s_mov_b32 s17, exec_lo
	v_cmpx_ne_u16_e32 0, v14
	s_cbranch_execz .LBB340_225
; %bb.218:                              ;   in Loop: Header=BB340_9 Depth=1
	v_bfrev_b32_e32 v86, 1
	s_mov_b32 s19, exec_lo
	v_cmpx_ne_u16_e32 0x80, v14
	s_cbranch_execz .LBB340_224
; %bb.219:                              ;   in Loop: Header=BB340_9 Depth=1
	v_bfe_u32 v26, v33, 16, 7
	v_mov_b32_e32 v86, 0x7f800001
	s_mov_b32 s20, exec_lo
	v_cmpx_ne_u32_e32 0x7f, v26
	s_cbranch_execz .LBB340_223
; %bb.220:                              ;   in Loop: Header=BB340_9 Depth=1
	v_and_b32_sdwa v14, v33, v90 dst_sel:DWORD dst_unused:UNUSED_PAD src0_sel:WORD_1 src1_sel:DWORD
	v_lshrrev_b32_e32 v86, 3, v26
	v_cmp_gt_u32_e64 s6, 8, v26
	v_mov_b32_e32 v27, v15
	v_mov_b32_e32 v26, v14
	s_and_saveexec_b32 s21, s6
; %bb.221:                              ;   in Loop: Header=BB340_9 Depth=1
	v_ffbh_u32_e32 v26, v14
	v_min_u32_e32 v28, 32, v26
	v_subrev_nc_u32_e32 v26, 28, v28
	v_sub_nc_u32_e32 v86, 29, v28
	v_lshlrev_b64 v[26:27], v26, v[14:15]
	v_and_b32_e32 v26, 7, v26
; %bb.222:                              ;   in Loop: Header=BB340_9 Depth=1
	s_or_b32 exec_lo, exec_lo, s21
	v_lshlrev_b32_sdwa v14, v23, v33 dst_sel:DWORD dst_unused:UNUSED_PAD src0_sel:DWORD src1_sel:WORD_1
	v_lshlrev_b32_e32 v26, 20, v26
	v_lshl_add_u32 v27, v86, 23, 0x3c000000
	v_and_b32_e32 v14, 0x80000000, v14
	v_or3_b32 v86, v26, v14, v27
.LBB340_223:                            ;   in Loop: Header=BB340_9 Depth=1
	s_or_b32 exec_lo, exec_lo, s20
.LBB340_224:                            ;   in Loop: Header=BB340_9 Depth=1
	s_or_b32 exec_lo, exec_lo, s19
.LBB340_225:                            ;   in Loop: Header=BB340_9 Depth=1
	s_or_b32 exec_lo, exec_lo, s17
	s_mov_b32 s17, exec_lo
	v_cmpx_lt_u32_e32 0xffffff, v33
	s_cbranch_execz .LBB340_233
; %bb.226:                              ;   in Loop: Header=BB340_9 Depth=1
	v_cmp_ne_u32_sdwa s6, v33, v3 src0_sel:BYTE_3 src1_sel:DWORD
	v_bfrev_b32_e32 v85, 1
	s_and_saveexec_b32 s19, s6
	s_cbranch_execz .LBB340_232
; %bb.227:                              ;   in Loop: Header=BB340_9 Depth=1
	v_bfe_u32 v26, v33, 24, 7
	v_mov_b32_e32 v85, 0x7f800001
	s_mov_b32 s20, exec_lo
	v_cmpx_ne_u32_e32 0x7f, v26
	s_cbranch_execz .LBB340_231
; %bb.228:                              ;   in Loop: Header=BB340_9 Depth=1
	v_and_b32_sdwa v14, v33, v90 dst_sel:DWORD dst_unused:UNUSED_PAD src0_sel:BYTE_3 src1_sel:DWORD
	v_lshrrev_b32_e32 v85, 3, v26
	v_cmp_gt_u32_e64 s6, 8, v26
	v_mov_b32_e32 v27, v15
	v_mov_b32_e32 v26, v14
	s_and_saveexec_b32 s21, s6
; %bb.229:                              ;   in Loop: Header=BB340_9 Depth=1
	v_ffbh_u32_e32 v26, v14
	v_min_u32_e32 v28, 32, v26
	v_subrev_nc_u32_e32 v26, 28, v28
	v_sub_nc_u32_e32 v85, 29, v28
	v_lshlrev_b64 v[26:27], v26, v[14:15]
	v_and_b32_e32 v26, 7, v26
; %bb.230:                              ;   in Loop: Header=BB340_9 Depth=1
	s_or_b32 exec_lo, exec_lo, s21
	v_lshlrev_b32_sdwa v14, v23, v33 dst_sel:DWORD dst_unused:UNUSED_PAD src0_sel:DWORD src1_sel:BYTE_3
	v_lshlrev_b32_e32 v26, 20, v26
	v_lshl_add_u32 v27, v85, 23, 0x3c000000
	v_and_b32_e32 v14, 0x80000000, v14
	v_or3_b32 v85, v26, v14, v27
.LBB340_231:                            ;   in Loop: Header=BB340_9 Depth=1
	s_or_b32 exec_lo, exec_lo, s20
.LBB340_232:                            ;   in Loop: Header=BB340_9 Depth=1
	s_or_b32 exec_lo, exec_lo, s19
.LBB340_233:                            ;   in Loop: Header=BB340_9 Depth=1
	s_or_b32 exec_lo, exec_lo, s17
	flat_load_dword v33, v[24:25] offset:776
	v_mov_b32_e32 v96, 0
	v_mov_b32_e32 v87, 0
	s_waitcnt vmcnt(0) lgkmcnt(0)
	v_cmp_ne_u16_sdwa s6, v33, v15 src0_sel:BYTE_0 src1_sel:DWORD
	s_and_saveexec_b32 s17, s6
	s_cbranch_execz .LBB340_241
; %bb.234:                              ;   in Loop: Header=BB340_9 Depth=1
	v_cmp_ne_u16_sdwa s6, v33, v3 src0_sel:BYTE_0 src1_sel:DWORD
	v_bfrev_b32_e32 v87, 1
	s_and_saveexec_b32 s19, s6
	s_cbranch_execz .LBB340_240
; %bb.235:                              ;   in Loop: Header=BB340_9 Depth=1
	v_and_b32_e32 v26, 0x7f, v33
	v_mov_b32_e32 v87, 0x7f800001
	s_mov_b32 s20, exec_lo
	v_cmpx_ne_u32_e32 0x7f, v26
	s_cbranch_execz .LBB340_239
; %bb.236:                              ;   in Loop: Header=BB340_9 Depth=1
	v_and_b32_e32 v14, 7, v33
	v_lshrrev_b32_e32 v87, 3, v26
	v_cmp_gt_u32_e64 s6, 8, v26
	v_mov_b32_e32 v27, v15
	v_mov_b32_e32 v26, v14
	s_and_saveexec_b32 s21, s6
; %bb.237:                              ;   in Loop: Header=BB340_9 Depth=1
	v_ffbh_u32_e32 v26, v14
	v_min_u32_e32 v28, 32, v26
	v_subrev_nc_u32_e32 v26, 28, v28
	v_sub_nc_u32_e32 v87, 29, v28
	v_lshlrev_b64 v[26:27], v26, v[14:15]
	v_and_b32_e32 v26, 7, v26
; %bb.238:                              ;   in Loop: Header=BB340_9 Depth=1
	s_or_b32 exec_lo, exec_lo, s21
	v_lshlrev_b32_e32 v14, 24, v33
	v_lshlrev_b32_e32 v26, 20, v26
	v_lshl_add_u32 v27, v87, 23, 0x3c000000
	v_and_b32_e32 v14, 0x80000000, v14
	v_or3_b32 v87, v26, v14, v27
.LBB340_239:                            ;   in Loop: Header=BB340_9 Depth=1
	s_or_b32 exec_lo, exec_lo, s20
.LBB340_240:                            ;   in Loop: Header=BB340_9 Depth=1
	s_or_b32 exec_lo, exec_lo, s19
.LBB340_241:                            ;   in Loop: Header=BB340_9 Depth=1
	s_or_b32 exec_lo, exec_lo, s17
	v_cmp_ne_u16_sdwa s6, v33, v15 src0_sel:BYTE_1 src1_sel:DWORD
	s_and_saveexec_b32 s17, s6
	s_cbranch_execz .LBB340_249
; %bb.242:                              ;   in Loop: Header=BB340_9 Depth=1
	v_cmp_ne_u16_sdwa s6, v33, v3 src0_sel:BYTE_1 src1_sel:DWORD
	v_bfrev_b32_e32 v96, 1
	s_and_saveexec_b32 s19, s6
	s_cbranch_execz .LBB340_248
; %bb.243:                              ;   in Loop: Header=BB340_9 Depth=1
	v_and_b32_sdwa v14, v53, v33 dst_sel:DWORD dst_unused:UNUSED_PAD src0_sel:DWORD src1_sel:BYTE_1
	v_mov_b32_e32 v96, 0x7f800001
	s_mov_b32 s20, exec_lo
	v_and_b32_e32 v26, 0x7f, v14
	v_cmpx_ne_u32_e32 0x7f, v26
	s_cbranch_execz .LBB340_247
; %bb.244:                              ;   in Loop: Header=BB340_9 Depth=1
	v_and_b32_e32 v14, 7, v14
	v_lshrrev_b32_e32 v96, 3, v26
	v_cmp_gt_u32_e64 s6, 8, v26
	v_mov_b32_e32 v27, v15
	v_mov_b32_e32 v26, v14
	s_and_saveexec_b32 s21, s6
; %bb.245:                              ;   in Loop: Header=BB340_9 Depth=1
	v_ffbh_u32_e32 v26, v14
	v_min_u32_e32 v28, 32, v26
	v_subrev_nc_u32_e32 v26, 28, v28
	v_sub_nc_u32_e32 v96, 29, v28
	v_lshlrev_b64 v[26:27], v26, v[14:15]
	v_and_b32_e32 v26, 7, v26
; %bb.246:                              ;   in Loop: Header=BB340_9 Depth=1
	s_or_b32 exec_lo, exec_lo, s21
	v_lshlrev_b32_e32 v14, 16, v33
	v_lshlrev_b32_e32 v26, 20, v26
	v_lshl_add_u32 v27, v96, 23, 0x3c000000
	v_and_b32_e32 v14, 0x80000000, v14
	v_or3_b32 v96, v26, v14, v27
.LBB340_247:                            ;   in Loop: Header=BB340_9 Depth=1
	s_or_b32 exec_lo, exec_lo, s20
.LBB340_248:                            ;   in Loop: Header=BB340_9 Depth=1
	s_or_b32 exec_lo, exec_lo, s19
.LBB340_249:                            ;   in Loop: Header=BB340_9 Depth=1
	s_or_b32 exec_lo, exec_lo, s17
	v_and_b32_sdwa v14, v33, v29 dst_sel:DWORD dst_unused:UNUSED_PAD src0_sel:WORD_1 src1_sel:DWORD
	v_mov_b32_e32 v97, 0
	v_mov_b32_e32 v98, 0
	s_mov_b32 s17, exec_lo
	v_cmpx_ne_u16_e32 0, v14
	s_cbranch_execz .LBB340_257
; %bb.250:                              ;   in Loop: Header=BB340_9 Depth=1
	v_bfrev_b32_e32 v98, 1
	s_mov_b32 s19, exec_lo
	v_cmpx_ne_u16_e32 0x80, v14
	s_cbranch_execz .LBB340_256
; %bb.251:                              ;   in Loop: Header=BB340_9 Depth=1
	v_bfe_u32 v26, v33, 16, 7
	v_mov_b32_e32 v98, 0x7f800001
	s_mov_b32 s20, exec_lo
	v_cmpx_ne_u32_e32 0x7f, v26
	s_cbranch_execz .LBB340_255
; %bb.252:                              ;   in Loop: Header=BB340_9 Depth=1
	v_and_b32_sdwa v14, v33, v90 dst_sel:DWORD dst_unused:UNUSED_PAD src0_sel:WORD_1 src1_sel:DWORD
	v_lshrrev_b32_e32 v98, 3, v26
	v_cmp_gt_u32_e64 s6, 8, v26
	v_mov_b32_e32 v27, v15
	v_mov_b32_e32 v26, v14
	s_and_saveexec_b32 s21, s6
; %bb.253:                              ;   in Loop: Header=BB340_9 Depth=1
	v_ffbh_u32_e32 v26, v14
	v_min_u32_e32 v28, 32, v26
	v_subrev_nc_u32_e32 v26, 28, v28
	v_sub_nc_u32_e32 v98, 29, v28
	v_lshlrev_b64 v[26:27], v26, v[14:15]
	v_and_b32_e32 v26, 7, v26
; %bb.254:                              ;   in Loop: Header=BB340_9 Depth=1
	s_or_b32 exec_lo, exec_lo, s21
	v_lshlrev_b32_sdwa v14, v23, v33 dst_sel:DWORD dst_unused:UNUSED_PAD src0_sel:DWORD src1_sel:WORD_1
	v_lshlrev_b32_e32 v26, 20, v26
	v_lshl_add_u32 v27, v98, 23, 0x3c000000
	v_and_b32_e32 v14, 0x80000000, v14
	v_or3_b32 v98, v26, v14, v27
.LBB340_255:                            ;   in Loop: Header=BB340_9 Depth=1
	s_or_b32 exec_lo, exec_lo, s20
.LBB340_256:                            ;   in Loop: Header=BB340_9 Depth=1
	s_or_b32 exec_lo, exec_lo, s19
.LBB340_257:                            ;   in Loop: Header=BB340_9 Depth=1
	s_or_b32 exec_lo, exec_lo, s17
	s_mov_b32 s17, exec_lo
	v_cmpx_lt_u32_e32 0xffffff, v33
	s_cbranch_execz .LBB340_265
; %bb.258:                              ;   in Loop: Header=BB340_9 Depth=1
	v_cmp_ne_u32_sdwa s6, v33, v3 src0_sel:BYTE_3 src1_sel:DWORD
	v_bfrev_b32_e32 v97, 1
	s_and_saveexec_b32 s19, s6
	s_cbranch_execz .LBB340_264
; %bb.259:                              ;   in Loop: Header=BB340_9 Depth=1
	v_bfe_u32 v26, v33, 24, 7
	v_mov_b32_e32 v97, 0x7f800001
	s_mov_b32 s20, exec_lo
	v_cmpx_ne_u32_e32 0x7f, v26
	s_cbranch_execz .LBB340_263
; %bb.260:                              ;   in Loop: Header=BB340_9 Depth=1
	v_and_b32_sdwa v14, v33, v90 dst_sel:DWORD dst_unused:UNUSED_PAD src0_sel:BYTE_3 src1_sel:DWORD
	v_lshrrev_b32_e32 v97, 3, v26
	v_cmp_gt_u32_e64 s6, 8, v26
	v_mov_b32_e32 v27, v15
	v_mov_b32_e32 v26, v14
	s_and_saveexec_b32 s21, s6
; %bb.261:                              ;   in Loop: Header=BB340_9 Depth=1
	v_ffbh_u32_e32 v26, v14
	v_min_u32_e32 v28, 32, v26
	v_subrev_nc_u32_e32 v26, 28, v28
	v_sub_nc_u32_e32 v97, 29, v28
	v_lshlrev_b64 v[26:27], v26, v[14:15]
	v_and_b32_e32 v26, 7, v26
; %bb.262:                              ;   in Loop: Header=BB340_9 Depth=1
	s_or_b32 exec_lo, exec_lo, s21
	v_lshlrev_b32_sdwa v14, v23, v33 dst_sel:DWORD dst_unused:UNUSED_PAD src0_sel:DWORD src1_sel:BYTE_3
	v_lshlrev_b32_e32 v26, 20, v26
	v_lshl_add_u32 v27, v97, 23, 0x3c000000
	v_and_b32_e32 v14, 0x80000000, v14
	v_or3_b32 v97, v26, v14, v27
.LBB340_263:                            ;   in Loop: Header=BB340_9 Depth=1
	s_or_b32 exec_lo, exec_lo, s20
.LBB340_264:                            ;   in Loop: Header=BB340_9 Depth=1
	s_or_b32 exec_lo, exec_lo, s19
.LBB340_265:                            ;   in Loop: Header=BB340_9 Depth=1
	s_or_b32 exec_lo, exec_lo, s17
	flat_load_dword v33, v[24:25] offset:1024
	v_mov_b32_e32 v100, 0
	v_mov_b32_e32 v99, 0
	s_waitcnt vmcnt(0) lgkmcnt(0)
	v_cmp_ne_u16_sdwa s6, v33, v15 src0_sel:BYTE_0 src1_sel:DWORD
	s_and_saveexec_b32 s17, s6
	s_cbranch_execz .LBB340_273
; %bb.266:                              ;   in Loop: Header=BB340_9 Depth=1
	v_cmp_ne_u16_sdwa s6, v33, v3 src0_sel:BYTE_0 src1_sel:DWORD
	v_bfrev_b32_e32 v99, 1
	s_and_saveexec_b32 s19, s6
	s_cbranch_execz .LBB340_272
; %bb.267:                              ;   in Loop: Header=BB340_9 Depth=1
	v_and_b32_e32 v26, 0x7f, v33
	v_mov_b32_e32 v99, 0x7f800001
	s_mov_b32 s20, exec_lo
	v_cmpx_ne_u32_e32 0x7f, v26
	s_cbranch_execz .LBB340_271
; %bb.268:                              ;   in Loop: Header=BB340_9 Depth=1
	v_and_b32_e32 v14, 7, v33
	v_lshrrev_b32_e32 v99, 3, v26
	v_cmp_gt_u32_e64 s6, 8, v26
	v_mov_b32_e32 v27, v15
	v_mov_b32_e32 v26, v14
	s_and_saveexec_b32 s21, s6
; %bb.269:                              ;   in Loop: Header=BB340_9 Depth=1
	v_ffbh_u32_e32 v26, v14
	v_min_u32_e32 v28, 32, v26
	v_subrev_nc_u32_e32 v26, 28, v28
	v_sub_nc_u32_e32 v99, 29, v28
	v_lshlrev_b64 v[26:27], v26, v[14:15]
	v_and_b32_e32 v26, 7, v26
; %bb.270:                              ;   in Loop: Header=BB340_9 Depth=1
	s_or_b32 exec_lo, exec_lo, s21
	v_lshlrev_b32_e32 v14, 24, v33
	v_lshlrev_b32_e32 v26, 20, v26
	v_lshl_add_u32 v27, v99, 23, 0x3c000000
	v_and_b32_e32 v14, 0x80000000, v14
	v_or3_b32 v99, v26, v14, v27
.LBB340_271:                            ;   in Loop: Header=BB340_9 Depth=1
	s_or_b32 exec_lo, exec_lo, s20
.LBB340_272:                            ;   in Loop: Header=BB340_9 Depth=1
	s_or_b32 exec_lo, exec_lo, s19
.LBB340_273:                            ;   in Loop: Header=BB340_9 Depth=1
	s_or_b32 exec_lo, exec_lo, s17
	v_cmp_ne_u16_sdwa s6, v33, v15 src0_sel:BYTE_1 src1_sel:DWORD
	s_and_saveexec_b32 s17, s6
	s_cbranch_execz .LBB340_281
; %bb.274:                              ;   in Loop: Header=BB340_9 Depth=1
	v_cmp_ne_u16_sdwa s6, v33, v3 src0_sel:BYTE_1 src1_sel:DWORD
	v_bfrev_b32_e32 v100, 1
	s_and_saveexec_b32 s19, s6
	s_cbranch_execz .LBB340_280
; %bb.275:                              ;   in Loop: Header=BB340_9 Depth=1
	v_and_b32_sdwa v14, v53, v33 dst_sel:DWORD dst_unused:UNUSED_PAD src0_sel:DWORD src1_sel:BYTE_1
	v_mov_b32_e32 v100, 0x7f800001
	s_mov_b32 s20, exec_lo
	v_and_b32_e32 v26, 0x7f, v14
	v_cmpx_ne_u32_e32 0x7f, v26
	s_cbranch_execz .LBB340_279
; %bb.276:                              ;   in Loop: Header=BB340_9 Depth=1
	v_and_b32_e32 v14, 7, v14
	v_lshrrev_b32_e32 v100, 3, v26
	v_cmp_gt_u32_e64 s6, 8, v26
	v_mov_b32_e32 v27, v15
	v_mov_b32_e32 v26, v14
	s_and_saveexec_b32 s21, s6
; %bb.277:                              ;   in Loop: Header=BB340_9 Depth=1
	v_ffbh_u32_e32 v26, v14
	v_min_u32_e32 v28, 32, v26
	v_subrev_nc_u32_e32 v26, 28, v28
	v_sub_nc_u32_e32 v100, 29, v28
	v_lshlrev_b64 v[26:27], v26, v[14:15]
	v_and_b32_e32 v26, 7, v26
; %bb.278:                              ;   in Loop: Header=BB340_9 Depth=1
	s_or_b32 exec_lo, exec_lo, s21
	v_lshlrev_b32_e32 v14, 16, v33
	v_lshlrev_b32_e32 v26, 20, v26
	v_lshl_add_u32 v27, v100, 23, 0x3c000000
	v_and_b32_e32 v14, 0x80000000, v14
	v_or3_b32 v100, v26, v14, v27
.LBB340_279:                            ;   in Loop: Header=BB340_9 Depth=1
	s_or_b32 exec_lo, exec_lo, s20
.LBB340_280:                            ;   in Loop: Header=BB340_9 Depth=1
	s_or_b32 exec_lo, exec_lo, s19
.LBB340_281:                            ;   in Loop: Header=BB340_9 Depth=1
	s_or_b32 exec_lo, exec_lo, s17
	v_and_b32_sdwa v14, v33, v29 dst_sel:DWORD dst_unused:UNUSED_PAD src0_sel:WORD_1 src1_sel:DWORD
	v_mov_b32_e32 v101, 0
	v_mov_b32_e32 v102, 0
	s_mov_b32 s17, exec_lo
	v_cmpx_ne_u16_e32 0, v14
	s_cbranch_execz .LBB340_289
; %bb.282:                              ;   in Loop: Header=BB340_9 Depth=1
	v_bfrev_b32_e32 v102, 1
	s_mov_b32 s19, exec_lo
	v_cmpx_ne_u16_e32 0x80, v14
	s_cbranch_execz .LBB340_288
; %bb.283:                              ;   in Loop: Header=BB340_9 Depth=1
	v_bfe_u32 v26, v33, 16, 7
	v_mov_b32_e32 v102, 0x7f800001
	s_mov_b32 s20, exec_lo
	v_cmpx_ne_u32_e32 0x7f, v26
	s_cbranch_execz .LBB340_287
; %bb.284:                              ;   in Loop: Header=BB340_9 Depth=1
	v_and_b32_sdwa v14, v33, v90 dst_sel:DWORD dst_unused:UNUSED_PAD src0_sel:WORD_1 src1_sel:DWORD
	v_lshrrev_b32_e32 v102, 3, v26
	v_cmp_gt_u32_e64 s6, 8, v26
	v_mov_b32_e32 v27, v15
	v_mov_b32_e32 v26, v14
	s_and_saveexec_b32 s21, s6
; %bb.285:                              ;   in Loop: Header=BB340_9 Depth=1
	v_ffbh_u32_e32 v26, v14
	v_min_u32_e32 v28, 32, v26
	v_subrev_nc_u32_e32 v26, 28, v28
	v_sub_nc_u32_e32 v102, 29, v28
	v_lshlrev_b64 v[26:27], v26, v[14:15]
	v_and_b32_e32 v26, 7, v26
; %bb.286:                              ;   in Loop: Header=BB340_9 Depth=1
	s_or_b32 exec_lo, exec_lo, s21
	v_lshlrev_b32_sdwa v14, v23, v33 dst_sel:DWORD dst_unused:UNUSED_PAD src0_sel:DWORD src1_sel:WORD_1
	v_lshlrev_b32_e32 v26, 20, v26
	v_lshl_add_u32 v27, v102, 23, 0x3c000000
	v_and_b32_e32 v14, 0x80000000, v14
	v_or3_b32 v102, v26, v14, v27
.LBB340_287:                            ;   in Loop: Header=BB340_9 Depth=1
	s_or_b32 exec_lo, exec_lo, s20
.LBB340_288:                            ;   in Loop: Header=BB340_9 Depth=1
	s_or_b32 exec_lo, exec_lo, s19
.LBB340_289:                            ;   in Loop: Header=BB340_9 Depth=1
	s_or_b32 exec_lo, exec_lo, s17
	s_mov_b32 s17, exec_lo
	v_cmpx_lt_u32_e32 0xffffff, v33
	s_cbranch_execz .LBB340_297
; %bb.290:                              ;   in Loop: Header=BB340_9 Depth=1
	v_cmp_ne_u32_sdwa s6, v33, v3 src0_sel:BYTE_3 src1_sel:DWORD
	v_bfrev_b32_e32 v101, 1
	s_and_saveexec_b32 s19, s6
	s_cbranch_execz .LBB340_296
; %bb.291:                              ;   in Loop: Header=BB340_9 Depth=1
	v_bfe_u32 v26, v33, 24, 7
	v_mov_b32_e32 v101, 0x7f800001
	s_mov_b32 s20, exec_lo
	v_cmpx_ne_u32_e32 0x7f, v26
	s_cbranch_execz .LBB340_295
; %bb.292:                              ;   in Loop: Header=BB340_9 Depth=1
	v_and_b32_sdwa v14, v33, v90 dst_sel:DWORD dst_unused:UNUSED_PAD src0_sel:BYTE_3 src1_sel:DWORD
	v_lshrrev_b32_e32 v101, 3, v26
	v_cmp_gt_u32_e64 s6, 8, v26
	v_mov_b32_e32 v27, v15
	v_mov_b32_e32 v26, v14
	s_and_saveexec_b32 s21, s6
; %bb.293:                              ;   in Loop: Header=BB340_9 Depth=1
	v_ffbh_u32_e32 v26, v14
	v_min_u32_e32 v28, 32, v26
	v_subrev_nc_u32_e32 v26, 28, v28
	v_sub_nc_u32_e32 v101, 29, v28
	v_lshlrev_b64 v[26:27], v26, v[14:15]
	v_and_b32_e32 v26, 7, v26
; %bb.294:                              ;   in Loop: Header=BB340_9 Depth=1
	s_or_b32 exec_lo, exec_lo, s21
	v_lshlrev_b32_sdwa v14, v23, v33 dst_sel:DWORD dst_unused:UNUSED_PAD src0_sel:DWORD src1_sel:BYTE_3
	v_lshlrev_b32_e32 v26, 20, v26
	v_lshl_add_u32 v27, v101, 23, 0x3c000000
	v_and_b32_e32 v14, 0x80000000, v14
	v_or3_b32 v101, v26, v14, v27
.LBB340_295:                            ;   in Loop: Header=BB340_9 Depth=1
	s_or_b32 exec_lo, exec_lo, s20
.LBB340_296:                            ;   in Loop: Header=BB340_9 Depth=1
	s_or_b32 exec_lo, exec_lo, s19
.LBB340_297:                            ;   in Loop: Header=BB340_9 Depth=1
	s_or_b32 exec_lo, exec_lo, s17
	flat_load_dword v33, v[24:25] offset:1032
	v_mov_b32_e32 v112, 0
	v_mov_b32_e32 v103, 0
	s_waitcnt vmcnt(0) lgkmcnt(0)
	v_cmp_ne_u16_sdwa s6, v33, v15 src0_sel:BYTE_0 src1_sel:DWORD
	s_and_saveexec_b32 s17, s6
	s_cbranch_execz .LBB340_305
; %bb.298:                              ;   in Loop: Header=BB340_9 Depth=1
	v_cmp_ne_u16_sdwa s6, v33, v3 src0_sel:BYTE_0 src1_sel:DWORD
	v_bfrev_b32_e32 v103, 1
	s_and_saveexec_b32 s19, s6
	s_cbranch_execz .LBB340_304
; %bb.299:                              ;   in Loop: Header=BB340_9 Depth=1
	v_and_b32_e32 v26, 0x7f, v33
	v_mov_b32_e32 v103, 0x7f800001
	s_mov_b32 s20, exec_lo
	v_cmpx_ne_u32_e32 0x7f, v26
	s_cbranch_execz .LBB340_303
; %bb.300:                              ;   in Loop: Header=BB340_9 Depth=1
	v_and_b32_e32 v14, 7, v33
	v_lshrrev_b32_e32 v103, 3, v26
	v_cmp_gt_u32_e64 s6, 8, v26
	v_mov_b32_e32 v27, v15
	v_mov_b32_e32 v26, v14
	s_and_saveexec_b32 s21, s6
; %bb.301:                              ;   in Loop: Header=BB340_9 Depth=1
	v_ffbh_u32_e32 v26, v14
	v_min_u32_e32 v28, 32, v26
	v_subrev_nc_u32_e32 v26, 28, v28
	v_sub_nc_u32_e32 v103, 29, v28
	v_lshlrev_b64 v[26:27], v26, v[14:15]
	v_and_b32_e32 v26, 7, v26
; %bb.302:                              ;   in Loop: Header=BB340_9 Depth=1
	s_or_b32 exec_lo, exec_lo, s21
	v_lshlrev_b32_e32 v14, 24, v33
	v_lshlrev_b32_e32 v26, 20, v26
	v_lshl_add_u32 v27, v103, 23, 0x3c000000
	v_and_b32_e32 v14, 0x80000000, v14
	v_or3_b32 v103, v26, v14, v27
.LBB340_303:                            ;   in Loop: Header=BB340_9 Depth=1
	s_or_b32 exec_lo, exec_lo, s20
.LBB340_304:                            ;   in Loop: Header=BB340_9 Depth=1
	s_or_b32 exec_lo, exec_lo, s19
.LBB340_305:                            ;   in Loop: Header=BB340_9 Depth=1
	s_or_b32 exec_lo, exec_lo, s17
	v_cmp_ne_u16_sdwa s6, v33, v15 src0_sel:BYTE_1 src1_sel:DWORD
	s_and_saveexec_b32 s17, s6
	s_cbranch_execz .LBB340_313
; %bb.306:                              ;   in Loop: Header=BB340_9 Depth=1
	v_cmp_ne_u16_sdwa s6, v33, v3 src0_sel:BYTE_1 src1_sel:DWORD
	v_bfrev_b32_e32 v112, 1
	s_and_saveexec_b32 s19, s6
	s_cbranch_execz .LBB340_312
; %bb.307:                              ;   in Loop: Header=BB340_9 Depth=1
	v_and_b32_sdwa v14, v53, v33 dst_sel:DWORD dst_unused:UNUSED_PAD src0_sel:DWORD src1_sel:BYTE_1
	v_mov_b32_e32 v112, 0x7f800001
	s_mov_b32 s20, exec_lo
	v_and_b32_e32 v26, 0x7f, v14
	v_cmpx_ne_u32_e32 0x7f, v26
	s_cbranch_execz .LBB340_311
; %bb.308:                              ;   in Loop: Header=BB340_9 Depth=1
	v_and_b32_e32 v14, 7, v14
	v_lshrrev_b32_e32 v112, 3, v26
	v_cmp_gt_u32_e64 s6, 8, v26
	v_mov_b32_e32 v27, v15
	v_mov_b32_e32 v26, v14
	s_and_saveexec_b32 s21, s6
; %bb.309:                              ;   in Loop: Header=BB340_9 Depth=1
	v_ffbh_u32_e32 v26, v14
	v_min_u32_e32 v28, 32, v26
	v_subrev_nc_u32_e32 v26, 28, v28
	v_sub_nc_u32_e32 v112, 29, v28
	v_lshlrev_b64 v[26:27], v26, v[14:15]
	v_and_b32_e32 v26, 7, v26
; %bb.310:                              ;   in Loop: Header=BB340_9 Depth=1
	s_or_b32 exec_lo, exec_lo, s21
	v_lshlrev_b32_e32 v14, 16, v33
	v_lshlrev_b32_e32 v26, 20, v26
	v_lshl_add_u32 v27, v112, 23, 0x3c000000
	v_and_b32_e32 v14, 0x80000000, v14
	v_or3_b32 v112, v26, v14, v27
.LBB340_311:                            ;   in Loop: Header=BB340_9 Depth=1
	s_or_b32 exec_lo, exec_lo, s20
.LBB340_312:                            ;   in Loop: Header=BB340_9 Depth=1
	s_or_b32 exec_lo, exec_lo, s19
.LBB340_313:                            ;   in Loop: Header=BB340_9 Depth=1
	s_or_b32 exec_lo, exec_lo, s17
	v_and_b32_sdwa v14, v33, v29 dst_sel:DWORD dst_unused:UNUSED_PAD src0_sel:WORD_1 src1_sel:DWORD
	v_mov_b32_e32 v113, 0
	v_mov_b32_e32 v114, 0
	s_mov_b32 s17, exec_lo
	v_cmpx_ne_u16_e32 0, v14
	s_cbranch_execz .LBB340_321
; %bb.314:                              ;   in Loop: Header=BB340_9 Depth=1
	v_bfrev_b32_e32 v114, 1
	s_mov_b32 s19, exec_lo
	v_cmpx_ne_u16_e32 0x80, v14
	s_cbranch_execz .LBB340_320
; %bb.315:                              ;   in Loop: Header=BB340_9 Depth=1
	v_bfe_u32 v26, v33, 16, 7
	v_mov_b32_e32 v114, 0x7f800001
	s_mov_b32 s20, exec_lo
	v_cmpx_ne_u32_e32 0x7f, v26
	s_cbranch_execz .LBB340_319
; %bb.316:                              ;   in Loop: Header=BB340_9 Depth=1
	v_and_b32_sdwa v14, v33, v90 dst_sel:DWORD dst_unused:UNUSED_PAD src0_sel:WORD_1 src1_sel:DWORD
	v_lshrrev_b32_e32 v114, 3, v26
	v_cmp_gt_u32_e64 s6, 8, v26
	v_mov_b32_e32 v27, v15
	v_mov_b32_e32 v26, v14
	s_and_saveexec_b32 s21, s6
; %bb.317:                              ;   in Loop: Header=BB340_9 Depth=1
	v_ffbh_u32_e32 v26, v14
	v_min_u32_e32 v28, 32, v26
	v_subrev_nc_u32_e32 v26, 28, v28
	v_sub_nc_u32_e32 v114, 29, v28
	v_lshlrev_b64 v[26:27], v26, v[14:15]
	v_and_b32_e32 v26, 7, v26
; %bb.318:                              ;   in Loop: Header=BB340_9 Depth=1
	s_or_b32 exec_lo, exec_lo, s21
	v_lshlrev_b32_sdwa v14, v23, v33 dst_sel:DWORD dst_unused:UNUSED_PAD src0_sel:DWORD src1_sel:WORD_1
	v_lshlrev_b32_e32 v26, 20, v26
	v_lshl_add_u32 v27, v114, 23, 0x3c000000
	v_and_b32_e32 v14, 0x80000000, v14
	v_or3_b32 v114, v26, v14, v27
.LBB340_319:                            ;   in Loop: Header=BB340_9 Depth=1
	s_or_b32 exec_lo, exec_lo, s20
.LBB340_320:                            ;   in Loop: Header=BB340_9 Depth=1
	s_or_b32 exec_lo, exec_lo, s19
.LBB340_321:                            ;   in Loop: Header=BB340_9 Depth=1
	s_or_b32 exec_lo, exec_lo, s17
	s_mov_b32 s17, exec_lo
	v_cmpx_lt_u32_e32 0xffffff, v33
	s_cbranch_execz .LBB340_329
; %bb.322:                              ;   in Loop: Header=BB340_9 Depth=1
	v_cmp_ne_u32_sdwa s6, v33, v3 src0_sel:BYTE_3 src1_sel:DWORD
	v_bfrev_b32_e32 v113, 1
	s_and_saveexec_b32 s19, s6
	s_cbranch_execz .LBB340_328
; %bb.323:                              ;   in Loop: Header=BB340_9 Depth=1
	v_bfe_u32 v26, v33, 24, 7
	v_mov_b32_e32 v113, 0x7f800001
	s_mov_b32 s20, exec_lo
	v_cmpx_ne_u32_e32 0x7f, v26
	s_cbranch_execz .LBB340_327
; %bb.324:                              ;   in Loop: Header=BB340_9 Depth=1
	v_and_b32_sdwa v14, v33, v90 dst_sel:DWORD dst_unused:UNUSED_PAD src0_sel:BYTE_3 src1_sel:DWORD
	v_lshrrev_b32_e32 v113, 3, v26
	v_cmp_gt_u32_e64 s6, 8, v26
	v_mov_b32_e32 v27, v15
	v_mov_b32_e32 v26, v14
	s_and_saveexec_b32 s21, s6
; %bb.325:                              ;   in Loop: Header=BB340_9 Depth=1
	v_ffbh_u32_e32 v26, v14
	v_min_u32_e32 v28, 32, v26
	v_subrev_nc_u32_e32 v26, 28, v28
	v_sub_nc_u32_e32 v113, 29, v28
	v_lshlrev_b64 v[26:27], v26, v[14:15]
	v_and_b32_e32 v26, 7, v26
; %bb.326:                              ;   in Loop: Header=BB340_9 Depth=1
	s_or_b32 exec_lo, exec_lo, s21
	v_lshlrev_b32_sdwa v14, v23, v33 dst_sel:DWORD dst_unused:UNUSED_PAD src0_sel:DWORD src1_sel:BYTE_3
	v_lshlrev_b32_e32 v26, 20, v26
	v_lshl_add_u32 v27, v113, 23, 0x3c000000
	v_and_b32_e32 v14, 0x80000000, v14
	v_or3_b32 v113, v26, v14, v27
.LBB340_327:                            ;   in Loop: Header=BB340_9 Depth=1
	s_or_b32 exec_lo, exec_lo, s20
.LBB340_328:                            ;   in Loop: Header=BB340_9 Depth=1
	s_or_b32 exec_lo, exec_lo, s19
.LBB340_329:                            ;   in Loop: Header=BB340_9 Depth=1
	s_or_b32 exec_lo, exec_lo, s17
	flat_load_dword v33, v[24:25] offset:1280
	v_mov_b32_e32 v116, 0
	v_mov_b32_e32 v115, 0
	s_waitcnt vmcnt(0) lgkmcnt(0)
	v_cmp_ne_u16_sdwa s6, v33, v15 src0_sel:BYTE_0 src1_sel:DWORD
	s_and_saveexec_b32 s17, s6
	s_cbranch_execz .LBB340_337
; %bb.330:                              ;   in Loop: Header=BB340_9 Depth=1
	v_cmp_ne_u16_sdwa s6, v33, v3 src0_sel:BYTE_0 src1_sel:DWORD
	v_bfrev_b32_e32 v115, 1
	s_and_saveexec_b32 s19, s6
	s_cbranch_execz .LBB340_336
; %bb.331:                              ;   in Loop: Header=BB340_9 Depth=1
	v_and_b32_e32 v26, 0x7f, v33
	v_mov_b32_e32 v115, 0x7f800001
	s_mov_b32 s20, exec_lo
	v_cmpx_ne_u32_e32 0x7f, v26
	s_cbranch_execz .LBB340_335
; %bb.332:                              ;   in Loop: Header=BB340_9 Depth=1
	v_and_b32_e32 v14, 7, v33
	v_lshrrev_b32_e32 v115, 3, v26
	v_cmp_gt_u32_e64 s6, 8, v26
	v_mov_b32_e32 v27, v15
	v_mov_b32_e32 v26, v14
	s_and_saveexec_b32 s21, s6
; %bb.333:                              ;   in Loop: Header=BB340_9 Depth=1
	v_ffbh_u32_e32 v26, v14
	v_min_u32_e32 v28, 32, v26
	v_subrev_nc_u32_e32 v26, 28, v28
	v_sub_nc_u32_e32 v115, 29, v28
	v_lshlrev_b64 v[26:27], v26, v[14:15]
	v_and_b32_e32 v26, 7, v26
; %bb.334:                              ;   in Loop: Header=BB340_9 Depth=1
	s_or_b32 exec_lo, exec_lo, s21
	v_lshlrev_b32_e32 v14, 24, v33
	v_lshlrev_b32_e32 v26, 20, v26
	v_lshl_add_u32 v27, v115, 23, 0x3c000000
	v_and_b32_e32 v14, 0x80000000, v14
	v_or3_b32 v115, v26, v14, v27
.LBB340_335:                            ;   in Loop: Header=BB340_9 Depth=1
	s_or_b32 exec_lo, exec_lo, s20
.LBB340_336:                            ;   in Loop: Header=BB340_9 Depth=1
	s_or_b32 exec_lo, exec_lo, s19
.LBB340_337:                            ;   in Loop: Header=BB340_9 Depth=1
	s_or_b32 exec_lo, exec_lo, s17
	v_cmp_ne_u16_sdwa s6, v33, v15 src0_sel:BYTE_1 src1_sel:DWORD
	s_and_saveexec_b32 s17, s6
	s_cbranch_execz .LBB340_345
; %bb.338:                              ;   in Loop: Header=BB340_9 Depth=1
	v_cmp_ne_u16_sdwa s6, v33, v3 src0_sel:BYTE_1 src1_sel:DWORD
	v_bfrev_b32_e32 v116, 1
	s_and_saveexec_b32 s19, s6
	s_cbranch_execz .LBB340_344
; %bb.339:                              ;   in Loop: Header=BB340_9 Depth=1
	v_and_b32_sdwa v14, v53, v33 dst_sel:DWORD dst_unused:UNUSED_PAD src0_sel:DWORD src1_sel:BYTE_1
	v_mov_b32_e32 v116, 0x7f800001
	s_mov_b32 s20, exec_lo
	v_and_b32_e32 v26, 0x7f, v14
	v_cmpx_ne_u32_e32 0x7f, v26
	s_cbranch_execz .LBB340_343
; %bb.340:                              ;   in Loop: Header=BB340_9 Depth=1
	v_and_b32_e32 v14, 7, v14
	v_lshrrev_b32_e32 v116, 3, v26
	v_cmp_gt_u32_e64 s6, 8, v26
	v_mov_b32_e32 v27, v15
	v_mov_b32_e32 v26, v14
	s_and_saveexec_b32 s21, s6
; %bb.341:                              ;   in Loop: Header=BB340_9 Depth=1
	v_ffbh_u32_e32 v26, v14
	v_min_u32_e32 v28, 32, v26
	v_subrev_nc_u32_e32 v26, 28, v28
	v_sub_nc_u32_e32 v116, 29, v28
	v_lshlrev_b64 v[26:27], v26, v[14:15]
	v_and_b32_e32 v26, 7, v26
; %bb.342:                              ;   in Loop: Header=BB340_9 Depth=1
	s_or_b32 exec_lo, exec_lo, s21
	v_lshlrev_b32_e32 v14, 16, v33
	v_lshlrev_b32_e32 v26, 20, v26
	v_lshl_add_u32 v27, v116, 23, 0x3c000000
	v_and_b32_e32 v14, 0x80000000, v14
	v_or3_b32 v116, v26, v14, v27
.LBB340_343:                            ;   in Loop: Header=BB340_9 Depth=1
	s_or_b32 exec_lo, exec_lo, s20
.LBB340_344:                            ;   in Loop: Header=BB340_9 Depth=1
	s_or_b32 exec_lo, exec_lo, s19
.LBB340_345:                            ;   in Loop: Header=BB340_9 Depth=1
	s_or_b32 exec_lo, exec_lo, s17
	v_and_b32_sdwa v14, v33, v29 dst_sel:DWORD dst_unused:UNUSED_PAD src0_sel:WORD_1 src1_sel:DWORD
	v_mov_b32_e32 v117, 0
	v_mov_b32_e32 v118, 0
	s_mov_b32 s17, exec_lo
	v_cmpx_ne_u16_e32 0, v14
	s_cbranch_execz .LBB340_353
; %bb.346:                              ;   in Loop: Header=BB340_9 Depth=1
	v_bfrev_b32_e32 v118, 1
	s_mov_b32 s19, exec_lo
	v_cmpx_ne_u16_e32 0x80, v14
	s_cbranch_execz .LBB340_352
; %bb.347:                              ;   in Loop: Header=BB340_9 Depth=1
	v_bfe_u32 v26, v33, 16, 7
	v_mov_b32_e32 v118, 0x7f800001
	s_mov_b32 s20, exec_lo
	v_cmpx_ne_u32_e32 0x7f, v26
	s_cbranch_execz .LBB340_351
; %bb.348:                              ;   in Loop: Header=BB340_9 Depth=1
	v_and_b32_sdwa v14, v33, v90 dst_sel:DWORD dst_unused:UNUSED_PAD src0_sel:WORD_1 src1_sel:DWORD
	v_lshrrev_b32_e32 v118, 3, v26
	v_cmp_gt_u32_e64 s6, 8, v26
	v_mov_b32_e32 v27, v15
	v_mov_b32_e32 v26, v14
	s_and_saveexec_b32 s21, s6
; %bb.349:                              ;   in Loop: Header=BB340_9 Depth=1
	v_ffbh_u32_e32 v26, v14
	v_min_u32_e32 v28, 32, v26
	v_subrev_nc_u32_e32 v26, 28, v28
	v_sub_nc_u32_e32 v118, 29, v28
	v_lshlrev_b64 v[26:27], v26, v[14:15]
	v_and_b32_e32 v26, 7, v26
; %bb.350:                              ;   in Loop: Header=BB340_9 Depth=1
	s_or_b32 exec_lo, exec_lo, s21
	v_lshlrev_b32_sdwa v14, v23, v33 dst_sel:DWORD dst_unused:UNUSED_PAD src0_sel:DWORD src1_sel:WORD_1
	v_lshlrev_b32_e32 v26, 20, v26
	v_lshl_add_u32 v27, v118, 23, 0x3c000000
	v_and_b32_e32 v14, 0x80000000, v14
	v_or3_b32 v118, v26, v14, v27
.LBB340_351:                            ;   in Loop: Header=BB340_9 Depth=1
	s_or_b32 exec_lo, exec_lo, s20
.LBB340_352:                            ;   in Loop: Header=BB340_9 Depth=1
	s_or_b32 exec_lo, exec_lo, s19
.LBB340_353:                            ;   in Loop: Header=BB340_9 Depth=1
	s_or_b32 exec_lo, exec_lo, s17
	s_mov_b32 s17, exec_lo
	v_cmpx_lt_u32_e32 0xffffff, v33
	s_cbranch_execz .LBB340_361
; %bb.354:                              ;   in Loop: Header=BB340_9 Depth=1
	v_cmp_ne_u32_sdwa s6, v33, v3 src0_sel:BYTE_3 src1_sel:DWORD
	v_bfrev_b32_e32 v117, 1
	s_and_saveexec_b32 s19, s6
	s_cbranch_execz .LBB340_360
; %bb.355:                              ;   in Loop: Header=BB340_9 Depth=1
	v_bfe_u32 v26, v33, 24, 7
	v_mov_b32_e32 v117, 0x7f800001
	s_mov_b32 s20, exec_lo
	v_cmpx_ne_u32_e32 0x7f, v26
	s_cbranch_execz .LBB340_359
; %bb.356:                              ;   in Loop: Header=BB340_9 Depth=1
	v_and_b32_sdwa v14, v33, v90 dst_sel:DWORD dst_unused:UNUSED_PAD src0_sel:BYTE_3 src1_sel:DWORD
	v_lshrrev_b32_e32 v117, 3, v26
	v_cmp_gt_u32_e64 s6, 8, v26
	v_mov_b32_e32 v27, v15
	v_mov_b32_e32 v26, v14
	s_and_saveexec_b32 s21, s6
; %bb.357:                              ;   in Loop: Header=BB340_9 Depth=1
	v_ffbh_u32_e32 v26, v14
	v_min_u32_e32 v28, 32, v26
	v_subrev_nc_u32_e32 v26, 28, v28
	v_sub_nc_u32_e32 v117, 29, v28
	v_lshlrev_b64 v[26:27], v26, v[14:15]
	v_and_b32_e32 v26, 7, v26
; %bb.358:                              ;   in Loop: Header=BB340_9 Depth=1
	s_or_b32 exec_lo, exec_lo, s21
	v_lshlrev_b32_sdwa v14, v23, v33 dst_sel:DWORD dst_unused:UNUSED_PAD src0_sel:DWORD src1_sel:BYTE_3
	v_lshlrev_b32_e32 v26, 20, v26
	v_lshl_add_u32 v27, v117, 23, 0x3c000000
	v_and_b32_e32 v14, 0x80000000, v14
	v_or3_b32 v117, v26, v14, v27
.LBB340_359:                            ;   in Loop: Header=BB340_9 Depth=1
	s_or_b32 exec_lo, exec_lo, s20
.LBB340_360:                            ;   in Loop: Header=BB340_9 Depth=1
	s_or_b32 exec_lo, exec_lo, s19
.LBB340_361:                            ;   in Loop: Header=BB340_9 Depth=1
	s_or_b32 exec_lo, exec_lo, s17
	flat_load_dword v33, v[24:25] offset:1288
	v_mov_b32_e32 v40, 0
	v_mov_b32_e32 v119, 0
	s_waitcnt vmcnt(0) lgkmcnt(0)
	v_cmp_ne_u16_sdwa s6, v33, v15 src0_sel:BYTE_0 src1_sel:DWORD
	s_and_saveexec_b32 s17, s6
	s_cbranch_execz .LBB340_369
; %bb.362:                              ;   in Loop: Header=BB340_9 Depth=1
	v_cmp_ne_u16_sdwa s6, v33, v3 src0_sel:BYTE_0 src1_sel:DWORD
	v_bfrev_b32_e32 v119, 1
	s_and_saveexec_b32 s19, s6
	s_cbranch_execz .LBB340_368
; %bb.363:                              ;   in Loop: Header=BB340_9 Depth=1
	v_and_b32_e32 v26, 0x7f, v33
	v_mov_b32_e32 v119, 0x7f800001
	s_mov_b32 s20, exec_lo
	v_cmpx_ne_u32_e32 0x7f, v26
	s_cbranch_execz .LBB340_367
; %bb.364:                              ;   in Loop: Header=BB340_9 Depth=1
	v_and_b32_e32 v14, 7, v33
	v_lshrrev_b32_e32 v119, 3, v26
	v_cmp_gt_u32_e64 s6, 8, v26
	v_mov_b32_e32 v27, v15
	v_mov_b32_e32 v26, v14
	s_and_saveexec_b32 s21, s6
; %bb.365:                              ;   in Loop: Header=BB340_9 Depth=1
	v_ffbh_u32_e32 v26, v14
	v_min_u32_e32 v28, 32, v26
	v_subrev_nc_u32_e32 v26, 28, v28
	v_sub_nc_u32_e32 v119, 29, v28
	v_lshlrev_b64 v[26:27], v26, v[14:15]
	v_and_b32_e32 v26, 7, v26
; %bb.366:                              ;   in Loop: Header=BB340_9 Depth=1
	s_or_b32 exec_lo, exec_lo, s21
	v_lshlrev_b32_e32 v14, 24, v33
	v_lshlrev_b32_e32 v26, 20, v26
	v_lshl_add_u32 v27, v119, 23, 0x3c000000
	v_and_b32_e32 v14, 0x80000000, v14
	v_or3_b32 v119, v26, v14, v27
.LBB340_367:                            ;   in Loop: Header=BB340_9 Depth=1
	s_or_b32 exec_lo, exec_lo, s20
.LBB340_368:                            ;   in Loop: Header=BB340_9 Depth=1
	s_or_b32 exec_lo, exec_lo, s19
.LBB340_369:                            ;   in Loop: Header=BB340_9 Depth=1
	s_or_b32 exec_lo, exec_lo, s17
	v_cmp_ne_u16_sdwa s6, v33, v15 src0_sel:BYTE_1 src1_sel:DWORD
	s_and_saveexec_b32 s17, s6
	s_cbranch_execz .LBB340_377
; %bb.370:                              ;   in Loop: Header=BB340_9 Depth=1
	v_cmp_ne_u16_sdwa s6, v33, v3 src0_sel:BYTE_1 src1_sel:DWORD
	v_bfrev_b32_e32 v40, 1
	s_and_saveexec_b32 s19, s6
	s_cbranch_execz .LBB340_376
; %bb.371:                              ;   in Loop: Header=BB340_9 Depth=1
	v_and_b32_sdwa v14, v53, v33 dst_sel:DWORD dst_unused:UNUSED_PAD src0_sel:DWORD src1_sel:BYTE_1
	v_mov_b32_e32 v40, 0x7f800001
	s_mov_b32 s20, exec_lo
	v_and_b32_e32 v26, 0x7f, v14
	v_cmpx_ne_u32_e32 0x7f, v26
	s_cbranch_execz .LBB340_375
; %bb.372:                              ;   in Loop: Header=BB340_9 Depth=1
	v_and_b32_e32 v14, 7, v14
	v_lshrrev_b32_e32 v40, 3, v26
	v_cmp_gt_u32_e64 s6, 8, v26
	v_mov_b32_e32 v27, v15
	v_mov_b32_e32 v26, v14
	s_and_saveexec_b32 s21, s6
; %bb.373:                              ;   in Loop: Header=BB340_9 Depth=1
	v_ffbh_u32_e32 v26, v14
	v_min_u32_e32 v28, 32, v26
	v_subrev_nc_u32_e32 v26, 28, v28
	v_sub_nc_u32_e32 v40, 29, v28
	v_lshlrev_b64 v[26:27], v26, v[14:15]
	v_and_b32_e32 v26, 7, v26
; %bb.374:                              ;   in Loop: Header=BB340_9 Depth=1
	s_or_b32 exec_lo, exec_lo, s21
	v_lshlrev_b32_e32 v14, 16, v33
	v_lshlrev_b32_e32 v26, 20, v26
	v_lshl_add_u32 v27, v40, 23, 0x3c000000
	v_and_b32_e32 v14, 0x80000000, v14
	v_or3_b32 v40, v26, v14, v27
.LBB340_375:                            ;   in Loop: Header=BB340_9 Depth=1
	s_or_b32 exec_lo, exec_lo, s20
.LBB340_376:                            ;   in Loop: Header=BB340_9 Depth=1
	s_or_b32 exec_lo, exec_lo, s19
.LBB340_377:                            ;   in Loop: Header=BB340_9 Depth=1
	s_or_b32 exec_lo, exec_lo, s17
	v_and_b32_sdwa v14, v33, v29 dst_sel:DWORD dst_unused:UNUSED_PAD src0_sel:WORD_1 src1_sel:DWORD
	v_mov_b32_e32 v41, 0
	v_mov_b32_e32 v42, 0
	s_mov_b32 s17, exec_lo
	v_cmpx_ne_u16_e32 0, v14
	s_cbranch_execz .LBB340_385
; %bb.378:                              ;   in Loop: Header=BB340_9 Depth=1
	v_bfrev_b32_e32 v42, 1
	s_mov_b32 s19, exec_lo
	v_cmpx_ne_u16_e32 0x80, v14
	s_cbranch_execz .LBB340_384
; %bb.379:                              ;   in Loop: Header=BB340_9 Depth=1
	v_bfe_u32 v26, v33, 16, 7
	v_mov_b32_e32 v42, 0x7f800001
	s_mov_b32 s20, exec_lo
	v_cmpx_ne_u32_e32 0x7f, v26
	s_cbranch_execz .LBB340_383
; %bb.380:                              ;   in Loop: Header=BB340_9 Depth=1
	v_and_b32_sdwa v14, v33, v90 dst_sel:DWORD dst_unused:UNUSED_PAD src0_sel:WORD_1 src1_sel:DWORD
	v_lshrrev_b32_e32 v42, 3, v26
	v_cmp_gt_u32_e64 s6, 8, v26
	v_mov_b32_e32 v27, v15
	v_mov_b32_e32 v26, v14
	s_and_saveexec_b32 s21, s6
; %bb.381:                              ;   in Loop: Header=BB340_9 Depth=1
	v_ffbh_u32_e32 v26, v14
	v_min_u32_e32 v28, 32, v26
	v_subrev_nc_u32_e32 v26, 28, v28
	v_sub_nc_u32_e32 v42, 29, v28
	v_lshlrev_b64 v[26:27], v26, v[14:15]
	v_and_b32_e32 v26, 7, v26
; %bb.382:                              ;   in Loop: Header=BB340_9 Depth=1
	s_or_b32 exec_lo, exec_lo, s21
	v_lshlrev_b32_sdwa v14, v23, v33 dst_sel:DWORD dst_unused:UNUSED_PAD src0_sel:DWORD src1_sel:WORD_1
	v_lshlrev_b32_e32 v26, 20, v26
	v_lshl_add_u32 v27, v42, 23, 0x3c000000
	v_and_b32_e32 v14, 0x80000000, v14
	v_or3_b32 v42, v26, v14, v27
.LBB340_383:                            ;   in Loop: Header=BB340_9 Depth=1
	s_or_b32 exec_lo, exec_lo, s20
.LBB340_384:                            ;   in Loop: Header=BB340_9 Depth=1
	s_or_b32 exec_lo, exec_lo, s19
.LBB340_385:                            ;   in Loop: Header=BB340_9 Depth=1
	s_or_b32 exec_lo, exec_lo, s17
	s_mov_b32 s17, exec_lo
	v_cmpx_lt_u32_e32 0xffffff, v33
	s_cbranch_execz .LBB340_393
; %bb.386:                              ;   in Loop: Header=BB340_9 Depth=1
	v_cmp_ne_u32_sdwa s6, v33, v3 src0_sel:BYTE_3 src1_sel:DWORD
	v_bfrev_b32_e32 v41, 1
	s_and_saveexec_b32 s19, s6
	s_cbranch_execz .LBB340_392
; %bb.387:                              ;   in Loop: Header=BB340_9 Depth=1
	v_bfe_u32 v26, v33, 24, 7
	v_mov_b32_e32 v41, 0x7f800001
	s_mov_b32 s20, exec_lo
	v_cmpx_ne_u32_e32 0x7f, v26
	s_cbranch_execz .LBB340_391
; %bb.388:                              ;   in Loop: Header=BB340_9 Depth=1
	v_and_b32_sdwa v14, v33, v90 dst_sel:DWORD dst_unused:UNUSED_PAD src0_sel:BYTE_3 src1_sel:DWORD
	v_lshrrev_b32_e32 v41, 3, v26
	v_cmp_gt_u32_e64 s6, 8, v26
	v_mov_b32_e32 v27, v15
	v_mov_b32_e32 v26, v14
	s_and_saveexec_b32 s21, s6
; %bb.389:                              ;   in Loop: Header=BB340_9 Depth=1
	v_ffbh_u32_e32 v26, v14
	v_min_u32_e32 v28, 32, v26
	v_subrev_nc_u32_e32 v26, 28, v28
	v_sub_nc_u32_e32 v41, 29, v28
	v_lshlrev_b64 v[26:27], v26, v[14:15]
	v_and_b32_e32 v26, 7, v26
; %bb.390:                              ;   in Loop: Header=BB340_9 Depth=1
	s_or_b32 exec_lo, exec_lo, s21
	v_lshlrev_b32_sdwa v14, v23, v33 dst_sel:DWORD dst_unused:UNUSED_PAD src0_sel:DWORD src1_sel:BYTE_3
	v_lshlrev_b32_e32 v26, 20, v26
	v_lshl_add_u32 v27, v41, 23, 0x3c000000
	v_and_b32_e32 v14, 0x80000000, v14
	v_or3_b32 v41, v26, v14, v27
.LBB340_391:                            ;   in Loop: Header=BB340_9 Depth=1
	s_or_b32 exec_lo, exec_lo, s20
.LBB340_392:                            ;   in Loop: Header=BB340_9 Depth=1
	s_or_b32 exec_lo, exec_lo, s19
.LBB340_393:                            ;   in Loop: Header=BB340_9 Depth=1
	s_or_b32 exec_lo, exec_lo, s17
	flat_load_dword v33, v[24:25] offset:1536
	v_mov_b32_e32 v44, 0
	v_mov_b32_e32 v43, 0
	s_waitcnt vmcnt(0) lgkmcnt(0)
	v_cmp_ne_u16_sdwa s6, v33, v15 src0_sel:BYTE_0 src1_sel:DWORD
	s_and_saveexec_b32 s17, s6
	s_cbranch_execz .LBB340_401
; %bb.394:                              ;   in Loop: Header=BB340_9 Depth=1
	v_cmp_ne_u16_sdwa s6, v33, v3 src0_sel:BYTE_0 src1_sel:DWORD
	v_bfrev_b32_e32 v43, 1
	s_and_saveexec_b32 s19, s6
	s_cbranch_execz .LBB340_400
; %bb.395:                              ;   in Loop: Header=BB340_9 Depth=1
	v_and_b32_e32 v26, 0x7f, v33
	v_mov_b32_e32 v43, 0x7f800001
	s_mov_b32 s20, exec_lo
	v_cmpx_ne_u32_e32 0x7f, v26
	s_cbranch_execz .LBB340_399
; %bb.396:                              ;   in Loop: Header=BB340_9 Depth=1
	v_and_b32_e32 v14, 7, v33
	v_lshrrev_b32_e32 v43, 3, v26
	v_cmp_gt_u32_e64 s6, 8, v26
	v_mov_b32_e32 v27, v15
	v_mov_b32_e32 v26, v14
	s_and_saveexec_b32 s21, s6
; %bb.397:                              ;   in Loop: Header=BB340_9 Depth=1
	v_ffbh_u32_e32 v26, v14
	v_min_u32_e32 v28, 32, v26
	v_subrev_nc_u32_e32 v26, 28, v28
	v_sub_nc_u32_e32 v43, 29, v28
	v_lshlrev_b64 v[26:27], v26, v[14:15]
	v_and_b32_e32 v26, 7, v26
; %bb.398:                              ;   in Loop: Header=BB340_9 Depth=1
	s_or_b32 exec_lo, exec_lo, s21
	v_lshlrev_b32_e32 v14, 24, v33
	v_lshlrev_b32_e32 v26, 20, v26
	v_lshl_add_u32 v27, v43, 23, 0x3c000000
	v_and_b32_e32 v14, 0x80000000, v14
	v_or3_b32 v43, v26, v14, v27
.LBB340_399:                            ;   in Loop: Header=BB340_9 Depth=1
	s_or_b32 exec_lo, exec_lo, s20
.LBB340_400:                            ;   in Loop: Header=BB340_9 Depth=1
	s_or_b32 exec_lo, exec_lo, s19
.LBB340_401:                            ;   in Loop: Header=BB340_9 Depth=1
	s_or_b32 exec_lo, exec_lo, s17
	v_cmp_ne_u16_sdwa s6, v33, v15 src0_sel:BYTE_1 src1_sel:DWORD
	s_and_saveexec_b32 s17, s6
	s_cbranch_execz .LBB340_409
; %bb.402:                              ;   in Loop: Header=BB340_9 Depth=1
	v_cmp_ne_u16_sdwa s6, v33, v3 src0_sel:BYTE_1 src1_sel:DWORD
	v_bfrev_b32_e32 v44, 1
	s_and_saveexec_b32 s19, s6
	s_cbranch_execz .LBB340_408
; %bb.403:                              ;   in Loop: Header=BB340_9 Depth=1
	v_and_b32_sdwa v14, v53, v33 dst_sel:DWORD dst_unused:UNUSED_PAD src0_sel:DWORD src1_sel:BYTE_1
	v_mov_b32_e32 v44, 0x7f800001
	s_mov_b32 s20, exec_lo
	v_and_b32_e32 v26, 0x7f, v14
	v_cmpx_ne_u32_e32 0x7f, v26
	s_cbranch_execz .LBB340_407
; %bb.404:                              ;   in Loop: Header=BB340_9 Depth=1
	v_and_b32_e32 v14, 7, v14
	v_lshrrev_b32_e32 v44, 3, v26
	v_cmp_gt_u32_e64 s6, 8, v26
	v_mov_b32_e32 v27, v15
	v_mov_b32_e32 v26, v14
	s_and_saveexec_b32 s21, s6
; %bb.405:                              ;   in Loop: Header=BB340_9 Depth=1
	v_ffbh_u32_e32 v26, v14
	v_min_u32_e32 v28, 32, v26
	v_subrev_nc_u32_e32 v26, 28, v28
	v_sub_nc_u32_e32 v44, 29, v28
	v_lshlrev_b64 v[26:27], v26, v[14:15]
	v_and_b32_e32 v26, 7, v26
; %bb.406:                              ;   in Loop: Header=BB340_9 Depth=1
	s_or_b32 exec_lo, exec_lo, s21
	v_lshlrev_b32_e32 v14, 16, v33
	v_lshlrev_b32_e32 v26, 20, v26
	v_lshl_add_u32 v27, v44, 23, 0x3c000000
	v_and_b32_e32 v14, 0x80000000, v14
	v_or3_b32 v44, v26, v14, v27
.LBB340_407:                            ;   in Loop: Header=BB340_9 Depth=1
	s_or_b32 exec_lo, exec_lo, s20
.LBB340_408:                            ;   in Loop: Header=BB340_9 Depth=1
	s_or_b32 exec_lo, exec_lo, s19
.LBB340_409:                            ;   in Loop: Header=BB340_9 Depth=1
	s_or_b32 exec_lo, exec_lo, s17
	v_and_b32_sdwa v14, v33, v29 dst_sel:DWORD dst_unused:UNUSED_PAD src0_sel:WORD_1 src1_sel:DWORD
	v_mov_b32_e32 v45, 0
	v_mov_b32_e32 v46, 0
	s_mov_b32 s17, exec_lo
	v_cmpx_ne_u16_e32 0, v14
	s_cbranch_execz .LBB340_417
; %bb.410:                              ;   in Loop: Header=BB340_9 Depth=1
	v_bfrev_b32_e32 v46, 1
	s_mov_b32 s19, exec_lo
	v_cmpx_ne_u16_e32 0x80, v14
	s_cbranch_execz .LBB340_416
; %bb.411:                              ;   in Loop: Header=BB340_9 Depth=1
	v_bfe_u32 v26, v33, 16, 7
	v_mov_b32_e32 v46, 0x7f800001
	s_mov_b32 s20, exec_lo
	v_cmpx_ne_u32_e32 0x7f, v26
	s_cbranch_execz .LBB340_415
; %bb.412:                              ;   in Loop: Header=BB340_9 Depth=1
	v_and_b32_sdwa v14, v33, v90 dst_sel:DWORD dst_unused:UNUSED_PAD src0_sel:WORD_1 src1_sel:DWORD
	v_lshrrev_b32_e32 v46, 3, v26
	v_cmp_gt_u32_e64 s6, 8, v26
	v_mov_b32_e32 v27, v15
	v_mov_b32_e32 v26, v14
	s_and_saveexec_b32 s21, s6
; %bb.413:                              ;   in Loop: Header=BB340_9 Depth=1
	v_ffbh_u32_e32 v26, v14
	v_min_u32_e32 v28, 32, v26
	v_subrev_nc_u32_e32 v26, 28, v28
	v_sub_nc_u32_e32 v46, 29, v28
	v_lshlrev_b64 v[26:27], v26, v[14:15]
	v_and_b32_e32 v26, 7, v26
; %bb.414:                              ;   in Loop: Header=BB340_9 Depth=1
	s_or_b32 exec_lo, exec_lo, s21
	v_lshlrev_b32_sdwa v14, v23, v33 dst_sel:DWORD dst_unused:UNUSED_PAD src0_sel:DWORD src1_sel:WORD_1
	v_lshlrev_b32_e32 v26, 20, v26
	v_lshl_add_u32 v27, v46, 23, 0x3c000000
	v_and_b32_e32 v14, 0x80000000, v14
	v_or3_b32 v46, v26, v14, v27
.LBB340_415:                            ;   in Loop: Header=BB340_9 Depth=1
	s_or_b32 exec_lo, exec_lo, s20
.LBB340_416:                            ;   in Loop: Header=BB340_9 Depth=1
	s_or_b32 exec_lo, exec_lo, s19
.LBB340_417:                            ;   in Loop: Header=BB340_9 Depth=1
	s_or_b32 exec_lo, exec_lo, s17
	s_mov_b32 s17, exec_lo
	v_cmpx_lt_u32_e32 0xffffff, v33
	s_cbranch_execz .LBB340_425
; %bb.418:                              ;   in Loop: Header=BB340_9 Depth=1
	v_cmp_ne_u32_sdwa s6, v33, v3 src0_sel:BYTE_3 src1_sel:DWORD
	v_bfrev_b32_e32 v45, 1
	s_and_saveexec_b32 s19, s6
	s_cbranch_execz .LBB340_424
; %bb.419:                              ;   in Loop: Header=BB340_9 Depth=1
	v_bfe_u32 v26, v33, 24, 7
	v_mov_b32_e32 v45, 0x7f800001
	s_mov_b32 s20, exec_lo
	v_cmpx_ne_u32_e32 0x7f, v26
	s_cbranch_execz .LBB340_423
; %bb.420:                              ;   in Loop: Header=BB340_9 Depth=1
	v_and_b32_sdwa v14, v33, v90 dst_sel:DWORD dst_unused:UNUSED_PAD src0_sel:BYTE_3 src1_sel:DWORD
	v_lshrrev_b32_e32 v45, 3, v26
	v_cmp_gt_u32_e64 s6, 8, v26
	v_mov_b32_e32 v27, v15
	v_mov_b32_e32 v26, v14
	s_and_saveexec_b32 s21, s6
; %bb.421:                              ;   in Loop: Header=BB340_9 Depth=1
	v_ffbh_u32_e32 v26, v14
	v_min_u32_e32 v28, 32, v26
	v_subrev_nc_u32_e32 v26, 28, v28
	v_sub_nc_u32_e32 v45, 29, v28
	v_lshlrev_b64 v[26:27], v26, v[14:15]
	v_and_b32_e32 v26, 7, v26
; %bb.422:                              ;   in Loop: Header=BB340_9 Depth=1
	s_or_b32 exec_lo, exec_lo, s21
	v_lshlrev_b32_sdwa v14, v23, v33 dst_sel:DWORD dst_unused:UNUSED_PAD src0_sel:DWORD src1_sel:BYTE_3
	v_lshlrev_b32_e32 v26, 20, v26
	v_lshl_add_u32 v27, v45, 23, 0x3c000000
	v_and_b32_e32 v14, 0x80000000, v14
	v_or3_b32 v45, v26, v14, v27
.LBB340_423:                            ;   in Loop: Header=BB340_9 Depth=1
	s_or_b32 exec_lo, exec_lo, s20
.LBB340_424:                            ;   in Loop: Header=BB340_9 Depth=1
	s_or_b32 exec_lo, exec_lo, s19
.LBB340_425:                            ;   in Loop: Header=BB340_9 Depth=1
	s_or_b32 exec_lo, exec_lo, s17
	flat_load_dword v33, v[24:25] offset:1544
	v_mov_b32_e32 v56, 0
	v_mov_b32_e32 v47, 0
	s_waitcnt vmcnt(0) lgkmcnt(0)
	v_cmp_ne_u16_sdwa s6, v33, v15 src0_sel:BYTE_0 src1_sel:DWORD
	s_and_saveexec_b32 s17, s6
	s_cbranch_execz .LBB340_433
; %bb.426:                              ;   in Loop: Header=BB340_9 Depth=1
	v_cmp_ne_u16_sdwa s6, v33, v3 src0_sel:BYTE_0 src1_sel:DWORD
	v_bfrev_b32_e32 v47, 1
	s_and_saveexec_b32 s19, s6
	s_cbranch_execz .LBB340_432
; %bb.427:                              ;   in Loop: Header=BB340_9 Depth=1
	v_and_b32_e32 v26, 0x7f, v33
	v_mov_b32_e32 v47, 0x7f800001
	s_mov_b32 s20, exec_lo
	v_cmpx_ne_u32_e32 0x7f, v26
	s_cbranch_execz .LBB340_431
; %bb.428:                              ;   in Loop: Header=BB340_9 Depth=1
	v_and_b32_e32 v14, 7, v33
	v_lshrrev_b32_e32 v47, 3, v26
	v_cmp_gt_u32_e64 s6, 8, v26
	v_mov_b32_e32 v27, v15
	v_mov_b32_e32 v26, v14
	s_and_saveexec_b32 s21, s6
; %bb.429:                              ;   in Loop: Header=BB340_9 Depth=1
	v_ffbh_u32_e32 v26, v14
	v_min_u32_e32 v28, 32, v26
	v_subrev_nc_u32_e32 v26, 28, v28
	v_sub_nc_u32_e32 v47, 29, v28
	v_lshlrev_b64 v[26:27], v26, v[14:15]
	v_and_b32_e32 v26, 7, v26
; %bb.430:                              ;   in Loop: Header=BB340_9 Depth=1
	s_or_b32 exec_lo, exec_lo, s21
	v_lshlrev_b32_e32 v14, 24, v33
	v_lshlrev_b32_e32 v26, 20, v26
	v_lshl_add_u32 v27, v47, 23, 0x3c000000
	v_and_b32_e32 v14, 0x80000000, v14
	v_or3_b32 v47, v26, v14, v27
.LBB340_431:                            ;   in Loop: Header=BB340_9 Depth=1
	s_or_b32 exec_lo, exec_lo, s20
.LBB340_432:                            ;   in Loop: Header=BB340_9 Depth=1
	s_or_b32 exec_lo, exec_lo, s19
.LBB340_433:                            ;   in Loop: Header=BB340_9 Depth=1
	s_or_b32 exec_lo, exec_lo, s17
	v_cmp_ne_u16_sdwa s6, v33, v15 src0_sel:BYTE_1 src1_sel:DWORD
	s_and_saveexec_b32 s17, s6
	s_cbranch_execz .LBB340_441
; %bb.434:                              ;   in Loop: Header=BB340_9 Depth=1
	v_cmp_ne_u16_sdwa s6, v33, v3 src0_sel:BYTE_1 src1_sel:DWORD
	v_bfrev_b32_e32 v56, 1
	s_and_saveexec_b32 s19, s6
	s_cbranch_execz .LBB340_440
; %bb.435:                              ;   in Loop: Header=BB340_9 Depth=1
	v_and_b32_sdwa v14, v53, v33 dst_sel:DWORD dst_unused:UNUSED_PAD src0_sel:DWORD src1_sel:BYTE_1
	v_mov_b32_e32 v56, 0x7f800001
	s_mov_b32 s20, exec_lo
	v_and_b32_e32 v26, 0x7f, v14
	v_cmpx_ne_u32_e32 0x7f, v26
	s_cbranch_execz .LBB340_439
; %bb.436:                              ;   in Loop: Header=BB340_9 Depth=1
	v_and_b32_e32 v14, 7, v14
	v_lshrrev_b32_e32 v56, 3, v26
	v_cmp_gt_u32_e64 s6, 8, v26
	v_mov_b32_e32 v27, v15
	v_mov_b32_e32 v26, v14
	s_and_saveexec_b32 s21, s6
; %bb.437:                              ;   in Loop: Header=BB340_9 Depth=1
	v_ffbh_u32_e32 v26, v14
	v_min_u32_e32 v28, 32, v26
	v_subrev_nc_u32_e32 v26, 28, v28
	v_sub_nc_u32_e32 v56, 29, v28
	v_lshlrev_b64 v[26:27], v26, v[14:15]
	v_and_b32_e32 v26, 7, v26
; %bb.438:                              ;   in Loop: Header=BB340_9 Depth=1
	s_or_b32 exec_lo, exec_lo, s21
	v_lshlrev_b32_e32 v14, 16, v33
	v_lshlrev_b32_e32 v26, 20, v26
	v_lshl_add_u32 v27, v56, 23, 0x3c000000
	v_and_b32_e32 v14, 0x80000000, v14
	v_or3_b32 v56, v26, v14, v27
.LBB340_439:                            ;   in Loop: Header=BB340_9 Depth=1
	s_or_b32 exec_lo, exec_lo, s20
.LBB340_440:                            ;   in Loop: Header=BB340_9 Depth=1
	s_or_b32 exec_lo, exec_lo, s19
.LBB340_441:                            ;   in Loop: Header=BB340_9 Depth=1
	s_or_b32 exec_lo, exec_lo, s17
	v_and_b32_sdwa v14, v33, v29 dst_sel:DWORD dst_unused:UNUSED_PAD src0_sel:WORD_1 src1_sel:DWORD
	v_mov_b32_e32 v57, 0
	v_mov_b32_e32 v58, 0
	s_mov_b32 s17, exec_lo
	v_cmpx_ne_u16_e32 0, v14
	s_cbranch_execz .LBB340_449
; %bb.442:                              ;   in Loop: Header=BB340_9 Depth=1
	v_bfrev_b32_e32 v58, 1
	s_mov_b32 s19, exec_lo
	v_cmpx_ne_u16_e32 0x80, v14
	s_cbranch_execz .LBB340_448
; %bb.443:                              ;   in Loop: Header=BB340_9 Depth=1
	v_bfe_u32 v26, v33, 16, 7
	v_mov_b32_e32 v58, 0x7f800001
	s_mov_b32 s20, exec_lo
	v_cmpx_ne_u32_e32 0x7f, v26
	s_cbranch_execz .LBB340_447
; %bb.444:                              ;   in Loop: Header=BB340_9 Depth=1
	v_and_b32_sdwa v14, v33, v90 dst_sel:DWORD dst_unused:UNUSED_PAD src0_sel:WORD_1 src1_sel:DWORD
	v_lshrrev_b32_e32 v58, 3, v26
	v_cmp_gt_u32_e64 s6, 8, v26
	v_mov_b32_e32 v27, v15
	v_mov_b32_e32 v26, v14
	s_and_saveexec_b32 s21, s6
; %bb.445:                              ;   in Loop: Header=BB340_9 Depth=1
	v_ffbh_u32_e32 v26, v14
	v_min_u32_e32 v28, 32, v26
	v_subrev_nc_u32_e32 v26, 28, v28
	v_sub_nc_u32_e32 v58, 29, v28
	v_lshlrev_b64 v[26:27], v26, v[14:15]
	v_and_b32_e32 v26, 7, v26
; %bb.446:                              ;   in Loop: Header=BB340_9 Depth=1
	s_or_b32 exec_lo, exec_lo, s21
	v_lshlrev_b32_sdwa v14, v23, v33 dst_sel:DWORD dst_unused:UNUSED_PAD src0_sel:DWORD src1_sel:WORD_1
	v_lshlrev_b32_e32 v26, 20, v26
	v_lshl_add_u32 v27, v58, 23, 0x3c000000
	v_and_b32_e32 v14, 0x80000000, v14
	v_or3_b32 v58, v26, v14, v27
.LBB340_447:                            ;   in Loop: Header=BB340_9 Depth=1
	s_or_b32 exec_lo, exec_lo, s20
.LBB340_448:                            ;   in Loop: Header=BB340_9 Depth=1
	s_or_b32 exec_lo, exec_lo, s19
.LBB340_449:                            ;   in Loop: Header=BB340_9 Depth=1
	s_or_b32 exec_lo, exec_lo, s17
	s_mov_b32 s17, exec_lo
	v_cmpx_lt_u32_e32 0xffffff, v33
	s_cbranch_execz .LBB340_457
; %bb.450:                              ;   in Loop: Header=BB340_9 Depth=1
	v_cmp_ne_u32_sdwa s6, v33, v3 src0_sel:BYTE_3 src1_sel:DWORD
	v_bfrev_b32_e32 v57, 1
	s_and_saveexec_b32 s19, s6
	s_cbranch_execz .LBB340_456
; %bb.451:                              ;   in Loop: Header=BB340_9 Depth=1
	v_bfe_u32 v26, v33, 24, 7
	v_mov_b32_e32 v57, 0x7f800001
	s_mov_b32 s20, exec_lo
	v_cmpx_ne_u32_e32 0x7f, v26
	s_cbranch_execz .LBB340_455
; %bb.452:                              ;   in Loop: Header=BB340_9 Depth=1
	v_and_b32_sdwa v14, v33, v90 dst_sel:DWORD dst_unused:UNUSED_PAD src0_sel:BYTE_3 src1_sel:DWORD
	v_lshrrev_b32_e32 v57, 3, v26
	v_cmp_gt_u32_e64 s6, 8, v26
	v_mov_b32_e32 v27, v15
	v_mov_b32_e32 v26, v14
	s_and_saveexec_b32 s21, s6
; %bb.453:                              ;   in Loop: Header=BB340_9 Depth=1
	v_ffbh_u32_e32 v26, v14
	v_min_u32_e32 v28, 32, v26
	v_subrev_nc_u32_e32 v26, 28, v28
	v_sub_nc_u32_e32 v57, 29, v28
	v_lshlrev_b64 v[26:27], v26, v[14:15]
	v_and_b32_e32 v26, 7, v26
; %bb.454:                              ;   in Loop: Header=BB340_9 Depth=1
	s_or_b32 exec_lo, exec_lo, s21
	v_lshlrev_b32_sdwa v14, v23, v33 dst_sel:DWORD dst_unused:UNUSED_PAD src0_sel:DWORD src1_sel:BYTE_3
	v_lshlrev_b32_e32 v26, 20, v26
	v_lshl_add_u32 v27, v57, 23, 0x3c000000
	v_and_b32_e32 v14, 0x80000000, v14
	v_or3_b32 v57, v26, v14, v27
.LBB340_455:                            ;   in Loop: Header=BB340_9 Depth=1
	s_or_b32 exec_lo, exec_lo, s20
.LBB340_456:                            ;   in Loop: Header=BB340_9 Depth=1
	s_or_b32 exec_lo, exec_lo, s19
.LBB340_457:                            ;   in Loop: Header=BB340_9 Depth=1
	s_or_b32 exec_lo, exec_lo, s17
	flat_load_dword v33, v[24:25] offset:1792
	v_mov_b32_e32 v60, 0
	v_mov_b32_e32 v59, 0
	s_waitcnt vmcnt(0) lgkmcnt(0)
	v_cmp_ne_u16_sdwa s6, v33, v15 src0_sel:BYTE_0 src1_sel:DWORD
	s_and_saveexec_b32 s17, s6
	s_cbranch_execz .LBB340_465
; %bb.458:                              ;   in Loop: Header=BB340_9 Depth=1
	v_cmp_ne_u16_sdwa s6, v33, v3 src0_sel:BYTE_0 src1_sel:DWORD
	v_bfrev_b32_e32 v59, 1
	s_and_saveexec_b32 s19, s6
	s_cbranch_execz .LBB340_464
; %bb.459:                              ;   in Loop: Header=BB340_9 Depth=1
	v_and_b32_e32 v26, 0x7f, v33
	v_mov_b32_e32 v59, 0x7f800001
	s_mov_b32 s20, exec_lo
	v_cmpx_ne_u32_e32 0x7f, v26
	s_cbranch_execz .LBB340_463
; %bb.460:                              ;   in Loop: Header=BB340_9 Depth=1
	v_and_b32_e32 v14, 7, v33
	v_lshrrev_b32_e32 v59, 3, v26
	v_cmp_gt_u32_e64 s6, 8, v26
	v_mov_b32_e32 v27, v15
	v_mov_b32_e32 v26, v14
	s_and_saveexec_b32 s21, s6
; %bb.461:                              ;   in Loop: Header=BB340_9 Depth=1
	v_ffbh_u32_e32 v26, v14
	v_min_u32_e32 v28, 32, v26
	v_subrev_nc_u32_e32 v26, 28, v28
	v_sub_nc_u32_e32 v59, 29, v28
	v_lshlrev_b64 v[26:27], v26, v[14:15]
	v_and_b32_e32 v26, 7, v26
; %bb.462:                              ;   in Loop: Header=BB340_9 Depth=1
	s_or_b32 exec_lo, exec_lo, s21
	v_lshlrev_b32_e32 v14, 24, v33
	v_lshlrev_b32_e32 v26, 20, v26
	v_lshl_add_u32 v27, v59, 23, 0x3c000000
	v_and_b32_e32 v14, 0x80000000, v14
	v_or3_b32 v59, v26, v14, v27
.LBB340_463:                            ;   in Loop: Header=BB340_9 Depth=1
	s_or_b32 exec_lo, exec_lo, s20
.LBB340_464:                            ;   in Loop: Header=BB340_9 Depth=1
	s_or_b32 exec_lo, exec_lo, s19
.LBB340_465:                            ;   in Loop: Header=BB340_9 Depth=1
	s_or_b32 exec_lo, exec_lo, s17
	v_cmp_ne_u16_sdwa s6, v33, v15 src0_sel:BYTE_1 src1_sel:DWORD
	s_and_saveexec_b32 s17, s6
	s_cbranch_execz .LBB340_473
; %bb.466:                              ;   in Loop: Header=BB340_9 Depth=1
	v_cmp_ne_u16_sdwa s6, v33, v3 src0_sel:BYTE_1 src1_sel:DWORD
	v_bfrev_b32_e32 v60, 1
	s_and_saveexec_b32 s19, s6
	s_cbranch_execz .LBB340_472
; %bb.467:                              ;   in Loop: Header=BB340_9 Depth=1
	v_and_b32_sdwa v14, v53, v33 dst_sel:DWORD dst_unused:UNUSED_PAD src0_sel:DWORD src1_sel:BYTE_1
	v_mov_b32_e32 v60, 0x7f800001
	s_mov_b32 s20, exec_lo
	v_and_b32_e32 v26, 0x7f, v14
	v_cmpx_ne_u32_e32 0x7f, v26
	s_cbranch_execz .LBB340_471
; %bb.468:                              ;   in Loop: Header=BB340_9 Depth=1
	v_and_b32_e32 v14, 7, v14
	v_lshrrev_b32_e32 v60, 3, v26
	v_cmp_gt_u32_e64 s6, 8, v26
	v_mov_b32_e32 v27, v15
	v_mov_b32_e32 v26, v14
	s_and_saveexec_b32 s21, s6
; %bb.469:                              ;   in Loop: Header=BB340_9 Depth=1
	v_ffbh_u32_e32 v26, v14
	v_min_u32_e32 v28, 32, v26
	v_subrev_nc_u32_e32 v26, 28, v28
	v_sub_nc_u32_e32 v60, 29, v28
	v_lshlrev_b64 v[26:27], v26, v[14:15]
	v_and_b32_e32 v26, 7, v26
; %bb.470:                              ;   in Loop: Header=BB340_9 Depth=1
	s_or_b32 exec_lo, exec_lo, s21
	v_lshlrev_b32_e32 v14, 16, v33
	v_lshlrev_b32_e32 v26, 20, v26
	v_lshl_add_u32 v27, v60, 23, 0x3c000000
	v_and_b32_e32 v14, 0x80000000, v14
	v_or3_b32 v60, v26, v14, v27
.LBB340_471:                            ;   in Loop: Header=BB340_9 Depth=1
	s_or_b32 exec_lo, exec_lo, s20
.LBB340_472:                            ;   in Loop: Header=BB340_9 Depth=1
	s_or_b32 exec_lo, exec_lo, s19
.LBB340_473:                            ;   in Loop: Header=BB340_9 Depth=1
	s_or_b32 exec_lo, exec_lo, s17
	v_and_b32_sdwa v14, v33, v29 dst_sel:DWORD dst_unused:UNUSED_PAD src0_sel:WORD_1 src1_sel:DWORD
	v_mov_b32_e32 v61, 0
	v_mov_b32_e32 v62, 0
	s_mov_b32 s17, exec_lo
	v_cmpx_ne_u16_e32 0, v14
	s_cbranch_execz .LBB340_481
; %bb.474:                              ;   in Loop: Header=BB340_9 Depth=1
	v_bfrev_b32_e32 v62, 1
	s_mov_b32 s19, exec_lo
	v_cmpx_ne_u16_e32 0x80, v14
	s_cbranch_execz .LBB340_480
; %bb.475:                              ;   in Loop: Header=BB340_9 Depth=1
	v_bfe_u32 v26, v33, 16, 7
	v_mov_b32_e32 v62, 0x7f800001
	s_mov_b32 s20, exec_lo
	v_cmpx_ne_u32_e32 0x7f, v26
	s_cbranch_execz .LBB340_479
; %bb.476:                              ;   in Loop: Header=BB340_9 Depth=1
	v_and_b32_sdwa v14, v33, v90 dst_sel:DWORD dst_unused:UNUSED_PAD src0_sel:WORD_1 src1_sel:DWORD
	v_lshrrev_b32_e32 v62, 3, v26
	v_cmp_gt_u32_e64 s6, 8, v26
	v_mov_b32_e32 v27, v15
	v_mov_b32_e32 v26, v14
	s_and_saveexec_b32 s21, s6
; %bb.477:                              ;   in Loop: Header=BB340_9 Depth=1
	v_ffbh_u32_e32 v26, v14
	v_min_u32_e32 v28, 32, v26
	v_subrev_nc_u32_e32 v26, 28, v28
	v_sub_nc_u32_e32 v62, 29, v28
	v_lshlrev_b64 v[26:27], v26, v[14:15]
	v_and_b32_e32 v26, 7, v26
; %bb.478:                              ;   in Loop: Header=BB340_9 Depth=1
	s_or_b32 exec_lo, exec_lo, s21
	v_lshlrev_b32_sdwa v14, v23, v33 dst_sel:DWORD dst_unused:UNUSED_PAD src0_sel:DWORD src1_sel:WORD_1
	v_lshlrev_b32_e32 v26, 20, v26
	v_lshl_add_u32 v27, v62, 23, 0x3c000000
	v_and_b32_e32 v14, 0x80000000, v14
	v_or3_b32 v62, v26, v14, v27
.LBB340_479:                            ;   in Loop: Header=BB340_9 Depth=1
	s_or_b32 exec_lo, exec_lo, s20
.LBB340_480:                            ;   in Loop: Header=BB340_9 Depth=1
	s_or_b32 exec_lo, exec_lo, s19
.LBB340_481:                            ;   in Loop: Header=BB340_9 Depth=1
	s_or_b32 exec_lo, exec_lo, s17
	s_mov_b32 s17, exec_lo
	v_cmpx_lt_u32_e32 0xffffff, v33
	s_cbranch_execz .LBB340_489
; %bb.482:                              ;   in Loop: Header=BB340_9 Depth=1
	v_cmp_ne_u32_sdwa s6, v33, v3 src0_sel:BYTE_3 src1_sel:DWORD
	v_bfrev_b32_e32 v61, 1
	s_and_saveexec_b32 s19, s6
	s_cbranch_execz .LBB340_488
; %bb.483:                              ;   in Loop: Header=BB340_9 Depth=1
	v_bfe_u32 v26, v33, 24, 7
	v_mov_b32_e32 v61, 0x7f800001
	s_mov_b32 s20, exec_lo
	v_cmpx_ne_u32_e32 0x7f, v26
	s_cbranch_execz .LBB340_487
; %bb.484:                              ;   in Loop: Header=BB340_9 Depth=1
	v_and_b32_sdwa v14, v33, v90 dst_sel:DWORD dst_unused:UNUSED_PAD src0_sel:BYTE_3 src1_sel:DWORD
	v_lshrrev_b32_e32 v61, 3, v26
	v_cmp_gt_u32_e64 s6, 8, v26
	v_mov_b32_e32 v27, v15
	v_mov_b32_e32 v26, v14
	s_and_saveexec_b32 s21, s6
; %bb.485:                              ;   in Loop: Header=BB340_9 Depth=1
	v_ffbh_u32_e32 v26, v14
	v_min_u32_e32 v28, 32, v26
	v_subrev_nc_u32_e32 v26, 28, v28
	v_sub_nc_u32_e32 v61, 29, v28
	v_lshlrev_b64 v[26:27], v26, v[14:15]
	v_and_b32_e32 v26, 7, v26
; %bb.486:                              ;   in Loop: Header=BB340_9 Depth=1
	s_or_b32 exec_lo, exec_lo, s21
	v_lshlrev_b32_sdwa v14, v23, v33 dst_sel:DWORD dst_unused:UNUSED_PAD src0_sel:DWORD src1_sel:BYTE_3
	v_lshlrev_b32_e32 v26, 20, v26
	v_lshl_add_u32 v27, v61, 23, 0x3c000000
	v_and_b32_e32 v14, 0x80000000, v14
	v_or3_b32 v61, v26, v14, v27
.LBB340_487:                            ;   in Loop: Header=BB340_9 Depth=1
	s_or_b32 exec_lo, exec_lo, s20
.LBB340_488:                            ;   in Loop: Header=BB340_9 Depth=1
	s_or_b32 exec_lo, exec_lo, s19
.LBB340_489:                            ;   in Loop: Header=BB340_9 Depth=1
	s_or_b32 exec_lo, exec_lo, s17
	flat_load_dword v33, v[24:25] offset:1800
	v_mov_b32_e32 v27, 0
	v_mov_b32_e32 v26, 0
	s_waitcnt vmcnt(0) lgkmcnt(0)
	v_cmp_ne_u16_sdwa s6, v33, v15 src0_sel:BYTE_0 src1_sel:DWORD
	s_and_saveexec_b32 s17, s6
	s_cbranch_execz .LBB340_497
; %bb.490:                              ;   in Loop: Header=BB340_9 Depth=1
	v_cmp_ne_u16_sdwa s6, v33, v3 src0_sel:BYTE_0 src1_sel:DWORD
	v_bfrev_b32_e32 v26, 1
	s_and_saveexec_b32 s19, s6
	s_cbranch_execz .LBB340_496
; %bb.491:                              ;   in Loop: Header=BB340_9 Depth=1
	v_and_b32_e32 v24, 0x7f, v33
	v_mov_b32_e32 v26, 0x7f800001
	s_mov_b32 s20, exec_lo
	v_cmpx_ne_u32_e32 0x7f, v24
	s_cbranch_execz .LBB340_495
; %bb.492:                              ;   in Loop: Header=BB340_9 Depth=1
	v_and_b32_e32 v14, 7, v33
	v_lshrrev_b32_e32 v26, 3, v24
	v_cmp_gt_u32_e64 s6, 8, v24
	v_mov_b32_e32 v25, v15
	v_mov_b32_e32 v24, v14
	s_and_saveexec_b32 s21, s6
; %bb.493:                              ;   in Loop: Header=BB340_9 Depth=1
	v_ffbh_u32_e32 v24, v14
	v_min_u32_e32 v26, 32, v24
	v_subrev_nc_u32_e32 v24, 28, v26
	v_sub_nc_u32_e32 v26, 29, v26
	v_lshlrev_b64 v[24:25], v24, v[14:15]
	v_and_b32_e32 v24, 7, v24
; %bb.494:                              ;   in Loop: Header=BB340_9 Depth=1
	s_or_b32 exec_lo, exec_lo, s21
	v_lshlrev_b32_e32 v14, 24, v33
	v_lshlrev_b32_e32 v24, 20, v24
	v_lshl_add_u32 v25, v26, 23, 0x3c000000
	v_and_b32_e32 v14, 0x80000000, v14
	v_or3_b32 v26, v24, v14, v25
.LBB340_495:                            ;   in Loop: Header=BB340_9 Depth=1
	s_or_b32 exec_lo, exec_lo, s20
.LBB340_496:                            ;   in Loop: Header=BB340_9 Depth=1
	s_or_b32 exec_lo, exec_lo, s19
.LBB340_497:                            ;   in Loop: Header=BB340_9 Depth=1
	s_or_b32 exec_lo, exec_lo, s17
	v_cmp_ne_u16_sdwa s6, v33, v15 src0_sel:BYTE_1 src1_sel:DWORD
	s_and_saveexec_b32 s17, s6
	s_cbranch_execz .LBB340_505
; %bb.498:                              ;   in Loop: Header=BB340_9 Depth=1
	v_cmp_ne_u16_sdwa s6, v33, v3 src0_sel:BYTE_1 src1_sel:DWORD
	v_bfrev_b32_e32 v27, 1
	s_and_saveexec_b32 s19, s6
	s_cbranch_execz .LBB340_504
; %bb.499:                              ;   in Loop: Header=BB340_9 Depth=1
	v_and_b32_sdwa v14, v53, v33 dst_sel:DWORD dst_unused:UNUSED_PAD src0_sel:DWORD src1_sel:BYTE_1
	v_mov_b32_e32 v27, 0x7f800001
	s_mov_b32 s20, exec_lo
	v_and_b32_e32 v24, 0x7f, v14
	v_cmpx_ne_u32_e32 0x7f, v24
	s_cbranch_execz .LBB340_503
; %bb.500:                              ;   in Loop: Header=BB340_9 Depth=1
	v_and_b32_e32 v14, 7, v14
	v_lshrrev_b32_e32 v27, 3, v24
	v_cmp_gt_u32_e64 s6, 8, v24
	v_mov_b32_e32 v25, v15
	v_mov_b32_e32 v24, v14
	s_and_saveexec_b32 s21, s6
; %bb.501:                              ;   in Loop: Header=BB340_9 Depth=1
	v_ffbh_u32_e32 v24, v14
	v_min_u32_e32 v27, 32, v24
	v_subrev_nc_u32_e32 v24, 28, v27
	v_sub_nc_u32_e32 v27, 29, v27
	v_lshlrev_b64 v[24:25], v24, v[14:15]
	v_and_b32_e32 v24, 7, v24
; %bb.502:                              ;   in Loop: Header=BB340_9 Depth=1
	s_or_b32 exec_lo, exec_lo, s21
	v_lshlrev_b32_e32 v14, 16, v33
	v_lshlrev_b32_e32 v24, 20, v24
	v_lshl_add_u32 v25, v27, 23, 0x3c000000
	v_and_b32_e32 v14, 0x80000000, v14
	v_or3_b32 v27, v24, v14, v25
.LBB340_503:                            ;   in Loop: Header=BB340_9 Depth=1
	s_or_b32 exec_lo, exec_lo, s20
.LBB340_504:                            ;   in Loop: Header=BB340_9 Depth=1
	s_or_b32 exec_lo, exec_lo, s19
.LBB340_505:                            ;   in Loop: Header=BB340_9 Depth=1
	s_or_b32 exec_lo, exec_lo, s17
	v_and_b32_sdwa v14, v33, v29 dst_sel:DWORD dst_unused:UNUSED_PAD src0_sel:WORD_1 src1_sel:DWORD
	v_mov_b32_e32 v63, 0
	v_mov_b32_e32 v72, 0
	s_mov_b32 s17, exec_lo
	v_cmpx_ne_u16_e32 0, v14
	s_cbranch_execz .LBB340_513
; %bb.506:                              ;   in Loop: Header=BB340_9 Depth=1
	v_bfrev_b32_e32 v72, 1
	s_mov_b32 s19, exec_lo
	v_cmpx_ne_u16_e32 0x80, v14
	s_cbranch_execz .LBB340_512
; %bb.507:                              ;   in Loop: Header=BB340_9 Depth=1
	v_bfe_u32 v24, v33, 16, 7
	v_mov_b32_e32 v72, 0x7f800001
	s_mov_b32 s20, exec_lo
	v_cmpx_ne_u32_e32 0x7f, v24
	s_cbranch_execz .LBB340_511
; %bb.508:                              ;   in Loop: Header=BB340_9 Depth=1
	v_and_b32_sdwa v14, v33, v90 dst_sel:DWORD dst_unused:UNUSED_PAD src0_sel:WORD_1 src1_sel:DWORD
	v_lshrrev_b32_e32 v72, 3, v24
	v_cmp_gt_u32_e64 s6, 8, v24
	v_mov_b32_e32 v25, v15
	v_mov_b32_e32 v24, v14
	s_and_saveexec_b32 s21, s6
; %bb.509:                              ;   in Loop: Header=BB340_9 Depth=1
	v_ffbh_u32_e32 v24, v14
	v_min_u32_e32 v28, 32, v24
	v_subrev_nc_u32_e32 v24, 28, v28
	v_sub_nc_u32_e32 v72, 29, v28
	v_lshlrev_b64 v[24:25], v24, v[14:15]
	v_and_b32_e32 v24, 7, v24
; %bb.510:                              ;   in Loop: Header=BB340_9 Depth=1
	s_or_b32 exec_lo, exec_lo, s21
	v_lshlrev_b32_sdwa v14, v23, v33 dst_sel:DWORD dst_unused:UNUSED_PAD src0_sel:DWORD src1_sel:WORD_1
	v_lshlrev_b32_e32 v24, 20, v24
	v_lshl_add_u32 v25, v72, 23, 0x3c000000
	v_and_b32_e32 v14, 0x80000000, v14
	v_or3_b32 v72, v24, v14, v25
.LBB340_511:                            ;   in Loop: Header=BB340_9 Depth=1
	s_or_b32 exec_lo, exec_lo, s20
.LBB340_512:                            ;   in Loop: Header=BB340_9 Depth=1
	s_or_b32 exec_lo, exec_lo, s19
.LBB340_513:                            ;   in Loop: Header=BB340_9 Depth=1
	s_or_b32 exec_lo, exec_lo, s17
	s_mov_b32 s17, exec_lo
	v_cmpx_lt_u32_e32 0xffffff, v33
	s_cbranch_execz .LBB340_521
; %bb.514:                              ;   in Loop: Header=BB340_9 Depth=1
	v_cmp_ne_u32_sdwa s6, v33, v3 src0_sel:BYTE_3 src1_sel:DWORD
	v_bfrev_b32_e32 v63, 1
	s_and_saveexec_b32 s19, s6
	s_cbranch_execz .LBB340_520
; %bb.515:                              ;   in Loop: Header=BB340_9 Depth=1
	v_bfe_u32 v24, v33, 24, 7
	v_mov_b32_e32 v63, 0x7f800001
	s_mov_b32 s20, exec_lo
	v_cmpx_ne_u32_e32 0x7f, v24
	s_cbranch_execz .LBB340_519
; %bb.516:                              ;   in Loop: Header=BB340_9 Depth=1
	v_and_b32_sdwa v14, v33, v90 dst_sel:DWORD dst_unused:UNUSED_PAD src0_sel:BYTE_3 src1_sel:DWORD
	v_lshrrev_b32_e32 v63, 3, v24
	v_cmp_gt_u32_e64 s6, 8, v24
	v_mov_b32_e32 v25, v15
	v_mov_b32_e32 v24, v14
	s_and_saveexec_b32 s21, s6
; %bb.517:                              ;   in Loop: Header=BB340_9 Depth=1
	v_ffbh_u32_e32 v24, v14
	v_min_u32_e32 v28, 32, v24
	v_subrev_nc_u32_e32 v24, 28, v28
	v_sub_nc_u32_e32 v63, 29, v28
	v_lshlrev_b64 v[24:25], v24, v[14:15]
	v_and_b32_e32 v24, 7, v24
; %bb.518:                              ;   in Loop: Header=BB340_9 Depth=1
	s_or_b32 exec_lo, exec_lo, s21
	v_lshlrev_b32_sdwa v14, v23, v33 dst_sel:DWORD dst_unused:UNUSED_PAD src0_sel:DWORD src1_sel:BYTE_3
	v_lshlrev_b32_e32 v24, 20, v24
	v_lshl_add_u32 v25, v63, 23, 0x3c000000
	v_and_b32_e32 v14, 0x80000000, v14
	v_or3_b32 v63, v24, v14, v25
.LBB340_519:                            ;   in Loop: Header=BB340_9 Depth=1
	s_or_b32 exec_lo, exec_lo, s20
.LBB340_520:                            ;   in Loop: Header=BB340_9 Depth=1
	s_or_b32 exec_lo, exec_lo, s19
.LBB340_521:                            ;   in Loop: Header=BB340_9 Depth=1
	s_or_b32 exec_lo, exec_lo, s17
	v_add_co_u32 v76, s6, 0x800, v16
	v_add_co_ci_u32_e64 v77, null, 0, v17, s6
	v_mov_b32_e32 v74, 0
	v_add_co_u32 v24, s6, v76, v8
	v_add_co_ci_u32_e64 v25, null, 0, v77, s6
	v_mov_b32_e32 v73, 0
	flat_load_dword v78, v[24:25]
	s_waitcnt vmcnt(0) lgkmcnt(0)
	v_cmp_ne_u16_sdwa s6, v78, v15 src0_sel:BYTE_0 src1_sel:DWORD
	s_and_saveexec_b32 s17, s6
	s_cbranch_execz .LBB340_529
; %bb.522:                              ;   in Loop: Header=BB340_9 Depth=1
	v_cmp_ne_u16_sdwa s6, v78, v3 src0_sel:BYTE_0 src1_sel:DWORD
	v_bfrev_b32_e32 v73, 1
	s_and_saveexec_b32 s19, s6
	s_cbranch_execz .LBB340_528
; %bb.523:                              ;   in Loop: Header=BB340_9 Depth=1
	v_and_b32_e32 v24, 0x7f, v78
	v_mov_b32_e32 v73, 0x7f800001
	s_mov_b32 s20, exec_lo
	v_cmpx_ne_u32_e32 0x7f, v24
	s_cbranch_execz .LBB340_527
; %bb.524:                              ;   in Loop: Header=BB340_9 Depth=1
	v_and_b32_e32 v14, 7, v78
	v_lshrrev_b32_e32 v33, 3, v24
	v_cmp_gt_u32_e64 s6, 8, v24
	v_mov_b32_e32 v25, v15
	v_mov_b32_e32 v24, v14
	s_and_saveexec_b32 s21, s6
; %bb.525:                              ;   in Loop: Header=BB340_9 Depth=1
	v_ffbh_u32_e32 v24, v14
	v_min_u32_e32 v28, 32, v24
	v_subrev_nc_u32_e32 v24, 28, v28
	v_sub_nc_u32_e32 v33, 29, v28
	v_lshlrev_b64 v[24:25], v24, v[14:15]
	v_and_b32_e32 v24, 7, v24
; %bb.526:                              ;   in Loop: Header=BB340_9 Depth=1
	s_or_b32 exec_lo, exec_lo, s21
	v_lshlrev_b32_e32 v14, 24, v78
	v_lshlrev_b32_e32 v24, 20, v24
	v_lshl_add_u32 v25, v33, 23, 0x3c000000
	v_and_b32_e32 v14, 0x80000000, v14
	v_or3_b32 v73, v24, v14, v25
.LBB340_527:                            ;   in Loop: Header=BB340_9 Depth=1
	s_or_b32 exec_lo, exec_lo, s20
.LBB340_528:                            ;   in Loop: Header=BB340_9 Depth=1
	s_or_b32 exec_lo, exec_lo, s19
.LBB340_529:                            ;   in Loop: Header=BB340_9 Depth=1
	s_or_b32 exec_lo, exec_lo, s17
	v_cmp_ne_u16_sdwa s6, v78, v15 src0_sel:BYTE_1 src1_sel:DWORD
	s_and_saveexec_b32 s17, s6
	s_cbranch_execz .LBB340_537
; %bb.530:                              ;   in Loop: Header=BB340_9 Depth=1
	v_cmp_ne_u16_sdwa s6, v78, v3 src0_sel:BYTE_1 src1_sel:DWORD
	v_bfrev_b32_e32 v74, 1
	s_and_saveexec_b32 s19, s6
	s_cbranch_execz .LBB340_536
; %bb.531:                              ;   in Loop: Header=BB340_9 Depth=1
	v_and_b32_sdwa v14, v53, v78 dst_sel:DWORD dst_unused:UNUSED_PAD src0_sel:DWORD src1_sel:BYTE_1
	v_mov_b32_e32 v74, 0x7f800001
	s_mov_b32 s20, exec_lo
	v_and_b32_e32 v24, 0x7f, v14
	v_cmpx_ne_u32_e32 0x7f, v24
	s_cbranch_execz .LBB340_535
; %bb.532:                              ;   in Loop: Header=BB340_9 Depth=1
	v_and_b32_e32 v14, 7, v14
	v_lshrrev_b32_e32 v33, 3, v24
	v_cmp_gt_u32_e64 s6, 8, v24
	v_mov_b32_e32 v25, v15
	v_mov_b32_e32 v24, v14
	s_and_saveexec_b32 s21, s6
; %bb.533:                              ;   in Loop: Header=BB340_9 Depth=1
	v_ffbh_u32_e32 v24, v14
	v_min_u32_e32 v28, 32, v24
	v_subrev_nc_u32_e32 v24, 28, v28
	v_sub_nc_u32_e32 v33, 29, v28
	v_lshlrev_b64 v[24:25], v24, v[14:15]
	v_and_b32_e32 v24, 7, v24
; %bb.534:                              ;   in Loop: Header=BB340_9 Depth=1
	s_or_b32 exec_lo, exec_lo, s21
	v_lshlrev_b32_e32 v14, 16, v78
	v_lshlrev_b32_e32 v24, 20, v24
	v_lshl_add_u32 v25, v33, 23, 0x3c000000
	v_and_b32_e32 v14, 0x80000000, v14
	v_or3_b32 v74, v24, v14, v25
.LBB340_535:                            ;   in Loop: Header=BB340_9 Depth=1
	s_or_b32 exec_lo, exec_lo, s20
.LBB340_536:                            ;   in Loop: Header=BB340_9 Depth=1
	s_or_b32 exec_lo, exec_lo, s19
.LBB340_537:                            ;   in Loop: Header=BB340_9 Depth=1
	s_or_b32 exec_lo, exec_lo, s17
	v_and_b32_sdwa v14, v78, v29 dst_sel:DWORD dst_unused:UNUSED_PAD src0_sel:WORD_1 src1_sel:DWORD
	v_mov_b32_e32 v33, 0
	v_mov_b32_e32 v75, 0
	s_mov_b32 s17, exec_lo
	v_cmpx_ne_u16_e32 0, v14
	s_cbranch_execz .LBB340_545
; %bb.538:                              ;   in Loop: Header=BB340_9 Depth=1
	v_bfrev_b32_e32 v75, 1
	s_mov_b32 s19, exec_lo
	v_cmpx_ne_u16_e32 0x80, v14
	s_cbranch_execz .LBB340_544
; %bb.539:                              ;   in Loop: Header=BB340_9 Depth=1
	v_bfe_u32 v24, v78, 16, 7
	v_mov_b32_e32 v75, 0x7f800001
	s_mov_b32 s20, exec_lo
	v_cmpx_ne_u32_e32 0x7f, v24
	s_cbranch_execz .LBB340_543
; %bb.540:                              ;   in Loop: Header=BB340_9 Depth=1
	v_and_b32_sdwa v14, v78, v90 dst_sel:DWORD dst_unused:UNUSED_PAD src0_sel:WORD_1 src1_sel:DWORD
	v_lshrrev_b32_e32 v75, 3, v24
	v_cmp_gt_u32_e64 s6, 8, v24
	v_mov_b32_e32 v25, v15
	v_mov_b32_e32 v24, v14
	s_and_saveexec_b32 s21, s6
; %bb.541:                              ;   in Loop: Header=BB340_9 Depth=1
	v_ffbh_u32_e32 v24, v14
	v_min_u32_e32 v28, 32, v24
	v_subrev_nc_u32_e32 v24, 28, v28
	v_sub_nc_u32_e32 v75, 29, v28
	v_lshlrev_b64 v[24:25], v24, v[14:15]
	v_and_b32_e32 v24, 7, v24
; %bb.542:                              ;   in Loop: Header=BB340_9 Depth=1
	s_or_b32 exec_lo, exec_lo, s21
	v_lshlrev_b32_sdwa v14, v23, v78 dst_sel:DWORD dst_unused:UNUSED_PAD src0_sel:DWORD src1_sel:WORD_1
	v_lshlrev_b32_e32 v24, 20, v24
	v_lshl_add_u32 v25, v75, 23, 0x3c000000
	v_and_b32_e32 v14, 0x80000000, v14
	v_or3_b32 v75, v24, v14, v25
.LBB340_543:                            ;   in Loop: Header=BB340_9 Depth=1
	s_or_b32 exec_lo, exec_lo, s20
.LBB340_544:                            ;   in Loop: Header=BB340_9 Depth=1
	s_or_b32 exec_lo, exec_lo, s19
.LBB340_545:                            ;   in Loop: Header=BB340_9 Depth=1
	s_or_b32 exec_lo, exec_lo, s17
	s_mov_b32 s17, exec_lo
	v_cmpx_lt_u32_e32 0xffffff, v78
	s_cbranch_execz .LBB340_553
; %bb.546:                              ;   in Loop: Header=BB340_9 Depth=1
	v_cmp_ne_u32_sdwa s6, v78, v3 src0_sel:BYTE_3 src1_sel:DWORD
	v_bfrev_b32_e32 v33, 1
	s_and_saveexec_b32 s19, s6
	s_cbranch_execz .LBB340_552
; %bb.547:                              ;   in Loop: Header=BB340_9 Depth=1
	v_bfe_u32 v24, v78, 24, 7
	v_mov_b32_e32 v33, 0x7f800001
	s_mov_b32 s20, exec_lo
	v_cmpx_ne_u32_e32 0x7f, v24
	s_cbranch_execz .LBB340_551
; %bb.548:                              ;   in Loop: Header=BB340_9 Depth=1
	v_and_b32_sdwa v14, v78, v90 dst_sel:DWORD dst_unused:UNUSED_PAD src0_sel:BYTE_3 src1_sel:DWORD
	v_lshrrev_b32_e32 v33, 3, v24
	v_cmp_gt_u32_e64 s6, 8, v24
	v_mov_b32_e32 v25, v15
	v_mov_b32_e32 v24, v14
	s_and_saveexec_b32 s21, s6
; %bb.549:                              ;   in Loop: Header=BB340_9 Depth=1
	v_ffbh_u32_e32 v24, v14
	v_min_u32_e32 v28, 32, v24
	v_subrev_nc_u32_e32 v24, 28, v28
	v_sub_nc_u32_e32 v33, 29, v28
	v_lshlrev_b64 v[24:25], v24, v[14:15]
	v_and_b32_e32 v24, 7, v24
; %bb.550:                              ;   in Loop: Header=BB340_9 Depth=1
	s_or_b32 exec_lo, exec_lo, s21
	v_lshlrev_b32_sdwa v14, v23, v78 dst_sel:DWORD dst_unused:UNUSED_PAD src0_sel:DWORD src1_sel:BYTE_3
	v_lshlrev_b32_e32 v24, 20, v24
	v_lshl_add_u32 v25, v33, 23, 0x3c000000
	v_and_b32_e32 v14, 0x80000000, v14
	v_or3_b32 v33, v24, v14, v25
.LBB340_551:                            ;   in Loop: Header=BB340_9 Depth=1
	s_or_b32 exec_lo, exec_lo, s20
.LBB340_552:                            ;   in Loop: Header=BB340_9 Depth=1
	s_or_b32 exec_lo, exec_lo, s19
.LBB340_553:                            ;   in Loop: Header=BB340_9 Depth=1
	s_or_b32 exec_lo, exec_lo, s17
	v_add_co_u32 v24, s6, v76, v2
	v_add_co_ci_u32_e64 v25, null, 0, v77, s6
	v_mov_b32_e32 v77, 0
	v_mov_b32_e32 v76, 0
	flat_load_dword v88, v[24:25]
	s_waitcnt vmcnt(0) lgkmcnt(0)
	v_cmp_ne_u16_sdwa s6, v88, v15 src0_sel:BYTE_0 src1_sel:DWORD
	s_and_saveexec_b32 s17, s6
	s_cbranch_execz .LBB340_561
; %bb.554:                              ;   in Loop: Header=BB340_9 Depth=1
	v_cmp_ne_u16_sdwa s6, v88, v3 src0_sel:BYTE_0 src1_sel:DWORD
	v_bfrev_b32_e32 v76, 1
	s_and_saveexec_b32 s19, s6
	s_cbranch_execz .LBB340_560
; %bb.555:                              ;   in Loop: Header=BB340_9 Depth=1
	v_and_b32_e32 v24, 0x7f, v88
	v_mov_b32_e32 v76, 0x7f800001
	s_mov_b32 s20, exec_lo
	v_cmpx_ne_u32_e32 0x7f, v24
	s_cbranch_execz .LBB340_559
; %bb.556:                              ;   in Loop: Header=BB340_9 Depth=1
	v_and_b32_e32 v14, 7, v88
	v_lshrrev_b32_e32 v76, 3, v24
	v_cmp_gt_u32_e64 s6, 8, v24
	v_mov_b32_e32 v25, v15
	v_mov_b32_e32 v24, v14
	s_and_saveexec_b32 s21, s6
; %bb.557:                              ;   in Loop: Header=BB340_9 Depth=1
	v_ffbh_u32_e32 v24, v14
	v_min_u32_e32 v28, 32, v24
	v_subrev_nc_u32_e32 v24, 28, v28
	v_sub_nc_u32_e32 v76, 29, v28
	v_lshlrev_b64 v[24:25], v24, v[14:15]
	v_and_b32_e32 v24, 7, v24
; %bb.558:                              ;   in Loop: Header=BB340_9 Depth=1
	s_or_b32 exec_lo, exec_lo, s21
	v_lshlrev_b32_e32 v14, 24, v88
	v_lshlrev_b32_e32 v24, 20, v24
	v_lshl_add_u32 v25, v76, 23, 0x3c000000
	v_and_b32_e32 v14, 0x80000000, v14
	v_or3_b32 v76, v24, v14, v25
.LBB340_559:                            ;   in Loop: Header=BB340_9 Depth=1
	s_or_b32 exec_lo, exec_lo, s20
.LBB340_560:                            ;   in Loop: Header=BB340_9 Depth=1
	s_or_b32 exec_lo, exec_lo, s19
.LBB340_561:                            ;   in Loop: Header=BB340_9 Depth=1
	s_or_b32 exec_lo, exec_lo, s17
	v_cmp_ne_u16_sdwa s6, v88, v15 src0_sel:BYTE_1 src1_sel:DWORD
	s_and_saveexec_b32 s17, s6
	s_cbranch_execz .LBB340_569
; %bb.562:                              ;   in Loop: Header=BB340_9 Depth=1
	v_cmp_ne_u16_sdwa s6, v88, v3 src0_sel:BYTE_1 src1_sel:DWORD
	v_bfrev_b32_e32 v77, 1
	s_and_saveexec_b32 s19, s6
	s_cbranch_execz .LBB340_568
; %bb.563:                              ;   in Loop: Header=BB340_9 Depth=1
	v_and_b32_sdwa v14, v53, v88 dst_sel:DWORD dst_unused:UNUSED_PAD src0_sel:DWORD src1_sel:BYTE_1
	v_mov_b32_e32 v77, 0x7f800001
	s_mov_b32 s20, exec_lo
	v_and_b32_e32 v24, 0x7f, v14
	v_cmpx_ne_u32_e32 0x7f, v24
	s_cbranch_execz .LBB340_567
; %bb.564:                              ;   in Loop: Header=BB340_9 Depth=1
	v_and_b32_e32 v14, 7, v14
	v_lshrrev_b32_e32 v77, 3, v24
	v_cmp_gt_u32_e64 s6, 8, v24
	v_mov_b32_e32 v25, v15
	v_mov_b32_e32 v24, v14
	s_and_saveexec_b32 s21, s6
; %bb.565:                              ;   in Loop: Header=BB340_9 Depth=1
	v_ffbh_u32_e32 v24, v14
	v_min_u32_e32 v28, 32, v24
	v_subrev_nc_u32_e32 v24, 28, v28
	v_sub_nc_u32_e32 v77, 29, v28
	v_lshlrev_b64 v[24:25], v24, v[14:15]
	v_and_b32_e32 v24, 7, v24
; %bb.566:                              ;   in Loop: Header=BB340_9 Depth=1
	s_or_b32 exec_lo, exec_lo, s21
	v_lshlrev_b32_e32 v14, 16, v88
	v_lshlrev_b32_e32 v24, 20, v24
	v_lshl_add_u32 v25, v77, 23, 0x3c000000
	v_and_b32_e32 v14, 0x80000000, v14
	v_or3_b32 v77, v24, v14, v25
.LBB340_567:                            ;   in Loop: Header=BB340_9 Depth=1
	s_or_b32 exec_lo, exec_lo, s20
.LBB340_568:                            ;   in Loop: Header=BB340_9 Depth=1
	s_or_b32 exec_lo, exec_lo, s19
.LBB340_569:                            ;   in Loop: Header=BB340_9 Depth=1
	s_or_b32 exec_lo, exec_lo, s17
	v_and_b32_sdwa v14, v88, v29 dst_sel:DWORD dst_unused:UNUSED_PAD src0_sel:WORD_1 src1_sel:DWORD
	v_mov_b32_e32 v78, 0
	v_mov_b32_e32 v79, 0
	s_mov_b32 s17, exec_lo
	v_cmpx_ne_u16_e32 0, v14
	s_cbranch_execz .LBB340_577
; %bb.570:                              ;   in Loop: Header=BB340_9 Depth=1
	v_bfrev_b32_e32 v79, 1
	s_mov_b32 s19, exec_lo
	v_cmpx_ne_u16_e32 0x80, v14
	s_cbranch_execz .LBB340_576
; %bb.571:                              ;   in Loop: Header=BB340_9 Depth=1
	v_bfe_u32 v24, v88, 16, 7
	v_mov_b32_e32 v79, 0x7f800001
	s_mov_b32 s20, exec_lo
	v_cmpx_ne_u32_e32 0x7f, v24
	s_cbranch_execz .LBB340_575
; %bb.572:                              ;   in Loop: Header=BB340_9 Depth=1
	v_and_b32_sdwa v14, v88, v90 dst_sel:DWORD dst_unused:UNUSED_PAD src0_sel:WORD_1 src1_sel:DWORD
	v_lshrrev_b32_e32 v79, 3, v24
	v_cmp_gt_u32_e64 s6, 8, v24
	v_mov_b32_e32 v25, v15
	v_mov_b32_e32 v24, v14
	s_and_saveexec_b32 s21, s6
; %bb.573:                              ;   in Loop: Header=BB340_9 Depth=1
	v_ffbh_u32_e32 v24, v14
	v_min_u32_e32 v28, 32, v24
	v_subrev_nc_u32_e32 v24, 28, v28
	v_sub_nc_u32_e32 v79, 29, v28
	v_lshlrev_b64 v[24:25], v24, v[14:15]
	v_and_b32_e32 v24, 7, v24
; %bb.574:                              ;   in Loop: Header=BB340_9 Depth=1
	s_or_b32 exec_lo, exec_lo, s21
	v_lshlrev_b32_sdwa v14, v23, v88 dst_sel:DWORD dst_unused:UNUSED_PAD src0_sel:DWORD src1_sel:WORD_1
	v_lshlrev_b32_e32 v24, 20, v24
	v_lshl_add_u32 v25, v79, 23, 0x3c000000
	v_and_b32_e32 v14, 0x80000000, v14
	v_or3_b32 v79, v24, v14, v25
.LBB340_575:                            ;   in Loop: Header=BB340_9 Depth=1
	s_or_b32 exec_lo, exec_lo, s20
.LBB340_576:                            ;   in Loop: Header=BB340_9 Depth=1
	s_or_b32 exec_lo, exec_lo, s19
.LBB340_577:                            ;   in Loop: Header=BB340_9 Depth=1
	s_or_b32 exec_lo, exec_lo, s17
	s_mov_b32 s17, exec_lo
	v_cmpx_lt_u32_e32 0xffffff, v88
	s_cbranch_execz .LBB340_585
; %bb.578:                              ;   in Loop: Header=BB340_9 Depth=1
	v_cmp_ne_u32_sdwa s6, v88, v3 src0_sel:BYTE_3 src1_sel:DWORD
	v_bfrev_b32_e32 v78, 1
	s_and_saveexec_b32 s19, s6
	s_cbranch_execz .LBB340_584
; %bb.579:                              ;   in Loop: Header=BB340_9 Depth=1
	v_bfe_u32 v24, v88, 24, 7
	v_mov_b32_e32 v78, 0x7f800001
	s_mov_b32 s20, exec_lo
	v_cmpx_ne_u32_e32 0x7f, v24
	s_cbranch_execz .LBB340_583
; %bb.580:                              ;   in Loop: Header=BB340_9 Depth=1
	v_and_b32_sdwa v14, v88, v90 dst_sel:DWORD dst_unused:UNUSED_PAD src0_sel:BYTE_3 src1_sel:DWORD
	v_lshrrev_b32_e32 v78, 3, v24
	v_cmp_gt_u32_e64 s6, 8, v24
	v_mov_b32_e32 v25, v15
	v_mov_b32_e32 v24, v14
	s_and_saveexec_b32 s21, s6
; %bb.581:                              ;   in Loop: Header=BB340_9 Depth=1
	v_ffbh_u32_e32 v24, v14
	v_min_u32_e32 v28, 32, v24
	v_subrev_nc_u32_e32 v24, 28, v28
	v_sub_nc_u32_e32 v78, 29, v28
	v_lshlrev_b64 v[24:25], v24, v[14:15]
	v_and_b32_e32 v24, 7, v24
; %bb.582:                              ;   in Loop: Header=BB340_9 Depth=1
	s_or_b32 exec_lo, exec_lo, s21
	v_lshlrev_b32_sdwa v14, v23, v88 dst_sel:DWORD dst_unused:UNUSED_PAD src0_sel:DWORD src1_sel:BYTE_3
	v_lshlrev_b32_e32 v24, 20, v24
	v_lshl_add_u32 v25, v78, 23, 0x3c000000
	v_and_b32_e32 v14, 0x80000000, v14
	v_or3_b32 v78, v24, v14, v25
.LBB340_583:                            ;   in Loop: Header=BB340_9 Depth=1
	s_or_b32 exec_lo, exec_lo, s20
.LBB340_584:                            ;   in Loop: Header=BB340_9 Depth=1
	s_or_b32 exec_lo, exec_lo, s19
.LBB340_585:                            ;   in Loop: Header=BB340_9 Depth=1
	s_or_b32 exec_lo, exec_lo, s17
	v_add_co_u32 v93, s6, 0x900, v16
	v_add_co_ci_u32_e64 v94, null, 0, v17, s6
	v_mov_b32_e32 v89, 0
	v_add_co_u32 v24, s6, v93, v8
	v_add_co_ci_u32_e64 v25, null, 0, v94, s6
	v_mov_b32_e32 v88, 0
	flat_load_dword v95, v[24:25]
	s_waitcnt vmcnt(0) lgkmcnt(0)
	v_cmp_ne_u16_sdwa s6, v95, v15 src0_sel:BYTE_0 src1_sel:DWORD
	s_and_saveexec_b32 s17, s6
	s_cbranch_execz .LBB340_593
; %bb.586:                              ;   in Loop: Header=BB340_9 Depth=1
	v_cmp_ne_u16_sdwa s6, v95, v3 src0_sel:BYTE_0 src1_sel:DWORD
	v_bfrev_b32_e32 v88, 1
	s_and_saveexec_b32 s19, s6
	s_cbranch_execz .LBB340_592
; %bb.587:                              ;   in Loop: Header=BB340_9 Depth=1
	v_and_b32_e32 v24, 0x7f, v95
	v_mov_b32_e32 v88, 0x7f800001
	s_mov_b32 s20, exec_lo
	v_cmpx_ne_u32_e32 0x7f, v24
	s_cbranch_execz .LBB340_591
; %bb.588:                              ;   in Loop: Header=BB340_9 Depth=1
	v_and_b32_e32 v14, 7, v95
	v_lshrrev_b32_e32 v88, 3, v24
	v_cmp_gt_u32_e64 s6, 8, v24
	v_mov_b32_e32 v25, v15
	v_mov_b32_e32 v24, v14
	s_and_saveexec_b32 s21, s6
; %bb.589:                              ;   in Loop: Header=BB340_9 Depth=1
	v_ffbh_u32_e32 v24, v14
	v_min_u32_e32 v28, 32, v24
	v_subrev_nc_u32_e32 v24, 28, v28
	v_sub_nc_u32_e32 v88, 29, v28
	v_lshlrev_b64 v[24:25], v24, v[14:15]
	v_and_b32_e32 v24, 7, v24
; %bb.590:                              ;   in Loop: Header=BB340_9 Depth=1
	s_or_b32 exec_lo, exec_lo, s21
	v_lshlrev_b32_e32 v14, 24, v95
	v_lshlrev_b32_e32 v24, 20, v24
	v_lshl_add_u32 v25, v88, 23, 0x3c000000
	v_and_b32_e32 v14, 0x80000000, v14
	v_or3_b32 v88, v24, v14, v25
.LBB340_591:                            ;   in Loop: Header=BB340_9 Depth=1
	s_or_b32 exec_lo, exec_lo, s20
.LBB340_592:                            ;   in Loop: Header=BB340_9 Depth=1
	s_or_b32 exec_lo, exec_lo, s19
.LBB340_593:                            ;   in Loop: Header=BB340_9 Depth=1
	s_or_b32 exec_lo, exec_lo, s17
	v_cmp_ne_u16_sdwa s6, v95, v15 src0_sel:BYTE_1 src1_sel:DWORD
	s_and_saveexec_b32 s17, s6
	s_cbranch_execz .LBB340_601
; %bb.594:                              ;   in Loop: Header=BB340_9 Depth=1
	v_cmp_ne_u16_sdwa s6, v95, v3 src0_sel:BYTE_1 src1_sel:DWORD
	v_bfrev_b32_e32 v89, 1
	s_and_saveexec_b32 s19, s6
	s_cbranch_execz .LBB340_600
; %bb.595:                              ;   in Loop: Header=BB340_9 Depth=1
	v_and_b32_sdwa v14, v53, v95 dst_sel:DWORD dst_unused:UNUSED_PAD src0_sel:DWORD src1_sel:BYTE_1
	v_mov_b32_e32 v89, 0x7f800001
	s_mov_b32 s20, exec_lo
	v_and_b32_e32 v24, 0x7f, v14
	v_cmpx_ne_u32_e32 0x7f, v24
	s_cbranch_execz .LBB340_599
; %bb.596:                              ;   in Loop: Header=BB340_9 Depth=1
	v_and_b32_e32 v14, 7, v14
	v_lshrrev_b32_e32 v89, 3, v24
	v_cmp_gt_u32_e64 s6, 8, v24
	v_mov_b32_e32 v25, v15
	v_mov_b32_e32 v24, v14
	s_and_saveexec_b32 s21, s6
; %bb.597:                              ;   in Loop: Header=BB340_9 Depth=1
	v_ffbh_u32_e32 v24, v14
	v_min_u32_e32 v28, 32, v24
	v_subrev_nc_u32_e32 v24, 28, v28
	v_sub_nc_u32_e32 v89, 29, v28
	v_lshlrev_b64 v[24:25], v24, v[14:15]
	v_and_b32_e32 v24, 7, v24
; %bb.598:                              ;   in Loop: Header=BB340_9 Depth=1
	s_or_b32 exec_lo, exec_lo, s21
	v_lshlrev_b32_e32 v14, 16, v95
	v_lshlrev_b32_e32 v24, 20, v24
	v_lshl_add_u32 v25, v89, 23, 0x3c000000
	v_and_b32_e32 v14, 0x80000000, v14
	v_or3_b32 v89, v24, v14, v25
.LBB340_599:                            ;   in Loop: Header=BB340_9 Depth=1
	s_or_b32 exec_lo, exec_lo, s20
.LBB340_600:                            ;   in Loop: Header=BB340_9 Depth=1
	s_or_b32 exec_lo, exec_lo, s19
.LBB340_601:                            ;   in Loop: Header=BB340_9 Depth=1
	s_or_b32 exec_lo, exec_lo, s17
	v_and_b32_sdwa v14, v95, v29 dst_sel:DWORD dst_unused:UNUSED_PAD src0_sel:WORD_1 src1_sel:DWORD
	v_mov_b32_e32 v91, 0
	v_mov_b32_e32 v92, 0
	s_mov_b32 s17, exec_lo
	v_cmpx_ne_u16_e32 0, v14
	s_cbranch_execz .LBB340_609
; %bb.602:                              ;   in Loop: Header=BB340_9 Depth=1
	v_bfrev_b32_e32 v92, 1
	s_mov_b32 s19, exec_lo
	v_cmpx_ne_u16_e32 0x80, v14
	s_cbranch_execz .LBB340_608
; %bb.603:                              ;   in Loop: Header=BB340_9 Depth=1
	v_bfe_u32 v24, v95, 16, 7
	v_mov_b32_e32 v92, 0x7f800001
	s_mov_b32 s20, exec_lo
	v_cmpx_ne_u32_e32 0x7f, v24
	s_cbranch_execz .LBB340_607
; %bb.604:                              ;   in Loop: Header=BB340_9 Depth=1
	v_and_b32_sdwa v14, v95, v90 dst_sel:DWORD dst_unused:UNUSED_PAD src0_sel:WORD_1 src1_sel:DWORD
	v_lshrrev_b32_e32 v92, 3, v24
	v_cmp_gt_u32_e64 s6, 8, v24
	v_mov_b32_e32 v25, v15
	v_mov_b32_e32 v24, v14
	s_and_saveexec_b32 s21, s6
; %bb.605:                              ;   in Loop: Header=BB340_9 Depth=1
	v_ffbh_u32_e32 v24, v14
	v_min_u32_e32 v28, 32, v24
	v_subrev_nc_u32_e32 v24, 28, v28
	v_sub_nc_u32_e32 v92, 29, v28
	v_lshlrev_b64 v[24:25], v24, v[14:15]
	v_and_b32_e32 v24, 7, v24
; %bb.606:                              ;   in Loop: Header=BB340_9 Depth=1
	s_or_b32 exec_lo, exec_lo, s21
	v_lshlrev_b32_sdwa v14, v23, v95 dst_sel:DWORD dst_unused:UNUSED_PAD src0_sel:DWORD src1_sel:WORD_1
	v_lshlrev_b32_e32 v24, 20, v24
	v_lshl_add_u32 v25, v92, 23, 0x3c000000
	v_and_b32_e32 v14, 0x80000000, v14
	v_or3_b32 v92, v24, v14, v25
.LBB340_607:                            ;   in Loop: Header=BB340_9 Depth=1
	s_or_b32 exec_lo, exec_lo, s20
.LBB340_608:                            ;   in Loop: Header=BB340_9 Depth=1
	s_or_b32 exec_lo, exec_lo, s19
.LBB340_609:                            ;   in Loop: Header=BB340_9 Depth=1
	s_or_b32 exec_lo, exec_lo, s17
	s_mov_b32 s17, exec_lo
	v_cmpx_lt_u32_e32 0xffffff, v95
	s_cbranch_execz .LBB340_617
; %bb.610:                              ;   in Loop: Header=BB340_9 Depth=1
	v_cmp_ne_u32_sdwa s6, v95, v3 src0_sel:BYTE_3 src1_sel:DWORD
	v_bfrev_b32_e32 v91, 1
	s_and_saveexec_b32 s19, s6
	s_cbranch_execz .LBB340_616
; %bb.611:                              ;   in Loop: Header=BB340_9 Depth=1
	v_bfe_u32 v24, v95, 24, 7
	v_mov_b32_e32 v91, 0x7f800001
	s_mov_b32 s20, exec_lo
	v_cmpx_ne_u32_e32 0x7f, v24
	s_cbranch_execz .LBB340_615
; %bb.612:                              ;   in Loop: Header=BB340_9 Depth=1
	v_and_b32_sdwa v14, v95, v90 dst_sel:DWORD dst_unused:UNUSED_PAD src0_sel:BYTE_3 src1_sel:DWORD
	v_lshrrev_b32_e32 v91, 3, v24
	v_cmp_gt_u32_e64 s6, 8, v24
	v_mov_b32_e32 v25, v15
	v_mov_b32_e32 v24, v14
	s_and_saveexec_b32 s21, s6
; %bb.613:                              ;   in Loop: Header=BB340_9 Depth=1
	v_ffbh_u32_e32 v24, v14
	v_min_u32_e32 v28, 32, v24
	v_subrev_nc_u32_e32 v24, 28, v28
	v_sub_nc_u32_e32 v91, 29, v28
	v_lshlrev_b64 v[24:25], v24, v[14:15]
	v_and_b32_e32 v24, 7, v24
; %bb.614:                              ;   in Loop: Header=BB340_9 Depth=1
	s_or_b32 exec_lo, exec_lo, s21
	v_lshlrev_b32_sdwa v14, v23, v95 dst_sel:DWORD dst_unused:UNUSED_PAD src0_sel:DWORD src1_sel:BYTE_3
	v_lshlrev_b32_e32 v24, 20, v24
	v_lshl_add_u32 v25, v91, 23, 0x3c000000
	v_and_b32_e32 v14, 0x80000000, v14
	v_or3_b32 v91, v24, v14, v25
.LBB340_615:                            ;   in Loop: Header=BB340_9 Depth=1
	s_or_b32 exec_lo, exec_lo, s20
.LBB340_616:                            ;   in Loop: Header=BB340_9 Depth=1
	s_or_b32 exec_lo, exec_lo, s19
.LBB340_617:                            ;   in Loop: Header=BB340_9 Depth=1
	s_or_b32 exec_lo, exec_lo, s17
	v_add_co_u32 v24, s6, v93, v2
	v_add_co_ci_u32_e64 v25, null, 0, v94, s6
	v_mov_b32_e32 v94, 0
	v_mov_b32_e32 v93, 0
	flat_load_dword v105, v[24:25]
	s_waitcnt vmcnt(0) lgkmcnt(0)
	v_cmp_ne_u16_sdwa s6, v105, v15 src0_sel:BYTE_0 src1_sel:DWORD
	s_and_saveexec_b32 s17, s6
	s_cbranch_execz .LBB340_625
; %bb.618:                              ;   in Loop: Header=BB340_9 Depth=1
	v_cmp_ne_u16_sdwa s6, v105, v3 src0_sel:BYTE_0 src1_sel:DWORD
	v_bfrev_b32_e32 v93, 1
	s_and_saveexec_b32 s19, s6
	s_cbranch_execz .LBB340_624
; %bb.619:                              ;   in Loop: Header=BB340_9 Depth=1
	v_and_b32_e32 v24, 0x7f, v105
	v_mov_b32_e32 v93, 0x7f800001
	s_mov_b32 s20, exec_lo
	v_cmpx_ne_u32_e32 0x7f, v24
	s_cbranch_execz .LBB340_623
; %bb.620:                              ;   in Loop: Header=BB340_9 Depth=1
	v_and_b32_e32 v14, 7, v105
	v_lshrrev_b32_e32 v93, 3, v24
	v_cmp_gt_u32_e64 s6, 8, v24
	v_mov_b32_e32 v25, v15
	v_mov_b32_e32 v24, v14
	s_and_saveexec_b32 s21, s6
; %bb.621:                              ;   in Loop: Header=BB340_9 Depth=1
	v_ffbh_u32_e32 v24, v14
	v_min_u32_e32 v28, 32, v24
	v_subrev_nc_u32_e32 v24, 28, v28
	v_sub_nc_u32_e32 v93, 29, v28
	v_lshlrev_b64 v[24:25], v24, v[14:15]
	v_and_b32_e32 v24, 7, v24
; %bb.622:                              ;   in Loop: Header=BB340_9 Depth=1
	s_or_b32 exec_lo, exec_lo, s21
	v_lshlrev_b32_e32 v14, 24, v105
	v_lshlrev_b32_e32 v24, 20, v24
	v_lshl_add_u32 v25, v93, 23, 0x3c000000
	v_and_b32_e32 v14, 0x80000000, v14
	v_or3_b32 v93, v24, v14, v25
.LBB340_623:                            ;   in Loop: Header=BB340_9 Depth=1
	s_or_b32 exec_lo, exec_lo, s20
.LBB340_624:                            ;   in Loop: Header=BB340_9 Depth=1
	s_or_b32 exec_lo, exec_lo, s19
.LBB340_625:                            ;   in Loop: Header=BB340_9 Depth=1
	s_or_b32 exec_lo, exec_lo, s17
	v_cmp_ne_u16_sdwa s6, v105, v15 src0_sel:BYTE_1 src1_sel:DWORD
	s_and_saveexec_b32 s17, s6
	s_cbranch_execz .LBB340_633
; %bb.626:                              ;   in Loop: Header=BB340_9 Depth=1
	v_cmp_ne_u16_sdwa s6, v105, v3 src0_sel:BYTE_1 src1_sel:DWORD
	v_bfrev_b32_e32 v94, 1
	s_and_saveexec_b32 s19, s6
	s_cbranch_execz .LBB340_632
; %bb.627:                              ;   in Loop: Header=BB340_9 Depth=1
	v_and_b32_sdwa v14, v53, v105 dst_sel:DWORD dst_unused:UNUSED_PAD src0_sel:DWORD src1_sel:BYTE_1
	v_mov_b32_e32 v94, 0x7f800001
	s_mov_b32 s20, exec_lo
	v_and_b32_e32 v24, 0x7f, v14
	v_cmpx_ne_u32_e32 0x7f, v24
	s_cbranch_execz .LBB340_631
; %bb.628:                              ;   in Loop: Header=BB340_9 Depth=1
	v_and_b32_e32 v14, 7, v14
	v_lshrrev_b32_e32 v94, 3, v24
	v_cmp_gt_u32_e64 s6, 8, v24
	v_mov_b32_e32 v25, v15
	v_mov_b32_e32 v24, v14
	s_and_saveexec_b32 s21, s6
; %bb.629:                              ;   in Loop: Header=BB340_9 Depth=1
	v_ffbh_u32_e32 v24, v14
	v_min_u32_e32 v28, 32, v24
	v_subrev_nc_u32_e32 v24, 28, v28
	v_sub_nc_u32_e32 v94, 29, v28
	v_lshlrev_b64 v[24:25], v24, v[14:15]
	v_and_b32_e32 v24, 7, v24
; %bb.630:                              ;   in Loop: Header=BB340_9 Depth=1
	s_or_b32 exec_lo, exec_lo, s21
	v_lshlrev_b32_e32 v14, 16, v105
	v_lshlrev_b32_e32 v24, 20, v24
	v_lshl_add_u32 v25, v94, 23, 0x3c000000
	v_and_b32_e32 v14, 0x80000000, v14
	v_or3_b32 v94, v24, v14, v25
.LBB340_631:                            ;   in Loop: Header=BB340_9 Depth=1
	s_or_b32 exec_lo, exec_lo, s20
.LBB340_632:                            ;   in Loop: Header=BB340_9 Depth=1
	s_or_b32 exec_lo, exec_lo, s19
.LBB340_633:                            ;   in Loop: Header=BB340_9 Depth=1
	s_or_b32 exec_lo, exec_lo, s17
	v_and_b32_sdwa v14, v105, v29 dst_sel:DWORD dst_unused:UNUSED_PAD src0_sel:WORD_1 src1_sel:DWORD
	v_mov_b32_e32 v95, 0
	v_mov_b32_e32 v104, 0
	s_mov_b32 s17, exec_lo
	v_cmpx_ne_u16_e32 0, v14
	s_cbranch_execz .LBB340_641
; %bb.634:                              ;   in Loop: Header=BB340_9 Depth=1
	v_bfrev_b32_e32 v104, 1
	s_mov_b32 s19, exec_lo
	v_cmpx_ne_u16_e32 0x80, v14
	s_cbranch_execz .LBB340_640
; %bb.635:                              ;   in Loop: Header=BB340_9 Depth=1
	v_bfe_u32 v24, v105, 16, 7
	v_mov_b32_e32 v104, 0x7f800001
	s_mov_b32 s20, exec_lo
	v_cmpx_ne_u32_e32 0x7f, v24
	s_cbranch_execz .LBB340_639
; %bb.636:                              ;   in Loop: Header=BB340_9 Depth=1
	v_and_b32_sdwa v14, v105, v90 dst_sel:DWORD dst_unused:UNUSED_PAD src0_sel:WORD_1 src1_sel:DWORD
	v_lshrrev_b32_e32 v104, 3, v24
	v_cmp_gt_u32_e64 s6, 8, v24
	v_mov_b32_e32 v25, v15
	v_mov_b32_e32 v24, v14
	s_and_saveexec_b32 s21, s6
; %bb.637:                              ;   in Loop: Header=BB340_9 Depth=1
	v_ffbh_u32_e32 v24, v14
	v_min_u32_e32 v28, 32, v24
	v_subrev_nc_u32_e32 v24, 28, v28
	v_sub_nc_u32_e32 v104, 29, v28
	v_lshlrev_b64 v[24:25], v24, v[14:15]
	v_and_b32_e32 v24, 7, v24
; %bb.638:                              ;   in Loop: Header=BB340_9 Depth=1
	s_or_b32 exec_lo, exec_lo, s21
	v_lshlrev_b32_sdwa v14, v23, v105 dst_sel:DWORD dst_unused:UNUSED_PAD src0_sel:DWORD src1_sel:WORD_1
	v_lshlrev_b32_e32 v24, 20, v24
	v_lshl_add_u32 v25, v104, 23, 0x3c000000
	v_and_b32_e32 v14, 0x80000000, v14
	v_or3_b32 v104, v24, v14, v25
.LBB340_639:                            ;   in Loop: Header=BB340_9 Depth=1
	s_or_b32 exec_lo, exec_lo, s20
.LBB340_640:                            ;   in Loop: Header=BB340_9 Depth=1
	s_or_b32 exec_lo, exec_lo, s19
.LBB340_641:                            ;   in Loop: Header=BB340_9 Depth=1
	s_or_b32 exec_lo, exec_lo, s17
	s_mov_b32 s17, exec_lo
	v_cmpx_lt_u32_e32 0xffffff, v105
	s_cbranch_execz .LBB340_649
; %bb.642:                              ;   in Loop: Header=BB340_9 Depth=1
	v_cmp_ne_u32_sdwa s6, v105, v3 src0_sel:BYTE_3 src1_sel:DWORD
	v_bfrev_b32_e32 v95, 1
	s_and_saveexec_b32 s19, s6
	s_cbranch_execz .LBB340_648
; %bb.643:                              ;   in Loop: Header=BB340_9 Depth=1
	v_bfe_u32 v24, v105, 24, 7
	v_mov_b32_e32 v95, 0x7f800001
	s_mov_b32 s20, exec_lo
	v_cmpx_ne_u32_e32 0x7f, v24
	s_cbranch_execz .LBB340_647
; %bb.644:                              ;   in Loop: Header=BB340_9 Depth=1
	v_and_b32_sdwa v14, v105, v90 dst_sel:DWORD dst_unused:UNUSED_PAD src0_sel:BYTE_3 src1_sel:DWORD
	v_lshrrev_b32_e32 v95, 3, v24
	v_cmp_gt_u32_e64 s6, 8, v24
	v_mov_b32_e32 v25, v15
	v_mov_b32_e32 v24, v14
	s_and_saveexec_b32 s21, s6
; %bb.645:                              ;   in Loop: Header=BB340_9 Depth=1
	v_ffbh_u32_e32 v24, v14
	v_min_u32_e32 v28, 32, v24
	v_subrev_nc_u32_e32 v24, 28, v28
	v_sub_nc_u32_e32 v95, 29, v28
	v_lshlrev_b64 v[24:25], v24, v[14:15]
	v_and_b32_e32 v24, 7, v24
; %bb.646:                              ;   in Loop: Header=BB340_9 Depth=1
	s_or_b32 exec_lo, exec_lo, s21
	v_lshlrev_b32_sdwa v14, v23, v105 dst_sel:DWORD dst_unused:UNUSED_PAD src0_sel:DWORD src1_sel:BYTE_3
	v_lshlrev_b32_e32 v24, 20, v24
	v_lshl_add_u32 v25, v95, 23, 0x3c000000
	v_and_b32_e32 v14, 0x80000000, v14
	v_or3_b32 v95, v24, v14, v25
.LBB340_647:                            ;   in Loop: Header=BB340_9 Depth=1
	s_or_b32 exec_lo, exec_lo, s20
.LBB340_648:                            ;   in Loop: Header=BB340_9 Depth=1
	s_or_b32 exec_lo, exec_lo, s19
.LBB340_649:                            ;   in Loop: Header=BB340_9 Depth=1
	s_or_b32 exec_lo, exec_lo, s17
	v_add_co_u32 v109, s6, 0xa00, v16
	v_add_co_ci_u32_e64 v110, null, 0, v17, s6
	v_mov_b32_e32 v106, 0
	v_add_co_u32 v24, s6, v109, v8
	v_add_co_ci_u32_e64 v25, null, 0, v110, s6
	v_mov_b32_e32 v105, 0
	flat_load_dword v111, v[24:25]
	s_waitcnt vmcnt(0) lgkmcnt(0)
	v_cmp_ne_u16_sdwa s6, v111, v15 src0_sel:BYTE_0 src1_sel:DWORD
	s_and_saveexec_b32 s17, s6
	s_cbranch_execz .LBB340_657
; %bb.650:                              ;   in Loop: Header=BB340_9 Depth=1
	v_cmp_ne_u16_sdwa s6, v111, v3 src0_sel:BYTE_0 src1_sel:DWORD
	v_bfrev_b32_e32 v105, 1
	s_and_saveexec_b32 s19, s6
	s_cbranch_execz .LBB340_656
; %bb.651:                              ;   in Loop: Header=BB340_9 Depth=1
	v_and_b32_e32 v24, 0x7f, v111
	v_mov_b32_e32 v105, 0x7f800001
	s_mov_b32 s20, exec_lo
	v_cmpx_ne_u32_e32 0x7f, v24
	s_cbranch_execz .LBB340_655
; %bb.652:                              ;   in Loop: Header=BB340_9 Depth=1
	v_and_b32_e32 v14, 7, v111
	v_lshrrev_b32_e32 v105, 3, v24
	v_cmp_gt_u32_e64 s6, 8, v24
	v_mov_b32_e32 v25, v15
	v_mov_b32_e32 v24, v14
	s_and_saveexec_b32 s21, s6
; %bb.653:                              ;   in Loop: Header=BB340_9 Depth=1
	v_ffbh_u32_e32 v24, v14
	v_min_u32_e32 v28, 32, v24
	v_subrev_nc_u32_e32 v24, 28, v28
	v_sub_nc_u32_e32 v105, 29, v28
	v_lshlrev_b64 v[24:25], v24, v[14:15]
	v_and_b32_e32 v24, 7, v24
; %bb.654:                              ;   in Loop: Header=BB340_9 Depth=1
	s_or_b32 exec_lo, exec_lo, s21
	v_lshlrev_b32_e32 v14, 24, v111
	v_lshlrev_b32_e32 v24, 20, v24
	v_lshl_add_u32 v25, v105, 23, 0x3c000000
	v_and_b32_e32 v14, 0x80000000, v14
	v_or3_b32 v105, v24, v14, v25
.LBB340_655:                            ;   in Loop: Header=BB340_9 Depth=1
	s_or_b32 exec_lo, exec_lo, s20
.LBB340_656:                            ;   in Loop: Header=BB340_9 Depth=1
	s_or_b32 exec_lo, exec_lo, s19
.LBB340_657:                            ;   in Loop: Header=BB340_9 Depth=1
	s_or_b32 exec_lo, exec_lo, s17
	v_cmp_ne_u16_sdwa s6, v111, v15 src0_sel:BYTE_1 src1_sel:DWORD
	s_and_saveexec_b32 s17, s6
	s_cbranch_execz .LBB340_665
; %bb.658:                              ;   in Loop: Header=BB340_9 Depth=1
	v_cmp_ne_u16_sdwa s6, v111, v3 src0_sel:BYTE_1 src1_sel:DWORD
	v_bfrev_b32_e32 v106, 1
	s_and_saveexec_b32 s19, s6
	s_cbranch_execz .LBB340_664
; %bb.659:                              ;   in Loop: Header=BB340_9 Depth=1
	v_and_b32_sdwa v14, v53, v111 dst_sel:DWORD dst_unused:UNUSED_PAD src0_sel:DWORD src1_sel:BYTE_1
	v_mov_b32_e32 v106, 0x7f800001
	s_mov_b32 s20, exec_lo
	v_and_b32_e32 v24, 0x7f, v14
	v_cmpx_ne_u32_e32 0x7f, v24
	s_cbranch_execz .LBB340_663
; %bb.660:                              ;   in Loop: Header=BB340_9 Depth=1
	v_and_b32_e32 v14, 7, v14
	v_lshrrev_b32_e32 v106, 3, v24
	v_cmp_gt_u32_e64 s6, 8, v24
	v_mov_b32_e32 v25, v15
	v_mov_b32_e32 v24, v14
	s_and_saveexec_b32 s21, s6
; %bb.661:                              ;   in Loop: Header=BB340_9 Depth=1
	v_ffbh_u32_e32 v24, v14
	v_min_u32_e32 v28, 32, v24
	v_subrev_nc_u32_e32 v24, 28, v28
	v_sub_nc_u32_e32 v106, 29, v28
	v_lshlrev_b64 v[24:25], v24, v[14:15]
	v_and_b32_e32 v24, 7, v24
; %bb.662:                              ;   in Loop: Header=BB340_9 Depth=1
	s_or_b32 exec_lo, exec_lo, s21
	v_lshlrev_b32_e32 v14, 16, v111
	v_lshlrev_b32_e32 v24, 20, v24
	v_lshl_add_u32 v25, v106, 23, 0x3c000000
	v_and_b32_e32 v14, 0x80000000, v14
	v_or3_b32 v106, v24, v14, v25
.LBB340_663:                            ;   in Loop: Header=BB340_9 Depth=1
	s_or_b32 exec_lo, exec_lo, s20
.LBB340_664:                            ;   in Loop: Header=BB340_9 Depth=1
	s_or_b32 exec_lo, exec_lo, s19
.LBB340_665:                            ;   in Loop: Header=BB340_9 Depth=1
	s_or_b32 exec_lo, exec_lo, s17
	v_and_b32_sdwa v14, v111, v29 dst_sel:DWORD dst_unused:UNUSED_PAD src0_sel:WORD_1 src1_sel:DWORD
	v_mov_b32_e32 v107, 0
	v_mov_b32_e32 v108, 0
	s_mov_b32 s17, exec_lo
	v_cmpx_ne_u16_e32 0, v14
	s_cbranch_execz .LBB340_673
; %bb.666:                              ;   in Loop: Header=BB340_9 Depth=1
	v_bfrev_b32_e32 v108, 1
	s_mov_b32 s19, exec_lo
	v_cmpx_ne_u16_e32 0x80, v14
	s_cbranch_execz .LBB340_672
; %bb.667:                              ;   in Loop: Header=BB340_9 Depth=1
	v_bfe_u32 v24, v111, 16, 7
	v_mov_b32_e32 v108, 0x7f800001
	s_mov_b32 s20, exec_lo
	v_cmpx_ne_u32_e32 0x7f, v24
	s_cbranch_execz .LBB340_671
; %bb.668:                              ;   in Loop: Header=BB340_9 Depth=1
	v_and_b32_sdwa v14, v111, v90 dst_sel:DWORD dst_unused:UNUSED_PAD src0_sel:WORD_1 src1_sel:DWORD
	v_lshrrev_b32_e32 v108, 3, v24
	v_cmp_gt_u32_e64 s6, 8, v24
	v_mov_b32_e32 v25, v15
	v_mov_b32_e32 v24, v14
	s_and_saveexec_b32 s21, s6
; %bb.669:                              ;   in Loop: Header=BB340_9 Depth=1
	v_ffbh_u32_e32 v24, v14
	v_min_u32_e32 v28, 32, v24
	v_subrev_nc_u32_e32 v24, 28, v28
	v_sub_nc_u32_e32 v108, 29, v28
	v_lshlrev_b64 v[24:25], v24, v[14:15]
	v_and_b32_e32 v24, 7, v24
; %bb.670:                              ;   in Loop: Header=BB340_9 Depth=1
	s_or_b32 exec_lo, exec_lo, s21
	v_lshlrev_b32_sdwa v14, v23, v111 dst_sel:DWORD dst_unused:UNUSED_PAD src0_sel:DWORD src1_sel:WORD_1
	v_lshlrev_b32_e32 v24, 20, v24
	v_lshl_add_u32 v25, v108, 23, 0x3c000000
	v_and_b32_e32 v14, 0x80000000, v14
	v_or3_b32 v108, v24, v14, v25
.LBB340_671:                            ;   in Loop: Header=BB340_9 Depth=1
	s_or_b32 exec_lo, exec_lo, s20
.LBB340_672:                            ;   in Loop: Header=BB340_9 Depth=1
	s_or_b32 exec_lo, exec_lo, s19
.LBB340_673:                            ;   in Loop: Header=BB340_9 Depth=1
	s_or_b32 exec_lo, exec_lo, s17
	s_mov_b32 s17, exec_lo
	v_cmpx_lt_u32_e32 0xffffff, v111
	s_cbranch_execz .LBB340_681
; %bb.674:                              ;   in Loop: Header=BB340_9 Depth=1
	v_cmp_ne_u32_sdwa s6, v111, v3 src0_sel:BYTE_3 src1_sel:DWORD
	v_bfrev_b32_e32 v107, 1
	s_and_saveexec_b32 s19, s6
	s_cbranch_execz .LBB340_680
; %bb.675:                              ;   in Loop: Header=BB340_9 Depth=1
	v_bfe_u32 v24, v111, 24, 7
	v_mov_b32_e32 v107, 0x7f800001
	s_mov_b32 s20, exec_lo
	v_cmpx_ne_u32_e32 0x7f, v24
	s_cbranch_execz .LBB340_679
; %bb.676:                              ;   in Loop: Header=BB340_9 Depth=1
	v_and_b32_sdwa v14, v111, v90 dst_sel:DWORD dst_unused:UNUSED_PAD src0_sel:BYTE_3 src1_sel:DWORD
	v_lshrrev_b32_e32 v107, 3, v24
	v_cmp_gt_u32_e64 s6, 8, v24
	v_mov_b32_e32 v25, v15
	v_mov_b32_e32 v24, v14
	s_and_saveexec_b32 s21, s6
; %bb.677:                              ;   in Loop: Header=BB340_9 Depth=1
	v_ffbh_u32_e32 v24, v14
	v_min_u32_e32 v28, 32, v24
	v_subrev_nc_u32_e32 v24, 28, v28
	v_sub_nc_u32_e32 v107, 29, v28
	v_lshlrev_b64 v[24:25], v24, v[14:15]
	v_and_b32_e32 v24, 7, v24
; %bb.678:                              ;   in Loop: Header=BB340_9 Depth=1
	s_or_b32 exec_lo, exec_lo, s21
	v_lshlrev_b32_sdwa v14, v23, v111 dst_sel:DWORD dst_unused:UNUSED_PAD src0_sel:DWORD src1_sel:BYTE_3
	v_lshlrev_b32_e32 v24, 20, v24
	v_lshl_add_u32 v25, v107, 23, 0x3c000000
	v_and_b32_e32 v14, 0x80000000, v14
	v_or3_b32 v107, v24, v14, v25
.LBB340_679:                            ;   in Loop: Header=BB340_9 Depth=1
	s_or_b32 exec_lo, exec_lo, s20
.LBB340_680:                            ;   in Loop: Header=BB340_9 Depth=1
	s_or_b32 exec_lo, exec_lo, s19
.LBB340_681:                            ;   in Loop: Header=BB340_9 Depth=1
	s_or_b32 exec_lo, exec_lo, s17
	v_add_co_u32 v24, s6, v109, v2
	v_add_co_ci_u32_e64 v25, null, 0, v110, s6
	v_mov_b32_e32 v121, 0
	v_mov_b32_e32 v110, 0
	flat_load_dword v109, v[24:25]
	s_waitcnt vmcnt(0) lgkmcnt(0)
	v_cmp_ne_u16_sdwa s6, v109, v15 src0_sel:BYTE_0 src1_sel:DWORD
	s_and_saveexec_b32 s17, s6
	s_cbranch_execz .LBB340_689
; %bb.682:                              ;   in Loop: Header=BB340_9 Depth=1
	v_cmp_ne_u16_sdwa s6, v109, v3 src0_sel:BYTE_0 src1_sel:DWORD
	v_bfrev_b32_e32 v110, 1
	s_and_saveexec_b32 s19, s6
	s_cbranch_execz .LBB340_688
; %bb.683:                              ;   in Loop: Header=BB340_9 Depth=1
	v_and_b32_e32 v24, 0x7f, v109
	v_mov_b32_e32 v110, 0x7f800001
	s_mov_b32 s20, exec_lo
	v_cmpx_ne_u32_e32 0x7f, v24
	s_cbranch_execz .LBB340_687
; %bb.684:                              ;   in Loop: Header=BB340_9 Depth=1
	v_and_b32_e32 v14, 7, v109
	v_lshrrev_b32_e32 v110, 3, v24
	v_cmp_gt_u32_e64 s6, 8, v24
	v_mov_b32_e32 v25, v15
	v_mov_b32_e32 v24, v14
	s_and_saveexec_b32 s21, s6
; %bb.685:                              ;   in Loop: Header=BB340_9 Depth=1
	v_ffbh_u32_e32 v24, v14
	v_min_u32_e32 v28, 32, v24
	v_subrev_nc_u32_e32 v24, 28, v28
	v_sub_nc_u32_e32 v110, 29, v28
	v_lshlrev_b64 v[24:25], v24, v[14:15]
	v_and_b32_e32 v24, 7, v24
; %bb.686:                              ;   in Loop: Header=BB340_9 Depth=1
	s_or_b32 exec_lo, exec_lo, s21
	v_lshlrev_b32_e32 v14, 24, v109
	v_lshlrev_b32_e32 v24, 20, v24
	v_lshl_add_u32 v25, v110, 23, 0x3c000000
	v_and_b32_e32 v14, 0x80000000, v14
	v_or3_b32 v110, v24, v14, v25
.LBB340_687:                            ;   in Loop: Header=BB340_9 Depth=1
	s_or_b32 exec_lo, exec_lo, s20
.LBB340_688:                            ;   in Loop: Header=BB340_9 Depth=1
	s_or_b32 exec_lo, exec_lo, s19
.LBB340_689:                            ;   in Loop: Header=BB340_9 Depth=1
	s_or_b32 exec_lo, exec_lo, s17
	v_cmp_ne_u16_sdwa s6, v109, v15 src0_sel:BYTE_1 src1_sel:DWORD
	s_and_saveexec_b32 s17, s6
	s_cbranch_execz .LBB340_697
; %bb.690:                              ;   in Loop: Header=BB340_9 Depth=1
	v_cmp_ne_u16_sdwa s6, v109, v3 src0_sel:BYTE_1 src1_sel:DWORD
	v_bfrev_b32_e32 v121, 1
	s_and_saveexec_b32 s19, s6
	s_cbranch_execz .LBB340_696
; %bb.691:                              ;   in Loop: Header=BB340_9 Depth=1
	v_and_b32_sdwa v14, v53, v109 dst_sel:DWORD dst_unused:UNUSED_PAD src0_sel:DWORD src1_sel:BYTE_1
	v_mov_b32_e32 v121, 0x7f800001
	s_mov_b32 s20, exec_lo
	v_and_b32_e32 v111, 0x7f, v14
	v_cmpx_ne_u32_e32 0x7f, v111
	s_cbranch_execz .LBB340_695
; %bb.692:                              ;   in Loop: Header=BB340_9 Depth=1
	v_and_b32_e32 v14, 7, v14
	v_mov_b32_e32 v25, v15
	v_lshrrev_b32_e32 v25, 3, v111
	s_mov_b32 s21, exec_lo
	v_mov_b32_e32 v24, v14
	v_cmpx_gt_u32_e32 8, v111
; %bb.693:                              ;   in Loop: Header=BB340_9 Depth=1
	v_ffbh_u32_e32 v24, v14
	v_min_u32_e32 v28, 32, v24
	v_subrev_nc_u32_e32 v24, 28, v28
	v_lshlrev_b64 v[24:25], v24, v[14:15]
	v_sub_nc_u32_e32 v25, 29, v28
	v_and_b32_e32 v24, 7, v24
; %bb.694:                              ;   in Loop: Header=BB340_9 Depth=1
	s_or_b32 exec_lo, exec_lo, s21
	v_lshlrev_b32_e32 v14, 16, v109
	v_lshlrev_b32_e32 v24, 20, v24
	v_lshl_add_u32 v25, v25, 23, 0x3c000000
	v_and_b32_e32 v14, 0x80000000, v14
	v_or3_b32 v121, v24, v14, v25
.LBB340_695:                            ;   in Loop: Header=BB340_9 Depth=1
	s_or_b32 exec_lo, exec_lo, s20
.LBB340_696:                            ;   in Loop: Header=BB340_9 Depth=1
	s_or_b32 exec_lo, exec_lo, s19
.LBB340_697:                            ;   in Loop: Header=BB340_9 Depth=1
	s_or_b32 exec_lo, exec_lo, s17
	v_and_b32_sdwa v14, v109, v29 dst_sel:DWORD dst_unused:UNUSED_PAD src0_sel:WORD_1 src1_sel:DWORD
	v_mov_b32_e32 v120, 0
	v_mov_b32_e32 v111, 0
	s_mov_b32 s17, exec_lo
	v_cmpx_ne_u16_e32 0, v14
	s_cbranch_execz .LBB340_705
; %bb.698:                              ;   in Loop: Header=BB340_9 Depth=1
	v_bfrev_b32_e32 v111, 1
	s_mov_b32 s19, exec_lo
	v_cmpx_ne_u16_e32 0x80, v14
	s_cbranch_execz .LBB340_704
; %bb.699:                              ;   in Loop: Header=BB340_9 Depth=1
	v_bfe_u32 v122, v109, 16, 7
	v_mov_b32_e32 v111, 0x7f800001
	s_mov_b32 s20, exec_lo
	v_cmpx_ne_u32_e32 0x7f, v122
	s_cbranch_execz .LBB340_703
; %bb.700:                              ;   in Loop: Header=BB340_9 Depth=1
	v_and_b32_sdwa v14, v109, v90 dst_sel:DWORD dst_unused:UNUSED_PAD src0_sel:WORD_1 src1_sel:DWORD
	v_mov_b32_e32 v25, v15
	v_lshrrev_b32_e32 v25, 3, v122
	s_mov_b32 s21, exec_lo
	v_mov_b32_e32 v24, v14
	v_cmpx_gt_u32_e32 8, v122
; %bb.701:                              ;   in Loop: Header=BB340_9 Depth=1
	v_ffbh_u32_e32 v24, v14
	v_min_u32_e32 v28, 32, v24
	v_subrev_nc_u32_e32 v24, 28, v28
	v_lshlrev_b64 v[24:25], v24, v[14:15]
	v_sub_nc_u32_e32 v25, 29, v28
	v_and_b32_e32 v24, 7, v24
; %bb.702:                              ;   in Loop: Header=BB340_9 Depth=1
	s_or_b32 exec_lo, exec_lo, s21
	v_lshlrev_b32_sdwa v14, v23, v109 dst_sel:DWORD dst_unused:UNUSED_PAD src0_sel:DWORD src1_sel:WORD_1
	v_lshlrev_b32_e32 v24, 20, v24
	v_lshl_add_u32 v25, v25, 23, 0x3c000000
	v_and_b32_e32 v14, 0x80000000, v14
	v_or3_b32 v111, v24, v14, v25
.LBB340_703:                            ;   in Loop: Header=BB340_9 Depth=1
	s_or_b32 exec_lo, exec_lo, s20
.LBB340_704:                            ;   in Loop: Header=BB340_9 Depth=1
	s_or_b32 exec_lo, exec_lo, s19
.LBB340_705:                            ;   in Loop: Header=BB340_9 Depth=1
	s_or_b32 exec_lo, exec_lo, s17
	s_mov_b32 s17, exec_lo
	v_cmpx_lt_u32_e32 0xffffff, v109
	s_cbranch_execz .LBB340_713
; %bb.706:                              ;   in Loop: Header=BB340_9 Depth=1
	v_cmp_ne_u32_sdwa s6, v109, v3 src0_sel:BYTE_3 src1_sel:DWORD
	v_bfrev_b32_e32 v120, 1
	s_and_saveexec_b32 s19, s6
	s_cbranch_execz .LBB340_712
; %bb.707:                              ;   in Loop: Header=BB340_9 Depth=1
	v_bfe_u32 v122, v109, 24, 7
	v_mov_b32_e32 v120, 0x7f800001
	s_mov_b32 s20, exec_lo
	v_cmpx_ne_u32_e32 0x7f, v122
	s_cbranch_execz .LBB340_711
; %bb.708:                              ;   in Loop: Header=BB340_9 Depth=1
	v_and_b32_sdwa v14, v109, v90 dst_sel:DWORD dst_unused:UNUSED_PAD src0_sel:BYTE_3 src1_sel:DWORD
	v_mov_b32_e32 v25, v15
	v_lshrrev_b32_e32 v25, 3, v122
	s_mov_b32 s21, exec_lo
	v_mov_b32_e32 v24, v14
	v_cmpx_gt_u32_e32 8, v122
; %bb.709:                              ;   in Loop: Header=BB340_9 Depth=1
	v_ffbh_u32_e32 v24, v14
	v_min_u32_e32 v28, 32, v24
	v_subrev_nc_u32_e32 v24, 28, v28
	v_lshlrev_b64 v[24:25], v24, v[14:15]
	v_sub_nc_u32_e32 v25, 29, v28
	v_and_b32_e32 v24, 7, v24
; %bb.710:                              ;   in Loop: Header=BB340_9 Depth=1
	s_or_b32 exec_lo, exec_lo, s21
	v_lshlrev_b32_sdwa v14, v23, v109 dst_sel:DWORD dst_unused:UNUSED_PAD src0_sel:DWORD src1_sel:BYTE_3
	v_lshlrev_b32_e32 v24, 20, v24
	v_lshl_add_u32 v25, v25, 23, 0x3c000000
	v_and_b32_e32 v14, 0x80000000, v14
	v_or3_b32 v120, v24, v14, v25
.LBB340_711:                            ;   in Loop: Header=BB340_9 Depth=1
	s_or_b32 exec_lo, exec_lo, s20
.LBB340_712:                            ;   in Loop: Header=BB340_9 Depth=1
	s_or_b32 exec_lo, exec_lo, s19
.LBB340_713:                            ;   in Loop: Header=BB340_9 Depth=1
	s_or_b32 exec_lo, exec_lo, s17
	v_add_co_u32 v122, s6, 0xb00, v16
	v_add_co_ci_u32_e64 v123, null, 0, v17, s6
	v_mov_b32_e32 v25, 0
	v_add_co_u32 v16, s6, v122, v8
	v_add_co_ci_u32_e64 v17, null, 0, v123, s6
	v_mov_b32_e32 v109, 0
	flat_load_dword v125, v[16:17]
	s_waitcnt vmcnt(0) lgkmcnt(0)
	v_cmp_ne_u16_sdwa s6, v125, v15 src0_sel:BYTE_0 src1_sel:DWORD
	s_and_saveexec_b32 s17, s6
	s_cbranch_execz .LBB340_721
; %bb.714:                              ;   in Loop: Header=BB340_9 Depth=1
	v_cmp_ne_u16_sdwa s6, v125, v3 src0_sel:BYTE_0 src1_sel:DWORD
	v_bfrev_b32_e32 v109, 1
	s_and_saveexec_b32 s19, s6
	s_cbranch_execz .LBB340_720
; %bb.715:                              ;   in Loop: Header=BB340_9 Depth=1
	v_and_b32_e32 v24, 0x7f, v125
	v_mov_b32_e32 v109, 0x7f800001
	s_mov_b32 s20, exec_lo
	v_cmpx_ne_u32_e32 0x7f, v24
	s_cbranch_execz .LBB340_719
; %bb.716:                              ;   in Loop: Header=BB340_9 Depth=1
	v_and_b32_e32 v14, 7, v125
	v_mov_b32_e32 v17, v15
	v_lshrrev_b32_e32 v17, 3, v24
	s_mov_b32 s21, exec_lo
	v_mov_b32_e32 v16, v14
	v_cmpx_gt_u32_e32 8, v24
; %bb.717:                              ;   in Loop: Header=BB340_9 Depth=1
	v_ffbh_u32_e32 v16, v14
	v_min_u32_e32 v24, 32, v16
	v_subrev_nc_u32_e32 v16, 28, v24
	v_lshlrev_b64 v[16:17], v16, v[14:15]
	v_sub_nc_u32_e32 v17, 29, v24
	v_and_b32_e32 v16, 7, v16
; %bb.718:                              ;   in Loop: Header=BB340_9 Depth=1
	s_or_b32 exec_lo, exec_lo, s21
	v_lshlrev_b32_e32 v14, 24, v125
	v_lshlrev_b32_e32 v16, 20, v16
	v_lshl_add_u32 v17, v17, 23, 0x3c000000
	v_and_b32_e32 v14, 0x80000000, v14
	v_or3_b32 v109, v16, v14, v17
.LBB340_719:                            ;   in Loop: Header=BB340_9 Depth=1
	s_or_b32 exec_lo, exec_lo, s20
.LBB340_720:                            ;   in Loop: Header=BB340_9 Depth=1
	s_or_b32 exec_lo, exec_lo, s19
.LBB340_721:                            ;   in Loop: Header=BB340_9 Depth=1
	s_or_b32 exec_lo, exec_lo, s17
	v_cmp_ne_u16_sdwa s6, v125, v15 src0_sel:BYTE_1 src1_sel:DWORD
	s_and_saveexec_b32 s17, s6
	s_cbranch_execz .LBB340_729
; %bb.722:                              ;   in Loop: Header=BB340_9 Depth=1
	v_cmp_ne_u16_sdwa s6, v125, v3 src0_sel:BYTE_1 src1_sel:DWORD
	v_bfrev_b32_e32 v25, 1
	s_and_saveexec_b32 s19, s6
	s_cbranch_execz .LBB340_728
; %bb.723:                              ;   in Loop: Header=BB340_9 Depth=1
	v_and_b32_sdwa v14, v53, v125 dst_sel:DWORD dst_unused:UNUSED_PAD src0_sel:DWORD src1_sel:BYTE_1
	v_mov_b32_e32 v25, 0x7f800001
	s_mov_b32 s20, exec_lo
	v_and_b32_e32 v24, 0x7f, v14
	v_cmpx_ne_u32_e32 0x7f, v24
	s_cbranch_execz .LBB340_727
; %bb.724:                              ;   in Loop: Header=BB340_9 Depth=1
	v_and_b32_e32 v14, 7, v14
	v_mov_b32_e32 v17, v15
	v_lshrrev_b32_e32 v17, 3, v24
	s_mov_b32 s21, exec_lo
	v_mov_b32_e32 v16, v14
	v_cmpx_gt_u32_e32 8, v24
; %bb.725:                              ;   in Loop: Header=BB340_9 Depth=1
	v_ffbh_u32_e32 v16, v14
	v_min_u32_e32 v24, 32, v16
	v_subrev_nc_u32_e32 v16, 28, v24
	v_lshlrev_b64 v[16:17], v16, v[14:15]
	v_sub_nc_u32_e32 v17, 29, v24
	v_and_b32_e32 v16, 7, v16
; %bb.726:                              ;   in Loop: Header=BB340_9 Depth=1
	s_or_b32 exec_lo, exec_lo, s21
	v_lshlrev_b32_e32 v14, 16, v125
	v_lshlrev_b32_e32 v16, 20, v16
	v_lshl_add_u32 v17, v17, 23, 0x3c000000
	v_and_b32_e32 v14, 0x80000000, v14
	v_or3_b32 v25, v16, v14, v17
.LBB340_727:                            ;   in Loop: Header=BB340_9 Depth=1
	s_or_b32 exec_lo, exec_lo, s20
.LBB340_728:                            ;   in Loop: Header=BB340_9 Depth=1
	s_or_b32 exec_lo, exec_lo, s19
.LBB340_729:                            ;   in Loop: Header=BB340_9 Depth=1
	s_or_b32 exec_lo, exec_lo, s17
	v_and_b32_sdwa v14, v125, v29 dst_sel:DWORD dst_unused:UNUSED_PAD src0_sel:WORD_1 src1_sel:DWORD
	v_mov_b32_e32 v124, 0
	v_mov_b32_e32 v24, 0
	s_mov_b32 s17, exec_lo
	v_cmpx_ne_u16_e32 0, v14
	s_cbranch_execz .LBB340_737
; %bb.730:                              ;   in Loop: Header=BB340_9 Depth=1
	v_bfrev_b32_e32 v24, 1
	s_mov_b32 s19, exec_lo
	v_cmpx_ne_u16_e32 0x80, v14
	s_cbranch_execz .LBB340_736
; %bb.731:                              ;   in Loop: Header=BB340_9 Depth=1
	v_bfe_u32 v126, v125, 16, 7
	v_mov_b32_e32 v24, 0x7f800001
	s_mov_b32 s20, exec_lo
	v_cmpx_ne_u32_e32 0x7f, v126
	s_cbranch_execz .LBB340_735
; %bb.732:                              ;   in Loop: Header=BB340_9 Depth=1
	v_and_b32_sdwa v14, v125, v90 dst_sel:DWORD dst_unused:UNUSED_PAD src0_sel:WORD_1 src1_sel:DWORD
	v_mov_b32_e32 v17, v15
	v_lshrrev_b32_e32 v17, 3, v126
	s_mov_b32 s21, exec_lo
	v_mov_b32_e32 v16, v14
	v_cmpx_gt_u32_e32 8, v126
; %bb.733:                              ;   in Loop: Header=BB340_9 Depth=1
	v_ffbh_u32_e32 v16, v14
	v_min_u32_e32 v24, 32, v16
	v_subrev_nc_u32_e32 v16, 28, v24
	v_lshlrev_b64 v[16:17], v16, v[14:15]
	v_sub_nc_u32_e32 v17, 29, v24
	v_and_b32_e32 v16, 7, v16
; %bb.734:                              ;   in Loop: Header=BB340_9 Depth=1
	s_or_b32 exec_lo, exec_lo, s21
	v_lshlrev_b32_sdwa v14, v23, v125 dst_sel:DWORD dst_unused:UNUSED_PAD src0_sel:DWORD src1_sel:WORD_1
	v_lshlrev_b32_e32 v16, 20, v16
	v_lshl_add_u32 v17, v17, 23, 0x3c000000
	v_and_b32_e32 v14, 0x80000000, v14
	v_or3_b32 v24, v16, v14, v17
.LBB340_735:                            ;   in Loop: Header=BB340_9 Depth=1
	s_or_b32 exec_lo, exec_lo, s20
.LBB340_736:                            ;   in Loop: Header=BB340_9 Depth=1
	s_or_b32 exec_lo, exec_lo, s19
.LBB340_737:                            ;   in Loop: Header=BB340_9 Depth=1
	s_or_b32 exec_lo, exec_lo, s17
	s_mov_b32 s17, exec_lo
	v_cmpx_lt_u32_e32 0xffffff, v125
	s_cbranch_execz .LBB340_745
; %bb.738:                              ;   in Loop: Header=BB340_9 Depth=1
	v_cmp_ne_u32_sdwa s6, v125, v3 src0_sel:BYTE_3 src1_sel:DWORD
	v_bfrev_b32_e32 v124, 1
	s_and_saveexec_b32 s19, s6
	s_cbranch_execz .LBB340_744
; %bb.739:                              ;   in Loop: Header=BB340_9 Depth=1
	v_bfe_u32 v126, v125, 24, 7
	v_mov_b32_e32 v124, 0x7f800001
	s_mov_b32 s20, exec_lo
	v_cmpx_ne_u32_e32 0x7f, v126
	s_cbranch_execz .LBB340_743
; %bb.740:                              ;   in Loop: Header=BB340_9 Depth=1
	v_and_b32_sdwa v14, v125, v90 dst_sel:DWORD dst_unused:UNUSED_PAD src0_sel:BYTE_3 src1_sel:DWORD
	v_mov_b32_e32 v17, v15
	v_lshrrev_b32_e32 v17, 3, v126
	s_mov_b32 s21, exec_lo
	v_mov_b32_e32 v16, v14
	v_cmpx_gt_u32_e32 8, v126
; %bb.741:                              ;   in Loop: Header=BB340_9 Depth=1
	v_ffbh_u32_e32 v16, v14
	v_min_u32_e32 v28, 32, v16
	v_subrev_nc_u32_e32 v16, 28, v28
	v_lshlrev_b64 v[16:17], v16, v[14:15]
	v_sub_nc_u32_e32 v17, 29, v28
	v_and_b32_e32 v16, 7, v16
; %bb.742:                              ;   in Loop: Header=BB340_9 Depth=1
	s_or_b32 exec_lo, exec_lo, s21
	v_lshlrev_b32_sdwa v14, v23, v125 dst_sel:DWORD dst_unused:UNUSED_PAD src0_sel:DWORD src1_sel:BYTE_3
	v_lshlrev_b32_e32 v16, 20, v16
	v_lshl_add_u32 v17, v17, 23, 0x3c000000
	v_and_b32_e32 v14, 0x80000000, v14
	v_or3_b32 v124, v16, v14, v17
.LBB340_743:                            ;   in Loop: Header=BB340_9 Depth=1
	s_or_b32 exec_lo, exec_lo, s20
.LBB340_744:                            ;   in Loop: Header=BB340_9 Depth=1
	s_or_b32 exec_lo, exec_lo, s19
.LBB340_745:                            ;   in Loop: Header=BB340_9 Depth=1
	s_or_b32 exec_lo, exec_lo, s17
	v_add_co_u32 v16, s6, v122, v2
	v_add_co_ci_u32_e64 v17, null, 0, v123, s6
	v_mov_b32_e32 v127, 0
	v_mov_b32_e32 v126, 0
	flat_load_dword v125, v[16:17]
	s_waitcnt vmcnt(0) lgkmcnt(0)
	v_cmp_ne_u16_sdwa s6, v125, v15 src0_sel:BYTE_0 src1_sel:DWORD
	s_and_saveexec_b32 s17, s6
	s_cbranch_execz .LBB340_753
; %bb.746:                              ;   in Loop: Header=BB340_9 Depth=1
	v_cmp_ne_u16_sdwa s6, v125, v3 src0_sel:BYTE_0 src1_sel:DWORD
	v_bfrev_b32_e32 v126, 1
	s_and_saveexec_b32 s19, s6
	s_cbranch_execz .LBB340_752
; %bb.747:                              ;   in Loop: Header=BB340_9 Depth=1
	v_and_b32_e32 v122, 0x7f, v125
	v_mov_b32_e32 v126, 0x7f800001
	s_mov_b32 s20, exec_lo
	v_cmpx_ne_u32_e32 0x7f, v122
	s_cbranch_execz .LBB340_751
; %bb.748:                              ;   in Loop: Header=BB340_9 Depth=1
	v_and_b32_e32 v14, 7, v125
	v_mov_b32_e32 v17, v15
	v_lshrrev_b32_e32 v17, 3, v122
	s_mov_b32 s21, exec_lo
	v_mov_b32_e32 v16, v14
	v_cmpx_gt_u32_e32 8, v122
; %bb.749:                              ;   in Loop: Header=BB340_9 Depth=1
	v_ffbh_u32_e32 v16, v14
	v_min_u32_e32 v28, 32, v16
	v_subrev_nc_u32_e32 v16, 28, v28
	v_lshlrev_b64 v[16:17], v16, v[14:15]
	v_sub_nc_u32_e32 v17, 29, v28
	v_and_b32_e32 v16, 7, v16
; %bb.750:                              ;   in Loop: Header=BB340_9 Depth=1
	s_or_b32 exec_lo, exec_lo, s21
	v_lshlrev_b32_e32 v14, 24, v125
	v_lshlrev_b32_e32 v16, 20, v16
	v_lshl_add_u32 v17, v17, 23, 0x3c000000
	v_and_b32_e32 v14, 0x80000000, v14
	v_or3_b32 v126, v16, v14, v17
.LBB340_751:                            ;   in Loop: Header=BB340_9 Depth=1
	s_or_b32 exec_lo, exec_lo, s20
.LBB340_752:                            ;   in Loop: Header=BB340_9 Depth=1
	s_or_b32 exec_lo, exec_lo, s19
.LBB340_753:                            ;   in Loop: Header=BB340_9 Depth=1
	s_or_b32 exec_lo, exec_lo, s17
	v_cmp_ne_u16_sdwa s6, v125, v15 src0_sel:BYTE_1 src1_sel:DWORD
	s_and_saveexec_b32 s17, s6
	s_cbranch_execz .LBB340_761
; %bb.754:                              ;   in Loop: Header=BB340_9 Depth=1
	v_cmp_ne_u16_sdwa s6, v125, v3 src0_sel:BYTE_1 src1_sel:DWORD
	v_bfrev_b32_e32 v127, 1
	s_and_saveexec_b32 s19, s6
	s_cbranch_execz .LBB340_760
; %bb.755:                              ;   in Loop: Header=BB340_9 Depth=1
	v_and_b32_sdwa v14, v53, v125 dst_sel:DWORD dst_unused:UNUSED_PAD src0_sel:DWORD src1_sel:BYTE_1
	v_mov_b32_e32 v127, 0x7f800001
	s_mov_b32 s20, exec_lo
	v_and_b32_e32 v122, 0x7f, v14
	v_cmpx_ne_u32_e32 0x7f, v122
	s_cbranch_execz .LBB340_759
; %bb.756:                              ;   in Loop: Header=BB340_9 Depth=1
	v_and_b32_e32 v14, 7, v14
	v_mov_b32_e32 v17, v15
	v_lshrrev_b32_e32 v17, 3, v122
	s_mov_b32 s21, exec_lo
	v_mov_b32_e32 v16, v14
	v_cmpx_gt_u32_e32 8, v122
; %bb.757:                              ;   in Loop: Header=BB340_9 Depth=1
	v_ffbh_u32_e32 v16, v14
	v_min_u32_e32 v28, 32, v16
	v_subrev_nc_u32_e32 v16, 28, v28
	v_lshlrev_b64 v[16:17], v16, v[14:15]
	v_sub_nc_u32_e32 v17, 29, v28
	v_and_b32_e32 v16, 7, v16
; %bb.758:                              ;   in Loop: Header=BB340_9 Depth=1
	s_or_b32 exec_lo, exec_lo, s21
	v_lshlrev_b32_e32 v14, 16, v125
	v_lshlrev_b32_e32 v16, 20, v16
	v_lshl_add_u32 v17, v17, 23, 0x3c000000
	v_and_b32_e32 v14, 0x80000000, v14
	v_or3_b32 v127, v16, v14, v17
.LBB340_759:                            ;   in Loop: Header=BB340_9 Depth=1
	s_or_b32 exec_lo, exec_lo, s20
.LBB340_760:                            ;   in Loop: Header=BB340_9 Depth=1
	s_or_b32 exec_lo, exec_lo, s19
.LBB340_761:                            ;   in Loop: Header=BB340_9 Depth=1
	s_or_b32 exec_lo, exec_lo, s17
	v_and_b32_sdwa v14, v125, v29 dst_sel:DWORD dst_unused:UNUSED_PAD src0_sel:WORD_1 src1_sel:DWORD
	v_mov_b32_e32 v122, 0
	v_mov_b32_e32 v123, 0
	s_mov_b32 s17, exec_lo
	v_cmpx_ne_u16_e32 0, v14
	s_cbranch_execz .LBB340_769
; %bb.762:                              ;   in Loop: Header=BB340_9 Depth=1
	v_bfrev_b32_e32 v123, 1
	s_mov_b32 s19, exec_lo
	v_cmpx_ne_u16_e32 0x80, v14
	s_cbranch_execz .LBB340_768
; %bb.763:                              ;   in Loop: Header=BB340_9 Depth=1
	v_bfe_u32 v28, v125, 16, 7
	v_mov_b32_e32 v123, 0x7f800001
	s_mov_b32 s20, exec_lo
	v_cmpx_ne_u32_e32 0x7f, v28
	s_cbranch_execz .LBB340_767
; %bb.764:                              ;   in Loop: Header=BB340_9 Depth=1
	v_and_b32_sdwa v14, v125, v90 dst_sel:DWORD dst_unused:UNUSED_PAD src0_sel:WORD_1 src1_sel:DWORD
	v_mov_b32_e32 v17, v15
	v_lshrrev_b32_e32 v17, 3, v28
	s_mov_b32 s21, exec_lo
	v_mov_b32_e32 v16, v14
	v_cmpx_gt_u32_e32 8, v28
; %bb.765:                              ;   in Loop: Header=BB340_9 Depth=1
	v_ffbh_u32_e32 v16, v14
	v_min_u32_e32 v28, 32, v16
	v_subrev_nc_u32_e32 v16, 28, v28
	v_lshlrev_b64 v[16:17], v16, v[14:15]
	v_sub_nc_u32_e32 v17, 29, v28
	v_and_b32_e32 v16, 7, v16
; %bb.766:                              ;   in Loop: Header=BB340_9 Depth=1
	s_or_b32 exec_lo, exec_lo, s21
	v_lshlrev_b32_sdwa v14, v23, v125 dst_sel:DWORD dst_unused:UNUSED_PAD src0_sel:DWORD src1_sel:WORD_1
	v_lshlrev_b32_e32 v16, 20, v16
	v_lshl_add_u32 v17, v17, 23, 0x3c000000
	v_and_b32_e32 v14, 0x80000000, v14
	v_or3_b32 v123, v16, v14, v17
.LBB340_767:                            ;   in Loop: Header=BB340_9 Depth=1
	s_or_b32 exec_lo, exec_lo, s20
.LBB340_768:                            ;   in Loop: Header=BB340_9 Depth=1
	s_or_b32 exec_lo, exec_lo, s19
.LBB340_769:                            ;   in Loop: Header=BB340_9 Depth=1
	s_or_b32 exec_lo, exec_lo, s17
	s_mov_b32 s17, exec_lo
	v_cmpx_lt_u32_e32 0xffffff, v125
	s_cbranch_execz .LBB340_777
; %bb.770:                              ;   in Loop: Header=BB340_9 Depth=1
	v_cmp_ne_u32_sdwa s6, v125, v3 src0_sel:BYTE_3 src1_sel:DWORD
	v_bfrev_b32_e32 v122, 1
	s_and_saveexec_b32 s19, s6
	s_cbranch_execz .LBB340_776
; %bb.771:                              ;   in Loop: Header=BB340_9 Depth=1
	v_bfe_u32 v28, v125, 24, 7
	v_mov_b32_e32 v122, 0x7f800001
	s_mov_b32 s20, exec_lo
	v_cmpx_ne_u32_e32 0x7f, v28
	s_cbranch_execz .LBB340_775
; %bb.772:                              ;   in Loop: Header=BB340_9 Depth=1
	v_and_b32_sdwa v14, v125, v90 dst_sel:DWORD dst_unused:UNUSED_PAD src0_sel:BYTE_3 src1_sel:DWORD
	v_mov_b32_e32 v17, v15
	v_lshrrev_b32_e32 v17, 3, v28
	s_mov_b32 s21, exec_lo
	v_mov_b32_e32 v16, v14
	v_cmpx_gt_u32_e32 8, v28
; %bb.773:                              ;   in Loop: Header=BB340_9 Depth=1
	v_ffbh_u32_e32 v16, v14
	v_min_u32_e32 v28, 32, v16
	v_subrev_nc_u32_e32 v16, 28, v28
	v_lshlrev_b64 v[16:17], v16, v[14:15]
	v_sub_nc_u32_e32 v17, 29, v28
	v_and_b32_e32 v16, 7, v16
; %bb.774:                              ;   in Loop: Header=BB340_9 Depth=1
	s_or_b32 exec_lo, exec_lo, s21
	v_lshlrev_b32_sdwa v14, v23, v125 dst_sel:DWORD dst_unused:UNUSED_PAD src0_sel:DWORD src1_sel:BYTE_3
	v_lshlrev_b32_e32 v16, 20, v16
	v_lshl_add_u32 v17, v17, 23, 0x3c000000
	v_and_b32_e32 v14, 0x80000000, v14
	v_or3_b32 v122, v16, v14, v17
.LBB340_775:                            ;   in Loop: Header=BB340_9 Depth=1
	s_or_b32 exec_lo, exec_lo, s20
.LBB340_776:                            ;   in Loop: Header=BB340_9 Depth=1
	s_or_b32 exec_lo, exec_lo, s19
.LBB340_777:                            ;   in Loop: Header=BB340_9 Depth=1
	s_or_b32 exec_lo, exec_lo, s17
	v_mul_f32_e32 v14, v35, v127
	v_mul_f32_e32 v25, v35, v25
	;; [unrolled: 1-line block ×5, first 2 shown]
	v_bfe_u32 v16, v14, 16, 1
	v_or_b32_e32 v17, 0x400000, v14
	v_cmp_u_f32_e64 s6, v14, v14
	v_mul_f32_e32 v69, v35, v69
	v_mul_f32_e32 v68, v35, v68
	v_add3_u32 v16, v16, v14, 0x7fff
	v_mul_f32_e32 v67, v35, v67
	v_mul_f32_e32 v66, v35, v66
	;; [unrolled: 1-line block ×4, first 2 shown]
	v_cndmask_b32_e64 v14, v16, v17, s6
	v_mul_f32_e32 v16, v35, v126
	v_mul_f32_e32 v55, v35, v55
	;; [unrolled: 1-line block ×5, first 2 shown]
	v_bfe_u32 v17, v16, 16, 1
	v_or_b32_e32 v28, 0x400000, v16
	v_cmp_u_f32_e64 s6, v16, v16
	v_mul_f32_e32 v49, v35, v49
	v_mul_f32_e32 v48, v35, v48
	v_add3_u32 v17, v17, v16, 0x7fff
	v_mul_f32_e32 v39, v35, v39
	v_mul_f32_e32 v38, v35, v38
	;; [unrolled: 1-line block ×4, first 2 shown]
	v_cndmask_b32_e64 v16, v17, v28, s6
	v_mul_f32_e32 v17, v35, v24
	v_mul_f32_e32 v18, v35, v18
	;; [unrolled: 1-line block ×3, first 2 shown]
	v_and_b32_e32 v14, 0xffff0000, v14
	v_and_b32_e32 v16, 0xffff0000, v16
	v_bfe_u32 v24, v17, 16, 1
	v_or_b32_e32 v28, 0x400000, v17
	v_cmp_u_f32_e64 s6, v17, v17
	v_add3_u32 v24, v24, v17, 0x7fff
	v_mul_f32_e32 v17, v35, v124
	v_cndmask_b32_e64 v24, v24, v28, s6
	v_bfe_u32 v28, v17, 16, 1
	v_or_b32_e32 v124, 0x400000, v17
	v_cmp_u_f32_e64 s6, v17, v17
	v_and_b32_e32 v24, 0xffff0000, v24
	v_add3_u32 v28, v28, v17, 0x7fff
	v_cndmask_b32_e64 v17, v28, v124, s6
	v_bfe_u32 v28, v25, 16, 1
	v_or_b32_e32 v124, 0x400000, v25
	v_cmp_u_f32_e64 s6, v25, v25
	v_add3_u32 v28, v28, v25, 0x7fff
	v_cndmask_b32_e64 v25, v28, v124, s6
	v_mul_f32_e32 v28, v35, v109
	v_and_b32_e32 v25, 0xffff0000, v25
	v_bfe_u32 v109, v28, 16, 1
	v_or_b32_e32 v124, 0x400000, v28
	v_cmp_u_f32_e64 s6, v28, v28
	v_add3_u32 v109, v109, v28, 0x7fff
	v_mul_f32_e32 v28, v35, v111
	v_cndmask_b32_e64 v109, v109, v124, s6
	v_bfe_u32 v111, v28, 16, 1
	v_or_b32_e32 v124, 0x400000, v28
	v_cmp_u_f32_e64 s6, v28, v28
	v_add3_u32 v111, v111, v28, 0x7fff
	v_mul_f32_e32 v28, v35, v120
	v_cndmask_b32_e64 v111, v111, v124, s6
	;; [unrolled: 6-line block ×26, first 2 shown]
	v_bfe_u32 v63, v28, 16, 1
	v_or_b32_e32 v124, 0x400000, v28
	v_cmp_u_f32_e64 s6, v28, v28
	v_add3_u32 v63, v63, v28, 0x7fff
	v_bfe_u32 v28, v27, 16, 1
	v_cndmask_b32_e64 v63, v63, v124, s6
	v_add3_u32 v28, v28, v27, 0x7fff
	v_or_b32_e32 v124, 0x400000, v27
	v_cmp_u_f32_e64 s6, v27, v27
	v_cndmask_b32_e64 v27, v28, v124, s6
	v_bfe_u32 v28, v26, 16, 1
	v_or_b32_e32 v124, 0x400000, v26
	v_cmp_u_f32_e64 s6, v26, v26
	v_add3_u32 v28, v28, v26, 0x7fff
	v_cndmask_b32_e64 v26, v28, v124, s6
	v_mul_f32_e32 v28, v35, v62
	v_and_b32_e32 v26, 0xffff0000, v26
	v_bfe_u32 v62, v28, 16, 1
	v_or_b32_e32 v124, 0x400000, v28
	v_cmp_u_f32_e64 s6, v28, v28
	v_add3_u32 v62, v62, v28, 0x7fff
	v_mul_f32_e32 v28, v35, v61
	v_cndmask_b32_e64 v62, v62, v124, s6
	v_bfe_u32 v61, v28, 16, 1
	v_or_b32_e32 v124, 0x400000, v28
	v_cmp_u_f32_e64 s6, v28, v28
	v_add3_u32 v61, v61, v28, 0x7fff
	v_mul_f32_e32 v28, v35, v60
	v_cndmask_b32_e64 v61, v61, v124, s6
	;; [unrolled: 6-line block ×39, first 2 shown]
	v_bfe_u32 v71, v28, 16, 1
	v_or_b32_e32 v124, 0x400000, v28
	v_cmp_u_f32_e64 s6, v28, v28
	v_add3_u32 v71, v71, v28, 0x7fff
	v_cndmask_b32_e64 v28, v71, v124, s6
	v_bfe_u32 v71, v70, 16, 1
	v_or_b32_e32 v124, 0x400000, v70
	v_cmp_u_f32_e64 s6, v70, v70
	v_and_b32_e32 v28, 0xffff0000, v28
	v_add3_u32 v71, v71, v70, 0x7fff
	v_cndmask_b32_e64 v70, v71, v124, s6
	v_bfe_u32 v71, v69, 16, 1
	v_or_b32_e32 v124, 0x400000, v69
	v_cmp_u_f32_e64 s6, v69, v69
	v_add3_u32 v71, v71, v69, 0x7fff
	v_cndmask_b32_e64 v69, v71, v124, s6
	v_bfe_u32 v71, v68, 16, 1
	v_or_b32_e32 v124, 0x400000, v68
	v_cmp_u_f32_e64 s6, v68, v68
	;; [unrolled: 5-line block ×17, first 2 shown]
	v_add3_u32 v71, v71, v18, 0x7fff
	v_mul_f32_e32 v18, v35, v34
	v_cndmask_b32_e64 v71, v71, v124, s6
	v_bfe_u32 v34, v18, 16, 1
	v_or_b32_e32 v124, 0x400000, v18
	v_cmp_u_f32_e64 s6, v18, v18
	v_add3_u32 v34, v34, v18, 0x7fff
	v_bfe_u32 v18, v9, 16, 1
	v_cndmask_b32_e64 v124, v34, v124, s6
	v_add3_u32 v18, v18, v9, 0x7fff
	v_or_b32_e32 v34, 0x400000, v9
	v_cmp_u_f32_e64 s6, v9, v9
	v_mul_f32_e32 v9, v35, v123
	v_mul_f32_e32 v35, v35, v122
	v_cndmask_b32_e64 v34, v18, v34, s6
	v_bfe_u32 v18, v9, 16, 1
	v_or_b32_e32 v122, 0x400000, v9
	v_cmp_u_f32_e64 s6, v9, v9
	v_add3_u32 v18, v18, v9, 0x7fff
	v_bfe_u32 v9, v35, 16, 1
	v_cndmask_b32_e64 v18, v18, v122, s6
	v_add3_u32 v9, v9, v35, 0x7fff
	v_or_b32_e32 v122, 0x400000, v35
	v_cmp_u_f32_e64 s6, v35, v35
	v_and_b32_e32 v35, 0xffff0000, v37
	v_and_b32_e32 v37, 0xffff0000, v34
	buffer_load_dword v34, off, s[0:3], s32 offset:212 ; 4-byte Folded Reload
	v_cndmask_b32_e64 v9, v9, v122, s6
	v_and_b32_e32 v9, 0xffff0000, v9
	s_waitcnt vmcnt(0)
	v_mul_f32_e32 v34, v34, v35
	buffer_load_dword v35, off, s[0:3], s32 offset:196 ; 4-byte Folded Reload
	s_waitcnt vmcnt(0)
	v_fmac_f32_e32 v34, v35, v37
	v_and_b32_e32 v35, 0xffff0000, v38
	buffer_load_dword v38, off, s[0:3], s32 offset:216 ; 4-byte Folded Reload
	v_and_b32_e32 v37, 0xffff0000, v124
	s_waitcnt vmcnt(0)
	v_mul_f32_e32 v35, v38, v35
	buffer_load_dword v38, off, s[0:3], s32 offset:200 ; 4-byte Folded Reload
	s_waitcnt vmcnt(0)
	v_fmac_f32_e32 v35, v38, v37
	v_and_b32_e32 v38, 0xffff0000, v36
	buffer_load_dword v36, off, s[0:3], s32 offset:220 ; 4-byte Folded Reload
	;; [unrolled: 8-line block ×3, first 2 shown]
	v_and_b32_e32 v38, 0xffff0000, v71
	s_waitcnt vmcnt(0)
	v_mul_f32_e32 v37, v39, v37
	buffer_load_dword v39, off, s[0:3], s32 offset:208 ; 4-byte Folded Reload
	s_waitcnt vmcnt(0)
	v_fmac_f32_e32 v37, v39, v38
	buffer_load_dword v39, off, s[0:3], s32 offset:228 ; 4-byte Folded Reload
	v_and_b32_e32 v38, 0xffff0000, v49
	s_waitcnt vmcnt(0)
	v_fmac_f32_e32 v34, v39, v38
	buffer_load_dword v39, off, s[0:3], s32 offset:232 ; 4-byte Folded Reload
	v_and_b32_e32 v38, 0xffff0000, v50
	;; [unrolled: 4-line block ×12, first 2 shown]
	s_waitcnt vmcnt(0)
	v_fmac_f32_e32 v37, v39, v38
	buffer_load_dword v38, off, s[0:3], s32 offset:284 ; 4-byte Folded Reload
	s_waitcnt vmcnt(0)
	v_fmac_f32_e32 v34, v38, v28
	buffer_load_dword v38, off, s[0:3], s32 offset:288 ; 4-byte Folded Reload
	v_and_b32_e32 v28, 0xffff0000, v80
	s_waitcnt vmcnt(0)
	v_fmac_f32_e32 v35, v38, v28
	buffer_load_dword v38, off, s[0:3], s32 offset:292 ; 4-byte Folded Reload
	v_and_b32_e32 v28, 0xffff0000, v82
	;; [unrolled: 4-line block ×39, first 2 shown]
	s_waitcnt vmcnt(0)
	v_fmac_f32_e32 v37, v38, v28
	buffer_load_dword v28, off, s[0:3], s32 offset:444 ; 4-byte Folded Reload
	s_waitcnt vmcnt(0)
	v_fmac_f32_e32 v34, v28, v26
	v_and_b32_e32 v26, 0xffff0000, v27
	buffer_load_dword v27, off, s[0:3], s32 offset:448 ; 4-byte Folded Reload
	s_waitcnt vmcnt(0)
	v_fmac_f32_e32 v35, v27, v26
	buffer_load_dword v27, off, s[0:3], s32 offset:452 ; 4-byte Folded Reload
	v_and_b32_e32 v26, 0xffff0000, v72
	s_waitcnt vmcnt(0)
	v_fmac_f32_e32 v36, v27, v26
	buffer_load_dword v27, off, s[0:3], s32 offset:456 ; 4-byte Folded Reload
	v_and_b32_e32 v26, 0xffff0000, v63
	;; [unrolled: 4-line block ×26, first 2 shown]
	v_fmac_f32_e32 v36, v1, v24
	s_waitcnt vmcnt(0)
	v_fmac_f32_e32 v37, v27, v26
	buffer_load_dword v27, off, s[0:3], s32 offset:556 ; 4-byte Folded Reload
	v_and_b32_e32 v26, 0xffff0000, v109
	s_waitcnt vmcnt(0)
	v_fmac_f32_e32 v34, v27, v26
	buffer_load_dword v26, off, s[0:3], s32 offset:560 ; 4-byte Folded Reload
	v_fmac_f32_e32 v34, v31, v16
	s_waitcnt vmcnt(0)
	v_fmac_f32_e32 v35, v26, v25
	v_fmac_f32_e32 v35, v30, v14
	v_and_b32_e32 v14, 0xffff0000, v17
	v_fmac_f32_e32 v37, v0, v14
	v_and_b32_e32 v14, 0xffff0000, v18
	v_fmac_f32_e32 v37, v7, v9
	v_fmac_f32_e32 v36, v19, v14
	v_add_f32_e32 v14, v34, v35
	v_add_f32_e32 v9, v14, v36
	v_add_f32_e32 v9, v37, v9
	ds_bpermute_b32 v14, v11, v9
	s_and_saveexec_b32 s17, vcc_lo
	s_cbranch_execz .LBB340_8
; %bb.778:                              ;   in Loop: Header=BB340_9 Depth=1
	buffer_load_dword v17, off, s[0:3], s32 offset:564 ; 4-byte Folded Reload
	v_sub_nc_u32_e32 v16, 1, v32
	s_waitcnt lgkmcnt(0)
	v_add_f32_e32 v9, v9, v14
	s_load_dword s19, s[8:9], 0x0
	v_cmp_lt_i32_e64 s6, v10, v32
	v_add_nc_u32_e32 v16, v16, v10
	v_cvt_f32_i32_e32 v16, v16
	s_waitcnt vmcnt(0)
	v_mul_f32_e32 v16, v17, v16
	v_cndmask_b32_e64 v14, 0, v16, s5
	buffer_load_dword v16, off, s[0:3], s32 offset:568 ; 4-byte Folded Reload
	s_waitcnt vmcnt(0)
	v_fmac_f32_e32 v14, v16, v9
	v_max_f32_e32 v9, v6, v6
	s_waitcnt lgkmcnt(0)
	v_add_nc_u32_e32 v16, s19, v54
	v_max_f32_e32 v9, v9, v14
	v_cndmask_b32_e64 v14, 0, v14, s6
	v_cndmask_b32_e64 v6, v6, v9, s6
	ds_write_b32 v16, v14
	s_branch .LBB340_8
.LBB340_779:
	s_or_b32 exec_lo, exec_lo, s18
	s_clause 0xf
	buffer_load_dword v24, off, s[0:3], s32 offset:576
	buffer_load_dword v25, off, s[0:3], s32 offset:580
	;; [unrolled: 1-line block ×16, first 2 shown]
	v_mov_b32_e32 v0, v15
	v_mov_b32_e32 v12, 32
.LBB340_780:
	s_or_b32 exec_lo, exec_lo, s7
	s_waitcnt vmcnt(0)
	v_xor_b32_e32 v1, 16, v26
	v_xor_b32_e32 v3, 8, v26
	v_max_f32_e32 v4, v6, v6
	v_xor_b32_e32 v5, 4, v26
	s_waitcnt lgkmcnt(0)
	v_and_b32_e32 v14, 31, v24
	v_cmp_lt_i32_e32 vcc_lo, v1, v12
	s_lshr_b32 s8, s15, 16
	v_cndmask_b32_e32 v1, v26, v1, vcc_lo
	v_cmp_lt_i32_e32 vcc_lo, v3, v12
	v_lshlrev_b32_e32 v2, 2, v1
	v_cndmask_b32_e32 v3, v26, v3, vcc_lo
	v_cmp_lt_i32_e32 vcc_lo, v5, v12
	ds_bpermute_b32 v1, v2, v6
	v_lshlrev_b32_e32 v3, 2, v3
	v_cndmask_b32_e32 v5, v26, v5, vcc_lo
	s_waitcnt lgkmcnt(0)
	v_max_f32_e32 v1, v1, v1
	v_max_f32_e32 v1, v4, v1
	ds_bpermute_b32 v4, v3, v1
	s_waitcnt lgkmcnt(0)
	v_max_f32_e32 v6, v4, v4
	v_lshlrev_b32_e32 v4, 2, v5
	v_max_f32_e32 v1, v1, v6
	v_xor_b32_e32 v6, 2, v26
	ds_bpermute_b32 v5, v4, v1
	v_cmp_lt_i32_e32 vcc_lo, v6, v12
	v_cndmask_b32_e32 v7, v26, v6, vcc_lo
	v_cmp_eq_u32_e32 vcc_lo, 0, v14
	s_waitcnt lgkmcnt(0)
	v_max_f32_e32 v5, v5, v5
	v_max_f32_e32 v6, v1, v5
	v_lshlrev_b32_e32 v1, 2, v7
	v_lshlrev_b32_e32 v5, 2, v68
	ds_bpermute_b32 v7, v1, v6
	s_and_saveexec_b32 s5, vcc_lo
	s_cbranch_execz .LBB340_782
; %bb.781:
	s_waitcnt lgkmcnt(0)
	v_max_f32_e32 v7, v7, v7
	v_max_f32_e32 v6, v6, v6
	;; [unrolled: 1-line block ×3, first 2 shown]
	ds_write_b32 v5, v6 offset:384
.LBB340_782:
	s_or_b32 exec_lo, exec_lo, s5
	v_cmp_gt_u32_e64 s5, 4, v14
	s_waitcnt lgkmcnt(0)
	v_mov_b32_e32 v7, 0xff7fffff
	v_lshlrev_b32_e32 v6, 2, v14
	s_waitcnt_vscnt null, 0x0
	s_barrier
	buffer_gl0_inv
	s_and_saveexec_b32 s6, s5
; %bb.783:
	ds_read_b32 v7, v6 offset:384
; %bb.784:
	s_or_b32 exec_lo, exec_lo, s6
	s_waitcnt lgkmcnt(0)
	ds_bpermute_b32 v8, v1, v7
	v_xor_b32_e32 v9, 1, v26
	v_max_f32_e32 v7, v7, v7
	v_lshlrev_b32_e32 v0, 2, v0
	v_cmp_lt_i32_e64 s6, v9, v12
	v_cndmask_b32_e64 v9, v26, v9, s6
	v_lshlrev_b32_e32 v15, 2, v9
	s_waitcnt lgkmcnt(0)
	v_max_f32_e32 v8, v8, v8
	v_max_f32_e32 v7, v7, v8
	ds_bpermute_b32 v8, v15, v7
	s_waitcnt lgkmcnt(0)
	v_max_f32_e32 v8, v8, v8
	v_max_f32_e32 v7, v7, v8
	v_mov_b32_e32 v8, 0
	ds_bpermute_b32 v7, v0, v7
	buffer_load_dword v0, off, s[0:3], s32 offset:192 ; 4-byte Folded Reload
	s_waitcnt vmcnt(0)
	v_lshlrev_b32_e32 v0, 4, v0
	v_min_i32_e32 v0, v0, v32
	v_cmp_lt_i32_e64 s6, v24, v0
	s_and_saveexec_b32 s9, s6
	s_cbranch_execz .LBB340_788
; %bb.785:
	s_getpc_b64 s[18:19]
	s_add_u32 s18, s18, llvm.amdgcn.dynlds.offset.table@rel32@lo+4
	s_addc_u32 s19, s19, llvm.amdgcn.dynlds.offset.table@rel32@hi+12
	s_ashr_i32 s17, s16, 31
	v_mov_b32_e32 v8, 0
	s_lshl_b64 s[20:21], s[16:17], 2
	v_mov_b32_e32 v13, v24
	s_add_u32 s18, s18, s20
	s_addc_u32 s19, s19, s21
	s_mov_b32 s15, 0
	s_load_dword s7, s[18:19], 0x0
	s_waitcnt lgkmcnt(0)
	v_lshl_add_u32 v9, v24, 2, s7
	.p2align	6
.LBB340_786:                            ; =>This Inner Loop Header: Depth=1
	ds_read_b32 v12, v9
	v_add_nc_u32_e32 v13, 0x80, v13
	v_cmp_ge_i32_e64 s7, v13, v0
	s_or_b32 s15, s7, s15
	s_waitcnt lgkmcnt(0)
	v_sub_f32_e32 v12, v12, v7
	v_mul_f32_e32 v12, 0x3fb8aa3b, v12
	v_exp_f32_e32 v12, v12
	ds_write_b32 v9, v12
	v_add_f32_e32 v8, v8, v12
	v_add_nc_u32_e32 v9, 0x200, v9
	s_andn2_b32 exec_lo, exec_lo, s15
	s_cbranch_execnz .LBB340_786
; %bb.787:
	s_or_b32 exec_lo, exec_lo, s15
.LBB340_788:
	s_or_b32 exec_lo, exec_lo, s9
	ds_bpermute_b32 v2, v2, v8
	s_waitcnt lgkmcnt(0)
	v_add_f32_e32 v2, v8, v2
	ds_bpermute_b32 v3, v3, v2
	s_waitcnt lgkmcnt(0)
	v_add_f32_e32 v2, v2, v3
	;; [unrolled: 3-line block ×5, first 2 shown]
	s_and_saveexec_b32 s7, vcc_lo
; %bb.789:
	ds_write_b32 v5, v2 offset:400
; %bb.790:
	s_or_b32 exec_lo, exec_lo, s7
	s_waitcnt lgkmcnt(0)
	s_barrier
	buffer_gl0_inv
	s_and_saveexec_b32 s7, s5
; %bb.791:
	ds_read_b32 v2, v6 offset:400
; %bb.792:
	s_or_b32 exec_lo, exec_lo, s7
	s_waitcnt lgkmcnt(0)
	ds_bpermute_b32 v1, v1, v2
	v_lshlrev_b32_e32 v3, 2, v26
	s_waitcnt lgkmcnt(0)
	v_add_f32_e32 v1, v2, v1
	ds_bpermute_b32 v2, v15, v1
	s_waitcnt lgkmcnt(0)
	v_add_f32_e32 v1, v1, v2
	v_and_b32_e32 v2, 0xffffff80, v3
	ds_bpermute_b32 v1, v2, v1
	s_and_saveexec_b32 s5, s6
	s_cbranch_execz .LBB340_795
; %bb.793:
	s_waitcnt lgkmcnt(0)
	v_add_f32_e32 v2, 0x358637bd, v1
	s_getpc_b64 s[6:7]
	s_add_u32 s6, s6, llvm.amdgcn.dynlds.offset.table@rel32@lo+4
	s_addc_u32 s7, s7, llvm.amdgcn.dynlds.offset.table@rel32@hi+12
	s_ashr_i32 s17, s16, 31
	s_lshl_b64 s[18:19], s[16:17], 2
	v_div_scale_f32 v1, null, v2, v2, 1.0
	v_div_scale_f32 v5, vcc_lo, 1.0, v2, 1.0
	s_add_u32 s6, s6, s18
	v_rcp_f32_e32 v3, v1
	s_addc_u32 s7, s7, s19
	s_load_dword s6, s[6:7], 0x0
	v_fma_f32 v4, -v1, v3, 1.0
	v_fmac_f32_e32 v3, v4, v3
	v_mul_f32_e32 v4, v5, v3
	v_fma_f32 v6, -v1, v4, v5
	v_fmac_f32_e32 v4, v6, v3
	v_fma_f32 v1, -v1, v4, v5
	v_div_fmas_f32 v3, v1, v3, v4
	s_waitcnt lgkmcnt(0)
	v_lshl_add_u32 v1, v24, 2, s6
	s_mov_b32 s6, 0
	v_div_fixup_f32 v2, v3, v2, 1.0
	v_mov_b32_e32 v3, v24
.LBB340_794:                            ; =>This Inner Loop Header: Depth=1
	ds_read_b32 v4, v1
	v_add_nc_u32_e32 v3, 0x80, v3
	v_cmp_ge_i32_e32 vcc_lo, v3, v0
	s_or_b32 s6, vcc_lo, s6
	s_waitcnt lgkmcnt(0)
	v_mul_f32_e32 v4, v2, v4
	ds_write_b32 v1, v4
	v_add_nc_u32_e32 v1, 0x200, v1
	s_andn2_b32 exec_lo, exec_lo, s6
	s_cbranch_execnz .LBB340_794
.LBB340_795:
	s_or_b32 exec_lo, exec_lo, s5
	s_waitcnt lgkmcnt(0)
	s_barrier
	buffer_gl0_inv
	s_and_saveexec_b32 s5, s4
	s_xor_b32 s4, exec_lo, s5
; %bb.796:
	s_ashr_i32 s17, s16, 31
                                        ; implicit-def: $vgpr0
                                        ; implicit-def: $vgpr32
                                        ; kill: killed $vgpr0
                                        ; implicit-def: $vgpr28
                                        ; implicit-def: $vgpr18
                                        ; implicit-def: $vgpr10
                                        ; implicit-def: $vgpr11
                                        ; implicit-def: $vgpr0
                                        ; kill: killed $vgpr0
                                        ; implicit-def: $vgpr22_vgpr23
                                        ; implicit-def: $vgpr29
                                        ; implicit-def: $vgpr33
                                        ; implicit-def: $vgpr17
                                        ; implicit-def: $vgpr53_vgpr54
                                        ; implicit-def: $vgpr16
; %bb.797:
	s_or_saveexec_b32 s5, s4
	v_mov_b32_e32 v4, s16
	v_mov_b32_e32 v49, 0
	v_mov_b32_e32 v5, s17
	v_mov_b32_e32 v51, 0
	v_mov_b32_e32 v50, 0
	v_mov_b32_e32 v48, 0
	v_mov_b32_e32 v39, 0
	v_mov_b32_e32 v38, 0
	v_mov_b32_e32 v37, 0
	v_mov_b32_e32 v36, 0
	v_mov_b32_e32 v35, 0
	v_mov_b32_e32 v34, 0
	v_mov_b32_e32 v27, 0
	v_mov_b32_e32 v26, 0
	s_xor_b32 exec_lo, exec_lo, s5
	s_cbranch_execz .LBB340_1593
; %bb.798:
	buffer_store_dword v15, off, s[0:3], s32 offset:252 ; 4-byte Folded Spill
	buffer_store_dword v14, off, s[0:3], s32 offset:248 ; 4-byte Folded Spill
	flat_load_dword v52, v[22:23]
	s_ashr_i32 s17, s16, 31
	s_getpc_b64 s[6:7]
	s_add_u32 s6, s6, llvm.amdgcn.dynlds.offset.table@rel32@lo+4
	s_addc_u32 s7, s7, llvm.amdgcn.dynlds.offset.table@rel32@hi+12
	s_lshl_b64 s[18:19], s[16:17], 2
	v_add_co_u32 v1, vcc_lo, v28, v29
	s_add_u32 s6, s6, s18
	v_and_b32_e32 v3, 0xf8, v16
	s_addc_u32 s7, s7, s19
	v_add_co_ci_u32_e64 v2, null, v18, v33, vcc_lo
	s_load_dword s4, s[6:7], 0x0
	v_add_co_u32 v1, vcc_lo, v1, v3
	v_add_co_ci_u32_e64 v2, null, 0, v2, vcc_lo
	v_and_b32_e32 v5, 1, v24
	v_and_b32_e32 v4, 0x7c, v17
	buffer_store_dword v1, off, s[0:3], s32 offset:240 ; 4-byte Folded Spill
	buffer_store_dword v2, off, s[0:3], s32 offset:244 ; 4-byte Folded Spill
	v_and_b32_e32 v0, 8, v16
	v_lshlrev_b32_e32 v1, 5, v5
	v_add_co_u32 v2, vcc_lo, v4, v53
	v_add_co_ci_u32_e64 v3, null, 0, v54, vcc_lo
	v_lshlrev_b32_e32 v4, 4, v68
	v_lshl_or_b32 v1, v68, 6, v1
	v_add_co_u32 v15, vcc_lo, v10, v2
	v_mov_b32_e32 v12, 0
	v_add_co_ci_u32_e64 v16, null, v11, v3, vcc_lo
	v_or3_b32 v53, v4, v0, 7
	s_waitcnt lgkmcnt(0)
	v_add_nc_u32_e32 v54, s4, v1
	v_mov_b32_e32 v55, 0x80
	v_mov_b32_e32 v65, 0xff
	;; [unrolled: 1-line block ×14, first 2 shown]
	s_mov_b32 s6, -1
	s_mov_b32 s7, 0xffffff
	s_mov_b32 s9, 0
	s_branch .LBB340_800
.LBB340_799:                            ;   in Loop: Header=BB340_800 Depth=1
	s_or_b32 exec_lo, exec_lo, s4
	v_bfe_u32 v82, v6, 16, 1
	v_or_b32_e32 v83, 0x400000, v6
	v_cmp_u_f32_e32 vcc_lo, v6, v6
	v_lshlrev_b32_e32 v81, 16, v81
	v_lshlrev_b32_e32 v70, 16, v70
	v_add3_u32 v82, v82, v6, 0x7fff
	v_bfe_u32 v6, v7, 16, 1
	v_lshlrev_b32_e32 v13, 16, v13
	v_lshlrev_b32_e32 v14, 16, v14
	;; [unrolled: 1-line block ×3, first 2 shown]
	v_cndmask_b32_e32 v82, v82, v83, vcc_lo
	v_add3_u32 v6, v6, v7, 0x7fff
	v_or_b32_e32 v83, 0x400000, v7
	v_cmp_u_f32_e32 vcc_lo, v7, v7
	v_lshlrev_b32_e32 v33, 16, v33
	v_lshlrev_b32_e32 v25, 16, v25
	;; [unrolled: 1-line block ×4, first 2 shown]
	v_cndmask_b32_e32 v7, v6, v83, vcc_lo
	v_bfe_u32 v6, v8, 16, 1
	v_or_b32_e32 v83, 0x400000, v8
	v_cmp_u_f32_e32 vcc_lo, v8, v8
	v_lshlrev_b32_e32 v0, 16, v0
	v_and_b32_e32 v7, 0xffff0000, v7
	v_add3_u32 v6, v6, v8, 0x7fff
	v_bfe_u32 v8, v9, 16, 1
	v_lshlrev_b32_e32 v28, 16, v28
	v_add_nc_u32_e32 v68, 4, v68
	v_mul_f32_e32 v13, v7, v13
	v_cndmask_b32_e32 v6, v6, v83, vcc_lo
	v_add3_u32 v8, v8, v9, 0x7fff
	v_or_b32_e32 v83, 0x400000, v9
	v_cmp_u_f32_e32 vcc_lo, v9, v9
	v_bfe_u32 v9, v2, 16, 1
	v_add_nc_u32_e32 v53, 64, v53
	v_add_nc_u32_e32 v54, 0x100, v54
	v_cndmask_b32_e32 v8, v8, v83, vcc_lo
	v_add3_u32 v9, v9, v2, 0x7fff
	v_or_b32_e32 v83, 0x400000, v2
	v_cmp_u_f32_e32 vcc_lo, v2, v2
	v_cndmask_b32_e32 v2, v9, v83, vcc_lo
	v_bfe_u32 v9, v3, 16, 1
	v_or_b32_e32 v83, 0x400000, v3
	v_cmp_u_f32_e32 vcc_lo, v3, v3
	v_add3_u32 v9, v9, v3, 0x7fff
	v_cndmask_b32_e32 v3, v9, v83, vcc_lo
	v_bfe_u32 v9, v4, 16, 1
	v_or_b32_e32 v83, 0x400000, v4
	v_cmp_u_f32_e32 vcc_lo, v4, v4
	v_and_b32_e32 v3, 0xffff0000, v3
	v_add3_u32 v9, v9, v4, 0x7fff
	v_mul_f32_e32 v1, v3, v1
	v_cndmask_b32_e32 v4, v9, v83, vcc_lo
	v_bfe_u32 v9, v5, 16, 1
	v_or_b32_e32 v83, 0x400000, v5
	v_cmp_u_f32_e32 vcc_lo, v5, v5
	v_and_b32_e32 v4, 0xffff0000, v4
	v_add3_u32 v9, v9, v5, 0x7fff
	v_lshlrev_b32_e32 v5, 16, v71
	v_mul_f32_e32 v70, v4, v70
	v_cndmask_b32_e32 v83, v9, v83, vcc_lo
	v_mul_f32_e32 v5, v7, v5
	v_mul_f32_e32 v25, v4, v25
	;; [unrolled: 1-line block ×3, first 2 shown]
	v_bfe_u32 v9, v5, 16, 1
	v_or_b32_e32 v71, 0x400000, v5
	v_cmp_u_f32_e32 vcc_lo, v5, v5
	v_add3_u32 v9, v9, v5, 0x7fff
	v_lshlrev_b32_e32 v5, 16, v80
	v_cndmask_b32_e32 v71, v9, v71, vcc_lo
	v_and_b32_e32 v9, 0xffff0000, v82
	v_and_b32_e32 v71, 0xffff0000, v71
	v_mul_f32_e32 v5, v9, v5
	v_mul_f32_e32 v14, v9, v14
	v_bfe_u32 v80, v5, 16, 1
	v_or_b32_e32 v82, 0x400000, v5
	v_cmp_u_f32_e32 vcc_lo, v5, v5
	v_add3_u32 v80, v80, v5, 0x7fff
	v_and_b32_e32 v5, 0xffff0000, v8
	v_lshlrev_b32_e32 v8, 16, v67
	v_cndmask_b32_e32 v80, v80, v82, vcc_lo
	v_mul_f32_e32 v8, v5, v8
	v_and_b32_e32 v80, 0xffff0000, v80
	v_bfe_u32 v67, v8, 16, 1
	v_or_b32_e32 v82, 0x400000, v8
	v_cmp_u_f32_e32 vcc_lo, v8, v8
	v_add_f32_e32 v71, v80, v71
	v_add3_u32 v67, v67, v8, 0x7fff
	v_and_b32_e32 v8, 0xffff0000, v6
	v_lshlrev_b32_e32 v6, 16, v69
	v_cndmask_b32_e32 v67, v67, v82, vcc_lo
	v_mul_f32_e32 v17, v8, v17
	v_mul_f32_e32 v6, v8, v6
	v_and_b32_e32 v67, 0xffff0000, v67
	v_bfe_u32 v69, v6, 16, 1
	v_or_b32_e32 v82, 0x400000, v6
	v_cmp_u_f32_e32 vcc_lo, v6, v6
	v_add3_u32 v69, v69, v6, 0x7fff
	v_lshlrev_b32_e32 v6, 16, v64
	v_cndmask_b32_e32 v69, v69, v82, vcc_lo
	v_mul_f32_e32 v6, v3, v6
	v_and_b32_e32 v69, 0xffff0000, v69
	v_bfe_u32 v64, v6, 16, 1
	v_or_b32_e32 v82, 0x400000, v6
	v_cmp_u_f32_e32 vcc_lo, v6, v6
	v_add_f32_e32 v67, v69, v67
	v_add3_u32 v64, v64, v6, 0x7fff
	v_and_b32_e32 v6, 0xffff0000, v2
	v_lshlrev_b32_e32 v2, 16, v66
	v_add_f32_e32 v67, v71, v67
	v_cndmask_b32_e32 v64, v64, v82, vcc_lo
	v_mul_f32_e32 v18, v6, v18
	v_mul_f32_e32 v2, v6, v2
	;; [unrolled: 1-line block ×3, first 2 shown]
	v_and_b32_e32 v64, 0xffff0000, v64
	v_bfe_u32 v66, v2, 16, 1
	v_or_b32_e32 v82, 0x400000, v2
	v_cmp_u_f32_e32 vcc_lo, v2, v2
	v_add3_u32 v66, v66, v2, 0x7fff
	v_and_b32_e32 v2, 0xffff0000, v83
	v_cndmask_b32_e32 v66, v66, v82, vcc_lo
	v_mul_f32_e32 v81, v2, v81
	v_mul_f32_e32 v33, v2, v33
	v_and_b32_e32 v66, 0xffff0000, v66
	v_bfe_u32 v82, v81, 16, 1
	v_or_b32_e32 v83, 0x400000, v81
	v_cmp_u_f32_e32 vcc_lo, v81, v81
	v_add_f32_e32 v64, v66, v64
	v_add3_u32 v82, v82, v81, 0x7fff
	v_add_f32_e32 v64, v67, v64
	v_cndmask_b32_e32 v81, v82, v83, vcc_lo
	v_bfe_u32 v82, v70, 16, 1
	v_or_b32_e32 v83, 0x400000, v70
	v_cmp_u_f32_e32 vcc_lo, v70, v70
	v_and_b32_e32 v67, 0xffff0000, v81
	v_add3_u32 v82, v82, v70, 0x7fff
	v_cndmask_b32_e32 v70, v82, v83, vcc_lo
	v_cmp_u_f32_e32 vcc_lo, v13, v13
	v_and_b32_e32 v66, 0xffff0000, v70
	v_add_f32_e32 v66, v66, v67
	v_add_f32_e32 v64, v64, v66
	v_or_b32_e32 v66, 0x400000, v13
	v_add_f32_e32 v27, v27, v64
	v_bfe_u32 v64, v13, 16, 1
	v_add3_u32 v64, v64, v13, 0x7fff
	v_cndmask_b32_e32 v13, v64, v66, vcc_lo
	v_bfe_u32 v64, v14, 16, 1
	v_or_b32_e32 v66, 0x400000, v14
	v_cmp_u_f32_e32 vcc_lo, v14, v14
	v_and_b32_e32 v13, 0xffff0000, v13
	v_add3_u32 v64, v64, v14, 0x7fff
	v_cndmask_b32_e32 v14, v64, v66, vcc_lo
	v_lshlrev_b32_e32 v64, 16, v127
	v_and_b32_e32 v14, 0xffff0000, v14
	v_mul_f32_e32 v64, v5, v64
	v_add_f32_e32 v13, v14, v13
	v_bfe_u32 v66, v64, 16, 1
	v_or_b32_e32 v67, 0x400000, v64
	v_cmp_u_f32_e32 vcc_lo, v64, v64
	v_add3_u32 v66, v66, v64, 0x7fff
	v_cndmask_b32_e32 v64, v66, v67, vcc_lo
	v_bfe_u32 v66, v17, 16, 1
	v_or_b32_e32 v67, 0x400000, v17
	v_cmp_u_f32_e32 vcc_lo, v17, v17
	v_add3_u32 v66, v66, v17, 0x7fff
	v_cndmask_b32_e32 v17, v66, v67, vcc_lo
	v_lshlrev_b32_e32 v66, 16, v125
	v_and_b32_e32 v14, 0xffff0000, v17
	v_mul_f32_e32 v66, v3, v66
	v_and_b32_e32 v17, 0xffff0000, v64
	v_bfe_u32 v67, v66, 16, 1
	v_or_b32_e32 v69, 0x400000, v66
	v_cmp_u_f32_e32 vcc_lo, v66, v66
	v_add_f32_e32 v14, v14, v17
	v_add3_u32 v67, v67, v66, 0x7fff
	v_add_f32_e32 v13, v13, v14
	v_cndmask_b32_e32 v66, v67, v69, vcc_lo
	v_lshlrev_b32_e32 v67, 16, v126
	v_and_b32_e32 v17, 0xffff0000, v66
	v_mul_f32_e32 v67, v6, v67
	v_bfe_u32 v69, v67, 16, 1
	v_or_b32_e32 v70, 0x400000, v67
	v_cmp_u_f32_e32 vcc_lo, v67, v67
	v_add3_u32 v69, v69, v67, 0x7fff
	v_cndmask_b32_e32 v67, v69, v70, vcc_lo
	v_bfe_u32 v69, v33, 16, 1
	v_or_b32_e32 v70, 0x400000, v33
	v_cmp_u_f32_e32 vcc_lo, v33, v33
	v_and_b32_e32 v14, 0xffff0000, v67
	v_add3_u32 v69, v69, v33, 0x7fff
	v_add_f32_e32 v14, v14, v17
	v_cndmask_b32_e32 v33, v69, v70, vcc_lo
	v_bfe_u32 v69, v25, 16, 1
	v_or_b32_e32 v70, 0x400000, v25
	v_cmp_u_f32_e32 vcc_lo, v25, v25
	v_add_f32_e32 v13, v13, v14
	v_and_b32_e32 v17, 0xffff0000, v33
	v_add3_u32 v69, v69, v25, 0x7fff
	v_cndmask_b32_e32 v25, v69, v70, vcc_lo
	v_and_b32_e32 v14, 0xffff0000, v25
	v_add_f32_e32 v14, v14, v17
	v_add_f32_e32 v13, v13, v14
	;; [unrolled: 1-line block ×3, first 2 shown]
	v_lshlrev_b32_e32 v13, 16, v122
	v_mul_f32_e32 v13, v7, v13
	v_bfe_u32 v14, v13, 16, 1
	v_or_b32_e32 v17, 0x400000, v13
	v_cmp_u_f32_e32 vcc_lo, v13, v13
	v_add3_u32 v14, v14, v13, 0x7fff
	v_cndmask_b32_e32 v13, v14, v17, vcc_lo
	v_lshlrev_b32_e32 v14, 16, v123
	v_and_b32_e32 v13, 0xffff0000, v13
	v_mul_f32_e32 v14, v9, v14
	v_bfe_u32 v17, v14, 16, 1
	v_or_b32_e32 v25, 0x400000, v14
	v_cmp_u_f32_e32 vcc_lo, v14, v14
	v_add3_u32 v17, v17, v14, 0x7fff
	v_cndmask_b32_e32 v14, v17, v25, vcc_lo
	v_lshlrev_b32_e32 v17, 16, v111
	v_and_b32_e32 v14, 0xffff0000, v14
	v_mul_f32_e32 v17, v5, v17
	v_add_f32_e32 v13, v14, v13
	v_bfe_u32 v25, v17, 16, 1
	v_or_b32_e32 v33, 0x400000, v17
	v_cmp_u_f32_e32 vcc_lo, v17, v17
	v_add3_u32 v25, v25, v17, 0x7fff
	v_cndmask_b32_e32 v17, v25, v33, vcc_lo
	v_lshlrev_b32_e32 v25, 16, v120
	v_and_b32_e32 v17, 0xffff0000, v17
	v_mul_f32_e32 v25, v8, v25
	v_bfe_u32 v33, v25, 16, 1
	v_or_b32_e32 v64, 0x400000, v25
	v_cmp_u_f32_e32 vcc_lo, v25, v25
	v_add3_u32 v33, v33, v25, 0x7fff
	v_cndmask_b32_e32 v25, v33, v64, vcc_lo
	v_lshlrev_b32_e32 v33, 16, v109
	v_and_b32_e32 v14, 0xffff0000, v25
	v_mul_f32_e32 v33, v3, v33
	v_add_f32_e32 v14, v14, v17
	v_bfe_u32 v64, v33, 16, 1
	v_or_b32_e32 v66, 0x400000, v33
	v_cmp_u_f32_e32 vcc_lo, v33, v33
	v_add_f32_e32 v13, v13, v14
	v_add3_u32 v64, v64, v33, 0x7fff
	v_cndmask_b32_e32 v33, v64, v66, vcc_lo
	v_lshlrev_b32_e32 v64, 16, v110
	v_and_b32_e32 v17, 0xffff0000, v33
	v_mul_f32_e32 v64, v6, v64
	v_bfe_u32 v66, v64, 16, 1
	v_or_b32_e32 v67, 0x400000, v64
	v_cmp_u_f32_e32 vcc_lo, v64, v64
	v_add3_u32 v66, v66, v64, 0x7fff
	v_cndmask_b32_e32 v64, v66, v67, vcc_lo
	v_lshlrev_b32_e32 v66, 16, v124
	v_and_b32_e32 v14, 0xffff0000, v64
	v_mul_f32_e32 v66, v2, v66
	v_add_f32_e32 v14, v14, v17
	v_bfe_u32 v67, v66, 16, 1
	v_or_b32_e32 v69, 0x400000, v66
	v_cmp_u_f32_e32 vcc_lo, v66, v66
	v_add_f32_e32 v13, v13, v14
	v_add3_u32 v67, v67, v66, 0x7fff
	v_cndmask_b32_e32 v66, v67, v69, vcc_lo
	v_lshlrev_b32_e32 v67, 16, v121
	v_and_b32_e32 v17, 0xffff0000, v66
	v_mul_f32_e32 v67, v4, v67
	v_bfe_u32 v69, v67, 16, 1
	v_or_b32_e32 v70, 0x400000, v67
	v_cmp_u_f32_e32 vcc_lo, v67, v67
	v_add3_u32 v69, v69, v67, 0x7fff
	v_cndmask_b32_e32 v67, v69, v70, vcc_lo
	v_and_b32_e32 v14, 0xffff0000, v67
	v_add_f32_e32 v14, v14, v17
	v_add_f32_e32 v13, v13, v14
	;; [unrolled: 1-line block ×3, first 2 shown]
	v_lshlrev_b32_e32 v13, 16, v108
	v_mul_f32_e32 v13, v7, v13
	v_bfe_u32 v14, v13, 16, 1
	v_or_b32_e32 v17, 0x400000, v13
	v_cmp_u_f32_e32 vcc_lo, v13, v13
	v_add3_u32 v14, v14, v13, 0x7fff
	v_cndmask_b32_e32 v13, v14, v17, vcc_lo
	v_lshlrev_b32_e32 v14, 16, v107
	v_and_b32_e32 v13, 0xffff0000, v13
	v_mul_f32_e32 v14, v9, v14
	v_bfe_u32 v17, v14, 16, 1
	v_or_b32_e32 v25, 0x400000, v14
	v_cmp_u_f32_e32 vcc_lo, v14, v14
	v_add3_u32 v17, v17, v14, 0x7fff
	v_cndmask_b32_e32 v14, v17, v25, vcc_lo
	v_lshlrev_b32_e32 v17, 16, v105
	v_and_b32_e32 v14, 0xffff0000, v14
	v_mul_f32_e32 v17, v5, v17
	v_add_f32_e32 v13, v14, v13
	v_bfe_u32 v25, v17, 16, 1
	v_or_b32_e32 v33, 0x400000, v17
	v_cmp_u_f32_e32 vcc_lo, v17, v17
	v_add3_u32 v25, v25, v17, 0x7fff
	v_cndmask_b32_e32 v17, v25, v33, vcc_lo
	v_lshlrev_b32_e32 v25, 16, v106
	v_and_b32_e32 v17, 0xffff0000, v17
	v_mul_f32_e32 v25, v8, v25
	v_bfe_u32 v33, v25, 16, 1
	v_or_b32_e32 v64, 0x400000, v25
	v_cmp_u_f32_e32 vcc_lo, v25, v25
	v_add3_u32 v33, v33, v25, 0x7fff
	v_cndmask_b32_e32 v25, v33, v64, vcc_lo
	v_lshlrev_b32_e32 v33, 16, v94
	v_and_b32_e32 v14, 0xffff0000, v25
	v_mul_f32_e32 v33, v3, v33
	v_add_f32_e32 v14, v14, v17
	v_bfe_u32 v64, v33, 16, 1
	v_or_b32_e32 v66, 0x400000, v33
	v_cmp_u_f32_e32 vcc_lo, v33, v33
	v_add_f32_e32 v13, v13, v14
	v_add3_u32 v64, v64, v33, 0x7fff
	v_cndmask_b32_e32 v33, v64, v66, vcc_lo
	v_lshlrev_b32_e32 v64, 16, v93
	v_and_b32_e32 v17, 0xffff0000, v33
	v_mul_f32_e32 v64, v6, v64
	v_bfe_u32 v66, v64, 16, 1
	v_or_b32_e32 v67, 0x400000, v64
	v_cmp_u_f32_e32 vcc_lo, v64, v64
	v_add3_u32 v66, v66, v64, 0x7fff
	v_cndmask_b32_e32 v64, v66, v67, vcc_lo
	v_lshlrev_b32_e32 v66, 16, v104
	v_and_b32_e32 v14, 0xffff0000, v64
	v_mul_f32_e32 v66, v2, v66
	v_add_f32_e32 v14, v14, v17
	v_bfe_u32 v67, v66, 16, 1
	v_or_b32_e32 v69, 0x400000, v66
	v_cmp_u_f32_e32 vcc_lo, v66, v66
	v_add_f32_e32 v13, v13, v14
	v_add3_u32 v67, v67, v66, 0x7fff
	v_cndmask_b32_e32 v66, v67, v69, vcc_lo
	v_lshlrev_b32_e32 v67, 16, v95
	v_and_b32_e32 v17, 0xffff0000, v66
	v_mul_f32_e32 v67, v4, v67
	v_bfe_u32 v69, v67, 16, 1
	v_or_b32_e32 v70, 0x400000, v67
	v_cmp_u_f32_e32 vcc_lo, v67, v67
	v_add3_u32 v69, v69, v67, 0x7fff
	v_cndmask_b32_e32 v67, v69, v70, vcc_lo
	v_and_b32_e32 v14, 0xffff0000, v67
	v_add_f32_e32 v14, v14, v17
	v_add_f32_e32 v13, v13, v14
	;; [unrolled: 1-line block ×3, first 2 shown]
	v_lshlrev_b32_e32 v13, 16, v92
	v_mul_f32_e32 v13, v7, v13
	v_bfe_u32 v14, v13, 16, 1
	v_or_b32_e32 v17, 0x400000, v13
	v_cmp_u_f32_e32 vcc_lo, v13, v13
	v_add3_u32 v14, v14, v13, 0x7fff
	v_cndmask_b32_e32 v13, v14, v17, vcc_lo
	v_lshlrev_b32_e32 v14, 16, v91
	v_and_b32_e32 v13, 0xffff0000, v13
	v_mul_f32_e32 v14, v9, v14
	v_bfe_u32 v17, v14, 16, 1
	v_or_b32_e32 v25, 0x400000, v14
	v_cmp_u_f32_e32 vcc_lo, v14, v14
	v_add3_u32 v17, v17, v14, 0x7fff
	v_cndmask_b32_e32 v14, v17, v25, vcc_lo
	v_lshlrev_b32_e32 v17, 16, v89
	v_and_b32_e32 v14, 0xffff0000, v14
	v_mul_f32_e32 v17, v5, v17
	v_add_f32_e32 v13, v14, v13
	v_bfe_u32 v25, v17, 16, 1
	v_or_b32_e32 v33, 0x400000, v17
	v_cmp_u_f32_e32 vcc_lo, v17, v17
	v_add3_u32 v25, v25, v17, 0x7fff
	v_cndmask_b32_e32 v17, v25, v33, vcc_lo
	v_lshlrev_b32_e32 v25, 16, v90
	v_and_b32_e32 v17, 0xffff0000, v17
	v_mul_f32_e32 v25, v8, v25
	v_bfe_u32 v33, v25, 16, 1
	v_or_b32_e32 v64, 0x400000, v25
	v_cmp_u_f32_e32 vcc_lo, v25, v25
	v_add3_u32 v33, v33, v25, 0x7fff
	v_cndmask_b32_e32 v25, v33, v64, vcc_lo
	v_lshlrev_b32_e32 v33, 16, v78
	v_and_b32_e32 v14, 0xffff0000, v25
	v_mul_f32_e32 v33, v3, v33
	v_add_f32_e32 v14, v14, v17
	v_bfe_u32 v64, v33, 16, 1
	v_or_b32_e32 v66, 0x400000, v33
	v_cmp_u_f32_e32 vcc_lo, v33, v33
	v_add_f32_e32 v13, v13, v14
	v_add3_u32 v64, v64, v33, 0x7fff
	v_cndmask_b32_e32 v33, v64, v66, vcc_lo
	v_lshlrev_b32_e32 v64, 16, v77
	v_and_b32_e32 v17, 0xffff0000, v33
	v_mul_f32_e32 v64, v6, v64
	v_bfe_u32 v66, v64, 16, 1
	v_or_b32_e32 v67, 0x400000, v64
	v_cmp_u_f32_e32 vcc_lo, v64, v64
	v_add3_u32 v66, v66, v64, 0x7fff
	v_cndmask_b32_e32 v64, v66, v67, vcc_lo
	v_lshlrev_b32_e32 v66, 16, v88
	v_and_b32_e32 v14, 0xffff0000, v64
	v_mul_f32_e32 v66, v2, v66
	v_add_f32_e32 v14, v14, v17
	v_bfe_u32 v67, v66, 16, 1
	v_or_b32_e32 v69, 0x400000, v66
	v_cmp_u_f32_e32 vcc_lo, v66, v66
	v_add_f32_e32 v13, v13, v14
	v_add3_u32 v67, v67, v66, 0x7fff
	v_cndmask_b32_e32 v66, v67, v69, vcc_lo
	v_lshlrev_b32_e32 v67, 16, v79
	v_and_b32_e32 v17, 0xffff0000, v66
	v_mul_f32_e32 v67, v4, v67
	v_bfe_u32 v69, v67, 16, 1
	v_or_b32_e32 v70, 0x400000, v67
	v_cmp_u_f32_e32 vcc_lo, v67, v67
	v_add3_u32 v69, v69, v67, 0x7fff
	v_cndmask_b32_e32 v67, v69, v70, vcc_lo
	v_and_b32_e32 v14, 0xffff0000, v67
	v_add_f32_e32 v14, v14, v17
	v_add_f32_e32 v13, v13, v14
	;; [unrolled: 1-line block ×3, first 2 shown]
	v_lshlrev_b32_e32 v13, 16, v76
	v_mul_f32_e32 v13, v7, v13
	v_bfe_u32 v14, v13, 16, 1
	v_or_b32_e32 v17, 0x400000, v13
	v_cmp_u_f32_e32 vcc_lo, v13, v13
	v_add3_u32 v14, v14, v13, 0x7fff
	v_cndmask_b32_e32 v13, v14, v17, vcc_lo
	v_lshlrev_b32_e32 v14, 16, v75
	v_and_b32_e32 v13, 0xffff0000, v13
	v_mul_f32_e32 v14, v9, v14
	v_bfe_u32 v17, v14, 16, 1
	v_or_b32_e32 v25, 0x400000, v14
	v_cmp_u_f32_e32 vcc_lo, v14, v14
	v_add3_u32 v17, v17, v14, 0x7fff
	v_cndmask_b32_e32 v14, v17, v25, vcc_lo
	v_lshlrev_b32_e32 v17, 16, v73
	v_and_b32_e32 v14, 0xffff0000, v14
	v_mul_f32_e32 v17, v5, v17
	v_add_f32_e32 v13, v14, v13
	v_bfe_u32 v25, v17, 16, 1
	v_or_b32_e32 v33, 0x400000, v17
	v_cmp_u_f32_e32 vcc_lo, v17, v17
	v_add3_u32 v25, v25, v17, 0x7fff
	v_cndmask_b32_e32 v17, v25, v33, vcc_lo
	v_lshlrev_b32_e32 v25, 16, v74
	v_and_b32_e32 v17, 0xffff0000, v17
	v_mul_f32_e32 v25, v8, v25
	v_bfe_u32 v33, v25, 16, 1
	v_or_b32_e32 v64, 0x400000, v25
	v_cmp_u_f32_e32 vcc_lo, v25, v25
	v_add3_u32 v33, v33, v25, 0x7fff
	v_cndmask_b32_e32 v25, v33, v64, vcc_lo
	v_lshlrev_b32_e32 v33, 16, v62
	v_and_b32_e32 v14, 0xffff0000, v25
	v_mul_f32_e32 v33, v3, v33
	v_add_f32_e32 v14, v14, v17
	v_bfe_u32 v64, v33, 16, 1
	v_or_b32_e32 v66, 0x400000, v33
	v_cmp_u_f32_e32 vcc_lo, v33, v33
	v_add_f32_e32 v13, v13, v14
	v_add3_u32 v64, v64, v33, 0x7fff
	v_cndmask_b32_e32 v33, v64, v66, vcc_lo
	v_bfe_u32 v64, v18, 16, 1
	v_or_b32_e32 v66, 0x400000, v18
	v_cmp_u_f32_e32 vcc_lo, v18, v18
	v_and_b32_e32 v17, 0xffff0000, v33
	v_add3_u32 v64, v64, v18, 0x7fff
	v_cndmask_b32_e32 v18, v64, v66, vcc_lo
	v_lshlrev_b32_e32 v64, 16, v72
	v_and_b32_e32 v14, 0xffff0000, v18
	v_mul_f32_e32 v64, v2, v64
	v_add_f32_e32 v14, v14, v17
	v_bfe_u32 v66, v64, 16, 1
	v_or_b32_e32 v67, 0x400000, v64
	v_cmp_u_f32_e32 vcc_lo, v64, v64
	v_add_f32_e32 v13, v13, v14
	v_add3_u32 v66, v66, v64, 0x7fff
	v_cndmask_b32_e32 v64, v66, v67, vcc_lo
	v_lshlrev_b32_e32 v66, 16, v63
	v_and_b32_e32 v17, 0xffff0000, v64
	v_mul_f32_e32 v66, v4, v66
	v_bfe_u32 v67, v66, 16, 1
	v_or_b32_e32 v69, 0x400000, v66
	v_cmp_u_f32_e32 vcc_lo, v66, v66
	v_add3_u32 v67, v67, v66, 0x7fff
	v_cndmask_b32_e32 v66, v67, v69, vcc_lo
	v_and_b32_e32 v14, 0xffff0000, v66
	v_add_f32_e32 v14, v14, v17
	v_add_f32_e32 v13, v13, v14
	;; [unrolled: 1-line block ×3, first 2 shown]
	v_lshlrev_b32_e32 v13, 16, v61
	v_mul_f32_e32 v13, v7, v13
	v_bfe_u32 v14, v13, 16, 1
	v_or_b32_e32 v17, 0x400000, v13
	v_cmp_u_f32_e32 vcc_lo, v13, v13
	v_add3_u32 v14, v14, v13, 0x7fff
	v_cndmask_b32_e32 v13, v14, v17, vcc_lo
	v_lshlrev_b32_e32 v14, 16, v60
	v_and_b32_e32 v13, 0xffff0000, v13
	v_mul_f32_e32 v14, v9, v14
	v_bfe_u32 v17, v14, 16, 1
	v_or_b32_e32 v18, 0x400000, v14
	v_cmp_u_f32_e32 vcc_lo, v14, v14
	v_add3_u32 v17, v17, v14, 0x7fff
	v_cndmask_b32_e32 v14, v17, v18, vcc_lo
	v_lshlrev_b32_e32 v17, 16, v30
	v_and_b32_e32 v14, 0xffff0000, v14
	v_mul_f32_e32 v17, v5, v17
	v_add_f32_e32 v13, v14, v13
	v_bfe_u32 v18, v17, 16, 1
	v_or_b32_e32 v25, 0x400000, v17
	v_cmp_u_f32_e32 vcc_lo, v17, v17
	v_add3_u32 v18, v18, v17, 0x7fff
	v_cndmask_b32_e32 v17, v18, v25, vcc_lo
	v_lshlrev_b32_e32 v18, 16, v31
	v_and_b32_e32 v17, 0xffff0000, v17
	v_mul_f32_e32 v18, v8, v18
	v_bfe_u32 v25, v18, 16, 1
	v_or_b32_e32 v30, 0x400000, v18
	v_cmp_u_f32_e32 vcc_lo, v18, v18
	v_add3_u32 v25, v25, v18, 0x7fff
	v_cndmask_b32_e32 v18, v25, v30, vcc_lo
	v_bfe_u32 v25, v1, 16, 1
	v_or_b32_e32 v30, 0x400000, v1
	v_cmp_u_f32_e32 vcc_lo, v1, v1
	v_and_b32_e32 v14, 0xffff0000, v18
	v_add3_u32 v25, v25, v1, 0x7fff
	v_add_f32_e32 v14, v14, v17
	v_cndmask_b32_e32 v1, v25, v30, vcc_lo
	v_bfe_u32 v25, v0, 16, 1
	v_or_b32_e32 v30, 0x400000, v0
	v_cmp_u_f32_e32 vcc_lo, v0, v0
	v_add_f32_e32 v13, v13, v14
	v_and_b32_e32 v1, 0xffff0000, v1
	v_add3_u32 v25, v25, v0, 0x7fff
	v_cndmask_b32_e32 v0, v25, v30, vcc_lo
	v_lshlrev_b32_e32 v25, 16, v29
	v_and_b32_e32 v0, 0xffff0000, v0
	v_mul_f32_e32 v25, v2, v25
	v_add_f32_e32 v0, v0, v1
	v_bfe_u32 v29, v25, 16, 1
	v_or_b32_e32 v30, 0x400000, v25
	v_cmp_u_f32_e32 vcc_lo, v25, v25
	v_add_f32_e32 v0, v13, v0
	v_add3_u32 v29, v29, v25, 0x7fff
	v_cndmask_b32_e32 v25, v29, v30, vcc_lo
	v_bfe_u32 v29, v28, 16, 1
	v_or_b32_e32 v30, 0x400000, v28
	v_cmp_u_f32_e32 vcc_lo, v28, v28
	v_and_b32_e32 v13, 0xffff0000, v25
	v_add3_u32 v29, v29, v28, 0x7fff
	v_cndmask_b32_e32 v28, v29, v30, vcc_lo
	v_and_b32_e32 v1, 0xffff0000, v28
	v_add_f32_e32 v1, v1, v13
	v_add_f32_e32 v0, v0, v1
	;; [unrolled: 1-line block ×3, first 2 shown]
	v_lshlrev_b32_e32 v0, 16, v59
	v_mul_f32_e32 v0, v7, v0
	v_bfe_u32 v1, v0, 16, 1
	v_or_b32_e32 v13, 0x400000, v0
	v_cmp_u_f32_e32 vcc_lo, v0, v0
	v_add3_u32 v1, v1, v0, 0x7fff
	v_cndmask_b32_e32 v0, v1, v13, vcc_lo
	v_lshlrev_b32_e32 v1, 16, v58
	v_and_b32_e32 v0, 0xffff0000, v0
	v_mul_f32_e32 v1, v9, v1
	v_bfe_u32 v13, v1, 16, 1
	v_or_b32_e32 v14, 0x400000, v1
	v_cmp_u_f32_e32 vcc_lo, v1, v1
	v_add3_u32 v13, v13, v1, 0x7fff
	v_cndmask_b32_e32 v1, v13, v14, vcc_lo
	v_lshlrev_b32_e32 v13, 16, v56
	v_and_b32_e32 v1, 0xffff0000, v1
	v_mul_f32_e32 v13, v5, v13
	v_add_f32_e32 v0, v1, v0
	v_bfe_u32 v14, v13, 16, 1
	v_or_b32_e32 v17, 0x400000, v13
	v_cmp_u_f32_e32 vcc_lo, v13, v13
	v_add3_u32 v14, v14, v13, 0x7fff
	v_cndmask_b32_e32 v13, v14, v17, vcc_lo
	v_lshlrev_b32_e32 v14, 16, v57
	v_and_b32_e32 v13, 0xffff0000, v13
	v_mul_f32_e32 v14, v8, v14
	v_bfe_u32 v17, v14, 16, 1
	v_or_b32_e32 v18, 0x400000, v14
	v_cmp_u_f32_e32 vcc_lo, v14, v14
	v_add3_u32 v17, v17, v14, 0x7fff
	v_cndmask_b32_e32 v14, v17, v18, vcc_lo
	v_lshlrev_b32_e32 v17, 16, v45
	v_and_b32_e32 v1, 0xffff0000, v14
	v_mul_f32_e32 v17, v3, v17
	v_add_f32_e32 v1, v1, v13
	v_bfe_u32 v18, v17, 16, 1
	v_or_b32_e32 v25, 0x400000, v17
	v_cmp_u_f32_e32 vcc_lo, v17, v17
	v_add_f32_e32 v0, v0, v1
	v_add3_u32 v18, v18, v17, 0x7fff
	v_cndmask_b32_e32 v17, v18, v25, vcc_lo
	v_lshlrev_b32_e32 v18, 16, v44
	v_and_b32_e32 v13, 0xffff0000, v17
	v_mul_f32_e32 v18, v6, v18
	v_bfe_u32 v25, v18, 16, 1
	v_or_b32_e32 v28, 0x400000, v18
	v_cmp_u_f32_e32 vcc_lo, v18, v18
	v_add3_u32 v25, v25, v18, 0x7fff
	v_cndmask_b32_e32 v18, v25, v28, vcc_lo
	v_lshlrev_b32_e32 v25, 16, v47
	v_and_b32_e32 v1, 0xffff0000, v18
	v_mul_f32_e32 v25, v2, v25
	v_add_f32_e32 v1, v1, v13
	v_bfe_u32 v28, v25, 16, 1
	v_or_b32_e32 v29, 0x400000, v25
	v_cmp_u_f32_e32 vcc_lo, v25, v25
	v_add_f32_e32 v0, v0, v1
	v_add3_u32 v28, v28, v25, 0x7fff
	v_cndmask_b32_e32 v25, v28, v29, vcc_lo
	v_lshlrev_b32_e32 v28, 16, v46
	v_and_b32_e32 v13, 0xffff0000, v25
	v_mul_f32_e32 v28, v4, v28
	v_bfe_u32 v29, v28, 16, 1
	v_or_b32_e32 v30, 0x400000, v28
	v_cmp_u_f32_e32 vcc_lo, v28, v28
	v_add3_u32 v29, v29, v28, 0x7fff
	v_cndmask_b32_e32 v28, v29, v30, vcc_lo
	v_and_b32_e32 v1, 0xffff0000, v28
	v_add_f32_e32 v1, v1, v13
	v_add_f32_e32 v0, v0, v1
	;; [unrolled: 1-line block ×3, first 2 shown]
	v_lshlrev_b32_e32 v0, 16, v116
	v_mul_f32_e32 v0, v7, v0
	v_bfe_u32 v1, v0, 16, 1
	v_or_b32_e32 v13, 0x400000, v0
	v_cmp_u_f32_e32 vcc_lo, v0, v0
	v_add3_u32 v1, v1, v0, 0x7fff
	v_cndmask_b32_e32 v0, v1, v13, vcc_lo
	v_lshlrev_b32_e32 v1, 16, v115
	v_and_b32_e32 v0, 0xffff0000, v0
	v_mul_f32_e32 v1, v9, v1
	v_bfe_u32 v13, v1, 16, 1
	v_or_b32_e32 v14, 0x400000, v1
	v_cmp_u_f32_e32 vcc_lo, v1, v1
	v_add3_u32 v13, v13, v1, 0x7fff
	v_cndmask_b32_e32 v1, v13, v14, vcc_lo
	v_lshlrev_b32_e32 v13, 16, v113
	v_and_b32_e32 v1, 0xffff0000, v1
	v_mul_f32_e32 v13, v5, v13
	v_add_f32_e32 v0, v1, v0
	v_bfe_u32 v14, v13, 16, 1
	v_or_b32_e32 v17, 0x400000, v13
	v_cmp_u_f32_e32 vcc_lo, v13, v13
	v_add3_u32 v14, v14, v13, 0x7fff
	v_cndmask_b32_e32 v13, v14, v17, vcc_lo
	v_lshlrev_b32_e32 v14, 16, v114
	v_and_b32_e32 v13, 0xffff0000, v13
	v_mul_f32_e32 v14, v8, v14
	v_bfe_u32 v17, v14, 16, 1
	v_or_b32_e32 v18, 0x400000, v14
	v_cmp_u_f32_e32 vcc_lo, v14, v14
	v_add3_u32 v17, v17, v14, 0x7fff
	v_cndmask_b32_e32 v14, v17, v18, vcc_lo
	v_lshlrev_b32_e32 v17, 16, v102
	v_and_b32_e32 v1, 0xffff0000, v14
	v_mul_f32_e32 v17, v3, v17
	v_add_f32_e32 v1, v1, v13
	v_bfe_u32 v18, v17, 16, 1
	v_or_b32_e32 v25, 0x400000, v17
	v_cmp_u_f32_e32 vcc_lo, v17, v17
	v_add_f32_e32 v0, v0, v1
	v_add3_u32 v18, v18, v17, 0x7fff
	v_cndmask_b32_e32 v17, v18, v25, vcc_lo
	v_lshlrev_b32_e32 v18, 16, v101
	v_and_b32_e32 v13, 0xffff0000, v17
	v_mul_f32_e32 v18, v6, v18
	v_bfe_u32 v25, v18, 16, 1
	v_or_b32_e32 v28, 0x400000, v18
	v_cmp_u_f32_e32 vcc_lo, v18, v18
	v_add3_u32 v25, v25, v18, 0x7fff
	v_cndmask_b32_e32 v18, v25, v28, vcc_lo
	v_lshlrev_b32_e32 v25, 16, v112
	v_and_b32_e32 v1, 0xffff0000, v18
	v_mul_f32_e32 v25, v2, v25
	v_add_f32_e32 v1, v1, v13
	v_bfe_u32 v28, v25, 16, 1
	v_or_b32_e32 v29, 0x400000, v25
	v_cmp_u_f32_e32 vcc_lo, v25, v25
	v_add_f32_e32 v0, v0, v1
	v_add3_u32 v28, v28, v25, 0x7fff
	v_cndmask_b32_e32 v25, v28, v29, vcc_lo
	v_lshlrev_b32_e32 v28, 16, v103
	v_and_b32_e32 v13, 0xffff0000, v25
	v_mul_f32_e32 v28, v4, v28
	v_bfe_u32 v29, v28, 16, 1
	v_or_b32_e32 v30, 0x400000, v28
	v_cmp_u_f32_e32 vcc_lo, v28, v28
	v_add3_u32 v29, v29, v28, 0x7fff
	v_cndmask_b32_e32 v28, v29, v30, vcc_lo
	v_and_b32_e32 v1, 0xffff0000, v28
	v_add_f32_e32 v1, v1, v13
	v_add_f32_e32 v0, v0, v1
	;; [unrolled: 1-line block ×3, first 2 shown]
	v_lshlrev_b32_e32 v0, 16, v100
	v_mul_f32_e32 v0, v7, v0
	v_bfe_u32 v1, v0, 16, 1
	v_or_b32_e32 v13, 0x400000, v0
	v_cmp_u_f32_e32 vcc_lo, v0, v0
	v_add3_u32 v1, v1, v0, 0x7fff
	v_cndmask_b32_e32 v0, v1, v13, vcc_lo
	v_lshlrev_b32_e32 v1, 16, v99
	v_and_b32_e32 v0, 0xffff0000, v0
	v_mul_f32_e32 v1, v9, v1
	v_bfe_u32 v13, v1, 16, 1
	v_or_b32_e32 v14, 0x400000, v1
	v_cmp_u_f32_e32 vcc_lo, v1, v1
	v_add3_u32 v13, v13, v1, 0x7fff
	v_cndmask_b32_e32 v1, v13, v14, vcc_lo
	v_lshlrev_b32_e32 v13, 16, v97
	v_and_b32_e32 v1, 0xffff0000, v1
	v_mul_f32_e32 v13, v5, v13
	v_add_f32_e32 v0, v1, v0
	v_bfe_u32 v14, v13, 16, 1
	v_or_b32_e32 v17, 0x400000, v13
	v_cmp_u_f32_e32 vcc_lo, v13, v13
	v_add3_u32 v14, v14, v13, 0x7fff
	v_cndmask_b32_e32 v13, v14, v17, vcc_lo
	v_lshlrev_b32_e32 v14, 16, v98
	v_and_b32_e32 v13, 0xffff0000, v13
	v_mul_f32_e32 v14, v8, v14
	v_bfe_u32 v17, v14, 16, 1
	v_or_b32_e32 v18, 0x400000, v14
	v_cmp_u_f32_e32 vcc_lo, v14, v14
	v_add3_u32 v17, v17, v14, 0x7fff
	v_cndmask_b32_e32 v14, v17, v18, vcc_lo
	v_lshlrev_b32_e32 v17, 16, v96
	v_and_b32_e32 v1, 0xffff0000, v14
	v_mul_f32_e32 v17, v3, v17
	v_add_f32_e32 v1, v1, v13
	v_bfe_u32 v18, v17, 16, 1
	v_or_b32_e32 v25, 0x400000, v17
	v_cmp_u_f32_e32 vcc_lo, v17, v17
	v_add_f32_e32 v0, v0, v1
	v_add3_u32 v18, v18, v17, 0x7fff
	v_cndmask_b32_e32 v17, v18, v25, vcc_lo
	buffer_load_dword v18, off, s[0:3], s32 offset:232 ; 4-byte Folded Reload
	v_and_b32_e32 v13, 0xffff0000, v17
	s_waitcnt vmcnt(0)
	v_lshlrev_b32_e32 v18, 16, v18
	v_mul_f32_e32 v18, v6, v18
	v_bfe_u32 v25, v18, 16, 1
	v_or_b32_e32 v28, 0x400000, v18
	v_cmp_u_f32_e32 vcc_lo, v18, v18
	v_add3_u32 v25, v25, v18, 0x7fff
	v_cndmask_b32_e32 v18, v25, v28, vcc_lo
	v_lshlrev_b32_e32 v25, 16, v87
	v_and_b32_e32 v1, 0xffff0000, v18
	v_mul_f32_e32 v25, v2, v25
	v_add_f32_e32 v1, v1, v13
	v_bfe_u32 v28, v25, 16, 1
	v_or_b32_e32 v29, 0x400000, v25
	v_cmp_u_f32_e32 vcc_lo, v25, v25
	v_add_f32_e32 v0, v0, v1
	v_add3_u32 v28, v28, v25, 0x7fff
	v_cndmask_b32_e32 v25, v28, v29, vcc_lo
	buffer_load_dword v28, off, s[0:3], s32 offset:228 ; 4-byte Folded Reload
	v_and_b32_e32 v13, 0xffff0000, v25
	s_waitcnt vmcnt(0)
	v_lshlrev_b32_e32 v28, 16, v28
	v_mul_f32_e32 v28, v4, v28
	v_bfe_u32 v29, v28, 16, 1
	v_or_b32_e32 v30, 0x400000, v28
	v_cmp_u_f32_e32 vcc_lo, v28, v28
	v_add3_u32 v29, v29, v28, 0x7fff
	v_cndmask_b32_e32 v28, v29, v30, vcc_lo
	v_and_b32_e32 v1, 0xffff0000, v28
	v_add_f32_e32 v1, v1, v13
	v_add_f32_e32 v0, v0, v1
	;; [unrolled: 1-line block ×3, first 2 shown]
	buffer_load_dword v0, off, s[0:3], s32 offset:224 ; 4-byte Folded Reload
	s_waitcnt vmcnt(0)
	v_lshlrev_b32_e32 v0, 16, v0
	v_mul_f32_e32 v0, v7, v0
	v_bfe_u32 v1, v0, 16, 1
	v_or_b32_e32 v13, 0x400000, v0
	v_cmp_u_f32_e32 vcc_lo, v0, v0
	v_add3_u32 v1, v1, v0, 0x7fff
	v_cndmask_b32_e32 v0, v1, v13, vcc_lo
	buffer_load_dword v1, off, s[0:3], s32 offset:220 ; 4-byte Folded Reload
	v_and_b32_e32 v0, 0xffff0000, v0
	s_waitcnt vmcnt(0)
	v_lshlrev_b32_e32 v1, 16, v1
	v_mul_f32_e32 v1, v9, v1
	v_bfe_u32 v13, v1, 16, 1
	v_or_b32_e32 v14, 0x400000, v1
	v_cmp_u_f32_e32 vcc_lo, v1, v1
	v_add3_u32 v13, v13, v1, 0x7fff
	v_cndmask_b32_e32 v1, v13, v14, vcc_lo
	buffer_load_dword v13, off, s[0:3], s32 offset:216 ; 4-byte Folded Reload
	v_and_b32_e32 v1, 0xffff0000, v1
	v_add_f32_e32 v0, v1, v0
	s_waitcnt vmcnt(0)
	v_lshlrev_b32_e32 v13, 16, v13
	v_mul_f32_e32 v13, v5, v13
	v_bfe_u32 v14, v13, 16, 1
	v_or_b32_e32 v17, 0x400000, v13
	v_cmp_u_f32_e32 vcc_lo, v13, v13
	v_add3_u32 v14, v14, v13, 0x7fff
	v_cndmask_b32_e32 v13, v14, v17, vcc_lo
	buffer_load_dword v14, off, s[0:3], s32 offset:212 ; 4-byte Folded Reload
	v_and_b32_e32 v13, 0xffff0000, v13
	s_waitcnt vmcnt(0)
	v_lshlrev_b32_e32 v14, 16, v14
	v_mul_f32_e32 v14, v8, v14
	v_bfe_u32 v17, v14, 16, 1
	v_or_b32_e32 v18, 0x400000, v14
	v_cmp_u_f32_e32 vcc_lo, v14, v14
	v_add3_u32 v17, v17, v14, 0x7fff
	v_cndmask_b32_e32 v14, v17, v18, vcc_lo
	buffer_load_dword v17, off, s[0:3], s32 offset:208 ; 4-byte Folded Reload
	v_and_b32_e32 v1, 0xffff0000, v14
	v_add_f32_e32 v1, v1, v13
	v_add_f32_e32 v0, v0, v1
	s_waitcnt vmcnt(0)
	v_lshlrev_b32_e32 v17, 16, v17
	v_mul_f32_e32 v17, v3, v17
	v_bfe_u32 v18, v17, 16, 1
	v_or_b32_e32 v25, 0x400000, v17
	v_cmp_u_f32_e32 vcc_lo, v17, v17
	v_add3_u32 v18, v18, v17, 0x7fff
	v_cndmask_b32_e32 v17, v18, v25, vcc_lo
	buffer_load_dword v18, off, s[0:3], s32 offset:200 ; 4-byte Folded Reload
	v_and_b32_e32 v13, 0xffff0000, v17
	s_waitcnt vmcnt(0)
	v_lshlrev_b32_e32 v18, 16, v18
	v_mul_f32_e32 v18, v6, v18
	v_bfe_u32 v25, v18, 16, 1
	v_or_b32_e32 v28, 0x400000, v18
	v_cmp_u_f32_e32 vcc_lo, v18, v18
	v_add3_u32 v25, v25, v18, 0x7fff
	v_cndmask_b32_e32 v18, v25, v28, vcc_lo
	buffer_load_dword v25, off, s[0:3], s32 offset:204 ; 4-byte Folded Reload
	v_and_b32_e32 v1, 0xffff0000, v18
	v_add_f32_e32 v1, v1, v13
	v_add_f32_e32 v0, v0, v1
	s_waitcnt vmcnt(0)
	v_lshlrev_b32_e32 v25, 16, v25
	v_mul_f32_e32 v25, v2, v25
	v_bfe_u32 v28, v25, 16, 1
	v_or_b32_e32 v29, 0x400000, v25
	v_cmp_u_f32_e32 vcc_lo, v25, v25
	v_add3_u32 v28, v28, v25, 0x7fff
	v_cndmask_b32_e32 v25, v28, v29, vcc_lo
	buffer_load_dword v28, off, s[0:3], s32 offset:196 ; 4-byte Folded Reload
	v_and_b32_e32 v13, 0xffff0000, v25
	s_waitcnt vmcnt(0)
	v_lshlrev_b32_e32 v28, 16, v28
	v_mul_f32_e32 v28, v4, v28
	v_bfe_u32 v29, v28, 16, 1
	v_or_b32_e32 v30, 0x400000, v28
	v_cmp_u_f32_e32 vcc_lo, v28, v28
	v_add3_u32 v29, v29, v28, 0x7fff
	v_cndmask_b32_e32 v28, v29, v30, vcc_lo
	v_and_b32_e32 v1, 0xffff0000, v28
	v_add_f32_e32 v1, v1, v13
	v_add_f32_e32 v0, v0, v1
	;; [unrolled: 1-line block ×3, first 2 shown]
	v_lshlrev_b32_e32 v0, 16, v24
	v_mul_f32_e32 v0, v9, v0
	v_bfe_u32 v1, v0, 16, 1
	v_or_b32_e32 v9, 0x400000, v0
	v_cmp_u_f32_e32 vcc_lo, v0, v0
	v_add3_u32 v1, v1, v0, 0x7fff
	v_cndmask_b32_e32 v0, v1, v9, vcc_lo
	v_lshlrev_b32_e32 v1, 16, v23
	v_and_b32_e32 v0, 0xffff0000, v0
	v_mul_f32_e32 v1, v7, v1
	v_bfe_u32 v7, v1, 16, 1
	v_or_b32_e32 v9, 0x400000, v1
	v_cmp_u_f32_e32 vcc_lo, v1, v1
	v_add3_u32 v7, v7, v1, 0x7fff
	v_cndmask_b32_e32 v1, v7, v9, vcc_lo
	v_lshlrev_b32_e32 v7, 16, v21
	v_and_b32_e32 v1, 0xffff0000, v1
	v_mul_f32_e32 v7, v8, v7
	v_add_f32_e32 v0, v0, v1
	v_bfe_u32 v8, v7, 16, 1
	v_or_b32_e32 v9, 0x400000, v7
	v_cmp_u_f32_e32 vcc_lo, v7, v7
	v_add3_u32 v8, v8, v7, 0x7fff
	v_cndmask_b32_e32 v7, v8, v9, vcc_lo
	v_lshlrev_b32_e32 v8, 16, v19
	v_mul_f32_e32 v5, v5, v8
	v_bfe_u32 v8, v5, 16, 1
	v_or_b32_e32 v9, 0x400000, v5
	v_cmp_u_f32_e32 vcc_lo, v5, v5
	v_add3_u32 v8, v8, v5, 0x7fff
	v_cndmask_b32_e32 v5, v8, v9, vcc_lo
	v_lshlrev_b32_e32 v8, 16, v11
	v_and_b32_e32 v1, 0xffff0000, v5
	v_mul_f32_e32 v6, v6, v8
	v_and_b32_e32 v5, 0xffff0000, v7
	v_bfe_u32 v8, v6, 16, 1
	v_or_b32_e32 v9, 0x400000, v6
	v_cmp_u_f32_e32 vcc_lo, v6, v6
	v_add_f32_e32 v1, v5, v1
	v_add3_u32 v8, v8, v6, 0x7fff
	v_add_f32_e32 v0, v0, v1
	v_cndmask_b32_e32 v6, v8, v9, vcc_lo
	v_lshlrev_b32_e32 v8, 16, v10
	v_mul_f32_e32 v3, v3, v8
	v_bfe_u32 v8, v3, 16, 1
	v_or_b32_e32 v9, 0x400000, v3
	v_cmp_u_f32_e32 vcc_lo, v3, v3
	v_add3_u32 v8, v8, v3, 0x7fff
	v_cndmask_b32_e32 v3, v8, v9, vcc_lo
	v_lshlrev_b32_e32 v8, 16, v20
	v_and_b32_e32 v1, 0xffff0000, v3
	v_mul_f32_e32 v4, v4, v8
	v_and_b32_e32 v3, 0xffff0000, v6
	v_bfe_u32 v8, v4, 16, 1
	v_or_b32_e32 v9, 0x400000, v4
	v_cmp_u_f32_e32 vcc_lo, v4, v4
	v_add_f32_e32 v1, v3, v1
	v_add3_u32 v8, v8, v4, 0x7fff
	v_add_f32_e32 v0, v0, v1
	v_cndmask_b32_e32 v4, v8, v9, vcc_lo
	v_lshlrev_b32_e32 v8, 16, v22
	v_mul_f32_e32 v2, v2, v8
	v_bfe_u32 v8, v2, 16, 1
	v_or_b32_e32 v9, 0x400000, v2
	v_cmp_u_f32_e32 vcc_lo, v2, v2
	v_add3_u32 v8, v8, v2, 0x7fff
	v_cndmask_b32_e32 v2, v8, v9, vcc_lo
	v_add_co_u32 v15, vcc_lo, v15, 16
	v_add_co_ci_u32_e64 v16, null, 0, v16, vcc_lo
	v_and_b32_e32 v1, 0xffff0000, v2
	v_and_b32_e32 v2, 0xffff0000, v4
	v_add_f32_e32 v1, v2, v1
	v_add_f32_e32 v0, v0, v1
	;; [unrolled: 1-line block ×3, first 2 shown]
	buffer_load_dword v0, off, s[0:3], s32 offset:192 ; 4-byte Folded Reload
	s_waitcnt vmcnt(0)
	v_cmp_ge_i32_e32 vcc_lo, v68, v0
	s_or_b32 s9, vcc_lo, s9
	s_andn2_b32 exec_lo, exec_lo, s9
	s_cbranch_execz .LBB340_1592
.LBB340_800:                            ; =>This Inner Loop Header: Depth=1
	flat_load_dword v0, v[15:16]
	s_clause 0x2
	buffer_load_dword v1, off, s[0:3], s32 offset:236
	buffer_load_dword v2, off, s[0:3], s32 offset:240
	;; [unrolled: 1-line block ×3, first 2 shown]
	s_waitcnt vmcnt(0) lgkmcnt(0)
	v_mad_i64_i32 v[19:20], null, v0, v1, v[2:3]
	v_mov_b32_e32 v0, 0
	flat_load_dwordx2 v[21:22], v[19:20]
	ds_read2_b64 v[6:9], v54 offset1:1
	ds_read2_b64 v[2:5], v54 offset0:2 offset1:3
	s_waitcnt vmcnt(0) lgkmcnt(2)
	v_cmp_ne_u16_sdwa s15, v21, v12 src0_sel:BYTE_0 src1_sel:DWORD
	s_and_saveexec_b32 s4, s15
	s_cbranch_execz .LBB340_808
; %bb.801:                              ;   in Loop: Header=BB340_800 Depth=1
	v_cmp_ne_u16_sdwa s18, v21, v55 src0_sel:BYTE_0 src1_sel:DWORD
	v_bfrev_b32_e32 v0, 1
	s_and_saveexec_b32 s15, s18
	s_cbranch_execz .LBB340_807
; %bb.802:                              ;   in Loop: Header=BB340_800 Depth=1
	v_and_b32_e32 v1, 0x7f, v21
	v_mov_b32_e32 v0, 0x7f800001
	s_mov_b32 s18, exec_lo
	v_cmpx_ne_u32_e32 0x7f, v1
	s_cbranch_execz .LBB340_806
; %bb.803:                              ;   in Loop: Header=BB340_800 Depth=1
	v_lshrrev_b32_e32 v0, 3, v1
	v_mov_b32_e32 v10, v21
	s_mov_b32 s19, exec_lo
	v_mov_b32_e32 v11, v22
	v_cmpx_gt_u32_e32 8, v1
; %bb.804:                              ;   in Loop: Header=BB340_800 Depth=1
	v_and_b32_e32 v0, 7, v21
	v_ffbh_u32_e32 v0, v0
	v_min_u32_e32 v0, 32, v0
	v_subrev_nc_u32_e32 v1, 28, v0
	v_sub_nc_u32_e32 v0, 29, v0
	v_lshlrev_b64 v[10:11], v1, v[21:22]
; %bb.805:                              ;   in Loop: Header=BB340_800 Depth=1
	s_or_b32 exec_lo, exec_lo, s19
	v_lshlrev_b32_e32 v1, 20, v10
	v_lshlrev_b32_e32 v10, 24, v21
	v_lshl_add_u32 v0, v0, 23, 0x3c000000
	v_and_b32_e32 v1, 0x700000, v1
	v_and_b32_e32 v10, 0x80000000, v10
	v_or3_b32 v0, v1, v10, v0
.LBB340_806:                            ;   in Loop: Header=BB340_800 Depth=1
	s_or_b32 exec_lo, exec_lo, s18
.LBB340_807:                            ;   in Loop: Header=BB340_800 Depth=1
	s_or_b32 exec_lo, exec_lo, s15
.LBB340_808:                            ;   in Loop: Header=BB340_800 Depth=1
	s_or_b32 exec_lo, exec_lo, s4
	v_cmp_ne_u16_sdwa s15, v21, v12 src0_sel:BYTE_1 src1_sel:DWORD
	v_mov_b32_e32 v10, 0
	v_mov_b32_e32 v1, 0
	s_and_saveexec_b32 s4, s15
	s_cbranch_execz .LBB340_816
; %bb.809:                              ;   in Loop: Header=BB340_800 Depth=1
	v_cmp_ne_u16_sdwa s18, v21, v55 src0_sel:BYTE_1 src1_sel:DWORD
	v_bfrev_b32_e32 v1, 1
	s_and_saveexec_b32 s15, s18
	s_cbranch_execz .LBB340_815
; %bb.810:                              ;   in Loop: Header=BB340_800 Depth=1
	v_mov_b32_e32 v1, 0xffff
	s_mov_b32 s18, exec_lo
	v_and_b32_sdwa v11, v1, v21 dst_sel:DWORD dst_unused:UNUSED_PAD src0_sel:DWORD src1_sel:BYTE_1
	v_mov_b32_e32 v1, 0x7f800001
	v_and_b32_e32 v13, 0x7f, v11
	v_cmpx_ne_u32_e32 0x7f, v13
	s_cbranch_execz .LBB340_814
; %bb.811:                              ;   in Loop: Header=BB340_800 Depth=1
	v_and_b32_e32 v11, 7, v11
	v_lshrrev_b32_e32 v1, 3, v13
	s_mov_b32 s19, exec_lo
	v_cmpx_gt_u32_e32 8, v13
; %bb.812:                              ;   in Loop: Header=BB340_800 Depth=1
	v_ffbh_u32_e32 v1, v11
	v_min_u32_e32 v1, 32, v1
	v_subrev_nc_u32_e32 v13, 28, v1
	v_sub_nc_u32_e32 v1, 29, v1
	v_lshlrev_b64 v[13:14], v13, v[11:12]
	v_and_b32_e32 v11, 7, v13
; %bb.813:                              ;   in Loop: Header=BB340_800 Depth=1
	s_or_b32 exec_lo, exec_lo, s19
	v_lshlrev_b32_e32 v13, 16, v21
	v_lshlrev_b32_e32 v11, 20, v11
	v_lshl_add_u32 v1, v1, 23, 0x3c000000
	v_and_b32_e32 v13, 0x80000000, v13
	v_or3_b32 v1, v11, v13, v1
.LBB340_814:                            ;   in Loop: Header=BB340_800 Depth=1
	s_or_b32 exec_lo, exec_lo, s18
.LBB340_815:                            ;   in Loop: Header=BB340_800 Depth=1
	s_or_b32 exec_lo, exec_lo, s15
.LBB340_816:                            ;   in Loop: Header=BB340_800 Depth=1
	s_or_b32 exec_lo, exec_lo, s4
	v_and_b32_sdwa v11, v21, v65 dst_sel:DWORD dst_unused:UNUSED_PAD src0_sel:WORD_1 src1_sel:DWORD
	s_mov_b32 s4, exec_lo
	v_cmpx_ne_u16_e32 0, v11
	s_cbranch_execz .LBB340_824
; %bb.817:                              ;   in Loop: Header=BB340_800 Depth=1
	v_bfrev_b32_e32 v10, 1
	s_mov_b32 s15, exec_lo
	v_cmpx_ne_u16_e32 0x80, v11
	s_cbranch_execz .LBB340_823
; %bb.818:                              ;   in Loop: Header=BB340_800 Depth=1
	v_bfe_u32 v13, v21, 16, 7
	v_mov_b32_e32 v10, 0x7f800001
	s_mov_b32 s18, exec_lo
	v_cmpx_ne_u32_e32 0x7f, v13
	s_cbranch_execz .LBB340_822
; %bb.819:                              ;   in Loop: Header=BB340_800 Depth=1
	v_mov_b32_e32 v10, 7
	s_mov_b32 s19, exec_lo
	v_and_b32_sdwa v11, v21, v10 dst_sel:DWORD dst_unused:UNUSED_PAD src0_sel:WORD_1 src1_sel:DWORD
	v_lshrrev_b32_e32 v10, 3, v13
	v_cmpx_gt_u32_e32 8, v13
; %bb.820:                              ;   in Loop: Header=BB340_800 Depth=1
	v_ffbh_u32_e32 v10, v11
	v_min_u32_e32 v10, 32, v10
	v_subrev_nc_u32_e32 v13, 28, v10
	v_sub_nc_u32_e32 v10, 29, v10
	v_lshlrev_b64 v[13:14], v13, v[11:12]
	v_and_b32_e32 v11, 7, v13
; %bb.821:                              ;   in Loop: Header=BB340_800 Depth=1
	s_or_b32 exec_lo, exec_lo, s19
	v_mov_b32_e32 v13, 24
	v_lshlrev_b32_e32 v11, 20, v11
	v_lshl_add_u32 v10, v10, 23, 0x3c000000
	v_lshlrev_b32_sdwa v13, v13, v21 dst_sel:DWORD dst_unused:UNUSED_PAD src0_sel:DWORD src1_sel:WORD_1
	v_and_b32_e32 v13, 0x80000000, v13
	v_or3_b32 v10, v11, v13, v10
.LBB340_822:                            ;   in Loop: Header=BB340_800 Depth=1
	s_or_b32 exec_lo, exec_lo, s18
.LBB340_823:                            ;   in Loop: Header=BB340_800 Depth=1
	s_or_b32 exec_lo, exec_lo, s15
.LBB340_824:                            ;   in Loop: Header=BB340_800 Depth=1
	s_or_b32 exec_lo, exec_lo, s4
	v_mov_b32_e32 v14, 0
	v_mov_b32_e32 v13, 0
	s_mov_b32 s4, exec_lo
	v_cmpx_lt_u32_e32 0xffffff, v21
	s_cbranch_execz .LBB340_832
; %bb.825:                              ;   in Loop: Header=BB340_800 Depth=1
	v_cmp_ne_u32_sdwa s18, v21, v55 src0_sel:BYTE_3 src1_sel:DWORD
	v_bfrev_b32_e32 v13, 1
	s_and_saveexec_b32 s15, s18
	s_cbranch_execz .LBB340_831
; %bb.826:                              ;   in Loop: Header=BB340_800 Depth=1
	v_bfe_u32 v17, v21, 24, 7
	v_mov_b32_e32 v13, 0x7f800001
	s_mov_b32 s18, exec_lo
	v_cmpx_ne_u32_e32 0x7f, v17
	s_cbranch_execz .LBB340_830
; %bb.827:                              ;   in Loop: Header=BB340_800 Depth=1
	v_mov_b32_e32 v11, 7
	v_lshrrev_b32_e32 v13, 3, v17
	s_mov_b32 s19, exec_lo
	v_and_b32_sdwa v11, v21, v11 dst_sel:DWORD dst_unused:UNUSED_PAD src0_sel:BYTE_3 src1_sel:DWORD
	v_cmpx_gt_u32_e32 8, v17
; %bb.828:                              ;   in Loop: Header=BB340_800 Depth=1
	v_ffbh_u32_e32 v13, v11
	v_min_u32_e32 v13, 32, v13
	v_subrev_nc_u32_e32 v17, 28, v13
	v_sub_nc_u32_e32 v13, 29, v13
	v_lshlrev_b64 v[17:18], v17, v[11:12]
	v_and_b32_e32 v11, 7, v17
; %bb.829:                              ;   in Loop: Header=BB340_800 Depth=1
	s_or_b32 exec_lo, exec_lo, s19
	v_mov_b32_e32 v17, 24
	v_lshlrev_b32_e32 v11, 20, v11
	v_lshl_add_u32 v13, v13, 23, 0x3c000000
	v_lshlrev_b32_sdwa v17, v17, v21 dst_sel:DWORD dst_unused:UNUSED_PAD src0_sel:DWORD src1_sel:BYTE_3
	v_and_b32_e32 v17, 0x80000000, v17
	v_or3_b32 v13, v11, v17, v13
.LBB340_830:                            ;   in Loop: Header=BB340_800 Depth=1
	s_or_b32 exec_lo, exec_lo, s18
.LBB340_831:                            ;   in Loop: Header=BB340_800 Depth=1
	s_or_b32 exec_lo, exec_lo, s15
.LBB340_832:                            ;   in Loop: Header=BB340_800 Depth=1
	s_or_b32 exec_lo, exec_lo, s4
	v_mov_b32_e32 v11, v22
	v_cmp_ne_u16_sdwa s15, v22, v12 src0_sel:BYTE_0 src1_sel:DWORD
	s_and_saveexec_b32 s4, s15
	s_cbranch_execz .LBB340_840
; %bb.833:                              ;   in Loop: Header=BB340_800 Depth=1
	v_cmp_ne_u16_sdwa s18, v22, v55 src0_sel:BYTE_0 src1_sel:DWORD
	v_bfrev_b32_e32 v14, 1
	s_and_saveexec_b32 s15, s18
	s_cbranch_execz .LBB340_839
; %bb.834:                              ;   in Loop: Header=BB340_800 Depth=1
	v_and_b32_e32 v17, 0x7f, v22
	v_mov_b32_e32 v14, 0x7f800001
	s_mov_b32 s18, exec_lo
	v_cmpx_ne_u32_e32 0x7f, v17
	s_cbranch_execz .LBB340_838
; %bb.835:                              ;   in Loop: Header=BB340_800 Depth=1
	v_mov_b32_e32 v24, v12
	v_lshrrev_b32_e32 v14, 3, v17
	v_mov_b32_e32 v23, v11
	s_mov_b32 s19, exec_lo
	v_cmpx_gt_u32_e32 8, v17
; %bb.836:                              ;   in Loop: Header=BB340_800 Depth=1
	v_and_b32_e32 v14, 7, v22
	v_ffbh_u32_e32 v14, v14
	v_min_u32_e32 v14, 32, v14
	v_subrev_nc_u32_e32 v17, 28, v14
	v_sub_nc_u32_e32 v14, 29, v14
	v_lshlrev_b64 v[23:24], v17, v[11:12]
; %bb.837:                              ;   in Loop: Header=BB340_800 Depth=1
	s_or_b32 exec_lo, exec_lo, s19
	v_lshlrev_b32_e32 v17, 20, v23
	v_lshlrev_b32_e32 v18, 24, v11
	v_lshl_add_u32 v14, v14, 23, 0x3c000000
	v_and_b32_e32 v17, 0x700000, v17
	v_and_b32_e32 v18, 0x80000000, v18
	v_or3_b32 v14, v17, v18, v14
.LBB340_838:                            ;   in Loop: Header=BB340_800 Depth=1
	s_or_b32 exec_lo, exec_lo, s18
.LBB340_839:                            ;   in Loop: Header=BB340_800 Depth=1
	s_or_b32 exec_lo, exec_lo, s15
.LBB340_840:                            ;   in Loop: Header=BB340_800 Depth=1
	s_or_b32 exec_lo, exec_lo, s4
	v_cmp_ne_u16_sdwa s15, v11, v12 src0_sel:BYTE_1 src1_sel:DWORD
	v_mov_b32_e32 v17, 0
	v_mov_b32_e32 v18, 0
	s_and_saveexec_b32 s4, s15
	s_cbranch_execz .LBB340_848
; %bb.841:                              ;   in Loop: Header=BB340_800 Depth=1
	v_cmp_ne_u16_sdwa s18, v11, v55 src0_sel:BYTE_1 src1_sel:DWORD
	v_bfrev_b32_e32 v18, 1
	s_and_saveexec_b32 s15, s18
	s_cbranch_execz .LBB340_847
; %bb.842:                              ;   in Loop: Header=BB340_800 Depth=1
	v_mov_b32_e32 v18, 0xffff
	s_mov_b32 s18, exec_lo
	v_and_b32_sdwa v23, v18, v11 dst_sel:DWORD dst_unused:UNUSED_PAD src0_sel:DWORD src1_sel:BYTE_1
	v_mov_b32_e32 v18, 0x7f800001
	v_and_b32_e32 v25, 0x7f, v23
	v_cmpx_ne_u32_e32 0x7f, v25
	s_cbranch_execz .LBB340_846
; %bb.843:                              ;   in Loop: Header=BB340_800 Depth=1
	v_and_b32_e32 v23, 7, v23
	v_mov_b32_e32 v24, v12
	v_lshrrev_b32_e32 v18, 3, v25
	s_mov_b32 s19, exec_lo
	v_cmpx_gt_u32_e32 8, v25
; %bb.844:                              ;   in Loop: Header=BB340_800 Depth=1
	v_ffbh_u32_e32 v18, v23
	v_min_u32_e32 v18, 32, v18
	v_subrev_nc_u32_e32 v25, 28, v18
	v_sub_nc_u32_e32 v18, 29, v18
	v_lshlrev_b64 v[23:24], v25, v[23:24]
	v_and_b32_e32 v23, 7, v23
; %bb.845:                              ;   in Loop: Header=BB340_800 Depth=1
	s_or_b32 exec_lo, exec_lo, s19
	v_lshlrev_b32_e32 v11, 16, v11
	v_lshlrev_b32_e32 v23, 20, v23
	v_lshl_add_u32 v18, v18, 23, 0x3c000000
	v_and_b32_e32 v11, 0x80000000, v11
	v_or3_b32 v18, v23, v11, v18
.LBB340_846:                            ;   in Loop: Header=BB340_800 Depth=1
	s_or_b32 exec_lo, exec_lo, s18
.LBB340_847:                            ;   in Loop: Header=BB340_800 Depth=1
	s_or_b32 exec_lo, exec_lo, s15
.LBB340_848:                            ;   in Loop: Header=BB340_800 Depth=1
	s_or_b32 exec_lo, exec_lo, s4
	v_and_b32_sdwa v11, v22, v65 dst_sel:DWORD dst_unused:UNUSED_PAD src0_sel:WORD_1 src1_sel:DWORD
	s_mov_b32 s4, exec_lo
	v_cmpx_ne_u16_e32 0, v11
	s_cbranch_execz .LBB340_856
; %bb.849:                              ;   in Loop: Header=BB340_800 Depth=1
	v_bfrev_b32_e32 v17, 1
	s_mov_b32 s15, exec_lo
	v_cmpx_ne_u16_e32 0x80, v11
	s_cbranch_execz .LBB340_855
; %bb.850:                              ;   in Loop: Header=BB340_800 Depth=1
	v_bfe_u32 v23, v22, 16, 7
	v_mov_b32_e32 v17, 0x7f800001
	s_mov_b32 s18, exec_lo
	v_cmpx_ne_u32_e32 0x7f, v23
	s_cbranch_execz .LBB340_854
; %bb.851:                              ;   in Loop: Header=BB340_800 Depth=1
	v_mov_b32_e32 v11, 7
	v_lshrrev_b32_e32 v17, 3, v23
	s_mov_b32 s19, exec_lo
	v_and_b32_sdwa v11, v22, v11 dst_sel:DWORD dst_unused:UNUSED_PAD src0_sel:WORD_1 src1_sel:DWORD
	v_cmpx_gt_u32_e32 8, v23
; %bb.852:                              ;   in Loop: Header=BB340_800 Depth=1
	v_ffbh_u32_e32 v17, v11
	v_min_u32_e32 v17, 32, v17
	v_subrev_nc_u32_e32 v23, 28, v17
	v_sub_nc_u32_e32 v17, 29, v17
	v_lshlrev_b64 v[23:24], v23, v[11:12]
	v_and_b32_e32 v11, 7, v23
; %bb.853:                              ;   in Loop: Header=BB340_800 Depth=1
	s_or_b32 exec_lo, exec_lo, s19
	v_mov_b32_e32 v23, 24
	v_lshlrev_b32_e32 v11, 20, v11
	v_lshl_add_u32 v17, v17, 23, 0x3c000000
	v_lshlrev_b32_sdwa v23, v23, v22 dst_sel:DWORD dst_unused:UNUSED_PAD src0_sel:DWORD src1_sel:WORD_1
	v_and_b32_e32 v23, 0x80000000, v23
	v_or3_b32 v17, v11, v23, v17
.LBB340_854:                            ;   in Loop: Header=BB340_800 Depth=1
	s_or_b32 exec_lo, exec_lo, s18
.LBB340_855:                            ;   in Loop: Header=BB340_800 Depth=1
	s_or_b32 exec_lo, exec_lo, s15
.LBB340_856:                            ;   in Loop: Header=BB340_800 Depth=1
	s_or_b32 exec_lo, exec_lo, s4
	v_mov_b32_e32 v11, 0
	s_mov_b32 s4, exec_lo
	v_cmpx_lt_u64_e64 s[6:7], v[21:22]
	s_cbranch_execz .LBB340_864
; %bb.857:                              ;   in Loop: Header=BB340_800 Depth=1
	v_cmp_ne_u32_sdwa s18, v22, v55 src0_sel:BYTE_3 src1_sel:DWORD
	v_bfrev_b32_e32 v11, 1
	s_and_saveexec_b32 s15, s18
	s_cbranch_execz .LBB340_863
; %bb.858:                              ;   in Loop: Header=BB340_800 Depth=1
	v_bfe_u32 v23, v22, 24, 7
	v_mov_b32_e32 v11, 0x7f800001
	s_mov_b32 s18, exec_lo
	v_cmpx_ne_u32_e32 0x7f, v23
	s_cbranch_execz .LBB340_862
; %bb.859:                              ;   in Loop: Header=BB340_800 Depth=1
	v_mov_b32_e32 v11, 7
	v_lshrrev_b32_e32 v21, 3, v23
	s_mov_b32 s19, exec_lo
	v_and_b32_sdwa v11, v22, v11 dst_sel:DWORD dst_unused:UNUSED_PAD src0_sel:BYTE_3 src1_sel:DWORD
	v_cmpx_gt_u32_e32 8, v23
; %bb.860:                              ;   in Loop: Header=BB340_800 Depth=1
	v_ffbh_u32_e32 v21, v11
	v_min_u32_e32 v21, 32, v21
	v_subrev_nc_u32_e32 v23, 28, v21
	v_sub_nc_u32_e32 v21, 29, v21
	v_lshlrev_b64 v[23:24], v23, v[11:12]
	v_and_b32_e32 v11, 7, v23
; %bb.861:                              ;   in Loop: Header=BB340_800 Depth=1
	s_or_b32 exec_lo, exec_lo, s19
	v_mov_b32_e32 v23, 24
	v_lshlrev_b32_e32 v11, 20, v11
	v_lshl_add_u32 v21, v21, 23, 0x3c000000
	v_lshlrev_b32_sdwa v22, v23, v22 dst_sel:DWORD dst_unused:UNUSED_PAD src0_sel:DWORD src1_sel:BYTE_3
	v_and_b32_e32 v22, 0x80000000, v22
	v_or3_b32 v11, v11, v22, v21
.LBB340_862:                            ;   in Loop: Header=BB340_800 Depth=1
	s_or_b32 exec_lo, exec_lo, s18
.LBB340_863:                            ;   in Loop: Header=BB340_800 Depth=1
	s_or_b32 exec_lo, exec_lo, s15
.LBB340_864:                            ;   in Loop: Header=BB340_800 Depth=1
	s_or_b32 exec_lo, exec_lo, s4
	buffer_load_dword v21, off, s[0:3], s32 offset:192 ; 4-byte Folded Reload
	v_mul_f32_e32 v18, v52, v18
	v_mul_f32_e32 v14, v52, v14
	v_mul_f32_e32 v13, v52, v13
	v_mul_f32_e32 v10, v52, v10
	v_mul_f32_e32 v1, v52, v1
	v_or_b32_e32 v22, 0x400000, v18
	v_bfe_u32 v23, v14, 16, 1
	v_cmp_u_f32_e64 s4, v18, v18
	v_or_b32_e32 v24, 0x400000, v14
	v_bfe_u32 v25, v13, 16, 1
	v_or_b32_e32 v28, 0x400000, v13
	v_add3_u32 v23, v23, v14, 0x7fff
	v_mul_f32_e32 v0, v52, v0
	v_mul_f32_e32 v11, v52, v11
	v_add_nc_u32_e32 v117, -7, v53
	v_add_nc_u32_e32 v43, -6, v53
	;; [unrolled: 1-line block ×7, first 2 shown]
	s_waitcnt vmcnt(0)
	v_add_nc_u32_e32 v21, -1, v21
	v_cmp_eq_u32_e32 vcc_lo, v21, v68
	v_bfe_u32 v21, v18, 16, 1
	v_add3_u32 v21, v21, v18, 0x7fff
	v_cndmask_b32_e64 v18, v21, v22, s4
	v_cmp_u_f32_e64 s4, v14, v14
	v_add3_u32 v22, v25, v13, 0x7fff
	v_bfe_u32 v21, v10, 16, 1
	v_lshrrev_b32_e32 v18, 16, v18
	v_cndmask_b32_e64 v14, v23, v24, s4
	v_cmp_u_f32_e64 s4, v13, v13
	v_or_b32_e32 v23, 0x400000, v11
	buffer_store_dword v18, off, s[0:3], s32 offset:208 ; 4-byte Folded Spill
	v_add3_u32 v18, v21, v10, 0x7fff
	v_cndmask_b32_e64 v13, v22, v28, s4
	v_or_b32_e32 v21, 0x400000, v10
	v_lshrrev_b32_e32 v14, 16, v14
	v_cmp_u_f32_e64 s4, v10, v10
	v_lshrrev_b32_e32 v13, 16, v13
	buffer_store_dword v14, off, s[0:3], s32 offset:200 ; 4-byte Folded Spill
	v_cndmask_b32_e64 v10, v18, v21, s4
	v_mul_f32_e32 v14, v52, v17
	buffer_store_dword v13, off, s[0:3], s32 offset:216 ; 4-byte Folded Spill
	v_bfe_u32 v13, v1, 16, 1
	v_or_b32_e32 v17, 0x400000, v1
	v_bfe_u32 v18, v0, 16, 1
	v_cmp_u_f32_e64 s4, v1, v1
	v_bfe_u32 v21, v14, 16, 1
	v_add3_u32 v13, v13, v1, 0x7fff
	v_or_b32_e32 v22, 0x400000, v14
	v_lshrrev_b32_e32 v10, 16, v10
	v_add3_u32 v21, v21, v14, 0x7fff
	v_cndmask_b32_e64 v1, v13, v17, s4
	v_add3_u32 v17, v18, v0, 0x7fff
	v_or_b32_e32 v18, 0x400000, v0
	v_cmp_u_f32_e64 s4, v0, v0
	v_bfe_u32 v13, v11, 16, 1
	v_lshrrev_b32_e32 v1, 16, v1
	buffer_store_dword v10, off, s[0:3], s32 offset:212 ; 4-byte Folded Spill
	v_cndmask_b32_e64 v0, v17, v18, s4
	v_cmp_u_f32_e64 s4, v14, v14
	v_add3_u32 v13, v13, v11, 0x7fff
	buffer_store_dword v1, off, s[0:3], s32 offset:224 ; 4-byte Folded Spill
	v_lshrrev_b32_e32 v0, 16, v0
	v_cndmask_b32_e64 v14, v21, v22, s4
	v_cmp_u_f32_e64 s4, v11, v11
	buffer_store_dword v0, off, s[0:3], s32 offset:220 ; 4-byte Folded Spill
	v_lshrrev_b32_e32 v0, 16, v14
	v_cndmask_b32_e64 v11, v13, v23, s4
	buffer_store_dword v0, off, s[0:3], s32 offset:196 ; 4-byte Folded Spill
	v_lshrrev_b32_e32 v0, 16, v11
	buffer_store_dword v0, off, s[0:3], s32 offset:204 ; 4-byte Folded Spill
	s_and_saveexec_b32 s15, vcc_lo
	s_cbranch_execz .LBB340_866
; %bb.865:                              ;   in Loop: Header=BB340_800 Depth=1
	buffer_load_dword v0, off, s[0:3], s32 offset:220 ; 4-byte Folded Reload
	v_cmp_lt_i32_e64 s4, v117, v32
	s_waitcnt vmcnt(0)
	v_cndmask_b32_e64 v0, 0, v0, s4
	v_cmp_lt_i32_e64 s4, v43, v32
	buffer_store_dword v0, off, s[0:3], s32 offset:220 ; 4-byte Folded Spill
	buffer_load_dword v0, off, s[0:3], s32 offset:224 ; 4-byte Folded Reload
	s_waitcnt vmcnt(0)
	v_cndmask_b32_e64 v0, 0, v0, s4
	v_cmp_lt_i32_e64 s4, v42, v32
	buffer_store_dword v0, off, s[0:3], s32 offset:224 ; 4-byte Folded Spill
	buffer_load_dword v0, off, s[0:3], s32 offset:212 ; 4-byte Folded Reload
	;; [unrolled: 5-line block ×7, first 2 shown]
	s_waitcnt vmcnt(0)
	v_cndmask_b32_e64 v0, 0, v0, s4
	buffer_store_dword v0, off, s[0:3], s32 offset:204 ; 4-byte Folded Spill
.LBB340_866:                            ;   in Loop: Header=BB340_800 Depth=1
	s_or_b32 exec_lo, exec_lo, s15
	flat_load_dwordx2 v[21:22], v[19:20] offset:256
	v_mov_b32_e32 v1, 0
	v_mov_b32_e32 v0, 0
	s_waitcnt vmcnt(0) lgkmcnt(0)
	v_cmp_ne_u16_sdwa s4, v21, v12 src0_sel:BYTE_0 src1_sel:DWORD
	s_and_saveexec_b32 s15, s4
	s_cbranch_execz .LBB340_874
; %bb.867:                              ;   in Loop: Header=BB340_800 Depth=1
	v_cmp_ne_u16_sdwa s4, v21, v55 src0_sel:BYTE_0 src1_sel:DWORD
	v_bfrev_b32_e32 v0, 1
	s_and_saveexec_b32 s18, s4
	s_cbranch_execz .LBB340_873
; %bb.868:                              ;   in Loop: Header=BB340_800 Depth=1
	v_and_b32_e32 v10, 0x7f, v21
	v_mov_b32_e32 v0, 0x7f800001
	s_mov_b32 s19, exec_lo
	v_cmpx_ne_u32_e32 0x7f, v10
	s_cbranch_execz .LBB340_872
; %bb.869:                              ;   in Loop: Header=BB340_800 Depth=1
	v_lshrrev_b32_e32 v0, 3, v10
	v_cmp_gt_u32_e64 s4, 8, v10
	v_mov_b32_e32 v10, v21
	v_mov_b32_e32 v11, v22
	s_and_saveexec_b32 s20, s4
; %bb.870:                              ;   in Loop: Header=BB340_800 Depth=1
	v_and_b32_e32 v0, 7, v21
	v_ffbh_u32_e32 v0, v0
	v_min_u32_e32 v0, 32, v0
	v_subrev_nc_u32_e32 v10, 28, v0
	v_sub_nc_u32_e32 v0, 29, v0
	v_lshlrev_b64 v[10:11], v10, v[21:22]
; %bb.871:                              ;   in Loop: Header=BB340_800 Depth=1
	s_or_b32 exec_lo, exec_lo, s20
	v_lshlrev_b32_e32 v10, 20, v10
	v_lshlrev_b32_e32 v11, 24, v21
	v_lshl_add_u32 v0, v0, 23, 0x3c000000
	v_and_b32_e32 v10, 0x700000, v10
	v_and_b32_e32 v11, 0x80000000, v11
	v_or3_b32 v0, v10, v11, v0
.LBB340_872:                            ;   in Loop: Header=BB340_800 Depth=1
	s_or_b32 exec_lo, exec_lo, s19
.LBB340_873:                            ;   in Loop: Header=BB340_800 Depth=1
	s_or_b32 exec_lo, exec_lo, s18
.LBB340_874:                            ;   in Loop: Header=BB340_800 Depth=1
	s_or_b32 exec_lo, exec_lo, s15
	v_cmp_ne_u16_sdwa s4, v21, v12 src0_sel:BYTE_1 src1_sel:DWORD
	s_and_saveexec_b32 s15, s4
	s_cbranch_execz .LBB340_882
; %bb.875:                              ;   in Loop: Header=BB340_800 Depth=1
	v_cmp_ne_u16_sdwa s4, v21, v55 src0_sel:BYTE_1 src1_sel:DWORD
	v_bfrev_b32_e32 v1, 1
	s_and_saveexec_b32 s18, s4
	s_cbranch_execz .LBB340_881
; %bb.876:                              ;   in Loop: Header=BB340_800 Depth=1
	v_mov_b32_e32 v1, 0xffff
	s_mov_b32 s19, exec_lo
	v_and_b32_sdwa v11, v1, v21 dst_sel:DWORD dst_unused:UNUSED_PAD src0_sel:DWORD src1_sel:BYTE_1
	v_mov_b32_e32 v1, 0x7f800001
	v_and_b32_e32 v10, 0x7f, v11
	v_cmpx_ne_u32_e32 0x7f, v10
	s_cbranch_execz .LBB340_880
; %bb.877:                              ;   in Loop: Header=BB340_800 Depth=1
	v_and_b32_e32 v11, 7, v11
	v_lshrrev_b32_e32 v1, 3, v10
	s_mov_b32 s20, exec_lo
	v_cmpx_gt_u32_e32 8, v10
; %bb.878:                              ;   in Loop: Header=BB340_800 Depth=1
	v_ffbh_u32_e32 v1, v11
	v_min_u32_e32 v1, 32, v1
	v_subrev_nc_u32_e32 v10, 28, v1
	v_sub_nc_u32_e32 v1, 29, v1
	v_lshlrev_b64 v[10:11], v10, v[11:12]
	v_and_b32_e32 v11, 7, v10
; %bb.879:                              ;   in Loop: Header=BB340_800 Depth=1
	s_or_b32 exec_lo, exec_lo, s20
	v_lshlrev_b32_e32 v10, 16, v21
	v_lshlrev_b32_e32 v11, 20, v11
	v_lshl_add_u32 v1, v1, 23, 0x3c000000
	v_and_b32_e32 v10, 0x80000000, v10
	v_or3_b32 v1, v11, v10, v1
.LBB340_880:                            ;   in Loop: Header=BB340_800 Depth=1
	s_or_b32 exec_lo, exec_lo, s19
.LBB340_881:                            ;   in Loop: Header=BB340_800 Depth=1
	s_or_b32 exec_lo, exec_lo, s18
.LBB340_882:                            ;   in Loop: Header=BB340_800 Depth=1
	s_or_b32 exec_lo, exec_lo, s15
	v_and_b32_sdwa v11, v21, v65 dst_sel:DWORD dst_unused:UNUSED_PAD src0_sel:WORD_1 src1_sel:DWORD
	v_mov_b32_e32 v13, 0
	v_mov_b32_e32 v10, 0
	s_mov_b32 s15, exec_lo
	v_cmpx_ne_u16_e32 0, v11
	s_cbranch_execz .LBB340_890
; %bb.883:                              ;   in Loop: Header=BB340_800 Depth=1
	v_bfrev_b32_e32 v10, 1
	s_mov_b32 s18, exec_lo
	v_cmpx_ne_u16_e32 0x80, v11
	s_cbranch_execz .LBB340_889
; %bb.884:                              ;   in Loop: Header=BB340_800 Depth=1
	v_bfe_u32 v14, v21, 16, 7
	v_mov_b32_e32 v10, 0x7f800001
	s_mov_b32 s19, exec_lo
	v_cmpx_ne_u32_e32 0x7f, v14
	s_cbranch_execz .LBB340_888
; %bb.885:                              ;   in Loop: Header=BB340_800 Depth=1
	v_mov_b32_e32 v10, 7
	s_mov_b32 s20, exec_lo
	v_and_b32_sdwa v11, v21, v10 dst_sel:DWORD dst_unused:UNUSED_PAD src0_sel:WORD_1 src1_sel:DWORD
	v_lshrrev_b32_e32 v10, 3, v14
	v_cmpx_gt_u32_e32 8, v14
; %bb.886:                              ;   in Loop: Header=BB340_800 Depth=1
	v_ffbh_u32_e32 v10, v11
	v_min_u32_e32 v10, 32, v10
	v_subrev_nc_u32_e32 v14, 28, v10
	v_sub_nc_u32_e32 v10, 29, v10
	v_lshlrev_b64 v[17:18], v14, v[11:12]
	v_and_b32_e32 v11, 7, v17
; %bb.887:                              ;   in Loop: Header=BB340_800 Depth=1
	s_or_b32 exec_lo, exec_lo, s20
	v_mov_b32_e32 v14, 24
	v_lshlrev_b32_e32 v11, 20, v11
	v_lshl_add_u32 v10, v10, 23, 0x3c000000
	v_lshlrev_b32_sdwa v14, v14, v21 dst_sel:DWORD dst_unused:UNUSED_PAD src0_sel:DWORD src1_sel:WORD_1
	v_and_b32_e32 v14, 0x80000000, v14
	v_or3_b32 v10, v11, v14, v10
.LBB340_888:                            ;   in Loop: Header=BB340_800 Depth=1
	s_or_b32 exec_lo, exec_lo, s19
.LBB340_889:                            ;   in Loop: Header=BB340_800 Depth=1
	s_or_b32 exec_lo, exec_lo, s18
.LBB340_890:                            ;   in Loop: Header=BB340_800 Depth=1
	s_or_b32 exec_lo, exec_lo, s15
	s_mov_b32 s15, exec_lo
	v_cmpx_lt_u32_e32 0xffffff, v21
	s_cbranch_execz .LBB340_898
; %bb.891:                              ;   in Loop: Header=BB340_800 Depth=1
	v_cmp_ne_u32_sdwa s4, v21, v55 src0_sel:BYTE_3 src1_sel:DWORD
	v_bfrev_b32_e32 v13, 1
	s_and_saveexec_b32 s18, s4
	s_cbranch_execz .LBB340_897
; %bb.892:                              ;   in Loop: Header=BB340_800 Depth=1
	v_bfe_u32 v14, v21, 24, 7
	v_mov_b32_e32 v13, 0x7f800001
	s_mov_b32 s19, exec_lo
	v_cmpx_ne_u32_e32 0x7f, v14
	s_cbranch_execz .LBB340_896
; %bb.893:                              ;   in Loop: Header=BB340_800 Depth=1
	v_mov_b32_e32 v11, 7
	v_lshrrev_b32_e32 v13, 3, v14
	s_mov_b32 s20, exec_lo
	v_and_b32_sdwa v11, v21, v11 dst_sel:DWORD dst_unused:UNUSED_PAD src0_sel:BYTE_3 src1_sel:DWORD
	v_cmpx_gt_u32_e32 8, v14
; %bb.894:                              ;   in Loop: Header=BB340_800 Depth=1
	v_ffbh_u32_e32 v13, v11
	v_min_u32_e32 v13, 32, v13
	v_subrev_nc_u32_e32 v14, 28, v13
	v_sub_nc_u32_e32 v13, 29, v13
	v_lshlrev_b64 v[17:18], v14, v[11:12]
	v_and_b32_e32 v11, 7, v17
; %bb.895:                              ;   in Loop: Header=BB340_800 Depth=1
	s_or_b32 exec_lo, exec_lo, s20
	v_mov_b32_e32 v14, 24
	v_lshlrev_b32_e32 v11, 20, v11
	v_lshl_add_u32 v13, v13, 23, 0x3c000000
	v_lshlrev_b32_sdwa v14, v14, v21 dst_sel:DWORD dst_unused:UNUSED_PAD src0_sel:DWORD src1_sel:BYTE_3
	v_and_b32_e32 v14, 0x80000000, v14
	v_or3_b32 v13, v11, v14, v13
.LBB340_896:                            ;   in Loop: Header=BB340_800 Depth=1
	s_or_b32 exec_lo, exec_lo, s19
.LBB340_897:                            ;   in Loop: Header=BB340_800 Depth=1
	s_or_b32 exec_lo, exec_lo, s18
.LBB340_898:                            ;   in Loop: Header=BB340_800 Depth=1
	s_or_b32 exec_lo, exec_lo, s15
	v_mov_b32_e32 v11, v22
	v_cmp_ne_u16_sdwa s4, v22, v12 src0_sel:BYTE_0 src1_sel:DWORD
	v_mov_b32_e32 v17, 0
	v_mov_b32_e32 v14, 0
	s_and_saveexec_b32 s15, s4
	s_cbranch_execz .LBB340_906
; %bb.899:                              ;   in Loop: Header=BB340_800 Depth=1
	v_cmp_ne_u16_sdwa s4, v22, v55 src0_sel:BYTE_0 src1_sel:DWORD
	v_bfrev_b32_e32 v14, 1
	s_and_saveexec_b32 s18, s4
	s_cbranch_execz .LBB340_905
; %bb.900:                              ;   in Loop: Header=BB340_800 Depth=1
	v_and_b32_e32 v18, 0x7f, v22
	v_mov_b32_e32 v14, 0x7f800001
	s_mov_b32 s19, exec_lo
	v_cmpx_ne_u32_e32 0x7f, v18
	s_cbranch_execz .LBB340_904
; %bb.901:                              ;   in Loop: Header=BB340_800 Depth=1
	v_mov_b32_e32 v24, v12
	v_lshrrev_b32_e32 v14, 3, v18
	v_mov_b32_e32 v23, v11
	s_mov_b32 s20, exec_lo
	v_cmpx_gt_u32_e32 8, v18
; %bb.902:                              ;   in Loop: Header=BB340_800 Depth=1
	v_and_b32_e32 v14, 7, v22
	v_ffbh_u32_e32 v14, v14
	v_min_u32_e32 v14, 32, v14
	v_subrev_nc_u32_e32 v18, 28, v14
	v_sub_nc_u32_e32 v14, 29, v14
	v_lshlrev_b64 v[23:24], v18, v[11:12]
; %bb.903:                              ;   in Loop: Header=BB340_800 Depth=1
	s_or_b32 exec_lo, exec_lo, s20
	v_lshlrev_b32_e32 v18, 20, v23
	v_lshlrev_b32_e32 v23, 24, v11
	v_lshl_add_u32 v14, v14, 23, 0x3c000000
	v_and_b32_e32 v18, 0x700000, v18
	v_and_b32_e32 v23, 0x80000000, v23
	v_or3_b32 v14, v18, v23, v14
.LBB340_904:                            ;   in Loop: Header=BB340_800 Depth=1
	s_or_b32 exec_lo, exec_lo, s19
.LBB340_905:                            ;   in Loop: Header=BB340_800 Depth=1
	s_or_b32 exec_lo, exec_lo, s18
.LBB340_906:                            ;   in Loop: Header=BB340_800 Depth=1
	s_or_b32 exec_lo, exec_lo, s15
	v_cmp_ne_u16_sdwa s4, v11, v12 src0_sel:BYTE_1 src1_sel:DWORD
	s_and_saveexec_b32 s15, s4
	s_cbranch_execz .LBB340_914
; %bb.907:                              ;   in Loop: Header=BB340_800 Depth=1
	v_cmp_ne_u16_sdwa s4, v11, v55 src0_sel:BYTE_1 src1_sel:DWORD
	v_bfrev_b32_e32 v17, 1
	s_and_saveexec_b32 s18, s4
	s_cbranch_execz .LBB340_913
; %bb.908:                              ;   in Loop: Header=BB340_800 Depth=1
	v_mov_b32_e32 v17, 0xffff
	s_mov_b32 s19, exec_lo
	v_and_b32_sdwa v23, v17, v11 dst_sel:DWORD dst_unused:UNUSED_PAD src0_sel:DWORD src1_sel:BYTE_1
	v_mov_b32_e32 v17, 0x7f800001
	v_and_b32_e32 v18, 0x7f, v23
	v_cmpx_ne_u32_e32 0x7f, v18
	s_cbranch_execz .LBB340_912
; %bb.909:                              ;   in Loop: Header=BB340_800 Depth=1
	v_and_b32_e32 v23, 7, v23
	v_mov_b32_e32 v24, v12
	v_lshrrev_b32_e32 v17, 3, v18
	s_mov_b32 s20, exec_lo
	v_cmpx_gt_u32_e32 8, v18
; %bb.910:                              ;   in Loop: Header=BB340_800 Depth=1
	v_ffbh_u32_e32 v17, v23
	v_min_u32_e32 v17, 32, v17
	v_subrev_nc_u32_e32 v18, 28, v17
	v_sub_nc_u32_e32 v17, 29, v17
	v_lshlrev_b64 v[23:24], v18, v[23:24]
	v_and_b32_e32 v23, 7, v23
; %bb.911:                              ;   in Loop: Header=BB340_800 Depth=1
	s_or_b32 exec_lo, exec_lo, s20
	v_lshlrev_b32_e32 v11, 16, v11
	v_lshlrev_b32_e32 v18, 20, v23
	v_lshl_add_u32 v17, v17, 23, 0x3c000000
	v_and_b32_e32 v11, 0x80000000, v11
	v_or3_b32 v17, v18, v11, v17
.LBB340_912:                            ;   in Loop: Header=BB340_800 Depth=1
	s_or_b32 exec_lo, exec_lo, s19
.LBB340_913:                            ;   in Loop: Header=BB340_800 Depth=1
	s_or_b32 exec_lo, exec_lo, s18
.LBB340_914:                            ;   in Loop: Header=BB340_800 Depth=1
	s_or_b32 exec_lo, exec_lo, s15
	v_and_b32_sdwa v11, v22, v65 dst_sel:DWORD dst_unused:UNUSED_PAD src0_sel:WORD_1 src1_sel:DWORD
	v_mov_b32_e32 v18, 0
	v_mov_b32_e32 v23, 0
	s_mov_b32 s15, exec_lo
	v_cmpx_ne_u16_e32 0, v11
	s_cbranch_execz .LBB340_922
; %bb.915:                              ;   in Loop: Header=BB340_800 Depth=1
	v_bfrev_b32_e32 v23, 1
	s_mov_b32 s18, exec_lo
	v_cmpx_ne_u16_e32 0x80, v11
	s_cbranch_execz .LBB340_921
; %bb.916:                              ;   in Loop: Header=BB340_800 Depth=1
	v_bfe_u32 v24, v22, 16, 7
	v_mov_b32_e32 v23, 0x7f800001
	s_mov_b32 s19, exec_lo
	v_cmpx_ne_u32_e32 0x7f, v24
	s_cbranch_execz .LBB340_920
; %bb.917:                              ;   in Loop: Header=BB340_800 Depth=1
	v_mov_b32_e32 v11, 7
	v_lshrrev_b32_e32 v23, 3, v24
	s_mov_b32 s20, exec_lo
	v_and_b32_sdwa v11, v22, v11 dst_sel:DWORD dst_unused:UNUSED_PAD src0_sel:WORD_1 src1_sel:DWORD
	v_cmpx_gt_u32_e32 8, v24
; %bb.918:                              ;   in Loop: Header=BB340_800 Depth=1
	v_ffbh_u32_e32 v23, v11
	v_min_u32_e32 v23, 32, v23
	v_subrev_nc_u32_e32 v24, 28, v23
	v_sub_nc_u32_e32 v23, 29, v23
	v_lshlrev_b64 v[24:25], v24, v[11:12]
	v_and_b32_e32 v11, 7, v24
; %bb.919:                              ;   in Loop: Header=BB340_800 Depth=1
	s_or_b32 exec_lo, exec_lo, s20
	v_mov_b32_e32 v24, 24
	v_lshlrev_b32_e32 v11, 20, v11
	v_lshl_add_u32 v23, v23, 23, 0x3c000000
	v_lshlrev_b32_sdwa v24, v24, v22 dst_sel:DWORD dst_unused:UNUSED_PAD src0_sel:DWORD src1_sel:WORD_1
	v_and_b32_e32 v24, 0x80000000, v24
	v_or3_b32 v23, v11, v24, v23
.LBB340_920:                            ;   in Loop: Header=BB340_800 Depth=1
	s_or_b32 exec_lo, exec_lo, s19
.LBB340_921:                            ;   in Loop: Header=BB340_800 Depth=1
	s_or_b32 exec_lo, exec_lo, s18
.LBB340_922:                            ;   in Loop: Header=BB340_800 Depth=1
	s_or_b32 exec_lo, exec_lo, s15
	s_mov_b32 s15, exec_lo
	v_cmpx_lt_u64_e64 s[6:7], v[21:22]
	s_cbranch_execz .LBB340_930
; %bb.923:                              ;   in Loop: Header=BB340_800 Depth=1
	v_cmp_ne_u32_sdwa s4, v22, v55 src0_sel:BYTE_3 src1_sel:DWORD
	v_bfrev_b32_e32 v18, 1
	s_and_saveexec_b32 s18, s4
	s_cbranch_execz .LBB340_929
; %bb.924:                              ;   in Loop: Header=BB340_800 Depth=1
	v_bfe_u32 v21, v22, 24, 7
	v_mov_b32_e32 v18, 0x7f800001
	s_mov_b32 s19, exec_lo
	v_cmpx_ne_u32_e32 0x7f, v21
	s_cbranch_execz .LBB340_928
; %bb.925:                              ;   in Loop: Header=BB340_800 Depth=1
	v_mov_b32_e32 v11, 7
	v_lshrrev_b32_e32 v18, 3, v21
	s_mov_b32 s20, exec_lo
	v_and_b32_sdwa v11, v22, v11 dst_sel:DWORD dst_unused:UNUSED_PAD src0_sel:BYTE_3 src1_sel:DWORD
	v_cmpx_gt_u32_e32 8, v21
; %bb.926:                              ;   in Loop: Header=BB340_800 Depth=1
	v_ffbh_u32_e32 v18, v11
	v_min_u32_e32 v18, 32, v18
	v_subrev_nc_u32_e32 v21, 28, v18
	v_sub_nc_u32_e32 v18, 29, v18
	v_lshlrev_b64 v[24:25], v21, v[11:12]
	v_and_b32_e32 v11, 7, v24
; %bb.927:                              ;   in Loop: Header=BB340_800 Depth=1
	s_or_b32 exec_lo, exec_lo, s20
	v_mov_b32_e32 v21, 24
	v_lshlrev_b32_e32 v11, 20, v11
	v_lshl_add_u32 v18, v18, 23, 0x3c000000
	v_lshlrev_b32_sdwa v21, v21, v22 dst_sel:DWORD dst_unused:UNUSED_PAD src0_sel:DWORD src1_sel:BYTE_3
	v_and_b32_e32 v21, 0x80000000, v21
	v_or3_b32 v18, v11, v21, v18
.LBB340_928:                            ;   in Loop: Header=BB340_800 Depth=1
	s_or_b32 exec_lo, exec_lo, s19
.LBB340_929:                            ;   in Loop: Header=BB340_800 Depth=1
	s_or_b32 exec_lo, exec_lo, s18
.LBB340_930:                            ;   in Loop: Header=BB340_800 Depth=1
	s_or_b32 exec_lo, exec_lo, s15
	v_mul_f32_e32 v11, v52, v17
	v_mul_f32_e32 v14, v52, v14
	;; [unrolled: 1-line block ×5, first 2 shown]
	v_bfe_u32 v17, v11, 16, 1
	v_or_b32_e32 v21, 0x400000, v11
	v_bfe_u32 v22, v14, 16, 1
	v_cmp_u_f32_e64 s4, v11, v11
	v_or_b32_e32 v24, 0x400000, v14
	v_add3_u32 v17, v17, v11, 0x7fff
	v_bfe_u32 v25, v13, 16, 1
	v_add3_u32 v22, v22, v14, 0x7fff
	v_or_b32_e32 v28, 0x400000, v13
	v_bfe_u32 v29, v10, 16, 1
	v_cndmask_b32_e64 v11, v17, v21, s4
	v_cmp_u_f32_e64 s4, v14, v14
	v_add3_u32 v25, v25, v13, 0x7fff
	v_or_b32_e32 v17, 0x400000, v10
	v_mul_f32_e32 v0, v52, v0
	v_lshrrev_b32_e32 v96, 16, v11
	v_cndmask_b32_e64 v14, v22, v24, s4
	v_cmp_u_f32_e64 s4, v13, v13
	v_add3_u32 v11, v29, v10, 0x7fff
	v_lshrrev_b32_e32 v14, 16, v14
	v_cndmask_b32_e64 v13, v25, v28, s4
	v_cmp_u_f32_e64 s4, v10, v10
	buffer_store_dword v14, off, s[0:3], s32 offset:232 ; 4-byte Folded Spill
	v_lshrrev_b32_e32 v97, 16, v13
	v_bfe_u32 v13, v1, 16, 1
	v_cndmask_b32_e64 v10, v11, v17, s4
	v_mul_f32_e32 v11, v52, v23
	v_or_b32_e32 v14, 0x400000, v1
	v_mul_f32_e32 v17, v52, v18
	v_add3_u32 v13, v13, v1, 0x7fff
	v_bfe_u32 v18, v0, 16, 1
	v_cmp_u_f32_e64 s4, v1, v1
	v_bfe_u32 v21, v11, 16, 1
	v_or_b32_e32 v22, 0x400000, v11
	v_or_b32_e32 v23, 0x400000, v17
	v_lshrrev_b32_e32 v98, 16, v10
	v_cndmask_b32_e64 v1, v13, v14, s4
	v_add3_u32 v14, v18, v0, 0x7fff
	v_or_b32_e32 v18, 0x400000, v0
	v_cmp_u_f32_e64 s4, v0, v0
	v_bfe_u32 v13, v17, 16, 1
	v_add3_u32 v21, v21, v11, 0x7fff
	v_lshrrev_b32_e32 v100, 16, v1
	v_cndmask_b32_e64 v0, v14, v18, s4
	v_cmp_u_f32_e64 s4, v11, v11
	v_add3_u32 v13, v13, v17, 0x7fff
	v_lshrrev_b32_e32 v99, 16, v0
	v_cndmask_b32_e64 v11, v21, v22, s4
	v_cmp_u_f32_e64 s4, v17, v17
	v_lshrrev_b32_e32 v0, 16, v11
	v_cndmask_b32_e64 v13, v13, v23, s4
	buffer_store_dword v0, off, s[0:3], s32 offset:228 ; 4-byte Folded Spill
	v_lshrrev_b32_e32 v87, 16, v13
	s_and_saveexec_b32 s15, vcc_lo
	s_cbranch_execz .LBB340_932
; %bb.931:                              ;   in Loop: Header=BB340_800 Depth=1
	buffer_load_dword v0, off, s[0:3], s32 offset:232 ; 4-byte Folded Reload
	v_cmp_lt_i32_e64 s4, v117, v32
	v_cndmask_b32_e64 v99, 0, v99, s4
	v_cmp_lt_i32_e64 s4, v43, v32
	v_cndmask_b32_e64 v100, 0, v100, s4
	;; [unrolled: 2-line block ×4, first 2 shown]
	v_cmp_lt_i32_e64 s4, v40, v32
	s_waitcnt vmcnt(0)
	v_cndmask_b32_e64 v0, 0, v0, s4
	v_cmp_lt_i32_e64 s4, v119, v32
	buffer_store_dword v0, off, s[0:3], s32 offset:232 ; 4-byte Folded Spill
	buffer_load_dword v0, off, s[0:3], s32 offset:228 ; 4-byte Folded Reload
	v_cndmask_b32_e64 v96, 0, v96, s4
	v_cmp_lt_i32_e64 s4, v118, v32
	s_waitcnt vmcnt(0)
	v_cndmask_b32_e64 v0, 0, v0, s4
	v_cmp_lt_i32_e64 s4, v53, v32
	buffer_store_dword v0, off, s[0:3], s32 offset:228 ; 4-byte Folded Spill
	v_cndmask_b32_e64 v87, 0, v87, s4
.LBB340_932:                            ;   in Loop: Header=BB340_800 Depth=1
	s_or_b32 exec_lo, exec_lo, s15
	flat_load_dwordx2 v[21:22], v[19:20] offset:512
	v_mov_b32_e32 v1, 0
	v_mov_b32_e32 v0, 0
	s_waitcnt vmcnt(0) lgkmcnt(0)
	v_cmp_ne_u16_sdwa s4, v21, v12 src0_sel:BYTE_0 src1_sel:DWORD
	s_and_saveexec_b32 s15, s4
	s_cbranch_execz .LBB340_940
; %bb.933:                              ;   in Loop: Header=BB340_800 Depth=1
	v_cmp_ne_u16_sdwa s4, v21, v55 src0_sel:BYTE_0 src1_sel:DWORD
	v_bfrev_b32_e32 v0, 1
	s_and_saveexec_b32 s18, s4
	s_cbranch_execz .LBB340_939
; %bb.934:                              ;   in Loop: Header=BB340_800 Depth=1
	v_and_b32_e32 v10, 0x7f, v21
	v_mov_b32_e32 v0, 0x7f800001
	s_mov_b32 s19, exec_lo
	v_cmpx_ne_u32_e32 0x7f, v10
	s_cbranch_execz .LBB340_938
; %bb.935:                              ;   in Loop: Header=BB340_800 Depth=1
	v_lshrrev_b32_e32 v0, 3, v10
	v_cmp_gt_u32_e64 s4, 8, v10
	v_mov_b32_e32 v10, v21
	v_mov_b32_e32 v11, v22
	s_and_saveexec_b32 s20, s4
; %bb.936:                              ;   in Loop: Header=BB340_800 Depth=1
	v_and_b32_e32 v0, 7, v21
	v_ffbh_u32_e32 v0, v0
	v_min_u32_e32 v0, 32, v0
	v_subrev_nc_u32_e32 v10, 28, v0
	v_sub_nc_u32_e32 v0, 29, v0
	v_lshlrev_b64 v[10:11], v10, v[21:22]
; %bb.937:                              ;   in Loop: Header=BB340_800 Depth=1
	s_or_b32 exec_lo, exec_lo, s20
	v_lshlrev_b32_e32 v10, 20, v10
	v_lshlrev_b32_e32 v11, 24, v21
	v_lshl_add_u32 v0, v0, 23, 0x3c000000
	v_and_b32_e32 v10, 0x700000, v10
	v_and_b32_e32 v11, 0x80000000, v11
	v_or3_b32 v0, v10, v11, v0
.LBB340_938:                            ;   in Loop: Header=BB340_800 Depth=1
	s_or_b32 exec_lo, exec_lo, s19
.LBB340_939:                            ;   in Loop: Header=BB340_800 Depth=1
	s_or_b32 exec_lo, exec_lo, s18
.LBB340_940:                            ;   in Loop: Header=BB340_800 Depth=1
	s_or_b32 exec_lo, exec_lo, s15
	v_cmp_ne_u16_sdwa s4, v21, v12 src0_sel:BYTE_1 src1_sel:DWORD
	s_and_saveexec_b32 s15, s4
	s_cbranch_execz .LBB340_948
; %bb.941:                              ;   in Loop: Header=BB340_800 Depth=1
	v_cmp_ne_u16_sdwa s4, v21, v55 src0_sel:BYTE_1 src1_sel:DWORD
	v_bfrev_b32_e32 v1, 1
	s_and_saveexec_b32 s18, s4
	s_cbranch_execz .LBB340_947
; %bb.942:                              ;   in Loop: Header=BB340_800 Depth=1
	v_mov_b32_e32 v1, 0xffff
	s_mov_b32 s19, exec_lo
	v_and_b32_sdwa v11, v1, v21 dst_sel:DWORD dst_unused:UNUSED_PAD src0_sel:DWORD src1_sel:BYTE_1
	v_mov_b32_e32 v1, 0x7f800001
	v_and_b32_e32 v10, 0x7f, v11
	v_cmpx_ne_u32_e32 0x7f, v10
	s_cbranch_execz .LBB340_946
; %bb.943:                              ;   in Loop: Header=BB340_800 Depth=1
	v_and_b32_e32 v11, 7, v11
	v_lshrrev_b32_e32 v1, 3, v10
	s_mov_b32 s20, exec_lo
	v_cmpx_gt_u32_e32 8, v10
; %bb.944:                              ;   in Loop: Header=BB340_800 Depth=1
	v_ffbh_u32_e32 v1, v11
	v_min_u32_e32 v1, 32, v1
	v_subrev_nc_u32_e32 v10, 28, v1
	v_sub_nc_u32_e32 v1, 29, v1
	v_lshlrev_b64 v[10:11], v10, v[11:12]
	v_and_b32_e32 v11, 7, v10
; %bb.945:                              ;   in Loop: Header=BB340_800 Depth=1
	s_or_b32 exec_lo, exec_lo, s20
	v_lshlrev_b32_e32 v10, 16, v21
	v_lshlrev_b32_e32 v11, 20, v11
	v_lshl_add_u32 v1, v1, 23, 0x3c000000
	v_and_b32_e32 v10, 0x80000000, v10
	v_or3_b32 v1, v11, v10, v1
.LBB340_946:                            ;   in Loop: Header=BB340_800 Depth=1
	s_or_b32 exec_lo, exec_lo, s19
.LBB340_947:                            ;   in Loop: Header=BB340_800 Depth=1
	s_or_b32 exec_lo, exec_lo, s18
.LBB340_948:                            ;   in Loop: Header=BB340_800 Depth=1
	s_or_b32 exec_lo, exec_lo, s15
	v_and_b32_sdwa v11, v21, v65 dst_sel:DWORD dst_unused:UNUSED_PAD src0_sel:WORD_1 src1_sel:DWORD
	v_mov_b32_e32 v13, 0
	v_mov_b32_e32 v10, 0
	s_mov_b32 s15, exec_lo
	v_cmpx_ne_u16_e32 0, v11
	s_cbranch_execz .LBB340_956
; %bb.949:                              ;   in Loop: Header=BB340_800 Depth=1
	v_bfrev_b32_e32 v10, 1
	s_mov_b32 s18, exec_lo
	v_cmpx_ne_u16_e32 0x80, v11
	s_cbranch_execz .LBB340_955
; %bb.950:                              ;   in Loop: Header=BB340_800 Depth=1
	v_bfe_u32 v14, v21, 16, 7
	v_mov_b32_e32 v10, 0x7f800001
	s_mov_b32 s19, exec_lo
	v_cmpx_ne_u32_e32 0x7f, v14
	s_cbranch_execz .LBB340_954
; %bb.951:                              ;   in Loop: Header=BB340_800 Depth=1
	v_mov_b32_e32 v10, 7
	s_mov_b32 s20, exec_lo
	v_and_b32_sdwa v11, v21, v10 dst_sel:DWORD dst_unused:UNUSED_PAD src0_sel:WORD_1 src1_sel:DWORD
	v_lshrrev_b32_e32 v10, 3, v14
	v_cmpx_gt_u32_e32 8, v14
; %bb.952:                              ;   in Loop: Header=BB340_800 Depth=1
	v_ffbh_u32_e32 v10, v11
	v_min_u32_e32 v10, 32, v10
	v_subrev_nc_u32_e32 v14, 28, v10
	v_sub_nc_u32_e32 v10, 29, v10
	v_lshlrev_b64 v[17:18], v14, v[11:12]
	v_and_b32_e32 v11, 7, v17
; %bb.953:                              ;   in Loop: Header=BB340_800 Depth=1
	s_or_b32 exec_lo, exec_lo, s20
	v_mov_b32_e32 v14, 24
	v_lshlrev_b32_e32 v11, 20, v11
	v_lshl_add_u32 v10, v10, 23, 0x3c000000
	v_lshlrev_b32_sdwa v14, v14, v21 dst_sel:DWORD dst_unused:UNUSED_PAD src0_sel:DWORD src1_sel:WORD_1
	v_and_b32_e32 v14, 0x80000000, v14
	v_or3_b32 v10, v11, v14, v10
.LBB340_954:                            ;   in Loop: Header=BB340_800 Depth=1
	s_or_b32 exec_lo, exec_lo, s19
.LBB340_955:                            ;   in Loop: Header=BB340_800 Depth=1
	s_or_b32 exec_lo, exec_lo, s18
.LBB340_956:                            ;   in Loop: Header=BB340_800 Depth=1
	s_or_b32 exec_lo, exec_lo, s15
	s_mov_b32 s15, exec_lo
	v_cmpx_lt_u32_e32 0xffffff, v21
	s_cbranch_execz .LBB340_964
; %bb.957:                              ;   in Loop: Header=BB340_800 Depth=1
	v_cmp_ne_u32_sdwa s4, v21, v55 src0_sel:BYTE_3 src1_sel:DWORD
	v_bfrev_b32_e32 v13, 1
	s_and_saveexec_b32 s18, s4
	s_cbranch_execz .LBB340_963
; %bb.958:                              ;   in Loop: Header=BB340_800 Depth=1
	v_bfe_u32 v14, v21, 24, 7
	v_mov_b32_e32 v13, 0x7f800001
	s_mov_b32 s19, exec_lo
	v_cmpx_ne_u32_e32 0x7f, v14
	s_cbranch_execz .LBB340_962
; %bb.959:                              ;   in Loop: Header=BB340_800 Depth=1
	v_mov_b32_e32 v11, 7
	v_lshrrev_b32_e32 v13, 3, v14
	s_mov_b32 s20, exec_lo
	v_and_b32_sdwa v11, v21, v11 dst_sel:DWORD dst_unused:UNUSED_PAD src0_sel:BYTE_3 src1_sel:DWORD
	v_cmpx_gt_u32_e32 8, v14
; %bb.960:                              ;   in Loop: Header=BB340_800 Depth=1
	v_ffbh_u32_e32 v13, v11
	v_min_u32_e32 v13, 32, v13
	v_subrev_nc_u32_e32 v14, 28, v13
	v_sub_nc_u32_e32 v13, 29, v13
	v_lshlrev_b64 v[17:18], v14, v[11:12]
	v_and_b32_e32 v11, 7, v17
; %bb.961:                              ;   in Loop: Header=BB340_800 Depth=1
	s_or_b32 exec_lo, exec_lo, s20
	v_mov_b32_e32 v14, 24
	v_lshlrev_b32_e32 v11, 20, v11
	v_lshl_add_u32 v13, v13, 23, 0x3c000000
	v_lshlrev_b32_sdwa v14, v14, v21 dst_sel:DWORD dst_unused:UNUSED_PAD src0_sel:DWORD src1_sel:BYTE_3
	v_and_b32_e32 v14, 0x80000000, v14
	v_or3_b32 v13, v11, v14, v13
.LBB340_962:                            ;   in Loop: Header=BB340_800 Depth=1
	s_or_b32 exec_lo, exec_lo, s19
.LBB340_963:                            ;   in Loop: Header=BB340_800 Depth=1
	s_or_b32 exec_lo, exec_lo, s18
.LBB340_964:                            ;   in Loop: Header=BB340_800 Depth=1
	s_or_b32 exec_lo, exec_lo, s15
	v_mov_b32_e32 v11, v22
	v_cmp_ne_u16_sdwa s4, v22, v12 src0_sel:BYTE_0 src1_sel:DWORD
	v_mov_b32_e32 v17, 0
	v_mov_b32_e32 v14, 0
	s_and_saveexec_b32 s15, s4
	s_cbranch_execz .LBB340_972
; %bb.965:                              ;   in Loop: Header=BB340_800 Depth=1
	v_cmp_ne_u16_sdwa s4, v22, v55 src0_sel:BYTE_0 src1_sel:DWORD
	v_bfrev_b32_e32 v14, 1
	s_and_saveexec_b32 s18, s4
	s_cbranch_execz .LBB340_971
; %bb.966:                              ;   in Loop: Header=BB340_800 Depth=1
	v_and_b32_e32 v18, 0x7f, v22
	v_mov_b32_e32 v14, 0x7f800001
	s_mov_b32 s19, exec_lo
	v_cmpx_ne_u32_e32 0x7f, v18
	s_cbranch_execz .LBB340_970
; %bb.967:                              ;   in Loop: Header=BB340_800 Depth=1
	v_mov_b32_e32 v24, v12
	v_lshrrev_b32_e32 v14, 3, v18
	v_mov_b32_e32 v23, v11
	s_mov_b32 s20, exec_lo
	v_cmpx_gt_u32_e32 8, v18
; %bb.968:                              ;   in Loop: Header=BB340_800 Depth=1
	v_and_b32_e32 v14, 7, v22
	v_ffbh_u32_e32 v14, v14
	v_min_u32_e32 v14, 32, v14
	v_subrev_nc_u32_e32 v18, 28, v14
	v_sub_nc_u32_e32 v14, 29, v14
	v_lshlrev_b64 v[23:24], v18, v[11:12]
; %bb.969:                              ;   in Loop: Header=BB340_800 Depth=1
	s_or_b32 exec_lo, exec_lo, s20
	v_lshlrev_b32_e32 v18, 20, v23
	v_lshlrev_b32_e32 v23, 24, v11
	v_lshl_add_u32 v14, v14, 23, 0x3c000000
	v_and_b32_e32 v18, 0x700000, v18
	v_and_b32_e32 v23, 0x80000000, v23
	v_or3_b32 v14, v18, v23, v14
.LBB340_970:                            ;   in Loop: Header=BB340_800 Depth=1
	s_or_b32 exec_lo, exec_lo, s19
.LBB340_971:                            ;   in Loop: Header=BB340_800 Depth=1
	s_or_b32 exec_lo, exec_lo, s18
.LBB340_972:                            ;   in Loop: Header=BB340_800 Depth=1
	s_or_b32 exec_lo, exec_lo, s15
	v_cmp_ne_u16_sdwa s4, v11, v12 src0_sel:BYTE_1 src1_sel:DWORD
	s_and_saveexec_b32 s15, s4
	s_cbranch_execz .LBB340_980
; %bb.973:                              ;   in Loop: Header=BB340_800 Depth=1
	v_cmp_ne_u16_sdwa s4, v11, v55 src0_sel:BYTE_1 src1_sel:DWORD
	v_bfrev_b32_e32 v17, 1
	s_and_saveexec_b32 s18, s4
	s_cbranch_execz .LBB340_979
; %bb.974:                              ;   in Loop: Header=BB340_800 Depth=1
	v_mov_b32_e32 v17, 0xffff
	s_mov_b32 s19, exec_lo
	v_and_b32_sdwa v23, v17, v11 dst_sel:DWORD dst_unused:UNUSED_PAD src0_sel:DWORD src1_sel:BYTE_1
	v_mov_b32_e32 v17, 0x7f800001
	v_and_b32_e32 v18, 0x7f, v23
	v_cmpx_ne_u32_e32 0x7f, v18
	s_cbranch_execz .LBB340_978
; %bb.975:                              ;   in Loop: Header=BB340_800 Depth=1
	v_and_b32_e32 v23, 7, v23
	v_mov_b32_e32 v24, v12
	v_lshrrev_b32_e32 v17, 3, v18
	s_mov_b32 s20, exec_lo
	v_cmpx_gt_u32_e32 8, v18
; %bb.976:                              ;   in Loop: Header=BB340_800 Depth=1
	v_ffbh_u32_e32 v17, v23
	v_min_u32_e32 v17, 32, v17
	v_subrev_nc_u32_e32 v18, 28, v17
	v_sub_nc_u32_e32 v17, 29, v17
	v_lshlrev_b64 v[23:24], v18, v[23:24]
	v_and_b32_e32 v23, 7, v23
; %bb.977:                              ;   in Loop: Header=BB340_800 Depth=1
	s_or_b32 exec_lo, exec_lo, s20
	v_lshlrev_b32_e32 v11, 16, v11
	v_lshlrev_b32_e32 v18, 20, v23
	v_lshl_add_u32 v17, v17, 23, 0x3c000000
	v_and_b32_e32 v11, 0x80000000, v11
	v_or3_b32 v17, v18, v11, v17
.LBB340_978:                            ;   in Loop: Header=BB340_800 Depth=1
	s_or_b32 exec_lo, exec_lo, s19
.LBB340_979:                            ;   in Loop: Header=BB340_800 Depth=1
	s_or_b32 exec_lo, exec_lo, s18
.LBB340_980:                            ;   in Loop: Header=BB340_800 Depth=1
	s_or_b32 exec_lo, exec_lo, s15
	v_and_b32_sdwa v11, v22, v65 dst_sel:DWORD dst_unused:UNUSED_PAD src0_sel:WORD_1 src1_sel:DWORD
	v_mov_b32_e32 v18, 0
	v_mov_b32_e32 v23, 0
	s_mov_b32 s15, exec_lo
	v_cmpx_ne_u16_e32 0, v11
	s_cbranch_execz .LBB340_988
; %bb.981:                              ;   in Loop: Header=BB340_800 Depth=1
	v_bfrev_b32_e32 v23, 1
	s_mov_b32 s18, exec_lo
	v_cmpx_ne_u16_e32 0x80, v11
	s_cbranch_execz .LBB340_987
; %bb.982:                              ;   in Loop: Header=BB340_800 Depth=1
	v_bfe_u32 v24, v22, 16, 7
	v_mov_b32_e32 v23, 0x7f800001
	s_mov_b32 s19, exec_lo
	v_cmpx_ne_u32_e32 0x7f, v24
	s_cbranch_execz .LBB340_986
; %bb.983:                              ;   in Loop: Header=BB340_800 Depth=1
	v_mov_b32_e32 v11, 7
	v_lshrrev_b32_e32 v23, 3, v24
	s_mov_b32 s20, exec_lo
	v_and_b32_sdwa v11, v22, v11 dst_sel:DWORD dst_unused:UNUSED_PAD src0_sel:WORD_1 src1_sel:DWORD
	v_cmpx_gt_u32_e32 8, v24
; %bb.984:                              ;   in Loop: Header=BB340_800 Depth=1
	v_ffbh_u32_e32 v23, v11
	v_min_u32_e32 v23, 32, v23
	v_subrev_nc_u32_e32 v24, 28, v23
	v_sub_nc_u32_e32 v23, 29, v23
	v_lshlrev_b64 v[24:25], v24, v[11:12]
	v_and_b32_e32 v11, 7, v24
; %bb.985:                              ;   in Loop: Header=BB340_800 Depth=1
	s_or_b32 exec_lo, exec_lo, s20
	v_mov_b32_e32 v24, 24
	v_lshlrev_b32_e32 v11, 20, v11
	v_lshl_add_u32 v23, v23, 23, 0x3c000000
	v_lshlrev_b32_sdwa v24, v24, v22 dst_sel:DWORD dst_unused:UNUSED_PAD src0_sel:DWORD src1_sel:WORD_1
	v_and_b32_e32 v24, 0x80000000, v24
	v_or3_b32 v23, v11, v24, v23
.LBB340_986:                            ;   in Loop: Header=BB340_800 Depth=1
	s_or_b32 exec_lo, exec_lo, s19
.LBB340_987:                            ;   in Loop: Header=BB340_800 Depth=1
	s_or_b32 exec_lo, exec_lo, s18
.LBB340_988:                            ;   in Loop: Header=BB340_800 Depth=1
	s_or_b32 exec_lo, exec_lo, s15
	s_mov_b32 s15, exec_lo
	v_cmpx_lt_u64_e64 s[6:7], v[21:22]
	s_cbranch_execz .LBB340_996
; %bb.989:                              ;   in Loop: Header=BB340_800 Depth=1
	v_cmp_ne_u32_sdwa s4, v22, v55 src0_sel:BYTE_3 src1_sel:DWORD
	v_bfrev_b32_e32 v18, 1
	s_and_saveexec_b32 s18, s4
	s_cbranch_execz .LBB340_995
; %bb.990:                              ;   in Loop: Header=BB340_800 Depth=1
	v_bfe_u32 v21, v22, 24, 7
	v_mov_b32_e32 v18, 0x7f800001
	s_mov_b32 s19, exec_lo
	v_cmpx_ne_u32_e32 0x7f, v21
	s_cbranch_execz .LBB340_994
; %bb.991:                              ;   in Loop: Header=BB340_800 Depth=1
	v_mov_b32_e32 v11, 7
	v_lshrrev_b32_e32 v18, 3, v21
	s_mov_b32 s20, exec_lo
	v_and_b32_sdwa v11, v22, v11 dst_sel:DWORD dst_unused:UNUSED_PAD src0_sel:BYTE_3 src1_sel:DWORD
	v_cmpx_gt_u32_e32 8, v21
; %bb.992:                              ;   in Loop: Header=BB340_800 Depth=1
	v_ffbh_u32_e32 v18, v11
	v_min_u32_e32 v18, 32, v18
	v_subrev_nc_u32_e32 v21, 28, v18
	v_sub_nc_u32_e32 v18, 29, v18
	v_lshlrev_b64 v[24:25], v21, v[11:12]
	v_and_b32_e32 v11, 7, v24
; %bb.993:                              ;   in Loop: Header=BB340_800 Depth=1
	s_or_b32 exec_lo, exec_lo, s20
	v_mov_b32_e32 v21, 24
	v_lshlrev_b32_e32 v11, 20, v11
	v_lshl_add_u32 v18, v18, 23, 0x3c000000
	v_lshlrev_b32_sdwa v21, v21, v22 dst_sel:DWORD dst_unused:UNUSED_PAD src0_sel:DWORD src1_sel:BYTE_3
	v_and_b32_e32 v21, 0x80000000, v21
	v_or3_b32 v18, v11, v21, v18
.LBB340_994:                            ;   in Loop: Header=BB340_800 Depth=1
	s_or_b32 exec_lo, exec_lo, s19
.LBB340_995:                            ;   in Loop: Header=BB340_800 Depth=1
	s_or_b32 exec_lo, exec_lo, s18
.LBB340_996:                            ;   in Loop: Header=BB340_800 Depth=1
	s_or_b32 exec_lo, exec_lo, s15
	v_mul_f32_e32 v11, v52, v17
	v_mul_f32_e32 v14, v52, v14
	;; [unrolled: 1-line block ×5, first 2 shown]
	v_bfe_u32 v17, v11, 16, 1
	v_or_b32_e32 v21, 0x400000, v11
	v_bfe_u32 v22, v14, 16, 1
	v_cmp_u_f32_e64 s4, v11, v11
	v_or_b32_e32 v24, 0x400000, v14
	v_add3_u32 v17, v17, v11, 0x7fff
	v_bfe_u32 v25, v13, 16, 1
	v_add3_u32 v22, v22, v14, 0x7fff
	v_or_b32_e32 v28, 0x400000, v13
	v_bfe_u32 v29, v10, 16, 1
	v_cndmask_b32_e64 v11, v17, v21, s4
	v_cmp_u_f32_e64 s4, v14, v14
	v_add3_u32 v25, v25, v13, 0x7fff
	v_or_b32_e32 v17, 0x400000, v10
	v_mul_f32_e32 v0, v52, v0
	v_lshrrev_b32_e32 v102, 16, v11
	v_cndmask_b32_e64 v14, v22, v24, s4
	v_cmp_u_f32_e64 s4, v13, v13
	v_add3_u32 v11, v29, v10, 0x7fff
	v_lshrrev_b32_e32 v101, 16, v14
	v_cndmask_b32_e64 v13, v25, v28, s4
	v_cmp_u_f32_e64 s4, v10, v10
	v_or_b32_e32 v14, 0x400000, v1
	v_lshrrev_b32_e32 v113, 16, v13
	v_bfe_u32 v13, v1, 16, 1
	v_cndmask_b32_e64 v10, v11, v17, s4
	v_mul_f32_e32 v11, v52, v23
	v_mul_f32_e32 v17, v52, v18
	v_bfe_u32 v18, v0, 16, 1
	v_add3_u32 v13, v13, v1, 0x7fff
	v_cmp_u_f32_e64 s4, v1, v1
	v_bfe_u32 v21, v11, 16, 1
	v_or_b32_e32 v22, 0x400000, v11
	v_or_b32_e32 v23, 0x400000, v17
	v_lshrrev_b32_e32 v114, 16, v10
	v_cndmask_b32_e64 v1, v13, v14, s4
	v_add3_u32 v14, v18, v0, 0x7fff
	v_or_b32_e32 v18, 0x400000, v0
	v_cmp_u_f32_e64 s4, v0, v0
	v_bfe_u32 v13, v17, 16, 1
	v_add3_u32 v21, v21, v11, 0x7fff
	v_lshrrev_b32_e32 v116, 16, v1
	v_cndmask_b32_e64 v0, v14, v18, s4
	v_cmp_u_f32_e64 s4, v11, v11
	v_add3_u32 v13, v13, v17, 0x7fff
	v_lshrrev_b32_e32 v115, 16, v0
	v_cndmask_b32_e64 v11, v21, v22, s4
	v_cmp_u_f32_e64 s4, v17, v17
	v_lshrrev_b32_e32 v103, 16, v11
	v_cndmask_b32_e64 v13, v13, v23, s4
	v_lshrrev_b32_e32 v112, 16, v13
	s_and_saveexec_b32 s15, vcc_lo
	s_cbranch_execz .LBB340_998
; %bb.997:                              ;   in Loop: Header=BB340_800 Depth=1
	v_cmp_lt_i32_e64 s4, v117, v32
	v_cndmask_b32_e64 v115, 0, v115, s4
	v_cmp_lt_i32_e64 s4, v43, v32
	v_cndmask_b32_e64 v116, 0, v116, s4
	;; [unrolled: 2-line block ×8, first 2 shown]
.LBB340_998:                            ;   in Loop: Header=BB340_800 Depth=1
	s_or_b32 exec_lo, exec_lo, s15
	flat_load_dwordx2 v[21:22], v[19:20] offset:768
	v_mov_b32_e32 v1, 0
	v_mov_b32_e32 v0, 0
	s_waitcnt vmcnt(0) lgkmcnt(0)
	v_cmp_ne_u16_sdwa s4, v21, v12 src0_sel:BYTE_0 src1_sel:DWORD
	s_and_saveexec_b32 s15, s4
	s_cbranch_execz .LBB340_1006
; %bb.999:                              ;   in Loop: Header=BB340_800 Depth=1
	v_cmp_ne_u16_sdwa s4, v21, v55 src0_sel:BYTE_0 src1_sel:DWORD
	v_bfrev_b32_e32 v0, 1
	s_and_saveexec_b32 s18, s4
	s_cbranch_execz .LBB340_1005
; %bb.1000:                             ;   in Loop: Header=BB340_800 Depth=1
	v_and_b32_e32 v10, 0x7f, v21
	v_mov_b32_e32 v0, 0x7f800001
	s_mov_b32 s19, exec_lo
	v_cmpx_ne_u32_e32 0x7f, v10
	s_cbranch_execz .LBB340_1004
; %bb.1001:                             ;   in Loop: Header=BB340_800 Depth=1
	v_lshrrev_b32_e32 v0, 3, v10
	v_cmp_gt_u32_e64 s4, 8, v10
	v_mov_b32_e32 v10, v21
	v_mov_b32_e32 v11, v22
	s_and_saveexec_b32 s20, s4
; %bb.1002:                             ;   in Loop: Header=BB340_800 Depth=1
	v_and_b32_e32 v0, 7, v21
	v_ffbh_u32_e32 v0, v0
	v_min_u32_e32 v0, 32, v0
	v_subrev_nc_u32_e32 v10, 28, v0
	v_sub_nc_u32_e32 v0, 29, v0
	v_lshlrev_b64 v[10:11], v10, v[21:22]
; %bb.1003:                             ;   in Loop: Header=BB340_800 Depth=1
	s_or_b32 exec_lo, exec_lo, s20
	v_lshlrev_b32_e32 v10, 20, v10
	v_lshlrev_b32_e32 v11, 24, v21
	v_lshl_add_u32 v0, v0, 23, 0x3c000000
	v_and_b32_e32 v10, 0x700000, v10
	v_and_b32_e32 v11, 0x80000000, v11
	v_or3_b32 v0, v10, v11, v0
.LBB340_1004:                           ;   in Loop: Header=BB340_800 Depth=1
	s_or_b32 exec_lo, exec_lo, s19
.LBB340_1005:                           ;   in Loop: Header=BB340_800 Depth=1
	s_or_b32 exec_lo, exec_lo, s18
.LBB340_1006:                           ;   in Loop: Header=BB340_800 Depth=1
	s_or_b32 exec_lo, exec_lo, s15
	v_cmp_ne_u16_sdwa s4, v21, v12 src0_sel:BYTE_1 src1_sel:DWORD
	s_and_saveexec_b32 s15, s4
	s_cbranch_execz .LBB340_1014
; %bb.1007:                             ;   in Loop: Header=BB340_800 Depth=1
	v_cmp_ne_u16_sdwa s4, v21, v55 src0_sel:BYTE_1 src1_sel:DWORD
	v_bfrev_b32_e32 v1, 1
	s_and_saveexec_b32 s18, s4
	s_cbranch_execz .LBB340_1013
; %bb.1008:                             ;   in Loop: Header=BB340_800 Depth=1
	v_mov_b32_e32 v1, 0xffff
	s_mov_b32 s19, exec_lo
	v_and_b32_sdwa v11, v1, v21 dst_sel:DWORD dst_unused:UNUSED_PAD src0_sel:DWORD src1_sel:BYTE_1
	v_mov_b32_e32 v1, 0x7f800001
	v_and_b32_e32 v10, 0x7f, v11
	v_cmpx_ne_u32_e32 0x7f, v10
	s_cbranch_execz .LBB340_1012
; %bb.1009:                             ;   in Loop: Header=BB340_800 Depth=1
	v_and_b32_e32 v11, 7, v11
	v_lshrrev_b32_e32 v1, 3, v10
	s_mov_b32 s20, exec_lo
	v_cmpx_gt_u32_e32 8, v10
; %bb.1010:                             ;   in Loop: Header=BB340_800 Depth=1
	v_ffbh_u32_e32 v1, v11
	v_min_u32_e32 v1, 32, v1
	v_subrev_nc_u32_e32 v10, 28, v1
	v_sub_nc_u32_e32 v1, 29, v1
	v_lshlrev_b64 v[10:11], v10, v[11:12]
	v_and_b32_e32 v11, 7, v10
; %bb.1011:                             ;   in Loop: Header=BB340_800 Depth=1
	s_or_b32 exec_lo, exec_lo, s20
	v_lshlrev_b32_e32 v10, 16, v21
	v_lshlrev_b32_e32 v11, 20, v11
	v_lshl_add_u32 v1, v1, 23, 0x3c000000
	v_and_b32_e32 v10, 0x80000000, v10
	v_or3_b32 v1, v11, v10, v1
.LBB340_1012:                           ;   in Loop: Header=BB340_800 Depth=1
	s_or_b32 exec_lo, exec_lo, s19
.LBB340_1013:                           ;   in Loop: Header=BB340_800 Depth=1
	s_or_b32 exec_lo, exec_lo, s18
.LBB340_1014:                           ;   in Loop: Header=BB340_800 Depth=1
	s_or_b32 exec_lo, exec_lo, s15
	v_and_b32_sdwa v11, v21, v65 dst_sel:DWORD dst_unused:UNUSED_PAD src0_sel:WORD_1 src1_sel:DWORD
	v_mov_b32_e32 v13, 0
	v_mov_b32_e32 v10, 0
	s_mov_b32 s15, exec_lo
	v_cmpx_ne_u16_e32 0, v11
	s_cbranch_execz .LBB340_1022
; %bb.1015:                             ;   in Loop: Header=BB340_800 Depth=1
	v_bfrev_b32_e32 v10, 1
	s_mov_b32 s18, exec_lo
	v_cmpx_ne_u16_e32 0x80, v11
	s_cbranch_execz .LBB340_1021
; %bb.1016:                             ;   in Loop: Header=BB340_800 Depth=1
	v_bfe_u32 v14, v21, 16, 7
	v_mov_b32_e32 v10, 0x7f800001
	s_mov_b32 s19, exec_lo
	v_cmpx_ne_u32_e32 0x7f, v14
	s_cbranch_execz .LBB340_1020
; %bb.1017:                             ;   in Loop: Header=BB340_800 Depth=1
	v_mov_b32_e32 v10, 7
	s_mov_b32 s20, exec_lo
	v_and_b32_sdwa v11, v21, v10 dst_sel:DWORD dst_unused:UNUSED_PAD src0_sel:WORD_1 src1_sel:DWORD
	v_lshrrev_b32_e32 v10, 3, v14
	v_cmpx_gt_u32_e32 8, v14
; %bb.1018:                             ;   in Loop: Header=BB340_800 Depth=1
	v_ffbh_u32_e32 v10, v11
	v_min_u32_e32 v10, 32, v10
	v_subrev_nc_u32_e32 v14, 28, v10
	v_sub_nc_u32_e32 v10, 29, v10
	v_lshlrev_b64 v[17:18], v14, v[11:12]
	v_and_b32_e32 v11, 7, v17
; %bb.1019:                             ;   in Loop: Header=BB340_800 Depth=1
	s_or_b32 exec_lo, exec_lo, s20
	v_mov_b32_e32 v14, 24
	v_lshlrev_b32_e32 v11, 20, v11
	v_lshl_add_u32 v10, v10, 23, 0x3c000000
	v_lshlrev_b32_sdwa v14, v14, v21 dst_sel:DWORD dst_unused:UNUSED_PAD src0_sel:DWORD src1_sel:WORD_1
	v_and_b32_e32 v14, 0x80000000, v14
	v_or3_b32 v10, v11, v14, v10
.LBB340_1020:                           ;   in Loop: Header=BB340_800 Depth=1
	s_or_b32 exec_lo, exec_lo, s19
.LBB340_1021:                           ;   in Loop: Header=BB340_800 Depth=1
	s_or_b32 exec_lo, exec_lo, s18
.LBB340_1022:                           ;   in Loop: Header=BB340_800 Depth=1
	s_or_b32 exec_lo, exec_lo, s15
	s_mov_b32 s15, exec_lo
	v_cmpx_lt_u32_e32 0xffffff, v21
	s_cbranch_execz .LBB340_1030
; %bb.1023:                             ;   in Loop: Header=BB340_800 Depth=1
	v_cmp_ne_u32_sdwa s4, v21, v55 src0_sel:BYTE_3 src1_sel:DWORD
	v_bfrev_b32_e32 v13, 1
	s_and_saveexec_b32 s18, s4
	s_cbranch_execz .LBB340_1029
; %bb.1024:                             ;   in Loop: Header=BB340_800 Depth=1
	v_bfe_u32 v14, v21, 24, 7
	v_mov_b32_e32 v13, 0x7f800001
	s_mov_b32 s19, exec_lo
	v_cmpx_ne_u32_e32 0x7f, v14
	s_cbranch_execz .LBB340_1028
; %bb.1025:                             ;   in Loop: Header=BB340_800 Depth=1
	v_mov_b32_e32 v11, 7
	v_lshrrev_b32_e32 v13, 3, v14
	s_mov_b32 s20, exec_lo
	v_and_b32_sdwa v11, v21, v11 dst_sel:DWORD dst_unused:UNUSED_PAD src0_sel:BYTE_3 src1_sel:DWORD
	v_cmpx_gt_u32_e32 8, v14
; %bb.1026:                             ;   in Loop: Header=BB340_800 Depth=1
	v_ffbh_u32_e32 v13, v11
	v_min_u32_e32 v13, 32, v13
	v_subrev_nc_u32_e32 v14, 28, v13
	v_sub_nc_u32_e32 v13, 29, v13
	v_lshlrev_b64 v[17:18], v14, v[11:12]
	v_and_b32_e32 v11, 7, v17
; %bb.1027:                             ;   in Loop: Header=BB340_800 Depth=1
	s_or_b32 exec_lo, exec_lo, s20
	v_mov_b32_e32 v14, 24
	v_lshlrev_b32_e32 v11, 20, v11
	v_lshl_add_u32 v13, v13, 23, 0x3c000000
	v_lshlrev_b32_sdwa v14, v14, v21 dst_sel:DWORD dst_unused:UNUSED_PAD src0_sel:DWORD src1_sel:BYTE_3
	v_and_b32_e32 v14, 0x80000000, v14
	v_or3_b32 v13, v11, v14, v13
.LBB340_1028:                           ;   in Loop: Header=BB340_800 Depth=1
	s_or_b32 exec_lo, exec_lo, s19
.LBB340_1029:                           ;   in Loop: Header=BB340_800 Depth=1
	s_or_b32 exec_lo, exec_lo, s18
.LBB340_1030:                           ;   in Loop: Header=BB340_800 Depth=1
	s_or_b32 exec_lo, exec_lo, s15
	v_mov_b32_e32 v11, v22
	v_cmp_ne_u16_sdwa s4, v22, v12 src0_sel:BYTE_0 src1_sel:DWORD
	v_mov_b32_e32 v17, 0
	v_mov_b32_e32 v14, 0
	s_and_saveexec_b32 s15, s4
	s_cbranch_execz .LBB340_1038
; %bb.1031:                             ;   in Loop: Header=BB340_800 Depth=1
	v_cmp_ne_u16_sdwa s4, v22, v55 src0_sel:BYTE_0 src1_sel:DWORD
	v_bfrev_b32_e32 v14, 1
	s_and_saveexec_b32 s18, s4
	s_cbranch_execz .LBB340_1037
; %bb.1032:                             ;   in Loop: Header=BB340_800 Depth=1
	v_and_b32_e32 v18, 0x7f, v22
	v_mov_b32_e32 v14, 0x7f800001
	s_mov_b32 s19, exec_lo
	v_cmpx_ne_u32_e32 0x7f, v18
	s_cbranch_execz .LBB340_1036
; %bb.1033:                             ;   in Loop: Header=BB340_800 Depth=1
	v_mov_b32_e32 v24, v12
	v_lshrrev_b32_e32 v14, 3, v18
	v_mov_b32_e32 v23, v11
	s_mov_b32 s20, exec_lo
	v_cmpx_gt_u32_e32 8, v18
; %bb.1034:                             ;   in Loop: Header=BB340_800 Depth=1
	v_and_b32_e32 v14, 7, v22
	v_ffbh_u32_e32 v14, v14
	v_min_u32_e32 v14, 32, v14
	v_subrev_nc_u32_e32 v18, 28, v14
	v_sub_nc_u32_e32 v14, 29, v14
	v_lshlrev_b64 v[23:24], v18, v[11:12]
; %bb.1035:                             ;   in Loop: Header=BB340_800 Depth=1
	s_or_b32 exec_lo, exec_lo, s20
	v_lshlrev_b32_e32 v18, 20, v23
	v_lshlrev_b32_e32 v23, 24, v11
	v_lshl_add_u32 v14, v14, 23, 0x3c000000
	v_and_b32_e32 v18, 0x700000, v18
	v_and_b32_e32 v23, 0x80000000, v23
	v_or3_b32 v14, v18, v23, v14
.LBB340_1036:                           ;   in Loop: Header=BB340_800 Depth=1
	s_or_b32 exec_lo, exec_lo, s19
.LBB340_1037:                           ;   in Loop: Header=BB340_800 Depth=1
	s_or_b32 exec_lo, exec_lo, s18
.LBB340_1038:                           ;   in Loop: Header=BB340_800 Depth=1
	s_or_b32 exec_lo, exec_lo, s15
	v_cmp_ne_u16_sdwa s4, v11, v12 src0_sel:BYTE_1 src1_sel:DWORD
	s_and_saveexec_b32 s15, s4
	s_cbranch_execz .LBB340_1046
; %bb.1039:                             ;   in Loop: Header=BB340_800 Depth=1
	v_cmp_ne_u16_sdwa s4, v11, v55 src0_sel:BYTE_1 src1_sel:DWORD
	v_bfrev_b32_e32 v17, 1
	s_and_saveexec_b32 s18, s4
	s_cbranch_execz .LBB340_1045
; %bb.1040:                             ;   in Loop: Header=BB340_800 Depth=1
	v_mov_b32_e32 v17, 0xffff
	s_mov_b32 s19, exec_lo
	v_and_b32_sdwa v23, v17, v11 dst_sel:DWORD dst_unused:UNUSED_PAD src0_sel:DWORD src1_sel:BYTE_1
	v_mov_b32_e32 v17, 0x7f800001
	v_and_b32_e32 v18, 0x7f, v23
	v_cmpx_ne_u32_e32 0x7f, v18
	s_cbranch_execz .LBB340_1044
; %bb.1041:                             ;   in Loop: Header=BB340_800 Depth=1
	v_and_b32_e32 v23, 7, v23
	v_mov_b32_e32 v24, v12
	v_lshrrev_b32_e32 v17, 3, v18
	s_mov_b32 s20, exec_lo
	v_cmpx_gt_u32_e32 8, v18
; %bb.1042:                             ;   in Loop: Header=BB340_800 Depth=1
	v_ffbh_u32_e32 v17, v23
	v_min_u32_e32 v17, 32, v17
	v_subrev_nc_u32_e32 v18, 28, v17
	v_sub_nc_u32_e32 v17, 29, v17
	v_lshlrev_b64 v[23:24], v18, v[23:24]
	v_and_b32_e32 v23, 7, v23
; %bb.1043:                             ;   in Loop: Header=BB340_800 Depth=1
	s_or_b32 exec_lo, exec_lo, s20
	v_lshlrev_b32_e32 v11, 16, v11
	v_lshlrev_b32_e32 v18, 20, v23
	v_lshl_add_u32 v17, v17, 23, 0x3c000000
	v_and_b32_e32 v11, 0x80000000, v11
	v_or3_b32 v17, v18, v11, v17
.LBB340_1044:                           ;   in Loop: Header=BB340_800 Depth=1
	s_or_b32 exec_lo, exec_lo, s19
.LBB340_1045:                           ;   in Loop: Header=BB340_800 Depth=1
	s_or_b32 exec_lo, exec_lo, s18
.LBB340_1046:                           ;   in Loop: Header=BB340_800 Depth=1
	s_or_b32 exec_lo, exec_lo, s15
	v_and_b32_sdwa v11, v22, v65 dst_sel:DWORD dst_unused:UNUSED_PAD src0_sel:WORD_1 src1_sel:DWORD
	v_mov_b32_e32 v18, 0
	v_mov_b32_e32 v23, 0
	s_mov_b32 s15, exec_lo
	v_cmpx_ne_u16_e32 0, v11
	s_cbranch_execz .LBB340_1054
; %bb.1047:                             ;   in Loop: Header=BB340_800 Depth=1
	v_bfrev_b32_e32 v23, 1
	s_mov_b32 s18, exec_lo
	v_cmpx_ne_u16_e32 0x80, v11
	s_cbranch_execz .LBB340_1053
; %bb.1048:                             ;   in Loop: Header=BB340_800 Depth=1
	v_bfe_u32 v24, v22, 16, 7
	v_mov_b32_e32 v23, 0x7f800001
	s_mov_b32 s19, exec_lo
	v_cmpx_ne_u32_e32 0x7f, v24
	s_cbranch_execz .LBB340_1052
; %bb.1049:                             ;   in Loop: Header=BB340_800 Depth=1
	v_mov_b32_e32 v11, 7
	v_lshrrev_b32_e32 v23, 3, v24
	s_mov_b32 s20, exec_lo
	v_and_b32_sdwa v11, v22, v11 dst_sel:DWORD dst_unused:UNUSED_PAD src0_sel:WORD_1 src1_sel:DWORD
	v_cmpx_gt_u32_e32 8, v24
; %bb.1050:                             ;   in Loop: Header=BB340_800 Depth=1
	v_ffbh_u32_e32 v23, v11
	v_min_u32_e32 v23, 32, v23
	v_subrev_nc_u32_e32 v24, 28, v23
	v_sub_nc_u32_e32 v23, 29, v23
	v_lshlrev_b64 v[24:25], v24, v[11:12]
	v_and_b32_e32 v11, 7, v24
; %bb.1051:                             ;   in Loop: Header=BB340_800 Depth=1
	s_or_b32 exec_lo, exec_lo, s20
	v_mov_b32_e32 v24, 24
	v_lshlrev_b32_e32 v11, 20, v11
	v_lshl_add_u32 v23, v23, 23, 0x3c000000
	v_lshlrev_b32_sdwa v24, v24, v22 dst_sel:DWORD dst_unused:UNUSED_PAD src0_sel:DWORD src1_sel:WORD_1
	v_and_b32_e32 v24, 0x80000000, v24
	v_or3_b32 v23, v11, v24, v23
.LBB340_1052:                           ;   in Loop: Header=BB340_800 Depth=1
	s_or_b32 exec_lo, exec_lo, s19
.LBB340_1053:                           ;   in Loop: Header=BB340_800 Depth=1
	s_or_b32 exec_lo, exec_lo, s18
.LBB340_1054:                           ;   in Loop: Header=BB340_800 Depth=1
	s_or_b32 exec_lo, exec_lo, s15
	s_mov_b32 s15, exec_lo
	v_cmpx_lt_u64_e64 s[6:7], v[21:22]
	s_cbranch_execz .LBB340_1062
; %bb.1055:                             ;   in Loop: Header=BB340_800 Depth=1
	v_cmp_ne_u32_sdwa s4, v22, v55 src0_sel:BYTE_3 src1_sel:DWORD
	v_bfrev_b32_e32 v18, 1
	s_and_saveexec_b32 s18, s4
	s_cbranch_execz .LBB340_1061
; %bb.1056:                             ;   in Loop: Header=BB340_800 Depth=1
	v_bfe_u32 v21, v22, 24, 7
	v_mov_b32_e32 v18, 0x7f800001
	s_mov_b32 s19, exec_lo
	v_cmpx_ne_u32_e32 0x7f, v21
	s_cbranch_execz .LBB340_1060
; %bb.1057:                             ;   in Loop: Header=BB340_800 Depth=1
	v_mov_b32_e32 v11, 7
	v_lshrrev_b32_e32 v18, 3, v21
	s_mov_b32 s20, exec_lo
	v_and_b32_sdwa v11, v22, v11 dst_sel:DWORD dst_unused:UNUSED_PAD src0_sel:BYTE_3 src1_sel:DWORD
	v_cmpx_gt_u32_e32 8, v21
; %bb.1058:                             ;   in Loop: Header=BB340_800 Depth=1
	v_ffbh_u32_e32 v18, v11
	v_min_u32_e32 v18, 32, v18
	v_subrev_nc_u32_e32 v21, 28, v18
	v_sub_nc_u32_e32 v18, 29, v18
	v_lshlrev_b64 v[24:25], v21, v[11:12]
	v_and_b32_e32 v11, 7, v24
; %bb.1059:                             ;   in Loop: Header=BB340_800 Depth=1
	s_or_b32 exec_lo, exec_lo, s20
	v_mov_b32_e32 v21, 24
	v_lshlrev_b32_e32 v11, 20, v11
	v_lshl_add_u32 v18, v18, 23, 0x3c000000
	v_lshlrev_b32_sdwa v21, v21, v22 dst_sel:DWORD dst_unused:UNUSED_PAD src0_sel:DWORD src1_sel:BYTE_3
	v_and_b32_e32 v21, 0x80000000, v21
	v_or3_b32 v18, v11, v21, v18
.LBB340_1060:                           ;   in Loop: Header=BB340_800 Depth=1
	s_or_b32 exec_lo, exec_lo, s19
.LBB340_1061:                           ;   in Loop: Header=BB340_800 Depth=1
	s_or_b32 exec_lo, exec_lo, s18
.LBB340_1062:                           ;   in Loop: Header=BB340_800 Depth=1
	s_or_b32 exec_lo, exec_lo, s15
	v_mul_f32_e32 v11, v52, v17
	v_mul_f32_e32 v14, v52, v14
	;; [unrolled: 1-line block ×5, first 2 shown]
	v_bfe_u32 v17, v11, 16, 1
	v_or_b32_e32 v21, 0x400000, v11
	v_bfe_u32 v22, v14, 16, 1
	v_cmp_u_f32_e64 s4, v11, v11
	v_or_b32_e32 v24, 0x400000, v14
	v_add3_u32 v17, v17, v11, 0x7fff
	v_bfe_u32 v25, v13, 16, 1
	v_add3_u32 v22, v22, v14, 0x7fff
	v_or_b32_e32 v28, 0x400000, v13
	v_bfe_u32 v29, v10, 16, 1
	v_cndmask_b32_e64 v11, v17, v21, s4
	v_cmp_u_f32_e64 s4, v14, v14
	v_add3_u32 v25, v25, v13, 0x7fff
	v_or_b32_e32 v17, 0x400000, v10
	v_mul_f32_e32 v0, v52, v0
	v_lshrrev_b32_e32 v45, 16, v11
	v_cndmask_b32_e64 v14, v22, v24, s4
	v_cmp_u_f32_e64 s4, v13, v13
	v_add3_u32 v11, v29, v10, 0x7fff
	v_lshrrev_b32_e32 v44, 16, v14
	v_cndmask_b32_e64 v13, v25, v28, s4
	v_cmp_u_f32_e64 s4, v10, v10
	v_or_b32_e32 v14, 0x400000, v1
	v_lshrrev_b32_e32 v56, 16, v13
	v_bfe_u32 v13, v1, 16, 1
	v_cndmask_b32_e64 v10, v11, v17, s4
	v_mul_f32_e32 v11, v52, v23
	v_mul_f32_e32 v17, v52, v18
	v_bfe_u32 v18, v0, 16, 1
	v_add3_u32 v13, v13, v1, 0x7fff
	v_cmp_u_f32_e64 s4, v1, v1
	v_bfe_u32 v21, v11, 16, 1
	v_or_b32_e32 v22, 0x400000, v11
	v_or_b32_e32 v23, 0x400000, v17
	v_lshrrev_b32_e32 v57, 16, v10
	v_cndmask_b32_e64 v1, v13, v14, s4
	v_add3_u32 v14, v18, v0, 0x7fff
	v_or_b32_e32 v18, 0x400000, v0
	v_cmp_u_f32_e64 s4, v0, v0
	v_bfe_u32 v13, v17, 16, 1
	v_add3_u32 v21, v21, v11, 0x7fff
	v_lshrrev_b32_e32 v59, 16, v1
	v_cndmask_b32_e64 v0, v14, v18, s4
	v_cmp_u_f32_e64 s4, v11, v11
	v_add3_u32 v13, v13, v17, 0x7fff
	v_lshrrev_b32_e32 v58, 16, v0
	v_cndmask_b32_e64 v11, v21, v22, s4
	v_cmp_u_f32_e64 s4, v17, v17
	v_lshrrev_b32_e32 v46, 16, v11
	v_cndmask_b32_e64 v13, v13, v23, s4
	v_lshrrev_b32_e32 v47, 16, v13
	s_and_saveexec_b32 s15, vcc_lo
	s_cbranch_execz .LBB340_1064
; %bb.1063:                             ;   in Loop: Header=BB340_800 Depth=1
	v_cmp_lt_i32_e64 s4, v117, v32
	v_cndmask_b32_e64 v58, 0, v58, s4
	v_cmp_lt_i32_e64 s4, v43, v32
	v_cndmask_b32_e64 v59, 0, v59, s4
	;; [unrolled: 2-line block ×8, first 2 shown]
.LBB340_1064:                           ;   in Loop: Header=BB340_800 Depth=1
	s_or_b32 exec_lo, exec_lo, s15
	flat_load_dwordx2 v[21:22], v[19:20] offset:1024
	v_mov_b32_e32 v0, 0
	v_mov_b32_e32 v10, 0
	s_waitcnt vmcnt(0) lgkmcnt(0)
	v_cmp_ne_u16_sdwa s4, v21, v12 src0_sel:BYTE_0 src1_sel:DWORD
	s_and_saveexec_b32 s15, s4
	s_cbranch_execz .LBB340_1072
; %bb.1065:                             ;   in Loop: Header=BB340_800 Depth=1
	v_cmp_ne_u16_sdwa s4, v21, v55 src0_sel:BYTE_0 src1_sel:DWORD
	v_bfrev_b32_e32 v10, 1
	s_and_saveexec_b32 s18, s4
	s_cbranch_execz .LBB340_1071
; %bb.1066:                             ;   in Loop: Header=BB340_800 Depth=1
	v_and_b32_e32 v11, 0x7f, v21
	v_mov_b32_e32 v10, 0x7f800001
	s_mov_b32 s19, exec_lo
	v_cmpx_ne_u32_e32 0x7f, v11
	s_cbranch_execz .LBB340_1070
; %bb.1067:                             ;   in Loop: Header=BB340_800 Depth=1
	v_lshrrev_b32_e32 v1, 3, v11
	v_cmp_gt_u32_e64 s4, 8, v11
	v_mov_b32_e32 v10, v21
	v_mov_b32_e32 v11, v22
	s_and_saveexec_b32 s20, s4
; %bb.1068:                             ;   in Loop: Header=BB340_800 Depth=1
	v_and_b32_e32 v1, 7, v21
	v_ffbh_u32_e32 v1, v1
	v_min_u32_e32 v1, 32, v1
	v_subrev_nc_u32_e32 v10, 28, v1
	v_sub_nc_u32_e32 v1, 29, v1
	v_lshlrev_b64 v[10:11], v10, v[21:22]
; %bb.1069:                             ;   in Loop: Header=BB340_800 Depth=1
	s_or_b32 exec_lo, exec_lo, s20
	v_lshlrev_b32_e32 v10, 20, v10
	v_lshlrev_b32_e32 v11, 24, v21
	v_lshl_add_u32 v1, v1, 23, 0x3c000000
	v_and_b32_e32 v10, 0x700000, v10
	v_and_b32_e32 v11, 0x80000000, v11
	v_or3_b32 v10, v10, v11, v1
.LBB340_1070:                           ;   in Loop: Header=BB340_800 Depth=1
	s_or_b32 exec_lo, exec_lo, s19
.LBB340_1071:                           ;   in Loop: Header=BB340_800 Depth=1
	s_or_b32 exec_lo, exec_lo, s18
.LBB340_1072:                           ;   in Loop: Header=BB340_800 Depth=1
	s_or_b32 exec_lo, exec_lo, s15
	v_cmp_ne_u16_sdwa s4, v21, v12 src0_sel:BYTE_1 src1_sel:DWORD
	s_and_saveexec_b32 s15, s4
	s_cbranch_execz .LBB340_1080
; %bb.1073:                             ;   in Loop: Header=BB340_800 Depth=1
	v_cmp_ne_u16_sdwa s4, v21, v55 src0_sel:BYTE_1 src1_sel:DWORD
	v_bfrev_b32_e32 v0, 1
	s_and_saveexec_b32 s18, s4
	s_cbranch_execz .LBB340_1079
; %bb.1074:                             ;   in Loop: Header=BB340_800 Depth=1
	v_mov_b32_e32 v0, 0xffff
	s_mov_b32 s19, exec_lo
	v_and_b32_sdwa v11, v0, v21 dst_sel:DWORD dst_unused:UNUSED_PAD src0_sel:DWORD src1_sel:BYTE_1
	v_mov_b32_e32 v0, 0x7f800001
	v_and_b32_e32 v1, 0x7f, v11
	v_cmpx_ne_u32_e32 0x7f, v1
	s_cbranch_execz .LBB340_1078
; %bb.1075:                             ;   in Loop: Header=BB340_800 Depth=1
	v_and_b32_e32 v11, 7, v11
	v_lshrrev_b32_e32 v0, 3, v1
	s_mov_b32 s20, exec_lo
	v_cmpx_gt_u32_e32 8, v1
; %bb.1076:                             ;   in Loop: Header=BB340_800 Depth=1
	v_ffbh_u32_e32 v0, v11
	v_min_u32_e32 v0, 32, v0
	v_subrev_nc_u32_e32 v1, 28, v0
	v_sub_nc_u32_e32 v0, 29, v0
	v_lshlrev_b64 v[13:14], v1, v[11:12]
	v_and_b32_e32 v11, 7, v13
; %bb.1077:                             ;   in Loop: Header=BB340_800 Depth=1
	s_or_b32 exec_lo, exec_lo, s20
	v_lshlrev_b32_e32 v1, 16, v21
	v_lshlrev_b32_e32 v11, 20, v11
	v_lshl_add_u32 v0, v0, 23, 0x3c000000
	v_and_b32_e32 v1, 0x80000000, v1
	v_or3_b32 v0, v11, v1, v0
.LBB340_1078:                           ;   in Loop: Header=BB340_800 Depth=1
	s_or_b32 exec_lo, exec_lo, s19
.LBB340_1079:                           ;   in Loop: Header=BB340_800 Depth=1
	s_or_b32 exec_lo, exec_lo, s18
.LBB340_1080:                           ;   in Loop: Header=BB340_800 Depth=1
	s_or_b32 exec_lo, exec_lo, s15
	v_and_b32_sdwa v11, v21, v65 dst_sel:DWORD dst_unused:UNUSED_PAD src0_sel:WORD_1 src1_sel:DWORD
	v_mov_b32_e32 v13, 0
	v_mov_b32_e32 v1, 0
	s_mov_b32 s15, exec_lo
	v_cmpx_ne_u16_e32 0, v11
	s_cbranch_execz .LBB340_1088
; %bb.1081:                             ;   in Loop: Header=BB340_800 Depth=1
	v_bfrev_b32_e32 v1, 1
	s_mov_b32 s18, exec_lo
	v_cmpx_ne_u16_e32 0x80, v11
	s_cbranch_execz .LBB340_1087
; %bb.1082:                             ;   in Loop: Header=BB340_800 Depth=1
	v_bfe_u32 v14, v21, 16, 7
	v_mov_b32_e32 v1, 0x7f800001
	s_mov_b32 s19, exec_lo
	v_cmpx_ne_u32_e32 0x7f, v14
	s_cbranch_execz .LBB340_1086
; %bb.1083:                             ;   in Loop: Header=BB340_800 Depth=1
	v_mov_b32_e32 v1, 7
	s_mov_b32 s20, exec_lo
	v_and_b32_sdwa v11, v21, v1 dst_sel:DWORD dst_unused:UNUSED_PAD src0_sel:WORD_1 src1_sel:DWORD
	v_lshrrev_b32_e32 v1, 3, v14
	v_cmpx_gt_u32_e32 8, v14
; %bb.1084:                             ;   in Loop: Header=BB340_800 Depth=1
	v_ffbh_u32_e32 v1, v11
	v_min_u32_e32 v1, 32, v1
	v_subrev_nc_u32_e32 v14, 28, v1
	v_sub_nc_u32_e32 v1, 29, v1
	v_lshlrev_b64 v[17:18], v14, v[11:12]
	v_and_b32_e32 v11, 7, v17
; %bb.1085:                             ;   in Loop: Header=BB340_800 Depth=1
	s_or_b32 exec_lo, exec_lo, s20
	v_mov_b32_e32 v14, 24
	v_lshlrev_b32_e32 v11, 20, v11
	v_lshl_add_u32 v1, v1, 23, 0x3c000000
	v_lshlrev_b32_sdwa v14, v14, v21 dst_sel:DWORD dst_unused:UNUSED_PAD src0_sel:DWORD src1_sel:WORD_1
	v_and_b32_e32 v14, 0x80000000, v14
	v_or3_b32 v1, v11, v14, v1
.LBB340_1086:                           ;   in Loop: Header=BB340_800 Depth=1
	s_or_b32 exec_lo, exec_lo, s19
.LBB340_1087:                           ;   in Loop: Header=BB340_800 Depth=1
	s_or_b32 exec_lo, exec_lo, s18
.LBB340_1088:                           ;   in Loop: Header=BB340_800 Depth=1
	s_or_b32 exec_lo, exec_lo, s15
	s_mov_b32 s15, exec_lo
	v_cmpx_lt_u32_e32 0xffffff, v21
	s_cbranch_execz .LBB340_1096
; %bb.1089:                             ;   in Loop: Header=BB340_800 Depth=1
	v_cmp_ne_u32_sdwa s4, v21, v55 src0_sel:BYTE_3 src1_sel:DWORD
	v_bfrev_b32_e32 v13, 1
	s_and_saveexec_b32 s18, s4
	s_cbranch_execz .LBB340_1095
; %bb.1090:                             ;   in Loop: Header=BB340_800 Depth=1
	v_bfe_u32 v14, v21, 24, 7
	v_mov_b32_e32 v13, 0x7f800001
	s_mov_b32 s19, exec_lo
	v_cmpx_ne_u32_e32 0x7f, v14
	s_cbranch_execz .LBB340_1094
; %bb.1091:                             ;   in Loop: Header=BB340_800 Depth=1
	v_mov_b32_e32 v11, 7
	v_lshrrev_b32_e32 v13, 3, v14
	s_mov_b32 s20, exec_lo
	v_and_b32_sdwa v11, v21, v11 dst_sel:DWORD dst_unused:UNUSED_PAD src0_sel:BYTE_3 src1_sel:DWORD
	v_cmpx_gt_u32_e32 8, v14
; %bb.1092:                             ;   in Loop: Header=BB340_800 Depth=1
	v_ffbh_u32_e32 v13, v11
	v_min_u32_e32 v13, 32, v13
	v_subrev_nc_u32_e32 v14, 28, v13
	v_sub_nc_u32_e32 v13, 29, v13
	v_lshlrev_b64 v[17:18], v14, v[11:12]
	v_and_b32_e32 v11, 7, v17
; %bb.1093:                             ;   in Loop: Header=BB340_800 Depth=1
	s_or_b32 exec_lo, exec_lo, s20
	v_mov_b32_e32 v14, 24
	v_lshlrev_b32_e32 v11, 20, v11
	v_lshl_add_u32 v13, v13, 23, 0x3c000000
	v_lshlrev_b32_sdwa v14, v14, v21 dst_sel:DWORD dst_unused:UNUSED_PAD src0_sel:DWORD src1_sel:BYTE_3
	v_and_b32_e32 v14, 0x80000000, v14
	v_or3_b32 v13, v11, v14, v13
.LBB340_1094:                           ;   in Loop: Header=BB340_800 Depth=1
	s_or_b32 exec_lo, exec_lo, s19
.LBB340_1095:                           ;   in Loop: Header=BB340_800 Depth=1
	s_or_b32 exec_lo, exec_lo, s18
.LBB340_1096:                           ;   in Loop: Header=BB340_800 Depth=1
	s_or_b32 exec_lo, exec_lo, s15
	v_mov_b32_e32 v11, v22
	v_cmp_ne_u16_sdwa s4, v22, v12 src0_sel:BYTE_0 src1_sel:DWORD
	v_mov_b32_e32 v17, 0
	v_mov_b32_e32 v14, 0
	s_and_saveexec_b32 s15, s4
	s_cbranch_execz .LBB340_1104
; %bb.1097:                             ;   in Loop: Header=BB340_800 Depth=1
	v_cmp_ne_u16_sdwa s4, v22, v55 src0_sel:BYTE_0 src1_sel:DWORD
	v_bfrev_b32_e32 v14, 1
	s_and_saveexec_b32 s18, s4
	s_cbranch_execz .LBB340_1103
; %bb.1098:                             ;   in Loop: Header=BB340_800 Depth=1
	v_and_b32_e32 v18, 0x7f, v22
	v_mov_b32_e32 v14, 0x7f800001
	s_mov_b32 s19, exec_lo
	v_cmpx_ne_u32_e32 0x7f, v18
	s_cbranch_execz .LBB340_1102
; %bb.1099:                             ;   in Loop: Header=BB340_800 Depth=1
	v_mov_b32_e32 v24, v12
	v_lshrrev_b32_e32 v14, 3, v18
	v_mov_b32_e32 v23, v11
	s_mov_b32 s20, exec_lo
	v_cmpx_gt_u32_e32 8, v18
; %bb.1100:                             ;   in Loop: Header=BB340_800 Depth=1
	v_and_b32_e32 v14, 7, v22
	v_ffbh_u32_e32 v14, v14
	v_min_u32_e32 v14, 32, v14
	v_subrev_nc_u32_e32 v18, 28, v14
	v_sub_nc_u32_e32 v14, 29, v14
	v_lshlrev_b64 v[23:24], v18, v[11:12]
; %bb.1101:                             ;   in Loop: Header=BB340_800 Depth=1
	s_or_b32 exec_lo, exec_lo, s20
	v_lshlrev_b32_e32 v18, 20, v23
	v_lshlrev_b32_e32 v23, 24, v11
	v_lshl_add_u32 v14, v14, 23, 0x3c000000
	v_and_b32_e32 v18, 0x700000, v18
	v_and_b32_e32 v23, 0x80000000, v23
	v_or3_b32 v14, v18, v23, v14
.LBB340_1102:                           ;   in Loop: Header=BB340_800 Depth=1
	s_or_b32 exec_lo, exec_lo, s19
.LBB340_1103:                           ;   in Loop: Header=BB340_800 Depth=1
	s_or_b32 exec_lo, exec_lo, s18
.LBB340_1104:                           ;   in Loop: Header=BB340_800 Depth=1
	s_or_b32 exec_lo, exec_lo, s15
	v_cmp_ne_u16_sdwa s4, v11, v12 src0_sel:BYTE_1 src1_sel:DWORD
	s_and_saveexec_b32 s15, s4
	s_cbranch_execz .LBB340_1112
; %bb.1105:                             ;   in Loop: Header=BB340_800 Depth=1
	v_cmp_ne_u16_sdwa s4, v11, v55 src0_sel:BYTE_1 src1_sel:DWORD
	v_bfrev_b32_e32 v17, 1
	s_and_saveexec_b32 s18, s4
	s_cbranch_execz .LBB340_1111
; %bb.1106:                             ;   in Loop: Header=BB340_800 Depth=1
	v_mov_b32_e32 v17, 0xffff
	s_mov_b32 s19, exec_lo
	v_and_b32_sdwa v23, v17, v11 dst_sel:DWORD dst_unused:UNUSED_PAD src0_sel:DWORD src1_sel:BYTE_1
	v_mov_b32_e32 v17, 0x7f800001
	v_and_b32_e32 v18, 0x7f, v23
	v_cmpx_ne_u32_e32 0x7f, v18
	s_cbranch_execz .LBB340_1110
; %bb.1107:                             ;   in Loop: Header=BB340_800 Depth=1
	v_and_b32_e32 v23, 7, v23
	v_mov_b32_e32 v24, v12
	v_lshrrev_b32_e32 v17, 3, v18
	s_mov_b32 s20, exec_lo
	v_cmpx_gt_u32_e32 8, v18
; %bb.1108:                             ;   in Loop: Header=BB340_800 Depth=1
	v_ffbh_u32_e32 v17, v23
	v_min_u32_e32 v17, 32, v17
	v_subrev_nc_u32_e32 v18, 28, v17
	v_sub_nc_u32_e32 v17, 29, v17
	v_lshlrev_b64 v[23:24], v18, v[23:24]
	v_and_b32_e32 v23, 7, v23
; %bb.1109:                             ;   in Loop: Header=BB340_800 Depth=1
	s_or_b32 exec_lo, exec_lo, s20
	v_lshlrev_b32_e32 v11, 16, v11
	v_lshlrev_b32_e32 v18, 20, v23
	v_lshl_add_u32 v17, v17, 23, 0x3c000000
	v_and_b32_e32 v11, 0x80000000, v11
	v_or3_b32 v17, v18, v11, v17
.LBB340_1110:                           ;   in Loop: Header=BB340_800 Depth=1
	s_or_b32 exec_lo, exec_lo, s19
.LBB340_1111:                           ;   in Loop: Header=BB340_800 Depth=1
	s_or_b32 exec_lo, exec_lo, s18
.LBB340_1112:                           ;   in Loop: Header=BB340_800 Depth=1
	s_or_b32 exec_lo, exec_lo, s15
	v_and_b32_sdwa v11, v22, v65 dst_sel:DWORD dst_unused:UNUSED_PAD src0_sel:WORD_1 src1_sel:DWORD
	v_mov_b32_e32 v18, 0
	v_mov_b32_e32 v25, 0
	s_mov_b32 s15, exec_lo
	v_cmpx_ne_u16_e32 0, v11
	s_cbranch_execz .LBB340_1120
; %bb.1113:                             ;   in Loop: Header=BB340_800 Depth=1
	v_bfrev_b32_e32 v25, 1
	s_mov_b32 s18, exec_lo
	v_cmpx_ne_u16_e32 0x80, v11
	s_cbranch_execz .LBB340_1119
; %bb.1114:                             ;   in Loop: Header=BB340_800 Depth=1
	v_bfe_u32 v23, v22, 16, 7
	v_mov_b32_e32 v25, 0x7f800001
	s_mov_b32 s19, exec_lo
	v_cmpx_ne_u32_e32 0x7f, v23
	s_cbranch_execz .LBB340_1118
; %bb.1115:                             ;   in Loop: Header=BB340_800 Depth=1
	v_mov_b32_e32 v11, 7
	v_lshrrev_b32_e32 v25, 3, v23
	v_cmp_gt_u32_e64 s4, 8, v23
	v_and_b32_sdwa v11, v22, v11 dst_sel:DWORD dst_unused:UNUSED_PAD src0_sel:WORD_1 src1_sel:DWORD
	v_mov_b32_e32 v24, v12
	v_mov_b32_e32 v23, v11
	s_and_saveexec_b32 s20, s4
; %bb.1116:                             ;   in Loop: Header=BB340_800 Depth=1
	v_ffbh_u32_e32 v23, v11
	v_min_u32_e32 v25, 32, v23
	v_subrev_nc_u32_e32 v23, 28, v25
	v_sub_nc_u32_e32 v25, 29, v25
	v_lshlrev_b64 v[23:24], v23, v[11:12]
	v_and_b32_e32 v23, 7, v23
; %bb.1117:                             ;   in Loop: Header=BB340_800 Depth=1
	s_or_b32 exec_lo, exec_lo, s20
	v_mov_b32_e32 v11, 24
	v_lshlrev_b32_e32 v23, 20, v23
	v_lshl_add_u32 v24, v25, 23, 0x3c000000
	v_lshlrev_b32_sdwa v11, v11, v22 dst_sel:DWORD dst_unused:UNUSED_PAD src0_sel:DWORD src1_sel:WORD_1
	v_and_b32_e32 v11, 0x80000000, v11
	v_or3_b32 v25, v23, v11, v24
.LBB340_1118:                           ;   in Loop: Header=BB340_800 Depth=1
	s_or_b32 exec_lo, exec_lo, s19
.LBB340_1119:                           ;   in Loop: Header=BB340_800 Depth=1
	s_or_b32 exec_lo, exec_lo, s18
.LBB340_1120:                           ;   in Loop: Header=BB340_800 Depth=1
	s_or_b32 exec_lo, exec_lo, s15
	s_mov_b32 s15, exec_lo
	v_cmpx_lt_u64_e64 s[6:7], v[21:22]
	s_cbranch_execz .LBB340_1128
; %bb.1121:                             ;   in Loop: Header=BB340_800 Depth=1
	v_cmp_ne_u32_sdwa s4, v22, v55 src0_sel:BYTE_3 src1_sel:DWORD
	v_bfrev_b32_e32 v18, 1
	s_and_saveexec_b32 s18, s4
	s_cbranch_execz .LBB340_1127
; %bb.1122:                             ;   in Loop: Header=BB340_800 Depth=1
	v_bfe_u32 v21, v22, 24, 7
	v_mov_b32_e32 v18, 0x7f800001
	s_mov_b32 s19, exec_lo
	v_cmpx_ne_u32_e32 0x7f, v21
	s_cbranch_execz .LBB340_1126
; %bb.1123:                             ;   in Loop: Header=BB340_800 Depth=1
	v_mov_b32_e32 v11, 7
	v_lshrrev_b32_e32 v18, 3, v21
	s_mov_b32 s20, exec_lo
	v_and_b32_sdwa v11, v22, v11 dst_sel:DWORD dst_unused:UNUSED_PAD src0_sel:BYTE_3 src1_sel:DWORD
	v_mov_b32_e32 v24, v12
	v_mov_b32_e32 v23, v11
	v_cmpx_gt_u32_e32 8, v21
; %bb.1124:                             ;   in Loop: Header=BB340_800 Depth=1
	v_ffbh_u32_e32 v18, v11
	v_min_u32_e32 v18, 32, v18
	v_subrev_nc_u32_e32 v21, 28, v18
	v_sub_nc_u32_e32 v18, 29, v18
	v_lshlrev_b64 v[23:24], v21, v[11:12]
	v_and_b32_e32 v23, 7, v23
; %bb.1125:                             ;   in Loop: Header=BB340_800 Depth=1
	s_or_b32 exec_lo, exec_lo, s20
	v_mov_b32_e32 v11, 24
	v_lshlrev_b32_e32 v21, 20, v23
	v_lshl_add_u32 v18, v18, 23, 0x3c000000
	v_lshlrev_b32_sdwa v11, v11, v22 dst_sel:DWORD dst_unused:UNUSED_PAD src0_sel:DWORD src1_sel:BYTE_3
	v_and_b32_e32 v11, 0x80000000, v11
	v_or3_b32 v18, v21, v11, v18
.LBB340_1126:                           ;   in Loop: Header=BB340_800 Depth=1
	s_or_b32 exec_lo, exec_lo, s19
.LBB340_1127:                           ;   in Loop: Header=BB340_800 Depth=1
	s_or_b32 exec_lo, exec_lo, s18
.LBB340_1128:                           ;   in Loop: Header=BB340_800 Depth=1
	s_or_b32 exec_lo, exec_lo, s15
	v_mul_f32_e32 v11, v52, v17
	v_mul_f32_e32 v14, v52, v14
	;; [unrolled: 1-line block ×5, first 2 shown]
	v_bfe_u32 v1, v11, 16, 1
	v_or_b32_e32 v21, 0x400000, v11
	v_bfe_u32 v22, v14, 16, 1
	v_cmp_u_f32_e64 s4, v11, v11
	v_or_b32_e32 v23, 0x400000, v14
	v_add3_u32 v1, v1, v11, 0x7fff
	v_bfe_u32 v24, v13, 16, 1
	v_add3_u32 v22, v22, v14, 0x7fff
	v_or_b32_e32 v28, 0x400000, v13
	v_bfe_u32 v29, v17, 16, 1
	v_cndmask_b32_e64 v1, v1, v21, s4
	v_cmp_u_f32_e64 s4, v14, v14
	v_add3_u32 v24, v24, v13, 0x7fff
	v_mul_f32_e32 v14, v52, v0
	v_add3_u32 v21, v29, v17, 0x7fff
	v_mul_f32_e32 v18, v52, v18
	v_cndmask_b32_e64 v11, v22, v23, s4
	v_cmp_u_f32_e64 s4, v13, v13
	v_or_b32_e32 v22, 0x400000, v17
	v_lshrrev_b32_e32 v1, 16, v1
	v_lshrrev_b32_e32 v0, 16, v11
	v_cndmask_b32_e64 v13, v24, v28, s4
	v_bfe_u32 v11, v14, 16, 1
	v_cmp_u_f32_e64 s4, v17, v17
	v_mul_f32_e32 v17, v52, v25
	v_or_b32_e32 v25, 0x400000, v18
	v_lshrrev_b32_e32 v30, 16, v13
	v_add3_u32 v11, v11, v14, 0x7fff
	v_cndmask_b32_e64 v13, v21, v22, s4
	v_or_b32_e32 v21, 0x400000, v14
	v_bfe_u32 v22, v10, 16, 1
	v_cmp_u_f32_e64 s4, v14, v14
	v_bfe_u32 v23, v17, 16, 1
	v_bfe_u32 v14, v18, 16, 1
	v_or_b32_e32 v24, 0x400000, v17
	v_lshrrev_b32_e32 v31, 16, v13
	v_cndmask_b32_e64 v11, v11, v21, s4
	v_add3_u32 v21, v22, v10, 0x7fff
	v_or_b32_e32 v22, 0x400000, v10
	v_cmp_u_f32_e64 s4, v10, v10
	v_add3_u32 v23, v23, v17, 0x7fff
	v_add3_u32 v14, v14, v18, 0x7fff
	v_lshrrev_b32_e32 v61, 16, v11
	v_cndmask_b32_e64 v10, v21, v22, s4
	v_cmp_u_f32_e64 s4, v17, v17
	v_lshrrev_b32_e32 v60, 16, v10
	v_cndmask_b32_e64 v17, v23, v24, s4
	v_cmp_u_f32_e64 s4, v18, v18
	v_lshrrev_b32_e32 v28, 16, v17
	v_cndmask_b32_e64 v14, v14, v25, s4
	v_lshrrev_b32_e32 v29, 16, v14
	s_and_saveexec_b32 s15, vcc_lo
	s_cbranch_execz .LBB340_1130
; %bb.1129:                             ;   in Loop: Header=BB340_800 Depth=1
	v_cmp_lt_i32_e64 s4, v117, v32
	v_cndmask_b32_e64 v60, 0, v60, s4
	v_cmp_lt_i32_e64 s4, v43, v32
	v_cndmask_b32_e64 v61, 0, v61, s4
	;; [unrolled: 2-line block ×8, first 2 shown]
.LBB340_1130:                           ;   in Loop: Header=BB340_800 Depth=1
	s_or_b32 exec_lo, exec_lo, s15
	flat_load_dwordx2 v[21:22], v[19:20] offset:1280
	v_mov_b32_e32 v13, 0
	v_mov_b32_e32 v10, 0
	s_waitcnt vmcnt(0) lgkmcnt(0)
	v_cmp_ne_u16_sdwa s4, v21, v12 src0_sel:BYTE_0 src1_sel:DWORD
	s_and_saveexec_b32 s15, s4
	s_cbranch_execz .LBB340_1138
; %bb.1131:                             ;   in Loop: Header=BB340_800 Depth=1
	v_cmp_ne_u16_sdwa s4, v21, v55 src0_sel:BYTE_0 src1_sel:DWORD
	v_bfrev_b32_e32 v10, 1
	s_and_saveexec_b32 s18, s4
	s_cbranch_execz .LBB340_1137
; %bb.1132:                             ;   in Loop: Header=BB340_800 Depth=1
	v_and_b32_e32 v11, 0x7f, v21
	v_mov_b32_e32 v10, 0x7f800001
	s_mov_b32 s19, exec_lo
	v_cmpx_ne_u32_e32 0x7f, v11
	s_cbranch_execz .LBB340_1136
; %bb.1133:                             ;   in Loop: Header=BB340_800 Depth=1
	v_lshrrev_b32_e32 v14, 3, v11
	v_cmp_gt_u32_e64 s4, 8, v11
	v_mov_b32_e32 v10, v21
	v_mov_b32_e32 v11, v22
	s_and_saveexec_b32 s20, s4
; %bb.1134:                             ;   in Loop: Header=BB340_800 Depth=1
	v_and_b32_e32 v10, 7, v21
	v_ffbh_u32_e32 v10, v10
	v_min_u32_e32 v14, 32, v10
	v_subrev_nc_u32_e32 v10, 28, v14
	v_sub_nc_u32_e32 v14, 29, v14
	v_lshlrev_b64 v[10:11], v10, v[21:22]
; %bb.1135:                             ;   in Loop: Header=BB340_800 Depth=1
	s_or_b32 exec_lo, exec_lo, s20
	v_lshlrev_b32_e32 v10, 20, v10
	v_lshlrev_b32_e32 v11, 24, v21
	v_lshl_add_u32 v14, v14, 23, 0x3c000000
	v_and_b32_e32 v10, 0x700000, v10
	v_and_b32_e32 v11, 0x80000000, v11
	v_or3_b32 v10, v10, v11, v14
.LBB340_1136:                           ;   in Loop: Header=BB340_800 Depth=1
	s_or_b32 exec_lo, exec_lo, s19
.LBB340_1137:                           ;   in Loop: Header=BB340_800 Depth=1
	s_or_b32 exec_lo, exec_lo, s18
.LBB340_1138:                           ;   in Loop: Header=BB340_800 Depth=1
	s_or_b32 exec_lo, exec_lo, s15
	v_cmp_ne_u16_sdwa s4, v21, v12 src0_sel:BYTE_1 src1_sel:DWORD
	s_and_saveexec_b32 s15, s4
	s_cbranch_execz .LBB340_1146
; %bb.1139:                             ;   in Loop: Header=BB340_800 Depth=1
	v_cmp_ne_u16_sdwa s4, v21, v55 src0_sel:BYTE_1 src1_sel:DWORD
	v_bfrev_b32_e32 v13, 1
	s_and_saveexec_b32 s18, s4
	s_cbranch_execz .LBB340_1145
; %bb.1140:                             ;   in Loop: Header=BB340_800 Depth=1
	v_mov_b32_e32 v11, 0xffff
	v_mov_b32_e32 v13, 0x7f800001
	s_mov_b32 s19, exec_lo
	v_and_b32_sdwa v11, v11, v21 dst_sel:DWORD dst_unused:UNUSED_PAD src0_sel:DWORD src1_sel:BYTE_1
	v_and_b32_e32 v14, 0x7f, v11
	v_cmpx_ne_u32_e32 0x7f, v14
	s_cbranch_execz .LBB340_1144
; %bb.1141:                             ;   in Loop: Header=BB340_800 Depth=1
	v_and_b32_e32 v11, 7, v11
	v_mov_b32_e32 v24, v12
	v_lshrrev_b32_e32 v13, 3, v14
	s_mov_b32 s20, exec_lo
	v_mov_b32_e32 v23, v11
	v_cmpx_gt_u32_e32 8, v14
; %bb.1142:                             ;   in Loop: Header=BB340_800 Depth=1
	v_ffbh_u32_e32 v13, v11
	v_min_u32_e32 v13, 32, v13
	v_subrev_nc_u32_e32 v14, 28, v13
	v_sub_nc_u32_e32 v13, 29, v13
	v_lshlrev_b64 v[17:18], v14, v[11:12]
	v_and_b32_e32 v23, 7, v17
; %bb.1143:                             ;   in Loop: Header=BB340_800 Depth=1
	s_or_b32 exec_lo, exec_lo, s20
	v_lshlrev_b32_e32 v11, 16, v21
	v_lshlrev_b32_e32 v14, 20, v23
	v_lshl_add_u32 v13, v13, 23, 0x3c000000
	v_and_b32_e32 v11, 0x80000000, v11
	v_or3_b32 v13, v14, v11, v13
.LBB340_1144:                           ;   in Loop: Header=BB340_800 Depth=1
	s_or_b32 exec_lo, exec_lo, s19
.LBB340_1145:                           ;   in Loop: Header=BB340_800 Depth=1
	s_or_b32 exec_lo, exec_lo, s18
.LBB340_1146:                           ;   in Loop: Header=BB340_800 Depth=1
	s_or_b32 exec_lo, exec_lo, s15
	v_and_b32_sdwa v11, v21, v65 dst_sel:DWORD dst_unused:UNUSED_PAD src0_sel:WORD_1 src1_sel:DWORD
	v_mov_b32_e32 v17, 0
	v_mov_b32_e32 v14, 0
	s_mov_b32 s15, exec_lo
	v_cmpx_ne_u16_e32 0, v11
	s_cbranch_execz .LBB340_1154
; %bb.1147:                             ;   in Loop: Header=BB340_800 Depth=1
	v_bfrev_b32_e32 v14, 1
	s_mov_b32 s18, exec_lo
	v_cmpx_ne_u16_e32 0x80, v11
	s_cbranch_execz .LBB340_1153
; %bb.1148:                             ;   in Loop: Header=BB340_800 Depth=1
	v_bfe_u32 v18, v21, 16, 7
	v_mov_b32_e32 v14, 0x7f800001
	s_mov_b32 s19, exec_lo
	v_cmpx_ne_u32_e32 0x7f, v18
	s_cbranch_execz .LBB340_1152
; %bb.1149:                             ;   in Loop: Header=BB340_800 Depth=1
	v_mov_b32_e32 v11, 7
	v_lshrrev_b32_e32 v14, 3, v18
	s_mov_b32 s20, exec_lo
	v_and_b32_sdwa v11, v21, v11 dst_sel:DWORD dst_unused:UNUSED_PAD src0_sel:WORD_1 src1_sel:DWORD
	v_mov_b32_e32 v24, v12
	v_mov_b32_e32 v23, v11
	v_cmpx_gt_u32_e32 8, v18
; %bb.1150:                             ;   in Loop: Header=BB340_800 Depth=1
	v_ffbh_u32_e32 v14, v11
	v_min_u32_e32 v14, 32, v14
	v_subrev_nc_u32_e32 v18, 28, v14
	v_sub_nc_u32_e32 v14, 29, v14
	v_lshlrev_b64 v[23:24], v18, v[11:12]
	v_and_b32_e32 v23, 7, v23
; %bb.1151:                             ;   in Loop: Header=BB340_800 Depth=1
	s_or_b32 exec_lo, exec_lo, s20
	v_mov_b32_e32 v11, 24
	v_lshlrev_b32_e32 v18, 20, v23
	v_lshl_add_u32 v14, v14, 23, 0x3c000000
	v_lshlrev_b32_sdwa v11, v11, v21 dst_sel:DWORD dst_unused:UNUSED_PAD src0_sel:DWORD src1_sel:WORD_1
	v_and_b32_e32 v11, 0x80000000, v11
	v_or3_b32 v14, v18, v11, v14
.LBB340_1152:                           ;   in Loop: Header=BB340_800 Depth=1
	s_or_b32 exec_lo, exec_lo, s19
.LBB340_1153:                           ;   in Loop: Header=BB340_800 Depth=1
	s_or_b32 exec_lo, exec_lo, s18
.LBB340_1154:                           ;   in Loop: Header=BB340_800 Depth=1
	s_or_b32 exec_lo, exec_lo, s15
	s_mov_b32 s15, exec_lo
	v_cmpx_lt_u32_e32 0xffffff, v21
	s_cbranch_execz .LBB340_1162
; %bb.1155:                             ;   in Loop: Header=BB340_800 Depth=1
	v_cmp_ne_u32_sdwa s4, v21, v55 src0_sel:BYTE_3 src1_sel:DWORD
	v_bfrev_b32_e32 v17, 1
	s_and_saveexec_b32 s18, s4
	s_cbranch_execz .LBB340_1161
; %bb.1156:                             ;   in Loop: Header=BB340_800 Depth=1
	v_bfe_u32 v18, v21, 24, 7
	v_mov_b32_e32 v17, 0x7f800001
	s_mov_b32 s19, exec_lo
	v_cmpx_ne_u32_e32 0x7f, v18
	s_cbranch_execz .LBB340_1160
; %bb.1157:                             ;   in Loop: Header=BB340_800 Depth=1
	v_mov_b32_e32 v11, 7
	v_lshrrev_b32_e32 v17, 3, v18
	s_mov_b32 s20, exec_lo
	v_and_b32_sdwa v11, v21, v11 dst_sel:DWORD dst_unused:UNUSED_PAD src0_sel:BYTE_3 src1_sel:DWORD
	v_mov_b32_e32 v24, v12
	v_mov_b32_e32 v23, v11
	v_cmpx_gt_u32_e32 8, v18
; %bb.1158:                             ;   in Loop: Header=BB340_800 Depth=1
	v_ffbh_u32_e32 v17, v11
	v_min_u32_e32 v17, 32, v17
	v_subrev_nc_u32_e32 v18, 28, v17
	v_sub_nc_u32_e32 v17, 29, v17
	v_lshlrev_b64 v[23:24], v18, v[11:12]
	v_and_b32_e32 v23, 7, v23
; %bb.1159:                             ;   in Loop: Header=BB340_800 Depth=1
	s_or_b32 exec_lo, exec_lo, s20
	v_mov_b32_e32 v11, 24
	v_lshlrev_b32_e32 v18, 20, v23
	v_lshl_add_u32 v17, v17, 23, 0x3c000000
	v_lshlrev_b32_sdwa v11, v11, v21 dst_sel:DWORD dst_unused:UNUSED_PAD src0_sel:DWORD src1_sel:BYTE_3
	v_and_b32_e32 v11, 0x80000000, v11
	v_or3_b32 v17, v18, v11, v17
.LBB340_1160:                           ;   in Loop: Header=BB340_800 Depth=1
	s_or_b32 exec_lo, exec_lo, s19
.LBB340_1161:                           ;   in Loop: Header=BB340_800 Depth=1
	s_or_b32 exec_lo, exec_lo, s18
.LBB340_1162:                           ;   in Loop: Header=BB340_800 Depth=1
	s_or_b32 exec_lo, exec_lo, s15
	v_mov_b32_e32 v11, v22
	v_cmp_ne_u16_sdwa s4, v22, v12 src0_sel:BYTE_0 src1_sel:DWORD
	v_mov_b32_e32 v25, 0
	v_mov_b32_e32 v18, 0
	s_and_saveexec_b32 s15, s4
	s_cbranch_execz .LBB340_1170
; %bb.1163:                             ;   in Loop: Header=BB340_800 Depth=1
	v_cmp_ne_u16_sdwa s4, v22, v55 src0_sel:BYTE_0 src1_sel:DWORD
	v_bfrev_b32_e32 v18, 1
	s_and_saveexec_b32 s18, s4
	s_cbranch_execz .LBB340_1169
; %bb.1164:                             ;   in Loop: Header=BB340_800 Depth=1
	v_and_b32_e32 v23, 0x7f, v22
	v_mov_b32_e32 v18, 0x7f800001
	s_mov_b32 s19, exec_lo
	v_cmpx_ne_u32_e32 0x7f, v23
	s_cbranch_execz .LBB340_1168
; %bb.1165:                             ;   in Loop: Header=BB340_800 Depth=1
	v_lshrrev_b32_e32 v18, 3, v23
	v_cmp_gt_u32_e64 s4, 8, v23
	v_mov_b32_e32 v24, v12
	v_mov_b32_e32 v23, v11
	s_and_saveexec_b32 s20, s4
; %bb.1166:                             ;   in Loop: Header=BB340_800 Depth=1
	v_and_b32_e32 v18, 7, v22
	v_ffbh_u32_e32 v18, v18
	v_min_u32_e32 v18, 32, v18
	v_subrev_nc_u32_e32 v23, 28, v18
	v_sub_nc_u32_e32 v18, 29, v18
	v_lshlrev_b64 v[23:24], v23, v[11:12]
; %bb.1167:                             ;   in Loop: Header=BB340_800 Depth=1
	s_or_b32 exec_lo, exec_lo, s20
	v_lshlrev_b32_e32 v23, 20, v23
	v_lshlrev_b32_e32 v24, 24, v11
	v_lshl_add_u32 v18, v18, 23, 0x3c000000
	v_and_b32_e32 v23, 0x700000, v23
	v_and_b32_e32 v24, 0x80000000, v24
	v_or3_b32 v18, v23, v24, v18
.LBB340_1168:                           ;   in Loop: Header=BB340_800 Depth=1
	s_or_b32 exec_lo, exec_lo, s19
.LBB340_1169:                           ;   in Loop: Header=BB340_800 Depth=1
	s_or_b32 exec_lo, exec_lo, s18
.LBB340_1170:                           ;   in Loop: Header=BB340_800 Depth=1
	s_or_b32 exec_lo, exec_lo, s15
	v_cmp_ne_u16_sdwa s4, v11, v12 src0_sel:BYTE_1 src1_sel:DWORD
	s_and_saveexec_b32 s15, s4
	s_cbranch_execz .LBB340_1178
; %bb.1171:                             ;   in Loop: Header=BB340_800 Depth=1
	v_cmp_ne_u16_sdwa s4, v11, v55 src0_sel:BYTE_1 src1_sel:DWORD
	v_bfrev_b32_e32 v25, 1
	s_and_saveexec_b32 s18, s4
	s_cbranch_execz .LBB340_1177
; %bb.1172:                             ;   in Loop: Header=BB340_800 Depth=1
	v_mov_b32_e32 v23, 0xffff
	v_mov_b32_e32 v25, 0x7f800001
	s_mov_b32 s19, exec_lo
	v_and_b32_sdwa v23, v23, v11 dst_sel:DWORD dst_unused:UNUSED_PAD src0_sel:DWORD src1_sel:BYTE_1
	v_and_b32_e32 v33, 0x7f, v23
	v_cmpx_ne_u32_e32 0x7f, v33
	s_cbranch_execz .LBB340_1176
; %bb.1173:                             ;   in Loop: Header=BB340_800 Depth=1
	v_and_b32_e32 v23, 7, v23
	v_mov_b32_e32 v24, v12
	v_lshrrev_b32_e32 v25, 3, v33
	s_mov_b32 s20, exec_lo
	v_cmpx_gt_u32_e32 8, v33
; %bb.1174:                             ;   in Loop: Header=BB340_800 Depth=1
	v_ffbh_u32_e32 v25, v23
	v_min_u32_e32 v25, 32, v25
	v_subrev_nc_u32_e32 v33, 28, v25
	v_sub_nc_u32_e32 v25, 29, v25
	v_lshlrev_b64 v[23:24], v33, v[23:24]
	v_and_b32_e32 v23, 7, v23
; %bb.1175:                             ;   in Loop: Header=BB340_800 Depth=1
	s_or_b32 exec_lo, exec_lo, s20
	v_lshlrev_b32_e32 v11, 16, v11
	v_lshlrev_b32_e32 v23, 20, v23
	v_lshl_add_u32 v24, v25, 23, 0x3c000000
	v_and_b32_e32 v11, 0x80000000, v11
	v_or3_b32 v25, v23, v11, v24
.LBB340_1176:                           ;   in Loop: Header=BB340_800 Depth=1
	s_or_b32 exec_lo, exec_lo, s19
.LBB340_1177:                           ;   in Loop: Header=BB340_800 Depth=1
	s_or_b32 exec_lo, exec_lo, s18
.LBB340_1178:                           ;   in Loop: Header=BB340_800 Depth=1
	s_or_b32 exec_lo, exec_lo, s15
	v_and_b32_sdwa v11, v22, v65 dst_sel:DWORD dst_unused:UNUSED_PAD src0_sel:WORD_1 src1_sel:DWORD
	v_mov_b32_e32 v33, 0
	v_mov_b32_e32 v64, 0
	s_mov_b32 s15, exec_lo
	v_cmpx_ne_u16_e32 0, v11
	s_cbranch_execz .LBB340_1186
; %bb.1179:                             ;   in Loop: Header=BB340_800 Depth=1
	v_bfrev_b32_e32 v64, 1
	s_mov_b32 s18, exec_lo
	v_cmpx_ne_u16_e32 0x80, v11
	s_cbranch_execz .LBB340_1185
; %bb.1180:                             ;   in Loop: Header=BB340_800 Depth=1
	v_bfe_u32 v23, v22, 16, 7
	v_mov_b32_e32 v64, 0x7f800001
	s_mov_b32 s19, exec_lo
	v_cmpx_ne_u32_e32 0x7f, v23
	s_cbranch_execz .LBB340_1184
; %bb.1181:                             ;   in Loop: Header=BB340_800 Depth=1
	v_mov_b32_e32 v11, 7
	v_lshrrev_b32_e32 v64, 3, v23
	v_cmp_gt_u32_e64 s4, 8, v23
	v_and_b32_sdwa v11, v22, v11 dst_sel:DWORD dst_unused:UNUSED_PAD src0_sel:WORD_1 src1_sel:DWORD
	v_mov_b32_e32 v24, v12
	v_mov_b32_e32 v23, v11
	s_and_saveexec_b32 s20, s4
; %bb.1182:                             ;   in Loop: Header=BB340_800 Depth=1
	v_ffbh_u32_e32 v23, v11
	v_min_u32_e32 v64, 32, v23
	v_subrev_nc_u32_e32 v23, 28, v64
	v_sub_nc_u32_e32 v64, 29, v64
	v_lshlrev_b64 v[23:24], v23, v[11:12]
	v_and_b32_e32 v23, 7, v23
; %bb.1183:                             ;   in Loop: Header=BB340_800 Depth=1
	s_or_b32 exec_lo, exec_lo, s20
	v_mov_b32_e32 v11, 24
	v_lshlrev_b32_e32 v23, 20, v23
	v_lshl_add_u32 v24, v64, 23, 0x3c000000
	v_lshlrev_b32_sdwa v11, v11, v22 dst_sel:DWORD dst_unused:UNUSED_PAD src0_sel:DWORD src1_sel:WORD_1
	v_and_b32_e32 v11, 0x80000000, v11
	v_or3_b32 v64, v23, v11, v24
.LBB340_1184:                           ;   in Loop: Header=BB340_800 Depth=1
	s_or_b32 exec_lo, exec_lo, s19
.LBB340_1185:                           ;   in Loop: Header=BB340_800 Depth=1
	s_or_b32 exec_lo, exec_lo, s18
.LBB340_1186:                           ;   in Loop: Header=BB340_800 Depth=1
	s_or_b32 exec_lo, exec_lo, s15
	s_mov_b32 s15, exec_lo
	v_cmpx_lt_u64_e64 s[6:7], v[21:22]
	s_cbranch_execz .LBB340_1194
; %bb.1187:                             ;   in Loop: Header=BB340_800 Depth=1
	v_cmp_ne_u32_sdwa s4, v22, v55 src0_sel:BYTE_3 src1_sel:DWORD
	v_bfrev_b32_e32 v33, 1
	s_and_saveexec_b32 s18, s4
	s_cbranch_execz .LBB340_1193
; %bb.1188:                             ;   in Loop: Header=BB340_800 Depth=1
	v_bfe_u32 v23, v22, 24, 7
	v_mov_b32_e32 v33, 0x7f800001
	s_mov_b32 s19, exec_lo
	v_cmpx_ne_u32_e32 0x7f, v23
	s_cbranch_execz .LBB340_1192
; %bb.1189:                             ;   in Loop: Header=BB340_800 Depth=1
	v_mov_b32_e32 v11, 7
	v_lshrrev_b32_e32 v21, 3, v23
	v_cmp_gt_u32_e64 s4, 8, v23
	v_and_b32_sdwa v11, v22, v11 dst_sel:DWORD dst_unused:UNUSED_PAD src0_sel:BYTE_3 src1_sel:DWORD
	v_mov_b32_e32 v24, v12
	v_mov_b32_e32 v23, v11
	s_and_saveexec_b32 s20, s4
; %bb.1190:                             ;   in Loop: Header=BB340_800 Depth=1
	v_ffbh_u32_e32 v21, v11
	v_min_u32_e32 v21, 32, v21
	v_subrev_nc_u32_e32 v23, 28, v21
	v_sub_nc_u32_e32 v21, 29, v21
	v_lshlrev_b64 v[23:24], v23, v[11:12]
	v_and_b32_e32 v23, 7, v23
; %bb.1191:                             ;   in Loop: Header=BB340_800 Depth=1
	s_or_b32 exec_lo, exec_lo, s20
	v_mov_b32_e32 v11, 24
	v_lshl_add_u32 v21, v21, 23, 0x3c000000
	v_lshlrev_b32_sdwa v11, v11, v22 dst_sel:DWORD dst_unused:UNUSED_PAD src0_sel:DWORD src1_sel:BYTE_3
	v_lshlrev_b32_e32 v22, 20, v23
	v_and_b32_e32 v11, 0x80000000, v11
	v_or3_b32 v33, v22, v11, v21
.LBB340_1192:                           ;   in Loop: Header=BB340_800 Depth=1
	s_or_b32 exec_lo, exec_lo, s19
.LBB340_1193:                           ;   in Loop: Header=BB340_800 Depth=1
	s_or_b32 exec_lo, exec_lo, s18
.LBB340_1194:                           ;   in Loop: Header=BB340_800 Depth=1
	s_or_b32 exec_lo, exec_lo, s15
	v_mul_f32_e32 v11, v52, v25
	v_mul_f32_e32 v18, v52, v18
	;; [unrolled: 1-line block ×5, first 2 shown]
	v_bfe_u32 v21, v11, 16, 1
	v_or_b32_e32 v22, 0x400000, v11
	v_bfe_u32 v23, v18, 16, 1
	v_cmp_u_f32_e64 s4, v11, v11
	v_or_b32_e32 v24, 0x400000, v18
	v_add3_u32 v21, v21, v11, 0x7fff
	v_bfe_u32 v25, v17, 16, 1
	v_add3_u32 v23, v23, v18, 0x7fff
	v_or_b32_e32 v66, 0x400000, v17
	v_bfe_u32 v67, v14, 16, 1
	v_cndmask_b32_e64 v11, v21, v22, s4
	v_cmp_u_f32_e64 s4, v18, v18
	v_add3_u32 v25, v25, v17, 0x7fff
	v_or_b32_e32 v21, 0x400000, v14
	v_mul_f32_e32 v22, v52, v33
	v_lshrrev_b32_e32 v62, 16, v11
	v_cndmask_b32_e64 v18, v23, v24, s4
	v_cmp_u_f32_e64 s4, v17, v17
	v_mul_f32_e32 v11, v52, v13
	v_add3_u32 v13, v67, v14, 0x7fff
	v_bfe_u32 v23, v10, 16, 1
	v_or_b32_e32 v33, 0x400000, v22
	v_cndmask_b32_e64 v17, v25, v66, s4
	v_cmp_u_f32_e64 s4, v14, v14
	v_mul_f32_e32 v14, v52, v64
	v_lshrrev_b32_e32 v18, 16, v18
	v_lshrrev_b32_e32 v73, 16, v17
	v_bfe_u32 v17, v11, 16, 1
	v_cndmask_b32_e64 v13, v13, v21, s4
	v_or_b32_e32 v21, 0x400000, v11
	v_cmp_u_f32_e64 s4, v11, v11
	v_bfe_u32 v24, v14, 16, 1
	v_add3_u32 v17, v17, v11, 0x7fff
	v_or_b32_e32 v25, 0x400000, v14
	v_lshrrev_b32_e32 v74, 16, v13
	v_add3_u32 v24, v24, v14, 0x7fff
	v_cndmask_b32_e64 v11, v17, v21, s4
	v_add3_u32 v21, v23, v10, 0x7fff
	v_or_b32_e32 v23, 0x400000, v10
	v_cmp_u_f32_e64 s4, v10, v10
	v_bfe_u32 v17, v22, 16, 1
	v_lshrrev_b32_e32 v76, 16, v11
	v_cndmask_b32_e64 v10, v21, v23, s4
	v_cmp_u_f32_e64 s4, v14, v14
	v_add3_u32 v17, v17, v22, 0x7fff
	v_lshrrev_b32_e32 v75, 16, v10
	v_cndmask_b32_e64 v14, v24, v25, s4
	v_cmp_u_f32_e64 s4, v22, v22
	v_lshrrev_b32_e32 v63, 16, v14
	v_cndmask_b32_e64 v17, v17, v33, s4
	v_lshrrev_b32_e32 v72, 16, v17
	s_and_saveexec_b32 s15, vcc_lo
	s_cbranch_execz .LBB340_1196
; %bb.1195:                             ;   in Loop: Header=BB340_800 Depth=1
	v_cmp_lt_i32_e64 s4, v117, v32
	v_cndmask_b32_e64 v75, 0, v75, s4
	v_cmp_lt_i32_e64 s4, v43, v32
	v_cndmask_b32_e64 v76, 0, v76, s4
	;; [unrolled: 2-line block ×8, first 2 shown]
.LBB340_1196:                           ;   in Loop: Header=BB340_800 Depth=1
	s_or_b32 exec_lo, exec_lo, s15
	flat_load_dwordx2 v[21:22], v[19:20] offset:1536
	v_mov_b32_e32 v13, 0
	v_mov_b32_e32 v10, 0
	s_waitcnt vmcnt(0) lgkmcnt(0)
	v_cmp_ne_u16_sdwa s4, v21, v12 src0_sel:BYTE_0 src1_sel:DWORD
	s_and_saveexec_b32 s15, s4
	s_cbranch_execz .LBB340_1204
; %bb.1197:                             ;   in Loop: Header=BB340_800 Depth=1
	v_cmp_ne_u16_sdwa s4, v21, v55 src0_sel:BYTE_0 src1_sel:DWORD
	v_bfrev_b32_e32 v10, 1
	s_and_saveexec_b32 s18, s4
	s_cbranch_execz .LBB340_1203
; %bb.1198:                             ;   in Loop: Header=BB340_800 Depth=1
	v_and_b32_e32 v11, 0x7f, v21
	v_mov_b32_e32 v10, 0x7f800001
	s_mov_b32 s19, exec_lo
	v_cmpx_ne_u32_e32 0x7f, v11
	s_cbranch_execz .LBB340_1202
; %bb.1199:                             ;   in Loop: Header=BB340_800 Depth=1
	v_lshrrev_b32_e32 v14, 3, v11
	v_cmp_gt_u32_e64 s4, 8, v11
	v_mov_b32_e32 v10, v21
	v_mov_b32_e32 v11, v22
	s_and_saveexec_b32 s20, s4
; %bb.1200:                             ;   in Loop: Header=BB340_800 Depth=1
	v_and_b32_e32 v10, 7, v21
	v_ffbh_u32_e32 v10, v10
	v_min_u32_e32 v14, 32, v10
	v_subrev_nc_u32_e32 v10, 28, v14
	v_sub_nc_u32_e32 v14, 29, v14
	v_lshlrev_b64 v[10:11], v10, v[21:22]
; %bb.1201:                             ;   in Loop: Header=BB340_800 Depth=1
	s_or_b32 exec_lo, exec_lo, s20
	v_lshlrev_b32_e32 v10, 20, v10
	v_lshlrev_b32_e32 v11, 24, v21
	v_lshl_add_u32 v14, v14, 23, 0x3c000000
	v_and_b32_e32 v10, 0x700000, v10
	v_and_b32_e32 v11, 0x80000000, v11
	v_or3_b32 v10, v10, v11, v14
.LBB340_1202:                           ;   in Loop: Header=BB340_800 Depth=1
	s_or_b32 exec_lo, exec_lo, s19
.LBB340_1203:                           ;   in Loop: Header=BB340_800 Depth=1
	s_or_b32 exec_lo, exec_lo, s18
.LBB340_1204:                           ;   in Loop: Header=BB340_800 Depth=1
	s_or_b32 exec_lo, exec_lo, s15
	v_cmp_ne_u16_sdwa s4, v21, v12 src0_sel:BYTE_1 src1_sel:DWORD
	s_and_saveexec_b32 s15, s4
	s_cbranch_execz .LBB340_1212
; %bb.1205:                             ;   in Loop: Header=BB340_800 Depth=1
	v_cmp_ne_u16_sdwa s4, v21, v55 src0_sel:BYTE_1 src1_sel:DWORD
	v_bfrev_b32_e32 v13, 1
	s_and_saveexec_b32 s18, s4
	s_cbranch_execz .LBB340_1211
; %bb.1206:                             ;   in Loop: Header=BB340_800 Depth=1
	v_mov_b32_e32 v11, 0xffff
	v_mov_b32_e32 v13, 0x7f800001
	s_mov_b32 s19, exec_lo
	v_and_b32_sdwa v11, v11, v21 dst_sel:DWORD dst_unused:UNUSED_PAD src0_sel:DWORD src1_sel:BYTE_1
	v_and_b32_e32 v14, 0x7f, v11
	v_cmpx_ne_u32_e32 0x7f, v14
	s_cbranch_execz .LBB340_1210
; %bb.1207:                             ;   in Loop: Header=BB340_800 Depth=1
	v_and_b32_e32 v11, 7, v11
	v_mov_b32_e32 v24, v12
	v_lshrrev_b32_e32 v13, 3, v14
	s_mov_b32 s20, exec_lo
	v_mov_b32_e32 v23, v11
	v_cmpx_gt_u32_e32 8, v14
; %bb.1208:                             ;   in Loop: Header=BB340_800 Depth=1
	v_ffbh_u32_e32 v13, v11
	v_min_u32_e32 v13, 32, v13
	v_subrev_nc_u32_e32 v14, 28, v13
	v_sub_nc_u32_e32 v13, 29, v13
	v_lshlrev_b64 v[23:24], v14, v[11:12]
	v_and_b32_e32 v23, 7, v23
; %bb.1209:                             ;   in Loop: Header=BB340_800 Depth=1
	s_or_b32 exec_lo, exec_lo, s20
	v_lshlrev_b32_e32 v11, 16, v21
	v_lshlrev_b32_e32 v14, 20, v23
	v_lshl_add_u32 v13, v13, 23, 0x3c000000
	v_and_b32_e32 v11, 0x80000000, v11
	v_or3_b32 v13, v14, v11, v13
.LBB340_1210:                           ;   in Loop: Header=BB340_800 Depth=1
	s_or_b32 exec_lo, exec_lo, s19
.LBB340_1211:                           ;   in Loop: Header=BB340_800 Depth=1
	s_or_b32 exec_lo, exec_lo, s18
.LBB340_1212:                           ;   in Loop: Header=BB340_800 Depth=1
	s_or_b32 exec_lo, exec_lo, s15
	v_and_b32_sdwa v11, v21, v65 dst_sel:DWORD dst_unused:UNUSED_PAD src0_sel:WORD_1 src1_sel:DWORD
	v_mov_b32_e32 v17, 0
	v_mov_b32_e32 v14, 0
	s_mov_b32 s15, exec_lo
	v_cmpx_ne_u16_e32 0, v11
	s_cbranch_execz .LBB340_1220
; %bb.1213:                             ;   in Loop: Header=BB340_800 Depth=1
	v_bfrev_b32_e32 v14, 1
	s_mov_b32 s18, exec_lo
	v_cmpx_ne_u16_e32 0x80, v11
	s_cbranch_execz .LBB340_1219
; %bb.1214:                             ;   in Loop: Header=BB340_800 Depth=1
	v_bfe_u32 v23, v21, 16, 7
	v_mov_b32_e32 v14, 0x7f800001
	s_mov_b32 s19, exec_lo
	v_cmpx_ne_u32_e32 0x7f, v23
	s_cbranch_execz .LBB340_1218
; %bb.1215:                             ;   in Loop: Header=BB340_800 Depth=1
	v_mov_b32_e32 v11, 7
	v_lshrrev_b32_e32 v14, 3, v23
	v_cmp_gt_u32_e64 s4, 8, v23
	v_and_b32_sdwa v11, v21, v11 dst_sel:DWORD dst_unused:UNUSED_PAD src0_sel:WORD_1 src1_sel:DWORD
	v_mov_b32_e32 v24, v12
	v_mov_b32_e32 v23, v11
	s_and_saveexec_b32 s20, s4
; %bb.1216:                             ;   in Loop: Header=BB340_800 Depth=1
	v_ffbh_u32_e32 v14, v11
	v_min_u32_e32 v14, 32, v14
	v_subrev_nc_u32_e32 v23, 28, v14
	v_sub_nc_u32_e32 v14, 29, v14
	v_lshlrev_b64 v[23:24], v23, v[11:12]
	v_and_b32_e32 v23, 7, v23
; %bb.1217:                             ;   in Loop: Header=BB340_800 Depth=1
	s_or_b32 exec_lo, exec_lo, s20
	v_mov_b32_e32 v11, 24
	v_lshlrev_b32_e32 v23, 20, v23
	v_lshl_add_u32 v14, v14, 23, 0x3c000000
	v_lshlrev_b32_sdwa v11, v11, v21 dst_sel:DWORD dst_unused:UNUSED_PAD src0_sel:DWORD src1_sel:WORD_1
	v_and_b32_e32 v11, 0x80000000, v11
	v_or3_b32 v14, v23, v11, v14
.LBB340_1218:                           ;   in Loop: Header=BB340_800 Depth=1
	s_or_b32 exec_lo, exec_lo, s19
.LBB340_1219:                           ;   in Loop: Header=BB340_800 Depth=1
	s_or_b32 exec_lo, exec_lo, s18
.LBB340_1220:                           ;   in Loop: Header=BB340_800 Depth=1
	s_or_b32 exec_lo, exec_lo, s15
	s_mov_b32 s15, exec_lo
	v_cmpx_lt_u32_e32 0xffffff, v21
	s_cbranch_execz .LBB340_1228
; %bb.1221:                             ;   in Loop: Header=BB340_800 Depth=1
	v_cmp_ne_u32_sdwa s4, v21, v55 src0_sel:BYTE_3 src1_sel:DWORD
	v_bfrev_b32_e32 v17, 1
	s_and_saveexec_b32 s18, s4
	s_cbranch_execz .LBB340_1227
; %bb.1222:                             ;   in Loop: Header=BB340_800 Depth=1
	v_bfe_u32 v23, v21, 24, 7
	v_mov_b32_e32 v17, 0x7f800001
	s_mov_b32 s19, exec_lo
	v_cmpx_ne_u32_e32 0x7f, v23
	s_cbranch_execz .LBB340_1226
; %bb.1223:                             ;   in Loop: Header=BB340_800 Depth=1
	v_mov_b32_e32 v11, 7
	v_lshrrev_b32_e32 v17, 3, v23
	v_cmp_gt_u32_e64 s4, 8, v23
	v_and_b32_sdwa v11, v21, v11 dst_sel:DWORD dst_unused:UNUSED_PAD src0_sel:BYTE_3 src1_sel:DWORD
	v_mov_b32_e32 v24, v12
	v_mov_b32_e32 v23, v11
	s_and_saveexec_b32 s20, s4
; %bb.1224:                             ;   in Loop: Header=BB340_800 Depth=1
	v_ffbh_u32_e32 v17, v11
	v_min_u32_e32 v17, 32, v17
	v_subrev_nc_u32_e32 v23, 28, v17
	v_sub_nc_u32_e32 v17, 29, v17
	v_lshlrev_b64 v[23:24], v23, v[11:12]
	v_and_b32_e32 v23, 7, v23
; %bb.1225:                             ;   in Loop: Header=BB340_800 Depth=1
	s_or_b32 exec_lo, exec_lo, s20
	v_mov_b32_e32 v11, 24
	v_lshlrev_b32_e32 v23, 20, v23
	v_lshl_add_u32 v17, v17, 23, 0x3c000000
	v_lshlrev_b32_sdwa v11, v11, v21 dst_sel:DWORD dst_unused:UNUSED_PAD src0_sel:DWORD src1_sel:BYTE_3
	v_and_b32_e32 v11, 0x80000000, v11
	v_or3_b32 v17, v23, v11, v17
.LBB340_1226:                           ;   in Loop: Header=BB340_800 Depth=1
	s_or_b32 exec_lo, exec_lo, s19
.LBB340_1227:                           ;   in Loop: Header=BB340_800 Depth=1
	s_or_b32 exec_lo, exec_lo, s18
.LBB340_1228:                           ;   in Loop: Header=BB340_800 Depth=1
	s_or_b32 exec_lo, exec_lo, s15
	v_mov_b32_e32 v11, v22
	v_cmp_ne_u16_sdwa s4, v22, v12 src0_sel:BYTE_0 src1_sel:DWORD
	v_mov_b32_e32 v33, 0
	v_mov_b32_e32 v25, 0
	s_and_saveexec_b32 s15, s4
	s_cbranch_execz .LBB340_1236
; %bb.1229:                             ;   in Loop: Header=BB340_800 Depth=1
	v_cmp_ne_u16_sdwa s4, v22, v55 src0_sel:BYTE_0 src1_sel:DWORD
	v_bfrev_b32_e32 v25, 1
	s_and_saveexec_b32 s18, s4
	s_cbranch_execz .LBB340_1235
; %bb.1230:                             ;   in Loop: Header=BB340_800 Depth=1
	v_and_b32_e32 v23, 0x7f, v22
	v_mov_b32_e32 v25, 0x7f800001
	s_mov_b32 s19, exec_lo
	v_cmpx_ne_u32_e32 0x7f, v23
	s_cbranch_execz .LBB340_1234
; %bb.1231:                             ;   in Loop: Header=BB340_800 Depth=1
	v_lshrrev_b32_e32 v25, 3, v23
	v_cmp_gt_u32_e64 s4, 8, v23
	v_mov_b32_e32 v24, v12
	v_mov_b32_e32 v23, v11
	s_and_saveexec_b32 s20, s4
; %bb.1232:                             ;   in Loop: Header=BB340_800 Depth=1
	v_and_b32_e32 v23, 7, v22
	v_ffbh_u32_e32 v23, v23
	v_min_u32_e32 v25, 32, v23
	v_subrev_nc_u32_e32 v23, 28, v25
	v_sub_nc_u32_e32 v25, 29, v25
	v_lshlrev_b64 v[23:24], v23, v[11:12]
; %bb.1233:                             ;   in Loop: Header=BB340_800 Depth=1
	s_or_b32 exec_lo, exec_lo, s20
	v_lshlrev_b32_e32 v23, 20, v23
	v_lshlrev_b32_e32 v24, 24, v11
	v_lshl_add_u32 v25, v25, 23, 0x3c000000
	v_and_b32_e32 v23, 0x700000, v23
	v_and_b32_e32 v24, 0x80000000, v24
	v_or3_b32 v25, v23, v24, v25
.LBB340_1234:                           ;   in Loop: Header=BB340_800 Depth=1
	s_or_b32 exec_lo, exec_lo, s19
.LBB340_1235:                           ;   in Loop: Header=BB340_800 Depth=1
	s_or_b32 exec_lo, exec_lo, s18
.LBB340_1236:                           ;   in Loop: Header=BB340_800 Depth=1
	s_or_b32 exec_lo, exec_lo, s15
	v_cmp_ne_u16_sdwa s4, v11, v12 src0_sel:BYTE_1 src1_sel:DWORD
	s_and_saveexec_b32 s15, s4
	s_cbranch_execz .LBB340_1244
; %bb.1237:                             ;   in Loop: Header=BB340_800 Depth=1
	v_cmp_ne_u16_sdwa s4, v11, v55 src0_sel:BYTE_1 src1_sel:DWORD
	v_bfrev_b32_e32 v33, 1
	s_and_saveexec_b32 s18, s4
	s_cbranch_execz .LBB340_1243
; %bb.1238:                             ;   in Loop: Header=BB340_800 Depth=1
	v_mov_b32_e32 v23, 0xffff
	v_mov_b32_e32 v33, 0x7f800001
	s_mov_b32 s19, exec_lo
	v_and_b32_sdwa v23, v23, v11 dst_sel:DWORD dst_unused:UNUSED_PAD src0_sel:DWORD src1_sel:BYTE_1
	v_and_b32_e32 v64, 0x7f, v23
	v_cmpx_ne_u32_e32 0x7f, v64
	s_cbranch_execz .LBB340_1242
; %bb.1239:                             ;   in Loop: Header=BB340_800 Depth=1
	v_and_b32_e32 v23, 7, v23
	v_mov_b32_e32 v24, v12
	v_lshrrev_b32_e32 v33, 3, v64
	s_mov_b32 s20, exec_lo
	v_cmpx_gt_u32_e32 8, v64
; %bb.1240:                             ;   in Loop: Header=BB340_800 Depth=1
	v_ffbh_u32_e32 v33, v23
	v_min_u32_e32 v33, 32, v33
	v_subrev_nc_u32_e32 v64, 28, v33
	v_sub_nc_u32_e32 v33, 29, v33
	v_lshlrev_b64 v[23:24], v64, v[23:24]
	v_and_b32_e32 v23, 7, v23
; %bb.1241:                             ;   in Loop: Header=BB340_800 Depth=1
	s_or_b32 exec_lo, exec_lo, s20
	v_lshlrev_b32_e32 v11, 16, v11
	v_lshlrev_b32_e32 v23, 20, v23
	v_lshl_add_u32 v24, v33, 23, 0x3c000000
	v_and_b32_e32 v11, 0x80000000, v11
	v_or3_b32 v33, v23, v11, v24
.LBB340_1242:                           ;   in Loop: Header=BB340_800 Depth=1
	s_or_b32 exec_lo, exec_lo, s19
.LBB340_1243:                           ;   in Loop: Header=BB340_800 Depth=1
	s_or_b32 exec_lo, exec_lo, s18
.LBB340_1244:                           ;   in Loop: Header=BB340_800 Depth=1
	s_or_b32 exec_lo, exec_lo, s15
	v_and_b32_sdwa v11, v22, v65 dst_sel:DWORD dst_unused:UNUSED_PAD src0_sel:WORD_1 src1_sel:DWORD
	v_mov_b32_e32 v64, 0
	v_mov_b32_e32 v66, 0
	s_mov_b32 s15, exec_lo
	v_cmpx_ne_u16_e32 0, v11
	s_cbranch_execz .LBB340_1252
; %bb.1245:                             ;   in Loop: Header=BB340_800 Depth=1
	v_bfrev_b32_e32 v66, 1
	s_mov_b32 s18, exec_lo
	v_cmpx_ne_u16_e32 0x80, v11
	s_cbranch_execz .LBB340_1251
; %bb.1246:                             ;   in Loop: Header=BB340_800 Depth=1
	v_bfe_u32 v23, v22, 16, 7
	v_mov_b32_e32 v66, 0x7f800001
	s_mov_b32 s19, exec_lo
	v_cmpx_ne_u32_e32 0x7f, v23
	s_cbranch_execz .LBB340_1250
; %bb.1247:                             ;   in Loop: Header=BB340_800 Depth=1
	v_mov_b32_e32 v11, 7
	v_lshrrev_b32_e32 v66, 3, v23
	v_cmp_gt_u32_e64 s4, 8, v23
	v_and_b32_sdwa v11, v22, v11 dst_sel:DWORD dst_unused:UNUSED_PAD src0_sel:WORD_1 src1_sel:DWORD
	v_mov_b32_e32 v24, v12
	v_mov_b32_e32 v23, v11
	s_and_saveexec_b32 s20, s4
; %bb.1248:                             ;   in Loop: Header=BB340_800 Depth=1
	v_ffbh_u32_e32 v23, v11
	v_min_u32_e32 v66, 32, v23
	v_subrev_nc_u32_e32 v23, 28, v66
	v_sub_nc_u32_e32 v66, 29, v66
	v_lshlrev_b64 v[23:24], v23, v[11:12]
	v_and_b32_e32 v23, 7, v23
; %bb.1249:                             ;   in Loop: Header=BB340_800 Depth=1
	s_or_b32 exec_lo, exec_lo, s20
	v_mov_b32_e32 v11, 24
	v_lshlrev_b32_e32 v23, 20, v23
	v_lshl_add_u32 v24, v66, 23, 0x3c000000
	v_lshlrev_b32_sdwa v11, v11, v22 dst_sel:DWORD dst_unused:UNUSED_PAD src0_sel:DWORD src1_sel:WORD_1
	v_and_b32_e32 v11, 0x80000000, v11
	v_or3_b32 v66, v23, v11, v24
.LBB340_1250:                           ;   in Loop: Header=BB340_800 Depth=1
	s_or_b32 exec_lo, exec_lo, s19
.LBB340_1251:                           ;   in Loop: Header=BB340_800 Depth=1
	s_or_b32 exec_lo, exec_lo, s18
.LBB340_1252:                           ;   in Loop: Header=BB340_800 Depth=1
	s_or_b32 exec_lo, exec_lo, s15
	s_mov_b32 s15, exec_lo
	v_cmpx_lt_u64_e64 s[6:7], v[21:22]
	s_cbranch_execz .LBB340_1260
; %bb.1253:                             ;   in Loop: Header=BB340_800 Depth=1
	v_cmp_ne_u32_sdwa s4, v22, v55 src0_sel:BYTE_3 src1_sel:DWORD
	v_bfrev_b32_e32 v64, 1
	s_and_saveexec_b32 s18, s4
	s_cbranch_execz .LBB340_1259
; %bb.1254:                             ;   in Loop: Header=BB340_800 Depth=1
	v_bfe_u32 v23, v22, 24, 7
	v_mov_b32_e32 v64, 0x7f800001
	s_mov_b32 s19, exec_lo
	v_cmpx_ne_u32_e32 0x7f, v23
	s_cbranch_execz .LBB340_1258
; %bb.1255:                             ;   in Loop: Header=BB340_800 Depth=1
	v_mov_b32_e32 v11, 7
	v_lshrrev_b32_e32 v21, 3, v23
	v_cmp_gt_u32_e64 s4, 8, v23
	v_and_b32_sdwa v11, v22, v11 dst_sel:DWORD dst_unused:UNUSED_PAD src0_sel:BYTE_3 src1_sel:DWORD
	v_mov_b32_e32 v24, v12
	v_mov_b32_e32 v23, v11
	s_and_saveexec_b32 s20, s4
; %bb.1256:                             ;   in Loop: Header=BB340_800 Depth=1
	v_ffbh_u32_e32 v21, v11
	v_min_u32_e32 v21, 32, v21
	v_subrev_nc_u32_e32 v23, 28, v21
	v_sub_nc_u32_e32 v21, 29, v21
	v_lshlrev_b64 v[23:24], v23, v[11:12]
	v_and_b32_e32 v23, 7, v23
; %bb.1257:                             ;   in Loop: Header=BB340_800 Depth=1
	s_or_b32 exec_lo, exec_lo, s20
	v_mov_b32_e32 v11, 24
	v_lshl_add_u32 v21, v21, 23, 0x3c000000
	v_lshlrev_b32_sdwa v11, v11, v22 dst_sel:DWORD dst_unused:UNUSED_PAD src0_sel:DWORD src1_sel:BYTE_3
	v_lshlrev_b32_e32 v22, 20, v23
	v_and_b32_e32 v11, 0x80000000, v11
	v_or3_b32 v64, v22, v11, v21
.LBB340_1258:                           ;   in Loop: Header=BB340_800 Depth=1
	s_or_b32 exec_lo, exec_lo, s19
.LBB340_1259:                           ;   in Loop: Header=BB340_800 Depth=1
	s_or_b32 exec_lo, exec_lo, s18
.LBB340_1260:                           ;   in Loop: Header=BB340_800 Depth=1
	s_or_b32 exec_lo, exec_lo, s15
	v_mul_f32_e32 v11, v52, v33
	v_mul_f32_e32 v21, v52, v25
	;; [unrolled: 1-line block ×5, first 2 shown]
	v_bfe_u32 v22, v11, 16, 1
	v_or_b32_e32 v23, 0x400000, v11
	v_bfe_u32 v24, v21, 16, 1
	v_cmp_u_f32_e64 s4, v11, v11
	v_or_b32_e32 v25, 0x400000, v21
	v_add3_u32 v22, v22, v11, 0x7fff
	v_bfe_u32 v33, v17, 16, 1
	v_add3_u32 v24, v24, v21, 0x7fff
	v_or_b32_e32 v67, 0x400000, v17
	v_bfe_u32 v69, v14, 16, 1
	v_cndmask_b32_e64 v11, v22, v23, s4
	v_cmp_u_f32_e64 s4, v21, v21
	v_add3_u32 v33, v33, v17, 0x7fff
	v_or_b32_e32 v22, 0x400000, v14
	v_bfe_u32 v23, v10, 16, 1
	v_lshrrev_b32_e32 v78, 16, v11
	v_cndmask_b32_e64 v21, v24, v25, s4
	v_cmp_u_f32_e64 s4, v17, v17
	v_mul_f32_e32 v11, v52, v13
	v_add3_u32 v13, v69, v14, 0x7fff
	v_lshrrev_b32_e32 v77, 16, v21
	v_cndmask_b32_e64 v17, v33, v67, s4
	v_cmp_u_f32_e64 s4, v14, v14
	v_mul_f32_e32 v14, v52, v66
	v_or_b32_e32 v21, 0x400000, v11
	v_lshrrev_b32_e32 v89, 16, v17
	v_bfe_u32 v17, v11, 16, 1
	v_cndmask_b32_e64 v13, v13, v22, s4
	v_cmp_u_f32_e64 s4, v11, v11
	v_mul_f32_e32 v22, v52, v64
	v_bfe_u32 v24, v14, 16, 1
	v_add3_u32 v17, v17, v11, 0x7fff
	v_or_b32_e32 v25, 0x400000, v14
	v_lshrrev_b32_e32 v90, 16, v13
	v_or_b32_e32 v33, 0x400000, v22
	v_add3_u32 v24, v24, v14, 0x7fff
	v_cndmask_b32_e64 v11, v17, v21, s4
	v_add3_u32 v21, v23, v10, 0x7fff
	v_or_b32_e32 v23, 0x400000, v10
	v_cmp_u_f32_e64 s4, v10, v10
	v_bfe_u32 v17, v22, 16, 1
	v_lshrrev_b32_e32 v92, 16, v11
	v_cndmask_b32_e64 v10, v21, v23, s4
	v_cmp_u_f32_e64 s4, v14, v14
	v_add3_u32 v17, v17, v22, 0x7fff
	v_lshrrev_b32_e32 v91, 16, v10
	v_cndmask_b32_e64 v14, v24, v25, s4
	v_cmp_u_f32_e64 s4, v22, v22
	v_lshrrev_b32_e32 v79, 16, v14
	v_cndmask_b32_e64 v17, v17, v33, s4
	v_lshrrev_b32_e32 v88, 16, v17
	s_and_saveexec_b32 s15, vcc_lo
	s_cbranch_execz .LBB340_1262
; %bb.1261:                             ;   in Loop: Header=BB340_800 Depth=1
	v_cmp_lt_i32_e64 s4, v117, v32
	v_cndmask_b32_e64 v91, 0, v91, s4
	v_cmp_lt_i32_e64 s4, v43, v32
	v_cndmask_b32_e64 v92, 0, v92, s4
	;; [unrolled: 2-line block ×8, first 2 shown]
.LBB340_1262:                           ;   in Loop: Header=BB340_800 Depth=1
	s_or_b32 exec_lo, exec_lo, s15
	flat_load_dwordx2 v[21:22], v[19:20] offset:1792
	v_mov_b32_e32 v13, 0
	v_mov_b32_e32 v10, 0
	s_waitcnt vmcnt(0) lgkmcnt(0)
	v_cmp_ne_u16_sdwa s4, v21, v12 src0_sel:BYTE_0 src1_sel:DWORD
	s_and_saveexec_b32 s15, s4
	s_cbranch_execz .LBB340_1270
; %bb.1263:                             ;   in Loop: Header=BB340_800 Depth=1
	v_cmp_ne_u16_sdwa s4, v21, v55 src0_sel:BYTE_0 src1_sel:DWORD
	v_bfrev_b32_e32 v10, 1
	s_and_saveexec_b32 s18, s4
	s_cbranch_execz .LBB340_1269
; %bb.1264:                             ;   in Loop: Header=BB340_800 Depth=1
	v_and_b32_e32 v11, 0x7f, v21
	v_mov_b32_e32 v10, 0x7f800001
	s_mov_b32 s19, exec_lo
	v_cmpx_ne_u32_e32 0x7f, v11
	s_cbranch_execz .LBB340_1268
; %bb.1265:                             ;   in Loop: Header=BB340_800 Depth=1
	v_lshrrev_b32_e32 v14, 3, v11
	v_cmp_gt_u32_e64 s4, 8, v11
	v_mov_b32_e32 v10, v21
	v_mov_b32_e32 v11, v22
	s_and_saveexec_b32 s20, s4
; %bb.1266:                             ;   in Loop: Header=BB340_800 Depth=1
	v_and_b32_e32 v10, 7, v21
	v_ffbh_u32_e32 v10, v10
	v_min_u32_e32 v14, 32, v10
	v_subrev_nc_u32_e32 v10, 28, v14
	v_sub_nc_u32_e32 v14, 29, v14
	v_lshlrev_b64 v[10:11], v10, v[21:22]
; %bb.1267:                             ;   in Loop: Header=BB340_800 Depth=1
	s_or_b32 exec_lo, exec_lo, s20
	v_lshlrev_b32_e32 v10, 20, v10
	v_lshlrev_b32_e32 v11, 24, v21
	v_lshl_add_u32 v14, v14, 23, 0x3c000000
	v_and_b32_e32 v10, 0x700000, v10
	v_and_b32_e32 v11, 0x80000000, v11
	v_or3_b32 v10, v10, v11, v14
.LBB340_1268:                           ;   in Loop: Header=BB340_800 Depth=1
	s_or_b32 exec_lo, exec_lo, s19
.LBB340_1269:                           ;   in Loop: Header=BB340_800 Depth=1
	s_or_b32 exec_lo, exec_lo, s18
.LBB340_1270:                           ;   in Loop: Header=BB340_800 Depth=1
	s_or_b32 exec_lo, exec_lo, s15
	v_cmp_ne_u16_sdwa s4, v21, v12 src0_sel:BYTE_1 src1_sel:DWORD
	s_and_saveexec_b32 s15, s4
	s_cbranch_execz .LBB340_1278
; %bb.1271:                             ;   in Loop: Header=BB340_800 Depth=1
	v_cmp_ne_u16_sdwa s4, v21, v55 src0_sel:BYTE_1 src1_sel:DWORD
	v_bfrev_b32_e32 v13, 1
	s_and_saveexec_b32 s18, s4
	s_cbranch_execz .LBB340_1277
; %bb.1272:                             ;   in Loop: Header=BB340_800 Depth=1
	v_mov_b32_e32 v11, 0xffff
	v_mov_b32_e32 v13, 0x7f800001
	s_mov_b32 s19, exec_lo
	v_and_b32_sdwa v11, v11, v21 dst_sel:DWORD dst_unused:UNUSED_PAD src0_sel:DWORD src1_sel:BYTE_1
	v_and_b32_e32 v14, 0x7f, v11
	v_cmpx_ne_u32_e32 0x7f, v14
	s_cbranch_execz .LBB340_1276
; %bb.1273:                             ;   in Loop: Header=BB340_800 Depth=1
	v_and_b32_e32 v11, 7, v11
	v_mov_b32_e32 v24, v12
	v_lshrrev_b32_e32 v13, 3, v14
	s_mov_b32 s20, exec_lo
	v_mov_b32_e32 v23, v11
	v_cmpx_gt_u32_e32 8, v14
; %bb.1274:                             ;   in Loop: Header=BB340_800 Depth=1
	v_ffbh_u32_e32 v13, v11
	v_min_u32_e32 v13, 32, v13
	v_subrev_nc_u32_e32 v14, 28, v13
	v_sub_nc_u32_e32 v13, 29, v13
	v_lshlrev_b64 v[23:24], v14, v[11:12]
	v_and_b32_e32 v23, 7, v23
; %bb.1275:                             ;   in Loop: Header=BB340_800 Depth=1
	s_or_b32 exec_lo, exec_lo, s20
	v_lshlrev_b32_e32 v11, 16, v21
	v_lshlrev_b32_e32 v14, 20, v23
	v_lshl_add_u32 v13, v13, 23, 0x3c000000
	v_and_b32_e32 v11, 0x80000000, v11
	v_or3_b32 v13, v14, v11, v13
.LBB340_1276:                           ;   in Loop: Header=BB340_800 Depth=1
	s_or_b32 exec_lo, exec_lo, s19
.LBB340_1277:                           ;   in Loop: Header=BB340_800 Depth=1
	s_or_b32 exec_lo, exec_lo, s18
.LBB340_1278:                           ;   in Loop: Header=BB340_800 Depth=1
	s_or_b32 exec_lo, exec_lo, s15
	v_and_b32_sdwa v11, v21, v65 dst_sel:DWORD dst_unused:UNUSED_PAD src0_sel:WORD_1 src1_sel:DWORD
	v_mov_b32_e32 v17, 0
	v_mov_b32_e32 v14, 0
	s_mov_b32 s15, exec_lo
	v_cmpx_ne_u16_e32 0, v11
	s_cbranch_execz .LBB340_1286
; %bb.1279:                             ;   in Loop: Header=BB340_800 Depth=1
	v_bfrev_b32_e32 v14, 1
	s_mov_b32 s18, exec_lo
	v_cmpx_ne_u16_e32 0x80, v11
	s_cbranch_execz .LBB340_1285
; %bb.1280:                             ;   in Loop: Header=BB340_800 Depth=1
	v_bfe_u32 v23, v21, 16, 7
	v_mov_b32_e32 v14, 0x7f800001
	s_mov_b32 s19, exec_lo
	v_cmpx_ne_u32_e32 0x7f, v23
	s_cbranch_execz .LBB340_1284
; %bb.1281:                             ;   in Loop: Header=BB340_800 Depth=1
	v_mov_b32_e32 v11, 7
	v_lshrrev_b32_e32 v14, 3, v23
	v_cmp_gt_u32_e64 s4, 8, v23
	v_and_b32_sdwa v11, v21, v11 dst_sel:DWORD dst_unused:UNUSED_PAD src0_sel:WORD_1 src1_sel:DWORD
	v_mov_b32_e32 v24, v12
	v_mov_b32_e32 v23, v11
	s_and_saveexec_b32 s20, s4
; %bb.1282:                             ;   in Loop: Header=BB340_800 Depth=1
	v_ffbh_u32_e32 v14, v11
	v_min_u32_e32 v14, 32, v14
	v_subrev_nc_u32_e32 v23, 28, v14
	v_sub_nc_u32_e32 v14, 29, v14
	v_lshlrev_b64 v[23:24], v23, v[11:12]
	v_and_b32_e32 v23, 7, v23
; %bb.1283:                             ;   in Loop: Header=BB340_800 Depth=1
	s_or_b32 exec_lo, exec_lo, s20
	v_mov_b32_e32 v11, 24
	v_lshlrev_b32_e32 v23, 20, v23
	v_lshl_add_u32 v14, v14, 23, 0x3c000000
	v_lshlrev_b32_sdwa v11, v11, v21 dst_sel:DWORD dst_unused:UNUSED_PAD src0_sel:DWORD src1_sel:WORD_1
	v_and_b32_e32 v11, 0x80000000, v11
	v_or3_b32 v14, v23, v11, v14
.LBB340_1284:                           ;   in Loop: Header=BB340_800 Depth=1
	s_or_b32 exec_lo, exec_lo, s19
.LBB340_1285:                           ;   in Loop: Header=BB340_800 Depth=1
	s_or_b32 exec_lo, exec_lo, s18
.LBB340_1286:                           ;   in Loop: Header=BB340_800 Depth=1
	s_or_b32 exec_lo, exec_lo, s15
	s_mov_b32 s15, exec_lo
	v_cmpx_lt_u32_e32 0xffffff, v21
	s_cbranch_execz .LBB340_1294
; %bb.1287:                             ;   in Loop: Header=BB340_800 Depth=1
	v_cmp_ne_u32_sdwa s4, v21, v55 src0_sel:BYTE_3 src1_sel:DWORD
	v_bfrev_b32_e32 v17, 1
	s_and_saveexec_b32 s18, s4
	s_cbranch_execz .LBB340_1293
; %bb.1288:                             ;   in Loop: Header=BB340_800 Depth=1
	v_bfe_u32 v23, v21, 24, 7
	v_mov_b32_e32 v17, 0x7f800001
	s_mov_b32 s19, exec_lo
	v_cmpx_ne_u32_e32 0x7f, v23
	s_cbranch_execz .LBB340_1292
; %bb.1289:                             ;   in Loop: Header=BB340_800 Depth=1
	v_mov_b32_e32 v11, 7
	v_lshrrev_b32_e32 v17, 3, v23
	v_cmp_gt_u32_e64 s4, 8, v23
	v_and_b32_sdwa v11, v21, v11 dst_sel:DWORD dst_unused:UNUSED_PAD src0_sel:BYTE_3 src1_sel:DWORD
	v_mov_b32_e32 v24, v12
	v_mov_b32_e32 v23, v11
	s_and_saveexec_b32 s20, s4
; %bb.1290:                             ;   in Loop: Header=BB340_800 Depth=1
	v_ffbh_u32_e32 v17, v11
	v_min_u32_e32 v17, 32, v17
	v_subrev_nc_u32_e32 v23, 28, v17
	v_sub_nc_u32_e32 v17, 29, v17
	v_lshlrev_b64 v[23:24], v23, v[11:12]
	v_and_b32_e32 v23, 7, v23
; %bb.1291:                             ;   in Loop: Header=BB340_800 Depth=1
	s_or_b32 exec_lo, exec_lo, s20
	v_mov_b32_e32 v11, 24
	v_lshlrev_b32_e32 v23, 20, v23
	v_lshl_add_u32 v17, v17, 23, 0x3c000000
	v_lshlrev_b32_sdwa v11, v11, v21 dst_sel:DWORD dst_unused:UNUSED_PAD src0_sel:DWORD src1_sel:BYTE_3
	v_and_b32_e32 v11, 0x80000000, v11
	v_or3_b32 v17, v23, v11, v17
.LBB340_1292:                           ;   in Loop: Header=BB340_800 Depth=1
	s_or_b32 exec_lo, exec_lo, s19
.LBB340_1293:                           ;   in Loop: Header=BB340_800 Depth=1
	s_or_b32 exec_lo, exec_lo, s18
.LBB340_1294:                           ;   in Loop: Header=BB340_800 Depth=1
	s_or_b32 exec_lo, exec_lo, s15
	v_mov_b32_e32 v11, v22
	v_cmp_ne_u16_sdwa s4, v22, v12 src0_sel:BYTE_0 src1_sel:DWORD
	v_mov_b32_e32 v33, 0
	v_mov_b32_e32 v25, 0
	s_and_saveexec_b32 s15, s4
	s_cbranch_execz .LBB340_1302
; %bb.1295:                             ;   in Loop: Header=BB340_800 Depth=1
	v_cmp_ne_u16_sdwa s4, v22, v55 src0_sel:BYTE_0 src1_sel:DWORD
	v_bfrev_b32_e32 v25, 1
	s_and_saveexec_b32 s18, s4
	s_cbranch_execz .LBB340_1301
; %bb.1296:                             ;   in Loop: Header=BB340_800 Depth=1
	v_and_b32_e32 v23, 0x7f, v22
	v_mov_b32_e32 v25, 0x7f800001
	s_mov_b32 s19, exec_lo
	v_cmpx_ne_u32_e32 0x7f, v23
	s_cbranch_execz .LBB340_1300
; %bb.1297:                             ;   in Loop: Header=BB340_800 Depth=1
	v_lshrrev_b32_e32 v25, 3, v23
	v_cmp_gt_u32_e64 s4, 8, v23
	v_mov_b32_e32 v24, v12
	v_mov_b32_e32 v23, v11
	s_and_saveexec_b32 s20, s4
; %bb.1298:                             ;   in Loop: Header=BB340_800 Depth=1
	v_and_b32_e32 v23, 7, v22
	v_ffbh_u32_e32 v23, v23
	v_min_u32_e32 v25, 32, v23
	v_subrev_nc_u32_e32 v23, 28, v25
	v_sub_nc_u32_e32 v25, 29, v25
	v_lshlrev_b64 v[23:24], v23, v[11:12]
; %bb.1299:                             ;   in Loop: Header=BB340_800 Depth=1
	s_or_b32 exec_lo, exec_lo, s20
	v_lshlrev_b32_e32 v23, 20, v23
	v_lshlrev_b32_e32 v24, 24, v11
	v_lshl_add_u32 v25, v25, 23, 0x3c000000
	v_and_b32_e32 v23, 0x700000, v23
	v_and_b32_e32 v24, 0x80000000, v24
	v_or3_b32 v25, v23, v24, v25
.LBB340_1300:                           ;   in Loop: Header=BB340_800 Depth=1
	s_or_b32 exec_lo, exec_lo, s19
.LBB340_1301:                           ;   in Loop: Header=BB340_800 Depth=1
	s_or_b32 exec_lo, exec_lo, s18
.LBB340_1302:                           ;   in Loop: Header=BB340_800 Depth=1
	s_or_b32 exec_lo, exec_lo, s15
	v_cmp_ne_u16_sdwa s4, v11, v12 src0_sel:BYTE_1 src1_sel:DWORD
	s_and_saveexec_b32 s15, s4
	s_cbranch_execz .LBB340_1310
; %bb.1303:                             ;   in Loop: Header=BB340_800 Depth=1
	v_cmp_ne_u16_sdwa s4, v11, v55 src0_sel:BYTE_1 src1_sel:DWORD
	v_bfrev_b32_e32 v33, 1
	s_and_saveexec_b32 s18, s4
	s_cbranch_execz .LBB340_1309
; %bb.1304:                             ;   in Loop: Header=BB340_800 Depth=1
	v_mov_b32_e32 v23, 0xffff
	v_mov_b32_e32 v33, 0x7f800001
	s_mov_b32 s19, exec_lo
	v_and_b32_sdwa v23, v23, v11 dst_sel:DWORD dst_unused:UNUSED_PAD src0_sel:DWORD src1_sel:BYTE_1
	v_and_b32_e32 v64, 0x7f, v23
	v_cmpx_ne_u32_e32 0x7f, v64
	s_cbranch_execz .LBB340_1308
; %bb.1305:                             ;   in Loop: Header=BB340_800 Depth=1
	v_and_b32_e32 v23, 7, v23
	v_mov_b32_e32 v24, v12
	v_lshrrev_b32_e32 v33, 3, v64
	s_mov_b32 s20, exec_lo
	v_cmpx_gt_u32_e32 8, v64
; %bb.1306:                             ;   in Loop: Header=BB340_800 Depth=1
	v_ffbh_u32_e32 v33, v23
	v_min_u32_e32 v33, 32, v33
	v_subrev_nc_u32_e32 v64, 28, v33
	v_sub_nc_u32_e32 v33, 29, v33
	v_lshlrev_b64 v[23:24], v64, v[23:24]
	v_and_b32_e32 v23, 7, v23
; %bb.1307:                             ;   in Loop: Header=BB340_800 Depth=1
	s_or_b32 exec_lo, exec_lo, s20
	v_lshlrev_b32_e32 v11, 16, v11
	v_lshlrev_b32_e32 v23, 20, v23
	v_lshl_add_u32 v24, v33, 23, 0x3c000000
	v_and_b32_e32 v11, 0x80000000, v11
	v_or3_b32 v33, v23, v11, v24
.LBB340_1308:                           ;   in Loop: Header=BB340_800 Depth=1
	s_or_b32 exec_lo, exec_lo, s19
.LBB340_1309:                           ;   in Loop: Header=BB340_800 Depth=1
	s_or_b32 exec_lo, exec_lo, s18
.LBB340_1310:                           ;   in Loop: Header=BB340_800 Depth=1
	s_or_b32 exec_lo, exec_lo, s15
	v_and_b32_sdwa v11, v22, v65 dst_sel:DWORD dst_unused:UNUSED_PAD src0_sel:WORD_1 src1_sel:DWORD
	v_mov_b32_e32 v64, 0
	v_mov_b32_e32 v66, 0
	s_mov_b32 s15, exec_lo
	v_cmpx_ne_u16_e32 0, v11
	s_cbranch_execz .LBB340_1318
; %bb.1311:                             ;   in Loop: Header=BB340_800 Depth=1
	v_bfrev_b32_e32 v66, 1
	s_mov_b32 s18, exec_lo
	v_cmpx_ne_u16_e32 0x80, v11
	s_cbranch_execz .LBB340_1317
; %bb.1312:                             ;   in Loop: Header=BB340_800 Depth=1
	v_bfe_u32 v23, v22, 16, 7
	v_mov_b32_e32 v66, 0x7f800001
	s_mov_b32 s19, exec_lo
	v_cmpx_ne_u32_e32 0x7f, v23
	s_cbranch_execz .LBB340_1316
; %bb.1313:                             ;   in Loop: Header=BB340_800 Depth=1
	v_mov_b32_e32 v11, 7
	v_lshrrev_b32_e32 v66, 3, v23
	v_cmp_gt_u32_e64 s4, 8, v23
	v_and_b32_sdwa v11, v22, v11 dst_sel:DWORD dst_unused:UNUSED_PAD src0_sel:WORD_1 src1_sel:DWORD
	v_mov_b32_e32 v24, v12
	v_mov_b32_e32 v23, v11
	s_and_saveexec_b32 s20, s4
; %bb.1314:                             ;   in Loop: Header=BB340_800 Depth=1
	v_ffbh_u32_e32 v23, v11
	v_min_u32_e32 v66, 32, v23
	v_subrev_nc_u32_e32 v23, 28, v66
	v_sub_nc_u32_e32 v66, 29, v66
	v_lshlrev_b64 v[23:24], v23, v[11:12]
	v_and_b32_e32 v23, 7, v23
; %bb.1315:                             ;   in Loop: Header=BB340_800 Depth=1
	s_or_b32 exec_lo, exec_lo, s20
	v_mov_b32_e32 v11, 24
	v_lshlrev_b32_e32 v23, 20, v23
	v_lshl_add_u32 v24, v66, 23, 0x3c000000
	v_lshlrev_b32_sdwa v11, v11, v22 dst_sel:DWORD dst_unused:UNUSED_PAD src0_sel:DWORD src1_sel:WORD_1
	v_and_b32_e32 v11, 0x80000000, v11
	v_or3_b32 v66, v23, v11, v24
.LBB340_1316:                           ;   in Loop: Header=BB340_800 Depth=1
	s_or_b32 exec_lo, exec_lo, s19
.LBB340_1317:                           ;   in Loop: Header=BB340_800 Depth=1
	s_or_b32 exec_lo, exec_lo, s18
.LBB340_1318:                           ;   in Loop: Header=BB340_800 Depth=1
	s_or_b32 exec_lo, exec_lo, s15
	s_mov_b32 s15, exec_lo
	v_cmpx_lt_u64_e64 s[6:7], v[21:22]
	s_cbranch_execz .LBB340_1326
; %bb.1319:                             ;   in Loop: Header=BB340_800 Depth=1
	v_cmp_ne_u32_sdwa s4, v22, v55 src0_sel:BYTE_3 src1_sel:DWORD
	v_bfrev_b32_e32 v64, 1
	s_and_saveexec_b32 s18, s4
	s_cbranch_execz .LBB340_1325
; %bb.1320:                             ;   in Loop: Header=BB340_800 Depth=1
	v_bfe_u32 v23, v22, 24, 7
	v_mov_b32_e32 v64, 0x7f800001
	s_mov_b32 s19, exec_lo
	v_cmpx_ne_u32_e32 0x7f, v23
	s_cbranch_execz .LBB340_1324
; %bb.1321:                             ;   in Loop: Header=BB340_800 Depth=1
	v_mov_b32_e32 v11, 7
	v_lshrrev_b32_e32 v21, 3, v23
	v_cmp_gt_u32_e64 s4, 8, v23
	v_and_b32_sdwa v11, v22, v11 dst_sel:DWORD dst_unused:UNUSED_PAD src0_sel:BYTE_3 src1_sel:DWORD
	v_mov_b32_e32 v24, v12
	v_mov_b32_e32 v23, v11
	s_and_saveexec_b32 s20, s4
; %bb.1322:                             ;   in Loop: Header=BB340_800 Depth=1
	v_ffbh_u32_e32 v21, v11
	v_min_u32_e32 v21, 32, v21
	v_subrev_nc_u32_e32 v23, 28, v21
	v_sub_nc_u32_e32 v21, 29, v21
	v_lshlrev_b64 v[23:24], v23, v[11:12]
	v_and_b32_e32 v23, 7, v23
; %bb.1323:                             ;   in Loop: Header=BB340_800 Depth=1
	s_or_b32 exec_lo, exec_lo, s20
	v_mov_b32_e32 v11, 24
	v_lshl_add_u32 v21, v21, 23, 0x3c000000
	v_lshlrev_b32_sdwa v11, v11, v22 dst_sel:DWORD dst_unused:UNUSED_PAD src0_sel:DWORD src1_sel:BYTE_3
	v_lshlrev_b32_e32 v22, 20, v23
	v_and_b32_e32 v11, 0x80000000, v11
	v_or3_b32 v64, v22, v11, v21
.LBB340_1324:                           ;   in Loop: Header=BB340_800 Depth=1
	s_or_b32 exec_lo, exec_lo, s19
.LBB340_1325:                           ;   in Loop: Header=BB340_800 Depth=1
	s_or_b32 exec_lo, exec_lo, s18
.LBB340_1326:                           ;   in Loop: Header=BB340_800 Depth=1
	s_or_b32 exec_lo, exec_lo, s15
	v_mul_f32_e32 v11, v52, v33
	v_mul_f32_e32 v21, v52, v25
	;; [unrolled: 1-line block ×5, first 2 shown]
	v_bfe_u32 v22, v11, 16, 1
	v_or_b32_e32 v23, 0x400000, v11
	v_bfe_u32 v24, v21, 16, 1
	v_cmp_u_f32_e64 s4, v11, v11
	v_or_b32_e32 v25, 0x400000, v21
	v_add3_u32 v22, v22, v11, 0x7fff
	v_bfe_u32 v33, v17, 16, 1
	v_add3_u32 v24, v24, v21, 0x7fff
	v_or_b32_e32 v67, 0x400000, v17
	v_bfe_u32 v69, v14, 16, 1
	v_cndmask_b32_e64 v11, v22, v23, s4
	v_cmp_u_f32_e64 s4, v21, v21
	v_add3_u32 v33, v33, v17, 0x7fff
	v_or_b32_e32 v22, 0x400000, v14
	v_bfe_u32 v23, v10, 16, 1
	v_lshrrev_b32_e32 v94, 16, v11
	v_cndmask_b32_e64 v21, v24, v25, s4
	v_cmp_u_f32_e64 s4, v17, v17
	v_mul_f32_e32 v11, v52, v13
	v_add3_u32 v13, v69, v14, 0x7fff
	v_lshrrev_b32_e32 v93, 16, v21
	v_cndmask_b32_e64 v17, v33, v67, s4
	v_cmp_u_f32_e64 s4, v14, v14
	v_mul_f32_e32 v14, v52, v66
	v_or_b32_e32 v21, 0x400000, v11
	v_lshrrev_b32_e32 v105, 16, v17
	v_bfe_u32 v17, v11, 16, 1
	v_cndmask_b32_e64 v13, v13, v22, s4
	v_cmp_u_f32_e64 s4, v11, v11
	v_mul_f32_e32 v22, v52, v64
	v_bfe_u32 v24, v14, 16, 1
	v_add3_u32 v17, v17, v11, 0x7fff
	v_or_b32_e32 v25, 0x400000, v14
	v_lshrrev_b32_e32 v106, 16, v13
	v_or_b32_e32 v33, 0x400000, v22
	v_add3_u32 v24, v24, v14, 0x7fff
	v_cndmask_b32_e64 v11, v17, v21, s4
	v_add3_u32 v21, v23, v10, 0x7fff
	v_or_b32_e32 v23, 0x400000, v10
	v_cmp_u_f32_e64 s4, v10, v10
	v_bfe_u32 v17, v22, 16, 1
	v_lshrrev_b32_e32 v108, 16, v11
	v_cndmask_b32_e64 v10, v21, v23, s4
	v_cmp_u_f32_e64 s4, v14, v14
	v_add3_u32 v17, v17, v22, 0x7fff
	v_lshrrev_b32_e32 v107, 16, v10
	v_cndmask_b32_e64 v14, v24, v25, s4
	v_cmp_u_f32_e64 s4, v22, v22
	v_lshrrev_b32_e32 v95, 16, v14
	v_cndmask_b32_e64 v17, v17, v33, s4
	v_lshrrev_b32_e32 v104, 16, v17
	s_and_saveexec_b32 s15, vcc_lo
	s_cbranch_execz .LBB340_1328
; %bb.1327:                             ;   in Loop: Header=BB340_800 Depth=1
	v_cmp_lt_i32_e64 s4, v117, v32
	v_cndmask_b32_e64 v107, 0, v107, s4
	v_cmp_lt_i32_e64 s4, v43, v32
	v_cndmask_b32_e64 v108, 0, v108, s4
	;; [unrolled: 2-line block ×8, first 2 shown]
.LBB340_1328:                           ;   in Loop: Header=BB340_800 Depth=1
	s_or_b32 exec_lo, exec_lo, s15
	v_add_co_u32 v19, s4, 0x800, v19
	v_add_co_ci_u32_e64 v20, null, 0, v20, s4
	v_mov_b32_e32 v13, 0
	v_mov_b32_e32 v10, 0
	flat_load_dwordx2 v[21:22], v[19:20]
	s_waitcnt vmcnt(0) lgkmcnt(0)
	v_cmp_ne_u16_sdwa s4, v21, v12 src0_sel:BYTE_0 src1_sel:DWORD
	s_and_saveexec_b32 s15, s4
	s_cbranch_execz .LBB340_1336
; %bb.1329:                             ;   in Loop: Header=BB340_800 Depth=1
	v_cmp_ne_u16_sdwa s4, v21, v55 src0_sel:BYTE_0 src1_sel:DWORD
	v_bfrev_b32_e32 v10, 1
	s_and_saveexec_b32 s18, s4
	s_cbranch_execz .LBB340_1335
; %bb.1330:                             ;   in Loop: Header=BB340_800 Depth=1
	v_and_b32_e32 v11, 0x7f, v21
	v_mov_b32_e32 v10, 0x7f800001
	s_mov_b32 s19, exec_lo
	v_cmpx_ne_u32_e32 0x7f, v11
	s_cbranch_execz .LBB340_1334
; %bb.1331:                             ;   in Loop: Header=BB340_800 Depth=1
	v_lshrrev_b32_e32 v14, 3, v11
	v_cmp_gt_u32_e64 s4, 8, v11
	v_mov_b32_e32 v10, v21
	v_mov_b32_e32 v11, v22
	s_and_saveexec_b32 s20, s4
; %bb.1332:                             ;   in Loop: Header=BB340_800 Depth=1
	v_and_b32_e32 v10, 7, v21
	v_ffbh_u32_e32 v10, v10
	v_min_u32_e32 v14, 32, v10
	v_subrev_nc_u32_e32 v10, 28, v14
	v_sub_nc_u32_e32 v14, 29, v14
	v_lshlrev_b64 v[10:11], v10, v[21:22]
; %bb.1333:                             ;   in Loop: Header=BB340_800 Depth=1
	s_or_b32 exec_lo, exec_lo, s20
	v_lshlrev_b32_e32 v10, 20, v10
	v_lshlrev_b32_e32 v11, 24, v21
	v_lshl_add_u32 v14, v14, 23, 0x3c000000
	v_and_b32_e32 v10, 0x700000, v10
	v_and_b32_e32 v11, 0x80000000, v11
	v_or3_b32 v10, v10, v11, v14
.LBB340_1334:                           ;   in Loop: Header=BB340_800 Depth=1
	s_or_b32 exec_lo, exec_lo, s19
.LBB340_1335:                           ;   in Loop: Header=BB340_800 Depth=1
	s_or_b32 exec_lo, exec_lo, s18
.LBB340_1336:                           ;   in Loop: Header=BB340_800 Depth=1
	s_or_b32 exec_lo, exec_lo, s15
	v_cmp_ne_u16_sdwa s4, v21, v12 src0_sel:BYTE_1 src1_sel:DWORD
	s_and_saveexec_b32 s15, s4
	s_cbranch_execz .LBB340_1344
; %bb.1337:                             ;   in Loop: Header=BB340_800 Depth=1
	v_cmp_ne_u16_sdwa s4, v21, v55 src0_sel:BYTE_1 src1_sel:DWORD
	v_bfrev_b32_e32 v13, 1
	s_and_saveexec_b32 s18, s4
	s_cbranch_execz .LBB340_1343
; %bb.1338:                             ;   in Loop: Header=BB340_800 Depth=1
	v_mov_b32_e32 v11, 0xffff
	v_mov_b32_e32 v13, 0x7f800001
	s_mov_b32 s19, exec_lo
	v_and_b32_sdwa v11, v11, v21 dst_sel:DWORD dst_unused:UNUSED_PAD src0_sel:DWORD src1_sel:BYTE_1
	v_and_b32_e32 v14, 0x7f, v11
	v_cmpx_ne_u32_e32 0x7f, v14
	s_cbranch_execz .LBB340_1342
; %bb.1339:                             ;   in Loop: Header=BB340_800 Depth=1
	v_and_b32_e32 v11, 7, v11
	v_mov_b32_e32 v24, v12
	v_lshrrev_b32_e32 v13, 3, v14
	s_mov_b32 s20, exec_lo
	v_mov_b32_e32 v23, v11
	v_cmpx_gt_u32_e32 8, v14
; %bb.1340:                             ;   in Loop: Header=BB340_800 Depth=1
	v_ffbh_u32_e32 v13, v11
	v_min_u32_e32 v13, 32, v13
	v_subrev_nc_u32_e32 v14, 28, v13
	v_sub_nc_u32_e32 v13, 29, v13
	v_lshlrev_b64 v[23:24], v14, v[11:12]
	v_and_b32_e32 v23, 7, v23
; %bb.1341:                             ;   in Loop: Header=BB340_800 Depth=1
	s_or_b32 exec_lo, exec_lo, s20
	v_lshlrev_b32_e32 v11, 16, v21
	v_lshlrev_b32_e32 v14, 20, v23
	v_lshl_add_u32 v13, v13, 23, 0x3c000000
	v_and_b32_e32 v11, 0x80000000, v11
	v_or3_b32 v13, v14, v11, v13
.LBB340_1342:                           ;   in Loop: Header=BB340_800 Depth=1
	s_or_b32 exec_lo, exec_lo, s19
.LBB340_1343:                           ;   in Loop: Header=BB340_800 Depth=1
	s_or_b32 exec_lo, exec_lo, s18
.LBB340_1344:                           ;   in Loop: Header=BB340_800 Depth=1
	s_or_b32 exec_lo, exec_lo, s15
	v_and_b32_sdwa v11, v21, v65 dst_sel:DWORD dst_unused:UNUSED_PAD src0_sel:WORD_1 src1_sel:DWORD
	v_mov_b32_e32 v17, 0
	v_mov_b32_e32 v14, 0
	s_mov_b32 s15, exec_lo
	v_cmpx_ne_u16_e32 0, v11
	s_cbranch_execz .LBB340_1352
; %bb.1345:                             ;   in Loop: Header=BB340_800 Depth=1
	v_bfrev_b32_e32 v14, 1
	s_mov_b32 s18, exec_lo
	v_cmpx_ne_u16_e32 0x80, v11
	s_cbranch_execz .LBB340_1351
; %bb.1346:                             ;   in Loop: Header=BB340_800 Depth=1
	v_bfe_u32 v23, v21, 16, 7
	v_mov_b32_e32 v14, 0x7f800001
	s_mov_b32 s19, exec_lo
	v_cmpx_ne_u32_e32 0x7f, v23
	s_cbranch_execz .LBB340_1350
; %bb.1347:                             ;   in Loop: Header=BB340_800 Depth=1
	v_mov_b32_e32 v11, 7
	v_lshrrev_b32_e32 v14, 3, v23
	v_cmp_gt_u32_e64 s4, 8, v23
	v_and_b32_sdwa v11, v21, v11 dst_sel:DWORD dst_unused:UNUSED_PAD src0_sel:WORD_1 src1_sel:DWORD
	v_mov_b32_e32 v24, v12
	v_mov_b32_e32 v23, v11
	s_and_saveexec_b32 s20, s4
; %bb.1348:                             ;   in Loop: Header=BB340_800 Depth=1
	v_ffbh_u32_e32 v14, v11
	v_min_u32_e32 v14, 32, v14
	v_subrev_nc_u32_e32 v23, 28, v14
	v_sub_nc_u32_e32 v14, 29, v14
	v_lshlrev_b64 v[23:24], v23, v[11:12]
	v_and_b32_e32 v23, 7, v23
; %bb.1349:                             ;   in Loop: Header=BB340_800 Depth=1
	s_or_b32 exec_lo, exec_lo, s20
	v_mov_b32_e32 v11, 24
	v_lshlrev_b32_e32 v23, 20, v23
	v_lshl_add_u32 v14, v14, 23, 0x3c000000
	v_lshlrev_b32_sdwa v11, v11, v21 dst_sel:DWORD dst_unused:UNUSED_PAD src0_sel:DWORD src1_sel:WORD_1
	v_and_b32_e32 v11, 0x80000000, v11
	v_or3_b32 v14, v23, v11, v14
.LBB340_1350:                           ;   in Loop: Header=BB340_800 Depth=1
	s_or_b32 exec_lo, exec_lo, s19
.LBB340_1351:                           ;   in Loop: Header=BB340_800 Depth=1
	s_or_b32 exec_lo, exec_lo, s18
.LBB340_1352:                           ;   in Loop: Header=BB340_800 Depth=1
	s_or_b32 exec_lo, exec_lo, s15
	s_mov_b32 s15, exec_lo
	v_cmpx_lt_u32_e32 0xffffff, v21
	s_cbranch_execz .LBB340_1360
; %bb.1353:                             ;   in Loop: Header=BB340_800 Depth=1
	v_cmp_ne_u32_sdwa s4, v21, v55 src0_sel:BYTE_3 src1_sel:DWORD
	v_bfrev_b32_e32 v17, 1
	s_and_saveexec_b32 s18, s4
	s_cbranch_execz .LBB340_1359
; %bb.1354:                             ;   in Loop: Header=BB340_800 Depth=1
	v_bfe_u32 v23, v21, 24, 7
	v_mov_b32_e32 v17, 0x7f800001
	s_mov_b32 s19, exec_lo
	v_cmpx_ne_u32_e32 0x7f, v23
	s_cbranch_execz .LBB340_1358
; %bb.1355:                             ;   in Loop: Header=BB340_800 Depth=1
	v_mov_b32_e32 v11, 7
	v_lshrrev_b32_e32 v17, 3, v23
	v_cmp_gt_u32_e64 s4, 8, v23
	v_and_b32_sdwa v11, v21, v11 dst_sel:DWORD dst_unused:UNUSED_PAD src0_sel:BYTE_3 src1_sel:DWORD
	v_mov_b32_e32 v24, v12
	v_mov_b32_e32 v23, v11
	s_and_saveexec_b32 s20, s4
; %bb.1356:                             ;   in Loop: Header=BB340_800 Depth=1
	v_ffbh_u32_e32 v17, v11
	v_min_u32_e32 v17, 32, v17
	v_subrev_nc_u32_e32 v23, 28, v17
	v_sub_nc_u32_e32 v17, 29, v17
	v_lshlrev_b64 v[23:24], v23, v[11:12]
	v_and_b32_e32 v23, 7, v23
; %bb.1357:                             ;   in Loop: Header=BB340_800 Depth=1
	s_or_b32 exec_lo, exec_lo, s20
	v_mov_b32_e32 v11, 24
	v_lshlrev_b32_e32 v23, 20, v23
	v_lshl_add_u32 v17, v17, 23, 0x3c000000
	v_lshlrev_b32_sdwa v11, v11, v21 dst_sel:DWORD dst_unused:UNUSED_PAD src0_sel:DWORD src1_sel:BYTE_3
	v_and_b32_e32 v11, 0x80000000, v11
	v_or3_b32 v17, v23, v11, v17
.LBB340_1358:                           ;   in Loop: Header=BB340_800 Depth=1
	s_or_b32 exec_lo, exec_lo, s19
.LBB340_1359:                           ;   in Loop: Header=BB340_800 Depth=1
	s_or_b32 exec_lo, exec_lo, s18
.LBB340_1360:                           ;   in Loop: Header=BB340_800 Depth=1
	s_or_b32 exec_lo, exec_lo, s15
	v_mov_b32_e32 v11, v22
	v_cmp_ne_u16_sdwa s4, v22, v12 src0_sel:BYTE_0 src1_sel:DWORD
	v_mov_b32_e32 v66, 0
	v_mov_b32_e32 v64, 0
	s_and_saveexec_b32 s15, s4
	s_cbranch_execz .LBB340_1368
; %bb.1361:                             ;   in Loop: Header=BB340_800 Depth=1
	v_cmp_ne_u16_sdwa s4, v22, v55 src0_sel:BYTE_0 src1_sel:DWORD
	v_bfrev_b32_e32 v64, 1
	s_and_saveexec_b32 s18, s4
	s_cbranch_execz .LBB340_1367
; %bb.1362:                             ;   in Loop: Header=BB340_800 Depth=1
	v_and_b32_e32 v23, 0x7f, v22
	v_mov_b32_e32 v64, 0x7f800001
	s_mov_b32 s19, exec_lo
	v_cmpx_ne_u32_e32 0x7f, v23
	s_cbranch_execz .LBB340_1366
; %bb.1363:                             ;   in Loop: Header=BB340_800 Depth=1
	v_lshrrev_b32_e32 v25, 3, v23
	v_cmp_gt_u32_e64 s4, 8, v23
	v_mov_b32_e32 v24, v12
	v_mov_b32_e32 v23, v11
	s_and_saveexec_b32 s20, s4
; %bb.1364:                             ;   in Loop: Header=BB340_800 Depth=1
	v_and_b32_e32 v23, 7, v22
	v_ffbh_u32_e32 v23, v23
	v_min_u32_e32 v25, 32, v23
	v_subrev_nc_u32_e32 v23, 28, v25
	v_sub_nc_u32_e32 v25, 29, v25
	v_lshlrev_b64 v[23:24], v23, v[11:12]
; %bb.1365:                             ;   in Loop: Header=BB340_800 Depth=1
	s_or_b32 exec_lo, exec_lo, s20
	v_lshlrev_b32_e32 v23, 20, v23
	v_lshlrev_b32_e32 v24, 24, v11
	v_lshl_add_u32 v25, v25, 23, 0x3c000000
	v_and_b32_e32 v23, 0x700000, v23
	v_and_b32_e32 v24, 0x80000000, v24
	v_or3_b32 v64, v23, v24, v25
.LBB340_1366:                           ;   in Loop: Header=BB340_800 Depth=1
	s_or_b32 exec_lo, exec_lo, s19
.LBB340_1367:                           ;   in Loop: Header=BB340_800 Depth=1
	s_or_b32 exec_lo, exec_lo, s18
.LBB340_1368:                           ;   in Loop: Header=BB340_800 Depth=1
	s_or_b32 exec_lo, exec_lo, s15
	v_cmp_ne_u16_sdwa s4, v11, v12 src0_sel:BYTE_1 src1_sel:DWORD
	s_and_saveexec_b32 s15, s4
	s_cbranch_execz .LBB340_1376
; %bb.1369:                             ;   in Loop: Header=BB340_800 Depth=1
	v_cmp_ne_u16_sdwa s4, v11, v55 src0_sel:BYTE_1 src1_sel:DWORD
	v_bfrev_b32_e32 v66, 1
	s_and_saveexec_b32 s18, s4
	s_cbranch_execz .LBB340_1375
; %bb.1370:                             ;   in Loop: Header=BB340_800 Depth=1
	v_mov_b32_e32 v23, 0xffff
	v_mov_b32_e32 v66, 0x7f800001
	s_mov_b32 s19, exec_lo
	v_and_b32_sdwa v23, v23, v11 dst_sel:DWORD dst_unused:UNUSED_PAD src0_sel:DWORD src1_sel:BYTE_1
	v_and_b32_e32 v33, 0x7f, v23
	v_cmpx_ne_u32_e32 0x7f, v33
	s_cbranch_execz .LBB340_1374
; %bb.1371:                             ;   in Loop: Header=BB340_800 Depth=1
	v_and_b32_e32 v23, 7, v23
	v_mov_b32_e32 v24, v12
	v_lshrrev_b32_e32 v25, 3, v33
	s_mov_b32 s20, exec_lo
	v_cmpx_gt_u32_e32 8, v33
; %bb.1372:                             ;   in Loop: Header=BB340_800 Depth=1
	v_ffbh_u32_e32 v25, v23
	v_min_u32_e32 v25, 32, v25
	v_subrev_nc_u32_e32 v33, 28, v25
	v_sub_nc_u32_e32 v25, 29, v25
	v_lshlrev_b64 v[23:24], v33, v[23:24]
	v_and_b32_e32 v23, 7, v23
; %bb.1373:                             ;   in Loop: Header=BB340_800 Depth=1
	s_or_b32 exec_lo, exec_lo, s20
	v_lshlrev_b32_e32 v11, 16, v11
	v_lshlrev_b32_e32 v23, 20, v23
	v_lshl_add_u32 v24, v25, 23, 0x3c000000
	v_and_b32_e32 v11, 0x80000000, v11
	v_or3_b32 v66, v23, v11, v24
.LBB340_1374:                           ;   in Loop: Header=BB340_800 Depth=1
	s_or_b32 exec_lo, exec_lo, s19
.LBB340_1375:                           ;   in Loop: Header=BB340_800 Depth=1
	s_or_b32 exec_lo, exec_lo, s18
.LBB340_1376:                           ;   in Loop: Header=BB340_800 Depth=1
	s_or_b32 exec_lo, exec_lo, s15
	v_and_b32_sdwa v11, v22, v65 dst_sel:DWORD dst_unused:UNUSED_PAD src0_sel:WORD_1 src1_sel:DWORD
	v_mov_b32_e32 v25, 0
	v_mov_b32_e32 v33, 0
	s_mov_b32 s15, exec_lo
	v_cmpx_ne_u16_e32 0, v11
	s_cbranch_execz .LBB340_1384
; %bb.1377:                             ;   in Loop: Header=BB340_800 Depth=1
	v_bfrev_b32_e32 v33, 1
	s_mov_b32 s18, exec_lo
	v_cmpx_ne_u16_e32 0x80, v11
	s_cbranch_execz .LBB340_1383
; %bb.1378:                             ;   in Loop: Header=BB340_800 Depth=1
	v_bfe_u32 v23, v22, 16, 7
	v_mov_b32_e32 v33, 0x7f800001
	s_mov_b32 s19, exec_lo
	v_cmpx_ne_u32_e32 0x7f, v23
	s_cbranch_execz .LBB340_1382
; %bb.1379:                             ;   in Loop: Header=BB340_800 Depth=1
	v_mov_b32_e32 v11, 7
	v_lshrrev_b32_e32 v33, 3, v23
	v_cmp_gt_u32_e64 s4, 8, v23
	v_and_b32_sdwa v11, v22, v11 dst_sel:DWORD dst_unused:UNUSED_PAD src0_sel:WORD_1 src1_sel:DWORD
	v_mov_b32_e32 v24, v12
	v_mov_b32_e32 v23, v11
	s_and_saveexec_b32 s20, s4
; %bb.1380:                             ;   in Loop: Header=BB340_800 Depth=1
	v_ffbh_u32_e32 v23, v11
	v_min_u32_e32 v33, 32, v23
	v_subrev_nc_u32_e32 v23, 28, v33
	v_sub_nc_u32_e32 v33, 29, v33
	v_lshlrev_b64 v[23:24], v23, v[11:12]
	v_and_b32_e32 v23, 7, v23
; %bb.1381:                             ;   in Loop: Header=BB340_800 Depth=1
	s_or_b32 exec_lo, exec_lo, s20
	v_mov_b32_e32 v11, 24
	v_lshlrev_b32_e32 v23, 20, v23
	v_lshl_add_u32 v24, v33, 23, 0x3c000000
	v_lshlrev_b32_sdwa v11, v11, v22 dst_sel:DWORD dst_unused:UNUSED_PAD src0_sel:DWORD src1_sel:WORD_1
	v_and_b32_e32 v11, 0x80000000, v11
	v_or3_b32 v33, v23, v11, v24
.LBB340_1382:                           ;   in Loop: Header=BB340_800 Depth=1
	s_or_b32 exec_lo, exec_lo, s19
.LBB340_1383:                           ;   in Loop: Header=BB340_800 Depth=1
	s_or_b32 exec_lo, exec_lo, s18
.LBB340_1384:                           ;   in Loop: Header=BB340_800 Depth=1
	s_or_b32 exec_lo, exec_lo, s15
	s_mov_b32 s15, exec_lo
	v_cmpx_lt_u64_e64 s[6:7], v[21:22]
	s_cbranch_execz .LBB340_1392
; %bb.1385:                             ;   in Loop: Header=BB340_800 Depth=1
	v_cmp_ne_u32_sdwa s4, v22, v55 src0_sel:BYTE_3 src1_sel:DWORD
	v_bfrev_b32_e32 v25, 1
	s_and_saveexec_b32 s18, s4
	s_cbranch_execz .LBB340_1391
; %bb.1386:                             ;   in Loop: Header=BB340_800 Depth=1
	v_bfe_u32 v23, v22, 24, 7
	v_mov_b32_e32 v25, 0x7f800001
	s_mov_b32 s19, exec_lo
	v_cmpx_ne_u32_e32 0x7f, v23
	s_cbranch_execz .LBB340_1390
; %bb.1387:                             ;   in Loop: Header=BB340_800 Depth=1
	v_mov_b32_e32 v11, 7
	v_lshrrev_b32_e32 v21, 3, v23
	v_cmp_gt_u32_e64 s4, 8, v23
	v_and_b32_sdwa v11, v22, v11 dst_sel:DWORD dst_unused:UNUSED_PAD src0_sel:BYTE_3 src1_sel:DWORD
	v_mov_b32_e32 v24, v12
	v_mov_b32_e32 v23, v11
	s_and_saveexec_b32 s20, s4
; %bb.1388:                             ;   in Loop: Header=BB340_800 Depth=1
	v_ffbh_u32_e32 v21, v11
	v_min_u32_e32 v21, 32, v21
	v_subrev_nc_u32_e32 v23, 28, v21
	v_sub_nc_u32_e32 v21, 29, v21
	v_lshlrev_b64 v[23:24], v23, v[11:12]
	v_and_b32_e32 v23, 7, v23
; %bb.1389:                             ;   in Loop: Header=BB340_800 Depth=1
	s_or_b32 exec_lo, exec_lo, s20
	v_mov_b32_e32 v11, 24
	v_lshl_add_u32 v21, v21, 23, 0x3c000000
	v_lshlrev_b32_sdwa v11, v11, v22 dst_sel:DWORD dst_unused:UNUSED_PAD src0_sel:DWORD src1_sel:BYTE_3
	v_lshlrev_b32_e32 v22, 20, v23
	v_and_b32_e32 v11, 0x80000000, v11
	v_or3_b32 v25, v22, v11, v21
.LBB340_1390:                           ;   in Loop: Header=BB340_800 Depth=1
	s_or_b32 exec_lo, exec_lo, s19
.LBB340_1391:                           ;   in Loop: Header=BB340_800 Depth=1
	s_or_b32 exec_lo, exec_lo, s18
.LBB340_1392:                           ;   in Loop: Header=BB340_800 Depth=1
	s_or_b32 exec_lo, exec_lo, s15
	v_mul_f32_e32 v11, v52, v66
	v_mul_f32_e32 v10, v52, v10
	v_bfe_u32 v21, v11, 16, 1
	v_or_b32_e32 v22, 0x400000, v11
	v_cmp_u_f32_e64 s4, v11, v11
	v_add3_u32 v21, v21, v11, 0x7fff
	v_cndmask_b32_e64 v11, v21, v22, s4
	v_lshrrev_b32_e32 v109, 16, v11
	v_mul_f32_e32 v11, v52, v64
	v_bfe_u32 v21, v11, 16, 1
	v_or_b32_e32 v22, 0x400000, v11
	v_cmp_u_f32_e64 s4, v11, v11
	v_add3_u32 v21, v21, v11, 0x7fff
	v_cndmask_b32_e64 v11, v21, v22, s4
	v_lshrrev_b32_e32 v110, 16, v11
	;; [unrolled: 7-line block ×4, first 2 shown]
	v_mul_f32_e32 v11, v52, v13
	v_bfe_u32 v13, v11, 16, 1
	v_or_b32_e32 v14, 0x400000, v11
	v_cmp_u_f32_e64 s4, v11, v11
	v_add3_u32 v13, v13, v11, 0x7fff
	v_cndmask_b32_e64 v11, v13, v14, s4
	v_or_b32_e32 v13, 0x400000, v10
	v_cmp_u_f32_e64 s4, v10, v10
	v_lshrrev_b32_e32 v122, 16, v11
	v_bfe_u32 v11, v10, 16, 1
	v_add3_u32 v11, v11, v10, 0x7fff
	v_cndmask_b32_e64 v10, v11, v13, s4
	v_lshrrev_b32_e32 v123, 16, v10
	v_mul_f32_e32 v10, v52, v33
	v_bfe_u32 v11, v10, 16, 1
	v_or_b32_e32 v13, 0x400000, v10
	v_cmp_u_f32_e64 s4, v10, v10
	v_add3_u32 v11, v11, v10, 0x7fff
	v_cndmask_b32_e64 v10, v11, v13, s4
	v_lshrrev_b32_e32 v121, 16, v10
	v_mul_f32_e32 v10, v52, v25
	v_bfe_u32 v11, v10, 16, 1
	v_or_b32_e32 v13, 0x400000, v10
	v_cmp_u_f32_e64 s4, v10, v10
	v_add3_u32 v11, v11, v10, 0x7fff
	v_cndmask_b32_e64 v10, v11, v13, s4
	v_lshrrev_b32_e32 v124, 16, v10
	s_and_saveexec_b32 s15, vcc_lo
	s_cbranch_execz .LBB340_1394
; %bb.1393:                             ;   in Loop: Header=BB340_800 Depth=1
	v_cmp_lt_i32_e64 s4, v117, v32
	v_cndmask_b32_e64 v123, 0, v123, s4
	v_cmp_lt_i32_e64 s4, v43, v32
	v_cndmask_b32_e64 v122, 0, v122, s4
	;; [unrolled: 2-line block ×8, first 2 shown]
.LBB340_1394:                           ;   in Loop: Header=BB340_800 Depth=1
	s_or_b32 exec_lo, exec_lo, s15
	flat_load_dwordx2 v[21:22], v[19:20] offset:256
	v_mov_b32_e32 v13, 0
	v_mov_b32_e32 v10, 0
	s_waitcnt vmcnt(0) lgkmcnt(0)
	v_cmp_ne_u16_sdwa s4, v21, v12 src0_sel:BYTE_0 src1_sel:DWORD
	s_and_saveexec_b32 s15, s4
	s_cbranch_execz .LBB340_1402
; %bb.1395:                             ;   in Loop: Header=BB340_800 Depth=1
	v_cmp_ne_u16_sdwa s4, v21, v55 src0_sel:BYTE_0 src1_sel:DWORD
	v_bfrev_b32_e32 v10, 1
	s_and_saveexec_b32 s18, s4
	s_cbranch_execz .LBB340_1401
; %bb.1396:                             ;   in Loop: Header=BB340_800 Depth=1
	v_and_b32_e32 v11, 0x7f, v21
	v_mov_b32_e32 v10, 0x7f800001
	s_mov_b32 s19, exec_lo
	v_cmpx_ne_u32_e32 0x7f, v11
	s_cbranch_execz .LBB340_1400
; %bb.1397:                             ;   in Loop: Header=BB340_800 Depth=1
	v_lshrrev_b32_e32 v14, 3, v11
	v_cmp_gt_u32_e64 s4, 8, v11
	v_mov_b32_e32 v10, v21
	v_mov_b32_e32 v11, v22
	s_and_saveexec_b32 s20, s4
; %bb.1398:                             ;   in Loop: Header=BB340_800 Depth=1
	v_and_b32_e32 v10, 7, v21
	v_ffbh_u32_e32 v10, v10
	v_min_u32_e32 v14, 32, v10
	v_subrev_nc_u32_e32 v10, 28, v14
	v_sub_nc_u32_e32 v14, 29, v14
	v_lshlrev_b64 v[10:11], v10, v[21:22]
; %bb.1399:                             ;   in Loop: Header=BB340_800 Depth=1
	s_or_b32 exec_lo, exec_lo, s20
	v_lshlrev_b32_e32 v10, 20, v10
	v_lshlrev_b32_e32 v11, 24, v21
	v_lshl_add_u32 v14, v14, 23, 0x3c000000
	v_and_b32_e32 v10, 0x700000, v10
	v_and_b32_e32 v11, 0x80000000, v11
	v_or3_b32 v10, v10, v11, v14
.LBB340_1400:                           ;   in Loop: Header=BB340_800 Depth=1
	s_or_b32 exec_lo, exec_lo, s19
.LBB340_1401:                           ;   in Loop: Header=BB340_800 Depth=1
	s_or_b32 exec_lo, exec_lo, s18
.LBB340_1402:                           ;   in Loop: Header=BB340_800 Depth=1
	s_or_b32 exec_lo, exec_lo, s15
	v_cmp_ne_u16_sdwa s4, v21, v12 src0_sel:BYTE_1 src1_sel:DWORD
	s_and_saveexec_b32 s15, s4
	s_cbranch_execz .LBB340_1410
; %bb.1403:                             ;   in Loop: Header=BB340_800 Depth=1
	v_cmp_ne_u16_sdwa s4, v21, v55 src0_sel:BYTE_1 src1_sel:DWORD
	v_bfrev_b32_e32 v13, 1
	s_and_saveexec_b32 s18, s4
	s_cbranch_execz .LBB340_1409
; %bb.1404:                             ;   in Loop: Header=BB340_800 Depth=1
	v_mov_b32_e32 v11, 0xffff
	v_mov_b32_e32 v13, 0x7f800001
	s_mov_b32 s19, exec_lo
	v_and_b32_sdwa v11, v11, v21 dst_sel:DWORD dst_unused:UNUSED_PAD src0_sel:DWORD src1_sel:BYTE_1
	v_and_b32_e32 v14, 0x7f, v11
	v_cmpx_ne_u32_e32 0x7f, v14
	s_cbranch_execz .LBB340_1408
; %bb.1405:                             ;   in Loop: Header=BB340_800 Depth=1
	v_and_b32_e32 v11, 7, v11
	v_mov_b32_e32 v24, v12
	v_lshrrev_b32_e32 v13, 3, v14
	s_mov_b32 s20, exec_lo
	v_mov_b32_e32 v23, v11
	v_cmpx_gt_u32_e32 8, v14
; %bb.1406:                             ;   in Loop: Header=BB340_800 Depth=1
	v_ffbh_u32_e32 v13, v11
	v_min_u32_e32 v13, 32, v13
	v_subrev_nc_u32_e32 v14, 28, v13
	v_sub_nc_u32_e32 v13, 29, v13
	v_lshlrev_b64 v[23:24], v14, v[11:12]
	v_and_b32_e32 v23, 7, v23
; %bb.1407:                             ;   in Loop: Header=BB340_800 Depth=1
	s_or_b32 exec_lo, exec_lo, s20
	v_lshlrev_b32_e32 v11, 16, v21
	v_lshlrev_b32_e32 v14, 20, v23
	v_lshl_add_u32 v13, v13, 23, 0x3c000000
	v_and_b32_e32 v11, 0x80000000, v11
	v_or3_b32 v13, v14, v11, v13
.LBB340_1408:                           ;   in Loop: Header=BB340_800 Depth=1
	s_or_b32 exec_lo, exec_lo, s19
.LBB340_1409:                           ;   in Loop: Header=BB340_800 Depth=1
	s_or_b32 exec_lo, exec_lo, s18
.LBB340_1410:                           ;   in Loop: Header=BB340_800 Depth=1
	s_or_b32 exec_lo, exec_lo, s15
	v_and_b32_sdwa v11, v21, v65 dst_sel:DWORD dst_unused:UNUSED_PAD src0_sel:WORD_1 src1_sel:DWORD
	v_mov_b32_e32 v17, 0
	v_mov_b32_e32 v14, 0
	s_mov_b32 s15, exec_lo
	v_cmpx_ne_u16_e32 0, v11
	s_cbranch_execz .LBB340_1418
; %bb.1411:                             ;   in Loop: Header=BB340_800 Depth=1
	v_bfrev_b32_e32 v14, 1
	s_mov_b32 s18, exec_lo
	v_cmpx_ne_u16_e32 0x80, v11
	s_cbranch_execz .LBB340_1417
; %bb.1412:                             ;   in Loop: Header=BB340_800 Depth=1
	v_bfe_u32 v23, v21, 16, 7
	v_mov_b32_e32 v14, 0x7f800001
	s_mov_b32 s19, exec_lo
	v_cmpx_ne_u32_e32 0x7f, v23
	s_cbranch_execz .LBB340_1416
; %bb.1413:                             ;   in Loop: Header=BB340_800 Depth=1
	v_mov_b32_e32 v11, 7
	v_lshrrev_b32_e32 v14, 3, v23
	v_cmp_gt_u32_e64 s4, 8, v23
	v_and_b32_sdwa v11, v21, v11 dst_sel:DWORD dst_unused:UNUSED_PAD src0_sel:WORD_1 src1_sel:DWORD
	v_mov_b32_e32 v24, v12
	v_mov_b32_e32 v23, v11
	s_and_saveexec_b32 s20, s4
; %bb.1414:                             ;   in Loop: Header=BB340_800 Depth=1
	v_ffbh_u32_e32 v14, v11
	v_min_u32_e32 v14, 32, v14
	v_subrev_nc_u32_e32 v23, 28, v14
	v_sub_nc_u32_e32 v14, 29, v14
	v_lshlrev_b64 v[23:24], v23, v[11:12]
	v_and_b32_e32 v23, 7, v23
; %bb.1415:                             ;   in Loop: Header=BB340_800 Depth=1
	s_or_b32 exec_lo, exec_lo, s20
	v_mov_b32_e32 v11, 24
	v_lshlrev_b32_e32 v23, 20, v23
	v_lshl_add_u32 v14, v14, 23, 0x3c000000
	v_lshlrev_b32_sdwa v11, v11, v21 dst_sel:DWORD dst_unused:UNUSED_PAD src0_sel:DWORD src1_sel:WORD_1
	v_and_b32_e32 v11, 0x80000000, v11
	v_or3_b32 v14, v23, v11, v14
.LBB340_1416:                           ;   in Loop: Header=BB340_800 Depth=1
	s_or_b32 exec_lo, exec_lo, s19
.LBB340_1417:                           ;   in Loop: Header=BB340_800 Depth=1
	s_or_b32 exec_lo, exec_lo, s18
.LBB340_1418:                           ;   in Loop: Header=BB340_800 Depth=1
	s_or_b32 exec_lo, exec_lo, s15
	s_mov_b32 s15, exec_lo
	v_cmpx_lt_u32_e32 0xffffff, v21
	s_cbranch_execz .LBB340_1426
; %bb.1419:                             ;   in Loop: Header=BB340_800 Depth=1
	v_cmp_ne_u32_sdwa s4, v21, v55 src0_sel:BYTE_3 src1_sel:DWORD
	v_bfrev_b32_e32 v17, 1
	s_and_saveexec_b32 s18, s4
	s_cbranch_execz .LBB340_1425
; %bb.1420:                             ;   in Loop: Header=BB340_800 Depth=1
	v_bfe_u32 v23, v21, 24, 7
	v_mov_b32_e32 v17, 0x7f800001
	s_mov_b32 s19, exec_lo
	v_cmpx_ne_u32_e32 0x7f, v23
	s_cbranch_execz .LBB340_1424
; %bb.1421:                             ;   in Loop: Header=BB340_800 Depth=1
	v_mov_b32_e32 v11, 7
	v_lshrrev_b32_e32 v17, 3, v23
	v_cmp_gt_u32_e64 s4, 8, v23
	v_and_b32_sdwa v11, v21, v11 dst_sel:DWORD dst_unused:UNUSED_PAD src0_sel:BYTE_3 src1_sel:DWORD
	v_mov_b32_e32 v24, v12
	v_mov_b32_e32 v23, v11
	s_and_saveexec_b32 s20, s4
; %bb.1422:                             ;   in Loop: Header=BB340_800 Depth=1
	v_ffbh_u32_e32 v17, v11
	v_min_u32_e32 v17, 32, v17
	v_subrev_nc_u32_e32 v23, 28, v17
	v_sub_nc_u32_e32 v17, 29, v17
	v_lshlrev_b64 v[23:24], v23, v[11:12]
	v_and_b32_e32 v23, 7, v23
; %bb.1423:                             ;   in Loop: Header=BB340_800 Depth=1
	s_or_b32 exec_lo, exec_lo, s20
	v_mov_b32_e32 v11, 24
	v_lshlrev_b32_e32 v23, 20, v23
	v_lshl_add_u32 v17, v17, 23, 0x3c000000
	v_lshlrev_b32_sdwa v11, v11, v21 dst_sel:DWORD dst_unused:UNUSED_PAD src0_sel:DWORD src1_sel:BYTE_3
	v_and_b32_e32 v11, 0x80000000, v11
	v_or3_b32 v17, v23, v11, v17
.LBB340_1424:                           ;   in Loop: Header=BB340_800 Depth=1
	s_or_b32 exec_lo, exec_lo, s19
.LBB340_1425:                           ;   in Loop: Header=BB340_800 Depth=1
	s_or_b32 exec_lo, exec_lo, s18
.LBB340_1426:                           ;   in Loop: Header=BB340_800 Depth=1
	s_or_b32 exec_lo, exec_lo, s15
	v_mov_b32_e32 v11, v22
	v_cmp_ne_u16_sdwa s4, v22, v12 src0_sel:BYTE_0 src1_sel:DWORD
	v_mov_b32_e32 v66, 0
	v_mov_b32_e32 v64, 0
	s_and_saveexec_b32 s15, s4
	s_cbranch_execz .LBB340_1434
; %bb.1427:                             ;   in Loop: Header=BB340_800 Depth=1
	v_cmp_ne_u16_sdwa s4, v22, v55 src0_sel:BYTE_0 src1_sel:DWORD
	v_bfrev_b32_e32 v64, 1
	s_and_saveexec_b32 s18, s4
	s_cbranch_execz .LBB340_1433
; %bb.1428:                             ;   in Loop: Header=BB340_800 Depth=1
	v_and_b32_e32 v23, 0x7f, v22
	v_mov_b32_e32 v64, 0x7f800001
	s_mov_b32 s19, exec_lo
	v_cmpx_ne_u32_e32 0x7f, v23
	s_cbranch_execz .LBB340_1432
; %bb.1429:                             ;   in Loop: Header=BB340_800 Depth=1
	v_lshrrev_b32_e32 v25, 3, v23
	v_cmp_gt_u32_e64 s4, 8, v23
	v_mov_b32_e32 v24, v12
	v_mov_b32_e32 v23, v11
	s_and_saveexec_b32 s20, s4
; %bb.1430:                             ;   in Loop: Header=BB340_800 Depth=1
	v_and_b32_e32 v23, 7, v22
	v_ffbh_u32_e32 v23, v23
	v_min_u32_e32 v25, 32, v23
	v_subrev_nc_u32_e32 v23, 28, v25
	v_sub_nc_u32_e32 v25, 29, v25
	v_lshlrev_b64 v[23:24], v23, v[11:12]
; %bb.1431:                             ;   in Loop: Header=BB340_800 Depth=1
	s_or_b32 exec_lo, exec_lo, s20
	v_lshlrev_b32_e32 v23, 20, v23
	v_lshlrev_b32_e32 v24, 24, v11
	v_lshl_add_u32 v25, v25, 23, 0x3c000000
	v_and_b32_e32 v23, 0x700000, v23
	v_and_b32_e32 v24, 0x80000000, v24
	v_or3_b32 v64, v23, v24, v25
.LBB340_1432:                           ;   in Loop: Header=BB340_800 Depth=1
	s_or_b32 exec_lo, exec_lo, s19
.LBB340_1433:                           ;   in Loop: Header=BB340_800 Depth=1
	s_or_b32 exec_lo, exec_lo, s18
.LBB340_1434:                           ;   in Loop: Header=BB340_800 Depth=1
	s_or_b32 exec_lo, exec_lo, s15
	v_cmp_ne_u16_sdwa s4, v11, v12 src0_sel:BYTE_1 src1_sel:DWORD
	s_and_saveexec_b32 s15, s4
	s_cbranch_execz .LBB340_1442
; %bb.1435:                             ;   in Loop: Header=BB340_800 Depth=1
	v_cmp_ne_u16_sdwa s4, v11, v55 src0_sel:BYTE_1 src1_sel:DWORD
	v_bfrev_b32_e32 v66, 1
	s_and_saveexec_b32 s18, s4
	s_cbranch_execz .LBB340_1441
; %bb.1436:                             ;   in Loop: Header=BB340_800 Depth=1
	v_mov_b32_e32 v23, 0xffff
	v_mov_b32_e32 v66, 0x7f800001
	s_mov_b32 s19, exec_lo
	v_and_b32_sdwa v23, v23, v11 dst_sel:DWORD dst_unused:UNUSED_PAD src0_sel:DWORD src1_sel:BYTE_1
	v_and_b32_e32 v33, 0x7f, v23
	v_cmpx_ne_u32_e32 0x7f, v33
	s_cbranch_execz .LBB340_1440
; %bb.1437:                             ;   in Loop: Header=BB340_800 Depth=1
	v_and_b32_e32 v23, 7, v23
	v_mov_b32_e32 v24, v12
	v_lshrrev_b32_e32 v25, 3, v33
	s_mov_b32 s20, exec_lo
	v_cmpx_gt_u32_e32 8, v33
; %bb.1438:                             ;   in Loop: Header=BB340_800 Depth=1
	v_ffbh_u32_e32 v25, v23
	v_min_u32_e32 v25, 32, v25
	v_subrev_nc_u32_e32 v33, 28, v25
	v_sub_nc_u32_e32 v25, 29, v25
	v_lshlrev_b64 v[23:24], v33, v[23:24]
	v_and_b32_e32 v23, 7, v23
; %bb.1439:                             ;   in Loop: Header=BB340_800 Depth=1
	s_or_b32 exec_lo, exec_lo, s20
	v_lshlrev_b32_e32 v11, 16, v11
	v_lshlrev_b32_e32 v23, 20, v23
	v_lshl_add_u32 v24, v25, 23, 0x3c000000
	v_and_b32_e32 v11, 0x80000000, v11
	v_or3_b32 v66, v23, v11, v24
.LBB340_1440:                           ;   in Loop: Header=BB340_800 Depth=1
	s_or_b32 exec_lo, exec_lo, s19
.LBB340_1441:                           ;   in Loop: Header=BB340_800 Depth=1
	s_or_b32 exec_lo, exec_lo, s18
.LBB340_1442:                           ;   in Loop: Header=BB340_800 Depth=1
	s_or_b32 exec_lo, exec_lo, s15
	v_and_b32_sdwa v11, v22, v65 dst_sel:DWORD dst_unused:UNUSED_PAD src0_sel:WORD_1 src1_sel:DWORD
	v_mov_b32_e32 v33, 0
	v_mov_b32_e32 v25, 0
	s_mov_b32 s15, exec_lo
	v_cmpx_ne_u16_e32 0, v11
	s_cbranch_execz .LBB340_1450
; %bb.1443:                             ;   in Loop: Header=BB340_800 Depth=1
	v_bfrev_b32_e32 v25, 1
	s_mov_b32 s18, exec_lo
	v_cmpx_ne_u16_e32 0x80, v11
	s_cbranch_execz .LBB340_1449
; %bb.1444:                             ;   in Loop: Header=BB340_800 Depth=1
	v_bfe_u32 v23, v22, 16, 7
	v_mov_b32_e32 v25, 0x7f800001
	s_mov_b32 s19, exec_lo
	v_cmpx_ne_u32_e32 0x7f, v23
	s_cbranch_execz .LBB340_1448
; %bb.1445:                             ;   in Loop: Header=BB340_800 Depth=1
	v_mov_b32_e32 v11, 7
	v_lshrrev_b32_e32 v25, 3, v23
	v_cmp_gt_u32_e64 s4, 8, v23
	v_and_b32_sdwa v11, v22, v11 dst_sel:DWORD dst_unused:UNUSED_PAD src0_sel:WORD_1 src1_sel:DWORD
	v_mov_b32_e32 v24, v12
	v_mov_b32_e32 v23, v11
	s_and_saveexec_b32 s20, s4
; %bb.1446:                             ;   in Loop: Header=BB340_800 Depth=1
	v_ffbh_u32_e32 v23, v11
	v_min_u32_e32 v25, 32, v23
	v_subrev_nc_u32_e32 v23, 28, v25
	v_sub_nc_u32_e32 v25, 29, v25
	v_lshlrev_b64 v[23:24], v23, v[11:12]
	v_and_b32_e32 v23, 7, v23
; %bb.1447:                             ;   in Loop: Header=BB340_800 Depth=1
	s_or_b32 exec_lo, exec_lo, s20
	v_mov_b32_e32 v11, 24
	v_lshlrev_b32_e32 v23, 20, v23
	v_lshl_add_u32 v24, v25, 23, 0x3c000000
	v_lshlrev_b32_sdwa v11, v11, v22 dst_sel:DWORD dst_unused:UNUSED_PAD src0_sel:DWORD src1_sel:WORD_1
	v_and_b32_e32 v11, 0x80000000, v11
	v_or3_b32 v25, v23, v11, v24
.LBB340_1448:                           ;   in Loop: Header=BB340_800 Depth=1
	s_or_b32 exec_lo, exec_lo, s19
.LBB340_1449:                           ;   in Loop: Header=BB340_800 Depth=1
	s_or_b32 exec_lo, exec_lo, s18
.LBB340_1450:                           ;   in Loop: Header=BB340_800 Depth=1
	s_or_b32 exec_lo, exec_lo, s15
	s_mov_b32 s15, exec_lo
	v_cmpx_lt_u64_e64 s[6:7], v[21:22]
	s_cbranch_execz .LBB340_1458
; %bb.1451:                             ;   in Loop: Header=BB340_800 Depth=1
	v_cmp_ne_u32_sdwa s4, v22, v55 src0_sel:BYTE_3 src1_sel:DWORD
	v_bfrev_b32_e32 v33, 1
	s_and_saveexec_b32 s18, s4
	s_cbranch_execz .LBB340_1457
; %bb.1452:                             ;   in Loop: Header=BB340_800 Depth=1
	v_bfe_u32 v23, v22, 24, 7
	v_mov_b32_e32 v33, 0x7f800001
	s_mov_b32 s19, exec_lo
	v_cmpx_ne_u32_e32 0x7f, v23
	s_cbranch_execz .LBB340_1456
; %bb.1453:                             ;   in Loop: Header=BB340_800 Depth=1
	v_mov_b32_e32 v11, 7
	v_lshrrev_b32_e32 v21, 3, v23
	v_cmp_gt_u32_e64 s4, 8, v23
	v_and_b32_sdwa v11, v22, v11 dst_sel:DWORD dst_unused:UNUSED_PAD src0_sel:BYTE_3 src1_sel:DWORD
	v_mov_b32_e32 v24, v12
	v_mov_b32_e32 v23, v11
	s_and_saveexec_b32 s20, s4
; %bb.1454:                             ;   in Loop: Header=BB340_800 Depth=1
	v_ffbh_u32_e32 v21, v11
	v_min_u32_e32 v21, 32, v21
	v_subrev_nc_u32_e32 v23, 28, v21
	v_sub_nc_u32_e32 v21, 29, v21
	v_lshlrev_b64 v[23:24], v23, v[11:12]
	v_and_b32_e32 v23, 7, v23
; %bb.1455:                             ;   in Loop: Header=BB340_800 Depth=1
	s_or_b32 exec_lo, exec_lo, s20
	v_mov_b32_e32 v11, 24
	v_lshl_add_u32 v21, v21, 23, 0x3c000000
	v_lshlrev_b32_sdwa v11, v11, v22 dst_sel:DWORD dst_unused:UNUSED_PAD src0_sel:DWORD src1_sel:BYTE_3
	v_lshlrev_b32_e32 v22, 20, v23
	v_and_b32_e32 v11, 0x80000000, v11
	v_or3_b32 v33, v22, v11, v21
.LBB340_1456:                           ;   in Loop: Header=BB340_800 Depth=1
	s_or_b32 exec_lo, exec_lo, s19
.LBB340_1457:                           ;   in Loop: Header=BB340_800 Depth=1
	s_or_b32 exec_lo, exec_lo, s18
.LBB340_1458:                           ;   in Loop: Header=BB340_800 Depth=1
	s_or_b32 exec_lo, exec_lo, s15
	v_mul_f32_e32 v11, v52, v66
	v_mul_f32_e32 v10, v52, v10
	v_bfe_u32 v21, v11, 16, 1
	v_or_b32_e32 v22, 0x400000, v11
	v_cmp_u_f32_e64 s4, v11, v11
	v_add3_u32 v21, v21, v11, 0x7fff
	v_cndmask_b32_e64 v11, v21, v22, s4
	v_lshrrev_b32_e32 v125, 16, v11
	v_mul_f32_e32 v11, v52, v64
	v_bfe_u32 v21, v11, 16, 1
	v_or_b32_e32 v22, 0x400000, v11
	v_cmp_u_f32_e64 s4, v11, v11
	v_add3_u32 v21, v21, v11, 0x7fff
	v_cndmask_b32_e64 v11, v21, v22, s4
	v_lshrrev_b32_e32 v126, 16, v11
	;; [unrolled: 7-line block ×4, first 2 shown]
	v_mul_f32_e32 v11, v52, v13
	v_bfe_u32 v13, v11, 16, 1
	v_or_b32_e32 v14, 0x400000, v11
	v_cmp_u_f32_e64 s4, v11, v11
	v_add3_u32 v13, v13, v11, 0x7fff
	v_cndmask_b32_e64 v11, v13, v14, s4
	v_or_b32_e32 v14, 0x400000, v10
	v_cmp_u_f32_e64 s4, v10, v10
	v_lshrrev_b32_e32 v13, 16, v11
	v_bfe_u32 v11, v10, 16, 1
	v_add3_u32 v11, v11, v10, 0x7fff
	v_cndmask_b32_e64 v10, v11, v14, s4
	v_lshrrev_b32_e32 v14, 16, v10
	v_mul_f32_e32 v10, v52, v25
	v_bfe_u32 v11, v10, 16, 1
	v_or_b32_e32 v21, 0x400000, v10
	v_cmp_u_f32_e64 s4, v10, v10
	v_add3_u32 v11, v11, v10, 0x7fff
	v_cndmask_b32_e64 v10, v11, v21, s4
	v_lshrrev_b32_e32 v25, 16, v10
	v_mul_f32_e32 v10, v52, v33
	v_bfe_u32 v11, v10, 16, 1
	v_or_b32_e32 v21, 0x400000, v10
	v_cmp_u_f32_e64 s4, v10, v10
	v_add3_u32 v11, v11, v10, 0x7fff
	v_cndmask_b32_e64 v10, v11, v21, s4
	v_lshrrev_b32_e32 v33, 16, v10
	s_and_saveexec_b32 s15, vcc_lo
	s_cbranch_execz .LBB340_1460
; %bb.1459:                             ;   in Loop: Header=BB340_800 Depth=1
	v_cmp_lt_i32_e64 s4, v117, v32
	v_cndmask_b32_e64 v14, 0, v14, s4
	v_cmp_lt_i32_e64 s4, v43, v32
	v_cndmask_b32_e64 v13, 0, v13, s4
	v_cmp_lt_i32_e64 s4, v42, v32
	v_cndmask_b32_e64 v17, 0, v17, s4
	v_cmp_lt_i32_e64 s4, v41, v32
	v_cndmask_b32_e64 v127, 0, v127, s4
	v_cmp_lt_i32_e64 s4, v40, v32
	v_cndmask_b32_e64 v126, 0, v126, s4
	v_cmp_lt_i32_e64 s4, v119, v32
	v_cndmask_b32_e64 v125, 0, v125, s4
	v_cmp_lt_i32_e64 s4, v118, v32
	v_cndmask_b32_e64 v25, 0, v25, s4
	v_cmp_lt_i32_e64 s4, v53, v32
	v_cndmask_b32_e64 v33, 0, v33, s4
.LBB340_1460:                           ;   in Loop: Header=BB340_800 Depth=1
	s_or_b32 exec_lo, exec_lo, s15
	flat_load_dwordx2 v[21:22], v[19:20] offset:512
	v_mov_b32_e32 v70, 0
	v_mov_b32_e32 v10, 0
	s_waitcnt vmcnt(0) lgkmcnt(0)
	v_cmp_ne_u16_sdwa s4, v21, v12 src0_sel:BYTE_0 src1_sel:DWORD
	s_and_saveexec_b32 s15, s4
	s_cbranch_execz .LBB340_1468
; %bb.1461:                             ;   in Loop: Header=BB340_800 Depth=1
	v_cmp_ne_u16_sdwa s4, v21, v55 src0_sel:BYTE_0 src1_sel:DWORD
	v_bfrev_b32_e32 v10, 1
	s_and_saveexec_b32 s18, s4
	s_cbranch_execz .LBB340_1467
; %bb.1462:                             ;   in Loop: Header=BB340_800 Depth=1
	v_and_b32_e32 v11, 0x7f, v21
	v_mov_b32_e32 v10, 0x7f800001
	s_mov_b32 s19, exec_lo
	v_cmpx_ne_u32_e32 0x7f, v11
	s_cbranch_execz .LBB340_1466
; %bb.1463:                             ;   in Loop: Header=BB340_800 Depth=1
	v_lshrrev_b32_e32 v23, 3, v11
	v_cmp_gt_u32_e64 s4, 8, v11
	v_mov_b32_e32 v10, v21
	v_mov_b32_e32 v11, v22
	s_and_saveexec_b32 s20, s4
; %bb.1464:                             ;   in Loop: Header=BB340_800 Depth=1
	v_and_b32_e32 v10, 7, v21
	v_ffbh_u32_e32 v10, v10
	v_min_u32_e32 v23, 32, v10
	v_subrev_nc_u32_e32 v10, 28, v23
	v_sub_nc_u32_e32 v23, 29, v23
	v_lshlrev_b64 v[10:11], v10, v[21:22]
; %bb.1465:                             ;   in Loop: Header=BB340_800 Depth=1
	s_or_b32 exec_lo, exec_lo, s20
	v_lshlrev_b32_e32 v10, 20, v10
	v_lshlrev_b32_e32 v11, 24, v21
	v_lshl_add_u32 v23, v23, 23, 0x3c000000
	v_and_b32_e32 v10, 0x700000, v10
	v_and_b32_e32 v11, 0x80000000, v11
	v_or3_b32 v10, v10, v11, v23
.LBB340_1466:                           ;   in Loop: Header=BB340_800 Depth=1
	s_or_b32 exec_lo, exec_lo, s19
.LBB340_1467:                           ;   in Loop: Header=BB340_800 Depth=1
	s_or_b32 exec_lo, exec_lo, s18
.LBB340_1468:                           ;   in Loop: Header=BB340_800 Depth=1
	s_or_b32 exec_lo, exec_lo, s15
	v_cmp_ne_u16_sdwa s4, v21, v12 src0_sel:BYTE_1 src1_sel:DWORD
	s_and_saveexec_b32 s15, s4
	s_cbranch_execz .LBB340_1476
; %bb.1469:                             ;   in Loop: Header=BB340_800 Depth=1
	v_cmp_ne_u16_sdwa s4, v21, v55 src0_sel:BYTE_1 src1_sel:DWORD
	v_bfrev_b32_e32 v70, 1
	s_and_saveexec_b32 s18, s4
	s_cbranch_execz .LBB340_1475
; %bb.1470:                             ;   in Loop: Header=BB340_800 Depth=1
	v_mov_b32_e32 v11, 0xffff
	v_mov_b32_e32 v70, 0x7f800001
	s_mov_b32 s19, exec_lo
	v_and_b32_sdwa v11, v11, v21 dst_sel:DWORD dst_unused:UNUSED_PAD src0_sel:DWORD src1_sel:BYTE_1
	v_and_b32_e32 v23, 0x7f, v11
	v_cmpx_ne_u32_e32 0x7f, v23
	s_cbranch_execz .LBB340_1474
; %bb.1471:                             ;   in Loop: Header=BB340_800 Depth=1
	v_and_b32_e32 v11, 7, v11
	v_lshrrev_b32_e32 v64, 3, v23
	v_cmp_gt_u32_e64 s4, 8, v23
	v_mov_b32_e32 v24, v12
	v_mov_b32_e32 v23, v11
	s_and_saveexec_b32 s20, s4
; %bb.1472:                             ;   in Loop: Header=BB340_800 Depth=1
	v_ffbh_u32_e32 v23, v11
	v_min_u32_e32 v64, 32, v23
	v_subrev_nc_u32_e32 v23, 28, v64
	v_sub_nc_u32_e32 v64, 29, v64
	v_lshlrev_b64 v[23:24], v23, v[11:12]
	v_and_b32_e32 v23, 7, v23
; %bb.1473:                             ;   in Loop: Header=BB340_800 Depth=1
	s_or_b32 exec_lo, exec_lo, s20
	v_lshlrev_b32_e32 v11, 16, v21
	v_lshlrev_b32_e32 v23, 20, v23
	v_lshl_add_u32 v24, v64, 23, 0x3c000000
	v_and_b32_e32 v11, 0x80000000, v11
	v_or3_b32 v70, v23, v11, v24
.LBB340_1474:                           ;   in Loop: Header=BB340_800 Depth=1
	s_or_b32 exec_lo, exec_lo, s19
.LBB340_1475:                           ;   in Loop: Header=BB340_800 Depth=1
	s_or_b32 exec_lo, exec_lo, s18
.LBB340_1476:                           ;   in Loop: Header=BB340_800 Depth=1
	s_or_b32 exec_lo, exec_lo, s15
	v_and_b32_sdwa v11, v21, v65 dst_sel:DWORD dst_unused:UNUSED_PAD src0_sel:WORD_1 src1_sel:DWORD
	v_mov_b32_e32 v67, 0
	v_mov_b32_e32 v69, 0
	s_mov_b32 s15, exec_lo
	v_cmpx_ne_u16_e32 0, v11
	s_cbranch_execz .LBB340_1484
; %bb.1477:                             ;   in Loop: Header=BB340_800 Depth=1
	v_bfrev_b32_e32 v69, 1
	s_mov_b32 s18, exec_lo
	v_cmpx_ne_u16_e32 0x80, v11
	s_cbranch_execz .LBB340_1483
; %bb.1478:                             ;   in Loop: Header=BB340_800 Depth=1
	v_bfe_u32 v23, v21, 16, 7
	v_mov_b32_e32 v69, 0x7f800001
	s_mov_b32 s19, exec_lo
	v_cmpx_ne_u32_e32 0x7f, v23
	s_cbranch_execz .LBB340_1482
; %bb.1479:                             ;   in Loop: Header=BB340_800 Depth=1
	v_mov_b32_e32 v11, 7
	v_lshrrev_b32_e32 v64, 3, v23
	v_cmp_gt_u32_e64 s4, 8, v23
	v_and_b32_sdwa v11, v21, v11 dst_sel:DWORD dst_unused:UNUSED_PAD src0_sel:WORD_1 src1_sel:DWORD
	v_mov_b32_e32 v24, v12
	v_mov_b32_e32 v23, v11
	s_and_saveexec_b32 s20, s4
; %bb.1480:                             ;   in Loop: Header=BB340_800 Depth=1
	v_ffbh_u32_e32 v23, v11
	v_min_u32_e32 v64, 32, v23
	v_subrev_nc_u32_e32 v23, 28, v64
	v_sub_nc_u32_e32 v64, 29, v64
	v_lshlrev_b64 v[23:24], v23, v[11:12]
	v_and_b32_e32 v23, 7, v23
; %bb.1481:                             ;   in Loop: Header=BB340_800 Depth=1
	s_or_b32 exec_lo, exec_lo, s20
	v_mov_b32_e32 v11, 24
	v_lshlrev_b32_e32 v23, 20, v23
	v_lshl_add_u32 v24, v64, 23, 0x3c000000
	v_lshlrev_b32_sdwa v11, v11, v21 dst_sel:DWORD dst_unused:UNUSED_PAD src0_sel:DWORD src1_sel:WORD_1
	v_and_b32_e32 v11, 0x80000000, v11
	v_or3_b32 v69, v23, v11, v24
.LBB340_1482:                           ;   in Loop: Header=BB340_800 Depth=1
	s_or_b32 exec_lo, exec_lo, s19
.LBB340_1483:                           ;   in Loop: Header=BB340_800 Depth=1
	s_or_b32 exec_lo, exec_lo, s18
.LBB340_1484:                           ;   in Loop: Header=BB340_800 Depth=1
	s_or_b32 exec_lo, exec_lo, s15
	s_mov_b32 s15, exec_lo
	v_cmpx_lt_u32_e32 0xffffff, v21
	s_cbranch_execz .LBB340_1492
; %bb.1485:                             ;   in Loop: Header=BB340_800 Depth=1
	v_cmp_ne_u32_sdwa s4, v21, v55 src0_sel:BYTE_3 src1_sel:DWORD
	v_bfrev_b32_e32 v67, 1
	s_and_saveexec_b32 s18, s4
	s_cbranch_execz .LBB340_1491
; %bb.1486:                             ;   in Loop: Header=BB340_800 Depth=1
	v_bfe_u32 v23, v21, 24, 7
	v_mov_b32_e32 v67, 0x7f800001
	s_mov_b32 s19, exec_lo
	v_cmpx_ne_u32_e32 0x7f, v23
	s_cbranch_execz .LBB340_1490
; %bb.1487:                             ;   in Loop: Header=BB340_800 Depth=1
	v_mov_b32_e32 v11, 7
	v_lshrrev_b32_e32 v64, 3, v23
	v_cmp_gt_u32_e64 s4, 8, v23
	v_and_b32_sdwa v11, v21, v11 dst_sel:DWORD dst_unused:UNUSED_PAD src0_sel:BYTE_3 src1_sel:DWORD
	v_mov_b32_e32 v24, v12
	v_mov_b32_e32 v23, v11
	s_and_saveexec_b32 s20, s4
; %bb.1488:                             ;   in Loop: Header=BB340_800 Depth=1
	v_ffbh_u32_e32 v23, v11
	v_min_u32_e32 v64, 32, v23
	v_subrev_nc_u32_e32 v23, 28, v64
	v_sub_nc_u32_e32 v64, 29, v64
	v_lshlrev_b64 v[23:24], v23, v[11:12]
	v_and_b32_e32 v23, 7, v23
; %bb.1489:                             ;   in Loop: Header=BB340_800 Depth=1
	s_or_b32 exec_lo, exec_lo, s20
	v_mov_b32_e32 v11, 24
	v_lshlrev_b32_e32 v23, 20, v23
	v_lshl_add_u32 v24, v64, 23, 0x3c000000
	v_lshlrev_b32_sdwa v11, v11, v21 dst_sel:DWORD dst_unused:UNUSED_PAD src0_sel:DWORD src1_sel:BYTE_3
	v_and_b32_e32 v11, 0x80000000, v11
	v_or3_b32 v67, v23, v11, v24
.LBB340_1490:                           ;   in Loop: Header=BB340_800 Depth=1
	s_or_b32 exec_lo, exec_lo, s19
.LBB340_1491:                           ;   in Loop: Header=BB340_800 Depth=1
	s_or_b32 exec_lo, exec_lo, s18
.LBB340_1492:                           ;   in Loop: Header=BB340_800 Depth=1
	s_or_b32 exec_lo, exec_lo, s15
	v_mov_b32_e32 v11, v22
	v_cmp_ne_u16_sdwa s4, v22, v12 src0_sel:BYTE_0 src1_sel:DWORD
	v_mov_b32_e32 v64, 0
	v_mov_b32_e32 v66, 0
	s_and_saveexec_b32 s15, s4
	s_cbranch_execz .LBB340_1500
; %bb.1493:                             ;   in Loop: Header=BB340_800 Depth=1
	v_cmp_ne_u16_sdwa s4, v22, v55 src0_sel:BYTE_0 src1_sel:DWORD
	v_bfrev_b32_e32 v66, 1
	s_and_saveexec_b32 s18, s4
	s_cbranch_execz .LBB340_1499
; %bb.1494:                             ;   in Loop: Header=BB340_800 Depth=1
	v_and_b32_e32 v23, 0x7f, v22
	v_mov_b32_e32 v66, 0x7f800001
	s_mov_b32 s19, exec_lo
	v_cmpx_ne_u32_e32 0x7f, v23
	s_cbranch_execz .LBB340_1498
; %bb.1495:                             ;   in Loop: Header=BB340_800 Depth=1
	v_lshrrev_b32_e32 v66, 3, v23
	v_cmp_gt_u32_e64 s4, 8, v23
	v_mov_b32_e32 v24, v12
	v_mov_b32_e32 v23, v11
	s_and_saveexec_b32 s20, s4
; %bb.1496:                             ;   in Loop: Header=BB340_800 Depth=1
	v_and_b32_e32 v23, 7, v22
	v_ffbh_u32_e32 v23, v23
	v_min_u32_e32 v66, 32, v23
	v_subrev_nc_u32_e32 v23, 28, v66
	v_sub_nc_u32_e32 v66, 29, v66
	v_lshlrev_b64 v[23:24], v23, v[11:12]
; %bb.1497:                             ;   in Loop: Header=BB340_800 Depth=1
	s_or_b32 exec_lo, exec_lo, s20
	v_lshlrev_b32_e32 v23, 20, v23
	v_lshlrev_b32_e32 v24, 24, v11
	v_lshl_add_u32 v66, v66, 23, 0x3c000000
	v_and_b32_e32 v23, 0x700000, v23
	v_and_b32_e32 v24, 0x80000000, v24
	v_or3_b32 v66, v23, v24, v66
.LBB340_1498:                           ;   in Loop: Header=BB340_800 Depth=1
	s_or_b32 exec_lo, exec_lo, s19
.LBB340_1499:                           ;   in Loop: Header=BB340_800 Depth=1
	s_or_b32 exec_lo, exec_lo, s18
.LBB340_1500:                           ;   in Loop: Header=BB340_800 Depth=1
	s_or_b32 exec_lo, exec_lo, s15
	v_cmp_ne_u16_sdwa s4, v11, v12 src0_sel:BYTE_1 src1_sel:DWORD
	s_and_saveexec_b32 s15, s4
	s_cbranch_execz .LBB340_1508
; %bb.1501:                             ;   in Loop: Header=BB340_800 Depth=1
	v_cmp_ne_u16_sdwa s4, v11, v55 src0_sel:BYTE_1 src1_sel:DWORD
	v_bfrev_b32_e32 v64, 1
	s_and_saveexec_b32 s18, s4
	s_cbranch_execz .LBB340_1507
; %bb.1502:                             ;   in Loop: Header=BB340_800 Depth=1
	v_mov_b32_e32 v23, 0xffff
	v_mov_b32_e32 v64, 0x7f800001
	s_mov_b32 s19, exec_lo
	v_and_b32_sdwa v23, v23, v11 dst_sel:DWORD dst_unused:UNUSED_PAD src0_sel:DWORD src1_sel:BYTE_1
	v_and_b32_e32 v71, 0x7f, v23
	v_cmpx_ne_u32_e32 0x7f, v71
	s_cbranch_execz .LBB340_1506
; %bb.1503:                             ;   in Loop: Header=BB340_800 Depth=1
	v_and_b32_e32 v23, 7, v23
	v_mov_b32_e32 v24, v12
	v_lshrrev_b32_e32 v64, 3, v71
	s_mov_b32 s20, exec_lo
	v_cmpx_gt_u32_e32 8, v71
; %bb.1504:                             ;   in Loop: Header=BB340_800 Depth=1
	v_ffbh_u32_e32 v64, v23
	v_min_u32_e32 v64, 32, v64
	v_subrev_nc_u32_e32 v71, 28, v64
	v_sub_nc_u32_e32 v64, 29, v64
	v_lshlrev_b64 v[23:24], v71, v[23:24]
	v_and_b32_e32 v23, 7, v23
; %bb.1505:                             ;   in Loop: Header=BB340_800 Depth=1
	s_or_b32 exec_lo, exec_lo, s20
	v_lshlrev_b32_e32 v11, 16, v11
	v_lshlrev_b32_e32 v23, 20, v23
	v_lshl_add_u32 v24, v64, 23, 0x3c000000
	v_and_b32_e32 v11, 0x80000000, v11
	v_or3_b32 v64, v23, v11, v24
.LBB340_1506:                           ;   in Loop: Header=BB340_800 Depth=1
	s_or_b32 exec_lo, exec_lo, s19
.LBB340_1507:                           ;   in Loop: Header=BB340_800 Depth=1
	s_or_b32 exec_lo, exec_lo, s18
.LBB340_1508:                           ;   in Loop: Header=BB340_800 Depth=1
	s_or_b32 exec_lo, exec_lo, s15
	v_and_b32_sdwa v11, v22, v65 dst_sel:DWORD dst_unused:UNUSED_PAD src0_sel:WORD_1 src1_sel:DWORD
	v_mov_b32_e32 v81, 0
	v_mov_b32_e32 v82, 0
	s_mov_b32 s15, exec_lo
	v_cmpx_ne_u16_e32 0, v11
	s_cbranch_execz .LBB340_1516
; %bb.1509:                             ;   in Loop: Header=BB340_800 Depth=1
	v_bfrev_b32_e32 v82, 1
	s_mov_b32 s18, exec_lo
	v_cmpx_ne_u16_e32 0x80, v11
	s_cbranch_execz .LBB340_1515
; %bb.1510:                             ;   in Loop: Header=BB340_800 Depth=1
	v_bfe_u32 v23, v22, 16, 7
	v_mov_b32_e32 v82, 0x7f800001
	s_mov_b32 s19, exec_lo
	v_cmpx_ne_u32_e32 0x7f, v23
	s_cbranch_execz .LBB340_1514
; %bb.1511:                             ;   in Loop: Header=BB340_800 Depth=1
	v_mov_b32_e32 v11, 7
	v_lshrrev_b32_e32 v71, 3, v23
	v_cmp_gt_u32_e64 s4, 8, v23
	v_and_b32_sdwa v11, v22, v11 dst_sel:DWORD dst_unused:UNUSED_PAD src0_sel:WORD_1 src1_sel:DWORD
	v_mov_b32_e32 v24, v12
	v_mov_b32_e32 v23, v11
	s_and_saveexec_b32 s20, s4
; %bb.1512:                             ;   in Loop: Header=BB340_800 Depth=1
	v_ffbh_u32_e32 v23, v11
	v_min_u32_e32 v71, 32, v23
	v_subrev_nc_u32_e32 v23, 28, v71
	v_sub_nc_u32_e32 v71, 29, v71
	v_lshlrev_b64 v[23:24], v23, v[11:12]
	v_and_b32_e32 v23, 7, v23
; %bb.1513:                             ;   in Loop: Header=BB340_800 Depth=1
	s_or_b32 exec_lo, exec_lo, s20
	v_mov_b32_e32 v11, 24
	v_lshlrev_b32_e32 v23, 20, v23
	v_lshl_add_u32 v24, v71, 23, 0x3c000000
	v_lshlrev_b32_sdwa v11, v11, v22 dst_sel:DWORD dst_unused:UNUSED_PAD src0_sel:DWORD src1_sel:WORD_1
	v_and_b32_e32 v11, 0x80000000, v11
	v_or3_b32 v82, v23, v11, v24
.LBB340_1514:                           ;   in Loop: Header=BB340_800 Depth=1
	s_or_b32 exec_lo, exec_lo, s19
.LBB340_1515:                           ;   in Loop: Header=BB340_800 Depth=1
	s_or_b32 exec_lo, exec_lo, s18
.LBB340_1516:                           ;   in Loop: Header=BB340_800 Depth=1
	s_or_b32 exec_lo, exec_lo, s15
	s_mov_b32 s15, exec_lo
	v_cmpx_lt_u64_e64 s[6:7], v[21:22]
	s_cbranch_execz .LBB340_1524
; %bb.1517:                             ;   in Loop: Header=BB340_800 Depth=1
	v_cmp_ne_u32_sdwa s4, v22, v55 src0_sel:BYTE_3 src1_sel:DWORD
	v_bfrev_b32_e32 v81, 1
	s_and_saveexec_b32 s18, s4
	s_cbranch_execz .LBB340_1523
; %bb.1518:                             ;   in Loop: Header=BB340_800 Depth=1
	v_bfe_u32 v23, v22, 24, 7
	v_mov_b32_e32 v81, 0x7f800001
	s_mov_b32 s19, exec_lo
	v_cmpx_ne_u32_e32 0x7f, v23
	s_cbranch_execz .LBB340_1522
; %bb.1519:                             ;   in Loop: Header=BB340_800 Depth=1
	v_mov_b32_e32 v11, 7
	v_lshrrev_b32_e32 v21, 3, v23
	v_cmp_gt_u32_e64 s4, 8, v23
	v_and_b32_sdwa v11, v22, v11 dst_sel:DWORD dst_unused:UNUSED_PAD src0_sel:BYTE_3 src1_sel:DWORD
	v_mov_b32_e32 v24, v12
	v_mov_b32_e32 v23, v11
	s_and_saveexec_b32 s20, s4
; %bb.1520:                             ;   in Loop: Header=BB340_800 Depth=1
	v_ffbh_u32_e32 v21, v11
	v_min_u32_e32 v21, 32, v21
	v_subrev_nc_u32_e32 v23, 28, v21
	v_sub_nc_u32_e32 v21, 29, v21
	v_lshlrev_b64 v[23:24], v23, v[11:12]
	v_and_b32_e32 v23, 7, v23
; %bb.1521:                             ;   in Loop: Header=BB340_800 Depth=1
	s_or_b32 exec_lo, exec_lo, s20
	v_mov_b32_e32 v11, 24
	v_lshl_add_u32 v21, v21, 23, 0x3c000000
	v_lshlrev_b32_sdwa v11, v11, v22 dst_sel:DWORD dst_unused:UNUSED_PAD src0_sel:DWORD src1_sel:BYTE_3
	v_lshlrev_b32_e32 v22, 20, v23
	v_and_b32_e32 v11, 0x80000000, v11
	v_or3_b32 v81, v22, v11, v21
.LBB340_1522:                           ;   in Loop: Header=BB340_800 Depth=1
	s_or_b32 exec_lo, exec_lo, s19
.LBB340_1523:                           ;   in Loop: Header=BB340_800 Depth=1
	s_or_b32 exec_lo, exec_lo, s18
.LBB340_1524:                           ;   in Loop: Header=BB340_800 Depth=1
	s_or_b32 exec_lo, exec_lo, s15
	v_mul_f32_e32 v11, v52, v64
	v_mul_f32_e32 v10, v52, v10
	v_bfe_u32 v21, v11, 16, 1
	v_or_b32_e32 v22, 0x400000, v11
	v_cmp_u_f32_e64 s4, v11, v11
	v_add3_u32 v21, v21, v11, 0x7fff
	v_cndmask_b32_e64 v11, v21, v22, s4
	v_lshrrev_b32_e32 v64, 16, v11
	v_mul_f32_e32 v11, v52, v66
	v_bfe_u32 v21, v11, 16, 1
	v_or_b32_e32 v22, 0x400000, v11
	v_cmp_u_f32_e64 s4, v11, v11
	v_add3_u32 v21, v21, v11, 0x7fff
	v_cndmask_b32_e64 v11, v21, v22, s4
	v_lshrrev_b32_e32 v66, 16, v11
	;; [unrolled: 7-line block ×4, first 2 shown]
	v_mul_f32_e32 v11, v52, v70
	v_bfe_u32 v21, v11, 16, 1
	v_or_b32_e32 v22, 0x400000, v11
	v_cmp_u_f32_e64 s4, v11, v11
	v_add3_u32 v21, v21, v11, 0x7fff
	v_cndmask_b32_e64 v11, v21, v22, s4
	v_or_b32_e32 v21, 0x400000, v10
	v_cmp_u_f32_e64 s4, v10, v10
	v_lshrrev_b32_e32 v71, 16, v11
	v_bfe_u32 v11, v10, 16, 1
	v_add3_u32 v11, v11, v10, 0x7fff
	v_cndmask_b32_e64 v10, v11, v21, s4
	v_lshrrev_b32_e32 v80, 16, v10
	v_mul_f32_e32 v10, v52, v82
	v_bfe_u32 v11, v10, 16, 1
	v_or_b32_e32 v21, 0x400000, v10
	v_cmp_u_f32_e64 s4, v10, v10
	v_add3_u32 v11, v11, v10, 0x7fff
	v_cndmask_b32_e64 v10, v11, v21, s4
	v_lshrrev_b32_e32 v70, 16, v10
	v_mul_f32_e32 v10, v52, v81
	v_bfe_u32 v11, v10, 16, 1
	v_or_b32_e32 v21, 0x400000, v10
	v_cmp_u_f32_e64 s4, v10, v10
	v_add3_u32 v11, v11, v10, 0x7fff
	v_cndmask_b32_e64 v10, v11, v21, s4
	v_lshrrev_b32_e32 v81, 16, v10
	s_and_saveexec_b32 s15, vcc_lo
	s_cbranch_execz .LBB340_1526
; %bb.1525:                             ;   in Loop: Header=BB340_800 Depth=1
	v_cmp_lt_i32_e64 s4, v117, v32
	v_cndmask_b32_e64 v80, 0, v80, s4
	v_cmp_lt_i32_e64 s4, v43, v32
	v_cndmask_b32_e64 v71, 0, v71, s4
	;; [unrolled: 2-line block ×8, first 2 shown]
.LBB340_1526:                           ;   in Loop: Header=BB340_800 Depth=1
	s_or_b32 exec_lo, exec_lo, s15
	flat_load_dwordx2 v[19:20], v[19:20] offset:768
	v_mov_b32_e32 v23, 0
	v_mov_b32_e32 v24, 0
	s_waitcnt vmcnt(0) lgkmcnt(0)
	v_cmp_ne_u16_sdwa s4, v19, v12 src0_sel:BYTE_0 src1_sel:DWORD
	s_and_saveexec_b32 s15, s4
	s_cbranch_execz .LBB340_1534
; %bb.1527:                             ;   in Loop: Header=BB340_800 Depth=1
	v_cmp_ne_u16_sdwa s4, v19, v55 src0_sel:BYTE_0 src1_sel:DWORD
	v_bfrev_b32_e32 v24, 1
	s_and_saveexec_b32 s18, s4
	s_cbranch_execz .LBB340_1533
; %bb.1528:                             ;   in Loop: Header=BB340_800 Depth=1
	v_and_b32_e32 v10, 0x7f, v19
	v_mov_b32_e32 v24, 0x7f800001
	s_mov_b32 s19, exec_lo
	v_cmpx_ne_u32_e32 0x7f, v10
	s_cbranch_execz .LBB340_1532
; %bb.1529:                             ;   in Loop: Header=BB340_800 Depth=1
	v_lshrrev_b32_e32 v21, 3, v10
	v_cmp_gt_u32_e64 s4, 8, v10
	v_mov_b32_e32 v10, v19
	v_mov_b32_e32 v11, v20
	s_and_saveexec_b32 s20, s4
; %bb.1530:                             ;   in Loop: Header=BB340_800 Depth=1
	v_and_b32_e32 v10, 7, v19
	v_ffbh_u32_e32 v10, v10
	v_min_u32_e32 v21, 32, v10
	v_subrev_nc_u32_e32 v10, 28, v21
	v_sub_nc_u32_e32 v21, 29, v21
	v_lshlrev_b64 v[10:11], v10, v[19:20]
; %bb.1531:                             ;   in Loop: Header=BB340_800 Depth=1
	s_or_b32 exec_lo, exec_lo, s20
	v_lshlrev_b32_e32 v10, 20, v10
	v_lshlrev_b32_e32 v11, 24, v19
	v_lshl_add_u32 v21, v21, 23, 0x3c000000
	v_and_b32_e32 v10, 0x700000, v10
	v_and_b32_e32 v11, 0x80000000, v11
	v_or3_b32 v24, v10, v11, v21
.LBB340_1532:                           ;   in Loop: Header=BB340_800 Depth=1
	s_or_b32 exec_lo, exec_lo, s19
.LBB340_1533:                           ;   in Loop: Header=BB340_800 Depth=1
	s_or_b32 exec_lo, exec_lo, s18
.LBB340_1534:                           ;   in Loop: Header=BB340_800 Depth=1
	s_or_b32 exec_lo, exec_lo, s15
	v_cmp_ne_u16_sdwa s4, v19, v12 src0_sel:BYTE_1 src1_sel:DWORD
	s_and_saveexec_b32 s15, s4
	s_cbranch_execz .LBB340_1542
; %bb.1535:                             ;   in Loop: Header=BB340_800 Depth=1
	v_cmp_ne_u16_sdwa s4, v19, v55 src0_sel:BYTE_1 src1_sel:DWORD
	v_bfrev_b32_e32 v23, 1
	s_and_saveexec_b32 s18, s4
	s_cbranch_execz .LBB340_1541
; %bb.1536:                             ;   in Loop: Header=BB340_800 Depth=1
	v_mov_b32_e32 v10, 0xffff
	v_mov_b32_e32 v23, 0x7f800001
	s_mov_b32 s19, exec_lo
	v_and_b32_sdwa v10, v10, v19 dst_sel:DWORD dst_unused:UNUSED_PAD src0_sel:DWORD src1_sel:BYTE_1
	v_and_b32_e32 v21, 0x7f, v10
	v_cmpx_ne_u32_e32 0x7f, v21
	s_cbranch_execz .LBB340_1540
; %bb.1537:                             ;   in Loop: Header=BB340_800 Depth=1
	v_and_b32_e32 v11, 7, v10
	v_lshrrev_b32_e32 v10, 3, v21
	v_cmp_gt_u32_e64 s4, 8, v21
	v_mov_b32_e32 v22, v12
	v_mov_b32_e32 v21, v11
	s_and_saveexec_b32 s20, s4
; %bb.1538:                             ;   in Loop: Header=BB340_800 Depth=1
	v_ffbh_u32_e32 v10, v11
	v_min_u32_e32 v10, 32, v10
	v_subrev_nc_u32_e32 v21, 28, v10
	v_sub_nc_u32_e32 v10, 29, v10
	v_lshlrev_b64 v[21:22], v21, v[11:12]
	v_and_b32_e32 v21, 7, v21
; %bb.1539:                             ;   in Loop: Header=BB340_800 Depth=1
	s_or_b32 exec_lo, exec_lo, s20
	v_lshlrev_b32_e32 v11, 16, v19
	v_lshlrev_b32_e32 v21, 20, v21
	v_lshl_add_u32 v10, v10, 23, 0x3c000000
	v_and_b32_e32 v11, 0x80000000, v11
	v_or3_b32 v23, v21, v11, v10
.LBB340_1540:                           ;   in Loop: Header=BB340_800 Depth=1
	s_or_b32 exec_lo, exec_lo, s19
.LBB340_1541:                           ;   in Loop: Header=BB340_800 Depth=1
	s_or_b32 exec_lo, exec_lo, s18
.LBB340_1542:                           ;   in Loop: Header=BB340_800 Depth=1
	s_or_b32 exec_lo, exec_lo, s15
	v_and_b32_sdwa v10, v19, v65 dst_sel:DWORD dst_unused:UNUSED_PAD src0_sel:WORD_1 src1_sel:DWORD
	v_mov_b32_e32 v83, 0
	v_mov_b32_e32 v82, 0
	s_mov_b32 s15, exec_lo
	v_cmpx_ne_u16_e32 0, v10
	s_cbranch_execz .LBB340_1550
; %bb.1543:                             ;   in Loop: Header=BB340_800 Depth=1
	v_bfrev_b32_e32 v82, 1
	s_mov_b32 s18, exec_lo
	v_cmpx_ne_u16_e32 0x80, v10
	s_cbranch_execz .LBB340_1549
; %bb.1544:                             ;   in Loop: Header=BB340_800 Depth=1
	v_bfe_u32 v21, v19, 16, 7
	v_mov_b32_e32 v82, 0x7f800001
	s_mov_b32 s19, exec_lo
	v_cmpx_ne_u32_e32 0x7f, v21
	s_cbranch_execz .LBB340_1548
; %bb.1545:                             ;   in Loop: Header=BB340_800 Depth=1
	v_mov_b32_e32 v10, 7
	v_cmp_gt_u32_e64 s4, 8, v21
	v_and_b32_sdwa v11, v19, v10 dst_sel:DWORD dst_unused:UNUSED_PAD src0_sel:WORD_1 src1_sel:DWORD
	v_lshrrev_b32_e32 v10, 3, v21
	v_mov_b32_e32 v22, v12
	v_mov_b32_e32 v21, v11
	s_and_saveexec_b32 s20, s4
; %bb.1546:                             ;   in Loop: Header=BB340_800 Depth=1
	v_ffbh_u32_e32 v10, v11
	v_min_u32_e32 v10, 32, v10
	v_subrev_nc_u32_e32 v21, 28, v10
	v_sub_nc_u32_e32 v10, 29, v10
	v_lshlrev_b64 v[21:22], v21, v[11:12]
	v_and_b32_e32 v21, 7, v21
; %bb.1547:                             ;   in Loop: Header=BB340_800 Depth=1
	s_or_b32 exec_lo, exec_lo, s20
	v_mov_b32_e32 v11, 24
	v_lshlrev_b32_e32 v21, 20, v21
	v_lshl_add_u32 v10, v10, 23, 0x3c000000
	v_lshlrev_b32_sdwa v11, v11, v19 dst_sel:DWORD dst_unused:UNUSED_PAD src0_sel:DWORD src1_sel:WORD_1
	v_and_b32_e32 v11, 0x80000000, v11
	v_or3_b32 v82, v21, v11, v10
.LBB340_1548:                           ;   in Loop: Header=BB340_800 Depth=1
	s_or_b32 exec_lo, exec_lo, s19
.LBB340_1549:                           ;   in Loop: Header=BB340_800 Depth=1
	s_or_b32 exec_lo, exec_lo, s18
.LBB340_1550:                           ;   in Loop: Header=BB340_800 Depth=1
	s_or_b32 exec_lo, exec_lo, s15
	s_mov_b32 s15, exec_lo
	v_cmpx_lt_u32_e32 0xffffff, v19
	s_cbranch_execz .LBB340_1558
; %bb.1551:                             ;   in Loop: Header=BB340_800 Depth=1
	v_cmp_ne_u32_sdwa s4, v19, v55 src0_sel:BYTE_3 src1_sel:DWORD
	v_bfrev_b32_e32 v83, 1
	s_and_saveexec_b32 s18, s4
	s_cbranch_execz .LBB340_1557
; %bb.1552:                             ;   in Loop: Header=BB340_800 Depth=1
	v_bfe_u32 v21, v19, 24, 7
	v_mov_b32_e32 v83, 0x7f800001
	s_mov_b32 s19, exec_lo
	v_cmpx_ne_u32_e32 0x7f, v21
	s_cbranch_execz .LBB340_1556
; %bb.1553:                             ;   in Loop: Header=BB340_800 Depth=1
	v_mov_b32_e32 v10, 7
	v_cmp_gt_u32_e64 s4, 8, v21
	v_and_b32_sdwa v11, v19, v10 dst_sel:DWORD dst_unused:UNUSED_PAD src0_sel:BYTE_3 src1_sel:DWORD
	v_lshrrev_b32_e32 v10, 3, v21
	v_mov_b32_e32 v22, v12
	v_mov_b32_e32 v21, v11
	s_and_saveexec_b32 s20, s4
; %bb.1554:                             ;   in Loop: Header=BB340_800 Depth=1
	v_ffbh_u32_e32 v10, v11
	v_min_u32_e32 v10, 32, v10
	v_subrev_nc_u32_e32 v21, 28, v10
	v_sub_nc_u32_e32 v10, 29, v10
	v_lshlrev_b64 v[21:22], v21, v[11:12]
	v_and_b32_e32 v21, 7, v21
; %bb.1555:                             ;   in Loop: Header=BB340_800 Depth=1
	s_or_b32 exec_lo, exec_lo, s20
	v_mov_b32_e32 v11, 24
	v_lshlrev_b32_e32 v21, 20, v21
	v_lshl_add_u32 v10, v10, 23, 0x3c000000
	v_lshlrev_b32_sdwa v11, v11, v19 dst_sel:DWORD dst_unused:UNUSED_PAD src0_sel:DWORD src1_sel:BYTE_3
	v_and_b32_e32 v11, 0x80000000, v11
	v_or3_b32 v83, v21, v11, v10
.LBB340_1556:                           ;   in Loop: Header=BB340_800 Depth=1
	s_or_b32 exec_lo, exec_lo, s19
.LBB340_1557:                           ;   in Loop: Header=BB340_800 Depth=1
	s_or_b32 exec_lo, exec_lo, s18
.LBB340_1558:                           ;   in Loop: Header=BB340_800 Depth=1
	s_or_b32 exec_lo, exec_lo, s15
	v_mov_b32_e32 v11, v20
	v_cmp_ne_u16_sdwa s4, v20, v12 src0_sel:BYTE_0 src1_sel:DWORD
	v_mov_b32_e32 v10, 0
	v_mov_b32_e32 v86, 0
	s_and_saveexec_b32 s15, s4
	s_cbranch_execz .LBB340_1566
; %bb.1559:                             ;   in Loop: Header=BB340_800 Depth=1
	v_cmp_ne_u16_sdwa s4, v20, v55 src0_sel:BYTE_0 src1_sel:DWORD
	v_bfrev_b32_e32 v86, 1
	s_and_saveexec_b32 s18, s4
	s_cbranch_execz .LBB340_1565
; %bb.1560:                             ;   in Loop: Header=BB340_800 Depth=1
	v_and_b32_e32 v21, 0x7f, v20
	v_mov_b32_e32 v86, 0x7f800001
	s_mov_b32 s19, exec_lo
	v_cmpx_ne_u32_e32 0x7f, v21
	s_cbranch_execz .LBB340_1564
; %bb.1561:                             ;   in Loop: Header=BB340_800 Depth=1
	v_lshrrev_b32_e32 v84, 3, v21
	v_cmp_gt_u32_e64 s4, 8, v21
	v_mov_b32_e32 v22, v12
	v_mov_b32_e32 v21, v11
	s_and_saveexec_b32 s20, s4
; %bb.1562:                             ;   in Loop: Header=BB340_800 Depth=1
	v_and_b32_e32 v21, 7, v20
	v_ffbh_u32_e32 v21, v21
	v_min_u32_e32 v84, 32, v21
	v_subrev_nc_u32_e32 v21, 28, v84
	v_sub_nc_u32_e32 v84, 29, v84
	v_lshlrev_b64 v[21:22], v21, v[11:12]
; %bb.1563:                             ;   in Loop: Header=BB340_800 Depth=1
	s_or_b32 exec_lo, exec_lo, s20
	v_lshlrev_b32_e32 v21, 20, v21
	v_lshlrev_b32_e32 v22, 24, v11
	v_lshl_add_u32 v84, v84, 23, 0x3c000000
	v_and_b32_e32 v21, 0x700000, v21
	v_and_b32_e32 v22, 0x80000000, v22
	v_or3_b32 v86, v21, v22, v84
.LBB340_1564:                           ;   in Loop: Header=BB340_800 Depth=1
	s_or_b32 exec_lo, exec_lo, s19
.LBB340_1565:                           ;   in Loop: Header=BB340_800 Depth=1
	s_or_b32 exec_lo, exec_lo, s18
.LBB340_1566:                           ;   in Loop: Header=BB340_800 Depth=1
	s_or_b32 exec_lo, exec_lo, s15
	v_cmp_ne_u16_sdwa s4, v11, v12 src0_sel:BYTE_1 src1_sel:DWORD
	s_and_saveexec_b32 s15, s4
	s_cbranch_execz .LBB340_1574
; %bb.1567:                             ;   in Loop: Header=BB340_800 Depth=1
	v_cmp_ne_u16_sdwa s4, v11, v55 src0_sel:BYTE_1 src1_sel:DWORD
	v_bfrev_b32_e32 v10, 1
	s_and_saveexec_b32 s18, s4
	s_cbranch_execz .LBB340_1573
; %bb.1568:                             ;   in Loop: Header=BB340_800 Depth=1
	v_mov_b32_e32 v10, 0xffff
	s_mov_b32 s19, exec_lo
	v_and_b32_sdwa v21, v10, v11 dst_sel:DWORD dst_unused:UNUSED_PAD src0_sel:DWORD src1_sel:BYTE_1
	v_mov_b32_e32 v10, 0x7f800001
	v_and_b32_e32 v84, 0x7f, v21
	v_cmpx_ne_u32_e32 0x7f, v84
	s_cbranch_execz .LBB340_1572
; %bb.1569:                             ;   in Loop: Header=BB340_800 Depth=1
	v_and_b32_e32 v21, 7, v21
	v_mov_b32_e32 v22, v12
	v_lshrrev_b32_e32 v10, 3, v84
	s_mov_b32 s20, exec_lo
	v_cmpx_gt_u32_e32 8, v84
; %bb.1570:                             ;   in Loop: Header=BB340_800 Depth=1
	v_ffbh_u32_e32 v10, v21
	v_min_u32_e32 v10, 32, v10
	v_subrev_nc_u32_e32 v84, 28, v10
	v_sub_nc_u32_e32 v10, 29, v10
	v_lshlrev_b64 v[21:22], v84, v[21:22]
	v_and_b32_e32 v21, 7, v21
; %bb.1571:                             ;   in Loop: Header=BB340_800 Depth=1
	s_or_b32 exec_lo, exec_lo, s20
	v_lshlrev_b32_e32 v11, 16, v11
	v_lshlrev_b32_e32 v21, 20, v21
	v_lshl_add_u32 v10, v10, 23, 0x3c000000
	v_and_b32_e32 v11, 0x80000000, v11
	v_or3_b32 v10, v21, v11, v10
.LBB340_1572:                           ;   in Loop: Header=BB340_800 Depth=1
	s_or_b32 exec_lo, exec_lo, s19
.LBB340_1573:                           ;   in Loop: Header=BB340_800 Depth=1
	s_or_b32 exec_lo, exec_lo, s18
.LBB340_1574:                           ;   in Loop: Header=BB340_800 Depth=1
	s_or_b32 exec_lo, exec_lo, s15
	v_and_b32_sdwa v11, v20, v65 dst_sel:DWORD dst_unused:UNUSED_PAD src0_sel:WORD_1 src1_sel:DWORD
	v_mov_b32_e32 v84, 0
	v_mov_b32_e32 v85, 0
	s_mov_b32 s15, exec_lo
	v_cmpx_ne_u16_e32 0, v11
	s_cbranch_execz .LBB340_1582
; %bb.1575:                             ;   in Loop: Header=BB340_800 Depth=1
	v_bfrev_b32_e32 v85, 1
	s_mov_b32 s18, exec_lo
	v_cmpx_ne_u16_e32 0x80, v11
	s_cbranch_execz .LBB340_1581
; %bb.1576:                             ;   in Loop: Header=BB340_800 Depth=1
	v_bfe_u32 v21, v20, 16, 7
	v_mov_b32_e32 v85, 0x7f800001
	s_mov_b32 s19, exec_lo
	v_cmpx_ne_u32_e32 0x7f, v21
	s_cbranch_execz .LBB340_1580
; %bb.1577:                             ;   in Loop: Header=BB340_800 Depth=1
	v_mov_b32_e32 v11, 7
	v_lshrrev_b32_e32 v85, 3, v21
	v_cmp_gt_u32_e64 s4, 8, v21
	v_and_b32_sdwa v11, v20, v11 dst_sel:DWORD dst_unused:UNUSED_PAD src0_sel:WORD_1 src1_sel:DWORD
	v_mov_b32_e32 v22, v12
	v_mov_b32_e32 v21, v11
	s_and_saveexec_b32 s20, s4
; %bb.1578:                             ;   in Loop: Header=BB340_800 Depth=1
	v_ffbh_u32_e32 v21, v11
	v_min_u32_e32 v85, 32, v21
	v_subrev_nc_u32_e32 v21, 28, v85
	v_sub_nc_u32_e32 v85, 29, v85
	v_lshlrev_b64 v[21:22], v21, v[11:12]
	v_and_b32_e32 v21, 7, v21
; %bb.1579:                             ;   in Loop: Header=BB340_800 Depth=1
	s_or_b32 exec_lo, exec_lo, s20
	v_mov_b32_e32 v11, 24
	v_lshlrev_b32_e32 v21, 20, v21
	v_lshl_add_u32 v22, v85, 23, 0x3c000000
	v_lshlrev_b32_sdwa v11, v11, v20 dst_sel:DWORD dst_unused:UNUSED_PAD src0_sel:DWORD src1_sel:WORD_1
	v_and_b32_e32 v11, 0x80000000, v11
	v_or3_b32 v85, v21, v11, v22
.LBB340_1580:                           ;   in Loop: Header=BB340_800 Depth=1
	s_or_b32 exec_lo, exec_lo, s19
.LBB340_1581:                           ;   in Loop: Header=BB340_800 Depth=1
	s_or_b32 exec_lo, exec_lo, s18
.LBB340_1582:                           ;   in Loop: Header=BB340_800 Depth=1
	s_or_b32 exec_lo, exec_lo, s15
	s_mov_b32 s15, exec_lo
	v_cmpx_lt_u64_e64 s[6:7], v[19:20]
	s_cbranch_execz .LBB340_1590
; %bb.1583:                             ;   in Loop: Header=BB340_800 Depth=1
	v_cmp_ne_u32_sdwa s4, v20, v55 src0_sel:BYTE_3 src1_sel:DWORD
	v_bfrev_b32_e32 v84, 1
	s_and_saveexec_b32 s18, s4
	s_cbranch_execz .LBB340_1589
; %bb.1584:                             ;   in Loop: Header=BB340_800 Depth=1
	v_bfe_u32 v21, v20, 24, 7
	v_mov_b32_e32 v84, 0x7f800001
	s_mov_b32 s19, exec_lo
	v_cmpx_ne_u32_e32 0x7f, v21
	s_cbranch_execz .LBB340_1588
; %bb.1585:                             ;   in Loop: Header=BB340_800 Depth=1
	v_mov_b32_e32 v11, 7
	v_lshrrev_b32_e32 v19, 3, v21
	v_cmp_gt_u32_e64 s4, 8, v21
	v_and_b32_sdwa v11, v20, v11 dst_sel:DWORD dst_unused:UNUSED_PAD src0_sel:BYTE_3 src1_sel:DWORD
	v_mov_b32_e32 v22, v12
	v_mov_b32_e32 v21, v11
	s_and_saveexec_b32 s20, s4
; %bb.1586:                             ;   in Loop: Header=BB340_800 Depth=1
	v_ffbh_u32_e32 v19, v11
	v_min_u32_e32 v19, 32, v19
	v_subrev_nc_u32_e32 v21, 28, v19
	v_sub_nc_u32_e32 v19, 29, v19
	v_lshlrev_b64 v[21:22], v21, v[11:12]
	v_and_b32_e32 v21, 7, v21
; %bb.1587:                             ;   in Loop: Header=BB340_800 Depth=1
	s_or_b32 exec_lo, exec_lo, s20
	v_mov_b32_e32 v11, 24
	v_lshl_add_u32 v19, v19, 23, 0x3c000000
	v_lshlrev_b32_sdwa v11, v11, v20 dst_sel:DWORD dst_unused:UNUSED_PAD src0_sel:DWORD src1_sel:BYTE_3
	v_lshlrev_b32_e32 v20, 20, v21
	v_and_b32_e32 v11, 0x80000000, v11
	v_or3_b32 v84, v20, v11, v19
.LBB340_1588:                           ;   in Loop: Header=BB340_800 Depth=1
	s_or_b32 exec_lo, exec_lo, s19
.LBB340_1589:                           ;   in Loop: Header=BB340_800 Depth=1
	s_or_b32 exec_lo, exec_lo, s18
.LBB340_1590:                           ;   in Loop: Header=BB340_800 Depth=1
	s_or_b32 exec_lo, exec_lo, s15
	v_mul_f32_e32 v10, v52, v10
	v_bfe_u32 v11, v10, 16, 1
	v_or_b32_e32 v19, 0x400000, v10
	v_cmp_u_f32_e64 s4, v10, v10
	v_add3_u32 v11, v11, v10, 0x7fff
	v_cndmask_b32_e64 v10, v11, v19, s4
	v_mul_f32_e32 v11, v52, v86
	v_lshrrev_b32_e32 v10, 16, v10
	v_bfe_u32 v19, v11, 16, 1
	v_or_b32_e32 v20, 0x400000, v11
	v_cmp_u_f32_e64 s4, v11, v11
	v_add3_u32 v19, v19, v11, 0x7fff
	v_cndmask_b32_e64 v11, v19, v20, s4
	v_mul_f32_e32 v19, v52, v83
	v_lshrrev_b32_e32 v11, 16, v11
	;; [unrolled: 7-line block ×3, first 2 shown]
	v_bfe_u32 v21, v20, 16, 1
	v_or_b32_e32 v22, 0x400000, v20
	v_cmp_u_f32_e64 s4, v20, v20
	v_add3_u32 v21, v21, v20, 0x7fff
	v_cndmask_b32_e64 v20, v21, v22, s4
	v_lshrrev_b32_e32 v21, 16, v20
	v_mul_f32_e32 v20, v52, v23
	v_bfe_u32 v22, v20, 16, 1
	v_or_b32_e32 v23, 0x400000, v20
	v_cmp_u_f32_e64 s4, v20, v20
	v_add3_u32 v22, v22, v20, 0x7fff
	v_cndmask_b32_e64 v20, v22, v23, s4
	v_lshrrev_b32_e32 v23, 16, v20
	v_mul_f32_e32 v20, v52, v24
	;; [unrolled: 7-line block ×3, first 2 shown]
	v_bfe_u32 v22, v20, 16, 1
	v_or_b32_e32 v82, 0x400000, v20
	v_cmp_u_f32_e64 s4, v20, v20
	v_add3_u32 v22, v22, v20, 0x7fff
	v_cndmask_b32_e64 v20, v22, v82, s4
	v_mul_f32_e32 v22, v52, v84
	v_lshrrev_b32_e32 v20, 16, v20
	v_bfe_u32 v82, v22, 16, 1
	v_or_b32_e32 v83, 0x400000, v22
	v_cmp_u_f32_e64 s4, v22, v22
	v_add3_u32 v82, v82, v22, 0x7fff
	v_cndmask_b32_e64 v22, v82, v83, s4
	v_lshrrev_b32_e32 v22, 16, v22
	s_and_saveexec_b32 s4, vcc_lo
	s_cbranch_execz .LBB340_799
; %bb.1591:                             ;   in Loop: Header=BB340_800 Depth=1
	v_cmp_lt_i32_e32 vcc_lo, v117, v32
	v_cndmask_b32_e32 v24, 0, v24, vcc_lo
	v_cmp_lt_i32_e32 vcc_lo, v43, v32
	v_cndmask_b32_e32 v23, 0, v23, vcc_lo
	;; [unrolled: 2-line block ×8, first 2 shown]
	s_branch .LBB340_799
.LBB340_1592:
	s_or_b32 exec_lo, exec_lo, s9
	s_clause 0x4
	buffer_load_dword v24, off, s[0:3], s32 offset:576
	buffer_load_dword v25, off, s[0:3], s32 offset:580
	;; [unrolled: 1-line block ×5, first 2 shown]
	v_mov_b32_e32 v4, s16
	v_mov_b32_e32 v5, s17
.LBB340_1593:
	s_or_b32 exec_lo, exec_lo, s5
	v_lshlrev_b64 v[0:1], 2, v[4:5]
	s_getpc_b64 s[4:5]
	s_add_u32 s4, s4, llvm.amdgcn.dynlds.offset.table@rel32@lo+4
	s_addc_u32 s5, s5, llvm.amdgcn.dynlds.offset.table@rel32@hi+12
	s_waitcnt vmcnt(0)
	s_waitcnt_vscnt null, 0x0
	s_barrier
	buffer_gl0_inv
	ds_bpermute_b32 v2, v15, v50
	v_add_co_u32 v0, vcc_lo, s4, v0
	v_add_co_ci_u32_e64 v1, null, s5, v1, vcc_lo
	ds_bpermute_b32 v3, v15, v48
	ds_bpermute_b32 v4, v15, v39
	;; [unrolled: 1-line block ×3, first 2 shown]
	global_load_dword v12, v[0:1], off
	ds_bpermute_b32 v0, v15, v49
	ds_bpermute_b32 v1, v15, v51
	ds_bpermute_b32 v13, v15, v37
	ds_bpermute_b32 v16, v15, v36
	ds_bpermute_b32 v17, v15, v35
	ds_bpermute_b32 v18, v15, v34
	ds_bpermute_b32 v19, v15, v27
	ds_bpermute_b32 v20, v15, v26
	v_lshrrev_b32_e32 v14, 1, v14
	v_mul_u32_u24_e32 v15, 0x300, v68
	v_and_b32_e32 v21, 0x3c1, v24
	s_waitcnt lgkmcnt(11)
	v_add_f32_e32 v9, v50, v2
	s_mov_b32 s4, exec_lo
	s_waitcnt lgkmcnt(10)
	v_add_f32_e32 v8, v48, v3
	s_waitcnt lgkmcnt(9)
	v_add_f32_e32 v7, v39, v4
	;; [unrolled: 2-line block ×11, first 2 shown]
	s_waitcnt vmcnt(0)
	v_lshl_add_u32 v13, v14, 2, v12
	v_cmpx_eq_u32_e32 64, v21
	s_cbranch_execz .LBB340_1595
; %bb.1594:
	v_add_nc_u32_e32 v16, v13, v15
	v_add_nc_u32_e32 v17, 0xfffffa00, v16
	;; [unrolled: 1-line block ×8, first 2 shown]
	ds_write_b32 v17, v11
	ds_write_b32 v18, v10
	;; [unrolled: 1-line block ×7, first 2 shown]
	v_add_nc_u32_e32 v17, 0xfffffbc0, v16
	v_add_nc_u32_e32 v18, 0xfffffc00, v16
	;; [unrolled: 1-line block ×5, first 2 shown]
	ds_write_b32 v17, v4
	ds_write_b32 v18, v3
	;; [unrolled: 1-line block ×5, first 2 shown]
.LBB340_1595:
	s_or_b32 exec_lo, exec_lo, s4
	v_lshlrev_b32_e32 v14, 2, v14
	s_mov_b32 s5, exec_lo
	v_cmp_eq_u32_e32 vcc_lo, 0, v25
	s_waitcnt lgkmcnt(0)
	s_barrier
	v_add3_u32 v12, v12, v15, v14
	buffer_gl0_inv
	v_cmpx_gt_u32_e32 64, v24
	s_cbranch_execz .LBB340_1610
; %bb.1596:
	s_and_saveexec_b32 s4, vcc_lo
	s_cbranch_execnz .LBB340_1630
; %bb.1597:
	s_or_b32 exec_lo, exec_lo, s4
	s_and_saveexec_b32 s4, vcc_lo
	s_cbranch_execnz .LBB340_1631
.LBB340_1598:
	s_or_b32 exec_lo, exec_lo, s4
	s_and_saveexec_b32 s4, vcc_lo
	s_cbranch_execnz .LBB340_1632
.LBB340_1599:
	s_or_b32 exec_lo, exec_lo, s4
	s_and_saveexec_b32 s4, vcc_lo
	s_cbranch_execnz .LBB340_1633
.LBB340_1600:
	s_or_b32 exec_lo, exec_lo, s4
	s_and_saveexec_b32 s4, vcc_lo
	s_cbranch_execnz .LBB340_1634
.LBB340_1601:
	s_or_b32 exec_lo, exec_lo, s4
	s_and_saveexec_b32 s4, vcc_lo
	s_cbranch_execnz .LBB340_1635
.LBB340_1602:
	s_or_b32 exec_lo, exec_lo, s4
	s_and_saveexec_b32 s4, vcc_lo
	s_cbranch_execnz .LBB340_1636
.LBB340_1603:
	s_or_b32 exec_lo, exec_lo, s4
	s_and_saveexec_b32 s4, vcc_lo
	s_cbranch_execnz .LBB340_1637
.LBB340_1604:
	s_or_b32 exec_lo, exec_lo, s4
	s_and_saveexec_b32 s4, vcc_lo
	s_cbranch_execnz .LBB340_1638
.LBB340_1605:
	s_or_b32 exec_lo, exec_lo, s4
	s_and_saveexec_b32 s4, vcc_lo
	s_cbranch_execnz .LBB340_1639
.LBB340_1606:
	s_or_b32 exec_lo, exec_lo, s4
	s_and_saveexec_b32 s4, vcc_lo
	s_cbranch_execnz .LBB340_1640
.LBB340_1607:
	s_or_b32 exec_lo, exec_lo, s4
	s_and_saveexec_b32 s4, vcc_lo
	s_cbranch_execz .LBB340_1609
.LBB340_1608:
	ds_read_b32 v14, v12 offset:704
	s_waitcnt lgkmcnt(0)
	v_add_f32_e32 v0, v14, v0
.LBB340_1609:
	s_or_b32 exec_lo, exec_lo, s4
.LBB340_1610:
	s_or_b32 exec_lo, exec_lo, s5
	v_and_b32_e32 v14, 0x3e1, v24
	s_mov_b32 s5, exec_lo
	s_barrier
	buffer_gl0_inv
	v_cmpx_eq_u32_e32 32, v14
	s_cbranch_execz .LBB340_1612
; %bb.1611:
	ds_write2_b32 v13, v11, v10 offset1:16
	ds_write2_b32 v13, v9, v8 offset0:32 offset1:48
	ds_write2_b32 v13, v7, v6 offset0:64 offset1:80
	;; [unrolled: 1-line block ×5, first 2 shown]
.LBB340_1612:
	s_or_b32 exec_lo, exec_lo, s5
	s_mov_b32 s5, exec_lo
	s_waitcnt lgkmcnt(0)
	s_barrier
	buffer_gl0_inv
	v_cmpx_gt_u32_e32 32, v24
	s_cbranch_execz .LBB340_1627
; %bb.1613:
	s_and_saveexec_b32 s4, vcc_lo
	s_cbranch_execnz .LBB340_1641
; %bb.1614:
	s_or_b32 exec_lo, exec_lo, s4
	s_and_saveexec_b32 s4, vcc_lo
	s_cbranch_execnz .LBB340_1642
.LBB340_1615:
	s_or_b32 exec_lo, exec_lo, s4
	s_and_saveexec_b32 s4, vcc_lo
	s_cbranch_execnz .LBB340_1643
.LBB340_1616:
	s_or_b32 exec_lo, exec_lo, s4
	s_and_saveexec_b32 s4, vcc_lo
	s_cbranch_execnz .LBB340_1644
.LBB340_1617:
	s_or_b32 exec_lo, exec_lo, s4
	s_and_saveexec_b32 s4, vcc_lo
	s_cbranch_execnz .LBB340_1645
.LBB340_1618:
	s_or_b32 exec_lo, exec_lo, s4
	s_and_saveexec_b32 s4, vcc_lo
	s_cbranch_execnz .LBB340_1646
.LBB340_1619:
	s_or_b32 exec_lo, exec_lo, s4
	s_and_saveexec_b32 s4, vcc_lo
	s_cbranch_execnz .LBB340_1647
.LBB340_1620:
	s_or_b32 exec_lo, exec_lo, s4
	s_and_saveexec_b32 s4, vcc_lo
	s_cbranch_execnz .LBB340_1648
.LBB340_1621:
	s_or_b32 exec_lo, exec_lo, s4
	s_and_saveexec_b32 s4, vcc_lo
	s_cbranch_execnz .LBB340_1649
.LBB340_1622:
	s_or_b32 exec_lo, exec_lo, s4
	s_and_saveexec_b32 s4, vcc_lo
	s_cbranch_execnz .LBB340_1650
.LBB340_1623:
	s_or_b32 exec_lo, exec_lo, s4
	s_and_saveexec_b32 s4, vcc_lo
	s_cbranch_execnz .LBB340_1651
.LBB340_1624:
	s_or_b32 exec_lo, exec_lo, s4
	s_and_saveexec_b32 s4, vcc_lo
	s_cbranch_execz .LBB340_1626
.LBB340_1625:
	ds_read_b32 v12, v12 offset:704
	s_waitcnt lgkmcnt(0)
	v_add_f32_e32 v0, v12, v0
.LBB340_1626:
	s_or_b32 exec_lo, exec_lo, s4
.LBB340_1627:
	s_or_b32 exec_lo, exec_lo, s5
	s_mov_b32 s4, exec_lo
	s_barrier
	buffer_gl0_inv
	v_cmpx_eq_u32_e32 0, v14
	s_cbranch_execz .LBB340_1629
; %bb.1628:
	s_clause 0x2
	buffer_load_dword v15, off, s[0:3], s32 offset:592
	buffer_load_dword v12, off, s[0:3], s32 offset:572
	;; [unrolled: 1-line block ×3, first 2 shown]
	s_and_b32 s5, 0xffff, s8
	s_mul_i32 s6, s14, 0xc0
	s_cmp_lg_u32 s5, 0
	v_bfe_u32 v13, v11, 16, 1
	s_cselect_b32 s5, -1, 0
	v_or_b32_e32 v14, 0x400000, v11
	s_cmp_lg_u32 s5, 0
	s_addc_u32 s5, s13, 0
	v_add3_u32 v17, v13, v11, 0x7fff
	s_mul_i32 s7, s5, s10
	s_mul_i32 s10, s12, s5
	;; [unrolled: 1-line block ×3, first 2 shown]
	s_ashr_i32 s11, s10, 31
	s_mulk_i32 s8, 0xc0
	s_ashr_i32 s7, s6, 31
	s_ashr_i32 s9, s8, 31
	s_lshl_b64 s[6:7], s[6:7], 1
	s_lshl_b64 s[8:9], s[8:9], 1
	s_waitcnt vmcnt(2)
	v_add_co_u32 v15, vcc_lo, v15, s8
	s_waitcnt vmcnt(0)
	v_add_co_ci_u32_e64 v16, null, s9, v16, vcc_lo
	s_lshl_b64 s[8:9], s[10:11], 1
	v_lshlrev_b32_e32 v12, 1, v12
	v_add_co_u32 v15, vcc_lo, v15, s8
	v_add_co_ci_u32_e64 v16, null, s9, v16, vcc_lo
	v_add_co_u32 v15, vcc_lo, v15, s6
	v_add_co_ci_u32_e64 v16, null, s7, v16, vcc_lo
	;; [unrolled: 2-line block ×3, first 2 shown]
	v_bfe_u32 v15, v10, 16, 1
	v_cmp_u_f32_e32 vcc_lo, v11, v11
	v_or_b32_e32 v16, 0x400000, v10
	v_add3_u32 v15, v15, v10, 0x7fff
	v_cndmask_b32_e32 v11, v17, v14, vcc_lo
	v_bfe_u32 v14, v9, 16, 1
	v_cmp_u_f32_e32 vcc_lo, v10, v10
	flat_store_short_d16_hi v[12:13], v11
	v_add3_u32 v11, v14, v9, 0x7fff
	v_or_b32_e32 v14, 0x400000, v9
	v_cndmask_b32_e32 v10, v15, v16, vcc_lo
	v_bfe_u32 v15, v8, 16, 1
	v_cmp_u_f32_e32 vcc_lo, v9, v9
	flat_store_short_d16_hi v[12:13], v10 offset:32
	v_add3_u32 v10, v15, v8, 0x7fff
	v_cndmask_b32_e32 v9, v11, v14, vcc_lo
	v_bfe_u32 v11, v7, 16, 1
	v_or_b32_e32 v14, 0x400000, v8
	v_cmp_u_f32_e32 vcc_lo, v8, v8
	flat_store_short_d16_hi v[12:13], v9 offset:64
	v_add3_u32 v9, v11, v7, 0x7fff
	v_or_b32_e32 v11, 0x400000, v7
	v_cndmask_b32_e32 v8, v10, v14, vcc_lo
	v_bfe_u32 v10, v6, 16, 1
	v_cmp_u_f32_e32 vcc_lo, v7, v7
	flat_store_short_d16_hi v[12:13], v8 offset:96
	v_add3_u32 v8, v10, v6, 0x7fff
	v_cndmask_b32_e32 v7, v9, v11, vcc_lo
	v_bfe_u32 v9, v5, 16, 1
	v_or_b32_e32 v10, 0x400000, v6
	v_cmp_u_f32_e32 vcc_lo, v6, v6
	flat_store_short_d16_hi v[12:13], v7 offset:128
	v_add3_u32 v7, v9, v5, 0x7fff
	v_or_b32_e32 v9, 0x400000, v5
	v_cndmask_b32_e32 v6, v8, v10, vcc_lo
	v_bfe_u32 v8, v4, 16, 1
	v_cmp_u_f32_e32 vcc_lo, v5, v5
	v_or_b32_e32 v10, 0x400000, v0
	flat_store_short_d16_hi v[12:13], v6 offset:160
	v_add3_u32 v6, v8, v4, 0x7fff
	v_cndmask_b32_e32 v5, v7, v9, vcc_lo
	v_bfe_u32 v7, v3, 16, 1
	v_or_b32_e32 v8, 0x400000, v4
	v_cmp_u_f32_e32 vcc_lo, v4, v4
	v_or_b32_e32 v9, 0x400000, v1
	flat_store_short_d16_hi v[12:13], v5 offset:192
	v_add3_u32 v5, v7, v3, 0x7fff
	v_or_b32_e32 v7, 0x400000, v3
	v_cndmask_b32_e32 v4, v6, v8, vcc_lo
	v_bfe_u32 v6, v2, 16, 1
	v_cmp_u_f32_e32 vcc_lo, v3, v3
	v_bfe_u32 v8, v1, 16, 1
	v_add3_u32 v6, v6, v2, 0x7fff
	v_cndmask_b32_e32 v3, v5, v7, vcc_lo
	v_or_b32_e32 v7, 0x400000, v2
	v_cmp_u_f32_e32 vcc_lo, v2, v2
	v_bfe_u32 v5, v0, 16, 1
	v_add3_u32 v8, v8, v1, 0x7fff
	v_cndmask_b32_e32 v2, v6, v7, vcc_lo
	v_cmp_u_f32_e32 vcc_lo, v1, v1
	v_add3_u32 v5, v5, v0, 0x7fff
	v_cndmask_b32_e32 v1, v8, v9, vcc_lo
	v_cmp_u_f32_e32 vcc_lo, v0, v0
	v_cndmask_b32_e32 v0, v5, v10, vcc_lo
	flat_store_short_d16_hi v[12:13], v4 offset:224
	flat_store_short_d16_hi v[12:13], v3 offset:256
	;; [unrolled: 1-line block ×5, first 2 shown]
.LBB340_1629:
	s_or_b32 exec_lo, exec_lo, s4
	s_clause 0x2f
	buffer_load_dword v127, off, s[0:3], s32
	buffer_load_dword v126, off, s[0:3], s32 offset:4
	buffer_load_dword v125, off, s[0:3], s32 offset:8
	;; [unrolled: 1-line block ×47, first 2 shown]
	s_waitcnt vmcnt(0) lgkmcnt(0)
	s_setpc_b64 s[30:31]
.LBB340_1630:
	ds_read_b32 v14, v12
	s_waitcnt lgkmcnt(0)
	v_add_f32_e32 v11, v14, v11
	s_or_b32 exec_lo, exec_lo, s4
	s_and_saveexec_b32 s4, vcc_lo
	s_cbranch_execz .LBB340_1598
.LBB340_1631:
	ds_read_b32 v14, v12 offset:64
	s_waitcnt lgkmcnt(0)
	v_add_f32_e32 v10, v14, v10
	s_or_b32 exec_lo, exec_lo, s4
	s_and_saveexec_b32 s4, vcc_lo
	s_cbranch_execz .LBB340_1599
.LBB340_1632:
	ds_read_b32 v14, v12 offset:128
	s_waitcnt lgkmcnt(0)
	v_add_f32_e32 v9, v14, v9
	s_or_b32 exec_lo, exec_lo, s4
	s_and_saveexec_b32 s4, vcc_lo
	s_cbranch_execz .LBB340_1600
.LBB340_1633:
	ds_read_b32 v14, v12 offset:192
	s_waitcnt lgkmcnt(0)
	v_add_f32_e32 v8, v14, v8
	s_or_b32 exec_lo, exec_lo, s4
	s_and_saveexec_b32 s4, vcc_lo
	s_cbranch_execz .LBB340_1601
.LBB340_1634:
	ds_read_b32 v14, v12 offset:256
	s_waitcnt lgkmcnt(0)
	v_add_f32_e32 v7, v14, v7
	s_or_b32 exec_lo, exec_lo, s4
	s_and_saveexec_b32 s4, vcc_lo
	s_cbranch_execz .LBB340_1602
.LBB340_1635:
	ds_read_b32 v14, v12 offset:320
	s_waitcnt lgkmcnt(0)
	v_add_f32_e32 v6, v14, v6
	s_or_b32 exec_lo, exec_lo, s4
	s_and_saveexec_b32 s4, vcc_lo
	s_cbranch_execz .LBB340_1603
.LBB340_1636:
	ds_read_b32 v14, v12 offset:384
	s_waitcnt lgkmcnt(0)
	v_add_f32_e32 v5, v14, v5
	s_or_b32 exec_lo, exec_lo, s4
	s_and_saveexec_b32 s4, vcc_lo
	s_cbranch_execz .LBB340_1604
.LBB340_1637:
	ds_read_b32 v14, v12 offset:448
	s_waitcnt lgkmcnt(0)
	v_add_f32_e32 v4, v14, v4
	s_or_b32 exec_lo, exec_lo, s4
	s_and_saveexec_b32 s4, vcc_lo
	s_cbranch_execz .LBB340_1605
.LBB340_1638:
	ds_read_b32 v14, v12 offset:512
	s_waitcnt lgkmcnt(0)
	v_add_f32_e32 v3, v14, v3
	s_or_b32 exec_lo, exec_lo, s4
	s_and_saveexec_b32 s4, vcc_lo
	s_cbranch_execz .LBB340_1606
.LBB340_1639:
	ds_read_b32 v14, v12 offset:576
	s_waitcnt lgkmcnt(0)
	v_add_f32_e32 v2, v14, v2
	s_or_b32 exec_lo, exec_lo, s4
	s_and_saveexec_b32 s4, vcc_lo
	s_cbranch_execz .LBB340_1607
.LBB340_1640:
	ds_read_b32 v14, v12 offset:640
	s_waitcnt lgkmcnt(0)
	v_add_f32_e32 v1, v14, v1
	s_or_b32 exec_lo, exec_lo, s4
	s_and_saveexec_b32 s4, vcc_lo
	s_cbranch_execnz .LBB340_1608
	s_branch .LBB340_1609
.LBB340_1641:
	ds_read_b32 v13, v12
	s_waitcnt lgkmcnt(0)
	v_add_f32_e32 v11, v13, v11
	s_or_b32 exec_lo, exec_lo, s4
	s_and_saveexec_b32 s4, vcc_lo
	s_cbranch_execz .LBB340_1615
.LBB340_1642:
	ds_read_b32 v13, v12 offset:64
	s_waitcnt lgkmcnt(0)
	v_add_f32_e32 v10, v13, v10
	s_or_b32 exec_lo, exec_lo, s4
	s_and_saveexec_b32 s4, vcc_lo
	s_cbranch_execz .LBB340_1616
.LBB340_1643:
	ds_read_b32 v13, v12 offset:128
	s_waitcnt lgkmcnt(0)
	v_add_f32_e32 v9, v13, v9
	s_or_b32 exec_lo, exec_lo, s4
	s_and_saveexec_b32 s4, vcc_lo
	s_cbranch_execz .LBB340_1617
.LBB340_1644:
	ds_read_b32 v13, v12 offset:192
	s_waitcnt lgkmcnt(0)
	v_add_f32_e32 v8, v13, v8
	s_or_b32 exec_lo, exec_lo, s4
	s_and_saveexec_b32 s4, vcc_lo
	s_cbranch_execz .LBB340_1618
.LBB340_1645:
	ds_read_b32 v13, v12 offset:256
	s_waitcnt lgkmcnt(0)
	v_add_f32_e32 v7, v13, v7
	s_or_b32 exec_lo, exec_lo, s4
	s_and_saveexec_b32 s4, vcc_lo
	s_cbranch_execz .LBB340_1619
.LBB340_1646:
	ds_read_b32 v13, v12 offset:320
	s_waitcnt lgkmcnt(0)
	v_add_f32_e32 v6, v13, v6
	s_or_b32 exec_lo, exec_lo, s4
	s_and_saveexec_b32 s4, vcc_lo
	s_cbranch_execz .LBB340_1620
.LBB340_1647:
	ds_read_b32 v13, v12 offset:384
	s_waitcnt lgkmcnt(0)
	v_add_f32_e32 v5, v13, v5
	s_or_b32 exec_lo, exec_lo, s4
	s_and_saveexec_b32 s4, vcc_lo
	s_cbranch_execz .LBB340_1621
.LBB340_1648:
	ds_read_b32 v13, v12 offset:448
	s_waitcnt lgkmcnt(0)
	v_add_f32_e32 v4, v13, v4
	s_or_b32 exec_lo, exec_lo, s4
	s_and_saveexec_b32 s4, vcc_lo
	s_cbranch_execz .LBB340_1622
.LBB340_1649:
	ds_read_b32 v13, v12 offset:512
	s_waitcnt lgkmcnt(0)
	v_add_f32_e32 v3, v13, v3
	s_or_b32 exec_lo, exec_lo, s4
	s_and_saveexec_b32 s4, vcc_lo
	s_cbranch_execz .LBB340_1623
.LBB340_1650:
	ds_read_b32 v13, v12 offset:576
	s_waitcnt lgkmcnt(0)
	v_add_f32_e32 v2, v13, v2
	s_or_b32 exec_lo, exec_lo, s4
	s_and_saveexec_b32 s4, vcc_lo
	s_cbranch_execz .LBB340_1624
.LBB340_1651:
	ds_read_b32 v13, v12 offset:640
	s_waitcnt lgkmcnt(0)
	v_add_f32_e32 v1, v13, v1
	s_or_b32 exec_lo, exec_lo, s4
	s_and_saveexec_b32 s4, vcc_lo
	s_cbranch_execnz .LBB340_1625
	s_branch .LBB340_1626
.Lfunc_end340:
	.size	_ZN4vllm22paged_attention_kernelI14__hip_bfloat16hLi192ELi16ELi128ELNS_18Fp8KVCacheDataTypeE1ELb0ELi0EEEvPfS3_PT_PKS4_PKT0_SA_ifPKiSC_iPKfiiiSE_SE_iiiii, .Lfunc_end340-_ZN4vllm22paged_attention_kernelI14__hip_bfloat16hLi192ELi16ELi128ELNS_18Fp8KVCacheDataTypeE1ELb0ELi0EEEvPfS3_PT_PKS4_PKT0_SA_ifPKiSC_iPKfiiiSE_SE_iiiii
                                        ; -- End function
	.set .L_ZN4vllm22paged_attention_kernelI14__hip_bfloat16hLi192ELi16ELi128ELNS_18Fp8KVCacheDataTypeE1ELb0ELi0EEEvPfS3_PT_PKS4_PKT0_SA_ifPKiSC_iPKfiiiSE_SE_iiiii.num_vgpr, 128
	.set .L_ZN4vllm22paged_attention_kernelI14__hip_bfloat16hLi192ELi16ELi128ELNS_18Fp8KVCacheDataTypeE1ELb0ELi0EEEvPfS3_PT_PKS4_PKT0_SA_ifPKiSC_iPKfiiiSE_SE_iiiii.num_agpr, 0
	.set .L_ZN4vllm22paged_attention_kernelI14__hip_bfloat16hLi192ELi16ELi128ELNS_18Fp8KVCacheDataTypeE1ELb0ELi0EEEvPfS3_PT_PKS4_PKT0_SA_ifPKiSC_iPKfiiiSE_SE_iiiii.numbered_sgpr, 33
	.set .L_ZN4vllm22paged_attention_kernelI14__hip_bfloat16hLi192ELi16ELi128ELNS_18Fp8KVCacheDataTypeE1ELb0ELi0EEEvPfS3_PT_PKS4_PKT0_SA_ifPKiSC_iPKfiiiSE_SE_iiiii.num_named_barrier, 0
	.set .L_ZN4vllm22paged_attention_kernelI14__hip_bfloat16hLi192ELi16ELi128ELNS_18Fp8KVCacheDataTypeE1ELb0ELi0EEEvPfS3_PT_PKS4_PKT0_SA_ifPKiSC_iPKfiiiSE_SE_iiiii.private_seg_size, 652
	.set .L_ZN4vllm22paged_attention_kernelI14__hip_bfloat16hLi192ELi16ELi128ELNS_18Fp8KVCacheDataTypeE1ELb0ELi0EEEvPfS3_PT_PKS4_PKT0_SA_ifPKiSC_iPKfiiiSE_SE_iiiii.uses_vcc, 1
	.set .L_ZN4vllm22paged_attention_kernelI14__hip_bfloat16hLi192ELi16ELi128ELNS_18Fp8KVCacheDataTypeE1ELb0ELi0EEEvPfS3_PT_PKS4_PKT0_SA_ifPKiSC_iPKfiiiSE_SE_iiiii.uses_flat_scratch, 0
	.set .L_ZN4vllm22paged_attention_kernelI14__hip_bfloat16hLi192ELi16ELi128ELNS_18Fp8KVCacheDataTypeE1ELb0ELi0EEEvPfS3_PT_PKS4_PKT0_SA_ifPKiSC_iPKfiiiSE_SE_iiiii.has_dyn_sized_stack, 0
	.set .L_ZN4vllm22paged_attention_kernelI14__hip_bfloat16hLi192ELi16ELi128ELNS_18Fp8KVCacheDataTypeE1ELb0ELi0EEEvPfS3_PT_PKS4_PKT0_SA_ifPKiSC_iPKfiiiSE_SE_iiiii.has_recursion, 0
	.set .L_ZN4vllm22paged_attention_kernelI14__hip_bfloat16hLi192ELi16ELi128ELNS_18Fp8KVCacheDataTypeE1ELb0ELi0EEEvPfS3_PT_PKS4_PKT0_SA_ifPKiSC_iPKfiiiSE_SE_iiiii.has_indirect_call, 0
	.section	.AMDGPU.csdata,"",@progbits
; Function info:
; codeLenInByte = 64116
; TotalNumSgprs: 35
; NumVgprs: 128
; ScratchSize: 652
; MemoryBound: 0
	.section	.text._ZN4vllm25paged_attention_v1_kernelI14__hip_bfloat16hLi192ELi16ELi128ELNS_18Fp8KVCacheDataTypeE1ELb0EEEvPT_PKS3_PKT0_S9_ifPKiSB_iPKfiiiSD_SD_iiiii,"axG",@progbits,_ZN4vllm25paged_attention_v1_kernelI14__hip_bfloat16hLi192ELi16ELi128ELNS_18Fp8KVCacheDataTypeE1ELb0EEEvPT_PKS3_PKT0_S9_ifPKiSB_iPKfiiiSD_SD_iiiii,comdat
	.protected	_ZN4vllm25paged_attention_v1_kernelI14__hip_bfloat16hLi192ELi16ELi128ELNS_18Fp8KVCacheDataTypeE1ELb0EEEvPT_PKS3_PKT0_S9_ifPKiSB_iPKfiiiSD_SD_iiiii ; -- Begin function _ZN4vllm25paged_attention_v1_kernelI14__hip_bfloat16hLi192ELi16ELi128ELNS_18Fp8KVCacheDataTypeE1ELb0EEEvPT_PKS3_PKT0_S9_ifPKiSB_iPKfiiiSD_SD_iiiii
	.globl	_ZN4vllm25paged_attention_v1_kernelI14__hip_bfloat16hLi192ELi16ELi128ELNS_18Fp8KVCacheDataTypeE1ELb0EEEvPT_PKS3_PKT0_S9_ifPKiSB_iPKfiiiSD_SD_iiiii
	.p2align	8
	.type	_ZN4vllm25paged_attention_v1_kernelI14__hip_bfloat16hLi192ELi16ELi128ELNS_18Fp8KVCacheDataTypeE1ELb0EEEvPT_PKS3_PKT0_S9_ifPKiSB_iPKfiiiSD_SD_iiiii,@function
_ZN4vllm25paged_attention_v1_kernelI14__hip_bfloat16hLi192ELi16ELi128ELNS_18Fp8KVCacheDataTypeE1ELb0EEEvPT_PKS3_PKT0_S9_ifPKiSB_iPKfiiiSD_SD_iiiii: ; @_ZN4vllm25paged_attention_v1_kernelI14__hip_bfloat16hLi192ELi16ELi128ELNS_18Fp8KVCacheDataTypeE1ELb0EEEvPT_PKS3_PKT0_S9_ifPKiSB_iPKfiiiSD_SD_iiiii
; %bb.0:
	s_clause 0x5
	s_load_dwordx8 s[16:23], s[4:5], 0x0
	s_load_dwordx4 s[36:39], s[4:5], 0x20
	s_load_dwordx2 s[10:11], s[4:5], 0x30
	s_load_dword s13, s[4:5], 0x38
	s_load_dwordx2 s[34:35], s[4:5], 0x40
	s_load_dwordx8 s[24:31], s[4:5], 0x48
	s_add_u32 s0, s0, s9
	s_addc_u32 s1, s1, 0
	v_mov_b32_e32 v31, v0
	s_mov_b32 s14, s8
	s_add_u32 s8, s4, 0x80
	s_addc_u32 s9, s5, 0
	s_getpc_b64 s[4:5]
	s_add_u32 s4, s4, _ZN4vllm22paged_attention_kernelI14__hip_bfloat16hLi192ELi16ELi128ELNS_18Fp8KVCacheDataTypeE1ELb0ELi0EEEvPfS3_PT_PKS4_PKT0_SA_ifPKiSC_iPKfiiiSE_SE_iiiii@rel32@lo+4
	s_addc_u32 s5, s5, _ZN4vllm22paged_attention_kernelI14__hip_bfloat16hLi192ELi16ELi128ELNS_18Fp8KVCacheDataTypeE1ELb0ELi0EEEvPfS3_PT_PKS4_PKT0_SA_ifPKiSC_iPKfiiiSE_SE_iiiii@rel32@hi+12
	s_mov_b32 s12, s6
	s_mov_b32 s15, 6
	;; [unrolled: 1-line block ×3, first 2 shown]
	s_waitcnt lgkmcnt(0)
	v_mov_b32_e32 v0, s16
	v_mov_b32_e32 v1, s17
	;; [unrolled: 1-line block ×24, first 2 shown]
	s_mov_b32 s13, s7
	s_swappc_b64 s[30:31], s[4:5]
	s_endpgm
	.section	.rodata,"a",@progbits
	.p2align	6, 0x0
	.amdhsa_kernel _ZN4vllm25paged_attention_v1_kernelI14__hip_bfloat16hLi192ELi16ELi128ELNS_18Fp8KVCacheDataTypeE1ELb0EEEvPT_PKS3_PKT0_S9_ifPKiSB_iPKfiiiSD_SD_iiiii
		.amdhsa_group_segment_fixed_size 416
		.amdhsa_private_segment_fixed_size 652
		.amdhsa_kernarg_size 384
		.amdhsa_user_sgpr_count 6
		.amdhsa_user_sgpr_private_segment_buffer 1
		.amdhsa_user_sgpr_dispatch_ptr 0
		.amdhsa_user_sgpr_queue_ptr 0
		.amdhsa_user_sgpr_kernarg_segment_ptr 1
		.amdhsa_user_sgpr_dispatch_id 0
		.amdhsa_user_sgpr_flat_scratch_init 0
		.amdhsa_user_sgpr_private_segment_size 0
		.amdhsa_wavefront_size32 1
		.amdhsa_uses_dynamic_stack 0
		.amdhsa_system_sgpr_private_segment_wavefront_offset 1
		.amdhsa_system_sgpr_workgroup_id_x 1
		.amdhsa_system_sgpr_workgroup_id_y 1
		.amdhsa_system_sgpr_workgroup_id_z 1
		.amdhsa_system_sgpr_workgroup_info 0
		.amdhsa_system_vgpr_workitem_id 0
		.amdhsa_next_free_vgpr 128
		.amdhsa_next_free_sgpr 40
		.amdhsa_reserve_vcc 1
		.amdhsa_reserve_flat_scratch 0
		.amdhsa_float_round_mode_32 0
		.amdhsa_float_round_mode_16_64 0
		.amdhsa_float_denorm_mode_32 3
		.amdhsa_float_denorm_mode_16_64 3
		.amdhsa_dx10_clamp 1
		.amdhsa_ieee_mode 1
		.amdhsa_fp16_overflow 0
		.amdhsa_workgroup_processor_mode 1
		.amdhsa_memory_ordered 1
		.amdhsa_forward_progress 1
		.amdhsa_shared_vgpr_count 0
		.amdhsa_exception_fp_ieee_invalid_op 0
		.amdhsa_exception_fp_denorm_src 0
		.amdhsa_exception_fp_ieee_div_zero 0
		.amdhsa_exception_fp_ieee_overflow 0
		.amdhsa_exception_fp_ieee_underflow 0
		.amdhsa_exception_fp_ieee_inexact 0
		.amdhsa_exception_int_div_zero 0
	.end_amdhsa_kernel
	.section	.text._ZN4vllm25paged_attention_v1_kernelI14__hip_bfloat16hLi192ELi16ELi128ELNS_18Fp8KVCacheDataTypeE1ELb0EEEvPT_PKS3_PKT0_S9_ifPKiSB_iPKfiiiSD_SD_iiiii,"axG",@progbits,_ZN4vllm25paged_attention_v1_kernelI14__hip_bfloat16hLi192ELi16ELi128ELNS_18Fp8KVCacheDataTypeE1ELb0EEEvPT_PKS3_PKT0_S9_ifPKiSB_iPKfiiiSD_SD_iiiii,comdat
.Lfunc_end341:
	.size	_ZN4vllm25paged_attention_v1_kernelI14__hip_bfloat16hLi192ELi16ELi128ELNS_18Fp8KVCacheDataTypeE1ELb0EEEvPT_PKS3_PKT0_S9_ifPKiSB_iPKfiiiSD_SD_iiiii, .Lfunc_end341-_ZN4vllm25paged_attention_v1_kernelI14__hip_bfloat16hLi192ELi16ELi128ELNS_18Fp8KVCacheDataTypeE1ELb0EEEvPT_PKS3_PKT0_S9_ifPKiSB_iPKfiiiSD_SD_iiiii
                                        ; -- End function
	.set _ZN4vllm25paged_attention_v1_kernelI14__hip_bfloat16hLi192ELi16ELi128ELNS_18Fp8KVCacheDataTypeE1ELb0EEEvPT_PKS3_PKT0_S9_ifPKiSB_iPKfiiiSD_SD_iiiii.num_vgpr, max(32, .L_ZN4vllm22paged_attention_kernelI14__hip_bfloat16hLi192ELi16ELi128ELNS_18Fp8KVCacheDataTypeE1ELb0ELi0EEEvPfS3_PT_PKS4_PKT0_SA_ifPKiSC_iPKfiiiSE_SE_iiiii.num_vgpr)
	.set _ZN4vllm25paged_attention_v1_kernelI14__hip_bfloat16hLi192ELi16ELi128ELNS_18Fp8KVCacheDataTypeE1ELb0EEEvPT_PKS3_PKT0_S9_ifPKiSB_iPKfiiiSD_SD_iiiii.num_agpr, max(0, .L_ZN4vllm22paged_attention_kernelI14__hip_bfloat16hLi192ELi16ELi128ELNS_18Fp8KVCacheDataTypeE1ELb0ELi0EEEvPfS3_PT_PKS4_PKT0_SA_ifPKiSC_iPKfiiiSE_SE_iiiii.num_agpr)
	.set _ZN4vllm25paged_attention_v1_kernelI14__hip_bfloat16hLi192ELi16ELi128ELNS_18Fp8KVCacheDataTypeE1ELb0EEEvPT_PKS3_PKT0_S9_ifPKiSB_iPKfiiiSD_SD_iiiii.numbered_sgpr, max(40, .L_ZN4vllm22paged_attention_kernelI14__hip_bfloat16hLi192ELi16ELi128ELNS_18Fp8KVCacheDataTypeE1ELb0ELi0EEEvPfS3_PT_PKS4_PKT0_SA_ifPKiSC_iPKfiiiSE_SE_iiiii.numbered_sgpr)
	.set _ZN4vllm25paged_attention_v1_kernelI14__hip_bfloat16hLi192ELi16ELi128ELNS_18Fp8KVCacheDataTypeE1ELb0EEEvPT_PKS3_PKT0_S9_ifPKiSB_iPKfiiiSD_SD_iiiii.num_named_barrier, max(0, .L_ZN4vllm22paged_attention_kernelI14__hip_bfloat16hLi192ELi16ELi128ELNS_18Fp8KVCacheDataTypeE1ELb0ELi0EEEvPfS3_PT_PKS4_PKT0_SA_ifPKiSC_iPKfiiiSE_SE_iiiii.num_named_barrier)
	.set _ZN4vllm25paged_attention_v1_kernelI14__hip_bfloat16hLi192ELi16ELi128ELNS_18Fp8KVCacheDataTypeE1ELb0EEEvPT_PKS3_PKT0_S9_ifPKiSB_iPKfiiiSD_SD_iiiii.private_seg_size, 0+max(.L_ZN4vllm22paged_attention_kernelI14__hip_bfloat16hLi192ELi16ELi128ELNS_18Fp8KVCacheDataTypeE1ELb0ELi0EEEvPfS3_PT_PKS4_PKT0_SA_ifPKiSC_iPKfiiiSE_SE_iiiii.private_seg_size)
	.set _ZN4vllm25paged_attention_v1_kernelI14__hip_bfloat16hLi192ELi16ELi128ELNS_18Fp8KVCacheDataTypeE1ELb0EEEvPT_PKS3_PKT0_S9_ifPKiSB_iPKfiiiSD_SD_iiiii.uses_vcc, or(1, .L_ZN4vllm22paged_attention_kernelI14__hip_bfloat16hLi192ELi16ELi128ELNS_18Fp8KVCacheDataTypeE1ELb0ELi0EEEvPfS3_PT_PKS4_PKT0_SA_ifPKiSC_iPKfiiiSE_SE_iiiii.uses_vcc)
	.set _ZN4vllm25paged_attention_v1_kernelI14__hip_bfloat16hLi192ELi16ELi128ELNS_18Fp8KVCacheDataTypeE1ELb0EEEvPT_PKS3_PKT0_S9_ifPKiSB_iPKfiiiSD_SD_iiiii.uses_flat_scratch, or(0, .L_ZN4vllm22paged_attention_kernelI14__hip_bfloat16hLi192ELi16ELi128ELNS_18Fp8KVCacheDataTypeE1ELb0ELi0EEEvPfS3_PT_PKS4_PKT0_SA_ifPKiSC_iPKfiiiSE_SE_iiiii.uses_flat_scratch)
	.set _ZN4vllm25paged_attention_v1_kernelI14__hip_bfloat16hLi192ELi16ELi128ELNS_18Fp8KVCacheDataTypeE1ELb0EEEvPT_PKS3_PKT0_S9_ifPKiSB_iPKfiiiSD_SD_iiiii.has_dyn_sized_stack, or(0, .L_ZN4vllm22paged_attention_kernelI14__hip_bfloat16hLi192ELi16ELi128ELNS_18Fp8KVCacheDataTypeE1ELb0ELi0EEEvPfS3_PT_PKS4_PKT0_SA_ifPKiSC_iPKfiiiSE_SE_iiiii.has_dyn_sized_stack)
	.set _ZN4vllm25paged_attention_v1_kernelI14__hip_bfloat16hLi192ELi16ELi128ELNS_18Fp8KVCacheDataTypeE1ELb0EEEvPT_PKS3_PKT0_S9_ifPKiSB_iPKfiiiSD_SD_iiiii.has_recursion, or(0, .L_ZN4vllm22paged_attention_kernelI14__hip_bfloat16hLi192ELi16ELi128ELNS_18Fp8KVCacheDataTypeE1ELb0ELi0EEEvPfS3_PT_PKS4_PKT0_SA_ifPKiSC_iPKfiiiSE_SE_iiiii.has_recursion)
	.set _ZN4vllm25paged_attention_v1_kernelI14__hip_bfloat16hLi192ELi16ELi128ELNS_18Fp8KVCacheDataTypeE1ELb0EEEvPT_PKS3_PKT0_S9_ifPKiSB_iPKfiiiSD_SD_iiiii.has_indirect_call, or(0, .L_ZN4vllm22paged_attention_kernelI14__hip_bfloat16hLi192ELi16ELi128ELNS_18Fp8KVCacheDataTypeE1ELb0ELi0EEEvPfS3_PT_PKS4_PKT0_SA_ifPKiSC_iPKfiiiSE_SE_iiiii.has_indirect_call)
	.section	.AMDGPU.csdata,"",@progbits
; Kernel info:
; codeLenInByte = 224
; TotalNumSgprs: 42
; NumVgprs: 128
; ScratchSize: 652
; MemoryBound: 0
; FloatMode: 240
; IeeeMode: 1
; LDSByteSize: 416 bytes/workgroup (compile time only)
; SGPRBlocks: 0
; VGPRBlocks: 15
; NumSGPRsForWavesPerEU: 42
; NumVGPRsForWavesPerEU: 128
; Occupancy: 8
; WaveLimiterHint : 1
; COMPUTE_PGM_RSRC2:SCRATCH_EN: 1
; COMPUTE_PGM_RSRC2:USER_SGPR: 6
; COMPUTE_PGM_RSRC2:TRAP_HANDLER: 0
; COMPUTE_PGM_RSRC2:TGID_X_EN: 1
; COMPUTE_PGM_RSRC2:TGID_Y_EN: 1
; COMPUTE_PGM_RSRC2:TGID_Z_EN: 1
; COMPUTE_PGM_RSRC2:TIDIG_COMP_CNT: 0
	.text
	.p2align	2                               ; -- Begin function _ZN4vllm22paged_attention_kernelI14__hip_bfloat16hLi256ELi16ELi128ELNS_18Fp8KVCacheDataTypeE1ELb0ELi0EEEvPfS3_PT_PKS4_PKT0_SA_ifPKiSC_iPKfiiiSE_SE_iiiii
	.type	_ZN4vllm22paged_attention_kernelI14__hip_bfloat16hLi256ELi16ELi128ELNS_18Fp8KVCacheDataTypeE1ELb0ELi0EEEvPfS3_PT_PKS4_PKT0_SA_ifPKiSC_iPKfiiiSE_SE_iiiii,@function
_ZN4vllm22paged_attention_kernelI14__hip_bfloat16hLi256ELi16ELi128ELNS_18Fp8KVCacheDataTypeE1ELb0ELi0EEEvPfS3_PT_PKS4_PKT0_SA_ifPKiSC_iPKfiiiSE_SE_iiiii: ; @_ZN4vllm22paged_attention_kernelI14__hip_bfloat16hLi256ELi16ELi128ELNS_18Fp8KVCacheDataTypeE1ELb0ELi0EEEvPfS3_PT_PKS4_PKT0_SA_ifPKiSC_iPKfiiiSE_SE_iiiii
; %bb.0:
	s_waitcnt vmcnt(0) expcnt(0) lgkmcnt(0)
	buffer_store_dword v40, off, s[0:3], s32 offset:188 ; 4-byte Folded Spill
	buffer_store_dword v41, off, s[0:3], s32 offset:184 ; 4-byte Folded Spill
	;; [unrolled: 1-line block ×47, first 2 shown]
	buffer_store_dword v127, off, s[0:3], s32 ; 4-byte Folded Spill
	s_mov_b32 s10, s13
	s_ashr_i32 s11, s13, 31
	buffer_store_dword v22, off, s[0:3], s32 offset:904 ; 4-byte Folded Spill
	buffer_store_dword v23, off, s[0:3], s32 offset:908 ; 4-byte Folded Spill
	;; [unrolled: 1-line block ×8, first 2 shown]
	s_lshl_b64 s[4:5], s[10:11], 2
	buffer_store_dword v1, off, s[0:3], s32 offset:896 ; 4-byte Folded Spill
	buffer_store_dword v0, off, s[0:3], s32 offset:900 ; 4-byte Folded Spill
	v_add_co_u32 v0, vcc_lo, v12, s4
	v_add_co_ci_u32_e64 v1, null, s5, v13, vcc_lo
	s_clause 0x1
	s_load_dword s4, s[8:9], 0x10
	s_load_dword s5, s[8:9], 0x0
	v_mov_b32_e32 v20, v6
	flat_load_dword v0, v[0:1]
	v_mov_b32_e32 v18, v7
	s_mov_b32 s16, s15
	s_waitcnt lgkmcnt(0)
	s_lshr_b32 s4, s4, 16
	s_cmp_lg_u32 s4, 0
	s_cselect_b32 s4, -1, 0
	s_cmp_lg_u32 s4, 0
	s_addc_u32 s11, s5, 0
	s_abs_i32 s5, s12
	s_abs_i32 s4, s11
	s_waitcnt vmcnt(0)
	buffer_store_dword v0, off, s[0:3], s32 offset:196 ; 4-byte Folded Spill
	v_sub_nc_u32_e32 v0, 0, v8
	v_max_i32_e32 v0, v8, v0
	v_cvt_f32_u32_e32 v1, v0
	v_sub_nc_u32_e32 v6, 0, v0
	v_rcp_iflag_f32_e32 v1, v1
	v_mul_f32_e32 v1, 0x4f7ffffe, v1
	v_cvt_u32_f32_e32 v1, v1
	v_mul_lo_u32 v6, v6, v1
	v_mul_hi_u32 v6, v1, v6
	v_add_nc_u32_e32 v1, v1, v6
	v_mul_hi_u32 v1, s4, v1
	v_mul_lo_u32 v6, v1, v0
	v_add_nc_u32_e32 v7, 1, v1
	v_sub_nc_u32_e32 v6, s4, v6
	s_mov_b32 s4, exec_lo
	v_sub_nc_u32_e32 v9, v6, v0
	v_cmp_ge_u32_e32 vcc_lo, v6, v0
	v_cndmask_b32_e32 v1, v1, v7, vcc_lo
	v_cndmask_b32_e32 v6, v6, v9, vcc_lo
	v_xor_b32_e32 v7, s11, v8
	v_add_nc_u32_e32 v8, 1, v1
	v_cmp_ge_u32_e32 vcc_lo, v6, v0
	v_ashrrev_i32_e32 v7, 31, v7
	v_cndmask_b32_e32 v0, v1, v8, vcc_lo
	v_xor_b32_e32 v0, v0, v7
	v_sub_nc_u32_e32 v1, v0, v7
	v_sub_nc_u32_e32 v0, 0, v1
	v_max_i32_e32 v0, v1, v0
	v_cvt_f32_u32_e32 v6, v0
	v_sub_nc_u32_e32 v7, 0, v0
	v_rcp_iflag_f32_e32 v6, v6
	v_mul_f32_e32 v6, 0x4f7ffffe, v6
	v_cvt_u32_f32_e32 v6, v6
	v_mul_lo_u32 v7, v7, v6
	v_mul_hi_u32 v7, v6, v7
	v_add_nc_u32_e32 v6, v6, v7
	v_mad_u64_u32 v[12:13], null, s5, v6, 0
	v_mov_b32_e32 v6, 0
	buffer_store_dword v6, off, s[0:3], s32 offset:844 ; 4-byte Folded Spill
	v_cmpx_ne_u64_e32 0, v[15:16]
	s_cbranch_execz .LBB342_2
; %bb.1:
	s_ashr_i32 s13, s12, 31
	s_lshl_b64 s[6:7], s[12:13], 2
	v_add_co_u32 v6, vcc_lo, v15, s6
	v_add_co_ci_u32_e64 v7, null, s7, v16, vcc_lo
	flat_load_dword v6, v[6:7]
	s_waitcnt vmcnt(0) lgkmcnt(0)
	buffer_store_dword v6, off, s[0:3], s32 offset:844 ; 4-byte Folded Spill
.LBB342_2:
	s_or_b32 exec_lo, exec_lo, s4
	v_and_b32_e32 v7, 0x3ff, v31
	v_bfe_u32 v6, v31, 1, 9
	v_ashrrev_i32_e32 v1, 31, v1
	s_ashr_i32 s6, s12, 31
	s_lshl_b32 s12, s12, 8
	v_cmp_gt_u32_e64 s4, 64, v7
	buffer_store_dword v6, off, s[0:3], s32 offset:864 ; 4-byte Folded Spill
	v_and_b32_e32 v6, 1, v31
	v_lshlrev_b32_e32 v15, 3, v7
	buffer_store_dword v7, off, s[0:3], s32 offset:840 ; 4-byte Folded Spill
	buffer_store_dword v6, off, s[0:3], s32 offset:856 ; 4-byte Folded Spill
	s_and_saveexec_b32 s7, s4
	s_cbranch_execz .LBB342_4
; %bb.3:
	v_mul_lo_u32 v6, v17, s10
	s_ashr_i32 s13, s12, 31
	s_lshl_b64 s[18:19], s[12:13], 1
	v_ashrrev_i32_e32 v7, 31, v6
	v_lshlrev_b64 v[6:7], 1, v[6:7]
	v_add_co_u32 v2, vcc_lo, v2, v6
	v_add_co_ci_u32_e64 v3, null, v3, v7, vcc_lo
	s_clause 0x1
	buffer_load_dword v6, off, s[0:3], s32 offset:864
	buffer_load_dword v7, off, s[0:3], s32 offset:856
	v_add_co_u32 v2, vcc_lo, v2, s18
	v_add_co_ci_u32_e64 v3, null, s19, v3, vcc_lo
	v_add_co_u32 v2, vcc_lo, v2, v15
	v_add_co_ci_u32_e64 v3, null, 0, v3, vcc_lo
	flat_load_dwordx2 v[2:3], v[2:3]
	s_waitcnt vmcnt(2)
	v_lshlrev_b32_e32 v6, 3, v6
	s_waitcnt vmcnt(1)
	v_lshl_add_u32 v6, v7, 8, v6
	s_waitcnt vmcnt(0) lgkmcnt(0)
	ds_write_b64 v6, v[2:3]
.LBB342_4:
	s_or_b32 exec_lo, exec_lo, s7
	v_mul_lo_u32 v2, v13, v0
	buffer_load_dword v3, off, s[0:3], s32 offset:196 ; 4-byte Folded Reload
	v_add_nc_u32_e32 v6, 1, v13
	v_xor_b32_e32 v1, s6, v1
	v_mbcnt_lo_u32_b32 v23, -1, 0
	v_sub_nc_u32_e32 v2, s5, v2
	v_sub_nc_u32_e32 v8, v2, v0
	v_cmp_ge_u32_e32 vcc_lo, v2, v0
	v_cndmask_b32_e32 v6, v13, v6, vcc_lo
	v_cndmask_b32_e32 v2, v2, v8, vcc_lo
	v_add_nc_u32_e32 v8, 1, v6
	v_cmp_ge_u32_e32 vcc_lo, v2, v0
	v_mul_lo_u32 v2, v14, s10
	v_cndmask_b32_e32 v0, v6, v8, vcc_lo
	buffer_load_dword v6, off, s[0:3], s32 offset:840 ; 4-byte Folded Reload
	v_xor_b32_e32 v0, v0, v1
	v_sub_nc_u32_e32 v1, v0, v1
                                        ; implicit-def: $vgpr0
	s_waitcnt vmcnt(1)
	v_add_nc_u32_e32 v3, 15, v3
	v_ashrrev_i32_e32 v7, 31, v3
	v_lshrrev_b32_e32 v7, 28, v7
	v_add_nc_u32_e32 v3, v3, v7
	v_ashrrev_i32_e32 v7, 4, v3
	v_ashrrev_i32_e32 v3, 31, v2
	s_waitcnt vmcnt(0)
	v_lshrrev_b32_e32 v6, 5, v6
	buffer_store_dword v6, off, s[0:3], s32 offset:852 ; 4-byte Folded Spill
	buffer_store_dword v7, off, s[0:3], s32 offset:204 ; 4-byte Folded Spill
	v_cmp_ge_i32_e64 s5, v6, v7
	s_waitcnt lgkmcnt(0)
	s_waitcnt_vscnt null, 0x0
	s_barrier
	buffer_gl0_inv
                                        ; implicit-def: $vgpr6
                                        ; kill: killed $vgpr6
	s_and_saveexec_b32 s6, s5
	s_xor_b32 s6, exec_lo, s6
	s_cbranch_execz .LBB342_6
; %bb.5:
	v_mov_b32_e32 v4, 32
	v_mov_b32_e32 v0, 0
	v_mbcnt_lo_u32_b32 v23, -1, 0
	buffer_store_dword v4, off, s[0:3], s32 offset:860 ; 4-byte Folded Spill
                                        ; implicit-def: $vgpr4
                                        ; kill: killed $vgpr4
                                        ; implicit-def: $vgpr4
                                        ; kill: killed $vgpr4
                                        ; implicit-def: $vgpr4
	buffer_store_dword v4, off, s[0:3], s32 offset:300 ; 4-byte Folded Spill
	buffer_store_dword v5, off, s[0:3], s32 offset:304 ; 4-byte Folded Spill
                                        ; implicit-def: $vgpr4
                                        ; implicit-def: $vgpr5
.LBB342_6:
	s_or_saveexec_b32 s15, s6
	v_mul_lo_u32 v1, v1, v19
	v_mov_b32_e32 v6, 0xff7fffff
	s_clause 0x1
	s_load_dword s18, s[8:9], 0x14
	s_load_dword s13, s[8:9], 0x8
	buffer_store_dword v6, off, s[0:3], s32 offset:296 ; 4-byte Folded Spill
	buffer_store_dword v1, off, s[0:3], s32 offset:888 ; 4-byte Folded Spill
	v_ashrrev_i32_e32 v1, 31, v1
	buffer_store_dword v1, off, s[0:3], s32 offset:892 ; 4-byte Folded Spill
	v_lshlrev_b64 v[1:2], 2, v[2:3]
	buffer_store_dword v1, off, s[0:3], s32 offset:876 ; 4-byte Folded Spill
	buffer_store_dword v2, off, s[0:3], s32 offset:880 ; 4-byte Folded Spill
	buffer_load_dword v1, off, s[0:3], s32 offset:840 ; 4-byte Folded Reload
	s_waitcnt vmcnt(0)
	v_lshrrev_b32_e32 v1, 3, v1
	buffer_store_dword v1, off, s[0:3], s32 offset:884 ; 4-byte Folded Spill
	s_xor_b32 exec_lo, exec_lo, s15
	s_cbranch_execz .LBB342_1036
; %bb.7:
	buffer_store_dword v15, off, s[0:3], s32 offset:920 ; 4-byte Folded Spill
	buffer_store_dword v20, off, s[0:3], s32 offset:916 ; 4-byte Folded Spill
	;; [unrolled: 1-line block ×3, first 2 shown]
	buffer_load_dword v22, off, s[0:3], s32 offset:856 ; 4-byte Folded Reload
	s_getpc_b64 s[8:9]
	s_add_u32 s8, s8, llvm.amdgcn.dynlds.offset.table@rel32@lo+4
	s_addc_u32 s9, s9, llvm.amdgcn.dynlds.offset.table@rel32@hi+12
	s_ashr_i32 s17, s16, 31
	v_mov_b32_e32 v126, 0
	s_lshl_b64 s[20:21], s[16:17], 2
	s_mov_b32 s19, 0
	s_add_u32 s8, s8, s20
	s_addc_u32 s9, s9, s21
	s_waitcnt vmcnt(0)
	v_lshlrev_b32_e32 v0, 8, v22
	ds_read_b128 v[6:9], v0
	ds_read_b128 v[10:13], v0 offset:16
	ds_read_b128 v[14:17], v0 offset:32
	;; [unrolled: 1-line block ×3, first 2 shown]
	s_waitcnt lgkmcnt(0)
	v_lshlrev_b32_e32 v1, 16, v6
	buffer_store_dword v1, off, s[0:3], s32 offset:308 ; 4-byte Folded Spill
	v_and_b32_e32 v1, 0xffff0000, v6
	buffer_store_dword v1, off, s[0:3], s32 offset:312 ; 4-byte Folded Spill
	v_lshlrev_b32_e32 v1, 16, v7
	buffer_store_dword v1, off, s[0:3], s32 offset:316 ; 4-byte Folded Spill
	v_and_b32_e32 v1, 0xffff0000, v7
	buffer_store_dword v1, off, s[0:3], s32 offset:320 ; 4-byte Folded Spill
	v_lshlrev_b32_e32 v1, 16, v8
	buffer_store_dword v1, off, s[0:3], s32 offset:324 ; 4-byte Folded Spill
	v_and_b32_e32 v1, 0xffff0000, v8
	buffer_store_dword v1, off, s[0:3], s32 offset:328 ; 4-byte Folded Spill
	v_lshlrev_b32_e32 v1, 16, v9
	buffer_store_dword v1, off, s[0:3], s32 offset:332 ; 4-byte Folded Spill
	v_and_b32_e32 v1, 0xffff0000, v9
	ds_read_b128 v[6:9], v0 offset:64
	buffer_store_dword v1, off, s[0:3], s32 offset:336 ; 4-byte Folded Spill
	v_lshlrev_b32_e32 v1, 16, v10
	buffer_store_dword v1, off, s[0:3], s32 offset:340 ; 4-byte Folded Spill
	v_and_b32_e32 v1, 0xffff0000, v10
	buffer_store_dword v1, off, s[0:3], s32 offset:344 ; 4-byte Folded Spill
	v_lshlrev_b32_e32 v1, 16, v11
	buffer_store_dword v1, off, s[0:3], s32 offset:348 ; 4-byte Folded Spill
	v_and_b32_e32 v1, 0xffff0000, v11
	;; [unrolled: 4-line block ×12, first 2 shown]
	buffer_store_dword v1, off, s[0:3], s32 offset:440 ; 4-byte Folded Spill
	s_waitcnt lgkmcnt(0)
	v_lshlrev_b32_e32 v1, 16, v6
	buffer_store_dword v1, off, s[0:3], s32 offset:444 ; 4-byte Folded Spill
	v_and_b32_e32 v1, 0xffff0000, v6
	buffer_store_dword v1, off, s[0:3], s32 offset:448 ; 4-byte Folded Spill
	v_lshlrev_b32_e32 v1, 16, v7
	buffer_store_dword v1, off, s[0:3], s32 offset:452 ; 4-byte Folded Spill
	v_and_b32_e32 v1, 0xffff0000, v7
	buffer_store_dword v1, off, s[0:3], s32 offset:456 ; 4-byte Folded Spill
	v_lshlrev_b32_e32 v1, 16, v8
	buffer_store_dword v1, off, s[0:3], s32 offset:460 ; 4-byte Folded Spill
	v_and_b32_e32 v1, 0xffff0000, v8
	buffer_store_dword v1, off, s[0:3], s32 offset:464 ; 4-byte Folded Spill
	v_lshlrev_b32_e32 v1, 16, v9
	buffer_store_dword v1, off, s[0:3], s32 offset:468 ; 4-byte Folded Spill
	v_and_b32_e32 v1, 0xffff0000, v9
	ds_read_b128 v[6:9], v0 offset:80
	buffer_store_dword v1, off, s[0:3], s32 offset:472 ; 4-byte Folded Spill
	s_waitcnt lgkmcnt(0)
	v_lshlrev_b32_e32 v1, 16, v6
	buffer_store_dword v1, off, s[0:3], s32 offset:476 ; 4-byte Folded Spill
	v_and_b32_e32 v1, 0xffff0000, v6
	buffer_store_dword v1, off, s[0:3], s32 offset:480 ; 4-byte Folded Spill
	v_lshlrev_b32_e32 v1, 16, v7
	buffer_store_dword v1, off, s[0:3], s32 offset:484 ; 4-byte Folded Spill
	v_and_b32_e32 v1, 0xffff0000, v7
	buffer_store_dword v1, off, s[0:3], s32 offset:488 ; 4-byte Folded Spill
	v_lshlrev_b32_e32 v1, 16, v8
	buffer_store_dword v1, off, s[0:3], s32 offset:492 ; 4-byte Folded Spill
	v_and_b32_e32 v1, 0xffff0000, v8
	buffer_store_dword v1, off, s[0:3], s32 offset:496 ; 4-byte Folded Spill
	v_lshlrev_b32_e32 v1, 16, v9
	buffer_store_dword v1, off, s[0:3], s32 offset:500 ; 4-byte Folded Spill
	v_and_b32_e32 v1, 0xffff0000, v9
	ds_read_b128 v[6:9], v0 offset:96
	;; [unrolled: 18-line block ×10, first 2 shown]
	buffer_store_dword v1, off, s[0:3], s32 offset:760 ; 4-byte Folded Spill
	s_waitcnt lgkmcnt(0)
	v_lshlrev_b32_e32 v1, 16, v6
	buffer_store_dword v1, off, s[0:3], s32 offset:764 ; 4-byte Folded Spill
	v_and_b32_e32 v1, 0xffff0000, v6
	buffer_store_dword v1, off, s[0:3], s32 offset:768 ; 4-byte Folded Spill
	v_lshlrev_b32_e32 v1, 16, v7
	buffer_store_dword v1, off, s[0:3], s32 offset:772 ; 4-byte Folded Spill
	v_and_b32_e32 v1, 0xffff0000, v7
	buffer_store_dword v1, off, s[0:3], s32 offset:776 ; 4-byte Folded Spill
	;; [unrolled: 4-line block ×4, first 2 shown]
	ds_read_b128 v[0:3], v0 offset:240
	s_waitcnt lgkmcnt(0)
	v_lshlrev_b32_e32 v6, 16, v0
	v_and_b32_e32 v0, 0xffff0000, v0
	buffer_store_dword v6, off, s[0:3], s32 offset:796 ; 4-byte Folded Spill
	buffer_store_dword v0, off, s[0:3], s32 offset:800 ; 4-byte Folded Spill
	v_lshlrev_b32_e32 v0, 16, v1
	buffer_store_dword v0, off, s[0:3], s32 offset:804 ; 4-byte Folded Spill
	v_and_b32_e32 v0, 0xffff0000, v1
	buffer_load_dword v1, off, s[0:3], s32 offset:892 ; 4-byte Folded Reload
	buffer_store_dword v0, off, s[0:3], s32 offset:808 ; 4-byte Folded Spill
	v_lshlrev_b32_e32 v0, 16, v2
	buffer_store_dword v0, off, s[0:3], s32 offset:812 ; 4-byte Folded Spill
	v_and_b32_e32 v0, 0xffff0000, v2
	buffer_load_dword v2, off, s[0:3], s32 offset:840 ; 4-byte Folded Reload
	buffer_store_dword v0, off, s[0:3], s32 offset:816 ; 4-byte Folded Spill
	v_lshlrev_b32_e32 v0, 16, v3
	buffer_store_dword v0, off, s[0:3], s32 offset:820 ; 4-byte Folded Spill
	v_and_b32_e32 v0, 0xffff0000, v3
	buffer_store_dword v0, off, s[0:3], s32 offset:824 ; 4-byte Folded Spill
	buffer_load_dword v0, off, s[0:3], s32 offset:888 ; 4-byte Folded Reload
	s_waitcnt vmcnt(1)
	v_bfe_u32 v2, v2, 1, 4
	v_lshlrev_b32_e32 v3, 4, v2
	s_waitcnt vmcnt(0)
	v_add_co_u32 v0, vcc_lo, v4, v0
	v_add_co_ci_u32_e64 v1, null, v5, v1, vcc_lo
	v_add_co_u32 v0, vcc_lo, v0, v3
	v_add_co_ci_u32_e64 v1, null, 0, v1, vcc_lo
	buffer_store_dword v0, off, s[0:3], s32 offset:828 ; 4-byte Folded Spill
	buffer_store_dword v1, off, s[0:3], s32 offset:832 ; 4-byte Folded Spill
	s_clause 0x2
	buffer_load_dword v0, off, s[0:3], s32 offset:884
	buffer_load_dword v3, off, s[0:3], s32 offset:876
	;; [unrolled: 1-line block ×3, first 2 shown]
	buffer_store_dword v23, off, s[0:3], s32 offset:924 ; 4-byte Folded Spill
	s_waitcnt vmcnt(2)
	v_and_b32_e32 v0, 0x7c, v0
	s_waitcnt vmcnt(1)
	v_add_co_u32 v0, vcc_lo, v0, v3
	buffer_load_dword v3, off, s[0:3], s32 offset:872 ; 4-byte Folded Reload
	s_waitcnt vmcnt(1)
	v_add_co_ci_u32_e64 v1, null, 0, v4, vcc_lo
	s_waitcnt vmcnt(0)
	v_add_co_u32 v3, vcc_lo, v3, v0
	buffer_load_dword v0, off, s[0:3], s32 offset:868 ; 4-byte Folded Reload
	s_waitcnt vmcnt(0)
	v_add_co_ci_u32_e64 v4, null, v0, v1, vcc_lo
	v_xor_b32_e32 v0, 1, v23
	buffer_load_dword v1, off, s[0:3], s32 offset:852 ; 4-byte Folded Reload
	v_cmp_gt_i32_e32 vcc_lo, 32, v0
	v_cndmask_b32_e32 v0, v23, v0, vcc_lo
	v_cmp_eq_u32_e32 vcc_lo, 0, v22
	v_lshlrev_b32_e32 v0, 2, v0
	buffer_store_dword v0, off, s[0:3], s32 offset:836 ; 4-byte Folded Spill
	buffer_load_dword v0, off, s[0:3], s32 offset:844 ; 4-byte Folded Reload
	s_waitcnt vmcnt(1)
	v_mov_b32_e32 v6, v1
	s_waitcnt vmcnt(0)
	v_cmp_neq_f32_e64 s6, 0, v0
	v_lshlrev_b32_e32 v0, 2, v2
	v_lshl_or_b32 v2, v1, 4, v2
	v_lshl_or_b32 v0, v1, 6, v0
	buffer_store_dword v2, off, s[0:3], s32 offset:232 ; 4-byte Folded Spill
	v_lshlrev_b32_e32 v2, 2, v22
	buffer_store_dword v0, off, s[0:3], s32 offset:236 ; 4-byte Folded Spill
	v_mov_b32_e32 v0, 32
	buffer_store_dword v0, off, s[0:3], s32 offset:860 ; 4-byte Folded Spill
	buffer_store_dword v2, off, s[0:3], s32 offset:192 ; 4-byte Folded Spill
	v_or_b32_e32 v0, 8, v2
	buffer_store_dword v0, off, s[0:3], s32 offset:200 ; 4-byte Folded Spill
	v_mov_b32_e32 v0, 0xff7fffff
	buffer_store_dword v0, off, s[0:3], s32 offset:296 ; 4-byte Folded Spill
	s_branch .LBB342_9
.LBB342_8:                              ;   in Loop: Header=BB342_9 Depth=1
	s_or_b32 exec_lo, exec_lo, s17
	s_clause 0x2
	buffer_load_dword v3, off, s[0:3], s32 offset:252
	buffer_load_dword v4, off, s[0:3], s32 offset:256
	buffer_load_dword v0, off, s[0:3], s32 offset:232
	s_waitcnt vmcnt(3)
	v_add_nc_u32_e32 v6, 4, v6
	s_waitcnt vmcnt(2)
	v_add_co_u32 v3, s7, v3, 16
	s_waitcnt vmcnt(0)
	v_add_nc_u32_e32 v0, 64, v0
	v_add_co_ci_u32_e64 v4, null, 0, v4, s7
	buffer_store_dword v0, off, s[0:3], s32 offset:232 ; 4-byte Folded Spill
	buffer_load_dword v0, off, s[0:3], s32 offset:236 ; 4-byte Folded Reload
	s_waitcnt vmcnt(0)
	v_add_nc_u32_e32 v0, 0x100, v0
	buffer_store_dword v0, off, s[0:3], s32 offset:236 ; 4-byte Folded Spill
	buffer_load_dword v0, off, s[0:3], s32 offset:204 ; 4-byte Folded Reload
	s_waitcnt vmcnt(0)
	v_cmp_ge_i32_e64 s7, v6, v0
	s_or_b32 s19, s7, s19
	s_andn2_b32 exec_lo, exec_lo, s19
	s_cbranch_execz .LBB342_1035
.LBB342_9:                              ; =>This Inner Loop Header: Depth=1
	buffer_store_dword v6, off, s[0:3], s32 offset:260 ; 4-byte Folded Spill
	buffer_store_dword v3, off, s[0:3], s32 offset:252 ; 4-byte Folded Spill
	;; [unrolled: 1-line block ×3, first 2 shown]
	v_mov_b32_e32 v80, 0
	flat_load_dword v0, v[3:4]
	s_waitcnt lgkmcnt(1)
	s_clause 0x2
	buffer_load_dword v1, off, s[0:3], s32 offset:396
	buffer_load_dword v2, off, s[0:3], s32 offset:828
	;; [unrolled: 1-line block ×3, first 2 shown]
	s_waitcnt vmcnt(0) lgkmcnt(0)
	v_mad_i64_i32 v[16:17], null, v0, v1, v[2:3]
	buffer_load_dword v0, off, s[0:3], s32 offset:192 ; 4-byte Folded Reload
	s_waitcnt vmcnt(0)
	v_add_co_u32 v24, s7, v16, v0
	v_add_co_ci_u32_e64 v25, null, 0, v17, s7
	flat_load_dword v0, v[24:25]
	s_clause 0x1
	buffer_load_dword v1, off, s[0:3], s32 offset:300
	buffer_load_dword v2, off, s[0:3], s32 offset:304
	s_waitcnt vmcnt(2) lgkmcnt(0)
	v_cmp_ne_u16_sdwa s7, v0, v126 src0_sel:BYTE_0 src1_sel:DWORD
	s_waitcnt vmcnt(0)
	flat_load_dword v98, v[1:2]
	s_and_saveexec_b32 s17, s7
	s_cbranch_execz .LBB342_17
; %bb.10:                               ;   in Loop: Header=BB342_9 Depth=1
	v_mov_b32_e32 v1, 0x80
	v_bfrev_b32_e32 v80, 1
	v_cmp_ne_u16_sdwa s7, v0, v1 src0_sel:BYTE_0 src1_sel:DWORD
	s_and_saveexec_b32 s20, s7
	s_cbranch_execz .LBB342_16
; %bb.11:                               ;   in Loop: Header=BB342_9 Depth=1
	v_and_b32_e32 v2, 0x7f, v0
	v_mov_b32_e32 v80, 0x7f800001
	s_mov_b32 s21, exec_lo
	v_cmpx_ne_u32_e32 0x7f, v2
	s_cbranch_execz .LBB342_15
; %bb.12:                               ;   in Loop: Header=BB342_9 Depth=1
	v_and_b32_e32 v125, 7, v0
	v_lshrrev_b32_e32 v1, 3, v2
	s_mov_b32 s22, exec_lo
	v_mov_b32_e32 v26, v125
	v_mov_b32_e32 v27, v126
	v_cmpx_gt_u32_e32 8, v2
; %bb.13:                               ;   in Loop: Header=BB342_9 Depth=1
	v_ffbh_u32_e32 v1, v125
	v_min_u32_e32 v1, 32, v1
	v_subrev_nc_u32_e32 v2, 28, v1
	v_sub_nc_u32_e32 v1, 29, v1
	v_lshlrev_b64 v[2:3], v2, v[125:126]
	v_and_b32_e32 v26, 7, v2
; %bb.14:                               ;   in Loop: Header=BB342_9 Depth=1
	s_or_b32 exec_lo, exec_lo, s22
	v_lshlrev_b32_e32 v2, 24, v0
	v_lshlrev_b32_e32 v3, 20, v26
	v_lshl_add_u32 v1, v1, 23, 0x3c000000
	v_and_b32_e32 v2, 0x80000000, v2
	v_or3_b32 v80, v3, v2, v1
.LBB342_15:                             ;   in Loop: Header=BB342_9 Depth=1
	s_or_b32 exec_lo, exec_lo, s21
.LBB342_16:                             ;   in Loop: Header=BB342_9 Depth=1
	s_or_b32 exec_lo, exec_lo, s20
.LBB342_17:                             ;   in Loop: Header=BB342_9 Depth=1
	s_or_b32 exec_lo, exec_lo, s17
	v_cmp_ne_u16_sdwa s7, v0, v126 src0_sel:BYTE_1 src1_sel:DWORD
	v_mov_b32_e32 v96, 0
	s_and_saveexec_b32 s17, s7
	s_cbranch_execz .LBB342_25
; %bb.18:                               ;   in Loop: Header=BB342_9 Depth=1
	v_mov_b32_e32 v1, 0x80
	v_bfrev_b32_e32 v96, 1
	v_cmp_ne_u16_sdwa s7, v0, v1 src0_sel:BYTE_1 src1_sel:DWORD
	s_and_saveexec_b32 s20, s7
	s_cbranch_execz .LBB342_24
; %bb.19:                               ;   in Loop: Header=BB342_9 Depth=1
	v_mov_b32_e32 v1, 0xffff
	v_mov_b32_e32 v96, 0x7f800001
	s_mov_b32 s21, exec_lo
	v_and_b32_sdwa v1, v1, v0 dst_sel:DWORD dst_unused:UNUSED_PAD src0_sel:DWORD src1_sel:BYTE_1
	v_and_b32_e32 v2, 0x7f, v1
	v_cmpx_ne_u32_e32 0x7f, v2
	s_cbranch_execz .LBB342_23
; %bb.20:                               ;   in Loop: Header=BB342_9 Depth=1
	v_and_b32_e32 v125, 7, v1
	v_lshrrev_b32_e32 v1, 3, v2
	s_mov_b32 s22, exec_lo
	v_mov_b32_e32 v26, v125
	v_mov_b32_e32 v27, v126
	v_cmpx_gt_u32_e32 8, v2
; %bb.21:                               ;   in Loop: Header=BB342_9 Depth=1
	v_ffbh_u32_e32 v1, v125
	v_min_u32_e32 v1, 32, v1
	v_subrev_nc_u32_e32 v2, 28, v1
	v_sub_nc_u32_e32 v1, 29, v1
	v_lshlrev_b64 v[2:3], v2, v[125:126]
	v_and_b32_e32 v26, 7, v2
; %bb.22:                               ;   in Loop: Header=BB342_9 Depth=1
	s_or_b32 exec_lo, exec_lo, s22
	v_lshlrev_b32_e32 v2, 16, v0
	v_lshlrev_b32_e32 v3, 20, v26
	v_lshl_add_u32 v1, v1, 23, 0x3c000000
	v_and_b32_e32 v2, 0x80000000, v2
	v_or3_b32 v96, v3, v2, v1
.LBB342_23:                             ;   in Loop: Header=BB342_9 Depth=1
	s_or_b32 exec_lo, exec_lo, s21
.LBB342_24:                             ;   in Loop: Header=BB342_9 Depth=1
	s_or_b32 exec_lo, exec_lo, s20
.LBB342_25:                             ;   in Loop: Header=BB342_9 Depth=1
	s_or_b32 exec_lo, exec_lo, s17
	v_mov_b32_e32 v1, 0xff
	v_mov_b32_e32 v83, 0
	;; [unrolled: 1-line block ×3, first 2 shown]
	s_mov_b32 s17, exec_lo
	v_and_b32_sdwa v1, v0, v1 dst_sel:DWORD dst_unused:UNUSED_PAD src0_sel:WORD_1 src1_sel:DWORD
	v_cmpx_ne_u16_e32 0, v1
	s_cbranch_execz .LBB342_33
; %bb.26:                               ;   in Loop: Header=BB342_9 Depth=1
	v_bfrev_b32_e32 v82, 1
	s_mov_b32 s20, exec_lo
	v_cmpx_ne_u16_e32 0x80, v1
	s_cbranch_execz .LBB342_32
; %bb.27:                               ;   in Loop: Header=BB342_9 Depth=1
	v_bfe_u32 v2, v0, 16, 7
	v_mov_b32_e32 v82, 0x7f800001
	s_mov_b32 s21, exec_lo
	v_cmpx_ne_u32_e32 0x7f, v2
	s_cbranch_execz .LBB342_31
; %bb.28:                               ;   in Loop: Header=BB342_9 Depth=1
	v_mov_b32_e32 v1, 7
	s_mov_b32 s22, exec_lo
	v_and_b32_sdwa v125, v0, v1 dst_sel:DWORD dst_unused:UNUSED_PAD src0_sel:WORD_1 src1_sel:DWORD
	v_lshrrev_b32_e32 v1, 3, v2
	v_mov_b32_e32 v26, v125
	v_mov_b32_e32 v27, v126
	v_cmpx_gt_u32_e32 8, v2
; %bb.29:                               ;   in Loop: Header=BB342_9 Depth=1
	v_ffbh_u32_e32 v1, v125
	v_min_u32_e32 v1, 32, v1
	v_subrev_nc_u32_e32 v2, 28, v1
	v_sub_nc_u32_e32 v1, 29, v1
	v_lshlrev_b64 v[2:3], v2, v[125:126]
	v_and_b32_e32 v26, 7, v2
; %bb.30:                               ;   in Loop: Header=BB342_9 Depth=1
	s_or_b32 exec_lo, exec_lo, s22
	v_mov_b32_e32 v2, 24
	v_lshlrev_b32_e32 v3, 20, v26
	v_lshl_add_u32 v1, v1, 23, 0x3c000000
	v_lshlrev_b32_sdwa v2, v2, v0 dst_sel:DWORD dst_unused:UNUSED_PAD src0_sel:DWORD src1_sel:WORD_1
	v_and_b32_e32 v2, 0x80000000, v2
	v_or3_b32 v82, v3, v2, v1
.LBB342_31:                             ;   in Loop: Header=BB342_9 Depth=1
	s_or_b32 exec_lo, exec_lo, s21
.LBB342_32:                             ;   in Loop: Header=BB342_9 Depth=1
	s_or_b32 exec_lo, exec_lo, s20
.LBB342_33:                             ;   in Loop: Header=BB342_9 Depth=1
	s_or_b32 exec_lo, exec_lo, s17
	s_mov_b32 s17, exec_lo
	v_cmpx_lt_u32_e32 0xffffff, v0
	s_cbranch_execz .LBB342_41
; %bb.34:                               ;   in Loop: Header=BB342_9 Depth=1
	v_mov_b32_e32 v1, 0x80
	v_bfrev_b32_e32 v83, 1
	v_cmp_ne_u32_sdwa s7, v0, v1 src0_sel:BYTE_3 src1_sel:DWORD
	s_and_saveexec_b32 s20, s7
	s_cbranch_execz .LBB342_40
; %bb.35:                               ;   in Loop: Header=BB342_9 Depth=1
	v_bfe_u32 v2, v0, 24, 7
	v_mov_b32_e32 v83, 0x7f800001
	s_mov_b32 s21, exec_lo
	v_cmpx_ne_u32_e32 0x7f, v2
	s_cbranch_execz .LBB342_39
; %bb.36:                               ;   in Loop: Header=BB342_9 Depth=1
	v_mov_b32_e32 v1, 7
	s_mov_b32 s22, exec_lo
	v_and_b32_sdwa v125, v0, v1 dst_sel:DWORD dst_unused:UNUSED_PAD src0_sel:BYTE_3 src1_sel:DWORD
	v_lshrrev_b32_e32 v1, 3, v2
	v_mov_b32_e32 v26, v125
	v_mov_b32_e32 v27, v126
	v_cmpx_gt_u32_e32 8, v2
; %bb.37:                               ;   in Loop: Header=BB342_9 Depth=1
	v_ffbh_u32_e32 v1, v125
	v_min_u32_e32 v1, 32, v1
	v_subrev_nc_u32_e32 v2, 28, v1
	v_sub_nc_u32_e32 v1, 29, v1
	v_lshlrev_b64 v[2:3], v2, v[125:126]
	v_and_b32_e32 v26, 7, v2
; %bb.38:                               ;   in Loop: Header=BB342_9 Depth=1
	s_or_b32 exec_lo, exec_lo, s22
	v_mov_b32_e32 v2, 24
	v_lshl_add_u32 v1, v1, 23, 0x3c000000
	v_lshlrev_b32_sdwa v0, v2, v0 dst_sel:DWORD dst_unused:UNUSED_PAD src0_sel:DWORD src1_sel:BYTE_3
	v_lshlrev_b32_e32 v2, 20, v26
	v_and_b32_e32 v0, 0x80000000, v0
	v_or3_b32 v83, v2, v0, v1
.LBB342_39:                             ;   in Loop: Header=BB342_9 Depth=1
	s_or_b32 exec_lo, exec_lo, s21
.LBB342_40:                             ;   in Loop: Header=BB342_9 Depth=1
	s_or_b32 exec_lo, exec_lo, s20
.LBB342_41:                             ;   in Loop: Header=BB342_9 Depth=1
	s_or_b32 exec_lo, exec_lo, s17
	flat_load_dword v0, v[24:25] offset:8
	v_mov_b32_e32 v15, 0
	v_mov_b32_e32 v84, 0
	s_waitcnt vmcnt(0) lgkmcnt(0)
	v_cmp_ne_u16_sdwa s7, v0, v126 src0_sel:BYTE_0 src1_sel:DWORD
	s_and_saveexec_b32 s17, s7
	s_cbranch_execz .LBB342_49
; %bb.42:                               ;   in Loop: Header=BB342_9 Depth=1
	v_mov_b32_e32 v1, 0x80
	v_bfrev_b32_e32 v84, 1
	v_cmp_ne_u16_sdwa s7, v0, v1 src0_sel:BYTE_0 src1_sel:DWORD
	s_and_saveexec_b32 s20, s7
	s_cbranch_execz .LBB342_48
; %bb.43:                               ;   in Loop: Header=BB342_9 Depth=1
	v_and_b32_e32 v2, 0x7f, v0
	v_mov_b32_e32 v84, 0x7f800001
	s_mov_b32 s21, exec_lo
	v_cmpx_ne_u32_e32 0x7f, v2
	s_cbranch_execz .LBB342_47
; %bb.44:                               ;   in Loop: Header=BB342_9 Depth=1
	v_and_b32_e32 v125, 7, v0
	v_lshrrev_b32_e32 v1, 3, v2
	s_mov_b32 s22, exec_lo
	v_mov_b32_e32 v26, v125
	v_mov_b32_e32 v27, v126
	v_cmpx_gt_u32_e32 8, v2
; %bb.45:                               ;   in Loop: Header=BB342_9 Depth=1
	v_ffbh_u32_e32 v1, v125
	v_min_u32_e32 v1, 32, v1
	v_subrev_nc_u32_e32 v2, 28, v1
	v_sub_nc_u32_e32 v1, 29, v1
	v_lshlrev_b64 v[2:3], v2, v[125:126]
	v_and_b32_e32 v26, 7, v2
; %bb.46:                               ;   in Loop: Header=BB342_9 Depth=1
	s_or_b32 exec_lo, exec_lo, s22
	v_lshlrev_b32_e32 v2, 24, v0
	v_lshlrev_b32_e32 v3, 20, v26
	v_lshl_add_u32 v1, v1, 23, 0x3c000000
	v_and_b32_e32 v2, 0x80000000, v2
	v_or3_b32 v84, v3, v2, v1
.LBB342_47:                             ;   in Loop: Header=BB342_9 Depth=1
	s_or_b32 exec_lo, exec_lo, s21
.LBB342_48:                             ;   in Loop: Header=BB342_9 Depth=1
	s_or_b32 exec_lo, exec_lo, s20
.LBB342_49:                             ;   in Loop: Header=BB342_9 Depth=1
	s_or_b32 exec_lo, exec_lo, s17
	v_cmp_ne_u16_sdwa s7, v0, v126 src0_sel:BYTE_1 src1_sel:DWORD
	s_and_saveexec_b32 s17, s7
	s_cbranch_execz .LBB342_57
; %bb.50:                               ;   in Loop: Header=BB342_9 Depth=1
	v_mov_b32_e32 v1, 0x80
	v_bfrev_b32_e32 v15, 1
	v_cmp_ne_u16_sdwa s7, v0, v1 src0_sel:BYTE_1 src1_sel:DWORD
	s_and_saveexec_b32 s20, s7
	s_cbranch_execz .LBB342_56
; %bb.51:                               ;   in Loop: Header=BB342_9 Depth=1
	v_mov_b32_e32 v1, 0xffff
	v_mov_b32_e32 v15, 0x7f800001
	s_mov_b32 s21, exec_lo
	v_and_b32_sdwa v1, v1, v0 dst_sel:DWORD dst_unused:UNUSED_PAD src0_sel:DWORD src1_sel:BYTE_1
	v_and_b32_e32 v2, 0x7f, v1
	v_cmpx_ne_u32_e32 0x7f, v2
	s_cbranch_execz .LBB342_55
; %bb.52:                               ;   in Loop: Header=BB342_9 Depth=1
	v_and_b32_e32 v125, 7, v1
	v_lshrrev_b32_e32 v1, 3, v2
	s_mov_b32 s22, exec_lo
	v_mov_b32_e32 v26, v125
	v_mov_b32_e32 v27, v126
	v_cmpx_gt_u32_e32 8, v2
; %bb.53:                               ;   in Loop: Header=BB342_9 Depth=1
	v_ffbh_u32_e32 v1, v125
	v_min_u32_e32 v1, 32, v1
	v_subrev_nc_u32_e32 v2, 28, v1
	v_sub_nc_u32_e32 v1, 29, v1
	v_lshlrev_b64 v[2:3], v2, v[125:126]
	v_and_b32_e32 v26, 7, v2
; %bb.54:                               ;   in Loop: Header=BB342_9 Depth=1
	s_or_b32 exec_lo, exec_lo, s22
	v_lshlrev_b32_e32 v2, 16, v0
	v_lshlrev_b32_e32 v3, 20, v26
	v_lshl_add_u32 v1, v1, 23, 0x3c000000
	v_and_b32_e32 v2, 0x80000000, v2
	v_or3_b32 v15, v3, v2, v1
.LBB342_55:                             ;   in Loop: Header=BB342_9 Depth=1
	s_or_b32 exec_lo, exec_lo, s21
.LBB342_56:                             ;   in Loop: Header=BB342_9 Depth=1
	s_or_b32 exec_lo, exec_lo, s20
.LBB342_57:                             ;   in Loop: Header=BB342_9 Depth=1
	s_or_b32 exec_lo, exec_lo, s17
	v_mov_b32_e32 v1, 0xff
	v_mov_b32_e32 v127, 0
	;; [unrolled: 1-line block ×3, first 2 shown]
	s_mov_b32 s17, exec_lo
	v_and_b32_sdwa v1, v0, v1 dst_sel:DWORD dst_unused:UNUSED_PAD src0_sel:WORD_1 src1_sel:DWORD
	v_cmpx_ne_u16_e32 0, v1
	s_cbranch_execz .LBB342_65
; %bb.58:                               ;   in Loop: Header=BB342_9 Depth=1
	v_bfrev_b32_e32 v85, 1
	s_mov_b32 s20, exec_lo
	v_cmpx_ne_u16_e32 0x80, v1
	s_cbranch_execz .LBB342_64
; %bb.59:                               ;   in Loop: Header=BB342_9 Depth=1
	v_bfe_u32 v2, v0, 16, 7
	v_mov_b32_e32 v85, 0x7f800001
	s_mov_b32 s21, exec_lo
	v_cmpx_ne_u32_e32 0x7f, v2
	s_cbranch_execz .LBB342_63
; %bb.60:                               ;   in Loop: Header=BB342_9 Depth=1
	v_mov_b32_e32 v1, 7
	s_mov_b32 s22, exec_lo
	v_and_b32_sdwa v125, v0, v1 dst_sel:DWORD dst_unused:UNUSED_PAD src0_sel:WORD_1 src1_sel:DWORD
	v_lshrrev_b32_e32 v1, 3, v2
	v_mov_b32_e32 v26, v125
	v_mov_b32_e32 v27, v126
	v_cmpx_gt_u32_e32 8, v2
; %bb.61:                               ;   in Loop: Header=BB342_9 Depth=1
	v_ffbh_u32_e32 v1, v125
	v_min_u32_e32 v1, 32, v1
	v_subrev_nc_u32_e32 v2, 28, v1
	v_sub_nc_u32_e32 v1, 29, v1
	v_lshlrev_b64 v[2:3], v2, v[125:126]
	v_and_b32_e32 v26, 7, v2
; %bb.62:                               ;   in Loop: Header=BB342_9 Depth=1
	s_or_b32 exec_lo, exec_lo, s22
	v_mov_b32_e32 v2, 24
	v_lshlrev_b32_e32 v3, 20, v26
	v_lshl_add_u32 v1, v1, 23, 0x3c000000
	v_lshlrev_b32_sdwa v2, v2, v0 dst_sel:DWORD dst_unused:UNUSED_PAD src0_sel:DWORD src1_sel:WORD_1
	v_and_b32_e32 v2, 0x80000000, v2
	v_or3_b32 v85, v3, v2, v1
.LBB342_63:                             ;   in Loop: Header=BB342_9 Depth=1
	s_or_b32 exec_lo, exec_lo, s21
.LBB342_64:                             ;   in Loop: Header=BB342_9 Depth=1
	s_or_b32 exec_lo, exec_lo, s20
.LBB342_65:                             ;   in Loop: Header=BB342_9 Depth=1
	s_or_b32 exec_lo, exec_lo, s17
	s_mov_b32 s17, exec_lo
	v_cmpx_lt_u32_e32 0xffffff, v0
	s_cbranch_execz .LBB342_73
; %bb.66:                               ;   in Loop: Header=BB342_9 Depth=1
	v_mov_b32_e32 v1, 0x80
	v_bfrev_b32_e32 v127, 1
	v_cmp_ne_u32_sdwa s7, v0, v1 src0_sel:BYTE_3 src1_sel:DWORD
	s_and_saveexec_b32 s20, s7
	s_cbranch_execz .LBB342_72
; %bb.67:                               ;   in Loop: Header=BB342_9 Depth=1
	v_bfe_u32 v2, v0, 24, 7
	v_mov_b32_e32 v127, 0x7f800001
	s_mov_b32 s21, exec_lo
	v_cmpx_ne_u32_e32 0x7f, v2
	s_cbranch_execz .LBB342_71
; %bb.68:                               ;   in Loop: Header=BB342_9 Depth=1
	v_mov_b32_e32 v1, 7
	s_mov_b32 s22, exec_lo
	v_and_b32_sdwa v125, v0, v1 dst_sel:DWORD dst_unused:UNUSED_PAD src0_sel:BYTE_3 src1_sel:DWORD
	v_lshrrev_b32_e32 v1, 3, v2
	v_mov_b32_e32 v26, v125
	v_mov_b32_e32 v27, v126
	v_cmpx_gt_u32_e32 8, v2
; %bb.69:                               ;   in Loop: Header=BB342_9 Depth=1
	v_ffbh_u32_e32 v1, v125
	v_min_u32_e32 v1, 32, v1
	v_subrev_nc_u32_e32 v2, 28, v1
	v_sub_nc_u32_e32 v1, 29, v1
	v_lshlrev_b64 v[2:3], v2, v[125:126]
	v_and_b32_e32 v26, 7, v2
; %bb.70:                               ;   in Loop: Header=BB342_9 Depth=1
	s_or_b32 exec_lo, exec_lo, s22
	v_mov_b32_e32 v2, 24
	v_lshl_add_u32 v1, v1, 23, 0x3c000000
	v_lshlrev_b32_sdwa v0, v2, v0 dst_sel:DWORD dst_unused:UNUSED_PAD src0_sel:DWORD src1_sel:BYTE_3
	v_lshlrev_b32_e32 v2, 20, v26
	v_and_b32_e32 v0, 0x80000000, v0
	v_or3_b32 v127, v2, v0, v1
.LBB342_71:                             ;   in Loop: Header=BB342_9 Depth=1
	s_or_b32 exec_lo, exec_lo, s21
.LBB342_72:                             ;   in Loop: Header=BB342_9 Depth=1
	s_or_b32 exec_lo, exec_lo, s20
.LBB342_73:                             ;   in Loop: Header=BB342_9 Depth=1
	s_or_b32 exec_lo, exec_lo, s17
	flat_load_dword v0, v[24:25] offset:256
	v_mov_b32_e32 v32, 0
	v_mov_b32_e32 v87, 0
	s_waitcnt vmcnt(0) lgkmcnt(0)
	v_cmp_ne_u16_sdwa s7, v0, v126 src0_sel:BYTE_0 src1_sel:DWORD
	s_and_saveexec_b32 s17, s7
	s_cbranch_execz .LBB342_81
; %bb.74:                               ;   in Loop: Header=BB342_9 Depth=1
	v_mov_b32_e32 v1, 0x80
	v_bfrev_b32_e32 v87, 1
	v_cmp_ne_u16_sdwa s7, v0, v1 src0_sel:BYTE_0 src1_sel:DWORD
	s_and_saveexec_b32 s20, s7
	s_cbranch_execz .LBB342_80
; %bb.75:                               ;   in Loop: Header=BB342_9 Depth=1
	v_and_b32_e32 v2, 0x7f, v0
	v_mov_b32_e32 v87, 0x7f800001
	s_mov_b32 s21, exec_lo
	v_cmpx_ne_u32_e32 0x7f, v2
	s_cbranch_execz .LBB342_79
; %bb.76:                               ;   in Loop: Header=BB342_9 Depth=1
	v_and_b32_e32 v125, 7, v0
	v_lshrrev_b32_e32 v1, 3, v2
	s_mov_b32 s22, exec_lo
	v_mov_b32_e32 v26, v125
	v_mov_b32_e32 v27, v126
	v_cmpx_gt_u32_e32 8, v2
; %bb.77:                               ;   in Loop: Header=BB342_9 Depth=1
	v_ffbh_u32_e32 v1, v125
	v_min_u32_e32 v1, 32, v1
	v_subrev_nc_u32_e32 v2, 28, v1
	v_sub_nc_u32_e32 v1, 29, v1
	v_lshlrev_b64 v[2:3], v2, v[125:126]
	v_and_b32_e32 v26, 7, v2
; %bb.78:                               ;   in Loop: Header=BB342_9 Depth=1
	s_or_b32 exec_lo, exec_lo, s22
	v_lshlrev_b32_e32 v2, 24, v0
	v_lshlrev_b32_e32 v3, 20, v26
	v_lshl_add_u32 v1, v1, 23, 0x3c000000
	v_and_b32_e32 v2, 0x80000000, v2
	v_or3_b32 v87, v3, v2, v1
.LBB342_79:                             ;   in Loop: Header=BB342_9 Depth=1
	s_or_b32 exec_lo, exec_lo, s21
.LBB342_80:                             ;   in Loop: Header=BB342_9 Depth=1
	s_or_b32 exec_lo, exec_lo, s20
.LBB342_81:                             ;   in Loop: Header=BB342_9 Depth=1
	s_or_b32 exec_lo, exec_lo, s17
	v_cmp_ne_u16_sdwa s7, v0, v126 src0_sel:BYTE_1 src1_sel:DWORD
	s_and_saveexec_b32 s17, s7
	s_cbranch_execz .LBB342_89
; %bb.82:                               ;   in Loop: Header=BB342_9 Depth=1
	v_mov_b32_e32 v1, 0x80
	v_bfrev_b32_e32 v32, 1
	v_cmp_ne_u16_sdwa s7, v0, v1 src0_sel:BYTE_1 src1_sel:DWORD
	s_and_saveexec_b32 s20, s7
	s_cbranch_execz .LBB342_88
; %bb.83:                               ;   in Loop: Header=BB342_9 Depth=1
	v_mov_b32_e32 v1, 0xffff
	v_mov_b32_e32 v32, 0x7f800001
	s_mov_b32 s21, exec_lo
	v_and_b32_sdwa v1, v1, v0 dst_sel:DWORD dst_unused:UNUSED_PAD src0_sel:DWORD src1_sel:BYTE_1
	v_and_b32_e32 v2, 0x7f, v1
	v_cmpx_ne_u32_e32 0x7f, v2
	s_cbranch_execz .LBB342_87
; %bb.84:                               ;   in Loop: Header=BB342_9 Depth=1
	v_and_b32_e32 v125, 7, v1
	v_lshrrev_b32_e32 v1, 3, v2
	s_mov_b32 s22, exec_lo
	v_mov_b32_e32 v26, v125
	v_mov_b32_e32 v27, v126
	v_cmpx_gt_u32_e32 8, v2
; %bb.85:                               ;   in Loop: Header=BB342_9 Depth=1
	v_ffbh_u32_e32 v1, v125
	v_min_u32_e32 v1, 32, v1
	v_subrev_nc_u32_e32 v2, 28, v1
	v_sub_nc_u32_e32 v1, 29, v1
	v_lshlrev_b64 v[2:3], v2, v[125:126]
	v_and_b32_e32 v26, 7, v2
; %bb.86:                               ;   in Loop: Header=BB342_9 Depth=1
	s_or_b32 exec_lo, exec_lo, s22
	v_lshlrev_b32_e32 v2, 16, v0
	v_lshlrev_b32_e32 v3, 20, v26
	v_lshl_add_u32 v1, v1, 23, 0x3c000000
	v_and_b32_e32 v2, 0x80000000, v2
	v_or3_b32 v32, v3, v2, v1
.LBB342_87:                             ;   in Loop: Header=BB342_9 Depth=1
	s_or_b32 exec_lo, exec_lo, s21
.LBB342_88:                             ;   in Loop: Header=BB342_9 Depth=1
	s_or_b32 exec_lo, exec_lo, s20
.LBB342_89:                             ;   in Loop: Header=BB342_9 Depth=1
	s_or_b32 exec_lo, exec_lo, s17
	v_mov_b32_e32 v1, 0xff
	v_mov_b32_e32 v2, 0
	s_mov_b32 s17, exec_lo
	v_and_b32_sdwa v1, v0, v1 dst_sel:DWORD dst_unused:UNUSED_PAD src0_sel:WORD_1 src1_sel:DWORD
	buffer_store_dword v2, off, s[0:3], s32 offset:208 ; 4-byte Folded Spill
	v_mov_b32_e32 v2, 0
	buffer_store_dword v2, off, s[0:3], s32 offset:240 ; 4-byte Folded Spill
	v_cmpx_ne_u16_e32 0, v1
	s_cbranch_execz .LBB342_97
; %bb.90:                               ;   in Loop: Header=BB342_9 Depth=1
	v_cmp_ne_u16_e64 s7, 0x80, v1
	v_bfrev_b32_e32 v1, 1
	s_and_saveexec_b32 s20, s7
	s_cbranch_execz .LBB342_96
; %bb.91:                               ;   in Loop: Header=BB342_9 Depth=1
	v_bfe_u32 v2, v0, 16, 7
	v_mov_b32_e32 v1, 0x7f800001
	s_mov_b32 s21, exec_lo
	v_cmpx_ne_u32_e32 0x7f, v2
	s_cbranch_execz .LBB342_95
; %bb.92:                               ;   in Loop: Header=BB342_9 Depth=1
	v_mov_b32_e32 v1, 7
	s_mov_b32 s22, exec_lo
	v_and_b32_sdwa v125, v0, v1 dst_sel:DWORD dst_unused:UNUSED_PAD src0_sel:WORD_1 src1_sel:DWORD
	v_lshrrev_b32_e32 v1, 3, v2
	v_mov_b32_e32 v26, v125
	v_mov_b32_e32 v27, v126
	v_cmpx_gt_u32_e32 8, v2
; %bb.93:                               ;   in Loop: Header=BB342_9 Depth=1
	v_ffbh_u32_e32 v1, v125
	v_min_u32_e32 v1, 32, v1
	v_subrev_nc_u32_e32 v2, 28, v1
	v_sub_nc_u32_e32 v1, 29, v1
	v_lshlrev_b64 v[2:3], v2, v[125:126]
	v_and_b32_e32 v26, 7, v2
; %bb.94:                               ;   in Loop: Header=BB342_9 Depth=1
	s_or_b32 exec_lo, exec_lo, s22
	v_mov_b32_e32 v2, 24
	v_lshlrev_b32_e32 v3, 20, v26
	v_lshl_add_u32 v1, v1, 23, 0x3c000000
	v_lshlrev_b32_sdwa v2, v2, v0 dst_sel:DWORD dst_unused:UNUSED_PAD src0_sel:DWORD src1_sel:WORD_1
	v_and_b32_e32 v2, 0x80000000, v2
	v_or3_b32 v1, v3, v2, v1
.LBB342_95:                             ;   in Loop: Header=BB342_9 Depth=1
	s_or_b32 exec_lo, exec_lo, s21
.LBB342_96:                             ;   in Loop: Header=BB342_9 Depth=1
	s_or_b32 exec_lo, exec_lo, s20
	buffer_store_dword v1, off, s[0:3], s32 offset:240 ; 4-byte Folded Spill
.LBB342_97:                             ;   in Loop: Header=BB342_9 Depth=1
	s_or_b32 exec_lo, exec_lo, s17
	s_mov_b32 s17, exec_lo
	v_cmpx_lt_u32_e32 0xffffff, v0
	s_cbranch_execz .LBB342_105
; %bb.98:                               ;   in Loop: Header=BB342_9 Depth=1
	v_mov_b32_e32 v1, 0x80
	v_cmp_ne_u32_sdwa s7, v0, v1 src0_sel:BYTE_3 src1_sel:DWORD
	v_bfrev_b32_e32 v1, 1
	buffer_store_dword v1, off, s[0:3], s32 offset:208 ; 4-byte Folded Spill
	s_and_saveexec_b32 s20, s7
	s_cbranch_execz .LBB342_104
; %bb.99:                               ;   in Loop: Header=BB342_9 Depth=1
	v_bfe_u32 v2, v0, 24, 7
	v_mov_b32_e32 v1, 0x7f800001
	s_mov_b32 s21, exec_lo
	buffer_store_dword v1, off, s[0:3], s32 offset:208 ; 4-byte Folded Spill
	v_cmpx_ne_u32_e32 0x7f, v2
	s_cbranch_execz .LBB342_103
; %bb.100:                              ;   in Loop: Header=BB342_9 Depth=1
	v_mov_b32_e32 v1, 7
	s_mov_b32 s22, exec_lo
	v_and_b32_sdwa v125, v0, v1 dst_sel:DWORD dst_unused:UNUSED_PAD src0_sel:BYTE_3 src1_sel:DWORD
	v_lshrrev_b32_e32 v1, 3, v2
	v_mov_b32_e32 v26, v125
	v_mov_b32_e32 v27, v126
	v_cmpx_gt_u32_e32 8, v2
; %bb.101:                              ;   in Loop: Header=BB342_9 Depth=1
	v_ffbh_u32_e32 v1, v125
	v_min_u32_e32 v1, 32, v1
	v_subrev_nc_u32_e32 v2, 28, v1
	v_sub_nc_u32_e32 v1, 29, v1
	v_lshlrev_b64 v[2:3], v2, v[125:126]
	v_and_b32_e32 v26, 7, v2
; %bb.102:                              ;   in Loop: Header=BB342_9 Depth=1
	s_or_b32 exec_lo, exec_lo, s22
	v_mov_b32_e32 v2, 24
	v_lshl_add_u32 v1, v1, 23, 0x3c000000
	v_lshlrev_b32_sdwa v0, v2, v0 dst_sel:DWORD dst_unused:UNUSED_PAD src0_sel:DWORD src1_sel:BYTE_3
	v_lshlrev_b32_e32 v2, 20, v26
	v_and_b32_e32 v0, 0x80000000, v0
	v_or3_b32 v0, v2, v0, v1
	buffer_store_dword v0, off, s[0:3], s32 offset:208 ; 4-byte Folded Spill
.LBB342_103:                            ;   in Loop: Header=BB342_9 Depth=1
	s_or_b32 exec_lo, exec_lo, s21
.LBB342_104:                            ;   in Loop: Header=BB342_9 Depth=1
	s_or_b32 exec_lo, exec_lo, s20
.LBB342_105:                            ;   in Loop: Header=BB342_9 Depth=1
	s_or_b32 exec_lo, exec_lo, s17
	flat_load_dword v0, v[24:25] offset:264
	v_mov_b32_e32 v1, 0
	v_mov_b32_e32 v97, 0
	buffer_store_dword v1, off, s[0:3], s32 offset:212 ; 4-byte Folded Spill
	s_waitcnt vmcnt(0) lgkmcnt(0)
	v_cmp_ne_u16_sdwa s7, v0, v126 src0_sel:BYTE_0 src1_sel:DWORD
	s_and_saveexec_b32 s17, s7
	s_cbranch_execz .LBB342_113
; %bb.106:                              ;   in Loop: Header=BB342_9 Depth=1
	v_mov_b32_e32 v1, 0x80
	v_bfrev_b32_e32 v97, 1
	v_cmp_ne_u16_sdwa s7, v0, v1 src0_sel:BYTE_0 src1_sel:DWORD
	s_and_saveexec_b32 s20, s7
	s_cbranch_execz .LBB342_112
; %bb.107:                              ;   in Loop: Header=BB342_9 Depth=1
	v_and_b32_e32 v2, 0x7f, v0
	v_mov_b32_e32 v97, 0x7f800001
	s_mov_b32 s21, exec_lo
	v_cmpx_ne_u32_e32 0x7f, v2
	s_cbranch_execz .LBB342_111
; %bb.108:                              ;   in Loop: Header=BB342_9 Depth=1
	v_and_b32_e32 v125, 7, v0
	v_lshrrev_b32_e32 v1, 3, v2
	s_mov_b32 s22, exec_lo
	v_mov_b32_e32 v26, v125
	v_mov_b32_e32 v27, v126
	v_cmpx_gt_u32_e32 8, v2
; %bb.109:                              ;   in Loop: Header=BB342_9 Depth=1
	v_ffbh_u32_e32 v1, v125
	v_min_u32_e32 v1, 32, v1
	v_subrev_nc_u32_e32 v2, 28, v1
	v_sub_nc_u32_e32 v1, 29, v1
	v_lshlrev_b64 v[2:3], v2, v[125:126]
	v_and_b32_e32 v26, 7, v2
; %bb.110:                              ;   in Loop: Header=BB342_9 Depth=1
	s_or_b32 exec_lo, exec_lo, s22
	v_lshlrev_b32_e32 v2, 24, v0
	v_lshlrev_b32_e32 v3, 20, v26
	v_lshl_add_u32 v1, v1, 23, 0x3c000000
	v_and_b32_e32 v2, 0x80000000, v2
	v_or3_b32 v97, v3, v2, v1
.LBB342_111:                            ;   in Loop: Header=BB342_9 Depth=1
	s_or_b32 exec_lo, exec_lo, s21
.LBB342_112:                            ;   in Loop: Header=BB342_9 Depth=1
	s_or_b32 exec_lo, exec_lo, s20
.LBB342_113:                            ;   in Loop: Header=BB342_9 Depth=1
	s_or_b32 exec_lo, exec_lo, s17
	v_cmp_ne_u16_sdwa s7, v0, v126 src0_sel:BYTE_1 src1_sel:DWORD
	s_and_saveexec_b32 s17, s7
	s_cbranch_execz .LBB342_121
; %bb.114:                              ;   in Loop: Header=BB342_9 Depth=1
	v_mov_b32_e32 v1, 0x80
	v_cmp_ne_u16_sdwa s7, v0, v1 src0_sel:BYTE_1 src1_sel:DWORD
	v_bfrev_b32_e32 v1, 1
	buffer_store_dword v1, off, s[0:3], s32 offset:212 ; 4-byte Folded Spill
	s_and_saveexec_b32 s20, s7
	s_cbranch_execz .LBB342_120
; %bb.115:                              ;   in Loop: Header=BB342_9 Depth=1
	v_mov_b32_e32 v1, 0xffff
	v_mov_b32_e32 v3, 0x7f800001
	s_mov_b32 s21, exec_lo
	v_and_b32_sdwa v1, v1, v0 dst_sel:DWORD dst_unused:UNUSED_PAD src0_sel:DWORD src1_sel:BYTE_1
	buffer_store_dword v3, off, s[0:3], s32 offset:212 ; 4-byte Folded Spill
	v_and_b32_e32 v2, 0x7f, v1
	v_cmpx_ne_u32_e32 0x7f, v2
	s_cbranch_execz .LBB342_119
; %bb.116:                              ;   in Loop: Header=BB342_9 Depth=1
	v_and_b32_e32 v125, 7, v1
	v_lshrrev_b32_e32 v1, 3, v2
	s_mov_b32 s22, exec_lo
	v_mov_b32_e32 v26, v125
	v_mov_b32_e32 v27, v126
	v_cmpx_gt_u32_e32 8, v2
; %bb.117:                              ;   in Loop: Header=BB342_9 Depth=1
	v_ffbh_u32_e32 v1, v125
	v_min_u32_e32 v1, 32, v1
	v_subrev_nc_u32_e32 v2, 28, v1
	v_sub_nc_u32_e32 v1, 29, v1
	v_lshlrev_b64 v[2:3], v2, v[125:126]
	v_and_b32_e32 v26, 7, v2
; %bb.118:                              ;   in Loop: Header=BB342_9 Depth=1
	s_or_b32 exec_lo, exec_lo, s22
	v_lshlrev_b32_e32 v2, 16, v0
	v_lshlrev_b32_e32 v3, 20, v26
	v_lshl_add_u32 v1, v1, 23, 0x3c000000
	v_and_b32_e32 v2, 0x80000000, v2
	v_or3_b32 v1, v3, v2, v1
	buffer_store_dword v1, off, s[0:3], s32 offset:212 ; 4-byte Folded Spill
.LBB342_119:                            ;   in Loop: Header=BB342_9 Depth=1
	s_or_b32 exec_lo, exec_lo, s21
.LBB342_120:                            ;   in Loop: Header=BB342_9 Depth=1
	s_or_b32 exec_lo, exec_lo, s20
.LBB342_121:                            ;   in Loop: Header=BB342_9 Depth=1
	s_or_b32 exec_lo, exec_lo, s17
	v_mov_b32_e32 v1, 0xff
	v_mov_b32_e32 v2, 0
	s_mov_b32 s17, exec_lo
	v_and_b32_sdwa v1, v0, v1 dst_sel:DWORD dst_unused:UNUSED_PAD src0_sel:WORD_1 src1_sel:DWORD
	buffer_store_dword v2, off, s[0:3], s32 offset:216 ; 4-byte Folded Spill
	v_mov_b32_e32 v2, 0
	buffer_store_dword v2, off, s[0:3], s32 offset:244 ; 4-byte Folded Spill
	v_cmpx_ne_u16_e32 0, v1
	s_cbranch_execz .LBB342_129
; %bb.122:                              ;   in Loop: Header=BB342_9 Depth=1
	v_cmp_ne_u16_e64 s7, 0x80, v1
	v_bfrev_b32_e32 v1, 1
	s_and_saveexec_b32 s20, s7
	s_cbranch_execz .LBB342_128
; %bb.123:                              ;   in Loop: Header=BB342_9 Depth=1
	v_bfe_u32 v2, v0, 16, 7
	v_mov_b32_e32 v1, 0x7f800001
	s_mov_b32 s21, exec_lo
	v_cmpx_ne_u32_e32 0x7f, v2
	s_cbranch_execz .LBB342_127
; %bb.124:                              ;   in Loop: Header=BB342_9 Depth=1
	v_mov_b32_e32 v1, 7
	s_mov_b32 s22, exec_lo
	v_and_b32_sdwa v125, v0, v1 dst_sel:DWORD dst_unused:UNUSED_PAD src0_sel:WORD_1 src1_sel:DWORD
	v_lshrrev_b32_e32 v1, 3, v2
	v_mov_b32_e32 v26, v125
	v_mov_b32_e32 v27, v126
	v_cmpx_gt_u32_e32 8, v2
; %bb.125:                              ;   in Loop: Header=BB342_9 Depth=1
	v_ffbh_u32_e32 v1, v125
	v_min_u32_e32 v1, 32, v1
	v_subrev_nc_u32_e32 v2, 28, v1
	v_sub_nc_u32_e32 v1, 29, v1
	v_lshlrev_b64 v[2:3], v2, v[125:126]
	v_and_b32_e32 v26, 7, v2
; %bb.126:                              ;   in Loop: Header=BB342_9 Depth=1
	s_or_b32 exec_lo, exec_lo, s22
	v_mov_b32_e32 v2, 24
	v_lshlrev_b32_e32 v3, 20, v26
	v_lshl_add_u32 v1, v1, 23, 0x3c000000
	v_lshlrev_b32_sdwa v2, v2, v0 dst_sel:DWORD dst_unused:UNUSED_PAD src0_sel:DWORD src1_sel:WORD_1
	v_and_b32_e32 v2, 0x80000000, v2
	v_or3_b32 v1, v3, v2, v1
.LBB342_127:                            ;   in Loop: Header=BB342_9 Depth=1
	s_or_b32 exec_lo, exec_lo, s21
.LBB342_128:                            ;   in Loop: Header=BB342_9 Depth=1
	s_or_b32 exec_lo, exec_lo, s20
	buffer_store_dword v1, off, s[0:3], s32 offset:244 ; 4-byte Folded Spill
.LBB342_129:                            ;   in Loop: Header=BB342_9 Depth=1
	s_or_b32 exec_lo, exec_lo, s17
	s_mov_b32 s17, exec_lo
	v_cmpx_lt_u32_e32 0xffffff, v0
	s_cbranch_execz .LBB342_137
; %bb.130:                              ;   in Loop: Header=BB342_9 Depth=1
	v_mov_b32_e32 v1, 0x80
	v_cmp_ne_u32_sdwa s7, v0, v1 src0_sel:BYTE_3 src1_sel:DWORD
	v_bfrev_b32_e32 v1, 1
	buffer_store_dword v1, off, s[0:3], s32 offset:216 ; 4-byte Folded Spill
	s_and_saveexec_b32 s20, s7
	s_cbranch_execz .LBB342_136
; %bb.131:                              ;   in Loop: Header=BB342_9 Depth=1
	v_bfe_u32 v2, v0, 24, 7
	v_mov_b32_e32 v1, 0x7f800001
	s_mov_b32 s21, exec_lo
	buffer_store_dword v1, off, s[0:3], s32 offset:216 ; 4-byte Folded Spill
	v_cmpx_ne_u32_e32 0x7f, v2
	s_cbranch_execz .LBB342_135
; %bb.132:                              ;   in Loop: Header=BB342_9 Depth=1
	v_mov_b32_e32 v1, 7
	s_mov_b32 s22, exec_lo
	v_and_b32_sdwa v125, v0, v1 dst_sel:DWORD dst_unused:UNUSED_PAD src0_sel:BYTE_3 src1_sel:DWORD
	v_lshrrev_b32_e32 v1, 3, v2
	v_mov_b32_e32 v26, v125
	v_mov_b32_e32 v27, v126
	v_cmpx_gt_u32_e32 8, v2
; %bb.133:                              ;   in Loop: Header=BB342_9 Depth=1
	v_ffbh_u32_e32 v1, v125
	v_min_u32_e32 v1, 32, v1
	v_subrev_nc_u32_e32 v2, 28, v1
	v_sub_nc_u32_e32 v1, 29, v1
	v_lshlrev_b64 v[2:3], v2, v[125:126]
	v_and_b32_e32 v26, 7, v2
; %bb.134:                              ;   in Loop: Header=BB342_9 Depth=1
	s_or_b32 exec_lo, exec_lo, s22
	v_mov_b32_e32 v2, 24
	v_lshl_add_u32 v1, v1, 23, 0x3c000000
	v_lshlrev_b32_sdwa v0, v2, v0 dst_sel:DWORD dst_unused:UNUSED_PAD src0_sel:DWORD src1_sel:BYTE_3
	v_lshlrev_b32_e32 v2, 20, v26
	v_and_b32_e32 v0, 0x80000000, v0
	v_or3_b32 v0, v2, v0, v1
	buffer_store_dword v0, off, s[0:3], s32 offset:216 ; 4-byte Folded Spill
.LBB342_135:                            ;   in Loop: Header=BB342_9 Depth=1
	s_or_b32 exec_lo, exec_lo, s21
.LBB342_136:                            ;   in Loop: Header=BB342_9 Depth=1
	s_or_b32 exec_lo, exec_lo, s20
.LBB342_137:                            ;   in Loop: Header=BB342_9 Depth=1
	s_or_b32 exec_lo, exec_lo, s17
	flat_load_dword v0, v[24:25] offset:512
	v_mov_b32_e32 v1, 0
	buffer_store_dword v1, off, s[0:3], s32 offset:224 ; 4-byte Folded Spill
	v_mov_b32_e32 v1, 0
	buffer_store_dword v1, off, s[0:3], s32 offset:220 ; 4-byte Folded Spill
	s_waitcnt vmcnt(0) lgkmcnt(0)
	v_cmp_ne_u16_sdwa s7, v0, v126 src0_sel:BYTE_0 src1_sel:DWORD
	s_and_saveexec_b32 s17, s7
	s_cbranch_execz .LBB342_145
; %bb.138:                              ;   in Loop: Header=BB342_9 Depth=1
	v_mov_b32_e32 v1, 0x80
	v_cmp_ne_u16_sdwa s7, v0, v1 src0_sel:BYTE_0 src1_sel:DWORD
	v_bfrev_b32_e32 v1, 1
	buffer_store_dword v1, off, s[0:3], s32 offset:220 ; 4-byte Folded Spill
	s_and_saveexec_b32 s20, s7
	s_cbranch_execz .LBB342_144
; %bb.139:                              ;   in Loop: Header=BB342_9 Depth=1
	v_and_b32_e32 v2, 0x7f, v0
	v_mov_b32_e32 v1, 0x7f800001
	s_mov_b32 s21, exec_lo
	buffer_store_dword v1, off, s[0:3], s32 offset:220 ; 4-byte Folded Spill
	v_cmpx_ne_u32_e32 0x7f, v2
	s_cbranch_execz .LBB342_143
; %bb.140:                              ;   in Loop: Header=BB342_9 Depth=1
	v_and_b32_e32 v125, 7, v0
	v_lshrrev_b32_e32 v1, 3, v2
	s_mov_b32 s22, exec_lo
	v_mov_b32_e32 v26, v125
	v_mov_b32_e32 v27, v126
	v_cmpx_gt_u32_e32 8, v2
; %bb.141:                              ;   in Loop: Header=BB342_9 Depth=1
	v_ffbh_u32_e32 v1, v125
	v_min_u32_e32 v1, 32, v1
	v_subrev_nc_u32_e32 v2, 28, v1
	v_sub_nc_u32_e32 v1, 29, v1
	v_lshlrev_b64 v[2:3], v2, v[125:126]
	v_and_b32_e32 v26, 7, v2
; %bb.142:                              ;   in Loop: Header=BB342_9 Depth=1
	s_or_b32 exec_lo, exec_lo, s22
	v_lshlrev_b32_e32 v2, 24, v0
	v_lshlrev_b32_e32 v3, 20, v26
	v_lshl_add_u32 v1, v1, 23, 0x3c000000
	v_and_b32_e32 v2, 0x80000000, v2
	v_or3_b32 v1, v3, v2, v1
	buffer_store_dword v1, off, s[0:3], s32 offset:220 ; 4-byte Folded Spill
.LBB342_143:                            ;   in Loop: Header=BB342_9 Depth=1
	s_or_b32 exec_lo, exec_lo, s21
.LBB342_144:                            ;   in Loop: Header=BB342_9 Depth=1
	s_or_b32 exec_lo, exec_lo, s20
.LBB342_145:                            ;   in Loop: Header=BB342_9 Depth=1
	s_or_b32 exec_lo, exec_lo, s17
	v_cmp_ne_u16_sdwa s7, v0, v126 src0_sel:BYTE_1 src1_sel:DWORD
	s_and_saveexec_b32 s17, s7
	s_cbranch_execz .LBB342_153
; %bb.146:                              ;   in Loop: Header=BB342_9 Depth=1
	v_mov_b32_e32 v1, 0x80
	v_cmp_ne_u16_sdwa s7, v0, v1 src0_sel:BYTE_1 src1_sel:DWORD
	v_bfrev_b32_e32 v1, 1
	buffer_store_dword v1, off, s[0:3], s32 offset:224 ; 4-byte Folded Spill
	s_and_saveexec_b32 s20, s7
	s_cbranch_execz .LBB342_152
; %bb.147:                              ;   in Loop: Header=BB342_9 Depth=1
	v_mov_b32_e32 v1, 0xffff
	v_mov_b32_e32 v3, 0x7f800001
	s_mov_b32 s21, exec_lo
	v_and_b32_sdwa v1, v1, v0 dst_sel:DWORD dst_unused:UNUSED_PAD src0_sel:DWORD src1_sel:BYTE_1
	buffer_store_dword v3, off, s[0:3], s32 offset:224 ; 4-byte Folded Spill
	v_and_b32_e32 v2, 0x7f, v1
	v_cmpx_ne_u32_e32 0x7f, v2
	s_cbranch_execz .LBB342_151
; %bb.148:                              ;   in Loop: Header=BB342_9 Depth=1
	v_and_b32_e32 v125, 7, v1
	v_lshrrev_b32_e32 v1, 3, v2
	s_mov_b32 s22, exec_lo
	v_mov_b32_e32 v26, v125
	v_mov_b32_e32 v27, v126
	v_cmpx_gt_u32_e32 8, v2
; %bb.149:                              ;   in Loop: Header=BB342_9 Depth=1
	v_ffbh_u32_e32 v1, v125
	v_min_u32_e32 v1, 32, v1
	v_subrev_nc_u32_e32 v2, 28, v1
	v_sub_nc_u32_e32 v1, 29, v1
	v_lshlrev_b64 v[2:3], v2, v[125:126]
	v_and_b32_e32 v26, 7, v2
; %bb.150:                              ;   in Loop: Header=BB342_9 Depth=1
	s_or_b32 exec_lo, exec_lo, s22
	v_lshlrev_b32_e32 v2, 16, v0
	v_lshlrev_b32_e32 v3, 20, v26
	v_lshl_add_u32 v1, v1, 23, 0x3c000000
	v_and_b32_e32 v2, 0x80000000, v2
	v_or3_b32 v1, v3, v2, v1
	buffer_store_dword v1, off, s[0:3], s32 offset:224 ; 4-byte Folded Spill
.LBB342_151:                            ;   in Loop: Header=BB342_9 Depth=1
	s_or_b32 exec_lo, exec_lo, s21
.LBB342_152:                            ;   in Loop: Header=BB342_9 Depth=1
	s_or_b32 exec_lo, exec_lo, s20
.LBB342_153:                            ;   in Loop: Header=BB342_9 Depth=1
	s_or_b32 exec_lo, exec_lo, s17
	v_mov_b32_e32 v1, 0xff
	v_mov_b32_e32 v2, 0
	s_mov_b32 s17, exec_lo
	v_and_b32_sdwa v1, v0, v1 dst_sel:DWORD dst_unused:UNUSED_PAD src0_sel:WORD_1 src1_sel:DWORD
	buffer_store_dword v2, off, s[0:3], s32 offset:228 ; 4-byte Folded Spill
	v_mov_b32_e32 v2, 0
	buffer_store_dword v2, off, s[0:3], s32 offset:248 ; 4-byte Folded Spill
	v_cmpx_ne_u16_e32 0, v1
	s_cbranch_execz .LBB342_161
; %bb.154:                              ;   in Loop: Header=BB342_9 Depth=1
	v_cmp_ne_u16_e64 s7, 0x80, v1
	v_bfrev_b32_e32 v1, 1
	s_and_saveexec_b32 s20, s7
	s_cbranch_execz .LBB342_160
; %bb.155:                              ;   in Loop: Header=BB342_9 Depth=1
	v_bfe_u32 v2, v0, 16, 7
	v_mov_b32_e32 v1, 0x7f800001
	s_mov_b32 s21, exec_lo
	v_cmpx_ne_u32_e32 0x7f, v2
	s_cbranch_execz .LBB342_159
; %bb.156:                              ;   in Loop: Header=BB342_9 Depth=1
	v_mov_b32_e32 v1, 7
	s_mov_b32 s22, exec_lo
	v_and_b32_sdwa v125, v0, v1 dst_sel:DWORD dst_unused:UNUSED_PAD src0_sel:WORD_1 src1_sel:DWORD
	v_lshrrev_b32_e32 v1, 3, v2
	v_mov_b32_e32 v26, v125
	v_mov_b32_e32 v27, v126
	v_cmpx_gt_u32_e32 8, v2
; %bb.157:                              ;   in Loop: Header=BB342_9 Depth=1
	v_ffbh_u32_e32 v1, v125
	v_min_u32_e32 v1, 32, v1
	v_subrev_nc_u32_e32 v2, 28, v1
	v_sub_nc_u32_e32 v1, 29, v1
	v_lshlrev_b64 v[2:3], v2, v[125:126]
	v_and_b32_e32 v26, 7, v2
; %bb.158:                              ;   in Loop: Header=BB342_9 Depth=1
	s_or_b32 exec_lo, exec_lo, s22
	v_mov_b32_e32 v2, 24
	v_lshlrev_b32_e32 v3, 20, v26
	v_lshl_add_u32 v1, v1, 23, 0x3c000000
	v_lshlrev_b32_sdwa v2, v2, v0 dst_sel:DWORD dst_unused:UNUSED_PAD src0_sel:DWORD src1_sel:WORD_1
	v_and_b32_e32 v2, 0x80000000, v2
	v_or3_b32 v1, v3, v2, v1
.LBB342_159:                            ;   in Loop: Header=BB342_9 Depth=1
	s_or_b32 exec_lo, exec_lo, s21
.LBB342_160:                            ;   in Loop: Header=BB342_9 Depth=1
	s_or_b32 exec_lo, exec_lo, s20
	buffer_store_dword v1, off, s[0:3], s32 offset:248 ; 4-byte Folded Spill
.LBB342_161:                            ;   in Loop: Header=BB342_9 Depth=1
	s_or_b32 exec_lo, exec_lo, s17
	s_mov_b32 s17, exec_lo
	v_cmpx_lt_u32_e32 0xffffff, v0
	s_cbranch_execz .LBB342_169
; %bb.162:                              ;   in Loop: Header=BB342_9 Depth=1
	v_mov_b32_e32 v1, 0x80
	v_cmp_ne_u32_sdwa s7, v0, v1 src0_sel:BYTE_3 src1_sel:DWORD
	v_bfrev_b32_e32 v1, 1
	buffer_store_dword v1, off, s[0:3], s32 offset:228 ; 4-byte Folded Spill
	s_and_saveexec_b32 s20, s7
	s_cbranch_execz .LBB342_168
; %bb.163:                              ;   in Loop: Header=BB342_9 Depth=1
	v_bfe_u32 v2, v0, 24, 7
	v_mov_b32_e32 v1, 0x7f800001
	s_mov_b32 s21, exec_lo
	buffer_store_dword v1, off, s[0:3], s32 offset:228 ; 4-byte Folded Spill
	v_cmpx_ne_u32_e32 0x7f, v2
	s_cbranch_execz .LBB342_167
; %bb.164:                              ;   in Loop: Header=BB342_9 Depth=1
	v_mov_b32_e32 v1, 7
	s_mov_b32 s22, exec_lo
	v_and_b32_sdwa v125, v0, v1 dst_sel:DWORD dst_unused:UNUSED_PAD src0_sel:BYTE_3 src1_sel:DWORD
	v_lshrrev_b32_e32 v1, 3, v2
	v_mov_b32_e32 v26, v125
	v_mov_b32_e32 v27, v126
	v_cmpx_gt_u32_e32 8, v2
; %bb.165:                              ;   in Loop: Header=BB342_9 Depth=1
	v_ffbh_u32_e32 v1, v125
	v_min_u32_e32 v1, 32, v1
	v_subrev_nc_u32_e32 v2, 28, v1
	v_sub_nc_u32_e32 v1, 29, v1
	v_lshlrev_b64 v[2:3], v2, v[125:126]
	v_and_b32_e32 v26, 7, v2
; %bb.166:                              ;   in Loop: Header=BB342_9 Depth=1
	s_or_b32 exec_lo, exec_lo, s22
	v_mov_b32_e32 v2, 24
	v_lshl_add_u32 v1, v1, 23, 0x3c000000
	v_lshlrev_b32_sdwa v0, v2, v0 dst_sel:DWORD dst_unused:UNUSED_PAD src0_sel:DWORD src1_sel:BYTE_3
	v_lshlrev_b32_e32 v2, 20, v26
	v_and_b32_e32 v0, 0x80000000, v0
	v_or3_b32 v0, v2, v0, v1
	buffer_store_dword v0, off, s[0:3], s32 offset:228 ; 4-byte Folded Spill
.LBB342_167:                            ;   in Loop: Header=BB342_9 Depth=1
	s_or_b32 exec_lo, exec_lo, s21
.LBB342_168:                            ;   in Loop: Header=BB342_9 Depth=1
	s_or_b32 exec_lo, exec_lo, s20
.LBB342_169:                            ;   in Loop: Header=BB342_9 Depth=1
	s_or_b32 exec_lo, exec_lo, s17
	flat_load_dword v0, v[24:25] offset:520
	v_mov_b32_e32 v56, 0
	v_mov_b32_e32 v47, 0
	s_waitcnt vmcnt(0) lgkmcnt(0)
	v_cmp_ne_u16_sdwa s7, v0, v126 src0_sel:BYTE_0 src1_sel:DWORD
	s_and_saveexec_b32 s17, s7
	s_cbranch_execz .LBB342_177
; %bb.170:                              ;   in Loop: Header=BB342_9 Depth=1
	v_mov_b32_e32 v1, 0x80
	v_bfrev_b32_e32 v47, 1
	v_cmp_ne_u16_sdwa s7, v0, v1 src0_sel:BYTE_0 src1_sel:DWORD
	s_and_saveexec_b32 s20, s7
	s_cbranch_execz .LBB342_176
; %bb.171:                              ;   in Loop: Header=BB342_9 Depth=1
	v_and_b32_e32 v2, 0x7f, v0
	v_mov_b32_e32 v47, 0x7f800001
	s_mov_b32 s21, exec_lo
	v_cmpx_ne_u32_e32 0x7f, v2
	s_cbranch_execz .LBB342_175
; %bb.172:                              ;   in Loop: Header=BB342_9 Depth=1
	v_and_b32_e32 v125, 7, v0
	v_lshrrev_b32_e32 v1, 3, v2
	s_mov_b32 s22, exec_lo
	v_mov_b32_e32 v26, v125
	v_mov_b32_e32 v27, v126
	v_cmpx_gt_u32_e32 8, v2
; %bb.173:                              ;   in Loop: Header=BB342_9 Depth=1
	v_ffbh_u32_e32 v1, v125
	v_min_u32_e32 v1, 32, v1
	v_subrev_nc_u32_e32 v2, 28, v1
	v_sub_nc_u32_e32 v1, 29, v1
	v_lshlrev_b64 v[2:3], v2, v[125:126]
	v_and_b32_e32 v26, 7, v2
; %bb.174:                              ;   in Loop: Header=BB342_9 Depth=1
	s_or_b32 exec_lo, exec_lo, s22
	v_lshlrev_b32_e32 v2, 24, v0
	v_lshlrev_b32_e32 v3, 20, v26
	v_lshl_add_u32 v1, v1, 23, 0x3c000000
	v_and_b32_e32 v2, 0x80000000, v2
	v_or3_b32 v47, v3, v2, v1
.LBB342_175:                            ;   in Loop: Header=BB342_9 Depth=1
	s_or_b32 exec_lo, exec_lo, s21
.LBB342_176:                            ;   in Loop: Header=BB342_9 Depth=1
	s_or_b32 exec_lo, exec_lo, s20
.LBB342_177:                            ;   in Loop: Header=BB342_9 Depth=1
	s_or_b32 exec_lo, exec_lo, s17
	v_cmp_ne_u16_sdwa s7, v0, v126 src0_sel:BYTE_1 src1_sel:DWORD
	s_and_saveexec_b32 s17, s7
	s_cbranch_execz .LBB342_185
; %bb.178:                              ;   in Loop: Header=BB342_9 Depth=1
	v_mov_b32_e32 v1, 0x80
	v_bfrev_b32_e32 v56, 1
	v_cmp_ne_u16_sdwa s7, v0, v1 src0_sel:BYTE_1 src1_sel:DWORD
	s_and_saveexec_b32 s20, s7
	s_cbranch_execz .LBB342_184
; %bb.179:                              ;   in Loop: Header=BB342_9 Depth=1
	v_mov_b32_e32 v1, 0xffff
	v_mov_b32_e32 v56, 0x7f800001
	s_mov_b32 s21, exec_lo
	v_and_b32_sdwa v1, v1, v0 dst_sel:DWORD dst_unused:UNUSED_PAD src0_sel:DWORD src1_sel:BYTE_1
	v_and_b32_e32 v2, 0x7f, v1
	v_cmpx_ne_u32_e32 0x7f, v2
	s_cbranch_execz .LBB342_183
; %bb.180:                              ;   in Loop: Header=BB342_9 Depth=1
	v_and_b32_e32 v125, 7, v1
	v_lshrrev_b32_e32 v1, 3, v2
	s_mov_b32 s22, exec_lo
	v_mov_b32_e32 v26, v125
	v_mov_b32_e32 v27, v126
	v_cmpx_gt_u32_e32 8, v2
; %bb.181:                              ;   in Loop: Header=BB342_9 Depth=1
	v_ffbh_u32_e32 v1, v125
	v_min_u32_e32 v1, 32, v1
	v_subrev_nc_u32_e32 v2, 28, v1
	v_sub_nc_u32_e32 v1, 29, v1
	v_lshlrev_b64 v[2:3], v2, v[125:126]
	v_and_b32_e32 v26, 7, v2
; %bb.182:                              ;   in Loop: Header=BB342_9 Depth=1
	s_or_b32 exec_lo, exec_lo, s22
	v_lshlrev_b32_e32 v2, 16, v0
	v_lshlrev_b32_e32 v3, 20, v26
	v_lshl_add_u32 v1, v1, 23, 0x3c000000
	v_and_b32_e32 v2, 0x80000000, v2
	v_or3_b32 v56, v3, v2, v1
.LBB342_183:                            ;   in Loop: Header=BB342_9 Depth=1
	s_or_b32 exec_lo, exec_lo, s21
.LBB342_184:                            ;   in Loop: Header=BB342_9 Depth=1
	s_or_b32 exec_lo, exec_lo, s20
.LBB342_185:                            ;   in Loop: Header=BB342_9 Depth=1
	s_or_b32 exec_lo, exec_lo, s17
	v_mov_b32_e32 v1, 0xff
	v_mov_b32_e32 v57, 0
	;; [unrolled: 1-line block ×3, first 2 shown]
	s_mov_b32 s17, exec_lo
	v_and_b32_sdwa v1, v0, v1 dst_sel:DWORD dst_unused:UNUSED_PAD src0_sel:WORD_1 src1_sel:DWORD
	v_cmpx_ne_u16_e32 0, v1
	s_cbranch_execz .LBB342_193
; %bb.186:                              ;   in Loop: Header=BB342_9 Depth=1
	v_bfrev_b32_e32 v58, 1
	s_mov_b32 s20, exec_lo
	v_cmpx_ne_u16_e32 0x80, v1
	s_cbranch_execz .LBB342_192
; %bb.187:                              ;   in Loop: Header=BB342_9 Depth=1
	v_bfe_u32 v2, v0, 16, 7
	v_mov_b32_e32 v58, 0x7f800001
	s_mov_b32 s21, exec_lo
	v_cmpx_ne_u32_e32 0x7f, v2
	s_cbranch_execz .LBB342_191
; %bb.188:                              ;   in Loop: Header=BB342_9 Depth=1
	v_mov_b32_e32 v1, 7
	s_mov_b32 s22, exec_lo
	v_and_b32_sdwa v125, v0, v1 dst_sel:DWORD dst_unused:UNUSED_PAD src0_sel:WORD_1 src1_sel:DWORD
	v_lshrrev_b32_e32 v1, 3, v2
	v_mov_b32_e32 v26, v125
	v_mov_b32_e32 v27, v126
	v_cmpx_gt_u32_e32 8, v2
; %bb.189:                              ;   in Loop: Header=BB342_9 Depth=1
	v_ffbh_u32_e32 v1, v125
	v_min_u32_e32 v1, 32, v1
	v_subrev_nc_u32_e32 v2, 28, v1
	v_sub_nc_u32_e32 v1, 29, v1
	v_lshlrev_b64 v[2:3], v2, v[125:126]
	v_and_b32_e32 v26, 7, v2
; %bb.190:                              ;   in Loop: Header=BB342_9 Depth=1
	s_or_b32 exec_lo, exec_lo, s22
	v_mov_b32_e32 v2, 24
	v_lshlrev_b32_e32 v3, 20, v26
	v_lshl_add_u32 v1, v1, 23, 0x3c000000
	v_lshlrev_b32_sdwa v2, v2, v0 dst_sel:DWORD dst_unused:UNUSED_PAD src0_sel:DWORD src1_sel:WORD_1
	v_and_b32_e32 v2, 0x80000000, v2
	v_or3_b32 v58, v3, v2, v1
.LBB342_191:                            ;   in Loop: Header=BB342_9 Depth=1
	s_or_b32 exec_lo, exec_lo, s21
.LBB342_192:                            ;   in Loop: Header=BB342_9 Depth=1
	s_or_b32 exec_lo, exec_lo, s20
.LBB342_193:                            ;   in Loop: Header=BB342_9 Depth=1
	s_or_b32 exec_lo, exec_lo, s17
	s_mov_b32 s17, exec_lo
	v_cmpx_lt_u32_e32 0xffffff, v0
	s_cbranch_execz .LBB342_201
; %bb.194:                              ;   in Loop: Header=BB342_9 Depth=1
	v_mov_b32_e32 v1, 0x80
	v_bfrev_b32_e32 v57, 1
	v_cmp_ne_u32_sdwa s7, v0, v1 src0_sel:BYTE_3 src1_sel:DWORD
	s_and_saveexec_b32 s20, s7
	s_cbranch_execz .LBB342_200
; %bb.195:                              ;   in Loop: Header=BB342_9 Depth=1
	v_bfe_u32 v2, v0, 24, 7
	v_mov_b32_e32 v57, 0x7f800001
	s_mov_b32 s21, exec_lo
	v_cmpx_ne_u32_e32 0x7f, v2
	s_cbranch_execz .LBB342_199
; %bb.196:                              ;   in Loop: Header=BB342_9 Depth=1
	v_mov_b32_e32 v1, 7
	s_mov_b32 s22, exec_lo
	v_and_b32_sdwa v125, v0, v1 dst_sel:DWORD dst_unused:UNUSED_PAD src0_sel:BYTE_3 src1_sel:DWORD
	v_lshrrev_b32_e32 v1, 3, v2
	v_mov_b32_e32 v26, v125
	v_mov_b32_e32 v27, v126
	v_cmpx_gt_u32_e32 8, v2
; %bb.197:                              ;   in Loop: Header=BB342_9 Depth=1
	v_ffbh_u32_e32 v1, v125
	v_min_u32_e32 v1, 32, v1
	v_subrev_nc_u32_e32 v2, 28, v1
	v_sub_nc_u32_e32 v1, 29, v1
	v_lshlrev_b64 v[2:3], v2, v[125:126]
	v_and_b32_e32 v26, 7, v2
; %bb.198:                              ;   in Loop: Header=BB342_9 Depth=1
	s_or_b32 exec_lo, exec_lo, s22
	v_mov_b32_e32 v2, 24
	v_lshl_add_u32 v1, v1, 23, 0x3c000000
	v_lshlrev_b32_sdwa v0, v2, v0 dst_sel:DWORD dst_unused:UNUSED_PAD src0_sel:DWORD src1_sel:BYTE_3
	v_lshlrev_b32_e32 v2, 20, v26
	v_and_b32_e32 v0, 0x80000000, v0
	v_or3_b32 v57, v2, v0, v1
.LBB342_199:                            ;   in Loop: Header=BB342_9 Depth=1
	s_or_b32 exec_lo, exec_lo, s21
.LBB342_200:                            ;   in Loop: Header=BB342_9 Depth=1
	s_or_b32 exec_lo, exec_lo, s20
.LBB342_201:                            ;   in Loop: Header=BB342_9 Depth=1
	s_or_b32 exec_lo, exec_lo, s17
	flat_load_dword v0, v[24:25] offset:768
	v_mov_b32_e32 v60, 0
	v_mov_b32_e32 v59, 0
	s_waitcnt vmcnt(0) lgkmcnt(0)
	v_cmp_ne_u16_sdwa s7, v0, v126 src0_sel:BYTE_0 src1_sel:DWORD
	s_and_saveexec_b32 s17, s7
	s_cbranch_execz .LBB342_209
; %bb.202:                              ;   in Loop: Header=BB342_9 Depth=1
	v_mov_b32_e32 v1, 0x80
	v_bfrev_b32_e32 v59, 1
	v_cmp_ne_u16_sdwa s7, v0, v1 src0_sel:BYTE_0 src1_sel:DWORD
	s_and_saveexec_b32 s20, s7
	s_cbranch_execz .LBB342_208
; %bb.203:                              ;   in Loop: Header=BB342_9 Depth=1
	v_and_b32_e32 v2, 0x7f, v0
	v_mov_b32_e32 v59, 0x7f800001
	s_mov_b32 s21, exec_lo
	v_cmpx_ne_u32_e32 0x7f, v2
	s_cbranch_execz .LBB342_207
; %bb.204:                              ;   in Loop: Header=BB342_9 Depth=1
	v_and_b32_e32 v125, 7, v0
	v_lshrrev_b32_e32 v1, 3, v2
	s_mov_b32 s22, exec_lo
	v_mov_b32_e32 v26, v125
	v_mov_b32_e32 v27, v126
	v_cmpx_gt_u32_e32 8, v2
; %bb.205:                              ;   in Loop: Header=BB342_9 Depth=1
	v_ffbh_u32_e32 v1, v125
	v_min_u32_e32 v1, 32, v1
	v_subrev_nc_u32_e32 v2, 28, v1
	v_sub_nc_u32_e32 v1, 29, v1
	v_lshlrev_b64 v[2:3], v2, v[125:126]
	v_and_b32_e32 v26, 7, v2
; %bb.206:                              ;   in Loop: Header=BB342_9 Depth=1
	s_or_b32 exec_lo, exec_lo, s22
	v_lshlrev_b32_e32 v2, 24, v0
	v_lshlrev_b32_e32 v3, 20, v26
	v_lshl_add_u32 v1, v1, 23, 0x3c000000
	v_and_b32_e32 v2, 0x80000000, v2
	v_or3_b32 v59, v3, v2, v1
.LBB342_207:                            ;   in Loop: Header=BB342_9 Depth=1
	s_or_b32 exec_lo, exec_lo, s21
.LBB342_208:                            ;   in Loop: Header=BB342_9 Depth=1
	s_or_b32 exec_lo, exec_lo, s20
.LBB342_209:                            ;   in Loop: Header=BB342_9 Depth=1
	s_or_b32 exec_lo, exec_lo, s17
	v_cmp_ne_u16_sdwa s7, v0, v126 src0_sel:BYTE_1 src1_sel:DWORD
	s_and_saveexec_b32 s17, s7
	s_cbranch_execz .LBB342_217
; %bb.210:                              ;   in Loop: Header=BB342_9 Depth=1
	v_mov_b32_e32 v1, 0x80
	v_bfrev_b32_e32 v60, 1
	v_cmp_ne_u16_sdwa s7, v0, v1 src0_sel:BYTE_1 src1_sel:DWORD
	s_and_saveexec_b32 s20, s7
	s_cbranch_execz .LBB342_216
; %bb.211:                              ;   in Loop: Header=BB342_9 Depth=1
	v_mov_b32_e32 v1, 0xffff
	v_mov_b32_e32 v60, 0x7f800001
	s_mov_b32 s21, exec_lo
	v_and_b32_sdwa v1, v1, v0 dst_sel:DWORD dst_unused:UNUSED_PAD src0_sel:DWORD src1_sel:BYTE_1
	v_and_b32_e32 v2, 0x7f, v1
	v_cmpx_ne_u32_e32 0x7f, v2
	s_cbranch_execz .LBB342_215
; %bb.212:                              ;   in Loop: Header=BB342_9 Depth=1
	v_and_b32_e32 v125, 7, v1
	v_lshrrev_b32_e32 v1, 3, v2
	s_mov_b32 s22, exec_lo
	v_mov_b32_e32 v26, v125
	v_mov_b32_e32 v27, v126
	v_cmpx_gt_u32_e32 8, v2
; %bb.213:                              ;   in Loop: Header=BB342_9 Depth=1
	v_ffbh_u32_e32 v1, v125
	v_min_u32_e32 v1, 32, v1
	v_subrev_nc_u32_e32 v2, 28, v1
	v_sub_nc_u32_e32 v1, 29, v1
	v_lshlrev_b64 v[2:3], v2, v[125:126]
	v_and_b32_e32 v26, 7, v2
; %bb.214:                              ;   in Loop: Header=BB342_9 Depth=1
	s_or_b32 exec_lo, exec_lo, s22
	v_lshlrev_b32_e32 v2, 16, v0
	v_lshlrev_b32_e32 v3, 20, v26
	v_lshl_add_u32 v1, v1, 23, 0x3c000000
	v_and_b32_e32 v2, 0x80000000, v2
	v_or3_b32 v60, v3, v2, v1
.LBB342_215:                            ;   in Loop: Header=BB342_9 Depth=1
	s_or_b32 exec_lo, exec_lo, s21
.LBB342_216:                            ;   in Loop: Header=BB342_9 Depth=1
	s_or_b32 exec_lo, exec_lo, s20
.LBB342_217:                            ;   in Loop: Header=BB342_9 Depth=1
	s_or_b32 exec_lo, exec_lo, s17
	v_mov_b32_e32 v1, 0xff
	v_mov_b32_e32 v61, 0
	;; [unrolled: 1-line block ×3, first 2 shown]
	s_mov_b32 s17, exec_lo
	v_and_b32_sdwa v1, v0, v1 dst_sel:DWORD dst_unused:UNUSED_PAD src0_sel:WORD_1 src1_sel:DWORD
	v_cmpx_ne_u16_e32 0, v1
	s_cbranch_execz .LBB342_225
; %bb.218:                              ;   in Loop: Header=BB342_9 Depth=1
	v_bfrev_b32_e32 v62, 1
	s_mov_b32 s20, exec_lo
	v_cmpx_ne_u16_e32 0x80, v1
	s_cbranch_execz .LBB342_224
; %bb.219:                              ;   in Loop: Header=BB342_9 Depth=1
	v_bfe_u32 v2, v0, 16, 7
	v_mov_b32_e32 v62, 0x7f800001
	s_mov_b32 s21, exec_lo
	v_cmpx_ne_u32_e32 0x7f, v2
	s_cbranch_execz .LBB342_223
; %bb.220:                              ;   in Loop: Header=BB342_9 Depth=1
	v_mov_b32_e32 v1, 7
	s_mov_b32 s22, exec_lo
	v_and_b32_sdwa v125, v0, v1 dst_sel:DWORD dst_unused:UNUSED_PAD src0_sel:WORD_1 src1_sel:DWORD
	v_lshrrev_b32_e32 v1, 3, v2
	v_mov_b32_e32 v26, v125
	v_mov_b32_e32 v27, v126
	v_cmpx_gt_u32_e32 8, v2
; %bb.221:                              ;   in Loop: Header=BB342_9 Depth=1
	v_ffbh_u32_e32 v1, v125
	v_min_u32_e32 v1, 32, v1
	v_subrev_nc_u32_e32 v2, 28, v1
	v_sub_nc_u32_e32 v1, 29, v1
	v_lshlrev_b64 v[2:3], v2, v[125:126]
	v_and_b32_e32 v26, 7, v2
; %bb.222:                              ;   in Loop: Header=BB342_9 Depth=1
	s_or_b32 exec_lo, exec_lo, s22
	v_mov_b32_e32 v2, 24
	v_lshlrev_b32_e32 v3, 20, v26
	v_lshl_add_u32 v1, v1, 23, 0x3c000000
	v_lshlrev_b32_sdwa v2, v2, v0 dst_sel:DWORD dst_unused:UNUSED_PAD src0_sel:DWORD src1_sel:WORD_1
	v_and_b32_e32 v2, 0x80000000, v2
	v_or3_b32 v62, v3, v2, v1
.LBB342_223:                            ;   in Loop: Header=BB342_9 Depth=1
	s_or_b32 exec_lo, exec_lo, s21
.LBB342_224:                            ;   in Loop: Header=BB342_9 Depth=1
	s_or_b32 exec_lo, exec_lo, s20
.LBB342_225:                            ;   in Loop: Header=BB342_9 Depth=1
	s_or_b32 exec_lo, exec_lo, s17
	s_mov_b32 s17, exec_lo
	v_cmpx_lt_u32_e32 0xffffff, v0
	s_cbranch_execz .LBB342_233
; %bb.226:                              ;   in Loop: Header=BB342_9 Depth=1
	v_mov_b32_e32 v1, 0x80
	v_bfrev_b32_e32 v61, 1
	v_cmp_ne_u32_sdwa s7, v0, v1 src0_sel:BYTE_3 src1_sel:DWORD
	s_and_saveexec_b32 s20, s7
	s_cbranch_execz .LBB342_232
; %bb.227:                              ;   in Loop: Header=BB342_9 Depth=1
	v_bfe_u32 v2, v0, 24, 7
	v_mov_b32_e32 v61, 0x7f800001
	s_mov_b32 s21, exec_lo
	v_cmpx_ne_u32_e32 0x7f, v2
	s_cbranch_execz .LBB342_231
; %bb.228:                              ;   in Loop: Header=BB342_9 Depth=1
	v_mov_b32_e32 v1, 7
	s_mov_b32 s22, exec_lo
	v_and_b32_sdwa v125, v0, v1 dst_sel:DWORD dst_unused:UNUSED_PAD src0_sel:BYTE_3 src1_sel:DWORD
	v_lshrrev_b32_e32 v1, 3, v2
	v_mov_b32_e32 v26, v125
	v_mov_b32_e32 v27, v126
	v_cmpx_gt_u32_e32 8, v2
; %bb.229:                              ;   in Loop: Header=BB342_9 Depth=1
	v_ffbh_u32_e32 v1, v125
	v_min_u32_e32 v1, 32, v1
	v_subrev_nc_u32_e32 v2, 28, v1
	v_sub_nc_u32_e32 v1, 29, v1
	v_lshlrev_b64 v[2:3], v2, v[125:126]
	v_and_b32_e32 v26, 7, v2
; %bb.230:                              ;   in Loop: Header=BB342_9 Depth=1
	s_or_b32 exec_lo, exec_lo, s22
	v_mov_b32_e32 v2, 24
	v_lshl_add_u32 v1, v1, 23, 0x3c000000
	v_lshlrev_b32_sdwa v0, v2, v0 dst_sel:DWORD dst_unused:UNUSED_PAD src0_sel:DWORD src1_sel:BYTE_3
	v_lshlrev_b32_e32 v2, 20, v26
	v_and_b32_e32 v0, 0x80000000, v0
	v_or3_b32 v61, v2, v0, v1
.LBB342_231:                            ;   in Loop: Header=BB342_9 Depth=1
	s_or_b32 exec_lo, exec_lo, s21
.LBB342_232:                            ;   in Loop: Header=BB342_9 Depth=1
	s_or_b32 exec_lo, exec_lo, s20
.LBB342_233:                            ;   in Loop: Header=BB342_9 Depth=1
	s_or_b32 exec_lo, exec_lo, s17
	flat_load_dword v0, v[24:25] offset:776
	v_mov_b32_e32 v72, 0
	v_mov_b32_e32 v63, 0
	s_waitcnt vmcnt(0) lgkmcnt(0)
	v_cmp_ne_u16_sdwa s7, v0, v126 src0_sel:BYTE_0 src1_sel:DWORD
	s_and_saveexec_b32 s17, s7
	s_cbranch_execz .LBB342_241
; %bb.234:                              ;   in Loop: Header=BB342_9 Depth=1
	v_mov_b32_e32 v1, 0x80
	v_bfrev_b32_e32 v63, 1
	v_cmp_ne_u16_sdwa s7, v0, v1 src0_sel:BYTE_0 src1_sel:DWORD
	s_and_saveexec_b32 s20, s7
	s_cbranch_execz .LBB342_240
; %bb.235:                              ;   in Loop: Header=BB342_9 Depth=1
	v_and_b32_e32 v2, 0x7f, v0
	v_mov_b32_e32 v63, 0x7f800001
	s_mov_b32 s21, exec_lo
	v_cmpx_ne_u32_e32 0x7f, v2
	s_cbranch_execz .LBB342_239
; %bb.236:                              ;   in Loop: Header=BB342_9 Depth=1
	v_and_b32_e32 v125, 7, v0
	v_lshrrev_b32_e32 v1, 3, v2
	s_mov_b32 s22, exec_lo
	v_mov_b32_e32 v26, v125
	v_mov_b32_e32 v27, v126
	v_cmpx_gt_u32_e32 8, v2
; %bb.237:                              ;   in Loop: Header=BB342_9 Depth=1
	v_ffbh_u32_e32 v1, v125
	v_min_u32_e32 v1, 32, v1
	v_subrev_nc_u32_e32 v2, 28, v1
	v_sub_nc_u32_e32 v1, 29, v1
	v_lshlrev_b64 v[2:3], v2, v[125:126]
	v_and_b32_e32 v26, 7, v2
; %bb.238:                              ;   in Loop: Header=BB342_9 Depth=1
	s_or_b32 exec_lo, exec_lo, s22
	v_lshlrev_b32_e32 v2, 24, v0
	v_lshlrev_b32_e32 v3, 20, v26
	v_lshl_add_u32 v1, v1, 23, 0x3c000000
	v_and_b32_e32 v2, 0x80000000, v2
	v_or3_b32 v63, v3, v2, v1
.LBB342_239:                            ;   in Loop: Header=BB342_9 Depth=1
	s_or_b32 exec_lo, exec_lo, s21
.LBB342_240:                            ;   in Loop: Header=BB342_9 Depth=1
	s_or_b32 exec_lo, exec_lo, s20
.LBB342_241:                            ;   in Loop: Header=BB342_9 Depth=1
	s_or_b32 exec_lo, exec_lo, s17
	v_cmp_ne_u16_sdwa s7, v0, v126 src0_sel:BYTE_1 src1_sel:DWORD
	s_and_saveexec_b32 s17, s7
	s_cbranch_execz .LBB342_249
; %bb.242:                              ;   in Loop: Header=BB342_9 Depth=1
	v_mov_b32_e32 v1, 0x80
	v_bfrev_b32_e32 v72, 1
	v_cmp_ne_u16_sdwa s7, v0, v1 src0_sel:BYTE_1 src1_sel:DWORD
	s_and_saveexec_b32 s20, s7
	s_cbranch_execz .LBB342_248
; %bb.243:                              ;   in Loop: Header=BB342_9 Depth=1
	v_mov_b32_e32 v1, 0xffff
	v_mov_b32_e32 v72, 0x7f800001
	s_mov_b32 s21, exec_lo
	v_and_b32_sdwa v1, v1, v0 dst_sel:DWORD dst_unused:UNUSED_PAD src0_sel:DWORD src1_sel:BYTE_1
	v_and_b32_e32 v2, 0x7f, v1
	v_cmpx_ne_u32_e32 0x7f, v2
	s_cbranch_execz .LBB342_247
; %bb.244:                              ;   in Loop: Header=BB342_9 Depth=1
	v_and_b32_e32 v125, 7, v1
	v_lshrrev_b32_e32 v1, 3, v2
	s_mov_b32 s22, exec_lo
	v_mov_b32_e32 v26, v125
	v_mov_b32_e32 v27, v126
	v_cmpx_gt_u32_e32 8, v2
; %bb.245:                              ;   in Loop: Header=BB342_9 Depth=1
	v_ffbh_u32_e32 v1, v125
	v_min_u32_e32 v1, 32, v1
	v_subrev_nc_u32_e32 v2, 28, v1
	v_sub_nc_u32_e32 v1, 29, v1
	v_lshlrev_b64 v[2:3], v2, v[125:126]
	v_and_b32_e32 v26, 7, v2
; %bb.246:                              ;   in Loop: Header=BB342_9 Depth=1
	s_or_b32 exec_lo, exec_lo, s22
	v_lshlrev_b32_e32 v2, 16, v0
	v_lshlrev_b32_e32 v3, 20, v26
	v_lshl_add_u32 v1, v1, 23, 0x3c000000
	v_and_b32_e32 v2, 0x80000000, v2
	v_or3_b32 v72, v3, v2, v1
.LBB342_247:                            ;   in Loop: Header=BB342_9 Depth=1
	s_or_b32 exec_lo, exec_lo, s21
.LBB342_248:                            ;   in Loop: Header=BB342_9 Depth=1
	s_or_b32 exec_lo, exec_lo, s20
.LBB342_249:                            ;   in Loop: Header=BB342_9 Depth=1
	s_or_b32 exec_lo, exec_lo, s17
	v_mov_b32_e32 v1, 0xff
	v_mov_b32_e32 v73, 0
	;; [unrolled: 1-line block ×3, first 2 shown]
	s_mov_b32 s17, exec_lo
	v_and_b32_sdwa v1, v0, v1 dst_sel:DWORD dst_unused:UNUSED_PAD src0_sel:WORD_1 src1_sel:DWORD
	v_cmpx_ne_u16_e32 0, v1
	s_cbranch_execz .LBB342_257
; %bb.250:                              ;   in Loop: Header=BB342_9 Depth=1
	v_bfrev_b32_e32 v74, 1
	s_mov_b32 s20, exec_lo
	v_cmpx_ne_u16_e32 0x80, v1
	s_cbranch_execz .LBB342_256
; %bb.251:                              ;   in Loop: Header=BB342_9 Depth=1
	v_bfe_u32 v2, v0, 16, 7
	v_mov_b32_e32 v74, 0x7f800001
	s_mov_b32 s21, exec_lo
	v_cmpx_ne_u32_e32 0x7f, v2
	s_cbranch_execz .LBB342_255
; %bb.252:                              ;   in Loop: Header=BB342_9 Depth=1
	v_mov_b32_e32 v1, 7
	s_mov_b32 s22, exec_lo
	v_and_b32_sdwa v125, v0, v1 dst_sel:DWORD dst_unused:UNUSED_PAD src0_sel:WORD_1 src1_sel:DWORD
	v_lshrrev_b32_e32 v1, 3, v2
	v_mov_b32_e32 v26, v125
	v_mov_b32_e32 v27, v126
	v_cmpx_gt_u32_e32 8, v2
; %bb.253:                              ;   in Loop: Header=BB342_9 Depth=1
	v_ffbh_u32_e32 v1, v125
	v_min_u32_e32 v1, 32, v1
	v_subrev_nc_u32_e32 v2, 28, v1
	v_sub_nc_u32_e32 v1, 29, v1
	v_lshlrev_b64 v[2:3], v2, v[125:126]
	v_and_b32_e32 v26, 7, v2
; %bb.254:                              ;   in Loop: Header=BB342_9 Depth=1
	s_or_b32 exec_lo, exec_lo, s22
	v_mov_b32_e32 v2, 24
	v_lshlrev_b32_e32 v3, 20, v26
	v_lshl_add_u32 v1, v1, 23, 0x3c000000
	v_lshlrev_b32_sdwa v2, v2, v0 dst_sel:DWORD dst_unused:UNUSED_PAD src0_sel:DWORD src1_sel:WORD_1
	v_and_b32_e32 v2, 0x80000000, v2
	v_or3_b32 v74, v3, v2, v1
.LBB342_255:                            ;   in Loop: Header=BB342_9 Depth=1
	s_or_b32 exec_lo, exec_lo, s21
.LBB342_256:                            ;   in Loop: Header=BB342_9 Depth=1
	s_or_b32 exec_lo, exec_lo, s20
.LBB342_257:                            ;   in Loop: Header=BB342_9 Depth=1
	s_or_b32 exec_lo, exec_lo, s17
	s_mov_b32 s17, exec_lo
	v_cmpx_lt_u32_e32 0xffffff, v0
	s_cbranch_execz .LBB342_265
; %bb.258:                              ;   in Loop: Header=BB342_9 Depth=1
	v_mov_b32_e32 v1, 0x80
	v_bfrev_b32_e32 v73, 1
	v_cmp_ne_u32_sdwa s7, v0, v1 src0_sel:BYTE_3 src1_sel:DWORD
	s_and_saveexec_b32 s20, s7
	s_cbranch_execz .LBB342_264
; %bb.259:                              ;   in Loop: Header=BB342_9 Depth=1
	v_bfe_u32 v2, v0, 24, 7
	v_mov_b32_e32 v73, 0x7f800001
	s_mov_b32 s21, exec_lo
	v_cmpx_ne_u32_e32 0x7f, v2
	s_cbranch_execz .LBB342_263
; %bb.260:                              ;   in Loop: Header=BB342_9 Depth=1
	v_mov_b32_e32 v1, 7
	s_mov_b32 s22, exec_lo
	v_and_b32_sdwa v125, v0, v1 dst_sel:DWORD dst_unused:UNUSED_PAD src0_sel:BYTE_3 src1_sel:DWORD
	v_lshrrev_b32_e32 v1, 3, v2
	v_mov_b32_e32 v26, v125
	v_mov_b32_e32 v27, v126
	v_cmpx_gt_u32_e32 8, v2
; %bb.261:                              ;   in Loop: Header=BB342_9 Depth=1
	v_ffbh_u32_e32 v1, v125
	v_min_u32_e32 v1, 32, v1
	v_subrev_nc_u32_e32 v2, 28, v1
	v_sub_nc_u32_e32 v1, 29, v1
	v_lshlrev_b64 v[2:3], v2, v[125:126]
	v_and_b32_e32 v26, 7, v2
; %bb.262:                              ;   in Loop: Header=BB342_9 Depth=1
	s_or_b32 exec_lo, exec_lo, s22
	v_mov_b32_e32 v2, 24
	v_lshl_add_u32 v1, v1, 23, 0x3c000000
	v_lshlrev_b32_sdwa v0, v2, v0 dst_sel:DWORD dst_unused:UNUSED_PAD src0_sel:DWORD src1_sel:BYTE_3
	v_lshlrev_b32_e32 v2, 20, v26
	v_and_b32_e32 v0, 0x80000000, v0
	v_or3_b32 v73, v2, v0, v1
.LBB342_263:                            ;   in Loop: Header=BB342_9 Depth=1
	s_or_b32 exec_lo, exec_lo, s21
.LBB342_264:                            ;   in Loop: Header=BB342_9 Depth=1
	s_or_b32 exec_lo, exec_lo, s20
.LBB342_265:                            ;   in Loop: Header=BB342_9 Depth=1
	s_or_b32 exec_lo, exec_lo, s17
	flat_load_dword v0, v[24:25] offset:1024
	v_mov_b32_e32 v76, 0
	v_mov_b32_e32 v75, 0
	s_waitcnt vmcnt(0) lgkmcnt(0)
	v_cmp_ne_u16_sdwa s7, v0, v126 src0_sel:BYTE_0 src1_sel:DWORD
	s_and_saveexec_b32 s17, s7
	s_cbranch_execz .LBB342_273
; %bb.266:                              ;   in Loop: Header=BB342_9 Depth=1
	v_mov_b32_e32 v1, 0x80
	v_bfrev_b32_e32 v75, 1
	v_cmp_ne_u16_sdwa s7, v0, v1 src0_sel:BYTE_0 src1_sel:DWORD
	s_and_saveexec_b32 s20, s7
	s_cbranch_execz .LBB342_272
; %bb.267:                              ;   in Loop: Header=BB342_9 Depth=1
	v_and_b32_e32 v2, 0x7f, v0
	v_mov_b32_e32 v75, 0x7f800001
	s_mov_b32 s21, exec_lo
	v_cmpx_ne_u32_e32 0x7f, v2
	s_cbranch_execz .LBB342_271
; %bb.268:                              ;   in Loop: Header=BB342_9 Depth=1
	v_and_b32_e32 v125, 7, v0
	v_lshrrev_b32_e32 v1, 3, v2
	s_mov_b32 s22, exec_lo
	v_mov_b32_e32 v26, v125
	v_mov_b32_e32 v27, v126
	v_cmpx_gt_u32_e32 8, v2
; %bb.269:                              ;   in Loop: Header=BB342_9 Depth=1
	v_ffbh_u32_e32 v1, v125
	v_min_u32_e32 v1, 32, v1
	v_subrev_nc_u32_e32 v2, 28, v1
	v_sub_nc_u32_e32 v1, 29, v1
	v_lshlrev_b64 v[2:3], v2, v[125:126]
	v_and_b32_e32 v26, 7, v2
; %bb.270:                              ;   in Loop: Header=BB342_9 Depth=1
	s_or_b32 exec_lo, exec_lo, s22
	v_lshlrev_b32_e32 v2, 24, v0
	v_lshlrev_b32_e32 v3, 20, v26
	v_lshl_add_u32 v1, v1, 23, 0x3c000000
	v_and_b32_e32 v2, 0x80000000, v2
	v_or3_b32 v75, v3, v2, v1
.LBB342_271:                            ;   in Loop: Header=BB342_9 Depth=1
	s_or_b32 exec_lo, exec_lo, s21
.LBB342_272:                            ;   in Loop: Header=BB342_9 Depth=1
	s_or_b32 exec_lo, exec_lo, s20
.LBB342_273:                            ;   in Loop: Header=BB342_9 Depth=1
	s_or_b32 exec_lo, exec_lo, s17
	v_cmp_ne_u16_sdwa s7, v0, v126 src0_sel:BYTE_1 src1_sel:DWORD
	s_and_saveexec_b32 s17, s7
	s_cbranch_execz .LBB342_281
; %bb.274:                              ;   in Loop: Header=BB342_9 Depth=1
	v_mov_b32_e32 v1, 0x80
	v_bfrev_b32_e32 v76, 1
	v_cmp_ne_u16_sdwa s7, v0, v1 src0_sel:BYTE_1 src1_sel:DWORD
	s_and_saveexec_b32 s20, s7
	s_cbranch_execz .LBB342_280
; %bb.275:                              ;   in Loop: Header=BB342_9 Depth=1
	v_mov_b32_e32 v1, 0xffff
	v_mov_b32_e32 v76, 0x7f800001
	s_mov_b32 s21, exec_lo
	v_and_b32_sdwa v1, v1, v0 dst_sel:DWORD dst_unused:UNUSED_PAD src0_sel:DWORD src1_sel:BYTE_1
	v_and_b32_e32 v2, 0x7f, v1
	v_cmpx_ne_u32_e32 0x7f, v2
	s_cbranch_execz .LBB342_279
; %bb.276:                              ;   in Loop: Header=BB342_9 Depth=1
	v_and_b32_e32 v125, 7, v1
	v_lshrrev_b32_e32 v1, 3, v2
	s_mov_b32 s22, exec_lo
	v_mov_b32_e32 v26, v125
	v_mov_b32_e32 v27, v126
	v_cmpx_gt_u32_e32 8, v2
; %bb.277:                              ;   in Loop: Header=BB342_9 Depth=1
	v_ffbh_u32_e32 v1, v125
	v_min_u32_e32 v1, 32, v1
	v_subrev_nc_u32_e32 v2, 28, v1
	v_sub_nc_u32_e32 v1, 29, v1
	v_lshlrev_b64 v[2:3], v2, v[125:126]
	v_and_b32_e32 v26, 7, v2
; %bb.278:                              ;   in Loop: Header=BB342_9 Depth=1
	s_or_b32 exec_lo, exec_lo, s22
	v_lshlrev_b32_e32 v2, 16, v0
	v_lshlrev_b32_e32 v3, 20, v26
	v_lshl_add_u32 v1, v1, 23, 0x3c000000
	v_and_b32_e32 v2, 0x80000000, v2
	v_or3_b32 v76, v3, v2, v1
.LBB342_279:                            ;   in Loop: Header=BB342_9 Depth=1
	s_or_b32 exec_lo, exec_lo, s21
.LBB342_280:                            ;   in Loop: Header=BB342_9 Depth=1
	s_or_b32 exec_lo, exec_lo, s20
.LBB342_281:                            ;   in Loop: Header=BB342_9 Depth=1
	s_or_b32 exec_lo, exec_lo, s17
	v_mov_b32_e32 v1, 0xff
	v_mov_b32_e32 v77, 0
	;; [unrolled: 1-line block ×3, first 2 shown]
	s_mov_b32 s17, exec_lo
	v_and_b32_sdwa v1, v0, v1 dst_sel:DWORD dst_unused:UNUSED_PAD src0_sel:WORD_1 src1_sel:DWORD
	v_cmpx_ne_u16_e32 0, v1
	s_cbranch_execz .LBB342_289
; %bb.282:                              ;   in Loop: Header=BB342_9 Depth=1
	v_bfrev_b32_e32 v78, 1
	s_mov_b32 s20, exec_lo
	v_cmpx_ne_u16_e32 0x80, v1
	s_cbranch_execz .LBB342_288
; %bb.283:                              ;   in Loop: Header=BB342_9 Depth=1
	v_bfe_u32 v2, v0, 16, 7
	v_mov_b32_e32 v78, 0x7f800001
	s_mov_b32 s21, exec_lo
	v_cmpx_ne_u32_e32 0x7f, v2
	s_cbranch_execz .LBB342_287
; %bb.284:                              ;   in Loop: Header=BB342_9 Depth=1
	v_mov_b32_e32 v1, 7
	s_mov_b32 s22, exec_lo
	v_and_b32_sdwa v125, v0, v1 dst_sel:DWORD dst_unused:UNUSED_PAD src0_sel:WORD_1 src1_sel:DWORD
	v_lshrrev_b32_e32 v1, 3, v2
	v_mov_b32_e32 v26, v125
	v_mov_b32_e32 v27, v126
	v_cmpx_gt_u32_e32 8, v2
; %bb.285:                              ;   in Loop: Header=BB342_9 Depth=1
	v_ffbh_u32_e32 v1, v125
	v_min_u32_e32 v1, 32, v1
	v_subrev_nc_u32_e32 v2, 28, v1
	v_sub_nc_u32_e32 v1, 29, v1
	v_lshlrev_b64 v[2:3], v2, v[125:126]
	v_and_b32_e32 v26, 7, v2
; %bb.286:                              ;   in Loop: Header=BB342_9 Depth=1
	s_or_b32 exec_lo, exec_lo, s22
	v_mov_b32_e32 v2, 24
	v_lshlrev_b32_e32 v3, 20, v26
	v_lshl_add_u32 v1, v1, 23, 0x3c000000
	v_lshlrev_b32_sdwa v2, v2, v0 dst_sel:DWORD dst_unused:UNUSED_PAD src0_sel:DWORD src1_sel:WORD_1
	v_and_b32_e32 v2, 0x80000000, v2
	v_or3_b32 v78, v3, v2, v1
.LBB342_287:                            ;   in Loop: Header=BB342_9 Depth=1
	s_or_b32 exec_lo, exec_lo, s21
.LBB342_288:                            ;   in Loop: Header=BB342_9 Depth=1
	s_or_b32 exec_lo, exec_lo, s20
.LBB342_289:                            ;   in Loop: Header=BB342_9 Depth=1
	s_or_b32 exec_lo, exec_lo, s17
	s_mov_b32 s17, exec_lo
	v_cmpx_lt_u32_e32 0xffffff, v0
	s_cbranch_execz .LBB342_297
; %bb.290:                              ;   in Loop: Header=BB342_9 Depth=1
	v_mov_b32_e32 v1, 0x80
	v_bfrev_b32_e32 v77, 1
	v_cmp_ne_u32_sdwa s7, v0, v1 src0_sel:BYTE_3 src1_sel:DWORD
	s_and_saveexec_b32 s20, s7
	s_cbranch_execz .LBB342_296
; %bb.291:                              ;   in Loop: Header=BB342_9 Depth=1
	v_bfe_u32 v2, v0, 24, 7
	v_mov_b32_e32 v77, 0x7f800001
	s_mov_b32 s21, exec_lo
	v_cmpx_ne_u32_e32 0x7f, v2
	s_cbranch_execz .LBB342_295
; %bb.292:                              ;   in Loop: Header=BB342_9 Depth=1
	v_mov_b32_e32 v1, 7
	s_mov_b32 s22, exec_lo
	v_and_b32_sdwa v125, v0, v1 dst_sel:DWORD dst_unused:UNUSED_PAD src0_sel:BYTE_3 src1_sel:DWORD
	v_lshrrev_b32_e32 v1, 3, v2
	v_mov_b32_e32 v26, v125
	v_mov_b32_e32 v27, v126
	v_cmpx_gt_u32_e32 8, v2
; %bb.293:                              ;   in Loop: Header=BB342_9 Depth=1
	v_ffbh_u32_e32 v1, v125
	v_min_u32_e32 v1, 32, v1
	v_subrev_nc_u32_e32 v2, 28, v1
	v_sub_nc_u32_e32 v1, 29, v1
	v_lshlrev_b64 v[2:3], v2, v[125:126]
	v_and_b32_e32 v26, 7, v2
; %bb.294:                              ;   in Loop: Header=BB342_9 Depth=1
	s_or_b32 exec_lo, exec_lo, s22
	v_mov_b32_e32 v2, 24
	v_lshl_add_u32 v1, v1, 23, 0x3c000000
	v_lshlrev_b32_sdwa v0, v2, v0 dst_sel:DWORD dst_unused:UNUSED_PAD src0_sel:DWORD src1_sel:BYTE_3
	v_lshlrev_b32_e32 v2, 20, v26
	v_and_b32_e32 v0, 0x80000000, v0
	v_or3_b32 v77, v2, v0, v1
.LBB342_295:                            ;   in Loop: Header=BB342_9 Depth=1
	s_or_b32 exec_lo, exec_lo, s21
.LBB342_296:                            ;   in Loop: Header=BB342_9 Depth=1
	s_or_b32 exec_lo, exec_lo, s20
.LBB342_297:                            ;   in Loop: Header=BB342_9 Depth=1
	s_or_b32 exec_lo, exec_lo, s17
	flat_load_dword v0, v[24:25] offset:1032
	v_mov_b32_e32 v88, 0
	v_mov_b32_e32 v79, 0
	s_waitcnt vmcnt(0) lgkmcnt(0)
	v_cmp_ne_u16_sdwa s7, v0, v126 src0_sel:BYTE_0 src1_sel:DWORD
	s_and_saveexec_b32 s17, s7
	s_cbranch_execz .LBB342_305
; %bb.298:                              ;   in Loop: Header=BB342_9 Depth=1
	v_mov_b32_e32 v1, 0x80
	v_bfrev_b32_e32 v79, 1
	v_cmp_ne_u16_sdwa s7, v0, v1 src0_sel:BYTE_0 src1_sel:DWORD
	s_and_saveexec_b32 s20, s7
	s_cbranch_execz .LBB342_304
; %bb.299:                              ;   in Loop: Header=BB342_9 Depth=1
	v_and_b32_e32 v2, 0x7f, v0
	v_mov_b32_e32 v79, 0x7f800001
	s_mov_b32 s21, exec_lo
	v_cmpx_ne_u32_e32 0x7f, v2
	s_cbranch_execz .LBB342_303
; %bb.300:                              ;   in Loop: Header=BB342_9 Depth=1
	v_and_b32_e32 v125, 7, v0
	v_lshrrev_b32_e32 v1, 3, v2
	s_mov_b32 s22, exec_lo
	v_mov_b32_e32 v26, v125
	v_mov_b32_e32 v27, v126
	v_cmpx_gt_u32_e32 8, v2
; %bb.301:                              ;   in Loop: Header=BB342_9 Depth=1
	v_ffbh_u32_e32 v1, v125
	v_min_u32_e32 v1, 32, v1
	v_subrev_nc_u32_e32 v2, 28, v1
	v_sub_nc_u32_e32 v1, 29, v1
	v_lshlrev_b64 v[2:3], v2, v[125:126]
	v_and_b32_e32 v26, 7, v2
; %bb.302:                              ;   in Loop: Header=BB342_9 Depth=1
	s_or_b32 exec_lo, exec_lo, s22
	v_lshlrev_b32_e32 v2, 24, v0
	v_lshlrev_b32_e32 v3, 20, v26
	v_lshl_add_u32 v1, v1, 23, 0x3c000000
	v_and_b32_e32 v2, 0x80000000, v2
	v_or3_b32 v79, v3, v2, v1
.LBB342_303:                            ;   in Loop: Header=BB342_9 Depth=1
	s_or_b32 exec_lo, exec_lo, s21
.LBB342_304:                            ;   in Loop: Header=BB342_9 Depth=1
	s_or_b32 exec_lo, exec_lo, s20
.LBB342_305:                            ;   in Loop: Header=BB342_9 Depth=1
	s_or_b32 exec_lo, exec_lo, s17
	v_cmp_ne_u16_sdwa s7, v0, v126 src0_sel:BYTE_1 src1_sel:DWORD
	s_and_saveexec_b32 s17, s7
	s_cbranch_execz .LBB342_313
; %bb.306:                              ;   in Loop: Header=BB342_9 Depth=1
	v_mov_b32_e32 v1, 0x80
	v_bfrev_b32_e32 v88, 1
	v_cmp_ne_u16_sdwa s7, v0, v1 src0_sel:BYTE_1 src1_sel:DWORD
	s_and_saveexec_b32 s20, s7
	s_cbranch_execz .LBB342_312
; %bb.307:                              ;   in Loop: Header=BB342_9 Depth=1
	v_mov_b32_e32 v1, 0xffff
	v_mov_b32_e32 v88, 0x7f800001
	s_mov_b32 s21, exec_lo
	v_and_b32_sdwa v1, v1, v0 dst_sel:DWORD dst_unused:UNUSED_PAD src0_sel:DWORD src1_sel:BYTE_1
	v_and_b32_e32 v2, 0x7f, v1
	v_cmpx_ne_u32_e32 0x7f, v2
	s_cbranch_execz .LBB342_311
; %bb.308:                              ;   in Loop: Header=BB342_9 Depth=1
	v_and_b32_e32 v125, 7, v1
	v_lshrrev_b32_e32 v1, 3, v2
	s_mov_b32 s22, exec_lo
	v_mov_b32_e32 v26, v125
	v_mov_b32_e32 v27, v126
	v_cmpx_gt_u32_e32 8, v2
; %bb.309:                              ;   in Loop: Header=BB342_9 Depth=1
	v_ffbh_u32_e32 v1, v125
	v_min_u32_e32 v1, 32, v1
	v_subrev_nc_u32_e32 v2, 28, v1
	v_sub_nc_u32_e32 v1, 29, v1
	v_lshlrev_b64 v[2:3], v2, v[125:126]
	v_and_b32_e32 v26, 7, v2
; %bb.310:                              ;   in Loop: Header=BB342_9 Depth=1
	s_or_b32 exec_lo, exec_lo, s22
	v_lshlrev_b32_e32 v2, 16, v0
	v_lshlrev_b32_e32 v3, 20, v26
	v_lshl_add_u32 v1, v1, 23, 0x3c000000
	v_and_b32_e32 v2, 0x80000000, v2
	v_or3_b32 v88, v3, v2, v1
.LBB342_311:                            ;   in Loop: Header=BB342_9 Depth=1
	s_or_b32 exec_lo, exec_lo, s21
.LBB342_312:                            ;   in Loop: Header=BB342_9 Depth=1
	s_or_b32 exec_lo, exec_lo, s20
.LBB342_313:                            ;   in Loop: Header=BB342_9 Depth=1
	s_or_b32 exec_lo, exec_lo, s17
	v_mov_b32_e32 v1, 0xff
	v_mov_b32_e32 v89, 0
	;; [unrolled: 1-line block ×3, first 2 shown]
	s_mov_b32 s17, exec_lo
	v_and_b32_sdwa v1, v0, v1 dst_sel:DWORD dst_unused:UNUSED_PAD src0_sel:WORD_1 src1_sel:DWORD
	v_cmpx_ne_u16_e32 0, v1
	s_cbranch_execz .LBB342_321
; %bb.314:                              ;   in Loop: Header=BB342_9 Depth=1
	v_bfrev_b32_e32 v90, 1
	s_mov_b32 s20, exec_lo
	v_cmpx_ne_u16_e32 0x80, v1
	s_cbranch_execz .LBB342_320
; %bb.315:                              ;   in Loop: Header=BB342_9 Depth=1
	v_bfe_u32 v2, v0, 16, 7
	v_mov_b32_e32 v90, 0x7f800001
	s_mov_b32 s21, exec_lo
	v_cmpx_ne_u32_e32 0x7f, v2
	s_cbranch_execz .LBB342_319
; %bb.316:                              ;   in Loop: Header=BB342_9 Depth=1
	v_mov_b32_e32 v1, 7
	s_mov_b32 s22, exec_lo
	v_and_b32_sdwa v125, v0, v1 dst_sel:DWORD dst_unused:UNUSED_PAD src0_sel:WORD_1 src1_sel:DWORD
	v_lshrrev_b32_e32 v1, 3, v2
	v_mov_b32_e32 v26, v125
	v_mov_b32_e32 v27, v126
	v_cmpx_gt_u32_e32 8, v2
; %bb.317:                              ;   in Loop: Header=BB342_9 Depth=1
	v_ffbh_u32_e32 v1, v125
	v_min_u32_e32 v1, 32, v1
	v_subrev_nc_u32_e32 v2, 28, v1
	v_sub_nc_u32_e32 v1, 29, v1
	v_lshlrev_b64 v[2:3], v2, v[125:126]
	v_and_b32_e32 v26, 7, v2
; %bb.318:                              ;   in Loop: Header=BB342_9 Depth=1
	s_or_b32 exec_lo, exec_lo, s22
	v_mov_b32_e32 v2, 24
	v_lshlrev_b32_e32 v3, 20, v26
	v_lshl_add_u32 v1, v1, 23, 0x3c000000
	v_lshlrev_b32_sdwa v2, v2, v0 dst_sel:DWORD dst_unused:UNUSED_PAD src0_sel:DWORD src1_sel:WORD_1
	v_and_b32_e32 v2, 0x80000000, v2
	v_or3_b32 v90, v3, v2, v1
.LBB342_319:                            ;   in Loop: Header=BB342_9 Depth=1
	s_or_b32 exec_lo, exec_lo, s21
.LBB342_320:                            ;   in Loop: Header=BB342_9 Depth=1
	s_or_b32 exec_lo, exec_lo, s20
.LBB342_321:                            ;   in Loop: Header=BB342_9 Depth=1
	s_or_b32 exec_lo, exec_lo, s17
	s_mov_b32 s17, exec_lo
	v_cmpx_lt_u32_e32 0xffffff, v0
	s_cbranch_execz .LBB342_329
; %bb.322:                              ;   in Loop: Header=BB342_9 Depth=1
	v_mov_b32_e32 v1, 0x80
	v_bfrev_b32_e32 v89, 1
	v_cmp_ne_u32_sdwa s7, v0, v1 src0_sel:BYTE_3 src1_sel:DWORD
	s_and_saveexec_b32 s20, s7
	s_cbranch_execz .LBB342_328
; %bb.323:                              ;   in Loop: Header=BB342_9 Depth=1
	v_bfe_u32 v2, v0, 24, 7
	v_mov_b32_e32 v89, 0x7f800001
	s_mov_b32 s21, exec_lo
	v_cmpx_ne_u32_e32 0x7f, v2
	s_cbranch_execz .LBB342_327
; %bb.324:                              ;   in Loop: Header=BB342_9 Depth=1
	v_mov_b32_e32 v1, 7
	s_mov_b32 s22, exec_lo
	v_and_b32_sdwa v125, v0, v1 dst_sel:DWORD dst_unused:UNUSED_PAD src0_sel:BYTE_3 src1_sel:DWORD
	v_lshrrev_b32_e32 v1, 3, v2
	v_mov_b32_e32 v26, v125
	v_mov_b32_e32 v27, v126
	v_cmpx_gt_u32_e32 8, v2
; %bb.325:                              ;   in Loop: Header=BB342_9 Depth=1
	v_ffbh_u32_e32 v1, v125
	v_min_u32_e32 v1, 32, v1
	v_subrev_nc_u32_e32 v2, 28, v1
	v_sub_nc_u32_e32 v1, 29, v1
	v_lshlrev_b64 v[2:3], v2, v[125:126]
	v_and_b32_e32 v26, 7, v2
; %bb.326:                              ;   in Loop: Header=BB342_9 Depth=1
	s_or_b32 exec_lo, exec_lo, s22
	v_mov_b32_e32 v2, 24
	v_lshl_add_u32 v1, v1, 23, 0x3c000000
	v_lshlrev_b32_sdwa v0, v2, v0 dst_sel:DWORD dst_unused:UNUSED_PAD src0_sel:DWORD src1_sel:BYTE_3
	v_lshlrev_b32_e32 v2, 20, v26
	v_and_b32_e32 v0, 0x80000000, v0
	v_or3_b32 v89, v2, v0, v1
.LBB342_327:                            ;   in Loop: Header=BB342_9 Depth=1
	s_or_b32 exec_lo, exec_lo, s21
.LBB342_328:                            ;   in Loop: Header=BB342_9 Depth=1
	s_or_b32 exec_lo, exec_lo, s20
.LBB342_329:                            ;   in Loop: Header=BB342_9 Depth=1
	s_or_b32 exec_lo, exec_lo, s17
	flat_load_dword v0, v[24:25] offset:1280
	v_mov_b32_e32 v91, 0
	v_mov_b32_e32 v33, 0
	s_waitcnt vmcnt(0) lgkmcnt(0)
	v_cmp_ne_u16_sdwa s7, v0, v126 src0_sel:BYTE_0 src1_sel:DWORD
	s_and_saveexec_b32 s17, s7
	s_cbranch_execz .LBB342_337
; %bb.330:                              ;   in Loop: Header=BB342_9 Depth=1
	v_mov_b32_e32 v1, 0x80
	v_bfrev_b32_e32 v33, 1
	v_cmp_ne_u16_sdwa s7, v0, v1 src0_sel:BYTE_0 src1_sel:DWORD
	s_and_saveexec_b32 s20, s7
	s_cbranch_execz .LBB342_336
; %bb.331:                              ;   in Loop: Header=BB342_9 Depth=1
	v_and_b32_e32 v2, 0x7f, v0
	v_mov_b32_e32 v33, 0x7f800001
	s_mov_b32 s21, exec_lo
	v_cmpx_ne_u32_e32 0x7f, v2
	s_cbranch_execz .LBB342_335
; %bb.332:                              ;   in Loop: Header=BB342_9 Depth=1
	v_and_b32_e32 v125, 7, v0
	v_lshrrev_b32_e32 v1, 3, v2
	s_mov_b32 s22, exec_lo
	v_mov_b32_e32 v26, v125
	v_mov_b32_e32 v27, v126
	v_cmpx_gt_u32_e32 8, v2
; %bb.333:                              ;   in Loop: Header=BB342_9 Depth=1
	v_ffbh_u32_e32 v1, v125
	v_min_u32_e32 v1, 32, v1
	v_subrev_nc_u32_e32 v2, 28, v1
	v_sub_nc_u32_e32 v1, 29, v1
	v_lshlrev_b64 v[2:3], v2, v[125:126]
	v_and_b32_e32 v26, 7, v2
; %bb.334:                              ;   in Loop: Header=BB342_9 Depth=1
	s_or_b32 exec_lo, exec_lo, s22
	v_lshlrev_b32_e32 v2, 24, v0
	v_lshlrev_b32_e32 v3, 20, v26
	v_lshl_add_u32 v1, v1, 23, 0x3c000000
	v_and_b32_e32 v2, 0x80000000, v2
	v_or3_b32 v33, v3, v2, v1
.LBB342_335:                            ;   in Loop: Header=BB342_9 Depth=1
	s_or_b32 exec_lo, exec_lo, s21
.LBB342_336:                            ;   in Loop: Header=BB342_9 Depth=1
	s_or_b32 exec_lo, exec_lo, s20
.LBB342_337:                            ;   in Loop: Header=BB342_9 Depth=1
	s_or_b32 exec_lo, exec_lo, s17
	v_cmp_ne_u16_sdwa s7, v0, v126 src0_sel:BYTE_1 src1_sel:DWORD
	s_and_saveexec_b32 s17, s7
	s_cbranch_execz .LBB342_345
; %bb.338:                              ;   in Loop: Header=BB342_9 Depth=1
	v_mov_b32_e32 v1, 0x80
	v_bfrev_b32_e32 v91, 1
	v_cmp_ne_u16_sdwa s7, v0, v1 src0_sel:BYTE_1 src1_sel:DWORD
	s_and_saveexec_b32 s20, s7
	s_cbranch_execz .LBB342_344
; %bb.339:                              ;   in Loop: Header=BB342_9 Depth=1
	v_mov_b32_e32 v1, 0xffff
	v_mov_b32_e32 v91, 0x7f800001
	s_mov_b32 s21, exec_lo
	v_and_b32_sdwa v1, v1, v0 dst_sel:DWORD dst_unused:UNUSED_PAD src0_sel:DWORD src1_sel:BYTE_1
	v_and_b32_e32 v2, 0x7f, v1
	v_cmpx_ne_u32_e32 0x7f, v2
	s_cbranch_execz .LBB342_343
; %bb.340:                              ;   in Loop: Header=BB342_9 Depth=1
	v_and_b32_e32 v125, 7, v1
	v_lshrrev_b32_e32 v1, 3, v2
	s_mov_b32 s22, exec_lo
	v_mov_b32_e32 v26, v125
	v_mov_b32_e32 v27, v126
	v_cmpx_gt_u32_e32 8, v2
; %bb.341:                              ;   in Loop: Header=BB342_9 Depth=1
	v_ffbh_u32_e32 v1, v125
	v_min_u32_e32 v1, 32, v1
	v_subrev_nc_u32_e32 v2, 28, v1
	v_sub_nc_u32_e32 v1, 29, v1
	v_lshlrev_b64 v[2:3], v2, v[125:126]
	v_and_b32_e32 v26, 7, v2
; %bb.342:                              ;   in Loop: Header=BB342_9 Depth=1
	s_or_b32 exec_lo, exec_lo, s22
	v_lshlrev_b32_e32 v2, 16, v0
	v_lshlrev_b32_e32 v3, 20, v26
	v_lshl_add_u32 v1, v1, 23, 0x3c000000
	v_and_b32_e32 v2, 0x80000000, v2
	v_or3_b32 v91, v3, v2, v1
.LBB342_343:                            ;   in Loop: Header=BB342_9 Depth=1
	s_or_b32 exec_lo, exec_lo, s21
.LBB342_344:                            ;   in Loop: Header=BB342_9 Depth=1
	s_or_b32 exec_lo, exec_lo, s20
.LBB342_345:                            ;   in Loop: Header=BB342_9 Depth=1
	s_or_b32 exec_lo, exec_lo, s17
	v_mov_b32_e32 v1, 0xff
	v_mov_b32_e32 v92, 0
	;; [unrolled: 1-line block ×3, first 2 shown]
	s_mov_b32 s17, exec_lo
	v_and_b32_sdwa v1, v0, v1 dst_sel:DWORD dst_unused:UNUSED_PAD src0_sel:WORD_1 src1_sel:DWORD
	v_cmpx_ne_u16_e32 0, v1
	s_cbranch_execz .LBB342_353
; %bb.346:                              ;   in Loop: Header=BB342_9 Depth=1
	v_bfrev_b32_e32 v93, 1
	s_mov_b32 s20, exec_lo
	v_cmpx_ne_u16_e32 0x80, v1
	s_cbranch_execz .LBB342_352
; %bb.347:                              ;   in Loop: Header=BB342_9 Depth=1
	v_bfe_u32 v2, v0, 16, 7
	v_mov_b32_e32 v93, 0x7f800001
	s_mov_b32 s21, exec_lo
	v_cmpx_ne_u32_e32 0x7f, v2
	s_cbranch_execz .LBB342_351
; %bb.348:                              ;   in Loop: Header=BB342_9 Depth=1
	v_mov_b32_e32 v1, 7
	s_mov_b32 s22, exec_lo
	v_and_b32_sdwa v125, v0, v1 dst_sel:DWORD dst_unused:UNUSED_PAD src0_sel:WORD_1 src1_sel:DWORD
	v_lshrrev_b32_e32 v1, 3, v2
	v_mov_b32_e32 v26, v125
	v_mov_b32_e32 v27, v126
	v_cmpx_gt_u32_e32 8, v2
; %bb.349:                              ;   in Loop: Header=BB342_9 Depth=1
	v_ffbh_u32_e32 v1, v125
	v_min_u32_e32 v1, 32, v1
	v_subrev_nc_u32_e32 v2, 28, v1
	v_sub_nc_u32_e32 v1, 29, v1
	v_lshlrev_b64 v[2:3], v2, v[125:126]
	v_and_b32_e32 v26, 7, v2
; %bb.350:                              ;   in Loop: Header=BB342_9 Depth=1
	s_or_b32 exec_lo, exec_lo, s22
	v_mov_b32_e32 v2, 24
	v_lshlrev_b32_e32 v3, 20, v26
	v_lshl_add_u32 v1, v1, 23, 0x3c000000
	v_lshlrev_b32_sdwa v2, v2, v0 dst_sel:DWORD dst_unused:UNUSED_PAD src0_sel:DWORD src1_sel:WORD_1
	v_and_b32_e32 v2, 0x80000000, v2
	v_or3_b32 v93, v3, v2, v1
.LBB342_351:                            ;   in Loop: Header=BB342_9 Depth=1
	s_or_b32 exec_lo, exec_lo, s21
.LBB342_352:                            ;   in Loop: Header=BB342_9 Depth=1
	s_or_b32 exec_lo, exec_lo, s20
.LBB342_353:                            ;   in Loop: Header=BB342_9 Depth=1
	s_or_b32 exec_lo, exec_lo, s17
	s_mov_b32 s17, exec_lo
	v_cmpx_lt_u32_e32 0xffffff, v0
	s_cbranch_execz .LBB342_361
; %bb.354:                              ;   in Loop: Header=BB342_9 Depth=1
	v_mov_b32_e32 v1, 0x80
	v_bfrev_b32_e32 v92, 1
	v_cmp_ne_u32_sdwa s7, v0, v1 src0_sel:BYTE_3 src1_sel:DWORD
	s_and_saveexec_b32 s20, s7
	s_cbranch_execz .LBB342_360
; %bb.355:                              ;   in Loop: Header=BB342_9 Depth=1
	v_bfe_u32 v2, v0, 24, 7
	v_mov_b32_e32 v92, 0x7f800001
	s_mov_b32 s21, exec_lo
	v_cmpx_ne_u32_e32 0x7f, v2
	s_cbranch_execz .LBB342_359
; %bb.356:                              ;   in Loop: Header=BB342_9 Depth=1
	v_mov_b32_e32 v1, 7
	s_mov_b32 s22, exec_lo
	v_and_b32_sdwa v125, v0, v1 dst_sel:DWORD dst_unused:UNUSED_PAD src0_sel:BYTE_3 src1_sel:DWORD
	v_lshrrev_b32_e32 v1, 3, v2
	v_mov_b32_e32 v26, v125
	v_mov_b32_e32 v27, v126
	v_cmpx_gt_u32_e32 8, v2
; %bb.357:                              ;   in Loop: Header=BB342_9 Depth=1
	v_ffbh_u32_e32 v1, v125
	v_min_u32_e32 v1, 32, v1
	v_subrev_nc_u32_e32 v2, 28, v1
	v_sub_nc_u32_e32 v1, 29, v1
	v_lshlrev_b64 v[2:3], v2, v[125:126]
	v_and_b32_e32 v26, 7, v2
; %bb.358:                              ;   in Loop: Header=BB342_9 Depth=1
	s_or_b32 exec_lo, exec_lo, s22
	v_mov_b32_e32 v2, 24
	v_lshl_add_u32 v1, v1, 23, 0x3c000000
	v_lshlrev_b32_sdwa v0, v2, v0 dst_sel:DWORD dst_unused:UNUSED_PAD src0_sel:DWORD src1_sel:BYTE_3
	v_lshlrev_b32_e32 v2, 20, v26
	v_and_b32_e32 v0, 0x80000000, v0
	v_or3_b32 v92, v2, v0, v1
.LBB342_359:                            ;   in Loop: Header=BB342_9 Depth=1
	s_or_b32 exec_lo, exec_lo, s21
.LBB342_360:                            ;   in Loop: Header=BB342_9 Depth=1
	s_or_b32 exec_lo, exec_lo, s20
.LBB342_361:                            ;   in Loop: Header=BB342_9 Depth=1
	s_or_b32 exec_lo, exec_lo, s17
	flat_load_dword v0, v[24:25] offset:1288
	v_mov_b32_e32 v95, 0
	v_mov_b32_e32 v94, 0
	s_waitcnt vmcnt(0) lgkmcnt(0)
	v_cmp_ne_u16_sdwa s7, v0, v126 src0_sel:BYTE_0 src1_sel:DWORD
	s_and_saveexec_b32 s17, s7
	s_cbranch_execz .LBB342_369
; %bb.362:                              ;   in Loop: Header=BB342_9 Depth=1
	v_mov_b32_e32 v1, 0x80
	v_bfrev_b32_e32 v94, 1
	v_cmp_ne_u16_sdwa s7, v0, v1 src0_sel:BYTE_0 src1_sel:DWORD
	s_and_saveexec_b32 s20, s7
	s_cbranch_execz .LBB342_368
; %bb.363:                              ;   in Loop: Header=BB342_9 Depth=1
	v_and_b32_e32 v2, 0x7f, v0
	v_mov_b32_e32 v94, 0x7f800001
	s_mov_b32 s21, exec_lo
	v_cmpx_ne_u32_e32 0x7f, v2
	s_cbranch_execz .LBB342_367
; %bb.364:                              ;   in Loop: Header=BB342_9 Depth=1
	v_and_b32_e32 v125, 7, v0
	v_lshrrev_b32_e32 v1, 3, v2
	s_mov_b32 s22, exec_lo
	v_mov_b32_e32 v26, v125
	v_mov_b32_e32 v27, v126
	v_cmpx_gt_u32_e32 8, v2
; %bb.365:                              ;   in Loop: Header=BB342_9 Depth=1
	v_ffbh_u32_e32 v1, v125
	v_min_u32_e32 v1, 32, v1
	v_subrev_nc_u32_e32 v2, 28, v1
	v_sub_nc_u32_e32 v1, 29, v1
	v_lshlrev_b64 v[2:3], v2, v[125:126]
	v_and_b32_e32 v26, 7, v2
; %bb.366:                              ;   in Loop: Header=BB342_9 Depth=1
	s_or_b32 exec_lo, exec_lo, s22
	v_lshlrev_b32_e32 v2, 24, v0
	v_lshlrev_b32_e32 v3, 20, v26
	v_lshl_add_u32 v1, v1, 23, 0x3c000000
	v_and_b32_e32 v2, 0x80000000, v2
	v_or3_b32 v94, v3, v2, v1
.LBB342_367:                            ;   in Loop: Header=BB342_9 Depth=1
	s_or_b32 exec_lo, exec_lo, s21
.LBB342_368:                            ;   in Loop: Header=BB342_9 Depth=1
	s_or_b32 exec_lo, exec_lo, s20
.LBB342_369:                            ;   in Loop: Header=BB342_9 Depth=1
	s_or_b32 exec_lo, exec_lo, s17
	v_cmp_ne_u16_sdwa s7, v0, v126 src0_sel:BYTE_1 src1_sel:DWORD
	s_and_saveexec_b32 s17, s7
	s_cbranch_execz .LBB342_377
; %bb.370:                              ;   in Loop: Header=BB342_9 Depth=1
	v_mov_b32_e32 v1, 0x80
	v_bfrev_b32_e32 v95, 1
	v_cmp_ne_u16_sdwa s7, v0, v1 src0_sel:BYTE_1 src1_sel:DWORD
	s_and_saveexec_b32 s20, s7
	s_cbranch_execz .LBB342_376
; %bb.371:                              ;   in Loop: Header=BB342_9 Depth=1
	v_mov_b32_e32 v1, 0xffff
	v_mov_b32_e32 v95, 0x7f800001
	s_mov_b32 s21, exec_lo
	v_and_b32_sdwa v1, v1, v0 dst_sel:DWORD dst_unused:UNUSED_PAD src0_sel:DWORD src1_sel:BYTE_1
	v_and_b32_e32 v2, 0x7f, v1
	v_cmpx_ne_u32_e32 0x7f, v2
	s_cbranch_execz .LBB342_375
; %bb.372:                              ;   in Loop: Header=BB342_9 Depth=1
	v_and_b32_e32 v125, 7, v1
	v_lshrrev_b32_e32 v1, 3, v2
	s_mov_b32 s22, exec_lo
	v_mov_b32_e32 v26, v125
	v_mov_b32_e32 v27, v126
	v_cmpx_gt_u32_e32 8, v2
; %bb.373:                              ;   in Loop: Header=BB342_9 Depth=1
	v_ffbh_u32_e32 v1, v125
	v_min_u32_e32 v1, 32, v1
	v_subrev_nc_u32_e32 v2, 28, v1
	v_sub_nc_u32_e32 v1, 29, v1
	v_lshlrev_b64 v[2:3], v2, v[125:126]
	v_and_b32_e32 v26, 7, v2
; %bb.374:                              ;   in Loop: Header=BB342_9 Depth=1
	s_or_b32 exec_lo, exec_lo, s22
	v_lshlrev_b32_e32 v2, 16, v0
	v_lshlrev_b32_e32 v3, 20, v26
	v_lshl_add_u32 v1, v1, 23, 0x3c000000
	v_and_b32_e32 v2, 0x80000000, v2
	v_or3_b32 v95, v3, v2, v1
.LBB342_375:                            ;   in Loop: Header=BB342_9 Depth=1
	s_or_b32 exec_lo, exec_lo, s21
.LBB342_376:                            ;   in Loop: Header=BB342_9 Depth=1
	s_or_b32 exec_lo, exec_lo, s20
.LBB342_377:                            ;   in Loop: Header=BB342_9 Depth=1
	s_or_b32 exec_lo, exec_lo, s17
	v_mov_b32_e32 v1, 0xff
	v_mov_b32_e32 v104, 0
	;; [unrolled: 1-line block ×3, first 2 shown]
	s_mov_b32 s17, exec_lo
	v_and_b32_sdwa v1, v0, v1 dst_sel:DWORD dst_unused:UNUSED_PAD src0_sel:WORD_1 src1_sel:DWORD
	v_cmpx_ne_u16_e32 0, v1
	s_cbranch_execz .LBB342_385
; %bb.378:                              ;   in Loop: Header=BB342_9 Depth=1
	v_bfrev_b32_e32 v105, 1
	s_mov_b32 s20, exec_lo
	v_cmpx_ne_u16_e32 0x80, v1
	s_cbranch_execz .LBB342_384
; %bb.379:                              ;   in Loop: Header=BB342_9 Depth=1
	v_bfe_u32 v2, v0, 16, 7
	v_mov_b32_e32 v105, 0x7f800001
	s_mov_b32 s21, exec_lo
	v_cmpx_ne_u32_e32 0x7f, v2
	s_cbranch_execz .LBB342_383
; %bb.380:                              ;   in Loop: Header=BB342_9 Depth=1
	v_mov_b32_e32 v1, 7
	s_mov_b32 s22, exec_lo
	v_and_b32_sdwa v125, v0, v1 dst_sel:DWORD dst_unused:UNUSED_PAD src0_sel:WORD_1 src1_sel:DWORD
	v_lshrrev_b32_e32 v1, 3, v2
	v_mov_b32_e32 v26, v125
	v_mov_b32_e32 v27, v126
	v_cmpx_gt_u32_e32 8, v2
; %bb.381:                              ;   in Loop: Header=BB342_9 Depth=1
	v_ffbh_u32_e32 v1, v125
	v_min_u32_e32 v1, 32, v1
	v_subrev_nc_u32_e32 v2, 28, v1
	v_sub_nc_u32_e32 v1, 29, v1
	v_lshlrev_b64 v[2:3], v2, v[125:126]
	v_and_b32_e32 v26, 7, v2
; %bb.382:                              ;   in Loop: Header=BB342_9 Depth=1
	s_or_b32 exec_lo, exec_lo, s22
	v_mov_b32_e32 v2, 24
	v_lshlrev_b32_e32 v3, 20, v26
	v_lshl_add_u32 v1, v1, 23, 0x3c000000
	v_lshlrev_b32_sdwa v2, v2, v0 dst_sel:DWORD dst_unused:UNUSED_PAD src0_sel:DWORD src1_sel:WORD_1
	v_and_b32_e32 v2, 0x80000000, v2
	v_or3_b32 v105, v3, v2, v1
.LBB342_383:                            ;   in Loop: Header=BB342_9 Depth=1
	s_or_b32 exec_lo, exec_lo, s21
.LBB342_384:                            ;   in Loop: Header=BB342_9 Depth=1
	s_or_b32 exec_lo, exec_lo, s20
.LBB342_385:                            ;   in Loop: Header=BB342_9 Depth=1
	s_or_b32 exec_lo, exec_lo, s17
	s_mov_b32 s17, exec_lo
	v_cmpx_lt_u32_e32 0xffffff, v0
	s_cbranch_execz .LBB342_393
; %bb.386:                              ;   in Loop: Header=BB342_9 Depth=1
	v_mov_b32_e32 v1, 0x80
	v_bfrev_b32_e32 v104, 1
	v_cmp_ne_u32_sdwa s7, v0, v1 src0_sel:BYTE_3 src1_sel:DWORD
	s_and_saveexec_b32 s20, s7
	s_cbranch_execz .LBB342_392
; %bb.387:                              ;   in Loop: Header=BB342_9 Depth=1
	v_bfe_u32 v2, v0, 24, 7
	v_mov_b32_e32 v104, 0x7f800001
	s_mov_b32 s21, exec_lo
	v_cmpx_ne_u32_e32 0x7f, v2
	s_cbranch_execz .LBB342_391
; %bb.388:                              ;   in Loop: Header=BB342_9 Depth=1
	v_mov_b32_e32 v1, 7
	s_mov_b32 s22, exec_lo
	v_and_b32_sdwa v125, v0, v1 dst_sel:DWORD dst_unused:UNUSED_PAD src0_sel:BYTE_3 src1_sel:DWORD
	v_lshrrev_b32_e32 v1, 3, v2
	v_mov_b32_e32 v26, v125
	v_mov_b32_e32 v27, v126
	v_cmpx_gt_u32_e32 8, v2
; %bb.389:                              ;   in Loop: Header=BB342_9 Depth=1
	v_ffbh_u32_e32 v1, v125
	v_min_u32_e32 v1, 32, v1
	v_subrev_nc_u32_e32 v2, 28, v1
	v_sub_nc_u32_e32 v1, 29, v1
	v_lshlrev_b64 v[2:3], v2, v[125:126]
	v_and_b32_e32 v26, 7, v2
; %bb.390:                              ;   in Loop: Header=BB342_9 Depth=1
	s_or_b32 exec_lo, exec_lo, s22
	v_mov_b32_e32 v2, 24
	v_lshl_add_u32 v1, v1, 23, 0x3c000000
	v_lshlrev_b32_sdwa v0, v2, v0 dst_sel:DWORD dst_unused:UNUSED_PAD src0_sel:DWORD src1_sel:BYTE_3
	v_lshlrev_b32_e32 v2, 20, v26
	v_and_b32_e32 v0, 0x80000000, v0
	v_or3_b32 v104, v2, v0, v1
.LBB342_391:                            ;   in Loop: Header=BB342_9 Depth=1
	s_or_b32 exec_lo, exec_lo, s21
.LBB342_392:                            ;   in Loop: Header=BB342_9 Depth=1
	s_or_b32 exec_lo, exec_lo, s20
.LBB342_393:                            ;   in Loop: Header=BB342_9 Depth=1
	s_or_b32 exec_lo, exec_lo, s17
	flat_load_dword v0, v[24:25] offset:1536
	v_mov_b32_e32 v107, 0
	v_mov_b32_e32 v106, 0
	s_waitcnt vmcnt(0) lgkmcnt(0)
	v_cmp_ne_u16_sdwa s7, v0, v126 src0_sel:BYTE_0 src1_sel:DWORD
	s_and_saveexec_b32 s17, s7
	s_cbranch_execz .LBB342_401
; %bb.394:                              ;   in Loop: Header=BB342_9 Depth=1
	v_mov_b32_e32 v1, 0x80
	v_bfrev_b32_e32 v106, 1
	v_cmp_ne_u16_sdwa s7, v0, v1 src0_sel:BYTE_0 src1_sel:DWORD
	s_and_saveexec_b32 s20, s7
	s_cbranch_execz .LBB342_400
; %bb.395:                              ;   in Loop: Header=BB342_9 Depth=1
	v_and_b32_e32 v2, 0x7f, v0
	v_mov_b32_e32 v106, 0x7f800001
	s_mov_b32 s21, exec_lo
	v_cmpx_ne_u32_e32 0x7f, v2
	s_cbranch_execz .LBB342_399
; %bb.396:                              ;   in Loop: Header=BB342_9 Depth=1
	v_and_b32_e32 v125, 7, v0
	v_lshrrev_b32_e32 v1, 3, v2
	s_mov_b32 s22, exec_lo
	v_mov_b32_e32 v26, v125
	v_mov_b32_e32 v27, v126
	v_cmpx_gt_u32_e32 8, v2
; %bb.397:                              ;   in Loop: Header=BB342_9 Depth=1
	v_ffbh_u32_e32 v1, v125
	v_min_u32_e32 v1, 32, v1
	v_subrev_nc_u32_e32 v2, 28, v1
	v_sub_nc_u32_e32 v1, 29, v1
	v_lshlrev_b64 v[2:3], v2, v[125:126]
	v_and_b32_e32 v26, 7, v2
; %bb.398:                              ;   in Loop: Header=BB342_9 Depth=1
	s_or_b32 exec_lo, exec_lo, s22
	v_lshlrev_b32_e32 v2, 24, v0
	v_lshlrev_b32_e32 v3, 20, v26
	v_lshl_add_u32 v1, v1, 23, 0x3c000000
	v_and_b32_e32 v2, 0x80000000, v2
	v_or3_b32 v106, v3, v2, v1
.LBB342_399:                            ;   in Loop: Header=BB342_9 Depth=1
	s_or_b32 exec_lo, exec_lo, s21
.LBB342_400:                            ;   in Loop: Header=BB342_9 Depth=1
	s_or_b32 exec_lo, exec_lo, s20
.LBB342_401:                            ;   in Loop: Header=BB342_9 Depth=1
	s_or_b32 exec_lo, exec_lo, s17
	v_cmp_ne_u16_sdwa s7, v0, v126 src0_sel:BYTE_1 src1_sel:DWORD
	s_and_saveexec_b32 s17, s7
	s_cbranch_execz .LBB342_409
; %bb.402:                              ;   in Loop: Header=BB342_9 Depth=1
	v_mov_b32_e32 v1, 0x80
	v_bfrev_b32_e32 v107, 1
	v_cmp_ne_u16_sdwa s7, v0, v1 src0_sel:BYTE_1 src1_sel:DWORD
	s_and_saveexec_b32 s20, s7
	s_cbranch_execz .LBB342_408
; %bb.403:                              ;   in Loop: Header=BB342_9 Depth=1
	v_mov_b32_e32 v1, 0xffff
	v_mov_b32_e32 v107, 0x7f800001
	s_mov_b32 s21, exec_lo
	v_and_b32_sdwa v1, v1, v0 dst_sel:DWORD dst_unused:UNUSED_PAD src0_sel:DWORD src1_sel:BYTE_1
	v_and_b32_e32 v2, 0x7f, v1
	v_cmpx_ne_u32_e32 0x7f, v2
	s_cbranch_execz .LBB342_407
; %bb.404:                              ;   in Loop: Header=BB342_9 Depth=1
	v_and_b32_e32 v125, 7, v1
	v_lshrrev_b32_e32 v1, 3, v2
	s_mov_b32 s22, exec_lo
	v_mov_b32_e32 v26, v125
	v_mov_b32_e32 v27, v126
	v_cmpx_gt_u32_e32 8, v2
; %bb.405:                              ;   in Loop: Header=BB342_9 Depth=1
	v_ffbh_u32_e32 v1, v125
	v_min_u32_e32 v1, 32, v1
	v_subrev_nc_u32_e32 v2, 28, v1
	v_sub_nc_u32_e32 v1, 29, v1
	v_lshlrev_b64 v[2:3], v2, v[125:126]
	v_and_b32_e32 v26, 7, v2
; %bb.406:                              ;   in Loop: Header=BB342_9 Depth=1
	s_or_b32 exec_lo, exec_lo, s22
	v_lshlrev_b32_e32 v2, 16, v0
	v_lshlrev_b32_e32 v3, 20, v26
	v_lshl_add_u32 v1, v1, 23, 0x3c000000
	v_and_b32_e32 v2, 0x80000000, v2
	v_or3_b32 v107, v3, v2, v1
.LBB342_407:                            ;   in Loop: Header=BB342_9 Depth=1
	s_or_b32 exec_lo, exec_lo, s21
.LBB342_408:                            ;   in Loop: Header=BB342_9 Depth=1
	s_or_b32 exec_lo, exec_lo, s20
.LBB342_409:                            ;   in Loop: Header=BB342_9 Depth=1
	s_or_b32 exec_lo, exec_lo, s17
	v_mov_b32_e32 v1, 0xff
	v_mov_b32_e32 v108, 0
	;; [unrolled: 1-line block ×3, first 2 shown]
	s_mov_b32 s17, exec_lo
	v_and_b32_sdwa v1, v0, v1 dst_sel:DWORD dst_unused:UNUSED_PAD src0_sel:WORD_1 src1_sel:DWORD
	v_cmpx_ne_u16_e32 0, v1
	s_cbranch_execz .LBB342_417
; %bb.410:                              ;   in Loop: Header=BB342_9 Depth=1
	v_bfrev_b32_e32 v109, 1
	s_mov_b32 s20, exec_lo
	v_cmpx_ne_u16_e32 0x80, v1
	s_cbranch_execz .LBB342_416
; %bb.411:                              ;   in Loop: Header=BB342_9 Depth=1
	v_bfe_u32 v2, v0, 16, 7
	v_mov_b32_e32 v109, 0x7f800001
	s_mov_b32 s21, exec_lo
	v_cmpx_ne_u32_e32 0x7f, v2
	s_cbranch_execz .LBB342_415
; %bb.412:                              ;   in Loop: Header=BB342_9 Depth=1
	v_mov_b32_e32 v1, 7
	s_mov_b32 s22, exec_lo
	v_and_b32_sdwa v125, v0, v1 dst_sel:DWORD dst_unused:UNUSED_PAD src0_sel:WORD_1 src1_sel:DWORD
	v_lshrrev_b32_e32 v1, 3, v2
	v_mov_b32_e32 v26, v125
	v_mov_b32_e32 v27, v126
	v_cmpx_gt_u32_e32 8, v2
; %bb.413:                              ;   in Loop: Header=BB342_9 Depth=1
	v_ffbh_u32_e32 v1, v125
	v_min_u32_e32 v1, 32, v1
	v_subrev_nc_u32_e32 v2, 28, v1
	v_sub_nc_u32_e32 v1, 29, v1
	v_lshlrev_b64 v[2:3], v2, v[125:126]
	v_and_b32_e32 v26, 7, v2
; %bb.414:                              ;   in Loop: Header=BB342_9 Depth=1
	s_or_b32 exec_lo, exec_lo, s22
	v_mov_b32_e32 v2, 24
	v_lshlrev_b32_e32 v3, 20, v26
	v_lshl_add_u32 v1, v1, 23, 0x3c000000
	v_lshlrev_b32_sdwa v2, v2, v0 dst_sel:DWORD dst_unused:UNUSED_PAD src0_sel:DWORD src1_sel:WORD_1
	v_and_b32_e32 v2, 0x80000000, v2
	v_or3_b32 v109, v3, v2, v1
.LBB342_415:                            ;   in Loop: Header=BB342_9 Depth=1
	s_or_b32 exec_lo, exec_lo, s21
.LBB342_416:                            ;   in Loop: Header=BB342_9 Depth=1
	s_or_b32 exec_lo, exec_lo, s20
.LBB342_417:                            ;   in Loop: Header=BB342_9 Depth=1
	s_or_b32 exec_lo, exec_lo, s17
	s_mov_b32 s17, exec_lo
	v_cmpx_lt_u32_e32 0xffffff, v0
	s_cbranch_execz .LBB342_425
; %bb.418:                              ;   in Loop: Header=BB342_9 Depth=1
	v_mov_b32_e32 v1, 0x80
	v_bfrev_b32_e32 v108, 1
	v_cmp_ne_u32_sdwa s7, v0, v1 src0_sel:BYTE_3 src1_sel:DWORD
	s_and_saveexec_b32 s20, s7
	s_cbranch_execz .LBB342_424
; %bb.419:                              ;   in Loop: Header=BB342_9 Depth=1
	v_bfe_u32 v2, v0, 24, 7
	v_mov_b32_e32 v108, 0x7f800001
	s_mov_b32 s21, exec_lo
	v_cmpx_ne_u32_e32 0x7f, v2
	s_cbranch_execz .LBB342_423
; %bb.420:                              ;   in Loop: Header=BB342_9 Depth=1
	v_mov_b32_e32 v1, 7
	s_mov_b32 s22, exec_lo
	v_and_b32_sdwa v125, v0, v1 dst_sel:DWORD dst_unused:UNUSED_PAD src0_sel:BYTE_3 src1_sel:DWORD
	v_lshrrev_b32_e32 v1, 3, v2
	v_mov_b32_e32 v26, v125
	v_mov_b32_e32 v27, v126
	v_cmpx_gt_u32_e32 8, v2
; %bb.421:                              ;   in Loop: Header=BB342_9 Depth=1
	v_ffbh_u32_e32 v1, v125
	v_min_u32_e32 v1, 32, v1
	v_subrev_nc_u32_e32 v2, 28, v1
	v_sub_nc_u32_e32 v1, 29, v1
	v_lshlrev_b64 v[2:3], v2, v[125:126]
	v_and_b32_e32 v26, 7, v2
; %bb.422:                              ;   in Loop: Header=BB342_9 Depth=1
	s_or_b32 exec_lo, exec_lo, s22
	v_mov_b32_e32 v2, 24
	v_lshl_add_u32 v1, v1, 23, 0x3c000000
	v_lshlrev_b32_sdwa v0, v2, v0 dst_sel:DWORD dst_unused:UNUSED_PAD src0_sel:DWORD src1_sel:BYTE_3
	v_lshlrev_b32_e32 v2, 20, v26
	v_and_b32_e32 v0, 0x80000000, v0
	v_or3_b32 v108, v2, v0, v1
.LBB342_423:                            ;   in Loop: Header=BB342_9 Depth=1
	s_or_b32 exec_lo, exec_lo, s21
.LBB342_424:                            ;   in Loop: Header=BB342_9 Depth=1
	s_or_b32 exec_lo, exec_lo, s20
.LBB342_425:                            ;   in Loop: Header=BB342_9 Depth=1
	s_or_b32 exec_lo, exec_lo, s17
	flat_load_dword v0, v[24:25] offset:1544
	v_mov_b32_e32 v111, 0
	v_mov_b32_e32 v110, 0
	s_waitcnt vmcnt(0) lgkmcnt(0)
	v_cmp_ne_u16_sdwa s7, v0, v126 src0_sel:BYTE_0 src1_sel:DWORD
	s_and_saveexec_b32 s17, s7
	s_cbranch_execz .LBB342_433
; %bb.426:                              ;   in Loop: Header=BB342_9 Depth=1
	v_mov_b32_e32 v1, 0x80
	v_bfrev_b32_e32 v110, 1
	v_cmp_ne_u16_sdwa s7, v0, v1 src0_sel:BYTE_0 src1_sel:DWORD
	s_and_saveexec_b32 s20, s7
	s_cbranch_execz .LBB342_432
; %bb.427:                              ;   in Loop: Header=BB342_9 Depth=1
	v_and_b32_e32 v2, 0x7f, v0
	v_mov_b32_e32 v110, 0x7f800001
	s_mov_b32 s21, exec_lo
	v_cmpx_ne_u32_e32 0x7f, v2
	s_cbranch_execz .LBB342_431
; %bb.428:                              ;   in Loop: Header=BB342_9 Depth=1
	v_and_b32_e32 v125, 7, v0
	v_lshrrev_b32_e32 v1, 3, v2
	s_mov_b32 s22, exec_lo
	v_mov_b32_e32 v26, v125
	v_mov_b32_e32 v27, v126
	v_cmpx_gt_u32_e32 8, v2
; %bb.429:                              ;   in Loop: Header=BB342_9 Depth=1
	v_ffbh_u32_e32 v1, v125
	v_min_u32_e32 v1, 32, v1
	v_subrev_nc_u32_e32 v2, 28, v1
	v_sub_nc_u32_e32 v1, 29, v1
	v_lshlrev_b64 v[2:3], v2, v[125:126]
	v_and_b32_e32 v26, 7, v2
; %bb.430:                              ;   in Loop: Header=BB342_9 Depth=1
	s_or_b32 exec_lo, exec_lo, s22
	v_lshlrev_b32_e32 v2, 24, v0
	v_lshlrev_b32_e32 v3, 20, v26
	v_lshl_add_u32 v1, v1, 23, 0x3c000000
	v_and_b32_e32 v2, 0x80000000, v2
	v_or3_b32 v110, v3, v2, v1
.LBB342_431:                            ;   in Loop: Header=BB342_9 Depth=1
	s_or_b32 exec_lo, exec_lo, s21
.LBB342_432:                            ;   in Loop: Header=BB342_9 Depth=1
	s_or_b32 exec_lo, exec_lo, s20
.LBB342_433:                            ;   in Loop: Header=BB342_9 Depth=1
	s_or_b32 exec_lo, exec_lo, s17
	v_cmp_ne_u16_sdwa s7, v0, v126 src0_sel:BYTE_1 src1_sel:DWORD
	s_and_saveexec_b32 s17, s7
	s_cbranch_execz .LBB342_441
; %bb.434:                              ;   in Loop: Header=BB342_9 Depth=1
	v_mov_b32_e32 v1, 0x80
	v_bfrev_b32_e32 v111, 1
	v_cmp_ne_u16_sdwa s7, v0, v1 src0_sel:BYTE_1 src1_sel:DWORD
	s_and_saveexec_b32 s20, s7
	s_cbranch_execz .LBB342_440
; %bb.435:                              ;   in Loop: Header=BB342_9 Depth=1
	v_mov_b32_e32 v1, 0xffff
	v_mov_b32_e32 v111, 0x7f800001
	s_mov_b32 s21, exec_lo
	v_and_b32_sdwa v1, v1, v0 dst_sel:DWORD dst_unused:UNUSED_PAD src0_sel:DWORD src1_sel:BYTE_1
	v_and_b32_e32 v2, 0x7f, v1
	v_cmpx_ne_u32_e32 0x7f, v2
	s_cbranch_execz .LBB342_439
; %bb.436:                              ;   in Loop: Header=BB342_9 Depth=1
	v_and_b32_e32 v125, 7, v1
	v_lshrrev_b32_e32 v1, 3, v2
	s_mov_b32 s22, exec_lo
	v_mov_b32_e32 v26, v125
	v_mov_b32_e32 v27, v126
	v_cmpx_gt_u32_e32 8, v2
; %bb.437:                              ;   in Loop: Header=BB342_9 Depth=1
	v_ffbh_u32_e32 v1, v125
	v_min_u32_e32 v1, 32, v1
	v_subrev_nc_u32_e32 v2, 28, v1
	v_sub_nc_u32_e32 v1, 29, v1
	v_lshlrev_b64 v[2:3], v2, v[125:126]
	v_and_b32_e32 v26, 7, v2
; %bb.438:                              ;   in Loop: Header=BB342_9 Depth=1
	s_or_b32 exec_lo, exec_lo, s22
	v_lshlrev_b32_e32 v2, 16, v0
	v_lshlrev_b32_e32 v3, 20, v26
	v_lshl_add_u32 v1, v1, 23, 0x3c000000
	v_and_b32_e32 v2, 0x80000000, v2
	v_or3_b32 v111, v3, v2, v1
.LBB342_439:                            ;   in Loop: Header=BB342_9 Depth=1
	s_or_b32 exec_lo, exec_lo, s21
.LBB342_440:                            ;   in Loop: Header=BB342_9 Depth=1
	s_or_b32 exec_lo, exec_lo, s20
.LBB342_441:                            ;   in Loop: Header=BB342_9 Depth=1
	s_or_b32 exec_lo, exec_lo, s17
	v_mov_b32_e32 v1, 0xff
	v_mov_b32_e32 v120, 0
	v_mov_b32_e32 v121, 0
	s_mov_b32 s17, exec_lo
	v_and_b32_sdwa v1, v0, v1 dst_sel:DWORD dst_unused:UNUSED_PAD src0_sel:WORD_1 src1_sel:DWORD
	v_cmpx_ne_u16_e32 0, v1
	s_cbranch_execz .LBB342_449
; %bb.442:                              ;   in Loop: Header=BB342_9 Depth=1
	v_bfrev_b32_e32 v121, 1
	s_mov_b32 s20, exec_lo
	v_cmpx_ne_u16_e32 0x80, v1
	s_cbranch_execz .LBB342_448
; %bb.443:                              ;   in Loop: Header=BB342_9 Depth=1
	v_bfe_u32 v2, v0, 16, 7
	v_mov_b32_e32 v121, 0x7f800001
	s_mov_b32 s21, exec_lo
	v_cmpx_ne_u32_e32 0x7f, v2
	s_cbranch_execz .LBB342_447
; %bb.444:                              ;   in Loop: Header=BB342_9 Depth=1
	v_mov_b32_e32 v1, 7
	s_mov_b32 s22, exec_lo
	v_and_b32_sdwa v125, v0, v1 dst_sel:DWORD dst_unused:UNUSED_PAD src0_sel:WORD_1 src1_sel:DWORD
	v_lshrrev_b32_e32 v1, 3, v2
	v_mov_b32_e32 v26, v125
	v_mov_b32_e32 v27, v126
	v_cmpx_gt_u32_e32 8, v2
; %bb.445:                              ;   in Loop: Header=BB342_9 Depth=1
	v_ffbh_u32_e32 v1, v125
	v_min_u32_e32 v1, 32, v1
	v_subrev_nc_u32_e32 v2, 28, v1
	v_sub_nc_u32_e32 v1, 29, v1
	v_lshlrev_b64 v[2:3], v2, v[125:126]
	v_and_b32_e32 v26, 7, v2
; %bb.446:                              ;   in Loop: Header=BB342_9 Depth=1
	s_or_b32 exec_lo, exec_lo, s22
	v_mov_b32_e32 v2, 24
	v_lshlrev_b32_e32 v3, 20, v26
	v_lshl_add_u32 v1, v1, 23, 0x3c000000
	v_lshlrev_b32_sdwa v2, v2, v0 dst_sel:DWORD dst_unused:UNUSED_PAD src0_sel:DWORD src1_sel:WORD_1
	v_and_b32_e32 v2, 0x80000000, v2
	v_or3_b32 v121, v3, v2, v1
.LBB342_447:                            ;   in Loop: Header=BB342_9 Depth=1
	s_or_b32 exec_lo, exec_lo, s21
.LBB342_448:                            ;   in Loop: Header=BB342_9 Depth=1
	s_or_b32 exec_lo, exec_lo, s20
.LBB342_449:                            ;   in Loop: Header=BB342_9 Depth=1
	s_or_b32 exec_lo, exec_lo, s17
	s_mov_b32 s17, exec_lo
	v_cmpx_lt_u32_e32 0xffffff, v0
	s_cbranch_execz .LBB342_457
; %bb.450:                              ;   in Loop: Header=BB342_9 Depth=1
	v_mov_b32_e32 v1, 0x80
	v_bfrev_b32_e32 v120, 1
	v_cmp_ne_u32_sdwa s7, v0, v1 src0_sel:BYTE_3 src1_sel:DWORD
	s_and_saveexec_b32 s20, s7
	s_cbranch_execz .LBB342_456
; %bb.451:                              ;   in Loop: Header=BB342_9 Depth=1
	v_bfe_u32 v2, v0, 24, 7
	v_mov_b32_e32 v120, 0x7f800001
	s_mov_b32 s21, exec_lo
	v_cmpx_ne_u32_e32 0x7f, v2
	s_cbranch_execz .LBB342_455
; %bb.452:                              ;   in Loop: Header=BB342_9 Depth=1
	v_mov_b32_e32 v1, 7
	s_mov_b32 s22, exec_lo
	v_and_b32_sdwa v125, v0, v1 dst_sel:DWORD dst_unused:UNUSED_PAD src0_sel:BYTE_3 src1_sel:DWORD
	v_lshrrev_b32_e32 v1, 3, v2
	v_mov_b32_e32 v26, v125
	v_mov_b32_e32 v27, v126
	v_cmpx_gt_u32_e32 8, v2
; %bb.453:                              ;   in Loop: Header=BB342_9 Depth=1
	v_ffbh_u32_e32 v1, v125
	v_min_u32_e32 v1, 32, v1
	v_subrev_nc_u32_e32 v2, 28, v1
	v_sub_nc_u32_e32 v1, 29, v1
	v_lshlrev_b64 v[2:3], v2, v[125:126]
	v_and_b32_e32 v26, 7, v2
; %bb.454:                              ;   in Loop: Header=BB342_9 Depth=1
	s_or_b32 exec_lo, exec_lo, s22
	v_mov_b32_e32 v2, 24
	v_lshl_add_u32 v1, v1, 23, 0x3c000000
	v_lshlrev_b32_sdwa v0, v2, v0 dst_sel:DWORD dst_unused:UNUSED_PAD src0_sel:DWORD src1_sel:BYTE_3
	v_lshlrev_b32_e32 v2, 20, v26
	v_and_b32_e32 v0, 0x80000000, v0
	v_or3_b32 v120, v2, v0, v1
.LBB342_455:                            ;   in Loop: Header=BB342_9 Depth=1
	s_or_b32 exec_lo, exec_lo, s21
.LBB342_456:                            ;   in Loop: Header=BB342_9 Depth=1
	s_or_b32 exec_lo, exec_lo, s20
.LBB342_457:                            ;   in Loop: Header=BB342_9 Depth=1
	s_or_b32 exec_lo, exec_lo, s17
	flat_load_dword v0, v[24:25] offset:1792
	v_mov_b32_e32 v123, 0
	v_mov_b32_e32 v122, 0
	s_waitcnt vmcnt(0) lgkmcnt(0)
	v_cmp_ne_u16_sdwa s7, v0, v126 src0_sel:BYTE_0 src1_sel:DWORD
	s_and_saveexec_b32 s17, s7
	s_cbranch_execz .LBB342_465
; %bb.458:                              ;   in Loop: Header=BB342_9 Depth=1
	v_mov_b32_e32 v1, 0x80
	v_bfrev_b32_e32 v122, 1
	v_cmp_ne_u16_sdwa s7, v0, v1 src0_sel:BYTE_0 src1_sel:DWORD
	s_and_saveexec_b32 s20, s7
	s_cbranch_execz .LBB342_464
; %bb.459:                              ;   in Loop: Header=BB342_9 Depth=1
	v_and_b32_e32 v2, 0x7f, v0
	v_mov_b32_e32 v122, 0x7f800001
	s_mov_b32 s21, exec_lo
	v_cmpx_ne_u32_e32 0x7f, v2
	s_cbranch_execz .LBB342_463
; %bb.460:                              ;   in Loop: Header=BB342_9 Depth=1
	v_and_b32_e32 v125, 7, v0
	v_lshrrev_b32_e32 v1, 3, v2
	s_mov_b32 s22, exec_lo
	v_mov_b32_e32 v26, v125
	v_mov_b32_e32 v27, v126
	v_cmpx_gt_u32_e32 8, v2
; %bb.461:                              ;   in Loop: Header=BB342_9 Depth=1
	v_ffbh_u32_e32 v1, v125
	v_min_u32_e32 v1, 32, v1
	v_subrev_nc_u32_e32 v2, 28, v1
	v_sub_nc_u32_e32 v1, 29, v1
	v_lshlrev_b64 v[2:3], v2, v[125:126]
	v_and_b32_e32 v26, 7, v2
; %bb.462:                              ;   in Loop: Header=BB342_9 Depth=1
	s_or_b32 exec_lo, exec_lo, s22
	v_lshlrev_b32_e32 v2, 24, v0
	v_lshlrev_b32_e32 v3, 20, v26
	v_lshl_add_u32 v1, v1, 23, 0x3c000000
	v_and_b32_e32 v2, 0x80000000, v2
	v_or3_b32 v122, v3, v2, v1
.LBB342_463:                            ;   in Loop: Header=BB342_9 Depth=1
	s_or_b32 exec_lo, exec_lo, s21
.LBB342_464:                            ;   in Loop: Header=BB342_9 Depth=1
	s_or_b32 exec_lo, exec_lo, s20
.LBB342_465:                            ;   in Loop: Header=BB342_9 Depth=1
	s_or_b32 exec_lo, exec_lo, s17
	v_cmp_ne_u16_sdwa s7, v0, v126 src0_sel:BYTE_1 src1_sel:DWORD
	s_and_saveexec_b32 s17, s7
	s_cbranch_execz .LBB342_473
; %bb.466:                              ;   in Loop: Header=BB342_9 Depth=1
	v_mov_b32_e32 v1, 0x80
	v_bfrev_b32_e32 v123, 1
	v_cmp_ne_u16_sdwa s7, v0, v1 src0_sel:BYTE_1 src1_sel:DWORD
	s_and_saveexec_b32 s20, s7
	s_cbranch_execz .LBB342_472
; %bb.467:                              ;   in Loop: Header=BB342_9 Depth=1
	v_mov_b32_e32 v1, 0xffff
	v_mov_b32_e32 v123, 0x7f800001
	s_mov_b32 s21, exec_lo
	v_and_b32_sdwa v1, v1, v0 dst_sel:DWORD dst_unused:UNUSED_PAD src0_sel:DWORD src1_sel:BYTE_1
	v_and_b32_e32 v2, 0x7f, v1
	v_cmpx_ne_u32_e32 0x7f, v2
	s_cbranch_execz .LBB342_471
; %bb.468:                              ;   in Loop: Header=BB342_9 Depth=1
	v_and_b32_e32 v125, 7, v1
	v_lshrrev_b32_e32 v1, 3, v2
	s_mov_b32 s22, exec_lo
	v_mov_b32_e32 v26, v125
	v_mov_b32_e32 v27, v126
	v_cmpx_gt_u32_e32 8, v2
; %bb.469:                              ;   in Loop: Header=BB342_9 Depth=1
	v_ffbh_u32_e32 v1, v125
	v_min_u32_e32 v1, 32, v1
	v_subrev_nc_u32_e32 v2, 28, v1
	v_sub_nc_u32_e32 v1, 29, v1
	v_lshlrev_b64 v[2:3], v2, v[125:126]
	v_and_b32_e32 v26, 7, v2
; %bb.470:                              ;   in Loop: Header=BB342_9 Depth=1
	s_or_b32 exec_lo, exec_lo, s22
	v_lshlrev_b32_e32 v2, 16, v0
	v_lshlrev_b32_e32 v3, 20, v26
	v_lshl_add_u32 v1, v1, 23, 0x3c000000
	v_and_b32_e32 v2, 0x80000000, v2
	v_or3_b32 v123, v3, v2, v1
.LBB342_471:                            ;   in Loop: Header=BB342_9 Depth=1
	s_or_b32 exec_lo, exec_lo, s21
.LBB342_472:                            ;   in Loop: Header=BB342_9 Depth=1
	s_or_b32 exec_lo, exec_lo, s20
.LBB342_473:                            ;   in Loop: Header=BB342_9 Depth=1
	s_or_b32 exec_lo, exec_lo, s17
	v_mov_b32_e32 v1, 0xff
	v_mov_b32_e32 v124, 0
	;; [unrolled: 1-line block ×3, first 2 shown]
	s_mov_b32 s17, exec_lo
	v_and_b32_sdwa v1, v0, v1 dst_sel:DWORD dst_unused:UNUSED_PAD src0_sel:WORD_1 src1_sel:DWORD
	v_cmpx_ne_u16_e32 0, v1
	s_cbranch_execz .LBB342_481
; %bb.474:                              ;   in Loop: Header=BB342_9 Depth=1
	v_bfrev_b32_e32 v81, 1
	s_mov_b32 s20, exec_lo
	v_cmpx_ne_u16_e32 0x80, v1
	s_cbranch_execz .LBB342_480
; %bb.475:                              ;   in Loop: Header=BB342_9 Depth=1
	v_bfe_u32 v2, v0, 16, 7
	v_mov_b32_e32 v81, 0x7f800001
	s_mov_b32 s21, exec_lo
	v_cmpx_ne_u32_e32 0x7f, v2
	s_cbranch_execz .LBB342_479
; %bb.476:                              ;   in Loop: Header=BB342_9 Depth=1
	v_mov_b32_e32 v1, 7
	s_mov_b32 s22, exec_lo
	v_and_b32_sdwa v125, v0, v1 dst_sel:DWORD dst_unused:UNUSED_PAD src0_sel:WORD_1 src1_sel:DWORD
	v_lshrrev_b32_e32 v1, 3, v2
	v_mov_b32_e32 v26, v125
	v_mov_b32_e32 v27, v126
	v_cmpx_gt_u32_e32 8, v2
; %bb.477:                              ;   in Loop: Header=BB342_9 Depth=1
	v_ffbh_u32_e32 v1, v125
	v_min_u32_e32 v1, 32, v1
	v_subrev_nc_u32_e32 v2, 28, v1
	v_sub_nc_u32_e32 v1, 29, v1
	v_lshlrev_b64 v[2:3], v2, v[125:126]
	v_and_b32_e32 v26, 7, v2
; %bb.478:                              ;   in Loop: Header=BB342_9 Depth=1
	s_or_b32 exec_lo, exec_lo, s22
	v_mov_b32_e32 v2, 24
	v_lshlrev_b32_e32 v3, 20, v26
	v_lshl_add_u32 v1, v1, 23, 0x3c000000
	v_lshlrev_b32_sdwa v2, v2, v0 dst_sel:DWORD dst_unused:UNUSED_PAD src0_sel:DWORD src1_sel:WORD_1
	v_and_b32_e32 v2, 0x80000000, v2
	v_or3_b32 v81, v3, v2, v1
.LBB342_479:                            ;   in Loop: Header=BB342_9 Depth=1
	s_or_b32 exec_lo, exec_lo, s21
.LBB342_480:                            ;   in Loop: Header=BB342_9 Depth=1
	s_or_b32 exec_lo, exec_lo, s20
.LBB342_481:                            ;   in Loop: Header=BB342_9 Depth=1
	s_or_b32 exec_lo, exec_lo, s17
	s_mov_b32 s17, exec_lo
	v_cmpx_lt_u32_e32 0xffffff, v0
	s_cbranch_execz .LBB342_489
; %bb.482:                              ;   in Loop: Header=BB342_9 Depth=1
	v_mov_b32_e32 v1, 0x80
	v_bfrev_b32_e32 v124, 1
	v_cmp_ne_u32_sdwa s7, v0, v1 src0_sel:BYTE_3 src1_sel:DWORD
	s_and_saveexec_b32 s20, s7
	s_cbranch_execz .LBB342_488
; %bb.483:                              ;   in Loop: Header=BB342_9 Depth=1
	v_bfe_u32 v2, v0, 24, 7
	v_mov_b32_e32 v124, 0x7f800001
	s_mov_b32 s21, exec_lo
	v_cmpx_ne_u32_e32 0x7f, v2
	s_cbranch_execz .LBB342_487
; %bb.484:                              ;   in Loop: Header=BB342_9 Depth=1
	v_mov_b32_e32 v1, 7
	s_mov_b32 s22, exec_lo
	v_and_b32_sdwa v125, v0, v1 dst_sel:DWORD dst_unused:UNUSED_PAD src0_sel:BYTE_3 src1_sel:DWORD
	v_lshrrev_b32_e32 v1, 3, v2
	v_mov_b32_e32 v26, v125
	v_mov_b32_e32 v27, v126
	v_cmpx_gt_u32_e32 8, v2
; %bb.485:                              ;   in Loop: Header=BB342_9 Depth=1
	v_ffbh_u32_e32 v1, v125
	v_min_u32_e32 v1, 32, v1
	v_subrev_nc_u32_e32 v2, 28, v1
	v_sub_nc_u32_e32 v1, 29, v1
	v_lshlrev_b64 v[2:3], v2, v[125:126]
	v_and_b32_e32 v26, 7, v2
; %bb.486:                              ;   in Loop: Header=BB342_9 Depth=1
	s_or_b32 exec_lo, exec_lo, s22
	v_mov_b32_e32 v2, 24
	v_lshl_add_u32 v1, v1, 23, 0x3c000000
	v_lshlrev_b32_sdwa v0, v2, v0 dst_sel:DWORD dst_unused:UNUSED_PAD src0_sel:DWORD src1_sel:BYTE_3
	v_lshlrev_b32_e32 v2, 20, v26
	v_and_b32_e32 v0, 0x80000000, v0
	v_or3_b32 v124, v2, v0, v1
.LBB342_487:                            ;   in Loop: Header=BB342_9 Depth=1
	s_or_b32 exec_lo, exec_lo, s21
.LBB342_488:                            ;   in Loop: Header=BB342_9 Depth=1
	s_or_b32 exec_lo, exec_lo, s20
.LBB342_489:                            ;   in Loop: Header=BB342_9 Depth=1
	s_or_b32 exec_lo, exec_lo, s17
	flat_load_dword v0, v[24:25] offset:1800
	v_mov_b32_e32 v27, 0
	v_mov_b32_e32 v26, 0
	s_waitcnt vmcnt(0) lgkmcnt(0)
	v_cmp_ne_u16_sdwa s7, v0, v126 src0_sel:BYTE_0 src1_sel:DWORD
	s_and_saveexec_b32 s17, s7
	s_cbranch_execz .LBB342_497
; %bb.490:                              ;   in Loop: Header=BB342_9 Depth=1
	v_mov_b32_e32 v1, 0x80
	v_bfrev_b32_e32 v26, 1
	v_cmp_ne_u16_sdwa s7, v0, v1 src0_sel:BYTE_0 src1_sel:DWORD
	s_and_saveexec_b32 s20, s7
	s_cbranch_execz .LBB342_496
; %bb.491:                              ;   in Loop: Header=BB342_9 Depth=1
	v_and_b32_e32 v2, 0x7f, v0
	v_mov_b32_e32 v26, 0x7f800001
	s_mov_b32 s21, exec_lo
	v_cmpx_ne_u32_e32 0x7f, v2
	s_cbranch_execz .LBB342_495
; %bb.492:                              ;   in Loop: Header=BB342_9 Depth=1
	v_and_b32_e32 v125, 7, v0
	v_lshrrev_b32_e32 v1, 3, v2
	s_mov_b32 s22, exec_lo
	v_mov_b32_e32 v24, v125
	v_mov_b32_e32 v25, v126
	v_cmpx_gt_u32_e32 8, v2
; %bb.493:                              ;   in Loop: Header=BB342_9 Depth=1
	v_ffbh_u32_e32 v1, v125
	v_min_u32_e32 v1, 32, v1
	v_subrev_nc_u32_e32 v2, 28, v1
	v_sub_nc_u32_e32 v1, 29, v1
	v_lshlrev_b64 v[2:3], v2, v[125:126]
	v_and_b32_e32 v24, 7, v2
; %bb.494:                              ;   in Loop: Header=BB342_9 Depth=1
	s_or_b32 exec_lo, exec_lo, s22
	v_lshlrev_b32_e32 v2, 24, v0
	v_lshlrev_b32_e32 v3, 20, v24
	v_lshl_add_u32 v1, v1, 23, 0x3c000000
	v_and_b32_e32 v2, 0x80000000, v2
	v_or3_b32 v26, v3, v2, v1
.LBB342_495:                            ;   in Loop: Header=BB342_9 Depth=1
	s_or_b32 exec_lo, exec_lo, s21
.LBB342_496:                            ;   in Loop: Header=BB342_9 Depth=1
	s_or_b32 exec_lo, exec_lo, s20
.LBB342_497:                            ;   in Loop: Header=BB342_9 Depth=1
	s_or_b32 exec_lo, exec_lo, s17
	v_cmp_ne_u16_sdwa s7, v0, v126 src0_sel:BYTE_1 src1_sel:DWORD
	s_and_saveexec_b32 s17, s7
	s_cbranch_execz .LBB342_505
; %bb.498:                              ;   in Loop: Header=BB342_9 Depth=1
	v_mov_b32_e32 v1, 0x80
	v_bfrev_b32_e32 v27, 1
	v_cmp_ne_u16_sdwa s7, v0, v1 src0_sel:BYTE_1 src1_sel:DWORD
	s_and_saveexec_b32 s20, s7
	s_cbranch_execz .LBB342_504
; %bb.499:                              ;   in Loop: Header=BB342_9 Depth=1
	v_mov_b32_e32 v1, 0xffff
	v_mov_b32_e32 v27, 0x7f800001
	s_mov_b32 s21, exec_lo
	v_and_b32_sdwa v1, v1, v0 dst_sel:DWORD dst_unused:UNUSED_PAD src0_sel:DWORD src1_sel:BYTE_1
	v_and_b32_e32 v2, 0x7f, v1
	v_cmpx_ne_u32_e32 0x7f, v2
	s_cbranch_execz .LBB342_503
; %bb.500:                              ;   in Loop: Header=BB342_9 Depth=1
	v_and_b32_e32 v125, 7, v1
	v_lshrrev_b32_e32 v1, 3, v2
	s_mov_b32 s22, exec_lo
	v_mov_b32_e32 v24, v125
	v_mov_b32_e32 v25, v126
	v_cmpx_gt_u32_e32 8, v2
; %bb.501:                              ;   in Loop: Header=BB342_9 Depth=1
	v_ffbh_u32_e32 v1, v125
	v_min_u32_e32 v1, 32, v1
	v_subrev_nc_u32_e32 v2, 28, v1
	v_sub_nc_u32_e32 v1, 29, v1
	v_lshlrev_b64 v[2:3], v2, v[125:126]
	v_and_b32_e32 v24, 7, v2
; %bb.502:                              ;   in Loop: Header=BB342_9 Depth=1
	s_or_b32 exec_lo, exec_lo, s22
	v_lshlrev_b32_e32 v2, 16, v0
	v_lshlrev_b32_e32 v3, 20, v24
	v_lshl_add_u32 v1, v1, 23, 0x3c000000
	v_and_b32_e32 v2, 0x80000000, v2
	v_or3_b32 v27, v3, v2, v1
.LBB342_503:                            ;   in Loop: Header=BB342_9 Depth=1
	s_or_b32 exec_lo, exec_lo, s21
.LBB342_504:                            ;   in Loop: Header=BB342_9 Depth=1
	s_or_b32 exec_lo, exec_lo, s20
.LBB342_505:                            ;   in Loop: Header=BB342_9 Depth=1
	s_or_b32 exec_lo, exec_lo, s17
	v_mov_b32_e32 v1, 0xff
	v_mov_b32_e32 v12, 0
	;; [unrolled: 1-line block ×3, first 2 shown]
	s_mov_b32 s17, exec_lo
	v_and_b32_sdwa v1, v0, v1 dst_sel:DWORD dst_unused:UNUSED_PAD src0_sel:WORD_1 src1_sel:DWORD
	v_cmpx_ne_u16_e32 0, v1
	s_cbranch_execz .LBB342_513
; %bb.506:                              ;   in Loop: Header=BB342_9 Depth=1
	v_bfrev_b32_e32 v13, 1
	s_mov_b32 s20, exec_lo
	v_cmpx_ne_u16_e32 0x80, v1
	s_cbranch_execz .LBB342_512
; %bb.507:                              ;   in Loop: Header=BB342_9 Depth=1
	v_bfe_u32 v2, v0, 16, 7
	v_mov_b32_e32 v13, 0x7f800001
	s_mov_b32 s21, exec_lo
	v_cmpx_ne_u32_e32 0x7f, v2
	s_cbranch_execz .LBB342_511
; %bb.508:                              ;   in Loop: Header=BB342_9 Depth=1
	v_mov_b32_e32 v1, 7
	s_mov_b32 s22, exec_lo
	v_and_b32_sdwa v125, v0, v1 dst_sel:DWORD dst_unused:UNUSED_PAD src0_sel:WORD_1 src1_sel:DWORD
	v_lshrrev_b32_e32 v1, 3, v2
	v_mov_b32_e32 v24, v125
	v_mov_b32_e32 v25, v126
	v_cmpx_gt_u32_e32 8, v2
; %bb.509:                              ;   in Loop: Header=BB342_9 Depth=1
	v_ffbh_u32_e32 v1, v125
	v_min_u32_e32 v1, 32, v1
	v_subrev_nc_u32_e32 v2, 28, v1
	v_sub_nc_u32_e32 v1, 29, v1
	v_lshlrev_b64 v[2:3], v2, v[125:126]
	v_and_b32_e32 v24, 7, v2
; %bb.510:                              ;   in Loop: Header=BB342_9 Depth=1
	s_or_b32 exec_lo, exec_lo, s22
	v_mov_b32_e32 v2, 24
	v_lshlrev_b32_e32 v3, 20, v24
	v_lshl_add_u32 v1, v1, 23, 0x3c000000
	v_lshlrev_b32_sdwa v2, v2, v0 dst_sel:DWORD dst_unused:UNUSED_PAD src0_sel:DWORD src1_sel:WORD_1
	v_and_b32_e32 v2, 0x80000000, v2
	v_or3_b32 v13, v3, v2, v1
.LBB342_511:                            ;   in Loop: Header=BB342_9 Depth=1
	s_or_b32 exec_lo, exec_lo, s21
.LBB342_512:                            ;   in Loop: Header=BB342_9 Depth=1
	s_or_b32 exec_lo, exec_lo, s20
.LBB342_513:                            ;   in Loop: Header=BB342_9 Depth=1
	s_or_b32 exec_lo, exec_lo, s17
	s_mov_b32 s17, exec_lo
	v_cmpx_lt_u32_e32 0xffffff, v0
	s_cbranch_execz .LBB342_521
; %bb.514:                              ;   in Loop: Header=BB342_9 Depth=1
	v_mov_b32_e32 v1, 0x80
	v_bfrev_b32_e32 v12, 1
	v_cmp_ne_u32_sdwa s7, v0, v1 src0_sel:BYTE_3 src1_sel:DWORD
	s_and_saveexec_b32 s20, s7
	s_cbranch_execz .LBB342_520
; %bb.515:                              ;   in Loop: Header=BB342_9 Depth=1
	v_bfe_u32 v2, v0, 24, 7
	v_mov_b32_e32 v12, 0x7f800001
	s_mov_b32 s21, exec_lo
	v_cmpx_ne_u32_e32 0x7f, v2
	s_cbranch_execz .LBB342_519
; %bb.516:                              ;   in Loop: Header=BB342_9 Depth=1
	v_mov_b32_e32 v1, 7
	s_mov_b32 s22, exec_lo
	v_and_b32_sdwa v125, v0, v1 dst_sel:DWORD dst_unused:UNUSED_PAD src0_sel:BYTE_3 src1_sel:DWORD
	v_lshrrev_b32_e32 v1, 3, v2
	v_mov_b32_e32 v24, v125
	v_mov_b32_e32 v25, v126
	v_cmpx_gt_u32_e32 8, v2
; %bb.517:                              ;   in Loop: Header=BB342_9 Depth=1
	v_ffbh_u32_e32 v1, v125
	v_min_u32_e32 v1, 32, v1
	v_subrev_nc_u32_e32 v2, 28, v1
	v_sub_nc_u32_e32 v1, 29, v1
	v_lshlrev_b64 v[2:3], v2, v[125:126]
	v_and_b32_e32 v24, 7, v2
; %bb.518:                              ;   in Loop: Header=BB342_9 Depth=1
	s_or_b32 exec_lo, exec_lo, s22
	v_mov_b32_e32 v2, 24
	v_lshl_add_u32 v1, v1, 23, 0x3c000000
	v_lshlrev_b32_sdwa v0, v2, v0 dst_sel:DWORD dst_unused:UNUSED_PAD src0_sel:DWORD src1_sel:BYTE_3
	v_lshlrev_b32_e32 v2, 20, v24
	v_and_b32_e32 v0, 0x80000000, v0
	v_or3_b32 v12, v2, v0, v1
.LBB342_519:                            ;   in Loop: Header=BB342_9 Depth=1
	s_or_b32 exec_lo, exec_lo, s21
.LBB342_520:                            ;   in Loop: Header=BB342_9 Depth=1
	s_or_b32 exec_lo, exec_lo, s20
.LBB342_521:                            ;   in Loop: Header=BB342_9 Depth=1
	s_or_b32 exec_lo, exec_lo, s17
	buffer_load_dword v0, off, s[0:3], s32 offset:192 ; 4-byte Folded Reload
	v_add_co_u32 v2, s7, 0x800, v16
	v_add_co_ci_u32_e64 v3, null, 0, v17, s7
	v_mov_b32_e32 v28, 0
	s_waitcnt vmcnt(0)
	v_add_co_u32 v0, s7, v2, v0
	v_add_co_ci_u32_e64 v1, null, 0, v3, s7
	flat_load_dword v4, v[0:1]
	v_mov_b32_e32 v1, 0
	s_waitcnt vmcnt(0) lgkmcnt(0)
	v_cmp_ne_u16_sdwa s7, v4, v126 src0_sel:BYTE_0 src1_sel:DWORD
	s_and_saveexec_b32 s17, s7
	s_cbranch_execz .LBB342_529
; %bb.522:                              ;   in Loop: Header=BB342_9 Depth=1
	v_mov_b32_e32 v0, 0x80
	v_bfrev_b32_e32 v28, 1
	v_cmp_ne_u16_sdwa s7, v4, v0 src0_sel:BYTE_0 src1_sel:DWORD
	s_and_saveexec_b32 s20, s7
	s_cbranch_execz .LBB342_528
; %bb.523:                              ;   in Loop: Header=BB342_9 Depth=1
	v_and_b32_e32 v5, 0x7f, v4
	v_mov_b32_e32 v28, 0x7f800001
	s_mov_b32 s21, exec_lo
	v_cmpx_ne_u32_e32 0x7f, v5
	s_cbranch_execz .LBB342_527
; %bb.524:                              ;   in Loop: Header=BB342_9 Depth=1
	v_and_b32_e32 v125, 7, v4
	v_lshrrev_b32_e32 v0, 3, v5
	s_mov_b32 s22, exec_lo
	v_mov_b32_e32 v24, v125
	v_mov_b32_e32 v25, v126
	v_cmpx_gt_u32_e32 8, v5
; %bb.525:                              ;   in Loop: Header=BB342_9 Depth=1
	v_ffbh_u32_e32 v0, v125
	v_min_u32_e32 v0, 32, v0
	v_subrev_nc_u32_e32 v5, 28, v0
	v_sub_nc_u32_e32 v0, 29, v0
	v_lshlrev_b64 v[5:6], v5, v[125:126]
	v_and_b32_e32 v24, 7, v5
; %bb.526:                              ;   in Loop: Header=BB342_9 Depth=1
	s_or_b32 exec_lo, exec_lo, s22
	v_lshlrev_b32_e32 v5, 24, v4
	v_lshlrev_b32_e32 v6, 20, v24
	v_lshl_add_u32 v0, v0, 23, 0x3c000000
	v_and_b32_e32 v5, 0x80000000, v5
	v_or3_b32 v28, v6, v5, v0
.LBB342_527:                            ;   in Loop: Header=BB342_9 Depth=1
	s_or_b32 exec_lo, exec_lo, s21
.LBB342_528:                            ;   in Loop: Header=BB342_9 Depth=1
	s_or_b32 exec_lo, exec_lo, s20
.LBB342_529:                            ;   in Loop: Header=BB342_9 Depth=1
	s_or_b32 exec_lo, exec_lo, s17
	v_cmp_ne_u16_sdwa s7, v4, v126 src0_sel:BYTE_1 src1_sel:DWORD
	s_and_saveexec_b32 s17, s7
	s_cbranch_execz .LBB342_537
; %bb.530:                              ;   in Loop: Header=BB342_9 Depth=1
	v_mov_b32_e32 v0, 0x80
	v_bfrev_b32_e32 v1, 1
	v_cmp_ne_u16_sdwa s7, v4, v0 src0_sel:BYTE_1 src1_sel:DWORD
	s_and_saveexec_b32 s20, s7
	s_cbranch_execz .LBB342_536
; %bb.531:                              ;   in Loop: Header=BB342_9 Depth=1
	v_mov_b32_e32 v0, 0xffff
	v_mov_b32_e32 v1, 0x7f800001
	s_mov_b32 s21, exec_lo
	v_and_b32_sdwa v0, v0, v4 dst_sel:DWORD dst_unused:UNUSED_PAD src0_sel:DWORD src1_sel:BYTE_1
	v_and_b32_e32 v5, 0x7f, v0
	v_cmpx_ne_u32_e32 0x7f, v5
	s_cbranch_execz .LBB342_535
; %bb.532:                              ;   in Loop: Header=BB342_9 Depth=1
	v_and_b32_e32 v125, 7, v0
	v_lshrrev_b32_e32 v0, 3, v5
	s_mov_b32 s22, exec_lo
	v_mov_b32_e32 v24, v125
	v_mov_b32_e32 v25, v126
	v_cmpx_gt_u32_e32 8, v5
; %bb.533:                              ;   in Loop: Header=BB342_9 Depth=1
	v_ffbh_u32_e32 v0, v125
	v_min_u32_e32 v0, 32, v0
	v_subrev_nc_u32_e32 v1, 28, v0
	v_sub_nc_u32_e32 v0, 29, v0
	v_lshlrev_b64 v[5:6], v1, v[125:126]
	v_and_b32_e32 v24, 7, v5
; %bb.534:                              ;   in Loop: Header=BB342_9 Depth=1
	s_or_b32 exec_lo, exec_lo, s22
	v_lshlrev_b32_e32 v1, 16, v4
	v_lshlrev_b32_e32 v5, 20, v24
	v_lshl_add_u32 v0, v0, 23, 0x3c000000
	v_and_b32_e32 v1, 0x80000000, v1
	v_or3_b32 v1, v5, v1, v0
.LBB342_535:                            ;   in Loop: Header=BB342_9 Depth=1
	s_or_b32 exec_lo, exec_lo, s21
.LBB342_536:                            ;   in Loop: Header=BB342_9 Depth=1
	s_or_b32 exec_lo, exec_lo, s20
.LBB342_537:                            ;   in Loop: Header=BB342_9 Depth=1
	s_or_b32 exec_lo, exec_lo, s17
	v_mov_b32_e32 v0, 0xff
	v_mov_b32_e32 v31, 0
	s_mov_b32 s17, exec_lo
	v_and_b32_sdwa v5, v4, v0 dst_sel:DWORD dst_unused:UNUSED_PAD src0_sel:WORD_1 src1_sel:DWORD
	v_mov_b32_e32 v0, 0
	v_cmpx_ne_u16_e32 0, v5
	s_cbranch_execz .LBB342_545
; %bb.538:                              ;   in Loop: Header=BB342_9 Depth=1
	v_bfrev_b32_e32 v31, 1
	s_mov_b32 s20, exec_lo
	v_cmpx_ne_u16_e32 0x80, v5
	s_cbranch_execz .LBB342_544
; %bb.539:                              ;   in Loop: Header=BB342_9 Depth=1
	v_bfe_u32 v6, v4, 16, 7
	v_mov_b32_e32 v31, 0x7f800001
	s_mov_b32 s21, exec_lo
	v_cmpx_ne_u32_e32 0x7f, v6
	s_cbranch_execz .LBB342_543
; %bb.540:                              ;   in Loop: Header=BB342_9 Depth=1
	v_mov_b32_e32 v5, 7
	s_mov_b32 s22, exec_lo
	v_and_b32_sdwa v125, v4, v5 dst_sel:DWORD dst_unused:UNUSED_PAD src0_sel:WORD_1 src1_sel:DWORD
	v_lshrrev_b32_e32 v5, 3, v6
	v_mov_b32_e32 v24, v125
	v_mov_b32_e32 v25, v126
	v_cmpx_gt_u32_e32 8, v6
; %bb.541:                              ;   in Loop: Header=BB342_9 Depth=1
	v_ffbh_u32_e32 v5, v125
	v_min_u32_e32 v5, 32, v5
	v_subrev_nc_u32_e32 v6, 28, v5
	v_sub_nc_u32_e32 v5, 29, v5
	v_lshlrev_b64 v[6:7], v6, v[125:126]
	v_and_b32_e32 v24, 7, v6
; %bb.542:                              ;   in Loop: Header=BB342_9 Depth=1
	s_or_b32 exec_lo, exec_lo, s22
	v_mov_b32_e32 v6, 24
	v_lshlrev_b32_e32 v7, 20, v24
	v_lshl_add_u32 v5, v5, 23, 0x3c000000
	v_lshlrev_b32_sdwa v6, v6, v4 dst_sel:DWORD dst_unused:UNUSED_PAD src0_sel:DWORD src1_sel:WORD_1
	v_and_b32_e32 v6, 0x80000000, v6
	v_or3_b32 v31, v7, v6, v5
.LBB342_543:                            ;   in Loop: Header=BB342_9 Depth=1
	s_or_b32 exec_lo, exec_lo, s21
.LBB342_544:                            ;   in Loop: Header=BB342_9 Depth=1
	s_or_b32 exec_lo, exec_lo, s20
.LBB342_545:                            ;   in Loop: Header=BB342_9 Depth=1
	s_or_b32 exec_lo, exec_lo, s17
	s_mov_b32 s17, exec_lo
	v_cmpx_lt_u32_e32 0xffffff, v4
	s_cbranch_execz .LBB342_553
; %bb.546:                              ;   in Loop: Header=BB342_9 Depth=1
	v_mov_b32_e32 v0, 0x80
	v_cmp_ne_u32_sdwa s7, v4, v0 src0_sel:BYTE_3 src1_sel:DWORD
	v_bfrev_b32_e32 v0, 1
	s_and_saveexec_b32 s20, s7
	s_cbranch_execz .LBB342_552
; %bb.547:                              ;   in Loop: Header=BB342_9 Depth=1
	v_bfe_u32 v5, v4, 24, 7
	v_mov_b32_e32 v0, 0x7f800001
	s_mov_b32 s21, exec_lo
	v_cmpx_ne_u32_e32 0x7f, v5
	s_cbranch_execz .LBB342_551
; %bb.548:                              ;   in Loop: Header=BB342_9 Depth=1
	v_mov_b32_e32 v0, 7
	s_mov_b32 s22, exec_lo
	v_and_b32_sdwa v125, v4, v0 dst_sel:DWORD dst_unused:UNUSED_PAD src0_sel:BYTE_3 src1_sel:DWORD
	v_lshrrev_b32_e32 v0, 3, v5
	v_mov_b32_e32 v24, v125
	v_mov_b32_e32 v25, v126
	v_cmpx_gt_u32_e32 8, v5
; %bb.549:                              ;   in Loop: Header=BB342_9 Depth=1
	v_ffbh_u32_e32 v0, v125
	v_min_u32_e32 v0, 32, v0
	v_subrev_nc_u32_e32 v5, 28, v0
	v_sub_nc_u32_e32 v0, 29, v0
	v_lshlrev_b64 v[5:6], v5, v[125:126]
	v_and_b32_e32 v24, 7, v5
; %bb.550:                              ;   in Loop: Header=BB342_9 Depth=1
	s_or_b32 exec_lo, exec_lo, s22
	v_mov_b32_e32 v5, 24
	v_lshl_add_u32 v0, v0, 23, 0x3c000000
	v_lshlrev_b32_sdwa v4, v5, v4 dst_sel:DWORD dst_unused:UNUSED_PAD src0_sel:DWORD src1_sel:BYTE_3
	v_lshlrev_b32_e32 v5, 20, v24
	v_and_b32_e32 v4, 0x80000000, v4
	v_or3_b32 v0, v5, v4, v0
.LBB342_551:                            ;   in Loop: Header=BB342_9 Depth=1
	s_or_b32 exec_lo, exec_lo, s21
.LBB342_552:                            ;   in Loop: Header=BB342_9 Depth=1
	s_or_b32 exec_lo, exec_lo, s20
.LBB342_553:                            ;   in Loop: Header=BB342_9 Depth=1
	s_or_b32 exec_lo, exec_lo, s17
	buffer_load_dword v4, off, s[0:3], s32 offset:200 ; 4-byte Folded Reload
	v_mov_b32_e32 v19, 0
	v_mov_b32_e32 v30, 0
	s_waitcnt vmcnt(0)
	v_add_co_u32 v2, s7, v2, v4
	v_add_co_ci_u32_e64 v3, null, 0, v3, s7
	flat_load_dword v2, v[2:3]
	s_waitcnt vmcnt(0) lgkmcnt(0)
	v_cmp_ne_u16_sdwa s7, v2, v126 src0_sel:BYTE_0 src1_sel:DWORD
	s_and_saveexec_b32 s17, s7
	s_cbranch_execz .LBB342_561
; %bb.554:                              ;   in Loop: Header=BB342_9 Depth=1
	v_mov_b32_e32 v3, 0x80
	v_bfrev_b32_e32 v30, 1
	v_cmp_ne_u16_sdwa s7, v2, v3 src0_sel:BYTE_0 src1_sel:DWORD
	s_and_saveexec_b32 s20, s7
	s_cbranch_execz .LBB342_560
; %bb.555:                              ;   in Loop: Header=BB342_9 Depth=1
	v_and_b32_e32 v4, 0x7f, v2
	v_mov_b32_e32 v30, 0x7f800001
	s_mov_b32 s21, exec_lo
	v_cmpx_ne_u32_e32 0x7f, v4
	s_cbranch_execz .LBB342_559
; %bb.556:                              ;   in Loop: Header=BB342_9 Depth=1
	v_and_b32_e32 v125, 7, v2
	v_lshrrev_b32_e32 v3, 3, v4
	s_mov_b32 s22, exec_lo
	v_mov_b32_e32 v24, v125
	v_mov_b32_e32 v25, v126
	v_cmpx_gt_u32_e32 8, v4
; %bb.557:                              ;   in Loop: Header=BB342_9 Depth=1
	v_ffbh_u32_e32 v3, v125
	v_min_u32_e32 v3, 32, v3
	v_subrev_nc_u32_e32 v4, 28, v3
	v_sub_nc_u32_e32 v3, 29, v3
	v_lshlrev_b64 v[4:5], v4, v[125:126]
	v_and_b32_e32 v24, 7, v4
; %bb.558:                              ;   in Loop: Header=BB342_9 Depth=1
	s_or_b32 exec_lo, exec_lo, s22
	v_lshlrev_b32_e32 v4, 24, v2
	v_lshlrev_b32_e32 v5, 20, v24
	v_lshl_add_u32 v3, v3, 23, 0x3c000000
	v_and_b32_e32 v4, 0x80000000, v4
	v_or3_b32 v30, v5, v4, v3
.LBB342_559:                            ;   in Loop: Header=BB342_9 Depth=1
	s_or_b32 exec_lo, exec_lo, s21
.LBB342_560:                            ;   in Loop: Header=BB342_9 Depth=1
	s_or_b32 exec_lo, exec_lo, s20
.LBB342_561:                            ;   in Loop: Header=BB342_9 Depth=1
	s_or_b32 exec_lo, exec_lo, s17
	v_cmp_ne_u16_sdwa s7, v2, v126 src0_sel:BYTE_1 src1_sel:DWORD
	s_and_saveexec_b32 s17, s7
	s_cbranch_execz .LBB342_569
; %bb.562:                              ;   in Loop: Header=BB342_9 Depth=1
	v_mov_b32_e32 v3, 0x80
	v_bfrev_b32_e32 v19, 1
	v_cmp_ne_u16_sdwa s7, v2, v3 src0_sel:BYTE_1 src1_sel:DWORD
	s_and_saveexec_b32 s20, s7
	s_cbranch_execz .LBB342_568
; %bb.563:                              ;   in Loop: Header=BB342_9 Depth=1
	v_mov_b32_e32 v3, 0xffff
	v_mov_b32_e32 v19, 0x7f800001
	s_mov_b32 s21, exec_lo
	v_and_b32_sdwa v3, v3, v2 dst_sel:DWORD dst_unused:UNUSED_PAD src0_sel:DWORD src1_sel:BYTE_1
	v_and_b32_e32 v4, 0x7f, v3
	v_cmpx_ne_u32_e32 0x7f, v4
	s_cbranch_execz .LBB342_567
; %bb.564:                              ;   in Loop: Header=BB342_9 Depth=1
	v_and_b32_e32 v125, 7, v3
	v_lshrrev_b32_e32 v3, 3, v4
	s_mov_b32 s22, exec_lo
	v_mov_b32_e32 v24, v125
	v_mov_b32_e32 v25, v126
	v_cmpx_gt_u32_e32 8, v4
; %bb.565:                              ;   in Loop: Header=BB342_9 Depth=1
	v_ffbh_u32_e32 v3, v125
	v_min_u32_e32 v3, 32, v3
	v_subrev_nc_u32_e32 v4, 28, v3
	v_sub_nc_u32_e32 v3, 29, v3
	v_lshlrev_b64 v[4:5], v4, v[125:126]
	v_and_b32_e32 v24, 7, v4
; %bb.566:                              ;   in Loop: Header=BB342_9 Depth=1
	s_or_b32 exec_lo, exec_lo, s22
	v_lshlrev_b32_e32 v4, 16, v2
	v_lshlrev_b32_e32 v5, 20, v24
	v_lshl_add_u32 v3, v3, 23, 0x3c000000
	v_and_b32_e32 v4, 0x80000000, v4
	v_or3_b32 v19, v5, v4, v3
.LBB342_567:                            ;   in Loop: Header=BB342_9 Depth=1
	s_or_b32 exec_lo, exec_lo, s21
.LBB342_568:                            ;   in Loop: Header=BB342_9 Depth=1
	s_or_b32 exec_lo, exec_lo, s20
.LBB342_569:                            ;   in Loop: Header=BB342_9 Depth=1
	s_or_b32 exec_lo, exec_lo, s17
	v_mov_b32_e32 v3, 0xff
	v_mov_b32_e32 v7, 0
	v_mov_b32_e32 v6, 0
	s_mov_b32 s17, exec_lo
	v_and_b32_sdwa v3, v2, v3 dst_sel:DWORD dst_unused:UNUSED_PAD src0_sel:WORD_1 src1_sel:DWORD
	v_cmpx_ne_u16_e32 0, v3
	s_cbranch_execz .LBB342_577
; %bb.570:                              ;   in Loop: Header=BB342_9 Depth=1
	v_bfrev_b32_e32 v6, 1
	s_mov_b32 s20, exec_lo
	v_cmpx_ne_u16_e32 0x80, v3
	s_cbranch_execz .LBB342_576
; %bb.571:                              ;   in Loop: Header=BB342_9 Depth=1
	v_bfe_u32 v4, v2, 16, 7
	v_mov_b32_e32 v6, 0x7f800001
	s_mov_b32 s21, exec_lo
	v_cmpx_ne_u32_e32 0x7f, v4
	s_cbranch_execz .LBB342_575
; %bb.572:                              ;   in Loop: Header=BB342_9 Depth=1
	v_mov_b32_e32 v3, 7
	s_mov_b32 s22, exec_lo
	v_and_b32_sdwa v125, v2, v3 dst_sel:DWORD dst_unused:UNUSED_PAD src0_sel:WORD_1 src1_sel:DWORD
	v_lshrrev_b32_e32 v3, 3, v4
	v_mov_b32_e32 v24, v125
	v_mov_b32_e32 v25, v126
	v_cmpx_gt_u32_e32 8, v4
; %bb.573:                              ;   in Loop: Header=BB342_9 Depth=1
	v_ffbh_u32_e32 v3, v125
	v_min_u32_e32 v3, 32, v3
	v_subrev_nc_u32_e32 v4, 28, v3
	v_sub_nc_u32_e32 v3, 29, v3
	v_lshlrev_b64 v[4:5], v4, v[125:126]
	v_and_b32_e32 v24, 7, v4
; %bb.574:                              ;   in Loop: Header=BB342_9 Depth=1
	s_or_b32 exec_lo, exec_lo, s22
	v_mov_b32_e32 v4, 24
	v_lshlrev_b32_e32 v5, 20, v24
	v_lshl_add_u32 v3, v3, 23, 0x3c000000
	v_lshlrev_b32_sdwa v4, v4, v2 dst_sel:DWORD dst_unused:UNUSED_PAD src0_sel:DWORD src1_sel:WORD_1
	v_and_b32_e32 v4, 0x80000000, v4
	v_or3_b32 v6, v5, v4, v3
.LBB342_575:                            ;   in Loop: Header=BB342_9 Depth=1
	s_or_b32 exec_lo, exec_lo, s21
.LBB342_576:                            ;   in Loop: Header=BB342_9 Depth=1
	s_or_b32 exec_lo, exec_lo, s20
.LBB342_577:                            ;   in Loop: Header=BB342_9 Depth=1
	s_or_b32 exec_lo, exec_lo, s17
	s_mov_b32 s17, exec_lo
	v_cmpx_lt_u32_e32 0xffffff, v2
	s_cbranch_execz .LBB342_585
; %bb.578:                              ;   in Loop: Header=BB342_9 Depth=1
	v_mov_b32_e32 v3, 0x80
	v_bfrev_b32_e32 v7, 1
	v_cmp_ne_u32_sdwa s7, v2, v3 src0_sel:BYTE_3 src1_sel:DWORD
	s_and_saveexec_b32 s20, s7
	s_cbranch_execz .LBB342_584
; %bb.579:                              ;   in Loop: Header=BB342_9 Depth=1
	v_bfe_u32 v4, v2, 24, 7
	v_mov_b32_e32 v7, 0x7f800001
	s_mov_b32 s21, exec_lo
	v_cmpx_ne_u32_e32 0x7f, v4
	s_cbranch_execz .LBB342_583
; %bb.580:                              ;   in Loop: Header=BB342_9 Depth=1
	v_mov_b32_e32 v3, 7
	s_mov_b32 s22, exec_lo
	v_and_b32_sdwa v125, v2, v3 dst_sel:DWORD dst_unused:UNUSED_PAD src0_sel:BYTE_3 src1_sel:DWORD
	v_lshrrev_b32_e32 v3, 3, v4
	v_mov_b32_e32 v24, v125
	v_mov_b32_e32 v25, v126
	v_cmpx_gt_u32_e32 8, v4
; %bb.581:                              ;   in Loop: Header=BB342_9 Depth=1
	v_ffbh_u32_e32 v3, v125
	v_min_u32_e32 v3, 32, v3
	v_subrev_nc_u32_e32 v4, 28, v3
	v_sub_nc_u32_e32 v3, 29, v3
	v_lshlrev_b64 v[4:5], v4, v[125:126]
	v_and_b32_e32 v24, 7, v4
; %bb.582:                              ;   in Loop: Header=BB342_9 Depth=1
	s_or_b32 exec_lo, exec_lo, s22
	v_mov_b32_e32 v4, 24
	v_lshl_add_u32 v3, v3, 23, 0x3c000000
	v_lshlrev_b32_sdwa v2, v4, v2 dst_sel:DWORD dst_unused:UNUSED_PAD src0_sel:DWORD src1_sel:BYTE_3
	v_lshlrev_b32_e32 v4, 20, v24
	v_and_b32_e32 v2, 0x80000000, v2
	v_or3_b32 v7, v4, v2, v3
.LBB342_583:                            ;   in Loop: Header=BB342_9 Depth=1
	s_or_b32 exec_lo, exec_lo, s21
.LBB342_584:                            ;   in Loop: Header=BB342_9 Depth=1
	s_or_b32 exec_lo, exec_lo, s20
.LBB342_585:                            ;   in Loop: Header=BB342_9 Depth=1
	s_or_b32 exec_lo, exec_lo, s17
	buffer_load_dword v2, off, s[0:3], s32 offset:192 ; 4-byte Folded Reload
	v_add_co_u32 v3, s7, 0x900, v16
	v_add_co_ci_u32_e64 v4, null, 0, v17, s7
	v_mov_b32_e32 v10, 0
	v_mov_b32_e32 v11, 0
	s_waitcnt vmcnt(0)
	v_add_co_u32 v8, s7, v3, v2
	v_add_co_ci_u32_e64 v9, null, 0, v4, s7
	flat_load_dword v5, v[8:9]
	s_waitcnt vmcnt(0) lgkmcnt(0)
	v_cmp_ne_u16_sdwa s7, v5, v126 src0_sel:BYTE_0 src1_sel:DWORD
	s_and_saveexec_b32 s17, s7
	s_cbranch_execz .LBB342_593
; %bb.586:                              ;   in Loop: Header=BB342_9 Depth=1
	v_mov_b32_e32 v2, 0x80
	v_bfrev_b32_e32 v11, 1
	v_cmp_ne_u16_sdwa s7, v5, v2 src0_sel:BYTE_0 src1_sel:DWORD
	s_and_saveexec_b32 s20, s7
	s_cbranch_execz .LBB342_592
; %bb.587:                              ;   in Loop: Header=BB342_9 Depth=1
	v_and_b32_e32 v8, 0x7f, v5
	v_mov_b32_e32 v11, 0x7f800001
	s_mov_b32 s21, exec_lo
	v_cmpx_ne_u32_e32 0x7f, v8
	s_cbranch_execz .LBB342_591
; %bb.588:                              ;   in Loop: Header=BB342_9 Depth=1
	v_and_b32_e32 v125, 7, v5
	v_lshrrev_b32_e32 v2, 3, v8
	s_mov_b32 s22, exec_lo
	v_mov_b32_e32 v24, v125
	v_mov_b32_e32 v25, v126
	v_cmpx_gt_u32_e32 8, v8
; %bb.589:                              ;   in Loop: Header=BB342_9 Depth=1
	v_ffbh_u32_e32 v2, v125
	v_min_u32_e32 v2, 32, v2
	v_subrev_nc_u32_e32 v8, 28, v2
	v_sub_nc_u32_e32 v2, 29, v2
	v_lshlrev_b64 v[8:9], v8, v[125:126]
	v_and_b32_e32 v24, 7, v8
; %bb.590:                              ;   in Loop: Header=BB342_9 Depth=1
	s_or_b32 exec_lo, exec_lo, s22
	v_lshlrev_b32_e32 v8, 24, v5
	v_lshlrev_b32_e32 v9, 20, v24
	v_lshl_add_u32 v2, v2, 23, 0x3c000000
	v_and_b32_e32 v8, 0x80000000, v8
	v_or3_b32 v11, v9, v8, v2
.LBB342_591:                            ;   in Loop: Header=BB342_9 Depth=1
	s_or_b32 exec_lo, exec_lo, s21
.LBB342_592:                            ;   in Loop: Header=BB342_9 Depth=1
	s_or_b32 exec_lo, exec_lo, s20
.LBB342_593:                            ;   in Loop: Header=BB342_9 Depth=1
	s_or_b32 exec_lo, exec_lo, s17
	v_cmp_ne_u16_sdwa s7, v5, v126 src0_sel:BYTE_1 src1_sel:DWORD
	s_and_saveexec_b32 s17, s7
	s_cbranch_execz .LBB342_601
; %bb.594:                              ;   in Loop: Header=BB342_9 Depth=1
	v_mov_b32_e32 v2, 0x80
	v_bfrev_b32_e32 v10, 1
	v_cmp_ne_u16_sdwa s7, v5, v2 src0_sel:BYTE_1 src1_sel:DWORD
	s_and_saveexec_b32 s20, s7
	s_cbranch_execz .LBB342_600
; %bb.595:                              ;   in Loop: Header=BB342_9 Depth=1
	v_mov_b32_e32 v2, 0xffff
	v_mov_b32_e32 v10, 0x7f800001
	s_mov_b32 s21, exec_lo
	v_and_b32_sdwa v2, v2, v5 dst_sel:DWORD dst_unused:UNUSED_PAD src0_sel:DWORD src1_sel:BYTE_1
	v_and_b32_e32 v8, 0x7f, v2
	v_cmpx_ne_u32_e32 0x7f, v8
	s_cbranch_execz .LBB342_599
; %bb.596:                              ;   in Loop: Header=BB342_9 Depth=1
	v_and_b32_e32 v125, 7, v2
	v_lshrrev_b32_e32 v2, 3, v8
	s_mov_b32 s22, exec_lo
	v_mov_b32_e32 v24, v125
	v_mov_b32_e32 v25, v126
	v_cmpx_gt_u32_e32 8, v8
; %bb.597:                              ;   in Loop: Header=BB342_9 Depth=1
	v_ffbh_u32_e32 v2, v125
	v_min_u32_e32 v2, 32, v2
	v_subrev_nc_u32_e32 v8, 28, v2
	v_sub_nc_u32_e32 v2, 29, v2
	v_lshlrev_b64 v[8:9], v8, v[125:126]
	v_and_b32_e32 v24, 7, v8
; %bb.598:                              ;   in Loop: Header=BB342_9 Depth=1
	s_or_b32 exec_lo, exec_lo, s22
	v_lshlrev_b32_e32 v8, 16, v5
	v_lshlrev_b32_e32 v9, 20, v24
	v_lshl_add_u32 v2, v2, 23, 0x3c000000
	v_and_b32_e32 v8, 0x80000000, v8
	v_or3_b32 v10, v9, v8, v2
.LBB342_599:                            ;   in Loop: Header=BB342_9 Depth=1
	s_or_b32 exec_lo, exec_lo, s21
.LBB342_600:                            ;   in Loop: Header=BB342_9 Depth=1
	s_or_b32 exec_lo, exec_lo, s20
.LBB342_601:                            ;   in Loop: Header=BB342_9 Depth=1
	s_or_b32 exec_lo, exec_lo, s17
	v_mov_b32_e32 v2, 0xff
	v_mov_b32_e32 v8, 0
	s_mov_b32 s17, exec_lo
	v_and_b32_sdwa v9, v5, v2 dst_sel:DWORD dst_unused:UNUSED_PAD src0_sel:WORD_1 src1_sel:DWORD
	v_mov_b32_e32 v2, 0
	v_cmpx_ne_u16_e32 0, v9
	s_cbranch_execz .LBB342_609
; %bb.602:                              ;   in Loop: Header=BB342_9 Depth=1
	v_bfrev_b32_e32 v2, 1
	s_mov_b32 s20, exec_lo
	v_cmpx_ne_u16_e32 0x80, v9
	s_cbranch_execz .LBB342_608
; %bb.603:                              ;   in Loop: Header=BB342_9 Depth=1
	v_bfe_u32 v9, v5, 16, 7
	v_mov_b32_e32 v2, 0x7f800001
	s_mov_b32 s21, exec_lo
	v_cmpx_ne_u32_e32 0x7f, v9
	s_cbranch_execz .LBB342_607
; %bb.604:                              ;   in Loop: Header=BB342_9 Depth=1
	v_mov_b32_e32 v2, 7
	s_mov_b32 s22, exec_lo
	v_and_b32_sdwa v125, v5, v2 dst_sel:DWORD dst_unused:UNUSED_PAD src0_sel:WORD_1 src1_sel:DWORD
	v_lshrrev_b32_e32 v2, 3, v9
	v_mov_b32_e32 v24, v125
	v_mov_b32_e32 v25, v126
	v_cmpx_gt_u32_e32 8, v9
; %bb.605:                              ;   in Loop: Header=BB342_9 Depth=1
	v_ffbh_u32_e32 v2, v125
	v_min_u32_e32 v2, 32, v2
	v_subrev_nc_u32_e32 v9, 28, v2
	v_sub_nc_u32_e32 v2, 29, v2
	v_lshlrev_b64 v[20:21], v9, v[125:126]
	v_and_b32_e32 v24, 7, v20
; %bb.606:                              ;   in Loop: Header=BB342_9 Depth=1
	s_or_b32 exec_lo, exec_lo, s22
	v_mov_b32_e32 v9, 24
	v_lshlrev_b32_e32 v14, 20, v24
	v_lshl_add_u32 v2, v2, 23, 0x3c000000
	v_lshlrev_b32_sdwa v9, v9, v5 dst_sel:DWORD dst_unused:UNUSED_PAD src0_sel:DWORD src1_sel:WORD_1
	v_and_b32_e32 v9, 0x80000000, v9
	v_or3_b32 v2, v14, v9, v2
.LBB342_607:                            ;   in Loop: Header=BB342_9 Depth=1
	s_or_b32 exec_lo, exec_lo, s21
.LBB342_608:                            ;   in Loop: Header=BB342_9 Depth=1
	s_or_b32 exec_lo, exec_lo, s20
.LBB342_609:                            ;   in Loop: Header=BB342_9 Depth=1
	s_or_b32 exec_lo, exec_lo, s17
	s_mov_b32 s17, exec_lo
	v_cmpx_lt_u32_e32 0xffffff, v5
	s_cbranch_execz .LBB342_617
; %bb.610:                              ;   in Loop: Header=BB342_9 Depth=1
	v_mov_b32_e32 v8, 0x80
	v_cmp_ne_u32_sdwa s7, v5, v8 src0_sel:BYTE_3 src1_sel:DWORD
	v_bfrev_b32_e32 v8, 1
	s_and_saveexec_b32 s20, s7
	s_cbranch_execz .LBB342_616
; %bb.611:                              ;   in Loop: Header=BB342_9 Depth=1
	v_bfe_u32 v9, v5, 24, 7
	v_mov_b32_e32 v8, 0x7f800001
	s_mov_b32 s21, exec_lo
	v_cmpx_ne_u32_e32 0x7f, v9
	s_cbranch_execz .LBB342_615
; %bb.612:                              ;   in Loop: Header=BB342_9 Depth=1
	v_mov_b32_e32 v8, 7
	s_mov_b32 s22, exec_lo
	v_and_b32_sdwa v125, v5, v8 dst_sel:DWORD dst_unused:UNUSED_PAD src0_sel:BYTE_3 src1_sel:DWORD
	v_lshrrev_b32_e32 v8, 3, v9
	v_mov_b32_e32 v24, v125
	v_mov_b32_e32 v25, v126
	v_cmpx_gt_u32_e32 8, v9
; %bb.613:                              ;   in Loop: Header=BB342_9 Depth=1
	v_ffbh_u32_e32 v8, v125
	v_min_u32_e32 v8, 32, v8
	v_subrev_nc_u32_e32 v9, 28, v8
	v_sub_nc_u32_e32 v8, 29, v8
	v_lshlrev_b64 v[20:21], v9, v[125:126]
	v_and_b32_e32 v24, 7, v20
; %bb.614:                              ;   in Loop: Header=BB342_9 Depth=1
	s_or_b32 exec_lo, exec_lo, s22
	v_mov_b32_e32 v9, 24
	v_lshl_add_u32 v8, v8, 23, 0x3c000000
	v_lshlrev_b32_sdwa v5, v9, v5 dst_sel:DWORD dst_unused:UNUSED_PAD src0_sel:DWORD src1_sel:BYTE_3
	v_lshlrev_b32_e32 v9, 20, v24
	v_and_b32_e32 v5, 0x80000000, v5
	v_or3_b32 v8, v9, v5, v8
.LBB342_615:                            ;   in Loop: Header=BB342_9 Depth=1
	s_or_b32 exec_lo, exec_lo, s21
.LBB342_616:                            ;   in Loop: Header=BB342_9 Depth=1
	s_or_b32 exec_lo, exec_lo, s20
.LBB342_617:                            ;   in Loop: Header=BB342_9 Depth=1
	s_or_b32 exec_lo, exec_lo, s17
	buffer_load_dword v5, off, s[0:3], s32 offset:200 ; 4-byte Folded Reload
	v_mov_b32_e32 v65, 0
	s_waitcnt vmcnt(0)
	v_add_co_u32 v3, s7, v3, v5
	v_add_co_ci_u32_e64 v4, null, 0, v4, s7
	flat_load_dword v4, v[3:4]
	v_mov_b32_e32 v3, 0
	s_waitcnt vmcnt(0) lgkmcnt(0)
	v_cmp_ne_u16_sdwa s7, v4, v126 src0_sel:BYTE_0 src1_sel:DWORD
	s_and_saveexec_b32 s17, s7
	s_cbranch_execz .LBB342_625
; %bb.618:                              ;   in Loop: Header=BB342_9 Depth=1
	v_mov_b32_e32 v3, 0x80
	v_cmp_ne_u16_sdwa s7, v4, v3 src0_sel:BYTE_0 src1_sel:DWORD
	v_bfrev_b32_e32 v3, 1
	s_and_saveexec_b32 s20, s7
	s_cbranch_execz .LBB342_624
; %bb.619:                              ;   in Loop: Header=BB342_9 Depth=1
	v_and_b32_e32 v5, 0x7f, v4
	v_mov_b32_e32 v3, 0x7f800001
	s_mov_b32 s21, exec_lo
	v_cmpx_ne_u32_e32 0x7f, v5
	s_cbranch_execz .LBB342_623
; %bb.620:                              ;   in Loop: Header=BB342_9 Depth=1
	v_and_b32_e32 v125, 7, v4
	v_lshrrev_b32_e32 v3, 3, v5
	s_mov_b32 s22, exec_lo
	v_mov_b32_e32 v24, v125
	v_mov_b32_e32 v25, v126
	v_cmpx_gt_u32_e32 8, v5
; %bb.621:                              ;   in Loop: Header=BB342_9 Depth=1
	v_ffbh_u32_e32 v3, v125
	v_min_u32_e32 v3, 32, v3
	v_subrev_nc_u32_e32 v5, 28, v3
	v_sub_nc_u32_e32 v3, 29, v3
	v_lshlrev_b64 v[20:21], v5, v[125:126]
	v_and_b32_e32 v24, 7, v20
; %bb.622:                              ;   in Loop: Header=BB342_9 Depth=1
	s_or_b32 exec_lo, exec_lo, s22
	v_lshlrev_b32_e32 v5, 24, v4
	v_lshlrev_b32_e32 v9, 20, v24
	v_lshl_add_u32 v3, v3, 23, 0x3c000000
	v_and_b32_e32 v5, 0x80000000, v5
	v_or3_b32 v3, v9, v5, v3
.LBB342_623:                            ;   in Loop: Header=BB342_9 Depth=1
	s_or_b32 exec_lo, exec_lo, s21
.LBB342_624:                            ;   in Loop: Header=BB342_9 Depth=1
	s_or_b32 exec_lo, exec_lo, s20
.LBB342_625:                            ;   in Loop: Header=BB342_9 Depth=1
	s_or_b32 exec_lo, exec_lo, s17
	v_cmp_ne_u16_sdwa s7, v4, v126 src0_sel:BYTE_1 src1_sel:DWORD
	s_and_saveexec_b32 s17, s7
	s_cbranch_execz .LBB342_633
; %bb.626:                              ;   in Loop: Header=BB342_9 Depth=1
	v_mov_b32_e32 v5, 0x80
	v_bfrev_b32_e32 v65, 1
	v_cmp_ne_u16_sdwa s7, v4, v5 src0_sel:BYTE_1 src1_sel:DWORD
	s_and_saveexec_b32 s20, s7
	s_cbranch_execz .LBB342_632
; %bb.627:                              ;   in Loop: Header=BB342_9 Depth=1
	v_mov_b32_e32 v5, 0xffff
	v_mov_b32_e32 v65, 0x7f800001
	s_mov_b32 s21, exec_lo
	v_and_b32_sdwa v5, v5, v4 dst_sel:DWORD dst_unused:UNUSED_PAD src0_sel:DWORD src1_sel:BYTE_1
	v_and_b32_e32 v9, 0x7f, v5
	v_cmpx_ne_u32_e32 0x7f, v9
	s_cbranch_execz .LBB342_631
; %bb.628:                              ;   in Loop: Header=BB342_9 Depth=1
	v_and_b32_e32 v125, 7, v5
	v_lshrrev_b32_e32 v5, 3, v9
	s_mov_b32 s22, exec_lo
	v_mov_b32_e32 v24, v125
	v_mov_b32_e32 v25, v126
	v_cmpx_gt_u32_e32 8, v9
; %bb.629:                              ;   in Loop: Header=BB342_9 Depth=1
	v_ffbh_u32_e32 v5, v125
	v_min_u32_e32 v5, 32, v5
	v_subrev_nc_u32_e32 v9, 28, v5
	v_sub_nc_u32_e32 v5, 29, v5
	v_lshlrev_b64 v[20:21], v9, v[125:126]
	v_and_b32_e32 v24, 7, v20
; %bb.630:                              ;   in Loop: Header=BB342_9 Depth=1
	s_or_b32 exec_lo, exec_lo, s22
	v_lshlrev_b32_e32 v9, 16, v4
	v_lshlrev_b32_e32 v14, 20, v24
	v_lshl_add_u32 v5, v5, 23, 0x3c000000
	v_and_b32_e32 v9, 0x80000000, v9
	v_or3_b32 v65, v14, v9, v5
.LBB342_631:                            ;   in Loop: Header=BB342_9 Depth=1
	s_or_b32 exec_lo, exec_lo, s21
.LBB342_632:                            ;   in Loop: Header=BB342_9 Depth=1
	s_or_b32 exec_lo, exec_lo, s20
.LBB342_633:                            ;   in Loop: Header=BB342_9 Depth=1
	s_or_b32 exec_lo, exec_lo, s17
	v_mov_b32_e32 v5, 0xff
	v_mov_b32_e32 v29, 0
	;; [unrolled: 1-line block ×3, first 2 shown]
	s_mov_b32 s17, exec_lo
	v_and_b32_sdwa v5, v4, v5 dst_sel:DWORD dst_unused:UNUSED_PAD src0_sel:WORD_1 src1_sel:DWORD
	v_cmpx_ne_u16_e32 0, v5
	s_cbranch_execz .LBB342_641
; %bb.634:                              ;   in Loop: Header=BB342_9 Depth=1
	v_bfrev_b32_e32 v66, 1
	s_mov_b32 s20, exec_lo
	v_cmpx_ne_u16_e32 0x80, v5
	s_cbranch_execz .LBB342_640
; %bb.635:                              ;   in Loop: Header=BB342_9 Depth=1
	v_bfe_u32 v9, v4, 16, 7
	v_mov_b32_e32 v66, 0x7f800001
	s_mov_b32 s21, exec_lo
	v_cmpx_ne_u32_e32 0x7f, v9
	s_cbranch_execz .LBB342_639
; %bb.636:                              ;   in Loop: Header=BB342_9 Depth=1
	v_mov_b32_e32 v5, 7
	s_mov_b32 s22, exec_lo
	v_and_b32_sdwa v125, v4, v5 dst_sel:DWORD dst_unused:UNUSED_PAD src0_sel:WORD_1 src1_sel:DWORD
	v_lshrrev_b32_e32 v5, 3, v9
	v_mov_b32_e32 v24, v125
	v_mov_b32_e32 v25, v126
	v_cmpx_gt_u32_e32 8, v9
; %bb.637:                              ;   in Loop: Header=BB342_9 Depth=1
	v_ffbh_u32_e32 v5, v125
	v_min_u32_e32 v5, 32, v5
	v_subrev_nc_u32_e32 v9, 28, v5
	v_sub_nc_u32_e32 v5, 29, v5
	v_lshlrev_b64 v[20:21], v9, v[125:126]
	v_and_b32_e32 v24, 7, v20
; %bb.638:                              ;   in Loop: Header=BB342_9 Depth=1
	s_or_b32 exec_lo, exec_lo, s22
	v_mov_b32_e32 v9, 24
	v_lshlrev_b32_e32 v14, 20, v24
	v_lshl_add_u32 v5, v5, 23, 0x3c000000
	v_lshlrev_b32_sdwa v9, v9, v4 dst_sel:DWORD dst_unused:UNUSED_PAD src0_sel:DWORD src1_sel:WORD_1
	v_and_b32_e32 v9, 0x80000000, v9
	v_or3_b32 v66, v14, v9, v5
.LBB342_639:                            ;   in Loop: Header=BB342_9 Depth=1
	s_or_b32 exec_lo, exec_lo, s21
.LBB342_640:                            ;   in Loop: Header=BB342_9 Depth=1
	s_or_b32 exec_lo, exec_lo, s20
.LBB342_641:                            ;   in Loop: Header=BB342_9 Depth=1
	s_or_b32 exec_lo, exec_lo, s17
	s_mov_b32 s17, exec_lo
	v_cmpx_lt_u32_e32 0xffffff, v4
	s_cbranch_execz .LBB342_649
; %bb.642:                              ;   in Loop: Header=BB342_9 Depth=1
	v_mov_b32_e32 v5, 0x80
	v_bfrev_b32_e32 v29, 1
	v_cmp_ne_u32_sdwa s7, v4, v5 src0_sel:BYTE_3 src1_sel:DWORD
	s_and_saveexec_b32 s20, s7
	s_cbranch_execz .LBB342_648
; %bb.643:                              ;   in Loop: Header=BB342_9 Depth=1
	v_bfe_u32 v9, v4, 24, 7
	v_mov_b32_e32 v29, 0x7f800001
	s_mov_b32 s21, exec_lo
	v_cmpx_ne_u32_e32 0x7f, v9
	s_cbranch_execz .LBB342_647
; %bb.644:                              ;   in Loop: Header=BB342_9 Depth=1
	v_mov_b32_e32 v5, 7
	s_mov_b32 s22, exec_lo
	v_and_b32_sdwa v125, v4, v5 dst_sel:DWORD dst_unused:UNUSED_PAD src0_sel:BYTE_3 src1_sel:DWORD
	v_lshrrev_b32_e32 v5, 3, v9
	v_mov_b32_e32 v24, v125
	v_mov_b32_e32 v25, v126
	v_cmpx_gt_u32_e32 8, v9
; %bb.645:                              ;   in Loop: Header=BB342_9 Depth=1
	v_ffbh_u32_e32 v5, v125
	v_min_u32_e32 v5, 32, v5
	v_subrev_nc_u32_e32 v9, 28, v5
	v_sub_nc_u32_e32 v5, 29, v5
	v_lshlrev_b64 v[20:21], v9, v[125:126]
	v_and_b32_e32 v24, 7, v20
; %bb.646:                              ;   in Loop: Header=BB342_9 Depth=1
	s_or_b32 exec_lo, exec_lo, s22
	v_mov_b32_e32 v9, 24
	v_lshl_add_u32 v5, v5, 23, 0x3c000000
	v_lshlrev_b32_sdwa v4, v9, v4 dst_sel:DWORD dst_unused:UNUSED_PAD src0_sel:DWORD src1_sel:BYTE_3
	v_lshlrev_b32_e32 v9, 20, v24
	v_and_b32_e32 v4, 0x80000000, v4
	v_or3_b32 v29, v9, v4, v5
.LBB342_647:                            ;   in Loop: Header=BB342_9 Depth=1
	s_or_b32 exec_lo, exec_lo, s21
.LBB342_648:                            ;   in Loop: Header=BB342_9 Depth=1
	s_or_b32 exec_lo, exec_lo, s20
.LBB342_649:                            ;   in Loop: Header=BB342_9 Depth=1
	s_or_b32 exec_lo, exec_lo, s17
	buffer_load_dword v9, off, s[0:3], s32 offset:192 ; 4-byte Folded Reload
	v_add_co_u32 v4, s7, 0xa00, v16
	v_add_co_ci_u32_e64 v5, null, 0, v17, s7
	v_mov_b32_e32 v22, 0
	v_mov_b32_e32 v23, 0
	s_waitcnt vmcnt(0)
	v_add_co_u32 v20, s7, v4, v9
	v_add_co_ci_u32_e64 v21, null, 0, v5, s7
	flat_load_dword v18, v[20:21]
	s_waitcnt vmcnt(0) lgkmcnt(0)
	v_cmp_ne_u16_sdwa s7, v18, v126 src0_sel:BYTE_0 src1_sel:DWORD
	s_and_saveexec_b32 s17, s7
	s_cbranch_execz .LBB342_657
; %bb.650:                              ;   in Loop: Header=BB342_9 Depth=1
	v_mov_b32_e32 v9, 0x80
	v_bfrev_b32_e32 v23, 1
	v_cmp_ne_u16_sdwa s7, v18, v9 src0_sel:BYTE_0 src1_sel:DWORD
	s_and_saveexec_b32 s20, s7
	s_cbranch_execz .LBB342_656
; %bb.651:                              ;   in Loop: Header=BB342_9 Depth=1
	v_and_b32_e32 v20, 0x7f, v18
	v_mov_b32_e32 v23, 0x7f800001
	s_mov_b32 s21, exec_lo
	v_cmpx_ne_u32_e32 0x7f, v20
	s_cbranch_execz .LBB342_655
; %bb.652:                              ;   in Loop: Header=BB342_9 Depth=1
	v_and_b32_e32 v125, 7, v18
	v_lshrrev_b32_e32 v9, 3, v20
	s_mov_b32 s22, exec_lo
	v_mov_b32_e32 v24, v125
	v_mov_b32_e32 v25, v126
	v_cmpx_gt_u32_e32 8, v20
; %bb.653:                              ;   in Loop: Header=BB342_9 Depth=1
	v_ffbh_u32_e32 v9, v125
	v_min_u32_e32 v9, 32, v9
	v_subrev_nc_u32_e32 v20, 28, v9
	v_sub_nc_u32_e32 v9, 29, v9
	v_lshlrev_b64 v[20:21], v20, v[125:126]
	v_and_b32_e32 v24, 7, v20
; %bb.654:                              ;   in Loop: Header=BB342_9 Depth=1
	s_or_b32 exec_lo, exec_lo, s22
	v_lshlrev_b32_e32 v14, 24, v18
	v_lshlrev_b32_e32 v20, 20, v24
	v_lshl_add_u32 v9, v9, 23, 0x3c000000
	v_and_b32_e32 v14, 0x80000000, v14
	v_or3_b32 v23, v20, v14, v9
.LBB342_655:                            ;   in Loop: Header=BB342_9 Depth=1
	s_or_b32 exec_lo, exec_lo, s21
.LBB342_656:                            ;   in Loop: Header=BB342_9 Depth=1
	s_or_b32 exec_lo, exec_lo, s20
.LBB342_657:                            ;   in Loop: Header=BB342_9 Depth=1
	s_or_b32 exec_lo, exec_lo, s17
	v_cmp_ne_u16_sdwa s7, v18, v126 src0_sel:BYTE_1 src1_sel:DWORD
	s_and_saveexec_b32 s17, s7
	s_cbranch_execz .LBB342_665
; %bb.658:                              ;   in Loop: Header=BB342_9 Depth=1
	v_mov_b32_e32 v9, 0x80
	v_bfrev_b32_e32 v22, 1
	v_cmp_ne_u16_sdwa s7, v18, v9 src0_sel:BYTE_1 src1_sel:DWORD
	s_and_saveexec_b32 s20, s7
	s_cbranch_execz .LBB342_664
; %bb.659:                              ;   in Loop: Header=BB342_9 Depth=1
	v_mov_b32_e32 v9, 0xffff
	v_mov_b32_e32 v22, 0x7f800001
	s_mov_b32 s21, exec_lo
	v_and_b32_sdwa v9, v9, v18 dst_sel:DWORD dst_unused:UNUSED_PAD src0_sel:DWORD src1_sel:BYTE_1
	v_and_b32_e32 v20, 0x7f, v9
	v_cmpx_ne_u32_e32 0x7f, v20
	s_cbranch_execz .LBB342_663
; %bb.660:                              ;   in Loop: Header=BB342_9 Depth=1
	v_and_b32_e32 v125, 7, v9
	v_lshrrev_b32_e32 v9, 3, v20
	s_mov_b32 s22, exec_lo
	v_mov_b32_e32 v24, v125
	v_mov_b32_e32 v25, v126
	v_cmpx_gt_u32_e32 8, v20
; %bb.661:                              ;   in Loop: Header=BB342_9 Depth=1
	v_ffbh_u32_e32 v9, v125
	v_min_u32_e32 v9, 32, v9
	v_subrev_nc_u32_e32 v20, 28, v9
	v_sub_nc_u32_e32 v9, 29, v9
	v_lshlrev_b64 v[20:21], v20, v[125:126]
	v_and_b32_e32 v24, 7, v20
; %bb.662:                              ;   in Loop: Header=BB342_9 Depth=1
	s_or_b32 exec_lo, exec_lo, s22
	v_lshlrev_b32_e32 v14, 16, v18
	v_lshlrev_b32_e32 v20, 20, v24
	v_lshl_add_u32 v9, v9, 23, 0x3c000000
	v_and_b32_e32 v14, 0x80000000, v14
	v_or3_b32 v22, v20, v14, v9
.LBB342_663:                            ;   in Loop: Header=BB342_9 Depth=1
	s_or_b32 exec_lo, exec_lo, s21
.LBB342_664:                            ;   in Loop: Header=BB342_9 Depth=1
	s_or_b32 exec_lo, exec_lo, s20
.LBB342_665:                            ;   in Loop: Header=BB342_9 Depth=1
	s_or_b32 exec_lo, exec_lo, s17
	v_mov_b32_e32 v9, 0xff
	v_mov_b32_e32 v35, 0
	s_mov_b32 s17, exec_lo
	v_and_b32_sdwa v14, v18, v9 dst_sel:DWORD dst_unused:UNUSED_PAD src0_sel:WORD_1 src1_sel:DWORD
	v_mov_b32_e32 v9, 0
	v_cmpx_ne_u16_e32 0, v14
	s_cbranch_execz .LBB342_673
; %bb.666:                              ;   in Loop: Header=BB342_9 Depth=1
	v_bfrev_b32_e32 v9, 1
	s_mov_b32 s20, exec_lo
	v_cmpx_ne_u16_e32 0x80, v14
	s_cbranch_execz .LBB342_672
; %bb.667:                              ;   in Loop: Header=BB342_9 Depth=1
	v_bfe_u32 v20, v18, 16, 7
	v_mov_b32_e32 v9, 0x7f800001
	s_mov_b32 s21, exec_lo
	v_cmpx_ne_u32_e32 0x7f, v20
	s_cbranch_execz .LBB342_671
; %bb.668:                              ;   in Loop: Header=BB342_9 Depth=1
	v_mov_b32_e32 v9, 7
	s_mov_b32 s22, exec_lo
	v_and_b32_sdwa v125, v18, v9 dst_sel:DWORD dst_unused:UNUSED_PAD src0_sel:WORD_1 src1_sel:DWORD
	v_lshrrev_b32_e32 v9, 3, v20
	v_mov_b32_e32 v24, v125
	v_mov_b32_e32 v25, v126
	v_cmpx_gt_u32_e32 8, v20
; %bb.669:                              ;   in Loop: Header=BB342_9 Depth=1
	v_ffbh_u32_e32 v9, v125
	v_min_u32_e32 v9, 32, v9
	v_subrev_nc_u32_e32 v20, 28, v9
	v_sub_nc_u32_e32 v9, 29, v9
	v_lshlrev_b64 v[20:21], v20, v[125:126]
	v_and_b32_e32 v24, 7, v20
; %bb.670:                              ;   in Loop: Header=BB342_9 Depth=1
	s_or_b32 exec_lo, exec_lo, s22
	v_mov_b32_e32 v14, 24
	v_lshlrev_b32_e32 v20, 20, v24
	v_lshl_add_u32 v9, v9, 23, 0x3c000000
	v_lshlrev_b32_sdwa v14, v14, v18 dst_sel:DWORD dst_unused:UNUSED_PAD src0_sel:DWORD src1_sel:WORD_1
	v_and_b32_e32 v14, 0x80000000, v14
	v_or3_b32 v9, v20, v14, v9
.LBB342_671:                            ;   in Loop: Header=BB342_9 Depth=1
	s_or_b32 exec_lo, exec_lo, s21
.LBB342_672:                            ;   in Loop: Header=BB342_9 Depth=1
	s_or_b32 exec_lo, exec_lo, s20
.LBB342_673:                            ;   in Loop: Header=BB342_9 Depth=1
	s_or_b32 exec_lo, exec_lo, s17
	s_mov_b32 s17, exec_lo
	v_cmpx_lt_u32_e32 0xffffff, v18
	s_cbranch_execz .LBB342_681
; %bb.674:                              ;   in Loop: Header=BB342_9 Depth=1
	v_mov_b32_e32 v14, 0x80
	v_bfrev_b32_e32 v35, 1
	v_cmp_ne_u32_sdwa s7, v18, v14 src0_sel:BYTE_3 src1_sel:DWORD
	s_and_saveexec_b32 s20, s7
	s_cbranch_execz .LBB342_680
; %bb.675:                              ;   in Loop: Header=BB342_9 Depth=1
	v_bfe_u32 v21, v18, 24, 7
	v_mov_b32_e32 v35, 0x7f800001
	s_mov_b32 s21, exec_lo
	v_cmpx_ne_u32_e32 0x7f, v21
	s_cbranch_execz .LBB342_679
; %bb.676:                              ;   in Loop: Header=BB342_9 Depth=1
	v_mov_b32_e32 v14, 7
	v_lshrrev_b32_e32 v20, 3, v21
	s_mov_b32 s22, exec_lo
	v_and_b32_sdwa v125, v18, v14 dst_sel:DWORD dst_unused:UNUSED_PAD src0_sel:BYTE_3 src1_sel:DWORD
	v_mov_b32_e32 v24, v125
	v_mov_b32_e32 v25, v126
	v_cmpx_gt_u32_e32 8, v21
; %bb.677:                              ;   in Loop: Header=BB342_9 Depth=1
	v_ffbh_u32_e32 v20, v125
	v_min_u32_e32 v20, 32, v20
	v_subrev_nc_u32_e32 v21, 28, v20
	v_sub_nc_u32_e32 v20, 29, v20
	v_lshlrev_b64 v[24:25], v21, v[125:126]
	v_and_b32_e32 v24, 7, v24
; %bb.678:                              ;   in Loop: Header=BB342_9 Depth=1
	s_or_b32 exec_lo, exec_lo, s22
	v_mov_b32_e32 v14, 24
	v_lshl_add_u32 v20, v20, 23, 0x3c000000
	v_lshlrev_b32_sdwa v14, v14, v18 dst_sel:DWORD dst_unused:UNUSED_PAD src0_sel:DWORD src1_sel:BYTE_3
	v_lshlrev_b32_e32 v18, 20, v24
	v_and_b32_e32 v14, 0x80000000, v14
	v_or3_b32 v35, v18, v14, v20
.LBB342_679:                            ;   in Loop: Header=BB342_9 Depth=1
	s_or_b32 exec_lo, exec_lo, s21
.LBB342_680:                            ;   in Loop: Header=BB342_9 Depth=1
	s_or_b32 exec_lo, exec_lo, s20
.LBB342_681:                            ;   in Loop: Header=BB342_9 Depth=1
	s_or_b32 exec_lo, exec_lo, s17
	buffer_load_dword v14, off, s[0:3], s32 offset:200 ; 4-byte Folded Reload
	v_mov_b32_e32 v18, 0
	v_mov_b32_e32 v34, 0
	s_waitcnt vmcnt(0)
	v_add_co_u32 v4, s7, v4, v14
	v_add_co_ci_u32_e64 v5, null, 0, v5, s7
	flat_load_dword v4, v[4:5]
	s_waitcnt vmcnt(0) lgkmcnt(0)
	v_cmp_ne_u16_sdwa s7, v4, v126 src0_sel:BYTE_0 src1_sel:DWORD
	s_and_saveexec_b32 s17, s7
	s_cbranch_execz .LBB342_689
; %bb.682:                              ;   in Loop: Header=BB342_9 Depth=1
	v_mov_b32_e32 v5, 0x80
	v_bfrev_b32_e32 v34, 1
	v_cmp_ne_u16_sdwa s7, v4, v5 src0_sel:BYTE_0 src1_sel:DWORD
	s_and_saveexec_b32 s20, s7
	s_cbranch_execz .LBB342_688
; %bb.683:                              ;   in Loop: Header=BB342_9 Depth=1
	v_and_b32_e32 v20, 0x7f, v4
	v_mov_b32_e32 v34, 0x7f800001
	s_mov_b32 s21, exec_lo
	v_cmpx_ne_u32_e32 0x7f, v20
	s_cbranch_execz .LBB342_687
; %bb.684:                              ;   in Loop: Header=BB342_9 Depth=1
	v_and_b32_e32 v125, 7, v4
	v_lshrrev_b32_e32 v5, 3, v20
	s_mov_b32 s22, exec_lo
	v_mov_b32_e32 v24, v125
	v_mov_b32_e32 v25, v126
	v_cmpx_gt_u32_e32 8, v20
; %bb.685:                              ;   in Loop: Header=BB342_9 Depth=1
	v_ffbh_u32_e32 v5, v125
	v_min_u32_e32 v5, 32, v5
	v_subrev_nc_u32_e32 v20, 28, v5
	v_sub_nc_u32_e32 v5, 29, v5
	v_lshlrev_b64 v[20:21], v20, v[125:126]
	v_and_b32_e32 v24, 7, v20
; %bb.686:                              ;   in Loop: Header=BB342_9 Depth=1
	s_or_b32 exec_lo, exec_lo, s22
	v_lshlrev_b32_e32 v14, 24, v4
	v_lshlrev_b32_e32 v20, 20, v24
	v_lshl_add_u32 v5, v5, 23, 0x3c000000
	v_and_b32_e32 v14, 0x80000000, v14
	v_or3_b32 v34, v20, v14, v5
.LBB342_687:                            ;   in Loop: Header=BB342_9 Depth=1
	s_or_b32 exec_lo, exec_lo, s21
.LBB342_688:                            ;   in Loop: Header=BB342_9 Depth=1
	s_or_b32 exec_lo, exec_lo, s20
.LBB342_689:                            ;   in Loop: Header=BB342_9 Depth=1
	s_or_b32 exec_lo, exec_lo, s17
	v_cmp_ne_u16_sdwa s7, v4, v126 src0_sel:BYTE_1 src1_sel:DWORD
	s_and_saveexec_b32 s17, s7
	s_cbranch_execz .LBB342_697
; %bb.690:                              ;   in Loop: Header=BB342_9 Depth=1
	v_mov_b32_e32 v5, 0x80
	v_bfrev_b32_e32 v18, 1
	v_cmp_ne_u16_sdwa s7, v4, v5 src0_sel:BYTE_1 src1_sel:DWORD
	s_and_saveexec_b32 s20, s7
	s_cbranch_execz .LBB342_696
; %bb.691:                              ;   in Loop: Header=BB342_9 Depth=1
	v_mov_b32_e32 v5, 0xffff
	v_mov_b32_e32 v18, 0x7f800001
	s_mov_b32 s21, exec_lo
	v_and_b32_sdwa v5, v5, v4 dst_sel:DWORD dst_unused:UNUSED_PAD src0_sel:DWORD src1_sel:BYTE_1
	v_and_b32_e32 v20, 0x7f, v5
	v_cmpx_ne_u32_e32 0x7f, v20
	s_cbranch_execz .LBB342_695
; %bb.692:                              ;   in Loop: Header=BB342_9 Depth=1
	v_and_b32_e32 v125, 7, v5
	v_lshrrev_b32_e32 v5, 3, v20
	s_mov_b32 s22, exec_lo
	v_mov_b32_e32 v24, v125
	v_mov_b32_e32 v25, v126
	v_cmpx_gt_u32_e32 8, v20
; %bb.693:                              ;   in Loop: Header=BB342_9 Depth=1
	v_ffbh_u32_e32 v5, v125
	v_min_u32_e32 v5, 32, v5
	v_subrev_nc_u32_e32 v18, 28, v5
	v_sub_nc_u32_e32 v5, 29, v5
	v_lshlrev_b64 v[20:21], v18, v[125:126]
	v_and_b32_e32 v24, 7, v20
; %bb.694:                              ;   in Loop: Header=BB342_9 Depth=1
	s_or_b32 exec_lo, exec_lo, s22
	v_lshlrev_b32_e32 v14, 16, v4
	v_lshlrev_b32_e32 v18, 20, v24
	v_lshl_add_u32 v5, v5, 23, 0x3c000000
	v_and_b32_e32 v14, 0x80000000, v14
	v_or3_b32 v18, v18, v14, v5
.LBB342_695:                            ;   in Loop: Header=BB342_9 Depth=1
	s_or_b32 exec_lo, exec_lo, s21
.LBB342_696:                            ;   in Loop: Header=BB342_9 Depth=1
	s_or_b32 exec_lo, exec_lo, s20
.LBB342_697:                            ;   in Loop: Header=BB342_9 Depth=1
	s_or_b32 exec_lo, exec_lo, s17
	v_mov_b32_e32 v5, 0xff
	v_mov_b32_e32 v36, 0
	;; [unrolled: 1-line block ×3, first 2 shown]
	s_mov_b32 s17, exec_lo
	v_and_b32_sdwa v5, v4, v5 dst_sel:DWORD dst_unused:UNUSED_PAD src0_sel:WORD_1 src1_sel:DWORD
	v_cmpx_ne_u16_e32 0, v5
	s_cbranch_execz .LBB342_705
; %bb.698:                              ;   in Loop: Header=BB342_9 Depth=1
	v_bfrev_b32_e32 v37, 1
	s_mov_b32 s20, exec_lo
	v_cmpx_ne_u16_e32 0x80, v5
	s_cbranch_execz .LBB342_704
; %bb.699:                              ;   in Loop: Header=BB342_9 Depth=1
	v_bfe_u32 v20, v4, 16, 7
	v_mov_b32_e32 v37, 0x7f800001
	s_mov_b32 s21, exec_lo
	v_cmpx_ne_u32_e32 0x7f, v20
	s_cbranch_execz .LBB342_703
; %bb.700:                              ;   in Loop: Header=BB342_9 Depth=1
	v_mov_b32_e32 v5, 7
	s_mov_b32 s22, exec_lo
	v_and_b32_sdwa v125, v4, v5 dst_sel:DWORD dst_unused:UNUSED_PAD src0_sel:WORD_1 src1_sel:DWORD
	v_lshrrev_b32_e32 v5, 3, v20
	v_mov_b32_e32 v24, v125
	v_mov_b32_e32 v25, v126
	v_cmpx_gt_u32_e32 8, v20
; %bb.701:                              ;   in Loop: Header=BB342_9 Depth=1
	v_ffbh_u32_e32 v5, v125
	v_min_u32_e32 v5, 32, v5
	v_subrev_nc_u32_e32 v20, 28, v5
	v_sub_nc_u32_e32 v5, 29, v5
	v_lshlrev_b64 v[20:21], v20, v[125:126]
	v_and_b32_e32 v24, 7, v20
; %bb.702:                              ;   in Loop: Header=BB342_9 Depth=1
	s_or_b32 exec_lo, exec_lo, s22
	v_mov_b32_e32 v14, 24
	v_lshlrev_b32_e32 v20, 20, v24
	v_lshl_add_u32 v5, v5, 23, 0x3c000000
	v_lshlrev_b32_sdwa v14, v14, v4 dst_sel:DWORD dst_unused:UNUSED_PAD src0_sel:DWORD src1_sel:WORD_1
	v_and_b32_e32 v14, 0x80000000, v14
	v_or3_b32 v37, v20, v14, v5
.LBB342_703:                            ;   in Loop: Header=BB342_9 Depth=1
	s_or_b32 exec_lo, exec_lo, s21
.LBB342_704:                            ;   in Loop: Header=BB342_9 Depth=1
	s_or_b32 exec_lo, exec_lo, s20
.LBB342_705:                            ;   in Loop: Header=BB342_9 Depth=1
	s_or_b32 exec_lo, exec_lo, s17
	s_mov_b32 s17, exec_lo
	v_cmpx_lt_u32_e32 0xffffff, v4
	s_cbranch_execz .LBB342_713
; %bb.706:                              ;   in Loop: Header=BB342_9 Depth=1
	v_mov_b32_e32 v5, 0x80
	v_bfrev_b32_e32 v36, 1
	v_cmp_ne_u32_sdwa s7, v4, v5 src0_sel:BYTE_3 src1_sel:DWORD
	s_and_saveexec_b32 s20, s7
	s_cbranch_execz .LBB342_712
; %bb.707:                              ;   in Loop: Header=BB342_9 Depth=1
	v_bfe_u32 v20, v4, 24, 7
	v_mov_b32_e32 v36, 0x7f800001
	s_mov_b32 s21, exec_lo
	v_cmpx_ne_u32_e32 0x7f, v20
	s_cbranch_execz .LBB342_711
; %bb.708:                              ;   in Loop: Header=BB342_9 Depth=1
	v_mov_b32_e32 v5, 7
	s_mov_b32 s22, exec_lo
	v_and_b32_sdwa v125, v4, v5 dst_sel:DWORD dst_unused:UNUSED_PAD src0_sel:BYTE_3 src1_sel:DWORD
	v_lshrrev_b32_e32 v5, 3, v20
	v_mov_b32_e32 v24, v125
	v_mov_b32_e32 v25, v126
	v_cmpx_gt_u32_e32 8, v20
; %bb.709:                              ;   in Loop: Header=BB342_9 Depth=1
	v_ffbh_u32_e32 v5, v125
	v_min_u32_e32 v5, 32, v5
	v_subrev_nc_u32_e32 v20, 28, v5
	v_sub_nc_u32_e32 v5, 29, v5
	v_lshlrev_b64 v[20:21], v20, v[125:126]
	v_and_b32_e32 v24, 7, v20
; %bb.710:                              ;   in Loop: Header=BB342_9 Depth=1
	s_or_b32 exec_lo, exec_lo, s22
	v_mov_b32_e32 v14, 24
	v_lshl_add_u32 v5, v5, 23, 0x3c000000
	v_lshlrev_b32_sdwa v4, v14, v4 dst_sel:DWORD dst_unused:UNUSED_PAD src0_sel:DWORD src1_sel:BYTE_3
	v_lshlrev_b32_e32 v14, 20, v24
	v_and_b32_e32 v4, 0x80000000, v4
	v_or3_b32 v36, v14, v4, v5
.LBB342_711:                            ;   in Loop: Header=BB342_9 Depth=1
	s_or_b32 exec_lo, exec_lo, s21
.LBB342_712:                            ;   in Loop: Header=BB342_9 Depth=1
	s_or_b32 exec_lo, exec_lo, s20
.LBB342_713:                            ;   in Loop: Header=BB342_9 Depth=1
	s_or_b32 exec_lo, exec_lo, s17
	buffer_load_dword v14, off, s[0:3], s32 offset:192 ; 4-byte Folded Reload
	v_add_co_u32 v4, s7, 0xb00, v16
	v_add_co_ci_u32_e64 v5, null, 0, v17, s7
	v_mov_b32_e32 v39, 0
	v_mov_b32_e32 v38, 0
	s_waitcnt vmcnt(0)
	v_add_co_u32 v20, s7, v4, v14
	v_add_co_ci_u32_e64 v21, null, 0, v5, s7
	flat_load_dword v20, v[20:21]
	s_waitcnt vmcnt(0) lgkmcnt(0)
	v_cmp_ne_u16_sdwa s7, v20, v126 src0_sel:BYTE_0 src1_sel:DWORD
	s_and_saveexec_b32 s17, s7
	s_cbranch_execz .LBB342_721
; %bb.714:                              ;   in Loop: Header=BB342_9 Depth=1
	v_mov_b32_e32 v14, 0x80
	v_bfrev_b32_e32 v38, 1
	v_cmp_ne_u16_sdwa s7, v20, v14 src0_sel:BYTE_0 src1_sel:DWORD
	s_and_saveexec_b32 s20, s7
	s_cbranch_execz .LBB342_720
; %bb.715:                              ;   in Loop: Header=BB342_9 Depth=1
	v_and_b32_e32 v48, 0x7f, v20
	v_mov_b32_e32 v38, 0x7f800001
	s_mov_b32 s21, exec_lo
	v_cmpx_ne_u32_e32 0x7f, v48
	s_cbranch_execz .LBB342_719
; %bb.716:                              ;   in Loop: Header=BB342_9 Depth=1
	v_and_b32_e32 v125, 7, v20
	v_lshrrev_b32_e32 v21, 3, v48
	s_mov_b32 s22, exec_lo
	v_mov_b32_e32 v24, v125
	v_mov_b32_e32 v25, v126
	v_cmpx_gt_u32_e32 8, v48
; %bb.717:                              ;   in Loop: Header=BB342_9 Depth=1
	v_ffbh_u32_e32 v21, v125
	v_min_u32_e32 v21, 32, v21
	v_subrev_nc_u32_e32 v24, 28, v21
	v_sub_nc_u32_e32 v21, 29, v21
	v_lshlrev_b64 v[24:25], v24, v[125:126]
	v_and_b32_e32 v24, 7, v24
; %bb.718:                              ;   in Loop: Header=BB342_9 Depth=1
	s_or_b32 exec_lo, exec_lo, s22
	v_lshlrev_b32_e32 v14, 24, v20
	v_lshlrev_b32_e32 v24, 20, v24
	v_lshl_add_u32 v21, v21, 23, 0x3c000000
	v_and_b32_e32 v14, 0x80000000, v14
	v_or3_b32 v38, v24, v14, v21
.LBB342_719:                            ;   in Loop: Header=BB342_9 Depth=1
	s_or_b32 exec_lo, exec_lo, s21
.LBB342_720:                            ;   in Loop: Header=BB342_9 Depth=1
	s_or_b32 exec_lo, exec_lo, s20
.LBB342_721:                            ;   in Loop: Header=BB342_9 Depth=1
	s_or_b32 exec_lo, exec_lo, s17
	v_cmp_ne_u16_sdwa s7, v20, v126 src0_sel:BYTE_1 src1_sel:DWORD
	s_and_saveexec_b32 s17, s7
	s_cbranch_execz .LBB342_729
; %bb.722:                              ;   in Loop: Header=BB342_9 Depth=1
	v_mov_b32_e32 v14, 0x80
	v_bfrev_b32_e32 v39, 1
	v_cmp_ne_u16_sdwa s7, v20, v14 src0_sel:BYTE_1 src1_sel:DWORD
	s_and_saveexec_b32 s20, s7
	s_cbranch_execz .LBB342_728
; %bb.723:                              ;   in Loop: Header=BB342_9 Depth=1
	v_mov_b32_e32 v14, 0xffff
	v_mov_b32_e32 v39, 0x7f800001
	s_mov_b32 s21, exec_lo
	v_and_b32_sdwa v14, v14, v20 dst_sel:DWORD dst_unused:UNUSED_PAD src0_sel:DWORD src1_sel:BYTE_1
	v_and_b32_e32 v48, 0x7f, v14
	v_cmpx_ne_u32_e32 0x7f, v48
	s_cbranch_execz .LBB342_727
; %bb.724:                              ;   in Loop: Header=BB342_9 Depth=1
	v_and_b32_e32 v125, 7, v14
	v_lshrrev_b32_e32 v21, 3, v48
	s_mov_b32 s22, exec_lo
	v_mov_b32_e32 v24, v125
	v_mov_b32_e32 v25, v126
	v_cmpx_gt_u32_e32 8, v48
; %bb.725:                              ;   in Loop: Header=BB342_9 Depth=1
	v_ffbh_u32_e32 v21, v125
	v_min_u32_e32 v21, 32, v21
	v_subrev_nc_u32_e32 v24, 28, v21
	v_sub_nc_u32_e32 v21, 29, v21
	v_lshlrev_b64 v[24:25], v24, v[125:126]
	v_and_b32_e32 v24, 7, v24
; %bb.726:                              ;   in Loop: Header=BB342_9 Depth=1
	s_or_b32 exec_lo, exec_lo, s22
	v_lshlrev_b32_e32 v14, 16, v20
	v_lshlrev_b32_e32 v24, 20, v24
	v_lshl_add_u32 v21, v21, 23, 0x3c000000
	v_and_b32_e32 v14, 0x80000000, v14
	v_or3_b32 v39, v24, v14, v21
.LBB342_727:                            ;   in Loop: Header=BB342_9 Depth=1
	s_or_b32 exec_lo, exec_lo, s21
.LBB342_728:                            ;   in Loop: Header=BB342_9 Depth=1
	s_or_b32 exec_lo, exec_lo, s20
.LBB342_729:                            ;   in Loop: Header=BB342_9 Depth=1
	s_or_b32 exec_lo, exec_lo, s17
	v_mov_b32_e32 v14, 0xff
	v_mov_b32_e32 v48, 0
	;; [unrolled: 1-line block ×3, first 2 shown]
	s_mov_b32 s17, exec_lo
	v_and_b32_sdwa v14, v20, v14 dst_sel:DWORD dst_unused:UNUSED_PAD src0_sel:WORD_1 src1_sel:DWORD
	v_cmpx_ne_u16_e32 0, v14
	s_cbranch_execz .LBB342_737
; %bb.730:                              ;   in Loop: Header=BB342_9 Depth=1
	v_bfrev_b32_e32 v49, 1
	s_mov_b32 s20, exec_lo
	v_cmpx_ne_u16_e32 0x80, v14
	s_cbranch_execz .LBB342_736
; %bb.731:                              ;   in Loop: Header=BB342_9 Depth=1
	v_bfe_u32 v50, v20, 16, 7
	v_mov_b32_e32 v49, 0x7f800001
	s_mov_b32 s21, exec_lo
	v_cmpx_ne_u32_e32 0x7f, v50
	s_cbranch_execz .LBB342_735
; %bb.732:                              ;   in Loop: Header=BB342_9 Depth=1
	v_mov_b32_e32 v14, 7
	v_lshrrev_b32_e32 v21, 3, v50
	s_mov_b32 s22, exec_lo
	v_and_b32_sdwa v125, v20, v14 dst_sel:DWORD dst_unused:UNUSED_PAD src0_sel:WORD_1 src1_sel:DWORD
	v_mov_b32_e32 v24, v125
	v_mov_b32_e32 v25, v126
	v_cmpx_gt_u32_e32 8, v50
; %bb.733:                              ;   in Loop: Header=BB342_9 Depth=1
	v_ffbh_u32_e32 v21, v125
	v_min_u32_e32 v21, 32, v21
	v_subrev_nc_u32_e32 v24, 28, v21
	v_sub_nc_u32_e32 v21, 29, v21
	v_lshlrev_b64 v[24:25], v24, v[125:126]
	v_and_b32_e32 v24, 7, v24
; %bb.734:                              ;   in Loop: Header=BB342_9 Depth=1
	s_or_b32 exec_lo, exec_lo, s22
	v_mov_b32_e32 v14, 24
	v_lshlrev_b32_e32 v24, 20, v24
	v_lshl_add_u32 v21, v21, 23, 0x3c000000
	v_lshlrev_b32_sdwa v14, v14, v20 dst_sel:DWORD dst_unused:UNUSED_PAD src0_sel:DWORD src1_sel:WORD_1
	v_and_b32_e32 v14, 0x80000000, v14
	v_or3_b32 v49, v24, v14, v21
.LBB342_735:                            ;   in Loop: Header=BB342_9 Depth=1
	s_or_b32 exec_lo, exec_lo, s21
.LBB342_736:                            ;   in Loop: Header=BB342_9 Depth=1
	s_or_b32 exec_lo, exec_lo, s20
.LBB342_737:                            ;   in Loop: Header=BB342_9 Depth=1
	s_or_b32 exec_lo, exec_lo, s17
	s_mov_b32 s17, exec_lo
	v_cmpx_lt_u32_e32 0xffffff, v20
	s_cbranch_execz .LBB342_745
; %bb.738:                              ;   in Loop: Header=BB342_9 Depth=1
	v_mov_b32_e32 v14, 0x80
	v_bfrev_b32_e32 v48, 1
	v_cmp_ne_u32_sdwa s7, v20, v14 src0_sel:BYTE_3 src1_sel:DWORD
	s_and_saveexec_b32 s20, s7
	s_cbranch_execz .LBB342_744
; %bb.739:                              ;   in Loop: Header=BB342_9 Depth=1
	v_bfe_u32 v50, v20, 24, 7
	v_mov_b32_e32 v48, 0x7f800001
	s_mov_b32 s21, exec_lo
	v_cmpx_ne_u32_e32 0x7f, v50
	s_cbranch_execz .LBB342_743
; %bb.740:                              ;   in Loop: Header=BB342_9 Depth=1
	v_mov_b32_e32 v14, 7
	v_lshrrev_b32_e32 v21, 3, v50
	s_mov_b32 s22, exec_lo
	v_and_b32_sdwa v125, v20, v14 dst_sel:DWORD dst_unused:UNUSED_PAD src0_sel:BYTE_3 src1_sel:DWORD
	v_mov_b32_e32 v24, v125
	v_mov_b32_e32 v25, v126
	v_cmpx_gt_u32_e32 8, v50
; %bb.741:                              ;   in Loop: Header=BB342_9 Depth=1
	v_ffbh_u32_e32 v21, v125
	v_min_u32_e32 v21, 32, v21
	v_subrev_nc_u32_e32 v24, 28, v21
	v_sub_nc_u32_e32 v21, 29, v21
	v_lshlrev_b64 v[24:25], v24, v[125:126]
	v_and_b32_e32 v24, 7, v24
; %bb.742:                              ;   in Loop: Header=BB342_9 Depth=1
	s_or_b32 exec_lo, exec_lo, s22
	v_mov_b32_e32 v14, 24
	v_lshl_add_u32 v21, v21, 23, 0x3c000000
	v_lshlrev_b32_sdwa v14, v14, v20 dst_sel:DWORD dst_unused:UNUSED_PAD src0_sel:DWORD src1_sel:BYTE_3
	v_lshlrev_b32_e32 v20, 20, v24
	v_and_b32_e32 v14, 0x80000000, v14
	v_or3_b32 v48, v20, v14, v21
.LBB342_743:                            ;   in Loop: Header=BB342_9 Depth=1
	s_or_b32 exec_lo, exec_lo, s21
.LBB342_744:                            ;   in Loop: Header=BB342_9 Depth=1
	s_or_b32 exec_lo, exec_lo, s20
.LBB342_745:                            ;   in Loop: Header=BB342_9 Depth=1
	s_or_b32 exec_lo, exec_lo, s17
	buffer_load_dword v14, off, s[0:3], s32 offset:200 ; 4-byte Folded Reload
	v_mov_b32_e32 v51, 0
	v_mov_b32_e32 v50, 0
	s_waitcnt vmcnt(0)
	v_add_co_u32 v4, s7, v4, v14
	v_add_co_ci_u32_e64 v5, null, 0, v5, s7
	flat_load_dword v4, v[4:5]
	s_waitcnt vmcnt(0) lgkmcnt(0)
	v_cmp_ne_u16_sdwa s7, v4, v126 src0_sel:BYTE_0 src1_sel:DWORD
	s_and_saveexec_b32 s17, s7
	s_cbranch_execz .LBB342_753
; %bb.746:                              ;   in Loop: Header=BB342_9 Depth=1
	v_mov_b32_e32 v5, 0x80
	v_bfrev_b32_e32 v50, 1
	v_cmp_ne_u16_sdwa s7, v4, v5 src0_sel:BYTE_0 src1_sel:DWORD
	s_and_saveexec_b32 s20, s7
	s_cbranch_execz .LBB342_752
; %bb.747:                              ;   in Loop: Header=BB342_9 Depth=1
	v_and_b32_e32 v20, 0x7f, v4
	v_mov_b32_e32 v50, 0x7f800001
	s_mov_b32 s21, exec_lo
	v_cmpx_ne_u32_e32 0x7f, v20
	s_cbranch_execz .LBB342_751
; %bb.748:                              ;   in Loop: Header=BB342_9 Depth=1
	v_and_b32_e32 v125, 7, v4
	v_lshrrev_b32_e32 v5, 3, v20
	s_mov_b32 s22, exec_lo
	v_mov_b32_e32 v24, v125
	v_mov_b32_e32 v25, v126
	v_cmpx_gt_u32_e32 8, v20
; %bb.749:                              ;   in Loop: Header=BB342_9 Depth=1
	v_ffbh_u32_e32 v5, v125
	v_min_u32_e32 v5, 32, v5
	v_subrev_nc_u32_e32 v20, 28, v5
	v_sub_nc_u32_e32 v5, 29, v5
	v_lshlrev_b64 v[20:21], v20, v[125:126]
	v_and_b32_e32 v24, 7, v20
; %bb.750:                              ;   in Loop: Header=BB342_9 Depth=1
	s_or_b32 exec_lo, exec_lo, s22
	v_lshlrev_b32_e32 v14, 24, v4
	v_lshlrev_b32_e32 v20, 20, v24
	v_lshl_add_u32 v5, v5, 23, 0x3c000000
	v_and_b32_e32 v14, 0x80000000, v14
	v_or3_b32 v50, v20, v14, v5
.LBB342_751:                            ;   in Loop: Header=BB342_9 Depth=1
	s_or_b32 exec_lo, exec_lo, s21
.LBB342_752:                            ;   in Loop: Header=BB342_9 Depth=1
	s_or_b32 exec_lo, exec_lo, s20
.LBB342_753:                            ;   in Loop: Header=BB342_9 Depth=1
	s_or_b32 exec_lo, exec_lo, s17
	v_cmp_ne_u16_sdwa s7, v4, v126 src0_sel:BYTE_1 src1_sel:DWORD
	s_and_saveexec_b32 s17, s7
	s_cbranch_execz .LBB342_761
; %bb.754:                              ;   in Loop: Header=BB342_9 Depth=1
	v_mov_b32_e32 v5, 0x80
	v_bfrev_b32_e32 v51, 1
	v_cmp_ne_u16_sdwa s7, v4, v5 src0_sel:BYTE_1 src1_sel:DWORD
	s_and_saveexec_b32 s20, s7
	s_cbranch_execz .LBB342_760
; %bb.755:                              ;   in Loop: Header=BB342_9 Depth=1
	v_mov_b32_e32 v5, 0xffff
	v_mov_b32_e32 v51, 0x7f800001
	s_mov_b32 s21, exec_lo
	v_and_b32_sdwa v5, v5, v4 dst_sel:DWORD dst_unused:UNUSED_PAD src0_sel:DWORD src1_sel:BYTE_1
	v_and_b32_e32 v20, 0x7f, v5
	v_cmpx_ne_u32_e32 0x7f, v20
	s_cbranch_execz .LBB342_759
; %bb.756:                              ;   in Loop: Header=BB342_9 Depth=1
	v_and_b32_e32 v125, 7, v5
	v_lshrrev_b32_e32 v5, 3, v20
	s_mov_b32 s22, exec_lo
	v_mov_b32_e32 v24, v125
	v_mov_b32_e32 v25, v126
	v_cmpx_gt_u32_e32 8, v20
; %bb.757:                              ;   in Loop: Header=BB342_9 Depth=1
	v_ffbh_u32_e32 v5, v125
	v_min_u32_e32 v5, 32, v5
	v_subrev_nc_u32_e32 v20, 28, v5
	v_sub_nc_u32_e32 v5, 29, v5
	v_lshlrev_b64 v[20:21], v20, v[125:126]
	v_and_b32_e32 v24, 7, v20
; %bb.758:                              ;   in Loop: Header=BB342_9 Depth=1
	s_or_b32 exec_lo, exec_lo, s22
	v_lshlrev_b32_e32 v14, 16, v4
	v_lshlrev_b32_e32 v20, 20, v24
	v_lshl_add_u32 v5, v5, 23, 0x3c000000
	v_and_b32_e32 v14, 0x80000000, v14
	v_or3_b32 v51, v20, v14, v5
.LBB342_759:                            ;   in Loop: Header=BB342_9 Depth=1
	s_or_b32 exec_lo, exec_lo, s21
.LBB342_760:                            ;   in Loop: Header=BB342_9 Depth=1
	s_or_b32 exec_lo, exec_lo, s20
.LBB342_761:                            ;   in Loop: Header=BB342_9 Depth=1
	s_or_b32 exec_lo, exec_lo, s17
	v_mov_b32_e32 v5, 0xff
	v_mov_b32_e32 v52, 0
	;; [unrolled: 1-line block ×3, first 2 shown]
	s_mov_b32 s17, exec_lo
	v_and_b32_sdwa v5, v4, v5 dst_sel:DWORD dst_unused:UNUSED_PAD src0_sel:WORD_1 src1_sel:DWORD
	v_cmpx_ne_u16_e32 0, v5
	s_cbranch_execz .LBB342_769
; %bb.762:                              ;   in Loop: Header=BB342_9 Depth=1
	v_bfrev_b32_e32 v53, 1
	s_mov_b32 s20, exec_lo
	v_cmpx_ne_u16_e32 0x80, v5
	s_cbranch_execz .LBB342_768
; %bb.763:                              ;   in Loop: Header=BB342_9 Depth=1
	v_bfe_u32 v20, v4, 16, 7
	v_mov_b32_e32 v53, 0x7f800001
	s_mov_b32 s21, exec_lo
	v_cmpx_ne_u32_e32 0x7f, v20
	s_cbranch_execz .LBB342_767
; %bb.764:                              ;   in Loop: Header=BB342_9 Depth=1
	v_mov_b32_e32 v5, 7
	s_mov_b32 s22, exec_lo
	v_and_b32_sdwa v125, v4, v5 dst_sel:DWORD dst_unused:UNUSED_PAD src0_sel:WORD_1 src1_sel:DWORD
	v_lshrrev_b32_e32 v5, 3, v20
	v_mov_b32_e32 v24, v125
	v_mov_b32_e32 v25, v126
	v_cmpx_gt_u32_e32 8, v20
; %bb.765:                              ;   in Loop: Header=BB342_9 Depth=1
	v_ffbh_u32_e32 v5, v125
	v_min_u32_e32 v5, 32, v5
	v_subrev_nc_u32_e32 v20, 28, v5
	v_sub_nc_u32_e32 v5, 29, v5
	v_lshlrev_b64 v[20:21], v20, v[125:126]
	v_and_b32_e32 v24, 7, v20
; %bb.766:                              ;   in Loop: Header=BB342_9 Depth=1
	s_or_b32 exec_lo, exec_lo, s22
	v_mov_b32_e32 v14, 24
	v_lshlrev_b32_e32 v20, 20, v24
	v_lshl_add_u32 v5, v5, 23, 0x3c000000
	v_lshlrev_b32_sdwa v14, v14, v4 dst_sel:DWORD dst_unused:UNUSED_PAD src0_sel:DWORD src1_sel:WORD_1
	v_and_b32_e32 v14, 0x80000000, v14
	v_or3_b32 v53, v20, v14, v5
.LBB342_767:                            ;   in Loop: Header=BB342_9 Depth=1
	s_or_b32 exec_lo, exec_lo, s21
.LBB342_768:                            ;   in Loop: Header=BB342_9 Depth=1
	s_or_b32 exec_lo, exec_lo, s20
.LBB342_769:                            ;   in Loop: Header=BB342_9 Depth=1
	s_or_b32 exec_lo, exec_lo, s17
	s_mov_b32 s17, exec_lo
	v_cmpx_lt_u32_e32 0xffffff, v4
	s_cbranch_execz .LBB342_777
; %bb.770:                              ;   in Loop: Header=BB342_9 Depth=1
	v_mov_b32_e32 v5, 0x80
	v_bfrev_b32_e32 v52, 1
	v_cmp_ne_u32_sdwa s7, v4, v5 src0_sel:BYTE_3 src1_sel:DWORD
	s_and_saveexec_b32 s20, s7
	s_cbranch_execz .LBB342_776
; %bb.771:                              ;   in Loop: Header=BB342_9 Depth=1
	v_bfe_u32 v20, v4, 24, 7
	v_mov_b32_e32 v52, 0x7f800001
	s_mov_b32 s21, exec_lo
	v_cmpx_ne_u32_e32 0x7f, v20
	s_cbranch_execz .LBB342_775
; %bb.772:                              ;   in Loop: Header=BB342_9 Depth=1
	v_mov_b32_e32 v5, 7
	s_mov_b32 s22, exec_lo
	v_and_b32_sdwa v125, v4, v5 dst_sel:DWORD dst_unused:UNUSED_PAD src0_sel:BYTE_3 src1_sel:DWORD
	v_lshrrev_b32_e32 v5, 3, v20
	v_mov_b32_e32 v24, v125
	v_mov_b32_e32 v25, v126
	v_cmpx_gt_u32_e32 8, v20
; %bb.773:                              ;   in Loop: Header=BB342_9 Depth=1
	v_ffbh_u32_e32 v5, v125
	v_min_u32_e32 v5, 32, v5
	v_subrev_nc_u32_e32 v20, 28, v5
	v_sub_nc_u32_e32 v5, 29, v5
	v_lshlrev_b64 v[20:21], v20, v[125:126]
	v_and_b32_e32 v24, 7, v20
; %bb.774:                              ;   in Loop: Header=BB342_9 Depth=1
	s_or_b32 exec_lo, exec_lo, s22
	v_mov_b32_e32 v14, 24
	v_lshl_add_u32 v5, v5, 23, 0x3c000000
	v_lshlrev_b32_sdwa v4, v14, v4 dst_sel:DWORD dst_unused:UNUSED_PAD src0_sel:DWORD src1_sel:BYTE_3
	v_lshlrev_b32_e32 v14, 20, v24
	v_and_b32_e32 v4, 0x80000000, v4
	v_or3_b32 v52, v14, v4, v5
.LBB342_775:                            ;   in Loop: Header=BB342_9 Depth=1
	s_or_b32 exec_lo, exec_lo, s21
.LBB342_776:                            ;   in Loop: Header=BB342_9 Depth=1
	s_or_b32 exec_lo, exec_lo, s20
.LBB342_777:                            ;   in Loop: Header=BB342_9 Depth=1
	s_or_b32 exec_lo, exec_lo, s17
	buffer_load_dword v14, off, s[0:3], s32 offset:192 ; 4-byte Folded Reload
	v_add_co_u32 v4, s7, 0xc00, v16
	v_add_co_ci_u32_e64 v5, null, 0, v17, s7
	v_mov_b32_e32 v55, 0
	v_mov_b32_e32 v54, 0
	s_waitcnt vmcnt(0)
	v_add_co_u32 v20, s7, v4, v14
	v_add_co_ci_u32_e64 v21, null, 0, v5, s7
	flat_load_dword v20, v[20:21]
	s_waitcnt vmcnt(0) lgkmcnt(0)
	v_cmp_ne_u16_sdwa s7, v20, v126 src0_sel:BYTE_0 src1_sel:DWORD
	s_and_saveexec_b32 s17, s7
	s_cbranch_execz .LBB342_785
; %bb.778:                              ;   in Loop: Header=BB342_9 Depth=1
	v_mov_b32_e32 v14, 0x80
	v_bfrev_b32_e32 v54, 1
	v_cmp_ne_u16_sdwa s7, v20, v14 src0_sel:BYTE_0 src1_sel:DWORD
	s_and_saveexec_b32 s20, s7
	s_cbranch_execz .LBB342_784
; %bb.779:                              ;   in Loop: Header=BB342_9 Depth=1
	v_and_b32_e32 v64, 0x7f, v20
	v_mov_b32_e32 v54, 0x7f800001
	s_mov_b32 s21, exec_lo
	v_cmpx_ne_u32_e32 0x7f, v64
	s_cbranch_execz .LBB342_783
; %bb.780:                              ;   in Loop: Header=BB342_9 Depth=1
	v_and_b32_e32 v125, 7, v20
	v_lshrrev_b32_e32 v21, 3, v64
	s_mov_b32 s22, exec_lo
	v_mov_b32_e32 v24, v125
	v_mov_b32_e32 v25, v126
	v_cmpx_gt_u32_e32 8, v64
; %bb.781:                              ;   in Loop: Header=BB342_9 Depth=1
	v_ffbh_u32_e32 v21, v125
	v_min_u32_e32 v21, 32, v21
	v_subrev_nc_u32_e32 v24, 28, v21
	v_sub_nc_u32_e32 v21, 29, v21
	v_lshlrev_b64 v[24:25], v24, v[125:126]
	v_and_b32_e32 v24, 7, v24
; %bb.782:                              ;   in Loop: Header=BB342_9 Depth=1
	s_or_b32 exec_lo, exec_lo, s22
	v_lshlrev_b32_e32 v14, 24, v20
	v_lshlrev_b32_e32 v24, 20, v24
	v_lshl_add_u32 v21, v21, 23, 0x3c000000
	v_and_b32_e32 v14, 0x80000000, v14
	v_or3_b32 v54, v24, v14, v21
.LBB342_783:                            ;   in Loop: Header=BB342_9 Depth=1
	s_or_b32 exec_lo, exec_lo, s21
.LBB342_784:                            ;   in Loop: Header=BB342_9 Depth=1
	s_or_b32 exec_lo, exec_lo, s20
.LBB342_785:                            ;   in Loop: Header=BB342_9 Depth=1
	s_or_b32 exec_lo, exec_lo, s17
	v_cmp_ne_u16_sdwa s7, v20, v126 src0_sel:BYTE_1 src1_sel:DWORD
	s_and_saveexec_b32 s17, s7
	s_cbranch_execz .LBB342_793
; %bb.786:                              ;   in Loop: Header=BB342_9 Depth=1
	v_mov_b32_e32 v14, 0x80
	v_bfrev_b32_e32 v55, 1
	v_cmp_ne_u16_sdwa s7, v20, v14 src0_sel:BYTE_1 src1_sel:DWORD
	s_and_saveexec_b32 s20, s7
	s_cbranch_execz .LBB342_792
; %bb.787:                              ;   in Loop: Header=BB342_9 Depth=1
	v_mov_b32_e32 v14, 0xffff
	v_mov_b32_e32 v55, 0x7f800001
	s_mov_b32 s21, exec_lo
	v_and_b32_sdwa v14, v14, v20 dst_sel:DWORD dst_unused:UNUSED_PAD src0_sel:DWORD src1_sel:BYTE_1
	v_and_b32_e32 v64, 0x7f, v14
	v_cmpx_ne_u32_e32 0x7f, v64
	s_cbranch_execz .LBB342_791
; %bb.788:                              ;   in Loop: Header=BB342_9 Depth=1
	v_and_b32_e32 v125, 7, v14
	v_lshrrev_b32_e32 v21, 3, v64
	s_mov_b32 s22, exec_lo
	v_mov_b32_e32 v24, v125
	v_mov_b32_e32 v25, v126
	v_cmpx_gt_u32_e32 8, v64
; %bb.789:                              ;   in Loop: Header=BB342_9 Depth=1
	v_ffbh_u32_e32 v21, v125
	v_min_u32_e32 v21, 32, v21
	v_subrev_nc_u32_e32 v24, 28, v21
	v_sub_nc_u32_e32 v21, 29, v21
	v_lshlrev_b64 v[24:25], v24, v[125:126]
	v_and_b32_e32 v24, 7, v24
; %bb.790:                              ;   in Loop: Header=BB342_9 Depth=1
	s_or_b32 exec_lo, exec_lo, s22
	v_lshlrev_b32_e32 v14, 16, v20
	v_lshlrev_b32_e32 v24, 20, v24
	v_lshl_add_u32 v21, v21, 23, 0x3c000000
	v_and_b32_e32 v14, 0x80000000, v14
	v_or3_b32 v55, v24, v14, v21
.LBB342_791:                            ;   in Loop: Header=BB342_9 Depth=1
	s_or_b32 exec_lo, exec_lo, s21
.LBB342_792:                            ;   in Loop: Header=BB342_9 Depth=1
	s_or_b32 exec_lo, exec_lo, s20
.LBB342_793:                            ;   in Loop: Header=BB342_9 Depth=1
	s_or_b32 exec_lo, exec_lo, s17
	v_mov_b32_e32 v14, 0xff
	v_mov_b32_e32 v64, 0
	;; [unrolled: 1-line block ×3, first 2 shown]
	s_mov_b32 s17, exec_lo
	v_and_b32_sdwa v14, v20, v14 dst_sel:DWORD dst_unused:UNUSED_PAD src0_sel:WORD_1 src1_sel:DWORD
	v_cmpx_ne_u16_e32 0, v14
	s_cbranch_execz .LBB342_801
; %bb.794:                              ;   in Loop: Header=BB342_9 Depth=1
	v_bfrev_b32_e32 v67, 1
	s_mov_b32 s20, exec_lo
	v_cmpx_ne_u16_e32 0x80, v14
	s_cbranch_execz .LBB342_800
; %bb.795:                              ;   in Loop: Header=BB342_9 Depth=1
	v_bfe_u32 v68, v20, 16, 7
	v_mov_b32_e32 v67, 0x7f800001
	s_mov_b32 s21, exec_lo
	v_cmpx_ne_u32_e32 0x7f, v68
	s_cbranch_execz .LBB342_799
; %bb.796:                              ;   in Loop: Header=BB342_9 Depth=1
	v_mov_b32_e32 v14, 7
	v_lshrrev_b32_e32 v21, 3, v68
	s_mov_b32 s22, exec_lo
	v_and_b32_sdwa v125, v20, v14 dst_sel:DWORD dst_unused:UNUSED_PAD src0_sel:WORD_1 src1_sel:DWORD
	v_mov_b32_e32 v24, v125
	v_mov_b32_e32 v25, v126
	v_cmpx_gt_u32_e32 8, v68
; %bb.797:                              ;   in Loop: Header=BB342_9 Depth=1
	v_ffbh_u32_e32 v21, v125
	v_min_u32_e32 v21, 32, v21
	v_subrev_nc_u32_e32 v24, 28, v21
	v_sub_nc_u32_e32 v21, 29, v21
	v_lshlrev_b64 v[24:25], v24, v[125:126]
	v_and_b32_e32 v24, 7, v24
; %bb.798:                              ;   in Loop: Header=BB342_9 Depth=1
	s_or_b32 exec_lo, exec_lo, s22
	v_mov_b32_e32 v14, 24
	v_lshlrev_b32_e32 v24, 20, v24
	v_lshl_add_u32 v21, v21, 23, 0x3c000000
	v_lshlrev_b32_sdwa v14, v14, v20 dst_sel:DWORD dst_unused:UNUSED_PAD src0_sel:DWORD src1_sel:WORD_1
	v_and_b32_e32 v14, 0x80000000, v14
	v_or3_b32 v67, v24, v14, v21
.LBB342_799:                            ;   in Loop: Header=BB342_9 Depth=1
	s_or_b32 exec_lo, exec_lo, s21
.LBB342_800:                            ;   in Loop: Header=BB342_9 Depth=1
	s_or_b32 exec_lo, exec_lo, s20
.LBB342_801:                            ;   in Loop: Header=BB342_9 Depth=1
	s_or_b32 exec_lo, exec_lo, s17
	s_mov_b32 s17, exec_lo
	v_cmpx_lt_u32_e32 0xffffff, v20
	s_cbranch_execz .LBB342_809
; %bb.802:                              ;   in Loop: Header=BB342_9 Depth=1
	v_mov_b32_e32 v14, 0x80
	v_bfrev_b32_e32 v64, 1
	v_cmp_ne_u32_sdwa s7, v20, v14 src0_sel:BYTE_3 src1_sel:DWORD
	s_and_saveexec_b32 s20, s7
	s_cbranch_execz .LBB342_808
; %bb.803:                              ;   in Loop: Header=BB342_9 Depth=1
	v_bfe_u32 v68, v20, 24, 7
	v_mov_b32_e32 v64, 0x7f800001
	s_mov_b32 s21, exec_lo
	v_cmpx_ne_u32_e32 0x7f, v68
	s_cbranch_execz .LBB342_807
; %bb.804:                              ;   in Loop: Header=BB342_9 Depth=1
	v_mov_b32_e32 v14, 7
	v_lshrrev_b32_e32 v21, 3, v68
	s_mov_b32 s22, exec_lo
	v_and_b32_sdwa v125, v20, v14 dst_sel:DWORD dst_unused:UNUSED_PAD src0_sel:BYTE_3 src1_sel:DWORD
	v_mov_b32_e32 v24, v125
	v_mov_b32_e32 v25, v126
	v_cmpx_gt_u32_e32 8, v68
; %bb.805:                              ;   in Loop: Header=BB342_9 Depth=1
	v_ffbh_u32_e32 v21, v125
	v_min_u32_e32 v21, 32, v21
	v_subrev_nc_u32_e32 v24, 28, v21
	v_sub_nc_u32_e32 v21, 29, v21
	v_lshlrev_b64 v[24:25], v24, v[125:126]
	v_and_b32_e32 v24, 7, v24
; %bb.806:                              ;   in Loop: Header=BB342_9 Depth=1
	s_or_b32 exec_lo, exec_lo, s22
	v_mov_b32_e32 v14, 24
	v_lshl_add_u32 v21, v21, 23, 0x3c000000
	v_lshlrev_b32_sdwa v14, v14, v20 dst_sel:DWORD dst_unused:UNUSED_PAD src0_sel:DWORD src1_sel:BYTE_3
	v_lshlrev_b32_e32 v20, 20, v24
	v_and_b32_e32 v14, 0x80000000, v14
	v_or3_b32 v64, v20, v14, v21
.LBB342_807:                            ;   in Loop: Header=BB342_9 Depth=1
	s_or_b32 exec_lo, exec_lo, s21
.LBB342_808:                            ;   in Loop: Header=BB342_9 Depth=1
	s_or_b32 exec_lo, exec_lo, s20
.LBB342_809:                            ;   in Loop: Header=BB342_9 Depth=1
	s_or_b32 exec_lo, exec_lo, s17
	buffer_load_dword v14, off, s[0:3], s32 offset:200 ; 4-byte Folded Reload
	v_mov_b32_e32 v69, 0
	v_mov_b32_e32 v68, 0
	s_waitcnt vmcnt(0)
	v_add_co_u32 v4, s7, v4, v14
	v_add_co_ci_u32_e64 v5, null, 0, v5, s7
	flat_load_dword v5, v[4:5]
	s_waitcnt vmcnt(0) lgkmcnt(0)
	v_cmp_ne_u16_sdwa s7, v5, v126 src0_sel:BYTE_0 src1_sel:DWORD
	s_and_saveexec_b32 s17, s7
	s_cbranch_execz .LBB342_817
; %bb.810:                              ;   in Loop: Header=BB342_9 Depth=1
	v_mov_b32_e32 v4, 0x80
	v_bfrev_b32_e32 v68, 1
	v_cmp_ne_u16_sdwa s7, v5, v4 src0_sel:BYTE_0 src1_sel:DWORD
	s_and_saveexec_b32 s20, s7
	s_cbranch_execz .LBB342_816
; %bb.811:                              ;   in Loop: Header=BB342_9 Depth=1
	v_and_b32_e32 v20, 0x7f, v5
	v_mov_b32_e32 v68, 0x7f800001
	s_mov_b32 s21, exec_lo
	v_cmpx_ne_u32_e32 0x7f, v20
	s_cbranch_execz .LBB342_815
; %bb.812:                              ;   in Loop: Header=BB342_9 Depth=1
	v_and_b32_e32 v125, 7, v5
	v_lshrrev_b32_e32 v4, 3, v20
	s_mov_b32 s22, exec_lo
	v_mov_b32_e32 v24, v125
	v_mov_b32_e32 v25, v126
	v_cmpx_gt_u32_e32 8, v20
; %bb.813:                              ;   in Loop: Header=BB342_9 Depth=1
	v_ffbh_u32_e32 v4, v125
	v_min_u32_e32 v4, 32, v4
	v_subrev_nc_u32_e32 v20, 28, v4
	v_sub_nc_u32_e32 v4, 29, v4
	v_lshlrev_b64 v[20:21], v20, v[125:126]
	v_and_b32_e32 v24, 7, v20
; %bb.814:                              ;   in Loop: Header=BB342_9 Depth=1
	s_or_b32 exec_lo, exec_lo, s22
	v_lshlrev_b32_e32 v14, 24, v5
	v_lshlrev_b32_e32 v20, 20, v24
	v_lshl_add_u32 v4, v4, 23, 0x3c000000
	v_and_b32_e32 v14, 0x80000000, v14
	v_or3_b32 v68, v20, v14, v4
.LBB342_815:                            ;   in Loop: Header=BB342_9 Depth=1
	s_or_b32 exec_lo, exec_lo, s21
.LBB342_816:                            ;   in Loop: Header=BB342_9 Depth=1
	s_or_b32 exec_lo, exec_lo, s20
.LBB342_817:                            ;   in Loop: Header=BB342_9 Depth=1
	s_or_b32 exec_lo, exec_lo, s17
	v_cmp_ne_u16_sdwa s7, v5, v126 src0_sel:BYTE_1 src1_sel:DWORD
	s_and_saveexec_b32 s17, s7
	s_cbranch_execz .LBB342_825
; %bb.818:                              ;   in Loop: Header=BB342_9 Depth=1
	v_mov_b32_e32 v4, 0x80
	v_bfrev_b32_e32 v69, 1
	v_cmp_ne_u16_sdwa s7, v5, v4 src0_sel:BYTE_1 src1_sel:DWORD
	s_and_saveexec_b32 s20, s7
	s_cbranch_execz .LBB342_824
; %bb.819:                              ;   in Loop: Header=BB342_9 Depth=1
	v_mov_b32_e32 v4, 0xffff
	v_mov_b32_e32 v69, 0x7f800001
	s_mov_b32 s21, exec_lo
	v_and_b32_sdwa v4, v4, v5 dst_sel:DWORD dst_unused:UNUSED_PAD src0_sel:DWORD src1_sel:BYTE_1
	v_and_b32_e32 v20, 0x7f, v4
	v_cmpx_ne_u32_e32 0x7f, v20
	s_cbranch_execz .LBB342_823
; %bb.820:                              ;   in Loop: Header=BB342_9 Depth=1
	v_and_b32_e32 v125, 7, v4
	v_lshrrev_b32_e32 v4, 3, v20
	s_mov_b32 s22, exec_lo
	v_mov_b32_e32 v24, v125
	v_mov_b32_e32 v25, v126
	v_cmpx_gt_u32_e32 8, v20
; %bb.821:                              ;   in Loop: Header=BB342_9 Depth=1
	v_ffbh_u32_e32 v4, v125
	v_min_u32_e32 v4, 32, v4
	v_subrev_nc_u32_e32 v20, 28, v4
	v_sub_nc_u32_e32 v4, 29, v4
	v_lshlrev_b64 v[20:21], v20, v[125:126]
	v_and_b32_e32 v24, 7, v20
; %bb.822:                              ;   in Loop: Header=BB342_9 Depth=1
	s_or_b32 exec_lo, exec_lo, s22
	v_lshlrev_b32_e32 v14, 16, v5
	v_lshlrev_b32_e32 v20, 20, v24
	v_lshl_add_u32 v4, v4, 23, 0x3c000000
	v_and_b32_e32 v14, 0x80000000, v14
	v_or3_b32 v69, v20, v14, v4
.LBB342_823:                            ;   in Loop: Header=BB342_9 Depth=1
	s_or_b32 exec_lo, exec_lo, s21
.LBB342_824:                            ;   in Loop: Header=BB342_9 Depth=1
	s_or_b32 exec_lo, exec_lo, s20
.LBB342_825:                            ;   in Loop: Header=BB342_9 Depth=1
	s_or_b32 exec_lo, exec_lo, s17
	v_mov_b32_e32 v4, 0xff
	v_mov_b32_e32 v71, 0
	s_mov_b32 s17, exec_lo
	v_and_b32_sdwa v14, v5, v4 dst_sel:DWORD dst_unused:UNUSED_PAD src0_sel:WORD_1 src1_sel:DWORD
	v_mov_b32_e32 v4, 0
	v_cmpx_ne_u16_e32 0, v14
	s_cbranch_execz .LBB342_833
; %bb.826:                              ;   in Loop: Header=BB342_9 Depth=1
	v_bfrev_b32_e32 v4, 1
	s_mov_b32 s20, exec_lo
	v_cmpx_ne_u16_e32 0x80, v14
	s_cbranch_execz .LBB342_832
; %bb.827:                              ;   in Loop: Header=BB342_9 Depth=1
	v_bfe_u32 v20, v5, 16, 7
	v_mov_b32_e32 v4, 0x7f800001
	s_mov_b32 s21, exec_lo
	v_cmpx_ne_u32_e32 0x7f, v20
	s_cbranch_execz .LBB342_831
; %bb.828:                              ;   in Loop: Header=BB342_9 Depth=1
	v_mov_b32_e32 v4, 7
	s_mov_b32 s22, exec_lo
	v_and_b32_sdwa v125, v5, v4 dst_sel:DWORD dst_unused:UNUSED_PAD src0_sel:WORD_1 src1_sel:DWORD
	v_lshrrev_b32_e32 v4, 3, v20
	v_mov_b32_e32 v24, v125
	v_mov_b32_e32 v25, v126
	v_cmpx_gt_u32_e32 8, v20
; %bb.829:                              ;   in Loop: Header=BB342_9 Depth=1
	v_ffbh_u32_e32 v4, v125
	v_min_u32_e32 v4, 32, v4
	v_subrev_nc_u32_e32 v20, 28, v4
	v_sub_nc_u32_e32 v4, 29, v4
	v_lshlrev_b64 v[20:21], v20, v[125:126]
	v_and_b32_e32 v24, 7, v20
; %bb.830:                              ;   in Loop: Header=BB342_9 Depth=1
	s_or_b32 exec_lo, exec_lo, s22
	v_mov_b32_e32 v14, 24
	v_lshlrev_b32_e32 v20, 20, v24
	v_lshl_add_u32 v4, v4, 23, 0x3c000000
	v_lshlrev_b32_sdwa v14, v14, v5 dst_sel:DWORD dst_unused:UNUSED_PAD src0_sel:DWORD src1_sel:WORD_1
	v_and_b32_e32 v14, 0x80000000, v14
	v_or3_b32 v4, v20, v14, v4
.LBB342_831:                            ;   in Loop: Header=BB342_9 Depth=1
	s_or_b32 exec_lo, exec_lo, s21
.LBB342_832:                            ;   in Loop: Header=BB342_9 Depth=1
	s_or_b32 exec_lo, exec_lo, s20
.LBB342_833:                            ;   in Loop: Header=BB342_9 Depth=1
	s_or_b32 exec_lo, exec_lo, s17
	s_mov_b32 s17, exec_lo
	v_cmpx_lt_u32_e32 0xffffff, v5
	s_cbranch_execz .LBB342_841
; %bb.834:                              ;   in Loop: Header=BB342_9 Depth=1
	v_mov_b32_e32 v14, 0x80
	v_bfrev_b32_e32 v71, 1
	v_cmp_ne_u32_sdwa s7, v5, v14 src0_sel:BYTE_3 src1_sel:DWORD
	s_and_saveexec_b32 s20, s7
	s_cbranch_execz .LBB342_840
; %bb.835:                              ;   in Loop: Header=BB342_9 Depth=1
	v_bfe_u32 v21, v5, 24, 7
	v_mov_b32_e32 v71, 0x7f800001
	s_mov_b32 s21, exec_lo
	v_cmpx_ne_u32_e32 0x7f, v21
	s_cbranch_execz .LBB342_839
; %bb.836:                              ;   in Loop: Header=BB342_9 Depth=1
	v_mov_b32_e32 v14, 7
	v_lshrrev_b32_e32 v20, 3, v21
	s_mov_b32 s22, exec_lo
	v_and_b32_sdwa v125, v5, v14 dst_sel:DWORD dst_unused:UNUSED_PAD src0_sel:BYTE_3 src1_sel:DWORD
	v_mov_b32_e32 v24, v125
	v_mov_b32_e32 v25, v126
	v_cmpx_gt_u32_e32 8, v21
; %bb.837:                              ;   in Loop: Header=BB342_9 Depth=1
	v_ffbh_u32_e32 v20, v125
	v_min_u32_e32 v20, 32, v20
	v_subrev_nc_u32_e32 v21, 28, v20
	v_sub_nc_u32_e32 v20, 29, v20
	v_lshlrev_b64 v[24:25], v21, v[125:126]
	v_and_b32_e32 v24, 7, v24
; %bb.838:                              ;   in Loop: Header=BB342_9 Depth=1
	s_or_b32 exec_lo, exec_lo, s22
	v_mov_b32_e32 v14, 24
	v_lshl_add_u32 v20, v20, 23, 0x3c000000
	v_lshlrev_b32_sdwa v5, v14, v5 dst_sel:DWORD dst_unused:UNUSED_PAD src0_sel:DWORD src1_sel:BYTE_3
	v_lshlrev_b32_e32 v14, 20, v24
	v_and_b32_e32 v5, 0x80000000, v5
	v_or3_b32 v71, v14, v5, v20
.LBB342_839:                            ;   in Loop: Header=BB342_9 Depth=1
	s_or_b32 exec_lo, exec_lo, s21
.LBB342_840:                            ;   in Loop: Header=BB342_9 Depth=1
	s_or_b32 exec_lo, exec_lo, s20
.LBB342_841:                            ;   in Loop: Header=BB342_9 Depth=1
	s_or_b32 exec_lo, exec_lo, s17
	buffer_load_dword v5, off, s[0:3], s32 offset:192 ; 4-byte Folded Reload
	v_add_co_u32 v99, s7, 0xd00, v16
	v_add_co_ci_u32_e64 v100, null, 0, v17, s7
	v_mov_b32_e32 v70, 0
	s_waitcnt vmcnt(0)
	v_add_co_u32 v20, s7, v99, v5
	v_add_co_ci_u32_e64 v21, null, 0, v100, s7
	v_mov_b32_e32 v5, 0
	flat_load_dword v101, v[20:21]
	s_waitcnt vmcnt(0) lgkmcnt(0)
	v_cmp_ne_u16_sdwa s7, v101, v126 src0_sel:BYTE_0 src1_sel:DWORD
	s_and_saveexec_b32 s17, s7
	s_cbranch_execz .LBB342_849
; %bb.842:                              ;   in Loop: Header=BB342_9 Depth=1
	v_mov_b32_e32 v5, 0x80
	v_cmp_ne_u16_sdwa s7, v101, v5 src0_sel:BYTE_0 src1_sel:DWORD
	v_bfrev_b32_e32 v5, 1
	s_and_saveexec_b32 s20, s7
	s_cbranch_execz .LBB342_848
; %bb.843:                              ;   in Loop: Header=BB342_9 Depth=1
	v_and_b32_e32 v20, 0x7f, v101
	v_mov_b32_e32 v5, 0x7f800001
	s_mov_b32 s21, exec_lo
	v_cmpx_ne_u32_e32 0x7f, v20
	s_cbranch_execz .LBB342_847
; %bb.844:                              ;   in Loop: Header=BB342_9 Depth=1
	v_and_b32_e32 v125, 7, v101
	v_lshrrev_b32_e32 v5, 3, v20
	s_mov_b32 s22, exec_lo
	v_mov_b32_e32 v24, v125
	v_mov_b32_e32 v25, v126
	v_cmpx_gt_u32_e32 8, v20
; %bb.845:                              ;   in Loop: Header=BB342_9 Depth=1
	v_ffbh_u32_e32 v5, v125
	v_min_u32_e32 v5, 32, v5
	v_subrev_nc_u32_e32 v20, 28, v5
	v_sub_nc_u32_e32 v5, 29, v5
	v_lshlrev_b64 v[20:21], v20, v[125:126]
	v_and_b32_e32 v24, 7, v20
; %bb.846:                              ;   in Loop: Header=BB342_9 Depth=1
	s_or_b32 exec_lo, exec_lo, s22
	v_lshlrev_b32_e32 v14, 24, v101
	v_lshlrev_b32_e32 v20, 20, v24
	v_lshl_add_u32 v5, v5, 23, 0x3c000000
	v_and_b32_e32 v14, 0x80000000, v14
	v_or3_b32 v5, v20, v14, v5
.LBB342_847:                            ;   in Loop: Header=BB342_9 Depth=1
	s_or_b32 exec_lo, exec_lo, s21
.LBB342_848:                            ;   in Loop: Header=BB342_9 Depth=1
	s_or_b32 exec_lo, exec_lo, s20
.LBB342_849:                            ;   in Loop: Header=BB342_9 Depth=1
	s_or_b32 exec_lo, exec_lo, s17
	v_cmp_ne_u16_sdwa s7, v101, v126 src0_sel:BYTE_1 src1_sel:DWORD
	s_and_saveexec_b32 s17, s7
	s_cbranch_execz .LBB342_857
; %bb.850:                              ;   in Loop: Header=BB342_9 Depth=1
	v_mov_b32_e32 v14, 0x80
	v_bfrev_b32_e32 v70, 1
	v_cmp_ne_u16_sdwa s7, v101, v14 src0_sel:BYTE_1 src1_sel:DWORD
	s_and_saveexec_b32 s20, s7
	s_cbranch_execz .LBB342_856
; %bb.851:                              ;   in Loop: Header=BB342_9 Depth=1
	v_mov_b32_e32 v14, 0xffff
	v_mov_b32_e32 v70, 0x7f800001
	s_mov_b32 s21, exec_lo
	v_and_b32_sdwa v14, v14, v101 dst_sel:DWORD dst_unused:UNUSED_PAD src0_sel:DWORD src1_sel:BYTE_1
	v_and_b32_e32 v21, 0x7f, v14
	v_cmpx_ne_u32_e32 0x7f, v21
	s_cbranch_execz .LBB342_855
; %bb.852:                              ;   in Loop: Header=BB342_9 Depth=1
	v_and_b32_e32 v125, 7, v14
	v_lshrrev_b32_e32 v20, 3, v21
	s_mov_b32 s22, exec_lo
	v_mov_b32_e32 v24, v125
	v_mov_b32_e32 v25, v126
	v_cmpx_gt_u32_e32 8, v21
; %bb.853:                              ;   in Loop: Header=BB342_9 Depth=1
	v_ffbh_u32_e32 v20, v125
	v_min_u32_e32 v20, 32, v20
	v_subrev_nc_u32_e32 v21, 28, v20
	v_sub_nc_u32_e32 v20, 29, v20
	v_lshlrev_b64 v[24:25], v21, v[125:126]
	v_and_b32_e32 v24, 7, v24
; %bb.854:                              ;   in Loop: Header=BB342_9 Depth=1
	s_or_b32 exec_lo, exec_lo, s22
	v_lshlrev_b32_e32 v14, 16, v101
	v_lshlrev_b32_e32 v21, 20, v24
	v_lshl_add_u32 v20, v20, 23, 0x3c000000
	v_and_b32_e32 v14, 0x80000000, v14
	v_or3_b32 v70, v21, v14, v20
.LBB342_855:                            ;   in Loop: Header=BB342_9 Depth=1
	s_or_b32 exec_lo, exec_lo, s21
.LBB342_856:                            ;   in Loop: Header=BB342_9 Depth=1
	s_or_b32 exec_lo, exec_lo, s20
.LBB342_857:                            ;   in Loop: Header=BB342_9 Depth=1
	s_or_b32 exec_lo, exec_lo, s17
	v_mov_b32_e32 v14, 0xff
	v_mov_b32_e32 v21, 0
	v_mov_b32_e32 v20, 0
	s_mov_b32 s17, exec_lo
	v_and_b32_sdwa v14, v101, v14 dst_sel:DWORD dst_unused:UNUSED_PAD src0_sel:WORD_1 src1_sel:DWORD
	v_cmpx_ne_u16_e32 0, v14
	s_cbranch_execz .LBB342_865
; %bb.858:                              ;   in Loop: Header=BB342_9 Depth=1
	v_bfrev_b32_e32 v20, 1
	s_mov_b32 s20, exec_lo
	v_cmpx_ne_u16_e32 0x80, v14
	s_cbranch_execz .LBB342_864
; %bb.859:                              ;   in Loop: Header=BB342_9 Depth=1
	v_bfe_u32 v102, v101, 16, 7
	v_mov_b32_e32 v20, 0x7f800001
	s_mov_b32 s21, exec_lo
	v_cmpx_ne_u32_e32 0x7f, v102
	s_cbranch_execz .LBB342_863
; %bb.860:                              ;   in Loop: Header=BB342_9 Depth=1
	v_mov_b32_e32 v14, 7
	v_lshrrev_b32_e32 v20, 3, v102
	s_mov_b32 s22, exec_lo
	v_and_b32_sdwa v125, v101, v14 dst_sel:DWORD dst_unused:UNUSED_PAD src0_sel:WORD_1 src1_sel:DWORD
	v_mov_b32_e32 v24, v125
	v_mov_b32_e32 v25, v126
	v_cmpx_gt_u32_e32 8, v102
; %bb.861:                              ;   in Loop: Header=BB342_9 Depth=1
	v_ffbh_u32_e32 v20, v125
	v_min_u32_e32 v20, 32, v20
	v_subrev_nc_u32_e32 v24, 28, v20
	v_sub_nc_u32_e32 v20, 29, v20
	v_lshlrev_b64 v[24:25], v24, v[125:126]
	v_and_b32_e32 v24, 7, v24
; %bb.862:                              ;   in Loop: Header=BB342_9 Depth=1
	s_or_b32 exec_lo, exec_lo, s22
	v_mov_b32_e32 v14, 24
	v_lshlrev_b32_e32 v24, 20, v24
	v_lshl_add_u32 v20, v20, 23, 0x3c000000
	v_lshlrev_b32_sdwa v14, v14, v101 dst_sel:DWORD dst_unused:UNUSED_PAD src0_sel:DWORD src1_sel:WORD_1
	v_and_b32_e32 v14, 0x80000000, v14
	v_or3_b32 v20, v24, v14, v20
.LBB342_863:                            ;   in Loop: Header=BB342_9 Depth=1
	s_or_b32 exec_lo, exec_lo, s21
.LBB342_864:                            ;   in Loop: Header=BB342_9 Depth=1
	s_or_b32 exec_lo, exec_lo, s20
.LBB342_865:                            ;   in Loop: Header=BB342_9 Depth=1
	s_or_b32 exec_lo, exec_lo, s17
	s_mov_b32 s17, exec_lo
	v_cmpx_lt_u32_e32 0xffffff, v101
	s_cbranch_execz .LBB342_873
; %bb.866:                              ;   in Loop: Header=BB342_9 Depth=1
	v_mov_b32_e32 v14, 0x80
	v_bfrev_b32_e32 v21, 1
	v_cmp_ne_u32_sdwa s7, v101, v14 src0_sel:BYTE_3 src1_sel:DWORD
	s_and_saveexec_b32 s20, s7
	s_cbranch_execz .LBB342_872
; %bb.867:                              ;   in Loop: Header=BB342_9 Depth=1
	v_bfe_u32 v102, v101, 24, 7
	v_mov_b32_e32 v21, 0x7f800001
	s_mov_b32 s21, exec_lo
	v_cmpx_ne_u32_e32 0x7f, v102
	s_cbranch_execz .LBB342_871
; %bb.868:                              ;   in Loop: Header=BB342_9 Depth=1
	v_mov_b32_e32 v14, 7
	v_lshrrev_b32_e32 v21, 3, v102
	s_mov_b32 s22, exec_lo
	v_and_b32_sdwa v125, v101, v14 dst_sel:DWORD dst_unused:UNUSED_PAD src0_sel:BYTE_3 src1_sel:DWORD
	v_mov_b32_e32 v24, v125
	v_mov_b32_e32 v25, v126
	v_cmpx_gt_u32_e32 8, v102
; %bb.869:                              ;   in Loop: Header=BB342_9 Depth=1
	v_ffbh_u32_e32 v21, v125
	v_min_u32_e32 v21, 32, v21
	v_subrev_nc_u32_e32 v24, 28, v21
	v_sub_nc_u32_e32 v21, 29, v21
	v_lshlrev_b64 v[24:25], v24, v[125:126]
	v_and_b32_e32 v24, 7, v24
; %bb.870:                              ;   in Loop: Header=BB342_9 Depth=1
	s_or_b32 exec_lo, exec_lo, s22
	v_mov_b32_e32 v14, 24
	v_lshlrev_b32_e32 v24, 20, v24
	v_lshl_add_u32 v21, v21, 23, 0x3c000000
	v_lshlrev_b32_sdwa v14, v14, v101 dst_sel:DWORD dst_unused:UNUSED_PAD src0_sel:DWORD src1_sel:BYTE_3
	v_and_b32_e32 v14, 0x80000000, v14
	v_or3_b32 v21, v24, v14, v21
.LBB342_871:                            ;   in Loop: Header=BB342_9 Depth=1
	s_or_b32 exec_lo, exec_lo, s21
.LBB342_872:                            ;   in Loop: Header=BB342_9 Depth=1
	s_or_b32 exec_lo, exec_lo, s20
.LBB342_873:                            ;   in Loop: Header=BB342_9 Depth=1
	s_or_b32 exec_lo, exec_lo, s17
	buffer_load_dword v14, off, s[0:3], s32 offset:200 ; 4-byte Folded Reload
	s_waitcnt vmcnt(0)
	v_add_co_u32 v24, s7, v99, v14
	v_add_co_ci_u32_e64 v25, null, 0, v100, s7
	v_mov_b32_e32 v100, 0
	v_mov_b32_e32 v99, 0
	flat_load_dword v103, v[24:25]
	s_waitcnt vmcnt(0) lgkmcnt(0)
	v_cmp_ne_u16_sdwa s7, v103, v126 src0_sel:BYTE_0 src1_sel:DWORD
	s_and_saveexec_b32 s17, s7
	s_cbranch_execz .LBB342_881
; %bb.874:                              ;   in Loop: Header=BB342_9 Depth=1
	v_mov_b32_e32 v14, 0x80
	v_bfrev_b32_e32 v99, 1
	v_cmp_ne_u16_sdwa s7, v103, v14 src0_sel:BYTE_0 src1_sel:DWORD
	s_and_saveexec_b32 s20, s7
	s_cbranch_execz .LBB342_880
; %bb.875:                              ;   in Loop: Header=BB342_9 Depth=1
	v_and_b32_e32 v101, 0x7f, v103
	v_mov_b32_e32 v99, 0x7f800001
	s_mov_b32 s21, exec_lo
	v_cmpx_ne_u32_e32 0x7f, v101
	s_cbranch_execz .LBB342_879
; %bb.876:                              ;   in Loop: Header=BB342_9 Depth=1
	v_and_b32_e32 v125, 7, v103
	s_mov_b32 s22, exec_lo
	v_mov_b32_e32 v24, v125
	v_mov_b32_e32 v25, v126
	v_lshrrev_b32_e32 v25, 3, v101
	v_cmpx_gt_u32_e32 8, v101
; %bb.877:                              ;   in Loop: Header=BB342_9 Depth=1
	v_ffbh_u32_e32 v24, v125
	v_min_u32_e32 v99, 32, v24
	v_subrev_nc_u32_e32 v24, 28, v99
	v_lshlrev_b64 v[24:25], v24, v[125:126]
	v_sub_nc_u32_e32 v25, 29, v99
	v_and_b32_e32 v24, 7, v24
; %bb.878:                              ;   in Loop: Header=BB342_9 Depth=1
	s_or_b32 exec_lo, exec_lo, s22
	v_lshlrev_b32_e32 v14, 24, v103
	v_lshlrev_b32_e32 v24, 20, v24
	v_lshl_add_u32 v25, v25, 23, 0x3c000000
	v_and_b32_e32 v14, 0x80000000, v14
	v_or3_b32 v99, v24, v14, v25
.LBB342_879:                            ;   in Loop: Header=BB342_9 Depth=1
	s_or_b32 exec_lo, exec_lo, s21
.LBB342_880:                            ;   in Loop: Header=BB342_9 Depth=1
	s_or_b32 exec_lo, exec_lo, s20
.LBB342_881:                            ;   in Loop: Header=BB342_9 Depth=1
	s_or_b32 exec_lo, exec_lo, s17
	v_cmp_ne_u16_sdwa s7, v103, v126 src0_sel:BYTE_1 src1_sel:DWORD
	s_and_saveexec_b32 s17, s7
	s_cbranch_execz .LBB342_889
; %bb.882:                              ;   in Loop: Header=BB342_9 Depth=1
	v_mov_b32_e32 v14, 0x80
	v_bfrev_b32_e32 v100, 1
	v_cmp_ne_u16_sdwa s7, v103, v14 src0_sel:BYTE_1 src1_sel:DWORD
	s_and_saveexec_b32 s20, s7
	s_cbranch_execz .LBB342_888
; %bb.883:                              ;   in Loop: Header=BB342_9 Depth=1
	v_mov_b32_e32 v14, 0xffff
	v_mov_b32_e32 v100, 0x7f800001
	s_mov_b32 s21, exec_lo
	v_and_b32_sdwa v14, v14, v103 dst_sel:DWORD dst_unused:UNUSED_PAD src0_sel:DWORD src1_sel:BYTE_1
	v_and_b32_e32 v101, 0x7f, v14
	v_cmpx_ne_u32_e32 0x7f, v101
	s_cbranch_execz .LBB342_887
; %bb.884:                              ;   in Loop: Header=BB342_9 Depth=1
	v_and_b32_e32 v125, 7, v14
	s_mov_b32 s22, exec_lo
	v_mov_b32_e32 v24, v125
	v_mov_b32_e32 v25, v126
	v_lshrrev_b32_e32 v25, 3, v101
	v_cmpx_gt_u32_e32 8, v101
; %bb.885:                              ;   in Loop: Header=BB342_9 Depth=1
	v_ffbh_u32_e32 v24, v125
	v_min_u32_e32 v100, 32, v24
	v_subrev_nc_u32_e32 v24, 28, v100
	v_lshlrev_b64 v[24:25], v24, v[125:126]
	v_sub_nc_u32_e32 v25, 29, v100
	v_and_b32_e32 v24, 7, v24
; %bb.886:                              ;   in Loop: Header=BB342_9 Depth=1
	s_or_b32 exec_lo, exec_lo, s22
	v_lshlrev_b32_e32 v14, 16, v103
	v_lshlrev_b32_e32 v24, 20, v24
	v_lshl_add_u32 v25, v25, 23, 0x3c000000
	v_and_b32_e32 v14, 0x80000000, v14
	v_or3_b32 v100, v24, v14, v25
.LBB342_887:                            ;   in Loop: Header=BB342_9 Depth=1
	s_or_b32 exec_lo, exec_lo, s21
.LBB342_888:                            ;   in Loop: Header=BB342_9 Depth=1
	s_or_b32 exec_lo, exec_lo, s20
.LBB342_889:                            ;   in Loop: Header=BB342_9 Depth=1
	s_or_b32 exec_lo, exec_lo, s17
	v_mov_b32_e32 v14, 0xff
	v_mov_b32_e32 v101, 0
	v_mov_b32_e32 v102, 0
	s_mov_b32 s17, exec_lo
	v_and_b32_sdwa v14, v103, v14 dst_sel:DWORD dst_unused:UNUSED_PAD src0_sel:WORD_1 src1_sel:DWORD
	v_cmpx_ne_u16_e32 0, v14
	s_cbranch_execz .LBB342_897
; %bb.890:                              ;   in Loop: Header=BB342_9 Depth=1
	v_bfrev_b32_e32 v102, 1
	s_mov_b32 s20, exec_lo
	v_cmpx_ne_u16_e32 0x80, v14
	s_cbranch_execz .LBB342_896
; %bb.891:                              ;   in Loop: Header=BB342_9 Depth=1
	v_bfe_u32 v112, v103, 16, 7
	v_mov_b32_e32 v102, 0x7f800001
	s_mov_b32 s21, exec_lo
	v_cmpx_ne_u32_e32 0x7f, v112
	s_cbranch_execz .LBB342_895
; %bb.892:                              ;   in Loop: Header=BB342_9 Depth=1
	v_mov_b32_e32 v14, 7
	s_mov_b32 s22, exec_lo
	v_and_b32_sdwa v125, v103, v14 dst_sel:DWORD dst_unused:UNUSED_PAD src0_sel:WORD_1 src1_sel:DWORD
	v_mov_b32_e32 v24, v125
	v_mov_b32_e32 v25, v126
	v_lshrrev_b32_e32 v25, 3, v112
	v_cmpx_gt_u32_e32 8, v112
; %bb.893:                              ;   in Loop: Header=BB342_9 Depth=1
	v_ffbh_u32_e32 v24, v125
	v_min_u32_e32 v102, 32, v24
	v_subrev_nc_u32_e32 v24, 28, v102
	v_lshlrev_b64 v[24:25], v24, v[125:126]
	v_sub_nc_u32_e32 v25, 29, v102
	v_and_b32_e32 v24, 7, v24
; %bb.894:                              ;   in Loop: Header=BB342_9 Depth=1
	s_or_b32 exec_lo, exec_lo, s22
	v_mov_b32_e32 v14, 24
	v_lshlrev_b32_e32 v24, 20, v24
	v_lshl_add_u32 v25, v25, 23, 0x3c000000
	v_lshlrev_b32_sdwa v14, v14, v103 dst_sel:DWORD dst_unused:UNUSED_PAD src0_sel:DWORD src1_sel:WORD_1
	v_and_b32_e32 v14, 0x80000000, v14
	v_or3_b32 v102, v24, v14, v25
.LBB342_895:                            ;   in Loop: Header=BB342_9 Depth=1
	s_or_b32 exec_lo, exec_lo, s21
.LBB342_896:                            ;   in Loop: Header=BB342_9 Depth=1
	s_or_b32 exec_lo, exec_lo, s20
.LBB342_897:                            ;   in Loop: Header=BB342_9 Depth=1
	s_or_b32 exec_lo, exec_lo, s17
	s_mov_b32 s17, exec_lo
	v_cmpx_lt_u32_e32 0xffffff, v103
	s_cbranch_execz .LBB342_905
; %bb.898:                              ;   in Loop: Header=BB342_9 Depth=1
	v_mov_b32_e32 v14, 0x80
	v_bfrev_b32_e32 v101, 1
	v_cmp_ne_u32_sdwa s7, v103, v14 src0_sel:BYTE_3 src1_sel:DWORD
	s_and_saveexec_b32 s20, s7
	s_cbranch_execz .LBB342_904
; %bb.899:                              ;   in Loop: Header=BB342_9 Depth=1
	v_bfe_u32 v112, v103, 24, 7
	v_mov_b32_e32 v101, 0x7f800001
	s_mov_b32 s21, exec_lo
	v_cmpx_ne_u32_e32 0x7f, v112
	s_cbranch_execz .LBB342_903
; %bb.900:                              ;   in Loop: Header=BB342_9 Depth=1
	v_mov_b32_e32 v14, 7
	s_mov_b32 s22, exec_lo
	v_and_b32_sdwa v125, v103, v14 dst_sel:DWORD dst_unused:UNUSED_PAD src0_sel:BYTE_3 src1_sel:DWORD
	v_mov_b32_e32 v24, v125
	v_mov_b32_e32 v25, v126
	v_lshrrev_b32_e32 v25, 3, v112
	v_cmpx_gt_u32_e32 8, v112
; %bb.901:                              ;   in Loop: Header=BB342_9 Depth=1
	v_ffbh_u32_e32 v24, v125
	v_min_u32_e32 v101, 32, v24
	v_subrev_nc_u32_e32 v24, 28, v101
	v_lshlrev_b64 v[24:25], v24, v[125:126]
	v_sub_nc_u32_e32 v25, 29, v101
	v_and_b32_e32 v24, 7, v24
; %bb.902:                              ;   in Loop: Header=BB342_9 Depth=1
	s_or_b32 exec_lo, exec_lo, s22
	v_mov_b32_e32 v14, 24
	v_lshlrev_b32_e32 v24, 20, v24
	v_lshl_add_u32 v25, v25, 23, 0x3c000000
	v_lshlrev_b32_sdwa v14, v14, v103 dst_sel:DWORD dst_unused:UNUSED_PAD src0_sel:DWORD src1_sel:BYTE_3
	v_and_b32_e32 v14, 0x80000000, v14
	v_or3_b32 v101, v24, v14, v25
.LBB342_903:                            ;   in Loop: Header=BB342_9 Depth=1
	s_or_b32 exec_lo, exec_lo, s21
.LBB342_904:                            ;   in Loop: Header=BB342_9 Depth=1
	s_or_b32 exec_lo, exec_lo, s20
.LBB342_905:                            ;   in Loop: Header=BB342_9 Depth=1
	s_or_b32 exec_lo, exec_lo, s17
	buffer_load_dword v14, off, s[0:3], s32 offset:192 ; 4-byte Folded Reload
	v_add_co_u32 v113, s7, 0xe00, v16
	v_add_co_ci_u32_e64 v114, null, 0, v17, s7
	v_mov_b32_e32 v112, 0
	v_mov_b32_e32 v103, 0
	s_waitcnt vmcnt(0)
	v_add_co_u32 v24, s7, v113, v14
	v_add_co_ci_u32_e64 v25, null, 0, v114, s7
	flat_load_dword v115, v[24:25]
	s_waitcnt vmcnt(0) lgkmcnt(0)
	v_cmp_ne_u16_sdwa s7, v115, v126 src0_sel:BYTE_0 src1_sel:DWORD
	s_and_saveexec_b32 s17, s7
	s_cbranch_execz .LBB342_913
; %bb.906:                              ;   in Loop: Header=BB342_9 Depth=1
	v_mov_b32_e32 v14, 0x80
	v_bfrev_b32_e32 v103, 1
	v_cmp_ne_u16_sdwa s7, v115, v14 src0_sel:BYTE_0 src1_sel:DWORD
	s_and_saveexec_b32 s20, s7
	s_cbranch_execz .LBB342_912
; %bb.907:                              ;   in Loop: Header=BB342_9 Depth=1
	v_and_b32_e32 v116, 0x7f, v115
	v_mov_b32_e32 v103, 0x7f800001
	s_mov_b32 s21, exec_lo
	v_cmpx_ne_u32_e32 0x7f, v116
	s_cbranch_execz .LBB342_911
; %bb.908:                              ;   in Loop: Header=BB342_9 Depth=1
	v_and_b32_e32 v125, 7, v115
	s_mov_b32 s22, exec_lo
	v_mov_b32_e32 v24, v125
	v_mov_b32_e32 v25, v126
	v_lshrrev_b32_e32 v25, 3, v116
	v_cmpx_gt_u32_e32 8, v116
; %bb.909:                              ;   in Loop: Header=BB342_9 Depth=1
	v_ffbh_u32_e32 v24, v125
	v_min_u32_e32 v103, 32, v24
	v_subrev_nc_u32_e32 v24, 28, v103
	v_lshlrev_b64 v[24:25], v24, v[125:126]
	v_sub_nc_u32_e32 v25, 29, v103
	v_and_b32_e32 v24, 7, v24
; %bb.910:                              ;   in Loop: Header=BB342_9 Depth=1
	s_or_b32 exec_lo, exec_lo, s22
	v_lshlrev_b32_e32 v14, 24, v115
	v_lshlrev_b32_e32 v24, 20, v24
	v_lshl_add_u32 v25, v25, 23, 0x3c000000
	v_and_b32_e32 v14, 0x80000000, v14
	v_or3_b32 v103, v24, v14, v25
.LBB342_911:                            ;   in Loop: Header=BB342_9 Depth=1
	s_or_b32 exec_lo, exec_lo, s21
.LBB342_912:                            ;   in Loop: Header=BB342_9 Depth=1
	s_or_b32 exec_lo, exec_lo, s20
.LBB342_913:                            ;   in Loop: Header=BB342_9 Depth=1
	s_or_b32 exec_lo, exec_lo, s17
	v_cmp_ne_u16_sdwa s7, v115, v126 src0_sel:BYTE_1 src1_sel:DWORD
	s_and_saveexec_b32 s17, s7
	s_cbranch_execz .LBB342_921
; %bb.914:                              ;   in Loop: Header=BB342_9 Depth=1
	v_mov_b32_e32 v14, 0x80
	v_bfrev_b32_e32 v112, 1
	v_cmp_ne_u16_sdwa s7, v115, v14 src0_sel:BYTE_1 src1_sel:DWORD
	s_and_saveexec_b32 s20, s7
	s_cbranch_execz .LBB342_920
; %bb.915:                              ;   in Loop: Header=BB342_9 Depth=1
	v_mov_b32_e32 v14, 0xffff
	v_mov_b32_e32 v112, 0x7f800001
	s_mov_b32 s21, exec_lo
	v_and_b32_sdwa v14, v14, v115 dst_sel:DWORD dst_unused:UNUSED_PAD src0_sel:DWORD src1_sel:BYTE_1
	v_and_b32_e32 v116, 0x7f, v14
	v_cmpx_ne_u32_e32 0x7f, v116
	s_cbranch_execz .LBB342_919
; %bb.916:                              ;   in Loop: Header=BB342_9 Depth=1
	v_and_b32_e32 v125, 7, v14
	s_mov_b32 s22, exec_lo
	v_mov_b32_e32 v24, v125
	v_mov_b32_e32 v25, v126
	v_lshrrev_b32_e32 v25, 3, v116
	v_cmpx_gt_u32_e32 8, v116
; %bb.917:                              ;   in Loop: Header=BB342_9 Depth=1
	v_ffbh_u32_e32 v24, v125
	v_min_u32_e32 v112, 32, v24
	v_subrev_nc_u32_e32 v24, 28, v112
	v_lshlrev_b64 v[24:25], v24, v[125:126]
	v_sub_nc_u32_e32 v25, 29, v112
	v_and_b32_e32 v24, 7, v24
; %bb.918:                              ;   in Loop: Header=BB342_9 Depth=1
	s_or_b32 exec_lo, exec_lo, s22
	v_lshlrev_b32_e32 v14, 16, v115
	v_lshlrev_b32_e32 v24, 20, v24
	v_lshl_add_u32 v25, v25, 23, 0x3c000000
	v_and_b32_e32 v14, 0x80000000, v14
	v_or3_b32 v112, v24, v14, v25
.LBB342_919:                            ;   in Loop: Header=BB342_9 Depth=1
	s_or_b32 exec_lo, exec_lo, s21
.LBB342_920:                            ;   in Loop: Header=BB342_9 Depth=1
	s_or_b32 exec_lo, exec_lo, s20
.LBB342_921:                            ;   in Loop: Header=BB342_9 Depth=1
	s_or_b32 exec_lo, exec_lo, s17
	v_mov_b32_e32 v14, 0xff
	v_mov_b32_e32 v119, 0
	;; [unrolled: 1-line block ×3, first 2 shown]
	s_mov_b32 s17, exec_lo
	v_and_b32_sdwa v14, v115, v14 dst_sel:DWORD dst_unused:UNUSED_PAD src0_sel:WORD_1 src1_sel:DWORD
	v_cmpx_ne_u16_e32 0, v14
	s_cbranch_execz .LBB342_929
; %bb.922:                              ;   in Loop: Header=BB342_9 Depth=1
	v_bfrev_b32_e32 v118, 1
	s_mov_b32 s20, exec_lo
	v_cmpx_ne_u16_e32 0x80, v14
	s_cbranch_execz .LBB342_928
; %bb.923:                              ;   in Loop: Header=BB342_9 Depth=1
	v_bfe_u32 v116, v115, 16, 7
	v_mov_b32_e32 v118, 0x7f800001
	s_mov_b32 s21, exec_lo
	v_cmpx_ne_u32_e32 0x7f, v116
	s_cbranch_execz .LBB342_927
; %bb.924:                              ;   in Loop: Header=BB342_9 Depth=1
	v_mov_b32_e32 v14, 7
	s_mov_b32 s22, exec_lo
	v_and_b32_sdwa v125, v115, v14 dst_sel:DWORD dst_unused:UNUSED_PAD src0_sel:WORD_1 src1_sel:DWORD
	v_mov_b32_e32 v24, v125
	v_mov_b32_e32 v25, v126
	v_lshrrev_b32_e32 v25, 3, v116
	v_cmpx_gt_u32_e32 8, v116
; %bb.925:                              ;   in Loop: Header=BB342_9 Depth=1
	v_ffbh_u32_e32 v24, v125
	v_min_u32_e32 v116, 32, v24
	v_subrev_nc_u32_e32 v24, 28, v116
	v_lshlrev_b64 v[24:25], v24, v[125:126]
	v_sub_nc_u32_e32 v25, 29, v116
	v_and_b32_e32 v24, 7, v24
; %bb.926:                              ;   in Loop: Header=BB342_9 Depth=1
	s_or_b32 exec_lo, exec_lo, s22
	v_mov_b32_e32 v14, 24
	v_lshlrev_b32_e32 v24, 20, v24
	v_lshl_add_u32 v25, v25, 23, 0x3c000000
	v_lshlrev_b32_sdwa v14, v14, v115 dst_sel:DWORD dst_unused:UNUSED_PAD src0_sel:DWORD src1_sel:WORD_1
	v_and_b32_e32 v14, 0x80000000, v14
	v_or3_b32 v118, v24, v14, v25
.LBB342_927:                            ;   in Loop: Header=BB342_9 Depth=1
	s_or_b32 exec_lo, exec_lo, s21
.LBB342_928:                            ;   in Loop: Header=BB342_9 Depth=1
	s_or_b32 exec_lo, exec_lo, s20
.LBB342_929:                            ;   in Loop: Header=BB342_9 Depth=1
	s_or_b32 exec_lo, exec_lo, s17
	s_mov_b32 s17, exec_lo
	v_cmpx_lt_u32_e32 0xffffff, v115
	s_cbranch_execz .LBB342_937
; %bb.930:                              ;   in Loop: Header=BB342_9 Depth=1
	v_mov_b32_e32 v14, 0x80
	v_bfrev_b32_e32 v119, 1
	v_cmp_ne_u32_sdwa s7, v115, v14 src0_sel:BYTE_3 src1_sel:DWORD
	s_and_saveexec_b32 s20, s7
	s_cbranch_execz .LBB342_936
; %bb.931:                              ;   in Loop: Header=BB342_9 Depth=1
	v_bfe_u32 v116, v115, 24, 7
	v_mov_b32_e32 v119, 0x7f800001
	s_mov_b32 s21, exec_lo
	v_cmpx_ne_u32_e32 0x7f, v116
	s_cbranch_execz .LBB342_935
; %bb.932:                              ;   in Loop: Header=BB342_9 Depth=1
	v_mov_b32_e32 v14, 7
	s_mov_b32 s22, exec_lo
	v_and_b32_sdwa v125, v115, v14 dst_sel:DWORD dst_unused:UNUSED_PAD src0_sel:BYTE_3 src1_sel:DWORD
	v_mov_b32_e32 v24, v125
	v_mov_b32_e32 v25, v126
	v_lshrrev_b32_e32 v25, 3, v116
	v_cmpx_gt_u32_e32 8, v116
; %bb.933:                              ;   in Loop: Header=BB342_9 Depth=1
	v_ffbh_u32_e32 v24, v125
	v_min_u32_e32 v116, 32, v24
	v_subrev_nc_u32_e32 v24, 28, v116
	v_lshlrev_b64 v[24:25], v24, v[125:126]
	v_sub_nc_u32_e32 v25, 29, v116
	v_and_b32_e32 v24, 7, v24
; %bb.934:                              ;   in Loop: Header=BB342_9 Depth=1
	s_or_b32 exec_lo, exec_lo, s22
	v_mov_b32_e32 v14, 24
	v_lshlrev_b32_e32 v24, 20, v24
	v_lshl_add_u32 v25, v25, 23, 0x3c000000
	v_lshlrev_b32_sdwa v14, v14, v115 dst_sel:DWORD dst_unused:UNUSED_PAD src0_sel:DWORD src1_sel:BYTE_3
	v_and_b32_e32 v14, 0x80000000, v14
	v_or3_b32 v119, v24, v14, v25
.LBB342_935:                            ;   in Loop: Header=BB342_9 Depth=1
	s_or_b32 exec_lo, exec_lo, s21
.LBB342_936:                            ;   in Loop: Header=BB342_9 Depth=1
	s_or_b32 exec_lo, exec_lo, s20
.LBB342_937:                            ;   in Loop: Header=BB342_9 Depth=1
	s_or_b32 exec_lo, exec_lo, s17
	buffer_load_dword v14, off, s[0:3], s32 offset:200 ; 4-byte Folded Reload
	v_mov_b32_e32 v116, 0
	v_mov_b32_e32 v117, 0
	s_waitcnt vmcnt(0)
	v_add_co_u32 v24, s7, v113, v14
	v_add_co_ci_u32_e64 v25, null, 0, v114, s7
	flat_load_dword v113, v[24:25]
	s_waitcnt vmcnt(0) lgkmcnt(0)
	v_cmp_ne_u16_sdwa s7, v113, v126 src0_sel:BYTE_0 src1_sel:DWORD
	s_and_saveexec_b32 s17, s7
	s_cbranch_execz .LBB342_945
; %bb.938:                              ;   in Loop: Header=BB342_9 Depth=1
	v_mov_b32_e32 v14, 0x80
	v_bfrev_b32_e32 v117, 1
	v_cmp_ne_u16_sdwa s7, v113, v14 src0_sel:BYTE_0 src1_sel:DWORD
	s_and_saveexec_b32 s20, s7
	s_cbranch_execz .LBB342_944
; %bb.939:                              ;   in Loop: Header=BB342_9 Depth=1
	v_and_b32_e32 v114, 0x7f, v113
	v_mov_b32_e32 v117, 0x7f800001
	s_mov_b32 s21, exec_lo
	v_cmpx_ne_u32_e32 0x7f, v114
	s_cbranch_execz .LBB342_943
; %bb.940:                              ;   in Loop: Header=BB342_9 Depth=1
	v_and_b32_e32 v125, 7, v113
	s_mov_b32 s22, exec_lo
	v_mov_b32_e32 v24, v125
	v_mov_b32_e32 v25, v126
	v_lshrrev_b32_e32 v25, 3, v114
	v_cmpx_gt_u32_e32 8, v114
; %bb.941:                              ;   in Loop: Header=BB342_9 Depth=1
	v_ffbh_u32_e32 v24, v125
	v_min_u32_e32 v114, 32, v24
	v_subrev_nc_u32_e32 v24, 28, v114
	v_lshlrev_b64 v[24:25], v24, v[125:126]
	v_sub_nc_u32_e32 v25, 29, v114
	v_and_b32_e32 v24, 7, v24
; %bb.942:                              ;   in Loop: Header=BB342_9 Depth=1
	s_or_b32 exec_lo, exec_lo, s22
	v_lshlrev_b32_e32 v14, 24, v113
	v_lshlrev_b32_e32 v24, 20, v24
	v_lshl_add_u32 v25, v25, 23, 0x3c000000
	v_and_b32_e32 v14, 0x80000000, v14
	v_or3_b32 v117, v24, v14, v25
.LBB342_943:                            ;   in Loop: Header=BB342_9 Depth=1
	s_or_b32 exec_lo, exec_lo, s21
.LBB342_944:                            ;   in Loop: Header=BB342_9 Depth=1
	s_or_b32 exec_lo, exec_lo, s20
.LBB342_945:                            ;   in Loop: Header=BB342_9 Depth=1
	s_or_b32 exec_lo, exec_lo, s17
	v_cmp_ne_u16_sdwa s7, v113, v126 src0_sel:BYTE_1 src1_sel:DWORD
	s_and_saveexec_b32 s17, s7
	s_cbranch_execz .LBB342_953
; %bb.946:                              ;   in Loop: Header=BB342_9 Depth=1
	v_mov_b32_e32 v14, 0x80
	v_bfrev_b32_e32 v116, 1
	v_cmp_ne_u16_sdwa s7, v113, v14 src0_sel:BYTE_1 src1_sel:DWORD
	s_and_saveexec_b32 s20, s7
	s_cbranch_execz .LBB342_952
; %bb.947:                              ;   in Loop: Header=BB342_9 Depth=1
	v_mov_b32_e32 v14, 0xffff
	v_mov_b32_e32 v116, 0x7f800001
	s_mov_b32 s21, exec_lo
	v_and_b32_sdwa v14, v14, v113 dst_sel:DWORD dst_unused:UNUSED_PAD src0_sel:DWORD src1_sel:BYTE_1
	v_and_b32_e32 v114, 0x7f, v14
	v_cmpx_ne_u32_e32 0x7f, v114
	s_cbranch_execz .LBB342_951
; %bb.948:                              ;   in Loop: Header=BB342_9 Depth=1
	v_and_b32_e32 v125, 7, v14
	s_mov_b32 s22, exec_lo
	v_mov_b32_e32 v24, v125
	v_mov_b32_e32 v25, v126
	v_lshrrev_b32_e32 v25, 3, v114
	v_cmpx_gt_u32_e32 8, v114
; %bb.949:                              ;   in Loop: Header=BB342_9 Depth=1
	v_ffbh_u32_e32 v24, v125
	v_min_u32_e32 v114, 32, v24
	v_subrev_nc_u32_e32 v24, 28, v114
	v_lshlrev_b64 v[24:25], v24, v[125:126]
	v_sub_nc_u32_e32 v25, 29, v114
	v_and_b32_e32 v24, 7, v24
; %bb.950:                              ;   in Loop: Header=BB342_9 Depth=1
	s_or_b32 exec_lo, exec_lo, s22
	v_lshlrev_b32_e32 v14, 16, v113
	v_lshlrev_b32_e32 v24, 20, v24
	v_lshl_add_u32 v25, v25, 23, 0x3c000000
	v_and_b32_e32 v14, 0x80000000, v14
	v_or3_b32 v116, v24, v14, v25
.LBB342_951:                            ;   in Loop: Header=BB342_9 Depth=1
	s_or_b32 exec_lo, exec_lo, s21
.LBB342_952:                            ;   in Loop: Header=BB342_9 Depth=1
	s_or_b32 exec_lo, exec_lo, s20
.LBB342_953:                            ;   in Loop: Header=BB342_9 Depth=1
	s_or_b32 exec_lo, exec_lo, s17
	v_mov_b32_e32 v14, 0xff
	v_mov_b32_e32 v115, 0
	;; [unrolled: 1-line block ×3, first 2 shown]
	s_mov_b32 s17, exec_lo
	v_and_b32_sdwa v14, v113, v14 dst_sel:DWORD dst_unused:UNUSED_PAD src0_sel:WORD_1 src1_sel:DWORD
	v_cmpx_ne_u16_e32 0, v14
	s_cbranch_execz .LBB342_961
; %bb.954:                              ;   in Loop: Header=BB342_9 Depth=1
	v_bfrev_b32_e32 v114, 1
	s_mov_b32 s20, exec_lo
	v_cmpx_ne_u16_e32 0x80, v14
	s_cbranch_execz .LBB342_960
; %bb.955:                              ;   in Loop: Header=BB342_9 Depth=1
	v_bfe_u32 v40, v113, 16, 7
	v_mov_b32_e32 v114, 0x7f800001
	s_mov_b32 s21, exec_lo
	v_cmpx_ne_u32_e32 0x7f, v40
	s_cbranch_execz .LBB342_959
; %bb.956:                              ;   in Loop: Header=BB342_9 Depth=1
	v_mov_b32_e32 v14, 7
	s_mov_b32 s22, exec_lo
	v_and_b32_sdwa v125, v113, v14 dst_sel:DWORD dst_unused:UNUSED_PAD src0_sel:WORD_1 src1_sel:DWORD
	v_mov_b32_e32 v24, v125
	v_mov_b32_e32 v25, v126
	v_lshrrev_b32_e32 v25, 3, v40
	v_cmpx_gt_u32_e32 8, v40
; %bb.957:                              ;   in Loop: Header=BB342_9 Depth=1
	v_ffbh_u32_e32 v24, v125
	v_min_u32_e32 v114, 32, v24
	v_subrev_nc_u32_e32 v24, 28, v114
	v_lshlrev_b64 v[24:25], v24, v[125:126]
	v_sub_nc_u32_e32 v25, 29, v114
	v_and_b32_e32 v24, 7, v24
; %bb.958:                              ;   in Loop: Header=BB342_9 Depth=1
	s_or_b32 exec_lo, exec_lo, s22
	v_mov_b32_e32 v14, 24
	v_lshlrev_b32_e32 v24, 20, v24
	v_lshl_add_u32 v25, v25, 23, 0x3c000000
	v_lshlrev_b32_sdwa v14, v14, v113 dst_sel:DWORD dst_unused:UNUSED_PAD src0_sel:DWORD src1_sel:WORD_1
	v_and_b32_e32 v14, 0x80000000, v14
	v_or3_b32 v114, v24, v14, v25
.LBB342_959:                            ;   in Loop: Header=BB342_9 Depth=1
	s_or_b32 exec_lo, exec_lo, s21
.LBB342_960:                            ;   in Loop: Header=BB342_9 Depth=1
	s_or_b32 exec_lo, exec_lo, s20
.LBB342_961:                            ;   in Loop: Header=BB342_9 Depth=1
	s_or_b32 exec_lo, exec_lo, s17
	s_mov_b32 s17, exec_lo
	v_cmpx_lt_u32_e32 0xffffff, v113
	s_cbranch_execz .LBB342_969
; %bb.962:                              ;   in Loop: Header=BB342_9 Depth=1
	v_mov_b32_e32 v14, 0x80
	v_bfrev_b32_e32 v115, 1
	v_cmp_ne_u32_sdwa s7, v113, v14 src0_sel:BYTE_3 src1_sel:DWORD
	s_and_saveexec_b32 s20, s7
	s_cbranch_execz .LBB342_968
; %bb.963:                              ;   in Loop: Header=BB342_9 Depth=1
	v_bfe_u32 v40, v113, 24, 7
	v_mov_b32_e32 v115, 0x7f800001
	s_mov_b32 s21, exec_lo
	v_cmpx_ne_u32_e32 0x7f, v40
	s_cbranch_execz .LBB342_967
; %bb.964:                              ;   in Loop: Header=BB342_9 Depth=1
	v_mov_b32_e32 v14, 7
	s_mov_b32 s22, exec_lo
	v_and_b32_sdwa v125, v113, v14 dst_sel:DWORD dst_unused:UNUSED_PAD src0_sel:BYTE_3 src1_sel:DWORD
	v_mov_b32_e32 v24, v125
	v_mov_b32_e32 v25, v126
	v_lshrrev_b32_e32 v25, 3, v40
	v_cmpx_gt_u32_e32 8, v40
; %bb.965:                              ;   in Loop: Header=BB342_9 Depth=1
	v_ffbh_u32_e32 v24, v125
	v_min_u32_e32 v115, 32, v24
	v_subrev_nc_u32_e32 v24, 28, v115
	v_lshlrev_b64 v[24:25], v24, v[125:126]
	v_sub_nc_u32_e32 v25, 29, v115
	v_and_b32_e32 v24, 7, v24
; %bb.966:                              ;   in Loop: Header=BB342_9 Depth=1
	s_or_b32 exec_lo, exec_lo, s22
	v_mov_b32_e32 v14, 24
	v_lshlrev_b32_e32 v24, 20, v24
	v_lshl_add_u32 v25, v25, 23, 0x3c000000
	v_lshlrev_b32_sdwa v14, v14, v113 dst_sel:DWORD dst_unused:UNUSED_PAD src0_sel:DWORD src1_sel:BYTE_3
	v_and_b32_e32 v14, 0x80000000, v14
	v_or3_b32 v115, v24, v14, v25
.LBB342_967:                            ;   in Loop: Header=BB342_9 Depth=1
	s_or_b32 exec_lo, exec_lo, s21
.LBB342_968:                            ;   in Loop: Header=BB342_9 Depth=1
	s_or_b32 exec_lo, exec_lo, s20
.LBB342_969:                            ;   in Loop: Header=BB342_9 Depth=1
	s_or_b32 exec_lo, exec_lo, s17
	buffer_load_dword v14, off, s[0:3], s32 offset:192 ; 4-byte Folded Reload
	v_add_co_u32 v40, s7, 0xf00, v16
	v_add_co_ci_u32_e64 v41, null, 0, v17, s7
	v_mov_b32_e32 v25, 0
	v_mov_b32_e32 v113, 0
	s_waitcnt vmcnt(0)
	v_add_co_u32 v16, s7, v40, v14
	v_add_co_ci_u32_e64 v17, null, 0, v41, s7
	flat_load_dword v43, v[16:17]
	s_waitcnt vmcnt(0) lgkmcnt(0)
	v_cmp_ne_u16_sdwa s7, v43, v126 src0_sel:BYTE_0 src1_sel:DWORD
	s_and_saveexec_b32 s17, s7
	s_cbranch_execz .LBB342_977
; %bb.970:                              ;   in Loop: Header=BB342_9 Depth=1
	v_mov_b32_e32 v14, 0x80
	v_bfrev_b32_e32 v113, 1
	v_cmp_ne_u16_sdwa s7, v43, v14 src0_sel:BYTE_0 src1_sel:DWORD
	s_and_saveexec_b32 s20, s7
	s_cbranch_execz .LBB342_976
; %bb.971:                              ;   in Loop: Header=BB342_9 Depth=1
	v_and_b32_e32 v24, 0x7f, v43
	v_mov_b32_e32 v113, 0x7f800001
	s_mov_b32 s21, exec_lo
	v_cmpx_ne_u32_e32 0x7f, v24
	s_cbranch_execz .LBB342_975
; %bb.972:                              ;   in Loop: Header=BB342_9 Depth=1
	v_and_b32_e32 v125, 7, v43
	s_mov_b32 s22, exec_lo
	v_mov_b32_e32 v16, v125
	v_mov_b32_e32 v17, v126
	v_lshrrev_b32_e32 v17, 3, v24
	v_cmpx_gt_u32_e32 8, v24
; %bb.973:                              ;   in Loop: Header=BB342_9 Depth=1
	v_ffbh_u32_e32 v16, v125
	v_min_u32_e32 v24, 32, v16
	v_subrev_nc_u32_e32 v16, 28, v24
	v_lshlrev_b64 v[16:17], v16, v[125:126]
	v_sub_nc_u32_e32 v17, 29, v24
	v_and_b32_e32 v16, 7, v16
; %bb.974:                              ;   in Loop: Header=BB342_9 Depth=1
	s_or_b32 exec_lo, exec_lo, s22
	v_lshlrev_b32_e32 v14, 24, v43
	v_lshlrev_b32_e32 v16, 20, v16
	v_lshl_add_u32 v17, v17, 23, 0x3c000000
	v_and_b32_e32 v14, 0x80000000, v14
	v_or3_b32 v113, v16, v14, v17
.LBB342_975:                            ;   in Loop: Header=BB342_9 Depth=1
	s_or_b32 exec_lo, exec_lo, s21
.LBB342_976:                            ;   in Loop: Header=BB342_9 Depth=1
	s_or_b32 exec_lo, exec_lo, s20
.LBB342_977:                            ;   in Loop: Header=BB342_9 Depth=1
	s_or_b32 exec_lo, exec_lo, s17
	v_cmp_ne_u16_sdwa s7, v43, v126 src0_sel:BYTE_1 src1_sel:DWORD
	s_and_saveexec_b32 s17, s7
	s_cbranch_execz .LBB342_985
; %bb.978:                              ;   in Loop: Header=BB342_9 Depth=1
	v_mov_b32_e32 v14, 0x80
	v_bfrev_b32_e32 v25, 1
	v_cmp_ne_u16_sdwa s7, v43, v14 src0_sel:BYTE_1 src1_sel:DWORD
	s_and_saveexec_b32 s20, s7
	s_cbranch_execz .LBB342_984
; %bb.979:                              ;   in Loop: Header=BB342_9 Depth=1
	v_mov_b32_e32 v14, 0xffff
	v_mov_b32_e32 v25, 0x7f800001
	s_mov_b32 s21, exec_lo
	v_and_b32_sdwa v14, v14, v43 dst_sel:DWORD dst_unused:UNUSED_PAD src0_sel:DWORD src1_sel:BYTE_1
	v_and_b32_e32 v24, 0x7f, v14
	v_cmpx_ne_u32_e32 0x7f, v24
	s_cbranch_execz .LBB342_983
; %bb.980:                              ;   in Loop: Header=BB342_9 Depth=1
	v_and_b32_e32 v125, 7, v14
	s_mov_b32 s22, exec_lo
	v_mov_b32_e32 v16, v125
	v_mov_b32_e32 v17, v126
	v_lshrrev_b32_e32 v17, 3, v24
	v_cmpx_gt_u32_e32 8, v24
; %bb.981:                              ;   in Loop: Header=BB342_9 Depth=1
	v_ffbh_u32_e32 v16, v125
	v_min_u32_e32 v24, 32, v16
	v_subrev_nc_u32_e32 v16, 28, v24
	v_lshlrev_b64 v[16:17], v16, v[125:126]
	v_sub_nc_u32_e32 v17, 29, v24
	v_and_b32_e32 v16, 7, v16
; %bb.982:                              ;   in Loop: Header=BB342_9 Depth=1
	s_or_b32 exec_lo, exec_lo, s22
	v_lshlrev_b32_e32 v14, 16, v43
	v_lshlrev_b32_e32 v16, 20, v16
	v_lshl_add_u32 v17, v17, 23, 0x3c000000
	v_and_b32_e32 v14, 0x80000000, v14
	v_or3_b32 v25, v16, v14, v17
.LBB342_983:                            ;   in Loop: Header=BB342_9 Depth=1
	s_or_b32 exec_lo, exec_lo, s21
.LBB342_984:                            ;   in Loop: Header=BB342_9 Depth=1
	s_or_b32 exec_lo, exec_lo, s20
.LBB342_985:                            ;   in Loop: Header=BB342_9 Depth=1
	s_or_b32 exec_lo, exec_lo, s17
	v_mov_b32_e32 v14, 0xff
	v_mov_b32_e32 v24, 0
	v_mov_b32_e32 v42, 0
	s_mov_b32 s17, exec_lo
	v_and_b32_sdwa v14, v43, v14 dst_sel:DWORD dst_unused:UNUSED_PAD src0_sel:WORD_1 src1_sel:DWORD
	v_cmpx_ne_u16_e32 0, v14
	s_cbranch_execz .LBB342_993
; %bb.986:                              ;   in Loop: Header=BB342_9 Depth=1
	v_bfrev_b32_e32 v42, 1
	s_mov_b32 s20, exec_lo
	v_cmpx_ne_u16_e32 0x80, v14
	s_cbranch_execz .LBB342_992
; %bb.987:                              ;   in Loop: Header=BB342_9 Depth=1
	v_bfe_u32 v44, v43, 16, 7
	v_mov_b32_e32 v42, 0x7f800001
	s_mov_b32 s21, exec_lo
	v_cmpx_ne_u32_e32 0x7f, v44
	s_cbranch_execz .LBB342_991
; %bb.988:                              ;   in Loop: Header=BB342_9 Depth=1
	v_mov_b32_e32 v14, 7
	s_mov_b32 s22, exec_lo
	v_and_b32_sdwa v125, v43, v14 dst_sel:DWORD dst_unused:UNUSED_PAD src0_sel:WORD_1 src1_sel:DWORD
	v_mov_b32_e32 v16, v125
	v_mov_b32_e32 v17, v126
	v_lshrrev_b32_e32 v17, 3, v44
	v_cmpx_gt_u32_e32 8, v44
; %bb.989:                              ;   in Loop: Header=BB342_9 Depth=1
	v_ffbh_u32_e32 v16, v125
	v_min_u32_e32 v42, 32, v16
	v_subrev_nc_u32_e32 v16, 28, v42
	v_lshlrev_b64 v[16:17], v16, v[125:126]
	v_sub_nc_u32_e32 v17, 29, v42
	v_and_b32_e32 v16, 7, v16
; %bb.990:                              ;   in Loop: Header=BB342_9 Depth=1
	s_or_b32 exec_lo, exec_lo, s22
	v_mov_b32_e32 v14, 24
	v_lshlrev_b32_e32 v16, 20, v16
	v_lshl_add_u32 v17, v17, 23, 0x3c000000
	v_lshlrev_b32_sdwa v14, v14, v43 dst_sel:DWORD dst_unused:UNUSED_PAD src0_sel:DWORD src1_sel:WORD_1
	v_and_b32_e32 v14, 0x80000000, v14
	v_or3_b32 v42, v16, v14, v17
.LBB342_991:                            ;   in Loop: Header=BB342_9 Depth=1
	s_or_b32 exec_lo, exec_lo, s21
.LBB342_992:                            ;   in Loop: Header=BB342_9 Depth=1
	s_or_b32 exec_lo, exec_lo, s20
.LBB342_993:                            ;   in Loop: Header=BB342_9 Depth=1
	s_or_b32 exec_lo, exec_lo, s17
	s_mov_b32 s17, exec_lo
	v_cmpx_lt_u32_e32 0xffffff, v43
	s_cbranch_execz .LBB342_1001
; %bb.994:                              ;   in Loop: Header=BB342_9 Depth=1
	v_mov_b32_e32 v14, 0x80
	v_bfrev_b32_e32 v24, 1
	v_cmp_ne_u32_sdwa s7, v43, v14 src0_sel:BYTE_3 src1_sel:DWORD
	s_and_saveexec_b32 s20, s7
	s_cbranch_execz .LBB342_1000
; %bb.995:                              ;   in Loop: Header=BB342_9 Depth=1
	v_bfe_u32 v44, v43, 24, 7
	v_mov_b32_e32 v24, 0x7f800001
	s_mov_b32 s21, exec_lo
	v_cmpx_ne_u32_e32 0x7f, v44
	s_cbranch_execz .LBB342_999
; %bb.996:                              ;   in Loop: Header=BB342_9 Depth=1
	v_mov_b32_e32 v14, 7
	s_mov_b32 s22, exec_lo
	v_and_b32_sdwa v125, v43, v14 dst_sel:DWORD dst_unused:UNUSED_PAD src0_sel:BYTE_3 src1_sel:DWORD
	v_mov_b32_e32 v16, v125
	v_mov_b32_e32 v17, v126
	v_lshrrev_b32_e32 v17, 3, v44
	v_cmpx_gt_u32_e32 8, v44
; %bb.997:                              ;   in Loop: Header=BB342_9 Depth=1
	v_ffbh_u32_e32 v16, v125
	v_min_u32_e32 v24, 32, v16
	v_subrev_nc_u32_e32 v16, 28, v24
	v_lshlrev_b64 v[16:17], v16, v[125:126]
	v_sub_nc_u32_e32 v17, 29, v24
	v_and_b32_e32 v16, 7, v16
; %bb.998:                              ;   in Loop: Header=BB342_9 Depth=1
	s_or_b32 exec_lo, exec_lo, s22
	v_mov_b32_e32 v14, 24
	v_lshlrev_b32_e32 v16, 20, v16
	v_lshl_add_u32 v17, v17, 23, 0x3c000000
	v_lshlrev_b32_sdwa v14, v14, v43 dst_sel:DWORD dst_unused:UNUSED_PAD src0_sel:DWORD src1_sel:BYTE_3
	v_and_b32_e32 v14, 0x80000000, v14
	v_or3_b32 v24, v16, v14, v17
.LBB342_999:                            ;   in Loop: Header=BB342_9 Depth=1
	s_or_b32 exec_lo, exec_lo, s21
.LBB342_1000:                           ;   in Loop: Header=BB342_9 Depth=1
	s_or_b32 exec_lo, exec_lo, s20
.LBB342_1001:                           ;   in Loop: Header=BB342_9 Depth=1
	s_or_b32 exec_lo, exec_lo, s17
	buffer_load_dword v14, off, s[0:3], s32 offset:200 ; 4-byte Folded Reload
	v_mov_b32_e32 v45, 0
	v_mov_b32_e32 v44, 0
	s_waitcnt vmcnt(0)
	v_add_co_u32 v16, s7, v40, v14
	v_add_co_ci_u32_e64 v17, null, 0, v41, s7
	flat_load_dword v43, v[16:17]
	s_waitcnt vmcnt(0) lgkmcnt(0)
	v_cmp_ne_u16_sdwa s7, v43, v126 src0_sel:BYTE_0 src1_sel:DWORD
	s_and_saveexec_b32 s17, s7
	s_cbranch_execz .LBB342_1009
; %bb.1002:                             ;   in Loop: Header=BB342_9 Depth=1
	v_mov_b32_e32 v14, 0x80
	v_bfrev_b32_e32 v44, 1
	v_cmp_ne_u16_sdwa s7, v43, v14 src0_sel:BYTE_0 src1_sel:DWORD
	s_and_saveexec_b32 s20, s7
	s_cbranch_execz .LBB342_1008
; %bb.1003:                             ;   in Loop: Header=BB342_9 Depth=1
	v_and_b32_e32 v40, 0x7f, v43
	v_mov_b32_e32 v44, 0x7f800001
	s_mov_b32 s21, exec_lo
	v_cmpx_ne_u32_e32 0x7f, v40
	s_cbranch_execz .LBB342_1007
; %bb.1004:                             ;   in Loop: Header=BB342_9 Depth=1
	v_and_b32_e32 v125, 7, v43
	s_mov_b32 s22, exec_lo
	v_mov_b32_e32 v16, v125
	v_mov_b32_e32 v17, v126
	v_lshrrev_b32_e32 v17, 3, v40
	v_cmpx_gt_u32_e32 8, v40
; %bb.1005:                             ;   in Loop: Header=BB342_9 Depth=1
	v_ffbh_u32_e32 v16, v125
	v_min_u32_e32 v40, 32, v16
	v_subrev_nc_u32_e32 v16, 28, v40
	v_lshlrev_b64 v[16:17], v16, v[125:126]
	v_sub_nc_u32_e32 v17, 29, v40
	v_and_b32_e32 v16, 7, v16
; %bb.1006:                             ;   in Loop: Header=BB342_9 Depth=1
	s_or_b32 exec_lo, exec_lo, s22
	v_lshlrev_b32_e32 v14, 24, v43
	v_lshlrev_b32_e32 v16, 20, v16
	v_lshl_add_u32 v17, v17, 23, 0x3c000000
	v_and_b32_e32 v14, 0x80000000, v14
	v_or3_b32 v44, v16, v14, v17
.LBB342_1007:                           ;   in Loop: Header=BB342_9 Depth=1
	s_or_b32 exec_lo, exec_lo, s21
.LBB342_1008:                           ;   in Loop: Header=BB342_9 Depth=1
	s_or_b32 exec_lo, exec_lo, s20
.LBB342_1009:                           ;   in Loop: Header=BB342_9 Depth=1
	s_or_b32 exec_lo, exec_lo, s17
	v_cmp_ne_u16_sdwa s7, v43, v126 src0_sel:BYTE_1 src1_sel:DWORD
	s_and_saveexec_b32 s17, s7
	s_cbranch_execz .LBB342_1017
; %bb.1010:                             ;   in Loop: Header=BB342_9 Depth=1
	v_mov_b32_e32 v14, 0x80
	v_bfrev_b32_e32 v45, 1
	v_cmp_ne_u16_sdwa s7, v43, v14 src0_sel:BYTE_1 src1_sel:DWORD
	s_and_saveexec_b32 s20, s7
	s_cbranch_execz .LBB342_1016
; %bb.1011:                             ;   in Loop: Header=BB342_9 Depth=1
	v_mov_b32_e32 v14, 0xffff
	v_mov_b32_e32 v45, 0x7f800001
	s_mov_b32 s21, exec_lo
	v_and_b32_sdwa v14, v14, v43 dst_sel:DWORD dst_unused:UNUSED_PAD src0_sel:DWORD src1_sel:BYTE_1
	v_and_b32_e32 v40, 0x7f, v14
	v_cmpx_ne_u32_e32 0x7f, v40
	s_cbranch_execz .LBB342_1015
; %bb.1012:                             ;   in Loop: Header=BB342_9 Depth=1
	v_and_b32_e32 v125, 7, v14
	s_mov_b32 s22, exec_lo
	v_mov_b32_e32 v16, v125
	v_mov_b32_e32 v17, v126
	v_lshrrev_b32_e32 v17, 3, v40
	v_cmpx_gt_u32_e32 8, v40
; %bb.1013:                             ;   in Loop: Header=BB342_9 Depth=1
	v_ffbh_u32_e32 v16, v125
	v_min_u32_e32 v40, 32, v16
	v_subrev_nc_u32_e32 v16, 28, v40
	v_lshlrev_b64 v[16:17], v16, v[125:126]
	v_sub_nc_u32_e32 v17, 29, v40
	v_and_b32_e32 v16, 7, v16
; %bb.1014:                             ;   in Loop: Header=BB342_9 Depth=1
	s_or_b32 exec_lo, exec_lo, s22
	v_lshlrev_b32_e32 v14, 16, v43
	v_lshlrev_b32_e32 v16, 20, v16
	v_lshl_add_u32 v17, v17, 23, 0x3c000000
	v_and_b32_e32 v14, 0x80000000, v14
	v_or3_b32 v45, v16, v14, v17
.LBB342_1015:                           ;   in Loop: Header=BB342_9 Depth=1
	s_or_b32 exec_lo, exec_lo, s21
.LBB342_1016:                           ;   in Loop: Header=BB342_9 Depth=1
	s_or_b32 exec_lo, exec_lo, s20
.LBB342_1017:                           ;   in Loop: Header=BB342_9 Depth=1
	s_or_b32 exec_lo, exec_lo, s17
	v_mov_b32_e32 v14, 0xff
	v_mov_b32_e32 v40, 0
	;; [unrolled: 1-line block ×3, first 2 shown]
	s_mov_b32 s17, exec_lo
	v_and_b32_sdwa v14, v43, v14 dst_sel:DWORD dst_unused:UNUSED_PAD src0_sel:WORD_1 src1_sel:DWORD
	v_cmpx_ne_u16_e32 0, v14
	s_cbranch_execz .LBB342_1025
; %bb.1018:                             ;   in Loop: Header=BB342_9 Depth=1
	v_bfrev_b32_e32 v16, 1
	s_mov_b32 s20, exec_lo
	v_cmpx_ne_u16_e32 0x80, v14
	s_cbranch_execz .LBB342_1024
; %bb.1019:                             ;   in Loop: Header=BB342_9 Depth=1
	v_bfe_u32 v46, v43, 16, 7
	v_mov_b32_e32 v16, 0x7f800001
	s_mov_b32 s21, exec_lo
	v_cmpx_ne_u32_e32 0x7f, v46
	s_cbranch_execz .LBB342_1023
; %bb.1020:                             ;   in Loop: Header=BB342_9 Depth=1
	v_mov_b32_e32 v14, 7
	s_mov_b32 s22, exec_lo
	v_and_b32_sdwa v125, v43, v14 dst_sel:DWORD dst_unused:UNUSED_PAD src0_sel:WORD_1 src1_sel:DWORD
	v_mov_b32_e32 v16, v125
	v_mov_b32_e32 v17, v126
	v_lshrrev_b32_e32 v17, 3, v46
	v_cmpx_gt_u32_e32 8, v46
; %bb.1021:                             ;   in Loop: Header=BB342_9 Depth=1
	v_ffbh_u32_e32 v16, v125
	v_min_u32_e32 v41, 32, v16
	v_subrev_nc_u32_e32 v16, 28, v41
	v_lshlrev_b64 v[16:17], v16, v[125:126]
	v_sub_nc_u32_e32 v17, 29, v41
	v_and_b32_e32 v16, 7, v16
; %bb.1022:                             ;   in Loop: Header=BB342_9 Depth=1
	s_or_b32 exec_lo, exec_lo, s22
	v_mov_b32_e32 v14, 24
	v_lshlrev_b32_e32 v16, 20, v16
	v_lshl_add_u32 v17, v17, 23, 0x3c000000
	v_lshlrev_b32_sdwa v14, v14, v43 dst_sel:DWORD dst_unused:UNUSED_PAD src0_sel:DWORD src1_sel:WORD_1
	v_and_b32_e32 v14, 0x80000000, v14
	v_or3_b32 v16, v16, v14, v17
.LBB342_1023:                           ;   in Loop: Header=BB342_9 Depth=1
	s_or_b32 exec_lo, exec_lo, s21
.LBB342_1024:                           ;   in Loop: Header=BB342_9 Depth=1
	s_or_b32 exec_lo, exec_lo, s20
.LBB342_1025:                           ;   in Loop: Header=BB342_9 Depth=1
	s_or_b32 exec_lo, exec_lo, s17
	v_mov_b32_e32 v86, v87
	v_mov_b32_e32 v41, v84
	;; [unrolled: 1-line block ×3, first 2 shown]
	s_mov_b32 s17, exec_lo
	buffer_store_dword v16, off, s[0:3], s32 offset:292 ; 4-byte Folded Spill
	buffer_store_dword v82, off, s[0:3], s32 offset:276 ; 4-byte Folded Spill
	;; [unrolled: 1-line block ×5, first 2 shown]
	v_cmpx_lt_u32_e32 0xffffff, v43
	s_cbranch_execz .LBB342_1033
; %bb.1026:                             ;   in Loop: Header=BB342_9 Depth=1
	v_mov_b32_e32 v14, 0x80
	v_bfrev_b32_e32 v40, 1
	v_cmp_ne_u32_sdwa s7, v43, v14 src0_sel:BYTE_3 src1_sel:DWORD
	s_and_saveexec_b32 s20, s7
	s_cbranch_execz .LBB342_1032
; %bb.1027:                             ;   in Loop: Header=BB342_9 Depth=1
	v_bfe_u32 v46, v43, 24, 7
	v_mov_b32_e32 v40, 0x7f800001
	s_mov_b32 s21, exec_lo
	v_cmpx_ne_u32_e32 0x7f, v46
	s_cbranch_execz .LBB342_1031
; %bb.1028:                             ;   in Loop: Header=BB342_9 Depth=1
	v_mov_b32_e32 v14, 7
	s_mov_b32 s22, exec_lo
	v_and_b32_sdwa v125, v43, v14 dst_sel:DWORD dst_unused:UNUSED_PAD src0_sel:BYTE_3 src1_sel:DWORD
	v_mov_b32_e32 v16, v125
	v_mov_b32_e32 v17, v126
	v_lshrrev_b32_e32 v17, 3, v46
	v_cmpx_gt_u32_e32 8, v46
; %bb.1029:                             ;   in Loop: Header=BB342_9 Depth=1
	v_ffbh_u32_e32 v16, v125
	v_min_u32_e32 v40, 32, v16
	v_subrev_nc_u32_e32 v16, 28, v40
	v_lshlrev_b64 v[16:17], v16, v[125:126]
	v_sub_nc_u32_e32 v17, 29, v40
	v_and_b32_e32 v16, 7, v16
; %bb.1030:                             ;   in Loop: Header=BB342_9 Depth=1
	s_or_b32 exec_lo, exec_lo, s22
	v_mov_b32_e32 v14, 24
	v_lshlrev_b32_e32 v16, 20, v16
	v_lshl_add_u32 v17, v17, 23, 0x3c000000
	v_lshlrev_b32_sdwa v14, v14, v43 dst_sel:DWORD dst_unused:UNUSED_PAD src0_sel:DWORD src1_sel:BYTE_3
	v_and_b32_e32 v14, 0x80000000, v14
	v_or3_b32 v40, v16, v14, v17
.LBB342_1031:                           ;   in Loop: Header=BB342_9 Depth=1
	s_or_b32 exec_lo, exec_lo, s21
.LBB342_1032:                           ;   in Loop: Header=BB342_9 Depth=1
	s_or_b32 exec_lo, exec_lo, s20
.LBB342_1033:                           ;   in Loop: Header=BB342_9 Depth=1
	s_or_b32 exec_lo, exec_lo, s17
	v_mul_f32_e32 v14, v98, v45
	v_mul_f32_e32 v24, v98, v24
	;; [unrolled: 1-line block ×5, first 2 shown]
	v_bfe_u32 v16, v14, 16, 1
	v_or_b32_e32 v17, 0x400000, v14
	v_cmp_u_f32_e64 s7, v14, v14
	v_mul_f32_e32 v115, v98, v115
	v_mul_f32_e32 v116, v98, v116
	v_add3_u32 v16, v16, v14, 0x7fff
	v_mul_f32_e32 v117, v98, v117
	v_mul_f32_e32 v118, v98, v118
	;; [unrolled: 1-line block ×4, first 2 shown]
	v_cndmask_b32_e64 v14, v16, v17, s7
	v_mul_f32_e32 v16, v98, v44
	v_mul_f32_e32 v103, v98, v103
	;; [unrolled: 1-line block ×4, first 2 shown]
	buffer_store_dword v14, off, s[0:3], s32 offset:280 ; 4-byte Folded Spill
	v_bfe_u32 v17, v16, 16, 1
	v_or_b32_e32 v43, 0x400000, v16
	v_cmp_u_f32_e64 s7, v16, v16
	v_mul_f32_e32 v100, v98, v100
	v_mul_f32_e32 v99, v98, v99
	v_add3_u32 v17, v17, v16, 0x7fff
	v_mul_f32_e32 v20, v98, v20
	v_mul_f32_e32 v21, v98, v21
	;; [unrolled: 1-line block ×4, first 2 shown]
	v_cndmask_b32_e64 v14, v17, v43, s7
	v_mul_f32_e32 v17, v98, v42
	v_mul_f32_e32 v4, v98, v4
	;; [unrolled: 1-line block ×4, first 2 shown]
	buffer_store_dword v14, off, s[0:3], s32 offset:284 ; 4-byte Folded Spill
	v_bfe_u32 v42, v17, 16, 1
	v_or_b32_e32 v43, 0x400000, v17
	v_cmp_u_f32_e64 s7, v17, v17
	v_mul_f32_e32 v68, v98, v68
	v_mul_f32_e32 v67, v98, v67
	v_add3_u32 v42, v42, v17, 0x7fff
	v_mul_f32_e32 v64, v98, v64
	v_mul_f32_e32 v55, v98, v55
	v_mul_f32_e32 v54, v98, v54
	v_mul_f32_e32 v53, v98, v53
	v_cndmask_b32_e64 v14, v42, v43, s7
	v_bfe_u32 v42, v24, 16, 1
	v_or_b32_e32 v43, 0x400000, v24
	v_cmp_u_f32_e64 s7, v24, v24
	v_mul_f32_e32 v52, v98, v52
	v_mul_f32_e32 v51, v98, v51
	v_add3_u32 v42, v42, v24, 0x7fff
	v_mul_f32_e32 v50, v98, v50
	v_mul_f32_e32 v49, v98, v49
	v_mul_f32_e32 v48, v98, v48
	v_mul_f32_e32 v39, v98, v39
	v_cndmask_b32_e64 v24, v42, v43, s7
	;; [unrolled: 11-line block ×3, first 2 shown]
	v_bfe_u32 v42, v113, 16, 1
	v_or_b32_e32 v43, 0x400000, v113
	v_cmp_u_f32_e64 s7, v113, v113
	v_mul_f32_e32 v35, v98, v35
	buffer_store_dword v14, off, s[0:3], s32 offset:288 ; 4-byte Folded Spill
	v_add3_u32 v42, v42, v113, 0x7fff
	v_mul_f32_e32 v22, v98, v22
	v_mul_f32_e32 v23, v98, v23
	v_mul_f32_e32 v66, v98, v66
	v_mul_f32_e32 v29, v98, v29
	v_cndmask_b32_e64 v113, v42, v43, s7
	v_bfe_u32 v42, v114, 16, 1
	v_or_b32_e32 v43, 0x400000, v114
	v_cmp_u_f32_e64 s7, v114, v114
	v_mul_f32_e32 v65, v98, v65
	v_mul_f32_e32 v3, v98, v3
	v_add3_u32 v42, v42, v114, 0x7fff
	v_mul_f32_e32 v2, v98, v2
	v_mul_f32_e32 v8, v98, v8
	v_mul_f32_e32 v10, v98, v10
	v_mul_f32_e32 v11, v98, v11
	v_cndmask_b32_e64 v114, v42, v43, s7
	v_bfe_u32 v42, v115, 16, 1
	v_or_b32_e32 v43, 0x400000, v115
	v_cmp_u_f32_e64 s7, v115, v115
	v_mul_f32_e32 v6, v98, v6
	v_mul_f32_e32 v7, v98, v7
	;; [unrolled: 11-line block ×3, first 2 shown]
	v_add3_u32 v42, v42, v116, 0x7fff
	v_mul_f32_e32 v27, v98, v27
	v_mul_f32_e32 v26, v98, v26
	;; [unrolled: 1-line block ×3, first 2 shown]
	v_cndmask_b32_e64 v116, v42, v43, s7
	v_bfe_u32 v42, v117, 16, 1
	v_or_b32_e32 v43, 0x400000, v117
	v_cmp_u_f32_e64 s7, v117, v117
	v_add3_u32 v42, v42, v117, 0x7fff
	v_cndmask_b32_e64 v117, v42, v43, s7
	v_bfe_u32 v42, v118, 16, 1
	v_or_b32_e32 v43, 0x400000, v118
	v_cmp_u_f32_e64 s7, v118, v118
	v_add3_u32 v42, v42, v118, 0x7fff
	;; [unrolled: 5-line block ×51, first 2 shown]
	buffer_load_dword v0, off, s[0:3], s32 offset:248 ; 4-byte Folded Reload
	v_cndmask_b32_e64 v4, v42, v43, s7
	v_bfe_u32 v42, v1, 16, 1
	v_or_b32_e32 v43, 0x400000, v1
	v_cmp_u_f32_e64 s7, v1, v1
	v_add3_u32 v42, v42, v1, 0x7fff
	v_cndmask_b32_e64 v3, v42, v43, s7
	v_bfe_u32 v42, v28, 16, 1
	v_or_b32_e32 v43, 0x400000, v28
	v_cmp_u_f32_e64 s7, v28, v28
	v_add3_u32 v42, v42, v28, 0x7fff
	v_cndmask_b32_e64 v28, v42, v43, s7
	v_mul_f32_e32 v42, v98, v13
	v_mul_f32_e32 v13, v98, v86
	v_bfe_u32 v43, v42, 16, 1
	v_or_b32_e32 v44, 0x400000, v42
	v_cmp_u_f32_e64 s7, v42, v42
	v_add3_u32 v43, v43, v42, 0x7fff
	v_mul_f32_e32 v42, v98, v12
	v_cndmask_b32_e64 v125, v43, v44, s7
	v_bfe_u32 v43, v42, 16, 1
	v_or_b32_e32 v44, 0x400000, v42
	v_cmp_u_f32_e64 s7, v42, v42
	v_add3_u32 v43, v43, v42, 0x7fff
	v_bfe_u32 v42, v27, 16, 1
	v_cndmask_b32_e64 v2, v43, v44, s7
	v_add3_u32 v42, v42, v27, 0x7fff
	v_or_b32_e32 v43, 0x400000, v27
	v_cmp_u_f32_e64 s7, v27, v27
	v_cndmask_b32_e64 v27, v42, v43, s7
	v_bfe_u32 v42, v26, 16, 1
	v_or_b32_e32 v43, 0x400000, v26
	v_cmp_u_f32_e64 s7, v26, v26
	v_add3_u32 v42, v42, v26, 0x7fff
	v_cndmask_b32_e64 v26, v42, v43, s7
	v_mul_f32_e32 v42, v98, v81
	v_bfe_u32 v43, v42, 16, 1
	v_or_b32_e32 v44, 0x400000, v42
	v_cmp_u_f32_e64 s7, v42, v42
	v_add3_u32 v43, v43, v42, 0x7fff
	v_mul_f32_e32 v42, v98, v124
	v_cndmask_b32_e64 v1, v43, v44, s7
	v_bfe_u32 v43, v42, 16, 1
	v_or_b32_e32 v44, 0x400000, v42
	v_cmp_u_f32_e64 s7, v42, v42
	v_add3_u32 v43, v43, v42, 0x7fff
	v_mul_f32_e32 v42, v98, v123
	v_cndmask_b32_e64 v124, v43, v44, s7
	v_bfe_u32 v43, v42, 16, 1
	v_or_b32_e32 v44, 0x400000, v42
	v_cmp_u_f32_e64 s7, v42, v42
	v_add3_u32 v43, v43, v42, 0x7fff
	v_mul_f32_e32 v42, v98, v122
	v_cndmask_b32_e64 v123, v43, v44, s7
	v_bfe_u32 v43, v42, 16, 1
	v_or_b32_e32 v44, 0x400000, v42
	v_cmp_u_f32_e64 s7, v42, v42
	v_add3_u32 v43, v43, v42, 0x7fff
	v_mul_f32_e32 v42, v98, v121
	v_cndmask_b32_e64 v122, v43, v44, s7
	v_bfe_u32 v43, v42, 16, 1
	v_or_b32_e32 v44, 0x400000, v42
	v_cmp_u_f32_e64 s7, v42, v42
	v_add3_u32 v43, v43, v42, 0x7fff
	v_mul_f32_e32 v42, v98, v120
	v_cndmask_b32_e64 v121, v43, v44, s7
	v_bfe_u32 v43, v42, 16, 1
	v_or_b32_e32 v44, 0x400000, v42
	v_cmp_u_f32_e64 s7, v42, v42
	v_add3_u32 v43, v43, v42, 0x7fff
	v_mul_f32_e32 v42, v98, v111
	v_cndmask_b32_e64 v120, v43, v44, s7
	v_bfe_u32 v43, v42, 16, 1
	v_or_b32_e32 v44, 0x400000, v42
	v_cmp_u_f32_e64 s7, v42, v42
	v_add3_u32 v43, v43, v42, 0x7fff
	v_mul_f32_e32 v42, v98, v110
	v_cndmask_b32_e64 v111, v43, v44, s7
	v_bfe_u32 v43, v42, 16, 1
	v_or_b32_e32 v44, 0x400000, v42
	v_cmp_u_f32_e64 s7, v42, v42
	v_add3_u32 v43, v43, v42, 0x7fff
	v_mul_f32_e32 v42, v98, v109
	v_cndmask_b32_e64 v110, v43, v44, s7
	v_bfe_u32 v43, v42, 16, 1
	v_or_b32_e32 v44, 0x400000, v42
	v_cmp_u_f32_e64 s7, v42, v42
	v_add3_u32 v43, v43, v42, 0x7fff
	v_mul_f32_e32 v42, v98, v108
	v_cndmask_b32_e64 v109, v43, v44, s7
	v_bfe_u32 v43, v42, 16, 1
	v_or_b32_e32 v44, 0x400000, v42
	v_cmp_u_f32_e64 s7, v42, v42
	v_add3_u32 v43, v43, v42, 0x7fff
	v_mul_f32_e32 v42, v98, v107
	v_cndmask_b32_e64 v108, v43, v44, s7
	v_bfe_u32 v43, v42, 16, 1
	v_or_b32_e32 v44, 0x400000, v42
	v_cmp_u_f32_e64 s7, v42, v42
	v_add3_u32 v43, v43, v42, 0x7fff
	v_mul_f32_e32 v42, v98, v106
	v_cndmask_b32_e64 v107, v43, v44, s7
	v_bfe_u32 v43, v42, 16, 1
	v_or_b32_e32 v44, 0x400000, v42
	v_cmp_u_f32_e64 s7, v42, v42
	v_add3_u32 v43, v43, v42, 0x7fff
	v_mul_f32_e32 v42, v98, v105
	v_cndmask_b32_e64 v106, v43, v44, s7
	v_bfe_u32 v43, v42, 16, 1
	v_or_b32_e32 v44, 0x400000, v42
	v_cmp_u_f32_e64 s7, v42, v42
	v_add3_u32 v43, v43, v42, 0x7fff
	v_mul_f32_e32 v42, v98, v104
	v_cndmask_b32_e64 v105, v43, v44, s7
	v_bfe_u32 v43, v42, 16, 1
	v_or_b32_e32 v44, 0x400000, v42
	v_cmp_u_f32_e64 s7, v42, v42
	v_add3_u32 v43, v43, v42, 0x7fff
	v_mul_f32_e32 v42, v98, v95
	v_cndmask_b32_e64 v104, v43, v44, s7
	v_bfe_u32 v43, v42, 16, 1
	v_or_b32_e32 v44, 0x400000, v42
	v_cmp_u_f32_e64 s7, v42, v42
	v_add3_u32 v43, v43, v42, 0x7fff
	v_mul_f32_e32 v42, v98, v94
	v_cndmask_b32_e64 v95, v43, v44, s7
	v_bfe_u32 v43, v42, 16, 1
	v_or_b32_e32 v44, 0x400000, v42
	v_cmp_u_f32_e64 s7, v42, v42
	v_add3_u32 v43, v43, v42, 0x7fff
	v_mul_f32_e32 v42, v98, v93
	v_cndmask_b32_e64 v94, v43, v44, s7
	v_bfe_u32 v43, v42, 16, 1
	v_or_b32_e32 v44, 0x400000, v42
	v_cmp_u_f32_e64 s7, v42, v42
	v_add3_u32 v43, v43, v42, 0x7fff
	v_mul_f32_e32 v42, v98, v92
	v_cndmask_b32_e64 v93, v43, v44, s7
	v_bfe_u32 v43, v42, 16, 1
	v_or_b32_e32 v44, 0x400000, v42
	v_cmp_u_f32_e64 s7, v42, v42
	v_add3_u32 v43, v43, v42, 0x7fff
	v_mul_f32_e32 v42, v98, v91
	v_cndmask_b32_e64 v92, v43, v44, s7
	v_bfe_u32 v43, v42, 16, 1
	v_or_b32_e32 v44, 0x400000, v42
	v_cmp_u_f32_e64 s7, v42, v42
	v_add3_u32 v43, v43, v42, 0x7fff
	v_bfe_u32 v42, v33, 16, 1
	v_cndmask_b32_e64 v91, v43, v44, s7
	v_add3_u32 v42, v42, v33, 0x7fff
	v_or_b32_e32 v43, 0x400000, v33
	v_cmp_u_f32_e64 s7, v33, v33
	v_cndmask_b32_e64 v33, v42, v43, s7
	v_mul_f32_e32 v42, v98, v90
	v_bfe_u32 v43, v42, 16, 1
	v_or_b32_e32 v44, 0x400000, v42
	v_cmp_u_f32_e64 s7, v42, v42
	v_add3_u32 v43, v43, v42, 0x7fff
	v_cndmask_b32_e64 v42, v43, v44, s7
	v_mul_f32_e32 v43, v98, v89
	v_bfe_u32 v44, v43, 16, 1
	v_or_b32_e32 v45, 0x400000, v43
	v_cmp_u_f32_e64 s7, v43, v43
	v_add3_u32 v44, v44, v43, 0x7fff
	v_mul_f32_e32 v43, v98, v88
	v_cndmask_b32_e64 v89, v44, v45, s7
	v_bfe_u32 v44, v43, 16, 1
	v_or_b32_e32 v45, 0x400000, v43
	v_cmp_u_f32_e64 s7, v43, v43
	v_add3_u32 v44, v44, v43, 0x7fff
	v_mul_f32_e32 v43, v98, v79
	v_cndmask_b32_e64 v88, v44, v45, s7
	;; [unrolled: 6-line block ×18, first 2 shown]
	v_bfe_u32 v44, v43, 16, 1
	v_or_b32_e32 v45, 0x400000, v43
	v_cmp_u_f32_e64 s7, v43, v43
	v_add3_u32 v44, v44, v43, 0x7fff
	s_waitcnt vmcnt(0)
	v_mul_f32_e32 v43, v98, v0
	buffer_load_dword v0, off, s[0:3], s32 offset:228 ; 4-byte Folded Reload
	v_cndmask_b32_e64 v46, v44, v45, s7
	v_bfe_u32 v44, v43, 16, 1
	v_or_b32_e32 v45, 0x400000, v43
	v_cmp_u_f32_e64 s7, v43, v43
	v_add3_u32 v44, v44, v43, 0x7fff
	v_cndmask_b32_e64 v47, v44, v45, s7
	s_waitcnt vmcnt(0)
	v_mul_f32_e32 v43, v98, v0
	buffer_load_dword v0, off, s[0:3], s32 offset:224 ; 4-byte Folded Reload
	v_bfe_u32 v44, v43, 16, 1
	v_or_b32_e32 v45, 0x400000, v43
	v_cmp_u_f32_e64 s7, v43, v43
	v_add3_u32 v44, v44, v43, 0x7fff
	v_cndmask_b32_e64 v90, v44, v45, s7
	s_waitcnt vmcnt(0)
	v_mul_f32_e32 v43, v98, v0
	buffer_load_dword v0, off, s[0:3], s32 offset:220 ; 4-byte Folded Reload
	;; [unrolled: 8-line block ×6, first 2 shown]
	v_bfe_u32 v44, v43, 16, 1
	v_or_b32_e32 v45, 0x400000, v43
	v_cmp_u_f32_e64 s7, v43, v43
	v_add3_u32 v44, v44, v43, 0x7fff
	v_mul_f32_e32 v43, v98, v97
	v_cndmask_b32_e64 v82, v44, v45, s7
	v_bfe_u32 v44, v43, 16, 1
	v_or_b32_e32 v45, 0x400000, v43
	v_cmp_u_f32_e64 s7, v43, v43
	v_add3_u32 v44, v44, v43, 0x7fff
	v_cndmask_b32_e64 v81, v44, v45, s7
	s_waitcnt vmcnt(0)
	v_mul_f32_e32 v43, v98, v0
	buffer_load_dword v0, off, s[0:3], s32 offset:208 ; 4-byte Folded Reload
	v_bfe_u32 v44, v43, 16, 1
	v_or_b32_e32 v45, 0x400000, v43
	v_cmp_u_f32_e64 s7, v43, v43
	v_add3_u32 v44, v44, v43, 0x7fff
	v_cndmask_b32_e64 v80, v44, v45, s7
	s_waitcnt vmcnt(0)
	v_mul_f32_e32 v43, v98, v0
	buffer_load_dword v0, off, s[0:3], s32 offset:276 ; 4-byte Folded Reload
	v_bfe_u32 v44, v43, 16, 1
	v_or_b32_e32 v45, 0x400000, v43
	v_cmp_u_f32_e64 s7, v43, v43
	v_add3_u32 v44, v44, v43, 0x7fff
	v_mul_f32_e32 v43, v98, v32
	v_cndmask_b32_e64 v97, v44, v45, s7
	v_bfe_u32 v44, v43, 16, 1
	v_or_b32_e32 v45, 0x400000, v43
	v_cmp_u_f32_e64 s7, v43, v43
	v_add3_u32 v44, v44, v43, 0x7fff
	v_bfe_u32 v43, v13, 16, 1
	v_cndmask_b32_e64 v12, v44, v45, s7
	v_add3_u32 v43, v43, v13, 0x7fff
	v_or_b32_e32 v44, 0x400000, v13
	v_cmp_u_f32_e64 s7, v13, v13
	v_cndmask_b32_e64 v13, v43, v44, s7
	v_mul_f32_e32 v43, v98, v84
	v_bfe_u32 v44, v43, 16, 1
	v_or_b32_e32 v45, 0x400000, v43
	v_cmp_u_f32_e64 s7, v43, v43
	v_add3_u32 v44, v44, v43, 0x7fff
	v_mul_f32_e32 v43, v98, v127
	v_mov_b32_e32 v127, v40
	v_cndmask_b32_e64 v44, v44, v45, s7
	v_bfe_u32 v45, v43, 16, 1
	v_or_b32_e32 v86, 0x400000, v43
	v_cmp_u_f32_e64 s7, v43, v43
	v_add3_u32 v45, v45, v43, 0x7fff
	v_mul_f32_e32 v43, v98, v15
	buffer_load_dword v15, off, s[0:3], s32 offset:268 ; 4-byte Folded Reload
	v_cndmask_b32_e64 v86, v45, v86, s7
	v_bfe_u32 v45, v43, 16, 1
	v_or_b32_e32 v32, 0x400000, v43
	v_cmp_u_f32_e64 s7, v43, v43
	v_add3_u32 v45, v45, v43, 0x7fff
	v_mul_f32_e32 v43, v98, v41
	v_cndmask_b32_e64 v32, v45, v32, s7
	v_bfe_u32 v45, v43, 16, 1
	v_or_b32_e32 v84, 0x400000, v43
	v_cmp_u_f32_e64 s7, v43, v43
	v_add3_u32 v45, v45, v43, 0x7fff
	v_cndmask_b32_e64 v84, v45, v84, s7
	v_and_b32_e32 v84, 0xffff0000, v84
	s_waitcnt vmcnt(1)
	v_mul_f32_e32 v43, v98, v0
	buffer_load_dword v0, off, s[0:3], s32 offset:272 ; 4-byte Folded Reload
	v_bfe_u32 v45, v43, 16, 1
	v_or_b32_e32 v40, 0x400000, v43
	v_cmp_u_f32_e64 s7, v43, v43
	v_add3_u32 v45, v45, v43, 0x7fff
	v_cndmask_b32_e64 v45, v45, v40, s7
	s_waitcnt vmcnt(0)
	v_mul_f32_e32 v40, v98, v0
	v_bfe_u32 v43, v40, 16, 1
	v_or_b32_e32 v41, 0x400000, v40
	v_cmp_u_f32_e64 s7, v40, v40
	v_add3_u32 v43, v43, v40, 0x7fff
	v_mul_f32_e32 v40, v98, v15
	buffer_load_dword v15, off, s[0:3], s32 offset:264 ; 4-byte Folded Reload
	v_cndmask_b32_e64 v0, v43, v41, s7
	v_bfe_u32 v41, v40, 16, 1
	v_or_b32_e32 v43, 0x400000, v40
	v_cmp_u_f32_e64 s7, v40, v40
	v_and_b32_e32 v0, 0xffff0000, v0
	v_add3_u32 v41, v41, v40, 0x7fff
	v_cndmask_b32_e64 v43, v41, v43, s7
	s_waitcnt vmcnt(0)
	v_mul_f32_e32 v40, v98, v15
	v_bfe_u32 v41, v40, 16, 1
	v_or_b32_e32 v15, 0x400000, v40
	v_cmp_u_f32_e64 s7, v40, v40
	v_add3_u32 v41, v41, v40, 0x7fff
	buffer_load_dword v40, off, s[0:3], s32 offset:292 ; 4-byte Folded Reload
	v_cndmask_b32_e64 v15, v41, v15, s7
	v_mul_f32_e32 v41, v98, v127
	v_and_b32_e32 v15, 0xffff0000, v15
	s_waitcnt vmcnt(0)
	v_mul_f32_e32 v40, v98, v40
	v_bfe_u32 v98, v40, 16, 1
	v_or_b32_e32 v127, 0x400000, v40
	v_cmp_u_f32_e64 s7, v40, v40
	v_add3_u32 v98, v98, v40, 0x7fff
	v_bfe_u32 v40, v41, 16, 1
	v_cndmask_b32_e64 v98, v98, v127, s7
	v_add3_u32 v40, v40, v41, 0x7fff
	v_or_b32_e32 v127, 0x400000, v41
	v_cmp_u_f32_e64 s7, v41, v41
	buffer_load_dword v41, off, s[0:3], s32 offset:324 ; 4-byte Folded Reload
	v_cndmask_b32_e64 v40, v40, v127, s7
	s_waitcnt vmcnt(0)
	v_mul_f32_e32 v41, v41, v84
	buffer_load_dword v84, off, s[0:3], s32 offset:308 ; 4-byte Folded Reload
	s_waitcnt vmcnt(0)
	v_fmac_f32_e32 v41, v84, v15
	buffer_load_dword v84, off, s[0:3], s32 offset:328 ; 4-byte Folded Reload
	v_and_b32_e32 v15, 0xffff0000, v32
	v_and_b32_e32 v32, 0xffff0000, v43
	s_waitcnt vmcnt(0)
	v_mul_f32_e32 v43, v84, v15
	s_clause 0x1
	buffer_load_dword v15, off, s[0:3], s32 offset:312
	buffer_load_dword v84, off, s[0:3], s32 offset:332
	s_waitcnt vmcnt(1)
	v_fmac_f32_e32 v43, v15, v32
	v_and_b32_e32 v15, 0xffff0000, v44
	v_and_b32_e32 v32, 0xffff0000, v45
	s_waitcnt vmcnt(0)
	v_mul_f32_e32 v44, v84, v15
	buffer_load_dword v15, off, s[0:3], s32 offset:316 ; 4-byte Folded Reload
	s_waitcnt vmcnt(0)
	v_fmac_f32_e32 v44, v15, v32
	buffer_load_dword v32, off, s[0:3], s32 offset:336 ; 4-byte Folded Reload
	v_and_b32_e32 v15, 0xffff0000, v86
	s_waitcnt vmcnt(0)
	v_mul_f32_e32 v45, v32, v15
	buffer_load_dword v15, off, s[0:3], s32 offset:320 ; 4-byte Folded Reload
	s_waitcnt vmcnt(0)
	v_fmac_f32_e32 v45, v15, v0
	v_and_b32_e32 v0, 0xffff0000, v13
	buffer_load_dword v13, off, s[0:3], s32 offset:340 ; 4-byte Folded Reload
	s_waitcnt vmcnt(0)
	v_fmac_f32_e32 v41, v13, v0
	v_and_b32_e32 v0, 0xffff0000, v12
	buffer_load_dword v12, off, s[0:3], s32 offset:344 ; 4-byte Folded Reload
	s_waitcnt vmcnt(0)
	v_fmac_f32_e32 v43, v12, v0
	buffer_load_dword v12, off, s[0:3], s32 offset:348 ; 4-byte Folded Reload
	v_and_b32_e32 v0, 0xffff0000, v80
	s_waitcnt vmcnt(0)
	v_fmac_f32_e32 v44, v12, v0
	buffer_load_dword v12, off, s[0:3], s32 offset:352 ; 4-byte Folded Reload
	v_and_b32_e32 v0, 0xffff0000, v97
	;; [unrolled: 4-line block ×48, first 2 shown]
	s_waitcnt vmcnt(0)
	v_fmac_f32_e32 v43, v12, v0
	v_and_b32_e32 v0, 0xffff0000, v1
	buffer_load_dword v1, off, s[0:3], s32 offset:548 ; 4-byte Folded Reload
	s_waitcnt vmcnt(0)
	v_fmac_f32_e32 v44, v1, v0
	buffer_load_dword v1, off, s[0:3], s32 offset:552 ; 4-byte Folded Reload
	v_and_b32_e32 v0, 0xffff0000, v124
	s_waitcnt vmcnt(0)
	v_fmac_f32_e32 v45, v1, v0
	buffer_load_dword v1, off, s[0:3], s32 offset:556 ; 4-byte Folded Reload
	v_and_b32_e32 v0, 0xffff0000, v26
	;; [unrolled: 4-line block ×5, first 2 shown]
	buffer_load_dword v2, off, s[0:3], s32 offset:824 ; 4-byte Folded Reload
	s_waitcnt vmcnt(1)
	v_fmac_f32_e32 v45, v1, v0
	buffer_load_dword v1, off, s[0:3], s32 offset:572 ; 4-byte Folded Reload
	v_and_b32_e32 v0, 0xffff0000, v28
	s_waitcnt vmcnt(0)
	v_fmac_f32_e32 v41, v1, v0
	buffer_load_dword v1, off, s[0:3], s32 offset:576 ; 4-byte Folded Reload
	v_and_b32_e32 v0, 0xffff0000, v3
	;; [unrolled: 4-line block ×58, first 2 shown]
	s_waitcnt vmcnt(0)
	v_fmac_f32_e32 v43, v1, v0
	s_clause 0x1
	buffer_load_dword v0, off, s[0:3], s32 offset:288
	buffer_load_dword v1, off, s[0:3], s32 offset:804
	s_waitcnt vmcnt(1)
	v_and_b32_e32 v0, 0xffff0000, v0
	s_waitcnt vmcnt(0)
	v_fmac_f32_e32 v44, v1, v0
	buffer_load_dword v1, off, s[0:3], s32 offset:808 ; 4-byte Folded Reload
	v_and_b32_e32 v0, 0xffff0000, v24
	s_waitcnt vmcnt(0)
	v_fmac_f32_e32 v45, v1, v0
	s_clause 0x1
	buffer_load_dword v0, off, s[0:3], s32 offset:284
	buffer_load_dword v1, off, s[0:3], s32 offset:812
	s_waitcnt vmcnt(1)
	v_and_b32_e32 v0, 0xffff0000, v0
	s_waitcnt vmcnt(0)
	v_fmac_f32_e32 v41, v1, v0
	s_clause 0x1
	buffer_load_dword v0, off, s[0:3], s32 offset:280
	buffer_load_dword v1, off, s[0:3], s32 offset:816
	s_waitcnt vmcnt(1)
	v_and_b32_e32 v0, 0xffff0000, v0
	s_waitcnt vmcnt(0)
	v_fmac_f32_e32 v43, v1, v0
	buffer_load_dword v1, off, s[0:3], s32 offset:820 ; 4-byte Folded Reload
	v_and_b32_e32 v0, 0xffff0000, v98
	s_waitcnt vmcnt(0)
	v_fmac_f32_e32 v44, v1, v0
	v_and_b32_e32 v1, 0xffff0000, v40
	v_add_f32_e32 v0, v41, v43
	v_fmac_f32_e32 v45, v2, v1
	buffer_load_dword v1, off, s[0:3], s32 offset:836 ; 4-byte Folded Reload
	v_add_f32_e32 v0, v0, v44
	v_add_f32_e32 v0, v45, v0
	s_waitcnt vmcnt(0)
	ds_bpermute_b32 v1, v1, v0
	s_mov_b32 s17, exec_lo
	buffer_load_dword v6, off, s[0:3], s32 offset:260 ; 4-byte Folded Reload
	s_and_b32 s7, s17, vcc_lo
	s_mov_b32 exec_lo, s7
	s_cbranch_execz .LBB342_8
; %bb.1034:                             ;   in Loop: Header=BB342_9 Depth=1
	s_clause 0x2
	buffer_load_dword v3, off, s[0:3], s32 offset:196
	buffer_load_dword v5, off, s[0:3], s32 offset:232
	;; [unrolled: 1-line block ×3, first 2 shown]
	s_waitcnt lgkmcnt(0)
	v_add_f32_e32 v0, v0, v1
	s_load_dword s20, s[8:9], 0x0
	s_waitcnt vmcnt(2)
	v_sub_nc_u32_e32 v2, 1, v3
	s_waitcnt vmcnt(1)
	v_cmp_lt_i32_e64 s7, v5, v3
	v_add_nc_u32_e32 v2, v2, v5
	v_cvt_f32_i32_e32 v2, v2
	s_waitcnt vmcnt(0)
	v_mul_f32_e32 v2, v4, v2
	buffer_load_dword v4, off, s[0:3], s32 offset:296 ; 4-byte Folded Reload
	v_cndmask_b32_e64 v1, 0, v2, s6
	buffer_load_dword v2, off, s[0:3], s32 offset:848 ; 4-byte Folded Reload
	s_waitcnt vmcnt(0)
	v_fmac_f32_e32 v1, v2, v0
	buffer_load_dword v2, off, s[0:3], s32 offset:236 ; 4-byte Folded Reload
	v_max_f32_e32 v0, v4, v4
	v_max_f32_e32 v0, v0, v1
	v_cndmask_b32_e64 v1, 0, v1, s7
	v_cndmask_b32_e64 v4, v4, v0, s7
	buffer_store_dword v4, off, s[0:3], s32 offset:296 ; 4-byte Folded Spill
	s_waitcnt vmcnt(0) lgkmcnt(0)
	v_add_nc_u32_e32 v2, s20, v2
	ds_write_b32 v2, v1
	s_branch .LBB342_8
.LBB342_1035:
	s_or_b32 exec_lo, exec_lo, s19
	s_clause 0x3
	buffer_load_dword v18, off, s[0:3], s32 offset:912
	buffer_load_dword v20, off, s[0:3], s32 offset:916
	buffer_load_dword v15, off, s[0:3], s32 offset:920
	buffer_load_dword v23, off, s[0:3], s32 offset:924
	v_mov_b32_e32 v0, v126
.LBB342_1036:
	s_or_b32 exec_lo, exec_lo, s15
	s_clause 0x1
	buffer_load_dword v7, off, s[0:3], s32 offset:860
	buffer_load_dword v4, off, s[0:3], s32 offset:296
	s_waitcnt vmcnt(2) lgkmcnt(0)
	v_xor_b32_e32 v1, 16, v23
	v_xor_b32_e32 v3, 8, v23
	;; [unrolled: 1-line block ×3, first 2 shown]
	s_lshr_b32 s9, s18, 16
	s_waitcnt vmcnt(1)
	v_cmp_lt_i32_e32 vcc_lo, v1, v7
	v_cndmask_b32_e32 v1, v23, v1, vcc_lo
	v_cmp_lt_i32_e32 vcc_lo, v3, v7
	v_lshlrev_b32_e32 v2, 2, v1
	v_cndmask_b32_e32 v3, v23, v3, vcc_lo
	v_cmp_lt_i32_e32 vcc_lo, v5, v7
	s_waitcnt vmcnt(0)
	ds_bpermute_b32 v1, v2, v4
	v_max_f32_e32 v4, v4, v4
	v_lshlrev_b32_e32 v3, 2, v3
	v_cndmask_b32_e32 v5, v23, v5, vcc_lo
	s_waitcnt lgkmcnt(0)
	v_max_f32_e32 v1, v1, v1
	v_max_f32_e32 v1, v4, v1
	ds_bpermute_b32 v4, v3, v1
	s_waitcnt lgkmcnt(0)
	v_max_f32_e32 v6, v4, v4
	v_lshlrev_b32_e32 v4, 2, v5
	v_max_f32_e32 v1, v1, v6
	v_xor_b32_e32 v6, 2, v23
	ds_bpermute_b32 v5, v4, v1
	v_cmp_lt_i32_e32 vcc_lo, v6, v7
	v_cndmask_b32_e32 v7, v23, v6, vcc_lo
	s_waitcnt lgkmcnt(0)
	v_max_f32_e32 v5, v5, v5
	v_max_f32_e32 v6, v1, v5
	buffer_load_dword v5, off, s[0:3], s32 offset:840 ; 4-byte Folded Reload
	v_lshlrev_b32_e32 v1, 2, v7
	ds_bpermute_b32 v7, v1, v6
	s_waitcnt vmcnt(0)
	v_and_b32_e32 v12, 31, v5
	buffer_load_dword v5, off, s[0:3], s32 offset:852 ; 4-byte Folded Reload
	v_cmp_eq_u32_e32 vcc_lo, 0, v12
	s_waitcnt vmcnt(0)
	v_lshlrev_b32_e32 v5, 2, v5
	s_and_saveexec_b32 s6, vcc_lo
	s_cbranch_execz .LBB342_1038
; %bb.1037:
	s_waitcnt lgkmcnt(0)
	v_max_f32_e32 v7, v7, v7
	v_max_f32_e32 v6, v6, v6
	;; [unrolled: 1-line block ×3, first 2 shown]
	ds_write_b32 v5, v6 offset:512
.LBB342_1038:
	s_or_b32 exec_lo, exec_lo, s6
	v_cmp_gt_u32_e64 s6, 4, v12
	s_waitcnt lgkmcnt(0)
	v_mov_b32_e32 v7, 0xff7fffff
	v_lshlrev_b32_e32 v6, 2, v12
	s_waitcnt_vscnt null, 0x0
	s_barrier
	buffer_gl0_inv
	s_and_saveexec_b32 s7, s6
; %bb.1039:
	ds_read_b32 v7, v6 offset:512
; %bb.1040:
	s_or_b32 exec_lo, exec_lo, s7
	buffer_load_dword v10, off, s[0:3], s32 offset:860 ; 4-byte Folded Reload
	s_waitcnt lgkmcnt(0)
	ds_bpermute_b32 v8, v1, v7
	v_xor_b32_e32 v9, 1, v23
	v_max_f32_e32 v7, v7, v7
	v_lshlrev_b32_e32 v0, 2, v0
	s_waitcnt lgkmcnt(0)
	v_max_f32_e32 v8, v8, v8
	v_max_f32_e32 v7, v7, v8
	s_waitcnt vmcnt(0)
	v_cmp_lt_i32_e64 s7, v9, v10
	v_cndmask_b32_e64 v9, v23, v9, s7
	v_lshlrev_b32_e32 v13, 2, v9
	ds_bpermute_b32 v8, v13, v7
	s_waitcnt lgkmcnt(0)
	v_max_f32_e32 v8, v8, v8
	v_max_f32_e32 v7, v7, v8
	buffer_load_dword v8, off, s[0:3], s32 offset:196 ; 4-byte Folded Reload
	ds_bpermute_b32 v7, v0, v7
	buffer_load_dword v0, off, s[0:3], s32 offset:204 ; 4-byte Folded Reload
	s_waitcnt vmcnt(0)
	v_lshlrev_b32_e32 v0, 4, v0
	v_min_i32_e32 v0, v0, v8
	buffer_load_dword v8, off, s[0:3], s32 offset:840 ; 4-byte Folded Reload
	s_waitcnt vmcnt(0)
	v_cmp_lt_i32_e64 s7, v8, v0
	v_mov_b32_e32 v8, 0
	s_and_saveexec_b32 s15, s7
	s_cbranch_execz .LBB342_1044
; %bb.1041:
	buffer_load_dword v10, off, s[0:3], s32 offset:840 ; 4-byte Folded Reload
	s_getpc_b64 s[18:19]
	s_add_u32 s18, s18, llvm.amdgcn.dynlds.offset.table@rel32@lo+4
	s_addc_u32 s19, s19, llvm.amdgcn.dynlds.offset.table@rel32@hi+12
	s_ashr_i32 s17, s16, 31
	v_mov_b32_e32 v8, 0
	s_lshl_b64 s[20:21], s[16:17], 2
	s_mov_b32 s17, 0
	s_add_u32 s18, s18, s20
	s_addc_u32 s19, s19, s21
	s_load_dword s8, s[18:19], 0x0
	s_waitcnt vmcnt(0) lgkmcnt(0)
	v_lshl_add_u32 v9, v10, 2, s8
	.p2align	6
.LBB342_1042:                           ; =>This Inner Loop Header: Depth=1
	ds_read_b32 v11, v9
	v_add_nc_u32_e32 v10, 0x80, v10
	v_cmp_ge_i32_e64 s8, v10, v0
	s_or_b32 s17, s8, s17
	s_waitcnt lgkmcnt(0)
	v_sub_f32_e32 v11, v11, v7
	v_mul_f32_e32 v11, 0x3fb8aa3b, v11
	v_exp_f32_e32 v11, v11
	ds_write_b32 v9, v11
	v_add_f32_e32 v8, v8, v11
	v_add_nc_u32_e32 v9, 0x200, v9
	s_andn2_b32 exec_lo, exec_lo, s17
	s_cbranch_execnz .LBB342_1042
; %bb.1043:
	s_or_b32 exec_lo, exec_lo, s17
.LBB342_1044:
	s_or_b32 exec_lo, exec_lo, s15
	ds_bpermute_b32 v2, v2, v8
	s_waitcnt lgkmcnt(0)
	v_add_f32_e32 v2, v8, v2
	ds_bpermute_b32 v3, v3, v2
	s_waitcnt lgkmcnt(0)
	v_add_f32_e32 v2, v2, v3
	;; [unrolled: 3-line block ×5, first 2 shown]
	s_and_saveexec_b32 s8, vcc_lo
; %bb.1045:
	ds_write_b32 v5, v2 offset:528
; %bb.1046:
	s_or_b32 exec_lo, exec_lo, s8
	s_waitcnt lgkmcnt(0)
	s_barrier
	buffer_gl0_inv
	s_and_saveexec_b32 s8, s6
; %bb.1047:
	ds_read_b32 v2, v6 offset:528
; %bb.1048:
	s_or_b32 exec_lo, exec_lo, s8
	s_waitcnt lgkmcnt(0)
	ds_bpermute_b32 v1, v1, v2
	v_lshlrev_b32_e32 v3, 2, v23
	s_waitcnt lgkmcnt(0)
	v_add_f32_e32 v1, v2, v1
	ds_bpermute_b32 v2, v13, v1
	s_waitcnt lgkmcnt(0)
	v_add_f32_e32 v1, v1, v2
	v_and_b32_e32 v2, 0xffffff80, v3
	ds_bpermute_b32 v1, v2, v1
	s_and_saveexec_b32 s6, s7
	s_cbranch_execz .LBB342_1051
; %bb.1049:
	s_waitcnt lgkmcnt(0)
	v_add_f32_e32 v2, 0x358637bd, v1
	s_getpc_b64 s[18:19]
	s_add_u32 s18, s18, llvm.amdgcn.dynlds.offset.table@rel32@lo+4
	s_addc_u32 s19, s19, llvm.amdgcn.dynlds.offset.table@rel32@hi+12
	s_ashr_i32 s17, s16, 31
	s_lshl_b64 s[20:21], s[16:17], 2
	v_div_scale_f32 v1, null, v2, v2, 1.0
	v_div_scale_f32 v5, vcc_lo, 1.0, v2, 1.0
	s_add_u32 s18, s18, s20
	v_rcp_f32_e32 v3, v1
	s_addc_u32 s19, s19, s21
	s_load_dword s7, s[18:19], 0x0
	v_fma_f32 v4, -v1, v3, 1.0
	v_fmac_f32_e32 v3, v4, v3
	v_mul_f32_e32 v4, v5, v3
	v_fma_f32 v6, -v1, v4, v5
	v_fmac_f32_e32 v4, v6, v3
	v_fma_f32 v1, -v1, v4, v5
	v_div_fmas_f32 v3, v1, v3, v4
	buffer_load_dword v4, off, s[0:3], s32 offset:840 ; 4-byte Folded Reload
	v_div_fixup_f32 v2, v3, v2, 1.0
	s_waitcnt vmcnt(0) lgkmcnt(0)
	v_lshl_add_u32 v1, v4, 2, s7
	v_mov_b32_e32 v3, v4
	s_mov_b32 s7, 0
.LBB342_1050:                           ; =>This Inner Loop Header: Depth=1
	ds_read_b32 v4, v1
	v_add_nc_u32_e32 v3, 0x80, v3
	v_cmp_ge_i32_e32 vcc_lo, v3, v0
	s_or_b32 s7, vcc_lo, s7
	s_waitcnt lgkmcnt(0)
	v_mul_f32_e32 v4, v2, v4
	ds_write_b32 v1, v4
	v_add_nc_u32_e32 v1, 0x200, v1
	s_andn2_b32 exec_lo, exec_lo, s7
	s_cbranch_execnz .LBB342_1050
.LBB342_1051:
	s_or_b32 exec_lo, exec_lo, s6
	s_waitcnt lgkmcnt(0)
	s_barrier
	buffer_gl0_inv
	s_and_saveexec_b32 s6, s5
	s_xor_b32 s5, exec_lo, s6
; %bb.1052:
                                        ; implicit-def: $vgpr0
                                        ; kill: killed $vgpr0
	s_ashr_i32 s17, s16, 31
                                        ; implicit-def: $vgpr0
                                        ; kill: killed $vgpr0
                                        ; implicit-def: $vgpr20
                                        ; implicit-def: $vgpr18
                                        ; implicit-def: $vgpr15
                                        ; implicit-def: $vgpr0
                                        ; kill: killed $vgpr0
                                        ; implicit-def: $vgpr0
                                        ; kill: killed $vgpr0
	;; [unrolled: 2-line block ×3, first 2 shown]
                                        ; implicit-def: $vgpr0_vgpr1
                                        ; kill: killed $vgpr0_vgpr1
                                        ; implicit-def: $vgpr0
                                        ; kill: killed $vgpr0
                                        ; implicit-def: $vgpr0
                                        ; kill: killed $vgpr0
	;; [unrolled: 2-line block ×3, first 2 shown]
                                        ; implicit-def: $vgpr0_vgpr1
                                        ; kill: killed $vgpr0_vgpr1
; %bb.1053:
	s_or_saveexec_b32 s8, s5
	v_mov_b32_e32 v4, s16
	v_mov_b32_e32 v53, 0
	;; [unrolled: 1-line block ×18, first 2 shown]
	s_xor_b32 exec_lo, exec_lo, s8
	s_cbranch_execz .LBB342_2113
; %bb.1054:
	buffer_store_dword v13, off, s[0:3], s32 offset:412 ; 4-byte Folded Spill
	buffer_store_dword v12, off, s[0:3], s32 offset:408 ; 4-byte Folded Spill
	s_clause 0x1
	buffer_load_dword v0, off, s[0:3], s32 offset:904
	buffer_load_dword v1, off, s[0:3], s32 offset:908
	v_and_b32_e32 v3, 0xf8, v15
	s_ashr_i32 s17, s16, 31
	s_getpc_b64 s[6:7]
	s_add_u32 s6, s6, llvm.amdgcn.dynlds.offset.table@rel32@lo+4
	s_addc_u32 s7, s7, llvm.amdgcn.dynlds.offset.table@rel32@hi+12
	s_lshl_b64 s[18:19], s[16:17], 2
	v_mov_b32_e32 v12, 0
	s_add_u32 s6, s6, s18
	s_addc_u32 s7, s7, s19
	v_mov_b32_e32 v67, 0x80
	s_load_dword s5, s[6:7], 0x0
	v_mov_b32_e32 v94, 0xffff
	v_mov_b32_e32 v69, 0xff
	;; [unrolled: 1-line block ×18, first 2 shown]
	s_mov_b32 s6, -1
	s_mov_b32 s7, 0xffffff
	s_mov_b32 s15, 0
	s_clause 0x2
	buffer_load_dword v2, off, s[0:3], s32 offset:892
	buffer_load_dword v4, off, s[0:3], s32 offset:884
	;; [unrolled: 1-line block ×3, first 2 shown]
	s_waitcnt vmcnt(3)
	flat_load_dword v64, v[0:1]
	buffer_load_dword v1, off, s[0:3], s32 offset:888 ; 4-byte Folded Reload
	v_and_b32_e32 v0, 8, v15
	s_waitcnt vmcnt(3)
	v_and_b32_e32 v4, 0x7c, v4
	s_waitcnt vmcnt(2)
	;; [unrolled: 2-line block ×3, first 2 shown]
	v_add_co_u32 v1, vcc_lo, v20, v1
	v_add_co_ci_u32_e64 v2, null, v18, v2, vcc_lo
	v_add_co_u32 v1, vcc_lo, v1, v3
	v_add_co_ci_u32_e64 v2, null, 0, v2, vcc_lo
	buffer_store_dword v1, off, s[0:3], s32 offset:400 ; 4-byte Folded Spill
	buffer_store_dword v2, off, s[0:3], s32 offset:404 ; 4-byte Folded Spill
	s_clause 0x1
	buffer_load_dword v2, off, s[0:3], s32 offset:876
	buffer_load_dword v3, off, s[0:3], s32 offset:880
	v_lshlrev_b32_e32 v1, 5, v5
	s_clause 0x1
	buffer_load_dword v5, off, s[0:3], s32 offset:872
	buffer_load_dword v80, off, s[0:3], s32 offset:852
	s_waitcnt vmcnt(3)
	v_add_co_u32 v2, vcc_lo, v4, v2
	s_waitcnt vmcnt(2)
	v_add_co_ci_u32_e64 v3, null, 0, v3, vcc_lo
	s_waitcnt vmcnt(1)
	v_add_co_u32 v15, vcc_lo, v5, v2
	buffer_load_dword v2, off, s[0:3], s32 offset:868 ; 4-byte Folded Reload
	s_waitcnt vmcnt(1)
	v_lshlrev_b32_e32 v4, 4, v80
	v_lshl_or_b32 v1, v80, 6, v1
	v_or3_b32 v65, v4, v0, 7
	s_waitcnt lgkmcnt(0)
	v_add_nc_u32_e32 v66, s5, v1
	s_waitcnt vmcnt(0)
	v_add_co_ci_u32_e64 v16, null, v2, v3, vcc_lo
	s_branch .LBB342_1056
.LBB342_1055:                           ;   in Loop: Header=BB342_1056 Depth=1
	s_or_b32 exec_lo, exec_lo, s5
	v_bfe_u32 v32, v6, 16, 1
	v_or_b32_e32 v57, 0x400000, v6
	v_cmp_u_f32_e32 vcc_lo, v6, v6
	v_lshlrev_b32_e32 v44, 16, v44
	v_lshlrev_b32_e32 v45, 16, v45
	v_add3_u32 v32, v32, v6, 0x7fff
	v_lshlrev_b32_e32 v42, 16, v42
	v_lshlrev_b32_e32 v43, 16, v43
	;; [unrolled: 1-line block ×4, first 2 shown]
	v_cndmask_b32_e32 v6, v32, v57, vcc_lo
	v_bfe_u32 v32, v7, 16, 1
	v_or_b32_e32 v57, 0x400000, v7
	v_cmp_u_f32_e32 vcc_lo, v7, v7
	v_lshlrev_b32_e32 v118, 16, v118
	v_lshlrev_b32_e32 v70, 16, v70
	v_add3_u32 v32, v32, v7, 0x7fff
	v_lshlrev_b32_e32 v101, 16, v101
	v_lshlrev_b32_e32 v102, 16, v102
	;; [unrolled: 1-line block ×4, first 2 shown]
	v_cndmask_b32_e32 v7, v32, v57, vcc_lo
	v_bfe_u32 v32, v8, 16, 1
	v_or_b32_e32 v57, 0x400000, v8
	v_cmp_u_f32_e32 vcc_lo, v8, v8
	v_lshlrev_b32_e32 v25, 16, v25
	v_lshlrev_b32_e32 v33, 16, v33
	v_add3_u32 v32, v32, v8, 0x7fff
	v_bfe_u32 v8, v9, 16, 1
	v_lshlrev_b32_e32 v13, 16, v13
	v_lshlrev_b32_e32 v14, 16, v14
	;; [unrolled: 1-line block ×3, first 2 shown]
	v_cndmask_b32_e32 v32, v32, v57, vcc_lo
	v_add3_u32 v8, v8, v9, 0x7fff
	v_or_b32_e32 v57, 0x400000, v9
	v_cmp_u_f32_e32 vcc_lo, v9, v9
	v_or_b32_e32 v9, 0x400000, v2
	v_lshlrev_b32_e32 v1, 16, v1
	v_lshlrev_b32_e32 v0, 16, v0
	;; [unrolled: 1-line block ×3, first 2 shown]
	v_cndmask_b32_e32 v57, v8, v57, vcc_lo
	v_bfe_u32 v8, v2, 16, 1
	v_cmp_u_f32_e32 vcc_lo, v2, v2
	v_lshlrev_b32_e32 v18, 16, v18
	v_add_nc_u32_e32 v80, 4, v80
	v_add_nc_u32_e32 v65, 64, v65
	v_add3_u32 v8, v8, v2, 0x7fff
	v_add_nc_u32_e32 v66, 0x100, v66
	v_cndmask_b32_e32 v2, v8, v9, vcc_lo
	v_bfe_u32 v8, v3, 16, 1
	v_or_b32_e32 v9, 0x400000, v3
	v_cmp_u_f32_e32 vcc_lo, v3, v3
	v_add3_u32 v8, v8, v3, 0x7fff
	v_cndmask_b32_e32 v3, v8, v9, vcc_lo
	v_bfe_u32 v8, v4, 16, 1
	v_or_b32_e32 v9, 0x400000, v4
	v_cmp_u_f32_e32 vcc_lo, v4, v4
	v_add3_u32 v8, v8, v4, 0x7fff
	v_bfe_u32 v4, v5, 16, 1
	v_cndmask_b32_e32 v58, v8, v9, vcc_lo
	v_add3_u32 v4, v4, v5, 0x7fff
	v_or_b32_e32 v8, 0x400000, v5
	v_cmp_u_f32_e32 vcc_lo, v5, v5
	v_and_b32_e32 v9, 0xffff0000, v6
	v_cndmask_b32_e32 v59, v4, v8, vcc_lo
	v_and_b32_e32 v8, 0xffff0000, v7
	v_lshlrev_b32_e32 v4, 16, v77
	v_mul_f32_e32 v4, v8, v4
	v_bfe_u32 v5, v4, 16, 1
	v_or_b32_e32 v7, 0x400000, v4
	v_cmp_u_f32_e32 vcc_lo, v4, v4
	v_add3_u32 v5, v5, v4, 0x7fff
	v_lshlrev_b32_e32 v4, 16, v79
	v_cndmask_b32_e32 v60, v5, v7, vcc_lo
	v_mul_f32_e32 v4, v9, v4
	v_and_b32_e32 v60, 0xffff0000, v60
	v_bfe_u32 v5, v4, 16, 1
	v_or_b32_e32 v6, 0x400000, v4
	v_cmp_u_f32_e32 vcc_lo, v4, v4
	v_add3_u32 v5, v5, v4, 0x7fff
	v_lshlrev_b32_e32 v4, 16, v75
	v_cndmask_b32_e32 v61, v5, v6, vcc_lo
	v_and_b32_e32 v6, 0xffff0000, v57
	v_and_b32_e32 v61, 0xffff0000, v61
	v_mul_f32_e32 v4, v6, v4
	v_mul_f32_e32 v44, v6, v44
	;; [unrolled: 1-line block ×3, first 2 shown]
	v_add_f32_e32 v60, v61, v60
	v_bfe_u32 v5, v4, 16, 1
	v_or_b32_e32 v7, 0x400000, v4
	v_cmp_u_f32_e32 vcc_lo, v4, v4
	v_add3_u32 v5, v5, v4, 0x7fff
	v_lshlrev_b32_e32 v4, 16, v76
	v_cndmask_b32_e32 v57, v5, v7, vcc_lo
	v_and_b32_e32 v7, 0xffff0000, v32
	v_and_b32_e32 v57, 0xffff0000, v57
	v_mul_f32_e32 v4, v7, v4
	v_mul_f32_e32 v45, v7, v45
	;; [unrolled: 1-line block ×3, first 2 shown]
	v_bfe_u32 v5, v4, 16, 1
	v_or_b32_e32 v32, 0x400000, v4
	v_cmp_u_f32_e32 vcc_lo, v4, v4
	v_add3_u32 v5, v5, v4, 0x7fff
	v_and_b32_e32 v4, 0xffff0000, v3
	v_lshlrev_b32_e32 v3, 16, v73
	v_cndmask_b32_e32 v32, v5, v32, vcc_lo
	v_mul_f32_e32 v42, v4, v42
	v_mul_f32_e32 v3, v4, v3
	;; [unrolled: 1-line block ×4, first 2 shown]
	v_and_b32_e32 v32, 0xffff0000, v32
	v_mul_f32_e32 v85, v4, v85
	v_bfe_u32 v5, v3, 16, 1
	v_or_b32_e32 v62, 0x400000, v3
	v_cmp_u_f32_e32 vcc_lo, v3, v3
	v_add_f32_e32 v32, v32, v57
	v_mul_f32_e32 v13, v4, v13
	v_add3_u32 v5, v5, v3, 0x7fff
	v_mul_f32_e32 v1, v4, v1
	v_add_f32_e32 v32, v60, v32
	v_cndmask_b32_e32 v62, v5, v62, vcc_lo
	v_and_b32_e32 v5, 0xffff0000, v2
	v_lshlrev_b32_e32 v2, 16, v74
	v_and_b32_e32 v60, 0xffff0000, v62
	v_mul_f32_e32 v43, v5, v43
	v_mul_f32_e32 v2, v5, v2
	;; [unrolled: 1-line block ×6, first 2 shown]
	v_bfe_u32 v3, v2, 16, 1
	v_or_b32_e32 v63, 0x400000, v2
	v_cmp_u_f32_e32 vcc_lo, v2, v2
	v_mul_f32_e32 v0, v5, v0
	v_add3_u32 v3, v3, v2, 0x7fff
	v_and_b32_e32 v2, 0xffff0000, v59
	v_cndmask_b32_e32 v63, v3, v63, vcc_lo
	v_lshlrev_b32_e32 v3, 16, v88
	v_mul_f32_e32 v17, v2, v17
	v_mul_f32_e32 v28, v2, v28
	v_and_b32_e32 v57, 0xffff0000, v63
	v_mul_f32_e32 v3, v2, v3
	v_add_f32_e32 v57, v57, v60
	v_bfe_u32 v59, v3, 16, 1
	v_or_b32_e32 v73, 0x400000, v3
	v_cmp_u_f32_e32 vcc_lo, v3, v3
	v_add_f32_e32 v32, v32, v57
	v_add3_u32 v59, v59, v3, 0x7fff
	v_and_b32_e32 v3, 0xffff0000, v58
	v_lshlrev_b32_e32 v58, 16, v78
	v_cndmask_b32_e32 v59, v59, v73, vcc_lo
	v_mul_f32_e32 v47, v3, v47
	v_mul_f32_e32 v58, v3, v58
	;; [unrolled: 1-line block ×4, first 2 shown]
	v_bfe_u32 v73, v58, 16, 1
	v_or_b32_e32 v74, 0x400000, v58
	v_cmp_u_f32_e32 vcc_lo, v58, v58
	v_add3_u32 v73, v73, v58, 0x7fff
	v_cndmask_b32_e32 v58, v73, v74, vcc_lo
	v_and_b32_e32 v57, 0xffff0000, v58
	v_and_b32_e32 v58, 0xffff0000, v59
	v_add_f32_e32 v57, v57, v58
	v_add_f32_e32 v32, v32, v57
	;; [unrolled: 1-line block ×3, first 2 shown]
	v_lshlrev_b32_e32 v32, 16, v46
	v_mul_f32_e32 v32, v8, v32
	v_bfe_u32 v46, v32, 16, 1
	v_or_b32_e32 v57, 0x400000, v32
	v_cmp_u_f32_e32 vcc_lo, v32, v32
	v_add3_u32 v46, v46, v32, 0x7fff
	v_cndmask_b32_e32 v32, v46, v57, vcc_lo
	v_lshlrev_b32_e32 v46, 16, v56
	v_and_b32_e32 v32, 0xffff0000, v32
	v_mul_f32_e32 v46, v9, v46
	v_bfe_u32 v56, v46, 16, 1
	v_or_b32_e32 v57, 0x400000, v46
	v_cmp_u_f32_e32 vcc_lo, v46, v46
	v_add3_u32 v56, v56, v46, 0x7fff
	v_cndmask_b32_e32 v46, v56, v57, vcc_lo
	v_bfe_u32 v56, v44, 16, 1
	v_or_b32_e32 v57, 0x400000, v44
	v_cmp_u_f32_e32 vcc_lo, v44, v44
	v_and_b32_e32 v46, 0xffff0000, v46
	v_add3_u32 v56, v56, v44, 0x7fff
	v_add_f32_e32 v32, v46, v32
	v_cndmask_b32_e32 v44, v56, v57, vcc_lo
	v_bfe_u32 v56, v45, 16, 1
	v_or_b32_e32 v57, 0x400000, v45
	v_cmp_u_f32_e32 vcc_lo, v45, v45
	v_and_b32_e32 v44, 0xffff0000, v44
	v_add3_u32 v56, v56, v45, 0x7fff
	v_cndmask_b32_e32 v45, v56, v57, vcc_lo
	v_bfe_u32 v56, v42, 16, 1
	v_or_b32_e32 v57, 0x400000, v42
	v_cmp_u_f32_e32 vcc_lo, v42, v42
	v_and_b32_e32 v45, 0xffff0000, v45
	v_add3_u32 v56, v56, v42, 0x7fff
	v_add_f32_e32 v44, v45, v44
	v_cndmask_b32_e32 v42, v56, v57, vcc_lo
	v_bfe_u32 v56, v43, 16, 1
	v_or_b32_e32 v57, 0x400000, v43
	v_cmp_u_f32_e32 vcc_lo, v43, v43
	v_add_f32_e32 v32, v32, v44
	v_and_b32_e32 v42, 0xffff0000, v42
	v_add3_u32 v56, v56, v43, 0x7fff
	v_cndmask_b32_e32 v43, v56, v57, vcc_lo
	v_lshlrev_b32_e32 v56, 16, v72
	v_and_b32_e32 v43, 0xffff0000, v43
	v_mul_f32_e32 v56, v2, v56
	v_add_f32_e32 v42, v43, v42
	v_bfe_u32 v57, v56, 16, 1
	v_or_b32_e32 v58, 0x400000, v56
	v_cmp_u_f32_e32 vcc_lo, v56, v56
	v_add_f32_e32 v32, v32, v42
	v_add3_u32 v57, v57, v56, 0x7fff
	v_cndmask_b32_e32 v56, v57, v58, vcc_lo
	v_bfe_u32 v57, v47, 16, 1
	v_or_b32_e32 v58, 0x400000, v47
	v_cmp_u_f32_e32 vcc_lo, v47, v47
	v_and_b32_e32 v43, 0xffff0000, v56
	v_add3_u32 v57, v57, v47, 0x7fff
	v_cndmask_b32_e32 v47, v57, v58, vcc_lo
	v_and_b32_e32 v42, 0xffff0000, v47
	v_add_f32_e32 v42, v42, v43
	v_add_f32_e32 v32, v32, v42
	;; [unrolled: 1-line block ×3, first 2 shown]
	v_lshlrev_b32_e32 v32, 16, v68
	v_mul_f32_e32 v32, v8, v32
	v_bfe_u32 v68, v32, 16, 1
	v_or_b32_e32 v42, 0x400000, v32
	v_cmp_u_f32_e32 vcc_lo, v32, v32
	v_add3_u32 v68, v68, v32, 0x7fff
	v_cndmask_b32_e32 v32, v68, v42, vcc_lo
	v_lshlrev_b32_e32 v68, 16, v71
	v_and_b32_e32 v32, 0xffff0000, v32
	v_mul_f32_e32 v68, v9, v68
	v_bfe_u32 v71, v68, 16, 1
	v_or_b32_e32 v42, 0x400000, v68
	v_cmp_u_f32_e32 vcc_lo, v68, v68
	v_add3_u32 v71, v71, v68, 0x7fff
	v_cndmask_b32_e32 v68, v71, v42, vcc_lo
	v_lshlrev_b32_e32 v71, 16, v119
	v_and_b32_e32 v68, 0xffff0000, v68
	v_mul_f32_e32 v71, v6, v71
	v_add_f32_e32 v32, v68, v32
	v_bfe_u32 v119, v71, 16, 1
	v_or_b32_e32 v42, 0x400000, v71
	v_cmp_u_f32_e32 vcc_lo, v71, v71
	v_add3_u32 v119, v119, v71, 0x7fff
	v_cndmask_b32_e32 v71, v119, v42, vcc_lo
	v_lshlrev_b32_e32 v119, 16, v40
	v_and_b32_e32 v71, 0xffff0000, v71
	v_mul_f32_e32 v119, v7, v119
	v_bfe_u32 v40, v119, 16, 1
	v_or_b32_e32 v42, 0x400000, v119
	v_cmp_u_f32_e32 vcc_lo, v119, v119
	v_add3_u32 v40, v40, v119, 0x7fff
	v_cndmask_b32_e32 v119, v40, v42, vcc_lo
	v_bfe_u32 v40, v117, 16, 1
	v_or_b32_e32 v42, 0x400000, v117
	v_cmp_u_f32_e32 vcc_lo, v117, v117
	v_and_b32_e32 v68, 0xffff0000, v119
	v_add3_u32 v40, v40, v117, 0x7fff
	v_add_f32_e32 v68, v68, v71
	v_cndmask_b32_e32 v117, v40, v42, vcc_lo
	v_bfe_u32 v40, v118, 16, 1
	v_or_b32_e32 v42, 0x400000, v118
	v_cmp_u_f32_e32 vcc_lo, v118, v118
	v_add_f32_e32 v32, v32, v68
	v_and_b32_e32 v71, 0xffff0000, v117
	v_add3_u32 v40, v40, v118, 0x7fff
	v_cndmask_b32_e32 v118, v40, v42, vcc_lo
	v_lshlrev_b32_e32 v40, 16, v41
	v_and_b32_e32 v68, 0xffff0000, v118
	v_mul_f32_e32 v40, v2, v40
	v_add_f32_e32 v68, v68, v71
	v_bfe_u32 v41, v40, 16, 1
	v_or_b32_e32 v42, 0x400000, v40
	v_cmp_u_f32_e32 vcc_lo, v40, v40
	v_add_f32_e32 v32, v32, v68
	v_add3_u32 v41, v41, v40, 0x7fff
	v_cndmask_b32_e32 v40, v41, v42, vcc_lo
	v_bfe_u32 v41, v70, 16, 1
	v_or_b32_e32 v42, 0x400000, v70
	v_cmp_u_f32_e32 vcc_lo, v70, v70
	v_add3_u32 v41, v41, v70, 0x7fff
	v_cndmask_b32_e32 v70, v41, v42, vcc_lo
	v_and_b32_e32 v68, 0xffff0000, v70
	v_and_b32_e32 v70, 0xffff0000, v40
	v_add_f32_e32 v68, v68, v70
	v_add_f32_e32 v32, v32, v68
	;; [unrolled: 1-line block ×3, first 2 shown]
	v_lshlrev_b32_e32 v32, 16, v113
	v_mul_f32_e32 v32, v8, v32
	v_bfe_u32 v68, v32, 16, 1
	v_or_b32_e32 v70, 0x400000, v32
	v_cmp_u_f32_e32 vcc_lo, v32, v32
	v_add3_u32 v68, v68, v32, 0x7fff
	v_cndmask_b32_e32 v32, v68, v70, vcc_lo
	v_lshlrev_b32_e32 v68, 16, v115
	v_and_b32_e32 v32, 0xffff0000, v32
	v_mul_f32_e32 v68, v9, v68
	v_bfe_u32 v70, v68, 16, 1
	v_or_b32_e32 v71, 0x400000, v68
	v_cmp_u_f32_e32 vcc_lo, v68, v68
	v_add3_u32 v70, v70, v68, 0x7fff
	v_cndmask_b32_e32 v68, v70, v71, vcc_lo
	v_lshlrev_b32_e32 v70, 16, v103
	v_and_b32_e32 v68, 0xffff0000, v68
	v_mul_f32_e32 v70, v6, v70
	v_add_f32_e32 v32, v68, v32
	v_bfe_u32 v71, v70, 16, 1
	v_or_b32_e32 v103, 0x400000, v70
	v_cmp_u_f32_e32 vcc_lo, v70, v70
	v_add3_u32 v71, v71, v70, 0x7fff
	v_cndmask_b32_e32 v70, v71, v103, vcc_lo
	v_lshlrev_b32_e32 v71, 16, v112
	v_and_b32_e32 v70, 0xffff0000, v70
	v_mul_f32_e32 v71, v7, v71
	v_bfe_u32 v103, v71, 16, 1
	v_or_b32_e32 v112, 0x400000, v71
	v_cmp_u_f32_e32 vcc_lo, v71, v71
	v_add3_u32 v103, v103, v71, 0x7fff
	v_cndmask_b32_e32 v71, v103, v112, vcc_lo
	v_bfe_u32 v103, v101, 16, 1
	v_or_b32_e32 v112, 0x400000, v101
	v_cmp_u_f32_e32 vcc_lo, v101, v101
	v_and_b32_e32 v68, 0xffff0000, v71
	v_add3_u32 v103, v103, v101, 0x7fff
	v_add_f32_e32 v68, v68, v70
	v_cndmask_b32_e32 v101, v103, v112, vcc_lo
	v_bfe_u32 v103, v102, 16, 1
	v_or_b32_e32 v112, 0x400000, v102
	v_cmp_u_f32_e32 vcc_lo, v102, v102
	v_add_f32_e32 v32, v32, v68
	v_and_b32_e32 v70, 0xffff0000, v101
	v_add3_u32 v103, v103, v102, 0x7fff
	v_cndmask_b32_e32 v102, v103, v112, vcc_lo
	v_lshlrev_b32_e32 v103, 16, v116
	v_and_b32_e32 v68, 0xffff0000, v102
	v_mul_f32_e32 v103, v2, v103
	v_add_f32_e32 v68, v68, v70
	v_bfe_u32 v112, v103, 16, 1
	v_or_b32_e32 v113, 0x400000, v103
	v_cmp_u_f32_e32 vcc_lo, v103, v103
	v_add_f32_e32 v32, v32, v68
	v_add3_u32 v112, v112, v103, 0x7fff
	v_cndmask_b32_e32 v103, v112, v113, vcc_lo
	v_lshlrev_b32_e32 v112, 16, v114
	v_and_b32_e32 v70, 0xffff0000, v103
	v_mul_f32_e32 v112, v3, v112
	v_bfe_u32 v113, v112, 16, 1
	v_or_b32_e32 v114, 0x400000, v112
	v_cmp_u_f32_e32 vcc_lo, v112, v112
	v_add3_u32 v113, v113, v112, 0x7fff
	v_cndmask_b32_e32 v112, v113, v114, vcc_lo
	v_and_b32_e32 v68, 0xffff0000, v112
	v_add_f32_e32 v68, v68, v70
	v_add_f32_e32 v32, v32, v68
	;; [unrolled: 1-line block ×3, first 2 shown]
	v_lshlrev_b32_e32 v32, 16, v97
	v_mul_f32_e32 v32, v8, v32
	v_bfe_u32 v68, v32, 16, 1
	v_or_b32_e32 v70, 0x400000, v32
	v_cmp_u_f32_e32 vcc_lo, v32, v32
	v_add3_u32 v68, v68, v32, 0x7fff
	v_cndmask_b32_e32 v32, v68, v70, vcc_lo
	v_lshlrev_b32_e32 v68, 16, v99
	v_and_b32_e32 v32, 0xffff0000, v32
	v_mul_f32_e32 v68, v9, v68
	v_bfe_u32 v70, v68, 16, 1
	v_or_b32_e32 v71, 0x400000, v68
	v_cmp_u_f32_e32 vcc_lo, v68, v68
	v_add3_u32 v70, v70, v68, 0x7fff
	v_cndmask_b32_e32 v68, v70, v71, vcc_lo
	v_lshlrev_b32_e32 v70, 16, v87
	v_and_b32_e32 v68, 0xffff0000, v68
	v_mul_f32_e32 v70, v6, v70
	v_add_f32_e32 v32, v68, v32
	v_bfe_u32 v71, v70, 16, 1
	v_or_b32_e32 v87, 0x400000, v70
	v_cmp_u_f32_e32 vcc_lo, v70, v70
	v_add3_u32 v71, v71, v70, 0x7fff
	v_cndmask_b32_e32 v70, v71, v87, vcc_lo
	v_lshlrev_b32_e32 v71, 16, v96
	v_and_b32_e32 v70, 0xffff0000, v70
	v_mul_f32_e32 v71, v7, v71
	v_bfe_u32 v87, v71, 16, 1
	v_or_b32_e32 v96, 0x400000, v71
	v_cmp_u_f32_e32 vcc_lo, v71, v71
	v_add3_u32 v87, v87, v71, 0x7fff
	v_cndmask_b32_e32 v71, v87, v96, vcc_lo
	v_bfe_u32 v87, v85, 16, 1
	v_or_b32_e32 v96, 0x400000, v85
	v_cmp_u_f32_e32 vcc_lo, v85, v85
	v_and_b32_e32 v68, 0xffff0000, v71
	v_add3_u32 v87, v87, v85, 0x7fff
	v_add_f32_e32 v68, v68, v70
	v_cndmask_b32_e32 v85, v87, v96, vcc_lo
	v_bfe_u32 v87, v86, 16, 1
	v_or_b32_e32 v96, 0x400000, v86
	v_cmp_u_f32_e32 vcc_lo, v86, v86
	v_add_f32_e32 v32, v32, v68
	v_and_b32_e32 v70, 0xffff0000, v85
	v_add3_u32 v87, v87, v86, 0x7fff
	v_cndmask_b32_e32 v86, v87, v96, vcc_lo
	v_lshlrev_b32_e32 v87, 16, v100
	v_and_b32_e32 v68, 0xffff0000, v86
	v_mul_f32_e32 v87, v2, v87
	v_add_f32_e32 v68, v68, v70
	v_bfe_u32 v96, v87, 16, 1
	v_or_b32_e32 v97, 0x400000, v87
	v_cmp_u_f32_e32 vcc_lo, v87, v87
	v_add_f32_e32 v32, v32, v68
	v_add3_u32 v96, v96, v87, 0x7fff
	v_cndmask_b32_e32 v87, v96, v97, vcc_lo
	v_lshlrev_b32_e32 v96, 16, v98
	v_and_b32_e32 v70, 0xffff0000, v87
	v_mul_f32_e32 v96, v3, v96
	v_bfe_u32 v97, v96, 16, 1
	v_or_b32_e32 v98, 0x400000, v96
	v_cmp_u_f32_e32 vcc_lo, v96, v96
	v_add3_u32 v97, v97, v96, 0x7fff
	v_cndmask_b32_e32 v96, v97, v98, vcc_lo
	v_and_b32_e32 v68, 0xffff0000, v96
	v_add_f32_e32 v68, v68, v70
	v_add_f32_e32 v32, v32, v68
	;; [unrolled: 1-line block ×3, first 2 shown]
	v_lshlrev_b32_e32 v32, 16, v82
	v_mul_f32_e32 v32, v8, v32
	v_bfe_u32 v68, v32, 16, 1
	v_or_b32_e32 v70, 0x400000, v32
	v_cmp_u_f32_e32 vcc_lo, v32, v32
	v_add3_u32 v68, v68, v32, 0x7fff
	v_cndmask_b32_e32 v32, v68, v70, vcc_lo
	v_lshlrev_b32_e32 v68, 16, v83
	v_and_b32_e32 v32, 0xffff0000, v32
	v_mul_f32_e32 v68, v9, v68
	v_bfe_u32 v70, v68, 16, 1
	v_or_b32_e32 v71, 0x400000, v68
	v_cmp_u_f32_e32 vcc_lo, v68, v68
	v_add3_u32 v70, v70, v68, 0x7fff
	v_cndmask_b32_e32 v68, v70, v71, vcc_lo
	v_bfe_u32 v70, v25, 16, 1
	v_or_b32_e32 v71, 0x400000, v25
	v_cmp_u_f32_e32 vcc_lo, v25, v25
	v_and_b32_e32 v68, 0xffff0000, v68
	v_add3_u32 v70, v70, v25, 0x7fff
	v_add_f32_e32 v32, v68, v32
	v_cndmask_b32_e32 v25, v70, v71, vcc_lo
	v_bfe_u32 v70, v33, 16, 1
	v_or_b32_e32 v71, 0x400000, v33
	v_cmp_u_f32_e32 vcc_lo, v33, v33
	v_and_b32_e32 v25, 0xffff0000, v25
	v_add3_u32 v70, v70, v33, 0x7fff
	v_cndmask_b32_e32 v33, v70, v71, vcc_lo
	v_bfe_u32 v70, v13, 16, 1
	v_or_b32_e32 v71, 0x400000, v13
	v_cmp_u_f32_e32 vcc_lo, v13, v13
	v_and_b32_e32 v33, 0xffff0000, v33
	v_add3_u32 v70, v70, v13, 0x7fff
	v_add_f32_e32 v25, v33, v25
	v_cndmask_b32_e32 v13, v70, v71, vcc_lo
	v_bfe_u32 v70, v14, 16, 1
	v_or_b32_e32 v71, 0x400000, v14
	v_cmp_u_f32_e32 vcc_lo, v14, v14
	v_add_f32_e32 v25, v32, v25
	v_and_b32_e32 v13, 0xffff0000, v13
	v_add3_u32 v70, v70, v14, 0x7fff
	v_cndmask_b32_e32 v14, v70, v71, vcc_lo
	v_lshlrev_b32_e32 v70, 16, v84
	v_and_b32_e32 v14, 0xffff0000, v14
	v_mul_f32_e32 v70, v2, v70
	v_add_f32_e32 v13, v14, v13
	v_bfe_u32 v71, v70, 16, 1
	v_or_b32_e32 v82, 0x400000, v70
	v_cmp_u_f32_e32 vcc_lo, v70, v70
	v_add_f32_e32 v13, v25, v13
	v_add3_u32 v71, v71, v70, 0x7fff
	v_cndmask_b32_e32 v70, v71, v82, vcc_lo
	v_lshlrev_b32_e32 v71, 16, v81
	v_and_b32_e32 v25, 0xffff0000, v70
	v_mul_f32_e32 v71, v3, v71
	v_bfe_u32 v81, v71, 16, 1
	v_or_b32_e32 v82, 0x400000, v71
	v_cmp_u_f32_e32 vcc_lo, v71, v71
	v_add3_u32 v81, v81, v71, 0x7fff
	v_cndmask_b32_e32 v71, v81, v82, vcc_lo
	v_and_b32_e32 v14, 0xffff0000, v71
	v_add_f32_e32 v14, v14, v25
	v_add_f32_e32 v13, v13, v14
	;; [unrolled: 1-line block ×3, first 2 shown]
	v_lshlrev_b32_e32 v13, 16, v126
	v_mul_f32_e32 v13, v8, v13
	v_bfe_u32 v14, v13, 16, 1
	v_or_b32_e32 v25, 0x400000, v13
	v_cmp_u_f32_e32 vcc_lo, v13, v13
	v_add3_u32 v14, v14, v13, 0x7fff
	v_cndmask_b32_e32 v13, v14, v25, vcc_lo
	v_lshlrev_b32_e32 v14, 16, v127
	v_and_b32_e32 v13, 0xffff0000, v13
	v_mul_f32_e32 v14, v9, v14
	v_bfe_u32 v25, v14, 16, 1
	v_or_b32_e32 v32, 0x400000, v14
	v_cmp_u_f32_e32 vcc_lo, v14, v14
	v_add3_u32 v25, v25, v14, 0x7fff
	v_cndmask_b32_e32 v14, v25, v32, vcc_lo
	v_lshlrev_b32_e32 v25, 16, v123
	v_and_b32_e32 v14, 0xffff0000, v14
	v_mul_f32_e32 v25, v6, v25
	v_add_f32_e32 v13, v14, v13
	v_bfe_u32 v32, v25, 16, 1
	v_or_b32_e32 v33, 0x400000, v25
	v_cmp_u_f32_e32 vcc_lo, v25, v25
	v_add3_u32 v32, v32, v25, 0x7fff
	v_cndmask_b32_e32 v25, v32, v33, vcc_lo
	v_lshlrev_b32_e32 v32, 16, v124
	v_and_b32_e32 v25, 0xffff0000, v25
	v_mul_f32_e32 v32, v7, v32
	v_bfe_u32 v33, v32, 16, 1
	v_or_b32_e32 v68, 0x400000, v32
	v_cmp_u_f32_e32 vcc_lo, v32, v32
	v_add3_u32 v33, v33, v32, 0x7fff
	v_cndmask_b32_e32 v32, v33, v68, vcc_lo
	v_lshlrev_b32_e32 v33, 16, v121
	v_and_b32_e32 v14, 0xffff0000, v32
	v_mul_f32_e32 v33, v4, v33
	v_add_f32_e32 v14, v14, v25
	v_bfe_u32 v68, v33, 16, 1
	v_or_b32_e32 v70, 0x400000, v33
	v_cmp_u_f32_e32 vcc_lo, v33, v33
	v_add_f32_e32 v13, v13, v14
	v_add3_u32 v68, v68, v33, 0x7fff
	v_cndmask_b32_e32 v33, v68, v70, vcc_lo
	v_lshlrev_b32_e32 v68, 16, v122
	v_and_b32_e32 v25, 0xffff0000, v33
	v_mul_f32_e32 v68, v5, v68
	v_bfe_u32 v70, v68, 16, 1
	v_or_b32_e32 v71, 0x400000, v68
	v_cmp_u_f32_e32 vcc_lo, v68, v68
	v_add3_u32 v70, v70, v68, 0x7fff
	v_cndmask_b32_e32 v68, v70, v71, vcc_lo
	v_bfe_u32 v70, v17, 16, 1
	v_or_b32_e32 v71, 0x400000, v17
	v_cmp_u_f32_e32 vcc_lo, v17, v17
	v_and_b32_e32 v14, 0xffff0000, v68
	v_add3_u32 v70, v70, v17, 0x7fff
	v_add_f32_e32 v14, v14, v25
	v_cndmask_b32_e32 v17, v70, v71, vcc_lo
	v_lshlrev_b32_e32 v70, 16, v125
	v_add_f32_e32 v13, v13, v14
	v_and_b32_e32 v17, 0xffff0000, v17
	v_mul_f32_e32 v70, v3, v70
	v_bfe_u32 v71, v70, 16, 1
	v_or_b32_e32 v81, 0x400000, v70
	v_cmp_u_f32_e32 vcc_lo, v70, v70
	v_add3_u32 v71, v71, v70, 0x7fff
	v_cndmask_b32_e32 v70, v71, v81, vcc_lo
	v_and_b32_e32 v14, 0xffff0000, v70
	v_add_f32_e32 v14, v14, v17
	v_add_f32_e32 v13, v13, v14
	;; [unrolled: 1-line block ×3, first 2 shown]
	v_lshlrev_b32_e32 v13, 16, v110
	v_mul_f32_e32 v13, v8, v13
	v_bfe_u32 v14, v13, 16, 1
	v_or_b32_e32 v17, 0x400000, v13
	v_cmp_u_f32_e32 vcc_lo, v13, v13
	v_add3_u32 v14, v14, v13, 0x7fff
	v_cndmask_b32_e32 v13, v14, v17, vcc_lo
	v_lshlrev_b32_e32 v14, 16, v111
	v_and_b32_e32 v13, 0xffff0000, v13
	v_mul_f32_e32 v14, v9, v14
	v_bfe_u32 v17, v14, 16, 1
	v_or_b32_e32 v25, 0x400000, v14
	v_cmp_u_f32_e32 vcc_lo, v14, v14
	v_add3_u32 v17, v17, v14, 0x7fff
	v_cndmask_b32_e32 v14, v17, v25, vcc_lo
	v_lshlrev_b32_e32 v17, 16, v107
	v_and_b32_e32 v14, 0xffff0000, v14
	v_mul_f32_e32 v17, v6, v17
	v_add_f32_e32 v13, v14, v13
	v_bfe_u32 v25, v17, 16, 1
	v_or_b32_e32 v32, 0x400000, v17
	v_cmp_u_f32_e32 vcc_lo, v17, v17
	v_add3_u32 v25, v25, v17, 0x7fff
	v_cndmask_b32_e32 v17, v25, v32, vcc_lo
	v_lshlrev_b32_e32 v25, 16, v108
	v_and_b32_e32 v17, 0xffff0000, v17
	v_mul_f32_e32 v25, v7, v25
	v_bfe_u32 v32, v25, 16, 1
	v_or_b32_e32 v33, 0x400000, v25
	v_cmp_u_f32_e32 vcc_lo, v25, v25
	v_add3_u32 v32, v32, v25, 0x7fff
	v_cndmask_b32_e32 v25, v32, v33, vcc_lo
	v_lshlrev_b32_e32 v32, 16, v105
	v_and_b32_e32 v14, 0xffff0000, v25
	v_mul_f32_e32 v32, v4, v32
	v_add_f32_e32 v14, v14, v17
	v_bfe_u32 v33, v32, 16, 1
	v_or_b32_e32 v68, 0x400000, v32
	v_cmp_u_f32_e32 vcc_lo, v32, v32
	v_add_f32_e32 v13, v13, v14
	v_add3_u32 v33, v33, v32, 0x7fff
	v_cndmask_b32_e32 v32, v33, v68, vcc_lo
	v_lshlrev_b32_e32 v33, 16, v106
	v_and_b32_e32 v17, 0xffff0000, v32
	v_mul_f32_e32 v33, v5, v33
	v_bfe_u32 v68, v33, 16, 1
	v_or_b32_e32 v70, 0x400000, v33
	v_cmp_u_f32_e32 vcc_lo, v33, v33
	v_add3_u32 v68, v68, v33, 0x7fff
	v_cndmask_b32_e32 v33, v68, v70, vcc_lo
	v_lshlrev_b32_e32 v68, 16, v120
	v_and_b32_e32 v14, 0xffff0000, v33
	v_mul_f32_e32 v68, v2, v68
	v_add_f32_e32 v14, v14, v17
	v_bfe_u32 v70, v68, 16, 1
	v_or_b32_e32 v71, 0x400000, v68
	v_cmp_u_f32_e32 vcc_lo, v68, v68
	v_add_f32_e32 v13, v13, v14
	v_add3_u32 v70, v70, v68, 0x7fff
	v_cndmask_b32_e32 v68, v70, v71, vcc_lo
	v_lshlrev_b32_e32 v70, 16, v109
	v_and_b32_e32 v17, 0xffff0000, v68
	v_mul_f32_e32 v70, v3, v70
	v_bfe_u32 v71, v70, 16, 1
	v_or_b32_e32 v81, 0x400000, v70
	v_cmp_u_f32_e32 vcc_lo, v70, v70
	v_add3_u32 v71, v71, v70, 0x7fff
	v_cndmask_b32_e32 v70, v71, v81, vcc_lo
	v_and_b32_e32 v14, 0xffff0000, v70
	v_add_f32_e32 v14, v14, v17
	v_add_f32_e32 v13, v13, v14
	;; [unrolled: 1-line block ×3, first 2 shown]
	v_lshlrev_b32_e32 v13, 16, v104
	v_mul_f32_e32 v13, v8, v13
	v_bfe_u32 v14, v13, 16, 1
	v_or_b32_e32 v17, 0x400000, v13
	v_cmp_u_f32_e32 vcc_lo, v13, v13
	v_add3_u32 v14, v14, v13, 0x7fff
	v_cndmask_b32_e32 v13, v14, v17, vcc_lo
	v_lshlrev_b32_e32 v14, 16, v31
	v_and_b32_e32 v13, 0xffff0000, v13
	v_mul_f32_e32 v14, v9, v14
	v_bfe_u32 v17, v14, 16, 1
	v_or_b32_e32 v25, 0x400000, v14
	v_cmp_u_f32_e32 vcc_lo, v14, v14
	v_add3_u32 v17, v17, v14, 0x7fff
	v_cndmask_b32_e32 v14, v17, v25, vcc_lo
	v_lshlrev_b32_e32 v17, 16, v29
	v_and_b32_e32 v14, 0xffff0000, v14
	v_mul_f32_e32 v17, v6, v17
	v_add_f32_e32 v13, v14, v13
	v_bfe_u32 v25, v17, 16, 1
	v_or_b32_e32 v29, 0x400000, v17
	v_cmp_u_f32_e32 vcc_lo, v17, v17
	v_add3_u32 v25, v25, v17, 0x7fff
	v_cndmask_b32_e32 v17, v25, v29, vcc_lo
	v_lshlrev_b32_e32 v25, 16, v30
	v_and_b32_e32 v17, 0xffff0000, v17
	v_mul_f32_e32 v25, v7, v25
	v_bfe_u32 v29, v25, 16, 1
	v_or_b32_e32 v30, 0x400000, v25
	v_cmp_u_f32_e32 vcc_lo, v25, v25
	v_add3_u32 v29, v29, v25, 0x7fff
	v_cndmask_b32_e32 v25, v29, v30, vcc_lo
	v_bfe_u32 v29, v1, 16, 1
	v_or_b32_e32 v30, 0x400000, v1
	v_cmp_u_f32_e32 vcc_lo, v1, v1
	v_and_b32_e32 v14, 0xffff0000, v25
	v_add3_u32 v29, v29, v1, 0x7fff
	v_add_f32_e32 v14, v14, v17
	v_cndmask_b32_e32 v1, v29, v30, vcc_lo
	v_bfe_u32 v29, v0, 16, 1
	v_or_b32_e32 v30, 0x400000, v0
	v_cmp_u_f32_e32 vcc_lo, v0, v0
	v_add_f32_e32 v13, v13, v14
	v_and_b32_e32 v1, 0xffff0000, v1
	v_add3_u32 v29, v29, v0, 0x7fff
	v_cndmask_b32_e32 v0, v29, v30, vcc_lo
	v_bfe_u32 v29, v28, 16, 1
	v_or_b32_e32 v30, 0x400000, v28
	v_cmp_u_f32_e32 vcc_lo, v28, v28
	v_and_b32_e32 v0, 0xffff0000, v0
	v_add3_u32 v29, v29, v28, 0x7fff
	v_add_f32_e32 v0, v0, v1
	v_cndmask_b32_e32 v28, v29, v30, vcc_lo
	v_bfe_u32 v29, v18, 16, 1
	v_or_b32_e32 v30, 0x400000, v18
	v_cmp_u_f32_e32 vcc_lo, v18, v18
	v_add_f32_e32 v0, v13, v0
	v_and_b32_e32 v13, 0xffff0000, v28
	v_add3_u32 v29, v29, v18, 0x7fff
	v_cndmask_b32_e32 v18, v29, v30, vcc_lo
	v_and_b32_e32 v1, 0xffff0000, v18
	v_add_f32_e32 v1, v1, v13
	v_add_f32_e32 v0, v0, v1
	;; [unrolled: 1-line block ×3, first 2 shown]
	v_lshlrev_b32_e32 v0, 16, v95
	v_mul_f32_e32 v0, v8, v0
	v_bfe_u32 v1, v0, 16, 1
	v_or_b32_e32 v13, 0x400000, v0
	v_cmp_u_f32_e32 vcc_lo, v0, v0
	v_add3_u32 v1, v1, v0, 0x7fff
	v_cndmask_b32_e32 v0, v1, v13, vcc_lo
	buffer_load_dword v1, off, s[0:3], s32 offset:392 ; 4-byte Folded Reload
	v_and_b32_e32 v0, 0xffff0000, v0
	s_waitcnt vmcnt(0)
	v_lshlrev_b32_e32 v1, 16, v1
	v_mul_f32_e32 v1, v9, v1
	v_bfe_u32 v13, v1, 16, 1
	v_or_b32_e32 v14, 0x400000, v1
	v_cmp_u_f32_e32 vcc_lo, v1, v1
	v_add3_u32 v13, v13, v1, 0x7fff
	v_cndmask_b32_e32 v1, v13, v14, vcc_lo
	buffer_load_dword v13, off, s[0:3], s32 offset:384 ; 4-byte Folded Reload
	v_and_b32_e32 v1, 0xffff0000, v1
	v_add_f32_e32 v0, v1, v0
	s_waitcnt vmcnt(0)
	v_lshlrev_b32_e32 v13, 16, v13
	v_mul_f32_e32 v13, v6, v13
	v_bfe_u32 v14, v13, 16, 1
	v_or_b32_e32 v17, 0x400000, v13
	v_cmp_u_f32_e32 vcc_lo, v13, v13
	v_add3_u32 v14, v14, v13, 0x7fff
	v_cndmask_b32_e32 v13, v14, v17, vcc_lo
	buffer_load_dword v14, off, s[0:3], s32 offset:388 ; 4-byte Folded Reload
	v_and_b32_e32 v13, 0xffff0000, v13
	s_waitcnt vmcnt(0)
	v_lshlrev_b32_e32 v14, 16, v14
	v_mul_f32_e32 v14, v7, v14
	v_bfe_u32 v17, v14, 16, 1
	v_or_b32_e32 v18, 0x400000, v14
	v_cmp_u_f32_e32 vcc_lo, v14, v14
	v_add3_u32 v17, v17, v14, 0x7fff
	v_cndmask_b32_e32 v14, v17, v18, vcc_lo
	buffer_load_dword v17, off, s[0:3], s32 offset:372 ; 4-byte Folded Reload
	v_and_b32_e32 v1, 0xffff0000, v14
	v_add_f32_e32 v1, v1, v13
	v_add_f32_e32 v0, v0, v1
	s_waitcnt vmcnt(0)
	v_lshlrev_b32_e32 v17, 16, v17
	v_mul_f32_e32 v17, v4, v17
	v_bfe_u32 v18, v17, 16, 1
	v_or_b32_e32 v25, 0x400000, v17
	v_cmp_u_f32_e32 vcc_lo, v17, v17
	v_add3_u32 v18, v18, v17, 0x7fff
	v_cndmask_b32_e32 v17, v18, v25, vcc_lo
	buffer_load_dword v18, off, s[0:3], s32 offset:368 ; 4-byte Folded Reload
	v_and_b32_e32 v13, 0xffff0000, v17
	s_waitcnt vmcnt(0)
	v_lshlrev_b32_e32 v18, 16, v18
	v_mul_f32_e32 v18, v5, v18
	v_bfe_u32 v25, v18, 16, 1
	v_or_b32_e32 v28, 0x400000, v18
	v_cmp_u_f32_e32 vcc_lo, v18, v18
	v_add3_u32 v25, v25, v18, 0x7fff
	v_cndmask_b32_e32 v18, v25, v28, vcc_lo
	buffer_load_dword v25, off, s[0:3], s32 offset:380 ; 4-byte Folded Reload
	v_and_b32_e32 v1, 0xffff0000, v18
	v_add_f32_e32 v1, v1, v13
	v_add_f32_e32 v0, v0, v1
	s_waitcnt vmcnt(0)
	v_lshlrev_b32_e32 v25, 16, v25
	v_mul_f32_e32 v25, v2, v25
	v_bfe_u32 v28, v25, 16, 1
	v_or_b32_e32 v29, 0x400000, v25
	v_cmp_u_f32_e32 vcc_lo, v25, v25
	v_add3_u32 v28, v28, v25, 0x7fff
	v_cndmask_b32_e32 v25, v28, v29, vcc_lo
	buffer_load_dword v28, off, s[0:3], s32 offset:376 ; 4-byte Folded Reload
	v_and_b32_e32 v13, 0xffff0000, v25
	s_waitcnt vmcnt(0)
	v_lshlrev_b32_e32 v28, 16, v28
	v_mul_f32_e32 v28, v3, v28
	v_bfe_u32 v29, v28, 16, 1
	v_or_b32_e32 v30, 0x400000, v28
	v_cmp_u_f32_e32 vcc_lo, v28, v28
	v_add3_u32 v29, v29, v28, 0x7fff
	v_cndmask_b32_e32 v28, v29, v30, vcc_lo
	v_and_b32_e32 v1, 0xffff0000, v28
	v_add_f32_e32 v1, v1, v13
	v_add_f32_e32 v0, v0, v1
	;; [unrolled: 1-line block ×3, first 2 shown]
	buffer_load_dword v0, off, s[0:3], s32 offset:364 ; 4-byte Folded Reload
	s_waitcnt vmcnt(0)
	v_lshlrev_b32_e32 v0, 16, v0
	v_mul_f32_e32 v0, v8, v0
	v_bfe_u32 v1, v0, 16, 1
	v_or_b32_e32 v13, 0x400000, v0
	v_cmp_u_f32_e32 vcc_lo, v0, v0
	v_add3_u32 v1, v1, v0, 0x7fff
	v_cndmask_b32_e32 v0, v1, v13, vcc_lo
	buffer_load_dword v1, off, s[0:3], s32 offset:360 ; 4-byte Folded Reload
	v_and_b32_e32 v0, 0xffff0000, v0
	s_waitcnt vmcnt(0)
	v_lshlrev_b32_e32 v1, 16, v1
	v_mul_f32_e32 v1, v9, v1
	v_bfe_u32 v13, v1, 16, 1
	v_or_b32_e32 v14, 0x400000, v1
	v_cmp_u_f32_e32 vcc_lo, v1, v1
	v_add3_u32 v13, v13, v1, 0x7fff
	v_cndmask_b32_e32 v1, v13, v14, vcc_lo
	buffer_load_dword v13, off, s[0:3], s32 offset:352 ; 4-byte Folded Reload
	v_and_b32_e32 v1, 0xffff0000, v1
	v_add_f32_e32 v0, v1, v0
	s_waitcnt vmcnt(0)
	v_lshlrev_b32_e32 v13, 16, v13
	v_mul_f32_e32 v13, v6, v13
	v_bfe_u32 v14, v13, 16, 1
	v_or_b32_e32 v17, 0x400000, v13
	v_cmp_u_f32_e32 vcc_lo, v13, v13
	v_add3_u32 v14, v14, v13, 0x7fff
	v_cndmask_b32_e32 v13, v14, v17, vcc_lo
	buffer_load_dword v14, off, s[0:3], s32 offset:356 ; 4-byte Folded Reload
	v_and_b32_e32 v13, 0xffff0000, v13
	s_waitcnt vmcnt(0)
	v_lshlrev_b32_e32 v14, 16, v14
	v_mul_f32_e32 v14, v7, v14
	v_bfe_u32 v17, v14, 16, 1
	v_or_b32_e32 v18, 0x400000, v14
	v_cmp_u_f32_e32 vcc_lo, v14, v14
	v_add3_u32 v17, v17, v14, 0x7fff
	v_cndmask_b32_e32 v14, v17, v18, vcc_lo
	buffer_load_dword v17, off, s[0:3], s32 offset:340 ; 4-byte Folded Reload
	v_and_b32_e32 v1, 0xffff0000, v14
	v_add_f32_e32 v1, v1, v13
	v_add_f32_e32 v0, v0, v1
	s_waitcnt vmcnt(0)
	v_lshlrev_b32_e32 v17, 16, v17
	v_mul_f32_e32 v17, v4, v17
	v_bfe_u32 v18, v17, 16, 1
	v_or_b32_e32 v25, 0x400000, v17
	v_cmp_u_f32_e32 vcc_lo, v17, v17
	v_add3_u32 v18, v18, v17, 0x7fff
	v_cndmask_b32_e32 v17, v18, v25, vcc_lo
	buffer_load_dword v18, off, s[0:3], s32 offset:336 ; 4-byte Folded Reload
	v_and_b32_e32 v13, 0xffff0000, v17
	s_waitcnt vmcnt(0)
	v_lshlrev_b32_e32 v18, 16, v18
	v_mul_f32_e32 v18, v5, v18
	v_bfe_u32 v25, v18, 16, 1
	v_or_b32_e32 v28, 0x400000, v18
	v_cmp_u_f32_e32 vcc_lo, v18, v18
	v_add3_u32 v25, v25, v18, 0x7fff
	v_cndmask_b32_e32 v18, v25, v28, vcc_lo
	buffer_load_dword v25, off, s[0:3], s32 offset:348 ; 4-byte Folded Reload
	v_and_b32_e32 v1, 0xffff0000, v18
	v_add_f32_e32 v1, v1, v13
	v_add_f32_e32 v0, v0, v1
	s_waitcnt vmcnt(0)
	v_lshlrev_b32_e32 v25, 16, v25
	v_mul_f32_e32 v25, v2, v25
	v_bfe_u32 v28, v25, 16, 1
	v_or_b32_e32 v29, 0x400000, v25
	v_cmp_u_f32_e32 vcc_lo, v25, v25
	v_add3_u32 v28, v28, v25, 0x7fff
	v_cndmask_b32_e32 v25, v28, v29, vcc_lo
	buffer_load_dword v28, off, s[0:3], s32 offset:344 ; 4-byte Folded Reload
	v_and_b32_e32 v13, 0xffff0000, v25
	s_waitcnt vmcnt(0)
	v_lshlrev_b32_e32 v28, 16, v28
	v_mul_f32_e32 v28, v3, v28
	v_bfe_u32 v29, v28, 16, 1
	v_or_b32_e32 v30, 0x400000, v28
	v_cmp_u_f32_e32 vcc_lo, v28, v28
	v_add3_u32 v29, v29, v28, 0x7fff
	v_cndmask_b32_e32 v28, v29, v30, vcc_lo
	v_and_b32_e32 v1, 0xffff0000, v28
	v_add_f32_e32 v1, v1, v13
	v_add_f32_e32 v0, v0, v1
	;; [unrolled: 1-line block ×3, first 2 shown]
	buffer_load_dword v0, off, s[0:3], s32 offset:332 ; 4-byte Folded Reload
	s_waitcnt vmcnt(0)
	v_lshlrev_b32_e32 v0, 16, v0
	v_mul_f32_e32 v0, v8, v0
	v_bfe_u32 v1, v0, 16, 1
	v_or_b32_e32 v13, 0x400000, v0
	v_cmp_u_f32_e32 vcc_lo, v0, v0
	v_add3_u32 v1, v1, v0, 0x7fff
	v_cndmask_b32_e32 v0, v1, v13, vcc_lo
	buffer_load_dword v1, off, s[0:3], s32 offset:328 ; 4-byte Folded Reload
	v_and_b32_e32 v0, 0xffff0000, v0
	s_waitcnt vmcnt(0)
	v_lshlrev_b32_e32 v1, 16, v1
	v_mul_f32_e32 v1, v9, v1
	v_bfe_u32 v13, v1, 16, 1
	v_or_b32_e32 v14, 0x400000, v1
	v_cmp_u_f32_e32 vcc_lo, v1, v1
	v_add3_u32 v13, v13, v1, 0x7fff
	v_cndmask_b32_e32 v1, v13, v14, vcc_lo
	buffer_load_dword v13, off, s[0:3], s32 offset:320 ; 4-byte Folded Reload
	v_and_b32_e32 v1, 0xffff0000, v1
	v_add_f32_e32 v0, v1, v0
	s_waitcnt vmcnt(0)
	v_lshlrev_b32_e32 v13, 16, v13
	v_mul_f32_e32 v13, v6, v13
	v_bfe_u32 v14, v13, 16, 1
	v_or_b32_e32 v17, 0x400000, v13
	v_cmp_u_f32_e32 vcc_lo, v13, v13
	v_add3_u32 v14, v14, v13, 0x7fff
	v_cndmask_b32_e32 v13, v14, v17, vcc_lo
	buffer_load_dword v14, off, s[0:3], s32 offset:324 ; 4-byte Folded Reload
	v_and_b32_e32 v13, 0xffff0000, v13
	s_waitcnt vmcnt(0)
	v_lshlrev_b32_e32 v14, 16, v14
	v_mul_f32_e32 v14, v7, v14
	v_bfe_u32 v17, v14, 16, 1
	v_or_b32_e32 v18, 0x400000, v14
	v_cmp_u_f32_e32 vcc_lo, v14, v14
	v_add3_u32 v17, v17, v14, 0x7fff
	v_cndmask_b32_e32 v14, v17, v18, vcc_lo
	buffer_load_dword v17, off, s[0:3], s32 offset:316 ; 4-byte Folded Reload
	v_and_b32_e32 v1, 0xffff0000, v14
	v_add_f32_e32 v1, v1, v13
	v_add_f32_e32 v0, v0, v1
	s_waitcnt vmcnt(0)
	v_lshlrev_b32_e32 v17, 16, v17
	v_mul_f32_e32 v17, v4, v17
	v_bfe_u32 v18, v17, 16, 1
	v_or_b32_e32 v25, 0x400000, v17
	v_cmp_u_f32_e32 vcc_lo, v17, v17
	v_add3_u32 v18, v18, v17, 0x7fff
	v_cndmask_b32_e32 v17, v18, v25, vcc_lo
	buffer_load_dword v18, off, s[0:3], s32 offset:308 ; 4-byte Folded Reload
	v_and_b32_e32 v13, 0xffff0000, v17
	s_waitcnt vmcnt(0)
	v_lshlrev_b32_e32 v18, 16, v18
	v_mul_f32_e32 v18, v5, v18
	v_bfe_u32 v25, v18, 16, 1
	v_or_b32_e32 v28, 0x400000, v18
	v_cmp_u_f32_e32 vcc_lo, v18, v18
	v_add3_u32 v25, v25, v18, 0x7fff
	v_cndmask_b32_e32 v18, v25, v28, vcc_lo
	buffer_load_dword v25, off, s[0:3], s32 offset:312 ; 4-byte Folded Reload
	v_and_b32_e32 v1, 0xffff0000, v18
	v_add_f32_e32 v1, v1, v13
	v_add_f32_e32 v0, v0, v1
	s_waitcnt vmcnt(0)
	v_lshlrev_b32_e32 v25, 16, v25
	v_mul_f32_e32 v25, v2, v25
	v_bfe_u32 v28, v25, 16, 1
	v_or_b32_e32 v29, 0x400000, v25
	v_cmp_u_f32_e32 vcc_lo, v25, v25
	v_add3_u32 v28, v28, v25, 0x7fff
	v_cndmask_b32_e32 v25, v28, v29, vcc_lo
	buffer_load_dword v28, off, s[0:3], s32 offset:300 ; 4-byte Folded Reload
	v_and_b32_e32 v13, 0xffff0000, v25
	s_waitcnt vmcnt(0)
	v_lshlrev_b32_e32 v28, 16, v28
	v_mul_f32_e32 v28, v3, v28
	v_bfe_u32 v29, v28, 16, 1
	v_or_b32_e32 v30, 0x400000, v28
	v_cmp_u_f32_e32 vcc_lo, v28, v28
	v_add3_u32 v29, v29, v28, 0x7fff
	v_cndmask_b32_e32 v28, v29, v30, vcc_lo
	v_and_b32_e32 v1, 0xffff0000, v28
	v_add_f32_e32 v1, v1, v13
	v_add_f32_e32 v0, v0, v1
	;; [unrolled: 1-line block ×3, first 2 shown]
	buffer_load_dword v0, off, s[0:3], s32 offset:296 ; 4-byte Folded Reload
	s_waitcnt vmcnt(0)
	v_lshlrev_b32_e32 v0, 16, v0
	v_mul_f32_e32 v0, v8, v0
	v_bfe_u32 v1, v0, 16, 1
	v_or_b32_e32 v13, 0x400000, v0
	v_cmp_u_f32_e32 vcc_lo, v0, v0
	v_add3_u32 v1, v1, v0, 0x7fff
	v_cndmask_b32_e32 v0, v1, v13, vcc_lo
	buffer_load_dword v1, off, s[0:3], s32 offset:292 ; 4-byte Folded Reload
	v_and_b32_e32 v0, 0xffff0000, v0
	s_waitcnt vmcnt(0)
	v_lshlrev_b32_e32 v1, 16, v1
	v_mul_f32_e32 v1, v9, v1
	v_bfe_u32 v13, v1, 16, 1
	v_or_b32_e32 v14, 0x400000, v1
	v_cmp_u_f32_e32 vcc_lo, v1, v1
	v_add3_u32 v13, v13, v1, 0x7fff
	v_cndmask_b32_e32 v1, v13, v14, vcc_lo
	buffer_load_dword v13, off, s[0:3], s32 offset:288 ; 4-byte Folded Reload
	v_and_b32_e32 v1, 0xffff0000, v1
	v_add_f32_e32 v0, v1, v0
	s_waitcnt vmcnt(0)
	v_lshlrev_b32_e32 v13, 16, v13
	v_mul_f32_e32 v13, v6, v13
	v_bfe_u32 v14, v13, 16, 1
	v_or_b32_e32 v17, 0x400000, v13
	v_cmp_u_f32_e32 vcc_lo, v13, v13
	v_add3_u32 v14, v14, v13, 0x7fff
	v_cndmask_b32_e32 v13, v14, v17, vcc_lo
	buffer_load_dword v14, off, s[0:3], s32 offset:284 ; 4-byte Folded Reload
	v_and_b32_e32 v13, 0xffff0000, v13
	s_waitcnt vmcnt(0)
	v_lshlrev_b32_e32 v14, 16, v14
	v_mul_f32_e32 v14, v7, v14
	v_bfe_u32 v17, v14, 16, 1
	v_or_b32_e32 v18, 0x400000, v14
	v_cmp_u_f32_e32 vcc_lo, v14, v14
	v_add3_u32 v17, v17, v14, 0x7fff
	v_cndmask_b32_e32 v14, v17, v18, vcc_lo
	buffer_load_dword v17, off, s[0:3], s32 offset:280 ; 4-byte Folded Reload
	v_and_b32_e32 v1, 0xffff0000, v14
	v_add_f32_e32 v1, v1, v13
	v_add_f32_e32 v0, v0, v1
	s_waitcnt vmcnt(0)
	v_lshlrev_b32_e32 v17, 16, v17
	v_mul_f32_e32 v17, v4, v17
	v_bfe_u32 v18, v17, 16, 1
	v_or_b32_e32 v25, 0x400000, v17
	v_cmp_u_f32_e32 vcc_lo, v17, v17
	v_add3_u32 v18, v18, v17, 0x7fff
	v_cndmask_b32_e32 v17, v18, v25, vcc_lo
	buffer_load_dword v18, off, s[0:3], s32 offset:276 ; 4-byte Folded Reload
	v_and_b32_e32 v13, 0xffff0000, v17
	s_waitcnt vmcnt(0)
	v_lshlrev_b32_e32 v18, 16, v18
	v_mul_f32_e32 v18, v5, v18
	v_bfe_u32 v25, v18, 16, 1
	v_or_b32_e32 v28, 0x400000, v18
	v_cmp_u_f32_e32 vcc_lo, v18, v18
	v_add3_u32 v25, v25, v18, 0x7fff
	v_cndmask_b32_e32 v18, v25, v28, vcc_lo
	buffer_load_dword v25, off, s[0:3], s32 offset:272 ; 4-byte Folded Reload
	v_and_b32_e32 v1, 0xffff0000, v18
	v_add_f32_e32 v1, v1, v13
	v_add_f32_e32 v0, v0, v1
	s_waitcnt vmcnt(0)
	v_lshlrev_b32_e32 v25, 16, v25
	v_mul_f32_e32 v25, v2, v25
	v_bfe_u32 v28, v25, 16, 1
	v_or_b32_e32 v29, 0x400000, v25
	v_cmp_u_f32_e32 vcc_lo, v25, v25
	v_add3_u32 v28, v28, v25, 0x7fff
	v_cndmask_b32_e32 v25, v28, v29, vcc_lo
	buffer_load_dword v28, off, s[0:3], s32 offset:268 ; 4-byte Folded Reload
	v_and_b32_e32 v13, 0xffff0000, v25
	s_waitcnt vmcnt(0)
	v_lshlrev_b32_e32 v28, 16, v28
	v_mul_f32_e32 v28, v3, v28
	v_bfe_u32 v29, v28, 16, 1
	v_or_b32_e32 v30, 0x400000, v28
	v_cmp_u_f32_e32 vcc_lo, v28, v28
	v_add3_u32 v29, v29, v28, 0x7fff
	v_cndmask_b32_e32 v28, v29, v30, vcc_lo
	v_and_b32_e32 v1, 0xffff0000, v28
	v_add_f32_e32 v1, v1, v13
	v_add_f32_e32 v0, v0, v1
	;; [unrolled: 1-line block ×3, first 2 shown]
	buffer_load_dword v0, off, s[0:3], s32 offset:264 ; 4-byte Folded Reload
	s_waitcnt vmcnt(0)
	v_lshlrev_b32_e32 v0, 16, v0
	v_mul_f32_e32 v0, v8, v0
	v_bfe_u32 v1, v0, 16, 1
	v_or_b32_e32 v13, 0x400000, v0
	v_cmp_u_f32_e32 vcc_lo, v0, v0
	v_add3_u32 v1, v1, v0, 0x7fff
	v_cndmask_b32_e32 v0, v1, v13, vcc_lo
	buffer_load_dword v1, off, s[0:3], s32 offset:260 ; 4-byte Folded Reload
	v_and_b32_e32 v0, 0xffff0000, v0
	s_waitcnt vmcnt(0)
	v_lshlrev_b32_e32 v1, 16, v1
	v_mul_f32_e32 v1, v9, v1
	v_bfe_u32 v13, v1, 16, 1
	v_or_b32_e32 v14, 0x400000, v1
	v_cmp_u_f32_e32 vcc_lo, v1, v1
	v_add3_u32 v13, v13, v1, 0x7fff
	v_cndmask_b32_e32 v1, v13, v14, vcc_lo
	buffer_load_dword v13, off, s[0:3], s32 offset:252 ; 4-byte Folded Reload
	v_and_b32_e32 v1, 0xffff0000, v1
	v_add_f32_e32 v0, v1, v0
	s_waitcnt vmcnt(0)
	v_lshlrev_b32_e32 v13, 16, v13
	v_mul_f32_e32 v13, v6, v13
	v_bfe_u32 v14, v13, 16, 1
	v_or_b32_e32 v17, 0x400000, v13
	v_cmp_u_f32_e32 vcc_lo, v13, v13
	v_add3_u32 v14, v14, v13, 0x7fff
	v_cndmask_b32_e32 v13, v14, v17, vcc_lo
	buffer_load_dword v14, off, s[0:3], s32 offset:248 ; 4-byte Folded Reload
	v_and_b32_e32 v13, 0xffff0000, v13
	s_waitcnt vmcnt(0)
	v_lshlrev_b32_e32 v14, 16, v14
	v_mul_f32_e32 v14, v7, v14
	v_bfe_u32 v17, v14, 16, 1
	v_or_b32_e32 v18, 0x400000, v14
	v_cmp_u_f32_e32 vcc_lo, v14, v14
	v_add3_u32 v17, v17, v14, 0x7fff
	v_cndmask_b32_e32 v14, v17, v18, vcc_lo
	buffer_load_dword v17, off, s[0:3], s32 offset:244 ; 4-byte Folded Reload
	v_and_b32_e32 v1, 0xffff0000, v14
	v_add_f32_e32 v1, v1, v13
	v_add_f32_e32 v0, v0, v1
	s_waitcnt vmcnt(0)
	v_lshlrev_b32_e32 v17, 16, v17
	v_mul_f32_e32 v17, v4, v17
	v_bfe_u32 v18, v17, 16, 1
	v_or_b32_e32 v25, 0x400000, v17
	v_cmp_u_f32_e32 vcc_lo, v17, v17
	v_add3_u32 v18, v18, v17, 0x7fff
	v_cndmask_b32_e32 v17, v18, v25, vcc_lo
	buffer_load_dword v18, off, s[0:3], s32 offset:240 ; 4-byte Folded Reload
	v_and_b32_e32 v13, 0xffff0000, v17
	s_waitcnt vmcnt(0)
	v_lshlrev_b32_e32 v18, 16, v18
	v_mul_f32_e32 v18, v5, v18
	v_bfe_u32 v25, v18, 16, 1
	v_or_b32_e32 v28, 0x400000, v18
	v_cmp_u_f32_e32 vcc_lo, v18, v18
	v_add3_u32 v25, v25, v18, 0x7fff
	v_cndmask_b32_e32 v18, v25, v28, vcc_lo
	buffer_load_dword v25, off, s[0:3], s32 offset:236 ; 4-byte Folded Reload
	v_and_b32_e32 v1, 0xffff0000, v18
	v_add_f32_e32 v1, v1, v13
	v_add_f32_e32 v0, v0, v1
	s_waitcnt vmcnt(0)
	v_lshlrev_b32_e32 v25, 16, v25
	v_mul_f32_e32 v25, v2, v25
	v_bfe_u32 v28, v25, 16, 1
	v_or_b32_e32 v29, 0x400000, v25
	v_cmp_u_f32_e32 vcc_lo, v25, v25
	v_add3_u32 v28, v28, v25, 0x7fff
	v_cndmask_b32_e32 v25, v28, v29, vcc_lo
	buffer_load_dword v28, off, s[0:3], s32 offset:232 ; 4-byte Folded Reload
	v_and_b32_e32 v13, 0xffff0000, v25
	s_waitcnt vmcnt(0)
	v_lshlrev_b32_e32 v28, 16, v28
	v_mul_f32_e32 v28, v3, v28
	v_bfe_u32 v29, v28, 16, 1
	v_or_b32_e32 v30, 0x400000, v28
	v_cmp_u_f32_e32 vcc_lo, v28, v28
	v_add3_u32 v29, v29, v28, 0x7fff
	v_cndmask_b32_e32 v28, v29, v30, vcc_lo
	v_and_b32_e32 v1, 0xffff0000, v28
	v_add_f32_e32 v1, v1, v13
	v_add_f32_e32 v0, v0, v1
	;; [unrolled: 1-line block ×3, first 2 shown]
	buffer_load_dword v0, off, s[0:3], s32 offset:228 ; 4-byte Folded Reload
	s_waitcnt vmcnt(0)
	v_lshlrev_b32_e32 v0, 16, v0
	v_mul_f32_e32 v0, v8, v0
	v_bfe_u32 v1, v0, 16, 1
	v_or_b32_e32 v13, 0x400000, v0
	v_cmp_u_f32_e32 vcc_lo, v0, v0
	v_add3_u32 v1, v1, v0, 0x7fff
	v_cndmask_b32_e32 v0, v1, v13, vcc_lo
	buffer_load_dword v1, off, s[0:3], s32 offset:224 ; 4-byte Folded Reload
	v_and_b32_e32 v0, 0xffff0000, v0
	s_waitcnt vmcnt(0)
	v_lshlrev_b32_e32 v1, 16, v1
	v_mul_f32_e32 v1, v9, v1
	v_bfe_u32 v13, v1, 16, 1
	v_or_b32_e32 v14, 0x400000, v1
	v_cmp_u_f32_e32 vcc_lo, v1, v1
	v_add3_u32 v13, v13, v1, 0x7fff
	v_cndmask_b32_e32 v1, v13, v14, vcc_lo
	buffer_load_dword v13, off, s[0:3], s32 offset:220 ; 4-byte Folded Reload
	v_and_b32_e32 v1, 0xffff0000, v1
	v_add_f32_e32 v0, v1, v0
	s_waitcnt vmcnt(0)
	v_lshlrev_b32_e32 v13, 16, v13
	v_mul_f32_e32 v13, v6, v13
	v_bfe_u32 v14, v13, 16, 1
	v_or_b32_e32 v17, 0x400000, v13
	v_cmp_u_f32_e32 vcc_lo, v13, v13
	v_add3_u32 v14, v14, v13, 0x7fff
	v_cndmask_b32_e32 v13, v14, v17, vcc_lo
	buffer_load_dword v14, off, s[0:3], s32 offset:216 ; 4-byte Folded Reload
	v_and_b32_e32 v13, 0xffff0000, v13
	s_waitcnt vmcnt(0)
	v_lshlrev_b32_e32 v14, 16, v14
	v_mul_f32_e32 v14, v7, v14
	v_bfe_u32 v17, v14, 16, 1
	v_or_b32_e32 v18, 0x400000, v14
	v_cmp_u_f32_e32 vcc_lo, v14, v14
	v_add3_u32 v17, v17, v14, 0x7fff
	v_cndmask_b32_e32 v14, v17, v18, vcc_lo
	buffer_load_dword v17, off, s[0:3], s32 offset:212 ; 4-byte Folded Reload
	v_and_b32_e32 v1, 0xffff0000, v14
	v_add_f32_e32 v1, v1, v13
	v_add_f32_e32 v0, v0, v1
	s_waitcnt vmcnt(0)
	v_lshlrev_b32_e32 v17, 16, v17
	v_mul_f32_e32 v17, v4, v17
	v_bfe_u32 v18, v17, 16, 1
	v_or_b32_e32 v25, 0x400000, v17
	v_cmp_u_f32_e32 vcc_lo, v17, v17
	v_add3_u32 v18, v18, v17, 0x7fff
	v_cndmask_b32_e32 v17, v18, v25, vcc_lo
	buffer_load_dword v18, off, s[0:3], s32 offset:200 ; 4-byte Folded Reload
	v_and_b32_e32 v13, 0xffff0000, v17
	s_waitcnt vmcnt(0)
	v_lshlrev_b32_e32 v18, 16, v18
	v_mul_f32_e32 v18, v5, v18
	v_bfe_u32 v25, v18, 16, 1
	v_or_b32_e32 v28, 0x400000, v18
	v_cmp_u_f32_e32 vcc_lo, v18, v18
	v_add3_u32 v25, v25, v18, 0x7fff
	v_cndmask_b32_e32 v18, v25, v28, vcc_lo
	buffer_load_dword v25, off, s[0:3], s32 offset:208 ; 4-byte Folded Reload
	v_and_b32_e32 v1, 0xffff0000, v18
	v_add_f32_e32 v1, v1, v13
	v_add_f32_e32 v0, v0, v1
	s_waitcnt vmcnt(0)
	v_lshlrev_b32_e32 v25, 16, v25
	v_mul_f32_e32 v25, v2, v25
	v_bfe_u32 v28, v25, 16, 1
	v_or_b32_e32 v29, 0x400000, v25
	v_cmp_u_f32_e32 vcc_lo, v25, v25
	v_add3_u32 v28, v28, v25, 0x7fff
	v_cndmask_b32_e32 v25, v28, v29, vcc_lo
	buffer_load_dword v28, off, s[0:3], s32 offset:192 ; 4-byte Folded Reload
	v_and_b32_e32 v13, 0xffff0000, v25
	s_waitcnt vmcnt(0)
	v_lshlrev_b32_e32 v28, 16, v28
	v_mul_f32_e32 v28, v3, v28
	v_bfe_u32 v29, v28, 16, 1
	v_or_b32_e32 v30, 0x400000, v28
	v_cmp_u_f32_e32 vcc_lo, v28, v28
	v_add3_u32 v29, v29, v28, 0x7fff
	v_cndmask_b32_e32 v28, v29, v30, vcc_lo
	v_and_b32_e32 v1, 0xffff0000, v28
	v_add_f32_e32 v1, v1, v13
	v_add_f32_e32 v0, v0, v1
	;; [unrolled: 1-line block ×3, first 2 shown]
	v_lshlrev_b32_e32 v0, 16, v24
	v_mul_f32_e32 v0, v9, v0
	v_bfe_u32 v1, v0, 16, 1
	v_or_b32_e32 v9, 0x400000, v0
	v_cmp_u_f32_e32 vcc_lo, v0, v0
	v_add3_u32 v1, v1, v0, 0x7fff
	v_cndmask_b32_e32 v0, v1, v9, vcc_lo
	v_lshlrev_b32_e32 v1, 16, v23
	v_and_b32_e32 v0, 0xffff0000, v0
	v_mul_f32_e32 v1, v8, v1
	v_bfe_u32 v8, v1, 16, 1
	v_or_b32_e32 v9, 0x400000, v1
	v_cmp_u_f32_e32 vcc_lo, v1, v1
	v_add3_u32 v8, v8, v1, 0x7fff
	v_cndmask_b32_e32 v1, v8, v9, vcc_lo
	v_lshlrev_b32_e32 v8, 16, v21
	v_and_b32_e32 v1, 0xffff0000, v1
	v_mul_f32_e32 v7, v7, v8
	v_add_f32_e32 v0, v0, v1
	v_bfe_u32 v8, v7, 16, 1
	v_or_b32_e32 v9, 0x400000, v7
	v_cmp_u_f32_e32 vcc_lo, v7, v7
	v_add3_u32 v8, v8, v7, 0x7fff
	v_cndmask_b32_e32 v7, v8, v9, vcc_lo
	v_lshlrev_b32_e32 v8, 16, v19
	v_mul_f32_e32 v6, v6, v8
	v_bfe_u32 v8, v6, 16, 1
	v_or_b32_e32 v9, 0x400000, v6
	v_cmp_u_f32_e32 vcc_lo, v6, v6
	v_add3_u32 v8, v8, v6, 0x7fff
	v_cndmask_b32_e32 v6, v8, v9, vcc_lo
	v_lshlrev_b32_e32 v8, 16, v11
	v_and_b32_e32 v1, 0xffff0000, v6
	v_mul_f32_e32 v5, v5, v8
	v_and_b32_e32 v6, 0xffff0000, v7
	v_bfe_u32 v8, v5, 16, 1
	v_or_b32_e32 v9, 0x400000, v5
	v_cmp_u_f32_e32 vcc_lo, v5, v5
	v_add_f32_e32 v1, v6, v1
	v_add3_u32 v8, v8, v5, 0x7fff
	v_add_f32_e32 v0, v0, v1
	v_cndmask_b32_e32 v5, v8, v9, vcc_lo
	v_lshlrev_b32_e32 v8, 16, v10
	v_mul_f32_e32 v4, v4, v8
	v_bfe_u32 v8, v4, 16, 1
	v_or_b32_e32 v9, 0x400000, v4
	v_cmp_u_f32_e32 vcc_lo, v4, v4
	v_add3_u32 v8, v8, v4, 0x7fff
	v_cndmask_b32_e32 v4, v8, v9, vcc_lo
	v_lshlrev_b32_e32 v8, 16, v20
	v_and_b32_e32 v1, 0xffff0000, v4
	v_mul_f32_e32 v3, v3, v8
	v_and_b32_e32 v4, 0xffff0000, v5
	v_bfe_u32 v8, v3, 16, 1
	v_or_b32_e32 v9, 0x400000, v3
	v_cmp_u_f32_e32 vcc_lo, v3, v3
	v_add_f32_e32 v1, v4, v1
	v_add3_u32 v8, v8, v3, 0x7fff
	v_add_f32_e32 v0, v0, v1
	v_cndmask_b32_e32 v3, v8, v9, vcc_lo
	v_lshlrev_b32_e32 v8, 16, v22
	v_mul_f32_e32 v2, v2, v8
	v_bfe_u32 v8, v2, 16, 1
	v_or_b32_e32 v9, 0x400000, v2
	v_cmp_u_f32_e32 vcc_lo, v2, v2
	v_add3_u32 v8, v8, v2, 0x7fff
	v_cndmask_b32_e32 v2, v8, v9, vcc_lo
	v_add_co_u32 v15, vcc_lo, v15, 16
	v_add_co_ci_u32_e64 v16, null, 0, v16, vcc_lo
	v_and_b32_e32 v1, 0xffff0000, v2
	v_and_b32_e32 v2, 0xffff0000, v3
	v_add_f32_e32 v1, v2, v1
	v_add_f32_e32 v0, v0, v1
	;; [unrolled: 1-line block ×3, first 2 shown]
	buffer_load_dword v0, off, s[0:3], s32 offset:204 ; 4-byte Folded Reload
	s_waitcnt vmcnt(0)
	v_cmp_ge_i32_e32 vcc_lo, v80, v0
	s_or_b32 s15, vcc_lo, s15
	s_andn2_b32 exec_lo, exec_lo, s15
	s_cbranch_execz .LBB342_2112
.LBB342_1056:                           ; =>This Inner Loop Header: Depth=1
	flat_load_dword v0, v[15:16]
	s_clause 0x2
	buffer_load_dword v1, off, s[0:3], s32 offset:396
	buffer_load_dword v2, off, s[0:3], s32 offset:400
	;; [unrolled: 1-line block ×3, first 2 shown]
	s_waitcnt vmcnt(0) lgkmcnt(0)
	v_mad_i64_i32 v[19:20], null, v0, v1, v[2:3]
	v_mov_b32_e32 v0, 0
	flat_load_dwordx2 v[21:22], v[19:20]
	ds_read2_b64 v[6:9], v66 offset1:1
	ds_read2_b64 v[2:5], v66 offset0:2 offset1:3
	s_waitcnt vmcnt(0) lgkmcnt(2)
	v_cmp_ne_u16_sdwa s18, v21, v12 src0_sel:BYTE_0 src1_sel:DWORD
	s_and_saveexec_b32 s5, s18
	s_cbranch_execz .LBB342_1064
; %bb.1057:                             ;   in Loop: Header=BB342_1056 Depth=1
	v_cmp_ne_u16_sdwa s19, v21, v67 src0_sel:BYTE_0 src1_sel:DWORD
	v_bfrev_b32_e32 v0, 1
	s_and_saveexec_b32 s18, s19
	s_cbranch_execz .LBB342_1063
; %bb.1058:                             ;   in Loop: Header=BB342_1056 Depth=1
	v_and_b32_e32 v1, 0x7f, v21
	v_mov_b32_e32 v0, 0x7f800001
	s_mov_b32 s19, exec_lo
	v_cmpx_ne_u32_e32 0x7f, v1
	s_cbranch_execz .LBB342_1062
; %bb.1059:                             ;   in Loop: Header=BB342_1056 Depth=1
	v_lshrrev_b32_e32 v0, 3, v1
	v_mov_b32_e32 v10, v21
	s_mov_b32 s20, exec_lo
	v_mov_b32_e32 v11, v22
	v_cmpx_gt_u32_e32 8, v1
; %bb.1060:                             ;   in Loop: Header=BB342_1056 Depth=1
	v_and_b32_e32 v0, 7, v21
	v_ffbh_u32_e32 v0, v0
	v_min_u32_e32 v0, 32, v0
	v_subrev_nc_u32_e32 v1, 28, v0
	v_sub_nc_u32_e32 v0, 29, v0
	v_lshlrev_b64 v[10:11], v1, v[21:22]
; %bb.1061:                             ;   in Loop: Header=BB342_1056 Depth=1
	s_or_b32 exec_lo, exec_lo, s20
	v_lshlrev_b32_e32 v1, 20, v10
	v_lshlrev_b32_e32 v10, 24, v21
	v_lshl_add_u32 v0, v0, 23, 0x3c000000
	v_and_b32_e32 v1, 0x700000, v1
	v_and_b32_e32 v10, 0x80000000, v10
	v_or3_b32 v0, v1, v10, v0
.LBB342_1062:                           ;   in Loop: Header=BB342_1056 Depth=1
	s_or_b32 exec_lo, exec_lo, s19
.LBB342_1063:                           ;   in Loop: Header=BB342_1056 Depth=1
	s_or_b32 exec_lo, exec_lo, s18
.LBB342_1064:                           ;   in Loop: Header=BB342_1056 Depth=1
	s_or_b32 exec_lo, exec_lo, s5
	v_cmp_ne_u16_sdwa s18, v21, v12 src0_sel:BYTE_1 src1_sel:DWORD
	v_mov_b32_e32 v10, 0
	v_mov_b32_e32 v1, 0
	s_and_saveexec_b32 s5, s18
	s_cbranch_execz .LBB342_1072
; %bb.1065:                             ;   in Loop: Header=BB342_1056 Depth=1
	v_cmp_ne_u16_sdwa s19, v21, v67 src0_sel:BYTE_1 src1_sel:DWORD
	v_bfrev_b32_e32 v1, 1
	s_and_saveexec_b32 s18, s19
	s_cbranch_execz .LBB342_1071
; %bb.1066:                             ;   in Loop: Header=BB342_1056 Depth=1
	v_and_b32_sdwa v11, v94, v21 dst_sel:DWORD dst_unused:UNUSED_PAD src0_sel:DWORD src1_sel:BYTE_1
	v_mov_b32_e32 v1, 0x7f800001
	s_mov_b32 s19, exec_lo
	v_and_b32_e32 v13, 0x7f, v11
	v_cmpx_ne_u32_e32 0x7f, v13
	s_cbranch_execz .LBB342_1070
; %bb.1067:                             ;   in Loop: Header=BB342_1056 Depth=1
	v_and_b32_e32 v11, 7, v11
	v_mov_b32_e32 v24, v12
	v_lshrrev_b32_e32 v1, 3, v13
	s_mov_b32 s20, exec_lo
	v_mov_b32_e32 v23, v11
	v_cmpx_gt_u32_e32 8, v13
; %bb.1068:                             ;   in Loop: Header=BB342_1056 Depth=1
	v_ffbh_u32_e32 v1, v11
	v_min_u32_e32 v1, 32, v1
	v_subrev_nc_u32_e32 v13, 28, v1
	v_sub_nc_u32_e32 v1, 29, v1
	v_lshlrev_b64 v[13:14], v13, v[11:12]
	v_and_b32_e32 v23, 7, v13
; %bb.1069:                             ;   in Loop: Header=BB342_1056 Depth=1
	s_or_b32 exec_lo, exec_lo, s20
	v_lshlrev_b32_e32 v11, 16, v21
	v_lshlrev_b32_e32 v13, 20, v23
	v_lshl_add_u32 v1, v1, 23, 0x3c000000
	v_and_b32_e32 v11, 0x80000000, v11
	v_or3_b32 v1, v13, v11, v1
.LBB342_1070:                           ;   in Loop: Header=BB342_1056 Depth=1
	s_or_b32 exec_lo, exec_lo, s19
.LBB342_1071:                           ;   in Loop: Header=BB342_1056 Depth=1
	s_or_b32 exec_lo, exec_lo, s18
.LBB342_1072:                           ;   in Loop: Header=BB342_1056 Depth=1
	s_or_b32 exec_lo, exec_lo, s5
	v_and_b32_sdwa v11, v21, v69 dst_sel:DWORD dst_unused:UNUSED_PAD src0_sel:WORD_1 src1_sel:DWORD
	s_mov_b32 s5, exec_lo
	v_cmpx_ne_u16_e32 0, v11
	s_cbranch_execz .LBB342_1080
; %bb.1073:                             ;   in Loop: Header=BB342_1056 Depth=1
	v_bfrev_b32_e32 v10, 1
	s_mov_b32 s18, exec_lo
	v_cmpx_ne_u16_e32 0x80, v11
	s_cbranch_execz .LBB342_1079
; %bb.1074:                             ;   in Loop: Header=BB342_1056 Depth=1
	v_bfe_u32 v13, v21, 16, 7
	v_mov_b32_e32 v10, 0x7f800001
	s_mov_b32 s19, exec_lo
	v_cmpx_ne_u32_e32 0x7f, v13
	s_cbranch_execz .LBB342_1078
; %bb.1075:                             ;   in Loop: Header=BB342_1056 Depth=1
	v_mov_b32_e32 v10, 7
	s_mov_b32 s20, exec_lo
	v_and_b32_sdwa v11, v21, v10 dst_sel:DWORD dst_unused:UNUSED_PAD src0_sel:WORD_1 src1_sel:DWORD
	v_mov_b32_e32 v24, v12
	v_lshrrev_b32_e32 v10, 3, v13
	v_mov_b32_e32 v23, v11
	v_cmpx_gt_u32_e32 8, v13
; %bb.1076:                             ;   in Loop: Header=BB342_1056 Depth=1
	v_ffbh_u32_e32 v10, v11
	v_min_u32_e32 v10, 32, v10
	v_subrev_nc_u32_e32 v13, 28, v10
	v_sub_nc_u32_e32 v10, 29, v10
	v_lshlrev_b64 v[13:14], v13, v[11:12]
	v_and_b32_e32 v23, 7, v13
; %bb.1077:                             ;   in Loop: Header=BB342_1056 Depth=1
	s_or_b32 exec_lo, exec_lo, s20
	v_mov_b32_e32 v11, 24
	v_lshlrev_b32_e32 v13, 20, v23
	v_lshl_add_u32 v10, v10, 23, 0x3c000000
	v_lshlrev_b32_sdwa v11, v11, v21 dst_sel:DWORD dst_unused:UNUSED_PAD src0_sel:DWORD src1_sel:WORD_1
	v_and_b32_e32 v11, 0x80000000, v11
	v_or3_b32 v10, v13, v11, v10
.LBB342_1078:                           ;   in Loop: Header=BB342_1056 Depth=1
	s_or_b32 exec_lo, exec_lo, s19
.LBB342_1079:                           ;   in Loop: Header=BB342_1056 Depth=1
	s_or_b32 exec_lo, exec_lo, s18
.LBB342_1080:                           ;   in Loop: Header=BB342_1056 Depth=1
	s_or_b32 exec_lo, exec_lo, s5
	v_mov_b32_e32 v14, 0
	v_mov_b32_e32 v13, 0
	s_mov_b32 s5, exec_lo
	v_cmpx_lt_u32_e32 0xffffff, v21
	s_cbranch_execz .LBB342_1088
; %bb.1081:                             ;   in Loop: Header=BB342_1056 Depth=1
	v_cmp_ne_u32_sdwa s19, v21, v67 src0_sel:BYTE_3 src1_sel:DWORD
	v_bfrev_b32_e32 v13, 1
	s_and_saveexec_b32 s18, s19
	s_cbranch_execz .LBB342_1087
; %bb.1082:                             ;   in Loop: Header=BB342_1056 Depth=1
	v_bfe_u32 v17, v21, 24, 7
	v_mov_b32_e32 v13, 0x7f800001
	s_mov_b32 s19, exec_lo
	v_cmpx_ne_u32_e32 0x7f, v17
	s_cbranch_execz .LBB342_1086
; %bb.1083:                             ;   in Loop: Header=BB342_1056 Depth=1
	v_mov_b32_e32 v11, 7
	v_lshrrev_b32_e32 v13, 3, v17
	s_mov_b32 s20, exec_lo
	v_and_b32_sdwa v11, v21, v11 dst_sel:DWORD dst_unused:UNUSED_PAD src0_sel:BYTE_3 src1_sel:DWORD
	v_mov_b32_e32 v24, v12
	v_mov_b32_e32 v23, v11
	v_cmpx_gt_u32_e32 8, v17
; %bb.1084:                             ;   in Loop: Header=BB342_1056 Depth=1
	v_ffbh_u32_e32 v13, v11
	v_min_u32_e32 v13, 32, v13
	v_subrev_nc_u32_e32 v17, 28, v13
	v_sub_nc_u32_e32 v13, 29, v13
	v_lshlrev_b64 v[17:18], v17, v[11:12]
	v_and_b32_e32 v23, 7, v17
; %bb.1085:                             ;   in Loop: Header=BB342_1056 Depth=1
	s_or_b32 exec_lo, exec_lo, s20
	v_mov_b32_e32 v11, 24
	v_lshlrev_b32_e32 v17, 20, v23
	v_lshl_add_u32 v13, v13, 23, 0x3c000000
	v_lshlrev_b32_sdwa v11, v11, v21 dst_sel:DWORD dst_unused:UNUSED_PAD src0_sel:DWORD src1_sel:BYTE_3
	v_and_b32_e32 v11, 0x80000000, v11
	v_or3_b32 v13, v17, v11, v13
.LBB342_1086:                           ;   in Loop: Header=BB342_1056 Depth=1
	s_or_b32 exec_lo, exec_lo, s19
.LBB342_1087:                           ;   in Loop: Header=BB342_1056 Depth=1
	s_or_b32 exec_lo, exec_lo, s18
.LBB342_1088:                           ;   in Loop: Header=BB342_1056 Depth=1
	s_or_b32 exec_lo, exec_lo, s5
	v_mov_b32_e32 v11, v22
	v_cmp_ne_u16_sdwa s18, v22, v12 src0_sel:BYTE_0 src1_sel:DWORD
	s_and_saveexec_b32 s5, s18
	s_cbranch_execz .LBB342_1096
; %bb.1089:                             ;   in Loop: Header=BB342_1056 Depth=1
	v_cmp_ne_u16_sdwa s19, v22, v67 src0_sel:BYTE_0 src1_sel:DWORD
	v_bfrev_b32_e32 v14, 1
	s_and_saveexec_b32 s18, s19
	s_cbranch_execz .LBB342_1095
; %bb.1090:                             ;   in Loop: Header=BB342_1056 Depth=1
	v_and_b32_e32 v17, 0x7f, v22
	v_mov_b32_e32 v14, 0x7f800001
	s_mov_b32 s19, exec_lo
	v_cmpx_ne_u32_e32 0x7f, v17
	s_cbranch_execz .LBB342_1094
; %bb.1091:                             ;   in Loop: Header=BB342_1056 Depth=1
	v_mov_b32_e32 v24, v12
	v_lshrrev_b32_e32 v14, 3, v17
	v_mov_b32_e32 v23, v11
	s_mov_b32 s20, exec_lo
	v_cmpx_gt_u32_e32 8, v17
; %bb.1092:                             ;   in Loop: Header=BB342_1056 Depth=1
	v_and_b32_e32 v14, 7, v22
	v_ffbh_u32_e32 v14, v14
	v_min_u32_e32 v14, 32, v14
	v_subrev_nc_u32_e32 v17, 28, v14
	v_sub_nc_u32_e32 v14, 29, v14
	v_lshlrev_b64 v[23:24], v17, v[11:12]
; %bb.1093:                             ;   in Loop: Header=BB342_1056 Depth=1
	s_or_b32 exec_lo, exec_lo, s20
	v_lshlrev_b32_e32 v17, 20, v23
	v_lshlrev_b32_e32 v18, 24, v11
	v_lshl_add_u32 v14, v14, 23, 0x3c000000
	v_and_b32_e32 v17, 0x700000, v17
	v_and_b32_e32 v18, 0x80000000, v18
	v_or3_b32 v14, v17, v18, v14
.LBB342_1094:                           ;   in Loop: Header=BB342_1056 Depth=1
	s_or_b32 exec_lo, exec_lo, s19
.LBB342_1095:                           ;   in Loop: Header=BB342_1056 Depth=1
	s_or_b32 exec_lo, exec_lo, s18
.LBB342_1096:                           ;   in Loop: Header=BB342_1056 Depth=1
	s_or_b32 exec_lo, exec_lo, s5
	v_cmp_ne_u16_sdwa s18, v11, v12 src0_sel:BYTE_1 src1_sel:DWORD
	v_mov_b32_e32 v17, 0
	v_mov_b32_e32 v18, 0
	s_and_saveexec_b32 s5, s18
	s_cbranch_execz .LBB342_1104
; %bb.1097:                             ;   in Loop: Header=BB342_1056 Depth=1
	v_cmp_ne_u16_sdwa s19, v11, v67 src0_sel:BYTE_1 src1_sel:DWORD
	v_bfrev_b32_e32 v18, 1
	s_and_saveexec_b32 s18, s19
	s_cbranch_execz .LBB342_1103
; %bb.1098:                             ;   in Loop: Header=BB342_1056 Depth=1
	v_and_b32_sdwa v23, v94, v11 dst_sel:DWORD dst_unused:UNUSED_PAD src0_sel:DWORD src1_sel:BYTE_1
	v_mov_b32_e32 v18, 0x7f800001
	s_mov_b32 s19, exec_lo
	v_and_b32_e32 v25, 0x7f, v23
	v_cmpx_ne_u32_e32 0x7f, v25
	s_cbranch_execz .LBB342_1102
; %bb.1099:                             ;   in Loop: Header=BB342_1056 Depth=1
	v_and_b32_e32 v23, 7, v23
	v_mov_b32_e32 v24, v12
	v_lshrrev_b32_e32 v18, 3, v25
	s_mov_b32 s20, exec_lo
	v_cmpx_gt_u32_e32 8, v25
; %bb.1100:                             ;   in Loop: Header=BB342_1056 Depth=1
	v_ffbh_u32_e32 v18, v23
	v_min_u32_e32 v18, 32, v18
	v_subrev_nc_u32_e32 v25, 28, v18
	v_sub_nc_u32_e32 v18, 29, v18
	v_lshlrev_b64 v[23:24], v25, v[23:24]
	v_and_b32_e32 v23, 7, v23
; %bb.1101:                             ;   in Loop: Header=BB342_1056 Depth=1
	s_or_b32 exec_lo, exec_lo, s20
	v_lshlrev_b32_e32 v11, 16, v11
	v_lshlrev_b32_e32 v23, 20, v23
	v_lshl_add_u32 v18, v18, 23, 0x3c000000
	v_and_b32_e32 v11, 0x80000000, v11
	v_or3_b32 v18, v23, v11, v18
.LBB342_1102:                           ;   in Loop: Header=BB342_1056 Depth=1
	s_or_b32 exec_lo, exec_lo, s19
.LBB342_1103:                           ;   in Loop: Header=BB342_1056 Depth=1
	s_or_b32 exec_lo, exec_lo, s18
.LBB342_1104:                           ;   in Loop: Header=BB342_1056 Depth=1
	s_or_b32 exec_lo, exec_lo, s5
	v_and_b32_sdwa v11, v22, v69 dst_sel:DWORD dst_unused:UNUSED_PAD src0_sel:WORD_1 src1_sel:DWORD
	s_mov_b32 s5, exec_lo
	v_cmpx_ne_u16_e32 0, v11
	s_cbranch_execz .LBB342_1112
; %bb.1105:                             ;   in Loop: Header=BB342_1056 Depth=1
	v_bfrev_b32_e32 v17, 1
	s_mov_b32 s18, exec_lo
	v_cmpx_ne_u16_e32 0x80, v11
	s_cbranch_execz .LBB342_1111
; %bb.1106:                             ;   in Loop: Header=BB342_1056 Depth=1
	v_bfe_u32 v23, v22, 16, 7
	v_mov_b32_e32 v17, 0x7f800001
	s_mov_b32 s19, exec_lo
	v_cmpx_ne_u32_e32 0x7f, v23
	s_cbranch_execz .LBB342_1110
; %bb.1107:                             ;   in Loop: Header=BB342_1056 Depth=1
	v_mov_b32_e32 v11, 7
	v_lshrrev_b32_e32 v17, 3, v23
	v_cmp_gt_u32_e32 vcc_lo, 8, v23
	v_and_b32_sdwa v11, v22, v11 dst_sel:DWORD dst_unused:UNUSED_PAD src0_sel:WORD_1 src1_sel:DWORD
	v_mov_b32_e32 v24, v12
	v_mov_b32_e32 v23, v11
	s_and_saveexec_b32 s20, vcc_lo
; %bb.1108:                             ;   in Loop: Header=BB342_1056 Depth=1
	v_ffbh_u32_e32 v17, v11
	v_min_u32_e32 v17, 32, v17
	v_subrev_nc_u32_e32 v23, 28, v17
	v_sub_nc_u32_e32 v17, 29, v17
	v_lshlrev_b64 v[23:24], v23, v[11:12]
	v_and_b32_e32 v23, 7, v23
; %bb.1109:                             ;   in Loop: Header=BB342_1056 Depth=1
	s_or_b32 exec_lo, exec_lo, s20
	v_mov_b32_e32 v11, 24
	v_lshlrev_b32_e32 v23, 20, v23
	v_lshl_add_u32 v17, v17, 23, 0x3c000000
	v_lshlrev_b32_sdwa v11, v11, v22 dst_sel:DWORD dst_unused:UNUSED_PAD src0_sel:DWORD src1_sel:WORD_1
	v_and_b32_e32 v11, 0x80000000, v11
	v_or3_b32 v17, v23, v11, v17
.LBB342_1110:                           ;   in Loop: Header=BB342_1056 Depth=1
	s_or_b32 exec_lo, exec_lo, s19
.LBB342_1111:                           ;   in Loop: Header=BB342_1056 Depth=1
	s_or_b32 exec_lo, exec_lo, s18
.LBB342_1112:                           ;   in Loop: Header=BB342_1056 Depth=1
	s_or_b32 exec_lo, exec_lo, s5
	v_mov_b32_e32 v11, 0
	s_mov_b32 s5, exec_lo
	v_cmpx_lt_u64_e64 s[6:7], v[21:22]
	s_cbranch_execz .LBB342_1120
; %bb.1113:                             ;   in Loop: Header=BB342_1056 Depth=1
	v_cmp_ne_u32_sdwa s19, v22, v67 src0_sel:BYTE_3 src1_sel:DWORD
	v_bfrev_b32_e32 v11, 1
	s_and_saveexec_b32 s18, s19
	s_cbranch_execz .LBB342_1119
; %bb.1114:                             ;   in Loop: Header=BB342_1056 Depth=1
	v_bfe_u32 v23, v22, 24, 7
	v_mov_b32_e32 v11, 0x7f800001
	s_mov_b32 s19, exec_lo
	v_cmpx_ne_u32_e32 0x7f, v23
	s_cbranch_execz .LBB342_1118
; %bb.1115:                             ;   in Loop: Header=BB342_1056 Depth=1
	v_mov_b32_e32 v11, 7
	v_lshrrev_b32_e32 v21, 3, v23
	v_cmp_gt_u32_e32 vcc_lo, 8, v23
	v_and_b32_sdwa v11, v22, v11 dst_sel:DWORD dst_unused:UNUSED_PAD src0_sel:BYTE_3 src1_sel:DWORD
	v_mov_b32_e32 v24, v12
	v_mov_b32_e32 v23, v11
	s_and_saveexec_b32 s20, vcc_lo
; %bb.1116:                             ;   in Loop: Header=BB342_1056 Depth=1
	v_ffbh_u32_e32 v21, v11
	v_min_u32_e32 v21, 32, v21
	v_subrev_nc_u32_e32 v23, 28, v21
	v_sub_nc_u32_e32 v21, 29, v21
	v_lshlrev_b64 v[23:24], v23, v[11:12]
	v_and_b32_e32 v23, 7, v23
; %bb.1117:                             ;   in Loop: Header=BB342_1056 Depth=1
	s_or_b32 exec_lo, exec_lo, s20
	v_mov_b32_e32 v11, 24
	v_lshl_add_u32 v21, v21, 23, 0x3c000000
	v_lshlrev_b32_sdwa v11, v11, v22 dst_sel:DWORD dst_unused:UNUSED_PAD src0_sel:DWORD src1_sel:BYTE_3
	v_lshlrev_b32_e32 v22, 20, v23
	v_and_b32_e32 v11, 0x80000000, v11
	v_or3_b32 v11, v22, v11, v21
.LBB342_1118:                           ;   in Loop: Header=BB342_1056 Depth=1
	s_or_b32 exec_lo, exec_lo, s19
.LBB342_1119:                           ;   in Loop: Header=BB342_1056 Depth=1
	s_or_b32 exec_lo, exec_lo, s18
.LBB342_1120:                           ;   in Loop: Header=BB342_1056 Depth=1
	s_or_b32 exec_lo, exec_lo, s5
	buffer_load_dword v21, off, s[0:3], s32 offset:204 ; 4-byte Folded Reload
	v_mul_f32_e32 v18, v64, v18
	v_mul_f32_e32 v14, v64, v14
	;; [unrolled: 1-line block ×5, first 2 shown]
	v_or_b32_e32 v22, 0x400000, v18
	v_bfe_u32 v23, v14, 16, 1
	v_cmp_u_f32_e64 s5, v18, v18
	v_or_b32_e32 v24, 0x400000, v14
	v_bfe_u32 v25, v13, 16, 1
	v_or_b32_e32 v28, 0x400000, v13
	v_add3_u32 v23, v23, v14, 0x7fff
	v_mul_f32_e32 v0, v64, v0
	v_mul_f32_e32 v11, v64, v11
	v_add_nc_u32_e32 v57, -7, v65
	v_add_nc_u32_e32 v63, -6, v65
	;; [unrolled: 1-line block ×7, first 2 shown]
	s_waitcnt vmcnt(0)
	v_add_nc_u32_e32 v21, -1, v21
	v_cmp_eq_u32_e32 vcc_lo, v21, v80
	v_bfe_u32 v21, v18, 16, 1
	v_add3_u32 v21, v21, v18, 0x7fff
	v_cndmask_b32_e64 v18, v21, v22, s5
	v_cmp_u_f32_e64 s5, v14, v14
	v_add3_u32 v22, v25, v13, 0x7fff
	v_bfe_u32 v21, v10, 16, 1
	v_lshrrev_b32_e32 v18, 16, v18
	v_cndmask_b32_e64 v14, v23, v24, s5
	v_cmp_u_f32_e64 s5, v13, v13
	v_or_b32_e32 v23, 0x400000, v11
	buffer_store_dword v18, off, s[0:3], s32 offset:212 ; 4-byte Folded Spill
	v_add3_u32 v18, v21, v10, 0x7fff
	v_cndmask_b32_e64 v13, v22, v28, s5
	v_or_b32_e32 v21, 0x400000, v10
	v_lshrrev_b32_e32 v14, 16, v14
	v_cmp_u_f32_e64 s5, v10, v10
	v_lshrrev_b32_e32 v13, 16, v13
	buffer_store_dword v14, off, s[0:3], s32 offset:200 ; 4-byte Folded Spill
	v_cndmask_b32_e64 v10, v18, v21, s5
	v_mul_f32_e32 v14, v64, v17
	buffer_store_dword v13, off, s[0:3], s32 offset:220 ; 4-byte Folded Spill
	v_bfe_u32 v13, v1, 16, 1
	v_or_b32_e32 v17, 0x400000, v1
	v_bfe_u32 v18, v0, 16, 1
	v_cmp_u_f32_e64 s5, v1, v1
	v_bfe_u32 v21, v14, 16, 1
	v_add3_u32 v13, v13, v1, 0x7fff
	v_or_b32_e32 v22, 0x400000, v14
	v_lshrrev_b32_e32 v10, 16, v10
	v_add3_u32 v21, v21, v14, 0x7fff
	v_cndmask_b32_e64 v1, v13, v17, s5
	v_add3_u32 v17, v18, v0, 0x7fff
	v_or_b32_e32 v18, 0x400000, v0
	v_cmp_u_f32_e64 s5, v0, v0
	v_bfe_u32 v13, v11, 16, 1
	v_lshrrev_b32_e32 v1, 16, v1
	buffer_store_dword v10, off, s[0:3], s32 offset:216 ; 4-byte Folded Spill
	v_cndmask_b32_e64 v0, v17, v18, s5
	v_cmp_u_f32_e64 s5, v14, v14
	v_add3_u32 v13, v13, v11, 0x7fff
	buffer_store_dword v1, off, s[0:3], s32 offset:228 ; 4-byte Folded Spill
	v_lshrrev_b32_e32 v0, 16, v0
	v_cndmask_b32_e64 v14, v21, v22, s5
	v_cmp_u_f32_e64 s5, v11, v11
	buffer_store_dword v0, off, s[0:3], s32 offset:224 ; 4-byte Folded Spill
	v_lshrrev_b32_e32 v0, 16, v14
	v_cndmask_b32_e64 v11, v13, v23, s5
	buffer_store_dword v0, off, s[0:3], s32 offset:192 ; 4-byte Folded Spill
	v_lshrrev_b32_e32 v0, 16, v11
	buffer_store_dword v0, off, s[0:3], s32 offset:208 ; 4-byte Folded Spill
	s_and_saveexec_b32 s18, vcc_lo
	s_cbranch_execz .LBB342_1122
; %bb.1121:                             ;   in Loop: Header=BB342_1056 Depth=1
	s_clause 0x1
	buffer_load_dword v0, off, s[0:3], s32 offset:196
	buffer_load_dword v1, off, s[0:3], s32 offset:224
	s_waitcnt vmcnt(1)
	v_cmp_lt_i32_e64 s5, v57, v0
	s_waitcnt vmcnt(0)
	v_cndmask_b32_e64 v1, 0, v1, s5
	v_cmp_lt_i32_e64 s5, v63, v0
	buffer_store_dword v1, off, s[0:3], s32 offset:224 ; 4-byte Folded Spill
	buffer_load_dword v1, off, s[0:3], s32 offset:228 ; 4-byte Folded Reload
	s_waitcnt vmcnt(0)
	v_cndmask_b32_e64 v1, 0, v1, s5
	v_cmp_lt_i32_e64 s5, v62, v0
	buffer_store_dword v1, off, s[0:3], s32 offset:228 ; 4-byte Folded Spill
	buffer_load_dword v1, off, s[0:3], s32 offset:216 ; 4-byte Folded Reload
	;; [unrolled: 5-line block ×6, first 2 shown]
	s_waitcnt vmcnt(0)
	v_cndmask_b32_e64 v1, 0, v1, s5
	v_cmp_lt_i32_e64 s5, v65, v0
	buffer_load_dword v0, off, s[0:3], s32 offset:208 ; 4-byte Folded Reload
	buffer_store_dword v1, off, s[0:3], s32 offset:192 ; 4-byte Folded Spill
	s_waitcnt vmcnt(0)
	v_cndmask_b32_e64 v0, 0, v0, s5
	buffer_store_dword v0, off, s[0:3], s32 offset:208 ; 4-byte Folded Spill
.LBB342_1122:                           ;   in Loop: Header=BB342_1056 Depth=1
	s_or_b32 exec_lo, exec_lo, s18
	flat_load_dwordx2 v[21:22], v[19:20] offset:256
	v_mov_b32_e32 v1, 0
	v_mov_b32_e32 v0, 0
	s_waitcnt vmcnt(0) lgkmcnt(0)
	v_cmp_ne_u16_sdwa s5, v21, v12 src0_sel:BYTE_0 src1_sel:DWORD
	s_and_saveexec_b32 s18, s5
	s_cbranch_execz .LBB342_1130
; %bb.1123:                             ;   in Loop: Header=BB342_1056 Depth=1
	v_cmp_ne_u16_sdwa s5, v21, v67 src0_sel:BYTE_0 src1_sel:DWORD
	v_bfrev_b32_e32 v0, 1
	s_and_saveexec_b32 s19, s5
	s_cbranch_execz .LBB342_1129
; %bb.1124:                             ;   in Loop: Header=BB342_1056 Depth=1
	v_and_b32_e32 v10, 0x7f, v21
	v_mov_b32_e32 v0, 0x7f800001
	s_mov_b32 s20, exec_lo
	v_cmpx_ne_u32_e32 0x7f, v10
	s_cbranch_execz .LBB342_1128
; %bb.1125:                             ;   in Loop: Header=BB342_1056 Depth=1
	v_lshrrev_b32_e32 v0, 3, v10
	v_cmp_gt_u32_e64 s5, 8, v10
	v_mov_b32_e32 v10, v21
	v_mov_b32_e32 v11, v22
	s_and_saveexec_b32 s21, s5
; %bb.1126:                             ;   in Loop: Header=BB342_1056 Depth=1
	v_and_b32_e32 v0, 7, v21
	v_ffbh_u32_e32 v0, v0
	v_min_u32_e32 v0, 32, v0
	v_subrev_nc_u32_e32 v10, 28, v0
	v_sub_nc_u32_e32 v0, 29, v0
	v_lshlrev_b64 v[10:11], v10, v[21:22]
; %bb.1127:                             ;   in Loop: Header=BB342_1056 Depth=1
	s_or_b32 exec_lo, exec_lo, s21
	v_lshlrev_b32_e32 v10, 20, v10
	v_lshlrev_b32_e32 v11, 24, v21
	v_lshl_add_u32 v0, v0, 23, 0x3c000000
	v_and_b32_e32 v10, 0x700000, v10
	v_and_b32_e32 v11, 0x80000000, v11
	v_or3_b32 v0, v10, v11, v0
.LBB342_1128:                           ;   in Loop: Header=BB342_1056 Depth=1
	s_or_b32 exec_lo, exec_lo, s20
.LBB342_1129:                           ;   in Loop: Header=BB342_1056 Depth=1
	s_or_b32 exec_lo, exec_lo, s19
.LBB342_1130:                           ;   in Loop: Header=BB342_1056 Depth=1
	s_or_b32 exec_lo, exec_lo, s18
	v_cmp_ne_u16_sdwa s5, v21, v12 src0_sel:BYTE_1 src1_sel:DWORD
	s_and_saveexec_b32 s18, s5
	s_cbranch_execz .LBB342_1138
; %bb.1131:                             ;   in Loop: Header=BB342_1056 Depth=1
	v_cmp_ne_u16_sdwa s5, v21, v67 src0_sel:BYTE_1 src1_sel:DWORD
	v_bfrev_b32_e32 v1, 1
	s_and_saveexec_b32 s19, s5
	s_cbranch_execz .LBB342_1137
; %bb.1132:                             ;   in Loop: Header=BB342_1056 Depth=1
	v_and_b32_sdwa v11, v94, v21 dst_sel:DWORD dst_unused:UNUSED_PAD src0_sel:DWORD src1_sel:BYTE_1
	v_mov_b32_e32 v1, 0x7f800001
	s_mov_b32 s20, exec_lo
	v_and_b32_e32 v10, 0x7f, v11
	v_cmpx_ne_u32_e32 0x7f, v10
	s_cbranch_execz .LBB342_1136
; %bb.1133:                             ;   in Loop: Header=BB342_1056 Depth=1
	v_and_b32_e32 v11, 7, v11
	v_mov_b32_e32 v24, v12
	v_lshrrev_b32_e32 v1, 3, v10
	s_mov_b32 s21, exec_lo
	v_mov_b32_e32 v23, v11
	v_cmpx_gt_u32_e32 8, v10
; %bb.1134:                             ;   in Loop: Header=BB342_1056 Depth=1
	v_ffbh_u32_e32 v1, v11
	v_min_u32_e32 v1, 32, v1
	v_subrev_nc_u32_e32 v10, 28, v1
	v_sub_nc_u32_e32 v1, 29, v1
	v_lshlrev_b64 v[10:11], v10, v[11:12]
	v_and_b32_e32 v23, 7, v10
; %bb.1135:                             ;   in Loop: Header=BB342_1056 Depth=1
	s_or_b32 exec_lo, exec_lo, s21
	v_lshlrev_b32_e32 v10, 16, v21
	v_lshlrev_b32_e32 v11, 20, v23
	v_lshl_add_u32 v1, v1, 23, 0x3c000000
	v_and_b32_e32 v10, 0x80000000, v10
	v_or3_b32 v1, v11, v10, v1
.LBB342_1136:                           ;   in Loop: Header=BB342_1056 Depth=1
	s_or_b32 exec_lo, exec_lo, s20
.LBB342_1137:                           ;   in Loop: Header=BB342_1056 Depth=1
	s_or_b32 exec_lo, exec_lo, s19
.LBB342_1138:                           ;   in Loop: Header=BB342_1056 Depth=1
	s_or_b32 exec_lo, exec_lo, s18
	v_and_b32_sdwa v11, v21, v69 dst_sel:DWORD dst_unused:UNUSED_PAD src0_sel:WORD_1 src1_sel:DWORD
	v_mov_b32_e32 v13, 0
	v_mov_b32_e32 v10, 0
	s_mov_b32 s18, exec_lo
	v_cmpx_ne_u16_e32 0, v11
	s_cbranch_execz .LBB342_1146
; %bb.1139:                             ;   in Loop: Header=BB342_1056 Depth=1
	v_bfrev_b32_e32 v10, 1
	s_mov_b32 s19, exec_lo
	v_cmpx_ne_u16_e32 0x80, v11
	s_cbranch_execz .LBB342_1145
; %bb.1140:                             ;   in Loop: Header=BB342_1056 Depth=1
	v_bfe_u32 v14, v21, 16, 7
	v_mov_b32_e32 v10, 0x7f800001
	s_mov_b32 s20, exec_lo
	v_cmpx_ne_u32_e32 0x7f, v14
	s_cbranch_execz .LBB342_1144
; %bb.1141:                             ;   in Loop: Header=BB342_1056 Depth=1
	v_mov_b32_e32 v10, 7
	s_mov_b32 s21, exec_lo
	v_and_b32_sdwa v11, v21, v10 dst_sel:DWORD dst_unused:UNUSED_PAD src0_sel:WORD_1 src1_sel:DWORD
	v_mov_b32_e32 v24, v12
	v_lshrrev_b32_e32 v10, 3, v14
	v_mov_b32_e32 v23, v11
	v_cmpx_gt_u32_e32 8, v14
; %bb.1142:                             ;   in Loop: Header=BB342_1056 Depth=1
	v_ffbh_u32_e32 v10, v11
	v_min_u32_e32 v10, 32, v10
	v_subrev_nc_u32_e32 v14, 28, v10
	v_sub_nc_u32_e32 v10, 29, v10
	v_lshlrev_b64 v[17:18], v14, v[11:12]
	v_and_b32_e32 v23, 7, v17
; %bb.1143:                             ;   in Loop: Header=BB342_1056 Depth=1
	s_or_b32 exec_lo, exec_lo, s21
	v_mov_b32_e32 v11, 24
	v_lshlrev_b32_e32 v14, 20, v23
	v_lshl_add_u32 v10, v10, 23, 0x3c000000
	v_lshlrev_b32_sdwa v11, v11, v21 dst_sel:DWORD dst_unused:UNUSED_PAD src0_sel:DWORD src1_sel:WORD_1
	v_and_b32_e32 v11, 0x80000000, v11
	v_or3_b32 v10, v14, v11, v10
.LBB342_1144:                           ;   in Loop: Header=BB342_1056 Depth=1
	s_or_b32 exec_lo, exec_lo, s20
.LBB342_1145:                           ;   in Loop: Header=BB342_1056 Depth=1
	s_or_b32 exec_lo, exec_lo, s19
.LBB342_1146:                           ;   in Loop: Header=BB342_1056 Depth=1
	s_or_b32 exec_lo, exec_lo, s18
	s_mov_b32 s18, exec_lo
	v_cmpx_lt_u32_e32 0xffffff, v21
	s_cbranch_execz .LBB342_1154
; %bb.1147:                             ;   in Loop: Header=BB342_1056 Depth=1
	v_cmp_ne_u32_sdwa s5, v21, v67 src0_sel:BYTE_3 src1_sel:DWORD
	v_bfrev_b32_e32 v13, 1
	s_and_saveexec_b32 s19, s5
	s_cbranch_execz .LBB342_1153
; %bb.1148:                             ;   in Loop: Header=BB342_1056 Depth=1
	v_bfe_u32 v14, v21, 24, 7
	v_mov_b32_e32 v13, 0x7f800001
	s_mov_b32 s20, exec_lo
	v_cmpx_ne_u32_e32 0x7f, v14
	s_cbranch_execz .LBB342_1152
; %bb.1149:                             ;   in Loop: Header=BB342_1056 Depth=1
	v_mov_b32_e32 v11, 7
	v_lshrrev_b32_e32 v13, 3, v14
	s_mov_b32 s21, exec_lo
	v_and_b32_sdwa v11, v21, v11 dst_sel:DWORD dst_unused:UNUSED_PAD src0_sel:BYTE_3 src1_sel:DWORD
	v_mov_b32_e32 v24, v12
	v_mov_b32_e32 v23, v11
	v_cmpx_gt_u32_e32 8, v14
; %bb.1150:                             ;   in Loop: Header=BB342_1056 Depth=1
	v_ffbh_u32_e32 v13, v11
	v_min_u32_e32 v13, 32, v13
	v_subrev_nc_u32_e32 v14, 28, v13
	v_sub_nc_u32_e32 v13, 29, v13
	v_lshlrev_b64 v[17:18], v14, v[11:12]
	v_and_b32_e32 v23, 7, v17
; %bb.1151:                             ;   in Loop: Header=BB342_1056 Depth=1
	s_or_b32 exec_lo, exec_lo, s21
	v_mov_b32_e32 v11, 24
	v_lshlrev_b32_e32 v14, 20, v23
	v_lshl_add_u32 v13, v13, 23, 0x3c000000
	v_lshlrev_b32_sdwa v11, v11, v21 dst_sel:DWORD dst_unused:UNUSED_PAD src0_sel:DWORD src1_sel:BYTE_3
	v_and_b32_e32 v11, 0x80000000, v11
	v_or3_b32 v13, v14, v11, v13
.LBB342_1152:                           ;   in Loop: Header=BB342_1056 Depth=1
	s_or_b32 exec_lo, exec_lo, s20
.LBB342_1153:                           ;   in Loop: Header=BB342_1056 Depth=1
	s_or_b32 exec_lo, exec_lo, s19
.LBB342_1154:                           ;   in Loop: Header=BB342_1056 Depth=1
	s_or_b32 exec_lo, exec_lo, s18
	v_mov_b32_e32 v11, v22
	v_cmp_ne_u16_sdwa s5, v22, v12 src0_sel:BYTE_0 src1_sel:DWORD
	v_mov_b32_e32 v17, 0
	v_mov_b32_e32 v14, 0
	s_and_saveexec_b32 s18, s5
	s_cbranch_execz .LBB342_1162
; %bb.1155:                             ;   in Loop: Header=BB342_1056 Depth=1
	v_cmp_ne_u16_sdwa s5, v22, v67 src0_sel:BYTE_0 src1_sel:DWORD
	v_bfrev_b32_e32 v14, 1
	s_and_saveexec_b32 s19, s5
	s_cbranch_execz .LBB342_1161
; %bb.1156:                             ;   in Loop: Header=BB342_1056 Depth=1
	v_and_b32_e32 v18, 0x7f, v22
	v_mov_b32_e32 v14, 0x7f800001
	s_mov_b32 s20, exec_lo
	v_cmpx_ne_u32_e32 0x7f, v18
	s_cbranch_execz .LBB342_1160
; %bb.1157:                             ;   in Loop: Header=BB342_1056 Depth=1
	v_mov_b32_e32 v24, v12
	v_lshrrev_b32_e32 v14, 3, v18
	v_mov_b32_e32 v23, v11
	s_mov_b32 s21, exec_lo
	v_cmpx_gt_u32_e32 8, v18
; %bb.1158:                             ;   in Loop: Header=BB342_1056 Depth=1
	v_and_b32_e32 v14, 7, v22
	v_ffbh_u32_e32 v14, v14
	v_min_u32_e32 v14, 32, v14
	v_subrev_nc_u32_e32 v18, 28, v14
	v_sub_nc_u32_e32 v14, 29, v14
	v_lshlrev_b64 v[23:24], v18, v[11:12]
; %bb.1159:                             ;   in Loop: Header=BB342_1056 Depth=1
	s_or_b32 exec_lo, exec_lo, s21
	v_lshlrev_b32_e32 v18, 20, v23
	v_lshlrev_b32_e32 v23, 24, v11
	v_lshl_add_u32 v14, v14, 23, 0x3c000000
	v_and_b32_e32 v18, 0x700000, v18
	v_and_b32_e32 v23, 0x80000000, v23
	v_or3_b32 v14, v18, v23, v14
.LBB342_1160:                           ;   in Loop: Header=BB342_1056 Depth=1
	s_or_b32 exec_lo, exec_lo, s20
.LBB342_1161:                           ;   in Loop: Header=BB342_1056 Depth=1
	s_or_b32 exec_lo, exec_lo, s19
.LBB342_1162:                           ;   in Loop: Header=BB342_1056 Depth=1
	s_or_b32 exec_lo, exec_lo, s18
	v_cmp_ne_u16_sdwa s5, v11, v12 src0_sel:BYTE_1 src1_sel:DWORD
	s_and_saveexec_b32 s18, s5
	s_cbranch_execz .LBB342_1170
; %bb.1163:                             ;   in Loop: Header=BB342_1056 Depth=1
	v_cmp_ne_u16_sdwa s5, v11, v67 src0_sel:BYTE_1 src1_sel:DWORD
	v_bfrev_b32_e32 v17, 1
	s_and_saveexec_b32 s19, s5
	s_cbranch_execz .LBB342_1169
; %bb.1164:                             ;   in Loop: Header=BB342_1056 Depth=1
	v_and_b32_sdwa v23, v94, v11 dst_sel:DWORD dst_unused:UNUSED_PAD src0_sel:DWORD src1_sel:BYTE_1
	v_mov_b32_e32 v17, 0x7f800001
	s_mov_b32 s20, exec_lo
	v_and_b32_e32 v18, 0x7f, v23
	v_cmpx_ne_u32_e32 0x7f, v18
	s_cbranch_execz .LBB342_1168
; %bb.1165:                             ;   in Loop: Header=BB342_1056 Depth=1
	v_and_b32_e32 v23, 7, v23
	v_mov_b32_e32 v24, v12
	v_lshrrev_b32_e32 v17, 3, v18
	s_mov_b32 s21, exec_lo
	v_cmpx_gt_u32_e32 8, v18
; %bb.1166:                             ;   in Loop: Header=BB342_1056 Depth=1
	v_ffbh_u32_e32 v17, v23
	v_min_u32_e32 v17, 32, v17
	v_subrev_nc_u32_e32 v18, 28, v17
	v_sub_nc_u32_e32 v17, 29, v17
	v_lshlrev_b64 v[23:24], v18, v[23:24]
	v_and_b32_e32 v23, 7, v23
; %bb.1167:                             ;   in Loop: Header=BB342_1056 Depth=1
	s_or_b32 exec_lo, exec_lo, s21
	v_lshlrev_b32_e32 v11, 16, v11
	v_lshlrev_b32_e32 v18, 20, v23
	v_lshl_add_u32 v17, v17, 23, 0x3c000000
	v_and_b32_e32 v11, 0x80000000, v11
	v_or3_b32 v17, v18, v11, v17
.LBB342_1168:                           ;   in Loop: Header=BB342_1056 Depth=1
	s_or_b32 exec_lo, exec_lo, s20
.LBB342_1169:                           ;   in Loop: Header=BB342_1056 Depth=1
	s_or_b32 exec_lo, exec_lo, s19
.LBB342_1170:                           ;   in Loop: Header=BB342_1056 Depth=1
	s_or_b32 exec_lo, exec_lo, s18
	v_and_b32_sdwa v11, v22, v69 dst_sel:DWORD dst_unused:UNUSED_PAD src0_sel:WORD_1 src1_sel:DWORD
	v_mov_b32_e32 v18, 0
	v_mov_b32_e32 v25, 0
	s_mov_b32 s18, exec_lo
	v_cmpx_ne_u16_e32 0, v11
	s_cbranch_execz .LBB342_1178
; %bb.1171:                             ;   in Loop: Header=BB342_1056 Depth=1
	v_bfrev_b32_e32 v25, 1
	s_mov_b32 s19, exec_lo
	v_cmpx_ne_u16_e32 0x80, v11
	s_cbranch_execz .LBB342_1177
; %bb.1172:                             ;   in Loop: Header=BB342_1056 Depth=1
	v_bfe_u32 v23, v22, 16, 7
	v_mov_b32_e32 v25, 0x7f800001
	s_mov_b32 s20, exec_lo
	v_cmpx_ne_u32_e32 0x7f, v23
	s_cbranch_execz .LBB342_1176
; %bb.1173:                             ;   in Loop: Header=BB342_1056 Depth=1
	v_mov_b32_e32 v11, 7
	v_lshrrev_b32_e32 v25, 3, v23
	v_cmp_gt_u32_e64 s5, 8, v23
	v_and_b32_sdwa v11, v22, v11 dst_sel:DWORD dst_unused:UNUSED_PAD src0_sel:WORD_1 src1_sel:DWORD
	v_mov_b32_e32 v24, v12
	v_mov_b32_e32 v23, v11
	s_and_saveexec_b32 s21, s5
; %bb.1174:                             ;   in Loop: Header=BB342_1056 Depth=1
	v_ffbh_u32_e32 v23, v11
	v_min_u32_e32 v25, 32, v23
	v_subrev_nc_u32_e32 v23, 28, v25
	v_sub_nc_u32_e32 v25, 29, v25
	v_lshlrev_b64 v[23:24], v23, v[11:12]
	v_and_b32_e32 v23, 7, v23
; %bb.1175:                             ;   in Loop: Header=BB342_1056 Depth=1
	s_or_b32 exec_lo, exec_lo, s21
	v_mov_b32_e32 v11, 24
	v_lshlrev_b32_e32 v23, 20, v23
	v_lshl_add_u32 v24, v25, 23, 0x3c000000
	v_lshlrev_b32_sdwa v11, v11, v22 dst_sel:DWORD dst_unused:UNUSED_PAD src0_sel:DWORD src1_sel:WORD_1
	v_and_b32_e32 v11, 0x80000000, v11
	v_or3_b32 v25, v23, v11, v24
.LBB342_1176:                           ;   in Loop: Header=BB342_1056 Depth=1
	s_or_b32 exec_lo, exec_lo, s20
.LBB342_1177:                           ;   in Loop: Header=BB342_1056 Depth=1
	s_or_b32 exec_lo, exec_lo, s19
.LBB342_1178:                           ;   in Loop: Header=BB342_1056 Depth=1
	s_or_b32 exec_lo, exec_lo, s18
	s_mov_b32 s18, exec_lo
	v_cmpx_lt_u64_e64 s[6:7], v[21:22]
	s_cbranch_execz .LBB342_1186
; %bb.1179:                             ;   in Loop: Header=BB342_1056 Depth=1
	v_cmp_ne_u32_sdwa s5, v22, v67 src0_sel:BYTE_3 src1_sel:DWORD
	v_bfrev_b32_e32 v18, 1
	s_and_saveexec_b32 s19, s5
	s_cbranch_execz .LBB342_1185
; %bb.1180:                             ;   in Loop: Header=BB342_1056 Depth=1
	v_bfe_u32 v21, v22, 24, 7
	v_mov_b32_e32 v18, 0x7f800001
	s_mov_b32 s20, exec_lo
	v_cmpx_ne_u32_e32 0x7f, v21
	s_cbranch_execz .LBB342_1184
; %bb.1181:                             ;   in Loop: Header=BB342_1056 Depth=1
	v_mov_b32_e32 v11, 7
	v_lshrrev_b32_e32 v18, 3, v21
	s_mov_b32 s21, exec_lo
	v_and_b32_sdwa v11, v22, v11 dst_sel:DWORD dst_unused:UNUSED_PAD src0_sel:BYTE_3 src1_sel:DWORD
	v_mov_b32_e32 v24, v12
	v_mov_b32_e32 v23, v11
	v_cmpx_gt_u32_e32 8, v21
; %bb.1182:                             ;   in Loop: Header=BB342_1056 Depth=1
	v_ffbh_u32_e32 v18, v11
	v_min_u32_e32 v18, 32, v18
	v_subrev_nc_u32_e32 v21, 28, v18
	v_sub_nc_u32_e32 v18, 29, v18
	v_lshlrev_b64 v[23:24], v21, v[11:12]
	v_and_b32_e32 v23, 7, v23
; %bb.1183:                             ;   in Loop: Header=BB342_1056 Depth=1
	s_or_b32 exec_lo, exec_lo, s21
	v_mov_b32_e32 v11, 24
	v_lshlrev_b32_e32 v21, 20, v23
	v_lshl_add_u32 v18, v18, 23, 0x3c000000
	v_lshlrev_b32_sdwa v11, v11, v22 dst_sel:DWORD dst_unused:UNUSED_PAD src0_sel:DWORD src1_sel:BYTE_3
	v_and_b32_e32 v11, 0x80000000, v11
	v_or3_b32 v18, v21, v11, v18
.LBB342_1184:                           ;   in Loop: Header=BB342_1056 Depth=1
	s_or_b32 exec_lo, exec_lo, s20
.LBB342_1185:                           ;   in Loop: Header=BB342_1056 Depth=1
	s_or_b32 exec_lo, exec_lo, s19
.LBB342_1186:                           ;   in Loop: Header=BB342_1056 Depth=1
	s_or_b32 exec_lo, exec_lo, s18
	v_mul_f32_e32 v11, v64, v17
	v_mul_f32_e32 v14, v64, v14
	;; [unrolled: 1-line block ×5, first 2 shown]
	v_bfe_u32 v17, v11, 16, 1
	v_or_b32_e32 v21, 0x400000, v11
	v_bfe_u32 v22, v14, 16, 1
	v_cmp_u_f32_e64 s5, v11, v11
	v_or_b32_e32 v23, 0x400000, v14
	v_add3_u32 v17, v17, v11, 0x7fff
	v_bfe_u32 v24, v13, 16, 1
	v_add3_u32 v22, v22, v14, 0x7fff
	v_or_b32_e32 v28, 0x400000, v13
	v_bfe_u32 v29, v10, 16, 1
	v_cndmask_b32_e64 v11, v17, v21, s5
	v_cmp_u_f32_e64 s5, v14, v14
	v_add3_u32 v24, v24, v13, 0x7fff
	v_or_b32_e32 v17, 0x400000, v10
	v_mul_f32_e32 v0, v64, v0
	v_lshrrev_b32_e32 v11, 16, v11
	v_cndmask_b32_e64 v14, v22, v23, s5
	v_cmp_u_f32_e64 s5, v13, v13
	buffer_store_dword v11, off, s[0:3], s32 offset:244 ; 4-byte Folded Spill
	v_add3_u32 v11, v29, v10, 0x7fff
	v_cndmask_b32_e64 v13, v24, v28, s5
	v_lshrrev_b32_e32 v14, 16, v14
	v_cmp_u_f32_e64 s5, v10, v10
	v_lshrrev_b32_e32 v13, 16, v13
	buffer_store_dword v14, off, s[0:3], s32 offset:240 ; 4-byte Folded Spill
	v_cndmask_b32_e64 v10, v11, v17, s5
	v_mul_f32_e32 v11, v64, v25
	v_or_b32_e32 v14, 0x400000, v1
	buffer_store_dword v13, off, s[0:3], s32 offset:252 ; 4-byte Folded Spill
	v_bfe_u32 v13, v1, 16, 1
	v_mul_f32_e32 v17, v64, v18
	v_bfe_u32 v18, v0, 16, 1
	v_cmp_u_f32_e64 s5, v1, v1
	v_bfe_u32 v21, v11, 16, 1
	v_add3_u32 v13, v13, v1, 0x7fff
	v_or_b32_e32 v22, 0x400000, v11
	v_or_b32_e32 v23, 0x400000, v17
	v_lshrrev_b32_e32 v10, 16, v10
	v_add3_u32 v21, v21, v11, 0x7fff
	v_cndmask_b32_e64 v1, v13, v14, s5
	v_add3_u32 v14, v18, v0, 0x7fff
	v_or_b32_e32 v18, 0x400000, v0
	v_cmp_u_f32_e64 s5, v0, v0
	v_bfe_u32 v13, v17, 16, 1
	v_lshrrev_b32_e32 v1, 16, v1
	buffer_store_dword v10, off, s[0:3], s32 offset:248 ; 4-byte Folded Spill
	v_cndmask_b32_e64 v0, v14, v18, s5
	v_cmp_u_f32_e64 s5, v11, v11
	v_add3_u32 v13, v13, v17, 0x7fff
	buffer_store_dword v1, off, s[0:3], s32 offset:264 ; 4-byte Folded Spill
	v_lshrrev_b32_e32 v0, 16, v0
	v_cndmask_b32_e64 v11, v21, v22, s5
	v_cmp_u_f32_e64 s5, v17, v17
	buffer_store_dword v0, off, s[0:3], s32 offset:260 ; 4-byte Folded Spill
	v_lshrrev_b32_e32 v0, 16, v11
	v_cndmask_b32_e64 v13, v13, v23, s5
	buffer_store_dword v0, off, s[0:3], s32 offset:232 ; 4-byte Folded Spill
	v_lshrrev_b32_e32 v0, 16, v13
	buffer_store_dword v0, off, s[0:3], s32 offset:236 ; 4-byte Folded Spill
	s_and_saveexec_b32 s18, vcc_lo
	s_cbranch_execz .LBB342_1188
; %bb.1187:                             ;   in Loop: Header=BB342_1056 Depth=1
	s_clause 0x1
	buffer_load_dword v0, off, s[0:3], s32 offset:196
	buffer_load_dword v1, off, s[0:3], s32 offset:260
	s_waitcnt vmcnt(1)
	v_cmp_lt_i32_e64 s5, v57, v0
	s_waitcnt vmcnt(0)
	v_cndmask_b32_e64 v1, 0, v1, s5
	v_cmp_lt_i32_e64 s5, v63, v0
	buffer_store_dword v1, off, s[0:3], s32 offset:260 ; 4-byte Folded Spill
	buffer_load_dword v1, off, s[0:3], s32 offset:264 ; 4-byte Folded Reload
	s_waitcnt vmcnt(0)
	v_cndmask_b32_e64 v1, 0, v1, s5
	v_cmp_lt_i32_e64 s5, v62, v0
	buffer_store_dword v1, off, s[0:3], s32 offset:264 ; 4-byte Folded Spill
	buffer_load_dword v1, off, s[0:3], s32 offset:248 ; 4-byte Folded Reload
	;; [unrolled: 5-line block ×6, first 2 shown]
	s_waitcnt vmcnt(0)
	v_cndmask_b32_e64 v1, 0, v1, s5
	v_cmp_lt_i32_e64 s5, v65, v0
	buffer_load_dword v0, off, s[0:3], s32 offset:236 ; 4-byte Folded Reload
	buffer_store_dword v1, off, s[0:3], s32 offset:232 ; 4-byte Folded Spill
	s_waitcnt vmcnt(0)
	v_cndmask_b32_e64 v0, 0, v0, s5
	buffer_store_dword v0, off, s[0:3], s32 offset:236 ; 4-byte Folded Spill
.LBB342_1188:                           ;   in Loop: Header=BB342_1056 Depth=1
	s_or_b32 exec_lo, exec_lo, s18
	flat_load_dwordx2 v[21:22], v[19:20] offset:512
	v_mov_b32_e32 v1, 0
	v_mov_b32_e32 v0, 0
	s_waitcnt vmcnt(0) lgkmcnt(0)
	v_cmp_ne_u16_sdwa s5, v21, v12 src0_sel:BYTE_0 src1_sel:DWORD
	s_and_saveexec_b32 s18, s5
	s_cbranch_execz .LBB342_1196
; %bb.1189:                             ;   in Loop: Header=BB342_1056 Depth=1
	v_cmp_ne_u16_sdwa s5, v21, v67 src0_sel:BYTE_0 src1_sel:DWORD
	v_bfrev_b32_e32 v0, 1
	s_and_saveexec_b32 s19, s5
	s_cbranch_execz .LBB342_1195
; %bb.1190:                             ;   in Loop: Header=BB342_1056 Depth=1
	v_and_b32_e32 v10, 0x7f, v21
	v_mov_b32_e32 v0, 0x7f800001
	s_mov_b32 s20, exec_lo
	v_cmpx_ne_u32_e32 0x7f, v10
	s_cbranch_execz .LBB342_1194
; %bb.1191:                             ;   in Loop: Header=BB342_1056 Depth=1
	v_lshrrev_b32_e32 v0, 3, v10
	v_cmp_gt_u32_e64 s5, 8, v10
	v_mov_b32_e32 v10, v21
	v_mov_b32_e32 v11, v22
	s_and_saveexec_b32 s21, s5
; %bb.1192:                             ;   in Loop: Header=BB342_1056 Depth=1
	v_and_b32_e32 v0, 7, v21
	v_ffbh_u32_e32 v0, v0
	v_min_u32_e32 v0, 32, v0
	v_subrev_nc_u32_e32 v10, 28, v0
	v_sub_nc_u32_e32 v0, 29, v0
	v_lshlrev_b64 v[10:11], v10, v[21:22]
; %bb.1193:                             ;   in Loop: Header=BB342_1056 Depth=1
	s_or_b32 exec_lo, exec_lo, s21
	v_lshlrev_b32_e32 v10, 20, v10
	v_lshlrev_b32_e32 v11, 24, v21
	v_lshl_add_u32 v0, v0, 23, 0x3c000000
	v_and_b32_e32 v10, 0x700000, v10
	v_and_b32_e32 v11, 0x80000000, v11
	v_or3_b32 v0, v10, v11, v0
.LBB342_1194:                           ;   in Loop: Header=BB342_1056 Depth=1
	s_or_b32 exec_lo, exec_lo, s20
.LBB342_1195:                           ;   in Loop: Header=BB342_1056 Depth=1
	s_or_b32 exec_lo, exec_lo, s19
.LBB342_1196:                           ;   in Loop: Header=BB342_1056 Depth=1
	s_or_b32 exec_lo, exec_lo, s18
	v_cmp_ne_u16_sdwa s5, v21, v12 src0_sel:BYTE_1 src1_sel:DWORD
	s_and_saveexec_b32 s18, s5
	s_cbranch_execz .LBB342_1204
; %bb.1197:                             ;   in Loop: Header=BB342_1056 Depth=1
	v_cmp_ne_u16_sdwa s5, v21, v67 src0_sel:BYTE_1 src1_sel:DWORD
	v_bfrev_b32_e32 v1, 1
	s_and_saveexec_b32 s19, s5
	s_cbranch_execz .LBB342_1203
; %bb.1198:                             ;   in Loop: Header=BB342_1056 Depth=1
	v_and_b32_sdwa v11, v94, v21 dst_sel:DWORD dst_unused:UNUSED_PAD src0_sel:DWORD src1_sel:BYTE_1
	v_mov_b32_e32 v1, 0x7f800001
	s_mov_b32 s20, exec_lo
	v_and_b32_e32 v10, 0x7f, v11
	v_cmpx_ne_u32_e32 0x7f, v10
	s_cbranch_execz .LBB342_1202
; %bb.1199:                             ;   in Loop: Header=BB342_1056 Depth=1
	v_and_b32_e32 v11, 7, v11
	v_mov_b32_e32 v24, v12
	v_lshrrev_b32_e32 v1, 3, v10
	s_mov_b32 s21, exec_lo
	v_mov_b32_e32 v23, v11
	v_cmpx_gt_u32_e32 8, v10
; %bb.1200:                             ;   in Loop: Header=BB342_1056 Depth=1
	v_ffbh_u32_e32 v1, v11
	v_min_u32_e32 v1, 32, v1
	v_subrev_nc_u32_e32 v10, 28, v1
	v_sub_nc_u32_e32 v1, 29, v1
	v_lshlrev_b64 v[10:11], v10, v[11:12]
	v_and_b32_e32 v23, 7, v10
; %bb.1201:                             ;   in Loop: Header=BB342_1056 Depth=1
	s_or_b32 exec_lo, exec_lo, s21
	v_lshlrev_b32_e32 v10, 16, v21
	v_lshlrev_b32_e32 v11, 20, v23
	v_lshl_add_u32 v1, v1, 23, 0x3c000000
	v_and_b32_e32 v10, 0x80000000, v10
	v_or3_b32 v1, v11, v10, v1
.LBB342_1202:                           ;   in Loop: Header=BB342_1056 Depth=1
	s_or_b32 exec_lo, exec_lo, s20
.LBB342_1203:                           ;   in Loop: Header=BB342_1056 Depth=1
	s_or_b32 exec_lo, exec_lo, s19
.LBB342_1204:                           ;   in Loop: Header=BB342_1056 Depth=1
	s_or_b32 exec_lo, exec_lo, s18
	v_and_b32_sdwa v11, v21, v69 dst_sel:DWORD dst_unused:UNUSED_PAD src0_sel:WORD_1 src1_sel:DWORD
	v_mov_b32_e32 v13, 0
	v_mov_b32_e32 v10, 0
	s_mov_b32 s18, exec_lo
	v_cmpx_ne_u16_e32 0, v11
	s_cbranch_execz .LBB342_1212
; %bb.1205:                             ;   in Loop: Header=BB342_1056 Depth=1
	v_bfrev_b32_e32 v10, 1
	s_mov_b32 s19, exec_lo
	v_cmpx_ne_u16_e32 0x80, v11
	s_cbranch_execz .LBB342_1211
; %bb.1206:                             ;   in Loop: Header=BB342_1056 Depth=1
	v_bfe_u32 v14, v21, 16, 7
	v_mov_b32_e32 v10, 0x7f800001
	s_mov_b32 s20, exec_lo
	v_cmpx_ne_u32_e32 0x7f, v14
	s_cbranch_execz .LBB342_1210
; %bb.1207:                             ;   in Loop: Header=BB342_1056 Depth=1
	v_mov_b32_e32 v10, 7
	s_mov_b32 s21, exec_lo
	v_and_b32_sdwa v11, v21, v10 dst_sel:DWORD dst_unused:UNUSED_PAD src0_sel:WORD_1 src1_sel:DWORD
	v_mov_b32_e32 v24, v12
	v_lshrrev_b32_e32 v10, 3, v14
	v_mov_b32_e32 v23, v11
	v_cmpx_gt_u32_e32 8, v14
; %bb.1208:                             ;   in Loop: Header=BB342_1056 Depth=1
	v_ffbh_u32_e32 v10, v11
	v_min_u32_e32 v10, 32, v10
	v_subrev_nc_u32_e32 v14, 28, v10
	v_sub_nc_u32_e32 v10, 29, v10
	v_lshlrev_b64 v[17:18], v14, v[11:12]
	v_and_b32_e32 v23, 7, v17
; %bb.1209:                             ;   in Loop: Header=BB342_1056 Depth=1
	s_or_b32 exec_lo, exec_lo, s21
	v_mov_b32_e32 v11, 24
	v_lshlrev_b32_e32 v14, 20, v23
	v_lshl_add_u32 v10, v10, 23, 0x3c000000
	v_lshlrev_b32_sdwa v11, v11, v21 dst_sel:DWORD dst_unused:UNUSED_PAD src0_sel:DWORD src1_sel:WORD_1
	v_and_b32_e32 v11, 0x80000000, v11
	v_or3_b32 v10, v14, v11, v10
.LBB342_1210:                           ;   in Loop: Header=BB342_1056 Depth=1
	s_or_b32 exec_lo, exec_lo, s20
.LBB342_1211:                           ;   in Loop: Header=BB342_1056 Depth=1
	s_or_b32 exec_lo, exec_lo, s19
.LBB342_1212:                           ;   in Loop: Header=BB342_1056 Depth=1
	s_or_b32 exec_lo, exec_lo, s18
	s_mov_b32 s18, exec_lo
	v_cmpx_lt_u32_e32 0xffffff, v21
	s_cbranch_execz .LBB342_1220
; %bb.1213:                             ;   in Loop: Header=BB342_1056 Depth=1
	v_cmp_ne_u32_sdwa s5, v21, v67 src0_sel:BYTE_3 src1_sel:DWORD
	v_bfrev_b32_e32 v13, 1
	s_and_saveexec_b32 s19, s5
	s_cbranch_execz .LBB342_1219
; %bb.1214:                             ;   in Loop: Header=BB342_1056 Depth=1
	v_bfe_u32 v14, v21, 24, 7
	v_mov_b32_e32 v13, 0x7f800001
	s_mov_b32 s20, exec_lo
	v_cmpx_ne_u32_e32 0x7f, v14
	s_cbranch_execz .LBB342_1218
; %bb.1215:                             ;   in Loop: Header=BB342_1056 Depth=1
	v_mov_b32_e32 v11, 7
	v_lshrrev_b32_e32 v13, 3, v14
	s_mov_b32 s21, exec_lo
	v_and_b32_sdwa v11, v21, v11 dst_sel:DWORD dst_unused:UNUSED_PAD src0_sel:BYTE_3 src1_sel:DWORD
	v_mov_b32_e32 v24, v12
	v_mov_b32_e32 v23, v11
	v_cmpx_gt_u32_e32 8, v14
; %bb.1216:                             ;   in Loop: Header=BB342_1056 Depth=1
	v_ffbh_u32_e32 v13, v11
	v_min_u32_e32 v13, 32, v13
	v_subrev_nc_u32_e32 v14, 28, v13
	v_sub_nc_u32_e32 v13, 29, v13
	v_lshlrev_b64 v[17:18], v14, v[11:12]
	v_and_b32_e32 v23, 7, v17
; %bb.1217:                             ;   in Loop: Header=BB342_1056 Depth=1
	s_or_b32 exec_lo, exec_lo, s21
	v_mov_b32_e32 v11, 24
	v_lshlrev_b32_e32 v14, 20, v23
	v_lshl_add_u32 v13, v13, 23, 0x3c000000
	v_lshlrev_b32_sdwa v11, v11, v21 dst_sel:DWORD dst_unused:UNUSED_PAD src0_sel:DWORD src1_sel:BYTE_3
	v_and_b32_e32 v11, 0x80000000, v11
	v_or3_b32 v13, v14, v11, v13
.LBB342_1218:                           ;   in Loop: Header=BB342_1056 Depth=1
	s_or_b32 exec_lo, exec_lo, s20
.LBB342_1219:                           ;   in Loop: Header=BB342_1056 Depth=1
	s_or_b32 exec_lo, exec_lo, s19
.LBB342_1220:                           ;   in Loop: Header=BB342_1056 Depth=1
	s_or_b32 exec_lo, exec_lo, s18
	v_mov_b32_e32 v11, v22
	v_cmp_ne_u16_sdwa s5, v22, v12 src0_sel:BYTE_0 src1_sel:DWORD
	v_mov_b32_e32 v17, 0
	v_mov_b32_e32 v14, 0
	s_and_saveexec_b32 s18, s5
	s_cbranch_execz .LBB342_1228
; %bb.1221:                             ;   in Loop: Header=BB342_1056 Depth=1
	v_cmp_ne_u16_sdwa s5, v22, v67 src0_sel:BYTE_0 src1_sel:DWORD
	v_bfrev_b32_e32 v14, 1
	s_and_saveexec_b32 s19, s5
	s_cbranch_execz .LBB342_1227
; %bb.1222:                             ;   in Loop: Header=BB342_1056 Depth=1
	v_and_b32_e32 v18, 0x7f, v22
	v_mov_b32_e32 v14, 0x7f800001
	s_mov_b32 s20, exec_lo
	v_cmpx_ne_u32_e32 0x7f, v18
	s_cbranch_execz .LBB342_1226
; %bb.1223:                             ;   in Loop: Header=BB342_1056 Depth=1
	v_mov_b32_e32 v24, v12
	v_lshrrev_b32_e32 v14, 3, v18
	v_mov_b32_e32 v23, v11
	s_mov_b32 s21, exec_lo
	v_cmpx_gt_u32_e32 8, v18
; %bb.1224:                             ;   in Loop: Header=BB342_1056 Depth=1
	v_and_b32_e32 v14, 7, v22
	v_ffbh_u32_e32 v14, v14
	v_min_u32_e32 v14, 32, v14
	v_subrev_nc_u32_e32 v18, 28, v14
	v_sub_nc_u32_e32 v14, 29, v14
	v_lshlrev_b64 v[23:24], v18, v[11:12]
; %bb.1225:                             ;   in Loop: Header=BB342_1056 Depth=1
	s_or_b32 exec_lo, exec_lo, s21
	v_lshlrev_b32_e32 v18, 20, v23
	v_lshlrev_b32_e32 v23, 24, v11
	v_lshl_add_u32 v14, v14, 23, 0x3c000000
	v_and_b32_e32 v18, 0x700000, v18
	v_and_b32_e32 v23, 0x80000000, v23
	v_or3_b32 v14, v18, v23, v14
.LBB342_1226:                           ;   in Loop: Header=BB342_1056 Depth=1
	s_or_b32 exec_lo, exec_lo, s20
.LBB342_1227:                           ;   in Loop: Header=BB342_1056 Depth=1
	s_or_b32 exec_lo, exec_lo, s19
.LBB342_1228:                           ;   in Loop: Header=BB342_1056 Depth=1
	s_or_b32 exec_lo, exec_lo, s18
	v_cmp_ne_u16_sdwa s5, v11, v12 src0_sel:BYTE_1 src1_sel:DWORD
	s_and_saveexec_b32 s18, s5
	s_cbranch_execz .LBB342_1236
; %bb.1229:                             ;   in Loop: Header=BB342_1056 Depth=1
	v_cmp_ne_u16_sdwa s5, v11, v67 src0_sel:BYTE_1 src1_sel:DWORD
	v_bfrev_b32_e32 v17, 1
	s_and_saveexec_b32 s19, s5
	s_cbranch_execz .LBB342_1235
; %bb.1230:                             ;   in Loop: Header=BB342_1056 Depth=1
	v_and_b32_sdwa v23, v94, v11 dst_sel:DWORD dst_unused:UNUSED_PAD src0_sel:DWORD src1_sel:BYTE_1
	v_mov_b32_e32 v17, 0x7f800001
	s_mov_b32 s20, exec_lo
	v_and_b32_e32 v18, 0x7f, v23
	v_cmpx_ne_u32_e32 0x7f, v18
	s_cbranch_execz .LBB342_1234
; %bb.1231:                             ;   in Loop: Header=BB342_1056 Depth=1
	v_and_b32_e32 v23, 7, v23
	v_mov_b32_e32 v24, v12
	v_lshrrev_b32_e32 v17, 3, v18
	s_mov_b32 s21, exec_lo
	v_cmpx_gt_u32_e32 8, v18
; %bb.1232:                             ;   in Loop: Header=BB342_1056 Depth=1
	v_ffbh_u32_e32 v17, v23
	v_min_u32_e32 v17, 32, v17
	v_subrev_nc_u32_e32 v18, 28, v17
	v_sub_nc_u32_e32 v17, 29, v17
	v_lshlrev_b64 v[23:24], v18, v[23:24]
	v_and_b32_e32 v23, 7, v23
; %bb.1233:                             ;   in Loop: Header=BB342_1056 Depth=1
	s_or_b32 exec_lo, exec_lo, s21
	v_lshlrev_b32_e32 v11, 16, v11
	v_lshlrev_b32_e32 v18, 20, v23
	v_lshl_add_u32 v17, v17, 23, 0x3c000000
	v_and_b32_e32 v11, 0x80000000, v11
	v_or3_b32 v17, v18, v11, v17
.LBB342_1234:                           ;   in Loop: Header=BB342_1056 Depth=1
	s_or_b32 exec_lo, exec_lo, s20
.LBB342_1235:                           ;   in Loop: Header=BB342_1056 Depth=1
	s_or_b32 exec_lo, exec_lo, s19
.LBB342_1236:                           ;   in Loop: Header=BB342_1056 Depth=1
	s_or_b32 exec_lo, exec_lo, s18
	v_and_b32_sdwa v11, v22, v69 dst_sel:DWORD dst_unused:UNUSED_PAD src0_sel:WORD_1 src1_sel:DWORD
	v_mov_b32_e32 v18, 0
	v_mov_b32_e32 v25, 0
	s_mov_b32 s18, exec_lo
	v_cmpx_ne_u16_e32 0, v11
	s_cbranch_execz .LBB342_1244
; %bb.1237:                             ;   in Loop: Header=BB342_1056 Depth=1
	v_bfrev_b32_e32 v25, 1
	s_mov_b32 s19, exec_lo
	v_cmpx_ne_u16_e32 0x80, v11
	s_cbranch_execz .LBB342_1243
; %bb.1238:                             ;   in Loop: Header=BB342_1056 Depth=1
	v_bfe_u32 v23, v22, 16, 7
	v_mov_b32_e32 v25, 0x7f800001
	s_mov_b32 s20, exec_lo
	v_cmpx_ne_u32_e32 0x7f, v23
	s_cbranch_execz .LBB342_1242
; %bb.1239:                             ;   in Loop: Header=BB342_1056 Depth=1
	v_mov_b32_e32 v11, 7
	v_lshrrev_b32_e32 v25, 3, v23
	v_cmp_gt_u32_e64 s5, 8, v23
	v_and_b32_sdwa v11, v22, v11 dst_sel:DWORD dst_unused:UNUSED_PAD src0_sel:WORD_1 src1_sel:DWORD
	v_mov_b32_e32 v24, v12
	v_mov_b32_e32 v23, v11
	s_and_saveexec_b32 s21, s5
; %bb.1240:                             ;   in Loop: Header=BB342_1056 Depth=1
	v_ffbh_u32_e32 v23, v11
	v_min_u32_e32 v25, 32, v23
	v_subrev_nc_u32_e32 v23, 28, v25
	v_sub_nc_u32_e32 v25, 29, v25
	v_lshlrev_b64 v[23:24], v23, v[11:12]
	v_and_b32_e32 v23, 7, v23
; %bb.1241:                             ;   in Loop: Header=BB342_1056 Depth=1
	s_or_b32 exec_lo, exec_lo, s21
	v_mov_b32_e32 v11, 24
	v_lshlrev_b32_e32 v23, 20, v23
	v_lshl_add_u32 v24, v25, 23, 0x3c000000
	v_lshlrev_b32_sdwa v11, v11, v22 dst_sel:DWORD dst_unused:UNUSED_PAD src0_sel:DWORD src1_sel:WORD_1
	v_and_b32_e32 v11, 0x80000000, v11
	v_or3_b32 v25, v23, v11, v24
.LBB342_1242:                           ;   in Loop: Header=BB342_1056 Depth=1
	s_or_b32 exec_lo, exec_lo, s20
.LBB342_1243:                           ;   in Loop: Header=BB342_1056 Depth=1
	s_or_b32 exec_lo, exec_lo, s19
.LBB342_1244:                           ;   in Loop: Header=BB342_1056 Depth=1
	s_or_b32 exec_lo, exec_lo, s18
	s_mov_b32 s18, exec_lo
	v_cmpx_lt_u64_e64 s[6:7], v[21:22]
	s_cbranch_execz .LBB342_1252
; %bb.1245:                             ;   in Loop: Header=BB342_1056 Depth=1
	v_cmp_ne_u32_sdwa s5, v22, v67 src0_sel:BYTE_3 src1_sel:DWORD
	v_bfrev_b32_e32 v18, 1
	s_and_saveexec_b32 s19, s5
	s_cbranch_execz .LBB342_1251
; %bb.1246:                             ;   in Loop: Header=BB342_1056 Depth=1
	v_bfe_u32 v21, v22, 24, 7
	v_mov_b32_e32 v18, 0x7f800001
	s_mov_b32 s20, exec_lo
	v_cmpx_ne_u32_e32 0x7f, v21
	s_cbranch_execz .LBB342_1250
; %bb.1247:                             ;   in Loop: Header=BB342_1056 Depth=1
	v_mov_b32_e32 v11, 7
	v_lshrrev_b32_e32 v18, 3, v21
	s_mov_b32 s21, exec_lo
	v_and_b32_sdwa v11, v22, v11 dst_sel:DWORD dst_unused:UNUSED_PAD src0_sel:BYTE_3 src1_sel:DWORD
	v_mov_b32_e32 v24, v12
	v_mov_b32_e32 v23, v11
	v_cmpx_gt_u32_e32 8, v21
; %bb.1248:                             ;   in Loop: Header=BB342_1056 Depth=1
	v_ffbh_u32_e32 v18, v11
	v_min_u32_e32 v18, 32, v18
	v_subrev_nc_u32_e32 v21, 28, v18
	v_sub_nc_u32_e32 v18, 29, v18
	v_lshlrev_b64 v[23:24], v21, v[11:12]
	v_and_b32_e32 v23, 7, v23
; %bb.1249:                             ;   in Loop: Header=BB342_1056 Depth=1
	s_or_b32 exec_lo, exec_lo, s21
	v_mov_b32_e32 v11, 24
	v_lshlrev_b32_e32 v21, 20, v23
	v_lshl_add_u32 v18, v18, 23, 0x3c000000
	v_lshlrev_b32_sdwa v11, v11, v22 dst_sel:DWORD dst_unused:UNUSED_PAD src0_sel:DWORD src1_sel:BYTE_3
	v_and_b32_e32 v11, 0x80000000, v11
	v_or3_b32 v18, v21, v11, v18
.LBB342_1250:                           ;   in Loop: Header=BB342_1056 Depth=1
	s_or_b32 exec_lo, exec_lo, s20
.LBB342_1251:                           ;   in Loop: Header=BB342_1056 Depth=1
	s_or_b32 exec_lo, exec_lo, s19
.LBB342_1252:                           ;   in Loop: Header=BB342_1056 Depth=1
	s_or_b32 exec_lo, exec_lo, s18
	v_mul_f32_e32 v11, v64, v17
	v_mul_f32_e32 v14, v64, v14
	;; [unrolled: 1-line block ×5, first 2 shown]
	v_bfe_u32 v17, v11, 16, 1
	v_or_b32_e32 v21, 0x400000, v11
	v_bfe_u32 v22, v14, 16, 1
	v_cmp_u_f32_e64 s5, v11, v11
	v_or_b32_e32 v23, 0x400000, v14
	v_add3_u32 v17, v17, v11, 0x7fff
	v_bfe_u32 v24, v13, 16, 1
	v_add3_u32 v22, v22, v14, 0x7fff
	v_or_b32_e32 v28, 0x400000, v13
	v_bfe_u32 v29, v10, 16, 1
	v_cndmask_b32_e64 v11, v17, v21, s5
	v_cmp_u_f32_e64 s5, v14, v14
	v_add3_u32 v24, v24, v13, 0x7fff
	v_or_b32_e32 v17, 0x400000, v10
	v_mul_f32_e32 v0, v64, v0
	v_lshrrev_b32_e32 v11, 16, v11
	v_cndmask_b32_e64 v14, v22, v23, s5
	v_cmp_u_f32_e64 s5, v13, v13
	buffer_store_dword v11, off, s[0:3], s32 offset:280 ; 4-byte Folded Spill
	v_add3_u32 v11, v29, v10, 0x7fff
	v_cndmask_b32_e64 v13, v24, v28, s5
	v_lshrrev_b32_e32 v14, 16, v14
	v_cmp_u_f32_e64 s5, v10, v10
	v_lshrrev_b32_e32 v13, 16, v13
	buffer_store_dword v14, off, s[0:3], s32 offset:276 ; 4-byte Folded Spill
	v_cndmask_b32_e64 v10, v11, v17, s5
	v_mul_f32_e32 v11, v64, v25
	v_or_b32_e32 v14, 0x400000, v1
	buffer_store_dword v13, off, s[0:3], s32 offset:288 ; 4-byte Folded Spill
	v_bfe_u32 v13, v1, 16, 1
	v_mul_f32_e32 v17, v64, v18
	v_bfe_u32 v18, v0, 16, 1
	v_cmp_u_f32_e64 s5, v1, v1
	v_bfe_u32 v21, v11, 16, 1
	v_add3_u32 v13, v13, v1, 0x7fff
	v_or_b32_e32 v22, 0x400000, v11
	v_or_b32_e32 v23, 0x400000, v17
	v_lshrrev_b32_e32 v10, 16, v10
	v_add3_u32 v21, v21, v11, 0x7fff
	v_cndmask_b32_e64 v1, v13, v14, s5
	v_add3_u32 v14, v18, v0, 0x7fff
	v_or_b32_e32 v18, 0x400000, v0
	v_cmp_u_f32_e64 s5, v0, v0
	v_bfe_u32 v13, v17, 16, 1
	v_lshrrev_b32_e32 v1, 16, v1
	buffer_store_dword v10, off, s[0:3], s32 offset:284 ; 4-byte Folded Spill
	v_cndmask_b32_e64 v0, v14, v18, s5
	v_cmp_u_f32_e64 s5, v11, v11
	v_add3_u32 v13, v13, v17, 0x7fff
	buffer_store_dword v1, off, s[0:3], s32 offset:296 ; 4-byte Folded Spill
	v_lshrrev_b32_e32 v0, 16, v0
	v_cndmask_b32_e64 v11, v21, v22, s5
	v_cmp_u_f32_e64 s5, v17, v17
	buffer_store_dword v0, off, s[0:3], s32 offset:292 ; 4-byte Folded Spill
	v_lshrrev_b32_e32 v0, 16, v11
	v_cndmask_b32_e64 v13, v13, v23, s5
	buffer_store_dword v0, off, s[0:3], s32 offset:268 ; 4-byte Folded Spill
	v_lshrrev_b32_e32 v0, 16, v13
	buffer_store_dword v0, off, s[0:3], s32 offset:272 ; 4-byte Folded Spill
	s_and_saveexec_b32 s18, vcc_lo
	s_cbranch_execz .LBB342_1254
; %bb.1253:                             ;   in Loop: Header=BB342_1056 Depth=1
	s_clause 0x1
	buffer_load_dword v0, off, s[0:3], s32 offset:196
	buffer_load_dword v1, off, s[0:3], s32 offset:292
	s_waitcnt vmcnt(1)
	v_cmp_lt_i32_e64 s5, v57, v0
	s_waitcnt vmcnt(0)
	v_cndmask_b32_e64 v1, 0, v1, s5
	v_cmp_lt_i32_e64 s5, v63, v0
	buffer_store_dword v1, off, s[0:3], s32 offset:292 ; 4-byte Folded Spill
	buffer_load_dword v1, off, s[0:3], s32 offset:296 ; 4-byte Folded Reload
	s_waitcnt vmcnt(0)
	v_cndmask_b32_e64 v1, 0, v1, s5
	v_cmp_lt_i32_e64 s5, v62, v0
	buffer_store_dword v1, off, s[0:3], s32 offset:296 ; 4-byte Folded Spill
	buffer_load_dword v1, off, s[0:3], s32 offset:284 ; 4-byte Folded Reload
	;; [unrolled: 5-line block ×6, first 2 shown]
	s_waitcnt vmcnt(0)
	v_cndmask_b32_e64 v1, 0, v1, s5
	v_cmp_lt_i32_e64 s5, v65, v0
	buffer_load_dword v0, off, s[0:3], s32 offset:272 ; 4-byte Folded Reload
	buffer_store_dword v1, off, s[0:3], s32 offset:268 ; 4-byte Folded Spill
	s_waitcnt vmcnt(0)
	v_cndmask_b32_e64 v0, 0, v0, s5
	buffer_store_dword v0, off, s[0:3], s32 offset:272 ; 4-byte Folded Spill
.LBB342_1254:                           ;   in Loop: Header=BB342_1056 Depth=1
	s_or_b32 exec_lo, exec_lo, s18
	flat_load_dwordx2 v[21:22], v[19:20] offset:768
	v_mov_b32_e32 v1, 0
	v_mov_b32_e32 v0, 0
	s_waitcnt vmcnt(0) lgkmcnt(0)
	v_cmp_ne_u16_sdwa s5, v21, v12 src0_sel:BYTE_0 src1_sel:DWORD
	s_and_saveexec_b32 s18, s5
	s_cbranch_execz .LBB342_1262
; %bb.1255:                             ;   in Loop: Header=BB342_1056 Depth=1
	v_cmp_ne_u16_sdwa s5, v21, v67 src0_sel:BYTE_0 src1_sel:DWORD
	v_bfrev_b32_e32 v0, 1
	s_and_saveexec_b32 s19, s5
	s_cbranch_execz .LBB342_1261
; %bb.1256:                             ;   in Loop: Header=BB342_1056 Depth=1
	v_and_b32_e32 v10, 0x7f, v21
	v_mov_b32_e32 v0, 0x7f800001
	s_mov_b32 s20, exec_lo
	v_cmpx_ne_u32_e32 0x7f, v10
	s_cbranch_execz .LBB342_1260
; %bb.1257:                             ;   in Loop: Header=BB342_1056 Depth=1
	v_lshrrev_b32_e32 v0, 3, v10
	v_cmp_gt_u32_e64 s5, 8, v10
	v_mov_b32_e32 v10, v21
	v_mov_b32_e32 v11, v22
	s_and_saveexec_b32 s21, s5
; %bb.1258:                             ;   in Loop: Header=BB342_1056 Depth=1
	v_and_b32_e32 v0, 7, v21
	v_ffbh_u32_e32 v0, v0
	v_min_u32_e32 v0, 32, v0
	v_subrev_nc_u32_e32 v10, 28, v0
	v_sub_nc_u32_e32 v0, 29, v0
	v_lshlrev_b64 v[10:11], v10, v[21:22]
; %bb.1259:                             ;   in Loop: Header=BB342_1056 Depth=1
	s_or_b32 exec_lo, exec_lo, s21
	v_lshlrev_b32_e32 v10, 20, v10
	v_lshlrev_b32_e32 v11, 24, v21
	v_lshl_add_u32 v0, v0, 23, 0x3c000000
	v_and_b32_e32 v10, 0x700000, v10
	v_and_b32_e32 v11, 0x80000000, v11
	v_or3_b32 v0, v10, v11, v0
.LBB342_1260:                           ;   in Loop: Header=BB342_1056 Depth=1
	s_or_b32 exec_lo, exec_lo, s20
.LBB342_1261:                           ;   in Loop: Header=BB342_1056 Depth=1
	s_or_b32 exec_lo, exec_lo, s19
.LBB342_1262:                           ;   in Loop: Header=BB342_1056 Depth=1
	s_or_b32 exec_lo, exec_lo, s18
	v_cmp_ne_u16_sdwa s5, v21, v12 src0_sel:BYTE_1 src1_sel:DWORD
	s_and_saveexec_b32 s18, s5
	s_cbranch_execz .LBB342_1270
; %bb.1263:                             ;   in Loop: Header=BB342_1056 Depth=1
	v_cmp_ne_u16_sdwa s5, v21, v67 src0_sel:BYTE_1 src1_sel:DWORD
	v_bfrev_b32_e32 v1, 1
	s_and_saveexec_b32 s19, s5
	s_cbranch_execz .LBB342_1269
; %bb.1264:                             ;   in Loop: Header=BB342_1056 Depth=1
	v_and_b32_sdwa v11, v94, v21 dst_sel:DWORD dst_unused:UNUSED_PAD src0_sel:DWORD src1_sel:BYTE_1
	v_mov_b32_e32 v1, 0x7f800001
	s_mov_b32 s20, exec_lo
	v_and_b32_e32 v10, 0x7f, v11
	v_cmpx_ne_u32_e32 0x7f, v10
	s_cbranch_execz .LBB342_1268
; %bb.1265:                             ;   in Loop: Header=BB342_1056 Depth=1
	v_and_b32_e32 v11, 7, v11
	v_mov_b32_e32 v24, v12
	v_lshrrev_b32_e32 v1, 3, v10
	s_mov_b32 s21, exec_lo
	v_mov_b32_e32 v23, v11
	v_cmpx_gt_u32_e32 8, v10
; %bb.1266:                             ;   in Loop: Header=BB342_1056 Depth=1
	v_ffbh_u32_e32 v1, v11
	v_min_u32_e32 v1, 32, v1
	v_subrev_nc_u32_e32 v10, 28, v1
	v_sub_nc_u32_e32 v1, 29, v1
	v_lshlrev_b64 v[10:11], v10, v[11:12]
	v_and_b32_e32 v23, 7, v10
; %bb.1267:                             ;   in Loop: Header=BB342_1056 Depth=1
	s_or_b32 exec_lo, exec_lo, s21
	v_lshlrev_b32_e32 v10, 16, v21
	v_lshlrev_b32_e32 v11, 20, v23
	v_lshl_add_u32 v1, v1, 23, 0x3c000000
	v_and_b32_e32 v10, 0x80000000, v10
	v_or3_b32 v1, v11, v10, v1
.LBB342_1268:                           ;   in Loop: Header=BB342_1056 Depth=1
	s_or_b32 exec_lo, exec_lo, s20
.LBB342_1269:                           ;   in Loop: Header=BB342_1056 Depth=1
	s_or_b32 exec_lo, exec_lo, s19
.LBB342_1270:                           ;   in Loop: Header=BB342_1056 Depth=1
	s_or_b32 exec_lo, exec_lo, s18
	v_and_b32_sdwa v11, v21, v69 dst_sel:DWORD dst_unused:UNUSED_PAD src0_sel:WORD_1 src1_sel:DWORD
	v_mov_b32_e32 v13, 0
	v_mov_b32_e32 v10, 0
	s_mov_b32 s18, exec_lo
	v_cmpx_ne_u16_e32 0, v11
	s_cbranch_execz .LBB342_1278
; %bb.1271:                             ;   in Loop: Header=BB342_1056 Depth=1
	v_bfrev_b32_e32 v10, 1
	s_mov_b32 s19, exec_lo
	v_cmpx_ne_u16_e32 0x80, v11
	s_cbranch_execz .LBB342_1277
; %bb.1272:                             ;   in Loop: Header=BB342_1056 Depth=1
	v_bfe_u32 v14, v21, 16, 7
	v_mov_b32_e32 v10, 0x7f800001
	s_mov_b32 s20, exec_lo
	v_cmpx_ne_u32_e32 0x7f, v14
	s_cbranch_execz .LBB342_1276
; %bb.1273:                             ;   in Loop: Header=BB342_1056 Depth=1
	v_mov_b32_e32 v10, 7
	s_mov_b32 s21, exec_lo
	v_and_b32_sdwa v11, v21, v10 dst_sel:DWORD dst_unused:UNUSED_PAD src0_sel:WORD_1 src1_sel:DWORD
	v_mov_b32_e32 v24, v12
	v_lshrrev_b32_e32 v10, 3, v14
	v_mov_b32_e32 v23, v11
	v_cmpx_gt_u32_e32 8, v14
; %bb.1274:                             ;   in Loop: Header=BB342_1056 Depth=1
	v_ffbh_u32_e32 v10, v11
	v_min_u32_e32 v10, 32, v10
	v_subrev_nc_u32_e32 v14, 28, v10
	v_sub_nc_u32_e32 v10, 29, v10
	v_lshlrev_b64 v[17:18], v14, v[11:12]
	v_and_b32_e32 v23, 7, v17
; %bb.1275:                             ;   in Loop: Header=BB342_1056 Depth=1
	s_or_b32 exec_lo, exec_lo, s21
	v_mov_b32_e32 v11, 24
	v_lshlrev_b32_e32 v14, 20, v23
	v_lshl_add_u32 v10, v10, 23, 0x3c000000
	v_lshlrev_b32_sdwa v11, v11, v21 dst_sel:DWORD dst_unused:UNUSED_PAD src0_sel:DWORD src1_sel:WORD_1
	v_and_b32_e32 v11, 0x80000000, v11
	v_or3_b32 v10, v14, v11, v10
.LBB342_1276:                           ;   in Loop: Header=BB342_1056 Depth=1
	s_or_b32 exec_lo, exec_lo, s20
.LBB342_1277:                           ;   in Loop: Header=BB342_1056 Depth=1
	s_or_b32 exec_lo, exec_lo, s19
.LBB342_1278:                           ;   in Loop: Header=BB342_1056 Depth=1
	s_or_b32 exec_lo, exec_lo, s18
	s_mov_b32 s18, exec_lo
	v_cmpx_lt_u32_e32 0xffffff, v21
	s_cbranch_execz .LBB342_1286
; %bb.1279:                             ;   in Loop: Header=BB342_1056 Depth=1
	v_cmp_ne_u32_sdwa s5, v21, v67 src0_sel:BYTE_3 src1_sel:DWORD
	v_bfrev_b32_e32 v13, 1
	s_and_saveexec_b32 s19, s5
	s_cbranch_execz .LBB342_1285
; %bb.1280:                             ;   in Loop: Header=BB342_1056 Depth=1
	v_bfe_u32 v14, v21, 24, 7
	v_mov_b32_e32 v13, 0x7f800001
	s_mov_b32 s20, exec_lo
	v_cmpx_ne_u32_e32 0x7f, v14
	s_cbranch_execz .LBB342_1284
; %bb.1281:                             ;   in Loop: Header=BB342_1056 Depth=1
	v_mov_b32_e32 v11, 7
	v_lshrrev_b32_e32 v13, 3, v14
	s_mov_b32 s21, exec_lo
	v_and_b32_sdwa v11, v21, v11 dst_sel:DWORD dst_unused:UNUSED_PAD src0_sel:BYTE_3 src1_sel:DWORD
	v_mov_b32_e32 v24, v12
	v_mov_b32_e32 v23, v11
	v_cmpx_gt_u32_e32 8, v14
; %bb.1282:                             ;   in Loop: Header=BB342_1056 Depth=1
	v_ffbh_u32_e32 v13, v11
	v_min_u32_e32 v13, 32, v13
	v_subrev_nc_u32_e32 v14, 28, v13
	v_sub_nc_u32_e32 v13, 29, v13
	v_lshlrev_b64 v[17:18], v14, v[11:12]
	v_and_b32_e32 v23, 7, v17
; %bb.1283:                             ;   in Loop: Header=BB342_1056 Depth=1
	s_or_b32 exec_lo, exec_lo, s21
	v_mov_b32_e32 v11, 24
	v_lshlrev_b32_e32 v14, 20, v23
	v_lshl_add_u32 v13, v13, 23, 0x3c000000
	v_lshlrev_b32_sdwa v11, v11, v21 dst_sel:DWORD dst_unused:UNUSED_PAD src0_sel:DWORD src1_sel:BYTE_3
	v_and_b32_e32 v11, 0x80000000, v11
	v_or3_b32 v13, v14, v11, v13
.LBB342_1284:                           ;   in Loop: Header=BB342_1056 Depth=1
	s_or_b32 exec_lo, exec_lo, s20
.LBB342_1285:                           ;   in Loop: Header=BB342_1056 Depth=1
	s_or_b32 exec_lo, exec_lo, s19
.LBB342_1286:                           ;   in Loop: Header=BB342_1056 Depth=1
	s_or_b32 exec_lo, exec_lo, s18
	v_mov_b32_e32 v11, v22
	v_cmp_ne_u16_sdwa s5, v22, v12 src0_sel:BYTE_0 src1_sel:DWORD
	v_mov_b32_e32 v17, 0
	v_mov_b32_e32 v14, 0
	s_and_saveexec_b32 s18, s5
	s_cbranch_execz .LBB342_1294
; %bb.1287:                             ;   in Loop: Header=BB342_1056 Depth=1
	v_cmp_ne_u16_sdwa s5, v22, v67 src0_sel:BYTE_0 src1_sel:DWORD
	v_bfrev_b32_e32 v14, 1
	s_and_saveexec_b32 s19, s5
	s_cbranch_execz .LBB342_1293
; %bb.1288:                             ;   in Loop: Header=BB342_1056 Depth=1
	v_and_b32_e32 v18, 0x7f, v22
	v_mov_b32_e32 v14, 0x7f800001
	s_mov_b32 s20, exec_lo
	v_cmpx_ne_u32_e32 0x7f, v18
	s_cbranch_execz .LBB342_1292
; %bb.1289:                             ;   in Loop: Header=BB342_1056 Depth=1
	v_mov_b32_e32 v24, v12
	v_lshrrev_b32_e32 v14, 3, v18
	v_mov_b32_e32 v23, v11
	s_mov_b32 s21, exec_lo
	v_cmpx_gt_u32_e32 8, v18
; %bb.1290:                             ;   in Loop: Header=BB342_1056 Depth=1
	v_and_b32_e32 v14, 7, v22
	v_ffbh_u32_e32 v14, v14
	v_min_u32_e32 v14, 32, v14
	v_subrev_nc_u32_e32 v18, 28, v14
	v_sub_nc_u32_e32 v14, 29, v14
	v_lshlrev_b64 v[23:24], v18, v[11:12]
; %bb.1291:                             ;   in Loop: Header=BB342_1056 Depth=1
	s_or_b32 exec_lo, exec_lo, s21
	v_lshlrev_b32_e32 v18, 20, v23
	v_lshlrev_b32_e32 v23, 24, v11
	v_lshl_add_u32 v14, v14, 23, 0x3c000000
	v_and_b32_e32 v18, 0x700000, v18
	v_and_b32_e32 v23, 0x80000000, v23
	v_or3_b32 v14, v18, v23, v14
.LBB342_1292:                           ;   in Loop: Header=BB342_1056 Depth=1
	s_or_b32 exec_lo, exec_lo, s20
.LBB342_1293:                           ;   in Loop: Header=BB342_1056 Depth=1
	s_or_b32 exec_lo, exec_lo, s19
.LBB342_1294:                           ;   in Loop: Header=BB342_1056 Depth=1
	s_or_b32 exec_lo, exec_lo, s18
	v_cmp_ne_u16_sdwa s5, v11, v12 src0_sel:BYTE_1 src1_sel:DWORD
	s_and_saveexec_b32 s18, s5
	s_cbranch_execz .LBB342_1302
; %bb.1295:                             ;   in Loop: Header=BB342_1056 Depth=1
	v_cmp_ne_u16_sdwa s5, v11, v67 src0_sel:BYTE_1 src1_sel:DWORD
	v_bfrev_b32_e32 v17, 1
	s_and_saveexec_b32 s19, s5
	s_cbranch_execz .LBB342_1301
; %bb.1296:                             ;   in Loop: Header=BB342_1056 Depth=1
	v_and_b32_sdwa v23, v94, v11 dst_sel:DWORD dst_unused:UNUSED_PAD src0_sel:DWORD src1_sel:BYTE_1
	v_mov_b32_e32 v17, 0x7f800001
	s_mov_b32 s20, exec_lo
	v_and_b32_e32 v18, 0x7f, v23
	v_cmpx_ne_u32_e32 0x7f, v18
	s_cbranch_execz .LBB342_1300
; %bb.1297:                             ;   in Loop: Header=BB342_1056 Depth=1
	v_and_b32_e32 v23, 7, v23
	v_mov_b32_e32 v24, v12
	v_lshrrev_b32_e32 v17, 3, v18
	s_mov_b32 s21, exec_lo
	v_cmpx_gt_u32_e32 8, v18
; %bb.1298:                             ;   in Loop: Header=BB342_1056 Depth=1
	v_ffbh_u32_e32 v17, v23
	v_min_u32_e32 v17, 32, v17
	v_subrev_nc_u32_e32 v18, 28, v17
	v_sub_nc_u32_e32 v17, 29, v17
	v_lshlrev_b64 v[23:24], v18, v[23:24]
	v_and_b32_e32 v23, 7, v23
; %bb.1299:                             ;   in Loop: Header=BB342_1056 Depth=1
	s_or_b32 exec_lo, exec_lo, s21
	v_lshlrev_b32_e32 v11, 16, v11
	v_lshlrev_b32_e32 v18, 20, v23
	v_lshl_add_u32 v17, v17, 23, 0x3c000000
	v_and_b32_e32 v11, 0x80000000, v11
	v_or3_b32 v17, v18, v11, v17
.LBB342_1300:                           ;   in Loop: Header=BB342_1056 Depth=1
	s_or_b32 exec_lo, exec_lo, s20
.LBB342_1301:                           ;   in Loop: Header=BB342_1056 Depth=1
	s_or_b32 exec_lo, exec_lo, s19
.LBB342_1302:                           ;   in Loop: Header=BB342_1056 Depth=1
	s_or_b32 exec_lo, exec_lo, s18
	v_and_b32_sdwa v11, v22, v69 dst_sel:DWORD dst_unused:UNUSED_PAD src0_sel:WORD_1 src1_sel:DWORD
	v_mov_b32_e32 v18, 0
	v_mov_b32_e32 v25, 0
	s_mov_b32 s18, exec_lo
	v_cmpx_ne_u16_e32 0, v11
	s_cbranch_execz .LBB342_1310
; %bb.1303:                             ;   in Loop: Header=BB342_1056 Depth=1
	v_bfrev_b32_e32 v25, 1
	s_mov_b32 s19, exec_lo
	v_cmpx_ne_u16_e32 0x80, v11
	s_cbranch_execz .LBB342_1309
; %bb.1304:                             ;   in Loop: Header=BB342_1056 Depth=1
	v_bfe_u32 v23, v22, 16, 7
	v_mov_b32_e32 v25, 0x7f800001
	s_mov_b32 s20, exec_lo
	v_cmpx_ne_u32_e32 0x7f, v23
	s_cbranch_execz .LBB342_1308
; %bb.1305:                             ;   in Loop: Header=BB342_1056 Depth=1
	v_mov_b32_e32 v11, 7
	v_lshrrev_b32_e32 v25, 3, v23
	v_cmp_gt_u32_e64 s5, 8, v23
	v_and_b32_sdwa v11, v22, v11 dst_sel:DWORD dst_unused:UNUSED_PAD src0_sel:WORD_1 src1_sel:DWORD
	v_mov_b32_e32 v24, v12
	v_mov_b32_e32 v23, v11
	s_and_saveexec_b32 s21, s5
; %bb.1306:                             ;   in Loop: Header=BB342_1056 Depth=1
	v_ffbh_u32_e32 v23, v11
	v_min_u32_e32 v25, 32, v23
	v_subrev_nc_u32_e32 v23, 28, v25
	v_sub_nc_u32_e32 v25, 29, v25
	v_lshlrev_b64 v[23:24], v23, v[11:12]
	v_and_b32_e32 v23, 7, v23
; %bb.1307:                             ;   in Loop: Header=BB342_1056 Depth=1
	s_or_b32 exec_lo, exec_lo, s21
	v_mov_b32_e32 v11, 24
	v_lshlrev_b32_e32 v23, 20, v23
	v_lshl_add_u32 v24, v25, 23, 0x3c000000
	v_lshlrev_b32_sdwa v11, v11, v22 dst_sel:DWORD dst_unused:UNUSED_PAD src0_sel:DWORD src1_sel:WORD_1
	v_and_b32_e32 v11, 0x80000000, v11
	v_or3_b32 v25, v23, v11, v24
.LBB342_1308:                           ;   in Loop: Header=BB342_1056 Depth=1
	s_or_b32 exec_lo, exec_lo, s20
.LBB342_1309:                           ;   in Loop: Header=BB342_1056 Depth=1
	s_or_b32 exec_lo, exec_lo, s19
.LBB342_1310:                           ;   in Loop: Header=BB342_1056 Depth=1
	s_or_b32 exec_lo, exec_lo, s18
	s_mov_b32 s18, exec_lo
	v_cmpx_lt_u64_e64 s[6:7], v[21:22]
	s_cbranch_execz .LBB342_1318
; %bb.1311:                             ;   in Loop: Header=BB342_1056 Depth=1
	v_cmp_ne_u32_sdwa s5, v22, v67 src0_sel:BYTE_3 src1_sel:DWORD
	v_bfrev_b32_e32 v18, 1
	s_and_saveexec_b32 s19, s5
	s_cbranch_execz .LBB342_1317
; %bb.1312:                             ;   in Loop: Header=BB342_1056 Depth=1
	v_bfe_u32 v21, v22, 24, 7
	v_mov_b32_e32 v18, 0x7f800001
	s_mov_b32 s20, exec_lo
	v_cmpx_ne_u32_e32 0x7f, v21
	s_cbranch_execz .LBB342_1316
; %bb.1313:                             ;   in Loop: Header=BB342_1056 Depth=1
	v_mov_b32_e32 v11, 7
	v_lshrrev_b32_e32 v18, 3, v21
	s_mov_b32 s21, exec_lo
	v_and_b32_sdwa v11, v22, v11 dst_sel:DWORD dst_unused:UNUSED_PAD src0_sel:BYTE_3 src1_sel:DWORD
	v_mov_b32_e32 v24, v12
	v_mov_b32_e32 v23, v11
	v_cmpx_gt_u32_e32 8, v21
; %bb.1314:                             ;   in Loop: Header=BB342_1056 Depth=1
	v_ffbh_u32_e32 v18, v11
	v_min_u32_e32 v18, 32, v18
	v_subrev_nc_u32_e32 v21, 28, v18
	v_sub_nc_u32_e32 v18, 29, v18
	v_lshlrev_b64 v[23:24], v21, v[11:12]
	v_and_b32_e32 v23, 7, v23
; %bb.1315:                             ;   in Loop: Header=BB342_1056 Depth=1
	s_or_b32 exec_lo, exec_lo, s21
	v_mov_b32_e32 v11, 24
	v_lshlrev_b32_e32 v21, 20, v23
	v_lshl_add_u32 v18, v18, 23, 0x3c000000
	v_lshlrev_b32_sdwa v11, v11, v22 dst_sel:DWORD dst_unused:UNUSED_PAD src0_sel:DWORD src1_sel:BYTE_3
	v_and_b32_e32 v11, 0x80000000, v11
	v_or3_b32 v18, v21, v11, v18
.LBB342_1316:                           ;   in Loop: Header=BB342_1056 Depth=1
	s_or_b32 exec_lo, exec_lo, s20
.LBB342_1317:                           ;   in Loop: Header=BB342_1056 Depth=1
	s_or_b32 exec_lo, exec_lo, s19
.LBB342_1318:                           ;   in Loop: Header=BB342_1056 Depth=1
	s_or_b32 exec_lo, exec_lo, s18
	v_mul_f32_e32 v11, v64, v17
	v_mul_f32_e32 v14, v64, v14
	;; [unrolled: 1-line block ×5, first 2 shown]
	v_bfe_u32 v17, v11, 16, 1
	v_or_b32_e32 v21, 0x400000, v11
	v_bfe_u32 v22, v14, 16, 1
	v_cmp_u_f32_e64 s5, v11, v11
	v_or_b32_e32 v23, 0x400000, v14
	v_add3_u32 v17, v17, v11, 0x7fff
	v_bfe_u32 v24, v13, 16, 1
	v_add3_u32 v22, v22, v14, 0x7fff
	v_or_b32_e32 v28, 0x400000, v13
	v_bfe_u32 v29, v10, 16, 1
	v_cndmask_b32_e64 v11, v17, v21, s5
	v_cmp_u_f32_e64 s5, v14, v14
	v_add3_u32 v24, v24, v13, 0x7fff
	v_or_b32_e32 v17, 0x400000, v10
	v_mul_f32_e32 v0, v64, v0
	v_lshrrev_b32_e32 v11, 16, v11
	v_cndmask_b32_e64 v14, v22, v23, s5
	v_cmp_u_f32_e64 s5, v13, v13
	buffer_store_dword v11, off, s[0:3], s32 offset:316 ; 4-byte Folded Spill
	v_add3_u32 v11, v29, v10, 0x7fff
	v_cndmask_b32_e64 v13, v24, v28, s5
	v_lshrrev_b32_e32 v14, 16, v14
	v_cmp_u_f32_e64 s5, v10, v10
	v_lshrrev_b32_e32 v13, 16, v13
	buffer_store_dword v14, off, s[0:3], s32 offset:308 ; 4-byte Folded Spill
	v_cndmask_b32_e64 v10, v11, v17, s5
	v_mul_f32_e32 v11, v64, v25
	v_or_b32_e32 v14, 0x400000, v1
	buffer_store_dword v13, off, s[0:3], s32 offset:320 ; 4-byte Folded Spill
	v_bfe_u32 v13, v1, 16, 1
	v_mul_f32_e32 v17, v64, v18
	v_bfe_u32 v18, v0, 16, 1
	v_cmp_u_f32_e64 s5, v1, v1
	v_bfe_u32 v21, v11, 16, 1
	v_add3_u32 v13, v13, v1, 0x7fff
	v_or_b32_e32 v22, 0x400000, v11
	v_or_b32_e32 v23, 0x400000, v17
	v_lshrrev_b32_e32 v10, 16, v10
	v_add3_u32 v21, v21, v11, 0x7fff
	v_cndmask_b32_e64 v1, v13, v14, s5
	v_add3_u32 v14, v18, v0, 0x7fff
	v_or_b32_e32 v18, 0x400000, v0
	v_cmp_u_f32_e64 s5, v0, v0
	v_bfe_u32 v13, v17, 16, 1
	v_lshrrev_b32_e32 v1, 16, v1
	buffer_store_dword v10, off, s[0:3], s32 offset:324 ; 4-byte Folded Spill
	v_cndmask_b32_e64 v0, v14, v18, s5
	v_cmp_u_f32_e64 s5, v11, v11
	v_add3_u32 v13, v13, v17, 0x7fff
	buffer_store_dword v1, off, s[0:3], s32 offset:332 ; 4-byte Folded Spill
	v_lshrrev_b32_e32 v0, 16, v0
	v_cndmask_b32_e64 v11, v21, v22, s5
	v_cmp_u_f32_e64 s5, v17, v17
	buffer_store_dword v0, off, s[0:3], s32 offset:328 ; 4-byte Folded Spill
	v_lshrrev_b32_e32 v0, 16, v11
	v_cndmask_b32_e64 v13, v13, v23, s5
	buffer_store_dword v0, off, s[0:3], s32 offset:300 ; 4-byte Folded Spill
	v_lshrrev_b32_e32 v0, 16, v13
	buffer_store_dword v0, off, s[0:3], s32 offset:312 ; 4-byte Folded Spill
	s_and_saveexec_b32 s18, vcc_lo
	s_cbranch_execz .LBB342_1320
; %bb.1319:                             ;   in Loop: Header=BB342_1056 Depth=1
	s_clause 0x1
	buffer_load_dword v0, off, s[0:3], s32 offset:196
	buffer_load_dword v1, off, s[0:3], s32 offset:328
	s_waitcnt vmcnt(1)
	v_cmp_lt_i32_e64 s5, v57, v0
	s_waitcnt vmcnt(0)
	v_cndmask_b32_e64 v1, 0, v1, s5
	v_cmp_lt_i32_e64 s5, v63, v0
	buffer_store_dword v1, off, s[0:3], s32 offset:328 ; 4-byte Folded Spill
	buffer_load_dword v1, off, s[0:3], s32 offset:332 ; 4-byte Folded Reload
	s_waitcnt vmcnt(0)
	v_cndmask_b32_e64 v1, 0, v1, s5
	v_cmp_lt_i32_e64 s5, v62, v0
	buffer_store_dword v1, off, s[0:3], s32 offset:332 ; 4-byte Folded Spill
	buffer_load_dword v1, off, s[0:3], s32 offset:324 ; 4-byte Folded Reload
	;; [unrolled: 5-line block ×6, first 2 shown]
	s_waitcnt vmcnt(0)
	v_cndmask_b32_e64 v1, 0, v1, s5
	v_cmp_lt_i32_e64 s5, v65, v0
	buffer_load_dword v0, off, s[0:3], s32 offset:312 ; 4-byte Folded Reload
	buffer_store_dword v1, off, s[0:3], s32 offset:300 ; 4-byte Folded Spill
	s_waitcnt vmcnt(0)
	v_cndmask_b32_e64 v0, 0, v0, s5
	buffer_store_dword v0, off, s[0:3], s32 offset:312 ; 4-byte Folded Spill
.LBB342_1320:                           ;   in Loop: Header=BB342_1056 Depth=1
	s_or_b32 exec_lo, exec_lo, s18
	flat_load_dwordx2 v[21:22], v[19:20] offset:1024
	v_mov_b32_e32 v1, 0
	v_mov_b32_e32 v0, 0
	s_waitcnt vmcnt(0) lgkmcnt(0)
	v_cmp_ne_u16_sdwa s5, v21, v12 src0_sel:BYTE_0 src1_sel:DWORD
	s_and_saveexec_b32 s18, s5
	s_cbranch_execz .LBB342_1328
; %bb.1321:                             ;   in Loop: Header=BB342_1056 Depth=1
	v_cmp_ne_u16_sdwa s5, v21, v67 src0_sel:BYTE_0 src1_sel:DWORD
	v_bfrev_b32_e32 v0, 1
	s_and_saveexec_b32 s19, s5
	s_cbranch_execz .LBB342_1327
; %bb.1322:                             ;   in Loop: Header=BB342_1056 Depth=1
	v_and_b32_e32 v10, 0x7f, v21
	v_mov_b32_e32 v0, 0x7f800001
	s_mov_b32 s20, exec_lo
	v_cmpx_ne_u32_e32 0x7f, v10
	s_cbranch_execz .LBB342_1326
; %bb.1323:                             ;   in Loop: Header=BB342_1056 Depth=1
	v_lshrrev_b32_e32 v0, 3, v10
	v_cmp_gt_u32_e64 s5, 8, v10
	v_mov_b32_e32 v10, v21
	v_mov_b32_e32 v11, v22
	s_and_saveexec_b32 s21, s5
; %bb.1324:                             ;   in Loop: Header=BB342_1056 Depth=1
	v_and_b32_e32 v0, 7, v21
	v_ffbh_u32_e32 v0, v0
	v_min_u32_e32 v0, 32, v0
	v_subrev_nc_u32_e32 v10, 28, v0
	v_sub_nc_u32_e32 v0, 29, v0
	v_lshlrev_b64 v[10:11], v10, v[21:22]
; %bb.1325:                             ;   in Loop: Header=BB342_1056 Depth=1
	s_or_b32 exec_lo, exec_lo, s21
	v_lshlrev_b32_e32 v10, 20, v10
	v_lshlrev_b32_e32 v11, 24, v21
	v_lshl_add_u32 v0, v0, 23, 0x3c000000
	v_and_b32_e32 v10, 0x700000, v10
	v_and_b32_e32 v11, 0x80000000, v11
	v_or3_b32 v0, v10, v11, v0
.LBB342_1326:                           ;   in Loop: Header=BB342_1056 Depth=1
	s_or_b32 exec_lo, exec_lo, s20
.LBB342_1327:                           ;   in Loop: Header=BB342_1056 Depth=1
	s_or_b32 exec_lo, exec_lo, s19
.LBB342_1328:                           ;   in Loop: Header=BB342_1056 Depth=1
	s_or_b32 exec_lo, exec_lo, s18
	v_cmp_ne_u16_sdwa s5, v21, v12 src0_sel:BYTE_1 src1_sel:DWORD
	s_and_saveexec_b32 s18, s5
	s_cbranch_execz .LBB342_1336
; %bb.1329:                             ;   in Loop: Header=BB342_1056 Depth=1
	v_cmp_ne_u16_sdwa s5, v21, v67 src0_sel:BYTE_1 src1_sel:DWORD
	v_bfrev_b32_e32 v1, 1
	s_and_saveexec_b32 s19, s5
	s_cbranch_execz .LBB342_1335
; %bb.1330:                             ;   in Loop: Header=BB342_1056 Depth=1
	v_and_b32_sdwa v11, v94, v21 dst_sel:DWORD dst_unused:UNUSED_PAD src0_sel:DWORD src1_sel:BYTE_1
	v_mov_b32_e32 v1, 0x7f800001
	s_mov_b32 s20, exec_lo
	v_and_b32_e32 v10, 0x7f, v11
	v_cmpx_ne_u32_e32 0x7f, v10
	s_cbranch_execz .LBB342_1334
; %bb.1331:                             ;   in Loop: Header=BB342_1056 Depth=1
	v_and_b32_e32 v11, 7, v11
	v_mov_b32_e32 v24, v12
	v_lshrrev_b32_e32 v1, 3, v10
	s_mov_b32 s21, exec_lo
	v_mov_b32_e32 v23, v11
	v_cmpx_gt_u32_e32 8, v10
; %bb.1332:                             ;   in Loop: Header=BB342_1056 Depth=1
	v_ffbh_u32_e32 v1, v11
	v_min_u32_e32 v1, 32, v1
	v_subrev_nc_u32_e32 v10, 28, v1
	v_sub_nc_u32_e32 v1, 29, v1
	v_lshlrev_b64 v[10:11], v10, v[11:12]
	v_and_b32_e32 v23, 7, v10
; %bb.1333:                             ;   in Loop: Header=BB342_1056 Depth=1
	s_or_b32 exec_lo, exec_lo, s21
	v_lshlrev_b32_e32 v10, 16, v21
	v_lshlrev_b32_e32 v11, 20, v23
	v_lshl_add_u32 v1, v1, 23, 0x3c000000
	v_and_b32_e32 v10, 0x80000000, v10
	v_or3_b32 v1, v11, v10, v1
.LBB342_1334:                           ;   in Loop: Header=BB342_1056 Depth=1
	s_or_b32 exec_lo, exec_lo, s20
.LBB342_1335:                           ;   in Loop: Header=BB342_1056 Depth=1
	s_or_b32 exec_lo, exec_lo, s19
.LBB342_1336:                           ;   in Loop: Header=BB342_1056 Depth=1
	s_or_b32 exec_lo, exec_lo, s18
	v_and_b32_sdwa v11, v21, v69 dst_sel:DWORD dst_unused:UNUSED_PAD src0_sel:WORD_1 src1_sel:DWORD
	v_mov_b32_e32 v13, 0
	v_mov_b32_e32 v10, 0
	s_mov_b32 s18, exec_lo
	v_cmpx_ne_u16_e32 0, v11
	s_cbranch_execz .LBB342_1344
; %bb.1337:                             ;   in Loop: Header=BB342_1056 Depth=1
	v_bfrev_b32_e32 v10, 1
	s_mov_b32 s19, exec_lo
	v_cmpx_ne_u16_e32 0x80, v11
	s_cbranch_execz .LBB342_1343
; %bb.1338:                             ;   in Loop: Header=BB342_1056 Depth=1
	v_bfe_u32 v14, v21, 16, 7
	v_mov_b32_e32 v10, 0x7f800001
	s_mov_b32 s20, exec_lo
	v_cmpx_ne_u32_e32 0x7f, v14
	s_cbranch_execz .LBB342_1342
; %bb.1339:                             ;   in Loop: Header=BB342_1056 Depth=1
	v_mov_b32_e32 v10, 7
	s_mov_b32 s21, exec_lo
	v_and_b32_sdwa v11, v21, v10 dst_sel:DWORD dst_unused:UNUSED_PAD src0_sel:WORD_1 src1_sel:DWORD
	v_mov_b32_e32 v24, v12
	v_lshrrev_b32_e32 v10, 3, v14
	v_mov_b32_e32 v23, v11
	v_cmpx_gt_u32_e32 8, v14
; %bb.1340:                             ;   in Loop: Header=BB342_1056 Depth=1
	v_ffbh_u32_e32 v10, v11
	v_min_u32_e32 v10, 32, v10
	v_subrev_nc_u32_e32 v14, 28, v10
	v_sub_nc_u32_e32 v10, 29, v10
	v_lshlrev_b64 v[17:18], v14, v[11:12]
	v_and_b32_e32 v23, 7, v17
; %bb.1341:                             ;   in Loop: Header=BB342_1056 Depth=1
	s_or_b32 exec_lo, exec_lo, s21
	v_mov_b32_e32 v11, 24
	v_lshlrev_b32_e32 v14, 20, v23
	v_lshl_add_u32 v10, v10, 23, 0x3c000000
	v_lshlrev_b32_sdwa v11, v11, v21 dst_sel:DWORD dst_unused:UNUSED_PAD src0_sel:DWORD src1_sel:WORD_1
	v_and_b32_e32 v11, 0x80000000, v11
	v_or3_b32 v10, v14, v11, v10
.LBB342_1342:                           ;   in Loop: Header=BB342_1056 Depth=1
	s_or_b32 exec_lo, exec_lo, s20
.LBB342_1343:                           ;   in Loop: Header=BB342_1056 Depth=1
	s_or_b32 exec_lo, exec_lo, s19
.LBB342_1344:                           ;   in Loop: Header=BB342_1056 Depth=1
	s_or_b32 exec_lo, exec_lo, s18
	s_mov_b32 s18, exec_lo
	v_cmpx_lt_u32_e32 0xffffff, v21
	s_cbranch_execz .LBB342_1352
; %bb.1345:                             ;   in Loop: Header=BB342_1056 Depth=1
	v_cmp_ne_u32_sdwa s5, v21, v67 src0_sel:BYTE_3 src1_sel:DWORD
	v_bfrev_b32_e32 v13, 1
	s_and_saveexec_b32 s19, s5
	s_cbranch_execz .LBB342_1351
; %bb.1346:                             ;   in Loop: Header=BB342_1056 Depth=1
	v_bfe_u32 v14, v21, 24, 7
	v_mov_b32_e32 v13, 0x7f800001
	s_mov_b32 s20, exec_lo
	v_cmpx_ne_u32_e32 0x7f, v14
	s_cbranch_execz .LBB342_1350
; %bb.1347:                             ;   in Loop: Header=BB342_1056 Depth=1
	v_mov_b32_e32 v11, 7
	v_lshrrev_b32_e32 v13, 3, v14
	s_mov_b32 s21, exec_lo
	v_and_b32_sdwa v11, v21, v11 dst_sel:DWORD dst_unused:UNUSED_PAD src0_sel:BYTE_3 src1_sel:DWORD
	v_mov_b32_e32 v24, v12
	v_mov_b32_e32 v23, v11
	v_cmpx_gt_u32_e32 8, v14
; %bb.1348:                             ;   in Loop: Header=BB342_1056 Depth=1
	v_ffbh_u32_e32 v13, v11
	v_min_u32_e32 v13, 32, v13
	v_subrev_nc_u32_e32 v14, 28, v13
	v_sub_nc_u32_e32 v13, 29, v13
	v_lshlrev_b64 v[17:18], v14, v[11:12]
	v_and_b32_e32 v23, 7, v17
; %bb.1349:                             ;   in Loop: Header=BB342_1056 Depth=1
	s_or_b32 exec_lo, exec_lo, s21
	v_mov_b32_e32 v11, 24
	v_lshlrev_b32_e32 v14, 20, v23
	v_lshl_add_u32 v13, v13, 23, 0x3c000000
	v_lshlrev_b32_sdwa v11, v11, v21 dst_sel:DWORD dst_unused:UNUSED_PAD src0_sel:DWORD src1_sel:BYTE_3
	v_and_b32_e32 v11, 0x80000000, v11
	v_or3_b32 v13, v14, v11, v13
.LBB342_1350:                           ;   in Loop: Header=BB342_1056 Depth=1
	s_or_b32 exec_lo, exec_lo, s20
.LBB342_1351:                           ;   in Loop: Header=BB342_1056 Depth=1
	s_or_b32 exec_lo, exec_lo, s19
.LBB342_1352:                           ;   in Loop: Header=BB342_1056 Depth=1
	s_or_b32 exec_lo, exec_lo, s18
	v_mov_b32_e32 v11, v22
	v_cmp_ne_u16_sdwa s5, v22, v12 src0_sel:BYTE_0 src1_sel:DWORD
	v_mov_b32_e32 v17, 0
	v_mov_b32_e32 v14, 0
	s_and_saveexec_b32 s18, s5
	s_cbranch_execz .LBB342_1360
; %bb.1353:                             ;   in Loop: Header=BB342_1056 Depth=1
	v_cmp_ne_u16_sdwa s5, v22, v67 src0_sel:BYTE_0 src1_sel:DWORD
	v_bfrev_b32_e32 v14, 1
	s_and_saveexec_b32 s19, s5
	s_cbranch_execz .LBB342_1359
; %bb.1354:                             ;   in Loop: Header=BB342_1056 Depth=1
	v_and_b32_e32 v18, 0x7f, v22
	v_mov_b32_e32 v14, 0x7f800001
	s_mov_b32 s20, exec_lo
	v_cmpx_ne_u32_e32 0x7f, v18
	s_cbranch_execz .LBB342_1358
; %bb.1355:                             ;   in Loop: Header=BB342_1056 Depth=1
	v_mov_b32_e32 v24, v12
	v_lshrrev_b32_e32 v14, 3, v18
	v_mov_b32_e32 v23, v11
	s_mov_b32 s21, exec_lo
	v_cmpx_gt_u32_e32 8, v18
; %bb.1356:                             ;   in Loop: Header=BB342_1056 Depth=1
	v_and_b32_e32 v14, 7, v22
	v_ffbh_u32_e32 v14, v14
	v_min_u32_e32 v14, 32, v14
	v_subrev_nc_u32_e32 v18, 28, v14
	v_sub_nc_u32_e32 v14, 29, v14
	v_lshlrev_b64 v[23:24], v18, v[11:12]
; %bb.1357:                             ;   in Loop: Header=BB342_1056 Depth=1
	s_or_b32 exec_lo, exec_lo, s21
	v_lshlrev_b32_e32 v18, 20, v23
	v_lshlrev_b32_e32 v23, 24, v11
	v_lshl_add_u32 v14, v14, 23, 0x3c000000
	v_and_b32_e32 v18, 0x700000, v18
	v_and_b32_e32 v23, 0x80000000, v23
	v_or3_b32 v14, v18, v23, v14
.LBB342_1358:                           ;   in Loop: Header=BB342_1056 Depth=1
	s_or_b32 exec_lo, exec_lo, s20
.LBB342_1359:                           ;   in Loop: Header=BB342_1056 Depth=1
	s_or_b32 exec_lo, exec_lo, s19
.LBB342_1360:                           ;   in Loop: Header=BB342_1056 Depth=1
	s_or_b32 exec_lo, exec_lo, s18
	v_cmp_ne_u16_sdwa s5, v11, v12 src0_sel:BYTE_1 src1_sel:DWORD
	s_and_saveexec_b32 s18, s5
	s_cbranch_execz .LBB342_1368
; %bb.1361:                             ;   in Loop: Header=BB342_1056 Depth=1
	v_cmp_ne_u16_sdwa s5, v11, v67 src0_sel:BYTE_1 src1_sel:DWORD
	v_bfrev_b32_e32 v17, 1
	s_and_saveexec_b32 s19, s5
	s_cbranch_execz .LBB342_1367
; %bb.1362:                             ;   in Loop: Header=BB342_1056 Depth=1
	v_and_b32_sdwa v23, v94, v11 dst_sel:DWORD dst_unused:UNUSED_PAD src0_sel:DWORD src1_sel:BYTE_1
	v_mov_b32_e32 v17, 0x7f800001
	s_mov_b32 s20, exec_lo
	v_and_b32_e32 v18, 0x7f, v23
	v_cmpx_ne_u32_e32 0x7f, v18
	s_cbranch_execz .LBB342_1366
; %bb.1363:                             ;   in Loop: Header=BB342_1056 Depth=1
	v_and_b32_e32 v23, 7, v23
	v_mov_b32_e32 v24, v12
	v_lshrrev_b32_e32 v17, 3, v18
	s_mov_b32 s21, exec_lo
	v_cmpx_gt_u32_e32 8, v18
; %bb.1364:                             ;   in Loop: Header=BB342_1056 Depth=1
	v_ffbh_u32_e32 v17, v23
	v_min_u32_e32 v17, 32, v17
	v_subrev_nc_u32_e32 v18, 28, v17
	v_sub_nc_u32_e32 v17, 29, v17
	v_lshlrev_b64 v[23:24], v18, v[23:24]
	v_and_b32_e32 v23, 7, v23
; %bb.1365:                             ;   in Loop: Header=BB342_1056 Depth=1
	s_or_b32 exec_lo, exec_lo, s21
	v_lshlrev_b32_e32 v11, 16, v11
	v_lshlrev_b32_e32 v18, 20, v23
	v_lshl_add_u32 v17, v17, 23, 0x3c000000
	v_and_b32_e32 v11, 0x80000000, v11
	v_or3_b32 v17, v18, v11, v17
.LBB342_1366:                           ;   in Loop: Header=BB342_1056 Depth=1
	s_or_b32 exec_lo, exec_lo, s20
.LBB342_1367:                           ;   in Loop: Header=BB342_1056 Depth=1
	s_or_b32 exec_lo, exec_lo, s19
.LBB342_1368:                           ;   in Loop: Header=BB342_1056 Depth=1
	s_or_b32 exec_lo, exec_lo, s18
	v_and_b32_sdwa v11, v22, v69 dst_sel:DWORD dst_unused:UNUSED_PAD src0_sel:WORD_1 src1_sel:DWORD
	v_mov_b32_e32 v18, 0
	v_mov_b32_e32 v25, 0
	s_mov_b32 s18, exec_lo
	v_cmpx_ne_u16_e32 0, v11
	s_cbranch_execz .LBB342_1376
; %bb.1369:                             ;   in Loop: Header=BB342_1056 Depth=1
	v_bfrev_b32_e32 v25, 1
	s_mov_b32 s19, exec_lo
	v_cmpx_ne_u16_e32 0x80, v11
	s_cbranch_execz .LBB342_1375
; %bb.1370:                             ;   in Loop: Header=BB342_1056 Depth=1
	v_bfe_u32 v23, v22, 16, 7
	v_mov_b32_e32 v25, 0x7f800001
	s_mov_b32 s20, exec_lo
	v_cmpx_ne_u32_e32 0x7f, v23
	s_cbranch_execz .LBB342_1374
; %bb.1371:                             ;   in Loop: Header=BB342_1056 Depth=1
	v_mov_b32_e32 v11, 7
	v_lshrrev_b32_e32 v25, 3, v23
	v_cmp_gt_u32_e64 s5, 8, v23
	v_and_b32_sdwa v11, v22, v11 dst_sel:DWORD dst_unused:UNUSED_PAD src0_sel:WORD_1 src1_sel:DWORD
	v_mov_b32_e32 v24, v12
	v_mov_b32_e32 v23, v11
	s_and_saveexec_b32 s21, s5
; %bb.1372:                             ;   in Loop: Header=BB342_1056 Depth=1
	v_ffbh_u32_e32 v23, v11
	v_min_u32_e32 v25, 32, v23
	v_subrev_nc_u32_e32 v23, 28, v25
	v_sub_nc_u32_e32 v25, 29, v25
	v_lshlrev_b64 v[23:24], v23, v[11:12]
	v_and_b32_e32 v23, 7, v23
; %bb.1373:                             ;   in Loop: Header=BB342_1056 Depth=1
	s_or_b32 exec_lo, exec_lo, s21
	v_mov_b32_e32 v11, 24
	v_lshlrev_b32_e32 v23, 20, v23
	v_lshl_add_u32 v24, v25, 23, 0x3c000000
	v_lshlrev_b32_sdwa v11, v11, v22 dst_sel:DWORD dst_unused:UNUSED_PAD src0_sel:DWORD src1_sel:WORD_1
	v_and_b32_e32 v11, 0x80000000, v11
	v_or3_b32 v25, v23, v11, v24
.LBB342_1374:                           ;   in Loop: Header=BB342_1056 Depth=1
	s_or_b32 exec_lo, exec_lo, s20
.LBB342_1375:                           ;   in Loop: Header=BB342_1056 Depth=1
	s_or_b32 exec_lo, exec_lo, s19
.LBB342_1376:                           ;   in Loop: Header=BB342_1056 Depth=1
	s_or_b32 exec_lo, exec_lo, s18
	s_mov_b32 s18, exec_lo
	v_cmpx_lt_u64_e64 s[6:7], v[21:22]
	s_cbranch_execz .LBB342_1384
; %bb.1377:                             ;   in Loop: Header=BB342_1056 Depth=1
	v_cmp_ne_u32_sdwa s5, v22, v67 src0_sel:BYTE_3 src1_sel:DWORD
	v_bfrev_b32_e32 v18, 1
	s_and_saveexec_b32 s19, s5
	s_cbranch_execz .LBB342_1383
; %bb.1378:                             ;   in Loop: Header=BB342_1056 Depth=1
	v_bfe_u32 v21, v22, 24, 7
	v_mov_b32_e32 v18, 0x7f800001
	s_mov_b32 s20, exec_lo
	v_cmpx_ne_u32_e32 0x7f, v21
	s_cbranch_execz .LBB342_1382
; %bb.1379:                             ;   in Loop: Header=BB342_1056 Depth=1
	v_mov_b32_e32 v11, 7
	v_lshrrev_b32_e32 v18, 3, v21
	s_mov_b32 s21, exec_lo
	v_and_b32_sdwa v11, v22, v11 dst_sel:DWORD dst_unused:UNUSED_PAD src0_sel:BYTE_3 src1_sel:DWORD
	v_mov_b32_e32 v24, v12
	v_mov_b32_e32 v23, v11
	v_cmpx_gt_u32_e32 8, v21
; %bb.1380:                             ;   in Loop: Header=BB342_1056 Depth=1
	v_ffbh_u32_e32 v18, v11
	v_min_u32_e32 v18, 32, v18
	v_subrev_nc_u32_e32 v21, 28, v18
	v_sub_nc_u32_e32 v18, 29, v18
	v_lshlrev_b64 v[23:24], v21, v[11:12]
	v_and_b32_e32 v23, 7, v23
; %bb.1381:                             ;   in Loop: Header=BB342_1056 Depth=1
	s_or_b32 exec_lo, exec_lo, s21
	v_mov_b32_e32 v11, 24
	v_lshlrev_b32_e32 v21, 20, v23
	v_lshl_add_u32 v18, v18, 23, 0x3c000000
	v_lshlrev_b32_sdwa v11, v11, v22 dst_sel:DWORD dst_unused:UNUSED_PAD src0_sel:DWORD src1_sel:BYTE_3
	v_and_b32_e32 v11, 0x80000000, v11
	v_or3_b32 v18, v21, v11, v18
.LBB342_1382:                           ;   in Loop: Header=BB342_1056 Depth=1
	s_or_b32 exec_lo, exec_lo, s20
.LBB342_1383:                           ;   in Loop: Header=BB342_1056 Depth=1
	s_or_b32 exec_lo, exec_lo, s19
.LBB342_1384:                           ;   in Loop: Header=BB342_1056 Depth=1
	s_or_b32 exec_lo, exec_lo, s18
	v_mul_f32_e32 v11, v64, v17
	v_mul_f32_e32 v14, v64, v14
	;; [unrolled: 1-line block ×5, first 2 shown]
	v_bfe_u32 v17, v11, 16, 1
	v_or_b32_e32 v21, 0x400000, v11
	v_bfe_u32 v22, v14, 16, 1
	v_cmp_u_f32_e64 s5, v11, v11
	v_or_b32_e32 v23, 0x400000, v14
	v_add3_u32 v17, v17, v11, 0x7fff
	v_bfe_u32 v24, v13, 16, 1
	v_add3_u32 v22, v22, v14, 0x7fff
	v_or_b32_e32 v28, 0x400000, v13
	v_bfe_u32 v29, v10, 16, 1
	v_cndmask_b32_e64 v11, v17, v21, s5
	v_cmp_u_f32_e64 s5, v14, v14
	v_add3_u32 v24, v24, v13, 0x7fff
	v_or_b32_e32 v17, 0x400000, v10
	v_mul_f32_e32 v0, v64, v0
	v_lshrrev_b32_e32 v11, 16, v11
	v_cndmask_b32_e64 v14, v22, v23, s5
	v_cmp_u_f32_e64 s5, v13, v13
	buffer_store_dword v11, off, s[0:3], s32 offset:340 ; 4-byte Folded Spill
	v_add3_u32 v11, v29, v10, 0x7fff
	v_cndmask_b32_e64 v13, v24, v28, s5
	v_lshrrev_b32_e32 v14, 16, v14
	v_cmp_u_f32_e64 s5, v10, v10
	v_lshrrev_b32_e32 v13, 16, v13
	buffer_store_dword v14, off, s[0:3], s32 offset:336 ; 4-byte Folded Spill
	v_cndmask_b32_e64 v10, v11, v17, s5
	v_mul_f32_e32 v11, v64, v25
	v_or_b32_e32 v14, 0x400000, v1
	buffer_store_dword v13, off, s[0:3], s32 offset:352 ; 4-byte Folded Spill
	v_bfe_u32 v13, v1, 16, 1
	v_mul_f32_e32 v17, v64, v18
	v_bfe_u32 v18, v0, 16, 1
	v_cmp_u_f32_e64 s5, v1, v1
	v_bfe_u32 v21, v11, 16, 1
	v_add3_u32 v13, v13, v1, 0x7fff
	v_or_b32_e32 v22, 0x400000, v11
	v_or_b32_e32 v23, 0x400000, v17
	v_lshrrev_b32_e32 v10, 16, v10
	v_add3_u32 v21, v21, v11, 0x7fff
	v_cndmask_b32_e64 v1, v13, v14, s5
	v_add3_u32 v14, v18, v0, 0x7fff
	v_or_b32_e32 v18, 0x400000, v0
	v_cmp_u_f32_e64 s5, v0, v0
	v_bfe_u32 v13, v17, 16, 1
	v_lshrrev_b32_e32 v1, 16, v1
	buffer_store_dword v10, off, s[0:3], s32 offset:356 ; 4-byte Folded Spill
	v_cndmask_b32_e64 v0, v14, v18, s5
	v_cmp_u_f32_e64 s5, v11, v11
	v_add3_u32 v13, v13, v17, 0x7fff
	buffer_store_dword v1, off, s[0:3], s32 offset:364 ; 4-byte Folded Spill
	v_lshrrev_b32_e32 v0, 16, v0
	v_cndmask_b32_e64 v11, v21, v22, s5
	v_cmp_u_f32_e64 s5, v17, v17
	buffer_store_dword v0, off, s[0:3], s32 offset:360 ; 4-byte Folded Spill
	v_lshrrev_b32_e32 v0, 16, v11
	v_cndmask_b32_e64 v13, v13, v23, s5
	buffer_store_dword v0, off, s[0:3], s32 offset:344 ; 4-byte Folded Spill
	v_lshrrev_b32_e32 v0, 16, v13
	buffer_store_dword v0, off, s[0:3], s32 offset:348 ; 4-byte Folded Spill
	s_and_saveexec_b32 s18, vcc_lo
	s_cbranch_execz .LBB342_1386
; %bb.1385:                             ;   in Loop: Header=BB342_1056 Depth=1
	s_clause 0x1
	buffer_load_dword v0, off, s[0:3], s32 offset:196
	buffer_load_dword v1, off, s[0:3], s32 offset:360
	s_waitcnt vmcnt(1)
	v_cmp_lt_i32_e64 s5, v57, v0
	s_waitcnt vmcnt(0)
	v_cndmask_b32_e64 v1, 0, v1, s5
	v_cmp_lt_i32_e64 s5, v63, v0
	buffer_store_dword v1, off, s[0:3], s32 offset:360 ; 4-byte Folded Spill
	buffer_load_dword v1, off, s[0:3], s32 offset:364 ; 4-byte Folded Reload
	s_waitcnt vmcnt(0)
	v_cndmask_b32_e64 v1, 0, v1, s5
	v_cmp_lt_i32_e64 s5, v62, v0
	buffer_store_dword v1, off, s[0:3], s32 offset:364 ; 4-byte Folded Spill
	buffer_load_dword v1, off, s[0:3], s32 offset:356 ; 4-byte Folded Reload
	;; [unrolled: 5-line block ×6, first 2 shown]
	s_waitcnt vmcnt(0)
	v_cndmask_b32_e64 v1, 0, v1, s5
	v_cmp_lt_i32_e64 s5, v65, v0
	buffer_load_dword v0, off, s[0:3], s32 offset:348 ; 4-byte Folded Reload
	buffer_store_dword v1, off, s[0:3], s32 offset:344 ; 4-byte Folded Spill
	s_waitcnt vmcnt(0)
	v_cndmask_b32_e64 v0, 0, v0, s5
	buffer_store_dword v0, off, s[0:3], s32 offset:348 ; 4-byte Folded Spill
.LBB342_1386:                           ;   in Loop: Header=BB342_1056 Depth=1
	s_or_b32 exec_lo, exec_lo, s18
	flat_load_dwordx2 v[21:22], v[19:20] offset:1280
	v_mov_b32_e32 v1, 0
	v_mov_b32_e32 v0, 0
	s_waitcnt vmcnt(0) lgkmcnt(0)
	v_cmp_ne_u16_sdwa s5, v21, v12 src0_sel:BYTE_0 src1_sel:DWORD
	s_and_saveexec_b32 s18, s5
	s_cbranch_execz .LBB342_1394
; %bb.1387:                             ;   in Loop: Header=BB342_1056 Depth=1
	v_cmp_ne_u16_sdwa s5, v21, v67 src0_sel:BYTE_0 src1_sel:DWORD
	v_bfrev_b32_e32 v0, 1
	s_and_saveexec_b32 s19, s5
	s_cbranch_execz .LBB342_1393
; %bb.1388:                             ;   in Loop: Header=BB342_1056 Depth=1
	v_and_b32_e32 v10, 0x7f, v21
	v_mov_b32_e32 v0, 0x7f800001
	s_mov_b32 s20, exec_lo
	v_cmpx_ne_u32_e32 0x7f, v10
	s_cbranch_execz .LBB342_1392
; %bb.1389:                             ;   in Loop: Header=BB342_1056 Depth=1
	v_lshrrev_b32_e32 v0, 3, v10
	v_cmp_gt_u32_e64 s5, 8, v10
	v_mov_b32_e32 v10, v21
	v_mov_b32_e32 v11, v22
	s_and_saveexec_b32 s21, s5
; %bb.1390:                             ;   in Loop: Header=BB342_1056 Depth=1
	v_and_b32_e32 v0, 7, v21
	v_ffbh_u32_e32 v0, v0
	v_min_u32_e32 v0, 32, v0
	v_subrev_nc_u32_e32 v10, 28, v0
	v_sub_nc_u32_e32 v0, 29, v0
	v_lshlrev_b64 v[10:11], v10, v[21:22]
; %bb.1391:                             ;   in Loop: Header=BB342_1056 Depth=1
	s_or_b32 exec_lo, exec_lo, s21
	v_lshlrev_b32_e32 v10, 20, v10
	v_lshlrev_b32_e32 v11, 24, v21
	v_lshl_add_u32 v0, v0, 23, 0x3c000000
	v_and_b32_e32 v10, 0x700000, v10
	v_and_b32_e32 v11, 0x80000000, v11
	v_or3_b32 v0, v10, v11, v0
.LBB342_1392:                           ;   in Loop: Header=BB342_1056 Depth=1
	s_or_b32 exec_lo, exec_lo, s20
.LBB342_1393:                           ;   in Loop: Header=BB342_1056 Depth=1
	s_or_b32 exec_lo, exec_lo, s19
.LBB342_1394:                           ;   in Loop: Header=BB342_1056 Depth=1
	s_or_b32 exec_lo, exec_lo, s18
	v_cmp_ne_u16_sdwa s5, v21, v12 src0_sel:BYTE_1 src1_sel:DWORD
	s_and_saveexec_b32 s18, s5
	s_cbranch_execz .LBB342_1402
; %bb.1395:                             ;   in Loop: Header=BB342_1056 Depth=1
	v_cmp_ne_u16_sdwa s5, v21, v67 src0_sel:BYTE_1 src1_sel:DWORD
	v_bfrev_b32_e32 v1, 1
	s_and_saveexec_b32 s19, s5
	s_cbranch_execz .LBB342_1401
; %bb.1396:                             ;   in Loop: Header=BB342_1056 Depth=1
	v_and_b32_sdwa v11, v94, v21 dst_sel:DWORD dst_unused:UNUSED_PAD src0_sel:DWORD src1_sel:BYTE_1
	v_mov_b32_e32 v1, 0x7f800001
	s_mov_b32 s20, exec_lo
	v_and_b32_e32 v10, 0x7f, v11
	v_cmpx_ne_u32_e32 0x7f, v10
	s_cbranch_execz .LBB342_1400
; %bb.1397:                             ;   in Loop: Header=BB342_1056 Depth=1
	v_and_b32_e32 v11, 7, v11
	v_mov_b32_e32 v24, v12
	v_lshrrev_b32_e32 v1, 3, v10
	s_mov_b32 s21, exec_lo
	v_mov_b32_e32 v23, v11
	v_cmpx_gt_u32_e32 8, v10
; %bb.1398:                             ;   in Loop: Header=BB342_1056 Depth=1
	v_ffbh_u32_e32 v1, v11
	v_min_u32_e32 v1, 32, v1
	v_subrev_nc_u32_e32 v10, 28, v1
	v_sub_nc_u32_e32 v1, 29, v1
	v_lshlrev_b64 v[10:11], v10, v[11:12]
	v_and_b32_e32 v23, 7, v10
; %bb.1399:                             ;   in Loop: Header=BB342_1056 Depth=1
	s_or_b32 exec_lo, exec_lo, s21
	v_lshlrev_b32_e32 v10, 16, v21
	v_lshlrev_b32_e32 v11, 20, v23
	v_lshl_add_u32 v1, v1, 23, 0x3c000000
	v_and_b32_e32 v10, 0x80000000, v10
	v_or3_b32 v1, v11, v10, v1
.LBB342_1400:                           ;   in Loop: Header=BB342_1056 Depth=1
	s_or_b32 exec_lo, exec_lo, s20
.LBB342_1401:                           ;   in Loop: Header=BB342_1056 Depth=1
	s_or_b32 exec_lo, exec_lo, s19
.LBB342_1402:                           ;   in Loop: Header=BB342_1056 Depth=1
	s_or_b32 exec_lo, exec_lo, s18
	v_and_b32_sdwa v11, v21, v69 dst_sel:DWORD dst_unused:UNUSED_PAD src0_sel:WORD_1 src1_sel:DWORD
	v_mov_b32_e32 v13, 0
	v_mov_b32_e32 v10, 0
	s_mov_b32 s18, exec_lo
	v_cmpx_ne_u16_e32 0, v11
	s_cbranch_execz .LBB342_1410
; %bb.1403:                             ;   in Loop: Header=BB342_1056 Depth=1
	v_bfrev_b32_e32 v10, 1
	s_mov_b32 s19, exec_lo
	v_cmpx_ne_u16_e32 0x80, v11
	s_cbranch_execz .LBB342_1409
; %bb.1404:                             ;   in Loop: Header=BB342_1056 Depth=1
	v_bfe_u32 v14, v21, 16, 7
	v_mov_b32_e32 v10, 0x7f800001
	s_mov_b32 s20, exec_lo
	v_cmpx_ne_u32_e32 0x7f, v14
	s_cbranch_execz .LBB342_1408
; %bb.1405:                             ;   in Loop: Header=BB342_1056 Depth=1
	v_mov_b32_e32 v10, 7
	s_mov_b32 s21, exec_lo
	v_and_b32_sdwa v11, v21, v10 dst_sel:DWORD dst_unused:UNUSED_PAD src0_sel:WORD_1 src1_sel:DWORD
	v_mov_b32_e32 v24, v12
	v_lshrrev_b32_e32 v10, 3, v14
	v_mov_b32_e32 v23, v11
	v_cmpx_gt_u32_e32 8, v14
; %bb.1406:                             ;   in Loop: Header=BB342_1056 Depth=1
	v_ffbh_u32_e32 v10, v11
	v_min_u32_e32 v10, 32, v10
	v_subrev_nc_u32_e32 v14, 28, v10
	v_sub_nc_u32_e32 v10, 29, v10
	v_lshlrev_b64 v[17:18], v14, v[11:12]
	v_and_b32_e32 v23, 7, v17
; %bb.1407:                             ;   in Loop: Header=BB342_1056 Depth=1
	s_or_b32 exec_lo, exec_lo, s21
	v_mov_b32_e32 v11, 24
	v_lshlrev_b32_e32 v14, 20, v23
	v_lshl_add_u32 v10, v10, 23, 0x3c000000
	v_lshlrev_b32_sdwa v11, v11, v21 dst_sel:DWORD dst_unused:UNUSED_PAD src0_sel:DWORD src1_sel:WORD_1
	v_and_b32_e32 v11, 0x80000000, v11
	v_or3_b32 v10, v14, v11, v10
.LBB342_1408:                           ;   in Loop: Header=BB342_1056 Depth=1
	s_or_b32 exec_lo, exec_lo, s20
.LBB342_1409:                           ;   in Loop: Header=BB342_1056 Depth=1
	s_or_b32 exec_lo, exec_lo, s19
.LBB342_1410:                           ;   in Loop: Header=BB342_1056 Depth=1
	s_or_b32 exec_lo, exec_lo, s18
	s_mov_b32 s18, exec_lo
	v_cmpx_lt_u32_e32 0xffffff, v21
	s_cbranch_execz .LBB342_1418
; %bb.1411:                             ;   in Loop: Header=BB342_1056 Depth=1
	v_cmp_ne_u32_sdwa s5, v21, v67 src0_sel:BYTE_3 src1_sel:DWORD
	v_bfrev_b32_e32 v13, 1
	s_and_saveexec_b32 s19, s5
	s_cbranch_execz .LBB342_1417
; %bb.1412:                             ;   in Loop: Header=BB342_1056 Depth=1
	v_bfe_u32 v14, v21, 24, 7
	v_mov_b32_e32 v13, 0x7f800001
	s_mov_b32 s20, exec_lo
	v_cmpx_ne_u32_e32 0x7f, v14
	s_cbranch_execz .LBB342_1416
; %bb.1413:                             ;   in Loop: Header=BB342_1056 Depth=1
	v_mov_b32_e32 v11, 7
	v_lshrrev_b32_e32 v13, 3, v14
	s_mov_b32 s21, exec_lo
	v_and_b32_sdwa v11, v21, v11 dst_sel:DWORD dst_unused:UNUSED_PAD src0_sel:BYTE_3 src1_sel:DWORD
	v_mov_b32_e32 v24, v12
	v_mov_b32_e32 v23, v11
	v_cmpx_gt_u32_e32 8, v14
; %bb.1414:                             ;   in Loop: Header=BB342_1056 Depth=1
	v_ffbh_u32_e32 v13, v11
	v_min_u32_e32 v13, 32, v13
	v_subrev_nc_u32_e32 v14, 28, v13
	v_sub_nc_u32_e32 v13, 29, v13
	v_lshlrev_b64 v[17:18], v14, v[11:12]
	v_and_b32_e32 v23, 7, v17
; %bb.1415:                             ;   in Loop: Header=BB342_1056 Depth=1
	s_or_b32 exec_lo, exec_lo, s21
	v_mov_b32_e32 v11, 24
	v_lshlrev_b32_e32 v14, 20, v23
	v_lshl_add_u32 v13, v13, 23, 0x3c000000
	v_lshlrev_b32_sdwa v11, v11, v21 dst_sel:DWORD dst_unused:UNUSED_PAD src0_sel:DWORD src1_sel:BYTE_3
	v_and_b32_e32 v11, 0x80000000, v11
	v_or3_b32 v13, v14, v11, v13
.LBB342_1416:                           ;   in Loop: Header=BB342_1056 Depth=1
	s_or_b32 exec_lo, exec_lo, s20
.LBB342_1417:                           ;   in Loop: Header=BB342_1056 Depth=1
	s_or_b32 exec_lo, exec_lo, s19
.LBB342_1418:                           ;   in Loop: Header=BB342_1056 Depth=1
	s_or_b32 exec_lo, exec_lo, s18
	v_mov_b32_e32 v11, v22
	v_cmp_ne_u16_sdwa s5, v22, v12 src0_sel:BYTE_0 src1_sel:DWORD
	v_mov_b32_e32 v17, 0
	v_mov_b32_e32 v14, 0
	s_and_saveexec_b32 s18, s5
	s_cbranch_execz .LBB342_1426
; %bb.1419:                             ;   in Loop: Header=BB342_1056 Depth=1
	v_cmp_ne_u16_sdwa s5, v22, v67 src0_sel:BYTE_0 src1_sel:DWORD
	v_bfrev_b32_e32 v14, 1
	s_and_saveexec_b32 s19, s5
	s_cbranch_execz .LBB342_1425
; %bb.1420:                             ;   in Loop: Header=BB342_1056 Depth=1
	v_and_b32_e32 v18, 0x7f, v22
	v_mov_b32_e32 v14, 0x7f800001
	s_mov_b32 s20, exec_lo
	v_cmpx_ne_u32_e32 0x7f, v18
	s_cbranch_execz .LBB342_1424
; %bb.1421:                             ;   in Loop: Header=BB342_1056 Depth=1
	v_mov_b32_e32 v24, v12
	v_lshrrev_b32_e32 v14, 3, v18
	v_mov_b32_e32 v23, v11
	s_mov_b32 s21, exec_lo
	v_cmpx_gt_u32_e32 8, v18
; %bb.1422:                             ;   in Loop: Header=BB342_1056 Depth=1
	v_and_b32_e32 v14, 7, v22
	v_ffbh_u32_e32 v14, v14
	v_min_u32_e32 v14, 32, v14
	v_subrev_nc_u32_e32 v18, 28, v14
	v_sub_nc_u32_e32 v14, 29, v14
	v_lshlrev_b64 v[23:24], v18, v[11:12]
; %bb.1423:                             ;   in Loop: Header=BB342_1056 Depth=1
	s_or_b32 exec_lo, exec_lo, s21
	v_lshlrev_b32_e32 v18, 20, v23
	v_lshlrev_b32_e32 v23, 24, v11
	v_lshl_add_u32 v14, v14, 23, 0x3c000000
	v_and_b32_e32 v18, 0x700000, v18
	v_and_b32_e32 v23, 0x80000000, v23
	v_or3_b32 v14, v18, v23, v14
.LBB342_1424:                           ;   in Loop: Header=BB342_1056 Depth=1
	s_or_b32 exec_lo, exec_lo, s20
.LBB342_1425:                           ;   in Loop: Header=BB342_1056 Depth=1
	s_or_b32 exec_lo, exec_lo, s19
.LBB342_1426:                           ;   in Loop: Header=BB342_1056 Depth=1
	s_or_b32 exec_lo, exec_lo, s18
	v_cmp_ne_u16_sdwa s5, v11, v12 src0_sel:BYTE_1 src1_sel:DWORD
	s_and_saveexec_b32 s18, s5
	s_cbranch_execz .LBB342_1434
; %bb.1427:                             ;   in Loop: Header=BB342_1056 Depth=1
	v_cmp_ne_u16_sdwa s5, v11, v67 src0_sel:BYTE_1 src1_sel:DWORD
	v_bfrev_b32_e32 v17, 1
	s_and_saveexec_b32 s19, s5
	s_cbranch_execz .LBB342_1433
; %bb.1428:                             ;   in Loop: Header=BB342_1056 Depth=1
	v_and_b32_sdwa v23, v94, v11 dst_sel:DWORD dst_unused:UNUSED_PAD src0_sel:DWORD src1_sel:BYTE_1
	v_mov_b32_e32 v17, 0x7f800001
	s_mov_b32 s20, exec_lo
	v_and_b32_e32 v18, 0x7f, v23
	v_cmpx_ne_u32_e32 0x7f, v18
	s_cbranch_execz .LBB342_1432
; %bb.1429:                             ;   in Loop: Header=BB342_1056 Depth=1
	v_and_b32_e32 v23, 7, v23
	v_mov_b32_e32 v24, v12
	v_lshrrev_b32_e32 v17, 3, v18
	s_mov_b32 s21, exec_lo
	v_cmpx_gt_u32_e32 8, v18
; %bb.1430:                             ;   in Loop: Header=BB342_1056 Depth=1
	v_ffbh_u32_e32 v17, v23
	v_min_u32_e32 v17, 32, v17
	v_subrev_nc_u32_e32 v18, 28, v17
	v_sub_nc_u32_e32 v17, 29, v17
	v_lshlrev_b64 v[23:24], v18, v[23:24]
	v_and_b32_e32 v23, 7, v23
; %bb.1431:                             ;   in Loop: Header=BB342_1056 Depth=1
	s_or_b32 exec_lo, exec_lo, s21
	v_lshlrev_b32_e32 v11, 16, v11
	v_lshlrev_b32_e32 v18, 20, v23
	v_lshl_add_u32 v17, v17, 23, 0x3c000000
	v_and_b32_e32 v11, 0x80000000, v11
	v_or3_b32 v17, v18, v11, v17
.LBB342_1432:                           ;   in Loop: Header=BB342_1056 Depth=1
	s_or_b32 exec_lo, exec_lo, s20
.LBB342_1433:                           ;   in Loop: Header=BB342_1056 Depth=1
	s_or_b32 exec_lo, exec_lo, s19
.LBB342_1434:                           ;   in Loop: Header=BB342_1056 Depth=1
	s_or_b32 exec_lo, exec_lo, s18
	v_and_b32_sdwa v11, v22, v69 dst_sel:DWORD dst_unused:UNUSED_PAD src0_sel:WORD_1 src1_sel:DWORD
	v_mov_b32_e32 v18, 0
	v_mov_b32_e32 v25, 0
	s_mov_b32 s18, exec_lo
	v_cmpx_ne_u16_e32 0, v11
	s_cbranch_execz .LBB342_1442
; %bb.1435:                             ;   in Loop: Header=BB342_1056 Depth=1
	v_bfrev_b32_e32 v25, 1
	s_mov_b32 s19, exec_lo
	v_cmpx_ne_u16_e32 0x80, v11
	s_cbranch_execz .LBB342_1441
; %bb.1436:                             ;   in Loop: Header=BB342_1056 Depth=1
	v_bfe_u32 v23, v22, 16, 7
	v_mov_b32_e32 v25, 0x7f800001
	s_mov_b32 s20, exec_lo
	v_cmpx_ne_u32_e32 0x7f, v23
	s_cbranch_execz .LBB342_1440
; %bb.1437:                             ;   in Loop: Header=BB342_1056 Depth=1
	v_mov_b32_e32 v11, 7
	v_lshrrev_b32_e32 v25, 3, v23
	v_cmp_gt_u32_e64 s5, 8, v23
	v_and_b32_sdwa v11, v22, v11 dst_sel:DWORD dst_unused:UNUSED_PAD src0_sel:WORD_1 src1_sel:DWORD
	v_mov_b32_e32 v24, v12
	v_mov_b32_e32 v23, v11
	s_and_saveexec_b32 s21, s5
; %bb.1438:                             ;   in Loop: Header=BB342_1056 Depth=1
	v_ffbh_u32_e32 v23, v11
	v_min_u32_e32 v25, 32, v23
	v_subrev_nc_u32_e32 v23, 28, v25
	v_sub_nc_u32_e32 v25, 29, v25
	v_lshlrev_b64 v[23:24], v23, v[11:12]
	v_and_b32_e32 v23, 7, v23
; %bb.1439:                             ;   in Loop: Header=BB342_1056 Depth=1
	s_or_b32 exec_lo, exec_lo, s21
	v_mov_b32_e32 v11, 24
	v_lshlrev_b32_e32 v23, 20, v23
	v_lshl_add_u32 v24, v25, 23, 0x3c000000
	v_lshlrev_b32_sdwa v11, v11, v22 dst_sel:DWORD dst_unused:UNUSED_PAD src0_sel:DWORD src1_sel:WORD_1
	v_and_b32_e32 v11, 0x80000000, v11
	v_or3_b32 v25, v23, v11, v24
.LBB342_1440:                           ;   in Loop: Header=BB342_1056 Depth=1
	s_or_b32 exec_lo, exec_lo, s20
.LBB342_1441:                           ;   in Loop: Header=BB342_1056 Depth=1
	s_or_b32 exec_lo, exec_lo, s19
.LBB342_1442:                           ;   in Loop: Header=BB342_1056 Depth=1
	s_or_b32 exec_lo, exec_lo, s18
	s_mov_b32 s18, exec_lo
	v_cmpx_lt_u64_e64 s[6:7], v[21:22]
	s_cbranch_execz .LBB342_1450
; %bb.1443:                             ;   in Loop: Header=BB342_1056 Depth=1
	v_cmp_ne_u32_sdwa s5, v22, v67 src0_sel:BYTE_3 src1_sel:DWORD
	v_bfrev_b32_e32 v18, 1
	s_and_saveexec_b32 s19, s5
	s_cbranch_execz .LBB342_1449
; %bb.1444:                             ;   in Loop: Header=BB342_1056 Depth=1
	v_bfe_u32 v21, v22, 24, 7
	v_mov_b32_e32 v18, 0x7f800001
	s_mov_b32 s20, exec_lo
	v_cmpx_ne_u32_e32 0x7f, v21
	s_cbranch_execz .LBB342_1448
; %bb.1445:                             ;   in Loop: Header=BB342_1056 Depth=1
	v_mov_b32_e32 v11, 7
	v_lshrrev_b32_e32 v18, 3, v21
	s_mov_b32 s21, exec_lo
	v_and_b32_sdwa v11, v22, v11 dst_sel:DWORD dst_unused:UNUSED_PAD src0_sel:BYTE_3 src1_sel:DWORD
	v_mov_b32_e32 v24, v12
	v_mov_b32_e32 v23, v11
	v_cmpx_gt_u32_e32 8, v21
; %bb.1446:                             ;   in Loop: Header=BB342_1056 Depth=1
	v_ffbh_u32_e32 v18, v11
	v_min_u32_e32 v18, 32, v18
	v_subrev_nc_u32_e32 v21, 28, v18
	v_sub_nc_u32_e32 v18, 29, v18
	v_lshlrev_b64 v[23:24], v21, v[11:12]
	v_and_b32_e32 v23, 7, v23
; %bb.1447:                             ;   in Loop: Header=BB342_1056 Depth=1
	s_or_b32 exec_lo, exec_lo, s21
	v_mov_b32_e32 v11, 24
	v_lshlrev_b32_e32 v21, 20, v23
	v_lshl_add_u32 v18, v18, 23, 0x3c000000
	v_lshlrev_b32_sdwa v11, v11, v22 dst_sel:DWORD dst_unused:UNUSED_PAD src0_sel:DWORD src1_sel:BYTE_3
	v_and_b32_e32 v11, 0x80000000, v11
	v_or3_b32 v18, v21, v11, v18
.LBB342_1448:                           ;   in Loop: Header=BB342_1056 Depth=1
	s_or_b32 exec_lo, exec_lo, s20
.LBB342_1449:                           ;   in Loop: Header=BB342_1056 Depth=1
	s_or_b32 exec_lo, exec_lo, s19
.LBB342_1450:                           ;   in Loop: Header=BB342_1056 Depth=1
	s_or_b32 exec_lo, exec_lo, s18
	v_mul_f32_e32 v11, v64, v17
	v_mul_f32_e32 v14, v64, v14
	;; [unrolled: 1-line block ×5, first 2 shown]
	v_bfe_u32 v17, v11, 16, 1
	v_or_b32_e32 v21, 0x400000, v11
	v_bfe_u32 v22, v14, 16, 1
	v_cmp_u_f32_e64 s5, v11, v11
	v_or_b32_e32 v23, 0x400000, v14
	v_add3_u32 v17, v17, v11, 0x7fff
	v_bfe_u32 v24, v13, 16, 1
	v_add3_u32 v22, v22, v14, 0x7fff
	v_or_b32_e32 v28, 0x400000, v13
	v_bfe_u32 v29, v10, 16, 1
	v_cndmask_b32_e64 v11, v17, v21, s5
	v_cmp_u_f32_e64 s5, v14, v14
	v_add3_u32 v24, v24, v13, 0x7fff
	v_or_b32_e32 v17, 0x400000, v10
	v_mul_f32_e32 v0, v64, v0
	v_lshrrev_b32_e32 v11, 16, v11
	v_cndmask_b32_e64 v14, v22, v23, s5
	v_cmp_u_f32_e64 s5, v13, v13
	buffer_store_dword v11, off, s[0:3], s32 offset:372 ; 4-byte Folded Spill
	v_add3_u32 v11, v29, v10, 0x7fff
	v_cndmask_b32_e64 v13, v24, v28, s5
	v_lshrrev_b32_e32 v14, 16, v14
	v_cmp_u_f32_e64 s5, v10, v10
	v_lshrrev_b32_e32 v13, 16, v13
	buffer_store_dword v14, off, s[0:3], s32 offset:368 ; 4-byte Folded Spill
	v_cndmask_b32_e64 v10, v11, v17, s5
	v_mul_f32_e32 v11, v64, v25
	v_or_b32_e32 v14, 0x400000, v1
	buffer_store_dword v13, off, s[0:3], s32 offset:384 ; 4-byte Folded Spill
	v_bfe_u32 v13, v1, 16, 1
	v_mul_f32_e32 v17, v64, v18
	v_bfe_u32 v18, v0, 16, 1
	v_cmp_u_f32_e64 s5, v1, v1
	v_bfe_u32 v21, v11, 16, 1
	v_add3_u32 v13, v13, v1, 0x7fff
	v_or_b32_e32 v22, 0x400000, v11
	v_or_b32_e32 v23, 0x400000, v17
	v_lshrrev_b32_e32 v10, 16, v10
	v_add3_u32 v21, v21, v11, 0x7fff
	v_cndmask_b32_e64 v1, v13, v14, s5
	v_add3_u32 v14, v18, v0, 0x7fff
	v_or_b32_e32 v18, 0x400000, v0
	v_cmp_u_f32_e64 s5, v0, v0
	v_bfe_u32 v13, v17, 16, 1
	v_lshrrev_b32_e32 v95, 16, v1
	buffer_store_dword v10, off, s[0:3], s32 offset:388 ; 4-byte Folded Spill
	v_cndmask_b32_e64 v0, v14, v18, s5
	v_cmp_u_f32_e64 s5, v11, v11
	v_add3_u32 v13, v13, v17, 0x7fff
	v_lshrrev_b32_e32 v0, 16, v0
	v_cndmask_b32_e64 v11, v21, v22, s5
	v_cmp_u_f32_e64 s5, v17, v17
	buffer_store_dword v0, off, s[0:3], s32 offset:392 ; 4-byte Folded Spill
	v_lshrrev_b32_e32 v0, 16, v11
	v_cndmask_b32_e64 v13, v13, v23, s5
	buffer_store_dword v0, off, s[0:3], s32 offset:376 ; 4-byte Folded Spill
	v_lshrrev_b32_e32 v0, 16, v13
	buffer_store_dword v0, off, s[0:3], s32 offset:380 ; 4-byte Folded Spill
	s_and_saveexec_b32 s18, vcc_lo
	s_cbranch_execz .LBB342_1452
; %bb.1451:                             ;   in Loop: Header=BB342_1056 Depth=1
	s_clause 0x1
	buffer_load_dword v0, off, s[0:3], s32 offset:196
	buffer_load_dword v1, off, s[0:3], s32 offset:392
	s_waitcnt vmcnt(1)
	v_cmp_lt_i32_e64 s5, v57, v0
	s_waitcnt vmcnt(0)
	v_cndmask_b32_e64 v1, 0, v1, s5
	v_cmp_lt_i32_e64 s5, v63, v0
	buffer_store_dword v1, off, s[0:3], s32 offset:392 ; 4-byte Folded Spill
	buffer_load_dword v1, off, s[0:3], s32 offset:388 ; 4-byte Folded Reload
	v_cndmask_b32_e64 v95, 0, v95, s5
	v_cmp_lt_i32_e64 s5, v62, v0
	s_waitcnt vmcnt(0)
	v_cndmask_b32_e64 v1, 0, v1, s5
	v_cmp_lt_i32_e64 s5, v61, v0
	buffer_store_dword v1, off, s[0:3], s32 offset:388 ; 4-byte Folded Spill
	buffer_load_dword v1, off, s[0:3], s32 offset:384 ; 4-byte Folded Reload
	s_waitcnt vmcnt(0)
	v_cndmask_b32_e64 v1, 0, v1, s5
	v_cmp_lt_i32_e64 s5, v60, v0
	buffer_store_dword v1, off, s[0:3], s32 offset:384 ; 4-byte Folded Spill
	buffer_load_dword v1, off, s[0:3], s32 offset:368 ; 4-byte Folded Reload
	;; [unrolled: 5-line block ×4, first 2 shown]
	s_waitcnt vmcnt(0)
	v_cndmask_b32_e64 v1, 0, v1, s5
	v_cmp_lt_i32_e64 s5, v65, v0
	buffer_load_dword v0, off, s[0:3], s32 offset:380 ; 4-byte Folded Reload
	buffer_store_dword v1, off, s[0:3], s32 offset:376 ; 4-byte Folded Spill
	s_waitcnt vmcnt(0)
	v_cndmask_b32_e64 v0, 0, v0, s5
	buffer_store_dword v0, off, s[0:3], s32 offset:380 ; 4-byte Folded Spill
.LBB342_1452:                           ;   in Loop: Header=BB342_1056 Depth=1
	s_or_b32 exec_lo, exec_lo, s18
	flat_load_dwordx2 v[21:22], v[19:20] offset:1536
	v_mov_b32_e32 v0, 0
	v_mov_b32_e32 v10, 0
	s_waitcnt vmcnt(0) lgkmcnt(0)
	v_cmp_ne_u16_sdwa s5, v21, v12 src0_sel:BYTE_0 src1_sel:DWORD
	s_and_saveexec_b32 s18, s5
	s_cbranch_execz .LBB342_1460
; %bb.1453:                             ;   in Loop: Header=BB342_1056 Depth=1
	v_cmp_ne_u16_sdwa s5, v21, v67 src0_sel:BYTE_0 src1_sel:DWORD
	v_bfrev_b32_e32 v10, 1
	s_and_saveexec_b32 s19, s5
	s_cbranch_execz .LBB342_1459
; %bb.1454:                             ;   in Loop: Header=BB342_1056 Depth=1
	v_and_b32_e32 v11, 0x7f, v21
	v_mov_b32_e32 v10, 0x7f800001
	s_mov_b32 s20, exec_lo
	v_cmpx_ne_u32_e32 0x7f, v11
	s_cbranch_execz .LBB342_1458
; %bb.1455:                             ;   in Loop: Header=BB342_1056 Depth=1
	v_lshrrev_b32_e32 v1, 3, v11
	v_cmp_gt_u32_e64 s5, 8, v11
	v_mov_b32_e32 v10, v21
	v_mov_b32_e32 v11, v22
	s_and_saveexec_b32 s21, s5
; %bb.1456:                             ;   in Loop: Header=BB342_1056 Depth=1
	v_and_b32_e32 v1, 7, v21
	v_ffbh_u32_e32 v1, v1
	v_min_u32_e32 v1, 32, v1
	v_subrev_nc_u32_e32 v10, 28, v1
	v_sub_nc_u32_e32 v1, 29, v1
	v_lshlrev_b64 v[10:11], v10, v[21:22]
; %bb.1457:                             ;   in Loop: Header=BB342_1056 Depth=1
	s_or_b32 exec_lo, exec_lo, s21
	v_lshlrev_b32_e32 v10, 20, v10
	v_lshlrev_b32_e32 v11, 24, v21
	v_lshl_add_u32 v1, v1, 23, 0x3c000000
	v_and_b32_e32 v10, 0x700000, v10
	v_and_b32_e32 v11, 0x80000000, v11
	v_or3_b32 v10, v10, v11, v1
.LBB342_1458:                           ;   in Loop: Header=BB342_1056 Depth=1
	s_or_b32 exec_lo, exec_lo, s20
.LBB342_1459:                           ;   in Loop: Header=BB342_1056 Depth=1
	s_or_b32 exec_lo, exec_lo, s19
.LBB342_1460:                           ;   in Loop: Header=BB342_1056 Depth=1
	s_or_b32 exec_lo, exec_lo, s18
	v_cmp_ne_u16_sdwa s5, v21, v12 src0_sel:BYTE_1 src1_sel:DWORD
	s_and_saveexec_b32 s18, s5
	s_cbranch_execz .LBB342_1468
; %bb.1461:                             ;   in Loop: Header=BB342_1056 Depth=1
	v_cmp_ne_u16_sdwa s5, v21, v67 src0_sel:BYTE_1 src1_sel:DWORD
	v_bfrev_b32_e32 v0, 1
	s_and_saveexec_b32 s19, s5
	s_cbranch_execz .LBB342_1467
; %bb.1462:                             ;   in Loop: Header=BB342_1056 Depth=1
	v_and_b32_sdwa v11, v94, v21 dst_sel:DWORD dst_unused:UNUSED_PAD src0_sel:DWORD src1_sel:BYTE_1
	v_mov_b32_e32 v0, 0x7f800001
	s_mov_b32 s20, exec_lo
	v_and_b32_e32 v1, 0x7f, v11
	v_cmpx_ne_u32_e32 0x7f, v1
	s_cbranch_execz .LBB342_1466
; %bb.1463:                             ;   in Loop: Header=BB342_1056 Depth=1
	v_and_b32_e32 v11, 7, v11
	v_mov_b32_e32 v24, v12
	v_lshrrev_b32_e32 v0, 3, v1
	s_mov_b32 s21, exec_lo
	v_mov_b32_e32 v23, v11
	v_cmpx_gt_u32_e32 8, v1
; %bb.1464:                             ;   in Loop: Header=BB342_1056 Depth=1
	v_ffbh_u32_e32 v0, v11
	v_min_u32_e32 v0, 32, v0
	v_subrev_nc_u32_e32 v1, 28, v0
	v_sub_nc_u32_e32 v0, 29, v0
	v_lshlrev_b64 v[13:14], v1, v[11:12]
	v_and_b32_e32 v23, 7, v13
; %bb.1465:                             ;   in Loop: Header=BB342_1056 Depth=1
	s_or_b32 exec_lo, exec_lo, s21
	v_lshlrev_b32_e32 v1, 16, v21
	v_lshlrev_b32_e32 v11, 20, v23
	v_lshl_add_u32 v0, v0, 23, 0x3c000000
	v_and_b32_e32 v1, 0x80000000, v1
	v_or3_b32 v0, v11, v1, v0
.LBB342_1466:                           ;   in Loop: Header=BB342_1056 Depth=1
	s_or_b32 exec_lo, exec_lo, s20
.LBB342_1467:                           ;   in Loop: Header=BB342_1056 Depth=1
	s_or_b32 exec_lo, exec_lo, s19
.LBB342_1468:                           ;   in Loop: Header=BB342_1056 Depth=1
	s_or_b32 exec_lo, exec_lo, s18
	v_and_b32_sdwa v11, v21, v69 dst_sel:DWORD dst_unused:UNUSED_PAD src0_sel:WORD_1 src1_sel:DWORD
	v_mov_b32_e32 v13, 0
	v_mov_b32_e32 v1, 0
	s_mov_b32 s18, exec_lo
	v_cmpx_ne_u16_e32 0, v11
	s_cbranch_execz .LBB342_1476
; %bb.1469:                             ;   in Loop: Header=BB342_1056 Depth=1
	v_bfrev_b32_e32 v1, 1
	s_mov_b32 s19, exec_lo
	v_cmpx_ne_u16_e32 0x80, v11
	s_cbranch_execz .LBB342_1475
; %bb.1470:                             ;   in Loop: Header=BB342_1056 Depth=1
	v_bfe_u32 v14, v21, 16, 7
	v_mov_b32_e32 v1, 0x7f800001
	s_mov_b32 s20, exec_lo
	v_cmpx_ne_u32_e32 0x7f, v14
	s_cbranch_execz .LBB342_1474
; %bb.1471:                             ;   in Loop: Header=BB342_1056 Depth=1
	v_mov_b32_e32 v1, 7
	s_mov_b32 s21, exec_lo
	v_and_b32_sdwa v11, v21, v1 dst_sel:DWORD dst_unused:UNUSED_PAD src0_sel:WORD_1 src1_sel:DWORD
	v_mov_b32_e32 v24, v12
	v_lshrrev_b32_e32 v1, 3, v14
	v_mov_b32_e32 v23, v11
	v_cmpx_gt_u32_e32 8, v14
; %bb.1472:                             ;   in Loop: Header=BB342_1056 Depth=1
	v_ffbh_u32_e32 v1, v11
	v_min_u32_e32 v1, 32, v1
	v_subrev_nc_u32_e32 v14, 28, v1
	v_sub_nc_u32_e32 v1, 29, v1
	v_lshlrev_b64 v[17:18], v14, v[11:12]
	v_and_b32_e32 v23, 7, v17
; %bb.1473:                             ;   in Loop: Header=BB342_1056 Depth=1
	s_or_b32 exec_lo, exec_lo, s21
	v_mov_b32_e32 v11, 24
	v_lshlrev_b32_e32 v14, 20, v23
	v_lshl_add_u32 v1, v1, 23, 0x3c000000
	v_lshlrev_b32_sdwa v11, v11, v21 dst_sel:DWORD dst_unused:UNUSED_PAD src0_sel:DWORD src1_sel:WORD_1
	v_and_b32_e32 v11, 0x80000000, v11
	v_or3_b32 v1, v14, v11, v1
.LBB342_1474:                           ;   in Loop: Header=BB342_1056 Depth=1
	s_or_b32 exec_lo, exec_lo, s20
.LBB342_1475:                           ;   in Loop: Header=BB342_1056 Depth=1
	s_or_b32 exec_lo, exec_lo, s19
.LBB342_1476:                           ;   in Loop: Header=BB342_1056 Depth=1
	s_or_b32 exec_lo, exec_lo, s18
	s_mov_b32 s18, exec_lo
	v_cmpx_lt_u32_e32 0xffffff, v21
	s_cbranch_execz .LBB342_1484
; %bb.1477:                             ;   in Loop: Header=BB342_1056 Depth=1
	v_cmp_ne_u32_sdwa s5, v21, v67 src0_sel:BYTE_3 src1_sel:DWORD
	v_bfrev_b32_e32 v13, 1
	s_and_saveexec_b32 s19, s5
	s_cbranch_execz .LBB342_1483
; %bb.1478:                             ;   in Loop: Header=BB342_1056 Depth=1
	v_bfe_u32 v14, v21, 24, 7
	v_mov_b32_e32 v13, 0x7f800001
	s_mov_b32 s20, exec_lo
	v_cmpx_ne_u32_e32 0x7f, v14
	s_cbranch_execz .LBB342_1482
; %bb.1479:                             ;   in Loop: Header=BB342_1056 Depth=1
	v_mov_b32_e32 v11, 7
	v_lshrrev_b32_e32 v13, 3, v14
	s_mov_b32 s21, exec_lo
	v_and_b32_sdwa v11, v21, v11 dst_sel:DWORD dst_unused:UNUSED_PAD src0_sel:BYTE_3 src1_sel:DWORD
	v_mov_b32_e32 v24, v12
	v_mov_b32_e32 v23, v11
	v_cmpx_gt_u32_e32 8, v14
; %bb.1480:                             ;   in Loop: Header=BB342_1056 Depth=1
	v_ffbh_u32_e32 v13, v11
	v_min_u32_e32 v13, 32, v13
	v_subrev_nc_u32_e32 v14, 28, v13
	v_sub_nc_u32_e32 v13, 29, v13
	v_lshlrev_b64 v[17:18], v14, v[11:12]
	v_and_b32_e32 v23, 7, v17
; %bb.1481:                             ;   in Loop: Header=BB342_1056 Depth=1
	s_or_b32 exec_lo, exec_lo, s21
	v_mov_b32_e32 v11, 24
	v_lshlrev_b32_e32 v14, 20, v23
	v_lshl_add_u32 v13, v13, 23, 0x3c000000
	v_lshlrev_b32_sdwa v11, v11, v21 dst_sel:DWORD dst_unused:UNUSED_PAD src0_sel:DWORD src1_sel:BYTE_3
	v_and_b32_e32 v11, 0x80000000, v11
	v_or3_b32 v13, v14, v11, v13
.LBB342_1482:                           ;   in Loop: Header=BB342_1056 Depth=1
	s_or_b32 exec_lo, exec_lo, s20
.LBB342_1483:                           ;   in Loop: Header=BB342_1056 Depth=1
	s_or_b32 exec_lo, exec_lo, s19
.LBB342_1484:                           ;   in Loop: Header=BB342_1056 Depth=1
	s_or_b32 exec_lo, exec_lo, s18
	v_mov_b32_e32 v11, v22
	v_cmp_ne_u16_sdwa s5, v22, v12 src0_sel:BYTE_0 src1_sel:DWORD
	v_mov_b32_e32 v17, 0
	v_mov_b32_e32 v14, 0
	s_and_saveexec_b32 s18, s5
	s_cbranch_execz .LBB342_1492
; %bb.1485:                             ;   in Loop: Header=BB342_1056 Depth=1
	v_cmp_ne_u16_sdwa s5, v22, v67 src0_sel:BYTE_0 src1_sel:DWORD
	v_bfrev_b32_e32 v14, 1
	s_and_saveexec_b32 s19, s5
	s_cbranch_execz .LBB342_1491
; %bb.1486:                             ;   in Loop: Header=BB342_1056 Depth=1
	v_and_b32_e32 v18, 0x7f, v22
	v_mov_b32_e32 v14, 0x7f800001
	s_mov_b32 s20, exec_lo
	v_cmpx_ne_u32_e32 0x7f, v18
	s_cbranch_execz .LBB342_1490
; %bb.1487:                             ;   in Loop: Header=BB342_1056 Depth=1
	v_mov_b32_e32 v24, v12
	v_lshrrev_b32_e32 v14, 3, v18
	v_mov_b32_e32 v23, v11
	s_mov_b32 s21, exec_lo
	v_cmpx_gt_u32_e32 8, v18
; %bb.1488:                             ;   in Loop: Header=BB342_1056 Depth=1
	v_and_b32_e32 v14, 7, v22
	v_ffbh_u32_e32 v14, v14
	v_min_u32_e32 v14, 32, v14
	v_subrev_nc_u32_e32 v18, 28, v14
	v_sub_nc_u32_e32 v14, 29, v14
	v_lshlrev_b64 v[23:24], v18, v[11:12]
; %bb.1489:                             ;   in Loop: Header=BB342_1056 Depth=1
	s_or_b32 exec_lo, exec_lo, s21
	v_lshlrev_b32_e32 v18, 20, v23
	v_lshlrev_b32_e32 v23, 24, v11
	v_lshl_add_u32 v14, v14, 23, 0x3c000000
	v_and_b32_e32 v18, 0x700000, v18
	v_and_b32_e32 v23, 0x80000000, v23
	v_or3_b32 v14, v18, v23, v14
.LBB342_1490:                           ;   in Loop: Header=BB342_1056 Depth=1
	s_or_b32 exec_lo, exec_lo, s20
.LBB342_1491:                           ;   in Loop: Header=BB342_1056 Depth=1
	s_or_b32 exec_lo, exec_lo, s19
.LBB342_1492:                           ;   in Loop: Header=BB342_1056 Depth=1
	s_or_b32 exec_lo, exec_lo, s18
	v_cmp_ne_u16_sdwa s5, v11, v12 src0_sel:BYTE_1 src1_sel:DWORD
	s_and_saveexec_b32 s18, s5
	s_cbranch_execz .LBB342_1500
; %bb.1493:                             ;   in Loop: Header=BB342_1056 Depth=1
	v_cmp_ne_u16_sdwa s5, v11, v67 src0_sel:BYTE_1 src1_sel:DWORD
	v_bfrev_b32_e32 v17, 1
	s_and_saveexec_b32 s19, s5
	s_cbranch_execz .LBB342_1499
; %bb.1494:                             ;   in Loop: Header=BB342_1056 Depth=1
	v_and_b32_sdwa v23, v94, v11 dst_sel:DWORD dst_unused:UNUSED_PAD src0_sel:DWORD src1_sel:BYTE_1
	v_mov_b32_e32 v17, 0x7f800001
	s_mov_b32 s20, exec_lo
	v_and_b32_e32 v18, 0x7f, v23
	v_cmpx_ne_u32_e32 0x7f, v18
	s_cbranch_execz .LBB342_1498
; %bb.1495:                             ;   in Loop: Header=BB342_1056 Depth=1
	v_and_b32_e32 v23, 7, v23
	v_mov_b32_e32 v24, v12
	v_lshrrev_b32_e32 v17, 3, v18
	s_mov_b32 s21, exec_lo
	v_cmpx_gt_u32_e32 8, v18
; %bb.1496:                             ;   in Loop: Header=BB342_1056 Depth=1
	v_ffbh_u32_e32 v17, v23
	v_min_u32_e32 v17, 32, v17
	v_subrev_nc_u32_e32 v18, 28, v17
	v_sub_nc_u32_e32 v17, 29, v17
	v_lshlrev_b64 v[23:24], v18, v[23:24]
	v_and_b32_e32 v23, 7, v23
; %bb.1497:                             ;   in Loop: Header=BB342_1056 Depth=1
	s_or_b32 exec_lo, exec_lo, s21
	v_lshlrev_b32_e32 v11, 16, v11
	v_lshlrev_b32_e32 v18, 20, v23
	v_lshl_add_u32 v17, v17, 23, 0x3c000000
	v_and_b32_e32 v11, 0x80000000, v11
	v_or3_b32 v17, v18, v11, v17
.LBB342_1498:                           ;   in Loop: Header=BB342_1056 Depth=1
	s_or_b32 exec_lo, exec_lo, s20
.LBB342_1499:                           ;   in Loop: Header=BB342_1056 Depth=1
	s_or_b32 exec_lo, exec_lo, s19
.LBB342_1500:                           ;   in Loop: Header=BB342_1056 Depth=1
	s_or_b32 exec_lo, exec_lo, s18
	v_and_b32_sdwa v11, v22, v69 dst_sel:DWORD dst_unused:UNUSED_PAD src0_sel:WORD_1 src1_sel:DWORD
	v_mov_b32_e32 v18, 0
	v_mov_b32_e32 v25, 0
	s_mov_b32 s18, exec_lo
	v_cmpx_ne_u16_e32 0, v11
	s_cbranch_execz .LBB342_1508
; %bb.1501:                             ;   in Loop: Header=BB342_1056 Depth=1
	v_bfrev_b32_e32 v25, 1
	s_mov_b32 s19, exec_lo
	v_cmpx_ne_u16_e32 0x80, v11
	s_cbranch_execz .LBB342_1507
; %bb.1502:                             ;   in Loop: Header=BB342_1056 Depth=1
	v_bfe_u32 v23, v22, 16, 7
	v_mov_b32_e32 v25, 0x7f800001
	s_mov_b32 s20, exec_lo
	v_cmpx_ne_u32_e32 0x7f, v23
	s_cbranch_execz .LBB342_1506
; %bb.1503:                             ;   in Loop: Header=BB342_1056 Depth=1
	v_mov_b32_e32 v11, 7
	v_lshrrev_b32_e32 v25, 3, v23
	v_cmp_gt_u32_e64 s5, 8, v23
	v_and_b32_sdwa v11, v22, v11 dst_sel:DWORD dst_unused:UNUSED_PAD src0_sel:WORD_1 src1_sel:DWORD
	v_mov_b32_e32 v24, v12
	v_mov_b32_e32 v23, v11
	s_and_saveexec_b32 s21, s5
; %bb.1504:                             ;   in Loop: Header=BB342_1056 Depth=1
	v_ffbh_u32_e32 v23, v11
	v_min_u32_e32 v25, 32, v23
	v_subrev_nc_u32_e32 v23, 28, v25
	v_sub_nc_u32_e32 v25, 29, v25
	v_lshlrev_b64 v[23:24], v23, v[11:12]
	v_and_b32_e32 v23, 7, v23
; %bb.1505:                             ;   in Loop: Header=BB342_1056 Depth=1
	s_or_b32 exec_lo, exec_lo, s21
	v_mov_b32_e32 v11, 24
	v_lshlrev_b32_e32 v23, 20, v23
	v_lshl_add_u32 v24, v25, 23, 0x3c000000
	v_lshlrev_b32_sdwa v11, v11, v22 dst_sel:DWORD dst_unused:UNUSED_PAD src0_sel:DWORD src1_sel:WORD_1
	v_and_b32_e32 v11, 0x80000000, v11
	v_or3_b32 v25, v23, v11, v24
.LBB342_1506:                           ;   in Loop: Header=BB342_1056 Depth=1
	s_or_b32 exec_lo, exec_lo, s20
.LBB342_1507:                           ;   in Loop: Header=BB342_1056 Depth=1
	s_or_b32 exec_lo, exec_lo, s19
.LBB342_1508:                           ;   in Loop: Header=BB342_1056 Depth=1
	s_or_b32 exec_lo, exec_lo, s18
	s_mov_b32 s18, exec_lo
	v_cmpx_lt_u64_e64 s[6:7], v[21:22]
	s_cbranch_execz .LBB342_1516
; %bb.1509:                             ;   in Loop: Header=BB342_1056 Depth=1
	v_cmp_ne_u32_sdwa s5, v22, v67 src0_sel:BYTE_3 src1_sel:DWORD
	v_bfrev_b32_e32 v18, 1
	s_and_saveexec_b32 s19, s5
	s_cbranch_execz .LBB342_1515
; %bb.1510:                             ;   in Loop: Header=BB342_1056 Depth=1
	v_bfe_u32 v21, v22, 24, 7
	v_mov_b32_e32 v18, 0x7f800001
	s_mov_b32 s20, exec_lo
	v_cmpx_ne_u32_e32 0x7f, v21
	s_cbranch_execz .LBB342_1514
; %bb.1511:                             ;   in Loop: Header=BB342_1056 Depth=1
	v_mov_b32_e32 v11, 7
	v_lshrrev_b32_e32 v18, 3, v21
	s_mov_b32 s21, exec_lo
	v_and_b32_sdwa v11, v22, v11 dst_sel:DWORD dst_unused:UNUSED_PAD src0_sel:BYTE_3 src1_sel:DWORD
	v_mov_b32_e32 v24, v12
	v_mov_b32_e32 v23, v11
	v_cmpx_gt_u32_e32 8, v21
; %bb.1512:                             ;   in Loop: Header=BB342_1056 Depth=1
	v_ffbh_u32_e32 v18, v11
	v_min_u32_e32 v18, 32, v18
	v_subrev_nc_u32_e32 v21, 28, v18
	v_sub_nc_u32_e32 v18, 29, v18
	v_lshlrev_b64 v[23:24], v21, v[11:12]
	v_and_b32_e32 v23, 7, v23
; %bb.1513:                             ;   in Loop: Header=BB342_1056 Depth=1
	s_or_b32 exec_lo, exec_lo, s21
	v_mov_b32_e32 v11, 24
	v_lshlrev_b32_e32 v21, 20, v23
	v_lshl_add_u32 v18, v18, 23, 0x3c000000
	v_lshlrev_b32_sdwa v11, v11, v22 dst_sel:DWORD dst_unused:UNUSED_PAD src0_sel:DWORD src1_sel:BYTE_3
	v_and_b32_e32 v11, 0x80000000, v11
	v_or3_b32 v18, v21, v11, v18
.LBB342_1514:                           ;   in Loop: Header=BB342_1056 Depth=1
	s_or_b32 exec_lo, exec_lo, s20
.LBB342_1515:                           ;   in Loop: Header=BB342_1056 Depth=1
	s_or_b32 exec_lo, exec_lo, s19
.LBB342_1516:                           ;   in Loop: Header=BB342_1056 Depth=1
	s_or_b32 exec_lo, exec_lo, s18
	v_mul_f32_e32 v11, v64, v17
	v_mul_f32_e32 v14, v64, v14
	v_mul_f32_e32 v17, v64, v1
	v_mul_f32_e32 v13, v64, v13
	v_mul_f32_e32 v10, v64, v10
	v_bfe_u32 v1, v11, 16, 1
	v_or_b32_e32 v21, 0x400000, v11
	v_bfe_u32 v22, v14, 16, 1
	v_cmp_u_f32_e64 s5, v11, v11
	v_or_b32_e32 v23, 0x400000, v14
	v_add3_u32 v1, v1, v11, 0x7fff
	v_bfe_u32 v24, v13, 16, 1
	v_add3_u32 v22, v22, v14, 0x7fff
	v_or_b32_e32 v28, 0x400000, v13
	v_bfe_u32 v29, v17, 16, 1
	v_cndmask_b32_e64 v1, v1, v21, s5
	v_cmp_u_f32_e64 s5, v14, v14
	v_add3_u32 v24, v24, v13, 0x7fff
	v_mul_f32_e32 v14, v64, v0
	v_add3_u32 v21, v29, v17, 0x7fff
	v_mul_f32_e32 v18, v64, v18
	v_cndmask_b32_e64 v11, v22, v23, s5
	v_cmp_u_f32_e64 s5, v13, v13
	v_or_b32_e32 v22, 0x400000, v17
	v_lshrrev_b32_e32 v1, 16, v1
	v_lshrrev_b32_e32 v0, 16, v11
	v_cndmask_b32_e64 v13, v24, v28, s5
	v_bfe_u32 v11, v14, 16, 1
	v_cmp_u_f32_e64 s5, v17, v17
	v_mul_f32_e32 v17, v64, v25
	v_or_b32_e32 v25, 0x400000, v18
	v_lshrrev_b32_e32 v29, 16, v13
	v_add3_u32 v11, v11, v14, 0x7fff
	v_cndmask_b32_e64 v13, v21, v22, s5
	v_or_b32_e32 v21, 0x400000, v14
	v_bfe_u32 v22, v10, 16, 1
	v_cmp_u_f32_e64 s5, v14, v14
	v_bfe_u32 v23, v17, 16, 1
	v_bfe_u32 v14, v18, 16, 1
	v_or_b32_e32 v24, 0x400000, v17
	v_lshrrev_b32_e32 v30, 16, v13
	v_cndmask_b32_e64 v11, v11, v21, s5
	v_add3_u32 v21, v22, v10, 0x7fff
	v_or_b32_e32 v22, 0x400000, v10
	v_cmp_u_f32_e64 s5, v10, v10
	v_add3_u32 v23, v23, v17, 0x7fff
	v_add3_u32 v14, v14, v18, 0x7fff
	v_lshrrev_b32_e32 v104, 16, v11
	v_cndmask_b32_e64 v10, v21, v22, s5
	v_cmp_u_f32_e64 s5, v17, v17
	v_lshrrev_b32_e32 v31, 16, v10
	v_cndmask_b32_e64 v17, v23, v24, s5
	v_cmp_u_f32_e64 s5, v18, v18
	v_lshrrev_b32_e32 v18, 16, v17
	v_cndmask_b32_e64 v14, v14, v25, s5
	v_lshrrev_b32_e32 v28, 16, v14
	s_and_saveexec_b32 s18, vcc_lo
	s_cbranch_execz .LBB342_1518
; %bb.1517:                             ;   in Loop: Header=BB342_1056 Depth=1
	buffer_load_dword v10, off, s[0:3], s32 offset:196 ; 4-byte Folded Reload
	s_waitcnt vmcnt(0)
	v_cmp_lt_i32_e64 s5, v57, v10
	v_cndmask_b32_e64 v31, 0, v31, s5
	v_cmp_lt_i32_e64 s5, v63, v10
	v_cndmask_b32_e64 v104, 0, v104, s5
	;; [unrolled: 2-line block ×8, first 2 shown]
.LBB342_1518:                           ;   in Loop: Header=BB342_1056 Depth=1
	s_or_b32 exec_lo, exec_lo, s18
	flat_load_dwordx2 v[21:22], v[19:20] offset:1792
	v_mov_b32_e32 v13, 0
	v_mov_b32_e32 v10, 0
	s_waitcnt vmcnt(0) lgkmcnt(0)
	v_cmp_ne_u16_sdwa s5, v21, v12 src0_sel:BYTE_0 src1_sel:DWORD
	s_and_saveexec_b32 s18, s5
	s_cbranch_execz .LBB342_1526
; %bb.1519:                             ;   in Loop: Header=BB342_1056 Depth=1
	v_cmp_ne_u16_sdwa s5, v21, v67 src0_sel:BYTE_0 src1_sel:DWORD
	v_bfrev_b32_e32 v10, 1
	s_and_saveexec_b32 s19, s5
	s_cbranch_execz .LBB342_1525
; %bb.1520:                             ;   in Loop: Header=BB342_1056 Depth=1
	v_and_b32_e32 v11, 0x7f, v21
	v_mov_b32_e32 v10, 0x7f800001
	s_mov_b32 s20, exec_lo
	v_cmpx_ne_u32_e32 0x7f, v11
	s_cbranch_execz .LBB342_1524
; %bb.1521:                             ;   in Loop: Header=BB342_1056 Depth=1
	v_lshrrev_b32_e32 v14, 3, v11
	v_cmp_gt_u32_e64 s5, 8, v11
	v_mov_b32_e32 v10, v21
	v_mov_b32_e32 v11, v22
	s_and_saveexec_b32 s21, s5
; %bb.1522:                             ;   in Loop: Header=BB342_1056 Depth=1
	v_and_b32_e32 v10, 7, v21
	v_ffbh_u32_e32 v10, v10
	v_min_u32_e32 v14, 32, v10
	v_subrev_nc_u32_e32 v10, 28, v14
	v_sub_nc_u32_e32 v14, 29, v14
	v_lshlrev_b64 v[10:11], v10, v[21:22]
; %bb.1523:                             ;   in Loop: Header=BB342_1056 Depth=1
	s_or_b32 exec_lo, exec_lo, s21
	v_lshlrev_b32_e32 v10, 20, v10
	v_lshlrev_b32_e32 v11, 24, v21
	v_lshl_add_u32 v14, v14, 23, 0x3c000000
	v_and_b32_e32 v10, 0x700000, v10
	v_and_b32_e32 v11, 0x80000000, v11
	v_or3_b32 v10, v10, v11, v14
.LBB342_1524:                           ;   in Loop: Header=BB342_1056 Depth=1
	s_or_b32 exec_lo, exec_lo, s20
.LBB342_1525:                           ;   in Loop: Header=BB342_1056 Depth=1
	s_or_b32 exec_lo, exec_lo, s19
.LBB342_1526:                           ;   in Loop: Header=BB342_1056 Depth=1
	s_or_b32 exec_lo, exec_lo, s18
	v_cmp_ne_u16_sdwa s5, v21, v12 src0_sel:BYTE_1 src1_sel:DWORD
	s_and_saveexec_b32 s18, s5
	s_cbranch_execz .LBB342_1534
; %bb.1527:                             ;   in Loop: Header=BB342_1056 Depth=1
	v_cmp_ne_u16_sdwa s5, v21, v67 src0_sel:BYTE_1 src1_sel:DWORD
	v_bfrev_b32_e32 v13, 1
	s_and_saveexec_b32 s19, s5
	s_cbranch_execz .LBB342_1533
; %bb.1528:                             ;   in Loop: Header=BB342_1056 Depth=1
	v_and_b32_sdwa v11, v94, v21 dst_sel:DWORD dst_unused:UNUSED_PAD src0_sel:DWORD src1_sel:BYTE_1
	v_mov_b32_e32 v13, 0x7f800001
	s_mov_b32 s20, exec_lo
	v_and_b32_e32 v14, 0x7f, v11
	v_cmpx_ne_u32_e32 0x7f, v14
	s_cbranch_execz .LBB342_1532
; %bb.1529:                             ;   in Loop: Header=BB342_1056 Depth=1
	v_and_b32_e32 v11, 7, v11
	v_mov_b32_e32 v24, v12
	v_lshrrev_b32_e32 v13, 3, v14
	s_mov_b32 s21, exec_lo
	v_mov_b32_e32 v23, v11
	v_cmpx_gt_u32_e32 8, v14
; %bb.1530:                             ;   in Loop: Header=BB342_1056 Depth=1
	v_ffbh_u32_e32 v13, v11
	v_min_u32_e32 v13, 32, v13
	v_subrev_nc_u32_e32 v14, 28, v13
	v_sub_nc_u32_e32 v13, 29, v13
	v_lshlrev_b64 v[23:24], v14, v[11:12]
	v_and_b32_e32 v23, 7, v23
; %bb.1531:                             ;   in Loop: Header=BB342_1056 Depth=1
	s_or_b32 exec_lo, exec_lo, s21
	v_lshlrev_b32_e32 v11, 16, v21
	v_lshlrev_b32_e32 v14, 20, v23
	v_lshl_add_u32 v13, v13, 23, 0x3c000000
	v_and_b32_e32 v11, 0x80000000, v11
	v_or3_b32 v13, v14, v11, v13
.LBB342_1532:                           ;   in Loop: Header=BB342_1056 Depth=1
	s_or_b32 exec_lo, exec_lo, s20
.LBB342_1533:                           ;   in Loop: Header=BB342_1056 Depth=1
	s_or_b32 exec_lo, exec_lo, s19
.LBB342_1534:                           ;   in Loop: Header=BB342_1056 Depth=1
	s_or_b32 exec_lo, exec_lo, s18
	v_and_b32_sdwa v11, v21, v69 dst_sel:DWORD dst_unused:UNUSED_PAD src0_sel:WORD_1 src1_sel:DWORD
	v_mov_b32_e32 v17, 0
	v_mov_b32_e32 v14, 0
	s_mov_b32 s18, exec_lo
	v_cmpx_ne_u16_e32 0, v11
	s_cbranch_execz .LBB342_1542
; %bb.1535:                             ;   in Loop: Header=BB342_1056 Depth=1
	v_bfrev_b32_e32 v14, 1
	s_mov_b32 s19, exec_lo
	v_cmpx_ne_u16_e32 0x80, v11
	s_cbranch_execz .LBB342_1541
; %bb.1536:                             ;   in Loop: Header=BB342_1056 Depth=1
	v_bfe_u32 v23, v21, 16, 7
	v_mov_b32_e32 v14, 0x7f800001
	s_mov_b32 s20, exec_lo
	v_cmpx_ne_u32_e32 0x7f, v23
	s_cbranch_execz .LBB342_1540
; %bb.1537:                             ;   in Loop: Header=BB342_1056 Depth=1
	v_mov_b32_e32 v11, 7
	v_lshrrev_b32_e32 v14, 3, v23
	v_cmp_gt_u32_e64 s5, 8, v23
	v_and_b32_sdwa v11, v21, v11 dst_sel:DWORD dst_unused:UNUSED_PAD src0_sel:WORD_1 src1_sel:DWORD
	v_mov_b32_e32 v24, v12
	v_mov_b32_e32 v23, v11
	s_and_saveexec_b32 s21, s5
; %bb.1538:                             ;   in Loop: Header=BB342_1056 Depth=1
	v_ffbh_u32_e32 v14, v11
	v_min_u32_e32 v14, 32, v14
	v_subrev_nc_u32_e32 v23, 28, v14
	v_sub_nc_u32_e32 v14, 29, v14
	v_lshlrev_b64 v[23:24], v23, v[11:12]
	v_and_b32_e32 v23, 7, v23
; %bb.1539:                             ;   in Loop: Header=BB342_1056 Depth=1
	s_or_b32 exec_lo, exec_lo, s21
	v_mov_b32_e32 v11, 24
	v_lshlrev_b32_e32 v23, 20, v23
	v_lshl_add_u32 v14, v14, 23, 0x3c000000
	v_lshlrev_b32_sdwa v11, v11, v21 dst_sel:DWORD dst_unused:UNUSED_PAD src0_sel:DWORD src1_sel:WORD_1
	v_and_b32_e32 v11, 0x80000000, v11
	v_or3_b32 v14, v23, v11, v14
.LBB342_1540:                           ;   in Loop: Header=BB342_1056 Depth=1
	s_or_b32 exec_lo, exec_lo, s20
.LBB342_1541:                           ;   in Loop: Header=BB342_1056 Depth=1
	s_or_b32 exec_lo, exec_lo, s19
.LBB342_1542:                           ;   in Loop: Header=BB342_1056 Depth=1
	s_or_b32 exec_lo, exec_lo, s18
	s_mov_b32 s18, exec_lo
	v_cmpx_lt_u32_e32 0xffffff, v21
	s_cbranch_execz .LBB342_1550
; %bb.1543:                             ;   in Loop: Header=BB342_1056 Depth=1
	v_cmp_ne_u32_sdwa s5, v21, v67 src0_sel:BYTE_3 src1_sel:DWORD
	v_bfrev_b32_e32 v17, 1
	s_and_saveexec_b32 s19, s5
	s_cbranch_execz .LBB342_1549
; %bb.1544:                             ;   in Loop: Header=BB342_1056 Depth=1
	v_bfe_u32 v23, v21, 24, 7
	v_mov_b32_e32 v17, 0x7f800001
	s_mov_b32 s20, exec_lo
	v_cmpx_ne_u32_e32 0x7f, v23
	s_cbranch_execz .LBB342_1548
; %bb.1545:                             ;   in Loop: Header=BB342_1056 Depth=1
	v_mov_b32_e32 v11, 7
	v_lshrrev_b32_e32 v17, 3, v23
	v_cmp_gt_u32_e64 s5, 8, v23
	v_and_b32_sdwa v11, v21, v11 dst_sel:DWORD dst_unused:UNUSED_PAD src0_sel:BYTE_3 src1_sel:DWORD
	v_mov_b32_e32 v24, v12
	v_mov_b32_e32 v23, v11
	s_and_saveexec_b32 s21, s5
; %bb.1546:                             ;   in Loop: Header=BB342_1056 Depth=1
	v_ffbh_u32_e32 v17, v11
	v_min_u32_e32 v17, 32, v17
	v_subrev_nc_u32_e32 v23, 28, v17
	v_sub_nc_u32_e32 v17, 29, v17
	v_lshlrev_b64 v[23:24], v23, v[11:12]
	v_and_b32_e32 v23, 7, v23
; %bb.1547:                             ;   in Loop: Header=BB342_1056 Depth=1
	s_or_b32 exec_lo, exec_lo, s21
	v_mov_b32_e32 v11, 24
	v_lshlrev_b32_e32 v23, 20, v23
	v_lshl_add_u32 v17, v17, 23, 0x3c000000
	v_lshlrev_b32_sdwa v11, v11, v21 dst_sel:DWORD dst_unused:UNUSED_PAD src0_sel:DWORD src1_sel:BYTE_3
	v_and_b32_e32 v11, 0x80000000, v11
	v_or3_b32 v17, v23, v11, v17
.LBB342_1548:                           ;   in Loop: Header=BB342_1056 Depth=1
	s_or_b32 exec_lo, exec_lo, s20
.LBB342_1549:                           ;   in Loop: Header=BB342_1056 Depth=1
	s_or_b32 exec_lo, exec_lo, s19
.LBB342_1550:                           ;   in Loop: Header=BB342_1056 Depth=1
	s_or_b32 exec_lo, exec_lo, s18
	v_mov_b32_e32 v11, v22
	v_cmp_ne_u16_sdwa s5, v22, v12 src0_sel:BYTE_0 src1_sel:DWORD
	v_mov_b32_e32 v70, 0
	v_mov_b32_e32 v68, 0
	s_and_saveexec_b32 s18, s5
	s_cbranch_execz .LBB342_1558
; %bb.1551:                             ;   in Loop: Header=BB342_1056 Depth=1
	v_cmp_ne_u16_sdwa s5, v22, v67 src0_sel:BYTE_0 src1_sel:DWORD
	v_bfrev_b32_e32 v68, 1
	s_and_saveexec_b32 s19, s5
	s_cbranch_execz .LBB342_1557
; %bb.1552:                             ;   in Loop: Header=BB342_1056 Depth=1
	v_and_b32_e32 v23, 0x7f, v22
	v_mov_b32_e32 v68, 0x7f800001
	s_mov_b32 s20, exec_lo
	v_cmpx_ne_u32_e32 0x7f, v23
	s_cbranch_execz .LBB342_1556
; %bb.1553:                             ;   in Loop: Header=BB342_1056 Depth=1
	v_lshrrev_b32_e32 v25, 3, v23
	v_cmp_gt_u32_e64 s5, 8, v23
	v_mov_b32_e32 v24, v12
	v_mov_b32_e32 v23, v11
	s_and_saveexec_b32 s21, s5
; %bb.1554:                             ;   in Loop: Header=BB342_1056 Depth=1
	v_and_b32_e32 v23, 7, v22
	v_ffbh_u32_e32 v23, v23
	v_min_u32_e32 v25, 32, v23
	v_subrev_nc_u32_e32 v23, 28, v25
	v_sub_nc_u32_e32 v25, 29, v25
	v_lshlrev_b64 v[23:24], v23, v[11:12]
; %bb.1555:                             ;   in Loop: Header=BB342_1056 Depth=1
	s_or_b32 exec_lo, exec_lo, s21
	v_lshlrev_b32_e32 v23, 20, v23
	v_lshlrev_b32_e32 v24, 24, v11
	v_lshl_add_u32 v25, v25, 23, 0x3c000000
	v_and_b32_e32 v23, 0x700000, v23
	v_and_b32_e32 v24, 0x80000000, v24
	v_or3_b32 v68, v23, v24, v25
.LBB342_1556:                           ;   in Loop: Header=BB342_1056 Depth=1
	s_or_b32 exec_lo, exec_lo, s20
.LBB342_1557:                           ;   in Loop: Header=BB342_1056 Depth=1
	s_or_b32 exec_lo, exec_lo, s19
.LBB342_1558:                           ;   in Loop: Header=BB342_1056 Depth=1
	s_or_b32 exec_lo, exec_lo, s18
	v_cmp_ne_u16_sdwa s5, v11, v12 src0_sel:BYTE_1 src1_sel:DWORD
	s_and_saveexec_b32 s18, s5
	s_cbranch_execz .LBB342_1566
; %bb.1559:                             ;   in Loop: Header=BB342_1056 Depth=1
	v_cmp_ne_u16_sdwa s5, v11, v67 src0_sel:BYTE_1 src1_sel:DWORD
	v_bfrev_b32_e32 v70, 1
	s_and_saveexec_b32 s19, s5
	s_cbranch_execz .LBB342_1565
; %bb.1560:                             ;   in Loop: Header=BB342_1056 Depth=1
	v_and_b32_sdwa v23, v94, v11 dst_sel:DWORD dst_unused:UNUSED_PAD src0_sel:DWORD src1_sel:BYTE_1
	v_mov_b32_e32 v70, 0x7f800001
	s_mov_b32 s20, exec_lo
	v_and_b32_e32 v33, 0x7f, v23
	v_cmpx_ne_u32_e32 0x7f, v33
	s_cbranch_execz .LBB342_1564
; %bb.1561:                             ;   in Loop: Header=BB342_1056 Depth=1
	v_and_b32_e32 v23, 7, v23
	v_mov_b32_e32 v24, v12
	v_lshrrev_b32_e32 v25, 3, v33
	s_mov_b32 s21, exec_lo
	v_cmpx_gt_u32_e32 8, v33
; %bb.1562:                             ;   in Loop: Header=BB342_1056 Depth=1
	v_ffbh_u32_e32 v25, v23
	v_min_u32_e32 v25, 32, v25
	v_subrev_nc_u32_e32 v32, 28, v25
	v_sub_nc_u32_e32 v25, 29, v25
	v_lshlrev_b64 v[23:24], v32, v[23:24]
	v_and_b32_e32 v23, 7, v23
; %bb.1563:                             ;   in Loop: Header=BB342_1056 Depth=1
	s_or_b32 exec_lo, exec_lo, s21
	v_lshlrev_b32_e32 v11, 16, v11
	v_lshlrev_b32_e32 v23, 20, v23
	v_lshl_add_u32 v24, v25, 23, 0x3c000000
	v_and_b32_e32 v11, 0x80000000, v11
	v_or3_b32 v70, v23, v11, v24
.LBB342_1564:                           ;   in Loop: Header=BB342_1056 Depth=1
	s_or_b32 exec_lo, exec_lo, s20
.LBB342_1565:                           ;   in Loop: Header=BB342_1056 Depth=1
	s_or_b32 exec_lo, exec_lo, s19
.LBB342_1566:                           ;   in Loop: Header=BB342_1056 Depth=1
	s_or_b32 exec_lo, exec_lo, s18
	v_and_b32_sdwa v11, v22, v69 dst_sel:DWORD dst_unused:UNUSED_PAD src0_sel:WORD_1 src1_sel:DWORD
	v_mov_b32_e32 v25, 0
	v_mov_b32_e32 v33, 0
	s_mov_b32 s18, exec_lo
	v_cmpx_ne_u16_e32 0, v11
	s_cbranch_execz .LBB342_1574
; %bb.1567:                             ;   in Loop: Header=BB342_1056 Depth=1
	v_bfrev_b32_e32 v33, 1
	s_mov_b32 s19, exec_lo
	v_cmpx_ne_u16_e32 0x80, v11
	s_cbranch_execz .LBB342_1573
; %bb.1568:                             ;   in Loop: Header=BB342_1056 Depth=1
	v_bfe_u32 v23, v22, 16, 7
	v_mov_b32_e32 v33, 0x7f800001
	s_mov_b32 s20, exec_lo
	v_cmpx_ne_u32_e32 0x7f, v23
	s_cbranch_execz .LBB342_1572
; %bb.1569:                             ;   in Loop: Header=BB342_1056 Depth=1
	v_mov_b32_e32 v11, 7
	v_lshrrev_b32_e32 v33, 3, v23
	v_cmp_gt_u32_e64 s5, 8, v23
	v_and_b32_sdwa v11, v22, v11 dst_sel:DWORD dst_unused:UNUSED_PAD src0_sel:WORD_1 src1_sel:DWORD
	v_mov_b32_e32 v24, v12
	v_mov_b32_e32 v23, v11
	s_and_saveexec_b32 s21, s5
; %bb.1570:                             ;   in Loop: Header=BB342_1056 Depth=1
	v_ffbh_u32_e32 v23, v11
	v_min_u32_e32 v32, 32, v23
	v_subrev_nc_u32_e32 v23, 28, v32
	v_sub_nc_u32_e32 v33, 29, v32
	v_lshlrev_b64 v[23:24], v23, v[11:12]
	v_and_b32_e32 v23, 7, v23
; %bb.1571:                             ;   in Loop: Header=BB342_1056 Depth=1
	s_or_b32 exec_lo, exec_lo, s21
	v_mov_b32_e32 v11, 24
	v_lshlrev_b32_e32 v23, 20, v23
	v_lshl_add_u32 v24, v33, 23, 0x3c000000
	v_lshlrev_b32_sdwa v11, v11, v22 dst_sel:DWORD dst_unused:UNUSED_PAD src0_sel:DWORD src1_sel:WORD_1
	v_and_b32_e32 v11, 0x80000000, v11
	v_or3_b32 v33, v23, v11, v24
.LBB342_1572:                           ;   in Loop: Header=BB342_1056 Depth=1
	s_or_b32 exec_lo, exec_lo, s20
.LBB342_1573:                           ;   in Loop: Header=BB342_1056 Depth=1
	s_or_b32 exec_lo, exec_lo, s19
.LBB342_1574:                           ;   in Loop: Header=BB342_1056 Depth=1
	s_or_b32 exec_lo, exec_lo, s18
	s_mov_b32 s18, exec_lo
	v_cmpx_lt_u64_e64 s[6:7], v[21:22]
	s_cbranch_execz .LBB342_1582
; %bb.1575:                             ;   in Loop: Header=BB342_1056 Depth=1
	v_cmp_ne_u32_sdwa s5, v22, v67 src0_sel:BYTE_3 src1_sel:DWORD
	v_bfrev_b32_e32 v25, 1
	s_and_saveexec_b32 s19, s5
	s_cbranch_execz .LBB342_1581
; %bb.1576:                             ;   in Loop: Header=BB342_1056 Depth=1
	v_bfe_u32 v23, v22, 24, 7
	v_mov_b32_e32 v25, 0x7f800001
	s_mov_b32 s20, exec_lo
	v_cmpx_ne_u32_e32 0x7f, v23
	s_cbranch_execz .LBB342_1580
; %bb.1577:                             ;   in Loop: Header=BB342_1056 Depth=1
	v_mov_b32_e32 v11, 7
	v_lshrrev_b32_e32 v21, 3, v23
	v_cmp_gt_u32_e64 s5, 8, v23
	v_and_b32_sdwa v11, v22, v11 dst_sel:DWORD dst_unused:UNUSED_PAD src0_sel:BYTE_3 src1_sel:DWORD
	v_mov_b32_e32 v24, v12
	v_mov_b32_e32 v23, v11
	s_and_saveexec_b32 s21, s5
; %bb.1578:                             ;   in Loop: Header=BB342_1056 Depth=1
	v_ffbh_u32_e32 v21, v11
	v_min_u32_e32 v21, 32, v21
	v_subrev_nc_u32_e32 v23, 28, v21
	v_sub_nc_u32_e32 v21, 29, v21
	v_lshlrev_b64 v[23:24], v23, v[11:12]
	v_and_b32_e32 v23, 7, v23
; %bb.1579:                             ;   in Loop: Header=BB342_1056 Depth=1
	s_or_b32 exec_lo, exec_lo, s21
	v_mov_b32_e32 v11, 24
	v_lshl_add_u32 v21, v21, 23, 0x3c000000
	v_lshlrev_b32_sdwa v11, v11, v22 dst_sel:DWORD dst_unused:UNUSED_PAD src0_sel:DWORD src1_sel:BYTE_3
	v_lshlrev_b32_e32 v22, 20, v23
	v_and_b32_e32 v11, 0x80000000, v11
	v_or3_b32 v25, v22, v11, v21
.LBB342_1580:                           ;   in Loop: Header=BB342_1056 Depth=1
	s_or_b32 exec_lo, exec_lo, s20
.LBB342_1581:                           ;   in Loop: Header=BB342_1056 Depth=1
	s_or_b32 exec_lo, exec_lo, s19
.LBB342_1582:                           ;   in Loop: Header=BB342_1056 Depth=1
	s_or_b32 exec_lo, exec_lo, s18
	v_mul_f32_e32 v11, v64, v70
	v_mul_f32_e32 v10, v64, v10
	v_bfe_u32 v21, v11, 16, 1
	v_or_b32_e32 v22, 0x400000, v11
	v_cmp_u_f32_e64 s5, v11, v11
	v_add3_u32 v21, v21, v11, 0x7fff
	v_cndmask_b32_e64 v11, v21, v22, s5
	v_lshrrev_b32_e32 v105, 16, v11
	v_mul_f32_e32 v11, v64, v68
	v_bfe_u32 v21, v11, 16, 1
	v_or_b32_e32 v22, 0x400000, v11
	v_cmp_u_f32_e64 s5, v11, v11
	v_add3_u32 v21, v21, v11, 0x7fff
	v_cndmask_b32_e64 v11, v21, v22, s5
	v_lshrrev_b32_e32 v106, 16, v11
	;; [unrolled: 7-line block ×4, first 2 shown]
	v_mul_f32_e32 v11, v64, v13
	v_bfe_u32 v13, v11, 16, 1
	v_or_b32_e32 v14, 0x400000, v11
	v_cmp_u_f32_e64 s5, v11, v11
	v_add3_u32 v13, v13, v11, 0x7fff
	v_cndmask_b32_e64 v11, v13, v14, s5
	v_or_b32_e32 v13, 0x400000, v10
	v_cmp_u_f32_e64 s5, v10, v10
	v_lshrrev_b32_e32 v110, 16, v11
	v_bfe_u32 v11, v10, 16, 1
	v_add3_u32 v11, v11, v10, 0x7fff
	v_cndmask_b32_e64 v10, v11, v13, s5
	v_lshrrev_b32_e32 v111, 16, v10
	v_mul_f32_e32 v10, v64, v33
	v_bfe_u32 v11, v10, 16, 1
	v_or_b32_e32 v13, 0x400000, v10
	v_cmp_u_f32_e64 s5, v10, v10
	v_add3_u32 v11, v11, v10, 0x7fff
	v_cndmask_b32_e64 v10, v11, v13, s5
	v_lshrrev_b32_e32 v109, 16, v10
	v_mul_f32_e32 v10, v64, v25
	v_bfe_u32 v11, v10, 16, 1
	v_or_b32_e32 v13, 0x400000, v10
	v_cmp_u_f32_e64 s5, v10, v10
	v_add3_u32 v11, v11, v10, 0x7fff
	v_cndmask_b32_e64 v10, v11, v13, s5
	v_lshrrev_b32_e32 v120, 16, v10
	s_and_saveexec_b32 s18, vcc_lo
	s_cbranch_execz .LBB342_1584
; %bb.1583:                             ;   in Loop: Header=BB342_1056 Depth=1
	buffer_load_dword v10, off, s[0:3], s32 offset:196 ; 4-byte Folded Reload
	s_waitcnt vmcnt(0)
	v_cmp_lt_i32_e64 s5, v57, v10
	v_cndmask_b32_e64 v111, 0, v111, s5
	v_cmp_lt_i32_e64 s5, v63, v10
	v_cndmask_b32_e64 v110, 0, v110, s5
	v_cmp_lt_i32_e64 s5, v62, v10
	v_cndmask_b32_e64 v108, 0, v108, s5
	v_cmp_lt_i32_e64 s5, v61, v10
	v_cndmask_b32_e64 v107, 0, v107, s5
	v_cmp_lt_i32_e64 s5, v60, v10
	v_cndmask_b32_e64 v106, 0, v106, s5
	v_cmp_lt_i32_e64 s5, v59, v10
	v_cndmask_b32_e64 v105, 0, v105, s5
	v_cmp_lt_i32_e64 s5, v58, v10
	v_cndmask_b32_e64 v109, 0, v109, s5
	v_cmp_lt_i32_e64 s5, v65, v10
	v_cndmask_b32_e64 v120, 0, v120, s5
.LBB342_1584:                           ;   in Loop: Header=BB342_1056 Depth=1
	s_or_b32 exec_lo, exec_lo, s18
	v_add_co_u32 v19, s5, 0x800, v19
	v_add_co_ci_u32_e64 v20, null, 0, v20, s5
	v_mov_b32_e32 v13, 0
	v_mov_b32_e32 v10, 0
	flat_load_dwordx2 v[21:22], v[19:20]
	s_waitcnt vmcnt(0) lgkmcnt(0)
	v_cmp_ne_u16_sdwa s5, v21, v12 src0_sel:BYTE_0 src1_sel:DWORD
	s_and_saveexec_b32 s18, s5
	s_cbranch_execz .LBB342_1592
; %bb.1585:                             ;   in Loop: Header=BB342_1056 Depth=1
	v_cmp_ne_u16_sdwa s5, v21, v67 src0_sel:BYTE_0 src1_sel:DWORD
	v_bfrev_b32_e32 v10, 1
	s_and_saveexec_b32 s19, s5
	s_cbranch_execz .LBB342_1591
; %bb.1586:                             ;   in Loop: Header=BB342_1056 Depth=1
	v_and_b32_e32 v11, 0x7f, v21
	v_mov_b32_e32 v10, 0x7f800001
	s_mov_b32 s20, exec_lo
	v_cmpx_ne_u32_e32 0x7f, v11
	s_cbranch_execz .LBB342_1590
; %bb.1587:                             ;   in Loop: Header=BB342_1056 Depth=1
	v_lshrrev_b32_e32 v14, 3, v11
	v_cmp_gt_u32_e64 s5, 8, v11
	v_mov_b32_e32 v10, v21
	v_mov_b32_e32 v11, v22
	s_and_saveexec_b32 s21, s5
; %bb.1588:                             ;   in Loop: Header=BB342_1056 Depth=1
	v_and_b32_e32 v10, 7, v21
	v_ffbh_u32_e32 v10, v10
	v_min_u32_e32 v14, 32, v10
	v_subrev_nc_u32_e32 v10, 28, v14
	v_sub_nc_u32_e32 v14, 29, v14
	v_lshlrev_b64 v[10:11], v10, v[21:22]
; %bb.1589:                             ;   in Loop: Header=BB342_1056 Depth=1
	s_or_b32 exec_lo, exec_lo, s21
	v_lshlrev_b32_e32 v10, 20, v10
	v_lshlrev_b32_e32 v11, 24, v21
	v_lshl_add_u32 v14, v14, 23, 0x3c000000
	v_and_b32_e32 v10, 0x700000, v10
	v_and_b32_e32 v11, 0x80000000, v11
	v_or3_b32 v10, v10, v11, v14
.LBB342_1590:                           ;   in Loop: Header=BB342_1056 Depth=1
	s_or_b32 exec_lo, exec_lo, s20
.LBB342_1591:                           ;   in Loop: Header=BB342_1056 Depth=1
	s_or_b32 exec_lo, exec_lo, s19
.LBB342_1592:                           ;   in Loop: Header=BB342_1056 Depth=1
	s_or_b32 exec_lo, exec_lo, s18
	v_cmp_ne_u16_sdwa s5, v21, v12 src0_sel:BYTE_1 src1_sel:DWORD
	s_and_saveexec_b32 s18, s5
	s_cbranch_execz .LBB342_1600
; %bb.1593:                             ;   in Loop: Header=BB342_1056 Depth=1
	v_cmp_ne_u16_sdwa s5, v21, v67 src0_sel:BYTE_1 src1_sel:DWORD
	v_bfrev_b32_e32 v13, 1
	s_and_saveexec_b32 s19, s5
	s_cbranch_execz .LBB342_1599
; %bb.1594:                             ;   in Loop: Header=BB342_1056 Depth=1
	v_and_b32_sdwa v11, v94, v21 dst_sel:DWORD dst_unused:UNUSED_PAD src0_sel:DWORD src1_sel:BYTE_1
	v_mov_b32_e32 v13, 0x7f800001
	s_mov_b32 s20, exec_lo
	v_and_b32_e32 v14, 0x7f, v11
	v_cmpx_ne_u32_e32 0x7f, v14
	s_cbranch_execz .LBB342_1598
; %bb.1595:                             ;   in Loop: Header=BB342_1056 Depth=1
	v_and_b32_e32 v11, 7, v11
	v_mov_b32_e32 v24, v12
	v_lshrrev_b32_e32 v13, 3, v14
	s_mov_b32 s21, exec_lo
	v_mov_b32_e32 v23, v11
	v_cmpx_gt_u32_e32 8, v14
; %bb.1596:                             ;   in Loop: Header=BB342_1056 Depth=1
	v_ffbh_u32_e32 v13, v11
	v_min_u32_e32 v13, 32, v13
	v_subrev_nc_u32_e32 v14, 28, v13
	v_sub_nc_u32_e32 v13, 29, v13
	v_lshlrev_b64 v[23:24], v14, v[11:12]
	v_and_b32_e32 v23, 7, v23
; %bb.1597:                             ;   in Loop: Header=BB342_1056 Depth=1
	s_or_b32 exec_lo, exec_lo, s21
	v_lshlrev_b32_e32 v11, 16, v21
	v_lshlrev_b32_e32 v14, 20, v23
	v_lshl_add_u32 v13, v13, 23, 0x3c000000
	v_and_b32_e32 v11, 0x80000000, v11
	v_or3_b32 v13, v14, v11, v13
.LBB342_1598:                           ;   in Loop: Header=BB342_1056 Depth=1
	s_or_b32 exec_lo, exec_lo, s20
.LBB342_1599:                           ;   in Loop: Header=BB342_1056 Depth=1
	s_or_b32 exec_lo, exec_lo, s19
.LBB342_1600:                           ;   in Loop: Header=BB342_1056 Depth=1
	s_or_b32 exec_lo, exec_lo, s18
	v_and_b32_sdwa v11, v21, v69 dst_sel:DWORD dst_unused:UNUSED_PAD src0_sel:WORD_1 src1_sel:DWORD
	v_mov_b32_e32 v17, 0
	v_mov_b32_e32 v14, 0
	s_mov_b32 s18, exec_lo
	v_cmpx_ne_u16_e32 0, v11
	s_cbranch_execz .LBB342_1608
; %bb.1601:                             ;   in Loop: Header=BB342_1056 Depth=1
	v_bfrev_b32_e32 v14, 1
	s_mov_b32 s19, exec_lo
	v_cmpx_ne_u16_e32 0x80, v11
	s_cbranch_execz .LBB342_1607
; %bb.1602:                             ;   in Loop: Header=BB342_1056 Depth=1
	v_bfe_u32 v23, v21, 16, 7
	v_mov_b32_e32 v14, 0x7f800001
	s_mov_b32 s20, exec_lo
	v_cmpx_ne_u32_e32 0x7f, v23
	s_cbranch_execz .LBB342_1606
; %bb.1603:                             ;   in Loop: Header=BB342_1056 Depth=1
	v_mov_b32_e32 v11, 7
	v_lshrrev_b32_e32 v14, 3, v23
	v_cmp_gt_u32_e64 s5, 8, v23
	v_and_b32_sdwa v11, v21, v11 dst_sel:DWORD dst_unused:UNUSED_PAD src0_sel:WORD_1 src1_sel:DWORD
	v_mov_b32_e32 v24, v12
	v_mov_b32_e32 v23, v11
	s_and_saveexec_b32 s21, s5
; %bb.1604:                             ;   in Loop: Header=BB342_1056 Depth=1
	v_ffbh_u32_e32 v14, v11
	v_min_u32_e32 v14, 32, v14
	v_subrev_nc_u32_e32 v23, 28, v14
	v_sub_nc_u32_e32 v14, 29, v14
	v_lshlrev_b64 v[23:24], v23, v[11:12]
	v_and_b32_e32 v23, 7, v23
; %bb.1605:                             ;   in Loop: Header=BB342_1056 Depth=1
	s_or_b32 exec_lo, exec_lo, s21
	v_mov_b32_e32 v11, 24
	v_lshlrev_b32_e32 v23, 20, v23
	v_lshl_add_u32 v14, v14, 23, 0x3c000000
	v_lshlrev_b32_sdwa v11, v11, v21 dst_sel:DWORD dst_unused:UNUSED_PAD src0_sel:DWORD src1_sel:WORD_1
	v_and_b32_e32 v11, 0x80000000, v11
	v_or3_b32 v14, v23, v11, v14
.LBB342_1606:                           ;   in Loop: Header=BB342_1056 Depth=1
	s_or_b32 exec_lo, exec_lo, s20
.LBB342_1607:                           ;   in Loop: Header=BB342_1056 Depth=1
	s_or_b32 exec_lo, exec_lo, s19
.LBB342_1608:                           ;   in Loop: Header=BB342_1056 Depth=1
	s_or_b32 exec_lo, exec_lo, s18
	s_mov_b32 s18, exec_lo
	v_cmpx_lt_u32_e32 0xffffff, v21
	s_cbranch_execz .LBB342_1616
; %bb.1609:                             ;   in Loop: Header=BB342_1056 Depth=1
	v_cmp_ne_u32_sdwa s5, v21, v67 src0_sel:BYTE_3 src1_sel:DWORD
	v_bfrev_b32_e32 v17, 1
	s_and_saveexec_b32 s19, s5
	s_cbranch_execz .LBB342_1615
; %bb.1610:                             ;   in Loop: Header=BB342_1056 Depth=1
	v_bfe_u32 v23, v21, 24, 7
	v_mov_b32_e32 v17, 0x7f800001
	s_mov_b32 s20, exec_lo
	v_cmpx_ne_u32_e32 0x7f, v23
	s_cbranch_execz .LBB342_1614
; %bb.1611:                             ;   in Loop: Header=BB342_1056 Depth=1
	v_mov_b32_e32 v11, 7
	v_lshrrev_b32_e32 v17, 3, v23
	v_cmp_gt_u32_e64 s5, 8, v23
	v_and_b32_sdwa v11, v21, v11 dst_sel:DWORD dst_unused:UNUSED_PAD src0_sel:BYTE_3 src1_sel:DWORD
	v_mov_b32_e32 v24, v12
	v_mov_b32_e32 v23, v11
	s_and_saveexec_b32 s21, s5
; %bb.1612:                             ;   in Loop: Header=BB342_1056 Depth=1
	v_ffbh_u32_e32 v17, v11
	v_min_u32_e32 v17, 32, v17
	v_subrev_nc_u32_e32 v23, 28, v17
	v_sub_nc_u32_e32 v17, 29, v17
	v_lshlrev_b64 v[23:24], v23, v[11:12]
	v_and_b32_e32 v23, 7, v23
; %bb.1613:                             ;   in Loop: Header=BB342_1056 Depth=1
	s_or_b32 exec_lo, exec_lo, s21
	v_mov_b32_e32 v11, 24
	v_lshlrev_b32_e32 v23, 20, v23
	v_lshl_add_u32 v17, v17, 23, 0x3c000000
	v_lshlrev_b32_sdwa v11, v11, v21 dst_sel:DWORD dst_unused:UNUSED_PAD src0_sel:DWORD src1_sel:BYTE_3
	v_and_b32_e32 v11, 0x80000000, v11
	v_or3_b32 v17, v23, v11, v17
.LBB342_1614:                           ;   in Loop: Header=BB342_1056 Depth=1
	s_or_b32 exec_lo, exec_lo, s20
.LBB342_1615:                           ;   in Loop: Header=BB342_1056 Depth=1
	s_or_b32 exec_lo, exec_lo, s19
.LBB342_1616:                           ;   in Loop: Header=BB342_1056 Depth=1
	s_or_b32 exec_lo, exec_lo, s18
	v_mov_b32_e32 v11, v22
	v_cmp_ne_u16_sdwa s5, v22, v12 src0_sel:BYTE_0 src1_sel:DWORD
	v_mov_b32_e32 v70, 0
	v_mov_b32_e32 v68, 0
	s_and_saveexec_b32 s18, s5
	s_cbranch_execz .LBB342_1624
; %bb.1617:                             ;   in Loop: Header=BB342_1056 Depth=1
	v_cmp_ne_u16_sdwa s5, v22, v67 src0_sel:BYTE_0 src1_sel:DWORD
	v_bfrev_b32_e32 v68, 1
	s_and_saveexec_b32 s19, s5
	s_cbranch_execz .LBB342_1623
; %bb.1618:                             ;   in Loop: Header=BB342_1056 Depth=1
	v_and_b32_e32 v23, 0x7f, v22
	v_mov_b32_e32 v68, 0x7f800001
	s_mov_b32 s20, exec_lo
	v_cmpx_ne_u32_e32 0x7f, v23
	s_cbranch_execz .LBB342_1622
; %bb.1619:                             ;   in Loop: Header=BB342_1056 Depth=1
	v_lshrrev_b32_e32 v25, 3, v23
	v_cmp_gt_u32_e64 s5, 8, v23
	v_mov_b32_e32 v24, v12
	v_mov_b32_e32 v23, v11
	s_and_saveexec_b32 s21, s5
; %bb.1620:                             ;   in Loop: Header=BB342_1056 Depth=1
	v_and_b32_e32 v23, 7, v22
	v_ffbh_u32_e32 v23, v23
	v_min_u32_e32 v25, 32, v23
	v_subrev_nc_u32_e32 v23, 28, v25
	v_sub_nc_u32_e32 v25, 29, v25
	v_lshlrev_b64 v[23:24], v23, v[11:12]
; %bb.1621:                             ;   in Loop: Header=BB342_1056 Depth=1
	s_or_b32 exec_lo, exec_lo, s21
	v_lshlrev_b32_e32 v23, 20, v23
	v_lshlrev_b32_e32 v24, 24, v11
	v_lshl_add_u32 v25, v25, 23, 0x3c000000
	v_and_b32_e32 v23, 0x700000, v23
	v_and_b32_e32 v24, 0x80000000, v24
	v_or3_b32 v68, v23, v24, v25
.LBB342_1622:                           ;   in Loop: Header=BB342_1056 Depth=1
	s_or_b32 exec_lo, exec_lo, s20
.LBB342_1623:                           ;   in Loop: Header=BB342_1056 Depth=1
	s_or_b32 exec_lo, exec_lo, s19
.LBB342_1624:                           ;   in Loop: Header=BB342_1056 Depth=1
	s_or_b32 exec_lo, exec_lo, s18
	v_cmp_ne_u16_sdwa s5, v11, v12 src0_sel:BYTE_1 src1_sel:DWORD
	s_and_saveexec_b32 s18, s5
	s_cbranch_execz .LBB342_1632
; %bb.1625:                             ;   in Loop: Header=BB342_1056 Depth=1
	v_cmp_ne_u16_sdwa s5, v11, v67 src0_sel:BYTE_1 src1_sel:DWORD
	v_bfrev_b32_e32 v70, 1
	s_and_saveexec_b32 s19, s5
	s_cbranch_execz .LBB342_1631
; %bb.1626:                             ;   in Loop: Header=BB342_1056 Depth=1
	v_and_b32_sdwa v23, v94, v11 dst_sel:DWORD dst_unused:UNUSED_PAD src0_sel:DWORD src1_sel:BYTE_1
	v_mov_b32_e32 v70, 0x7f800001
	s_mov_b32 s20, exec_lo
	v_and_b32_e32 v33, 0x7f, v23
	v_cmpx_ne_u32_e32 0x7f, v33
	s_cbranch_execz .LBB342_1630
; %bb.1627:                             ;   in Loop: Header=BB342_1056 Depth=1
	v_and_b32_e32 v23, 7, v23
	v_mov_b32_e32 v24, v12
	v_lshrrev_b32_e32 v25, 3, v33
	s_mov_b32 s21, exec_lo
	v_cmpx_gt_u32_e32 8, v33
; %bb.1628:                             ;   in Loop: Header=BB342_1056 Depth=1
	v_ffbh_u32_e32 v25, v23
	v_min_u32_e32 v25, 32, v25
	v_subrev_nc_u32_e32 v32, 28, v25
	v_sub_nc_u32_e32 v25, 29, v25
	v_lshlrev_b64 v[23:24], v32, v[23:24]
	v_and_b32_e32 v23, 7, v23
; %bb.1629:                             ;   in Loop: Header=BB342_1056 Depth=1
	s_or_b32 exec_lo, exec_lo, s21
	v_lshlrev_b32_e32 v11, 16, v11
	v_lshlrev_b32_e32 v23, 20, v23
	v_lshl_add_u32 v24, v25, 23, 0x3c000000
	v_and_b32_e32 v11, 0x80000000, v11
	v_or3_b32 v70, v23, v11, v24
.LBB342_1630:                           ;   in Loop: Header=BB342_1056 Depth=1
	s_or_b32 exec_lo, exec_lo, s20
.LBB342_1631:                           ;   in Loop: Header=BB342_1056 Depth=1
	s_or_b32 exec_lo, exec_lo, s19
.LBB342_1632:                           ;   in Loop: Header=BB342_1056 Depth=1
	s_or_b32 exec_lo, exec_lo, s18
	v_and_b32_sdwa v11, v22, v69 dst_sel:DWORD dst_unused:UNUSED_PAD src0_sel:WORD_1 src1_sel:DWORD
	v_mov_b32_e32 v25, 0
	v_mov_b32_e32 v33, 0
	s_mov_b32 s18, exec_lo
	v_cmpx_ne_u16_e32 0, v11
	s_cbranch_execz .LBB342_1640
; %bb.1633:                             ;   in Loop: Header=BB342_1056 Depth=1
	v_bfrev_b32_e32 v33, 1
	s_mov_b32 s19, exec_lo
	v_cmpx_ne_u16_e32 0x80, v11
	s_cbranch_execz .LBB342_1639
; %bb.1634:                             ;   in Loop: Header=BB342_1056 Depth=1
	v_bfe_u32 v23, v22, 16, 7
	v_mov_b32_e32 v33, 0x7f800001
	s_mov_b32 s20, exec_lo
	v_cmpx_ne_u32_e32 0x7f, v23
	s_cbranch_execz .LBB342_1638
; %bb.1635:                             ;   in Loop: Header=BB342_1056 Depth=1
	v_mov_b32_e32 v11, 7
	v_lshrrev_b32_e32 v33, 3, v23
	v_cmp_gt_u32_e64 s5, 8, v23
	v_and_b32_sdwa v11, v22, v11 dst_sel:DWORD dst_unused:UNUSED_PAD src0_sel:WORD_1 src1_sel:DWORD
	v_mov_b32_e32 v24, v12
	v_mov_b32_e32 v23, v11
	s_and_saveexec_b32 s21, s5
; %bb.1636:                             ;   in Loop: Header=BB342_1056 Depth=1
	v_ffbh_u32_e32 v23, v11
	v_min_u32_e32 v32, 32, v23
	v_subrev_nc_u32_e32 v23, 28, v32
	v_sub_nc_u32_e32 v33, 29, v32
	v_lshlrev_b64 v[23:24], v23, v[11:12]
	v_and_b32_e32 v23, 7, v23
; %bb.1637:                             ;   in Loop: Header=BB342_1056 Depth=1
	s_or_b32 exec_lo, exec_lo, s21
	v_mov_b32_e32 v11, 24
	v_lshlrev_b32_e32 v23, 20, v23
	v_lshl_add_u32 v24, v33, 23, 0x3c000000
	v_lshlrev_b32_sdwa v11, v11, v22 dst_sel:DWORD dst_unused:UNUSED_PAD src0_sel:DWORD src1_sel:WORD_1
	v_and_b32_e32 v11, 0x80000000, v11
	v_or3_b32 v33, v23, v11, v24
.LBB342_1638:                           ;   in Loop: Header=BB342_1056 Depth=1
	s_or_b32 exec_lo, exec_lo, s20
.LBB342_1639:                           ;   in Loop: Header=BB342_1056 Depth=1
	s_or_b32 exec_lo, exec_lo, s19
.LBB342_1640:                           ;   in Loop: Header=BB342_1056 Depth=1
	s_or_b32 exec_lo, exec_lo, s18
	s_mov_b32 s18, exec_lo
	v_cmpx_lt_u64_e64 s[6:7], v[21:22]
	s_cbranch_execz .LBB342_1648
; %bb.1641:                             ;   in Loop: Header=BB342_1056 Depth=1
	v_cmp_ne_u32_sdwa s5, v22, v67 src0_sel:BYTE_3 src1_sel:DWORD
	v_bfrev_b32_e32 v25, 1
	s_and_saveexec_b32 s19, s5
	s_cbranch_execz .LBB342_1647
; %bb.1642:                             ;   in Loop: Header=BB342_1056 Depth=1
	v_bfe_u32 v23, v22, 24, 7
	v_mov_b32_e32 v25, 0x7f800001
	s_mov_b32 s20, exec_lo
	v_cmpx_ne_u32_e32 0x7f, v23
	s_cbranch_execz .LBB342_1646
; %bb.1643:                             ;   in Loop: Header=BB342_1056 Depth=1
	v_mov_b32_e32 v11, 7
	v_lshrrev_b32_e32 v21, 3, v23
	v_cmp_gt_u32_e64 s5, 8, v23
	v_and_b32_sdwa v11, v22, v11 dst_sel:DWORD dst_unused:UNUSED_PAD src0_sel:BYTE_3 src1_sel:DWORD
	v_mov_b32_e32 v24, v12
	v_mov_b32_e32 v23, v11
	s_and_saveexec_b32 s21, s5
; %bb.1644:                             ;   in Loop: Header=BB342_1056 Depth=1
	v_ffbh_u32_e32 v21, v11
	v_min_u32_e32 v21, 32, v21
	v_subrev_nc_u32_e32 v23, 28, v21
	v_sub_nc_u32_e32 v21, 29, v21
	v_lshlrev_b64 v[23:24], v23, v[11:12]
	v_and_b32_e32 v23, 7, v23
; %bb.1645:                             ;   in Loop: Header=BB342_1056 Depth=1
	s_or_b32 exec_lo, exec_lo, s21
	v_mov_b32_e32 v11, 24
	v_lshl_add_u32 v21, v21, 23, 0x3c000000
	v_lshlrev_b32_sdwa v11, v11, v22 dst_sel:DWORD dst_unused:UNUSED_PAD src0_sel:DWORD src1_sel:BYTE_3
	v_lshlrev_b32_e32 v22, 20, v23
	v_and_b32_e32 v11, 0x80000000, v11
	v_or3_b32 v25, v22, v11, v21
.LBB342_1646:                           ;   in Loop: Header=BB342_1056 Depth=1
	s_or_b32 exec_lo, exec_lo, s20
.LBB342_1647:                           ;   in Loop: Header=BB342_1056 Depth=1
	s_or_b32 exec_lo, exec_lo, s19
.LBB342_1648:                           ;   in Loop: Header=BB342_1056 Depth=1
	s_or_b32 exec_lo, exec_lo, s18
	v_mul_f32_e32 v11, v64, v70
	v_mul_f32_e32 v10, v64, v10
	v_bfe_u32 v21, v11, 16, 1
	v_or_b32_e32 v22, 0x400000, v11
	v_cmp_u_f32_e64 s5, v11, v11
	v_add3_u32 v21, v21, v11, 0x7fff
	v_cndmask_b32_e64 v11, v21, v22, s5
	v_lshrrev_b32_e32 v121, 16, v11
	v_mul_f32_e32 v11, v64, v68
	v_bfe_u32 v21, v11, 16, 1
	v_or_b32_e32 v22, 0x400000, v11
	v_cmp_u_f32_e64 s5, v11, v11
	v_add3_u32 v21, v21, v11, 0x7fff
	v_cndmask_b32_e64 v11, v21, v22, s5
	v_lshrrev_b32_e32 v122, 16, v11
	;; [unrolled: 7-line block ×4, first 2 shown]
	v_mul_f32_e32 v11, v64, v13
	v_bfe_u32 v13, v11, 16, 1
	v_or_b32_e32 v14, 0x400000, v11
	v_cmp_u_f32_e64 s5, v11, v11
	v_add3_u32 v13, v13, v11, 0x7fff
	v_cndmask_b32_e64 v11, v13, v14, s5
	v_or_b32_e32 v13, 0x400000, v10
	v_cmp_u_f32_e64 s5, v10, v10
	v_lshrrev_b32_e32 v126, 16, v11
	v_bfe_u32 v11, v10, 16, 1
	v_add3_u32 v11, v11, v10, 0x7fff
	v_cndmask_b32_e64 v10, v11, v13, s5
	v_lshrrev_b32_e32 v127, 16, v10
	v_mul_f32_e32 v10, v64, v33
	v_bfe_u32 v11, v10, 16, 1
	v_or_b32_e32 v13, 0x400000, v10
	v_cmp_u_f32_e64 s5, v10, v10
	v_add3_u32 v11, v11, v10, 0x7fff
	v_cndmask_b32_e64 v10, v11, v13, s5
	v_lshrrev_b32_e32 v125, 16, v10
	v_mul_f32_e32 v10, v64, v25
	v_bfe_u32 v11, v10, 16, 1
	v_or_b32_e32 v13, 0x400000, v10
	v_cmp_u_f32_e64 s5, v10, v10
	v_add3_u32 v11, v11, v10, 0x7fff
	v_cndmask_b32_e64 v10, v11, v13, s5
	v_lshrrev_b32_e32 v17, 16, v10
	s_and_saveexec_b32 s18, vcc_lo
	s_cbranch_execz .LBB342_1650
; %bb.1649:                             ;   in Loop: Header=BB342_1056 Depth=1
	buffer_load_dword v10, off, s[0:3], s32 offset:196 ; 4-byte Folded Reload
	s_waitcnt vmcnt(0)
	v_cmp_lt_i32_e64 s5, v57, v10
	v_cndmask_b32_e64 v127, 0, v127, s5
	v_cmp_lt_i32_e64 s5, v63, v10
	v_cndmask_b32_e64 v126, 0, v126, s5
	;; [unrolled: 2-line block ×8, first 2 shown]
.LBB342_1650:                           ;   in Loop: Header=BB342_1056 Depth=1
	s_or_b32 exec_lo, exec_lo, s18
	flat_load_dwordx2 v[21:22], v[19:20] offset:256
	v_mov_b32_e32 v68, 0
	v_mov_b32_e32 v10, 0
	s_waitcnt vmcnt(0) lgkmcnt(0)
	v_cmp_ne_u16_sdwa s5, v21, v12 src0_sel:BYTE_0 src1_sel:DWORD
	s_and_saveexec_b32 s18, s5
	s_cbranch_execz .LBB342_1658
; %bb.1651:                             ;   in Loop: Header=BB342_1056 Depth=1
	v_cmp_ne_u16_sdwa s5, v21, v67 src0_sel:BYTE_0 src1_sel:DWORD
	v_bfrev_b32_e32 v10, 1
	s_and_saveexec_b32 s19, s5
	s_cbranch_execz .LBB342_1657
; %bb.1652:                             ;   in Loop: Header=BB342_1056 Depth=1
	v_and_b32_e32 v11, 0x7f, v21
	v_mov_b32_e32 v10, 0x7f800001
	s_mov_b32 s20, exec_lo
	v_cmpx_ne_u32_e32 0x7f, v11
	s_cbranch_execz .LBB342_1656
; %bb.1653:                             ;   in Loop: Header=BB342_1056 Depth=1
	v_lshrrev_b32_e32 v13, 3, v11
	v_cmp_gt_u32_e64 s5, 8, v11
	v_mov_b32_e32 v10, v21
	v_mov_b32_e32 v11, v22
	s_and_saveexec_b32 s21, s5
; %bb.1654:                             ;   in Loop: Header=BB342_1056 Depth=1
	v_and_b32_e32 v10, 7, v21
	v_ffbh_u32_e32 v10, v10
	v_min_u32_e32 v13, 32, v10
	v_subrev_nc_u32_e32 v10, 28, v13
	v_sub_nc_u32_e32 v13, 29, v13
	v_lshlrev_b64 v[10:11], v10, v[21:22]
; %bb.1655:                             ;   in Loop: Header=BB342_1056 Depth=1
	s_or_b32 exec_lo, exec_lo, s21
	v_lshlrev_b32_e32 v10, 20, v10
	v_lshlrev_b32_e32 v11, 24, v21
	v_lshl_add_u32 v13, v13, 23, 0x3c000000
	v_and_b32_e32 v10, 0x700000, v10
	v_and_b32_e32 v11, 0x80000000, v11
	v_or3_b32 v10, v10, v11, v13
.LBB342_1656:                           ;   in Loop: Header=BB342_1056 Depth=1
	s_or_b32 exec_lo, exec_lo, s20
.LBB342_1657:                           ;   in Loop: Header=BB342_1056 Depth=1
	s_or_b32 exec_lo, exec_lo, s19
.LBB342_1658:                           ;   in Loop: Header=BB342_1056 Depth=1
	s_or_b32 exec_lo, exec_lo, s18
	v_cmp_ne_u16_sdwa s5, v21, v12 src0_sel:BYTE_1 src1_sel:DWORD
	s_and_saveexec_b32 s18, s5
	s_cbranch_execz .LBB342_1666
; %bb.1659:                             ;   in Loop: Header=BB342_1056 Depth=1
	v_cmp_ne_u16_sdwa s5, v21, v67 src0_sel:BYTE_1 src1_sel:DWORD
	v_bfrev_b32_e32 v68, 1
	s_and_saveexec_b32 s19, s5
	s_cbranch_execz .LBB342_1665
; %bb.1660:                             ;   in Loop: Header=BB342_1056 Depth=1
	v_and_b32_sdwa v11, v94, v21 dst_sel:DWORD dst_unused:UNUSED_PAD src0_sel:DWORD src1_sel:BYTE_1
	v_mov_b32_e32 v68, 0x7f800001
	s_mov_b32 s20, exec_lo
	v_and_b32_e32 v14, 0x7f, v11
	v_cmpx_ne_u32_e32 0x7f, v14
	s_cbranch_execz .LBB342_1664
; %bb.1661:                             ;   in Loop: Header=BB342_1056 Depth=1
	v_and_b32_e32 v11, 7, v11
	v_mov_b32_e32 v24, v12
	v_lshrrev_b32_e32 v13, 3, v14
	s_mov_b32 s21, exec_lo
	v_mov_b32_e32 v23, v11
	v_cmpx_gt_u32_e32 8, v14
; %bb.1662:                             ;   in Loop: Header=BB342_1056 Depth=1
	v_ffbh_u32_e32 v13, v11
	v_min_u32_e32 v13, 32, v13
	v_subrev_nc_u32_e32 v14, 28, v13
	v_sub_nc_u32_e32 v13, 29, v13
	v_lshlrev_b64 v[23:24], v14, v[11:12]
	v_and_b32_e32 v23, 7, v23
; %bb.1663:                             ;   in Loop: Header=BB342_1056 Depth=1
	s_or_b32 exec_lo, exec_lo, s21
	v_lshlrev_b32_e32 v11, 16, v21
	v_lshlrev_b32_e32 v14, 20, v23
	v_lshl_add_u32 v13, v13, 23, 0x3c000000
	v_and_b32_e32 v11, 0x80000000, v11
	v_or3_b32 v68, v14, v11, v13
.LBB342_1664:                           ;   in Loop: Header=BB342_1056 Depth=1
	s_or_b32 exec_lo, exec_lo, s20
.LBB342_1665:                           ;   in Loop: Header=BB342_1056 Depth=1
	s_or_b32 exec_lo, exec_lo, s19
.LBB342_1666:                           ;   in Loop: Header=BB342_1056 Depth=1
	s_or_b32 exec_lo, exec_lo, s18
	v_and_b32_sdwa v11, v21, v69 dst_sel:DWORD dst_unused:UNUSED_PAD src0_sel:WORD_1 src1_sel:DWORD
	v_mov_b32_e32 v25, 0
	v_mov_b32_e32 v33, 0
	s_mov_b32 s18, exec_lo
	v_cmpx_ne_u16_e32 0, v11
	s_cbranch_execz .LBB342_1674
; %bb.1667:                             ;   in Loop: Header=BB342_1056 Depth=1
	v_bfrev_b32_e32 v33, 1
	s_mov_b32 s19, exec_lo
	v_cmpx_ne_u16_e32 0x80, v11
	s_cbranch_execz .LBB342_1673
; %bb.1668:                             ;   in Loop: Header=BB342_1056 Depth=1
	v_bfe_u32 v14, v21, 16, 7
	v_mov_b32_e32 v33, 0x7f800001
	s_mov_b32 s20, exec_lo
	v_cmpx_ne_u32_e32 0x7f, v14
	s_cbranch_execz .LBB342_1672
; %bb.1669:                             ;   in Loop: Header=BB342_1056 Depth=1
	v_mov_b32_e32 v11, 7
	v_lshrrev_b32_e32 v13, 3, v14
	s_mov_b32 s21, exec_lo
	v_and_b32_sdwa v11, v21, v11 dst_sel:DWORD dst_unused:UNUSED_PAD src0_sel:WORD_1 src1_sel:DWORD
	v_mov_b32_e32 v24, v12
	v_mov_b32_e32 v23, v11
	v_cmpx_gt_u32_e32 8, v14
; %bb.1670:                             ;   in Loop: Header=BB342_1056 Depth=1
	v_ffbh_u32_e32 v13, v11
	v_min_u32_e32 v13, 32, v13
	v_subrev_nc_u32_e32 v14, 28, v13
	v_sub_nc_u32_e32 v13, 29, v13
	v_lshlrev_b64 v[23:24], v14, v[11:12]
	v_and_b32_e32 v23, 7, v23
; %bb.1671:                             ;   in Loop: Header=BB342_1056 Depth=1
	s_or_b32 exec_lo, exec_lo, s21
	v_mov_b32_e32 v11, 24
	v_lshlrev_b32_e32 v14, 20, v23
	v_lshl_add_u32 v13, v13, 23, 0x3c000000
	v_lshlrev_b32_sdwa v11, v11, v21 dst_sel:DWORD dst_unused:UNUSED_PAD src0_sel:DWORD src1_sel:WORD_1
	v_and_b32_e32 v11, 0x80000000, v11
	v_or3_b32 v33, v14, v11, v13
.LBB342_1672:                           ;   in Loop: Header=BB342_1056 Depth=1
	s_or_b32 exec_lo, exec_lo, s20
.LBB342_1673:                           ;   in Loop: Header=BB342_1056 Depth=1
	s_or_b32 exec_lo, exec_lo, s19
.LBB342_1674:                           ;   in Loop: Header=BB342_1056 Depth=1
	s_or_b32 exec_lo, exec_lo, s18
	s_mov_b32 s18, exec_lo
	v_cmpx_lt_u32_e32 0xffffff, v21
	s_cbranch_execz .LBB342_1682
; %bb.1675:                             ;   in Loop: Header=BB342_1056 Depth=1
	v_cmp_ne_u32_sdwa s5, v21, v67 src0_sel:BYTE_3 src1_sel:DWORD
	v_bfrev_b32_e32 v25, 1
	s_and_saveexec_b32 s19, s5
	s_cbranch_execz .LBB342_1681
; %bb.1676:                             ;   in Loop: Header=BB342_1056 Depth=1
	v_bfe_u32 v14, v21, 24, 7
	v_mov_b32_e32 v25, 0x7f800001
	s_mov_b32 s20, exec_lo
	v_cmpx_ne_u32_e32 0x7f, v14
	s_cbranch_execz .LBB342_1680
; %bb.1677:                             ;   in Loop: Header=BB342_1056 Depth=1
	v_mov_b32_e32 v11, 7
	v_lshrrev_b32_e32 v13, 3, v14
	s_mov_b32 s21, exec_lo
	v_and_b32_sdwa v11, v21, v11 dst_sel:DWORD dst_unused:UNUSED_PAD src0_sel:BYTE_3 src1_sel:DWORD
	v_mov_b32_e32 v24, v12
	v_mov_b32_e32 v23, v11
	v_cmpx_gt_u32_e32 8, v14
; %bb.1678:                             ;   in Loop: Header=BB342_1056 Depth=1
	v_ffbh_u32_e32 v13, v11
	v_min_u32_e32 v13, 32, v13
	v_subrev_nc_u32_e32 v14, 28, v13
	v_sub_nc_u32_e32 v13, 29, v13
	v_lshlrev_b64 v[23:24], v14, v[11:12]
	v_and_b32_e32 v23, 7, v23
; %bb.1679:                             ;   in Loop: Header=BB342_1056 Depth=1
	s_or_b32 exec_lo, exec_lo, s21
	v_mov_b32_e32 v11, 24
	v_lshlrev_b32_e32 v14, 20, v23
	v_lshl_add_u32 v13, v13, 23, 0x3c000000
	v_lshlrev_b32_sdwa v11, v11, v21 dst_sel:DWORD dst_unused:UNUSED_PAD src0_sel:DWORD src1_sel:BYTE_3
	v_and_b32_e32 v11, 0x80000000, v11
	v_or3_b32 v25, v14, v11, v13
.LBB342_1680:                           ;   in Loop: Header=BB342_1056 Depth=1
	s_or_b32 exec_lo, exec_lo, s20
.LBB342_1681:                           ;   in Loop: Header=BB342_1056 Depth=1
	s_or_b32 exec_lo, exec_lo, s19
.LBB342_1682:                           ;   in Loop: Header=BB342_1056 Depth=1
	s_or_b32 exec_lo, exec_lo, s18
	v_mov_b32_e32 v11, v22
	v_cmp_ne_u16_sdwa s5, v22, v12 src0_sel:BYTE_0 src1_sel:DWORD
	v_mov_b32_e32 v13, 0
	v_mov_b32_e32 v14, 0
	s_and_saveexec_b32 s18, s5
	s_cbranch_execz .LBB342_1690
; %bb.1683:                             ;   in Loop: Header=BB342_1056 Depth=1
	v_cmp_ne_u16_sdwa s5, v22, v67 src0_sel:BYTE_0 src1_sel:DWORD
	v_bfrev_b32_e32 v14, 1
	s_and_saveexec_b32 s19, s5
	s_cbranch_execz .LBB342_1689
; %bb.1684:                             ;   in Loop: Header=BB342_1056 Depth=1
	v_and_b32_e32 v23, 0x7f, v22
	v_mov_b32_e32 v14, 0x7f800001
	s_mov_b32 s20, exec_lo
	v_cmpx_ne_u32_e32 0x7f, v23
	s_cbranch_execz .LBB342_1688
; %bb.1685:                             ;   in Loop: Header=BB342_1056 Depth=1
	v_lshrrev_b32_e32 v14, 3, v23
	v_cmp_gt_u32_e64 s5, 8, v23
	v_mov_b32_e32 v24, v12
	v_mov_b32_e32 v23, v11
	s_and_saveexec_b32 s21, s5
; %bb.1686:                             ;   in Loop: Header=BB342_1056 Depth=1
	v_and_b32_e32 v14, 7, v22
	v_ffbh_u32_e32 v14, v14
	v_min_u32_e32 v14, 32, v14
	v_subrev_nc_u32_e32 v23, 28, v14
	v_sub_nc_u32_e32 v14, 29, v14
	v_lshlrev_b64 v[23:24], v23, v[11:12]
; %bb.1687:                             ;   in Loop: Header=BB342_1056 Depth=1
	s_or_b32 exec_lo, exec_lo, s21
	v_lshlrev_b32_e32 v23, 20, v23
	v_lshlrev_b32_e32 v24, 24, v11
	v_lshl_add_u32 v14, v14, 23, 0x3c000000
	v_and_b32_e32 v23, 0x700000, v23
	v_and_b32_e32 v24, 0x80000000, v24
	v_or3_b32 v14, v23, v24, v14
.LBB342_1688:                           ;   in Loop: Header=BB342_1056 Depth=1
	s_or_b32 exec_lo, exec_lo, s20
.LBB342_1689:                           ;   in Loop: Header=BB342_1056 Depth=1
	s_or_b32 exec_lo, exec_lo, s19
.LBB342_1690:                           ;   in Loop: Header=BB342_1056 Depth=1
	s_or_b32 exec_lo, exec_lo, s18
	v_cmp_ne_u16_sdwa s5, v11, v12 src0_sel:BYTE_1 src1_sel:DWORD
	s_and_saveexec_b32 s18, s5
	s_cbranch_execz .LBB342_1698
; %bb.1691:                             ;   in Loop: Header=BB342_1056 Depth=1
	v_cmp_ne_u16_sdwa s5, v11, v67 src0_sel:BYTE_1 src1_sel:DWORD
	v_bfrev_b32_e32 v13, 1
	s_and_saveexec_b32 s19, s5
	s_cbranch_execz .LBB342_1697
; %bb.1692:                             ;   in Loop: Header=BB342_1056 Depth=1
	v_and_b32_sdwa v23, v94, v11 dst_sel:DWORD dst_unused:UNUSED_PAD src0_sel:DWORD src1_sel:BYTE_1
	v_mov_b32_e32 v13, 0x7f800001
	s_mov_b32 s20, exec_lo
	v_and_b32_e32 v70, 0x7f, v23
	v_cmpx_ne_u32_e32 0x7f, v70
	s_cbranch_execz .LBB342_1696
; %bb.1693:                             ;   in Loop: Header=BB342_1056 Depth=1
	v_and_b32_e32 v23, 7, v23
	v_mov_b32_e32 v24, v12
	v_lshrrev_b32_e32 v13, 3, v70
	s_mov_b32 s21, exec_lo
	v_cmpx_gt_u32_e32 8, v70
; %bb.1694:                             ;   in Loop: Header=BB342_1056 Depth=1
	v_ffbh_u32_e32 v13, v23
	v_min_u32_e32 v13, 32, v13
	v_subrev_nc_u32_e32 v32, 28, v13
	v_sub_nc_u32_e32 v13, 29, v13
	v_lshlrev_b64 v[23:24], v32, v[23:24]
	v_and_b32_e32 v23, 7, v23
; %bb.1695:                             ;   in Loop: Header=BB342_1056 Depth=1
	s_or_b32 exec_lo, exec_lo, s21
	v_lshlrev_b32_e32 v11, 16, v11
	v_lshlrev_b32_e32 v23, 20, v23
	v_lshl_add_u32 v13, v13, 23, 0x3c000000
	v_and_b32_e32 v11, 0x80000000, v11
	v_or3_b32 v13, v23, v11, v13
.LBB342_1696:                           ;   in Loop: Header=BB342_1056 Depth=1
	s_or_b32 exec_lo, exec_lo, s20
.LBB342_1697:                           ;   in Loop: Header=BB342_1056 Depth=1
	s_or_b32 exec_lo, exec_lo, s19
.LBB342_1698:                           ;   in Loop: Header=BB342_1056 Depth=1
	s_or_b32 exec_lo, exec_lo, s18
	v_and_b32_sdwa v11, v22, v69 dst_sel:DWORD dst_unused:UNUSED_PAD src0_sel:WORD_1 src1_sel:DWORD
	v_mov_b32_e32 v70, 0
	v_mov_b32_e32 v71, 0
	s_mov_b32 s18, exec_lo
	v_cmpx_ne_u16_e32 0, v11
	s_cbranch_execz .LBB342_1706
; %bb.1699:                             ;   in Loop: Header=BB342_1056 Depth=1
	v_bfrev_b32_e32 v71, 1
	s_mov_b32 s19, exec_lo
	v_cmpx_ne_u16_e32 0x80, v11
	s_cbranch_execz .LBB342_1705
; %bb.1700:                             ;   in Loop: Header=BB342_1056 Depth=1
	v_bfe_u32 v23, v22, 16, 7
	v_mov_b32_e32 v71, 0x7f800001
	s_mov_b32 s20, exec_lo
	v_cmpx_ne_u32_e32 0x7f, v23
	s_cbranch_execz .LBB342_1704
; %bb.1701:                             ;   in Loop: Header=BB342_1056 Depth=1
	v_mov_b32_e32 v11, 7
	v_lshrrev_b32_e32 v71, 3, v23
	v_cmp_gt_u32_e64 s5, 8, v23
	v_and_b32_sdwa v11, v22, v11 dst_sel:DWORD dst_unused:UNUSED_PAD src0_sel:WORD_1 src1_sel:DWORD
	v_mov_b32_e32 v24, v12
	v_mov_b32_e32 v23, v11
	s_and_saveexec_b32 s21, s5
; %bb.1702:                             ;   in Loop: Header=BB342_1056 Depth=1
	v_ffbh_u32_e32 v23, v11
	v_min_u32_e32 v32, 32, v23
	v_subrev_nc_u32_e32 v23, 28, v32
	v_sub_nc_u32_e32 v71, 29, v32
	v_lshlrev_b64 v[23:24], v23, v[11:12]
	v_and_b32_e32 v23, 7, v23
; %bb.1703:                             ;   in Loop: Header=BB342_1056 Depth=1
	s_or_b32 exec_lo, exec_lo, s21
	v_mov_b32_e32 v11, 24
	v_lshlrev_b32_e32 v23, 20, v23
	v_lshl_add_u32 v24, v71, 23, 0x3c000000
	v_lshlrev_b32_sdwa v11, v11, v22 dst_sel:DWORD dst_unused:UNUSED_PAD src0_sel:DWORD src1_sel:WORD_1
	v_and_b32_e32 v11, 0x80000000, v11
	v_or3_b32 v71, v23, v11, v24
.LBB342_1704:                           ;   in Loop: Header=BB342_1056 Depth=1
	s_or_b32 exec_lo, exec_lo, s20
.LBB342_1705:                           ;   in Loop: Header=BB342_1056 Depth=1
	s_or_b32 exec_lo, exec_lo, s19
.LBB342_1706:                           ;   in Loop: Header=BB342_1056 Depth=1
	s_or_b32 exec_lo, exec_lo, s18
	s_mov_b32 s18, exec_lo
	v_cmpx_lt_u64_e64 s[6:7], v[21:22]
	s_cbranch_execz .LBB342_1714
; %bb.1707:                             ;   in Loop: Header=BB342_1056 Depth=1
	v_cmp_ne_u32_sdwa s5, v22, v67 src0_sel:BYTE_3 src1_sel:DWORD
	v_bfrev_b32_e32 v70, 1
	s_and_saveexec_b32 s19, s5
	s_cbranch_execz .LBB342_1713
; %bb.1708:                             ;   in Loop: Header=BB342_1056 Depth=1
	v_bfe_u32 v23, v22, 24, 7
	v_mov_b32_e32 v70, 0x7f800001
	s_mov_b32 s20, exec_lo
	v_cmpx_ne_u32_e32 0x7f, v23
	s_cbranch_execz .LBB342_1712
; %bb.1709:                             ;   in Loop: Header=BB342_1056 Depth=1
	v_mov_b32_e32 v11, 7
	v_lshrrev_b32_e32 v21, 3, v23
	v_cmp_gt_u32_e64 s5, 8, v23
	v_and_b32_sdwa v11, v22, v11 dst_sel:DWORD dst_unused:UNUSED_PAD src0_sel:BYTE_3 src1_sel:DWORD
	v_mov_b32_e32 v24, v12
	v_mov_b32_e32 v23, v11
	s_and_saveexec_b32 s21, s5
; %bb.1710:                             ;   in Loop: Header=BB342_1056 Depth=1
	v_ffbh_u32_e32 v21, v11
	v_min_u32_e32 v21, 32, v21
	v_subrev_nc_u32_e32 v23, 28, v21
	v_sub_nc_u32_e32 v21, 29, v21
	v_lshlrev_b64 v[23:24], v23, v[11:12]
	v_and_b32_e32 v23, 7, v23
; %bb.1711:                             ;   in Loop: Header=BB342_1056 Depth=1
	s_or_b32 exec_lo, exec_lo, s21
	v_mov_b32_e32 v11, 24
	v_lshl_add_u32 v21, v21, 23, 0x3c000000
	v_lshlrev_b32_sdwa v11, v11, v22 dst_sel:DWORD dst_unused:UNUSED_PAD src0_sel:DWORD src1_sel:BYTE_3
	v_lshlrev_b32_e32 v22, 20, v23
	v_and_b32_e32 v11, 0x80000000, v11
	v_or3_b32 v70, v22, v11, v21
.LBB342_1712:                           ;   in Loop: Header=BB342_1056 Depth=1
	s_or_b32 exec_lo, exec_lo, s20
.LBB342_1713:                           ;   in Loop: Header=BB342_1056 Depth=1
	s_or_b32 exec_lo, exec_lo, s19
.LBB342_1714:                           ;   in Loop: Header=BB342_1056 Depth=1
	s_or_b32 exec_lo, exec_lo, s18
	v_mul_f32_e32 v11, v64, v13
	v_mul_f32_e32 v10, v64, v10
	v_bfe_u32 v13, v11, 16, 1
	v_or_b32_e32 v21, 0x400000, v11
	v_cmp_u_f32_e64 s5, v11, v11
	v_add3_u32 v13, v13, v11, 0x7fff
	v_cndmask_b32_e64 v11, v13, v21, s5
	v_lshrrev_b32_e32 v13, 16, v11
	v_mul_f32_e32 v11, v64, v14
	v_bfe_u32 v14, v11, 16, 1
	v_or_b32_e32 v21, 0x400000, v11
	v_cmp_u_f32_e64 s5, v11, v11
	v_add3_u32 v14, v14, v11, 0x7fff
	v_cndmask_b32_e64 v11, v14, v21, s5
	v_lshrrev_b32_e32 v14, 16, v11
	;; [unrolled: 7-line block ×4, first 2 shown]
	v_mul_f32_e32 v11, v64, v68
	v_bfe_u32 v21, v11, 16, 1
	v_or_b32_e32 v22, 0x400000, v11
	v_cmp_u_f32_e64 s5, v11, v11
	v_add3_u32 v21, v21, v11, 0x7fff
	v_cndmask_b32_e64 v11, v21, v22, s5
	v_or_b32_e32 v21, 0x400000, v10
	v_cmp_u_f32_e64 s5, v10, v10
	v_lshrrev_b32_e32 v82, 16, v11
	v_bfe_u32 v11, v10, 16, 1
	v_add3_u32 v11, v11, v10, 0x7fff
	v_cndmask_b32_e64 v10, v11, v21, s5
	v_lshrrev_b32_e32 v83, 16, v10
	v_mul_f32_e32 v10, v64, v71
	v_bfe_u32 v11, v10, 16, 1
	v_or_b32_e32 v21, 0x400000, v10
	v_cmp_u_f32_e64 s5, v10, v10
	v_add3_u32 v11, v11, v10, 0x7fff
	v_cndmask_b32_e64 v10, v11, v21, s5
	v_lshrrev_b32_e32 v81, 16, v10
	v_mul_f32_e32 v10, v64, v70
	v_bfe_u32 v11, v10, 16, 1
	v_or_b32_e32 v21, 0x400000, v10
	v_cmp_u_f32_e64 s5, v10, v10
	v_add3_u32 v11, v11, v10, 0x7fff
	v_cndmask_b32_e64 v10, v11, v21, s5
	v_lshrrev_b32_e32 v84, 16, v10
	s_and_saveexec_b32 s18, vcc_lo
	s_cbranch_execz .LBB342_1716
; %bb.1715:                             ;   in Loop: Header=BB342_1056 Depth=1
	buffer_load_dword v10, off, s[0:3], s32 offset:196 ; 4-byte Folded Reload
	s_waitcnt vmcnt(0)
	v_cmp_lt_i32_e64 s5, v57, v10
	v_cndmask_b32_e64 v83, 0, v83, s5
	v_cmp_lt_i32_e64 s5, v63, v10
	v_cndmask_b32_e64 v82, 0, v82, s5
	;; [unrolled: 2-line block ×8, first 2 shown]
.LBB342_1716:                           ;   in Loop: Header=BB342_1056 Depth=1
	s_or_b32 exec_lo, exec_lo, s18
	flat_load_dwordx2 v[21:22], v[19:20] offset:512
	v_mov_b32_e32 v68, 0
	v_mov_b32_e32 v10, 0
	s_waitcnt vmcnt(0) lgkmcnt(0)
	v_cmp_ne_u16_sdwa s5, v21, v12 src0_sel:BYTE_0 src1_sel:DWORD
	s_and_saveexec_b32 s18, s5
	s_cbranch_execz .LBB342_1724
; %bb.1717:                             ;   in Loop: Header=BB342_1056 Depth=1
	v_cmp_ne_u16_sdwa s5, v21, v67 src0_sel:BYTE_0 src1_sel:DWORD
	v_bfrev_b32_e32 v10, 1
	s_and_saveexec_b32 s19, s5
	s_cbranch_execz .LBB342_1723
; %bb.1718:                             ;   in Loop: Header=BB342_1056 Depth=1
	v_and_b32_e32 v11, 0x7f, v21
	v_mov_b32_e32 v10, 0x7f800001
	s_mov_b32 s20, exec_lo
	v_cmpx_ne_u32_e32 0x7f, v11
	s_cbranch_execz .LBB342_1722
; %bb.1719:                             ;   in Loop: Header=BB342_1056 Depth=1
	v_lshrrev_b32_e32 v23, 3, v11
	v_cmp_gt_u32_e64 s5, 8, v11
	v_mov_b32_e32 v10, v21
	v_mov_b32_e32 v11, v22
	s_and_saveexec_b32 s21, s5
; %bb.1720:                             ;   in Loop: Header=BB342_1056 Depth=1
	v_and_b32_e32 v10, 7, v21
	v_ffbh_u32_e32 v10, v10
	v_min_u32_e32 v23, 32, v10
	v_subrev_nc_u32_e32 v10, 28, v23
	v_sub_nc_u32_e32 v23, 29, v23
	v_lshlrev_b64 v[10:11], v10, v[21:22]
; %bb.1721:                             ;   in Loop: Header=BB342_1056 Depth=1
	s_or_b32 exec_lo, exec_lo, s21
	v_lshlrev_b32_e32 v10, 20, v10
	v_lshlrev_b32_e32 v11, 24, v21
	v_lshl_add_u32 v23, v23, 23, 0x3c000000
	v_and_b32_e32 v10, 0x700000, v10
	v_and_b32_e32 v11, 0x80000000, v11
	v_or3_b32 v10, v10, v11, v23
.LBB342_1722:                           ;   in Loop: Header=BB342_1056 Depth=1
	s_or_b32 exec_lo, exec_lo, s20
.LBB342_1723:                           ;   in Loop: Header=BB342_1056 Depth=1
	s_or_b32 exec_lo, exec_lo, s19
.LBB342_1724:                           ;   in Loop: Header=BB342_1056 Depth=1
	s_or_b32 exec_lo, exec_lo, s18
	v_cmp_ne_u16_sdwa s5, v21, v12 src0_sel:BYTE_1 src1_sel:DWORD
	s_and_saveexec_b32 s18, s5
	s_cbranch_execz .LBB342_1732
; %bb.1725:                             ;   in Loop: Header=BB342_1056 Depth=1
	v_cmp_ne_u16_sdwa s5, v21, v67 src0_sel:BYTE_1 src1_sel:DWORD
	v_bfrev_b32_e32 v68, 1
	s_and_saveexec_b32 s19, s5
	s_cbranch_execz .LBB342_1731
; %bb.1726:                             ;   in Loop: Header=BB342_1056 Depth=1
	v_and_b32_sdwa v11, v94, v21 dst_sel:DWORD dst_unused:UNUSED_PAD src0_sel:DWORD src1_sel:BYTE_1
	v_mov_b32_e32 v68, 0x7f800001
	s_mov_b32 s20, exec_lo
	v_and_b32_e32 v23, 0x7f, v11
	v_cmpx_ne_u32_e32 0x7f, v23
	s_cbranch_execz .LBB342_1730
; %bb.1727:                             ;   in Loop: Header=BB342_1056 Depth=1
	v_and_b32_e32 v11, 7, v11
	v_lshrrev_b32_e32 v68, 3, v23
	v_cmp_gt_u32_e64 s5, 8, v23
	v_mov_b32_e32 v24, v12
	v_mov_b32_e32 v23, v11
	s_and_saveexec_b32 s21, s5
; %bb.1728:                             ;   in Loop: Header=BB342_1056 Depth=1
	v_ffbh_u32_e32 v23, v11
	v_min_u32_e32 v32, 32, v23
	v_subrev_nc_u32_e32 v23, 28, v32
	v_sub_nc_u32_e32 v68, 29, v32
	v_lshlrev_b64 v[23:24], v23, v[11:12]
	v_and_b32_e32 v23, 7, v23
; %bb.1729:                             ;   in Loop: Header=BB342_1056 Depth=1
	s_or_b32 exec_lo, exec_lo, s21
	v_lshlrev_b32_e32 v11, 16, v21
	v_lshlrev_b32_e32 v23, 20, v23
	v_lshl_add_u32 v24, v68, 23, 0x3c000000
	v_and_b32_e32 v11, 0x80000000, v11
	v_or3_b32 v68, v23, v11, v24
.LBB342_1730:                           ;   in Loop: Header=BB342_1056 Depth=1
	s_or_b32 exec_lo, exec_lo, s20
.LBB342_1731:                           ;   in Loop: Header=BB342_1056 Depth=1
	s_or_b32 exec_lo, exec_lo, s19
.LBB342_1732:                           ;   in Loop: Header=BB342_1056 Depth=1
	s_or_b32 exec_lo, exec_lo, s18
	v_and_b32_sdwa v11, v21, v69 dst_sel:DWORD dst_unused:UNUSED_PAD src0_sel:WORD_1 src1_sel:DWORD
	v_mov_b32_e32 v71, 0
	v_mov_b32_e32 v70, 0
	s_mov_b32 s18, exec_lo
	v_cmpx_ne_u16_e32 0, v11
	s_cbranch_execz .LBB342_1740
; %bb.1733:                             ;   in Loop: Header=BB342_1056 Depth=1
	v_bfrev_b32_e32 v70, 1
	s_mov_b32 s19, exec_lo
	v_cmpx_ne_u16_e32 0x80, v11
	s_cbranch_execz .LBB342_1739
; %bb.1734:                             ;   in Loop: Header=BB342_1056 Depth=1
	v_bfe_u32 v23, v21, 16, 7
	v_mov_b32_e32 v70, 0x7f800001
	s_mov_b32 s20, exec_lo
	v_cmpx_ne_u32_e32 0x7f, v23
	s_cbranch_execz .LBB342_1738
; %bb.1735:                             ;   in Loop: Header=BB342_1056 Depth=1
	v_mov_b32_e32 v11, 7
	v_lshrrev_b32_e32 v70, 3, v23
	v_cmp_gt_u32_e64 s5, 8, v23
	v_and_b32_sdwa v11, v21, v11 dst_sel:DWORD dst_unused:UNUSED_PAD src0_sel:WORD_1 src1_sel:DWORD
	v_mov_b32_e32 v24, v12
	v_mov_b32_e32 v23, v11
	s_and_saveexec_b32 s21, s5
; %bb.1736:                             ;   in Loop: Header=BB342_1056 Depth=1
	v_ffbh_u32_e32 v23, v11
	v_min_u32_e32 v32, 32, v23
	v_subrev_nc_u32_e32 v23, 28, v32
	v_sub_nc_u32_e32 v70, 29, v32
	v_lshlrev_b64 v[23:24], v23, v[11:12]
	v_and_b32_e32 v23, 7, v23
; %bb.1737:                             ;   in Loop: Header=BB342_1056 Depth=1
	s_or_b32 exec_lo, exec_lo, s21
	v_mov_b32_e32 v11, 24
	v_lshlrev_b32_e32 v23, 20, v23
	v_lshl_add_u32 v24, v70, 23, 0x3c000000
	v_lshlrev_b32_sdwa v11, v11, v21 dst_sel:DWORD dst_unused:UNUSED_PAD src0_sel:DWORD src1_sel:WORD_1
	v_and_b32_e32 v11, 0x80000000, v11
	v_or3_b32 v70, v23, v11, v24
.LBB342_1738:                           ;   in Loop: Header=BB342_1056 Depth=1
	s_or_b32 exec_lo, exec_lo, s20
.LBB342_1739:                           ;   in Loop: Header=BB342_1056 Depth=1
	s_or_b32 exec_lo, exec_lo, s19
.LBB342_1740:                           ;   in Loop: Header=BB342_1056 Depth=1
	s_or_b32 exec_lo, exec_lo, s18
	s_mov_b32 s18, exec_lo
	v_cmpx_lt_u32_e32 0xffffff, v21
	s_cbranch_execz .LBB342_1748
; %bb.1741:                             ;   in Loop: Header=BB342_1056 Depth=1
	v_cmp_ne_u32_sdwa s5, v21, v67 src0_sel:BYTE_3 src1_sel:DWORD
	v_bfrev_b32_e32 v71, 1
	s_and_saveexec_b32 s19, s5
	s_cbranch_execz .LBB342_1747
; %bb.1742:                             ;   in Loop: Header=BB342_1056 Depth=1
	v_bfe_u32 v23, v21, 24, 7
	v_mov_b32_e32 v71, 0x7f800001
	s_mov_b32 s20, exec_lo
	v_cmpx_ne_u32_e32 0x7f, v23
	s_cbranch_execz .LBB342_1746
; %bb.1743:                             ;   in Loop: Header=BB342_1056 Depth=1
	v_mov_b32_e32 v11, 7
	v_lshrrev_b32_e32 v71, 3, v23
	v_cmp_gt_u32_e64 s5, 8, v23
	v_and_b32_sdwa v11, v21, v11 dst_sel:DWORD dst_unused:UNUSED_PAD src0_sel:BYTE_3 src1_sel:DWORD
	v_mov_b32_e32 v24, v12
	v_mov_b32_e32 v23, v11
	s_and_saveexec_b32 s21, s5
; %bb.1744:                             ;   in Loop: Header=BB342_1056 Depth=1
	v_ffbh_u32_e32 v23, v11
	v_min_u32_e32 v32, 32, v23
	v_subrev_nc_u32_e32 v23, 28, v32
	v_sub_nc_u32_e32 v71, 29, v32
	v_lshlrev_b64 v[23:24], v23, v[11:12]
	v_and_b32_e32 v23, 7, v23
; %bb.1745:                             ;   in Loop: Header=BB342_1056 Depth=1
	s_or_b32 exec_lo, exec_lo, s21
	v_mov_b32_e32 v11, 24
	v_lshlrev_b32_e32 v23, 20, v23
	v_lshl_add_u32 v24, v71, 23, 0x3c000000
	v_lshlrev_b32_sdwa v11, v11, v21 dst_sel:DWORD dst_unused:UNUSED_PAD src0_sel:DWORD src1_sel:BYTE_3
	v_and_b32_e32 v11, 0x80000000, v11
	v_or3_b32 v71, v23, v11, v24
.LBB342_1746:                           ;   in Loop: Header=BB342_1056 Depth=1
	s_or_b32 exec_lo, exec_lo, s20
.LBB342_1747:                           ;   in Loop: Header=BB342_1056 Depth=1
	s_or_b32 exec_lo, exec_lo, s19
.LBB342_1748:                           ;   in Loop: Header=BB342_1056 Depth=1
	s_or_b32 exec_lo, exec_lo, s18
	v_mov_b32_e32 v11, v22
	v_cmp_ne_u16_sdwa s5, v22, v12 src0_sel:BYTE_0 src1_sel:DWORD
	v_mov_b32_e32 v85, 0
	v_mov_b32_e32 v86, 0
	s_and_saveexec_b32 s18, s5
	s_cbranch_execz .LBB342_1756
; %bb.1749:                             ;   in Loop: Header=BB342_1056 Depth=1
	v_cmp_ne_u16_sdwa s5, v22, v67 src0_sel:BYTE_0 src1_sel:DWORD
	v_bfrev_b32_e32 v86, 1
	s_and_saveexec_b32 s19, s5
	s_cbranch_execz .LBB342_1755
; %bb.1750:                             ;   in Loop: Header=BB342_1056 Depth=1
	v_and_b32_e32 v23, 0x7f, v22
	v_mov_b32_e32 v86, 0x7f800001
	s_mov_b32 s20, exec_lo
	v_cmpx_ne_u32_e32 0x7f, v23
	s_cbranch_execz .LBB342_1754
; %bb.1751:                             ;   in Loop: Header=BB342_1056 Depth=1
	v_lshrrev_b32_e32 v86, 3, v23
	v_cmp_gt_u32_e64 s5, 8, v23
	v_mov_b32_e32 v24, v12
	v_mov_b32_e32 v23, v11
	s_and_saveexec_b32 s21, s5
; %bb.1752:                             ;   in Loop: Header=BB342_1056 Depth=1
	v_and_b32_e32 v23, 7, v22
	v_ffbh_u32_e32 v23, v23
	v_min_u32_e32 v32, 32, v23
	v_subrev_nc_u32_e32 v23, 28, v32
	v_sub_nc_u32_e32 v86, 29, v32
	v_lshlrev_b64 v[23:24], v23, v[11:12]
; %bb.1753:                             ;   in Loop: Header=BB342_1056 Depth=1
	s_or_b32 exec_lo, exec_lo, s21
	v_lshlrev_b32_e32 v23, 20, v23
	v_lshlrev_b32_e32 v24, 24, v11
	v_lshl_add_u32 v32, v86, 23, 0x3c000000
	v_and_b32_e32 v23, 0x700000, v23
	v_and_b32_e32 v24, 0x80000000, v24
	v_or3_b32 v86, v23, v24, v32
.LBB342_1754:                           ;   in Loop: Header=BB342_1056 Depth=1
	s_or_b32 exec_lo, exec_lo, s20
.LBB342_1755:                           ;   in Loop: Header=BB342_1056 Depth=1
	s_or_b32 exec_lo, exec_lo, s19
.LBB342_1756:                           ;   in Loop: Header=BB342_1056 Depth=1
	s_or_b32 exec_lo, exec_lo, s18
	v_cmp_ne_u16_sdwa s5, v11, v12 src0_sel:BYTE_1 src1_sel:DWORD
	s_and_saveexec_b32 s18, s5
	s_cbranch_execz .LBB342_1764
; %bb.1757:                             ;   in Loop: Header=BB342_1056 Depth=1
	v_cmp_ne_u16_sdwa s5, v11, v67 src0_sel:BYTE_1 src1_sel:DWORD
	v_bfrev_b32_e32 v85, 1
	s_and_saveexec_b32 s19, s5
	s_cbranch_execz .LBB342_1763
; %bb.1758:                             ;   in Loop: Header=BB342_1056 Depth=1
	v_and_b32_sdwa v23, v94, v11 dst_sel:DWORD dst_unused:UNUSED_PAD src0_sel:DWORD src1_sel:BYTE_1
	v_mov_b32_e32 v85, 0x7f800001
	s_mov_b32 s20, exec_lo
	v_and_b32_e32 v87, 0x7f, v23
	v_cmpx_ne_u32_e32 0x7f, v87
	s_cbranch_execz .LBB342_1762
; %bb.1759:                             ;   in Loop: Header=BB342_1056 Depth=1
	v_and_b32_e32 v23, 7, v23
	v_mov_b32_e32 v24, v12
	v_lshrrev_b32_e32 v85, 3, v87
	s_mov_b32 s21, exec_lo
	v_cmpx_gt_u32_e32 8, v87
; %bb.1760:                             ;   in Loop: Header=BB342_1056 Depth=1
	v_ffbh_u32_e32 v32, v23
	v_min_u32_e32 v32, 32, v32
	v_subrev_nc_u32_e32 v85, 28, v32
	v_lshlrev_b64 v[23:24], v85, v[23:24]
	v_sub_nc_u32_e32 v85, 29, v32
	v_and_b32_e32 v23, 7, v23
; %bb.1761:                             ;   in Loop: Header=BB342_1056 Depth=1
	s_or_b32 exec_lo, exec_lo, s21
	v_lshlrev_b32_e32 v11, 16, v11
	v_lshlrev_b32_e32 v23, 20, v23
	v_lshl_add_u32 v24, v85, 23, 0x3c000000
	v_and_b32_e32 v11, 0x80000000, v11
	v_or3_b32 v85, v23, v11, v24
.LBB342_1762:                           ;   in Loop: Header=BB342_1056 Depth=1
	s_or_b32 exec_lo, exec_lo, s20
.LBB342_1763:                           ;   in Loop: Header=BB342_1056 Depth=1
	s_or_b32 exec_lo, exec_lo, s19
.LBB342_1764:                           ;   in Loop: Header=BB342_1056 Depth=1
	s_or_b32 exec_lo, exec_lo, s18
	v_and_b32_sdwa v11, v22, v69 dst_sel:DWORD dst_unused:UNUSED_PAD src0_sel:WORD_1 src1_sel:DWORD
	v_mov_b32_e32 v100, 0
	v_mov_b32_e32 v98, 0
	s_mov_b32 s18, exec_lo
	v_cmpx_ne_u16_e32 0, v11
	s_cbranch_execz .LBB342_1772
; %bb.1765:                             ;   in Loop: Header=BB342_1056 Depth=1
	v_bfrev_b32_e32 v98, 1
	s_mov_b32 s19, exec_lo
	v_cmpx_ne_u16_e32 0x80, v11
	s_cbranch_execz .LBB342_1771
; %bb.1766:                             ;   in Loop: Header=BB342_1056 Depth=1
	v_bfe_u32 v23, v22, 16, 7
	v_mov_b32_e32 v98, 0x7f800001
	s_mov_b32 s20, exec_lo
	v_cmpx_ne_u32_e32 0x7f, v23
	s_cbranch_execz .LBB342_1770
; %bb.1767:                             ;   in Loop: Header=BB342_1056 Depth=1
	v_mov_b32_e32 v11, 7
	v_lshrrev_b32_e32 v87, 3, v23
	v_cmp_gt_u32_e64 s5, 8, v23
	v_and_b32_sdwa v11, v22, v11 dst_sel:DWORD dst_unused:UNUSED_PAD src0_sel:WORD_1 src1_sel:DWORD
	v_mov_b32_e32 v24, v12
	v_mov_b32_e32 v23, v11
	s_and_saveexec_b32 s21, s5
; %bb.1768:                             ;   in Loop: Header=BB342_1056 Depth=1
	v_ffbh_u32_e32 v23, v11
	v_min_u32_e32 v32, 32, v23
	v_subrev_nc_u32_e32 v23, 28, v32
	v_sub_nc_u32_e32 v87, 29, v32
	v_lshlrev_b64 v[23:24], v23, v[11:12]
	v_and_b32_e32 v23, 7, v23
; %bb.1769:                             ;   in Loop: Header=BB342_1056 Depth=1
	s_or_b32 exec_lo, exec_lo, s21
	v_mov_b32_e32 v11, 24
	v_lshlrev_b32_e32 v23, 20, v23
	v_lshl_add_u32 v24, v87, 23, 0x3c000000
	v_lshlrev_b32_sdwa v11, v11, v22 dst_sel:DWORD dst_unused:UNUSED_PAD src0_sel:DWORD src1_sel:WORD_1
	v_and_b32_e32 v11, 0x80000000, v11
	v_or3_b32 v98, v23, v11, v24
.LBB342_1770:                           ;   in Loop: Header=BB342_1056 Depth=1
	s_or_b32 exec_lo, exec_lo, s20
.LBB342_1771:                           ;   in Loop: Header=BB342_1056 Depth=1
	s_or_b32 exec_lo, exec_lo, s19
.LBB342_1772:                           ;   in Loop: Header=BB342_1056 Depth=1
	s_or_b32 exec_lo, exec_lo, s18
	s_mov_b32 s18, exec_lo
	v_cmpx_lt_u64_e64 s[6:7], v[21:22]
	s_cbranch_execz .LBB342_1780
; %bb.1773:                             ;   in Loop: Header=BB342_1056 Depth=1
	v_cmp_ne_u32_sdwa s5, v22, v67 src0_sel:BYTE_3 src1_sel:DWORD
	v_bfrev_b32_e32 v100, 1
	s_and_saveexec_b32 s19, s5
	s_cbranch_execz .LBB342_1779
; %bb.1774:                             ;   in Loop: Header=BB342_1056 Depth=1
	v_bfe_u32 v23, v22, 24, 7
	v_mov_b32_e32 v100, 0x7f800001
	s_mov_b32 s20, exec_lo
	v_cmpx_ne_u32_e32 0x7f, v23
	s_cbranch_execz .LBB342_1778
; %bb.1775:                             ;   in Loop: Header=BB342_1056 Depth=1
	v_mov_b32_e32 v11, 7
	v_lshrrev_b32_e32 v21, 3, v23
	v_cmp_gt_u32_e64 s5, 8, v23
	v_and_b32_sdwa v11, v22, v11 dst_sel:DWORD dst_unused:UNUSED_PAD src0_sel:BYTE_3 src1_sel:DWORD
	v_mov_b32_e32 v24, v12
	v_mov_b32_e32 v23, v11
	s_and_saveexec_b32 s21, s5
; %bb.1776:                             ;   in Loop: Header=BB342_1056 Depth=1
	v_ffbh_u32_e32 v21, v11
	v_min_u32_e32 v21, 32, v21
	v_subrev_nc_u32_e32 v23, 28, v21
	v_sub_nc_u32_e32 v21, 29, v21
	v_lshlrev_b64 v[23:24], v23, v[11:12]
	v_and_b32_e32 v23, 7, v23
; %bb.1777:                             ;   in Loop: Header=BB342_1056 Depth=1
	s_or_b32 exec_lo, exec_lo, s21
	v_mov_b32_e32 v11, 24
	v_lshl_add_u32 v21, v21, 23, 0x3c000000
	v_lshlrev_b32_sdwa v11, v11, v22 dst_sel:DWORD dst_unused:UNUSED_PAD src0_sel:DWORD src1_sel:BYTE_3
	v_lshlrev_b32_e32 v22, 20, v23
	v_and_b32_e32 v11, 0x80000000, v11
	v_or3_b32 v100, v22, v11, v21
.LBB342_1778:                           ;   in Loop: Header=BB342_1056 Depth=1
	s_or_b32 exec_lo, exec_lo, s20
.LBB342_1779:                           ;   in Loop: Header=BB342_1056 Depth=1
	s_or_b32 exec_lo, exec_lo, s19
.LBB342_1780:                           ;   in Loop: Header=BB342_1056 Depth=1
	s_or_b32 exec_lo, exec_lo, s18
	v_mul_f32_e32 v11, v64, v85
	v_mul_f32_e32 v10, v64, v10
	v_bfe_u32 v21, v11, 16, 1
	v_or_b32_e32 v22, 0x400000, v11
	v_cmp_u_f32_e64 s5, v11, v11
	v_add3_u32 v21, v21, v11, 0x7fff
	v_cndmask_b32_e64 v11, v21, v22, s5
	v_lshrrev_b32_e32 v85, 16, v11
	v_mul_f32_e32 v11, v64, v86
	v_bfe_u32 v21, v11, 16, 1
	v_or_b32_e32 v22, 0x400000, v11
	v_cmp_u_f32_e64 s5, v11, v11
	v_add3_u32 v21, v21, v11, 0x7fff
	v_cndmask_b32_e64 v11, v21, v22, s5
	v_lshrrev_b32_e32 v86, 16, v11
	;; [unrolled: 7-line block ×4, first 2 shown]
	v_mul_f32_e32 v11, v64, v68
	v_bfe_u32 v21, v11, 16, 1
	v_or_b32_e32 v22, 0x400000, v11
	v_cmp_u_f32_e64 s5, v11, v11
	v_add3_u32 v21, v21, v11, 0x7fff
	v_cndmask_b32_e64 v11, v21, v22, s5
	v_or_b32_e32 v21, 0x400000, v10
	v_cmp_u_f32_e64 s5, v10, v10
	v_lshrrev_b32_e32 v97, 16, v11
	v_bfe_u32 v11, v10, 16, 1
	v_add3_u32 v11, v11, v10, 0x7fff
	v_cndmask_b32_e64 v10, v11, v21, s5
	v_lshrrev_b32_e32 v99, 16, v10
	v_mul_f32_e32 v10, v64, v98
	v_bfe_u32 v11, v10, 16, 1
	v_or_b32_e32 v21, 0x400000, v10
	v_cmp_u_f32_e64 s5, v10, v10
	v_add3_u32 v11, v11, v10, 0x7fff
	v_cndmask_b32_e64 v10, v11, v21, s5
	v_lshrrev_b32_e32 v98, 16, v10
	v_mul_f32_e32 v10, v64, v100
	v_bfe_u32 v11, v10, 16, 1
	v_or_b32_e32 v21, 0x400000, v10
	v_cmp_u_f32_e64 s5, v10, v10
	v_add3_u32 v11, v11, v10, 0x7fff
	v_cndmask_b32_e64 v10, v11, v21, s5
	v_lshrrev_b32_e32 v100, 16, v10
	s_and_saveexec_b32 s18, vcc_lo
	s_cbranch_execz .LBB342_1782
; %bb.1781:                             ;   in Loop: Header=BB342_1056 Depth=1
	buffer_load_dword v10, off, s[0:3], s32 offset:196 ; 4-byte Folded Reload
	s_waitcnt vmcnt(0)
	v_cmp_lt_i32_e64 s5, v57, v10
	v_cndmask_b32_e64 v99, 0, v99, s5
	v_cmp_lt_i32_e64 s5, v63, v10
	v_cndmask_b32_e64 v97, 0, v97, s5
	;; [unrolled: 2-line block ×8, first 2 shown]
.LBB342_1782:                           ;   in Loop: Header=BB342_1056 Depth=1
	s_or_b32 exec_lo, exec_lo, s18
	flat_load_dwordx2 v[21:22], v[19:20] offset:768
	v_mov_b32_e32 v68, 0
	v_mov_b32_e32 v10, 0
	s_waitcnt vmcnt(0) lgkmcnt(0)
	v_cmp_ne_u16_sdwa s5, v21, v12 src0_sel:BYTE_0 src1_sel:DWORD
	s_and_saveexec_b32 s18, s5
	s_cbranch_execz .LBB342_1790
; %bb.1783:                             ;   in Loop: Header=BB342_1056 Depth=1
	v_cmp_ne_u16_sdwa s5, v21, v67 src0_sel:BYTE_0 src1_sel:DWORD
	v_bfrev_b32_e32 v10, 1
	s_and_saveexec_b32 s19, s5
	s_cbranch_execz .LBB342_1789
; %bb.1784:                             ;   in Loop: Header=BB342_1056 Depth=1
	v_and_b32_e32 v11, 0x7f, v21
	v_mov_b32_e32 v10, 0x7f800001
	s_mov_b32 s20, exec_lo
	v_cmpx_ne_u32_e32 0x7f, v11
	s_cbranch_execz .LBB342_1788
; %bb.1785:                             ;   in Loop: Header=BB342_1056 Depth=1
	v_lshrrev_b32_e32 v23, 3, v11
	v_cmp_gt_u32_e64 s5, 8, v11
	v_mov_b32_e32 v10, v21
	v_mov_b32_e32 v11, v22
	s_and_saveexec_b32 s21, s5
; %bb.1786:                             ;   in Loop: Header=BB342_1056 Depth=1
	v_and_b32_e32 v10, 7, v21
	v_ffbh_u32_e32 v10, v10
	v_min_u32_e32 v23, 32, v10
	v_subrev_nc_u32_e32 v10, 28, v23
	v_sub_nc_u32_e32 v23, 29, v23
	v_lshlrev_b64 v[10:11], v10, v[21:22]
; %bb.1787:                             ;   in Loop: Header=BB342_1056 Depth=1
	s_or_b32 exec_lo, exec_lo, s21
	v_lshlrev_b32_e32 v10, 20, v10
	v_lshlrev_b32_e32 v11, 24, v21
	v_lshl_add_u32 v23, v23, 23, 0x3c000000
	v_and_b32_e32 v10, 0x700000, v10
	v_and_b32_e32 v11, 0x80000000, v11
	v_or3_b32 v10, v10, v11, v23
.LBB342_1788:                           ;   in Loop: Header=BB342_1056 Depth=1
	s_or_b32 exec_lo, exec_lo, s20
.LBB342_1789:                           ;   in Loop: Header=BB342_1056 Depth=1
	s_or_b32 exec_lo, exec_lo, s19
.LBB342_1790:                           ;   in Loop: Header=BB342_1056 Depth=1
	s_or_b32 exec_lo, exec_lo, s18
	v_cmp_ne_u16_sdwa s5, v21, v12 src0_sel:BYTE_1 src1_sel:DWORD
	s_and_saveexec_b32 s18, s5
	s_cbranch_execz .LBB342_1798
; %bb.1791:                             ;   in Loop: Header=BB342_1056 Depth=1
	v_cmp_ne_u16_sdwa s5, v21, v67 src0_sel:BYTE_1 src1_sel:DWORD
	v_bfrev_b32_e32 v68, 1
	s_and_saveexec_b32 s19, s5
	s_cbranch_execz .LBB342_1797
; %bb.1792:                             ;   in Loop: Header=BB342_1056 Depth=1
	v_and_b32_sdwa v11, v94, v21 dst_sel:DWORD dst_unused:UNUSED_PAD src0_sel:DWORD src1_sel:BYTE_1
	v_mov_b32_e32 v68, 0x7f800001
	s_mov_b32 s20, exec_lo
	v_and_b32_e32 v23, 0x7f, v11
	v_cmpx_ne_u32_e32 0x7f, v23
	s_cbranch_execz .LBB342_1796
; %bb.1793:                             ;   in Loop: Header=BB342_1056 Depth=1
	v_and_b32_e32 v11, 7, v11
	v_lshrrev_b32_e32 v68, 3, v23
	v_cmp_gt_u32_e64 s5, 8, v23
	v_mov_b32_e32 v24, v12
	v_mov_b32_e32 v23, v11
	s_and_saveexec_b32 s21, s5
; %bb.1794:                             ;   in Loop: Header=BB342_1056 Depth=1
	v_ffbh_u32_e32 v23, v11
	v_min_u32_e32 v32, 32, v23
	v_subrev_nc_u32_e32 v23, 28, v32
	v_sub_nc_u32_e32 v68, 29, v32
	v_lshlrev_b64 v[23:24], v23, v[11:12]
	v_and_b32_e32 v23, 7, v23
; %bb.1795:                             ;   in Loop: Header=BB342_1056 Depth=1
	s_or_b32 exec_lo, exec_lo, s21
	v_lshlrev_b32_e32 v11, 16, v21
	v_lshlrev_b32_e32 v23, 20, v23
	v_lshl_add_u32 v24, v68, 23, 0x3c000000
	v_and_b32_e32 v11, 0x80000000, v11
	v_or3_b32 v68, v23, v11, v24
.LBB342_1796:                           ;   in Loop: Header=BB342_1056 Depth=1
	s_or_b32 exec_lo, exec_lo, s20
.LBB342_1797:                           ;   in Loop: Header=BB342_1056 Depth=1
	s_or_b32 exec_lo, exec_lo, s19
.LBB342_1798:                           ;   in Loop: Header=BB342_1056 Depth=1
	s_or_b32 exec_lo, exec_lo, s18
	v_and_b32_sdwa v11, v21, v69 dst_sel:DWORD dst_unused:UNUSED_PAD src0_sel:WORD_1 src1_sel:DWORD
	v_mov_b32_e32 v71, 0
	v_mov_b32_e32 v70, 0
	s_mov_b32 s18, exec_lo
	v_cmpx_ne_u16_e32 0, v11
	s_cbranch_execz .LBB342_1806
; %bb.1799:                             ;   in Loop: Header=BB342_1056 Depth=1
	v_bfrev_b32_e32 v70, 1
	s_mov_b32 s19, exec_lo
	v_cmpx_ne_u16_e32 0x80, v11
	s_cbranch_execz .LBB342_1805
; %bb.1800:                             ;   in Loop: Header=BB342_1056 Depth=1
	v_bfe_u32 v23, v21, 16, 7
	v_mov_b32_e32 v70, 0x7f800001
	s_mov_b32 s20, exec_lo
	v_cmpx_ne_u32_e32 0x7f, v23
	s_cbranch_execz .LBB342_1804
; %bb.1801:                             ;   in Loop: Header=BB342_1056 Depth=1
	v_mov_b32_e32 v11, 7
	v_lshrrev_b32_e32 v70, 3, v23
	v_cmp_gt_u32_e64 s5, 8, v23
	v_and_b32_sdwa v11, v21, v11 dst_sel:DWORD dst_unused:UNUSED_PAD src0_sel:WORD_1 src1_sel:DWORD
	v_mov_b32_e32 v24, v12
	v_mov_b32_e32 v23, v11
	s_and_saveexec_b32 s21, s5
; %bb.1802:                             ;   in Loop: Header=BB342_1056 Depth=1
	v_ffbh_u32_e32 v23, v11
	v_min_u32_e32 v32, 32, v23
	v_subrev_nc_u32_e32 v23, 28, v32
	v_sub_nc_u32_e32 v70, 29, v32
	v_lshlrev_b64 v[23:24], v23, v[11:12]
	v_and_b32_e32 v23, 7, v23
; %bb.1803:                             ;   in Loop: Header=BB342_1056 Depth=1
	s_or_b32 exec_lo, exec_lo, s21
	v_mov_b32_e32 v11, 24
	v_lshlrev_b32_e32 v23, 20, v23
	v_lshl_add_u32 v24, v70, 23, 0x3c000000
	v_lshlrev_b32_sdwa v11, v11, v21 dst_sel:DWORD dst_unused:UNUSED_PAD src0_sel:DWORD src1_sel:WORD_1
	v_and_b32_e32 v11, 0x80000000, v11
	v_or3_b32 v70, v23, v11, v24
.LBB342_1804:                           ;   in Loop: Header=BB342_1056 Depth=1
	s_or_b32 exec_lo, exec_lo, s20
.LBB342_1805:                           ;   in Loop: Header=BB342_1056 Depth=1
	s_or_b32 exec_lo, exec_lo, s19
.LBB342_1806:                           ;   in Loop: Header=BB342_1056 Depth=1
	s_or_b32 exec_lo, exec_lo, s18
	s_mov_b32 s18, exec_lo
	v_cmpx_lt_u32_e32 0xffffff, v21
	s_cbranch_execz .LBB342_1814
; %bb.1807:                             ;   in Loop: Header=BB342_1056 Depth=1
	v_cmp_ne_u32_sdwa s5, v21, v67 src0_sel:BYTE_3 src1_sel:DWORD
	v_bfrev_b32_e32 v71, 1
	s_and_saveexec_b32 s19, s5
	s_cbranch_execz .LBB342_1813
; %bb.1808:                             ;   in Loop: Header=BB342_1056 Depth=1
	v_bfe_u32 v23, v21, 24, 7
	v_mov_b32_e32 v71, 0x7f800001
	s_mov_b32 s20, exec_lo
	v_cmpx_ne_u32_e32 0x7f, v23
	s_cbranch_execz .LBB342_1812
; %bb.1809:                             ;   in Loop: Header=BB342_1056 Depth=1
	v_mov_b32_e32 v11, 7
	v_lshrrev_b32_e32 v71, 3, v23
	v_cmp_gt_u32_e64 s5, 8, v23
	v_and_b32_sdwa v11, v21, v11 dst_sel:DWORD dst_unused:UNUSED_PAD src0_sel:BYTE_3 src1_sel:DWORD
	v_mov_b32_e32 v24, v12
	v_mov_b32_e32 v23, v11
	s_and_saveexec_b32 s21, s5
; %bb.1810:                             ;   in Loop: Header=BB342_1056 Depth=1
	v_ffbh_u32_e32 v23, v11
	v_min_u32_e32 v32, 32, v23
	v_subrev_nc_u32_e32 v23, 28, v32
	v_sub_nc_u32_e32 v71, 29, v32
	v_lshlrev_b64 v[23:24], v23, v[11:12]
	v_and_b32_e32 v23, 7, v23
; %bb.1811:                             ;   in Loop: Header=BB342_1056 Depth=1
	s_or_b32 exec_lo, exec_lo, s21
	v_mov_b32_e32 v11, 24
	v_lshlrev_b32_e32 v23, 20, v23
	v_lshl_add_u32 v24, v71, 23, 0x3c000000
	v_lshlrev_b32_sdwa v11, v11, v21 dst_sel:DWORD dst_unused:UNUSED_PAD src0_sel:DWORD src1_sel:BYTE_3
	v_and_b32_e32 v11, 0x80000000, v11
	v_or3_b32 v71, v23, v11, v24
.LBB342_1812:                           ;   in Loop: Header=BB342_1056 Depth=1
	s_or_b32 exec_lo, exec_lo, s20
.LBB342_1813:                           ;   in Loop: Header=BB342_1056 Depth=1
	s_or_b32 exec_lo, exec_lo, s19
.LBB342_1814:                           ;   in Loop: Header=BB342_1056 Depth=1
	s_or_b32 exec_lo, exec_lo, s18
	v_mov_b32_e32 v11, v22
	v_cmp_ne_u16_sdwa s5, v22, v12 src0_sel:BYTE_0 src1_sel:DWORD
	v_mov_b32_e32 v101, 0
	v_mov_b32_e32 v102, 0
	s_and_saveexec_b32 s18, s5
	s_cbranch_execz .LBB342_1822
; %bb.1815:                             ;   in Loop: Header=BB342_1056 Depth=1
	v_cmp_ne_u16_sdwa s5, v22, v67 src0_sel:BYTE_0 src1_sel:DWORD
	v_bfrev_b32_e32 v102, 1
	s_and_saveexec_b32 s19, s5
	s_cbranch_execz .LBB342_1821
; %bb.1816:                             ;   in Loop: Header=BB342_1056 Depth=1
	v_and_b32_e32 v23, 0x7f, v22
	v_mov_b32_e32 v102, 0x7f800001
	s_mov_b32 s20, exec_lo
	v_cmpx_ne_u32_e32 0x7f, v23
	s_cbranch_execz .LBB342_1820
; %bb.1817:                             ;   in Loop: Header=BB342_1056 Depth=1
	v_lshrrev_b32_e32 v102, 3, v23
	v_cmp_gt_u32_e64 s5, 8, v23
	v_mov_b32_e32 v24, v12
	v_mov_b32_e32 v23, v11
	s_and_saveexec_b32 s21, s5
; %bb.1818:                             ;   in Loop: Header=BB342_1056 Depth=1
	v_and_b32_e32 v23, 7, v22
	v_ffbh_u32_e32 v23, v23
	v_min_u32_e32 v32, 32, v23
	v_subrev_nc_u32_e32 v23, 28, v32
	v_sub_nc_u32_e32 v102, 29, v32
	v_lshlrev_b64 v[23:24], v23, v[11:12]
; %bb.1819:                             ;   in Loop: Header=BB342_1056 Depth=1
	s_or_b32 exec_lo, exec_lo, s21
	v_lshlrev_b32_e32 v23, 20, v23
	v_lshlrev_b32_e32 v24, 24, v11
	v_lshl_add_u32 v32, v102, 23, 0x3c000000
	v_and_b32_e32 v23, 0x700000, v23
	v_and_b32_e32 v24, 0x80000000, v24
	v_or3_b32 v102, v23, v24, v32
.LBB342_1820:                           ;   in Loop: Header=BB342_1056 Depth=1
	s_or_b32 exec_lo, exec_lo, s20
.LBB342_1821:                           ;   in Loop: Header=BB342_1056 Depth=1
	s_or_b32 exec_lo, exec_lo, s19
.LBB342_1822:                           ;   in Loop: Header=BB342_1056 Depth=1
	s_or_b32 exec_lo, exec_lo, s18
	v_cmp_ne_u16_sdwa s5, v11, v12 src0_sel:BYTE_1 src1_sel:DWORD
	s_and_saveexec_b32 s18, s5
	s_cbranch_execz .LBB342_1830
; %bb.1823:                             ;   in Loop: Header=BB342_1056 Depth=1
	v_cmp_ne_u16_sdwa s5, v11, v67 src0_sel:BYTE_1 src1_sel:DWORD
	v_bfrev_b32_e32 v101, 1
	s_and_saveexec_b32 s19, s5
	s_cbranch_execz .LBB342_1829
; %bb.1824:                             ;   in Loop: Header=BB342_1056 Depth=1
	v_and_b32_sdwa v23, v94, v11 dst_sel:DWORD dst_unused:UNUSED_PAD src0_sel:DWORD src1_sel:BYTE_1
	v_mov_b32_e32 v101, 0x7f800001
	s_mov_b32 s20, exec_lo
	v_and_b32_e32 v103, 0x7f, v23
	v_cmpx_ne_u32_e32 0x7f, v103
	s_cbranch_execz .LBB342_1828
; %bb.1825:                             ;   in Loop: Header=BB342_1056 Depth=1
	v_and_b32_e32 v23, 7, v23
	v_mov_b32_e32 v24, v12
	v_lshrrev_b32_e32 v101, 3, v103
	s_mov_b32 s21, exec_lo
	v_cmpx_gt_u32_e32 8, v103
; %bb.1826:                             ;   in Loop: Header=BB342_1056 Depth=1
	v_ffbh_u32_e32 v32, v23
	v_min_u32_e32 v32, 32, v32
	v_subrev_nc_u32_e32 v101, 28, v32
	v_lshlrev_b64 v[23:24], v101, v[23:24]
	v_sub_nc_u32_e32 v101, 29, v32
	v_and_b32_e32 v23, 7, v23
; %bb.1827:                             ;   in Loop: Header=BB342_1056 Depth=1
	s_or_b32 exec_lo, exec_lo, s21
	v_lshlrev_b32_e32 v11, 16, v11
	v_lshlrev_b32_e32 v23, 20, v23
	v_lshl_add_u32 v24, v101, 23, 0x3c000000
	v_and_b32_e32 v11, 0x80000000, v11
	v_or3_b32 v101, v23, v11, v24
.LBB342_1828:                           ;   in Loop: Header=BB342_1056 Depth=1
	s_or_b32 exec_lo, exec_lo, s20
.LBB342_1829:                           ;   in Loop: Header=BB342_1056 Depth=1
	s_or_b32 exec_lo, exec_lo, s19
.LBB342_1830:                           ;   in Loop: Header=BB342_1056 Depth=1
	s_or_b32 exec_lo, exec_lo, s18
	v_and_b32_sdwa v11, v22, v69 dst_sel:DWORD dst_unused:UNUSED_PAD src0_sel:WORD_1 src1_sel:DWORD
	v_mov_b32_e32 v116, 0
	v_mov_b32_e32 v114, 0
	s_mov_b32 s18, exec_lo
	v_cmpx_ne_u16_e32 0, v11
	s_cbranch_execz .LBB342_1838
; %bb.1831:                             ;   in Loop: Header=BB342_1056 Depth=1
	v_bfrev_b32_e32 v114, 1
	s_mov_b32 s19, exec_lo
	v_cmpx_ne_u16_e32 0x80, v11
	s_cbranch_execz .LBB342_1837
; %bb.1832:                             ;   in Loop: Header=BB342_1056 Depth=1
	v_bfe_u32 v23, v22, 16, 7
	v_mov_b32_e32 v114, 0x7f800001
	s_mov_b32 s20, exec_lo
	v_cmpx_ne_u32_e32 0x7f, v23
	s_cbranch_execz .LBB342_1836
; %bb.1833:                             ;   in Loop: Header=BB342_1056 Depth=1
	v_mov_b32_e32 v11, 7
	v_lshrrev_b32_e32 v103, 3, v23
	v_cmp_gt_u32_e64 s5, 8, v23
	v_and_b32_sdwa v11, v22, v11 dst_sel:DWORD dst_unused:UNUSED_PAD src0_sel:WORD_1 src1_sel:DWORD
	v_mov_b32_e32 v24, v12
	v_mov_b32_e32 v23, v11
	s_and_saveexec_b32 s21, s5
; %bb.1834:                             ;   in Loop: Header=BB342_1056 Depth=1
	v_ffbh_u32_e32 v23, v11
	v_min_u32_e32 v32, 32, v23
	v_subrev_nc_u32_e32 v23, 28, v32
	v_sub_nc_u32_e32 v103, 29, v32
	v_lshlrev_b64 v[23:24], v23, v[11:12]
	v_and_b32_e32 v23, 7, v23
; %bb.1835:                             ;   in Loop: Header=BB342_1056 Depth=1
	s_or_b32 exec_lo, exec_lo, s21
	v_mov_b32_e32 v11, 24
	v_lshlrev_b32_e32 v23, 20, v23
	v_lshl_add_u32 v24, v103, 23, 0x3c000000
	v_lshlrev_b32_sdwa v11, v11, v22 dst_sel:DWORD dst_unused:UNUSED_PAD src0_sel:DWORD src1_sel:WORD_1
	v_and_b32_e32 v11, 0x80000000, v11
	v_or3_b32 v114, v23, v11, v24
.LBB342_1836:                           ;   in Loop: Header=BB342_1056 Depth=1
	s_or_b32 exec_lo, exec_lo, s20
.LBB342_1837:                           ;   in Loop: Header=BB342_1056 Depth=1
	s_or_b32 exec_lo, exec_lo, s19
.LBB342_1838:                           ;   in Loop: Header=BB342_1056 Depth=1
	s_or_b32 exec_lo, exec_lo, s18
	s_mov_b32 s18, exec_lo
	v_cmpx_lt_u64_e64 s[6:7], v[21:22]
	s_cbranch_execz .LBB342_1846
; %bb.1839:                             ;   in Loop: Header=BB342_1056 Depth=1
	v_cmp_ne_u32_sdwa s5, v22, v67 src0_sel:BYTE_3 src1_sel:DWORD
	v_bfrev_b32_e32 v116, 1
	s_and_saveexec_b32 s19, s5
	s_cbranch_execz .LBB342_1845
; %bb.1840:                             ;   in Loop: Header=BB342_1056 Depth=1
	v_bfe_u32 v23, v22, 24, 7
	v_mov_b32_e32 v116, 0x7f800001
	s_mov_b32 s20, exec_lo
	v_cmpx_ne_u32_e32 0x7f, v23
	s_cbranch_execz .LBB342_1844
; %bb.1841:                             ;   in Loop: Header=BB342_1056 Depth=1
	v_mov_b32_e32 v11, 7
	v_lshrrev_b32_e32 v21, 3, v23
	v_cmp_gt_u32_e64 s5, 8, v23
	v_and_b32_sdwa v11, v22, v11 dst_sel:DWORD dst_unused:UNUSED_PAD src0_sel:BYTE_3 src1_sel:DWORD
	v_mov_b32_e32 v24, v12
	v_mov_b32_e32 v23, v11
	s_and_saveexec_b32 s21, s5
; %bb.1842:                             ;   in Loop: Header=BB342_1056 Depth=1
	v_ffbh_u32_e32 v21, v11
	v_min_u32_e32 v21, 32, v21
	v_subrev_nc_u32_e32 v23, 28, v21
	v_sub_nc_u32_e32 v21, 29, v21
	v_lshlrev_b64 v[23:24], v23, v[11:12]
	v_and_b32_e32 v23, 7, v23
; %bb.1843:                             ;   in Loop: Header=BB342_1056 Depth=1
	s_or_b32 exec_lo, exec_lo, s21
	v_mov_b32_e32 v11, 24
	v_lshl_add_u32 v21, v21, 23, 0x3c000000
	v_lshlrev_b32_sdwa v11, v11, v22 dst_sel:DWORD dst_unused:UNUSED_PAD src0_sel:DWORD src1_sel:BYTE_3
	v_lshlrev_b32_e32 v22, 20, v23
	v_and_b32_e32 v11, 0x80000000, v11
	v_or3_b32 v116, v22, v11, v21
.LBB342_1844:                           ;   in Loop: Header=BB342_1056 Depth=1
	s_or_b32 exec_lo, exec_lo, s20
.LBB342_1845:                           ;   in Loop: Header=BB342_1056 Depth=1
	s_or_b32 exec_lo, exec_lo, s19
.LBB342_1846:                           ;   in Loop: Header=BB342_1056 Depth=1
	s_or_b32 exec_lo, exec_lo, s18
	v_mul_f32_e32 v11, v64, v101
	v_mul_f32_e32 v10, v64, v10
	v_bfe_u32 v21, v11, 16, 1
	v_or_b32_e32 v22, 0x400000, v11
	v_cmp_u_f32_e64 s5, v11, v11
	v_add3_u32 v21, v21, v11, 0x7fff
	v_cndmask_b32_e64 v11, v21, v22, s5
	v_lshrrev_b32_e32 v101, 16, v11
	v_mul_f32_e32 v11, v64, v102
	v_bfe_u32 v21, v11, 16, 1
	v_or_b32_e32 v22, 0x400000, v11
	v_cmp_u_f32_e64 s5, v11, v11
	v_add3_u32 v21, v21, v11, 0x7fff
	v_cndmask_b32_e64 v11, v21, v22, s5
	v_lshrrev_b32_e32 v102, 16, v11
	;; [unrolled: 7-line block ×4, first 2 shown]
	v_mul_f32_e32 v11, v64, v68
	v_bfe_u32 v21, v11, 16, 1
	v_or_b32_e32 v22, 0x400000, v11
	v_cmp_u_f32_e64 s5, v11, v11
	v_add3_u32 v21, v21, v11, 0x7fff
	v_cndmask_b32_e64 v11, v21, v22, s5
	v_or_b32_e32 v21, 0x400000, v10
	v_cmp_u_f32_e64 s5, v10, v10
	v_lshrrev_b32_e32 v113, 16, v11
	v_bfe_u32 v11, v10, 16, 1
	v_add3_u32 v11, v11, v10, 0x7fff
	v_cndmask_b32_e64 v10, v11, v21, s5
	v_lshrrev_b32_e32 v115, 16, v10
	v_mul_f32_e32 v10, v64, v114
	v_bfe_u32 v11, v10, 16, 1
	v_or_b32_e32 v21, 0x400000, v10
	v_cmp_u_f32_e64 s5, v10, v10
	v_add3_u32 v11, v11, v10, 0x7fff
	v_cndmask_b32_e64 v10, v11, v21, s5
	v_lshrrev_b32_e32 v114, 16, v10
	v_mul_f32_e32 v10, v64, v116
	v_bfe_u32 v11, v10, 16, 1
	v_or_b32_e32 v21, 0x400000, v10
	v_cmp_u_f32_e64 s5, v10, v10
	v_add3_u32 v11, v11, v10, 0x7fff
	v_cndmask_b32_e64 v10, v11, v21, s5
	v_lshrrev_b32_e32 v116, 16, v10
	s_and_saveexec_b32 s18, vcc_lo
	s_cbranch_execz .LBB342_1848
; %bb.1847:                             ;   in Loop: Header=BB342_1056 Depth=1
	buffer_load_dword v10, off, s[0:3], s32 offset:196 ; 4-byte Folded Reload
	s_waitcnt vmcnt(0)
	v_cmp_lt_i32_e64 s5, v57, v10
	v_cndmask_b32_e64 v115, 0, v115, s5
	v_cmp_lt_i32_e64 s5, v63, v10
	v_cndmask_b32_e64 v113, 0, v113, s5
	;; [unrolled: 2-line block ×8, first 2 shown]
.LBB342_1848:                           ;   in Loop: Header=BB342_1056 Depth=1
	s_or_b32 exec_lo, exec_lo, s18
	flat_load_dwordx2 v[21:22], v[19:20] offset:1024
	v_mov_b32_e32 v68, 0
	v_mov_b32_e32 v10, 0
	s_waitcnt vmcnt(0) lgkmcnt(0)
	v_cmp_ne_u16_sdwa s5, v21, v12 src0_sel:BYTE_0 src1_sel:DWORD
	s_and_saveexec_b32 s18, s5
	s_cbranch_execz .LBB342_1856
; %bb.1849:                             ;   in Loop: Header=BB342_1056 Depth=1
	v_cmp_ne_u16_sdwa s5, v21, v67 src0_sel:BYTE_0 src1_sel:DWORD
	v_bfrev_b32_e32 v10, 1
	s_and_saveexec_b32 s19, s5
	s_cbranch_execz .LBB342_1855
; %bb.1850:                             ;   in Loop: Header=BB342_1056 Depth=1
	v_and_b32_e32 v11, 0x7f, v21
	v_mov_b32_e32 v10, 0x7f800001
	s_mov_b32 s20, exec_lo
	v_cmpx_ne_u32_e32 0x7f, v11
	s_cbranch_execz .LBB342_1854
; %bb.1851:                             ;   in Loop: Header=BB342_1056 Depth=1
	v_lshrrev_b32_e32 v23, 3, v11
	v_cmp_gt_u32_e64 s5, 8, v11
	v_mov_b32_e32 v10, v21
	v_mov_b32_e32 v11, v22
	s_and_saveexec_b32 s21, s5
; %bb.1852:                             ;   in Loop: Header=BB342_1056 Depth=1
	v_and_b32_e32 v10, 7, v21
	v_ffbh_u32_e32 v10, v10
	v_min_u32_e32 v23, 32, v10
	v_subrev_nc_u32_e32 v10, 28, v23
	v_sub_nc_u32_e32 v23, 29, v23
	v_lshlrev_b64 v[10:11], v10, v[21:22]
; %bb.1853:                             ;   in Loop: Header=BB342_1056 Depth=1
	s_or_b32 exec_lo, exec_lo, s21
	v_lshlrev_b32_e32 v10, 20, v10
	v_lshlrev_b32_e32 v11, 24, v21
	v_lshl_add_u32 v23, v23, 23, 0x3c000000
	v_and_b32_e32 v10, 0x700000, v10
	v_and_b32_e32 v11, 0x80000000, v11
	v_or3_b32 v10, v10, v11, v23
.LBB342_1854:                           ;   in Loop: Header=BB342_1056 Depth=1
	s_or_b32 exec_lo, exec_lo, s20
.LBB342_1855:                           ;   in Loop: Header=BB342_1056 Depth=1
	s_or_b32 exec_lo, exec_lo, s19
.LBB342_1856:                           ;   in Loop: Header=BB342_1056 Depth=1
	s_or_b32 exec_lo, exec_lo, s18
	v_cmp_ne_u16_sdwa s5, v21, v12 src0_sel:BYTE_1 src1_sel:DWORD
	s_and_saveexec_b32 s18, s5
	s_cbranch_execz .LBB342_1864
; %bb.1857:                             ;   in Loop: Header=BB342_1056 Depth=1
	v_cmp_ne_u16_sdwa s5, v21, v67 src0_sel:BYTE_1 src1_sel:DWORD
	v_bfrev_b32_e32 v68, 1
	s_and_saveexec_b32 s19, s5
	s_cbranch_execz .LBB342_1863
; %bb.1858:                             ;   in Loop: Header=BB342_1056 Depth=1
	v_and_b32_sdwa v11, v94, v21 dst_sel:DWORD dst_unused:UNUSED_PAD src0_sel:DWORD src1_sel:BYTE_1
	v_mov_b32_e32 v68, 0x7f800001
	s_mov_b32 s20, exec_lo
	v_and_b32_e32 v23, 0x7f, v11
	v_cmpx_ne_u32_e32 0x7f, v23
	s_cbranch_execz .LBB342_1862
; %bb.1859:                             ;   in Loop: Header=BB342_1056 Depth=1
	v_and_b32_e32 v11, 7, v11
	v_lshrrev_b32_e32 v68, 3, v23
	v_cmp_gt_u32_e64 s5, 8, v23
	v_mov_b32_e32 v24, v12
	v_mov_b32_e32 v23, v11
	s_and_saveexec_b32 s21, s5
; %bb.1860:                             ;   in Loop: Header=BB342_1056 Depth=1
	v_ffbh_u32_e32 v23, v11
	v_min_u32_e32 v32, 32, v23
	v_subrev_nc_u32_e32 v23, 28, v32
	v_sub_nc_u32_e32 v68, 29, v32
	v_lshlrev_b64 v[23:24], v23, v[11:12]
	v_and_b32_e32 v23, 7, v23
; %bb.1861:                             ;   in Loop: Header=BB342_1056 Depth=1
	s_or_b32 exec_lo, exec_lo, s21
	v_lshlrev_b32_e32 v11, 16, v21
	v_lshlrev_b32_e32 v23, 20, v23
	v_lshl_add_u32 v24, v68, 23, 0x3c000000
	v_and_b32_e32 v11, 0x80000000, v11
	v_or3_b32 v68, v23, v11, v24
.LBB342_1862:                           ;   in Loop: Header=BB342_1056 Depth=1
	s_or_b32 exec_lo, exec_lo, s20
.LBB342_1863:                           ;   in Loop: Header=BB342_1056 Depth=1
	s_or_b32 exec_lo, exec_lo, s19
.LBB342_1864:                           ;   in Loop: Header=BB342_1056 Depth=1
	s_or_b32 exec_lo, exec_lo, s18
	v_and_b32_sdwa v11, v21, v69 dst_sel:DWORD dst_unused:UNUSED_PAD src0_sel:WORD_1 src1_sel:DWORD
	v_mov_b32_e32 v71, 0
	v_mov_b32_e32 v70, 0
	s_mov_b32 s18, exec_lo
	v_cmpx_ne_u16_e32 0, v11
	s_cbranch_execz .LBB342_1872
; %bb.1865:                             ;   in Loop: Header=BB342_1056 Depth=1
	v_bfrev_b32_e32 v70, 1
	s_mov_b32 s19, exec_lo
	v_cmpx_ne_u16_e32 0x80, v11
	s_cbranch_execz .LBB342_1871
; %bb.1866:                             ;   in Loop: Header=BB342_1056 Depth=1
	v_bfe_u32 v23, v21, 16, 7
	v_mov_b32_e32 v70, 0x7f800001
	s_mov_b32 s20, exec_lo
	v_cmpx_ne_u32_e32 0x7f, v23
	s_cbranch_execz .LBB342_1870
; %bb.1867:                             ;   in Loop: Header=BB342_1056 Depth=1
	v_mov_b32_e32 v11, 7
	v_lshrrev_b32_e32 v70, 3, v23
	v_cmp_gt_u32_e64 s5, 8, v23
	v_and_b32_sdwa v11, v21, v11 dst_sel:DWORD dst_unused:UNUSED_PAD src0_sel:WORD_1 src1_sel:DWORD
	v_mov_b32_e32 v24, v12
	v_mov_b32_e32 v23, v11
	s_and_saveexec_b32 s21, s5
; %bb.1868:                             ;   in Loop: Header=BB342_1056 Depth=1
	v_ffbh_u32_e32 v23, v11
	v_min_u32_e32 v32, 32, v23
	v_subrev_nc_u32_e32 v23, 28, v32
	v_sub_nc_u32_e32 v70, 29, v32
	v_lshlrev_b64 v[23:24], v23, v[11:12]
	v_and_b32_e32 v23, 7, v23
; %bb.1869:                             ;   in Loop: Header=BB342_1056 Depth=1
	s_or_b32 exec_lo, exec_lo, s21
	v_mov_b32_e32 v11, 24
	v_lshlrev_b32_e32 v23, 20, v23
	v_lshl_add_u32 v24, v70, 23, 0x3c000000
	v_lshlrev_b32_sdwa v11, v11, v21 dst_sel:DWORD dst_unused:UNUSED_PAD src0_sel:DWORD src1_sel:WORD_1
	v_and_b32_e32 v11, 0x80000000, v11
	v_or3_b32 v70, v23, v11, v24
.LBB342_1870:                           ;   in Loop: Header=BB342_1056 Depth=1
	s_or_b32 exec_lo, exec_lo, s20
.LBB342_1871:                           ;   in Loop: Header=BB342_1056 Depth=1
	s_or_b32 exec_lo, exec_lo, s19
.LBB342_1872:                           ;   in Loop: Header=BB342_1056 Depth=1
	s_or_b32 exec_lo, exec_lo, s18
	s_mov_b32 s18, exec_lo
	v_cmpx_lt_u32_e32 0xffffff, v21
	s_cbranch_execz .LBB342_1880
; %bb.1873:                             ;   in Loop: Header=BB342_1056 Depth=1
	v_cmp_ne_u32_sdwa s5, v21, v67 src0_sel:BYTE_3 src1_sel:DWORD
	v_bfrev_b32_e32 v71, 1
	s_and_saveexec_b32 s19, s5
	s_cbranch_execz .LBB342_1879
; %bb.1874:                             ;   in Loop: Header=BB342_1056 Depth=1
	v_bfe_u32 v23, v21, 24, 7
	v_mov_b32_e32 v71, 0x7f800001
	s_mov_b32 s20, exec_lo
	v_cmpx_ne_u32_e32 0x7f, v23
	s_cbranch_execz .LBB342_1878
; %bb.1875:                             ;   in Loop: Header=BB342_1056 Depth=1
	v_mov_b32_e32 v11, 7
	v_lshrrev_b32_e32 v71, 3, v23
	v_cmp_gt_u32_e64 s5, 8, v23
	v_and_b32_sdwa v11, v21, v11 dst_sel:DWORD dst_unused:UNUSED_PAD src0_sel:BYTE_3 src1_sel:DWORD
	v_mov_b32_e32 v24, v12
	v_mov_b32_e32 v23, v11
	s_and_saveexec_b32 s21, s5
; %bb.1876:                             ;   in Loop: Header=BB342_1056 Depth=1
	v_ffbh_u32_e32 v23, v11
	v_min_u32_e32 v32, 32, v23
	v_subrev_nc_u32_e32 v23, 28, v32
	v_sub_nc_u32_e32 v71, 29, v32
	v_lshlrev_b64 v[23:24], v23, v[11:12]
	v_and_b32_e32 v23, 7, v23
; %bb.1877:                             ;   in Loop: Header=BB342_1056 Depth=1
	s_or_b32 exec_lo, exec_lo, s21
	v_mov_b32_e32 v11, 24
	v_lshlrev_b32_e32 v23, 20, v23
	v_lshl_add_u32 v24, v71, 23, 0x3c000000
	v_lshlrev_b32_sdwa v11, v11, v21 dst_sel:DWORD dst_unused:UNUSED_PAD src0_sel:DWORD src1_sel:BYTE_3
	v_and_b32_e32 v11, 0x80000000, v11
	v_or3_b32 v71, v23, v11, v24
.LBB342_1878:                           ;   in Loop: Header=BB342_1056 Depth=1
	s_or_b32 exec_lo, exec_lo, s20
.LBB342_1879:                           ;   in Loop: Header=BB342_1056 Depth=1
	s_or_b32 exec_lo, exec_lo, s19
.LBB342_1880:                           ;   in Loop: Header=BB342_1056 Depth=1
	s_or_b32 exec_lo, exec_lo, s18
	v_mov_b32_e32 v11, v22
	v_cmp_ne_u16_sdwa s5, v22, v12 src0_sel:BYTE_0 src1_sel:DWORD
	v_mov_b32_e32 v117, 0
	v_mov_b32_e32 v118, 0
	s_and_saveexec_b32 s18, s5
	s_cbranch_execz .LBB342_1888
; %bb.1881:                             ;   in Loop: Header=BB342_1056 Depth=1
	v_cmp_ne_u16_sdwa s5, v22, v67 src0_sel:BYTE_0 src1_sel:DWORD
	v_bfrev_b32_e32 v118, 1
	s_and_saveexec_b32 s19, s5
	s_cbranch_execz .LBB342_1887
; %bb.1882:                             ;   in Loop: Header=BB342_1056 Depth=1
	v_and_b32_e32 v23, 0x7f, v22
	v_mov_b32_e32 v118, 0x7f800001
	s_mov_b32 s20, exec_lo
	v_cmpx_ne_u32_e32 0x7f, v23
	s_cbranch_execz .LBB342_1886
; %bb.1883:                             ;   in Loop: Header=BB342_1056 Depth=1
	v_lshrrev_b32_e32 v118, 3, v23
	v_cmp_gt_u32_e64 s5, 8, v23
	v_mov_b32_e32 v24, v12
	v_mov_b32_e32 v23, v11
	s_and_saveexec_b32 s21, s5
; %bb.1884:                             ;   in Loop: Header=BB342_1056 Depth=1
	v_and_b32_e32 v23, 7, v22
	v_ffbh_u32_e32 v23, v23
	v_min_u32_e32 v32, 32, v23
	v_subrev_nc_u32_e32 v23, 28, v32
	v_sub_nc_u32_e32 v118, 29, v32
	v_lshlrev_b64 v[23:24], v23, v[11:12]
; %bb.1885:                             ;   in Loop: Header=BB342_1056 Depth=1
	s_or_b32 exec_lo, exec_lo, s21
	v_lshlrev_b32_e32 v23, 20, v23
	v_lshlrev_b32_e32 v24, 24, v11
	v_lshl_add_u32 v32, v118, 23, 0x3c000000
	v_and_b32_e32 v23, 0x700000, v23
	v_and_b32_e32 v24, 0x80000000, v24
	v_or3_b32 v118, v23, v24, v32
.LBB342_1886:                           ;   in Loop: Header=BB342_1056 Depth=1
	s_or_b32 exec_lo, exec_lo, s20
.LBB342_1887:                           ;   in Loop: Header=BB342_1056 Depth=1
	s_or_b32 exec_lo, exec_lo, s19
.LBB342_1888:                           ;   in Loop: Header=BB342_1056 Depth=1
	s_or_b32 exec_lo, exec_lo, s18
	v_cmp_ne_u16_sdwa s5, v11, v12 src0_sel:BYTE_1 src1_sel:DWORD
	s_and_saveexec_b32 s18, s5
	s_cbranch_execz .LBB342_1896
; %bb.1889:                             ;   in Loop: Header=BB342_1056 Depth=1
	v_cmp_ne_u16_sdwa s5, v11, v67 src0_sel:BYTE_1 src1_sel:DWORD
	v_bfrev_b32_e32 v117, 1
	s_and_saveexec_b32 s19, s5
	s_cbranch_execz .LBB342_1895
; %bb.1890:                             ;   in Loop: Header=BB342_1056 Depth=1
	v_and_b32_sdwa v23, v94, v11 dst_sel:DWORD dst_unused:UNUSED_PAD src0_sel:DWORD src1_sel:BYTE_1
	v_mov_b32_e32 v117, 0x7f800001
	s_mov_b32 s20, exec_lo
	v_and_b32_e32 v119, 0x7f, v23
	v_cmpx_ne_u32_e32 0x7f, v119
	s_cbranch_execz .LBB342_1894
; %bb.1891:                             ;   in Loop: Header=BB342_1056 Depth=1
	v_and_b32_e32 v23, 7, v23
	v_mov_b32_e32 v24, v12
	v_lshrrev_b32_e32 v117, 3, v119
	s_mov_b32 s21, exec_lo
	v_cmpx_gt_u32_e32 8, v119
; %bb.1892:                             ;   in Loop: Header=BB342_1056 Depth=1
	v_ffbh_u32_e32 v32, v23
	v_min_u32_e32 v32, 32, v32
	v_subrev_nc_u32_e32 v117, 28, v32
	v_lshlrev_b64 v[23:24], v117, v[23:24]
	v_sub_nc_u32_e32 v117, 29, v32
	v_and_b32_e32 v23, 7, v23
; %bb.1893:                             ;   in Loop: Header=BB342_1056 Depth=1
	s_or_b32 exec_lo, exec_lo, s21
	v_lshlrev_b32_e32 v11, 16, v11
	v_lshlrev_b32_e32 v23, 20, v23
	v_lshl_add_u32 v24, v117, 23, 0x3c000000
	v_and_b32_e32 v11, 0x80000000, v11
	v_or3_b32 v117, v23, v11, v24
.LBB342_1894:                           ;   in Loop: Header=BB342_1056 Depth=1
	s_or_b32 exec_lo, exec_lo, s20
.LBB342_1895:                           ;   in Loop: Header=BB342_1056 Depth=1
	s_or_b32 exec_lo, exec_lo, s19
.LBB342_1896:                           ;   in Loop: Header=BB342_1056 Depth=1
	s_or_b32 exec_lo, exec_lo, s18
	v_and_b32_sdwa v11, v22, v69 dst_sel:DWORD dst_unused:UNUSED_PAD src0_sel:WORD_1 src1_sel:DWORD
	v_mov_b32_e32 v41, 0
	v_mov_b32_e32 v42, 0
	s_mov_b32 s18, exec_lo
	v_cmpx_ne_u16_e32 0, v11
	s_cbranch_execz .LBB342_1904
; %bb.1897:                             ;   in Loop: Header=BB342_1056 Depth=1
	v_bfrev_b32_e32 v42, 1
	s_mov_b32 s19, exec_lo
	v_cmpx_ne_u16_e32 0x80, v11
	s_cbranch_execz .LBB342_1903
; %bb.1898:                             ;   in Loop: Header=BB342_1056 Depth=1
	v_bfe_u32 v23, v22, 16, 7
	v_mov_b32_e32 v42, 0x7f800001
	s_mov_b32 s20, exec_lo
	v_cmpx_ne_u32_e32 0x7f, v23
	s_cbranch_execz .LBB342_1902
; %bb.1899:                             ;   in Loop: Header=BB342_1056 Depth=1
	v_mov_b32_e32 v11, 7
	v_lshrrev_b32_e32 v119, 3, v23
	v_cmp_gt_u32_e64 s5, 8, v23
	v_and_b32_sdwa v11, v22, v11 dst_sel:DWORD dst_unused:UNUSED_PAD src0_sel:WORD_1 src1_sel:DWORD
	v_mov_b32_e32 v24, v12
	v_mov_b32_e32 v23, v11
	s_and_saveexec_b32 s21, s5
; %bb.1900:                             ;   in Loop: Header=BB342_1056 Depth=1
	v_ffbh_u32_e32 v23, v11
	v_min_u32_e32 v32, 32, v23
	v_subrev_nc_u32_e32 v23, 28, v32
	v_sub_nc_u32_e32 v119, 29, v32
	v_lshlrev_b64 v[23:24], v23, v[11:12]
	v_and_b32_e32 v23, 7, v23
; %bb.1901:                             ;   in Loop: Header=BB342_1056 Depth=1
	s_or_b32 exec_lo, exec_lo, s21
	v_mov_b32_e32 v11, 24
	v_lshlrev_b32_e32 v23, 20, v23
	v_lshl_add_u32 v24, v119, 23, 0x3c000000
	v_lshlrev_b32_sdwa v11, v11, v22 dst_sel:DWORD dst_unused:UNUSED_PAD src0_sel:DWORD src1_sel:WORD_1
	v_and_b32_e32 v11, 0x80000000, v11
	v_or3_b32 v42, v23, v11, v24
.LBB342_1902:                           ;   in Loop: Header=BB342_1056 Depth=1
	s_or_b32 exec_lo, exec_lo, s20
.LBB342_1903:                           ;   in Loop: Header=BB342_1056 Depth=1
	s_or_b32 exec_lo, exec_lo, s19
.LBB342_1904:                           ;   in Loop: Header=BB342_1056 Depth=1
	s_or_b32 exec_lo, exec_lo, s18
	s_mov_b32 s18, exec_lo
	v_cmpx_lt_u64_e64 s[6:7], v[21:22]
	s_cbranch_execz .LBB342_1912
; %bb.1905:                             ;   in Loop: Header=BB342_1056 Depth=1
	v_cmp_ne_u32_sdwa s5, v22, v67 src0_sel:BYTE_3 src1_sel:DWORD
	v_bfrev_b32_e32 v41, 1
	s_and_saveexec_b32 s19, s5
	s_cbranch_execz .LBB342_1911
; %bb.1906:                             ;   in Loop: Header=BB342_1056 Depth=1
	v_bfe_u32 v23, v22, 24, 7
	v_mov_b32_e32 v41, 0x7f800001
	s_mov_b32 s20, exec_lo
	v_cmpx_ne_u32_e32 0x7f, v23
	s_cbranch_execz .LBB342_1910
; %bb.1907:                             ;   in Loop: Header=BB342_1056 Depth=1
	v_mov_b32_e32 v11, 7
	v_lshrrev_b32_e32 v21, 3, v23
	v_cmp_gt_u32_e64 s5, 8, v23
	v_and_b32_sdwa v11, v22, v11 dst_sel:DWORD dst_unused:UNUSED_PAD src0_sel:BYTE_3 src1_sel:DWORD
	v_mov_b32_e32 v24, v12
	v_mov_b32_e32 v23, v11
	s_and_saveexec_b32 s21, s5
; %bb.1908:                             ;   in Loop: Header=BB342_1056 Depth=1
	v_ffbh_u32_e32 v21, v11
	v_min_u32_e32 v21, 32, v21
	v_subrev_nc_u32_e32 v23, 28, v21
	v_sub_nc_u32_e32 v21, 29, v21
	v_lshlrev_b64 v[23:24], v23, v[11:12]
	v_and_b32_e32 v23, 7, v23
; %bb.1909:                             ;   in Loop: Header=BB342_1056 Depth=1
	s_or_b32 exec_lo, exec_lo, s21
	v_mov_b32_e32 v11, 24
	v_lshl_add_u32 v21, v21, 23, 0x3c000000
	v_lshlrev_b32_sdwa v11, v11, v22 dst_sel:DWORD dst_unused:UNUSED_PAD src0_sel:DWORD src1_sel:BYTE_3
	v_lshlrev_b32_e32 v22, 20, v23
	v_and_b32_e32 v11, 0x80000000, v11
	v_or3_b32 v41, v22, v11, v21
.LBB342_1910:                           ;   in Loop: Header=BB342_1056 Depth=1
	s_or_b32 exec_lo, exec_lo, s20
.LBB342_1911:                           ;   in Loop: Header=BB342_1056 Depth=1
	s_or_b32 exec_lo, exec_lo, s19
.LBB342_1912:                           ;   in Loop: Header=BB342_1056 Depth=1
	s_or_b32 exec_lo, exec_lo, s18
	v_mul_f32_e32 v11, v64, v117
	v_mul_f32_e32 v10, v64, v10
	v_bfe_u32 v21, v11, 16, 1
	v_or_b32_e32 v22, 0x400000, v11
	v_cmp_u_f32_e64 s5, v11, v11
	v_add3_u32 v21, v21, v11, 0x7fff
	v_cndmask_b32_e64 v11, v21, v22, s5
	v_lshrrev_b32_e32 v117, 16, v11
	v_mul_f32_e32 v11, v64, v118
	v_bfe_u32 v21, v11, 16, 1
	v_or_b32_e32 v22, 0x400000, v11
	v_cmp_u_f32_e64 s5, v11, v11
	v_add3_u32 v21, v21, v11, 0x7fff
	v_cndmask_b32_e64 v11, v21, v22, s5
	v_lshrrev_b32_e32 v118, 16, v11
	;; [unrolled: 7-line block ×4, first 2 shown]
	v_mul_f32_e32 v11, v64, v68
	v_bfe_u32 v21, v11, 16, 1
	v_or_b32_e32 v22, 0x400000, v11
	v_cmp_u_f32_e64 s5, v11, v11
	v_add3_u32 v21, v21, v11, 0x7fff
	v_cndmask_b32_e64 v11, v21, v22, s5
	v_or_b32_e32 v21, 0x400000, v10
	v_cmp_u_f32_e64 s5, v10, v10
	v_lshrrev_b32_e32 v68, 16, v11
	v_bfe_u32 v11, v10, 16, 1
	v_add3_u32 v11, v11, v10, 0x7fff
	v_cndmask_b32_e64 v10, v11, v21, s5
	v_lshrrev_b32_e32 v71, 16, v10
	v_mul_f32_e32 v10, v64, v42
	v_bfe_u32 v11, v10, 16, 1
	v_or_b32_e32 v21, 0x400000, v10
	v_cmp_u_f32_e64 s5, v10, v10
	v_add3_u32 v11, v11, v10, 0x7fff
	v_cndmask_b32_e64 v10, v11, v21, s5
	v_lshrrev_b32_e32 v70, 16, v10
	v_mul_f32_e32 v10, v64, v41
	v_bfe_u32 v11, v10, 16, 1
	v_or_b32_e32 v21, 0x400000, v10
	v_cmp_u_f32_e64 s5, v10, v10
	v_add3_u32 v11, v11, v10, 0x7fff
	v_cndmask_b32_e64 v10, v11, v21, s5
	v_lshrrev_b32_e32 v41, 16, v10
	s_and_saveexec_b32 s18, vcc_lo
	s_cbranch_execz .LBB342_1914
; %bb.1913:                             ;   in Loop: Header=BB342_1056 Depth=1
	buffer_load_dword v10, off, s[0:3], s32 offset:196 ; 4-byte Folded Reload
	s_waitcnt vmcnt(0)
	v_cmp_lt_i32_e64 s5, v57, v10
	v_cndmask_b32_e64 v71, 0, v71, s5
	v_cmp_lt_i32_e64 s5, v63, v10
	v_cndmask_b32_e64 v68, 0, v68, s5
	;; [unrolled: 2-line block ×8, first 2 shown]
.LBB342_1914:                           ;   in Loop: Header=BB342_1056 Depth=1
	s_or_b32 exec_lo, exec_lo, s18
	flat_load_dwordx2 v[21:22], v[19:20] offset:1280
	v_mov_b32_e32 v46, 0
	v_mov_b32_e32 v10, 0
	s_waitcnt vmcnt(0) lgkmcnt(0)
	v_cmp_ne_u16_sdwa s5, v21, v12 src0_sel:BYTE_0 src1_sel:DWORD
	s_and_saveexec_b32 s18, s5
	s_cbranch_execz .LBB342_1922
; %bb.1915:                             ;   in Loop: Header=BB342_1056 Depth=1
	v_cmp_ne_u16_sdwa s5, v21, v67 src0_sel:BYTE_0 src1_sel:DWORD
	v_bfrev_b32_e32 v10, 1
	s_and_saveexec_b32 s19, s5
	s_cbranch_execz .LBB342_1921
; %bb.1916:                             ;   in Loop: Header=BB342_1056 Depth=1
	v_and_b32_e32 v11, 0x7f, v21
	v_mov_b32_e32 v10, 0x7f800001
	s_mov_b32 s20, exec_lo
	v_cmpx_ne_u32_e32 0x7f, v11
	s_cbranch_execz .LBB342_1920
; %bb.1917:                             ;   in Loop: Header=BB342_1056 Depth=1
	v_lshrrev_b32_e32 v23, 3, v11
	v_cmp_gt_u32_e64 s5, 8, v11
	v_mov_b32_e32 v10, v21
	v_mov_b32_e32 v11, v22
	s_and_saveexec_b32 s21, s5
; %bb.1918:                             ;   in Loop: Header=BB342_1056 Depth=1
	v_and_b32_e32 v10, 7, v21
	v_ffbh_u32_e32 v10, v10
	v_min_u32_e32 v23, 32, v10
	v_subrev_nc_u32_e32 v10, 28, v23
	v_sub_nc_u32_e32 v23, 29, v23
	v_lshlrev_b64 v[10:11], v10, v[21:22]
; %bb.1919:                             ;   in Loop: Header=BB342_1056 Depth=1
	s_or_b32 exec_lo, exec_lo, s21
	v_lshlrev_b32_e32 v10, 20, v10
	v_lshlrev_b32_e32 v11, 24, v21
	v_lshl_add_u32 v23, v23, 23, 0x3c000000
	v_and_b32_e32 v10, 0x700000, v10
	v_and_b32_e32 v11, 0x80000000, v11
	v_or3_b32 v10, v10, v11, v23
.LBB342_1920:                           ;   in Loop: Header=BB342_1056 Depth=1
	s_or_b32 exec_lo, exec_lo, s20
.LBB342_1921:                           ;   in Loop: Header=BB342_1056 Depth=1
	s_or_b32 exec_lo, exec_lo, s19
.LBB342_1922:                           ;   in Loop: Header=BB342_1056 Depth=1
	s_or_b32 exec_lo, exec_lo, s18
	v_cmp_ne_u16_sdwa s5, v21, v12 src0_sel:BYTE_1 src1_sel:DWORD
	s_and_saveexec_b32 s18, s5
	s_cbranch_execz .LBB342_1930
; %bb.1923:                             ;   in Loop: Header=BB342_1056 Depth=1
	v_cmp_ne_u16_sdwa s5, v21, v67 src0_sel:BYTE_1 src1_sel:DWORD
	v_bfrev_b32_e32 v46, 1
	s_and_saveexec_b32 s19, s5
	s_cbranch_execz .LBB342_1929
; %bb.1924:                             ;   in Loop: Header=BB342_1056 Depth=1
	v_and_b32_sdwa v11, v94, v21 dst_sel:DWORD dst_unused:UNUSED_PAD src0_sel:DWORD src1_sel:BYTE_1
	v_mov_b32_e32 v46, 0x7f800001
	s_mov_b32 s20, exec_lo
	v_and_b32_e32 v23, 0x7f, v11
	v_cmpx_ne_u32_e32 0x7f, v23
	s_cbranch_execz .LBB342_1928
; %bb.1925:                             ;   in Loop: Header=BB342_1056 Depth=1
	v_and_b32_e32 v11, 7, v11
	v_lshrrev_b32_e32 v42, 3, v23
	v_cmp_gt_u32_e64 s5, 8, v23
	v_mov_b32_e32 v24, v12
	v_mov_b32_e32 v23, v11
	s_and_saveexec_b32 s21, s5
; %bb.1926:                             ;   in Loop: Header=BB342_1056 Depth=1
	v_ffbh_u32_e32 v23, v11
	v_min_u32_e32 v32, 32, v23
	v_subrev_nc_u32_e32 v23, 28, v32
	v_sub_nc_u32_e32 v42, 29, v32
	v_lshlrev_b64 v[23:24], v23, v[11:12]
	v_and_b32_e32 v23, 7, v23
; %bb.1927:                             ;   in Loop: Header=BB342_1056 Depth=1
	s_or_b32 exec_lo, exec_lo, s21
	v_lshlrev_b32_e32 v11, 16, v21
	v_lshlrev_b32_e32 v23, 20, v23
	v_lshl_add_u32 v24, v42, 23, 0x3c000000
	v_and_b32_e32 v11, 0x80000000, v11
	v_or3_b32 v46, v23, v11, v24
.LBB342_1928:                           ;   in Loop: Header=BB342_1056 Depth=1
	s_or_b32 exec_lo, exec_lo, s20
.LBB342_1929:                           ;   in Loop: Header=BB342_1056 Depth=1
	s_or_b32 exec_lo, exec_lo, s19
.LBB342_1930:                           ;   in Loop: Header=BB342_1056 Depth=1
	s_or_b32 exec_lo, exec_lo, s18
	v_and_b32_sdwa v11, v21, v69 dst_sel:DWORD dst_unused:UNUSED_PAD src0_sel:WORD_1 src1_sel:DWORD
	v_mov_b32_e32 v44, 0
	v_mov_b32_e32 v45, 0
	s_mov_b32 s18, exec_lo
	v_cmpx_ne_u16_e32 0, v11
	s_cbranch_execz .LBB342_1938
; %bb.1931:                             ;   in Loop: Header=BB342_1056 Depth=1
	v_bfrev_b32_e32 v45, 1
	s_mov_b32 s19, exec_lo
	v_cmpx_ne_u16_e32 0x80, v11
	s_cbranch_execz .LBB342_1937
; %bb.1932:                             ;   in Loop: Header=BB342_1056 Depth=1
	v_bfe_u32 v23, v21, 16, 7
	v_mov_b32_e32 v45, 0x7f800001
	s_mov_b32 s20, exec_lo
	v_cmpx_ne_u32_e32 0x7f, v23
	s_cbranch_execz .LBB342_1936
; %bb.1933:                             ;   in Loop: Header=BB342_1056 Depth=1
	v_mov_b32_e32 v11, 7
	v_lshrrev_b32_e32 v42, 3, v23
	v_cmp_gt_u32_e64 s5, 8, v23
	v_and_b32_sdwa v11, v21, v11 dst_sel:DWORD dst_unused:UNUSED_PAD src0_sel:WORD_1 src1_sel:DWORD
	v_mov_b32_e32 v24, v12
	v_mov_b32_e32 v23, v11
	s_and_saveexec_b32 s21, s5
; %bb.1934:                             ;   in Loop: Header=BB342_1056 Depth=1
	v_ffbh_u32_e32 v23, v11
	v_min_u32_e32 v32, 32, v23
	v_subrev_nc_u32_e32 v23, 28, v32
	v_sub_nc_u32_e32 v42, 29, v32
	v_lshlrev_b64 v[23:24], v23, v[11:12]
	v_and_b32_e32 v23, 7, v23
; %bb.1935:                             ;   in Loop: Header=BB342_1056 Depth=1
	s_or_b32 exec_lo, exec_lo, s21
	v_mov_b32_e32 v11, 24
	v_lshlrev_b32_e32 v23, 20, v23
	v_lshl_add_u32 v24, v42, 23, 0x3c000000
	v_lshlrev_b32_sdwa v11, v11, v21 dst_sel:DWORD dst_unused:UNUSED_PAD src0_sel:DWORD src1_sel:WORD_1
	v_and_b32_e32 v11, 0x80000000, v11
	v_or3_b32 v45, v23, v11, v24
.LBB342_1936:                           ;   in Loop: Header=BB342_1056 Depth=1
	s_or_b32 exec_lo, exec_lo, s20
.LBB342_1937:                           ;   in Loop: Header=BB342_1056 Depth=1
	s_or_b32 exec_lo, exec_lo, s19
.LBB342_1938:                           ;   in Loop: Header=BB342_1056 Depth=1
	s_or_b32 exec_lo, exec_lo, s18
	s_mov_b32 s18, exec_lo
	v_cmpx_lt_u32_e32 0xffffff, v21
	s_cbranch_execz .LBB342_1946
; %bb.1939:                             ;   in Loop: Header=BB342_1056 Depth=1
	v_cmp_ne_u32_sdwa s5, v21, v67 src0_sel:BYTE_3 src1_sel:DWORD
	v_bfrev_b32_e32 v44, 1
	s_and_saveexec_b32 s19, s5
	s_cbranch_execz .LBB342_1945
; %bb.1940:                             ;   in Loop: Header=BB342_1056 Depth=1
	v_bfe_u32 v23, v21, 24, 7
	v_mov_b32_e32 v44, 0x7f800001
	s_mov_b32 s20, exec_lo
	v_cmpx_ne_u32_e32 0x7f, v23
	s_cbranch_execz .LBB342_1944
; %bb.1941:                             ;   in Loop: Header=BB342_1056 Depth=1
	v_mov_b32_e32 v11, 7
	v_lshrrev_b32_e32 v42, 3, v23
	v_cmp_gt_u32_e64 s5, 8, v23
	v_and_b32_sdwa v11, v21, v11 dst_sel:DWORD dst_unused:UNUSED_PAD src0_sel:BYTE_3 src1_sel:DWORD
	v_mov_b32_e32 v24, v12
	v_mov_b32_e32 v23, v11
	s_and_saveexec_b32 s21, s5
; %bb.1942:                             ;   in Loop: Header=BB342_1056 Depth=1
	v_ffbh_u32_e32 v23, v11
	v_min_u32_e32 v32, 32, v23
	v_subrev_nc_u32_e32 v23, 28, v32
	v_sub_nc_u32_e32 v42, 29, v32
	v_lshlrev_b64 v[23:24], v23, v[11:12]
	v_and_b32_e32 v23, 7, v23
; %bb.1943:                             ;   in Loop: Header=BB342_1056 Depth=1
	s_or_b32 exec_lo, exec_lo, s21
	v_mov_b32_e32 v11, 24
	v_lshlrev_b32_e32 v23, 20, v23
	v_lshl_add_u32 v24, v42, 23, 0x3c000000
	v_lshlrev_b32_sdwa v11, v11, v21 dst_sel:DWORD dst_unused:UNUSED_PAD src0_sel:DWORD src1_sel:BYTE_3
	v_and_b32_e32 v11, 0x80000000, v11
	v_or3_b32 v44, v23, v11, v24
.LBB342_1944:                           ;   in Loop: Header=BB342_1056 Depth=1
	s_or_b32 exec_lo, exec_lo, s20
.LBB342_1945:                           ;   in Loop: Header=BB342_1056 Depth=1
	s_or_b32 exec_lo, exec_lo, s19
.LBB342_1946:                           ;   in Loop: Header=BB342_1056 Depth=1
	s_or_b32 exec_lo, exec_lo, s18
	v_mov_b32_e32 v11, v22
	v_cmp_ne_u16_sdwa s5, v22, v12 src0_sel:BYTE_0 src1_sel:DWORD
	v_mov_b32_e32 v42, 0
	v_mov_b32_e32 v43, 0
	s_and_saveexec_b32 s18, s5
	s_cbranch_execz .LBB342_1954
; %bb.1947:                             ;   in Loop: Header=BB342_1056 Depth=1
	v_cmp_ne_u16_sdwa s5, v22, v67 src0_sel:BYTE_0 src1_sel:DWORD
	v_bfrev_b32_e32 v43, 1
	s_and_saveexec_b32 s19, s5
	s_cbranch_execz .LBB342_1953
; %bb.1948:                             ;   in Loop: Header=BB342_1056 Depth=1
	v_and_b32_e32 v23, 0x7f, v22
	v_mov_b32_e32 v43, 0x7f800001
	s_mov_b32 s20, exec_lo
	v_cmpx_ne_u32_e32 0x7f, v23
	s_cbranch_execz .LBB342_1952
; %bb.1949:                             ;   in Loop: Header=BB342_1056 Depth=1
	v_lshrrev_b32_e32 v43, 3, v23
	v_cmp_gt_u32_e64 s5, 8, v23
	v_mov_b32_e32 v24, v12
	v_mov_b32_e32 v23, v11
	s_and_saveexec_b32 s21, s5
; %bb.1950:                             ;   in Loop: Header=BB342_1056 Depth=1
	v_and_b32_e32 v23, 7, v22
	v_ffbh_u32_e32 v23, v23
	v_min_u32_e32 v32, 32, v23
	v_subrev_nc_u32_e32 v23, 28, v32
	v_sub_nc_u32_e32 v43, 29, v32
	v_lshlrev_b64 v[23:24], v23, v[11:12]
; %bb.1951:                             ;   in Loop: Header=BB342_1056 Depth=1
	s_or_b32 exec_lo, exec_lo, s21
	v_lshlrev_b32_e32 v23, 20, v23
	v_lshlrev_b32_e32 v24, 24, v11
	v_lshl_add_u32 v32, v43, 23, 0x3c000000
	v_and_b32_e32 v23, 0x700000, v23
	v_and_b32_e32 v24, 0x80000000, v24
	v_or3_b32 v43, v23, v24, v32
.LBB342_1952:                           ;   in Loop: Header=BB342_1056 Depth=1
	s_or_b32 exec_lo, exec_lo, s20
.LBB342_1953:                           ;   in Loop: Header=BB342_1056 Depth=1
	s_or_b32 exec_lo, exec_lo, s19
.LBB342_1954:                           ;   in Loop: Header=BB342_1056 Depth=1
	s_or_b32 exec_lo, exec_lo, s18
	v_cmp_ne_u16_sdwa s5, v11, v12 src0_sel:BYTE_1 src1_sel:DWORD
	s_and_saveexec_b32 s18, s5
	s_cbranch_execz .LBB342_1962
; %bb.1955:                             ;   in Loop: Header=BB342_1056 Depth=1
	v_cmp_ne_u16_sdwa s5, v11, v67 src0_sel:BYTE_1 src1_sel:DWORD
	v_bfrev_b32_e32 v42, 1
	s_and_saveexec_b32 s19, s5
	s_cbranch_execz .LBB342_1961
; %bb.1956:                             ;   in Loop: Header=BB342_1056 Depth=1
	v_and_b32_sdwa v23, v94, v11 dst_sel:DWORD dst_unused:UNUSED_PAD src0_sel:DWORD src1_sel:BYTE_1
	v_mov_b32_e32 v42, 0x7f800001
	s_mov_b32 s20, exec_lo
	v_and_b32_e32 v47, 0x7f, v23
	v_cmpx_ne_u32_e32 0x7f, v47
	s_cbranch_execz .LBB342_1960
; %bb.1957:                             ;   in Loop: Header=BB342_1056 Depth=1
	v_and_b32_e32 v23, 7, v23
	v_mov_b32_e32 v24, v12
	v_lshrrev_b32_e32 v42, 3, v47
	s_mov_b32 s21, exec_lo
	v_cmpx_gt_u32_e32 8, v47
; %bb.1958:                             ;   in Loop: Header=BB342_1056 Depth=1
	v_ffbh_u32_e32 v32, v23
	v_min_u32_e32 v32, 32, v32
	v_subrev_nc_u32_e32 v42, 28, v32
	v_lshlrev_b64 v[23:24], v42, v[23:24]
	v_sub_nc_u32_e32 v42, 29, v32
	v_and_b32_e32 v23, 7, v23
; %bb.1959:                             ;   in Loop: Header=BB342_1056 Depth=1
	s_or_b32 exec_lo, exec_lo, s21
	v_lshlrev_b32_e32 v11, 16, v11
	v_lshlrev_b32_e32 v23, 20, v23
	v_lshl_add_u32 v24, v42, 23, 0x3c000000
	v_and_b32_e32 v11, 0x80000000, v11
	v_or3_b32 v42, v23, v11, v24
.LBB342_1960:                           ;   in Loop: Header=BB342_1056 Depth=1
	s_or_b32 exec_lo, exec_lo, s20
.LBB342_1961:                           ;   in Loop: Header=BB342_1056 Depth=1
	s_or_b32 exec_lo, exec_lo, s19
.LBB342_1962:                           ;   in Loop: Header=BB342_1056 Depth=1
	s_or_b32 exec_lo, exec_lo, s18
	v_and_b32_sdwa v11, v22, v69 dst_sel:DWORD dst_unused:UNUSED_PAD src0_sel:WORD_1 src1_sel:DWORD
	v_mov_b32_e32 v72, 0
	v_mov_b32_e32 v47, 0
	s_mov_b32 s18, exec_lo
	v_cmpx_ne_u16_e32 0, v11
	s_cbranch_execz .LBB342_1970
; %bb.1963:                             ;   in Loop: Header=BB342_1056 Depth=1
	v_bfrev_b32_e32 v47, 1
	s_mov_b32 s19, exec_lo
	v_cmpx_ne_u16_e32 0x80, v11
	s_cbranch_execz .LBB342_1969
; %bb.1964:                             ;   in Loop: Header=BB342_1056 Depth=1
	v_bfe_u32 v23, v22, 16, 7
	v_mov_b32_e32 v47, 0x7f800001
	s_mov_b32 s20, exec_lo
	v_cmpx_ne_u32_e32 0x7f, v23
	s_cbranch_execz .LBB342_1968
; %bb.1965:                             ;   in Loop: Header=BB342_1056 Depth=1
	v_mov_b32_e32 v11, 7
	v_lshrrev_b32_e32 v47, 3, v23
	v_cmp_gt_u32_e64 s5, 8, v23
	v_and_b32_sdwa v11, v22, v11 dst_sel:DWORD dst_unused:UNUSED_PAD src0_sel:WORD_1 src1_sel:DWORD
	v_mov_b32_e32 v24, v12
	v_mov_b32_e32 v23, v11
	s_and_saveexec_b32 s21, s5
; %bb.1966:                             ;   in Loop: Header=BB342_1056 Depth=1
	v_ffbh_u32_e32 v23, v11
	v_min_u32_e32 v32, 32, v23
	v_subrev_nc_u32_e32 v23, 28, v32
	v_sub_nc_u32_e32 v47, 29, v32
	v_lshlrev_b64 v[23:24], v23, v[11:12]
	v_and_b32_e32 v23, 7, v23
; %bb.1967:                             ;   in Loop: Header=BB342_1056 Depth=1
	s_or_b32 exec_lo, exec_lo, s21
	v_mov_b32_e32 v11, 24
	v_lshlrev_b32_e32 v23, 20, v23
	v_lshl_add_u32 v24, v47, 23, 0x3c000000
	v_lshlrev_b32_sdwa v11, v11, v22 dst_sel:DWORD dst_unused:UNUSED_PAD src0_sel:DWORD src1_sel:WORD_1
	v_and_b32_e32 v11, 0x80000000, v11
	v_or3_b32 v47, v23, v11, v24
.LBB342_1968:                           ;   in Loop: Header=BB342_1056 Depth=1
	s_or_b32 exec_lo, exec_lo, s20
.LBB342_1969:                           ;   in Loop: Header=BB342_1056 Depth=1
	s_or_b32 exec_lo, exec_lo, s19
.LBB342_1970:                           ;   in Loop: Header=BB342_1056 Depth=1
	s_or_b32 exec_lo, exec_lo, s18
	s_mov_b32 s18, exec_lo
	v_cmpx_lt_u64_e64 s[6:7], v[21:22]
	s_cbranch_execz .LBB342_1978
; %bb.1971:                             ;   in Loop: Header=BB342_1056 Depth=1
	v_cmp_ne_u32_sdwa s5, v22, v67 src0_sel:BYTE_3 src1_sel:DWORD
	v_bfrev_b32_e32 v72, 1
	s_and_saveexec_b32 s19, s5
	s_cbranch_execz .LBB342_1977
; %bb.1972:                             ;   in Loop: Header=BB342_1056 Depth=1
	v_bfe_u32 v23, v22, 24, 7
	v_mov_b32_e32 v72, 0x7f800001
	s_mov_b32 s20, exec_lo
	v_cmpx_ne_u32_e32 0x7f, v23
	s_cbranch_execz .LBB342_1976
; %bb.1973:                             ;   in Loop: Header=BB342_1056 Depth=1
	v_mov_b32_e32 v11, 7
	v_lshrrev_b32_e32 v21, 3, v23
	v_cmp_gt_u32_e64 s5, 8, v23
	v_and_b32_sdwa v11, v22, v11 dst_sel:DWORD dst_unused:UNUSED_PAD src0_sel:BYTE_3 src1_sel:DWORD
	v_mov_b32_e32 v24, v12
	v_mov_b32_e32 v23, v11
	s_and_saveexec_b32 s21, s5
; %bb.1974:                             ;   in Loop: Header=BB342_1056 Depth=1
	v_ffbh_u32_e32 v21, v11
	v_min_u32_e32 v21, 32, v21
	v_subrev_nc_u32_e32 v23, 28, v21
	v_sub_nc_u32_e32 v21, 29, v21
	v_lshlrev_b64 v[23:24], v23, v[11:12]
	v_and_b32_e32 v23, 7, v23
; %bb.1975:                             ;   in Loop: Header=BB342_1056 Depth=1
	s_or_b32 exec_lo, exec_lo, s21
	v_mov_b32_e32 v11, 24
	v_lshl_add_u32 v21, v21, 23, 0x3c000000
	v_lshlrev_b32_sdwa v11, v11, v22 dst_sel:DWORD dst_unused:UNUSED_PAD src0_sel:DWORD src1_sel:BYTE_3
	v_lshlrev_b32_e32 v22, 20, v23
	v_and_b32_e32 v11, 0x80000000, v11
	v_or3_b32 v72, v22, v11, v21
.LBB342_1976:                           ;   in Loop: Header=BB342_1056 Depth=1
	s_or_b32 exec_lo, exec_lo, s20
.LBB342_1977:                           ;   in Loop: Header=BB342_1056 Depth=1
	s_or_b32 exec_lo, exec_lo, s19
.LBB342_1978:                           ;   in Loop: Header=BB342_1056 Depth=1
	s_or_b32 exec_lo, exec_lo, s18
	v_mul_f32_e32 v11, v64, v42
	v_mul_f32_e32 v10, v64, v10
	v_bfe_u32 v21, v11, 16, 1
	v_or_b32_e32 v22, 0x400000, v11
	v_cmp_u_f32_e64 s5, v11, v11
	v_add3_u32 v21, v21, v11, 0x7fff
	v_cndmask_b32_e64 v11, v21, v22, s5
	v_lshrrev_b32_e32 v42, 16, v11
	v_mul_f32_e32 v11, v64, v43
	v_bfe_u32 v21, v11, 16, 1
	v_or_b32_e32 v22, 0x400000, v11
	v_cmp_u_f32_e64 s5, v11, v11
	v_add3_u32 v21, v21, v11, 0x7fff
	v_cndmask_b32_e64 v11, v21, v22, s5
	v_lshrrev_b32_e32 v43, 16, v11
	;; [unrolled: 7-line block ×4, first 2 shown]
	v_mul_f32_e32 v11, v64, v46
	v_bfe_u32 v21, v11, 16, 1
	v_or_b32_e32 v22, 0x400000, v11
	v_cmp_u_f32_e64 s5, v11, v11
	v_add3_u32 v21, v21, v11, 0x7fff
	v_cndmask_b32_e64 v11, v21, v22, s5
	v_or_b32_e32 v21, 0x400000, v10
	v_cmp_u_f32_e64 s5, v10, v10
	v_lshrrev_b32_e32 v46, 16, v11
	v_bfe_u32 v11, v10, 16, 1
	v_add3_u32 v11, v11, v10, 0x7fff
	v_cndmask_b32_e64 v10, v11, v21, s5
	v_lshrrev_b32_e32 v56, 16, v10
	v_mul_f32_e32 v10, v64, v47
	v_bfe_u32 v11, v10, 16, 1
	v_or_b32_e32 v21, 0x400000, v10
	v_cmp_u_f32_e64 s5, v10, v10
	v_add3_u32 v11, v11, v10, 0x7fff
	v_cndmask_b32_e64 v10, v11, v21, s5
	v_lshrrev_b32_e32 v47, 16, v10
	v_mul_f32_e32 v10, v64, v72
	v_bfe_u32 v11, v10, 16, 1
	v_or_b32_e32 v21, 0x400000, v10
	v_cmp_u_f32_e64 s5, v10, v10
	v_add3_u32 v11, v11, v10, 0x7fff
	v_cndmask_b32_e64 v10, v11, v21, s5
	v_lshrrev_b32_e32 v72, 16, v10
	s_and_saveexec_b32 s18, vcc_lo
	s_cbranch_execz .LBB342_1980
; %bb.1979:                             ;   in Loop: Header=BB342_1056 Depth=1
	buffer_load_dword v10, off, s[0:3], s32 offset:196 ; 4-byte Folded Reload
	s_waitcnt vmcnt(0)
	v_cmp_lt_i32_e64 s5, v57, v10
	v_cndmask_b32_e64 v56, 0, v56, s5
	v_cmp_lt_i32_e64 s5, v63, v10
	v_cndmask_b32_e64 v46, 0, v46, s5
	;; [unrolled: 2-line block ×8, first 2 shown]
.LBB342_1980:                           ;   in Loop: Header=BB342_1056 Depth=1
	s_or_b32 exec_lo, exec_lo, s18
	flat_load_dwordx2 v[21:22], v[19:20] offset:1536
	v_mov_b32_e32 v77, 0
	v_mov_b32_e32 v10, 0
	s_waitcnt vmcnt(0) lgkmcnt(0)
	v_cmp_ne_u16_sdwa s5, v21, v12 src0_sel:BYTE_0 src1_sel:DWORD
	s_and_saveexec_b32 s18, s5
	s_cbranch_execz .LBB342_1988
; %bb.1981:                             ;   in Loop: Header=BB342_1056 Depth=1
	v_cmp_ne_u16_sdwa s5, v21, v67 src0_sel:BYTE_0 src1_sel:DWORD
	v_bfrev_b32_e32 v10, 1
	s_and_saveexec_b32 s19, s5
	s_cbranch_execz .LBB342_1987
; %bb.1982:                             ;   in Loop: Header=BB342_1056 Depth=1
	v_and_b32_e32 v11, 0x7f, v21
	v_mov_b32_e32 v10, 0x7f800001
	s_mov_b32 s20, exec_lo
	v_cmpx_ne_u32_e32 0x7f, v11
	s_cbranch_execz .LBB342_1986
; %bb.1983:                             ;   in Loop: Header=BB342_1056 Depth=1
	v_lshrrev_b32_e32 v23, 3, v11
	v_cmp_gt_u32_e64 s5, 8, v11
	v_mov_b32_e32 v10, v21
	v_mov_b32_e32 v11, v22
	s_and_saveexec_b32 s21, s5
; %bb.1984:                             ;   in Loop: Header=BB342_1056 Depth=1
	v_and_b32_e32 v10, 7, v21
	v_ffbh_u32_e32 v10, v10
	v_min_u32_e32 v23, 32, v10
	v_subrev_nc_u32_e32 v10, 28, v23
	v_sub_nc_u32_e32 v23, 29, v23
	v_lshlrev_b64 v[10:11], v10, v[21:22]
; %bb.1985:                             ;   in Loop: Header=BB342_1056 Depth=1
	s_or_b32 exec_lo, exec_lo, s21
	v_lshlrev_b32_e32 v10, 20, v10
	v_lshlrev_b32_e32 v11, 24, v21
	v_lshl_add_u32 v23, v23, 23, 0x3c000000
	v_and_b32_e32 v10, 0x700000, v10
	v_and_b32_e32 v11, 0x80000000, v11
	v_or3_b32 v10, v10, v11, v23
.LBB342_1986:                           ;   in Loop: Header=BB342_1056 Depth=1
	s_or_b32 exec_lo, exec_lo, s20
.LBB342_1987:                           ;   in Loop: Header=BB342_1056 Depth=1
	s_or_b32 exec_lo, exec_lo, s19
.LBB342_1988:                           ;   in Loop: Header=BB342_1056 Depth=1
	s_or_b32 exec_lo, exec_lo, s18
	v_cmp_ne_u16_sdwa s5, v21, v12 src0_sel:BYTE_1 src1_sel:DWORD
	s_and_saveexec_b32 s18, s5
	s_cbranch_execz .LBB342_1996
; %bb.1989:                             ;   in Loop: Header=BB342_1056 Depth=1
	v_cmp_ne_u16_sdwa s5, v21, v67 src0_sel:BYTE_1 src1_sel:DWORD
	v_bfrev_b32_e32 v77, 1
	s_and_saveexec_b32 s19, s5
	s_cbranch_execz .LBB342_1995
; %bb.1990:                             ;   in Loop: Header=BB342_1056 Depth=1
	v_and_b32_sdwa v11, v94, v21 dst_sel:DWORD dst_unused:UNUSED_PAD src0_sel:DWORD src1_sel:BYTE_1
	v_mov_b32_e32 v77, 0x7f800001
	s_mov_b32 s20, exec_lo
	v_and_b32_e32 v23, 0x7f, v11
	v_cmpx_ne_u32_e32 0x7f, v23
	s_cbranch_execz .LBB342_1994
; %bb.1991:                             ;   in Loop: Header=BB342_1056 Depth=1
	v_and_b32_e32 v11, 7, v11
	v_lshrrev_b32_e32 v73, 3, v23
	v_cmp_gt_u32_e64 s5, 8, v23
	v_mov_b32_e32 v24, v12
	v_mov_b32_e32 v23, v11
	s_and_saveexec_b32 s21, s5
; %bb.1992:                             ;   in Loop: Header=BB342_1056 Depth=1
	v_ffbh_u32_e32 v23, v11
	v_min_u32_e32 v32, 32, v23
	v_subrev_nc_u32_e32 v23, 28, v32
	v_sub_nc_u32_e32 v73, 29, v32
	v_lshlrev_b64 v[23:24], v23, v[11:12]
	v_and_b32_e32 v23, 7, v23
; %bb.1993:                             ;   in Loop: Header=BB342_1056 Depth=1
	s_or_b32 exec_lo, exec_lo, s21
	v_lshlrev_b32_e32 v11, 16, v21
	v_lshlrev_b32_e32 v23, 20, v23
	v_lshl_add_u32 v24, v73, 23, 0x3c000000
	v_and_b32_e32 v11, 0x80000000, v11
	v_or3_b32 v77, v23, v11, v24
.LBB342_1994:                           ;   in Loop: Header=BB342_1056 Depth=1
	s_or_b32 exec_lo, exec_lo, s20
.LBB342_1995:                           ;   in Loop: Header=BB342_1056 Depth=1
	s_or_b32 exec_lo, exec_lo, s19
.LBB342_1996:                           ;   in Loop: Header=BB342_1056 Depth=1
	s_or_b32 exec_lo, exec_lo, s18
	v_and_b32_sdwa v11, v21, v69 dst_sel:DWORD dst_unused:UNUSED_PAD src0_sel:WORD_1 src1_sel:DWORD
	v_mov_b32_e32 v75, 0
	v_mov_b32_e32 v76, 0
	s_mov_b32 s18, exec_lo
	v_cmpx_ne_u16_e32 0, v11
	s_cbranch_execz .LBB342_2004
; %bb.1997:                             ;   in Loop: Header=BB342_1056 Depth=1
	v_bfrev_b32_e32 v76, 1
	s_mov_b32 s19, exec_lo
	v_cmpx_ne_u16_e32 0x80, v11
	s_cbranch_execz .LBB342_2003
; %bb.1998:                             ;   in Loop: Header=BB342_1056 Depth=1
	v_bfe_u32 v23, v21, 16, 7
	v_mov_b32_e32 v76, 0x7f800001
	s_mov_b32 s20, exec_lo
	v_cmpx_ne_u32_e32 0x7f, v23
	s_cbranch_execz .LBB342_2002
; %bb.1999:                             ;   in Loop: Header=BB342_1056 Depth=1
	v_mov_b32_e32 v11, 7
	v_lshrrev_b32_e32 v73, 3, v23
	v_cmp_gt_u32_e64 s5, 8, v23
	v_and_b32_sdwa v11, v21, v11 dst_sel:DWORD dst_unused:UNUSED_PAD src0_sel:WORD_1 src1_sel:DWORD
	v_mov_b32_e32 v24, v12
	v_mov_b32_e32 v23, v11
	s_and_saveexec_b32 s21, s5
; %bb.2000:                             ;   in Loop: Header=BB342_1056 Depth=1
	v_ffbh_u32_e32 v23, v11
	v_min_u32_e32 v32, 32, v23
	v_subrev_nc_u32_e32 v23, 28, v32
	v_sub_nc_u32_e32 v73, 29, v32
	v_lshlrev_b64 v[23:24], v23, v[11:12]
	v_and_b32_e32 v23, 7, v23
; %bb.2001:                             ;   in Loop: Header=BB342_1056 Depth=1
	s_or_b32 exec_lo, exec_lo, s21
	v_mov_b32_e32 v11, 24
	v_lshlrev_b32_e32 v23, 20, v23
	v_lshl_add_u32 v24, v73, 23, 0x3c000000
	v_lshlrev_b32_sdwa v11, v11, v21 dst_sel:DWORD dst_unused:UNUSED_PAD src0_sel:DWORD src1_sel:WORD_1
	v_and_b32_e32 v11, 0x80000000, v11
	v_or3_b32 v76, v23, v11, v24
.LBB342_2002:                           ;   in Loop: Header=BB342_1056 Depth=1
	s_or_b32 exec_lo, exec_lo, s20
.LBB342_2003:                           ;   in Loop: Header=BB342_1056 Depth=1
	s_or_b32 exec_lo, exec_lo, s19
.LBB342_2004:                           ;   in Loop: Header=BB342_1056 Depth=1
	s_or_b32 exec_lo, exec_lo, s18
	s_mov_b32 s18, exec_lo
	v_cmpx_lt_u32_e32 0xffffff, v21
	s_cbranch_execz .LBB342_2012
; %bb.2005:                             ;   in Loop: Header=BB342_1056 Depth=1
	v_cmp_ne_u32_sdwa s5, v21, v67 src0_sel:BYTE_3 src1_sel:DWORD
	v_bfrev_b32_e32 v75, 1
	s_and_saveexec_b32 s19, s5
	s_cbranch_execz .LBB342_2011
; %bb.2006:                             ;   in Loop: Header=BB342_1056 Depth=1
	v_bfe_u32 v23, v21, 24, 7
	v_mov_b32_e32 v75, 0x7f800001
	s_mov_b32 s20, exec_lo
	v_cmpx_ne_u32_e32 0x7f, v23
	s_cbranch_execz .LBB342_2010
; %bb.2007:                             ;   in Loop: Header=BB342_1056 Depth=1
	v_mov_b32_e32 v11, 7
	v_lshrrev_b32_e32 v73, 3, v23
	v_cmp_gt_u32_e64 s5, 8, v23
	v_and_b32_sdwa v11, v21, v11 dst_sel:DWORD dst_unused:UNUSED_PAD src0_sel:BYTE_3 src1_sel:DWORD
	v_mov_b32_e32 v24, v12
	v_mov_b32_e32 v23, v11
	s_and_saveexec_b32 s21, s5
; %bb.2008:                             ;   in Loop: Header=BB342_1056 Depth=1
	v_ffbh_u32_e32 v23, v11
	v_min_u32_e32 v32, 32, v23
	v_subrev_nc_u32_e32 v23, 28, v32
	v_sub_nc_u32_e32 v73, 29, v32
	v_lshlrev_b64 v[23:24], v23, v[11:12]
	v_and_b32_e32 v23, 7, v23
; %bb.2009:                             ;   in Loop: Header=BB342_1056 Depth=1
	s_or_b32 exec_lo, exec_lo, s21
	v_mov_b32_e32 v11, 24
	v_lshlrev_b32_e32 v23, 20, v23
	v_lshl_add_u32 v24, v73, 23, 0x3c000000
	v_lshlrev_b32_sdwa v11, v11, v21 dst_sel:DWORD dst_unused:UNUSED_PAD src0_sel:DWORD src1_sel:BYTE_3
	v_and_b32_e32 v11, 0x80000000, v11
	v_or3_b32 v75, v23, v11, v24
.LBB342_2010:                           ;   in Loop: Header=BB342_1056 Depth=1
	s_or_b32 exec_lo, exec_lo, s20
.LBB342_2011:                           ;   in Loop: Header=BB342_1056 Depth=1
	s_or_b32 exec_lo, exec_lo, s19
.LBB342_2012:                           ;   in Loop: Header=BB342_1056 Depth=1
	s_or_b32 exec_lo, exec_lo, s18
	v_mov_b32_e32 v11, v22
	v_cmp_ne_u16_sdwa s5, v22, v12 src0_sel:BYTE_0 src1_sel:DWORD
	v_mov_b32_e32 v73, 0
	v_mov_b32_e32 v74, 0
	s_and_saveexec_b32 s18, s5
	s_cbranch_execz .LBB342_2020
; %bb.2013:                             ;   in Loop: Header=BB342_1056 Depth=1
	v_cmp_ne_u16_sdwa s5, v22, v67 src0_sel:BYTE_0 src1_sel:DWORD
	v_bfrev_b32_e32 v74, 1
	s_and_saveexec_b32 s19, s5
	s_cbranch_execz .LBB342_2019
; %bb.2014:                             ;   in Loop: Header=BB342_1056 Depth=1
	v_and_b32_e32 v23, 0x7f, v22
	v_mov_b32_e32 v74, 0x7f800001
	s_mov_b32 s20, exec_lo
	v_cmpx_ne_u32_e32 0x7f, v23
	s_cbranch_execz .LBB342_2018
; %bb.2015:                             ;   in Loop: Header=BB342_1056 Depth=1
	v_lshrrev_b32_e32 v74, 3, v23
	v_cmp_gt_u32_e64 s5, 8, v23
	v_mov_b32_e32 v24, v12
	v_mov_b32_e32 v23, v11
	s_and_saveexec_b32 s21, s5
; %bb.2016:                             ;   in Loop: Header=BB342_1056 Depth=1
	v_and_b32_e32 v23, 7, v22
	v_ffbh_u32_e32 v23, v23
	v_min_u32_e32 v32, 32, v23
	v_subrev_nc_u32_e32 v23, 28, v32
	v_sub_nc_u32_e32 v74, 29, v32
	v_lshlrev_b64 v[23:24], v23, v[11:12]
; %bb.2017:                             ;   in Loop: Header=BB342_1056 Depth=1
	s_or_b32 exec_lo, exec_lo, s21
	v_lshlrev_b32_e32 v23, 20, v23
	v_lshlrev_b32_e32 v24, 24, v11
	v_lshl_add_u32 v32, v74, 23, 0x3c000000
	v_and_b32_e32 v23, 0x700000, v23
	v_and_b32_e32 v24, 0x80000000, v24
	v_or3_b32 v74, v23, v24, v32
.LBB342_2018:                           ;   in Loop: Header=BB342_1056 Depth=1
	s_or_b32 exec_lo, exec_lo, s20
.LBB342_2019:                           ;   in Loop: Header=BB342_1056 Depth=1
	s_or_b32 exec_lo, exec_lo, s19
.LBB342_2020:                           ;   in Loop: Header=BB342_1056 Depth=1
	s_or_b32 exec_lo, exec_lo, s18
	v_cmp_ne_u16_sdwa s5, v11, v12 src0_sel:BYTE_1 src1_sel:DWORD
	s_and_saveexec_b32 s18, s5
	s_cbranch_execz .LBB342_2028
; %bb.2021:                             ;   in Loop: Header=BB342_1056 Depth=1
	v_cmp_ne_u16_sdwa s5, v11, v67 src0_sel:BYTE_1 src1_sel:DWORD
	v_bfrev_b32_e32 v73, 1
	s_and_saveexec_b32 s19, s5
	s_cbranch_execz .LBB342_2027
; %bb.2022:                             ;   in Loop: Header=BB342_1056 Depth=1
	v_and_b32_sdwa v23, v94, v11 dst_sel:DWORD dst_unused:UNUSED_PAD src0_sel:DWORD src1_sel:BYTE_1
	v_mov_b32_e32 v73, 0x7f800001
	s_mov_b32 s20, exec_lo
	v_and_b32_e32 v78, 0x7f, v23
	v_cmpx_ne_u32_e32 0x7f, v78
	s_cbranch_execz .LBB342_2026
; %bb.2023:                             ;   in Loop: Header=BB342_1056 Depth=1
	v_and_b32_e32 v23, 7, v23
	v_mov_b32_e32 v24, v12
	v_lshrrev_b32_e32 v73, 3, v78
	s_mov_b32 s21, exec_lo
	v_cmpx_gt_u32_e32 8, v78
; %bb.2024:                             ;   in Loop: Header=BB342_1056 Depth=1
	v_ffbh_u32_e32 v32, v23
	v_min_u32_e32 v32, 32, v32
	v_subrev_nc_u32_e32 v73, 28, v32
	v_lshlrev_b64 v[23:24], v73, v[23:24]
	v_sub_nc_u32_e32 v73, 29, v32
	v_and_b32_e32 v23, 7, v23
; %bb.2025:                             ;   in Loop: Header=BB342_1056 Depth=1
	s_or_b32 exec_lo, exec_lo, s21
	v_lshlrev_b32_e32 v11, 16, v11
	v_lshlrev_b32_e32 v23, 20, v23
	v_lshl_add_u32 v24, v73, 23, 0x3c000000
	v_and_b32_e32 v11, 0x80000000, v11
	v_or3_b32 v73, v23, v11, v24
.LBB342_2026:                           ;   in Loop: Header=BB342_1056 Depth=1
	s_or_b32 exec_lo, exec_lo, s20
.LBB342_2027:                           ;   in Loop: Header=BB342_1056 Depth=1
	s_or_b32 exec_lo, exec_lo, s19
.LBB342_2028:                           ;   in Loop: Header=BB342_1056 Depth=1
	s_or_b32 exec_lo, exec_lo, s18
	v_and_b32_sdwa v11, v22, v69 dst_sel:DWORD dst_unused:UNUSED_PAD src0_sel:WORD_1 src1_sel:DWORD
	v_mov_b32_e32 v88, 0
	v_mov_b32_e32 v78, 0
	s_mov_b32 s18, exec_lo
	v_cmpx_ne_u16_e32 0, v11
	s_cbranch_execz .LBB342_2036
; %bb.2029:                             ;   in Loop: Header=BB342_1056 Depth=1
	v_bfrev_b32_e32 v78, 1
	s_mov_b32 s19, exec_lo
	v_cmpx_ne_u16_e32 0x80, v11
	s_cbranch_execz .LBB342_2035
; %bb.2030:                             ;   in Loop: Header=BB342_1056 Depth=1
	v_bfe_u32 v23, v22, 16, 7
	v_mov_b32_e32 v78, 0x7f800001
	s_mov_b32 s20, exec_lo
	v_cmpx_ne_u32_e32 0x7f, v23
	s_cbranch_execz .LBB342_2034
; %bb.2031:                             ;   in Loop: Header=BB342_1056 Depth=1
	v_mov_b32_e32 v11, 7
	v_lshrrev_b32_e32 v78, 3, v23
	v_cmp_gt_u32_e64 s5, 8, v23
	v_and_b32_sdwa v11, v22, v11 dst_sel:DWORD dst_unused:UNUSED_PAD src0_sel:WORD_1 src1_sel:DWORD
	v_mov_b32_e32 v24, v12
	v_mov_b32_e32 v23, v11
	s_and_saveexec_b32 s21, s5
; %bb.2032:                             ;   in Loop: Header=BB342_1056 Depth=1
	v_ffbh_u32_e32 v23, v11
	v_min_u32_e32 v32, 32, v23
	v_subrev_nc_u32_e32 v23, 28, v32
	v_sub_nc_u32_e32 v78, 29, v32
	v_lshlrev_b64 v[23:24], v23, v[11:12]
	v_and_b32_e32 v23, 7, v23
; %bb.2033:                             ;   in Loop: Header=BB342_1056 Depth=1
	s_or_b32 exec_lo, exec_lo, s21
	v_mov_b32_e32 v11, 24
	v_lshlrev_b32_e32 v23, 20, v23
	v_lshl_add_u32 v24, v78, 23, 0x3c000000
	v_lshlrev_b32_sdwa v11, v11, v22 dst_sel:DWORD dst_unused:UNUSED_PAD src0_sel:DWORD src1_sel:WORD_1
	v_and_b32_e32 v11, 0x80000000, v11
	v_or3_b32 v78, v23, v11, v24
.LBB342_2034:                           ;   in Loop: Header=BB342_1056 Depth=1
	s_or_b32 exec_lo, exec_lo, s20
.LBB342_2035:                           ;   in Loop: Header=BB342_1056 Depth=1
	s_or_b32 exec_lo, exec_lo, s19
.LBB342_2036:                           ;   in Loop: Header=BB342_1056 Depth=1
	s_or_b32 exec_lo, exec_lo, s18
	s_mov_b32 s18, exec_lo
	v_cmpx_lt_u64_e64 s[6:7], v[21:22]
	s_cbranch_execz .LBB342_2044
; %bb.2037:                             ;   in Loop: Header=BB342_1056 Depth=1
	v_cmp_ne_u32_sdwa s5, v22, v67 src0_sel:BYTE_3 src1_sel:DWORD
	v_bfrev_b32_e32 v88, 1
	s_and_saveexec_b32 s19, s5
	s_cbranch_execz .LBB342_2043
; %bb.2038:                             ;   in Loop: Header=BB342_1056 Depth=1
	v_bfe_u32 v23, v22, 24, 7
	v_mov_b32_e32 v88, 0x7f800001
	s_mov_b32 s20, exec_lo
	v_cmpx_ne_u32_e32 0x7f, v23
	s_cbranch_execz .LBB342_2042
; %bb.2039:                             ;   in Loop: Header=BB342_1056 Depth=1
	v_mov_b32_e32 v11, 7
	v_lshrrev_b32_e32 v21, 3, v23
	v_cmp_gt_u32_e64 s5, 8, v23
	v_and_b32_sdwa v11, v22, v11 dst_sel:DWORD dst_unused:UNUSED_PAD src0_sel:BYTE_3 src1_sel:DWORD
	v_mov_b32_e32 v24, v12
	v_mov_b32_e32 v23, v11
	s_and_saveexec_b32 s21, s5
; %bb.2040:                             ;   in Loop: Header=BB342_1056 Depth=1
	v_ffbh_u32_e32 v21, v11
	v_min_u32_e32 v21, 32, v21
	v_subrev_nc_u32_e32 v23, 28, v21
	v_sub_nc_u32_e32 v21, 29, v21
	v_lshlrev_b64 v[23:24], v23, v[11:12]
	v_and_b32_e32 v23, 7, v23
; %bb.2041:                             ;   in Loop: Header=BB342_1056 Depth=1
	s_or_b32 exec_lo, exec_lo, s21
	v_mov_b32_e32 v11, 24
	v_lshl_add_u32 v21, v21, 23, 0x3c000000
	v_lshlrev_b32_sdwa v11, v11, v22 dst_sel:DWORD dst_unused:UNUSED_PAD src0_sel:DWORD src1_sel:BYTE_3
	v_lshlrev_b32_e32 v22, 20, v23
	v_and_b32_e32 v11, 0x80000000, v11
	v_or3_b32 v88, v22, v11, v21
.LBB342_2042:                           ;   in Loop: Header=BB342_1056 Depth=1
	s_or_b32 exec_lo, exec_lo, s20
.LBB342_2043:                           ;   in Loop: Header=BB342_1056 Depth=1
	s_or_b32 exec_lo, exec_lo, s19
.LBB342_2044:                           ;   in Loop: Header=BB342_1056 Depth=1
	s_or_b32 exec_lo, exec_lo, s18
	v_mul_f32_e32 v11, v64, v73
	v_mul_f32_e32 v10, v64, v10
	v_bfe_u32 v21, v11, 16, 1
	v_or_b32_e32 v22, 0x400000, v11
	v_cmp_u_f32_e64 s5, v11, v11
	v_add3_u32 v21, v21, v11, 0x7fff
	v_cndmask_b32_e64 v11, v21, v22, s5
	v_lshrrev_b32_e32 v73, 16, v11
	v_mul_f32_e32 v11, v64, v74
	v_bfe_u32 v21, v11, 16, 1
	v_or_b32_e32 v22, 0x400000, v11
	v_cmp_u_f32_e64 s5, v11, v11
	v_add3_u32 v21, v21, v11, 0x7fff
	v_cndmask_b32_e64 v11, v21, v22, s5
	v_lshrrev_b32_e32 v74, 16, v11
	;; [unrolled: 7-line block ×4, first 2 shown]
	v_mul_f32_e32 v11, v64, v77
	v_bfe_u32 v21, v11, 16, 1
	v_or_b32_e32 v22, 0x400000, v11
	v_cmp_u_f32_e64 s5, v11, v11
	v_add3_u32 v21, v21, v11, 0x7fff
	v_cndmask_b32_e64 v11, v21, v22, s5
	v_or_b32_e32 v21, 0x400000, v10
	v_cmp_u_f32_e64 s5, v10, v10
	v_lshrrev_b32_e32 v77, 16, v11
	v_bfe_u32 v11, v10, 16, 1
	v_add3_u32 v11, v11, v10, 0x7fff
	v_cndmask_b32_e64 v10, v11, v21, s5
	v_lshrrev_b32_e32 v79, 16, v10
	v_mul_f32_e32 v10, v64, v78
	v_bfe_u32 v11, v10, 16, 1
	v_or_b32_e32 v21, 0x400000, v10
	v_cmp_u_f32_e64 s5, v10, v10
	v_add3_u32 v11, v11, v10, 0x7fff
	v_cndmask_b32_e64 v10, v11, v21, s5
	v_lshrrev_b32_e32 v78, 16, v10
	v_mul_f32_e32 v10, v64, v88
	v_bfe_u32 v11, v10, 16, 1
	v_or_b32_e32 v21, 0x400000, v10
	v_cmp_u_f32_e64 s5, v10, v10
	v_add3_u32 v11, v11, v10, 0x7fff
	v_cndmask_b32_e64 v10, v11, v21, s5
	v_lshrrev_b32_e32 v88, 16, v10
	s_and_saveexec_b32 s18, vcc_lo
	s_cbranch_execz .LBB342_2046
; %bb.2045:                             ;   in Loop: Header=BB342_1056 Depth=1
	buffer_load_dword v10, off, s[0:3], s32 offset:196 ; 4-byte Folded Reload
	s_waitcnt vmcnt(0)
	v_cmp_lt_i32_e64 s5, v57, v10
	v_cndmask_b32_e64 v79, 0, v79, s5
	v_cmp_lt_i32_e64 s5, v63, v10
	v_cndmask_b32_e64 v77, 0, v77, s5
	;; [unrolled: 2-line block ×8, first 2 shown]
.LBB342_2046:                           ;   in Loop: Header=BB342_1056 Depth=1
	s_or_b32 exec_lo, exec_lo, s18
	flat_load_dwordx2 v[19:20], v[19:20] offset:1792
	v_mov_b32_e32 v23, 0
	v_mov_b32_e32 v24, 0
	s_waitcnt vmcnt(0) lgkmcnt(0)
	v_cmp_ne_u16_sdwa s5, v19, v12 src0_sel:BYTE_0 src1_sel:DWORD
	s_and_saveexec_b32 s18, s5
	s_cbranch_execz .LBB342_2054
; %bb.2047:                             ;   in Loop: Header=BB342_1056 Depth=1
	v_cmp_ne_u16_sdwa s5, v19, v67 src0_sel:BYTE_0 src1_sel:DWORD
	v_bfrev_b32_e32 v24, 1
	s_and_saveexec_b32 s19, s5
	s_cbranch_execz .LBB342_2053
; %bb.2048:                             ;   in Loop: Header=BB342_1056 Depth=1
	v_and_b32_e32 v10, 0x7f, v19
	v_mov_b32_e32 v24, 0x7f800001
	s_mov_b32 s20, exec_lo
	v_cmpx_ne_u32_e32 0x7f, v10
	s_cbranch_execz .LBB342_2052
; %bb.2049:                             ;   in Loop: Header=BB342_1056 Depth=1
	v_lshrrev_b32_e32 v21, 3, v10
	v_cmp_gt_u32_e64 s5, 8, v10
	v_mov_b32_e32 v10, v19
	v_mov_b32_e32 v11, v20
	s_and_saveexec_b32 s21, s5
; %bb.2050:                             ;   in Loop: Header=BB342_1056 Depth=1
	v_and_b32_e32 v10, 7, v19
	v_ffbh_u32_e32 v10, v10
	v_min_u32_e32 v21, 32, v10
	v_subrev_nc_u32_e32 v10, 28, v21
	v_sub_nc_u32_e32 v21, 29, v21
	v_lshlrev_b64 v[10:11], v10, v[19:20]
; %bb.2051:                             ;   in Loop: Header=BB342_1056 Depth=1
	s_or_b32 exec_lo, exec_lo, s21
	v_lshlrev_b32_e32 v10, 20, v10
	v_lshlrev_b32_e32 v11, 24, v19
	v_lshl_add_u32 v21, v21, 23, 0x3c000000
	v_and_b32_e32 v10, 0x700000, v10
	v_and_b32_e32 v11, 0x80000000, v11
	v_or3_b32 v24, v10, v11, v21
.LBB342_2052:                           ;   in Loop: Header=BB342_1056 Depth=1
	s_or_b32 exec_lo, exec_lo, s20
.LBB342_2053:                           ;   in Loop: Header=BB342_1056 Depth=1
	s_or_b32 exec_lo, exec_lo, s19
.LBB342_2054:                           ;   in Loop: Header=BB342_1056 Depth=1
	s_or_b32 exec_lo, exec_lo, s18
	v_cmp_ne_u16_sdwa s5, v19, v12 src0_sel:BYTE_1 src1_sel:DWORD
	s_and_saveexec_b32 s18, s5
	s_cbranch_execz .LBB342_2062
; %bb.2055:                             ;   in Loop: Header=BB342_1056 Depth=1
	v_cmp_ne_u16_sdwa s5, v19, v67 src0_sel:BYTE_1 src1_sel:DWORD
	v_bfrev_b32_e32 v23, 1
	s_and_saveexec_b32 s19, s5
	s_cbranch_execz .LBB342_2061
; %bb.2056:                             ;   in Loop: Header=BB342_1056 Depth=1
	v_and_b32_sdwa v10, v94, v19 dst_sel:DWORD dst_unused:UNUSED_PAD src0_sel:DWORD src1_sel:BYTE_1
	v_mov_b32_e32 v23, 0x7f800001
	s_mov_b32 s20, exec_lo
	v_and_b32_e32 v89, 0x7f, v10
	v_cmpx_ne_u32_e32 0x7f, v89
	s_cbranch_execz .LBB342_2060
; %bb.2057:                             ;   in Loop: Header=BB342_1056 Depth=1
	v_and_b32_e32 v11, 7, v10
	v_mov_b32_e32 v22, v12
	v_lshrrev_b32_e32 v10, 3, v89
	s_mov_b32 s21, exec_lo
	v_mov_b32_e32 v21, v11
	v_cmpx_gt_u32_e32 8, v89
; %bb.2058:                             ;   in Loop: Header=BB342_1056 Depth=1
	v_ffbh_u32_e32 v10, v11
	v_min_u32_e32 v10, 32, v10
	v_subrev_nc_u32_e32 v21, 28, v10
	v_sub_nc_u32_e32 v10, 29, v10
	v_lshlrev_b64 v[21:22], v21, v[11:12]
	v_and_b32_e32 v21, 7, v21
; %bb.2059:                             ;   in Loop: Header=BB342_1056 Depth=1
	s_or_b32 exec_lo, exec_lo, s21
	v_lshlrev_b32_e32 v11, 16, v19
	v_lshlrev_b32_e32 v21, 20, v21
	v_lshl_add_u32 v10, v10, 23, 0x3c000000
	v_and_b32_e32 v11, 0x80000000, v11
	v_or3_b32 v23, v21, v11, v10
.LBB342_2060:                           ;   in Loop: Header=BB342_1056 Depth=1
	s_or_b32 exec_lo, exec_lo, s20
.LBB342_2061:                           ;   in Loop: Header=BB342_1056 Depth=1
	s_or_b32 exec_lo, exec_lo, s19
.LBB342_2062:                           ;   in Loop: Header=BB342_1056 Depth=1
	s_or_b32 exec_lo, exec_lo, s18
	v_and_b32_sdwa v10, v19, v69 dst_sel:DWORD dst_unused:UNUSED_PAD src0_sel:WORD_1 src1_sel:DWORD
	v_mov_b32_e32 v90, 0
	v_mov_b32_e32 v89, 0
	s_mov_b32 s18, exec_lo
	v_cmpx_ne_u16_e32 0, v10
	s_cbranch_execz .LBB342_2070
; %bb.2063:                             ;   in Loop: Header=BB342_1056 Depth=1
	v_bfrev_b32_e32 v89, 1
	s_mov_b32 s19, exec_lo
	v_cmpx_ne_u16_e32 0x80, v10
	s_cbranch_execz .LBB342_2069
; %bb.2064:                             ;   in Loop: Header=BB342_1056 Depth=1
	v_bfe_u32 v91, v19, 16, 7
	v_mov_b32_e32 v89, 0x7f800001
	s_mov_b32 s20, exec_lo
	v_cmpx_ne_u32_e32 0x7f, v91
	s_cbranch_execz .LBB342_2068
; %bb.2065:                             ;   in Loop: Header=BB342_1056 Depth=1
	v_mov_b32_e32 v10, 7
	s_mov_b32 s21, exec_lo
	v_and_b32_sdwa v11, v19, v10 dst_sel:DWORD dst_unused:UNUSED_PAD src0_sel:WORD_1 src1_sel:DWORD
	v_mov_b32_e32 v22, v12
	v_lshrrev_b32_e32 v10, 3, v91
	v_mov_b32_e32 v21, v11
	v_cmpx_gt_u32_e32 8, v91
; %bb.2066:                             ;   in Loop: Header=BB342_1056 Depth=1
	v_ffbh_u32_e32 v10, v11
	v_min_u32_e32 v10, 32, v10
	v_subrev_nc_u32_e32 v21, 28, v10
	v_sub_nc_u32_e32 v10, 29, v10
	v_lshlrev_b64 v[21:22], v21, v[11:12]
	v_and_b32_e32 v21, 7, v21
; %bb.2067:                             ;   in Loop: Header=BB342_1056 Depth=1
	s_or_b32 exec_lo, exec_lo, s21
	v_mov_b32_e32 v11, 24
	v_lshlrev_b32_e32 v21, 20, v21
	v_lshl_add_u32 v10, v10, 23, 0x3c000000
	v_lshlrev_b32_sdwa v11, v11, v19 dst_sel:DWORD dst_unused:UNUSED_PAD src0_sel:DWORD src1_sel:WORD_1
	v_and_b32_e32 v11, 0x80000000, v11
	v_or3_b32 v89, v21, v11, v10
.LBB342_2068:                           ;   in Loop: Header=BB342_1056 Depth=1
	s_or_b32 exec_lo, exec_lo, s20
.LBB342_2069:                           ;   in Loop: Header=BB342_1056 Depth=1
	s_or_b32 exec_lo, exec_lo, s19
.LBB342_2070:                           ;   in Loop: Header=BB342_1056 Depth=1
	s_or_b32 exec_lo, exec_lo, s18
	s_mov_b32 s18, exec_lo
	v_cmpx_lt_u32_e32 0xffffff, v19
	s_cbranch_execz .LBB342_2078
; %bb.2071:                             ;   in Loop: Header=BB342_1056 Depth=1
	v_cmp_ne_u32_sdwa s5, v19, v67 src0_sel:BYTE_3 src1_sel:DWORD
	v_bfrev_b32_e32 v90, 1
	s_and_saveexec_b32 s19, s5
	s_cbranch_execz .LBB342_2077
; %bb.2072:                             ;   in Loop: Header=BB342_1056 Depth=1
	v_bfe_u32 v91, v19, 24, 7
	v_mov_b32_e32 v90, 0x7f800001
	s_mov_b32 s20, exec_lo
	v_cmpx_ne_u32_e32 0x7f, v91
	s_cbranch_execz .LBB342_2076
; %bb.2073:                             ;   in Loop: Header=BB342_1056 Depth=1
	v_mov_b32_e32 v10, 7
	s_mov_b32 s21, exec_lo
	v_and_b32_sdwa v11, v19, v10 dst_sel:DWORD dst_unused:UNUSED_PAD src0_sel:BYTE_3 src1_sel:DWORD
	v_mov_b32_e32 v22, v12
	v_lshrrev_b32_e32 v10, 3, v91
	v_mov_b32_e32 v21, v11
	v_cmpx_gt_u32_e32 8, v91
; %bb.2074:                             ;   in Loop: Header=BB342_1056 Depth=1
	v_ffbh_u32_e32 v10, v11
	v_min_u32_e32 v10, 32, v10
	v_subrev_nc_u32_e32 v21, 28, v10
	v_sub_nc_u32_e32 v10, 29, v10
	v_lshlrev_b64 v[21:22], v21, v[11:12]
	v_and_b32_e32 v21, 7, v21
; %bb.2075:                             ;   in Loop: Header=BB342_1056 Depth=1
	s_or_b32 exec_lo, exec_lo, s21
	v_mov_b32_e32 v11, 24
	v_lshlrev_b32_e32 v21, 20, v21
	v_lshl_add_u32 v10, v10, 23, 0x3c000000
	v_lshlrev_b32_sdwa v11, v11, v19 dst_sel:DWORD dst_unused:UNUSED_PAD src0_sel:DWORD src1_sel:BYTE_3
	v_and_b32_e32 v11, 0x80000000, v11
	v_or3_b32 v90, v21, v11, v10
.LBB342_2076:                           ;   in Loop: Header=BB342_1056 Depth=1
	s_or_b32 exec_lo, exec_lo, s20
.LBB342_2077:                           ;   in Loop: Header=BB342_1056 Depth=1
	s_or_b32 exec_lo, exec_lo, s19
.LBB342_2078:                           ;   in Loop: Header=BB342_1056 Depth=1
	s_or_b32 exec_lo, exec_lo, s18
	v_mov_b32_e32 v11, v20
	v_cmp_ne_u16_sdwa s5, v20, v12 src0_sel:BYTE_0 src1_sel:DWORD
	v_mov_b32_e32 v10, 0
	v_mov_b32_e32 v93, 0
	s_and_saveexec_b32 s18, s5
	s_cbranch_execz .LBB342_2086
; %bb.2079:                             ;   in Loop: Header=BB342_1056 Depth=1
	v_cmp_ne_u16_sdwa s5, v20, v67 src0_sel:BYTE_0 src1_sel:DWORD
	v_bfrev_b32_e32 v93, 1
	s_and_saveexec_b32 s19, s5
	s_cbranch_execz .LBB342_2085
; %bb.2080:                             ;   in Loop: Header=BB342_1056 Depth=1
	v_and_b32_e32 v91, 0x7f, v20
	v_mov_b32_e32 v93, 0x7f800001
	s_mov_b32 s20, exec_lo
	v_cmpx_ne_u32_e32 0x7f, v91
	s_cbranch_execz .LBB342_2084
; %bb.2081:                             ;   in Loop: Header=BB342_1056 Depth=1
	v_mov_b32_e32 v22, v12
	v_mov_b32_e32 v21, v11
	v_lshrrev_b32_e32 v22, 3, v91
	s_mov_b32 s21, exec_lo
	v_cmpx_gt_u32_e32 8, v91
; %bb.2082:                             ;   in Loop: Header=BB342_1056 Depth=1
	v_and_b32_e32 v21, 7, v20
	v_ffbh_u32_e32 v21, v21
	v_min_u32_e32 v32, 32, v21
	v_subrev_nc_u32_e32 v21, 28, v32
	v_lshlrev_b64 v[21:22], v21, v[11:12]
	v_sub_nc_u32_e32 v22, 29, v32
; %bb.2083:                             ;   in Loop: Header=BB342_1056 Depth=1
	s_or_b32 exec_lo, exec_lo, s21
	v_lshlrev_b32_e32 v21, 20, v21
	v_lshlrev_b32_e32 v32, 24, v11
	v_lshl_add_u32 v22, v22, 23, 0x3c000000
	v_and_b32_e32 v21, 0x700000, v21
	v_and_b32_e32 v32, 0x80000000, v32
	v_or3_b32 v93, v21, v32, v22
.LBB342_2084:                           ;   in Loop: Header=BB342_1056 Depth=1
	s_or_b32 exec_lo, exec_lo, s20
.LBB342_2085:                           ;   in Loop: Header=BB342_1056 Depth=1
	s_or_b32 exec_lo, exec_lo, s19
.LBB342_2086:                           ;   in Loop: Header=BB342_1056 Depth=1
	s_or_b32 exec_lo, exec_lo, s18
	v_cmp_ne_u16_sdwa s5, v11, v12 src0_sel:BYTE_1 src1_sel:DWORD
	s_and_saveexec_b32 s18, s5
	s_cbranch_execz .LBB342_2094
; %bb.2087:                             ;   in Loop: Header=BB342_1056 Depth=1
	v_cmp_ne_u16_sdwa s5, v11, v67 src0_sel:BYTE_1 src1_sel:DWORD
	v_bfrev_b32_e32 v10, 1
	s_and_saveexec_b32 s19, s5
	s_cbranch_execz .LBB342_2093
; %bb.2088:                             ;   in Loop: Header=BB342_1056 Depth=1
	v_and_b32_sdwa v21, v94, v11 dst_sel:DWORD dst_unused:UNUSED_PAD src0_sel:DWORD src1_sel:BYTE_1
	v_mov_b32_e32 v10, 0x7f800001
	s_mov_b32 s20, exec_lo
	v_and_b32_e32 v91, 0x7f, v21
	v_cmpx_ne_u32_e32 0x7f, v91
	s_cbranch_execz .LBB342_2092
; %bb.2089:                             ;   in Loop: Header=BB342_1056 Depth=1
	v_and_b32_e32 v21, 7, v21
	v_mov_b32_e32 v22, v12
	v_lshrrev_b32_e32 v10, 3, v91
	s_mov_b32 s21, exec_lo
	v_cmpx_gt_u32_e32 8, v91
; %bb.2090:                             ;   in Loop: Header=BB342_1056 Depth=1
	v_ffbh_u32_e32 v10, v21
	v_min_u32_e32 v10, 32, v10
	v_subrev_nc_u32_e32 v32, 28, v10
	v_sub_nc_u32_e32 v10, 29, v10
	v_lshlrev_b64 v[21:22], v32, v[21:22]
	v_and_b32_e32 v21, 7, v21
; %bb.2091:                             ;   in Loop: Header=BB342_1056 Depth=1
	s_or_b32 exec_lo, exec_lo, s21
	v_lshlrev_b32_e32 v11, 16, v11
	v_lshlrev_b32_e32 v21, 20, v21
	v_lshl_add_u32 v10, v10, 23, 0x3c000000
	v_and_b32_e32 v11, 0x80000000, v11
	v_or3_b32 v10, v21, v11, v10
.LBB342_2092:                           ;   in Loop: Header=BB342_1056 Depth=1
	s_or_b32 exec_lo, exec_lo, s20
.LBB342_2093:                           ;   in Loop: Header=BB342_1056 Depth=1
	s_or_b32 exec_lo, exec_lo, s19
.LBB342_2094:                           ;   in Loop: Header=BB342_1056 Depth=1
	s_or_b32 exec_lo, exec_lo, s18
	v_and_b32_sdwa v11, v20, v69 dst_sel:DWORD dst_unused:UNUSED_PAD src0_sel:WORD_1 src1_sel:DWORD
	v_mov_b32_e32 v91, 0
	v_mov_b32_e32 v92, 0
	s_mov_b32 s18, exec_lo
	v_cmpx_ne_u16_e32 0, v11
	s_cbranch_execz .LBB342_2102
; %bb.2095:                             ;   in Loop: Header=BB342_1056 Depth=1
	v_bfrev_b32_e32 v92, 1
	s_mov_b32 s19, exec_lo
	v_cmpx_ne_u16_e32 0x80, v11
	s_cbranch_execz .LBB342_2101
; %bb.2096:                             ;   in Loop: Header=BB342_1056 Depth=1
	v_bfe_u32 v94, v20, 16, 7
	v_mov_b32_e32 v92, 0x7f800001
	s_mov_b32 s20, exec_lo
	v_cmpx_ne_u32_e32 0x7f, v94
	s_cbranch_execz .LBB342_2100
; %bb.2097:                             ;   in Loop: Header=BB342_1056 Depth=1
	v_mov_b32_e32 v11, 7
	s_mov_b32 s21, exec_lo
	v_and_b32_sdwa v11, v20, v11 dst_sel:DWORD dst_unused:UNUSED_PAD src0_sel:WORD_1 src1_sel:DWORD
	v_mov_b32_e32 v22, v12
	v_lshrrev_b32_e32 v22, 3, v94
	v_mov_b32_e32 v21, v11
	v_cmpx_gt_u32_e32 8, v94
; %bb.2098:                             ;   in Loop: Header=BB342_1056 Depth=1
	v_ffbh_u32_e32 v21, v11
	v_min_u32_e32 v32, 32, v21
	v_subrev_nc_u32_e32 v21, 28, v32
	v_lshlrev_b64 v[21:22], v21, v[11:12]
	v_sub_nc_u32_e32 v22, 29, v32
	v_and_b32_e32 v21, 7, v21
; %bb.2099:                             ;   in Loop: Header=BB342_1056 Depth=1
	s_or_b32 exec_lo, exec_lo, s21
	v_mov_b32_e32 v11, 24
	v_lshlrev_b32_e32 v21, 20, v21
	v_lshl_add_u32 v22, v22, 23, 0x3c000000
	v_lshlrev_b32_sdwa v11, v11, v20 dst_sel:DWORD dst_unused:UNUSED_PAD src0_sel:DWORD src1_sel:WORD_1
	v_and_b32_e32 v11, 0x80000000, v11
	v_or3_b32 v92, v21, v11, v22
.LBB342_2100:                           ;   in Loop: Header=BB342_1056 Depth=1
	s_or_b32 exec_lo, exec_lo, s20
	v_mov_b32_e32 v94, 0xffff
.LBB342_2101:                           ;   in Loop: Header=BB342_1056 Depth=1
	s_or_b32 exec_lo, exec_lo, s19
.LBB342_2102:                           ;   in Loop: Header=BB342_1056 Depth=1
	s_or_b32 exec_lo, exec_lo, s18
	s_mov_b32 s18, exec_lo
	v_cmpx_lt_u64_e64 s[6:7], v[19:20]
	s_cbranch_execz .LBB342_2110
; %bb.2103:                             ;   in Loop: Header=BB342_1056 Depth=1
	v_cmp_ne_u32_sdwa s5, v20, v67 src0_sel:BYTE_3 src1_sel:DWORD
	v_bfrev_b32_e32 v91, 1
	s_and_saveexec_b32 s19, s5
	s_cbranch_execz .LBB342_2109
; %bb.2104:                             ;   in Loop: Header=BB342_1056 Depth=1
	v_bfe_u32 v94, v20, 24, 7
	v_mov_b32_e32 v91, 0x7f800001
	s_mov_b32 s20, exec_lo
	v_cmpx_ne_u32_e32 0x7f, v94
	s_cbranch_execz .LBB342_2108
; %bb.2105:                             ;   in Loop: Header=BB342_1056 Depth=1
	v_mov_b32_e32 v11, 7
	v_lshrrev_b32_e32 v19, 3, v94
	s_mov_b32 s21, exec_lo
	v_and_b32_sdwa v11, v20, v11 dst_sel:DWORD dst_unused:UNUSED_PAD src0_sel:BYTE_3 src1_sel:DWORD
	v_mov_b32_e32 v22, v12
	v_mov_b32_e32 v21, v11
	v_cmpx_gt_u32_e32 8, v94
; %bb.2106:                             ;   in Loop: Header=BB342_1056 Depth=1
	v_ffbh_u32_e32 v19, v11
	v_min_u32_e32 v19, 32, v19
	v_subrev_nc_u32_e32 v21, 28, v19
	v_sub_nc_u32_e32 v19, 29, v19
	v_lshlrev_b64 v[21:22], v21, v[11:12]
	v_and_b32_e32 v21, 7, v21
; %bb.2107:                             ;   in Loop: Header=BB342_1056 Depth=1
	s_or_b32 exec_lo, exec_lo, s21
	v_mov_b32_e32 v11, 24
	v_lshl_add_u32 v19, v19, 23, 0x3c000000
	v_lshlrev_b32_sdwa v11, v11, v20 dst_sel:DWORD dst_unused:UNUSED_PAD src0_sel:DWORD src1_sel:BYTE_3
	v_lshlrev_b32_e32 v20, 20, v21
	v_and_b32_e32 v11, 0x80000000, v11
	v_or3_b32 v91, v20, v11, v19
.LBB342_2108:                           ;   in Loop: Header=BB342_1056 Depth=1
	s_or_b32 exec_lo, exec_lo, s20
	v_mov_b32_e32 v94, 0xffff
.LBB342_2109:                           ;   in Loop: Header=BB342_1056 Depth=1
	s_or_b32 exec_lo, exec_lo, s19
.LBB342_2110:                           ;   in Loop: Header=BB342_1056 Depth=1
	s_or_b32 exec_lo, exec_lo, s18
	v_mul_f32_e32 v10, v64, v10
	v_bfe_u32 v11, v10, 16, 1
	v_or_b32_e32 v19, 0x400000, v10
	v_cmp_u_f32_e64 s5, v10, v10
	v_add3_u32 v11, v11, v10, 0x7fff
	v_cndmask_b32_e64 v10, v11, v19, s5
	v_mul_f32_e32 v11, v64, v93
	v_lshrrev_b32_e32 v10, 16, v10
	v_bfe_u32 v19, v11, 16, 1
	v_or_b32_e32 v20, 0x400000, v11
	v_cmp_u_f32_e64 s5, v11, v11
	v_add3_u32 v19, v19, v11, 0x7fff
	v_cndmask_b32_e64 v11, v19, v20, s5
	v_mul_f32_e32 v19, v64, v90
	v_lshrrev_b32_e32 v11, 16, v11
	v_bfe_u32 v20, v19, 16, 1
	v_or_b32_e32 v21, 0x400000, v19
	v_cmp_u_f32_e64 s5, v19, v19
	v_add3_u32 v20, v20, v19, 0x7fff
	v_cndmask_b32_e64 v19, v20, v21, s5
	v_mul_f32_e32 v20, v64, v89
	v_lshrrev_b32_e32 v19, 16, v19
	v_bfe_u32 v21, v20, 16, 1
	v_or_b32_e32 v22, 0x400000, v20
	v_cmp_u_f32_e64 s5, v20, v20
	v_add3_u32 v21, v21, v20, 0x7fff
	v_cndmask_b32_e64 v20, v21, v22, s5
	v_lshrrev_b32_e32 v21, 16, v20
	v_mul_f32_e32 v20, v64, v23
	v_bfe_u32 v22, v20, 16, 1
	v_or_b32_e32 v23, 0x400000, v20
	v_cmp_u_f32_e64 s5, v20, v20
	v_add3_u32 v22, v22, v20, 0x7fff
	v_cndmask_b32_e64 v20, v22, v23, s5
	v_lshrrev_b32_e32 v23, 16, v20
	v_mul_f32_e32 v20, v64, v24
	;; [unrolled: 7-line block ×3, first 2 shown]
	v_bfe_u32 v22, v20, 16, 1
	v_or_b32_e32 v32, 0x400000, v20
	v_cmp_u_f32_e64 s5, v20, v20
	v_add3_u32 v22, v22, v20, 0x7fff
	v_cndmask_b32_e64 v20, v22, v32, s5
	v_mul_f32_e32 v22, v64, v91
	v_lshrrev_b32_e32 v20, 16, v20
	v_bfe_u32 v32, v22, 16, 1
	v_or_b32_e32 v89, 0x400000, v22
	v_cmp_u_f32_e64 s5, v22, v22
	v_add3_u32 v32, v32, v22, 0x7fff
	v_cndmask_b32_e64 v22, v32, v89, s5
	v_lshrrev_b32_e32 v22, 16, v22
	s_and_saveexec_b32 s5, vcc_lo
	s_cbranch_execz .LBB342_1055
; %bb.2111:                             ;   in Loop: Header=BB342_1056 Depth=1
	buffer_load_dword v32, off, s[0:3], s32 offset:196 ; 4-byte Folded Reload
	s_waitcnt vmcnt(0)
	v_cmp_lt_i32_e32 vcc_lo, v57, v32
	v_cndmask_b32_e32 v24, 0, v24, vcc_lo
	v_cmp_lt_i32_e32 vcc_lo, v63, v32
	v_cndmask_b32_e32 v23, 0, v23, vcc_lo
	;; [unrolled: 2-line block ×8, first 2 shown]
	s_branch .LBB342_1055
.LBB342_2112:
	s_or_b32 exec_lo, exec_lo, s15
	s_clause 0x1
	buffer_load_dword v12, off, s[0:3], s32 offset:408
	buffer_load_dword v13, off, s[0:3], s32 offset:412
	v_mov_b32_e32 v4, s16
	v_mov_b32_e32 v5, s17
.LBB342_2113:
	s_or_b32 exec_lo, exec_lo, s8
	s_waitcnt vmcnt(0)
	s_waitcnt_vscnt null, 0x0
	s_barrier
	buffer_gl0_inv
	buffer_load_dword v8, off, s[0:3], s32 offset:852 ; 4-byte Folded Reload
	v_lshlrev_b64 v[0:1], 2, v[4:5]
	s_getpc_b64 s[6:7]
	s_add_u32 s6, s6, llvm.amdgcn.dynlds.offset.table@rel32@lo+4
	s_addc_u32 s7, s7, llvm.amdgcn.dynlds.offset.table@rel32@hi+12
	ds_bpermute_b32 v2, v13, v54
	ds_bpermute_b32 v3, v13, v52
	;; [unrolled: 1-line block ×4, first 2 shown]
	v_add_co_u32 v0, vcc_lo, s6, v0
	v_add_co_ci_u32_e64 v1, null, s7, v1, vcc_lo
	ds_bpermute_b32 v6, v13, v49
	ds_bpermute_b32 v7, v13, v48
	;; [unrolled: 1-line block ×3, first 2 shown]
	global_load_dword v16, v[0:1], off
	ds_bpermute_b32 v0, v13, v53
	ds_bpermute_b32 v1, v13, v55
	;; [unrolled: 1-line block ×9, first 2 shown]
	v_lshrrev_b32_e32 v18, 1, v12
	s_waitcnt lgkmcnt(15)
	v_add_f32_e32 v13, v54, v2
	s_waitcnt lgkmcnt(14)
	v_add_f32_e32 v12, v52, v3
	;; [unrolled: 2-line block ×4, first 2 shown]
	s_mov_b32 s5, exec_lo
	s_waitcnt lgkmcnt(11)
	v_add_f32_e32 v9, v49, v6
	s_waitcnt lgkmcnt(8)
	v_add_f32_e32 v15, v53, v0
	s_waitcnt lgkmcnt(7)
	v_add_f32_e32 v14, v55, v1
	s_waitcnt lgkmcnt(6)
	v_add_f32_e32 v6, v38, v20
	s_waitcnt lgkmcnt(5)
	v_add_f32_e32 v5, v37, v21
	s_waitcnt lgkmcnt(4)
	v_add_f32_e32 v4, v36, v22
	s_waitcnt lgkmcnt(3)
	v_add_f32_e32 v3, v35, v23
	s_waitcnt lgkmcnt(2)
	v_add_f32_e32 v2, v34, v24
	s_waitcnt lgkmcnt(1)
	v_add_f32_e32 v1, v27, v25
	s_waitcnt lgkmcnt(0)
	v_add_f32_e32 v0, v26, v28
	s_waitcnt vmcnt(1)
	v_lshlrev_b32_e32 v19, 10, v8
	buffer_load_dword v8, off, s[0:3], s32 offset:840 ; 4-byte Folded Reload
	s_waitcnt vmcnt(0)
	v_and_b32_e32 v29, 0x3c1, v8
	v_add_f32_e32 v8, v48, v7
	v_add_f32_e32 v7, v39, v17
	v_lshl_add_u32 v17, v18, 2, v16
	v_cmpx_eq_u32_e32 64, v29
	s_cbranch_execz .LBB342_2115
; %bb.2114:
	v_add_nc_u32_e32 v20, v17, v19
	v_add_nc_u32_e32 v21, 0xfffff800, v20
	;; [unrolled: 1-line block ×7, first 2 shown]
	ds_write_b32 v21, v15
	ds_write_b32 v22, v14
	;; [unrolled: 1-line block ×6, first 2 shown]
	v_add_nc_u32_e32 v21, 0xfffff980, v20
	v_add_nc_u32_e32 v22, 0xfffff9c0, v20
	;; [unrolled: 1-line block ×5, first 2 shown]
	ds_write_b32 v21, v9
	ds_write_b32 v22, v8
	ds_write_b32 v23, v7
	ds_write_b32 v24, v6
	ds_write_b32 v25, v5
	v_add_nc_u32_e32 v21, 0xfffffac0, v20
	v_add_nc_u32_e32 v22, 0xfffffb00, v20
	;; [unrolled: 1-line block ×5, first 2 shown]
	ds_write_b32 v21, v4
	ds_write_b32 v22, v3
	;; [unrolled: 1-line block ×5, first 2 shown]
.LBB342_2115:
	s_or_b32 exec_lo, exec_lo, s5
	buffer_load_dword v20, off, s[0:3], s32 offset:856 ; 4-byte Folded Reload
	v_lshlrev_b32_e32 v18, 2, v18
	s_waitcnt vmcnt(0) lgkmcnt(0)
	s_barrier
	buffer_gl0_inv
	v_add3_u32 v16, v16, v19, v18
	v_cmp_eq_u32_e32 vcc_lo, 0, v20
	s_and_saveexec_b32 s5, s4
	s_cbranch_execz .LBB342_2134
; %bb.2116:
	s_and_saveexec_b32 s4, vcc_lo
	s_cbranch_execnz .LBB342_2158
; %bb.2117:
	s_or_b32 exec_lo, exec_lo, s4
	s_and_saveexec_b32 s4, vcc_lo
	s_cbranch_execnz .LBB342_2159
.LBB342_2118:
	s_or_b32 exec_lo, exec_lo, s4
	s_and_saveexec_b32 s4, vcc_lo
	s_cbranch_execnz .LBB342_2160
.LBB342_2119:
	s_or_b32 exec_lo, exec_lo, s4
	s_and_saveexec_b32 s4, vcc_lo
	s_cbranch_execnz .LBB342_2161
.LBB342_2120:
	s_or_b32 exec_lo, exec_lo, s4
	s_and_saveexec_b32 s4, vcc_lo
	s_cbranch_execnz .LBB342_2162
.LBB342_2121:
	s_or_b32 exec_lo, exec_lo, s4
	s_and_saveexec_b32 s4, vcc_lo
	s_cbranch_execnz .LBB342_2163
.LBB342_2122:
	s_or_b32 exec_lo, exec_lo, s4
	s_and_saveexec_b32 s4, vcc_lo
	s_cbranch_execnz .LBB342_2164
.LBB342_2123:
	s_or_b32 exec_lo, exec_lo, s4
	s_and_saveexec_b32 s4, vcc_lo
	s_cbranch_execnz .LBB342_2165
.LBB342_2124:
	s_or_b32 exec_lo, exec_lo, s4
	s_and_saveexec_b32 s4, vcc_lo
	s_cbranch_execnz .LBB342_2166
.LBB342_2125:
	s_or_b32 exec_lo, exec_lo, s4
	s_and_saveexec_b32 s4, vcc_lo
	s_cbranch_execnz .LBB342_2167
.LBB342_2126:
	s_or_b32 exec_lo, exec_lo, s4
	s_and_saveexec_b32 s4, vcc_lo
	s_cbranch_execnz .LBB342_2168
.LBB342_2127:
	s_or_b32 exec_lo, exec_lo, s4
	s_and_saveexec_b32 s4, vcc_lo
	s_cbranch_execnz .LBB342_2169
.LBB342_2128:
	s_or_b32 exec_lo, exec_lo, s4
	s_and_saveexec_b32 s4, vcc_lo
	s_cbranch_execnz .LBB342_2170
.LBB342_2129:
	s_or_b32 exec_lo, exec_lo, s4
	s_and_saveexec_b32 s4, vcc_lo
	s_cbranch_execnz .LBB342_2171
.LBB342_2130:
	s_or_b32 exec_lo, exec_lo, s4
	s_and_saveexec_b32 s4, vcc_lo
	s_cbranch_execnz .LBB342_2172
.LBB342_2131:
	s_or_b32 exec_lo, exec_lo, s4
	s_and_saveexec_b32 s4, vcc_lo
	s_cbranch_execz .LBB342_2133
.LBB342_2132:
	ds_read_b32 v18, v16 offset:960
	s_waitcnt lgkmcnt(0)
	v_add_f32_e32 v0, v18, v0
.LBB342_2133:
	s_or_b32 exec_lo, exec_lo, s4
.LBB342_2134:
	s_or_b32 exec_lo, exec_lo, s5
	buffer_load_dword v18, off, s[0:3], s32 offset:840 ; 4-byte Folded Reload
	s_mov_b32 s5, exec_lo
	s_waitcnt vmcnt(0)
	s_barrier
	buffer_gl0_inv
	v_and_b32_e32 v18, 0x3e1, v18
	v_cmpx_eq_u32_e32 32, v18
	s_cbranch_execz .LBB342_2136
; %bb.2135:
	ds_write2_b32 v17, v15, v14 offset1:16
	ds_write2_b32 v17, v13, v12 offset0:32 offset1:48
	ds_write2_b32 v17, v11, v10 offset0:64 offset1:80
	;; [unrolled: 1-line block ×7, first 2 shown]
.LBB342_2136:
	s_or_b32 exec_lo, exec_lo, s5
	buffer_load_dword v17, off, s[0:3], s32 offset:840 ; 4-byte Folded Reload
	s_mov_b32 s5, exec_lo
	s_waitcnt vmcnt(0) lgkmcnt(0)
	s_barrier
	buffer_gl0_inv
	v_cmpx_gt_u32_e32 32, v17
	s_cbranch_execz .LBB342_2155
; %bb.2137:
	s_and_saveexec_b32 s4, vcc_lo
	s_cbranch_execnz .LBB342_2173
; %bb.2138:
	s_or_b32 exec_lo, exec_lo, s4
	s_and_saveexec_b32 s4, vcc_lo
	s_cbranch_execnz .LBB342_2174
.LBB342_2139:
	s_or_b32 exec_lo, exec_lo, s4
	s_and_saveexec_b32 s4, vcc_lo
	s_cbranch_execnz .LBB342_2175
.LBB342_2140:
	s_or_b32 exec_lo, exec_lo, s4
	s_and_saveexec_b32 s4, vcc_lo
	s_cbranch_execnz .LBB342_2176
.LBB342_2141:
	s_or_b32 exec_lo, exec_lo, s4
	s_and_saveexec_b32 s4, vcc_lo
	s_cbranch_execnz .LBB342_2177
.LBB342_2142:
	s_or_b32 exec_lo, exec_lo, s4
	s_and_saveexec_b32 s4, vcc_lo
	s_cbranch_execnz .LBB342_2178
.LBB342_2143:
	s_or_b32 exec_lo, exec_lo, s4
	s_and_saveexec_b32 s4, vcc_lo
	s_cbranch_execnz .LBB342_2179
.LBB342_2144:
	s_or_b32 exec_lo, exec_lo, s4
	s_and_saveexec_b32 s4, vcc_lo
	s_cbranch_execnz .LBB342_2180
.LBB342_2145:
	s_or_b32 exec_lo, exec_lo, s4
	s_and_saveexec_b32 s4, vcc_lo
	s_cbranch_execnz .LBB342_2181
.LBB342_2146:
	s_or_b32 exec_lo, exec_lo, s4
	s_and_saveexec_b32 s4, vcc_lo
	s_cbranch_execnz .LBB342_2182
.LBB342_2147:
	s_or_b32 exec_lo, exec_lo, s4
	s_and_saveexec_b32 s4, vcc_lo
	s_cbranch_execnz .LBB342_2183
.LBB342_2148:
	s_or_b32 exec_lo, exec_lo, s4
	s_and_saveexec_b32 s4, vcc_lo
	s_cbranch_execnz .LBB342_2184
.LBB342_2149:
	s_or_b32 exec_lo, exec_lo, s4
	s_and_saveexec_b32 s4, vcc_lo
	s_cbranch_execnz .LBB342_2185
.LBB342_2150:
	s_or_b32 exec_lo, exec_lo, s4
	s_and_saveexec_b32 s4, vcc_lo
	s_cbranch_execnz .LBB342_2186
.LBB342_2151:
	s_or_b32 exec_lo, exec_lo, s4
	s_and_saveexec_b32 s4, vcc_lo
	s_cbranch_execnz .LBB342_2187
.LBB342_2152:
	s_or_b32 exec_lo, exec_lo, s4
	s_and_saveexec_b32 s4, vcc_lo
	s_cbranch_execz .LBB342_2154
.LBB342_2153:
	ds_read_b32 v16, v16 offset:960
	s_waitcnt lgkmcnt(0)
	v_add_f32_e32 v0, v16, v0
.LBB342_2154:
	s_or_b32 exec_lo, exec_lo, s4
.LBB342_2155:
	s_or_b32 exec_lo, exec_lo, s5
	s_mov_b32 s4, exec_lo
	s_barrier
	buffer_gl0_inv
	v_cmpx_eq_u32_e32 0, v18
	s_cbranch_execz .LBB342_2157
; %bb.2156:
	s_clause 0x2
	buffer_load_dword v19, off, s[0:3], s32 offset:900
	buffer_load_dword v16, off, s[0:3], s32 offset:864
	;; [unrolled: 1-line block ×3, first 2 shown]
	s_and_b32 s5, 0xffff, s9
	v_bfe_u32 v17, v15, 16, 1
	s_cmp_lg_u32 s5, 0
	v_or_b32_e32 v18, 0x400000, v15
	s_cselect_b32 s5, -1, 0
	s_cmp_lg_u32 s5, 0
	v_add3_u32 v21, v17, v15, 0x7fff
	s_addc_u32 s5, s13, 0
	s_lshl_b32 s6, s14, 8
	s_mul_i32 s7, s10, s5
	s_mul_i32 s8, s12, s5
	;; [unrolled: 1-line block ×3, first 2 shown]
	s_ashr_i32 s9, s8, 31
	s_lshl_b32 s10, s7, 8
	s_lshl_b64 s[8:9], s[8:9], 1
	s_ashr_i32 s11, s10, 31
	s_ashr_i32 s7, s6, 31
	s_lshl_b64 s[10:11], s[10:11], 1
	s_lshl_b64 s[6:7], s[6:7], 1
	s_waitcnt vmcnt(2)
	v_add_co_u32 v19, vcc_lo, v19, s10
	s_waitcnt vmcnt(0)
	v_add_co_ci_u32_e64 v20, null, s11, v20, vcc_lo
	v_lshlrev_b32_e32 v16, 1, v16
	v_add_co_u32 v19, vcc_lo, v19, s8
	v_add_co_ci_u32_e64 v20, null, s9, v20, vcc_lo
	v_add_co_u32 v19, vcc_lo, v19, s6
	v_add_co_ci_u32_e64 v20, null, s7, v20, vcc_lo
	;; [unrolled: 2-line block ×3, first 2 shown]
	v_bfe_u32 v19, v14, 16, 1
	v_cmp_u_f32_e32 vcc_lo, v15, v15
	v_or_b32_e32 v20, 0x400000, v14
	v_add3_u32 v19, v19, v14, 0x7fff
	v_cndmask_b32_e32 v15, v21, v18, vcc_lo
	v_bfe_u32 v18, v13, 16, 1
	v_cmp_u_f32_e32 vcc_lo, v14, v14
	flat_store_short_d16_hi v[16:17], v15
	v_add3_u32 v15, v18, v13, 0x7fff
	v_or_b32_e32 v18, 0x400000, v13
	v_cndmask_b32_e32 v14, v19, v20, vcc_lo
	v_bfe_u32 v19, v12, 16, 1
	v_cmp_u_f32_e32 vcc_lo, v13, v13
	flat_store_short_d16_hi v[16:17], v14 offset:32
	v_add3_u32 v14, v19, v12, 0x7fff
	v_cndmask_b32_e32 v13, v15, v18, vcc_lo
	v_bfe_u32 v15, v11, 16, 1
	v_or_b32_e32 v18, 0x400000, v12
	v_cmp_u_f32_e32 vcc_lo, v12, v12
	flat_store_short_d16_hi v[16:17], v13 offset:64
	v_add3_u32 v13, v15, v11, 0x7fff
	v_or_b32_e32 v15, 0x400000, v11
	v_cndmask_b32_e32 v12, v14, v18, vcc_lo
	v_bfe_u32 v14, v10, 16, 1
	v_cmp_u_f32_e32 vcc_lo, v11, v11
	flat_store_short_d16_hi v[16:17], v12 offset:96
	v_add3_u32 v12, v14, v10, 0x7fff
	v_cndmask_b32_e32 v11, v13, v15, vcc_lo
	v_bfe_u32 v13, v9, 16, 1
	v_or_b32_e32 v14, 0x400000, v10
	v_cmp_u_f32_e32 vcc_lo, v10, v10
	flat_store_short_d16_hi v[16:17], v11 offset:128
	;; [unrolled: 12-line block ×4, first 2 shown]
	v_add3_u32 v7, v9, v5, 0x7fff
	v_or_b32_e32 v9, 0x400000, v5
	v_cndmask_b32_e32 v6, v8, v10, vcc_lo
	v_bfe_u32 v8, v4, 16, 1
	v_cmp_u_f32_e32 vcc_lo, v5, v5
	v_or_b32_e32 v10, 0x400000, v0
	flat_store_short_d16_hi v[16:17], v6 offset:288
	v_add3_u32 v6, v8, v4, 0x7fff
	v_cndmask_b32_e32 v5, v7, v9, vcc_lo
	v_bfe_u32 v7, v3, 16, 1
	v_or_b32_e32 v8, 0x400000, v4
	v_cmp_u_f32_e32 vcc_lo, v4, v4
	v_or_b32_e32 v9, 0x400000, v1
	flat_store_short_d16_hi v[16:17], v5 offset:320
	v_add3_u32 v5, v7, v3, 0x7fff
	v_or_b32_e32 v7, 0x400000, v3
	v_cndmask_b32_e32 v4, v6, v8, vcc_lo
	v_bfe_u32 v6, v2, 16, 1
	v_cmp_u_f32_e32 vcc_lo, v3, v3
	v_bfe_u32 v8, v1, 16, 1
	v_add3_u32 v6, v6, v2, 0x7fff
	v_cndmask_b32_e32 v3, v5, v7, vcc_lo
	v_or_b32_e32 v7, 0x400000, v2
	v_cmp_u_f32_e32 vcc_lo, v2, v2
	v_bfe_u32 v5, v0, 16, 1
	v_add3_u32 v8, v8, v1, 0x7fff
	v_cndmask_b32_e32 v2, v6, v7, vcc_lo
	v_cmp_u_f32_e32 vcc_lo, v1, v1
	v_add3_u32 v5, v5, v0, 0x7fff
	v_cndmask_b32_e32 v1, v8, v9, vcc_lo
	v_cmp_u_f32_e32 vcc_lo, v0, v0
	v_cndmask_b32_e32 v0, v5, v10, vcc_lo
	flat_store_short_d16_hi v[16:17], v4 offset:352
	flat_store_short_d16_hi v[16:17], v3 offset:384
	flat_store_short_d16_hi v[16:17], v2 offset:416
	flat_store_short_d16_hi v[16:17], v1 offset:448
	flat_store_short_d16_hi v[16:17], v0 offset:480
.LBB342_2157:
	s_or_b32 exec_lo, exec_lo, s4
	s_clause 0x2f
	buffer_load_dword v127, off, s[0:3], s32
	buffer_load_dword v126, off, s[0:3], s32 offset:4
	buffer_load_dword v125, off, s[0:3], s32 offset:8
	;; [unrolled: 1-line block ×47, first 2 shown]
	s_waitcnt vmcnt(0) lgkmcnt(0)
	s_setpc_b64 s[30:31]
.LBB342_2158:
	ds_read_b32 v18, v16
	s_waitcnt lgkmcnt(0)
	v_add_f32_e32 v15, v18, v15
	s_or_b32 exec_lo, exec_lo, s4
	s_and_saveexec_b32 s4, vcc_lo
	s_cbranch_execz .LBB342_2118
.LBB342_2159:
	ds_read_b32 v18, v16 offset:64
	s_waitcnt lgkmcnt(0)
	v_add_f32_e32 v14, v18, v14
	s_or_b32 exec_lo, exec_lo, s4
	s_and_saveexec_b32 s4, vcc_lo
	s_cbranch_execz .LBB342_2119
.LBB342_2160:
	ds_read_b32 v18, v16 offset:128
	s_waitcnt lgkmcnt(0)
	v_add_f32_e32 v13, v18, v13
	s_or_b32 exec_lo, exec_lo, s4
	s_and_saveexec_b32 s4, vcc_lo
	s_cbranch_execz .LBB342_2120
.LBB342_2161:
	ds_read_b32 v18, v16 offset:192
	s_waitcnt lgkmcnt(0)
	v_add_f32_e32 v12, v18, v12
	s_or_b32 exec_lo, exec_lo, s4
	s_and_saveexec_b32 s4, vcc_lo
	s_cbranch_execz .LBB342_2121
.LBB342_2162:
	ds_read_b32 v18, v16 offset:256
	s_waitcnt lgkmcnt(0)
	v_add_f32_e32 v11, v18, v11
	s_or_b32 exec_lo, exec_lo, s4
	s_and_saveexec_b32 s4, vcc_lo
	s_cbranch_execz .LBB342_2122
.LBB342_2163:
	ds_read_b32 v18, v16 offset:320
	s_waitcnt lgkmcnt(0)
	v_add_f32_e32 v10, v18, v10
	s_or_b32 exec_lo, exec_lo, s4
	s_and_saveexec_b32 s4, vcc_lo
	s_cbranch_execz .LBB342_2123
.LBB342_2164:
	ds_read_b32 v18, v16 offset:384
	s_waitcnt lgkmcnt(0)
	v_add_f32_e32 v9, v18, v9
	s_or_b32 exec_lo, exec_lo, s4
	s_and_saveexec_b32 s4, vcc_lo
	s_cbranch_execz .LBB342_2124
.LBB342_2165:
	ds_read_b32 v18, v16 offset:448
	s_waitcnt lgkmcnt(0)
	v_add_f32_e32 v8, v18, v8
	s_or_b32 exec_lo, exec_lo, s4
	s_and_saveexec_b32 s4, vcc_lo
	s_cbranch_execz .LBB342_2125
.LBB342_2166:
	ds_read_b32 v18, v16 offset:512
	s_waitcnt lgkmcnt(0)
	v_add_f32_e32 v7, v18, v7
	s_or_b32 exec_lo, exec_lo, s4
	s_and_saveexec_b32 s4, vcc_lo
	s_cbranch_execz .LBB342_2126
.LBB342_2167:
	ds_read_b32 v18, v16 offset:576
	s_waitcnt lgkmcnt(0)
	v_add_f32_e32 v6, v18, v6
	s_or_b32 exec_lo, exec_lo, s4
	s_and_saveexec_b32 s4, vcc_lo
	s_cbranch_execz .LBB342_2127
.LBB342_2168:
	ds_read_b32 v18, v16 offset:640
	s_waitcnt lgkmcnt(0)
	v_add_f32_e32 v5, v18, v5
	s_or_b32 exec_lo, exec_lo, s4
	s_and_saveexec_b32 s4, vcc_lo
	s_cbranch_execz .LBB342_2128
.LBB342_2169:
	ds_read_b32 v18, v16 offset:704
	s_waitcnt lgkmcnt(0)
	v_add_f32_e32 v4, v18, v4
	s_or_b32 exec_lo, exec_lo, s4
	s_and_saveexec_b32 s4, vcc_lo
	s_cbranch_execz .LBB342_2129
.LBB342_2170:
	ds_read_b32 v18, v16 offset:768
	s_waitcnt lgkmcnt(0)
	v_add_f32_e32 v3, v18, v3
	s_or_b32 exec_lo, exec_lo, s4
	s_and_saveexec_b32 s4, vcc_lo
	s_cbranch_execz .LBB342_2130
.LBB342_2171:
	ds_read_b32 v18, v16 offset:832
	s_waitcnt lgkmcnt(0)
	v_add_f32_e32 v2, v18, v2
	s_or_b32 exec_lo, exec_lo, s4
	s_and_saveexec_b32 s4, vcc_lo
	s_cbranch_execz .LBB342_2131
.LBB342_2172:
	ds_read_b32 v18, v16 offset:896
	s_waitcnt lgkmcnt(0)
	v_add_f32_e32 v1, v18, v1
	s_or_b32 exec_lo, exec_lo, s4
	s_and_saveexec_b32 s4, vcc_lo
	s_cbranch_execnz .LBB342_2132
	s_branch .LBB342_2133
.LBB342_2173:
	ds_read_b32 v17, v16
	s_waitcnt lgkmcnt(0)
	v_add_f32_e32 v15, v17, v15
	s_or_b32 exec_lo, exec_lo, s4
	s_and_saveexec_b32 s4, vcc_lo
	s_cbranch_execz .LBB342_2139
.LBB342_2174:
	ds_read_b32 v17, v16 offset:64
	s_waitcnt lgkmcnt(0)
	v_add_f32_e32 v14, v17, v14
	s_or_b32 exec_lo, exec_lo, s4
	s_and_saveexec_b32 s4, vcc_lo
	s_cbranch_execz .LBB342_2140
.LBB342_2175:
	ds_read_b32 v17, v16 offset:128
	s_waitcnt lgkmcnt(0)
	v_add_f32_e32 v13, v17, v13
	s_or_b32 exec_lo, exec_lo, s4
	s_and_saveexec_b32 s4, vcc_lo
	s_cbranch_execz .LBB342_2141
.LBB342_2176:
	ds_read_b32 v17, v16 offset:192
	s_waitcnt lgkmcnt(0)
	v_add_f32_e32 v12, v17, v12
	s_or_b32 exec_lo, exec_lo, s4
	s_and_saveexec_b32 s4, vcc_lo
	s_cbranch_execz .LBB342_2142
.LBB342_2177:
	ds_read_b32 v17, v16 offset:256
	s_waitcnt lgkmcnt(0)
	v_add_f32_e32 v11, v17, v11
	s_or_b32 exec_lo, exec_lo, s4
	s_and_saveexec_b32 s4, vcc_lo
	s_cbranch_execz .LBB342_2143
.LBB342_2178:
	ds_read_b32 v17, v16 offset:320
	s_waitcnt lgkmcnt(0)
	v_add_f32_e32 v10, v17, v10
	s_or_b32 exec_lo, exec_lo, s4
	s_and_saveexec_b32 s4, vcc_lo
	s_cbranch_execz .LBB342_2144
.LBB342_2179:
	ds_read_b32 v17, v16 offset:384
	s_waitcnt lgkmcnt(0)
	v_add_f32_e32 v9, v17, v9
	s_or_b32 exec_lo, exec_lo, s4
	s_and_saveexec_b32 s4, vcc_lo
	s_cbranch_execz .LBB342_2145
.LBB342_2180:
	ds_read_b32 v17, v16 offset:448
	s_waitcnt lgkmcnt(0)
	v_add_f32_e32 v8, v17, v8
	s_or_b32 exec_lo, exec_lo, s4
	s_and_saveexec_b32 s4, vcc_lo
	s_cbranch_execz .LBB342_2146
.LBB342_2181:
	ds_read_b32 v17, v16 offset:512
	s_waitcnt lgkmcnt(0)
	v_add_f32_e32 v7, v17, v7
	s_or_b32 exec_lo, exec_lo, s4
	s_and_saveexec_b32 s4, vcc_lo
	s_cbranch_execz .LBB342_2147
.LBB342_2182:
	ds_read_b32 v17, v16 offset:576
	s_waitcnt lgkmcnt(0)
	v_add_f32_e32 v6, v17, v6
	s_or_b32 exec_lo, exec_lo, s4
	s_and_saveexec_b32 s4, vcc_lo
	s_cbranch_execz .LBB342_2148
.LBB342_2183:
	ds_read_b32 v17, v16 offset:640
	s_waitcnt lgkmcnt(0)
	v_add_f32_e32 v5, v17, v5
	s_or_b32 exec_lo, exec_lo, s4
	s_and_saveexec_b32 s4, vcc_lo
	s_cbranch_execz .LBB342_2149
.LBB342_2184:
	ds_read_b32 v17, v16 offset:704
	s_waitcnt lgkmcnt(0)
	v_add_f32_e32 v4, v17, v4
	s_or_b32 exec_lo, exec_lo, s4
	s_and_saveexec_b32 s4, vcc_lo
	s_cbranch_execz .LBB342_2150
.LBB342_2185:
	ds_read_b32 v17, v16 offset:768
	s_waitcnt lgkmcnt(0)
	v_add_f32_e32 v3, v17, v3
	s_or_b32 exec_lo, exec_lo, s4
	s_and_saveexec_b32 s4, vcc_lo
	s_cbranch_execz .LBB342_2151
.LBB342_2186:
	ds_read_b32 v17, v16 offset:832
	s_waitcnt lgkmcnt(0)
	v_add_f32_e32 v2, v17, v2
	s_or_b32 exec_lo, exec_lo, s4
	s_and_saveexec_b32 s4, vcc_lo
	s_cbranch_execz .LBB342_2152
.LBB342_2187:
	ds_read_b32 v17, v16 offset:896
	s_waitcnt lgkmcnt(0)
	v_add_f32_e32 v1, v17, v1
	s_or_b32 exec_lo, exec_lo, s4
	s_and_saveexec_b32 s4, vcc_lo
	s_cbranch_execnz .LBB342_2153
	s_branch .LBB342_2154
.Lfunc_end342:
	.size	_ZN4vllm22paged_attention_kernelI14__hip_bfloat16hLi256ELi16ELi128ELNS_18Fp8KVCacheDataTypeE1ELb0ELi0EEEvPfS3_PT_PKS4_PKT0_SA_ifPKiSC_iPKfiiiSE_SE_iiiii, .Lfunc_end342-_ZN4vllm22paged_attention_kernelI14__hip_bfloat16hLi256ELi16ELi128ELNS_18Fp8KVCacheDataTypeE1ELb0ELi0EEEvPfS3_PT_PKS4_PKT0_SA_ifPKiSC_iPKfiiiSE_SE_iiiii
                                        ; -- End function
	.set .L_ZN4vllm22paged_attention_kernelI14__hip_bfloat16hLi256ELi16ELi128ELNS_18Fp8KVCacheDataTypeE1ELb0ELi0EEEvPfS3_PT_PKS4_PKT0_SA_ifPKiSC_iPKfiiiSE_SE_iiiii.num_vgpr, 128
	.set .L_ZN4vllm22paged_attention_kernelI14__hip_bfloat16hLi256ELi16ELi128ELNS_18Fp8KVCacheDataTypeE1ELb0ELi0EEEvPfS3_PT_PKS4_PKT0_SA_ifPKiSC_iPKfiiiSE_SE_iiiii.num_agpr, 0
	.set .L_ZN4vllm22paged_attention_kernelI14__hip_bfloat16hLi256ELi16ELi128ELNS_18Fp8KVCacheDataTypeE1ELb0ELi0EEEvPfS3_PT_PKS4_PKT0_SA_ifPKiSC_iPKfiiiSE_SE_iiiii.numbered_sgpr, 33
	.set .L_ZN4vllm22paged_attention_kernelI14__hip_bfloat16hLi256ELi16ELi128ELNS_18Fp8KVCacheDataTypeE1ELb0ELi0EEEvPfS3_PT_PKS4_PKT0_SA_ifPKiSC_iPKfiiiSE_SE_iiiii.num_named_barrier, 0
	.set .L_ZN4vllm22paged_attention_kernelI14__hip_bfloat16hLi256ELi16ELi128ELNS_18Fp8KVCacheDataTypeE1ELb0ELi0EEEvPfS3_PT_PKS4_PKT0_SA_ifPKiSC_iPKfiiiSE_SE_iiiii.private_seg_size, 932
	.set .L_ZN4vllm22paged_attention_kernelI14__hip_bfloat16hLi256ELi16ELi128ELNS_18Fp8KVCacheDataTypeE1ELb0ELi0EEEvPfS3_PT_PKS4_PKT0_SA_ifPKiSC_iPKfiiiSE_SE_iiiii.uses_vcc, 1
	.set .L_ZN4vllm22paged_attention_kernelI14__hip_bfloat16hLi256ELi16ELi128ELNS_18Fp8KVCacheDataTypeE1ELb0ELi0EEEvPfS3_PT_PKS4_PKT0_SA_ifPKiSC_iPKfiiiSE_SE_iiiii.uses_flat_scratch, 0
	.set .L_ZN4vllm22paged_attention_kernelI14__hip_bfloat16hLi256ELi16ELi128ELNS_18Fp8KVCacheDataTypeE1ELb0ELi0EEEvPfS3_PT_PKS4_PKT0_SA_ifPKiSC_iPKfiiiSE_SE_iiiii.has_dyn_sized_stack, 0
	.set .L_ZN4vllm22paged_attention_kernelI14__hip_bfloat16hLi256ELi16ELi128ELNS_18Fp8KVCacheDataTypeE1ELb0ELi0EEEvPfS3_PT_PKS4_PKT0_SA_ifPKiSC_iPKfiiiSE_SE_iiiii.has_recursion, 0
	.set .L_ZN4vllm22paged_attention_kernelI14__hip_bfloat16hLi256ELi16ELi128ELNS_18Fp8KVCacheDataTypeE1ELb0ELi0EEEvPfS3_PT_PKS4_PKT0_SA_ifPKiSC_iPKfiiiSE_SE_iiiii.has_indirect_call, 0
	.section	.AMDGPU.csdata,"",@progbits
; Function info:
; codeLenInByte = 88576
; TotalNumSgprs: 35
; NumVgprs: 128
; ScratchSize: 932
; MemoryBound: 0
	.section	.text._ZN4vllm25paged_attention_v1_kernelI14__hip_bfloat16hLi256ELi16ELi128ELNS_18Fp8KVCacheDataTypeE1ELb0EEEvPT_PKS3_PKT0_S9_ifPKiSB_iPKfiiiSD_SD_iiiii,"axG",@progbits,_ZN4vllm25paged_attention_v1_kernelI14__hip_bfloat16hLi256ELi16ELi128ELNS_18Fp8KVCacheDataTypeE1ELb0EEEvPT_PKS3_PKT0_S9_ifPKiSB_iPKfiiiSD_SD_iiiii,comdat
	.protected	_ZN4vllm25paged_attention_v1_kernelI14__hip_bfloat16hLi256ELi16ELi128ELNS_18Fp8KVCacheDataTypeE1ELb0EEEvPT_PKS3_PKT0_S9_ifPKiSB_iPKfiiiSD_SD_iiiii ; -- Begin function _ZN4vllm25paged_attention_v1_kernelI14__hip_bfloat16hLi256ELi16ELi128ELNS_18Fp8KVCacheDataTypeE1ELb0EEEvPT_PKS3_PKT0_S9_ifPKiSB_iPKfiiiSD_SD_iiiii
	.globl	_ZN4vllm25paged_attention_v1_kernelI14__hip_bfloat16hLi256ELi16ELi128ELNS_18Fp8KVCacheDataTypeE1ELb0EEEvPT_PKS3_PKT0_S9_ifPKiSB_iPKfiiiSD_SD_iiiii
	.p2align	8
	.type	_ZN4vllm25paged_attention_v1_kernelI14__hip_bfloat16hLi256ELi16ELi128ELNS_18Fp8KVCacheDataTypeE1ELb0EEEvPT_PKS3_PKT0_S9_ifPKiSB_iPKfiiiSD_SD_iiiii,@function
_ZN4vllm25paged_attention_v1_kernelI14__hip_bfloat16hLi256ELi16ELi128ELNS_18Fp8KVCacheDataTypeE1ELb0EEEvPT_PKS3_PKT0_S9_ifPKiSB_iPKfiiiSD_SD_iiiii: ; @_ZN4vllm25paged_attention_v1_kernelI14__hip_bfloat16hLi256ELi16ELi128ELNS_18Fp8KVCacheDataTypeE1ELb0EEEvPT_PKS3_PKT0_S9_ifPKiSB_iPKfiiiSD_SD_iiiii
; %bb.0:
	s_clause 0x5
	s_load_dwordx8 s[16:23], s[4:5], 0x0
	s_load_dwordx4 s[36:39], s[4:5], 0x20
	s_load_dwordx2 s[10:11], s[4:5], 0x30
	s_load_dword s13, s[4:5], 0x38
	s_load_dwordx2 s[34:35], s[4:5], 0x40
	s_load_dwordx8 s[24:31], s[4:5], 0x48
	s_add_u32 s0, s0, s9
	s_addc_u32 s1, s1, 0
	v_mov_b32_e32 v31, v0
	s_mov_b32 s14, s8
	s_add_u32 s8, s4, 0x80
	s_addc_u32 s9, s5, 0
	s_getpc_b64 s[4:5]
	s_add_u32 s4, s4, _ZN4vllm22paged_attention_kernelI14__hip_bfloat16hLi256ELi16ELi128ELNS_18Fp8KVCacheDataTypeE1ELb0ELi0EEEvPfS3_PT_PKS4_PKT0_SA_ifPKiSC_iPKfiiiSE_SE_iiiii@rel32@lo+4
	s_addc_u32 s5, s5, _ZN4vllm22paged_attention_kernelI14__hip_bfloat16hLi256ELi16ELi128ELNS_18Fp8KVCacheDataTypeE1ELb0ELi0EEEvPfS3_PT_PKS4_PKT0_SA_ifPKiSC_iPKfiiiSE_SE_iiiii@rel32@hi+12
	s_mov_b32 s12, s6
	s_mov_b32 s15, 10
	;; [unrolled: 1-line block ×3, first 2 shown]
	s_waitcnt lgkmcnt(0)
	v_mov_b32_e32 v0, s16
	v_mov_b32_e32 v1, s17
	;; [unrolled: 1-line block ×24, first 2 shown]
	s_mov_b32 s13, s7
	s_swappc_b64 s[30:31], s[4:5]
	s_endpgm
	.section	.rodata,"a",@progbits
	.p2align	6, 0x0
	.amdhsa_kernel _ZN4vllm25paged_attention_v1_kernelI14__hip_bfloat16hLi256ELi16ELi128ELNS_18Fp8KVCacheDataTypeE1ELb0EEEvPT_PKS3_PKT0_S9_ifPKiSB_iPKfiiiSD_SD_iiiii
		.amdhsa_group_segment_fixed_size 544
		.amdhsa_private_segment_fixed_size 932
		.amdhsa_kernarg_size 384
		.amdhsa_user_sgpr_count 6
		.amdhsa_user_sgpr_private_segment_buffer 1
		.amdhsa_user_sgpr_dispatch_ptr 0
		.amdhsa_user_sgpr_queue_ptr 0
		.amdhsa_user_sgpr_kernarg_segment_ptr 1
		.amdhsa_user_sgpr_dispatch_id 0
		.amdhsa_user_sgpr_flat_scratch_init 0
		.amdhsa_user_sgpr_private_segment_size 0
		.amdhsa_wavefront_size32 1
		.amdhsa_uses_dynamic_stack 0
		.amdhsa_system_sgpr_private_segment_wavefront_offset 1
		.amdhsa_system_sgpr_workgroup_id_x 1
		.amdhsa_system_sgpr_workgroup_id_y 1
		.amdhsa_system_sgpr_workgroup_id_z 1
		.amdhsa_system_sgpr_workgroup_info 0
		.amdhsa_system_vgpr_workitem_id 0
		.amdhsa_next_free_vgpr 128
		.amdhsa_next_free_sgpr 40
		.amdhsa_reserve_vcc 1
		.amdhsa_reserve_flat_scratch 0
		.amdhsa_float_round_mode_32 0
		.amdhsa_float_round_mode_16_64 0
		.amdhsa_float_denorm_mode_32 3
		.amdhsa_float_denorm_mode_16_64 3
		.amdhsa_dx10_clamp 1
		.amdhsa_ieee_mode 1
		.amdhsa_fp16_overflow 0
		.amdhsa_workgroup_processor_mode 1
		.amdhsa_memory_ordered 1
		.amdhsa_forward_progress 1
		.amdhsa_shared_vgpr_count 0
		.amdhsa_exception_fp_ieee_invalid_op 0
		.amdhsa_exception_fp_denorm_src 0
		.amdhsa_exception_fp_ieee_div_zero 0
		.amdhsa_exception_fp_ieee_overflow 0
		.amdhsa_exception_fp_ieee_underflow 0
		.amdhsa_exception_fp_ieee_inexact 0
		.amdhsa_exception_int_div_zero 0
	.end_amdhsa_kernel
	.section	.text._ZN4vllm25paged_attention_v1_kernelI14__hip_bfloat16hLi256ELi16ELi128ELNS_18Fp8KVCacheDataTypeE1ELb0EEEvPT_PKS3_PKT0_S9_ifPKiSB_iPKfiiiSD_SD_iiiii,"axG",@progbits,_ZN4vllm25paged_attention_v1_kernelI14__hip_bfloat16hLi256ELi16ELi128ELNS_18Fp8KVCacheDataTypeE1ELb0EEEvPT_PKS3_PKT0_S9_ifPKiSB_iPKfiiiSD_SD_iiiii,comdat
.Lfunc_end343:
	.size	_ZN4vllm25paged_attention_v1_kernelI14__hip_bfloat16hLi256ELi16ELi128ELNS_18Fp8KVCacheDataTypeE1ELb0EEEvPT_PKS3_PKT0_S9_ifPKiSB_iPKfiiiSD_SD_iiiii, .Lfunc_end343-_ZN4vllm25paged_attention_v1_kernelI14__hip_bfloat16hLi256ELi16ELi128ELNS_18Fp8KVCacheDataTypeE1ELb0EEEvPT_PKS3_PKT0_S9_ifPKiSB_iPKfiiiSD_SD_iiiii
                                        ; -- End function
	.set _ZN4vllm25paged_attention_v1_kernelI14__hip_bfloat16hLi256ELi16ELi128ELNS_18Fp8KVCacheDataTypeE1ELb0EEEvPT_PKS3_PKT0_S9_ifPKiSB_iPKfiiiSD_SD_iiiii.num_vgpr, max(32, .L_ZN4vllm22paged_attention_kernelI14__hip_bfloat16hLi256ELi16ELi128ELNS_18Fp8KVCacheDataTypeE1ELb0ELi0EEEvPfS3_PT_PKS4_PKT0_SA_ifPKiSC_iPKfiiiSE_SE_iiiii.num_vgpr)
	.set _ZN4vllm25paged_attention_v1_kernelI14__hip_bfloat16hLi256ELi16ELi128ELNS_18Fp8KVCacheDataTypeE1ELb0EEEvPT_PKS3_PKT0_S9_ifPKiSB_iPKfiiiSD_SD_iiiii.num_agpr, max(0, .L_ZN4vllm22paged_attention_kernelI14__hip_bfloat16hLi256ELi16ELi128ELNS_18Fp8KVCacheDataTypeE1ELb0ELi0EEEvPfS3_PT_PKS4_PKT0_SA_ifPKiSC_iPKfiiiSE_SE_iiiii.num_agpr)
	.set _ZN4vllm25paged_attention_v1_kernelI14__hip_bfloat16hLi256ELi16ELi128ELNS_18Fp8KVCacheDataTypeE1ELb0EEEvPT_PKS3_PKT0_S9_ifPKiSB_iPKfiiiSD_SD_iiiii.numbered_sgpr, max(40, .L_ZN4vllm22paged_attention_kernelI14__hip_bfloat16hLi256ELi16ELi128ELNS_18Fp8KVCacheDataTypeE1ELb0ELi0EEEvPfS3_PT_PKS4_PKT0_SA_ifPKiSC_iPKfiiiSE_SE_iiiii.numbered_sgpr)
	.set _ZN4vllm25paged_attention_v1_kernelI14__hip_bfloat16hLi256ELi16ELi128ELNS_18Fp8KVCacheDataTypeE1ELb0EEEvPT_PKS3_PKT0_S9_ifPKiSB_iPKfiiiSD_SD_iiiii.num_named_barrier, max(0, .L_ZN4vllm22paged_attention_kernelI14__hip_bfloat16hLi256ELi16ELi128ELNS_18Fp8KVCacheDataTypeE1ELb0ELi0EEEvPfS3_PT_PKS4_PKT0_SA_ifPKiSC_iPKfiiiSE_SE_iiiii.num_named_barrier)
	.set _ZN4vllm25paged_attention_v1_kernelI14__hip_bfloat16hLi256ELi16ELi128ELNS_18Fp8KVCacheDataTypeE1ELb0EEEvPT_PKS3_PKT0_S9_ifPKiSB_iPKfiiiSD_SD_iiiii.private_seg_size, 0+max(.L_ZN4vllm22paged_attention_kernelI14__hip_bfloat16hLi256ELi16ELi128ELNS_18Fp8KVCacheDataTypeE1ELb0ELi0EEEvPfS3_PT_PKS4_PKT0_SA_ifPKiSC_iPKfiiiSE_SE_iiiii.private_seg_size)
	.set _ZN4vllm25paged_attention_v1_kernelI14__hip_bfloat16hLi256ELi16ELi128ELNS_18Fp8KVCacheDataTypeE1ELb0EEEvPT_PKS3_PKT0_S9_ifPKiSB_iPKfiiiSD_SD_iiiii.uses_vcc, or(1, .L_ZN4vllm22paged_attention_kernelI14__hip_bfloat16hLi256ELi16ELi128ELNS_18Fp8KVCacheDataTypeE1ELb0ELi0EEEvPfS3_PT_PKS4_PKT0_SA_ifPKiSC_iPKfiiiSE_SE_iiiii.uses_vcc)
	.set _ZN4vllm25paged_attention_v1_kernelI14__hip_bfloat16hLi256ELi16ELi128ELNS_18Fp8KVCacheDataTypeE1ELb0EEEvPT_PKS3_PKT0_S9_ifPKiSB_iPKfiiiSD_SD_iiiii.uses_flat_scratch, or(0, .L_ZN4vllm22paged_attention_kernelI14__hip_bfloat16hLi256ELi16ELi128ELNS_18Fp8KVCacheDataTypeE1ELb0ELi0EEEvPfS3_PT_PKS4_PKT0_SA_ifPKiSC_iPKfiiiSE_SE_iiiii.uses_flat_scratch)
	.set _ZN4vllm25paged_attention_v1_kernelI14__hip_bfloat16hLi256ELi16ELi128ELNS_18Fp8KVCacheDataTypeE1ELb0EEEvPT_PKS3_PKT0_S9_ifPKiSB_iPKfiiiSD_SD_iiiii.has_dyn_sized_stack, or(0, .L_ZN4vllm22paged_attention_kernelI14__hip_bfloat16hLi256ELi16ELi128ELNS_18Fp8KVCacheDataTypeE1ELb0ELi0EEEvPfS3_PT_PKS4_PKT0_SA_ifPKiSC_iPKfiiiSE_SE_iiiii.has_dyn_sized_stack)
	.set _ZN4vllm25paged_attention_v1_kernelI14__hip_bfloat16hLi256ELi16ELi128ELNS_18Fp8KVCacheDataTypeE1ELb0EEEvPT_PKS3_PKT0_S9_ifPKiSB_iPKfiiiSD_SD_iiiii.has_recursion, or(0, .L_ZN4vllm22paged_attention_kernelI14__hip_bfloat16hLi256ELi16ELi128ELNS_18Fp8KVCacheDataTypeE1ELb0ELi0EEEvPfS3_PT_PKS4_PKT0_SA_ifPKiSC_iPKfiiiSE_SE_iiiii.has_recursion)
	.set _ZN4vllm25paged_attention_v1_kernelI14__hip_bfloat16hLi256ELi16ELi128ELNS_18Fp8KVCacheDataTypeE1ELb0EEEvPT_PKS3_PKT0_S9_ifPKiSB_iPKfiiiSD_SD_iiiii.has_indirect_call, or(0, .L_ZN4vllm22paged_attention_kernelI14__hip_bfloat16hLi256ELi16ELi128ELNS_18Fp8KVCacheDataTypeE1ELb0ELi0EEEvPfS3_PT_PKS4_PKT0_SA_ifPKiSC_iPKfiiiSE_SE_iiiii.has_indirect_call)
	.section	.AMDGPU.csdata,"",@progbits
; Kernel info:
; codeLenInByte = 224
; TotalNumSgprs: 42
; NumVgprs: 128
; ScratchSize: 932
; MemoryBound: 0
; FloatMode: 240
; IeeeMode: 1
; LDSByteSize: 544 bytes/workgroup (compile time only)
; SGPRBlocks: 0
; VGPRBlocks: 15
; NumSGPRsForWavesPerEU: 42
; NumVGPRsForWavesPerEU: 128
; Occupancy: 8
; WaveLimiterHint : 1
; COMPUTE_PGM_RSRC2:SCRATCH_EN: 1
; COMPUTE_PGM_RSRC2:USER_SGPR: 6
; COMPUTE_PGM_RSRC2:TRAP_HANDLER: 0
; COMPUTE_PGM_RSRC2:TGID_X_EN: 1
; COMPUTE_PGM_RSRC2:TGID_Y_EN: 1
; COMPUTE_PGM_RSRC2:TGID_Z_EN: 1
; COMPUTE_PGM_RSRC2:TIDIG_COMP_CNT: 0
	.section	.text._ZN4vllm25paged_attention_v1_kernelI14__hip_bfloat16hLi32ELi32ELi128ELNS_18Fp8KVCacheDataTypeE1ELb1EEEvPT_PKS3_PKT0_S9_ifPKiSB_iPKfiiiSD_SD_iiiii,"axG",@progbits,_ZN4vllm25paged_attention_v1_kernelI14__hip_bfloat16hLi32ELi32ELi128ELNS_18Fp8KVCacheDataTypeE1ELb1EEEvPT_PKS3_PKT0_S9_ifPKiSB_iPKfiiiSD_SD_iiiii,comdat
	.protected	_ZN4vllm25paged_attention_v1_kernelI14__hip_bfloat16hLi32ELi32ELi128ELNS_18Fp8KVCacheDataTypeE1ELb1EEEvPT_PKS3_PKT0_S9_ifPKiSB_iPKfiiiSD_SD_iiiii ; -- Begin function _ZN4vllm25paged_attention_v1_kernelI14__hip_bfloat16hLi32ELi32ELi128ELNS_18Fp8KVCacheDataTypeE1ELb1EEEvPT_PKS3_PKT0_S9_ifPKiSB_iPKfiiiSD_SD_iiiii
	.globl	_ZN4vllm25paged_attention_v1_kernelI14__hip_bfloat16hLi32ELi32ELi128ELNS_18Fp8KVCacheDataTypeE1ELb1EEEvPT_PKS3_PKT0_S9_ifPKiSB_iPKfiiiSD_SD_iiiii
	.p2align	8
	.type	_ZN4vllm25paged_attention_v1_kernelI14__hip_bfloat16hLi32ELi32ELi128ELNS_18Fp8KVCacheDataTypeE1ELb1EEEvPT_PKS3_PKT0_S9_ifPKiSB_iPKfiiiSD_SD_iiiii,@function
_ZN4vllm25paged_attention_v1_kernelI14__hip_bfloat16hLi32ELi32ELi128ELNS_18Fp8KVCacheDataTypeE1ELb1EEEvPT_PKS3_PKT0_S9_ifPKiSB_iPKfiiiSD_SD_iiiii: ; @_ZN4vllm25paged_attention_v1_kernelI14__hip_bfloat16hLi32ELi32ELi128ELNS_18Fp8KVCacheDataTypeE1ELb1EEEvPT_PKS3_PKT0_S9_ifPKiSB_iPKfiiiSD_SD_iiiii
; %bb.0:
	s_clause 0x2
	s_load_dword s9, s[4:5], 0x80
	s_load_dwordx2 s[0:1], s[4:5], 0x30
	s_load_dwordx2 s[2:3], s[4:5], 0x20
	s_mov_b32 s10, s7
	s_ashr_i32 s11, s7, 31
	s_mov_b32 s35, 0
	s_lshl_b64 s[12:13], s[10:11], 2
	s_waitcnt lgkmcnt(0)
	s_add_u32 s0, s0, s12
	s_addc_u32 s1, s1, s13
	s_abs_i32 s7, s2
	s_abs_i32 s13, s9
	v_cvt_f32_u32_e32 v1, s7
	s_sub_i32 s12, 0, s7
	v_rcp_iflag_f32_e32 v1, v1
	v_mul_f32_e32 v1, 0x4f7ffffe, v1
	v_cvt_u32_f32_e32 v1, v1
	v_readfirstlane_b32 s11, v1
	s_mul_i32 s12, s12, s11
	s_mul_hi_u32 s12, s11, s12
	s_add_i32 s11, s11, s12
	s_xor_b32 s12, s9, s2
	s_mul_hi_u32 s11, s13, s11
	s_ashr_i32 s12, s12, 31
	s_mul_i32 s14, s11, s7
	s_sub_i32 s13, s13, s14
	s_add_i32 s14, s11, 1
	s_sub_i32 s15, s13, s7
	s_cmp_ge_u32 s13, s7
	s_cselect_b32 s11, s14, s11
	s_cselect_b32 s13, s15, s13
	s_add_i32 s14, s11, 1
	s_cmp_ge_u32 s13, s7
	s_cselect_b32 s7, s14, s11
	s_xor_b32 s7, s7, s12
	s_sub_i32 s20, s7, s12
	s_load_dwordx2 s[12:13], s[4:5], 0x40
	s_abs_i32 s11, s20
	v_cvt_f32_u32_e32 v1, s11
	s_sub_i32 s14, 0, s11
	v_rcp_iflag_f32_e32 v1, v1
	v_mul_f32_e32 v1, 0x4f7ffffe, v1
	v_cvt_u32_f32_e32 v1, v1
	v_readfirstlane_b32 s7, v1
	s_mul_i32 s14, s14, s7
	s_mul_hi_u32 s15, s7, s14
	s_abs_i32 s14, s6
	s_add_i32 s7, s7, s15
	s_waitcnt lgkmcnt(0)
	s_cmp_eq_u64 s[12:13], 0
	s_mul_hi_u32 s15, s14, s7
	s_cbranch_scc1 .LBB344_2
; %bb.1:
	s_ashr_i32 s7, s6, 31
	s_lshl_b64 s[16:17], s[6:7], 2
	s_add_u32 s12, s12, s16
	s_addc_u32 s13, s13, s17
	s_load_dword s35, s[12:13], 0x0
.LBB344_2:
	s_load_dword s33, s[0:1], 0x0
	s_load_dwordx4 s[16:19], s[4:5], 0x48
	s_ashr_i32 s0, s6, 31
	s_ashr_i32 s1, s20, 31
	s_lshl_b32 s24, s6, 5
	s_mov_b32 s7, exec_lo
	v_cmpx_gt_u32_e32 4, v0
	s_cbranch_execz .LBB344_4
; %bb.3:
	s_load_dwordx2 s[12:13], s[4:5], 0x8
	s_waitcnt lgkmcnt(0)
	s_mul_i32 s20, s16, s10
	v_lshlrev_b32_e32 v5, 4, v0
	s_ashr_i32 s21, s20, 31
	s_lshl_b64 s[20:21], s[20:21], 1
	s_add_u32 s16, s12, s20
	s_addc_u32 s19, s13, s21
	s_ashr_i32 s25, s24, 31
	s_lshl_b64 s[12:13], s[24:25], 1
	s_add_u32 s12, s16, s12
	s_addc_u32 s13, s19, s13
	global_load_dwordx4 v[1:4], v5, s[12:13]
	s_waitcnt vmcnt(0)
	ds_write_b128 v5, v[1:4]
.LBB344_4:
	s_or_b32 exec_lo, exec_lo, s7
	s_load_dwordx4 s[20:23], s[4:5], 0x68
	s_mul_i32 s7, s15, s11
	s_xor_b32 s1, s0, s1
	s_sub_i32 s0, s14, s7
	s_add_i32 s7, s15, 1
	s_sub_i32 s12, s0, s11
	s_cmp_ge_u32 s0, s11
	s_waitcnt lgkmcnt(0)
	s_cselect_b32 s7, s7, s15
	s_cselect_b32 s0, s12, s0
	s_add_i32 s12, s7, 1
	s_cmp_ge_u32 s0, s11
	s_load_dword s0, s[4:5], 0x78
	s_cselect_b32 s7, s12, s7
	s_mov_b32 s12, -1
	s_xor_b32 s7, s7, s1
	s_barrier
	s_sub_i32 s1, s7, s1
	s_waitcnt lgkmcnt(0)
	buffer_gl0_inv
                                        ; implicit-def: $sgpr25
	s_abs_i32 s16, s23
	v_cvt_f32_u32_e32 v1, s16
	s_sub_i32 s7, 0, s16
	v_rcp_iflag_f32_e32 v1, v1
	v_mul_f32_e32 v1, 0x4f7ffffe, v1
	v_cvt_u32_f32_e32 v1, v1
	v_readfirstlane_b32 s19, v1
	s_mul_i32 s11, s7, s19
	s_add_i32 s7, s33, -1
	s_mul_hi_u32 s13, s19, s11
	s_abs_i32 s11, s7
	s_add_i32 s19, s19, s13
	s_cmp_lt_i32 s0, 0
	s_mul_hi_u32 s34, s11, s19
	s_cbranch_scc0 .LBB344_6
; %bb.5:
	s_mul_i32 s2, s20, s2
	s_mov_b32 s12, 0
	s_add_i32 s2, s1, s2
	s_mul_i32 s2, s2, s0
	s_sub_i32 s25, 1, s2
.LBB344_6:
	s_load_dwordx2 s[26:27], s[4:5], 0x28
	s_ashr_i32 s2, s7, 31
	s_andn2_b32 vcc_lo, exec_lo, s12
	s_ashr_i32 s23, s23, 31
	s_cbranch_vccnz .LBB344_8
; %bb.7:
	s_mul_i32 s7, s9, s20
	s_add_i32 s6, s7, s6
	s_mul_i32 s0, s6, s0
	s_add_i32 s25, s0, 1
.LBB344_8:
	s_clause 0x2
	s_load_dword s0, s[4:5], 0x38
	s_load_dwordx2 s[6:7], s[4:5], 0x0
	s_load_dwordx2 s[30:31], s[4:5], 0x18
	s_mul_i32 s12, s34, s16
	s_xor_b32 s2, s2, s23
	s_sub_i32 s36, s11, s12
	s_add_i32 s20, s34, 1
	s_clause 0x1
	s_load_dword s11, s[4:5], 0x88
	s_load_dwordx4 s[12:15], s[4:5], 0x58
	v_lshrrev_b32_e32 v21, 5, v0
	v_and_b32_e32 v22, 31, v0
	v_mov_b32_e32 v34, 0xff7fffff
	v_lshrrev_b32_e32 v13, 3, v0
	s_mul_i32 s18, s1, s18
	v_lshlrev_b32_e32 v23, 5, v21
	v_lshlrev_b32_e32 v14, 2, v22
	s_waitcnt lgkmcnt(0)
	s_mul_i32 s28, s0, s10
	s_sub_i32 s0, s36, s16
	s_ashr_i32 s29, s28, 31
	s_cmp_ge_u32 s36, s16
	s_cselect_b32 s20, s20, s34
	s_cselect_b32 s0, s0, s36
	s_add_i32 s34, s20, 1
	s_cmp_ge_u32 s0, s16
	s_cselect_b32 s0, s34, s20
	s_add_i32 s20, s33, 31
	s_ashr_i32 s34, s20, 31
	s_lshr_b32 s34, s34, 27
	s_add_i32 s20, s20, s34
	s_xor_b32 s34, s0, s2
	s_ashr_i32 s20, s20, 5
	s_sub_i32 s34, s34, s2
	v_cmp_gt_i32_e64 s0, s20, v21
	s_and_saveexec_b32 s36, s0
	s_cbranch_execz .LBB344_256
; %bb.9:
	s_load_dwordx2 s[4:5], s[4:5], 0x10
	v_lshlrev_b32_e32 v1, 4, v22
	s_sub_i32 s37, s34, s21
	s_ashr_i32 s1, s18, 31
	v_mov_b32_e32 v2, 0
	v_and_b32_e32 v34, 0x7c, v13
	v_subrev_nc_u32_e32 v53, s33, v22
	v_lshl_or_b32 v54, v21, 7, v14
	v_cmp_neq_f32_e64 vcc_lo, s35, 0
	ds_read_b128 v[5:8], v2
	ds_read_b128 v[9:12], v2 offset:16
	ds_read_b128 v[39:42], v2 offset:32
	;; [unrolled: 1-line block ×3, first 2 shown]
	v_lshlrev_b32_e32 v52, 5, v21
	v_add_nc_u32_e32 v53, 1, v53
	v_add_nc_u32_e32 v54, 0x60, v54
	v_mov_b32_e32 v55, 0xff7fffff
	v_mov_b32_e32 v56, 0x80
	v_mov_b32_e32 v57, 0xffff
	v_mov_b32_e32 v58, 0xff
	v_mov_b32_e32 v59, 7
	v_mov_b32_e32 v60, 24
	s_waitcnt lgkmcnt(0)
	s_add_u32 s2, s4, s18
	s_addc_u32 s1, s5, s1
	s_abs_i32 s39, s22
	v_add_co_u32 v3, s2, s2, v1
	v_cvt_f32_u32_e32 v1, s39
	v_add_co_ci_u32_e64 v4, null, s1, 0, s2
	s_sub_i32 s1, 0, s39
	v_lshlrev_b32_e32 v15, 16, v5
	v_rcp_iflag_f32_e32 v1, v1
	v_and_b32_e32 v16, 0xffff0000, v5
	s_lshl_b64 s[4:5], s[28:29], 2
	v_lshlrev_b32_e32 v17, 16, v6
	s_add_u32 s2, s26, s4
	v_and_b32_e32 v18, 0xffff0000, v6
	v_lshlrev_b32_e32 v19, 16, v7
	v_and_b32_e32 v20, 0xffff0000, v7
	v_lshlrev_b32_e32 v24, 16, v8
	v_and_b32_e32 v25, 0xffff0000, v8
	v_mul_f32_e32 v1, 0x4f7ffffe, v1
	v_lshlrev_b32_e32 v26, 16, v9
	v_and_b32_e32 v27, 0xffff0000, v9
	v_lshlrev_b32_e32 v28, 16, v10
	v_and_b32_e32 v29, 0xffff0000, v10
	v_cvt_u32_f32_e32 v1, v1
	v_lshlrev_b32_e32 v30, 16, v11
	v_and_b32_e32 v31, 0xffff0000, v11
	v_lshlrev_b32_e32 v32, 16, v12
	v_and_b32_e32 v33, 0xffff0000, v12
	v_mul_lo_u32 v5, s1, v1
	s_addc_u32 s1, s27, s5
	v_lshlrev_b32_e32 v35, 16, v39
	v_and_b32_e32 v36, 0xffff0000, v39
	v_lshlrev_b32_e32 v37, 16, v40
	v_and_b32_e32 v38, 0xffff0000, v40
	;; [unrolled: 2-line block ×3, first 2 shown]
	v_mul_hi_u32 v5, v1, v5
	v_lshlrev_b32_e32 v41, 16, v42
	v_and_b32_e32 v42, 0xffff0000, v42
	v_lshlrev_b32_e32 v43, 16, v47
	v_and_b32_e32 v44, 0xffff0000, v47
	;; [unrolled: 2-line block ×3, first 2 shown]
	v_lshlrev_b32_e32 v47, 16, v49
	v_add_nc_u32_e32 v51, v1, v5
	v_add_co_u32 v5, s2, s2, v34
	v_and_b32_e32 v48, 0xffff0000, v49
	v_lshlrev_b32_e32 v49, 16, v50
	v_and_b32_e32 v50, 0xffff0000, v50
	v_add_co_ci_u32_e64 v6, null, s1, 0, s2
	v_mov_b32_e32 v34, 0xff7fffff
	v_mov_b32_e32 v61, v21
	s_mov_b32 s4, -1
	s_mov_b32 s38, s17
	s_mov_b32 s40, 0
	s_mov_b32 s5, 0xffffff
	s_branch .LBB344_15
.LBB344_10:                             ;   in Loop: Header=BB344_15 Depth=1
	s_or_b32 exec_lo, exec_lo, s45
	v_lshlrev_b32_sdwa v8, v60, v8 dst_sel:DWORD dst_unused:UNUSED_PAD src0_sel:DWORD src1_sel:BYTE_3
	v_lshlrev_b32_e32 v1, 20, v1
	v_lshl_add_u32 v7, v7, 23, 0x3c000000
	v_and_b32_e32 v8, 0x80000000, v8
	v_or3_b32 v10, v1, v8, v7
.LBB344_11:                             ;   in Loop: Header=BB344_15 Depth=1
	s_or_b32 exec_lo, exec_lo, s44
.LBB344_12:                             ;   in Loop: Header=BB344_15 Depth=1
	s_or_b32 exec_lo, exec_lo, s43
.LBB344_13:                             ;   in Loop: Header=BB344_15 Depth=1
	s_or_b32 exec_lo, exec_lo, s42
	s_waitcnt lgkmcnt(0)
	v_mul_f32_e32 v1, s41, v12
	v_mul_f32_e32 v7, s41, v82
	;; [unrolled: 1-line block ×5, first 2 shown]
	v_bfe_u32 v12, v1, 16, 1
	v_bfe_u32 v81, v7, 16, 1
	v_or_b32_e32 v82, 0x400000, v1
	v_cmp_u_f32_e64 s1, v1, v1
	v_or_b32_e32 v90, 0x400000, v7
	v_add3_u32 v12, v12, v1, 0x7fff
	v_bfe_u32 v91, v8, 16, 1
	v_add3_u32 v81, v81, v7, 0x7fff
	v_bfe_u32 v92, v80, 16, 1
	v_mul_f32_e32 v84, s41, v84
	v_cndmask_b32_e64 v1, v12, v82, s1
	v_cmp_u_f32_e64 s1, v7, v7
	v_add3_u32 v12, v91, v8, 0x7fff
	v_add3_u32 v82, v92, v80, 0x7fff
	v_bfe_u32 v91, v79, 16, 1
	v_mul_f32_e32 v75, s41, v75
	v_cndmask_b32_e64 v7, v81, v90, s1
	v_or_b32_e32 v81, 0x400000, v8
	v_cmp_u_f32_e64 s1, v8, v8
	v_mul_f32_e32 v90, s41, v78
	v_or_b32_e32 v78, 0x400000, v80
	v_bfe_u32 v92, v75, 16, 1
	v_mul_f32_e32 v71, s41, v71
	v_cndmask_b32_e64 v8, v12, v81, s1
	v_cmp_u_f32_e64 s1, v80, v80
	v_bfe_u32 v12, v90, 16, 1
	v_add3_u32 v80, v91, v79, 0x7fff
	v_mul_f32_e32 v81, s41, v85
	v_or_b32_e32 v85, 0x400000, v90
	v_cndmask_b32_e64 v78, v82, v78, s1
	v_or_b32_e32 v82, 0x400000, v79
	v_cmp_u_f32_e64 s1, v79, v79
	v_add3_u32 v12, v12, v90, 0x7fff
	v_bfe_u32 v91, v81, 16, 1
	v_mul_f32_e32 v70, s41, v70
	v_mul_f32_e32 v77, s41, v77
	v_cndmask_b32_e64 v79, v80, v82, s1
	v_cmp_u_f32_e64 s1, v90, v90
	v_bfe_u32 v82, v84, 16, 1
	v_mul_f32_e32 v90, s41, v74
	v_mul_f32_e32 v76, s41, v76
	;; [unrolled: 1-line block ×3, first 2 shown]
	v_cndmask_b32_e64 v80, v12, v85, s1
	v_add3_u32 v12, v91, v81, 0x7fff
	v_or_b32_e32 v85, 0x400000, v81
	v_cmp_u_f32_e64 s1, v81, v81
	v_add3_u32 v82, v82, v84, 0x7fff
	v_or_b32_e32 v91, 0x400000, v84
	v_bfe_u32 v81, v90, 16, 1
	v_mul_f32_e32 v66, s41, v66
	v_cndmask_b32_e64 v74, v12, v85, s1
	v_cmp_u_f32_e64 s1, v84, v84
	v_mul_f32_e32 v84, s41, v73
	v_or_b32_e32 v73, 0x400000, v75
	v_add3_u32 v81, v81, v90, 0x7fff
	v_mul_f32_e32 v85, s41, v72
	v_cndmask_b32_e64 v12, v82, v91, s1
	v_add3_u32 v82, v92, v75, 0x7fff
	v_cmp_u_f32_e64 s1, v75, v75
	v_or_b32_e32 v91, 0x400000, v90
	v_bfe_u32 v92, v84, 16, 1
	v_bfe_u32 v75, v85, 16, 1
	v_mul_f32_e32 v65, s41, v65
	v_cndmask_b32_e64 v72, v82, v73, s1
	v_cmp_u_f32_e64 s1, v90, v90
	v_or_b32_e32 v82, 0x400000, v84
	v_add3_u32 v75, v75, v85, 0x7fff
	v_or_b32_e32 v90, 0x400000, v85
	v_mul_f32_e32 v64, s41, v64
	v_cndmask_b32_e64 v73, v81, v91, s1
	v_add3_u32 v81, v92, v84, 0x7fff
	v_cmp_u_f32_e64 s1, v84, v84
	v_bfe_u32 v91, v71, 16, 1
	v_mul_f32_e32 v63, s41, v63
	v_mul_f32_e32 v62, s41, v62
	;; [unrolled: 1-line block ×3, first 2 shown]
	v_cndmask_b32_e64 v81, v81, v82, s1
	v_cmp_u_f32_e64 s1, v85, v85
	v_bfe_u32 v82, v70, 16, 1
	v_add3_u32 v84, v91, v71, 0x7fff
	v_or_b32_e32 v85, 0x400000, v71
	v_bfe_u32 v91, v77, 16, 1
	v_cndmask_b32_e64 v75, v75, v90, s1
	v_cmp_u_f32_e64 s1, v71, v71
	v_add3_u32 v82, v82, v70, 0x7fff
	v_or_b32_e32 v90, 0x400000, v70
	v_mul_f32_e32 v68, s41, v68
	v_mul_f32_e32 v9, s41, v9
	v_cndmask_b32_e64 v71, v84, v85, s1
	v_cmp_u_f32_e64 s1, v70, v70
	v_bfe_u32 v84, v76, 16, 1
	v_or_b32_e32 v85, 0x400000, v77
	v_mul_f32_e32 v88, s41, v88
	v_mul_f32_e32 v87, s41, v87
	v_cndmask_b32_e64 v70, v82, v90, s1
	v_add3_u32 v82, v91, v77, 0x7fff
	v_cmp_u_f32_e64 s1, v77, v77
	v_add3_u32 v84, v84, v76, 0x7fff
	v_or_b32_e32 v90, 0x400000, v76
	v_bfe_u32 v91, v67, 16, 1
	v_mul_f32_e32 v86, s41, v86
	v_cndmask_b32_e64 v77, v82, v85, s1
	v_cmp_u_f32_e64 s1, v76, v76
	v_bfe_u32 v82, v66, 16, 1
	v_or_b32_e32 v85, 0x400000, v67
	v_bfe_u32 v92, v87, 16, 1
	v_mul_f32_e32 v83, s41, v83
	v_cndmask_b32_e64 v76, v84, v90, s1
	v_add3_u32 v84, v91, v67, 0x7fff
	v_cmp_u_f32_e64 s1, v67, v67
	v_add3_u32 v82, v82, v66, 0x7fff
	v_or_b32_e32 v90, 0x400000, v66
	v_bfe_u32 v91, v65, 16, 1
	v_and_b32_e32 v70, 0xffff0000, v70
	v_cndmask_b32_e64 v67, v84, v85, s1
	v_cmp_u_f32_e64 s1, v66, v66
	v_bfe_u32 v84, v64, 16, 1
	v_or_b32_e32 v85, 0x400000, v65
	v_and_b32_e32 v75, 0xffff0000, v75
	v_mul_f32_e32 v11, s41, v11
	v_cndmask_b32_e64 v66, v82, v90, s1
	v_add3_u32 v82, v91, v65, 0x7fff
	v_cmp_u_f32_e64 s1, v65, v65
	v_add3_u32 v84, v84, v64, 0x7fff
	v_or_b32_e32 v90, 0x400000, v64
	v_bfe_u32 v91, v63, 16, 1
	v_and_b32_e32 v71, 0xffff0000, v71
	v_cndmask_b32_e64 v65, v82, v85, s1
	v_cmp_u_f32_e64 s1, v64, v64
	v_bfe_u32 v82, v62, 16, 1
	v_or_b32_e32 v85, 0x400000, v63
	v_mul_f32_e32 v70, v26, v70
	v_mul_f32_e32 v75, v28, v75
	v_cndmask_b32_e64 v64, v84, v90, s1
	v_add3_u32 v84, v91, v63, 0x7fff
	v_cmp_u_f32_e64 s1, v63, v63
	v_add3_u32 v82, v82, v62, 0x7fff
	v_or_b32_e32 v90, 0x400000, v62
	v_bfe_u32 v91, v69, 16, 1
	v_and_b32_e32 v64, 0xffff0000, v64
	v_cndmask_b32_e64 v63, v84, v85, s1
	v_cmp_u_f32_e64 s1, v62, v62
	v_bfe_u32 v84, v68, 16, 1
	v_or_b32_e32 v85, 0x400000, v69
	v_mul_f32_e32 v71, v27, v71
	v_and_b32_e32 v63, 0xffff0000, v63
	v_cndmask_b32_e64 v62, v82, v90, s1
	v_add3_u32 v82, v91, v69, 0x7fff
	v_cmp_u_f32_e64 s1, v69, v69
	v_add3_u32 v84, v84, v68, 0x7fff
	v_or_b32_e32 v90, 0x400000, v68
	v_or_b32_e32 v91, 0x400000, v88
	v_and_b32_e32 v62, 0xffff0000, v62
	v_cndmask_b32_e64 v69, v82, v85, s1
	v_bfe_u32 v82, v9, 16, 1
	v_cmp_u_f32_e64 s1, v68, v68
	v_and_b32_e32 v81, 0xffff0000, v81
	v_fmac_f32_e32 v70, v15, v62
	v_and_b32_e32 v62, 0xffff0000, v73
	v_add3_u32 v82, v82, v9, 0x7fff
	v_cndmask_b32_e64 v68, v84, v90, s1
	v_bfe_u32 v84, v88, 16, 1
	v_or_b32_e32 v90, 0x400000, v9
	v_cmp_u_f32_e64 s1, v9, v9
	v_fmac_f32_e32 v75, v17, v64
	v_and_b32_e32 v64, 0xffff0000, v72
	v_add3_u32 v84, v84, v88, 0x7fff
	v_and_b32_e32 v65, 0xffff0000, v65
	v_cndmask_b32_e64 v9, v82, v90, s1
	v_cmp_u_f32_e64 s1, v88, v88
	v_bfe_u32 v82, v86, 16, 1
	v_add3_u32 v88, v92, v87, 0x7fff
	v_or_b32_e32 v90, 0x400000, v87
	v_and_b32_e32 v66, 0xffff0000, v66
	v_cndmask_b32_e64 v84, v84, v91, s1
	v_cmp_u_f32_e64 s1, v87, v87
	v_add3_u32 v82, v82, v86, 0x7fff
	v_or_b32_e32 v91, 0x400000, v86
	v_and_b32_e32 v67, 0xffff0000, v67
	v_fmac_f32_e32 v71, v16, v63
	v_cndmask_b32_e64 v87, v88, v90, s1
	v_bfe_u32 v88, v83, 16, 1
	v_cmp_u_f32_e64 s1, v86, v86
	v_mul_f32_e32 v86, s41, v89
	v_or_b32_e32 v89, 0x400000, v83
	v_bfe_u32 v90, v11, 16, 1
	v_add3_u32 v88, v88, v83, 0x7fff
	v_cndmask_b32_e64 v82, v82, v91, s1
	v_cmp_u_f32_e64 s1, v83, v83
	v_mul_f32_e32 v63, v29, v81
	v_and_b32_e32 v72, 0xffff0000, v77
	v_mul_f32_e32 v62, v30, v62
	v_and_b32_e32 v73, 0xffff0000, v76
	v_cndmask_b32_e64 v83, v88, v89, s1
	v_add3_u32 v89, v90, v11, 0x7fff
	v_or_b32_e32 v90, 0x400000, v11
	v_cmp_u_f32_e64 s1, v11, v11
	v_mul_f32_e32 v64, v31, v64
	v_and_b32_e32 v68, 0xffff0000, v68
	v_fmac_f32_e32 v63, v18, v65
	v_mul_f32_e32 v65, v32, v72
	v_cndmask_b32_e64 v11, v89, v90, s1
	v_fmac_f32_e32 v62, v19, v66
	v_mul_f32_e32 v66, v33, v73
	v_and_b32_e32 v72, 0xffff0000, v80
	v_fmac_f32_e32 v64, v20, v67
	v_and_b32_e32 v67, 0xffff0000, v79
	v_and_b32_e32 v11, 0xffff0000, v11
	v_fmac_f32_e32 v66, v25, v68
	v_fmac_f32_e32 v70, v35, v72
	v_and_b32_e32 v68, 0xffff0000, v78
	v_fmac_f32_e32 v71, v36, v67
	v_and_b32_e32 v67, 0xffff0000, v83
	v_and_b32_e32 v8, 0xffff0000, v8
	v_fmac_f32_e32 v70, v43, v11
	v_fmac_f32_e32 v75, v37, v68
	v_and_b32_e32 v11, 0xffff0000, v82
	v_fmac_f32_e32 v71, v44, v67
	v_mul_f32_e32 v10, s41, v10
	v_bfe_u32 v91, v86, 16, 1
	v_fmac_f32_e32 v63, v38, v8
	v_and_b32_e32 v7, 0xffff0000, v7
	v_and_b32_e32 v8, 0xffff0000, v87
	v_fmac_f32_e32 v75, v45, v11
	v_add_f32_e32 v11, v70, v71
	v_bfe_u32 v88, v10, 16, 1
	v_add3_u32 v91, v91, v86, 0x7fff
	v_or_b32_e32 v92, 0x400000, v86
	v_cmp_u_f32_e64 s1, v86, v86
	v_and_b32_e32 v69, 0xffff0000, v69
	v_and_b32_e32 v1, 0xffff0000, v1
	v_fmac_f32_e32 v62, v39, v7
	v_fmac_f32_e32 v63, v46, v8
	v_and_b32_e32 v7, 0xffff0000, v84
	v_add_f32_e32 v8, v11, v75
	v_add3_u32 v88, v88, v10, 0x7fff
	v_or_b32_e32 v93, 0x400000, v10
	v_cndmask_b32_e64 v86, v91, v92, s1
	v_cmp_u_f32_e64 s1, v10, v10
	v_fmac_f32_e32 v65, v24, v69
	v_fmac_f32_e32 v64, v40, v1
	v_and_b32_e32 v1, 0xffff0000, v74
	v_and_b32_e32 v9, 0xffff0000, v9
	v_fmac_f32_e32 v62, v47, v7
	v_add_f32_e32 v7, v8, v63
	v_add_nc_u32_e32 v85, v53, v52
	v_cndmask_b32_e64 v10, v88, v93, s1
	v_and_b32_e32 v8, 0xffff0000, v12
	v_fmac_f32_e32 v65, v41, v1
	v_fmac_f32_e32 v64, v48, v9
	v_and_b32_e32 v1, 0xffff0000, v86
	v_add_f32_e32 v7, v7, v62
	v_cvt_f32_i32_e32 v9, v85
	v_fmac_f32_e32 v66, v42, v8
	v_and_b32_e32 v8, 0xffff0000, v10
	v_fmac_f32_e32 v65, v49, v1
	v_add_f32_e32 v1, v7, v64
	v_mul_f32_e32 v7, s35, v9
	v_fmac_f32_e32 v66, v50, v8
	v_add_nc_u32_e32 v8, v22, v52
	v_add_f32_e32 v1, v1, v65
	v_cndmask_b32_e32 v7, 0, v7, vcc_lo
	v_cmp_gt_i32_e64 s1, s33, v8
	v_add_f32_e32 v1, v1, v66
	v_fmac_f32_e32 v7, s3, v1
	v_max_f32_e32 v1, v34, v34
	v_max_f32_e32 v1, v1, v7
	v_cndmask_b32_e64 v7, 0, v7, s1
	v_cndmask_b32_e64 v34, v34, v1, s1
	ds_write_b32 v54, v7
.LBB344_14:                             ;   in Loop: Header=BB344_15 Depth=1
	s_or_b32 exec_lo, exec_lo, s2
	v_add_nc_u32_e32 v61, 4, v61
	v_add_co_u32 v5, s2, v5, 16
	v_add_co_ci_u32_e64 v6, null, 0, v6, s2
	v_cmp_le_i32_e64 s1, s20, v61
	v_add_nc_u32_e32 v52, 0x80, v52
	v_add_nc_u32_e32 v54, 0x200, v54
	s_or_b32 s40, s1, s40
	s_andn2_b32 exec_lo, exec_lo, s40
	s_cbranch_execz .LBB344_255
.LBB344_15:                             ; =>This Inner Loop Header: Depth=1
	v_mul_hi_u32 v1, v52, s19
	v_mul_lo_u32 v7, v1, s16
	v_add_nc_u32_e32 v8, 1, v1
	v_sub_nc_u32_e32 v7, v52, v7
	v_subrev_nc_u32_e32 v9, s16, v7
	v_cmp_le_u32_e64 s1, s16, v7
	v_cndmask_b32_e64 v1, v1, v8, s1
	v_cndmask_b32_e64 v7, v7, v9, s1
	v_add_nc_u32_e32 v8, 1, v1
	v_cmp_le_u32_e64 s1, s16, v7
	v_cndmask_b32_e64 v1, v1, v8, s1
	v_xor_b32_e32 v1, s23, v1
	v_subrev_nc_u32_e32 v1, s23, v1
	v_add_nc_u32_e32 v7, s25, v1
	v_cmp_ge_i32_e64 s2, s37, v1
	v_sub_nc_u32_e32 v8, 0, v7
	v_max_i32_e32 v8, v7, v8
	v_ashrrev_i32_e32 v7, 31, v7
	v_mul_hi_u32 v9, v8, v51
	v_mul_lo_u32 v9, v9, s39
	v_sub_nc_u32_e32 v8, v8, v9
	v_subrev_nc_u32_e32 v9, s39, v8
	v_cmp_le_u32_e64 s1, s39, v8
	v_cndmask_b32_e64 v8, v8, v9, s1
	v_subrev_nc_u32_e32 v9, s39, v8
	v_cmp_le_u32_e64 s1, s39, v8
	v_cndmask_b32_e64 v8, v8, v9, s1
	v_xor_b32_e32 v8, v8, v7
	v_sub_nc_u32_e32 v7, v8, v7
	v_cmp_ne_u32_e64 s1, 0, v7
	s_and_b32 s1, s1, s2
	s_and_saveexec_b32 s2, s1
	s_xor_b32 s1, exec_lo, s2
; %bb.16:                               ;   in Loop: Header=BB344_15 Depth=1
	ds_write_b32 v54, v55
; %bb.17:                               ;   in Loop: Header=BB344_15 Depth=1
	s_andn2_saveexec_b32 s2, s1
	s_cbranch_execz .LBB344_14
; %bb.18:                               ;   in Loop: Header=BB344_15 Depth=1
	global_load_dword v1, v[5:6], off
	s_load_dword s41, s[12:13], 0x0
	v_mov_b32_e32 v63, 0
	v_mov_b32_e32 v62, 0
	s_waitcnt vmcnt(0)
	v_mad_i64_i32 v[7:8], null, v1, s38, v[3:4]
	global_load_dwordx2 v[9:10], v[7:8], off
	s_waitcnt vmcnt(0)
	v_cmp_ne_u16_sdwa s1, v9, v2 src0_sel:BYTE_0 src1_sel:DWORD
	s_and_saveexec_b32 s42, s1
	s_cbranch_execz .LBB344_24
; %bb.19:                               ;   in Loop: Header=BB344_15 Depth=1
	v_cmp_ne_u16_sdwa s1, v9, v56 src0_sel:BYTE_0 src1_sel:DWORD
	v_bfrev_b32_e32 v62, 1
	s_and_saveexec_b32 s43, s1
	s_cbranch_execz .LBB344_23
; %bb.20:                               ;   in Loop: Header=BB344_15 Depth=1
	v_and_b32_e32 v1, 0x7f, v9
	v_mov_b32_e32 v62, 0x7f800001
	s_mov_b32 s44, exec_lo
	v_cmpx_ne_u32_e32 0x7f, v1
	s_cbranch_execz .LBB344_22
; %bb.21:                               ;   in Loop: Header=BB344_15 Depth=1
	v_and_b32_e32 v11, 7, v9
	v_lshrrev_b32_e32 v12, 3, v1
	v_cmp_gt_u32_e64 s1, 8, v1
	v_ffbh_u32_e32 v11, v11
	v_min_u32_e32 v11, 32, v11
	v_subrev_nc_u32_e32 v62, 28, v11
	v_sub_nc_u32_e32 v11, 29, v11
	v_cndmask_b32_e64 v1, v12, v11, s1
	v_cndmask_b32_e64 v11, 0, v62, s1
	v_lshl_add_u32 v1, v1, 23, 0x3c000000
	v_lshlrev_b64 v[11:12], v11, v[9:10]
	v_lshlrev_b32_e32 v12, 24, v9
	v_lshlrev_b32_e32 v11, 20, v11
	v_and_b32_e32 v12, 0x80000000, v12
	v_and_b32_e32 v11, 0x700000, v11
	v_or3_b32 v62, v11, v12, v1
.LBB344_22:                             ;   in Loop: Header=BB344_15 Depth=1
	s_or_b32 exec_lo, exec_lo, s44
.LBB344_23:                             ;   in Loop: Header=BB344_15 Depth=1
	s_or_b32 exec_lo, exec_lo, s43
.LBB344_24:                             ;   in Loop: Header=BB344_15 Depth=1
	s_or_b32 exec_lo, exec_lo, s42
	v_cmp_ne_u16_sdwa s1, v9, v2 src0_sel:BYTE_1 src1_sel:DWORD
	s_and_saveexec_b32 s42, s1
	s_cbranch_execz .LBB344_32
; %bb.25:                               ;   in Loop: Header=BB344_15 Depth=1
	v_cmp_ne_u16_sdwa s1, v9, v56 src0_sel:BYTE_1 src1_sel:DWORD
	v_bfrev_b32_e32 v63, 1
	s_and_saveexec_b32 s43, s1
	s_cbranch_execz .LBB344_31
; %bb.26:                               ;   in Loop: Header=BB344_15 Depth=1
	v_and_b32_sdwa v1, v57, v9 dst_sel:DWORD dst_unused:UNUSED_PAD src0_sel:DWORD src1_sel:BYTE_1
	v_mov_b32_e32 v63, 0x7f800001
	s_mov_b32 s44, exec_lo
	v_and_b32_e32 v12, 0x7f, v1
	v_cmpx_ne_u32_e32 0x7f, v12
	s_cbranch_execz .LBB344_30
; %bb.27:                               ;   in Loop: Header=BB344_15 Depth=1
	v_and_b32_e32 v1, 7, v1
	v_lshrrev_b32_e32 v11, 3, v12
	s_mov_b32 s45, exec_lo
	v_cmpx_gt_u32_e32 8, v12
; %bb.28:                               ;   in Loop: Header=BB344_15 Depth=1
	v_ffbh_u32_e32 v11, v1
	v_min_u32_e32 v11, 32, v11
	v_subrev_nc_u32_e32 v12, 28, v11
	v_sub_nc_u32_e32 v11, 29, v11
	v_lshlrev_b64 v[63:64], v12, v[1:2]
	v_and_b32_e32 v1, 7, v63
; %bb.29:                               ;   in Loop: Header=BB344_15 Depth=1
	s_or_b32 exec_lo, exec_lo, s45
	v_lshlrev_b32_e32 v12, 16, v9
	v_lshlrev_b32_e32 v1, 20, v1
	v_lshl_add_u32 v11, v11, 23, 0x3c000000
	v_and_b32_e32 v12, 0x80000000, v12
	v_or3_b32 v63, v1, v12, v11
.LBB344_30:                             ;   in Loop: Header=BB344_15 Depth=1
	s_or_b32 exec_lo, exec_lo, s44
.LBB344_31:                             ;   in Loop: Header=BB344_15 Depth=1
	s_or_b32 exec_lo, exec_lo, s43
.LBB344_32:                             ;   in Loop: Header=BB344_15 Depth=1
	s_or_b32 exec_lo, exec_lo, s42
	v_and_b32_sdwa v1, v9, v58 dst_sel:DWORD dst_unused:UNUSED_PAD src0_sel:WORD_1 src1_sel:DWORD
	v_mov_b32_e32 v65, 0
	v_mov_b32_e32 v64, 0
	s_mov_b32 s42, exec_lo
	v_cmpx_ne_u16_e32 0, v1
	s_cbranch_execz .LBB344_40
; %bb.33:                               ;   in Loop: Header=BB344_15 Depth=1
	v_bfrev_b32_e32 v64, 1
	s_mov_b32 s43, exec_lo
	v_cmpx_ne_u16_e32 0x80, v1
	s_cbranch_execz .LBB344_39
; %bb.34:                               ;   in Loop: Header=BB344_15 Depth=1
	v_bfe_u32 v12, v9, 16, 7
	v_mov_b32_e32 v64, 0x7f800001
	s_mov_b32 s44, exec_lo
	v_cmpx_ne_u32_e32 0x7f, v12
	s_cbranch_execz .LBB344_38
; %bb.35:                               ;   in Loop: Header=BB344_15 Depth=1
	v_and_b32_sdwa v1, v9, v59 dst_sel:DWORD dst_unused:UNUSED_PAD src0_sel:WORD_1 src1_sel:DWORD
	v_lshrrev_b32_e32 v11, 3, v12
	s_mov_b32 s45, exec_lo
	v_cmpx_gt_u32_e32 8, v12
; %bb.36:                               ;   in Loop: Header=BB344_15 Depth=1
	v_ffbh_u32_e32 v11, v1
	v_min_u32_e32 v11, 32, v11
	v_subrev_nc_u32_e32 v12, 28, v11
	v_sub_nc_u32_e32 v11, 29, v11
	v_lshlrev_b64 v[66:67], v12, v[1:2]
	v_and_b32_e32 v1, 7, v66
; %bb.37:                               ;   in Loop: Header=BB344_15 Depth=1
	s_or_b32 exec_lo, exec_lo, s45
	v_lshlrev_b32_sdwa v12, v60, v9 dst_sel:DWORD dst_unused:UNUSED_PAD src0_sel:DWORD src1_sel:WORD_1
	v_lshlrev_b32_e32 v1, 20, v1
	v_lshl_add_u32 v11, v11, 23, 0x3c000000
	v_and_b32_e32 v12, 0x80000000, v12
	v_or3_b32 v64, v1, v12, v11
.LBB344_38:                             ;   in Loop: Header=BB344_15 Depth=1
	s_or_b32 exec_lo, exec_lo, s44
.LBB344_39:                             ;   in Loop: Header=BB344_15 Depth=1
	s_or_b32 exec_lo, exec_lo, s43
.LBB344_40:                             ;   in Loop: Header=BB344_15 Depth=1
	s_or_b32 exec_lo, exec_lo, s42
	s_mov_b32 s42, exec_lo
	v_cmpx_lt_u32_e32 0xffffff, v9
	s_cbranch_execz .LBB344_48
; %bb.41:                               ;   in Loop: Header=BB344_15 Depth=1
	v_cmp_ne_u32_sdwa s1, v9, v56 src0_sel:BYTE_3 src1_sel:DWORD
	v_bfrev_b32_e32 v65, 1
	s_and_saveexec_b32 s43, s1
	s_cbranch_execz .LBB344_47
; %bb.42:                               ;   in Loop: Header=BB344_15 Depth=1
	v_bfe_u32 v12, v9, 24, 7
	v_mov_b32_e32 v65, 0x7f800001
	s_mov_b32 s44, exec_lo
	v_cmpx_ne_u32_e32 0x7f, v12
	s_cbranch_execz .LBB344_46
; %bb.43:                               ;   in Loop: Header=BB344_15 Depth=1
	v_and_b32_sdwa v1, v9, v59 dst_sel:DWORD dst_unused:UNUSED_PAD src0_sel:BYTE_3 src1_sel:DWORD
	v_lshrrev_b32_e32 v11, 3, v12
	s_mov_b32 s45, exec_lo
	v_cmpx_gt_u32_e32 8, v12
; %bb.44:                               ;   in Loop: Header=BB344_15 Depth=1
	v_ffbh_u32_e32 v11, v1
	v_min_u32_e32 v11, 32, v11
	v_subrev_nc_u32_e32 v12, 28, v11
	v_sub_nc_u32_e32 v11, 29, v11
	v_lshlrev_b64 v[65:66], v12, v[1:2]
	v_and_b32_e32 v1, 7, v65
; %bb.45:                               ;   in Loop: Header=BB344_15 Depth=1
	s_or_b32 exec_lo, exec_lo, s45
	v_lshlrev_b32_sdwa v12, v60, v9 dst_sel:DWORD dst_unused:UNUSED_PAD src0_sel:DWORD src1_sel:BYTE_3
	v_lshlrev_b32_e32 v1, 20, v1
	v_lshl_add_u32 v11, v11, 23, 0x3c000000
	v_and_b32_e32 v12, 0x80000000, v12
	v_or3_b32 v65, v1, v12, v11
.LBB344_46:                             ;   in Loop: Header=BB344_15 Depth=1
	s_or_b32 exec_lo, exec_lo, s44
.LBB344_47:                             ;   in Loop: Header=BB344_15 Depth=1
	s_or_b32 exec_lo, exec_lo, s43
.LBB344_48:                             ;   in Loop: Header=BB344_15 Depth=1
	s_or_b32 exec_lo, exec_lo, s42
	v_mov_b32_e32 v1, v10
	v_cmp_ne_u16_sdwa s1, v10, v2 src0_sel:BYTE_0 src1_sel:DWORD
	v_mov_b32_e32 v67, 0
	v_mov_b32_e32 v66, 0
	s_and_saveexec_b32 s42, s1
	s_cbranch_execz .LBB344_54
; %bb.49:                               ;   in Loop: Header=BB344_15 Depth=1
	v_cmp_ne_u16_sdwa s1, v10, v56 src0_sel:BYTE_0 src1_sel:DWORD
	v_bfrev_b32_e32 v66, 1
	s_and_saveexec_b32 s43, s1
	s_cbranch_execz .LBB344_53
; %bb.50:                               ;   in Loop: Header=BB344_15 Depth=1
	v_and_b32_e32 v11, 0x7f, v10
	v_mov_b32_e32 v66, 0x7f800001
	s_mov_b32 s44, exec_lo
	v_cmpx_ne_u32_e32 0x7f, v11
	s_cbranch_execz .LBB344_52
; %bb.51:                               ;   in Loop: Header=BB344_15 Depth=1
	v_and_b32_e32 v12, 7, v10
	v_cmp_gt_u32_e64 s1, 8, v11
	v_lshrrev_b32_e32 v66, 3, v11
	v_ffbh_u32_e32 v12, v12
	v_min_u32_e32 v12, 32, v12
	v_subrev_nc_u32_e32 v68, 28, v12
	v_sub_nc_u32_e32 v12, 29, v12
	v_cndmask_b32_e64 v11, 0, v68, s1
	v_cndmask_b32_e64 v66, v66, v12, s1
	v_lshlrev_b64 v[11:12], v11, v[1:2]
	v_lshlrev_b32_e32 v12, 24, v1
	v_lshl_add_u32 v66, v66, 23, 0x3c000000
	v_lshlrev_b32_e32 v11, 20, v11
	v_and_b32_e32 v12, 0x80000000, v12
	v_and_b32_e32 v11, 0x700000, v11
	v_or3_b32 v66, v11, v12, v66
.LBB344_52:                             ;   in Loop: Header=BB344_15 Depth=1
	s_or_b32 exec_lo, exec_lo, s44
.LBB344_53:                             ;   in Loop: Header=BB344_15 Depth=1
	s_or_b32 exec_lo, exec_lo, s43
.LBB344_54:                             ;   in Loop: Header=BB344_15 Depth=1
	s_or_b32 exec_lo, exec_lo, s42
	v_cmp_ne_u16_sdwa s1, v1, v2 src0_sel:BYTE_1 src1_sel:DWORD
	s_and_saveexec_b32 s42, s1
	s_cbranch_execz .LBB344_62
; %bb.55:                               ;   in Loop: Header=BB344_15 Depth=1
	v_cmp_ne_u16_sdwa s1, v1, v56 src0_sel:BYTE_1 src1_sel:DWORD
	v_bfrev_b32_e32 v67, 1
	s_and_saveexec_b32 s43, s1
	s_cbranch_execz .LBB344_61
; %bb.56:                               ;   in Loop: Header=BB344_15 Depth=1
	v_and_b32_sdwa v11, v57, v1 dst_sel:DWORD dst_unused:UNUSED_PAD src0_sel:DWORD src1_sel:BYTE_1
	v_mov_b32_e32 v67, 0x7f800001
	s_mov_b32 s44, exec_lo
	v_and_b32_e32 v68, 0x7f, v11
	v_cmpx_ne_u32_e32 0x7f, v68
	s_cbranch_execz .LBB344_60
; %bb.57:                               ;   in Loop: Header=BB344_15 Depth=1
	v_and_b32_e32 v11, 7, v11
	v_mov_b32_e32 v12, v2
	v_lshrrev_b32_e32 v67, 3, v68
	s_mov_b32 s45, exec_lo
	v_cmpx_gt_u32_e32 8, v68
; %bb.58:                               ;   in Loop: Header=BB344_15 Depth=1
	v_ffbh_u32_e32 v67, v11
	v_min_u32_e32 v67, 32, v67
	v_subrev_nc_u32_e32 v68, 28, v67
	v_sub_nc_u32_e32 v67, 29, v67
	v_lshlrev_b64 v[11:12], v68, v[11:12]
	v_and_b32_e32 v11, 7, v11
; %bb.59:                               ;   in Loop: Header=BB344_15 Depth=1
	s_or_b32 exec_lo, exec_lo, s45
	v_lshlrev_b32_e32 v1, 16, v1
	v_lshlrev_b32_e32 v11, 20, v11
	v_lshl_add_u32 v12, v67, 23, 0x3c000000
	v_and_b32_e32 v1, 0x80000000, v1
	v_or3_b32 v67, v11, v1, v12
.LBB344_60:                             ;   in Loop: Header=BB344_15 Depth=1
	s_or_b32 exec_lo, exec_lo, s44
.LBB344_61:                             ;   in Loop: Header=BB344_15 Depth=1
	s_or_b32 exec_lo, exec_lo, s43
.LBB344_62:                             ;   in Loop: Header=BB344_15 Depth=1
	s_or_b32 exec_lo, exec_lo, s42
	v_and_b32_sdwa v1, v10, v58 dst_sel:DWORD dst_unused:UNUSED_PAD src0_sel:WORD_1 src1_sel:DWORD
	v_mov_b32_e32 v68, 0
	v_mov_b32_e32 v69, 0
	s_mov_b32 s42, exec_lo
	v_cmpx_ne_u16_e32 0, v1
	s_cbranch_execz .LBB344_70
; %bb.63:                               ;   in Loop: Header=BB344_15 Depth=1
	v_bfrev_b32_e32 v69, 1
	s_mov_b32 s43, exec_lo
	v_cmpx_ne_u16_e32 0x80, v1
	s_cbranch_execz .LBB344_69
; %bb.64:                               ;   in Loop: Header=BB344_15 Depth=1
	v_bfe_u32 v12, v10, 16, 7
	v_mov_b32_e32 v69, 0x7f800001
	s_mov_b32 s44, exec_lo
	v_cmpx_ne_u32_e32 0x7f, v12
	s_cbranch_execz .LBB344_68
; %bb.65:                               ;   in Loop: Header=BB344_15 Depth=1
	v_and_b32_sdwa v1, v10, v59 dst_sel:DWORD dst_unused:UNUSED_PAD src0_sel:WORD_1 src1_sel:DWORD
	v_lshrrev_b32_e32 v11, 3, v12
	s_mov_b32 s45, exec_lo
	v_cmpx_gt_u32_e32 8, v12
; %bb.66:                               ;   in Loop: Header=BB344_15 Depth=1
	v_ffbh_u32_e32 v11, v1
	v_min_u32_e32 v11, 32, v11
	v_subrev_nc_u32_e32 v12, 28, v11
	v_sub_nc_u32_e32 v11, 29, v11
	v_lshlrev_b64 v[69:70], v12, v[1:2]
	v_and_b32_e32 v1, 7, v69
; %bb.67:                               ;   in Loop: Header=BB344_15 Depth=1
	s_or_b32 exec_lo, exec_lo, s45
	v_lshlrev_b32_sdwa v12, v60, v10 dst_sel:DWORD dst_unused:UNUSED_PAD src0_sel:DWORD src1_sel:WORD_1
	v_lshlrev_b32_e32 v1, 20, v1
	v_lshl_add_u32 v11, v11, 23, 0x3c000000
	v_and_b32_e32 v12, 0x80000000, v12
	v_or3_b32 v69, v1, v12, v11
.LBB344_68:                             ;   in Loop: Header=BB344_15 Depth=1
	s_or_b32 exec_lo, exec_lo, s44
.LBB344_69:                             ;   in Loop: Header=BB344_15 Depth=1
	s_or_b32 exec_lo, exec_lo, s43
.LBB344_70:                             ;   in Loop: Header=BB344_15 Depth=1
	s_or_b32 exec_lo, exec_lo, s42
	s_mov_b32 s42, exec_lo
	v_cmpx_lt_u64_e64 s[4:5], v[9:10]
	s_cbranch_execz .LBB344_78
; %bb.71:                               ;   in Loop: Header=BB344_15 Depth=1
	v_cmp_ne_u32_sdwa s1, v10, v56 src0_sel:BYTE_3 src1_sel:DWORD
	v_bfrev_b32_e32 v68, 1
	s_and_saveexec_b32 s43, s1
	s_cbranch_execz .LBB344_77
; %bb.72:                               ;   in Loop: Header=BB344_15 Depth=1
	v_bfe_u32 v11, v10, 24, 7
	v_mov_b32_e32 v68, 0x7f800001
	s_mov_b32 s44, exec_lo
	v_cmpx_ne_u32_e32 0x7f, v11
	s_cbranch_execz .LBB344_76
; %bb.73:                               ;   in Loop: Header=BB344_15 Depth=1
	v_and_b32_sdwa v1, v10, v59 dst_sel:DWORD dst_unused:UNUSED_PAD src0_sel:BYTE_3 src1_sel:DWORD
	v_lshrrev_b32_e32 v9, 3, v11
	s_mov_b32 s45, exec_lo
	v_cmpx_gt_u32_e32 8, v11
; %bb.74:                               ;   in Loop: Header=BB344_15 Depth=1
	v_ffbh_u32_e32 v9, v1
	v_min_u32_e32 v9, 32, v9
	v_subrev_nc_u32_e32 v11, 28, v9
	v_sub_nc_u32_e32 v9, 29, v9
	v_lshlrev_b64 v[11:12], v11, v[1:2]
	v_and_b32_e32 v1, 7, v11
; %bb.75:                               ;   in Loop: Header=BB344_15 Depth=1
	s_or_b32 exec_lo, exec_lo, s45
	v_lshlrev_b32_sdwa v10, v60, v10 dst_sel:DWORD dst_unused:UNUSED_PAD src0_sel:DWORD src1_sel:BYTE_3
	v_lshlrev_b32_e32 v1, 20, v1
	v_lshl_add_u32 v9, v9, 23, 0x3c000000
	v_and_b32_e32 v10, 0x80000000, v10
	v_or3_b32 v68, v1, v10, v9
.LBB344_76:                             ;   in Loop: Header=BB344_15 Depth=1
	s_or_b32 exec_lo, exec_lo, s44
.LBB344_77:                             ;   in Loop: Header=BB344_15 Depth=1
	s_or_b32 exec_lo, exec_lo, s43
.LBB344_78:                             ;   in Loop: Header=BB344_15 Depth=1
	s_or_b32 exec_lo, exec_lo, s42
	global_load_dwordx2 v[9:10], v[7:8], off offset:8
	v_mov_b32_e32 v71, 0
	v_mov_b32_e32 v70, 0
	s_waitcnt vmcnt(0)
	v_cmp_ne_u16_sdwa s1, v9, v2 src0_sel:BYTE_0 src1_sel:DWORD
	s_and_saveexec_b32 s42, s1
	s_cbranch_execz .LBB344_84
; %bb.79:                               ;   in Loop: Header=BB344_15 Depth=1
	v_cmp_ne_u16_sdwa s1, v9, v56 src0_sel:BYTE_0 src1_sel:DWORD
	v_bfrev_b32_e32 v70, 1
	s_and_saveexec_b32 s43, s1
	s_cbranch_execz .LBB344_83
; %bb.80:                               ;   in Loop: Header=BB344_15 Depth=1
	v_and_b32_e32 v1, 0x7f, v9
	v_mov_b32_e32 v70, 0x7f800001
	s_mov_b32 s44, exec_lo
	v_cmpx_ne_u32_e32 0x7f, v1
	s_cbranch_execz .LBB344_82
; %bb.81:                               ;   in Loop: Header=BB344_15 Depth=1
	v_and_b32_e32 v11, 7, v9
	v_lshrrev_b32_e32 v12, 3, v1
	v_cmp_gt_u32_e64 s1, 8, v1
	v_ffbh_u32_e32 v11, v11
	v_min_u32_e32 v11, 32, v11
	v_subrev_nc_u32_e32 v70, 28, v11
	v_sub_nc_u32_e32 v11, 29, v11
	v_cndmask_b32_e64 v1, v12, v11, s1
	v_cndmask_b32_e64 v11, 0, v70, s1
	v_lshl_add_u32 v1, v1, 23, 0x3c000000
	v_lshlrev_b64 v[11:12], v11, v[9:10]
	v_lshlrev_b32_e32 v12, 24, v9
	v_lshlrev_b32_e32 v11, 20, v11
	v_and_b32_e32 v12, 0x80000000, v12
	v_and_b32_e32 v11, 0x700000, v11
	v_or3_b32 v70, v11, v12, v1
.LBB344_82:                             ;   in Loop: Header=BB344_15 Depth=1
	s_or_b32 exec_lo, exec_lo, s44
.LBB344_83:                             ;   in Loop: Header=BB344_15 Depth=1
	s_or_b32 exec_lo, exec_lo, s43
.LBB344_84:                             ;   in Loop: Header=BB344_15 Depth=1
	s_or_b32 exec_lo, exec_lo, s42
	v_cmp_ne_u16_sdwa s1, v9, v2 src0_sel:BYTE_1 src1_sel:DWORD
	s_and_saveexec_b32 s42, s1
	s_cbranch_execz .LBB344_92
; %bb.85:                               ;   in Loop: Header=BB344_15 Depth=1
	v_cmp_ne_u16_sdwa s1, v9, v56 src0_sel:BYTE_1 src1_sel:DWORD
	v_bfrev_b32_e32 v71, 1
	s_and_saveexec_b32 s43, s1
	s_cbranch_execz .LBB344_91
; %bb.86:                               ;   in Loop: Header=BB344_15 Depth=1
	v_and_b32_sdwa v1, v57, v9 dst_sel:DWORD dst_unused:UNUSED_PAD src0_sel:DWORD src1_sel:BYTE_1
	v_mov_b32_e32 v71, 0x7f800001
	s_mov_b32 s44, exec_lo
	v_and_b32_e32 v12, 0x7f, v1
	v_cmpx_ne_u32_e32 0x7f, v12
	s_cbranch_execz .LBB344_90
; %bb.87:                               ;   in Loop: Header=BB344_15 Depth=1
	v_and_b32_e32 v1, 7, v1
	v_lshrrev_b32_e32 v11, 3, v12
	s_mov_b32 s45, exec_lo
	v_cmpx_gt_u32_e32 8, v12
; %bb.88:                               ;   in Loop: Header=BB344_15 Depth=1
	v_ffbh_u32_e32 v11, v1
	v_min_u32_e32 v11, 32, v11
	v_subrev_nc_u32_e32 v12, 28, v11
	v_sub_nc_u32_e32 v11, 29, v11
	v_lshlrev_b64 v[71:72], v12, v[1:2]
	v_and_b32_e32 v1, 7, v71
; %bb.89:                               ;   in Loop: Header=BB344_15 Depth=1
	s_or_b32 exec_lo, exec_lo, s45
	v_lshlrev_b32_e32 v12, 16, v9
	v_lshlrev_b32_e32 v1, 20, v1
	v_lshl_add_u32 v11, v11, 23, 0x3c000000
	v_and_b32_e32 v12, 0x80000000, v12
	v_or3_b32 v71, v1, v12, v11
.LBB344_90:                             ;   in Loop: Header=BB344_15 Depth=1
	s_or_b32 exec_lo, exec_lo, s44
.LBB344_91:                             ;   in Loop: Header=BB344_15 Depth=1
	s_or_b32 exec_lo, exec_lo, s43
.LBB344_92:                             ;   in Loop: Header=BB344_15 Depth=1
	s_or_b32 exec_lo, exec_lo, s42
	v_and_b32_sdwa v1, v9, v58 dst_sel:DWORD dst_unused:UNUSED_PAD src0_sel:WORD_1 src1_sel:DWORD
	v_mov_b32_e32 v73, 0
	v_mov_b32_e32 v72, 0
	s_mov_b32 s42, exec_lo
	v_cmpx_ne_u16_e32 0, v1
	s_cbranch_execz .LBB344_100
; %bb.93:                               ;   in Loop: Header=BB344_15 Depth=1
	v_bfrev_b32_e32 v72, 1
	s_mov_b32 s43, exec_lo
	v_cmpx_ne_u16_e32 0x80, v1
	s_cbranch_execz .LBB344_99
; %bb.94:                               ;   in Loop: Header=BB344_15 Depth=1
	v_bfe_u32 v12, v9, 16, 7
	v_mov_b32_e32 v72, 0x7f800001
	s_mov_b32 s44, exec_lo
	v_cmpx_ne_u32_e32 0x7f, v12
	s_cbranch_execz .LBB344_98
; %bb.95:                               ;   in Loop: Header=BB344_15 Depth=1
	v_and_b32_sdwa v1, v9, v59 dst_sel:DWORD dst_unused:UNUSED_PAD src0_sel:WORD_1 src1_sel:DWORD
	v_lshrrev_b32_e32 v11, 3, v12
	s_mov_b32 s45, exec_lo
	v_cmpx_gt_u32_e32 8, v12
; %bb.96:                               ;   in Loop: Header=BB344_15 Depth=1
	v_ffbh_u32_e32 v11, v1
	v_min_u32_e32 v11, 32, v11
	v_subrev_nc_u32_e32 v12, 28, v11
	v_sub_nc_u32_e32 v11, 29, v11
	v_lshlrev_b64 v[74:75], v12, v[1:2]
	v_and_b32_e32 v1, 7, v74
; %bb.97:                               ;   in Loop: Header=BB344_15 Depth=1
	s_or_b32 exec_lo, exec_lo, s45
	v_lshlrev_b32_sdwa v12, v60, v9 dst_sel:DWORD dst_unused:UNUSED_PAD src0_sel:DWORD src1_sel:WORD_1
	v_lshlrev_b32_e32 v1, 20, v1
	v_lshl_add_u32 v11, v11, 23, 0x3c000000
	v_and_b32_e32 v12, 0x80000000, v12
	v_or3_b32 v72, v1, v12, v11
.LBB344_98:                             ;   in Loop: Header=BB344_15 Depth=1
	s_or_b32 exec_lo, exec_lo, s44
.LBB344_99:                             ;   in Loop: Header=BB344_15 Depth=1
	s_or_b32 exec_lo, exec_lo, s43
.LBB344_100:                            ;   in Loop: Header=BB344_15 Depth=1
	s_or_b32 exec_lo, exec_lo, s42
	s_mov_b32 s42, exec_lo
	v_cmpx_lt_u32_e32 0xffffff, v9
	s_cbranch_execz .LBB344_108
; %bb.101:                              ;   in Loop: Header=BB344_15 Depth=1
	v_cmp_ne_u32_sdwa s1, v9, v56 src0_sel:BYTE_3 src1_sel:DWORD
	v_bfrev_b32_e32 v73, 1
	s_and_saveexec_b32 s43, s1
	s_cbranch_execz .LBB344_107
; %bb.102:                              ;   in Loop: Header=BB344_15 Depth=1
	v_bfe_u32 v12, v9, 24, 7
	v_mov_b32_e32 v73, 0x7f800001
	s_mov_b32 s44, exec_lo
	v_cmpx_ne_u32_e32 0x7f, v12
	s_cbranch_execz .LBB344_106
; %bb.103:                              ;   in Loop: Header=BB344_15 Depth=1
	v_and_b32_sdwa v1, v9, v59 dst_sel:DWORD dst_unused:UNUSED_PAD src0_sel:BYTE_3 src1_sel:DWORD
	v_lshrrev_b32_e32 v11, 3, v12
	s_mov_b32 s45, exec_lo
	v_cmpx_gt_u32_e32 8, v12
; %bb.104:                              ;   in Loop: Header=BB344_15 Depth=1
	v_ffbh_u32_e32 v11, v1
	v_min_u32_e32 v11, 32, v11
	v_subrev_nc_u32_e32 v12, 28, v11
	v_sub_nc_u32_e32 v11, 29, v11
	v_lshlrev_b64 v[73:74], v12, v[1:2]
	v_and_b32_e32 v1, 7, v73
; %bb.105:                              ;   in Loop: Header=BB344_15 Depth=1
	s_or_b32 exec_lo, exec_lo, s45
	v_lshlrev_b32_sdwa v12, v60, v9 dst_sel:DWORD dst_unused:UNUSED_PAD src0_sel:DWORD src1_sel:BYTE_3
	v_lshlrev_b32_e32 v1, 20, v1
	v_lshl_add_u32 v11, v11, 23, 0x3c000000
	v_and_b32_e32 v12, 0x80000000, v12
	v_or3_b32 v73, v1, v12, v11
.LBB344_106:                            ;   in Loop: Header=BB344_15 Depth=1
	s_or_b32 exec_lo, exec_lo, s44
.LBB344_107:                            ;   in Loop: Header=BB344_15 Depth=1
	s_or_b32 exec_lo, exec_lo, s43
.LBB344_108:                            ;   in Loop: Header=BB344_15 Depth=1
	s_or_b32 exec_lo, exec_lo, s42
	v_mov_b32_e32 v1, v10
	v_cmp_ne_u16_sdwa s1, v10, v2 src0_sel:BYTE_0 src1_sel:DWORD
	v_mov_b32_e32 v75, 0
	v_mov_b32_e32 v74, 0
	s_and_saveexec_b32 s42, s1
	s_cbranch_execz .LBB344_114
; %bb.109:                              ;   in Loop: Header=BB344_15 Depth=1
	v_cmp_ne_u16_sdwa s1, v10, v56 src0_sel:BYTE_0 src1_sel:DWORD
	v_bfrev_b32_e32 v74, 1
	s_and_saveexec_b32 s43, s1
	s_cbranch_execz .LBB344_113
; %bb.110:                              ;   in Loop: Header=BB344_15 Depth=1
	v_and_b32_e32 v11, 0x7f, v10
	v_mov_b32_e32 v74, 0x7f800001
	s_mov_b32 s44, exec_lo
	v_cmpx_ne_u32_e32 0x7f, v11
	s_cbranch_execz .LBB344_112
; %bb.111:                              ;   in Loop: Header=BB344_15 Depth=1
	v_and_b32_e32 v12, 7, v10
	v_cmp_gt_u32_e64 s1, 8, v11
	v_lshrrev_b32_e32 v74, 3, v11
	v_ffbh_u32_e32 v12, v12
	v_min_u32_e32 v12, 32, v12
	v_subrev_nc_u32_e32 v76, 28, v12
	v_sub_nc_u32_e32 v12, 29, v12
	v_cndmask_b32_e64 v11, 0, v76, s1
	v_cndmask_b32_e64 v74, v74, v12, s1
	v_lshlrev_b64 v[11:12], v11, v[1:2]
	v_lshlrev_b32_e32 v12, 24, v1
	v_lshl_add_u32 v74, v74, 23, 0x3c000000
	v_lshlrev_b32_e32 v11, 20, v11
	v_and_b32_e32 v12, 0x80000000, v12
	v_and_b32_e32 v11, 0x700000, v11
	v_or3_b32 v74, v11, v12, v74
.LBB344_112:                            ;   in Loop: Header=BB344_15 Depth=1
	s_or_b32 exec_lo, exec_lo, s44
.LBB344_113:                            ;   in Loop: Header=BB344_15 Depth=1
	s_or_b32 exec_lo, exec_lo, s43
.LBB344_114:                            ;   in Loop: Header=BB344_15 Depth=1
	s_or_b32 exec_lo, exec_lo, s42
	v_cmp_ne_u16_sdwa s1, v1, v2 src0_sel:BYTE_1 src1_sel:DWORD
	s_and_saveexec_b32 s42, s1
	s_cbranch_execz .LBB344_122
; %bb.115:                              ;   in Loop: Header=BB344_15 Depth=1
	v_cmp_ne_u16_sdwa s1, v1, v56 src0_sel:BYTE_1 src1_sel:DWORD
	v_bfrev_b32_e32 v75, 1
	s_and_saveexec_b32 s43, s1
	s_cbranch_execz .LBB344_121
; %bb.116:                              ;   in Loop: Header=BB344_15 Depth=1
	v_and_b32_sdwa v11, v57, v1 dst_sel:DWORD dst_unused:UNUSED_PAD src0_sel:DWORD src1_sel:BYTE_1
	v_mov_b32_e32 v75, 0x7f800001
	s_mov_b32 s44, exec_lo
	v_and_b32_e32 v76, 0x7f, v11
	v_cmpx_ne_u32_e32 0x7f, v76
	s_cbranch_execz .LBB344_120
; %bb.117:                              ;   in Loop: Header=BB344_15 Depth=1
	v_and_b32_e32 v11, 7, v11
	v_mov_b32_e32 v12, v2
	v_lshrrev_b32_e32 v75, 3, v76
	s_mov_b32 s45, exec_lo
	v_cmpx_gt_u32_e32 8, v76
; %bb.118:                              ;   in Loop: Header=BB344_15 Depth=1
	v_ffbh_u32_e32 v75, v11
	v_min_u32_e32 v75, 32, v75
	v_subrev_nc_u32_e32 v76, 28, v75
	v_sub_nc_u32_e32 v75, 29, v75
	v_lshlrev_b64 v[11:12], v76, v[11:12]
	v_and_b32_e32 v11, 7, v11
; %bb.119:                              ;   in Loop: Header=BB344_15 Depth=1
	s_or_b32 exec_lo, exec_lo, s45
	v_lshlrev_b32_e32 v1, 16, v1
	v_lshlrev_b32_e32 v11, 20, v11
	v_lshl_add_u32 v12, v75, 23, 0x3c000000
	v_and_b32_e32 v1, 0x80000000, v1
	v_or3_b32 v75, v11, v1, v12
.LBB344_120:                            ;   in Loop: Header=BB344_15 Depth=1
	s_or_b32 exec_lo, exec_lo, s44
.LBB344_121:                            ;   in Loop: Header=BB344_15 Depth=1
	s_or_b32 exec_lo, exec_lo, s43
.LBB344_122:                            ;   in Loop: Header=BB344_15 Depth=1
	s_or_b32 exec_lo, exec_lo, s42
	v_and_b32_sdwa v1, v10, v58 dst_sel:DWORD dst_unused:UNUSED_PAD src0_sel:WORD_1 src1_sel:DWORD
	v_mov_b32_e32 v76, 0
	v_mov_b32_e32 v77, 0
	s_mov_b32 s42, exec_lo
	v_cmpx_ne_u16_e32 0, v1
	s_cbranch_execz .LBB344_130
; %bb.123:                              ;   in Loop: Header=BB344_15 Depth=1
	v_bfrev_b32_e32 v77, 1
	s_mov_b32 s43, exec_lo
	v_cmpx_ne_u16_e32 0x80, v1
	s_cbranch_execz .LBB344_129
; %bb.124:                              ;   in Loop: Header=BB344_15 Depth=1
	v_bfe_u32 v12, v10, 16, 7
	v_mov_b32_e32 v77, 0x7f800001
	s_mov_b32 s44, exec_lo
	v_cmpx_ne_u32_e32 0x7f, v12
	s_cbranch_execz .LBB344_128
; %bb.125:                              ;   in Loop: Header=BB344_15 Depth=1
	v_and_b32_sdwa v1, v10, v59 dst_sel:DWORD dst_unused:UNUSED_PAD src0_sel:WORD_1 src1_sel:DWORD
	v_lshrrev_b32_e32 v11, 3, v12
	s_mov_b32 s45, exec_lo
	v_cmpx_gt_u32_e32 8, v12
; %bb.126:                              ;   in Loop: Header=BB344_15 Depth=1
	v_ffbh_u32_e32 v11, v1
	v_min_u32_e32 v11, 32, v11
	v_subrev_nc_u32_e32 v12, 28, v11
	v_sub_nc_u32_e32 v11, 29, v11
	v_lshlrev_b64 v[77:78], v12, v[1:2]
	v_and_b32_e32 v1, 7, v77
; %bb.127:                              ;   in Loop: Header=BB344_15 Depth=1
	s_or_b32 exec_lo, exec_lo, s45
	v_lshlrev_b32_sdwa v12, v60, v10 dst_sel:DWORD dst_unused:UNUSED_PAD src0_sel:DWORD src1_sel:WORD_1
	v_lshlrev_b32_e32 v1, 20, v1
	v_lshl_add_u32 v11, v11, 23, 0x3c000000
	v_and_b32_e32 v12, 0x80000000, v12
	v_or3_b32 v77, v1, v12, v11
.LBB344_128:                            ;   in Loop: Header=BB344_15 Depth=1
	s_or_b32 exec_lo, exec_lo, s44
.LBB344_129:                            ;   in Loop: Header=BB344_15 Depth=1
	s_or_b32 exec_lo, exec_lo, s43
.LBB344_130:                            ;   in Loop: Header=BB344_15 Depth=1
	s_or_b32 exec_lo, exec_lo, s42
	s_mov_b32 s42, exec_lo
	v_cmpx_lt_u64_e64 s[4:5], v[9:10]
	s_cbranch_execz .LBB344_138
; %bb.131:                              ;   in Loop: Header=BB344_15 Depth=1
	v_cmp_ne_u32_sdwa s1, v10, v56 src0_sel:BYTE_3 src1_sel:DWORD
	v_bfrev_b32_e32 v76, 1
	s_and_saveexec_b32 s43, s1
	s_cbranch_execz .LBB344_137
; %bb.132:                              ;   in Loop: Header=BB344_15 Depth=1
	v_bfe_u32 v11, v10, 24, 7
	v_mov_b32_e32 v76, 0x7f800001
	s_mov_b32 s44, exec_lo
	v_cmpx_ne_u32_e32 0x7f, v11
	s_cbranch_execz .LBB344_136
; %bb.133:                              ;   in Loop: Header=BB344_15 Depth=1
	v_and_b32_sdwa v1, v10, v59 dst_sel:DWORD dst_unused:UNUSED_PAD src0_sel:BYTE_3 src1_sel:DWORD
	v_lshrrev_b32_e32 v9, 3, v11
	s_mov_b32 s45, exec_lo
	v_cmpx_gt_u32_e32 8, v11
; %bb.134:                              ;   in Loop: Header=BB344_15 Depth=1
	v_ffbh_u32_e32 v9, v1
	v_min_u32_e32 v9, 32, v9
	v_subrev_nc_u32_e32 v11, 28, v9
	v_sub_nc_u32_e32 v9, 29, v9
	v_lshlrev_b64 v[11:12], v11, v[1:2]
	v_and_b32_e32 v1, 7, v11
; %bb.135:                              ;   in Loop: Header=BB344_15 Depth=1
	s_or_b32 exec_lo, exec_lo, s45
	v_lshlrev_b32_sdwa v10, v60, v10 dst_sel:DWORD dst_unused:UNUSED_PAD src0_sel:DWORD src1_sel:BYTE_3
	v_lshlrev_b32_e32 v1, 20, v1
	v_lshl_add_u32 v9, v9, 23, 0x3c000000
	v_and_b32_e32 v10, 0x80000000, v10
	v_or3_b32 v76, v1, v10, v9
.LBB344_136:                            ;   in Loop: Header=BB344_15 Depth=1
	s_or_b32 exec_lo, exec_lo, s44
.LBB344_137:                            ;   in Loop: Header=BB344_15 Depth=1
	s_or_b32 exec_lo, exec_lo, s43
.LBB344_138:                            ;   in Loop: Header=BB344_15 Depth=1
	s_or_b32 exec_lo, exec_lo, s42
	global_load_dwordx2 v[9:10], v[7:8], off offset:512
	v_mov_b32_e32 v79, 0
	v_mov_b32_e32 v78, 0
	s_waitcnt vmcnt(0)
	v_cmp_ne_u16_sdwa s1, v9, v2 src0_sel:BYTE_0 src1_sel:DWORD
	s_and_saveexec_b32 s42, s1
	s_cbranch_execz .LBB344_144
; %bb.139:                              ;   in Loop: Header=BB344_15 Depth=1
	v_cmp_ne_u16_sdwa s1, v9, v56 src0_sel:BYTE_0 src1_sel:DWORD
	v_bfrev_b32_e32 v78, 1
	s_and_saveexec_b32 s43, s1
	s_cbranch_execz .LBB344_143
; %bb.140:                              ;   in Loop: Header=BB344_15 Depth=1
	v_and_b32_e32 v1, 0x7f, v9
	v_mov_b32_e32 v78, 0x7f800001
	s_mov_b32 s44, exec_lo
	v_cmpx_ne_u32_e32 0x7f, v1
	s_cbranch_execz .LBB344_142
; %bb.141:                              ;   in Loop: Header=BB344_15 Depth=1
	v_and_b32_e32 v11, 7, v9
	v_lshrrev_b32_e32 v12, 3, v1
	v_cmp_gt_u32_e64 s1, 8, v1
	v_ffbh_u32_e32 v11, v11
	v_min_u32_e32 v11, 32, v11
	v_subrev_nc_u32_e32 v78, 28, v11
	v_sub_nc_u32_e32 v11, 29, v11
	v_cndmask_b32_e64 v1, v12, v11, s1
	v_cndmask_b32_e64 v11, 0, v78, s1
	v_lshl_add_u32 v1, v1, 23, 0x3c000000
	v_lshlrev_b64 v[11:12], v11, v[9:10]
	v_lshlrev_b32_e32 v12, 24, v9
	v_lshlrev_b32_e32 v11, 20, v11
	v_and_b32_e32 v12, 0x80000000, v12
	v_and_b32_e32 v11, 0x700000, v11
	v_or3_b32 v78, v11, v12, v1
.LBB344_142:                            ;   in Loop: Header=BB344_15 Depth=1
	s_or_b32 exec_lo, exec_lo, s44
.LBB344_143:                            ;   in Loop: Header=BB344_15 Depth=1
	s_or_b32 exec_lo, exec_lo, s43
.LBB344_144:                            ;   in Loop: Header=BB344_15 Depth=1
	s_or_b32 exec_lo, exec_lo, s42
	v_cmp_ne_u16_sdwa s1, v9, v2 src0_sel:BYTE_1 src1_sel:DWORD
	s_and_saveexec_b32 s42, s1
	s_cbranch_execz .LBB344_152
; %bb.145:                              ;   in Loop: Header=BB344_15 Depth=1
	v_cmp_ne_u16_sdwa s1, v9, v56 src0_sel:BYTE_1 src1_sel:DWORD
	v_bfrev_b32_e32 v79, 1
	s_and_saveexec_b32 s43, s1
	s_cbranch_execz .LBB344_151
; %bb.146:                              ;   in Loop: Header=BB344_15 Depth=1
	v_and_b32_sdwa v1, v57, v9 dst_sel:DWORD dst_unused:UNUSED_PAD src0_sel:DWORD src1_sel:BYTE_1
	v_mov_b32_e32 v79, 0x7f800001
	s_mov_b32 s44, exec_lo
	v_and_b32_e32 v12, 0x7f, v1
	v_cmpx_ne_u32_e32 0x7f, v12
	s_cbranch_execz .LBB344_150
; %bb.147:                              ;   in Loop: Header=BB344_15 Depth=1
	v_and_b32_e32 v1, 7, v1
	v_lshrrev_b32_e32 v11, 3, v12
	s_mov_b32 s45, exec_lo
	v_cmpx_gt_u32_e32 8, v12
; %bb.148:                              ;   in Loop: Header=BB344_15 Depth=1
	v_ffbh_u32_e32 v11, v1
	v_min_u32_e32 v11, 32, v11
	v_subrev_nc_u32_e32 v12, 28, v11
	v_sub_nc_u32_e32 v11, 29, v11
	v_lshlrev_b64 v[79:80], v12, v[1:2]
	v_and_b32_e32 v1, 7, v79
; %bb.149:                              ;   in Loop: Header=BB344_15 Depth=1
	s_or_b32 exec_lo, exec_lo, s45
	v_lshlrev_b32_e32 v12, 16, v9
	v_lshlrev_b32_e32 v1, 20, v1
	v_lshl_add_u32 v11, v11, 23, 0x3c000000
	v_and_b32_e32 v12, 0x80000000, v12
	v_or3_b32 v79, v1, v12, v11
.LBB344_150:                            ;   in Loop: Header=BB344_15 Depth=1
	s_or_b32 exec_lo, exec_lo, s44
.LBB344_151:                            ;   in Loop: Header=BB344_15 Depth=1
	s_or_b32 exec_lo, exec_lo, s43
.LBB344_152:                            ;   in Loop: Header=BB344_15 Depth=1
	s_or_b32 exec_lo, exec_lo, s42
	v_and_b32_sdwa v1, v9, v58 dst_sel:DWORD dst_unused:UNUSED_PAD src0_sel:WORD_1 src1_sel:DWORD
	v_mov_b32_e32 v81, 0
	v_mov_b32_e32 v80, 0
	s_mov_b32 s42, exec_lo
	v_cmpx_ne_u16_e32 0, v1
	s_cbranch_execz .LBB344_160
; %bb.153:                              ;   in Loop: Header=BB344_15 Depth=1
	v_bfrev_b32_e32 v80, 1
	s_mov_b32 s43, exec_lo
	v_cmpx_ne_u16_e32 0x80, v1
	s_cbranch_execz .LBB344_159
; %bb.154:                              ;   in Loop: Header=BB344_15 Depth=1
	v_bfe_u32 v12, v9, 16, 7
	v_mov_b32_e32 v80, 0x7f800001
	s_mov_b32 s44, exec_lo
	v_cmpx_ne_u32_e32 0x7f, v12
	s_cbranch_execz .LBB344_158
; %bb.155:                              ;   in Loop: Header=BB344_15 Depth=1
	v_and_b32_sdwa v1, v9, v59 dst_sel:DWORD dst_unused:UNUSED_PAD src0_sel:WORD_1 src1_sel:DWORD
	v_lshrrev_b32_e32 v11, 3, v12
	s_mov_b32 s45, exec_lo
	v_cmpx_gt_u32_e32 8, v12
; %bb.156:                              ;   in Loop: Header=BB344_15 Depth=1
	v_ffbh_u32_e32 v11, v1
	v_min_u32_e32 v11, 32, v11
	v_subrev_nc_u32_e32 v12, 28, v11
	v_sub_nc_u32_e32 v11, 29, v11
	v_lshlrev_b64 v[82:83], v12, v[1:2]
	v_and_b32_e32 v1, 7, v82
; %bb.157:                              ;   in Loop: Header=BB344_15 Depth=1
	s_or_b32 exec_lo, exec_lo, s45
	v_lshlrev_b32_sdwa v12, v60, v9 dst_sel:DWORD dst_unused:UNUSED_PAD src0_sel:DWORD src1_sel:WORD_1
	v_lshlrev_b32_e32 v1, 20, v1
	v_lshl_add_u32 v11, v11, 23, 0x3c000000
	v_and_b32_e32 v12, 0x80000000, v12
	v_or3_b32 v80, v1, v12, v11
.LBB344_158:                            ;   in Loop: Header=BB344_15 Depth=1
	s_or_b32 exec_lo, exec_lo, s44
.LBB344_159:                            ;   in Loop: Header=BB344_15 Depth=1
	s_or_b32 exec_lo, exec_lo, s43
.LBB344_160:                            ;   in Loop: Header=BB344_15 Depth=1
	s_or_b32 exec_lo, exec_lo, s42
	s_mov_b32 s42, exec_lo
	v_cmpx_lt_u32_e32 0xffffff, v9
	s_cbranch_execz .LBB344_168
; %bb.161:                              ;   in Loop: Header=BB344_15 Depth=1
	v_cmp_ne_u32_sdwa s1, v9, v56 src0_sel:BYTE_3 src1_sel:DWORD
	v_bfrev_b32_e32 v81, 1
	s_and_saveexec_b32 s43, s1
	s_cbranch_execz .LBB344_167
; %bb.162:                              ;   in Loop: Header=BB344_15 Depth=1
	v_bfe_u32 v12, v9, 24, 7
	v_mov_b32_e32 v81, 0x7f800001
	s_mov_b32 s44, exec_lo
	v_cmpx_ne_u32_e32 0x7f, v12
	s_cbranch_execz .LBB344_166
; %bb.163:                              ;   in Loop: Header=BB344_15 Depth=1
	v_and_b32_sdwa v1, v9, v59 dst_sel:DWORD dst_unused:UNUSED_PAD src0_sel:BYTE_3 src1_sel:DWORD
	v_lshrrev_b32_e32 v11, 3, v12
	s_mov_b32 s45, exec_lo
	v_cmpx_gt_u32_e32 8, v12
; %bb.164:                              ;   in Loop: Header=BB344_15 Depth=1
	v_ffbh_u32_e32 v11, v1
	v_min_u32_e32 v11, 32, v11
	v_subrev_nc_u32_e32 v12, 28, v11
	v_sub_nc_u32_e32 v11, 29, v11
	v_lshlrev_b64 v[81:82], v12, v[1:2]
	v_and_b32_e32 v1, 7, v81
; %bb.165:                              ;   in Loop: Header=BB344_15 Depth=1
	s_or_b32 exec_lo, exec_lo, s45
	v_lshlrev_b32_sdwa v12, v60, v9 dst_sel:DWORD dst_unused:UNUSED_PAD src0_sel:DWORD src1_sel:BYTE_3
	v_lshlrev_b32_e32 v1, 20, v1
	v_lshl_add_u32 v11, v11, 23, 0x3c000000
	v_and_b32_e32 v12, 0x80000000, v12
	v_or3_b32 v81, v1, v12, v11
.LBB344_166:                            ;   in Loop: Header=BB344_15 Depth=1
	s_or_b32 exec_lo, exec_lo, s44
.LBB344_167:                            ;   in Loop: Header=BB344_15 Depth=1
	s_or_b32 exec_lo, exec_lo, s43
.LBB344_168:                            ;   in Loop: Header=BB344_15 Depth=1
	s_or_b32 exec_lo, exec_lo, s42
	v_mov_b32_e32 v1, v10
	v_cmp_ne_u16_sdwa s1, v10, v2 src0_sel:BYTE_0 src1_sel:DWORD
	v_mov_b32_e32 v12, 0
	v_mov_b32_e32 v82, 0
	s_and_saveexec_b32 s42, s1
	s_cbranch_execz .LBB344_174
; %bb.169:                              ;   in Loop: Header=BB344_15 Depth=1
	v_cmp_ne_u16_sdwa s1, v10, v56 src0_sel:BYTE_0 src1_sel:DWORD
	v_bfrev_b32_e32 v82, 1
	s_and_saveexec_b32 s43, s1
	s_cbranch_execz .LBB344_173
; %bb.170:                              ;   in Loop: Header=BB344_15 Depth=1
	v_and_b32_e32 v11, 0x7f, v10
	v_mov_b32_e32 v82, 0x7f800001
	s_mov_b32 s44, exec_lo
	v_cmpx_ne_u32_e32 0x7f, v11
	s_cbranch_execz .LBB344_172
; %bb.171:                              ;   in Loop: Header=BB344_15 Depth=1
	v_and_b32_e32 v82, 7, v10
	v_lshrrev_b32_e32 v83, 3, v11
	v_cmp_gt_u32_e64 s1, 8, v11
	v_ffbh_u32_e32 v82, v82
	v_min_u32_e32 v82, 32, v82
	v_subrev_nc_u32_e32 v84, 28, v82
	v_sub_nc_u32_e32 v82, 29, v82
	v_cndmask_b32_e64 v11, v83, v82, s1
	v_cndmask_b32_e64 v82, 0, v84, s1
	v_lshl_add_u32 v11, v11, 23, 0x3c000000
	v_lshlrev_b64 v[82:83], v82, v[1:2]
	v_lshlrev_b32_e32 v83, 24, v1
	v_lshlrev_b32_e32 v82, 20, v82
	v_and_b32_e32 v83, 0x80000000, v83
	v_and_b32_e32 v82, 0x700000, v82
	v_or3_b32 v82, v82, v83, v11
.LBB344_172:                            ;   in Loop: Header=BB344_15 Depth=1
	s_or_b32 exec_lo, exec_lo, s44
.LBB344_173:                            ;   in Loop: Header=BB344_15 Depth=1
	s_or_b32 exec_lo, exec_lo, s43
.LBB344_174:                            ;   in Loop: Header=BB344_15 Depth=1
	s_or_b32 exec_lo, exec_lo, s42
	v_cmp_ne_u16_sdwa s1, v1, v2 src0_sel:BYTE_1 src1_sel:DWORD
	s_and_saveexec_b32 s42, s1
	s_cbranch_execz .LBB344_182
; %bb.175:                              ;   in Loop: Header=BB344_15 Depth=1
	v_cmp_ne_u16_sdwa s1, v1, v56 src0_sel:BYTE_1 src1_sel:DWORD
	v_bfrev_b32_e32 v12, 1
	s_and_saveexec_b32 s43, s1
	s_cbranch_execz .LBB344_181
; %bb.176:                              ;   in Loop: Header=BB344_15 Depth=1
	v_and_b32_sdwa v11, v57, v1 dst_sel:DWORD dst_unused:UNUSED_PAD src0_sel:DWORD src1_sel:BYTE_1
	v_mov_b32_e32 v12, 0x7f800001
	s_mov_b32 s44, exec_lo
	v_and_b32_e32 v84, 0x7f, v11
	v_cmpx_ne_u32_e32 0x7f, v84
	s_cbranch_execz .LBB344_180
; %bb.177:                              ;   in Loop: Header=BB344_15 Depth=1
	v_and_b32_e32 v11, 7, v11
	v_mov_b32_e32 v12, v2
	v_lshrrev_b32_e32 v83, 3, v84
	s_mov_b32 s45, exec_lo
	v_cmpx_gt_u32_e32 8, v84
; %bb.178:                              ;   in Loop: Header=BB344_15 Depth=1
	v_ffbh_u32_e32 v83, v11
	v_min_u32_e32 v83, 32, v83
	v_subrev_nc_u32_e32 v84, 28, v83
	v_sub_nc_u32_e32 v83, 29, v83
	v_lshlrev_b64 v[11:12], v84, v[11:12]
	v_and_b32_e32 v11, 7, v11
; %bb.179:                              ;   in Loop: Header=BB344_15 Depth=1
	s_or_b32 exec_lo, exec_lo, s45
	v_lshlrev_b32_e32 v1, 16, v1
	v_lshlrev_b32_e32 v11, 20, v11
	v_lshl_add_u32 v12, v83, 23, 0x3c000000
	v_and_b32_e32 v1, 0x80000000, v1
	v_or3_b32 v12, v11, v1, v12
.LBB344_180:                            ;   in Loop: Header=BB344_15 Depth=1
	s_or_b32 exec_lo, exec_lo, s44
.LBB344_181:                            ;   in Loop: Header=BB344_15 Depth=1
	s_or_b32 exec_lo, exec_lo, s43
.LBB344_182:                            ;   in Loop: Header=BB344_15 Depth=1
	s_or_b32 exec_lo, exec_lo, s42
	v_and_b32_sdwa v1, v10, v58 dst_sel:DWORD dst_unused:UNUSED_PAD src0_sel:WORD_1 src1_sel:DWORD
	v_mov_b32_e32 v84, 0
	v_mov_b32_e32 v85, 0
	s_mov_b32 s42, exec_lo
	v_cmpx_ne_u16_e32 0, v1
	s_cbranch_execz .LBB344_190
; %bb.183:                              ;   in Loop: Header=BB344_15 Depth=1
	v_bfrev_b32_e32 v85, 1
	s_mov_b32 s43, exec_lo
	v_cmpx_ne_u16_e32 0x80, v1
	s_cbranch_execz .LBB344_189
; %bb.184:                              ;   in Loop: Header=BB344_15 Depth=1
	v_bfe_u32 v83, v10, 16, 7
	v_mov_b32_e32 v85, 0x7f800001
	s_mov_b32 s44, exec_lo
	v_cmpx_ne_u32_e32 0x7f, v83
	s_cbranch_execz .LBB344_188
; %bb.185:                              ;   in Loop: Header=BB344_15 Depth=1
	v_and_b32_sdwa v1, v10, v59 dst_sel:DWORD dst_unused:UNUSED_PAD src0_sel:WORD_1 src1_sel:DWORD
	v_lshrrev_b32_e32 v11, 3, v83
	s_mov_b32 s45, exec_lo
	v_cmpx_gt_u32_e32 8, v83
; %bb.186:                              ;   in Loop: Header=BB344_15 Depth=1
	v_ffbh_u32_e32 v11, v1
	v_min_u32_e32 v11, 32, v11
	v_subrev_nc_u32_e32 v83, 28, v11
	v_sub_nc_u32_e32 v11, 29, v11
	v_lshlrev_b64 v[85:86], v83, v[1:2]
	v_and_b32_e32 v1, 7, v85
; %bb.187:                              ;   in Loop: Header=BB344_15 Depth=1
	s_or_b32 exec_lo, exec_lo, s45
	v_lshlrev_b32_sdwa v83, v60, v10 dst_sel:DWORD dst_unused:UNUSED_PAD src0_sel:DWORD src1_sel:WORD_1
	v_lshlrev_b32_e32 v1, 20, v1
	v_lshl_add_u32 v11, v11, 23, 0x3c000000
	v_and_b32_e32 v83, 0x80000000, v83
	v_or3_b32 v85, v1, v83, v11
.LBB344_188:                            ;   in Loop: Header=BB344_15 Depth=1
	s_or_b32 exec_lo, exec_lo, s44
.LBB344_189:                            ;   in Loop: Header=BB344_15 Depth=1
	s_or_b32 exec_lo, exec_lo, s43
.LBB344_190:                            ;   in Loop: Header=BB344_15 Depth=1
	s_or_b32 exec_lo, exec_lo, s42
	s_mov_b32 s42, exec_lo
	v_cmpx_lt_u64_e64 s[4:5], v[9:10]
	s_cbranch_execz .LBB344_198
; %bb.191:                              ;   in Loop: Header=BB344_15 Depth=1
	v_cmp_ne_u32_sdwa s1, v10, v56 src0_sel:BYTE_3 src1_sel:DWORD
	v_bfrev_b32_e32 v84, 1
	s_and_saveexec_b32 s43, s1
	s_cbranch_execz .LBB344_197
; %bb.192:                              ;   in Loop: Header=BB344_15 Depth=1
	v_bfe_u32 v11, v10, 24, 7
	v_mov_b32_e32 v84, 0x7f800001
	s_mov_b32 s44, exec_lo
	v_cmpx_ne_u32_e32 0x7f, v11
	s_cbranch_execz .LBB344_196
; %bb.193:                              ;   in Loop: Header=BB344_15 Depth=1
	v_and_b32_sdwa v1, v10, v59 dst_sel:DWORD dst_unused:UNUSED_PAD src0_sel:BYTE_3 src1_sel:DWORD
	v_lshrrev_b32_e32 v9, 3, v11
	s_mov_b32 s45, exec_lo
	v_cmpx_gt_u32_e32 8, v11
; %bb.194:                              ;   in Loop: Header=BB344_15 Depth=1
	v_ffbh_u32_e32 v9, v1
	v_min_u32_e32 v9, 32, v9
	v_subrev_nc_u32_e32 v11, 28, v9
	v_sub_nc_u32_e32 v9, 29, v9
	v_lshlrev_b64 v[83:84], v11, v[1:2]
	v_and_b32_e32 v1, 7, v83
; %bb.195:                              ;   in Loop: Header=BB344_15 Depth=1
	s_or_b32 exec_lo, exec_lo, s45
	v_lshlrev_b32_sdwa v10, v60, v10 dst_sel:DWORD dst_unused:UNUSED_PAD src0_sel:DWORD src1_sel:BYTE_3
	v_lshlrev_b32_e32 v1, 20, v1
	v_lshl_add_u32 v9, v9, 23, 0x3c000000
	v_and_b32_e32 v10, 0x80000000, v10
	v_or3_b32 v84, v1, v10, v9
.LBB344_196:                            ;   in Loop: Header=BB344_15 Depth=1
	s_or_b32 exec_lo, exec_lo, s44
.LBB344_197:                            ;   in Loop: Header=BB344_15 Depth=1
	s_or_b32 exec_lo, exec_lo, s43
.LBB344_198:                            ;   in Loop: Header=BB344_15 Depth=1
	s_or_b32 exec_lo, exec_lo, s42
	global_load_dwordx2 v[7:8], v[7:8], off offset:520
	v_mov_b32_e32 v83, 0
	v_mov_b32_e32 v11, 0
	s_waitcnt vmcnt(0)
	v_cmp_ne_u16_sdwa s1, v7, v2 src0_sel:BYTE_0 src1_sel:DWORD
	s_and_saveexec_b32 s42, s1
	s_cbranch_execz .LBB344_204
; %bb.199:                              ;   in Loop: Header=BB344_15 Depth=1
	v_cmp_ne_u16_sdwa s1, v7, v56 src0_sel:BYTE_0 src1_sel:DWORD
	v_bfrev_b32_e32 v11, 1
	s_and_saveexec_b32 s43, s1
	s_cbranch_execz .LBB344_203
; %bb.200:                              ;   in Loop: Header=BB344_15 Depth=1
	v_and_b32_e32 v1, 0x7f, v7
	v_mov_b32_e32 v11, 0x7f800001
	s_mov_b32 s44, exec_lo
	v_cmpx_ne_u32_e32 0x7f, v1
	s_cbranch_execz .LBB344_202
; %bb.201:                              ;   in Loop: Header=BB344_15 Depth=1
	v_and_b32_e32 v9, 7, v7
	v_lshrrev_b32_e32 v10, 3, v1
	v_cmp_gt_u32_e64 s1, 8, v1
	v_ffbh_u32_e32 v9, v9
	v_min_u32_e32 v9, 32, v9
	v_subrev_nc_u32_e32 v11, 28, v9
	v_sub_nc_u32_e32 v9, 29, v9
	v_cndmask_b32_e64 v1, v10, v9, s1
	v_cndmask_b32_e64 v9, 0, v11, s1
	v_lshl_add_u32 v1, v1, 23, 0x3c000000
	v_lshlrev_b64 v[9:10], v9, v[7:8]
	v_lshlrev_b32_e32 v10, 24, v7
	v_lshlrev_b32_e32 v9, 20, v9
	v_and_b32_e32 v10, 0x80000000, v10
	v_and_b32_e32 v9, 0x700000, v9
	v_or3_b32 v11, v9, v10, v1
.LBB344_202:                            ;   in Loop: Header=BB344_15 Depth=1
	s_or_b32 exec_lo, exec_lo, s44
.LBB344_203:                            ;   in Loop: Header=BB344_15 Depth=1
	s_or_b32 exec_lo, exec_lo, s43
.LBB344_204:                            ;   in Loop: Header=BB344_15 Depth=1
	s_or_b32 exec_lo, exec_lo, s42
	v_cmp_ne_u16_sdwa s1, v7, v2 src0_sel:BYTE_1 src1_sel:DWORD
	s_and_saveexec_b32 s42, s1
	s_cbranch_execz .LBB344_212
; %bb.205:                              ;   in Loop: Header=BB344_15 Depth=1
	v_cmp_ne_u16_sdwa s1, v7, v56 src0_sel:BYTE_1 src1_sel:DWORD
	v_bfrev_b32_e32 v83, 1
	s_and_saveexec_b32 s43, s1
	s_cbranch_execz .LBB344_211
; %bb.206:                              ;   in Loop: Header=BB344_15 Depth=1
	v_and_b32_sdwa v1, v57, v7 dst_sel:DWORD dst_unused:UNUSED_PAD src0_sel:DWORD src1_sel:BYTE_1
	v_mov_b32_e32 v83, 0x7f800001
	s_mov_b32 s44, exec_lo
	v_and_b32_e32 v10, 0x7f, v1
	v_cmpx_ne_u32_e32 0x7f, v10
	s_cbranch_execz .LBB344_210
; %bb.207:                              ;   in Loop: Header=BB344_15 Depth=1
	v_and_b32_e32 v1, 7, v1
	v_lshrrev_b32_e32 v9, 3, v10
	s_mov_b32 s45, exec_lo
	v_cmpx_gt_u32_e32 8, v10
; %bb.208:                              ;   in Loop: Header=BB344_15 Depth=1
	v_ffbh_u32_e32 v9, v1
	v_min_u32_e32 v9, 32, v9
	v_subrev_nc_u32_e32 v10, 28, v9
	v_sub_nc_u32_e32 v9, 29, v9
	v_lshlrev_b64 v[86:87], v10, v[1:2]
	v_and_b32_e32 v1, 7, v86
; %bb.209:                              ;   in Loop: Header=BB344_15 Depth=1
	s_or_b32 exec_lo, exec_lo, s45
	v_lshlrev_b32_e32 v10, 16, v7
	v_lshlrev_b32_e32 v1, 20, v1
	v_lshl_add_u32 v9, v9, 23, 0x3c000000
	v_and_b32_e32 v10, 0x80000000, v10
	v_or3_b32 v83, v1, v10, v9
.LBB344_210:                            ;   in Loop: Header=BB344_15 Depth=1
	s_or_b32 exec_lo, exec_lo, s44
.LBB344_211:                            ;   in Loop: Header=BB344_15 Depth=1
	s_or_b32 exec_lo, exec_lo, s43
.LBB344_212:                            ;   in Loop: Header=BB344_15 Depth=1
	s_or_b32 exec_lo, exec_lo, s42
	v_and_b32_sdwa v1, v7, v58 dst_sel:DWORD dst_unused:UNUSED_PAD src0_sel:WORD_1 src1_sel:DWORD
	v_mov_b32_e32 v87, 0
	v_mov_b32_e32 v86, 0
	s_mov_b32 s42, exec_lo
	v_cmpx_ne_u16_e32 0, v1
	s_cbranch_execz .LBB344_220
; %bb.213:                              ;   in Loop: Header=BB344_15 Depth=1
	v_bfrev_b32_e32 v86, 1
	s_mov_b32 s43, exec_lo
	v_cmpx_ne_u16_e32 0x80, v1
	s_cbranch_execz .LBB344_219
; %bb.214:                              ;   in Loop: Header=BB344_15 Depth=1
	v_bfe_u32 v10, v7, 16, 7
	v_mov_b32_e32 v86, 0x7f800001
	s_mov_b32 s44, exec_lo
	v_cmpx_ne_u32_e32 0x7f, v10
	s_cbranch_execz .LBB344_218
; %bb.215:                              ;   in Loop: Header=BB344_15 Depth=1
	v_and_b32_sdwa v1, v7, v59 dst_sel:DWORD dst_unused:UNUSED_PAD src0_sel:WORD_1 src1_sel:DWORD
	v_lshrrev_b32_e32 v9, 3, v10
	s_mov_b32 s45, exec_lo
	v_cmpx_gt_u32_e32 8, v10
; %bb.216:                              ;   in Loop: Header=BB344_15 Depth=1
	v_ffbh_u32_e32 v9, v1
	v_min_u32_e32 v9, 32, v9
	v_subrev_nc_u32_e32 v10, 28, v9
	v_sub_nc_u32_e32 v9, 29, v9
	v_lshlrev_b64 v[88:89], v10, v[1:2]
	v_and_b32_e32 v1, 7, v88
; %bb.217:                              ;   in Loop: Header=BB344_15 Depth=1
	s_or_b32 exec_lo, exec_lo, s45
	v_lshlrev_b32_sdwa v10, v60, v7 dst_sel:DWORD dst_unused:UNUSED_PAD src0_sel:DWORD src1_sel:WORD_1
	v_lshlrev_b32_e32 v1, 20, v1
	v_lshl_add_u32 v9, v9, 23, 0x3c000000
	v_and_b32_e32 v10, 0x80000000, v10
	v_or3_b32 v86, v1, v10, v9
.LBB344_218:                            ;   in Loop: Header=BB344_15 Depth=1
	s_or_b32 exec_lo, exec_lo, s44
.LBB344_219:                            ;   in Loop: Header=BB344_15 Depth=1
	s_or_b32 exec_lo, exec_lo, s43
.LBB344_220:                            ;   in Loop: Header=BB344_15 Depth=1
	s_or_b32 exec_lo, exec_lo, s42
	s_mov_b32 s42, exec_lo
	v_cmpx_lt_u32_e32 0xffffff, v7
	s_cbranch_execz .LBB344_228
; %bb.221:                              ;   in Loop: Header=BB344_15 Depth=1
	v_cmp_ne_u32_sdwa s1, v7, v56 src0_sel:BYTE_3 src1_sel:DWORD
	v_bfrev_b32_e32 v87, 1
	s_and_saveexec_b32 s43, s1
	s_cbranch_execz .LBB344_227
; %bb.222:                              ;   in Loop: Header=BB344_15 Depth=1
	v_bfe_u32 v10, v7, 24, 7
	v_mov_b32_e32 v87, 0x7f800001
	s_mov_b32 s44, exec_lo
	v_cmpx_ne_u32_e32 0x7f, v10
	s_cbranch_execz .LBB344_226
; %bb.223:                              ;   in Loop: Header=BB344_15 Depth=1
	v_and_b32_sdwa v1, v7, v59 dst_sel:DWORD dst_unused:UNUSED_PAD src0_sel:BYTE_3 src1_sel:DWORD
	v_lshrrev_b32_e32 v9, 3, v10
	s_mov_b32 s45, exec_lo
	v_cmpx_gt_u32_e32 8, v10
; %bb.224:                              ;   in Loop: Header=BB344_15 Depth=1
	v_ffbh_u32_e32 v9, v1
	v_min_u32_e32 v9, 32, v9
	v_subrev_nc_u32_e32 v10, 28, v9
	v_sub_nc_u32_e32 v9, 29, v9
	v_lshlrev_b64 v[87:88], v10, v[1:2]
	v_and_b32_e32 v1, 7, v87
; %bb.225:                              ;   in Loop: Header=BB344_15 Depth=1
	s_or_b32 exec_lo, exec_lo, s45
	v_lshlrev_b32_sdwa v10, v60, v7 dst_sel:DWORD dst_unused:UNUSED_PAD src0_sel:DWORD src1_sel:BYTE_3
	v_lshlrev_b32_e32 v1, 20, v1
	v_lshl_add_u32 v9, v9, 23, 0x3c000000
	v_and_b32_e32 v10, 0x80000000, v10
	v_or3_b32 v87, v1, v10, v9
.LBB344_226:                            ;   in Loop: Header=BB344_15 Depth=1
	s_or_b32 exec_lo, exec_lo, s44
.LBB344_227:                            ;   in Loop: Header=BB344_15 Depth=1
	s_or_b32 exec_lo, exec_lo, s43
.LBB344_228:                            ;   in Loop: Header=BB344_15 Depth=1
	s_or_b32 exec_lo, exec_lo, s42
	v_mov_b32_e32 v1, v8
	v_cmp_ne_u16_sdwa s1, v8, v2 src0_sel:BYTE_0 src1_sel:DWORD
	v_mov_b32_e32 v9, 0
	v_mov_b32_e32 v88, 0
	s_and_saveexec_b32 s42, s1
	s_cbranch_execz .LBB344_234
; %bb.229:                              ;   in Loop: Header=BB344_15 Depth=1
	v_cmp_ne_u16_sdwa s1, v8, v56 src0_sel:BYTE_0 src1_sel:DWORD
	v_bfrev_b32_e32 v88, 1
	s_and_saveexec_b32 s43, s1
	s_cbranch_execz .LBB344_233
; %bb.230:                              ;   in Loop: Header=BB344_15 Depth=1
	v_and_b32_e32 v10, 0x7f, v8
	v_mov_b32_e32 v88, 0x7f800001
	s_mov_b32 s44, exec_lo
	v_cmpx_ne_u32_e32 0x7f, v10
	s_cbranch_execz .LBB344_232
; %bb.231:                              ;   in Loop: Header=BB344_15 Depth=1
	v_and_b32_e32 v88, 7, v8
	v_lshrrev_b32_e32 v89, 3, v10
	v_cmp_gt_u32_e64 s1, 8, v10
	v_ffbh_u32_e32 v88, v88
	v_min_u32_e32 v88, 32, v88
	v_subrev_nc_u32_e32 v90, 28, v88
	v_sub_nc_u32_e32 v88, 29, v88
	v_cndmask_b32_e64 v10, v89, v88, s1
	v_cndmask_b32_e64 v88, 0, v90, s1
	v_lshl_add_u32 v10, v10, 23, 0x3c000000
	v_lshlrev_b64 v[88:89], v88, v[1:2]
	v_lshlrev_b32_e32 v89, 24, v1
	v_lshlrev_b32_e32 v88, 20, v88
	v_and_b32_e32 v89, 0x80000000, v89
	v_and_b32_e32 v88, 0x700000, v88
	v_or3_b32 v88, v88, v89, v10
.LBB344_232:                            ;   in Loop: Header=BB344_15 Depth=1
	s_or_b32 exec_lo, exec_lo, s44
.LBB344_233:                            ;   in Loop: Header=BB344_15 Depth=1
	s_or_b32 exec_lo, exec_lo, s43
.LBB344_234:                            ;   in Loop: Header=BB344_15 Depth=1
	s_or_b32 exec_lo, exec_lo, s42
	v_cmp_ne_u16_sdwa s1, v1, v2 src0_sel:BYTE_1 src1_sel:DWORD
	s_and_saveexec_b32 s42, s1
	s_cbranch_execz .LBB344_242
; %bb.235:                              ;   in Loop: Header=BB344_15 Depth=1
	v_cmp_ne_u16_sdwa s1, v1, v56 src0_sel:BYTE_1 src1_sel:DWORD
	v_bfrev_b32_e32 v9, 1
	s_and_saveexec_b32 s43, s1
	s_cbranch_execz .LBB344_241
; %bb.236:                              ;   in Loop: Header=BB344_15 Depth=1
	v_and_b32_sdwa v10, v57, v1 dst_sel:DWORD dst_unused:UNUSED_PAD src0_sel:DWORD src1_sel:BYTE_1
	v_mov_b32_e32 v9, 0x7f800001
	s_mov_b32 s44, exec_lo
	v_and_b32_e32 v90, 0x7f, v10
	v_cmpx_ne_u32_e32 0x7f, v90
	s_cbranch_execz .LBB344_240
; %bb.237:                              ;   in Loop: Header=BB344_15 Depth=1
	v_and_b32_e32 v9, 7, v10
	v_mov_b32_e32 v10, v2
	v_lshrrev_b32_e32 v89, 3, v90
	s_mov_b32 s45, exec_lo
	v_cmpx_gt_u32_e32 8, v90
; %bb.238:                              ;   in Loop: Header=BB344_15 Depth=1
	v_ffbh_u32_e32 v89, v9
	v_min_u32_e32 v89, 32, v89
	v_subrev_nc_u32_e32 v90, 28, v89
	v_sub_nc_u32_e32 v89, 29, v89
	v_lshlrev_b64 v[9:10], v90, v[9:10]
	v_and_b32_e32 v9, 7, v9
; %bb.239:                              ;   in Loop: Header=BB344_15 Depth=1
	s_or_b32 exec_lo, exec_lo, s45
	v_lshlrev_b32_e32 v1, 16, v1
	v_lshlrev_b32_e32 v9, 20, v9
	v_lshl_add_u32 v10, v89, 23, 0x3c000000
	v_and_b32_e32 v1, 0x80000000, v1
	v_or3_b32 v9, v9, v1, v10
.LBB344_240:                            ;   in Loop: Header=BB344_15 Depth=1
	s_or_b32 exec_lo, exec_lo, s44
.LBB344_241:                            ;   in Loop: Header=BB344_15 Depth=1
	s_or_b32 exec_lo, exec_lo, s43
.LBB344_242:                            ;   in Loop: Header=BB344_15 Depth=1
	s_or_b32 exec_lo, exec_lo, s42
	v_and_b32_sdwa v1, v8, v58 dst_sel:DWORD dst_unused:UNUSED_PAD src0_sel:WORD_1 src1_sel:DWORD
	v_mov_b32_e32 v10, 0
	v_mov_b32_e32 v89, 0
	s_mov_b32 s42, exec_lo
	v_cmpx_ne_u16_e32 0, v1
	s_cbranch_execz .LBB344_250
; %bb.243:                              ;   in Loop: Header=BB344_15 Depth=1
	v_bfrev_b32_e32 v89, 1
	s_mov_b32 s43, exec_lo
	v_cmpx_ne_u16_e32 0x80, v1
	s_cbranch_execz .LBB344_249
; %bb.244:                              ;   in Loop: Header=BB344_15 Depth=1
	v_bfe_u32 v90, v8, 16, 7
	v_mov_b32_e32 v89, 0x7f800001
	s_mov_b32 s44, exec_lo
	v_cmpx_ne_u32_e32 0x7f, v90
	s_cbranch_execz .LBB344_248
; %bb.245:                              ;   in Loop: Header=BB344_15 Depth=1
	v_and_b32_sdwa v1, v8, v59 dst_sel:DWORD dst_unused:UNUSED_PAD src0_sel:WORD_1 src1_sel:DWORD
	v_lshrrev_b32_e32 v89, 3, v90
	s_mov_b32 s45, exec_lo
	v_cmpx_gt_u32_e32 8, v90
; %bb.246:                              ;   in Loop: Header=BB344_15 Depth=1
	v_ffbh_u32_e32 v89, v1
	v_min_u32_e32 v89, 32, v89
	v_subrev_nc_u32_e32 v90, 28, v89
	v_sub_nc_u32_e32 v89, 29, v89
	v_lshlrev_b64 v[90:91], v90, v[1:2]
	v_and_b32_e32 v1, 7, v90
; %bb.247:                              ;   in Loop: Header=BB344_15 Depth=1
	s_or_b32 exec_lo, exec_lo, s45
	v_lshlrev_b32_sdwa v90, v60, v8 dst_sel:DWORD dst_unused:UNUSED_PAD src0_sel:DWORD src1_sel:WORD_1
	v_lshlrev_b32_e32 v1, 20, v1
	v_lshl_add_u32 v89, v89, 23, 0x3c000000
	v_and_b32_e32 v90, 0x80000000, v90
	v_or3_b32 v89, v1, v90, v89
.LBB344_248:                            ;   in Loop: Header=BB344_15 Depth=1
	s_or_b32 exec_lo, exec_lo, s44
.LBB344_249:                            ;   in Loop: Header=BB344_15 Depth=1
	s_or_b32 exec_lo, exec_lo, s43
.LBB344_250:                            ;   in Loop: Header=BB344_15 Depth=1
	s_or_b32 exec_lo, exec_lo, s42
	s_mov_b32 s42, exec_lo
	v_cmpx_lt_u64_e64 s[4:5], v[7:8]
	s_cbranch_execz .LBB344_13
; %bb.251:                              ;   in Loop: Header=BB344_15 Depth=1
	v_cmp_ne_u32_sdwa s1, v8, v56 src0_sel:BYTE_3 src1_sel:DWORD
	v_bfrev_b32_e32 v10, 1
	s_and_saveexec_b32 s43, s1
	s_cbranch_execz .LBB344_12
; %bb.252:                              ;   in Loop: Header=BB344_15 Depth=1
	v_bfe_u32 v90, v8, 24, 7
	v_mov_b32_e32 v10, 0x7f800001
	s_mov_b32 s44, exec_lo
	v_cmpx_ne_u32_e32 0x7f, v90
	s_cbranch_execz .LBB344_11
; %bb.253:                              ;   in Loop: Header=BB344_15 Depth=1
	v_and_b32_sdwa v1, v8, v59 dst_sel:DWORD dst_unused:UNUSED_PAD src0_sel:BYTE_3 src1_sel:DWORD
	v_lshrrev_b32_e32 v7, 3, v90
	s_mov_b32 s45, exec_lo
	v_cmpx_gt_u32_e32 8, v90
	s_cbranch_execz .LBB344_10
; %bb.254:                              ;   in Loop: Header=BB344_15 Depth=1
	v_ffbh_u32_e32 v7, v1
	v_min_u32_e32 v7, 32, v7
	v_subrev_nc_u32_e32 v10, 28, v7
	v_sub_nc_u32_e32 v7, 29, v7
	v_lshlrev_b64 v[90:91], v10, v[1:2]
	v_and_b32_e32 v1, 7, v90
	s_branch .LBB344_10
.LBB344_255:
	s_or_b32 exec_lo, exec_lo, s40
.LBB344_256:
	s_or_b32 exec_lo, exec_lo, s36
	v_mbcnt_lo_u32_b32 v2, -1, 0
	v_max_f32_e32 v5, v34, v34
	v_xor_b32_e32 v1, 16, v2
	v_xor_b32_e32 v4, 8, v2
	v_cmp_gt_i32_e32 vcc_lo, 32, v1
	v_cndmask_b32_e32 v1, v2, v1, vcc_lo
	v_cmp_gt_i32_e32 vcc_lo, 32, v4
	v_lshlrev_b32_e32 v1, 2, v1
	v_cndmask_b32_e32 v4, v2, v4, vcc_lo
	ds_bpermute_b32 v3, v1, v34
	s_waitcnt lgkmcnt(0)
	v_max_f32_e32 v6, v3, v3
	v_lshlrev_b32_e32 v3, 2, v4
	v_max_f32_e32 v5, v5, v6
	v_xor_b32_e32 v6, 4, v2
	ds_bpermute_b32 v4, v3, v5
	v_cmp_gt_i32_e32 vcc_lo, 32, v6
	v_cndmask_b32_e32 v6, v2, v6, vcc_lo
	s_waitcnt lgkmcnt(0)
	v_max_f32_e32 v7, v4, v4
	v_lshlrev_b32_e32 v4, 2, v6
	v_max_f32_e32 v5, v5, v7
	v_xor_b32_e32 v7, 2, v2
	ds_bpermute_b32 v6, v4, v5
	v_cmp_gt_i32_e32 vcc_lo, 32, v7
	v_cndmask_b32_e32 v7, v2, v7, vcc_lo
	v_lshlrev_b32_e32 v24, 2, v7
	v_xor_b32_e32 v7, 1, v2
	v_cmp_gt_i32_e32 vcc_lo, 32, v7
	s_waitcnt lgkmcnt(0)
	v_max_f32_e32 v6, v6, v6
	v_cndmask_b32_e32 v7, v2, v7, vcc_lo
	v_cmp_eq_u32_e32 vcc_lo, 0, v22
	v_max_f32_e32 v5, v5, v6
	v_lshlrev_b32_e32 v25, 2, v7
	ds_bpermute_b32 v6, v24, v5
	s_waitcnt lgkmcnt(0)
	v_max_f32_e32 v6, v6, v6
	v_max_f32_e32 v2, v5, v6
	v_lshlrev_b32_e32 v5, 2, v21
	ds_bpermute_b32 v6, v25, v2
	s_and_saveexec_b32 s1, vcc_lo
	s_cbranch_execz .LBB344_258
; %bb.257:
	s_waitcnt lgkmcnt(0)
	v_max_f32_e32 v6, v6, v6
	v_max_f32_e32 v2, v2, v2
	;; [unrolled: 1-line block ×3, first 2 shown]
	ds_write_b32 v5, v2 offset:64
.LBB344_258:
	s_or_b32 exec_lo, exec_lo, s1
	v_cmp_gt_u32_e64 s1, 4, v22
	v_mov_b32_e32 v2, 0xff7fffff
	s_waitcnt lgkmcnt(0)
	s_barrier
	buffer_gl0_inv
	s_and_saveexec_b32 s2, s1
; %bb.259:
	ds_read_b32 v2, v14 offset:64
; %bb.260:
	s_or_b32 exec_lo, exec_lo, s2
	s_waitcnt lgkmcnt(0)
	ds_bpermute_b32 v6, v24, v2
	v_max_f32_e32 v2, v2, v2
	s_lshl_b32 s2, s20, 5
	s_min_i32 s4, s2, s33
	v_cmp_gt_i32_e64 s2, s4, v0
	s_waitcnt lgkmcnt(0)
	v_max_f32_e32 v6, v6, v6
	v_max_f32_e32 v2, v2, v6
	ds_bpermute_b32 v6, v25, v2
	s_waitcnt lgkmcnt(0)
	v_max_f32_e32 v6, v6, v6
	v_max_f32_e32 v2, v2, v6
	v_mov_b32_e32 v6, 0
	ds_bpermute_b32 v7, v6, v2
	v_lshl_add_u32 v2, v0, 2, 0x60
	s_and_saveexec_b32 s5, s2
	s_cbranch_execz .LBB344_264
; %bb.261:
	v_lshl_add_u32 v8, v0, 2, 0x60
	v_mov_b32_e32 v6, 0
	v_mov_b32_e32 v9, v0
	s_mov_b32 s12, 0
	.p2align	6
.LBB344_262:                            ; =>This Inner Loop Header: Depth=1
	ds_read_b32 v10, v8
	v_add_nc_u32_e32 v9, 0x80, v9
	v_cmp_le_i32_e64 s3, s4, v9
	s_or_b32 s12, s3, s12
	s_waitcnt lgkmcnt(0)
	v_sub_f32_e32 v10, v10, v7
	v_mul_f32_e32 v10, 0x3fb8aa3b, v10
	v_exp_f32_e32 v10, v10
	ds_write_b32 v8, v10
	v_add_f32_e32 v6, v6, v10
	v_add_nc_u32_e32 v8, 0x200, v8
	s_andn2_b32 exec_lo, exec_lo, s12
	s_cbranch_execnz .LBB344_262
; %bb.263:
	s_or_b32 exec_lo, exec_lo, s12
.LBB344_264:
	s_or_b32 exec_lo, exec_lo, s5
	ds_bpermute_b32 v1, v1, v6
	s_waitcnt lgkmcnt(0)
	v_add_f32_e32 v1, v6, v1
	ds_bpermute_b32 v3, v3, v1
	s_waitcnt lgkmcnt(0)
	v_add_f32_e32 v1, v1, v3
	;; [unrolled: 3-line block ×5, first 2 shown]
	s_and_saveexec_b32 s3, vcc_lo
; %bb.265:
	ds_write_b32 v5, v1 offset:80
; %bb.266:
	s_or_b32 exec_lo, exec_lo, s3
	s_waitcnt lgkmcnt(0)
	s_barrier
	buffer_gl0_inv
	s_and_saveexec_b32 s3, s1
; %bb.267:
	ds_read_b32 v1, v14 offset:80
; %bb.268:
	s_or_b32 exec_lo, exec_lo, s3
	s_waitcnt lgkmcnt(0)
	ds_bpermute_b32 v3, v24, v1
	s_waitcnt lgkmcnt(0)
	v_add_f32_e32 v1, v1, v3
	ds_bpermute_b32 v3, v25, v1
	s_waitcnt lgkmcnt(0)
	v_add_f32_e32 v1, v1, v3
	v_mov_b32_e32 v3, 0
	ds_bpermute_b32 v1, v3, v1
	s_and_saveexec_b32 s1, s2
	s_cbranch_execz .LBB344_271
; %bb.269:
	s_waitcnt lgkmcnt(0)
	v_add_f32_e32 v1, 0x358637bd, v1
	s_mov_b32 s2, 0
	v_div_scale_f32 v3, null, v1, v1, 1.0
	v_div_scale_f32 v6, vcc_lo, 1.0, v1, 1.0
	v_rcp_f32_e32 v4, v3
	v_fma_f32 v5, -v3, v4, 1.0
	v_fmac_f32_e32 v4, v5, v4
	v_mul_f32_e32 v5, v6, v4
	v_fma_f32 v7, -v3, v5, v6
	v_fmac_f32_e32 v5, v7, v4
	v_fma_f32 v3, -v3, v5, v6
	v_div_fmas_f32 v3, v3, v4, v5
	v_div_fixup_f32 v1, v3, v1, 1.0
	v_mov_b32_e32 v3, v0
.LBB344_270:                            ; =>This Inner Loop Header: Depth=1
	ds_read_b32 v4, v2
	v_add_nc_u32_e32 v3, 0x80, v3
	v_cmp_le_i32_e32 vcc_lo, s4, v3
	s_or_b32 s2, vcc_lo, s2
	s_waitcnt lgkmcnt(0)
	v_mul_f32_e32 v4, v1, v4
	ds_write_b32 v2, v4
	v_add_nc_u32_e32 v2, 0x200, v2
	s_andn2_b32 exec_lo, exec_lo, s2
	s_cbranch_execnz .LBB344_270
.LBB344_271:
	s_or_b32 exec_lo, exec_lo, s1
	v_mov_b32_e32 v30, 0
	v_and_b32_e32 v26, 3, v0
	v_mov_b32_e32 v29, 0
	v_mov_b32_e32 v28, 0
	;; [unrolled: 1-line block ×3, first 2 shown]
	s_waitcnt lgkmcnt(0)
	s_barrier
	buffer_gl0_inv
	s_and_saveexec_b32 s1, s0
	s_cbranch_execz .LBB344_525
; %bb.272:
	s_sub_i32 s4, s34, s21
	s_ashr_i32 s0, s18, 31
	s_add_u32 s18, s30, s18
	s_addc_u32 s0, s31, s0
	s_abs_i32 s5, s22
	v_lshlrev_b32_e32 v2, 3, v0
	v_cvt_f32_u32_e32 v1, s5
	s_sub_i32 s2, 0, s5
	v_lshlrev_b32_e32 v4, 5, v26
	v_and_b32_e32 v3, 0x7c, v13
	s_add_i32 s13, s20, -1
	v_rcp_iflag_f32_e32 v1, v1
	v_and_b32_e32 v36, 24, v2
	v_and_b32_e32 v2, 0xf8, v2
	v_lshl_or_b32 v4, v21, 7, v4
	v_mov_b32_e32 v10, 0
	v_mov_b32_e32 v31, 0x80
	;; [unrolled: 1-line block ×6, first 2 shown]
	v_mul_f32_e32 v1, 0x4f7ffffe, v1
	v_mov_b32_e32 v27, 0
	v_mov_b32_e32 v28, 0
	;; [unrolled: 1-line block ×4, first 2 shown]
	v_cvt_u32_f32_e32 v1, v1
	v_add_nc_u32_e32 v37, 0x60, v4
	v_mov_b32_e32 v39, v21
	s_mov_b32 s12, s17
	s_mov_b32 s17, 0
	v_mul_lo_u32 v5, s2, v1
	s_lshl_b64 s[2:3], s[28:29], 2
	s_add_u32 s2, s26, s2
	s_addc_u32 s3, s27, s3
	v_add_co_u32 v11, s2, s2, v3
	v_add_co_ci_u32_e64 v12, null, s3, 0, s2
	v_mul_hi_u32 v5, v1, v5
	v_add_co_u32 v13, s2, s18, v2
	v_add_co_ci_u32_e64 v14, null, s0, 0, s2
	s_mov_b32 s2, -1
	s_mov_b32 s3, 0xffffff
	v_add_nc_u32_e32 v38, v1, v5
	s_branch .LBB344_275
.LBB344_273:                            ;   in Loop: Header=BB344_275 Depth=1
	s_or_b32 exec_lo, exec_lo, s0
	v_bfe_u32 v48, v5, 16, 1
	v_bfe_u32 v49, v6, 16, 1
	v_or_b32_e32 v50, 0x400000, v5
	v_cmp_u_f32_e32 vcc_lo, v5, v5
	v_or_b32_e32 v51, 0x400000, v6
	v_add3_u32 v48, v48, v5, 0x7fff
	v_bfe_u32 v52, v7, 16, 1
	v_add3_u32 v49, v49, v6, 0x7fff
	v_bfe_u32 v53, v8, 16, 1
	v_lshlrev_b32_e32 v19, 16, v19
	v_cndmask_b32_e32 v5, v48, v50, vcc_lo
	v_cmp_u_f32_e32 vcc_lo, v6, v6
	v_add3_u32 v48, v52, v7, 0x7fff
	v_add3_u32 v50, v53, v8, 0x7fff
	v_bfe_u32 v52, v1, 16, 1
	v_and_b32_e32 v5, 0xffff0000, v5
	v_cndmask_b32_e32 v6, v49, v51, vcc_lo
	v_or_b32_e32 v49, 0x400000, v7
	v_cmp_u_f32_e32 vcc_lo, v7, v7
	v_or_b32_e32 v51, 0x400000, v8
	v_or_b32_e32 v53, 0x400000, v4
	v_lshlrev_b32_e32 v20, 16, v20
	v_lshlrev_b32_e32 v65, 16, v65
	v_cndmask_b32_e32 v7, v48, v49, vcc_lo
	v_cmp_u_f32_e32 vcc_lo, v8, v8
	v_bfe_u32 v48, v2, 16, 1
	v_add3_u32 v49, v52, v1, 0x7fff
	v_bfe_u32 v52, v3, 16, 1
	v_lshlrev_b32_e32 v47, 16, v47
	v_cndmask_b32_e32 v8, v50, v51, vcc_lo
	v_or_b32_e32 v50, 0x400000, v1
	v_cmp_u_f32_e32 vcc_lo, v1, v1
	v_add3_u32 v48, v48, v2, 0x7fff
	v_or_b32_e32 v51, 0x400000, v2
	v_and_b32_e32 v1, 0xffff0000, v6
	v_lshlrev_b32_e32 v6, 16, v69
	v_cndmask_b32_e32 v49, v49, v50, vcc_lo
	v_cmp_u_f32_e32 vcc_lo, v2, v2
	v_add3_u32 v2, v52, v3, 0x7fff
	v_bfe_u32 v50, v4, 16, 1
	v_or_b32_e32 v52, 0x400000, v3
	v_mul_f32_e32 v6, v1, v6
	v_cndmask_b32_e32 v48, v48, v51, vcc_lo
	v_lshlrev_b32_e32 v51, 16, v68
	v_cmp_u_f32_e32 vcc_lo, v3, v3
	v_add3_u32 v50, v50, v4, 0x7fff
	v_bfe_u32 v3, v6, 16, 1
	v_mul_f32_e32 v47, v1, v47
	v_mul_f32_e32 v51, v5, v51
	v_cndmask_b32_e32 v52, v2, v52, vcc_lo
	v_cmp_u_f32_e32 vcc_lo, v4, v4
	v_and_b32_e32 v2, 0xffff0000, v8
	v_lshlrev_b32_e32 v8, 16, v66
	v_add3_u32 v3, v3, v6, 0x7fff
	v_or_b32_e32 v54, 0x400000, v51
	v_cndmask_b32_e32 v4, v50, v53, vcc_lo
	v_bfe_u32 v50, v51, 16, 1
	v_or_b32_e32 v53, 0x400000, v6
	v_mul_f32_e32 v55, v2, v8
	v_and_b32_e32 v8, 0xffff0000, v7
	v_lshlrev_b32_e32 v7, 16, v67
	v_cmp_u_f32_e32 vcc_lo, v6, v6
	v_add3_u32 v50, v50, v51, 0x7fff
	v_and_b32_e32 v6, 0xffff0000, v49
	v_or_b32_e32 v49, 0x400000, v55
	v_mul_f32_e32 v7, v8, v7
	v_cndmask_b32_e32 v53, v3, v53, vcc_lo
	v_cmp_u_f32_e32 vcc_lo, v51, v51
	v_bfe_u32 v51, v55, 16, 1
	v_and_b32_e32 v3, 0xffff0000, v48
	v_mul_f32_e32 v20, v6, v20
	v_and_b32_e32 v4, 0xffff0000, v4
	v_cndmask_b32_e32 v50, v50, v54, vcc_lo
	v_add3_u32 v48, v51, v55, 0x7fff
	v_bfe_u32 v51, v7, 16, 1
	v_mul_f32_e32 v19, v3, v19
	v_cmp_u_f32_e32 vcc_lo, v55, v55
	v_bfe_u32 v55, v20, 16, 1
	v_mul_f32_e32 v65, v4, v65
	v_and_b32_e32 v50, 0xffff0000, v50
	v_bfe_u32 v54, v19, 16, 1
	v_cndmask_b32_e32 v48, v48, v49, vcc_lo
	v_add3_u32 v49, v51, v7, 0x7fff
	v_or_b32_e32 v51, 0x400000, v7
	v_cmp_u_f32_e32 vcc_lo, v7, v7
	v_and_b32_e32 v7, 0xffff0000, v52
	v_lshlrev_b32_e32 v52, 16, v64
	v_add3_u32 v55, v55, v20, 0x7fff
	v_or_b32_e32 v64, 0x400000, v20
	v_cndmask_b32_e32 v49, v49, v51, vcc_lo
	v_add3_u32 v51, v54, v19, 0x7fff
	v_or_b32_e32 v54, 0x400000, v19
	v_cmp_u_f32_e32 vcc_lo, v19, v19
	v_bfe_u32 v66, v65, 16, 1
	v_and_b32_e32 v49, 0xffff0000, v49
	v_and_b32_e32 v48, 0xffff0000, v48
	;; [unrolled: 1-line block ×3, first 2 shown]
	v_cndmask_b32_e32 v19, v51, v54, vcc_lo
	v_mul_f32_e32 v51, v7, v52
	v_cmp_u_f32_e32 vcc_lo, v20, v20
	v_add3_u32 v52, v66, v65, 0x7fff
	v_or_b32_e32 v54, 0x400000, v65
	v_add_f32_e32 v48, v49, v48
	v_lshlrev_b32_e32 v49, 16, v63
	v_cndmask_b32_e32 v20, v55, v64, vcc_lo
	v_bfe_u32 v55, v51, 16, 1
	v_cmp_u_f32_e32 vcc_lo, v65, v65
	v_add_f32_e32 v50, v50, v53
	v_and_b32_e32 v19, 0xffff0000, v19
	v_and_b32_e32 v20, 0xffff0000, v20
	v_lshlrev_b32_e32 v53, 16, v62
	v_cndmask_b32_e32 v52, v52, v54, vcc_lo
	v_add3_u32 v54, v55, v51, 0x7fff
	v_or_b32_e32 v55, 0x400000, v51
	v_cmp_u_f32_e32 vcc_lo, v51, v51
	v_mul_f32_e32 v49, v1, v49
	v_add_f32_e32 v48, v48, v50
	v_add_f32_e32 v19, v20, v19
	v_mul_f32_e32 v50, v5, v53
	v_cndmask_b32_e32 v51, v54, v55, vcc_lo
	v_bfe_u32 v53, v49, 16, 1
	v_cmp_u_f32_e32 vcc_lo, v49, v49
	v_add_f32_e32 v19, v19, v48
	v_bfe_u32 v48, v50, 16, 1
	v_and_b32_e32 v20, 0xffff0000, v51
	v_and_b32_e32 v51, 0xffff0000, v52
	v_lshlrev_b32_e32 v52, 16, v59
	v_or_b32_e32 v54, 0x400000, v50
	v_add3_u32 v48, v48, v50, 0x7fff
	v_lshlrev_b32_e32 v59, 16, v61
	v_add_f32_e32 v20, v20, v51
	v_mul_f32_e32 v51, v2, v52
	v_add3_u32 v52, v53, v49, 0x7fff
	v_or_b32_e32 v53, 0x400000, v49
	v_lshlrev_b32_e32 v46, 16, v46
	v_lshlrev_b32_e32 v43, 16, v43
	v_bfe_u32 v55, v51, 16, 1
	v_lshlrev_b32_e32 v45, 16, v45
	v_cndmask_b32_e32 v49, v52, v53, vcc_lo
	v_cmp_u_f32_e32 vcc_lo, v50, v50
	v_mul_f32_e32 v50, v8, v59
	v_add3_u32 v52, v55, v51, 0x7fff
	v_or_b32_e32 v53, 0x400000, v51
	v_lshlrev_b32_e32 v55, 16, v57
	v_cndmask_b32_e32 v48, v48, v54, vcc_lo
	v_lshlrev_b32_e32 v54, 16, v56
	v_cmp_u_f32_e32 vcc_lo, v51, v51
	v_bfe_u32 v56, v50, 16, 1
	v_and_b32_e32 v49, 0xffff0000, v49
	v_and_b32_e32 v48, 0xffff0000, v48
	v_mul_f32_e32 v46, v5, v46
	v_cndmask_b32_e32 v51, v52, v53, vcc_lo
	v_mul_f32_e32 v52, v3, v54
	v_mul_f32_e32 v53, v6, v55
	v_add3_u32 v54, v56, v50, 0x7fff
	v_or_b32_e32 v55, 0x400000, v50
	v_lshlrev_b32_e32 v56, 16, v60
	v_bfe_u32 v57, v52, 16, 1
	v_cmp_u_f32_e32 vcc_lo, v50, v50
	v_bfe_u32 v59, v53, 16, 1
	v_and_b32_e32 v51, 0xffff0000, v51
	v_add_f32_e32 v48, v48, v49
	v_mul_f32_e32 v43, v2, v43
	v_cndmask_b32_e32 v50, v54, v55, vcc_lo
	v_mul_f32_e32 v54, v4, v56
	v_add3_u32 v55, v57, v52, 0x7fff
	v_or_b32_e32 v56, 0x400000, v52
	v_cmp_u_f32_e32 vcc_lo, v52, v52
	v_add3_u32 v57, v59, v53, 0x7fff
	v_or_b32_e32 v59, 0x400000, v53
	v_bfe_u32 v60, v54, 16, 1
	v_and_b32_e32 v50, 0xffff0000, v50
	v_cndmask_b32_e32 v52, v55, v56, vcc_lo
	v_lshlrev_b32_e32 v55, 16, v58
	v_cmp_u_f32_e32 vcc_lo, v53, v53
	v_add3_u32 v56, v60, v54, 0x7fff
	v_add_f32_e32 v49, v50, v51
	v_and_b32_e32 v51, 0xffff0000, v52
	v_mul_f32_e32 v55, v7, v55
	v_cndmask_b32_e32 v53, v57, v59, vcc_lo
	v_or_b32_e32 v57, 0x400000, v54
	v_cmp_u_f32_e32 vcc_lo, v54, v54
	v_add_f32_e32 v48, v49, v48
	v_lshlrev_b32_e32 v41, 16, v41
	v_and_b32_e32 v50, 0xffff0000, v53
	v_or_b32_e32 v53, 0x400000, v55
	v_cndmask_b32_e32 v54, v56, v57, vcc_lo
	v_bfe_u32 v56, v55, 16, 1
	v_cmp_u_f32_e32 vcc_lo, v55, v55
	v_add_f32_e32 v49, v50, v51
	v_bfe_u32 v51, v47, 16, 1
	v_mul_f32_e32 v45, v8, v45
	v_add3_u32 v52, v56, v55, 0x7fff
	v_mul_f32_e32 v41, v3, v41
	v_add_f32_e32 v48, v49, v48
	v_lshlrev_b32_e32 v40, 16, v40
	v_lshlrev_b32_e32 v44, 16, v44
	v_cndmask_b32_e32 v50, v52, v53, vcc_lo
	v_bfe_u32 v53, v46, 16, 1
	v_cmp_u_f32_e32 vcc_lo, v47, v47
	v_and_b32_e32 v52, 0xffff0000, v54
	v_or_b32_e32 v54, 0x400000, v43
	v_and_b32_e32 v49, 0xffff0000, v50
	v_add3_u32 v50, v51, v47, 0x7fff
	v_or_b32_e32 v51, 0x400000, v47
	v_mul_f32_e32 v40, v6, v40
	v_mul_f32_e32 v44, v4, v44
	v_lshlrev_b32_e32 v42, 16, v42
	v_lshlrev_b32_e32 v16, 16, v16
	v_cndmask_b32_e32 v47, v50, v51, vcc_lo
	v_bfe_u32 v50, v43, 16, 1
	v_add3_u32 v51, v53, v46, 0x7fff
	v_or_b32_e32 v53, 0x400000, v46
	v_cmp_u_f32_e32 vcc_lo, v46, v46
	v_mul_f32_e32 v42, v7, v42
	v_add3_u32 v50, v50, v43, 0x7fff
	v_and_b32_e32 v47, 0xffff0000, v47
	v_mul_f32_e32 v2, v2, v16
	v_cndmask_b32_e32 v46, v51, v53, vcc_lo
	v_bfe_u32 v51, v45, 16, 1
	v_cmp_u_f32_e32 vcc_lo, v43, v43
	v_or_b32_e32 v53, 0x400000, v45
	v_lshlrev_b32_e32 v15, 16, v15
	v_and_b32_e32 v46, 0xffff0000, v46
	v_add3_u32 v51, v51, v45, 0x7fff
	v_cndmask_b32_e32 v43, v50, v54, vcc_lo
	v_bfe_u32 v50, v41, 16, 1
	v_cmp_u_f32_e32 vcc_lo, v45, v45
	v_or_b32_e32 v54, 0x400000, v41
	v_add_f32_e32 v46, v46, v47
	v_and_b32_e32 v43, 0xffff0000, v43
	v_add3_u32 v50, v50, v41, 0x7fff
	v_cndmask_b32_e32 v45, v51, v53, vcc_lo
	v_bfe_u32 v51, v40, 16, 1
	v_cmp_u_f32_e32 vcc_lo, v41, v41
	v_bfe_u32 v53, v44, 16, 1
	v_mul_f32_e32 v6, v6, v15
	v_and_b32_e32 v45, 0xffff0000, v45
	v_lshlrev_b32_e32 v9, 16, v9
	v_cndmask_b32_e32 v41, v50, v54, vcc_lo
	v_add3_u32 v50, v51, v40, 0x7fff
	v_or_b32_e32 v51, 0x400000, v40
	v_cmp_u_f32_e32 vcc_lo, v40, v40
	v_add3_u32 v53, v53, v44, 0x7fff
	v_or_b32_e32 v54, 0x400000, v44
	v_add_f32_e32 v43, v45, v43
	v_and_b32_e32 v41, 0xffff0000, v41
	v_cndmask_b32_e32 v40, v50, v51, vcc_lo
	v_cmp_u_f32_e32 vcc_lo, v44, v44
	v_bfe_u32 v50, v42, 16, 1
	v_lshlrev_b32_e32 v45, 16, v71
	v_or_b32_e32 v51, 0x400000, v42
	v_and_b32_e32 v40, 0xffff0000, v40
	v_cndmask_b32_e32 v44, v53, v54, vcc_lo
	v_lshlrev_b32_e32 v53, 16, v72
	v_add3_u32 v50, v50, v42, 0x7fff
	v_cmp_u_f32_e32 vcc_lo, v42, v42
	v_add_f32_e32 v43, v43, v46
	v_add_f32_e32 v40, v40, v41
	v_mul_f32_e32 v5, v5, v53
	v_mul_f32_e32 v1, v1, v45
	v_lshlrev_b32_e32 v41, 16, v70
	v_cndmask_b32_e32 v42, v50, v51, vcc_lo
	v_mul_f32_e32 v3, v3, v9
	v_bfe_u32 v46, v5, 16, 1
	v_bfe_u32 v47, v1, 16, 1
	v_mul_f32_e32 v8, v8, v41
	v_cmp_u_f32_e32 vcc_lo, v5, v5
	v_lshlrev_b32_e32 v9, 16, v18
	v_add3_u32 v45, v46, v5, 0x7fff
	v_or_b32_e32 v46, 0x400000, v5
	v_add3_u32 v41, v47, v1, 0x7fff
	v_lshlrev_b32_e32 v17, 16, v17
	v_mul_f32_e32 v7, v7, v9
	v_or_b32_e32 v9, 0x400000, v6
	v_cndmask_b32_e32 v5, v45, v46, vcc_lo
	v_or_b32_e32 v45, 0x400000, v1
	v_bfe_u32 v46, v8, 16, 1
	v_cmp_u_f32_e32 vcc_lo, v1, v1
	v_mul_f32_e32 v4, v4, v17
	v_or_b32_e32 v17, 0x400000, v3
	v_bfe_u32 v18, v7, 16, 1
	v_add3_u32 v16, v46, v8, 0x7fff
	v_cndmask_b32_e32 v1, v41, v45, vcc_lo
	v_or_b32_e32 v41, 0x400000, v8
	v_bfe_u32 v45, v2, 16, 1
	v_cmp_u_f32_e32 vcc_lo, v8, v8
	v_and_b32_e32 v5, 0xffff0000, v5
	v_and_b32_e32 v1, 0xffff0000, v1
	v_and_b32_e32 v42, 0xffff0000, v42
	v_add3_u32 v15, v45, v2, 0x7fff
	v_cndmask_b32_e32 v8, v16, v41, vcc_lo
	v_or_b32_e32 v16, 0x400000, v2
	v_bfe_u32 v41, v6, 16, 1
	v_cmp_u_f32_e32 vcc_lo, v2, v2
	v_add_f32_e32 v1, v5, v1
	v_and_b32_e32 v8, 0xffff0000, v8
	v_cndmask_b32_e32 v2, v15, v16, vcc_lo
	v_bfe_u32 v15, v3, 16, 1
	v_add3_u32 v16, v41, v6, 0x7fff
	v_cmp_u_f32_e32 vcc_lo, v6, v6
	v_bfe_u32 v41, v4, 16, 1
	v_and_b32_e32 v2, 0xffff0000, v2
	v_add3_u32 v15, v15, v3, 0x7fff
	v_cndmask_b32_e32 v6, v16, v9, vcc_lo
	v_cmp_u_f32_e32 vcc_lo, v3, v3
	v_or_b32_e32 v16, 0x400000, v4
	v_add3_u32 v9, v18, v7, 0x7fff
	v_add_f32_e32 v2, v8, v2
	v_and_b32_e32 v5, 0xffff0000, v6
	v_cndmask_b32_e32 v3, v15, v17, vcc_lo
	v_add3_u32 v15, v41, v4, 0x7fff
	v_cmp_u_f32_e32 vcc_lo, v4, v4
	v_or_b32_e32 v17, 0x400000, v7
	v_add_f32_e32 v1, v2, v1
	v_and_b32_e32 v3, 0xffff0000, v3
	v_cndmask_b32_e32 v4, v15, v16, vcc_lo
	v_cmp_u_f32_e32 vcc_lo, v7, v7
	v_and_b32_e32 v7, 0xffff0000, v44
	v_add_f32_e32 v2, v5, v3
	v_add_f32_e32 v5, v49, v52
	v_and_b32_e32 v3, 0xffff0000, v4
	v_cndmask_b32_e32 v6, v9, v17, vcc_lo
	v_add_f32_e32 v7, v42, v7
	v_add_f32_e32 v1, v2, v1
	v_and_b32_e32 v4, 0xffff0000, v6
	v_add_f32_e32 v6, v40, v43
	v_add_f32_e32 v2, v4, v3
	;; [unrolled: 1-line block ×10, first 2 shown]
.LBB344_274:                            ;   in Loop: Header=BB344_275 Depth=1
	s_or_b32 exec_lo, exec_lo, s18
	v_add_nc_u32_e32 v39, 4, v39
	v_add_co_u32 v11, s0, v11, 16
	v_add_co_ci_u32_e64 v12, null, 0, v12, s0
	v_cmp_le_i32_e32 vcc_lo, s20, v39
	v_add_nc_u32_e32 v23, 0x80, v23
	v_add_nc_u32_e32 v37, 0x200, v37
	s_or_b32 s17, vcc_lo, s17
	s_andn2_b32 exec_lo, exec_lo, s17
	s_cbranch_execz .LBB344_524
.LBB344_275:                            ; =>This Inner Loop Header: Depth=1
	v_mul_hi_u32 v1, v23, s19
	v_mul_lo_u32 v2, v1, s16
	v_add_nc_u32_e32 v3, 1, v1
	v_sub_nc_u32_e32 v2, v23, v2
	v_subrev_nc_u32_e32 v4, s16, v2
	v_cmp_le_u32_e32 vcc_lo, s16, v2
	v_cndmask_b32_e32 v1, v1, v3, vcc_lo
	v_cndmask_b32_e32 v2, v2, v4, vcc_lo
	v_add_nc_u32_e32 v3, 1, v1
	v_cmp_le_u32_e32 vcc_lo, s16, v2
	v_cndmask_b32_e32 v1, v1, v3, vcc_lo
	v_xor_b32_e32 v1, s23, v1
	v_subrev_nc_u32_e32 v1, s23, v1
	v_add_nc_u32_e32 v2, s25, v1
	v_cmp_lt_i32_e64 s0, s4, v1
	v_sub_nc_u32_e32 v3, 0, v2
	v_max_i32_e32 v3, v2, v3
	v_ashrrev_i32_e32 v2, 31, v2
	v_mul_hi_u32 v4, v3, v38
	v_mul_lo_u32 v4, v4, s5
	v_sub_nc_u32_e32 v3, v3, v4
	v_subrev_nc_u32_e32 v4, s5, v3
	v_cmp_le_u32_e32 vcc_lo, s5, v3
	v_cndmask_b32_e32 v3, v3, v4, vcc_lo
	v_subrev_nc_u32_e32 v4, s5, v3
	v_cmp_le_u32_e32 vcc_lo, s5, v3
	v_cndmask_b32_e32 v3, v3, v4, vcc_lo
	v_xor_b32_e32 v3, v3, v2
	v_sub_nc_u32_e32 v2, v3, v2
	v_cmp_eq_u32_e32 vcc_lo, 0, v2
	s_or_b32 s0, vcc_lo, s0
	s_and_saveexec_b32 s18, s0
	s_cbranch_execz .LBB344_274
; %bb.276:                              ;   in Loop: Header=BB344_275 Depth=1
	global_load_dword v1, v[11:12], off
	v_mov_b32_e32 v40, 0
	v_mov_b32_e32 v42, 0
	s_waitcnt vmcnt(0)
	v_mad_i64_i32 v[15:16], null, v1, s12, v[13:14]
	global_load_dwordx2 v[17:18], v[15:16], off
	ds_read2_b64 v[5:8], v37 offset1:1
	ds_read2_b64 v[1:4], v37 offset0:2 offset1:3
	s_load_dword s21, s[14:15], 0x0
	s_waitcnt vmcnt(0)
	v_cmp_ne_u16_sdwa s22, v17, v10 src0_sel:BYTE_0 src1_sel:DWORD
	s_and_saveexec_b32 s0, s22
	s_cbranch_execz .LBB344_282
; %bb.277:                              ;   in Loop: Header=BB344_275 Depth=1
	v_cmp_ne_u16_sdwa s26, v17, v31 src0_sel:BYTE_0 src1_sel:DWORD
	v_bfrev_b32_e32 v42, 1
	s_and_saveexec_b32 s22, s26
	s_cbranch_execz .LBB344_281
; %bb.278:                              ;   in Loop: Header=BB344_275 Depth=1
	v_and_b32_e32 v9, 0x7f, v17
	v_mov_b32_e32 v42, 0x7f800001
	s_mov_b32 s26, exec_lo
	v_cmpx_ne_u32_e32 0x7f, v9
	s_cbranch_execz .LBB344_280
; %bb.279:                              ;   in Loop: Header=BB344_275 Depth=1
	v_and_b32_e32 v19, 7, v17
	v_lshrrev_b32_e32 v20, 3, v9
	v_cmp_gt_u32_e32 vcc_lo, 8, v9
	v_ffbh_u32_e32 v19, v19
	v_min_u32_e32 v19, 32, v19
	v_subrev_nc_u32_e32 v41, 28, v19
	v_sub_nc_u32_e32 v19, 29, v19
	v_cndmask_b32_e32 v9, v20, v19, vcc_lo
	v_cndmask_b32_e32 v19, 0, v41, vcc_lo
	v_lshl_add_u32 v9, v9, 23, 0x3c000000
	v_lshlrev_b64 v[19:20], v19, v[17:18]
	v_lshlrev_b32_e32 v20, 24, v17
	v_lshlrev_b32_e32 v19, 20, v19
	v_and_b32_e32 v20, 0x80000000, v20
	v_and_b32_e32 v19, 0x700000, v19
	v_or3_b32 v42, v19, v20, v9
.LBB344_280:                            ;   in Loop: Header=BB344_275 Depth=1
	s_or_b32 exec_lo, exec_lo, s26
.LBB344_281:                            ;   in Loop: Header=BB344_275 Depth=1
	s_or_b32 exec_lo, exec_lo, s22
.LBB344_282:                            ;   in Loop: Header=BB344_275 Depth=1
	s_or_b32 exec_lo, exec_lo, s0
	v_cmp_ne_u16_sdwa s22, v17, v10 src0_sel:BYTE_1 src1_sel:DWORD
	s_and_saveexec_b32 s0, s22
	s_cbranch_execz .LBB344_290
; %bb.283:                              ;   in Loop: Header=BB344_275 Depth=1
	v_cmp_ne_u16_sdwa s26, v17, v31 src0_sel:BYTE_1 src1_sel:DWORD
	v_bfrev_b32_e32 v40, 1
	s_and_saveexec_b32 s22, s26
	s_cbranch_execz .LBB344_289
; %bb.284:                              ;   in Loop: Header=BB344_275 Depth=1
	v_and_b32_sdwa v9, v32, v17 dst_sel:DWORD dst_unused:UNUSED_PAD src0_sel:DWORD src1_sel:BYTE_1
	v_mov_b32_e32 v40, 0x7f800001
	s_mov_b32 s26, exec_lo
	v_and_b32_e32 v20, 0x7f, v9
	v_cmpx_ne_u32_e32 0x7f, v20
	s_cbranch_execz .LBB344_288
; %bb.285:                              ;   in Loop: Header=BB344_275 Depth=1
	v_and_b32_e32 v9, 7, v9
	v_lshrrev_b32_e32 v19, 3, v20
	s_mov_b32 s27, exec_lo
	v_cmpx_gt_u32_e32 8, v20
; %bb.286:                              ;   in Loop: Header=BB344_275 Depth=1
	v_ffbh_u32_e32 v19, v9
	v_min_u32_e32 v19, 32, v19
	v_subrev_nc_u32_e32 v20, 28, v19
	v_sub_nc_u32_e32 v19, 29, v19
	v_lshlrev_b64 v[40:41], v20, v[9:10]
	v_and_b32_e32 v9, 7, v40
; %bb.287:                              ;   in Loop: Header=BB344_275 Depth=1
	s_or_b32 exec_lo, exec_lo, s27
	v_lshlrev_b32_e32 v20, 16, v17
	v_lshlrev_b32_e32 v9, 20, v9
	v_lshl_add_u32 v19, v19, 23, 0x3c000000
	v_and_b32_e32 v20, 0x80000000, v20
	v_or3_b32 v40, v9, v20, v19
.LBB344_288:                            ;   in Loop: Header=BB344_275 Depth=1
	s_or_b32 exec_lo, exec_lo, s26
.LBB344_289:                            ;   in Loop: Header=BB344_275 Depth=1
	s_or_b32 exec_lo, exec_lo, s22
.LBB344_290:                            ;   in Loop: Header=BB344_275 Depth=1
	s_or_b32 exec_lo, exec_lo, s0
	v_and_b32_sdwa v9, v17, v33 dst_sel:DWORD dst_unused:UNUSED_PAD src0_sel:WORD_1 src1_sel:DWORD
	v_mov_b32_e32 v43, 0
	v_mov_b32_e32 v41, 0
	s_mov_b32 s0, exec_lo
	v_cmpx_ne_u16_e32 0, v9
	s_cbranch_execz .LBB344_298
; %bb.291:                              ;   in Loop: Header=BB344_275 Depth=1
	v_bfrev_b32_e32 v41, 1
	s_mov_b32 s22, exec_lo
	v_cmpx_ne_u16_e32 0x80, v9
	s_cbranch_execz .LBB344_297
; %bb.292:                              ;   in Loop: Header=BB344_275 Depth=1
	v_bfe_u32 v20, v17, 16, 7
	v_mov_b32_e32 v41, 0x7f800001
	s_mov_b32 s26, exec_lo
	v_cmpx_ne_u32_e32 0x7f, v20
	s_cbranch_execz .LBB344_296
; %bb.293:                              ;   in Loop: Header=BB344_275 Depth=1
	v_and_b32_sdwa v9, v17, v34 dst_sel:DWORD dst_unused:UNUSED_PAD src0_sel:WORD_1 src1_sel:DWORD
	v_lshrrev_b32_e32 v19, 3, v20
	s_mov_b32 s27, exec_lo
	v_cmpx_gt_u32_e32 8, v20
; %bb.294:                              ;   in Loop: Header=BB344_275 Depth=1
	v_ffbh_u32_e32 v19, v9
	v_min_u32_e32 v19, 32, v19
	v_subrev_nc_u32_e32 v20, 28, v19
	v_sub_nc_u32_e32 v19, 29, v19
	v_lshlrev_b64 v[44:45], v20, v[9:10]
	v_and_b32_e32 v9, 7, v44
; %bb.295:                              ;   in Loop: Header=BB344_275 Depth=1
	s_or_b32 exec_lo, exec_lo, s27
	v_lshlrev_b32_sdwa v20, v35, v17 dst_sel:DWORD dst_unused:UNUSED_PAD src0_sel:DWORD src1_sel:WORD_1
	v_lshlrev_b32_e32 v9, 20, v9
	v_lshl_add_u32 v19, v19, 23, 0x3c000000
	v_and_b32_e32 v20, 0x80000000, v20
	v_or3_b32 v41, v9, v20, v19
.LBB344_296:                            ;   in Loop: Header=BB344_275 Depth=1
	s_or_b32 exec_lo, exec_lo, s26
.LBB344_297:                            ;   in Loop: Header=BB344_275 Depth=1
	s_or_b32 exec_lo, exec_lo, s22
.LBB344_298:                            ;   in Loop: Header=BB344_275 Depth=1
	s_or_b32 exec_lo, exec_lo, s0
	s_mov_b32 s0, exec_lo
	v_cmpx_lt_u32_e32 0xffffff, v17
	s_cbranch_execz .LBB344_306
; %bb.299:                              ;   in Loop: Header=BB344_275 Depth=1
	v_cmp_ne_u32_sdwa s26, v17, v31 src0_sel:BYTE_3 src1_sel:DWORD
	v_bfrev_b32_e32 v43, 1
	s_and_saveexec_b32 s22, s26
	s_cbranch_execz .LBB344_305
; %bb.300:                              ;   in Loop: Header=BB344_275 Depth=1
	v_bfe_u32 v20, v17, 24, 7
	v_mov_b32_e32 v43, 0x7f800001
	s_mov_b32 s26, exec_lo
	v_cmpx_ne_u32_e32 0x7f, v20
	s_cbranch_execz .LBB344_304
; %bb.301:                              ;   in Loop: Header=BB344_275 Depth=1
	v_and_b32_sdwa v9, v17, v34 dst_sel:DWORD dst_unused:UNUSED_PAD src0_sel:BYTE_3 src1_sel:DWORD
	v_lshrrev_b32_e32 v19, 3, v20
	s_mov_b32 s27, exec_lo
	v_cmpx_gt_u32_e32 8, v20
; %bb.302:                              ;   in Loop: Header=BB344_275 Depth=1
	v_ffbh_u32_e32 v19, v9
	v_min_u32_e32 v19, 32, v19
	v_subrev_nc_u32_e32 v20, 28, v19
	v_sub_nc_u32_e32 v19, 29, v19
	v_lshlrev_b64 v[43:44], v20, v[9:10]
	v_and_b32_e32 v9, 7, v43
; %bb.303:                              ;   in Loop: Header=BB344_275 Depth=1
	s_or_b32 exec_lo, exec_lo, s27
	v_lshlrev_b32_sdwa v20, v35, v17 dst_sel:DWORD dst_unused:UNUSED_PAD src0_sel:DWORD src1_sel:BYTE_3
	v_lshlrev_b32_e32 v9, 20, v9
	v_lshl_add_u32 v19, v19, 23, 0x3c000000
	v_and_b32_e32 v20, 0x80000000, v20
	v_or3_b32 v43, v9, v20, v19
.LBB344_304:                            ;   in Loop: Header=BB344_275 Depth=1
	s_or_b32 exec_lo, exec_lo, s26
.LBB344_305:                            ;   in Loop: Header=BB344_275 Depth=1
	s_or_b32 exec_lo, exec_lo, s22
.LBB344_306:                            ;   in Loop: Header=BB344_275 Depth=1
	s_or_b32 exec_lo, exec_lo, s0
	v_mov_b32_e32 v9, v18
	v_cmp_ne_u16_sdwa s22, v18, v10 src0_sel:BYTE_0 src1_sel:DWORD
	v_mov_b32_e32 v19, 0
	v_mov_b32_e32 v44, 0
	s_and_saveexec_b32 s0, s22
	s_cbranch_execz .LBB344_312
; %bb.307:                              ;   in Loop: Header=BB344_275 Depth=1
	v_cmp_ne_u16_sdwa s26, v18, v31 src0_sel:BYTE_0 src1_sel:DWORD
	v_bfrev_b32_e32 v44, 1
	s_and_saveexec_b32 s22, s26
	s_cbranch_execz .LBB344_311
; %bb.308:                              ;   in Loop: Header=BB344_275 Depth=1
	v_and_b32_e32 v20, 0x7f, v18
	v_mov_b32_e32 v44, 0x7f800001
	s_mov_b32 s26, exec_lo
	v_cmpx_ne_u32_e32 0x7f, v20
	s_cbranch_execz .LBB344_310
; %bb.309:                              ;   in Loop: Header=BB344_275 Depth=1
	v_and_b32_e32 v44, 7, v18
	v_lshrrev_b32_e32 v45, 3, v20
	v_cmp_gt_u32_e32 vcc_lo, 8, v20
	v_ffbh_u32_e32 v44, v44
	v_min_u32_e32 v44, 32, v44
	v_subrev_nc_u32_e32 v46, 28, v44
	v_sub_nc_u32_e32 v44, 29, v44
	v_cndmask_b32_e32 v20, v45, v44, vcc_lo
	v_cndmask_b32_e32 v44, 0, v46, vcc_lo
	v_lshl_add_u32 v20, v20, 23, 0x3c000000
	v_lshlrev_b64 v[44:45], v44, v[9:10]
	v_lshlrev_b32_e32 v45, 24, v9
	v_lshlrev_b32_e32 v44, 20, v44
	v_and_b32_e32 v45, 0x80000000, v45
	v_and_b32_e32 v44, 0x700000, v44
	v_or3_b32 v44, v44, v45, v20
.LBB344_310:                            ;   in Loop: Header=BB344_275 Depth=1
	s_or_b32 exec_lo, exec_lo, s26
.LBB344_311:                            ;   in Loop: Header=BB344_275 Depth=1
	s_or_b32 exec_lo, exec_lo, s22
.LBB344_312:                            ;   in Loop: Header=BB344_275 Depth=1
	s_or_b32 exec_lo, exec_lo, s0
	v_cmp_ne_u16_sdwa s22, v9, v10 src0_sel:BYTE_1 src1_sel:DWORD
	s_and_saveexec_b32 s0, s22
	s_cbranch_execz .LBB344_320
; %bb.313:                              ;   in Loop: Header=BB344_275 Depth=1
	v_cmp_ne_u16_sdwa s26, v9, v31 src0_sel:BYTE_1 src1_sel:DWORD
	v_bfrev_b32_e32 v19, 1
	s_and_saveexec_b32 s22, s26
	s_cbranch_execz .LBB344_319
; %bb.314:                              ;   in Loop: Header=BB344_275 Depth=1
	v_and_b32_sdwa v20, v32, v9 dst_sel:DWORD dst_unused:UNUSED_PAD src0_sel:DWORD src1_sel:BYTE_1
	v_mov_b32_e32 v19, 0x7f800001
	s_mov_b32 s26, exec_lo
	v_and_b32_e32 v46, 0x7f, v20
	v_cmpx_ne_u32_e32 0x7f, v46
	s_cbranch_execz .LBB344_318
; %bb.315:                              ;   in Loop: Header=BB344_275 Depth=1
	v_and_b32_e32 v19, 7, v20
	v_mov_b32_e32 v20, v10
	v_lshrrev_b32_e32 v45, 3, v46
	s_mov_b32 s27, exec_lo
	v_cmpx_gt_u32_e32 8, v46
; %bb.316:                              ;   in Loop: Header=BB344_275 Depth=1
	v_ffbh_u32_e32 v45, v19
	v_min_u32_e32 v45, 32, v45
	v_subrev_nc_u32_e32 v46, 28, v45
	v_sub_nc_u32_e32 v45, 29, v45
	v_lshlrev_b64 v[19:20], v46, v[19:20]
	v_and_b32_e32 v19, 7, v19
; %bb.317:                              ;   in Loop: Header=BB344_275 Depth=1
	s_or_b32 exec_lo, exec_lo, s27
	v_lshlrev_b32_e32 v9, 16, v9
	v_lshlrev_b32_e32 v19, 20, v19
	v_lshl_add_u32 v20, v45, 23, 0x3c000000
	v_and_b32_e32 v9, 0x80000000, v9
	v_or3_b32 v19, v19, v9, v20
.LBB344_318:                            ;   in Loop: Header=BB344_275 Depth=1
	s_or_b32 exec_lo, exec_lo, s26
.LBB344_319:                            ;   in Loop: Header=BB344_275 Depth=1
	s_or_b32 exec_lo, exec_lo, s22
.LBB344_320:                            ;   in Loop: Header=BB344_275 Depth=1
	s_or_b32 exec_lo, exec_lo, s0
	v_and_b32_sdwa v9, v18, v33 dst_sel:DWORD dst_unused:UNUSED_PAD src0_sel:WORD_1 src1_sel:DWORD
	v_mov_b32_e32 v20, 0
	v_mov_b32_e32 v45, 0
	s_mov_b32 s0, exec_lo
	v_cmpx_ne_u16_e32 0, v9
	s_cbranch_execz .LBB344_328
; %bb.321:                              ;   in Loop: Header=BB344_275 Depth=1
	v_bfrev_b32_e32 v45, 1
	s_mov_b32 s22, exec_lo
	v_cmpx_ne_u16_e32 0x80, v9
	s_cbranch_execz .LBB344_327
; %bb.322:                              ;   in Loop: Header=BB344_275 Depth=1
	v_bfe_u32 v46, v18, 16, 7
	v_mov_b32_e32 v45, 0x7f800001
	s_mov_b32 s26, exec_lo
	v_cmpx_ne_u32_e32 0x7f, v46
	s_cbranch_execz .LBB344_326
; %bb.323:                              ;   in Loop: Header=BB344_275 Depth=1
	v_and_b32_sdwa v9, v18, v34 dst_sel:DWORD dst_unused:UNUSED_PAD src0_sel:WORD_1 src1_sel:DWORD
	v_lshrrev_b32_e32 v45, 3, v46
	s_mov_b32 s27, exec_lo
	v_cmpx_gt_u32_e32 8, v46
; %bb.324:                              ;   in Loop: Header=BB344_275 Depth=1
	v_ffbh_u32_e32 v45, v9
	v_min_u32_e32 v45, 32, v45
	v_subrev_nc_u32_e32 v46, 28, v45
	v_sub_nc_u32_e32 v45, 29, v45
	v_lshlrev_b64 v[46:47], v46, v[9:10]
	v_and_b32_e32 v9, 7, v46
; %bb.325:                              ;   in Loop: Header=BB344_275 Depth=1
	s_or_b32 exec_lo, exec_lo, s27
	v_lshlrev_b32_sdwa v46, v35, v18 dst_sel:DWORD dst_unused:UNUSED_PAD src0_sel:DWORD src1_sel:WORD_1
	v_lshlrev_b32_e32 v9, 20, v9
	v_lshl_add_u32 v45, v45, 23, 0x3c000000
	v_and_b32_e32 v46, 0x80000000, v46
	v_or3_b32 v45, v9, v46, v45
.LBB344_326:                            ;   in Loop: Header=BB344_275 Depth=1
	s_or_b32 exec_lo, exec_lo, s26
.LBB344_327:                            ;   in Loop: Header=BB344_275 Depth=1
	s_or_b32 exec_lo, exec_lo, s22
.LBB344_328:                            ;   in Loop: Header=BB344_275 Depth=1
	s_or_b32 exec_lo, exec_lo, s0
	s_mov_b32 s0, exec_lo
	v_cmpx_lt_u64_e64 s[2:3], v[17:18]
	s_cbranch_execz .LBB344_336
; %bb.329:                              ;   in Loop: Header=BB344_275 Depth=1
	v_cmp_ne_u32_sdwa s26, v18, v31 src0_sel:BYTE_3 src1_sel:DWORD
	v_bfrev_b32_e32 v20, 1
	s_and_saveexec_b32 s22, s26
	s_cbranch_execz .LBB344_335
; %bb.330:                              ;   in Loop: Header=BB344_275 Depth=1
	v_bfe_u32 v46, v18, 24, 7
	v_mov_b32_e32 v20, 0x7f800001
	s_mov_b32 s26, exec_lo
	v_cmpx_ne_u32_e32 0x7f, v46
	s_cbranch_execz .LBB344_334
; %bb.331:                              ;   in Loop: Header=BB344_275 Depth=1
	v_and_b32_sdwa v9, v18, v34 dst_sel:DWORD dst_unused:UNUSED_PAD src0_sel:BYTE_3 src1_sel:DWORD
	v_lshrrev_b32_e32 v17, 3, v46
	s_mov_b32 s27, exec_lo
	v_cmpx_gt_u32_e32 8, v46
; %bb.332:                              ;   in Loop: Header=BB344_275 Depth=1
	v_ffbh_u32_e32 v17, v9
	v_min_u32_e32 v17, 32, v17
	v_subrev_nc_u32_e32 v20, 28, v17
	v_sub_nc_u32_e32 v17, 29, v17
	v_lshlrev_b64 v[46:47], v20, v[9:10]
	v_and_b32_e32 v9, 7, v46
; %bb.333:                              ;   in Loop: Header=BB344_275 Depth=1
	s_or_b32 exec_lo, exec_lo, s27
	v_lshlrev_b32_sdwa v18, v35, v18 dst_sel:DWORD dst_unused:UNUSED_PAD src0_sel:DWORD src1_sel:BYTE_3
	v_lshlrev_b32_e32 v9, 20, v9
	v_lshl_add_u32 v17, v17, 23, 0x3c000000
	v_and_b32_e32 v18, 0x80000000, v18
	v_or3_b32 v20, v9, v18, v17
.LBB344_334:                            ;   in Loop: Header=BB344_275 Depth=1
	s_or_b32 exec_lo, exec_lo, s26
.LBB344_335:                            ;   in Loop: Header=BB344_275 Depth=1
	s_or_b32 exec_lo, exec_lo, s22
.LBB344_336:                            ;   in Loop: Header=BB344_275 Depth=1
	s_or_b32 exec_lo, exec_lo, s0
	s_waitcnt lgkmcnt(0)
	v_mul_f32_e32 v9, s21, v19
	v_mul_f32_e32 v17, s21, v44
	;; [unrolled: 1-line block ×5, first 2 shown]
	v_bfe_u32 v19, v9, 16, 1
	v_or_b32_e32 v41, 0x400000, v9
	v_bfe_u32 v43, v17, 16, 1
	v_cmp_u_f32_e64 s0, v9, v9
	v_or_b32_e32 v46, 0x400000, v17
	v_add3_u32 v19, v19, v9, 0x7fff
	v_bfe_u32 v47, v18, 16, 1
	v_add3_u32 v43, v43, v17, 0x7fff
	v_or_b32_e32 v49, 0x400000, v18
	v_add_nc_u32_e32 v48, v36, v23
	v_cndmask_b32_e64 v9, v19, v41, s0
	v_cmp_u_f32_e64 s0, v17, v17
	v_bfe_u32 v19, v44, 16, 1
	v_add3_u32 v47, v47, v18, 0x7fff
	v_cmp_eq_u32_e32 vcc_lo, s13, v39
	v_lshrrev_b32_e32 v41, 16, v9
	v_cndmask_b32_e64 v17, v43, v46, s0
	v_cmp_u_f32_e64 s0, v18, v18
	v_mul_f32_e32 v18, s21, v40
	v_add3_u32 v19, v19, v44, 0x7fff
	v_or_b32_e32 v46, 0x400000, v44
	v_lshrrev_b32_e32 v40, 16, v17
	v_cndmask_b32_e64 v9, v47, v49, s0
	v_cmp_u_f32_e64 s0, v44, v44
	v_or_b32_e32 v44, 0x400000, v18
	v_or_b32_e32 v49, 0x400000, v20
	v_add_nc_u32_e32 v55, 1, v48
	v_lshrrev_b32_e32 v43, 16, v9
	v_bfe_u32 v9, v18, 16, 1
	v_cndmask_b32_e64 v17, v19, v46, s0
	v_mul_f32_e32 v19, s21, v42
	v_mul_f32_e32 v42, s21, v45
	v_cmp_u_f32_e64 s0, v18, v18
	v_add3_u32 v9, v9, v18, 0x7fff
	v_bfe_u32 v18, v20, 16, 1
	v_bfe_u32 v45, v19, 16, 1
	;; [unrolled: 1-line block ×3, first 2 shown]
	v_or_b32_e32 v47, 0x400000, v42
	v_cndmask_b32_e64 v9, v9, v44, s0
	v_cmp_u_f32_e64 s0, v19, v19
	v_add3_u32 v44, v45, v19, 0x7fff
	v_or_b32_e32 v45, 0x400000, v19
	v_add3_u32 v46, v46, v42, 0x7fff
	v_add3_u32 v18, v18, v20, 0x7fff
	v_add_nc_u32_e32 v54, 2, v48
	v_add_nc_u32_e32 v53, 3, v48
	v_cndmask_b32_e64 v19, v44, v45, s0
	v_cmp_u_f32_e64 s0, v42, v42
	v_lshrrev_b32_e32 v45, 16, v17
	v_add_nc_u32_e32 v52, 4, v48
	v_add_nc_u32_e32 v51, 5, v48
	;; [unrolled: 1-line block ×3, first 2 shown]
	v_cndmask_b32_e64 v42, v46, v47, s0
	v_cmp_u_f32_e64 s0, v20, v20
	v_lshrrev_b32_e32 v47, 16, v9
	v_lshrrev_b32_e32 v46, 16, v19
	v_lshrrev_b32_e32 v42, 16, v42
	v_cndmask_b32_e64 v18, v18, v49, s0
	v_add_nc_u32_e32 v49, 7, v48
	v_lshrrev_b32_e32 v44, 16, v18
	s_and_saveexec_b32 s22, vcc_lo
	s_cbranch_execz .LBB344_338
; %bb.337:                              ;   in Loop: Header=BB344_275 Depth=1
	v_cmp_gt_i32_e64 s0, s33, v48
	v_cndmask_b32_e64 v46, 0, v46, s0
	v_cmp_gt_i32_e64 s0, s33, v55
	v_cndmask_b32_e64 v47, 0, v47, s0
	;; [unrolled: 2-line block ×8, first 2 shown]
.LBB344_338:                            ;   in Loop: Header=BB344_275 Depth=1
	s_or_b32 exec_lo, exec_lo, s22
	global_load_dwordx2 v[17:18], v[15:16], off offset:256
	v_mov_b32_e32 v57, 0
	v_mov_b32_e32 v58, 0
	s_waitcnt vmcnt(0)
	v_cmp_ne_u16_sdwa s0, v17, v10 src0_sel:BYTE_0 src1_sel:DWORD
	s_and_saveexec_b32 s22, s0
	s_cbranch_execz .LBB344_344
; %bb.339:                              ;   in Loop: Header=BB344_275 Depth=1
	v_cmp_ne_u16_sdwa s0, v17, v31 src0_sel:BYTE_0 src1_sel:DWORD
	v_bfrev_b32_e32 v58, 1
	s_and_saveexec_b32 s26, s0
	s_cbranch_execz .LBB344_343
; %bb.340:                              ;   in Loop: Header=BB344_275 Depth=1
	v_and_b32_e32 v9, 0x7f, v17
	v_mov_b32_e32 v58, 0x7f800001
	s_mov_b32 s27, exec_lo
	v_cmpx_ne_u32_e32 0x7f, v9
	s_cbranch_execz .LBB344_342
; %bb.341:                              ;   in Loop: Header=BB344_275 Depth=1
	v_and_b32_e32 v19, 7, v17
	v_lshrrev_b32_e32 v20, 3, v9
	v_cmp_gt_u32_e64 s0, 8, v9
	v_ffbh_u32_e32 v19, v19
	v_min_u32_e32 v19, 32, v19
	v_subrev_nc_u32_e32 v56, 28, v19
	v_sub_nc_u32_e32 v19, 29, v19
	v_cndmask_b32_e64 v9, v20, v19, s0
	v_cndmask_b32_e64 v19, 0, v56, s0
	v_lshl_add_u32 v9, v9, 23, 0x3c000000
	v_lshlrev_b64 v[19:20], v19, v[17:18]
	v_lshlrev_b32_e32 v20, 24, v17
	v_lshlrev_b32_e32 v19, 20, v19
	v_and_b32_e32 v20, 0x80000000, v20
	v_and_b32_e32 v19, 0x700000, v19
	v_or3_b32 v58, v19, v20, v9
.LBB344_342:                            ;   in Loop: Header=BB344_275 Depth=1
	s_or_b32 exec_lo, exec_lo, s27
.LBB344_343:                            ;   in Loop: Header=BB344_275 Depth=1
	s_or_b32 exec_lo, exec_lo, s26
.LBB344_344:                            ;   in Loop: Header=BB344_275 Depth=1
	s_or_b32 exec_lo, exec_lo, s22
	v_cmp_ne_u16_sdwa s0, v17, v10 src0_sel:BYTE_1 src1_sel:DWORD
	s_and_saveexec_b32 s22, s0
	s_cbranch_execz .LBB344_352
; %bb.345:                              ;   in Loop: Header=BB344_275 Depth=1
	v_cmp_ne_u16_sdwa s0, v17, v31 src0_sel:BYTE_1 src1_sel:DWORD
	v_bfrev_b32_e32 v57, 1
	s_and_saveexec_b32 s26, s0
	s_cbranch_execz .LBB344_351
; %bb.346:                              ;   in Loop: Header=BB344_275 Depth=1
	v_and_b32_sdwa v9, v32, v17 dst_sel:DWORD dst_unused:UNUSED_PAD src0_sel:DWORD src1_sel:BYTE_1
	v_mov_b32_e32 v57, 0x7f800001
	s_mov_b32 s27, exec_lo
	v_and_b32_e32 v20, 0x7f, v9
	v_cmpx_ne_u32_e32 0x7f, v20
	s_cbranch_execz .LBB344_350
; %bb.347:                              ;   in Loop: Header=BB344_275 Depth=1
	v_and_b32_e32 v9, 7, v9
	v_lshrrev_b32_e32 v19, 3, v20
	s_mov_b32 s28, exec_lo
	v_cmpx_gt_u32_e32 8, v20
; %bb.348:                              ;   in Loop: Header=BB344_275 Depth=1
	v_ffbh_u32_e32 v19, v9
	v_min_u32_e32 v19, 32, v19
	v_subrev_nc_u32_e32 v20, 28, v19
	v_sub_nc_u32_e32 v19, 29, v19
	v_lshlrev_b64 v[56:57], v20, v[9:10]
	v_and_b32_e32 v9, 7, v56
; %bb.349:                              ;   in Loop: Header=BB344_275 Depth=1
	s_or_b32 exec_lo, exec_lo, s28
	v_lshlrev_b32_e32 v20, 16, v17
	v_lshlrev_b32_e32 v9, 20, v9
	v_lshl_add_u32 v19, v19, 23, 0x3c000000
	v_and_b32_e32 v20, 0x80000000, v20
	v_or3_b32 v57, v9, v20, v19
.LBB344_350:                            ;   in Loop: Header=BB344_275 Depth=1
	s_or_b32 exec_lo, exec_lo, s27
.LBB344_351:                            ;   in Loop: Header=BB344_275 Depth=1
	s_or_b32 exec_lo, exec_lo, s26
.LBB344_352:                            ;   in Loop: Header=BB344_275 Depth=1
	s_or_b32 exec_lo, exec_lo, s22
	v_and_b32_sdwa v9, v17, v33 dst_sel:DWORD dst_unused:UNUSED_PAD src0_sel:WORD_1 src1_sel:DWORD
	v_mov_b32_e32 v59, 0
	v_mov_b32_e32 v56, 0
	s_mov_b32 s22, exec_lo
	v_cmpx_ne_u16_e32 0, v9
	s_cbranch_execz .LBB344_360
; %bb.353:                              ;   in Loop: Header=BB344_275 Depth=1
	v_bfrev_b32_e32 v56, 1
	s_mov_b32 s26, exec_lo
	v_cmpx_ne_u16_e32 0x80, v9
	s_cbranch_execz .LBB344_359
; %bb.354:                              ;   in Loop: Header=BB344_275 Depth=1
	v_bfe_u32 v20, v17, 16, 7
	v_mov_b32_e32 v56, 0x7f800001
	s_mov_b32 s27, exec_lo
	v_cmpx_ne_u32_e32 0x7f, v20
	s_cbranch_execz .LBB344_358
; %bb.355:                              ;   in Loop: Header=BB344_275 Depth=1
	v_and_b32_sdwa v9, v17, v34 dst_sel:DWORD dst_unused:UNUSED_PAD src0_sel:WORD_1 src1_sel:DWORD
	v_lshrrev_b32_e32 v19, 3, v20
	s_mov_b32 s28, exec_lo
	v_cmpx_gt_u32_e32 8, v20
; %bb.356:                              ;   in Loop: Header=BB344_275 Depth=1
	v_ffbh_u32_e32 v19, v9
	v_min_u32_e32 v19, 32, v19
	v_subrev_nc_u32_e32 v20, 28, v19
	v_sub_nc_u32_e32 v19, 29, v19
	v_lshlrev_b64 v[60:61], v20, v[9:10]
	v_and_b32_e32 v9, 7, v60
; %bb.357:                              ;   in Loop: Header=BB344_275 Depth=1
	s_or_b32 exec_lo, exec_lo, s28
	v_lshlrev_b32_sdwa v20, v35, v17 dst_sel:DWORD dst_unused:UNUSED_PAD src0_sel:DWORD src1_sel:WORD_1
	v_lshlrev_b32_e32 v9, 20, v9
	v_lshl_add_u32 v19, v19, 23, 0x3c000000
	v_and_b32_e32 v20, 0x80000000, v20
	v_or3_b32 v56, v9, v20, v19
.LBB344_358:                            ;   in Loop: Header=BB344_275 Depth=1
	s_or_b32 exec_lo, exec_lo, s27
.LBB344_359:                            ;   in Loop: Header=BB344_275 Depth=1
	s_or_b32 exec_lo, exec_lo, s26
.LBB344_360:                            ;   in Loop: Header=BB344_275 Depth=1
	s_or_b32 exec_lo, exec_lo, s22
	s_mov_b32 s22, exec_lo
	v_cmpx_lt_u32_e32 0xffffff, v17
	s_cbranch_execz .LBB344_368
; %bb.361:                              ;   in Loop: Header=BB344_275 Depth=1
	v_cmp_ne_u32_sdwa s0, v17, v31 src0_sel:BYTE_3 src1_sel:DWORD
	v_bfrev_b32_e32 v59, 1
	s_and_saveexec_b32 s26, s0
	s_cbranch_execz .LBB344_367
; %bb.362:                              ;   in Loop: Header=BB344_275 Depth=1
	v_bfe_u32 v20, v17, 24, 7
	v_mov_b32_e32 v59, 0x7f800001
	s_mov_b32 s27, exec_lo
	v_cmpx_ne_u32_e32 0x7f, v20
	s_cbranch_execz .LBB344_366
; %bb.363:                              ;   in Loop: Header=BB344_275 Depth=1
	v_and_b32_sdwa v9, v17, v34 dst_sel:DWORD dst_unused:UNUSED_PAD src0_sel:BYTE_3 src1_sel:DWORD
	v_lshrrev_b32_e32 v19, 3, v20
	s_mov_b32 s28, exec_lo
	v_cmpx_gt_u32_e32 8, v20
; %bb.364:                              ;   in Loop: Header=BB344_275 Depth=1
	v_ffbh_u32_e32 v19, v9
	v_min_u32_e32 v19, 32, v19
	v_subrev_nc_u32_e32 v20, 28, v19
	v_sub_nc_u32_e32 v19, 29, v19
	v_lshlrev_b64 v[59:60], v20, v[9:10]
	v_and_b32_e32 v9, 7, v59
; %bb.365:                              ;   in Loop: Header=BB344_275 Depth=1
	s_or_b32 exec_lo, exec_lo, s28
	v_lshlrev_b32_sdwa v20, v35, v17 dst_sel:DWORD dst_unused:UNUSED_PAD src0_sel:DWORD src1_sel:BYTE_3
	v_lshlrev_b32_e32 v9, 20, v9
	v_lshl_add_u32 v19, v19, 23, 0x3c000000
	v_and_b32_e32 v20, 0x80000000, v20
	v_or3_b32 v59, v9, v20, v19
.LBB344_366:                            ;   in Loop: Header=BB344_275 Depth=1
	s_or_b32 exec_lo, exec_lo, s27
.LBB344_367:                            ;   in Loop: Header=BB344_275 Depth=1
	s_or_b32 exec_lo, exec_lo, s26
.LBB344_368:                            ;   in Loop: Header=BB344_275 Depth=1
	s_or_b32 exec_lo, exec_lo, s22
	v_mov_b32_e32 v9, v18
	v_cmp_ne_u16_sdwa s0, v18, v10 src0_sel:BYTE_0 src1_sel:DWORD
	v_mov_b32_e32 v19, 0
	v_mov_b32_e32 v60, 0
	s_and_saveexec_b32 s22, s0
	s_cbranch_execz .LBB344_374
; %bb.369:                              ;   in Loop: Header=BB344_275 Depth=1
	v_cmp_ne_u16_sdwa s0, v18, v31 src0_sel:BYTE_0 src1_sel:DWORD
	v_bfrev_b32_e32 v60, 1
	s_and_saveexec_b32 s26, s0
	s_cbranch_execz .LBB344_373
; %bb.370:                              ;   in Loop: Header=BB344_275 Depth=1
	v_and_b32_e32 v20, 0x7f, v18
	v_mov_b32_e32 v60, 0x7f800001
	s_mov_b32 s27, exec_lo
	v_cmpx_ne_u32_e32 0x7f, v20
	s_cbranch_execz .LBB344_372
; %bb.371:                              ;   in Loop: Header=BB344_275 Depth=1
	v_and_b32_e32 v60, 7, v18
	v_lshrrev_b32_e32 v61, 3, v20
	v_cmp_gt_u32_e64 s0, 8, v20
	v_ffbh_u32_e32 v60, v60
	v_min_u32_e32 v60, 32, v60
	v_subrev_nc_u32_e32 v62, 28, v60
	v_sub_nc_u32_e32 v60, 29, v60
	v_cndmask_b32_e64 v20, v61, v60, s0
	v_cndmask_b32_e64 v60, 0, v62, s0
	v_lshl_add_u32 v20, v20, 23, 0x3c000000
	v_lshlrev_b64 v[60:61], v60, v[9:10]
	v_lshlrev_b32_e32 v61, 24, v9
	v_lshlrev_b32_e32 v60, 20, v60
	v_and_b32_e32 v61, 0x80000000, v61
	v_and_b32_e32 v60, 0x700000, v60
	v_or3_b32 v60, v60, v61, v20
.LBB344_372:                            ;   in Loop: Header=BB344_275 Depth=1
	s_or_b32 exec_lo, exec_lo, s27
.LBB344_373:                            ;   in Loop: Header=BB344_275 Depth=1
	s_or_b32 exec_lo, exec_lo, s26
.LBB344_374:                            ;   in Loop: Header=BB344_275 Depth=1
	s_or_b32 exec_lo, exec_lo, s22
	v_cmp_ne_u16_sdwa s0, v9, v10 src0_sel:BYTE_1 src1_sel:DWORD
	s_and_saveexec_b32 s22, s0
	s_cbranch_execz .LBB344_382
; %bb.375:                              ;   in Loop: Header=BB344_275 Depth=1
	v_cmp_ne_u16_sdwa s0, v9, v31 src0_sel:BYTE_1 src1_sel:DWORD
	v_bfrev_b32_e32 v19, 1
	s_and_saveexec_b32 s26, s0
	s_cbranch_execz .LBB344_381
; %bb.376:                              ;   in Loop: Header=BB344_275 Depth=1
	v_and_b32_sdwa v20, v32, v9 dst_sel:DWORD dst_unused:UNUSED_PAD src0_sel:DWORD src1_sel:BYTE_1
	v_mov_b32_e32 v19, 0x7f800001
	s_mov_b32 s27, exec_lo
	v_and_b32_e32 v62, 0x7f, v20
	v_cmpx_ne_u32_e32 0x7f, v62
	s_cbranch_execz .LBB344_380
; %bb.377:                              ;   in Loop: Header=BB344_275 Depth=1
	v_and_b32_e32 v19, 7, v20
	v_mov_b32_e32 v20, v10
	v_lshrrev_b32_e32 v61, 3, v62
	s_mov_b32 s28, exec_lo
	v_cmpx_gt_u32_e32 8, v62
; %bb.378:                              ;   in Loop: Header=BB344_275 Depth=1
	v_ffbh_u32_e32 v61, v19
	v_min_u32_e32 v61, 32, v61
	v_subrev_nc_u32_e32 v62, 28, v61
	v_sub_nc_u32_e32 v61, 29, v61
	v_lshlrev_b64 v[19:20], v62, v[19:20]
	v_and_b32_e32 v19, 7, v19
; %bb.379:                              ;   in Loop: Header=BB344_275 Depth=1
	s_or_b32 exec_lo, exec_lo, s28
	v_lshlrev_b32_e32 v9, 16, v9
	v_lshlrev_b32_e32 v19, 20, v19
	v_lshl_add_u32 v20, v61, 23, 0x3c000000
	v_and_b32_e32 v9, 0x80000000, v9
	v_or3_b32 v19, v19, v9, v20
.LBB344_380:                            ;   in Loop: Header=BB344_275 Depth=1
	s_or_b32 exec_lo, exec_lo, s27
.LBB344_381:                            ;   in Loop: Header=BB344_275 Depth=1
	s_or_b32 exec_lo, exec_lo, s26
.LBB344_382:                            ;   in Loop: Header=BB344_275 Depth=1
	s_or_b32 exec_lo, exec_lo, s22
	v_and_b32_sdwa v9, v18, v33 dst_sel:DWORD dst_unused:UNUSED_PAD src0_sel:WORD_1 src1_sel:DWORD
	v_mov_b32_e32 v20, 0
	v_mov_b32_e32 v61, 0
	s_mov_b32 s22, exec_lo
	v_cmpx_ne_u16_e32 0, v9
	s_cbranch_execz .LBB344_390
; %bb.383:                              ;   in Loop: Header=BB344_275 Depth=1
	v_bfrev_b32_e32 v61, 1
	s_mov_b32 s26, exec_lo
	v_cmpx_ne_u16_e32 0x80, v9
	s_cbranch_execz .LBB344_389
; %bb.384:                              ;   in Loop: Header=BB344_275 Depth=1
	v_bfe_u32 v62, v18, 16, 7
	v_mov_b32_e32 v61, 0x7f800001
	s_mov_b32 s27, exec_lo
	v_cmpx_ne_u32_e32 0x7f, v62
	s_cbranch_execz .LBB344_388
; %bb.385:                              ;   in Loop: Header=BB344_275 Depth=1
	v_and_b32_sdwa v9, v18, v34 dst_sel:DWORD dst_unused:UNUSED_PAD src0_sel:WORD_1 src1_sel:DWORD
	v_lshrrev_b32_e32 v61, 3, v62
	s_mov_b32 s28, exec_lo
	v_cmpx_gt_u32_e32 8, v62
; %bb.386:                              ;   in Loop: Header=BB344_275 Depth=1
	v_ffbh_u32_e32 v61, v9
	v_min_u32_e32 v61, 32, v61
	v_subrev_nc_u32_e32 v62, 28, v61
	v_sub_nc_u32_e32 v61, 29, v61
	v_lshlrev_b64 v[62:63], v62, v[9:10]
	v_and_b32_e32 v9, 7, v62
; %bb.387:                              ;   in Loop: Header=BB344_275 Depth=1
	s_or_b32 exec_lo, exec_lo, s28
	v_lshlrev_b32_sdwa v62, v35, v18 dst_sel:DWORD dst_unused:UNUSED_PAD src0_sel:DWORD src1_sel:WORD_1
	v_lshlrev_b32_e32 v9, 20, v9
	v_lshl_add_u32 v61, v61, 23, 0x3c000000
	v_and_b32_e32 v62, 0x80000000, v62
	v_or3_b32 v61, v9, v62, v61
.LBB344_388:                            ;   in Loop: Header=BB344_275 Depth=1
	s_or_b32 exec_lo, exec_lo, s27
.LBB344_389:                            ;   in Loop: Header=BB344_275 Depth=1
	s_or_b32 exec_lo, exec_lo, s26
.LBB344_390:                            ;   in Loop: Header=BB344_275 Depth=1
	s_or_b32 exec_lo, exec_lo, s22
	s_mov_b32 s22, exec_lo
	v_cmpx_lt_u64_e64 s[2:3], v[17:18]
	s_cbranch_execz .LBB344_398
; %bb.391:                              ;   in Loop: Header=BB344_275 Depth=1
	v_cmp_ne_u32_sdwa s0, v18, v31 src0_sel:BYTE_3 src1_sel:DWORD
	v_bfrev_b32_e32 v20, 1
	s_and_saveexec_b32 s26, s0
	s_cbranch_execz .LBB344_397
; %bb.392:                              ;   in Loop: Header=BB344_275 Depth=1
	v_bfe_u32 v62, v18, 24, 7
	v_mov_b32_e32 v20, 0x7f800001
	s_mov_b32 s27, exec_lo
	v_cmpx_ne_u32_e32 0x7f, v62
	s_cbranch_execz .LBB344_396
; %bb.393:                              ;   in Loop: Header=BB344_275 Depth=1
	v_and_b32_sdwa v9, v18, v34 dst_sel:DWORD dst_unused:UNUSED_PAD src0_sel:BYTE_3 src1_sel:DWORD
	v_lshrrev_b32_e32 v17, 3, v62
	s_mov_b32 s28, exec_lo
	v_cmpx_gt_u32_e32 8, v62
; %bb.394:                              ;   in Loop: Header=BB344_275 Depth=1
	v_ffbh_u32_e32 v17, v9
	v_min_u32_e32 v17, 32, v17
	v_subrev_nc_u32_e32 v20, 28, v17
	v_sub_nc_u32_e32 v17, 29, v17
	v_lshlrev_b64 v[62:63], v20, v[9:10]
	v_and_b32_e32 v9, 7, v62
; %bb.395:                              ;   in Loop: Header=BB344_275 Depth=1
	s_or_b32 exec_lo, exec_lo, s28
	v_lshlrev_b32_sdwa v18, v35, v18 dst_sel:DWORD dst_unused:UNUSED_PAD src0_sel:DWORD src1_sel:BYTE_3
	v_lshlrev_b32_e32 v9, 20, v9
	v_lshl_add_u32 v17, v17, 23, 0x3c000000
	v_and_b32_e32 v18, 0x80000000, v18
	v_or3_b32 v20, v9, v18, v17
.LBB344_396:                            ;   in Loop: Header=BB344_275 Depth=1
	s_or_b32 exec_lo, exec_lo, s27
.LBB344_397:                            ;   in Loop: Header=BB344_275 Depth=1
	s_or_b32 exec_lo, exec_lo, s26
.LBB344_398:                            ;   in Loop: Header=BB344_275 Depth=1
	s_or_b32 exec_lo, exec_lo, s22
	v_mul_f32_e32 v9, s21, v19
	v_mul_f32_e32 v17, s21, v60
	;; [unrolled: 1-line block ×5, first 2 shown]
	v_bfe_u32 v56, v9, 16, 1
	v_or_b32_e32 v59, 0x400000, v9
	v_bfe_u32 v60, v17, 16, 1
	v_cmp_u_f32_e64 s0, v9, v9
	v_or_b32_e32 v62, 0x400000, v17
	v_add3_u32 v56, v56, v9, 0x7fff
	v_bfe_u32 v63, v18, 16, 1
	v_add3_u32 v60, v60, v17, 0x7fff
	v_or_b32_e32 v64, 0x400000, v18
	v_bfe_u32 v65, v19, 16, 1
	v_cndmask_b32_e64 v9, v56, v59, s0
	v_cmp_u_f32_e64 s0, v17, v17
	v_add3_u32 v63, v63, v18, 0x7fff
	v_lshrrev_b32_e32 v56, 16, v9
	v_cndmask_b32_e64 v17, v60, v62, s0
	v_cmp_u_f32_e64 s0, v18, v18
	v_mul_f32_e32 v9, s21, v57
	v_add3_u32 v60, v65, v19, 0x7fff
	v_or_b32_e32 v62, 0x400000, v19
	v_lshrrev_b32_e32 v57, 16, v17
	v_cndmask_b32_e64 v18, v63, v64, s0
	v_bfe_u32 v17, v9, 16, 1
	v_cmp_u_f32_e64 s0, v19, v19
	v_mul_f32_e32 v19, s21, v58
	v_mul_f32_e32 v58, s21, v61
	v_lshrrev_b32_e32 v59, 16, v18
	v_add3_u32 v17, v17, v9, 0x7fff
	v_cndmask_b32_e64 v18, v60, v62, s0
	v_or_b32_e32 v60, 0x400000, v9
	v_bfe_u32 v61, v19, 16, 1
	v_cmp_u_f32_e64 s0, v9, v9
	v_bfe_u32 v62, v58, 16, 1
	v_or_b32_e32 v63, 0x400000, v58
	v_or_b32_e32 v64, 0x400000, v20
	v_cndmask_b32_e64 v9, v17, v60, s0
	v_add3_u32 v60, v61, v19, 0x7fff
	v_or_b32_e32 v61, 0x400000, v19
	v_cmp_u_f32_e64 s0, v19, v19
	v_bfe_u32 v17, v20, 16, 1
	v_add3_u32 v62, v62, v58, 0x7fff
	v_cndmask_b32_e64 v19, v60, v61, s0
	v_cmp_u_f32_e64 s0, v58, v58
	v_add3_u32 v17, v17, v20, 0x7fff
	v_lshrrev_b32_e32 v61, 16, v18
	v_cndmask_b32_e64 v58, v62, v63, s0
	v_cmp_u_f32_e64 s0, v20, v20
	v_lshrrev_b32_e32 v63, 16, v9
	v_lshrrev_b32_e32 v62, 16, v19
	;; [unrolled: 1-line block ×3, first 2 shown]
	v_cndmask_b32_e64 v17, v17, v64, s0
	v_lshrrev_b32_e32 v60, 16, v17
	s_and_saveexec_b32 s22, vcc_lo
	s_cbranch_execz .LBB344_400
; %bb.399:                              ;   in Loop: Header=BB344_275 Depth=1
	v_cmp_gt_i32_e64 s0, s33, v48
	v_cndmask_b32_e64 v62, 0, v62, s0
	v_cmp_gt_i32_e64 s0, s33, v55
	v_cndmask_b32_e64 v63, 0, v63, s0
	;; [unrolled: 2-line block ×8, first 2 shown]
.LBB344_400:                            ;   in Loop: Header=BB344_275 Depth=1
	s_or_b32 exec_lo, exec_lo, s22
	global_load_dwordx2 v[17:18], v[15:16], off offset:512
	v_mov_b32_e32 v65, 0
	v_mov_b32_e32 v64, 0
	s_waitcnt vmcnt(0)
	v_cmp_ne_u16_sdwa s0, v17, v10 src0_sel:BYTE_0 src1_sel:DWORD
	s_and_saveexec_b32 s22, s0
	s_cbranch_execz .LBB344_406
; %bb.401:                              ;   in Loop: Header=BB344_275 Depth=1
	v_cmp_ne_u16_sdwa s0, v17, v31 src0_sel:BYTE_0 src1_sel:DWORD
	v_bfrev_b32_e32 v64, 1
	s_and_saveexec_b32 s26, s0
	s_cbranch_execz .LBB344_405
; %bb.402:                              ;   in Loop: Header=BB344_275 Depth=1
	v_and_b32_e32 v9, 0x7f, v17
	v_mov_b32_e32 v64, 0x7f800001
	s_mov_b32 s27, exec_lo
	v_cmpx_ne_u32_e32 0x7f, v9
	s_cbranch_execz .LBB344_404
; %bb.403:                              ;   in Loop: Header=BB344_275 Depth=1
	v_and_b32_e32 v19, 7, v17
	v_lshrrev_b32_e32 v20, 3, v9
	v_cmp_gt_u32_e64 s0, 8, v9
	v_ffbh_u32_e32 v19, v19
	v_min_u32_e32 v19, 32, v19
	v_subrev_nc_u32_e32 v64, 28, v19
	v_sub_nc_u32_e32 v19, 29, v19
	v_cndmask_b32_e64 v9, v20, v19, s0
	v_cndmask_b32_e64 v19, 0, v64, s0
	v_lshl_add_u32 v9, v9, 23, 0x3c000000
	v_lshlrev_b64 v[19:20], v19, v[17:18]
	v_lshlrev_b32_e32 v20, 24, v17
	v_lshlrev_b32_e32 v19, 20, v19
	v_and_b32_e32 v20, 0x80000000, v20
	v_and_b32_e32 v19, 0x700000, v19
	v_or3_b32 v64, v19, v20, v9
.LBB344_404:                            ;   in Loop: Header=BB344_275 Depth=1
	s_or_b32 exec_lo, exec_lo, s27
.LBB344_405:                            ;   in Loop: Header=BB344_275 Depth=1
	s_or_b32 exec_lo, exec_lo, s26
.LBB344_406:                            ;   in Loop: Header=BB344_275 Depth=1
	s_or_b32 exec_lo, exec_lo, s22
	v_cmp_ne_u16_sdwa s0, v17, v10 src0_sel:BYTE_1 src1_sel:DWORD
	s_and_saveexec_b32 s22, s0
	s_cbranch_execz .LBB344_414
; %bb.407:                              ;   in Loop: Header=BB344_275 Depth=1
	v_cmp_ne_u16_sdwa s0, v17, v31 src0_sel:BYTE_1 src1_sel:DWORD
	v_bfrev_b32_e32 v65, 1
	s_and_saveexec_b32 s26, s0
	s_cbranch_execz .LBB344_413
; %bb.408:                              ;   in Loop: Header=BB344_275 Depth=1
	v_and_b32_sdwa v9, v32, v17 dst_sel:DWORD dst_unused:UNUSED_PAD src0_sel:DWORD src1_sel:BYTE_1
	v_mov_b32_e32 v65, 0x7f800001
	s_mov_b32 s27, exec_lo
	v_and_b32_e32 v20, 0x7f, v9
	v_cmpx_ne_u32_e32 0x7f, v20
	s_cbranch_execz .LBB344_412
; %bb.409:                              ;   in Loop: Header=BB344_275 Depth=1
	v_and_b32_e32 v9, 7, v9
	v_lshrrev_b32_e32 v19, 3, v20
	s_mov_b32 s28, exec_lo
	v_cmpx_gt_u32_e32 8, v20
; %bb.410:                              ;   in Loop: Header=BB344_275 Depth=1
	v_ffbh_u32_e32 v19, v9
	v_min_u32_e32 v19, 32, v19
	v_subrev_nc_u32_e32 v20, 28, v19
	v_sub_nc_u32_e32 v19, 29, v19
	v_lshlrev_b64 v[65:66], v20, v[9:10]
	v_and_b32_e32 v9, 7, v65
; %bb.411:                              ;   in Loop: Header=BB344_275 Depth=1
	s_or_b32 exec_lo, exec_lo, s28
	v_lshlrev_b32_e32 v20, 16, v17
	v_lshlrev_b32_e32 v9, 20, v9
	v_lshl_add_u32 v19, v19, 23, 0x3c000000
	v_and_b32_e32 v20, 0x80000000, v20
	v_or3_b32 v65, v9, v20, v19
.LBB344_412:                            ;   in Loop: Header=BB344_275 Depth=1
	s_or_b32 exec_lo, exec_lo, s27
.LBB344_413:                            ;   in Loop: Header=BB344_275 Depth=1
	s_or_b32 exec_lo, exec_lo, s26
.LBB344_414:                            ;   in Loop: Header=BB344_275 Depth=1
	s_or_b32 exec_lo, exec_lo, s22
	v_and_b32_sdwa v9, v17, v33 dst_sel:DWORD dst_unused:UNUSED_PAD src0_sel:WORD_1 src1_sel:DWORD
	v_mov_b32_e32 v67, 0
	v_mov_b32_e32 v66, 0
	s_mov_b32 s22, exec_lo
	v_cmpx_ne_u16_e32 0, v9
	s_cbranch_execz .LBB344_422
; %bb.415:                              ;   in Loop: Header=BB344_275 Depth=1
	v_bfrev_b32_e32 v66, 1
	s_mov_b32 s26, exec_lo
	v_cmpx_ne_u16_e32 0x80, v9
	s_cbranch_execz .LBB344_421
; %bb.416:                              ;   in Loop: Header=BB344_275 Depth=1
	v_bfe_u32 v20, v17, 16, 7
	v_mov_b32_e32 v66, 0x7f800001
	s_mov_b32 s27, exec_lo
	v_cmpx_ne_u32_e32 0x7f, v20
	s_cbranch_execz .LBB344_420
; %bb.417:                              ;   in Loop: Header=BB344_275 Depth=1
	v_and_b32_sdwa v9, v17, v34 dst_sel:DWORD dst_unused:UNUSED_PAD src0_sel:WORD_1 src1_sel:DWORD
	v_lshrrev_b32_e32 v19, 3, v20
	s_mov_b32 s28, exec_lo
	v_cmpx_gt_u32_e32 8, v20
; %bb.418:                              ;   in Loop: Header=BB344_275 Depth=1
	v_ffbh_u32_e32 v19, v9
	v_min_u32_e32 v19, 32, v19
	v_subrev_nc_u32_e32 v20, 28, v19
	v_sub_nc_u32_e32 v19, 29, v19
	v_lshlrev_b64 v[68:69], v20, v[9:10]
	v_and_b32_e32 v9, 7, v68
; %bb.419:                              ;   in Loop: Header=BB344_275 Depth=1
	s_or_b32 exec_lo, exec_lo, s28
	v_lshlrev_b32_sdwa v20, v35, v17 dst_sel:DWORD dst_unused:UNUSED_PAD src0_sel:DWORD src1_sel:WORD_1
	v_lshlrev_b32_e32 v9, 20, v9
	v_lshl_add_u32 v19, v19, 23, 0x3c000000
	v_and_b32_e32 v20, 0x80000000, v20
	v_or3_b32 v66, v9, v20, v19
.LBB344_420:                            ;   in Loop: Header=BB344_275 Depth=1
	s_or_b32 exec_lo, exec_lo, s27
.LBB344_421:                            ;   in Loop: Header=BB344_275 Depth=1
	s_or_b32 exec_lo, exec_lo, s26
.LBB344_422:                            ;   in Loop: Header=BB344_275 Depth=1
	s_or_b32 exec_lo, exec_lo, s22
	s_mov_b32 s22, exec_lo
	v_cmpx_lt_u32_e32 0xffffff, v17
	s_cbranch_execz .LBB344_430
; %bb.423:                              ;   in Loop: Header=BB344_275 Depth=1
	v_cmp_ne_u32_sdwa s0, v17, v31 src0_sel:BYTE_3 src1_sel:DWORD
	v_bfrev_b32_e32 v67, 1
	s_and_saveexec_b32 s26, s0
	s_cbranch_execz .LBB344_429
; %bb.424:                              ;   in Loop: Header=BB344_275 Depth=1
	v_bfe_u32 v20, v17, 24, 7
	v_mov_b32_e32 v67, 0x7f800001
	s_mov_b32 s27, exec_lo
	v_cmpx_ne_u32_e32 0x7f, v20
	s_cbranch_execz .LBB344_428
; %bb.425:                              ;   in Loop: Header=BB344_275 Depth=1
	v_and_b32_sdwa v9, v17, v34 dst_sel:DWORD dst_unused:UNUSED_PAD src0_sel:BYTE_3 src1_sel:DWORD
	v_lshrrev_b32_e32 v19, 3, v20
	s_mov_b32 s28, exec_lo
	v_cmpx_gt_u32_e32 8, v20
; %bb.426:                              ;   in Loop: Header=BB344_275 Depth=1
	v_ffbh_u32_e32 v19, v9
	v_min_u32_e32 v19, 32, v19
	v_subrev_nc_u32_e32 v20, 28, v19
	v_sub_nc_u32_e32 v19, 29, v19
	v_lshlrev_b64 v[67:68], v20, v[9:10]
	v_and_b32_e32 v9, 7, v67
; %bb.427:                              ;   in Loop: Header=BB344_275 Depth=1
	s_or_b32 exec_lo, exec_lo, s28
	v_lshlrev_b32_sdwa v20, v35, v17 dst_sel:DWORD dst_unused:UNUSED_PAD src0_sel:DWORD src1_sel:BYTE_3
	v_lshlrev_b32_e32 v9, 20, v9
	v_lshl_add_u32 v19, v19, 23, 0x3c000000
	v_and_b32_e32 v20, 0x80000000, v20
	v_or3_b32 v67, v9, v20, v19
.LBB344_428:                            ;   in Loop: Header=BB344_275 Depth=1
	s_or_b32 exec_lo, exec_lo, s27
.LBB344_429:                            ;   in Loop: Header=BB344_275 Depth=1
	s_or_b32 exec_lo, exec_lo, s26
.LBB344_430:                            ;   in Loop: Header=BB344_275 Depth=1
	s_or_b32 exec_lo, exec_lo, s22
	v_mov_b32_e32 v9, v18
	v_cmp_ne_u16_sdwa s0, v18, v10 src0_sel:BYTE_0 src1_sel:DWORD
	v_mov_b32_e32 v19, 0
	v_mov_b32_e32 v68, 0
	s_and_saveexec_b32 s22, s0
	s_cbranch_execz .LBB344_436
; %bb.431:                              ;   in Loop: Header=BB344_275 Depth=1
	v_cmp_ne_u16_sdwa s0, v18, v31 src0_sel:BYTE_0 src1_sel:DWORD
	v_bfrev_b32_e32 v68, 1
	s_and_saveexec_b32 s26, s0
	s_cbranch_execz .LBB344_435
; %bb.432:                              ;   in Loop: Header=BB344_275 Depth=1
	v_and_b32_e32 v20, 0x7f, v18
	v_mov_b32_e32 v68, 0x7f800001
	s_mov_b32 s27, exec_lo
	v_cmpx_ne_u32_e32 0x7f, v20
	s_cbranch_execz .LBB344_434
; %bb.433:                              ;   in Loop: Header=BB344_275 Depth=1
	v_and_b32_e32 v68, 7, v18
	v_lshrrev_b32_e32 v69, 3, v20
	v_cmp_gt_u32_e64 s0, 8, v20
	v_ffbh_u32_e32 v68, v68
	v_min_u32_e32 v68, 32, v68
	v_subrev_nc_u32_e32 v70, 28, v68
	v_sub_nc_u32_e32 v68, 29, v68
	v_cndmask_b32_e64 v20, v69, v68, s0
	v_cndmask_b32_e64 v68, 0, v70, s0
	v_lshl_add_u32 v20, v20, 23, 0x3c000000
	v_lshlrev_b64 v[68:69], v68, v[9:10]
	v_lshlrev_b32_e32 v69, 24, v9
	v_lshlrev_b32_e32 v68, 20, v68
	v_and_b32_e32 v69, 0x80000000, v69
	v_and_b32_e32 v68, 0x700000, v68
	v_or3_b32 v68, v68, v69, v20
.LBB344_434:                            ;   in Loop: Header=BB344_275 Depth=1
	s_or_b32 exec_lo, exec_lo, s27
.LBB344_435:                            ;   in Loop: Header=BB344_275 Depth=1
	s_or_b32 exec_lo, exec_lo, s26
.LBB344_436:                            ;   in Loop: Header=BB344_275 Depth=1
	s_or_b32 exec_lo, exec_lo, s22
	v_cmp_ne_u16_sdwa s0, v9, v10 src0_sel:BYTE_1 src1_sel:DWORD
	s_and_saveexec_b32 s22, s0
	s_cbranch_execz .LBB344_444
; %bb.437:                              ;   in Loop: Header=BB344_275 Depth=1
	v_cmp_ne_u16_sdwa s0, v9, v31 src0_sel:BYTE_1 src1_sel:DWORD
	v_bfrev_b32_e32 v19, 1
	s_and_saveexec_b32 s26, s0
	s_cbranch_execz .LBB344_443
; %bb.438:                              ;   in Loop: Header=BB344_275 Depth=1
	v_and_b32_sdwa v20, v32, v9 dst_sel:DWORD dst_unused:UNUSED_PAD src0_sel:DWORD src1_sel:BYTE_1
	v_mov_b32_e32 v19, 0x7f800001
	s_mov_b32 s27, exec_lo
	v_and_b32_e32 v70, 0x7f, v20
	v_cmpx_ne_u32_e32 0x7f, v70
	s_cbranch_execz .LBB344_442
; %bb.439:                              ;   in Loop: Header=BB344_275 Depth=1
	v_and_b32_e32 v19, 7, v20
	v_mov_b32_e32 v20, v10
	v_lshrrev_b32_e32 v69, 3, v70
	s_mov_b32 s28, exec_lo
	v_cmpx_gt_u32_e32 8, v70
; %bb.440:                              ;   in Loop: Header=BB344_275 Depth=1
	v_ffbh_u32_e32 v69, v19
	v_min_u32_e32 v69, 32, v69
	v_subrev_nc_u32_e32 v70, 28, v69
	v_sub_nc_u32_e32 v69, 29, v69
	v_lshlrev_b64 v[19:20], v70, v[19:20]
	v_and_b32_e32 v19, 7, v19
; %bb.441:                              ;   in Loop: Header=BB344_275 Depth=1
	s_or_b32 exec_lo, exec_lo, s28
	v_lshlrev_b32_e32 v9, 16, v9
	v_lshlrev_b32_e32 v19, 20, v19
	v_lshl_add_u32 v20, v69, 23, 0x3c000000
	v_and_b32_e32 v9, 0x80000000, v9
	v_or3_b32 v19, v19, v9, v20
.LBB344_442:                            ;   in Loop: Header=BB344_275 Depth=1
	s_or_b32 exec_lo, exec_lo, s27
.LBB344_443:                            ;   in Loop: Header=BB344_275 Depth=1
	s_or_b32 exec_lo, exec_lo, s26
.LBB344_444:                            ;   in Loop: Header=BB344_275 Depth=1
	s_or_b32 exec_lo, exec_lo, s22
	v_and_b32_sdwa v9, v18, v33 dst_sel:DWORD dst_unused:UNUSED_PAD src0_sel:WORD_1 src1_sel:DWORD
	v_mov_b32_e32 v69, 0
	v_mov_b32_e32 v70, 0
	s_mov_b32 s22, exec_lo
	v_cmpx_ne_u16_e32 0, v9
	s_cbranch_execz .LBB344_452
; %bb.445:                              ;   in Loop: Header=BB344_275 Depth=1
	v_bfrev_b32_e32 v70, 1
	s_mov_b32 s26, exec_lo
	v_cmpx_ne_u16_e32 0x80, v9
	s_cbranch_execz .LBB344_451
; %bb.446:                              ;   in Loop: Header=BB344_275 Depth=1
	v_bfe_u32 v71, v18, 16, 7
	v_mov_b32_e32 v70, 0x7f800001
	s_mov_b32 s27, exec_lo
	v_cmpx_ne_u32_e32 0x7f, v71
	s_cbranch_execz .LBB344_450
; %bb.447:                              ;   in Loop: Header=BB344_275 Depth=1
	v_and_b32_sdwa v9, v18, v34 dst_sel:DWORD dst_unused:UNUSED_PAD src0_sel:WORD_1 src1_sel:DWORD
	v_lshrrev_b32_e32 v20, 3, v71
	s_mov_b32 s28, exec_lo
	v_cmpx_gt_u32_e32 8, v71
; %bb.448:                              ;   in Loop: Header=BB344_275 Depth=1
	v_ffbh_u32_e32 v20, v9
	v_min_u32_e32 v20, 32, v20
	v_subrev_nc_u32_e32 v70, 28, v20
	v_sub_nc_u32_e32 v20, 29, v20
	v_lshlrev_b64 v[70:71], v70, v[9:10]
	v_and_b32_e32 v9, 7, v70
; %bb.449:                              ;   in Loop: Header=BB344_275 Depth=1
	s_or_b32 exec_lo, exec_lo, s28
	v_lshlrev_b32_sdwa v70, v35, v18 dst_sel:DWORD dst_unused:UNUSED_PAD src0_sel:DWORD src1_sel:WORD_1
	v_lshlrev_b32_e32 v9, 20, v9
	v_lshl_add_u32 v20, v20, 23, 0x3c000000
	v_and_b32_e32 v70, 0x80000000, v70
	v_or3_b32 v70, v9, v70, v20
.LBB344_450:                            ;   in Loop: Header=BB344_275 Depth=1
	s_or_b32 exec_lo, exec_lo, s27
.LBB344_451:                            ;   in Loop: Header=BB344_275 Depth=1
	s_or_b32 exec_lo, exec_lo, s26
.LBB344_452:                            ;   in Loop: Header=BB344_275 Depth=1
	s_or_b32 exec_lo, exec_lo, s22
	s_mov_b32 s22, exec_lo
	v_cmpx_lt_u64_e64 s[2:3], v[17:18]
	s_cbranch_execz .LBB344_460
; %bb.453:                              ;   in Loop: Header=BB344_275 Depth=1
	v_cmp_ne_u32_sdwa s0, v18, v31 src0_sel:BYTE_3 src1_sel:DWORD
	v_bfrev_b32_e32 v69, 1
	s_and_saveexec_b32 s26, s0
	s_cbranch_execz .LBB344_459
; %bb.454:                              ;   in Loop: Header=BB344_275 Depth=1
	v_bfe_u32 v20, v18, 24, 7
	v_mov_b32_e32 v69, 0x7f800001
	s_mov_b32 s27, exec_lo
	v_cmpx_ne_u32_e32 0x7f, v20
	s_cbranch_execz .LBB344_458
; %bb.455:                              ;   in Loop: Header=BB344_275 Depth=1
	v_and_b32_sdwa v9, v18, v34 dst_sel:DWORD dst_unused:UNUSED_PAD src0_sel:BYTE_3 src1_sel:DWORD
	v_lshrrev_b32_e32 v17, 3, v20
	s_mov_b32 s28, exec_lo
	v_cmpx_gt_u32_e32 8, v20
; %bb.456:                              ;   in Loop: Header=BB344_275 Depth=1
	v_ffbh_u32_e32 v17, v9
	v_min_u32_e32 v17, 32, v17
	v_subrev_nc_u32_e32 v20, 28, v17
	v_sub_nc_u32_e32 v17, 29, v17
	v_lshlrev_b64 v[71:72], v20, v[9:10]
	v_and_b32_e32 v9, 7, v71
; %bb.457:                              ;   in Loop: Header=BB344_275 Depth=1
	s_or_b32 exec_lo, exec_lo, s28
	v_lshlrev_b32_sdwa v18, v35, v18 dst_sel:DWORD dst_unused:UNUSED_PAD src0_sel:DWORD src1_sel:BYTE_3
	v_lshlrev_b32_e32 v9, 20, v9
	v_lshl_add_u32 v17, v17, 23, 0x3c000000
	v_and_b32_e32 v18, 0x80000000, v18
	v_or3_b32 v69, v9, v18, v17
.LBB344_458:                            ;   in Loop: Header=BB344_275 Depth=1
	s_or_b32 exec_lo, exec_lo, s27
.LBB344_459:                            ;   in Loop: Header=BB344_275 Depth=1
	s_or_b32 exec_lo, exec_lo, s26
.LBB344_460:                            ;   in Loop: Header=BB344_275 Depth=1
	s_or_b32 exec_lo, exec_lo, s22
	v_mul_f32_e32 v9, s21, v19
	v_mul_f32_e32 v17, s21, v68
	;; [unrolled: 1-line block ×5, first 2 shown]
	v_bfe_u32 v19, v9, 16, 1
	v_or_b32_e32 v20, 0x400000, v9
	v_bfe_u32 v66, v17, 16, 1
	v_cmp_u_f32_e64 s0, v9, v9
	v_or_b32_e32 v68, 0x400000, v17
	v_add3_u32 v19, v19, v9, 0x7fff
	v_bfe_u32 v71, v18, 16, 1
	v_add3_u32 v66, v66, v17, 0x7fff
	v_or_b32_e32 v72, 0x400000, v18
	v_bfe_u32 v73, v67, 16, 1
	v_cndmask_b32_e64 v9, v19, v20, s0
	v_cmp_u_f32_e64 s0, v17, v17
	v_add3_u32 v71, v71, v18, 0x7fff
	v_lshrrev_b32_e32 v19, 16, v9
	v_cndmask_b32_e64 v17, v66, v68, s0
	v_cmp_u_f32_e64 s0, v18, v18
	v_mul_f32_e32 v9, s21, v65
	v_add3_u32 v65, v73, v67, 0x7fff
	v_or_b32_e32 v68, 0x400000, v67
	v_lshrrev_b32_e32 v20, 16, v17
	v_cndmask_b32_e64 v18, v71, v72, s0
	v_bfe_u32 v17, v9, 16, 1
	v_cmp_u_f32_e64 s0, v67, v67
	v_or_b32_e32 v67, 0x400000, v9
	v_lshrrev_b32_e32 v66, 16, v18
	v_add3_u32 v17, v17, v9, 0x7fff
	v_cndmask_b32_e64 v18, v65, v68, s0
	v_mul_f32_e32 v65, s21, v70
	v_mul_f32_e32 v68, s21, v69
	v_bfe_u32 v69, v64, 16, 1
	v_cmp_u_f32_e64 s0, v9, v9
	v_bfe_u32 v70, v65, 16, 1
	v_or_b32_e32 v71, 0x400000, v65
	v_or_b32_e32 v72, 0x400000, v68
	v_cndmask_b32_e64 v9, v17, v67, s0
	v_add3_u32 v67, v69, v64, 0x7fff
	v_or_b32_e32 v69, 0x400000, v64
	v_cmp_u_f32_e64 s0, v64, v64
	v_bfe_u32 v17, v68, 16, 1
	v_add3_u32 v70, v70, v65, 0x7fff
	v_cndmask_b32_e64 v64, v67, v69, s0
	v_cmp_u_f32_e64 s0, v65, v65
	v_add3_u32 v17, v17, v68, 0x7fff
	v_lshrrev_b32_e32 v67, 16, v18
	v_lshrrev_b32_e32 v69, 16, v9
	v_cndmask_b32_e64 v65, v70, v71, s0
	v_cmp_u_f32_e64 s0, v68, v68
	v_lshrrev_b32_e32 v68, 16, v64
	v_lshrrev_b32_e32 v64, 16, v65
	v_cndmask_b32_e64 v17, v17, v72, s0
	v_lshrrev_b32_e32 v65, 16, v17
	s_and_saveexec_b32 s22, vcc_lo
	s_cbranch_execz .LBB344_462
; %bb.461:                              ;   in Loop: Header=BB344_275 Depth=1
	v_cmp_gt_i32_e64 s0, s33, v48
	v_cndmask_b32_e64 v68, 0, v68, s0
	v_cmp_gt_i32_e64 s0, s33, v55
	v_cndmask_b32_e64 v69, 0, v69, s0
	;; [unrolled: 2-line block ×8, first 2 shown]
.LBB344_462:                            ;   in Loop: Header=BB344_275 Depth=1
	s_or_b32 exec_lo, exec_lo, s22
	global_load_dwordx2 v[15:16], v[15:16], off offset:768
	v_mov_b32_e32 v71, 0
	v_mov_b32_e32 v70, 0
	s_waitcnt vmcnt(0)
	v_cmp_ne_u16_sdwa s0, v15, v10 src0_sel:BYTE_0 src1_sel:DWORD
	s_and_saveexec_b32 s22, s0
	s_cbranch_execz .LBB344_468
; %bb.463:                              ;   in Loop: Header=BB344_275 Depth=1
	v_cmp_ne_u16_sdwa s0, v15, v31 src0_sel:BYTE_0 src1_sel:DWORD
	v_bfrev_b32_e32 v70, 1
	s_and_saveexec_b32 s26, s0
	s_cbranch_execz .LBB344_467
; %bb.464:                              ;   in Loop: Header=BB344_275 Depth=1
	v_and_b32_e32 v9, 0x7f, v15
	v_mov_b32_e32 v70, 0x7f800001
	s_mov_b32 s27, exec_lo
	v_cmpx_ne_u32_e32 0x7f, v9
	s_cbranch_execz .LBB344_466
; %bb.465:                              ;   in Loop: Header=BB344_275 Depth=1
	v_and_b32_e32 v17, 7, v15
	v_lshrrev_b32_e32 v18, 3, v9
	v_cmp_gt_u32_e64 s0, 8, v9
	v_ffbh_u32_e32 v17, v17
	v_min_u32_e32 v17, 32, v17
	v_subrev_nc_u32_e32 v70, 28, v17
	v_sub_nc_u32_e32 v17, 29, v17
	v_cndmask_b32_e64 v9, v18, v17, s0
	v_cndmask_b32_e64 v17, 0, v70, s0
	v_lshl_add_u32 v9, v9, 23, 0x3c000000
	v_lshlrev_b64 v[17:18], v17, v[15:16]
	v_lshlrev_b32_e32 v18, 24, v15
	v_lshlrev_b32_e32 v17, 20, v17
	v_and_b32_e32 v18, 0x80000000, v18
	v_and_b32_e32 v17, 0x700000, v17
	v_or3_b32 v70, v17, v18, v9
.LBB344_466:                            ;   in Loop: Header=BB344_275 Depth=1
	s_or_b32 exec_lo, exec_lo, s27
.LBB344_467:                            ;   in Loop: Header=BB344_275 Depth=1
	s_or_b32 exec_lo, exec_lo, s26
.LBB344_468:                            ;   in Loop: Header=BB344_275 Depth=1
	s_or_b32 exec_lo, exec_lo, s22
	v_cmp_ne_u16_sdwa s0, v15, v10 src0_sel:BYTE_1 src1_sel:DWORD
	s_and_saveexec_b32 s22, s0
	s_cbranch_execz .LBB344_476
; %bb.469:                              ;   in Loop: Header=BB344_275 Depth=1
	v_cmp_ne_u16_sdwa s0, v15, v31 src0_sel:BYTE_1 src1_sel:DWORD
	v_bfrev_b32_e32 v71, 1
	s_and_saveexec_b32 s26, s0
	s_cbranch_execz .LBB344_475
; %bb.470:                              ;   in Loop: Header=BB344_275 Depth=1
	v_and_b32_sdwa v9, v32, v15 dst_sel:DWORD dst_unused:UNUSED_PAD src0_sel:DWORD src1_sel:BYTE_1
	v_mov_b32_e32 v71, 0x7f800001
	s_mov_b32 s27, exec_lo
	v_and_b32_e32 v18, 0x7f, v9
	v_cmpx_ne_u32_e32 0x7f, v18
	s_cbranch_execz .LBB344_474
; %bb.471:                              ;   in Loop: Header=BB344_275 Depth=1
	v_and_b32_e32 v9, 7, v9
	v_lshrrev_b32_e32 v17, 3, v18
	s_mov_b32 s28, exec_lo
	v_cmpx_gt_u32_e32 8, v18
; %bb.472:                              ;   in Loop: Header=BB344_275 Depth=1
	v_ffbh_u32_e32 v17, v9
	v_min_u32_e32 v17, 32, v17
	v_subrev_nc_u32_e32 v18, 28, v17
	v_sub_nc_u32_e32 v17, 29, v17
	v_lshlrev_b64 v[71:72], v18, v[9:10]
	v_and_b32_e32 v9, 7, v71
; %bb.473:                              ;   in Loop: Header=BB344_275 Depth=1
	s_or_b32 exec_lo, exec_lo, s28
	v_lshlrev_b32_e32 v18, 16, v15
	v_lshlrev_b32_e32 v9, 20, v9
	v_lshl_add_u32 v17, v17, 23, 0x3c000000
	v_and_b32_e32 v18, 0x80000000, v18
	v_or3_b32 v71, v9, v18, v17
.LBB344_474:                            ;   in Loop: Header=BB344_275 Depth=1
	s_or_b32 exec_lo, exec_lo, s27
.LBB344_475:                            ;   in Loop: Header=BB344_275 Depth=1
	s_or_b32 exec_lo, exec_lo, s26
.LBB344_476:                            ;   in Loop: Header=BB344_275 Depth=1
	s_or_b32 exec_lo, exec_lo, s22
	v_and_b32_sdwa v9, v15, v33 dst_sel:DWORD dst_unused:UNUSED_PAD src0_sel:WORD_1 src1_sel:DWORD
	v_mov_b32_e32 v73, 0
	v_mov_b32_e32 v72, 0
	s_mov_b32 s22, exec_lo
	v_cmpx_ne_u16_e32 0, v9
	s_cbranch_execz .LBB344_484
; %bb.477:                              ;   in Loop: Header=BB344_275 Depth=1
	v_bfrev_b32_e32 v72, 1
	s_mov_b32 s26, exec_lo
	v_cmpx_ne_u16_e32 0x80, v9
	s_cbranch_execz .LBB344_483
; %bb.478:                              ;   in Loop: Header=BB344_275 Depth=1
	v_bfe_u32 v18, v15, 16, 7
	v_mov_b32_e32 v72, 0x7f800001
	s_mov_b32 s27, exec_lo
	v_cmpx_ne_u32_e32 0x7f, v18
	s_cbranch_execz .LBB344_482
; %bb.479:                              ;   in Loop: Header=BB344_275 Depth=1
	v_and_b32_sdwa v9, v15, v34 dst_sel:DWORD dst_unused:UNUSED_PAD src0_sel:WORD_1 src1_sel:DWORD
	v_lshrrev_b32_e32 v17, 3, v18
	s_mov_b32 s28, exec_lo
	v_cmpx_gt_u32_e32 8, v18
; %bb.480:                              ;   in Loop: Header=BB344_275 Depth=1
	v_ffbh_u32_e32 v17, v9
	v_min_u32_e32 v17, 32, v17
	v_subrev_nc_u32_e32 v18, 28, v17
	v_sub_nc_u32_e32 v17, 29, v17
	v_lshlrev_b64 v[74:75], v18, v[9:10]
	v_and_b32_e32 v9, 7, v74
; %bb.481:                              ;   in Loop: Header=BB344_275 Depth=1
	s_or_b32 exec_lo, exec_lo, s28
	v_lshlrev_b32_sdwa v18, v35, v15 dst_sel:DWORD dst_unused:UNUSED_PAD src0_sel:DWORD src1_sel:WORD_1
	v_lshlrev_b32_e32 v9, 20, v9
	v_lshl_add_u32 v17, v17, 23, 0x3c000000
	v_and_b32_e32 v18, 0x80000000, v18
	v_or3_b32 v72, v9, v18, v17
.LBB344_482:                            ;   in Loop: Header=BB344_275 Depth=1
	s_or_b32 exec_lo, exec_lo, s27
.LBB344_483:                            ;   in Loop: Header=BB344_275 Depth=1
	s_or_b32 exec_lo, exec_lo, s26
.LBB344_484:                            ;   in Loop: Header=BB344_275 Depth=1
	s_or_b32 exec_lo, exec_lo, s22
	s_mov_b32 s22, exec_lo
	v_cmpx_lt_u32_e32 0xffffff, v15
	s_cbranch_execz .LBB344_492
; %bb.485:                              ;   in Loop: Header=BB344_275 Depth=1
	v_cmp_ne_u32_sdwa s0, v15, v31 src0_sel:BYTE_3 src1_sel:DWORD
	v_bfrev_b32_e32 v73, 1
	s_and_saveexec_b32 s26, s0
	s_cbranch_execz .LBB344_491
; %bb.486:                              ;   in Loop: Header=BB344_275 Depth=1
	v_bfe_u32 v18, v15, 24, 7
	v_mov_b32_e32 v73, 0x7f800001
	s_mov_b32 s27, exec_lo
	v_cmpx_ne_u32_e32 0x7f, v18
	s_cbranch_execz .LBB344_490
; %bb.487:                              ;   in Loop: Header=BB344_275 Depth=1
	v_and_b32_sdwa v9, v15, v34 dst_sel:DWORD dst_unused:UNUSED_PAD src0_sel:BYTE_3 src1_sel:DWORD
	v_lshrrev_b32_e32 v17, 3, v18
	s_mov_b32 s28, exec_lo
	v_cmpx_gt_u32_e32 8, v18
; %bb.488:                              ;   in Loop: Header=BB344_275 Depth=1
	v_ffbh_u32_e32 v17, v9
	v_min_u32_e32 v17, 32, v17
	v_subrev_nc_u32_e32 v18, 28, v17
	v_sub_nc_u32_e32 v17, 29, v17
	v_lshlrev_b64 v[73:74], v18, v[9:10]
	v_and_b32_e32 v9, 7, v73
; %bb.489:                              ;   in Loop: Header=BB344_275 Depth=1
	s_or_b32 exec_lo, exec_lo, s28
	v_lshlrev_b32_sdwa v18, v35, v15 dst_sel:DWORD dst_unused:UNUSED_PAD src0_sel:DWORD src1_sel:BYTE_3
	v_lshlrev_b32_e32 v9, 20, v9
	v_lshl_add_u32 v17, v17, 23, 0x3c000000
	v_and_b32_e32 v18, 0x80000000, v18
	v_or3_b32 v73, v9, v18, v17
.LBB344_490:                            ;   in Loop: Header=BB344_275 Depth=1
	s_or_b32 exec_lo, exec_lo, s27
.LBB344_491:                            ;   in Loop: Header=BB344_275 Depth=1
	s_or_b32 exec_lo, exec_lo, s26
.LBB344_492:                            ;   in Loop: Header=BB344_275 Depth=1
	s_or_b32 exec_lo, exec_lo, s22
	v_mov_b32_e32 v9, v16
	v_cmp_ne_u16_sdwa s0, v16, v10 src0_sel:BYTE_0 src1_sel:DWORD
	v_mov_b32_e32 v17, 0
	v_mov_b32_e32 v74, 0
	s_and_saveexec_b32 s22, s0
	s_cbranch_execz .LBB344_498
; %bb.493:                              ;   in Loop: Header=BB344_275 Depth=1
	v_cmp_ne_u16_sdwa s0, v16, v31 src0_sel:BYTE_0 src1_sel:DWORD
	v_bfrev_b32_e32 v74, 1
	s_and_saveexec_b32 s26, s0
	s_cbranch_execz .LBB344_497
; %bb.494:                              ;   in Loop: Header=BB344_275 Depth=1
	v_and_b32_e32 v18, 0x7f, v16
	v_mov_b32_e32 v74, 0x7f800001
	s_mov_b32 s27, exec_lo
	v_cmpx_ne_u32_e32 0x7f, v18
	s_cbranch_execz .LBB344_496
; %bb.495:                              ;   in Loop: Header=BB344_275 Depth=1
	v_and_b32_e32 v74, 7, v16
	v_lshrrev_b32_e32 v75, 3, v18
	v_cmp_gt_u32_e64 s0, 8, v18
	v_ffbh_u32_e32 v74, v74
	v_min_u32_e32 v74, 32, v74
	v_subrev_nc_u32_e32 v76, 28, v74
	v_sub_nc_u32_e32 v74, 29, v74
	v_cndmask_b32_e64 v18, v75, v74, s0
	v_cndmask_b32_e64 v74, 0, v76, s0
	v_lshl_add_u32 v18, v18, 23, 0x3c000000
	v_lshlrev_b64 v[74:75], v74, v[9:10]
	v_lshlrev_b32_e32 v75, 24, v9
	v_lshlrev_b32_e32 v74, 20, v74
	v_and_b32_e32 v75, 0x80000000, v75
	v_and_b32_e32 v74, 0x700000, v74
	v_or3_b32 v74, v74, v75, v18
.LBB344_496:                            ;   in Loop: Header=BB344_275 Depth=1
	s_or_b32 exec_lo, exec_lo, s27
.LBB344_497:                            ;   in Loop: Header=BB344_275 Depth=1
	s_or_b32 exec_lo, exec_lo, s26
.LBB344_498:                            ;   in Loop: Header=BB344_275 Depth=1
	s_or_b32 exec_lo, exec_lo, s22
	v_cmp_ne_u16_sdwa s0, v9, v10 src0_sel:BYTE_1 src1_sel:DWORD
	s_and_saveexec_b32 s22, s0
	s_cbranch_execz .LBB344_506
; %bb.499:                              ;   in Loop: Header=BB344_275 Depth=1
	v_cmp_ne_u16_sdwa s0, v9, v31 src0_sel:BYTE_1 src1_sel:DWORD
	v_bfrev_b32_e32 v17, 1
	s_and_saveexec_b32 s26, s0
	s_cbranch_execz .LBB344_505
; %bb.500:                              ;   in Loop: Header=BB344_275 Depth=1
	v_and_b32_sdwa v18, v32, v9 dst_sel:DWORD dst_unused:UNUSED_PAD src0_sel:DWORD src1_sel:BYTE_1
	v_mov_b32_e32 v17, 0x7f800001
	s_mov_b32 s27, exec_lo
	v_and_b32_e32 v76, 0x7f, v18
	v_cmpx_ne_u32_e32 0x7f, v76
	s_cbranch_execz .LBB344_504
; %bb.501:                              ;   in Loop: Header=BB344_275 Depth=1
	v_and_b32_e32 v17, 7, v18
	v_mov_b32_e32 v18, v10
	v_lshrrev_b32_e32 v75, 3, v76
	s_mov_b32 s28, exec_lo
	v_cmpx_gt_u32_e32 8, v76
; %bb.502:                              ;   in Loop: Header=BB344_275 Depth=1
	v_ffbh_u32_e32 v75, v17
	v_min_u32_e32 v75, 32, v75
	v_subrev_nc_u32_e32 v76, 28, v75
	v_sub_nc_u32_e32 v75, 29, v75
	v_lshlrev_b64 v[17:18], v76, v[17:18]
	v_and_b32_e32 v17, 7, v17
; %bb.503:                              ;   in Loop: Header=BB344_275 Depth=1
	s_or_b32 exec_lo, exec_lo, s28
	v_lshlrev_b32_e32 v9, 16, v9
	v_lshlrev_b32_e32 v17, 20, v17
	v_lshl_add_u32 v18, v75, 23, 0x3c000000
	v_and_b32_e32 v9, 0x80000000, v9
	v_or3_b32 v17, v17, v9, v18
.LBB344_504:                            ;   in Loop: Header=BB344_275 Depth=1
	s_or_b32 exec_lo, exec_lo, s27
.LBB344_505:                            ;   in Loop: Header=BB344_275 Depth=1
	s_or_b32 exec_lo, exec_lo, s26
.LBB344_506:                            ;   in Loop: Header=BB344_275 Depth=1
	s_or_b32 exec_lo, exec_lo, s22
	v_and_b32_sdwa v9, v16, v33 dst_sel:DWORD dst_unused:UNUSED_PAD src0_sel:WORD_1 src1_sel:DWORD
	v_mov_b32_e32 v18, 0
	v_mov_b32_e32 v75, 0
	s_mov_b32 s22, exec_lo
	v_cmpx_ne_u16_e32 0, v9
	s_cbranch_execz .LBB344_514
; %bb.507:                              ;   in Loop: Header=BB344_275 Depth=1
	v_bfrev_b32_e32 v75, 1
	s_mov_b32 s26, exec_lo
	v_cmpx_ne_u16_e32 0x80, v9
	s_cbranch_execz .LBB344_513
; %bb.508:                              ;   in Loop: Header=BB344_275 Depth=1
	v_bfe_u32 v76, v16, 16, 7
	v_mov_b32_e32 v75, 0x7f800001
	s_mov_b32 s27, exec_lo
	v_cmpx_ne_u32_e32 0x7f, v76
	s_cbranch_execz .LBB344_512
; %bb.509:                              ;   in Loop: Header=BB344_275 Depth=1
	v_and_b32_sdwa v9, v16, v34 dst_sel:DWORD dst_unused:UNUSED_PAD src0_sel:WORD_1 src1_sel:DWORD
	v_lshrrev_b32_e32 v75, 3, v76
	s_mov_b32 s28, exec_lo
	v_cmpx_gt_u32_e32 8, v76
; %bb.510:                              ;   in Loop: Header=BB344_275 Depth=1
	v_ffbh_u32_e32 v75, v9
	v_min_u32_e32 v75, 32, v75
	v_subrev_nc_u32_e32 v76, 28, v75
	v_sub_nc_u32_e32 v75, 29, v75
	v_lshlrev_b64 v[76:77], v76, v[9:10]
	v_and_b32_e32 v9, 7, v76
; %bb.511:                              ;   in Loop: Header=BB344_275 Depth=1
	s_or_b32 exec_lo, exec_lo, s28
	v_lshlrev_b32_sdwa v76, v35, v16 dst_sel:DWORD dst_unused:UNUSED_PAD src0_sel:DWORD src1_sel:WORD_1
	v_lshlrev_b32_e32 v9, 20, v9
	v_lshl_add_u32 v75, v75, 23, 0x3c000000
	v_and_b32_e32 v76, 0x80000000, v76
	v_or3_b32 v75, v9, v76, v75
.LBB344_512:                            ;   in Loop: Header=BB344_275 Depth=1
	s_or_b32 exec_lo, exec_lo, s27
.LBB344_513:                            ;   in Loop: Header=BB344_275 Depth=1
	s_or_b32 exec_lo, exec_lo, s26
.LBB344_514:                            ;   in Loop: Header=BB344_275 Depth=1
	s_or_b32 exec_lo, exec_lo, s22
	s_mov_b32 s22, exec_lo
	v_cmpx_lt_u64_e64 s[2:3], v[15:16]
	s_cbranch_execz .LBB344_522
; %bb.515:                              ;   in Loop: Header=BB344_275 Depth=1
	v_cmp_ne_u32_sdwa s0, v16, v31 src0_sel:BYTE_3 src1_sel:DWORD
	v_bfrev_b32_e32 v18, 1
	s_and_saveexec_b32 s26, s0
	s_cbranch_execz .LBB344_521
; %bb.516:                              ;   in Loop: Header=BB344_275 Depth=1
	v_bfe_u32 v76, v16, 24, 7
	v_mov_b32_e32 v18, 0x7f800001
	s_mov_b32 s27, exec_lo
	v_cmpx_ne_u32_e32 0x7f, v76
	s_cbranch_execz .LBB344_520
; %bb.517:                              ;   in Loop: Header=BB344_275 Depth=1
	v_and_b32_sdwa v9, v16, v34 dst_sel:DWORD dst_unused:UNUSED_PAD src0_sel:BYTE_3 src1_sel:DWORD
	v_lshrrev_b32_e32 v15, 3, v76
	s_mov_b32 s28, exec_lo
	v_cmpx_gt_u32_e32 8, v76
; %bb.518:                              ;   in Loop: Header=BB344_275 Depth=1
	v_ffbh_u32_e32 v15, v9
	v_min_u32_e32 v15, 32, v15
	v_subrev_nc_u32_e32 v18, 28, v15
	v_sub_nc_u32_e32 v15, 29, v15
	v_lshlrev_b64 v[76:77], v18, v[9:10]
	v_and_b32_e32 v9, 7, v76
; %bb.519:                              ;   in Loop: Header=BB344_275 Depth=1
	s_or_b32 exec_lo, exec_lo, s28
	v_lshlrev_b32_sdwa v16, v35, v16 dst_sel:DWORD dst_unused:UNUSED_PAD src0_sel:DWORD src1_sel:BYTE_3
	v_lshlrev_b32_e32 v9, 20, v9
	v_lshl_add_u32 v15, v15, 23, 0x3c000000
	v_and_b32_e32 v16, 0x80000000, v16
	v_or3_b32 v18, v9, v16, v15
.LBB344_520:                            ;   in Loop: Header=BB344_275 Depth=1
	s_or_b32 exec_lo, exec_lo, s27
.LBB344_521:                            ;   in Loop: Header=BB344_275 Depth=1
	s_or_b32 exec_lo, exec_lo, s26
.LBB344_522:                            ;   in Loop: Header=BB344_275 Depth=1
	s_or_b32 exec_lo, exec_lo, s22
	v_mul_f32_e32 v9, s21, v17
	v_mul_f32_e32 v15, s21, v74
	;; [unrolled: 1-line block ×5, first 2 shown]
	v_bfe_u32 v72, v9, 16, 1
	v_or_b32_e32 v73, 0x400000, v9
	v_bfe_u32 v74, v15, 16, 1
	v_cmp_u_f32_e64 s0, v9, v9
	v_or_b32_e32 v76, 0x400000, v15
	v_add3_u32 v72, v72, v9, 0x7fff
	v_bfe_u32 v77, v16, 16, 1
	v_add3_u32 v74, v74, v15, 0x7fff
	v_or_b32_e32 v78, 0x400000, v16
	v_bfe_u32 v79, v17, 16, 1
	v_cndmask_b32_e64 v9, v72, v73, s0
	v_cmp_u_f32_e64 s0, v15, v15
	v_add3_u32 v77, v77, v16, 0x7fff
	v_or_b32_e32 v73, 0x400000, v17
	v_add3_u32 v72, v79, v17, 0x7fff
	v_mul_f32_e32 v70, s21, v70
	v_cndmask_b32_e64 v15, v74, v76, s0
	v_cmp_u_f32_e64 s0, v16, v16
	v_bfe_u32 v74, v71, 16, 1
	v_mul_f32_e32 v18, s21, v18
	v_lshrrev_b32_e32 v9, 16, v9
	v_lshrrev_b32_e32 v15, 16, v15
	v_cndmask_b32_e64 v16, v77, v78, s0
	v_cmp_u_f32_e64 s0, v17, v17
	v_or_b32_e32 v78, 0x400000, v18
	v_lshrrev_b32_e32 v16, 16, v16
	v_cndmask_b32_e64 v17, v72, v73, s0
	v_mul_f32_e32 v72, s21, v75
	v_add3_u32 v73, v74, v71, 0x7fff
	v_or_b32_e32 v74, 0x400000, v71
	v_bfe_u32 v75, v70, 16, 1
	v_cmp_u_f32_e64 s0, v71, v71
	v_bfe_u32 v76, v72, 16, 1
	v_or_b32_e32 v77, 0x400000, v72
	v_cndmask_b32_e64 v71, v73, v74, s0
	v_add3_u32 v74, v75, v70, 0x7fff
	v_or_b32_e32 v75, 0x400000, v70
	v_cmp_u_f32_e64 s0, v70, v70
	v_bfe_u32 v73, v18, 16, 1
	v_add3_u32 v76, v76, v72, 0x7fff
	v_lshrrev_b32_e32 v70, 16, v17
	v_lshrrev_b32_e32 v71, 16, v71
	v_cndmask_b32_e64 v74, v74, v75, s0
	v_cmp_u_f32_e64 s0, v72, v72
	v_add3_u32 v73, v73, v18, 0x7fff
	v_lshrrev_b32_e32 v72, 16, v74
	v_cndmask_b32_e64 v75, v76, v77, s0
	v_cmp_u_f32_e64 s0, v18, v18
	v_lshrrev_b32_e32 v18, 16, v75
	v_cndmask_b32_e64 v73, v73, v78, s0
	v_lshrrev_b32_e32 v17, 16, v73
	s_and_saveexec_b32 s0, vcc_lo
	s_cbranch_execz .LBB344_273
; %bb.523:                              ;   in Loop: Header=BB344_275 Depth=1
	v_cmp_gt_i32_e32 vcc_lo, s33, v48
	v_cndmask_b32_e32 v72, 0, v72, vcc_lo
	v_cmp_gt_i32_e32 vcc_lo, s33, v55
	v_cndmask_b32_e32 v71, 0, v71, vcc_lo
	;; [unrolled: 2-line block ×8, first 2 shown]
	s_branch .LBB344_273
.LBB344_524:
	s_or_b32 exec_lo, exec_lo, s17
.LBB344_525:
	s_or_b32 exec_lo, exec_lo, s1
	ds_bpermute_b32 v1, v24, v30
	ds_bpermute_b32 v2, v24, v29
	;; [unrolled: 1-line block ×4, first 2 shown]
	v_lshrrev_b32_e32 v5, 2, v22
	v_and_b32_e32 v12, 0x3c3, v0
	s_mov_b32 s0, exec_lo
	s_waitcnt lgkmcnt(0)
	s_barrier
	buffer_gl0_inv
	v_add_f32_e32 v1, v30, v1
	v_add_f32_e32 v2, v29, v2
	;; [unrolled: 1-line block ×4, first 2 shown]
	v_and_b32_e32 v4, 28, v22
	ds_bpermute_b32 v3, v25, v1
	ds_bpermute_b32 v9, v25, v2
	;; [unrolled: 1-line block ×4, first 2 shown]
	v_add_nc_u32_e32 v6, 0x60, v4
	s_waitcnt lgkmcnt(3)
	v_add_f32_e32 v4, v1, v3
	s_waitcnt lgkmcnt(2)
	v_add_f32_e32 v3, v2, v9
	;; [unrolled: 2-line block ×4, first 2 shown]
	v_cmpx_eq_u32_e32 64, v12
	s_cbranch_execz .LBB344_527
; %bb.526:
	v_lshl_add_u32 v7, v21, 7, v6
	v_add_nc_u32_e32 v8, 0xffffff00, v7
	v_add_nc_u32_e32 v9, 0xffffff20, v7
	;; [unrolled: 1-line block ×4, first 2 shown]
	ds_write_b32 v8, v4
	ds_write_b32 v9, v3
	;; [unrolled: 1-line block ×4, first 2 shown]
.LBB344_527:
	s_or_b32 exec_lo, exec_lo, s0
	v_and_b32_e32 v7, 0x3e0, v0
	v_lshlrev_b32_e32 v5, 2, v5
	s_mov_b32 s1, exec_lo
	v_cmp_eq_u32_e32 vcc_lo, 0, v26
	s_waitcnt lgkmcnt(0)
	v_lshlrev_b32_e32 v7, 2, v7
	s_barrier
	buffer_gl0_inv
	v_add3_u32 v5, 0x60, v7, v5
	v_cmpx_gt_u32_e32 64, v0
	s_cbranch_execz .LBB344_534
; %bb.528:
	s_and_saveexec_b32 s0, vcc_lo
	s_cbranch_execnz .LBB344_546
; %bb.529:
	s_or_b32 exec_lo, exec_lo, s0
	s_and_saveexec_b32 s0, vcc_lo
	s_cbranch_execnz .LBB344_547
.LBB344_530:
	s_or_b32 exec_lo, exec_lo, s0
	s_and_saveexec_b32 s0, vcc_lo
	s_cbranch_execnz .LBB344_548
.LBB344_531:
	s_or_b32 exec_lo, exec_lo, s0
	s_and_saveexec_b32 s0, vcc_lo
	s_cbranch_execz .LBB344_533
.LBB344_532:
	ds_read_b32 v7, v5 offset:96
	s_waitcnt lgkmcnt(0)
	v_add_f32_e32 v1, v1, v7
.LBB344_533:
	s_or_b32 exec_lo, exec_lo, s0
.LBB344_534:
	s_or_b32 exec_lo, exec_lo, s1
	v_and_b32_e32 v7, 0x3e3, v0
	s_mov_b32 s1, exec_lo
	s_barrier
	buffer_gl0_inv
	v_cmpx_eq_u32_e32 32, v7
	s_cbranch_execz .LBB344_536
; %bb.535:
	ds_write2_b32 v6, v4, v3 offset1:8
	ds_write2_b32 v6, v2, v1 offset0:16 offset1:24
.LBB344_536:
	s_or_b32 exec_lo, exec_lo, s1
	s_mov_b32 s1, exec_lo
	s_waitcnt lgkmcnt(0)
	s_barrier
	buffer_gl0_inv
	v_cmpx_gt_u32_e32 32, v0
	s_cbranch_execz .LBB344_543
; %bb.537:
	s_and_saveexec_b32 s0, vcc_lo
	s_cbranch_execnz .LBB344_549
; %bb.538:
	s_or_b32 exec_lo, exec_lo, s0
	s_and_saveexec_b32 s0, vcc_lo
	s_cbranch_execnz .LBB344_550
.LBB344_539:
	s_or_b32 exec_lo, exec_lo, s0
	s_and_saveexec_b32 s0, vcc_lo
	s_cbranch_execnz .LBB344_551
.LBB344_540:
	s_or_b32 exec_lo, exec_lo, s0
	s_and_saveexec_b32 s0, vcc_lo
	s_cbranch_execz .LBB344_542
.LBB344_541:
	ds_read_b32 v5, v5 offset:96
	s_waitcnt lgkmcnt(0)
	v_add_f32_e32 v1, v1, v5
.LBB344_542:
	s_or_b32 exec_lo, exec_lo, s0
.LBB344_543:
	s_or_b32 exec_lo, exec_lo, s1
	s_barrier
	buffer_gl0_inv
	s_mov_b32 s0, exec_lo
	v_cmpx_eq_u32_e32 0, v7
	s_cbranch_execz .LBB344_545
; %bb.544:
	v_bfe_u32 v5, v4, 16, 1
	s_mul_i32 s0, s10, s11
	v_or_b32_e32 v6, 0x400000, v4
	s_mul_i32 s0, s0, s9
	v_bfe_u32 v7, v3, 16, 1
	v_add3_u32 v5, v5, v4, 0x7fff
	v_cmp_u_f32_e32 vcc_lo, v4, v4
	s_lshl_b32 s0, s0, 5
	v_bfe_u32 v8, v2, 16, 1
	s_ashr_i32 s1, s0, 31
	s_mul_i32 s2, s11, s24
	s_lshl_b64 s[0:1], s[0:1], 1
	v_cndmask_b32_e32 v4, v5, v6, vcc_lo
	v_add3_u32 v6, v7, v3, 0x7fff
	v_or_b32_e32 v7, 0x400000, v3
	v_cmp_u_f32_e32 vcc_lo, v3, v3
	s_add_u32 s4, s6, s0
	s_addc_u32 s5, s7, s1
	s_ashr_i32 s3, s2, 31
	v_bfe_u32 v5, v1, 16, 1
	s_lshl_b64 s[0:1], s[2:3], 1
	v_add3_u32 v8, v8, v2, 0x7fff
	v_or_b32_e32 v9, 0x400000, v2
	v_cndmask_b32_e32 v3, v6, v7, vcc_lo
	v_cmp_u_f32_e32 vcc_lo, v2, v2
	s_add_u32 s2, s4, s0
	s_addc_u32 s3, s5, s1
	s_lshl_b32 s0, s8, 5
	v_add3_u32 v5, v5, v1, 0x7fff
	s_ashr_i32 s1, s0, 31
	v_or_b32_e32 v10, 0x400000, v1
	v_cndmask_b32_e32 v2, v8, v9, vcc_lo
	v_cmp_u_f32_e32 vcc_lo, v1, v1
	v_lshrrev_b32_e32 v0, 1, v0
	s_lshl_b64 s[0:1], s[0:1], 1
	s_add_u32 s0, s2, s0
	s_addc_u32 s1, s3, s1
	v_cndmask_b32_e32 v1, v5, v10, vcc_lo
	global_store_short_d16_hi v0, v4, s[0:1]
	global_store_short_d16_hi v0, v3, s[0:1] offset:16
	global_store_short_d16_hi v0, v2, s[0:1] offset:32
	;; [unrolled: 1-line block ×3, first 2 shown]
.LBB344_545:
	s_endpgm
.LBB344_546:
	ds_read_b32 v7, v5
	s_waitcnt lgkmcnt(0)
	v_add_f32_e32 v4, v4, v7
	s_or_b32 exec_lo, exec_lo, s0
	s_and_saveexec_b32 s0, vcc_lo
	s_cbranch_execz .LBB344_530
.LBB344_547:
	ds_read_b32 v7, v5 offset:32
	s_waitcnt lgkmcnt(0)
	v_add_f32_e32 v3, v3, v7
	s_or_b32 exec_lo, exec_lo, s0
	s_and_saveexec_b32 s0, vcc_lo
	s_cbranch_execz .LBB344_531
.LBB344_548:
	ds_read_b32 v7, v5 offset:64
	s_waitcnt lgkmcnt(0)
	v_add_f32_e32 v2, v2, v7
	s_or_b32 exec_lo, exec_lo, s0
	s_and_saveexec_b32 s0, vcc_lo
	s_cbranch_execnz .LBB344_532
	s_branch .LBB344_533
.LBB344_549:
	ds_read_b32 v6, v5
	s_waitcnt lgkmcnt(0)
	v_add_f32_e32 v4, v4, v6
	s_or_b32 exec_lo, exec_lo, s0
	s_and_saveexec_b32 s0, vcc_lo
	s_cbranch_execz .LBB344_539
.LBB344_550:
	ds_read_b32 v6, v5 offset:32
	s_waitcnt lgkmcnt(0)
	v_add_f32_e32 v3, v3, v6
	s_or_b32 exec_lo, exec_lo, s0
	s_and_saveexec_b32 s0, vcc_lo
	s_cbranch_execz .LBB344_540
.LBB344_551:
	ds_read_b32 v6, v5 offset:64
	s_waitcnt lgkmcnt(0)
	v_add_f32_e32 v2, v2, v6
	s_or_b32 exec_lo, exec_lo, s0
	s_and_saveexec_b32 s0, vcc_lo
	s_cbranch_execnz .LBB344_541
	s_branch .LBB344_542
	.section	.rodata,"a",@progbits
	.p2align	6, 0x0
	.amdhsa_kernel _ZN4vllm25paged_attention_v1_kernelI14__hip_bfloat16hLi32ELi32ELi128ELNS_18Fp8KVCacheDataTypeE1ELb1EEEvPT_PKS3_PKT0_S9_ifPKiSB_iPKfiiiSD_SD_iiiii
		.amdhsa_group_segment_fixed_size 96
		.amdhsa_private_segment_fixed_size 0
		.amdhsa_kernarg_size 384
		.amdhsa_user_sgpr_count 6
		.amdhsa_user_sgpr_private_segment_buffer 1
		.amdhsa_user_sgpr_dispatch_ptr 0
		.amdhsa_user_sgpr_queue_ptr 0
		.amdhsa_user_sgpr_kernarg_segment_ptr 1
		.amdhsa_user_sgpr_dispatch_id 0
		.amdhsa_user_sgpr_flat_scratch_init 0
		.amdhsa_user_sgpr_private_segment_size 0
		.amdhsa_wavefront_size32 1
		.amdhsa_uses_dynamic_stack 0
		.amdhsa_system_sgpr_private_segment_wavefront_offset 0
		.amdhsa_system_sgpr_workgroup_id_x 1
		.amdhsa_system_sgpr_workgroup_id_y 1
		.amdhsa_system_sgpr_workgroup_id_z 1
		.amdhsa_system_sgpr_workgroup_info 0
		.amdhsa_system_vgpr_workitem_id 0
		.amdhsa_next_free_vgpr 94
		.amdhsa_next_free_sgpr 46
		.amdhsa_reserve_vcc 1
		.amdhsa_reserve_flat_scratch 0
		.amdhsa_float_round_mode_32 0
		.amdhsa_float_round_mode_16_64 0
		.amdhsa_float_denorm_mode_32 3
		.amdhsa_float_denorm_mode_16_64 3
		.amdhsa_dx10_clamp 1
		.amdhsa_ieee_mode 1
		.amdhsa_fp16_overflow 0
		.amdhsa_workgroup_processor_mode 1
		.amdhsa_memory_ordered 1
		.amdhsa_forward_progress 1
		.amdhsa_shared_vgpr_count 0
		.amdhsa_exception_fp_ieee_invalid_op 0
		.amdhsa_exception_fp_denorm_src 0
		.amdhsa_exception_fp_ieee_div_zero 0
		.amdhsa_exception_fp_ieee_overflow 0
		.amdhsa_exception_fp_ieee_underflow 0
		.amdhsa_exception_fp_ieee_inexact 0
		.amdhsa_exception_int_div_zero 0
	.end_amdhsa_kernel
	.section	.text._ZN4vllm25paged_attention_v1_kernelI14__hip_bfloat16hLi32ELi32ELi128ELNS_18Fp8KVCacheDataTypeE1ELb1EEEvPT_PKS3_PKT0_S9_ifPKiSB_iPKfiiiSD_SD_iiiii,"axG",@progbits,_ZN4vllm25paged_attention_v1_kernelI14__hip_bfloat16hLi32ELi32ELi128ELNS_18Fp8KVCacheDataTypeE1ELb1EEEvPT_PKS3_PKT0_S9_ifPKiSB_iPKfiiiSD_SD_iiiii,comdat
.Lfunc_end344:
	.size	_ZN4vllm25paged_attention_v1_kernelI14__hip_bfloat16hLi32ELi32ELi128ELNS_18Fp8KVCacheDataTypeE1ELb1EEEvPT_PKS3_PKT0_S9_ifPKiSB_iPKfiiiSD_SD_iiiii, .Lfunc_end344-_ZN4vllm25paged_attention_v1_kernelI14__hip_bfloat16hLi32ELi32ELi128ELNS_18Fp8KVCacheDataTypeE1ELb1EEEvPT_PKS3_PKT0_S9_ifPKiSB_iPKfiiiSD_SD_iiiii
                                        ; -- End function
	.set _ZN4vllm25paged_attention_v1_kernelI14__hip_bfloat16hLi32ELi32ELi128ELNS_18Fp8KVCacheDataTypeE1ELb1EEEvPT_PKS3_PKT0_S9_ifPKiSB_iPKfiiiSD_SD_iiiii.num_vgpr, 94
	.set _ZN4vllm25paged_attention_v1_kernelI14__hip_bfloat16hLi32ELi32ELi128ELNS_18Fp8KVCacheDataTypeE1ELb1EEEvPT_PKS3_PKT0_S9_ifPKiSB_iPKfiiiSD_SD_iiiii.num_agpr, 0
	.set _ZN4vllm25paged_attention_v1_kernelI14__hip_bfloat16hLi32ELi32ELi128ELNS_18Fp8KVCacheDataTypeE1ELb1EEEvPT_PKS3_PKT0_S9_ifPKiSB_iPKfiiiSD_SD_iiiii.numbered_sgpr, 46
	.set _ZN4vllm25paged_attention_v1_kernelI14__hip_bfloat16hLi32ELi32ELi128ELNS_18Fp8KVCacheDataTypeE1ELb1EEEvPT_PKS3_PKT0_S9_ifPKiSB_iPKfiiiSD_SD_iiiii.num_named_barrier, 0
	.set _ZN4vllm25paged_attention_v1_kernelI14__hip_bfloat16hLi32ELi32ELi128ELNS_18Fp8KVCacheDataTypeE1ELb1EEEvPT_PKS3_PKT0_S9_ifPKiSB_iPKfiiiSD_SD_iiiii.private_seg_size, 0
	.set _ZN4vllm25paged_attention_v1_kernelI14__hip_bfloat16hLi32ELi32ELi128ELNS_18Fp8KVCacheDataTypeE1ELb1EEEvPT_PKS3_PKT0_S9_ifPKiSB_iPKfiiiSD_SD_iiiii.uses_vcc, 1
	.set _ZN4vllm25paged_attention_v1_kernelI14__hip_bfloat16hLi32ELi32ELi128ELNS_18Fp8KVCacheDataTypeE1ELb1EEEvPT_PKS3_PKT0_S9_ifPKiSB_iPKfiiiSD_SD_iiiii.uses_flat_scratch, 0
	.set _ZN4vllm25paged_attention_v1_kernelI14__hip_bfloat16hLi32ELi32ELi128ELNS_18Fp8KVCacheDataTypeE1ELb1EEEvPT_PKS3_PKT0_S9_ifPKiSB_iPKfiiiSD_SD_iiiii.has_dyn_sized_stack, 0
	.set _ZN4vllm25paged_attention_v1_kernelI14__hip_bfloat16hLi32ELi32ELi128ELNS_18Fp8KVCacheDataTypeE1ELb1EEEvPT_PKS3_PKT0_S9_ifPKiSB_iPKfiiiSD_SD_iiiii.has_recursion, 0
	.set _ZN4vllm25paged_attention_v1_kernelI14__hip_bfloat16hLi32ELi32ELi128ELNS_18Fp8KVCacheDataTypeE1ELb1EEEvPT_PKS3_PKT0_S9_ifPKiSB_iPKfiiiSD_SD_iiiii.has_indirect_call, 0
	.section	.AMDGPU.csdata,"",@progbits
; Kernel info:
; codeLenInByte = 21852
; TotalNumSgprs: 48
; NumVgprs: 94
; ScratchSize: 0
; MemoryBound: 0
; FloatMode: 240
; IeeeMode: 1
; LDSByteSize: 96 bytes/workgroup (compile time only)
; SGPRBlocks: 0
; VGPRBlocks: 11
; NumSGPRsForWavesPerEU: 48
; NumVGPRsForWavesPerEU: 94
; Occupancy: 10
; WaveLimiterHint : 1
; COMPUTE_PGM_RSRC2:SCRATCH_EN: 0
; COMPUTE_PGM_RSRC2:USER_SGPR: 6
; COMPUTE_PGM_RSRC2:TRAP_HANDLER: 0
; COMPUTE_PGM_RSRC2:TGID_X_EN: 1
; COMPUTE_PGM_RSRC2:TGID_Y_EN: 1
; COMPUTE_PGM_RSRC2:TGID_Z_EN: 1
; COMPUTE_PGM_RSRC2:TIDIG_COMP_CNT: 0
	.section	.text._ZN4vllm25paged_attention_v1_kernelI14__hip_bfloat16hLi64ELi32ELi128ELNS_18Fp8KVCacheDataTypeE1ELb1EEEvPT_PKS3_PKT0_S9_ifPKiSB_iPKfiiiSD_SD_iiiii,"axG",@progbits,_ZN4vllm25paged_attention_v1_kernelI14__hip_bfloat16hLi64ELi32ELi128ELNS_18Fp8KVCacheDataTypeE1ELb1EEEvPT_PKS3_PKT0_S9_ifPKiSB_iPKfiiiSD_SD_iiiii,comdat
	.protected	_ZN4vllm25paged_attention_v1_kernelI14__hip_bfloat16hLi64ELi32ELi128ELNS_18Fp8KVCacheDataTypeE1ELb1EEEvPT_PKS3_PKT0_S9_ifPKiSB_iPKfiiiSD_SD_iiiii ; -- Begin function _ZN4vllm25paged_attention_v1_kernelI14__hip_bfloat16hLi64ELi32ELi128ELNS_18Fp8KVCacheDataTypeE1ELb1EEEvPT_PKS3_PKT0_S9_ifPKiSB_iPKfiiiSD_SD_iiiii
	.globl	_ZN4vllm25paged_attention_v1_kernelI14__hip_bfloat16hLi64ELi32ELi128ELNS_18Fp8KVCacheDataTypeE1ELb1EEEvPT_PKS3_PKT0_S9_ifPKiSB_iPKfiiiSD_SD_iiiii
	.p2align	8
	.type	_ZN4vllm25paged_attention_v1_kernelI14__hip_bfloat16hLi64ELi32ELi128ELNS_18Fp8KVCacheDataTypeE1ELb1EEEvPT_PKS3_PKT0_S9_ifPKiSB_iPKfiiiSD_SD_iiiii,@function
_ZN4vllm25paged_attention_v1_kernelI14__hip_bfloat16hLi64ELi32ELi128ELNS_18Fp8KVCacheDataTypeE1ELb1EEEvPT_PKS3_PKT0_S9_ifPKiSB_iPKfiiiSD_SD_iiiii: ; @_ZN4vllm25paged_attention_v1_kernelI14__hip_bfloat16hLi64ELi32ELi128ELNS_18Fp8KVCacheDataTypeE1ELb1EEEvPT_PKS3_PKT0_S9_ifPKiSB_iPKfiiiSD_SD_iiiii
; %bb.0:
	s_mov_b64 s[50:51], s[2:3]
	s_mov_b64 s[48:49], s[0:1]
	s_mov_b32 s10, s7
	s_add_u32 s48, s48, s9
	s_clause 0x2
	s_load_dword s9, s[4:5], 0x80
	s_load_dwordx2 s[0:1], s[4:5], 0x30
	s_load_dwordx2 s[2:3], s[4:5], 0x20
	s_addc_u32 s49, s49, 0
	s_ashr_i32 s11, s7, 31
	v_mov_b32_e32 v22, v0
	s_lshl_b64 s[12:13], s[10:11], 2
	s_mov_b32 s35, 0
	s_waitcnt lgkmcnt(0)
	s_add_u32 s0, s0, s12
	s_addc_u32 s1, s1, s13
	s_abs_i32 s7, s2
	s_abs_i32 s13, s9
	v_cvt_f32_u32_e32 v0, s7
	s_sub_i32 s12, 0, s7
	v_rcp_iflag_f32_e32 v0, v0
	v_mul_f32_e32 v0, 0x4f7ffffe, v0
	v_cvt_u32_f32_e32 v0, v0
	v_readfirstlane_b32 s11, v0
	s_mul_i32 s12, s12, s11
	s_mul_hi_u32 s12, s11, s12
	s_add_i32 s11, s11, s12
	s_xor_b32 s12, s9, s2
	s_mul_hi_u32 s11, s13, s11
	s_ashr_i32 s12, s12, 31
	s_mul_i32 s14, s11, s7
	s_sub_i32 s13, s13, s14
	s_add_i32 s14, s11, 1
	s_sub_i32 s15, s13, s7
	s_cmp_ge_u32 s13, s7
	s_cselect_b32 s11, s14, s11
	s_cselect_b32 s13, s15, s13
	s_add_i32 s14, s11, 1
	s_cmp_ge_u32 s13, s7
	s_cselect_b32 s7, s14, s11
	s_xor_b32 s7, s7, s12
	s_sub_i32 s20, s7, s12
	s_load_dwordx2 s[12:13], s[4:5], 0x40
	s_abs_i32 s11, s20
	v_cvt_f32_u32_e32 v0, s11
	s_sub_i32 s14, 0, s11
	v_rcp_iflag_f32_e32 v0, v0
	v_mul_f32_e32 v0, 0x4f7ffffe, v0
	v_cvt_u32_f32_e32 v0, v0
	v_readfirstlane_b32 s7, v0
	s_mul_i32 s14, s14, s7
	s_mul_hi_u32 s15, s7, s14
	s_abs_i32 s14, s6
	s_add_i32 s7, s7, s15
	s_waitcnt lgkmcnt(0)
	s_cmp_eq_u64 s[12:13], 0
	s_mul_hi_u32 s15, s14, s7
	s_cbranch_scc1 .LBB345_2
; %bb.1:
	s_ashr_i32 s7, s6, 31
	s_lshl_b64 s[16:17], s[6:7], 2
	s_add_u32 s12, s12, s16
	s_addc_u32 s13, s13, s17
	s_load_dword s35, s[12:13], 0x0
.LBB345_2:
	s_load_dword s33, s[0:1], 0x0
	s_load_dwordx4 s[16:19], s[4:5], 0x48
	s_ashr_i32 s0, s6, 31
	s_ashr_i32 s1, s20, 31
	s_lshl_b32 s24, s6, 6
	s_mov_b32 s7, exec_lo
	v_cmpx_gt_u32_e32 8, v22
	s_cbranch_execz .LBB345_4
; %bb.3:
	s_load_dwordx2 s[12:13], s[4:5], 0x8
	s_waitcnt lgkmcnt(0)
	s_mul_i32 s20, s16, s10
	v_lshlrev_b32_e32 v4, 4, v22
	s_ashr_i32 s21, s20, 31
	s_lshl_b64 s[20:21], s[20:21], 1
	s_add_u32 s16, s12, s20
	s_addc_u32 s19, s13, s21
	s_ashr_i32 s25, s24, 31
	s_lshl_b64 s[12:13], s[24:25], 1
	s_add_u32 s12, s16, s12
	s_addc_u32 s13, s19, s13
	global_load_dwordx4 v[0:3], v4, s[12:13]
	s_waitcnt vmcnt(0)
	ds_write_b128 v4, v[0:3]
.LBB345_4:
	s_or_b32 exec_lo, exec_lo, s7
	s_load_dwordx4 s[20:23], s[4:5], 0x68
	s_mul_i32 s7, s15, s11
	s_xor_b32 s1, s0, s1
	s_sub_i32 s0, s14, s7
	s_add_i32 s7, s15, 1
	s_sub_i32 s12, s0, s11
	s_cmp_ge_u32 s0, s11
	s_waitcnt lgkmcnt(0)
	s_cselect_b32 s7, s7, s15
	s_cselect_b32 s0, s12, s0
	s_add_i32 s12, s7, 1
	s_cmp_ge_u32 s0, s11
	s_load_dword s0, s[4:5], 0x78
	s_cselect_b32 s7, s12, s7
	s_mov_b32 s12, -1
	s_xor_b32 s7, s7, s1
	s_barrier
	s_sub_i32 s1, s7, s1
	s_waitcnt lgkmcnt(0)
	buffer_gl0_inv
                                        ; implicit-def: $sgpr25
	s_abs_i32 s16, s23
	v_cvt_f32_u32_e32 v0, s16
	s_sub_i32 s7, 0, s16
	v_rcp_iflag_f32_e32 v0, v0
	v_mul_f32_e32 v0, 0x4f7ffffe, v0
	v_cvt_u32_f32_e32 v0, v0
	v_readfirstlane_b32 s19, v0
	s_mul_i32 s11, s7, s19
	s_add_i32 s7, s33, -1
	s_mul_hi_u32 s13, s19, s11
	s_abs_i32 s11, s7
	s_add_i32 s19, s19, s13
	s_cmp_lt_i32 s0, 0
	s_mul_hi_u32 s34, s11, s19
	s_cbranch_scc0 .LBB345_6
; %bb.5:
	s_mul_i32 s2, s20, s2
	s_mov_b32 s12, 0
	s_add_i32 s2, s1, s2
	s_mul_i32 s2, s2, s0
	s_sub_i32 s25, 1, s2
.LBB345_6:
	s_load_dwordx2 s[26:27], s[4:5], 0x28
	s_ashr_i32 s2, s7, 31
	s_andn2_b32 vcc_lo, exec_lo, s12
	s_ashr_i32 s23, s23, 31
	s_cbranch_vccnz .LBB345_8
; %bb.7:
	s_mul_i32 s7, s9, s20
	s_add_i32 s6, s7, s6
	s_mul_i32 s0, s6, s0
	s_add_i32 s25, s0, 1
.LBB345_8:
	s_clause 0x2
	s_load_dword s0, s[4:5], 0x38
	s_load_dwordx2 s[6:7], s[4:5], 0x0
	s_load_dwordx2 s[30:31], s[4:5], 0x18
	s_mul_i32 s12, s34, s16
	s_xor_b32 s2, s2, s23
	s_sub_i32 s36, s11, s12
	s_add_i32 s20, s34, 1
	s_clause 0x1
	s_load_dword s11, s[4:5], 0x88
	s_load_dwordx4 s[12:15], s[4:5], 0x58
	v_lshrrev_b32_e32 v92, 5, v22
	v_and_b32_e32 v0, 31, v22
	v_mov_b32_e32 v83, 0xff7fffff
	v_lshrrev_b32_e32 v35, 3, v22
	s_mul_i32 s18, s1, s18
	v_lshlrev_b32_e32 v23, 5, v92
	v_lshlrev_b32_e32 v26, 2, v0
	buffer_store_dword v0, off, s[48:51], 0 ; 4-byte Folded Spill
	s_waitcnt lgkmcnt(0)
	s_mul_i32 s28, s0, s10
	s_sub_i32 s0, s36, s16
	s_ashr_i32 s29, s28, 31
	s_cmp_ge_u32 s36, s16
	s_cselect_b32 s20, s20, s34
	s_cselect_b32 s0, s0, s36
	s_add_i32 s34, s20, 1
	s_cmp_ge_u32 s0, s16
	s_cselect_b32 s0, s34, s20
	s_add_i32 s20, s33, 31
	s_ashr_i32 s34, s20, 31
	s_lshr_b32 s34, s34, 27
	s_add_i32 s20, s20, s34
	s_xor_b32 s34, s0, s2
	s_ashr_i32 s20, s20, 5
	s_sub_i32 s34, s34, s2
	v_cmp_gt_i32_e64 s0, s20, v92
	s_and_saveexec_b32 s36, s0
	s_cbranch_execz .LBB345_496
; %bb.9:
	v_mov_b32_e32 v2, 0
	buffer_store_dword v22, off, s[48:51], 0 offset:96 ; 4-byte Folded Spill
	s_load_dwordx2 s[4:5], s[4:5], 0x10
	s_sub_i32 s37, s34, s21
	s_ashr_i32 s1, s18, 31
	ds_read_b128 v[3:6], v2
	ds_read_b128 v[7:10], v2 offset:16
	ds_read_b128 v[11:14], v2 offset:32
	;; [unrolled: 1-line block ×4, first 2 shown]
	v_cmp_neq_f32_e64 vcc_lo, s35, 0
	v_lshlrev_b32_e32 v86, 5, v92
	v_mov_b32_e32 v87, 0x80
	v_mov_b32_e32 v88, 0xffff
	;; [unrolled: 1-line block ×6, first 2 shown]
	s_mov_b32 s39, s17
	s_mov_b32 s40, 0
	buffer_store_dword v35, off, s[48:51], 0 offset:104 ; 4-byte Folded Spill
	buffer_store_dword v26, off, s[48:51], 0 offset:108 ; 4-byte Folded Spill
	;; [unrolled: 1-line block ×3, first 2 shown]
	s_waitcnt lgkmcnt(0)
	s_add_u32 s2, s4, s18
	v_lshlrev_b32_e32 v0, 16, v3
	s_addc_u32 s1, s5, s1
	s_abs_i32 s38, s22
	v_and_b32_e32 v41, 0xffff0000, v14
	s_sub_i32 s4, 0, s38
	buffer_store_dword v0, off, s[48:51], 0 offset:4 ; 4-byte Folded Spill
	v_and_b32_e32 v0, 0xffff0000, v3
	v_lshlrev_b32_e32 v42, 16, v15
	v_and_b32_e32 v43, 0xffff0000, v15
	v_lshlrev_b32_e32 v44, 16, v16
	v_and_b32_e32 v45, 0xffff0000, v16
	buffer_store_dword v0, off, s[48:51], 0 offset:8 ; 4-byte Folded Spill
	v_lshlrev_b32_e32 v0, 16, v4
	v_lshlrev_b32_e32 v46, 16, v17
	v_and_b32_e32 v47, 0xffff0000, v17
	v_lshlrev_b32_e32 v48, 16, v18
	v_and_b32_e32 v49, 0xffff0000, v18
	buffer_store_dword v0, off, s[48:51], 0 offset:12 ; 4-byte Folded Spill
	v_and_b32_e32 v0, 0xffff0000, v4
	v_lshlrev_b32_e32 v50, 16, v19
	v_and_b32_e32 v51, 0xffff0000, v19
	v_lshlrev_b32_e32 v52, 16, v20
	v_and_b32_e32 v53, 0xffff0000, v20
	buffer_store_dword v0, off, s[48:51], 0 offset:16 ; 4-byte Folded Spill
	v_lshlrev_b32_e32 v0, 16, v5
	v_lshlrev_b32_e32 v54, 16, v21
	v_and_b32_e32 v55, 0xffff0000, v21
	v_lshlrev_b32_e32 v56, 16, v22
	v_and_b32_e32 v57, 0xffff0000, v22
	buffer_store_dword v0, off, s[48:51], 0 offset:20 ; 4-byte Folded Spill
	v_and_b32_e32 v0, 0xffff0000, v5
	buffer_store_dword v0, off, s[48:51], 0 offset:24 ; 4-byte Folded Spill
	v_lshlrev_b32_e32 v0, 16, v6
	buffer_store_dword v0, off, s[48:51], 0 offset:28 ; 4-byte Folded Spill
	v_and_b32_e32 v0, 0xffff0000, v6
	ds_read_b128 v[3:6], v2 offset:80
	buffer_store_dword v0, off, s[48:51], 0 offset:32 ; 4-byte Folded Spill
	v_lshlrev_b32_e32 v0, 16, v7
	buffer_store_dword v0, off, s[48:51], 0 offset:36 ; 4-byte Folded Spill
	v_and_b32_e32 v0, 0xffff0000, v7
	buffer_store_dword v0, off, s[48:51], 0 offset:40 ; 4-byte Folded Spill
	v_lshlrev_b32_e32 v0, 16, v8
	buffer_store_dword v0, off, s[48:51], 0 offset:44 ; 4-byte Folded Spill
	v_and_b32_e32 v0, 0xffff0000, v8
	;; [unrolled: 4-line block ×4, first 2 shown]
	ds_read_b128 v[7:10], v2 offset:96
	s_waitcnt lgkmcnt(1)
	v_lshlrev_b32_e32 v62, 16, v5
	v_and_b32_e32 v63, 0xffff0000, v5
	buffer_load_dword v5, off, s[48:51], 0  ; 4-byte Folded Reload
	buffer_store_dword v0, off, s[48:51], 0 offset:64 ; 4-byte Folded Spill
	v_lshlrev_b32_e32 v0, 16, v11
	v_lshlrev_b32_e32 v58, 16, v3
	v_and_b32_e32 v59, 0xffff0000, v3
	v_lshlrev_b32_e32 v60, 16, v4
	v_and_b32_e32 v61, 0xffff0000, v4
	buffer_store_dword v0, off, s[48:51], 0 offset:68 ; 4-byte Folded Spill
	v_and_b32_e32 v0, 0xffff0000, v11
	v_lshlrev_b32_e32 v64, 16, v6
	v_and_b32_e32 v65, 0xffff0000, v6
	buffer_store_dword v0, off, s[48:51], 0 offset:72 ; 4-byte Folded Spill
	v_lshlrev_b32_e32 v0, 16, v12
	s_waitcnt lgkmcnt(0)
	v_lshlrev_b32_e32 v66, 16, v7
	v_and_b32_e32 v67, 0xffff0000, v7
	buffer_store_dword v0, off, s[48:51], 0 offset:76 ; 4-byte Folded Spill
	v_and_b32_e32 v0, 0xffff0000, v12
	v_lshl_or_b32 v7, v92, 7, v26
	v_lshlrev_b32_e32 v68, 16, v8
	v_and_b32_e32 v69, 0xffff0000, v8
	v_lshlrev_b32_e32 v70, 16, v9
	buffer_store_dword v0, off, s[48:51], 0 offset:80 ; 4-byte Folded Spill
	v_lshlrev_b32_e32 v0, 16, v13
	v_and_b32_e32 v71, 0xffff0000, v9
	v_lshlrev_b32_e32 v72, 16, v10
	v_and_b32_e32 v73, 0xffff0000, v10
	v_add_nc_u32_e32 v85, 0xa0, v7
	buffer_store_dword v0, off, s[48:51], 0 offset:84 ; 4-byte Folded Spill
	v_and_b32_e32 v0, 0xffff0000, v13
	buffer_store_dword v0, off, s[48:51], 0 offset:88 ; 4-byte Folded Spill
	v_lshlrev_b32_e32 v0, 16, v14
	ds_read_b128 v[11:14], v2 offset:112
	buffer_store_dword v0, off, s[48:51], 0 offset:92 ; 4-byte Folded Spill
	v_cvt_f32_u32_e32 v0, s38
	v_rcp_iflag_f32_e32 v0, v0
	v_mul_f32_e32 v0, 0x4f7ffffe, v0
	s_waitcnt lgkmcnt(0)
	v_lshlrev_b32_e32 v74, 16, v11
	v_and_b32_e32 v75, 0xffff0000, v11
	v_lshlrev_b32_e32 v76, 16, v12
	v_and_b32_e32 v77, 0xffff0000, v12
	v_cvt_u32_f32_e32 v0, v0
	v_lshlrev_b32_e32 v78, 16, v13
	v_and_b32_e32 v79, 0xffff0000, v13
	v_lshlrev_b32_e32 v80, 16, v14
	v_and_b32_e32 v81, 0xffff0000, v14
	v_mul_lo_u32 v1, s4, v0
	s_lshl_b64 s[4:5], s[28:29], 2
	v_mul_hi_u32 v1, v0, v1
	v_add_nc_u32_e32 v82, v0, v1
	v_and_b32_e32 v0, 0x7c, v35
	s_waitcnt vmcnt(0)
	v_lshlrev_b32_e32 v3, 4, v5
	v_subrev_nc_u32_e32 v1, s33, v5
	v_add_co_u32 v3, s2, s2, v3
	v_add_co_ci_u32_e64 v4, null, s1, 0, s2
	s_add_u32 s1, s26, s4
	s_addc_u32 s2, s27, s5
	v_add_co_u32 v5, s1, s1, v0
	v_add_co_ci_u32_e64 v6, null, s2, 0, s1
	v_add_nc_u32_e32 v84, 1, v1
	s_mov_b32 s4, -1
	s_mov_b32 s5, 0xffffff
	s_branch .LBB345_15
.LBB345_10:                             ;   in Loop: Header=BB345_15 Depth=1
	s_or_b32 exec_lo, exec_lo, s45
	v_lshlrev_b32_sdwa v8, v91, v8 dst_sel:DWORD dst_unused:UNUSED_PAD src0_sel:DWORD src1_sel:BYTE_3
	v_lshlrev_b32_e32 v1, 20, v1
	v_lshl_add_u32 v7, v7, 23, 0x3c000000
	v_and_b32_e32 v8, 0x80000000, v8
	v_or3_b32 v38, v1, v8, v7
.LBB345_11:                             ;   in Loop: Header=BB345_15 Depth=1
	s_or_b32 exec_lo, exec_lo, s44
.LBB345_12:                             ;   in Loop: Header=BB345_15 Depth=1
	s_or_b32 exec_lo, exec_lo, s43
.LBB345_13:                             ;   in Loop: Header=BB345_15 Depth=1
	s_or_b32 exec_lo, exec_lo, s42
	s_waitcnt lgkmcnt(0)
	v_mul_f32_e32 v1, s41, v30
	v_mul_f32_e32 v19, s41, v19
	;; [unrolled: 1-line block ×5, first 2 shown]
	v_bfe_u32 v7, v1, 16, 1
	v_or_b32_e32 v8, 0x400000, v1
	v_cmp_u_f32_e64 s1, v1, v1
	v_mul_f32_e32 v0, s41, v0
	v_mul_f32_e32 v14, s41, v14
	v_add3_u32 v7, v7, v1, 0x7fff
	v_mul_f32_e32 v21, s41, v21
	v_mul_f32_e32 v13, s41, v13
	;; [unrolled: 1-line block ×4, first 2 shown]
	v_cndmask_b32_e64 v1, v7, v8, s1
	v_mul_f32_e32 v7, s41, v31
	v_mul_f32_e32 v105, s41, v105
	;; [unrolled: 1-line block ×5, first 2 shown]
	v_bfe_u32 v8, v7, 16, 1
	v_or_b32_e32 v9, 0x400000, v7
	v_cmp_u_f32_e64 s1, v7, v7
	v_mul_f32_e32 v101, s41, v101
	v_mul_f32_e32 v107, s41, v107
	v_add3_u32 v8, v8, v7, 0x7fff
	v_mul_f32_e32 v98, s41, v98
	v_mul_f32_e32 v97, s41, v97
	;; [unrolled: 1-line block ×4, first 2 shown]
	v_cndmask_b32_e64 v7, v8, v9, s1
	v_mul_f32_e32 v8, s41, v29
	v_mul_f32_e32 v94, s41, v94
	;; [unrolled: 1-line block ×5, first 2 shown]
	v_bfe_u32 v9, v8, 16, 1
	v_or_b32_e32 v10, 0x400000, v8
	v_cmp_u_f32_e64 s1, v8, v8
	v_mul_f32_e32 v33, s41, v33
	v_mul_f32_e32 v32, s41, v32
	v_add3_u32 v9, v9, v8, 0x7fff
	v_mul_f32_e32 v8, s41, v28
	v_mul_f32_e32 v11, s41, v11
	v_and_b32_e32 v7, 0xffff0000, v7
	v_and_b32_e32 v1, 0xffff0000, v1
	v_cndmask_b32_e64 v10, v9, v10, s1
	v_bfe_u32 v9, v8, 16, 1
	v_or_b32_e32 v28, 0x400000, v8
	v_cmp_u_f32_e64 s1, v8, v8
	v_add3_u32 v9, v9, v8, 0x7fff
	v_mul_f32_e32 v8, s41, v26
	v_cndmask_b32_e64 v28, v9, v28, s1
	v_bfe_u32 v9, v8, 16, 1
	v_or_b32_e32 v26, 0x400000, v8
	v_cmp_u_f32_e64 s1, v8, v8
	v_add3_u32 v9, v9, v8, 0x7fff
	v_mul_f32_e32 v8, s41, v27
	;; [unrolled: 6-line block ×4, first 2 shown]
	v_cndmask_b32_e64 v9, v9, v29, s1
	v_bfe_u32 v29, v8, 16, 1
	v_or_b32_e32 v30, 0x400000, v8
	v_cmp_u_f32_e64 s1, v8, v8
	v_add3_u32 v29, v29, v8, 0x7fff
	v_cndmask_b32_e64 v8, v29, v30, s1
	v_bfe_u32 v29, v19, 16, 1
	v_or_b32_e32 v30, 0x400000, v19
	v_cmp_u_f32_e64 s1, v19, v19
	v_add3_u32 v29, v29, v19, 0x7fff
	;; [unrolled: 5-line block ×6, first 2 shown]
	v_mul_f32_e32 v0, s41, v16
	v_cndmask_b32_e64 v29, v29, v30, s1
	v_bfe_u32 v16, v0, 16, 1
	v_or_b32_e32 v30, 0x400000, v0
	v_cmp_u_f32_e64 s1, v0, v0
	v_add3_u32 v16, v16, v0, 0x7fff
	v_mul_f32_e32 v0, s41, v25
	v_cndmask_b32_e64 v30, v16, v30, s1
	v_bfe_u32 v16, v0, 16, 1
	v_or_b32_e32 v25, 0x400000, v0
	v_cmp_u_f32_e64 s1, v0, v0
	v_add3_u32 v16, v16, v0, 0x7fff
	v_cndmask_b32_e64 v0, v16, v25, s1
	v_mul_f32_e32 v16, s41, v24
	v_and_b32_e32 v0, 0xffff0000, v0
	v_bfe_u32 v24, v16, 16, 1
	v_or_b32_e32 v25, 0x400000, v16
	v_cmp_u_f32_e64 s1, v16, v16
	v_add3_u32 v24, v24, v16, 0x7fff
	v_cndmask_b32_e64 v16, v24, v25, s1
	v_bfe_u32 v24, v14, 16, 1
	v_or_b32_e32 v25, 0x400000, v14
	v_cmp_u_f32_e64 s1, v14, v14
	v_add3_u32 v24, v24, v14, 0x7fff
	v_cndmask_b32_e64 v14, v24, v25, s1
	;; [unrolled: 5-line block ×4, first 2 shown]
	v_mul_f32_e32 v24, s41, v127
	v_and_b32_e32 v13, 0xffff0000, v13
	v_bfe_u32 v25, v24, 16, 1
	v_or_b32_e32 v31, 0x400000, v24
	v_cmp_u_f32_e64 s1, v24, v24
	v_add3_u32 v25, v25, v24, 0x7fff
	v_cndmask_b32_e64 v24, v25, v31, s1
	v_mul_f32_e32 v25, s41, v125
	v_and_b32_e32 v24, 0xffff0000, v24
	v_bfe_u32 v31, v25, 16, 1
	v_or_b32_e32 v34, 0x400000, v25
	v_cmp_u_f32_e64 s1, v25, v25
	v_add3_u32 v31, v31, v25, 0x7fff
	v_cndmask_b32_e64 v25, v31, v34, s1
	;; [unrolled: 7-line block ×3, first 2 shown]
	v_bfe_u32 v34, v15, 16, 1
	v_or_b32_e32 v35, 0x400000, v15
	v_cmp_u_f32_e64 s1, v15, v15
	v_and_b32_e32 v31, 0xffff0000, v31
	v_add3_u32 v34, v34, v15, 0x7fff
	v_cndmask_b32_e64 v15, v34, v35, s1
	v_bfe_u32 v34, v22, 16, 1
	v_or_b32_e32 v35, 0x400000, v22
	v_cmp_u_f32_e64 s1, v22, v22
	v_add3_u32 v34, v34, v22, 0x7fff
	v_cndmask_b32_e64 v22, v34, v35, s1
	v_mul_f32_e32 v34, s41, v122
	v_bfe_u32 v35, v34, 16, 1
	v_or_b32_e32 v40, 0x400000, v34
	v_cmp_u_f32_e64 s1, v34, v34
	v_add3_u32 v35, v35, v34, 0x7fff
	v_cndmask_b32_e64 v34, v35, v40, s1
	v_mul_f32_e32 v35, s41, v121
	v_and_b32_e32 v34, 0xffff0000, v34
	v_bfe_u32 v40, v35, 16, 1
	v_or_b32_e32 v121, 0x400000, v35
	v_cmp_u_f32_e64 s1, v35, v35
	v_add3_u32 v40, v40, v35, 0x7fff
	v_cndmask_b32_e64 v35, v40, v121, s1
	v_mul_f32_e32 v40, s41, v120
	v_and_b32_e32 v35, 0xffff0000, v35
	v_bfe_u32 v120, v40, 16, 1
	v_or_b32_e32 v121, 0x400000, v40
	v_cmp_u_f32_e64 s1, v40, v40
	v_add3_u32 v120, v120, v40, 0x7fff
	v_mul_f32_e32 v40, s41, v119
	v_cndmask_b32_e64 v120, v120, v121, s1
	v_bfe_u32 v119, v40, 16, 1
	v_or_b32_e32 v121, 0x400000, v40
	v_cmp_u_f32_e64 s1, v40, v40
	v_add3_u32 v119, v119, v40, 0x7fff
	v_mul_f32_e32 v40, s41, v118
	v_cndmask_b32_e64 v119, v119, v121, s1
	;; [unrolled: 6-line block ×14, first 2 shown]
	v_bfe_u32 v106, v40, 16, 1
	v_or_b32_e32 v115, 0x400000, v40
	v_cmp_u_f32_e64 s1, v40, v40
	v_add3_u32 v106, v106, v40, 0x7fff
	v_cndmask_b32_e64 v40, v106, v115, s1
	v_bfe_u32 v106, v105, 16, 1
	v_or_b32_e32 v115, 0x400000, v105
	v_cmp_u_f32_e64 s1, v105, v105
	v_add3_u32 v106, v106, v105, 0x7fff
	v_cndmask_b32_e64 v105, v106, v115, s1
	;; [unrolled: 5-line block ×6, first 2 shown]
	v_mul_f32_e32 v106, s41, v108
	v_bfe_u32 v108, v106, 16, 1
	v_or_b32_e32 v115, 0x400000, v106
	v_cmp_u_f32_e64 s1, v106, v106
	v_add3_u32 v108, v108, v106, 0x7fff
	v_cndmask_b32_e64 v106, v108, v115, s1
	v_bfe_u32 v108, v107, 16, 1
	v_or_b32_e32 v115, 0x400000, v107
	v_cmp_u_f32_e64 s1, v107, v107
	v_add3_u32 v108, v108, v107, 0x7fff
	v_cndmask_b32_e64 v107, v108, v115, s1
	v_bfe_u32 v108, v98, 16, 1
	v_or_b32_e32 v115, 0x400000, v98
	v_cmp_u_f32_e64 s1, v98, v98
	v_add3_u32 v108, v108, v98, 0x7fff
	v_bfe_u32 v98, v97, 16, 1
	v_cndmask_b32_e64 v108, v108, v115, s1
	v_add3_u32 v98, v98, v97, 0x7fff
	v_or_b32_e32 v115, 0x400000, v97
	v_cmp_u_f32_e64 s1, v97, v97
	v_bfe_u32 v97, v96, 16, 1
	v_cndmask_b32_e64 v115, v98, v115, s1
	v_add3_u32 v97, v97, v96, 0x7fff
	v_or_b32_e32 v98, 0x400000, v96
	v_cmp_u_f32_e64 s1, v96, v96
	;; [unrolled: 5-line block ×3, first 2 shown]
	v_cndmask_b32_e64 v95, v96, v97, s1
	v_bfe_u32 v96, v94, 16, 1
	v_or_b32_e32 v97, 0x400000, v94
	v_cmp_u_f32_e64 s1, v94, v94
	v_add3_u32 v96, v96, v94, 0x7fff
	v_cndmask_b32_e64 v94, v96, v97, s1
	v_bfe_u32 v96, v93, 16, 1
	v_or_b32_e32 v97, 0x400000, v93
	v_cmp_u_f32_e64 s1, v93, v93
	v_add3_u32 v96, v96, v93, 0x7fff
	v_cndmask_b32_e64 v93, v96, v97, s1
	v_mul_f32_e32 v96, s41, v100
	v_bfe_u32 v97, v96, 16, 1
	v_or_b32_e32 v98, 0x400000, v96
	v_cmp_u_f32_e64 s1, v96, v96
	v_add3_u32 v97, v97, v96, 0x7fff
	v_mul_f32_e32 v96, s41, v99
	v_cndmask_b32_e64 v125, v97, v98, s1
	v_bfe_u32 v97, v96, 16, 1
	v_or_b32_e32 v98, 0x400000, v96
	v_cmp_u_f32_e64 s1, v96, v96
	v_add3_u32 v97, v97, v96, 0x7fff
	v_bfe_u32 v96, v36, 16, 1
	v_cndmask_b32_e64 v126, v97, v98, s1
	v_add3_u32 v96, v96, v36, 0x7fff
	v_or_b32_e32 v97, 0x400000, v36
	v_cmp_u_f32_e64 s1, v36, v36
	v_cndmask_b32_e64 v36, v96, v97, s1
	v_bfe_u32 v96, v37, 16, 1
	v_or_b32_e32 v97, 0x400000, v37
	v_cmp_u_f32_e64 s1, v37, v37
	v_add3_u32 v96, v96, v37, 0x7fff
	v_cndmask_b32_e64 v37, v96, v97, s1
	v_bfe_u32 v96, v33, 16, 1
	v_or_b32_e32 v97, 0x400000, v33
	v_cmp_u_f32_e64 s1, v33, v33
	v_add3_u32 v96, v96, v33, 0x7fff
	;; [unrolled: 5-line block ×4, first 2 shown]
	v_mul_f32_e32 v11, s41, v12
	v_cndmask_b32_e64 v96, v96, v97, s1
	v_bfe_u32 v12, v11, 16, 1
	v_or_b32_e32 v97, 0x400000, v11
	v_cmp_u_f32_e64 s1, v11, v11
	v_add3_u32 v12, v12, v11, 0x7fff
	v_mul_f32_e32 v11, s41, v39
	v_cndmask_b32_e64 v100, v12, v97, s1
	v_bfe_u32 v12, v11, 16, 1
	v_or_b32_e32 v39, 0x400000, v11
	v_cmp_u_f32_e64 s1, v11, v11
	v_add3_u32 v12, v12, v11, 0x7fff
	v_cndmask_b32_e64 v11, v12, v39, s1
	v_mul_f32_e32 v12, s41, v38
	v_bfe_u32 v38, v12, 16, 1
	v_or_b32_e32 v39, 0x400000, v12
	v_cmp_u_f32_e64 s1, v12, v12
	v_add3_u32 v38, v38, v12, 0x7fff
	v_cndmask_b32_e64 v12, v38, v39, s1
	v_and_b32_e32 v39, 0xffff0000, v93
	buffer_load_dword v93, off, s[48:51], 0 offset:36 ; 4-byte Folded Reload
	v_and_b32_e32 v38, 0xffff0000, v101
	v_and_b32_e32 v101, 0xffff0000, v126
	s_waitcnt vmcnt(0)
	v_mul_f32_e32 v97, v93, v38
	s_clause 0x1
	buffer_load_dword v38, off, s[48:51], 0 offset:4
	buffer_load_dword v93, off, s[48:51], 0 offset:40
	s_waitcnt vmcnt(1)
	v_fmac_f32_e32 v97, v38, v39
	v_and_b32_e32 v38, 0xffff0000, v102
	v_and_b32_e32 v39, 0xffff0000, v94
	s_waitcnt vmcnt(0)
	v_mul_f32_e32 v99, v93, v38
	s_clause 0x1
	buffer_load_dword v38, off, s[48:51], 0 offset:8
	buffer_load_dword v93, off, s[48:51], 0 offset:44
	s_waitcnt vmcnt(1)
	v_fmac_f32_e32 v99, v38, v39
	;; [unrolled: 9-line block ×5, first 2 shown]
	v_and_b32_e32 v38, 0xffff0000, v40
	buffer_load_dword v40, off, s[48:51], 0 offset:56 ; 4-byte Folded Reload
	v_and_b32_e32 v39, 0xffff0000, v108
	s_waitcnt vmcnt(0)
	v_mul_f32_e32 v38, v40, v38
	buffer_load_dword v40, off, s[48:51], 0 offset:24 ; 4-byte Folded Reload
	s_waitcnt vmcnt(0)
	v_fmac_f32_e32 v38, v40, v39
	v_and_b32_e32 v39, 0xffff0000, v106
	v_and_b32_e32 v40, 0xffff0000, v125
	v_mul_f32_e32 v39, v93, v39
	buffer_load_dword v93, off, s[48:51], 0 offset:28 ; 4-byte Folded Reload
	s_waitcnt vmcnt(0)
	v_fmac_f32_e32 v39, v93, v40
	buffer_load_dword v93, off, s[48:51], 0 offset:64 ; 4-byte Folded Reload
	v_and_b32_e32 v40, 0xffff0000, v107
	s_waitcnt vmcnt(0)
	v_mul_f32_e32 v93, v93, v40
	buffer_load_dword v40, off, s[48:51], 0 offset:32 ; 4-byte Folded Reload
	s_waitcnt vmcnt(0)
	v_fmac_f32_e32 v93, v40, v101
	buffer_load_dword v101, off, s[48:51], 0 offset:68 ; 4-byte Folded Reload
	v_and_b32_e32 v40, 0xffff0000, v124
	s_waitcnt vmcnt(0)
	v_fmac_f32_e32 v97, v101, v40
	buffer_load_dword v101, off, s[48:51], 0 offset:72 ; 4-byte Folded Reload
	v_and_b32_e32 v40, 0xffff0000, v123
	;; [unrolled: 4-line block ×6, first 2 shown]
	v_fmac_f32_e32 v94, v46, v35
	s_waitcnt vmcnt(0)
	v_fmac_f32_e32 v38, v101, v40
	buffer_load_dword v101, off, s[48:51], 0 offset:92 ; 4-byte Folded Reload
	v_and_b32_e32 v40, 0xffff0000, v110
	v_fmac_f32_e32 v38, v47, v34
	v_and_b32_e32 v34, 0xffff0000, v118
	s_waitcnt vmcnt(0)
	v_fmac_f32_e32 v39, v101, v40
	v_and_b32_e32 v40, 0xffff0000, v109
	v_fmac_f32_e32 v39, v48, v34
	v_fmac_f32_e32 v93, v41, v40
	v_and_b32_e32 v40, 0xffff0000, v122
	v_and_b32_e32 v34, 0xffff0000, v117
	v_fmac_f32_e32 v97, v42, v40
	v_and_b32_e32 v40, 0xffff0000, v121
	v_fmac_f32_e32 v93, v49, v34
	v_fmac_f32_e32 v97, v50, v31
	;; [unrolled: 1-line block ×3, first 2 shown]
	v_and_b32_e32 v40, 0xffff0000, v119
	v_fmac_f32_e32 v99, v51, v25
	v_fmac_f32_e32 v98, v44, v40
	v_and_b32_e32 v40, 0xffff0000, v120
	v_fmac_f32_e32 v98, v52, v24
	v_fmac_f32_e32 v95, v45, v40
	v_fmac_f32_e32 v95, v53, v13
	v_and_b32_e32 v13, 0xffff0000, v21
	v_fmac_f32_e32 v94, v54, v13
	v_and_b32_e32 v13, 0xffff0000, v14
	v_fmac_f32_e32 v38, v55, v13
	;; [unrolled: 2-line block ×4, first 2 shown]
	v_fmac_f32_e32 v93, v57, v13
	v_and_b32_e32 v13, 0xffff0000, v30
	v_and_b32_e32 v0, 0xffff0000, v16
	v_fmac_f32_e32 v97, v58, v13
	v_and_b32_e32 v13, 0xffff0000, v29
	v_fmac_f32_e32 v93, v65, v0
	;; [unrolled: 2-line block ×11, first 2 shown]
	v_fmac_f32_e32 v38, v63, v13
	v_and_b32_e32 v7, 0xffff0000, v33
	v_fmac_f32_e32 v99, v75, v0
	v_and_b32_e32 v0, 0xffff0000, v10
	v_fmac_f32_e32 v38, v71, v1
	v_and_b32_e32 v1, 0xffff0000, v37
	v_fmac_f32_e32 v95, v69, v0
	v_and_b32_e32 v0, 0xffff0000, v32
	v_fmac_f32_e32 v94, v78, v1
	v_and_b32_e32 v1, 0xffff0000, v9
	v_fmac_f32_e32 v95, v77, v7
	v_fmac_f32_e32 v98, v76, v0
	v_add_f32_e32 v0, v97, v99
	v_fmac_f32_e32 v39, v72, v1
	v_and_b32_e32 v1, 0xffff0000, v36
	v_add_f32_e32 v0, v0, v98
	v_fmac_f32_e32 v38, v79, v1
	v_and_b32_e32 v1, 0xffff0000, v8
	v_add_f32_e32 v0, v0, v95
	v_fmac_f32_e32 v93, v73, v1
	v_and_b32_e32 v1, 0xffff0000, v11
	v_add_f32_e32 v0, v0, v94
	v_fmac_f32_e32 v39, v80, v1
	v_and_b32_e32 v1, 0xffff0000, v12
	v_add_f32_e32 v0, v0, v38
	v_fmac_f32_e32 v93, v81, v1
	v_add_nc_u32_e32 v1, v84, v86
	v_add_f32_e32 v0, v0, v39
	v_cvt_f32_i32_e32 v1, v1
	v_add_f32_e32 v0, v0, v93
	v_mul_f32_e32 v1, s35, v1
	v_cndmask_b32_e32 v1, 0, v1, vcc_lo
	v_fmac_f32_e32 v1, s3, v0
	buffer_load_dword v0, off, s[48:51], 0  ; 4-byte Folded Reload
	s_waitcnt vmcnt(0)
	v_add_nc_u32_e32 v0, v0, v86
	v_cmp_gt_i32_e64 s1, s33, v0
	v_max_f32_e32 v0, v83, v83
	v_max_f32_e32 v0, v0, v1
	v_cndmask_b32_e64 v1, 0, v1, s1
	v_cndmask_b32_e64 v83, v83, v0, s1
	ds_write_b32 v85, v1
.LBB345_14:                             ;   in Loop: Header=BB345_15 Depth=1
	s_or_b32 exec_lo, exec_lo, s2
	v_add_nc_u32_e32 v92, 4, v92
	v_add_co_u32 v5, s2, v5, 16
	v_add_co_ci_u32_e64 v6, null, 0, v6, s2
	v_cmp_le_i32_e64 s1, s20, v92
	v_add_nc_u32_e32 v86, 0x80, v86
	v_add_nc_u32_e32 v85, 0x200, v85
	s_or_b32 s40, s1, s40
	s_andn2_b32 exec_lo, exec_lo, s40
	s_cbranch_execz .LBB345_495
.LBB345_15:                             ; =>This Inner Loop Header: Depth=1
	v_mul_hi_u32 v0, v86, s19
	v_mul_lo_u32 v1, v0, s16
	v_add_nc_u32_e32 v7, 1, v0
	v_sub_nc_u32_e32 v1, v86, v1
	v_subrev_nc_u32_e32 v8, s16, v1
	v_cmp_le_u32_e64 s1, s16, v1
	v_cndmask_b32_e64 v0, v0, v7, s1
	v_cndmask_b32_e64 v1, v1, v8, s1
	v_add_nc_u32_e32 v7, 1, v0
	v_cmp_le_u32_e64 s1, s16, v1
	v_cndmask_b32_e64 v0, v0, v7, s1
	v_xor_b32_e32 v0, s23, v0
	v_subrev_nc_u32_e32 v0, s23, v0
	v_add_nc_u32_e32 v1, s25, v0
	v_cmp_ge_i32_e64 s2, s37, v0
	v_sub_nc_u32_e32 v7, 0, v1
	v_max_i32_e32 v7, v1, v7
	v_ashrrev_i32_e32 v1, 31, v1
	v_mul_hi_u32 v8, v7, v82
	v_mul_lo_u32 v8, v8, s38
	v_sub_nc_u32_e32 v7, v7, v8
	v_subrev_nc_u32_e32 v8, s38, v7
	v_cmp_le_u32_e64 s1, s38, v7
	v_cndmask_b32_e64 v7, v7, v8, s1
	v_subrev_nc_u32_e32 v8, s38, v7
	v_cmp_le_u32_e64 s1, s38, v7
	v_cndmask_b32_e64 v7, v7, v8, s1
	v_xor_b32_e32 v7, v7, v1
	v_sub_nc_u32_e32 v1, v7, v1
	v_cmp_ne_u32_e64 s1, 0, v1
	s_and_b32 s1, s1, s2
	s_and_saveexec_b32 s2, s1
	s_xor_b32 s1, exec_lo, s2
; %bb.16:                               ;   in Loop: Header=BB345_15 Depth=1
	v_mov_b32_e32 v0, 0xff7fffff
	ds_write_b32 v85, v0
; %bb.17:                               ;   in Loop: Header=BB345_15 Depth=1
	s_andn2_saveexec_b32 s2, s1
	s_cbranch_execz .LBB345_14
; %bb.18:                               ;   in Loop: Header=BB345_15 Depth=1
	global_load_dword v0, v[5:6], off
	s_load_dword s41, s[12:13], 0x0
	v_mov_b32_e32 v94, 0
	v_mov_b32_e32 v93, 0
	s_waitcnt vmcnt(0)
	v_mad_i64_i32 v[7:8], null, v0, s39, v[3:4]
	global_load_dwordx2 v[9:10], v[7:8], off
	s_waitcnt vmcnt(0)
	v_cmp_ne_u16_sdwa s1, v9, v2 src0_sel:BYTE_0 src1_sel:DWORD
	s_and_saveexec_b32 s42, s1
	s_cbranch_execz .LBB345_24
; %bb.19:                               ;   in Loop: Header=BB345_15 Depth=1
	v_cmp_ne_u16_sdwa s1, v9, v87 src0_sel:BYTE_0 src1_sel:DWORD
	v_bfrev_b32_e32 v93, 1
	s_and_saveexec_b32 s43, s1
	s_cbranch_execz .LBB345_23
; %bb.20:                               ;   in Loop: Header=BB345_15 Depth=1
	v_and_b32_e32 v0, 0x7f, v9
	v_mov_b32_e32 v93, 0x7f800001
	s_mov_b32 s44, exec_lo
	v_cmpx_ne_u32_e32 0x7f, v0
	s_cbranch_execz .LBB345_22
; %bb.21:                               ;   in Loop: Header=BB345_15 Depth=1
	v_and_b32_e32 v1, 7, v9
	v_cmp_gt_u32_e64 s1, 8, v0
	v_lshrrev_b32_e32 v11, 3, v0
	v_ffbh_u32_e32 v1, v1
	v_min_u32_e32 v1, 32, v1
	v_subrev_nc_u32_e32 v12, 28, v1
	v_sub_nc_u32_e32 v1, 29, v1
	v_cndmask_b32_e64 v0, 0, v12, s1
	v_cndmask_b32_e64 v11, v11, v1, s1
	v_lshlrev_b64 v[0:1], v0, v[9:10]
	v_lshlrev_b32_e32 v1, 24, v9
	v_lshl_add_u32 v11, v11, 23, 0x3c000000
	v_lshlrev_b32_e32 v0, 20, v0
	v_and_b32_e32 v1, 0x80000000, v1
	v_and_b32_e32 v0, 0x700000, v0
	v_or3_b32 v93, v0, v1, v11
.LBB345_22:                             ;   in Loop: Header=BB345_15 Depth=1
	s_or_b32 exec_lo, exec_lo, s44
.LBB345_23:                             ;   in Loop: Header=BB345_15 Depth=1
	s_or_b32 exec_lo, exec_lo, s43
.LBB345_24:                             ;   in Loop: Header=BB345_15 Depth=1
	s_or_b32 exec_lo, exec_lo, s42
	v_cmp_ne_u16_sdwa s1, v9, v2 src0_sel:BYTE_1 src1_sel:DWORD
	s_and_saveexec_b32 s42, s1
	s_cbranch_execz .LBB345_32
; %bb.25:                               ;   in Loop: Header=BB345_15 Depth=1
	v_cmp_ne_u16_sdwa s1, v9, v87 src0_sel:BYTE_1 src1_sel:DWORD
	v_bfrev_b32_e32 v94, 1
	s_and_saveexec_b32 s43, s1
	s_cbranch_execz .LBB345_31
; %bb.26:                               ;   in Loop: Header=BB345_15 Depth=1
	v_and_b32_sdwa v0, v88, v9 dst_sel:DWORD dst_unused:UNUSED_PAD src0_sel:DWORD src1_sel:BYTE_1
	v_mov_b32_e32 v94, 0x7f800001
	s_mov_b32 s44, exec_lo
	v_and_b32_e32 v11, 0x7f, v0
	v_cmpx_ne_u32_e32 0x7f, v11
	s_cbranch_execz .LBB345_30
; %bb.27:                               ;   in Loop: Header=BB345_15 Depth=1
	v_and_b32_e32 v1, 7, v0
	v_lshrrev_b32_e32 v0, 3, v11
	s_mov_b32 s45, exec_lo
	v_cmpx_gt_u32_e32 8, v11
; %bb.28:                               ;   in Loop: Header=BB345_15 Depth=1
	v_ffbh_u32_e32 v0, v1
	v_min_u32_e32 v0, 32, v0
	v_subrev_nc_u32_e32 v11, 28, v0
	v_sub_nc_u32_e32 v0, 29, v0
	v_lshlrev_b64 v[11:12], v11, v[1:2]
	v_and_b32_e32 v1, 7, v11
; %bb.29:                               ;   in Loop: Header=BB345_15 Depth=1
	s_or_b32 exec_lo, exec_lo, s45
	v_lshlrev_b32_e32 v11, 16, v9
	v_lshlrev_b32_e32 v1, 20, v1
	v_lshl_add_u32 v0, v0, 23, 0x3c000000
	v_and_b32_e32 v11, 0x80000000, v11
	v_or3_b32 v94, v1, v11, v0
.LBB345_30:                             ;   in Loop: Header=BB345_15 Depth=1
	s_or_b32 exec_lo, exec_lo, s44
.LBB345_31:                             ;   in Loop: Header=BB345_15 Depth=1
	s_or_b32 exec_lo, exec_lo, s43
.LBB345_32:                             ;   in Loop: Header=BB345_15 Depth=1
	s_or_b32 exec_lo, exec_lo, s42
	v_and_b32_sdwa v0, v9, v89 dst_sel:DWORD dst_unused:UNUSED_PAD src0_sel:WORD_1 src1_sel:DWORD
	v_mov_b32_e32 v96, 0
	v_mov_b32_e32 v95, 0
	s_mov_b32 s42, exec_lo
	v_cmpx_ne_u16_e32 0, v0
	s_cbranch_execz .LBB345_40
; %bb.33:                               ;   in Loop: Header=BB345_15 Depth=1
	v_bfrev_b32_e32 v95, 1
	s_mov_b32 s43, exec_lo
	v_cmpx_ne_u16_e32 0x80, v0
	s_cbranch_execz .LBB345_39
; %bb.34:                               ;   in Loop: Header=BB345_15 Depth=1
	v_bfe_u32 v11, v9, 16, 7
	v_mov_b32_e32 v95, 0x7f800001
	s_mov_b32 s44, exec_lo
	v_cmpx_ne_u32_e32 0x7f, v11
	s_cbranch_execz .LBB345_38
; %bb.35:                               ;   in Loop: Header=BB345_15 Depth=1
	v_and_b32_sdwa v1, v9, v90 dst_sel:DWORD dst_unused:UNUSED_PAD src0_sel:WORD_1 src1_sel:DWORD
	v_lshrrev_b32_e32 v0, 3, v11
	s_mov_b32 s45, exec_lo
	v_cmpx_gt_u32_e32 8, v11
; %bb.36:                               ;   in Loop: Header=BB345_15 Depth=1
	v_ffbh_u32_e32 v0, v1
	v_min_u32_e32 v0, 32, v0
	v_subrev_nc_u32_e32 v11, 28, v0
	v_sub_nc_u32_e32 v0, 29, v0
	v_lshlrev_b64 v[11:12], v11, v[1:2]
	v_and_b32_e32 v1, 7, v11
; %bb.37:                               ;   in Loop: Header=BB345_15 Depth=1
	s_or_b32 exec_lo, exec_lo, s45
	v_lshlrev_b32_sdwa v11, v91, v9 dst_sel:DWORD dst_unused:UNUSED_PAD src0_sel:DWORD src1_sel:WORD_1
	v_lshlrev_b32_e32 v1, 20, v1
	v_lshl_add_u32 v0, v0, 23, 0x3c000000
	v_and_b32_e32 v11, 0x80000000, v11
	v_or3_b32 v95, v1, v11, v0
.LBB345_38:                             ;   in Loop: Header=BB345_15 Depth=1
	s_or_b32 exec_lo, exec_lo, s44
.LBB345_39:                             ;   in Loop: Header=BB345_15 Depth=1
	s_or_b32 exec_lo, exec_lo, s43
.LBB345_40:                             ;   in Loop: Header=BB345_15 Depth=1
	s_or_b32 exec_lo, exec_lo, s42
	s_mov_b32 s42, exec_lo
	v_cmpx_lt_u32_e32 0xffffff, v9
	s_cbranch_execz .LBB345_48
; %bb.41:                               ;   in Loop: Header=BB345_15 Depth=1
	v_cmp_ne_u32_sdwa s1, v9, v87 src0_sel:BYTE_3 src1_sel:DWORD
	v_bfrev_b32_e32 v96, 1
	s_and_saveexec_b32 s43, s1
	s_cbranch_execz .LBB345_47
; %bb.42:                               ;   in Loop: Header=BB345_15 Depth=1
	v_bfe_u32 v11, v9, 24, 7
	v_mov_b32_e32 v96, 0x7f800001
	s_mov_b32 s44, exec_lo
	v_cmpx_ne_u32_e32 0x7f, v11
	s_cbranch_execz .LBB345_46
; %bb.43:                               ;   in Loop: Header=BB345_15 Depth=1
	v_and_b32_sdwa v1, v9, v90 dst_sel:DWORD dst_unused:UNUSED_PAD src0_sel:BYTE_3 src1_sel:DWORD
	v_lshrrev_b32_e32 v0, 3, v11
	s_mov_b32 s45, exec_lo
	v_cmpx_gt_u32_e32 8, v11
; %bb.44:                               ;   in Loop: Header=BB345_15 Depth=1
	v_ffbh_u32_e32 v0, v1
	v_min_u32_e32 v0, 32, v0
	v_subrev_nc_u32_e32 v11, 28, v0
	v_sub_nc_u32_e32 v0, 29, v0
	v_lshlrev_b64 v[11:12], v11, v[1:2]
	v_and_b32_e32 v1, 7, v11
; %bb.45:                               ;   in Loop: Header=BB345_15 Depth=1
	s_or_b32 exec_lo, exec_lo, s45
	v_lshlrev_b32_sdwa v11, v91, v9 dst_sel:DWORD dst_unused:UNUSED_PAD src0_sel:DWORD src1_sel:BYTE_3
	v_lshlrev_b32_e32 v1, 20, v1
	v_lshl_add_u32 v0, v0, 23, 0x3c000000
	v_and_b32_e32 v11, 0x80000000, v11
	v_or3_b32 v96, v1, v11, v0
.LBB345_46:                             ;   in Loop: Header=BB345_15 Depth=1
	s_or_b32 exec_lo, exec_lo, s44
.LBB345_47:                             ;   in Loop: Header=BB345_15 Depth=1
	s_or_b32 exec_lo, exec_lo, s43
.LBB345_48:                             ;   in Loop: Header=BB345_15 Depth=1
	s_or_b32 exec_lo, exec_lo, s42
	v_mov_b32_e32 v1, v10
	v_cmp_ne_u16_sdwa s1, v10, v2 src0_sel:BYTE_0 src1_sel:DWORD
	v_mov_b32_e32 v98, 0
	v_mov_b32_e32 v97, 0
	s_and_saveexec_b32 s42, s1
	s_cbranch_execz .LBB345_54
; %bb.49:                               ;   in Loop: Header=BB345_15 Depth=1
	v_cmp_ne_u16_sdwa s1, v10, v87 src0_sel:BYTE_0 src1_sel:DWORD
	v_bfrev_b32_e32 v97, 1
	s_and_saveexec_b32 s43, s1
	s_cbranch_execz .LBB345_53
; %bb.50:                               ;   in Loop: Header=BB345_15 Depth=1
	v_and_b32_e32 v0, 0x7f, v10
	v_mov_b32_e32 v97, 0x7f800001
	s_mov_b32 s44, exec_lo
	v_cmpx_ne_u32_e32 0x7f, v0
	s_cbranch_execz .LBB345_52
; %bb.51:                               ;   in Loop: Header=BB345_15 Depth=1
	v_and_b32_e32 v11, 7, v10
	v_lshrrev_b32_e32 v12, 3, v0
	v_cmp_gt_u32_e64 s1, 8, v0
	v_ffbh_u32_e32 v11, v11
	v_min_u32_e32 v11, 32, v11
	v_subrev_nc_u32_e32 v13, 28, v11
	v_sub_nc_u32_e32 v11, 29, v11
	v_cndmask_b32_e64 v0, v12, v11, s1
	v_cndmask_b32_e64 v11, 0, v13, s1
	v_lshl_add_u32 v0, v0, 23, 0x3c000000
	v_lshlrev_b64 v[11:12], v11, v[1:2]
	v_lshlrev_b32_e32 v12, 24, v1
	v_lshlrev_b32_e32 v11, 20, v11
	v_and_b32_e32 v12, 0x80000000, v12
	v_and_b32_e32 v11, 0x700000, v11
	v_or3_b32 v97, v11, v12, v0
.LBB345_52:                             ;   in Loop: Header=BB345_15 Depth=1
	s_or_b32 exec_lo, exec_lo, s44
.LBB345_53:                             ;   in Loop: Header=BB345_15 Depth=1
	s_or_b32 exec_lo, exec_lo, s43
.LBB345_54:                             ;   in Loop: Header=BB345_15 Depth=1
	s_or_b32 exec_lo, exec_lo, s42
	v_cmp_ne_u16_sdwa s1, v1, v2 src0_sel:BYTE_1 src1_sel:DWORD
	s_and_saveexec_b32 s42, s1
	s_cbranch_execz .LBB345_62
; %bb.55:                               ;   in Loop: Header=BB345_15 Depth=1
	v_cmp_ne_u16_sdwa s1, v1, v87 src0_sel:BYTE_1 src1_sel:DWORD
	v_bfrev_b32_e32 v98, 1
	s_and_saveexec_b32 s43, s1
	s_cbranch_execz .LBB345_61
; %bb.56:                               ;   in Loop: Header=BB345_15 Depth=1
	v_and_b32_sdwa v0, v88, v1 dst_sel:DWORD dst_unused:UNUSED_PAD src0_sel:DWORD src1_sel:BYTE_1
	v_mov_b32_e32 v98, 0x7f800001
	s_mov_b32 s44, exec_lo
	v_and_b32_e32 v13, 0x7f, v0
	v_cmpx_ne_u32_e32 0x7f, v13
	s_cbranch_execz .LBB345_60
; %bb.57:                               ;   in Loop: Header=BB345_15 Depth=1
	v_and_b32_e32 v11, 7, v0
	v_mov_b32_e32 v12, v2
	v_lshrrev_b32_e32 v0, 3, v13
	s_mov_b32 s45, exec_lo
	v_cmpx_gt_u32_e32 8, v13
; %bb.58:                               ;   in Loop: Header=BB345_15 Depth=1
	v_ffbh_u32_e32 v0, v11
	v_min_u32_e32 v0, 32, v0
	v_subrev_nc_u32_e32 v13, 28, v0
	v_sub_nc_u32_e32 v0, 29, v0
	v_lshlrev_b64 v[11:12], v13, v[11:12]
	v_and_b32_e32 v11, 7, v11
; %bb.59:                               ;   in Loop: Header=BB345_15 Depth=1
	s_or_b32 exec_lo, exec_lo, s45
	v_lshlrev_b32_e32 v1, 16, v1
	v_lshlrev_b32_e32 v11, 20, v11
	v_lshl_add_u32 v0, v0, 23, 0x3c000000
	v_and_b32_e32 v1, 0x80000000, v1
	v_or3_b32 v98, v11, v1, v0
.LBB345_60:                             ;   in Loop: Header=BB345_15 Depth=1
	s_or_b32 exec_lo, exec_lo, s44
.LBB345_61:                             ;   in Loop: Header=BB345_15 Depth=1
	s_or_b32 exec_lo, exec_lo, s43
.LBB345_62:                             ;   in Loop: Header=BB345_15 Depth=1
	s_or_b32 exec_lo, exec_lo, s42
	v_and_b32_sdwa v0, v10, v89 dst_sel:DWORD dst_unused:UNUSED_PAD src0_sel:WORD_1 src1_sel:DWORD
	v_mov_b32_e32 v99, 0
	v_mov_b32_e32 v100, 0
	s_mov_b32 s42, exec_lo
	v_cmpx_ne_u16_e32 0, v0
	s_cbranch_execz .LBB345_70
; %bb.63:                               ;   in Loop: Header=BB345_15 Depth=1
	v_bfrev_b32_e32 v100, 1
	s_mov_b32 s43, exec_lo
	v_cmpx_ne_u16_e32 0x80, v0
	s_cbranch_execz .LBB345_69
; %bb.64:                               ;   in Loop: Header=BB345_15 Depth=1
	v_bfe_u32 v11, v10, 16, 7
	v_mov_b32_e32 v100, 0x7f800001
	s_mov_b32 s44, exec_lo
	v_cmpx_ne_u32_e32 0x7f, v11
	s_cbranch_execz .LBB345_68
; %bb.65:                               ;   in Loop: Header=BB345_15 Depth=1
	v_and_b32_sdwa v1, v10, v90 dst_sel:DWORD dst_unused:UNUSED_PAD src0_sel:WORD_1 src1_sel:DWORD
	v_lshrrev_b32_e32 v0, 3, v11
	s_mov_b32 s45, exec_lo
	v_cmpx_gt_u32_e32 8, v11
; %bb.66:                               ;   in Loop: Header=BB345_15 Depth=1
	v_ffbh_u32_e32 v0, v1
	v_min_u32_e32 v0, 32, v0
	v_subrev_nc_u32_e32 v11, 28, v0
	v_sub_nc_u32_e32 v0, 29, v0
	v_lshlrev_b64 v[11:12], v11, v[1:2]
	v_and_b32_e32 v1, 7, v11
; %bb.67:                               ;   in Loop: Header=BB345_15 Depth=1
	s_or_b32 exec_lo, exec_lo, s45
	v_lshlrev_b32_sdwa v11, v91, v10 dst_sel:DWORD dst_unused:UNUSED_PAD src0_sel:DWORD src1_sel:WORD_1
	v_lshlrev_b32_e32 v1, 20, v1
	v_lshl_add_u32 v0, v0, 23, 0x3c000000
	v_and_b32_e32 v11, 0x80000000, v11
	v_or3_b32 v100, v1, v11, v0
.LBB345_68:                             ;   in Loop: Header=BB345_15 Depth=1
	s_or_b32 exec_lo, exec_lo, s44
.LBB345_69:                             ;   in Loop: Header=BB345_15 Depth=1
	s_or_b32 exec_lo, exec_lo, s43
.LBB345_70:                             ;   in Loop: Header=BB345_15 Depth=1
	s_or_b32 exec_lo, exec_lo, s42
	s_mov_b32 s42, exec_lo
	v_cmpx_lt_u64_e64 s[4:5], v[9:10]
	s_cbranch_execz .LBB345_78
; %bb.71:                               ;   in Loop: Header=BB345_15 Depth=1
	v_cmp_ne_u32_sdwa s1, v10, v87 src0_sel:BYTE_3 src1_sel:DWORD
	v_bfrev_b32_e32 v99, 1
	s_and_saveexec_b32 s43, s1
	s_cbranch_execz .LBB345_77
; %bb.72:                               ;   in Loop: Header=BB345_15 Depth=1
	v_bfe_u32 v9, v10, 24, 7
	v_mov_b32_e32 v99, 0x7f800001
	s_mov_b32 s44, exec_lo
	v_cmpx_ne_u32_e32 0x7f, v9
	s_cbranch_execz .LBB345_76
; %bb.73:                               ;   in Loop: Header=BB345_15 Depth=1
	v_and_b32_sdwa v1, v10, v90 dst_sel:DWORD dst_unused:UNUSED_PAD src0_sel:BYTE_3 src1_sel:DWORD
	v_lshrrev_b32_e32 v0, 3, v9
	s_mov_b32 s45, exec_lo
	v_cmpx_gt_u32_e32 8, v9
; %bb.74:                               ;   in Loop: Header=BB345_15 Depth=1
	v_ffbh_u32_e32 v0, v1
	v_min_u32_e32 v0, 32, v0
	v_subrev_nc_u32_e32 v9, 28, v0
	v_sub_nc_u32_e32 v0, 29, v0
	v_lshlrev_b64 v[11:12], v9, v[1:2]
	v_and_b32_e32 v1, 7, v11
; %bb.75:                               ;   in Loop: Header=BB345_15 Depth=1
	s_or_b32 exec_lo, exec_lo, s45
	v_lshlrev_b32_sdwa v9, v91, v10 dst_sel:DWORD dst_unused:UNUSED_PAD src0_sel:DWORD src1_sel:BYTE_3
	v_lshlrev_b32_e32 v1, 20, v1
	v_lshl_add_u32 v0, v0, 23, 0x3c000000
	v_and_b32_e32 v9, 0x80000000, v9
	v_or3_b32 v99, v1, v9, v0
.LBB345_76:                             ;   in Loop: Header=BB345_15 Depth=1
	s_or_b32 exec_lo, exec_lo, s44
.LBB345_77:                             ;   in Loop: Header=BB345_15 Depth=1
	s_or_b32 exec_lo, exec_lo, s43
.LBB345_78:                             ;   in Loop: Header=BB345_15 Depth=1
	s_or_b32 exec_lo, exec_lo, s42
	global_load_dwordx2 v[9:10], v[7:8], off offset:8
	v_mov_b32_e32 v102, 0
	v_mov_b32_e32 v101, 0
	s_waitcnt vmcnt(0)
	v_cmp_ne_u16_sdwa s1, v9, v2 src0_sel:BYTE_0 src1_sel:DWORD
	s_and_saveexec_b32 s42, s1
	s_cbranch_execz .LBB345_84
; %bb.79:                               ;   in Loop: Header=BB345_15 Depth=1
	v_cmp_ne_u16_sdwa s1, v9, v87 src0_sel:BYTE_0 src1_sel:DWORD
	v_bfrev_b32_e32 v101, 1
	s_and_saveexec_b32 s43, s1
	s_cbranch_execz .LBB345_83
; %bb.80:                               ;   in Loop: Header=BB345_15 Depth=1
	v_and_b32_e32 v0, 0x7f, v9
	v_mov_b32_e32 v101, 0x7f800001
	s_mov_b32 s44, exec_lo
	v_cmpx_ne_u32_e32 0x7f, v0
	s_cbranch_execz .LBB345_82
; %bb.81:                               ;   in Loop: Header=BB345_15 Depth=1
	v_and_b32_e32 v1, 7, v9
	v_cmp_gt_u32_e64 s1, 8, v0
	v_lshrrev_b32_e32 v11, 3, v0
	v_ffbh_u32_e32 v1, v1
	v_min_u32_e32 v1, 32, v1
	v_subrev_nc_u32_e32 v12, 28, v1
	v_sub_nc_u32_e32 v1, 29, v1
	v_cndmask_b32_e64 v0, 0, v12, s1
	v_cndmask_b32_e64 v11, v11, v1, s1
	v_lshlrev_b64 v[0:1], v0, v[9:10]
	v_lshlrev_b32_e32 v1, 24, v9
	v_lshl_add_u32 v11, v11, 23, 0x3c000000
	v_lshlrev_b32_e32 v0, 20, v0
	v_and_b32_e32 v1, 0x80000000, v1
	v_and_b32_e32 v0, 0x700000, v0
	v_or3_b32 v101, v0, v1, v11
.LBB345_82:                             ;   in Loop: Header=BB345_15 Depth=1
	s_or_b32 exec_lo, exec_lo, s44
.LBB345_83:                             ;   in Loop: Header=BB345_15 Depth=1
	s_or_b32 exec_lo, exec_lo, s43
.LBB345_84:                             ;   in Loop: Header=BB345_15 Depth=1
	s_or_b32 exec_lo, exec_lo, s42
	v_cmp_ne_u16_sdwa s1, v9, v2 src0_sel:BYTE_1 src1_sel:DWORD
	s_and_saveexec_b32 s42, s1
	s_cbranch_execz .LBB345_92
; %bb.85:                               ;   in Loop: Header=BB345_15 Depth=1
	v_cmp_ne_u16_sdwa s1, v9, v87 src0_sel:BYTE_1 src1_sel:DWORD
	v_bfrev_b32_e32 v102, 1
	s_and_saveexec_b32 s43, s1
	s_cbranch_execz .LBB345_91
; %bb.86:                               ;   in Loop: Header=BB345_15 Depth=1
	v_and_b32_sdwa v0, v88, v9 dst_sel:DWORD dst_unused:UNUSED_PAD src0_sel:DWORD src1_sel:BYTE_1
	v_mov_b32_e32 v102, 0x7f800001
	s_mov_b32 s44, exec_lo
	v_and_b32_e32 v11, 0x7f, v0
	v_cmpx_ne_u32_e32 0x7f, v11
	s_cbranch_execz .LBB345_90
; %bb.87:                               ;   in Loop: Header=BB345_15 Depth=1
	v_and_b32_e32 v1, 7, v0
	v_lshrrev_b32_e32 v0, 3, v11
	s_mov_b32 s45, exec_lo
	v_cmpx_gt_u32_e32 8, v11
; %bb.88:                               ;   in Loop: Header=BB345_15 Depth=1
	v_ffbh_u32_e32 v0, v1
	v_min_u32_e32 v0, 32, v0
	v_subrev_nc_u32_e32 v11, 28, v0
	v_sub_nc_u32_e32 v0, 29, v0
	v_lshlrev_b64 v[11:12], v11, v[1:2]
	v_and_b32_e32 v1, 7, v11
; %bb.89:                               ;   in Loop: Header=BB345_15 Depth=1
	s_or_b32 exec_lo, exec_lo, s45
	v_lshlrev_b32_e32 v11, 16, v9
	v_lshlrev_b32_e32 v1, 20, v1
	v_lshl_add_u32 v0, v0, 23, 0x3c000000
	v_and_b32_e32 v11, 0x80000000, v11
	v_or3_b32 v102, v1, v11, v0
.LBB345_90:                             ;   in Loop: Header=BB345_15 Depth=1
	s_or_b32 exec_lo, exec_lo, s44
.LBB345_91:                             ;   in Loop: Header=BB345_15 Depth=1
	s_or_b32 exec_lo, exec_lo, s43
.LBB345_92:                             ;   in Loop: Header=BB345_15 Depth=1
	s_or_b32 exec_lo, exec_lo, s42
	v_and_b32_sdwa v0, v9, v89 dst_sel:DWORD dst_unused:UNUSED_PAD src0_sel:WORD_1 src1_sel:DWORD
	v_mov_b32_e32 v104, 0
	v_mov_b32_e32 v103, 0
	s_mov_b32 s42, exec_lo
	v_cmpx_ne_u16_e32 0, v0
	s_cbranch_execz .LBB345_100
; %bb.93:                               ;   in Loop: Header=BB345_15 Depth=1
	v_bfrev_b32_e32 v103, 1
	s_mov_b32 s43, exec_lo
	v_cmpx_ne_u16_e32 0x80, v0
	s_cbranch_execz .LBB345_99
; %bb.94:                               ;   in Loop: Header=BB345_15 Depth=1
	v_bfe_u32 v11, v9, 16, 7
	v_mov_b32_e32 v103, 0x7f800001
	s_mov_b32 s44, exec_lo
	v_cmpx_ne_u32_e32 0x7f, v11
	s_cbranch_execz .LBB345_98
; %bb.95:                               ;   in Loop: Header=BB345_15 Depth=1
	v_and_b32_sdwa v1, v9, v90 dst_sel:DWORD dst_unused:UNUSED_PAD src0_sel:WORD_1 src1_sel:DWORD
	v_lshrrev_b32_e32 v0, 3, v11
	s_mov_b32 s45, exec_lo
	v_cmpx_gt_u32_e32 8, v11
; %bb.96:                               ;   in Loop: Header=BB345_15 Depth=1
	v_ffbh_u32_e32 v0, v1
	v_min_u32_e32 v0, 32, v0
	v_subrev_nc_u32_e32 v11, 28, v0
	v_sub_nc_u32_e32 v0, 29, v0
	v_lshlrev_b64 v[11:12], v11, v[1:2]
	v_and_b32_e32 v1, 7, v11
; %bb.97:                               ;   in Loop: Header=BB345_15 Depth=1
	s_or_b32 exec_lo, exec_lo, s45
	v_lshlrev_b32_sdwa v11, v91, v9 dst_sel:DWORD dst_unused:UNUSED_PAD src0_sel:DWORD src1_sel:WORD_1
	v_lshlrev_b32_e32 v1, 20, v1
	v_lshl_add_u32 v0, v0, 23, 0x3c000000
	v_and_b32_e32 v11, 0x80000000, v11
	v_or3_b32 v103, v1, v11, v0
.LBB345_98:                             ;   in Loop: Header=BB345_15 Depth=1
	s_or_b32 exec_lo, exec_lo, s44
.LBB345_99:                             ;   in Loop: Header=BB345_15 Depth=1
	s_or_b32 exec_lo, exec_lo, s43
.LBB345_100:                            ;   in Loop: Header=BB345_15 Depth=1
	s_or_b32 exec_lo, exec_lo, s42
	s_mov_b32 s42, exec_lo
	v_cmpx_lt_u32_e32 0xffffff, v9
	s_cbranch_execz .LBB345_108
; %bb.101:                              ;   in Loop: Header=BB345_15 Depth=1
	v_cmp_ne_u32_sdwa s1, v9, v87 src0_sel:BYTE_3 src1_sel:DWORD
	v_bfrev_b32_e32 v104, 1
	s_and_saveexec_b32 s43, s1
	s_cbranch_execz .LBB345_107
; %bb.102:                              ;   in Loop: Header=BB345_15 Depth=1
	v_bfe_u32 v11, v9, 24, 7
	v_mov_b32_e32 v104, 0x7f800001
	s_mov_b32 s44, exec_lo
	v_cmpx_ne_u32_e32 0x7f, v11
	s_cbranch_execz .LBB345_106
; %bb.103:                              ;   in Loop: Header=BB345_15 Depth=1
	v_and_b32_sdwa v1, v9, v90 dst_sel:DWORD dst_unused:UNUSED_PAD src0_sel:BYTE_3 src1_sel:DWORD
	v_lshrrev_b32_e32 v0, 3, v11
	s_mov_b32 s45, exec_lo
	v_cmpx_gt_u32_e32 8, v11
; %bb.104:                              ;   in Loop: Header=BB345_15 Depth=1
	v_ffbh_u32_e32 v0, v1
	v_min_u32_e32 v0, 32, v0
	v_subrev_nc_u32_e32 v11, 28, v0
	v_sub_nc_u32_e32 v0, 29, v0
	v_lshlrev_b64 v[11:12], v11, v[1:2]
	v_and_b32_e32 v1, 7, v11
; %bb.105:                              ;   in Loop: Header=BB345_15 Depth=1
	s_or_b32 exec_lo, exec_lo, s45
	v_lshlrev_b32_sdwa v11, v91, v9 dst_sel:DWORD dst_unused:UNUSED_PAD src0_sel:DWORD src1_sel:BYTE_3
	v_lshlrev_b32_e32 v1, 20, v1
	v_lshl_add_u32 v0, v0, 23, 0x3c000000
	v_and_b32_e32 v11, 0x80000000, v11
	v_or3_b32 v104, v1, v11, v0
.LBB345_106:                            ;   in Loop: Header=BB345_15 Depth=1
	s_or_b32 exec_lo, exec_lo, s44
.LBB345_107:                            ;   in Loop: Header=BB345_15 Depth=1
	s_or_b32 exec_lo, exec_lo, s43
.LBB345_108:                            ;   in Loop: Header=BB345_15 Depth=1
	s_or_b32 exec_lo, exec_lo, s42
	v_mov_b32_e32 v1, v10
	v_cmp_ne_u16_sdwa s1, v10, v2 src0_sel:BYTE_0 src1_sel:DWORD
	v_mov_b32_e32 v106, 0
	v_mov_b32_e32 v105, 0
	s_and_saveexec_b32 s42, s1
	s_cbranch_execz .LBB345_114
; %bb.109:                              ;   in Loop: Header=BB345_15 Depth=1
	v_cmp_ne_u16_sdwa s1, v10, v87 src0_sel:BYTE_0 src1_sel:DWORD
	v_bfrev_b32_e32 v105, 1
	s_and_saveexec_b32 s43, s1
	s_cbranch_execz .LBB345_113
; %bb.110:                              ;   in Loop: Header=BB345_15 Depth=1
	v_and_b32_e32 v0, 0x7f, v10
	v_mov_b32_e32 v105, 0x7f800001
	s_mov_b32 s44, exec_lo
	v_cmpx_ne_u32_e32 0x7f, v0
	s_cbranch_execz .LBB345_112
; %bb.111:                              ;   in Loop: Header=BB345_15 Depth=1
	v_and_b32_e32 v11, 7, v10
	v_lshrrev_b32_e32 v12, 3, v0
	v_cmp_gt_u32_e64 s1, 8, v0
	v_ffbh_u32_e32 v11, v11
	v_min_u32_e32 v11, 32, v11
	v_subrev_nc_u32_e32 v13, 28, v11
	v_sub_nc_u32_e32 v11, 29, v11
	v_cndmask_b32_e64 v0, v12, v11, s1
	v_cndmask_b32_e64 v11, 0, v13, s1
	v_lshl_add_u32 v0, v0, 23, 0x3c000000
	v_lshlrev_b64 v[11:12], v11, v[1:2]
	v_lshlrev_b32_e32 v12, 24, v1
	v_lshlrev_b32_e32 v11, 20, v11
	v_and_b32_e32 v12, 0x80000000, v12
	v_and_b32_e32 v11, 0x700000, v11
	v_or3_b32 v105, v11, v12, v0
.LBB345_112:                            ;   in Loop: Header=BB345_15 Depth=1
	s_or_b32 exec_lo, exec_lo, s44
.LBB345_113:                            ;   in Loop: Header=BB345_15 Depth=1
	s_or_b32 exec_lo, exec_lo, s43
.LBB345_114:                            ;   in Loop: Header=BB345_15 Depth=1
	s_or_b32 exec_lo, exec_lo, s42
	v_cmp_ne_u16_sdwa s1, v1, v2 src0_sel:BYTE_1 src1_sel:DWORD
	s_and_saveexec_b32 s42, s1
	s_cbranch_execz .LBB345_122
; %bb.115:                              ;   in Loop: Header=BB345_15 Depth=1
	v_cmp_ne_u16_sdwa s1, v1, v87 src0_sel:BYTE_1 src1_sel:DWORD
	v_bfrev_b32_e32 v106, 1
	s_and_saveexec_b32 s43, s1
	s_cbranch_execz .LBB345_121
; %bb.116:                              ;   in Loop: Header=BB345_15 Depth=1
	v_and_b32_sdwa v0, v88, v1 dst_sel:DWORD dst_unused:UNUSED_PAD src0_sel:DWORD src1_sel:BYTE_1
	v_mov_b32_e32 v106, 0x7f800001
	s_mov_b32 s44, exec_lo
	v_and_b32_e32 v13, 0x7f, v0
	v_cmpx_ne_u32_e32 0x7f, v13
	s_cbranch_execz .LBB345_120
; %bb.117:                              ;   in Loop: Header=BB345_15 Depth=1
	v_and_b32_e32 v11, 7, v0
	v_mov_b32_e32 v12, v2
	v_lshrrev_b32_e32 v0, 3, v13
	s_mov_b32 s45, exec_lo
	v_cmpx_gt_u32_e32 8, v13
; %bb.118:                              ;   in Loop: Header=BB345_15 Depth=1
	v_ffbh_u32_e32 v0, v11
	v_min_u32_e32 v0, 32, v0
	v_subrev_nc_u32_e32 v13, 28, v0
	v_sub_nc_u32_e32 v0, 29, v0
	v_lshlrev_b64 v[11:12], v13, v[11:12]
	v_and_b32_e32 v11, 7, v11
; %bb.119:                              ;   in Loop: Header=BB345_15 Depth=1
	s_or_b32 exec_lo, exec_lo, s45
	v_lshlrev_b32_e32 v1, 16, v1
	v_lshlrev_b32_e32 v11, 20, v11
	v_lshl_add_u32 v0, v0, 23, 0x3c000000
	v_and_b32_e32 v1, 0x80000000, v1
	v_or3_b32 v106, v11, v1, v0
.LBB345_120:                            ;   in Loop: Header=BB345_15 Depth=1
	s_or_b32 exec_lo, exec_lo, s44
.LBB345_121:                            ;   in Loop: Header=BB345_15 Depth=1
	s_or_b32 exec_lo, exec_lo, s43
.LBB345_122:                            ;   in Loop: Header=BB345_15 Depth=1
	s_or_b32 exec_lo, exec_lo, s42
	v_and_b32_sdwa v0, v10, v89 dst_sel:DWORD dst_unused:UNUSED_PAD src0_sel:WORD_1 src1_sel:DWORD
	v_mov_b32_e32 v107, 0
	v_mov_b32_e32 v108, 0
	s_mov_b32 s42, exec_lo
	v_cmpx_ne_u16_e32 0, v0
	s_cbranch_execz .LBB345_130
; %bb.123:                              ;   in Loop: Header=BB345_15 Depth=1
	v_bfrev_b32_e32 v108, 1
	s_mov_b32 s43, exec_lo
	v_cmpx_ne_u16_e32 0x80, v0
	s_cbranch_execz .LBB345_129
; %bb.124:                              ;   in Loop: Header=BB345_15 Depth=1
	v_bfe_u32 v11, v10, 16, 7
	v_mov_b32_e32 v108, 0x7f800001
	s_mov_b32 s44, exec_lo
	v_cmpx_ne_u32_e32 0x7f, v11
	s_cbranch_execz .LBB345_128
; %bb.125:                              ;   in Loop: Header=BB345_15 Depth=1
	v_and_b32_sdwa v1, v10, v90 dst_sel:DWORD dst_unused:UNUSED_PAD src0_sel:WORD_1 src1_sel:DWORD
	v_lshrrev_b32_e32 v0, 3, v11
	s_mov_b32 s45, exec_lo
	v_cmpx_gt_u32_e32 8, v11
; %bb.126:                              ;   in Loop: Header=BB345_15 Depth=1
	v_ffbh_u32_e32 v0, v1
	v_min_u32_e32 v0, 32, v0
	v_subrev_nc_u32_e32 v11, 28, v0
	v_sub_nc_u32_e32 v0, 29, v0
	v_lshlrev_b64 v[11:12], v11, v[1:2]
	v_and_b32_e32 v1, 7, v11
; %bb.127:                              ;   in Loop: Header=BB345_15 Depth=1
	s_or_b32 exec_lo, exec_lo, s45
	v_lshlrev_b32_sdwa v11, v91, v10 dst_sel:DWORD dst_unused:UNUSED_PAD src0_sel:DWORD src1_sel:WORD_1
	v_lshlrev_b32_e32 v1, 20, v1
	v_lshl_add_u32 v0, v0, 23, 0x3c000000
	v_and_b32_e32 v11, 0x80000000, v11
	v_or3_b32 v108, v1, v11, v0
.LBB345_128:                            ;   in Loop: Header=BB345_15 Depth=1
	s_or_b32 exec_lo, exec_lo, s44
.LBB345_129:                            ;   in Loop: Header=BB345_15 Depth=1
	s_or_b32 exec_lo, exec_lo, s43
.LBB345_130:                            ;   in Loop: Header=BB345_15 Depth=1
	s_or_b32 exec_lo, exec_lo, s42
	s_mov_b32 s42, exec_lo
	v_cmpx_lt_u64_e64 s[4:5], v[9:10]
	s_cbranch_execz .LBB345_138
; %bb.131:                              ;   in Loop: Header=BB345_15 Depth=1
	v_cmp_ne_u32_sdwa s1, v10, v87 src0_sel:BYTE_3 src1_sel:DWORD
	v_bfrev_b32_e32 v107, 1
	s_and_saveexec_b32 s43, s1
	s_cbranch_execz .LBB345_137
; %bb.132:                              ;   in Loop: Header=BB345_15 Depth=1
	v_bfe_u32 v9, v10, 24, 7
	v_mov_b32_e32 v107, 0x7f800001
	s_mov_b32 s44, exec_lo
	v_cmpx_ne_u32_e32 0x7f, v9
	s_cbranch_execz .LBB345_136
; %bb.133:                              ;   in Loop: Header=BB345_15 Depth=1
	v_and_b32_sdwa v1, v10, v90 dst_sel:DWORD dst_unused:UNUSED_PAD src0_sel:BYTE_3 src1_sel:DWORD
	v_lshrrev_b32_e32 v0, 3, v9
	s_mov_b32 s45, exec_lo
	v_cmpx_gt_u32_e32 8, v9
; %bb.134:                              ;   in Loop: Header=BB345_15 Depth=1
	v_ffbh_u32_e32 v0, v1
	v_min_u32_e32 v0, 32, v0
	v_subrev_nc_u32_e32 v9, 28, v0
	v_sub_nc_u32_e32 v0, 29, v0
	v_lshlrev_b64 v[11:12], v9, v[1:2]
	v_and_b32_e32 v1, 7, v11
; %bb.135:                              ;   in Loop: Header=BB345_15 Depth=1
	s_or_b32 exec_lo, exec_lo, s45
	v_lshlrev_b32_sdwa v9, v91, v10 dst_sel:DWORD dst_unused:UNUSED_PAD src0_sel:DWORD src1_sel:BYTE_3
	v_lshlrev_b32_e32 v1, 20, v1
	v_lshl_add_u32 v0, v0, 23, 0x3c000000
	v_and_b32_e32 v9, 0x80000000, v9
	v_or3_b32 v107, v1, v9, v0
.LBB345_136:                            ;   in Loop: Header=BB345_15 Depth=1
	s_or_b32 exec_lo, exec_lo, s44
.LBB345_137:                            ;   in Loop: Header=BB345_15 Depth=1
	s_or_b32 exec_lo, exec_lo, s43
.LBB345_138:                            ;   in Loop: Header=BB345_15 Depth=1
	s_or_b32 exec_lo, exec_lo, s42
	global_load_dwordx2 v[9:10], v[7:8], off offset:512
	v_mov_b32_e32 v110, 0
	v_mov_b32_e32 v109, 0
	s_waitcnt vmcnt(0)
	v_cmp_ne_u16_sdwa s1, v9, v2 src0_sel:BYTE_0 src1_sel:DWORD
	s_and_saveexec_b32 s42, s1
	s_cbranch_execz .LBB345_144
; %bb.139:                              ;   in Loop: Header=BB345_15 Depth=1
	v_cmp_ne_u16_sdwa s1, v9, v87 src0_sel:BYTE_0 src1_sel:DWORD
	v_bfrev_b32_e32 v109, 1
	s_and_saveexec_b32 s43, s1
	s_cbranch_execz .LBB345_143
; %bb.140:                              ;   in Loop: Header=BB345_15 Depth=1
	v_and_b32_e32 v0, 0x7f, v9
	v_mov_b32_e32 v109, 0x7f800001
	s_mov_b32 s44, exec_lo
	v_cmpx_ne_u32_e32 0x7f, v0
	s_cbranch_execz .LBB345_142
; %bb.141:                              ;   in Loop: Header=BB345_15 Depth=1
	v_and_b32_e32 v1, 7, v9
	v_cmp_gt_u32_e64 s1, 8, v0
	v_lshrrev_b32_e32 v11, 3, v0
	v_ffbh_u32_e32 v1, v1
	v_min_u32_e32 v1, 32, v1
	v_subrev_nc_u32_e32 v12, 28, v1
	v_sub_nc_u32_e32 v1, 29, v1
	v_cndmask_b32_e64 v0, 0, v12, s1
	v_cndmask_b32_e64 v11, v11, v1, s1
	v_lshlrev_b64 v[0:1], v0, v[9:10]
	v_lshlrev_b32_e32 v1, 24, v9
	v_lshl_add_u32 v11, v11, 23, 0x3c000000
	v_lshlrev_b32_e32 v0, 20, v0
	v_and_b32_e32 v1, 0x80000000, v1
	v_and_b32_e32 v0, 0x700000, v0
	v_or3_b32 v109, v0, v1, v11
.LBB345_142:                            ;   in Loop: Header=BB345_15 Depth=1
	s_or_b32 exec_lo, exec_lo, s44
.LBB345_143:                            ;   in Loop: Header=BB345_15 Depth=1
	s_or_b32 exec_lo, exec_lo, s43
.LBB345_144:                            ;   in Loop: Header=BB345_15 Depth=1
	s_or_b32 exec_lo, exec_lo, s42
	v_cmp_ne_u16_sdwa s1, v9, v2 src0_sel:BYTE_1 src1_sel:DWORD
	s_and_saveexec_b32 s42, s1
	s_cbranch_execz .LBB345_152
; %bb.145:                              ;   in Loop: Header=BB345_15 Depth=1
	v_cmp_ne_u16_sdwa s1, v9, v87 src0_sel:BYTE_1 src1_sel:DWORD
	v_bfrev_b32_e32 v110, 1
	s_and_saveexec_b32 s43, s1
	s_cbranch_execz .LBB345_151
; %bb.146:                              ;   in Loop: Header=BB345_15 Depth=1
	v_and_b32_sdwa v0, v88, v9 dst_sel:DWORD dst_unused:UNUSED_PAD src0_sel:DWORD src1_sel:BYTE_1
	v_mov_b32_e32 v110, 0x7f800001
	s_mov_b32 s44, exec_lo
	v_and_b32_e32 v11, 0x7f, v0
	v_cmpx_ne_u32_e32 0x7f, v11
	s_cbranch_execz .LBB345_150
; %bb.147:                              ;   in Loop: Header=BB345_15 Depth=1
	v_and_b32_e32 v1, 7, v0
	v_lshrrev_b32_e32 v0, 3, v11
	s_mov_b32 s45, exec_lo
	v_cmpx_gt_u32_e32 8, v11
; %bb.148:                              ;   in Loop: Header=BB345_15 Depth=1
	v_ffbh_u32_e32 v0, v1
	v_min_u32_e32 v0, 32, v0
	v_subrev_nc_u32_e32 v11, 28, v0
	v_sub_nc_u32_e32 v0, 29, v0
	v_lshlrev_b64 v[11:12], v11, v[1:2]
	v_and_b32_e32 v1, 7, v11
; %bb.149:                              ;   in Loop: Header=BB345_15 Depth=1
	s_or_b32 exec_lo, exec_lo, s45
	v_lshlrev_b32_e32 v11, 16, v9
	v_lshlrev_b32_e32 v1, 20, v1
	v_lshl_add_u32 v0, v0, 23, 0x3c000000
	v_and_b32_e32 v11, 0x80000000, v11
	v_or3_b32 v110, v1, v11, v0
.LBB345_150:                            ;   in Loop: Header=BB345_15 Depth=1
	s_or_b32 exec_lo, exec_lo, s44
.LBB345_151:                            ;   in Loop: Header=BB345_15 Depth=1
	s_or_b32 exec_lo, exec_lo, s43
.LBB345_152:                            ;   in Loop: Header=BB345_15 Depth=1
	s_or_b32 exec_lo, exec_lo, s42
	v_and_b32_sdwa v0, v9, v89 dst_sel:DWORD dst_unused:UNUSED_PAD src0_sel:WORD_1 src1_sel:DWORD
	v_mov_b32_e32 v112, 0
	v_mov_b32_e32 v111, 0
	s_mov_b32 s42, exec_lo
	v_cmpx_ne_u16_e32 0, v0
	s_cbranch_execz .LBB345_160
; %bb.153:                              ;   in Loop: Header=BB345_15 Depth=1
	v_bfrev_b32_e32 v111, 1
	s_mov_b32 s43, exec_lo
	v_cmpx_ne_u16_e32 0x80, v0
	s_cbranch_execz .LBB345_159
; %bb.154:                              ;   in Loop: Header=BB345_15 Depth=1
	v_bfe_u32 v11, v9, 16, 7
	v_mov_b32_e32 v111, 0x7f800001
	s_mov_b32 s44, exec_lo
	v_cmpx_ne_u32_e32 0x7f, v11
	s_cbranch_execz .LBB345_158
; %bb.155:                              ;   in Loop: Header=BB345_15 Depth=1
	v_and_b32_sdwa v1, v9, v90 dst_sel:DWORD dst_unused:UNUSED_PAD src0_sel:WORD_1 src1_sel:DWORD
	v_lshrrev_b32_e32 v0, 3, v11
	s_mov_b32 s45, exec_lo
	v_cmpx_gt_u32_e32 8, v11
; %bb.156:                              ;   in Loop: Header=BB345_15 Depth=1
	v_ffbh_u32_e32 v0, v1
	v_min_u32_e32 v0, 32, v0
	v_subrev_nc_u32_e32 v11, 28, v0
	v_sub_nc_u32_e32 v0, 29, v0
	v_lshlrev_b64 v[11:12], v11, v[1:2]
	v_and_b32_e32 v1, 7, v11
; %bb.157:                              ;   in Loop: Header=BB345_15 Depth=1
	s_or_b32 exec_lo, exec_lo, s45
	v_lshlrev_b32_sdwa v11, v91, v9 dst_sel:DWORD dst_unused:UNUSED_PAD src0_sel:DWORD src1_sel:WORD_1
	v_lshlrev_b32_e32 v1, 20, v1
	v_lshl_add_u32 v0, v0, 23, 0x3c000000
	v_and_b32_e32 v11, 0x80000000, v11
	v_or3_b32 v111, v1, v11, v0
.LBB345_158:                            ;   in Loop: Header=BB345_15 Depth=1
	s_or_b32 exec_lo, exec_lo, s44
.LBB345_159:                            ;   in Loop: Header=BB345_15 Depth=1
	s_or_b32 exec_lo, exec_lo, s43
.LBB345_160:                            ;   in Loop: Header=BB345_15 Depth=1
	s_or_b32 exec_lo, exec_lo, s42
	s_mov_b32 s42, exec_lo
	v_cmpx_lt_u32_e32 0xffffff, v9
	s_cbranch_execz .LBB345_168
; %bb.161:                              ;   in Loop: Header=BB345_15 Depth=1
	v_cmp_ne_u32_sdwa s1, v9, v87 src0_sel:BYTE_3 src1_sel:DWORD
	v_bfrev_b32_e32 v112, 1
	s_and_saveexec_b32 s43, s1
	s_cbranch_execz .LBB345_167
; %bb.162:                              ;   in Loop: Header=BB345_15 Depth=1
	v_bfe_u32 v11, v9, 24, 7
	v_mov_b32_e32 v112, 0x7f800001
	s_mov_b32 s44, exec_lo
	v_cmpx_ne_u32_e32 0x7f, v11
	s_cbranch_execz .LBB345_166
; %bb.163:                              ;   in Loop: Header=BB345_15 Depth=1
	v_and_b32_sdwa v1, v9, v90 dst_sel:DWORD dst_unused:UNUSED_PAD src0_sel:BYTE_3 src1_sel:DWORD
	v_lshrrev_b32_e32 v0, 3, v11
	s_mov_b32 s45, exec_lo
	v_cmpx_gt_u32_e32 8, v11
; %bb.164:                              ;   in Loop: Header=BB345_15 Depth=1
	v_ffbh_u32_e32 v0, v1
	v_min_u32_e32 v0, 32, v0
	v_subrev_nc_u32_e32 v11, 28, v0
	v_sub_nc_u32_e32 v0, 29, v0
	v_lshlrev_b64 v[11:12], v11, v[1:2]
	v_and_b32_e32 v1, 7, v11
; %bb.165:                              ;   in Loop: Header=BB345_15 Depth=1
	s_or_b32 exec_lo, exec_lo, s45
	v_lshlrev_b32_sdwa v11, v91, v9 dst_sel:DWORD dst_unused:UNUSED_PAD src0_sel:DWORD src1_sel:BYTE_3
	v_lshlrev_b32_e32 v1, 20, v1
	v_lshl_add_u32 v0, v0, 23, 0x3c000000
	v_and_b32_e32 v11, 0x80000000, v11
	v_or3_b32 v112, v1, v11, v0
.LBB345_166:                            ;   in Loop: Header=BB345_15 Depth=1
	s_or_b32 exec_lo, exec_lo, s44
.LBB345_167:                            ;   in Loop: Header=BB345_15 Depth=1
	s_or_b32 exec_lo, exec_lo, s43
.LBB345_168:                            ;   in Loop: Header=BB345_15 Depth=1
	s_or_b32 exec_lo, exec_lo, s42
	v_mov_b32_e32 v1, v10
	v_cmp_ne_u16_sdwa s1, v10, v2 src0_sel:BYTE_0 src1_sel:DWORD
	v_mov_b32_e32 v114, 0
	v_mov_b32_e32 v113, 0
	s_and_saveexec_b32 s42, s1
	s_cbranch_execz .LBB345_174
; %bb.169:                              ;   in Loop: Header=BB345_15 Depth=1
	v_cmp_ne_u16_sdwa s1, v10, v87 src0_sel:BYTE_0 src1_sel:DWORD
	v_bfrev_b32_e32 v113, 1
	s_and_saveexec_b32 s43, s1
	s_cbranch_execz .LBB345_173
; %bb.170:                              ;   in Loop: Header=BB345_15 Depth=1
	v_and_b32_e32 v0, 0x7f, v10
	v_mov_b32_e32 v113, 0x7f800001
	s_mov_b32 s44, exec_lo
	v_cmpx_ne_u32_e32 0x7f, v0
	s_cbranch_execz .LBB345_172
; %bb.171:                              ;   in Loop: Header=BB345_15 Depth=1
	v_and_b32_e32 v11, 7, v10
	v_lshrrev_b32_e32 v12, 3, v0
	v_cmp_gt_u32_e64 s1, 8, v0
	v_ffbh_u32_e32 v11, v11
	v_min_u32_e32 v11, 32, v11
	v_subrev_nc_u32_e32 v13, 28, v11
	v_sub_nc_u32_e32 v11, 29, v11
	v_cndmask_b32_e64 v0, v12, v11, s1
	v_cndmask_b32_e64 v11, 0, v13, s1
	v_lshl_add_u32 v0, v0, 23, 0x3c000000
	v_lshlrev_b64 v[11:12], v11, v[1:2]
	v_lshlrev_b32_e32 v12, 24, v1
	v_lshlrev_b32_e32 v11, 20, v11
	v_and_b32_e32 v12, 0x80000000, v12
	v_and_b32_e32 v11, 0x700000, v11
	v_or3_b32 v113, v11, v12, v0
.LBB345_172:                            ;   in Loop: Header=BB345_15 Depth=1
	s_or_b32 exec_lo, exec_lo, s44
.LBB345_173:                            ;   in Loop: Header=BB345_15 Depth=1
	s_or_b32 exec_lo, exec_lo, s43
.LBB345_174:                            ;   in Loop: Header=BB345_15 Depth=1
	s_or_b32 exec_lo, exec_lo, s42
	v_cmp_ne_u16_sdwa s1, v1, v2 src0_sel:BYTE_1 src1_sel:DWORD
	s_and_saveexec_b32 s42, s1
	s_cbranch_execz .LBB345_182
; %bb.175:                              ;   in Loop: Header=BB345_15 Depth=1
	v_cmp_ne_u16_sdwa s1, v1, v87 src0_sel:BYTE_1 src1_sel:DWORD
	v_bfrev_b32_e32 v114, 1
	s_and_saveexec_b32 s43, s1
	s_cbranch_execz .LBB345_181
; %bb.176:                              ;   in Loop: Header=BB345_15 Depth=1
	v_and_b32_sdwa v0, v88, v1 dst_sel:DWORD dst_unused:UNUSED_PAD src0_sel:DWORD src1_sel:BYTE_1
	v_mov_b32_e32 v114, 0x7f800001
	s_mov_b32 s44, exec_lo
	v_and_b32_e32 v13, 0x7f, v0
	v_cmpx_ne_u32_e32 0x7f, v13
	s_cbranch_execz .LBB345_180
; %bb.177:                              ;   in Loop: Header=BB345_15 Depth=1
	v_and_b32_e32 v11, 7, v0
	v_mov_b32_e32 v12, v2
	v_lshrrev_b32_e32 v0, 3, v13
	s_mov_b32 s45, exec_lo
	v_cmpx_gt_u32_e32 8, v13
; %bb.178:                              ;   in Loop: Header=BB345_15 Depth=1
	v_ffbh_u32_e32 v0, v11
	v_min_u32_e32 v0, 32, v0
	v_subrev_nc_u32_e32 v13, 28, v0
	v_sub_nc_u32_e32 v0, 29, v0
	v_lshlrev_b64 v[11:12], v13, v[11:12]
	v_and_b32_e32 v11, 7, v11
; %bb.179:                              ;   in Loop: Header=BB345_15 Depth=1
	s_or_b32 exec_lo, exec_lo, s45
	v_lshlrev_b32_e32 v1, 16, v1
	v_lshlrev_b32_e32 v11, 20, v11
	v_lshl_add_u32 v0, v0, 23, 0x3c000000
	v_and_b32_e32 v1, 0x80000000, v1
	v_or3_b32 v114, v11, v1, v0
.LBB345_180:                            ;   in Loop: Header=BB345_15 Depth=1
	s_or_b32 exec_lo, exec_lo, s44
.LBB345_181:                            ;   in Loop: Header=BB345_15 Depth=1
	s_or_b32 exec_lo, exec_lo, s43
.LBB345_182:                            ;   in Loop: Header=BB345_15 Depth=1
	s_or_b32 exec_lo, exec_lo, s42
	v_and_b32_sdwa v0, v10, v89 dst_sel:DWORD dst_unused:UNUSED_PAD src0_sel:WORD_1 src1_sel:DWORD
	v_mov_b32_e32 v115, 0
	v_mov_b32_e32 v116, 0
	s_mov_b32 s42, exec_lo
	v_cmpx_ne_u16_e32 0, v0
	s_cbranch_execz .LBB345_190
; %bb.183:                              ;   in Loop: Header=BB345_15 Depth=1
	v_bfrev_b32_e32 v116, 1
	s_mov_b32 s43, exec_lo
	v_cmpx_ne_u16_e32 0x80, v0
	s_cbranch_execz .LBB345_189
; %bb.184:                              ;   in Loop: Header=BB345_15 Depth=1
	v_bfe_u32 v11, v10, 16, 7
	v_mov_b32_e32 v116, 0x7f800001
	s_mov_b32 s44, exec_lo
	v_cmpx_ne_u32_e32 0x7f, v11
	s_cbranch_execz .LBB345_188
; %bb.185:                              ;   in Loop: Header=BB345_15 Depth=1
	v_and_b32_sdwa v1, v10, v90 dst_sel:DWORD dst_unused:UNUSED_PAD src0_sel:WORD_1 src1_sel:DWORD
	v_lshrrev_b32_e32 v0, 3, v11
	s_mov_b32 s45, exec_lo
	v_cmpx_gt_u32_e32 8, v11
; %bb.186:                              ;   in Loop: Header=BB345_15 Depth=1
	v_ffbh_u32_e32 v0, v1
	v_min_u32_e32 v0, 32, v0
	v_subrev_nc_u32_e32 v11, 28, v0
	v_sub_nc_u32_e32 v0, 29, v0
	v_lshlrev_b64 v[11:12], v11, v[1:2]
	v_and_b32_e32 v1, 7, v11
; %bb.187:                              ;   in Loop: Header=BB345_15 Depth=1
	s_or_b32 exec_lo, exec_lo, s45
	v_lshlrev_b32_sdwa v11, v91, v10 dst_sel:DWORD dst_unused:UNUSED_PAD src0_sel:DWORD src1_sel:WORD_1
	v_lshlrev_b32_e32 v1, 20, v1
	v_lshl_add_u32 v0, v0, 23, 0x3c000000
	v_and_b32_e32 v11, 0x80000000, v11
	v_or3_b32 v116, v1, v11, v0
.LBB345_188:                            ;   in Loop: Header=BB345_15 Depth=1
	s_or_b32 exec_lo, exec_lo, s44
.LBB345_189:                            ;   in Loop: Header=BB345_15 Depth=1
	s_or_b32 exec_lo, exec_lo, s43
.LBB345_190:                            ;   in Loop: Header=BB345_15 Depth=1
	s_or_b32 exec_lo, exec_lo, s42
	s_mov_b32 s42, exec_lo
	v_cmpx_lt_u64_e64 s[4:5], v[9:10]
	s_cbranch_execz .LBB345_198
; %bb.191:                              ;   in Loop: Header=BB345_15 Depth=1
	v_cmp_ne_u32_sdwa s1, v10, v87 src0_sel:BYTE_3 src1_sel:DWORD
	v_bfrev_b32_e32 v115, 1
	s_and_saveexec_b32 s43, s1
	s_cbranch_execz .LBB345_197
; %bb.192:                              ;   in Loop: Header=BB345_15 Depth=1
	v_bfe_u32 v9, v10, 24, 7
	v_mov_b32_e32 v115, 0x7f800001
	s_mov_b32 s44, exec_lo
	v_cmpx_ne_u32_e32 0x7f, v9
	s_cbranch_execz .LBB345_196
; %bb.193:                              ;   in Loop: Header=BB345_15 Depth=1
	v_and_b32_sdwa v1, v10, v90 dst_sel:DWORD dst_unused:UNUSED_PAD src0_sel:BYTE_3 src1_sel:DWORD
	v_lshrrev_b32_e32 v0, 3, v9
	s_mov_b32 s45, exec_lo
	v_cmpx_gt_u32_e32 8, v9
; %bb.194:                              ;   in Loop: Header=BB345_15 Depth=1
	v_ffbh_u32_e32 v0, v1
	v_min_u32_e32 v0, 32, v0
	v_subrev_nc_u32_e32 v9, 28, v0
	v_sub_nc_u32_e32 v0, 29, v0
	v_lshlrev_b64 v[11:12], v9, v[1:2]
	v_and_b32_e32 v1, 7, v11
; %bb.195:                              ;   in Loop: Header=BB345_15 Depth=1
	s_or_b32 exec_lo, exec_lo, s45
	v_lshlrev_b32_sdwa v9, v91, v10 dst_sel:DWORD dst_unused:UNUSED_PAD src0_sel:DWORD src1_sel:BYTE_3
	v_lshlrev_b32_e32 v1, 20, v1
	v_lshl_add_u32 v0, v0, 23, 0x3c000000
	v_and_b32_e32 v9, 0x80000000, v9
	v_or3_b32 v115, v1, v9, v0
.LBB345_196:                            ;   in Loop: Header=BB345_15 Depth=1
	s_or_b32 exec_lo, exec_lo, s44
.LBB345_197:                            ;   in Loop: Header=BB345_15 Depth=1
	s_or_b32 exec_lo, exec_lo, s43
.LBB345_198:                            ;   in Loop: Header=BB345_15 Depth=1
	s_or_b32 exec_lo, exec_lo, s42
	global_load_dwordx2 v[9:10], v[7:8], off offset:520
	v_mov_b32_e32 v118, 0
	v_mov_b32_e32 v117, 0
	s_waitcnt vmcnt(0)
	v_cmp_ne_u16_sdwa s1, v9, v2 src0_sel:BYTE_0 src1_sel:DWORD
	s_and_saveexec_b32 s42, s1
	s_cbranch_execz .LBB345_204
; %bb.199:                              ;   in Loop: Header=BB345_15 Depth=1
	v_cmp_ne_u16_sdwa s1, v9, v87 src0_sel:BYTE_0 src1_sel:DWORD
	v_bfrev_b32_e32 v117, 1
	s_and_saveexec_b32 s43, s1
	s_cbranch_execz .LBB345_203
; %bb.200:                              ;   in Loop: Header=BB345_15 Depth=1
	v_and_b32_e32 v0, 0x7f, v9
	v_mov_b32_e32 v117, 0x7f800001
	s_mov_b32 s44, exec_lo
	v_cmpx_ne_u32_e32 0x7f, v0
	s_cbranch_execz .LBB345_202
; %bb.201:                              ;   in Loop: Header=BB345_15 Depth=1
	v_and_b32_e32 v1, 7, v9
	v_cmp_gt_u32_e64 s1, 8, v0
	v_lshrrev_b32_e32 v11, 3, v0
	v_ffbh_u32_e32 v1, v1
	v_min_u32_e32 v1, 32, v1
	v_subrev_nc_u32_e32 v12, 28, v1
	v_sub_nc_u32_e32 v1, 29, v1
	v_cndmask_b32_e64 v0, 0, v12, s1
	v_cndmask_b32_e64 v11, v11, v1, s1
	v_lshlrev_b64 v[0:1], v0, v[9:10]
	v_lshlrev_b32_e32 v1, 24, v9
	v_lshl_add_u32 v11, v11, 23, 0x3c000000
	v_lshlrev_b32_e32 v0, 20, v0
	v_and_b32_e32 v1, 0x80000000, v1
	v_and_b32_e32 v0, 0x700000, v0
	v_or3_b32 v117, v0, v1, v11
.LBB345_202:                            ;   in Loop: Header=BB345_15 Depth=1
	s_or_b32 exec_lo, exec_lo, s44
.LBB345_203:                            ;   in Loop: Header=BB345_15 Depth=1
	s_or_b32 exec_lo, exec_lo, s43
.LBB345_204:                            ;   in Loop: Header=BB345_15 Depth=1
	s_or_b32 exec_lo, exec_lo, s42
	v_cmp_ne_u16_sdwa s1, v9, v2 src0_sel:BYTE_1 src1_sel:DWORD
	s_and_saveexec_b32 s42, s1
	s_cbranch_execz .LBB345_212
; %bb.205:                              ;   in Loop: Header=BB345_15 Depth=1
	v_cmp_ne_u16_sdwa s1, v9, v87 src0_sel:BYTE_1 src1_sel:DWORD
	v_bfrev_b32_e32 v118, 1
	s_and_saveexec_b32 s43, s1
	s_cbranch_execz .LBB345_211
; %bb.206:                              ;   in Loop: Header=BB345_15 Depth=1
	v_and_b32_sdwa v0, v88, v9 dst_sel:DWORD dst_unused:UNUSED_PAD src0_sel:DWORD src1_sel:BYTE_1
	v_mov_b32_e32 v118, 0x7f800001
	s_mov_b32 s44, exec_lo
	v_and_b32_e32 v11, 0x7f, v0
	v_cmpx_ne_u32_e32 0x7f, v11
	s_cbranch_execz .LBB345_210
; %bb.207:                              ;   in Loop: Header=BB345_15 Depth=1
	v_and_b32_e32 v1, 7, v0
	v_lshrrev_b32_e32 v0, 3, v11
	s_mov_b32 s45, exec_lo
	v_cmpx_gt_u32_e32 8, v11
; %bb.208:                              ;   in Loop: Header=BB345_15 Depth=1
	v_ffbh_u32_e32 v0, v1
	v_min_u32_e32 v0, 32, v0
	v_subrev_nc_u32_e32 v11, 28, v0
	v_sub_nc_u32_e32 v0, 29, v0
	v_lshlrev_b64 v[11:12], v11, v[1:2]
	v_and_b32_e32 v1, 7, v11
; %bb.209:                              ;   in Loop: Header=BB345_15 Depth=1
	s_or_b32 exec_lo, exec_lo, s45
	v_lshlrev_b32_e32 v11, 16, v9
	v_lshlrev_b32_e32 v1, 20, v1
	v_lshl_add_u32 v0, v0, 23, 0x3c000000
	v_and_b32_e32 v11, 0x80000000, v11
	v_or3_b32 v118, v1, v11, v0
.LBB345_210:                            ;   in Loop: Header=BB345_15 Depth=1
	s_or_b32 exec_lo, exec_lo, s44
.LBB345_211:                            ;   in Loop: Header=BB345_15 Depth=1
	s_or_b32 exec_lo, exec_lo, s43
.LBB345_212:                            ;   in Loop: Header=BB345_15 Depth=1
	s_or_b32 exec_lo, exec_lo, s42
	v_and_b32_sdwa v0, v9, v89 dst_sel:DWORD dst_unused:UNUSED_PAD src0_sel:WORD_1 src1_sel:DWORD
	v_mov_b32_e32 v120, 0
	v_mov_b32_e32 v119, 0
	s_mov_b32 s42, exec_lo
	v_cmpx_ne_u16_e32 0, v0
	s_cbranch_execz .LBB345_220
; %bb.213:                              ;   in Loop: Header=BB345_15 Depth=1
	v_bfrev_b32_e32 v119, 1
	s_mov_b32 s43, exec_lo
	v_cmpx_ne_u16_e32 0x80, v0
	s_cbranch_execz .LBB345_219
; %bb.214:                              ;   in Loop: Header=BB345_15 Depth=1
	v_bfe_u32 v11, v9, 16, 7
	v_mov_b32_e32 v119, 0x7f800001
	s_mov_b32 s44, exec_lo
	v_cmpx_ne_u32_e32 0x7f, v11
	s_cbranch_execz .LBB345_218
; %bb.215:                              ;   in Loop: Header=BB345_15 Depth=1
	v_and_b32_sdwa v1, v9, v90 dst_sel:DWORD dst_unused:UNUSED_PAD src0_sel:WORD_1 src1_sel:DWORD
	v_lshrrev_b32_e32 v0, 3, v11
	s_mov_b32 s45, exec_lo
	v_cmpx_gt_u32_e32 8, v11
; %bb.216:                              ;   in Loop: Header=BB345_15 Depth=1
	v_ffbh_u32_e32 v0, v1
	v_min_u32_e32 v0, 32, v0
	v_subrev_nc_u32_e32 v11, 28, v0
	v_sub_nc_u32_e32 v0, 29, v0
	v_lshlrev_b64 v[11:12], v11, v[1:2]
	v_and_b32_e32 v1, 7, v11
; %bb.217:                              ;   in Loop: Header=BB345_15 Depth=1
	s_or_b32 exec_lo, exec_lo, s45
	v_lshlrev_b32_sdwa v11, v91, v9 dst_sel:DWORD dst_unused:UNUSED_PAD src0_sel:DWORD src1_sel:WORD_1
	v_lshlrev_b32_e32 v1, 20, v1
	v_lshl_add_u32 v0, v0, 23, 0x3c000000
	v_and_b32_e32 v11, 0x80000000, v11
	v_or3_b32 v119, v1, v11, v0
.LBB345_218:                            ;   in Loop: Header=BB345_15 Depth=1
	s_or_b32 exec_lo, exec_lo, s44
.LBB345_219:                            ;   in Loop: Header=BB345_15 Depth=1
	s_or_b32 exec_lo, exec_lo, s43
.LBB345_220:                            ;   in Loop: Header=BB345_15 Depth=1
	s_or_b32 exec_lo, exec_lo, s42
	s_mov_b32 s42, exec_lo
	v_cmpx_lt_u32_e32 0xffffff, v9
	s_cbranch_execz .LBB345_228
; %bb.221:                              ;   in Loop: Header=BB345_15 Depth=1
	v_cmp_ne_u32_sdwa s1, v9, v87 src0_sel:BYTE_3 src1_sel:DWORD
	v_bfrev_b32_e32 v120, 1
	s_and_saveexec_b32 s43, s1
	s_cbranch_execz .LBB345_227
; %bb.222:                              ;   in Loop: Header=BB345_15 Depth=1
	v_bfe_u32 v11, v9, 24, 7
	v_mov_b32_e32 v120, 0x7f800001
	s_mov_b32 s44, exec_lo
	v_cmpx_ne_u32_e32 0x7f, v11
	s_cbranch_execz .LBB345_226
; %bb.223:                              ;   in Loop: Header=BB345_15 Depth=1
	v_and_b32_sdwa v1, v9, v90 dst_sel:DWORD dst_unused:UNUSED_PAD src0_sel:BYTE_3 src1_sel:DWORD
	v_lshrrev_b32_e32 v0, 3, v11
	s_mov_b32 s45, exec_lo
	v_cmpx_gt_u32_e32 8, v11
; %bb.224:                              ;   in Loop: Header=BB345_15 Depth=1
	v_ffbh_u32_e32 v0, v1
	v_min_u32_e32 v0, 32, v0
	v_subrev_nc_u32_e32 v11, 28, v0
	v_sub_nc_u32_e32 v0, 29, v0
	v_lshlrev_b64 v[11:12], v11, v[1:2]
	v_and_b32_e32 v1, 7, v11
; %bb.225:                              ;   in Loop: Header=BB345_15 Depth=1
	s_or_b32 exec_lo, exec_lo, s45
	v_lshlrev_b32_sdwa v11, v91, v9 dst_sel:DWORD dst_unused:UNUSED_PAD src0_sel:DWORD src1_sel:BYTE_3
	v_lshlrev_b32_e32 v1, 20, v1
	v_lshl_add_u32 v0, v0, 23, 0x3c000000
	v_and_b32_e32 v11, 0x80000000, v11
	v_or3_b32 v120, v1, v11, v0
.LBB345_226:                            ;   in Loop: Header=BB345_15 Depth=1
	s_or_b32 exec_lo, exec_lo, s44
.LBB345_227:                            ;   in Loop: Header=BB345_15 Depth=1
	s_or_b32 exec_lo, exec_lo, s43
.LBB345_228:                            ;   in Loop: Header=BB345_15 Depth=1
	s_or_b32 exec_lo, exec_lo, s42
	v_mov_b32_e32 v1, v10
	v_cmp_ne_u16_sdwa s1, v10, v2 src0_sel:BYTE_0 src1_sel:DWORD
	v_mov_b32_e32 v122, 0
	v_mov_b32_e32 v121, 0
	s_and_saveexec_b32 s42, s1
	s_cbranch_execz .LBB345_234
; %bb.229:                              ;   in Loop: Header=BB345_15 Depth=1
	v_cmp_ne_u16_sdwa s1, v10, v87 src0_sel:BYTE_0 src1_sel:DWORD
	v_bfrev_b32_e32 v121, 1
	s_and_saveexec_b32 s43, s1
	s_cbranch_execz .LBB345_233
; %bb.230:                              ;   in Loop: Header=BB345_15 Depth=1
	v_and_b32_e32 v0, 0x7f, v10
	v_mov_b32_e32 v121, 0x7f800001
	s_mov_b32 s44, exec_lo
	v_cmpx_ne_u32_e32 0x7f, v0
	s_cbranch_execz .LBB345_232
; %bb.231:                              ;   in Loop: Header=BB345_15 Depth=1
	v_and_b32_e32 v11, 7, v10
	v_lshrrev_b32_e32 v12, 3, v0
	v_cmp_gt_u32_e64 s1, 8, v0
	v_ffbh_u32_e32 v11, v11
	v_min_u32_e32 v11, 32, v11
	v_subrev_nc_u32_e32 v13, 28, v11
	v_sub_nc_u32_e32 v11, 29, v11
	v_cndmask_b32_e64 v0, v12, v11, s1
	v_cndmask_b32_e64 v11, 0, v13, s1
	v_lshl_add_u32 v0, v0, 23, 0x3c000000
	v_lshlrev_b64 v[11:12], v11, v[1:2]
	v_lshlrev_b32_e32 v12, 24, v1
	v_lshlrev_b32_e32 v11, 20, v11
	v_and_b32_e32 v12, 0x80000000, v12
	v_and_b32_e32 v11, 0x700000, v11
	v_or3_b32 v121, v11, v12, v0
.LBB345_232:                            ;   in Loop: Header=BB345_15 Depth=1
	s_or_b32 exec_lo, exec_lo, s44
.LBB345_233:                            ;   in Loop: Header=BB345_15 Depth=1
	s_or_b32 exec_lo, exec_lo, s43
.LBB345_234:                            ;   in Loop: Header=BB345_15 Depth=1
	s_or_b32 exec_lo, exec_lo, s42
	v_cmp_ne_u16_sdwa s1, v1, v2 src0_sel:BYTE_1 src1_sel:DWORD
	s_and_saveexec_b32 s42, s1
	s_cbranch_execz .LBB345_242
; %bb.235:                              ;   in Loop: Header=BB345_15 Depth=1
	v_cmp_ne_u16_sdwa s1, v1, v87 src0_sel:BYTE_1 src1_sel:DWORD
	v_bfrev_b32_e32 v122, 1
	s_and_saveexec_b32 s43, s1
	s_cbranch_execz .LBB345_241
; %bb.236:                              ;   in Loop: Header=BB345_15 Depth=1
	v_and_b32_sdwa v0, v88, v1 dst_sel:DWORD dst_unused:UNUSED_PAD src0_sel:DWORD src1_sel:BYTE_1
	v_mov_b32_e32 v122, 0x7f800001
	s_mov_b32 s44, exec_lo
	v_and_b32_e32 v13, 0x7f, v0
	v_cmpx_ne_u32_e32 0x7f, v13
	s_cbranch_execz .LBB345_240
; %bb.237:                              ;   in Loop: Header=BB345_15 Depth=1
	v_and_b32_e32 v11, 7, v0
	v_mov_b32_e32 v12, v2
	v_lshrrev_b32_e32 v0, 3, v13
	s_mov_b32 s45, exec_lo
	v_cmpx_gt_u32_e32 8, v13
; %bb.238:                              ;   in Loop: Header=BB345_15 Depth=1
	v_ffbh_u32_e32 v0, v11
	v_min_u32_e32 v0, 32, v0
	v_subrev_nc_u32_e32 v13, 28, v0
	v_sub_nc_u32_e32 v0, 29, v0
	v_lshlrev_b64 v[11:12], v13, v[11:12]
	v_and_b32_e32 v11, 7, v11
; %bb.239:                              ;   in Loop: Header=BB345_15 Depth=1
	s_or_b32 exec_lo, exec_lo, s45
	v_lshlrev_b32_e32 v1, 16, v1
	v_lshlrev_b32_e32 v11, 20, v11
	v_lshl_add_u32 v0, v0, 23, 0x3c000000
	v_and_b32_e32 v1, 0x80000000, v1
	v_or3_b32 v122, v11, v1, v0
.LBB345_240:                            ;   in Loop: Header=BB345_15 Depth=1
	s_or_b32 exec_lo, exec_lo, s44
.LBB345_241:                            ;   in Loop: Header=BB345_15 Depth=1
	s_or_b32 exec_lo, exec_lo, s43
.LBB345_242:                            ;   in Loop: Header=BB345_15 Depth=1
	s_or_b32 exec_lo, exec_lo, s42
	v_and_b32_sdwa v0, v10, v89 dst_sel:DWORD dst_unused:UNUSED_PAD src0_sel:WORD_1 src1_sel:DWORD
	v_mov_b32_e32 v123, 0
	v_mov_b32_e32 v124, 0
	s_mov_b32 s42, exec_lo
	v_cmpx_ne_u16_e32 0, v0
	s_cbranch_execz .LBB345_250
; %bb.243:                              ;   in Loop: Header=BB345_15 Depth=1
	v_bfrev_b32_e32 v124, 1
	s_mov_b32 s43, exec_lo
	v_cmpx_ne_u16_e32 0x80, v0
	s_cbranch_execz .LBB345_249
; %bb.244:                              ;   in Loop: Header=BB345_15 Depth=1
	v_bfe_u32 v11, v10, 16, 7
	v_mov_b32_e32 v124, 0x7f800001
	s_mov_b32 s44, exec_lo
	v_cmpx_ne_u32_e32 0x7f, v11
	s_cbranch_execz .LBB345_248
; %bb.245:                              ;   in Loop: Header=BB345_15 Depth=1
	v_and_b32_sdwa v1, v10, v90 dst_sel:DWORD dst_unused:UNUSED_PAD src0_sel:WORD_1 src1_sel:DWORD
	v_lshrrev_b32_e32 v0, 3, v11
	s_mov_b32 s45, exec_lo
	v_cmpx_gt_u32_e32 8, v11
; %bb.246:                              ;   in Loop: Header=BB345_15 Depth=1
	v_ffbh_u32_e32 v0, v1
	v_min_u32_e32 v0, 32, v0
	v_subrev_nc_u32_e32 v11, 28, v0
	v_sub_nc_u32_e32 v0, 29, v0
	v_lshlrev_b64 v[11:12], v11, v[1:2]
	v_and_b32_e32 v1, 7, v11
; %bb.247:                              ;   in Loop: Header=BB345_15 Depth=1
	s_or_b32 exec_lo, exec_lo, s45
	v_lshlrev_b32_sdwa v11, v91, v10 dst_sel:DWORD dst_unused:UNUSED_PAD src0_sel:DWORD src1_sel:WORD_1
	v_lshlrev_b32_e32 v1, 20, v1
	v_lshl_add_u32 v0, v0, 23, 0x3c000000
	v_and_b32_e32 v11, 0x80000000, v11
	v_or3_b32 v124, v1, v11, v0
.LBB345_248:                            ;   in Loop: Header=BB345_15 Depth=1
	s_or_b32 exec_lo, exec_lo, s44
.LBB345_249:                            ;   in Loop: Header=BB345_15 Depth=1
	s_or_b32 exec_lo, exec_lo, s43
.LBB345_250:                            ;   in Loop: Header=BB345_15 Depth=1
	s_or_b32 exec_lo, exec_lo, s42
	s_mov_b32 s42, exec_lo
	v_cmpx_lt_u64_e64 s[4:5], v[9:10]
	s_cbranch_execz .LBB345_258
; %bb.251:                              ;   in Loop: Header=BB345_15 Depth=1
	v_cmp_ne_u32_sdwa s1, v10, v87 src0_sel:BYTE_3 src1_sel:DWORD
	v_bfrev_b32_e32 v123, 1
	s_and_saveexec_b32 s43, s1
	s_cbranch_execz .LBB345_257
; %bb.252:                              ;   in Loop: Header=BB345_15 Depth=1
	v_bfe_u32 v9, v10, 24, 7
	v_mov_b32_e32 v123, 0x7f800001
	s_mov_b32 s44, exec_lo
	v_cmpx_ne_u32_e32 0x7f, v9
	s_cbranch_execz .LBB345_256
; %bb.253:                              ;   in Loop: Header=BB345_15 Depth=1
	v_and_b32_sdwa v1, v10, v90 dst_sel:DWORD dst_unused:UNUSED_PAD src0_sel:BYTE_3 src1_sel:DWORD
	v_lshrrev_b32_e32 v0, 3, v9
	s_mov_b32 s45, exec_lo
	v_cmpx_gt_u32_e32 8, v9
; %bb.254:                              ;   in Loop: Header=BB345_15 Depth=1
	v_ffbh_u32_e32 v0, v1
	v_min_u32_e32 v0, 32, v0
	v_subrev_nc_u32_e32 v9, 28, v0
	v_sub_nc_u32_e32 v0, 29, v0
	v_lshlrev_b64 v[11:12], v9, v[1:2]
	v_and_b32_e32 v1, 7, v11
; %bb.255:                              ;   in Loop: Header=BB345_15 Depth=1
	s_or_b32 exec_lo, exec_lo, s45
	v_lshlrev_b32_sdwa v9, v91, v10 dst_sel:DWORD dst_unused:UNUSED_PAD src0_sel:DWORD src1_sel:BYTE_3
	v_lshlrev_b32_e32 v1, 20, v1
	v_lshl_add_u32 v0, v0, 23, 0x3c000000
	v_and_b32_e32 v9, 0x80000000, v9
	v_or3_b32 v123, v1, v9, v0
.LBB345_256:                            ;   in Loop: Header=BB345_15 Depth=1
	s_or_b32 exec_lo, exec_lo, s44
.LBB345_257:                            ;   in Loop: Header=BB345_15 Depth=1
	s_or_b32 exec_lo, exec_lo, s43
.LBB345_258:                            ;   in Loop: Header=BB345_15 Depth=1
	s_or_b32 exec_lo, exec_lo, s42
	global_load_dwordx2 v[9:10], v[7:8], off offset:1024
	v_mov_b32_e32 v125, 0
	v_mov_b32_e32 v126, 0
	s_waitcnt vmcnt(0)
	v_cmp_ne_u16_sdwa s1, v9, v2 src0_sel:BYTE_0 src1_sel:DWORD
	s_and_saveexec_b32 s42, s1
	s_cbranch_execz .LBB345_264
; %bb.259:                              ;   in Loop: Header=BB345_15 Depth=1
	v_cmp_ne_u16_sdwa s1, v9, v87 src0_sel:BYTE_0 src1_sel:DWORD
	v_bfrev_b32_e32 v126, 1
	s_and_saveexec_b32 s43, s1
	s_cbranch_execz .LBB345_263
; %bb.260:                              ;   in Loop: Header=BB345_15 Depth=1
	v_and_b32_e32 v0, 0x7f, v9
	v_mov_b32_e32 v126, 0x7f800001
	s_mov_b32 s44, exec_lo
	v_cmpx_ne_u32_e32 0x7f, v0
	s_cbranch_execz .LBB345_262
; %bb.261:                              ;   in Loop: Header=BB345_15 Depth=1
	v_and_b32_e32 v1, 7, v9
	v_lshrrev_b32_e32 v11, 3, v0
	v_cmp_gt_u32_e64 s1, 8, v0
	v_ffbh_u32_e32 v0, v1
	v_min_u32_e32 v0, 32, v0
	v_subrev_nc_u32_e32 v1, 28, v0
	v_sub_nc_u32_e32 v0, 29, v0
	v_cndmask_b32_e64 v11, v11, v0, s1
	v_cndmask_b32_e64 v0, 0, v1, s1
	v_lshl_add_u32 v11, v11, 23, 0x3c000000
	v_lshlrev_b64 v[0:1], v0, v[9:10]
	v_lshlrev_b32_e32 v1, 24, v9
	v_lshlrev_b32_e32 v0, 20, v0
	v_and_b32_e32 v1, 0x80000000, v1
	v_and_b32_e32 v0, 0x700000, v0
	v_or3_b32 v126, v0, v1, v11
.LBB345_262:                            ;   in Loop: Header=BB345_15 Depth=1
	s_or_b32 exec_lo, exec_lo, s44
.LBB345_263:                            ;   in Loop: Header=BB345_15 Depth=1
	s_or_b32 exec_lo, exec_lo, s43
.LBB345_264:                            ;   in Loop: Header=BB345_15 Depth=1
	s_or_b32 exec_lo, exec_lo, s42
	v_cmp_ne_u16_sdwa s1, v9, v2 src0_sel:BYTE_1 src1_sel:DWORD
	s_and_saveexec_b32 s42, s1
	s_cbranch_execz .LBB345_272
; %bb.265:                              ;   in Loop: Header=BB345_15 Depth=1
	v_cmp_ne_u16_sdwa s1, v9, v87 src0_sel:BYTE_1 src1_sel:DWORD
	v_bfrev_b32_e32 v125, 1
	s_and_saveexec_b32 s43, s1
	s_cbranch_execz .LBB345_271
; %bb.266:                              ;   in Loop: Header=BB345_15 Depth=1
	v_and_b32_sdwa v0, v88, v9 dst_sel:DWORD dst_unused:UNUSED_PAD src0_sel:DWORD src1_sel:BYTE_1
	v_mov_b32_e32 v125, 0x7f800001
	s_mov_b32 s44, exec_lo
	v_and_b32_e32 v11, 0x7f, v0
	v_cmpx_ne_u32_e32 0x7f, v11
	s_cbranch_execz .LBB345_270
; %bb.267:                              ;   in Loop: Header=BB345_15 Depth=1
	v_and_b32_e32 v1, 7, v0
	v_lshrrev_b32_e32 v0, 3, v11
	s_mov_b32 s45, exec_lo
	v_cmpx_gt_u32_e32 8, v11
; %bb.268:                              ;   in Loop: Header=BB345_15 Depth=1
	v_ffbh_u32_e32 v0, v1
	v_min_u32_e32 v0, 32, v0
	v_subrev_nc_u32_e32 v11, 28, v0
	v_sub_nc_u32_e32 v0, 29, v0
	v_lshlrev_b64 v[11:12], v11, v[1:2]
	v_and_b32_e32 v1, 7, v11
; %bb.269:                              ;   in Loop: Header=BB345_15 Depth=1
	s_or_b32 exec_lo, exec_lo, s45
	v_lshlrev_b32_e32 v11, 16, v9
	v_lshlrev_b32_e32 v1, 20, v1
	v_lshl_add_u32 v0, v0, 23, 0x3c000000
	v_and_b32_e32 v11, 0x80000000, v11
	v_or3_b32 v125, v1, v11, v0
.LBB345_270:                            ;   in Loop: Header=BB345_15 Depth=1
	s_or_b32 exec_lo, exec_lo, s44
.LBB345_271:                            ;   in Loop: Header=BB345_15 Depth=1
	s_or_b32 exec_lo, exec_lo, s43
.LBB345_272:                            ;   in Loop: Header=BB345_15 Depth=1
	s_or_b32 exec_lo, exec_lo, s42
	v_and_b32_sdwa v0, v9, v89 dst_sel:DWORD dst_unused:UNUSED_PAD src0_sel:WORD_1 src1_sel:DWORD
	v_mov_b32_e32 v13, 0
	v_mov_b32_e32 v127, 0
	s_mov_b32 s42, exec_lo
	v_cmpx_ne_u16_e32 0, v0
	s_cbranch_execz .LBB345_280
; %bb.273:                              ;   in Loop: Header=BB345_15 Depth=1
	v_bfrev_b32_e32 v127, 1
	s_mov_b32 s43, exec_lo
	v_cmpx_ne_u16_e32 0x80, v0
	s_cbranch_execz .LBB345_279
; %bb.274:                              ;   in Loop: Header=BB345_15 Depth=1
	v_bfe_u32 v11, v9, 16, 7
	v_mov_b32_e32 v127, 0x7f800001
	s_mov_b32 s44, exec_lo
	v_cmpx_ne_u32_e32 0x7f, v11
	s_cbranch_execz .LBB345_278
; %bb.275:                              ;   in Loop: Header=BB345_15 Depth=1
	v_and_b32_sdwa v1, v9, v90 dst_sel:DWORD dst_unused:UNUSED_PAD src0_sel:WORD_1 src1_sel:DWORD
	v_lshrrev_b32_e32 v0, 3, v11
	s_mov_b32 s45, exec_lo
	v_cmpx_gt_u32_e32 8, v11
; %bb.276:                              ;   in Loop: Header=BB345_15 Depth=1
	v_ffbh_u32_e32 v0, v1
	v_min_u32_e32 v0, 32, v0
	v_subrev_nc_u32_e32 v11, 28, v0
	v_sub_nc_u32_e32 v0, 29, v0
	v_lshlrev_b64 v[11:12], v11, v[1:2]
	v_and_b32_e32 v1, 7, v11
; %bb.277:                              ;   in Loop: Header=BB345_15 Depth=1
	s_or_b32 exec_lo, exec_lo, s45
	v_lshlrev_b32_sdwa v11, v91, v9 dst_sel:DWORD dst_unused:UNUSED_PAD src0_sel:DWORD src1_sel:WORD_1
	v_lshlrev_b32_e32 v1, 20, v1
	v_lshl_add_u32 v0, v0, 23, 0x3c000000
	v_and_b32_e32 v11, 0x80000000, v11
	v_or3_b32 v127, v1, v11, v0
.LBB345_278:                            ;   in Loop: Header=BB345_15 Depth=1
	s_or_b32 exec_lo, exec_lo, s44
.LBB345_279:                            ;   in Loop: Header=BB345_15 Depth=1
	s_or_b32 exec_lo, exec_lo, s43
.LBB345_280:                            ;   in Loop: Header=BB345_15 Depth=1
	s_or_b32 exec_lo, exec_lo, s42
	s_mov_b32 s42, exec_lo
	v_cmpx_lt_u32_e32 0xffffff, v9
	s_cbranch_execz .LBB345_288
; %bb.281:                              ;   in Loop: Header=BB345_15 Depth=1
	v_cmp_ne_u32_sdwa s1, v9, v87 src0_sel:BYTE_3 src1_sel:DWORD
	v_bfrev_b32_e32 v13, 1
	s_and_saveexec_b32 s43, s1
	s_cbranch_execz .LBB345_287
; %bb.282:                              ;   in Loop: Header=BB345_15 Depth=1
	v_bfe_u32 v11, v9, 24, 7
	v_mov_b32_e32 v13, 0x7f800001
	s_mov_b32 s44, exec_lo
	v_cmpx_ne_u32_e32 0x7f, v11
	s_cbranch_execz .LBB345_286
; %bb.283:                              ;   in Loop: Header=BB345_15 Depth=1
	v_and_b32_sdwa v1, v9, v90 dst_sel:DWORD dst_unused:UNUSED_PAD src0_sel:BYTE_3 src1_sel:DWORD
	v_lshrrev_b32_e32 v0, 3, v11
	s_mov_b32 s45, exec_lo
	v_cmpx_gt_u32_e32 8, v11
; %bb.284:                              ;   in Loop: Header=BB345_15 Depth=1
	v_ffbh_u32_e32 v0, v1
	v_min_u32_e32 v0, 32, v0
	v_subrev_nc_u32_e32 v11, 28, v0
	v_sub_nc_u32_e32 v0, 29, v0
	v_lshlrev_b64 v[11:12], v11, v[1:2]
	v_and_b32_e32 v1, 7, v11
; %bb.285:                              ;   in Loop: Header=BB345_15 Depth=1
	s_or_b32 exec_lo, exec_lo, s45
	v_lshlrev_b32_sdwa v11, v91, v9 dst_sel:DWORD dst_unused:UNUSED_PAD src0_sel:DWORD src1_sel:BYTE_3
	v_lshlrev_b32_e32 v1, 20, v1
	v_lshl_add_u32 v0, v0, 23, 0x3c000000
	v_and_b32_e32 v11, 0x80000000, v11
	v_or3_b32 v13, v1, v11, v0
.LBB345_286:                            ;   in Loop: Header=BB345_15 Depth=1
	s_or_b32 exec_lo, exec_lo, s44
.LBB345_287:                            ;   in Loop: Header=BB345_15 Depth=1
	s_or_b32 exec_lo, exec_lo, s43
.LBB345_288:                            ;   in Loop: Header=BB345_15 Depth=1
	s_or_b32 exec_lo, exec_lo, s42
	v_mov_b32_e32 v1, v10
	v_cmp_ne_u16_sdwa s1, v10, v2 src0_sel:BYTE_0 src1_sel:DWORD
	v_mov_b32_e32 v14, 0
	v_mov_b32_e32 v21, 0
	s_and_saveexec_b32 s42, s1
	s_cbranch_execz .LBB345_294
; %bb.289:                              ;   in Loop: Header=BB345_15 Depth=1
	v_cmp_ne_u16_sdwa s1, v10, v87 src0_sel:BYTE_0 src1_sel:DWORD
	v_bfrev_b32_e32 v21, 1
	s_and_saveexec_b32 s43, s1
	s_cbranch_execz .LBB345_293
; %bb.290:                              ;   in Loop: Header=BB345_15 Depth=1
	v_and_b32_e32 v0, 0x7f, v10
	v_mov_b32_e32 v21, 0x7f800001
	s_mov_b32 s44, exec_lo
	v_cmpx_ne_u32_e32 0x7f, v0
	s_cbranch_execz .LBB345_292
; %bb.291:                              ;   in Loop: Header=BB345_15 Depth=1
	v_and_b32_e32 v11, 7, v10
	v_lshrrev_b32_e32 v12, 3, v0
	v_cmp_gt_u32_e64 s1, 8, v0
	v_ffbh_u32_e32 v0, v11
	v_min_u32_e32 v0, 32, v0
	v_subrev_nc_u32_e32 v11, 28, v0
	v_sub_nc_u32_e32 v0, 29, v0
	v_cndmask_b32_e64 v11, 0, v11, s1
	v_cndmask_b32_e64 v0, v12, v0, s1
	v_lshlrev_b64 v[11:12], v11, v[1:2]
	v_lshlrev_b32_e32 v12, 24, v1
	v_lshl_add_u32 v0, v0, 23, 0x3c000000
	v_lshlrev_b32_e32 v11, 20, v11
	v_and_b32_e32 v12, 0x80000000, v12
	v_and_b32_e32 v11, 0x700000, v11
	v_or3_b32 v21, v11, v12, v0
.LBB345_292:                            ;   in Loop: Header=BB345_15 Depth=1
	s_or_b32 exec_lo, exec_lo, s44
.LBB345_293:                            ;   in Loop: Header=BB345_15 Depth=1
	s_or_b32 exec_lo, exec_lo, s43
.LBB345_294:                            ;   in Loop: Header=BB345_15 Depth=1
	s_or_b32 exec_lo, exec_lo, s42
	v_cmp_ne_u16_sdwa s1, v1, v2 src0_sel:BYTE_1 src1_sel:DWORD
	s_and_saveexec_b32 s42, s1
	s_cbranch_execz .LBB345_302
; %bb.295:                              ;   in Loop: Header=BB345_15 Depth=1
	v_cmp_ne_u16_sdwa s1, v1, v87 src0_sel:BYTE_1 src1_sel:DWORD
	v_bfrev_b32_e32 v14, 1
	s_and_saveexec_b32 s43, s1
	s_cbranch_execz .LBB345_301
; %bb.296:                              ;   in Loop: Header=BB345_15 Depth=1
	v_and_b32_sdwa v0, v88, v1 dst_sel:DWORD dst_unused:UNUSED_PAD src0_sel:DWORD src1_sel:BYTE_1
	v_mov_b32_e32 v14, 0x7f800001
	s_mov_b32 s44, exec_lo
	v_and_b32_e32 v15, 0x7f, v0
	v_cmpx_ne_u32_e32 0x7f, v15
	s_cbranch_execz .LBB345_300
; %bb.297:                              ;   in Loop: Header=BB345_15 Depth=1
	v_and_b32_e32 v11, 7, v0
	v_mov_b32_e32 v12, v2
	v_lshrrev_b32_e32 v0, 3, v15
	s_mov_b32 s45, exec_lo
	v_cmpx_gt_u32_e32 8, v15
; %bb.298:                              ;   in Loop: Header=BB345_15 Depth=1
	v_ffbh_u32_e32 v0, v11
	v_min_u32_e32 v0, 32, v0
	v_subrev_nc_u32_e32 v14, 28, v0
	v_sub_nc_u32_e32 v0, 29, v0
	v_lshlrev_b64 v[11:12], v14, v[11:12]
	v_and_b32_e32 v11, 7, v11
; %bb.299:                              ;   in Loop: Header=BB345_15 Depth=1
	s_or_b32 exec_lo, exec_lo, s45
	v_lshlrev_b32_e32 v1, 16, v1
	v_lshlrev_b32_e32 v11, 20, v11
	v_lshl_add_u32 v0, v0, 23, 0x3c000000
	v_and_b32_e32 v1, 0x80000000, v1
	v_or3_b32 v14, v11, v1, v0
.LBB345_300:                            ;   in Loop: Header=BB345_15 Depth=1
	s_or_b32 exec_lo, exec_lo, s44
.LBB345_301:                            ;   in Loop: Header=BB345_15 Depth=1
	s_or_b32 exec_lo, exec_lo, s43
.LBB345_302:                            ;   in Loop: Header=BB345_15 Depth=1
	s_or_b32 exec_lo, exec_lo, s42
	v_and_b32_sdwa v0, v10, v89 dst_sel:DWORD dst_unused:UNUSED_PAD src0_sel:WORD_1 src1_sel:DWORD
	v_mov_b32_e32 v22, 0
	v_mov_b32_e32 v15, 0
	s_mov_b32 s42, exec_lo
	v_cmpx_ne_u16_e32 0, v0
	s_cbranch_execz .LBB345_310
; %bb.303:                              ;   in Loop: Header=BB345_15 Depth=1
	v_bfrev_b32_e32 v15, 1
	s_mov_b32 s43, exec_lo
	v_cmpx_ne_u16_e32 0x80, v0
	s_cbranch_execz .LBB345_309
; %bb.304:                              ;   in Loop: Header=BB345_15 Depth=1
	v_bfe_u32 v11, v10, 16, 7
	v_mov_b32_e32 v15, 0x7f800001
	s_mov_b32 s44, exec_lo
	v_cmpx_ne_u32_e32 0x7f, v11
	s_cbranch_execz .LBB345_308
; %bb.305:                              ;   in Loop: Header=BB345_15 Depth=1
	v_and_b32_sdwa v1, v10, v90 dst_sel:DWORD dst_unused:UNUSED_PAD src0_sel:WORD_1 src1_sel:DWORD
	v_lshrrev_b32_e32 v0, 3, v11
	s_mov_b32 s45, exec_lo
	v_cmpx_gt_u32_e32 8, v11
; %bb.306:                              ;   in Loop: Header=BB345_15 Depth=1
	v_ffbh_u32_e32 v0, v1
	v_min_u32_e32 v0, 32, v0
	v_subrev_nc_u32_e32 v11, 28, v0
	v_sub_nc_u32_e32 v0, 29, v0
	v_lshlrev_b64 v[11:12], v11, v[1:2]
	v_and_b32_e32 v1, 7, v11
; %bb.307:                              ;   in Loop: Header=BB345_15 Depth=1
	s_or_b32 exec_lo, exec_lo, s45
	v_lshlrev_b32_sdwa v11, v91, v10 dst_sel:DWORD dst_unused:UNUSED_PAD src0_sel:DWORD src1_sel:WORD_1
	v_lshlrev_b32_e32 v1, 20, v1
	v_lshl_add_u32 v0, v0, 23, 0x3c000000
	v_and_b32_e32 v11, 0x80000000, v11
	v_or3_b32 v15, v1, v11, v0
.LBB345_308:                            ;   in Loop: Header=BB345_15 Depth=1
	s_or_b32 exec_lo, exec_lo, s44
.LBB345_309:                            ;   in Loop: Header=BB345_15 Depth=1
	s_or_b32 exec_lo, exec_lo, s43
.LBB345_310:                            ;   in Loop: Header=BB345_15 Depth=1
	s_or_b32 exec_lo, exec_lo, s42
	s_mov_b32 s42, exec_lo
	v_cmpx_lt_u64_e64 s[4:5], v[9:10]
	s_cbranch_execz .LBB345_318
; %bb.311:                              ;   in Loop: Header=BB345_15 Depth=1
	v_cmp_ne_u32_sdwa s1, v10, v87 src0_sel:BYTE_3 src1_sel:DWORD
	v_bfrev_b32_e32 v22, 1
	s_and_saveexec_b32 s43, s1
	s_cbranch_execz .LBB345_317
; %bb.312:                              ;   in Loop: Header=BB345_15 Depth=1
	v_bfe_u32 v9, v10, 24, 7
	v_mov_b32_e32 v22, 0x7f800001
	s_mov_b32 s44, exec_lo
	v_cmpx_ne_u32_e32 0x7f, v9
	s_cbranch_execz .LBB345_316
; %bb.313:                              ;   in Loop: Header=BB345_15 Depth=1
	v_and_b32_sdwa v1, v10, v90 dst_sel:DWORD dst_unused:UNUSED_PAD src0_sel:BYTE_3 src1_sel:DWORD
	v_lshrrev_b32_e32 v0, 3, v9
	s_mov_b32 s45, exec_lo
	v_cmpx_gt_u32_e32 8, v9
; %bb.314:                              ;   in Loop: Header=BB345_15 Depth=1
	v_ffbh_u32_e32 v0, v1
	v_min_u32_e32 v0, 32, v0
	v_subrev_nc_u32_e32 v9, 28, v0
	v_sub_nc_u32_e32 v0, 29, v0
	v_lshlrev_b64 v[11:12], v9, v[1:2]
	v_and_b32_e32 v1, 7, v11
; %bb.315:                              ;   in Loop: Header=BB345_15 Depth=1
	s_or_b32 exec_lo, exec_lo, s45
	v_lshlrev_b32_sdwa v9, v91, v10 dst_sel:DWORD dst_unused:UNUSED_PAD src0_sel:DWORD src1_sel:BYTE_3
	v_lshlrev_b32_e32 v1, 20, v1
	v_lshl_add_u32 v0, v0, 23, 0x3c000000
	v_and_b32_e32 v9, 0x80000000, v9
	v_or3_b32 v22, v1, v9, v0
.LBB345_316:                            ;   in Loop: Header=BB345_15 Depth=1
	s_or_b32 exec_lo, exec_lo, s44
.LBB345_317:                            ;   in Loop: Header=BB345_15 Depth=1
	s_or_b32 exec_lo, exec_lo, s43
.LBB345_318:                            ;   in Loop: Header=BB345_15 Depth=1
	s_or_b32 exec_lo, exec_lo, s42
	global_load_dwordx2 v[9:10], v[7:8], off offset:1032
	v_mov_b32_e32 v0, 0
	v_mov_b32_e32 v16, 0
	s_waitcnt vmcnt(0)
	v_cmp_ne_u16_sdwa s1, v9, v2 src0_sel:BYTE_0 src1_sel:DWORD
	s_and_saveexec_b32 s42, s1
	s_cbranch_execz .LBB345_324
; %bb.319:                              ;   in Loop: Header=BB345_15 Depth=1
	v_cmp_ne_u16_sdwa s1, v9, v87 src0_sel:BYTE_0 src1_sel:DWORD
	v_bfrev_b32_e32 v16, 1
	s_and_saveexec_b32 s43, s1
	s_cbranch_execz .LBB345_323
; %bb.320:                              ;   in Loop: Header=BB345_15 Depth=1
	v_and_b32_e32 v1, 0x7f, v9
	v_mov_b32_e32 v16, 0x7f800001
	s_mov_b32 s44, exec_lo
	v_cmpx_ne_u32_e32 0x7f, v1
	s_cbranch_execz .LBB345_322
; %bb.321:                              ;   in Loop: Header=BB345_15 Depth=1
	v_and_b32_e32 v11, 7, v9
	v_lshrrev_b32_e32 v12, 3, v1
	v_cmp_gt_u32_e64 s1, 8, v1
	v_ffbh_u32_e32 v1, v11
	v_min_u32_e32 v1, 32, v1
	v_subrev_nc_u32_e32 v11, 28, v1
	v_sub_nc_u32_e32 v1, 29, v1
	v_cndmask_b32_e64 v11, 0, v11, s1
	v_cndmask_b32_e64 v1, v12, v1, s1
	v_lshlrev_b64 v[11:12], v11, v[9:10]
	v_lshlrev_b32_e32 v12, 24, v9
	v_lshl_add_u32 v1, v1, 23, 0x3c000000
	v_lshlrev_b32_e32 v11, 20, v11
	v_and_b32_e32 v12, 0x80000000, v12
	v_and_b32_e32 v11, 0x700000, v11
	v_or3_b32 v16, v11, v12, v1
.LBB345_322:                            ;   in Loop: Header=BB345_15 Depth=1
	s_or_b32 exec_lo, exec_lo, s44
.LBB345_323:                            ;   in Loop: Header=BB345_15 Depth=1
	s_or_b32 exec_lo, exec_lo, s43
.LBB345_324:                            ;   in Loop: Header=BB345_15 Depth=1
	s_or_b32 exec_lo, exec_lo, s42
	v_cmp_ne_u16_sdwa s1, v9, v2 src0_sel:BYTE_1 src1_sel:DWORD
	s_and_saveexec_b32 s42, s1
	s_cbranch_execz .LBB345_332
; %bb.325:                              ;   in Loop: Header=BB345_15 Depth=1
	v_cmp_ne_u16_sdwa s1, v9, v87 src0_sel:BYTE_1 src1_sel:DWORD
	v_bfrev_b32_e32 v0, 1
	s_and_saveexec_b32 s43, s1
	s_cbranch_execz .LBB345_331
; %bb.326:                              ;   in Loop: Header=BB345_15 Depth=1
	v_and_b32_sdwa v1, v88, v9 dst_sel:DWORD dst_unused:UNUSED_PAD src0_sel:DWORD src1_sel:BYTE_1
	v_mov_b32_e32 v0, 0x7f800001
	s_mov_b32 s44, exec_lo
	v_and_b32_e32 v11, 0x7f, v1
	v_cmpx_ne_u32_e32 0x7f, v11
	s_cbranch_execz .LBB345_330
; %bb.327:                              ;   in Loop: Header=BB345_15 Depth=1
	v_and_b32_e32 v1, 7, v1
	v_lshrrev_b32_e32 v0, 3, v11
	s_mov_b32 s45, exec_lo
	v_cmpx_gt_u32_e32 8, v11
; %bb.328:                              ;   in Loop: Header=BB345_15 Depth=1
	v_ffbh_u32_e32 v0, v1
	v_min_u32_e32 v0, 32, v0
	v_subrev_nc_u32_e32 v11, 28, v0
	v_sub_nc_u32_e32 v0, 29, v0
	v_lshlrev_b64 v[11:12], v11, v[1:2]
	v_and_b32_e32 v1, 7, v11
; %bb.329:                              ;   in Loop: Header=BB345_15 Depth=1
	s_or_b32 exec_lo, exec_lo, s45
	v_lshlrev_b32_e32 v11, 16, v9
	v_lshlrev_b32_e32 v1, 20, v1
	v_lshl_add_u32 v0, v0, 23, 0x3c000000
	v_and_b32_e32 v11, 0x80000000, v11
	v_or3_b32 v0, v1, v11, v0
.LBB345_330:                            ;   in Loop: Header=BB345_15 Depth=1
	s_or_b32 exec_lo, exec_lo, s44
.LBB345_331:                            ;   in Loop: Header=BB345_15 Depth=1
	s_or_b32 exec_lo, exec_lo, s43
.LBB345_332:                            ;   in Loop: Header=BB345_15 Depth=1
	s_or_b32 exec_lo, exec_lo, s42
	v_and_b32_sdwa v1, v9, v89 dst_sel:DWORD dst_unused:UNUSED_PAD src0_sel:WORD_1 src1_sel:DWORD
	v_mov_b32_e32 v18, 0
	v_mov_b32_e32 v17, 0
	s_mov_b32 s42, exec_lo
	v_cmpx_ne_u16_e32 0, v1
	s_cbranch_execz .LBB345_340
; %bb.333:                              ;   in Loop: Header=BB345_15 Depth=1
	v_bfrev_b32_e32 v17, 1
	s_mov_b32 s43, exec_lo
	v_cmpx_ne_u16_e32 0x80, v1
	s_cbranch_execz .LBB345_339
; %bb.334:                              ;   in Loop: Header=BB345_15 Depth=1
	v_bfe_u32 v12, v9, 16, 7
	v_mov_b32_e32 v17, 0x7f800001
	s_mov_b32 s44, exec_lo
	v_cmpx_ne_u32_e32 0x7f, v12
	s_cbranch_execz .LBB345_338
; %bb.335:                              ;   in Loop: Header=BB345_15 Depth=1
	v_and_b32_sdwa v1, v9, v90 dst_sel:DWORD dst_unused:UNUSED_PAD src0_sel:WORD_1 src1_sel:DWORD
	v_lshrrev_b32_e32 v11, 3, v12
	s_mov_b32 s45, exec_lo
	v_cmpx_gt_u32_e32 8, v12
; %bb.336:                              ;   in Loop: Header=BB345_15 Depth=1
	v_ffbh_u32_e32 v11, v1
	v_min_u32_e32 v11, 32, v11
	v_subrev_nc_u32_e32 v12, 28, v11
	v_sub_nc_u32_e32 v11, 29, v11
	v_lshlrev_b64 v[19:20], v12, v[1:2]
	v_and_b32_e32 v1, 7, v19
; %bb.337:                              ;   in Loop: Header=BB345_15 Depth=1
	s_or_b32 exec_lo, exec_lo, s45
	v_lshlrev_b32_sdwa v12, v91, v9 dst_sel:DWORD dst_unused:UNUSED_PAD src0_sel:DWORD src1_sel:WORD_1
	v_lshlrev_b32_e32 v1, 20, v1
	v_lshl_add_u32 v11, v11, 23, 0x3c000000
	v_and_b32_e32 v12, 0x80000000, v12
	v_or3_b32 v17, v1, v12, v11
.LBB345_338:                            ;   in Loop: Header=BB345_15 Depth=1
	s_or_b32 exec_lo, exec_lo, s44
.LBB345_339:                            ;   in Loop: Header=BB345_15 Depth=1
	s_or_b32 exec_lo, exec_lo, s43
.LBB345_340:                            ;   in Loop: Header=BB345_15 Depth=1
	s_or_b32 exec_lo, exec_lo, s42
	s_mov_b32 s42, exec_lo
	v_cmpx_lt_u32_e32 0xffffff, v9
	s_cbranch_execz .LBB345_348
; %bb.341:                              ;   in Loop: Header=BB345_15 Depth=1
	v_cmp_ne_u32_sdwa s1, v9, v87 src0_sel:BYTE_3 src1_sel:DWORD
	v_bfrev_b32_e32 v18, 1
	s_and_saveexec_b32 s43, s1
	s_cbranch_execz .LBB345_347
; %bb.342:                              ;   in Loop: Header=BB345_15 Depth=1
	v_bfe_u32 v12, v9, 24, 7
	v_mov_b32_e32 v18, 0x7f800001
	s_mov_b32 s44, exec_lo
	v_cmpx_ne_u32_e32 0x7f, v12
	s_cbranch_execz .LBB345_346
; %bb.343:                              ;   in Loop: Header=BB345_15 Depth=1
	v_and_b32_sdwa v1, v9, v90 dst_sel:DWORD dst_unused:UNUSED_PAD src0_sel:BYTE_3 src1_sel:DWORD
	v_lshrrev_b32_e32 v11, 3, v12
	s_mov_b32 s45, exec_lo
	v_cmpx_gt_u32_e32 8, v12
; %bb.344:                              ;   in Loop: Header=BB345_15 Depth=1
	v_ffbh_u32_e32 v11, v1
	v_min_u32_e32 v11, 32, v11
	v_subrev_nc_u32_e32 v12, 28, v11
	v_sub_nc_u32_e32 v11, 29, v11
	v_lshlrev_b64 v[18:19], v12, v[1:2]
	v_and_b32_e32 v1, 7, v18
; %bb.345:                              ;   in Loop: Header=BB345_15 Depth=1
	s_or_b32 exec_lo, exec_lo, s45
	v_lshlrev_b32_sdwa v12, v91, v9 dst_sel:DWORD dst_unused:UNUSED_PAD src0_sel:DWORD src1_sel:BYTE_3
	v_lshlrev_b32_e32 v1, 20, v1
	v_lshl_add_u32 v11, v11, 23, 0x3c000000
	v_and_b32_e32 v12, 0x80000000, v12
	v_or3_b32 v18, v1, v12, v11
.LBB345_346:                            ;   in Loop: Header=BB345_15 Depth=1
	s_or_b32 exec_lo, exec_lo, s44
.LBB345_347:                            ;   in Loop: Header=BB345_15 Depth=1
	s_or_b32 exec_lo, exec_lo, s43
.LBB345_348:                            ;   in Loop: Header=BB345_15 Depth=1
	s_or_b32 exec_lo, exec_lo, s42
	v_mov_b32_e32 v1, v10
	v_cmp_ne_u16_sdwa s1, v10, v2 src0_sel:BYTE_0 src1_sel:DWORD
	v_mov_b32_e32 v19, 0
	v_mov_b32_e32 v20, 0
	s_and_saveexec_b32 s42, s1
	s_cbranch_execz .LBB345_354
; %bb.349:                              ;   in Loop: Header=BB345_15 Depth=1
	v_cmp_ne_u16_sdwa s1, v10, v87 src0_sel:BYTE_0 src1_sel:DWORD
	v_bfrev_b32_e32 v20, 1
	s_and_saveexec_b32 s43, s1
	s_cbranch_execz .LBB345_353
; %bb.350:                              ;   in Loop: Header=BB345_15 Depth=1
	v_and_b32_e32 v11, 0x7f, v10
	v_mov_b32_e32 v20, 0x7f800001
	s_mov_b32 s44, exec_lo
	v_cmpx_ne_u32_e32 0x7f, v11
	s_cbranch_execz .LBB345_352
; %bb.351:                              ;   in Loop: Header=BB345_15 Depth=1
	v_and_b32_e32 v12, 7, v10
	v_lshrrev_b32_e32 v20, 3, v11
	v_cmp_gt_u32_e64 s1, 8, v11
	v_ffbh_u32_e32 v11, v12
	v_min_u32_e32 v11, 32, v11
	v_subrev_nc_u32_e32 v12, 28, v11
	v_sub_nc_u32_e32 v11, 29, v11
	v_cndmask_b32_e64 v20, v20, v11, s1
	v_cndmask_b32_e64 v11, 0, v12, s1
	v_lshl_add_u32 v20, v20, 23, 0x3c000000
	v_lshlrev_b64 v[11:12], v11, v[1:2]
	v_lshlrev_b32_e32 v12, 24, v1
	v_lshlrev_b32_e32 v11, 20, v11
	v_and_b32_e32 v12, 0x80000000, v12
	v_and_b32_e32 v11, 0x700000, v11
	v_or3_b32 v20, v11, v12, v20
.LBB345_352:                            ;   in Loop: Header=BB345_15 Depth=1
	s_or_b32 exec_lo, exec_lo, s44
.LBB345_353:                            ;   in Loop: Header=BB345_15 Depth=1
	s_or_b32 exec_lo, exec_lo, s43
.LBB345_354:                            ;   in Loop: Header=BB345_15 Depth=1
	s_or_b32 exec_lo, exec_lo, s42
	v_cmp_ne_u16_sdwa s1, v1, v2 src0_sel:BYTE_1 src1_sel:DWORD
	s_and_saveexec_b32 s42, s1
	s_cbranch_execz .LBB345_362
; %bb.355:                              ;   in Loop: Header=BB345_15 Depth=1
	v_cmp_ne_u16_sdwa s1, v1, v87 src0_sel:BYTE_1 src1_sel:DWORD
	v_bfrev_b32_e32 v19, 1
	s_and_saveexec_b32 s43, s1
	s_cbranch_execz .LBB345_361
; %bb.356:                              ;   in Loop: Header=BB345_15 Depth=1
	v_and_b32_sdwa v11, v88, v1 dst_sel:DWORD dst_unused:UNUSED_PAD src0_sel:DWORD src1_sel:BYTE_1
	v_mov_b32_e32 v19, 0x7f800001
	s_mov_b32 s44, exec_lo
	v_and_b32_e32 v24, 0x7f, v11
	v_cmpx_ne_u32_e32 0x7f, v24
	s_cbranch_execz .LBB345_360
; %bb.357:                              ;   in Loop: Header=BB345_15 Depth=1
	v_and_b32_e32 v11, 7, v11
	v_mov_b32_e32 v12, v2
	v_lshrrev_b32_e32 v19, 3, v24
	s_mov_b32 s45, exec_lo
	v_cmpx_gt_u32_e32 8, v24
; %bb.358:                              ;   in Loop: Header=BB345_15 Depth=1
	v_ffbh_u32_e32 v19, v11
	v_min_u32_e32 v19, 32, v19
	v_subrev_nc_u32_e32 v24, 28, v19
	v_sub_nc_u32_e32 v19, 29, v19
	v_lshlrev_b64 v[11:12], v24, v[11:12]
	v_and_b32_e32 v11, 7, v11
; %bb.359:                              ;   in Loop: Header=BB345_15 Depth=1
	s_or_b32 exec_lo, exec_lo, s45
	v_lshlrev_b32_e32 v1, 16, v1
	v_lshlrev_b32_e32 v11, 20, v11
	v_lshl_add_u32 v12, v19, 23, 0x3c000000
	v_and_b32_e32 v1, 0x80000000, v1
	v_or3_b32 v19, v11, v1, v12
.LBB345_360:                            ;   in Loop: Header=BB345_15 Depth=1
	s_or_b32 exec_lo, exec_lo, s44
.LBB345_361:                            ;   in Loop: Header=BB345_15 Depth=1
	s_or_b32 exec_lo, exec_lo, s43
.LBB345_362:                            ;   in Loop: Header=BB345_15 Depth=1
	s_or_b32 exec_lo, exec_lo, s42
	v_and_b32_sdwa v1, v10, v89 dst_sel:DWORD dst_unused:UNUSED_PAD src0_sel:WORD_1 src1_sel:DWORD
	v_mov_b32_e32 v24, 0
	v_mov_b32_e32 v25, 0
	s_mov_b32 s42, exec_lo
	v_cmpx_ne_u16_e32 0, v1
	s_cbranch_execz .LBB345_370
; %bb.363:                              ;   in Loop: Header=BB345_15 Depth=1
	v_bfrev_b32_e32 v25, 1
	s_mov_b32 s43, exec_lo
	v_cmpx_ne_u16_e32 0x80, v1
	s_cbranch_execz .LBB345_369
; %bb.364:                              ;   in Loop: Header=BB345_15 Depth=1
	v_bfe_u32 v12, v10, 16, 7
	v_mov_b32_e32 v25, 0x7f800001
	s_mov_b32 s44, exec_lo
	v_cmpx_ne_u32_e32 0x7f, v12
	s_cbranch_execz .LBB345_368
; %bb.365:                              ;   in Loop: Header=BB345_15 Depth=1
	v_and_b32_sdwa v1, v10, v90 dst_sel:DWORD dst_unused:UNUSED_PAD src0_sel:WORD_1 src1_sel:DWORD
	v_lshrrev_b32_e32 v11, 3, v12
	s_mov_b32 s45, exec_lo
	v_cmpx_gt_u32_e32 8, v12
; %bb.366:                              ;   in Loop: Header=BB345_15 Depth=1
	v_ffbh_u32_e32 v11, v1
	v_min_u32_e32 v11, 32, v11
	v_subrev_nc_u32_e32 v12, 28, v11
	v_sub_nc_u32_e32 v11, 29, v11
	v_lshlrev_b64 v[25:26], v12, v[1:2]
	v_and_b32_e32 v1, 7, v25
; %bb.367:                              ;   in Loop: Header=BB345_15 Depth=1
	s_or_b32 exec_lo, exec_lo, s45
	v_lshlrev_b32_sdwa v12, v91, v10 dst_sel:DWORD dst_unused:UNUSED_PAD src0_sel:DWORD src1_sel:WORD_1
	v_lshlrev_b32_e32 v1, 20, v1
	v_lshl_add_u32 v11, v11, 23, 0x3c000000
	v_and_b32_e32 v12, 0x80000000, v12
	v_or3_b32 v25, v1, v12, v11
.LBB345_368:                            ;   in Loop: Header=BB345_15 Depth=1
	s_or_b32 exec_lo, exec_lo, s44
.LBB345_369:                            ;   in Loop: Header=BB345_15 Depth=1
	s_or_b32 exec_lo, exec_lo, s43
.LBB345_370:                            ;   in Loop: Header=BB345_15 Depth=1
	s_or_b32 exec_lo, exec_lo, s42
	s_mov_b32 s42, exec_lo
	v_cmpx_lt_u64_e64 s[4:5], v[9:10]
	s_cbranch_execz .LBB345_378
; %bb.371:                              ;   in Loop: Header=BB345_15 Depth=1
	v_cmp_ne_u32_sdwa s1, v10, v87 src0_sel:BYTE_3 src1_sel:DWORD
	v_bfrev_b32_e32 v24, 1
	s_and_saveexec_b32 s43, s1
	s_cbranch_execz .LBB345_377
; %bb.372:                              ;   in Loop: Header=BB345_15 Depth=1
	v_bfe_u32 v11, v10, 24, 7
	v_mov_b32_e32 v24, 0x7f800001
	s_mov_b32 s44, exec_lo
	v_cmpx_ne_u32_e32 0x7f, v11
	s_cbranch_execz .LBB345_376
; %bb.373:                              ;   in Loop: Header=BB345_15 Depth=1
	v_and_b32_sdwa v1, v10, v90 dst_sel:DWORD dst_unused:UNUSED_PAD src0_sel:BYTE_3 src1_sel:DWORD
	v_lshrrev_b32_e32 v9, 3, v11
	s_mov_b32 s45, exec_lo
	v_cmpx_gt_u32_e32 8, v11
; %bb.374:                              ;   in Loop: Header=BB345_15 Depth=1
	v_ffbh_u32_e32 v9, v1
	v_min_u32_e32 v9, 32, v9
	v_subrev_nc_u32_e32 v11, 28, v9
	v_sub_nc_u32_e32 v9, 29, v9
	v_lshlrev_b64 v[11:12], v11, v[1:2]
	v_and_b32_e32 v1, 7, v11
; %bb.375:                              ;   in Loop: Header=BB345_15 Depth=1
	s_or_b32 exec_lo, exec_lo, s45
	v_lshlrev_b32_sdwa v10, v91, v10 dst_sel:DWORD dst_unused:UNUSED_PAD src0_sel:DWORD src1_sel:BYTE_3
	v_lshlrev_b32_e32 v1, 20, v1
	v_lshl_add_u32 v9, v9, 23, 0x3c000000
	v_and_b32_e32 v10, 0x80000000, v10
	v_or3_b32 v24, v1, v10, v9
.LBB345_376:                            ;   in Loop: Header=BB345_15 Depth=1
	s_or_b32 exec_lo, exec_lo, s44
.LBB345_377:                            ;   in Loop: Header=BB345_15 Depth=1
	s_or_b32 exec_lo, exec_lo, s43
.LBB345_378:                            ;   in Loop: Header=BB345_15 Depth=1
	s_or_b32 exec_lo, exec_lo, s42
	global_load_dwordx2 v[9:10], v[7:8], off offset:1536
	v_mov_b32_e32 v26, 0
	v_mov_b32_e32 v27, 0
	s_waitcnt vmcnt(0)
	v_cmp_ne_u16_sdwa s1, v9, v2 src0_sel:BYTE_0 src1_sel:DWORD
	s_and_saveexec_b32 s42, s1
	s_cbranch_execz .LBB345_384
; %bb.379:                              ;   in Loop: Header=BB345_15 Depth=1
	v_cmp_ne_u16_sdwa s1, v9, v87 src0_sel:BYTE_0 src1_sel:DWORD
	v_bfrev_b32_e32 v27, 1
	s_and_saveexec_b32 s43, s1
	s_cbranch_execz .LBB345_383
; %bb.380:                              ;   in Loop: Header=BB345_15 Depth=1
	v_and_b32_e32 v1, 0x7f, v9
	v_mov_b32_e32 v27, 0x7f800001
	s_mov_b32 s44, exec_lo
	v_cmpx_ne_u32_e32 0x7f, v1
	s_cbranch_execz .LBB345_382
; %bb.381:                              ;   in Loop: Header=BB345_15 Depth=1
	v_and_b32_e32 v11, 7, v9
	v_lshrrev_b32_e32 v12, 3, v1
	v_cmp_gt_u32_e64 s1, 8, v1
	v_ffbh_u32_e32 v1, v11
	v_min_u32_e32 v1, 32, v1
	v_subrev_nc_u32_e32 v11, 28, v1
	v_sub_nc_u32_e32 v1, 29, v1
	v_cndmask_b32_e64 v11, 0, v11, s1
	v_cndmask_b32_e64 v1, v12, v1, s1
	v_lshlrev_b64 v[11:12], v11, v[9:10]
	v_lshlrev_b32_e32 v12, 24, v9
	v_lshl_add_u32 v1, v1, 23, 0x3c000000
	v_lshlrev_b32_e32 v11, 20, v11
	v_and_b32_e32 v12, 0x80000000, v12
	v_and_b32_e32 v11, 0x700000, v11
	v_or3_b32 v27, v11, v12, v1
.LBB345_382:                            ;   in Loop: Header=BB345_15 Depth=1
	s_or_b32 exec_lo, exec_lo, s44
.LBB345_383:                            ;   in Loop: Header=BB345_15 Depth=1
	s_or_b32 exec_lo, exec_lo, s43
.LBB345_384:                            ;   in Loop: Header=BB345_15 Depth=1
	s_or_b32 exec_lo, exec_lo, s42
	v_cmp_ne_u16_sdwa s1, v9, v2 src0_sel:BYTE_1 src1_sel:DWORD
	s_and_saveexec_b32 s42, s1
	s_cbranch_execz .LBB345_392
; %bb.385:                              ;   in Loop: Header=BB345_15 Depth=1
	v_cmp_ne_u16_sdwa s1, v9, v87 src0_sel:BYTE_1 src1_sel:DWORD
	v_bfrev_b32_e32 v26, 1
	s_and_saveexec_b32 s43, s1
	s_cbranch_execz .LBB345_391
; %bb.386:                              ;   in Loop: Header=BB345_15 Depth=1
	v_and_b32_sdwa v1, v88, v9 dst_sel:DWORD dst_unused:UNUSED_PAD src0_sel:DWORD src1_sel:BYTE_1
	v_mov_b32_e32 v26, 0x7f800001
	s_mov_b32 s44, exec_lo
	v_and_b32_e32 v12, 0x7f, v1
	v_cmpx_ne_u32_e32 0x7f, v12
	s_cbranch_execz .LBB345_390
; %bb.387:                              ;   in Loop: Header=BB345_15 Depth=1
	v_and_b32_e32 v1, 7, v1
	v_lshrrev_b32_e32 v11, 3, v12
	s_mov_b32 s45, exec_lo
	v_cmpx_gt_u32_e32 8, v12
; %bb.388:                              ;   in Loop: Header=BB345_15 Depth=1
	v_ffbh_u32_e32 v11, v1
	v_min_u32_e32 v11, 32, v11
	v_subrev_nc_u32_e32 v12, 28, v11
	v_sub_nc_u32_e32 v11, 29, v11
	v_lshlrev_b64 v[28:29], v12, v[1:2]
	v_and_b32_e32 v1, 7, v28
; %bb.389:                              ;   in Loop: Header=BB345_15 Depth=1
	s_or_b32 exec_lo, exec_lo, s45
	v_lshlrev_b32_e32 v12, 16, v9
	v_lshlrev_b32_e32 v1, 20, v1
	v_lshl_add_u32 v11, v11, 23, 0x3c000000
	v_and_b32_e32 v12, 0x80000000, v12
	v_or3_b32 v26, v1, v12, v11
.LBB345_390:                            ;   in Loop: Header=BB345_15 Depth=1
	s_or_b32 exec_lo, exec_lo, s44
.LBB345_391:                            ;   in Loop: Header=BB345_15 Depth=1
	s_or_b32 exec_lo, exec_lo, s43
.LBB345_392:                            ;   in Loop: Header=BB345_15 Depth=1
	s_or_b32 exec_lo, exec_lo, s42
	v_and_b32_sdwa v1, v9, v89 dst_sel:DWORD dst_unused:UNUSED_PAD src0_sel:WORD_1 src1_sel:DWORD
	v_mov_b32_e32 v29, 0
	v_mov_b32_e32 v28, 0
	s_mov_b32 s42, exec_lo
	v_cmpx_ne_u16_e32 0, v1
	s_cbranch_execz .LBB345_400
; %bb.393:                              ;   in Loop: Header=BB345_15 Depth=1
	v_bfrev_b32_e32 v28, 1
	s_mov_b32 s43, exec_lo
	v_cmpx_ne_u16_e32 0x80, v1
	s_cbranch_execz .LBB345_399
; %bb.394:                              ;   in Loop: Header=BB345_15 Depth=1
	v_bfe_u32 v12, v9, 16, 7
	v_mov_b32_e32 v28, 0x7f800001
	s_mov_b32 s44, exec_lo
	v_cmpx_ne_u32_e32 0x7f, v12
	s_cbranch_execz .LBB345_398
; %bb.395:                              ;   in Loop: Header=BB345_15 Depth=1
	v_and_b32_sdwa v1, v9, v90 dst_sel:DWORD dst_unused:UNUSED_PAD src0_sel:WORD_1 src1_sel:DWORD
	v_lshrrev_b32_e32 v11, 3, v12
	s_mov_b32 s45, exec_lo
	v_cmpx_gt_u32_e32 8, v12
; %bb.396:                              ;   in Loop: Header=BB345_15 Depth=1
	v_ffbh_u32_e32 v11, v1
	v_min_u32_e32 v11, 32, v11
	v_subrev_nc_u32_e32 v12, 28, v11
	v_sub_nc_u32_e32 v11, 29, v11
	v_lshlrev_b64 v[30:31], v12, v[1:2]
	v_and_b32_e32 v1, 7, v30
; %bb.397:                              ;   in Loop: Header=BB345_15 Depth=1
	s_or_b32 exec_lo, exec_lo, s45
	v_lshlrev_b32_sdwa v12, v91, v9 dst_sel:DWORD dst_unused:UNUSED_PAD src0_sel:DWORD src1_sel:WORD_1
	v_lshlrev_b32_e32 v1, 20, v1
	v_lshl_add_u32 v11, v11, 23, 0x3c000000
	v_and_b32_e32 v12, 0x80000000, v12
	v_or3_b32 v28, v1, v12, v11
.LBB345_398:                            ;   in Loop: Header=BB345_15 Depth=1
	s_or_b32 exec_lo, exec_lo, s44
.LBB345_399:                            ;   in Loop: Header=BB345_15 Depth=1
	s_or_b32 exec_lo, exec_lo, s43
.LBB345_400:                            ;   in Loop: Header=BB345_15 Depth=1
	s_or_b32 exec_lo, exec_lo, s42
	s_mov_b32 s42, exec_lo
	v_cmpx_lt_u32_e32 0xffffff, v9
	s_cbranch_execz .LBB345_408
; %bb.401:                              ;   in Loop: Header=BB345_15 Depth=1
	v_cmp_ne_u32_sdwa s1, v9, v87 src0_sel:BYTE_3 src1_sel:DWORD
	v_bfrev_b32_e32 v29, 1
	s_and_saveexec_b32 s43, s1
	s_cbranch_execz .LBB345_407
; %bb.402:                              ;   in Loop: Header=BB345_15 Depth=1
	v_bfe_u32 v12, v9, 24, 7
	v_mov_b32_e32 v29, 0x7f800001
	s_mov_b32 s44, exec_lo
	v_cmpx_ne_u32_e32 0x7f, v12
	s_cbranch_execz .LBB345_406
; %bb.403:                              ;   in Loop: Header=BB345_15 Depth=1
	v_and_b32_sdwa v1, v9, v90 dst_sel:DWORD dst_unused:UNUSED_PAD src0_sel:BYTE_3 src1_sel:DWORD
	v_lshrrev_b32_e32 v11, 3, v12
	s_mov_b32 s45, exec_lo
	v_cmpx_gt_u32_e32 8, v12
; %bb.404:                              ;   in Loop: Header=BB345_15 Depth=1
	v_ffbh_u32_e32 v11, v1
	v_min_u32_e32 v11, 32, v11
	v_subrev_nc_u32_e32 v12, 28, v11
	v_sub_nc_u32_e32 v11, 29, v11
	v_lshlrev_b64 v[29:30], v12, v[1:2]
	v_and_b32_e32 v1, 7, v29
; %bb.405:                              ;   in Loop: Header=BB345_15 Depth=1
	s_or_b32 exec_lo, exec_lo, s45
	v_lshlrev_b32_sdwa v12, v91, v9 dst_sel:DWORD dst_unused:UNUSED_PAD src0_sel:DWORD src1_sel:BYTE_3
	v_lshlrev_b32_e32 v1, 20, v1
	v_lshl_add_u32 v11, v11, 23, 0x3c000000
	v_and_b32_e32 v12, 0x80000000, v12
	v_or3_b32 v29, v1, v12, v11
.LBB345_406:                            ;   in Loop: Header=BB345_15 Depth=1
	s_or_b32 exec_lo, exec_lo, s44
.LBB345_407:                            ;   in Loop: Header=BB345_15 Depth=1
	s_or_b32 exec_lo, exec_lo, s43
.LBB345_408:                            ;   in Loop: Header=BB345_15 Depth=1
	s_or_b32 exec_lo, exec_lo, s42
	v_mov_b32_e32 v1, v10
	v_cmp_ne_u16_sdwa s1, v10, v2 src0_sel:BYTE_0 src1_sel:DWORD
	v_mov_b32_e32 v30, 0
	v_mov_b32_e32 v31, 0
	s_and_saveexec_b32 s42, s1
	s_cbranch_execz .LBB345_414
; %bb.409:                              ;   in Loop: Header=BB345_15 Depth=1
	v_cmp_ne_u16_sdwa s1, v10, v87 src0_sel:BYTE_0 src1_sel:DWORD
	v_bfrev_b32_e32 v31, 1
	s_and_saveexec_b32 s43, s1
	s_cbranch_execz .LBB345_413
; %bb.410:                              ;   in Loop: Header=BB345_15 Depth=1
	v_and_b32_e32 v11, 0x7f, v10
	v_mov_b32_e32 v31, 0x7f800001
	s_mov_b32 s44, exec_lo
	v_cmpx_ne_u32_e32 0x7f, v11
	s_cbranch_execz .LBB345_412
; %bb.411:                              ;   in Loop: Header=BB345_15 Depth=1
	v_and_b32_e32 v12, 7, v10
	v_lshrrev_b32_e32 v31, 3, v11
	v_cmp_gt_u32_e64 s1, 8, v11
	v_ffbh_u32_e32 v11, v12
	v_min_u32_e32 v11, 32, v11
	v_subrev_nc_u32_e32 v12, 28, v11
	v_sub_nc_u32_e32 v11, 29, v11
	v_cndmask_b32_e64 v31, v31, v11, s1
	v_cndmask_b32_e64 v11, 0, v12, s1
	v_lshl_add_u32 v31, v31, 23, 0x3c000000
	v_lshlrev_b64 v[11:12], v11, v[1:2]
	v_lshlrev_b32_e32 v12, 24, v1
	v_lshlrev_b32_e32 v11, 20, v11
	v_and_b32_e32 v12, 0x80000000, v12
	v_and_b32_e32 v11, 0x700000, v11
	v_or3_b32 v31, v11, v12, v31
.LBB345_412:                            ;   in Loop: Header=BB345_15 Depth=1
	s_or_b32 exec_lo, exec_lo, s44
.LBB345_413:                            ;   in Loop: Header=BB345_15 Depth=1
	s_or_b32 exec_lo, exec_lo, s43
.LBB345_414:                            ;   in Loop: Header=BB345_15 Depth=1
	s_or_b32 exec_lo, exec_lo, s42
	v_cmp_ne_u16_sdwa s1, v1, v2 src0_sel:BYTE_1 src1_sel:DWORD
	s_and_saveexec_b32 s42, s1
	s_cbranch_execz .LBB345_422
; %bb.415:                              ;   in Loop: Header=BB345_15 Depth=1
	v_cmp_ne_u16_sdwa s1, v1, v87 src0_sel:BYTE_1 src1_sel:DWORD
	v_bfrev_b32_e32 v30, 1
	s_and_saveexec_b32 s43, s1
	s_cbranch_execz .LBB345_421
; %bb.416:                              ;   in Loop: Header=BB345_15 Depth=1
	v_and_b32_sdwa v11, v88, v1 dst_sel:DWORD dst_unused:UNUSED_PAD src0_sel:DWORD src1_sel:BYTE_1
	v_mov_b32_e32 v30, 0x7f800001
	s_mov_b32 s44, exec_lo
	v_and_b32_e32 v32, 0x7f, v11
	v_cmpx_ne_u32_e32 0x7f, v32
	s_cbranch_execz .LBB345_420
; %bb.417:                              ;   in Loop: Header=BB345_15 Depth=1
	v_and_b32_e32 v11, 7, v11
	v_mov_b32_e32 v12, v2
	v_lshrrev_b32_e32 v30, 3, v32
	s_mov_b32 s45, exec_lo
	v_cmpx_gt_u32_e32 8, v32
; %bb.418:                              ;   in Loop: Header=BB345_15 Depth=1
	v_ffbh_u32_e32 v30, v11
	v_min_u32_e32 v30, 32, v30
	v_subrev_nc_u32_e32 v32, 28, v30
	v_sub_nc_u32_e32 v30, 29, v30
	v_lshlrev_b64 v[11:12], v32, v[11:12]
	v_and_b32_e32 v11, 7, v11
; %bb.419:                              ;   in Loop: Header=BB345_15 Depth=1
	s_or_b32 exec_lo, exec_lo, s45
	v_lshlrev_b32_e32 v1, 16, v1
	v_lshlrev_b32_e32 v11, 20, v11
	v_lshl_add_u32 v12, v30, 23, 0x3c000000
	v_and_b32_e32 v1, 0x80000000, v1
	v_or3_b32 v30, v11, v1, v12
.LBB345_420:                            ;   in Loop: Header=BB345_15 Depth=1
	s_or_b32 exec_lo, exec_lo, s44
.LBB345_421:                            ;   in Loop: Header=BB345_15 Depth=1
	s_or_b32 exec_lo, exec_lo, s43
.LBB345_422:                            ;   in Loop: Header=BB345_15 Depth=1
	s_or_b32 exec_lo, exec_lo, s42
	v_and_b32_sdwa v1, v10, v89 dst_sel:DWORD dst_unused:UNUSED_PAD src0_sel:WORD_1 src1_sel:DWORD
	v_mov_b32_e32 v34, 0
	v_mov_b32_e32 v35, 0
	s_mov_b32 s42, exec_lo
	v_cmpx_ne_u16_e32 0, v1
	s_cbranch_execz .LBB345_430
; %bb.423:                              ;   in Loop: Header=BB345_15 Depth=1
	v_bfrev_b32_e32 v35, 1
	s_mov_b32 s43, exec_lo
	v_cmpx_ne_u16_e32 0x80, v1
	s_cbranch_execz .LBB345_429
; %bb.424:                              ;   in Loop: Header=BB345_15 Depth=1
	v_bfe_u32 v12, v10, 16, 7
	v_mov_b32_e32 v35, 0x7f800001
	s_mov_b32 s44, exec_lo
	v_cmpx_ne_u32_e32 0x7f, v12
	s_cbranch_execz .LBB345_428
; %bb.425:                              ;   in Loop: Header=BB345_15 Depth=1
	v_and_b32_sdwa v1, v10, v90 dst_sel:DWORD dst_unused:UNUSED_PAD src0_sel:WORD_1 src1_sel:DWORD
	v_lshrrev_b32_e32 v11, 3, v12
	s_mov_b32 s45, exec_lo
	v_cmpx_gt_u32_e32 8, v12
; %bb.426:                              ;   in Loop: Header=BB345_15 Depth=1
	v_ffbh_u32_e32 v11, v1
	v_min_u32_e32 v11, 32, v11
	v_subrev_nc_u32_e32 v12, 28, v11
	v_sub_nc_u32_e32 v11, 29, v11
	v_lshlrev_b64 v[32:33], v12, v[1:2]
	v_and_b32_e32 v1, 7, v32
; %bb.427:                              ;   in Loop: Header=BB345_15 Depth=1
	s_or_b32 exec_lo, exec_lo, s45
	v_lshlrev_b32_sdwa v12, v91, v10 dst_sel:DWORD dst_unused:UNUSED_PAD src0_sel:DWORD src1_sel:WORD_1
	v_lshlrev_b32_e32 v1, 20, v1
	v_lshl_add_u32 v11, v11, 23, 0x3c000000
	v_and_b32_e32 v12, 0x80000000, v12
	v_or3_b32 v35, v1, v12, v11
.LBB345_428:                            ;   in Loop: Header=BB345_15 Depth=1
	s_or_b32 exec_lo, exec_lo, s44
.LBB345_429:                            ;   in Loop: Header=BB345_15 Depth=1
	s_or_b32 exec_lo, exec_lo, s43
.LBB345_430:                            ;   in Loop: Header=BB345_15 Depth=1
	s_or_b32 exec_lo, exec_lo, s42
	s_mov_b32 s42, exec_lo
	v_cmpx_lt_u64_e64 s[4:5], v[9:10]
	s_cbranch_execz .LBB345_438
; %bb.431:                              ;   in Loop: Header=BB345_15 Depth=1
	v_cmp_ne_u32_sdwa s1, v10, v87 src0_sel:BYTE_3 src1_sel:DWORD
	v_bfrev_b32_e32 v34, 1
	s_and_saveexec_b32 s43, s1
	s_cbranch_execz .LBB345_437
; %bb.432:                              ;   in Loop: Header=BB345_15 Depth=1
	v_bfe_u32 v11, v10, 24, 7
	v_mov_b32_e32 v34, 0x7f800001
	s_mov_b32 s44, exec_lo
	v_cmpx_ne_u32_e32 0x7f, v11
	s_cbranch_execz .LBB345_436
; %bb.433:                              ;   in Loop: Header=BB345_15 Depth=1
	v_and_b32_sdwa v1, v10, v90 dst_sel:DWORD dst_unused:UNUSED_PAD src0_sel:BYTE_3 src1_sel:DWORD
	v_lshrrev_b32_e32 v9, 3, v11
	s_mov_b32 s45, exec_lo
	v_cmpx_gt_u32_e32 8, v11
; %bb.434:                              ;   in Loop: Header=BB345_15 Depth=1
	v_ffbh_u32_e32 v9, v1
	v_min_u32_e32 v9, 32, v9
	v_subrev_nc_u32_e32 v11, 28, v9
	v_sub_nc_u32_e32 v9, 29, v9
	v_lshlrev_b64 v[11:12], v11, v[1:2]
	v_and_b32_e32 v1, 7, v11
; %bb.435:                              ;   in Loop: Header=BB345_15 Depth=1
	s_or_b32 exec_lo, exec_lo, s45
	v_lshlrev_b32_sdwa v10, v91, v10 dst_sel:DWORD dst_unused:UNUSED_PAD src0_sel:DWORD src1_sel:BYTE_3
	v_lshlrev_b32_e32 v1, 20, v1
	v_lshl_add_u32 v9, v9, 23, 0x3c000000
	v_and_b32_e32 v10, 0x80000000, v10
	v_or3_b32 v34, v1, v10, v9
.LBB345_436:                            ;   in Loop: Header=BB345_15 Depth=1
	s_or_b32 exec_lo, exec_lo, s44
.LBB345_437:                            ;   in Loop: Header=BB345_15 Depth=1
	s_or_b32 exec_lo, exec_lo, s43
.LBB345_438:                            ;   in Loop: Header=BB345_15 Depth=1
	s_or_b32 exec_lo, exec_lo, s42
	global_load_dwordx2 v[7:8], v[7:8], off offset:1544
	v_mov_b32_e32 v11, 0
	v_mov_b32_e32 v12, 0
	s_waitcnt vmcnt(0)
	v_cmp_ne_u16_sdwa s1, v7, v2 src0_sel:BYTE_0 src1_sel:DWORD
	s_and_saveexec_b32 s42, s1
	s_cbranch_execz .LBB345_444
; %bb.439:                              ;   in Loop: Header=BB345_15 Depth=1
	v_cmp_ne_u16_sdwa s1, v7, v87 src0_sel:BYTE_0 src1_sel:DWORD
	v_bfrev_b32_e32 v12, 1
	s_and_saveexec_b32 s43, s1
	s_cbranch_execz .LBB345_443
; %bb.440:                              ;   in Loop: Header=BB345_15 Depth=1
	v_and_b32_e32 v1, 0x7f, v7
	v_mov_b32_e32 v12, 0x7f800001
	s_mov_b32 s44, exec_lo
	v_cmpx_ne_u32_e32 0x7f, v1
	s_cbranch_execz .LBB345_442
; %bb.441:                              ;   in Loop: Header=BB345_15 Depth=1
	v_and_b32_e32 v9, 7, v7
	v_lshrrev_b32_e32 v10, 3, v1
	v_cmp_gt_u32_e64 s1, 8, v1
	v_ffbh_u32_e32 v1, v9
	v_min_u32_e32 v1, 32, v1
	v_subrev_nc_u32_e32 v9, 28, v1
	v_sub_nc_u32_e32 v1, 29, v1
	v_cndmask_b32_e64 v9, 0, v9, s1
	v_cndmask_b32_e64 v1, v10, v1, s1
	v_lshlrev_b64 v[9:10], v9, v[7:8]
	v_lshlrev_b32_e32 v10, 24, v7
	v_lshl_add_u32 v1, v1, 23, 0x3c000000
	v_lshlrev_b32_e32 v9, 20, v9
	v_and_b32_e32 v10, 0x80000000, v10
	v_and_b32_e32 v9, 0x700000, v9
	v_or3_b32 v12, v9, v10, v1
.LBB345_442:                            ;   in Loop: Header=BB345_15 Depth=1
	s_or_b32 exec_lo, exec_lo, s44
.LBB345_443:                            ;   in Loop: Header=BB345_15 Depth=1
	s_or_b32 exec_lo, exec_lo, s43
.LBB345_444:                            ;   in Loop: Header=BB345_15 Depth=1
	s_or_b32 exec_lo, exec_lo, s42
	v_cmp_ne_u16_sdwa s1, v7, v2 src0_sel:BYTE_1 src1_sel:DWORD
	s_and_saveexec_b32 s42, s1
	s_cbranch_execz .LBB345_452
; %bb.445:                              ;   in Loop: Header=BB345_15 Depth=1
	v_cmp_ne_u16_sdwa s1, v7, v87 src0_sel:BYTE_1 src1_sel:DWORD
	v_bfrev_b32_e32 v11, 1
	s_and_saveexec_b32 s43, s1
	s_cbranch_execz .LBB345_451
; %bb.446:                              ;   in Loop: Header=BB345_15 Depth=1
	v_and_b32_sdwa v1, v88, v7 dst_sel:DWORD dst_unused:UNUSED_PAD src0_sel:DWORD src1_sel:BYTE_1
	v_mov_b32_e32 v11, 0x7f800001
	s_mov_b32 s44, exec_lo
	v_and_b32_e32 v10, 0x7f, v1
	v_cmpx_ne_u32_e32 0x7f, v10
	s_cbranch_execz .LBB345_450
; %bb.447:                              ;   in Loop: Header=BB345_15 Depth=1
	v_and_b32_e32 v1, 7, v1
	v_lshrrev_b32_e32 v9, 3, v10
	s_mov_b32 s45, exec_lo
	v_cmpx_gt_u32_e32 8, v10
; %bb.448:                              ;   in Loop: Header=BB345_15 Depth=1
	v_ffbh_u32_e32 v9, v1
	v_min_u32_e32 v9, 32, v9
	v_subrev_nc_u32_e32 v10, 28, v9
	v_sub_nc_u32_e32 v9, 29, v9
	v_lshlrev_b64 v[10:11], v10, v[1:2]
	v_and_b32_e32 v1, 7, v10
; %bb.449:                              ;   in Loop: Header=BB345_15 Depth=1
	s_or_b32 exec_lo, exec_lo, s45
	v_lshlrev_b32_e32 v10, 16, v7
	v_lshlrev_b32_e32 v1, 20, v1
	v_lshl_add_u32 v9, v9, 23, 0x3c000000
	v_and_b32_e32 v10, 0x80000000, v10
	v_or3_b32 v11, v1, v10, v9
.LBB345_450:                            ;   in Loop: Header=BB345_15 Depth=1
	s_or_b32 exec_lo, exec_lo, s44
.LBB345_451:                            ;   in Loop: Header=BB345_15 Depth=1
	s_or_b32 exec_lo, exec_lo, s43
.LBB345_452:                            ;   in Loop: Header=BB345_15 Depth=1
	s_or_b32 exec_lo, exec_lo, s42
	v_and_b32_sdwa v1, v7, v89 dst_sel:DWORD dst_unused:UNUSED_PAD src0_sel:WORD_1 src1_sel:DWORD
	v_mov_b32_e32 v33, 0
	v_mov_b32_e32 v32, 0
	s_mov_b32 s42, exec_lo
	v_cmpx_ne_u16_e32 0, v1
	s_cbranch_execz .LBB345_460
; %bb.453:                              ;   in Loop: Header=BB345_15 Depth=1
	v_bfrev_b32_e32 v32, 1
	s_mov_b32 s43, exec_lo
	v_cmpx_ne_u16_e32 0x80, v1
	s_cbranch_execz .LBB345_459
; %bb.454:                              ;   in Loop: Header=BB345_15 Depth=1
	v_bfe_u32 v10, v7, 16, 7
	v_mov_b32_e32 v32, 0x7f800001
	s_mov_b32 s44, exec_lo
	v_cmpx_ne_u32_e32 0x7f, v10
	s_cbranch_execz .LBB345_458
; %bb.455:                              ;   in Loop: Header=BB345_15 Depth=1
	v_and_b32_sdwa v1, v7, v90 dst_sel:DWORD dst_unused:UNUSED_PAD src0_sel:WORD_1 src1_sel:DWORD
	v_lshrrev_b32_e32 v9, 3, v10
	s_mov_b32 s45, exec_lo
	v_cmpx_gt_u32_e32 8, v10
; %bb.456:                              ;   in Loop: Header=BB345_15 Depth=1
	v_ffbh_u32_e32 v9, v1
	v_min_u32_e32 v9, 32, v9
	v_subrev_nc_u32_e32 v10, 28, v9
	v_sub_nc_u32_e32 v9, 29, v9
	v_lshlrev_b64 v[36:37], v10, v[1:2]
	v_and_b32_e32 v1, 7, v36
; %bb.457:                              ;   in Loop: Header=BB345_15 Depth=1
	s_or_b32 exec_lo, exec_lo, s45
	v_lshlrev_b32_sdwa v10, v91, v7 dst_sel:DWORD dst_unused:UNUSED_PAD src0_sel:DWORD src1_sel:WORD_1
	v_lshlrev_b32_e32 v1, 20, v1
	v_lshl_add_u32 v9, v9, 23, 0x3c000000
	v_and_b32_e32 v10, 0x80000000, v10
	v_or3_b32 v32, v1, v10, v9
.LBB345_458:                            ;   in Loop: Header=BB345_15 Depth=1
	s_or_b32 exec_lo, exec_lo, s44
.LBB345_459:                            ;   in Loop: Header=BB345_15 Depth=1
	s_or_b32 exec_lo, exec_lo, s43
.LBB345_460:                            ;   in Loop: Header=BB345_15 Depth=1
	s_or_b32 exec_lo, exec_lo, s42
	s_mov_b32 s42, exec_lo
	v_cmpx_lt_u32_e32 0xffffff, v7
	s_cbranch_execz .LBB345_468
; %bb.461:                              ;   in Loop: Header=BB345_15 Depth=1
	v_cmp_ne_u32_sdwa s1, v7, v87 src0_sel:BYTE_3 src1_sel:DWORD
	v_bfrev_b32_e32 v33, 1
	s_and_saveexec_b32 s43, s1
	s_cbranch_execz .LBB345_467
; %bb.462:                              ;   in Loop: Header=BB345_15 Depth=1
	v_bfe_u32 v10, v7, 24, 7
	v_mov_b32_e32 v33, 0x7f800001
	s_mov_b32 s44, exec_lo
	v_cmpx_ne_u32_e32 0x7f, v10
	s_cbranch_execz .LBB345_466
; %bb.463:                              ;   in Loop: Header=BB345_15 Depth=1
	v_and_b32_sdwa v1, v7, v90 dst_sel:DWORD dst_unused:UNUSED_PAD src0_sel:BYTE_3 src1_sel:DWORD
	v_lshrrev_b32_e32 v9, 3, v10
	s_mov_b32 s45, exec_lo
	v_cmpx_gt_u32_e32 8, v10
; %bb.464:                              ;   in Loop: Header=BB345_15 Depth=1
	v_ffbh_u32_e32 v9, v1
	v_min_u32_e32 v9, 32, v9
	v_subrev_nc_u32_e32 v10, 28, v9
	v_sub_nc_u32_e32 v9, 29, v9
	v_lshlrev_b64 v[36:37], v10, v[1:2]
	v_and_b32_e32 v1, 7, v36
; %bb.465:                              ;   in Loop: Header=BB345_15 Depth=1
	s_or_b32 exec_lo, exec_lo, s45
	v_lshlrev_b32_sdwa v10, v91, v7 dst_sel:DWORD dst_unused:UNUSED_PAD src0_sel:DWORD src1_sel:BYTE_3
	v_lshlrev_b32_e32 v1, 20, v1
	v_lshl_add_u32 v9, v9, 23, 0x3c000000
	v_and_b32_e32 v10, 0x80000000, v10
	v_or3_b32 v33, v1, v10, v9
.LBB345_466:                            ;   in Loop: Header=BB345_15 Depth=1
	s_or_b32 exec_lo, exec_lo, s44
.LBB345_467:                            ;   in Loop: Header=BB345_15 Depth=1
	s_or_b32 exec_lo, exec_lo, s43
.LBB345_468:                            ;   in Loop: Header=BB345_15 Depth=1
	s_or_b32 exec_lo, exec_lo, s42
	v_mov_b32_e32 v1, v8
	v_cmp_ne_u16_sdwa s1, v8, v2 src0_sel:BYTE_0 src1_sel:DWORD
	v_mov_b32_e32 v36, 0
	v_mov_b32_e32 v37, 0
	s_and_saveexec_b32 s42, s1
	s_cbranch_execz .LBB345_474
; %bb.469:                              ;   in Loop: Header=BB345_15 Depth=1
	v_cmp_ne_u16_sdwa s1, v8, v87 src0_sel:BYTE_0 src1_sel:DWORD
	v_bfrev_b32_e32 v37, 1
	s_and_saveexec_b32 s43, s1
	s_cbranch_execz .LBB345_473
; %bb.470:                              ;   in Loop: Header=BB345_15 Depth=1
	v_and_b32_e32 v9, 0x7f, v8
	v_mov_b32_e32 v37, 0x7f800001
	s_mov_b32 s44, exec_lo
	v_cmpx_ne_u32_e32 0x7f, v9
	s_cbranch_execz .LBB345_472
; %bb.471:                              ;   in Loop: Header=BB345_15 Depth=1
	v_and_b32_e32 v10, 7, v8
	v_lshrrev_b32_e32 v37, 3, v9
	v_cmp_gt_u32_e64 s1, 8, v9
	v_ffbh_u32_e32 v9, v10
	v_min_u32_e32 v9, 32, v9
	v_subrev_nc_u32_e32 v10, 28, v9
	v_sub_nc_u32_e32 v9, 29, v9
	v_cndmask_b32_e64 v37, v37, v9, s1
	v_cndmask_b32_e64 v9, 0, v10, s1
	v_lshl_add_u32 v37, v37, 23, 0x3c000000
	v_lshlrev_b64 v[9:10], v9, v[1:2]
	v_lshlrev_b32_e32 v10, 24, v1
	v_lshlrev_b32_e32 v9, 20, v9
	v_and_b32_e32 v10, 0x80000000, v10
	v_and_b32_e32 v9, 0x700000, v9
	v_or3_b32 v37, v9, v10, v37
.LBB345_472:                            ;   in Loop: Header=BB345_15 Depth=1
	s_or_b32 exec_lo, exec_lo, s44
.LBB345_473:                            ;   in Loop: Header=BB345_15 Depth=1
	s_or_b32 exec_lo, exec_lo, s43
.LBB345_474:                            ;   in Loop: Header=BB345_15 Depth=1
	s_or_b32 exec_lo, exec_lo, s42
	v_cmp_ne_u16_sdwa s1, v1, v2 src0_sel:BYTE_1 src1_sel:DWORD
	s_and_saveexec_b32 s42, s1
	s_cbranch_execz .LBB345_482
; %bb.475:                              ;   in Loop: Header=BB345_15 Depth=1
	v_cmp_ne_u16_sdwa s1, v1, v87 src0_sel:BYTE_1 src1_sel:DWORD
	v_bfrev_b32_e32 v36, 1
	s_and_saveexec_b32 s43, s1
	s_cbranch_execz .LBB345_481
; %bb.476:                              ;   in Loop: Header=BB345_15 Depth=1
	v_and_b32_sdwa v9, v88, v1 dst_sel:DWORD dst_unused:UNUSED_PAD src0_sel:DWORD src1_sel:BYTE_1
	v_mov_b32_e32 v36, 0x7f800001
	s_mov_b32 s44, exec_lo
	v_and_b32_e32 v38, 0x7f, v9
	v_cmpx_ne_u32_e32 0x7f, v38
	s_cbranch_execz .LBB345_480
; %bb.477:                              ;   in Loop: Header=BB345_15 Depth=1
	v_and_b32_e32 v9, 7, v9
	v_mov_b32_e32 v10, v2
	v_lshrrev_b32_e32 v36, 3, v38
	s_mov_b32 s45, exec_lo
	v_cmpx_gt_u32_e32 8, v38
; %bb.478:                              ;   in Loop: Header=BB345_15 Depth=1
	v_ffbh_u32_e32 v36, v9
	v_min_u32_e32 v36, 32, v36
	v_subrev_nc_u32_e32 v38, 28, v36
	v_sub_nc_u32_e32 v36, 29, v36
	v_lshlrev_b64 v[9:10], v38, v[9:10]
	v_and_b32_e32 v9, 7, v9
; %bb.479:                              ;   in Loop: Header=BB345_15 Depth=1
	s_or_b32 exec_lo, exec_lo, s45
	v_lshlrev_b32_e32 v1, 16, v1
	v_lshlrev_b32_e32 v9, 20, v9
	v_lshl_add_u32 v10, v36, 23, 0x3c000000
	v_and_b32_e32 v1, 0x80000000, v1
	v_or3_b32 v36, v9, v1, v10
.LBB345_480:                            ;   in Loop: Header=BB345_15 Depth=1
	s_or_b32 exec_lo, exec_lo, s44
.LBB345_481:                            ;   in Loop: Header=BB345_15 Depth=1
	s_or_b32 exec_lo, exec_lo, s43
.LBB345_482:                            ;   in Loop: Header=BB345_15 Depth=1
	s_or_b32 exec_lo, exec_lo, s42
	v_and_b32_sdwa v1, v8, v89 dst_sel:DWORD dst_unused:UNUSED_PAD src0_sel:WORD_1 src1_sel:DWORD
	v_mov_b32_e32 v38, 0
	v_mov_b32_e32 v39, 0
	s_mov_b32 s42, exec_lo
	v_cmpx_ne_u16_e32 0, v1
	s_cbranch_execz .LBB345_490
; %bb.483:                              ;   in Loop: Header=BB345_15 Depth=1
	v_bfrev_b32_e32 v39, 1
	s_mov_b32 s43, exec_lo
	v_cmpx_ne_u16_e32 0x80, v1
	s_cbranch_execz .LBB345_489
; %bb.484:                              ;   in Loop: Header=BB345_15 Depth=1
	v_bfe_u32 v10, v8, 16, 7
	v_mov_b32_e32 v39, 0x7f800001
	s_mov_b32 s44, exec_lo
	v_cmpx_ne_u32_e32 0x7f, v10
	s_cbranch_execz .LBB345_488
; %bb.485:                              ;   in Loop: Header=BB345_15 Depth=1
	v_and_b32_sdwa v1, v8, v90 dst_sel:DWORD dst_unused:UNUSED_PAD src0_sel:WORD_1 src1_sel:DWORD
	v_lshrrev_b32_e32 v9, 3, v10
	s_mov_b32 s45, exec_lo
	v_cmpx_gt_u32_e32 8, v10
; %bb.486:                              ;   in Loop: Header=BB345_15 Depth=1
	v_ffbh_u32_e32 v9, v1
	v_min_u32_e32 v9, 32, v9
	v_subrev_nc_u32_e32 v10, 28, v9
	v_sub_nc_u32_e32 v9, 29, v9
	v_lshlrev_b64 v[39:40], v10, v[1:2]
	v_and_b32_e32 v1, 7, v39
; %bb.487:                              ;   in Loop: Header=BB345_15 Depth=1
	s_or_b32 exec_lo, exec_lo, s45
	v_lshlrev_b32_sdwa v10, v91, v8 dst_sel:DWORD dst_unused:UNUSED_PAD src0_sel:DWORD src1_sel:WORD_1
	v_lshlrev_b32_e32 v1, 20, v1
	v_lshl_add_u32 v9, v9, 23, 0x3c000000
	v_and_b32_e32 v10, 0x80000000, v10
	v_or3_b32 v39, v1, v10, v9
.LBB345_488:                            ;   in Loop: Header=BB345_15 Depth=1
	s_or_b32 exec_lo, exec_lo, s44
.LBB345_489:                            ;   in Loop: Header=BB345_15 Depth=1
	s_or_b32 exec_lo, exec_lo, s43
.LBB345_490:                            ;   in Loop: Header=BB345_15 Depth=1
	s_or_b32 exec_lo, exec_lo, s42
	s_mov_b32 s42, exec_lo
	v_cmpx_lt_u64_e64 s[4:5], v[7:8]
	s_cbranch_execz .LBB345_13
; %bb.491:                              ;   in Loop: Header=BB345_15 Depth=1
	v_cmp_ne_u32_sdwa s1, v8, v87 src0_sel:BYTE_3 src1_sel:DWORD
	v_bfrev_b32_e32 v38, 1
	s_and_saveexec_b32 s43, s1
	s_cbranch_execz .LBB345_12
; %bb.492:                              ;   in Loop: Header=BB345_15 Depth=1
	v_bfe_u32 v9, v8, 24, 7
	v_mov_b32_e32 v38, 0x7f800001
	s_mov_b32 s44, exec_lo
	v_cmpx_ne_u32_e32 0x7f, v9
	s_cbranch_execz .LBB345_11
; %bb.493:                              ;   in Loop: Header=BB345_15 Depth=1
	v_and_b32_sdwa v1, v8, v90 dst_sel:DWORD dst_unused:UNUSED_PAD src0_sel:BYTE_3 src1_sel:DWORD
	v_lshrrev_b32_e32 v7, 3, v9
	s_mov_b32 s45, exec_lo
	v_cmpx_gt_u32_e32 8, v9
	s_cbranch_execz .LBB345_10
; %bb.494:                              ;   in Loop: Header=BB345_15 Depth=1
	v_ffbh_u32_e32 v7, v1
	v_min_u32_e32 v7, 32, v7
	v_subrev_nc_u32_e32 v9, 28, v7
	v_sub_nc_u32_e32 v7, 29, v7
	v_lshlrev_b64 v[9:10], v9, v[1:2]
	v_and_b32_e32 v1, 7, v9
	s_branch .LBB345_10
.LBB345_495:
	s_or_b32 exec_lo, exec_lo, s40
	s_clause 0x3
	buffer_load_dword v22, off, s[48:51], 0 offset:96
	buffer_load_dword v92, off, s[48:51], 0 offset:100
	;; [unrolled: 1-line block ×4, first 2 shown]
.LBB345_496:
	s_or_b32 exec_lo, exec_lo, s36
	v_mbcnt_lo_u32_b32 v1, -1, 0
	v_max_f32_e32 v4, v83, v83
	v_xor_b32_e32 v0, 16, v1
	v_xor_b32_e32 v3, 8, v1
	v_cmp_gt_i32_e32 vcc_lo, 32, v0
	v_cndmask_b32_e32 v0, v1, v0, vcc_lo
	v_cmp_gt_i32_e32 vcc_lo, 32, v3
	v_lshlrev_b32_e32 v0, 2, v0
	v_cndmask_b32_e32 v3, v1, v3, vcc_lo
	ds_bpermute_b32 v2, v0, v83
	s_waitcnt lgkmcnt(0)
	v_max_f32_e32 v5, v2, v2
	v_lshlrev_b32_e32 v2, 2, v3
	v_max_f32_e32 v4, v4, v5
	v_xor_b32_e32 v5, 4, v1
	ds_bpermute_b32 v3, v2, v4
	v_cmp_gt_i32_e32 vcc_lo, 32, v5
	v_cndmask_b32_e32 v5, v1, v5, vcc_lo
	s_waitcnt lgkmcnt(0)
	v_max_f32_e32 v6, v3, v3
	v_lshlrev_b32_e32 v3, 2, v5
	v_max_f32_e32 v4, v4, v6
	v_xor_b32_e32 v6, 2, v1
	ds_bpermute_b32 v5, v3, v4
	v_cmp_gt_i32_e32 vcc_lo, 32, v6
	v_cndmask_b32_e32 v6, v1, v6, vcc_lo
	v_lshlrev_b32_e32 v25, 2, v6
	v_xor_b32_e32 v6, 1, v1
	v_cmp_gt_i32_e32 vcc_lo, 32, v6
	s_waitcnt lgkmcnt(0)
	v_max_f32_e32 v5, v5, v5
	v_cndmask_b32_e32 v6, v1, v6, vcc_lo
	v_max_f32_e32 v4, v4, v5
	v_lshlrev_b32_e32 v24, 2, v6
	ds_bpermute_b32 v5, v25, v4
	s_waitcnt lgkmcnt(0)
	v_max_f32_e32 v5, v5, v5
	v_max_f32_e32 v1, v4, v5
	buffer_load_dword v4, off, s[48:51], 0  ; 4-byte Folded Reload
	ds_bpermute_b32 v5, v24, v1
	s_waitcnt vmcnt(0)
	v_cmp_eq_u32_e32 vcc_lo, 0, v4
	v_lshlrev_b32_e32 v4, 2, v92
	s_and_saveexec_b32 s1, vcc_lo
	s_cbranch_execz .LBB345_498
; %bb.497:
	s_waitcnt lgkmcnt(0)
	v_max_f32_e32 v5, v5, v5
	v_max_f32_e32 v1, v1, v1
	;; [unrolled: 1-line block ×3, first 2 shown]
	ds_write_b32 v4, v1 offset:128
.LBB345_498:
	s_or_b32 exec_lo, exec_lo, s1
	buffer_load_dword v1, off, s[48:51], 0  ; 4-byte Folded Reload
	s_waitcnt vmcnt(0) lgkmcnt(0)
	s_waitcnt_vscnt null, 0x0
	s_barrier
	buffer_gl0_inv
	v_cmp_gt_u32_e64 s1, 4, v1
	v_mov_b32_e32 v1, 0xff7fffff
	s_and_saveexec_b32 s2, s1
; %bb.499:
	ds_read_b32 v1, v26 offset:128
; %bb.500:
	s_or_b32 exec_lo, exec_lo, s2
	s_waitcnt lgkmcnt(0)
	ds_bpermute_b32 v5, v25, v1
	v_max_f32_e32 v1, v1, v1
	s_lshl_b32 s2, s20, 5
	s_min_i32 s4, s2, s33
	v_cmp_gt_i32_e64 s2, s4, v22
	s_waitcnt lgkmcnt(0)
	v_max_f32_e32 v5, v5, v5
	v_max_f32_e32 v1, v1, v5
	ds_bpermute_b32 v5, v24, v1
	s_waitcnt lgkmcnt(0)
	v_max_f32_e32 v5, v5, v5
	v_max_f32_e32 v1, v1, v5
	v_mov_b32_e32 v5, 0
	ds_bpermute_b32 v6, v5, v1
	v_lshl_add_u32 v1, v22, 2, 0xa0
	s_and_saveexec_b32 s5, s2
	s_cbranch_execz .LBB345_504
; %bb.501:
	v_lshl_add_u32 v7, v22, 2, 0xa0
	v_mov_b32_e32 v5, 0
	v_mov_b32_e32 v8, v22
	s_mov_b32 s12, 0
	.p2align	6
.LBB345_502:                            ; =>This Inner Loop Header: Depth=1
	ds_read_b32 v9, v7
	v_add_nc_u32_e32 v8, 0x80, v8
	v_cmp_le_i32_e64 s3, s4, v8
	s_or_b32 s12, s3, s12
	s_waitcnt lgkmcnt(0)
	v_sub_f32_e32 v9, v9, v6
	v_mul_f32_e32 v9, 0x3fb8aa3b, v9
	v_exp_f32_e32 v9, v9
	ds_write_b32 v7, v9
	v_add_f32_e32 v5, v5, v9
	v_add_nc_u32_e32 v7, 0x200, v7
	s_andn2_b32 exec_lo, exec_lo, s12
	s_cbranch_execnz .LBB345_502
; %bb.503:
	s_or_b32 exec_lo, exec_lo, s12
.LBB345_504:
	s_or_b32 exec_lo, exec_lo, s5
	ds_bpermute_b32 v0, v0, v5
	s_waitcnt lgkmcnt(0)
	v_add_f32_e32 v0, v5, v0
	ds_bpermute_b32 v2, v2, v0
	s_waitcnt lgkmcnt(0)
	v_add_f32_e32 v0, v0, v2
	;; [unrolled: 3-line block ×5, first 2 shown]
	s_and_saveexec_b32 s3, vcc_lo
; %bb.505:
	ds_write_b32 v4, v0 offset:144
; %bb.506:
	s_or_b32 exec_lo, exec_lo, s3
	s_waitcnt lgkmcnt(0)
	s_barrier
	buffer_gl0_inv
	s_and_saveexec_b32 s3, s1
; %bb.507:
	ds_read_b32 v0, v26 offset:144
; %bb.508:
	s_or_b32 exec_lo, exec_lo, s3
	s_waitcnt lgkmcnt(0)
	ds_bpermute_b32 v2, v25, v0
	s_waitcnt lgkmcnt(0)
	v_add_f32_e32 v0, v0, v2
	ds_bpermute_b32 v2, v24, v0
	s_waitcnt lgkmcnt(0)
	v_add_f32_e32 v0, v0, v2
	v_mov_b32_e32 v2, 0
	ds_bpermute_b32 v0, v2, v0
	s_and_saveexec_b32 s1, s2
	s_cbranch_execz .LBB345_511
; %bb.509:
	s_waitcnt lgkmcnt(0)
	v_add_f32_e32 v0, 0x358637bd, v0
	s_mov_b32 s2, 0
	v_div_scale_f32 v2, null, v0, v0, 1.0
	v_div_scale_f32 v5, vcc_lo, 1.0, v0, 1.0
	v_rcp_f32_e32 v3, v2
	v_fma_f32 v4, -v2, v3, 1.0
	v_fmac_f32_e32 v3, v4, v3
	v_mul_f32_e32 v4, v5, v3
	v_fma_f32 v6, -v2, v4, v5
	v_fmac_f32_e32 v4, v6, v3
	v_fma_f32 v2, -v2, v4, v5
	v_div_fmas_f32 v2, v2, v3, v4
	v_div_fixup_f32 v0, v2, v0, 1.0
	v_mov_b32_e32 v2, v22
.LBB345_510:                            ; =>This Inner Loop Header: Depth=1
	ds_read_b32 v3, v1
	v_add_nc_u32_e32 v2, 0x80, v2
	v_cmp_le_i32_e32 vcc_lo, s4, v2
	s_or_b32 s2, vcc_lo, s2
	s_waitcnt lgkmcnt(0)
	v_mul_f32_e32 v3, v0, v3
	ds_write_b32 v1, v3
	v_add_nc_u32_e32 v1, 0x200, v1
	s_andn2_b32 exec_lo, exec_lo, s2
	s_cbranch_execnz .LBB345_510
.LBB345_511:
	s_or_b32 exec_lo, exec_lo, s1
	v_mov_b32_e32 v34, 0
	v_and_b32_e32 v26, 3, v22
	v_mov_b32_e32 v33, 0
	v_mov_b32_e32 v32, 0
	;; [unrolled: 1-line block ×7, first 2 shown]
	s_waitcnt lgkmcnt(0)
	s_barrier
	buffer_gl0_inv
	s_and_saveexec_b32 s1, s0
	s_cbranch_execz .LBB345_1013
; %bb.512:
	s_sub_i32 s4, s34, s21
	s_ashr_i32 s0, s18, 31
	s_add_u32 s18, s30, s18
	s_addc_u32 s0, s31, s0
	s_abs_i32 s5, s22
	v_lshlrev_b32_e32 v1, 3, v22
	v_cvt_f32_u32_e32 v0, s5
	s_sub_i32 s2, 0, s5
	v_lshlrev_b32_e32 v3, 5, v26
	v_and_b32_e32 v2, 0x7c, v35
	s_add_i32 s13, s20, -1
	v_rcp_iflag_f32_e32 v0, v0
	v_and_b32_e32 v40, 24, v1
	v_and_b32_e32 v1, 0xf8, v1
	v_lshl_or_b32 v3, v92, 7, v3
	v_mov_b32_e32 v113, v22
	v_mov_b32_e32 v10, 0
	;; [unrolled: 1-line block ×6, first 2 shown]
	v_mul_f32_e32 v0, 0x4f7ffffe, v0
	v_mov_b32_e32 v39, 24
	v_mov_b32_e32 v27, 0
	v_mov_b32_e32 v28, 0
	v_mov_b32_e32 v29, 0
	v_cvt_u32_f32_e32 v0, v0
	v_mov_b32_e32 v30, 0
	v_mov_b32_e32 v31, 0
	;; [unrolled: 1-line block ×4, first 2 shown]
	v_mul_lo_u32 v4, s2, v0
	s_lshl_b64 s[2:3], s[28:29], 2
	v_add_nc_u32_e32 v41, 0xa0, v3
	s_add_u32 s2, s26, s2
	s_addc_u32 s3, s27, s3
	v_add_co_u32 v11, s2, s2, v2
	v_add_co_ci_u32_e64 v12, null, s3, 0, s2
	v_mul_hi_u32 v4, v0, v4
	v_add_co_u32 v13, s2, s18, v1
	v_add_co_ci_u32_e64 v14, null, s0, 0, s2
	v_mov_b32_e32 v34, 0
	v_mov_b32_e32 v114, v92
	;; [unrolled: 1-line block ×3, first 2 shown]
	v_add_nc_u32_e32 v42, v0, v4
	s_mov_b32 s2, -1
	s_mov_b32 s12, s17
	s_mov_b32 s3, 0xffffff
	;; [unrolled: 1-line block ×3, first 2 shown]
	s_branch .LBB345_515
.LBB345_513:                            ;   in Loop: Header=BB345_515 Depth=1
	s_or_b32 exec_lo, exec_lo, s0
	v_bfe_u32 v52, v5, 16, 1
	v_or_b32_e32 v58, 0x400000, v5
	v_bfe_u32 v59, v6, 16, 1
	v_cmp_u_f32_e32 vcc_lo, v5, v5
	v_bfe_u32 v60, v7, 16, 1
	v_add3_u32 v52, v52, v5, 0x7fff
	v_or_b32_e32 v61, 0x400000, v6
	v_add3_u32 v59, v59, v6, 0x7fff
	v_or_b32_e32 v62, 0x400000, v7
	v_add3_u32 v60, v60, v7, 0x7fff
	v_cndmask_b32_e32 v5, v52, v58, vcc_lo
	v_cmp_u_f32_e32 vcc_lo, v6, v6
	v_bfe_u32 v52, v8, 16, 1
	v_bfe_u32 v58, v1, 16, 1
	v_lshlrev_b32_e32 v20, 16, v20
	v_and_b32_e32 v5, 0xffff0000, v5
	v_cndmask_b32_e32 v6, v59, v61, vcc_lo
	v_cmp_u_f32_e32 vcc_lo, v7, v7
	v_add3_u32 v52, v52, v8, 0x7fff
	v_or_b32_e32 v59, 0x400000, v8
	v_add3_u32 v58, v58, v1, 0x7fff
	v_bfe_u32 v61, v2, 16, 1
	v_cndmask_b32_e32 v7, v60, v62, vcc_lo
	v_cmp_u_f32_e32 vcc_lo, v8, v8
	v_or_b32_e32 v60, 0x400000, v1
	v_lshlrev_b32_e32 v0, 16, v0
	v_lshlrev_b32_e32 v21, 16, v21
	v_and_b32_e32 v7, 0xffff0000, v7
	v_cndmask_b32_e32 v8, v52, v59, vcc_lo
	v_cmp_u_f32_e32 vcc_lo, v1, v1
	v_or_b32_e32 v59, 0x400000, v2
	v_and_b32_e32 v1, 0xffff0000, v6
	v_lshlrev_b32_e32 v6, 16, v105
	v_lshlrev_b32_e32 v22, 16, v22
	v_cndmask_b32_e32 v52, v58, v60, vcc_lo
	v_add3_u32 v58, v61, v2, 0x7fff
	v_bfe_u32 v60, v3, 16, 1
	v_cmp_u_f32_e32 vcc_lo, v2, v2
	v_mul_f32_e32 v6, v1, v6
	v_lshlrev_b32_e32 v61, 16, v104
	v_lshlrev_b32_e32 v84, 16, v84
	v_add3_u32 v2, v60, v3, 0x7fff
	v_cndmask_b32_e32 v58, v58, v59, vcc_lo
	v_or_b32_e32 v59, 0x400000, v3
	v_bfe_u32 v60, v4, 16, 1
	v_cmp_u_f32_e32 vcc_lo, v3, v3
	v_bfe_u32 v62, v6, 16, 1
	v_mul_f32_e32 v61, v5, v61
	v_lshlrev_b32_e32 v86, 16, v86
	v_add3_u32 v3, v60, v4, 0x7fff
	v_cndmask_b32_e32 v59, v2, v59, vcc_lo
	v_or_b32_e32 v60, 0x400000, v4
	v_and_b32_e32 v2, 0xffff0000, v8
	v_lshlrev_b32_e32 v8, 16, v102
	v_cmp_u_f32_e32 vcc_lo, v4, v4
	v_lshlrev_b32_e32 v56, 16, v56
	v_lshlrev_b32_e32 v53, 16, v53
	v_lshlrev_b32_e32 v54, 16, v54
	v_mul_f32_e32 v63, v2, v8
	v_cndmask_b32_e32 v4, v3, v60, vcc_lo
	v_add3_u32 v3, v62, v6, 0x7fff
	v_or_b32_e32 v60, 0x400000, v6
	v_bfe_u32 v62, v61, 16, 1
	v_lshlrev_b32_e32 v8, 16, v103
	v_cmp_u_f32_e32 vcc_lo, v6, v6
	v_bfe_u32 v64, v63, 16, 1
	v_and_b32_e32 v4, 0xffff0000, v4
	v_add3_u32 v6, v62, v61, 0x7fff
	v_or_b32_e32 v62, 0x400000, v61
	v_cndmask_b32_e32 v60, v3, v60, vcc_lo
	v_mul_f32_e32 v102, v7, v8
	v_and_b32_e32 v3, 0xffff0000, v58
	v_lshlrev_b32_e32 v8, 16, v97
	v_cmp_u_f32_e32 vcc_lo, v61, v61
	v_or_b32_e32 v61, 0x400000, v63
	v_and_b32_e32 v60, 0xffff0000, v60
	v_mul_f32_e32 v0, v3, v0
	v_mul_f32_e32 v56, v2, v56
	v_cndmask_b32_e32 v58, v6, v62, vcc_lo
	v_add3_u32 v6, v64, v63, 0x7fff
	v_bfe_u32 v62, v102, 16, 1
	v_mul_f32_e32 v64, v3, v8
	v_and_b32_e32 v8, 0xffff0000, v52
	v_cmp_u_f32_e32 vcc_lo, v63, v63
	v_lshlrev_b32_e32 v63, 16, v101
	v_and_b32_e32 v58, 0xffff0000, v58
	v_mul_f32_e32 v53, v3, v53
	v_mul_f32_e32 v20, v8, v20
	v_cndmask_b32_e32 v52, v6, v61, vcc_lo
	v_add3_u32 v6, v62, v102, 0x7fff
	v_or_b32_e32 v61, 0x400000, v102
	v_bfe_u32 v62, v64, 16, 1
	v_cmp_u_f32_e32 vcc_lo, v102, v102
	v_bfe_u32 v97, v20, 16, 1
	v_or_b32_e32 v101, 0x400000, v20
	v_mul_f32_e32 v63, v4, v63
	v_add3_u32 v62, v62, v64, 0x7fff
	v_cndmask_b32_e32 v61, v6, v61, vcc_lo
	v_and_b32_e32 v6, 0xffff0000, v59
	v_lshlrev_b32_e32 v59, 16, v100
	v_or_b32_e32 v100, 0x400000, v64
	v_cmp_u_f32_e32 vcc_lo, v64, v64
	v_add3_u32 v97, v97, v20, 0x7fff
	v_bfe_u32 v102, v63, 16, 1
	v_mul_f32_e32 v59, v6, v59
	v_and_b32_e32 v61, 0xffff0000, v61
	v_cndmask_b32_e32 v62, v62, v100, vcc_lo
	v_cmp_u_f32_e32 vcc_lo, v20, v20
	v_and_b32_e32 v52, 0xffff0000, v52
	v_add3_u32 v64, v102, v63, 0x7fff
	v_or_b32_e32 v100, 0x400000, v63
	v_add_f32_e32 v58, v58, v60
	v_cndmask_b32_e32 v20, v97, v101, vcc_lo
	v_bfe_u32 v97, v59, 16, 1
	v_or_b32_e32 v101, 0x400000, v59
	v_cmp_u_f32_e32 vcc_lo, v59, v59
	v_add_f32_e32 v52, v61, v52
	v_and_b32_e32 v20, 0xffff0000, v20
	v_add3_u32 v97, v97, v59, 0x7fff
	v_and_b32_e32 v60, 0xffff0000, v62
	v_mul_f32_e32 v21, v8, v21
	v_add_f32_e32 v52, v52, v58
	v_lshlrev_b32_e32 v58, 16, v96
	v_cndmask_b32_e32 v59, v97, v101, vcc_lo
	v_cmp_u_f32_e32 vcc_lo, v63, v63
	v_add_f32_e32 v20, v20, v60
	v_lshlrev_b32_e32 v60, 16, v95
	v_mul_f32_e32 v58, v1, v58
	v_and_b32_e32 v59, 0xffff0000, v59
	v_cndmask_b32_e32 v61, v64, v100, vcc_lo
	v_add_f32_e32 v20, v20, v52
	v_mul_f32_e32 v52, v5, v60
	v_lshlrev_b32_e32 v60, 16, v92
	v_lshlrev_b32_e32 v92, 16, v94
	v_and_b32_e32 v61, 0xffff0000, v61
	v_cmp_u_f32_e32 vcc_lo, v58, v58
	v_bfe_u32 v62, v52, 16, 1
	v_or_b32_e32 v63, 0x400000, v52
	v_mul_f32_e32 v22, v6, v22
	v_add_f32_e32 v59, v59, v61
	v_bfe_u32 v61, v58, 16, 1
	v_add3_u32 v62, v62, v52, 0x7fff
	v_mul_f32_e32 v84, v8, v84
	v_mul_f32_e32 v54, v8, v54
	v_add_f32_e32 v20, v59, v20
	v_mul_f32_e32 v59, v2, v60
	v_add3_u32 v60, v61, v58, 0x7fff
	v_or_b32_e32 v61, 0x400000, v58
	v_lshlrev_b32_e32 v57, 16, v57
	v_add_f32_e32 v28, v28, v20
	v_bfe_u32 v64, v59, 16, 1
	v_lshlrev_b32_e32 v55, 16, v55
	v_cndmask_b32_e32 v58, v60, v61, vcc_lo
	v_cmp_u_f32_e32 vcc_lo, v52, v52
	v_mul_f32_e32 v60, v7, v92
	v_add3_u32 v61, v64, v59, 0x7fff
	v_bfe_u32 v64, v0, 16, 1
	v_bfe_u32 v92, v21, 16, 1
	v_cndmask_b32_e32 v52, v62, v63, vcc_lo
	v_or_b32_e32 v62, 0x400000, v59
	v_bfe_u32 v63, v60, 16, 1
	v_cmp_u_f32_e32 vcc_lo, v59, v59
	v_and_b32_e32 v58, 0xffff0000, v58
	v_and_b32_e32 v52, 0xffff0000, v52
	v_mul_f32_e32 v57, v4, v57
	v_mul_f32_e32 v55, v6, v55
	v_cndmask_b32_e32 v59, v61, v62, vcc_lo
	v_add3_u32 v61, v63, v60, 0x7fff
	v_or_b32_e32 v62, 0x400000, v60
	v_lshlrev_b32_e32 v63, 16, v93
	v_cmp_u_f32_e32 vcc_lo, v60, v60
	v_and_b32_e32 v59, 0xffff0000, v59
	v_add_f32_e32 v52, v52, v58
	v_lshlrev_b32_e32 v51, 16, v51
	v_lshlrev_b32_e32 v50, 16, v50
	v_cndmask_b32_e32 v60, v61, v62, vcc_lo
	v_mul_f32_e32 v61, v4, v63
	v_add3_u32 v62, v64, v0, 0x7fff
	v_or_b32_e32 v63, 0x400000, v0
	v_cmp_u_f32_e32 vcc_lo, v0, v0
	v_add3_u32 v64, v92, v21, 0x7fff
	v_or_b32_e32 v92, 0x400000, v21
	v_bfe_u32 v93, v61, 16, 1
	v_and_b32_e32 v60, 0xffff0000, v60
	v_cndmask_b32_e32 v0, v62, v63, vcc_lo
	v_cmp_u_f32_e32 vcc_lo, v21, v21
	v_or_b32_e32 v63, 0x400000, v61
	v_add3_u32 v62, v93, v61, 0x7fff
	v_add_f32_e32 v58, v60, v59
	v_lshlrev_b32_e32 v59, 16, v91
	v_cndmask_b32_e32 v21, v64, v92, vcc_lo
	v_cmp_u_f32_e32 vcc_lo, v61, v61
	v_and_b32_e32 v0, 0xffff0000, v0
	v_add_f32_e32 v52, v58, v52
	v_mul_f32_e32 v58, v1, v59
	v_and_b32_e32 v21, 0xffff0000, v21
	v_cndmask_b32_e32 v61, v62, v63, vcc_lo
	v_bfe_u32 v62, v22, 16, 1
	v_cmp_u_f32_e32 vcc_lo, v22, v22
	v_bfe_u32 v59, v58, 16, 1
	v_add_f32_e32 v0, v21, v0
	v_lshlrev_b32_e32 v21, 16, v90
	v_add3_u32 v60, v62, v22, 0x7fff
	v_or_b32_e32 v62, 0x400000, v22
	v_add3_u32 v59, v59, v58, 0x7fff
	v_add_f32_e32 v0, v0, v52
	v_mul_f32_e32 v21, v5, v21
	v_lshlrev_b32_e32 v52, 16, v87
	v_cndmask_b32_e32 v22, v60, v62, vcc_lo
	v_or_b32_e32 v60, 0x400000, v58
	v_lshlrev_b32_e32 v63, 16, v89
	v_bfe_u32 v62, v21, 16, 1
	v_mul_f32_e32 v52, v2, v52
	v_cmp_u_f32_e32 vcc_lo, v58, v58
	v_lshlrev_b32_e32 v64, 16, v85
	v_mul_f32_e32 v63, v7, v63
	v_lshlrev_b32_e32 v85, 16, v88
	v_or_b32_e32 v87, 0x400000, v84
	v_cndmask_b32_e32 v58, v59, v60, vcc_lo
	v_add3_u32 v59, v62, v21, 0x7fff
	v_or_b32_e32 v60, 0x400000, v21
	v_bfe_u32 v62, v52, 16, 1
	v_cmp_u_f32_e32 vcc_lo, v21, v21
	v_mul_f32_e32 v64, v3, v64
	v_and_b32_e32 v58, 0xffff0000, v58
	v_and_b32_e32 v22, 0xffff0000, v22
	;; [unrolled: 1-line block ×3, first 2 shown]
	v_cndmask_b32_e32 v21, v59, v60, vcc_lo
	v_add3_u32 v59, v62, v52, 0x7fff
	v_or_b32_e32 v60, 0x400000, v52
	v_bfe_u32 v62, v63, 16, 1
	v_cmp_u_f32_e32 vcc_lo, v52, v52
	v_and_b32_e32 v21, 0xffff0000, v21
	v_add_f32_e32 v22, v22, v61
	v_lshlrev_b32_e32 v61, 16, v82
	v_mul_f32_e32 v51, v1, v51
	v_cndmask_b32_e32 v52, v59, v60, vcc_lo
	v_add3_u32 v59, v62, v63, 0x7fff
	v_or_b32_e32 v60, 0x400000, v63
	v_bfe_u32 v62, v64, 16, 1
	v_cmp_u_f32_e32 vcc_lo, v63, v63
	v_mul_f32_e32 v63, v4, v85
	v_mul_f32_e32 v85, v6, v86
	v_or_b32_e32 v86, 0x400000, v64
	v_add3_u32 v62, v62, v64, 0x7fff
	v_cndmask_b32_e32 v59, v59, v60, vcc_lo
	v_bfe_u32 v60, v84, 16, 1
	v_cmp_u_f32_e32 vcc_lo, v64, v64
	v_bfe_u32 v89, v85, 16, 1
	v_bfe_u32 v88, v63, 16, 1
	v_and_b32_e32 v59, 0xffff0000, v59
	v_add3_u32 v60, v60, v84, 0x7fff
	v_cndmask_b32_e32 v62, v62, v86, vcc_lo
	v_cmp_u_f32_e32 vcc_lo, v84, v84
	v_add3_u32 v84, v89, v85, 0x7fff
	v_or_b32_e32 v86, 0x400000, v85
	v_add3_u32 v64, v88, v63, 0x7fff
	v_and_b32_e32 v52, 0xffff0000, v52
	v_cndmask_b32_e32 v60, v60, v87, vcc_lo
	v_cmp_u_f32_e32 vcc_lo, v85, v85
	v_or_b32_e32 v87, 0x400000, v63
	v_add_f32_e32 v21, v21, v58
	v_add_f32_e32 v52, v59, v52
	v_and_b32_e32 v58, 0xffff0000, v60
	v_cndmask_b32_e32 v84, v84, v86, vcc_lo
	v_cmp_u_f32_e32 vcc_lo, v63, v63
	v_and_b32_e32 v59, 0xffff0000, v62
	v_add_f32_e32 v21, v52, v21
	v_add_f32_e32 v0, v22, v0
	v_mul_f32_e32 v22, v5, v61
	v_cndmask_b32_e32 v60, v64, v87, vcc_lo
	v_add_f32_e32 v52, v58, v59
	v_and_b32_e32 v58, 0xffff0000, v84
	v_add_f32_e32 v29, v29, v0
	v_bfe_u32 v0, v22, 16, 1
	v_and_b32_e32 v59, 0xffff0000, v60
	v_lshlrev_b32_e32 v60, 16, v83
	v_add_f32_e32 v21, v52, v21
	v_lshlrev_b32_e32 v62, 16, v80
	v_add3_u32 v0, v0, v22, 0x7fff
	v_add_f32_e32 v52, v58, v59
	v_mul_f32_e32 v58, v1, v60
	v_lshlrev_b32_e32 v60, 16, v81
	v_or_b32_e32 v59, 0x400000, v22
	v_lshlrev_b32_e32 v47, 16, v47
	v_add_f32_e32 v20, v52, v21
	v_bfe_u32 v21, v58, 16, 1
	v_lshlrev_b32_e32 v52, 16, v79
	v_cmp_u_f32_e32 vcc_lo, v58, v58
	v_mul_f32_e32 v50, v5, v50
	v_add_f32_e32 v30, v30, v20
	v_add3_u32 v20, v21, v58, 0x7fff
	v_or_b32_e32 v21, 0x400000, v58
	v_mul_f32_e32 v52, v2, v52
	v_lshlrev_b32_e32 v58, 16, v76
	v_mul_f32_e32 v47, v2, v47
	v_lshlrev_b32_e32 v49, 16, v49
	v_cndmask_b32_e32 v20, v20, v21, vcc_lo
	v_bfe_u32 v21, v52, 16, 1
	v_cmp_u_f32_e32 vcc_lo, v22, v22
	v_mul_f32_e32 v22, v7, v60
	v_lshlrev_b32_e32 v60, 16, v77
	v_mul_f32_e32 v58, v3, v58
	v_add3_u32 v21, v21, v52, 0x7fff
	v_cndmask_b32_e32 v0, v0, v59, vcc_lo
	v_or_b32_e32 v59, 0x400000, v52
	v_bfe_u32 v61, v22, 16, 1
	v_cmp_u_f32_e32 vcc_lo, v52, v52
	v_mul_f32_e32 v52, v8, v60
	v_or_b32_e32 v60, 0x400000, v22
	v_and_b32_e32 v0, 0xffff0000, v0
	v_and_b32_e32 v20, 0xffff0000, v20
	v_cndmask_b32_e32 v21, v21, v59, vcc_lo
	v_add3_u32 v59, v61, v22, 0x7fff
	v_bfe_u32 v61, v58, 16, 1
	v_bfe_u32 v63, v52, 16, 1
	v_cmp_u_f32_e32 vcc_lo, v22, v22
	v_or_b32_e32 v64, 0x400000, v52
	v_and_b32_e32 v21, 0xffff0000, v21
	v_add_f32_e32 v0, v0, v20
	v_lshlrev_b32_e32 v45, 16, v45
	v_cndmask_b32_e32 v22, v59, v60, vcc_lo
	v_add3_u32 v59, v61, v58, 0x7fff
	v_mul_f32_e32 v60, v4, v62
	v_or_b32_e32 v61, 0x400000, v58
	v_add3_u32 v62, v63, v52, 0x7fff
	v_lshlrev_b32_e32 v63, 16, v78
	v_cmp_u_f32_e32 vcc_lo, v58, v58
	v_bfe_u32 v76, v60, 16, 1
	v_and_b32_e32 v22, 0xffff0000, v22
	v_mul_f32_e32 v49, v7, v49
	v_mul_f32_e32 v45, v3, v45
	v_cndmask_b32_e32 v58, v59, v61, vcc_lo
	v_mul_f32_e32 v59, v6, v63
	v_cmp_u_f32_e32 vcc_lo, v52, v52
	v_add3_u32 v61, v76, v60, 0x7fff
	v_add_f32_e32 v20, v22, v21
	v_and_b32_e32 v22, 0xffff0000, v58
	v_bfe_u32 v63, v59, 16, 1
	v_cndmask_b32_e32 v52, v62, v64, vcc_lo
	v_or_b32_e32 v62, 0x400000, v60
	v_cmp_u_f32_e32 vcc_lo, v60, v60
	v_lshlrev_b32_e32 v58, 16, v74
	v_add_f32_e32 v0, v20, v0
	v_and_b32_e32 v21, 0xffff0000, v52
	v_lshlrev_b32_e32 v52, 16, v75
	v_cndmask_b32_e32 v60, v61, v62, vcc_lo
	v_add3_u32 v61, v63, v59, 0x7fff
	v_or_b32_e32 v62, 0x400000, v59
	v_cmp_u_f32_e32 vcc_lo, v59, v59
	v_mul_f32_e32 v52, v1, v52
	v_add_f32_e32 v20, v21, v22
	v_mul_f32_e32 v21, v5, v58
	v_and_b32_e32 v58, 0xffff0000, v60
	v_cndmask_b32_e32 v59, v61, v62, vcc_lo
	v_lshlrev_b32_e32 v61, 16, v71
	v_add_f32_e32 v0, v20, v0
	v_bfe_u32 v60, v21, 16, 1
	v_cmp_u_f32_e32 vcc_lo, v52, v52
	v_and_b32_e32 v22, 0xffff0000, v59
	v_bfe_u32 v59, v52, 16, 1
	v_lshlrev_b32_e32 v62, 16, v73
	v_lshlrev_b32_e32 v64, 16, v72
	v_lshlrev_b32_e32 v44, 16, v44
	v_add_f32_e32 v20, v22, v58
	v_add3_u32 v22, v59, v52, 0x7fff
	v_or_b32_e32 v58, 0x400000, v52
	v_add3_u32 v59, v60, v21, 0x7fff
	v_mul_f32_e32 v60, v2, v61
	v_or_b32_e32 v61, 0x400000, v21
	v_lshlrev_b32_e32 v48, 16, v48
	v_cndmask_b32_e32 v22, v22, v58, vcc_lo
	v_cmp_u_f32_e32 vcc_lo, v21, v21
	v_bfe_u32 v52, v60, 16, 1
	v_mul_f32_e32 v58, v7, v62
	v_lshlrev_b32_e32 v62, 16, v69
	v_and_b32_e32 v22, 0xffff0000, v22
	v_cndmask_b32_e32 v21, v59, v61, vcc_lo
	v_lshlrev_b32_e32 v59, 16, v68
	v_add3_u32 v52, v52, v60, 0x7fff
	v_or_b32_e32 v61, 0x400000, v60
	v_bfe_u32 v63, v58, 16, 1
	v_cmp_u_f32_e32 vcc_lo, v60, v60
	v_mul_f32_e32 v59, v3, v59
	v_mul_f32_e32 v60, v8, v62
	v_or_b32_e32 v62, 0x400000, v58
	v_and_b32_e32 v21, 0xffff0000, v21
	v_cndmask_b32_e32 v52, v52, v61, vcc_lo
	v_add3_u32 v61, v63, v58, 0x7fff
	v_bfe_u32 v63, v59, 16, 1
	v_bfe_u32 v68, v60, 16, 1
	v_cmp_u_f32_e32 vcc_lo, v58, v58
	v_or_b32_e32 v69, 0x400000, v60
	v_and_b32_e32 v52, 0xffff0000, v52
	v_add_f32_e32 v21, v21, v22
	v_mul_f32_e32 v44, v8, v44
	v_cndmask_b32_e32 v58, v61, v62, vcc_lo
	v_add3_u32 v61, v63, v59, 0x7fff
	v_mul_f32_e32 v62, v4, v64
	v_or_b32_e32 v63, 0x400000, v59
	v_add3_u32 v64, v68, v60, 0x7fff
	v_lshlrev_b32_e32 v68, 16, v70
	v_cmp_u_f32_e32 vcc_lo, v59, v59
	v_bfe_u32 v70, v62, 16, 1
	v_and_b32_e32 v58, 0xffff0000, v58
	v_mul_f32_e32 v48, v4, v48
	v_lshlrev_b32_e32 v46, 16, v46
	v_cndmask_b32_e32 v59, v61, v63, vcc_lo
	v_mul_f32_e32 v61, v6, v68
	v_cmp_u_f32_e32 vcc_lo, v60, v60
	v_add3_u32 v63, v70, v62, 0x7fff
	v_add_f32_e32 v22, v58, v52
	v_and_b32_e32 v58, 0xffff0000, v59
	v_bfe_u32 v68, v61, 16, 1
	v_cndmask_b32_e32 v60, v64, v69, vcc_lo
	v_or_b32_e32 v64, 0x400000, v62
	v_cmp_u_f32_e32 vcc_lo, v62, v62
	v_lshlrev_b32_e32 v59, 16, v67
	v_add_f32_e32 v21, v22, v21
	v_and_b32_e32 v52, 0xffff0000, v60
	v_mul_f32_e32 v46, v6, v46
	v_cndmask_b32_e32 v62, v63, v64, vcc_lo
	v_add3_u32 v63, v68, v61, 0x7fff
	v_or_b32_e32 v64, 0x400000, v61
	v_cmp_u_f32_e32 vcc_lo, v61, v61
	v_lshlrev_b32_e32 v61, 16, v66
	v_add_f32_e32 v22, v52, v58
	v_mul_f32_e32 v52, v1, v59
	v_lshlrev_b32_e32 v19, 16, v19
	v_cndmask_b32_e32 v60, v63, v64, vcc_lo
	v_mul_f32_e32 v59, v5, v61
	v_add_f32_e32 v21, v22, v21
	v_bfe_u32 v61, v52, 16, 1
	v_lshlrev_b32_e32 v64, 16, v65
	v_and_b32_e32 v58, 0xffff0000, v60
	v_and_b32_e32 v60, 0xffff0000, v62
	v_bfe_u32 v62, v59, 16, 1
	v_cmp_u_f32_e32 vcc_lo, v52, v52
	v_bfe_u32 v63, v56, 16, 1
	v_lshlrev_b32_e32 v16, 16, v16
	v_add_f32_e32 v22, v58, v60
	v_add3_u32 v58, v61, v52, 0x7fff
	v_or_b32_e32 v60, 0x400000, v52
	v_add3_u32 v61, v62, v59, 0x7fff
	v_or_b32_e32 v62, 0x400000, v59
	v_mul_f32_e32 v2, v2, v16
	v_lshlrev_b32_e32 v15, 16, v15
	v_cndmask_b32_e32 v52, v58, v60, vcc_lo
	v_cmp_u_f32_e32 vcc_lo, v59, v59
	v_mul_f32_e32 v59, v7, v64
	v_add3_u32 v60, v63, v56, 0x7fff
	v_bfe_u32 v63, v54, 16, 1
	v_bfe_u32 v64, v57, 16, 1
	v_cndmask_b32_e32 v58, v61, v62, vcc_lo
	v_or_b32_e32 v61, 0x400000, v56
	v_bfe_u32 v62, v59, 16, 1
	v_cmp_u_f32_e32 vcc_lo, v56, v56
	v_and_b32_e32 v52, 0xffff0000, v52
	v_and_b32_e32 v58, 0xffff0000, v58
	v_mul_f32_e32 v7, v7, v19
	v_mul_f32_e32 v8, v8, v15
	v_cndmask_b32_e32 v56, v60, v61, vcc_lo
	v_add3_u32 v60, v62, v59, 0x7fff
	v_or_b32_e32 v61, 0x400000, v59
	v_bfe_u32 v62, v53, 16, 1
	v_cmp_u_f32_e32 vcc_lo, v59, v59
	v_and_b32_e32 v56, 0xffff0000, v56
	v_add_f32_e32 v52, v58, v52
	v_lshlrev_b32_e32 v9, 16, v9
	v_lshlrev_b32_e32 v17, 16, v17
	v_cndmask_b32_e32 v59, v60, v61, vcc_lo
	v_add3_u32 v60, v62, v53, 0x7fff
	v_or_b32_e32 v61, 0x400000, v53
	v_cmp_u_f32_e32 vcc_lo, v53, v53
	v_add3_u32 v62, v63, v54, 0x7fff
	v_or_b32_e32 v63, 0x400000, v54
	v_and_b32_e32 v59, 0xffff0000, v59
	v_mul_f32_e32 v3, v3, v9
	v_cndmask_b32_e32 v53, v60, v61, vcc_lo
	v_cmp_u_f32_e32 vcc_lo, v54, v54
	v_add3_u32 v60, v64, v57, 0x7fff
	v_or_b32_e32 v61, 0x400000, v57
	v_add_f32_e32 v56, v59, v56
	v_and_b32_e32 v53, 0xffff0000, v53
	v_cndmask_b32_e32 v54, v62, v63, vcc_lo
	v_cmp_u_f32_e32 vcc_lo, v57, v57
	v_or_b32_e32 v59, 0x400000, v55
	v_add_f32_e32 v52, v56, v52
	v_lshlrev_b32_e32 v9, 16, v18
	v_and_b32_e32 v54, 0xffff0000, v54
	v_cndmask_b32_e32 v57, v60, v61, vcc_lo
	v_bfe_u32 v60, v55, 16, 1
	v_cmp_u_f32_e32 vcc_lo, v55, v55
	v_mul_f32_e32 v6, v6, v9
	v_add_f32_e32 v53, v54, v53
	v_and_b32_e32 v56, 0xffff0000, v57
	v_add3_u32 v58, v60, v55, 0x7fff
	v_bfe_u32 v55, v51, 16, 1
	v_bfe_u32 v57, v50, 16, 1
	v_add_f32_e32 v52, v53, v52
	v_mul_f32_e32 v4, v4, v17
	v_cndmask_b32_e32 v54, v58, v59, vcc_lo
	v_cmp_u_f32_e32 vcc_lo, v51, v51
	v_or_b32_e32 v58, 0x400000, v47
	v_or_b32_e32 v9, 0x400000, v8
	;; [unrolled: 1-line block ×3, first 2 shown]
	v_and_b32_e32 v53, 0xffff0000, v54
	v_add3_u32 v54, v55, v51, 0x7fff
	v_or_b32_e32 v55, 0x400000, v51
	v_bfe_u32 v18, v6, 16, 1
	v_add_f32_e32 v0, v20, v0
	v_cndmask_b32_e32 v51, v54, v55, vcc_lo
	v_bfe_u32 v54, v47, 16, 1
	v_add3_u32 v55, v57, v50, 0x7fff
	v_or_b32_e32 v57, 0x400000, v50
	v_cmp_u_f32_e32 vcc_lo, v50, v50
	v_and_b32_e32 v51, 0xffff0000, v51
	v_add3_u32 v54, v54, v47, 0x7fff
	v_add_f32_e32 v31, v31, v0
	v_cndmask_b32_e32 v50, v55, v57, vcc_lo
	v_bfe_u32 v55, v49, 16, 1
	v_cmp_u_f32_e32 vcc_lo, v47, v47
	v_or_b32_e32 v57, 0x400000, v49
	v_and_b32_e32 v50, 0xffff0000, v50
	v_add3_u32 v55, v55, v49, 0x7fff
	v_cndmask_b32_e32 v47, v54, v58, vcc_lo
	v_bfe_u32 v54, v45, 16, 1
	v_cmp_u_f32_e32 vcc_lo, v49, v49
	v_or_b32_e32 v58, 0x400000, v45
	v_add_f32_e32 v50, v50, v51
	v_and_b32_e32 v47, 0xffff0000, v47
	v_add3_u32 v54, v54, v45, 0x7fff
	v_cndmask_b32_e32 v49, v55, v57, vcc_lo
	v_bfe_u32 v55, v44, 16, 1
	v_cmp_u_f32_e32 vcc_lo, v45, v45
	v_bfe_u32 v57, v48, 16, 1
	v_and_b32_e32 v49, 0xffff0000, v49
	v_cndmask_b32_e32 v45, v54, v58, vcc_lo
	v_add3_u32 v54, v55, v44, 0x7fff
	v_or_b32_e32 v55, 0x400000, v44
	v_cmp_u_f32_e32 vcc_lo, v44, v44
	v_add3_u32 v57, v57, v48, 0x7fff
	v_or_b32_e32 v58, 0x400000, v48
	v_add_f32_e32 v47, v49, v47
	v_lshlrev_b32_e32 v49, 16, v98
	v_cndmask_b32_e32 v44, v54, v55, vcc_lo
	v_cmp_u_f32_e32 vcc_lo, v48, v48
	v_bfe_u32 v54, v46, 16, 1
	v_or_b32_e32 v55, 0x400000, v46
	v_and_b32_e32 v45, 0xffff0000, v45
	v_and_b32_e32 v44, 0xffff0000, v44
	v_cndmask_b32_e32 v48, v57, v58, vcc_lo
	v_lshlrev_b32_e32 v57, 16, v99
	v_add3_u32 v54, v54, v46, 0x7fff
	v_cmp_u_f32_e32 vcc_lo, v46, v46
	v_add_f32_e32 v47, v47, v50
	v_mul_f32_e32 v1, v1, v49
	v_mul_f32_e32 v5, v5, v57
	v_add_f32_e32 v44, v44, v45
	v_cndmask_b32_e32 v46, v54, v55, vcc_lo
	v_bfe_u32 v50, v5, 16, 1
	v_or_b32_e32 v49, 0x400000, v5
	v_and_b32_e32 v45, 0xffff0000, v46
	v_cmp_u_f32_e32 vcc_lo, v5, v5
	v_add3_u32 v46, v50, v5, 0x7fff
	v_bfe_u32 v50, v1, 16, 1
	v_cndmask_b32_e32 v5, v46, v49, vcc_lo
	v_add3_u32 v19, v50, v1, 0x7fff
	v_or_b32_e32 v46, 0x400000, v1
	v_bfe_u32 v49, v7, 16, 1
	v_cmp_u_f32_e32 vcc_lo, v1, v1
	v_and_b32_e32 v5, 0xffff0000, v5
	v_add3_u32 v16, v49, v7, 0x7fff
	v_cndmask_b32_e32 v1, v19, v46, vcc_lo
	v_or_b32_e32 v19, 0x400000, v7
	v_bfe_u32 v46, v2, 16, 1
	v_cmp_u_f32_e32 vcc_lo, v7, v7
	v_and_b32_e32 v1, 0xffff0000, v1
	v_add3_u32 v15, v46, v2, 0x7fff
	v_cndmask_b32_e32 v7, v16, v19, vcc_lo
	v_or_b32_e32 v16, 0x400000, v2
	v_bfe_u32 v19, v8, 16, 1
	v_cmp_u_f32_e32 vcc_lo, v2, v2
	v_add_f32_e32 v1, v5, v1
	v_and_b32_e32 v7, 0xffff0000, v7
	v_cndmask_b32_e32 v2, v15, v16, vcc_lo
	v_bfe_u32 v15, v3, 16, 1
	v_add3_u32 v16, v19, v8, 0x7fff
	v_cmp_u_f32_e32 vcc_lo, v8, v8
	v_bfe_u32 v19, v4, 16, 1
	v_and_b32_e32 v2, 0xffff0000, v2
	v_add3_u32 v15, v15, v3, 0x7fff
	v_cndmask_b32_e32 v8, v16, v9, vcc_lo
	v_cmp_u_f32_e32 vcc_lo, v3, v3
	v_or_b32_e32 v16, 0x400000, v4
	v_add3_u32 v9, v18, v6, 0x7fff
	v_add_f32_e32 v2, v7, v2
	v_and_b32_e32 v5, 0xffff0000, v8
	v_cndmask_b32_e32 v3, v15, v17, vcc_lo
	v_add3_u32 v15, v19, v4, 0x7fff
	v_cmp_u_f32_e32 vcc_lo, v4, v4
	v_or_b32_e32 v17, 0x400000, v6
	v_and_b32_e32 v7, 0xffff0000, v48
	v_and_b32_e32 v3, 0xffff0000, v3
	v_add_f32_e32 v1, v2, v1
	v_cndmask_b32_e32 v4, v15, v16, vcc_lo
	v_cmp_u_f32_e32 vcc_lo, v6, v6
	v_add_f32_e32 v7, v45, v7
	v_add_f32_e32 v2, v5, v3
	;; [unrolled: 1-line block ×3, first 2 shown]
	v_and_b32_e32 v3, 0xffff0000, v4
	v_cndmask_b32_e32 v6, v9, v17, vcc_lo
	v_add_f32_e32 v1, v2, v1
	v_and_b32_e32 v4, 0xffff0000, v6
	v_add_f32_e32 v6, v44, v47
	v_add_f32_e32 v2, v4, v3
	;; [unrolled: 1-line block ×10, first 2 shown]
.LBB345_514:                            ;   in Loop: Header=BB345_515 Depth=1
	s_or_b32 exec_lo, exec_lo, s18
	v_add_nc_u32_e32 v43, 4, v43
	v_add_co_u32 v11, s0, v11, 16
	v_add_co_ci_u32_e64 v12, null, 0, v12, s0
	v_cmp_le_i32_e32 vcc_lo, s20, v43
	v_add_nc_u32_e32 v23, 0x80, v23
	v_add_nc_u32_e32 v41, 0x200, v41
	s_or_b32 s17, vcc_lo, s17
	s_andn2_b32 exec_lo, exec_lo, s17
	s_cbranch_execz .LBB345_1012
.LBB345_515:                            ; =>This Inner Loop Header: Depth=1
	v_mul_hi_u32 v0, v23, s19
	v_mul_lo_u32 v1, v0, s16
	v_add_nc_u32_e32 v2, 1, v0
	v_sub_nc_u32_e32 v1, v23, v1
	v_subrev_nc_u32_e32 v3, s16, v1
	v_cmp_le_u32_e32 vcc_lo, s16, v1
	v_cndmask_b32_e32 v0, v0, v2, vcc_lo
	v_cndmask_b32_e32 v1, v1, v3, vcc_lo
	v_add_nc_u32_e32 v2, 1, v0
	v_cmp_le_u32_e32 vcc_lo, s16, v1
	v_cndmask_b32_e32 v0, v0, v2, vcc_lo
	v_xor_b32_e32 v0, s23, v0
	v_subrev_nc_u32_e32 v0, s23, v0
	v_add_nc_u32_e32 v1, s25, v0
	v_cmp_lt_i32_e64 s0, s4, v0
	v_sub_nc_u32_e32 v2, 0, v1
	v_max_i32_e32 v2, v1, v2
	v_ashrrev_i32_e32 v1, 31, v1
	v_mul_hi_u32 v3, v2, v42
	v_mul_lo_u32 v3, v3, s5
	v_sub_nc_u32_e32 v2, v2, v3
	v_subrev_nc_u32_e32 v3, s5, v2
	v_cmp_le_u32_e32 vcc_lo, s5, v2
	v_cndmask_b32_e32 v2, v2, v3, vcc_lo
	v_subrev_nc_u32_e32 v3, s5, v2
	v_cmp_le_u32_e32 vcc_lo, s5, v2
	v_cndmask_b32_e32 v2, v2, v3, vcc_lo
	v_xor_b32_e32 v2, v2, v1
	v_sub_nc_u32_e32 v1, v2, v1
	v_cmp_eq_u32_e32 vcc_lo, 0, v1
	s_or_b32 s0, vcc_lo, s0
	s_and_saveexec_b32 s18, s0
	s_cbranch_execz .LBB345_514
; %bb.516:                              ;   in Loop: Header=BB345_515 Depth=1
	global_load_dword v0, v[11:12], off
	v_mov_b32_e32 v21, 0
	s_waitcnt vmcnt(0)
	v_mad_i64_i32 v[15:16], null, v0, s12, v[13:14]
	v_mov_b32_e32 v0, 0
	global_load_dwordx2 v[17:18], v[15:16], off
	ds_read2_b64 v[5:8], v41 offset1:1
	ds_read2_b64 v[1:4], v41 offset0:2 offset1:3
	s_load_dword s21, s[14:15], 0x0
	s_waitcnt vmcnt(0)
	v_cmp_ne_u16_sdwa s22, v17, v10 src0_sel:BYTE_0 src1_sel:DWORD
	s_and_saveexec_b32 s0, s22
	s_cbranch_execz .LBB345_522
; %bb.517:                              ;   in Loop: Header=BB345_515 Depth=1
	v_cmp_ne_u16_sdwa s26, v17, v35 src0_sel:BYTE_0 src1_sel:DWORD
	v_bfrev_b32_e32 v0, 1
	s_and_saveexec_b32 s22, s26
	s_cbranch_execz .LBB345_521
; %bb.518:                              ;   in Loop: Header=BB345_515 Depth=1
	v_and_b32_e32 v9, 0x7f, v17
	v_mov_b32_e32 v0, 0x7f800001
	s_mov_b32 s26, exec_lo
	v_cmpx_ne_u32_e32 0x7f, v9
	s_cbranch_execz .LBB345_520
; %bb.519:                              ;   in Loop: Header=BB345_515 Depth=1
	v_and_b32_e32 v0, 7, v17
	v_cmp_gt_u32_e32 vcc_lo, 8, v9
	v_lshrrev_b32_e32 v19, 3, v9
	v_ffbh_u32_e32 v0, v0
	v_min_u32_e32 v0, 32, v0
	v_subrev_nc_u32_e32 v20, 28, v0
	v_sub_nc_u32_e32 v0, 29, v0
	v_cndmask_b32_e32 v9, 0, v20, vcc_lo
	v_cndmask_b32_e32 v0, v19, v0, vcc_lo
	v_lshlrev_b64 v[19:20], v9, v[17:18]
	v_lshlrev_b32_e32 v9, 24, v17
	v_lshl_add_u32 v0, v0, 23, 0x3c000000
	v_and_b32_e32 v9, 0x80000000, v9
	v_lshlrev_b32_e32 v19, 20, v19
	v_and_b32_e32 v19, 0x700000, v19
	v_or3_b32 v0, v19, v9, v0
.LBB345_520:                            ;   in Loop: Header=BB345_515 Depth=1
	s_or_b32 exec_lo, exec_lo, s26
.LBB345_521:                            ;   in Loop: Header=BB345_515 Depth=1
	s_or_b32 exec_lo, exec_lo, s22
.LBB345_522:                            ;   in Loop: Header=BB345_515 Depth=1
	s_or_b32 exec_lo, exec_lo, s0
	v_cmp_ne_u16_sdwa s22, v17, v10 src0_sel:BYTE_1 src1_sel:DWORD
	s_and_saveexec_b32 s0, s22
	s_cbranch_execz .LBB345_530
; %bb.523:                              ;   in Loop: Header=BB345_515 Depth=1
	v_cmp_ne_u16_sdwa s26, v17, v35 src0_sel:BYTE_1 src1_sel:DWORD
	v_bfrev_b32_e32 v21, 1
	s_and_saveexec_b32 s22, s26
	s_cbranch_execz .LBB345_529
; %bb.524:                              ;   in Loop: Header=BB345_515 Depth=1
	v_and_b32_sdwa v9, v36, v17 dst_sel:DWORD dst_unused:UNUSED_PAD src0_sel:DWORD src1_sel:BYTE_1
	v_mov_b32_e32 v21, 0x7f800001
	s_mov_b32 s26, exec_lo
	v_and_b32_e32 v20, 0x7f, v9
	v_cmpx_ne_u32_e32 0x7f, v20
	s_cbranch_execz .LBB345_528
; %bb.525:                              ;   in Loop: Header=BB345_515 Depth=1
	v_and_b32_e32 v9, 7, v9
	v_lshrrev_b32_e32 v19, 3, v20
	s_mov_b32 s27, exec_lo
	v_cmpx_gt_u32_e32 8, v20
; %bb.526:                              ;   in Loop: Header=BB345_515 Depth=1
	v_ffbh_u32_e32 v19, v9
	v_min_u32_e32 v19, 32, v19
	v_subrev_nc_u32_e32 v20, 28, v19
	v_sub_nc_u32_e32 v19, 29, v19
	v_lshlrev_b64 v[20:21], v20, v[9:10]
	v_and_b32_e32 v9, 7, v20
; %bb.527:                              ;   in Loop: Header=BB345_515 Depth=1
	s_or_b32 exec_lo, exec_lo, s27
	v_lshlrev_b32_e32 v20, 16, v17
	v_lshlrev_b32_e32 v9, 20, v9
	v_lshl_add_u32 v19, v19, 23, 0x3c000000
	v_and_b32_e32 v20, 0x80000000, v20
	v_or3_b32 v21, v9, v20, v19
.LBB345_528:                            ;   in Loop: Header=BB345_515 Depth=1
	s_or_b32 exec_lo, exec_lo, s26
.LBB345_529:                            ;   in Loop: Header=BB345_515 Depth=1
	s_or_b32 exec_lo, exec_lo, s22
.LBB345_530:                            ;   in Loop: Header=BB345_515 Depth=1
	s_or_b32 exec_lo, exec_lo, s0
	v_and_b32_sdwa v9, v17, v37 dst_sel:DWORD dst_unused:UNUSED_PAD src0_sel:WORD_1 src1_sel:DWORD
	v_mov_b32_e32 v44, 0
	v_mov_b32_e32 v22, 0
	s_mov_b32 s0, exec_lo
	v_cmpx_ne_u16_e32 0, v9
	s_cbranch_execz .LBB345_538
; %bb.531:                              ;   in Loop: Header=BB345_515 Depth=1
	v_bfrev_b32_e32 v22, 1
	s_mov_b32 s22, exec_lo
	v_cmpx_ne_u16_e32 0x80, v9
	s_cbranch_execz .LBB345_537
; %bb.532:                              ;   in Loop: Header=BB345_515 Depth=1
	v_bfe_u32 v20, v17, 16, 7
	v_mov_b32_e32 v22, 0x7f800001
	s_mov_b32 s26, exec_lo
	v_cmpx_ne_u32_e32 0x7f, v20
	s_cbranch_execz .LBB345_536
; %bb.533:                              ;   in Loop: Header=BB345_515 Depth=1
	v_and_b32_sdwa v9, v17, v38 dst_sel:DWORD dst_unused:UNUSED_PAD src0_sel:WORD_1 src1_sel:DWORD
	v_lshrrev_b32_e32 v19, 3, v20
	s_mov_b32 s27, exec_lo
	v_cmpx_gt_u32_e32 8, v20
; %bb.534:                              ;   in Loop: Header=BB345_515 Depth=1
	v_ffbh_u32_e32 v19, v9
	v_min_u32_e32 v19, 32, v19
	v_subrev_nc_u32_e32 v20, 28, v19
	v_sub_nc_u32_e32 v19, 29, v19
	v_lshlrev_b64 v[45:46], v20, v[9:10]
	v_and_b32_e32 v9, 7, v45
; %bb.535:                              ;   in Loop: Header=BB345_515 Depth=1
	s_or_b32 exec_lo, exec_lo, s27
	v_lshlrev_b32_sdwa v20, v39, v17 dst_sel:DWORD dst_unused:UNUSED_PAD src0_sel:DWORD src1_sel:WORD_1
	v_lshlrev_b32_e32 v9, 20, v9
	v_lshl_add_u32 v19, v19, 23, 0x3c000000
	v_and_b32_e32 v20, 0x80000000, v20
	v_or3_b32 v22, v9, v20, v19
.LBB345_536:                            ;   in Loop: Header=BB345_515 Depth=1
	s_or_b32 exec_lo, exec_lo, s26
.LBB345_537:                            ;   in Loop: Header=BB345_515 Depth=1
	s_or_b32 exec_lo, exec_lo, s22
.LBB345_538:                            ;   in Loop: Header=BB345_515 Depth=1
	s_or_b32 exec_lo, exec_lo, s0
	s_mov_b32 s0, exec_lo
	v_cmpx_lt_u32_e32 0xffffff, v17
	s_cbranch_execz .LBB345_546
; %bb.539:                              ;   in Loop: Header=BB345_515 Depth=1
	v_cmp_ne_u32_sdwa s26, v17, v35 src0_sel:BYTE_3 src1_sel:DWORD
	v_bfrev_b32_e32 v44, 1
	s_and_saveexec_b32 s22, s26
	s_cbranch_execz .LBB345_545
; %bb.540:                              ;   in Loop: Header=BB345_515 Depth=1
	v_bfe_u32 v20, v17, 24, 7
	v_mov_b32_e32 v44, 0x7f800001
	s_mov_b32 s26, exec_lo
	v_cmpx_ne_u32_e32 0x7f, v20
	s_cbranch_execz .LBB345_544
; %bb.541:                              ;   in Loop: Header=BB345_515 Depth=1
	v_and_b32_sdwa v9, v17, v38 dst_sel:DWORD dst_unused:UNUSED_PAD src0_sel:BYTE_3 src1_sel:DWORD
	v_lshrrev_b32_e32 v19, 3, v20
	s_mov_b32 s27, exec_lo
	v_cmpx_gt_u32_e32 8, v20
; %bb.542:                              ;   in Loop: Header=BB345_515 Depth=1
	v_ffbh_u32_e32 v19, v9
	v_min_u32_e32 v19, 32, v19
	v_subrev_nc_u32_e32 v20, 28, v19
	v_sub_nc_u32_e32 v19, 29, v19
	v_lshlrev_b64 v[44:45], v20, v[9:10]
	v_and_b32_e32 v9, 7, v44
; %bb.543:                              ;   in Loop: Header=BB345_515 Depth=1
	s_or_b32 exec_lo, exec_lo, s27
	v_lshlrev_b32_sdwa v20, v39, v17 dst_sel:DWORD dst_unused:UNUSED_PAD src0_sel:DWORD src1_sel:BYTE_3
	v_lshlrev_b32_e32 v9, 20, v9
	v_lshl_add_u32 v19, v19, 23, 0x3c000000
	v_and_b32_e32 v20, 0x80000000, v20
	v_or3_b32 v44, v9, v20, v19
.LBB345_544:                            ;   in Loop: Header=BB345_515 Depth=1
	s_or_b32 exec_lo, exec_lo, s26
.LBB345_545:                            ;   in Loop: Header=BB345_515 Depth=1
	s_or_b32 exec_lo, exec_lo, s22
.LBB345_546:                            ;   in Loop: Header=BB345_515 Depth=1
	s_or_b32 exec_lo, exec_lo, s0
	v_mov_b32_e32 v9, v18
	v_cmp_ne_u16_sdwa s22, v18, v10 src0_sel:BYTE_0 src1_sel:DWORD
	v_mov_b32_e32 v19, 0
	v_mov_b32_e32 v45, 0
	s_and_saveexec_b32 s0, s22
	s_cbranch_execz .LBB345_552
; %bb.547:                              ;   in Loop: Header=BB345_515 Depth=1
	v_cmp_ne_u16_sdwa s26, v18, v35 src0_sel:BYTE_0 src1_sel:DWORD
	v_bfrev_b32_e32 v45, 1
	s_and_saveexec_b32 s22, s26
	s_cbranch_execz .LBB345_551
; %bb.548:                              ;   in Loop: Header=BB345_515 Depth=1
	v_and_b32_e32 v20, 0x7f, v18
	v_mov_b32_e32 v45, 0x7f800001
	s_mov_b32 s26, exec_lo
	v_cmpx_ne_u32_e32 0x7f, v20
	s_cbranch_execz .LBB345_550
; %bb.549:                              ;   in Loop: Header=BB345_515 Depth=1
	v_and_b32_e32 v45, 7, v18
	v_lshrrev_b32_e32 v46, 3, v20
	v_cmp_gt_u32_e32 vcc_lo, 8, v20
	v_ffbh_u32_e32 v45, v45
	v_min_u32_e32 v45, 32, v45
	v_subrev_nc_u32_e32 v47, 28, v45
	v_sub_nc_u32_e32 v45, 29, v45
	v_cndmask_b32_e32 v20, v46, v45, vcc_lo
	v_cndmask_b32_e32 v45, 0, v47, vcc_lo
	v_lshl_add_u32 v20, v20, 23, 0x3c000000
	v_lshlrev_b64 v[45:46], v45, v[9:10]
	v_lshlrev_b32_e32 v46, 24, v9
	v_lshlrev_b32_e32 v45, 20, v45
	v_and_b32_e32 v46, 0x80000000, v46
	v_and_b32_e32 v45, 0x700000, v45
	v_or3_b32 v45, v45, v46, v20
.LBB345_550:                            ;   in Loop: Header=BB345_515 Depth=1
	s_or_b32 exec_lo, exec_lo, s26
.LBB345_551:                            ;   in Loop: Header=BB345_515 Depth=1
	s_or_b32 exec_lo, exec_lo, s22
.LBB345_552:                            ;   in Loop: Header=BB345_515 Depth=1
	s_or_b32 exec_lo, exec_lo, s0
	v_cmp_ne_u16_sdwa s22, v9, v10 src0_sel:BYTE_1 src1_sel:DWORD
	s_and_saveexec_b32 s0, s22
	s_cbranch_execz .LBB345_560
; %bb.553:                              ;   in Loop: Header=BB345_515 Depth=1
	v_cmp_ne_u16_sdwa s26, v9, v35 src0_sel:BYTE_1 src1_sel:DWORD
	v_bfrev_b32_e32 v19, 1
	s_and_saveexec_b32 s22, s26
	s_cbranch_execz .LBB345_559
; %bb.554:                              ;   in Loop: Header=BB345_515 Depth=1
	v_and_b32_sdwa v20, v36, v9 dst_sel:DWORD dst_unused:UNUSED_PAD src0_sel:DWORD src1_sel:BYTE_1
	v_mov_b32_e32 v19, 0x7f800001
	s_mov_b32 s26, exec_lo
	v_and_b32_e32 v47, 0x7f, v20
	v_cmpx_ne_u32_e32 0x7f, v47
	s_cbranch_execz .LBB345_558
; %bb.555:                              ;   in Loop: Header=BB345_515 Depth=1
	v_and_b32_e32 v19, 7, v20
	v_mov_b32_e32 v20, v10
	v_lshrrev_b32_e32 v46, 3, v47
	s_mov_b32 s27, exec_lo
	v_cmpx_gt_u32_e32 8, v47
; %bb.556:                              ;   in Loop: Header=BB345_515 Depth=1
	v_ffbh_u32_e32 v46, v19
	v_min_u32_e32 v46, 32, v46
	v_subrev_nc_u32_e32 v47, 28, v46
	v_sub_nc_u32_e32 v46, 29, v46
	v_lshlrev_b64 v[19:20], v47, v[19:20]
	v_and_b32_e32 v19, 7, v19
; %bb.557:                              ;   in Loop: Header=BB345_515 Depth=1
	s_or_b32 exec_lo, exec_lo, s27
	v_lshlrev_b32_e32 v9, 16, v9
	v_lshlrev_b32_e32 v19, 20, v19
	v_lshl_add_u32 v20, v46, 23, 0x3c000000
	v_and_b32_e32 v9, 0x80000000, v9
	v_or3_b32 v19, v19, v9, v20
.LBB345_558:                            ;   in Loop: Header=BB345_515 Depth=1
	s_or_b32 exec_lo, exec_lo, s26
.LBB345_559:                            ;   in Loop: Header=BB345_515 Depth=1
	s_or_b32 exec_lo, exec_lo, s22
.LBB345_560:                            ;   in Loop: Header=BB345_515 Depth=1
	s_or_b32 exec_lo, exec_lo, s0
	v_and_b32_sdwa v9, v18, v37 dst_sel:DWORD dst_unused:UNUSED_PAD src0_sel:WORD_1 src1_sel:DWORD
	v_mov_b32_e32 v20, 0
	v_mov_b32_e32 v46, 0
	s_mov_b32 s0, exec_lo
	v_cmpx_ne_u16_e32 0, v9
	s_cbranch_execz .LBB345_568
; %bb.561:                              ;   in Loop: Header=BB345_515 Depth=1
	v_bfrev_b32_e32 v46, 1
	s_mov_b32 s22, exec_lo
	v_cmpx_ne_u16_e32 0x80, v9
	s_cbranch_execz .LBB345_567
; %bb.562:                              ;   in Loop: Header=BB345_515 Depth=1
	v_bfe_u32 v47, v18, 16, 7
	v_mov_b32_e32 v46, 0x7f800001
	s_mov_b32 s26, exec_lo
	v_cmpx_ne_u32_e32 0x7f, v47
	s_cbranch_execz .LBB345_566
; %bb.563:                              ;   in Loop: Header=BB345_515 Depth=1
	v_and_b32_sdwa v9, v18, v38 dst_sel:DWORD dst_unused:UNUSED_PAD src0_sel:WORD_1 src1_sel:DWORD
	v_lshrrev_b32_e32 v46, 3, v47
	s_mov_b32 s27, exec_lo
	v_cmpx_gt_u32_e32 8, v47
; %bb.564:                              ;   in Loop: Header=BB345_515 Depth=1
	v_ffbh_u32_e32 v46, v9
	v_min_u32_e32 v46, 32, v46
	v_subrev_nc_u32_e32 v47, 28, v46
	v_sub_nc_u32_e32 v46, 29, v46
	v_lshlrev_b64 v[47:48], v47, v[9:10]
	v_and_b32_e32 v9, 7, v47
; %bb.565:                              ;   in Loop: Header=BB345_515 Depth=1
	s_or_b32 exec_lo, exec_lo, s27
	v_lshlrev_b32_sdwa v47, v39, v18 dst_sel:DWORD dst_unused:UNUSED_PAD src0_sel:DWORD src1_sel:WORD_1
	v_lshlrev_b32_e32 v9, 20, v9
	v_lshl_add_u32 v46, v46, 23, 0x3c000000
	v_and_b32_e32 v47, 0x80000000, v47
	v_or3_b32 v46, v9, v47, v46
.LBB345_566:                            ;   in Loop: Header=BB345_515 Depth=1
	s_or_b32 exec_lo, exec_lo, s26
.LBB345_567:                            ;   in Loop: Header=BB345_515 Depth=1
	s_or_b32 exec_lo, exec_lo, s22
.LBB345_568:                            ;   in Loop: Header=BB345_515 Depth=1
	s_or_b32 exec_lo, exec_lo, s0
	s_mov_b32 s0, exec_lo
	v_cmpx_lt_u64_e64 s[2:3], v[17:18]
	s_cbranch_execz .LBB345_576
; %bb.569:                              ;   in Loop: Header=BB345_515 Depth=1
	v_cmp_ne_u32_sdwa s26, v18, v35 src0_sel:BYTE_3 src1_sel:DWORD
	v_bfrev_b32_e32 v20, 1
	s_and_saveexec_b32 s22, s26
	s_cbranch_execz .LBB345_575
; %bb.570:                              ;   in Loop: Header=BB345_515 Depth=1
	v_bfe_u32 v47, v18, 24, 7
	v_mov_b32_e32 v20, 0x7f800001
	s_mov_b32 s26, exec_lo
	v_cmpx_ne_u32_e32 0x7f, v47
	s_cbranch_execz .LBB345_574
; %bb.571:                              ;   in Loop: Header=BB345_515 Depth=1
	v_and_b32_sdwa v9, v18, v38 dst_sel:DWORD dst_unused:UNUSED_PAD src0_sel:BYTE_3 src1_sel:DWORD
	v_lshrrev_b32_e32 v17, 3, v47
	s_mov_b32 s27, exec_lo
	v_cmpx_gt_u32_e32 8, v47
; %bb.572:                              ;   in Loop: Header=BB345_515 Depth=1
	v_ffbh_u32_e32 v17, v9
	v_min_u32_e32 v17, 32, v17
	v_subrev_nc_u32_e32 v20, 28, v17
	v_sub_nc_u32_e32 v17, 29, v17
	v_lshlrev_b64 v[47:48], v20, v[9:10]
	v_and_b32_e32 v9, 7, v47
; %bb.573:                              ;   in Loop: Header=BB345_515 Depth=1
	s_or_b32 exec_lo, exec_lo, s27
	v_lshlrev_b32_sdwa v18, v39, v18 dst_sel:DWORD dst_unused:UNUSED_PAD src0_sel:DWORD src1_sel:BYTE_3
	v_lshlrev_b32_e32 v9, 20, v9
	v_lshl_add_u32 v17, v17, 23, 0x3c000000
	v_and_b32_e32 v18, 0x80000000, v18
	v_or3_b32 v20, v9, v18, v17
.LBB345_574:                            ;   in Loop: Header=BB345_515 Depth=1
	s_or_b32 exec_lo, exec_lo, s26
.LBB345_575:                            ;   in Loop: Header=BB345_515 Depth=1
	s_or_b32 exec_lo, exec_lo, s22
.LBB345_576:                            ;   in Loop: Header=BB345_515 Depth=1
	s_or_b32 exec_lo, exec_lo, s0
	s_waitcnt lgkmcnt(0)
	v_mul_f32_e32 v9, s21, v19
	v_mul_f32_e32 v17, s21, v45
	v_mul_f32_e32 v18, s21, v44
	v_mul_f32_e32 v22, s21, v22
	v_mul_f32_e32 v0, s21, v0
	v_bfe_u32 v19, v9, 16, 1
	v_or_b32_e32 v44, 0x400000, v9
	v_bfe_u32 v45, v17, 16, 1
	v_cmp_u_f32_e64 s0, v9, v9
	v_or_b32_e32 v47, 0x400000, v17
	v_add3_u32 v19, v19, v9, 0x7fff
	v_bfe_u32 v48, v18, 16, 1
	v_add3_u32 v45, v45, v17, 0x7fff
	v_or_b32_e32 v49, 0x400000, v18
	v_mul_f32_e32 v20, s21, v20
	v_cndmask_b32_e64 v9, v19, v44, s0
	v_cmp_u_f32_e64 s0, v17, v17
	v_add3_u32 v44, v48, v18, 0x7fff
	v_bfe_u32 v19, v22, 16, 1
	v_add_nc_u32_e32 v52, v40, v23
	v_cmp_eq_u32_e32 vcc_lo, s13, v43
	v_cndmask_b32_e64 v17, v45, v47, s0
	v_cmp_u_f32_e64 s0, v18, v18
	v_lshrrev_b32_e32 v45, 16, v9
	v_mul_f32_e32 v18, s21, v21
	v_add3_u32 v19, v19, v22, 0x7fff
	v_or_b32_e32 v21, 0x400000, v22
	v_cndmask_b32_e64 v9, v44, v49, s0
	v_cmp_u_f32_e64 s0, v22, v22
	v_lshrrev_b32_e32 v44, 16, v17
	v_bfe_u32 v22, v0, 16, 1
	v_or_b32_e32 v49, 0x400000, v20
	v_lshrrev_b32_e32 v47, 16, v9
	v_bfe_u32 v9, v18, 16, 1
	v_cndmask_b32_e64 v17, v19, v21, s0
	v_mul_f32_e32 v19, s21, v46
	v_or_b32_e32 v21, 0x400000, v18
	v_cmp_u_f32_e64 s0, v18, v18
	v_add3_u32 v9, v9, v18, 0x7fff
	v_bfe_u32 v18, v20, 16, 1
	v_bfe_u32 v46, v19, 16, 1
	v_or_b32_e32 v48, 0x400000, v19
	v_add_nc_u32_e32 v64, 1, v52
	v_cndmask_b32_e64 v9, v9, v21, s0
	v_add3_u32 v21, v22, v0, 0x7fff
	v_or_b32_e32 v22, 0x400000, v0
	v_cmp_u_f32_e64 s0, v0, v0
	v_add3_u32 v46, v46, v19, 0x7fff
	v_add3_u32 v18, v18, v20, 0x7fff
	v_lshrrev_b32_e32 v51, 16, v9
	v_add_nc_u32_e32 v63, 2, v52
	v_cndmask_b32_e64 v0, v21, v22, s0
	v_cmp_u_f32_e64 s0, v19, v19
	v_add_nc_u32_e32 v62, 3, v52
	v_add_nc_u32_e32 v61, 4, v52
	;; [unrolled: 1-line block ×3, first 2 shown]
	v_lshrrev_b32_e32 v50, 16, v0
	v_cndmask_b32_e64 v19, v46, v48, s0
	v_cmp_u_f32_e64 s0, v20, v20
	v_add_nc_u32_e32 v59, 6, v52
	v_add_nc_u32_e32 v58, 7, v52
	v_lshrrev_b32_e32 v46, 16, v19
	v_cndmask_b32_e64 v18, v18, v49, s0
	v_lshrrev_b32_e32 v49, 16, v17
	v_lshrrev_b32_e32 v48, 16, v18
	s_and_saveexec_b32 s22, vcc_lo
	s_cbranch_execz .LBB345_578
; %bb.577:                              ;   in Loop: Header=BB345_515 Depth=1
	v_cmp_gt_i32_e64 s0, s33, v52
	v_cndmask_b32_e64 v50, 0, v50, s0
	v_cmp_gt_i32_e64 s0, s33, v64
	v_cndmask_b32_e64 v51, 0, v51, s0
	;; [unrolled: 2-line block ×8, first 2 shown]
.LBB345_578:                            ;   in Loop: Header=BB345_515 Depth=1
	s_or_b32 exec_lo, exec_lo, s22
	global_load_dwordx2 v[17:18], v[15:16], off offset:256
	v_mov_b32_e32 v21, 0
	v_mov_b32_e32 v0, 0
	s_waitcnt vmcnt(0)
	v_cmp_ne_u16_sdwa s0, v17, v10 src0_sel:BYTE_0 src1_sel:DWORD
	s_and_saveexec_b32 s22, s0
	s_cbranch_execz .LBB345_584
; %bb.579:                              ;   in Loop: Header=BB345_515 Depth=1
	v_cmp_ne_u16_sdwa s0, v17, v35 src0_sel:BYTE_0 src1_sel:DWORD
	v_bfrev_b32_e32 v0, 1
	s_and_saveexec_b32 s26, s0
	s_cbranch_execz .LBB345_583
; %bb.580:                              ;   in Loop: Header=BB345_515 Depth=1
	v_and_b32_e32 v9, 0x7f, v17
	v_mov_b32_e32 v0, 0x7f800001
	s_mov_b32 s27, exec_lo
	v_cmpx_ne_u32_e32 0x7f, v9
	s_cbranch_execz .LBB345_582
; %bb.581:                              ;   in Loop: Header=BB345_515 Depth=1
	v_and_b32_e32 v0, 7, v17
	v_cmp_gt_u32_e64 s0, 8, v9
	v_lshrrev_b32_e32 v19, 3, v9
	v_ffbh_u32_e32 v0, v0
	v_min_u32_e32 v0, 32, v0
	v_subrev_nc_u32_e32 v20, 28, v0
	v_sub_nc_u32_e32 v0, 29, v0
	v_cndmask_b32_e64 v9, 0, v20, s0
	v_cndmask_b32_e64 v0, v19, v0, s0
	v_lshlrev_b64 v[19:20], v9, v[17:18]
	v_lshlrev_b32_e32 v9, 24, v17
	v_lshl_add_u32 v0, v0, 23, 0x3c000000
	v_and_b32_e32 v9, 0x80000000, v9
	v_lshlrev_b32_e32 v19, 20, v19
	v_and_b32_e32 v19, 0x700000, v19
	v_or3_b32 v0, v19, v9, v0
.LBB345_582:                            ;   in Loop: Header=BB345_515 Depth=1
	s_or_b32 exec_lo, exec_lo, s27
.LBB345_583:                            ;   in Loop: Header=BB345_515 Depth=1
	s_or_b32 exec_lo, exec_lo, s26
.LBB345_584:                            ;   in Loop: Header=BB345_515 Depth=1
	s_or_b32 exec_lo, exec_lo, s22
	v_cmp_ne_u16_sdwa s0, v17, v10 src0_sel:BYTE_1 src1_sel:DWORD
	s_and_saveexec_b32 s22, s0
	s_cbranch_execz .LBB345_592
; %bb.585:                              ;   in Loop: Header=BB345_515 Depth=1
	v_cmp_ne_u16_sdwa s0, v17, v35 src0_sel:BYTE_1 src1_sel:DWORD
	v_bfrev_b32_e32 v21, 1
	s_and_saveexec_b32 s26, s0
	s_cbranch_execz .LBB345_591
; %bb.586:                              ;   in Loop: Header=BB345_515 Depth=1
	v_and_b32_sdwa v9, v36, v17 dst_sel:DWORD dst_unused:UNUSED_PAD src0_sel:DWORD src1_sel:BYTE_1
	v_mov_b32_e32 v21, 0x7f800001
	s_mov_b32 s27, exec_lo
	v_and_b32_e32 v20, 0x7f, v9
	v_cmpx_ne_u32_e32 0x7f, v20
	s_cbranch_execz .LBB345_590
; %bb.587:                              ;   in Loop: Header=BB345_515 Depth=1
	v_and_b32_e32 v9, 7, v9
	v_lshrrev_b32_e32 v19, 3, v20
	s_mov_b32 s28, exec_lo
	v_cmpx_gt_u32_e32 8, v20
; %bb.588:                              ;   in Loop: Header=BB345_515 Depth=1
	v_ffbh_u32_e32 v19, v9
	v_min_u32_e32 v19, 32, v19
	v_subrev_nc_u32_e32 v20, 28, v19
	v_sub_nc_u32_e32 v19, 29, v19
	v_lshlrev_b64 v[20:21], v20, v[9:10]
	v_and_b32_e32 v9, 7, v20
; %bb.589:                              ;   in Loop: Header=BB345_515 Depth=1
	s_or_b32 exec_lo, exec_lo, s28
	v_lshlrev_b32_e32 v20, 16, v17
	v_lshlrev_b32_e32 v9, 20, v9
	v_lshl_add_u32 v19, v19, 23, 0x3c000000
	v_and_b32_e32 v20, 0x80000000, v20
	v_or3_b32 v21, v9, v20, v19
.LBB345_590:                            ;   in Loop: Header=BB345_515 Depth=1
	s_or_b32 exec_lo, exec_lo, s27
.LBB345_591:                            ;   in Loop: Header=BB345_515 Depth=1
	s_or_b32 exec_lo, exec_lo, s26
.LBB345_592:                            ;   in Loop: Header=BB345_515 Depth=1
	s_or_b32 exec_lo, exec_lo, s22
	v_and_b32_sdwa v9, v17, v37 dst_sel:DWORD dst_unused:UNUSED_PAD src0_sel:WORD_1 src1_sel:DWORD
	v_mov_b32_e32 v53, 0
	v_mov_b32_e32 v22, 0
	s_mov_b32 s22, exec_lo
	v_cmpx_ne_u16_e32 0, v9
	s_cbranch_execz .LBB345_600
; %bb.593:                              ;   in Loop: Header=BB345_515 Depth=1
	v_bfrev_b32_e32 v22, 1
	s_mov_b32 s26, exec_lo
	v_cmpx_ne_u16_e32 0x80, v9
	s_cbranch_execz .LBB345_599
; %bb.594:                              ;   in Loop: Header=BB345_515 Depth=1
	v_bfe_u32 v20, v17, 16, 7
	v_mov_b32_e32 v22, 0x7f800001
	s_mov_b32 s27, exec_lo
	v_cmpx_ne_u32_e32 0x7f, v20
	s_cbranch_execz .LBB345_598
; %bb.595:                              ;   in Loop: Header=BB345_515 Depth=1
	v_and_b32_sdwa v9, v17, v38 dst_sel:DWORD dst_unused:UNUSED_PAD src0_sel:WORD_1 src1_sel:DWORD
	v_lshrrev_b32_e32 v19, 3, v20
	s_mov_b32 s28, exec_lo
	v_cmpx_gt_u32_e32 8, v20
; %bb.596:                              ;   in Loop: Header=BB345_515 Depth=1
	v_ffbh_u32_e32 v19, v9
	v_min_u32_e32 v19, 32, v19
	v_subrev_nc_u32_e32 v20, 28, v19
	v_sub_nc_u32_e32 v19, 29, v19
	v_lshlrev_b64 v[54:55], v20, v[9:10]
	v_and_b32_e32 v9, 7, v54
; %bb.597:                              ;   in Loop: Header=BB345_515 Depth=1
	s_or_b32 exec_lo, exec_lo, s28
	v_lshlrev_b32_sdwa v20, v39, v17 dst_sel:DWORD dst_unused:UNUSED_PAD src0_sel:DWORD src1_sel:WORD_1
	v_lshlrev_b32_e32 v9, 20, v9
	v_lshl_add_u32 v19, v19, 23, 0x3c000000
	v_and_b32_e32 v20, 0x80000000, v20
	v_or3_b32 v22, v9, v20, v19
.LBB345_598:                            ;   in Loop: Header=BB345_515 Depth=1
	s_or_b32 exec_lo, exec_lo, s27
.LBB345_599:                            ;   in Loop: Header=BB345_515 Depth=1
	s_or_b32 exec_lo, exec_lo, s26
.LBB345_600:                            ;   in Loop: Header=BB345_515 Depth=1
	s_or_b32 exec_lo, exec_lo, s22
	s_mov_b32 s22, exec_lo
	v_cmpx_lt_u32_e32 0xffffff, v17
	s_cbranch_execz .LBB345_608
; %bb.601:                              ;   in Loop: Header=BB345_515 Depth=1
	v_cmp_ne_u32_sdwa s0, v17, v35 src0_sel:BYTE_3 src1_sel:DWORD
	v_bfrev_b32_e32 v53, 1
	s_and_saveexec_b32 s26, s0
	s_cbranch_execz .LBB345_607
; %bb.602:                              ;   in Loop: Header=BB345_515 Depth=1
	v_bfe_u32 v20, v17, 24, 7
	v_mov_b32_e32 v53, 0x7f800001
	s_mov_b32 s27, exec_lo
	v_cmpx_ne_u32_e32 0x7f, v20
	s_cbranch_execz .LBB345_606
; %bb.603:                              ;   in Loop: Header=BB345_515 Depth=1
	v_and_b32_sdwa v9, v17, v38 dst_sel:DWORD dst_unused:UNUSED_PAD src0_sel:BYTE_3 src1_sel:DWORD
	v_lshrrev_b32_e32 v19, 3, v20
	s_mov_b32 s28, exec_lo
	v_cmpx_gt_u32_e32 8, v20
; %bb.604:                              ;   in Loop: Header=BB345_515 Depth=1
	v_ffbh_u32_e32 v19, v9
	v_min_u32_e32 v19, 32, v19
	v_subrev_nc_u32_e32 v20, 28, v19
	v_sub_nc_u32_e32 v19, 29, v19
	v_lshlrev_b64 v[53:54], v20, v[9:10]
	v_and_b32_e32 v9, 7, v53
; %bb.605:                              ;   in Loop: Header=BB345_515 Depth=1
	s_or_b32 exec_lo, exec_lo, s28
	v_lshlrev_b32_sdwa v20, v39, v17 dst_sel:DWORD dst_unused:UNUSED_PAD src0_sel:DWORD src1_sel:BYTE_3
	v_lshlrev_b32_e32 v9, 20, v9
	v_lshl_add_u32 v19, v19, 23, 0x3c000000
	v_and_b32_e32 v20, 0x80000000, v20
	v_or3_b32 v53, v9, v20, v19
.LBB345_606:                            ;   in Loop: Header=BB345_515 Depth=1
	s_or_b32 exec_lo, exec_lo, s27
.LBB345_607:                            ;   in Loop: Header=BB345_515 Depth=1
	s_or_b32 exec_lo, exec_lo, s26
.LBB345_608:                            ;   in Loop: Header=BB345_515 Depth=1
	s_or_b32 exec_lo, exec_lo, s22
	v_mov_b32_e32 v9, v18
	v_cmp_ne_u16_sdwa s0, v18, v10 src0_sel:BYTE_0 src1_sel:DWORD
	v_mov_b32_e32 v19, 0
	v_mov_b32_e32 v54, 0
	s_and_saveexec_b32 s22, s0
	s_cbranch_execz .LBB345_614
; %bb.609:                              ;   in Loop: Header=BB345_515 Depth=1
	v_cmp_ne_u16_sdwa s0, v18, v35 src0_sel:BYTE_0 src1_sel:DWORD
	v_bfrev_b32_e32 v54, 1
	s_and_saveexec_b32 s26, s0
	s_cbranch_execz .LBB345_613
; %bb.610:                              ;   in Loop: Header=BB345_515 Depth=1
	v_and_b32_e32 v20, 0x7f, v18
	v_mov_b32_e32 v54, 0x7f800001
	s_mov_b32 s27, exec_lo
	v_cmpx_ne_u32_e32 0x7f, v20
	s_cbranch_execz .LBB345_612
; %bb.611:                              ;   in Loop: Header=BB345_515 Depth=1
	v_and_b32_e32 v54, 7, v18
	v_lshrrev_b32_e32 v55, 3, v20
	v_cmp_gt_u32_e64 s0, 8, v20
	v_ffbh_u32_e32 v54, v54
	v_min_u32_e32 v54, 32, v54
	v_subrev_nc_u32_e32 v56, 28, v54
	v_sub_nc_u32_e32 v54, 29, v54
	v_cndmask_b32_e64 v20, v55, v54, s0
	v_cndmask_b32_e64 v54, 0, v56, s0
	v_lshl_add_u32 v20, v20, 23, 0x3c000000
	v_lshlrev_b64 v[54:55], v54, v[9:10]
	v_lshlrev_b32_e32 v55, 24, v9
	v_lshlrev_b32_e32 v54, 20, v54
	v_and_b32_e32 v55, 0x80000000, v55
	v_and_b32_e32 v54, 0x700000, v54
	v_or3_b32 v54, v54, v55, v20
.LBB345_612:                            ;   in Loop: Header=BB345_515 Depth=1
	s_or_b32 exec_lo, exec_lo, s27
.LBB345_613:                            ;   in Loop: Header=BB345_515 Depth=1
	s_or_b32 exec_lo, exec_lo, s26
.LBB345_614:                            ;   in Loop: Header=BB345_515 Depth=1
	s_or_b32 exec_lo, exec_lo, s22
	v_cmp_ne_u16_sdwa s0, v9, v10 src0_sel:BYTE_1 src1_sel:DWORD
	s_and_saveexec_b32 s22, s0
	s_cbranch_execz .LBB345_622
; %bb.615:                              ;   in Loop: Header=BB345_515 Depth=1
	v_cmp_ne_u16_sdwa s0, v9, v35 src0_sel:BYTE_1 src1_sel:DWORD
	v_bfrev_b32_e32 v19, 1
	s_and_saveexec_b32 s26, s0
	s_cbranch_execz .LBB345_621
; %bb.616:                              ;   in Loop: Header=BB345_515 Depth=1
	v_and_b32_sdwa v20, v36, v9 dst_sel:DWORD dst_unused:UNUSED_PAD src0_sel:DWORD src1_sel:BYTE_1
	v_mov_b32_e32 v19, 0x7f800001
	s_mov_b32 s27, exec_lo
	v_and_b32_e32 v56, 0x7f, v20
	v_cmpx_ne_u32_e32 0x7f, v56
	s_cbranch_execz .LBB345_620
; %bb.617:                              ;   in Loop: Header=BB345_515 Depth=1
	v_and_b32_e32 v19, 7, v20
	v_mov_b32_e32 v20, v10
	v_lshrrev_b32_e32 v55, 3, v56
	s_mov_b32 s28, exec_lo
	v_cmpx_gt_u32_e32 8, v56
; %bb.618:                              ;   in Loop: Header=BB345_515 Depth=1
	v_ffbh_u32_e32 v55, v19
	v_min_u32_e32 v55, 32, v55
	v_subrev_nc_u32_e32 v56, 28, v55
	v_sub_nc_u32_e32 v55, 29, v55
	v_lshlrev_b64 v[19:20], v56, v[19:20]
	v_and_b32_e32 v19, 7, v19
; %bb.619:                              ;   in Loop: Header=BB345_515 Depth=1
	s_or_b32 exec_lo, exec_lo, s28
	v_lshlrev_b32_e32 v9, 16, v9
	v_lshlrev_b32_e32 v19, 20, v19
	v_lshl_add_u32 v20, v55, 23, 0x3c000000
	v_and_b32_e32 v9, 0x80000000, v9
	v_or3_b32 v19, v19, v9, v20
.LBB345_620:                            ;   in Loop: Header=BB345_515 Depth=1
	s_or_b32 exec_lo, exec_lo, s27
.LBB345_621:                            ;   in Loop: Header=BB345_515 Depth=1
	s_or_b32 exec_lo, exec_lo, s26
.LBB345_622:                            ;   in Loop: Header=BB345_515 Depth=1
	s_or_b32 exec_lo, exec_lo, s22
	v_and_b32_sdwa v9, v18, v37 dst_sel:DWORD dst_unused:UNUSED_PAD src0_sel:WORD_1 src1_sel:DWORD
	v_mov_b32_e32 v20, 0
	v_mov_b32_e32 v55, 0
	s_mov_b32 s22, exec_lo
	v_cmpx_ne_u16_e32 0, v9
	s_cbranch_execz .LBB345_630
; %bb.623:                              ;   in Loop: Header=BB345_515 Depth=1
	v_bfrev_b32_e32 v55, 1
	s_mov_b32 s26, exec_lo
	v_cmpx_ne_u16_e32 0x80, v9
	s_cbranch_execz .LBB345_629
; %bb.624:                              ;   in Loop: Header=BB345_515 Depth=1
	v_bfe_u32 v56, v18, 16, 7
	v_mov_b32_e32 v55, 0x7f800001
	s_mov_b32 s27, exec_lo
	v_cmpx_ne_u32_e32 0x7f, v56
	s_cbranch_execz .LBB345_628
; %bb.625:                              ;   in Loop: Header=BB345_515 Depth=1
	v_and_b32_sdwa v9, v18, v38 dst_sel:DWORD dst_unused:UNUSED_PAD src0_sel:WORD_1 src1_sel:DWORD
	v_lshrrev_b32_e32 v55, 3, v56
	s_mov_b32 s28, exec_lo
	v_cmpx_gt_u32_e32 8, v56
; %bb.626:                              ;   in Loop: Header=BB345_515 Depth=1
	v_ffbh_u32_e32 v55, v9
	v_min_u32_e32 v55, 32, v55
	v_subrev_nc_u32_e32 v56, 28, v55
	v_sub_nc_u32_e32 v55, 29, v55
	v_lshlrev_b64 v[56:57], v56, v[9:10]
	v_and_b32_e32 v9, 7, v56
; %bb.627:                              ;   in Loop: Header=BB345_515 Depth=1
	s_or_b32 exec_lo, exec_lo, s28
	v_lshlrev_b32_sdwa v56, v39, v18 dst_sel:DWORD dst_unused:UNUSED_PAD src0_sel:DWORD src1_sel:WORD_1
	v_lshlrev_b32_e32 v9, 20, v9
	v_lshl_add_u32 v55, v55, 23, 0x3c000000
	v_and_b32_e32 v56, 0x80000000, v56
	v_or3_b32 v55, v9, v56, v55
.LBB345_628:                            ;   in Loop: Header=BB345_515 Depth=1
	s_or_b32 exec_lo, exec_lo, s27
.LBB345_629:                            ;   in Loop: Header=BB345_515 Depth=1
	s_or_b32 exec_lo, exec_lo, s26
.LBB345_630:                            ;   in Loop: Header=BB345_515 Depth=1
	s_or_b32 exec_lo, exec_lo, s22
	s_mov_b32 s22, exec_lo
	v_cmpx_lt_u64_e64 s[2:3], v[17:18]
	s_cbranch_execz .LBB345_638
; %bb.631:                              ;   in Loop: Header=BB345_515 Depth=1
	v_cmp_ne_u32_sdwa s0, v18, v35 src0_sel:BYTE_3 src1_sel:DWORD
	v_bfrev_b32_e32 v20, 1
	s_and_saveexec_b32 s26, s0
	s_cbranch_execz .LBB345_637
; %bb.632:                              ;   in Loop: Header=BB345_515 Depth=1
	v_bfe_u32 v56, v18, 24, 7
	v_mov_b32_e32 v20, 0x7f800001
	s_mov_b32 s27, exec_lo
	v_cmpx_ne_u32_e32 0x7f, v56
	s_cbranch_execz .LBB345_636
; %bb.633:                              ;   in Loop: Header=BB345_515 Depth=1
	v_and_b32_sdwa v9, v18, v38 dst_sel:DWORD dst_unused:UNUSED_PAD src0_sel:BYTE_3 src1_sel:DWORD
	v_lshrrev_b32_e32 v17, 3, v56
	s_mov_b32 s28, exec_lo
	v_cmpx_gt_u32_e32 8, v56
; %bb.634:                              ;   in Loop: Header=BB345_515 Depth=1
	v_ffbh_u32_e32 v17, v9
	v_min_u32_e32 v17, 32, v17
	v_subrev_nc_u32_e32 v20, 28, v17
	v_sub_nc_u32_e32 v17, 29, v17
	v_lshlrev_b64 v[56:57], v20, v[9:10]
	v_and_b32_e32 v9, 7, v56
; %bb.635:                              ;   in Loop: Header=BB345_515 Depth=1
	s_or_b32 exec_lo, exec_lo, s28
	v_lshlrev_b32_sdwa v18, v39, v18 dst_sel:DWORD dst_unused:UNUSED_PAD src0_sel:DWORD src1_sel:BYTE_3
	v_lshlrev_b32_e32 v9, 20, v9
	v_lshl_add_u32 v17, v17, 23, 0x3c000000
	v_and_b32_e32 v18, 0x80000000, v18
	v_or3_b32 v20, v9, v18, v17
.LBB345_636:                            ;   in Loop: Header=BB345_515 Depth=1
	s_or_b32 exec_lo, exec_lo, s27
.LBB345_637:                            ;   in Loop: Header=BB345_515 Depth=1
	s_or_b32 exec_lo, exec_lo, s26
.LBB345_638:                            ;   in Loop: Header=BB345_515 Depth=1
	s_or_b32 exec_lo, exec_lo, s22
	v_mul_f32_e32 v9, s21, v19
	v_mul_f32_e32 v17, s21, v54
	;; [unrolled: 1-line block ×5, first 2 shown]
	v_bfe_u32 v22, v9, 16, 1
	v_or_b32_e32 v53, 0x400000, v9
	v_bfe_u32 v54, v17, 16, 1
	v_cmp_u_f32_e64 s0, v9, v9
	v_or_b32_e32 v56, 0x400000, v17
	v_add3_u32 v22, v22, v9, 0x7fff
	v_bfe_u32 v57, v18, 16, 1
	v_add3_u32 v54, v54, v17, 0x7fff
	v_or_b32_e32 v65, 0x400000, v18
	v_bfe_u32 v66, v19, 16, 1
	v_cndmask_b32_e64 v9, v22, v53, s0
	v_cmp_u_f32_e64 s0, v17, v17
	v_add3_u32 v57, v57, v18, 0x7fff
	v_or_b32_e32 v22, 0x400000, v19
	v_mul_f32_e32 v20, s21, v20
	v_lshrrev_b32_e32 v53, 16, v9
	v_cndmask_b32_e64 v17, v54, v56, s0
	v_cmp_u_f32_e64 s0, v18, v18
	v_mul_f32_e32 v9, s21, v21
	v_add3_u32 v21, v66, v19, 0x7fff
	v_lshrrev_b32_e32 v54, 16, v17
	v_cndmask_b32_e64 v18, v57, v65, s0
	v_bfe_u32 v17, v9, 16, 1
	v_cmp_u_f32_e64 s0, v19, v19
	v_mul_f32_e32 v19, s21, v55
	v_or_b32_e32 v65, 0x400000, v20
	v_lshrrev_b32_e32 v56, 16, v18
	v_add3_u32 v17, v17, v9, 0x7fff
	v_cndmask_b32_e64 v18, v21, v22, s0
	v_or_b32_e32 v21, 0x400000, v9
	v_bfe_u32 v22, v0, 16, 1
	v_cmp_u_f32_e64 s0, v9, v9
	v_bfe_u32 v55, v19, 16, 1
	v_or_b32_e32 v57, 0x400000, v19
	v_cndmask_b32_e64 v9, v17, v21, s0
	v_add3_u32 v21, v22, v0, 0x7fff
	v_or_b32_e32 v22, 0x400000, v0
	v_cmp_u_f32_e64 s0, v0, v0
	v_bfe_u32 v17, v20, 16, 1
	v_add3_u32 v55, v55, v19, 0x7fff
	v_lshrrev_b32_e32 v67, 16, v9
	v_cndmask_b32_e64 v0, v21, v22, s0
	v_cmp_u_f32_e64 s0, v19, v19
	v_add3_u32 v17, v17, v20, 0x7fff
	v_lshrrev_b32_e32 v66, 16, v0
	v_cndmask_b32_e64 v19, v55, v57, s0
	v_cmp_u_f32_e64 s0, v20, v20
	v_lshrrev_b32_e32 v55, 16, v19
	v_cndmask_b32_e64 v17, v17, v65, s0
	v_lshrrev_b32_e32 v65, 16, v18
	v_lshrrev_b32_e32 v57, 16, v17
	s_and_saveexec_b32 s22, vcc_lo
	s_cbranch_execz .LBB345_640
; %bb.639:                              ;   in Loop: Header=BB345_515 Depth=1
	v_cmp_gt_i32_e64 s0, s33, v52
	v_cndmask_b32_e64 v66, 0, v66, s0
	v_cmp_gt_i32_e64 s0, s33, v64
	v_cndmask_b32_e64 v67, 0, v67, s0
	;; [unrolled: 2-line block ×8, first 2 shown]
.LBB345_640:                            ;   in Loop: Header=BB345_515 Depth=1
	s_or_b32 exec_lo, exec_lo, s22
	global_load_dwordx2 v[17:18], v[15:16], off offset:512
	v_mov_b32_e32 v21, 0
	v_mov_b32_e32 v0, 0
	s_waitcnt vmcnt(0)
	v_cmp_ne_u16_sdwa s0, v17, v10 src0_sel:BYTE_0 src1_sel:DWORD
	s_and_saveexec_b32 s22, s0
	s_cbranch_execz .LBB345_646
; %bb.641:                              ;   in Loop: Header=BB345_515 Depth=1
	v_cmp_ne_u16_sdwa s0, v17, v35 src0_sel:BYTE_0 src1_sel:DWORD
	v_bfrev_b32_e32 v0, 1
	s_and_saveexec_b32 s26, s0
	s_cbranch_execz .LBB345_645
; %bb.642:                              ;   in Loop: Header=BB345_515 Depth=1
	v_and_b32_e32 v9, 0x7f, v17
	v_mov_b32_e32 v0, 0x7f800001
	s_mov_b32 s27, exec_lo
	v_cmpx_ne_u32_e32 0x7f, v9
	s_cbranch_execz .LBB345_644
; %bb.643:                              ;   in Loop: Header=BB345_515 Depth=1
	v_and_b32_e32 v0, 7, v17
	v_cmp_gt_u32_e64 s0, 8, v9
	v_lshrrev_b32_e32 v19, 3, v9
	v_ffbh_u32_e32 v0, v0
	v_min_u32_e32 v0, 32, v0
	v_subrev_nc_u32_e32 v20, 28, v0
	v_sub_nc_u32_e32 v0, 29, v0
	v_cndmask_b32_e64 v9, 0, v20, s0
	v_cndmask_b32_e64 v0, v19, v0, s0
	v_lshlrev_b64 v[19:20], v9, v[17:18]
	v_lshlrev_b32_e32 v9, 24, v17
	v_lshl_add_u32 v0, v0, 23, 0x3c000000
	v_and_b32_e32 v9, 0x80000000, v9
	v_lshlrev_b32_e32 v19, 20, v19
	v_and_b32_e32 v19, 0x700000, v19
	v_or3_b32 v0, v19, v9, v0
.LBB345_644:                            ;   in Loop: Header=BB345_515 Depth=1
	s_or_b32 exec_lo, exec_lo, s27
.LBB345_645:                            ;   in Loop: Header=BB345_515 Depth=1
	s_or_b32 exec_lo, exec_lo, s26
.LBB345_646:                            ;   in Loop: Header=BB345_515 Depth=1
	s_or_b32 exec_lo, exec_lo, s22
	v_cmp_ne_u16_sdwa s0, v17, v10 src0_sel:BYTE_1 src1_sel:DWORD
	s_and_saveexec_b32 s22, s0
	s_cbranch_execz .LBB345_654
; %bb.647:                              ;   in Loop: Header=BB345_515 Depth=1
	v_cmp_ne_u16_sdwa s0, v17, v35 src0_sel:BYTE_1 src1_sel:DWORD
	v_bfrev_b32_e32 v21, 1
	s_and_saveexec_b32 s26, s0
	s_cbranch_execz .LBB345_653
; %bb.648:                              ;   in Loop: Header=BB345_515 Depth=1
	v_and_b32_sdwa v9, v36, v17 dst_sel:DWORD dst_unused:UNUSED_PAD src0_sel:DWORD src1_sel:BYTE_1
	v_mov_b32_e32 v21, 0x7f800001
	s_mov_b32 s27, exec_lo
	v_and_b32_e32 v20, 0x7f, v9
	v_cmpx_ne_u32_e32 0x7f, v20
	s_cbranch_execz .LBB345_652
; %bb.649:                              ;   in Loop: Header=BB345_515 Depth=1
	v_and_b32_e32 v9, 7, v9
	v_lshrrev_b32_e32 v19, 3, v20
	s_mov_b32 s28, exec_lo
	v_cmpx_gt_u32_e32 8, v20
; %bb.650:                              ;   in Loop: Header=BB345_515 Depth=1
	v_ffbh_u32_e32 v19, v9
	v_min_u32_e32 v19, 32, v19
	v_subrev_nc_u32_e32 v20, 28, v19
	v_sub_nc_u32_e32 v19, 29, v19
	v_lshlrev_b64 v[20:21], v20, v[9:10]
	v_and_b32_e32 v9, 7, v20
; %bb.651:                              ;   in Loop: Header=BB345_515 Depth=1
	s_or_b32 exec_lo, exec_lo, s28
	v_lshlrev_b32_e32 v20, 16, v17
	v_lshlrev_b32_e32 v9, 20, v9
	v_lshl_add_u32 v19, v19, 23, 0x3c000000
	v_and_b32_e32 v20, 0x80000000, v20
	v_or3_b32 v21, v9, v20, v19
.LBB345_652:                            ;   in Loop: Header=BB345_515 Depth=1
	s_or_b32 exec_lo, exec_lo, s27
.LBB345_653:                            ;   in Loop: Header=BB345_515 Depth=1
	s_or_b32 exec_lo, exec_lo, s26
.LBB345_654:                            ;   in Loop: Header=BB345_515 Depth=1
	s_or_b32 exec_lo, exec_lo, s22
	v_and_b32_sdwa v9, v17, v37 dst_sel:DWORD dst_unused:UNUSED_PAD src0_sel:WORD_1 src1_sel:DWORD
	v_mov_b32_e32 v68, 0
	v_mov_b32_e32 v22, 0
	s_mov_b32 s22, exec_lo
	v_cmpx_ne_u16_e32 0, v9
	s_cbranch_execz .LBB345_662
; %bb.655:                              ;   in Loop: Header=BB345_515 Depth=1
	v_bfrev_b32_e32 v22, 1
	s_mov_b32 s26, exec_lo
	v_cmpx_ne_u16_e32 0x80, v9
	s_cbranch_execz .LBB345_661
; %bb.656:                              ;   in Loop: Header=BB345_515 Depth=1
	v_bfe_u32 v20, v17, 16, 7
	v_mov_b32_e32 v22, 0x7f800001
	s_mov_b32 s27, exec_lo
	v_cmpx_ne_u32_e32 0x7f, v20
	s_cbranch_execz .LBB345_660
; %bb.657:                              ;   in Loop: Header=BB345_515 Depth=1
	v_and_b32_sdwa v9, v17, v38 dst_sel:DWORD dst_unused:UNUSED_PAD src0_sel:WORD_1 src1_sel:DWORD
	v_lshrrev_b32_e32 v19, 3, v20
	s_mov_b32 s28, exec_lo
	v_cmpx_gt_u32_e32 8, v20
; %bb.658:                              ;   in Loop: Header=BB345_515 Depth=1
	v_ffbh_u32_e32 v19, v9
	v_min_u32_e32 v19, 32, v19
	v_subrev_nc_u32_e32 v20, 28, v19
	v_sub_nc_u32_e32 v19, 29, v19
	v_lshlrev_b64 v[69:70], v20, v[9:10]
	v_and_b32_e32 v9, 7, v69
; %bb.659:                              ;   in Loop: Header=BB345_515 Depth=1
	s_or_b32 exec_lo, exec_lo, s28
	v_lshlrev_b32_sdwa v20, v39, v17 dst_sel:DWORD dst_unused:UNUSED_PAD src0_sel:DWORD src1_sel:WORD_1
	v_lshlrev_b32_e32 v9, 20, v9
	v_lshl_add_u32 v19, v19, 23, 0x3c000000
	v_and_b32_e32 v20, 0x80000000, v20
	v_or3_b32 v22, v9, v20, v19
.LBB345_660:                            ;   in Loop: Header=BB345_515 Depth=1
	s_or_b32 exec_lo, exec_lo, s27
.LBB345_661:                            ;   in Loop: Header=BB345_515 Depth=1
	s_or_b32 exec_lo, exec_lo, s26
.LBB345_662:                            ;   in Loop: Header=BB345_515 Depth=1
	s_or_b32 exec_lo, exec_lo, s22
	s_mov_b32 s22, exec_lo
	v_cmpx_lt_u32_e32 0xffffff, v17
	s_cbranch_execz .LBB345_670
; %bb.663:                              ;   in Loop: Header=BB345_515 Depth=1
	v_cmp_ne_u32_sdwa s0, v17, v35 src0_sel:BYTE_3 src1_sel:DWORD
	v_bfrev_b32_e32 v68, 1
	s_and_saveexec_b32 s26, s0
	s_cbranch_execz .LBB345_669
; %bb.664:                              ;   in Loop: Header=BB345_515 Depth=1
	v_bfe_u32 v20, v17, 24, 7
	v_mov_b32_e32 v68, 0x7f800001
	s_mov_b32 s27, exec_lo
	v_cmpx_ne_u32_e32 0x7f, v20
	s_cbranch_execz .LBB345_668
; %bb.665:                              ;   in Loop: Header=BB345_515 Depth=1
	v_and_b32_sdwa v9, v17, v38 dst_sel:DWORD dst_unused:UNUSED_PAD src0_sel:BYTE_3 src1_sel:DWORD
	v_lshrrev_b32_e32 v19, 3, v20
	s_mov_b32 s28, exec_lo
	v_cmpx_gt_u32_e32 8, v20
; %bb.666:                              ;   in Loop: Header=BB345_515 Depth=1
	v_ffbh_u32_e32 v19, v9
	v_min_u32_e32 v19, 32, v19
	v_subrev_nc_u32_e32 v20, 28, v19
	v_sub_nc_u32_e32 v19, 29, v19
	v_lshlrev_b64 v[68:69], v20, v[9:10]
	v_and_b32_e32 v9, 7, v68
; %bb.667:                              ;   in Loop: Header=BB345_515 Depth=1
	s_or_b32 exec_lo, exec_lo, s28
	v_lshlrev_b32_sdwa v20, v39, v17 dst_sel:DWORD dst_unused:UNUSED_PAD src0_sel:DWORD src1_sel:BYTE_3
	v_lshlrev_b32_e32 v9, 20, v9
	v_lshl_add_u32 v19, v19, 23, 0x3c000000
	v_and_b32_e32 v20, 0x80000000, v20
	v_or3_b32 v68, v9, v20, v19
.LBB345_668:                            ;   in Loop: Header=BB345_515 Depth=1
	s_or_b32 exec_lo, exec_lo, s27
.LBB345_669:                            ;   in Loop: Header=BB345_515 Depth=1
	s_or_b32 exec_lo, exec_lo, s26
.LBB345_670:                            ;   in Loop: Header=BB345_515 Depth=1
	s_or_b32 exec_lo, exec_lo, s22
	v_mov_b32_e32 v9, v18
	v_cmp_ne_u16_sdwa s0, v18, v10 src0_sel:BYTE_0 src1_sel:DWORD
	v_mov_b32_e32 v19, 0
	v_mov_b32_e32 v69, 0
	s_and_saveexec_b32 s22, s0
	s_cbranch_execz .LBB345_676
; %bb.671:                              ;   in Loop: Header=BB345_515 Depth=1
	v_cmp_ne_u16_sdwa s0, v18, v35 src0_sel:BYTE_0 src1_sel:DWORD
	v_bfrev_b32_e32 v69, 1
	s_and_saveexec_b32 s26, s0
	s_cbranch_execz .LBB345_675
; %bb.672:                              ;   in Loop: Header=BB345_515 Depth=1
	v_and_b32_e32 v20, 0x7f, v18
	v_mov_b32_e32 v69, 0x7f800001
	s_mov_b32 s27, exec_lo
	v_cmpx_ne_u32_e32 0x7f, v20
	s_cbranch_execz .LBB345_674
; %bb.673:                              ;   in Loop: Header=BB345_515 Depth=1
	v_and_b32_e32 v69, 7, v18
	v_lshrrev_b32_e32 v70, 3, v20
	v_cmp_gt_u32_e64 s0, 8, v20
	v_ffbh_u32_e32 v69, v69
	v_min_u32_e32 v69, 32, v69
	v_subrev_nc_u32_e32 v71, 28, v69
	v_sub_nc_u32_e32 v69, 29, v69
	v_cndmask_b32_e64 v20, v70, v69, s0
	v_cndmask_b32_e64 v69, 0, v71, s0
	v_lshl_add_u32 v20, v20, 23, 0x3c000000
	v_lshlrev_b64 v[69:70], v69, v[9:10]
	v_lshlrev_b32_e32 v70, 24, v9
	v_lshlrev_b32_e32 v69, 20, v69
	v_and_b32_e32 v70, 0x80000000, v70
	v_and_b32_e32 v69, 0x700000, v69
	v_or3_b32 v69, v69, v70, v20
.LBB345_674:                            ;   in Loop: Header=BB345_515 Depth=1
	s_or_b32 exec_lo, exec_lo, s27
.LBB345_675:                            ;   in Loop: Header=BB345_515 Depth=1
	s_or_b32 exec_lo, exec_lo, s26
.LBB345_676:                            ;   in Loop: Header=BB345_515 Depth=1
	s_or_b32 exec_lo, exec_lo, s22
	v_cmp_ne_u16_sdwa s0, v9, v10 src0_sel:BYTE_1 src1_sel:DWORD
	s_and_saveexec_b32 s22, s0
	s_cbranch_execz .LBB345_684
; %bb.677:                              ;   in Loop: Header=BB345_515 Depth=1
	v_cmp_ne_u16_sdwa s0, v9, v35 src0_sel:BYTE_1 src1_sel:DWORD
	v_bfrev_b32_e32 v19, 1
	s_and_saveexec_b32 s26, s0
	s_cbranch_execz .LBB345_683
; %bb.678:                              ;   in Loop: Header=BB345_515 Depth=1
	v_and_b32_sdwa v20, v36, v9 dst_sel:DWORD dst_unused:UNUSED_PAD src0_sel:DWORD src1_sel:BYTE_1
	v_mov_b32_e32 v19, 0x7f800001
	s_mov_b32 s27, exec_lo
	v_and_b32_e32 v71, 0x7f, v20
	v_cmpx_ne_u32_e32 0x7f, v71
	s_cbranch_execz .LBB345_682
; %bb.679:                              ;   in Loop: Header=BB345_515 Depth=1
	v_and_b32_e32 v19, 7, v20
	v_mov_b32_e32 v20, v10
	v_lshrrev_b32_e32 v70, 3, v71
	s_mov_b32 s28, exec_lo
	v_cmpx_gt_u32_e32 8, v71
; %bb.680:                              ;   in Loop: Header=BB345_515 Depth=1
	v_ffbh_u32_e32 v70, v19
	v_min_u32_e32 v70, 32, v70
	v_subrev_nc_u32_e32 v71, 28, v70
	v_sub_nc_u32_e32 v70, 29, v70
	v_lshlrev_b64 v[19:20], v71, v[19:20]
	v_and_b32_e32 v19, 7, v19
; %bb.681:                              ;   in Loop: Header=BB345_515 Depth=1
	s_or_b32 exec_lo, exec_lo, s28
	v_lshlrev_b32_e32 v9, 16, v9
	v_lshlrev_b32_e32 v19, 20, v19
	v_lshl_add_u32 v20, v70, 23, 0x3c000000
	v_and_b32_e32 v9, 0x80000000, v9
	v_or3_b32 v19, v19, v9, v20
.LBB345_682:                            ;   in Loop: Header=BB345_515 Depth=1
	s_or_b32 exec_lo, exec_lo, s27
.LBB345_683:                            ;   in Loop: Header=BB345_515 Depth=1
	s_or_b32 exec_lo, exec_lo, s26
.LBB345_684:                            ;   in Loop: Header=BB345_515 Depth=1
	s_or_b32 exec_lo, exec_lo, s22
	v_and_b32_sdwa v9, v18, v37 dst_sel:DWORD dst_unused:UNUSED_PAD src0_sel:WORD_1 src1_sel:DWORD
	v_mov_b32_e32 v20, 0
	v_mov_b32_e32 v70, 0
	s_mov_b32 s22, exec_lo
	v_cmpx_ne_u16_e32 0, v9
	s_cbranch_execz .LBB345_692
; %bb.685:                              ;   in Loop: Header=BB345_515 Depth=1
	v_bfrev_b32_e32 v70, 1
	s_mov_b32 s26, exec_lo
	v_cmpx_ne_u16_e32 0x80, v9
	s_cbranch_execz .LBB345_691
; %bb.686:                              ;   in Loop: Header=BB345_515 Depth=1
	v_bfe_u32 v71, v18, 16, 7
	v_mov_b32_e32 v70, 0x7f800001
	s_mov_b32 s27, exec_lo
	v_cmpx_ne_u32_e32 0x7f, v71
	s_cbranch_execz .LBB345_690
; %bb.687:                              ;   in Loop: Header=BB345_515 Depth=1
	v_and_b32_sdwa v9, v18, v38 dst_sel:DWORD dst_unused:UNUSED_PAD src0_sel:WORD_1 src1_sel:DWORD
	v_lshrrev_b32_e32 v70, 3, v71
	s_mov_b32 s28, exec_lo
	v_cmpx_gt_u32_e32 8, v71
; %bb.688:                              ;   in Loop: Header=BB345_515 Depth=1
	v_ffbh_u32_e32 v70, v9
	v_min_u32_e32 v70, 32, v70
	v_subrev_nc_u32_e32 v71, 28, v70
	v_sub_nc_u32_e32 v70, 29, v70
	v_lshlrev_b64 v[71:72], v71, v[9:10]
	v_and_b32_e32 v9, 7, v71
; %bb.689:                              ;   in Loop: Header=BB345_515 Depth=1
	s_or_b32 exec_lo, exec_lo, s28
	v_lshlrev_b32_sdwa v71, v39, v18 dst_sel:DWORD dst_unused:UNUSED_PAD src0_sel:DWORD src1_sel:WORD_1
	v_lshlrev_b32_e32 v9, 20, v9
	v_lshl_add_u32 v70, v70, 23, 0x3c000000
	v_and_b32_e32 v71, 0x80000000, v71
	v_or3_b32 v70, v9, v71, v70
.LBB345_690:                            ;   in Loop: Header=BB345_515 Depth=1
	s_or_b32 exec_lo, exec_lo, s27
.LBB345_691:                            ;   in Loop: Header=BB345_515 Depth=1
	s_or_b32 exec_lo, exec_lo, s26
.LBB345_692:                            ;   in Loop: Header=BB345_515 Depth=1
	s_or_b32 exec_lo, exec_lo, s22
	s_mov_b32 s22, exec_lo
	v_cmpx_lt_u64_e64 s[2:3], v[17:18]
	s_cbranch_execz .LBB345_700
; %bb.693:                              ;   in Loop: Header=BB345_515 Depth=1
	v_cmp_ne_u32_sdwa s0, v18, v35 src0_sel:BYTE_3 src1_sel:DWORD
	v_bfrev_b32_e32 v20, 1
	s_and_saveexec_b32 s26, s0
	s_cbranch_execz .LBB345_699
; %bb.694:                              ;   in Loop: Header=BB345_515 Depth=1
	v_bfe_u32 v71, v18, 24, 7
	v_mov_b32_e32 v20, 0x7f800001
	s_mov_b32 s27, exec_lo
	v_cmpx_ne_u32_e32 0x7f, v71
	s_cbranch_execz .LBB345_698
; %bb.695:                              ;   in Loop: Header=BB345_515 Depth=1
	v_and_b32_sdwa v9, v18, v38 dst_sel:DWORD dst_unused:UNUSED_PAD src0_sel:BYTE_3 src1_sel:DWORD
	v_lshrrev_b32_e32 v17, 3, v71
	s_mov_b32 s28, exec_lo
	v_cmpx_gt_u32_e32 8, v71
; %bb.696:                              ;   in Loop: Header=BB345_515 Depth=1
	v_ffbh_u32_e32 v17, v9
	v_min_u32_e32 v17, 32, v17
	v_subrev_nc_u32_e32 v20, 28, v17
	v_sub_nc_u32_e32 v17, 29, v17
	v_lshlrev_b64 v[71:72], v20, v[9:10]
	v_and_b32_e32 v9, 7, v71
; %bb.697:                              ;   in Loop: Header=BB345_515 Depth=1
	s_or_b32 exec_lo, exec_lo, s28
	v_lshlrev_b32_sdwa v18, v39, v18 dst_sel:DWORD dst_unused:UNUSED_PAD src0_sel:DWORD src1_sel:BYTE_3
	v_lshlrev_b32_e32 v9, 20, v9
	v_lshl_add_u32 v17, v17, 23, 0x3c000000
	v_and_b32_e32 v18, 0x80000000, v18
	v_or3_b32 v20, v9, v18, v17
.LBB345_698:                            ;   in Loop: Header=BB345_515 Depth=1
	s_or_b32 exec_lo, exec_lo, s27
.LBB345_699:                            ;   in Loop: Header=BB345_515 Depth=1
	s_or_b32 exec_lo, exec_lo, s26
.LBB345_700:                            ;   in Loop: Header=BB345_515 Depth=1
	s_or_b32 exec_lo, exec_lo, s22
	v_mul_f32_e32 v9, s21, v19
	v_mul_f32_e32 v17, s21, v69
	;; [unrolled: 1-line block ×5, first 2 shown]
	v_bfe_u32 v22, v9, 16, 1
	v_or_b32_e32 v68, 0x400000, v9
	v_bfe_u32 v69, v17, 16, 1
	v_cmp_u_f32_e64 s0, v9, v9
	v_or_b32_e32 v71, 0x400000, v17
	v_add3_u32 v22, v22, v9, 0x7fff
	v_bfe_u32 v72, v18, 16, 1
	v_add3_u32 v69, v69, v17, 0x7fff
	v_or_b32_e32 v73, 0x400000, v18
	v_bfe_u32 v74, v19, 16, 1
	v_cndmask_b32_e64 v9, v22, v68, s0
	v_cmp_u_f32_e64 s0, v17, v17
	v_add3_u32 v72, v72, v18, 0x7fff
	v_or_b32_e32 v22, 0x400000, v19
	v_mul_f32_e32 v20, s21, v20
	v_lshrrev_b32_e32 v68, 16, v9
	v_cndmask_b32_e64 v17, v69, v71, s0
	v_cmp_u_f32_e64 s0, v18, v18
	v_mul_f32_e32 v9, s21, v21
	v_add3_u32 v21, v74, v19, 0x7fff
	v_lshrrev_b32_e32 v69, 16, v17
	v_cndmask_b32_e64 v18, v72, v73, s0
	v_bfe_u32 v17, v9, 16, 1
	v_cmp_u_f32_e64 s0, v19, v19
	v_mul_f32_e32 v19, s21, v70
	v_or_b32_e32 v73, 0x400000, v20
	v_lshrrev_b32_e32 v71, 16, v18
	v_add3_u32 v17, v17, v9, 0x7fff
	v_cndmask_b32_e64 v18, v21, v22, s0
	v_or_b32_e32 v21, 0x400000, v9
	v_bfe_u32 v22, v0, 16, 1
	v_cmp_u_f32_e64 s0, v9, v9
	v_bfe_u32 v70, v19, 16, 1
	v_or_b32_e32 v72, 0x400000, v19
	v_cndmask_b32_e64 v9, v17, v21, s0
	v_add3_u32 v21, v22, v0, 0x7fff
	v_or_b32_e32 v22, 0x400000, v0
	v_cmp_u_f32_e64 s0, v0, v0
	v_bfe_u32 v17, v20, 16, 1
	v_add3_u32 v70, v70, v19, 0x7fff
	v_lshrrev_b32_e32 v75, 16, v9
	v_cndmask_b32_e64 v0, v21, v22, s0
	v_cmp_u_f32_e64 s0, v19, v19
	v_add3_u32 v17, v17, v20, 0x7fff
	v_lshrrev_b32_e32 v74, 16, v0
	v_cndmask_b32_e64 v19, v70, v72, s0
	v_cmp_u_f32_e64 s0, v20, v20
	v_lshrrev_b32_e32 v70, 16, v19
	v_cndmask_b32_e64 v17, v17, v73, s0
	v_lshrrev_b32_e32 v73, 16, v18
	v_lshrrev_b32_e32 v72, 16, v17
	s_and_saveexec_b32 s22, vcc_lo
	s_cbranch_execz .LBB345_702
; %bb.701:                              ;   in Loop: Header=BB345_515 Depth=1
	v_cmp_gt_i32_e64 s0, s33, v52
	v_cndmask_b32_e64 v74, 0, v74, s0
	v_cmp_gt_i32_e64 s0, s33, v64
	v_cndmask_b32_e64 v75, 0, v75, s0
	;; [unrolled: 2-line block ×8, first 2 shown]
.LBB345_702:                            ;   in Loop: Header=BB345_515 Depth=1
	s_or_b32 exec_lo, exec_lo, s22
	global_load_dwordx2 v[17:18], v[15:16], off offset:768
	v_mov_b32_e32 v21, 0
	v_mov_b32_e32 v0, 0
	s_waitcnt vmcnt(0)
	v_cmp_ne_u16_sdwa s0, v17, v10 src0_sel:BYTE_0 src1_sel:DWORD
	s_and_saveexec_b32 s22, s0
	s_cbranch_execz .LBB345_708
; %bb.703:                              ;   in Loop: Header=BB345_515 Depth=1
	v_cmp_ne_u16_sdwa s0, v17, v35 src0_sel:BYTE_0 src1_sel:DWORD
	v_bfrev_b32_e32 v0, 1
	s_and_saveexec_b32 s26, s0
	s_cbranch_execz .LBB345_707
; %bb.704:                              ;   in Loop: Header=BB345_515 Depth=1
	v_and_b32_e32 v9, 0x7f, v17
	v_mov_b32_e32 v0, 0x7f800001
	s_mov_b32 s27, exec_lo
	v_cmpx_ne_u32_e32 0x7f, v9
	s_cbranch_execz .LBB345_706
; %bb.705:                              ;   in Loop: Header=BB345_515 Depth=1
	v_and_b32_e32 v0, 7, v17
	v_cmp_gt_u32_e64 s0, 8, v9
	v_lshrrev_b32_e32 v19, 3, v9
	v_ffbh_u32_e32 v0, v0
	v_min_u32_e32 v0, 32, v0
	v_subrev_nc_u32_e32 v20, 28, v0
	v_sub_nc_u32_e32 v0, 29, v0
	v_cndmask_b32_e64 v9, 0, v20, s0
	v_cndmask_b32_e64 v0, v19, v0, s0
	v_lshlrev_b64 v[19:20], v9, v[17:18]
	v_lshlrev_b32_e32 v9, 24, v17
	v_lshl_add_u32 v0, v0, 23, 0x3c000000
	v_and_b32_e32 v9, 0x80000000, v9
	v_lshlrev_b32_e32 v19, 20, v19
	v_and_b32_e32 v19, 0x700000, v19
	v_or3_b32 v0, v19, v9, v0
.LBB345_706:                            ;   in Loop: Header=BB345_515 Depth=1
	s_or_b32 exec_lo, exec_lo, s27
.LBB345_707:                            ;   in Loop: Header=BB345_515 Depth=1
	s_or_b32 exec_lo, exec_lo, s26
.LBB345_708:                            ;   in Loop: Header=BB345_515 Depth=1
	s_or_b32 exec_lo, exec_lo, s22
	v_cmp_ne_u16_sdwa s0, v17, v10 src0_sel:BYTE_1 src1_sel:DWORD
	s_and_saveexec_b32 s22, s0
	s_cbranch_execz .LBB345_716
; %bb.709:                              ;   in Loop: Header=BB345_515 Depth=1
	v_cmp_ne_u16_sdwa s0, v17, v35 src0_sel:BYTE_1 src1_sel:DWORD
	v_bfrev_b32_e32 v21, 1
	s_and_saveexec_b32 s26, s0
	s_cbranch_execz .LBB345_715
; %bb.710:                              ;   in Loop: Header=BB345_515 Depth=1
	v_and_b32_sdwa v9, v36, v17 dst_sel:DWORD dst_unused:UNUSED_PAD src0_sel:DWORD src1_sel:BYTE_1
	v_mov_b32_e32 v21, 0x7f800001
	s_mov_b32 s27, exec_lo
	v_and_b32_e32 v20, 0x7f, v9
	v_cmpx_ne_u32_e32 0x7f, v20
	s_cbranch_execz .LBB345_714
; %bb.711:                              ;   in Loop: Header=BB345_515 Depth=1
	v_and_b32_e32 v9, 7, v9
	v_lshrrev_b32_e32 v19, 3, v20
	s_mov_b32 s28, exec_lo
	v_cmpx_gt_u32_e32 8, v20
; %bb.712:                              ;   in Loop: Header=BB345_515 Depth=1
	v_ffbh_u32_e32 v19, v9
	v_min_u32_e32 v19, 32, v19
	v_subrev_nc_u32_e32 v20, 28, v19
	v_sub_nc_u32_e32 v19, 29, v19
	v_lshlrev_b64 v[20:21], v20, v[9:10]
	v_and_b32_e32 v9, 7, v20
; %bb.713:                              ;   in Loop: Header=BB345_515 Depth=1
	s_or_b32 exec_lo, exec_lo, s28
	v_lshlrev_b32_e32 v20, 16, v17
	v_lshlrev_b32_e32 v9, 20, v9
	v_lshl_add_u32 v19, v19, 23, 0x3c000000
	v_and_b32_e32 v20, 0x80000000, v20
	v_or3_b32 v21, v9, v20, v19
.LBB345_714:                            ;   in Loop: Header=BB345_515 Depth=1
	s_or_b32 exec_lo, exec_lo, s27
.LBB345_715:                            ;   in Loop: Header=BB345_515 Depth=1
	s_or_b32 exec_lo, exec_lo, s26
.LBB345_716:                            ;   in Loop: Header=BB345_515 Depth=1
	s_or_b32 exec_lo, exec_lo, s22
	v_and_b32_sdwa v9, v17, v37 dst_sel:DWORD dst_unused:UNUSED_PAD src0_sel:WORD_1 src1_sel:DWORD
	v_mov_b32_e32 v76, 0
	v_mov_b32_e32 v22, 0
	s_mov_b32 s22, exec_lo
	v_cmpx_ne_u16_e32 0, v9
	s_cbranch_execz .LBB345_724
; %bb.717:                              ;   in Loop: Header=BB345_515 Depth=1
	v_bfrev_b32_e32 v22, 1
	s_mov_b32 s26, exec_lo
	v_cmpx_ne_u16_e32 0x80, v9
	s_cbranch_execz .LBB345_723
; %bb.718:                              ;   in Loop: Header=BB345_515 Depth=1
	v_bfe_u32 v20, v17, 16, 7
	v_mov_b32_e32 v22, 0x7f800001
	s_mov_b32 s27, exec_lo
	v_cmpx_ne_u32_e32 0x7f, v20
	s_cbranch_execz .LBB345_722
; %bb.719:                              ;   in Loop: Header=BB345_515 Depth=1
	v_and_b32_sdwa v9, v17, v38 dst_sel:DWORD dst_unused:UNUSED_PAD src0_sel:WORD_1 src1_sel:DWORD
	v_lshrrev_b32_e32 v19, 3, v20
	s_mov_b32 s28, exec_lo
	v_cmpx_gt_u32_e32 8, v20
; %bb.720:                              ;   in Loop: Header=BB345_515 Depth=1
	v_ffbh_u32_e32 v19, v9
	v_min_u32_e32 v19, 32, v19
	v_subrev_nc_u32_e32 v20, 28, v19
	v_sub_nc_u32_e32 v19, 29, v19
	v_lshlrev_b64 v[77:78], v20, v[9:10]
	v_and_b32_e32 v9, 7, v77
; %bb.721:                              ;   in Loop: Header=BB345_515 Depth=1
	s_or_b32 exec_lo, exec_lo, s28
	v_lshlrev_b32_sdwa v20, v39, v17 dst_sel:DWORD dst_unused:UNUSED_PAD src0_sel:DWORD src1_sel:WORD_1
	v_lshlrev_b32_e32 v9, 20, v9
	v_lshl_add_u32 v19, v19, 23, 0x3c000000
	v_and_b32_e32 v20, 0x80000000, v20
	v_or3_b32 v22, v9, v20, v19
.LBB345_722:                            ;   in Loop: Header=BB345_515 Depth=1
	s_or_b32 exec_lo, exec_lo, s27
.LBB345_723:                            ;   in Loop: Header=BB345_515 Depth=1
	s_or_b32 exec_lo, exec_lo, s26
.LBB345_724:                            ;   in Loop: Header=BB345_515 Depth=1
	s_or_b32 exec_lo, exec_lo, s22
	s_mov_b32 s22, exec_lo
	v_cmpx_lt_u32_e32 0xffffff, v17
	s_cbranch_execz .LBB345_732
; %bb.725:                              ;   in Loop: Header=BB345_515 Depth=1
	v_cmp_ne_u32_sdwa s0, v17, v35 src0_sel:BYTE_3 src1_sel:DWORD
	v_bfrev_b32_e32 v76, 1
	s_and_saveexec_b32 s26, s0
	s_cbranch_execz .LBB345_731
; %bb.726:                              ;   in Loop: Header=BB345_515 Depth=1
	v_bfe_u32 v20, v17, 24, 7
	v_mov_b32_e32 v76, 0x7f800001
	s_mov_b32 s27, exec_lo
	v_cmpx_ne_u32_e32 0x7f, v20
	s_cbranch_execz .LBB345_730
; %bb.727:                              ;   in Loop: Header=BB345_515 Depth=1
	v_and_b32_sdwa v9, v17, v38 dst_sel:DWORD dst_unused:UNUSED_PAD src0_sel:BYTE_3 src1_sel:DWORD
	v_lshrrev_b32_e32 v19, 3, v20
	s_mov_b32 s28, exec_lo
	v_cmpx_gt_u32_e32 8, v20
; %bb.728:                              ;   in Loop: Header=BB345_515 Depth=1
	v_ffbh_u32_e32 v19, v9
	v_min_u32_e32 v19, 32, v19
	v_subrev_nc_u32_e32 v20, 28, v19
	v_sub_nc_u32_e32 v19, 29, v19
	v_lshlrev_b64 v[76:77], v20, v[9:10]
	v_and_b32_e32 v9, 7, v76
; %bb.729:                              ;   in Loop: Header=BB345_515 Depth=1
	s_or_b32 exec_lo, exec_lo, s28
	v_lshlrev_b32_sdwa v20, v39, v17 dst_sel:DWORD dst_unused:UNUSED_PAD src0_sel:DWORD src1_sel:BYTE_3
	v_lshlrev_b32_e32 v9, 20, v9
	v_lshl_add_u32 v19, v19, 23, 0x3c000000
	v_and_b32_e32 v20, 0x80000000, v20
	v_or3_b32 v76, v9, v20, v19
.LBB345_730:                            ;   in Loop: Header=BB345_515 Depth=1
	s_or_b32 exec_lo, exec_lo, s27
.LBB345_731:                            ;   in Loop: Header=BB345_515 Depth=1
	s_or_b32 exec_lo, exec_lo, s26
.LBB345_732:                            ;   in Loop: Header=BB345_515 Depth=1
	s_or_b32 exec_lo, exec_lo, s22
	v_mov_b32_e32 v9, v18
	v_cmp_ne_u16_sdwa s0, v18, v10 src0_sel:BYTE_0 src1_sel:DWORD
	v_mov_b32_e32 v19, 0
	v_mov_b32_e32 v77, 0
	s_and_saveexec_b32 s22, s0
	s_cbranch_execz .LBB345_738
; %bb.733:                              ;   in Loop: Header=BB345_515 Depth=1
	v_cmp_ne_u16_sdwa s0, v18, v35 src0_sel:BYTE_0 src1_sel:DWORD
	v_bfrev_b32_e32 v77, 1
	s_and_saveexec_b32 s26, s0
	s_cbranch_execz .LBB345_737
; %bb.734:                              ;   in Loop: Header=BB345_515 Depth=1
	v_and_b32_e32 v20, 0x7f, v18
	v_mov_b32_e32 v77, 0x7f800001
	s_mov_b32 s27, exec_lo
	v_cmpx_ne_u32_e32 0x7f, v20
	s_cbranch_execz .LBB345_736
; %bb.735:                              ;   in Loop: Header=BB345_515 Depth=1
	v_and_b32_e32 v77, 7, v18
	v_lshrrev_b32_e32 v78, 3, v20
	v_cmp_gt_u32_e64 s0, 8, v20
	v_ffbh_u32_e32 v77, v77
	v_min_u32_e32 v77, 32, v77
	v_subrev_nc_u32_e32 v79, 28, v77
	v_sub_nc_u32_e32 v77, 29, v77
	v_cndmask_b32_e64 v20, v78, v77, s0
	v_cndmask_b32_e64 v77, 0, v79, s0
	v_lshl_add_u32 v20, v20, 23, 0x3c000000
	v_lshlrev_b64 v[77:78], v77, v[9:10]
	v_lshlrev_b32_e32 v78, 24, v9
	v_lshlrev_b32_e32 v77, 20, v77
	v_and_b32_e32 v78, 0x80000000, v78
	v_and_b32_e32 v77, 0x700000, v77
	v_or3_b32 v77, v77, v78, v20
.LBB345_736:                            ;   in Loop: Header=BB345_515 Depth=1
	s_or_b32 exec_lo, exec_lo, s27
.LBB345_737:                            ;   in Loop: Header=BB345_515 Depth=1
	s_or_b32 exec_lo, exec_lo, s26
.LBB345_738:                            ;   in Loop: Header=BB345_515 Depth=1
	s_or_b32 exec_lo, exec_lo, s22
	v_cmp_ne_u16_sdwa s0, v9, v10 src0_sel:BYTE_1 src1_sel:DWORD
	s_and_saveexec_b32 s22, s0
	s_cbranch_execz .LBB345_746
; %bb.739:                              ;   in Loop: Header=BB345_515 Depth=1
	v_cmp_ne_u16_sdwa s0, v9, v35 src0_sel:BYTE_1 src1_sel:DWORD
	v_bfrev_b32_e32 v19, 1
	s_and_saveexec_b32 s26, s0
	s_cbranch_execz .LBB345_745
; %bb.740:                              ;   in Loop: Header=BB345_515 Depth=1
	v_and_b32_sdwa v20, v36, v9 dst_sel:DWORD dst_unused:UNUSED_PAD src0_sel:DWORD src1_sel:BYTE_1
	v_mov_b32_e32 v19, 0x7f800001
	s_mov_b32 s27, exec_lo
	v_and_b32_e32 v79, 0x7f, v20
	v_cmpx_ne_u32_e32 0x7f, v79
	s_cbranch_execz .LBB345_744
; %bb.741:                              ;   in Loop: Header=BB345_515 Depth=1
	v_and_b32_e32 v19, 7, v20
	v_mov_b32_e32 v20, v10
	v_lshrrev_b32_e32 v78, 3, v79
	s_mov_b32 s28, exec_lo
	v_cmpx_gt_u32_e32 8, v79
; %bb.742:                              ;   in Loop: Header=BB345_515 Depth=1
	v_ffbh_u32_e32 v78, v19
	v_min_u32_e32 v78, 32, v78
	v_subrev_nc_u32_e32 v79, 28, v78
	v_sub_nc_u32_e32 v78, 29, v78
	v_lshlrev_b64 v[19:20], v79, v[19:20]
	v_and_b32_e32 v19, 7, v19
; %bb.743:                              ;   in Loop: Header=BB345_515 Depth=1
	s_or_b32 exec_lo, exec_lo, s28
	v_lshlrev_b32_e32 v9, 16, v9
	v_lshlrev_b32_e32 v19, 20, v19
	v_lshl_add_u32 v20, v78, 23, 0x3c000000
	v_and_b32_e32 v9, 0x80000000, v9
	v_or3_b32 v19, v19, v9, v20
.LBB345_744:                            ;   in Loop: Header=BB345_515 Depth=1
	s_or_b32 exec_lo, exec_lo, s27
.LBB345_745:                            ;   in Loop: Header=BB345_515 Depth=1
	s_or_b32 exec_lo, exec_lo, s26
.LBB345_746:                            ;   in Loop: Header=BB345_515 Depth=1
	s_or_b32 exec_lo, exec_lo, s22
	v_and_b32_sdwa v9, v18, v37 dst_sel:DWORD dst_unused:UNUSED_PAD src0_sel:WORD_1 src1_sel:DWORD
	v_mov_b32_e32 v20, 0
	v_mov_b32_e32 v78, 0
	s_mov_b32 s22, exec_lo
	v_cmpx_ne_u16_e32 0, v9
	s_cbranch_execz .LBB345_754
; %bb.747:                              ;   in Loop: Header=BB345_515 Depth=1
	v_bfrev_b32_e32 v78, 1
	s_mov_b32 s26, exec_lo
	v_cmpx_ne_u16_e32 0x80, v9
	s_cbranch_execz .LBB345_753
; %bb.748:                              ;   in Loop: Header=BB345_515 Depth=1
	v_bfe_u32 v79, v18, 16, 7
	v_mov_b32_e32 v78, 0x7f800001
	s_mov_b32 s27, exec_lo
	v_cmpx_ne_u32_e32 0x7f, v79
	s_cbranch_execz .LBB345_752
; %bb.749:                              ;   in Loop: Header=BB345_515 Depth=1
	v_and_b32_sdwa v9, v18, v38 dst_sel:DWORD dst_unused:UNUSED_PAD src0_sel:WORD_1 src1_sel:DWORD
	v_lshrrev_b32_e32 v78, 3, v79
	s_mov_b32 s28, exec_lo
	v_cmpx_gt_u32_e32 8, v79
; %bb.750:                              ;   in Loop: Header=BB345_515 Depth=1
	v_ffbh_u32_e32 v78, v9
	v_min_u32_e32 v78, 32, v78
	v_subrev_nc_u32_e32 v79, 28, v78
	v_sub_nc_u32_e32 v78, 29, v78
	v_lshlrev_b64 v[79:80], v79, v[9:10]
	v_and_b32_e32 v9, 7, v79
; %bb.751:                              ;   in Loop: Header=BB345_515 Depth=1
	s_or_b32 exec_lo, exec_lo, s28
	v_lshlrev_b32_sdwa v79, v39, v18 dst_sel:DWORD dst_unused:UNUSED_PAD src0_sel:DWORD src1_sel:WORD_1
	v_lshlrev_b32_e32 v9, 20, v9
	v_lshl_add_u32 v78, v78, 23, 0x3c000000
	v_and_b32_e32 v79, 0x80000000, v79
	v_or3_b32 v78, v9, v79, v78
.LBB345_752:                            ;   in Loop: Header=BB345_515 Depth=1
	s_or_b32 exec_lo, exec_lo, s27
.LBB345_753:                            ;   in Loop: Header=BB345_515 Depth=1
	s_or_b32 exec_lo, exec_lo, s26
.LBB345_754:                            ;   in Loop: Header=BB345_515 Depth=1
	s_or_b32 exec_lo, exec_lo, s22
	s_mov_b32 s22, exec_lo
	v_cmpx_lt_u64_e64 s[2:3], v[17:18]
	s_cbranch_execz .LBB345_762
; %bb.755:                              ;   in Loop: Header=BB345_515 Depth=1
	v_cmp_ne_u32_sdwa s0, v18, v35 src0_sel:BYTE_3 src1_sel:DWORD
	v_bfrev_b32_e32 v20, 1
	s_and_saveexec_b32 s26, s0
	s_cbranch_execz .LBB345_761
; %bb.756:                              ;   in Loop: Header=BB345_515 Depth=1
	v_bfe_u32 v79, v18, 24, 7
	v_mov_b32_e32 v20, 0x7f800001
	s_mov_b32 s27, exec_lo
	v_cmpx_ne_u32_e32 0x7f, v79
	s_cbranch_execz .LBB345_760
; %bb.757:                              ;   in Loop: Header=BB345_515 Depth=1
	v_and_b32_sdwa v9, v18, v38 dst_sel:DWORD dst_unused:UNUSED_PAD src0_sel:BYTE_3 src1_sel:DWORD
	v_lshrrev_b32_e32 v17, 3, v79
	s_mov_b32 s28, exec_lo
	v_cmpx_gt_u32_e32 8, v79
; %bb.758:                              ;   in Loop: Header=BB345_515 Depth=1
	v_ffbh_u32_e32 v17, v9
	v_min_u32_e32 v17, 32, v17
	v_subrev_nc_u32_e32 v20, 28, v17
	v_sub_nc_u32_e32 v17, 29, v17
	v_lshlrev_b64 v[79:80], v20, v[9:10]
	v_and_b32_e32 v9, 7, v79
; %bb.759:                              ;   in Loop: Header=BB345_515 Depth=1
	s_or_b32 exec_lo, exec_lo, s28
	v_lshlrev_b32_sdwa v18, v39, v18 dst_sel:DWORD dst_unused:UNUSED_PAD src0_sel:DWORD src1_sel:BYTE_3
	v_lshlrev_b32_e32 v9, 20, v9
	v_lshl_add_u32 v17, v17, 23, 0x3c000000
	v_and_b32_e32 v18, 0x80000000, v18
	v_or3_b32 v20, v9, v18, v17
.LBB345_760:                            ;   in Loop: Header=BB345_515 Depth=1
	s_or_b32 exec_lo, exec_lo, s27
.LBB345_761:                            ;   in Loop: Header=BB345_515 Depth=1
	s_or_b32 exec_lo, exec_lo, s26
.LBB345_762:                            ;   in Loop: Header=BB345_515 Depth=1
	s_or_b32 exec_lo, exec_lo, s22
	v_mul_f32_e32 v9, s21, v19
	v_mul_f32_e32 v17, s21, v77
	;; [unrolled: 1-line block ×5, first 2 shown]
	v_bfe_u32 v22, v9, 16, 1
	v_or_b32_e32 v76, 0x400000, v9
	v_bfe_u32 v77, v17, 16, 1
	v_cmp_u_f32_e64 s0, v9, v9
	v_or_b32_e32 v79, 0x400000, v17
	v_add3_u32 v22, v22, v9, 0x7fff
	v_bfe_u32 v80, v18, 16, 1
	v_add3_u32 v77, v77, v17, 0x7fff
	v_or_b32_e32 v81, 0x400000, v18
	v_bfe_u32 v82, v19, 16, 1
	v_cndmask_b32_e64 v9, v22, v76, s0
	v_cmp_u_f32_e64 s0, v17, v17
	v_add3_u32 v80, v80, v18, 0x7fff
	v_or_b32_e32 v22, 0x400000, v19
	v_mul_f32_e32 v20, s21, v20
	v_lshrrev_b32_e32 v76, 16, v9
	v_cndmask_b32_e64 v17, v77, v79, s0
	v_cmp_u_f32_e64 s0, v18, v18
	v_mul_f32_e32 v9, s21, v21
	v_add3_u32 v21, v82, v19, 0x7fff
	v_lshrrev_b32_e32 v77, 16, v17
	v_cndmask_b32_e64 v18, v80, v81, s0
	v_bfe_u32 v17, v9, 16, 1
	v_cmp_u_f32_e64 s0, v19, v19
	v_mul_f32_e32 v19, s21, v78
	v_or_b32_e32 v81, 0x400000, v20
	v_lshrrev_b32_e32 v79, 16, v18
	v_add3_u32 v17, v17, v9, 0x7fff
	v_cndmask_b32_e64 v18, v21, v22, s0
	v_or_b32_e32 v21, 0x400000, v9
	v_bfe_u32 v22, v0, 16, 1
	v_cmp_u_f32_e64 s0, v9, v9
	v_bfe_u32 v78, v19, 16, 1
	v_or_b32_e32 v80, 0x400000, v19
	v_cndmask_b32_e64 v9, v17, v21, s0
	v_add3_u32 v21, v22, v0, 0x7fff
	v_or_b32_e32 v22, 0x400000, v0
	v_cmp_u_f32_e64 s0, v0, v0
	v_bfe_u32 v17, v20, 16, 1
	v_add3_u32 v78, v78, v19, 0x7fff
	v_lshrrev_b32_e32 v83, 16, v9
	v_cndmask_b32_e64 v0, v21, v22, s0
	v_cmp_u_f32_e64 s0, v19, v19
	v_add3_u32 v17, v17, v20, 0x7fff
	v_lshrrev_b32_e32 v82, 16, v0
	v_cndmask_b32_e64 v19, v78, v80, s0
	v_cmp_u_f32_e64 s0, v20, v20
	v_lshrrev_b32_e32 v78, 16, v19
	v_cndmask_b32_e64 v17, v17, v81, s0
	v_lshrrev_b32_e32 v81, 16, v18
	v_lshrrev_b32_e32 v80, 16, v17
	s_and_saveexec_b32 s22, vcc_lo
	s_cbranch_execz .LBB345_764
; %bb.763:                              ;   in Loop: Header=BB345_515 Depth=1
	v_cmp_gt_i32_e64 s0, s33, v52
	v_cndmask_b32_e64 v82, 0, v82, s0
	v_cmp_gt_i32_e64 s0, s33, v64
	v_cndmask_b32_e64 v83, 0, v83, s0
	;; [unrolled: 2-line block ×8, first 2 shown]
.LBB345_764:                            ;   in Loop: Header=BB345_515 Depth=1
	s_or_b32 exec_lo, exec_lo, s22
	global_load_dwordx2 v[17:18], v[15:16], off offset:1024
	v_mov_b32_e32 v21, 0
	v_mov_b32_e32 v0, 0
	s_waitcnt vmcnt(0)
	v_cmp_ne_u16_sdwa s0, v17, v10 src0_sel:BYTE_0 src1_sel:DWORD
	s_and_saveexec_b32 s22, s0
	s_cbranch_execz .LBB345_770
; %bb.765:                              ;   in Loop: Header=BB345_515 Depth=1
	v_cmp_ne_u16_sdwa s0, v17, v35 src0_sel:BYTE_0 src1_sel:DWORD
	v_bfrev_b32_e32 v0, 1
	s_and_saveexec_b32 s26, s0
	s_cbranch_execz .LBB345_769
; %bb.766:                              ;   in Loop: Header=BB345_515 Depth=1
	v_and_b32_e32 v9, 0x7f, v17
	v_mov_b32_e32 v0, 0x7f800001
	s_mov_b32 s27, exec_lo
	v_cmpx_ne_u32_e32 0x7f, v9
	s_cbranch_execz .LBB345_768
; %bb.767:                              ;   in Loop: Header=BB345_515 Depth=1
	v_and_b32_e32 v0, 7, v17
	v_cmp_gt_u32_e64 s0, 8, v9
	v_lshrrev_b32_e32 v19, 3, v9
	v_ffbh_u32_e32 v0, v0
	v_min_u32_e32 v0, 32, v0
	v_subrev_nc_u32_e32 v20, 28, v0
	v_sub_nc_u32_e32 v0, 29, v0
	v_cndmask_b32_e64 v9, 0, v20, s0
	v_cndmask_b32_e64 v0, v19, v0, s0
	v_lshlrev_b64 v[19:20], v9, v[17:18]
	v_lshlrev_b32_e32 v9, 24, v17
	v_lshl_add_u32 v0, v0, 23, 0x3c000000
	v_and_b32_e32 v9, 0x80000000, v9
	v_lshlrev_b32_e32 v19, 20, v19
	v_and_b32_e32 v19, 0x700000, v19
	v_or3_b32 v0, v19, v9, v0
.LBB345_768:                            ;   in Loop: Header=BB345_515 Depth=1
	s_or_b32 exec_lo, exec_lo, s27
.LBB345_769:                            ;   in Loop: Header=BB345_515 Depth=1
	s_or_b32 exec_lo, exec_lo, s26
.LBB345_770:                            ;   in Loop: Header=BB345_515 Depth=1
	s_or_b32 exec_lo, exec_lo, s22
	v_cmp_ne_u16_sdwa s0, v17, v10 src0_sel:BYTE_1 src1_sel:DWORD
	s_and_saveexec_b32 s22, s0
	s_cbranch_execz .LBB345_778
; %bb.771:                              ;   in Loop: Header=BB345_515 Depth=1
	v_cmp_ne_u16_sdwa s0, v17, v35 src0_sel:BYTE_1 src1_sel:DWORD
	v_bfrev_b32_e32 v21, 1
	s_and_saveexec_b32 s26, s0
	s_cbranch_execz .LBB345_777
; %bb.772:                              ;   in Loop: Header=BB345_515 Depth=1
	v_and_b32_sdwa v9, v36, v17 dst_sel:DWORD dst_unused:UNUSED_PAD src0_sel:DWORD src1_sel:BYTE_1
	v_mov_b32_e32 v21, 0x7f800001
	s_mov_b32 s27, exec_lo
	v_and_b32_e32 v20, 0x7f, v9
	v_cmpx_ne_u32_e32 0x7f, v20
	s_cbranch_execz .LBB345_776
; %bb.773:                              ;   in Loop: Header=BB345_515 Depth=1
	v_and_b32_e32 v9, 7, v9
	v_lshrrev_b32_e32 v19, 3, v20
	s_mov_b32 s28, exec_lo
	v_cmpx_gt_u32_e32 8, v20
; %bb.774:                              ;   in Loop: Header=BB345_515 Depth=1
	v_ffbh_u32_e32 v19, v9
	v_min_u32_e32 v19, 32, v19
	v_subrev_nc_u32_e32 v20, 28, v19
	v_sub_nc_u32_e32 v19, 29, v19
	v_lshlrev_b64 v[20:21], v20, v[9:10]
	v_and_b32_e32 v9, 7, v20
; %bb.775:                              ;   in Loop: Header=BB345_515 Depth=1
	s_or_b32 exec_lo, exec_lo, s28
	v_lshlrev_b32_e32 v20, 16, v17
	v_lshlrev_b32_e32 v9, 20, v9
	v_lshl_add_u32 v19, v19, 23, 0x3c000000
	v_and_b32_e32 v20, 0x80000000, v20
	v_or3_b32 v21, v9, v20, v19
.LBB345_776:                            ;   in Loop: Header=BB345_515 Depth=1
	s_or_b32 exec_lo, exec_lo, s27
.LBB345_777:                            ;   in Loop: Header=BB345_515 Depth=1
	s_or_b32 exec_lo, exec_lo, s26
.LBB345_778:                            ;   in Loop: Header=BB345_515 Depth=1
	s_or_b32 exec_lo, exec_lo, s22
	v_and_b32_sdwa v9, v17, v37 dst_sel:DWORD dst_unused:UNUSED_PAD src0_sel:WORD_1 src1_sel:DWORD
	v_mov_b32_e32 v84, 0
	v_mov_b32_e32 v22, 0
	s_mov_b32 s22, exec_lo
	v_cmpx_ne_u16_e32 0, v9
	s_cbranch_execz .LBB345_786
; %bb.779:                              ;   in Loop: Header=BB345_515 Depth=1
	v_bfrev_b32_e32 v22, 1
	s_mov_b32 s26, exec_lo
	v_cmpx_ne_u16_e32 0x80, v9
	s_cbranch_execz .LBB345_785
; %bb.780:                              ;   in Loop: Header=BB345_515 Depth=1
	v_bfe_u32 v20, v17, 16, 7
	v_mov_b32_e32 v22, 0x7f800001
	s_mov_b32 s27, exec_lo
	v_cmpx_ne_u32_e32 0x7f, v20
	s_cbranch_execz .LBB345_784
; %bb.781:                              ;   in Loop: Header=BB345_515 Depth=1
	v_and_b32_sdwa v9, v17, v38 dst_sel:DWORD dst_unused:UNUSED_PAD src0_sel:WORD_1 src1_sel:DWORD
	v_lshrrev_b32_e32 v19, 3, v20
	s_mov_b32 s28, exec_lo
	v_cmpx_gt_u32_e32 8, v20
; %bb.782:                              ;   in Loop: Header=BB345_515 Depth=1
	v_ffbh_u32_e32 v19, v9
	v_min_u32_e32 v19, 32, v19
	v_subrev_nc_u32_e32 v20, 28, v19
	v_sub_nc_u32_e32 v19, 29, v19
	v_lshlrev_b64 v[85:86], v20, v[9:10]
	v_and_b32_e32 v9, 7, v85
; %bb.783:                              ;   in Loop: Header=BB345_515 Depth=1
	s_or_b32 exec_lo, exec_lo, s28
	v_lshlrev_b32_sdwa v20, v39, v17 dst_sel:DWORD dst_unused:UNUSED_PAD src0_sel:DWORD src1_sel:WORD_1
	v_lshlrev_b32_e32 v9, 20, v9
	v_lshl_add_u32 v19, v19, 23, 0x3c000000
	v_and_b32_e32 v20, 0x80000000, v20
	v_or3_b32 v22, v9, v20, v19
.LBB345_784:                            ;   in Loop: Header=BB345_515 Depth=1
	s_or_b32 exec_lo, exec_lo, s27
.LBB345_785:                            ;   in Loop: Header=BB345_515 Depth=1
	s_or_b32 exec_lo, exec_lo, s26
.LBB345_786:                            ;   in Loop: Header=BB345_515 Depth=1
	s_or_b32 exec_lo, exec_lo, s22
	s_mov_b32 s22, exec_lo
	v_cmpx_lt_u32_e32 0xffffff, v17
	s_cbranch_execz .LBB345_794
; %bb.787:                              ;   in Loop: Header=BB345_515 Depth=1
	v_cmp_ne_u32_sdwa s0, v17, v35 src0_sel:BYTE_3 src1_sel:DWORD
	v_bfrev_b32_e32 v84, 1
	s_and_saveexec_b32 s26, s0
	s_cbranch_execz .LBB345_793
; %bb.788:                              ;   in Loop: Header=BB345_515 Depth=1
	v_bfe_u32 v20, v17, 24, 7
	v_mov_b32_e32 v84, 0x7f800001
	s_mov_b32 s27, exec_lo
	v_cmpx_ne_u32_e32 0x7f, v20
	s_cbranch_execz .LBB345_792
; %bb.789:                              ;   in Loop: Header=BB345_515 Depth=1
	v_and_b32_sdwa v9, v17, v38 dst_sel:DWORD dst_unused:UNUSED_PAD src0_sel:BYTE_3 src1_sel:DWORD
	v_lshrrev_b32_e32 v19, 3, v20
	s_mov_b32 s28, exec_lo
	v_cmpx_gt_u32_e32 8, v20
; %bb.790:                              ;   in Loop: Header=BB345_515 Depth=1
	v_ffbh_u32_e32 v19, v9
	v_min_u32_e32 v19, 32, v19
	v_subrev_nc_u32_e32 v20, 28, v19
	v_sub_nc_u32_e32 v19, 29, v19
	v_lshlrev_b64 v[84:85], v20, v[9:10]
	v_and_b32_e32 v9, 7, v84
; %bb.791:                              ;   in Loop: Header=BB345_515 Depth=1
	s_or_b32 exec_lo, exec_lo, s28
	v_lshlrev_b32_sdwa v20, v39, v17 dst_sel:DWORD dst_unused:UNUSED_PAD src0_sel:DWORD src1_sel:BYTE_3
	v_lshlrev_b32_e32 v9, 20, v9
	v_lshl_add_u32 v19, v19, 23, 0x3c000000
	v_and_b32_e32 v20, 0x80000000, v20
	v_or3_b32 v84, v9, v20, v19
.LBB345_792:                            ;   in Loop: Header=BB345_515 Depth=1
	s_or_b32 exec_lo, exec_lo, s27
.LBB345_793:                            ;   in Loop: Header=BB345_515 Depth=1
	s_or_b32 exec_lo, exec_lo, s26
.LBB345_794:                            ;   in Loop: Header=BB345_515 Depth=1
	s_or_b32 exec_lo, exec_lo, s22
	v_mov_b32_e32 v9, v18
	v_cmp_ne_u16_sdwa s0, v18, v10 src0_sel:BYTE_0 src1_sel:DWORD
	v_mov_b32_e32 v19, 0
	v_mov_b32_e32 v85, 0
	s_and_saveexec_b32 s22, s0
	s_cbranch_execz .LBB345_800
; %bb.795:                              ;   in Loop: Header=BB345_515 Depth=1
	v_cmp_ne_u16_sdwa s0, v18, v35 src0_sel:BYTE_0 src1_sel:DWORD
	v_bfrev_b32_e32 v85, 1
	s_and_saveexec_b32 s26, s0
	s_cbranch_execz .LBB345_799
; %bb.796:                              ;   in Loop: Header=BB345_515 Depth=1
	v_and_b32_e32 v20, 0x7f, v18
	v_mov_b32_e32 v85, 0x7f800001
	s_mov_b32 s27, exec_lo
	v_cmpx_ne_u32_e32 0x7f, v20
	s_cbranch_execz .LBB345_798
; %bb.797:                              ;   in Loop: Header=BB345_515 Depth=1
	v_and_b32_e32 v85, 7, v18
	v_lshrrev_b32_e32 v86, 3, v20
	v_cmp_gt_u32_e64 s0, 8, v20
	v_ffbh_u32_e32 v85, v85
	v_min_u32_e32 v85, 32, v85
	v_subrev_nc_u32_e32 v87, 28, v85
	v_sub_nc_u32_e32 v85, 29, v85
	v_cndmask_b32_e64 v20, v86, v85, s0
	v_cndmask_b32_e64 v85, 0, v87, s0
	v_lshl_add_u32 v20, v20, 23, 0x3c000000
	v_lshlrev_b64 v[85:86], v85, v[9:10]
	v_lshlrev_b32_e32 v86, 24, v9
	v_lshlrev_b32_e32 v85, 20, v85
	v_and_b32_e32 v86, 0x80000000, v86
	v_and_b32_e32 v85, 0x700000, v85
	v_or3_b32 v85, v85, v86, v20
.LBB345_798:                            ;   in Loop: Header=BB345_515 Depth=1
	s_or_b32 exec_lo, exec_lo, s27
.LBB345_799:                            ;   in Loop: Header=BB345_515 Depth=1
	s_or_b32 exec_lo, exec_lo, s26
.LBB345_800:                            ;   in Loop: Header=BB345_515 Depth=1
	s_or_b32 exec_lo, exec_lo, s22
	v_cmp_ne_u16_sdwa s0, v9, v10 src0_sel:BYTE_1 src1_sel:DWORD
	s_and_saveexec_b32 s22, s0
	s_cbranch_execz .LBB345_808
; %bb.801:                              ;   in Loop: Header=BB345_515 Depth=1
	v_cmp_ne_u16_sdwa s0, v9, v35 src0_sel:BYTE_1 src1_sel:DWORD
	v_bfrev_b32_e32 v19, 1
	s_and_saveexec_b32 s26, s0
	s_cbranch_execz .LBB345_807
; %bb.802:                              ;   in Loop: Header=BB345_515 Depth=1
	v_and_b32_sdwa v20, v36, v9 dst_sel:DWORD dst_unused:UNUSED_PAD src0_sel:DWORD src1_sel:BYTE_1
	v_mov_b32_e32 v19, 0x7f800001
	s_mov_b32 s27, exec_lo
	v_and_b32_e32 v87, 0x7f, v20
	v_cmpx_ne_u32_e32 0x7f, v87
	s_cbranch_execz .LBB345_806
; %bb.803:                              ;   in Loop: Header=BB345_515 Depth=1
	v_and_b32_e32 v19, 7, v20
	v_mov_b32_e32 v20, v10
	v_lshrrev_b32_e32 v86, 3, v87
	s_mov_b32 s28, exec_lo
	v_cmpx_gt_u32_e32 8, v87
; %bb.804:                              ;   in Loop: Header=BB345_515 Depth=1
	v_ffbh_u32_e32 v86, v19
	v_min_u32_e32 v86, 32, v86
	v_subrev_nc_u32_e32 v87, 28, v86
	v_sub_nc_u32_e32 v86, 29, v86
	v_lshlrev_b64 v[19:20], v87, v[19:20]
	v_and_b32_e32 v19, 7, v19
; %bb.805:                              ;   in Loop: Header=BB345_515 Depth=1
	s_or_b32 exec_lo, exec_lo, s28
	v_lshlrev_b32_e32 v9, 16, v9
	v_lshlrev_b32_e32 v19, 20, v19
	v_lshl_add_u32 v20, v86, 23, 0x3c000000
	v_and_b32_e32 v9, 0x80000000, v9
	v_or3_b32 v19, v19, v9, v20
.LBB345_806:                            ;   in Loop: Header=BB345_515 Depth=1
	s_or_b32 exec_lo, exec_lo, s27
.LBB345_807:                            ;   in Loop: Header=BB345_515 Depth=1
	s_or_b32 exec_lo, exec_lo, s26
.LBB345_808:                            ;   in Loop: Header=BB345_515 Depth=1
	s_or_b32 exec_lo, exec_lo, s22
	v_and_b32_sdwa v9, v18, v37 dst_sel:DWORD dst_unused:UNUSED_PAD src0_sel:WORD_1 src1_sel:DWORD
	v_mov_b32_e32 v20, 0
	v_mov_b32_e32 v86, 0
	s_mov_b32 s22, exec_lo
	v_cmpx_ne_u16_e32 0, v9
	s_cbranch_execz .LBB345_816
; %bb.809:                              ;   in Loop: Header=BB345_515 Depth=1
	v_bfrev_b32_e32 v86, 1
	s_mov_b32 s26, exec_lo
	v_cmpx_ne_u16_e32 0x80, v9
	s_cbranch_execz .LBB345_815
; %bb.810:                              ;   in Loop: Header=BB345_515 Depth=1
	v_bfe_u32 v87, v18, 16, 7
	v_mov_b32_e32 v86, 0x7f800001
	s_mov_b32 s27, exec_lo
	v_cmpx_ne_u32_e32 0x7f, v87
	s_cbranch_execz .LBB345_814
; %bb.811:                              ;   in Loop: Header=BB345_515 Depth=1
	v_and_b32_sdwa v9, v18, v38 dst_sel:DWORD dst_unused:UNUSED_PAD src0_sel:WORD_1 src1_sel:DWORD
	v_lshrrev_b32_e32 v86, 3, v87
	s_mov_b32 s28, exec_lo
	v_cmpx_gt_u32_e32 8, v87
; %bb.812:                              ;   in Loop: Header=BB345_515 Depth=1
	v_ffbh_u32_e32 v86, v9
	v_min_u32_e32 v86, 32, v86
	v_subrev_nc_u32_e32 v87, 28, v86
	v_sub_nc_u32_e32 v86, 29, v86
	v_lshlrev_b64 v[87:88], v87, v[9:10]
	v_and_b32_e32 v9, 7, v87
; %bb.813:                              ;   in Loop: Header=BB345_515 Depth=1
	s_or_b32 exec_lo, exec_lo, s28
	v_lshlrev_b32_sdwa v87, v39, v18 dst_sel:DWORD dst_unused:UNUSED_PAD src0_sel:DWORD src1_sel:WORD_1
	v_lshlrev_b32_e32 v9, 20, v9
	v_lshl_add_u32 v86, v86, 23, 0x3c000000
	v_and_b32_e32 v87, 0x80000000, v87
	v_or3_b32 v86, v9, v87, v86
.LBB345_814:                            ;   in Loop: Header=BB345_515 Depth=1
	s_or_b32 exec_lo, exec_lo, s27
.LBB345_815:                            ;   in Loop: Header=BB345_515 Depth=1
	s_or_b32 exec_lo, exec_lo, s26
.LBB345_816:                            ;   in Loop: Header=BB345_515 Depth=1
	s_or_b32 exec_lo, exec_lo, s22
	s_mov_b32 s22, exec_lo
	v_cmpx_lt_u64_e64 s[2:3], v[17:18]
	s_cbranch_execz .LBB345_824
; %bb.817:                              ;   in Loop: Header=BB345_515 Depth=1
	v_cmp_ne_u32_sdwa s0, v18, v35 src0_sel:BYTE_3 src1_sel:DWORD
	v_bfrev_b32_e32 v20, 1
	s_and_saveexec_b32 s26, s0
	s_cbranch_execz .LBB345_823
; %bb.818:                              ;   in Loop: Header=BB345_515 Depth=1
	v_bfe_u32 v87, v18, 24, 7
	v_mov_b32_e32 v20, 0x7f800001
	s_mov_b32 s27, exec_lo
	v_cmpx_ne_u32_e32 0x7f, v87
	s_cbranch_execz .LBB345_822
; %bb.819:                              ;   in Loop: Header=BB345_515 Depth=1
	v_and_b32_sdwa v9, v18, v38 dst_sel:DWORD dst_unused:UNUSED_PAD src0_sel:BYTE_3 src1_sel:DWORD
	v_lshrrev_b32_e32 v17, 3, v87
	s_mov_b32 s28, exec_lo
	v_cmpx_gt_u32_e32 8, v87
; %bb.820:                              ;   in Loop: Header=BB345_515 Depth=1
	v_ffbh_u32_e32 v17, v9
	v_min_u32_e32 v17, 32, v17
	v_subrev_nc_u32_e32 v20, 28, v17
	v_sub_nc_u32_e32 v17, 29, v17
	v_lshlrev_b64 v[87:88], v20, v[9:10]
	v_and_b32_e32 v9, 7, v87
; %bb.821:                              ;   in Loop: Header=BB345_515 Depth=1
	s_or_b32 exec_lo, exec_lo, s28
	v_lshlrev_b32_sdwa v18, v39, v18 dst_sel:DWORD dst_unused:UNUSED_PAD src0_sel:DWORD src1_sel:BYTE_3
	v_lshlrev_b32_e32 v9, 20, v9
	v_lshl_add_u32 v17, v17, 23, 0x3c000000
	v_and_b32_e32 v18, 0x80000000, v18
	v_or3_b32 v20, v9, v18, v17
.LBB345_822:                            ;   in Loop: Header=BB345_515 Depth=1
	s_or_b32 exec_lo, exec_lo, s27
.LBB345_823:                            ;   in Loop: Header=BB345_515 Depth=1
	s_or_b32 exec_lo, exec_lo, s26
.LBB345_824:                            ;   in Loop: Header=BB345_515 Depth=1
	s_or_b32 exec_lo, exec_lo, s22
	v_mul_f32_e32 v9, s21, v19
	v_mul_f32_e32 v17, s21, v85
	;; [unrolled: 1-line block ×5, first 2 shown]
	v_bfe_u32 v22, v9, 16, 1
	v_or_b32_e32 v84, 0x400000, v9
	v_bfe_u32 v85, v17, 16, 1
	v_cmp_u_f32_e64 s0, v9, v9
	v_or_b32_e32 v87, 0x400000, v17
	v_add3_u32 v22, v22, v9, 0x7fff
	v_bfe_u32 v88, v18, 16, 1
	v_add3_u32 v85, v85, v17, 0x7fff
	v_or_b32_e32 v89, 0x400000, v18
	v_bfe_u32 v90, v19, 16, 1
	v_cndmask_b32_e64 v9, v22, v84, s0
	v_cmp_u_f32_e64 s0, v17, v17
	v_add3_u32 v88, v88, v18, 0x7fff
	v_or_b32_e32 v22, 0x400000, v19
	v_mul_f32_e32 v20, s21, v20
	v_cndmask_b32_e64 v17, v85, v87, s0
	v_cmp_u_f32_e64 s0, v18, v18
	v_lshrrev_b32_e32 v85, 16, v9
	v_mul_f32_e32 v9, s21, v21
	v_add3_u32 v21, v90, v19, 0x7fff
	v_lshrrev_b32_e32 v84, 16, v17
	v_cndmask_b32_e64 v18, v88, v89, s0
	v_cmp_u_f32_e64 s0, v19, v19
	v_bfe_u32 v17, v9, 16, 1
	v_mul_f32_e32 v19, s21, v86
	v_or_b32_e32 v89, 0x400000, v20
	v_lshrrev_b32_e32 v87, 16, v18
	v_cndmask_b32_e64 v18, v21, v22, s0
	v_add3_u32 v17, v17, v9, 0x7fff
	v_or_b32_e32 v21, 0x400000, v9
	v_bfe_u32 v22, v0, 16, 1
	v_cmp_u_f32_e64 s0, v9, v9
	v_bfe_u32 v86, v19, 16, 1
	v_or_b32_e32 v88, 0x400000, v19
	v_cndmask_b32_e64 v9, v17, v21, s0
	v_add3_u32 v21, v22, v0, 0x7fff
	v_or_b32_e32 v22, 0x400000, v0
	v_cmp_u_f32_e64 s0, v0, v0
	v_bfe_u32 v17, v20, 16, 1
	v_add3_u32 v86, v86, v19, 0x7fff
	v_lshrrev_b32_e32 v91, 16, v9
	v_cndmask_b32_e64 v0, v21, v22, s0
	v_cmp_u_f32_e64 s0, v19, v19
	v_add3_u32 v17, v17, v20, 0x7fff
	v_lshrrev_b32_e32 v90, 16, v0
	v_cndmask_b32_e64 v19, v86, v88, s0
	v_cmp_u_f32_e64 s0, v20, v20
	v_lshrrev_b32_e32 v86, 16, v19
	v_cndmask_b32_e64 v17, v17, v89, s0
	v_lshrrev_b32_e32 v89, 16, v18
	v_lshrrev_b32_e32 v88, 16, v17
	s_and_saveexec_b32 s22, vcc_lo
	s_cbranch_execz .LBB345_826
; %bb.825:                              ;   in Loop: Header=BB345_515 Depth=1
	v_cmp_gt_i32_e64 s0, s33, v52
	v_cndmask_b32_e64 v90, 0, v90, s0
	v_cmp_gt_i32_e64 s0, s33, v64
	v_cndmask_b32_e64 v91, 0, v91, s0
	;; [unrolled: 2-line block ×8, first 2 shown]
.LBB345_826:                            ;   in Loop: Header=BB345_515 Depth=1
	s_or_b32 exec_lo, exec_lo, s22
	global_load_dwordx2 v[17:18], v[15:16], off offset:1280
	v_mov_b32_e32 v21, 0
	v_mov_b32_e32 v22, 0
	s_waitcnt vmcnt(0)
	v_cmp_ne_u16_sdwa s0, v17, v10 src0_sel:BYTE_0 src1_sel:DWORD
	s_and_saveexec_b32 s22, s0
	s_cbranch_execz .LBB345_832
; %bb.827:                              ;   in Loop: Header=BB345_515 Depth=1
	v_cmp_ne_u16_sdwa s0, v17, v35 src0_sel:BYTE_0 src1_sel:DWORD
	v_bfrev_b32_e32 v22, 1
	s_and_saveexec_b32 s26, s0
	s_cbranch_execz .LBB345_831
; %bb.828:                              ;   in Loop: Header=BB345_515 Depth=1
	v_and_b32_e32 v0, 0x7f, v17
	v_mov_b32_e32 v22, 0x7f800001
	s_mov_b32 s27, exec_lo
	v_cmpx_ne_u32_e32 0x7f, v0
	s_cbranch_execz .LBB345_830
; %bb.829:                              ;   in Loop: Header=BB345_515 Depth=1
	v_and_b32_e32 v9, 7, v17
	v_lshrrev_b32_e32 v19, 3, v0
	v_cmp_gt_u32_e64 s0, 8, v0
	v_ffbh_u32_e32 v9, v9
	v_min_u32_e32 v9, 32, v9
	v_subrev_nc_u32_e32 v20, 28, v9
	v_sub_nc_u32_e32 v9, 29, v9
	v_cndmask_b32_e64 v0, v19, v9, s0
	v_cndmask_b32_e64 v9, 0, v20, s0
	v_lshl_add_u32 v0, v0, 23, 0x3c000000
	v_lshlrev_b64 v[19:20], v9, v[17:18]
	v_lshlrev_b32_e32 v9, 24, v17
	v_and_b32_e32 v9, 0x80000000, v9
	v_lshlrev_b32_e32 v19, 20, v19
	v_and_b32_e32 v19, 0x700000, v19
	v_or3_b32 v22, v19, v9, v0
.LBB345_830:                            ;   in Loop: Header=BB345_515 Depth=1
	s_or_b32 exec_lo, exec_lo, s27
.LBB345_831:                            ;   in Loop: Header=BB345_515 Depth=1
	s_or_b32 exec_lo, exec_lo, s26
.LBB345_832:                            ;   in Loop: Header=BB345_515 Depth=1
	s_or_b32 exec_lo, exec_lo, s22
	v_cmp_ne_u16_sdwa s0, v17, v10 src0_sel:BYTE_1 src1_sel:DWORD
	s_and_saveexec_b32 s22, s0
	s_cbranch_execz .LBB345_840
; %bb.833:                              ;   in Loop: Header=BB345_515 Depth=1
	v_cmp_ne_u16_sdwa s0, v17, v35 src0_sel:BYTE_1 src1_sel:DWORD
	v_bfrev_b32_e32 v21, 1
	s_and_saveexec_b32 s26, s0
	s_cbranch_execz .LBB345_839
; %bb.834:                              ;   in Loop: Header=BB345_515 Depth=1
	v_and_b32_sdwa v0, v36, v17 dst_sel:DWORD dst_unused:UNUSED_PAD src0_sel:DWORD src1_sel:BYTE_1
	v_mov_b32_e32 v21, 0x7f800001
	s_mov_b32 s27, exec_lo
	v_and_b32_e32 v19, 0x7f, v0
	v_cmpx_ne_u32_e32 0x7f, v19
	s_cbranch_execz .LBB345_838
; %bb.835:                              ;   in Loop: Header=BB345_515 Depth=1
	v_and_b32_e32 v9, 7, v0
	v_lshrrev_b32_e32 v0, 3, v19
	s_mov_b32 s28, exec_lo
	v_cmpx_gt_u32_e32 8, v19
; %bb.836:                              ;   in Loop: Header=BB345_515 Depth=1
	v_ffbh_u32_e32 v0, v9
	v_min_u32_e32 v0, 32, v0
	v_subrev_nc_u32_e32 v19, 28, v0
	v_sub_nc_u32_e32 v0, 29, v0
	v_lshlrev_b64 v[19:20], v19, v[9:10]
	v_and_b32_e32 v9, 7, v19
; %bb.837:                              ;   in Loop: Header=BB345_515 Depth=1
	s_or_b32 exec_lo, exec_lo, s28
	v_lshlrev_b32_e32 v19, 16, v17
	v_lshlrev_b32_e32 v9, 20, v9
	v_lshl_add_u32 v0, v0, 23, 0x3c000000
	v_and_b32_e32 v19, 0x80000000, v19
	v_or3_b32 v21, v9, v19, v0
.LBB345_838:                            ;   in Loop: Header=BB345_515 Depth=1
	s_or_b32 exec_lo, exec_lo, s27
.LBB345_839:                            ;   in Loop: Header=BB345_515 Depth=1
	s_or_b32 exec_lo, exec_lo, s26
.LBB345_840:                            ;   in Loop: Header=BB345_515 Depth=1
	s_or_b32 exec_lo, exec_lo, s22
	v_and_b32_sdwa v9, v17, v37 dst_sel:DWORD dst_unused:UNUSED_PAD src0_sel:WORD_1 src1_sel:DWORD
	v_mov_b32_e32 v92, 0
	v_mov_b32_e32 v0, 0
	s_mov_b32 s22, exec_lo
	v_cmpx_ne_u16_e32 0, v9
	s_cbranch_execz .LBB345_848
; %bb.841:                              ;   in Loop: Header=BB345_515 Depth=1
	v_bfrev_b32_e32 v0, 1
	s_mov_b32 s26, exec_lo
	v_cmpx_ne_u16_e32 0x80, v9
	s_cbranch_execz .LBB345_847
; %bb.842:                              ;   in Loop: Header=BB345_515 Depth=1
	v_bfe_u32 v19, v17, 16, 7
	v_mov_b32_e32 v0, 0x7f800001
	s_mov_b32 s27, exec_lo
	v_cmpx_ne_u32_e32 0x7f, v19
	s_cbranch_execz .LBB345_846
; %bb.843:                              ;   in Loop: Header=BB345_515 Depth=1
	v_and_b32_sdwa v9, v17, v38 dst_sel:DWORD dst_unused:UNUSED_PAD src0_sel:WORD_1 src1_sel:DWORD
	v_lshrrev_b32_e32 v0, 3, v19
	s_mov_b32 s28, exec_lo
	v_cmpx_gt_u32_e32 8, v19
; %bb.844:                              ;   in Loop: Header=BB345_515 Depth=1
	v_ffbh_u32_e32 v0, v9
	v_min_u32_e32 v0, 32, v0
	v_subrev_nc_u32_e32 v19, 28, v0
	v_sub_nc_u32_e32 v0, 29, v0
	v_lshlrev_b64 v[19:20], v19, v[9:10]
	v_and_b32_e32 v9, 7, v19
; %bb.845:                              ;   in Loop: Header=BB345_515 Depth=1
	s_or_b32 exec_lo, exec_lo, s28
	v_lshlrev_b32_sdwa v19, v39, v17 dst_sel:DWORD dst_unused:UNUSED_PAD src0_sel:DWORD src1_sel:WORD_1
	v_lshlrev_b32_e32 v9, 20, v9
	v_lshl_add_u32 v0, v0, 23, 0x3c000000
	v_and_b32_e32 v19, 0x80000000, v19
	v_or3_b32 v0, v9, v19, v0
.LBB345_846:                            ;   in Loop: Header=BB345_515 Depth=1
	s_or_b32 exec_lo, exec_lo, s27
.LBB345_847:                            ;   in Loop: Header=BB345_515 Depth=1
	s_or_b32 exec_lo, exec_lo, s26
.LBB345_848:                            ;   in Loop: Header=BB345_515 Depth=1
	s_or_b32 exec_lo, exec_lo, s22
	s_mov_b32 s22, exec_lo
	v_cmpx_lt_u32_e32 0xffffff, v17
	s_cbranch_execz .LBB345_856
; %bb.849:                              ;   in Loop: Header=BB345_515 Depth=1
	v_cmp_ne_u32_sdwa s0, v17, v35 src0_sel:BYTE_3 src1_sel:DWORD
	v_bfrev_b32_e32 v92, 1
	s_and_saveexec_b32 s26, s0
	s_cbranch_execz .LBB345_855
; %bb.850:                              ;   in Loop: Header=BB345_515 Depth=1
	v_bfe_u32 v20, v17, 24, 7
	v_mov_b32_e32 v92, 0x7f800001
	s_mov_b32 s27, exec_lo
	v_cmpx_ne_u32_e32 0x7f, v20
	s_cbranch_execz .LBB345_854
; %bb.851:                              ;   in Loop: Header=BB345_515 Depth=1
	v_and_b32_sdwa v9, v17, v38 dst_sel:DWORD dst_unused:UNUSED_PAD src0_sel:BYTE_3 src1_sel:DWORD
	v_lshrrev_b32_e32 v19, 3, v20
	s_mov_b32 s28, exec_lo
	v_cmpx_gt_u32_e32 8, v20
; %bb.852:                              ;   in Loop: Header=BB345_515 Depth=1
	v_ffbh_u32_e32 v19, v9
	v_min_u32_e32 v19, 32, v19
	v_subrev_nc_u32_e32 v20, 28, v19
	v_sub_nc_u32_e32 v19, 29, v19
	v_lshlrev_b64 v[92:93], v20, v[9:10]
	v_and_b32_e32 v9, 7, v92
; %bb.853:                              ;   in Loop: Header=BB345_515 Depth=1
	s_or_b32 exec_lo, exec_lo, s28
	v_lshlrev_b32_sdwa v20, v39, v17 dst_sel:DWORD dst_unused:UNUSED_PAD src0_sel:DWORD src1_sel:BYTE_3
	v_lshlrev_b32_e32 v9, 20, v9
	v_lshl_add_u32 v19, v19, 23, 0x3c000000
	v_and_b32_e32 v20, 0x80000000, v20
	v_or3_b32 v92, v9, v20, v19
.LBB345_854:                            ;   in Loop: Header=BB345_515 Depth=1
	s_or_b32 exec_lo, exec_lo, s27
.LBB345_855:                            ;   in Loop: Header=BB345_515 Depth=1
	s_or_b32 exec_lo, exec_lo, s26
.LBB345_856:                            ;   in Loop: Header=BB345_515 Depth=1
	s_or_b32 exec_lo, exec_lo, s22
	v_mov_b32_e32 v9, v18
	v_cmp_ne_u16_sdwa s0, v18, v10 src0_sel:BYTE_0 src1_sel:DWORD
	v_mov_b32_e32 v19, 0
	v_mov_b32_e32 v93, 0
	s_and_saveexec_b32 s22, s0
	s_cbranch_execz .LBB345_862
; %bb.857:                              ;   in Loop: Header=BB345_515 Depth=1
	v_cmp_ne_u16_sdwa s0, v18, v35 src0_sel:BYTE_0 src1_sel:DWORD
	v_bfrev_b32_e32 v93, 1
	s_and_saveexec_b32 s26, s0
	s_cbranch_execz .LBB345_861
; %bb.858:                              ;   in Loop: Header=BB345_515 Depth=1
	v_and_b32_e32 v20, 0x7f, v18
	v_mov_b32_e32 v93, 0x7f800001
	s_mov_b32 s27, exec_lo
	v_cmpx_ne_u32_e32 0x7f, v20
	s_cbranch_execz .LBB345_860
; %bb.859:                              ;   in Loop: Header=BB345_515 Depth=1
	v_and_b32_e32 v93, 7, v18
	v_lshrrev_b32_e32 v94, 3, v20
	v_cmp_gt_u32_e64 s0, 8, v20
	v_ffbh_u32_e32 v93, v93
	v_min_u32_e32 v93, 32, v93
	v_subrev_nc_u32_e32 v95, 28, v93
	v_sub_nc_u32_e32 v93, 29, v93
	v_cndmask_b32_e64 v20, v94, v93, s0
	v_cndmask_b32_e64 v93, 0, v95, s0
	v_lshl_add_u32 v20, v20, 23, 0x3c000000
	v_lshlrev_b64 v[93:94], v93, v[9:10]
	v_lshlrev_b32_e32 v94, 24, v9
	v_lshlrev_b32_e32 v93, 20, v93
	v_and_b32_e32 v94, 0x80000000, v94
	v_and_b32_e32 v93, 0x700000, v93
	v_or3_b32 v93, v93, v94, v20
.LBB345_860:                            ;   in Loop: Header=BB345_515 Depth=1
	s_or_b32 exec_lo, exec_lo, s27
.LBB345_861:                            ;   in Loop: Header=BB345_515 Depth=1
	s_or_b32 exec_lo, exec_lo, s26
.LBB345_862:                            ;   in Loop: Header=BB345_515 Depth=1
	s_or_b32 exec_lo, exec_lo, s22
	v_cmp_ne_u16_sdwa s0, v9, v10 src0_sel:BYTE_1 src1_sel:DWORD
	s_and_saveexec_b32 s22, s0
	s_cbranch_execz .LBB345_870
; %bb.863:                              ;   in Loop: Header=BB345_515 Depth=1
	v_cmp_ne_u16_sdwa s0, v9, v35 src0_sel:BYTE_1 src1_sel:DWORD
	v_bfrev_b32_e32 v19, 1
	s_and_saveexec_b32 s26, s0
	s_cbranch_execz .LBB345_869
; %bb.864:                              ;   in Loop: Header=BB345_515 Depth=1
	v_and_b32_sdwa v20, v36, v9 dst_sel:DWORD dst_unused:UNUSED_PAD src0_sel:DWORD src1_sel:BYTE_1
	v_mov_b32_e32 v19, 0x7f800001
	s_mov_b32 s27, exec_lo
	v_and_b32_e32 v95, 0x7f, v20
	v_cmpx_ne_u32_e32 0x7f, v95
	s_cbranch_execz .LBB345_868
; %bb.865:                              ;   in Loop: Header=BB345_515 Depth=1
	v_and_b32_e32 v19, 7, v20
	v_mov_b32_e32 v20, v10
	v_lshrrev_b32_e32 v94, 3, v95
	s_mov_b32 s28, exec_lo
	v_cmpx_gt_u32_e32 8, v95
; %bb.866:                              ;   in Loop: Header=BB345_515 Depth=1
	v_ffbh_u32_e32 v94, v19
	v_min_u32_e32 v94, 32, v94
	v_subrev_nc_u32_e32 v95, 28, v94
	v_sub_nc_u32_e32 v94, 29, v94
	v_lshlrev_b64 v[19:20], v95, v[19:20]
	v_and_b32_e32 v19, 7, v19
; %bb.867:                              ;   in Loop: Header=BB345_515 Depth=1
	s_or_b32 exec_lo, exec_lo, s28
	v_lshlrev_b32_e32 v9, 16, v9
	v_lshlrev_b32_e32 v19, 20, v19
	v_lshl_add_u32 v20, v94, 23, 0x3c000000
	v_and_b32_e32 v9, 0x80000000, v9
	v_or3_b32 v19, v19, v9, v20
.LBB345_868:                            ;   in Loop: Header=BB345_515 Depth=1
	s_or_b32 exec_lo, exec_lo, s27
.LBB345_869:                            ;   in Loop: Header=BB345_515 Depth=1
	s_or_b32 exec_lo, exec_lo, s26
.LBB345_870:                            ;   in Loop: Header=BB345_515 Depth=1
	s_or_b32 exec_lo, exec_lo, s22
	v_and_b32_sdwa v9, v18, v37 dst_sel:DWORD dst_unused:UNUSED_PAD src0_sel:WORD_1 src1_sel:DWORD
	v_mov_b32_e32 v20, 0
	v_mov_b32_e32 v94, 0
	s_mov_b32 s22, exec_lo
	v_cmpx_ne_u16_e32 0, v9
	s_cbranch_execz .LBB345_878
; %bb.871:                              ;   in Loop: Header=BB345_515 Depth=1
	v_bfrev_b32_e32 v94, 1
	s_mov_b32 s26, exec_lo
	v_cmpx_ne_u16_e32 0x80, v9
	s_cbranch_execz .LBB345_877
; %bb.872:                              ;   in Loop: Header=BB345_515 Depth=1
	v_bfe_u32 v95, v18, 16, 7
	v_mov_b32_e32 v94, 0x7f800001
	s_mov_b32 s27, exec_lo
	v_cmpx_ne_u32_e32 0x7f, v95
	s_cbranch_execz .LBB345_876
; %bb.873:                              ;   in Loop: Header=BB345_515 Depth=1
	v_and_b32_sdwa v9, v18, v38 dst_sel:DWORD dst_unused:UNUSED_PAD src0_sel:WORD_1 src1_sel:DWORD
	v_lshrrev_b32_e32 v94, 3, v95
	s_mov_b32 s28, exec_lo
	v_cmpx_gt_u32_e32 8, v95
; %bb.874:                              ;   in Loop: Header=BB345_515 Depth=1
	v_ffbh_u32_e32 v94, v9
	v_min_u32_e32 v94, 32, v94
	v_subrev_nc_u32_e32 v95, 28, v94
	v_sub_nc_u32_e32 v94, 29, v94
	v_lshlrev_b64 v[95:96], v95, v[9:10]
	v_and_b32_e32 v9, 7, v95
; %bb.875:                              ;   in Loop: Header=BB345_515 Depth=1
	s_or_b32 exec_lo, exec_lo, s28
	v_lshlrev_b32_sdwa v95, v39, v18 dst_sel:DWORD dst_unused:UNUSED_PAD src0_sel:DWORD src1_sel:WORD_1
	v_lshlrev_b32_e32 v9, 20, v9
	v_lshl_add_u32 v94, v94, 23, 0x3c000000
	v_and_b32_e32 v95, 0x80000000, v95
	v_or3_b32 v94, v9, v95, v94
.LBB345_876:                            ;   in Loop: Header=BB345_515 Depth=1
	s_or_b32 exec_lo, exec_lo, s27
.LBB345_877:                            ;   in Loop: Header=BB345_515 Depth=1
	s_or_b32 exec_lo, exec_lo, s26
.LBB345_878:                            ;   in Loop: Header=BB345_515 Depth=1
	s_or_b32 exec_lo, exec_lo, s22
	s_mov_b32 s22, exec_lo
	v_cmpx_lt_u64_e64 s[2:3], v[17:18]
	s_cbranch_execz .LBB345_886
; %bb.879:                              ;   in Loop: Header=BB345_515 Depth=1
	v_cmp_ne_u32_sdwa s0, v18, v35 src0_sel:BYTE_3 src1_sel:DWORD
	v_bfrev_b32_e32 v20, 1
	s_and_saveexec_b32 s26, s0
	s_cbranch_execz .LBB345_885
; %bb.880:                              ;   in Loop: Header=BB345_515 Depth=1
	v_bfe_u32 v95, v18, 24, 7
	v_mov_b32_e32 v20, 0x7f800001
	s_mov_b32 s27, exec_lo
	v_cmpx_ne_u32_e32 0x7f, v95
	s_cbranch_execz .LBB345_884
; %bb.881:                              ;   in Loop: Header=BB345_515 Depth=1
	v_and_b32_sdwa v9, v18, v38 dst_sel:DWORD dst_unused:UNUSED_PAD src0_sel:BYTE_3 src1_sel:DWORD
	v_lshrrev_b32_e32 v17, 3, v95
	s_mov_b32 s28, exec_lo
	v_cmpx_gt_u32_e32 8, v95
; %bb.882:                              ;   in Loop: Header=BB345_515 Depth=1
	v_ffbh_u32_e32 v17, v9
	v_min_u32_e32 v17, 32, v17
	v_subrev_nc_u32_e32 v20, 28, v17
	v_sub_nc_u32_e32 v17, 29, v17
	v_lshlrev_b64 v[95:96], v20, v[9:10]
	v_and_b32_e32 v9, 7, v95
; %bb.883:                              ;   in Loop: Header=BB345_515 Depth=1
	s_or_b32 exec_lo, exec_lo, s28
	v_lshlrev_b32_sdwa v18, v39, v18 dst_sel:DWORD dst_unused:UNUSED_PAD src0_sel:DWORD src1_sel:BYTE_3
	v_lshlrev_b32_e32 v9, 20, v9
	v_lshl_add_u32 v17, v17, 23, 0x3c000000
	v_and_b32_e32 v18, 0x80000000, v18
	v_or3_b32 v20, v9, v18, v17
.LBB345_884:                            ;   in Loop: Header=BB345_515 Depth=1
	s_or_b32 exec_lo, exec_lo, s27
.LBB345_885:                            ;   in Loop: Header=BB345_515 Depth=1
	s_or_b32 exec_lo, exec_lo, s26
.LBB345_886:                            ;   in Loop: Header=BB345_515 Depth=1
	s_or_b32 exec_lo, exec_lo, s22
	v_mul_f32_e32 v9, s21, v19
	v_mul_f32_e32 v17, s21, v93
	;; [unrolled: 1-line block ×5, first 2 shown]
	v_bfe_u32 v0, v9, 16, 1
	v_or_b32_e32 v92, 0x400000, v9
	v_bfe_u32 v93, v17, 16, 1
	v_cmp_u_f32_e64 s0, v9, v9
	v_or_b32_e32 v95, 0x400000, v17
	v_add3_u32 v0, v0, v9, 0x7fff
	v_bfe_u32 v96, v18, 16, 1
	v_add3_u32 v93, v93, v17, 0x7fff
	v_or_b32_e32 v97, 0x400000, v18
	v_bfe_u32 v98, v19, 16, 1
	v_cndmask_b32_e64 v0, v0, v92, s0
	v_cmp_u_f32_e64 s0, v17, v17
	v_add3_u32 v96, v96, v18, 0x7fff
	v_lshrrev_b32_e32 v0, 16, v0
	v_cndmask_b32_e64 v9, v93, v95, s0
	v_cmp_u_f32_e64 s0, v18, v18
	v_mul_f32_e32 v18, s21, v21
	v_add3_u32 v93, v98, v19, 0x7fff
	v_or_b32_e32 v95, 0x400000, v19
	v_lshrrev_b32_e32 v21, 16, v9
	v_cndmask_b32_e64 v17, v96, v97, s0
	v_bfe_u32 v9, v18, 16, 1
	v_cmp_u_f32_e64 s0, v19, v19
	v_mul_f32_e32 v19, s21, v22
	v_mul_f32_e32 v22, s21, v94
	v_lshrrev_b32_e32 v92, 16, v17
	v_add3_u32 v9, v9, v18, 0x7fff
	v_cndmask_b32_e64 v17, v93, v95, s0
	v_or_b32_e32 v93, 0x400000, v18
	v_bfe_u32 v94, v19, 16, 1
	v_cmp_u_f32_e64 s0, v18, v18
	v_bfe_u32 v95, v22, 16, 1
	v_bfe_u32 v18, v20, 16, 1
	v_or_b32_e32 v96, 0x400000, v22
	v_or_b32_e32 v97, 0x400000, v20
	v_cndmask_b32_e64 v9, v9, v93, s0
	v_add3_u32 v93, v94, v19, 0x7fff
	v_or_b32_e32 v94, 0x400000, v19
	v_cmp_u_f32_e64 s0, v19, v19
	v_add3_u32 v95, v95, v22, 0x7fff
	v_add3_u32 v18, v18, v20, 0x7fff
	v_cndmask_b32_e64 v19, v93, v94, s0
	v_cmp_u_f32_e64 s0, v22, v22
	v_lshrrev_b32_e32 v94, 16, v17
	v_cndmask_b32_e64 v22, v95, v96, s0
	v_cmp_u_f32_e64 s0, v20, v20
	v_lshrrev_b32_e32 v96, 16, v9
	v_lshrrev_b32_e32 v95, 16, v19
	;; [unrolled: 1-line block ×3, first 2 shown]
	v_cndmask_b32_e64 v18, v18, v97, s0
	v_lshrrev_b32_e32 v93, 16, v18
	s_and_saveexec_b32 s22, vcc_lo
	s_cbranch_execz .LBB345_888
; %bb.887:                              ;   in Loop: Header=BB345_515 Depth=1
	v_cmp_gt_i32_e64 s0, s33, v52
	v_cndmask_b32_e64 v95, 0, v95, s0
	v_cmp_gt_i32_e64 s0, s33, v64
	v_cndmask_b32_e64 v96, 0, v96, s0
	;; [unrolled: 2-line block ×8, first 2 shown]
.LBB345_888:                            ;   in Loop: Header=BB345_515 Depth=1
	s_or_b32 exec_lo, exec_lo, s22
	global_load_dwordx2 v[17:18], v[15:16], off offset:1536
	v_mov_b32_e32 v99, 0
	v_mov_b32_e32 v98, 0
	s_waitcnt vmcnt(0)
	v_cmp_ne_u16_sdwa s0, v17, v10 src0_sel:BYTE_0 src1_sel:DWORD
	s_and_saveexec_b32 s22, s0
	s_cbranch_execz .LBB345_894
; %bb.889:                              ;   in Loop: Header=BB345_515 Depth=1
	v_cmp_ne_u16_sdwa s0, v17, v35 src0_sel:BYTE_0 src1_sel:DWORD
	v_bfrev_b32_e32 v98, 1
	s_and_saveexec_b32 s26, s0
	s_cbranch_execz .LBB345_893
; %bb.890:                              ;   in Loop: Header=BB345_515 Depth=1
	v_and_b32_e32 v9, 0x7f, v17
	v_mov_b32_e32 v98, 0x7f800001
	s_mov_b32 s27, exec_lo
	v_cmpx_ne_u32_e32 0x7f, v9
	s_cbranch_execz .LBB345_892
; %bb.891:                              ;   in Loop: Header=BB345_515 Depth=1
	v_and_b32_e32 v19, 7, v17
	v_lshrrev_b32_e32 v20, 3, v9
	v_cmp_gt_u32_e64 s0, 8, v9
	v_ffbh_u32_e32 v19, v19
	v_min_u32_e32 v19, 32, v19
	v_subrev_nc_u32_e32 v97, 28, v19
	v_sub_nc_u32_e32 v19, 29, v19
	v_cndmask_b32_e64 v9, v20, v19, s0
	v_cndmask_b32_e64 v19, 0, v97, s0
	v_lshl_add_u32 v9, v9, 23, 0x3c000000
	v_lshlrev_b64 v[19:20], v19, v[17:18]
	v_lshlrev_b32_e32 v20, 24, v17
	v_lshlrev_b32_e32 v19, 20, v19
	v_and_b32_e32 v20, 0x80000000, v20
	v_and_b32_e32 v19, 0x700000, v19
	v_or3_b32 v98, v19, v20, v9
.LBB345_892:                            ;   in Loop: Header=BB345_515 Depth=1
	s_or_b32 exec_lo, exec_lo, s27
.LBB345_893:                            ;   in Loop: Header=BB345_515 Depth=1
	s_or_b32 exec_lo, exec_lo, s26
.LBB345_894:                            ;   in Loop: Header=BB345_515 Depth=1
	s_or_b32 exec_lo, exec_lo, s22
	v_cmp_ne_u16_sdwa s0, v17, v10 src0_sel:BYTE_1 src1_sel:DWORD
	s_and_saveexec_b32 s22, s0
	s_cbranch_execz .LBB345_902
; %bb.895:                              ;   in Loop: Header=BB345_515 Depth=1
	v_cmp_ne_u16_sdwa s0, v17, v35 src0_sel:BYTE_1 src1_sel:DWORD
	v_bfrev_b32_e32 v99, 1
	s_and_saveexec_b32 s26, s0
	s_cbranch_execz .LBB345_901
; %bb.896:                              ;   in Loop: Header=BB345_515 Depth=1
	v_and_b32_sdwa v9, v36, v17 dst_sel:DWORD dst_unused:UNUSED_PAD src0_sel:DWORD src1_sel:BYTE_1
	v_mov_b32_e32 v99, 0x7f800001
	s_mov_b32 s27, exec_lo
	v_and_b32_e32 v20, 0x7f, v9
	v_cmpx_ne_u32_e32 0x7f, v20
	s_cbranch_execz .LBB345_900
; %bb.897:                              ;   in Loop: Header=BB345_515 Depth=1
	v_and_b32_e32 v9, 7, v9
	v_lshrrev_b32_e32 v19, 3, v20
	s_mov_b32 s28, exec_lo
	v_cmpx_gt_u32_e32 8, v20
; %bb.898:                              ;   in Loop: Header=BB345_515 Depth=1
	v_ffbh_u32_e32 v19, v9
	v_min_u32_e32 v19, 32, v19
	v_subrev_nc_u32_e32 v20, 28, v19
	v_sub_nc_u32_e32 v19, 29, v19
	v_lshlrev_b64 v[99:100], v20, v[9:10]
	v_and_b32_e32 v9, 7, v99
; %bb.899:                              ;   in Loop: Header=BB345_515 Depth=1
	s_or_b32 exec_lo, exec_lo, s28
	v_lshlrev_b32_e32 v20, 16, v17
	v_lshlrev_b32_e32 v9, 20, v9
	v_lshl_add_u32 v19, v19, 23, 0x3c000000
	v_and_b32_e32 v20, 0x80000000, v20
	v_or3_b32 v99, v9, v20, v19
.LBB345_900:                            ;   in Loop: Header=BB345_515 Depth=1
	s_or_b32 exec_lo, exec_lo, s27
.LBB345_901:                            ;   in Loop: Header=BB345_515 Depth=1
	s_or_b32 exec_lo, exec_lo, s26
.LBB345_902:                            ;   in Loop: Header=BB345_515 Depth=1
	s_or_b32 exec_lo, exec_lo, s22
	v_and_b32_sdwa v9, v17, v37 dst_sel:DWORD dst_unused:UNUSED_PAD src0_sel:WORD_1 src1_sel:DWORD
	v_mov_b32_e32 v100, 0
	v_mov_b32_e32 v97, 0
	s_mov_b32 s22, exec_lo
	v_cmpx_ne_u16_e32 0, v9
	s_cbranch_execz .LBB345_910
; %bb.903:                              ;   in Loop: Header=BB345_515 Depth=1
	v_bfrev_b32_e32 v97, 1
	s_mov_b32 s26, exec_lo
	v_cmpx_ne_u16_e32 0x80, v9
	s_cbranch_execz .LBB345_909
; %bb.904:                              ;   in Loop: Header=BB345_515 Depth=1
	v_bfe_u32 v20, v17, 16, 7
	v_mov_b32_e32 v97, 0x7f800001
	s_mov_b32 s27, exec_lo
	v_cmpx_ne_u32_e32 0x7f, v20
	s_cbranch_execz .LBB345_908
; %bb.905:                              ;   in Loop: Header=BB345_515 Depth=1
	v_and_b32_sdwa v9, v17, v38 dst_sel:DWORD dst_unused:UNUSED_PAD src0_sel:WORD_1 src1_sel:DWORD
	v_lshrrev_b32_e32 v19, 3, v20
	s_mov_b32 s28, exec_lo
	v_cmpx_gt_u32_e32 8, v20
; %bb.906:                              ;   in Loop: Header=BB345_515 Depth=1
	v_ffbh_u32_e32 v19, v9
	v_min_u32_e32 v19, 32, v19
	v_subrev_nc_u32_e32 v20, 28, v19
	v_sub_nc_u32_e32 v19, 29, v19
	v_lshlrev_b64 v[101:102], v20, v[9:10]
	v_and_b32_e32 v9, 7, v101
; %bb.907:                              ;   in Loop: Header=BB345_515 Depth=1
	s_or_b32 exec_lo, exec_lo, s28
	v_lshlrev_b32_sdwa v20, v39, v17 dst_sel:DWORD dst_unused:UNUSED_PAD src0_sel:DWORD src1_sel:WORD_1
	v_lshlrev_b32_e32 v9, 20, v9
	v_lshl_add_u32 v19, v19, 23, 0x3c000000
	v_and_b32_e32 v20, 0x80000000, v20
	v_or3_b32 v97, v9, v20, v19
.LBB345_908:                            ;   in Loop: Header=BB345_515 Depth=1
	s_or_b32 exec_lo, exec_lo, s27
.LBB345_909:                            ;   in Loop: Header=BB345_515 Depth=1
	s_or_b32 exec_lo, exec_lo, s26
.LBB345_910:                            ;   in Loop: Header=BB345_515 Depth=1
	s_or_b32 exec_lo, exec_lo, s22
	s_mov_b32 s22, exec_lo
	v_cmpx_lt_u32_e32 0xffffff, v17
	s_cbranch_execz .LBB345_918
; %bb.911:                              ;   in Loop: Header=BB345_515 Depth=1
	v_cmp_ne_u32_sdwa s0, v17, v35 src0_sel:BYTE_3 src1_sel:DWORD
	v_bfrev_b32_e32 v100, 1
	s_and_saveexec_b32 s26, s0
	s_cbranch_execz .LBB345_917
; %bb.912:                              ;   in Loop: Header=BB345_515 Depth=1
	v_bfe_u32 v20, v17, 24, 7
	v_mov_b32_e32 v100, 0x7f800001
	s_mov_b32 s27, exec_lo
	v_cmpx_ne_u32_e32 0x7f, v20
	s_cbranch_execz .LBB345_916
; %bb.913:                              ;   in Loop: Header=BB345_515 Depth=1
	v_and_b32_sdwa v9, v17, v38 dst_sel:DWORD dst_unused:UNUSED_PAD src0_sel:BYTE_3 src1_sel:DWORD
	v_lshrrev_b32_e32 v19, 3, v20
	s_mov_b32 s28, exec_lo
	v_cmpx_gt_u32_e32 8, v20
; %bb.914:                              ;   in Loop: Header=BB345_515 Depth=1
	v_ffbh_u32_e32 v19, v9
	v_min_u32_e32 v19, 32, v19
	v_subrev_nc_u32_e32 v20, 28, v19
	v_sub_nc_u32_e32 v19, 29, v19
	v_lshlrev_b64 v[100:101], v20, v[9:10]
	v_and_b32_e32 v9, 7, v100
; %bb.915:                              ;   in Loop: Header=BB345_515 Depth=1
	s_or_b32 exec_lo, exec_lo, s28
	v_lshlrev_b32_sdwa v20, v39, v17 dst_sel:DWORD dst_unused:UNUSED_PAD src0_sel:DWORD src1_sel:BYTE_3
	v_lshlrev_b32_e32 v9, 20, v9
	v_lshl_add_u32 v19, v19, 23, 0x3c000000
	v_and_b32_e32 v20, 0x80000000, v20
	v_or3_b32 v100, v9, v20, v19
.LBB345_916:                            ;   in Loop: Header=BB345_515 Depth=1
	s_or_b32 exec_lo, exec_lo, s27
.LBB345_917:                            ;   in Loop: Header=BB345_515 Depth=1
	s_or_b32 exec_lo, exec_lo, s26
.LBB345_918:                            ;   in Loop: Header=BB345_515 Depth=1
	s_or_b32 exec_lo, exec_lo, s22
	v_mov_b32_e32 v9, v18
	v_cmp_ne_u16_sdwa s0, v18, v10 src0_sel:BYTE_0 src1_sel:DWORD
	v_mov_b32_e32 v19, 0
	v_mov_b32_e32 v101, 0
	s_and_saveexec_b32 s22, s0
	s_cbranch_execz .LBB345_924
; %bb.919:                              ;   in Loop: Header=BB345_515 Depth=1
	v_cmp_ne_u16_sdwa s0, v18, v35 src0_sel:BYTE_0 src1_sel:DWORD
	v_bfrev_b32_e32 v101, 1
	s_and_saveexec_b32 s26, s0
	s_cbranch_execz .LBB345_923
; %bb.920:                              ;   in Loop: Header=BB345_515 Depth=1
	v_and_b32_e32 v20, 0x7f, v18
	v_mov_b32_e32 v101, 0x7f800001
	s_mov_b32 s27, exec_lo
	v_cmpx_ne_u32_e32 0x7f, v20
	s_cbranch_execz .LBB345_922
; %bb.921:                              ;   in Loop: Header=BB345_515 Depth=1
	v_and_b32_e32 v101, 7, v18
	v_lshrrev_b32_e32 v102, 3, v20
	v_cmp_gt_u32_e64 s0, 8, v20
	v_ffbh_u32_e32 v101, v101
	v_min_u32_e32 v101, 32, v101
	v_subrev_nc_u32_e32 v103, 28, v101
	v_sub_nc_u32_e32 v101, 29, v101
	v_cndmask_b32_e64 v20, v102, v101, s0
	v_cndmask_b32_e64 v101, 0, v103, s0
	v_lshl_add_u32 v20, v20, 23, 0x3c000000
	v_lshlrev_b64 v[101:102], v101, v[9:10]
	v_lshlrev_b32_e32 v102, 24, v9
	v_lshlrev_b32_e32 v101, 20, v101
	v_and_b32_e32 v102, 0x80000000, v102
	v_and_b32_e32 v101, 0x700000, v101
	v_or3_b32 v101, v101, v102, v20
.LBB345_922:                            ;   in Loop: Header=BB345_515 Depth=1
	s_or_b32 exec_lo, exec_lo, s27
.LBB345_923:                            ;   in Loop: Header=BB345_515 Depth=1
	s_or_b32 exec_lo, exec_lo, s26
.LBB345_924:                            ;   in Loop: Header=BB345_515 Depth=1
	s_or_b32 exec_lo, exec_lo, s22
	v_cmp_ne_u16_sdwa s0, v9, v10 src0_sel:BYTE_1 src1_sel:DWORD
	s_and_saveexec_b32 s22, s0
	s_cbranch_execz .LBB345_932
; %bb.925:                              ;   in Loop: Header=BB345_515 Depth=1
	v_cmp_ne_u16_sdwa s0, v9, v35 src0_sel:BYTE_1 src1_sel:DWORD
	v_bfrev_b32_e32 v19, 1
	s_and_saveexec_b32 s26, s0
	s_cbranch_execz .LBB345_931
; %bb.926:                              ;   in Loop: Header=BB345_515 Depth=1
	v_and_b32_sdwa v20, v36, v9 dst_sel:DWORD dst_unused:UNUSED_PAD src0_sel:DWORD src1_sel:BYTE_1
	v_mov_b32_e32 v19, 0x7f800001
	s_mov_b32 s27, exec_lo
	v_and_b32_e32 v103, 0x7f, v20
	v_cmpx_ne_u32_e32 0x7f, v103
	s_cbranch_execz .LBB345_930
; %bb.927:                              ;   in Loop: Header=BB345_515 Depth=1
	v_and_b32_e32 v19, 7, v20
	v_mov_b32_e32 v20, v10
	v_lshrrev_b32_e32 v102, 3, v103
	s_mov_b32 s28, exec_lo
	v_cmpx_gt_u32_e32 8, v103
; %bb.928:                              ;   in Loop: Header=BB345_515 Depth=1
	v_ffbh_u32_e32 v102, v19
	v_min_u32_e32 v102, 32, v102
	v_subrev_nc_u32_e32 v103, 28, v102
	v_sub_nc_u32_e32 v102, 29, v102
	v_lshlrev_b64 v[19:20], v103, v[19:20]
	v_and_b32_e32 v19, 7, v19
; %bb.929:                              ;   in Loop: Header=BB345_515 Depth=1
	s_or_b32 exec_lo, exec_lo, s28
	v_lshlrev_b32_e32 v9, 16, v9
	v_lshlrev_b32_e32 v19, 20, v19
	v_lshl_add_u32 v20, v102, 23, 0x3c000000
	v_and_b32_e32 v9, 0x80000000, v9
	v_or3_b32 v19, v19, v9, v20
.LBB345_930:                            ;   in Loop: Header=BB345_515 Depth=1
	s_or_b32 exec_lo, exec_lo, s27
.LBB345_931:                            ;   in Loop: Header=BB345_515 Depth=1
	s_or_b32 exec_lo, exec_lo, s26
.LBB345_932:                            ;   in Loop: Header=BB345_515 Depth=1
	s_or_b32 exec_lo, exec_lo, s22
	v_and_b32_sdwa v9, v18, v37 dst_sel:DWORD dst_unused:UNUSED_PAD src0_sel:WORD_1 src1_sel:DWORD
	v_mov_b32_e32 v103, 0
	v_mov_b32_e32 v104, 0
	s_mov_b32 s22, exec_lo
	v_cmpx_ne_u16_e32 0, v9
	s_cbranch_execz .LBB345_940
; %bb.933:                              ;   in Loop: Header=BB345_515 Depth=1
	v_bfrev_b32_e32 v104, 1
	s_mov_b32 s26, exec_lo
	v_cmpx_ne_u16_e32 0x80, v9
	s_cbranch_execz .LBB345_939
; %bb.934:                              ;   in Loop: Header=BB345_515 Depth=1
	v_bfe_u32 v102, v18, 16, 7
	v_mov_b32_e32 v104, 0x7f800001
	s_mov_b32 s27, exec_lo
	v_cmpx_ne_u32_e32 0x7f, v102
	s_cbranch_execz .LBB345_938
; %bb.935:                              ;   in Loop: Header=BB345_515 Depth=1
	v_and_b32_sdwa v9, v18, v38 dst_sel:DWORD dst_unused:UNUSED_PAD src0_sel:WORD_1 src1_sel:DWORD
	v_lshrrev_b32_e32 v20, 3, v102
	s_mov_b32 s28, exec_lo
	v_cmpx_gt_u32_e32 8, v102
; %bb.936:                              ;   in Loop: Header=BB345_515 Depth=1
	v_ffbh_u32_e32 v20, v9
	v_min_u32_e32 v20, 32, v20
	v_subrev_nc_u32_e32 v102, 28, v20
	v_sub_nc_u32_e32 v20, 29, v20
	v_lshlrev_b64 v[104:105], v102, v[9:10]
	v_and_b32_e32 v9, 7, v104
; %bb.937:                              ;   in Loop: Header=BB345_515 Depth=1
	s_or_b32 exec_lo, exec_lo, s28
	v_lshlrev_b32_sdwa v102, v39, v18 dst_sel:DWORD dst_unused:UNUSED_PAD src0_sel:DWORD src1_sel:WORD_1
	v_lshlrev_b32_e32 v9, 20, v9
	v_lshl_add_u32 v20, v20, 23, 0x3c000000
	v_and_b32_e32 v102, 0x80000000, v102
	v_or3_b32 v104, v9, v102, v20
.LBB345_938:                            ;   in Loop: Header=BB345_515 Depth=1
	s_or_b32 exec_lo, exec_lo, s27
.LBB345_939:                            ;   in Loop: Header=BB345_515 Depth=1
	s_or_b32 exec_lo, exec_lo, s26
.LBB345_940:                            ;   in Loop: Header=BB345_515 Depth=1
	s_or_b32 exec_lo, exec_lo, s22
	s_mov_b32 s22, exec_lo
	v_cmpx_lt_u64_e64 s[2:3], v[17:18]
	s_cbranch_execz .LBB345_948
; %bb.941:                              ;   in Loop: Header=BB345_515 Depth=1
	v_cmp_ne_u32_sdwa s0, v18, v35 src0_sel:BYTE_3 src1_sel:DWORD
	v_bfrev_b32_e32 v103, 1
	s_and_saveexec_b32 s26, s0
	s_cbranch_execz .LBB345_947
; %bb.942:                              ;   in Loop: Header=BB345_515 Depth=1
	v_bfe_u32 v20, v18, 24, 7
	v_mov_b32_e32 v103, 0x7f800001
	s_mov_b32 s27, exec_lo
	v_cmpx_ne_u32_e32 0x7f, v20
	s_cbranch_execz .LBB345_946
; %bb.943:                              ;   in Loop: Header=BB345_515 Depth=1
	v_and_b32_sdwa v9, v18, v38 dst_sel:DWORD dst_unused:UNUSED_PAD src0_sel:BYTE_3 src1_sel:DWORD
	v_lshrrev_b32_e32 v17, 3, v20
	s_mov_b32 s28, exec_lo
	v_cmpx_gt_u32_e32 8, v20
; %bb.944:                              ;   in Loop: Header=BB345_515 Depth=1
	v_ffbh_u32_e32 v17, v9
	v_min_u32_e32 v17, 32, v17
	v_subrev_nc_u32_e32 v20, 28, v17
	v_sub_nc_u32_e32 v17, 29, v17
	v_lshlrev_b64 v[102:103], v20, v[9:10]
	v_and_b32_e32 v9, 7, v102
; %bb.945:                              ;   in Loop: Header=BB345_515 Depth=1
	s_or_b32 exec_lo, exec_lo, s28
	v_lshlrev_b32_sdwa v18, v39, v18 dst_sel:DWORD dst_unused:UNUSED_PAD src0_sel:DWORD src1_sel:BYTE_3
	v_lshlrev_b32_e32 v9, 20, v9
	v_lshl_add_u32 v17, v17, 23, 0x3c000000
	v_and_b32_e32 v18, 0x80000000, v18
	v_or3_b32 v103, v9, v18, v17
.LBB345_946:                            ;   in Loop: Header=BB345_515 Depth=1
	s_or_b32 exec_lo, exec_lo, s27
.LBB345_947:                            ;   in Loop: Header=BB345_515 Depth=1
	s_or_b32 exec_lo, exec_lo, s26
.LBB345_948:                            ;   in Loop: Header=BB345_515 Depth=1
	s_or_b32 exec_lo, exec_lo, s22
	v_mul_f32_e32 v9, s21, v19
	v_mul_f32_e32 v17, s21, v101
	;; [unrolled: 1-line block ×4, first 2 shown]
	v_bfe_u32 v20, v9, 16, 1
	v_or_b32_e32 v97, 0x400000, v9
	v_bfe_u32 v100, v17, 16, 1
	v_cmp_u_f32_e64 s0, v9, v9
	v_or_b32_e32 v101, 0x400000, v17
	v_add3_u32 v20, v20, v9, 0x7fff
	v_bfe_u32 v102, v18, 16, 1
	v_add3_u32 v100, v100, v17, 0x7fff
	v_or_b32_e32 v105, 0x400000, v18
	v_bfe_u32 v106, v19, 16, 1
	v_cndmask_b32_e64 v9, v20, v97, s0
	v_cmp_u_f32_e64 s0, v17, v17
	v_add3_u32 v102, v102, v18, 0x7fff
	v_lshrrev_b32_e32 v97, 16, v9
	v_cndmask_b32_e64 v17, v100, v101, s0
	v_cmp_u_f32_e64 s0, v18, v18
	v_mul_f32_e32 v9, s21, v99
	v_add3_u32 v99, v106, v19, 0x7fff
	v_or_b32_e32 v100, 0x400000, v19
	v_lshrrev_b32_e32 v20, 16, v17
	v_cndmask_b32_e64 v18, v102, v105, s0
	v_bfe_u32 v17, v9, 16, 1
	v_cmp_u_f32_e64 s0, v19, v19
	v_mul_f32_e32 v19, s21, v98
	v_mul_f32_e32 v98, s21, v104
	v_lshrrev_b32_e32 v102, 16, v18
	v_add3_u32 v17, v17, v9, 0x7fff
	v_cndmask_b32_e64 v18, v99, v100, s0
	v_or_b32_e32 v99, 0x400000, v9
	v_bfe_u32 v101, v19, 16, 1
	v_cmp_u_f32_e64 s0, v9, v9
	v_mul_f32_e32 v100, s21, v103
	v_bfe_u32 v103, v98, 16, 1
	v_or_b32_e32 v104, 0x400000, v98
	v_cndmask_b32_e64 v9, v17, v99, s0
	v_add3_u32 v99, v101, v19, 0x7fff
	v_or_b32_e32 v101, 0x400000, v19
	v_cmp_u_f32_e64 s0, v19, v19
	v_bfe_u32 v17, v100, 16, 1
	v_add3_u32 v103, v103, v98, 0x7fff
	v_or_b32_e32 v105, 0x400000, v100
	v_cndmask_b32_e64 v19, v99, v101, s0
	v_cmp_u_f32_e64 s0, v98, v98
	v_add3_u32 v17, v17, v100, 0x7fff
	v_cndmask_b32_e64 v98, v103, v104, s0
	v_cmp_u_f32_e64 s0, v100, v100
	v_lshrrev_b32_e32 v103, 16, v18
	v_lshrrev_b32_e32 v104, 16, v19
	;; [unrolled: 1-line block ×3, first 2 shown]
	v_cndmask_b32_e64 v17, v17, v105, s0
	v_lshrrev_b32_e32 v105, 16, v9
	v_lshrrev_b32_e32 v101, 16, v17
	s_and_saveexec_b32 s22, vcc_lo
	s_cbranch_execz .LBB345_950
; %bb.949:                              ;   in Loop: Header=BB345_515 Depth=1
	v_cmp_gt_i32_e64 s0, s33, v52
	v_cndmask_b32_e64 v104, 0, v104, s0
	v_cmp_gt_i32_e64 s0, s33, v64
	v_cndmask_b32_e64 v105, 0, v105, s0
	;; [unrolled: 2-line block ×8, first 2 shown]
.LBB345_950:                            ;   in Loop: Header=BB345_515 Depth=1
	s_or_b32 exec_lo, exec_lo, s22
	global_load_dwordx2 v[15:16], v[15:16], off offset:1792
	v_mov_b32_e32 v98, 0
	v_mov_b32_e32 v19, 0
	s_waitcnt vmcnt(0)
	v_cmp_ne_u16_sdwa s0, v15, v10 src0_sel:BYTE_0 src1_sel:DWORD
	s_and_saveexec_b32 s22, s0
	s_cbranch_execz .LBB345_956
; %bb.951:                              ;   in Loop: Header=BB345_515 Depth=1
	v_cmp_ne_u16_sdwa s0, v15, v35 src0_sel:BYTE_0 src1_sel:DWORD
	v_bfrev_b32_e32 v19, 1
	s_and_saveexec_b32 s26, s0
	s_cbranch_execz .LBB345_955
; %bb.952:                              ;   in Loop: Header=BB345_515 Depth=1
	v_and_b32_e32 v9, 0x7f, v15
	v_mov_b32_e32 v19, 0x7f800001
	s_mov_b32 s27, exec_lo
	v_cmpx_ne_u32_e32 0x7f, v9
	s_cbranch_execz .LBB345_954
; %bb.953:                              ;   in Loop: Header=BB345_515 Depth=1
	v_and_b32_e32 v17, 7, v15
	v_lshrrev_b32_e32 v18, 3, v9
	v_cmp_gt_u32_e64 s0, 8, v9
	v_ffbh_u32_e32 v17, v17
	v_min_u32_e32 v17, 32, v17
	v_subrev_nc_u32_e32 v19, 28, v17
	v_sub_nc_u32_e32 v17, 29, v17
	v_cndmask_b32_e64 v9, v18, v17, s0
	v_cndmask_b32_e64 v17, 0, v19, s0
	v_lshl_add_u32 v9, v9, 23, 0x3c000000
	v_lshlrev_b64 v[17:18], v17, v[15:16]
	v_lshlrev_b32_e32 v18, 24, v15
	v_lshlrev_b32_e32 v17, 20, v17
	v_and_b32_e32 v18, 0x80000000, v18
	v_and_b32_e32 v17, 0x700000, v17
	v_or3_b32 v19, v17, v18, v9
.LBB345_954:                            ;   in Loop: Header=BB345_515 Depth=1
	s_or_b32 exec_lo, exec_lo, s27
.LBB345_955:                            ;   in Loop: Header=BB345_515 Depth=1
	s_or_b32 exec_lo, exec_lo, s26
.LBB345_956:                            ;   in Loop: Header=BB345_515 Depth=1
	s_or_b32 exec_lo, exec_lo, s22
	v_cmp_ne_u16_sdwa s0, v15, v10 src0_sel:BYTE_1 src1_sel:DWORD
	s_and_saveexec_b32 s22, s0
	s_cbranch_execz .LBB345_964
; %bb.957:                              ;   in Loop: Header=BB345_515 Depth=1
	v_cmp_ne_u16_sdwa s0, v15, v35 src0_sel:BYTE_1 src1_sel:DWORD
	v_bfrev_b32_e32 v98, 1
	s_and_saveexec_b32 s26, s0
	s_cbranch_execz .LBB345_963
; %bb.958:                              ;   in Loop: Header=BB345_515 Depth=1
	v_and_b32_sdwa v9, v36, v15 dst_sel:DWORD dst_unused:UNUSED_PAD src0_sel:DWORD src1_sel:BYTE_1
	v_mov_b32_e32 v98, 0x7f800001
	s_mov_b32 s27, exec_lo
	v_and_b32_e32 v18, 0x7f, v9
	v_cmpx_ne_u32_e32 0x7f, v18
	s_cbranch_execz .LBB345_962
; %bb.959:                              ;   in Loop: Header=BB345_515 Depth=1
	v_and_b32_e32 v9, 7, v9
	v_lshrrev_b32_e32 v17, 3, v18
	s_mov_b32 s28, exec_lo
	v_cmpx_gt_u32_e32 8, v18
; %bb.960:                              ;   in Loop: Header=BB345_515 Depth=1
	v_ffbh_u32_e32 v17, v9
	v_min_u32_e32 v17, 32, v17
	v_subrev_nc_u32_e32 v18, 28, v17
	v_sub_nc_u32_e32 v17, 29, v17
	v_lshlrev_b64 v[98:99], v18, v[9:10]
	v_and_b32_e32 v9, 7, v98
; %bb.961:                              ;   in Loop: Header=BB345_515 Depth=1
	s_or_b32 exec_lo, exec_lo, s28
	v_lshlrev_b32_e32 v18, 16, v15
	v_lshlrev_b32_e32 v9, 20, v9
	v_lshl_add_u32 v17, v17, 23, 0x3c000000
	v_and_b32_e32 v18, 0x80000000, v18
	v_or3_b32 v98, v9, v18, v17
.LBB345_962:                            ;   in Loop: Header=BB345_515 Depth=1
	s_or_b32 exec_lo, exec_lo, s27
.LBB345_963:                            ;   in Loop: Header=BB345_515 Depth=1
	s_or_b32 exec_lo, exec_lo, s26
.LBB345_964:                            ;   in Loop: Header=BB345_515 Depth=1
	s_or_b32 exec_lo, exec_lo, s22
	v_and_b32_sdwa v9, v15, v37 dst_sel:DWORD dst_unused:UNUSED_PAD src0_sel:WORD_1 src1_sel:DWORD
	v_mov_b32_e32 v106, 0
	v_mov_b32_e32 v99, 0
	s_mov_b32 s22, exec_lo
	v_cmpx_ne_u16_e32 0, v9
	s_cbranch_execz .LBB345_972
; %bb.965:                              ;   in Loop: Header=BB345_515 Depth=1
	v_bfrev_b32_e32 v99, 1
	s_mov_b32 s26, exec_lo
	v_cmpx_ne_u16_e32 0x80, v9
	s_cbranch_execz .LBB345_971
; %bb.966:                              ;   in Loop: Header=BB345_515 Depth=1
	v_bfe_u32 v18, v15, 16, 7
	v_mov_b32_e32 v99, 0x7f800001
	s_mov_b32 s27, exec_lo
	v_cmpx_ne_u32_e32 0x7f, v18
	s_cbranch_execz .LBB345_970
; %bb.967:                              ;   in Loop: Header=BB345_515 Depth=1
	v_and_b32_sdwa v9, v15, v38 dst_sel:DWORD dst_unused:UNUSED_PAD src0_sel:WORD_1 src1_sel:DWORD
	v_lshrrev_b32_e32 v17, 3, v18
	s_mov_b32 s28, exec_lo
	v_cmpx_gt_u32_e32 8, v18
; %bb.968:                              ;   in Loop: Header=BB345_515 Depth=1
	v_ffbh_u32_e32 v17, v9
	v_min_u32_e32 v17, 32, v17
	v_subrev_nc_u32_e32 v18, 28, v17
	v_sub_nc_u32_e32 v17, 29, v17
	v_lshlrev_b64 v[107:108], v18, v[9:10]
	v_and_b32_e32 v9, 7, v107
; %bb.969:                              ;   in Loop: Header=BB345_515 Depth=1
	s_or_b32 exec_lo, exec_lo, s28
	v_lshlrev_b32_sdwa v18, v39, v15 dst_sel:DWORD dst_unused:UNUSED_PAD src0_sel:DWORD src1_sel:WORD_1
	v_lshlrev_b32_e32 v9, 20, v9
	v_lshl_add_u32 v17, v17, 23, 0x3c000000
	v_and_b32_e32 v18, 0x80000000, v18
	v_or3_b32 v99, v9, v18, v17
.LBB345_970:                            ;   in Loop: Header=BB345_515 Depth=1
	s_or_b32 exec_lo, exec_lo, s27
.LBB345_971:                            ;   in Loop: Header=BB345_515 Depth=1
	s_or_b32 exec_lo, exec_lo, s26
.LBB345_972:                            ;   in Loop: Header=BB345_515 Depth=1
	s_or_b32 exec_lo, exec_lo, s22
	s_mov_b32 s22, exec_lo
	v_cmpx_lt_u32_e32 0xffffff, v15
	s_cbranch_execz .LBB345_980
; %bb.973:                              ;   in Loop: Header=BB345_515 Depth=1
	v_cmp_ne_u32_sdwa s0, v15, v35 src0_sel:BYTE_3 src1_sel:DWORD
	v_bfrev_b32_e32 v106, 1
	s_and_saveexec_b32 s26, s0
	s_cbranch_execz .LBB345_979
; %bb.974:                              ;   in Loop: Header=BB345_515 Depth=1
	v_bfe_u32 v18, v15, 24, 7
	v_mov_b32_e32 v106, 0x7f800001
	s_mov_b32 s27, exec_lo
	v_cmpx_ne_u32_e32 0x7f, v18
	s_cbranch_execz .LBB345_978
; %bb.975:                              ;   in Loop: Header=BB345_515 Depth=1
	v_and_b32_sdwa v9, v15, v38 dst_sel:DWORD dst_unused:UNUSED_PAD src0_sel:BYTE_3 src1_sel:DWORD
	v_lshrrev_b32_e32 v17, 3, v18
	s_mov_b32 s28, exec_lo
	v_cmpx_gt_u32_e32 8, v18
; %bb.976:                              ;   in Loop: Header=BB345_515 Depth=1
	v_ffbh_u32_e32 v17, v9
	v_min_u32_e32 v17, 32, v17
	v_subrev_nc_u32_e32 v18, 28, v17
	v_sub_nc_u32_e32 v17, 29, v17
	v_lshlrev_b64 v[106:107], v18, v[9:10]
	v_and_b32_e32 v9, 7, v106
; %bb.977:                              ;   in Loop: Header=BB345_515 Depth=1
	s_or_b32 exec_lo, exec_lo, s28
	v_lshlrev_b32_sdwa v18, v39, v15 dst_sel:DWORD dst_unused:UNUSED_PAD src0_sel:DWORD src1_sel:BYTE_3
	v_lshlrev_b32_e32 v9, 20, v9
	v_lshl_add_u32 v17, v17, 23, 0x3c000000
	v_and_b32_e32 v18, 0x80000000, v18
	v_or3_b32 v106, v9, v18, v17
.LBB345_978:                            ;   in Loop: Header=BB345_515 Depth=1
	s_or_b32 exec_lo, exec_lo, s27
.LBB345_979:                            ;   in Loop: Header=BB345_515 Depth=1
	s_or_b32 exec_lo, exec_lo, s26
.LBB345_980:                            ;   in Loop: Header=BB345_515 Depth=1
	s_or_b32 exec_lo, exec_lo, s22
	v_mov_b32_e32 v9, v16
	v_cmp_ne_u16_sdwa s0, v16, v10 src0_sel:BYTE_0 src1_sel:DWORD
	v_mov_b32_e32 v17, 0
	v_mov_b32_e32 v107, 0
	s_and_saveexec_b32 s22, s0
	s_cbranch_execz .LBB345_986
; %bb.981:                              ;   in Loop: Header=BB345_515 Depth=1
	v_cmp_ne_u16_sdwa s0, v16, v35 src0_sel:BYTE_0 src1_sel:DWORD
	v_bfrev_b32_e32 v107, 1
	s_and_saveexec_b32 s26, s0
	s_cbranch_execz .LBB345_985
; %bb.982:                              ;   in Loop: Header=BB345_515 Depth=1
	v_and_b32_e32 v18, 0x7f, v16
	v_mov_b32_e32 v107, 0x7f800001
	s_mov_b32 s27, exec_lo
	v_cmpx_ne_u32_e32 0x7f, v18
	s_cbranch_execz .LBB345_984
; %bb.983:                              ;   in Loop: Header=BB345_515 Depth=1
	v_and_b32_e32 v107, 7, v16
	v_lshrrev_b32_e32 v108, 3, v18
	v_cmp_gt_u32_e64 s0, 8, v18
	v_ffbh_u32_e32 v107, v107
	v_min_u32_e32 v107, 32, v107
	v_subrev_nc_u32_e32 v109, 28, v107
	v_sub_nc_u32_e32 v107, 29, v107
	v_cndmask_b32_e64 v18, v108, v107, s0
	v_cndmask_b32_e64 v107, 0, v109, s0
	v_lshl_add_u32 v18, v18, 23, 0x3c000000
	v_lshlrev_b64 v[107:108], v107, v[9:10]
	v_lshlrev_b32_e32 v108, 24, v9
	v_lshlrev_b32_e32 v107, 20, v107
	v_and_b32_e32 v108, 0x80000000, v108
	v_and_b32_e32 v107, 0x700000, v107
	v_or3_b32 v107, v107, v108, v18
.LBB345_984:                            ;   in Loop: Header=BB345_515 Depth=1
	s_or_b32 exec_lo, exec_lo, s27
.LBB345_985:                            ;   in Loop: Header=BB345_515 Depth=1
	s_or_b32 exec_lo, exec_lo, s26
.LBB345_986:                            ;   in Loop: Header=BB345_515 Depth=1
	s_or_b32 exec_lo, exec_lo, s22
	v_cmp_ne_u16_sdwa s0, v9, v10 src0_sel:BYTE_1 src1_sel:DWORD
	s_and_saveexec_b32 s22, s0
	s_cbranch_execz .LBB345_994
; %bb.987:                              ;   in Loop: Header=BB345_515 Depth=1
	v_cmp_ne_u16_sdwa s0, v9, v35 src0_sel:BYTE_1 src1_sel:DWORD
	v_bfrev_b32_e32 v17, 1
	s_and_saveexec_b32 s26, s0
	s_cbranch_execz .LBB345_993
; %bb.988:                              ;   in Loop: Header=BB345_515 Depth=1
	v_and_b32_sdwa v18, v36, v9 dst_sel:DWORD dst_unused:UNUSED_PAD src0_sel:DWORD src1_sel:BYTE_1
	v_mov_b32_e32 v17, 0x7f800001
	s_mov_b32 s27, exec_lo
	v_and_b32_e32 v109, 0x7f, v18
	v_cmpx_ne_u32_e32 0x7f, v109
	s_cbranch_execz .LBB345_992
; %bb.989:                              ;   in Loop: Header=BB345_515 Depth=1
	v_and_b32_e32 v17, 7, v18
	v_mov_b32_e32 v18, v10
	v_lshrrev_b32_e32 v108, 3, v109
	s_mov_b32 s28, exec_lo
	v_cmpx_gt_u32_e32 8, v109
; %bb.990:                              ;   in Loop: Header=BB345_515 Depth=1
	v_ffbh_u32_e32 v108, v17
	v_min_u32_e32 v108, 32, v108
	v_subrev_nc_u32_e32 v109, 28, v108
	v_sub_nc_u32_e32 v108, 29, v108
	v_lshlrev_b64 v[17:18], v109, v[17:18]
	v_and_b32_e32 v17, 7, v17
; %bb.991:                              ;   in Loop: Header=BB345_515 Depth=1
	s_or_b32 exec_lo, exec_lo, s28
	v_lshlrev_b32_e32 v9, 16, v9
	v_lshlrev_b32_e32 v17, 20, v17
	v_lshl_add_u32 v18, v108, 23, 0x3c000000
	v_and_b32_e32 v9, 0x80000000, v9
	v_or3_b32 v17, v17, v9, v18
.LBB345_992:                            ;   in Loop: Header=BB345_515 Depth=1
	s_or_b32 exec_lo, exec_lo, s27
.LBB345_993:                            ;   in Loop: Header=BB345_515 Depth=1
	s_or_b32 exec_lo, exec_lo, s26
.LBB345_994:                            ;   in Loop: Header=BB345_515 Depth=1
	s_or_b32 exec_lo, exec_lo, s22
	v_and_b32_sdwa v9, v16, v37 dst_sel:DWORD dst_unused:UNUSED_PAD src0_sel:WORD_1 src1_sel:DWORD
	v_mov_b32_e32 v18, 0
	v_mov_b32_e32 v108, 0
	s_mov_b32 s22, exec_lo
	v_cmpx_ne_u16_e32 0, v9
	s_cbranch_execz .LBB345_1002
; %bb.995:                              ;   in Loop: Header=BB345_515 Depth=1
	v_bfrev_b32_e32 v108, 1
	s_mov_b32 s26, exec_lo
	v_cmpx_ne_u16_e32 0x80, v9
	s_cbranch_execz .LBB345_1001
; %bb.996:                              ;   in Loop: Header=BB345_515 Depth=1
	v_bfe_u32 v109, v16, 16, 7
	v_mov_b32_e32 v108, 0x7f800001
	s_mov_b32 s27, exec_lo
	v_cmpx_ne_u32_e32 0x7f, v109
	s_cbranch_execz .LBB345_1000
; %bb.997:                              ;   in Loop: Header=BB345_515 Depth=1
	v_and_b32_sdwa v9, v16, v38 dst_sel:DWORD dst_unused:UNUSED_PAD src0_sel:WORD_1 src1_sel:DWORD
	v_lshrrev_b32_e32 v108, 3, v109
	s_mov_b32 s28, exec_lo
	v_cmpx_gt_u32_e32 8, v109
; %bb.998:                              ;   in Loop: Header=BB345_515 Depth=1
	v_ffbh_u32_e32 v108, v9
	v_min_u32_e32 v108, 32, v108
	v_subrev_nc_u32_e32 v109, 28, v108
	v_sub_nc_u32_e32 v108, 29, v108
	v_lshlrev_b64 v[109:110], v109, v[9:10]
	v_and_b32_e32 v9, 7, v109
; %bb.999:                              ;   in Loop: Header=BB345_515 Depth=1
	s_or_b32 exec_lo, exec_lo, s28
	v_lshlrev_b32_sdwa v109, v39, v16 dst_sel:DWORD dst_unused:UNUSED_PAD src0_sel:DWORD src1_sel:WORD_1
	v_lshlrev_b32_e32 v9, 20, v9
	v_lshl_add_u32 v108, v108, 23, 0x3c000000
	v_and_b32_e32 v109, 0x80000000, v109
	v_or3_b32 v108, v9, v109, v108
.LBB345_1000:                           ;   in Loop: Header=BB345_515 Depth=1
	s_or_b32 exec_lo, exec_lo, s27
.LBB345_1001:                           ;   in Loop: Header=BB345_515 Depth=1
	s_or_b32 exec_lo, exec_lo, s26
.LBB345_1002:                           ;   in Loop: Header=BB345_515 Depth=1
	s_or_b32 exec_lo, exec_lo, s22
	s_mov_b32 s22, exec_lo
	v_cmpx_lt_u64_e64 s[2:3], v[15:16]
	s_cbranch_execz .LBB345_1010
; %bb.1003:                             ;   in Loop: Header=BB345_515 Depth=1
	v_cmp_ne_u32_sdwa s0, v16, v35 src0_sel:BYTE_3 src1_sel:DWORD
	v_bfrev_b32_e32 v18, 1
	s_and_saveexec_b32 s26, s0
	s_cbranch_execz .LBB345_1009
; %bb.1004:                             ;   in Loop: Header=BB345_515 Depth=1
	v_bfe_u32 v109, v16, 24, 7
	v_mov_b32_e32 v18, 0x7f800001
	s_mov_b32 s27, exec_lo
	v_cmpx_ne_u32_e32 0x7f, v109
	s_cbranch_execz .LBB345_1008
; %bb.1005:                             ;   in Loop: Header=BB345_515 Depth=1
	v_and_b32_sdwa v9, v16, v38 dst_sel:DWORD dst_unused:UNUSED_PAD src0_sel:BYTE_3 src1_sel:DWORD
	v_lshrrev_b32_e32 v15, 3, v109
	s_mov_b32 s28, exec_lo
	v_cmpx_gt_u32_e32 8, v109
; %bb.1006:                             ;   in Loop: Header=BB345_515 Depth=1
	v_ffbh_u32_e32 v15, v9
	v_min_u32_e32 v15, 32, v15
	v_subrev_nc_u32_e32 v18, 28, v15
	v_sub_nc_u32_e32 v15, 29, v15
	v_lshlrev_b64 v[109:110], v18, v[9:10]
	v_and_b32_e32 v9, 7, v109
; %bb.1007:                             ;   in Loop: Header=BB345_515 Depth=1
	s_or_b32 exec_lo, exec_lo, s28
	v_lshlrev_b32_sdwa v16, v39, v16 dst_sel:DWORD dst_unused:UNUSED_PAD src0_sel:DWORD src1_sel:BYTE_3
	v_lshlrev_b32_e32 v9, 20, v9
	v_lshl_add_u32 v15, v15, 23, 0x3c000000
	v_and_b32_e32 v16, 0x80000000, v16
	v_or3_b32 v18, v9, v16, v15
.LBB345_1008:                           ;   in Loop: Header=BB345_515 Depth=1
	s_or_b32 exec_lo, exec_lo, s27
.LBB345_1009:                           ;   in Loop: Header=BB345_515 Depth=1
	s_or_b32 exec_lo, exec_lo, s26
.LBB345_1010:                           ;   in Loop: Header=BB345_515 Depth=1
	s_or_b32 exec_lo, exec_lo, s22
	v_mul_f32_e32 v9, s21, v17
	v_mul_f32_e32 v15, s21, v107
	;; [unrolled: 1-line block ×5, first 2 shown]
	v_bfe_u32 v99, v9, 16, 1
	v_or_b32_e32 v106, 0x400000, v9
	v_bfe_u32 v107, v15, 16, 1
	v_cmp_u_f32_e64 s0, v9, v9
	v_or_b32_e32 v109, 0x400000, v15
	v_add3_u32 v99, v99, v9, 0x7fff
	v_bfe_u32 v110, v16, 16, 1
	v_add3_u32 v107, v107, v15, 0x7fff
	v_or_b32_e32 v111, 0x400000, v16
	v_bfe_u32 v112, v17, 16, 1
	v_cndmask_b32_e64 v9, v99, v106, s0
	v_cmp_u_f32_e64 s0, v15, v15
	v_add3_u32 v110, v110, v16, 0x7fff
	v_or_b32_e32 v106, 0x400000, v17
	v_add3_u32 v99, v112, v17, 0x7fff
	v_mul_f32_e32 v19, s21, v19
	v_cndmask_b32_e64 v15, v107, v109, s0
	v_cmp_u_f32_e64 s0, v16, v16
	v_bfe_u32 v107, v98, 16, 1
	v_mul_f32_e32 v18, s21, v18
	v_lshrrev_b32_e32 v9, 16, v9
	v_lshrrev_b32_e32 v15, 16, v15
	v_cndmask_b32_e64 v16, v110, v111, s0
	v_cmp_u_f32_e64 s0, v17, v17
	v_or_b32_e32 v111, 0x400000, v18
	v_lshrrev_b32_e32 v16, 16, v16
	v_cndmask_b32_e64 v17, v99, v106, s0
	v_mul_f32_e32 v99, s21, v108
	v_add3_u32 v106, v107, v98, 0x7fff
	v_or_b32_e32 v107, 0x400000, v98
	v_bfe_u32 v108, v19, 16, 1
	v_cmp_u_f32_e64 s0, v98, v98
	v_bfe_u32 v109, v99, 16, 1
	v_or_b32_e32 v110, 0x400000, v99
	v_cndmask_b32_e64 v98, v106, v107, s0
	v_add3_u32 v107, v108, v19, 0x7fff
	v_or_b32_e32 v108, 0x400000, v19
	v_cmp_u_f32_e64 s0, v19, v19
	v_bfe_u32 v106, v18, 16, 1
	v_add3_u32 v109, v109, v99, 0x7fff
	v_lshrrev_b32_e32 v19, 16, v17
	v_lshrrev_b32_e32 v98, 16, v98
	v_cndmask_b32_e64 v107, v107, v108, s0
	v_cmp_u_f32_e64 s0, v99, v99
	v_add3_u32 v106, v106, v18, 0x7fff
	v_lshrrev_b32_e32 v99, 16, v107
	v_cndmask_b32_e64 v108, v109, v110, s0
	v_cmp_u_f32_e64 s0, v18, v18
	v_lshrrev_b32_e32 v18, 16, v108
	v_cndmask_b32_e64 v106, v106, v111, s0
	v_lshrrev_b32_e32 v17, 16, v106
	s_and_saveexec_b32 s0, vcc_lo
	s_cbranch_execz .LBB345_513
; %bb.1011:                             ;   in Loop: Header=BB345_515 Depth=1
	v_cmp_gt_i32_e32 vcc_lo, s33, v52
	v_cndmask_b32_e32 v99, 0, v99, vcc_lo
	v_cmp_gt_i32_e32 vcc_lo, s33, v64
	v_cndmask_b32_e32 v98, 0, v98, vcc_lo
	;; [unrolled: 2-line block ×8, first 2 shown]
	s_branch .LBB345_513
.LBB345_1012:
	s_or_b32 exec_lo, exec_lo, s17
	v_mov_b32_e32 v22, v113
	v_mov_b32_e32 v92, v114
.LBB345_1013:
	s_or_b32 exec_lo, exec_lo, s1
	ds_bpermute_b32 v7, v25, v27
	ds_bpermute_b32 v0, v25, v34
	;; [unrolled: 1-line block ×8, first 2 shown]
	v_lshlrev_b32_e32 v10, 8, v92
	v_and_b32_e32 v21, 0x3c3, v22
	s_mov_b32 s0, exec_lo
	s_waitcnt lgkmcnt(7)
	v_add_f32_e32 v14, v27, v7
	buffer_load_dword v7, off, s[48:51], 0  ; 4-byte Folded Reload
	s_waitcnt lgkmcnt(6)
	v_add_f32_e32 v0, v34, v0
	s_waitcnt lgkmcnt(5)
	v_add_f32_e32 v1, v33, v1
	;; [unrolled: 2-line block ×7, first 2 shown]
	ds_bpermute_b32 v4, v24, v0
	ds_bpermute_b32 v5, v24, v1
	;; [unrolled: 1-line block ×8, first 2 shown]
	s_waitcnt vmcnt(0) lgkmcnt(0)
	s_barrier
	buffer_gl0_inv
	v_and_b32_e32 v6, 28, v7
	v_lshrrev_b32_e32 v8, 2, v7
	v_add_f32_e32 v7, v0, v4
	v_add_f32_e32 v4, v3, v16
	;; [unrolled: 1-line block ×3, first 2 shown]
	v_add_nc_u32_e32 v9, 0xa0, v6
	v_add_f32_e32 v6, v1, v5
	v_add_f32_e32 v5, v2, v15
	;; [unrolled: 1-line block ×5, first 2 shown]
	v_cmpx_eq_u32_e32 64, v21
	s_cbranch_execz .LBB345_1015
; %bb.1014:
	v_add_nc_u32_e32 v11, v9, v10
	v_add_nc_u32_e32 v12, 0xfffffe00, v11
	;; [unrolled: 1-line block ×9, first 2 shown]
	ds_write_b32 v12, v7
	ds_write_b32 v13, v6
	;; [unrolled: 1-line block ×8, first 2 shown]
.LBB345_1015:
	s_or_b32 exec_lo, exec_lo, s0
	v_lshlrev_b32_e32 v8, 2, v8
	s_mov_b32 s1, exec_lo
	v_cmp_eq_u32_e32 vcc_lo, 0, v26
	s_waitcnt lgkmcnt(0)
	s_barrier
	v_add3_u32 v8, 0xa0, v10, v8
	buffer_gl0_inv
	v_cmpx_gt_u32_e32 64, v22
	s_cbranch_execz .LBB345_1026
; %bb.1016:
	s_and_saveexec_b32 s0, vcc_lo
	s_cbranch_execnz .LBB345_1042
; %bb.1017:
	s_or_b32 exec_lo, exec_lo, s0
	s_and_saveexec_b32 s0, vcc_lo
	s_cbranch_execnz .LBB345_1043
.LBB345_1018:
	s_or_b32 exec_lo, exec_lo, s0
	s_and_saveexec_b32 s0, vcc_lo
	s_cbranch_execnz .LBB345_1044
.LBB345_1019:
	s_or_b32 exec_lo, exec_lo, s0
	s_and_saveexec_b32 s0, vcc_lo
	s_cbranch_execnz .LBB345_1045
.LBB345_1020:
	s_or_b32 exec_lo, exec_lo, s0
	s_and_saveexec_b32 s0, vcc_lo
	s_cbranch_execnz .LBB345_1046
.LBB345_1021:
	s_or_b32 exec_lo, exec_lo, s0
	s_and_saveexec_b32 s0, vcc_lo
	s_cbranch_execnz .LBB345_1047
.LBB345_1022:
	s_or_b32 exec_lo, exec_lo, s0
	s_and_saveexec_b32 s0, vcc_lo
	s_cbranch_execnz .LBB345_1048
.LBB345_1023:
	s_or_b32 exec_lo, exec_lo, s0
	s_and_saveexec_b32 s0, vcc_lo
	s_cbranch_execz .LBB345_1025
.LBB345_1024:
	ds_read_b32 v10, v8 offset:224
	s_waitcnt lgkmcnt(0)
	v_add_f32_e32 v0, v0, v10
.LBB345_1025:
	s_or_b32 exec_lo, exec_lo, s0
.LBB345_1026:
	s_or_b32 exec_lo, exec_lo, s1
	v_and_b32_e32 v10, 0x3e3, v22
	s_mov_b32 s1, exec_lo
	s_barrier
	buffer_gl0_inv
	v_cmpx_eq_u32_e32 32, v10
	s_cbranch_execz .LBB345_1028
; %bb.1027:
	ds_write2_b32 v9, v7, v6 offset1:8
	ds_write2_b32 v9, v5, v4 offset0:16 offset1:24
	ds_write2_b32 v9, v3, v2 offset0:32 offset1:40
	;; [unrolled: 1-line block ×3, first 2 shown]
.LBB345_1028:
	s_or_b32 exec_lo, exec_lo, s1
	s_mov_b32 s1, exec_lo
	s_waitcnt lgkmcnt(0)
	s_barrier
	buffer_gl0_inv
	v_cmpx_gt_u32_e32 32, v22
	s_cbranch_execz .LBB345_1039
; %bb.1029:
	s_and_saveexec_b32 s0, vcc_lo
	s_cbranch_execnz .LBB345_1049
; %bb.1030:
	s_or_b32 exec_lo, exec_lo, s0
	s_and_saveexec_b32 s0, vcc_lo
	s_cbranch_execnz .LBB345_1050
.LBB345_1031:
	s_or_b32 exec_lo, exec_lo, s0
	s_and_saveexec_b32 s0, vcc_lo
	s_cbranch_execnz .LBB345_1051
.LBB345_1032:
	s_or_b32 exec_lo, exec_lo, s0
	s_and_saveexec_b32 s0, vcc_lo
	s_cbranch_execnz .LBB345_1052
.LBB345_1033:
	s_or_b32 exec_lo, exec_lo, s0
	s_and_saveexec_b32 s0, vcc_lo
	s_cbranch_execnz .LBB345_1053
.LBB345_1034:
	s_or_b32 exec_lo, exec_lo, s0
	s_and_saveexec_b32 s0, vcc_lo
	s_cbranch_execnz .LBB345_1054
.LBB345_1035:
	s_or_b32 exec_lo, exec_lo, s0
	s_and_saveexec_b32 s0, vcc_lo
	s_cbranch_execnz .LBB345_1055
.LBB345_1036:
	s_or_b32 exec_lo, exec_lo, s0
	s_and_saveexec_b32 s0, vcc_lo
	s_cbranch_execz .LBB345_1038
.LBB345_1037:
	ds_read_b32 v8, v8 offset:224
	s_waitcnt lgkmcnt(0)
	v_add_f32_e32 v0, v0, v8
.LBB345_1038:
	s_or_b32 exec_lo, exec_lo, s0
.LBB345_1039:
	s_or_b32 exec_lo, exec_lo, s1
	s_barrier
	buffer_gl0_inv
	s_mov_b32 s0, exec_lo
	v_cmpx_eq_u32_e32 0, v10
	s_cbranch_execz .LBB345_1041
; %bb.1040:
	s_mul_i32 s0, s10, s11
	s_mul_i32 s2, s11, s24
	;; [unrolled: 1-line block ×3, first 2 shown]
	v_bfe_u32 v9, v7, 16, 1
	s_lshl_b32 s0, s0, 6
	v_or_b32_e32 v10, 0x400000, v7
	s_ashr_i32 s1, s0, 31
	v_bfe_u32 v11, v6, 16, 1
	s_lshl_b64 s[0:1], s[0:1], 1
	v_add3_u32 v9, v9, v7, 0x7fff
	s_add_u32 s4, s6, s0
	s_addc_u32 s5, s7, s1
	s_ashr_i32 s3, s2, 31
	v_cmp_u_f32_e32 vcc_lo, v7, v7
	s_lshl_b64 s[0:1], s[2:3], 1
	v_lshrrev_b32_e32 v8, 1, v22
	s_add_u32 s2, s4, s0
	s_addc_u32 s3, s5, s1
	s_lshl_b32 s0, s8, 6
	v_cndmask_b32_e32 v7, v9, v10, vcc_lo
	s_ashr_i32 s1, s0, 31
	v_bfe_u32 v9, v5, 16, 1
	s_lshl_b64 s[0:1], s[0:1], 1
	v_add3_u32 v10, v11, v6, 0x7fff
	v_or_b32_e32 v11, 0x400000, v6
	v_cmp_u_f32_e32 vcc_lo, v6, v6
	s_add_u32 s0, s2, s0
	s_addc_u32 s1, s3, s1
	global_store_short_d16_hi v8, v7, s[0:1]
	v_add3_u32 v7, v9, v5, 0x7fff
	v_or_b32_e32 v9, 0x400000, v5
	v_cndmask_b32_e32 v6, v10, v11, vcc_lo
	v_bfe_u32 v10, v4, 16, 1
	v_cmp_u_f32_e32 vcc_lo, v5, v5
	v_or_b32_e32 v11, 0x400000, v0
	global_store_short_d16_hi v8, v6, s[0:1] offset:16
	v_add3_u32 v6, v10, v4, 0x7fff
	v_cndmask_b32_e32 v5, v7, v9, vcc_lo
	v_bfe_u32 v7, v3, 16, 1
	v_or_b32_e32 v9, 0x400000, v4
	v_cmp_u_f32_e32 vcc_lo, v4, v4
	v_or_b32_e32 v10, 0x400000, v1
	global_store_short_d16_hi v8, v5, s[0:1] offset:32
	v_add3_u32 v5, v7, v3, 0x7fff
	v_or_b32_e32 v7, 0x400000, v3
	v_cndmask_b32_e32 v4, v6, v9, vcc_lo
	v_bfe_u32 v6, v2, 16, 1
	v_cmp_u_f32_e32 vcc_lo, v3, v3
	v_bfe_u32 v9, v1, 16, 1
	v_add3_u32 v6, v6, v2, 0x7fff
	v_cndmask_b32_e32 v3, v5, v7, vcc_lo
	v_or_b32_e32 v7, 0x400000, v2
	v_cmp_u_f32_e32 vcc_lo, v2, v2
	v_bfe_u32 v5, v0, 16, 1
	v_add3_u32 v9, v9, v1, 0x7fff
	v_cndmask_b32_e32 v2, v6, v7, vcc_lo
	v_cmp_u_f32_e32 vcc_lo, v1, v1
	v_add3_u32 v5, v5, v0, 0x7fff
	v_cndmask_b32_e32 v1, v9, v10, vcc_lo
	v_cmp_u_f32_e32 vcc_lo, v0, v0
	v_cndmask_b32_e32 v0, v5, v11, vcc_lo
	global_store_short_d16_hi v8, v4, s[0:1] offset:48
	global_store_short_d16_hi v8, v3, s[0:1] offset:64
	;; [unrolled: 1-line block ×5, first 2 shown]
.LBB345_1041:
	s_endpgm
.LBB345_1042:
	ds_read_b32 v10, v8
	s_waitcnt lgkmcnt(0)
	v_add_f32_e32 v7, v7, v10
	s_or_b32 exec_lo, exec_lo, s0
	s_and_saveexec_b32 s0, vcc_lo
	s_cbranch_execz .LBB345_1018
.LBB345_1043:
	ds_read_b32 v10, v8 offset:32
	s_waitcnt lgkmcnt(0)
	v_add_f32_e32 v6, v6, v10
	s_or_b32 exec_lo, exec_lo, s0
	s_and_saveexec_b32 s0, vcc_lo
	s_cbranch_execz .LBB345_1019
.LBB345_1044:
	ds_read_b32 v10, v8 offset:64
	s_waitcnt lgkmcnt(0)
	v_add_f32_e32 v5, v5, v10
	s_or_b32 exec_lo, exec_lo, s0
	s_and_saveexec_b32 s0, vcc_lo
	s_cbranch_execz .LBB345_1020
.LBB345_1045:
	ds_read_b32 v10, v8 offset:96
	s_waitcnt lgkmcnt(0)
	v_add_f32_e32 v4, v4, v10
	s_or_b32 exec_lo, exec_lo, s0
	s_and_saveexec_b32 s0, vcc_lo
	s_cbranch_execz .LBB345_1021
.LBB345_1046:
	ds_read_b32 v10, v8 offset:128
	s_waitcnt lgkmcnt(0)
	v_add_f32_e32 v3, v3, v10
	s_or_b32 exec_lo, exec_lo, s0
	s_and_saveexec_b32 s0, vcc_lo
	s_cbranch_execz .LBB345_1022
.LBB345_1047:
	ds_read_b32 v10, v8 offset:160
	s_waitcnt lgkmcnt(0)
	v_add_f32_e32 v2, v2, v10
	s_or_b32 exec_lo, exec_lo, s0
	s_and_saveexec_b32 s0, vcc_lo
	s_cbranch_execz .LBB345_1023
.LBB345_1048:
	ds_read_b32 v10, v8 offset:192
	s_waitcnt lgkmcnt(0)
	v_add_f32_e32 v1, v1, v10
	s_or_b32 exec_lo, exec_lo, s0
	s_and_saveexec_b32 s0, vcc_lo
	s_cbranch_execnz .LBB345_1024
	s_branch .LBB345_1025
.LBB345_1049:
	ds_read_b32 v9, v8
	s_waitcnt lgkmcnt(0)
	v_add_f32_e32 v7, v7, v9
	s_or_b32 exec_lo, exec_lo, s0
	s_and_saveexec_b32 s0, vcc_lo
	s_cbranch_execz .LBB345_1031
.LBB345_1050:
	ds_read_b32 v9, v8 offset:32
	s_waitcnt lgkmcnt(0)
	v_add_f32_e32 v6, v6, v9
	s_or_b32 exec_lo, exec_lo, s0
	s_and_saveexec_b32 s0, vcc_lo
	s_cbranch_execz .LBB345_1032
.LBB345_1051:
	ds_read_b32 v9, v8 offset:64
	s_waitcnt lgkmcnt(0)
	v_add_f32_e32 v5, v5, v9
	s_or_b32 exec_lo, exec_lo, s0
	s_and_saveexec_b32 s0, vcc_lo
	s_cbranch_execz .LBB345_1033
.LBB345_1052:
	ds_read_b32 v9, v8 offset:96
	s_waitcnt lgkmcnt(0)
	v_add_f32_e32 v4, v4, v9
	s_or_b32 exec_lo, exec_lo, s0
	s_and_saveexec_b32 s0, vcc_lo
	s_cbranch_execz .LBB345_1034
.LBB345_1053:
	ds_read_b32 v9, v8 offset:128
	s_waitcnt lgkmcnt(0)
	v_add_f32_e32 v3, v3, v9
	s_or_b32 exec_lo, exec_lo, s0
	s_and_saveexec_b32 s0, vcc_lo
	s_cbranch_execz .LBB345_1035
.LBB345_1054:
	ds_read_b32 v9, v8 offset:160
	s_waitcnt lgkmcnt(0)
	v_add_f32_e32 v2, v2, v9
	s_or_b32 exec_lo, exec_lo, s0
	s_and_saveexec_b32 s0, vcc_lo
	s_cbranch_execz .LBB345_1036
.LBB345_1055:
	ds_read_b32 v9, v8 offset:192
	s_waitcnt lgkmcnt(0)
	v_add_f32_e32 v1, v1, v9
	s_or_b32 exec_lo, exec_lo, s0
	s_and_saveexec_b32 s0, vcc_lo
	s_cbranch_execnz .LBB345_1037
	s_branch .LBB345_1038
	.section	.rodata,"a",@progbits
	.p2align	6, 0x0
	.amdhsa_kernel _ZN4vllm25paged_attention_v1_kernelI14__hip_bfloat16hLi64ELi32ELi128ELNS_18Fp8KVCacheDataTypeE1ELb1EEEvPT_PKS3_PKT0_S9_ifPKiSB_iPKfiiiSD_SD_iiiii
		.amdhsa_group_segment_fixed_size 160
		.amdhsa_private_segment_fixed_size 116
		.amdhsa_kernarg_size 384
		.amdhsa_user_sgpr_count 6
		.amdhsa_user_sgpr_private_segment_buffer 1
		.amdhsa_user_sgpr_dispatch_ptr 0
		.amdhsa_user_sgpr_queue_ptr 0
		.amdhsa_user_sgpr_kernarg_segment_ptr 1
		.amdhsa_user_sgpr_dispatch_id 0
		.amdhsa_user_sgpr_flat_scratch_init 0
		.amdhsa_user_sgpr_private_segment_size 0
		.amdhsa_wavefront_size32 1
		.amdhsa_uses_dynamic_stack 0
		.amdhsa_system_sgpr_private_segment_wavefront_offset 1
		.amdhsa_system_sgpr_workgroup_id_x 1
		.amdhsa_system_sgpr_workgroup_id_y 1
		.amdhsa_system_sgpr_workgroup_id_z 1
		.amdhsa_system_sgpr_workgroup_info 0
		.amdhsa_system_vgpr_workitem_id 0
		.amdhsa_next_free_vgpr 128
		.amdhsa_next_free_sgpr 52
		.amdhsa_reserve_vcc 1
		.amdhsa_reserve_flat_scratch 0
		.amdhsa_float_round_mode_32 0
		.amdhsa_float_round_mode_16_64 0
		.amdhsa_float_denorm_mode_32 3
		.amdhsa_float_denorm_mode_16_64 3
		.amdhsa_dx10_clamp 1
		.amdhsa_ieee_mode 1
		.amdhsa_fp16_overflow 0
		.amdhsa_workgroup_processor_mode 1
		.amdhsa_memory_ordered 1
		.amdhsa_forward_progress 1
		.amdhsa_shared_vgpr_count 0
		.amdhsa_exception_fp_ieee_invalid_op 0
		.amdhsa_exception_fp_denorm_src 0
		.amdhsa_exception_fp_ieee_div_zero 0
		.amdhsa_exception_fp_ieee_overflow 0
		.amdhsa_exception_fp_ieee_underflow 0
		.amdhsa_exception_fp_ieee_inexact 0
		.amdhsa_exception_int_div_zero 0
	.end_amdhsa_kernel
	.section	.text._ZN4vllm25paged_attention_v1_kernelI14__hip_bfloat16hLi64ELi32ELi128ELNS_18Fp8KVCacheDataTypeE1ELb1EEEvPT_PKS3_PKT0_S9_ifPKiSB_iPKfiiiSD_SD_iiiii,"axG",@progbits,_ZN4vllm25paged_attention_v1_kernelI14__hip_bfloat16hLi64ELi32ELi128ELNS_18Fp8KVCacheDataTypeE1ELb1EEEvPT_PKS3_PKT0_S9_ifPKiSB_iPKfiiiSD_SD_iiiii,comdat
.Lfunc_end345:
	.size	_ZN4vllm25paged_attention_v1_kernelI14__hip_bfloat16hLi64ELi32ELi128ELNS_18Fp8KVCacheDataTypeE1ELb1EEEvPT_PKS3_PKT0_S9_ifPKiSB_iPKfiiiSD_SD_iiiii, .Lfunc_end345-_ZN4vllm25paged_attention_v1_kernelI14__hip_bfloat16hLi64ELi32ELi128ELNS_18Fp8KVCacheDataTypeE1ELb1EEEvPT_PKS3_PKT0_S9_ifPKiSB_iPKfiiiSD_SD_iiiii
                                        ; -- End function
	.set _ZN4vllm25paged_attention_v1_kernelI14__hip_bfloat16hLi64ELi32ELi128ELNS_18Fp8KVCacheDataTypeE1ELb1EEEvPT_PKS3_PKT0_S9_ifPKiSB_iPKfiiiSD_SD_iiiii.num_vgpr, 128
	.set _ZN4vllm25paged_attention_v1_kernelI14__hip_bfloat16hLi64ELi32ELi128ELNS_18Fp8KVCacheDataTypeE1ELb1EEEvPT_PKS3_PKT0_S9_ifPKiSB_iPKfiiiSD_SD_iiiii.num_agpr, 0
	.set _ZN4vllm25paged_attention_v1_kernelI14__hip_bfloat16hLi64ELi32ELi128ELNS_18Fp8KVCacheDataTypeE1ELb1EEEvPT_PKS3_PKT0_S9_ifPKiSB_iPKfiiiSD_SD_iiiii.numbered_sgpr, 52
	.set _ZN4vllm25paged_attention_v1_kernelI14__hip_bfloat16hLi64ELi32ELi128ELNS_18Fp8KVCacheDataTypeE1ELb1EEEvPT_PKS3_PKT0_S9_ifPKiSB_iPKfiiiSD_SD_iiiii.num_named_barrier, 0
	.set _ZN4vllm25paged_attention_v1_kernelI14__hip_bfloat16hLi64ELi32ELi128ELNS_18Fp8KVCacheDataTypeE1ELb1EEEvPT_PKS3_PKT0_S9_ifPKiSB_iPKfiiiSD_SD_iiiii.private_seg_size, 116
	.set _ZN4vllm25paged_attention_v1_kernelI14__hip_bfloat16hLi64ELi32ELi128ELNS_18Fp8KVCacheDataTypeE1ELb1EEEvPT_PKS3_PKT0_S9_ifPKiSB_iPKfiiiSD_SD_iiiii.uses_vcc, 1
	.set _ZN4vllm25paged_attention_v1_kernelI14__hip_bfloat16hLi64ELi32ELi128ELNS_18Fp8KVCacheDataTypeE1ELb1EEEvPT_PKS3_PKT0_S9_ifPKiSB_iPKfiiiSD_SD_iiiii.uses_flat_scratch, 0
	.set _ZN4vllm25paged_attention_v1_kernelI14__hip_bfloat16hLi64ELi32ELi128ELNS_18Fp8KVCacheDataTypeE1ELb1EEEvPT_PKS3_PKT0_S9_ifPKiSB_iPKfiiiSD_SD_iiiii.has_dyn_sized_stack, 0
	.set _ZN4vllm25paged_attention_v1_kernelI14__hip_bfloat16hLi64ELi32ELi128ELNS_18Fp8KVCacheDataTypeE1ELb1EEEvPT_PKS3_PKT0_S9_ifPKiSB_iPKfiiiSD_SD_iiiii.has_recursion, 0
	.set _ZN4vllm25paged_attention_v1_kernelI14__hip_bfloat16hLi64ELi32ELi128ELNS_18Fp8KVCacheDataTypeE1ELb1EEEvPT_PKS3_PKT0_S9_ifPKiSB_iPKfiiiSD_SD_iiiii.has_indirect_call, 0
	.section	.AMDGPU.csdata,"",@progbits
; Kernel info:
; codeLenInByte = 40984
; TotalNumSgprs: 54
; NumVgprs: 128
; ScratchSize: 116
; MemoryBound: 0
; FloatMode: 240
; IeeeMode: 1
; LDSByteSize: 160 bytes/workgroup (compile time only)
; SGPRBlocks: 0
; VGPRBlocks: 15
; NumSGPRsForWavesPerEU: 54
; NumVGPRsForWavesPerEU: 128
; Occupancy: 8
; WaveLimiterHint : 1
; COMPUTE_PGM_RSRC2:SCRATCH_EN: 1
; COMPUTE_PGM_RSRC2:USER_SGPR: 6
; COMPUTE_PGM_RSRC2:TRAP_HANDLER: 0
; COMPUTE_PGM_RSRC2:TGID_X_EN: 1
; COMPUTE_PGM_RSRC2:TGID_Y_EN: 1
; COMPUTE_PGM_RSRC2:TGID_Z_EN: 1
; COMPUTE_PGM_RSRC2:TIDIG_COMP_CNT: 0
	.section	.text._ZN4vllm25paged_attention_v1_kernelI14__hip_bfloat16hLi80ELi32ELi128ELNS_18Fp8KVCacheDataTypeE1ELb1EEEvPT_PKS3_PKT0_S9_ifPKiSB_iPKfiiiSD_SD_iiiii,"axG",@progbits,_ZN4vllm25paged_attention_v1_kernelI14__hip_bfloat16hLi80ELi32ELi128ELNS_18Fp8KVCacheDataTypeE1ELb1EEEvPT_PKS3_PKT0_S9_ifPKiSB_iPKfiiiSD_SD_iiiii,comdat
	.protected	_ZN4vllm25paged_attention_v1_kernelI14__hip_bfloat16hLi80ELi32ELi128ELNS_18Fp8KVCacheDataTypeE1ELb1EEEvPT_PKS3_PKT0_S9_ifPKiSB_iPKfiiiSD_SD_iiiii ; -- Begin function _ZN4vllm25paged_attention_v1_kernelI14__hip_bfloat16hLi80ELi32ELi128ELNS_18Fp8KVCacheDataTypeE1ELb1EEEvPT_PKS3_PKT0_S9_ifPKiSB_iPKfiiiSD_SD_iiiii
	.globl	_ZN4vllm25paged_attention_v1_kernelI14__hip_bfloat16hLi80ELi32ELi128ELNS_18Fp8KVCacheDataTypeE1ELb1EEEvPT_PKS3_PKT0_S9_ifPKiSB_iPKfiiiSD_SD_iiiii
	.p2align	8
	.type	_ZN4vllm25paged_attention_v1_kernelI14__hip_bfloat16hLi80ELi32ELi128ELNS_18Fp8KVCacheDataTypeE1ELb1EEEvPT_PKS3_PKT0_S9_ifPKiSB_iPKfiiiSD_SD_iiiii,@function
_ZN4vllm25paged_attention_v1_kernelI14__hip_bfloat16hLi80ELi32ELi128ELNS_18Fp8KVCacheDataTypeE1ELb1EEEvPT_PKS3_PKT0_S9_ifPKiSB_iPKfiiiSD_SD_iiiii: ; @_ZN4vllm25paged_attention_v1_kernelI14__hip_bfloat16hLi80ELi32ELi128ELNS_18Fp8KVCacheDataTypeE1ELb1EEEvPT_PKS3_PKT0_S9_ifPKiSB_iPKfiiiSD_SD_iiiii
; %bb.0:
	s_mov_b64 s[50:51], s[2:3]
	s_mov_b64 s[48:49], s[0:1]
	s_mov_b32 s10, s7
	s_add_u32 s48, s48, s9
	s_clause 0x2
	s_load_dword s9, s[4:5], 0x80
	s_load_dwordx2 s[0:1], s[4:5], 0x30
	s_load_dwordx2 s[2:3], s[4:5], 0x20
	s_addc_u32 s49, s49, 0
	s_ashr_i32 s11, s7, 31
	v_mov_b32_e32 v5, v0
	s_lshl_b64 s[12:13], s[10:11], 2
	s_mov_b32 s35, 0
	s_waitcnt lgkmcnt(0)
	s_add_u32 s0, s0, s12
	s_addc_u32 s1, s1, s13
	s_abs_i32 s7, s2
	s_abs_i32 s13, s9
	v_cvt_f32_u32_e32 v0, s7
	s_sub_i32 s12, 0, s7
	v_rcp_iflag_f32_e32 v0, v0
	v_mul_f32_e32 v0, 0x4f7ffffe, v0
	v_cvt_u32_f32_e32 v0, v0
	v_readfirstlane_b32 s11, v0
	s_mul_i32 s12, s12, s11
	s_mul_hi_u32 s12, s11, s12
	s_add_i32 s11, s11, s12
	s_xor_b32 s12, s9, s2
	s_mul_hi_u32 s11, s13, s11
	s_ashr_i32 s12, s12, 31
	s_mul_i32 s14, s11, s7
	s_sub_i32 s13, s13, s14
	s_add_i32 s14, s11, 1
	s_sub_i32 s15, s13, s7
	s_cmp_ge_u32 s13, s7
	s_cselect_b32 s11, s14, s11
	s_cselect_b32 s13, s15, s13
	s_add_i32 s14, s11, 1
	s_cmp_ge_u32 s13, s7
	s_cselect_b32 s7, s14, s11
	s_xor_b32 s7, s7, s12
	s_sub_i32 s20, s7, s12
	s_load_dwordx2 s[12:13], s[4:5], 0x40
	s_abs_i32 s11, s20
	v_cvt_f32_u32_e32 v0, s11
	s_sub_i32 s14, 0, s11
	v_rcp_iflag_f32_e32 v0, v0
	v_mul_f32_e32 v0, 0x4f7ffffe, v0
	v_cvt_u32_f32_e32 v0, v0
	v_readfirstlane_b32 s7, v0
	s_mul_i32 s14, s14, s7
	s_mul_hi_u32 s15, s7, s14
	s_abs_i32 s14, s6
	s_add_i32 s7, s7, s15
	s_waitcnt lgkmcnt(0)
	s_cmp_eq_u64 s[12:13], 0
	s_mul_hi_u32 s15, s14, s7
	s_cbranch_scc1 .LBB346_2
; %bb.1:
	s_ashr_i32 s7, s6, 31
	s_lshl_b64 s[16:17], s[6:7], 2
	s_add_u32 s12, s12, s16
	s_addc_u32 s13, s13, s17
	s_load_dword s35, s[12:13], 0x0
.LBB346_2:
	s_load_dword s33, s[0:1], 0x0
	s_load_dwordx4 s[16:19], s[4:5], 0x48
	s_ashr_i32 s0, s6, 31
	s_ashr_i32 s1, s20, 31
	s_mul_i32 s24, s6, 0x50
	s_mov_b32 s7, exec_lo
	v_cmpx_gt_u32_e32 10, v5
	s_cbranch_execz .LBB346_4
; %bb.3:
	s_load_dwordx2 s[12:13], s[4:5], 0x8
	s_waitcnt lgkmcnt(0)
	s_mul_i32 s20, s16, s10
	v_lshlrev_b32_e32 v4, 4, v5
	s_ashr_i32 s21, s20, 31
	s_lshl_b64 s[20:21], s[20:21], 1
	s_add_u32 s16, s12, s20
	s_addc_u32 s19, s13, s21
	s_ashr_i32 s25, s24, 31
	s_lshl_b64 s[12:13], s[24:25], 1
	s_add_u32 s12, s16, s12
	s_addc_u32 s13, s19, s13
	global_load_dwordx4 v[0:3], v4, s[12:13]
	s_waitcnt vmcnt(0)
	ds_write_b128 v4, v[0:3]
.LBB346_4:
	s_or_b32 exec_lo, exec_lo, s7
	s_load_dwordx4 s[20:23], s[4:5], 0x68
	s_mul_i32 s7, s15, s11
	s_xor_b32 s1, s0, s1
	s_sub_i32 s0, s14, s7
	s_add_i32 s7, s15, 1
	s_sub_i32 s12, s0, s11
	s_cmp_ge_u32 s0, s11
	s_waitcnt lgkmcnt(0)
	s_cselect_b32 s7, s7, s15
	s_cselect_b32 s0, s12, s0
	s_add_i32 s12, s7, 1
	s_cmp_ge_u32 s0, s11
	s_load_dword s0, s[4:5], 0x78
	s_cselect_b32 s7, s12, s7
	s_mov_b32 s12, -1
	s_xor_b32 s7, s7, s1
	s_barrier
	s_sub_i32 s1, s7, s1
	s_waitcnt lgkmcnt(0)
	buffer_gl0_inv
                                        ; implicit-def: $sgpr25
	s_abs_i32 s16, s23
	v_cvt_f32_u32_e32 v0, s16
	s_sub_i32 s7, 0, s16
	v_rcp_iflag_f32_e32 v0, v0
	v_mul_f32_e32 v0, 0x4f7ffffe, v0
	v_cvt_u32_f32_e32 v0, v0
	v_readfirstlane_b32 s19, v0
	s_mul_i32 s11, s7, s19
	s_add_i32 s7, s33, -1
	s_mul_hi_u32 s13, s19, s11
	s_abs_i32 s11, s7
	s_add_i32 s19, s19, s13
	s_cmp_lt_i32 s0, 0
	s_mul_hi_u32 s34, s11, s19
	s_cbranch_scc0 .LBB346_6
; %bb.5:
	s_mul_i32 s2, s20, s2
	s_mov_b32 s12, 0
	s_add_i32 s2, s1, s2
	s_mul_i32 s2, s2, s0
	s_sub_i32 s25, 1, s2
.LBB346_6:
	s_load_dwordx2 s[26:27], s[4:5], 0x28
	s_ashr_i32 s2, s7, 31
	s_andn2_b32 vcc_lo, exec_lo, s12
	s_ashr_i32 s23, s23, 31
	s_cbranch_vccnz .LBB346_8
; %bb.7:
	s_mul_i32 s7, s9, s20
	s_add_i32 s6, s7, s6
	s_mul_i32 s0, s6, s0
	s_add_i32 s25, s0, 1
.LBB346_8:
	s_clause 0x2
	s_load_dword s0, s[4:5], 0x38
	s_load_dwordx2 s[6:7], s[4:5], 0x0
	s_load_dwordx2 s[30:31], s[4:5], 0x18
	s_mul_i32 s12, s34, s16
	s_xor_b32 s2, s2, s23
	s_sub_i32 s36, s11, s12
	s_add_i32 s20, s34, 1
	s_clause 0x1
	s_load_dword s11, s[4:5], 0x88
	s_load_dwordx4 s[12:15], s[4:5], 0x58
	v_lshrrev_b32_e32 v0, 5, v5
	v_and_b32_e32 v1, 31, v5
	v_mov_b32_e32 v99, 0xff7fffff
	v_lshrrev_b32_e32 v37, 3, v5
	s_mul_i32 s18, s1, s18
	v_lshlrev_b32_e32 v23, 5, v0
	v_lshlrev_b32_e32 v26, 2, v1
	buffer_store_dword v5, off, s[48:51], 0 offset:244 ; 4-byte Folded Spill
	buffer_store_dword v0, off, s[48:51], 0 offset:248 ; 4-byte Folded Spill
	buffer_store_dword v1, off, s[48:51], 0 ; 4-byte Folded Spill
	s_waitcnt lgkmcnt(0)
	s_mul_i32 s28, s0, s10
	s_sub_i32 s0, s36, s16
	s_ashr_i32 s29, s28, 31
	s_cmp_ge_u32 s36, s16
	s_cselect_b32 s20, s20, s34
	s_cselect_b32 s0, s0, s36
	s_add_i32 s34, s20, 1
	s_cmp_ge_u32 s0, s16
	s_cselect_b32 s0, s34, s20
	s_add_i32 s20, s33, 31
	s_ashr_i32 s34, s20, 31
	s_lshr_b32 s34, s34, 27
	s_add_i32 s20, s20, s34
	s_xor_b32 s34, s0, s2
	s_ashr_i32 s20, s20, 5
	s_sub_i32 s34, s34, s2
	v_cmp_gt_i32_e64 s0, s20, v0
	s_and_saveexec_b32 s36, s0
	s_cbranch_execz .LBB346_616
; %bb.9:
	v_mov_b32_e32 v2, 0
	s_load_dwordx2 s[4:5], s[4:5], 0x10
	s_sub_i32 s37, s34, s21
	s_ashr_i32 s1, s18, 31
	v_cmp_neq_f32_e64 vcc_lo, s35, 0
	ds_read_b128 v[3:6], v2
	ds_read_b128 v[7:10], v2 offset:16
	ds_read_b128 v[11:14], v2 offset:32
	;; [unrolled: 1-line block ×4, first 2 shown]
	v_mov_b32_e32 v103, 0x80
	v_mov_b32_e32 v104, 0xffff
	;; [unrolled: 1-line block ×6, first 2 shown]
	s_mov_b32 s39, s17
	s_mov_b32 s40, 0
	buffer_store_dword v37, off, s[48:51], 0 offset:252 ; 4-byte Folded Spill
	buffer_store_dword v26, off, s[48:51], 0 offset:256 ; 4-byte Folded Spill
	buffer_load_dword v108, off, s[48:51], 0 offset:248 ; 4-byte Folded Reload
	s_waitcnt lgkmcnt(0)
	v_lshlrev_b32_e32 v0, 16, v3
	s_add_u32 s2, s4, s18
	s_addc_u32 s1, s5, s1
	s_abs_i32 s38, s22
	buffer_store_dword v0, off, s[48:51], 0 offset:4 ; 4-byte Folded Spill
	v_and_b32_e32 v0, 0xffff0000, v3
	s_sub_i32 s4, 0, s38
	buffer_store_dword v0, off, s[48:51], 0 offset:12 ; 4-byte Folded Spill
	v_lshlrev_b32_e32 v0, 16, v4
	buffer_store_dword v0, off, s[48:51], 0 offset:16 ; 4-byte Folded Spill
	v_and_b32_e32 v0, 0xffff0000, v4
	buffer_store_dword v0, off, s[48:51], 0 offset:20 ; 4-byte Folded Spill
	v_lshlrev_b32_e32 v0, 16, v5
	buffer_store_dword v0, off, s[48:51], 0 offset:24 ; 4-byte Folded Spill
	v_and_b32_e32 v0, 0xffff0000, v5
	;; [unrolled: 4-line block ×3, first 2 shown]
	ds_read_b128 v[3:6], v2 offset:80
	buffer_store_dword v0, off, s[48:51], 0 offset:36 ; 4-byte Folded Spill
	v_lshlrev_b32_e32 v0, 16, v7
	buffer_store_dword v0, off, s[48:51], 0 offset:40 ; 4-byte Folded Spill
	v_and_b32_e32 v0, 0xffff0000, v7
	buffer_store_dword v0, off, s[48:51], 0 offset:44 ; 4-byte Folded Spill
	v_lshlrev_b32_e32 v0, 16, v8
	buffer_store_dword v0, off, s[48:51], 0 offset:48 ; 4-byte Folded Spill
	v_and_b32_e32 v0, 0xffff0000, v8
	;; [unrolled: 4-line block ×4, first 2 shown]
	ds_read_b128 v[7:10], v2 offset:96
	buffer_store_dword v0, off, s[48:51], 0 offset:68 ; 4-byte Folded Spill
	v_lshlrev_b32_e32 v0, 16, v11
	buffer_store_dword v0, off, s[48:51], 0 offset:72 ; 4-byte Folded Spill
	v_and_b32_e32 v0, 0xffff0000, v11
	buffer_store_dword v0, off, s[48:51], 0 offset:76 ; 4-byte Folded Spill
	v_lshlrev_b32_e32 v0, 16, v12
	s_waitcnt lgkmcnt(0)
	v_and_b32_e32 v1, 0xffff0000, v7
	buffer_store_dword v0, off, s[48:51], 0 offset:80 ; 4-byte Folded Spill
	v_and_b32_e32 v0, 0xffff0000, v12
	buffer_store_dword v1, off, s[48:51], 0 offset:204 ; 4-byte Folded Spill
	v_lshlrev_b32_e32 v1, 16, v8
	buffer_store_dword v0, off, s[48:51], 0 offset:84 ; 4-byte Folded Spill
	v_lshlrev_b32_e32 v0, 16, v13
	buffer_store_dword v1, off, s[48:51], 0 offset:208 ; 4-byte Folded Spill
	v_and_b32_e32 v1, 0xffff0000, v8
	buffer_store_dword v0, off, s[48:51], 0 offset:88 ; 4-byte Folded Spill
	v_and_b32_e32 v0, 0xffff0000, v13
	buffer_store_dword v1, off, s[48:51], 0 offset:212 ; 4-byte Folded Spill
	v_lshlrev_b32_e32 v1, 16, v9
	buffer_store_dword v0, off, s[48:51], 0 offset:92 ; 4-byte Folded Spill
	v_lshlrev_b32_e32 v0, 16, v14
	buffer_store_dword v1, off, s[48:51], 0 offset:216 ; 4-byte Folded Spill
	v_and_b32_e32 v1, 0xffff0000, v9
	buffer_store_dword v0, off, s[48:51], 0 offset:96 ; 4-byte Folded Spill
	v_and_b32_e32 v0, 0xffff0000, v14
	ds_read_b128 v[11:14], v2 offset:112
	buffer_store_dword v1, off, s[48:51], 0 offset:220 ; 4-byte Folded Spill
	v_lshlrev_b32_e32 v1, 16, v10
	buffer_store_dword v0, off, s[48:51], 0 offset:100 ; 4-byte Folded Spill
	v_lshlrev_b32_e32 v0, 16, v15
	buffer_store_dword v1, off, s[48:51], 0 offset:224 ; 4-byte Folded Spill
	v_and_b32_e32 v1, 0xffff0000, v10
	buffer_store_dword v0, off, s[48:51], 0 offset:104 ; 4-byte Folded Spill
	v_and_b32_e32 v0, 0xffff0000, v15
	buffer_store_dword v1, off, s[48:51], 0 offset:228 ; 4-byte Folded Spill
	buffer_store_dword v0, off, s[48:51], 0 offset:108 ; 4-byte Folded Spill
	v_lshlrev_b32_e32 v0, 16, v16
	buffer_store_dword v0, off, s[48:51], 0 offset:112 ; 4-byte Folded Spill
	v_and_b32_e32 v0, 0xffff0000, v16
	buffer_store_dword v0, off, s[48:51], 0 offset:116 ; 4-byte Folded Spill
	v_lshlrev_b32_e32 v0, 16, v17
	buffer_store_dword v0, off, s[48:51], 0 offset:120 ; 4-byte Folded Spill
	v_and_b32_e32 v0, 0xffff0000, v17
	;; [unrolled: 4-line block ×11, first 2 shown]
	ds_read_b128 v[3:6], v2 offset:128
	s_waitcnt lgkmcnt(1)
	v_lshlrev_b32_e32 v1, 16, v11
	v_and_b32_e32 v77, 0xffff0000, v12
	v_lshlrev_b32_e32 v78, 16, v13
	buffer_store_dword v0, off, s[48:51], 0 offset:196 ; 4-byte Folded Spill
	v_lshlrev_b32_e32 v0, 16, v7
	buffer_store_dword v1, off, s[48:51], 0 offset:232 ; 4-byte Folded Spill
	v_and_b32_e32 v1, 0xffff0000, v11
	ds_read_b128 v[7:10], v2 offset:144
	v_and_b32_e32 v79, 0xffff0000, v13
	buffer_store_dword v0, off, s[48:51], 0 offset:200 ; 4-byte Folded Spill
	v_cvt_f32_u32_e32 v0, s38
	buffer_store_dword v1, off, s[48:51], 0 offset:236 ; 4-byte Folded Spill
	v_lshlrev_b32_e32 v1, 16, v12
	v_lshlrev_b32_e32 v80, 16, v14
	v_and_b32_e32 v81, 0xffff0000, v14
	v_rcp_iflag_f32_e32 v0, v0
	buffer_store_dword v1, off, s[48:51], 0 offset:240 ; 4-byte Folded Spill
	s_waitcnt lgkmcnt(1)
	v_lshlrev_b32_e32 v86, 16, v5
	v_and_b32_e32 v87, 0xffff0000, v5
	buffer_load_dword v5, off, s[48:51], 0  ; 4-byte Folded Reload
	v_lshlrev_b32_e32 v82, 16, v3
	v_and_b32_e32 v83, 0xffff0000, v3
	v_lshlrev_b32_e32 v84, 16, v4
	v_mul_f32_e32 v0, 0x4f7ffffe, v0
	v_and_b32_e32 v85, 0xffff0000, v4
	s_waitcnt lgkmcnt(0)
	v_lshlrev_b32_e32 v90, 16, v7
	v_and_b32_e32 v91, 0xffff0000, v7
	v_lshlrev_b32_e32 v88, 16, v6
	v_cvt_u32_f32_e32 v0, v0
	v_and_b32_e32 v89, 0xffff0000, v6
	v_lshlrev_b32_e32 v92, 16, v8
	v_and_b32_e32 v93, 0xffff0000, v8
	v_lshlrev_b32_e32 v94, 16, v9
	v_mul_lo_u32 v1, s4, v0
	s_lshl_b64 s[4:5], s[28:29], 2
	v_and_b32_e32 v95, 0xffff0000, v9
	v_lshlrev_b32_e32 v96, 16, v10
	v_and_b32_e32 v97, 0xffff0000, v10
	s_waitcnt vmcnt(1)
	v_lshl_or_b32 v7, v108, 7, v26
	v_lshlrev_b32_e32 v102, 5, v108
	v_mul_hi_u32 v1, v0, v1
	v_add_nc_u32_e32 v101, 0xc0, v7
	v_add_nc_u32_e32 v98, v0, v1
	v_and_b32_e32 v0, 0x7c, v37
	s_waitcnt vmcnt(0)
	v_lshlrev_b32_e32 v3, 4, v5
	v_subrev_nc_u32_e32 v1, s33, v5
	v_add_co_u32 v3, s2, s2, v3
	v_add_co_ci_u32_e64 v4, null, s1, 0, s2
	s_add_u32 s1, s26, s4
	s_addc_u32 s2, s27, s5
	v_add_co_u32 v5, s1, s1, v0
	v_add_co_ci_u32_e64 v6, null, s2, 0, s1
	v_add_nc_u32_e32 v100, 1, v1
	s_mov_b32 s4, -1
	s_mov_b32 s5, 0xffffff
	s_branch .LBB346_15
.LBB346_10:                             ;   in Loop: Header=BB346_15 Depth=1
	s_or_b32 exec_lo, exec_lo, s45
	v_lshlrev_b32_sdwa v8, v107, v8 dst_sel:DWORD dst_unused:UNUSED_PAD src0_sel:DWORD src1_sel:BYTE_3
	v_lshlrev_b32_e32 v1, 20, v1
	v_lshl_add_u32 v7, v7, 23, 0x3c000000
	v_and_b32_e32 v8, 0x80000000, v8
	v_or3_b32 v70, v1, v8, v7
.LBB346_11:                             ;   in Loop: Header=BB346_15 Depth=1
	s_or_b32 exec_lo, exec_lo, s44
.LBB346_12:                             ;   in Loop: Header=BB346_15 Depth=1
	s_or_b32 exec_lo, exec_lo, s43
.LBB346_13:                             ;   in Loop: Header=BB346_15 Depth=1
	s_or_b32 exec_lo, exec_lo, s42
	s_waitcnt lgkmcnt(0)
	v_mul_f32_e32 v1, s41, v64
	v_mul_f32_e32 v54, s41, v54
	;; [unrolled: 1-line block ×5, first 2 shown]
	v_bfe_u32 v7, v1, 16, 1
	v_or_b32_e32 v8, 0x400000, v1
	v_cmp_u_f32_e64 s1, v1, v1
	v_mul_f32_e32 v50, s41, v50
	v_mul_f32_e32 v46, s41, v46
	v_add3_u32 v7, v7, v1, 0x7fff
	v_mul_f32_e32 v47, s41, v47
	v_mul_f32_e32 v45, s41, v45
	;; [unrolled: 1-line block ×4, first 2 shown]
	v_cndmask_b32_e64 v1, v7, v8, s1
	v_mul_f32_e32 v7, s41, v65
	v_mul_f32_e32 v38, s41, v38
	;; [unrolled: 1-line block ×5, first 2 shown]
	v_bfe_u32 v8, v7, 16, 1
	v_or_b32_e32 v9, 0x400000, v7
	v_cmp_u_f32_e64 s1, v7, v7
	v_mul_f32_e32 v34, s41, v34
	v_mul_f32_e32 v30, s41, v30
	v_add3_u32 v8, v8, v7, 0x7fff
	v_mul_f32_e32 v31, s41, v31
	v_mul_f32_e32 v29, s41, v29
	;; [unrolled: 1-line block ×4, first 2 shown]
	v_cndmask_b32_e64 v7, v8, v9, s1
	v_mul_f32_e32 v8, s41, v61
	v_mul_f32_e32 v19, s41, v19
	;; [unrolled: 1-line block ×5, first 2 shown]
	v_bfe_u32 v9, v8, 16, 1
	v_or_b32_e32 v10, 0x400000, v8
	v_cmp_u_f32_e64 s1, v8, v8
	v_mul_f32_e32 v0, s41, v0
	v_mul_f32_e32 v11, s41, v11
	v_add3_u32 v9, v9, v8, 0x7fff
	v_mul_f32_e32 v8, s41, v60
	v_and_b32_e32 v7, 0xffff0000, v7
	v_and_b32_e32 v1, 0xffff0000, v1
	v_cndmask_b32_e64 v10, v9, v10, s1
	v_bfe_u32 v9, v8, 16, 1
	v_or_b32_e32 v60, 0x400000, v8
	v_cmp_u_f32_e64 s1, v8, v8
	v_and_b32_e32 v10, 0xffff0000, v10
	v_add3_u32 v9, v9, v8, 0x7fff
	v_mul_f32_e32 v8, s41, v58
	v_cndmask_b32_e64 v60, v9, v60, s1
	v_bfe_u32 v9, v8, 16, 1
	v_or_b32_e32 v58, 0x400000, v8
	v_cmp_u_f32_e64 s1, v8, v8
	v_add3_u32 v9, v9, v8, 0x7fff
	v_mul_f32_e32 v8, s41, v59
	v_cndmask_b32_e64 v58, v9, v58, s1
	v_bfe_u32 v9, v8, 16, 1
	v_or_b32_e32 v59, 0x400000, v8
	v_cmp_u_f32_e64 s1, v8, v8
	;; [unrolled: 6-line block ×4, first 2 shown]
	v_add3_u32 v61, v61, v8, 0x7fff
	v_cndmask_b32_e64 v8, v61, v64, s1
	v_bfe_u32 v61, v54, 16, 1
	v_or_b32_e32 v64, 0x400000, v54
	v_cmp_u_f32_e64 s1, v54, v54
	v_add3_u32 v61, v61, v54, 0x7fff
	v_cndmask_b32_e64 v54, v61, v64, s1
	v_bfe_u32 v61, v55, 16, 1
	v_or_b32_e32 v64, 0x400000, v55
	v_cmp_u_f32_e64 s1, v55, v55
	v_add3_u32 v61, v61, v55, 0x7fff
	v_cndmask_b32_e64 v55, v61, v64, s1
	v_bfe_u32 v61, v53, 16, 1
	v_or_b32_e32 v64, 0x400000, v53
	v_cmp_u_f32_e64 s1, v53, v53
	v_add3_u32 v61, v61, v53, 0x7fff
	v_cndmask_b32_e64 v53, v61, v64, s1
	v_bfe_u32 v61, v52, 16, 1
	v_or_b32_e32 v64, 0x400000, v52
	v_cmp_u_f32_e64 s1, v52, v52
	v_add3_u32 v61, v61, v52, 0x7fff
	v_cndmask_b32_e64 v52, v61, v64, s1
	v_bfe_u32 v61, v50, 16, 1
	v_or_b32_e32 v64, 0x400000, v50
	v_cmp_u_f32_e64 s1, v50, v50
	v_add3_u32 v61, v61, v50, 0x7fff
	v_mul_f32_e32 v50, s41, v51
	v_cndmask_b32_e64 v61, v61, v64, s1
	v_bfe_u32 v51, v50, 16, 1
	v_or_b32_e32 v64, 0x400000, v50
	v_cmp_u_f32_e64 s1, v50, v50
	v_add3_u32 v51, v51, v50, 0x7fff
	v_mul_f32_e32 v50, s41, v57
	v_cndmask_b32_e64 v64, v51, v64, s1
	v_bfe_u32 v51, v50, 16, 1
	v_or_b32_e32 v57, 0x400000, v50
	v_cmp_u_f32_e64 s1, v50, v50
	v_add3_u32 v51, v51, v50, 0x7fff
	v_cndmask_b32_e64 v50, v51, v57, s1
	v_mul_f32_e32 v51, s41, v56
	v_bfe_u32 v56, v51, 16, 1
	v_or_b32_e32 v57, 0x400000, v51
	v_cmp_u_f32_e64 s1, v51, v51
	v_add3_u32 v56, v56, v51, 0x7fff
	v_cndmask_b32_e64 v51, v56, v57, s1
	v_bfe_u32 v56, v46, 16, 1
	v_or_b32_e32 v57, 0x400000, v46
	v_cmp_u_f32_e64 s1, v46, v46
	v_add3_u32 v56, v56, v46, 0x7fff
	v_cndmask_b32_e64 v46, v56, v57, s1
	v_bfe_u32 v56, v47, 16, 1
	v_or_b32_e32 v57, 0x400000, v47
	v_cmp_u_f32_e64 s1, v47, v47
	v_add3_u32 v56, v56, v47, 0x7fff
	v_cndmask_b32_e64 v47, v56, v57, s1
	v_bfe_u32 v56, v45, 16, 1
	v_or_b32_e32 v57, 0x400000, v45
	v_cmp_u_f32_e64 s1, v45, v45
	v_add3_u32 v56, v56, v45, 0x7fff
	v_cndmask_b32_e64 v45, v56, v57, s1
	v_bfe_u32 v56, v44, 16, 1
	v_or_b32_e32 v57, 0x400000, v44
	v_cmp_u_f32_e64 s1, v44, v44
	v_add3_u32 v56, v56, v44, 0x7fff
	v_cndmask_b32_e64 v44, v56, v57, s1
	v_bfe_u32 v56, v42, 16, 1
	v_or_b32_e32 v57, 0x400000, v42
	v_cmp_u_f32_e64 s1, v42, v42
	v_add3_u32 v56, v56, v42, 0x7fff
	v_mul_f32_e32 v42, s41, v43
	v_cndmask_b32_e64 v56, v56, v57, s1
	v_bfe_u32 v43, v42, 16, 1
	v_or_b32_e32 v57, 0x400000, v42
	v_cmp_u_f32_e64 s1, v42, v42
	v_add3_u32 v43, v43, v42, 0x7fff
	v_mul_f32_e32 v42, s41, v49
	v_cndmask_b32_e64 v57, v43, v57, s1
	v_bfe_u32 v43, v42, 16, 1
	v_or_b32_e32 v49, 0x400000, v42
	v_cmp_u_f32_e64 s1, v42, v42
	v_add3_u32 v43, v43, v42, 0x7fff
	v_cndmask_b32_e64 v42, v43, v49, s1
	v_mul_f32_e32 v43, s41, v48
	v_bfe_u32 v48, v43, 16, 1
	v_or_b32_e32 v49, 0x400000, v43
	v_cmp_u_f32_e64 s1, v43, v43
	;; [unrolled: 43-line block ×4, first 2 shown]
	v_add3_u32 v32, v32, v27, 0x7fff
	v_cndmask_b32_e64 v27, v32, v33, s1
	v_bfe_u32 v32, v19, 16, 1
	v_or_b32_e32 v33, 0x400000, v19
	v_cmp_u_f32_e64 s1, v19, v19
	v_add3_u32 v32, v32, v19, 0x7fff
	v_cndmask_b32_e64 v19, v32, v33, s1
	v_bfe_u32 v32, v20, 16, 1
	v_or_b32_e32 v33, 0x400000, v20
	v_cmp_u_f32_e64 s1, v20, v20
	;; [unrolled: 5-line block ×5, first 2 shown]
	v_and_b32_e32 v17, 0xffff0000, v17
	v_add3_u32 v32, v32, v0, 0x7fff
	v_mul_f32_e32 v0, s41, v16
	v_cndmask_b32_e64 v32, v32, v33, s1
	v_bfe_u32 v16, v0, 16, 1
	v_or_b32_e32 v33, 0x400000, v0
	v_cmp_u_f32_e64 s1, v0, v0
	v_and_b32_e32 v32, 0xffff0000, v32
	v_add3_u32 v16, v16, v0, 0x7fff
	v_mul_f32_e32 v0, s41, v25
	v_cndmask_b32_e64 v33, v16, v33, s1
	v_bfe_u32 v16, v0, 16, 1
	v_or_b32_e32 v25, 0x400000, v0
	v_cmp_u_f32_e64 s1, v0, v0
	;; [unrolled: 7-line block ×4, first 2 shown]
	v_add3_u32 v14, v14, v0, 0x7fff
	v_mul_f32_e32 v0, s41, v21
	v_cndmask_b32_e64 v72, v14, v25, s1
	v_bfe_u32 v14, v0, 16, 1
	v_or_b32_e32 v21, 0x400000, v0
	v_cmp_u_f32_e64 s1, v0, v0
	v_add3_u32 v14, v14, v0, 0x7fff
	v_mul_f32_e32 v0, s41, v13
	v_cndmask_b32_e64 v73, v14, v21, s1
	v_bfe_u32 v13, v0, 16, 1
	v_or_b32_e32 v14, 0x400000, v0
	v_cmp_u_f32_e64 s1, v0, v0
	;; [unrolled: 6-line block ×9, first 2 shown]
	v_and_b32_e32 v21, 0xffff0000, v21
	v_add3_u32 v13, v13, v0, 0x7fff
	v_mul_f32_e32 v0, s41, v120
	v_cndmask_b32_e64 v22, v13, v14, s1
	v_bfe_u32 v13, v0, 16, 1
	v_or_b32_e32 v14, 0x400000, v0
	v_cmp_u_f32_e64 s1, v0, v0
	v_and_b32_e32 v22, 0xffff0000, v22
	v_add3_u32 v13, v13, v0, 0x7fff
	v_mul_f32_e32 v0, s41, v119
	v_cndmask_b32_e64 v25, v13, v14, s1
	v_bfe_u32 v13, v0, 16, 1
	v_or_b32_e32 v14, 0x400000, v0
	v_cmp_u_f32_e64 s1, v0, v0
	;; [unrolled: 7-line block ×3, first 2 shown]
	v_add3_u32 v13, v13, v0, 0x7fff
	v_mul_f32_e32 v0, s41, v117
	v_cndmask_b32_e64 v68, v13, v14, s1
	v_bfe_u32 v13, v0, 16, 1
	v_or_b32_e32 v14, 0x400000, v0
	v_cmp_u_f32_e64 s1, v0, v0
	v_add3_u32 v13, v13, v0, 0x7fff
	v_mul_f32_e32 v0, s41, v124
	v_cndmask_b32_e64 v117, v13, v14, s1
	v_bfe_u32 v13, v0, 16, 1
	v_or_b32_e32 v14, 0x400000, v0
	v_cmp_u_f32_e64 s1, v0, v0
	;; [unrolled: 6-line block ×11, first 2 shown]
	v_add3_u32 v13, v13, v0, 0x7fff
	v_mul_f32_e32 v0, s41, v66
	buffer_load_dword v66, off, s[48:51], 0 offset:40 ; 4-byte Folded Reload
	v_cndmask_b32_e64 v115, v13, v14, s1
	v_bfe_u32 v13, v0, 16, 1
	v_or_b32_e32 v14, 0x400000, v0
	v_cmp_u_f32_e64 s1, v0, v0
	v_add3_u32 v13, v13, v0, 0x7fff
	v_cndmask_b32_e64 v0, v13, v14, s1
	v_mul_f32_e32 v13, s41, v67
	buffer_load_dword v67, off, s[48:51], 0 offset:44 ; 4-byte Folded Reload
	v_and_b32_e32 v0, 0xffff0000, v0
	v_bfe_u32 v14, v13, 16, 1
	v_or_b32_e32 v15, 0x400000, v13
	v_cmp_u_f32_e64 s1, v13, v13
	v_add3_u32 v14, v14, v13, 0x7fff
	v_cndmask_b32_e64 v13, v14, v15, s1
	v_mul_f32_e32 v14, s41, v63
	v_bfe_u32 v15, v14, 16, 1
	v_or_b32_e32 v63, 0x400000, v14
	v_cmp_u_f32_e64 s1, v14, v14
	v_add3_u32 v15, v15, v14, 0x7fff
	v_cndmask_b32_e64 v14, v15, v63, s1
	v_mul_f32_e32 v15, s41, v62
	v_bfe_u32 v62, v15, 16, 1
	v_or_b32_e32 v63, 0x400000, v15
	v_cmp_u_f32_e64 s1, v15, v15
	v_add3_u32 v62, v62, v15, 0x7fff
	v_cndmask_b32_e64 v15, v62, v63, s1
	v_bfe_u32 v62, v11, 16, 1
	v_or_b32_e32 v63, 0x400000, v11
	v_cmp_u_f32_e64 s1, v11, v11
	v_add3_u32 v62, v62, v11, 0x7fff
	v_mul_f32_e32 v11, s41, v12
	v_cndmask_b32_e64 v65, v62, v63, s1
	v_bfe_u32 v12, v11, 16, 1
	v_or_b32_e32 v62, 0x400000, v11
	v_cmp_u_f32_e64 s1, v11, v11
	v_add3_u32 v12, v12, v11, 0x7fff
	v_mul_f32_e32 v11, s41, v71
	buffer_load_dword v71, off, s[48:51], 0 offset:68 ; 4-byte Folded Reload
	v_cndmask_b32_e64 v69, v12, v62, s1
	v_bfe_u32 v12, v11, 16, 1
	v_or_b32_e32 v62, 0x400000, v11
	v_cmp_u_f32_e64 s1, v11, v11
	v_add3_u32 v12, v12, v11, 0x7fff
	v_cndmask_b32_e64 v11, v12, v62, s1
	v_mul_f32_e32 v12, s41, v70
	buffer_load_dword v70, off, s[48:51], 0 offset:64 ; 4-byte Folded Reload
	v_bfe_u32 v62, v12, 16, 1
	v_or_b32_e32 v63, 0x400000, v12
	v_cmp_u_f32_e64 s1, v12, v12
	v_add3_u32 v62, v62, v12, 0x7fff
	v_cndmask_b32_e64 v12, v62, v63, s1
	v_and_b32_e32 v62, 0xffff0000, v117
	v_and_b32_e32 v63, 0xffff0000, v109
	s_waitcnt vmcnt(3)
	v_mul_f32_e32 v66, v66, v62
	buffer_load_dword v62, off, s[48:51], 0 offset:4 ; 4-byte Folded Reload
	s_waitcnt vmcnt(0)
	v_fmac_f32_e32 v66, v62, v63
	v_and_b32_e32 v62, 0xffff0000, v68
	v_and_b32_e32 v63, 0xffff0000, v110
	v_mul_f32_e32 v68, v67, v62
	s_clause 0x1
	buffer_load_dword v62, off, s[48:51], 0 offset:12
	buffer_load_dword v67, off, s[48:51], 0 offset:48
	s_waitcnt vmcnt(1)
	v_fmac_f32_e32 v68, v62, v63
	v_and_b32_e32 v62, 0xffff0000, v119
	v_and_b32_e32 v63, 0xffff0000, v111
	s_waitcnt vmcnt(0)
	v_mul_f32_e32 v67, v67, v62
	buffer_load_dword v62, off, s[48:51], 0 offset:16 ; 4-byte Folded Reload
	s_waitcnt vmcnt(0)
	v_fmac_f32_e32 v67, v62, v63
	buffer_load_dword v63, off, s[48:51], 0 offset:52 ; 4-byte Folded Reload
	v_and_b32_e32 v62, 0xffff0000, v112
	s_waitcnt vmcnt(0)
	v_mul_f32_e32 v63, v63, v25
	buffer_load_dword v25, off, s[48:51], 0 offset:20 ; 4-byte Folded Reload
	s_waitcnt vmcnt(0)
	v_fmac_f32_e32 v63, v25, v62
	buffer_load_dword v62, off, s[48:51], 0 offset:56 ; 4-byte Folded Reload
	;; [unrolled: 7-line block ×3, first 2 shown]
	v_and_b32_e32 v22, 0xffff0000, v114
	s_waitcnt vmcnt(0)
	v_mul_f32_e32 v21, v25, v21
	buffer_load_dword v25, off, s[48:51], 0 offset:28 ; 4-byte Folded Reload
	s_waitcnt vmcnt(0)
	v_fmac_f32_e32 v21, v25, v22
	v_and_b32_e32 v22, 0xffff0000, v118
	v_and_b32_e32 v25, 0xffff0000, v116
	v_mul_f32_e32 v22, v70, v22
	buffer_load_dword v70, off, s[48:51], 0 offset:32 ; 4-byte Folded Reload
	s_waitcnt vmcnt(0)
	v_fmac_f32_e32 v22, v70, v25
	v_and_b32_e32 v25, 0xffff0000, v120
	v_and_b32_e32 v70, 0xffff0000, v115
	v_mul_f32_e32 v25, v71, v25
	buffer_load_dword v71, off, s[48:51], 0 offset:36 ; 4-byte Folded Reload
	s_waitcnt vmcnt(0)
	v_fmac_f32_e32 v25, v71, v70
	buffer_load_dword v71, off, s[48:51], 0 offset:72 ; 4-byte Folded Reload
	v_and_b32_e32 v70, 0xffff0000, v76
	s_waitcnt vmcnt(0)
	v_fmac_f32_e32 v66, v71, v70
	buffer_load_dword v71, off, s[48:51], 0 offset:76 ; 4-byte Folded Reload
	v_and_b32_e32 v70, 0xffff0000, v75
	;; [unrolled: 4-line block ×8, first 2 shown]
	s_waitcnt vmcnt(0)
	v_fmac_f32_e32 v25, v71, v70
	buffer_load_dword v70, off, s[48:51], 0 offset:104 ; 4-byte Folded Reload
	s_waitcnt vmcnt(0)
	v_fmac_f32_e32 v66, v70, v33
	buffer_load_dword v33, off, s[48:51], 0 offset:108 ; 4-byte Folded Reload
	;; [unrolled: 3-line block ×3, first 2 shown]
	s_waitcnt vmcnt(0)
	v_fmac_f32_e32 v67, v32, v17
	v_and_b32_e32 v17, 0xffff0000, v18
	buffer_load_dword v18, off, s[48:51], 0 offset:116 ; 4-byte Folded Reload
	s_waitcnt vmcnt(0)
	v_fmac_f32_e32 v63, v18, v17
	buffer_load_dword v18, off, s[48:51], 0 offset:120 ; 4-byte Folded Reload
	v_and_b32_e32 v17, 0xffff0000, v20
	s_waitcnt vmcnt(0)
	v_fmac_f32_e32 v62, v18, v17
	buffer_load_dword v18, off, s[48:51], 0 offset:124 ; 4-byte Folded Reload
	v_and_b32_e32 v17, 0xffff0000, v19
	s_waitcnt vmcnt(0)
	v_fmac_f32_e32 v21, v18, v17
	buffer_load_dword v17, off, s[48:51], 0 offset:128 ; 4-byte Folded Reload
	s_waitcnt vmcnt(0)
	v_fmac_f32_e32 v22, v17, v16
	buffer_load_dword v17, off, s[48:51], 0 offset:132 ; 4-byte Folded Reload
	v_and_b32_e32 v16, 0xffff0000, v24
	s_waitcnt vmcnt(0)
	v_fmac_f32_e32 v25, v17, v16
	buffer_load_dword v17, off, s[48:51], 0 offset:136 ; 4-byte Folded Reload
	v_and_b32_e32 v16, 0xffff0000, v41
	;; [unrolled: 4-line block ×28, first 2 shown]
	s_waitcnt vmcnt(0)
	v_fmac_f32_e32 v67, v17, v16
	v_and_b32_e32 v16, 0xffff0000, v53
	v_fmac_f32_e32 v63, v77, v16
	v_and_b32_e32 v16, 0xffff0000, v55
	v_fmac_f32_e32 v63, v85, v10
	v_fmac_f32_e32 v62, v78, v16
	v_and_b32_e32 v16, 0xffff0000, v54
	v_and_b32_e32 v10, 0xffff0000, v15
	v_fmac_f32_e32 v62, v86, v7
	v_fmac_f32_e32 v21, v79, v16
	v_and_b32_e32 v16, 0xffff0000, v50
	;; [unrolled: 4-line block ×3, first 2 shown]
	v_fmac_f32_e32 v63, v93, v7
	v_and_b32_e32 v1, 0xffff0000, v13
	v_fmac_f32_e32 v21, v95, v0
	v_fmac_f32_e32 v25, v81, v16
	v_and_b32_e32 v16, 0xffff0000, v59
	v_fmac_f32_e32 v62, v94, v1
	;; [unrolled: 3-line block ×3, first 2 shown]
	v_and_b32_e32 v16, 0xffff0000, v60
	v_fmac_f32_e32 v67, v84, v16
	v_and_b32_e32 v16, 0xffff0000, v69
	v_fmac_f32_e32 v67, v92, v10
	v_fmac_f32_e32 v66, v90, v16
	v_and_b32_e32 v16, 0xffff0000, v65
	v_fmac_f32_e32 v68, v91, v16
	v_add_f32_e32 v10, v66, v68
	v_add_f32_e32 v7, v10, v67
	;; [unrolled: 1-line block ×3, first 2 shown]
	v_and_b32_e32 v7, 0xffff0000, v9
	v_add_f32_e32 v0, v1, v62
	v_and_b32_e32 v1, 0xffff0000, v8
	v_fmac_f32_e32 v22, v88, v7
	v_add_f32_e32 v0, v0, v21
	v_fmac_f32_e32 v25, v89, v1
	v_and_b32_e32 v1, 0xffff0000, v11
	v_fmac_f32_e32 v22, v96, v1
	v_and_b32_e32 v1, 0xffff0000, v12
	v_add_f32_e32 v0, v0, v22
	v_fmac_f32_e32 v25, v97, v1
	v_add_nc_u32_e32 v1, v100, v102
	v_add_f32_e32 v0, v0, v25
	v_cvt_f32_i32_e32 v1, v1
	v_mul_f32_e32 v1, s35, v1
	v_cndmask_b32_e32 v1, 0, v1, vcc_lo
	v_fmac_f32_e32 v1, s3, v0
	buffer_load_dword v0, off, s[48:51], 0  ; 4-byte Folded Reload
	s_waitcnt vmcnt(0)
	v_add_nc_u32_e32 v0, v0, v102
	v_cmp_gt_i32_e64 s1, s33, v0
	v_max_f32_e32 v0, v99, v99
	v_max_f32_e32 v0, v0, v1
	v_cndmask_b32_e64 v1, 0, v1, s1
	v_cndmask_b32_e64 v99, v99, v0, s1
	ds_write_b32 v101, v1
.LBB346_14:                             ;   in Loop: Header=BB346_15 Depth=1
	s_or_b32 exec_lo, exec_lo, s2
	v_add_nc_u32_e32 v108, 4, v108
	v_add_co_u32 v5, s2, v5, 16
	v_add_co_ci_u32_e64 v6, null, 0, v6, s2
	v_cmp_le_i32_e64 s1, s20, v108
	v_add_nc_u32_e32 v102, 0x80, v102
	v_add_nc_u32_e32 v101, 0x200, v101
	s_or_b32 s40, s1, s40
	s_andn2_b32 exec_lo, exec_lo, s40
	s_cbranch_execz .LBB346_615
.LBB346_15:                             ; =>This Inner Loop Header: Depth=1
	v_mul_hi_u32 v0, v102, s19
	v_mul_lo_u32 v1, v0, s16
	v_add_nc_u32_e32 v7, 1, v0
	v_sub_nc_u32_e32 v1, v102, v1
	v_subrev_nc_u32_e32 v8, s16, v1
	v_cmp_le_u32_e64 s1, s16, v1
	v_cndmask_b32_e64 v0, v0, v7, s1
	v_cndmask_b32_e64 v1, v1, v8, s1
	v_add_nc_u32_e32 v7, 1, v0
	v_cmp_le_u32_e64 s1, s16, v1
	v_cndmask_b32_e64 v0, v0, v7, s1
	v_xor_b32_e32 v0, s23, v0
	v_subrev_nc_u32_e32 v0, s23, v0
	v_add_nc_u32_e32 v1, s25, v0
	v_cmp_ge_i32_e64 s2, s37, v0
	v_sub_nc_u32_e32 v7, 0, v1
	v_max_i32_e32 v7, v1, v7
	v_ashrrev_i32_e32 v1, 31, v1
	v_mul_hi_u32 v8, v7, v98
	v_mul_lo_u32 v8, v8, s38
	v_sub_nc_u32_e32 v7, v7, v8
	v_subrev_nc_u32_e32 v8, s38, v7
	v_cmp_le_u32_e64 s1, s38, v7
	v_cndmask_b32_e64 v7, v7, v8, s1
	v_subrev_nc_u32_e32 v8, s38, v7
	v_cmp_le_u32_e64 s1, s38, v7
	v_cndmask_b32_e64 v7, v7, v8, s1
	v_xor_b32_e32 v7, v7, v1
	v_sub_nc_u32_e32 v1, v7, v1
	v_cmp_ne_u32_e64 s1, 0, v1
	s_and_b32 s1, s1, s2
	s_and_saveexec_b32 s2, s1
	s_xor_b32 s1, exec_lo, s2
; %bb.16:                               ;   in Loop: Header=BB346_15 Depth=1
	v_mov_b32_e32 v0, 0xff7fffff
	ds_write_b32 v101, v0
; %bb.17:                               ;   in Loop: Header=BB346_15 Depth=1
	s_andn2_saveexec_b32 s2, s1
	s_cbranch_execz .LBB346_14
; %bb.18:                               ;   in Loop: Header=BB346_15 Depth=1
	global_load_dword v0, v[5:6], off
	s_load_dword s41, s[12:13], 0x0
	v_mov_b32_e32 v110, 0
	v_mov_b32_e32 v109, 0
	s_waitcnt vmcnt(0)
	v_mad_i64_i32 v[7:8], null, v0, s39, v[3:4]
	global_load_dwordx2 v[9:10], v[7:8], off
	s_waitcnt vmcnt(0)
	v_cmp_ne_u16_sdwa s1, v9, v2 src0_sel:BYTE_0 src1_sel:DWORD
	s_and_saveexec_b32 s42, s1
	s_cbranch_execz .LBB346_24
; %bb.19:                               ;   in Loop: Header=BB346_15 Depth=1
	v_cmp_ne_u16_sdwa s1, v9, v103 src0_sel:BYTE_0 src1_sel:DWORD
	v_bfrev_b32_e32 v109, 1
	s_and_saveexec_b32 s43, s1
	s_cbranch_execz .LBB346_23
; %bb.20:                               ;   in Loop: Header=BB346_15 Depth=1
	v_and_b32_e32 v0, 0x7f, v9
	v_mov_b32_e32 v109, 0x7f800001
	s_mov_b32 s44, exec_lo
	v_cmpx_ne_u32_e32 0x7f, v0
	s_cbranch_execz .LBB346_22
; %bb.21:                               ;   in Loop: Header=BB346_15 Depth=1
	v_and_b32_e32 v1, 7, v9
	v_cmp_gt_u32_e64 s1, 8, v0
	v_lshrrev_b32_e32 v11, 3, v0
	v_ffbh_u32_e32 v1, v1
	v_min_u32_e32 v1, 32, v1
	v_subrev_nc_u32_e32 v12, 28, v1
	v_sub_nc_u32_e32 v1, 29, v1
	v_cndmask_b32_e64 v0, 0, v12, s1
	v_cndmask_b32_e64 v11, v11, v1, s1
	v_lshlrev_b64 v[0:1], v0, v[9:10]
	v_lshlrev_b32_e32 v1, 24, v9
	v_lshl_add_u32 v11, v11, 23, 0x3c000000
	v_lshlrev_b32_e32 v0, 20, v0
	v_and_b32_e32 v1, 0x80000000, v1
	v_and_b32_e32 v0, 0x700000, v0
	v_or3_b32 v109, v0, v1, v11
.LBB346_22:                             ;   in Loop: Header=BB346_15 Depth=1
	s_or_b32 exec_lo, exec_lo, s44
.LBB346_23:                             ;   in Loop: Header=BB346_15 Depth=1
	s_or_b32 exec_lo, exec_lo, s43
.LBB346_24:                             ;   in Loop: Header=BB346_15 Depth=1
	s_or_b32 exec_lo, exec_lo, s42
	v_cmp_ne_u16_sdwa s1, v9, v2 src0_sel:BYTE_1 src1_sel:DWORD
	s_and_saveexec_b32 s42, s1
	s_cbranch_execz .LBB346_32
; %bb.25:                               ;   in Loop: Header=BB346_15 Depth=1
	v_cmp_ne_u16_sdwa s1, v9, v103 src0_sel:BYTE_1 src1_sel:DWORD
	v_bfrev_b32_e32 v110, 1
	s_and_saveexec_b32 s43, s1
	s_cbranch_execz .LBB346_31
; %bb.26:                               ;   in Loop: Header=BB346_15 Depth=1
	v_and_b32_sdwa v0, v104, v9 dst_sel:DWORD dst_unused:UNUSED_PAD src0_sel:DWORD src1_sel:BYTE_1
	v_mov_b32_e32 v110, 0x7f800001
	s_mov_b32 s44, exec_lo
	v_and_b32_e32 v11, 0x7f, v0
	v_cmpx_ne_u32_e32 0x7f, v11
	s_cbranch_execz .LBB346_30
; %bb.27:                               ;   in Loop: Header=BB346_15 Depth=1
	v_and_b32_e32 v1, 7, v0
	v_lshrrev_b32_e32 v0, 3, v11
	s_mov_b32 s45, exec_lo
	v_cmpx_gt_u32_e32 8, v11
; %bb.28:                               ;   in Loop: Header=BB346_15 Depth=1
	v_ffbh_u32_e32 v0, v1
	v_min_u32_e32 v0, 32, v0
	v_subrev_nc_u32_e32 v11, 28, v0
	v_sub_nc_u32_e32 v0, 29, v0
	v_lshlrev_b64 v[11:12], v11, v[1:2]
	v_and_b32_e32 v1, 7, v11
; %bb.29:                               ;   in Loop: Header=BB346_15 Depth=1
	s_or_b32 exec_lo, exec_lo, s45
	v_lshlrev_b32_e32 v11, 16, v9
	v_lshlrev_b32_e32 v1, 20, v1
	v_lshl_add_u32 v0, v0, 23, 0x3c000000
	v_and_b32_e32 v11, 0x80000000, v11
	v_or3_b32 v110, v1, v11, v0
.LBB346_30:                             ;   in Loop: Header=BB346_15 Depth=1
	s_or_b32 exec_lo, exec_lo, s44
.LBB346_31:                             ;   in Loop: Header=BB346_15 Depth=1
	s_or_b32 exec_lo, exec_lo, s43
.LBB346_32:                             ;   in Loop: Header=BB346_15 Depth=1
	s_or_b32 exec_lo, exec_lo, s42
	v_and_b32_sdwa v0, v9, v105 dst_sel:DWORD dst_unused:UNUSED_PAD src0_sel:WORD_1 src1_sel:DWORD
	v_mov_b32_e32 v112, 0
	v_mov_b32_e32 v111, 0
	s_mov_b32 s42, exec_lo
	v_cmpx_ne_u16_e32 0, v0
	s_cbranch_execz .LBB346_40
; %bb.33:                               ;   in Loop: Header=BB346_15 Depth=1
	v_bfrev_b32_e32 v111, 1
	s_mov_b32 s43, exec_lo
	v_cmpx_ne_u16_e32 0x80, v0
	s_cbranch_execz .LBB346_39
; %bb.34:                               ;   in Loop: Header=BB346_15 Depth=1
	v_bfe_u32 v11, v9, 16, 7
	v_mov_b32_e32 v111, 0x7f800001
	s_mov_b32 s44, exec_lo
	v_cmpx_ne_u32_e32 0x7f, v11
	s_cbranch_execz .LBB346_38
; %bb.35:                               ;   in Loop: Header=BB346_15 Depth=1
	v_and_b32_sdwa v1, v9, v106 dst_sel:DWORD dst_unused:UNUSED_PAD src0_sel:WORD_1 src1_sel:DWORD
	v_lshrrev_b32_e32 v0, 3, v11
	s_mov_b32 s45, exec_lo
	v_cmpx_gt_u32_e32 8, v11
; %bb.36:                               ;   in Loop: Header=BB346_15 Depth=1
	v_ffbh_u32_e32 v0, v1
	v_min_u32_e32 v0, 32, v0
	v_subrev_nc_u32_e32 v11, 28, v0
	v_sub_nc_u32_e32 v0, 29, v0
	v_lshlrev_b64 v[11:12], v11, v[1:2]
	v_and_b32_e32 v1, 7, v11
; %bb.37:                               ;   in Loop: Header=BB346_15 Depth=1
	s_or_b32 exec_lo, exec_lo, s45
	v_lshlrev_b32_sdwa v11, v107, v9 dst_sel:DWORD dst_unused:UNUSED_PAD src0_sel:DWORD src1_sel:WORD_1
	v_lshlrev_b32_e32 v1, 20, v1
	v_lshl_add_u32 v0, v0, 23, 0x3c000000
	v_and_b32_e32 v11, 0x80000000, v11
	v_or3_b32 v111, v1, v11, v0
.LBB346_38:                             ;   in Loop: Header=BB346_15 Depth=1
	s_or_b32 exec_lo, exec_lo, s44
.LBB346_39:                             ;   in Loop: Header=BB346_15 Depth=1
	s_or_b32 exec_lo, exec_lo, s43
.LBB346_40:                             ;   in Loop: Header=BB346_15 Depth=1
	s_or_b32 exec_lo, exec_lo, s42
	s_mov_b32 s42, exec_lo
	v_cmpx_lt_u32_e32 0xffffff, v9
	s_cbranch_execz .LBB346_48
; %bb.41:                               ;   in Loop: Header=BB346_15 Depth=1
	v_cmp_ne_u32_sdwa s1, v9, v103 src0_sel:BYTE_3 src1_sel:DWORD
	v_bfrev_b32_e32 v112, 1
	s_and_saveexec_b32 s43, s1
	s_cbranch_execz .LBB346_47
; %bb.42:                               ;   in Loop: Header=BB346_15 Depth=1
	v_bfe_u32 v11, v9, 24, 7
	v_mov_b32_e32 v112, 0x7f800001
	s_mov_b32 s44, exec_lo
	v_cmpx_ne_u32_e32 0x7f, v11
	s_cbranch_execz .LBB346_46
; %bb.43:                               ;   in Loop: Header=BB346_15 Depth=1
	v_and_b32_sdwa v1, v9, v106 dst_sel:DWORD dst_unused:UNUSED_PAD src0_sel:BYTE_3 src1_sel:DWORD
	v_lshrrev_b32_e32 v0, 3, v11
	s_mov_b32 s45, exec_lo
	v_cmpx_gt_u32_e32 8, v11
; %bb.44:                               ;   in Loop: Header=BB346_15 Depth=1
	v_ffbh_u32_e32 v0, v1
	v_min_u32_e32 v0, 32, v0
	v_subrev_nc_u32_e32 v11, 28, v0
	v_sub_nc_u32_e32 v0, 29, v0
	v_lshlrev_b64 v[11:12], v11, v[1:2]
	v_and_b32_e32 v1, 7, v11
; %bb.45:                               ;   in Loop: Header=BB346_15 Depth=1
	s_or_b32 exec_lo, exec_lo, s45
	v_lshlrev_b32_sdwa v11, v107, v9 dst_sel:DWORD dst_unused:UNUSED_PAD src0_sel:DWORD src1_sel:BYTE_3
	v_lshlrev_b32_e32 v1, 20, v1
	v_lshl_add_u32 v0, v0, 23, 0x3c000000
	v_and_b32_e32 v11, 0x80000000, v11
	v_or3_b32 v112, v1, v11, v0
.LBB346_46:                             ;   in Loop: Header=BB346_15 Depth=1
	s_or_b32 exec_lo, exec_lo, s44
.LBB346_47:                             ;   in Loop: Header=BB346_15 Depth=1
	s_or_b32 exec_lo, exec_lo, s43
.LBB346_48:                             ;   in Loop: Header=BB346_15 Depth=1
	s_or_b32 exec_lo, exec_lo, s42
	v_mov_b32_e32 v1, v10
	v_cmp_ne_u16_sdwa s1, v10, v2 src0_sel:BYTE_0 src1_sel:DWORD
	v_mov_b32_e32 v114, 0
	v_mov_b32_e32 v113, 0
	s_and_saveexec_b32 s42, s1
	s_cbranch_execz .LBB346_54
; %bb.49:                               ;   in Loop: Header=BB346_15 Depth=1
	v_cmp_ne_u16_sdwa s1, v10, v103 src0_sel:BYTE_0 src1_sel:DWORD
	v_bfrev_b32_e32 v113, 1
	s_and_saveexec_b32 s43, s1
	s_cbranch_execz .LBB346_53
; %bb.50:                               ;   in Loop: Header=BB346_15 Depth=1
	v_and_b32_e32 v0, 0x7f, v10
	v_mov_b32_e32 v113, 0x7f800001
	s_mov_b32 s44, exec_lo
	v_cmpx_ne_u32_e32 0x7f, v0
	s_cbranch_execz .LBB346_52
; %bb.51:                               ;   in Loop: Header=BB346_15 Depth=1
	v_and_b32_e32 v11, 7, v10
	v_lshrrev_b32_e32 v12, 3, v0
	v_cmp_gt_u32_e64 s1, 8, v0
	v_ffbh_u32_e32 v11, v11
	v_min_u32_e32 v11, 32, v11
	v_subrev_nc_u32_e32 v13, 28, v11
	v_sub_nc_u32_e32 v11, 29, v11
	v_cndmask_b32_e64 v0, v12, v11, s1
	v_cndmask_b32_e64 v11, 0, v13, s1
	v_lshl_add_u32 v0, v0, 23, 0x3c000000
	v_lshlrev_b64 v[11:12], v11, v[1:2]
	v_lshlrev_b32_e32 v12, 24, v1
	v_lshlrev_b32_e32 v11, 20, v11
	v_and_b32_e32 v12, 0x80000000, v12
	v_and_b32_e32 v11, 0x700000, v11
	v_or3_b32 v113, v11, v12, v0
.LBB346_52:                             ;   in Loop: Header=BB346_15 Depth=1
	s_or_b32 exec_lo, exec_lo, s44
.LBB346_53:                             ;   in Loop: Header=BB346_15 Depth=1
	s_or_b32 exec_lo, exec_lo, s43
.LBB346_54:                             ;   in Loop: Header=BB346_15 Depth=1
	s_or_b32 exec_lo, exec_lo, s42
	v_cmp_ne_u16_sdwa s1, v1, v2 src0_sel:BYTE_1 src1_sel:DWORD
	s_and_saveexec_b32 s42, s1
	s_cbranch_execz .LBB346_62
; %bb.55:                               ;   in Loop: Header=BB346_15 Depth=1
	v_cmp_ne_u16_sdwa s1, v1, v103 src0_sel:BYTE_1 src1_sel:DWORD
	v_bfrev_b32_e32 v114, 1
	s_and_saveexec_b32 s43, s1
	s_cbranch_execz .LBB346_61
; %bb.56:                               ;   in Loop: Header=BB346_15 Depth=1
	v_and_b32_sdwa v0, v104, v1 dst_sel:DWORD dst_unused:UNUSED_PAD src0_sel:DWORD src1_sel:BYTE_1
	v_mov_b32_e32 v114, 0x7f800001
	s_mov_b32 s44, exec_lo
	v_and_b32_e32 v13, 0x7f, v0
	v_cmpx_ne_u32_e32 0x7f, v13
	s_cbranch_execz .LBB346_60
; %bb.57:                               ;   in Loop: Header=BB346_15 Depth=1
	v_and_b32_e32 v11, 7, v0
	v_mov_b32_e32 v12, v2
	v_lshrrev_b32_e32 v0, 3, v13
	s_mov_b32 s45, exec_lo
	v_cmpx_gt_u32_e32 8, v13
; %bb.58:                               ;   in Loop: Header=BB346_15 Depth=1
	v_ffbh_u32_e32 v0, v11
	v_min_u32_e32 v0, 32, v0
	v_subrev_nc_u32_e32 v13, 28, v0
	v_sub_nc_u32_e32 v0, 29, v0
	v_lshlrev_b64 v[11:12], v13, v[11:12]
	v_and_b32_e32 v11, 7, v11
; %bb.59:                               ;   in Loop: Header=BB346_15 Depth=1
	s_or_b32 exec_lo, exec_lo, s45
	v_lshlrev_b32_e32 v1, 16, v1
	v_lshlrev_b32_e32 v11, 20, v11
	v_lshl_add_u32 v0, v0, 23, 0x3c000000
	v_and_b32_e32 v1, 0x80000000, v1
	v_or3_b32 v114, v11, v1, v0
.LBB346_60:                             ;   in Loop: Header=BB346_15 Depth=1
	s_or_b32 exec_lo, exec_lo, s44
.LBB346_61:                             ;   in Loop: Header=BB346_15 Depth=1
	s_or_b32 exec_lo, exec_lo, s43
.LBB346_62:                             ;   in Loop: Header=BB346_15 Depth=1
	s_or_b32 exec_lo, exec_lo, s42
	v_and_b32_sdwa v0, v10, v105 dst_sel:DWORD dst_unused:UNUSED_PAD src0_sel:WORD_1 src1_sel:DWORD
	v_mov_b32_e32 v115, 0
	v_mov_b32_e32 v116, 0
	s_mov_b32 s42, exec_lo
	v_cmpx_ne_u16_e32 0, v0
	s_cbranch_execz .LBB346_70
; %bb.63:                               ;   in Loop: Header=BB346_15 Depth=1
	v_bfrev_b32_e32 v116, 1
	s_mov_b32 s43, exec_lo
	v_cmpx_ne_u16_e32 0x80, v0
	s_cbranch_execz .LBB346_69
; %bb.64:                               ;   in Loop: Header=BB346_15 Depth=1
	v_bfe_u32 v11, v10, 16, 7
	v_mov_b32_e32 v116, 0x7f800001
	s_mov_b32 s44, exec_lo
	v_cmpx_ne_u32_e32 0x7f, v11
	s_cbranch_execz .LBB346_68
; %bb.65:                               ;   in Loop: Header=BB346_15 Depth=1
	v_and_b32_sdwa v1, v10, v106 dst_sel:DWORD dst_unused:UNUSED_PAD src0_sel:WORD_1 src1_sel:DWORD
	v_lshrrev_b32_e32 v0, 3, v11
	s_mov_b32 s45, exec_lo
	v_cmpx_gt_u32_e32 8, v11
; %bb.66:                               ;   in Loop: Header=BB346_15 Depth=1
	v_ffbh_u32_e32 v0, v1
	v_min_u32_e32 v0, 32, v0
	v_subrev_nc_u32_e32 v11, 28, v0
	v_sub_nc_u32_e32 v0, 29, v0
	v_lshlrev_b64 v[11:12], v11, v[1:2]
	v_and_b32_e32 v1, 7, v11
; %bb.67:                               ;   in Loop: Header=BB346_15 Depth=1
	s_or_b32 exec_lo, exec_lo, s45
	v_lshlrev_b32_sdwa v11, v107, v10 dst_sel:DWORD dst_unused:UNUSED_PAD src0_sel:DWORD src1_sel:WORD_1
	v_lshlrev_b32_e32 v1, 20, v1
	v_lshl_add_u32 v0, v0, 23, 0x3c000000
	v_and_b32_e32 v11, 0x80000000, v11
	v_or3_b32 v116, v1, v11, v0
.LBB346_68:                             ;   in Loop: Header=BB346_15 Depth=1
	s_or_b32 exec_lo, exec_lo, s44
.LBB346_69:                             ;   in Loop: Header=BB346_15 Depth=1
	s_or_b32 exec_lo, exec_lo, s43
.LBB346_70:                             ;   in Loop: Header=BB346_15 Depth=1
	s_or_b32 exec_lo, exec_lo, s42
	s_mov_b32 s42, exec_lo
	v_cmpx_lt_u64_e64 s[4:5], v[9:10]
	s_cbranch_execz .LBB346_78
; %bb.71:                               ;   in Loop: Header=BB346_15 Depth=1
	v_cmp_ne_u32_sdwa s1, v10, v103 src0_sel:BYTE_3 src1_sel:DWORD
	v_bfrev_b32_e32 v115, 1
	s_and_saveexec_b32 s43, s1
	s_cbranch_execz .LBB346_77
; %bb.72:                               ;   in Loop: Header=BB346_15 Depth=1
	v_bfe_u32 v9, v10, 24, 7
	v_mov_b32_e32 v115, 0x7f800001
	s_mov_b32 s44, exec_lo
	v_cmpx_ne_u32_e32 0x7f, v9
	s_cbranch_execz .LBB346_76
; %bb.73:                               ;   in Loop: Header=BB346_15 Depth=1
	v_and_b32_sdwa v1, v10, v106 dst_sel:DWORD dst_unused:UNUSED_PAD src0_sel:BYTE_3 src1_sel:DWORD
	v_lshrrev_b32_e32 v0, 3, v9
	s_mov_b32 s45, exec_lo
	v_cmpx_gt_u32_e32 8, v9
; %bb.74:                               ;   in Loop: Header=BB346_15 Depth=1
	v_ffbh_u32_e32 v0, v1
	v_min_u32_e32 v0, 32, v0
	v_subrev_nc_u32_e32 v9, 28, v0
	v_sub_nc_u32_e32 v0, 29, v0
	v_lshlrev_b64 v[11:12], v9, v[1:2]
	v_and_b32_e32 v1, 7, v11
; %bb.75:                               ;   in Loop: Header=BB346_15 Depth=1
	s_or_b32 exec_lo, exec_lo, s45
	v_lshlrev_b32_sdwa v9, v107, v10 dst_sel:DWORD dst_unused:UNUSED_PAD src0_sel:DWORD src1_sel:BYTE_3
	v_lshlrev_b32_e32 v1, 20, v1
	v_lshl_add_u32 v0, v0, 23, 0x3c000000
	v_and_b32_e32 v9, 0x80000000, v9
	v_or3_b32 v115, v1, v9, v0
.LBB346_76:                             ;   in Loop: Header=BB346_15 Depth=1
	s_or_b32 exec_lo, exec_lo, s44
.LBB346_77:                             ;   in Loop: Header=BB346_15 Depth=1
	s_or_b32 exec_lo, exec_lo, s43
.LBB346_78:                             ;   in Loop: Header=BB346_15 Depth=1
	s_or_b32 exec_lo, exec_lo, s42
	global_load_dwordx2 v[9:10], v[7:8], off offset:8
	v_mov_b32_e32 v118, 0
	v_mov_b32_e32 v117, 0
	s_waitcnt vmcnt(0)
	v_cmp_ne_u16_sdwa s1, v9, v2 src0_sel:BYTE_0 src1_sel:DWORD
	s_and_saveexec_b32 s42, s1
	s_cbranch_execz .LBB346_84
; %bb.79:                               ;   in Loop: Header=BB346_15 Depth=1
	v_cmp_ne_u16_sdwa s1, v9, v103 src0_sel:BYTE_0 src1_sel:DWORD
	v_bfrev_b32_e32 v117, 1
	s_and_saveexec_b32 s43, s1
	s_cbranch_execz .LBB346_83
; %bb.80:                               ;   in Loop: Header=BB346_15 Depth=1
	v_and_b32_e32 v0, 0x7f, v9
	v_mov_b32_e32 v117, 0x7f800001
	s_mov_b32 s44, exec_lo
	v_cmpx_ne_u32_e32 0x7f, v0
	s_cbranch_execz .LBB346_82
; %bb.81:                               ;   in Loop: Header=BB346_15 Depth=1
	v_and_b32_e32 v1, 7, v9
	v_cmp_gt_u32_e64 s1, 8, v0
	v_lshrrev_b32_e32 v11, 3, v0
	v_ffbh_u32_e32 v1, v1
	v_min_u32_e32 v1, 32, v1
	v_subrev_nc_u32_e32 v12, 28, v1
	v_sub_nc_u32_e32 v1, 29, v1
	v_cndmask_b32_e64 v0, 0, v12, s1
	v_cndmask_b32_e64 v11, v11, v1, s1
	v_lshlrev_b64 v[0:1], v0, v[9:10]
	v_lshlrev_b32_e32 v1, 24, v9
	v_lshl_add_u32 v11, v11, 23, 0x3c000000
	v_lshlrev_b32_e32 v0, 20, v0
	v_and_b32_e32 v1, 0x80000000, v1
	v_and_b32_e32 v0, 0x700000, v0
	v_or3_b32 v117, v0, v1, v11
.LBB346_82:                             ;   in Loop: Header=BB346_15 Depth=1
	s_or_b32 exec_lo, exec_lo, s44
.LBB346_83:                             ;   in Loop: Header=BB346_15 Depth=1
	s_or_b32 exec_lo, exec_lo, s43
.LBB346_84:                             ;   in Loop: Header=BB346_15 Depth=1
	s_or_b32 exec_lo, exec_lo, s42
	v_cmp_ne_u16_sdwa s1, v9, v2 src0_sel:BYTE_1 src1_sel:DWORD
	s_and_saveexec_b32 s42, s1
	s_cbranch_execz .LBB346_92
; %bb.85:                               ;   in Loop: Header=BB346_15 Depth=1
	v_cmp_ne_u16_sdwa s1, v9, v103 src0_sel:BYTE_1 src1_sel:DWORD
	v_bfrev_b32_e32 v118, 1
	s_and_saveexec_b32 s43, s1
	s_cbranch_execz .LBB346_91
; %bb.86:                               ;   in Loop: Header=BB346_15 Depth=1
	v_and_b32_sdwa v0, v104, v9 dst_sel:DWORD dst_unused:UNUSED_PAD src0_sel:DWORD src1_sel:BYTE_1
	v_mov_b32_e32 v118, 0x7f800001
	s_mov_b32 s44, exec_lo
	v_and_b32_e32 v11, 0x7f, v0
	v_cmpx_ne_u32_e32 0x7f, v11
	s_cbranch_execz .LBB346_90
; %bb.87:                               ;   in Loop: Header=BB346_15 Depth=1
	v_and_b32_e32 v1, 7, v0
	v_lshrrev_b32_e32 v0, 3, v11
	s_mov_b32 s45, exec_lo
	v_cmpx_gt_u32_e32 8, v11
; %bb.88:                               ;   in Loop: Header=BB346_15 Depth=1
	v_ffbh_u32_e32 v0, v1
	v_min_u32_e32 v0, 32, v0
	v_subrev_nc_u32_e32 v11, 28, v0
	v_sub_nc_u32_e32 v0, 29, v0
	v_lshlrev_b64 v[11:12], v11, v[1:2]
	v_and_b32_e32 v1, 7, v11
; %bb.89:                               ;   in Loop: Header=BB346_15 Depth=1
	s_or_b32 exec_lo, exec_lo, s45
	v_lshlrev_b32_e32 v11, 16, v9
	v_lshlrev_b32_e32 v1, 20, v1
	v_lshl_add_u32 v0, v0, 23, 0x3c000000
	v_and_b32_e32 v11, 0x80000000, v11
	v_or3_b32 v118, v1, v11, v0
.LBB346_90:                             ;   in Loop: Header=BB346_15 Depth=1
	s_or_b32 exec_lo, exec_lo, s44
.LBB346_91:                             ;   in Loop: Header=BB346_15 Depth=1
	s_or_b32 exec_lo, exec_lo, s43
.LBB346_92:                             ;   in Loop: Header=BB346_15 Depth=1
	s_or_b32 exec_lo, exec_lo, s42
	v_and_b32_sdwa v0, v9, v105 dst_sel:DWORD dst_unused:UNUSED_PAD src0_sel:WORD_1 src1_sel:DWORD
	v_mov_b32_e32 v120, 0
	v_mov_b32_e32 v119, 0
	s_mov_b32 s42, exec_lo
	v_cmpx_ne_u16_e32 0, v0
	s_cbranch_execz .LBB346_100
; %bb.93:                               ;   in Loop: Header=BB346_15 Depth=1
	v_bfrev_b32_e32 v119, 1
	s_mov_b32 s43, exec_lo
	v_cmpx_ne_u16_e32 0x80, v0
	s_cbranch_execz .LBB346_99
; %bb.94:                               ;   in Loop: Header=BB346_15 Depth=1
	v_bfe_u32 v11, v9, 16, 7
	v_mov_b32_e32 v119, 0x7f800001
	s_mov_b32 s44, exec_lo
	v_cmpx_ne_u32_e32 0x7f, v11
	s_cbranch_execz .LBB346_98
; %bb.95:                               ;   in Loop: Header=BB346_15 Depth=1
	v_and_b32_sdwa v1, v9, v106 dst_sel:DWORD dst_unused:UNUSED_PAD src0_sel:WORD_1 src1_sel:DWORD
	v_lshrrev_b32_e32 v0, 3, v11
	s_mov_b32 s45, exec_lo
	v_cmpx_gt_u32_e32 8, v11
; %bb.96:                               ;   in Loop: Header=BB346_15 Depth=1
	v_ffbh_u32_e32 v0, v1
	v_min_u32_e32 v0, 32, v0
	v_subrev_nc_u32_e32 v11, 28, v0
	v_sub_nc_u32_e32 v0, 29, v0
	v_lshlrev_b64 v[11:12], v11, v[1:2]
	v_and_b32_e32 v1, 7, v11
; %bb.97:                               ;   in Loop: Header=BB346_15 Depth=1
	s_or_b32 exec_lo, exec_lo, s45
	v_lshlrev_b32_sdwa v11, v107, v9 dst_sel:DWORD dst_unused:UNUSED_PAD src0_sel:DWORD src1_sel:WORD_1
	v_lshlrev_b32_e32 v1, 20, v1
	v_lshl_add_u32 v0, v0, 23, 0x3c000000
	v_and_b32_e32 v11, 0x80000000, v11
	v_or3_b32 v119, v1, v11, v0
.LBB346_98:                             ;   in Loop: Header=BB346_15 Depth=1
	s_or_b32 exec_lo, exec_lo, s44
.LBB346_99:                             ;   in Loop: Header=BB346_15 Depth=1
	s_or_b32 exec_lo, exec_lo, s43
.LBB346_100:                            ;   in Loop: Header=BB346_15 Depth=1
	s_or_b32 exec_lo, exec_lo, s42
	s_mov_b32 s42, exec_lo
	v_cmpx_lt_u32_e32 0xffffff, v9
	s_cbranch_execz .LBB346_108
; %bb.101:                              ;   in Loop: Header=BB346_15 Depth=1
	v_cmp_ne_u32_sdwa s1, v9, v103 src0_sel:BYTE_3 src1_sel:DWORD
	v_bfrev_b32_e32 v120, 1
	s_and_saveexec_b32 s43, s1
	s_cbranch_execz .LBB346_107
; %bb.102:                              ;   in Loop: Header=BB346_15 Depth=1
	v_bfe_u32 v11, v9, 24, 7
	v_mov_b32_e32 v120, 0x7f800001
	s_mov_b32 s44, exec_lo
	v_cmpx_ne_u32_e32 0x7f, v11
	s_cbranch_execz .LBB346_106
; %bb.103:                              ;   in Loop: Header=BB346_15 Depth=1
	v_and_b32_sdwa v1, v9, v106 dst_sel:DWORD dst_unused:UNUSED_PAD src0_sel:BYTE_3 src1_sel:DWORD
	v_lshrrev_b32_e32 v0, 3, v11
	s_mov_b32 s45, exec_lo
	v_cmpx_gt_u32_e32 8, v11
; %bb.104:                              ;   in Loop: Header=BB346_15 Depth=1
	v_ffbh_u32_e32 v0, v1
	v_min_u32_e32 v0, 32, v0
	v_subrev_nc_u32_e32 v11, 28, v0
	v_sub_nc_u32_e32 v0, 29, v0
	v_lshlrev_b64 v[11:12], v11, v[1:2]
	v_and_b32_e32 v1, 7, v11
; %bb.105:                              ;   in Loop: Header=BB346_15 Depth=1
	s_or_b32 exec_lo, exec_lo, s45
	v_lshlrev_b32_sdwa v11, v107, v9 dst_sel:DWORD dst_unused:UNUSED_PAD src0_sel:DWORD src1_sel:BYTE_3
	v_lshlrev_b32_e32 v1, 20, v1
	v_lshl_add_u32 v0, v0, 23, 0x3c000000
	v_and_b32_e32 v11, 0x80000000, v11
	v_or3_b32 v120, v1, v11, v0
.LBB346_106:                            ;   in Loop: Header=BB346_15 Depth=1
	s_or_b32 exec_lo, exec_lo, s44
.LBB346_107:                            ;   in Loop: Header=BB346_15 Depth=1
	s_or_b32 exec_lo, exec_lo, s43
.LBB346_108:                            ;   in Loop: Header=BB346_15 Depth=1
	s_or_b32 exec_lo, exec_lo, s42
	v_mov_b32_e32 v1, v10
	v_cmp_ne_u16_sdwa s1, v10, v2 src0_sel:BYTE_0 src1_sel:DWORD
	v_mov_b32_e32 v122, 0
	v_mov_b32_e32 v121, 0
	s_and_saveexec_b32 s42, s1
	s_cbranch_execz .LBB346_114
; %bb.109:                              ;   in Loop: Header=BB346_15 Depth=1
	v_cmp_ne_u16_sdwa s1, v10, v103 src0_sel:BYTE_0 src1_sel:DWORD
	v_bfrev_b32_e32 v121, 1
	s_and_saveexec_b32 s43, s1
	s_cbranch_execz .LBB346_113
; %bb.110:                              ;   in Loop: Header=BB346_15 Depth=1
	v_and_b32_e32 v0, 0x7f, v10
	v_mov_b32_e32 v121, 0x7f800001
	s_mov_b32 s44, exec_lo
	v_cmpx_ne_u32_e32 0x7f, v0
	s_cbranch_execz .LBB346_112
; %bb.111:                              ;   in Loop: Header=BB346_15 Depth=1
	v_and_b32_e32 v11, 7, v10
	v_lshrrev_b32_e32 v12, 3, v0
	v_cmp_gt_u32_e64 s1, 8, v0
	v_ffbh_u32_e32 v11, v11
	v_min_u32_e32 v11, 32, v11
	v_subrev_nc_u32_e32 v13, 28, v11
	v_sub_nc_u32_e32 v11, 29, v11
	v_cndmask_b32_e64 v0, v12, v11, s1
	v_cndmask_b32_e64 v11, 0, v13, s1
	v_lshl_add_u32 v0, v0, 23, 0x3c000000
	v_lshlrev_b64 v[11:12], v11, v[1:2]
	v_lshlrev_b32_e32 v12, 24, v1
	v_lshlrev_b32_e32 v11, 20, v11
	v_and_b32_e32 v12, 0x80000000, v12
	v_and_b32_e32 v11, 0x700000, v11
	v_or3_b32 v121, v11, v12, v0
.LBB346_112:                            ;   in Loop: Header=BB346_15 Depth=1
	s_or_b32 exec_lo, exec_lo, s44
.LBB346_113:                            ;   in Loop: Header=BB346_15 Depth=1
	s_or_b32 exec_lo, exec_lo, s43
.LBB346_114:                            ;   in Loop: Header=BB346_15 Depth=1
	s_or_b32 exec_lo, exec_lo, s42
	v_cmp_ne_u16_sdwa s1, v1, v2 src0_sel:BYTE_1 src1_sel:DWORD
	s_and_saveexec_b32 s42, s1
	s_cbranch_execz .LBB346_122
; %bb.115:                              ;   in Loop: Header=BB346_15 Depth=1
	v_cmp_ne_u16_sdwa s1, v1, v103 src0_sel:BYTE_1 src1_sel:DWORD
	v_bfrev_b32_e32 v122, 1
	s_and_saveexec_b32 s43, s1
	s_cbranch_execz .LBB346_121
; %bb.116:                              ;   in Loop: Header=BB346_15 Depth=1
	v_and_b32_sdwa v0, v104, v1 dst_sel:DWORD dst_unused:UNUSED_PAD src0_sel:DWORD src1_sel:BYTE_1
	v_mov_b32_e32 v122, 0x7f800001
	s_mov_b32 s44, exec_lo
	v_and_b32_e32 v13, 0x7f, v0
	v_cmpx_ne_u32_e32 0x7f, v13
	s_cbranch_execz .LBB346_120
; %bb.117:                              ;   in Loop: Header=BB346_15 Depth=1
	v_and_b32_e32 v11, 7, v0
	v_mov_b32_e32 v12, v2
	v_lshrrev_b32_e32 v0, 3, v13
	s_mov_b32 s45, exec_lo
	v_cmpx_gt_u32_e32 8, v13
; %bb.118:                              ;   in Loop: Header=BB346_15 Depth=1
	v_ffbh_u32_e32 v0, v11
	v_min_u32_e32 v0, 32, v0
	v_subrev_nc_u32_e32 v13, 28, v0
	v_sub_nc_u32_e32 v0, 29, v0
	v_lshlrev_b64 v[11:12], v13, v[11:12]
	v_and_b32_e32 v11, 7, v11
; %bb.119:                              ;   in Loop: Header=BB346_15 Depth=1
	s_or_b32 exec_lo, exec_lo, s45
	v_lshlrev_b32_e32 v1, 16, v1
	v_lshlrev_b32_e32 v11, 20, v11
	v_lshl_add_u32 v0, v0, 23, 0x3c000000
	v_and_b32_e32 v1, 0x80000000, v1
	v_or3_b32 v122, v11, v1, v0
.LBB346_120:                            ;   in Loop: Header=BB346_15 Depth=1
	s_or_b32 exec_lo, exec_lo, s44
.LBB346_121:                            ;   in Loop: Header=BB346_15 Depth=1
	s_or_b32 exec_lo, exec_lo, s43
.LBB346_122:                            ;   in Loop: Header=BB346_15 Depth=1
	s_or_b32 exec_lo, exec_lo, s42
	v_and_b32_sdwa v0, v10, v105 dst_sel:DWORD dst_unused:UNUSED_PAD src0_sel:WORD_1 src1_sel:DWORD
	v_mov_b32_e32 v123, 0
	v_mov_b32_e32 v124, 0
	s_mov_b32 s42, exec_lo
	v_cmpx_ne_u16_e32 0, v0
	s_cbranch_execz .LBB346_130
; %bb.123:                              ;   in Loop: Header=BB346_15 Depth=1
	v_bfrev_b32_e32 v124, 1
	s_mov_b32 s43, exec_lo
	v_cmpx_ne_u16_e32 0x80, v0
	s_cbranch_execz .LBB346_129
; %bb.124:                              ;   in Loop: Header=BB346_15 Depth=1
	v_bfe_u32 v11, v10, 16, 7
	v_mov_b32_e32 v124, 0x7f800001
	s_mov_b32 s44, exec_lo
	v_cmpx_ne_u32_e32 0x7f, v11
	s_cbranch_execz .LBB346_128
; %bb.125:                              ;   in Loop: Header=BB346_15 Depth=1
	v_and_b32_sdwa v1, v10, v106 dst_sel:DWORD dst_unused:UNUSED_PAD src0_sel:WORD_1 src1_sel:DWORD
	v_lshrrev_b32_e32 v0, 3, v11
	s_mov_b32 s45, exec_lo
	v_cmpx_gt_u32_e32 8, v11
; %bb.126:                              ;   in Loop: Header=BB346_15 Depth=1
	v_ffbh_u32_e32 v0, v1
	v_min_u32_e32 v0, 32, v0
	v_subrev_nc_u32_e32 v11, 28, v0
	v_sub_nc_u32_e32 v0, 29, v0
	v_lshlrev_b64 v[11:12], v11, v[1:2]
	v_and_b32_e32 v1, 7, v11
; %bb.127:                              ;   in Loop: Header=BB346_15 Depth=1
	s_or_b32 exec_lo, exec_lo, s45
	v_lshlrev_b32_sdwa v11, v107, v10 dst_sel:DWORD dst_unused:UNUSED_PAD src0_sel:DWORD src1_sel:WORD_1
	v_lshlrev_b32_e32 v1, 20, v1
	v_lshl_add_u32 v0, v0, 23, 0x3c000000
	v_and_b32_e32 v11, 0x80000000, v11
	v_or3_b32 v124, v1, v11, v0
.LBB346_128:                            ;   in Loop: Header=BB346_15 Depth=1
	s_or_b32 exec_lo, exec_lo, s44
.LBB346_129:                            ;   in Loop: Header=BB346_15 Depth=1
	s_or_b32 exec_lo, exec_lo, s43
.LBB346_130:                            ;   in Loop: Header=BB346_15 Depth=1
	s_or_b32 exec_lo, exec_lo, s42
	s_mov_b32 s42, exec_lo
	v_cmpx_lt_u64_e64 s[4:5], v[9:10]
	s_cbranch_execz .LBB346_138
; %bb.131:                              ;   in Loop: Header=BB346_15 Depth=1
	v_cmp_ne_u32_sdwa s1, v10, v103 src0_sel:BYTE_3 src1_sel:DWORD
	v_bfrev_b32_e32 v123, 1
	s_and_saveexec_b32 s43, s1
	s_cbranch_execz .LBB346_137
; %bb.132:                              ;   in Loop: Header=BB346_15 Depth=1
	v_bfe_u32 v9, v10, 24, 7
	v_mov_b32_e32 v123, 0x7f800001
	s_mov_b32 s44, exec_lo
	v_cmpx_ne_u32_e32 0x7f, v9
	s_cbranch_execz .LBB346_136
; %bb.133:                              ;   in Loop: Header=BB346_15 Depth=1
	v_and_b32_sdwa v1, v10, v106 dst_sel:DWORD dst_unused:UNUSED_PAD src0_sel:BYTE_3 src1_sel:DWORD
	v_lshrrev_b32_e32 v0, 3, v9
	s_mov_b32 s45, exec_lo
	v_cmpx_gt_u32_e32 8, v9
; %bb.134:                              ;   in Loop: Header=BB346_15 Depth=1
	v_ffbh_u32_e32 v0, v1
	v_min_u32_e32 v0, 32, v0
	v_subrev_nc_u32_e32 v9, 28, v0
	v_sub_nc_u32_e32 v0, 29, v0
	v_lshlrev_b64 v[11:12], v9, v[1:2]
	v_and_b32_e32 v1, 7, v11
; %bb.135:                              ;   in Loop: Header=BB346_15 Depth=1
	s_or_b32 exec_lo, exec_lo, s45
	v_lshlrev_b32_sdwa v9, v107, v10 dst_sel:DWORD dst_unused:UNUSED_PAD src0_sel:DWORD src1_sel:BYTE_3
	v_lshlrev_b32_e32 v1, 20, v1
	v_lshl_add_u32 v0, v0, 23, 0x3c000000
	v_and_b32_e32 v9, 0x80000000, v9
	v_or3_b32 v123, v1, v9, v0
.LBB346_136:                            ;   in Loop: Header=BB346_15 Depth=1
	s_or_b32 exec_lo, exec_lo, s44
.LBB346_137:                            ;   in Loop: Header=BB346_15 Depth=1
	s_or_b32 exec_lo, exec_lo, s43
.LBB346_138:                            ;   in Loop: Header=BB346_15 Depth=1
	s_or_b32 exec_lo, exec_lo, s42
	global_load_dwordx2 v[9:10], v[7:8], off offset:512
	v_mov_b32_e32 v125, 0
	v_mov_b32_e32 v126, 0
	s_waitcnt vmcnt(0)
	v_cmp_ne_u16_sdwa s1, v9, v2 src0_sel:BYTE_0 src1_sel:DWORD
	s_and_saveexec_b32 s42, s1
	s_cbranch_execz .LBB346_144
; %bb.139:                              ;   in Loop: Header=BB346_15 Depth=1
	v_cmp_ne_u16_sdwa s1, v9, v103 src0_sel:BYTE_0 src1_sel:DWORD
	v_bfrev_b32_e32 v126, 1
	s_and_saveexec_b32 s43, s1
	s_cbranch_execz .LBB346_143
; %bb.140:                              ;   in Loop: Header=BB346_15 Depth=1
	v_and_b32_e32 v0, 0x7f, v9
	v_mov_b32_e32 v126, 0x7f800001
	s_mov_b32 s44, exec_lo
	v_cmpx_ne_u32_e32 0x7f, v0
	s_cbranch_execz .LBB346_142
; %bb.141:                              ;   in Loop: Header=BB346_15 Depth=1
	v_and_b32_e32 v1, 7, v9
	v_lshrrev_b32_e32 v11, 3, v0
	v_cmp_gt_u32_e64 s1, 8, v0
	v_ffbh_u32_e32 v0, v1
	v_min_u32_e32 v0, 32, v0
	v_subrev_nc_u32_e32 v1, 28, v0
	v_sub_nc_u32_e32 v0, 29, v0
	v_cndmask_b32_e64 v11, v11, v0, s1
	v_cndmask_b32_e64 v0, 0, v1, s1
	v_lshl_add_u32 v11, v11, 23, 0x3c000000
	v_lshlrev_b64 v[0:1], v0, v[9:10]
	v_lshlrev_b32_e32 v1, 24, v9
	v_lshlrev_b32_e32 v0, 20, v0
	v_and_b32_e32 v1, 0x80000000, v1
	v_and_b32_e32 v0, 0x700000, v0
	v_or3_b32 v126, v0, v1, v11
.LBB346_142:                            ;   in Loop: Header=BB346_15 Depth=1
	s_or_b32 exec_lo, exec_lo, s44
.LBB346_143:                            ;   in Loop: Header=BB346_15 Depth=1
	s_or_b32 exec_lo, exec_lo, s43
.LBB346_144:                            ;   in Loop: Header=BB346_15 Depth=1
	s_or_b32 exec_lo, exec_lo, s42
	v_cmp_ne_u16_sdwa s1, v9, v2 src0_sel:BYTE_1 src1_sel:DWORD
	s_and_saveexec_b32 s42, s1
	s_cbranch_execz .LBB346_152
; %bb.145:                              ;   in Loop: Header=BB346_15 Depth=1
	v_cmp_ne_u16_sdwa s1, v9, v103 src0_sel:BYTE_1 src1_sel:DWORD
	v_bfrev_b32_e32 v125, 1
	s_and_saveexec_b32 s43, s1
	s_cbranch_execz .LBB346_151
; %bb.146:                              ;   in Loop: Header=BB346_15 Depth=1
	v_and_b32_sdwa v0, v104, v9 dst_sel:DWORD dst_unused:UNUSED_PAD src0_sel:DWORD src1_sel:BYTE_1
	v_mov_b32_e32 v125, 0x7f800001
	s_mov_b32 s44, exec_lo
	v_and_b32_e32 v11, 0x7f, v0
	v_cmpx_ne_u32_e32 0x7f, v11
	s_cbranch_execz .LBB346_150
; %bb.147:                              ;   in Loop: Header=BB346_15 Depth=1
	v_and_b32_e32 v1, 7, v0
	v_lshrrev_b32_e32 v0, 3, v11
	s_mov_b32 s45, exec_lo
	v_cmpx_gt_u32_e32 8, v11
; %bb.148:                              ;   in Loop: Header=BB346_15 Depth=1
	v_ffbh_u32_e32 v0, v1
	v_min_u32_e32 v0, 32, v0
	v_subrev_nc_u32_e32 v11, 28, v0
	v_sub_nc_u32_e32 v0, 29, v0
	v_lshlrev_b64 v[11:12], v11, v[1:2]
	v_and_b32_e32 v1, 7, v11
; %bb.149:                              ;   in Loop: Header=BB346_15 Depth=1
	s_or_b32 exec_lo, exec_lo, s45
	v_lshlrev_b32_e32 v11, 16, v9
	v_lshlrev_b32_e32 v1, 20, v1
	v_lshl_add_u32 v0, v0, 23, 0x3c000000
	v_and_b32_e32 v11, 0x80000000, v11
	v_or3_b32 v125, v1, v11, v0
.LBB346_150:                            ;   in Loop: Header=BB346_15 Depth=1
	s_or_b32 exec_lo, exec_lo, s44
.LBB346_151:                            ;   in Loop: Header=BB346_15 Depth=1
	s_or_b32 exec_lo, exec_lo, s43
.LBB346_152:                            ;   in Loop: Header=BB346_15 Depth=1
	s_or_b32 exec_lo, exec_lo, s42
	v_and_b32_sdwa v0, v9, v105 dst_sel:DWORD dst_unused:UNUSED_PAD src0_sel:WORD_1 src1_sel:DWORD
	v_mov_b32_e32 v13, 0
	v_mov_b32_e32 v127, 0
	s_mov_b32 s42, exec_lo
	v_cmpx_ne_u16_e32 0, v0
	s_cbranch_execz .LBB346_160
; %bb.153:                              ;   in Loop: Header=BB346_15 Depth=1
	v_bfrev_b32_e32 v127, 1
	s_mov_b32 s43, exec_lo
	v_cmpx_ne_u16_e32 0x80, v0
	s_cbranch_execz .LBB346_159
; %bb.154:                              ;   in Loop: Header=BB346_15 Depth=1
	v_bfe_u32 v11, v9, 16, 7
	v_mov_b32_e32 v127, 0x7f800001
	s_mov_b32 s44, exec_lo
	v_cmpx_ne_u32_e32 0x7f, v11
	s_cbranch_execz .LBB346_158
; %bb.155:                              ;   in Loop: Header=BB346_15 Depth=1
	v_and_b32_sdwa v1, v9, v106 dst_sel:DWORD dst_unused:UNUSED_PAD src0_sel:WORD_1 src1_sel:DWORD
	v_lshrrev_b32_e32 v0, 3, v11
	s_mov_b32 s45, exec_lo
	v_cmpx_gt_u32_e32 8, v11
; %bb.156:                              ;   in Loop: Header=BB346_15 Depth=1
	v_ffbh_u32_e32 v0, v1
	v_min_u32_e32 v0, 32, v0
	v_subrev_nc_u32_e32 v11, 28, v0
	v_sub_nc_u32_e32 v0, 29, v0
	v_lshlrev_b64 v[11:12], v11, v[1:2]
	v_and_b32_e32 v1, 7, v11
; %bb.157:                              ;   in Loop: Header=BB346_15 Depth=1
	s_or_b32 exec_lo, exec_lo, s45
	v_lshlrev_b32_sdwa v11, v107, v9 dst_sel:DWORD dst_unused:UNUSED_PAD src0_sel:DWORD src1_sel:WORD_1
	v_lshlrev_b32_e32 v1, 20, v1
	v_lshl_add_u32 v0, v0, 23, 0x3c000000
	v_and_b32_e32 v11, 0x80000000, v11
	v_or3_b32 v127, v1, v11, v0
.LBB346_158:                            ;   in Loop: Header=BB346_15 Depth=1
	s_or_b32 exec_lo, exec_lo, s44
.LBB346_159:                            ;   in Loop: Header=BB346_15 Depth=1
	s_or_b32 exec_lo, exec_lo, s43
.LBB346_160:                            ;   in Loop: Header=BB346_15 Depth=1
	s_or_b32 exec_lo, exec_lo, s42
	s_mov_b32 s42, exec_lo
	v_cmpx_lt_u32_e32 0xffffff, v9
	s_cbranch_execz .LBB346_168
; %bb.161:                              ;   in Loop: Header=BB346_15 Depth=1
	v_cmp_ne_u32_sdwa s1, v9, v103 src0_sel:BYTE_3 src1_sel:DWORD
	v_bfrev_b32_e32 v13, 1
	s_and_saveexec_b32 s43, s1
	s_cbranch_execz .LBB346_167
; %bb.162:                              ;   in Loop: Header=BB346_15 Depth=1
	v_bfe_u32 v11, v9, 24, 7
	v_mov_b32_e32 v13, 0x7f800001
	s_mov_b32 s44, exec_lo
	v_cmpx_ne_u32_e32 0x7f, v11
	s_cbranch_execz .LBB346_166
; %bb.163:                              ;   in Loop: Header=BB346_15 Depth=1
	v_and_b32_sdwa v1, v9, v106 dst_sel:DWORD dst_unused:UNUSED_PAD src0_sel:BYTE_3 src1_sel:DWORD
	v_lshrrev_b32_e32 v0, 3, v11
	s_mov_b32 s45, exec_lo
	v_cmpx_gt_u32_e32 8, v11
; %bb.164:                              ;   in Loop: Header=BB346_15 Depth=1
	v_ffbh_u32_e32 v0, v1
	v_min_u32_e32 v0, 32, v0
	v_subrev_nc_u32_e32 v11, 28, v0
	v_sub_nc_u32_e32 v0, 29, v0
	v_lshlrev_b64 v[11:12], v11, v[1:2]
	v_and_b32_e32 v1, 7, v11
; %bb.165:                              ;   in Loop: Header=BB346_15 Depth=1
	s_or_b32 exec_lo, exec_lo, s45
	v_lshlrev_b32_sdwa v11, v107, v9 dst_sel:DWORD dst_unused:UNUSED_PAD src0_sel:DWORD src1_sel:BYTE_3
	v_lshlrev_b32_e32 v1, 20, v1
	v_lshl_add_u32 v0, v0, 23, 0x3c000000
	v_and_b32_e32 v11, 0x80000000, v11
	v_or3_b32 v13, v1, v11, v0
.LBB346_166:                            ;   in Loop: Header=BB346_15 Depth=1
	s_or_b32 exec_lo, exec_lo, s44
.LBB346_167:                            ;   in Loop: Header=BB346_15 Depth=1
	s_or_b32 exec_lo, exec_lo, s43
.LBB346_168:                            ;   in Loop: Header=BB346_15 Depth=1
	s_or_b32 exec_lo, exec_lo, s42
	v_mov_b32_e32 v1, v10
	v_cmp_ne_u16_sdwa s1, v10, v2 src0_sel:BYTE_0 src1_sel:DWORD
	v_mov_b32_e32 v14, 0
	v_mov_b32_e32 v21, 0
	s_and_saveexec_b32 s42, s1
	s_cbranch_execz .LBB346_174
; %bb.169:                              ;   in Loop: Header=BB346_15 Depth=1
	v_cmp_ne_u16_sdwa s1, v10, v103 src0_sel:BYTE_0 src1_sel:DWORD
	v_bfrev_b32_e32 v21, 1
	s_and_saveexec_b32 s43, s1
	s_cbranch_execz .LBB346_173
; %bb.170:                              ;   in Loop: Header=BB346_15 Depth=1
	v_and_b32_e32 v0, 0x7f, v10
	v_mov_b32_e32 v21, 0x7f800001
	s_mov_b32 s44, exec_lo
	v_cmpx_ne_u32_e32 0x7f, v0
	s_cbranch_execz .LBB346_172
; %bb.171:                              ;   in Loop: Header=BB346_15 Depth=1
	v_and_b32_e32 v11, 7, v10
	v_lshrrev_b32_e32 v12, 3, v0
	v_cmp_gt_u32_e64 s1, 8, v0
	v_ffbh_u32_e32 v0, v11
	v_min_u32_e32 v0, 32, v0
	v_subrev_nc_u32_e32 v11, 28, v0
	v_sub_nc_u32_e32 v0, 29, v0
	v_cndmask_b32_e64 v11, 0, v11, s1
	v_cndmask_b32_e64 v0, v12, v0, s1
	v_lshlrev_b64 v[11:12], v11, v[1:2]
	v_lshlrev_b32_e32 v12, 24, v1
	v_lshl_add_u32 v0, v0, 23, 0x3c000000
	v_lshlrev_b32_e32 v11, 20, v11
	v_and_b32_e32 v12, 0x80000000, v12
	v_and_b32_e32 v11, 0x700000, v11
	v_or3_b32 v21, v11, v12, v0
.LBB346_172:                            ;   in Loop: Header=BB346_15 Depth=1
	s_or_b32 exec_lo, exec_lo, s44
.LBB346_173:                            ;   in Loop: Header=BB346_15 Depth=1
	s_or_b32 exec_lo, exec_lo, s43
.LBB346_174:                            ;   in Loop: Header=BB346_15 Depth=1
	s_or_b32 exec_lo, exec_lo, s42
	v_cmp_ne_u16_sdwa s1, v1, v2 src0_sel:BYTE_1 src1_sel:DWORD
	s_and_saveexec_b32 s42, s1
	s_cbranch_execz .LBB346_182
; %bb.175:                              ;   in Loop: Header=BB346_15 Depth=1
	v_cmp_ne_u16_sdwa s1, v1, v103 src0_sel:BYTE_1 src1_sel:DWORD
	v_bfrev_b32_e32 v14, 1
	s_and_saveexec_b32 s43, s1
	s_cbranch_execz .LBB346_181
; %bb.176:                              ;   in Loop: Header=BB346_15 Depth=1
	v_and_b32_sdwa v0, v104, v1 dst_sel:DWORD dst_unused:UNUSED_PAD src0_sel:DWORD src1_sel:BYTE_1
	v_mov_b32_e32 v14, 0x7f800001
	s_mov_b32 s44, exec_lo
	v_and_b32_e32 v15, 0x7f, v0
	v_cmpx_ne_u32_e32 0x7f, v15
	s_cbranch_execz .LBB346_180
; %bb.177:                              ;   in Loop: Header=BB346_15 Depth=1
	v_and_b32_e32 v11, 7, v0
	v_mov_b32_e32 v12, v2
	v_lshrrev_b32_e32 v0, 3, v15
	s_mov_b32 s45, exec_lo
	v_cmpx_gt_u32_e32 8, v15
; %bb.178:                              ;   in Loop: Header=BB346_15 Depth=1
	v_ffbh_u32_e32 v0, v11
	v_min_u32_e32 v0, 32, v0
	v_subrev_nc_u32_e32 v14, 28, v0
	v_sub_nc_u32_e32 v0, 29, v0
	v_lshlrev_b64 v[11:12], v14, v[11:12]
	v_and_b32_e32 v11, 7, v11
; %bb.179:                              ;   in Loop: Header=BB346_15 Depth=1
	s_or_b32 exec_lo, exec_lo, s45
	v_lshlrev_b32_e32 v1, 16, v1
	v_lshlrev_b32_e32 v11, 20, v11
	v_lshl_add_u32 v0, v0, 23, 0x3c000000
	v_and_b32_e32 v1, 0x80000000, v1
	v_or3_b32 v14, v11, v1, v0
.LBB346_180:                            ;   in Loop: Header=BB346_15 Depth=1
	s_or_b32 exec_lo, exec_lo, s44
.LBB346_181:                            ;   in Loop: Header=BB346_15 Depth=1
	s_or_b32 exec_lo, exec_lo, s43
.LBB346_182:                            ;   in Loop: Header=BB346_15 Depth=1
	s_or_b32 exec_lo, exec_lo, s42
	v_and_b32_sdwa v0, v10, v105 dst_sel:DWORD dst_unused:UNUSED_PAD src0_sel:WORD_1 src1_sel:DWORD
	v_mov_b32_e32 v22, 0
	v_mov_b32_e32 v15, 0
	s_mov_b32 s42, exec_lo
	v_cmpx_ne_u16_e32 0, v0
	s_cbranch_execz .LBB346_190
; %bb.183:                              ;   in Loop: Header=BB346_15 Depth=1
	v_bfrev_b32_e32 v15, 1
	s_mov_b32 s43, exec_lo
	v_cmpx_ne_u16_e32 0x80, v0
	s_cbranch_execz .LBB346_189
; %bb.184:                              ;   in Loop: Header=BB346_15 Depth=1
	v_bfe_u32 v11, v10, 16, 7
	v_mov_b32_e32 v15, 0x7f800001
	s_mov_b32 s44, exec_lo
	v_cmpx_ne_u32_e32 0x7f, v11
	s_cbranch_execz .LBB346_188
; %bb.185:                              ;   in Loop: Header=BB346_15 Depth=1
	v_and_b32_sdwa v1, v10, v106 dst_sel:DWORD dst_unused:UNUSED_PAD src0_sel:WORD_1 src1_sel:DWORD
	v_lshrrev_b32_e32 v0, 3, v11
	s_mov_b32 s45, exec_lo
	v_cmpx_gt_u32_e32 8, v11
; %bb.186:                              ;   in Loop: Header=BB346_15 Depth=1
	v_ffbh_u32_e32 v0, v1
	v_min_u32_e32 v0, 32, v0
	v_subrev_nc_u32_e32 v11, 28, v0
	v_sub_nc_u32_e32 v0, 29, v0
	v_lshlrev_b64 v[11:12], v11, v[1:2]
	v_and_b32_e32 v1, 7, v11
; %bb.187:                              ;   in Loop: Header=BB346_15 Depth=1
	s_or_b32 exec_lo, exec_lo, s45
	v_lshlrev_b32_sdwa v11, v107, v10 dst_sel:DWORD dst_unused:UNUSED_PAD src0_sel:DWORD src1_sel:WORD_1
	v_lshlrev_b32_e32 v1, 20, v1
	v_lshl_add_u32 v0, v0, 23, 0x3c000000
	v_and_b32_e32 v11, 0x80000000, v11
	v_or3_b32 v15, v1, v11, v0
.LBB346_188:                            ;   in Loop: Header=BB346_15 Depth=1
	s_or_b32 exec_lo, exec_lo, s44
.LBB346_189:                            ;   in Loop: Header=BB346_15 Depth=1
	s_or_b32 exec_lo, exec_lo, s43
.LBB346_190:                            ;   in Loop: Header=BB346_15 Depth=1
	s_or_b32 exec_lo, exec_lo, s42
	s_mov_b32 s42, exec_lo
	v_cmpx_lt_u64_e64 s[4:5], v[9:10]
	s_cbranch_execz .LBB346_198
; %bb.191:                              ;   in Loop: Header=BB346_15 Depth=1
	v_cmp_ne_u32_sdwa s1, v10, v103 src0_sel:BYTE_3 src1_sel:DWORD
	v_bfrev_b32_e32 v22, 1
	s_and_saveexec_b32 s43, s1
	s_cbranch_execz .LBB346_197
; %bb.192:                              ;   in Loop: Header=BB346_15 Depth=1
	v_bfe_u32 v9, v10, 24, 7
	v_mov_b32_e32 v22, 0x7f800001
	s_mov_b32 s44, exec_lo
	v_cmpx_ne_u32_e32 0x7f, v9
	s_cbranch_execz .LBB346_196
; %bb.193:                              ;   in Loop: Header=BB346_15 Depth=1
	v_and_b32_sdwa v1, v10, v106 dst_sel:DWORD dst_unused:UNUSED_PAD src0_sel:BYTE_3 src1_sel:DWORD
	v_lshrrev_b32_e32 v0, 3, v9
	s_mov_b32 s45, exec_lo
	v_cmpx_gt_u32_e32 8, v9
; %bb.194:                              ;   in Loop: Header=BB346_15 Depth=1
	v_ffbh_u32_e32 v0, v1
	v_min_u32_e32 v0, 32, v0
	v_subrev_nc_u32_e32 v9, 28, v0
	v_sub_nc_u32_e32 v0, 29, v0
	v_lshlrev_b64 v[11:12], v9, v[1:2]
	v_and_b32_e32 v1, 7, v11
; %bb.195:                              ;   in Loop: Header=BB346_15 Depth=1
	s_or_b32 exec_lo, exec_lo, s45
	v_lshlrev_b32_sdwa v9, v107, v10 dst_sel:DWORD dst_unused:UNUSED_PAD src0_sel:DWORD src1_sel:BYTE_3
	v_lshlrev_b32_e32 v1, 20, v1
	v_lshl_add_u32 v0, v0, 23, 0x3c000000
	v_and_b32_e32 v9, 0x80000000, v9
	v_or3_b32 v22, v1, v9, v0
.LBB346_196:                            ;   in Loop: Header=BB346_15 Depth=1
	s_or_b32 exec_lo, exec_lo, s44
.LBB346_197:                            ;   in Loop: Header=BB346_15 Depth=1
	s_or_b32 exec_lo, exec_lo, s43
.LBB346_198:                            ;   in Loop: Header=BB346_15 Depth=1
	s_or_b32 exec_lo, exec_lo, s42
	global_load_dwordx2 v[9:10], v[7:8], off offset:520
	v_mov_b32_e32 v0, 0
	v_mov_b32_e32 v16, 0
	s_waitcnt vmcnt(0)
	v_cmp_ne_u16_sdwa s1, v9, v2 src0_sel:BYTE_0 src1_sel:DWORD
	s_and_saveexec_b32 s42, s1
	s_cbranch_execz .LBB346_204
; %bb.199:                              ;   in Loop: Header=BB346_15 Depth=1
	v_cmp_ne_u16_sdwa s1, v9, v103 src0_sel:BYTE_0 src1_sel:DWORD
	v_bfrev_b32_e32 v16, 1
	s_and_saveexec_b32 s43, s1
	s_cbranch_execz .LBB346_203
; %bb.200:                              ;   in Loop: Header=BB346_15 Depth=1
	v_and_b32_e32 v1, 0x7f, v9
	v_mov_b32_e32 v16, 0x7f800001
	s_mov_b32 s44, exec_lo
	v_cmpx_ne_u32_e32 0x7f, v1
	s_cbranch_execz .LBB346_202
; %bb.201:                              ;   in Loop: Header=BB346_15 Depth=1
	v_and_b32_e32 v11, 7, v9
	v_lshrrev_b32_e32 v12, 3, v1
	v_cmp_gt_u32_e64 s1, 8, v1
	v_ffbh_u32_e32 v1, v11
	v_min_u32_e32 v1, 32, v1
	v_subrev_nc_u32_e32 v11, 28, v1
	v_sub_nc_u32_e32 v1, 29, v1
	v_cndmask_b32_e64 v11, 0, v11, s1
	v_cndmask_b32_e64 v1, v12, v1, s1
	v_lshlrev_b64 v[11:12], v11, v[9:10]
	v_lshlrev_b32_e32 v12, 24, v9
	v_lshl_add_u32 v1, v1, 23, 0x3c000000
	v_lshlrev_b32_e32 v11, 20, v11
	v_and_b32_e32 v12, 0x80000000, v12
	v_and_b32_e32 v11, 0x700000, v11
	v_or3_b32 v16, v11, v12, v1
.LBB346_202:                            ;   in Loop: Header=BB346_15 Depth=1
	s_or_b32 exec_lo, exec_lo, s44
.LBB346_203:                            ;   in Loop: Header=BB346_15 Depth=1
	s_or_b32 exec_lo, exec_lo, s43
.LBB346_204:                            ;   in Loop: Header=BB346_15 Depth=1
	s_or_b32 exec_lo, exec_lo, s42
	v_cmp_ne_u16_sdwa s1, v9, v2 src0_sel:BYTE_1 src1_sel:DWORD
	s_and_saveexec_b32 s42, s1
	s_cbranch_execz .LBB346_212
; %bb.205:                              ;   in Loop: Header=BB346_15 Depth=1
	v_cmp_ne_u16_sdwa s1, v9, v103 src0_sel:BYTE_1 src1_sel:DWORD
	v_bfrev_b32_e32 v0, 1
	s_and_saveexec_b32 s43, s1
	s_cbranch_execz .LBB346_211
; %bb.206:                              ;   in Loop: Header=BB346_15 Depth=1
	v_and_b32_sdwa v1, v104, v9 dst_sel:DWORD dst_unused:UNUSED_PAD src0_sel:DWORD src1_sel:BYTE_1
	v_mov_b32_e32 v0, 0x7f800001
	s_mov_b32 s44, exec_lo
	v_and_b32_e32 v11, 0x7f, v1
	v_cmpx_ne_u32_e32 0x7f, v11
	s_cbranch_execz .LBB346_210
; %bb.207:                              ;   in Loop: Header=BB346_15 Depth=1
	v_and_b32_e32 v1, 7, v1
	v_lshrrev_b32_e32 v0, 3, v11
	s_mov_b32 s45, exec_lo
	v_cmpx_gt_u32_e32 8, v11
; %bb.208:                              ;   in Loop: Header=BB346_15 Depth=1
	v_ffbh_u32_e32 v0, v1
	v_min_u32_e32 v0, 32, v0
	v_subrev_nc_u32_e32 v11, 28, v0
	v_sub_nc_u32_e32 v0, 29, v0
	v_lshlrev_b64 v[11:12], v11, v[1:2]
	v_and_b32_e32 v1, 7, v11
; %bb.209:                              ;   in Loop: Header=BB346_15 Depth=1
	s_or_b32 exec_lo, exec_lo, s45
	v_lshlrev_b32_e32 v11, 16, v9
	v_lshlrev_b32_e32 v1, 20, v1
	v_lshl_add_u32 v0, v0, 23, 0x3c000000
	v_and_b32_e32 v11, 0x80000000, v11
	v_or3_b32 v0, v1, v11, v0
.LBB346_210:                            ;   in Loop: Header=BB346_15 Depth=1
	s_or_b32 exec_lo, exec_lo, s44
.LBB346_211:                            ;   in Loop: Header=BB346_15 Depth=1
	s_or_b32 exec_lo, exec_lo, s43
.LBB346_212:                            ;   in Loop: Header=BB346_15 Depth=1
	s_or_b32 exec_lo, exec_lo, s42
	v_and_b32_sdwa v1, v9, v105 dst_sel:DWORD dst_unused:UNUSED_PAD src0_sel:WORD_1 src1_sel:DWORD
	v_mov_b32_e32 v18, 0
	v_mov_b32_e32 v17, 0
	s_mov_b32 s42, exec_lo
	v_cmpx_ne_u16_e32 0, v1
	s_cbranch_execz .LBB346_220
; %bb.213:                              ;   in Loop: Header=BB346_15 Depth=1
	v_bfrev_b32_e32 v17, 1
	s_mov_b32 s43, exec_lo
	v_cmpx_ne_u16_e32 0x80, v1
	s_cbranch_execz .LBB346_219
; %bb.214:                              ;   in Loop: Header=BB346_15 Depth=1
	v_bfe_u32 v12, v9, 16, 7
	v_mov_b32_e32 v17, 0x7f800001
	s_mov_b32 s44, exec_lo
	v_cmpx_ne_u32_e32 0x7f, v12
	s_cbranch_execz .LBB346_218
; %bb.215:                              ;   in Loop: Header=BB346_15 Depth=1
	v_and_b32_sdwa v1, v9, v106 dst_sel:DWORD dst_unused:UNUSED_PAD src0_sel:WORD_1 src1_sel:DWORD
	v_lshrrev_b32_e32 v11, 3, v12
	s_mov_b32 s45, exec_lo
	v_cmpx_gt_u32_e32 8, v12
; %bb.216:                              ;   in Loop: Header=BB346_15 Depth=1
	v_ffbh_u32_e32 v11, v1
	v_min_u32_e32 v11, 32, v11
	v_subrev_nc_u32_e32 v12, 28, v11
	v_sub_nc_u32_e32 v11, 29, v11
	v_lshlrev_b64 v[19:20], v12, v[1:2]
	v_and_b32_e32 v1, 7, v19
; %bb.217:                              ;   in Loop: Header=BB346_15 Depth=1
	s_or_b32 exec_lo, exec_lo, s45
	v_lshlrev_b32_sdwa v12, v107, v9 dst_sel:DWORD dst_unused:UNUSED_PAD src0_sel:DWORD src1_sel:WORD_1
	v_lshlrev_b32_e32 v1, 20, v1
	v_lshl_add_u32 v11, v11, 23, 0x3c000000
	v_and_b32_e32 v12, 0x80000000, v12
	v_or3_b32 v17, v1, v12, v11
.LBB346_218:                            ;   in Loop: Header=BB346_15 Depth=1
	s_or_b32 exec_lo, exec_lo, s44
.LBB346_219:                            ;   in Loop: Header=BB346_15 Depth=1
	s_or_b32 exec_lo, exec_lo, s43
.LBB346_220:                            ;   in Loop: Header=BB346_15 Depth=1
	s_or_b32 exec_lo, exec_lo, s42
	s_mov_b32 s42, exec_lo
	v_cmpx_lt_u32_e32 0xffffff, v9
	s_cbranch_execz .LBB346_228
; %bb.221:                              ;   in Loop: Header=BB346_15 Depth=1
	v_cmp_ne_u32_sdwa s1, v9, v103 src0_sel:BYTE_3 src1_sel:DWORD
	v_bfrev_b32_e32 v18, 1
	s_and_saveexec_b32 s43, s1
	s_cbranch_execz .LBB346_227
; %bb.222:                              ;   in Loop: Header=BB346_15 Depth=1
	v_bfe_u32 v12, v9, 24, 7
	v_mov_b32_e32 v18, 0x7f800001
	s_mov_b32 s44, exec_lo
	v_cmpx_ne_u32_e32 0x7f, v12
	s_cbranch_execz .LBB346_226
; %bb.223:                              ;   in Loop: Header=BB346_15 Depth=1
	v_and_b32_sdwa v1, v9, v106 dst_sel:DWORD dst_unused:UNUSED_PAD src0_sel:BYTE_3 src1_sel:DWORD
	v_lshrrev_b32_e32 v11, 3, v12
	s_mov_b32 s45, exec_lo
	v_cmpx_gt_u32_e32 8, v12
; %bb.224:                              ;   in Loop: Header=BB346_15 Depth=1
	v_ffbh_u32_e32 v11, v1
	v_min_u32_e32 v11, 32, v11
	v_subrev_nc_u32_e32 v12, 28, v11
	v_sub_nc_u32_e32 v11, 29, v11
	v_lshlrev_b64 v[18:19], v12, v[1:2]
	v_and_b32_e32 v1, 7, v18
; %bb.225:                              ;   in Loop: Header=BB346_15 Depth=1
	s_or_b32 exec_lo, exec_lo, s45
	v_lshlrev_b32_sdwa v12, v107, v9 dst_sel:DWORD dst_unused:UNUSED_PAD src0_sel:DWORD src1_sel:BYTE_3
	v_lshlrev_b32_e32 v1, 20, v1
	v_lshl_add_u32 v11, v11, 23, 0x3c000000
	v_and_b32_e32 v12, 0x80000000, v12
	v_or3_b32 v18, v1, v12, v11
.LBB346_226:                            ;   in Loop: Header=BB346_15 Depth=1
	s_or_b32 exec_lo, exec_lo, s44
.LBB346_227:                            ;   in Loop: Header=BB346_15 Depth=1
	s_or_b32 exec_lo, exec_lo, s43
.LBB346_228:                            ;   in Loop: Header=BB346_15 Depth=1
	s_or_b32 exec_lo, exec_lo, s42
	v_mov_b32_e32 v1, v10
	v_cmp_ne_u16_sdwa s1, v10, v2 src0_sel:BYTE_0 src1_sel:DWORD
	v_mov_b32_e32 v19, 0
	v_mov_b32_e32 v20, 0
	s_and_saveexec_b32 s42, s1
	s_cbranch_execz .LBB346_234
; %bb.229:                              ;   in Loop: Header=BB346_15 Depth=1
	v_cmp_ne_u16_sdwa s1, v10, v103 src0_sel:BYTE_0 src1_sel:DWORD
	v_bfrev_b32_e32 v20, 1
	s_and_saveexec_b32 s43, s1
	s_cbranch_execz .LBB346_233
; %bb.230:                              ;   in Loop: Header=BB346_15 Depth=1
	v_and_b32_e32 v11, 0x7f, v10
	v_mov_b32_e32 v20, 0x7f800001
	s_mov_b32 s44, exec_lo
	v_cmpx_ne_u32_e32 0x7f, v11
	s_cbranch_execz .LBB346_232
; %bb.231:                              ;   in Loop: Header=BB346_15 Depth=1
	v_and_b32_e32 v12, 7, v10
	v_lshrrev_b32_e32 v20, 3, v11
	v_cmp_gt_u32_e64 s1, 8, v11
	v_ffbh_u32_e32 v11, v12
	v_min_u32_e32 v11, 32, v11
	v_subrev_nc_u32_e32 v12, 28, v11
	v_sub_nc_u32_e32 v11, 29, v11
	v_cndmask_b32_e64 v20, v20, v11, s1
	v_cndmask_b32_e64 v11, 0, v12, s1
	v_lshl_add_u32 v20, v20, 23, 0x3c000000
	v_lshlrev_b64 v[11:12], v11, v[1:2]
	v_lshlrev_b32_e32 v12, 24, v1
	v_lshlrev_b32_e32 v11, 20, v11
	v_and_b32_e32 v12, 0x80000000, v12
	v_and_b32_e32 v11, 0x700000, v11
	v_or3_b32 v20, v11, v12, v20
.LBB346_232:                            ;   in Loop: Header=BB346_15 Depth=1
	s_or_b32 exec_lo, exec_lo, s44
.LBB346_233:                            ;   in Loop: Header=BB346_15 Depth=1
	s_or_b32 exec_lo, exec_lo, s43
.LBB346_234:                            ;   in Loop: Header=BB346_15 Depth=1
	s_or_b32 exec_lo, exec_lo, s42
	v_cmp_ne_u16_sdwa s1, v1, v2 src0_sel:BYTE_1 src1_sel:DWORD
	s_and_saveexec_b32 s42, s1
	s_cbranch_execz .LBB346_242
; %bb.235:                              ;   in Loop: Header=BB346_15 Depth=1
	v_cmp_ne_u16_sdwa s1, v1, v103 src0_sel:BYTE_1 src1_sel:DWORD
	v_bfrev_b32_e32 v19, 1
	s_and_saveexec_b32 s43, s1
	s_cbranch_execz .LBB346_241
; %bb.236:                              ;   in Loop: Header=BB346_15 Depth=1
	v_and_b32_sdwa v11, v104, v1 dst_sel:DWORD dst_unused:UNUSED_PAD src0_sel:DWORD src1_sel:BYTE_1
	v_mov_b32_e32 v19, 0x7f800001
	s_mov_b32 s44, exec_lo
	v_and_b32_e32 v24, 0x7f, v11
	v_cmpx_ne_u32_e32 0x7f, v24
	s_cbranch_execz .LBB346_240
; %bb.237:                              ;   in Loop: Header=BB346_15 Depth=1
	v_and_b32_e32 v11, 7, v11
	v_mov_b32_e32 v12, v2
	v_lshrrev_b32_e32 v19, 3, v24
	s_mov_b32 s45, exec_lo
	v_cmpx_gt_u32_e32 8, v24
; %bb.238:                              ;   in Loop: Header=BB346_15 Depth=1
	v_ffbh_u32_e32 v19, v11
	v_min_u32_e32 v19, 32, v19
	v_subrev_nc_u32_e32 v24, 28, v19
	v_sub_nc_u32_e32 v19, 29, v19
	v_lshlrev_b64 v[11:12], v24, v[11:12]
	v_and_b32_e32 v11, 7, v11
; %bb.239:                              ;   in Loop: Header=BB346_15 Depth=1
	s_or_b32 exec_lo, exec_lo, s45
	v_lshlrev_b32_e32 v1, 16, v1
	v_lshlrev_b32_e32 v11, 20, v11
	v_lshl_add_u32 v12, v19, 23, 0x3c000000
	v_and_b32_e32 v1, 0x80000000, v1
	v_or3_b32 v19, v11, v1, v12
.LBB346_240:                            ;   in Loop: Header=BB346_15 Depth=1
	s_or_b32 exec_lo, exec_lo, s44
.LBB346_241:                            ;   in Loop: Header=BB346_15 Depth=1
	s_or_b32 exec_lo, exec_lo, s43
.LBB346_242:                            ;   in Loop: Header=BB346_15 Depth=1
	s_or_b32 exec_lo, exec_lo, s42
	v_and_b32_sdwa v1, v10, v105 dst_sel:DWORD dst_unused:UNUSED_PAD src0_sel:WORD_1 src1_sel:DWORD
	v_mov_b32_e32 v24, 0
	v_mov_b32_e32 v25, 0
	s_mov_b32 s42, exec_lo
	v_cmpx_ne_u16_e32 0, v1
	s_cbranch_execz .LBB346_250
; %bb.243:                              ;   in Loop: Header=BB346_15 Depth=1
	v_bfrev_b32_e32 v25, 1
	s_mov_b32 s43, exec_lo
	v_cmpx_ne_u16_e32 0x80, v1
	s_cbranch_execz .LBB346_249
; %bb.244:                              ;   in Loop: Header=BB346_15 Depth=1
	v_bfe_u32 v12, v10, 16, 7
	v_mov_b32_e32 v25, 0x7f800001
	s_mov_b32 s44, exec_lo
	v_cmpx_ne_u32_e32 0x7f, v12
	s_cbranch_execz .LBB346_248
; %bb.245:                              ;   in Loop: Header=BB346_15 Depth=1
	v_and_b32_sdwa v1, v10, v106 dst_sel:DWORD dst_unused:UNUSED_PAD src0_sel:WORD_1 src1_sel:DWORD
	v_lshrrev_b32_e32 v11, 3, v12
	s_mov_b32 s45, exec_lo
	v_cmpx_gt_u32_e32 8, v12
; %bb.246:                              ;   in Loop: Header=BB346_15 Depth=1
	v_ffbh_u32_e32 v11, v1
	v_min_u32_e32 v11, 32, v11
	v_subrev_nc_u32_e32 v12, 28, v11
	v_sub_nc_u32_e32 v11, 29, v11
	v_lshlrev_b64 v[25:26], v12, v[1:2]
	v_and_b32_e32 v1, 7, v25
; %bb.247:                              ;   in Loop: Header=BB346_15 Depth=1
	s_or_b32 exec_lo, exec_lo, s45
	v_lshlrev_b32_sdwa v12, v107, v10 dst_sel:DWORD dst_unused:UNUSED_PAD src0_sel:DWORD src1_sel:WORD_1
	v_lshlrev_b32_e32 v1, 20, v1
	v_lshl_add_u32 v11, v11, 23, 0x3c000000
	v_and_b32_e32 v12, 0x80000000, v12
	v_or3_b32 v25, v1, v12, v11
.LBB346_248:                            ;   in Loop: Header=BB346_15 Depth=1
	s_or_b32 exec_lo, exec_lo, s44
.LBB346_249:                            ;   in Loop: Header=BB346_15 Depth=1
	s_or_b32 exec_lo, exec_lo, s43
.LBB346_250:                            ;   in Loop: Header=BB346_15 Depth=1
	s_or_b32 exec_lo, exec_lo, s42
	s_mov_b32 s42, exec_lo
	v_cmpx_lt_u64_e64 s[4:5], v[9:10]
	s_cbranch_execz .LBB346_258
; %bb.251:                              ;   in Loop: Header=BB346_15 Depth=1
	v_cmp_ne_u32_sdwa s1, v10, v103 src0_sel:BYTE_3 src1_sel:DWORD
	v_bfrev_b32_e32 v24, 1
	s_and_saveexec_b32 s43, s1
	s_cbranch_execz .LBB346_257
; %bb.252:                              ;   in Loop: Header=BB346_15 Depth=1
	v_bfe_u32 v11, v10, 24, 7
	v_mov_b32_e32 v24, 0x7f800001
	s_mov_b32 s44, exec_lo
	v_cmpx_ne_u32_e32 0x7f, v11
	s_cbranch_execz .LBB346_256
; %bb.253:                              ;   in Loop: Header=BB346_15 Depth=1
	v_and_b32_sdwa v1, v10, v106 dst_sel:DWORD dst_unused:UNUSED_PAD src0_sel:BYTE_3 src1_sel:DWORD
	v_lshrrev_b32_e32 v9, 3, v11
	s_mov_b32 s45, exec_lo
	v_cmpx_gt_u32_e32 8, v11
; %bb.254:                              ;   in Loop: Header=BB346_15 Depth=1
	v_ffbh_u32_e32 v9, v1
	v_min_u32_e32 v9, 32, v9
	v_subrev_nc_u32_e32 v11, 28, v9
	v_sub_nc_u32_e32 v9, 29, v9
	v_lshlrev_b64 v[11:12], v11, v[1:2]
	v_and_b32_e32 v1, 7, v11
; %bb.255:                              ;   in Loop: Header=BB346_15 Depth=1
	s_or_b32 exec_lo, exec_lo, s45
	v_lshlrev_b32_sdwa v10, v107, v10 dst_sel:DWORD dst_unused:UNUSED_PAD src0_sel:DWORD src1_sel:BYTE_3
	v_lshlrev_b32_e32 v1, 20, v1
	v_lshl_add_u32 v9, v9, 23, 0x3c000000
	v_and_b32_e32 v10, 0x80000000, v10
	v_or3_b32 v24, v1, v10, v9
.LBB346_256:                            ;   in Loop: Header=BB346_15 Depth=1
	s_or_b32 exec_lo, exec_lo, s44
.LBB346_257:                            ;   in Loop: Header=BB346_15 Depth=1
	s_or_b32 exec_lo, exec_lo, s43
.LBB346_258:                            ;   in Loop: Header=BB346_15 Depth=1
	s_or_b32 exec_lo, exec_lo, s42
	global_load_dwordx2 v[9:10], v[7:8], off offset:1024
	v_mov_b32_e32 v26, 0
	v_mov_b32_e32 v27, 0
	s_waitcnt vmcnt(0)
	v_cmp_ne_u16_sdwa s1, v9, v2 src0_sel:BYTE_0 src1_sel:DWORD
	s_and_saveexec_b32 s42, s1
	s_cbranch_execz .LBB346_264
; %bb.259:                              ;   in Loop: Header=BB346_15 Depth=1
	v_cmp_ne_u16_sdwa s1, v9, v103 src0_sel:BYTE_0 src1_sel:DWORD
	v_bfrev_b32_e32 v27, 1
	s_and_saveexec_b32 s43, s1
	s_cbranch_execz .LBB346_263
; %bb.260:                              ;   in Loop: Header=BB346_15 Depth=1
	v_and_b32_e32 v1, 0x7f, v9
	v_mov_b32_e32 v27, 0x7f800001
	s_mov_b32 s44, exec_lo
	v_cmpx_ne_u32_e32 0x7f, v1
	s_cbranch_execz .LBB346_262
; %bb.261:                              ;   in Loop: Header=BB346_15 Depth=1
	v_and_b32_e32 v11, 7, v9
	v_lshrrev_b32_e32 v12, 3, v1
	v_cmp_gt_u32_e64 s1, 8, v1
	v_ffbh_u32_e32 v1, v11
	v_min_u32_e32 v1, 32, v1
	v_subrev_nc_u32_e32 v11, 28, v1
	v_sub_nc_u32_e32 v1, 29, v1
	v_cndmask_b32_e64 v11, 0, v11, s1
	v_cndmask_b32_e64 v1, v12, v1, s1
	v_lshlrev_b64 v[11:12], v11, v[9:10]
	v_lshlrev_b32_e32 v12, 24, v9
	v_lshl_add_u32 v1, v1, 23, 0x3c000000
	v_lshlrev_b32_e32 v11, 20, v11
	v_and_b32_e32 v12, 0x80000000, v12
	v_and_b32_e32 v11, 0x700000, v11
	v_or3_b32 v27, v11, v12, v1
.LBB346_262:                            ;   in Loop: Header=BB346_15 Depth=1
	s_or_b32 exec_lo, exec_lo, s44
.LBB346_263:                            ;   in Loop: Header=BB346_15 Depth=1
	s_or_b32 exec_lo, exec_lo, s43
.LBB346_264:                            ;   in Loop: Header=BB346_15 Depth=1
	s_or_b32 exec_lo, exec_lo, s42
	v_cmp_ne_u16_sdwa s1, v9, v2 src0_sel:BYTE_1 src1_sel:DWORD
	s_and_saveexec_b32 s42, s1
	s_cbranch_execz .LBB346_272
; %bb.265:                              ;   in Loop: Header=BB346_15 Depth=1
	v_cmp_ne_u16_sdwa s1, v9, v103 src0_sel:BYTE_1 src1_sel:DWORD
	v_bfrev_b32_e32 v26, 1
	s_and_saveexec_b32 s43, s1
	s_cbranch_execz .LBB346_271
; %bb.266:                              ;   in Loop: Header=BB346_15 Depth=1
	v_and_b32_sdwa v1, v104, v9 dst_sel:DWORD dst_unused:UNUSED_PAD src0_sel:DWORD src1_sel:BYTE_1
	v_mov_b32_e32 v26, 0x7f800001
	s_mov_b32 s44, exec_lo
	v_and_b32_e32 v12, 0x7f, v1
	v_cmpx_ne_u32_e32 0x7f, v12
	s_cbranch_execz .LBB346_270
; %bb.267:                              ;   in Loop: Header=BB346_15 Depth=1
	v_and_b32_e32 v1, 7, v1
	v_lshrrev_b32_e32 v11, 3, v12
	s_mov_b32 s45, exec_lo
	v_cmpx_gt_u32_e32 8, v12
; %bb.268:                              ;   in Loop: Header=BB346_15 Depth=1
	v_ffbh_u32_e32 v11, v1
	v_min_u32_e32 v11, 32, v11
	v_subrev_nc_u32_e32 v12, 28, v11
	v_sub_nc_u32_e32 v11, 29, v11
	v_lshlrev_b64 v[28:29], v12, v[1:2]
	v_and_b32_e32 v1, 7, v28
; %bb.269:                              ;   in Loop: Header=BB346_15 Depth=1
	s_or_b32 exec_lo, exec_lo, s45
	v_lshlrev_b32_e32 v12, 16, v9
	v_lshlrev_b32_e32 v1, 20, v1
	v_lshl_add_u32 v11, v11, 23, 0x3c000000
	v_and_b32_e32 v12, 0x80000000, v12
	v_or3_b32 v26, v1, v12, v11
.LBB346_270:                            ;   in Loop: Header=BB346_15 Depth=1
	s_or_b32 exec_lo, exec_lo, s44
.LBB346_271:                            ;   in Loop: Header=BB346_15 Depth=1
	s_or_b32 exec_lo, exec_lo, s43
.LBB346_272:                            ;   in Loop: Header=BB346_15 Depth=1
	s_or_b32 exec_lo, exec_lo, s42
	v_and_b32_sdwa v1, v9, v105 dst_sel:DWORD dst_unused:UNUSED_PAD src0_sel:WORD_1 src1_sel:DWORD
	v_mov_b32_e32 v29, 0
	v_mov_b32_e32 v28, 0
	s_mov_b32 s42, exec_lo
	v_cmpx_ne_u16_e32 0, v1
	s_cbranch_execz .LBB346_280
; %bb.273:                              ;   in Loop: Header=BB346_15 Depth=1
	v_bfrev_b32_e32 v28, 1
	s_mov_b32 s43, exec_lo
	v_cmpx_ne_u16_e32 0x80, v1
	s_cbranch_execz .LBB346_279
; %bb.274:                              ;   in Loop: Header=BB346_15 Depth=1
	v_bfe_u32 v12, v9, 16, 7
	v_mov_b32_e32 v28, 0x7f800001
	s_mov_b32 s44, exec_lo
	v_cmpx_ne_u32_e32 0x7f, v12
	s_cbranch_execz .LBB346_278
; %bb.275:                              ;   in Loop: Header=BB346_15 Depth=1
	v_and_b32_sdwa v1, v9, v106 dst_sel:DWORD dst_unused:UNUSED_PAD src0_sel:WORD_1 src1_sel:DWORD
	v_lshrrev_b32_e32 v11, 3, v12
	s_mov_b32 s45, exec_lo
	v_cmpx_gt_u32_e32 8, v12
; %bb.276:                              ;   in Loop: Header=BB346_15 Depth=1
	v_ffbh_u32_e32 v11, v1
	v_min_u32_e32 v11, 32, v11
	v_subrev_nc_u32_e32 v12, 28, v11
	v_sub_nc_u32_e32 v11, 29, v11
	v_lshlrev_b64 v[30:31], v12, v[1:2]
	v_and_b32_e32 v1, 7, v30
; %bb.277:                              ;   in Loop: Header=BB346_15 Depth=1
	s_or_b32 exec_lo, exec_lo, s45
	v_lshlrev_b32_sdwa v12, v107, v9 dst_sel:DWORD dst_unused:UNUSED_PAD src0_sel:DWORD src1_sel:WORD_1
	v_lshlrev_b32_e32 v1, 20, v1
	v_lshl_add_u32 v11, v11, 23, 0x3c000000
	v_and_b32_e32 v12, 0x80000000, v12
	v_or3_b32 v28, v1, v12, v11
.LBB346_278:                            ;   in Loop: Header=BB346_15 Depth=1
	s_or_b32 exec_lo, exec_lo, s44
.LBB346_279:                            ;   in Loop: Header=BB346_15 Depth=1
	s_or_b32 exec_lo, exec_lo, s43
.LBB346_280:                            ;   in Loop: Header=BB346_15 Depth=1
	s_or_b32 exec_lo, exec_lo, s42
	s_mov_b32 s42, exec_lo
	v_cmpx_lt_u32_e32 0xffffff, v9
	s_cbranch_execz .LBB346_288
; %bb.281:                              ;   in Loop: Header=BB346_15 Depth=1
	v_cmp_ne_u32_sdwa s1, v9, v103 src0_sel:BYTE_3 src1_sel:DWORD
	v_bfrev_b32_e32 v29, 1
	s_and_saveexec_b32 s43, s1
	s_cbranch_execz .LBB346_287
; %bb.282:                              ;   in Loop: Header=BB346_15 Depth=1
	v_bfe_u32 v12, v9, 24, 7
	v_mov_b32_e32 v29, 0x7f800001
	s_mov_b32 s44, exec_lo
	v_cmpx_ne_u32_e32 0x7f, v12
	s_cbranch_execz .LBB346_286
; %bb.283:                              ;   in Loop: Header=BB346_15 Depth=1
	v_and_b32_sdwa v1, v9, v106 dst_sel:DWORD dst_unused:UNUSED_PAD src0_sel:BYTE_3 src1_sel:DWORD
	v_lshrrev_b32_e32 v11, 3, v12
	s_mov_b32 s45, exec_lo
	v_cmpx_gt_u32_e32 8, v12
; %bb.284:                              ;   in Loop: Header=BB346_15 Depth=1
	v_ffbh_u32_e32 v11, v1
	v_min_u32_e32 v11, 32, v11
	v_subrev_nc_u32_e32 v12, 28, v11
	v_sub_nc_u32_e32 v11, 29, v11
	v_lshlrev_b64 v[29:30], v12, v[1:2]
	v_and_b32_e32 v1, 7, v29
; %bb.285:                              ;   in Loop: Header=BB346_15 Depth=1
	s_or_b32 exec_lo, exec_lo, s45
	v_lshlrev_b32_sdwa v12, v107, v9 dst_sel:DWORD dst_unused:UNUSED_PAD src0_sel:DWORD src1_sel:BYTE_3
	v_lshlrev_b32_e32 v1, 20, v1
	v_lshl_add_u32 v11, v11, 23, 0x3c000000
	v_and_b32_e32 v12, 0x80000000, v12
	v_or3_b32 v29, v1, v12, v11
.LBB346_286:                            ;   in Loop: Header=BB346_15 Depth=1
	s_or_b32 exec_lo, exec_lo, s44
.LBB346_287:                            ;   in Loop: Header=BB346_15 Depth=1
	s_or_b32 exec_lo, exec_lo, s43
.LBB346_288:                            ;   in Loop: Header=BB346_15 Depth=1
	s_or_b32 exec_lo, exec_lo, s42
	v_mov_b32_e32 v1, v10
	v_cmp_ne_u16_sdwa s1, v10, v2 src0_sel:BYTE_0 src1_sel:DWORD
	v_mov_b32_e32 v30, 0
	v_mov_b32_e32 v31, 0
	s_and_saveexec_b32 s42, s1
	s_cbranch_execz .LBB346_294
; %bb.289:                              ;   in Loop: Header=BB346_15 Depth=1
	v_cmp_ne_u16_sdwa s1, v10, v103 src0_sel:BYTE_0 src1_sel:DWORD
	v_bfrev_b32_e32 v31, 1
	s_and_saveexec_b32 s43, s1
	s_cbranch_execz .LBB346_293
; %bb.290:                              ;   in Loop: Header=BB346_15 Depth=1
	v_and_b32_e32 v11, 0x7f, v10
	v_mov_b32_e32 v31, 0x7f800001
	s_mov_b32 s44, exec_lo
	v_cmpx_ne_u32_e32 0x7f, v11
	s_cbranch_execz .LBB346_292
; %bb.291:                              ;   in Loop: Header=BB346_15 Depth=1
	v_and_b32_e32 v12, 7, v10
	v_lshrrev_b32_e32 v31, 3, v11
	v_cmp_gt_u32_e64 s1, 8, v11
	v_ffbh_u32_e32 v11, v12
	v_min_u32_e32 v11, 32, v11
	v_subrev_nc_u32_e32 v12, 28, v11
	v_sub_nc_u32_e32 v11, 29, v11
	v_cndmask_b32_e64 v31, v31, v11, s1
	v_cndmask_b32_e64 v11, 0, v12, s1
	v_lshl_add_u32 v31, v31, 23, 0x3c000000
	v_lshlrev_b64 v[11:12], v11, v[1:2]
	v_lshlrev_b32_e32 v12, 24, v1
	v_lshlrev_b32_e32 v11, 20, v11
	v_and_b32_e32 v12, 0x80000000, v12
	v_and_b32_e32 v11, 0x700000, v11
	v_or3_b32 v31, v11, v12, v31
.LBB346_292:                            ;   in Loop: Header=BB346_15 Depth=1
	s_or_b32 exec_lo, exec_lo, s44
.LBB346_293:                            ;   in Loop: Header=BB346_15 Depth=1
	s_or_b32 exec_lo, exec_lo, s43
.LBB346_294:                            ;   in Loop: Header=BB346_15 Depth=1
	s_or_b32 exec_lo, exec_lo, s42
	v_cmp_ne_u16_sdwa s1, v1, v2 src0_sel:BYTE_1 src1_sel:DWORD
	s_and_saveexec_b32 s42, s1
	s_cbranch_execz .LBB346_302
; %bb.295:                              ;   in Loop: Header=BB346_15 Depth=1
	v_cmp_ne_u16_sdwa s1, v1, v103 src0_sel:BYTE_1 src1_sel:DWORD
	v_bfrev_b32_e32 v30, 1
	s_and_saveexec_b32 s43, s1
	s_cbranch_execz .LBB346_301
; %bb.296:                              ;   in Loop: Header=BB346_15 Depth=1
	v_and_b32_sdwa v11, v104, v1 dst_sel:DWORD dst_unused:UNUSED_PAD src0_sel:DWORD src1_sel:BYTE_1
	v_mov_b32_e32 v30, 0x7f800001
	s_mov_b32 s44, exec_lo
	v_and_b32_e32 v32, 0x7f, v11
	v_cmpx_ne_u32_e32 0x7f, v32
	s_cbranch_execz .LBB346_300
; %bb.297:                              ;   in Loop: Header=BB346_15 Depth=1
	v_and_b32_e32 v11, 7, v11
	v_mov_b32_e32 v12, v2
	v_lshrrev_b32_e32 v30, 3, v32
	s_mov_b32 s45, exec_lo
	v_cmpx_gt_u32_e32 8, v32
; %bb.298:                              ;   in Loop: Header=BB346_15 Depth=1
	v_ffbh_u32_e32 v30, v11
	v_min_u32_e32 v30, 32, v30
	v_subrev_nc_u32_e32 v32, 28, v30
	v_sub_nc_u32_e32 v30, 29, v30
	v_lshlrev_b64 v[11:12], v32, v[11:12]
	v_and_b32_e32 v11, 7, v11
; %bb.299:                              ;   in Loop: Header=BB346_15 Depth=1
	s_or_b32 exec_lo, exec_lo, s45
	v_lshlrev_b32_e32 v1, 16, v1
	v_lshlrev_b32_e32 v11, 20, v11
	v_lshl_add_u32 v12, v30, 23, 0x3c000000
	v_and_b32_e32 v1, 0x80000000, v1
	v_or3_b32 v30, v11, v1, v12
.LBB346_300:                            ;   in Loop: Header=BB346_15 Depth=1
	s_or_b32 exec_lo, exec_lo, s44
.LBB346_301:                            ;   in Loop: Header=BB346_15 Depth=1
	s_or_b32 exec_lo, exec_lo, s43
.LBB346_302:                            ;   in Loop: Header=BB346_15 Depth=1
	s_or_b32 exec_lo, exec_lo, s42
	v_and_b32_sdwa v1, v10, v105 dst_sel:DWORD dst_unused:UNUSED_PAD src0_sel:WORD_1 src1_sel:DWORD
	v_mov_b32_e32 v32, 0
	v_mov_b32_e32 v33, 0
	s_mov_b32 s42, exec_lo
	v_cmpx_ne_u16_e32 0, v1
	s_cbranch_execz .LBB346_310
; %bb.303:                              ;   in Loop: Header=BB346_15 Depth=1
	v_bfrev_b32_e32 v33, 1
	s_mov_b32 s43, exec_lo
	v_cmpx_ne_u16_e32 0x80, v1
	s_cbranch_execz .LBB346_309
; %bb.304:                              ;   in Loop: Header=BB346_15 Depth=1
	v_bfe_u32 v12, v10, 16, 7
	v_mov_b32_e32 v33, 0x7f800001
	s_mov_b32 s44, exec_lo
	v_cmpx_ne_u32_e32 0x7f, v12
	s_cbranch_execz .LBB346_308
; %bb.305:                              ;   in Loop: Header=BB346_15 Depth=1
	v_and_b32_sdwa v1, v10, v106 dst_sel:DWORD dst_unused:UNUSED_PAD src0_sel:WORD_1 src1_sel:DWORD
	v_lshrrev_b32_e32 v11, 3, v12
	s_mov_b32 s45, exec_lo
	v_cmpx_gt_u32_e32 8, v12
; %bb.306:                              ;   in Loop: Header=BB346_15 Depth=1
	v_ffbh_u32_e32 v11, v1
	v_min_u32_e32 v11, 32, v11
	v_subrev_nc_u32_e32 v12, 28, v11
	v_sub_nc_u32_e32 v11, 29, v11
	v_lshlrev_b64 v[33:34], v12, v[1:2]
	v_and_b32_e32 v1, 7, v33
; %bb.307:                              ;   in Loop: Header=BB346_15 Depth=1
	s_or_b32 exec_lo, exec_lo, s45
	v_lshlrev_b32_sdwa v12, v107, v10 dst_sel:DWORD dst_unused:UNUSED_PAD src0_sel:DWORD src1_sel:WORD_1
	v_lshlrev_b32_e32 v1, 20, v1
	v_lshl_add_u32 v11, v11, 23, 0x3c000000
	v_and_b32_e32 v12, 0x80000000, v12
	v_or3_b32 v33, v1, v12, v11
.LBB346_308:                            ;   in Loop: Header=BB346_15 Depth=1
	s_or_b32 exec_lo, exec_lo, s44
.LBB346_309:                            ;   in Loop: Header=BB346_15 Depth=1
	s_or_b32 exec_lo, exec_lo, s43
.LBB346_310:                            ;   in Loop: Header=BB346_15 Depth=1
	s_or_b32 exec_lo, exec_lo, s42
	s_mov_b32 s42, exec_lo
	v_cmpx_lt_u64_e64 s[4:5], v[9:10]
	s_cbranch_execz .LBB346_318
; %bb.311:                              ;   in Loop: Header=BB346_15 Depth=1
	v_cmp_ne_u32_sdwa s1, v10, v103 src0_sel:BYTE_3 src1_sel:DWORD
	v_bfrev_b32_e32 v32, 1
	s_and_saveexec_b32 s43, s1
	s_cbranch_execz .LBB346_317
; %bb.312:                              ;   in Loop: Header=BB346_15 Depth=1
	v_bfe_u32 v11, v10, 24, 7
	v_mov_b32_e32 v32, 0x7f800001
	s_mov_b32 s44, exec_lo
	v_cmpx_ne_u32_e32 0x7f, v11
	s_cbranch_execz .LBB346_316
; %bb.313:                              ;   in Loop: Header=BB346_15 Depth=1
	v_and_b32_sdwa v1, v10, v106 dst_sel:DWORD dst_unused:UNUSED_PAD src0_sel:BYTE_3 src1_sel:DWORD
	v_lshrrev_b32_e32 v9, 3, v11
	s_mov_b32 s45, exec_lo
	v_cmpx_gt_u32_e32 8, v11
; %bb.314:                              ;   in Loop: Header=BB346_15 Depth=1
	v_ffbh_u32_e32 v9, v1
	v_min_u32_e32 v9, 32, v9
	v_subrev_nc_u32_e32 v11, 28, v9
	v_sub_nc_u32_e32 v9, 29, v9
	v_lshlrev_b64 v[11:12], v11, v[1:2]
	v_and_b32_e32 v1, 7, v11
; %bb.315:                              ;   in Loop: Header=BB346_15 Depth=1
	s_or_b32 exec_lo, exec_lo, s45
	v_lshlrev_b32_sdwa v10, v107, v10 dst_sel:DWORD dst_unused:UNUSED_PAD src0_sel:DWORD src1_sel:BYTE_3
	v_lshlrev_b32_e32 v1, 20, v1
	v_lshl_add_u32 v9, v9, 23, 0x3c000000
	v_and_b32_e32 v10, 0x80000000, v10
	v_or3_b32 v32, v1, v10, v9
.LBB346_316:                            ;   in Loop: Header=BB346_15 Depth=1
	s_or_b32 exec_lo, exec_lo, s44
.LBB346_317:                            ;   in Loop: Header=BB346_15 Depth=1
	s_or_b32 exec_lo, exec_lo, s43
.LBB346_318:                            ;   in Loop: Header=BB346_15 Depth=1
	s_or_b32 exec_lo, exec_lo, s42
	global_load_dwordx2 v[9:10], v[7:8], off offset:1032
	v_mov_b32_e32 v34, 0
	v_mov_b32_e32 v35, 0
	s_waitcnt vmcnt(0)
	v_cmp_ne_u16_sdwa s1, v9, v2 src0_sel:BYTE_0 src1_sel:DWORD
	s_and_saveexec_b32 s42, s1
	s_cbranch_execz .LBB346_324
; %bb.319:                              ;   in Loop: Header=BB346_15 Depth=1
	v_cmp_ne_u16_sdwa s1, v9, v103 src0_sel:BYTE_0 src1_sel:DWORD
	v_bfrev_b32_e32 v35, 1
	s_and_saveexec_b32 s43, s1
	s_cbranch_execz .LBB346_323
; %bb.320:                              ;   in Loop: Header=BB346_15 Depth=1
	v_and_b32_e32 v1, 0x7f, v9
	v_mov_b32_e32 v35, 0x7f800001
	s_mov_b32 s44, exec_lo
	v_cmpx_ne_u32_e32 0x7f, v1
	s_cbranch_execz .LBB346_322
; %bb.321:                              ;   in Loop: Header=BB346_15 Depth=1
	v_and_b32_e32 v11, 7, v9
	v_lshrrev_b32_e32 v12, 3, v1
	v_cmp_gt_u32_e64 s1, 8, v1
	v_ffbh_u32_e32 v1, v11
	v_min_u32_e32 v1, 32, v1
	v_subrev_nc_u32_e32 v11, 28, v1
	v_sub_nc_u32_e32 v1, 29, v1
	v_cndmask_b32_e64 v11, 0, v11, s1
	v_cndmask_b32_e64 v1, v12, v1, s1
	v_lshlrev_b64 v[11:12], v11, v[9:10]
	v_lshlrev_b32_e32 v12, 24, v9
	v_lshl_add_u32 v1, v1, 23, 0x3c000000
	v_lshlrev_b32_e32 v11, 20, v11
	v_and_b32_e32 v12, 0x80000000, v12
	v_and_b32_e32 v11, 0x700000, v11
	v_or3_b32 v35, v11, v12, v1
.LBB346_322:                            ;   in Loop: Header=BB346_15 Depth=1
	s_or_b32 exec_lo, exec_lo, s44
.LBB346_323:                            ;   in Loop: Header=BB346_15 Depth=1
	s_or_b32 exec_lo, exec_lo, s43
.LBB346_324:                            ;   in Loop: Header=BB346_15 Depth=1
	s_or_b32 exec_lo, exec_lo, s42
	v_cmp_ne_u16_sdwa s1, v9, v2 src0_sel:BYTE_1 src1_sel:DWORD
	s_and_saveexec_b32 s42, s1
	s_cbranch_execz .LBB346_332
; %bb.325:                              ;   in Loop: Header=BB346_15 Depth=1
	v_cmp_ne_u16_sdwa s1, v9, v103 src0_sel:BYTE_1 src1_sel:DWORD
	v_bfrev_b32_e32 v34, 1
	s_and_saveexec_b32 s43, s1
	s_cbranch_execz .LBB346_331
; %bb.326:                              ;   in Loop: Header=BB346_15 Depth=1
	v_and_b32_sdwa v1, v104, v9 dst_sel:DWORD dst_unused:UNUSED_PAD src0_sel:DWORD src1_sel:BYTE_1
	v_mov_b32_e32 v34, 0x7f800001
	s_mov_b32 s44, exec_lo
	v_and_b32_e32 v12, 0x7f, v1
	v_cmpx_ne_u32_e32 0x7f, v12
	s_cbranch_execz .LBB346_330
; %bb.327:                              ;   in Loop: Header=BB346_15 Depth=1
	v_and_b32_e32 v1, 7, v1
	v_lshrrev_b32_e32 v11, 3, v12
	s_mov_b32 s45, exec_lo
	v_cmpx_gt_u32_e32 8, v12
; %bb.328:                              ;   in Loop: Header=BB346_15 Depth=1
	v_ffbh_u32_e32 v11, v1
	v_min_u32_e32 v11, 32, v11
	v_subrev_nc_u32_e32 v12, 28, v11
	v_sub_nc_u32_e32 v11, 29, v11
	v_lshlrev_b64 v[36:37], v12, v[1:2]
	v_and_b32_e32 v1, 7, v36
; %bb.329:                              ;   in Loop: Header=BB346_15 Depth=1
	s_or_b32 exec_lo, exec_lo, s45
	v_lshlrev_b32_e32 v12, 16, v9
	v_lshlrev_b32_e32 v1, 20, v1
	v_lshl_add_u32 v11, v11, 23, 0x3c000000
	v_and_b32_e32 v12, 0x80000000, v12
	v_or3_b32 v34, v1, v12, v11
.LBB346_330:                            ;   in Loop: Header=BB346_15 Depth=1
	s_or_b32 exec_lo, exec_lo, s44
.LBB346_331:                            ;   in Loop: Header=BB346_15 Depth=1
	s_or_b32 exec_lo, exec_lo, s43
.LBB346_332:                            ;   in Loop: Header=BB346_15 Depth=1
	s_or_b32 exec_lo, exec_lo, s42
	v_and_b32_sdwa v1, v9, v105 dst_sel:DWORD dst_unused:UNUSED_PAD src0_sel:WORD_1 src1_sel:DWORD
	v_mov_b32_e32 v37, 0
	v_mov_b32_e32 v36, 0
	s_mov_b32 s42, exec_lo
	v_cmpx_ne_u16_e32 0, v1
	s_cbranch_execz .LBB346_340
; %bb.333:                              ;   in Loop: Header=BB346_15 Depth=1
	v_bfrev_b32_e32 v36, 1
	s_mov_b32 s43, exec_lo
	v_cmpx_ne_u16_e32 0x80, v1
	s_cbranch_execz .LBB346_339
; %bb.334:                              ;   in Loop: Header=BB346_15 Depth=1
	v_bfe_u32 v12, v9, 16, 7
	v_mov_b32_e32 v36, 0x7f800001
	s_mov_b32 s44, exec_lo
	v_cmpx_ne_u32_e32 0x7f, v12
	s_cbranch_execz .LBB346_338
; %bb.335:                              ;   in Loop: Header=BB346_15 Depth=1
	v_and_b32_sdwa v1, v9, v106 dst_sel:DWORD dst_unused:UNUSED_PAD src0_sel:WORD_1 src1_sel:DWORD
	v_lshrrev_b32_e32 v11, 3, v12
	s_mov_b32 s45, exec_lo
	v_cmpx_gt_u32_e32 8, v12
; %bb.336:                              ;   in Loop: Header=BB346_15 Depth=1
	v_ffbh_u32_e32 v11, v1
	v_min_u32_e32 v11, 32, v11
	v_subrev_nc_u32_e32 v12, 28, v11
	v_sub_nc_u32_e32 v11, 29, v11
	v_lshlrev_b64 v[38:39], v12, v[1:2]
	v_and_b32_e32 v1, 7, v38
; %bb.337:                              ;   in Loop: Header=BB346_15 Depth=1
	s_or_b32 exec_lo, exec_lo, s45
	v_lshlrev_b32_sdwa v12, v107, v9 dst_sel:DWORD dst_unused:UNUSED_PAD src0_sel:DWORD src1_sel:WORD_1
	v_lshlrev_b32_e32 v1, 20, v1
	v_lshl_add_u32 v11, v11, 23, 0x3c000000
	v_and_b32_e32 v12, 0x80000000, v12
	v_or3_b32 v36, v1, v12, v11
.LBB346_338:                            ;   in Loop: Header=BB346_15 Depth=1
	s_or_b32 exec_lo, exec_lo, s44
.LBB346_339:                            ;   in Loop: Header=BB346_15 Depth=1
	s_or_b32 exec_lo, exec_lo, s43
.LBB346_340:                            ;   in Loop: Header=BB346_15 Depth=1
	s_or_b32 exec_lo, exec_lo, s42
	s_mov_b32 s42, exec_lo
	v_cmpx_lt_u32_e32 0xffffff, v9
	s_cbranch_execz .LBB346_348
; %bb.341:                              ;   in Loop: Header=BB346_15 Depth=1
	v_cmp_ne_u32_sdwa s1, v9, v103 src0_sel:BYTE_3 src1_sel:DWORD
	v_bfrev_b32_e32 v37, 1
	s_and_saveexec_b32 s43, s1
	s_cbranch_execz .LBB346_347
; %bb.342:                              ;   in Loop: Header=BB346_15 Depth=1
	v_bfe_u32 v12, v9, 24, 7
	v_mov_b32_e32 v37, 0x7f800001
	s_mov_b32 s44, exec_lo
	v_cmpx_ne_u32_e32 0x7f, v12
	s_cbranch_execz .LBB346_346
; %bb.343:                              ;   in Loop: Header=BB346_15 Depth=1
	v_and_b32_sdwa v1, v9, v106 dst_sel:DWORD dst_unused:UNUSED_PAD src0_sel:BYTE_3 src1_sel:DWORD
	v_lshrrev_b32_e32 v11, 3, v12
	s_mov_b32 s45, exec_lo
	v_cmpx_gt_u32_e32 8, v12
; %bb.344:                              ;   in Loop: Header=BB346_15 Depth=1
	v_ffbh_u32_e32 v11, v1
	v_min_u32_e32 v11, 32, v11
	v_subrev_nc_u32_e32 v12, 28, v11
	v_sub_nc_u32_e32 v11, 29, v11
	v_lshlrev_b64 v[37:38], v12, v[1:2]
	v_and_b32_e32 v1, 7, v37
; %bb.345:                              ;   in Loop: Header=BB346_15 Depth=1
	s_or_b32 exec_lo, exec_lo, s45
	v_lshlrev_b32_sdwa v12, v107, v9 dst_sel:DWORD dst_unused:UNUSED_PAD src0_sel:DWORD src1_sel:BYTE_3
	v_lshlrev_b32_e32 v1, 20, v1
	v_lshl_add_u32 v11, v11, 23, 0x3c000000
	v_and_b32_e32 v12, 0x80000000, v12
	v_or3_b32 v37, v1, v12, v11
.LBB346_346:                            ;   in Loop: Header=BB346_15 Depth=1
	s_or_b32 exec_lo, exec_lo, s44
.LBB346_347:                            ;   in Loop: Header=BB346_15 Depth=1
	s_or_b32 exec_lo, exec_lo, s43
.LBB346_348:                            ;   in Loop: Header=BB346_15 Depth=1
	s_or_b32 exec_lo, exec_lo, s42
	v_mov_b32_e32 v1, v10
	v_cmp_ne_u16_sdwa s1, v10, v2 src0_sel:BYTE_0 src1_sel:DWORD
	v_mov_b32_e32 v38, 0
	v_mov_b32_e32 v39, 0
	s_and_saveexec_b32 s42, s1
	s_cbranch_execz .LBB346_354
; %bb.349:                              ;   in Loop: Header=BB346_15 Depth=1
	v_cmp_ne_u16_sdwa s1, v10, v103 src0_sel:BYTE_0 src1_sel:DWORD
	v_bfrev_b32_e32 v39, 1
	s_and_saveexec_b32 s43, s1
	s_cbranch_execz .LBB346_353
; %bb.350:                              ;   in Loop: Header=BB346_15 Depth=1
	v_and_b32_e32 v11, 0x7f, v10
	v_mov_b32_e32 v39, 0x7f800001
	s_mov_b32 s44, exec_lo
	v_cmpx_ne_u32_e32 0x7f, v11
	s_cbranch_execz .LBB346_352
; %bb.351:                              ;   in Loop: Header=BB346_15 Depth=1
	v_and_b32_e32 v12, 7, v10
	v_lshrrev_b32_e32 v39, 3, v11
	v_cmp_gt_u32_e64 s1, 8, v11
	v_ffbh_u32_e32 v11, v12
	v_min_u32_e32 v11, 32, v11
	v_subrev_nc_u32_e32 v12, 28, v11
	v_sub_nc_u32_e32 v11, 29, v11
	v_cndmask_b32_e64 v39, v39, v11, s1
	v_cndmask_b32_e64 v11, 0, v12, s1
	v_lshl_add_u32 v39, v39, 23, 0x3c000000
	v_lshlrev_b64 v[11:12], v11, v[1:2]
	v_lshlrev_b32_e32 v12, 24, v1
	v_lshlrev_b32_e32 v11, 20, v11
	v_and_b32_e32 v12, 0x80000000, v12
	v_and_b32_e32 v11, 0x700000, v11
	v_or3_b32 v39, v11, v12, v39
.LBB346_352:                            ;   in Loop: Header=BB346_15 Depth=1
	s_or_b32 exec_lo, exec_lo, s44
.LBB346_353:                            ;   in Loop: Header=BB346_15 Depth=1
	s_or_b32 exec_lo, exec_lo, s43
.LBB346_354:                            ;   in Loop: Header=BB346_15 Depth=1
	s_or_b32 exec_lo, exec_lo, s42
	v_cmp_ne_u16_sdwa s1, v1, v2 src0_sel:BYTE_1 src1_sel:DWORD
	s_and_saveexec_b32 s42, s1
	s_cbranch_execz .LBB346_362
; %bb.355:                              ;   in Loop: Header=BB346_15 Depth=1
	v_cmp_ne_u16_sdwa s1, v1, v103 src0_sel:BYTE_1 src1_sel:DWORD
	v_bfrev_b32_e32 v38, 1
	s_and_saveexec_b32 s43, s1
	s_cbranch_execz .LBB346_361
; %bb.356:                              ;   in Loop: Header=BB346_15 Depth=1
	v_and_b32_sdwa v11, v104, v1 dst_sel:DWORD dst_unused:UNUSED_PAD src0_sel:DWORD src1_sel:BYTE_1
	v_mov_b32_e32 v38, 0x7f800001
	s_mov_b32 s44, exec_lo
	v_and_b32_e32 v40, 0x7f, v11
	v_cmpx_ne_u32_e32 0x7f, v40
	s_cbranch_execz .LBB346_360
; %bb.357:                              ;   in Loop: Header=BB346_15 Depth=1
	v_and_b32_e32 v11, 7, v11
	v_mov_b32_e32 v12, v2
	v_lshrrev_b32_e32 v38, 3, v40
	s_mov_b32 s45, exec_lo
	v_cmpx_gt_u32_e32 8, v40
; %bb.358:                              ;   in Loop: Header=BB346_15 Depth=1
	v_ffbh_u32_e32 v38, v11
	v_min_u32_e32 v38, 32, v38
	v_subrev_nc_u32_e32 v40, 28, v38
	v_sub_nc_u32_e32 v38, 29, v38
	v_lshlrev_b64 v[11:12], v40, v[11:12]
	v_and_b32_e32 v11, 7, v11
; %bb.359:                              ;   in Loop: Header=BB346_15 Depth=1
	s_or_b32 exec_lo, exec_lo, s45
	v_lshlrev_b32_e32 v1, 16, v1
	v_lshlrev_b32_e32 v11, 20, v11
	v_lshl_add_u32 v12, v38, 23, 0x3c000000
	v_and_b32_e32 v1, 0x80000000, v1
	v_or3_b32 v38, v11, v1, v12
.LBB346_360:                            ;   in Loop: Header=BB346_15 Depth=1
	s_or_b32 exec_lo, exec_lo, s44
.LBB346_361:                            ;   in Loop: Header=BB346_15 Depth=1
	s_or_b32 exec_lo, exec_lo, s43
.LBB346_362:                            ;   in Loop: Header=BB346_15 Depth=1
	s_or_b32 exec_lo, exec_lo, s42
	v_and_b32_sdwa v1, v10, v105 dst_sel:DWORD dst_unused:UNUSED_PAD src0_sel:WORD_1 src1_sel:DWORD
	v_mov_b32_e32 v40, 0
	v_mov_b32_e32 v41, 0
	s_mov_b32 s42, exec_lo
	v_cmpx_ne_u16_e32 0, v1
	s_cbranch_execz .LBB346_370
; %bb.363:                              ;   in Loop: Header=BB346_15 Depth=1
	v_bfrev_b32_e32 v41, 1
	s_mov_b32 s43, exec_lo
	v_cmpx_ne_u16_e32 0x80, v1
	s_cbranch_execz .LBB346_369
; %bb.364:                              ;   in Loop: Header=BB346_15 Depth=1
	v_bfe_u32 v12, v10, 16, 7
	v_mov_b32_e32 v41, 0x7f800001
	s_mov_b32 s44, exec_lo
	v_cmpx_ne_u32_e32 0x7f, v12
	s_cbranch_execz .LBB346_368
; %bb.365:                              ;   in Loop: Header=BB346_15 Depth=1
	v_and_b32_sdwa v1, v10, v106 dst_sel:DWORD dst_unused:UNUSED_PAD src0_sel:WORD_1 src1_sel:DWORD
	v_lshrrev_b32_e32 v11, 3, v12
	s_mov_b32 s45, exec_lo
	v_cmpx_gt_u32_e32 8, v12
; %bb.366:                              ;   in Loop: Header=BB346_15 Depth=1
	v_ffbh_u32_e32 v11, v1
	v_min_u32_e32 v11, 32, v11
	v_subrev_nc_u32_e32 v12, 28, v11
	v_sub_nc_u32_e32 v11, 29, v11
	v_lshlrev_b64 v[41:42], v12, v[1:2]
	v_and_b32_e32 v1, 7, v41
; %bb.367:                              ;   in Loop: Header=BB346_15 Depth=1
	s_or_b32 exec_lo, exec_lo, s45
	v_lshlrev_b32_sdwa v12, v107, v10 dst_sel:DWORD dst_unused:UNUSED_PAD src0_sel:DWORD src1_sel:WORD_1
	v_lshlrev_b32_e32 v1, 20, v1
	v_lshl_add_u32 v11, v11, 23, 0x3c000000
	v_and_b32_e32 v12, 0x80000000, v12
	v_or3_b32 v41, v1, v12, v11
.LBB346_368:                            ;   in Loop: Header=BB346_15 Depth=1
	s_or_b32 exec_lo, exec_lo, s44
.LBB346_369:                            ;   in Loop: Header=BB346_15 Depth=1
	s_or_b32 exec_lo, exec_lo, s43
.LBB346_370:                            ;   in Loop: Header=BB346_15 Depth=1
	s_or_b32 exec_lo, exec_lo, s42
	s_mov_b32 s42, exec_lo
	v_cmpx_lt_u64_e64 s[4:5], v[9:10]
	s_cbranch_execz .LBB346_378
; %bb.371:                              ;   in Loop: Header=BB346_15 Depth=1
	v_cmp_ne_u32_sdwa s1, v10, v103 src0_sel:BYTE_3 src1_sel:DWORD
	v_bfrev_b32_e32 v40, 1
	s_and_saveexec_b32 s43, s1
	s_cbranch_execz .LBB346_377
; %bb.372:                              ;   in Loop: Header=BB346_15 Depth=1
	v_bfe_u32 v11, v10, 24, 7
	v_mov_b32_e32 v40, 0x7f800001
	s_mov_b32 s44, exec_lo
	v_cmpx_ne_u32_e32 0x7f, v11
	s_cbranch_execz .LBB346_376
; %bb.373:                              ;   in Loop: Header=BB346_15 Depth=1
	v_and_b32_sdwa v1, v10, v106 dst_sel:DWORD dst_unused:UNUSED_PAD src0_sel:BYTE_3 src1_sel:DWORD
	v_lshrrev_b32_e32 v9, 3, v11
	s_mov_b32 s45, exec_lo
	v_cmpx_gt_u32_e32 8, v11
; %bb.374:                              ;   in Loop: Header=BB346_15 Depth=1
	v_ffbh_u32_e32 v9, v1
	v_min_u32_e32 v9, 32, v9
	v_subrev_nc_u32_e32 v11, 28, v9
	v_sub_nc_u32_e32 v9, 29, v9
	v_lshlrev_b64 v[11:12], v11, v[1:2]
	v_and_b32_e32 v1, 7, v11
; %bb.375:                              ;   in Loop: Header=BB346_15 Depth=1
	s_or_b32 exec_lo, exec_lo, s45
	v_lshlrev_b32_sdwa v10, v107, v10 dst_sel:DWORD dst_unused:UNUSED_PAD src0_sel:DWORD src1_sel:BYTE_3
	v_lshlrev_b32_e32 v1, 20, v1
	v_lshl_add_u32 v9, v9, 23, 0x3c000000
	v_and_b32_e32 v10, 0x80000000, v10
	v_or3_b32 v40, v1, v10, v9
.LBB346_376:                            ;   in Loop: Header=BB346_15 Depth=1
	s_or_b32 exec_lo, exec_lo, s44
.LBB346_377:                            ;   in Loop: Header=BB346_15 Depth=1
	s_or_b32 exec_lo, exec_lo, s43
.LBB346_378:                            ;   in Loop: Header=BB346_15 Depth=1
	s_or_b32 exec_lo, exec_lo, s42
	global_load_dwordx2 v[9:10], v[7:8], off offset:1536
	v_mov_b32_e32 v42, 0
	v_mov_b32_e32 v43, 0
	s_waitcnt vmcnt(0)
	v_cmp_ne_u16_sdwa s1, v9, v2 src0_sel:BYTE_0 src1_sel:DWORD
	s_and_saveexec_b32 s42, s1
	s_cbranch_execz .LBB346_384
; %bb.379:                              ;   in Loop: Header=BB346_15 Depth=1
	v_cmp_ne_u16_sdwa s1, v9, v103 src0_sel:BYTE_0 src1_sel:DWORD
	v_bfrev_b32_e32 v43, 1
	s_and_saveexec_b32 s43, s1
	s_cbranch_execz .LBB346_383
; %bb.380:                              ;   in Loop: Header=BB346_15 Depth=1
	v_and_b32_e32 v1, 0x7f, v9
	v_mov_b32_e32 v43, 0x7f800001
	s_mov_b32 s44, exec_lo
	v_cmpx_ne_u32_e32 0x7f, v1
	s_cbranch_execz .LBB346_382
; %bb.381:                              ;   in Loop: Header=BB346_15 Depth=1
	v_and_b32_e32 v11, 7, v9
	v_lshrrev_b32_e32 v12, 3, v1
	v_cmp_gt_u32_e64 s1, 8, v1
	v_ffbh_u32_e32 v1, v11
	v_min_u32_e32 v1, 32, v1
	v_subrev_nc_u32_e32 v11, 28, v1
	v_sub_nc_u32_e32 v1, 29, v1
	v_cndmask_b32_e64 v11, 0, v11, s1
	v_cndmask_b32_e64 v1, v12, v1, s1
	v_lshlrev_b64 v[11:12], v11, v[9:10]
	v_lshlrev_b32_e32 v12, 24, v9
	v_lshl_add_u32 v1, v1, 23, 0x3c000000
	v_lshlrev_b32_e32 v11, 20, v11
	v_and_b32_e32 v12, 0x80000000, v12
	v_and_b32_e32 v11, 0x700000, v11
	v_or3_b32 v43, v11, v12, v1
.LBB346_382:                            ;   in Loop: Header=BB346_15 Depth=1
	s_or_b32 exec_lo, exec_lo, s44
.LBB346_383:                            ;   in Loop: Header=BB346_15 Depth=1
	s_or_b32 exec_lo, exec_lo, s43
.LBB346_384:                            ;   in Loop: Header=BB346_15 Depth=1
	s_or_b32 exec_lo, exec_lo, s42
	v_cmp_ne_u16_sdwa s1, v9, v2 src0_sel:BYTE_1 src1_sel:DWORD
	s_and_saveexec_b32 s42, s1
	s_cbranch_execz .LBB346_392
; %bb.385:                              ;   in Loop: Header=BB346_15 Depth=1
	v_cmp_ne_u16_sdwa s1, v9, v103 src0_sel:BYTE_1 src1_sel:DWORD
	v_bfrev_b32_e32 v42, 1
	s_and_saveexec_b32 s43, s1
	s_cbranch_execz .LBB346_391
; %bb.386:                              ;   in Loop: Header=BB346_15 Depth=1
	v_and_b32_sdwa v1, v104, v9 dst_sel:DWORD dst_unused:UNUSED_PAD src0_sel:DWORD src1_sel:BYTE_1
	v_mov_b32_e32 v42, 0x7f800001
	s_mov_b32 s44, exec_lo
	v_and_b32_e32 v12, 0x7f, v1
	v_cmpx_ne_u32_e32 0x7f, v12
	s_cbranch_execz .LBB346_390
; %bb.387:                              ;   in Loop: Header=BB346_15 Depth=1
	v_and_b32_e32 v1, 7, v1
	v_lshrrev_b32_e32 v11, 3, v12
	s_mov_b32 s45, exec_lo
	v_cmpx_gt_u32_e32 8, v12
; %bb.388:                              ;   in Loop: Header=BB346_15 Depth=1
	v_ffbh_u32_e32 v11, v1
	v_min_u32_e32 v11, 32, v11
	v_subrev_nc_u32_e32 v12, 28, v11
	v_sub_nc_u32_e32 v11, 29, v11
	v_lshlrev_b64 v[44:45], v12, v[1:2]
	v_and_b32_e32 v1, 7, v44
; %bb.389:                              ;   in Loop: Header=BB346_15 Depth=1
	s_or_b32 exec_lo, exec_lo, s45
	v_lshlrev_b32_e32 v12, 16, v9
	v_lshlrev_b32_e32 v1, 20, v1
	v_lshl_add_u32 v11, v11, 23, 0x3c000000
	v_and_b32_e32 v12, 0x80000000, v12
	v_or3_b32 v42, v1, v12, v11
.LBB346_390:                            ;   in Loop: Header=BB346_15 Depth=1
	s_or_b32 exec_lo, exec_lo, s44
.LBB346_391:                            ;   in Loop: Header=BB346_15 Depth=1
	s_or_b32 exec_lo, exec_lo, s43
.LBB346_392:                            ;   in Loop: Header=BB346_15 Depth=1
	s_or_b32 exec_lo, exec_lo, s42
	v_and_b32_sdwa v1, v9, v105 dst_sel:DWORD dst_unused:UNUSED_PAD src0_sel:WORD_1 src1_sel:DWORD
	v_mov_b32_e32 v45, 0
	v_mov_b32_e32 v44, 0
	s_mov_b32 s42, exec_lo
	v_cmpx_ne_u16_e32 0, v1
	s_cbranch_execz .LBB346_400
; %bb.393:                              ;   in Loop: Header=BB346_15 Depth=1
	v_bfrev_b32_e32 v44, 1
	s_mov_b32 s43, exec_lo
	v_cmpx_ne_u16_e32 0x80, v1
	s_cbranch_execz .LBB346_399
; %bb.394:                              ;   in Loop: Header=BB346_15 Depth=1
	v_bfe_u32 v12, v9, 16, 7
	v_mov_b32_e32 v44, 0x7f800001
	s_mov_b32 s44, exec_lo
	v_cmpx_ne_u32_e32 0x7f, v12
	s_cbranch_execz .LBB346_398
; %bb.395:                              ;   in Loop: Header=BB346_15 Depth=1
	v_and_b32_sdwa v1, v9, v106 dst_sel:DWORD dst_unused:UNUSED_PAD src0_sel:WORD_1 src1_sel:DWORD
	v_lshrrev_b32_e32 v11, 3, v12
	s_mov_b32 s45, exec_lo
	v_cmpx_gt_u32_e32 8, v12
; %bb.396:                              ;   in Loop: Header=BB346_15 Depth=1
	v_ffbh_u32_e32 v11, v1
	v_min_u32_e32 v11, 32, v11
	v_subrev_nc_u32_e32 v12, 28, v11
	v_sub_nc_u32_e32 v11, 29, v11
	v_lshlrev_b64 v[46:47], v12, v[1:2]
	v_and_b32_e32 v1, 7, v46
; %bb.397:                              ;   in Loop: Header=BB346_15 Depth=1
	s_or_b32 exec_lo, exec_lo, s45
	v_lshlrev_b32_sdwa v12, v107, v9 dst_sel:DWORD dst_unused:UNUSED_PAD src0_sel:DWORD src1_sel:WORD_1
	v_lshlrev_b32_e32 v1, 20, v1
	v_lshl_add_u32 v11, v11, 23, 0x3c000000
	v_and_b32_e32 v12, 0x80000000, v12
	v_or3_b32 v44, v1, v12, v11
.LBB346_398:                            ;   in Loop: Header=BB346_15 Depth=1
	s_or_b32 exec_lo, exec_lo, s44
.LBB346_399:                            ;   in Loop: Header=BB346_15 Depth=1
	s_or_b32 exec_lo, exec_lo, s43
.LBB346_400:                            ;   in Loop: Header=BB346_15 Depth=1
	s_or_b32 exec_lo, exec_lo, s42
	s_mov_b32 s42, exec_lo
	v_cmpx_lt_u32_e32 0xffffff, v9
	s_cbranch_execz .LBB346_408
; %bb.401:                              ;   in Loop: Header=BB346_15 Depth=1
	v_cmp_ne_u32_sdwa s1, v9, v103 src0_sel:BYTE_3 src1_sel:DWORD
	v_bfrev_b32_e32 v45, 1
	s_and_saveexec_b32 s43, s1
	s_cbranch_execz .LBB346_407
; %bb.402:                              ;   in Loop: Header=BB346_15 Depth=1
	v_bfe_u32 v12, v9, 24, 7
	v_mov_b32_e32 v45, 0x7f800001
	s_mov_b32 s44, exec_lo
	v_cmpx_ne_u32_e32 0x7f, v12
	s_cbranch_execz .LBB346_406
; %bb.403:                              ;   in Loop: Header=BB346_15 Depth=1
	v_and_b32_sdwa v1, v9, v106 dst_sel:DWORD dst_unused:UNUSED_PAD src0_sel:BYTE_3 src1_sel:DWORD
	v_lshrrev_b32_e32 v11, 3, v12
	s_mov_b32 s45, exec_lo
	v_cmpx_gt_u32_e32 8, v12
; %bb.404:                              ;   in Loop: Header=BB346_15 Depth=1
	v_ffbh_u32_e32 v11, v1
	v_min_u32_e32 v11, 32, v11
	v_subrev_nc_u32_e32 v12, 28, v11
	v_sub_nc_u32_e32 v11, 29, v11
	v_lshlrev_b64 v[45:46], v12, v[1:2]
	v_and_b32_e32 v1, 7, v45
; %bb.405:                              ;   in Loop: Header=BB346_15 Depth=1
	s_or_b32 exec_lo, exec_lo, s45
	v_lshlrev_b32_sdwa v12, v107, v9 dst_sel:DWORD dst_unused:UNUSED_PAD src0_sel:DWORD src1_sel:BYTE_3
	v_lshlrev_b32_e32 v1, 20, v1
	v_lshl_add_u32 v11, v11, 23, 0x3c000000
	v_and_b32_e32 v12, 0x80000000, v12
	v_or3_b32 v45, v1, v12, v11
.LBB346_406:                            ;   in Loop: Header=BB346_15 Depth=1
	s_or_b32 exec_lo, exec_lo, s44
.LBB346_407:                            ;   in Loop: Header=BB346_15 Depth=1
	s_or_b32 exec_lo, exec_lo, s43
.LBB346_408:                            ;   in Loop: Header=BB346_15 Depth=1
	s_or_b32 exec_lo, exec_lo, s42
	v_mov_b32_e32 v1, v10
	v_cmp_ne_u16_sdwa s1, v10, v2 src0_sel:BYTE_0 src1_sel:DWORD
	v_mov_b32_e32 v46, 0
	v_mov_b32_e32 v47, 0
	s_and_saveexec_b32 s42, s1
	s_cbranch_execz .LBB346_414
; %bb.409:                              ;   in Loop: Header=BB346_15 Depth=1
	v_cmp_ne_u16_sdwa s1, v10, v103 src0_sel:BYTE_0 src1_sel:DWORD
	v_bfrev_b32_e32 v47, 1
	s_and_saveexec_b32 s43, s1
	s_cbranch_execz .LBB346_413
; %bb.410:                              ;   in Loop: Header=BB346_15 Depth=1
	v_and_b32_e32 v11, 0x7f, v10
	v_mov_b32_e32 v47, 0x7f800001
	s_mov_b32 s44, exec_lo
	v_cmpx_ne_u32_e32 0x7f, v11
	s_cbranch_execz .LBB346_412
; %bb.411:                              ;   in Loop: Header=BB346_15 Depth=1
	v_and_b32_e32 v12, 7, v10
	v_lshrrev_b32_e32 v47, 3, v11
	v_cmp_gt_u32_e64 s1, 8, v11
	v_ffbh_u32_e32 v11, v12
	v_min_u32_e32 v11, 32, v11
	v_subrev_nc_u32_e32 v12, 28, v11
	v_sub_nc_u32_e32 v11, 29, v11
	v_cndmask_b32_e64 v47, v47, v11, s1
	v_cndmask_b32_e64 v11, 0, v12, s1
	v_lshl_add_u32 v47, v47, 23, 0x3c000000
	v_lshlrev_b64 v[11:12], v11, v[1:2]
	v_lshlrev_b32_e32 v12, 24, v1
	v_lshlrev_b32_e32 v11, 20, v11
	v_and_b32_e32 v12, 0x80000000, v12
	v_and_b32_e32 v11, 0x700000, v11
	v_or3_b32 v47, v11, v12, v47
.LBB346_412:                            ;   in Loop: Header=BB346_15 Depth=1
	s_or_b32 exec_lo, exec_lo, s44
.LBB346_413:                            ;   in Loop: Header=BB346_15 Depth=1
	s_or_b32 exec_lo, exec_lo, s43
.LBB346_414:                            ;   in Loop: Header=BB346_15 Depth=1
	s_or_b32 exec_lo, exec_lo, s42
	v_cmp_ne_u16_sdwa s1, v1, v2 src0_sel:BYTE_1 src1_sel:DWORD
	s_and_saveexec_b32 s42, s1
	s_cbranch_execz .LBB346_422
; %bb.415:                              ;   in Loop: Header=BB346_15 Depth=1
	v_cmp_ne_u16_sdwa s1, v1, v103 src0_sel:BYTE_1 src1_sel:DWORD
	v_bfrev_b32_e32 v46, 1
	s_and_saveexec_b32 s43, s1
	s_cbranch_execz .LBB346_421
; %bb.416:                              ;   in Loop: Header=BB346_15 Depth=1
	v_and_b32_sdwa v11, v104, v1 dst_sel:DWORD dst_unused:UNUSED_PAD src0_sel:DWORD src1_sel:BYTE_1
	v_mov_b32_e32 v46, 0x7f800001
	s_mov_b32 s44, exec_lo
	v_and_b32_e32 v48, 0x7f, v11
	v_cmpx_ne_u32_e32 0x7f, v48
	s_cbranch_execz .LBB346_420
; %bb.417:                              ;   in Loop: Header=BB346_15 Depth=1
	v_and_b32_e32 v11, 7, v11
	v_mov_b32_e32 v12, v2
	v_lshrrev_b32_e32 v46, 3, v48
	s_mov_b32 s45, exec_lo
	v_cmpx_gt_u32_e32 8, v48
; %bb.418:                              ;   in Loop: Header=BB346_15 Depth=1
	v_ffbh_u32_e32 v46, v11
	v_min_u32_e32 v46, 32, v46
	v_subrev_nc_u32_e32 v48, 28, v46
	v_sub_nc_u32_e32 v46, 29, v46
	v_lshlrev_b64 v[11:12], v48, v[11:12]
	v_and_b32_e32 v11, 7, v11
; %bb.419:                              ;   in Loop: Header=BB346_15 Depth=1
	s_or_b32 exec_lo, exec_lo, s45
	v_lshlrev_b32_e32 v1, 16, v1
	v_lshlrev_b32_e32 v11, 20, v11
	v_lshl_add_u32 v12, v46, 23, 0x3c000000
	v_and_b32_e32 v1, 0x80000000, v1
	v_or3_b32 v46, v11, v1, v12
.LBB346_420:                            ;   in Loop: Header=BB346_15 Depth=1
	s_or_b32 exec_lo, exec_lo, s44
.LBB346_421:                            ;   in Loop: Header=BB346_15 Depth=1
	s_or_b32 exec_lo, exec_lo, s43
.LBB346_422:                            ;   in Loop: Header=BB346_15 Depth=1
	s_or_b32 exec_lo, exec_lo, s42
	v_and_b32_sdwa v1, v10, v105 dst_sel:DWORD dst_unused:UNUSED_PAD src0_sel:WORD_1 src1_sel:DWORD
	v_mov_b32_e32 v48, 0
	v_mov_b32_e32 v49, 0
	s_mov_b32 s42, exec_lo
	v_cmpx_ne_u16_e32 0, v1
	s_cbranch_execz .LBB346_430
; %bb.423:                              ;   in Loop: Header=BB346_15 Depth=1
	v_bfrev_b32_e32 v49, 1
	s_mov_b32 s43, exec_lo
	v_cmpx_ne_u16_e32 0x80, v1
	s_cbranch_execz .LBB346_429
; %bb.424:                              ;   in Loop: Header=BB346_15 Depth=1
	v_bfe_u32 v12, v10, 16, 7
	v_mov_b32_e32 v49, 0x7f800001
	s_mov_b32 s44, exec_lo
	v_cmpx_ne_u32_e32 0x7f, v12
	s_cbranch_execz .LBB346_428
; %bb.425:                              ;   in Loop: Header=BB346_15 Depth=1
	v_and_b32_sdwa v1, v10, v106 dst_sel:DWORD dst_unused:UNUSED_PAD src0_sel:WORD_1 src1_sel:DWORD
	v_lshrrev_b32_e32 v11, 3, v12
	s_mov_b32 s45, exec_lo
	v_cmpx_gt_u32_e32 8, v12
; %bb.426:                              ;   in Loop: Header=BB346_15 Depth=1
	v_ffbh_u32_e32 v11, v1
	v_min_u32_e32 v11, 32, v11
	v_subrev_nc_u32_e32 v12, 28, v11
	v_sub_nc_u32_e32 v11, 29, v11
	v_lshlrev_b64 v[49:50], v12, v[1:2]
	v_and_b32_e32 v1, 7, v49
; %bb.427:                              ;   in Loop: Header=BB346_15 Depth=1
	s_or_b32 exec_lo, exec_lo, s45
	v_lshlrev_b32_sdwa v12, v107, v10 dst_sel:DWORD dst_unused:UNUSED_PAD src0_sel:DWORD src1_sel:WORD_1
	v_lshlrev_b32_e32 v1, 20, v1
	v_lshl_add_u32 v11, v11, 23, 0x3c000000
	v_and_b32_e32 v12, 0x80000000, v12
	v_or3_b32 v49, v1, v12, v11
.LBB346_428:                            ;   in Loop: Header=BB346_15 Depth=1
	s_or_b32 exec_lo, exec_lo, s44
.LBB346_429:                            ;   in Loop: Header=BB346_15 Depth=1
	s_or_b32 exec_lo, exec_lo, s43
.LBB346_430:                            ;   in Loop: Header=BB346_15 Depth=1
	s_or_b32 exec_lo, exec_lo, s42
	s_mov_b32 s42, exec_lo
	v_cmpx_lt_u64_e64 s[4:5], v[9:10]
	s_cbranch_execz .LBB346_438
; %bb.431:                              ;   in Loop: Header=BB346_15 Depth=1
	v_cmp_ne_u32_sdwa s1, v10, v103 src0_sel:BYTE_3 src1_sel:DWORD
	v_bfrev_b32_e32 v48, 1
	s_and_saveexec_b32 s43, s1
	s_cbranch_execz .LBB346_437
; %bb.432:                              ;   in Loop: Header=BB346_15 Depth=1
	v_bfe_u32 v11, v10, 24, 7
	v_mov_b32_e32 v48, 0x7f800001
	s_mov_b32 s44, exec_lo
	v_cmpx_ne_u32_e32 0x7f, v11
	s_cbranch_execz .LBB346_436
; %bb.433:                              ;   in Loop: Header=BB346_15 Depth=1
	v_and_b32_sdwa v1, v10, v106 dst_sel:DWORD dst_unused:UNUSED_PAD src0_sel:BYTE_3 src1_sel:DWORD
	v_lshrrev_b32_e32 v9, 3, v11
	s_mov_b32 s45, exec_lo
	v_cmpx_gt_u32_e32 8, v11
; %bb.434:                              ;   in Loop: Header=BB346_15 Depth=1
	v_ffbh_u32_e32 v9, v1
	v_min_u32_e32 v9, 32, v9
	v_subrev_nc_u32_e32 v11, 28, v9
	v_sub_nc_u32_e32 v9, 29, v9
	v_lshlrev_b64 v[11:12], v11, v[1:2]
	v_and_b32_e32 v1, 7, v11
; %bb.435:                              ;   in Loop: Header=BB346_15 Depth=1
	s_or_b32 exec_lo, exec_lo, s45
	v_lshlrev_b32_sdwa v10, v107, v10 dst_sel:DWORD dst_unused:UNUSED_PAD src0_sel:DWORD src1_sel:BYTE_3
	v_lshlrev_b32_e32 v1, 20, v1
	v_lshl_add_u32 v9, v9, 23, 0x3c000000
	v_and_b32_e32 v10, 0x80000000, v10
	v_or3_b32 v48, v1, v10, v9
.LBB346_436:                            ;   in Loop: Header=BB346_15 Depth=1
	s_or_b32 exec_lo, exec_lo, s44
.LBB346_437:                            ;   in Loop: Header=BB346_15 Depth=1
	s_or_b32 exec_lo, exec_lo, s43
.LBB346_438:                            ;   in Loop: Header=BB346_15 Depth=1
	s_or_b32 exec_lo, exec_lo, s42
	global_load_dwordx2 v[9:10], v[7:8], off offset:1544
	v_mov_b32_e32 v50, 0
	v_mov_b32_e32 v51, 0
	s_waitcnt vmcnt(0)
	v_cmp_ne_u16_sdwa s1, v9, v2 src0_sel:BYTE_0 src1_sel:DWORD
	s_and_saveexec_b32 s42, s1
	s_cbranch_execz .LBB346_444
; %bb.439:                              ;   in Loop: Header=BB346_15 Depth=1
	v_cmp_ne_u16_sdwa s1, v9, v103 src0_sel:BYTE_0 src1_sel:DWORD
	v_bfrev_b32_e32 v51, 1
	s_and_saveexec_b32 s43, s1
	s_cbranch_execz .LBB346_443
; %bb.440:                              ;   in Loop: Header=BB346_15 Depth=1
	v_and_b32_e32 v1, 0x7f, v9
	v_mov_b32_e32 v51, 0x7f800001
	s_mov_b32 s44, exec_lo
	v_cmpx_ne_u32_e32 0x7f, v1
	s_cbranch_execz .LBB346_442
; %bb.441:                              ;   in Loop: Header=BB346_15 Depth=1
	v_and_b32_e32 v11, 7, v9
	v_lshrrev_b32_e32 v12, 3, v1
	v_cmp_gt_u32_e64 s1, 8, v1
	v_ffbh_u32_e32 v1, v11
	v_min_u32_e32 v1, 32, v1
	v_subrev_nc_u32_e32 v11, 28, v1
	v_sub_nc_u32_e32 v1, 29, v1
	v_cndmask_b32_e64 v11, 0, v11, s1
	v_cndmask_b32_e64 v1, v12, v1, s1
	v_lshlrev_b64 v[11:12], v11, v[9:10]
	v_lshlrev_b32_e32 v12, 24, v9
	v_lshl_add_u32 v1, v1, 23, 0x3c000000
	v_lshlrev_b32_e32 v11, 20, v11
	v_and_b32_e32 v12, 0x80000000, v12
	v_and_b32_e32 v11, 0x700000, v11
	v_or3_b32 v51, v11, v12, v1
.LBB346_442:                            ;   in Loop: Header=BB346_15 Depth=1
	s_or_b32 exec_lo, exec_lo, s44
.LBB346_443:                            ;   in Loop: Header=BB346_15 Depth=1
	s_or_b32 exec_lo, exec_lo, s43
.LBB346_444:                            ;   in Loop: Header=BB346_15 Depth=1
	s_or_b32 exec_lo, exec_lo, s42
	v_cmp_ne_u16_sdwa s1, v9, v2 src0_sel:BYTE_1 src1_sel:DWORD
	s_and_saveexec_b32 s42, s1
	s_cbranch_execz .LBB346_452
; %bb.445:                              ;   in Loop: Header=BB346_15 Depth=1
	v_cmp_ne_u16_sdwa s1, v9, v103 src0_sel:BYTE_1 src1_sel:DWORD
	v_bfrev_b32_e32 v50, 1
	s_and_saveexec_b32 s43, s1
	s_cbranch_execz .LBB346_451
; %bb.446:                              ;   in Loop: Header=BB346_15 Depth=1
	v_and_b32_sdwa v1, v104, v9 dst_sel:DWORD dst_unused:UNUSED_PAD src0_sel:DWORD src1_sel:BYTE_1
	v_mov_b32_e32 v50, 0x7f800001
	s_mov_b32 s44, exec_lo
	v_and_b32_e32 v12, 0x7f, v1
	v_cmpx_ne_u32_e32 0x7f, v12
	s_cbranch_execz .LBB346_450
; %bb.447:                              ;   in Loop: Header=BB346_15 Depth=1
	v_and_b32_e32 v1, 7, v1
	v_lshrrev_b32_e32 v11, 3, v12
	s_mov_b32 s45, exec_lo
	v_cmpx_gt_u32_e32 8, v12
; %bb.448:                              ;   in Loop: Header=BB346_15 Depth=1
	v_ffbh_u32_e32 v11, v1
	v_min_u32_e32 v11, 32, v11
	v_subrev_nc_u32_e32 v12, 28, v11
	v_sub_nc_u32_e32 v11, 29, v11
	v_lshlrev_b64 v[52:53], v12, v[1:2]
	v_and_b32_e32 v1, 7, v52
; %bb.449:                              ;   in Loop: Header=BB346_15 Depth=1
	s_or_b32 exec_lo, exec_lo, s45
	v_lshlrev_b32_e32 v12, 16, v9
	v_lshlrev_b32_e32 v1, 20, v1
	v_lshl_add_u32 v11, v11, 23, 0x3c000000
	v_and_b32_e32 v12, 0x80000000, v12
	v_or3_b32 v50, v1, v12, v11
.LBB346_450:                            ;   in Loop: Header=BB346_15 Depth=1
	s_or_b32 exec_lo, exec_lo, s44
.LBB346_451:                            ;   in Loop: Header=BB346_15 Depth=1
	s_or_b32 exec_lo, exec_lo, s43
.LBB346_452:                            ;   in Loop: Header=BB346_15 Depth=1
	s_or_b32 exec_lo, exec_lo, s42
	v_and_b32_sdwa v1, v9, v105 dst_sel:DWORD dst_unused:UNUSED_PAD src0_sel:WORD_1 src1_sel:DWORD
	v_mov_b32_e32 v53, 0
	v_mov_b32_e32 v52, 0
	s_mov_b32 s42, exec_lo
	v_cmpx_ne_u16_e32 0, v1
	s_cbranch_execz .LBB346_460
; %bb.453:                              ;   in Loop: Header=BB346_15 Depth=1
	v_bfrev_b32_e32 v52, 1
	s_mov_b32 s43, exec_lo
	v_cmpx_ne_u16_e32 0x80, v1
	s_cbranch_execz .LBB346_459
; %bb.454:                              ;   in Loop: Header=BB346_15 Depth=1
	v_bfe_u32 v12, v9, 16, 7
	v_mov_b32_e32 v52, 0x7f800001
	s_mov_b32 s44, exec_lo
	v_cmpx_ne_u32_e32 0x7f, v12
	s_cbranch_execz .LBB346_458
; %bb.455:                              ;   in Loop: Header=BB346_15 Depth=1
	v_and_b32_sdwa v1, v9, v106 dst_sel:DWORD dst_unused:UNUSED_PAD src0_sel:WORD_1 src1_sel:DWORD
	v_lshrrev_b32_e32 v11, 3, v12
	s_mov_b32 s45, exec_lo
	v_cmpx_gt_u32_e32 8, v12
; %bb.456:                              ;   in Loop: Header=BB346_15 Depth=1
	v_ffbh_u32_e32 v11, v1
	v_min_u32_e32 v11, 32, v11
	v_subrev_nc_u32_e32 v12, 28, v11
	v_sub_nc_u32_e32 v11, 29, v11
	v_lshlrev_b64 v[54:55], v12, v[1:2]
	v_and_b32_e32 v1, 7, v54
; %bb.457:                              ;   in Loop: Header=BB346_15 Depth=1
	s_or_b32 exec_lo, exec_lo, s45
	v_lshlrev_b32_sdwa v12, v107, v9 dst_sel:DWORD dst_unused:UNUSED_PAD src0_sel:DWORD src1_sel:WORD_1
	v_lshlrev_b32_e32 v1, 20, v1
	v_lshl_add_u32 v11, v11, 23, 0x3c000000
	v_and_b32_e32 v12, 0x80000000, v12
	v_or3_b32 v52, v1, v12, v11
.LBB346_458:                            ;   in Loop: Header=BB346_15 Depth=1
	s_or_b32 exec_lo, exec_lo, s44
.LBB346_459:                            ;   in Loop: Header=BB346_15 Depth=1
	s_or_b32 exec_lo, exec_lo, s43
.LBB346_460:                            ;   in Loop: Header=BB346_15 Depth=1
	s_or_b32 exec_lo, exec_lo, s42
	s_mov_b32 s42, exec_lo
	v_cmpx_lt_u32_e32 0xffffff, v9
	s_cbranch_execz .LBB346_468
; %bb.461:                              ;   in Loop: Header=BB346_15 Depth=1
	v_cmp_ne_u32_sdwa s1, v9, v103 src0_sel:BYTE_3 src1_sel:DWORD
	v_bfrev_b32_e32 v53, 1
	s_and_saveexec_b32 s43, s1
	s_cbranch_execz .LBB346_467
; %bb.462:                              ;   in Loop: Header=BB346_15 Depth=1
	v_bfe_u32 v12, v9, 24, 7
	v_mov_b32_e32 v53, 0x7f800001
	s_mov_b32 s44, exec_lo
	v_cmpx_ne_u32_e32 0x7f, v12
	s_cbranch_execz .LBB346_466
; %bb.463:                              ;   in Loop: Header=BB346_15 Depth=1
	v_and_b32_sdwa v1, v9, v106 dst_sel:DWORD dst_unused:UNUSED_PAD src0_sel:BYTE_3 src1_sel:DWORD
	v_lshrrev_b32_e32 v11, 3, v12
	s_mov_b32 s45, exec_lo
	v_cmpx_gt_u32_e32 8, v12
; %bb.464:                              ;   in Loop: Header=BB346_15 Depth=1
	v_ffbh_u32_e32 v11, v1
	v_min_u32_e32 v11, 32, v11
	v_subrev_nc_u32_e32 v12, 28, v11
	v_sub_nc_u32_e32 v11, 29, v11
	v_lshlrev_b64 v[53:54], v12, v[1:2]
	v_and_b32_e32 v1, 7, v53
; %bb.465:                              ;   in Loop: Header=BB346_15 Depth=1
	s_or_b32 exec_lo, exec_lo, s45
	v_lshlrev_b32_sdwa v12, v107, v9 dst_sel:DWORD dst_unused:UNUSED_PAD src0_sel:DWORD src1_sel:BYTE_3
	v_lshlrev_b32_e32 v1, 20, v1
	v_lshl_add_u32 v11, v11, 23, 0x3c000000
	v_and_b32_e32 v12, 0x80000000, v12
	v_or3_b32 v53, v1, v12, v11
.LBB346_466:                            ;   in Loop: Header=BB346_15 Depth=1
	s_or_b32 exec_lo, exec_lo, s44
.LBB346_467:                            ;   in Loop: Header=BB346_15 Depth=1
	s_or_b32 exec_lo, exec_lo, s43
.LBB346_468:                            ;   in Loop: Header=BB346_15 Depth=1
	s_or_b32 exec_lo, exec_lo, s42
	v_mov_b32_e32 v1, v10
	v_cmp_ne_u16_sdwa s1, v10, v2 src0_sel:BYTE_0 src1_sel:DWORD
	v_mov_b32_e32 v54, 0
	v_mov_b32_e32 v55, 0
	s_and_saveexec_b32 s42, s1
	s_cbranch_execz .LBB346_474
; %bb.469:                              ;   in Loop: Header=BB346_15 Depth=1
	v_cmp_ne_u16_sdwa s1, v10, v103 src0_sel:BYTE_0 src1_sel:DWORD
	v_bfrev_b32_e32 v55, 1
	s_and_saveexec_b32 s43, s1
	s_cbranch_execz .LBB346_473
; %bb.470:                              ;   in Loop: Header=BB346_15 Depth=1
	v_and_b32_e32 v11, 0x7f, v10
	v_mov_b32_e32 v55, 0x7f800001
	s_mov_b32 s44, exec_lo
	v_cmpx_ne_u32_e32 0x7f, v11
	s_cbranch_execz .LBB346_472
; %bb.471:                              ;   in Loop: Header=BB346_15 Depth=1
	v_and_b32_e32 v12, 7, v10
	v_lshrrev_b32_e32 v55, 3, v11
	v_cmp_gt_u32_e64 s1, 8, v11
	v_ffbh_u32_e32 v11, v12
	v_min_u32_e32 v11, 32, v11
	v_subrev_nc_u32_e32 v12, 28, v11
	v_sub_nc_u32_e32 v11, 29, v11
	v_cndmask_b32_e64 v55, v55, v11, s1
	v_cndmask_b32_e64 v11, 0, v12, s1
	v_lshl_add_u32 v55, v55, 23, 0x3c000000
	v_lshlrev_b64 v[11:12], v11, v[1:2]
	v_lshlrev_b32_e32 v12, 24, v1
	v_lshlrev_b32_e32 v11, 20, v11
	v_and_b32_e32 v12, 0x80000000, v12
	v_and_b32_e32 v11, 0x700000, v11
	v_or3_b32 v55, v11, v12, v55
.LBB346_472:                            ;   in Loop: Header=BB346_15 Depth=1
	s_or_b32 exec_lo, exec_lo, s44
.LBB346_473:                            ;   in Loop: Header=BB346_15 Depth=1
	s_or_b32 exec_lo, exec_lo, s43
.LBB346_474:                            ;   in Loop: Header=BB346_15 Depth=1
	s_or_b32 exec_lo, exec_lo, s42
	v_cmp_ne_u16_sdwa s1, v1, v2 src0_sel:BYTE_1 src1_sel:DWORD
	s_and_saveexec_b32 s42, s1
	s_cbranch_execz .LBB346_482
; %bb.475:                              ;   in Loop: Header=BB346_15 Depth=1
	v_cmp_ne_u16_sdwa s1, v1, v103 src0_sel:BYTE_1 src1_sel:DWORD
	v_bfrev_b32_e32 v54, 1
	s_and_saveexec_b32 s43, s1
	s_cbranch_execz .LBB346_481
; %bb.476:                              ;   in Loop: Header=BB346_15 Depth=1
	v_and_b32_sdwa v11, v104, v1 dst_sel:DWORD dst_unused:UNUSED_PAD src0_sel:DWORD src1_sel:BYTE_1
	v_mov_b32_e32 v54, 0x7f800001
	s_mov_b32 s44, exec_lo
	v_and_b32_e32 v56, 0x7f, v11
	v_cmpx_ne_u32_e32 0x7f, v56
	s_cbranch_execz .LBB346_480
; %bb.477:                              ;   in Loop: Header=BB346_15 Depth=1
	v_and_b32_e32 v11, 7, v11
	v_mov_b32_e32 v12, v2
	v_lshrrev_b32_e32 v54, 3, v56
	s_mov_b32 s45, exec_lo
	v_cmpx_gt_u32_e32 8, v56
; %bb.478:                              ;   in Loop: Header=BB346_15 Depth=1
	v_ffbh_u32_e32 v54, v11
	v_min_u32_e32 v54, 32, v54
	v_subrev_nc_u32_e32 v56, 28, v54
	v_sub_nc_u32_e32 v54, 29, v54
	v_lshlrev_b64 v[11:12], v56, v[11:12]
	v_and_b32_e32 v11, 7, v11
; %bb.479:                              ;   in Loop: Header=BB346_15 Depth=1
	s_or_b32 exec_lo, exec_lo, s45
	v_lshlrev_b32_e32 v1, 16, v1
	v_lshlrev_b32_e32 v11, 20, v11
	v_lshl_add_u32 v12, v54, 23, 0x3c000000
	v_and_b32_e32 v1, 0x80000000, v1
	v_or3_b32 v54, v11, v1, v12
.LBB346_480:                            ;   in Loop: Header=BB346_15 Depth=1
	s_or_b32 exec_lo, exec_lo, s44
.LBB346_481:                            ;   in Loop: Header=BB346_15 Depth=1
	s_or_b32 exec_lo, exec_lo, s43
.LBB346_482:                            ;   in Loop: Header=BB346_15 Depth=1
	s_or_b32 exec_lo, exec_lo, s42
	v_and_b32_sdwa v1, v10, v105 dst_sel:DWORD dst_unused:UNUSED_PAD src0_sel:WORD_1 src1_sel:DWORD
	v_mov_b32_e32 v56, 0
	v_mov_b32_e32 v57, 0
	s_mov_b32 s42, exec_lo
	v_cmpx_ne_u16_e32 0, v1
	s_cbranch_execz .LBB346_490
; %bb.483:                              ;   in Loop: Header=BB346_15 Depth=1
	v_bfrev_b32_e32 v57, 1
	s_mov_b32 s43, exec_lo
	v_cmpx_ne_u16_e32 0x80, v1
	s_cbranch_execz .LBB346_489
; %bb.484:                              ;   in Loop: Header=BB346_15 Depth=1
	v_bfe_u32 v12, v10, 16, 7
	v_mov_b32_e32 v57, 0x7f800001
	s_mov_b32 s44, exec_lo
	v_cmpx_ne_u32_e32 0x7f, v12
	s_cbranch_execz .LBB346_488
; %bb.485:                              ;   in Loop: Header=BB346_15 Depth=1
	v_and_b32_sdwa v1, v10, v106 dst_sel:DWORD dst_unused:UNUSED_PAD src0_sel:WORD_1 src1_sel:DWORD
	v_lshrrev_b32_e32 v11, 3, v12
	s_mov_b32 s45, exec_lo
	v_cmpx_gt_u32_e32 8, v12
; %bb.486:                              ;   in Loop: Header=BB346_15 Depth=1
	v_ffbh_u32_e32 v11, v1
	v_min_u32_e32 v11, 32, v11
	v_subrev_nc_u32_e32 v12, 28, v11
	v_sub_nc_u32_e32 v11, 29, v11
	v_lshlrev_b64 v[57:58], v12, v[1:2]
	v_and_b32_e32 v1, 7, v57
; %bb.487:                              ;   in Loop: Header=BB346_15 Depth=1
	s_or_b32 exec_lo, exec_lo, s45
	v_lshlrev_b32_sdwa v12, v107, v10 dst_sel:DWORD dst_unused:UNUSED_PAD src0_sel:DWORD src1_sel:WORD_1
	v_lshlrev_b32_e32 v1, 20, v1
	v_lshl_add_u32 v11, v11, 23, 0x3c000000
	v_and_b32_e32 v12, 0x80000000, v12
	v_or3_b32 v57, v1, v12, v11
.LBB346_488:                            ;   in Loop: Header=BB346_15 Depth=1
	s_or_b32 exec_lo, exec_lo, s44
.LBB346_489:                            ;   in Loop: Header=BB346_15 Depth=1
	s_or_b32 exec_lo, exec_lo, s43
.LBB346_490:                            ;   in Loop: Header=BB346_15 Depth=1
	s_or_b32 exec_lo, exec_lo, s42
	s_mov_b32 s42, exec_lo
	v_cmpx_lt_u64_e64 s[4:5], v[9:10]
	s_cbranch_execz .LBB346_498
; %bb.491:                              ;   in Loop: Header=BB346_15 Depth=1
	v_cmp_ne_u32_sdwa s1, v10, v103 src0_sel:BYTE_3 src1_sel:DWORD
	v_bfrev_b32_e32 v56, 1
	s_and_saveexec_b32 s43, s1
	s_cbranch_execz .LBB346_497
; %bb.492:                              ;   in Loop: Header=BB346_15 Depth=1
	v_bfe_u32 v11, v10, 24, 7
	v_mov_b32_e32 v56, 0x7f800001
	s_mov_b32 s44, exec_lo
	v_cmpx_ne_u32_e32 0x7f, v11
	s_cbranch_execz .LBB346_496
; %bb.493:                              ;   in Loop: Header=BB346_15 Depth=1
	v_and_b32_sdwa v1, v10, v106 dst_sel:DWORD dst_unused:UNUSED_PAD src0_sel:BYTE_3 src1_sel:DWORD
	v_lshrrev_b32_e32 v9, 3, v11
	s_mov_b32 s45, exec_lo
	v_cmpx_gt_u32_e32 8, v11
; %bb.494:                              ;   in Loop: Header=BB346_15 Depth=1
	v_ffbh_u32_e32 v9, v1
	v_min_u32_e32 v9, 32, v9
	v_subrev_nc_u32_e32 v11, 28, v9
	v_sub_nc_u32_e32 v9, 29, v9
	v_lshlrev_b64 v[11:12], v11, v[1:2]
	v_and_b32_e32 v1, 7, v11
; %bb.495:                              ;   in Loop: Header=BB346_15 Depth=1
	s_or_b32 exec_lo, exec_lo, s45
	v_lshlrev_b32_sdwa v10, v107, v10 dst_sel:DWORD dst_unused:UNUSED_PAD src0_sel:DWORD src1_sel:BYTE_3
	v_lshlrev_b32_e32 v1, 20, v1
	v_lshl_add_u32 v9, v9, 23, 0x3c000000
	v_and_b32_e32 v10, 0x80000000, v10
	v_or3_b32 v56, v1, v10, v9
.LBB346_496:                            ;   in Loop: Header=BB346_15 Depth=1
	s_or_b32 exec_lo, exec_lo, s44
.LBB346_497:                            ;   in Loop: Header=BB346_15 Depth=1
	s_or_b32 exec_lo, exec_lo, s43
.LBB346_498:                            ;   in Loop: Header=BB346_15 Depth=1
	s_or_b32 exec_lo, exec_lo, s42
	v_add_co_u32 v7, s1, 0x800, v7
	v_add_co_ci_u32_e64 v8, null, 0, v8, s1
	v_mov_b32_e32 v58, 0
	v_mov_b32_e32 v59, 0
	global_load_dwordx2 v[9:10], v[7:8], off
	s_waitcnt vmcnt(0)
	v_cmp_ne_u16_sdwa s1, v9, v2 src0_sel:BYTE_0 src1_sel:DWORD
	s_and_saveexec_b32 s42, s1
	s_cbranch_execz .LBB346_504
; %bb.499:                              ;   in Loop: Header=BB346_15 Depth=1
	v_cmp_ne_u16_sdwa s1, v9, v103 src0_sel:BYTE_0 src1_sel:DWORD
	v_bfrev_b32_e32 v59, 1
	s_and_saveexec_b32 s43, s1
	s_cbranch_execz .LBB346_503
; %bb.500:                              ;   in Loop: Header=BB346_15 Depth=1
	v_and_b32_e32 v1, 0x7f, v9
	v_mov_b32_e32 v59, 0x7f800001
	s_mov_b32 s44, exec_lo
	v_cmpx_ne_u32_e32 0x7f, v1
	s_cbranch_execz .LBB346_502
; %bb.501:                              ;   in Loop: Header=BB346_15 Depth=1
	v_and_b32_e32 v11, 7, v9
	v_lshrrev_b32_e32 v12, 3, v1
	v_cmp_gt_u32_e64 s1, 8, v1
	v_ffbh_u32_e32 v1, v11
	v_min_u32_e32 v1, 32, v1
	v_subrev_nc_u32_e32 v11, 28, v1
	v_sub_nc_u32_e32 v1, 29, v1
	v_cndmask_b32_e64 v11, 0, v11, s1
	v_cndmask_b32_e64 v1, v12, v1, s1
	v_lshlrev_b64 v[11:12], v11, v[9:10]
	v_lshlrev_b32_e32 v12, 24, v9
	v_lshl_add_u32 v1, v1, 23, 0x3c000000
	v_lshlrev_b32_e32 v11, 20, v11
	v_and_b32_e32 v12, 0x80000000, v12
	v_and_b32_e32 v11, 0x700000, v11
	v_or3_b32 v59, v11, v12, v1
.LBB346_502:                            ;   in Loop: Header=BB346_15 Depth=1
	s_or_b32 exec_lo, exec_lo, s44
.LBB346_503:                            ;   in Loop: Header=BB346_15 Depth=1
	s_or_b32 exec_lo, exec_lo, s43
.LBB346_504:                            ;   in Loop: Header=BB346_15 Depth=1
	s_or_b32 exec_lo, exec_lo, s42
	v_cmp_ne_u16_sdwa s1, v9, v2 src0_sel:BYTE_1 src1_sel:DWORD
	s_and_saveexec_b32 s42, s1
	s_cbranch_execz .LBB346_512
; %bb.505:                              ;   in Loop: Header=BB346_15 Depth=1
	v_cmp_ne_u16_sdwa s1, v9, v103 src0_sel:BYTE_1 src1_sel:DWORD
	v_bfrev_b32_e32 v58, 1
	s_and_saveexec_b32 s43, s1
	s_cbranch_execz .LBB346_511
; %bb.506:                              ;   in Loop: Header=BB346_15 Depth=1
	v_and_b32_sdwa v1, v104, v9 dst_sel:DWORD dst_unused:UNUSED_PAD src0_sel:DWORD src1_sel:BYTE_1
	v_mov_b32_e32 v58, 0x7f800001
	s_mov_b32 s44, exec_lo
	v_and_b32_e32 v12, 0x7f, v1
	v_cmpx_ne_u32_e32 0x7f, v12
	s_cbranch_execz .LBB346_510
; %bb.507:                              ;   in Loop: Header=BB346_15 Depth=1
	v_and_b32_e32 v1, 7, v1
	v_lshrrev_b32_e32 v11, 3, v12
	s_mov_b32 s45, exec_lo
	v_cmpx_gt_u32_e32 8, v12
; %bb.508:                              ;   in Loop: Header=BB346_15 Depth=1
	v_ffbh_u32_e32 v11, v1
	v_min_u32_e32 v11, 32, v11
	v_subrev_nc_u32_e32 v12, 28, v11
	v_sub_nc_u32_e32 v11, 29, v11
	v_lshlrev_b64 v[60:61], v12, v[1:2]
	v_and_b32_e32 v1, 7, v60
; %bb.509:                              ;   in Loop: Header=BB346_15 Depth=1
	s_or_b32 exec_lo, exec_lo, s45
	v_lshlrev_b32_e32 v12, 16, v9
	v_lshlrev_b32_e32 v1, 20, v1
	v_lshl_add_u32 v11, v11, 23, 0x3c000000
	v_and_b32_e32 v12, 0x80000000, v12
	v_or3_b32 v58, v1, v12, v11
.LBB346_510:                            ;   in Loop: Header=BB346_15 Depth=1
	s_or_b32 exec_lo, exec_lo, s44
.LBB346_511:                            ;   in Loop: Header=BB346_15 Depth=1
	s_or_b32 exec_lo, exec_lo, s43
.LBB346_512:                            ;   in Loop: Header=BB346_15 Depth=1
	s_or_b32 exec_lo, exec_lo, s42
	v_and_b32_sdwa v1, v9, v105 dst_sel:DWORD dst_unused:UNUSED_PAD src0_sel:WORD_1 src1_sel:DWORD
	v_mov_b32_e32 v61, 0
	v_mov_b32_e32 v60, 0
	s_mov_b32 s42, exec_lo
	v_cmpx_ne_u16_e32 0, v1
	s_cbranch_execz .LBB346_520
; %bb.513:                              ;   in Loop: Header=BB346_15 Depth=1
	v_bfrev_b32_e32 v60, 1
	s_mov_b32 s43, exec_lo
	v_cmpx_ne_u16_e32 0x80, v1
	s_cbranch_execz .LBB346_519
; %bb.514:                              ;   in Loop: Header=BB346_15 Depth=1
	v_bfe_u32 v12, v9, 16, 7
	v_mov_b32_e32 v60, 0x7f800001
	s_mov_b32 s44, exec_lo
	v_cmpx_ne_u32_e32 0x7f, v12
	s_cbranch_execz .LBB346_518
; %bb.515:                              ;   in Loop: Header=BB346_15 Depth=1
	v_and_b32_sdwa v1, v9, v106 dst_sel:DWORD dst_unused:UNUSED_PAD src0_sel:WORD_1 src1_sel:DWORD
	v_lshrrev_b32_e32 v11, 3, v12
	s_mov_b32 s45, exec_lo
	v_cmpx_gt_u32_e32 8, v12
; %bb.516:                              ;   in Loop: Header=BB346_15 Depth=1
	v_ffbh_u32_e32 v11, v1
	v_min_u32_e32 v11, 32, v11
	v_subrev_nc_u32_e32 v12, 28, v11
	v_sub_nc_u32_e32 v11, 29, v11
	v_lshlrev_b64 v[62:63], v12, v[1:2]
	v_and_b32_e32 v1, 7, v62
; %bb.517:                              ;   in Loop: Header=BB346_15 Depth=1
	s_or_b32 exec_lo, exec_lo, s45
	v_lshlrev_b32_sdwa v12, v107, v9 dst_sel:DWORD dst_unused:UNUSED_PAD src0_sel:DWORD src1_sel:WORD_1
	v_lshlrev_b32_e32 v1, 20, v1
	v_lshl_add_u32 v11, v11, 23, 0x3c000000
	v_and_b32_e32 v12, 0x80000000, v12
	v_or3_b32 v60, v1, v12, v11
.LBB346_518:                            ;   in Loop: Header=BB346_15 Depth=1
	s_or_b32 exec_lo, exec_lo, s44
.LBB346_519:                            ;   in Loop: Header=BB346_15 Depth=1
	s_or_b32 exec_lo, exec_lo, s43
.LBB346_520:                            ;   in Loop: Header=BB346_15 Depth=1
	s_or_b32 exec_lo, exec_lo, s42
	s_mov_b32 s42, exec_lo
	v_cmpx_lt_u32_e32 0xffffff, v9
	s_cbranch_execz .LBB346_528
; %bb.521:                              ;   in Loop: Header=BB346_15 Depth=1
	v_cmp_ne_u32_sdwa s1, v9, v103 src0_sel:BYTE_3 src1_sel:DWORD
	v_bfrev_b32_e32 v61, 1
	s_and_saveexec_b32 s43, s1
	s_cbranch_execz .LBB346_527
; %bb.522:                              ;   in Loop: Header=BB346_15 Depth=1
	v_bfe_u32 v12, v9, 24, 7
	v_mov_b32_e32 v61, 0x7f800001
	s_mov_b32 s44, exec_lo
	v_cmpx_ne_u32_e32 0x7f, v12
	s_cbranch_execz .LBB346_526
; %bb.523:                              ;   in Loop: Header=BB346_15 Depth=1
	v_and_b32_sdwa v1, v9, v106 dst_sel:DWORD dst_unused:UNUSED_PAD src0_sel:BYTE_3 src1_sel:DWORD
	v_lshrrev_b32_e32 v11, 3, v12
	s_mov_b32 s45, exec_lo
	v_cmpx_gt_u32_e32 8, v12
; %bb.524:                              ;   in Loop: Header=BB346_15 Depth=1
	v_ffbh_u32_e32 v11, v1
	v_min_u32_e32 v11, 32, v11
	v_subrev_nc_u32_e32 v12, 28, v11
	v_sub_nc_u32_e32 v11, 29, v11
	v_lshlrev_b64 v[61:62], v12, v[1:2]
	v_and_b32_e32 v1, 7, v61
; %bb.525:                              ;   in Loop: Header=BB346_15 Depth=1
	s_or_b32 exec_lo, exec_lo, s45
	v_lshlrev_b32_sdwa v12, v107, v9 dst_sel:DWORD dst_unused:UNUSED_PAD src0_sel:DWORD src1_sel:BYTE_3
	v_lshlrev_b32_e32 v1, 20, v1
	v_lshl_add_u32 v11, v11, 23, 0x3c000000
	v_and_b32_e32 v12, 0x80000000, v12
	v_or3_b32 v61, v1, v12, v11
.LBB346_526:                            ;   in Loop: Header=BB346_15 Depth=1
	s_or_b32 exec_lo, exec_lo, s44
.LBB346_527:                            ;   in Loop: Header=BB346_15 Depth=1
	s_or_b32 exec_lo, exec_lo, s43
.LBB346_528:                            ;   in Loop: Header=BB346_15 Depth=1
	s_or_b32 exec_lo, exec_lo, s42
	v_mov_b32_e32 v1, v10
	v_cmp_ne_u16_sdwa s1, v10, v2 src0_sel:BYTE_0 src1_sel:DWORD
	v_mov_b32_e32 v64, 0
	v_mov_b32_e32 v65, 0
	s_and_saveexec_b32 s42, s1
	s_cbranch_execz .LBB346_534
; %bb.529:                              ;   in Loop: Header=BB346_15 Depth=1
	v_cmp_ne_u16_sdwa s1, v10, v103 src0_sel:BYTE_0 src1_sel:DWORD
	v_bfrev_b32_e32 v65, 1
	s_and_saveexec_b32 s43, s1
	s_cbranch_execz .LBB346_533
; %bb.530:                              ;   in Loop: Header=BB346_15 Depth=1
	v_and_b32_e32 v11, 0x7f, v10
	v_mov_b32_e32 v65, 0x7f800001
	s_mov_b32 s44, exec_lo
	v_cmpx_ne_u32_e32 0x7f, v11
	s_cbranch_execz .LBB346_532
; %bb.531:                              ;   in Loop: Header=BB346_15 Depth=1
	v_and_b32_e32 v12, 7, v10
	v_lshrrev_b32_e32 v62, 3, v11
	v_cmp_gt_u32_e64 s1, 8, v11
	v_ffbh_u32_e32 v11, v12
	v_min_u32_e32 v11, 32, v11
	v_subrev_nc_u32_e32 v12, 28, v11
	v_sub_nc_u32_e32 v11, 29, v11
	v_cndmask_b32_e64 v62, v62, v11, s1
	v_cndmask_b32_e64 v11, 0, v12, s1
	v_lshl_add_u32 v62, v62, 23, 0x3c000000
	v_lshlrev_b64 v[11:12], v11, v[1:2]
	v_lshlrev_b32_e32 v12, 24, v1
	v_lshlrev_b32_e32 v11, 20, v11
	v_and_b32_e32 v12, 0x80000000, v12
	v_and_b32_e32 v11, 0x700000, v11
	v_or3_b32 v65, v11, v12, v62
.LBB346_532:                            ;   in Loop: Header=BB346_15 Depth=1
	s_or_b32 exec_lo, exec_lo, s44
.LBB346_533:                            ;   in Loop: Header=BB346_15 Depth=1
	s_or_b32 exec_lo, exec_lo, s43
.LBB346_534:                            ;   in Loop: Header=BB346_15 Depth=1
	s_or_b32 exec_lo, exec_lo, s42
	v_cmp_ne_u16_sdwa s1, v1, v2 src0_sel:BYTE_1 src1_sel:DWORD
	s_and_saveexec_b32 s42, s1
	s_cbranch_execz .LBB346_542
; %bb.535:                              ;   in Loop: Header=BB346_15 Depth=1
	v_cmp_ne_u16_sdwa s1, v1, v103 src0_sel:BYTE_1 src1_sel:DWORD
	v_bfrev_b32_e32 v64, 1
	s_and_saveexec_b32 s43, s1
	s_cbranch_execz .LBB346_541
; %bb.536:                              ;   in Loop: Header=BB346_15 Depth=1
	v_and_b32_sdwa v11, v104, v1 dst_sel:DWORD dst_unused:UNUSED_PAD src0_sel:DWORD src1_sel:BYTE_1
	v_mov_b32_e32 v64, 0x7f800001
	s_mov_b32 s44, exec_lo
	v_and_b32_e32 v63, 0x7f, v11
	v_cmpx_ne_u32_e32 0x7f, v63
	s_cbranch_execz .LBB346_540
; %bb.537:                              ;   in Loop: Header=BB346_15 Depth=1
	v_and_b32_e32 v11, 7, v11
	v_mov_b32_e32 v12, v2
	v_lshrrev_b32_e32 v62, 3, v63
	s_mov_b32 s45, exec_lo
	v_cmpx_gt_u32_e32 8, v63
; %bb.538:                              ;   in Loop: Header=BB346_15 Depth=1
	v_ffbh_u32_e32 v62, v11
	v_min_u32_e32 v62, 32, v62
	v_subrev_nc_u32_e32 v63, 28, v62
	v_sub_nc_u32_e32 v62, 29, v62
	v_lshlrev_b64 v[11:12], v63, v[11:12]
	v_and_b32_e32 v11, 7, v11
; %bb.539:                              ;   in Loop: Header=BB346_15 Depth=1
	s_or_b32 exec_lo, exec_lo, s45
	v_lshlrev_b32_e32 v1, 16, v1
	v_lshlrev_b32_e32 v11, 20, v11
	v_lshl_add_u32 v12, v62, 23, 0x3c000000
	v_and_b32_e32 v1, 0x80000000, v1
	v_or3_b32 v64, v11, v1, v12
.LBB346_540:                            ;   in Loop: Header=BB346_15 Depth=1
	s_or_b32 exec_lo, exec_lo, s44
.LBB346_541:                            ;   in Loop: Header=BB346_15 Depth=1
	s_or_b32 exec_lo, exec_lo, s43
.LBB346_542:                            ;   in Loop: Header=BB346_15 Depth=1
	s_or_b32 exec_lo, exec_lo, s42
	v_and_b32_sdwa v1, v10, v105 dst_sel:DWORD dst_unused:UNUSED_PAD src0_sel:WORD_1 src1_sel:DWORD
	v_mov_b32_e32 v68, 0
	v_mov_b32_e32 v69, 0
	s_mov_b32 s42, exec_lo
	v_cmpx_ne_u16_e32 0, v1
	s_cbranch_execz .LBB346_550
; %bb.543:                              ;   in Loop: Header=BB346_15 Depth=1
	v_bfrev_b32_e32 v69, 1
	s_mov_b32 s43, exec_lo
	v_cmpx_ne_u16_e32 0x80, v1
	s_cbranch_execz .LBB346_549
; %bb.544:                              ;   in Loop: Header=BB346_15 Depth=1
	v_bfe_u32 v12, v10, 16, 7
	v_mov_b32_e32 v69, 0x7f800001
	s_mov_b32 s44, exec_lo
	v_cmpx_ne_u32_e32 0x7f, v12
	s_cbranch_execz .LBB346_548
; %bb.545:                              ;   in Loop: Header=BB346_15 Depth=1
	v_and_b32_sdwa v1, v10, v106 dst_sel:DWORD dst_unused:UNUSED_PAD src0_sel:WORD_1 src1_sel:DWORD
	v_lshrrev_b32_e32 v11, 3, v12
	s_mov_b32 s45, exec_lo
	v_cmpx_gt_u32_e32 8, v12
; %bb.546:                              ;   in Loop: Header=BB346_15 Depth=1
	v_ffbh_u32_e32 v11, v1
	v_min_u32_e32 v11, 32, v11
	v_subrev_nc_u32_e32 v12, 28, v11
	v_sub_nc_u32_e32 v11, 29, v11
	v_lshlrev_b64 v[62:63], v12, v[1:2]
	v_and_b32_e32 v1, 7, v62
; %bb.547:                              ;   in Loop: Header=BB346_15 Depth=1
	s_or_b32 exec_lo, exec_lo, s45
	v_lshlrev_b32_sdwa v12, v107, v10 dst_sel:DWORD dst_unused:UNUSED_PAD src0_sel:DWORD src1_sel:WORD_1
	v_lshlrev_b32_e32 v1, 20, v1
	v_lshl_add_u32 v11, v11, 23, 0x3c000000
	v_and_b32_e32 v12, 0x80000000, v12
	v_or3_b32 v69, v1, v12, v11
.LBB346_548:                            ;   in Loop: Header=BB346_15 Depth=1
	s_or_b32 exec_lo, exec_lo, s44
.LBB346_549:                            ;   in Loop: Header=BB346_15 Depth=1
	s_or_b32 exec_lo, exec_lo, s43
.LBB346_550:                            ;   in Loop: Header=BB346_15 Depth=1
	s_or_b32 exec_lo, exec_lo, s42
	s_mov_b32 s42, exec_lo
	v_cmpx_lt_u64_e64 s[4:5], v[9:10]
	s_cbranch_execz .LBB346_558
; %bb.551:                              ;   in Loop: Header=BB346_15 Depth=1
	v_cmp_ne_u32_sdwa s1, v10, v103 src0_sel:BYTE_3 src1_sel:DWORD
	v_bfrev_b32_e32 v68, 1
	s_and_saveexec_b32 s43, s1
	s_cbranch_execz .LBB346_557
; %bb.552:                              ;   in Loop: Header=BB346_15 Depth=1
	v_bfe_u32 v11, v10, 24, 7
	v_mov_b32_e32 v68, 0x7f800001
	s_mov_b32 s44, exec_lo
	v_cmpx_ne_u32_e32 0x7f, v11
	s_cbranch_execz .LBB346_556
; %bb.553:                              ;   in Loop: Header=BB346_15 Depth=1
	v_and_b32_sdwa v1, v10, v106 dst_sel:DWORD dst_unused:UNUSED_PAD src0_sel:BYTE_3 src1_sel:DWORD
	v_lshrrev_b32_e32 v9, 3, v11
	s_mov_b32 s45, exec_lo
	v_cmpx_gt_u32_e32 8, v11
; %bb.554:                              ;   in Loop: Header=BB346_15 Depth=1
	v_ffbh_u32_e32 v9, v1
	v_min_u32_e32 v9, 32, v9
	v_subrev_nc_u32_e32 v11, 28, v9
	v_sub_nc_u32_e32 v9, 29, v9
	v_lshlrev_b64 v[11:12], v11, v[1:2]
	v_and_b32_e32 v1, 7, v11
; %bb.555:                              ;   in Loop: Header=BB346_15 Depth=1
	s_or_b32 exec_lo, exec_lo, s45
	v_lshlrev_b32_sdwa v10, v107, v10 dst_sel:DWORD dst_unused:UNUSED_PAD src0_sel:DWORD src1_sel:BYTE_3
	v_lshlrev_b32_e32 v1, 20, v1
	v_lshl_add_u32 v9, v9, 23, 0x3c000000
	v_and_b32_e32 v10, 0x80000000, v10
	v_or3_b32 v68, v1, v10, v9
.LBB346_556:                            ;   in Loop: Header=BB346_15 Depth=1
	s_or_b32 exec_lo, exec_lo, s44
.LBB346_557:                            ;   in Loop: Header=BB346_15 Depth=1
	s_or_b32 exec_lo, exec_lo, s43
.LBB346_558:                            ;   in Loop: Header=BB346_15 Depth=1
	s_or_b32 exec_lo, exec_lo, s42
	global_load_dwordx2 v[7:8], v[7:8], off offset:8
	v_mov_b32_e32 v11, 0
	v_mov_b32_e32 v12, 0
	s_waitcnt vmcnt(0)
	v_cmp_ne_u16_sdwa s1, v7, v2 src0_sel:BYTE_0 src1_sel:DWORD
	s_and_saveexec_b32 s42, s1
	s_cbranch_execz .LBB346_564
; %bb.559:                              ;   in Loop: Header=BB346_15 Depth=1
	v_cmp_ne_u16_sdwa s1, v7, v103 src0_sel:BYTE_0 src1_sel:DWORD
	v_bfrev_b32_e32 v12, 1
	s_and_saveexec_b32 s43, s1
	s_cbranch_execz .LBB346_563
; %bb.560:                              ;   in Loop: Header=BB346_15 Depth=1
	v_and_b32_e32 v1, 0x7f, v7
	v_mov_b32_e32 v12, 0x7f800001
	s_mov_b32 s44, exec_lo
	v_cmpx_ne_u32_e32 0x7f, v1
	s_cbranch_execz .LBB346_562
; %bb.561:                              ;   in Loop: Header=BB346_15 Depth=1
	v_and_b32_e32 v9, 7, v7
	v_lshrrev_b32_e32 v10, 3, v1
	v_cmp_gt_u32_e64 s1, 8, v1
	v_ffbh_u32_e32 v1, v9
	v_min_u32_e32 v1, 32, v1
	v_subrev_nc_u32_e32 v9, 28, v1
	v_sub_nc_u32_e32 v1, 29, v1
	v_cndmask_b32_e64 v9, 0, v9, s1
	v_cndmask_b32_e64 v1, v10, v1, s1
	v_lshlrev_b64 v[9:10], v9, v[7:8]
	v_lshlrev_b32_e32 v10, 24, v7
	v_lshl_add_u32 v1, v1, 23, 0x3c000000
	v_lshlrev_b32_e32 v9, 20, v9
	v_and_b32_e32 v10, 0x80000000, v10
	v_and_b32_e32 v9, 0x700000, v9
	v_or3_b32 v12, v9, v10, v1
.LBB346_562:                            ;   in Loop: Header=BB346_15 Depth=1
	s_or_b32 exec_lo, exec_lo, s44
.LBB346_563:                            ;   in Loop: Header=BB346_15 Depth=1
	s_or_b32 exec_lo, exec_lo, s43
.LBB346_564:                            ;   in Loop: Header=BB346_15 Depth=1
	s_or_b32 exec_lo, exec_lo, s42
	v_cmp_ne_u16_sdwa s1, v7, v2 src0_sel:BYTE_1 src1_sel:DWORD
	s_and_saveexec_b32 s42, s1
	s_cbranch_execz .LBB346_572
; %bb.565:                              ;   in Loop: Header=BB346_15 Depth=1
	v_cmp_ne_u16_sdwa s1, v7, v103 src0_sel:BYTE_1 src1_sel:DWORD
	v_bfrev_b32_e32 v11, 1
	s_and_saveexec_b32 s43, s1
	s_cbranch_execz .LBB346_571
; %bb.566:                              ;   in Loop: Header=BB346_15 Depth=1
	v_and_b32_sdwa v1, v104, v7 dst_sel:DWORD dst_unused:UNUSED_PAD src0_sel:DWORD src1_sel:BYTE_1
	v_mov_b32_e32 v11, 0x7f800001
	s_mov_b32 s44, exec_lo
	v_and_b32_e32 v10, 0x7f, v1
	v_cmpx_ne_u32_e32 0x7f, v10
	s_cbranch_execz .LBB346_570
; %bb.567:                              ;   in Loop: Header=BB346_15 Depth=1
	v_and_b32_e32 v1, 7, v1
	v_lshrrev_b32_e32 v9, 3, v10
	s_mov_b32 s45, exec_lo
	v_cmpx_gt_u32_e32 8, v10
; %bb.568:                              ;   in Loop: Header=BB346_15 Depth=1
	v_ffbh_u32_e32 v9, v1
	v_min_u32_e32 v9, 32, v9
	v_subrev_nc_u32_e32 v10, 28, v9
	v_sub_nc_u32_e32 v9, 29, v9
	v_lshlrev_b64 v[10:11], v10, v[1:2]
	v_and_b32_e32 v1, 7, v10
; %bb.569:                              ;   in Loop: Header=BB346_15 Depth=1
	s_or_b32 exec_lo, exec_lo, s45
	v_lshlrev_b32_e32 v10, 16, v7
	v_lshlrev_b32_e32 v1, 20, v1
	v_lshl_add_u32 v9, v9, 23, 0x3c000000
	v_and_b32_e32 v10, 0x80000000, v10
	v_or3_b32 v11, v1, v10, v9
.LBB346_570:                            ;   in Loop: Header=BB346_15 Depth=1
	s_or_b32 exec_lo, exec_lo, s44
.LBB346_571:                            ;   in Loop: Header=BB346_15 Depth=1
	s_or_b32 exec_lo, exec_lo, s43
.LBB346_572:                            ;   in Loop: Header=BB346_15 Depth=1
	s_or_b32 exec_lo, exec_lo, s42
	v_and_b32_sdwa v1, v7, v105 dst_sel:DWORD dst_unused:UNUSED_PAD src0_sel:WORD_1 src1_sel:DWORD
	v_mov_b32_e32 v63, 0
	v_mov_b32_e32 v62, 0
	s_mov_b32 s42, exec_lo
	v_cmpx_ne_u16_e32 0, v1
	s_cbranch_execz .LBB346_580
; %bb.573:                              ;   in Loop: Header=BB346_15 Depth=1
	v_bfrev_b32_e32 v62, 1
	s_mov_b32 s43, exec_lo
	v_cmpx_ne_u16_e32 0x80, v1
	s_cbranch_execz .LBB346_579
; %bb.574:                              ;   in Loop: Header=BB346_15 Depth=1
	v_bfe_u32 v10, v7, 16, 7
	v_mov_b32_e32 v62, 0x7f800001
	s_mov_b32 s44, exec_lo
	v_cmpx_ne_u32_e32 0x7f, v10
	s_cbranch_execz .LBB346_578
; %bb.575:                              ;   in Loop: Header=BB346_15 Depth=1
	v_and_b32_sdwa v1, v7, v106 dst_sel:DWORD dst_unused:UNUSED_PAD src0_sel:WORD_1 src1_sel:DWORD
	v_lshrrev_b32_e32 v9, 3, v10
	s_mov_b32 s45, exec_lo
	v_cmpx_gt_u32_e32 8, v10
; %bb.576:                              ;   in Loop: Header=BB346_15 Depth=1
	v_ffbh_u32_e32 v9, v1
	v_min_u32_e32 v9, 32, v9
	v_subrev_nc_u32_e32 v10, 28, v9
	v_sub_nc_u32_e32 v9, 29, v9
	v_lshlrev_b64 v[66:67], v10, v[1:2]
	v_and_b32_e32 v1, 7, v66
; %bb.577:                              ;   in Loop: Header=BB346_15 Depth=1
	s_or_b32 exec_lo, exec_lo, s45
	v_lshlrev_b32_sdwa v10, v107, v7 dst_sel:DWORD dst_unused:UNUSED_PAD src0_sel:DWORD src1_sel:WORD_1
	v_lshlrev_b32_e32 v1, 20, v1
	v_lshl_add_u32 v9, v9, 23, 0x3c000000
	v_and_b32_e32 v10, 0x80000000, v10
	v_or3_b32 v62, v1, v10, v9
.LBB346_578:                            ;   in Loop: Header=BB346_15 Depth=1
	s_or_b32 exec_lo, exec_lo, s44
.LBB346_579:                            ;   in Loop: Header=BB346_15 Depth=1
	s_or_b32 exec_lo, exec_lo, s43
.LBB346_580:                            ;   in Loop: Header=BB346_15 Depth=1
	s_or_b32 exec_lo, exec_lo, s42
	s_mov_b32 s42, exec_lo
	v_cmpx_lt_u32_e32 0xffffff, v7
	s_cbranch_execz .LBB346_588
; %bb.581:                              ;   in Loop: Header=BB346_15 Depth=1
	v_cmp_ne_u32_sdwa s1, v7, v103 src0_sel:BYTE_3 src1_sel:DWORD
	v_bfrev_b32_e32 v63, 1
	s_and_saveexec_b32 s43, s1
	s_cbranch_execz .LBB346_587
; %bb.582:                              ;   in Loop: Header=BB346_15 Depth=1
	v_bfe_u32 v10, v7, 24, 7
	v_mov_b32_e32 v63, 0x7f800001
	s_mov_b32 s44, exec_lo
	v_cmpx_ne_u32_e32 0x7f, v10
	s_cbranch_execz .LBB346_586
; %bb.583:                              ;   in Loop: Header=BB346_15 Depth=1
	v_and_b32_sdwa v1, v7, v106 dst_sel:DWORD dst_unused:UNUSED_PAD src0_sel:BYTE_3 src1_sel:DWORD
	v_lshrrev_b32_e32 v9, 3, v10
	s_mov_b32 s45, exec_lo
	v_cmpx_gt_u32_e32 8, v10
; %bb.584:                              ;   in Loop: Header=BB346_15 Depth=1
	v_ffbh_u32_e32 v9, v1
	v_min_u32_e32 v9, 32, v9
	v_subrev_nc_u32_e32 v10, 28, v9
	v_sub_nc_u32_e32 v9, 29, v9
	v_lshlrev_b64 v[66:67], v10, v[1:2]
	v_and_b32_e32 v1, 7, v66
; %bb.585:                              ;   in Loop: Header=BB346_15 Depth=1
	s_or_b32 exec_lo, exec_lo, s45
	v_lshlrev_b32_sdwa v10, v107, v7 dst_sel:DWORD dst_unused:UNUSED_PAD src0_sel:DWORD src1_sel:BYTE_3
	v_lshlrev_b32_e32 v1, 20, v1
	v_lshl_add_u32 v9, v9, 23, 0x3c000000
	v_and_b32_e32 v10, 0x80000000, v10
	v_or3_b32 v63, v1, v10, v9
.LBB346_586:                            ;   in Loop: Header=BB346_15 Depth=1
	s_or_b32 exec_lo, exec_lo, s44
.LBB346_587:                            ;   in Loop: Header=BB346_15 Depth=1
	s_or_b32 exec_lo, exec_lo, s43
.LBB346_588:                            ;   in Loop: Header=BB346_15 Depth=1
	s_or_b32 exec_lo, exec_lo, s42
	v_mov_b32_e32 v1, v8
	v_cmp_ne_u16_sdwa s1, v8, v2 src0_sel:BYTE_0 src1_sel:DWORD
	v_mov_b32_e32 v66, 0
	v_mov_b32_e32 v67, 0
	s_and_saveexec_b32 s42, s1
	s_cbranch_execz .LBB346_594
; %bb.589:                              ;   in Loop: Header=BB346_15 Depth=1
	v_cmp_ne_u16_sdwa s1, v8, v103 src0_sel:BYTE_0 src1_sel:DWORD
	v_bfrev_b32_e32 v67, 1
	s_and_saveexec_b32 s43, s1
	s_cbranch_execz .LBB346_593
; %bb.590:                              ;   in Loop: Header=BB346_15 Depth=1
	v_and_b32_e32 v9, 0x7f, v8
	v_mov_b32_e32 v67, 0x7f800001
	s_mov_b32 s44, exec_lo
	v_cmpx_ne_u32_e32 0x7f, v9
	s_cbranch_execz .LBB346_592
; %bb.591:                              ;   in Loop: Header=BB346_15 Depth=1
	v_and_b32_e32 v10, 7, v8
	v_lshrrev_b32_e32 v67, 3, v9
	v_cmp_gt_u32_e64 s1, 8, v9
	v_ffbh_u32_e32 v9, v10
	v_min_u32_e32 v9, 32, v9
	v_subrev_nc_u32_e32 v10, 28, v9
	v_sub_nc_u32_e32 v9, 29, v9
	v_cndmask_b32_e64 v67, v67, v9, s1
	v_cndmask_b32_e64 v9, 0, v10, s1
	v_lshl_add_u32 v67, v67, 23, 0x3c000000
	v_lshlrev_b64 v[9:10], v9, v[1:2]
	v_lshlrev_b32_e32 v10, 24, v1
	v_lshlrev_b32_e32 v9, 20, v9
	v_and_b32_e32 v10, 0x80000000, v10
	v_and_b32_e32 v9, 0x700000, v9
	v_or3_b32 v67, v9, v10, v67
.LBB346_592:                            ;   in Loop: Header=BB346_15 Depth=1
	s_or_b32 exec_lo, exec_lo, s44
.LBB346_593:                            ;   in Loop: Header=BB346_15 Depth=1
	s_or_b32 exec_lo, exec_lo, s43
.LBB346_594:                            ;   in Loop: Header=BB346_15 Depth=1
	s_or_b32 exec_lo, exec_lo, s42
	v_cmp_ne_u16_sdwa s1, v1, v2 src0_sel:BYTE_1 src1_sel:DWORD
	s_and_saveexec_b32 s42, s1
	s_cbranch_execz .LBB346_602
; %bb.595:                              ;   in Loop: Header=BB346_15 Depth=1
	v_cmp_ne_u16_sdwa s1, v1, v103 src0_sel:BYTE_1 src1_sel:DWORD
	v_bfrev_b32_e32 v66, 1
	s_and_saveexec_b32 s43, s1
	s_cbranch_execz .LBB346_601
; %bb.596:                              ;   in Loop: Header=BB346_15 Depth=1
	v_and_b32_sdwa v9, v104, v1 dst_sel:DWORD dst_unused:UNUSED_PAD src0_sel:DWORD src1_sel:BYTE_1
	v_mov_b32_e32 v66, 0x7f800001
	s_mov_b32 s44, exec_lo
	v_and_b32_e32 v70, 0x7f, v9
	v_cmpx_ne_u32_e32 0x7f, v70
	s_cbranch_execz .LBB346_600
; %bb.597:                              ;   in Loop: Header=BB346_15 Depth=1
	v_and_b32_e32 v9, 7, v9
	v_mov_b32_e32 v10, v2
	v_lshrrev_b32_e32 v66, 3, v70
	s_mov_b32 s45, exec_lo
	v_cmpx_gt_u32_e32 8, v70
; %bb.598:                              ;   in Loop: Header=BB346_15 Depth=1
	v_ffbh_u32_e32 v66, v9
	v_min_u32_e32 v66, 32, v66
	v_subrev_nc_u32_e32 v70, 28, v66
	v_sub_nc_u32_e32 v66, 29, v66
	v_lshlrev_b64 v[9:10], v70, v[9:10]
	v_and_b32_e32 v9, 7, v9
; %bb.599:                              ;   in Loop: Header=BB346_15 Depth=1
	s_or_b32 exec_lo, exec_lo, s45
	v_lshlrev_b32_e32 v1, 16, v1
	v_lshlrev_b32_e32 v9, 20, v9
	v_lshl_add_u32 v10, v66, 23, 0x3c000000
	v_and_b32_e32 v1, 0x80000000, v1
	v_or3_b32 v66, v9, v1, v10
.LBB346_600:                            ;   in Loop: Header=BB346_15 Depth=1
	s_or_b32 exec_lo, exec_lo, s44
.LBB346_601:                            ;   in Loop: Header=BB346_15 Depth=1
	s_or_b32 exec_lo, exec_lo, s43
.LBB346_602:                            ;   in Loop: Header=BB346_15 Depth=1
	s_or_b32 exec_lo, exec_lo, s42
	v_and_b32_sdwa v1, v8, v105 dst_sel:DWORD dst_unused:UNUSED_PAD src0_sel:WORD_1 src1_sel:DWORD
	v_mov_b32_e32 v70, 0
	v_mov_b32_e32 v71, 0
	s_mov_b32 s42, exec_lo
	v_cmpx_ne_u16_e32 0, v1
	s_cbranch_execz .LBB346_610
; %bb.603:                              ;   in Loop: Header=BB346_15 Depth=1
	v_bfrev_b32_e32 v71, 1
	s_mov_b32 s43, exec_lo
	v_cmpx_ne_u16_e32 0x80, v1
	s_cbranch_execz .LBB346_609
; %bb.604:                              ;   in Loop: Header=BB346_15 Depth=1
	v_bfe_u32 v10, v8, 16, 7
	v_mov_b32_e32 v71, 0x7f800001
	s_mov_b32 s44, exec_lo
	v_cmpx_ne_u32_e32 0x7f, v10
	s_cbranch_execz .LBB346_608
; %bb.605:                              ;   in Loop: Header=BB346_15 Depth=1
	v_and_b32_sdwa v1, v8, v106 dst_sel:DWORD dst_unused:UNUSED_PAD src0_sel:WORD_1 src1_sel:DWORD
	v_lshrrev_b32_e32 v9, 3, v10
	s_mov_b32 s45, exec_lo
	v_cmpx_gt_u32_e32 8, v10
; %bb.606:                              ;   in Loop: Header=BB346_15 Depth=1
	v_ffbh_u32_e32 v9, v1
	v_min_u32_e32 v9, 32, v9
	v_subrev_nc_u32_e32 v10, 28, v9
	v_sub_nc_u32_e32 v9, 29, v9
	v_lshlrev_b64 v[71:72], v10, v[1:2]
	v_and_b32_e32 v1, 7, v71
; %bb.607:                              ;   in Loop: Header=BB346_15 Depth=1
	s_or_b32 exec_lo, exec_lo, s45
	v_lshlrev_b32_sdwa v10, v107, v8 dst_sel:DWORD dst_unused:UNUSED_PAD src0_sel:DWORD src1_sel:WORD_1
	v_lshlrev_b32_e32 v1, 20, v1
	v_lshl_add_u32 v9, v9, 23, 0x3c000000
	v_and_b32_e32 v10, 0x80000000, v10
	v_or3_b32 v71, v1, v10, v9
.LBB346_608:                            ;   in Loop: Header=BB346_15 Depth=1
	s_or_b32 exec_lo, exec_lo, s44
.LBB346_609:                            ;   in Loop: Header=BB346_15 Depth=1
	s_or_b32 exec_lo, exec_lo, s43
.LBB346_610:                            ;   in Loop: Header=BB346_15 Depth=1
	s_or_b32 exec_lo, exec_lo, s42
	s_mov_b32 s42, exec_lo
	v_cmpx_lt_u64_e64 s[4:5], v[7:8]
	s_cbranch_execz .LBB346_13
; %bb.611:                              ;   in Loop: Header=BB346_15 Depth=1
	v_cmp_ne_u32_sdwa s1, v8, v103 src0_sel:BYTE_3 src1_sel:DWORD
	v_bfrev_b32_e32 v70, 1
	s_and_saveexec_b32 s43, s1
	s_cbranch_execz .LBB346_12
; %bb.612:                              ;   in Loop: Header=BB346_15 Depth=1
	v_bfe_u32 v9, v8, 24, 7
	v_mov_b32_e32 v70, 0x7f800001
	s_mov_b32 s44, exec_lo
	v_cmpx_ne_u32_e32 0x7f, v9
	s_cbranch_execz .LBB346_11
; %bb.613:                              ;   in Loop: Header=BB346_15 Depth=1
	v_and_b32_sdwa v1, v8, v106 dst_sel:DWORD dst_unused:UNUSED_PAD src0_sel:BYTE_3 src1_sel:DWORD
	v_lshrrev_b32_e32 v7, 3, v9
	s_mov_b32 s45, exec_lo
	v_cmpx_gt_u32_e32 8, v9
	s_cbranch_execz .LBB346_10
; %bb.614:                              ;   in Loop: Header=BB346_15 Depth=1
	v_ffbh_u32_e32 v7, v1
	v_min_u32_e32 v7, 32, v7
	v_subrev_nc_u32_e32 v9, 28, v7
	v_sub_nc_u32_e32 v7, 29, v7
	v_lshlrev_b64 v[9:10], v9, v[1:2]
	v_and_b32_e32 v1, 7, v9
	s_branch .LBB346_10
.LBB346_615:
	s_or_b32 exec_lo, exec_lo, s40
	s_clause 0x1
	buffer_load_dword v37, off, s[48:51], 0 offset:252
	buffer_load_dword v26, off, s[48:51], 0 offset:256
.LBB346_616:
	s_or_b32 exec_lo, exec_lo, s36
	v_mbcnt_lo_u32_b32 v1, -1, 0
	v_max_f32_e32 v4, v99, v99
	v_xor_b32_e32 v0, 16, v1
	v_xor_b32_e32 v3, 8, v1
	v_cmp_gt_i32_e32 vcc_lo, 32, v0
	v_cndmask_b32_e32 v0, v1, v0, vcc_lo
	v_cmp_gt_i32_e32 vcc_lo, 32, v3
	v_lshlrev_b32_e32 v0, 2, v0
	v_cndmask_b32_e32 v3, v1, v3, vcc_lo
	ds_bpermute_b32 v2, v0, v99
	s_waitcnt lgkmcnt(0)
	v_max_f32_e32 v5, v2, v2
	v_lshlrev_b32_e32 v2, 2, v3
	v_max_f32_e32 v4, v4, v5
	v_xor_b32_e32 v5, 4, v1
	ds_bpermute_b32 v3, v2, v4
	v_cmp_gt_i32_e32 vcc_lo, 32, v5
	v_cndmask_b32_e32 v5, v1, v5, vcc_lo
	s_waitcnt lgkmcnt(0)
	v_max_f32_e32 v6, v3, v3
	v_lshlrev_b32_e32 v3, 2, v5
	v_max_f32_e32 v4, v4, v6
	v_xor_b32_e32 v6, 2, v1
	ds_bpermute_b32 v5, v3, v4
	v_cmp_gt_i32_e32 vcc_lo, 32, v6
	v_cndmask_b32_e32 v6, v1, v6, vcc_lo
	v_lshlrev_b32_e32 v25, 2, v6
	v_xor_b32_e32 v6, 1, v1
	v_cmp_gt_i32_e32 vcc_lo, 32, v6
	s_waitcnt lgkmcnt(0)
	v_max_f32_e32 v5, v5, v5
	v_cndmask_b32_e32 v6, v1, v6, vcc_lo
	v_max_f32_e32 v4, v4, v5
	v_lshlrev_b32_e32 v24, 2, v6
	ds_bpermute_b32 v5, v25, v4
	s_waitcnt lgkmcnt(0)
	v_max_f32_e32 v5, v5, v5
	v_max_f32_e32 v1, v4, v5
	buffer_load_dword v4, off, s[48:51], 0  ; 4-byte Folded Reload
	ds_bpermute_b32 v5, v24, v1
	s_waitcnt vmcnt(0)
	v_cmp_eq_u32_e32 vcc_lo, 0, v4
	buffer_load_dword v4, off, s[48:51], 0 offset:248 ; 4-byte Folded Reload
	s_waitcnt vmcnt(0)
	v_lshlrev_b32_e32 v4, 2, v4
	s_and_saveexec_b32 s1, vcc_lo
	s_cbranch_execz .LBB346_618
; %bb.617:
	s_waitcnt lgkmcnt(0)
	v_max_f32_e32 v5, v5, v5
	v_max_f32_e32 v1, v1, v1
	;; [unrolled: 1-line block ×3, first 2 shown]
	ds_write_b32 v4, v1 offset:160
.LBB346_618:
	s_or_b32 exec_lo, exec_lo, s1
	buffer_load_dword v1, off, s[48:51], 0  ; 4-byte Folded Reload
	s_waitcnt vmcnt(0) lgkmcnt(0)
	s_waitcnt_vscnt null, 0x0
	s_barrier
	buffer_gl0_inv
	v_cmp_gt_u32_e64 s1, 4, v1
	v_mov_b32_e32 v1, 0xff7fffff
	s_and_saveexec_b32 s2, s1
; %bb.619:
	ds_read_b32 v1, v26 offset:160
; %bb.620:
	s_or_b32 exec_lo, exec_lo, s2
	s_waitcnt lgkmcnt(0)
	ds_bpermute_b32 v5, v25, v1
	v_max_f32_e32 v1, v1, v1
	s_lshl_b32 s2, s20, 5
	s_min_i32 s4, s2, s33
	s_waitcnt lgkmcnt(0)
	v_max_f32_e32 v5, v5, v5
	v_max_f32_e32 v1, v1, v5
	ds_bpermute_b32 v5, v24, v1
	s_waitcnt lgkmcnt(0)
	v_max_f32_e32 v5, v5, v5
	v_max_f32_e32 v1, v1, v5
	v_mov_b32_e32 v5, 0
	ds_bpermute_b32 v6, v5, v1
	buffer_load_dword v1, off, s[48:51], 0 offset:244 ; 4-byte Folded Reload
	s_waitcnt vmcnt(0)
	v_cmp_gt_i32_e64 s2, s4, v1
	v_lshl_add_u32 v1, v1, 2, 0xc0
	s_and_saveexec_b32 s5, s2
	s_cbranch_execz .LBB346_624
; %bb.621:
	buffer_load_dword v8, off, s[48:51], 0 offset:244 ; 4-byte Folded Reload
	v_mov_b32_e32 v5, 0
	s_mov_b32 s12, 0
	s_waitcnt vmcnt(0)
	v_lshl_add_u32 v7, v8, 2, 0xc0
	.p2align	6
.LBB346_622:                            ; =>This Inner Loop Header: Depth=1
	ds_read_b32 v9, v7
	v_add_nc_u32_e32 v8, 0x80, v8
	v_cmp_le_i32_e64 s3, s4, v8
	s_or_b32 s12, s3, s12
	s_waitcnt lgkmcnt(0)
	v_sub_f32_e32 v9, v9, v6
	v_mul_f32_e32 v9, 0x3fb8aa3b, v9
	v_exp_f32_e32 v9, v9
	ds_write_b32 v7, v9
	v_add_f32_e32 v5, v5, v9
	v_add_nc_u32_e32 v7, 0x200, v7
	s_andn2_b32 exec_lo, exec_lo, s12
	s_cbranch_execnz .LBB346_622
; %bb.623:
	s_or_b32 exec_lo, exec_lo, s12
.LBB346_624:
	s_or_b32 exec_lo, exec_lo, s5
	ds_bpermute_b32 v0, v0, v5
	s_waitcnt lgkmcnt(0)
	v_add_f32_e32 v0, v5, v0
	ds_bpermute_b32 v2, v2, v0
	s_waitcnt lgkmcnt(0)
	v_add_f32_e32 v0, v0, v2
	;; [unrolled: 3-line block ×5, first 2 shown]
	s_and_saveexec_b32 s3, vcc_lo
; %bb.625:
	ds_write_b32 v4, v0 offset:176
; %bb.626:
	s_or_b32 exec_lo, exec_lo, s3
	s_waitcnt lgkmcnt(0)
	s_barrier
	buffer_gl0_inv
	s_and_saveexec_b32 s3, s1
; %bb.627:
	ds_read_b32 v0, v26 offset:176
; %bb.628:
	s_or_b32 exec_lo, exec_lo, s3
	s_waitcnt lgkmcnt(0)
	ds_bpermute_b32 v2, v25, v0
	s_waitcnt lgkmcnt(0)
	v_add_f32_e32 v0, v0, v2
	ds_bpermute_b32 v2, v24, v0
	s_waitcnt lgkmcnt(0)
	v_add_f32_e32 v0, v0, v2
	v_mov_b32_e32 v2, 0
	ds_bpermute_b32 v0, v2, v0
	s_and_saveexec_b32 s1, s2
	s_cbranch_execz .LBB346_631
; %bb.629:
	s_waitcnt lgkmcnt(0)
	v_add_f32_e32 v0, 0x358637bd, v0
	s_mov_b32 s2, 0
	v_div_scale_f32 v2, null, v0, v0, 1.0
	v_div_scale_f32 v5, vcc_lo, 1.0, v0, 1.0
	v_rcp_f32_e32 v3, v2
	v_fma_f32 v4, -v2, v3, 1.0
	v_fmac_f32_e32 v3, v4, v3
	v_mul_f32_e32 v4, v5, v3
	v_fma_f32 v6, -v2, v4, v5
	v_fmac_f32_e32 v4, v6, v3
	v_fma_f32 v2, -v2, v4, v5
	v_div_fmas_f32 v2, v2, v3, v4
	v_div_fixup_f32 v0, v2, v0, 1.0
	buffer_load_dword v2, off, s[48:51], 0 offset:244 ; 4-byte Folded Reload
.LBB346_630:                            ; =>This Inner Loop Header: Depth=1
	ds_read_b32 v3, v1
	s_waitcnt vmcnt(0)
	v_add_nc_u32_e32 v2, 0x80, v2
	v_cmp_le_i32_e32 vcc_lo, s4, v2
	s_or_b32 s2, vcc_lo, s2
	s_waitcnt lgkmcnt(0)
	v_mul_f32_e32 v3, v0, v3
	ds_write_b32 v1, v3
	v_add_nc_u32_e32 v1, 0x200, v1
	s_andn2_b32 exec_lo, exec_lo, s2
	s_cbranch_execnz .LBB346_630
.LBB346_631:
	s_or_b32 exec_lo, exec_lo, s1
	s_waitcnt lgkmcnt(0)
	buffer_load_dword v0, off, s[48:51], 0 offset:244 ; 4-byte Folded Reload
	v_mov_b32_e32 v35, 0
	v_mov_b32_e32 v36, 0
	;; [unrolled: 1-line block ×10, first 2 shown]
	s_waitcnt vmcnt(0)
	s_barrier
	buffer_gl0_inv
	v_and_b32_e32 v26, 3, v0
	s_and_saveexec_b32 s1, s0
	s_cbranch_execz .LBB346_1257
; %bb.632:
	s_clause 0x1
	buffer_load_dword v1, off, s[48:51], 0 offset:244
	buffer_load_dword v45, off, s[48:51], 0 offset:248
	s_sub_i32 s4, s34, s21
	s_ashr_i32 s0, s18, 31
	s_add_u32 s18, s30, s18
	s_addc_u32 s0, s31, s0
	s_abs_i32 s5, s22
	v_lshlrev_b32_e32 v3, 5, v26
	v_cvt_f32_u32_e32 v0, s5
	s_sub_i32 s2, 0, s5
	v_and_b32_e32 v2, 0x7c, v37
	s_add_i32 s13, s20, -1
	v_mov_b32_e32 v10, 0
	v_rcp_iflag_f32_e32 v0, v0
	v_mov_b32_e32 v37, 0x80
	v_mov_b32_e32 v38, 0xffff
	;; [unrolled: 1-line block ×9, first 2 shown]
	v_mul_f32_e32 v0, 0x4f7ffffe, v0
	v_mov_b32_e32 v31, 0
	v_mov_b32_e32 v32, 0
	;; [unrolled: 1-line block ×4, first 2 shown]
	v_cvt_u32_f32_e32 v0, v0
	v_mov_b32_e32 v36, 0
	v_mov_b32_e32 v35, 0
	s_mov_b32 s12, s17
	s_mov_b32 s17, 0
	v_mul_lo_u32 v4, s2, v0
	s_lshl_b64 s[2:3], s[28:29], 2
	s_add_u32 s2, s26, s2
	s_addc_u32 s3, s27, s3
	v_add_co_u32 v11, s2, s2, v2
	v_add_co_ci_u32_e64 v12, null, s3, 0, s2
	v_mul_hi_u32 v4, v0, v4
	v_add_nc_u32_e32 v44, v0, v4
	s_waitcnt vmcnt(1)
	v_lshlrev_b32_e32 v1, 3, v1
	s_waitcnt vmcnt(0)
	v_lshl_or_b32 v3, v45, 7, v3
	v_and_b32_e32 v42, 24, v1
	v_and_b32_e32 v1, 0xf8, v1
	v_add_nc_u32_e32 v43, 0xc0, v3
	v_add_co_u32 v1, s2, s18, v1
	v_add_co_ci_u32_e64 v2, null, s0, 0, s2
	s_mov_b32 s2, -1
	s_mov_b32 s3, 0xffffff
	buffer_store_dword v1, off, s[48:51], 0 offset:4 ; 4-byte Folded Spill
	buffer_store_dword v2, off, s[48:51], 0 offset:8 ; 4-byte Folded Spill
	s_branch .LBB346_635
.LBB346_633:                            ;   in Loop: Header=BB346_635 Depth=1
	s_or_b32 exec_lo, exec_lo, s0
	v_bfe_u32 v13, v5, 16, 1
	v_or_b32_e32 v14, 0x400000, v5
	v_bfe_u32 v62, v6, 16, 1
	v_cmp_u_f32_e32 vcc_lo, v5, v5
	v_bfe_u32 v63, v7, 16, 1
	v_add3_u32 v13, v13, v5, 0x7fff
	v_or_b32_e32 v64, 0x400000, v6
	v_add3_u32 v62, v62, v6, 0x7fff
	v_or_b32_e32 v65, 0x400000, v7
	v_add3_u32 v63, v63, v7, 0x7fff
	v_cndmask_b32_e32 v5, v13, v14, vcc_lo
	v_cmp_u_f32_e32 vcc_lo, v6, v6
	v_bfe_u32 v13, v8, 16, 1
	v_bfe_u32 v14, v1, 16, 1
	v_lshlrev_b32_e32 v21, 16, v21
	v_lshlrev_b32_e32 v0, 16, v0
	v_cndmask_b32_e32 v6, v62, v64, vcc_lo
	v_cmp_u_f32_e32 vcc_lo, v7, v7
	v_add3_u32 v13, v13, v8, 0x7fff
	v_or_b32_e32 v62, 0x400000, v8
	v_add3_u32 v14, v14, v1, 0x7fff
	v_bfe_u32 v64, v2, 16, 1
	v_cndmask_b32_e32 v7, v63, v65, vcc_lo
	v_cmp_u_f32_e32 vcc_lo, v8, v8
	v_or_b32_e32 v63, 0x400000, v1
	v_lshlrev_b32_e32 v22, 16, v22
	v_lshlrev_b32_e32 v60, 16, v60
	v_and_b32_e32 v7, 0xffff0000, v7
	v_cndmask_b32_e32 v8, v13, v62, vcc_lo
	v_cmp_u_f32_e32 vcc_lo, v1, v1
	v_or_b32_e32 v62, 0x400000, v2
	v_and_b32_e32 v1, 0xffff0000, v6
	v_lshlrev_b32_e32 v6, 16, v121
	v_lshlrev_b32_e32 v57, 16, v57
	v_cndmask_b32_e32 v13, v14, v63, vcc_lo
	v_add3_u32 v14, v64, v2, 0x7fff
	v_bfe_u32 v63, v3, 16, 1
	v_cmp_u_f32_e32 vcc_lo, v2, v2
	v_mul_f32_e32 v64, v1, v6
	v_and_b32_e32 v6, 0xffff0000, v5
	v_lshlrev_b32_e32 v5, 16, v122
	v_add3_u32 v2, v63, v3, 0x7fff
	v_cndmask_b32_e32 v14, v14, v62, vcc_lo
	v_or_b32_e32 v62, 0x400000, v3
	v_bfe_u32 v63, v4, 16, 1
	v_cmp_u_f32_e32 vcc_lo, v3, v3
	v_bfe_u32 v65, v64, 16, 1
	v_mul_f32_e32 v5, v6, v5
	v_mul_f32_e32 v60, v6, v60
	v_add3_u32 v3, v63, v4, 0x7fff
	v_cndmask_b32_e32 v62, v2, v62, vcc_lo
	v_or_b32_e32 v63, 0x400000, v4
	v_and_b32_e32 v2, 0xffff0000, v8
	v_lshlrev_b32_e32 v8, 16, v116
	v_cmp_u_f32_e32 vcc_lo, v4, v4
	v_lshlrev_b32_e32 v59, 16, v59
	v_lshlrev_b32_e32 v54, 16, v54
	;; [unrolled: 1-line block ×3, first 2 shown]
	v_mul_f32_e32 v66, v2, v8
	v_cndmask_b32_e32 v4, v3, v63, vcc_lo
	v_add3_u32 v3, v65, v64, 0x7fff
	v_or_b32_e32 v63, 0x400000, v64
	v_bfe_u32 v65, v5, 16, 1
	v_lshlrev_b32_e32 v8, 16, v117
	v_cmp_u_f32_e32 vcc_lo, v64, v64
	v_bfe_u32 v67, v66, 16, 1
	v_and_b32_e32 v4, 0xffff0000, v4
	v_add3_u32 v64, v65, v5, 0x7fff
	v_or_b32_e32 v65, 0x400000, v5
	v_cndmask_b32_e32 v63, v3, v63, vcc_lo
	v_mul_f32_e32 v68, v7, v8
	v_and_b32_e32 v3, 0xffff0000, v14
	v_lshlrev_b32_e32 v8, 16, v19
	v_cmp_u_f32_e32 vcc_lo, v5, v5
	v_add3_u32 v5, v67, v66, 0x7fff
	v_or_b32_e32 v19, 0x400000, v66
	v_lshlrev_b32_e32 v67, 16, v123
	v_and_b32_e32 v63, 0xffff0000, v63
	v_cndmask_b32_e32 v14, v64, v65, vcc_lo
	v_bfe_u32 v64, v68, 16, 1
	v_mul_f32_e32 v65, v3, v8
	v_and_b32_e32 v8, 0xffff0000, v13
	v_lshlrev_b32_e32 v13, 16, v20
	v_cmp_u_f32_e32 vcc_lo, v66, v66
	v_add3_u32 v20, v64, v68, 0x7fff
	v_or_b32_e32 v64, 0x400000, v68
	v_bfe_u32 v66, v65, 16, 1
	v_mul_f32_e32 v13, v8, v13
	v_cndmask_b32_e32 v19, v5, v19, vcc_lo
	v_and_b32_e32 v5, 0xffff0000, v62
	v_lshlrev_b32_e32 v62, 16, v120
	v_cmp_u_f32_e32 vcc_lo, v68, v68
	v_add3_u32 v66, v66, v65, 0x7fff
	v_or_b32_e32 v68, 0x400000, v65
	v_mul_f32_e32 v67, v4, v67
	v_mul_f32_e32 v62, v5, v62
	v_cndmask_b32_e32 v20, v20, v64, vcc_lo
	v_bfe_u32 v64, v13, 16, 1
	v_cmp_u_f32_e32 vcc_lo, v65, v65
	v_or_b32_e32 v69, 0x400000, v13
	v_bfe_u32 v117, v62, 16, 1
	v_bfe_u32 v116, v67, 16, 1
	v_add3_u32 v64, v64, v13, 0x7fff
	v_cndmask_b32_e32 v65, v66, v68, vcc_lo
	v_cmp_u_f32_e32 vcc_lo, v13, v13
	v_add3_u32 v66, v117, v62, 0x7fff
	v_or_b32_e32 v68, 0x400000, v62
	v_and_b32_e32 v14, 0xffff0000, v14
	v_and_b32_e32 v20, 0xffff0000, v20
	v_cndmask_b32_e32 v13, v64, v69, vcc_lo
	v_cmp_u_f32_e32 vcc_lo, v62, v62
	v_add3_u32 v64, v116, v67, 0x7fff
	v_and_b32_e32 v19, 0xffff0000, v19
	v_or_b32_e32 v69, 0x400000, v67
	v_add_f32_e32 v14, v14, v63
	v_cndmask_b32_e32 v62, v66, v68, vcc_lo
	v_cmp_u_f32_e32 vcc_lo, v67, v67
	v_add_f32_e32 v19, v20, v19
	v_and_b32_e32 v13, 0xffff0000, v13
	v_and_b32_e32 v20, 0xffff0000, v65
	v_lshlrev_b32_e32 v65, 16, v112
	v_cndmask_b32_e32 v63, v64, v69, vcc_lo
	v_add_f32_e32 v14, v19, v14
	v_and_b32_e32 v19, 0xffff0000, v62
	v_add_f32_e32 v13, v13, v20
	v_lshlrev_b32_e32 v62, 16, v114
	v_and_b32_e32 v20, 0xffff0000, v63
	v_lshlrev_b32_e32 v63, 16, v113
	v_lshlrev_b32_e32 v67, 16, v111
	v_add_f32_e32 v13, v13, v14
	v_mul_f32_e32 v21, v3, v21
	v_add_f32_e32 v14, v19, v20
	v_mul_f32_e32 v19, v1, v62
	v_mul_f32_e32 v20, v6, v63
	v_lshlrev_b32_e32 v63, 16, v110
	v_mul_f32_e32 v0, v8, v0
	v_add_f32_e32 v13, v14, v13
	v_bfe_u32 v14, v19, 16, 1
	v_bfe_u32 v62, v20, 16, 1
	v_cmp_u_f32_e32 vcc_lo, v19, v19
	v_mul_f32_e32 v63, v2, v63
	v_add_f32_e32 v28, v28, v13
	v_add3_u32 v13, v14, v19, 0x7fff
	v_or_b32_e32 v14, 0x400000, v19
	v_add3_u32 v62, v62, v20, 0x7fff
	v_or_b32_e32 v64, 0x400000, v20
	v_mul_f32_e32 v22, v5, v22
	v_mul_f32_e32 v54, v3, v54
	v_cndmask_b32_e32 v13, v13, v14, vcc_lo
	v_cmp_u_f32_e32 vcc_lo, v20, v20
	v_bfe_u32 v14, v63, 16, 1
	v_mul_f32_e32 v20, v7, v65
	v_lshlrev_b32_e32 v65, 16, v108
	v_and_b32_e32 v13, 0xffff0000, v13
	v_cndmask_b32_e32 v19, v62, v64, vcc_lo
	v_lshlrev_b32_e32 v62, 16, v107
	v_add3_u32 v14, v14, v63, 0x7fff
	v_or_b32_e32 v64, 0x400000, v63
	v_bfe_u32 v66, v20, 16, 1
	v_cmp_u_f32_e32 vcc_lo, v63, v63
	v_mul_f32_e32 v62, v3, v62
	v_mul_f32_e32 v63, v8, v65
	v_or_b32_e32 v65, 0x400000, v20
	v_and_b32_e32 v19, 0xffff0000, v19
	v_cndmask_b32_e32 v14, v14, v64, vcc_lo
	v_add3_u32 v64, v66, v20, 0x7fff
	v_bfe_u32 v66, v62, 16, 1
	v_bfe_u32 v68, v63, 16, 1
	v_cmp_u_f32_e32 vcc_lo, v20, v20
	v_or_b32_e32 v69, 0x400000, v63
	v_and_b32_e32 v14, 0xffff0000, v14
	v_add_f32_e32 v13, v19, v13
	v_mul_f32_e32 v55, v8, v55
	v_cndmask_b32_e32 v20, v64, v65, vcc_lo
	v_add3_u32 v64, v66, v62, 0x7fff
	v_mul_f32_e32 v65, v4, v67
	v_or_b32_e32 v66, 0x400000, v62
	v_add3_u32 v67, v68, v63, 0x7fff
	v_lshlrev_b32_e32 v68, 16, v109
	v_cmp_u_f32_e32 vcc_lo, v62, v62
	v_bfe_u32 v107, v65, 16, 1
	v_and_b32_e32 v20, 0xffff0000, v20
	v_lshlrev_b32_e32 v58, 16, v58
	v_lshlrev_b32_e32 v56, 16, v56
	v_cndmask_b32_e32 v62, v64, v66, vcc_lo
	v_mul_f32_e32 v64, v5, v68
	v_cmp_u_f32_e32 vcc_lo, v63, v63
	v_add3_u32 v66, v107, v65, 0x7fff
	v_add_f32_e32 v14, v20, v14
	v_lshlrev_b32_e32 v20, 16, v106
	v_bfe_u32 v68, v64, 16, 1
	v_cndmask_b32_e32 v63, v67, v69, vcc_lo
	v_or_b32_e32 v67, 0x400000, v65
	v_cmp_u_f32_e32 vcc_lo, v65, v65
	v_and_b32_e32 v62, 0xffff0000, v62
	v_add_f32_e32 v13, v14, v13
	v_and_b32_e32 v19, 0xffff0000, v63
	v_mul_f32_e32 v14, v1, v20
	v_cndmask_b32_e32 v65, v66, v67, vcc_lo
	v_add3_u32 v66, v68, v64, 0x7fff
	v_or_b32_e32 v67, 0x400000, v64
	v_cmp_u_f32_e32 vcc_lo, v64, v64
	v_add_f32_e32 v19, v19, v62
	v_lshlrev_b32_e32 v20, 16, v105
	v_bfe_u32 v64, v14, 16, 1
	v_lshlrev_b32_e32 v68, 16, v99
	v_cndmask_b32_e32 v63, v66, v67, vcc_lo
	v_add_f32_e32 v13, v19, v13
	v_mul_f32_e32 v19, v6, v20
	v_lshlrev_b32_e32 v20, 16, v102
	v_lshlrev_b32_e32 v66, 16, v104
	v_and_b32_e32 v62, 0xffff0000, v63
	v_and_b32_e32 v63, 0xffff0000, v65
	v_bfe_u32 v65, v19, 16, 1
	v_mul_f32_e32 v20, v2, v20
	v_cmp_u_f32_e32 vcc_lo, v14, v14
	v_mul_f32_e32 v66, v7, v66
	v_add_f32_e32 v62, v62, v63
	v_add3_u32 v63, v64, v14, 0x7fff
	v_or_b32_e32 v64, 0x400000, v14
	v_lshlrev_b32_e32 v67, 16, v100
	v_lshlrev_b32_e32 v69, 16, v103
	v_add_f32_e32 v13, v62, v13
	v_mul_f32_e32 v58, v4, v58
	v_cndmask_b32_e32 v14, v63, v64, vcc_lo
	v_add3_u32 v63, v65, v19, 0x7fff
	v_or_b32_e32 v64, 0x400000, v19
	v_bfe_u32 v65, v20, 16, 1
	v_cmp_u_f32_e32 vcc_lo, v19, v19
	v_mul_f32_e32 v67, v3, v67
	v_and_b32_e32 v14, 0xffff0000, v14
	v_add_f32_e32 v29, v29, v13
	v_mul_f32_e32 v56, v5, v56
	v_cndmask_b32_e32 v19, v63, v64, vcc_lo
	v_add3_u32 v63, v65, v20, 0x7fff
	v_or_b32_e32 v64, 0x400000, v20
	v_bfe_u32 v65, v66, 16, 1
	v_cmp_u_f32_e32 vcc_lo, v20, v20
	v_or_b32_e32 v99, 0x400000, v67
	v_and_b32_e32 v19, 0xffff0000, v19
	v_lshlrev_b32_e32 v53, 16, v53
	v_lshlrev_b32_e32 v52, 16, v52
	v_cndmask_b32_e32 v20, v63, v64, vcc_lo
	v_add3_u32 v63, v65, v66, 0x7fff
	v_mul_f32_e32 v65, v8, v68
	v_bfe_u32 v68, v67, 16, 1
	v_or_b32_e32 v64, 0x400000, v66
	v_cmp_u_f32_e32 vcc_lo, v66, v66
	v_and_b32_e32 v20, 0xffff0000, v20
	v_or_b32_e32 v100, 0x400000, v65
	v_add3_u32 v66, v68, v67, 0x7fff
	v_mul_f32_e32 v68, v4, v69
	v_lshlrev_b32_e32 v69, 16, v101
	v_cndmask_b32_e32 v63, v63, v64, vcc_lo
	v_bfe_u32 v64, v65, 16, 1
	v_cmp_u_f32_e32 vcc_lo, v67, v67
	v_bfe_u32 v101, v68, 16, 1
	v_mul_f32_e32 v69, v5, v69
	v_and_b32_e32 v63, 0xffff0000, v63
	v_add3_u32 v64, v64, v65, 0x7fff
	v_cndmask_b32_e32 v66, v66, v99, vcc_lo
	v_cmp_u_f32_e32 vcc_lo, v65, v65
	v_bfe_u32 v67, v69, 16, 1
	v_add3_u32 v65, v101, v68, 0x7fff
	v_or_b32_e32 v99, 0x400000, v68
	v_add_f32_e32 v14, v19, v14
	v_cndmask_b32_e32 v64, v64, v100, vcc_lo
	v_add3_u32 v67, v67, v69, 0x7fff
	v_or_b32_e32 v100, 0x400000, v69
	v_cmp_u_f32_e32 vcc_lo, v69, v69
	v_add_f32_e32 v19, v63, v20
	v_and_b32_e32 v20, 0xffff0000, v64
	v_and_b32_e32 v63, 0xffff0000, v66
	v_mul_f32_e32 v52, v6, v52
	v_cndmask_b32_e32 v64, v67, v100, vcc_lo
	v_cmp_u_f32_e32 vcc_lo, v68, v68
	v_add_f32_e32 v14, v19, v14
	v_add_f32_e32 v19, v20, v63
	v_lshlrev_b32_e32 v20, 16, v98
	v_and_b32_e32 v63, 0xffff0000, v64
	v_cndmask_b32_e32 v65, v65, v99, vcc_lo
	v_lshlrev_b32_e32 v64, 16, v97
	v_add_f32_e32 v14, v19, v14
	v_mul_f32_e32 v20, v1, v20
	v_lshlrev_b32_e32 v67, 16, v96
	v_and_b32_e32 v65, 0xffff0000, v65
	v_mul_f32_e32 v19, v6, v64
	v_lshlrev_b32_e32 v51, 16, v51
	v_bfe_u32 v64, v20, 16, 1
	v_cmp_u_f32_e32 vcc_lo, v20, v20
	v_add_f32_e32 v62, v63, v65
	v_lshlrev_b32_e32 v63, 16, v94
	v_bfe_u32 v13, v19, 16, 1
	v_or_b32_e32 v65, 0x400000, v19
	v_lshlrev_b32_e32 v47, 16, v47
	v_add_f32_e32 v14, v62, v14
	v_mul_f32_e32 v62, v2, v63
	v_add3_u32 v63, v64, v20, 0x7fff
	v_or_b32_e32 v64, 0x400000, v20
	v_add3_u32 v13, v13, v19, 0x7fff
	v_add_f32_e32 v30, v30, v14
	v_bfe_u32 v66, v62, 16, 1
	v_mul_f32_e32 v51, v7, v51
	v_cndmask_b32_e32 v20, v63, v64, vcc_lo
	v_cmp_u_f32_e32 vcc_lo, v19, v19
	v_mul_f32_e32 v19, v7, v67
	v_add3_u32 v63, v66, v62, 0x7fff
	v_or_b32_e32 v64, 0x400000, v62
	v_lshlrev_b32_e32 v66, 16, v92
	v_cndmask_b32_e32 v13, v13, v65, vcc_lo
	v_lshlrev_b32_e32 v65, 16, v91
	v_cmp_u_f32_e32 vcc_lo, v62, v62
	v_bfe_u32 v67, v19, 16, 1
	v_and_b32_e32 v20, 0xffff0000, v20
	v_and_b32_e32 v13, 0xffff0000, v13
	v_mul_f32_e32 v47, v3, v47
	v_cndmask_b32_e32 v62, v63, v64, vcc_lo
	v_mul_f32_e32 v63, v3, v65
	v_mul_f32_e32 v64, v8, v66
	v_add3_u32 v65, v67, v19, 0x7fff
	v_or_b32_e32 v66, 0x400000, v19
	v_lshlrev_b32_e32 v67, 16, v95
	v_bfe_u32 v68, v63, 16, 1
	v_cmp_u_f32_e32 vcc_lo, v19, v19
	v_bfe_u32 v69, v64, 16, 1
	v_and_b32_e32 v62, 0xffff0000, v62
	v_add_f32_e32 v13, v13, v20
	v_lshlrev_b32_e32 v46, 16, v46
	v_cndmask_b32_e32 v19, v65, v66, vcc_lo
	v_mul_f32_e32 v65, v4, v67
	v_add3_u32 v66, v68, v63, 0x7fff
	v_or_b32_e32 v67, 0x400000, v63
	v_cmp_u_f32_e32 vcc_lo, v63, v63
	v_add3_u32 v68, v69, v64, 0x7fff
	v_or_b32_e32 v69, 0x400000, v64
	v_bfe_u32 v91, v65, 16, 1
	v_and_b32_e32 v19, 0xffff0000, v19
	v_cndmask_b32_e32 v63, v66, v67, vcc_lo
	v_lshlrev_b32_e32 v66, 16, v93
	v_cmp_u_f32_e32 vcc_lo, v64, v64
	v_add3_u32 v67, v91, v65, 0x7fff
	v_add_f32_e32 v19, v19, v62
	v_lshlrev_b32_e32 v62, 16, v90
	v_mul_f32_e32 v66, v5, v66
	v_cndmask_b32_e32 v64, v68, v69, vcc_lo
	v_or_b32_e32 v68, 0x400000, v65
	v_cmp_u_f32_e32 vcc_lo, v65, v65
	v_and_b32_e32 v63, 0xffff0000, v63
	v_add_f32_e32 v13, v19, v13
	v_and_b32_e32 v20, 0xffff0000, v64
	v_mul_f32_e32 v19, v1, v62
	v_cndmask_b32_e32 v65, v67, v68, vcc_lo
	v_bfe_u32 v67, v66, 16, 1
	v_lshlrev_b32_e32 v62, 16, v89
	v_add_f32_e32 v20, v20, v63
	v_cmp_u_f32_e32 vcc_lo, v66, v66
	v_lshlrev_b32_e32 v68, 16, v88
	v_add3_u32 v64, v67, v66, 0x7fff
	v_or_b32_e32 v67, 0x400000, v66
	v_add_f32_e32 v13, v20, v13
	v_mul_f32_e32 v20, v6, v62
	v_lshlrev_b32_e32 v62, 16, v86
	v_or_b32_e32 v66, 0x400000, v19
	v_cndmask_b32_e32 v63, v64, v67, vcc_lo
	v_bfe_u32 v64, v19, 16, 1
	v_bfe_u32 v67, v20, 16, 1
	v_mul_f32_e32 v62, v2, v62
	v_cmp_u_f32_e32 vcc_lo, v19, v19
	v_mul_f32_e32 v68, v7, v68
	v_add3_u32 v64, v64, v19, 0x7fff
	v_lshlrev_b32_e32 v69, 16, v87
	v_or_b32_e32 v86, 0x400000, v0
	v_bfe_u32 v88, v22, 16, 1
	v_and_b32_e32 v63, 0xffff0000, v63
	v_cndmask_b32_e32 v19, v64, v66, vcc_lo
	v_add3_u32 v64, v67, v20, 0x7fff
	v_or_b32_e32 v66, 0x400000, v20
	v_bfe_u32 v67, v62, 16, 1
	v_cmp_u_f32_e32 vcc_lo, v20, v20
	v_and_b32_e32 v19, 0xffff0000, v19
	v_lshlrev_b32_e32 v50, 16, v50
	v_mul_f32_e32 v46, v8, v46
	v_lshlrev_b32_e32 v48, 16, v48
	v_cndmask_b32_e32 v20, v64, v66, vcc_lo
	v_add3_u32 v64, v67, v62, 0x7fff
	v_or_b32_e32 v66, 0x400000, v62
	v_bfe_u32 v67, v68, 16, 1
	v_cmp_u_f32_e32 vcc_lo, v62, v62
	v_and_b32_e32 v20, 0xffff0000, v20
	v_mul_f32_e32 v50, v4, v50
	v_mul_f32_e32 v48, v5, v48
	v_lshlrev_b32_e32 v17, 16, v17
	v_cndmask_b32_e32 v62, v64, v66, vcc_lo
	v_add3_u32 v64, v67, v68, 0x7fff
	v_or_b32_e32 v66, 0x400000, v68
	v_bfe_u32 v67, v21, 16, 1
	v_cmp_u_f32_e32 vcc_lo, v68, v68
	v_mul_f32_e32 v68, v4, v69
	v_or_b32_e32 v69, 0x400000, v21
	v_and_b32_e32 v62, 0xffff0000, v62
	v_add3_u32 v67, v67, v21, 0x7fff
	v_cndmask_b32_e32 v64, v64, v66, vcc_lo
	v_bfe_u32 v66, v0, 16, 1
	v_cmp_u_f32_e32 vcc_lo, v21, v21
	v_bfe_u32 v87, v68, 16, 1
	v_add_f32_e32 v19, v20, v19
	v_and_b32_e32 v64, 0xffff0000, v64
	v_add3_u32 v66, v66, v0, 0x7fff
	v_cndmask_b32_e32 v21, v67, v69, vcc_lo
	v_cmp_u_f32_e32 vcc_lo, v0, v0
	v_add3_u32 v67, v88, v22, 0x7fff
	v_or_b32_e32 v69, 0x400000, v22
	v_add_f32_e32 v20, v64, v62
	v_and_b32_e32 v21, 0xffff0000, v21
	v_cndmask_b32_e32 v0, v66, v86, vcc_lo
	v_cmp_u_f32_e32 vcc_lo, v22, v22
	v_add3_u32 v66, v87, v68, 0x7fff
	v_or_b32_e32 v86, 0x400000, v68
	v_and_b32_e32 v64, 0xffff0000, v65
	v_and_b32_e32 v0, 0xffff0000, v0
	v_cndmask_b32_e32 v22, v67, v69, vcc_lo
	v_cmp_u_f32_e32 vcc_lo, v68, v68
	v_add_f32_e32 v19, v20, v19
	v_lshlrev_b32_e32 v16, 16, v16
	v_add_f32_e32 v0, v0, v21
	v_and_b32_e32 v20, 0xffff0000, v22
	v_cndmask_b32_e32 v62, v66, v86, vcc_lo
	v_lshlrev_b32_e32 v22, 16, v85
	v_lshlrev_b32_e32 v15, 16, v15
	v_add_f32_e32 v0, v0, v19
	v_lshlrev_b32_e32 v9, 16, v9
	v_and_b32_e32 v21, 0xffff0000, v62
	v_add_f32_e32 v62, v63, v64
	v_lshlrev_b32_e32 v63, 16, v84
	v_lshlrev_b32_e32 v64, 16, v82
	v_add_f32_e32 v19, v20, v21
	v_mul_f32_e32 v20, v1, v22
	v_add_f32_e32 v13, v62, v13
	v_mul_f32_e32 v21, v6, v63
	v_lshlrev_b32_e32 v62, 16, v83
	v_add_f32_e32 v0, v19, v0
	v_bfe_u32 v14, v20, 16, 1
	v_lshlrev_b32_e32 v19, 16, v81
	v_add_f32_e32 v31, v31, v13
	v_bfe_u32 v13, v21, 16, 1
	v_add_f32_e32 v32, v32, v0
	v_add3_u32 v0, v14, v20, 0x7fff
	v_or_b32_e32 v14, 0x400000, v20
	v_mul_f32_e32 v19, v2, v19
	v_cmp_u_f32_e32 vcc_lo, v20, v20
	v_add3_u32 v13, v13, v21, 0x7fff
	v_or_b32_e32 v22, 0x400000, v21
	v_mul_f32_e32 v20, v7, v62
	v_lshlrev_b32_e32 v62, 16, v79
	v_cndmask_b32_e32 v0, v0, v14, vcc_lo
	v_bfe_u32 v14, v19, 16, 1
	v_cmp_u_f32_e32 vcc_lo, v21, v21
	v_lshlrev_b32_e32 v21, 16, v78
	v_bfe_u32 v63, v20, 16, 1
	v_and_b32_e32 v0, 0xffff0000, v0
	v_add3_u32 v14, v14, v19, 0x7fff
	v_cndmask_b32_e32 v13, v13, v22, vcc_lo
	v_or_b32_e32 v22, 0x400000, v19
	v_mul_f32_e32 v21, v3, v21
	v_cmp_u_f32_e32 vcc_lo, v19, v19
	v_mul_f32_e32 v19, v8, v62
	v_or_b32_e32 v62, 0x400000, v20
	v_and_b32_e32 v13, 0xffff0000, v13
	v_cndmask_b32_e32 v14, v14, v22, vcc_lo
	v_add3_u32 v22, v63, v20, 0x7fff
	v_bfe_u32 v63, v21, 16, 1
	v_bfe_u32 v65, v19, 16, 1
	v_cmp_u_f32_e32 vcc_lo, v20, v20
	v_or_b32_e32 v66, 0x400000, v19
	v_and_b32_e32 v14, 0xffff0000, v14
	v_add_f32_e32 v0, v13, v0
	v_cndmask_b32_e32 v20, v22, v62, vcc_lo
	v_add3_u32 v22, v63, v21, 0x7fff
	v_mul_f32_e32 v62, v4, v64
	v_or_b32_e32 v63, 0x400000, v21
	v_add3_u32 v64, v65, v19, 0x7fff
	v_lshlrev_b32_e32 v65, 16, v80
	v_cmp_u_f32_e32 vcc_lo, v21, v21
	v_bfe_u32 v67, v62, 16, 1
	v_and_b32_e32 v20, 0xffff0000, v20
	v_cndmask_b32_e32 v21, v22, v63, vcc_lo
	v_mul_f32_e32 v22, v5, v65
	v_cmp_u_f32_e32 vcc_lo, v19, v19
	v_add3_u32 v63, v67, v62, 0x7fff
	v_add_f32_e32 v13, v20, v14
	v_lshlrev_b32_e32 v20, 16, v77
	v_bfe_u32 v65, v22, 16, 1
	v_cndmask_b32_e32 v19, v64, v66, vcc_lo
	v_or_b32_e32 v64, 0x400000, v62
	v_cmp_u_f32_e32 vcc_lo, v62, v62
	v_add_f32_e32 v0, v13, v0
	v_mul_f32_e32 v13, v1, v20
	v_and_b32_e32 v14, 0xffff0000, v19
	v_and_b32_e32 v19, 0xffff0000, v21
	v_cndmask_b32_e32 v62, v63, v64, vcc_lo
	v_add3_u32 v63, v65, v22, 0x7fff
	v_or_b32_e32 v64, 0x400000, v22
	v_cmp_u_f32_e32 vcc_lo, v22, v22
	v_lshlrev_b32_e32 v21, 16, v76
	v_add_f32_e32 v14, v14, v19
	v_lshlrev_b32_e32 v66, 16, v74
	v_cndmask_b32_e32 v22, v63, v64, vcc_lo
	v_mul_f32_e32 v20, v6, v21
	v_and_b32_e32 v21, 0xffff0000, v62
	v_lshlrev_b32_e32 v62, 16, v73
	v_add_f32_e32 v0, v14, v0
	v_and_b32_e32 v19, 0xffff0000, v22
	v_bfe_u32 v22, v13, 16, 1
	v_bfe_u32 v14, v20, 16, 1
	v_mul_f32_e32 v62, v2, v62
	v_lshlrev_b32_e32 v64, 16, v75
	v_add_f32_e32 v19, v19, v21
	v_add3_u32 v21, v22, v13, 0x7fff
	v_or_b32_e32 v22, 0x400000, v13
	v_cmp_u_f32_e32 vcc_lo, v13, v13
	v_add3_u32 v14, v14, v20, 0x7fff
	v_or_b32_e32 v63, 0x400000, v20
	v_add_f32_e32 v0, v19, v0
	v_cndmask_b32_e32 v13, v21, v22, vcc_lo
	v_bfe_u32 v21, v62, 16, 1
	v_cmp_u_f32_e32 vcc_lo, v20, v20
	v_mul_f32_e32 v20, v7, v64
	v_lshlrev_b32_e32 v22, 16, v70
	v_lshlrev_b32_e32 v64, 16, v71
	v_add3_u32 v21, v21, v62, 0x7fff
	v_cndmask_b32_e32 v14, v14, v63, vcc_lo
	v_or_b32_e32 v63, 0x400000, v62
	v_bfe_u32 v65, v20, 16, 1
	v_mul_f32_e32 v22, v3, v22
	v_cmp_u_f32_e32 vcc_lo, v62, v62
	v_mul_f32_e32 v62, v8, v64
	v_or_b32_e32 v64, 0x400000, v20
	v_and_b32_e32 v14, 0xffff0000, v14
	v_and_b32_e32 v13, 0xffff0000, v13
	v_cndmask_b32_e32 v21, v21, v63, vcc_lo
	v_add3_u32 v63, v65, v20, 0x7fff
	v_bfe_u32 v65, v22, 16, 1
	v_bfe_u32 v67, v62, 16, 1
	v_cmp_u_f32_e32 vcc_lo, v20, v20
	v_or_b32_e32 v68, 0x400000, v62
	v_and_b32_e32 v21, 0xffff0000, v21
	v_add_f32_e32 v13, v14, v13
	v_mul_f32_e32 v8, v8, v15
	v_cndmask_b32_e32 v20, v63, v64, vcc_lo
	v_add3_u32 v63, v65, v22, 0x7fff
	v_mul_f32_e32 v64, v4, v66
	v_or_b32_e32 v65, 0x400000, v22
	v_add3_u32 v66, v67, v62, 0x7fff
	v_lshlrev_b32_e32 v67, 16, v72
	v_cmp_u_f32_e32 vcc_lo, v22, v22
	v_bfe_u32 v69, v64, 16, 1
	v_and_b32_e32 v20, 0xffff0000, v20
	v_mul_f32_e32 v3, v3, v9
	v_lshlrev_b32_e32 v9, 16, v18
	v_cndmask_b32_e32 v22, v63, v65, vcc_lo
	v_mul_f32_e32 v63, v5, v67
	v_cmp_u_f32_e32 vcc_lo, v62, v62
	v_add3_u32 v65, v69, v64, 0x7fff
	v_add_f32_e32 v14, v20, v21
	v_and_b32_e32 v21, 0xffff0000, v22
	v_bfe_u32 v67, v63, 16, 1
	v_cndmask_b32_e32 v62, v66, v68, vcc_lo
	v_or_b32_e32 v66, 0x400000, v64
	v_cmp_u_f32_e32 vcc_lo, v64, v64
	v_lshlrev_b32_e32 v22, 16, v61
	v_add_f32_e32 v13, v14, v13
	v_and_b32_e32 v20, 0xffff0000, v62
	v_lshlrev_b32_e32 v18, 16, v119
	v_cndmask_b32_e32 v64, v65, v66, vcc_lo
	v_add3_u32 v65, v67, v63, 0x7fff
	v_or_b32_e32 v66, 0x400000, v63
	v_cmp_u_f32_e32 vcc_lo, v63, v63
	v_mul_f32_e32 v22, v1, v22
	v_add_f32_e32 v14, v20, v21
	v_mul_f32_e32 v5, v5, v9
	v_mul_f32_e32 v4, v4, v18
	v_cndmask_b32_e32 v61, v65, v66, vcc_lo
	v_bfe_u32 v62, v22, 16, 1
	v_add_f32_e32 v20, v14, v13
	v_bfe_u32 v13, v60, 16, 1
	v_mul_f32_e32 v14, v2, v57
	v_and_b32_e32 v21, 0xffff0000, v61
	v_and_b32_e32 v61, 0xffff0000, v64
	v_add3_u32 v57, v62, v22, 0x7fff
	v_cmp_u_f32_e32 vcc_lo, v22, v22
	v_add3_u32 v13, v13, v60, 0x7fff
	v_or_b32_e32 v62, 0x400000, v60
	v_add_f32_e32 v21, v21, v61
	v_or_b32_e32 v61, 0x400000, v22
	v_bfe_u32 v63, v14, 16, 1
	v_or_b32_e32 v9, 0x400000, v8
	v_bfe_u32 v18, v5, 16, 1
	v_add_f32_e32 v33, v33, v0
	v_cndmask_b32_e32 v22, v57, v61, vcc_lo
	v_cmp_u_f32_e32 vcc_lo, v60, v60
	v_mul_f32_e32 v57, v7, v59
	v_add3_u32 v59, v63, v14, 0x7fff
	v_or_b32_e32 v60, 0x400000, v14
	v_bfe_u32 v63, v58, 16, 1
	v_cndmask_b32_e32 v13, v13, v62, vcc_lo
	v_bfe_u32 v61, v57, 16, 1
	v_cmp_u_f32_e32 vcc_lo, v14, v14
	v_bfe_u32 v62, v55, 16, 1
	v_and_b32_e32 v22, 0xffff0000, v22
	v_and_b32_e32 v13, 0xffff0000, v13
	v_mul_f32_e32 v7, v7, v17
	v_cndmask_b32_e32 v14, v59, v60, vcc_lo
	v_add3_u32 v59, v61, v57, 0x7fff
	v_or_b32_e32 v60, 0x400000, v57
	v_bfe_u32 v61, v54, 16, 1
	v_cmp_u_f32_e32 vcc_lo, v57, v57
	v_and_b32_e32 v14, 0xffff0000, v14
	v_add_f32_e32 v13, v13, v22
	v_cndmask_b32_e32 v57, v59, v60, vcc_lo
	v_add3_u32 v59, v61, v54, 0x7fff
	v_or_b32_e32 v60, 0x400000, v54
	v_cmp_u_f32_e32 vcc_lo, v54, v54
	v_add3_u32 v61, v62, v55, 0x7fff
	v_or_b32_e32 v62, 0x400000, v55
	v_and_b32_e32 v57, 0xffff0000, v57
	v_cndmask_b32_e32 v54, v59, v60, vcc_lo
	v_cmp_u_f32_e32 vcc_lo, v55, v55
	v_add3_u32 v59, v63, v58, 0x7fff
	v_or_b32_e32 v60, 0x400000, v58
	v_add_f32_e32 v14, v57, v14
	v_and_b32_e32 v54, 0xffff0000, v54
	v_cndmask_b32_e32 v55, v61, v62, vcc_lo
	v_cmp_u_f32_e32 vcc_lo, v58, v58
	v_or_b32_e32 v57, 0x400000, v56
	v_add_f32_e32 v13, v14, v13
	v_mul_f32_e32 v14, v1, v53
	v_and_b32_e32 v22, 0xffff0000, v55
	v_cndmask_b32_e32 v58, v59, v60, vcc_lo
	v_bfe_u32 v59, v56, 16, 1
	v_cmp_u_f32_e32 vcc_lo, v56, v56
	v_add_f32_e32 v22, v22, v54
	v_bfe_u32 v54, v14, 16, 1
	v_add3_u32 v55, v59, v56, 0x7fff
	v_bfe_u32 v56, v52, 16, 1
	v_add_f32_e32 v13, v22, v13
	v_lshlrev_b32_e32 v22, 16, v49
	v_cndmask_b32_e32 v53, v55, v57, vcc_lo
	v_cmp_u_f32_e32 vcc_lo, v14, v14
	v_and_b32_e32 v55, 0xffff0000, v58
	v_mul_f32_e32 v22, v2, v22
	v_and_b32_e32 v49, 0xffff0000, v53
	v_add3_u32 v53, v54, v14, 0x7fff
	v_or_b32_e32 v54, 0x400000, v14
	v_mul_f32_e32 v2, v2, v16
	v_or_b32_e32 v57, 0x400000, v22
	v_cndmask_b32_e32 v14, v53, v54, vcc_lo
	v_bfe_u32 v53, v22, 16, 1
	v_add3_u32 v54, v56, v52, 0x7fff
	v_or_b32_e32 v56, 0x400000, v52
	v_cmp_u_f32_e32 vcc_lo, v52, v52
	v_and_b32_e32 v14, 0xffff0000, v14
	v_add3_u32 v53, v53, v22, 0x7fff
	v_cndmask_b32_e32 v52, v54, v56, vcc_lo
	v_bfe_u32 v54, v51, 16, 1
	v_cmp_u_f32_e32 vcc_lo, v22, v22
	v_or_b32_e32 v56, 0x400000, v51
	v_and_b32_e32 v52, 0xffff0000, v52
	v_add3_u32 v54, v54, v51, 0x7fff
	v_cndmask_b32_e32 v22, v53, v57, vcc_lo
	v_bfe_u32 v53, v47, 16, 1
	v_cmp_u_f32_e32 vcc_lo, v51, v51
	v_or_b32_e32 v57, 0x400000, v47
	v_add_f32_e32 v14, v52, v14
	v_and_b32_e32 v22, 0xffff0000, v22
	v_add3_u32 v53, v53, v47, 0x7fff
	v_cndmask_b32_e32 v51, v54, v56, vcc_lo
	v_bfe_u32 v54, v46, 16, 1
	v_cmp_u_f32_e32 vcc_lo, v47, v47
	v_bfe_u32 v56, v50, 16, 1
	v_and_b32_e32 v51, 0xffff0000, v51
	v_cndmask_b32_e32 v47, v53, v57, vcc_lo
	v_add3_u32 v53, v54, v46, 0x7fff
	v_or_b32_e32 v54, 0x400000, v46
	v_cmp_u_f32_e32 vcc_lo, v46, v46
	v_add3_u32 v56, v56, v50, 0x7fff
	v_or_b32_e32 v57, 0x400000, v50
	v_add_f32_e32 v22, v51, v22
	v_lshlrev_b32_e32 v51, 16, v115
	v_cndmask_b32_e32 v46, v53, v54, vcc_lo
	v_cmp_u_f32_e32 vcc_lo, v50, v50
	v_bfe_u32 v53, v48, 16, 1
	v_or_b32_e32 v54, 0x400000, v48
	v_and_b32_e32 v47, 0xffff0000, v47
	v_and_b32_e32 v46, 0xffff0000, v46
	v_cndmask_b32_e32 v50, v56, v57, vcc_lo
	v_lshlrev_b32_e32 v56, 16, v118
	v_add3_u32 v53, v53, v48, 0x7fff
	v_cmp_u_f32_e32 vcc_lo, v48, v48
	v_add_f32_e32 v14, v22, v14
	v_mul_f32_e32 v1, v1, v51
	v_mul_f32_e32 v6, v6, v56
	v_add_f32_e32 v46, v46, v47
	v_cndmask_b32_e32 v48, v53, v54, vcc_lo
	v_bfe_u32 v51, v1, 16, 1
	v_bfe_u32 v22, v6, 16, 1
	v_cmp_u_f32_e32 vcc_lo, v6, v6
	v_and_b32_e32 v47, 0xffff0000, v48
	v_or_b32_e32 v48, 0x400000, v6
	v_add3_u32 v17, v51, v1, 0x7fff
	v_add3_u32 v22, v22, v6, 0x7fff
	v_cndmask_b32_e32 v6, v22, v48, vcc_lo
	v_or_b32_e32 v22, 0x400000, v1
	v_bfe_u32 v48, v7, 16, 1
	v_cmp_u_f32_e32 vcc_lo, v1, v1
	v_and_b32_e32 v6, 0xffff0000, v6
	v_add3_u32 v16, v48, v7, 0x7fff
	v_cndmask_b32_e32 v1, v17, v22, vcc_lo
	v_or_b32_e32 v17, 0x400000, v7
	v_bfe_u32 v22, v2, 16, 1
	v_cmp_u_f32_e32 vcc_lo, v7, v7
	v_and_b32_e32 v1, 0xffff0000, v1
	v_add3_u32 v15, v22, v2, 0x7fff
	v_cndmask_b32_e32 v7, v16, v17, vcc_lo
	v_or_b32_e32 v16, 0x400000, v2
	v_bfe_u32 v17, v8, 16, 1
	v_cmp_u_f32_e32 vcc_lo, v2, v2
	v_bfe_u32 v22, v4, 16, 1
	v_and_b32_e32 v7, 0xffff0000, v7
	v_add_f32_e32 v1, v6, v1
	v_cndmask_b32_e32 v2, v15, v16, vcc_lo
	v_bfe_u32 v15, v3, 16, 1
	v_add3_u32 v16, v17, v8, 0x7fff
	v_cmp_u_f32_e32 vcc_lo, v8, v8
	v_or_b32_e32 v17, 0x400000, v3
	v_and_b32_e32 v2, 0xffff0000, v2
	v_add3_u32 v15, v15, v3, 0x7fff
	v_cndmask_b32_e32 v8, v16, v9, vcc_lo
	v_cmp_u_f32_e32 vcc_lo, v3, v3
	v_or_b32_e32 v16, 0x400000, v4
	v_add3_u32 v9, v18, v5, 0x7fff
	v_add_f32_e32 v2, v7, v2
	v_and_b32_e32 v6, 0xffff0000, v8
	v_cndmask_b32_e32 v3, v15, v17, vcc_lo
	v_add3_u32 v15, v22, v4, 0x7fff
	v_cmp_u_f32_e32 vcc_lo, v4, v4
	v_or_b32_e32 v17, 0x400000, v5
	v_and_b32_e32 v7, 0xffff0000, v50
	v_and_b32_e32 v3, 0xffff0000, v3
	v_add_f32_e32 v1, v2, v1
	v_cndmask_b32_e32 v4, v15, v16, vcc_lo
	v_cmp_u_f32_e32 vcc_lo, v5, v5
	v_add_f32_e32 v7, v47, v7
	v_add_f32_e32 v2, v6, v3
	;; [unrolled: 1-line block ×3, first 2 shown]
	v_and_b32_e32 v3, 0xffff0000, v4
	v_cndmask_b32_e32 v5, v9, v17, vcc_lo
	v_add_f32_e32 v1, v2, v1
	v_and_b32_e32 v4, 0xffff0000, v5
	v_add_f32_e32 v5, v49, v55
	v_add_f32_e32 v2, v4, v3
	;; [unrolled: 1-line block ×10, first 2 shown]
.LBB346_634:                            ;   in Loop: Header=BB346_635 Depth=1
	s_or_b32 exec_lo, exec_lo, s18
	v_add_nc_u32_e32 v45, 4, v45
	v_add_co_u32 v11, s0, v11, 16
	v_add_co_ci_u32_e64 v12, null, 0, v12, s0
	v_cmp_le_i32_e32 vcc_lo, s20, v45
	v_add_nc_u32_e32 v23, 0x80, v23
	v_add_nc_u32_e32 v43, 0x200, v43
	s_or_b32 s17, vcc_lo, s17
	s_andn2_b32 exec_lo, exec_lo, s17
	s_cbranch_execz .LBB346_1256
.LBB346_635:                            ; =>This Inner Loop Header: Depth=1
	v_mul_hi_u32 v0, v23, s19
	v_mul_lo_u32 v1, v0, s16
	v_add_nc_u32_e32 v2, 1, v0
	v_sub_nc_u32_e32 v1, v23, v1
	v_subrev_nc_u32_e32 v3, s16, v1
	v_cmp_le_u32_e32 vcc_lo, s16, v1
	v_cndmask_b32_e32 v0, v0, v2, vcc_lo
	v_cndmask_b32_e32 v1, v1, v3, vcc_lo
	v_add_nc_u32_e32 v2, 1, v0
	v_cmp_le_u32_e32 vcc_lo, s16, v1
	v_cndmask_b32_e32 v0, v0, v2, vcc_lo
	v_xor_b32_e32 v0, s23, v0
	v_subrev_nc_u32_e32 v0, s23, v0
	v_add_nc_u32_e32 v1, s25, v0
	v_cmp_lt_i32_e64 s0, s4, v0
	v_sub_nc_u32_e32 v2, 0, v1
	v_max_i32_e32 v2, v1, v2
	v_ashrrev_i32_e32 v1, 31, v1
	v_mul_hi_u32 v3, v2, v44
	v_mul_lo_u32 v3, v3, s5
	v_sub_nc_u32_e32 v2, v2, v3
	v_subrev_nc_u32_e32 v3, s5, v2
	v_cmp_le_u32_e32 vcc_lo, s5, v2
	v_cndmask_b32_e32 v2, v2, v3, vcc_lo
	v_subrev_nc_u32_e32 v3, s5, v2
	v_cmp_le_u32_e32 vcc_lo, s5, v2
	v_cndmask_b32_e32 v2, v2, v3, vcc_lo
	v_xor_b32_e32 v2, v2, v1
	v_sub_nc_u32_e32 v1, v2, v1
	v_cmp_eq_u32_e32 vcc_lo, 0, v1
	s_or_b32 s0, vcc_lo, s0
	s_and_saveexec_b32 s18, s0
	s_cbranch_execz .LBB346_634
; %bb.636:                              ;   in Loop: Header=BB346_635 Depth=1
	global_load_dword v0, v[11:12], off
	s_clause 0x1
	buffer_load_dword v1, off, s[48:51], 0 offset:4
	buffer_load_dword v2, off, s[48:51], 0 offset:8
	v_mov_b32_e32 v21, 0
	s_waitcnt vmcnt(0)
	v_mad_i64_i32 v[15:16], null, v0, s12, v[1:2]
	v_mov_b32_e32 v0, 0
	global_load_dwordx2 v[17:18], v[15:16], off
	ds_read2_b64 v[5:8], v43 offset1:1
	ds_read2_b64 v[1:4], v43 offset0:2 offset1:3
	s_load_dword s21, s[14:15], 0x0
	s_waitcnt vmcnt(0)
	v_cmp_ne_u16_sdwa s22, v17, v10 src0_sel:BYTE_0 src1_sel:DWORD
	s_and_saveexec_b32 s0, s22
	s_cbranch_execz .LBB346_642
; %bb.637:                              ;   in Loop: Header=BB346_635 Depth=1
	v_cmp_ne_u16_sdwa s26, v17, v37 src0_sel:BYTE_0 src1_sel:DWORD
	v_bfrev_b32_e32 v0, 1
	s_and_saveexec_b32 s22, s26
	s_cbranch_execz .LBB346_641
; %bb.638:                              ;   in Loop: Header=BB346_635 Depth=1
	v_and_b32_e32 v9, 0x7f, v17
	v_mov_b32_e32 v0, 0x7f800001
	s_mov_b32 s26, exec_lo
	v_cmpx_ne_u32_e32 0x7f, v9
	s_cbranch_execz .LBB346_640
; %bb.639:                              ;   in Loop: Header=BB346_635 Depth=1
	v_and_b32_e32 v0, 7, v17
	v_cmp_gt_u32_e32 vcc_lo, 8, v9
	v_lshrrev_b32_e32 v13, 3, v9
	v_ffbh_u32_e32 v0, v0
	v_min_u32_e32 v0, 32, v0
	v_subrev_nc_u32_e32 v14, 28, v0
	v_sub_nc_u32_e32 v0, 29, v0
	v_cndmask_b32_e32 v9, 0, v14, vcc_lo
	v_cndmask_b32_e32 v0, v13, v0, vcc_lo
	v_lshlrev_b64 v[19:20], v9, v[17:18]
	v_lshlrev_b32_e32 v9, 24, v17
	v_lshl_add_u32 v0, v0, 23, 0x3c000000
	v_and_b32_e32 v9, 0x80000000, v9
	v_lshlrev_b32_e32 v13, 20, v19
	v_and_b32_e32 v13, 0x700000, v13
	v_or3_b32 v0, v13, v9, v0
.LBB346_640:                            ;   in Loop: Header=BB346_635 Depth=1
	s_or_b32 exec_lo, exec_lo, s26
.LBB346_641:                            ;   in Loop: Header=BB346_635 Depth=1
	s_or_b32 exec_lo, exec_lo, s22
.LBB346_642:                            ;   in Loop: Header=BB346_635 Depth=1
	s_or_b32 exec_lo, exec_lo, s0
	v_cmp_ne_u16_sdwa s22, v17, v10 src0_sel:BYTE_1 src1_sel:DWORD
	s_and_saveexec_b32 s0, s22
	s_cbranch_execz .LBB346_650
; %bb.643:                              ;   in Loop: Header=BB346_635 Depth=1
	v_cmp_ne_u16_sdwa s26, v17, v37 src0_sel:BYTE_1 src1_sel:DWORD
	v_bfrev_b32_e32 v21, 1
	s_and_saveexec_b32 s22, s26
	s_cbranch_execz .LBB346_649
; %bb.644:                              ;   in Loop: Header=BB346_635 Depth=1
	v_and_b32_sdwa v9, v38, v17 dst_sel:DWORD dst_unused:UNUSED_PAD src0_sel:DWORD src1_sel:BYTE_1
	v_mov_b32_e32 v21, 0x7f800001
	s_mov_b32 s26, exec_lo
	v_and_b32_e32 v20, 0x7f, v9
	v_cmpx_ne_u32_e32 0x7f, v20
	s_cbranch_execz .LBB346_648
; %bb.645:                              ;   in Loop: Header=BB346_635 Depth=1
	v_and_b32_e32 v9, 7, v9
	v_lshrrev_b32_e32 v19, 3, v20
	s_mov_b32 s27, exec_lo
	v_cmpx_gt_u32_e32 8, v20
; %bb.646:                              ;   in Loop: Header=BB346_635 Depth=1
	v_ffbh_u32_e32 v13, v9
	v_min_u32_e32 v13, 32, v13
	v_subrev_nc_u32_e32 v14, 28, v13
	v_sub_nc_u32_e32 v19, 29, v13
	v_lshlrev_b64 v[20:21], v14, v[9:10]
	v_and_b32_e32 v9, 7, v20
; %bb.647:                              ;   in Loop: Header=BB346_635 Depth=1
	s_or_b32 exec_lo, exec_lo, s27
	v_lshlrev_b32_e32 v13, 16, v17
	v_lshlrev_b32_e32 v9, 20, v9
	v_lshl_add_u32 v14, v19, 23, 0x3c000000
	v_and_b32_e32 v13, 0x80000000, v13
	v_or3_b32 v21, v9, v13, v14
.LBB346_648:                            ;   in Loop: Header=BB346_635 Depth=1
	s_or_b32 exec_lo, exec_lo, s26
.LBB346_649:                            ;   in Loop: Header=BB346_635 Depth=1
	s_or_b32 exec_lo, exec_lo, s22
.LBB346_650:                            ;   in Loop: Header=BB346_635 Depth=1
	s_or_b32 exec_lo, exec_lo, s0
	v_and_b32_sdwa v9, v17, v39 dst_sel:DWORD dst_unused:UNUSED_PAD src0_sel:WORD_1 src1_sel:DWORD
	v_mov_b32_e32 v46, 0
	v_mov_b32_e32 v22, 0
	s_mov_b32 s0, exec_lo
	v_cmpx_ne_u16_e32 0, v9
	s_cbranch_execz .LBB346_658
; %bb.651:                              ;   in Loop: Header=BB346_635 Depth=1
	v_bfrev_b32_e32 v22, 1
	s_mov_b32 s22, exec_lo
	v_cmpx_ne_u16_e32 0x80, v9
	s_cbranch_execz .LBB346_657
; %bb.652:                              ;   in Loop: Header=BB346_635 Depth=1
	v_bfe_u32 v20, v17, 16, 7
	v_mov_b32_e32 v22, 0x7f800001
	s_mov_b32 s26, exec_lo
	v_cmpx_ne_u32_e32 0x7f, v20
	s_cbranch_execz .LBB346_656
; %bb.653:                              ;   in Loop: Header=BB346_635 Depth=1
	v_and_b32_sdwa v9, v17, v40 dst_sel:DWORD dst_unused:UNUSED_PAD src0_sel:WORD_1 src1_sel:DWORD
	v_lshrrev_b32_e32 v19, 3, v20
	s_mov_b32 s27, exec_lo
	v_cmpx_gt_u32_e32 8, v20
; %bb.654:                              ;   in Loop: Header=BB346_635 Depth=1
	v_ffbh_u32_e32 v13, v9
	v_min_u32_e32 v13, 32, v13
	v_subrev_nc_u32_e32 v14, 28, v13
	v_sub_nc_u32_e32 v19, 29, v13
	v_lshlrev_b64 v[47:48], v14, v[9:10]
	v_and_b32_e32 v9, 7, v47
; %bb.655:                              ;   in Loop: Header=BB346_635 Depth=1
	s_or_b32 exec_lo, exec_lo, s27
	v_lshlrev_b32_sdwa v13, v41, v17 dst_sel:DWORD dst_unused:UNUSED_PAD src0_sel:DWORD src1_sel:WORD_1
	v_lshlrev_b32_e32 v9, 20, v9
	v_lshl_add_u32 v14, v19, 23, 0x3c000000
	v_and_b32_e32 v13, 0x80000000, v13
	v_or3_b32 v22, v9, v13, v14
.LBB346_656:                            ;   in Loop: Header=BB346_635 Depth=1
	s_or_b32 exec_lo, exec_lo, s26
.LBB346_657:                            ;   in Loop: Header=BB346_635 Depth=1
	s_or_b32 exec_lo, exec_lo, s22
.LBB346_658:                            ;   in Loop: Header=BB346_635 Depth=1
	s_or_b32 exec_lo, exec_lo, s0
	s_mov_b32 s0, exec_lo
	v_cmpx_lt_u32_e32 0xffffff, v17
	s_cbranch_execz .LBB346_666
; %bb.659:                              ;   in Loop: Header=BB346_635 Depth=1
	v_cmp_ne_u32_sdwa s26, v17, v37 src0_sel:BYTE_3 src1_sel:DWORD
	v_bfrev_b32_e32 v46, 1
	s_and_saveexec_b32 s22, s26
	s_cbranch_execz .LBB346_665
; %bb.660:                              ;   in Loop: Header=BB346_635 Depth=1
	v_bfe_u32 v20, v17, 24, 7
	v_mov_b32_e32 v46, 0x7f800001
	s_mov_b32 s26, exec_lo
	v_cmpx_ne_u32_e32 0x7f, v20
	s_cbranch_execz .LBB346_664
; %bb.661:                              ;   in Loop: Header=BB346_635 Depth=1
	v_and_b32_sdwa v9, v17, v40 dst_sel:DWORD dst_unused:UNUSED_PAD src0_sel:BYTE_3 src1_sel:DWORD
	v_lshrrev_b32_e32 v19, 3, v20
	s_mov_b32 s27, exec_lo
	v_cmpx_gt_u32_e32 8, v20
; %bb.662:                              ;   in Loop: Header=BB346_635 Depth=1
	v_ffbh_u32_e32 v13, v9
	v_min_u32_e32 v13, 32, v13
	v_subrev_nc_u32_e32 v14, 28, v13
	v_sub_nc_u32_e32 v19, 29, v13
	v_lshlrev_b64 v[46:47], v14, v[9:10]
	v_and_b32_e32 v9, 7, v46
; %bb.663:                              ;   in Loop: Header=BB346_635 Depth=1
	s_or_b32 exec_lo, exec_lo, s27
	v_lshlrev_b32_sdwa v13, v41, v17 dst_sel:DWORD dst_unused:UNUSED_PAD src0_sel:DWORD src1_sel:BYTE_3
	v_lshlrev_b32_e32 v9, 20, v9
	v_lshl_add_u32 v14, v19, 23, 0x3c000000
	v_and_b32_e32 v13, 0x80000000, v13
	v_or3_b32 v46, v9, v13, v14
.LBB346_664:                            ;   in Loop: Header=BB346_635 Depth=1
	s_or_b32 exec_lo, exec_lo, s26
.LBB346_665:                            ;   in Loop: Header=BB346_635 Depth=1
	s_or_b32 exec_lo, exec_lo, s22
.LBB346_666:                            ;   in Loop: Header=BB346_635 Depth=1
	s_or_b32 exec_lo, exec_lo, s0
	v_mov_b32_e32 v9, v18
	v_cmp_ne_u16_sdwa s22, v18, v10 src0_sel:BYTE_0 src1_sel:DWORD
	v_mov_b32_e32 v19, 0
	v_mov_b32_e32 v47, 0
	s_and_saveexec_b32 s0, s22
	s_cbranch_execz .LBB346_672
; %bb.667:                              ;   in Loop: Header=BB346_635 Depth=1
	v_cmp_ne_u16_sdwa s26, v18, v37 src0_sel:BYTE_0 src1_sel:DWORD
	v_bfrev_b32_e32 v47, 1
	s_and_saveexec_b32 s22, s26
	s_cbranch_execz .LBB346_671
; %bb.668:                              ;   in Loop: Header=BB346_635 Depth=1
	v_and_b32_e32 v20, 0x7f, v18
	v_mov_b32_e32 v47, 0x7f800001
	s_mov_b32 s26, exec_lo
	v_cmpx_ne_u32_e32 0x7f, v20
	s_cbranch_execz .LBB346_670
; %bb.669:                              ;   in Loop: Header=BB346_635 Depth=1
	v_and_b32_e32 v13, 7, v18
	v_lshrrev_b32_e32 v14, 3, v20
	v_cmp_gt_u32_e32 vcc_lo, 8, v20
	v_ffbh_u32_e32 v13, v13
	v_min_u32_e32 v13, 32, v13
	v_subrev_nc_u32_e32 v47, 28, v13
	v_sub_nc_u32_e32 v13, 29, v13
	v_cndmask_b32_e32 v13, v14, v13, vcc_lo
	v_cndmask_b32_e32 v14, 0, v47, vcc_lo
	v_lshl_add_u32 v13, v13, 23, 0x3c000000
	v_lshlrev_b64 v[47:48], v14, v[9:10]
	v_lshlrev_b32_e32 v14, 24, v9
	v_and_b32_e32 v14, 0x80000000, v14
	v_lshlrev_b32_e32 v20, 20, v47
	v_and_b32_e32 v20, 0x700000, v20
	v_or3_b32 v47, v20, v14, v13
.LBB346_670:                            ;   in Loop: Header=BB346_635 Depth=1
	s_or_b32 exec_lo, exec_lo, s26
.LBB346_671:                            ;   in Loop: Header=BB346_635 Depth=1
	s_or_b32 exec_lo, exec_lo, s22
.LBB346_672:                            ;   in Loop: Header=BB346_635 Depth=1
	s_or_b32 exec_lo, exec_lo, s0
	v_cmp_ne_u16_sdwa s22, v9, v10 src0_sel:BYTE_1 src1_sel:DWORD
	s_and_saveexec_b32 s0, s22
	s_cbranch_execz .LBB346_680
; %bb.673:                              ;   in Loop: Header=BB346_635 Depth=1
	v_cmp_ne_u16_sdwa s26, v9, v37 src0_sel:BYTE_1 src1_sel:DWORD
	v_bfrev_b32_e32 v19, 1
	s_and_saveexec_b32 s22, s26
	s_cbranch_execz .LBB346_679
; %bb.674:                              ;   in Loop: Header=BB346_635 Depth=1
	v_and_b32_sdwa v20, v38, v9 dst_sel:DWORD dst_unused:UNUSED_PAD src0_sel:DWORD src1_sel:BYTE_1
	v_mov_b32_e32 v19, 0x7f800001
	s_mov_b32 s26, exec_lo
	v_and_b32_e32 v49, 0x7f, v20
	v_cmpx_ne_u32_e32 0x7f, v49
	s_cbranch_execz .LBB346_678
; %bb.675:                              ;   in Loop: Header=BB346_635 Depth=1
	v_and_b32_e32 v19, 7, v20
	v_mov_b32_e32 v20, v10
	v_lshrrev_b32_e32 v48, 3, v49
	s_mov_b32 s27, exec_lo
	v_cmpx_gt_u32_e32 8, v49
; %bb.676:                              ;   in Loop: Header=BB346_635 Depth=1
	v_ffbh_u32_e32 v13, v19
	v_min_u32_e32 v13, 32, v13
	v_subrev_nc_u32_e32 v14, 28, v13
	v_sub_nc_u32_e32 v48, 29, v13
	v_lshlrev_b64 v[19:20], v14, v[19:20]
	v_and_b32_e32 v19, 7, v19
; %bb.677:                              ;   in Loop: Header=BB346_635 Depth=1
	s_or_b32 exec_lo, exec_lo, s27
	v_lshlrev_b32_e32 v9, 16, v9
	v_lshlrev_b32_e32 v13, 20, v19
	v_lshl_add_u32 v14, v48, 23, 0x3c000000
	v_and_b32_e32 v9, 0x80000000, v9
	v_or3_b32 v19, v13, v9, v14
.LBB346_678:                            ;   in Loop: Header=BB346_635 Depth=1
	s_or_b32 exec_lo, exec_lo, s26
.LBB346_679:                            ;   in Loop: Header=BB346_635 Depth=1
	s_or_b32 exec_lo, exec_lo, s22
.LBB346_680:                            ;   in Loop: Header=BB346_635 Depth=1
	s_or_b32 exec_lo, exec_lo, s0
	v_and_b32_sdwa v9, v18, v39 dst_sel:DWORD dst_unused:UNUSED_PAD src0_sel:WORD_1 src1_sel:DWORD
	v_mov_b32_e32 v20, 0
	v_mov_b32_e32 v48, 0
	s_mov_b32 s0, exec_lo
	v_cmpx_ne_u16_e32 0, v9
	s_cbranch_execz .LBB346_688
; %bb.681:                              ;   in Loop: Header=BB346_635 Depth=1
	v_bfrev_b32_e32 v48, 1
	s_mov_b32 s22, exec_lo
	v_cmpx_ne_u16_e32 0x80, v9
	s_cbranch_execz .LBB346_687
; %bb.682:                              ;   in Loop: Header=BB346_635 Depth=1
	v_bfe_u32 v49, v18, 16, 7
	v_mov_b32_e32 v48, 0x7f800001
	s_mov_b32 s26, exec_lo
	v_cmpx_ne_u32_e32 0x7f, v49
	s_cbranch_execz .LBB346_686
; %bb.683:                              ;   in Loop: Header=BB346_635 Depth=1
	v_and_b32_sdwa v9, v18, v40 dst_sel:DWORD dst_unused:UNUSED_PAD src0_sel:WORD_1 src1_sel:DWORD
	v_lshrrev_b32_e32 v48, 3, v49
	s_mov_b32 s27, exec_lo
	v_cmpx_gt_u32_e32 8, v49
; %bb.684:                              ;   in Loop: Header=BB346_635 Depth=1
	v_ffbh_u32_e32 v13, v9
	v_min_u32_e32 v13, 32, v13
	v_subrev_nc_u32_e32 v14, 28, v13
	v_sub_nc_u32_e32 v48, 29, v13
	v_lshlrev_b64 v[49:50], v14, v[9:10]
	v_and_b32_e32 v9, 7, v49
; %bb.685:                              ;   in Loop: Header=BB346_635 Depth=1
	s_or_b32 exec_lo, exec_lo, s27
	v_lshlrev_b32_sdwa v13, v41, v18 dst_sel:DWORD dst_unused:UNUSED_PAD src0_sel:DWORD src1_sel:WORD_1
	v_lshlrev_b32_e32 v9, 20, v9
	v_lshl_add_u32 v14, v48, 23, 0x3c000000
	v_and_b32_e32 v13, 0x80000000, v13
	v_or3_b32 v48, v9, v13, v14
.LBB346_686:                            ;   in Loop: Header=BB346_635 Depth=1
	s_or_b32 exec_lo, exec_lo, s26
.LBB346_687:                            ;   in Loop: Header=BB346_635 Depth=1
	s_or_b32 exec_lo, exec_lo, s22
.LBB346_688:                            ;   in Loop: Header=BB346_635 Depth=1
	s_or_b32 exec_lo, exec_lo, s0
	s_mov_b32 s0, exec_lo
	v_cmpx_lt_u64_e64 s[2:3], v[17:18]
	s_cbranch_execz .LBB346_696
; %bb.689:                              ;   in Loop: Header=BB346_635 Depth=1
	v_cmp_ne_u32_sdwa s26, v18, v37 src0_sel:BYTE_3 src1_sel:DWORD
	v_bfrev_b32_e32 v20, 1
	s_and_saveexec_b32 s22, s26
	s_cbranch_execz .LBB346_695
; %bb.690:                              ;   in Loop: Header=BB346_635 Depth=1
	v_bfe_u32 v49, v18, 24, 7
	v_mov_b32_e32 v20, 0x7f800001
	s_mov_b32 s26, exec_lo
	v_cmpx_ne_u32_e32 0x7f, v49
	s_cbranch_execz .LBB346_694
; %bb.691:                              ;   in Loop: Header=BB346_635 Depth=1
	v_and_b32_sdwa v9, v18, v40 dst_sel:DWORD dst_unused:UNUSED_PAD src0_sel:BYTE_3 src1_sel:DWORD
	v_lshrrev_b32_e32 v17, 3, v49
	s_mov_b32 s27, exec_lo
	v_cmpx_gt_u32_e32 8, v49
; %bb.692:                              ;   in Loop: Header=BB346_635 Depth=1
	v_ffbh_u32_e32 v13, v9
	v_min_u32_e32 v13, 32, v13
	v_subrev_nc_u32_e32 v14, 28, v13
	v_sub_nc_u32_e32 v17, 29, v13
	v_lshlrev_b64 v[49:50], v14, v[9:10]
	v_and_b32_e32 v9, 7, v49
; %bb.693:                              ;   in Loop: Header=BB346_635 Depth=1
	s_or_b32 exec_lo, exec_lo, s27
	v_lshlrev_b32_sdwa v13, v41, v18 dst_sel:DWORD dst_unused:UNUSED_PAD src0_sel:DWORD src1_sel:BYTE_3
	v_lshlrev_b32_e32 v9, 20, v9
	v_lshl_add_u32 v14, v17, 23, 0x3c000000
	v_and_b32_e32 v13, 0x80000000, v13
	v_or3_b32 v20, v9, v13, v14
.LBB346_694:                            ;   in Loop: Header=BB346_635 Depth=1
	s_or_b32 exec_lo, exec_lo, s26
.LBB346_695:                            ;   in Loop: Header=BB346_635 Depth=1
	s_or_b32 exec_lo, exec_lo, s22
.LBB346_696:                            ;   in Loop: Header=BB346_635 Depth=1
	s_or_b32 exec_lo, exec_lo, s0
	s_waitcnt lgkmcnt(0)
	v_mul_f32_e32 v9, s21, v19
	v_mul_f32_e32 v13, s21, v47
	;; [unrolled: 1-line block ×5, first 2 shown]
	v_bfe_u32 v17, v9, 16, 1
	v_or_b32_e32 v19, 0x400000, v9
	v_bfe_u32 v22, v13, 16, 1
	v_cmp_u_f32_e64 s0, v9, v9
	v_or_b32_e32 v46, 0x400000, v13
	v_add3_u32 v17, v17, v9, 0x7fff
	v_bfe_u32 v47, v14, 16, 1
	v_add3_u32 v22, v22, v13, 0x7fff
	v_or_b32_e32 v49, 0x400000, v14
	v_add_nc_u32_e32 v62, v42, v23
	v_cndmask_b32_e64 v9, v17, v19, s0
	v_cmp_u_f32_e64 s0, v13, v13
	v_add3_u32 v19, v47, v14, 0x7fff
	v_bfe_u32 v17, v18, 16, 1
	v_cmp_eq_u32_e32 vcc_lo, s13, v45
	v_lshrrev_b32_e32 v47, 16, v9
	v_cndmask_b32_e64 v13, v22, v46, s0
	v_cmp_u_f32_e64 s0, v14, v14
	v_mul_f32_e32 v14, s21, v21
	v_add3_u32 v17, v17, v18, 0x7fff
	v_add_nc_u32_e32 v69, 1, v62
	v_lshrrev_b32_e32 v46, 16, v13
	v_cndmask_b32_e64 v9, v19, v49, s0
	v_or_b32_e32 v19, 0x400000, v18
	v_cmp_u_f32_e64 s0, v18, v18
	v_or_b32_e32 v18, 0x400000, v14
	v_add_nc_u32_e32 v68, 2, v62
	v_lshrrev_b32_e32 v49, 16, v9
	v_bfe_u32 v9, v14, 16, 1
	v_cndmask_b32_e64 v13, v17, v19, s0
	v_mul_f32_e32 v17, s21, v48
	v_mul_f32_e32 v19, s21, v20
	v_bfe_u32 v20, v0, 16, 1
	v_add3_u32 v9, v9, v14, 0x7fff
	v_cmp_u_f32_e64 s0, v14, v14
	v_bfe_u32 v21, v17, 16, 1
	v_bfe_u32 v14, v19, 16, 1
	v_or_b32_e32 v22, 0x400000, v17
	v_or_b32_e32 v48, 0x400000, v19
	v_cndmask_b32_e64 v9, v9, v18, s0
	v_add3_u32 v18, v20, v0, 0x7fff
	v_or_b32_e32 v20, 0x400000, v0
	v_cmp_u_f32_e64 s0, v0, v0
	v_add3_u32 v21, v21, v17, 0x7fff
	v_add3_u32 v14, v14, v19, 0x7fff
	v_lshrrev_b32_e32 v51, 16, v13
	v_lshrrev_b32_e32 v53, 16, v9
	v_cndmask_b32_e64 v0, v18, v20, s0
	v_cmp_u_f32_e64 s0, v17, v17
	v_add_nc_u32_e32 v67, 3, v62
	v_add_nc_u32_e32 v66, 4, v62
	;; [unrolled: 1-line block ×3, first 2 shown]
	v_lshrrev_b32_e32 v52, 16, v0
	v_cndmask_b32_e64 v17, v21, v22, s0
	v_cmp_u_f32_e64 s0, v19, v19
	v_add_nc_u32_e32 v64, 6, v62
	v_add_nc_u32_e32 v63, 7, v62
	v_cndmask_b32_e64 v14, v14, v48, s0
	v_lshrrev_b32_e32 v48, 16, v17
	v_lshrrev_b32_e32 v50, 16, v14
	s_and_saveexec_b32 s22, vcc_lo
	s_cbranch_execz .LBB346_698
; %bb.697:                              ;   in Loop: Header=BB346_635 Depth=1
	v_cmp_gt_i32_e64 s0, s33, v62
	v_cndmask_b32_e64 v52, 0, v52, s0
	v_cmp_gt_i32_e64 s0, s33, v69
	v_cndmask_b32_e64 v53, 0, v53, s0
	;; [unrolled: 2-line block ×8, first 2 shown]
.LBB346_698:                            ;   in Loop: Header=BB346_635 Depth=1
	s_or_b32 exec_lo, exec_lo, s22
	global_load_dwordx2 v[17:18], v[15:16], off offset:256
	v_mov_b32_e32 v21, 0
	v_mov_b32_e32 v0, 0
	s_waitcnt vmcnt(0)
	v_cmp_ne_u16_sdwa s0, v17, v10 src0_sel:BYTE_0 src1_sel:DWORD
	s_and_saveexec_b32 s22, s0
	s_cbranch_execz .LBB346_704
; %bb.699:                              ;   in Loop: Header=BB346_635 Depth=1
	v_cmp_ne_u16_sdwa s0, v17, v37 src0_sel:BYTE_0 src1_sel:DWORD
	v_bfrev_b32_e32 v0, 1
	s_and_saveexec_b32 s26, s0
	s_cbranch_execz .LBB346_703
; %bb.700:                              ;   in Loop: Header=BB346_635 Depth=1
	v_and_b32_e32 v9, 0x7f, v17
	v_mov_b32_e32 v0, 0x7f800001
	s_mov_b32 s27, exec_lo
	v_cmpx_ne_u32_e32 0x7f, v9
	s_cbranch_execz .LBB346_702
; %bb.701:                              ;   in Loop: Header=BB346_635 Depth=1
	v_and_b32_e32 v0, 7, v17
	v_cmp_gt_u32_e64 s0, 8, v9
	v_lshrrev_b32_e32 v13, 3, v9
	v_ffbh_u32_e32 v0, v0
	v_min_u32_e32 v0, 32, v0
	v_subrev_nc_u32_e32 v14, 28, v0
	v_sub_nc_u32_e32 v0, 29, v0
	v_cndmask_b32_e64 v9, 0, v14, s0
	v_cndmask_b32_e64 v0, v13, v0, s0
	v_lshlrev_b64 v[19:20], v9, v[17:18]
	v_lshlrev_b32_e32 v9, 24, v17
	v_lshl_add_u32 v0, v0, 23, 0x3c000000
	v_and_b32_e32 v9, 0x80000000, v9
	v_lshlrev_b32_e32 v13, 20, v19
	v_and_b32_e32 v13, 0x700000, v13
	v_or3_b32 v0, v13, v9, v0
.LBB346_702:                            ;   in Loop: Header=BB346_635 Depth=1
	s_or_b32 exec_lo, exec_lo, s27
.LBB346_703:                            ;   in Loop: Header=BB346_635 Depth=1
	s_or_b32 exec_lo, exec_lo, s26
.LBB346_704:                            ;   in Loop: Header=BB346_635 Depth=1
	s_or_b32 exec_lo, exec_lo, s22
	v_cmp_ne_u16_sdwa s0, v17, v10 src0_sel:BYTE_1 src1_sel:DWORD
	s_and_saveexec_b32 s22, s0
	s_cbranch_execz .LBB346_712
; %bb.705:                              ;   in Loop: Header=BB346_635 Depth=1
	v_cmp_ne_u16_sdwa s0, v17, v37 src0_sel:BYTE_1 src1_sel:DWORD
	v_bfrev_b32_e32 v21, 1
	s_and_saveexec_b32 s26, s0
	s_cbranch_execz .LBB346_711
; %bb.706:                              ;   in Loop: Header=BB346_635 Depth=1
	v_and_b32_sdwa v9, v38, v17 dst_sel:DWORD dst_unused:UNUSED_PAD src0_sel:DWORD src1_sel:BYTE_1
	v_mov_b32_e32 v21, 0x7f800001
	s_mov_b32 s27, exec_lo
	v_and_b32_e32 v20, 0x7f, v9
	v_cmpx_ne_u32_e32 0x7f, v20
	s_cbranch_execz .LBB346_710
; %bb.707:                              ;   in Loop: Header=BB346_635 Depth=1
	v_and_b32_e32 v9, 7, v9
	v_lshrrev_b32_e32 v19, 3, v20
	s_mov_b32 s28, exec_lo
	v_cmpx_gt_u32_e32 8, v20
; %bb.708:                              ;   in Loop: Header=BB346_635 Depth=1
	v_ffbh_u32_e32 v13, v9
	v_min_u32_e32 v13, 32, v13
	v_subrev_nc_u32_e32 v14, 28, v13
	v_sub_nc_u32_e32 v19, 29, v13
	v_lshlrev_b64 v[20:21], v14, v[9:10]
	v_and_b32_e32 v9, 7, v20
; %bb.709:                              ;   in Loop: Header=BB346_635 Depth=1
	s_or_b32 exec_lo, exec_lo, s28
	v_lshlrev_b32_e32 v13, 16, v17
	v_lshlrev_b32_e32 v9, 20, v9
	v_lshl_add_u32 v14, v19, 23, 0x3c000000
	v_and_b32_e32 v13, 0x80000000, v13
	v_or3_b32 v21, v9, v13, v14
.LBB346_710:                            ;   in Loop: Header=BB346_635 Depth=1
	s_or_b32 exec_lo, exec_lo, s27
.LBB346_711:                            ;   in Loop: Header=BB346_635 Depth=1
	s_or_b32 exec_lo, exec_lo, s26
.LBB346_712:                            ;   in Loop: Header=BB346_635 Depth=1
	s_or_b32 exec_lo, exec_lo, s22
	v_and_b32_sdwa v9, v17, v39 dst_sel:DWORD dst_unused:UNUSED_PAD src0_sel:WORD_1 src1_sel:DWORD
	v_mov_b32_e32 v54, 0
	v_mov_b32_e32 v22, 0
	s_mov_b32 s22, exec_lo
	v_cmpx_ne_u16_e32 0, v9
	s_cbranch_execz .LBB346_720
; %bb.713:                              ;   in Loop: Header=BB346_635 Depth=1
	v_bfrev_b32_e32 v22, 1
	s_mov_b32 s26, exec_lo
	v_cmpx_ne_u16_e32 0x80, v9
	s_cbranch_execz .LBB346_719
; %bb.714:                              ;   in Loop: Header=BB346_635 Depth=1
	v_bfe_u32 v20, v17, 16, 7
	v_mov_b32_e32 v22, 0x7f800001
	s_mov_b32 s27, exec_lo
	v_cmpx_ne_u32_e32 0x7f, v20
	s_cbranch_execz .LBB346_718
; %bb.715:                              ;   in Loop: Header=BB346_635 Depth=1
	v_and_b32_sdwa v9, v17, v40 dst_sel:DWORD dst_unused:UNUSED_PAD src0_sel:WORD_1 src1_sel:DWORD
	v_lshrrev_b32_e32 v19, 3, v20
	s_mov_b32 s28, exec_lo
	v_cmpx_gt_u32_e32 8, v20
; %bb.716:                              ;   in Loop: Header=BB346_635 Depth=1
	v_ffbh_u32_e32 v13, v9
	v_min_u32_e32 v13, 32, v13
	v_subrev_nc_u32_e32 v14, 28, v13
	v_sub_nc_u32_e32 v19, 29, v13
	v_lshlrev_b64 v[55:56], v14, v[9:10]
	v_and_b32_e32 v9, 7, v55
; %bb.717:                              ;   in Loop: Header=BB346_635 Depth=1
	s_or_b32 exec_lo, exec_lo, s28
	v_lshlrev_b32_sdwa v13, v41, v17 dst_sel:DWORD dst_unused:UNUSED_PAD src0_sel:DWORD src1_sel:WORD_1
	v_lshlrev_b32_e32 v9, 20, v9
	v_lshl_add_u32 v14, v19, 23, 0x3c000000
	v_and_b32_e32 v13, 0x80000000, v13
	v_or3_b32 v22, v9, v13, v14
.LBB346_718:                            ;   in Loop: Header=BB346_635 Depth=1
	s_or_b32 exec_lo, exec_lo, s27
.LBB346_719:                            ;   in Loop: Header=BB346_635 Depth=1
	s_or_b32 exec_lo, exec_lo, s26
.LBB346_720:                            ;   in Loop: Header=BB346_635 Depth=1
	s_or_b32 exec_lo, exec_lo, s22
	s_mov_b32 s22, exec_lo
	v_cmpx_lt_u32_e32 0xffffff, v17
	s_cbranch_execz .LBB346_728
; %bb.721:                              ;   in Loop: Header=BB346_635 Depth=1
	v_cmp_ne_u32_sdwa s0, v17, v37 src0_sel:BYTE_3 src1_sel:DWORD
	v_bfrev_b32_e32 v54, 1
	s_and_saveexec_b32 s26, s0
	s_cbranch_execz .LBB346_727
; %bb.722:                              ;   in Loop: Header=BB346_635 Depth=1
	v_bfe_u32 v20, v17, 24, 7
	v_mov_b32_e32 v54, 0x7f800001
	s_mov_b32 s27, exec_lo
	v_cmpx_ne_u32_e32 0x7f, v20
	s_cbranch_execz .LBB346_726
; %bb.723:                              ;   in Loop: Header=BB346_635 Depth=1
	v_and_b32_sdwa v9, v17, v40 dst_sel:DWORD dst_unused:UNUSED_PAD src0_sel:BYTE_3 src1_sel:DWORD
	v_lshrrev_b32_e32 v19, 3, v20
	s_mov_b32 s28, exec_lo
	v_cmpx_gt_u32_e32 8, v20
; %bb.724:                              ;   in Loop: Header=BB346_635 Depth=1
	v_ffbh_u32_e32 v13, v9
	v_min_u32_e32 v13, 32, v13
	v_subrev_nc_u32_e32 v14, 28, v13
	v_sub_nc_u32_e32 v19, 29, v13
	v_lshlrev_b64 v[54:55], v14, v[9:10]
	v_and_b32_e32 v9, 7, v54
; %bb.725:                              ;   in Loop: Header=BB346_635 Depth=1
	s_or_b32 exec_lo, exec_lo, s28
	v_lshlrev_b32_sdwa v13, v41, v17 dst_sel:DWORD dst_unused:UNUSED_PAD src0_sel:DWORD src1_sel:BYTE_3
	v_lshlrev_b32_e32 v9, 20, v9
	v_lshl_add_u32 v14, v19, 23, 0x3c000000
	v_and_b32_e32 v13, 0x80000000, v13
	v_or3_b32 v54, v9, v13, v14
.LBB346_726:                            ;   in Loop: Header=BB346_635 Depth=1
	s_or_b32 exec_lo, exec_lo, s27
.LBB346_727:                            ;   in Loop: Header=BB346_635 Depth=1
	s_or_b32 exec_lo, exec_lo, s26
.LBB346_728:                            ;   in Loop: Header=BB346_635 Depth=1
	s_or_b32 exec_lo, exec_lo, s22
	v_mov_b32_e32 v9, v18
	v_cmp_ne_u16_sdwa s0, v18, v10 src0_sel:BYTE_0 src1_sel:DWORD
	v_mov_b32_e32 v19, 0
	v_mov_b32_e32 v55, 0
	s_and_saveexec_b32 s22, s0
	s_cbranch_execz .LBB346_734
; %bb.729:                              ;   in Loop: Header=BB346_635 Depth=1
	v_cmp_ne_u16_sdwa s0, v18, v37 src0_sel:BYTE_0 src1_sel:DWORD
	v_bfrev_b32_e32 v55, 1
	s_and_saveexec_b32 s26, s0
	s_cbranch_execz .LBB346_733
; %bb.730:                              ;   in Loop: Header=BB346_635 Depth=1
	v_and_b32_e32 v20, 0x7f, v18
	v_mov_b32_e32 v55, 0x7f800001
	s_mov_b32 s27, exec_lo
	v_cmpx_ne_u32_e32 0x7f, v20
	s_cbranch_execz .LBB346_732
; %bb.731:                              ;   in Loop: Header=BB346_635 Depth=1
	v_and_b32_e32 v13, 7, v18
	v_lshrrev_b32_e32 v14, 3, v20
	v_cmp_gt_u32_e64 s0, 8, v20
	v_ffbh_u32_e32 v13, v13
	v_min_u32_e32 v13, 32, v13
	v_subrev_nc_u32_e32 v55, 28, v13
	v_sub_nc_u32_e32 v13, 29, v13
	v_cndmask_b32_e64 v13, v14, v13, s0
	v_cndmask_b32_e64 v14, 0, v55, s0
	v_lshl_add_u32 v13, v13, 23, 0x3c000000
	v_lshlrev_b64 v[55:56], v14, v[9:10]
	v_lshlrev_b32_e32 v14, 24, v9
	v_and_b32_e32 v14, 0x80000000, v14
	v_lshlrev_b32_e32 v20, 20, v55
	v_and_b32_e32 v20, 0x700000, v20
	v_or3_b32 v55, v20, v14, v13
.LBB346_732:                            ;   in Loop: Header=BB346_635 Depth=1
	s_or_b32 exec_lo, exec_lo, s27
.LBB346_733:                            ;   in Loop: Header=BB346_635 Depth=1
	s_or_b32 exec_lo, exec_lo, s26
.LBB346_734:                            ;   in Loop: Header=BB346_635 Depth=1
	s_or_b32 exec_lo, exec_lo, s22
	v_cmp_ne_u16_sdwa s0, v9, v10 src0_sel:BYTE_1 src1_sel:DWORD
	s_and_saveexec_b32 s22, s0
	s_cbranch_execz .LBB346_742
; %bb.735:                              ;   in Loop: Header=BB346_635 Depth=1
	v_cmp_ne_u16_sdwa s0, v9, v37 src0_sel:BYTE_1 src1_sel:DWORD
	v_bfrev_b32_e32 v19, 1
	s_and_saveexec_b32 s26, s0
	s_cbranch_execz .LBB346_741
; %bb.736:                              ;   in Loop: Header=BB346_635 Depth=1
	v_and_b32_sdwa v20, v38, v9 dst_sel:DWORD dst_unused:UNUSED_PAD src0_sel:DWORD src1_sel:BYTE_1
	v_mov_b32_e32 v19, 0x7f800001
	s_mov_b32 s27, exec_lo
	v_and_b32_e32 v57, 0x7f, v20
	v_cmpx_ne_u32_e32 0x7f, v57
	s_cbranch_execz .LBB346_740
; %bb.737:                              ;   in Loop: Header=BB346_635 Depth=1
	v_and_b32_e32 v19, 7, v20
	v_mov_b32_e32 v20, v10
	v_lshrrev_b32_e32 v56, 3, v57
	s_mov_b32 s28, exec_lo
	v_cmpx_gt_u32_e32 8, v57
; %bb.738:                              ;   in Loop: Header=BB346_635 Depth=1
	v_ffbh_u32_e32 v13, v19
	v_min_u32_e32 v13, 32, v13
	v_subrev_nc_u32_e32 v14, 28, v13
	v_sub_nc_u32_e32 v56, 29, v13
	v_lshlrev_b64 v[19:20], v14, v[19:20]
	v_and_b32_e32 v19, 7, v19
; %bb.739:                              ;   in Loop: Header=BB346_635 Depth=1
	s_or_b32 exec_lo, exec_lo, s28
	v_lshlrev_b32_e32 v9, 16, v9
	v_lshlrev_b32_e32 v13, 20, v19
	v_lshl_add_u32 v14, v56, 23, 0x3c000000
	v_and_b32_e32 v9, 0x80000000, v9
	v_or3_b32 v19, v13, v9, v14
.LBB346_740:                            ;   in Loop: Header=BB346_635 Depth=1
	s_or_b32 exec_lo, exec_lo, s27
.LBB346_741:                            ;   in Loop: Header=BB346_635 Depth=1
	s_or_b32 exec_lo, exec_lo, s26
.LBB346_742:                            ;   in Loop: Header=BB346_635 Depth=1
	s_or_b32 exec_lo, exec_lo, s22
	v_and_b32_sdwa v9, v18, v39 dst_sel:DWORD dst_unused:UNUSED_PAD src0_sel:WORD_1 src1_sel:DWORD
	v_mov_b32_e32 v20, 0
	v_mov_b32_e32 v56, 0
	s_mov_b32 s22, exec_lo
	v_cmpx_ne_u16_e32 0, v9
	s_cbranch_execz .LBB346_750
; %bb.743:                              ;   in Loop: Header=BB346_635 Depth=1
	v_bfrev_b32_e32 v56, 1
	s_mov_b32 s26, exec_lo
	v_cmpx_ne_u16_e32 0x80, v9
	s_cbranch_execz .LBB346_749
; %bb.744:                              ;   in Loop: Header=BB346_635 Depth=1
	v_bfe_u32 v57, v18, 16, 7
	v_mov_b32_e32 v56, 0x7f800001
	s_mov_b32 s27, exec_lo
	v_cmpx_ne_u32_e32 0x7f, v57
	s_cbranch_execz .LBB346_748
; %bb.745:                              ;   in Loop: Header=BB346_635 Depth=1
	v_and_b32_sdwa v9, v18, v40 dst_sel:DWORD dst_unused:UNUSED_PAD src0_sel:WORD_1 src1_sel:DWORD
	v_lshrrev_b32_e32 v56, 3, v57
	s_mov_b32 s28, exec_lo
	v_cmpx_gt_u32_e32 8, v57
; %bb.746:                              ;   in Loop: Header=BB346_635 Depth=1
	v_ffbh_u32_e32 v13, v9
	v_min_u32_e32 v13, 32, v13
	v_subrev_nc_u32_e32 v14, 28, v13
	v_sub_nc_u32_e32 v56, 29, v13
	v_lshlrev_b64 v[57:58], v14, v[9:10]
	v_and_b32_e32 v9, 7, v57
; %bb.747:                              ;   in Loop: Header=BB346_635 Depth=1
	s_or_b32 exec_lo, exec_lo, s28
	v_lshlrev_b32_sdwa v13, v41, v18 dst_sel:DWORD dst_unused:UNUSED_PAD src0_sel:DWORD src1_sel:WORD_1
	v_lshlrev_b32_e32 v9, 20, v9
	v_lshl_add_u32 v14, v56, 23, 0x3c000000
	v_and_b32_e32 v13, 0x80000000, v13
	v_or3_b32 v56, v9, v13, v14
.LBB346_748:                            ;   in Loop: Header=BB346_635 Depth=1
	s_or_b32 exec_lo, exec_lo, s27
.LBB346_749:                            ;   in Loop: Header=BB346_635 Depth=1
	s_or_b32 exec_lo, exec_lo, s26
.LBB346_750:                            ;   in Loop: Header=BB346_635 Depth=1
	s_or_b32 exec_lo, exec_lo, s22
	s_mov_b32 s22, exec_lo
	v_cmpx_lt_u64_e64 s[2:3], v[17:18]
	s_cbranch_execz .LBB346_758
; %bb.751:                              ;   in Loop: Header=BB346_635 Depth=1
	v_cmp_ne_u32_sdwa s0, v18, v37 src0_sel:BYTE_3 src1_sel:DWORD
	v_bfrev_b32_e32 v20, 1
	s_and_saveexec_b32 s26, s0
	s_cbranch_execz .LBB346_757
; %bb.752:                              ;   in Loop: Header=BB346_635 Depth=1
	v_bfe_u32 v57, v18, 24, 7
	v_mov_b32_e32 v20, 0x7f800001
	s_mov_b32 s27, exec_lo
	v_cmpx_ne_u32_e32 0x7f, v57
	s_cbranch_execz .LBB346_756
; %bb.753:                              ;   in Loop: Header=BB346_635 Depth=1
	v_and_b32_sdwa v9, v18, v40 dst_sel:DWORD dst_unused:UNUSED_PAD src0_sel:BYTE_3 src1_sel:DWORD
	v_lshrrev_b32_e32 v17, 3, v57
	s_mov_b32 s28, exec_lo
	v_cmpx_gt_u32_e32 8, v57
; %bb.754:                              ;   in Loop: Header=BB346_635 Depth=1
	v_ffbh_u32_e32 v13, v9
	v_min_u32_e32 v13, 32, v13
	v_subrev_nc_u32_e32 v14, 28, v13
	v_sub_nc_u32_e32 v17, 29, v13
	v_lshlrev_b64 v[57:58], v14, v[9:10]
	v_and_b32_e32 v9, 7, v57
; %bb.755:                              ;   in Loop: Header=BB346_635 Depth=1
	s_or_b32 exec_lo, exec_lo, s28
	v_lshlrev_b32_sdwa v13, v41, v18 dst_sel:DWORD dst_unused:UNUSED_PAD src0_sel:DWORD src1_sel:BYTE_3
	v_lshlrev_b32_e32 v9, 20, v9
	v_lshl_add_u32 v14, v17, 23, 0x3c000000
	v_and_b32_e32 v13, 0x80000000, v13
	v_or3_b32 v20, v9, v13, v14
.LBB346_756:                            ;   in Loop: Header=BB346_635 Depth=1
	s_or_b32 exec_lo, exec_lo, s27
.LBB346_757:                            ;   in Loop: Header=BB346_635 Depth=1
	s_or_b32 exec_lo, exec_lo, s26
.LBB346_758:                            ;   in Loop: Header=BB346_635 Depth=1
	s_or_b32 exec_lo, exec_lo, s22
	v_mul_f32_e32 v9, s21, v19
	v_mul_f32_e32 v13, s21, v55
	;; [unrolled: 1-line block ×5, first 2 shown]
	v_bfe_u32 v18, v9, 16, 1
	v_or_b32_e32 v19, 0x400000, v9
	v_bfe_u32 v22, v13, 16, 1
	v_cmp_u_f32_e64 s0, v9, v9
	v_or_b32_e32 v54, 0x400000, v13
	v_add3_u32 v18, v18, v9, 0x7fff
	v_bfe_u32 v55, v14, 16, 1
	v_add3_u32 v22, v22, v13, 0x7fff
	v_or_b32_e32 v57, 0x400000, v14
	v_bfe_u32 v58, v17, 16, 1
	v_cndmask_b32_e64 v9, v18, v19, s0
	v_cmp_u_f32_e64 s0, v13, v13
	v_add3_u32 v55, v55, v14, 0x7fff
	v_or_b32_e32 v19, 0x400000, v17
	v_add3_u32 v18, v58, v17, 0x7fff
	v_cndmask_b32_e64 v13, v22, v54, s0
	v_cmp_u_f32_e64 s0, v14, v14
	v_lshrrev_b32_e32 v54, 16, v9
	v_mul_f32_e32 v9, s21, v21
	v_cndmask_b32_e64 v14, v55, v57, s0
	v_lshrrev_b32_e32 v55, 16, v13
	v_bfe_u32 v13, v9, 16, 1
	v_cmp_u_f32_e64 s0, v17, v17
	v_mul_f32_e32 v17, s21, v56
	v_lshrrev_b32_e32 v57, 16, v14
	v_add3_u32 v13, v13, v9, 0x7fff
	v_cndmask_b32_e64 v14, v18, v19, s0
	v_or_b32_e32 v18, 0x400000, v9
	v_mul_f32_e32 v19, s21, v20
	v_bfe_u32 v20, v0, 16, 1
	v_cmp_u_f32_e64 s0, v9, v9
	v_bfe_u32 v21, v17, 16, 1
	v_or_b32_e32 v22, 0x400000, v17
	v_or_b32_e32 v56, 0x400000, v19
	v_lshrrev_b32_e32 v59, 16, v14
	v_cndmask_b32_e64 v9, v13, v18, s0
	v_add3_u32 v18, v20, v0, 0x7fff
	v_or_b32_e32 v20, 0x400000, v0
	v_cmp_u_f32_e64 s0, v0, v0
	v_bfe_u32 v13, v19, 16, 1
	v_add3_u32 v21, v21, v17, 0x7fff
	v_lshrrev_b32_e32 v61, 16, v9
	v_cndmask_b32_e64 v0, v18, v20, s0
	v_cmp_u_f32_e64 s0, v17, v17
	v_add3_u32 v13, v13, v19, 0x7fff
	v_lshrrev_b32_e32 v60, 16, v0
	v_cndmask_b32_e64 v17, v21, v22, s0
	v_cmp_u_f32_e64 s0, v19, v19
	v_cndmask_b32_e64 v13, v13, v56, s0
	v_lshrrev_b32_e32 v56, 16, v17
	v_lshrrev_b32_e32 v58, 16, v13
	s_and_saveexec_b32 s22, vcc_lo
	s_cbranch_execz .LBB346_760
; %bb.759:                              ;   in Loop: Header=BB346_635 Depth=1
	v_cmp_gt_i32_e64 s0, s33, v62
	v_cndmask_b32_e64 v60, 0, v60, s0
	v_cmp_gt_i32_e64 s0, s33, v69
	v_cndmask_b32_e64 v61, 0, v61, s0
	;; [unrolled: 2-line block ×8, first 2 shown]
.LBB346_760:                            ;   in Loop: Header=BB346_635 Depth=1
	s_or_b32 exec_lo, exec_lo, s22
	global_load_dwordx2 v[17:18], v[15:16], off offset:512
	v_mov_b32_e32 v21, 0
	v_mov_b32_e32 v0, 0
	s_waitcnt vmcnt(0)
	v_cmp_ne_u16_sdwa s0, v17, v10 src0_sel:BYTE_0 src1_sel:DWORD
	s_and_saveexec_b32 s22, s0
	s_cbranch_execz .LBB346_766
; %bb.761:                              ;   in Loop: Header=BB346_635 Depth=1
	v_cmp_ne_u16_sdwa s0, v17, v37 src0_sel:BYTE_0 src1_sel:DWORD
	v_bfrev_b32_e32 v0, 1
	s_and_saveexec_b32 s26, s0
	s_cbranch_execz .LBB346_765
; %bb.762:                              ;   in Loop: Header=BB346_635 Depth=1
	v_and_b32_e32 v9, 0x7f, v17
	v_mov_b32_e32 v0, 0x7f800001
	s_mov_b32 s27, exec_lo
	v_cmpx_ne_u32_e32 0x7f, v9
	s_cbranch_execz .LBB346_764
; %bb.763:                              ;   in Loop: Header=BB346_635 Depth=1
	v_and_b32_e32 v0, 7, v17
	v_cmp_gt_u32_e64 s0, 8, v9
	v_lshrrev_b32_e32 v13, 3, v9
	v_ffbh_u32_e32 v0, v0
	v_min_u32_e32 v0, 32, v0
	v_subrev_nc_u32_e32 v14, 28, v0
	v_sub_nc_u32_e32 v0, 29, v0
	v_cndmask_b32_e64 v9, 0, v14, s0
	v_cndmask_b32_e64 v0, v13, v0, s0
	v_lshlrev_b64 v[19:20], v9, v[17:18]
	v_lshlrev_b32_e32 v9, 24, v17
	v_lshl_add_u32 v0, v0, 23, 0x3c000000
	v_and_b32_e32 v9, 0x80000000, v9
	v_lshlrev_b32_e32 v13, 20, v19
	v_and_b32_e32 v13, 0x700000, v13
	v_or3_b32 v0, v13, v9, v0
.LBB346_764:                            ;   in Loop: Header=BB346_635 Depth=1
	s_or_b32 exec_lo, exec_lo, s27
.LBB346_765:                            ;   in Loop: Header=BB346_635 Depth=1
	s_or_b32 exec_lo, exec_lo, s26
.LBB346_766:                            ;   in Loop: Header=BB346_635 Depth=1
	s_or_b32 exec_lo, exec_lo, s22
	v_cmp_ne_u16_sdwa s0, v17, v10 src0_sel:BYTE_1 src1_sel:DWORD
	s_and_saveexec_b32 s22, s0
	s_cbranch_execz .LBB346_774
; %bb.767:                              ;   in Loop: Header=BB346_635 Depth=1
	v_cmp_ne_u16_sdwa s0, v17, v37 src0_sel:BYTE_1 src1_sel:DWORD
	v_bfrev_b32_e32 v21, 1
	s_and_saveexec_b32 s26, s0
	s_cbranch_execz .LBB346_773
; %bb.768:                              ;   in Loop: Header=BB346_635 Depth=1
	v_and_b32_sdwa v9, v38, v17 dst_sel:DWORD dst_unused:UNUSED_PAD src0_sel:DWORD src1_sel:BYTE_1
	v_mov_b32_e32 v21, 0x7f800001
	s_mov_b32 s27, exec_lo
	v_and_b32_e32 v20, 0x7f, v9
	v_cmpx_ne_u32_e32 0x7f, v20
	s_cbranch_execz .LBB346_772
; %bb.769:                              ;   in Loop: Header=BB346_635 Depth=1
	v_and_b32_e32 v9, 7, v9
	v_lshrrev_b32_e32 v19, 3, v20
	s_mov_b32 s28, exec_lo
	v_cmpx_gt_u32_e32 8, v20
; %bb.770:                              ;   in Loop: Header=BB346_635 Depth=1
	v_ffbh_u32_e32 v13, v9
	v_min_u32_e32 v13, 32, v13
	v_subrev_nc_u32_e32 v14, 28, v13
	v_sub_nc_u32_e32 v19, 29, v13
	v_lshlrev_b64 v[20:21], v14, v[9:10]
	v_and_b32_e32 v9, 7, v20
; %bb.771:                              ;   in Loop: Header=BB346_635 Depth=1
	s_or_b32 exec_lo, exec_lo, s28
	v_lshlrev_b32_e32 v13, 16, v17
	v_lshlrev_b32_e32 v9, 20, v9
	v_lshl_add_u32 v14, v19, 23, 0x3c000000
	v_and_b32_e32 v13, 0x80000000, v13
	v_or3_b32 v21, v9, v13, v14
.LBB346_772:                            ;   in Loop: Header=BB346_635 Depth=1
	s_or_b32 exec_lo, exec_lo, s27
.LBB346_773:                            ;   in Loop: Header=BB346_635 Depth=1
	s_or_b32 exec_lo, exec_lo, s26
.LBB346_774:                            ;   in Loop: Header=BB346_635 Depth=1
	s_or_b32 exec_lo, exec_lo, s22
	v_and_b32_sdwa v9, v17, v39 dst_sel:DWORD dst_unused:UNUSED_PAD src0_sel:WORD_1 src1_sel:DWORD
	v_mov_b32_e32 v70, 0
	v_mov_b32_e32 v22, 0
	s_mov_b32 s22, exec_lo
	v_cmpx_ne_u16_e32 0, v9
	s_cbranch_execz .LBB346_782
; %bb.775:                              ;   in Loop: Header=BB346_635 Depth=1
	v_bfrev_b32_e32 v22, 1
	s_mov_b32 s26, exec_lo
	v_cmpx_ne_u16_e32 0x80, v9
	s_cbranch_execz .LBB346_781
; %bb.776:                              ;   in Loop: Header=BB346_635 Depth=1
	v_bfe_u32 v20, v17, 16, 7
	v_mov_b32_e32 v22, 0x7f800001
	s_mov_b32 s27, exec_lo
	v_cmpx_ne_u32_e32 0x7f, v20
	s_cbranch_execz .LBB346_780
; %bb.777:                              ;   in Loop: Header=BB346_635 Depth=1
	v_and_b32_sdwa v9, v17, v40 dst_sel:DWORD dst_unused:UNUSED_PAD src0_sel:WORD_1 src1_sel:DWORD
	v_lshrrev_b32_e32 v19, 3, v20
	s_mov_b32 s28, exec_lo
	v_cmpx_gt_u32_e32 8, v20
; %bb.778:                              ;   in Loop: Header=BB346_635 Depth=1
	v_ffbh_u32_e32 v13, v9
	v_min_u32_e32 v13, 32, v13
	v_subrev_nc_u32_e32 v14, 28, v13
	v_sub_nc_u32_e32 v19, 29, v13
	v_lshlrev_b64 v[71:72], v14, v[9:10]
	v_and_b32_e32 v9, 7, v71
; %bb.779:                              ;   in Loop: Header=BB346_635 Depth=1
	s_or_b32 exec_lo, exec_lo, s28
	v_lshlrev_b32_sdwa v13, v41, v17 dst_sel:DWORD dst_unused:UNUSED_PAD src0_sel:DWORD src1_sel:WORD_1
	v_lshlrev_b32_e32 v9, 20, v9
	v_lshl_add_u32 v14, v19, 23, 0x3c000000
	v_and_b32_e32 v13, 0x80000000, v13
	v_or3_b32 v22, v9, v13, v14
.LBB346_780:                            ;   in Loop: Header=BB346_635 Depth=1
	s_or_b32 exec_lo, exec_lo, s27
.LBB346_781:                            ;   in Loop: Header=BB346_635 Depth=1
	s_or_b32 exec_lo, exec_lo, s26
.LBB346_782:                            ;   in Loop: Header=BB346_635 Depth=1
	s_or_b32 exec_lo, exec_lo, s22
	s_mov_b32 s22, exec_lo
	v_cmpx_lt_u32_e32 0xffffff, v17
	s_cbranch_execz .LBB346_790
; %bb.783:                              ;   in Loop: Header=BB346_635 Depth=1
	v_cmp_ne_u32_sdwa s0, v17, v37 src0_sel:BYTE_3 src1_sel:DWORD
	v_bfrev_b32_e32 v70, 1
	s_and_saveexec_b32 s26, s0
	s_cbranch_execz .LBB346_789
; %bb.784:                              ;   in Loop: Header=BB346_635 Depth=1
	v_bfe_u32 v20, v17, 24, 7
	v_mov_b32_e32 v70, 0x7f800001
	s_mov_b32 s27, exec_lo
	v_cmpx_ne_u32_e32 0x7f, v20
	s_cbranch_execz .LBB346_788
; %bb.785:                              ;   in Loop: Header=BB346_635 Depth=1
	v_and_b32_sdwa v9, v17, v40 dst_sel:DWORD dst_unused:UNUSED_PAD src0_sel:BYTE_3 src1_sel:DWORD
	v_lshrrev_b32_e32 v19, 3, v20
	s_mov_b32 s28, exec_lo
	v_cmpx_gt_u32_e32 8, v20
; %bb.786:                              ;   in Loop: Header=BB346_635 Depth=1
	v_ffbh_u32_e32 v13, v9
	v_min_u32_e32 v13, 32, v13
	v_subrev_nc_u32_e32 v14, 28, v13
	v_sub_nc_u32_e32 v19, 29, v13
	v_lshlrev_b64 v[70:71], v14, v[9:10]
	v_and_b32_e32 v9, 7, v70
; %bb.787:                              ;   in Loop: Header=BB346_635 Depth=1
	s_or_b32 exec_lo, exec_lo, s28
	v_lshlrev_b32_sdwa v13, v41, v17 dst_sel:DWORD dst_unused:UNUSED_PAD src0_sel:DWORD src1_sel:BYTE_3
	v_lshlrev_b32_e32 v9, 20, v9
	v_lshl_add_u32 v14, v19, 23, 0x3c000000
	v_and_b32_e32 v13, 0x80000000, v13
	v_or3_b32 v70, v9, v13, v14
.LBB346_788:                            ;   in Loop: Header=BB346_635 Depth=1
	s_or_b32 exec_lo, exec_lo, s27
.LBB346_789:                            ;   in Loop: Header=BB346_635 Depth=1
	s_or_b32 exec_lo, exec_lo, s26
.LBB346_790:                            ;   in Loop: Header=BB346_635 Depth=1
	s_or_b32 exec_lo, exec_lo, s22
	v_mov_b32_e32 v9, v18
	v_cmp_ne_u16_sdwa s0, v18, v10 src0_sel:BYTE_0 src1_sel:DWORD
	v_mov_b32_e32 v19, 0
	v_mov_b32_e32 v71, 0
	s_and_saveexec_b32 s22, s0
	s_cbranch_execz .LBB346_796
; %bb.791:                              ;   in Loop: Header=BB346_635 Depth=1
	v_cmp_ne_u16_sdwa s0, v18, v37 src0_sel:BYTE_0 src1_sel:DWORD
	v_bfrev_b32_e32 v71, 1
	s_and_saveexec_b32 s26, s0
	s_cbranch_execz .LBB346_795
; %bb.792:                              ;   in Loop: Header=BB346_635 Depth=1
	v_and_b32_e32 v20, 0x7f, v18
	v_mov_b32_e32 v71, 0x7f800001
	s_mov_b32 s27, exec_lo
	v_cmpx_ne_u32_e32 0x7f, v20
	s_cbranch_execz .LBB346_794
; %bb.793:                              ;   in Loop: Header=BB346_635 Depth=1
	v_and_b32_e32 v13, 7, v18
	v_lshrrev_b32_e32 v14, 3, v20
	v_cmp_gt_u32_e64 s0, 8, v20
	v_ffbh_u32_e32 v13, v13
	v_min_u32_e32 v13, 32, v13
	v_subrev_nc_u32_e32 v71, 28, v13
	v_sub_nc_u32_e32 v13, 29, v13
	v_cndmask_b32_e64 v13, v14, v13, s0
	v_cndmask_b32_e64 v14, 0, v71, s0
	v_lshl_add_u32 v13, v13, 23, 0x3c000000
	v_lshlrev_b64 v[71:72], v14, v[9:10]
	v_lshlrev_b32_e32 v14, 24, v9
	v_and_b32_e32 v14, 0x80000000, v14
	v_lshlrev_b32_e32 v20, 20, v71
	v_and_b32_e32 v20, 0x700000, v20
	v_or3_b32 v71, v20, v14, v13
.LBB346_794:                            ;   in Loop: Header=BB346_635 Depth=1
	s_or_b32 exec_lo, exec_lo, s27
.LBB346_795:                            ;   in Loop: Header=BB346_635 Depth=1
	s_or_b32 exec_lo, exec_lo, s26
.LBB346_796:                            ;   in Loop: Header=BB346_635 Depth=1
	s_or_b32 exec_lo, exec_lo, s22
	v_cmp_ne_u16_sdwa s0, v9, v10 src0_sel:BYTE_1 src1_sel:DWORD
	s_and_saveexec_b32 s22, s0
	s_cbranch_execz .LBB346_804
; %bb.797:                              ;   in Loop: Header=BB346_635 Depth=1
	v_cmp_ne_u16_sdwa s0, v9, v37 src0_sel:BYTE_1 src1_sel:DWORD
	v_bfrev_b32_e32 v19, 1
	s_and_saveexec_b32 s26, s0
	s_cbranch_execz .LBB346_803
; %bb.798:                              ;   in Loop: Header=BB346_635 Depth=1
	v_and_b32_sdwa v20, v38, v9 dst_sel:DWORD dst_unused:UNUSED_PAD src0_sel:DWORD src1_sel:BYTE_1
	v_mov_b32_e32 v19, 0x7f800001
	s_mov_b32 s27, exec_lo
	v_and_b32_e32 v73, 0x7f, v20
	v_cmpx_ne_u32_e32 0x7f, v73
	s_cbranch_execz .LBB346_802
; %bb.799:                              ;   in Loop: Header=BB346_635 Depth=1
	v_and_b32_e32 v19, 7, v20
	v_mov_b32_e32 v20, v10
	v_lshrrev_b32_e32 v72, 3, v73
	s_mov_b32 s28, exec_lo
	v_cmpx_gt_u32_e32 8, v73
; %bb.800:                              ;   in Loop: Header=BB346_635 Depth=1
	v_ffbh_u32_e32 v13, v19
	v_min_u32_e32 v13, 32, v13
	v_subrev_nc_u32_e32 v14, 28, v13
	v_sub_nc_u32_e32 v72, 29, v13
	v_lshlrev_b64 v[19:20], v14, v[19:20]
	v_and_b32_e32 v19, 7, v19
; %bb.801:                              ;   in Loop: Header=BB346_635 Depth=1
	s_or_b32 exec_lo, exec_lo, s28
	v_lshlrev_b32_e32 v9, 16, v9
	v_lshlrev_b32_e32 v13, 20, v19
	v_lshl_add_u32 v14, v72, 23, 0x3c000000
	v_and_b32_e32 v9, 0x80000000, v9
	v_or3_b32 v19, v13, v9, v14
.LBB346_802:                            ;   in Loop: Header=BB346_635 Depth=1
	s_or_b32 exec_lo, exec_lo, s27
.LBB346_803:                            ;   in Loop: Header=BB346_635 Depth=1
	s_or_b32 exec_lo, exec_lo, s26
.LBB346_804:                            ;   in Loop: Header=BB346_635 Depth=1
	s_or_b32 exec_lo, exec_lo, s22
	v_and_b32_sdwa v9, v18, v39 dst_sel:DWORD dst_unused:UNUSED_PAD src0_sel:WORD_1 src1_sel:DWORD
	v_mov_b32_e32 v20, 0
	v_mov_b32_e32 v72, 0
	s_mov_b32 s22, exec_lo
	v_cmpx_ne_u16_e32 0, v9
	s_cbranch_execz .LBB346_812
; %bb.805:                              ;   in Loop: Header=BB346_635 Depth=1
	v_bfrev_b32_e32 v72, 1
	s_mov_b32 s26, exec_lo
	v_cmpx_ne_u16_e32 0x80, v9
	s_cbranch_execz .LBB346_811
; %bb.806:                              ;   in Loop: Header=BB346_635 Depth=1
	v_bfe_u32 v73, v18, 16, 7
	v_mov_b32_e32 v72, 0x7f800001
	s_mov_b32 s27, exec_lo
	v_cmpx_ne_u32_e32 0x7f, v73
	s_cbranch_execz .LBB346_810
; %bb.807:                              ;   in Loop: Header=BB346_635 Depth=1
	v_and_b32_sdwa v9, v18, v40 dst_sel:DWORD dst_unused:UNUSED_PAD src0_sel:WORD_1 src1_sel:DWORD
	v_lshrrev_b32_e32 v72, 3, v73
	s_mov_b32 s28, exec_lo
	v_cmpx_gt_u32_e32 8, v73
; %bb.808:                              ;   in Loop: Header=BB346_635 Depth=1
	v_ffbh_u32_e32 v13, v9
	v_min_u32_e32 v13, 32, v13
	v_subrev_nc_u32_e32 v14, 28, v13
	v_sub_nc_u32_e32 v72, 29, v13
	v_lshlrev_b64 v[73:74], v14, v[9:10]
	v_and_b32_e32 v9, 7, v73
; %bb.809:                              ;   in Loop: Header=BB346_635 Depth=1
	s_or_b32 exec_lo, exec_lo, s28
	v_lshlrev_b32_sdwa v13, v41, v18 dst_sel:DWORD dst_unused:UNUSED_PAD src0_sel:DWORD src1_sel:WORD_1
	v_lshlrev_b32_e32 v9, 20, v9
	v_lshl_add_u32 v14, v72, 23, 0x3c000000
	v_and_b32_e32 v13, 0x80000000, v13
	v_or3_b32 v72, v9, v13, v14
.LBB346_810:                            ;   in Loop: Header=BB346_635 Depth=1
	s_or_b32 exec_lo, exec_lo, s27
.LBB346_811:                            ;   in Loop: Header=BB346_635 Depth=1
	s_or_b32 exec_lo, exec_lo, s26
.LBB346_812:                            ;   in Loop: Header=BB346_635 Depth=1
	s_or_b32 exec_lo, exec_lo, s22
	s_mov_b32 s22, exec_lo
	v_cmpx_lt_u64_e64 s[2:3], v[17:18]
	s_cbranch_execz .LBB346_820
; %bb.813:                              ;   in Loop: Header=BB346_635 Depth=1
	v_cmp_ne_u32_sdwa s0, v18, v37 src0_sel:BYTE_3 src1_sel:DWORD
	v_bfrev_b32_e32 v20, 1
	s_and_saveexec_b32 s26, s0
	s_cbranch_execz .LBB346_819
; %bb.814:                              ;   in Loop: Header=BB346_635 Depth=1
	v_bfe_u32 v73, v18, 24, 7
	v_mov_b32_e32 v20, 0x7f800001
	s_mov_b32 s27, exec_lo
	v_cmpx_ne_u32_e32 0x7f, v73
	s_cbranch_execz .LBB346_818
; %bb.815:                              ;   in Loop: Header=BB346_635 Depth=1
	v_and_b32_sdwa v9, v18, v40 dst_sel:DWORD dst_unused:UNUSED_PAD src0_sel:BYTE_3 src1_sel:DWORD
	v_lshrrev_b32_e32 v17, 3, v73
	s_mov_b32 s28, exec_lo
	v_cmpx_gt_u32_e32 8, v73
; %bb.816:                              ;   in Loop: Header=BB346_635 Depth=1
	v_ffbh_u32_e32 v13, v9
	v_min_u32_e32 v13, 32, v13
	v_subrev_nc_u32_e32 v14, 28, v13
	v_sub_nc_u32_e32 v17, 29, v13
	v_lshlrev_b64 v[73:74], v14, v[9:10]
	v_and_b32_e32 v9, 7, v73
; %bb.817:                              ;   in Loop: Header=BB346_635 Depth=1
	s_or_b32 exec_lo, exec_lo, s28
	v_lshlrev_b32_sdwa v13, v41, v18 dst_sel:DWORD dst_unused:UNUSED_PAD src0_sel:DWORD src1_sel:BYTE_3
	v_lshlrev_b32_e32 v9, 20, v9
	v_lshl_add_u32 v14, v17, 23, 0x3c000000
	v_and_b32_e32 v13, 0x80000000, v13
	v_or3_b32 v20, v9, v13, v14
.LBB346_818:                            ;   in Loop: Header=BB346_635 Depth=1
	s_or_b32 exec_lo, exec_lo, s27
.LBB346_819:                            ;   in Loop: Header=BB346_635 Depth=1
	s_or_b32 exec_lo, exec_lo, s26
.LBB346_820:                            ;   in Loop: Header=BB346_635 Depth=1
	s_or_b32 exec_lo, exec_lo, s22
	v_mul_f32_e32 v9, s21, v19
	v_mul_f32_e32 v13, s21, v71
	v_mul_f32_e32 v14, s21, v70
	v_mul_f32_e32 v17, s21, v22
	v_mul_f32_e32 v0, s21, v0
	v_bfe_u32 v18, v9, 16, 1
	v_or_b32_e32 v19, 0x400000, v9
	v_bfe_u32 v22, v13, 16, 1
	v_cmp_u_f32_e64 s0, v9, v9
	v_or_b32_e32 v70, 0x400000, v13
	v_add3_u32 v18, v18, v9, 0x7fff
	v_bfe_u32 v71, v14, 16, 1
	v_add3_u32 v22, v22, v13, 0x7fff
	v_or_b32_e32 v73, 0x400000, v14
	v_bfe_u32 v74, v17, 16, 1
	v_cndmask_b32_e64 v9, v18, v19, s0
	v_cmp_u_f32_e64 s0, v13, v13
	v_add3_u32 v71, v71, v14, 0x7fff
	v_or_b32_e32 v19, 0x400000, v17
	v_add3_u32 v18, v74, v17, 0x7fff
	v_cndmask_b32_e64 v13, v22, v70, s0
	v_cmp_u_f32_e64 s0, v14, v14
	v_lshrrev_b32_e32 v70, 16, v9
	v_mul_f32_e32 v9, s21, v21
	v_cndmask_b32_e64 v14, v71, v73, s0
	v_lshrrev_b32_e32 v71, 16, v13
	v_bfe_u32 v13, v9, 16, 1
	v_cmp_u_f32_e64 s0, v17, v17
	v_mul_f32_e32 v17, s21, v72
	v_lshrrev_b32_e32 v73, 16, v14
	v_add3_u32 v13, v13, v9, 0x7fff
	v_cndmask_b32_e64 v14, v18, v19, s0
	v_or_b32_e32 v18, 0x400000, v9
	v_mul_f32_e32 v19, s21, v20
	v_bfe_u32 v20, v0, 16, 1
	v_cmp_u_f32_e64 s0, v9, v9
	v_bfe_u32 v21, v17, 16, 1
	v_or_b32_e32 v22, 0x400000, v17
	v_or_b32_e32 v72, 0x400000, v19
	v_lshrrev_b32_e32 v75, 16, v14
	v_cndmask_b32_e64 v9, v13, v18, s0
	v_add3_u32 v18, v20, v0, 0x7fff
	v_or_b32_e32 v20, 0x400000, v0
	v_cmp_u_f32_e64 s0, v0, v0
	v_bfe_u32 v13, v19, 16, 1
	v_add3_u32 v21, v21, v17, 0x7fff
	v_lshrrev_b32_e32 v77, 16, v9
	v_cndmask_b32_e64 v0, v18, v20, s0
	v_cmp_u_f32_e64 s0, v17, v17
	v_add3_u32 v13, v13, v19, 0x7fff
	v_lshrrev_b32_e32 v76, 16, v0
	v_cndmask_b32_e64 v17, v21, v22, s0
	v_cmp_u_f32_e64 s0, v19, v19
	v_cndmask_b32_e64 v13, v13, v72, s0
	v_lshrrev_b32_e32 v72, 16, v17
	v_lshrrev_b32_e32 v74, 16, v13
	s_and_saveexec_b32 s22, vcc_lo
	s_cbranch_execz .LBB346_822
; %bb.821:                              ;   in Loop: Header=BB346_635 Depth=1
	v_cmp_gt_i32_e64 s0, s33, v62
	v_cndmask_b32_e64 v76, 0, v76, s0
	v_cmp_gt_i32_e64 s0, s33, v69
	v_cndmask_b32_e64 v77, 0, v77, s0
	v_cmp_gt_i32_e64 s0, s33, v68
	v_cndmask_b32_e64 v75, 0, v75, s0
	v_cmp_gt_i32_e64 s0, s33, v67
	v_cndmask_b32_e64 v73, 0, v73, s0
	v_cmp_gt_i32_e64 s0, s33, v66
	v_cndmask_b32_e64 v71, 0, v71, s0
	v_cmp_gt_i32_e64 s0, s33, v65
	v_cndmask_b32_e64 v70, 0, v70, s0
	v_cmp_gt_i32_e64 s0, s33, v64
	v_cndmask_b32_e64 v72, 0, v72, s0
	v_cmp_gt_i32_e64 s0, s33, v63
	v_cndmask_b32_e64 v74, 0, v74, s0
.LBB346_822:                            ;   in Loop: Header=BB346_635 Depth=1
	s_or_b32 exec_lo, exec_lo, s22
	global_load_dwordx2 v[17:18], v[15:16], off offset:768
	v_mov_b32_e32 v21, 0
	v_mov_b32_e32 v0, 0
	s_waitcnt vmcnt(0)
	v_cmp_ne_u16_sdwa s0, v17, v10 src0_sel:BYTE_0 src1_sel:DWORD
	s_and_saveexec_b32 s22, s0
	s_cbranch_execz .LBB346_828
; %bb.823:                              ;   in Loop: Header=BB346_635 Depth=1
	v_cmp_ne_u16_sdwa s0, v17, v37 src0_sel:BYTE_0 src1_sel:DWORD
	v_bfrev_b32_e32 v0, 1
	s_and_saveexec_b32 s26, s0
	s_cbranch_execz .LBB346_827
; %bb.824:                              ;   in Loop: Header=BB346_635 Depth=1
	v_and_b32_e32 v9, 0x7f, v17
	v_mov_b32_e32 v0, 0x7f800001
	s_mov_b32 s27, exec_lo
	v_cmpx_ne_u32_e32 0x7f, v9
	s_cbranch_execz .LBB346_826
; %bb.825:                              ;   in Loop: Header=BB346_635 Depth=1
	v_and_b32_e32 v0, 7, v17
	v_cmp_gt_u32_e64 s0, 8, v9
	v_lshrrev_b32_e32 v13, 3, v9
	v_ffbh_u32_e32 v0, v0
	v_min_u32_e32 v0, 32, v0
	v_subrev_nc_u32_e32 v14, 28, v0
	v_sub_nc_u32_e32 v0, 29, v0
	v_cndmask_b32_e64 v9, 0, v14, s0
	v_cndmask_b32_e64 v0, v13, v0, s0
	v_lshlrev_b64 v[19:20], v9, v[17:18]
	v_lshlrev_b32_e32 v9, 24, v17
	v_lshl_add_u32 v0, v0, 23, 0x3c000000
	v_and_b32_e32 v9, 0x80000000, v9
	v_lshlrev_b32_e32 v13, 20, v19
	v_and_b32_e32 v13, 0x700000, v13
	v_or3_b32 v0, v13, v9, v0
.LBB346_826:                            ;   in Loop: Header=BB346_635 Depth=1
	s_or_b32 exec_lo, exec_lo, s27
.LBB346_827:                            ;   in Loop: Header=BB346_635 Depth=1
	s_or_b32 exec_lo, exec_lo, s26
.LBB346_828:                            ;   in Loop: Header=BB346_635 Depth=1
	s_or_b32 exec_lo, exec_lo, s22
	v_cmp_ne_u16_sdwa s0, v17, v10 src0_sel:BYTE_1 src1_sel:DWORD
	s_and_saveexec_b32 s22, s0
	s_cbranch_execz .LBB346_836
; %bb.829:                              ;   in Loop: Header=BB346_635 Depth=1
	v_cmp_ne_u16_sdwa s0, v17, v37 src0_sel:BYTE_1 src1_sel:DWORD
	v_bfrev_b32_e32 v21, 1
	s_and_saveexec_b32 s26, s0
	s_cbranch_execz .LBB346_835
; %bb.830:                              ;   in Loop: Header=BB346_635 Depth=1
	v_and_b32_sdwa v9, v38, v17 dst_sel:DWORD dst_unused:UNUSED_PAD src0_sel:DWORD src1_sel:BYTE_1
	v_mov_b32_e32 v21, 0x7f800001
	s_mov_b32 s27, exec_lo
	v_and_b32_e32 v20, 0x7f, v9
	v_cmpx_ne_u32_e32 0x7f, v20
	s_cbranch_execz .LBB346_834
; %bb.831:                              ;   in Loop: Header=BB346_635 Depth=1
	v_and_b32_e32 v9, 7, v9
	v_lshrrev_b32_e32 v19, 3, v20
	s_mov_b32 s28, exec_lo
	v_cmpx_gt_u32_e32 8, v20
; %bb.832:                              ;   in Loop: Header=BB346_635 Depth=1
	v_ffbh_u32_e32 v13, v9
	v_min_u32_e32 v13, 32, v13
	v_subrev_nc_u32_e32 v14, 28, v13
	v_sub_nc_u32_e32 v19, 29, v13
	v_lshlrev_b64 v[20:21], v14, v[9:10]
	v_and_b32_e32 v9, 7, v20
; %bb.833:                              ;   in Loop: Header=BB346_635 Depth=1
	s_or_b32 exec_lo, exec_lo, s28
	v_lshlrev_b32_e32 v13, 16, v17
	v_lshlrev_b32_e32 v9, 20, v9
	v_lshl_add_u32 v14, v19, 23, 0x3c000000
	v_and_b32_e32 v13, 0x80000000, v13
	v_or3_b32 v21, v9, v13, v14
.LBB346_834:                            ;   in Loop: Header=BB346_635 Depth=1
	s_or_b32 exec_lo, exec_lo, s27
.LBB346_835:                            ;   in Loop: Header=BB346_635 Depth=1
	s_or_b32 exec_lo, exec_lo, s26
.LBB346_836:                            ;   in Loop: Header=BB346_635 Depth=1
	s_or_b32 exec_lo, exec_lo, s22
	v_and_b32_sdwa v9, v17, v39 dst_sel:DWORD dst_unused:UNUSED_PAD src0_sel:WORD_1 src1_sel:DWORD
	v_mov_b32_e32 v78, 0
	v_mov_b32_e32 v22, 0
	s_mov_b32 s22, exec_lo
	v_cmpx_ne_u16_e32 0, v9
	s_cbranch_execz .LBB346_844
; %bb.837:                              ;   in Loop: Header=BB346_635 Depth=1
	v_bfrev_b32_e32 v22, 1
	s_mov_b32 s26, exec_lo
	v_cmpx_ne_u16_e32 0x80, v9
	s_cbranch_execz .LBB346_843
; %bb.838:                              ;   in Loop: Header=BB346_635 Depth=1
	v_bfe_u32 v20, v17, 16, 7
	v_mov_b32_e32 v22, 0x7f800001
	s_mov_b32 s27, exec_lo
	v_cmpx_ne_u32_e32 0x7f, v20
	s_cbranch_execz .LBB346_842
; %bb.839:                              ;   in Loop: Header=BB346_635 Depth=1
	v_and_b32_sdwa v9, v17, v40 dst_sel:DWORD dst_unused:UNUSED_PAD src0_sel:WORD_1 src1_sel:DWORD
	v_lshrrev_b32_e32 v19, 3, v20
	s_mov_b32 s28, exec_lo
	v_cmpx_gt_u32_e32 8, v20
; %bb.840:                              ;   in Loop: Header=BB346_635 Depth=1
	v_ffbh_u32_e32 v13, v9
	v_min_u32_e32 v13, 32, v13
	v_subrev_nc_u32_e32 v14, 28, v13
	v_sub_nc_u32_e32 v19, 29, v13
	v_lshlrev_b64 v[79:80], v14, v[9:10]
	v_and_b32_e32 v9, 7, v79
; %bb.841:                              ;   in Loop: Header=BB346_635 Depth=1
	s_or_b32 exec_lo, exec_lo, s28
	v_lshlrev_b32_sdwa v13, v41, v17 dst_sel:DWORD dst_unused:UNUSED_PAD src0_sel:DWORD src1_sel:WORD_1
	v_lshlrev_b32_e32 v9, 20, v9
	v_lshl_add_u32 v14, v19, 23, 0x3c000000
	v_and_b32_e32 v13, 0x80000000, v13
	v_or3_b32 v22, v9, v13, v14
.LBB346_842:                            ;   in Loop: Header=BB346_635 Depth=1
	s_or_b32 exec_lo, exec_lo, s27
.LBB346_843:                            ;   in Loop: Header=BB346_635 Depth=1
	s_or_b32 exec_lo, exec_lo, s26
.LBB346_844:                            ;   in Loop: Header=BB346_635 Depth=1
	s_or_b32 exec_lo, exec_lo, s22
	s_mov_b32 s22, exec_lo
	v_cmpx_lt_u32_e32 0xffffff, v17
	s_cbranch_execz .LBB346_852
; %bb.845:                              ;   in Loop: Header=BB346_635 Depth=1
	v_cmp_ne_u32_sdwa s0, v17, v37 src0_sel:BYTE_3 src1_sel:DWORD
	v_bfrev_b32_e32 v78, 1
	s_and_saveexec_b32 s26, s0
	s_cbranch_execz .LBB346_851
; %bb.846:                              ;   in Loop: Header=BB346_635 Depth=1
	v_bfe_u32 v20, v17, 24, 7
	v_mov_b32_e32 v78, 0x7f800001
	s_mov_b32 s27, exec_lo
	v_cmpx_ne_u32_e32 0x7f, v20
	s_cbranch_execz .LBB346_850
; %bb.847:                              ;   in Loop: Header=BB346_635 Depth=1
	v_and_b32_sdwa v9, v17, v40 dst_sel:DWORD dst_unused:UNUSED_PAD src0_sel:BYTE_3 src1_sel:DWORD
	v_lshrrev_b32_e32 v19, 3, v20
	s_mov_b32 s28, exec_lo
	v_cmpx_gt_u32_e32 8, v20
; %bb.848:                              ;   in Loop: Header=BB346_635 Depth=1
	v_ffbh_u32_e32 v13, v9
	v_min_u32_e32 v13, 32, v13
	v_subrev_nc_u32_e32 v14, 28, v13
	v_sub_nc_u32_e32 v19, 29, v13
	v_lshlrev_b64 v[78:79], v14, v[9:10]
	v_and_b32_e32 v9, 7, v78
; %bb.849:                              ;   in Loop: Header=BB346_635 Depth=1
	s_or_b32 exec_lo, exec_lo, s28
	v_lshlrev_b32_sdwa v13, v41, v17 dst_sel:DWORD dst_unused:UNUSED_PAD src0_sel:DWORD src1_sel:BYTE_3
	v_lshlrev_b32_e32 v9, 20, v9
	v_lshl_add_u32 v14, v19, 23, 0x3c000000
	v_and_b32_e32 v13, 0x80000000, v13
	v_or3_b32 v78, v9, v13, v14
.LBB346_850:                            ;   in Loop: Header=BB346_635 Depth=1
	s_or_b32 exec_lo, exec_lo, s27
.LBB346_851:                            ;   in Loop: Header=BB346_635 Depth=1
	s_or_b32 exec_lo, exec_lo, s26
.LBB346_852:                            ;   in Loop: Header=BB346_635 Depth=1
	s_or_b32 exec_lo, exec_lo, s22
	v_mov_b32_e32 v9, v18
	v_cmp_ne_u16_sdwa s0, v18, v10 src0_sel:BYTE_0 src1_sel:DWORD
	v_mov_b32_e32 v19, 0
	v_mov_b32_e32 v79, 0
	s_and_saveexec_b32 s22, s0
	s_cbranch_execz .LBB346_858
; %bb.853:                              ;   in Loop: Header=BB346_635 Depth=1
	v_cmp_ne_u16_sdwa s0, v18, v37 src0_sel:BYTE_0 src1_sel:DWORD
	v_bfrev_b32_e32 v79, 1
	s_and_saveexec_b32 s26, s0
	s_cbranch_execz .LBB346_857
; %bb.854:                              ;   in Loop: Header=BB346_635 Depth=1
	v_and_b32_e32 v20, 0x7f, v18
	v_mov_b32_e32 v79, 0x7f800001
	s_mov_b32 s27, exec_lo
	v_cmpx_ne_u32_e32 0x7f, v20
	s_cbranch_execz .LBB346_856
; %bb.855:                              ;   in Loop: Header=BB346_635 Depth=1
	v_and_b32_e32 v13, 7, v18
	v_lshrrev_b32_e32 v14, 3, v20
	v_cmp_gt_u32_e64 s0, 8, v20
	v_ffbh_u32_e32 v13, v13
	v_min_u32_e32 v13, 32, v13
	v_subrev_nc_u32_e32 v79, 28, v13
	v_sub_nc_u32_e32 v13, 29, v13
	v_cndmask_b32_e64 v13, v14, v13, s0
	v_cndmask_b32_e64 v14, 0, v79, s0
	v_lshl_add_u32 v13, v13, 23, 0x3c000000
	v_lshlrev_b64 v[79:80], v14, v[9:10]
	v_lshlrev_b32_e32 v14, 24, v9
	v_and_b32_e32 v14, 0x80000000, v14
	v_lshlrev_b32_e32 v20, 20, v79
	v_and_b32_e32 v20, 0x700000, v20
	v_or3_b32 v79, v20, v14, v13
.LBB346_856:                            ;   in Loop: Header=BB346_635 Depth=1
	s_or_b32 exec_lo, exec_lo, s27
.LBB346_857:                            ;   in Loop: Header=BB346_635 Depth=1
	s_or_b32 exec_lo, exec_lo, s26
.LBB346_858:                            ;   in Loop: Header=BB346_635 Depth=1
	s_or_b32 exec_lo, exec_lo, s22
	v_cmp_ne_u16_sdwa s0, v9, v10 src0_sel:BYTE_1 src1_sel:DWORD
	s_and_saveexec_b32 s22, s0
	s_cbranch_execz .LBB346_866
; %bb.859:                              ;   in Loop: Header=BB346_635 Depth=1
	v_cmp_ne_u16_sdwa s0, v9, v37 src0_sel:BYTE_1 src1_sel:DWORD
	v_bfrev_b32_e32 v19, 1
	s_and_saveexec_b32 s26, s0
	s_cbranch_execz .LBB346_865
; %bb.860:                              ;   in Loop: Header=BB346_635 Depth=1
	v_and_b32_sdwa v20, v38, v9 dst_sel:DWORD dst_unused:UNUSED_PAD src0_sel:DWORD src1_sel:BYTE_1
	v_mov_b32_e32 v19, 0x7f800001
	s_mov_b32 s27, exec_lo
	v_and_b32_e32 v81, 0x7f, v20
	v_cmpx_ne_u32_e32 0x7f, v81
	s_cbranch_execz .LBB346_864
; %bb.861:                              ;   in Loop: Header=BB346_635 Depth=1
	v_and_b32_e32 v19, 7, v20
	v_mov_b32_e32 v20, v10
	v_lshrrev_b32_e32 v80, 3, v81
	s_mov_b32 s28, exec_lo
	v_cmpx_gt_u32_e32 8, v81
; %bb.862:                              ;   in Loop: Header=BB346_635 Depth=1
	v_ffbh_u32_e32 v13, v19
	v_min_u32_e32 v13, 32, v13
	v_subrev_nc_u32_e32 v14, 28, v13
	v_sub_nc_u32_e32 v80, 29, v13
	v_lshlrev_b64 v[19:20], v14, v[19:20]
	v_and_b32_e32 v19, 7, v19
; %bb.863:                              ;   in Loop: Header=BB346_635 Depth=1
	s_or_b32 exec_lo, exec_lo, s28
	v_lshlrev_b32_e32 v9, 16, v9
	v_lshlrev_b32_e32 v13, 20, v19
	v_lshl_add_u32 v14, v80, 23, 0x3c000000
	v_and_b32_e32 v9, 0x80000000, v9
	v_or3_b32 v19, v13, v9, v14
.LBB346_864:                            ;   in Loop: Header=BB346_635 Depth=1
	s_or_b32 exec_lo, exec_lo, s27
.LBB346_865:                            ;   in Loop: Header=BB346_635 Depth=1
	s_or_b32 exec_lo, exec_lo, s26
.LBB346_866:                            ;   in Loop: Header=BB346_635 Depth=1
	s_or_b32 exec_lo, exec_lo, s22
	v_and_b32_sdwa v9, v18, v39 dst_sel:DWORD dst_unused:UNUSED_PAD src0_sel:WORD_1 src1_sel:DWORD
	v_mov_b32_e32 v20, 0
	v_mov_b32_e32 v80, 0
	s_mov_b32 s22, exec_lo
	v_cmpx_ne_u16_e32 0, v9
	s_cbranch_execz .LBB346_874
; %bb.867:                              ;   in Loop: Header=BB346_635 Depth=1
	v_bfrev_b32_e32 v80, 1
	s_mov_b32 s26, exec_lo
	v_cmpx_ne_u16_e32 0x80, v9
	s_cbranch_execz .LBB346_873
; %bb.868:                              ;   in Loop: Header=BB346_635 Depth=1
	v_bfe_u32 v81, v18, 16, 7
	v_mov_b32_e32 v80, 0x7f800001
	s_mov_b32 s27, exec_lo
	v_cmpx_ne_u32_e32 0x7f, v81
	s_cbranch_execz .LBB346_872
; %bb.869:                              ;   in Loop: Header=BB346_635 Depth=1
	v_and_b32_sdwa v9, v18, v40 dst_sel:DWORD dst_unused:UNUSED_PAD src0_sel:WORD_1 src1_sel:DWORD
	v_lshrrev_b32_e32 v80, 3, v81
	s_mov_b32 s28, exec_lo
	v_cmpx_gt_u32_e32 8, v81
; %bb.870:                              ;   in Loop: Header=BB346_635 Depth=1
	v_ffbh_u32_e32 v13, v9
	v_min_u32_e32 v13, 32, v13
	v_subrev_nc_u32_e32 v14, 28, v13
	v_sub_nc_u32_e32 v80, 29, v13
	v_lshlrev_b64 v[81:82], v14, v[9:10]
	v_and_b32_e32 v9, 7, v81
; %bb.871:                              ;   in Loop: Header=BB346_635 Depth=1
	s_or_b32 exec_lo, exec_lo, s28
	v_lshlrev_b32_sdwa v13, v41, v18 dst_sel:DWORD dst_unused:UNUSED_PAD src0_sel:DWORD src1_sel:WORD_1
	v_lshlrev_b32_e32 v9, 20, v9
	v_lshl_add_u32 v14, v80, 23, 0x3c000000
	v_and_b32_e32 v13, 0x80000000, v13
	v_or3_b32 v80, v9, v13, v14
.LBB346_872:                            ;   in Loop: Header=BB346_635 Depth=1
	s_or_b32 exec_lo, exec_lo, s27
.LBB346_873:                            ;   in Loop: Header=BB346_635 Depth=1
	s_or_b32 exec_lo, exec_lo, s26
.LBB346_874:                            ;   in Loop: Header=BB346_635 Depth=1
	s_or_b32 exec_lo, exec_lo, s22
	s_mov_b32 s22, exec_lo
	v_cmpx_lt_u64_e64 s[2:3], v[17:18]
	s_cbranch_execz .LBB346_882
; %bb.875:                              ;   in Loop: Header=BB346_635 Depth=1
	v_cmp_ne_u32_sdwa s0, v18, v37 src0_sel:BYTE_3 src1_sel:DWORD
	v_bfrev_b32_e32 v20, 1
	s_and_saveexec_b32 s26, s0
	s_cbranch_execz .LBB346_881
; %bb.876:                              ;   in Loop: Header=BB346_635 Depth=1
	v_bfe_u32 v81, v18, 24, 7
	v_mov_b32_e32 v20, 0x7f800001
	s_mov_b32 s27, exec_lo
	v_cmpx_ne_u32_e32 0x7f, v81
	s_cbranch_execz .LBB346_880
; %bb.877:                              ;   in Loop: Header=BB346_635 Depth=1
	v_and_b32_sdwa v9, v18, v40 dst_sel:DWORD dst_unused:UNUSED_PAD src0_sel:BYTE_3 src1_sel:DWORD
	v_lshrrev_b32_e32 v17, 3, v81
	s_mov_b32 s28, exec_lo
	v_cmpx_gt_u32_e32 8, v81
; %bb.878:                              ;   in Loop: Header=BB346_635 Depth=1
	v_ffbh_u32_e32 v13, v9
	v_min_u32_e32 v13, 32, v13
	v_subrev_nc_u32_e32 v14, 28, v13
	v_sub_nc_u32_e32 v17, 29, v13
	v_lshlrev_b64 v[81:82], v14, v[9:10]
	v_and_b32_e32 v9, 7, v81
; %bb.879:                              ;   in Loop: Header=BB346_635 Depth=1
	s_or_b32 exec_lo, exec_lo, s28
	v_lshlrev_b32_sdwa v13, v41, v18 dst_sel:DWORD dst_unused:UNUSED_PAD src0_sel:DWORD src1_sel:BYTE_3
	v_lshlrev_b32_e32 v9, 20, v9
	v_lshl_add_u32 v14, v17, 23, 0x3c000000
	v_and_b32_e32 v13, 0x80000000, v13
	v_or3_b32 v20, v9, v13, v14
.LBB346_880:                            ;   in Loop: Header=BB346_635 Depth=1
	s_or_b32 exec_lo, exec_lo, s27
.LBB346_881:                            ;   in Loop: Header=BB346_635 Depth=1
	s_or_b32 exec_lo, exec_lo, s26
.LBB346_882:                            ;   in Loop: Header=BB346_635 Depth=1
	s_or_b32 exec_lo, exec_lo, s22
	v_mul_f32_e32 v9, s21, v19
	v_mul_f32_e32 v13, s21, v79
	;; [unrolled: 1-line block ×5, first 2 shown]
	v_bfe_u32 v18, v9, 16, 1
	v_or_b32_e32 v19, 0x400000, v9
	v_bfe_u32 v22, v13, 16, 1
	v_cmp_u_f32_e64 s0, v9, v9
	v_or_b32_e32 v78, 0x400000, v13
	v_add3_u32 v18, v18, v9, 0x7fff
	v_bfe_u32 v79, v14, 16, 1
	v_add3_u32 v22, v22, v13, 0x7fff
	v_or_b32_e32 v81, 0x400000, v14
	v_bfe_u32 v82, v17, 16, 1
	v_cndmask_b32_e64 v9, v18, v19, s0
	v_cmp_u_f32_e64 s0, v13, v13
	v_add3_u32 v79, v79, v14, 0x7fff
	v_or_b32_e32 v19, 0x400000, v17
	v_add3_u32 v18, v82, v17, 0x7fff
	v_cndmask_b32_e64 v13, v22, v78, s0
	v_cmp_u_f32_e64 s0, v14, v14
	v_lshrrev_b32_e32 v78, 16, v9
	v_mul_f32_e32 v9, s21, v21
	v_cndmask_b32_e64 v14, v79, v81, s0
	v_lshrrev_b32_e32 v79, 16, v13
	v_bfe_u32 v13, v9, 16, 1
	v_cmp_u_f32_e64 s0, v17, v17
	v_mul_f32_e32 v17, s21, v80
	v_lshrrev_b32_e32 v81, 16, v14
	v_add3_u32 v13, v13, v9, 0x7fff
	v_cndmask_b32_e64 v14, v18, v19, s0
	v_or_b32_e32 v18, 0x400000, v9
	v_mul_f32_e32 v19, s21, v20
	v_bfe_u32 v20, v0, 16, 1
	v_cmp_u_f32_e64 s0, v9, v9
	v_bfe_u32 v21, v17, 16, 1
	v_or_b32_e32 v22, 0x400000, v17
	v_or_b32_e32 v80, 0x400000, v19
	v_lshrrev_b32_e32 v83, 16, v14
	v_cndmask_b32_e64 v9, v13, v18, s0
	v_add3_u32 v18, v20, v0, 0x7fff
	v_or_b32_e32 v20, 0x400000, v0
	v_cmp_u_f32_e64 s0, v0, v0
	v_bfe_u32 v13, v19, 16, 1
	v_add3_u32 v21, v21, v17, 0x7fff
	v_lshrrev_b32_e32 v85, 16, v9
	v_cndmask_b32_e64 v0, v18, v20, s0
	v_cmp_u_f32_e64 s0, v17, v17
	v_add3_u32 v13, v13, v19, 0x7fff
	v_lshrrev_b32_e32 v84, 16, v0
	v_cndmask_b32_e64 v17, v21, v22, s0
	v_cmp_u_f32_e64 s0, v19, v19
	v_cndmask_b32_e64 v13, v13, v80, s0
	v_lshrrev_b32_e32 v80, 16, v17
	v_lshrrev_b32_e32 v82, 16, v13
	s_and_saveexec_b32 s22, vcc_lo
	s_cbranch_execz .LBB346_884
; %bb.883:                              ;   in Loop: Header=BB346_635 Depth=1
	v_cmp_gt_i32_e64 s0, s33, v62
	v_cndmask_b32_e64 v84, 0, v84, s0
	v_cmp_gt_i32_e64 s0, s33, v69
	v_cndmask_b32_e64 v85, 0, v85, s0
	;; [unrolled: 2-line block ×8, first 2 shown]
.LBB346_884:                            ;   in Loop: Header=BB346_635 Depth=1
	s_or_b32 exec_lo, exec_lo, s22
	global_load_dwordx2 v[17:18], v[15:16], off offset:1024
	v_mov_b32_e32 v0, 0
	v_mov_b32_e32 v22, 0
	s_waitcnt vmcnt(0)
	v_cmp_ne_u16_sdwa s0, v17, v10 src0_sel:BYTE_0 src1_sel:DWORD
	s_and_saveexec_b32 s22, s0
	s_cbranch_execz .LBB346_890
; %bb.885:                              ;   in Loop: Header=BB346_635 Depth=1
	v_cmp_ne_u16_sdwa s0, v17, v37 src0_sel:BYTE_0 src1_sel:DWORD
	v_bfrev_b32_e32 v22, 1
	s_and_saveexec_b32 s26, s0
	s_cbranch_execz .LBB346_889
; %bb.886:                              ;   in Loop: Header=BB346_635 Depth=1
	v_and_b32_e32 v9, 0x7f, v17
	v_mov_b32_e32 v22, 0x7f800001
	s_mov_b32 s27, exec_lo
	v_cmpx_ne_u32_e32 0x7f, v9
	s_cbranch_execz .LBB346_888
; %bb.887:                              ;   in Loop: Header=BB346_635 Depth=1
	v_and_b32_e32 v13, 7, v17
	v_lshrrev_b32_e32 v14, 3, v9
	v_cmp_gt_u32_e64 s0, 8, v9
	v_ffbh_u32_e32 v13, v13
	v_min_u32_e32 v13, 32, v13
	v_subrev_nc_u32_e32 v19, 28, v13
	v_sub_nc_u32_e32 v13, 29, v13
	v_cndmask_b32_e64 v9, v14, v13, s0
	v_cndmask_b32_e64 v13, 0, v19, s0
	v_lshl_add_u32 v9, v9, 23, 0x3c000000
	v_lshlrev_b64 v[19:20], v13, v[17:18]
	v_lshlrev_b32_e32 v13, 24, v17
	v_and_b32_e32 v13, 0x80000000, v13
	v_lshlrev_b32_e32 v14, 20, v19
	v_and_b32_e32 v14, 0x700000, v14
	v_or3_b32 v22, v14, v13, v9
.LBB346_888:                            ;   in Loop: Header=BB346_635 Depth=1
	s_or_b32 exec_lo, exec_lo, s27
.LBB346_889:                            ;   in Loop: Header=BB346_635 Depth=1
	s_or_b32 exec_lo, exec_lo, s26
.LBB346_890:                            ;   in Loop: Header=BB346_635 Depth=1
	s_or_b32 exec_lo, exec_lo, s22
	v_cmp_ne_u16_sdwa s0, v17, v10 src0_sel:BYTE_1 src1_sel:DWORD
	s_and_saveexec_b32 s22, s0
	s_cbranch_execz .LBB346_898
; %bb.891:                              ;   in Loop: Header=BB346_635 Depth=1
	v_cmp_ne_u16_sdwa s0, v17, v37 src0_sel:BYTE_1 src1_sel:DWORD
	v_bfrev_b32_e32 v0, 1
	s_and_saveexec_b32 s26, s0
	s_cbranch_execz .LBB346_897
; %bb.892:                              ;   in Loop: Header=BB346_635 Depth=1
	v_and_b32_sdwa v9, v38, v17 dst_sel:DWORD dst_unused:UNUSED_PAD src0_sel:DWORD src1_sel:BYTE_1
	v_mov_b32_e32 v0, 0x7f800001
	s_mov_b32 s27, exec_lo
	v_and_b32_e32 v19, 0x7f, v9
	v_cmpx_ne_u32_e32 0x7f, v19
	s_cbranch_execz .LBB346_896
; %bb.893:                              ;   in Loop: Header=BB346_635 Depth=1
	v_and_b32_e32 v9, 7, v9
	v_lshrrev_b32_e32 v0, 3, v19
	s_mov_b32 s28, exec_lo
	v_cmpx_gt_u32_e32 8, v19
; %bb.894:                              ;   in Loop: Header=BB346_635 Depth=1
	v_ffbh_u32_e32 v0, v9
	v_min_u32_e32 v0, 32, v0
	v_subrev_nc_u32_e32 v13, 28, v0
	v_sub_nc_u32_e32 v0, 29, v0
	v_lshlrev_b64 v[19:20], v13, v[9:10]
	v_and_b32_e32 v9, 7, v19
; %bb.895:                              ;   in Loop: Header=BB346_635 Depth=1
	s_or_b32 exec_lo, exec_lo, s28
	v_lshlrev_b32_e32 v13, 16, v17
	v_lshlrev_b32_e32 v9, 20, v9
	v_lshl_add_u32 v0, v0, 23, 0x3c000000
	v_and_b32_e32 v13, 0x80000000, v13
	v_or3_b32 v0, v9, v13, v0
.LBB346_896:                            ;   in Loop: Header=BB346_635 Depth=1
	s_or_b32 exec_lo, exec_lo, s27
.LBB346_897:                            ;   in Loop: Header=BB346_635 Depth=1
	s_or_b32 exec_lo, exec_lo, s26
.LBB346_898:                            ;   in Loop: Header=BB346_635 Depth=1
	s_or_b32 exec_lo, exec_lo, s22
	v_and_b32_sdwa v9, v17, v39 dst_sel:DWORD dst_unused:UNUSED_PAD src0_sel:WORD_1 src1_sel:DWORD
	v_mov_b32_e32 v86, 0
	v_mov_b32_e32 v21, 0
	s_mov_b32 s22, exec_lo
	v_cmpx_ne_u16_e32 0, v9
	s_cbranch_execz .LBB346_906
; %bb.899:                              ;   in Loop: Header=BB346_635 Depth=1
	v_bfrev_b32_e32 v21, 1
	s_mov_b32 s26, exec_lo
	v_cmpx_ne_u16_e32 0x80, v9
	s_cbranch_execz .LBB346_905
; %bb.900:                              ;   in Loop: Header=BB346_635 Depth=1
	v_bfe_u32 v20, v17, 16, 7
	v_mov_b32_e32 v21, 0x7f800001
	s_mov_b32 s27, exec_lo
	v_cmpx_ne_u32_e32 0x7f, v20
	s_cbranch_execz .LBB346_904
; %bb.901:                              ;   in Loop: Header=BB346_635 Depth=1
	v_and_b32_sdwa v9, v17, v40 dst_sel:DWORD dst_unused:UNUSED_PAD src0_sel:WORD_1 src1_sel:DWORD
	v_lshrrev_b32_e32 v19, 3, v20
	s_mov_b32 s28, exec_lo
	v_cmpx_gt_u32_e32 8, v20
; %bb.902:                              ;   in Loop: Header=BB346_635 Depth=1
	v_ffbh_u32_e32 v13, v9
	v_min_u32_e32 v13, 32, v13
	v_subrev_nc_u32_e32 v14, 28, v13
	v_sub_nc_u32_e32 v19, 29, v13
	v_lshlrev_b64 v[20:21], v14, v[9:10]
	v_and_b32_e32 v9, 7, v20
; %bb.903:                              ;   in Loop: Header=BB346_635 Depth=1
	s_or_b32 exec_lo, exec_lo, s28
	v_lshlrev_b32_sdwa v13, v41, v17 dst_sel:DWORD dst_unused:UNUSED_PAD src0_sel:DWORD src1_sel:WORD_1
	v_lshlrev_b32_e32 v9, 20, v9
	v_lshl_add_u32 v14, v19, 23, 0x3c000000
	v_and_b32_e32 v13, 0x80000000, v13
	v_or3_b32 v21, v9, v13, v14
.LBB346_904:                            ;   in Loop: Header=BB346_635 Depth=1
	s_or_b32 exec_lo, exec_lo, s27
.LBB346_905:                            ;   in Loop: Header=BB346_635 Depth=1
	s_or_b32 exec_lo, exec_lo, s26
.LBB346_906:                            ;   in Loop: Header=BB346_635 Depth=1
	s_or_b32 exec_lo, exec_lo, s22
	s_mov_b32 s22, exec_lo
	v_cmpx_lt_u32_e32 0xffffff, v17
	s_cbranch_execz .LBB346_914
; %bb.907:                              ;   in Loop: Header=BB346_635 Depth=1
	v_cmp_ne_u32_sdwa s0, v17, v37 src0_sel:BYTE_3 src1_sel:DWORD
	v_bfrev_b32_e32 v86, 1
	s_and_saveexec_b32 s26, s0
	s_cbranch_execz .LBB346_913
; %bb.908:                              ;   in Loop: Header=BB346_635 Depth=1
	v_bfe_u32 v20, v17, 24, 7
	v_mov_b32_e32 v86, 0x7f800001
	s_mov_b32 s27, exec_lo
	v_cmpx_ne_u32_e32 0x7f, v20
	s_cbranch_execz .LBB346_912
; %bb.909:                              ;   in Loop: Header=BB346_635 Depth=1
	v_and_b32_sdwa v9, v17, v40 dst_sel:DWORD dst_unused:UNUSED_PAD src0_sel:BYTE_3 src1_sel:DWORD
	v_lshrrev_b32_e32 v19, 3, v20
	s_mov_b32 s28, exec_lo
	v_cmpx_gt_u32_e32 8, v20
; %bb.910:                              ;   in Loop: Header=BB346_635 Depth=1
	v_ffbh_u32_e32 v13, v9
	v_min_u32_e32 v13, 32, v13
	v_subrev_nc_u32_e32 v14, 28, v13
	v_sub_nc_u32_e32 v19, 29, v13
	v_lshlrev_b64 v[86:87], v14, v[9:10]
	v_and_b32_e32 v9, 7, v86
; %bb.911:                              ;   in Loop: Header=BB346_635 Depth=1
	s_or_b32 exec_lo, exec_lo, s28
	v_lshlrev_b32_sdwa v13, v41, v17 dst_sel:DWORD dst_unused:UNUSED_PAD src0_sel:DWORD src1_sel:BYTE_3
	v_lshlrev_b32_e32 v9, 20, v9
	v_lshl_add_u32 v14, v19, 23, 0x3c000000
	v_and_b32_e32 v13, 0x80000000, v13
	v_or3_b32 v86, v9, v13, v14
.LBB346_912:                            ;   in Loop: Header=BB346_635 Depth=1
	s_or_b32 exec_lo, exec_lo, s27
.LBB346_913:                            ;   in Loop: Header=BB346_635 Depth=1
	s_or_b32 exec_lo, exec_lo, s26
.LBB346_914:                            ;   in Loop: Header=BB346_635 Depth=1
	s_or_b32 exec_lo, exec_lo, s22
	v_mov_b32_e32 v9, v18
	v_cmp_ne_u16_sdwa s0, v18, v10 src0_sel:BYTE_0 src1_sel:DWORD
	v_mov_b32_e32 v19, 0
	v_mov_b32_e32 v87, 0
	s_and_saveexec_b32 s22, s0
	s_cbranch_execz .LBB346_920
; %bb.915:                              ;   in Loop: Header=BB346_635 Depth=1
	v_cmp_ne_u16_sdwa s0, v18, v37 src0_sel:BYTE_0 src1_sel:DWORD
	v_bfrev_b32_e32 v87, 1
	s_and_saveexec_b32 s26, s0
	s_cbranch_execz .LBB346_919
; %bb.916:                              ;   in Loop: Header=BB346_635 Depth=1
	v_and_b32_e32 v20, 0x7f, v18
	v_mov_b32_e32 v87, 0x7f800001
	s_mov_b32 s27, exec_lo
	v_cmpx_ne_u32_e32 0x7f, v20
	s_cbranch_execz .LBB346_918
; %bb.917:                              ;   in Loop: Header=BB346_635 Depth=1
	v_and_b32_e32 v13, 7, v18
	v_lshrrev_b32_e32 v14, 3, v20
	v_cmp_gt_u32_e64 s0, 8, v20
	v_ffbh_u32_e32 v13, v13
	v_min_u32_e32 v13, 32, v13
	v_subrev_nc_u32_e32 v87, 28, v13
	v_sub_nc_u32_e32 v13, 29, v13
	v_cndmask_b32_e64 v13, v14, v13, s0
	v_cndmask_b32_e64 v14, 0, v87, s0
	v_lshl_add_u32 v13, v13, 23, 0x3c000000
	v_lshlrev_b64 v[87:88], v14, v[9:10]
	v_lshlrev_b32_e32 v14, 24, v9
	v_and_b32_e32 v14, 0x80000000, v14
	v_lshlrev_b32_e32 v20, 20, v87
	v_and_b32_e32 v20, 0x700000, v20
	v_or3_b32 v87, v20, v14, v13
.LBB346_918:                            ;   in Loop: Header=BB346_635 Depth=1
	s_or_b32 exec_lo, exec_lo, s27
.LBB346_919:                            ;   in Loop: Header=BB346_635 Depth=1
	s_or_b32 exec_lo, exec_lo, s26
.LBB346_920:                            ;   in Loop: Header=BB346_635 Depth=1
	s_or_b32 exec_lo, exec_lo, s22
	v_cmp_ne_u16_sdwa s0, v9, v10 src0_sel:BYTE_1 src1_sel:DWORD
	s_and_saveexec_b32 s22, s0
	s_cbranch_execz .LBB346_928
; %bb.921:                              ;   in Loop: Header=BB346_635 Depth=1
	v_cmp_ne_u16_sdwa s0, v9, v37 src0_sel:BYTE_1 src1_sel:DWORD
	v_bfrev_b32_e32 v19, 1
	s_and_saveexec_b32 s26, s0
	s_cbranch_execz .LBB346_927
; %bb.922:                              ;   in Loop: Header=BB346_635 Depth=1
	v_and_b32_sdwa v20, v38, v9 dst_sel:DWORD dst_unused:UNUSED_PAD src0_sel:DWORD src1_sel:BYTE_1
	v_mov_b32_e32 v19, 0x7f800001
	s_mov_b32 s27, exec_lo
	v_and_b32_e32 v89, 0x7f, v20
	v_cmpx_ne_u32_e32 0x7f, v89
	s_cbranch_execz .LBB346_926
; %bb.923:                              ;   in Loop: Header=BB346_635 Depth=1
	v_and_b32_e32 v19, 7, v20
	v_mov_b32_e32 v20, v10
	v_lshrrev_b32_e32 v88, 3, v89
	s_mov_b32 s28, exec_lo
	v_cmpx_gt_u32_e32 8, v89
; %bb.924:                              ;   in Loop: Header=BB346_635 Depth=1
	v_ffbh_u32_e32 v13, v19
	v_min_u32_e32 v13, 32, v13
	v_subrev_nc_u32_e32 v14, 28, v13
	v_sub_nc_u32_e32 v88, 29, v13
	v_lshlrev_b64 v[19:20], v14, v[19:20]
	v_and_b32_e32 v19, 7, v19
; %bb.925:                              ;   in Loop: Header=BB346_635 Depth=1
	s_or_b32 exec_lo, exec_lo, s28
	v_lshlrev_b32_e32 v9, 16, v9
	v_lshlrev_b32_e32 v13, 20, v19
	v_lshl_add_u32 v14, v88, 23, 0x3c000000
	v_and_b32_e32 v9, 0x80000000, v9
	v_or3_b32 v19, v13, v9, v14
.LBB346_926:                            ;   in Loop: Header=BB346_635 Depth=1
	s_or_b32 exec_lo, exec_lo, s27
.LBB346_927:                            ;   in Loop: Header=BB346_635 Depth=1
	s_or_b32 exec_lo, exec_lo, s26
.LBB346_928:                            ;   in Loop: Header=BB346_635 Depth=1
	s_or_b32 exec_lo, exec_lo, s22
	v_and_b32_sdwa v9, v18, v39 dst_sel:DWORD dst_unused:UNUSED_PAD src0_sel:WORD_1 src1_sel:DWORD
	v_mov_b32_e32 v20, 0
	v_mov_b32_e32 v88, 0
	s_mov_b32 s22, exec_lo
	v_cmpx_ne_u16_e32 0, v9
	s_cbranch_execz .LBB346_936
; %bb.929:                              ;   in Loop: Header=BB346_635 Depth=1
	v_bfrev_b32_e32 v88, 1
	s_mov_b32 s26, exec_lo
	v_cmpx_ne_u16_e32 0x80, v9
	s_cbranch_execz .LBB346_935
; %bb.930:                              ;   in Loop: Header=BB346_635 Depth=1
	v_bfe_u32 v89, v18, 16, 7
	v_mov_b32_e32 v88, 0x7f800001
	s_mov_b32 s27, exec_lo
	v_cmpx_ne_u32_e32 0x7f, v89
	s_cbranch_execz .LBB346_934
; %bb.931:                              ;   in Loop: Header=BB346_635 Depth=1
	v_and_b32_sdwa v9, v18, v40 dst_sel:DWORD dst_unused:UNUSED_PAD src0_sel:WORD_1 src1_sel:DWORD
	v_lshrrev_b32_e32 v88, 3, v89
	s_mov_b32 s28, exec_lo
	v_cmpx_gt_u32_e32 8, v89
; %bb.932:                              ;   in Loop: Header=BB346_635 Depth=1
	v_ffbh_u32_e32 v13, v9
	v_min_u32_e32 v13, 32, v13
	v_subrev_nc_u32_e32 v14, 28, v13
	v_sub_nc_u32_e32 v88, 29, v13
	v_lshlrev_b64 v[89:90], v14, v[9:10]
	v_and_b32_e32 v9, 7, v89
; %bb.933:                              ;   in Loop: Header=BB346_635 Depth=1
	s_or_b32 exec_lo, exec_lo, s28
	v_lshlrev_b32_sdwa v13, v41, v18 dst_sel:DWORD dst_unused:UNUSED_PAD src0_sel:DWORD src1_sel:WORD_1
	v_lshlrev_b32_e32 v9, 20, v9
	v_lshl_add_u32 v14, v88, 23, 0x3c000000
	v_and_b32_e32 v13, 0x80000000, v13
	v_or3_b32 v88, v9, v13, v14
.LBB346_934:                            ;   in Loop: Header=BB346_635 Depth=1
	s_or_b32 exec_lo, exec_lo, s27
.LBB346_935:                            ;   in Loop: Header=BB346_635 Depth=1
	s_or_b32 exec_lo, exec_lo, s26
.LBB346_936:                            ;   in Loop: Header=BB346_635 Depth=1
	s_or_b32 exec_lo, exec_lo, s22
	s_mov_b32 s22, exec_lo
	v_cmpx_lt_u64_e64 s[2:3], v[17:18]
	s_cbranch_execz .LBB346_944
; %bb.937:                              ;   in Loop: Header=BB346_635 Depth=1
	v_cmp_ne_u32_sdwa s0, v18, v37 src0_sel:BYTE_3 src1_sel:DWORD
	v_bfrev_b32_e32 v20, 1
	s_and_saveexec_b32 s26, s0
	s_cbranch_execz .LBB346_943
; %bb.938:                              ;   in Loop: Header=BB346_635 Depth=1
	v_bfe_u32 v89, v18, 24, 7
	v_mov_b32_e32 v20, 0x7f800001
	s_mov_b32 s27, exec_lo
	v_cmpx_ne_u32_e32 0x7f, v89
	s_cbranch_execz .LBB346_942
; %bb.939:                              ;   in Loop: Header=BB346_635 Depth=1
	v_and_b32_sdwa v9, v18, v40 dst_sel:DWORD dst_unused:UNUSED_PAD src0_sel:BYTE_3 src1_sel:DWORD
	v_lshrrev_b32_e32 v17, 3, v89
	s_mov_b32 s28, exec_lo
	v_cmpx_gt_u32_e32 8, v89
; %bb.940:                              ;   in Loop: Header=BB346_635 Depth=1
	v_ffbh_u32_e32 v13, v9
	v_min_u32_e32 v13, 32, v13
	v_subrev_nc_u32_e32 v14, 28, v13
	v_sub_nc_u32_e32 v17, 29, v13
	v_lshlrev_b64 v[89:90], v14, v[9:10]
	v_and_b32_e32 v9, 7, v89
; %bb.941:                              ;   in Loop: Header=BB346_635 Depth=1
	s_or_b32 exec_lo, exec_lo, s28
	v_lshlrev_b32_sdwa v13, v41, v18 dst_sel:DWORD dst_unused:UNUSED_PAD src0_sel:DWORD src1_sel:BYTE_3
	v_lshlrev_b32_e32 v9, 20, v9
	v_lshl_add_u32 v14, v17, 23, 0x3c000000
	v_and_b32_e32 v13, 0x80000000, v13
	v_or3_b32 v20, v9, v13, v14
.LBB346_942:                            ;   in Loop: Header=BB346_635 Depth=1
	s_or_b32 exec_lo, exec_lo, s27
.LBB346_943:                            ;   in Loop: Header=BB346_635 Depth=1
	s_or_b32 exec_lo, exec_lo, s26
.LBB346_944:                            ;   in Loop: Header=BB346_635 Depth=1
	s_or_b32 exec_lo, exec_lo, s22
	v_mul_f32_e32 v9, s21, v19
	v_mul_f32_e32 v13, s21, v87
	;; [unrolled: 1-line block ×5, first 2 shown]
	v_bfe_u32 v18, v9, 16, 1
	v_or_b32_e32 v19, 0x400000, v9
	v_bfe_u32 v21, v13, 16, 1
	v_cmp_u_f32_e64 s0, v9, v9
	v_or_b32_e32 v86, 0x400000, v13
	v_add3_u32 v18, v18, v9, 0x7fff
	v_bfe_u32 v87, v14, 16, 1
	v_add3_u32 v21, v21, v13, 0x7fff
	v_or_b32_e32 v89, 0x400000, v14
	v_bfe_u32 v90, v17, 16, 1
	v_cndmask_b32_e64 v9, v18, v19, s0
	v_cmp_u_f32_e64 s0, v13, v13
	v_add3_u32 v87, v87, v14, 0x7fff
	v_or_b32_e32 v19, 0x400000, v17
	v_add3_u32 v18, v90, v17, 0x7fff
	v_cndmask_b32_e64 v13, v21, v86, s0
	v_cmp_u_f32_e64 s0, v14, v14
	v_lshrrev_b32_e32 v21, 16, v9
	v_mul_f32_e32 v9, s21, v0
	v_lshrrev_b32_e32 v0, 16, v13
	v_cndmask_b32_e64 v14, v87, v89, s0
	v_cmp_u_f32_e64 s0, v17, v17
	v_bfe_u32 v13, v9, 16, 1
	v_mul_f32_e32 v17, s21, v22
	v_or_b32_e32 v89, 0x400000, v20
	v_lshrrev_b32_e32 v86, 16, v14
	v_cndmask_b32_e64 v14, v18, v19, s0
	v_mul_f32_e32 v18, s21, v88
	v_add3_u32 v13, v13, v9, 0x7fff
	v_or_b32_e32 v19, 0x400000, v9
	v_bfe_u32 v22, v17, 16, 1
	v_cmp_u_f32_e64 s0, v9, v9
	v_bfe_u32 v87, v18, 16, 1
	v_or_b32_e32 v88, 0x400000, v18
	v_cndmask_b32_e64 v9, v13, v19, s0
	v_add3_u32 v19, v22, v17, 0x7fff
	v_or_b32_e32 v22, 0x400000, v17
	v_cmp_u_f32_e64 s0, v17, v17
	v_bfe_u32 v13, v20, 16, 1
	v_add3_u32 v87, v87, v18, 0x7fff
	v_lshrrev_b32_e32 v90, 16, v9
	v_cndmask_b32_e64 v17, v19, v22, s0
	v_cmp_u_f32_e64 s0, v18, v18
	v_add3_u32 v13, v13, v20, 0x7fff
	v_cndmask_b32_e64 v18, v87, v88, s0
	v_cmp_u_f32_e64 s0, v20, v20
	v_lshrrev_b32_e32 v88, 16, v14
	v_lshrrev_b32_e32 v22, 16, v18
	v_cndmask_b32_e64 v13, v13, v89, s0
	v_lshrrev_b32_e32 v89, 16, v17
	v_lshrrev_b32_e32 v87, 16, v13
	s_and_saveexec_b32 s22, vcc_lo
	s_cbranch_execz .LBB346_946
; %bb.945:                              ;   in Loop: Header=BB346_635 Depth=1
	v_cmp_gt_i32_e64 s0, s33, v62
	v_cndmask_b32_e64 v89, 0, v89, s0
	v_cmp_gt_i32_e64 s0, s33, v69
	v_cndmask_b32_e64 v90, 0, v90, s0
	;; [unrolled: 2-line block ×8, first 2 shown]
.LBB346_946:                            ;   in Loop: Header=BB346_635 Depth=1
	s_or_b32 exec_lo, exec_lo, s22
	global_load_dwordx2 v[17:18], v[15:16], off offset:1280
	v_mov_b32_e32 v92, 0
	v_mov_b32_e32 v93, 0
	s_waitcnt vmcnt(0)
	v_cmp_ne_u16_sdwa s0, v17, v10 src0_sel:BYTE_0 src1_sel:DWORD
	s_and_saveexec_b32 s22, s0
	s_cbranch_execz .LBB346_952
; %bb.947:                              ;   in Loop: Header=BB346_635 Depth=1
	v_cmp_ne_u16_sdwa s0, v17, v37 src0_sel:BYTE_0 src1_sel:DWORD
	v_bfrev_b32_e32 v93, 1
	s_and_saveexec_b32 s26, s0
	s_cbranch_execz .LBB346_951
; %bb.948:                              ;   in Loop: Header=BB346_635 Depth=1
	v_and_b32_e32 v9, 0x7f, v17
	v_mov_b32_e32 v93, 0x7f800001
	s_mov_b32 s27, exec_lo
	v_cmpx_ne_u32_e32 0x7f, v9
	s_cbranch_execz .LBB346_950
; %bb.949:                              ;   in Loop: Header=BB346_635 Depth=1
	v_and_b32_e32 v13, 7, v17
	v_lshrrev_b32_e32 v14, 3, v9
	v_cmp_gt_u32_e64 s0, 8, v9
	v_ffbh_u32_e32 v13, v13
	v_min_u32_e32 v13, 32, v13
	v_subrev_nc_u32_e32 v19, 28, v13
	v_sub_nc_u32_e32 v13, 29, v13
	v_cndmask_b32_e64 v9, v14, v13, s0
	v_cndmask_b32_e64 v13, 0, v19, s0
	v_lshl_add_u32 v9, v9, 23, 0x3c000000
	v_lshlrev_b64 v[19:20], v13, v[17:18]
	v_lshlrev_b32_e32 v13, 24, v17
	v_and_b32_e32 v13, 0x80000000, v13
	v_lshlrev_b32_e32 v14, 20, v19
	v_and_b32_e32 v14, 0x700000, v14
	v_or3_b32 v93, v14, v13, v9
.LBB346_950:                            ;   in Loop: Header=BB346_635 Depth=1
	s_or_b32 exec_lo, exec_lo, s27
.LBB346_951:                            ;   in Loop: Header=BB346_635 Depth=1
	s_or_b32 exec_lo, exec_lo, s26
.LBB346_952:                            ;   in Loop: Header=BB346_635 Depth=1
	s_or_b32 exec_lo, exec_lo, s22
	v_cmp_ne_u16_sdwa s0, v17, v10 src0_sel:BYTE_1 src1_sel:DWORD
	s_and_saveexec_b32 s22, s0
	s_cbranch_execz .LBB346_960
; %bb.953:                              ;   in Loop: Header=BB346_635 Depth=1
	v_cmp_ne_u16_sdwa s0, v17, v37 src0_sel:BYTE_1 src1_sel:DWORD
	v_bfrev_b32_e32 v92, 1
	s_and_saveexec_b32 s26, s0
	s_cbranch_execz .LBB346_959
; %bb.954:                              ;   in Loop: Header=BB346_635 Depth=1
	v_and_b32_sdwa v9, v38, v17 dst_sel:DWORD dst_unused:UNUSED_PAD src0_sel:DWORD src1_sel:BYTE_1
	v_mov_b32_e32 v92, 0x7f800001
	s_mov_b32 s27, exec_lo
	v_and_b32_e32 v20, 0x7f, v9
	v_cmpx_ne_u32_e32 0x7f, v20
	s_cbranch_execz .LBB346_958
; %bb.955:                              ;   in Loop: Header=BB346_635 Depth=1
	v_and_b32_e32 v9, 7, v9
	v_lshrrev_b32_e32 v19, 3, v20
	s_mov_b32 s28, exec_lo
	v_cmpx_gt_u32_e32 8, v20
; %bb.956:                              ;   in Loop: Header=BB346_635 Depth=1
	v_ffbh_u32_e32 v13, v9
	v_min_u32_e32 v13, 32, v13
	v_subrev_nc_u32_e32 v14, 28, v13
	v_sub_nc_u32_e32 v19, 29, v13
	v_lshlrev_b64 v[91:92], v14, v[9:10]
	v_and_b32_e32 v9, 7, v91
; %bb.957:                              ;   in Loop: Header=BB346_635 Depth=1
	s_or_b32 exec_lo, exec_lo, s28
	v_lshlrev_b32_e32 v13, 16, v17
	v_lshlrev_b32_e32 v9, 20, v9
	v_lshl_add_u32 v14, v19, 23, 0x3c000000
	v_and_b32_e32 v13, 0x80000000, v13
	v_or3_b32 v92, v9, v13, v14
.LBB346_958:                            ;   in Loop: Header=BB346_635 Depth=1
	s_or_b32 exec_lo, exec_lo, s27
.LBB346_959:                            ;   in Loop: Header=BB346_635 Depth=1
	s_or_b32 exec_lo, exec_lo, s26
.LBB346_960:                            ;   in Loop: Header=BB346_635 Depth=1
	s_or_b32 exec_lo, exec_lo, s22
	v_and_b32_sdwa v9, v17, v39 dst_sel:DWORD dst_unused:UNUSED_PAD src0_sel:WORD_1 src1_sel:DWORD
	v_mov_b32_e32 v94, 0
	v_mov_b32_e32 v91, 0
	s_mov_b32 s22, exec_lo
	v_cmpx_ne_u16_e32 0, v9
	s_cbranch_execz .LBB346_968
; %bb.961:                              ;   in Loop: Header=BB346_635 Depth=1
	v_bfrev_b32_e32 v91, 1
	s_mov_b32 s26, exec_lo
	v_cmpx_ne_u16_e32 0x80, v9
	s_cbranch_execz .LBB346_967
; %bb.962:                              ;   in Loop: Header=BB346_635 Depth=1
	v_bfe_u32 v20, v17, 16, 7
	v_mov_b32_e32 v91, 0x7f800001
	s_mov_b32 s27, exec_lo
	v_cmpx_ne_u32_e32 0x7f, v20
	s_cbranch_execz .LBB346_966
; %bb.963:                              ;   in Loop: Header=BB346_635 Depth=1
	v_and_b32_sdwa v9, v17, v40 dst_sel:DWORD dst_unused:UNUSED_PAD src0_sel:WORD_1 src1_sel:DWORD
	v_lshrrev_b32_e32 v19, 3, v20
	s_mov_b32 s28, exec_lo
	v_cmpx_gt_u32_e32 8, v20
; %bb.964:                              ;   in Loop: Header=BB346_635 Depth=1
	v_ffbh_u32_e32 v13, v9
	v_min_u32_e32 v13, 32, v13
	v_subrev_nc_u32_e32 v14, 28, v13
	v_sub_nc_u32_e32 v19, 29, v13
	v_lshlrev_b64 v[95:96], v14, v[9:10]
	v_and_b32_e32 v9, 7, v95
; %bb.965:                              ;   in Loop: Header=BB346_635 Depth=1
	s_or_b32 exec_lo, exec_lo, s28
	v_lshlrev_b32_sdwa v13, v41, v17 dst_sel:DWORD dst_unused:UNUSED_PAD src0_sel:DWORD src1_sel:WORD_1
	v_lshlrev_b32_e32 v9, 20, v9
	v_lshl_add_u32 v14, v19, 23, 0x3c000000
	v_and_b32_e32 v13, 0x80000000, v13
	v_or3_b32 v91, v9, v13, v14
.LBB346_966:                            ;   in Loop: Header=BB346_635 Depth=1
	s_or_b32 exec_lo, exec_lo, s27
.LBB346_967:                            ;   in Loop: Header=BB346_635 Depth=1
	s_or_b32 exec_lo, exec_lo, s26
.LBB346_968:                            ;   in Loop: Header=BB346_635 Depth=1
	s_or_b32 exec_lo, exec_lo, s22
	s_mov_b32 s22, exec_lo
	v_cmpx_lt_u32_e32 0xffffff, v17
	s_cbranch_execz .LBB346_976
; %bb.969:                              ;   in Loop: Header=BB346_635 Depth=1
	v_cmp_ne_u32_sdwa s0, v17, v37 src0_sel:BYTE_3 src1_sel:DWORD
	v_bfrev_b32_e32 v94, 1
	s_and_saveexec_b32 s26, s0
	s_cbranch_execz .LBB346_975
; %bb.970:                              ;   in Loop: Header=BB346_635 Depth=1
	v_bfe_u32 v20, v17, 24, 7
	v_mov_b32_e32 v94, 0x7f800001
	s_mov_b32 s27, exec_lo
	v_cmpx_ne_u32_e32 0x7f, v20
	s_cbranch_execz .LBB346_974
; %bb.971:                              ;   in Loop: Header=BB346_635 Depth=1
	v_and_b32_sdwa v9, v17, v40 dst_sel:DWORD dst_unused:UNUSED_PAD src0_sel:BYTE_3 src1_sel:DWORD
	v_lshrrev_b32_e32 v19, 3, v20
	s_mov_b32 s28, exec_lo
	v_cmpx_gt_u32_e32 8, v20
; %bb.972:                              ;   in Loop: Header=BB346_635 Depth=1
	v_ffbh_u32_e32 v13, v9
	v_min_u32_e32 v13, 32, v13
	v_subrev_nc_u32_e32 v14, 28, v13
	v_sub_nc_u32_e32 v19, 29, v13
	v_lshlrev_b64 v[94:95], v14, v[9:10]
	v_and_b32_e32 v9, 7, v94
; %bb.973:                              ;   in Loop: Header=BB346_635 Depth=1
	s_or_b32 exec_lo, exec_lo, s28
	v_lshlrev_b32_sdwa v13, v41, v17 dst_sel:DWORD dst_unused:UNUSED_PAD src0_sel:DWORD src1_sel:BYTE_3
	v_lshlrev_b32_e32 v9, 20, v9
	v_lshl_add_u32 v14, v19, 23, 0x3c000000
	v_and_b32_e32 v13, 0x80000000, v13
	v_or3_b32 v94, v9, v13, v14
.LBB346_974:                            ;   in Loop: Header=BB346_635 Depth=1
	s_or_b32 exec_lo, exec_lo, s27
.LBB346_975:                            ;   in Loop: Header=BB346_635 Depth=1
	s_or_b32 exec_lo, exec_lo, s26
.LBB346_976:                            ;   in Loop: Header=BB346_635 Depth=1
	s_or_b32 exec_lo, exec_lo, s22
	v_mov_b32_e32 v9, v18
	v_cmp_ne_u16_sdwa s0, v18, v10 src0_sel:BYTE_0 src1_sel:DWORD
	v_mov_b32_e32 v19, 0
	v_mov_b32_e32 v95, 0
	s_and_saveexec_b32 s22, s0
	s_cbranch_execz .LBB346_982
; %bb.977:                              ;   in Loop: Header=BB346_635 Depth=1
	v_cmp_ne_u16_sdwa s0, v18, v37 src0_sel:BYTE_0 src1_sel:DWORD
	v_bfrev_b32_e32 v95, 1
	s_and_saveexec_b32 s26, s0
	s_cbranch_execz .LBB346_981
; %bb.978:                              ;   in Loop: Header=BB346_635 Depth=1
	v_and_b32_e32 v20, 0x7f, v18
	v_mov_b32_e32 v95, 0x7f800001
	s_mov_b32 s27, exec_lo
	v_cmpx_ne_u32_e32 0x7f, v20
	s_cbranch_execz .LBB346_980
; %bb.979:                              ;   in Loop: Header=BB346_635 Depth=1
	v_and_b32_e32 v13, 7, v18
	v_lshrrev_b32_e32 v14, 3, v20
	v_cmp_gt_u32_e64 s0, 8, v20
	v_ffbh_u32_e32 v13, v13
	v_min_u32_e32 v13, 32, v13
	v_subrev_nc_u32_e32 v95, 28, v13
	v_sub_nc_u32_e32 v13, 29, v13
	v_cndmask_b32_e64 v13, v14, v13, s0
	v_cndmask_b32_e64 v14, 0, v95, s0
	v_lshl_add_u32 v13, v13, 23, 0x3c000000
	v_lshlrev_b64 v[95:96], v14, v[9:10]
	v_lshlrev_b32_e32 v14, 24, v9
	v_and_b32_e32 v14, 0x80000000, v14
	v_lshlrev_b32_e32 v20, 20, v95
	v_and_b32_e32 v20, 0x700000, v20
	v_or3_b32 v95, v20, v14, v13
.LBB346_980:                            ;   in Loop: Header=BB346_635 Depth=1
	s_or_b32 exec_lo, exec_lo, s27
.LBB346_981:                            ;   in Loop: Header=BB346_635 Depth=1
	s_or_b32 exec_lo, exec_lo, s26
.LBB346_982:                            ;   in Loop: Header=BB346_635 Depth=1
	s_or_b32 exec_lo, exec_lo, s22
	v_cmp_ne_u16_sdwa s0, v9, v10 src0_sel:BYTE_1 src1_sel:DWORD
	s_and_saveexec_b32 s22, s0
	s_cbranch_execz .LBB346_990
; %bb.983:                              ;   in Loop: Header=BB346_635 Depth=1
	v_cmp_ne_u16_sdwa s0, v9, v37 src0_sel:BYTE_1 src1_sel:DWORD
	v_bfrev_b32_e32 v19, 1
	s_and_saveexec_b32 s26, s0
	s_cbranch_execz .LBB346_989
; %bb.984:                              ;   in Loop: Header=BB346_635 Depth=1
	v_and_b32_sdwa v20, v38, v9 dst_sel:DWORD dst_unused:UNUSED_PAD src0_sel:DWORD src1_sel:BYTE_1
	v_mov_b32_e32 v19, 0x7f800001
	s_mov_b32 s27, exec_lo
	v_and_b32_e32 v97, 0x7f, v20
	v_cmpx_ne_u32_e32 0x7f, v97
	s_cbranch_execz .LBB346_988
; %bb.985:                              ;   in Loop: Header=BB346_635 Depth=1
	v_and_b32_e32 v19, 7, v20
	v_mov_b32_e32 v20, v10
	v_lshrrev_b32_e32 v96, 3, v97
	s_mov_b32 s28, exec_lo
	v_cmpx_gt_u32_e32 8, v97
; %bb.986:                              ;   in Loop: Header=BB346_635 Depth=1
	v_ffbh_u32_e32 v13, v19
	v_min_u32_e32 v13, 32, v13
	v_subrev_nc_u32_e32 v14, 28, v13
	v_sub_nc_u32_e32 v96, 29, v13
	v_lshlrev_b64 v[19:20], v14, v[19:20]
	v_and_b32_e32 v19, 7, v19
; %bb.987:                              ;   in Loop: Header=BB346_635 Depth=1
	s_or_b32 exec_lo, exec_lo, s28
	v_lshlrev_b32_e32 v9, 16, v9
	v_lshlrev_b32_e32 v13, 20, v19
	v_lshl_add_u32 v14, v96, 23, 0x3c000000
	v_and_b32_e32 v9, 0x80000000, v9
	v_or3_b32 v19, v13, v9, v14
.LBB346_988:                            ;   in Loop: Header=BB346_635 Depth=1
	s_or_b32 exec_lo, exec_lo, s27
.LBB346_989:                            ;   in Loop: Header=BB346_635 Depth=1
	s_or_b32 exec_lo, exec_lo, s26
.LBB346_990:                            ;   in Loop: Header=BB346_635 Depth=1
	s_or_b32 exec_lo, exec_lo, s22
	v_and_b32_sdwa v9, v18, v39 dst_sel:DWORD dst_unused:UNUSED_PAD src0_sel:WORD_1 src1_sel:DWORD
	v_mov_b32_e32 v20, 0
	v_mov_b32_e32 v96, 0
	s_mov_b32 s22, exec_lo
	v_cmpx_ne_u16_e32 0, v9
	s_cbranch_execz .LBB346_998
; %bb.991:                              ;   in Loop: Header=BB346_635 Depth=1
	v_bfrev_b32_e32 v96, 1
	s_mov_b32 s26, exec_lo
	v_cmpx_ne_u16_e32 0x80, v9
	s_cbranch_execz .LBB346_997
; %bb.992:                              ;   in Loop: Header=BB346_635 Depth=1
	v_bfe_u32 v97, v18, 16, 7
	v_mov_b32_e32 v96, 0x7f800001
	s_mov_b32 s27, exec_lo
	v_cmpx_ne_u32_e32 0x7f, v97
	s_cbranch_execz .LBB346_996
; %bb.993:                              ;   in Loop: Header=BB346_635 Depth=1
	v_and_b32_sdwa v9, v18, v40 dst_sel:DWORD dst_unused:UNUSED_PAD src0_sel:WORD_1 src1_sel:DWORD
	v_lshrrev_b32_e32 v96, 3, v97
	s_mov_b32 s28, exec_lo
	v_cmpx_gt_u32_e32 8, v97
; %bb.994:                              ;   in Loop: Header=BB346_635 Depth=1
	v_ffbh_u32_e32 v13, v9
	v_min_u32_e32 v13, 32, v13
	v_subrev_nc_u32_e32 v14, 28, v13
	v_sub_nc_u32_e32 v96, 29, v13
	v_lshlrev_b64 v[97:98], v14, v[9:10]
	v_and_b32_e32 v9, 7, v97
; %bb.995:                              ;   in Loop: Header=BB346_635 Depth=1
	s_or_b32 exec_lo, exec_lo, s28
	v_lshlrev_b32_sdwa v13, v41, v18 dst_sel:DWORD dst_unused:UNUSED_PAD src0_sel:DWORD src1_sel:WORD_1
	v_lshlrev_b32_e32 v9, 20, v9
	v_lshl_add_u32 v14, v96, 23, 0x3c000000
	v_and_b32_e32 v13, 0x80000000, v13
	v_or3_b32 v96, v9, v13, v14
.LBB346_996:                            ;   in Loop: Header=BB346_635 Depth=1
	s_or_b32 exec_lo, exec_lo, s27
.LBB346_997:                            ;   in Loop: Header=BB346_635 Depth=1
	s_or_b32 exec_lo, exec_lo, s26
.LBB346_998:                            ;   in Loop: Header=BB346_635 Depth=1
	s_or_b32 exec_lo, exec_lo, s22
	s_mov_b32 s22, exec_lo
	v_cmpx_lt_u64_e64 s[2:3], v[17:18]
	s_cbranch_execz .LBB346_1006
; %bb.999:                              ;   in Loop: Header=BB346_635 Depth=1
	v_cmp_ne_u32_sdwa s0, v18, v37 src0_sel:BYTE_3 src1_sel:DWORD
	v_bfrev_b32_e32 v20, 1
	s_and_saveexec_b32 s26, s0
	s_cbranch_execz .LBB346_1005
; %bb.1000:                             ;   in Loop: Header=BB346_635 Depth=1
	v_bfe_u32 v97, v18, 24, 7
	v_mov_b32_e32 v20, 0x7f800001
	s_mov_b32 s27, exec_lo
	v_cmpx_ne_u32_e32 0x7f, v97
	s_cbranch_execz .LBB346_1004
; %bb.1001:                             ;   in Loop: Header=BB346_635 Depth=1
	v_and_b32_sdwa v9, v18, v40 dst_sel:DWORD dst_unused:UNUSED_PAD src0_sel:BYTE_3 src1_sel:DWORD
	v_lshrrev_b32_e32 v17, 3, v97
	s_mov_b32 s28, exec_lo
	v_cmpx_gt_u32_e32 8, v97
; %bb.1002:                             ;   in Loop: Header=BB346_635 Depth=1
	v_ffbh_u32_e32 v13, v9
	v_min_u32_e32 v13, 32, v13
	v_subrev_nc_u32_e32 v14, 28, v13
	v_sub_nc_u32_e32 v17, 29, v13
	v_lshlrev_b64 v[97:98], v14, v[9:10]
	v_and_b32_e32 v9, 7, v97
; %bb.1003:                             ;   in Loop: Header=BB346_635 Depth=1
	s_or_b32 exec_lo, exec_lo, s28
	v_lshlrev_b32_sdwa v13, v41, v18 dst_sel:DWORD dst_unused:UNUSED_PAD src0_sel:DWORD src1_sel:BYTE_3
	v_lshlrev_b32_e32 v9, 20, v9
	v_lshl_add_u32 v14, v17, 23, 0x3c000000
	v_and_b32_e32 v13, 0x80000000, v13
	v_or3_b32 v20, v9, v13, v14
.LBB346_1004:                           ;   in Loop: Header=BB346_635 Depth=1
	s_or_b32 exec_lo, exec_lo, s27
.LBB346_1005:                           ;   in Loop: Header=BB346_635 Depth=1
	s_or_b32 exec_lo, exec_lo, s26
.LBB346_1006:                           ;   in Loop: Header=BB346_635 Depth=1
	s_or_b32 exec_lo, exec_lo, s22
	v_mul_f32_e32 v9, s21, v19
	v_mul_f32_e32 v13, s21, v95
	;; [unrolled: 1-line block ×5, first 2 shown]
	v_bfe_u32 v18, v9, 16, 1
	v_or_b32_e32 v19, 0x400000, v9
	v_bfe_u32 v91, v13, 16, 1
	v_cmp_u_f32_e64 s0, v9, v9
	v_or_b32_e32 v94, 0x400000, v13
	v_add3_u32 v18, v18, v9, 0x7fff
	v_bfe_u32 v95, v14, 16, 1
	v_add3_u32 v91, v91, v13, 0x7fff
	v_or_b32_e32 v97, 0x400000, v14
	v_bfe_u32 v98, v17, 16, 1
	v_cndmask_b32_e64 v9, v18, v19, s0
	v_cmp_u_f32_e64 s0, v13, v13
	v_add3_u32 v95, v95, v14, 0x7fff
	v_or_b32_e32 v19, 0x400000, v17
	v_add3_u32 v18, v98, v17, 0x7fff
	v_cndmask_b32_e64 v13, v91, v94, s0
	v_cmp_u_f32_e64 s0, v14, v14
	v_lshrrev_b32_e32 v91, 16, v9
	v_mul_f32_e32 v9, s21, v92
	v_lshrrev_b32_e32 v92, 16, v13
	v_cndmask_b32_e64 v14, v95, v97, s0
	v_cmp_u_f32_e64 s0, v17, v17
	v_bfe_u32 v13, v9, 16, 1
	v_mul_f32_e32 v17, s21, v93
	v_or_b32_e32 v97, 0x400000, v20
	v_lshrrev_b32_e32 v94, 16, v14
	v_cndmask_b32_e64 v14, v18, v19, s0
	v_mul_f32_e32 v18, s21, v96
	v_add3_u32 v13, v13, v9, 0x7fff
	v_or_b32_e32 v19, 0x400000, v9
	v_bfe_u32 v93, v17, 16, 1
	v_cmp_u_f32_e64 s0, v9, v9
	v_bfe_u32 v95, v18, 16, 1
	v_or_b32_e32 v96, 0x400000, v18
	v_cndmask_b32_e64 v9, v13, v19, s0
	v_add3_u32 v19, v93, v17, 0x7fff
	v_or_b32_e32 v93, 0x400000, v17
	v_cmp_u_f32_e64 s0, v17, v17
	v_bfe_u32 v13, v20, 16, 1
	v_add3_u32 v95, v95, v18, 0x7fff
	v_lshrrev_b32_e32 v98, 16, v9
	v_cndmask_b32_e64 v17, v19, v93, s0
	v_cmp_u_f32_e64 s0, v18, v18
	v_add3_u32 v13, v13, v20, 0x7fff
	v_cndmask_b32_e64 v18, v95, v96, s0
	v_cmp_u_f32_e64 s0, v20, v20
	v_lshrrev_b32_e32 v96, 16, v14
	v_lshrrev_b32_e32 v93, 16, v18
	v_cndmask_b32_e64 v13, v13, v97, s0
	v_lshrrev_b32_e32 v97, 16, v17
	v_lshrrev_b32_e32 v95, 16, v13
	s_and_saveexec_b32 s22, vcc_lo
	s_cbranch_execz .LBB346_1008
; %bb.1007:                             ;   in Loop: Header=BB346_635 Depth=1
	v_cmp_gt_i32_e64 s0, s33, v62
	v_cndmask_b32_e64 v97, 0, v97, s0
	v_cmp_gt_i32_e64 s0, s33, v69
	v_cndmask_b32_e64 v98, 0, v98, s0
	;; [unrolled: 2-line block ×8, first 2 shown]
.LBB346_1008:                           ;   in Loop: Header=BB346_635 Depth=1
	s_or_b32 exec_lo, exec_lo, s22
	global_load_dwordx2 v[17:18], v[15:16], off offset:1536
	v_mov_b32_e32 v99, 0
	v_mov_b32_e32 v101, 0
	s_waitcnt vmcnt(0)
	v_cmp_ne_u16_sdwa s0, v17, v10 src0_sel:BYTE_0 src1_sel:DWORD
	s_and_saveexec_b32 s22, s0
	s_cbranch_execz .LBB346_1014
; %bb.1009:                             ;   in Loop: Header=BB346_635 Depth=1
	v_cmp_ne_u16_sdwa s0, v17, v37 src0_sel:BYTE_0 src1_sel:DWORD
	v_bfrev_b32_e32 v101, 1
	s_and_saveexec_b32 s26, s0
	s_cbranch_execz .LBB346_1013
; %bb.1010:                             ;   in Loop: Header=BB346_635 Depth=1
	v_and_b32_e32 v9, 0x7f, v17
	v_mov_b32_e32 v101, 0x7f800001
	s_mov_b32 s27, exec_lo
	v_cmpx_ne_u32_e32 0x7f, v9
	s_cbranch_execz .LBB346_1012
; %bb.1011:                             ;   in Loop: Header=BB346_635 Depth=1
	v_and_b32_e32 v13, 7, v17
	v_lshrrev_b32_e32 v14, 3, v9
	v_cmp_gt_u32_e64 s0, 8, v9
	v_ffbh_u32_e32 v13, v13
	v_min_u32_e32 v13, 32, v13
	v_subrev_nc_u32_e32 v19, 28, v13
	v_sub_nc_u32_e32 v13, 29, v13
	v_cndmask_b32_e64 v9, v14, v13, s0
	v_cndmask_b32_e64 v13, 0, v19, s0
	v_lshl_add_u32 v9, v9, 23, 0x3c000000
	v_lshlrev_b64 v[19:20], v13, v[17:18]
	v_lshlrev_b32_e32 v13, 24, v17
	v_and_b32_e32 v13, 0x80000000, v13
	v_lshlrev_b32_e32 v14, 20, v19
	v_and_b32_e32 v14, 0x700000, v14
	v_or3_b32 v101, v14, v13, v9
.LBB346_1012:                           ;   in Loop: Header=BB346_635 Depth=1
	s_or_b32 exec_lo, exec_lo, s27
.LBB346_1013:                           ;   in Loop: Header=BB346_635 Depth=1
	s_or_b32 exec_lo, exec_lo, s26
.LBB346_1014:                           ;   in Loop: Header=BB346_635 Depth=1
	s_or_b32 exec_lo, exec_lo, s22
	v_cmp_ne_u16_sdwa s0, v17, v10 src0_sel:BYTE_1 src1_sel:DWORD
	s_and_saveexec_b32 s22, s0
	s_cbranch_execz .LBB346_1022
; %bb.1015:                             ;   in Loop: Header=BB346_635 Depth=1
	v_cmp_ne_u16_sdwa s0, v17, v37 src0_sel:BYTE_1 src1_sel:DWORD
	v_bfrev_b32_e32 v99, 1
	s_and_saveexec_b32 s26, s0
	s_cbranch_execz .LBB346_1021
; %bb.1016:                             ;   in Loop: Header=BB346_635 Depth=1
	v_and_b32_sdwa v9, v38, v17 dst_sel:DWORD dst_unused:UNUSED_PAD src0_sel:DWORD src1_sel:BYTE_1
	v_mov_b32_e32 v99, 0x7f800001
	s_mov_b32 s27, exec_lo
	v_and_b32_e32 v20, 0x7f, v9
	v_cmpx_ne_u32_e32 0x7f, v20
	s_cbranch_execz .LBB346_1020
; %bb.1017:                             ;   in Loop: Header=BB346_635 Depth=1
	v_and_b32_e32 v9, 7, v9
	v_lshrrev_b32_e32 v19, 3, v20
	s_mov_b32 s28, exec_lo
	v_cmpx_gt_u32_e32 8, v20
; %bb.1018:                             ;   in Loop: Header=BB346_635 Depth=1
	v_ffbh_u32_e32 v13, v9
	v_min_u32_e32 v13, 32, v13
	v_subrev_nc_u32_e32 v14, 28, v13
	v_sub_nc_u32_e32 v19, 29, v13
	v_lshlrev_b64 v[99:100], v14, v[9:10]
	v_and_b32_e32 v9, 7, v99
; %bb.1019:                             ;   in Loop: Header=BB346_635 Depth=1
	s_or_b32 exec_lo, exec_lo, s28
	v_lshlrev_b32_e32 v13, 16, v17
	v_lshlrev_b32_e32 v9, 20, v9
	v_lshl_add_u32 v14, v19, 23, 0x3c000000
	v_and_b32_e32 v13, 0x80000000, v13
	v_or3_b32 v99, v9, v13, v14
.LBB346_1020:                           ;   in Loop: Header=BB346_635 Depth=1
	s_or_b32 exec_lo, exec_lo, s27
.LBB346_1021:                           ;   in Loop: Header=BB346_635 Depth=1
	s_or_b32 exec_lo, exec_lo, s26
.LBB346_1022:                           ;   in Loop: Header=BB346_635 Depth=1
	s_or_b32 exec_lo, exec_lo, s22
	v_and_b32_sdwa v9, v17, v39 dst_sel:DWORD dst_unused:UNUSED_PAD src0_sel:WORD_1 src1_sel:DWORD
	v_mov_b32_e32 v102, 0
	v_mov_b32_e32 v100, 0
	s_mov_b32 s22, exec_lo
	v_cmpx_ne_u16_e32 0, v9
	s_cbranch_execz .LBB346_1030
; %bb.1023:                             ;   in Loop: Header=BB346_635 Depth=1
	v_bfrev_b32_e32 v100, 1
	s_mov_b32 s26, exec_lo
	v_cmpx_ne_u16_e32 0x80, v9
	s_cbranch_execz .LBB346_1029
; %bb.1024:                             ;   in Loop: Header=BB346_635 Depth=1
	v_bfe_u32 v20, v17, 16, 7
	v_mov_b32_e32 v100, 0x7f800001
	s_mov_b32 s27, exec_lo
	v_cmpx_ne_u32_e32 0x7f, v20
	s_cbranch_execz .LBB346_1028
; %bb.1025:                             ;   in Loop: Header=BB346_635 Depth=1
	v_and_b32_sdwa v9, v17, v40 dst_sel:DWORD dst_unused:UNUSED_PAD src0_sel:WORD_1 src1_sel:DWORD
	v_lshrrev_b32_e32 v19, 3, v20
	s_mov_b32 s28, exec_lo
	v_cmpx_gt_u32_e32 8, v20
; %bb.1026:                             ;   in Loop: Header=BB346_635 Depth=1
	v_ffbh_u32_e32 v13, v9
	v_min_u32_e32 v13, 32, v13
	v_subrev_nc_u32_e32 v14, 28, v13
	v_sub_nc_u32_e32 v19, 29, v13
	v_lshlrev_b64 v[103:104], v14, v[9:10]
	v_and_b32_e32 v9, 7, v103
; %bb.1027:                             ;   in Loop: Header=BB346_635 Depth=1
	s_or_b32 exec_lo, exec_lo, s28
	v_lshlrev_b32_sdwa v13, v41, v17 dst_sel:DWORD dst_unused:UNUSED_PAD src0_sel:DWORD src1_sel:WORD_1
	v_lshlrev_b32_e32 v9, 20, v9
	v_lshl_add_u32 v14, v19, 23, 0x3c000000
	v_and_b32_e32 v13, 0x80000000, v13
	v_or3_b32 v100, v9, v13, v14
.LBB346_1028:                           ;   in Loop: Header=BB346_635 Depth=1
	s_or_b32 exec_lo, exec_lo, s27
.LBB346_1029:                           ;   in Loop: Header=BB346_635 Depth=1
	s_or_b32 exec_lo, exec_lo, s26
.LBB346_1030:                           ;   in Loop: Header=BB346_635 Depth=1
	s_or_b32 exec_lo, exec_lo, s22
	s_mov_b32 s22, exec_lo
	v_cmpx_lt_u32_e32 0xffffff, v17
	s_cbranch_execz .LBB346_1038
; %bb.1031:                             ;   in Loop: Header=BB346_635 Depth=1
	v_cmp_ne_u32_sdwa s0, v17, v37 src0_sel:BYTE_3 src1_sel:DWORD
	v_bfrev_b32_e32 v102, 1
	s_and_saveexec_b32 s26, s0
	s_cbranch_execz .LBB346_1037
; %bb.1032:                             ;   in Loop: Header=BB346_635 Depth=1
	v_bfe_u32 v20, v17, 24, 7
	v_mov_b32_e32 v102, 0x7f800001
	s_mov_b32 s27, exec_lo
	v_cmpx_ne_u32_e32 0x7f, v20
	s_cbranch_execz .LBB346_1036
; %bb.1033:                             ;   in Loop: Header=BB346_635 Depth=1
	v_and_b32_sdwa v9, v17, v40 dst_sel:DWORD dst_unused:UNUSED_PAD src0_sel:BYTE_3 src1_sel:DWORD
	v_lshrrev_b32_e32 v19, 3, v20
	s_mov_b32 s28, exec_lo
	v_cmpx_gt_u32_e32 8, v20
; %bb.1034:                             ;   in Loop: Header=BB346_635 Depth=1
	v_ffbh_u32_e32 v13, v9
	v_min_u32_e32 v13, 32, v13
	v_subrev_nc_u32_e32 v14, 28, v13
	v_sub_nc_u32_e32 v19, 29, v13
	v_lshlrev_b64 v[102:103], v14, v[9:10]
	v_and_b32_e32 v9, 7, v102
; %bb.1035:                             ;   in Loop: Header=BB346_635 Depth=1
	s_or_b32 exec_lo, exec_lo, s28
	v_lshlrev_b32_sdwa v13, v41, v17 dst_sel:DWORD dst_unused:UNUSED_PAD src0_sel:DWORD src1_sel:BYTE_3
	v_lshlrev_b32_e32 v9, 20, v9
	v_lshl_add_u32 v14, v19, 23, 0x3c000000
	v_and_b32_e32 v13, 0x80000000, v13
	v_or3_b32 v102, v9, v13, v14
.LBB346_1036:                           ;   in Loop: Header=BB346_635 Depth=1
	s_or_b32 exec_lo, exec_lo, s27
.LBB346_1037:                           ;   in Loop: Header=BB346_635 Depth=1
	s_or_b32 exec_lo, exec_lo, s26
.LBB346_1038:                           ;   in Loop: Header=BB346_635 Depth=1
	s_or_b32 exec_lo, exec_lo, s22
	v_mov_b32_e32 v9, v18
	v_cmp_ne_u16_sdwa s0, v18, v10 src0_sel:BYTE_0 src1_sel:DWORD
	v_mov_b32_e32 v19, 0
	v_mov_b32_e32 v103, 0
	s_and_saveexec_b32 s22, s0
	s_cbranch_execz .LBB346_1044
; %bb.1039:                             ;   in Loop: Header=BB346_635 Depth=1
	v_cmp_ne_u16_sdwa s0, v18, v37 src0_sel:BYTE_0 src1_sel:DWORD
	v_bfrev_b32_e32 v103, 1
	s_and_saveexec_b32 s26, s0
	s_cbranch_execz .LBB346_1043
; %bb.1040:                             ;   in Loop: Header=BB346_635 Depth=1
	v_and_b32_e32 v20, 0x7f, v18
	v_mov_b32_e32 v103, 0x7f800001
	s_mov_b32 s27, exec_lo
	v_cmpx_ne_u32_e32 0x7f, v20
	s_cbranch_execz .LBB346_1042
; %bb.1041:                             ;   in Loop: Header=BB346_635 Depth=1
	v_and_b32_e32 v13, 7, v18
	v_lshrrev_b32_e32 v14, 3, v20
	v_cmp_gt_u32_e64 s0, 8, v20
	v_ffbh_u32_e32 v13, v13
	v_min_u32_e32 v13, 32, v13
	v_subrev_nc_u32_e32 v103, 28, v13
	v_sub_nc_u32_e32 v13, 29, v13
	v_cndmask_b32_e64 v13, v14, v13, s0
	v_cndmask_b32_e64 v14, 0, v103, s0
	v_lshl_add_u32 v13, v13, 23, 0x3c000000
	v_lshlrev_b64 v[103:104], v14, v[9:10]
	v_lshlrev_b32_e32 v14, 24, v9
	v_and_b32_e32 v14, 0x80000000, v14
	v_lshlrev_b32_e32 v20, 20, v103
	v_and_b32_e32 v20, 0x700000, v20
	v_or3_b32 v103, v20, v14, v13
.LBB346_1042:                           ;   in Loop: Header=BB346_635 Depth=1
	s_or_b32 exec_lo, exec_lo, s27
.LBB346_1043:                           ;   in Loop: Header=BB346_635 Depth=1
	s_or_b32 exec_lo, exec_lo, s26
.LBB346_1044:                           ;   in Loop: Header=BB346_635 Depth=1
	s_or_b32 exec_lo, exec_lo, s22
	v_cmp_ne_u16_sdwa s0, v9, v10 src0_sel:BYTE_1 src1_sel:DWORD
	s_and_saveexec_b32 s22, s0
	s_cbranch_execz .LBB346_1052
; %bb.1045:                             ;   in Loop: Header=BB346_635 Depth=1
	v_cmp_ne_u16_sdwa s0, v9, v37 src0_sel:BYTE_1 src1_sel:DWORD
	v_bfrev_b32_e32 v19, 1
	s_and_saveexec_b32 s26, s0
	s_cbranch_execz .LBB346_1051
; %bb.1046:                             ;   in Loop: Header=BB346_635 Depth=1
	v_and_b32_sdwa v20, v38, v9 dst_sel:DWORD dst_unused:UNUSED_PAD src0_sel:DWORD src1_sel:BYTE_1
	v_mov_b32_e32 v19, 0x7f800001
	s_mov_b32 s27, exec_lo
	v_and_b32_e32 v105, 0x7f, v20
	v_cmpx_ne_u32_e32 0x7f, v105
	s_cbranch_execz .LBB346_1050
; %bb.1047:                             ;   in Loop: Header=BB346_635 Depth=1
	v_and_b32_e32 v19, 7, v20
	v_mov_b32_e32 v20, v10
	v_lshrrev_b32_e32 v104, 3, v105
	s_mov_b32 s28, exec_lo
	v_cmpx_gt_u32_e32 8, v105
; %bb.1048:                             ;   in Loop: Header=BB346_635 Depth=1
	v_ffbh_u32_e32 v13, v19
	v_min_u32_e32 v13, 32, v13
	v_subrev_nc_u32_e32 v14, 28, v13
	v_sub_nc_u32_e32 v104, 29, v13
	v_lshlrev_b64 v[19:20], v14, v[19:20]
	v_and_b32_e32 v19, 7, v19
; %bb.1049:                             ;   in Loop: Header=BB346_635 Depth=1
	s_or_b32 exec_lo, exec_lo, s28
	v_lshlrev_b32_e32 v9, 16, v9
	v_lshlrev_b32_e32 v13, 20, v19
	v_lshl_add_u32 v14, v104, 23, 0x3c000000
	v_and_b32_e32 v9, 0x80000000, v9
	v_or3_b32 v19, v13, v9, v14
.LBB346_1050:                           ;   in Loop: Header=BB346_635 Depth=1
	s_or_b32 exec_lo, exec_lo, s27
.LBB346_1051:                           ;   in Loop: Header=BB346_635 Depth=1
	s_or_b32 exec_lo, exec_lo, s26
.LBB346_1052:                           ;   in Loop: Header=BB346_635 Depth=1
	s_or_b32 exec_lo, exec_lo, s22
	v_and_b32_sdwa v9, v18, v39 dst_sel:DWORD dst_unused:UNUSED_PAD src0_sel:WORD_1 src1_sel:DWORD
	v_mov_b32_e32 v20, 0
	v_mov_b32_e32 v104, 0
	s_mov_b32 s22, exec_lo
	v_cmpx_ne_u16_e32 0, v9
	s_cbranch_execz .LBB346_1060
; %bb.1053:                             ;   in Loop: Header=BB346_635 Depth=1
	v_bfrev_b32_e32 v104, 1
	s_mov_b32 s26, exec_lo
	v_cmpx_ne_u16_e32 0x80, v9
	s_cbranch_execz .LBB346_1059
; %bb.1054:                             ;   in Loop: Header=BB346_635 Depth=1
	v_bfe_u32 v105, v18, 16, 7
	v_mov_b32_e32 v104, 0x7f800001
	s_mov_b32 s27, exec_lo
	v_cmpx_ne_u32_e32 0x7f, v105
	s_cbranch_execz .LBB346_1058
; %bb.1055:                             ;   in Loop: Header=BB346_635 Depth=1
	v_and_b32_sdwa v9, v18, v40 dst_sel:DWORD dst_unused:UNUSED_PAD src0_sel:WORD_1 src1_sel:DWORD
	v_lshrrev_b32_e32 v104, 3, v105
	s_mov_b32 s28, exec_lo
	v_cmpx_gt_u32_e32 8, v105
; %bb.1056:                             ;   in Loop: Header=BB346_635 Depth=1
	v_ffbh_u32_e32 v13, v9
	v_min_u32_e32 v13, 32, v13
	v_subrev_nc_u32_e32 v14, 28, v13
	v_sub_nc_u32_e32 v104, 29, v13
	v_lshlrev_b64 v[105:106], v14, v[9:10]
	v_and_b32_e32 v9, 7, v105
; %bb.1057:                             ;   in Loop: Header=BB346_635 Depth=1
	s_or_b32 exec_lo, exec_lo, s28
	v_lshlrev_b32_sdwa v13, v41, v18 dst_sel:DWORD dst_unused:UNUSED_PAD src0_sel:DWORD src1_sel:WORD_1
	v_lshlrev_b32_e32 v9, 20, v9
	v_lshl_add_u32 v14, v104, 23, 0x3c000000
	v_and_b32_e32 v13, 0x80000000, v13
	v_or3_b32 v104, v9, v13, v14
.LBB346_1058:                           ;   in Loop: Header=BB346_635 Depth=1
	s_or_b32 exec_lo, exec_lo, s27
.LBB346_1059:                           ;   in Loop: Header=BB346_635 Depth=1
	s_or_b32 exec_lo, exec_lo, s26
.LBB346_1060:                           ;   in Loop: Header=BB346_635 Depth=1
	s_or_b32 exec_lo, exec_lo, s22
	s_mov_b32 s22, exec_lo
	v_cmpx_lt_u64_e64 s[2:3], v[17:18]
	s_cbranch_execz .LBB346_1068
; %bb.1061:                             ;   in Loop: Header=BB346_635 Depth=1
	v_cmp_ne_u32_sdwa s0, v18, v37 src0_sel:BYTE_3 src1_sel:DWORD
	v_bfrev_b32_e32 v20, 1
	s_and_saveexec_b32 s26, s0
	s_cbranch_execz .LBB346_1067
; %bb.1062:                             ;   in Loop: Header=BB346_635 Depth=1
	v_bfe_u32 v105, v18, 24, 7
	v_mov_b32_e32 v20, 0x7f800001
	s_mov_b32 s27, exec_lo
	v_cmpx_ne_u32_e32 0x7f, v105
	s_cbranch_execz .LBB346_1066
; %bb.1063:                             ;   in Loop: Header=BB346_635 Depth=1
	v_and_b32_sdwa v9, v18, v40 dst_sel:DWORD dst_unused:UNUSED_PAD src0_sel:BYTE_3 src1_sel:DWORD
	v_lshrrev_b32_e32 v17, 3, v105
	s_mov_b32 s28, exec_lo
	v_cmpx_gt_u32_e32 8, v105
; %bb.1064:                             ;   in Loop: Header=BB346_635 Depth=1
	v_ffbh_u32_e32 v13, v9
	v_min_u32_e32 v13, 32, v13
	v_subrev_nc_u32_e32 v14, 28, v13
	v_sub_nc_u32_e32 v17, 29, v13
	v_lshlrev_b64 v[105:106], v14, v[9:10]
	v_and_b32_e32 v9, 7, v105
; %bb.1065:                             ;   in Loop: Header=BB346_635 Depth=1
	s_or_b32 exec_lo, exec_lo, s28
	v_lshlrev_b32_sdwa v13, v41, v18 dst_sel:DWORD dst_unused:UNUSED_PAD src0_sel:DWORD src1_sel:BYTE_3
	v_lshlrev_b32_e32 v9, 20, v9
	v_lshl_add_u32 v14, v17, 23, 0x3c000000
	v_and_b32_e32 v13, 0x80000000, v13
	v_or3_b32 v20, v9, v13, v14
.LBB346_1066:                           ;   in Loop: Header=BB346_635 Depth=1
	s_or_b32 exec_lo, exec_lo, s27
.LBB346_1067:                           ;   in Loop: Header=BB346_635 Depth=1
	s_or_b32 exec_lo, exec_lo, s26
.LBB346_1068:                           ;   in Loop: Header=BB346_635 Depth=1
	s_or_b32 exec_lo, exec_lo, s22
	v_mul_f32_e32 v9, s21, v19
	v_mul_f32_e32 v13, s21, v103
	;; [unrolled: 1-line block ×5, first 2 shown]
	v_bfe_u32 v18, v9, 16, 1
	v_or_b32_e32 v19, 0x400000, v9
	v_bfe_u32 v100, v13, 16, 1
	v_cmp_u_f32_e64 s0, v9, v9
	v_or_b32_e32 v102, 0x400000, v13
	v_add3_u32 v18, v18, v9, 0x7fff
	v_bfe_u32 v103, v14, 16, 1
	v_add3_u32 v100, v100, v13, 0x7fff
	v_or_b32_e32 v105, 0x400000, v14
	v_bfe_u32 v106, v17, 16, 1
	v_cndmask_b32_e64 v9, v18, v19, s0
	v_cmp_u_f32_e64 s0, v13, v13
	v_add3_u32 v103, v103, v14, 0x7fff
	v_or_b32_e32 v19, 0x400000, v17
	v_add3_u32 v18, v106, v17, 0x7fff
	v_cndmask_b32_e64 v13, v100, v102, s0
	v_cmp_u_f32_e64 s0, v14, v14
	v_lshrrev_b32_e32 v100, 16, v9
	v_mul_f32_e32 v9, s21, v99
	v_lshrrev_b32_e32 v99, 16, v13
	v_cndmask_b32_e64 v14, v103, v105, s0
	v_cmp_u_f32_e64 s0, v17, v17
	v_bfe_u32 v13, v9, 16, 1
	v_mul_f32_e32 v17, s21, v101
	v_or_b32_e32 v105, 0x400000, v20
	v_lshrrev_b32_e32 v102, 16, v14
	v_cndmask_b32_e64 v14, v18, v19, s0
	v_mul_f32_e32 v18, s21, v104
	v_add3_u32 v13, v13, v9, 0x7fff
	v_or_b32_e32 v19, 0x400000, v9
	v_bfe_u32 v101, v17, 16, 1
	v_cmp_u_f32_e64 s0, v9, v9
	v_bfe_u32 v103, v18, 16, 1
	v_or_b32_e32 v104, 0x400000, v18
	v_cndmask_b32_e64 v9, v13, v19, s0
	v_add3_u32 v19, v101, v17, 0x7fff
	v_or_b32_e32 v101, 0x400000, v17
	v_cmp_u_f32_e64 s0, v17, v17
	v_bfe_u32 v13, v20, 16, 1
	v_add3_u32 v103, v103, v18, 0x7fff
	v_lshrrev_b32_e32 v106, 16, v9
	v_cndmask_b32_e64 v17, v19, v101, s0
	v_cmp_u_f32_e64 s0, v18, v18
	v_add3_u32 v13, v13, v20, 0x7fff
	v_cndmask_b32_e64 v18, v103, v104, s0
	v_cmp_u_f32_e64 s0, v20, v20
	v_lshrrev_b32_e32 v104, 16, v14
	v_lshrrev_b32_e32 v101, 16, v18
	v_cndmask_b32_e64 v13, v13, v105, s0
	v_lshrrev_b32_e32 v105, 16, v17
	v_lshrrev_b32_e32 v103, 16, v13
	s_and_saveexec_b32 s22, vcc_lo
	s_cbranch_execz .LBB346_1070
; %bb.1069:                             ;   in Loop: Header=BB346_635 Depth=1
	v_cmp_gt_i32_e64 s0, s33, v62
	v_cndmask_b32_e64 v105, 0, v105, s0
	v_cmp_gt_i32_e64 s0, s33, v69
	v_cndmask_b32_e64 v106, 0, v106, s0
	v_cmp_gt_i32_e64 s0, s33, v68
	v_cndmask_b32_e64 v104, 0, v104, s0
	v_cmp_gt_i32_e64 s0, s33, v67
	v_cndmask_b32_e64 v102, 0, v102, s0
	v_cmp_gt_i32_e64 s0, s33, v66
	v_cndmask_b32_e64 v99, 0, v99, s0
	v_cmp_gt_i32_e64 s0, s33, v65
	v_cndmask_b32_e64 v100, 0, v100, s0
	v_cmp_gt_i32_e64 s0, s33, v64
	v_cndmask_b32_e64 v101, 0, v101, s0
	v_cmp_gt_i32_e64 s0, s33, v63
	v_cndmask_b32_e64 v103, 0, v103, s0
.LBB346_1070:                           ;   in Loop: Header=BB346_635 Depth=1
	s_or_b32 exec_lo, exec_lo, s22
	global_load_dwordx2 v[17:18], v[15:16], off offset:1792
	v_mov_b32_e32 v108, 0
	v_mov_b32_e32 v109, 0
	s_waitcnt vmcnt(0)
	v_cmp_ne_u16_sdwa s0, v17, v10 src0_sel:BYTE_0 src1_sel:DWORD
	s_and_saveexec_b32 s22, s0
	s_cbranch_execz .LBB346_1076
; %bb.1071:                             ;   in Loop: Header=BB346_635 Depth=1
	v_cmp_ne_u16_sdwa s0, v17, v37 src0_sel:BYTE_0 src1_sel:DWORD
	v_bfrev_b32_e32 v109, 1
	s_and_saveexec_b32 s26, s0
	s_cbranch_execz .LBB346_1075
; %bb.1072:                             ;   in Loop: Header=BB346_635 Depth=1
	v_and_b32_e32 v9, 0x7f, v17
	v_mov_b32_e32 v109, 0x7f800001
	s_mov_b32 s27, exec_lo
	v_cmpx_ne_u32_e32 0x7f, v9
	s_cbranch_execz .LBB346_1074
; %bb.1073:                             ;   in Loop: Header=BB346_635 Depth=1
	v_and_b32_e32 v13, 7, v17
	v_lshrrev_b32_e32 v14, 3, v9
	v_cmp_gt_u32_e64 s0, 8, v9
	v_ffbh_u32_e32 v13, v13
	v_min_u32_e32 v13, 32, v13
	v_subrev_nc_u32_e32 v19, 28, v13
	v_sub_nc_u32_e32 v13, 29, v13
	v_cndmask_b32_e64 v9, v14, v13, s0
	v_cndmask_b32_e64 v13, 0, v19, s0
	v_lshl_add_u32 v9, v9, 23, 0x3c000000
	v_lshlrev_b64 v[19:20], v13, v[17:18]
	v_lshlrev_b32_e32 v13, 24, v17
	v_and_b32_e32 v13, 0x80000000, v13
	v_lshlrev_b32_e32 v14, 20, v19
	v_and_b32_e32 v14, 0x700000, v14
	v_or3_b32 v109, v14, v13, v9
.LBB346_1074:                           ;   in Loop: Header=BB346_635 Depth=1
	s_or_b32 exec_lo, exec_lo, s27
.LBB346_1075:                           ;   in Loop: Header=BB346_635 Depth=1
	s_or_b32 exec_lo, exec_lo, s26
.LBB346_1076:                           ;   in Loop: Header=BB346_635 Depth=1
	s_or_b32 exec_lo, exec_lo, s22
	v_cmp_ne_u16_sdwa s0, v17, v10 src0_sel:BYTE_1 src1_sel:DWORD
	s_and_saveexec_b32 s22, s0
	s_cbranch_execz .LBB346_1084
; %bb.1077:                             ;   in Loop: Header=BB346_635 Depth=1
	v_cmp_ne_u16_sdwa s0, v17, v37 src0_sel:BYTE_1 src1_sel:DWORD
	v_bfrev_b32_e32 v108, 1
	s_and_saveexec_b32 s26, s0
	s_cbranch_execz .LBB346_1083
; %bb.1078:                             ;   in Loop: Header=BB346_635 Depth=1
	v_and_b32_sdwa v9, v38, v17 dst_sel:DWORD dst_unused:UNUSED_PAD src0_sel:DWORD src1_sel:BYTE_1
	v_mov_b32_e32 v108, 0x7f800001
	s_mov_b32 s27, exec_lo
	v_and_b32_e32 v20, 0x7f, v9
	v_cmpx_ne_u32_e32 0x7f, v20
	s_cbranch_execz .LBB346_1082
; %bb.1079:                             ;   in Loop: Header=BB346_635 Depth=1
	v_and_b32_e32 v9, 7, v9
	v_lshrrev_b32_e32 v19, 3, v20
	s_mov_b32 s28, exec_lo
	v_cmpx_gt_u32_e32 8, v20
; %bb.1080:                             ;   in Loop: Header=BB346_635 Depth=1
	v_ffbh_u32_e32 v13, v9
	v_min_u32_e32 v13, 32, v13
	v_subrev_nc_u32_e32 v14, 28, v13
	v_sub_nc_u32_e32 v19, 29, v13
	v_lshlrev_b64 v[107:108], v14, v[9:10]
	v_and_b32_e32 v9, 7, v107
; %bb.1081:                             ;   in Loop: Header=BB346_635 Depth=1
	s_or_b32 exec_lo, exec_lo, s28
	v_lshlrev_b32_e32 v13, 16, v17
	v_lshlrev_b32_e32 v9, 20, v9
	v_lshl_add_u32 v14, v19, 23, 0x3c000000
	v_and_b32_e32 v13, 0x80000000, v13
	v_or3_b32 v108, v9, v13, v14
.LBB346_1082:                           ;   in Loop: Header=BB346_635 Depth=1
	s_or_b32 exec_lo, exec_lo, s27
.LBB346_1083:                           ;   in Loop: Header=BB346_635 Depth=1
	s_or_b32 exec_lo, exec_lo, s26
.LBB346_1084:                           ;   in Loop: Header=BB346_635 Depth=1
	s_or_b32 exec_lo, exec_lo, s22
	v_and_b32_sdwa v9, v17, v39 dst_sel:DWORD dst_unused:UNUSED_PAD src0_sel:WORD_1 src1_sel:DWORD
	v_mov_b32_e32 v110, 0
	v_mov_b32_e32 v107, 0
	s_mov_b32 s22, exec_lo
	v_cmpx_ne_u16_e32 0, v9
	s_cbranch_execz .LBB346_1092
; %bb.1085:                             ;   in Loop: Header=BB346_635 Depth=1
	v_bfrev_b32_e32 v107, 1
	s_mov_b32 s26, exec_lo
	v_cmpx_ne_u16_e32 0x80, v9
	s_cbranch_execz .LBB346_1091
; %bb.1086:                             ;   in Loop: Header=BB346_635 Depth=1
	v_bfe_u32 v20, v17, 16, 7
	v_mov_b32_e32 v107, 0x7f800001
	s_mov_b32 s27, exec_lo
	v_cmpx_ne_u32_e32 0x7f, v20
	s_cbranch_execz .LBB346_1090
; %bb.1087:                             ;   in Loop: Header=BB346_635 Depth=1
	v_and_b32_sdwa v9, v17, v40 dst_sel:DWORD dst_unused:UNUSED_PAD src0_sel:WORD_1 src1_sel:DWORD
	v_lshrrev_b32_e32 v19, 3, v20
	s_mov_b32 s28, exec_lo
	v_cmpx_gt_u32_e32 8, v20
; %bb.1088:                             ;   in Loop: Header=BB346_635 Depth=1
	v_ffbh_u32_e32 v13, v9
	v_min_u32_e32 v13, 32, v13
	v_subrev_nc_u32_e32 v14, 28, v13
	v_sub_nc_u32_e32 v19, 29, v13
	v_lshlrev_b64 v[111:112], v14, v[9:10]
	v_and_b32_e32 v9, 7, v111
; %bb.1089:                             ;   in Loop: Header=BB346_635 Depth=1
	s_or_b32 exec_lo, exec_lo, s28
	v_lshlrev_b32_sdwa v13, v41, v17 dst_sel:DWORD dst_unused:UNUSED_PAD src0_sel:DWORD src1_sel:WORD_1
	v_lshlrev_b32_e32 v9, 20, v9
	v_lshl_add_u32 v14, v19, 23, 0x3c000000
	v_and_b32_e32 v13, 0x80000000, v13
	v_or3_b32 v107, v9, v13, v14
.LBB346_1090:                           ;   in Loop: Header=BB346_635 Depth=1
	s_or_b32 exec_lo, exec_lo, s27
.LBB346_1091:                           ;   in Loop: Header=BB346_635 Depth=1
	s_or_b32 exec_lo, exec_lo, s26
.LBB346_1092:                           ;   in Loop: Header=BB346_635 Depth=1
	s_or_b32 exec_lo, exec_lo, s22
	s_mov_b32 s22, exec_lo
	v_cmpx_lt_u32_e32 0xffffff, v17
	s_cbranch_execz .LBB346_1100
; %bb.1093:                             ;   in Loop: Header=BB346_635 Depth=1
	v_cmp_ne_u32_sdwa s0, v17, v37 src0_sel:BYTE_3 src1_sel:DWORD
	v_bfrev_b32_e32 v110, 1
	s_and_saveexec_b32 s26, s0
	s_cbranch_execz .LBB346_1099
; %bb.1094:                             ;   in Loop: Header=BB346_635 Depth=1
	v_bfe_u32 v20, v17, 24, 7
	v_mov_b32_e32 v110, 0x7f800001
	s_mov_b32 s27, exec_lo
	v_cmpx_ne_u32_e32 0x7f, v20
	s_cbranch_execz .LBB346_1098
; %bb.1095:                             ;   in Loop: Header=BB346_635 Depth=1
	v_and_b32_sdwa v9, v17, v40 dst_sel:DWORD dst_unused:UNUSED_PAD src0_sel:BYTE_3 src1_sel:DWORD
	v_lshrrev_b32_e32 v19, 3, v20
	s_mov_b32 s28, exec_lo
	v_cmpx_gt_u32_e32 8, v20
; %bb.1096:                             ;   in Loop: Header=BB346_635 Depth=1
	v_ffbh_u32_e32 v13, v9
	v_min_u32_e32 v13, 32, v13
	v_subrev_nc_u32_e32 v14, 28, v13
	v_sub_nc_u32_e32 v19, 29, v13
	v_lshlrev_b64 v[110:111], v14, v[9:10]
	v_and_b32_e32 v9, 7, v110
; %bb.1097:                             ;   in Loop: Header=BB346_635 Depth=1
	s_or_b32 exec_lo, exec_lo, s28
	v_lshlrev_b32_sdwa v13, v41, v17 dst_sel:DWORD dst_unused:UNUSED_PAD src0_sel:DWORD src1_sel:BYTE_3
	v_lshlrev_b32_e32 v9, 20, v9
	v_lshl_add_u32 v14, v19, 23, 0x3c000000
	v_and_b32_e32 v13, 0x80000000, v13
	v_or3_b32 v110, v9, v13, v14
.LBB346_1098:                           ;   in Loop: Header=BB346_635 Depth=1
	s_or_b32 exec_lo, exec_lo, s27
.LBB346_1099:                           ;   in Loop: Header=BB346_635 Depth=1
	s_or_b32 exec_lo, exec_lo, s26
.LBB346_1100:                           ;   in Loop: Header=BB346_635 Depth=1
	s_or_b32 exec_lo, exec_lo, s22
	v_mov_b32_e32 v9, v18
	v_cmp_ne_u16_sdwa s0, v18, v10 src0_sel:BYTE_0 src1_sel:DWORD
	v_mov_b32_e32 v19, 0
	v_mov_b32_e32 v111, 0
	s_and_saveexec_b32 s22, s0
	s_cbranch_execz .LBB346_1106
; %bb.1101:                             ;   in Loop: Header=BB346_635 Depth=1
	v_cmp_ne_u16_sdwa s0, v18, v37 src0_sel:BYTE_0 src1_sel:DWORD
	v_bfrev_b32_e32 v111, 1
	s_and_saveexec_b32 s26, s0
	s_cbranch_execz .LBB346_1105
; %bb.1102:                             ;   in Loop: Header=BB346_635 Depth=1
	v_and_b32_e32 v20, 0x7f, v18
	v_mov_b32_e32 v111, 0x7f800001
	s_mov_b32 s27, exec_lo
	v_cmpx_ne_u32_e32 0x7f, v20
	s_cbranch_execz .LBB346_1104
; %bb.1103:                             ;   in Loop: Header=BB346_635 Depth=1
	v_and_b32_e32 v13, 7, v18
	v_lshrrev_b32_e32 v14, 3, v20
	v_cmp_gt_u32_e64 s0, 8, v20
	v_ffbh_u32_e32 v13, v13
	v_min_u32_e32 v13, 32, v13
	v_subrev_nc_u32_e32 v111, 28, v13
	v_sub_nc_u32_e32 v13, 29, v13
	v_cndmask_b32_e64 v13, v14, v13, s0
	v_cndmask_b32_e64 v14, 0, v111, s0
	v_lshl_add_u32 v13, v13, 23, 0x3c000000
	v_lshlrev_b64 v[111:112], v14, v[9:10]
	v_lshlrev_b32_e32 v14, 24, v9
	v_and_b32_e32 v14, 0x80000000, v14
	v_lshlrev_b32_e32 v20, 20, v111
	v_and_b32_e32 v20, 0x700000, v20
	v_or3_b32 v111, v20, v14, v13
.LBB346_1104:                           ;   in Loop: Header=BB346_635 Depth=1
	s_or_b32 exec_lo, exec_lo, s27
.LBB346_1105:                           ;   in Loop: Header=BB346_635 Depth=1
	s_or_b32 exec_lo, exec_lo, s26
.LBB346_1106:                           ;   in Loop: Header=BB346_635 Depth=1
	s_or_b32 exec_lo, exec_lo, s22
	v_cmp_ne_u16_sdwa s0, v9, v10 src0_sel:BYTE_1 src1_sel:DWORD
	s_and_saveexec_b32 s22, s0
	s_cbranch_execz .LBB346_1114
; %bb.1107:                             ;   in Loop: Header=BB346_635 Depth=1
	v_cmp_ne_u16_sdwa s0, v9, v37 src0_sel:BYTE_1 src1_sel:DWORD
	v_bfrev_b32_e32 v19, 1
	s_and_saveexec_b32 s26, s0
	s_cbranch_execz .LBB346_1113
; %bb.1108:                             ;   in Loop: Header=BB346_635 Depth=1
	v_and_b32_sdwa v20, v38, v9 dst_sel:DWORD dst_unused:UNUSED_PAD src0_sel:DWORD src1_sel:BYTE_1
	v_mov_b32_e32 v19, 0x7f800001
	s_mov_b32 s27, exec_lo
	v_and_b32_e32 v113, 0x7f, v20
	v_cmpx_ne_u32_e32 0x7f, v113
	s_cbranch_execz .LBB346_1112
; %bb.1109:                             ;   in Loop: Header=BB346_635 Depth=1
	v_and_b32_e32 v19, 7, v20
	v_mov_b32_e32 v20, v10
	v_lshrrev_b32_e32 v112, 3, v113
	s_mov_b32 s28, exec_lo
	v_cmpx_gt_u32_e32 8, v113
; %bb.1110:                             ;   in Loop: Header=BB346_635 Depth=1
	v_ffbh_u32_e32 v13, v19
	v_min_u32_e32 v13, 32, v13
	v_subrev_nc_u32_e32 v14, 28, v13
	v_sub_nc_u32_e32 v112, 29, v13
	v_lshlrev_b64 v[19:20], v14, v[19:20]
	v_and_b32_e32 v19, 7, v19
; %bb.1111:                             ;   in Loop: Header=BB346_635 Depth=1
	s_or_b32 exec_lo, exec_lo, s28
	v_lshlrev_b32_e32 v9, 16, v9
	v_lshlrev_b32_e32 v13, 20, v19
	v_lshl_add_u32 v14, v112, 23, 0x3c000000
	v_and_b32_e32 v9, 0x80000000, v9
	v_or3_b32 v19, v13, v9, v14
.LBB346_1112:                           ;   in Loop: Header=BB346_635 Depth=1
	s_or_b32 exec_lo, exec_lo, s27
.LBB346_1113:                           ;   in Loop: Header=BB346_635 Depth=1
	s_or_b32 exec_lo, exec_lo, s26
.LBB346_1114:                           ;   in Loop: Header=BB346_635 Depth=1
	s_or_b32 exec_lo, exec_lo, s22
	v_and_b32_sdwa v9, v18, v39 dst_sel:DWORD dst_unused:UNUSED_PAD src0_sel:WORD_1 src1_sel:DWORD
	v_mov_b32_e32 v20, 0
	v_mov_b32_e32 v112, 0
	s_mov_b32 s22, exec_lo
	v_cmpx_ne_u16_e32 0, v9
	s_cbranch_execz .LBB346_1122
; %bb.1115:                             ;   in Loop: Header=BB346_635 Depth=1
	v_bfrev_b32_e32 v112, 1
	s_mov_b32 s26, exec_lo
	v_cmpx_ne_u16_e32 0x80, v9
	s_cbranch_execz .LBB346_1121
; %bb.1116:                             ;   in Loop: Header=BB346_635 Depth=1
	v_bfe_u32 v113, v18, 16, 7
	v_mov_b32_e32 v112, 0x7f800001
	s_mov_b32 s27, exec_lo
	v_cmpx_ne_u32_e32 0x7f, v113
	s_cbranch_execz .LBB346_1120
; %bb.1117:                             ;   in Loop: Header=BB346_635 Depth=1
	v_and_b32_sdwa v9, v18, v40 dst_sel:DWORD dst_unused:UNUSED_PAD src0_sel:WORD_1 src1_sel:DWORD
	v_lshrrev_b32_e32 v112, 3, v113
	s_mov_b32 s28, exec_lo
	v_cmpx_gt_u32_e32 8, v113
; %bb.1118:                             ;   in Loop: Header=BB346_635 Depth=1
	v_ffbh_u32_e32 v13, v9
	v_min_u32_e32 v13, 32, v13
	v_subrev_nc_u32_e32 v14, 28, v13
	v_sub_nc_u32_e32 v112, 29, v13
	v_lshlrev_b64 v[113:114], v14, v[9:10]
	v_and_b32_e32 v9, 7, v113
; %bb.1119:                             ;   in Loop: Header=BB346_635 Depth=1
	s_or_b32 exec_lo, exec_lo, s28
	v_lshlrev_b32_sdwa v13, v41, v18 dst_sel:DWORD dst_unused:UNUSED_PAD src0_sel:DWORD src1_sel:WORD_1
	v_lshlrev_b32_e32 v9, 20, v9
	v_lshl_add_u32 v14, v112, 23, 0x3c000000
	v_and_b32_e32 v13, 0x80000000, v13
	v_or3_b32 v112, v9, v13, v14
.LBB346_1120:                           ;   in Loop: Header=BB346_635 Depth=1
	s_or_b32 exec_lo, exec_lo, s27
.LBB346_1121:                           ;   in Loop: Header=BB346_635 Depth=1
	s_or_b32 exec_lo, exec_lo, s26
.LBB346_1122:                           ;   in Loop: Header=BB346_635 Depth=1
	s_or_b32 exec_lo, exec_lo, s22
	s_mov_b32 s22, exec_lo
	v_cmpx_lt_u64_e64 s[2:3], v[17:18]
	s_cbranch_execz .LBB346_1130
; %bb.1123:                             ;   in Loop: Header=BB346_635 Depth=1
	v_cmp_ne_u32_sdwa s0, v18, v37 src0_sel:BYTE_3 src1_sel:DWORD
	v_bfrev_b32_e32 v20, 1
	s_and_saveexec_b32 s26, s0
	s_cbranch_execz .LBB346_1129
; %bb.1124:                             ;   in Loop: Header=BB346_635 Depth=1
	v_bfe_u32 v113, v18, 24, 7
	v_mov_b32_e32 v20, 0x7f800001
	s_mov_b32 s27, exec_lo
	v_cmpx_ne_u32_e32 0x7f, v113
	s_cbranch_execz .LBB346_1128
; %bb.1125:                             ;   in Loop: Header=BB346_635 Depth=1
	v_and_b32_sdwa v9, v18, v40 dst_sel:DWORD dst_unused:UNUSED_PAD src0_sel:BYTE_3 src1_sel:DWORD
	v_lshrrev_b32_e32 v17, 3, v113
	s_mov_b32 s28, exec_lo
	v_cmpx_gt_u32_e32 8, v113
; %bb.1126:                             ;   in Loop: Header=BB346_635 Depth=1
	v_ffbh_u32_e32 v13, v9
	v_min_u32_e32 v13, 32, v13
	v_subrev_nc_u32_e32 v14, 28, v13
	v_sub_nc_u32_e32 v17, 29, v13
	v_lshlrev_b64 v[113:114], v14, v[9:10]
	v_and_b32_e32 v9, 7, v113
; %bb.1127:                             ;   in Loop: Header=BB346_635 Depth=1
	s_or_b32 exec_lo, exec_lo, s28
	v_lshlrev_b32_sdwa v13, v41, v18 dst_sel:DWORD dst_unused:UNUSED_PAD src0_sel:DWORD src1_sel:BYTE_3
	v_lshlrev_b32_e32 v9, 20, v9
	v_lshl_add_u32 v14, v17, 23, 0x3c000000
	v_and_b32_e32 v13, 0x80000000, v13
	v_or3_b32 v20, v9, v13, v14
.LBB346_1128:                           ;   in Loop: Header=BB346_635 Depth=1
	s_or_b32 exec_lo, exec_lo, s27
.LBB346_1129:                           ;   in Loop: Header=BB346_635 Depth=1
	s_or_b32 exec_lo, exec_lo, s26
.LBB346_1130:                           ;   in Loop: Header=BB346_635 Depth=1
	s_or_b32 exec_lo, exec_lo, s22
	v_mul_f32_e32 v9, s21, v19
	v_mul_f32_e32 v13, s21, v111
	;; [unrolled: 1-line block ×5, first 2 shown]
	v_bfe_u32 v18, v9, 16, 1
	v_or_b32_e32 v19, 0x400000, v9
	v_bfe_u32 v107, v13, 16, 1
	v_cmp_u_f32_e64 s0, v9, v9
	v_or_b32_e32 v110, 0x400000, v13
	v_add3_u32 v18, v18, v9, 0x7fff
	v_bfe_u32 v111, v14, 16, 1
	v_add3_u32 v107, v107, v13, 0x7fff
	v_or_b32_e32 v113, 0x400000, v14
	v_bfe_u32 v114, v17, 16, 1
	v_cndmask_b32_e64 v9, v18, v19, s0
	v_cmp_u_f32_e64 s0, v13, v13
	v_add3_u32 v111, v111, v14, 0x7fff
	v_or_b32_e32 v19, 0x400000, v17
	v_add3_u32 v18, v114, v17, 0x7fff
	v_cndmask_b32_e64 v13, v107, v110, s0
	v_cmp_u_f32_e64 s0, v14, v14
	v_lshrrev_b32_e32 v107, 16, v9
	v_mul_f32_e32 v9, s21, v108
	v_lshrrev_b32_e32 v108, 16, v13
	v_cndmask_b32_e64 v14, v111, v113, s0
	v_cmp_u_f32_e64 s0, v17, v17
	v_bfe_u32 v13, v9, 16, 1
	v_mul_f32_e32 v17, s21, v109
	v_or_b32_e32 v113, 0x400000, v20
	v_lshrrev_b32_e32 v110, 16, v14
	v_cndmask_b32_e64 v14, v18, v19, s0
	v_mul_f32_e32 v18, s21, v112
	v_add3_u32 v13, v13, v9, 0x7fff
	v_or_b32_e32 v19, 0x400000, v9
	v_bfe_u32 v109, v17, 16, 1
	v_cmp_u_f32_e64 s0, v9, v9
	v_bfe_u32 v111, v18, 16, 1
	v_or_b32_e32 v112, 0x400000, v18
	v_cndmask_b32_e64 v9, v13, v19, s0
	v_add3_u32 v19, v109, v17, 0x7fff
	v_or_b32_e32 v109, 0x400000, v17
	v_cmp_u_f32_e64 s0, v17, v17
	v_bfe_u32 v13, v20, 16, 1
	v_add3_u32 v111, v111, v18, 0x7fff
	v_lshrrev_b32_e32 v114, 16, v9
	v_cndmask_b32_e64 v17, v19, v109, s0
	v_cmp_u_f32_e64 s0, v18, v18
	v_add3_u32 v13, v13, v20, 0x7fff
	v_cndmask_b32_e64 v18, v111, v112, s0
	v_cmp_u_f32_e64 s0, v20, v20
	v_lshrrev_b32_e32 v112, 16, v14
	v_lshrrev_b32_e32 v109, 16, v18
	v_cndmask_b32_e64 v13, v13, v113, s0
	v_lshrrev_b32_e32 v113, 16, v17
	v_lshrrev_b32_e32 v111, 16, v13
	s_and_saveexec_b32 s22, vcc_lo
	s_cbranch_execz .LBB346_1132
; %bb.1131:                             ;   in Loop: Header=BB346_635 Depth=1
	v_cmp_gt_i32_e64 s0, s33, v62
	v_cndmask_b32_e64 v113, 0, v113, s0
	v_cmp_gt_i32_e64 s0, s33, v69
	v_cndmask_b32_e64 v114, 0, v114, s0
	;; [unrolled: 2-line block ×8, first 2 shown]
.LBB346_1132:                           ;   in Loop: Header=BB346_635 Depth=1
	s_or_b32 exec_lo, exec_lo, s22
	v_add_co_u32 v15, s0, 0x800, v15
	v_add_co_ci_u32_e64 v16, null, 0, v16, s0
	v_mov_b32_e32 v118, 0
	v_mov_b32_e32 v115, 0
	global_load_dwordx2 v[17:18], v[15:16], off
	s_waitcnt vmcnt(0)
	v_cmp_ne_u16_sdwa s0, v17, v10 src0_sel:BYTE_0 src1_sel:DWORD
	s_and_saveexec_b32 s22, s0
	s_cbranch_execz .LBB346_1138
; %bb.1133:                             ;   in Loop: Header=BB346_635 Depth=1
	v_cmp_ne_u16_sdwa s0, v17, v37 src0_sel:BYTE_0 src1_sel:DWORD
	v_bfrev_b32_e32 v115, 1
	s_and_saveexec_b32 s26, s0
	s_cbranch_execz .LBB346_1137
; %bb.1134:                             ;   in Loop: Header=BB346_635 Depth=1
	v_and_b32_e32 v9, 0x7f, v17
	v_mov_b32_e32 v115, 0x7f800001
	s_mov_b32 s27, exec_lo
	v_cmpx_ne_u32_e32 0x7f, v9
	s_cbranch_execz .LBB346_1136
; %bb.1135:                             ;   in Loop: Header=BB346_635 Depth=1
	v_and_b32_e32 v13, 7, v17
	v_lshrrev_b32_e32 v14, 3, v9
	v_cmp_gt_u32_e64 s0, 8, v9
	v_ffbh_u32_e32 v13, v13
	v_min_u32_e32 v13, 32, v13
	v_subrev_nc_u32_e32 v19, 28, v13
	v_sub_nc_u32_e32 v13, 29, v13
	v_cndmask_b32_e64 v9, v14, v13, s0
	v_cndmask_b32_e64 v13, 0, v19, s0
	v_lshl_add_u32 v9, v9, 23, 0x3c000000
	v_lshlrev_b64 v[19:20], v13, v[17:18]
	v_lshlrev_b32_e32 v13, 24, v17
	v_and_b32_e32 v13, 0x80000000, v13
	v_lshlrev_b32_e32 v14, 20, v19
	v_and_b32_e32 v14, 0x700000, v14
	v_or3_b32 v115, v14, v13, v9
.LBB346_1136:                           ;   in Loop: Header=BB346_635 Depth=1
	s_or_b32 exec_lo, exec_lo, s27
.LBB346_1137:                           ;   in Loop: Header=BB346_635 Depth=1
	s_or_b32 exec_lo, exec_lo, s26
.LBB346_1138:                           ;   in Loop: Header=BB346_635 Depth=1
	s_or_b32 exec_lo, exec_lo, s22
	v_cmp_ne_u16_sdwa s0, v17, v10 src0_sel:BYTE_1 src1_sel:DWORD
	s_and_saveexec_b32 s22, s0
	s_cbranch_execz .LBB346_1146
; %bb.1139:                             ;   in Loop: Header=BB346_635 Depth=1
	v_cmp_ne_u16_sdwa s0, v17, v37 src0_sel:BYTE_1 src1_sel:DWORD
	v_bfrev_b32_e32 v118, 1
	s_and_saveexec_b32 s26, s0
	s_cbranch_execz .LBB346_1145
; %bb.1140:                             ;   in Loop: Header=BB346_635 Depth=1
	v_and_b32_sdwa v9, v38, v17 dst_sel:DWORD dst_unused:UNUSED_PAD src0_sel:DWORD src1_sel:BYTE_1
	v_mov_b32_e32 v118, 0x7f800001
	s_mov_b32 s27, exec_lo
	v_and_b32_e32 v20, 0x7f, v9
	v_cmpx_ne_u32_e32 0x7f, v20
	s_cbranch_execz .LBB346_1144
; %bb.1141:                             ;   in Loop: Header=BB346_635 Depth=1
	v_and_b32_e32 v9, 7, v9
	v_lshrrev_b32_e32 v19, 3, v20
	s_mov_b32 s28, exec_lo
	v_cmpx_gt_u32_e32 8, v20
; %bb.1142:                             ;   in Loop: Header=BB346_635 Depth=1
	v_ffbh_u32_e32 v13, v9
	v_min_u32_e32 v13, 32, v13
	v_subrev_nc_u32_e32 v14, 28, v13
	v_sub_nc_u32_e32 v19, 29, v13
	v_lshlrev_b64 v[116:117], v14, v[9:10]
	v_and_b32_e32 v9, 7, v116
; %bb.1143:                             ;   in Loop: Header=BB346_635 Depth=1
	s_or_b32 exec_lo, exec_lo, s28
	v_lshlrev_b32_e32 v13, 16, v17
	v_lshlrev_b32_e32 v9, 20, v9
	v_lshl_add_u32 v14, v19, 23, 0x3c000000
	v_and_b32_e32 v13, 0x80000000, v13
	v_or3_b32 v118, v9, v13, v14
.LBB346_1144:                           ;   in Loop: Header=BB346_635 Depth=1
	s_or_b32 exec_lo, exec_lo, s27
.LBB346_1145:                           ;   in Loop: Header=BB346_635 Depth=1
	s_or_b32 exec_lo, exec_lo, s26
.LBB346_1146:                           ;   in Loop: Header=BB346_635 Depth=1
	s_or_b32 exec_lo, exec_lo, s22
	v_and_b32_sdwa v9, v17, v39 dst_sel:DWORD dst_unused:UNUSED_PAD src0_sel:WORD_1 src1_sel:DWORD
	v_mov_b32_e32 v116, 0
	v_mov_b32_e32 v117, 0
	s_mov_b32 s22, exec_lo
	v_cmpx_ne_u16_e32 0, v9
	s_cbranch_execz .LBB346_1154
; %bb.1147:                             ;   in Loop: Header=BB346_635 Depth=1
	v_bfrev_b32_e32 v117, 1
	s_mov_b32 s26, exec_lo
	v_cmpx_ne_u16_e32 0x80, v9
	s_cbranch_execz .LBB346_1153
; %bb.1148:                             ;   in Loop: Header=BB346_635 Depth=1
	v_bfe_u32 v20, v17, 16, 7
	v_mov_b32_e32 v117, 0x7f800001
	s_mov_b32 s27, exec_lo
	v_cmpx_ne_u32_e32 0x7f, v20
	s_cbranch_execz .LBB346_1152
; %bb.1149:                             ;   in Loop: Header=BB346_635 Depth=1
	v_and_b32_sdwa v9, v17, v40 dst_sel:DWORD dst_unused:UNUSED_PAD src0_sel:WORD_1 src1_sel:DWORD
	v_lshrrev_b32_e32 v19, 3, v20
	s_mov_b32 s28, exec_lo
	v_cmpx_gt_u32_e32 8, v20
; %bb.1150:                             ;   in Loop: Header=BB346_635 Depth=1
	v_ffbh_u32_e32 v13, v9
	v_min_u32_e32 v13, 32, v13
	v_subrev_nc_u32_e32 v14, 28, v13
	v_sub_nc_u32_e32 v19, 29, v13
	v_lshlrev_b64 v[119:120], v14, v[9:10]
	v_and_b32_e32 v9, 7, v119
; %bb.1151:                             ;   in Loop: Header=BB346_635 Depth=1
	s_or_b32 exec_lo, exec_lo, s28
	v_lshlrev_b32_sdwa v13, v41, v17 dst_sel:DWORD dst_unused:UNUSED_PAD src0_sel:DWORD src1_sel:WORD_1
	v_lshlrev_b32_e32 v9, 20, v9
	v_lshl_add_u32 v14, v19, 23, 0x3c000000
	v_and_b32_e32 v13, 0x80000000, v13
	v_or3_b32 v117, v9, v13, v14
.LBB346_1152:                           ;   in Loop: Header=BB346_635 Depth=1
	s_or_b32 exec_lo, exec_lo, s27
.LBB346_1153:                           ;   in Loop: Header=BB346_635 Depth=1
	s_or_b32 exec_lo, exec_lo, s26
.LBB346_1154:                           ;   in Loop: Header=BB346_635 Depth=1
	s_or_b32 exec_lo, exec_lo, s22
	s_mov_b32 s22, exec_lo
	v_cmpx_lt_u32_e32 0xffffff, v17
	s_cbranch_execz .LBB346_1162
; %bb.1155:                             ;   in Loop: Header=BB346_635 Depth=1
	v_cmp_ne_u32_sdwa s0, v17, v37 src0_sel:BYTE_3 src1_sel:DWORD
	v_bfrev_b32_e32 v116, 1
	s_and_saveexec_b32 s26, s0
	s_cbranch_execz .LBB346_1161
; %bb.1156:                             ;   in Loop: Header=BB346_635 Depth=1
	v_bfe_u32 v20, v17, 24, 7
	v_mov_b32_e32 v116, 0x7f800001
	s_mov_b32 s27, exec_lo
	v_cmpx_ne_u32_e32 0x7f, v20
	s_cbranch_execz .LBB346_1160
; %bb.1157:                             ;   in Loop: Header=BB346_635 Depth=1
	v_and_b32_sdwa v9, v17, v40 dst_sel:DWORD dst_unused:UNUSED_PAD src0_sel:BYTE_3 src1_sel:DWORD
	v_lshrrev_b32_e32 v19, 3, v20
	s_mov_b32 s28, exec_lo
	v_cmpx_gt_u32_e32 8, v20
; %bb.1158:                             ;   in Loop: Header=BB346_635 Depth=1
	v_ffbh_u32_e32 v13, v9
	v_min_u32_e32 v13, 32, v13
	v_subrev_nc_u32_e32 v14, 28, v13
	v_sub_nc_u32_e32 v19, 29, v13
	v_lshlrev_b64 v[119:120], v14, v[9:10]
	v_and_b32_e32 v9, 7, v119
; %bb.1159:                             ;   in Loop: Header=BB346_635 Depth=1
	s_or_b32 exec_lo, exec_lo, s28
	v_lshlrev_b32_sdwa v13, v41, v17 dst_sel:DWORD dst_unused:UNUSED_PAD src0_sel:DWORD src1_sel:BYTE_3
	v_lshlrev_b32_e32 v9, 20, v9
	v_lshl_add_u32 v14, v19, 23, 0x3c000000
	v_and_b32_e32 v13, 0x80000000, v13
	v_or3_b32 v116, v9, v13, v14
.LBB346_1160:                           ;   in Loop: Header=BB346_635 Depth=1
	s_or_b32 exec_lo, exec_lo, s27
.LBB346_1161:                           ;   in Loop: Header=BB346_635 Depth=1
	s_or_b32 exec_lo, exec_lo, s26
.LBB346_1162:                           ;   in Loop: Header=BB346_635 Depth=1
	s_or_b32 exec_lo, exec_lo, s22
	v_mov_b32_e32 v9, v18
	v_cmp_ne_u16_sdwa s0, v18, v10 src0_sel:BYTE_0 src1_sel:DWORD
	v_mov_b32_e32 v19, 0
	v_mov_b32_e32 v121, 0
	s_and_saveexec_b32 s22, s0
	s_cbranch_execz .LBB346_1168
; %bb.1163:                             ;   in Loop: Header=BB346_635 Depth=1
	v_cmp_ne_u16_sdwa s0, v18, v37 src0_sel:BYTE_0 src1_sel:DWORD
	v_bfrev_b32_e32 v121, 1
	s_and_saveexec_b32 s26, s0
	s_cbranch_execz .LBB346_1167
; %bb.1164:                             ;   in Loop: Header=BB346_635 Depth=1
	v_and_b32_e32 v20, 0x7f, v18
	v_mov_b32_e32 v121, 0x7f800001
	s_mov_b32 s27, exec_lo
	v_cmpx_ne_u32_e32 0x7f, v20
	s_cbranch_execz .LBB346_1166
; %bb.1165:                             ;   in Loop: Header=BB346_635 Depth=1
	v_and_b32_e32 v13, 7, v18
	v_lshrrev_b32_e32 v14, 3, v20
	v_cmp_gt_u32_e64 s0, 8, v20
	v_ffbh_u32_e32 v13, v13
	v_min_u32_e32 v13, 32, v13
	v_subrev_nc_u32_e32 v119, 28, v13
	v_sub_nc_u32_e32 v13, 29, v13
	v_cndmask_b32_e64 v13, v14, v13, s0
	v_cndmask_b32_e64 v14, 0, v119, s0
	v_lshl_add_u32 v13, v13, 23, 0x3c000000
	v_lshlrev_b64 v[119:120], v14, v[9:10]
	v_lshlrev_b32_e32 v14, 24, v9
	v_and_b32_e32 v14, 0x80000000, v14
	v_lshlrev_b32_e32 v20, 20, v119
	v_and_b32_e32 v20, 0x700000, v20
	v_or3_b32 v121, v20, v14, v13
.LBB346_1166:                           ;   in Loop: Header=BB346_635 Depth=1
	s_or_b32 exec_lo, exec_lo, s27
.LBB346_1167:                           ;   in Loop: Header=BB346_635 Depth=1
	s_or_b32 exec_lo, exec_lo, s26
.LBB346_1168:                           ;   in Loop: Header=BB346_635 Depth=1
	s_or_b32 exec_lo, exec_lo, s22
	v_cmp_ne_u16_sdwa s0, v9, v10 src0_sel:BYTE_1 src1_sel:DWORD
	s_and_saveexec_b32 s22, s0
	s_cbranch_execz .LBB346_1176
; %bb.1169:                             ;   in Loop: Header=BB346_635 Depth=1
	v_cmp_ne_u16_sdwa s0, v9, v37 src0_sel:BYTE_1 src1_sel:DWORD
	v_bfrev_b32_e32 v19, 1
	s_and_saveexec_b32 s26, s0
	s_cbranch_execz .LBB346_1175
; %bb.1170:                             ;   in Loop: Header=BB346_635 Depth=1
	v_and_b32_sdwa v20, v38, v9 dst_sel:DWORD dst_unused:UNUSED_PAD src0_sel:DWORD src1_sel:BYTE_1
	v_mov_b32_e32 v19, 0x7f800001
	s_mov_b32 s27, exec_lo
	v_and_b32_e32 v120, 0x7f, v20
	v_cmpx_ne_u32_e32 0x7f, v120
	s_cbranch_execz .LBB346_1174
; %bb.1171:                             ;   in Loop: Header=BB346_635 Depth=1
	v_and_b32_e32 v19, 7, v20
	v_mov_b32_e32 v20, v10
	v_lshrrev_b32_e32 v119, 3, v120
	s_mov_b32 s28, exec_lo
	v_cmpx_gt_u32_e32 8, v120
; %bb.1172:                             ;   in Loop: Header=BB346_635 Depth=1
	v_ffbh_u32_e32 v13, v19
	v_min_u32_e32 v13, 32, v13
	v_subrev_nc_u32_e32 v14, 28, v13
	v_sub_nc_u32_e32 v119, 29, v13
	v_lshlrev_b64 v[19:20], v14, v[19:20]
	v_and_b32_e32 v19, 7, v19
; %bb.1173:                             ;   in Loop: Header=BB346_635 Depth=1
	s_or_b32 exec_lo, exec_lo, s28
	v_lshlrev_b32_e32 v9, 16, v9
	v_lshlrev_b32_e32 v13, 20, v19
	v_lshl_add_u32 v14, v119, 23, 0x3c000000
	v_and_b32_e32 v9, 0x80000000, v9
	v_or3_b32 v19, v13, v9, v14
.LBB346_1174:                           ;   in Loop: Header=BB346_635 Depth=1
	s_or_b32 exec_lo, exec_lo, s27
.LBB346_1175:                           ;   in Loop: Header=BB346_635 Depth=1
	s_or_b32 exec_lo, exec_lo, s26
.LBB346_1176:                           ;   in Loop: Header=BB346_635 Depth=1
	s_or_b32 exec_lo, exec_lo, s22
	v_and_b32_sdwa v9, v18, v39 dst_sel:DWORD dst_unused:UNUSED_PAD src0_sel:WORD_1 src1_sel:DWORD
	v_mov_b32_e32 v119, 0
	v_mov_b32_e32 v120, 0
	s_mov_b32 s22, exec_lo
	v_cmpx_ne_u16_e32 0, v9
	s_cbranch_execz .LBB346_1184
; %bb.1177:                             ;   in Loop: Header=BB346_635 Depth=1
	v_bfrev_b32_e32 v120, 1
	s_mov_b32 s26, exec_lo
	v_cmpx_ne_u16_e32 0x80, v9
	s_cbranch_execz .LBB346_1183
; %bb.1178:                             ;   in Loop: Header=BB346_635 Depth=1
	v_bfe_u32 v122, v18, 16, 7
	v_mov_b32_e32 v120, 0x7f800001
	s_mov_b32 s27, exec_lo
	v_cmpx_ne_u32_e32 0x7f, v122
	s_cbranch_execz .LBB346_1182
; %bb.1179:                             ;   in Loop: Header=BB346_635 Depth=1
	v_and_b32_sdwa v9, v18, v40 dst_sel:DWORD dst_unused:UNUSED_PAD src0_sel:WORD_1 src1_sel:DWORD
	v_lshrrev_b32_e32 v20, 3, v122
	s_mov_b32 s28, exec_lo
	v_cmpx_gt_u32_e32 8, v122
; %bb.1180:                             ;   in Loop: Header=BB346_635 Depth=1
	v_ffbh_u32_e32 v13, v9
	v_min_u32_e32 v13, 32, v13
	v_subrev_nc_u32_e32 v14, 28, v13
	v_sub_nc_u32_e32 v20, 29, v13
	v_lshlrev_b64 v[122:123], v14, v[9:10]
	v_and_b32_e32 v9, 7, v122
; %bb.1181:                             ;   in Loop: Header=BB346_635 Depth=1
	s_or_b32 exec_lo, exec_lo, s28
	v_lshlrev_b32_sdwa v13, v41, v18 dst_sel:DWORD dst_unused:UNUSED_PAD src0_sel:DWORD src1_sel:WORD_1
	v_lshlrev_b32_e32 v9, 20, v9
	v_lshl_add_u32 v14, v20, 23, 0x3c000000
	v_and_b32_e32 v13, 0x80000000, v13
	v_or3_b32 v120, v9, v13, v14
.LBB346_1182:                           ;   in Loop: Header=BB346_635 Depth=1
	s_or_b32 exec_lo, exec_lo, s27
.LBB346_1183:                           ;   in Loop: Header=BB346_635 Depth=1
	s_or_b32 exec_lo, exec_lo, s26
.LBB346_1184:                           ;   in Loop: Header=BB346_635 Depth=1
	s_or_b32 exec_lo, exec_lo, s22
	s_mov_b32 s22, exec_lo
	v_cmpx_lt_u64_e64 s[2:3], v[17:18]
	s_cbranch_execz .LBB346_1192
; %bb.1185:                             ;   in Loop: Header=BB346_635 Depth=1
	v_cmp_ne_u32_sdwa s0, v18, v37 src0_sel:BYTE_3 src1_sel:DWORD
	v_bfrev_b32_e32 v119, 1
	s_and_saveexec_b32 s26, s0
	s_cbranch_execz .LBB346_1191
; %bb.1186:                             ;   in Loop: Header=BB346_635 Depth=1
	v_bfe_u32 v20, v18, 24, 7
	v_mov_b32_e32 v119, 0x7f800001
	s_mov_b32 s27, exec_lo
	v_cmpx_ne_u32_e32 0x7f, v20
	s_cbranch_execz .LBB346_1190
; %bb.1187:                             ;   in Loop: Header=BB346_635 Depth=1
	v_and_b32_sdwa v9, v18, v40 dst_sel:DWORD dst_unused:UNUSED_PAD src0_sel:BYTE_3 src1_sel:DWORD
	v_lshrrev_b32_e32 v17, 3, v20
	s_mov_b32 s28, exec_lo
	v_cmpx_gt_u32_e32 8, v20
; %bb.1188:                             ;   in Loop: Header=BB346_635 Depth=1
	v_ffbh_u32_e32 v13, v9
	v_min_u32_e32 v13, 32, v13
	v_subrev_nc_u32_e32 v14, 28, v13
	v_sub_nc_u32_e32 v17, 29, v13
	v_lshlrev_b64 v[122:123], v14, v[9:10]
	v_and_b32_e32 v9, 7, v122
; %bb.1189:                             ;   in Loop: Header=BB346_635 Depth=1
	s_or_b32 exec_lo, exec_lo, s28
	v_lshlrev_b32_sdwa v13, v41, v18 dst_sel:DWORD dst_unused:UNUSED_PAD src0_sel:DWORD src1_sel:BYTE_3
	v_lshlrev_b32_e32 v9, 20, v9
	v_lshl_add_u32 v14, v17, 23, 0x3c000000
	v_and_b32_e32 v13, 0x80000000, v13
	v_or3_b32 v119, v9, v13, v14
.LBB346_1190:                           ;   in Loop: Header=BB346_635 Depth=1
	s_or_b32 exec_lo, exec_lo, s27
.LBB346_1191:                           ;   in Loop: Header=BB346_635 Depth=1
	s_or_b32 exec_lo, exec_lo, s26
.LBB346_1192:                           ;   in Loop: Header=BB346_635 Depth=1
	s_or_b32 exec_lo, exec_lo, s22
	v_mul_f32_e32 v9, s21, v19
	v_bfe_u32 v13, v9, 16, 1
	v_or_b32_e32 v14, 0x400000, v9
	v_cmp_u_f32_e64 s0, v9, v9
	v_add3_u32 v13, v13, v9, 0x7fff
	v_cndmask_b32_e64 v9, v13, v14, s0
	v_lshrrev_b32_e32 v19, 16, v9
	v_mul_f32_e32 v9, s21, v121
	v_bfe_u32 v13, v9, 16, 1
	v_or_b32_e32 v14, 0x400000, v9
	v_cmp_u_f32_e64 s0, v9, v9
	v_add3_u32 v13, v13, v9, 0x7fff
	v_cndmask_b32_e64 v9, v13, v14, s0
	v_lshrrev_b32_e32 v20, 16, v9
	;; [unrolled: 7-line block ×8, first 2 shown]
	s_and_saveexec_b32 s22, vcc_lo
	s_cbranch_execz .LBB346_1194
; %bb.1193:                             ;   in Loop: Header=BB346_635 Depth=1
	v_cmp_gt_i32_e64 s0, s33, v62
	v_cndmask_b32_e64 v122, 0, v122, s0
	v_cmp_gt_i32_e64 s0, s33, v69
	v_cndmask_b32_e64 v121, 0, v121, s0
	;; [unrolled: 2-line block ×8, first 2 shown]
.LBB346_1194:                           ;   in Loop: Header=BB346_635 Depth=1
	s_or_b32 exec_lo, exec_lo, s22
	global_load_dwordx2 v[15:16], v[15:16], off offset:256
	v_mov_b32_e32 v115, 0
	v_mov_b32_e32 v118, 0
	s_waitcnt vmcnt(0)
	v_cmp_ne_u16_sdwa s0, v15, v10 src0_sel:BYTE_0 src1_sel:DWORD
	s_and_saveexec_b32 s22, s0
	s_cbranch_execz .LBB346_1200
; %bb.1195:                             ;   in Loop: Header=BB346_635 Depth=1
	v_cmp_ne_u16_sdwa s0, v15, v37 src0_sel:BYTE_0 src1_sel:DWORD
	v_bfrev_b32_e32 v118, 1
	s_and_saveexec_b32 s26, s0
	s_cbranch_execz .LBB346_1199
; %bb.1196:                             ;   in Loop: Header=BB346_635 Depth=1
	v_and_b32_e32 v9, 0x7f, v15
	v_mov_b32_e32 v118, 0x7f800001
	s_mov_b32 s27, exec_lo
	v_cmpx_ne_u32_e32 0x7f, v9
	s_cbranch_execz .LBB346_1198
; %bb.1197:                             ;   in Loop: Header=BB346_635 Depth=1
	v_and_b32_e32 v13, 7, v15
	v_lshrrev_b32_e32 v14, 3, v9
	v_cmp_gt_u32_e64 s0, 8, v9
	v_ffbh_u32_e32 v13, v13
	v_min_u32_e32 v13, 32, v13
	v_subrev_nc_u32_e32 v17, 28, v13
	v_sub_nc_u32_e32 v13, 29, v13
	v_cndmask_b32_e64 v9, v14, v13, s0
	v_cndmask_b32_e64 v13, 0, v17, s0
	v_lshl_add_u32 v9, v9, 23, 0x3c000000
	v_lshlrev_b64 v[17:18], v13, v[15:16]
	v_lshlrev_b32_e32 v13, 24, v15
	v_and_b32_e32 v13, 0x80000000, v13
	v_lshlrev_b32_e32 v14, 20, v17
	v_and_b32_e32 v14, 0x700000, v14
	v_or3_b32 v118, v14, v13, v9
.LBB346_1198:                           ;   in Loop: Header=BB346_635 Depth=1
	s_or_b32 exec_lo, exec_lo, s27
.LBB346_1199:                           ;   in Loop: Header=BB346_635 Depth=1
	s_or_b32 exec_lo, exec_lo, s26
.LBB346_1200:                           ;   in Loop: Header=BB346_635 Depth=1
	s_or_b32 exec_lo, exec_lo, s22
	v_cmp_ne_u16_sdwa s0, v15, v10 src0_sel:BYTE_1 src1_sel:DWORD
	s_and_saveexec_b32 s22, s0
	s_cbranch_execz .LBB346_1208
; %bb.1201:                             ;   in Loop: Header=BB346_635 Depth=1
	v_cmp_ne_u16_sdwa s0, v15, v37 src0_sel:BYTE_1 src1_sel:DWORD
	v_bfrev_b32_e32 v115, 1
	s_and_saveexec_b32 s26, s0
	s_cbranch_execz .LBB346_1207
; %bb.1202:                             ;   in Loop: Header=BB346_635 Depth=1
	v_and_b32_sdwa v9, v38, v15 dst_sel:DWORD dst_unused:UNUSED_PAD src0_sel:DWORD src1_sel:BYTE_1
	v_mov_b32_e32 v115, 0x7f800001
	s_mov_b32 s27, exec_lo
	v_and_b32_e32 v18, 0x7f, v9
	v_cmpx_ne_u32_e32 0x7f, v18
	s_cbranch_execz .LBB346_1206
; %bb.1203:                             ;   in Loop: Header=BB346_635 Depth=1
	v_and_b32_e32 v9, 7, v9
	v_lshrrev_b32_e32 v17, 3, v18
	s_mov_b32 s28, exec_lo
	v_cmpx_gt_u32_e32 8, v18
; %bb.1204:                             ;   in Loop: Header=BB346_635 Depth=1
	v_ffbh_u32_e32 v13, v9
	v_min_u32_e32 v13, 32, v13
	v_subrev_nc_u32_e32 v14, 28, v13
	v_sub_nc_u32_e32 v17, 29, v13
	v_lshlrev_b64 v[124:125], v14, v[9:10]
	v_and_b32_e32 v9, 7, v124
; %bb.1205:                             ;   in Loop: Header=BB346_635 Depth=1
	s_or_b32 exec_lo, exec_lo, s28
	v_lshlrev_b32_e32 v13, 16, v15
	v_lshlrev_b32_e32 v9, 20, v9
	v_lshl_add_u32 v14, v17, 23, 0x3c000000
	v_and_b32_e32 v13, 0x80000000, v13
	v_or3_b32 v115, v9, v13, v14
.LBB346_1206:                           ;   in Loop: Header=BB346_635 Depth=1
	s_or_b32 exec_lo, exec_lo, s27
.LBB346_1207:                           ;   in Loop: Header=BB346_635 Depth=1
	s_or_b32 exec_lo, exec_lo, s26
.LBB346_1208:                           ;   in Loop: Header=BB346_635 Depth=1
	s_or_b32 exec_lo, exec_lo, s22
	v_and_b32_sdwa v9, v15, v39 dst_sel:DWORD dst_unused:UNUSED_PAD src0_sel:WORD_1 src1_sel:DWORD
	v_mov_b32_e32 v124, 0
	v_mov_b32_e32 v119, 0
	s_mov_b32 s22, exec_lo
	v_cmpx_ne_u16_e32 0, v9
	s_cbranch_execz .LBB346_1216
; %bb.1209:                             ;   in Loop: Header=BB346_635 Depth=1
	v_bfrev_b32_e32 v119, 1
	s_mov_b32 s26, exec_lo
	v_cmpx_ne_u16_e32 0x80, v9
	s_cbranch_execz .LBB346_1215
; %bb.1210:                             ;   in Loop: Header=BB346_635 Depth=1
	v_bfe_u32 v18, v15, 16, 7
	v_mov_b32_e32 v119, 0x7f800001
	s_mov_b32 s27, exec_lo
	v_cmpx_ne_u32_e32 0x7f, v18
	s_cbranch_execz .LBB346_1214
; %bb.1211:                             ;   in Loop: Header=BB346_635 Depth=1
	v_and_b32_sdwa v9, v15, v40 dst_sel:DWORD dst_unused:UNUSED_PAD src0_sel:WORD_1 src1_sel:DWORD
	v_lshrrev_b32_e32 v17, 3, v18
	s_mov_b32 s28, exec_lo
	v_cmpx_gt_u32_e32 8, v18
; %bb.1212:                             ;   in Loop: Header=BB346_635 Depth=1
	v_ffbh_u32_e32 v13, v9
	v_min_u32_e32 v13, 32, v13
	v_subrev_nc_u32_e32 v14, 28, v13
	v_sub_nc_u32_e32 v17, 29, v13
	v_lshlrev_b64 v[125:126], v14, v[9:10]
	v_and_b32_e32 v9, 7, v125
; %bb.1213:                             ;   in Loop: Header=BB346_635 Depth=1
	s_or_b32 exec_lo, exec_lo, s28
	v_lshlrev_b32_sdwa v13, v41, v15 dst_sel:DWORD dst_unused:UNUSED_PAD src0_sel:DWORD src1_sel:WORD_1
	v_lshlrev_b32_e32 v9, 20, v9
	v_lshl_add_u32 v14, v17, 23, 0x3c000000
	v_and_b32_e32 v13, 0x80000000, v13
	v_or3_b32 v119, v9, v13, v14
.LBB346_1214:                           ;   in Loop: Header=BB346_635 Depth=1
	s_or_b32 exec_lo, exec_lo, s27
.LBB346_1215:                           ;   in Loop: Header=BB346_635 Depth=1
	s_or_b32 exec_lo, exec_lo, s26
.LBB346_1216:                           ;   in Loop: Header=BB346_635 Depth=1
	s_or_b32 exec_lo, exec_lo, s22
	s_mov_b32 s22, exec_lo
	v_cmpx_lt_u32_e32 0xffffff, v15
	s_cbranch_execz .LBB346_1224
; %bb.1217:                             ;   in Loop: Header=BB346_635 Depth=1
	v_cmp_ne_u32_sdwa s0, v15, v37 src0_sel:BYTE_3 src1_sel:DWORD
	v_bfrev_b32_e32 v124, 1
	s_and_saveexec_b32 s26, s0
	s_cbranch_execz .LBB346_1223
; %bb.1218:                             ;   in Loop: Header=BB346_635 Depth=1
	v_bfe_u32 v18, v15, 24, 7
	v_mov_b32_e32 v124, 0x7f800001
	s_mov_b32 s27, exec_lo
	v_cmpx_ne_u32_e32 0x7f, v18
	s_cbranch_execz .LBB346_1222
; %bb.1219:                             ;   in Loop: Header=BB346_635 Depth=1
	v_and_b32_sdwa v9, v15, v40 dst_sel:DWORD dst_unused:UNUSED_PAD src0_sel:BYTE_3 src1_sel:DWORD
	v_lshrrev_b32_e32 v17, 3, v18
	s_mov_b32 s28, exec_lo
	v_cmpx_gt_u32_e32 8, v18
; %bb.1220:                             ;   in Loop: Header=BB346_635 Depth=1
	v_ffbh_u32_e32 v13, v9
	v_min_u32_e32 v13, 32, v13
	v_subrev_nc_u32_e32 v14, 28, v13
	v_sub_nc_u32_e32 v17, 29, v13
	v_lshlrev_b64 v[124:125], v14, v[9:10]
	v_and_b32_e32 v9, 7, v124
; %bb.1221:                             ;   in Loop: Header=BB346_635 Depth=1
	s_or_b32 exec_lo, exec_lo, s28
	v_lshlrev_b32_sdwa v13, v41, v15 dst_sel:DWORD dst_unused:UNUSED_PAD src0_sel:DWORD src1_sel:BYTE_3
	v_lshlrev_b32_e32 v9, 20, v9
	v_lshl_add_u32 v14, v17, 23, 0x3c000000
	v_and_b32_e32 v13, 0x80000000, v13
	v_or3_b32 v124, v9, v13, v14
.LBB346_1222:                           ;   in Loop: Header=BB346_635 Depth=1
	s_or_b32 exec_lo, exec_lo, s27
.LBB346_1223:                           ;   in Loop: Header=BB346_635 Depth=1
	s_or_b32 exec_lo, exec_lo, s26
.LBB346_1224:                           ;   in Loop: Header=BB346_635 Depth=1
	s_or_b32 exec_lo, exec_lo, s22
	v_mov_b32_e32 v9, v16
	v_cmp_ne_u16_sdwa s0, v16, v10 src0_sel:BYTE_0 src1_sel:DWORD
	v_mov_b32_e32 v17, 0
	v_mov_b32_e32 v126, 0
	s_and_saveexec_b32 s22, s0
	s_cbranch_execz .LBB346_1230
; %bb.1225:                             ;   in Loop: Header=BB346_635 Depth=1
	v_cmp_ne_u16_sdwa s0, v16, v37 src0_sel:BYTE_0 src1_sel:DWORD
	v_bfrev_b32_e32 v126, 1
	s_and_saveexec_b32 s26, s0
	s_cbranch_execz .LBB346_1229
; %bb.1226:                             ;   in Loop: Header=BB346_635 Depth=1
	v_and_b32_e32 v18, 0x7f, v16
	v_mov_b32_e32 v126, 0x7f800001
	s_mov_b32 s27, exec_lo
	v_cmpx_ne_u32_e32 0x7f, v18
	s_cbranch_execz .LBB346_1228
; %bb.1227:                             ;   in Loop: Header=BB346_635 Depth=1
	v_and_b32_e32 v13, 7, v16
	v_lshrrev_b32_e32 v14, 3, v18
	v_cmp_gt_u32_e64 s0, 8, v18
	v_ffbh_u32_e32 v13, v13
	v_min_u32_e32 v13, 32, v13
	v_subrev_nc_u32_e32 v18, 28, v13
	v_sub_nc_u32_e32 v13, 29, v13
	v_cndmask_b32_e64 v13, v14, v13, s0
	v_cndmask_b32_e64 v14, 0, v18, s0
	v_lshlrev_b32_e32 v18, 24, v9
	v_lshl_add_u32 v13, v13, 23, 0x3c000000
	v_lshlrev_b64 v[125:126], v14, v[9:10]
	v_and_b32_e32 v18, 0x80000000, v18
	v_lshlrev_b32_e32 v14, 20, v125
	v_and_b32_e32 v14, 0x700000, v14
	v_or3_b32 v126, v14, v18, v13
.LBB346_1228:                           ;   in Loop: Header=BB346_635 Depth=1
	s_or_b32 exec_lo, exec_lo, s27
.LBB346_1229:                           ;   in Loop: Header=BB346_635 Depth=1
	s_or_b32 exec_lo, exec_lo, s26
.LBB346_1230:                           ;   in Loop: Header=BB346_635 Depth=1
	s_or_b32 exec_lo, exec_lo, s22
	v_cmp_ne_u16_sdwa s0, v9, v10 src0_sel:BYTE_1 src1_sel:DWORD
	s_and_saveexec_b32 s22, s0
	s_cbranch_execz .LBB346_1238
; %bb.1231:                             ;   in Loop: Header=BB346_635 Depth=1
	v_cmp_ne_u16_sdwa s0, v9, v37 src0_sel:BYTE_1 src1_sel:DWORD
	v_bfrev_b32_e32 v17, 1
	s_and_saveexec_b32 s26, s0
	s_cbranch_execz .LBB346_1237
; %bb.1232:                             ;   in Loop: Header=BB346_635 Depth=1
	v_and_b32_sdwa v18, v38, v9 dst_sel:DWORD dst_unused:UNUSED_PAD src0_sel:DWORD src1_sel:BYTE_1
	v_mov_b32_e32 v17, 0x7f800001
	s_mov_b32 s27, exec_lo
	v_and_b32_e32 v127, 0x7f, v18
	v_cmpx_ne_u32_e32 0x7f, v127
	s_cbranch_execz .LBB346_1236
; %bb.1233:                             ;   in Loop: Header=BB346_635 Depth=1
	v_and_b32_e32 v17, 7, v18
	v_mov_b32_e32 v18, v10
	v_lshrrev_b32_e32 v125, 3, v127
	s_mov_b32 s28, exec_lo
	v_cmpx_gt_u32_e32 8, v127
; %bb.1234:                             ;   in Loop: Header=BB346_635 Depth=1
	v_ffbh_u32_e32 v13, v17
	v_min_u32_e32 v13, 32, v13
	v_subrev_nc_u32_e32 v14, 28, v13
	v_sub_nc_u32_e32 v125, 29, v13
	v_lshlrev_b64 v[17:18], v14, v[17:18]
	v_and_b32_e32 v17, 7, v17
; %bb.1235:                             ;   in Loop: Header=BB346_635 Depth=1
	s_or_b32 exec_lo, exec_lo, s28
	v_lshlrev_b32_e32 v9, 16, v9
	v_lshlrev_b32_e32 v13, 20, v17
	v_lshl_add_u32 v14, v125, 23, 0x3c000000
	v_and_b32_e32 v9, 0x80000000, v9
	v_or3_b32 v17, v13, v9, v14
.LBB346_1236:                           ;   in Loop: Header=BB346_635 Depth=1
	s_or_b32 exec_lo, exec_lo, s27
.LBB346_1237:                           ;   in Loop: Header=BB346_635 Depth=1
	s_or_b32 exec_lo, exec_lo, s26
.LBB346_1238:                           ;   in Loop: Header=BB346_635 Depth=1
	s_or_b32 exec_lo, exec_lo, s22
	v_and_b32_sdwa v9, v16, v39 dst_sel:DWORD dst_unused:UNUSED_PAD src0_sel:WORD_1 src1_sel:DWORD
	v_mov_b32_e32 v125, 0
	v_mov_b32_e32 v18, 0
	s_mov_b32 s22, exec_lo
	v_cmpx_ne_u16_e32 0, v9
	s_cbranch_execz .LBB346_1246
; %bb.1239:                             ;   in Loop: Header=BB346_635 Depth=1
	v_bfrev_b32_e32 v18, 1
	s_mov_b32 s26, exec_lo
	v_cmpx_ne_u16_e32 0x80, v9
	s_cbranch_execz .LBB346_1245
; %bb.1240:                             ;   in Loop: Header=BB346_635 Depth=1
	v_bfe_u32 v127, v16, 16, 7
	v_mov_b32_e32 v18, 0x7f800001
	s_mov_b32 s27, exec_lo
	v_cmpx_ne_u32_e32 0x7f, v127
	s_cbranch_execz .LBB346_1244
; %bb.1241:                             ;   in Loop: Header=BB346_635 Depth=1
	v_and_b32_sdwa v9, v16, v40 dst_sel:DWORD dst_unused:UNUSED_PAD src0_sel:WORD_1 src1_sel:DWORD
	v_lshrrev_b32_e32 v18, 3, v127
	s_mov_b32 s28, exec_lo
	v_cmpx_gt_u32_e32 8, v127
; %bb.1242:                             ;   in Loop: Header=BB346_635 Depth=1
	v_ffbh_u32_e32 v13, v9
	v_min_u32_e32 v18, 32, v13
	v_subrev_nc_u32_e32 v13, 28, v18
	v_sub_nc_u32_e32 v18, 29, v18
	v_lshlrev_b64 v[13:14], v13, v[9:10]
	v_and_b32_e32 v9, 7, v13
; %bb.1243:                             ;   in Loop: Header=BB346_635 Depth=1
	s_or_b32 exec_lo, exec_lo, s28
	v_lshlrev_b32_sdwa v13, v41, v16 dst_sel:DWORD dst_unused:UNUSED_PAD src0_sel:DWORD src1_sel:WORD_1
	v_lshlrev_b32_e32 v9, 20, v9
	v_lshl_add_u32 v14, v18, 23, 0x3c000000
	v_and_b32_e32 v13, 0x80000000, v13
	v_or3_b32 v18, v9, v13, v14
.LBB346_1244:                           ;   in Loop: Header=BB346_635 Depth=1
	s_or_b32 exec_lo, exec_lo, s27
.LBB346_1245:                           ;   in Loop: Header=BB346_635 Depth=1
	s_or_b32 exec_lo, exec_lo, s26
.LBB346_1246:                           ;   in Loop: Header=BB346_635 Depth=1
	s_or_b32 exec_lo, exec_lo, s22
	s_mov_b32 s22, exec_lo
	v_cmpx_lt_u64_e64 s[2:3], v[15:16]
	s_cbranch_execz .LBB346_1254
; %bb.1247:                             ;   in Loop: Header=BB346_635 Depth=1
	v_cmp_ne_u32_sdwa s0, v16, v37 src0_sel:BYTE_3 src1_sel:DWORD
	v_bfrev_b32_e32 v125, 1
	s_and_saveexec_b32 s26, s0
	s_cbranch_execz .LBB346_1253
; %bb.1248:                             ;   in Loop: Header=BB346_635 Depth=1
	v_bfe_u32 v127, v16, 24, 7
	v_mov_b32_e32 v125, 0x7f800001
	s_mov_b32 s27, exec_lo
	v_cmpx_ne_u32_e32 0x7f, v127
	s_cbranch_execz .LBB346_1252
; %bb.1249:                             ;   in Loop: Header=BB346_635 Depth=1
	v_and_b32_sdwa v9, v16, v40 dst_sel:DWORD dst_unused:UNUSED_PAD src0_sel:BYTE_3 src1_sel:DWORD
	v_lshrrev_b32_e32 v15, 3, v127
	s_mov_b32 s28, exec_lo
	v_cmpx_gt_u32_e32 8, v127
; %bb.1250:                             ;   in Loop: Header=BB346_635 Depth=1
	v_ffbh_u32_e32 v13, v9
	v_min_u32_e32 v15, 32, v13
	v_subrev_nc_u32_e32 v13, 28, v15
	v_sub_nc_u32_e32 v15, 29, v15
	v_lshlrev_b64 v[13:14], v13, v[9:10]
	v_and_b32_e32 v9, 7, v13
; %bb.1251:                             ;   in Loop: Header=BB346_635 Depth=1
	s_or_b32 exec_lo, exec_lo, s28
	v_lshlrev_b32_sdwa v13, v41, v16 dst_sel:DWORD dst_unused:UNUSED_PAD src0_sel:DWORD src1_sel:BYTE_3
	v_lshlrev_b32_e32 v9, 20, v9
	v_lshl_add_u32 v14, v15, 23, 0x3c000000
	v_and_b32_e32 v13, 0x80000000, v13
	v_or3_b32 v125, v9, v13, v14
.LBB346_1252:                           ;   in Loop: Header=BB346_635 Depth=1
	s_or_b32 exec_lo, exec_lo, s27
.LBB346_1253:                           ;   in Loop: Header=BB346_635 Depth=1
	s_or_b32 exec_lo, exec_lo, s26
.LBB346_1254:                           ;   in Loop: Header=BB346_635 Depth=1
	s_or_b32 exec_lo, exec_lo, s22
	v_mul_f32_e32 v9, s21, v17
	v_bfe_u32 v13, v9, 16, 1
	v_or_b32_e32 v14, 0x400000, v9
	v_cmp_u_f32_e64 s0, v9, v9
	v_add3_u32 v13, v13, v9, 0x7fff
	v_cndmask_b32_e64 v9, v13, v14, s0
	v_mul_f32_e32 v13, s21, v126
	v_lshrrev_b32_e32 v9, 16, v9
	v_bfe_u32 v14, v13, 16, 1
	v_or_b32_e32 v15, 0x400000, v13
	v_cmp_u_f32_e64 s0, v13, v13
	v_add3_u32 v14, v14, v13, 0x7fff
	v_cndmask_b32_e64 v13, v14, v15, s0
	v_lshrrev_b32_e32 v15, 16, v13
	v_mul_f32_e32 v13, s21, v124
	v_bfe_u32 v14, v13, 16, 1
	v_or_b32_e32 v16, 0x400000, v13
	v_cmp_u_f32_e64 s0, v13, v13
	v_add3_u32 v14, v14, v13, 0x7fff
	v_cndmask_b32_e64 v13, v14, v16, s0
	v_lshrrev_b32_e32 v16, 16, v13
	v_mul_f32_e32 v13, s21, v119
	;; [unrolled: 7-line block ×6, first 2 shown]
	v_bfe_u32 v14, v13, 16, 1
	v_or_b32_e32 v119, 0x400000, v13
	v_cmp_u_f32_e64 s0, v13, v13
	v_add3_u32 v14, v14, v13, 0x7fff
	v_cndmask_b32_e64 v13, v14, v119, s0
	v_lshrrev_b32_e32 v119, 16, v13
	s_and_saveexec_b32 s0, vcc_lo
	s_cbranch_execz .LBB346_633
; %bb.1255:                             ;   in Loop: Header=BB346_635 Depth=1
	v_cmp_gt_i32_e32 vcc_lo, s33, v62
	v_cndmask_b32_e32 v118, 0, v118, vcc_lo
	v_cmp_gt_i32_e32 vcc_lo, s33, v69
	v_cndmask_b32_e32 v115, 0, v115, vcc_lo
	;; [unrolled: 2-line block ×8, first 2 shown]
	s_branch .LBB346_633
.LBB346_1256:
	s_or_b32 exec_lo, exec_lo, s17
.LBB346_1257:
	s_or_b32 exec_lo, exec_lo, s1
	ds_bpermute_b32 v9, v25, v27
	ds_bpermute_b32 v8, v25, v28
	;; [unrolled: 1-line block ×10, first 2 shown]
	s_mov_b32 s0, exec_lo
	s_waitcnt lgkmcnt(9)
	v_add_f32_e32 v17, v27, v9
	buffer_load_dword v9, off, s[48:51], 0  ; 4-byte Folded Reload
	s_waitcnt lgkmcnt(8)
	v_add_f32_e32 v16, v28, v8
	s_waitcnt lgkmcnt(7)
	v_add_f32_e32 v0, v35, v0
	;; [unrolled: 2-line block ×9, first 2 shown]
	ds_bpermute_b32 v5, v24, v0
	ds_bpermute_b32 v6, v24, v1
	;; [unrolled: 1-line block ×10, first 2 shown]
	s_waitcnt lgkmcnt(7)
	v_add_f32_e32 v7, v2, v7
	s_waitcnt lgkmcnt(2)
	v_add_f32_e32 v2, v15, v22
	s_waitcnt vmcnt(0)
	v_and_b32_e32 v8, 28, v9
	v_lshrrev_b32_e32 v10, 2, v9
	buffer_load_dword v9, off, s[48:51], 0 offset:248 ; 4-byte Folded Reload
	v_add_nc_u32_e32 v11, 0xc0, v8
	v_add_f32_e32 v8, v1, v6
	v_add_f32_e32 v6, v3, v18
	;; [unrolled: 1-line block ×3, first 2 shown]
	s_waitcnt lgkmcnt(1)
	v_add_f32_e32 v1, v16, v23
	s_waitcnt vmcnt(0)
	v_mul_u32_u24_e32 v12, 0x140, v9
	buffer_load_dword v9, off, s[48:51], 0 offset:244 ; 4-byte Folded Reload
	s_waitcnt vmcnt(0) lgkmcnt(0)
	s_waitcnt_vscnt null, 0x0
	s_barrier
	buffer_gl0_inv
	v_and_b32_e32 v25, 0x3c3, v9
	v_add_f32_e32 v9, v0, v5
	v_add_f32_e32 v5, v4, v19
	v_add_f32_e32 v4, v13, v20
	v_add_f32_e32 v0, v17, v24
	v_cmpx_eq_u32_e32 64, v25
	s_cbranch_execz .LBB346_1259
; %bb.1258:
	v_add_nc_u32_e32 v13, v11, v12
	v_add_nc_u32_e32 v14, 0xfffffd80, v13
	v_add_nc_u32_e32 v15, 0xfffffda0, v13
	v_add_nc_u32_e32 v16, 0xfffffdc0, v13
	v_add_nc_u32_e32 v17, 0xfffffde0, v13
	v_add_nc_u32_e32 v18, 0xfffffe00, v13
	ds_write_b32 v14, v9
	ds_write_b32 v15, v8
	;; [unrolled: 1-line block ×5, first 2 shown]
	v_add_nc_u32_e32 v14, 0xfffffe20, v13
	v_add_nc_u32_e32 v15, 0xfffffe40, v13
	;; [unrolled: 1-line block ×5, first 2 shown]
	ds_write_b32 v14, v4
	ds_write_b32 v15, v3
	;; [unrolled: 1-line block ×5, first 2 shown]
.LBB346_1259:
	s_or_b32 exec_lo, exec_lo, s0
	buffer_load_dword v13, off, s[48:51], 0 offset:244 ; 4-byte Folded Reload
	v_lshlrev_b32_e32 v10, 2, v10
	s_mov_b32 s1, exec_lo
	v_cmp_eq_u32_e32 vcc_lo, 0, v26
	s_waitcnt vmcnt(0) lgkmcnt(0)
	s_barrier
	v_add3_u32 v10, 0xc0, v12, v10
	buffer_gl0_inv
	v_cmpx_gt_u32_e32 64, v13
	s_cbranch_execz .LBB346_1272
; %bb.1260:
	s_and_saveexec_b32 s0, vcc_lo
	s_cbranch_execnz .LBB346_1290
; %bb.1261:
	s_or_b32 exec_lo, exec_lo, s0
	s_and_saveexec_b32 s0, vcc_lo
	s_cbranch_execnz .LBB346_1291
.LBB346_1262:
	s_or_b32 exec_lo, exec_lo, s0
	s_and_saveexec_b32 s0, vcc_lo
	s_cbranch_execnz .LBB346_1292
.LBB346_1263:
	s_or_b32 exec_lo, exec_lo, s0
	s_and_saveexec_b32 s0, vcc_lo
	s_cbranch_execnz .LBB346_1293
.LBB346_1264:
	s_or_b32 exec_lo, exec_lo, s0
	s_and_saveexec_b32 s0, vcc_lo
	s_cbranch_execnz .LBB346_1294
.LBB346_1265:
	s_or_b32 exec_lo, exec_lo, s0
	s_and_saveexec_b32 s0, vcc_lo
	s_cbranch_execnz .LBB346_1295
.LBB346_1266:
	s_or_b32 exec_lo, exec_lo, s0
	s_and_saveexec_b32 s0, vcc_lo
	s_cbranch_execnz .LBB346_1296
.LBB346_1267:
	s_or_b32 exec_lo, exec_lo, s0
	s_and_saveexec_b32 s0, vcc_lo
	s_cbranch_execnz .LBB346_1297
.LBB346_1268:
	s_or_b32 exec_lo, exec_lo, s0
	s_and_saveexec_b32 s0, vcc_lo
	s_cbranch_execnz .LBB346_1298
.LBB346_1269:
	s_or_b32 exec_lo, exec_lo, s0
	s_and_saveexec_b32 s0, vcc_lo
	s_cbranch_execz .LBB346_1271
.LBB346_1270:
	ds_read_b32 v12, v10 offset:288
	s_waitcnt lgkmcnt(0)
	v_add_f32_e32 v0, v0, v12
.LBB346_1271:
	s_or_b32 exec_lo, exec_lo, s0
.LBB346_1272:
	s_or_b32 exec_lo, exec_lo, s1
	v_and_b32_e32 v12, 0x3e3, v13
	s_mov_b32 s1, exec_lo
	s_barrier
	buffer_gl0_inv
	v_cmpx_eq_u32_e32 32, v12
	s_cbranch_execz .LBB346_1274
; %bb.1273:
	ds_write2_b32 v11, v9, v8 offset1:8
	ds_write2_b32 v11, v7, v6 offset0:16 offset1:24
	ds_write2_b32 v11, v5, v4 offset0:32 offset1:40
	ds_write2_b32 v11, v3, v2 offset0:48 offset1:56
	ds_write2_b32 v11, v1, v0 offset0:64 offset1:72
.LBB346_1274:
	s_or_b32 exec_lo, exec_lo, s1
	s_mov_b32 s1, exec_lo
	s_waitcnt lgkmcnt(0)
	s_barrier
	buffer_gl0_inv
	v_cmpx_gt_u32_e32 32, v13
	s_cbranch_execz .LBB346_1287
; %bb.1275:
	s_and_saveexec_b32 s0, vcc_lo
	s_cbranch_execnz .LBB346_1299
; %bb.1276:
	s_or_b32 exec_lo, exec_lo, s0
	s_and_saveexec_b32 s0, vcc_lo
	s_cbranch_execnz .LBB346_1300
.LBB346_1277:
	s_or_b32 exec_lo, exec_lo, s0
	s_and_saveexec_b32 s0, vcc_lo
	s_cbranch_execnz .LBB346_1301
.LBB346_1278:
	s_or_b32 exec_lo, exec_lo, s0
	s_and_saveexec_b32 s0, vcc_lo
	s_cbranch_execnz .LBB346_1302
.LBB346_1279:
	s_or_b32 exec_lo, exec_lo, s0
	s_and_saveexec_b32 s0, vcc_lo
	s_cbranch_execnz .LBB346_1303
.LBB346_1280:
	s_or_b32 exec_lo, exec_lo, s0
	s_and_saveexec_b32 s0, vcc_lo
	s_cbranch_execnz .LBB346_1304
.LBB346_1281:
	s_or_b32 exec_lo, exec_lo, s0
	s_and_saveexec_b32 s0, vcc_lo
	s_cbranch_execnz .LBB346_1305
.LBB346_1282:
	s_or_b32 exec_lo, exec_lo, s0
	s_and_saveexec_b32 s0, vcc_lo
	s_cbranch_execnz .LBB346_1306
.LBB346_1283:
	s_or_b32 exec_lo, exec_lo, s0
	s_and_saveexec_b32 s0, vcc_lo
	s_cbranch_execnz .LBB346_1307
.LBB346_1284:
	s_or_b32 exec_lo, exec_lo, s0
	s_and_saveexec_b32 s0, vcc_lo
	s_cbranch_execz .LBB346_1286
.LBB346_1285:
	ds_read_b32 v10, v10 offset:288
	s_waitcnt lgkmcnt(0)
	v_add_f32_e32 v0, v0, v10
.LBB346_1286:
	s_or_b32 exec_lo, exec_lo, s0
.LBB346_1287:
	s_or_b32 exec_lo, exec_lo, s1
	s_barrier
	buffer_gl0_inv
	s_mov_b32 s0, exec_lo
	v_cmpx_eq_u32_e32 0, v12
	s_cbranch_execz .LBB346_1289
; %bb.1288:
	s_mul_i32 s0, s10, s11
	v_bfe_u32 v11, v9, 16, 1
	s_mul_i32 s0, s0, s9
	s_mul_i32 s2, s11, s24
	s_mulk_i32 s0, 0x50
	v_lshrrev_b32_e32 v10, 1, v13
	s_ashr_i32 s1, s0, 31
	v_or_b32_e32 v12, 0x400000, v9
	s_lshl_b64 s[0:1], s[0:1], 1
	v_add3_u32 v11, v11, v9, 0x7fff
	s_add_u32 s5, s6, s0
	s_addc_u32 s6, s7, s1
	s_ashr_i32 s3, s2, 31
	v_bfe_u32 v13, v8, 16, 1
	s_lshl_b64 s[0:1], s[2:3], 1
	v_cmp_u_f32_e32 vcc_lo, v9, v9
	s_mul_i32 s4, s8, 0x50
	s_add_u32 s2, s5, s0
	s_addc_u32 s3, s6, s1
	s_ashr_i32 s5, s4, 31
	v_cndmask_b32_e32 v9, v11, v12, vcc_lo
	s_lshl_b64 s[0:1], s[4:5], 1
	v_bfe_u32 v11, v7, 16, 1
	v_add3_u32 v12, v13, v8, 0x7fff
	v_or_b32_e32 v13, 0x400000, v8
	v_cmp_u_f32_e32 vcc_lo, v8, v8
	s_add_u32 s0, s2, s0
	s_addc_u32 s1, s3, s1
	global_store_short_d16_hi v10, v9, s[0:1]
	v_add3_u32 v9, v11, v7, 0x7fff
	v_or_b32_e32 v11, 0x400000, v7
	v_cndmask_b32_e32 v8, v12, v13, vcc_lo
	v_bfe_u32 v12, v6, 16, 1
	v_cmp_u_f32_e32 vcc_lo, v7, v7
	global_store_short_d16_hi v10, v8, s[0:1] offset:16
	v_add3_u32 v8, v12, v6, 0x7fff
	v_cndmask_b32_e32 v7, v9, v11, vcc_lo
	v_bfe_u32 v9, v5, 16, 1
	v_or_b32_e32 v11, 0x400000, v6
	v_cmp_u_f32_e32 vcc_lo, v6, v6
	global_store_short_d16_hi v10, v7, s[0:1] offset:32
	v_add3_u32 v7, v9, v5, 0x7fff
	v_or_b32_e32 v9, 0x400000, v5
	v_cndmask_b32_e32 v6, v8, v11, vcc_lo
	v_bfe_u32 v8, v4, 16, 1
	v_cmp_u_f32_e32 vcc_lo, v5, v5
	v_or_b32_e32 v11, 0x400000, v0
	global_store_short_d16_hi v10, v6, s[0:1] offset:48
	v_add3_u32 v6, v8, v4, 0x7fff
	v_cndmask_b32_e32 v5, v7, v9, vcc_lo
	v_bfe_u32 v7, v3, 16, 1
	v_or_b32_e32 v8, 0x400000, v4
	v_cmp_u_f32_e32 vcc_lo, v4, v4
	v_or_b32_e32 v9, 0x400000, v1
	global_store_short_d16_hi v10, v5, s[0:1] offset:64
	v_add3_u32 v5, v7, v3, 0x7fff
	v_or_b32_e32 v7, 0x400000, v3
	v_cndmask_b32_e32 v4, v6, v8, vcc_lo
	v_bfe_u32 v6, v2, 16, 1
	v_cmp_u_f32_e32 vcc_lo, v3, v3
	v_bfe_u32 v8, v1, 16, 1
	v_add3_u32 v6, v6, v2, 0x7fff
	v_cndmask_b32_e32 v3, v5, v7, vcc_lo
	v_or_b32_e32 v7, 0x400000, v2
	v_cmp_u_f32_e32 vcc_lo, v2, v2
	v_bfe_u32 v5, v0, 16, 1
	v_add3_u32 v8, v8, v1, 0x7fff
	v_cndmask_b32_e32 v2, v6, v7, vcc_lo
	v_cmp_u_f32_e32 vcc_lo, v1, v1
	v_add3_u32 v5, v5, v0, 0x7fff
	v_cndmask_b32_e32 v1, v8, v9, vcc_lo
	v_cmp_u_f32_e32 vcc_lo, v0, v0
	v_cndmask_b32_e32 v0, v5, v11, vcc_lo
	global_store_short_d16_hi v10, v4, s[0:1] offset:80
	global_store_short_d16_hi v10, v3, s[0:1] offset:96
	global_store_short_d16_hi v10, v2, s[0:1] offset:112
	global_store_short_d16_hi v10, v1, s[0:1] offset:128
	global_store_short_d16_hi v10, v0, s[0:1] offset:144
.LBB346_1289:
	s_endpgm
.LBB346_1290:
	ds_read_b32 v12, v10
	s_waitcnt lgkmcnt(0)
	v_add_f32_e32 v9, v9, v12
	s_or_b32 exec_lo, exec_lo, s0
	s_and_saveexec_b32 s0, vcc_lo
	s_cbranch_execz .LBB346_1262
.LBB346_1291:
	ds_read_b32 v12, v10 offset:32
	s_waitcnt lgkmcnt(0)
	v_add_f32_e32 v8, v8, v12
	s_or_b32 exec_lo, exec_lo, s0
	s_and_saveexec_b32 s0, vcc_lo
	s_cbranch_execz .LBB346_1263
.LBB346_1292:
	ds_read_b32 v12, v10 offset:64
	s_waitcnt lgkmcnt(0)
	v_add_f32_e32 v7, v7, v12
	s_or_b32 exec_lo, exec_lo, s0
	s_and_saveexec_b32 s0, vcc_lo
	s_cbranch_execz .LBB346_1264
.LBB346_1293:
	ds_read_b32 v12, v10 offset:96
	s_waitcnt lgkmcnt(0)
	v_add_f32_e32 v6, v6, v12
	s_or_b32 exec_lo, exec_lo, s0
	s_and_saveexec_b32 s0, vcc_lo
	s_cbranch_execz .LBB346_1265
.LBB346_1294:
	ds_read_b32 v12, v10 offset:128
	s_waitcnt lgkmcnt(0)
	v_add_f32_e32 v5, v5, v12
	s_or_b32 exec_lo, exec_lo, s0
	s_and_saveexec_b32 s0, vcc_lo
	s_cbranch_execz .LBB346_1266
.LBB346_1295:
	ds_read_b32 v12, v10 offset:160
	s_waitcnt lgkmcnt(0)
	v_add_f32_e32 v4, v4, v12
	s_or_b32 exec_lo, exec_lo, s0
	s_and_saveexec_b32 s0, vcc_lo
	s_cbranch_execz .LBB346_1267
.LBB346_1296:
	ds_read_b32 v12, v10 offset:192
	s_waitcnt lgkmcnt(0)
	v_add_f32_e32 v3, v3, v12
	s_or_b32 exec_lo, exec_lo, s0
	s_and_saveexec_b32 s0, vcc_lo
	s_cbranch_execz .LBB346_1268
.LBB346_1297:
	ds_read_b32 v12, v10 offset:224
	s_waitcnt lgkmcnt(0)
	v_add_f32_e32 v2, v2, v12
	s_or_b32 exec_lo, exec_lo, s0
	s_and_saveexec_b32 s0, vcc_lo
	s_cbranch_execz .LBB346_1269
.LBB346_1298:
	ds_read_b32 v12, v10 offset:256
	s_waitcnt lgkmcnt(0)
	v_add_f32_e32 v1, v1, v12
	s_or_b32 exec_lo, exec_lo, s0
	s_and_saveexec_b32 s0, vcc_lo
	s_cbranch_execnz .LBB346_1270
	s_branch .LBB346_1271
.LBB346_1299:
	ds_read_b32 v11, v10
	s_waitcnt lgkmcnt(0)
	v_add_f32_e32 v9, v9, v11
	s_or_b32 exec_lo, exec_lo, s0
	s_and_saveexec_b32 s0, vcc_lo
	s_cbranch_execz .LBB346_1277
.LBB346_1300:
	ds_read_b32 v11, v10 offset:32
	s_waitcnt lgkmcnt(0)
	v_add_f32_e32 v8, v8, v11
	s_or_b32 exec_lo, exec_lo, s0
	s_and_saveexec_b32 s0, vcc_lo
	s_cbranch_execz .LBB346_1278
.LBB346_1301:
	ds_read_b32 v11, v10 offset:64
	s_waitcnt lgkmcnt(0)
	v_add_f32_e32 v7, v7, v11
	s_or_b32 exec_lo, exec_lo, s0
	s_and_saveexec_b32 s0, vcc_lo
	s_cbranch_execz .LBB346_1279
.LBB346_1302:
	ds_read_b32 v11, v10 offset:96
	s_waitcnt lgkmcnt(0)
	v_add_f32_e32 v6, v6, v11
	s_or_b32 exec_lo, exec_lo, s0
	s_and_saveexec_b32 s0, vcc_lo
	s_cbranch_execz .LBB346_1280
.LBB346_1303:
	ds_read_b32 v11, v10 offset:128
	s_waitcnt lgkmcnt(0)
	v_add_f32_e32 v5, v5, v11
	s_or_b32 exec_lo, exec_lo, s0
	s_and_saveexec_b32 s0, vcc_lo
	s_cbranch_execz .LBB346_1281
.LBB346_1304:
	ds_read_b32 v11, v10 offset:160
	s_waitcnt lgkmcnt(0)
	v_add_f32_e32 v4, v4, v11
	s_or_b32 exec_lo, exec_lo, s0
	s_and_saveexec_b32 s0, vcc_lo
	s_cbranch_execz .LBB346_1282
.LBB346_1305:
	ds_read_b32 v11, v10 offset:192
	s_waitcnt lgkmcnt(0)
	v_add_f32_e32 v3, v3, v11
	s_or_b32 exec_lo, exec_lo, s0
	s_and_saveexec_b32 s0, vcc_lo
	s_cbranch_execz .LBB346_1283
.LBB346_1306:
	ds_read_b32 v11, v10 offset:224
	s_waitcnt lgkmcnt(0)
	v_add_f32_e32 v2, v2, v11
	s_or_b32 exec_lo, exec_lo, s0
	s_and_saveexec_b32 s0, vcc_lo
	s_cbranch_execz .LBB346_1284
.LBB346_1307:
	ds_read_b32 v11, v10 offset:256
	s_waitcnt lgkmcnt(0)
	v_add_f32_e32 v1, v1, v11
	s_or_b32 exec_lo, exec_lo, s0
	s_and_saveexec_b32 s0, vcc_lo
	s_cbranch_execnz .LBB346_1285
	s_branch .LBB346_1286
	.section	.rodata,"a",@progbits
	.p2align	6, 0x0
	.amdhsa_kernel _ZN4vllm25paged_attention_v1_kernelI14__hip_bfloat16hLi80ELi32ELi128ELNS_18Fp8KVCacheDataTypeE1ELb1EEEvPT_PKS3_PKT0_S9_ifPKiSB_iPKfiiiSD_SD_iiiii
		.amdhsa_group_segment_fixed_size 192
		.amdhsa_private_segment_fixed_size 264
		.amdhsa_kernarg_size 384
		.amdhsa_user_sgpr_count 6
		.amdhsa_user_sgpr_private_segment_buffer 1
		.amdhsa_user_sgpr_dispatch_ptr 0
		.amdhsa_user_sgpr_queue_ptr 0
		.amdhsa_user_sgpr_kernarg_segment_ptr 1
		.amdhsa_user_sgpr_dispatch_id 0
		.amdhsa_user_sgpr_flat_scratch_init 0
		.amdhsa_user_sgpr_private_segment_size 0
		.amdhsa_wavefront_size32 1
		.amdhsa_uses_dynamic_stack 0
		.amdhsa_system_sgpr_private_segment_wavefront_offset 1
		.amdhsa_system_sgpr_workgroup_id_x 1
		.amdhsa_system_sgpr_workgroup_id_y 1
		.amdhsa_system_sgpr_workgroup_id_z 1
		.amdhsa_system_sgpr_workgroup_info 0
		.amdhsa_system_vgpr_workitem_id 0
		.amdhsa_next_free_vgpr 128
		.amdhsa_next_free_sgpr 52
		.amdhsa_reserve_vcc 1
		.amdhsa_reserve_flat_scratch 0
		.amdhsa_float_round_mode_32 0
		.amdhsa_float_round_mode_16_64 0
		.amdhsa_float_denorm_mode_32 3
		.amdhsa_float_denorm_mode_16_64 3
		.amdhsa_dx10_clamp 1
		.amdhsa_ieee_mode 1
		.amdhsa_fp16_overflow 0
		.amdhsa_workgroup_processor_mode 1
		.amdhsa_memory_ordered 1
		.amdhsa_forward_progress 1
		.amdhsa_shared_vgpr_count 0
		.amdhsa_exception_fp_ieee_invalid_op 0
		.amdhsa_exception_fp_denorm_src 0
		.amdhsa_exception_fp_ieee_div_zero 0
		.amdhsa_exception_fp_ieee_overflow 0
		.amdhsa_exception_fp_ieee_underflow 0
		.amdhsa_exception_fp_ieee_inexact 0
		.amdhsa_exception_int_div_zero 0
	.end_amdhsa_kernel
	.section	.text._ZN4vllm25paged_attention_v1_kernelI14__hip_bfloat16hLi80ELi32ELi128ELNS_18Fp8KVCacheDataTypeE1ELb1EEEvPT_PKS3_PKT0_S9_ifPKiSB_iPKfiiiSD_SD_iiiii,"axG",@progbits,_ZN4vllm25paged_attention_v1_kernelI14__hip_bfloat16hLi80ELi32ELi128ELNS_18Fp8KVCacheDataTypeE1ELb1EEEvPT_PKS3_PKT0_S9_ifPKiSB_iPKfiiiSD_SD_iiiii,comdat
.Lfunc_end346:
	.size	_ZN4vllm25paged_attention_v1_kernelI14__hip_bfloat16hLi80ELi32ELi128ELNS_18Fp8KVCacheDataTypeE1ELb1EEEvPT_PKS3_PKT0_S9_ifPKiSB_iPKfiiiSD_SD_iiiii, .Lfunc_end346-_ZN4vllm25paged_attention_v1_kernelI14__hip_bfloat16hLi80ELi32ELi128ELNS_18Fp8KVCacheDataTypeE1ELb1EEEvPT_PKS3_PKT0_S9_ifPKiSB_iPKfiiiSD_SD_iiiii
                                        ; -- End function
	.set _ZN4vllm25paged_attention_v1_kernelI14__hip_bfloat16hLi80ELi32ELi128ELNS_18Fp8KVCacheDataTypeE1ELb1EEEvPT_PKS3_PKT0_S9_ifPKiSB_iPKfiiiSD_SD_iiiii.num_vgpr, 128
	.set _ZN4vllm25paged_attention_v1_kernelI14__hip_bfloat16hLi80ELi32ELi128ELNS_18Fp8KVCacheDataTypeE1ELb1EEEvPT_PKS3_PKT0_S9_ifPKiSB_iPKfiiiSD_SD_iiiii.num_agpr, 0
	.set _ZN4vllm25paged_attention_v1_kernelI14__hip_bfloat16hLi80ELi32ELi128ELNS_18Fp8KVCacheDataTypeE1ELb1EEEvPT_PKS3_PKT0_S9_ifPKiSB_iPKfiiiSD_SD_iiiii.numbered_sgpr, 52
	.set _ZN4vllm25paged_attention_v1_kernelI14__hip_bfloat16hLi80ELi32ELi128ELNS_18Fp8KVCacheDataTypeE1ELb1EEEvPT_PKS3_PKT0_S9_ifPKiSB_iPKfiiiSD_SD_iiiii.num_named_barrier, 0
	.set _ZN4vllm25paged_attention_v1_kernelI14__hip_bfloat16hLi80ELi32ELi128ELNS_18Fp8KVCacheDataTypeE1ELb1EEEvPT_PKS3_PKT0_S9_ifPKiSB_iPKfiiiSD_SD_iiiii.private_seg_size, 264
	.set _ZN4vllm25paged_attention_v1_kernelI14__hip_bfloat16hLi80ELi32ELi128ELNS_18Fp8KVCacheDataTypeE1ELb1EEEvPT_PKS3_PKT0_S9_ifPKiSB_iPKfiiiSD_SD_iiiii.uses_vcc, 1
	.set _ZN4vllm25paged_attention_v1_kernelI14__hip_bfloat16hLi80ELi32ELi128ELNS_18Fp8KVCacheDataTypeE1ELb1EEEvPT_PKS3_PKT0_S9_ifPKiSB_iPKfiiiSD_SD_iiiii.uses_flat_scratch, 0
	.set _ZN4vllm25paged_attention_v1_kernelI14__hip_bfloat16hLi80ELi32ELi128ELNS_18Fp8KVCacheDataTypeE1ELb1EEEvPT_PKS3_PKT0_S9_ifPKiSB_iPKfiiiSD_SD_iiiii.has_dyn_sized_stack, 0
	.set _ZN4vllm25paged_attention_v1_kernelI14__hip_bfloat16hLi80ELi32ELi128ELNS_18Fp8KVCacheDataTypeE1ELb1EEEvPT_PKS3_PKT0_S9_ifPKiSB_iPKfiiiSD_SD_iiiii.has_recursion, 0
	.set _ZN4vllm25paged_attention_v1_kernelI14__hip_bfloat16hLi80ELi32ELi128ELNS_18Fp8KVCacheDataTypeE1ELb1EEEvPT_PKS3_PKT0_S9_ifPKiSB_iPKfiiiSD_SD_iiiii.has_indirect_call, 0
	.section	.AMDGPU.csdata,"",@progbits
; Kernel info:
; codeLenInByte = 51132
; TotalNumSgprs: 54
; NumVgprs: 128
; ScratchSize: 264
; MemoryBound: 0
; FloatMode: 240
; IeeeMode: 1
; LDSByteSize: 192 bytes/workgroup (compile time only)
; SGPRBlocks: 0
; VGPRBlocks: 15
; NumSGPRsForWavesPerEU: 54
; NumVGPRsForWavesPerEU: 128
; Occupancy: 8
; WaveLimiterHint : 1
; COMPUTE_PGM_RSRC2:SCRATCH_EN: 1
; COMPUTE_PGM_RSRC2:USER_SGPR: 6
; COMPUTE_PGM_RSRC2:TRAP_HANDLER: 0
; COMPUTE_PGM_RSRC2:TGID_X_EN: 1
; COMPUTE_PGM_RSRC2:TGID_Y_EN: 1
; COMPUTE_PGM_RSRC2:TGID_Z_EN: 1
; COMPUTE_PGM_RSRC2:TIDIG_COMP_CNT: 0
	.text
	.p2align	2                               ; -- Begin function _ZN4vllm22paged_attention_kernelI14__hip_bfloat16hLi96ELi32ELi128ELNS_18Fp8KVCacheDataTypeE1ELb1ELi0EEEvPfS3_PT_PKS4_PKT0_SA_ifPKiSC_iPKfiiiSE_SE_iiiii
	.type	_ZN4vllm22paged_attention_kernelI14__hip_bfloat16hLi96ELi32ELi128ELNS_18Fp8KVCacheDataTypeE1ELb1ELi0EEEvPfS3_PT_PKS4_PKT0_SA_ifPKiSC_iPKfiiiSE_SE_iiiii,@function
_ZN4vllm22paged_attention_kernelI14__hip_bfloat16hLi96ELi32ELi128ELNS_18Fp8KVCacheDataTypeE1ELb1ELi0EEEvPfS3_PT_PKS4_PKT0_SA_ifPKiSC_iPKfiiiSE_SE_iiiii: ; @_ZN4vllm22paged_attention_kernelI14__hip_bfloat16hLi96ELi32ELi128ELNS_18Fp8KVCacheDataTypeE1ELb1ELi0EEEvPfS3_PT_PKS4_PKT0_SA_ifPKiSC_iPKfiiiSE_SE_iiiii
; %bb.0:
	s_waitcnt vmcnt(0) expcnt(0) lgkmcnt(0)
	buffer_store_dword v40, off, s[0:3], s32 offset:188 ; 4-byte Folded Spill
	buffer_store_dword v41, off, s[0:3], s32 offset:184 ; 4-byte Folded Spill
	;; [unrolled: 1-line block ×47, first 2 shown]
	buffer_store_dword v127, off, s[0:3], s32 ; 4-byte Folded Spill
	s_mov_b32 s10, s13
	s_ashr_i32 s11, s13, 31
	buffer_store_dword v22, off, s[0:3], s32 offset:280 ; 4-byte Folded Spill
	buffer_store_dword v23, off, s[0:3], s32 offset:284 ; 4-byte Folded Spill
	;; [unrolled: 1-line block ×4, first 2 shown]
	s_lshl_b64 s[6:7], s[10:11], 2
	buffer_store_dword v1, off, s[0:3], s32 offset:624 ; 4-byte Folded Spill
	buffer_store_dword v0, off, s[0:3], s32 offset:628 ; 4-byte Folded Spill
	v_add_co_u32 v0, vcc_lo, v12, s6
	v_add_co_ci_u32_e64 v1, null, s7, v13, vcc_lo
	s_clause 0x1
	s_load_dword s5, s[8:9], 0x10
	s_load_dword s6, s[8:9], 0x0
	v_mov_b32_e32 v30, v6
	flat_load_dword v32, v[0:1]
	v_sub_nc_u32_e32 v0, 0, v8
	v_mov_b32_e32 v29, v7
	v_mov_b32_e32 v48, 0
	s_mov_b32 s4, s15
	v_max_i32_e32 v0, v8, v0
	v_cvt_f32_u32_e32 v1, v0
	v_sub_nc_u32_e32 v6, 0, v0
	v_rcp_iflag_f32_e32 v1, v1
	s_waitcnt lgkmcnt(0)
	s_lshr_b32 s5, s5, 16
	s_cmp_lg_u32 s5, 0
	s_cselect_b32 s5, -1, 0
	s_cmp_lg_u32 s5, 0
	s_addc_u32 s11, s6, 0
	v_mul_f32_e32 v1, 0x4f7ffffe, v1
	s_abs_i32 s5, s11
	s_mov_b32 s6, exec_lo
	v_cvt_u32_f32_e32 v1, v1
	v_mul_lo_u32 v6, v6, v1
	v_mul_hi_u32 v6, v1, v6
	v_add_nc_u32_e32 v1, v1, v6
	v_mul_hi_u32 v1, s5, v1
	v_mul_lo_u32 v6, v1, v0
	v_add_nc_u32_e32 v7, 1, v1
	v_sub_nc_u32_e32 v6, s5, v6
	s_abs_i32 s5, s12
	v_sub_nc_u32_e32 v9, v6, v0
	v_cmp_ge_u32_e32 vcc_lo, v6, v0
	v_cndmask_b32_e32 v1, v1, v7, vcc_lo
	v_cndmask_b32_e32 v6, v6, v9, vcc_lo
	v_xor_b32_e32 v7, s11, v8
	v_add_nc_u32_e32 v9, 1, v1
	v_cmp_ge_u32_e32 vcc_lo, v6, v0
	v_ashrrev_i32_e32 v7, 31, v7
	v_cndmask_b32_e32 v0, v1, v9, vcc_lo
	v_xor_b32_e32 v0, v0, v7
	v_sub_nc_u32_e32 v1, v0, v7
	v_sub_nc_u32_e32 v0, 0, v1
	v_max_i32_e32 v0, v1, v0
	v_cvt_f32_u32_e32 v6, v0
	v_sub_nc_u32_e32 v7, 0, v0
	v_rcp_iflag_f32_e32 v6, v6
	v_mul_f32_e32 v6, 0x4f7ffffe, v6
	v_cvt_u32_f32_e32 v6, v6
	v_mul_lo_u32 v7, v7, v6
	v_mul_hi_u32 v7, v6, v7
	v_add_nc_u32_e32 v6, v6, v7
	v_mad_u64_u32 v[12:13], null, s5, v6, 0
	v_cmpx_ne_u64_e32 0, v[15:16]
	s_cbranch_execz .LBB347_2
; %bb.1:
	s_ashr_i32 s13, s12, 31
	s_lshl_b64 s[16:17], s[12:13], 2
	v_add_co_u32 v6, vcc_lo, v15, s16
	v_add_co_ci_u32_e64 v7, null, s17, v16, vcc_lo
	flat_load_dword v48, v[6:7]
.LBB347_2:
	s_or_b32 exec_lo, exec_lo, s6
	v_and_b32_e32 v16, 0x3ff, v31
	v_ashrrev_i32_e32 v1, 31, v1
	s_ashr_i32 s6, s12, 31
	s_mul_i32 s16, s12, 0x60
	s_mov_b32 s7, exec_lo
	v_cmpx_gt_u32_e32 12, v16
	s_cbranch_execz .LBB347_4
; %bb.3:
	v_mul_lo_u32 v6, v17, s10
	s_ashr_i32 s17, s16, 31
	v_lshlrev_b32_e32 v15, 4, v16
	s_lshl_b64 s[18:19], s[16:17], 1
	v_ashrrev_i32_e32 v7, 31, v6
	v_lshlrev_b64 v[6:7], 1, v[6:7]
	v_add_co_u32 v2, vcc_lo, v2, v6
	v_add_co_ci_u32_e64 v3, null, v3, v7, vcc_lo
	v_add_co_u32 v2, vcc_lo, v2, s18
	v_add_co_ci_u32_e64 v3, null, s19, v3, vcc_lo
	;; [unrolled: 2-line block ×3, first 2 shown]
	flat_load_dwordx4 v[33:36], v[2:3]
	s_waitcnt vmcnt(0) lgkmcnt(0)
	ds_write_b128 v15, v[33:36]
.LBB347_4:
	s_or_b32 exec_lo, exec_lo, s7
	v_sub_nc_u32_e32 v2, 0, v27
	v_mul_lo_u32 v3, v13, v0
	v_add_nc_u32_e32 v7, 1, v13
	v_xor_b32_e32 v1, s6, v1
	v_max_i32_e32 v34, v27, v2
	v_sub_nc_u32_e32 v3, s5, v3
	v_cvt_f32_u32_e32 v2, v34
	v_sub_nc_u32_e32 v6, 0, v34
	s_mov_b32 s5, exec_lo
	v_sub_nc_u32_e32 v9, v3, v0
	v_rcp_iflag_f32_e32 v2, v2
	v_cmp_ge_u32_e32 vcc_lo, v3, v0
	v_cndmask_b32_e32 v7, v13, v7, vcc_lo
	v_cndmask_b32_e32 v3, v3, v9, vcc_lo
	v_mul_f32_e32 v2, 0x4f7ffffe, v2
	v_add_nc_u32_e32 v9, 1, v7
	v_cmp_ge_u32_e32 vcc_lo, v3, v0
	v_cvt_u32_f32_e32 v2, v2
	v_cndmask_b32_e32 v3, v7, v9, vcc_lo
	v_mul_lo_u32 v12, v6, v2
	s_waitcnt vmcnt(0)
	v_add_nc_u32_e32 v6, -1, v32
	v_xor_b32_e32 v7, v3, v1
	v_mul_hi_u32 v13, v2, v12
	v_sub_nc_u32_e32 v12, 0, v6
	v_max_i32_e32 v0, v6, v12
	v_add_nc_u32_e32 v2, v2, v13
	buffer_store_dword v2, off, s[0:3], s32 offset:204 ; 4-byte Folded Spill
	v_mad_u64_u32 v[2:3], null, v0, v2, 0
	v_sub_nc_u32_e32 v2, v7, v1
                                        ; implicit-def: $vgpr1
	s_waitcnt lgkmcnt(0)
	s_waitcnt_vscnt null, 0x0
	s_barrier
	buffer_gl0_inv
	buffer_store_dword v1, off, s[0:3], s32 offset:196 ; 4-byte Folded Spill
	buffer_store_dword v2, off, s[0:3], s32 offset:200 ; 4-byte Folded Spill
	v_cmpx_gt_i32_e32 0, v28
	s_xor_b32 s5, exec_lo, s5
	s_cbranch_execz .LBB347_6
; %bb.5:
	v_mad_u64_u32 v[7:8], null, v24, v8, v[2:3]
                                        ; implicit-def: $vgpr24
	v_mul_lo_u32 v1, v7, v28
                                        ; implicit-def: $vgpr28
	v_sub_nc_u32_e32 v1, 1, v1
	buffer_store_dword v1, off, s[0:3], s32 offset:196 ; 4-byte Folded Spill
	buffer_store_dword v2, off, s[0:3], s32 offset:200 ; 4-byte Folded Spill
.LBB347_6:
	s_or_saveexec_b32 s5, s5
	v_ashrrev_i32_e32 v1, 31, v6
	v_ashrrev_i32_e32 v36, 31, v27
	s_xor_b32 exec_lo, exec_lo, s5
	s_cbranch_execz .LBB347_8
; %bb.7:
	v_mad_u64_u32 v[6:7], null, s11, v24, s[12:13]
	v_mad_u64_u32 v[6:7], null, v6, v28, 1
	buffer_store_dword v6, off, s[0:3], s32 offset:196 ; 4-byte Folded Spill
	buffer_store_dword v7, off, s[0:3], s32 offset:200 ; 4-byte Folded Spill
.LBB347_8:
	s_or_b32 exec_lo, exec_lo, s5
	v_mul_lo_u32 v6, v3, v34
	v_add_nc_u32_e32 v7, 1, v3
	v_xor_b32_e32 v8, v1, v36
	v_add_nc_u32_e32 v1, 31, v32
	s_clause 0x1
	s_load_dword s7, s[8:9], 0x14
	s_load_dword s15, s[8:9], 0x8
	v_mul_lo_u32 v31, v2, v19
	v_lshrrev_b32_e32 v13, 5, v16
	v_and_b32_e32 v12, 31, v16
	v_sub_nc_u32_e32 v6, v0, v6
	v_mul_lo_u32 v0, v14, s10
	s_ashr_i32 s5, s4, 31
	s_getpc_b64 s[8:9]
	s_add_u32 s8, s8, llvm.amdgcn.dynlds.offset.table@rel32@lo+4
	s_addc_u32 s9, s9, llvm.amdgcn.dynlds.offset.table@rel32@hi+12
	v_sub_nc_u32_e32 v35, 0, v26
	v_sub_nc_u32_e32 v9, v6, v34
	v_cmp_ge_u32_e32 vcc_lo, v6, v34
	s_lshl_b64 s[12:13], s[4:5], 2
	v_lshlrev_b32_e32 v37, 5, v13
	buffer_store_dword v12, off, s[0:3], s32 offset:276 ; 4-byte Folded Spill
	v_lshlrev_b32_e32 v12, 2, v12
	v_cndmask_b32_e32 v3, v3, v7, vcc_lo
	v_cndmask_b32_e32 v6, v6, v9, vcc_lo
	v_ashrrev_i32_e32 v7, 31, v1
	v_ashrrev_i32_e32 v49, 31, v31
	s_add_u32 s8, s8, s12
	v_add_nc_u32_e32 v9, 1, v3
	v_cmp_ge_u32_e32 vcc_lo, v6, v34
	v_lshrrev_b32_e32 v7, 27, v7
	s_addc_u32 s9, s9, s13
	v_cndmask_b32_e32 v6, v3, v9, vcc_lo
	v_add_nc_u32_e32 v2, v1, v7
	v_ashrrev_i32_e32 v1, 31, v0
	v_mov_b32_e32 v3, 0xff7fffff
	v_xor_b32_e32 v6, v6, v8
	v_ashrrev_i32_e32 v7, 5, v2
	v_lshlrev_b64 v[38:39], 2, v[0:1]
	buffer_store_dword v13, off, s[0:3], s32 offset:620 ; 4-byte Folded Spill
	buffer_store_dword v7, off, s[0:3], s32 offset:192 ; 4-byte Folded Spill
	v_sub_nc_u32_e32 v2, v6, v8
	v_cmp_lt_i32_e64 s4, v13, v7
	v_sub_nc_u32_e32 v0, v2, v25
	v_lshrrev_b32_e32 v25, 3, v16
	buffer_store_dword v0, off, s[0:3], s32 offset:208 ; 4-byte Folded Spill
	buffer_store_dword v16, off, s[0:3], s32 offset:616 ; 4-byte Folded Spill
	s_and_saveexec_b32 s17, s4
	s_cbranch_execz .LBB347_784
; %bb.9:
	v_mov_b32_e32 v14, 0
	buffer_store_dword v30, off, s[0:3], s32 offset:648 ; 4-byte Folded Spill
	buffer_store_dword v29, off, s[0:3], s32 offset:644 ; 4-byte Folded Spill
	v_mov_b32_e32 v22, 0x80
	v_mov_b32_e32 v50, 0xffff
	;; [unrolled: 1-line block ×3, first 2 shown]
	ds_read_b128 v[0:3], v14
	ds_read_b128 v[6:9], v14 offset:16
	buffer_store_dword v31, off, s[0:3], s32 offset:664 ; 4-byte Folded Spill
	buffer_store_dword v49, off, s[0:3], s32 offset:672 ; 4-byte Folded Spill
	v_mov_b32_e32 v51, 7
	v_mov_b32_e32 v52, 24
	s_mov_b32 s12, -1
	s_mov_b32 s18, 0
	s_mov_b32 s13, 0xffffff
	s_waitcnt lgkmcnt(0)
	v_lshlrev_b32_e32 v13, 16, v0
	v_and_b32_e32 v0, 0xffff0000, v0
	buffer_store_dword v13, off, s[0:3], s32 offset:216 ; 4-byte Folded Spill
	buffer_store_dword v0, off, s[0:3], s32 offset:224 ; 4-byte Folded Spill
	v_lshlrev_b32_e32 v0, 16, v1
	buffer_store_dword v0, off, s[0:3], s32 offset:228 ; 4-byte Folded Spill
	v_and_b32_e32 v0, 0xffff0000, v1
	buffer_store_dword v0, off, s[0:3], s32 offset:232 ; 4-byte Folded Spill
	v_lshlrev_b32_e32 v0, 16, v2
	buffer_store_dword v0, off, s[0:3], s32 offset:236 ; 4-byte Folded Spill
	v_and_b32_e32 v0, 0xffff0000, v2
	;; [unrolled: 4-line block ×7, first 2 shown]
	buffer_store_dword v0, off, s[0:3], s32 offset:292 ; 4-byte Folded Spill
	ds_read_b128 v[0:3], v14 offset:32
	s_waitcnt lgkmcnt(0)
	v_lshlrev_b32_e32 v6, 16, v0
	v_and_b32_e32 v0, 0xffff0000, v0
	buffer_store_dword v6, off, s[0:3], s32 offset:300 ; 4-byte Folded Spill
	buffer_store_dword v0, off, s[0:3], s32 offset:304 ; 4-byte Folded Spill
	v_lshlrev_b32_e32 v0, 16, v1
	buffer_store_dword v0, off, s[0:3], s32 offset:308 ; 4-byte Folded Spill
	v_and_b32_e32 v0, 0xffff0000, v1
	buffer_store_dword v0, off, s[0:3], s32 offset:312 ; 4-byte Folded Spill
	v_lshlrev_b32_e32 v0, 16, v2
	buffer_store_dword v0, off, s[0:3], s32 offset:316 ; 4-byte Folded Spill
	v_and_b32_e32 v0, 0xffff0000, v2
	buffer_store_dword v0, off, s[0:3], s32 offset:320 ; 4-byte Folded Spill
	v_lshlrev_b32_e32 v0, 16, v3
	buffer_store_dword v0, off, s[0:3], s32 offset:324 ; 4-byte Folded Spill
	v_and_b32_e32 v0, 0xffff0000, v3
	buffer_store_dword v0, off, s[0:3], s32 offset:328 ; 4-byte Folded Spill
	ds_read_b128 v[0:3], v14 offset:48
	s_waitcnt lgkmcnt(0)
	v_lshlrev_b32_e32 v6, 16, v0
	v_and_b32_e32 v0, 0xffff0000, v0
	buffer_store_dword v6, off, s[0:3], s32 offset:332 ; 4-byte Folded Spill
	buffer_store_dword v0, off, s[0:3], s32 offset:336 ; 4-byte Folded Spill
	v_lshlrev_b32_e32 v0, 16, v1
	buffer_store_dword v0, off, s[0:3], s32 offset:340 ; 4-byte Folded Spill
	v_and_b32_e32 v0, 0xffff0000, v1
	buffer_store_dword v0, off, s[0:3], s32 offset:344 ; 4-byte Folded Spill
	v_lshlrev_b32_e32 v0, 16, v2
	buffer_store_dword v0, off, s[0:3], s32 offset:348 ; 4-byte Folded Spill
	v_and_b32_e32 v0, 0xffff0000, v2
	buffer_store_dword v0, off, s[0:3], s32 offset:352 ; 4-byte Folded Spill
	v_lshlrev_b32_e32 v0, 16, v3
	buffer_store_dword v0, off, s[0:3], s32 offset:356 ; 4-byte Folded Spill
	v_and_b32_e32 v0, 0xffff0000, v3
	;; [unrolled: 18-line block ×9, first 2 shown]
	buffer_store_dword v0, off, s[0:3], s32 offset:584 ; 4-byte Folded Spill
	ds_read_b128 v[0:3], v14 offset:176
	s_waitcnt lgkmcnt(0)
	v_lshlrev_b32_e32 v6, 16, v0
	v_and_b32_e32 v0, 0xffff0000, v0
	v_and_b32_e32 v33, 0xffff0000, v3
	buffer_store_dword v6, off, s[0:3], s32 offset:588 ; 4-byte Folded Spill
	buffer_store_dword v0, off, s[0:3], s32 offset:592 ; 4-byte Folded Spill
	v_lshlrev_b32_e32 v0, 16, v1
	buffer_store_dword v0, off, s[0:3], s32 offset:596 ; 4-byte Folded Spill
	v_and_b32_e32 v0, 0xffff0000, v1
	buffer_store_dword v0, off, s[0:3], s32 offset:600 ; 4-byte Folded Spill
	v_lshlrev_b32_e32 v0, 16, v2
	buffer_store_dword v0, off, s[0:3], s32 offset:604 ; 4-byte Folded Spill
	v_and_b32_e32 v0, 0xffff0000, v2
	buffer_store_dword v0, off, s[0:3], s32 offset:608 ; 4-byte Folded Spill
	v_lshlrev_b32_e32 v0, 16, v3
	buffer_load_dword v3, off, s[0:3], s32 offset:276 ; 4-byte Folded Reload
	buffer_store_dword v0, off, s[0:3], s32 offset:612 ; 4-byte Folded Spill
	v_add_co_u32 v0, vcc_lo, v4, v31
	v_add_co_ci_u32_e64 v1, null, v5, v49, vcc_lo
	buffer_store_dword v26, off, s[0:3], s32 offset:640 ; 4-byte Folded Spill
	buffer_store_dword v35, off, s[0:3], s32 offset:668 ; 4-byte Folded Spill
	;; [unrolled: 1-line block ×3, first 2 shown]
	s_waitcnt vmcnt(0)
	v_lshlrev_b32_e32 v2, 4, v3
	v_add_co_u32 v4, vcc_lo, v0, v2
	v_max_i32_e32 v2, v26, v35
	v_add_co_ci_u32_e64 v5, null, 0, v1, vcc_lo
	v_cvt_f32_u32_e32 v0, v2
	v_sub_nc_u32_e32 v1, 0, v2
	v_rcp_iflag_f32_e32 v0, v0
	v_mul_f32_e32 v0, 0x4f7ffffe, v0
	v_cvt_u32_f32_e32 v0, v0
	v_mul_lo_u32 v1, v1, v0
	v_mul_hi_u32 v1, v0, v1
	v_add_nc_u32_e32 v19, v0, v1
	v_and_b32_e32 v0, 0x7c, v25
	v_add_co_u32 v0, vcc_lo, v0, v38
	buffer_store_dword v38, off, s[0:3], s32 offset:652 ; 4-byte Folded Spill
	buffer_store_dword v39, off, s[0:3], s32 offset:656 ; 4-byte Folded Spill
	buffer_load_dword v53, off, s[0:3], s32 offset:620 ; 4-byte Folded Reload
	s_load_dword s19, s[8:9], 0x0
	buffer_store_dword v10, off, s[0:3], s32 offset:636 ; 4-byte Folded Spill
	buffer_store_dword v11, off, s[0:3], s32 offset:632 ; 4-byte Folded Spill
	;; [unrolled: 1-line block ×3, first 2 shown]
	v_add_co_ci_u32_e64 v1, null, 0, v39, vcc_lo
	v_add_co_u32 v15, vcc_lo, v10, v0
	v_sub_nc_u32_e32 v0, v3, v32
	v_add_co_ci_u32_e64 v16, null, v11, v1, vcc_lo
	s_waitcnt vmcnt(0)
	v_lshlrev_b32_e32 v31, 5, v53
	v_lshl_or_b32 v23, v53, 7, v12
	v_add_nc_u32_e32 v26, 1, v0
	v_mov_b32_e32 v3, 0xff7fffff
	v_cmp_neq_f32_e32 vcc_lo, 0, v48
	s_branch .LBB347_15
.LBB347_10:                             ;   in Loop: Header=BB347_15 Depth=1
	s_or_b32 exec_lo, exec_lo, s23
	v_lshlrev_b32_sdwa v13, v52, v25 dst_sel:DWORD dst_unused:UNUSED_PAD src0_sel:DWORD src1_sel:BYTE_3
	v_lshlrev_b32_e32 v25, 20, v27
	v_lshl_add_u32 v24, v24, 23, 0x3c000000
	v_and_b32_e32 v13, 0x80000000, v13
	v_or3_b32 v68, v25, v13, v24
.LBB347_11:                             ;   in Loop: Header=BB347_15 Depth=1
	s_or_b32 exec_lo, exec_lo, s22
.LBB347_12:                             ;   in Loop: Header=BB347_15 Depth=1
	s_or_b32 exec_lo, exec_lo, s21
.LBB347_13:                             ;   in Loop: Header=BB347_15 Depth=1
	s_or_b32 exec_lo, exec_lo, s20
	v_mul_f32_e32 v7, v54, v7
	v_mul_f32_e32 v0, v54, v0
	;; [unrolled: 1-line block ×5, first 2 shown]
	v_bfe_u32 v13, v7, 16, 1
	v_or_b32_e32 v24, 0x400000, v7
	v_cmp_u_f32_e64 s5, v7, v7
	v_mul_f32_e32 v100, v54, v100
	v_mul_f32_e32 v99, v54, v99
	v_add3_u32 v13, v13, v7, 0x7fff
	v_mul_f32_e32 v7, v54, v17
	v_mul_f32_e32 v98, v54, v98
	;; [unrolled: 1-line block ×4, first 2 shown]
	v_cndmask_b32_e64 v13, v13, v24, s5
	v_bfe_u32 v17, v7, 16, 1
	v_or_b32_e32 v24, 0x400000, v7
	v_cmp_u_f32_e64 s5, v7, v7
	v_mul_f32_e32 v86, v54, v86
	v_mul_f32_e32 v85, v54, v85
	v_add3_u32 v17, v17, v7, 0x7fff
	v_bfe_u32 v7, v0, 16, 1
	v_mul_f32_e32 v84, v54, v84
	v_mul_f32_e32 v83, v54, v83
	;; [unrolled: 1-line block ×3, first 2 shown]
	v_cndmask_b32_e64 v24, v17, v24, s5
	v_add3_u32 v7, v7, v0, 0x7fff
	v_or_b32_e32 v17, 0x400000, v0
	v_cmp_u_f32_e64 s5, v0, v0
	v_mul_f32_e32 v0, v54, v1
	v_mul_f32_e32 v81, v54, v81
	;; [unrolled: 1-line block ×4, first 2 shown]
	v_cndmask_b32_e64 v28, v7, v17, s5
	v_bfe_u32 v1, v0, 16, 1
	v_or_b32_e32 v7, 0x400000, v0
	v_cmp_u_f32_e64 s5, v0, v0
	v_mul_f32_e32 v70, v54, v70
	v_mul_f32_e32 v69, v54, v69
	v_add3_u32 v1, v1, v0, 0x7fff
	v_mul_f32_e32 v66, v54, v66
	v_mul_f32_e32 v65, v54, v65
	;; [unrolled: 1-line block ×4, first 2 shown]
	v_cndmask_b32_e64 v0, v1, v7, s5
	v_mul_f32_e32 v1, v54, v126
	v_mul_f32_e32 v49, v54, v49
	;; [unrolled: 1-line block ×5, first 2 shown]
	v_bfe_u32 v7, v1, 16, 1
	v_or_b32_e32 v17, 0x400000, v1
	v_cmp_u_f32_e64 s5, v1, v1
	v_mul_f32_e32 v6, v54, v6
	v_and_b32_e32 v0, 0xffff0000, v0
	v_add3_u32 v7, v7, v1, 0x7fff
	s_load_dword s20, s[8:9], 0x0
	v_cndmask_b32_e64 v1, v7, v17, s5
	v_mul_f32_e32 v7, v54, v39
	v_and_b32_e32 v1, 0xffff0000, v1
	v_bfe_u32 v17, v7, 16, 1
	v_or_b32_e32 v25, 0x400000, v7
	v_cmp_u_f32_e64 s5, v7, v7
	v_add3_u32 v17, v17, v7, 0x7fff
	v_mul_f32_e32 v7, v54, v10
	v_cndmask_b32_e64 v39, v17, v25, s5
	v_bfe_u32 v10, v7, 16, 1
	v_or_b32_e32 v17, 0x400000, v7
	v_cmp_u_f32_e64 s5, v7, v7
	v_add3_u32 v10, v10, v7, 0x7fff
	v_mul_f32_e32 v7, v54, v11
	v_cndmask_b32_e64 v27, v10, v17, s5
	;; [unrolled: 6-line block ×12, first 2 shown]
	v_bfe_u32 v9, v7, 16, 1
	v_or_b32_e32 v10, 0x400000, v7
	v_cmp_u_f32_e64 s5, v7, v7
	v_add3_u32 v9, v9, v7, 0x7fff
	v_cndmask_b32_e64 v7, v9, v10, s5
	v_mul_f32_e32 v9, v54, v108
	v_and_b32_e32 v7, 0xffff0000, v7
	v_bfe_u32 v10, v9, 16, 1
	v_or_b32_e32 v11, 0x400000, v9
	v_cmp_u_f32_e64 s5, v9, v9
	v_add3_u32 v10, v10, v9, 0x7fff
	v_cndmask_b32_e64 v9, v10, v11, s5
	v_mul_f32_e32 v10, v54, v107
	v_and_b32_e32 v9, 0xffff0000, v9
	v_bfe_u32 v11, v10, 16, 1
	v_or_b32_e32 v38, 0x400000, v10
	v_cmp_u_f32_e64 s5, v10, v10
	v_add3_u32 v11, v11, v10, 0x7fff
	v_mul_f32_e32 v10, v54, v106
	v_cndmask_b32_e64 v107, v11, v38, s5
	v_bfe_u32 v11, v10, 16, 1
	v_or_b32_e32 v38, 0x400000, v10
	v_cmp_u_f32_e64 s5, v10, v10
	v_add3_u32 v11, v11, v10, 0x7fff
	v_mul_f32_e32 v10, v54, v105
	v_cndmask_b32_e64 v106, v11, v38, s5
	;; [unrolled: 6-line block ×6, first 2 shown]
	v_bfe_u32 v38, v10, 16, 1
	v_or_b32_e32 v93, 0x400000, v10
	v_cmp_u_f32_e64 s5, v10, v10
	v_add3_u32 v38, v38, v10, 0x7fff
	v_cndmask_b32_e64 v10, v38, v93, s5
	v_mul_f32_e32 v38, v54, v92
	v_and_b32_e32 v10, 0xffff0000, v10
	v_bfe_u32 v92, v38, 16, 1
	v_or_b32_e32 v93, 0x400000, v38
	v_cmp_u_f32_e64 s5, v38, v38
	v_add3_u32 v92, v92, v38, 0x7fff
	v_mul_f32_e32 v38, v54, v91
	v_cndmask_b32_e64 v92, v92, v93, s5
	v_bfe_u32 v91, v38, 16, 1
	v_or_b32_e32 v93, 0x400000, v38
	v_cmp_u_f32_e64 s5, v38, v38
	v_add3_u32 v91, v91, v38, 0x7fff
	v_mul_f32_e32 v38, v54, v90
	v_cndmask_b32_e64 v91, v91, v93, s5
	;; [unrolled: 6-line block ×34, first 2 shown]
	v_bfe_u32 v114, v38, 16, 1
	v_or_b32_e32 v56, 0x400000, v38
	v_cmp_u_f32_e64 s5, v38, v38
	v_add3_u32 v114, v114, v38, 0x7fff
	v_cndmask_b32_e64 v38, v114, v56, s5
	v_bfe_u32 v114, v113, 16, 1
	v_or_b32_e32 v56, 0x400000, v113
	v_cmp_u_f32_e64 s5, v113, v113
	v_and_b32_e32 v38, 0xffff0000, v38
	v_add3_u32 v114, v114, v113, 0x7fff
	v_mul_f32_e32 v113, v54, v40
	v_cndmask_b32_e64 v56, v114, v56, s5
	v_bfe_u32 v114, v113, 16, 1
	v_or_b32_e32 v40, 0x400000, v113
	v_cmp_u_f32_e64 s5, v113, v113
	v_add3_u32 v114, v114, v113, 0x7fff
	v_cndmask_b32_e64 v113, v114, v40, s5
	v_mul_f32_e32 v114, v54, v119
	v_bfe_u32 v119, v114, 16, 1
	v_or_b32_e32 v40, 0x400000, v114
	v_cmp_u_f32_e64 s5, v114, v114
	v_add3_u32 v119, v119, v114, 0x7fff
	v_cndmask_b32_e64 v114, v119, v40, s5
	v_bfe_u32 v119, v102, 16, 1
	v_or_b32_e32 v40, 0x400000, v102
	v_cmp_u_f32_e64 s5, v102, v102
	v_add3_u32 v119, v119, v102, 0x7fff
	v_cndmask_b32_e64 v102, v119, v40, s5
	;; [unrolled: 5-line block ×6, first 2 shown]
	v_bfe_u32 v119, v97, 16, 1
	v_or_b32_e32 v40, 0x400000, v97
	v_cmp_u_f32_e64 s5, v97, v97
	v_add3_u32 v119, v119, v97, 0x7fff
	v_mul_f32_e32 v97, v54, v112
	v_cndmask_b32_e64 v119, v119, v40, s5
	v_bfe_u32 v112, v97, 16, 1
	v_or_b32_e32 v40, 0x400000, v97
	v_cmp_u_f32_e64 s5, v97, v97
	v_add3_u32 v112, v112, v97, 0x7fff
	v_cndmask_b32_e64 v97, v112, v40, s5
	v_bfe_u32 v112, v103, 16, 1
	v_or_b32_e32 v40, 0x400000, v103
	v_cmp_u_f32_e64 s5, v103, v103
	v_add3_u32 v112, v112, v103, 0x7fff
	;; [unrolled: 5-line block ×11, first 2 shown]
	v_bfe_u32 v70, v69, 16, 1
	v_cndmask_b32_e64 v112, v112, v40, s5
	v_add3_u32 v70, v70, v69, 0x7fff
	v_or_b32_e32 v40, 0x400000, v69
	v_cmp_u_f32_e64 s5, v69, v69
	v_bfe_u32 v69, v66, 16, 1
	v_cndmask_b32_e64 v40, v70, v40, s5
	v_add3_u32 v69, v69, v66, 0x7fff
	v_or_b32_e32 v70, 0x400000, v66
	v_cmp_u_f32_e64 s5, v66, v66
	v_cndmask_b32_e64 v66, v69, v70, s5
	v_bfe_u32 v69, v65, 16, 1
	v_or_b32_e32 v70, 0x400000, v65
	v_cmp_u_f32_e64 s5, v65, v65
	v_add3_u32 v69, v69, v65, 0x7fff
	v_cndmask_b32_e64 v65, v69, v70, s5
	v_bfe_u32 v69, v64, 16, 1
	v_or_b32_e32 v70, 0x400000, v64
	v_cmp_u_f32_e64 s5, v64, v64
	v_add3_u32 v69, v69, v64, 0x7fff
	v_bfe_u32 v64, v55, 16, 1
	v_cndmask_b32_e64 v70, v69, v70, s5
	v_add3_u32 v64, v64, v55, 0x7fff
	v_or_b32_e32 v69, 0x400000, v55
	v_cmp_u_f32_e64 s5, v55, v55
	v_mul_f32_e32 v55, v54, v80
	v_cndmask_b32_e64 v69, v64, v69, s5
	v_bfe_u32 v64, v55, 16, 1
	v_or_b32_e32 v80, 0x400000, v55
	v_cmp_u_f32_e64 s5, v55, v55
	v_add3_u32 v64, v64, v55, 0x7fff
	v_mul_f32_e32 v55, v54, v71
	v_cndmask_b32_e64 v104, v64, v80, s5
	v_bfe_u32 v64, v55, 16, 1
	v_or_b32_e32 v71, 0x400000, v55
	v_cmp_u_f32_e64 s5, v55, v55
	v_add3_u32 v64, v64, v55, 0x7fff
	v_bfe_u32 v55, v49, 16, 1
	v_cndmask_b32_e64 v110, v64, v71, s5
	v_add3_u32 v55, v55, v49, 0x7fff
	v_or_b32_e32 v64, 0x400000, v49
	v_cmp_u_f32_e64 s5, v49, v49
	v_cndmask_b32_e64 v49, v55, v64, s5
	v_mul_f32_e32 v55, v54, v67
	v_bfe_u32 v64, v55, 16, 1
	v_or_b32_e32 v67, 0x400000, v55
	v_cmp_u_f32_e64 s5, v55, v55
	v_add3_u32 v64, v64, v55, 0x7fff
	v_cndmask_b32_e64 v55, v64, v67, s5
	v_bfe_u32 v64, v8, 16, 1
	v_or_b32_e32 v67, 0x400000, v8
	v_cmp_u_f32_e64 s5, v8, v8
	v_add3_u32 v64, v64, v8, 0x7fff
	v_cndmask_b32_e64 v8, v64, v67, s5
	v_mul_f32_e32 v64, v54, v127
	v_bfe_u32 v67, v64, 16, 1
	v_or_b32_e32 v71, 0x400000, v64
	v_cmp_u_f32_e64 s5, v64, v64
	v_add3_u32 v67, v67, v64, 0x7fff
	v_cndmask_b32_e64 v64, v67, v71, s5
	v_bfe_u32 v67, v30, 16, 1
	v_or_b32_e32 v71, 0x400000, v30
	v_cmp_u_f32_e64 s5, v30, v30
	v_add3_u32 v67, v67, v30, 0x7fff
	v_bfe_u32 v30, v29, 16, 1
	v_cndmask_b32_e64 v67, v67, v71, s5
	v_add3_u32 v30, v30, v29, 0x7fff
	v_or_b32_e32 v71, 0x400000, v29
	v_cmp_u_f32_e64 s5, v29, v29
	v_mul_f32_e32 v29, v54, v68
	buffer_load_dword v68, off, s[0:3], s32 offset:252 ; 4-byte Folded Reload
	v_or_b32_e32 v54, 0x400000, v6
	v_cndmask_b32_e64 v71, v30, v71, s5
	v_bfe_u32 v30, v6, 16, 1
	v_cmp_u_f32_e64 s5, v6, v6
	v_add3_u32 v30, v30, v6, 0x7fff
	v_cndmask_b32_e64 v6, v30, v54, s5
	v_bfe_u32 v30, v29, 16, 1
	v_or_b32_e32 v54, 0x400000, v29
	v_cmp_u_f32_e64 s5, v29, v29
	v_add3_u32 v30, v30, v29, 0x7fff
	v_cndmask_b32_e64 v29, v30, v54, s5
	v_and_b32_e32 v30, 0xffff0000, v81
	v_and_b32_e32 v54, 0xffff0000, v69
	buffer_load_dword v81, off, s[0:3], s32 offset:288 ; 4-byte Folded Reload
	s_waitcnt vmcnt(1)
	v_mul_f32_e32 v69, v68, v30
	s_clause 0x1
	buffer_load_dword v30, off, s[0:3], s32 offset:216
	buffer_load_dword v68, off, s[0:3], s32 offset:256
	s_waitcnt vmcnt(1)
	v_fmac_f32_e32 v69, v30, v54
	v_and_b32_e32 v30, 0xffff0000, v82
	v_and_b32_e32 v54, 0xffff0000, v70
	buffer_load_dword v82, off, s[0:3], s32 offset:292 ; 4-byte Folded Reload
	s_waitcnt vmcnt(1)
	v_mul_f32_e32 v80, v68, v30
	buffer_load_dword v30, off, s[0:3], s32 offset:224 ; 4-byte Folded Reload
	s_waitcnt vmcnt(0)
	v_fmac_f32_e32 v80, v30, v54
	v_and_b32_e32 v54, 0xffff0000, v65
	buffer_load_dword v65, off, s[0:3], s32 offset:260 ; 4-byte Folded Reload
	v_and_b32_e32 v30, 0xffff0000, v83
	s_waitcnt vmcnt(0)
	v_mul_f32_e32 v70, v65, v30
	s_clause 0x1
	buffer_load_dword v30, off, s[0:3], s32 offset:228
	buffer_load_dword v65, off, s[0:3], s32 offset:264
	s_waitcnt vmcnt(1)
	v_fmac_f32_e32 v70, v30, v54
	v_and_b32_e32 v30, 0xffff0000, v84
	v_and_b32_e32 v54, 0xffff0000, v66
	s_waitcnt vmcnt(0)
	v_mul_f32_e32 v68, v65, v30
	s_clause 0x1
	buffer_load_dword v30, off, s[0:3], s32 offset:232
	buffer_load_dword v65, off, s[0:3], s32 offset:268
	s_waitcnt vmcnt(1)
	v_fmac_f32_e32 v68, v30, v54
	v_and_b32_e32 v30, 0xffff0000, v85
	v_and_b32_e32 v54, 0xffff0000, v40
	s_waitcnt vmcnt(0)
	v_mul_f32_e32 v66, v65, v30
	buffer_load_dword v30, off, s[0:3], s32 offset:236 ; 4-byte Folded Reload
	v_and_b32_e32 v65, 0xffff0000, v112
	s_waitcnt vmcnt(0)
	v_fmac_f32_e32 v66, v30, v54
	buffer_load_dword v54, off, s[0:3], s32 offset:272 ; 4-byte Folded Reload
	v_and_b32_e32 v30, 0xffff0000, v86
	s_waitcnt vmcnt(0)
	v_mul_f32_e32 v54, v54, v30
	buffer_load_dword v30, off, s[0:3], s32 offset:240 ; 4-byte Folded Reload
	s_waitcnt vmcnt(0)
	v_fmac_f32_e32 v54, v30, v65
	v_and_b32_e32 v30, 0xffff0000, v96
	v_and_b32_e32 v65, 0xffff0000, v104
	v_mul_f32_e32 v30, v81, v30
	buffer_load_dword v81, off, s[0:3], s32 offset:244 ; 4-byte Folded Reload
	s_waitcnt vmcnt(0)
	v_fmac_f32_e32 v30, v81, v65
	v_and_b32_e32 v65, 0xffff0000, v87
	v_and_b32_e32 v81, 0xffff0000, v110
	v_mul_f32_e32 v65, v82, v65
	buffer_load_dword v82, off, s[0:3], s32 offset:248 ; 4-byte Folded Reload
	s_waitcnt vmcnt(0)
	v_fmac_f32_e32 v65, v82, v81
	buffer_load_dword v82, off, s[0:3], s32 offset:300 ; 4-byte Folded Reload
	v_and_b32_e32 v81, 0xffff0000, v119
	s_waitcnt vmcnt(0)
	v_fmac_f32_e32 v69, v82, v81
	buffer_load_dword v82, off, s[0:3], s32 offset:304 ; 4-byte Folded Reload
	v_and_b32_e32 v81, 0xffff0000, v98
	;; [unrolled: 4-line block ×9, first 2 shown]
	s_waitcnt vmcnt(0)
	v_fmac_f32_e32 v69, v82, v81
	buffer_load_dword v81, off, s[0:3], s32 offset:336 ; 4-byte Folded Reload
	s_waitcnt vmcnt(0)
	v_fmac_f32_e32 v80, v81, v38
	buffer_load_dword v81, off, s[0:3], s32 offset:340 ; 4-byte Folded Reload
	v_and_b32_e32 v38, 0xffff0000, v115
	s_waitcnt vmcnt(0)
	v_fmac_f32_e32 v70, v81, v38
	buffer_load_dword v81, off, s[0:3], s32 offset:344 ; 4-byte Folded Reload
	v_and_b32_e32 v38, 0xffff0000, v116
	;; [unrolled: 4-line block ×34, first 2 shown]
	s_waitcnt vmcnt(0)
	v_fmac_f32_e32 v68, v81, v38
	buffer_load_dword v38, off, s[0:3], s32 offset:476 ; 4-byte Folded Reload
	s_waitcnt vmcnt(0)
	v_fmac_f32_e32 v66, v38, v10
	v_and_b32_e32 v10, 0xffff0000, v11
	buffer_load_dword v11, off, s[0:3], s32 offset:480 ; 4-byte Folded Reload
	s_waitcnt vmcnt(0)
	v_fmac_f32_e32 v54, v11, v10
	buffer_load_dword v11, off, s[0:3], s32 offset:484 ; 4-byte Folded Reload
	v_and_b32_e32 v10, 0xffff0000, v89
	s_waitcnt vmcnt(0)
	v_fmac_f32_e32 v30, v11, v10
	buffer_load_dword v11, off, s[0:3], s32 offset:488 ; 4-byte Folded Reload
	v_and_b32_e32 v10, 0xffff0000, v93
	;; [unrolled: 4-line block ×5, first 2 shown]
	s_waitcnt vmcnt(0)
	v_fmac_f32_e32 v70, v11, v10
	buffer_load_dword v10, off, s[0:3], s32 offset:504 ; 4-byte Folded Reload
	s_waitcnt vmcnt(0)
	v_fmac_f32_e32 v68, v10, v9
	buffer_load_dword v9, off, s[0:3], s32 offset:508 ; 4-byte Folded Reload
	;; [unrolled: 3-line block ×3, first 2 shown]
	v_and_b32_e32 v7, 0xffff0000, v17
	s_waitcnt vmcnt(0)
	v_fmac_f32_e32 v54, v9, v7
	buffer_load_dword v9, off, s[0:3], s32 offset:516 ; 4-byte Folded Reload
	v_and_b32_e32 v7, 0xffff0000, v105
	s_waitcnt vmcnt(0)
	v_fmac_f32_e32 v30, v9, v7
	buffer_load_dword v9, off, s[0:3], s32 offset:520 ; 4-byte Folded Reload
	;; [unrolled: 4-line block ×12, first 2 shown]
	s_waitcnt vmcnt(0)
	v_fmac_f32_e32 v80, v7, v1
	s_clause 0x1
	buffer_load_dword v1, off, s[0:3], s32 offset:564
	buffer_load_dword v7, off, s[0:3], s32 offset:572
	s_waitcnt vmcnt(1)
	v_fmac_f32_e32 v70, v1, v0
	buffer_load_dword v1, off, s[0:3], s32 offset:588 ; 4-byte Folded Reload
	v_and_b32_e32 v0, 0xffff0000, v71
	s_waitcnt vmcnt(0)
	v_fmac_f32_e32 v69, v1, v0
	buffer_load_dword v1, off, s[0:3], s32 offset:592 ; 4-byte Folded Reload
	v_and_b32_e32 v0, 0xffff0000, v67
	;; [unrolled: 4-line block ×4, first 2 shown]
	s_waitcnt vmcnt(0)
	v_fmac_f32_e32 v70, v1, v0
	v_and_b32_e32 v1, 0xffff0000, v24
	v_add_f32_e32 v0, v69, v80
	v_fmac_f32_e32 v66, v7, v1
	buffer_load_dword v7, off, s[0:3], s32 offset:600 ; 4-byte Folded Reload
	v_and_b32_e32 v1, 0xffff0000, v8
	v_add_f32_e32 v0, v0, v70
	s_waitcnt vmcnt(0)
	v_fmac_f32_e32 v68, v7, v1
	buffer_load_dword v7, off, s[0:3], s32 offset:576 ; 4-byte Folded Reload
	v_and_b32_e32 v1, 0xffff0000, v13
	v_add_f32_e32 v0, v68, v0
	s_waitcnt vmcnt(0)
	v_fmac_f32_e32 v54, v7, v1
	buffer_load_dword v7, off, s[0:3], s32 offset:604 ; 4-byte Folded Reload
	v_and_b32_e32 v1, 0xffff0000, v55
	s_waitcnt vmcnt(0)
	v_fmac_f32_e32 v66, v7, v1
	buffer_load_dword v7, off, s[0:3], s32 offset:580 ; 4-byte Folded Reload
	v_and_b32_e32 v1, 0xffff0000, v27
	v_add_f32_e32 v0, v66, v0
	s_waitcnt vmcnt(0)
	v_fmac_f32_e32 v30, v7, v1
	buffer_load_dword v7, off, s[0:3], s32 offset:608 ; 4-byte Folded Reload
	v_and_b32_e32 v1, 0xffff0000, v49
	s_waitcnt vmcnt(0)
	v_fmac_f32_e32 v54, v7, v1
	buffer_load_dword v7, off, s[0:3], s32 offset:584 ; 4-byte Folded Reload
	v_and_b32_e32 v1, 0xffff0000, v25
	v_add_f32_e32 v0, v54, v0
	s_waitcnt vmcnt(0)
	v_fmac_f32_e32 v65, v7, v1
	v_and_b32_e32 v1, 0xffff0000, v6
	buffer_load_dword v6, off, s[0:3], s32 offset:612 ; 4-byte Folded Reload
	s_waitcnt vmcnt(0)
	v_fmac_f32_e32 v30, v6, v1
	buffer_load_dword v6, off, s[0:3], s32 offset:212 ; 4-byte Folded Reload
	v_and_b32_e32 v1, 0xffff0000, v29
	v_add_f32_e32 v0, v30, v0
	v_fmac_f32_e32 v65, v33, v1
	v_add_nc_u32_e32 v1, v26, v31
	v_add_f32_e32 v0, v65, v0
	v_cvt_f32_i32_e32 v1, v1
	v_mul_f32_e32 v1, v48, v1
	v_cndmask_b32_e32 v1, 0, v1, vcc_lo
	s_waitcnt vmcnt(0)
	v_fmac_f32_e32 v1, v6, v0
	buffer_load_dword v0, off, s[0:3], s32 offset:276 ; 4-byte Folded Reload
	s_waitcnt vmcnt(0)
	v_add_nc_u32_e32 v0, v0, v31
	v_cmp_lt_i32_e64 s5, v0, v32
	s_waitcnt lgkmcnt(0)
	v_add_nc_u32_e32 v0, s20, v23
	v_cndmask_b32_e64 v6, 0, v1, s5
	ds_write_b32 v0, v6
	v_max_f32_e32 v0, v3, v3
	v_max_f32_e32 v0, v0, v1
	v_cndmask_b32_e64 v3, v3, v0, s5
.LBB347_14:                             ;   in Loop: Header=BB347_15 Depth=1
	s_or_b32 exec_lo, exec_lo, s6
	buffer_load_dword v0, off, s[0:3], s32 offset:192 ; 4-byte Folded Reload
	v_add_nc_u32_e32 v53, 4, v53
	v_add_co_u32 v15, s5, v15, 16
	v_add_co_ci_u32_e64 v16, null, 0, v16, s5
	v_add_nc_u32_e32 v31, 0x80, v31
	v_add_nc_u32_e32 v23, 0x200, v23
	s_waitcnt vmcnt(0)
	v_cmp_ge_i32_e64 s5, v53, v0
	s_or_b32 s18, s5, s18
	s_andn2_b32 exec_lo, exec_lo, s18
	s_cbranch_execz .LBB347_783
.LBB347_15:                             ; =>This Inner Loop Header: Depth=1
	buffer_load_dword v0, off, s[0:3], s32 offset:204 ; 4-byte Folded Reload
	s_waitcnt vmcnt(0)
	v_mul_hi_u32 v0, v31, v0
	v_mul_lo_u32 v1, v0, v34
	v_add_nc_u32_e32 v6, 1, v0
	v_sub_nc_u32_e32 v1, v31, v1
	v_sub_nc_u32_e32 v7, v1, v34
	v_cmp_ge_u32_e64 s5, v1, v34
	v_cndmask_b32_e64 v0, v0, v6, s5
	v_cndmask_b32_e64 v1, v1, v7, s5
	v_add_nc_u32_e32 v6, 1, v0
	v_cmp_ge_u32_e64 s5, v1, v34
	v_cndmask_b32_e64 v0, v0, v6, s5
	s_clause 0x1
	buffer_load_dword v6, off, s[0:3], s32 offset:196
	buffer_load_dword v7, off, s[0:3], s32 offset:200
	v_xor_b32_e32 v0, v0, v36
	v_sub_nc_u32_e32 v0, v0, v36
	s_waitcnt vmcnt(1)
	v_add_nc_u32_e32 v1, v0, v6
	v_sub_nc_u32_e32 v6, 0, v1
	v_max_i32_e32 v6, v1, v6
	v_ashrrev_i32_e32 v1, 31, v1
	s_waitcnt vmcnt(0)
	v_mul_hi_u32 v7, v6, v19
	v_mul_lo_u32 v7, v7, v2
	v_sub_nc_u32_e32 v6, v6, v7
	v_sub_nc_u32_e32 v7, v6, v2
	v_cmp_ge_u32_e64 s5, v6, v2
	v_cndmask_b32_e64 v6, v6, v7, s5
	v_sub_nc_u32_e32 v7, v6, v2
	v_cmp_ge_u32_e64 s5, v6, v2
	v_cndmask_b32_e64 v6, v6, v7, s5
	v_xor_b32_e32 v6, v6, v1
	v_sub_nc_u32_e32 v1, v6, v1
	v_cmp_ne_u32_e64 s5, 0, v1
	buffer_load_dword v1, off, s[0:3], s32 offset:208 ; 4-byte Folded Reload
	s_waitcnt vmcnt(0)
	v_cmp_le_i32_e64 s6, v0, v1
	s_and_b32 s5, s5, s6
	s_and_saveexec_b32 s6, s5
	s_xor_b32 s5, exec_lo, s6
	s_cbranch_execz .LBB347_17
; %bb.16:                               ;   in Loop: Header=BB347_15 Depth=1
	s_waitcnt lgkmcnt(0)
	v_add_nc_u32_e32 v0, s19, v23
	v_mov_b32_e32 v1, 0xff7fffff
	ds_write_b32 v0, v1
.LBB347_17:                             ;   in Loop: Header=BB347_15 Depth=1
	s_andn2_saveexec_b32 s6, s5
	s_cbranch_execz .LBB347_14
; %bb.18:                               ;   in Loop: Header=BB347_15 Depth=1
	flat_load_dword v0, v[15:16]
	buffer_load_dword v1, off, s[0:3], s32 offset:220 ; 4-byte Folded Reload
	v_mov_b32_e32 v64, 0
	v_mov_b32_e32 v55, 0
	s_waitcnt vmcnt(0) lgkmcnt(0)
	v_mad_i64_i32 v[24:25], null, v0, v1, v[4:5]
	flat_load_dwordx2 v[27:28], v[24:25]
	flat_load_dword v54, v[20:21]
	s_waitcnt vmcnt(1) lgkmcnt(1)
	v_cmp_ne_u16_sdwa s5, v27, v14 src0_sel:BYTE_0 src1_sel:DWORD
	s_and_saveexec_b32 s20, s5
	s_cbranch_execz .LBB347_26
; %bb.19:                               ;   in Loop: Header=BB347_15 Depth=1
	v_cmp_ne_u16_sdwa s5, v27, v22 src0_sel:BYTE_0 src1_sel:DWORD
	v_bfrev_b32_e32 v55, 1
	s_and_saveexec_b32 s21, s5
	s_cbranch_execz .LBB347_25
; %bb.20:                               ;   in Loop: Header=BB347_15 Depth=1
	v_and_b32_e32 v1, 0x7f, v27
	v_mov_b32_e32 v55, 0x7f800001
	s_mov_b32 s22, exec_lo
	v_cmpx_ne_u32_e32 0x7f, v1
	s_cbranch_execz .LBB347_24
; %bb.21:                               ;   in Loop: Header=BB347_15 Depth=1
	v_mov_b32_e32 v30, v28
	v_lshrrev_b32_e32 v0, 3, v1
	v_mov_b32_e32 v29, v27
	s_mov_b32 s23, exec_lo
	v_cmpx_gt_u32_e32 8, v1
; %bb.22:                               ;   in Loop: Header=BB347_15 Depth=1
	v_and_b32_e32 v0, 7, v27
	v_ffbh_u32_e32 v0, v0
	v_min_u32_e32 v0, 32, v0
	v_subrev_nc_u32_e32 v1, 28, v0
	v_sub_nc_u32_e32 v0, 29, v0
	v_lshlrev_b64 v[29:30], v1, v[27:28]
; %bb.23:                               ;   in Loop: Header=BB347_15 Depth=1
	s_or_b32 exec_lo, exec_lo, s23
	v_lshlrev_b32_e32 v1, 20, v29
	v_lshlrev_b32_e32 v6, 24, v27
	v_lshl_add_u32 v0, v0, 23, 0x3c000000
	v_and_b32_e32 v1, 0x700000, v1
	v_and_b32_e32 v6, 0x80000000, v6
	v_or3_b32 v55, v1, v6, v0
.LBB347_24:                             ;   in Loop: Header=BB347_15 Depth=1
	s_or_b32 exec_lo, exec_lo, s22
.LBB347_25:                             ;   in Loop: Header=BB347_15 Depth=1
	s_or_b32 exec_lo, exec_lo, s21
.LBB347_26:                             ;   in Loop: Header=BB347_15 Depth=1
	s_or_b32 exec_lo, exec_lo, s20
	v_cmp_ne_u16_sdwa s5, v27, v14 src0_sel:BYTE_1 src1_sel:DWORD
	s_and_saveexec_b32 s20, s5
	s_cbranch_execz .LBB347_34
; %bb.27:                               ;   in Loop: Header=BB347_15 Depth=1
	v_cmp_ne_u16_sdwa s5, v27, v22 src0_sel:BYTE_1 src1_sel:DWORD
	v_bfrev_b32_e32 v64, 1
	s_and_saveexec_b32 s21, s5
	s_cbranch_execz .LBB347_33
; %bb.28:                               ;   in Loop: Header=BB347_15 Depth=1
	v_and_b32_sdwa v0, v50, v27 dst_sel:DWORD dst_unused:UNUSED_PAD src0_sel:DWORD src1_sel:BYTE_1
	v_mov_b32_e32 v64, 0x7f800001
	s_mov_b32 s22, exec_lo
	v_and_b32_e32 v1, 0x7f, v0
	v_cmpx_ne_u32_e32 0x7f, v1
	s_cbranch_execz .LBB347_32
; %bb.29:                               ;   in Loop: Header=BB347_15 Depth=1
	v_and_b32_e32 v13, 7, v0
	v_lshrrev_b32_e32 v0, 3, v1
	s_mov_b32 s23, exec_lo
	v_cmpx_gt_u32_e32 8, v1
; %bb.30:                               ;   in Loop: Header=BB347_15 Depth=1
	v_ffbh_u32_e32 v0, v13
	v_min_u32_e32 v0, 32, v0
	v_subrev_nc_u32_e32 v1, 28, v0
	v_sub_nc_u32_e32 v0, 29, v0
	v_lshlrev_b64 v[6:7], v1, v[13:14]
	v_and_b32_e32 v13, 7, v6
; %bb.31:                               ;   in Loop: Header=BB347_15 Depth=1
	s_or_b32 exec_lo, exec_lo, s23
	v_lshlrev_b32_e32 v1, 16, v27
	v_lshlrev_b32_e32 v6, 20, v13
	v_lshl_add_u32 v0, v0, 23, 0x3c000000
	v_and_b32_e32 v1, 0x80000000, v1
	v_or3_b32 v64, v6, v1, v0
.LBB347_32:                             ;   in Loop: Header=BB347_15 Depth=1
	s_or_b32 exec_lo, exec_lo, s22
.LBB347_33:                             ;   in Loop: Header=BB347_15 Depth=1
	s_or_b32 exec_lo, exec_lo, s21
.LBB347_34:                             ;   in Loop: Header=BB347_15 Depth=1
	s_or_b32 exec_lo, exec_lo, s20
	v_and_b32_sdwa v0, v27, v18 dst_sel:DWORD dst_unused:UNUSED_PAD src0_sel:WORD_1 src1_sel:DWORD
	v_mov_b32_e32 v66, 0
	v_mov_b32_e32 v65, 0
	s_mov_b32 s20, exec_lo
	v_cmpx_ne_u16_e32 0, v0
	s_cbranch_execz .LBB347_42
; %bb.35:                               ;   in Loop: Header=BB347_15 Depth=1
	v_bfrev_b32_e32 v65, 1
	s_mov_b32 s21, exec_lo
	v_cmpx_ne_u16_e32 0x80, v0
	s_cbranch_execz .LBB347_41
; %bb.36:                               ;   in Loop: Header=BB347_15 Depth=1
	v_bfe_u32 v1, v27, 16, 7
	v_mov_b32_e32 v65, 0x7f800001
	s_mov_b32 s22, exec_lo
	v_cmpx_ne_u32_e32 0x7f, v1
	s_cbranch_execz .LBB347_40
; %bb.37:                               ;   in Loop: Header=BB347_15 Depth=1
	v_and_b32_sdwa v13, v27, v51 dst_sel:DWORD dst_unused:UNUSED_PAD src0_sel:WORD_1 src1_sel:DWORD
	v_lshrrev_b32_e32 v0, 3, v1
	s_mov_b32 s23, exec_lo
	v_cmpx_gt_u32_e32 8, v1
; %bb.38:                               ;   in Loop: Header=BB347_15 Depth=1
	v_ffbh_u32_e32 v0, v13
	v_min_u32_e32 v0, 32, v0
	v_subrev_nc_u32_e32 v1, 28, v0
	v_sub_nc_u32_e32 v0, 29, v0
	v_lshlrev_b64 v[6:7], v1, v[13:14]
	v_and_b32_e32 v13, 7, v6
; %bb.39:                               ;   in Loop: Header=BB347_15 Depth=1
	s_or_b32 exec_lo, exec_lo, s23
	v_lshlrev_b32_sdwa v1, v52, v27 dst_sel:DWORD dst_unused:UNUSED_PAD src0_sel:DWORD src1_sel:WORD_1
	v_lshlrev_b32_e32 v6, 20, v13
	v_lshl_add_u32 v0, v0, 23, 0x3c000000
	v_and_b32_e32 v1, 0x80000000, v1
	v_or3_b32 v65, v6, v1, v0
.LBB347_40:                             ;   in Loop: Header=BB347_15 Depth=1
	s_or_b32 exec_lo, exec_lo, s22
.LBB347_41:                             ;   in Loop: Header=BB347_15 Depth=1
	s_or_b32 exec_lo, exec_lo, s21
.LBB347_42:                             ;   in Loop: Header=BB347_15 Depth=1
	s_or_b32 exec_lo, exec_lo, s20
	s_mov_b32 s20, exec_lo
	v_cmpx_lt_u32_e32 0xffffff, v27
	s_cbranch_execz .LBB347_50
; %bb.43:                               ;   in Loop: Header=BB347_15 Depth=1
	v_cmp_ne_u32_sdwa s5, v27, v22 src0_sel:BYTE_3 src1_sel:DWORD
	v_bfrev_b32_e32 v66, 1
	s_and_saveexec_b32 s21, s5
	s_cbranch_execz .LBB347_49
; %bb.44:                               ;   in Loop: Header=BB347_15 Depth=1
	v_bfe_u32 v1, v27, 24, 7
	v_mov_b32_e32 v66, 0x7f800001
	s_mov_b32 s22, exec_lo
	v_cmpx_ne_u32_e32 0x7f, v1
	s_cbranch_execz .LBB347_48
; %bb.45:                               ;   in Loop: Header=BB347_15 Depth=1
	v_and_b32_sdwa v13, v27, v51 dst_sel:DWORD dst_unused:UNUSED_PAD src0_sel:BYTE_3 src1_sel:DWORD
	v_lshrrev_b32_e32 v0, 3, v1
	s_mov_b32 s23, exec_lo
	v_cmpx_gt_u32_e32 8, v1
; %bb.46:                               ;   in Loop: Header=BB347_15 Depth=1
	v_ffbh_u32_e32 v0, v13
	v_min_u32_e32 v0, 32, v0
	v_subrev_nc_u32_e32 v1, 28, v0
	v_sub_nc_u32_e32 v0, 29, v0
	v_lshlrev_b64 v[6:7], v1, v[13:14]
	v_and_b32_e32 v13, 7, v6
; %bb.47:                               ;   in Loop: Header=BB347_15 Depth=1
	s_or_b32 exec_lo, exec_lo, s23
	v_lshlrev_b32_sdwa v1, v52, v27 dst_sel:DWORD dst_unused:UNUSED_PAD src0_sel:DWORD src1_sel:BYTE_3
	v_lshlrev_b32_e32 v6, 20, v13
	v_lshl_add_u32 v0, v0, 23, 0x3c000000
	v_and_b32_e32 v1, 0x80000000, v1
	v_or3_b32 v66, v6, v1, v0
.LBB347_48:                             ;   in Loop: Header=BB347_15 Depth=1
	s_or_b32 exec_lo, exec_lo, s22
.LBB347_49:                             ;   in Loop: Header=BB347_15 Depth=1
	s_or_b32 exec_lo, exec_lo, s21
.LBB347_50:                             ;   in Loop: Header=BB347_15 Depth=1
	s_or_b32 exec_lo, exec_lo, s20
	v_mov_b32_e32 v13, v28
	v_cmp_ne_u16_sdwa s5, v28, v14 src0_sel:BYTE_0 src1_sel:DWORD
	v_mov_b32_e32 v70, 0
	v_mov_b32_e32 v69, 0
	s_and_saveexec_b32 s20, s5
	s_cbranch_execz .LBB347_58
; %bb.51:                               ;   in Loop: Header=BB347_15 Depth=1
	v_cmp_ne_u16_sdwa s5, v28, v22 src0_sel:BYTE_0 src1_sel:DWORD
	v_bfrev_b32_e32 v69, 1
	s_and_saveexec_b32 s21, s5
	s_cbranch_execz .LBB347_57
; %bb.52:                               ;   in Loop: Header=BB347_15 Depth=1
	v_and_b32_e32 v1, 0x7f, v28
	v_mov_b32_e32 v69, 0x7f800001
	s_mov_b32 s22, exec_lo
	v_cmpx_ne_u32_e32 0x7f, v1
	s_cbranch_execz .LBB347_56
; %bb.53:                               ;   in Loop: Header=BB347_15 Depth=1
	v_mov_b32_e32 v30, v14
	v_lshrrev_b32_e32 v0, 3, v1
	v_mov_b32_e32 v29, v13
	s_mov_b32 s23, exec_lo
	v_cmpx_gt_u32_e32 8, v1
; %bb.54:                               ;   in Loop: Header=BB347_15 Depth=1
	v_and_b32_e32 v0, 7, v28
	v_ffbh_u32_e32 v0, v0
	v_min_u32_e32 v0, 32, v0
	v_subrev_nc_u32_e32 v1, 28, v0
	v_sub_nc_u32_e32 v0, 29, v0
	v_lshlrev_b64 v[29:30], v1, v[13:14]
; %bb.55:                               ;   in Loop: Header=BB347_15 Depth=1
	s_or_b32 exec_lo, exec_lo, s23
	v_lshlrev_b32_e32 v1, 20, v29
	v_lshlrev_b32_e32 v6, 24, v13
	v_lshl_add_u32 v0, v0, 23, 0x3c000000
	v_and_b32_e32 v1, 0x700000, v1
	v_and_b32_e32 v6, 0x80000000, v6
	v_or3_b32 v69, v1, v6, v0
.LBB347_56:                             ;   in Loop: Header=BB347_15 Depth=1
	s_or_b32 exec_lo, exec_lo, s22
.LBB347_57:                             ;   in Loop: Header=BB347_15 Depth=1
	s_or_b32 exec_lo, exec_lo, s21
.LBB347_58:                             ;   in Loop: Header=BB347_15 Depth=1
	s_or_b32 exec_lo, exec_lo, s20
	v_cmp_ne_u16_sdwa s5, v13, v14 src0_sel:BYTE_1 src1_sel:DWORD
	s_and_saveexec_b32 s20, s5
	s_cbranch_execz .LBB347_66
; %bb.59:                               ;   in Loop: Header=BB347_15 Depth=1
	v_cmp_ne_u16_sdwa s5, v13, v22 src0_sel:BYTE_1 src1_sel:DWORD
	v_bfrev_b32_e32 v70, 1
	s_and_saveexec_b32 s21, s5
	s_cbranch_execz .LBB347_65
; %bb.60:                               ;   in Loop: Header=BB347_15 Depth=1
	v_and_b32_sdwa v0, v50, v13 dst_sel:DWORD dst_unused:UNUSED_PAD src0_sel:DWORD src1_sel:BYTE_1
	v_mov_b32_e32 v70, 0x7f800001
	s_mov_b32 s22, exec_lo
	v_and_b32_e32 v1, 0x7f, v0
	v_cmpx_ne_u32_e32 0x7f, v1
	s_cbranch_execz .LBB347_64
; %bb.61:                               ;   in Loop: Header=BB347_15 Depth=1
	v_and_b32_e32 v29, 7, v0
	v_mov_b32_e32 v30, v14
	v_lshrrev_b32_e32 v0, 3, v1
	s_mov_b32 s23, exec_lo
	v_cmpx_gt_u32_e32 8, v1
; %bb.62:                               ;   in Loop: Header=BB347_15 Depth=1
	v_ffbh_u32_e32 v0, v29
	v_min_u32_e32 v0, 32, v0
	v_subrev_nc_u32_e32 v1, 28, v0
	v_sub_nc_u32_e32 v0, 29, v0
	v_lshlrev_b64 v[6:7], v1, v[29:30]
	v_and_b32_e32 v29, 7, v6
; %bb.63:                               ;   in Loop: Header=BB347_15 Depth=1
	s_or_b32 exec_lo, exec_lo, s23
	v_lshlrev_b32_e32 v1, 16, v13
	v_lshlrev_b32_e32 v6, 20, v29
	v_lshl_add_u32 v0, v0, 23, 0x3c000000
	v_and_b32_e32 v1, 0x80000000, v1
	v_or3_b32 v70, v6, v1, v0
.LBB347_64:                             ;   in Loop: Header=BB347_15 Depth=1
	s_or_b32 exec_lo, exec_lo, s22
.LBB347_65:                             ;   in Loop: Header=BB347_15 Depth=1
	s_or_b32 exec_lo, exec_lo, s21
.LBB347_66:                             ;   in Loop: Header=BB347_15 Depth=1
	s_or_b32 exec_lo, exec_lo, s20
	v_and_b32_sdwa v0, v28, v18 dst_sel:DWORD dst_unused:UNUSED_PAD src0_sel:WORD_1 src1_sel:DWORD
	v_mov_b32_e32 v71, 0
	v_mov_b32_e32 v80, 0
	s_mov_b32 s20, exec_lo
	v_cmpx_ne_u16_e32 0, v0
	s_cbranch_execz .LBB347_74
; %bb.67:                               ;   in Loop: Header=BB347_15 Depth=1
	v_bfrev_b32_e32 v80, 1
	s_mov_b32 s21, exec_lo
	v_cmpx_ne_u16_e32 0x80, v0
	s_cbranch_execz .LBB347_73
; %bb.68:                               ;   in Loop: Header=BB347_15 Depth=1
	v_bfe_u32 v1, v28, 16, 7
	v_mov_b32_e32 v80, 0x7f800001
	s_mov_b32 s22, exec_lo
	v_cmpx_ne_u32_e32 0x7f, v1
	s_cbranch_execz .LBB347_72
; %bb.69:                               ;   in Loop: Header=BB347_15 Depth=1
	v_and_b32_sdwa v13, v28, v51 dst_sel:DWORD dst_unused:UNUSED_PAD src0_sel:WORD_1 src1_sel:DWORD
	v_lshrrev_b32_e32 v0, 3, v1
	s_mov_b32 s23, exec_lo
	v_cmpx_gt_u32_e32 8, v1
; %bb.70:                               ;   in Loop: Header=BB347_15 Depth=1
	v_ffbh_u32_e32 v0, v13
	v_min_u32_e32 v0, 32, v0
	v_subrev_nc_u32_e32 v1, 28, v0
	v_sub_nc_u32_e32 v0, 29, v0
	v_lshlrev_b64 v[6:7], v1, v[13:14]
	v_and_b32_e32 v13, 7, v6
; %bb.71:                               ;   in Loop: Header=BB347_15 Depth=1
	s_or_b32 exec_lo, exec_lo, s23
	v_lshlrev_b32_sdwa v1, v52, v28 dst_sel:DWORD dst_unused:UNUSED_PAD src0_sel:DWORD src1_sel:WORD_1
	v_lshlrev_b32_e32 v6, 20, v13
	v_lshl_add_u32 v0, v0, 23, 0x3c000000
	v_and_b32_e32 v1, 0x80000000, v1
	v_or3_b32 v80, v6, v1, v0
.LBB347_72:                             ;   in Loop: Header=BB347_15 Depth=1
	s_or_b32 exec_lo, exec_lo, s22
.LBB347_73:                             ;   in Loop: Header=BB347_15 Depth=1
	s_or_b32 exec_lo, exec_lo, s21
.LBB347_74:                             ;   in Loop: Header=BB347_15 Depth=1
	s_or_b32 exec_lo, exec_lo, s20
	s_mov_b32 s20, exec_lo
	v_cmpx_lt_u64_e64 s[12:13], v[27:28]
	s_cbranch_execz .LBB347_82
; %bb.75:                               ;   in Loop: Header=BB347_15 Depth=1
	v_cmp_ne_u32_sdwa s5, v28, v22 src0_sel:BYTE_3 src1_sel:DWORD
	v_bfrev_b32_e32 v71, 1
	s_and_saveexec_b32 s21, s5
	s_cbranch_execz .LBB347_81
; %bb.76:                               ;   in Loop: Header=BB347_15 Depth=1
	v_bfe_u32 v1, v28, 24, 7
	v_mov_b32_e32 v71, 0x7f800001
	s_mov_b32 s22, exec_lo
	v_cmpx_ne_u32_e32 0x7f, v1
	s_cbranch_execz .LBB347_80
; %bb.77:                               ;   in Loop: Header=BB347_15 Depth=1
	v_and_b32_sdwa v13, v28, v51 dst_sel:DWORD dst_unused:UNUSED_PAD src0_sel:BYTE_3 src1_sel:DWORD
	v_lshrrev_b32_e32 v0, 3, v1
	s_mov_b32 s23, exec_lo
	v_cmpx_gt_u32_e32 8, v1
; %bb.78:                               ;   in Loop: Header=BB347_15 Depth=1
	v_ffbh_u32_e32 v0, v13
	v_min_u32_e32 v0, 32, v0
	v_subrev_nc_u32_e32 v1, 28, v0
	v_sub_nc_u32_e32 v0, 29, v0
	v_lshlrev_b64 v[6:7], v1, v[13:14]
	v_and_b32_e32 v13, 7, v6
; %bb.79:                               ;   in Loop: Header=BB347_15 Depth=1
	s_or_b32 exec_lo, exec_lo, s23
	v_lshlrev_b32_sdwa v1, v52, v28 dst_sel:DWORD dst_unused:UNUSED_PAD src0_sel:DWORD src1_sel:BYTE_3
	v_lshlrev_b32_e32 v6, 20, v13
	v_lshl_add_u32 v0, v0, 23, 0x3c000000
	v_and_b32_e32 v1, 0x80000000, v1
	v_or3_b32 v71, v6, v1, v0
.LBB347_80:                             ;   in Loop: Header=BB347_15 Depth=1
	s_or_b32 exec_lo, exec_lo, s22
.LBB347_81:                             ;   in Loop: Header=BB347_15 Depth=1
	s_or_b32 exec_lo, exec_lo, s21
.LBB347_82:                             ;   in Loop: Header=BB347_15 Depth=1
	s_or_b32 exec_lo, exec_lo, s20
	flat_load_dwordx2 v[27:28], v[24:25] offset:8
	v_mov_b32_e32 v82, 0
	v_mov_b32_e32 v81, 0
	s_waitcnt vmcnt(0) lgkmcnt(0)
	v_cmp_ne_u16_sdwa s5, v27, v14 src0_sel:BYTE_0 src1_sel:DWORD
	s_and_saveexec_b32 s20, s5
	s_cbranch_execz .LBB347_90
; %bb.83:                               ;   in Loop: Header=BB347_15 Depth=1
	v_cmp_ne_u16_sdwa s5, v27, v22 src0_sel:BYTE_0 src1_sel:DWORD
	v_bfrev_b32_e32 v81, 1
	s_and_saveexec_b32 s21, s5
	s_cbranch_execz .LBB347_89
; %bb.84:                               ;   in Loop: Header=BB347_15 Depth=1
	v_and_b32_e32 v1, 0x7f, v27
	v_mov_b32_e32 v81, 0x7f800001
	s_mov_b32 s22, exec_lo
	v_cmpx_ne_u32_e32 0x7f, v1
	s_cbranch_execz .LBB347_88
; %bb.85:                               ;   in Loop: Header=BB347_15 Depth=1
	v_mov_b32_e32 v30, v28
	v_lshrrev_b32_e32 v0, 3, v1
	v_mov_b32_e32 v29, v27
	s_mov_b32 s23, exec_lo
	v_cmpx_gt_u32_e32 8, v1
; %bb.86:                               ;   in Loop: Header=BB347_15 Depth=1
	v_and_b32_e32 v0, 7, v27
	v_ffbh_u32_e32 v0, v0
	v_min_u32_e32 v0, 32, v0
	v_subrev_nc_u32_e32 v1, 28, v0
	v_sub_nc_u32_e32 v0, 29, v0
	v_lshlrev_b64 v[29:30], v1, v[27:28]
; %bb.87:                               ;   in Loop: Header=BB347_15 Depth=1
	s_or_b32 exec_lo, exec_lo, s23
	v_lshlrev_b32_e32 v1, 20, v29
	v_lshlrev_b32_e32 v6, 24, v27
	v_lshl_add_u32 v0, v0, 23, 0x3c000000
	v_and_b32_e32 v1, 0x700000, v1
	v_and_b32_e32 v6, 0x80000000, v6
	v_or3_b32 v81, v1, v6, v0
.LBB347_88:                             ;   in Loop: Header=BB347_15 Depth=1
	s_or_b32 exec_lo, exec_lo, s22
.LBB347_89:                             ;   in Loop: Header=BB347_15 Depth=1
	s_or_b32 exec_lo, exec_lo, s21
.LBB347_90:                             ;   in Loop: Header=BB347_15 Depth=1
	s_or_b32 exec_lo, exec_lo, s20
	v_cmp_ne_u16_sdwa s5, v27, v14 src0_sel:BYTE_1 src1_sel:DWORD
	s_and_saveexec_b32 s20, s5
	s_cbranch_execz .LBB347_98
; %bb.91:                               ;   in Loop: Header=BB347_15 Depth=1
	v_cmp_ne_u16_sdwa s5, v27, v22 src0_sel:BYTE_1 src1_sel:DWORD
	v_bfrev_b32_e32 v82, 1
	s_and_saveexec_b32 s21, s5
	s_cbranch_execz .LBB347_97
; %bb.92:                               ;   in Loop: Header=BB347_15 Depth=1
	v_and_b32_sdwa v0, v50, v27 dst_sel:DWORD dst_unused:UNUSED_PAD src0_sel:DWORD src1_sel:BYTE_1
	v_mov_b32_e32 v82, 0x7f800001
	s_mov_b32 s22, exec_lo
	v_and_b32_e32 v1, 0x7f, v0
	v_cmpx_ne_u32_e32 0x7f, v1
	s_cbranch_execz .LBB347_96
; %bb.93:                               ;   in Loop: Header=BB347_15 Depth=1
	v_and_b32_e32 v13, 7, v0
	v_lshrrev_b32_e32 v0, 3, v1
	s_mov_b32 s23, exec_lo
	v_cmpx_gt_u32_e32 8, v1
; %bb.94:                               ;   in Loop: Header=BB347_15 Depth=1
	v_ffbh_u32_e32 v0, v13
	v_min_u32_e32 v0, 32, v0
	v_subrev_nc_u32_e32 v1, 28, v0
	v_sub_nc_u32_e32 v0, 29, v0
	v_lshlrev_b64 v[6:7], v1, v[13:14]
	v_and_b32_e32 v13, 7, v6
; %bb.95:                               ;   in Loop: Header=BB347_15 Depth=1
	s_or_b32 exec_lo, exec_lo, s23
	v_lshlrev_b32_e32 v1, 16, v27
	v_lshlrev_b32_e32 v6, 20, v13
	v_lshl_add_u32 v0, v0, 23, 0x3c000000
	v_and_b32_e32 v1, 0x80000000, v1
	v_or3_b32 v82, v6, v1, v0
.LBB347_96:                             ;   in Loop: Header=BB347_15 Depth=1
	s_or_b32 exec_lo, exec_lo, s22
.LBB347_97:                             ;   in Loop: Header=BB347_15 Depth=1
	s_or_b32 exec_lo, exec_lo, s21
.LBB347_98:                             ;   in Loop: Header=BB347_15 Depth=1
	s_or_b32 exec_lo, exec_lo, s20
	v_and_b32_sdwa v0, v27, v18 dst_sel:DWORD dst_unused:UNUSED_PAD src0_sel:WORD_1 src1_sel:DWORD
	v_mov_b32_e32 v84, 0
	v_mov_b32_e32 v83, 0
	s_mov_b32 s20, exec_lo
	v_cmpx_ne_u16_e32 0, v0
	s_cbranch_execz .LBB347_106
; %bb.99:                               ;   in Loop: Header=BB347_15 Depth=1
	v_bfrev_b32_e32 v83, 1
	s_mov_b32 s21, exec_lo
	v_cmpx_ne_u16_e32 0x80, v0
	s_cbranch_execz .LBB347_105
; %bb.100:                              ;   in Loop: Header=BB347_15 Depth=1
	v_bfe_u32 v1, v27, 16, 7
	v_mov_b32_e32 v83, 0x7f800001
	s_mov_b32 s22, exec_lo
	v_cmpx_ne_u32_e32 0x7f, v1
	s_cbranch_execz .LBB347_104
; %bb.101:                              ;   in Loop: Header=BB347_15 Depth=1
	v_and_b32_sdwa v13, v27, v51 dst_sel:DWORD dst_unused:UNUSED_PAD src0_sel:WORD_1 src1_sel:DWORD
	v_lshrrev_b32_e32 v0, 3, v1
	s_mov_b32 s23, exec_lo
	v_cmpx_gt_u32_e32 8, v1
; %bb.102:                              ;   in Loop: Header=BB347_15 Depth=1
	v_ffbh_u32_e32 v0, v13
	v_min_u32_e32 v0, 32, v0
	v_subrev_nc_u32_e32 v1, 28, v0
	v_sub_nc_u32_e32 v0, 29, v0
	v_lshlrev_b64 v[6:7], v1, v[13:14]
	v_and_b32_e32 v13, 7, v6
; %bb.103:                              ;   in Loop: Header=BB347_15 Depth=1
	s_or_b32 exec_lo, exec_lo, s23
	v_lshlrev_b32_sdwa v1, v52, v27 dst_sel:DWORD dst_unused:UNUSED_PAD src0_sel:DWORD src1_sel:WORD_1
	v_lshlrev_b32_e32 v6, 20, v13
	v_lshl_add_u32 v0, v0, 23, 0x3c000000
	v_and_b32_e32 v1, 0x80000000, v1
	v_or3_b32 v83, v6, v1, v0
.LBB347_104:                            ;   in Loop: Header=BB347_15 Depth=1
	s_or_b32 exec_lo, exec_lo, s22
.LBB347_105:                            ;   in Loop: Header=BB347_15 Depth=1
	s_or_b32 exec_lo, exec_lo, s21
.LBB347_106:                            ;   in Loop: Header=BB347_15 Depth=1
	s_or_b32 exec_lo, exec_lo, s20
	s_mov_b32 s20, exec_lo
	v_cmpx_lt_u32_e32 0xffffff, v27
	s_cbranch_execz .LBB347_114
; %bb.107:                              ;   in Loop: Header=BB347_15 Depth=1
	v_cmp_ne_u32_sdwa s5, v27, v22 src0_sel:BYTE_3 src1_sel:DWORD
	v_bfrev_b32_e32 v84, 1
	s_and_saveexec_b32 s21, s5
	s_cbranch_execz .LBB347_113
; %bb.108:                              ;   in Loop: Header=BB347_15 Depth=1
	v_bfe_u32 v1, v27, 24, 7
	v_mov_b32_e32 v84, 0x7f800001
	s_mov_b32 s22, exec_lo
	v_cmpx_ne_u32_e32 0x7f, v1
	s_cbranch_execz .LBB347_112
; %bb.109:                              ;   in Loop: Header=BB347_15 Depth=1
	v_and_b32_sdwa v13, v27, v51 dst_sel:DWORD dst_unused:UNUSED_PAD src0_sel:BYTE_3 src1_sel:DWORD
	v_lshrrev_b32_e32 v0, 3, v1
	s_mov_b32 s23, exec_lo
	v_cmpx_gt_u32_e32 8, v1
; %bb.110:                              ;   in Loop: Header=BB347_15 Depth=1
	v_ffbh_u32_e32 v0, v13
	v_min_u32_e32 v0, 32, v0
	v_subrev_nc_u32_e32 v1, 28, v0
	v_sub_nc_u32_e32 v0, 29, v0
	v_lshlrev_b64 v[6:7], v1, v[13:14]
	v_and_b32_e32 v13, 7, v6
; %bb.111:                              ;   in Loop: Header=BB347_15 Depth=1
	s_or_b32 exec_lo, exec_lo, s23
	v_lshlrev_b32_sdwa v1, v52, v27 dst_sel:DWORD dst_unused:UNUSED_PAD src0_sel:DWORD src1_sel:BYTE_3
	v_lshlrev_b32_e32 v6, 20, v13
	v_lshl_add_u32 v0, v0, 23, 0x3c000000
	v_and_b32_e32 v1, 0x80000000, v1
	v_or3_b32 v84, v6, v1, v0
.LBB347_112:                            ;   in Loop: Header=BB347_15 Depth=1
	s_or_b32 exec_lo, exec_lo, s22
.LBB347_113:                            ;   in Loop: Header=BB347_15 Depth=1
	s_or_b32 exec_lo, exec_lo, s21
.LBB347_114:                            ;   in Loop: Header=BB347_15 Depth=1
	s_or_b32 exec_lo, exec_lo, s20
	v_mov_b32_e32 v13, v28
	v_cmp_ne_u16_sdwa s5, v28, v14 src0_sel:BYTE_0 src1_sel:DWORD
	v_mov_b32_e32 v86, 0
	v_mov_b32_e32 v85, 0
	s_and_saveexec_b32 s20, s5
	s_cbranch_execz .LBB347_122
; %bb.115:                              ;   in Loop: Header=BB347_15 Depth=1
	v_cmp_ne_u16_sdwa s5, v28, v22 src0_sel:BYTE_0 src1_sel:DWORD
	v_bfrev_b32_e32 v85, 1
	s_and_saveexec_b32 s21, s5
	s_cbranch_execz .LBB347_121
; %bb.116:                              ;   in Loop: Header=BB347_15 Depth=1
	v_and_b32_e32 v1, 0x7f, v28
	v_mov_b32_e32 v85, 0x7f800001
	s_mov_b32 s22, exec_lo
	v_cmpx_ne_u32_e32 0x7f, v1
	s_cbranch_execz .LBB347_120
; %bb.117:                              ;   in Loop: Header=BB347_15 Depth=1
	v_mov_b32_e32 v30, v14
	v_lshrrev_b32_e32 v0, 3, v1
	v_mov_b32_e32 v29, v13
	s_mov_b32 s23, exec_lo
	v_cmpx_gt_u32_e32 8, v1
; %bb.118:                              ;   in Loop: Header=BB347_15 Depth=1
	v_and_b32_e32 v0, 7, v28
	v_ffbh_u32_e32 v0, v0
	v_min_u32_e32 v0, 32, v0
	v_subrev_nc_u32_e32 v1, 28, v0
	v_sub_nc_u32_e32 v0, 29, v0
	v_lshlrev_b64 v[29:30], v1, v[13:14]
; %bb.119:                              ;   in Loop: Header=BB347_15 Depth=1
	s_or_b32 exec_lo, exec_lo, s23
	v_lshlrev_b32_e32 v1, 20, v29
	v_lshlrev_b32_e32 v6, 24, v13
	v_lshl_add_u32 v0, v0, 23, 0x3c000000
	v_and_b32_e32 v1, 0x700000, v1
	v_and_b32_e32 v6, 0x80000000, v6
	v_or3_b32 v85, v1, v6, v0
.LBB347_120:                            ;   in Loop: Header=BB347_15 Depth=1
	s_or_b32 exec_lo, exec_lo, s22
.LBB347_121:                            ;   in Loop: Header=BB347_15 Depth=1
	s_or_b32 exec_lo, exec_lo, s21
.LBB347_122:                            ;   in Loop: Header=BB347_15 Depth=1
	s_or_b32 exec_lo, exec_lo, s20
	v_cmp_ne_u16_sdwa s5, v13, v14 src0_sel:BYTE_1 src1_sel:DWORD
	s_and_saveexec_b32 s20, s5
	s_cbranch_execz .LBB347_130
; %bb.123:                              ;   in Loop: Header=BB347_15 Depth=1
	v_cmp_ne_u16_sdwa s5, v13, v22 src0_sel:BYTE_1 src1_sel:DWORD
	v_bfrev_b32_e32 v86, 1
	s_and_saveexec_b32 s21, s5
	s_cbranch_execz .LBB347_129
; %bb.124:                              ;   in Loop: Header=BB347_15 Depth=1
	v_and_b32_sdwa v0, v50, v13 dst_sel:DWORD dst_unused:UNUSED_PAD src0_sel:DWORD src1_sel:BYTE_1
	v_mov_b32_e32 v86, 0x7f800001
	s_mov_b32 s22, exec_lo
	v_and_b32_e32 v1, 0x7f, v0
	v_cmpx_ne_u32_e32 0x7f, v1
	s_cbranch_execz .LBB347_128
; %bb.125:                              ;   in Loop: Header=BB347_15 Depth=1
	v_and_b32_e32 v29, 7, v0
	v_mov_b32_e32 v30, v14
	v_lshrrev_b32_e32 v0, 3, v1
	s_mov_b32 s23, exec_lo
	v_cmpx_gt_u32_e32 8, v1
; %bb.126:                              ;   in Loop: Header=BB347_15 Depth=1
	v_ffbh_u32_e32 v0, v29
	v_min_u32_e32 v0, 32, v0
	v_subrev_nc_u32_e32 v1, 28, v0
	v_sub_nc_u32_e32 v0, 29, v0
	v_lshlrev_b64 v[6:7], v1, v[29:30]
	v_and_b32_e32 v29, 7, v6
; %bb.127:                              ;   in Loop: Header=BB347_15 Depth=1
	s_or_b32 exec_lo, exec_lo, s23
	v_lshlrev_b32_e32 v1, 16, v13
	v_lshlrev_b32_e32 v6, 20, v29
	v_lshl_add_u32 v0, v0, 23, 0x3c000000
	v_and_b32_e32 v1, 0x80000000, v1
	v_or3_b32 v86, v6, v1, v0
.LBB347_128:                            ;   in Loop: Header=BB347_15 Depth=1
	s_or_b32 exec_lo, exec_lo, s22
.LBB347_129:                            ;   in Loop: Header=BB347_15 Depth=1
	s_or_b32 exec_lo, exec_lo, s21
.LBB347_130:                            ;   in Loop: Header=BB347_15 Depth=1
	s_or_b32 exec_lo, exec_lo, s20
	v_and_b32_sdwa v0, v28, v18 dst_sel:DWORD dst_unused:UNUSED_PAD src0_sel:WORD_1 src1_sel:DWORD
	v_mov_b32_e32 v87, 0
	v_mov_b32_e32 v96, 0
	s_mov_b32 s20, exec_lo
	v_cmpx_ne_u16_e32 0, v0
	s_cbranch_execz .LBB347_138
; %bb.131:                              ;   in Loop: Header=BB347_15 Depth=1
	v_bfrev_b32_e32 v96, 1
	s_mov_b32 s21, exec_lo
	v_cmpx_ne_u16_e32 0x80, v0
	s_cbranch_execz .LBB347_137
; %bb.132:                              ;   in Loop: Header=BB347_15 Depth=1
	v_bfe_u32 v1, v28, 16, 7
	v_mov_b32_e32 v96, 0x7f800001
	s_mov_b32 s22, exec_lo
	v_cmpx_ne_u32_e32 0x7f, v1
	s_cbranch_execz .LBB347_136
; %bb.133:                              ;   in Loop: Header=BB347_15 Depth=1
	v_and_b32_sdwa v13, v28, v51 dst_sel:DWORD dst_unused:UNUSED_PAD src0_sel:WORD_1 src1_sel:DWORD
	v_lshrrev_b32_e32 v0, 3, v1
	s_mov_b32 s23, exec_lo
	v_cmpx_gt_u32_e32 8, v1
; %bb.134:                              ;   in Loop: Header=BB347_15 Depth=1
	v_ffbh_u32_e32 v0, v13
	v_min_u32_e32 v0, 32, v0
	v_subrev_nc_u32_e32 v1, 28, v0
	v_sub_nc_u32_e32 v0, 29, v0
	v_lshlrev_b64 v[6:7], v1, v[13:14]
	v_and_b32_e32 v13, 7, v6
; %bb.135:                              ;   in Loop: Header=BB347_15 Depth=1
	s_or_b32 exec_lo, exec_lo, s23
	v_lshlrev_b32_sdwa v1, v52, v28 dst_sel:DWORD dst_unused:UNUSED_PAD src0_sel:DWORD src1_sel:WORD_1
	v_lshlrev_b32_e32 v6, 20, v13
	v_lshl_add_u32 v0, v0, 23, 0x3c000000
	v_and_b32_e32 v1, 0x80000000, v1
	v_or3_b32 v96, v6, v1, v0
.LBB347_136:                            ;   in Loop: Header=BB347_15 Depth=1
	s_or_b32 exec_lo, exec_lo, s22
.LBB347_137:                            ;   in Loop: Header=BB347_15 Depth=1
	s_or_b32 exec_lo, exec_lo, s21
.LBB347_138:                            ;   in Loop: Header=BB347_15 Depth=1
	s_or_b32 exec_lo, exec_lo, s20
	s_mov_b32 s20, exec_lo
	v_cmpx_lt_u64_e64 s[12:13], v[27:28]
	s_cbranch_execz .LBB347_146
; %bb.139:                              ;   in Loop: Header=BB347_15 Depth=1
	v_cmp_ne_u32_sdwa s5, v28, v22 src0_sel:BYTE_3 src1_sel:DWORD
	v_bfrev_b32_e32 v87, 1
	s_and_saveexec_b32 s21, s5
	s_cbranch_execz .LBB347_145
; %bb.140:                              ;   in Loop: Header=BB347_15 Depth=1
	v_bfe_u32 v1, v28, 24, 7
	v_mov_b32_e32 v87, 0x7f800001
	s_mov_b32 s22, exec_lo
	v_cmpx_ne_u32_e32 0x7f, v1
	s_cbranch_execz .LBB347_144
; %bb.141:                              ;   in Loop: Header=BB347_15 Depth=1
	v_and_b32_sdwa v13, v28, v51 dst_sel:DWORD dst_unused:UNUSED_PAD src0_sel:BYTE_3 src1_sel:DWORD
	v_lshrrev_b32_e32 v0, 3, v1
	s_mov_b32 s23, exec_lo
	v_cmpx_gt_u32_e32 8, v1
; %bb.142:                              ;   in Loop: Header=BB347_15 Depth=1
	v_ffbh_u32_e32 v0, v13
	v_min_u32_e32 v0, 32, v0
	v_subrev_nc_u32_e32 v1, 28, v0
	v_sub_nc_u32_e32 v0, 29, v0
	v_lshlrev_b64 v[6:7], v1, v[13:14]
	v_and_b32_e32 v13, 7, v6
; %bb.143:                              ;   in Loop: Header=BB347_15 Depth=1
	s_or_b32 exec_lo, exec_lo, s23
	v_lshlrev_b32_sdwa v1, v52, v28 dst_sel:DWORD dst_unused:UNUSED_PAD src0_sel:DWORD src1_sel:BYTE_3
	v_lshlrev_b32_e32 v6, 20, v13
	v_lshl_add_u32 v0, v0, 23, 0x3c000000
	v_and_b32_e32 v1, 0x80000000, v1
	v_or3_b32 v87, v6, v1, v0
.LBB347_144:                            ;   in Loop: Header=BB347_15 Depth=1
	s_or_b32 exec_lo, exec_lo, s22
.LBB347_145:                            ;   in Loop: Header=BB347_15 Depth=1
	s_or_b32 exec_lo, exec_lo, s21
.LBB347_146:                            ;   in Loop: Header=BB347_15 Depth=1
	s_or_b32 exec_lo, exec_lo, s20
	flat_load_dwordx2 v[27:28], v[24:25] offset:512
	v_mov_b32_e32 v98, 0
	v_mov_b32_e32 v97, 0
	s_waitcnt vmcnt(0) lgkmcnt(0)
	v_cmp_ne_u16_sdwa s5, v27, v14 src0_sel:BYTE_0 src1_sel:DWORD
	s_and_saveexec_b32 s20, s5
	s_cbranch_execz .LBB347_154
; %bb.147:                              ;   in Loop: Header=BB347_15 Depth=1
	v_cmp_ne_u16_sdwa s5, v27, v22 src0_sel:BYTE_0 src1_sel:DWORD
	v_bfrev_b32_e32 v97, 1
	s_and_saveexec_b32 s21, s5
	s_cbranch_execz .LBB347_153
; %bb.148:                              ;   in Loop: Header=BB347_15 Depth=1
	v_and_b32_e32 v1, 0x7f, v27
	v_mov_b32_e32 v97, 0x7f800001
	s_mov_b32 s22, exec_lo
	v_cmpx_ne_u32_e32 0x7f, v1
	s_cbranch_execz .LBB347_152
; %bb.149:                              ;   in Loop: Header=BB347_15 Depth=1
	v_mov_b32_e32 v30, v28
	v_lshrrev_b32_e32 v0, 3, v1
	v_mov_b32_e32 v29, v27
	s_mov_b32 s23, exec_lo
	v_cmpx_gt_u32_e32 8, v1
; %bb.150:                              ;   in Loop: Header=BB347_15 Depth=1
	v_and_b32_e32 v0, 7, v27
	v_ffbh_u32_e32 v0, v0
	v_min_u32_e32 v0, 32, v0
	v_subrev_nc_u32_e32 v1, 28, v0
	v_sub_nc_u32_e32 v0, 29, v0
	v_lshlrev_b64 v[29:30], v1, v[27:28]
; %bb.151:                              ;   in Loop: Header=BB347_15 Depth=1
	s_or_b32 exec_lo, exec_lo, s23
	v_lshlrev_b32_e32 v1, 20, v29
	v_lshlrev_b32_e32 v6, 24, v27
	v_lshl_add_u32 v0, v0, 23, 0x3c000000
	v_and_b32_e32 v1, 0x700000, v1
	v_and_b32_e32 v6, 0x80000000, v6
	v_or3_b32 v97, v1, v6, v0
.LBB347_152:                            ;   in Loop: Header=BB347_15 Depth=1
	s_or_b32 exec_lo, exec_lo, s22
.LBB347_153:                            ;   in Loop: Header=BB347_15 Depth=1
	s_or_b32 exec_lo, exec_lo, s21
.LBB347_154:                            ;   in Loop: Header=BB347_15 Depth=1
	s_or_b32 exec_lo, exec_lo, s20
	v_cmp_ne_u16_sdwa s5, v27, v14 src0_sel:BYTE_1 src1_sel:DWORD
	s_and_saveexec_b32 s20, s5
	s_cbranch_execz .LBB347_162
; %bb.155:                              ;   in Loop: Header=BB347_15 Depth=1
	v_cmp_ne_u16_sdwa s5, v27, v22 src0_sel:BYTE_1 src1_sel:DWORD
	v_bfrev_b32_e32 v98, 1
	s_and_saveexec_b32 s21, s5
	s_cbranch_execz .LBB347_161
; %bb.156:                              ;   in Loop: Header=BB347_15 Depth=1
	v_and_b32_sdwa v0, v50, v27 dst_sel:DWORD dst_unused:UNUSED_PAD src0_sel:DWORD src1_sel:BYTE_1
	v_mov_b32_e32 v98, 0x7f800001
	s_mov_b32 s22, exec_lo
	v_and_b32_e32 v1, 0x7f, v0
	v_cmpx_ne_u32_e32 0x7f, v1
	s_cbranch_execz .LBB347_160
; %bb.157:                              ;   in Loop: Header=BB347_15 Depth=1
	v_and_b32_e32 v13, 7, v0
	v_lshrrev_b32_e32 v0, 3, v1
	s_mov_b32 s23, exec_lo
	v_cmpx_gt_u32_e32 8, v1
; %bb.158:                              ;   in Loop: Header=BB347_15 Depth=1
	v_ffbh_u32_e32 v0, v13
	v_min_u32_e32 v0, 32, v0
	v_subrev_nc_u32_e32 v1, 28, v0
	v_sub_nc_u32_e32 v0, 29, v0
	v_lshlrev_b64 v[6:7], v1, v[13:14]
	v_and_b32_e32 v13, 7, v6
; %bb.159:                              ;   in Loop: Header=BB347_15 Depth=1
	s_or_b32 exec_lo, exec_lo, s23
	v_lshlrev_b32_e32 v1, 16, v27
	v_lshlrev_b32_e32 v6, 20, v13
	v_lshl_add_u32 v0, v0, 23, 0x3c000000
	v_and_b32_e32 v1, 0x80000000, v1
	v_or3_b32 v98, v6, v1, v0
.LBB347_160:                            ;   in Loop: Header=BB347_15 Depth=1
	s_or_b32 exec_lo, exec_lo, s22
.LBB347_161:                            ;   in Loop: Header=BB347_15 Depth=1
	s_or_b32 exec_lo, exec_lo, s21
.LBB347_162:                            ;   in Loop: Header=BB347_15 Depth=1
	s_or_b32 exec_lo, exec_lo, s20
	v_and_b32_sdwa v0, v27, v18 dst_sel:DWORD dst_unused:UNUSED_PAD src0_sel:WORD_1 src1_sel:DWORD
	v_mov_b32_e32 v100, 0
	v_mov_b32_e32 v99, 0
	s_mov_b32 s20, exec_lo
	v_cmpx_ne_u16_e32 0, v0
	s_cbranch_execz .LBB347_170
; %bb.163:                              ;   in Loop: Header=BB347_15 Depth=1
	v_bfrev_b32_e32 v99, 1
	s_mov_b32 s21, exec_lo
	v_cmpx_ne_u16_e32 0x80, v0
	s_cbranch_execz .LBB347_169
; %bb.164:                              ;   in Loop: Header=BB347_15 Depth=1
	v_bfe_u32 v1, v27, 16, 7
	v_mov_b32_e32 v99, 0x7f800001
	s_mov_b32 s22, exec_lo
	v_cmpx_ne_u32_e32 0x7f, v1
	s_cbranch_execz .LBB347_168
; %bb.165:                              ;   in Loop: Header=BB347_15 Depth=1
	v_and_b32_sdwa v13, v27, v51 dst_sel:DWORD dst_unused:UNUSED_PAD src0_sel:WORD_1 src1_sel:DWORD
	v_lshrrev_b32_e32 v0, 3, v1
	s_mov_b32 s23, exec_lo
	v_cmpx_gt_u32_e32 8, v1
; %bb.166:                              ;   in Loop: Header=BB347_15 Depth=1
	v_ffbh_u32_e32 v0, v13
	v_min_u32_e32 v0, 32, v0
	v_subrev_nc_u32_e32 v1, 28, v0
	v_sub_nc_u32_e32 v0, 29, v0
	v_lshlrev_b64 v[6:7], v1, v[13:14]
	v_and_b32_e32 v13, 7, v6
; %bb.167:                              ;   in Loop: Header=BB347_15 Depth=1
	s_or_b32 exec_lo, exec_lo, s23
	v_lshlrev_b32_sdwa v1, v52, v27 dst_sel:DWORD dst_unused:UNUSED_PAD src0_sel:DWORD src1_sel:WORD_1
	v_lshlrev_b32_e32 v6, 20, v13
	v_lshl_add_u32 v0, v0, 23, 0x3c000000
	v_and_b32_e32 v1, 0x80000000, v1
	v_or3_b32 v99, v6, v1, v0
.LBB347_168:                            ;   in Loop: Header=BB347_15 Depth=1
	s_or_b32 exec_lo, exec_lo, s22
.LBB347_169:                            ;   in Loop: Header=BB347_15 Depth=1
	s_or_b32 exec_lo, exec_lo, s21
.LBB347_170:                            ;   in Loop: Header=BB347_15 Depth=1
	s_or_b32 exec_lo, exec_lo, s20
	s_mov_b32 s20, exec_lo
	v_cmpx_lt_u32_e32 0xffffff, v27
	s_cbranch_execz .LBB347_178
; %bb.171:                              ;   in Loop: Header=BB347_15 Depth=1
	v_cmp_ne_u32_sdwa s5, v27, v22 src0_sel:BYTE_3 src1_sel:DWORD
	v_bfrev_b32_e32 v100, 1
	s_and_saveexec_b32 s21, s5
	s_cbranch_execz .LBB347_177
; %bb.172:                              ;   in Loop: Header=BB347_15 Depth=1
	v_bfe_u32 v1, v27, 24, 7
	v_mov_b32_e32 v100, 0x7f800001
	s_mov_b32 s22, exec_lo
	v_cmpx_ne_u32_e32 0x7f, v1
	s_cbranch_execz .LBB347_176
; %bb.173:                              ;   in Loop: Header=BB347_15 Depth=1
	v_and_b32_sdwa v13, v27, v51 dst_sel:DWORD dst_unused:UNUSED_PAD src0_sel:BYTE_3 src1_sel:DWORD
	v_lshrrev_b32_e32 v0, 3, v1
	s_mov_b32 s23, exec_lo
	v_cmpx_gt_u32_e32 8, v1
; %bb.174:                              ;   in Loop: Header=BB347_15 Depth=1
	v_ffbh_u32_e32 v0, v13
	v_min_u32_e32 v0, 32, v0
	v_subrev_nc_u32_e32 v1, 28, v0
	v_sub_nc_u32_e32 v0, 29, v0
	v_lshlrev_b64 v[6:7], v1, v[13:14]
	v_and_b32_e32 v13, 7, v6
; %bb.175:                              ;   in Loop: Header=BB347_15 Depth=1
	s_or_b32 exec_lo, exec_lo, s23
	v_lshlrev_b32_sdwa v1, v52, v27 dst_sel:DWORD dst_unused:UNUSED_PAD src0_sel:DWORD src1_sel:BYTE_3
	v_lshlrev_b32_e32 v6, 20, v13
	v_lshl_add_u32 v0, v0, 23, 0x3c000000
	v_and_b32_e32 v1, 0x80000000, v1
	v_or3_b32 v100, v6, v1, v0
.LBB347_176:                            ;   in Loop: Header=BB347_15 Depth=1
	s_or_b32 exec_lo, exec_lo, s22
.LBB347_177:                            ;   in Loop: Header=BB347_15 Depth=1
	s_or_b32 exec_lo, exec_lo, s21
.LBB347_178:                            ;   in Loop: Header=BB347_15 Depth=1
	s_or_b32 exec_lo, exec_lo, s20
	v_mov_b32_e32 v13, v28
	v_cmp_ne_u16_sdwa s5, v28, v14 src0_sel:BYTE_0 src1_sel:DWORD
	v_mov_b32_e32 v102, 0
	v_mov_b32_e32 v101, 0
	s_and_saveexec_b32 s20, s5
	s_cbranch_execz .LBB347_186
; %bb.179:                              ;   in Loop: Header=BB347_15 Depth=1
	v_cmp_ne_u16_sdwa s5, v28, v22 src0_sel:BYTE_0 src1_sel:DWORD
	v_bfrev_b32_e32 v101, 1
	s_and_saveexec_b32 s21, s5
	s_cbranch_execz .LBB347_185
; %bb.180:                              ;   in Loop: Header=BB347_15 Depth=1
	v_and_b32_e32 v1, 0x7f, v28
	v_mov_b32_e32 v101, 0x7f800001
	s_mov_b32 s22, exec_lo
	v_cmpx_ne_u32_e32 0x7f, v1
	s_cbranch_execz .LBB347_184
; %bb.181:                              ;   in Loop: Header=BB347_15 Depth=1
	v_mov_b32_e32 v30, v14
	v_lshrrev_b32_e32 v0, 3, v1
	v_mov_b32_e32 v29, v13
	s_mov_b32 s23, exec_lo
	v_cmpx_gt_u32_e32 8, v1
; %bb.182:                              ;   in Loop: Header=BB347_15 Depth=1
	v_and_b32_e32 v0, 7, v28
	v_ffbh_u32_e32 v0, v0
	v_min_u32_e32 v0, 32, v0
	v_subrev_nc_u32_e32 v1, 28, v0
	v_sub_nc_u32_e32 v0, 29, v0
	v_lshlrev_b64 v[29:30], v1, v[13:14]
; %bb.183:                              ;   in Loop: Header=BB347_15 Depth=1
	s_or_b32 exec_lo, exec_lo, s23
	v_lshlrev_b32_e32 v1, 20, v29
	v_lshlrev_b32_e32 v6, 24, v13
	v_lshl_add_u32 v0, v0, 23, 0x3c000000
	v_and_b32_e32 v1, 0x700000, v1
	v_and_b32_e32 v6, 0x80000000, v6
	v_or3_b32 v101, v1, v6, v0
.LBB347_184:                            ;   in Loop: Header=BB347_15 Depth=1
	s_or_b32 exec_lo, exec_lo, s22
.LBB347_185:                            ;   in Loop: Header=BB347_15 Depth=1
	s_or_b32 exec_lo, exec_lo, s21
.LBB347_186:                            ;   in Loop: Header=BB347_15 Depth=1
	s_or_b32 exec_lo, exec_lo, s20
	v_cmp_ne_u16_sdwa s5, v13, v14 src0_sel:BYTE_1 src1_sel:DWORD
	s_and_saveexec_b32 s20, s5
	s_cbranch_execz .LBB347_194
; %bb.187:                              ;   in Loop: Header=BB347_15 Depth=1
	v_cmp_ne_u16_sdwa s5, v13, v22 src0_sel:BYTE_1 src1_sel:DWORD
	v_bfrev_b32_e32 v102, 1
	s_and_saveexec_b32 s21, s5
	s_cbranch_execz .LBB347_193
; %bb.188:                              ;   in Loop: Header=BB347_15 Depth=1
	v_and_b32_sdwa v0, v50, v13 dst_sel:DWORD dst_unused:UNUSED_PAD src0_sel:DWORD src1_sel:BYTE_1
	v_mov_b32_e32 v102, 0x7f800001
	s_mov_b32 s22, exec_lo
	v_and_b32_e32 v1, 0x7f, v0
	v_cmpx_ne_u32_e32 0x7f, v1
	s_cbranch_execz .LBB347_192
; %bb.189:                              ;   in Loop: Header=BB347_15 Depth=1
	v_and_b32_e32 v29, 7, v0
	v_mov_b32_e32 v30, v14
	v_lshrrev_b32_e32 v0, 3, v1
	s_mov_b32 s23, exec_lo
	v_cmpx_gt_u32_e32 8, v1
; %bb.190:                              ;   in Loop: Header=BB347_15 Depth=1
	v_ffbh_u32_e32 v0, v29
	v_min_u32_e32 v0, 32, v0
	v_subrev_nc_u32_e32 v1, 28, v0
	v_sub_nc_u32_e32 v0, 29, v0
	v_lshlrev_b64 v[6:7], v1, v[29:30]
	v_and_b32_e32 v29, 7, v6
; %bb.191:                              ;   in Loop: Header=BB347_15 Depth=1
	s_or_b32 exec_lo, exec_lo, s23
	v_lshlrev_b32_e32 v1, 16, v13
	v_lshlrev_b32_e32 v6, 20, v29
	v_lshl_add_u32 v0, v0, 23, 0x3c000000
	v_and_b32_e32 v1, 0x80000000, v1
	v_or3_b32 v102, v6, v1, v0
.LBB347_192:                            ;   in Loop: Header=BB347_15 Depth=1
	s_or_b32 exec_lo, exec_lo, s22
.LBB347_193:                            ;   in Loop: Header=BB347_15 Depth=1
	s_or_b32 exec_lo, exec_lo, s21
.LBB347_194:                            ;   in Loop: Header=BB347_15 Depth=1
	s_or_b32 exec_lo, exec_lo, s20
	v_and_b32_sdwa v0, v28, v18 dst_sel:DWORD dst_unused:UNUSED_PAD src0_sel:WORD_1 src1_sel:DWORD
	v_mov_b32_e32 v103, 0
	v_mov_b32_e32 v112, 0
	s_mov_b32 s20, exec_lo
	v_cmpx_ne_u16_e32 0, v0
	s_cbranch_execz .LBB347_202
; %bb.195:                              ;   in Loop: Header=BB347_15 Depth=1
	v_bfrev_b32_e32 v112, 1
	s_mov_b32 s21, exec_lo
	v_cmpx_ne_u16_e32 0x80, v0
	s_cbranch_execz .LBB347_201
; %bb.196:                              ;   in Loop: Header=BB347_15 Depth=1
	v_bfe_u32 v1, v28, 16, 7
	v_mov_b32_e32 v112, 0x7f800001
	s_mov_b32 s22, exec_lo
	v_cmpx_ne_u32_e32 0x7f, v1
	s_cbranch_execz .LBB347_200
; %bb.197:                              ;   in Loop: Header=BB347_15 Depth=1
	v_and_b32_sdwa v13, v28, v51 dst_sel:DWORD dst_unused:UNUSED_PAD src0_sel:WORD_1 src1_sel:DWORD
	v_lshrrev_b32_e32 v0, 3, v1
	s_mov_b32 s23, exec_lo
	v_cmpx_gt_u32_e32 8, v1
; %bb.198:                              ;   in Loop: Header=BB347_15 Depth=1
	v_ffbh_u32_e32 v0, v13
	v_min_u32_e32 v0, 32, v0
	v_subrev_nc_u32_e32 v1, 28, v0
	v_sub_nc_u32_e32 v0, 29, v0
	v_lshlrev_b64 v[6:7], v1, v[13:14]
	v_and_b32_e32 v13, 7, v6
; %bb.199:                              ;   in Loop: Header=BB347_15 Depth=1
	s_or_b32 exec_lo, exec_lo, s23
	v_lshlrev_b32_sdwa v1, v52, v28 dst_sel:DWORD dst_unused:UNUSED_PAD src0_sel:DWORD src1_sel:WORD_1
	v_lshlrev_b32_e32 v6, 20, v13
	v_lshl_add_u32 v0, v0, 23, 0x3c000000
	v_and_b32_e32 v1, 0x80000000, v1
	v_or3_b32 v112, v6, v1, v0
.LBB347_200:                            ;   in Loop: Header=BB347_15 Depth=1
	s_or_b32 exec_lo, exec_lo, s22
.LBB347_201:                            ;   in Loop: Header=BB347_15 Depth=1
	s_or_b32 exec_lo, exec_lo, s21
.LBB347_202:                            ;   in Loop: Header=BB347_15 Depth=1
	s_or_b32 exec_lo, exec_lo, s20
	s_mov_b32 s20, exec_lo
	v_cmpx_lt_u64_e64 s[12:13], v[27:28]
	s_cbranch_execz .LBB347_210
; %bb.203:                              ;   in Loop: Header=BB347_15 Depth=1
	v_cmp_ne_u32_sdwa s5, v28, v22 src0_sel:BYTE_3 src1_sel:DWORD
	v_bfrev_b32_e32 v103, 1
	s_and_saveexec_b32 s21, s5
	s_cbranch_execz .LBB347_209
; %bb.204:                              ;   in Loop: Header=BB347_15 Depth=1
	v_bfe_u32 v1, v28, 24, 7
	v_mov_b32_e32 v103, 0x7f800001
	s_mov_b32 s22, exec_lo
	v_cmpx_ne_u32_e32 0x7f, v1
	s_cbranch_execz .LBB347_208
; %bb.205:                              ;   in Loop: Header=BB347_15 Depth=1
	v_and_b32_sdwa v13, v28, v51 dst_sel:DWORD dst_unused:UNUSED_PAD src0_sel:BYTE_3 src1_sel:DWORD
	v_lshrrev_b32_e32 v0, 3, v1
	s_mov_b32 s23, exec_lo
	v_cmpx_gt_u32_e32 8, v1
; %bb.206:                              ;   in Loop: Header=BB347_15 Depth=1
	v_ffbh_u32_e32 v0, v13
	v_min_u32_e32 v0, 32, v0
	v_subrev_nc_u32_e32 v1, 28, v0
	v_sub_nc_u32_e32 v0, 29, v0
	v_lshlrev_b64 v[6:7], v1, v[13:14]
	v_and_b32_e32 v13, 7, v6
; %bb.207:                              ;   in Loop: Header=BB347_15 Depth=1
	s_or_b32 exec_lo, exec_lo, s23
	v_lshlrev_b32_sdwa v1, v52, v28 dst_sel:DWORD dst_unused:UNUSED_PAD src0_sel:DWORD src1_sel:BYTE_3
	v_lshlrev_b32_e32 v6, 20, v13
	v_lshl_add_u32 v0, v0, 23, 0x3c000000
	v_and_b32_e32 v1, 0x80000000, v1
	v_or3_b32 v103, v6, v1, v0
.LBB347_208:                            ;   in Loop: Header=BB347_15 Depth=1
	s_or_b32 exec_lo, exec_lo, s22
.LBB347_209:                            ;   in Loop: Header=BB347_15 Depth=1
	s_or_b32 exec_lo, exec_lo, s21
.LBB347_210:                            ;   in Loop: Header=BB347_15 Depth=1
	s_or_b32 exec_lo, exec_lo, s20
	flat_load_dwordx2 v[27:28], v[24:25] offset:520
	v_mov_b32_e32 v114, 0
	v_mov_b32_e32 v113, 0
	s_waitcnt vmcnt(0) lgkmcnt(0)
	v_cmp_ne_u16_sdwa s5, v27, v14 src0_sel:BYTE_0 src1_sel:DWORD
	s_and_saveexec_b32 s20, s5
	s_cbranch_execz .LBB347_218
; %bb.211:                              ;   in Loop: Header=BB347_15 Depth=1
	v_cmp_ne_u16_sdwa s5, v27, v22 src0_sel:BYTE_0 src1_sel:DWORD
	v_bfrev_b32_e32 v113, 1
	s_and_saveexec_b32 s21, s5
	s_cbranch_execz .LBB347_217
; %bb.212:                              ;   in Loop: Header=BB347_15 Depth=1
	v_and_b32_e32 v1, 0x7f, v27
	v_mov_b32_e32 v113, 0x7f800001
	s_mov_b32 s22, exec_lo
	v_cmpx_ne_u32_e32 0x7f, v1
	s_cbranch_execz .LBB347_216
; %bb.213:                              ;   in Loop: Header=BB347_15 Depth=1
	v_mov_b32_e32 v30, v28
	v_lshrrev_b32_e32 v0, 3, v1
	v_mov_b32_e32 v29, v27
	s_mov_b32 s23, exec_lo
	v_cmpx_gt_u32_e32 8, v1
; %bb.214:                              ;   in Loop: Header=BB347_15 Depth=1
	v_and_b32_e32 v0, 7, v27
	v_ffbh_u32_e32 v0, v0
	v_min_u32_e32 v0, 32, v0
	v_subrev_nc_u32_e32 v1, 28, v0
	v_sub_nc_u32_e32 v0, 29, v0
	v_lshlrev_b64 v[29:30], v1, v[27:28]
; %bb.215:                              ;   in Loop: Header=BB347_15 Depth=1
	s_or_b32 exec_lo, exec_lo, s23
	v_lshlrev_b32_e32 v1, 20, v29
	v_lshlrev_b32_e32 v6, 24, v27
	v_lshl_add_u32 v0, v0, 23, 0x3c000000
	v_and_b32_e32 v1, 0x700000, v1
	v_and_b32_e32 v6, 0x80000000, v6
	v_or3_b32 v113, v1, v6, v0
.LBB347_216:                            ;   in Loop: Header=BB347_15 Depth=1
	s_or_b32 exec_lo, exec_lo, s22
.LBB347_217:                            ;   in Loop: Header=BB347_15 Depth=1
	s_or_b32 exec_lo, exec_lo, s21
.LBB347_218:                            ;   in Loop: Header=BB347_15 Depth=1
	s_or_b32 exec_lo, exec_lo, s20
	v_cmp_ne_u16_sdwa s5, v27, v14 src0_sel:BYTE_1 src1_sel:DWORD
	s_and_saveexec_b32 s20, s5
	s_cbranch_execz .LBB347_226
; %bb.219:                              ;   in Loop: Header=BB347_15 Depth=1
	v_cmp_ne_u16_sdwa s5, v27, v22 src0_sel:BYTE_1 src1_sel:DWORD
	v_bfrev_b32_e32 v114, 1
	s_and_saveexec_b32 s21, s5
	s_cbranch_execz .LBB347_225
; %bb.220:                              ;   in Loop: Header=BB347_15 Depth=1
	v_and_b32_sdwa v0, v50, v27 dst_sel:DWORD dst_unused:UNUSED_PAD src0_sel:DWORD src1_sel:BYTE_1
	v_mov_b32_e32 v114, 0x7f800001
	s_mov_b32 s22, exec_lo
	v_and_b32_e32 v1, 0x7f, v0
	v_cmpx_ne_u32_e32 0x7f, v1
	s_cbranch_execz .LBB347_224
; %bb.221:                              ;   in Loop: Header=BB347_15 Depth=1
	v_and_b32_e32 v13, 7, v0
	v_lshrrev_b32_e32 v0, 3, v1
	s_mov_b32 s23, exec_lo
	v_cmpx_gt_u32_e32 8, v1
; %bb.222:                              ;   in Loop: Header=BB347_15 Depth=1
	v_ffbh_u32_e32 v0, v13
	v_min_u32_e32 v0, 32, v0
	v_subrev_nc_u32_e32 v1, 28, v0
	v_sub_nc_u32_e32 v0, 29, v0
	v_lshlrev_b64 v[6:7], v1, v[13:14]
	v_and_b32_e32 v13, 7, v6
; %bb.223:                              ;   in Loop: Header=BB347_15 Depth=1
	s_or_b32 exec_lo, exec_lo, s23
	v_lshlrev_b32_e32 v1, 16, v27
	v_lshlrev_b32_e32 v6, 20, v13
	v_lshl_add_u32 v0, v0, 23, 0x3c000000
	v_and_b32_e32 v1, 0x80000000, v1
	v_or3_b32 v114, v6, v1, v0
.LBB347_224:                            ;   in Loop: Header=BB347_15 Depth=1
	s_or_b32 exec_lo, exec_lo, s22
.LBB347_225:                            ;   in Loop: Header=BB347_15 Depth=1
	s_or_b32 exec_lo, exec_lo, s21
.LBB347_226:                            ;   in Loop: Header=BB347_15 Depth=1
	s_or_b32 exec_lo, exec_lo, s20
	v_and_b32_sdwa v0, v27, v18 dst_sel:DWORD dst_unused:UNUSED_PAD src0_sel:WORD_1 src1_sel:DWORD
	v_mov_b32_e32 v116, 0
	v_mov_b32_e32 v115, 0
	s_mov_b32 s20, exec_lo
	v_cmpx_ne_u16_e32 0, v0
	s_cbranch_execz .LBB347_234
; %bb.227:                              ;   in Loop: Header=BB347_15 Depth=1
	v_bfrev_b32_e32 v115, 1
	s_mov_b32 s21, exec_lo
	v_cmpx_ne_u16_e32 0x80, v0
	s_cbranch_execz .LBB347_233
; %bb.228:                              ;   in Loop: Header=BB347_15 Depth=1
	v_bfe_u32 v1, v27, 16, 7
	v_mov_b32_e32 v115, 0x7f800001
	s_mov_b32 s22, exec_lo
	v_cmpx_ne_u32_e32 0x7f, v1
	s_cbranch_execz .LBB347_232
; %bb.229:                              ;   in Loop: Header=BB347_15 Depth=1
	v_and_b32_sdwa v13, v27, v51 dst_sel:DWORD dst_unused:UNUSED_PAD src0_sel:WORD_1 src1_sel:DWORD
	v_lshrrev_b32_e32 v0, 3, v1
	s_mov_b32 s23, exec_lo
	v_cmpx_gt_u32_e32 8, v1
; %bb.230:                              ;   in Loop: Header=BB347_15 Depth=1
	v_ffbh_u32_e32 v0, v13
	v_min_u32_e32 v0, 32, v0
	v_subrev_nc_u32_e32 v1, 28, v0
	v_sub_nc_u32_e32 v0, 29, v0
	v_lshlrev_b64 v[6:7], v1, v[13:14]
	v_and_b32_e32 v13, 7, v6
; %bb.231:                              ;   in Loop: Header=BB347_15 Depth=1
	s_or_b32 exec_lo, exec_lo, s23
	v_lshlrev_b32_sdwa v1, v52, v27 dst_sel:DWORD dst_unused:UNUSED_PAD src0_sel:DWORD src1_sel:WORD_1
	v_lshlrev_b32_e32 v6, 20, v13
	v_lshl_add_u32 v0, v0, 23, 0x3c000000
	v_and_b32_e32 v1, 0x80000000, v1
	v_or3_b32 v115, v6, v1, v0
.LBB347_232:                            ;   in Loop: Header=BB347_15 Depth=1
	s_or_b32 exec_lo, exec_lo, s22
.LBB347_233:                            ;   in Loop: Header=BB347_15 Depth=1
	s_or_b32 exec_lo, exec_lo, s21
.LBB347_234:                            ;   in Loop: Header=BB347_15 Depth=1
	s_or_b32 exec_lo, exec_lo, s20
	s_mov_b32 s20, exec_lo
	v_cmpx_lt_u32_e32 0xffffff, v27
	s_cbranch_execz .LBB347_242
; %bb.235:                              ;   in Loop: Header=BB347_15 Depth=1
	v_cmp_ne_u32_sdwa s5, v27, v22 src0_sel:BYTE_3 src1_sel:DWORD
	v_bfrev_b32_e32 v116, 1
	s_and_saveexec_b32 s21, s5
	s_cbranch_execz .LBB347_241
; %bb.236:                              ;   in Loop: Header=BB347_15 Depth=1
	v_bfe_u32 v1, v27, 24, 7
	v_mov_b32_e32 v116, 0x7f800001
	s_mov_b32 s22, exec_lo
	v_cmpx_ne_u32_e32 0x7f, v1
	s_cbranch_execz .LBB347_240
; %bb.237:                              ;   in Loop: Header=BB347_15 Depth=1
	v_and_b32_sdwa v13, v27, v51 dst_sel:DWORD dst_unused:UNUSED_PAD src0_sel:BYTE_3 src1_sel:DWORD
	v_lshrrev_b32_e32 v0, 3, v1
	s_mov_b32 s23, exec_lo
	v_cmpx_gt_u32_e32 8, v1
; %bb.238:                              ;   in Loop: Header=BB347_15 Depth=1
	v_ffbh_u32_e32 v0, v13
	v_min_u32_e32 v0, 32, v0
	v_subrev_nc_u32_e32 v1, 28, v0
	v_sub_nc_u32_e32 v0, 29, v0
	v_lshlrev_b64 v[6:7], v1, v[13:14]
	v_and_b32_e32 v13, 7, v6
; %bb.239:                              ;   in Loop: Header=BB347_15 Depth=1
	s_or_b32 exec_lo, exec_lo, s23
	v_lshlrev_b32_sdwa v1, v52, v27 dst_sel:DWORD dst_unused:UNUSED_PAD src0_sel:DWORD src1_sel:BYTE_3
	v_lshlrev_b32_e32 v6, 20, v13
	v_lshl_add_u32 v0, v0, 23, 0x3c000000
	v_and_b32_e32 v1, 0x80000000, v1
	v_or3_b32 v116, v6, v1, v0
.LBB347_240:                            ;   in Loop: Header=BB347_15 Depth=1
	s_or_b32 exec_lo, exec_lo, s22
.LBB347_241:                            ;   in Loop: Header=BB347_15 Depth=1
	s_or_b32 exec_lo, exec_lo, s21
.LBB347_242:                            ;   in Loop: Header=BB347_15 Depth=1
	s_or_b32 exec_lo, exec_lo, s20
	v_mov_b32_e32 v13, v28
	v_cmp_ne_u16_sdwa s5, v28, v14 src0_sel:BYTE_0 src1_sel:DWORD
	v_mov_b32_e32 v118, 0
	v_mov_b32_e32 v117, 0
	s_and_saveexec_b32 s20, s5
	s_cbranch_execz .LBB347_250
; %bb.243:                              ;   in Loop: Header=BB347_15 Depth=1
	v_cmp_ne_u16_sdwa s5, v28, v22 src0_sel:BYTE_0 src1_sel:DWORD
	v_bfrev_b32_e32 v117, 1
	s_and_saveexec_b32 s21, s5
	s_cbranch_execz .LBB347_249
; %bb.244:                              ;   in Loop: Header=BB347_15 Depth=1
	v_and_b32_e32 v1, 0x7f, v28
	v_mov_b32_e32 v117, 0x7f800001
	s_mov_b32 s22, exec_lo
	v_cmpx_ne_u32_e32 0x7f, v1
	s_cbranch_execz .LBB347_248
; %bb.245:                              ;   in Loop: Header=BB347_15 Depth=1
	v_mov_b32_e32 v30, v14
	v_lshrrev_b32_e32 v0, 3, v1
	v_mov_b32_e32 v29, v13
	s_mov_b32 s23, exec_lo
	v_cmpx_gt_u32_e32 8, v1
; %bb.246:                              ;   in Loop: Header=BB347_15 Depth=1
	v_and_b32_e32 v0, 7, v28
	v_ffbh_u32_e32 v0, v0
	v_min_u32_e32 v0, 32, v0
	v_subrev_nc_u32_e32 v1, 28, v0
	v_sub_nc_u32_e32 v0, 29, v0
	v_lshlrev_b64 v[29:30], v1, v[13:14]
; %bb.247:                              ;   in Loop: Header=BB347_15 Depth=1
	s_or_b32 exec_lo, exec_lo, s23
	v_lshlrev_b32_e32 v1, 20, v29
	v_lshlrev_b32_e32 v6, 24, v13
	v_lshl_add_u32 v0, v0, 23, 0x3c000000
	v_and_b32_e32 v1, 0x700000, v1
	v_and_b32_e32 v6, 0x80000000, v6
	v_or3_b32 v117, v1, v6, v0
.LBB347_248:                            ;   in Loop: Header=BB347_15 Depth=1
	s_or_b32 exec_lo, exec_lo, s22
.LBB347_249:                            ;   in Loop: Header=BB347_15 Depth=1
	s_or_b32 exec_lo, exec_lo, s21
.LBB347_250:                            ;   in Loop: Header=BB347_15 Depth=1
	s_or_b32 exec_lo, exec_lo, s20
	v_cmp_ne_u16_sdwa s5, v13, v14 src0_sel:BYTE_1 src1_sel:DWORD
	s_and_saveexec_b32 s20, s5
	s_cbranch_execz .LBB347_258
; %bb.251:                              ;   in Loop: Header=BB347_15 Depth=1
	v_cmp_ne_u16_sdwa s5, v13, v22 src0_sel:BYTE_1 src1_sel:DWORD
	v_bfrev_b32_e32 v118, 1
	s_and_saveexec_b32 s21, s5
	s_cbranch_execz .LBB347_257
; %bb.252:                              ;   in Loop: Header=BB347_15 Depth=1
	v_and_b32_sdwa v0, v50, v13 dst_sel:DWORD dst_unused:UNUSED_PAD src0_sel:DWORD src1_sel:BYTE_1
	v_mov_b32_e32 v118, 0x7f800001
	s_mov_b32 s22, exec_lo
	v_and_b32_e32 v1, 0x7f, v0
	v_cmpx_ne_u32_e32 0x7f, v1
	s_cbranch_execz .LBB347_256
; %bb.253:                              ;   in Loop: Header=BB347_15 Depth=1
	v_and_b32_e32 v29, 7, v0
	v_mov_b32_e32 v30, v14
	v_lshrrev_b32_e32 v0, 3, v1
	s_mov_b32 s23, exec_lo
	v_cmpx_gt_u32_e32 8, v1
; %bb.254:                              ;   in Loop: Header=BB347_15 Depth=1
	v_ffbh_u32_e32 v0, v29
	v_min_u32_e32 v0, 32, v0
	v_subrev_nc_u32_e32 v1, 28, v0
	v_sub_nc_u32_e32 v0, 29, v0
	v_lshlrev_b64 v[6:7], v1, v[29:30]
	v_and_b32_e32 v29, 7, v6
; %bb.255:                              ;   in Loop: Header=BB347_15 Depth=1
	s_or_b32 exec_lo, exec_lo, s23
	v_lshlrev_b32_e32 v1, 16, v13
	v_lshlrev_b32_e32 v6, 20, v29
	v_lshl_add_u32 v0, v0, 23, 0x3c000000
	v_and_b32_e32 v1, 0x80000000, v1
	v_or3_b32 v118, v6, v1, v0
.LBB347_256:                            ;   in Loop: Header=BB347_15 Depth=1
	s_or_b32 exec_lo, exec_lo, s22
.LBB347_257:                            ;   in Loop: Header=BB347_15 Depth=1
	s_or_b32 exec_lo, exec_lo, s21
.LBB347_258:                            ;   in Loop: Header=BB347_15 Depth=1
	s_or_b32 exec_lo, exec_lo, s20
	v_and_b32_sdwa v0, v28, v18 dst_sel:DWORD dst_unused:UNUSED_PAD src0_sel:WORD_1 src1_sel:DWORD
	v_mov_b32_e32 v119, 0
	v_mov_b32_e32 v40, 0
	s_mov_b32 s20, exec_lo
	v_cmpx_ne_u16_e32 0, v0
	s_cbranch_execz .LBB347_266
; %bb.259:                              ;   in Loop: Header=BB347_15 Depth=1
	v_bfrev_b32_e32 v40, 1
	s_mov_b32 s21, exec_lo
	v_cmpx_ne_u16_e32 0x80, v0
	s_cbranch_execz .LBB347_265
; %bb.260:                              ;   in Loop: Header=BB347_15 Depth=1
	v_bfe_u32 v1, v28, 16, 7
	v_mov_b32_e32 v40, 0x7f800001
	s_mov_b32 s22, exec_lo
	v_cmpx_ne_u32_e32 0x7f, v1
	s_cbranch_execz .LBB347_264
; %bb.261:                              ;   in Loop: Header=BB347_15 Depth=1
	v_and_b32_sdwa v13, v28, v51 dst_sel:DWORD dst_unused:UNUSED_PAD src0_sel:WORD_1 src1_sel:DWORD
	v_lshrrev_b32_e32 v0, 3, v1
	s_mov_b32 s23, exec_lo
	v_cmpx_gt_u32_e32 8, v1
; %bb.262:                              ;   in Loop: Header=BB347_15 Depth=1
	v_ffbh_u32_e32 v0, v13
	v_min_u32_e32 v0, 32, v0
	v_subrev_nc_u32_e32 v1, 28, v0
	v_sub_nc_u32_e32 v0, 29, v0
	v_lshlrev_b64 v[6:7], v1, v[13:14]
	v_and_b32_e32 v13, 7, v6
; %bb.263:                              ;   in Loop: Header=BB347_15 Depth=1
	s_or_b32 exec_lo, exec_lo, s23
	v_lshlrev_b32_sdwa v1, v52, v28 dst_sel:DWORD dst_unused:UNUSED_PAD src0_sel:DWORD src1_sel:WORD_1
	v_lshlrev_b32_e32 v6, 20, v13
	v_lshl_add_u32 v0, v0, 23, 0x3c000000
	v_and_b32_e32 v1, 0x80000000, v1
	v_or3_b32 v40, v6, v1, v0
.LBB347_264:                            ;   in Loop: Header=BB347_15 Depth=1
	s_or_b32 exec_lo, exec_lo, s22
.LBB347_265:                            ;   in Loop: Header=BB347_15 Depth=1
	s_or_b32 exec_lo, exec_lo, s21
.LBB347_266:                            ;   in Loop: Header=BB347_15 Depth=1
	s_or_b32 exec_lo, exec_lo, s20
	s_mov_b32 s20, exec_lo
	v_cmpx_lt_u64_e64 s[12:13], v[27:28]
	s_cbranch_execz .LBB347_274
; %bb.267:                              ;   in Loop: Header=BB347_15 Depth=1
	v_cmp_ne_u32_sdwa s5, v28, v22 src0_sel:BYTE_3 src1_sel:DWORD
	v_bfrev_b32_e32 v119, 1
	s_and_saveexec_b32 s21, s5
	s_cbranch_execz .LBB347_273
; %bb.268:                              ;   in Loop: Header=BB347_15 Depth=1
	v_bfe_u32 v1, v28, 24, 7
	v_mov_b32_e32 v119, 0x7f800001
	s_mov_b32 s22, exec_lo
	v_cmpx_ne_u32_e32 0x7f, v1
	s_cbranch_execz .LBB347_272
; %bb.269:                              ;   in Loop: Header=BB347_15 Depth=1
	v_and_b32_sdwa v13, v28, v51 dst_sel:DWORD dst_unused:UNUSED_PAD src0_sel:BYTE_3 src1_sel:DWORD
	v_lshrrev_b32_e32 v0, 3, v1
	s_mov_b32 s23, exec_lo
	v_cmpx_gt_u32_e32 8, v1
; %bb.270:                              ;   in Loop: Header=BB347_15 Depth=1
	v_ffbh_u32_e32 v0, v13
	v_min_u32_e32 v0, 32, v0
	v_subrev_nc_u32_e32 v1, 28, v0
	v_sub_nc_u32_e32 v0, 29, v0
	v_lshlrev_b64 v[6:7], v1, v[13:14]
	v_and_b32_e32 v13, 7, v6
; %bb.271:                              ;   in Loop: Header=BB347_15 Depth=1
	s_or_b32 exec_lo, exec_lo, s23
	v_lshlrev_b32_sdwa v1, v52, v28 dst_sel:DWORD dst_unused:UNUSED_PAD src0_sel:DWORD src1_sel:BYTE_3
	v_lshlrev_b32_e32 v6, 20, v13
	v_lshl_add_u32 v0, v0, 23, 0x3c000000
	v_and_b32_e32 v1, 0x80000000, v1
	v_or3_b32 v119, v6, v1, v0
.LBB347_272:                            ;   in Loop: Header=BB347_15 Depth=1
	s_or_b32 exec_lo, exec_lo, s22
.LBB347_273:                            ;   in Loop: Header=BB347_15 Depth=1
	s_or_b32 exec_lo, exec_lo, s21
.LBB347_274:                            ;   in Loop: Header=BB347_15 Depth=1
	s_or_b32 exec_lo, exec_lo, s20
	flat_load_dwordx2 v[27:28], v[24:25] offset:1024
	v_mov_b32_e32 v42, 0
	v_mov_b32_e32 v41, 0
	s_waitcnt vmcnt(0) lgkmcnt(0)
	v_cmp_ne_u16_sdwa s5, v27, v14 src0_sel:BYTE_0 src1_sel:DWORD
	s_and_saveexec_b32 s20, s5
	s_cbranch_execz .LBB347_282
; %bb.275:                              ;   in Loop: Header=BB347_15 Depth=1
	v_cmp_ne_u16_sdwa s5, v27, v22 src0_sel:BYTE_0 src1_sel:DWORD
	v_bfrev_b32_e32 v41, 1
	s_and_saveexec_b32 s21, s5
	s_cbranch_execz .LBB347_281
; %bb.276:                              ;   in Loop: Header=BB347_15 Depth=1
	v_and_b32_e32 v1, 0x7f, v27
	v_mov_b32_e32 v41, 0x7f800001
	s_mov_b32 s22, exec_lo
	v_cmpx_ne_u32_e32 0x7f, v1
	s_cbranch_execz .LBB347_280
; %bb.277:                              ;   in Loop: Header=BB347_15 Depth=1
	v_mov_b32_e32 v30, v28
	v_lshrrev_b32_e32 v0, 3, v1
	v_mov_b32_e32 v29, v27
	s_mov_b32 s23, exec_lo
	v_cmpx_gt_u32_e32 8, v1
; %bb.278:                              ;   in Loop: Header=BB347_15 Depth=1
	v_and_b32_e32 v0, 7, v27
	v_ffbh_u32_e32 v0, v0
	v_min_u32_e32 v0, 32, v0
	v_subrev_nc_u32_e32 v1, 28, v0
	v_sub_nc_u32_e32 v0, 29, v0
	v_lshlrev_b64 v[29:30], v1, v[27:28]
; %bb.279:                              ;   in Loop: Header=BB347_15 Depth=1
	s_or_b32 exec_lo, exec_lo, s23
	v_lshlrev_b32_e32 v1, 20, v29
	v_lshlrev_b32_e32 v6, 24, v27
	v_lshl_add_u32 v0, v0, 23, 0x3c000000
	v_and_b32_e32 v1, 0x700000, v1
	v_and_b32_e32 v6, 0x80000000, v6
	v_or3_b32 v41, v1, v6, v0
.LBB347_280:                            ;   in Loop: Header=BB347_15 Depth=1
	s_or_b32 exec_lo, exec_lo, s22
.LBB347_281:                            ;   in Loop: Header=BB347_15 Depth=1
	s_or_b32 exec_lo, exec_lo, s21
.LBB347_282:                            ;   in Loop: Header=BB347_15 Depth=1
	s_or_b32 exec_lo, exec_lo, s20
	v_cmp_ne_u16_sdwa s5, v27, v14 src0_sel:BYTE_1 src1_sel:DWORD
	s_and_saveexec_b32 s20, s5
	s_cbranch_execz .LBB347_290
; %bb.283:                              ;   in Loop: Header=BB347_15 Depth=1
	v_cmp_ne_u16_sdwa s5, v27, v22 src0_sel:BYTE_1 src1_sel:DWORD
	v_bfrev_b32_e32 v42, 1
	s_and_saveexec_b32 s21, s5
	s_cbranch_execz .LBB347_289
; %bb.284:                              ;   in Loop: Header=BB347_15 Depth=1
	v_and_b32_sdwa v0, v50, v27 dst_sel:DWORD dst_unused:UNUSED_PAD src0_sel:DWORD src1_sel:BYTE_1
	v_mov_b32_e32 v42, 0x7f800001
	s_mov_b32 s22, exec_lo
	v_and_b32_e32 v1, 0x7f, v0
	v_cmpx_ne_u32_e32 0x7f, v1
	s_cbranch_execz .LBB347_288
; %bb.285:                              ;   in Loop: Header=BB347_15 Depth=1
	v_and_b32_e32 v13, 7, v0
	v_lshrrev_b32_e32 v0, 3, v1
	s_mov_b32 s23, exec_lo
	v_cmpx_gt_u32_e32 8, v1
; %bb.286:                              ;   in Loop: Header=BB347_15 Depth=1
	v_ffbh_u32_e32 v0, v13
	v_min_u32_e32 v0, 32, v0
	v_subrev_nc_u32_e32 v1, 28, v0
	v_sub_nc_u32_e32 v0, 29, v0
	v_lshlrev_b64 v[6:7], v1, v[13:14]
	v_and_b32_e32 v13, 7, v6
; %bb.287:                              ;   in Loop: Header=BB347_15 Depth=1
	s_or_b32 exec_lo, exec_lo, s23
	v_lshlrev_b32_e32 v1, 16, v27
	v_lshlrev_b32_e32 v6, 20, v13
	v_lshl_add_u32 v0, v0, 23, 0x3c000000
	v_and_b32_e32 v1, 0x80000000, v1
	v_or3_b32 v42, v6, v1, v0
.LBB347_288:                            ;   in Loop: Header=BB347_15 Depth=1
	s_or_b32 exec_lo, exec_lo, s22
.LBB347_289:                            ;   in Loop: Header=BB347_15 Depth=1
	s_or_b32 exec_lo, exec_lo, s21
.LBB347_290:                            ;   in Loop: Header=BB347_15 Depth=1
	s_or_b32 exec_lo, exec_lo, s20
	v_and_b32_sdwa v0, v27, v18 dst_sel:DWORD dst_unused:UNUSED_PAD src0_sel:WORD_1 src1_sel:DWORD
	v_mov_b32_e32 v44, 0
	v_mov_b32_e32 v43, 0
	s_mov_b32 s20, exec_lo
	v_cmpx_ne_u16_e32 0, v0
	s_cbranch_execz .LBB347_298
; %bb.291:                              ;   in Loop: Header=BB347_15 Depth=1
	v_bfrev_b32_e32 v43, 1
	s_mov_b32 s21, exec_lo
	v_cmpx_ne_u16_e32 0x80, v0
	s_cbranch_execz .LBB347_297
; %bb.292:                              ;   in Loop: Header=BB347_15 Depth=1
	v_bfe_u32 v1, v27, 16, 7
	v_mov_b32_e32 v43, 0x7f800001
	s_mov_b32 s22, exec_lo
	v_cmpx_ne_u32_e32 0x7f, v1
	s_cbranch_execz .LBB347_296
; %bb.293:                              ;   in Loop: Header=BB347_15 Depth=1
	v_and_b32_sdwa v13, v27, v51 dst_sel:DWORD dst_unused:UNUSED_PAD src0_sel:WORD_1 src1_sel:DWORD
	v_lshrrev_b32_e32 v0, 3, v1
	s_mov_b32 s23, exec_lo
	v_cmpx_gt_u32_e32 8, v1
; %bb.294:                              ;   in Loop: Header=BB347_15 Depth=1
	v_ffbh_u32_e32 v0, v13
	v_min_u32_e32 v0, 32, v0
	v_subrev_nc_u32_e32 v1, 28, v0
	v_sub_nc_u32_e32 v0, 29, v0
	v_lshlrev_b64 v[6:7], v1, v[13:14]
	v_and_b32_e32 v13, 7, v6
; %bb.295:                              ;   in Loop: Header=BB347_15 Depth=1
	s_or_b32 exec_lo, exec_lo, s23
	v_lshlrev_b32_sdwa v1, v52, v27 dst_sel:DWORD dst_unused:UNUSED_PAD src0_sel:DWORD src1_sel:WORD_1
	v_lshlrev_b32_e32 v6, 20, v13
	v_lshl_add_u32 v0, v0, 23, 0x3c000000
	v_and_b32_e32 v1, 0x80000000, v1
	v_or3_b32 v43, v6, v1, v0
.LBB347_296:                            ;   in Loop: Header=BB347_15 Depth=1
	s_or_b32 exec_lo, exec_lo, s22
.LBB347_297:                            ;   in Loop: Header=BB347_15 Depth=1
	s_or_b32 exec_lo, exec_lo, s21
.LBB347_298:                            ;   in Loop: Header=BB347_15 Depth=1
	s_or_b32 exec_lo, exec_lo, s20
	s_mov_b32 s20, exec_lo
	v_cmpx_lt_u32_e32 0xffffff, v27
	s_cbranch_execz .LBB347_306
; %bb.299:                              ;   in Loop: Header=BB347_15 Depth=1
	v_cmp_ne_u32_sdwa s5, v27, v22 src0_sel:BYTE_3 src1_sel:DWORD
	v_bfrev_b32_e32 v44, 1
	s_and_saveexec_b32 s21, s5
	s_cbranch_execz .LBB347_305
; %bb.300:                              ;   in Loop: Header=BB347_15 Depth=1
	v_bfe_u32 v1, v27, 24, 7
	v_mov_b32_e32 v44, 0x7f800001
	s_mov_b32 s22, exec_lo
	v_cmpx_ne_u32_e32 0x7f, v1
	s_cbranch_execz .LBB347_304
; %bb.301:                              ;   in Loop: Header=BB347_15 Depth=1
	v_and_b32_sdwa v13, v27, v51 dst_sel:DWORD dst_unused:UNUSED_PAD src0_sel:BYTE_3 src1_sel:DWORD
	v_lshrrev_b32_e32 v0, 3, v1
	s_mov_b32 s23, exec_lo
	v_cmpx_gt_u32_e32 8, v1
; %bb.302:                              ;   in Loop: Header=BB347_15 Depth=1
	v_ffbh_u32_e32 v0, v13
	v_min_u32_e32 v0, 32, v0
	v_subrev_nc_u32_e32 v1, 28, v0
	v_sub_nc_u32_e32 v0, 29, v0
	v_lshlrev_b64 v[6:7], v1, v[13:14]
	v_and_b32_e32 v13, 7, v6
; %bb.303:                              ;   in Loop: Header=BB347_15 Depth=1
	s_or_b32 exec_lo, exec_lo, s23
	v_lshlrev_b32_sdwa v1, v52, v27 dst_sel:DWORD dst_unused:UNUSED_PAD src0_sel:DWORD src1_sel:BYTE_3
	v_lshlrev_b32_e32 v6, 20, v13
	v_lshl_add_u32 v0, v0, 23, 0x3c000000
	v_and_b32_e32 v1, 0x80000000, v1
	v_or3_b32 v44, v6, v1, v0
.LBB347_304:                            ;   in Loop: Header=BB347_15 Depth=1
	s_or_b32 exec_lo, exec_lo, s22
.LBB347_305:                            ;   in Loop: Header=BB347_15 Depth=1
	s_or_b32 exec_lo, exec_lo, s21
.LBB347_306:                            ;   in Loop: Header=BB347_15 Depth=1
	s_or_b32 exec_lo, exec_lo, s20
	v_mov_b32_e32 v13, v28
	v_cmp_ne_u16_sdwa s5, v28, v14 src0_sel:BYTE_0 src1_sel:DWORD
	v_mov_b32_e32 v46, 0
	v_mov_b32_e32 v45, 0
	s_and_saveexec_b32 s20, s5
	s_cbranch_execz .LBB347_314
; %bb.307:                              ;   in Loop: Header=BB347_15 Depth=1
	v_cmp_ne_u16_sdwa s5, v28, v22 src0_sel:BYTE_0 src1_sel:DWORD
	v_bfrev_b32_e32 v45, 1
	s_and_saveexec_b32 s21, s5
	s_cbranch_execz .LBB347_313
; %bb.308:                              ;   in Loop: Header=BB347_15 Depth=1
	v_and_b32_e32 v1, 0x7f, v28
	v_mov_b32_e32 v45, 0x7f800001
	s_mov_b32 s22, exec_lo
	v_cmpx_ne_u32_e32 0x7f, v1
	s_cbranch_execz .LBB347_312
; %bb.309:                              ;   in Loop: Header=BB347_15 Depth=1
	v_mov_b32_e32 v30, v14
	v_lshrrev_b32_e32 v0, 3, v1
	v_mov_b32_e32 v29, v13
	s_mov_b32 s23, exec_lo
	v_cmpx_gt_u32_e32 8, v1
; %bb.310:                              ;   in Loop: Header=BB347_15 Depth=1
	v_and_b32_e32 v0, 7, v28
	v_ffbh_u32_e32 v0, v0
	v_min_u32_e32 v0, 32, v0
	v_subrev_nc_u32_e32 v1, 28, v0
	v_sub_nc_u32_e32 v0, 29, v0
	v_lshlrev_b64 v[29:30], v1, v[13:14]
; %bb.311:                              ;   in Loop: Header=BB347_15 Depth=1
	s_or_b32 exec_lo, exec_lo, s23
	v_lshlrev_b32_e32 v1, 20, v29
	v_lshlrev_b32_e32 v6, 24, v13
	v_lshl_add_u32 v0, v0, 23, 0x3c000000
	v_and_b32_e32 v1, 0x700000, v1
	v_and_b32_e32 v6, 0x80000000, v6
	v_or3_b32 v45, v1, v6, v0
.LBB347_312:                            ;   in Loop: Header=BB347_15 Depth=1
	s_or_b32 exec_lo, exec_lo, s22
.LBB347_313:                            ;   in Loop: Header=BB347_15 Depth=1
	s_or_b32 exec_lo, exec_lo, s21
.LBB347_314:                            ;   in Loop: Header=BB347_15 Depth=1
	s_or_b32 exec_lo, exec_lo, s20
	v_cmp_ne_u16_sdwa s5, v13, v14 src0_sel:BYTE_1 src1_sel:DWORD
	s_and_saveexec_b32 s20, s5
	s_cbranch_execz .LBB347_322
; %bb.315:                              ;   in Loop: Header=BB347_15 Depth=1
	v_cmp_ne_u16_sdwa s5, v13, v22 src0_sel:BYTE_1 src1_sel:DWORD
	v_bfrev_b32_e32 v46, 1
	s_and_saveexec_b32 s21, s5
	s_cbranch_execz .LBB347_321
; %bb.316:                              ;   in Loop: Header=BB347_15 Depth=1
	v_and_b32_sdwa v0, v50, v13 dst_sel:DWORD dst_unused:UNUSED_PAD src0_sel:DWORD src1_sel:BYTE_1
	v_mov_b32_e32 v46, 0x7f800001
	s_mov_b32 s22, exec_lo
	v_and_b32_e32 v1, 0x7f, v0
	v_cmpx_ne_u32_e32 0x7f, v1
	s_cbranch_execz .LBB347_320
; %bb.317:                              ;   in Loop: Header=BB347_15 Depth=1
	v_and_b32_e32 v29, 7, v0
	v_mov_b32_e32 v30, v14
	v_lshrrev_b32_e32 v0, 3, v1
	s_mov_b32 s23, exec_lo
	v_cmpx_gt_u32_e32 8, v1
; %bb.318:                              ;   in Loop: Header=BB347_15 Depth=1
	v_ffbh_u32_e32 v0, v29
	v_min_u32_e32 v0, 32, v0
	v_subrev_nc_u32_e32 v1, 28, v0
	v_sub_nc_u32_e32 v0, 29, v0
	v_lshlrev_b64 v[6:7], v1, v[29:30]
	v_and_b32_e32 v29, 7, v6
; %bb.319:                              ;   in Loop: Header=BB347_15 Depth=1
	s_or_b32 exec_lo, exec_lo, s23
	v_lshlrev_b32_e32 v1, 16, v13
	v_lshlrev_b32_e32 v6, 20, v29
	v_lshl_add_u32 v0, v0, 23, 0x3c000000
	v_and_b32_e32 v1, 0x80000000, v1
	v_or3_b32 v46, v6, v1, v0
.LBB347_320:                            ;   in Loop: Header=BB347_15 Depth=1
	s_or_b32 exec_lo, exec_lo, s22
.LBB347_321:                            ;   in Loop: Header=BB347_15 Depth=1
	s_or_b32 exec_lo, exec_lo, s21
.LBB347_322:                            ;   in Loop: Header=BB347_15 Depth=1
	s_or_b32 exec_lo, exec_lo, s20
	v_and_b32_sdwa v0, v28, v18 dst_sel:DWORD dst_unused:UNUSED_PAD src0_sel:WORD_1 src1_sel:DWORD
	v_mov_b32_e32 v47, 0
	v_mov_b32_e32 v56, 0
	s_mov_b32 s20, exec_lo
	v_cmpx_ne_u16_e32 0, v0
	s_cbranch_execz .LBB347_330
; %bb.323:                              ;   in Loop: Header=BB347_15 Depth=1
	v_bfrev_b32_e32 v56, 1
	s_mov_b32 s21, exec_lo
	v_cmpx_ne_u16_e32 0x80, v0
	s_cbranch_execz .LBB347_329
; %bb.324:                              ;   in Loop: Header=BB347_15 Depth=1
	v_bfe_u32 v1, v28, 16, 7
	v_mov_b32_e32 v56, 0x7f800001
	s_mov_b32 s22, exec_lo
	v_cmpx_ne_u32_e32 0x7f, v1
	s_cbranch_execz .LBB347_328
; %bb.325:                              ;   in Loop: Header=BB347_15 Depth=1
	v_and_b32_sdwa v13, v28, v51 dst_sel:DWORD dst_unused:UNUSED_PAD src0_sel:WORD_1 src1_sel:DWORD
	v_lshrrev_b32_e32 v0, 3, v1
	s_mov_b32 s23, exec_lo
	v_cmpx_gt_u32_e32 8, v1
; %bb.326:                              ;   in Loop: Header=BB347_15 Depth=1
	v_ffbh_u32_e32 v0, v13
	v_min_u32_e32 v0, 32, v0
	v_subrev_nc_u32_e32 v1, 28, v0
	v_sub_nc_u32_e32 v0, 29, v0
	v_lshlrev_b64 v[6:7], v1, v[13:14]
	v_and_b32_e32 v13, 7, v6
; %bb.327:                              ;   in Loop: Header=BB347_15 Depth=1
	s_or_b32 exec_lo, exec_lo, s23
	v_lshlrev_b32_sdwa v1, v52, v28 dst_sel:DWORD dst_unused:UNUSED_PAD src0_sel:DWORD src1_sel:WORD_1
	v_lshlrev_b32_e32 v6, 20, v13
	v_lshl_add_u32 v0, v0, 23, 0x3c000000
	v_and_b32_e32 v1, 0x80000000, v1
	v_or3_b32 v56, v6, v1, v0
.LBB347_328:                            ;   in Loop: Header=BB347_15 Depth=1
	s_or_b32 exec_lo, exec_lo, s22
.LBB347_329:                            ;   in Loop: Header=BB347_15 Depth=1
	s_or_b32 exec_lo, exec_lo, s21
.LBB347_330:                            ;   in Loop: Header=BB347_15 Depth=1
	s_or_b32 exec_lo, exec_lo, s20
	s_mov_b32 s20, exec_lo
	v_cmpx_lt_u64_e64 s[12:13], v[27:28]
	s_cbranch_execz .LBB347_338
; %bb.331:                              ;   in Loop: Header=BB347_15 Depth=1
	v_cmp_ne_u32_sdwa s5, v28, v22 src0_sel:BYTE_3 src1_sel:DWORD
	v_bfrev_b32_e32 v47, 1
	s_and_saveexec_b32 s21, s5
	s_cbranch_execz .LBB347_337
; %bb.332:                              ;   in Loop: Header=BB347_15 Depth=1
	v_bfe_u32 v1, v28, 24, 7
	v_mov_b32_e32 v47, 0x7f800001
	s_mov_b32 s22, exec_lo
	v_cmpx_ne_u32_e32 0x7f, v1
	s_cbranch_execz .LBB347_336
; %bb.333:                              ;   in Loop: Header=BB347_15 Depth=1
	v_and_b32_sdwa v13, v28, v51 dst_sel:DWORD dst_unused:UNUSED_PAD src0_sel:BYTE_3 src1_sel:DWORD
	v_lshrrev_b32_e32 v0, 3, v1
	s_mov_b32 s23, exec_lo
	v_cmpx_gt_u32_e32 8, v1
; %bb.334:                              ;   in Loop: Header=BB347_15 Depth=1
	v_ffbh_u32_e32 v0, v13
	v_min_u32_e32 v0, 32, v0
	v_subrev_nc_u32_e32 v1, 28, v0
	v_sub_nc_u32_e32 v0, 29, v0
	v_lshlrev_b64 v[6:7], v1, v[13:14]
	v_and_b32_e32 v13, 7, v6
; %bb.335:                              ;   in Loop: Header=BB347_15 Depth=1
	s_or_b32 exec_lo, exec_lo, s23
	v_lshlrev_b32_sdwa v1, v52, v28 dst_sel:DWORD dst_unused:UNUSED_PAD src0_sel:DWORD src1_sel:BYTE_3
	v_lshlrev_b32_e32 v6, 20, v13
	v_lshl_add_u32 v0, v0, 23, 0x3c000000
	v_and_b32_e32 v1, 0x80000000, v1
	v_or3_b32 v47, v6, v1, v0
.LBB347_336:                            ;   in Loop: Header=BB347_15 Depth=1
	s_or_b32 exec_lo, exec_lo, s22
.LBB347_337:                            ;   in Loop: Header=BB347_15 Depth=1
	s_or_b32 exec_lo, exec_lo, s21
.LBB347_338:                            ;   in Loop: Header=BB347_15 Depth=1
	s_or_b32 exec_lo, exec_lo, s20
	flat_load_dwordx2 v[27:28], v[24:25] offset:1032
	v_mov_b32_e32 v58, 0
	v_mov_b32_e32 v57, 0
	s_waitcnt vmcnt(0) lgkmcnt(0)
	v_cmp_ne_u16_sdwa s5, v27, v14 src0_sel:BYTE_0 src1_sel:DWORD
	s_and_saveexec_b32 s20, s5
	s_cbranch_execz .LBB347_346
; %bb.339:                              ;   in Loop: Header=BB347_15 Depth=1
	v_cmp_ne_u16_sdwa s5, v27, v22 src0_sel:BYTE_0 src1_sel:DWORD
	v_bfrev_b32_e32 v57, 1
	s_and_saveexec_b32 s21, s5
	s_cbranch_execz .LBB347_345
; %bb.340:                              ;   in Loop: Header=BB347_15 Depth=1
	v_and_b32_e32 v1, 0x7f, v27
	v_mov_b32_e32 v57, 0x7f800001
	s_mov_b32 s22, exec_lo
	v_cmpx_ne_u32_e32 0x7f, v1
	s_cbranch_execz .LBB347_344
; %bb.341:                              ;   in Loop: Header=BB347_15 Depth=1
	v_mov_b32_e32 v30, v28
	v_lshrrev_b32_e32 v0, 3, v1
	v_mov_b32_e32 v29, v27
	s_mov_b32 s23, exec_lo
	v_cmpx_gt_u32_e32 8, v1
; %bb.342:                              ;   in Loop: Header=BB347_15 Depth=1
	v_and_b32_e32 v0, 7, v27
	v_ffbh_u32_e32 v0, v0
	v_min_u32_e32 v0, 32, v0
	v_subrev_nc_u32_e32 v1, 28, v0
	v_sub_nc_u32_e32 v0, 29, v0
	v_lshlrev_b64 v[29:30], v1, v[27:28]
; %bb.343:                              ;   in Loop: Header=BB347_15 Depth=1
	s_or_b32 exec_lo, exec_lo, s23
	v_lshlrev_b32_e32 v1, 20, v29
	v_lshlrev_b32_e32 v6, 24, v27
	v_lshl_add_u32 v0, v0, 23, 0x3c000000
	v_and_b32_e32 v1, 0x700000, v1
	v_and_b32_e32 v6, 0x80000000, v6
	v_or3_b32 v57, v1, v6, v0
.LBB347_344:                            ;   in Loop: Header=BB347_15 Depth=1
	s_or_b32 exec_lo, exec_lo, s22
.LBB347_345:                            ;   in Loop: Header=BB347_15 Depth=1
	s_or_b32 exec_lo, exec_lo, s21
.LBB347_346:                            ;   in Loop: Header=BB347_15 Depth=1
	s_or_b32 exec_lo, exec_lo, s20
	v_cmp_ne_u16_sdwa s5, v27, v14 src0_sel:BYTE_1 src1_sel:DWORD
	s_and_saveexec_b32 s20, s5
	s_cbranch_execz .LBB347_354
; %bb.347:                              ;   in Loop: Header=BB347_15 Depth=1
	v_cmp_ne_u16_sdwa s5, v27, v22 src0_sel:BYTE_1 src1_sel:DWORD
	v_bfrev_b32_e32 v58, 1
	s_and_saveexec_b32 s21, s5
	s_cbranch_execz .LBB347_353
; %bb.348:                              ;   in Loop: Header=BB347_15 Depth=1
	v_and_b32_sdwa v0, v50, v27 dst_sel:DWORD dst_unused:UNUSED_PAD src0_sel:DWORD src1_sel:BYTE_1
	v_mov_b32_e32 v58, 0x7f800001
	s_mov_b32 s22, exec_lo
	v_and_b32_e32 v1, 0x7f, v0
	v_cmpx_ne_u32_e32 0x7f, v1
	s_cbranch_execz .LBB347_352
; %bb.349:                              ;   in Loop: Header=BB347_15 Depth=1
	v_and_b32_e32 v13, 7, v0
	v_lshrrev_b32_e32 v0, 3, v1
	s_mov_b32 s23, exec_lo
	v_cmpx_gt_u32_e32 8, v1
; %bb.350:                              ;   in Loop: Header=BB347_15 Depth=1
	v_ffbh_u32_e32 v0, v13
	v_min_u32_e32 v0, 32, v0
	v_subrev_nc_u32_e32 v1, 28, v0
	v_sub_nc_u32_e32 v0, 29, v0
	v_lshlrev_b64 v[6:7], v1, v[13:14]
	v_and_b32_e32 v13, 7, v6
; %bb.351:                              ;   in Loop: Header=BB347_15 Depth=1
	s_or_b32 exec_lo, exec_lo, s23
	v_lshlrev_b32_e32 v1, 16, v27
	v_lshlrev_b32_e32 v6, 20, v13
	v_lshl_add_u32 v0, v0, 23, 0x3c000000
	v_and_b32_e32 v1, 0x80000000, v1
	v_or3_b32 v58, v6, v1, v0
.LBB347_352:                            ;   in Loop: Header=BB347_15 Depth=1
	s_or_b32 exec_lo, exec_lo, s22
.LBB347_353:                            ;   in Loop: Header=BB347_15 Depth=1
	s_or_b32 exec_lo, exec_lo, s21
.LBB347_354:                            ;   in Loop: Header=BB347_15 Depth=1
	s_or_b32 exec_lo, exec_lo, s20
	v_and_b32_sdwa v0, v27, v18 dst_sel:DWORD dst_unused:UNUSED_PAD src0_sel:WORD_1 src1_sel:DWORD
	v_mov_b32_e32 v60, 0
	v_mov_b32_e32 v59, 0
	s_mov_b32 s20, exec_lo
	v_cmpx_ne_u16_e32 0, v0
	s_cbranch_execz .LBB347_362
; %bb.355:                              ;   in Loop: Header=BB347_15 Depth=1
	v_bfrev_b32_e32 v59, 1
	s_mov_b32 s21, exec_lo
	v_cmpx_ne_u16_e32 0x80, v0
	s_cbranch_execz .LBB347_361
; %bb.356:                              ;   in Loop: Header=BB347_15 Depth=1
	v_bfe_u32 v1, v27, 16, 7
	v_mov_b32_e32 v59, 0x7f800001
	s_mov_b32 s22, exec_lo
	v_cmpx_ne_u32_e32 0x7f, v1
	s_cbranch_execz .LBB347_360
; %bb.357:                              ;   in Loop: Header=BB347_15 Depth=1
	v_and_b32_sdwa v13, v27, v51 dst_sel:DWORD dst_unused:UNUSED_PAD src0_sel:WORD_1 src1_sel:DWORD
	v_lshrrev_b32_e32 v0, 3, v1
	s_mov_b32 s23, exec_lo
	v_cmpx_gt_u32_e32 8, v1
; %bb.358:                              ;   in Loop: Header=BB347_15 Depth=1
	v_ffbh_u32_e32 v0, v13
	v_min_u32_e32 v0, 32, v0
	v_subrev_nc_u32_e32 v1, 28, v0
	v_sub_nc_u32_e32 v0, 29, v0
	v_lshlrev_b64 v[6:7], v1, v[13:14]
	v_and_b32_e32 v13, 7, v6
; %bb.359:                              ;   in Loop: Header=BB347_15 Depth=1
	s_or_b32 exec_lo, exec_lo, s23
	v_lshlrev_b32_sdwa v1, v52, v27 dst_sel:DWORD dst_unused:UNUSED_PAD src0_sel:DWORD src1_sel:WORD_1
	v_lshlrev_b32_e32 v6, 20, v13
	v_lshl_add_u32 v0, v0, 23, 0x3c000000
	v_and_b32_e32 v1, 0x80000000, v1
	v_or3_b32 v59, v6, v1, v0
.LBB347_360:                            ;   in Loop: Header=BB347_15 Depth=1
	s_or_b32 exec_lo, exec_lo, s22
.LBB347_361:                            ;   in Loop: Header=BB347_15 Depth=1
	s_or_b32 exec_lo, exec_lo, s21
.LBB347_362:                            ;   in Loop: Header=BB347_15 Depth=1
	s_or_b32 exec_lo, exec_lo, s20
	s_mov_b32 s20, exec_lo
	v_cmpx_lt_u32_e32 0xffffff, v27
	s_cbranch_execz .LBB347_370
; %bb.363:                              ;   in Loop: Header=BB347_15 Depth=1
	v_cmp_ne_u32_sdwa s5, v27, v22 src0_sel:BYTE_3 src1_sel:DWORD
	v_bfrev_b32_e32 v60, 1
	s_and_saveexec_b32 s21, s5
	s_cbranch_execz .LBB347_369
; %bb.364:                              ;   in Loop: Header=BB347_15 Depth=1
	v_bfe_u32 v1, v27, 24, 7
	v_mov_b32_e32 v60, 0x7f800001
	s_mov_b32 s22, exec_lo
	v_cmpx_ne_u32_e32 0x7f, v1
	s_cbranch_execz .LBB347_368
; %bb.365:                              ;   in Loop: Header=BB347_15 Depth=1
	v_and_b32_sdwa v13, v27, v51 dst_sel:DWORD dst_unused:UNUSED_PAD src0_sel:BYTE_3 src1_sel:DWORD
	v_lshrrev_b32_e32 v0, 3, v1
	s_mov_b32 s23, exec_lo
	v_cmpx_gt_u32_e32 8, v1
; %bb.366:                              ;   in Loop: Header=BB347_15 Depth=1
	v_ffbh_u32_e32 v0, v13
	v_min_u32_e32 v0, 32, v0
	v_subrev_nc_u32_e32 v1, 28, v0
	v_sub_nc_u32_e32 v0, 29, v0
	v_lshlrev_b64 v[6:7], v1, v[13:14]
	v_and_b32_e32 v13, 7, v6
; %bb.367:                              ;   in Loop: Header=BB347_15 Depth=1
	s_or_b32 exec_lo, exec_lo, s23
	v_lshlrev_b32_sdwa v1, v52, v27 dst_sel:DWORD dst_unused:UNUSED_PAD src0_sel:DWORD src1_sel:BYTE_3
	v_lshlrev_b32_e32 v6, 20, v13
	v_lshl_add_u32 v0, v0, 23, 0x3c000000
	v_and_b32_e32 v1, 0x80000000, v1
	v_or3_b32 v60, v6, v1, v0
.LBB347_368:                            ;   in Loop: Header=BB347_15 Depth=1
	s_or_b32 exec_lo, exec_lo, s22
.LBB347_369:                            ;   in Loop: Header=BB347_15 Depth=1
	s_or_b32 exec_lo, exec_lo, s21
.LBB347_370:                            ;   in Loop: Header=BB347_15 Depth=1
	s_or_b32 exec_lo, exec_lo, s20
	v_mov_b32_e32 v13, v28
	v_cmp_ne_u16_sdwa s5, v28, v14 src0_sel:BYTE_0 src1_sel:DWORD
	v_mov_b32_e32 v62, 0
	v_mov_b32_e32 v61, 0
	s_and_saveexec_b32 s20, s5
	s_cbranch_execz .LBB347_378
; %bb.371:                              ;   in Loop: Header=BB347_15 Depth=1
	v_cmp_ne_u16_sdwa s5, v28, v22 src0_sel:BYTE_0 src1_sel:DWORD
	v_bfrev_b32_e32 v61, 1
	s_and_saveexec_b32 s21, s5
	s_cbranch_execz .LBB347_377
; %bb.372:                              ;   in Loop: Header=BB347_15 Depth=1
	v_and_b32_e32 v1, 0x7f, v28
	v_mov_b32_e32 v61, 0x7f800001
	s_mov_b32 s22, exec_lo
	v_cmpx_ne_u32_e32 0x7f, v1
	s_cbranch_execz .LBB347_376
; %bb.373:                              ;   in Loop: Header=BB347_15 Depth=1
	v_mov_b32_e32 v30, v14
	v_lshrrev_b32_e32 v0, 3, v1
	v_mov_b32_e32 v29, v13
	s_mov_b32 s23, exec_lo
	v_cmpx_gt_u32_e32 8, v1
; %bb.374:                              ;   in Loop: Header=BB347_15 Depth=1
	v_and_b32_e32 v0, 7, v28
	v_ffbh_u32_e32 v0, v0
	v_min_u32_e32 v0, 32, v0
	v_subrev_nc_u32_e32 v1, 28, v0
	v_sub_nc_u32_e32 v0, 29, v0
	v_lshlrev_b64 v[29:30], v1, v[13:14]
; %bb.375:                              ;   in Loop: Header=BB347_15 Depth=1
	s_or_b32 exec_lo, exec_lo, s23
	v_lshlrev_b32_e32 v1, 20, v29
	v_lshlrev_b32_e32 v6, 24, v13
	v_lshl_add_u32 v0, v0, 23, 0x3c000000
	v_and_b32_e32 v1, 0x700000, v1
	v_and_b32_e32 v6, 0x80000000, v6
	v_or3_b32 v61, v1, v6, v0
.LBB347_376:                            ;   in Loop: Header=BB347_15 Depth=1
	s_or_b32 exec_lo, exec_lo, s22
.LBB347_377:                            ;   in Loop: Header=BB347_15 Depth=1
	s_or_b32 exec_lo, exec_lo, s21
.LBB347_378:                            ;   in Loop: Header=BB347_15 Depth=1
	s_or_b32 exec_lo, exec_lo, s20
	v_cmp_ne_u16_sdwa s5, v13, v14 src0_sel:BYTE_1 src1_sel:DWORD
	s_and_saveexec_b32 s20, s5
	s_cbranch_execz .LBB347_386
; %bb.379:                              ;   in Loop: Header=BB347_15 Depth=1
	v_cmp_ne_u16_sdwa s5, v13, v22 src0_sel:BYTE_1 src1_sel:DWORD
	v_bfrev_b32_e32 v62, 1
	s_and_saveexec_b32 s21, s5
	s_cbranch_execz .LBB347_385
; %bb.380:                              ;   in Loop: Header=BB347_15 Depth=1
	v_and_b32_sdwa v0, v50, v13 dst_sel:DWORD dst_unused:UNUSED_PAD src0_sel:DWORD src1_sel:BYTE_1
	v_mov_b32_e32 v62, 0x7f800001
	s_mov_b32 s22, exec_lo
	v_and_b32_e32 v1, 0x7f, v0
	v_cmpx_ne_u32_e32 0x7f, v1
	s_cbranch_execz .LBB347_384
; %bb.381:                              ;   in Loop: Header=BB347_15 Depth=1
	v_and_b32_e32 v29, 7, v0
	v_mov_b32_e32 v30, v14
	v_lshrrev_b32_e32 v0, 3, v1
	s_mov_b32 s23, exec_lo
	v_cmpx_gt_u32_e32 8, v1
; %bb.382:                              ;   in Loop: Header=BB347_15 Depth=1
	v_ffbh_u32_e32 v0, v29
	v_min_u32_e32 v0, 32, v0
	v_subrev_nc_u32_e32 v1, 28, v0
	v_sub_nc_u32_e32 v0, 29, v0
	v_lshlrev_b64 v[6:7], v1, v[29:30]
	v_and_b32_e32 v29, 7, v6
; %bb.383:                              ;   in Loop: Header=BB347_15 Depth=1
	s_or_b32 exec_lo, exec_lo, s23
	v_lshlrev_b32_e32 v1, 16, v13
	v_lshlrev_b32_e32 v6, 20, v29
	v_lshl_add_u32 v0, v0, 23, 0x3c000000
	v_and_b32_e32 v1, 0x80000000, v1
	v_or3_b32 v62, v6, v1, v0
.LBB347_384:                            ;   in Loop: Header=BB347_15 Depth=1
	s_or_b32 exec_lo, exec_lo, s22
.LBB347_385:                            ;   in Loop: Header=BB347_15 Depth=1
	s_or_b32 exec_lo, exec_lo, s21
.LBB347_386:                            ;   in Loop: Header=BB347_15 Depth=1
	s_or_b32 exec_lo, exec_lo, s20
	v_and_b32_sdwa v0, v28, v18 dst_sel:DWORD dst_unused:UNUSED_PAD src0_sel:WORD_1 src1_sel:DWORD
	v_mov_b32_e32 v63, 0
	v_mov_b32_e32 v72, 0
	s_mov_b32 s20, exec_lo
	v_cmpx_ne_u16_e32 0, v0
	s_cbranch_execz .LBB347_394
; %bb.387:                              ;   in Loop: Header=BB347_15 Depth=1
	v_bfrev_b32_e32 v72, 1
	s_mov_b32 s21, exec_lo
	v_cmpx_ne_u16_e32 0x80, v0
	s_cbranch_execz .LBB347_393
; %bb.388:                              ;   in Loop: Header=BB347_15 Depth=1
	v_bfe_u32 v1, v28, 16, 7
	v_mov_b32_e32 v72, 0x7f800001
	s_mov_b32 s22, exec_lo
	v_cmpx_ne_u32_e32 0x7f, v1
	s_cbranch_execz .LBB347_392
; %bb.389:                              ;   in Loop: Header=BB347_15 Depth=1
	v_and_b32_sdwa v13, v28, v51 dst_sel:DWORD dst_unused:UNUSED_PAD src0_sel:WORD_1 src1_sel:DWORD
	v_lshrrev_b32_e32 v0, 3, v1
	s_mov_b32 s23, exec_lo
	v_cmpx_gt_u32_e32 8, v1
; %bb.390:                              ;   in Loop: Header=BB347_15 Depth=1
	v_ffbh_u32_e32 v0, v13
	v_min_u32_e32 v0, 32, v0
	v_subrev_nc_u32_e32 v1, 28, v0
	v_sub_nc_u32_e32 v0, 29, v0
	v_lshlrev_b64 v[6:7], v1, v[13:14]
	v_and_b32_e32 v13, 7, v6
; %bb.391:                              ;   in Loop: Header=BB347_15 Depth=1
	s_or_b32 exec_lo, exec_lo, s23
	v_lshlrev_b32_sdwa v1, v52, v28 dst_sel:DWORD dst_unused:UNUSED_PAD src0_sel:DWORD src1_sel:WORD_1
	v_lshlrev_b32_e32 v6, 20, v13
	v_lshl_add_u32 v0, v0, 23, 0x3c000000
	v_and_b32_e32 v1, 0x80000000, v1
	v_or3_b32 v72, v6, v1, v0
.LBB347_392:                            ;   in Loop: Header=BB347_15 Depth=1
	s_or_b32 exec_lo, exec_lo, s22
.LBB347_393:                            ;   in Loop: Header=BB347_15 Depth=1
	s_or_b32 exec_lo, exec_lo, s21
.LBB347_394:                            ;   in Loop: Header=BB347_15 Depth=1
	s_or_b32 exec_lo, exec_lo, s20
	s_mov_b32 s20, exec_lo
	v_cmpx_lt_u64_e64 s[12:13], v[27:28]
	s_cbranch_execz .LBB347_402
; %bb.395:                              ;   in Loop: Header=BB347_15 Depth=1
	v_cmp_ne_u32_sdwa s5, v28, v22 src0_sel:BYTE_3 src1_sel:DWORD
	v_bfrev_b32_e32 v63, 1
	s_and_saveexec_b32 s21, s5
	s_cbranch_execz .LBB347_401
; %bb.396:                              ;   in Loop: Header=BB347_15 Depth=1
	v_bfe_u32 v1, v28, 24, 7
	v_mov_b32_e32 v63, 0x7f800001
	s_mov_b32 s22, exec_lo
	v_cmpx_ne_u32_e32 0x7f, v1
	s_cbranch_execz .LBB347_400
; %bb.397:                              ;   in Loop: Header=BB347_15 Depth=1
	v_and_b32_sdwa v13, v28, v51 dst_sel:DWORD dst_unused:UNUSED_PAD src0_sel:BYTE_3 src1_sel:DWORD
	v_lshrrev_b32_e32 v0, 3, v1
	s_mov_b32 s23, exec_lo
	v_cmpx_gt_u32_e32 8, v1
; %bb.398:                              ;   in Loop: Header=BB347_15 Depth=1
	v_ffbh_u32_e32 v0, v13
	v_min_u32_e32 v0, 32, v0
	v_subrev_nc_u32_e32 v1, 28, v0
	v_sub_nc_u32_e32 v0, 29, v0
	v_lshlrev_b64 v[6:7], v1, v[13:14]
	v_and_b32_e32 v13, 7, v6
; %bb.399:                              ;   in Loop: Header=BB347_15 Depth=1
	s_or_b32 exec_lo, exec_lo, s23
	v_lshlrev_b32_sdwa v1, v52, v28 dst_sel:DWORD dst_unused:UNUSED_PAD src0_sel:DWORD src1_sel:BYTE_3
	v_lshlrev_b32_e32 v6, 20, v13
	v_lshl_add_u32 v0, v0, 23, 0x3c000000
	v_and_b32_e32 v1, 0x80000000, v1
	v_or3_b32 v63, v6, v1, v0
.LBB347_400:                            ;   in Loop: Header=BB347_15 Depth=1
	s_or_b32 exec_lo, exec_lo, s22
.LBB347_401:                            ;   in Loop: Header=BB347_15 Depth=1
	s_or_b32 exec_lo, exec_lo, s21
.LBB347_402:                            ;   in Loop: Header=BB347_15 Depth=1
	s_or_b32 exec_lo, exec_lo, s20
	flat_load_dwordx2 v[27:28], v[24:25] offset:1536
	v_mov_b32_e32 v74, 0
	v_mov_b32_e32 v73, 0
	s_waitcnt vmcnt(0) lgkmcnt(0)
	v_cmp_ne_u16_sdwa s5, v27, v14 src0_sel:BYTE_0 src1_sel:DWORD
	s_and_saveexec_b32 s20, s5
	s_cbranch_execz .LBB347_410
; %bb.403:                              ;   in Loop: Header=BB347_15 Depth=1
	v_cmp_ne_u16_sdwa s5, v27, v22 src0_sel:BYTE_0 src1_sel:DWORD
	v_bfrev_b32_e32 v73, 1
	s_and_saveexec_b32 s21, s5
	s_cbranch_execz .LBB347_409
; %bb.404:                              ;   in Loop: Header=BB347_15 Depth=1
	v_and_b32_e32 v1, 0x7f, v27
	v_mov_b32_e32 v73, 0x7f800001
	s_mov_b32 s22, exec_lo
	v_cmpx_ne_u32_e32 0x7f, v1
	s_cbranch_execz .LBB347_408
; %bb.405:                              ;   in Loop: Header=BB347_15 Depth=1
	v_mov_b32_e32 v30, v28
	v_lshrrev_b32_e32 v0, 3, v1
	v_mov_b32_e32 v29, v27
	s_mov_b32 s23, exec_lo
	v_cmpx_gt_u32_e32 8, v1
; %bb.406:                              ;   in Loop: Header=BB347_15 Depth=1
	v_and_b32_e32 v0, 7, v27
	v_ffbh_u32_e32 v0, v0
	v_min_u32_e32 v0, 32, v0
	v_subrev_nc_u32_e32 v1, 28, v0
	v_sub_nc_u32_e32 v0, 29, v0
	v_lshlrev_b64 v[29:30], v1, v[27:28]
; %bb.407:                              ;   in Loop: Header=BB347_15 Depth=1
	s_or_b32 exec_lo, exec_lo, s23
	v_lshlrev_b32_e32 v1, 20, v29
	v_lshlrev_b32_e32 v6, 24, v27
	v_lshl_add_u32 v0, v0, 23, 0x3c000000
	v_and_b32_e32 v1, 0x700000, v1
	v_and_b32_e32 v6, 0x80000000, v6
	v_or3_b32 v73, v1, v6, v0
.LBB347_408:                            ;   in Loop: Header=BB347_15 Depth=1
	s_or_b32 exec_lo, exec_lo, s22
.LBB347_409:                            ;   in Loop: Header=BB347_15 Depth=1
	s_or_b32 exec_lo, exec_lo, s21
.LBB347_410:                            ;   in Loop: Header=BB347_15 Depth=1
	s_or_b32 exec_lo, exec_lo, s20
	v_cmp_ne_u16_sdwa s5, v27, v14 src0_sel:BYTE_1 src1_sel:DWORD
	s_and_saveexec_b32 s20, s5
	s_cbranch_execz .LBB347_418
; %bb.411:                              ;   in Loop: Header=BB347_15 Depth=1
	v_cmp_ne_u16_sdwa s5, v27, v22 src0_sel:BYTE_1 src1_sel:DWORD
	v_bfrev_b32_e32 v74, 1
	s_and_saveexec_b32 s21, s5
	s_cbranch_execz .LBB347_417
; %bb.412:                              ;   in Loop: Header=BB347_15 Depth=1
	v_and_b32_sdwa v0, v50, v27 dst_sel:DWORD dst_unused:UNUSED_PAD src0_sel:DWORD src1_sel:BYTE_1
	v_mov_b32_e32 v74, 0x7f800001
	s_mov_b32 s22, exec_lo
	v_and_b32_e32 v1, 0x7f, v0
	v_cmpx_ne_u32_e32 0x7f, v1
	s_cbranch_execz .LBB347_416
; %bb.413:                              ;   in Loop: Header=BB347_15 Depth=1
	v_and_b32_e32 v13, 7, v0
	v_lshrrev_b32_e32 v0, 3, v1
	s_mov_b32 s23, exec_lo
	v_cmpx_gt_u32_e32 8, v1
; %bb.414:                              ;   in Loop: Header=BB347_15 Depth=1
	v_ffbh_u32_e32 v0, v13
	v_min_u32_e32 v0, 32, v0
	v_subrev_nc_u32_e32 v1, 28, v0
	v_sub_nc_u32_e32 v0, 29, v0
	v_lshlrev_b64 v[6:7], v1, v[13:14]
	v_and_b32_e32 v13, 7, v6
; %bb.415:                              ;   in Loop: Header=BB347_15 Depth=1
	s_or_b32 exec_lo, exec_lo, s23
	v_lshlrev_b32_e32 v1, 16, v27
	v_lshlrev_b32_e32 v6, 20, v13
	v_lshl_add_u32 v0, v0, 23, 0x3c000000
	v_and_b32_e32 v1, 0x80000000, v1
	v_or3_b32 v74, v6, v1, v0
.LBB347_416:                            ;   in Loop: Header=BB347_15 Depth=1
	s_or_b32 exec_lo, exec_lo, s22
.LBB347_417:                            ;   in Loop: Header=BB347_15 Depth=1
	s_or_b32 exec_lo, exec_lo, s21
.LBB347_418:                            ;   in Loop: Header=BB347_15 Depth=1
	s_or_b32 exec_lo, exec_lo, s20
	v_and_b32_sdwa v0, v27, v18 dst_sel:DWORD dst_unused:UNUSED_PAD src0_sel:WORD_1 src1_sel:DWORD
	v_mov_b32_e32 v76, 0
	v_mov_b32_e32 v75, 0
	s_mov_b32 s20, exec_lo
	v_cmpx_ne_u16_e32 0, v0
	s_cbranch_execz .LBB347_426
; %bb.419:                              ;   in Loop: Header=BB347_15 Depth=1
	v_bfrev_b32_e32 v75, 1
	s_mov_b32 s21, exec_lo
	v_cmpx_ne_u16_e32 0x80, v0
	s_cbranch_execz .LBB347_425
; %bb.420:                              ;   in Loop: Header=BB347_15 Depth=1
	v_bfe_u32 v1, v27, 16, 7
	v_mov_b32_e32 v75, 0x7f800001
	s_mov_b32 s22, exec_lo
	v_cmpx_ne_u32_e32 0x7f, v1
	s_cbranch_execz .LBB347_424
; %bb.421:                              ;   in Loop: Header=BB347_15 Depth=1
	v_and_b32_sdwa v13, v27, v51 dst_sel:DWORD dst_unused:UNUSED_PAD src0_sel:WORD_1 src1_sel:DWORD
	v_lshrrev_b32_e32 v0, 3, v1
	s_mov_b32 s23, exec_lo
	v_cmpx_gt_u32_e32 8, v1
; %bb.422:                              ;   in Loop: Header=BB347_15 Depth=1
	v_ffbh_u32_e32 v0, v13
	v_min_u32_e32 v0, 32, v0
	v_subrev_nc_u32_e32 v1, 28, v0
	v_sub_nc_u32_e32 v0, 29, v0
	v_lshlrev_b64 v[6:7], v1, v[13:14]
	v_and_b32_e32 v13, 7, v6
; %bb.423:                              ;   in Loop: Header=BB347_15 Depth=1
	s_or_b32 exec_lo, exec_lo, s23
	v_lshlrev_b32_sdwa v1, v52, v27 dst_sel:DWORD dst_unused:UNUSED_PAD src0_sel:DWORD src1_sel:WORD_1
	v_lshlrev_b32_e32 v6, 20, v13
	v_lshl_add_u32 v0, v0, 23, 0x3c000000
	v_and_b32_e32 v1, 0x80000000, v1
	v_or3_b32 v75, v6, v1, v0
.LBB347_424:                            ;   in Loop: Header=BB347_15 Depth=1
	s_or_b32 exec_lo, exec_lo, s22
.LBB347_425:                            ;   in Loop: Header=BB347_15 Depth=1
	s_or_b32 exec_lo, exec_lo, s21
.LBB347_426:                            ;   in Loop: Header=BB347_15 Depth=1
	s_or_b32 exec_lo, exec_lo, s20
	s_mov_b32 s20, exec_lo
	v_cmpx_lt_u32_e32 0xffffff, v27
	s_cbranch_execz .LBB347_434
; %bb.427:                              ;   in Loop: Header=BB347_15 Depth=1
	v_cmp_ne_u32_sdwa s5, v27, v22 src0_sel:BYTE_3 src1_sel:DWORD
	v_bfrev_b32_e32 v76, 1
	s_and_saveexec_b32 s21, s5
	s_cbranch_execz .LBB347_433
; %bb.428:                              ;   in Loop: Header=BB347_15 Depth=1
	v_bfe_u32 v1, v27, 24, 7
	v_mov_b32_e32 v76, 0x7f800001
	s_mov_b32 s22, exec_lo
	v_cmpx_ne_u32_e32 0x7f, v1
	s_cbranch_execz .LBB347_432
; %bb.429:                              ;   in Loop: Header=BB347_15 Depth=1
	v_and_b32_sdwa v13, v27, v51 dst_sel:DWORD dst_unused:UNUSED_PAD src0_sel:BYTE_3 src1_sel:DWORD
	v_lshrrev_b32_e32 v0, 3, v1
	s_mov_b32 s23, exec_lo
	v_cmpx_gt_u32_e32 8, v1
; %bb.430:                              ;   in Loop: Header=BB347_15 Depth=1
	v_ffbh_u32_e32 v0, v13
	v_min_u32_e32 v0, 32, v0
	v_subrev_nc_u32_e32 v1, 28, v0
	v_sub_nc_u32_e32 v0, 29, v0
	v_lshlrev_b64 v[6:7], v1, v[13:14]
	v_and_b32_e32 v13, 7, v6
; %bb.431:                              ;   in Loop: Header=BB347_15 Depth=1
	s_or_b32 exec_lo, exec_lo, s23
	v_lshlrev_b32_sdwa v1, v52, v27 dst_sel:DWORD dst_unused:UNUSED_PAD src0_sel:DWORD src1_sel:BYTE_3
	v_lshlrev_b32_e32 v6, 20, v13
	v_lshl_add_u32 v0, v0, 23, 0x3c000000
	v_and_b32_e32 v1, 0x80000000, v1
	v_or3_b32 v76, v6, v1, v0
.LBB347_432:                            ;   in Loop: Header=BB347_15 Depth=1
	s_or_b32 exec_lo, exec_lo, s22
.LBB347_433:                            ;   in Loop: Header=BB347_15 Depth=1
	s_or_b32 exec_lo, exec_lo, s21
.LBB347_434:                            ;   in Loop: Header=BB347_15 Depth=1
	s_or_b32 exec_lo, exec_lo, s20
	v_mov_b32_e32 v13, v28
	v_cmp_ne_u16_sdwa s5, v28, v14 src0_sel:BYTE_0 src1_sel:DWORD
	v_mov_b32_e32 v78, 0
	v_mov_b32_e32 v77, 0
	s_and_saveexec_b32 s20, s5
	s_cbranch_execz .LBB347_442
; %bb.435:                              ;   in Loop: Header=BB347_15 Depth=1
	v_cmp_ne_u16_sdwa s5, v28, v22 src0_sel:BYTE_0 src1_sel:DWORD
	v_bfrev_b32_e32 v77, 1
	s_and_saveexec_b32 s21, s5
	s_cbranch_execz .LBB347_441
; %bb.436:                              ;   in Loop: Header=BB347_15 Depth=1
	v_and_b32_e32 v1, 0x7f, v28
	v_mov_b32_e32 v77, 0x7f800001
	s_mov_b32 s22, exec_lo
	v_cmpx_ne_u32_e32 0x7f, v1
	s_cbranch_execz .LBB347_440
; %bb.437:                              ;   in Loop: Header=BB347_15 Depth=1
	v_mov_b32_e32 v30, v14
	v_lshrrev_b32_e32 v0, 3, v1
	v_mov_b32_e32 v29, v13
	s_mov_b32 s23, exec_lo
	v_cmpx_gt_u32_e32 8, v1
; %bb.438:                              ;   in Loop: Header=BB347_15 Depth=1
	v_and_b32_e32 v0, 7, v28
	v_ffbh_u32_e32 v0, v0
	v_min_u32_e32 v0, 32, v0
	v_subrev_nc_u32_e32 v1, 28, v0
	v_sub_nc_u32_e32 v0, 29, v0
	v_lshlrev_b64 v[29:30], v1, v[13:14]
; %bb.439:                              ;   in Loop: Header=BB347_15 Depth=1
	s_or_b32 exec_lo, exec_lo, s23
	v_lshlrev_b32_e32 v1, 20, v29
	v_lshlrev_b32_e32 v6, 24, v13
	v_lshl_add_u32 v0, v0, 23, 0x3c000000
	v_and_b32_e32 v1, 0x700000, v1
	v_and_b32_e32 v6, 0x80000000, v6
	v_or3_b32 v77, v1, v6, v0
.LBB347_440:                            ;   in Loop: Header=BB347_15 Depth=1
	s_or_b32 exec_lo, exec_lo, s22
.LBB347_441:                            ;   in Loop: Header=BB347_15 Depth=1
	s_or_b32 exec_lo, exec_lo, s21
.LBB347_442:                            ;   in Loop: Header=BB347_15 Depth=1
	s_or_b32 exec_lo, exec_lo, s20
	v_cmp_ne_u16_sdwa s5, v13, v14 src0_sel:BYTE_1 src1_sel:DWORD
	s_and_saveexec_b32 s20, s5
	s_cbranch_execz .LBB347_450
; %bb.443:                              ;   in Loop: Header=BB347_15 Depth=1
	v_cmp_ne_u16_sdwa s5, v13, v22 src0_sel:BYTE_1 src1_sel:DWORD
	v_bfrev_b32_e32 v78, 1
	s_and_saveexec_b32 s21, s5
	s_cbranch_execz .LBB347_449
; %bb.444:                              ;   in Loop: Header=BB347_15 Depth=1
	v_and_b32_sdwa v0, v50, v13 dst_sel:DWORD dst_unused:UNUSED_PAD src0_sel:DWORD src1_sel:BYTE_1
	v_mov_b32_e32 v78, 0x7f800001
	s_mov_b32 s22, exec_lo
	v_and_b32_e32 v1, 0x7f, v0
	v_cmpx_ne_u32_e32 0x7f, v1
	s_cbranch_execz .LBB347_448
; %bb.445:                              ;   in Loop: Header=BB347_15 Depth=1
	v_and_b32_e32 v29, 7, v0
	v_mov_b32_e32 v30, v14
	v_lshrrev_b32_e32 v0, 3, v1
	s_mov_b32 s23, exec_lo
	v_cmpx_gt_u32_e32 8, v1
; %bb.446:                              ;   in Loop: Header=BB347_15 Depth=1
	v_ffbh_u32_e32 v0, v29
	v_min_u32_e32 v0, 32, v0
	v_subrev_nc_u32_e32 v1, 28, v0
	v_sub_nc_u32_e32 v0, 29, v0
	v_lshlrev_b64 v[6:7], v1, v[29:30]
	v_and_b32_e32 v29, 7, v6
; %bb.447:                              ;   in Loop: Header=BB347_15 Depth=1
	s_or_b32 exec_lo, exec_lo, s23
	v_lshlrev_b32_e32 v1, 16, v13
	v_lshlrev_b32_e32 v6, 20, v29
	v_lshl_add_u32 v0, v0, 23, 0x3c000000
	v_and_b32_e32 v1, 0x80000000, v1
	v_or3_b32 v78, v6, v1, v0
.LBB347_448:                            ;   in Loop: Header=BB347_15 Depth=1
	s_or_b32 exec_lo, exec_lo, s22
.LBB347_449:                            ;   in Loop: Header=BB347_15 Depth=1
	s_or_b32 exec_lo, exec_lo, s21
.LBB347_450:                            ;   in Loop: Header=BB347_15 Depth=1
	s_or_b32 exec_lo, exec_lo, s20
	v_and_b32_sdwa v0, v28, v18 dst_sel:DWORD dst_unused:UNUSED_PAD src0_sel:WORD_1 src1_sel:DWORD
	v_mov_b32_e32 v79, 0
	v_mov_b32_e32 v88, 0
	s_mov_b32 s20, exec_lo
	v_cmpx_ne_u16_e32 0, v0
	s_cbranch_execz .LBB347_458
; %bb.451:                              ;   in Loop: Header=BB347_15 Depth=1
	v_bfrev_b32_e32 v88, 1
	s_mov_b32 s21, exec_lo
	v_cmpx_ne_u16_e32 0x80, v0
	s_cbranch_execz .LBB347_457
; %bb.452:                              ;   in Loop: Header=BB347_15 Depth=1
	v_bfe_u32 v1, v28, 16, 7
	v_mov_b32_e32 v88, 0x7f800001
	s_mov_b32 s22, exec_lo
	v_cmpx_ne_u32_e32 0x7f, v1
	s_cbranch_execz .LBB347_456
; %bb.453:                              ;   in Loop: Header=BB347_15 Depth=1
	v_and_b32_sdwa v13, v28, v51 dst_sel:DWORD dst_unused:UNUSED_PAD src0_sel:WORD_1 src1_sel:DWORD
	v_mov_b32_e32 v30, v14
	v_lshrrev_b32_e32 v0, 3, v1
	s_mov_b32 s23, exec_lo
	v_mov_b32_e32 v29, v13
	v_cmpx_gt_u32_e32 8, v1
; %bb.454:                              ;   in Loop: Header=BB347_15 Depth=1
	v_ffbh_u32_e32 v0, v13
	v_min_u32_e32 v0, 32, v0
	v_subrev_nc_u32_e32 v1, 28, v0
	v_sub_nc_u32_e32 v0, 29, v0
	v_lshlrev_b64 v[6:7], v1, v[13:14]
	v_and_b32_e32 v29, 7, v6
; %bb.455:                              ;   in Loop: Header=BB347_15 Depth=1
	s_or_b32 exec_lo, exec_lo, s23
	v_lshlrev_b32_sdwa v1, v52, v28 dst_sel:DWORD dst_unused:UNUSED_PAD src0_sel:DWORD src1_sel:WORD_1
	v_lshlrev_b32_e32 v6, 20, v29
	v_lshl_add_u32 v0, v0, 23, 0x3c000000
	v_and_b32_e32 v1, 0x80000000, v1
	v_or3_b32 v88, v6, v1, v0
.LBB347_456:                            ;   in Loop: Header=BB347_15 Depth=1
	s_or_b32 exec_lo, exec_lo, s22
.LBB347_457:                            ;   in Loop: Header=BB347_15 Depth=1
	s_or_b32 exec_lo, exec_lo, s21
.LBB347_458:                            ;   in Loop: Header=BB347_15 Depth=1
	s_or_b32 exec_lo, exec_lo, s20
	s_mov_b32 s20, exec_lo
	v_cmpx_lt_u64_e64 s[12:13], v[27:28]
	s_cbranch_execz .LBB347_466
; %bb.459:                              ;   in Loop: Header=BB347_15 Depth=1
	v_cmp_ne_u32_sdwa s5, v28, v22 src0_sel:BYTE_3 src1_sel:DWORD
	v_bfrev_b32_e32 v79, 1
	s_and_saveexec_b32 s21, s5
	s_cbranch_execz .LBB347_465
; %bb.460:                              ;   in Loop: Header=BB347_15 Depth=1
	v_bfe_u32 v1, v28, 24, 7
	v_mov_b32_e32 v79, 0x7f800001
	s_mov_b32 s22, exec_lo
	v_cmpx_ne_u32_e32 0x7f, v1
	s_cbranch_execz .LBB347_464
; %bb.461:                              ;   in Loop: Header=BB347_15 Depth=1
	v_and_b32_sdwa v13, v28, v51 dst_sel:DWORD dst_unused:UNUSED_PAD src0_sel:BYTE_3 src1_sel:DWORD
	v_mov_b32_e32 v30, v14
	v_lshrrev_b32_e32 v0, 3, v1
	s_mov_b32 s23, exec_lo
	v_mov_b32_e32 v29, v13
	v_cmpx_gt_u32_e32 8, v1
; %bb.462:                              ;   in Loop: Header=BB347_15 Depth=1
	v_ffbh_u32_e32 v0, v13
	v_min_u32_e32 v0, 32, v0
	v_subrev_nc_u32_e32 v1, 28, v0
	v_sub_nc_u32_e32 v0, 29, v0
	v_lshlrev_b64 v[6:7], v1, v[13:14]
	v_and_b32_e32 v29, 7, v6
; %bb.463:                              ;   in Loop: Header=BB347_15 Depth=1
	s_or_b32 exec_lo, exec_lo, s23
	v_lshlrev_b32_sdwa v1, v52, v28 dst_sel:DWORD dst_unused:UNUSED_PAD src0_sel:DWORD src1_sel:BYTE_3
	v_lshlrev_b32_e32 v6, 20, v29
	v_lshl_add_u32 v0, v0, 23, 0x3c000000
	v_and_b32_e32 v1, 0x80000000, v1
	v_or3_b32 v79, v6, v1, v0
.LBB347_464:                            ;   in Loop: Header=BB347_15 Depth=1
	s_or_b32 exec_lo, exec_lo, s22
.LBB347_465:                            ;   in Loop: Header=BB347_15 Depth=1
	s_or_b32 exec_lo, exec_lo, s21
.LBB347_466:                            ;   in Loop: Header=BB347_15 Depth=1
	s_or_b32 exec_lo, exec_lo, s20
	flat_load_dwordx2 v[27:28], v[24:25] offset:1544
	v_mov_b32_e32 v90, 0
	v_mov_b32_e32 v89, 0
	s_waitcnt vmcnt(0) lgkmcnt(0)
	v_cmp_ne_u16_sdwa s5, v27, v14 src0_sel:BYTE_0 src1_sel:DWORD
	s_and_saveexec_b32 s20, s5
	s_cbranch_execz .LBB347_474
; %bb.467:                              ;   in Loop: Header=BB347_15 Depth=1
	v_cmp_ne_u16_sdwa s5, v27, v22 src0_sel:BYTE_0 src1_sel:DWORD
	v_bfrev_b32_e32 v89, 1
	s_and_saveexec_b32 s21, s5
	s_cbranch_execz .LBB347_473
; %bb.468:                              ;   in Loop: Header=BB347_15 Depth=1
	v_and_b32_e32 v1, 0x7f, v27
	v_mov_b32_e32 v89, 0x7f800001
	s_mov_b32 s22, exec_lo
	v_cmpx_ne_u32_e32 0x7f, v1
	s_cbranch_execz .LBB347_472
; %bb.469:                              ;   in Loop: Header=BB347_15 Depth=1
	v_mov_b32_e32 v30, v28
	v_lshrrev_b32_e32 v0, 3, v1
	v_mov_b32_e32 v29, v27
	s_mov_b32 s23, exec_lo
	v_cmpx_gt_u32_e32 8, v1
; %bb.470:                              ;   in Loop: Header=BB347_15 Depth=1
	v_and_b32_e32 v0, 7, v27
	v_ffbh_u32_e32 v0, v0
	v_min_u32_e32 v0, 32, v0
	v_subrev_nc_u32_e32 v1, 28, v0
	v_sub_nc_u32_e32 v0, 29, v0
	v_lshlrev_b64 v[29:30], v1, v[27:28]
; %bb.471:                              ;   in Loop: Header=BB347_15 Depth=1
	s_or_b32 exec_lo, exec_lo, s23
	v_lshlrev_b32_e32 v1, 20, v29
	v_lshlrev_b32_e32 v6, 24, v27
	v_lshl_add_u32 v0, v0, 23, 0x3c000000
	v_and_b32_e32 v1, 0x700000, v1
	v_and_b32_e32 v6, 0x80000000, v6
	v_or3_b32 v89, v1, v6, v0
.LBB347_472:                            ;   in Loop: Header=BB347_15 Depth=1
	s_or_b32 exec_lo, exec_lo, s22
.LBB347_473:                            ;   in Loop: Header=BB347_15 Depth=1
	s_or_b32 exec_lo, exec_lo, s21
.LBB347_474:                            ;   in Loop: Header=BB347_15 Depth=1
	s_or_b32 exec_lo, exec_lo, s20
	v_cmp_ne_u16_sdwa s5, v27, v14 src0_sel:BYTE_1 src1_sel:DWORD
	s_and_saveexec_b32 s20, s5
	s_cbranch_execz .LBB347_482
; %bb.475:                              ;   in Loop: Header=BB347_15 Depth=1
	v_cmp_ne_u16_sdwa s5, v27, v22 src0_sel:BYTE_1 src1_sel:DWORD
	v_bfrev_b32_e32 v90, 1
	s_and_saveexec_b32 s21, s5
	s_cbranch_execz .LBB347_481
; %bb.476:                              ;   in Loop: Header=BB347_15 Depth=1
	v_and_b32_sdwa v0, v50, v27 dst_sel:DWORD dst_unused:UNUSED_PAD src0_sel:DWORD src1_sel:BYTE_1
	v_mov_b32_e32 v90, 0x7f800001
	s_mov_b32 s22, exec_lo
	v_and_b32_e32 v1, 0x7f, v0
	v_cmpx_ne_u32_e32 0x7f, v1
	s_cbranch_execz .LBB347_480
; %bb.477:                              ;   in Loop: Header=BB347_15 Depth=1
	v_and_b32_e32 v13, 7, v0
	v_mov_b32_e32 v30, v14
	v_lshrrev_b32_e32 v0, 3, v1
	s_mov_b32 s23, exec_lo
	v_mov_b32_e32 v29, v13
	v_cmpx_gt_u32_e32 8, v1
; %bb.478:                              ;   in Loop: Header=BB347_15 Depth=1
	v_ffbh_u32_e32 v0, v13
	v_min_u32_e32 v0, 32, v0
	v_subrev_nc_u32_e32 v1, 28, v0
	v_sub_nc_u32_e32 v0, 29, v0
	v_lshlrev_b64 v[6:7], v1, v[13:14]
	v_and_b32_e32 v29, 7, v6
; %bb.479:                              ;   in Loop: Header=BB347_15 Depth=1
	s_or_b32 exec_lo, exec_lo, s23
	v_lshlrev_b32_e32 v1, 16, v27
	v_lshlrev_b32_e32 v6, 20, v29
	v_lshl_add_u32 v0, v0, 23, 0x3c000000
	v_and_b32_e32 v1, 0x80000000, v1
	v_or3_b32 v90, v6, v1, v0
.LBB347_480:                            ;   in Loop: Header=BB347_15 Depth=1
	s_or_b32 exec_lo, exec_lo, s22
.LBB347_481:                            ;   in Loop: Header=BB347_15 Depth=1
	s_or_b32 exec_lo, exec_lo, s21
.LBB347_482:                            ;   in Loop: Header=BB347_15 Depth=1
	s_or_b32 exec_lo, exec_lo, s20
	v_and_b32_sdwa v0, v27, v18 dst_sel:DWORD dst_unused:UNUSED_PAD src0_sel:WORD_1 src1_sel:DWORD
	v_mov_b32_e32 v92, 0
	v_mov_b32_e32 v91, 0
	s_mov_b32 s20, exec_lo
	v_cmpx_ne_u16_e32 0, v0
	s_cbranch_execz .LBB347_490
; %bb.483:                              ;   in Loop: Header=BB347_15 Depth=1
	v_bfrev_b32_e32 v91, 1
	s_mov_b32 s21, exec_lo
	v_cmpx_ne_u16_e32 0x80, v0
	s_cbranch_execz .LBB347_489
; %bb.484:                              ;   in Loop: Header=BB347_15 Depth=1
	v_bfe_u32 v1, v27, 16, 7
	v_mov_b32_e32 v91, 0x7f800001
	s_mov_b32 s22, exec_lo
	v_cmpx_ne_u32_e32 0x7f, v1
	s_cbranch_execz .LBB347_488
; %bb.485:                              ;   in Loop: Header=BB347_15 Depth=1
	v_and_b32_sdwa v13, v27, v51 dst_sel:DWORD dst_unused:UNUSED_PAD src0_sel:WORD_1 src1_sel:DWORD
	v_mov_b32_e32 v30, v14
	v_lshrrev_b32_e32 v0, 3, v1
	s_mov_b32 s23, exec_lo
	v_mov_b32_e32 v29, v13
	v_cmpx_gt_u32_e32 8, v1
; %bb.486:                              ;   in Loop: Header=BB347_15 Depth=1
	v_ffbh_u32_e32 v0, v13
	v_min_u32_e32 v0, 32, v0
	v_subrev_nc_u32_e32 v1, 28, v0
	v_sub_nc_u32_e32 v0, 29, v0
	v_lshlrev_b64 v[6:7], v1, v[13:14]
	v_and_b32_e32 v29, 7, v6
; %bb.487:                              ;   in Loop: Header=BB347_15 Depth=1
	s_or_b32 exec_lo, exec_lo, s23
	v_lshlrev_b32_sdwa v1, v52, v27 dst_sel:DWORD dst_unused:UNUSED_PAD src0_sel:DWORD src1_sel:WORD_1
	v_lshlrev_b32_e32 v6, 20, v29
	v_lshl_add_u32 v0, v0, 23, 0x3c000000
	v_and_b32_e32 v1, 0x80000000, v1
	v_or3_b32 v91, v6, v1, v0
.LBB347_488:                            ;   in Loop: Header=BB347_15 Depth=1
	s_or_b32 exec_lo, exec_lo, s22
.LBB347_489:                            ;   in Loop: Header=BB347_15 Depth=1
	s_or_b32 exec_lo, exec_lo, s21
.LBB347_490:                            ;   in Loop: Header=BB347_15 Depth=1
	s_or_b32 exec_lo, exec_lo, s20
	s_mov_b32 s20, exec_lo
	v_cmpx_lt_u32_e32 0xffffff, v27
	s_cbranch_execz .LBB347_498
; %bb.491:                              ;   in Loop: Header=BB347_15 Depth=1
	v_cmp_ne_u32_sdwa s5, v27, v22 src0_sel:BYTE_3 src1_sel:DWORD
	v_bfrev_b32_e32 v92, 1
	s_and_saveexec_b32 s21, s5
	s_cbranch_execz .LBB347_497
; %bb.492:                              ;   in Loop: Header=BB347_15 Depth=1
	v_bfe_u32 v1, v27, 24, 7
	v_mov_b32_e32 v92, 0x7f800001
	s_mov_b32 s22, exec_lo
	v_cmpx_ne_u32_e32 0x7f, v1
	s_cbranch_execz .LBB347_496
; %bb.493:                              ;   in Loop: Header=BB347_15 Depth=1
	v_and_b32_sdwa v13, v27, v51 dst_sel:DWORD dst_unused:UNUSED_PAD src0_sel:BYTE_3 src1_sel:DWORD
	v_mov_b32_e32 v30, v14
	v_lshrrev_b32_e32 v0, 3, v1
	s_mov_b32 s23, exec_lo
	v_mov_b32_e32 v29, v13
	v_cmpx_gt_u32_e32 8, v1
; %bb.494:                              ;   in Loop: Header=BB347_15 Depth=1
	v_ffbh_u32_e32 v0, v13
	v_min_u32_e32 v0, 32, v0
	v_subrev_nc_u32_e32 v1, 28, v0
	v_sub_nc_u32_e32 v0, 29, v0
	v_lshlrev_b64 v[6:7], v1, v[13:14]
	v_and_b32_e32 v29, 7, v6
; %bb.495:                              ;   in Loop: Header=BB347_15 Depth=1
	s_or_b32 exec_lo, exec_lo, s23
	v_lshlrev_b32_sdwa v1, v52, v27 dst_sel:DWORD dst_unused:UNUSED_PAD src0_sel:DWORD src1_sel:BYTE_3
	v_lshlrev_b32_e32 v6, 20, v29
	v_lshl_add_u32 v0, v0, 23, 0x3c000000
	v_and_b32_e32 v1, 0x80000000, v1
	v_or3_b32 v92, v6, v1, v0
.LBB347_496:                            ;   in Loop: Header=BB347_15 Depth=1
	s_or_b32 exec_lo, exec_lo, s22
.LBB347_497:                            ;   in Loop: Header=BB347_15 Depth=1
	s_or_b32 exec_lo, exec_lo, s21
.LBB347_498:                            ;   in Loop: Header=BB347_15 Depth=1
	s_or_b32 exec_lo, exec_lo, s20
	v_mov_b32_e32 v13, v28
	v_cmp_ne_u16_sdwa s5, v28, v14 src0_sel:BYTE_0 src1_sel:DWORD
	v_mov_b32_e32 v94, 0
	v_mov_b32_e32 v93, 0
	s_and_saveexec_b32 s20, s5
	s_cbranch_execz .LBB347_506
; %bb.499:                              ;   in Loop: Header=BB347_15 Depth=1
	v_cmp_ne_u16_sdwa s5, v28, v22 src0_sel:BYTE_0 src1_sel:DWORD
	v_bfrev_b32_e32 v93, 1
	s_and_saveexec_b32 s21, s5
	s_cbranch_execz .LBB347_505
; %bb.500:                              ;   in Loop: Header=BB347_15 Depth=1
	v_and_b32_e32 v1, 0x7f, v28
	v_mov_b32_e32 v93, 0x7f800001
	s_mov_b32 s22, exec_lo
	v_cmpx_ne_u32_e32 0x7f, v1
	s_cbranch_execz .LBB347_504
; %bb.501:                              ;   in Loop: Header=BB347_15 Depth=1
	v_mov_b32_e32 v30, v14
	v_lshrrev_b32_e32 v0, 3, v1
	v_mov_b32_e32 v29, v13
	s_mov_b32 s23, exec_lo
	v_cmpx_gt_u32_e32 8, v1
; %bb.502:                              ;   in Loop: Header=BB347_15 Depth=1
	v_and_b32_e32 v0, 7, v28
	v_ffbh_u32_e32 v0, v0
	v_min_u32_e32 v0, 32, v0
	v_subrev_nc_u32_e32 v1, 28, v0
	v_sub_nc_u32_e32 v0, 29, v0
	v_lshlrev_b64 v[29:30], v1, v[13:14]
; %bb.503:                              ;   in Loop: Header=BB347_15 Depth=1
	s_or_b32 exec_lo, exec_lo, s23
	v_lshlrev_b32_e32 v1, 20, v29
	v_lshlrev_b32_e32 v6, 24, v13
	v_lshl_add_u32 v0, v0, 23, 0x3c000000
	v_and_b32_e32 v1, 0x700000, v1
	v_and_b32_e32 v6, 0x80000000, v6
	v_or3_b32 v93, v1, v6, v0
.LBB347_504:                            ;   in Loop: Header=BB347_15 Depth=1
	s_or_b32 exec_lo, exec_lo, s22
.LBB347_505:                            ;   in Loop: Header=BB347_15 Depth=1
	s_or_b32 exec_lo, exec_lo, s21
.LBB347_506:                            ;   in Loop: Header=BB347_15 Depth=1
	s_or_b32 exec_lo, exec_lo, s20
	v_cmp_ne_u16_sdwa s5, v13, v14 src0_sel:BYTE_1 src1_sel:DWORD
	s_and_saveexec_b32 s20, s5
	s_cbranch_execz .LBB347_514
; %bb.507:                              ;   in Loop: Header=BB347_15 Depth=1
	v_cmp_ne_u16_sdwa s5, v13, v22 src0_sel:BYTE_1 src1_sel:DWORD
	v_bfrev_b32_e32 v94, 1
	s_and_saveexec_b32 s21, s5
	s_cbranch_execz .LBB347_513
; %bb.508:                              ;   in Loop: Header=BB347_15 Depth=1
	v_and_b32_sdwa v0, v50, v13 dst_sel:DWORD dst_unused:UNUSED_PAD src0_sel:DWORD src1_sel:BYTE_1
	v_mov_b32_e32 v94, 0x7f800001
	s_mov_b32 s22, exec_lo
	v_and_b32_e32 v1, 0x7f, v0
	v_cmpx_ne_u32_e32 0x7f, v1
	s_cbranch_execz .LBB347_512
; %bb.509:                              ;   in Loop: Header=BB347_15 Depth=1
	v_and_b32_e32 v29, 7, v0
	v_mov_b32_e32 v30, v14
	v_lshrrev_b32_e32 v0, 3, v1
	s_mov_b32 s23, exec_lo
	v_cmpx_gt_u32_e32 8, v1
; %bb.510:                              ;   in Loop: Header=BB347_15 Depth=1
	v_ffbh_u32_e32 v0, v29
	v_min_u32_e32 v0, 32, v0
	v_subrev_nc_u32_e32 v1, 28, v0
	v_sub_nc_u32_e32 v0, 29, v0
	v_lshlrev_b64 v[6:7], v1, v[29:30]
	v_and_b32_e32 v29, 7, v6
; %bb.511:                              ;   in Loop: Header=BB347_15 Depth=1
	s_or_b32 exec_lo, exec_lo, s23
	v_lshlrev_b32_e32 v1, 16, v13
	v_lshlrev_b32_e32 v6, 20, v29
	v_lshl_add_u32 v0, v0, 23, 0x3c000000
	v_and_b32_e32 v1, 0x80000000, v1
	v_or3_b32 v94, v6, v1, v0
.LBB347_512:                            ;   in Loop: Header=BB347_15 Depth=1
	s_or_b32 exec_lo, exec_lo, s22
.LBB347_513:                            ;   in Loop: Header=BB347_15 Depth=1
	s_or_b32 exec_lo, exec_lo, s21
.LBB347_514:                            ;   in Loop: Header=BB347_15 Depth=1
	s_or_b32 exec_lo, exec_lo, s20
	v_and_b32_sdwa v0, v28, v18 dst_sel:DWORD dst_unused:UNUSED_PAD src0_sel:WORD_1 src1_sel:DWORD
	v_mov_b32_e32 v95, 0
	v_mov_b32_e32 v104, 0
	s_mov_b32 s20, exec_lo
	v_cmpx_ne_u16_e32 0, v0
	s_cbranch_execz .LBB347_522
; %bb.515:                              ;   in Loop: Header=BB347_15 Depth=1
	v_bfrev_b32_e32 v104, 1
	s_mov_b32 s21, exec_lo
	v_cmpx_ne_u16_e32 0x80, v0
	s_cbranch_execz .LBB347_521
; %bb.516:                              ;   in Loop: Header=BB347_15 Depth=1
	v_bfe_u32 v1, v28, 16, 7
	v_mov_b32_e32 v104, 0x7f800001
	s_mov_b32 s22, exec_lo
	v_cmpx_ne_u32_e32 0x7f, v1
	s_cbranch_execz .LBB347_520
; %bb.517:                              ;   in Loop: Header=BB347_15 Depth=1
	v_and_b32_sdwa v13, v28, v51 dst_sel:DWORD dst_unused:UNUSED_PAD src0_sel:WORD_1 src1_sel:DWORD
	v_mov_b32_e32 v30, v14
	v_lshrrev_b32_e32 v0, 3, v1
	s_mov_b32 s23, exec_lo
	v_mov_b32_e32 v29, v13
	v_cmpx_gt_u32_e32 8, v1
; %bb.518:                              ;   in Loop: Header=BB347_15 Depth=1
	v_ffbh_u32_e32 v0, v13
	v_min_u32_e32 v0, 32, v0
	v_subrev_nc_u32_e32 v1, 28, v0
	v_sub_nc_u32_e32 v0, 29, v0
	v_lshlrev_b64 v[6:7], v1, v[13:14]
	v_and_b32_e32 v29, 7, v6
; %bb.519:                              ;   in Loop: Header=BB347_15 Depth=1
	s_or_b32 exec_lo, exec_lo, s23
	v_lshlrev_b32_sdwa v1, v52, v28 dst_sel:DWORD dst_unused:UNUSED_PAD src0_sel:DWORD src1_sel:WORD_1
	v_lshlrev_b32_e32 v6, 20, v29
	v_lshl_add_u32 v0, v0, 23, 0x3c000000
	v_and_b32_e32 v1, 0x80000000, v1
	v_or3_b32 v104, v6, v1, v0
.LBB347_520:                            ;   in Loop: Header=BB347_15 Depth=1
	s_or_b32 exec_lo, exec_lo, s22
.LBB347_521:                            ;   in Loop: Header=BB347_15 Depth=1
	s_or_b32 exec_lo, exec_lo, s21
.LBB347_522:                            ;   in Loop: Header=BB347_15 Depth=1
	s_or_b32 exec_lo, exec_lo, s20
	s_mov_b32 s20, exec_lo
	v_cmpx_lt_u64_e64 s[12:13], v[27:28]
	s_cbranch_execz .LBB347_530
; %bb.523:                              ;   in Loop: Header=BB347_15 Depth=1
	v_cmp_ne_u32_sdwa s5, v28, v22 src0_sel:BYTE_3 src1_sel:DWORD
	v_bfrev_b32_e32 v95, 1
	s_and_saveexec_b32 s21, s5
	s_cbranch_execz .LBB347_529
; %bb.524:                              ;   in Loop: Header=BB347_15 Depth=1
	v_bfe_u32 v1, v28, 24, 7
	v_mov_b32_e32 v95, 0x7f800001
	s_mov_b32 s22, exec_lo
	v_cmpx_ne_u32_e32 0x7f, v1
	s_cbranch_execz .LBB347_528
; %bb.525:                              ;   in Loop: Header=BB347_15 Depth=1
	v_and_b32_sdwa v13, v28, v51 dst_sel:DWORD dst_unused:UNUSED_PAD src0_sel:BYTE_3 src1_sel:DWORD
	v_mov_b32_e32 v30, v14
	v_lshrrev_b32_e32 v0, 3, v1
	s_mov_b32 s23, exec_lo
	v_mov_b32_e32 v29, v13
	v_cmpx_gt_u32_e32 8, v1
; %bb.526:                              ;   in Loop: Header=BB347_15 Depth=1
	v_ffbh_u32_e32 v0, v13
	v_min_u32_e32 v0, 32, v0
	v_subrev_nc_u32_e32 v1, 28, v0
	v_sub_nc_u32_e32 v0, 29, v0
	v_lshlrev_b64 v[6:7], v1, v[13:14]
	v_and_b32_e32 v29, 7, v6
; %bb.527:                              ;   in Loop: Header=BB347_15 Depth=1
	s_or_b32 exec_lo, exec_lo, s23
	v_lshlrev_b32_sdwa v1, v52, v28 dst_sel:DWORD dst_unused:UNUSED_PAD src0_sel:DWORD src1_sel:BYTE_3
	v_lshlrev_b32_e32 v6, 20, v29
	v_lshl_add_u32 v0, v0, 23, 0x3c000000
	v_and_b32_e32 v1, 0x80000000, v1
	v_or3_b32 v95, v6, v1, v0
.LBB347_528:                            ;   in Loop: Header=BB347_15 Depth=1
	s_or_b32 exec_lo, exec_lo, s22
.LBB347_529:                            ;   in Loop: Header=BB347_15 Depth=1
	s_or_b32 exec_lo, exec_lo, s21
.LBB347_530:                            ;   in Loop: Header=BB347_15 Depth=1
	s_or_b32 exec_lo, exec_lo, s20
	v_add_co_u32 v24, s5, 0x800, v24
	v_add_co_ci_u32_e64 v25, null, 0, v25, s5
	v_mov_b32_e32 v106, 0
	v_mov_b32_e32 v105, 0
	flat_load_dwordx2 v[27:28], v[24:25]
	s_waitcnt vmcnt(0) lgkmcnt(0)
	v_cmp_ne_u16_sdwa s5, v27, v14 src0_sel:BYTE_0 src1_sel:DWORD
	s_and_saveexec_b32 s20, s5
	s_cbranch_execz .LBB347_538
; %bb.531:                              ;   in Loop: Header=BB347_15 Depth=1
	v_cmp_ne_u16_sdwa s5, v27, v22 src0_sel:BYTE_0 src1_sel:DWORD
	v_bfrev_b32_e32 v105, 1
	s_and_saveexec_b32 s21, s5
	s_cbranch_execz .LBB347_537
; %bb.532:                              ;   in Loop: Header=BB347_15 Depth=1
	v_and_b32_e32 v1, 0x7f, v27
	v_mov_b32_e32 v105, 0x7f800001
	s_mov_b32 s22, exec_lo
	v_cmpx_ne_u32_e32 0x7f, v1
	s_cbranch_execz .LBB347_536
; %bb.533:                              ;   in Loop: Header=BB347_15 Depth=1
	v_mov_b32_e32 v30, v28
	v_lshrrev_b32_e32 v0, 3, v1
	v_mov_b32_e32 v29, v27
	s_mov_b32 s23, exec_lo
	v_cmpx_gt_u32_e32 8, v1
; %bb.534:                              ;   in Loop: Header=BB347_15 Depth=1
	v_and_b32_e32 v0, 7, v27
	v_ffbh_u32_e32 v0, v0
	v_min_u32_e32 v0, 32, v0
	v_subrev_nc_u32_e32 v1, 28, v0
	v_sub_nc_u32_e32 v0, 29, v0
	v_lshlrev_b64 v[29:30], v1, v[27:28]
; %bb.535:                              ;   in Loop: Header=BB347_15 Depth=1
	s_or_b32 exec_lo, exec_lo, s23
	v_lshlrev_b32_e32 v1, 20, v29
	v_lshlrev_b32_e32 v6, 24, v27
	v_lshl_add_u32 v0, v0, 23, 0x3c000000
	v_and_b32_e32 v1, 0x700000, v1
	v_and_b32_e32 v6, 0x80000000, v6
	v_or3_b32 v105, v1, v6, v0
.LBB347_536:                            ;   in Loop: Header=BB347_15 Depth=1
	s_or_b32 exec_lo, exec_lo, s22
.LBB347_537:                            ;   in Loop: Header=BB347_15 Depth=1
	s_or_b32 exec_lo, exec_lo, s21
.LBB347_538:                            ;   in Loop: Header=BB347_15 Depth=1
	s_or_b32 exec_lo, exec_lo, s20
	v_cmp_ne_u16_sdwa s5, v27, v14 src0_sel:BYTE_1 src1_sel:DWORD
	s_and_saveexec_b32 s20, s5
	s_cbranch_execz .LBB347_546
; %bb.539:                              ;   in Loop: Header=BB347_15 Depth=1
	v_cmp_ne_u16_sdwa s5, v27, v22 src0_sel:BYTE_1 src1_sel:DWORD
	v_bfrev_b32_e32 v106, 1
	s_and_saveexec_b32 s21, s5
	s_cbranch_execz .LBB347_545
; %bb.540:                              ;   in Loop: Header=BB347_15 Depth=1
	v_and_b32_sdwa v0, v50, v27 dst_sel:DWORD dst_unused:UNUSED_PAD src0_sel:DWORD src1_sel:BYTE_1
	v_mov_b32_e32 v106, 0x7f800001
	s_mov_b32 s22, exec_lo
	v_and_b32_e32 v1, 0x7f, v0
	v_cmpx_ne_u32_e32 0x7f, v1
	s_cbranch_execz .LBB347_544
; %bb.541:                              ;   in Loop: Header=BB347_15 Depth=1
	v_and_b32_e32 v13, 7, v0
	v_mov_b32_e32 v30, v14
	v_lshrrev_b32_e32 v0, 3, v1
	s_mov_b32 s23, exec_lo
	v_mov_b32_e32 v29, v13
	v_cmpx_gt_u32_e32 8, v1
; %bb.542:                              ;   in Loop: Header=BB347_15 Depth=1
	v_ffbh_u32_e32 v0, v13
	v_min_u32_e32 v0, 32, v0
	v_subrev_nc_u32_e32 v1, 28, v0
	v_sub_nc_u32_e32 v0, 29, v0
	v_lshlrev_b64 v[6:7], v1, v[13:14]
	v_and_b32_e32 v29, 7, v6
; %bb.543:                              ;   in Loop: Header=BB347_15 Depth=1
	s_or_b32 exec_lo, exec_lo, s23
	v_lshlrev_b32_e32 v1, 16, v27
	v_lshlrev_b32_e32 v6, 20, v29
	v_lshl_add_u32 v0, v0, 23, 0x3c000000
	v_and_b32_e32 v1, 0x80000000, v1
	v_or3_b32 v106, v6, v1, v0
.LBB347_544:                            ;   in Loop: Header=BB347_15 Depth=1
	s_or_b32 exec_lo, exec_lo, s22
.LBB347_545:                            ;   in Loop: Header=BB347_15 Depth=1
	s_or_b32 exec_lo, exec_lo, s21
.LBB347_546:                            ;   in Loop: Header=BB347_15 Depth=1
	s_or_b32 exec_lo, exec_lo, s20
	v_and_b32_sdwa v0, v27, v18 dst_sel:DWORD dst_unused:UNUSED_PAD src0_sel:WORD_1 src1_sel:DWORD
	v_mov_b32_e32 v108, 0
	v_mov_b32_e32 v107, 0
	s_mov_b32 s20, exec_lo
	v_cmpx_ne_u16_e32 0, v0
	s_cbranch_execz .LBB347_554
; %bb.547:                              ;   in Loop: Header=BB347_15 Depth=1
	v_bfrev_b32_e32 v107, 1
	s_mov_b32 s21, exec_lo
	v_cmpx_ne_u16_e32 0x80, v0
	s_cbranch_execz .LBB347_553
; %bb.548:                              ;   in Loop: Header=BB347_15 Depth=1
	v_bfe_u32 v1, v27, 16, 7
	v_mov_b32_e32 v107, 0x7f800001
	s_mov_b32 s22, exec_lo
	v_cmpx_ne_u32_e32 0x7f, v1
	s_cbranch_execz .LBB347_552
; %bb.549:                              ;   in Loop: Header=BB347_15 Depth=1
	v_and_b32_sdwa v13, v27, v51 dst_sel:DWORD dst_unused:UNUSED_PAD src0_sel:WORD_1 src1_sel:DWORD
	v_mov_b32_e32 v30, v14
	v_lshrrev_b32_e32 v0, 3, v1
	s_mov_b32 s23, exec_lo
	v_mov_b32_e32 v29, v13
	v_cmpx_gt_u32_e32 8, v1
; %bb.550:                              ;   in Loop: Header=BB347_15 Depth=1
	v_ffbh_u32_e32 v0, v13
	v_min_u32_e32 v0, 32, v0
	v_subrev_nc_u32_e32 v1, 28, v0
	v_sub_nc_u32_e32 v0, 29, v0
	v_lshlrev_b64 v[6:7], v1, v[13:14]
	v_and_b32_e32 v29, 7, v6
; %bb.551:                              ;   in Loop: Header=BB347_15 Depth=1
	s_or_b32 exec_lo, exec_lo, s23
	v_lshlrev_b32_sdwa v1, v52, v27 dst_sel:DWORD dst_unused:UNUSED_PAD src0_sel:DWORD src1_sel:WORD_1
	v_lshlrev_b32_e32 v6, 20, v29
	v_lshl_add_u32 v0, v0, 23, 0x3c000000
	v_and_b32_e32 v1, 0x80000000, v1
	v_or3_b32 v107, v6, v1, v0
.LBB347_552:                            ;   in Loop: Header=BB347_15 Depth=1
	s_or_b32 exec_lo, exec_lo, s22
.LBB347_553:                            ;   in Loop: Header=BB347_15 Depth=1
	s_or_b32 exec_lo, exec_lo, s21
.LBB347_554:                            ;   in Loop: Header=BB347_15 Depth=1
	s_or_b32 exec_lo, exec_lo, s20
	s_mov_b32 s20, exec_lo
	v_cmpx_lt_u32_e32 0xffffff, v27
	s_cbranch_execz .LBB347_562
; %bb.555:                              ;   in Loop: Header=BB347_15 Depth=1
	v_cmp_ne_u32_sdwa s5, v27, v22 src0_sel:BYTE_3 src1_sel:DWORD
	v_bfrev_b32_e32 v108, 1
	s_and_saveexec_b32 s21, s5
	s_cbranch_execz .LBB347_561
; %bb.556:                              ;   in Loop: Header=BB347_15 Depth=1
	v_bfe_u32 v1, v27, 24, 7
	v_mov_b32_e32 v108, 0x7f800001
	s_mov_b32 s22, exec_lo
	v_cmpx_ne_u32_e32 0x7f, v1
	s_cbranch_execz .LBB347_560
; %bb.557:                              ;   in Loop: Header=BB347_15 Depth=1
	v_and_b32_sdwa v13, v27, v51 dst_sel:DWORD dst_unused:UNUSED_PAD src0_sel:BYTE_3 src1_sel:DWORD
	v_mov_b32_e32 v30, v14
	v_lshrrev_b32_e32 v0, 3, v1
	s_mov_b32 s23, exec_lo
	v_mov_b32_e32 v29, v13
	v_cmpx_gt_u32_e32 8, v1
; %bb.558:                              ;   in Loop: Header=BB347_15 Depth=1
	v_ffbh_u32_e32 v0, v13
	v_min_u32_e32 v0, 32, v0
	v_subrev_nc_u32_e32 v1, 28, v0
	v_sub_nc_u32_e32 v0, 29, v0
	v_lshlrev_b64 v[6:7], v1, v[13:14]
	v_and_b32_e32 v29, 7, v6
; %bb.559:                              ;   in Loop: Header=BB347_15 Depth=1
	s_or_b32 exec_lo, exec_lo, s23
	v_lshlrev_b32_sdwa v1, v52, v27 dst_sel:DWORD dst_unused:UNUSED_PAD src0_sel:DWORD src1_sel:BYTE_3
	v_lshlrev_b32_e32 v6, 20, v29
	v_lshl_add_u32 v0, v0, 23, 0x3c000000
	v_and_b32_e32 v1, 0x80000000, v1
	v_or3_b32 v108, v6, v1, v0
.LBB347_560:                            ;   in Loop: Header=BB347_15 Depth=1
	s_or_b32 exec_lo, exec_lo, s22
.LBB347_561:                            ;   in Loop: Header=BB347_15 Depth=1
	s_or_b32 exec_lo, exec_lo, s21
.LBB347_562:                            ;   in Loop: Header=BB347_15 Depth=1
	s_or_b32 exec_lo, exec_lo, s20
	v_mov_b32_e32 v13, v28
	v_cmp_ne_u16_sdwa s5, v28, v14 src0_sel:BYTE_0 src1_sel:DWORD
	v_mov_b32_e32 v109, 0
	v_mov_b32_e32 v9, 0
	s_and_saveexec_b32 s20, s5
	s_cbranch_execz .LBB347_570
; %bb.563:                              ;   in Loop: Header=BB347_15 Depth=1
	v_cmp_ne_u16_sdwa s5, v28, v22 src0_sel:BYTE_0 src1_sel:DWORD
	v_bfrev_b32_e32 v9, 1
	s_and_saveexec_b32 s21, s5
	s_cbranch_execz .LBB347_569
; %bb.564:                              ;   in Loop: Header=BB347_15 Depth=1
	v_and_b32_e32 v1, 0x7f, v28
	v_mov_b32_e32 v9, 0x7f800001
	s_mov_b32 s22, exec_lo
	v_cmpx_ne_u32_e32 0x7f, v1
	s_cbranch_execz .LBB347_568
; %bb.565:                              ;   in Loop: Header=BB347_15 Depth=1
	v_mov_b32_e32 v30, v14
	v_lshrrev_b32_e32 v0, 3, v1
	v_mov_b32_e32 v29, v13
	s_mov_b32 s23, exec_lo
	v_cmpx_gt_u32_e32 8, v1
; %bb.566:                              ;   in Loop: Header=BB347_15 Depth=1
	v_and_b32_e32 v0, 7, v28
	v_ffbh_u32_e32 v0, v0
	v_min_u32_e32 v0, 32, v0
	v_subrev_nc_u32_e32 v1, 28, v0
	v_sub_nc_u32_e32 v0, 29, v0
	v_lshlrev_b64 v[29:30], v1, v[13:14]
; %bb.567:                              ;   in Loop: Header=BB347_15 Depth=1
	s_or_b32 exec_lo, exec_lo, s23
	v_lshlrev_b32_e32 v1, 20, v29
	v_lshlrev_b32_e32 v6, 24, v13
	v_lshl_add_u32 v0, v0, 23, 0x3c000000
	v_and_b32_e32 v1, 0x700000, v1
	v_and_b32_e32 v6, 0x80000000, v6
	v_or3_b32 v9, v1, v6, v0
.LBB347_568:                            ;   in Loop: Header=BB347_15 Depth=1
	s_or_b32 exec_lo, exec_lo, s22
.LBB347_569:                            ;   in Loop: Header=BB347_15 Depth=1
	s_or_b32 exec_lo, exec_lo, s21
.LBB347_570:                            ;   in Loop: Header=BB347_15 Depth=1
	s_or_b32 exec_lo, exec_lo, s20
	v_cmp_ne_u16_sdwa s5, v13, v14 src0_sel:BYTE_1 src1_sel:DWORD
	s_and_saveexec_b32 s20, s5
	s_cbranch_execz .LBB347_578
; %bb.571:                              ;   in Loop: Header=BB347_15 Depth=1
	v_cmp_ne_u16_sdwa s5, v13, v22 src0_sel:BYTE_1 src1_sel:DWORD
	v_bfrev_b32_e32 v109, 1
	s_and_saveexec_b32 s21, s5
	s_cbranch_execz .LBB347_577
; %bb.572:                              ;   in Loop: Header=BB347_15 Depth=1
	v_and_b32_sdwa v0, v50, v13 dst_sel:DWORD dst_unused:UNUSED_PAD src0_sel:DWORD src1_sel:BYTE_1
	v_mov_b32_e32 v109, 0x7f800001
	s_mov_b32 s22, exec_lo
	v_and_b32_e32 v1, 0x7f, v0
	v_cmpx_ne_u32_e32 0x7f, v1
	s_cbranch_execz .LBB347_576
; %bb.573:                              ;   in Loop: Header=BB347_15 Depth=1
	v_and_b32_e32 v29, 7, v0
	v_mov_b32_e32 v30, v14
	v_lshrrev_b32_e32 v0, 3, v1
	s_mov_b32 s23, exec_lo
	v_cmpx_gt_u32_e32 8, v1
; %bb.574:                              ;   in Loop: Header=BB347_15 Depth=1
	v_ffbh_u32_e32 v0, v29
	v_min_u32_e32 v0, 32, v0
	v_subrev_nc_u32_e32 v1, 28, v0
	v_sub_nc_u32_e32 v0, 29, v0
	v_lshlrev_b64 v[6:7], v1, v[29:30]
	v_and_b32_e32 v29, 7, v6
; %bb.575:                              ;   in Loop: Header=BB347_15 Depth=1
	s_or_b32 exec_lo, exec_lo, s23
	v_lshlrev_b32_e32 v1, 16, v13
	v_lshlrev_b32_e32 v6, 20, v29
	v_lshl_add_u32 v0, v0, 23, 0x3c000000
	v_and_b32_e32 v1, 0x80000000, v1
	v_or3_b32 v109, v6, v1, v0
.LBB347_576:                            ;   in Loop: Header=BB347_15 Depth=1
	s_or_b32 exec_lo, exec_lo, s22
.LBB347_577:                            ;   in Loop: Header=BB347_15 Depth=1
	s_or_b32 exec_lo, exec_lo, s21
.LBB347_578:                            ;   in Loop: Header=BB347_15 Depth=1
	s_or_b32 exec_lo, exec_lo, s20
	v_and_b32_sdwa v0, v28, v18 dst_sel:DWORD dst_unused:UNUSED_PAD src0_sel:WORD_1 src1_sel:DWORD
	v_mov_b32_e32 v110, 0
	v_mov_b32_e32 v111, 0
	s_mov_b32 s20, exec_lo
	v_cmpx_ne_u16_e32 0, v0
	s_cbranch_execz .LBB347_586
; %bb.579:                              ;   in Loop: Header=BB347_15 Depth=1
	v_bfrev_b32_e32 v111, 1
	s_mov_b32 s21, exec_lo
	v_cmpx_ne_u16_e32 0x80, v0
	s_cbranch_execz .LBB347_585
; %bb.580:                              ;   in Loop: Header=BB347_15 Depth=1
	v_bfe_u32 v1, v28, 16, 7
	v_mov_b32_e32 v111, 0x7f800001
	s_mov_b32 s22, exec_lo
	v_cmpx_ne_u32_e32 0x7f, v1
	s_cbranch_execz .LBB347_584
; %bb.581:                              ;   in Loop: Header=BB347_15 Depth=1
	v_and_b32_sdwa v13, v28, v51 dst_sel:DWORD dst_unused:UNUSED_PAD src0_sel:WORD_1 src1_sel:DWORD
	v_mov_b32_e32 v30, v14
	v_lshrrev_b32_e32 v0, 3, v1
	s_mov_b32 s23, exec_lo
	v_mov_b32_e32 v29, v13
	v_cmpx_gt_u32_e32 8, v1
; %bb.582:                              ;   in Loop: Header=BB347_15 Depth=1
	v_ffbh_u32_e32 v0, v13
	v_min_u32_e32 v0, 32, v0
	v_subrev_nc_u32_e32 v1, 28, v0
	v_sub_nc_u32_e32 v0, 29, v0
	v_lshlrev_b64 v[6:7], v1, v[13:14]
	v_and_b32_e32 v29, 7, v6
; %bb.583:                              ;   in Loop: Header=BB347_15 Depth=1
	s_or_b32 exec_lo, exec_lo, s23
	v_lshlrev_b32_sdwa v1, v52, v28 dst_sel:DWORD dst_unused:UNUSED_PAD src0_sel:DWORD src1_sel:WORD_1
	v_lshlrev_b32_e32 v6, 20, v29
	v_lshl_add_u32 v0, v0, 23, 0x3c000000
	v_and_b32_e32 v1, 0x80000000, v1
	v_or3_b32 v111, v6, v1, v0
.LBB347_584:                            ;   in Loop: Header=BB347_15 Depth=1
	s_or_b32 exec_lo, exec_lo, s22
.LBB347_585:                            ;   in Loop: Header=BB347_15 Depth=1
	s_or_b32 exec_lo, exec_lo, s21
.LBB347_586:                            ;   in Loop: Header=BB347_15 Depth=1
	s_or_b32 exec_lo, exec_lo, s20
	s_mov_b32 s20, exec_lo
	v_cmpx_lt_u64_e64 s[12:13], v[27:28]
	s_cbranch_execz .LBB347_594
; %bb.587:                              ;   in Loop: Header=BB347_15 Depth=1
	v_cmp_ne_u32_sdwa s5, v28, v22 src0_sel:BYTE_3 src1_sel:DWORD
	v_bfrev_b32_e32 v110, 1
	s_and_saveexec_b32 s21, s5
	s_cbranch_execz .LBB347_593
; %bb.588:                              ;   in Loop: Header=BB347_15 Depth=1
	v_bfe_u32 v1, v28, 24, 7
	v_mov_b32_e32 v110, 0x7f800001
	s_mov_b32 s22, exec_lo
	v_cmpx_ne_u32_e32 0x7f, v1
	s_cbranch_execz .LBB347_592
; %bb.589:                              ;   in Loop: Header=BB347_15 Depth=1
	v_and_b32_sdwa v13, v28, v51 dst_sel:DWORD dst_unused:UNUSED_PAD src0_sel:BYTE_3 src1_sel:DWORD
	v_mov_b32_e32 v30, v14
	v_lshrrev_b32_e32 v0, 3, v1
	s_mov_b32 s23, exec_lo
	v_mov_b32_e32 v29, v13
	v_cmpx_gt_u32_e32 8, v1
; %bb.590:                              ;   in Loop: Header=BB347_15 Depth=1
	v_ffbh_u32_e32 v0, v13
	v_min_u32_e32 v0, 32, v0
	v_subrev_nc_u32_e32 v1, 28, v0
	v_sub_nc_u32_e32 v0, 29, v0
	v_lshlrev_b64 v[6:7], v1, v[13:14]
	v_and_b32_e32 v29, 7, v6
; %bb.591:                              ;   in Loop: Header=BB347_15 Depth=1
	s_or_b32 exec_lo, exec_lo, s23
	v_lshlrev_b32_sdwa v1, v52, v28 dst_sel:DWORD dst_unused:UNUSED_PAD src0_sel:DWORD src1_sel:BYTE_3
	v_lshlrev_b32_e32 v6, 20, v29
	v_lshl_add_u32 v0, v0, 23, 0x3c000000
	v_and_b32_e32 v1, 0x80000000, v1
	v_or3_b32 v110, v6, v1, v0
.LBB347_592:                            ;   in Loop: Header=BB347_15 Depth=1
	s_or_b32 exec_lo, exec_lo, s22
.LBB347_593:                            ;   in Loop: Header=BB347_15 Depth=1
	s_or_b32 exec_lo, exec_lo, s21
.LBB347_594:                            ;   in Loop: Header=BB347_15 Depth=1
	s_or_b32 exec_lo, exec_lo, s20
	flat_load_dwordx2 v[27:28], v[24:25] offset:8
	v_mov_b32_e32 v121, 0
	v_mov_b32_e32 v120, 0
	s_waitcnt vmcnt(0) lgkmcnt(0)
	v_cmp_ne_u16_sdwa s5, v27, v14 src0_sel:BYTE_0 src1_sel:DWORD
	s_and_saveexec_b32 s20, s5
	s_cbranch_execz .LBB347_602
; %bb.595:                              ;   in Loop: Header=BB347_15 Depth=1
	v_cmp_ne_u16_sdwa s5, v27, v22 src0_sel:BYTE_0 src1_sel:DWORD
	v_bfrev_b32_e32 v120, 1
	s_and_saveexec_b32 s21, s5
	s_cbranch_execz .LBB347_601
; %bb.596:                              ;   in Loop: Header=BB347_15 Depth=1
	v_and_b32_e32 v1, 0x7f, v27
	v_mov_b32_e32 v120, 0x7f800001
	s_mov_b32 s22, exec_lo
	v_cmpx_ne_u32_e32 0x7f, v1
	s_cbranch_execz .LBB347_600
; %bb.597:                              ;   in Loop: Header=BB347_15 Depth=1
	v_mov_b32_e32 v30, v28
	v_lshrrev_b32_e32 v0, 3, v1
	v_mov_b32_e32 v29, v27
	s_mov_b32 s23, exec_lo
	v_cmpx_gt_u32_e32 8, v1
; %bb.598:                              ;   in Loop: Header=BB347_15 Depth=1
	v_and_b32_e32 v0, 7, v27
	v_ffbh_u32_e32 v0, v0
	v_min_u32_e32 v0, 32, v0
	v_subrev_nc_u32_e32 v1, 28, v0
	v_sub_nc_u32_e32 v0, 29, v0
	v_lshlrev_b64 v[29:30], v1, v[27:28]
; %bb.599:                              ;   in Loop: Header=BB347_15 Depth=1
	s_or_b32 exec_lo, exec_lo, s23
	v_lshlrev_b32_e32 v1, 20, v29
	v_lshlrev_b32_e32 v6, 24, v27
	v_lshl_add_u32 v0, v0, 23, 0x3c000000
	v_and_b32_e32 v1, 0x700000, v1
	v_and_b32_e32 v6, 0x80000000, v6
	v_or3_b32 v120, v1, v6, v0
.LBB347_600:                            ;   in Loop: Header=BB347_15 Depth=1
	s_or_b32 exec_lo, exec_lo, s22
.LBB347_601:                            ;   in Loop: Header=BB347_15 Depth=1
	s_or_b32 exec_lo, exec_lo, s21
.LBB347_602:                            ;   in Loop: Header=BB347_15 Depth=1
	s_or_b32 exec_lo, exec_lo, s20
	v_cmp_ne_u16_sdwa s5, v27, v14 src0_sel:BYTE_1 src1_sel:DWORD
	s_and_saveexec_b32 s20, s5
	s_cbranch_execz .LBB347_610
; %bb.603:                              ;   in Loop: Header=BB347_15 Depth=1
	v_cmp_ne_u16_sdwa s5, v27, v22 src0_sel:BYTE_1 src1_sel:DWORD
	v_bfrev_b32_e32 v121, 1
	s_and_saveexec_b32 s21, s5
	s_cbranch_execz .LBB347_609
; %bb.604:                              ;   in Loop: Header=BB347_15 Depth=1
	v_and_b32_sdwa v0, v50, v27 dst_sel:DWORD dst_unused:UNUSED_PAD src0_sel:DWORD src1_sel:BYTE_1
	v_mov_b32_e32 v121, 0x7f800001
	s_mov_b32 s22, exec_lo
	v_and_b32_e32 v1, 0x7f, v0
	v_cmpx_ne_u32_e32 0x7f, v1
	s_cbranch_execz .LBB347_608
; %bb.605:                              ;   in Loop: Header=BB347_15 Depth=1
	v_and_b32_e32 v13, 7, v0
	v_mov_b32_e32 v30, v14
	v_lshrrev_b32_e32 v0, 3, v1
	s_mov_b32 s23, exec_lo
	v_mov_b32_e32 v29, v13
	v_cmpx_gt_u32_e32 8, v1
; %bb.606:                              ;   in Loop: Header=BB347_15 Depth=1
	v_ffbh_u32_e32 v0, v13
	v_min_u32_e32 v0, 32, v0
	v_subrev_nc_u32_e32 v1, 28, v0
	v_sub_nc_u32_e32 v0, 29, v0
	v_lshlrev_b64 v[6:7], v1, v[13:14]
	v_and_b32_e32 v29, 7, v6
; %bb.607:                              ;   in Loop: Header=BB347_15 Depth=1
	s_or_b32 exec_lo, exec_lo, s23
	v_lshlrev_b32_e32 v1, 16, v27
	v_lshlrev_b32_e32 v6, 20, v29
	v_lshl_add_u32 v0, v0, 23, 0x3c000000
	v_and_b32_e32 v1, 0x80000000, v1
	v_or3_b32 v121, v6, v1, v0
.LBB347_608:                            ;   in Loop: Header=BB347_15 Depth=1
	s_or_b32 exec_lo, exec_lo, s22
.LBB347_609:                            ;   in Loop: Header=BB347_15 Depth=1
	s_or_b32 exec_lo, exec_lo, s21
.LBB347_610:                            ;   in Loop: Header=BB347_15 Depth=1
	s_or_b32 exec_lo, exec_lo, s20
	v_and_b32_sdwa v0, v27, v18 dst_sel:DWORD dst_unused:UNUSED_PAD src0_sel:WORD_1 src1_sel:DWORD
	v_mov_b32_e32 v123, 0
	v_mov_b32_e32 v122, 0
	s_mov_b32 s20, exec_lo
	v_cmpx_ne_u16_e32 0, v0
	s_cbranch_execz .LBB347_618
; %bb.611:                              ;   in Loop: Header=BB347_15 Depth=1
	v_bfrev_b32_e32 v122, 1
	s_mov_b32 s21, exec_lo
	v_cmpx_ne_u16_e32 0x80, v0
	s_cbranch_execz .LBB347_617
; %bb.612:                              ;   in Loop: Header=BB347_15 Depth=1
	v_bfe_u32 v1, v27, 16, 7
	v_mov_b32_e32 v122, 0x7f800001
	s_mov_b32 s22, exec_lo
	v_cmpx_ne_u32_e32 0x7f, v1
	s_cbranch_execz .LBB347_616
; %bb.613:                              ;   in Loop: Header=BB347_15 Depth=1
	v_and_b32_sdwa v13, v27, v51 dst_sel:DWORD dst_unused:UNUSED_PAD src0_sel:WORD_1 src1_sel:DWORD
	v_mov_b32_e32 v30, v14
	v_lshrrev_b32_e32 v0, 3, v1
	s_mov_b32 s23, exec_lo
	v_mov_b32_e32 v29, v13
	v_cmpx_gt_u32_e32 8, v1
; %bb.614:                              ;   in Loop: Header=BB347_15 Depth=1
	v_ffbh_u32_e32 v0, v13
	v_min_u32_e32 v0, 32, v0
	v_subrev_nc_u32_e32 v1, 28, v0
	v_sub_nc_u32_e32 v0, 29, v0
	v_lshlrev_b64 v[6:7], v1, v[13:14]
	v_and_b32_e32 v29, 7, v6
; %bb.615:                              ;   in Loop: Header=BB347_15 Depth=1
	s_or_b32 exec_lo, exec_lo, s23
	v_lshlrev_b32_sdwa v1, v52, v27 dst_sel:DWORD dst_unused:UNUSED_PAD src0_sel:DWORD src1_sel:WORD_1
	v_lshlrev_b32_e32 v6, 20, v29
	v_lshl_add_u32 v0, v0, 23, 0x3c000000
	v_and_b32_e32 v1, 0x80000000, v1
	v_or3_b32 v122, v6, v1, v0
.LBB347_616:                            ;   in Loop: Header=BB347_15 Depth=1
	s_or_b32 exec_lo, exec_lo, s22
.LBB347_617:                            ;   in Loop: Header=BB347_15 Depth=1
	s_or_b32 exec_lo, exec_lo, s21
.LBB347_618:                            ;   in Loop: Header=BB347_15 Depth=1
	s_or_b32 exec_lo, exec_lo, s20
	s_mov_b32 s20, exec_lo
	v_cmpx_lt_u32_e32 0xffffff, v27
	s_cbranch_execz .LBB347_626
; %bb.619:                              ;   in Loop: Header=BB347_15 Depth=1
	v_cmp_ne_u32_sdwa s5, v27, v22 src0_sel:BYTE_3 src1_sel:DWORD
	v_bfrev_b32_e32 v123, 1
	s_and_saveexec_b32 s21, s5
	s_cbranch_execz .LBB347_625
; %bb.620:                              ;   in Loop: Header=BB347_15 Depth=1
	v_bfe_u32 v1, v27, 24, 7
	v_mov_b32_e32 v123, 0x7f800001
	s_mov_b32 s22, exec_lo
	v_cmpx_ne_u32_e32 0x7f, v1
	s_cbranch_execz .LBB347_624
; %bb.621:                              ;   in Loop: Header=BB347_15 Depth=1
	v_and_b32_sdwa v13, v27, v51 dst_sel:DWORD dst_unused:UNUSED_PAD src0_sel:BYTE_3 src1_sel:DWORD
	v_mov_b32_e32 v30, v14
	v_lshrrev_b32_e32 v0, 3, v1
	s_mov_b32 s23, exec_lo
	v_mov_b32_e32 v29, v13
	v_cmpx_gt_u32_e32 8, v1
; %bb.622:                              ;   in Loop: Header=BB347_15 Depth=1
	v_ffbh_u32_e32 v0, v13
	v_min_u32_e32 v0, 32, v0
	v_subrev_nc_u32_e32 v1, 28, v0
	v_sub_nc_u32_e32 v0, 29, v0
	v_lshlrev_b64 v[6:7], v1, v[13:14]
	v_and_b32_e32 v29, 7, v6
; %bb.623:                              ;   in Loop: Header=BB347_15 Depth=1
	s_or_b32 exec_lo, exec_lo, s23
	v_lshlrev_b32_sdwa v1, v52, v27 dst_sel:DWORD dst_unused:UNUSED_PAD src0_sel:DWORD src1_sel:BYTE_3
	v_lshlrev_b32_e32 v6, 20, v29
	v_lshl_add_u32 v0, v0, 23, 0x3c000000
	v_and_b32_e32 v1, 0x80000000, v1
	v_or3_b32 v123, v6, v1, v0
.LBB347_624:                            ;   in Loop: Header=BB347_15 Depth=1
	s_or_b32 exec_lo, exec_lo, s22
.LBB347_625:                            ;   in Loop: Header=BB347_15 Depth=1
	s_or_b32 exec_lo, exec_lo, s21
.LBB347_626:                            ;   in Loop: Header=BB347_15 Depth=1
	s_or_b32 exec_lo, exec_lo, s20
	v_mov_b32_e32 v13, v28
	v_cmp_ne_u16_sdwa s5, v28, v14 src0_sel:BYTE_0 src1_sel:DWORD
	v_mov_b32_e32 v125, 0
	v_mov_b32_e32 v124, 0
	s_and_saveexec_b32 s20, s5
	s_cbranch_execz .LBB347_634
; %bb.627:                              ;   in Loop: Header=BB347_15 Depth=1
	v_cmp_ne_u16_sdwa s5, v28, v22 src0_sel:BYTE_0 src1_sel:DWORD
	v_bfrev_b32_e32 v124, 1
	s_and_saveexec_b32 s21, s5
	s_cbranch_execz .LBB347_633
; %bb.628:                              ;   in Loop: Header=BB347_15 Depth=1
	v_and_b32_e32 v1, 0x7f, v28
	v_mov_b32_e32 v124, 0x7f800001
	s_mov_b32 s22, exec_lo
	v_cmpx_ne_u32_e32 0x7f, v1
	s_cbranch_execz .LBB347_632
; %bb.629:                              ;   in Loop: Header=BB347_15 Depth=1
	v_mov_b32_e32 v30, v14
	v_lshrrev_b32_e32 v0, 3, v1
	v_mov_b32_e32 v29, v13
	s_mov_b32 s23, exec_lo
	v_cmpx_gt_u32_e32 8, v1
; %bb.630:                              ;   in Loop: Header=BB347_15 Depth=1
	v_and_b32_e32 v0, 7, v28
	v_ffbh_u32_e32 v0, v0
	v_min_u32_e32 v0, 32, v0
	v_subrev_nc_u32_e32 v1, 28, v0
	v_sub_nc_u32_e32 v0, 29, v0
	v_lshlrev_b64 v[29:30], v1, v[13:14]
; %bb.631:                              ;   in Loop: Header=BB347_15 Depth=1
	s_or_b32 exec_lo, exec_lo, s23
	v_lshlrev_b32_e32 v1, 20, v29
	v_lshlrev_b32_e32 v6, 24, v13
	v_lshl_add_u32 v0, v0, 23, 0x3c000000
	v_and_b32_e32 v1, 0x700000, v1
	v_and_b32_e32 v6, 0x80000000, v6
	v_or3_b32 v124, v1, v6, v0
.LBB347_632:                            ;   in Loop: Header=BB347_15 Depth=1
	s_or_b32 exec_lo, exec_lo, s22
.LBB347_633:                            ;   in Loop: Header=BB347_15 Depth=1
	s_or_b32 exec_lo, exec_lo, s21
.LBB347_634:                            ;   in Loop: Header=BB347_15 Depth=1
	s_or_b32 exec_lo, exec_lo, s20
	v_cmp_ne_u16_sdwa s5, v13, v14 src0_sel:BYTE_1 src1_sel:DWORD
	s_and_saveexec_b32 s20, s5
	s_cbranch_execz .LBB347_642
; %bb.635:                              ;   in Loop: Header=BB347_15 Depth=1
	v_cmp_ne_u16_sdwa s5, v13, v22 src0_sel:BYTE_1 src1_sel:DWORD
	v_bfrev_b32_e32 v125, 1
	s_and_saveexec_b32 s21, s5
	s_cbranch_execz .LBB347_641
; %bb.636:                              ;   in Loop: Header=BB347_15 Depth=1
	v_and_b32_sdwa v0, v50, v13 dst_sel:DWORD dst_unused:UNUSED_PAD src0_sel:DWORD src1_sel:BYTE_1
	v_mov_b32_e32 v125, 0x7f800001
	s_mov_b32 s22, exec_lo
	v_and_b32_e32 v1, 0x7f, v0
	v_cmpx_ne_u32_e32 0x7f, v1
	s_cbranch_execz .LBB347_640
; %bb.637:                              ;   in Loop: Header=BB347_15 Depth=1
	v_and_b32_e32 v29, 7, v0
	v_mov_b32_e32 v30, v14
	v_lshrrev_b32_e32 v0, 3, v1
	s_mov_b32 s23, exec_lo
	v_cmpx_gt_u32_e32 8, v1
; %bb.638:                              ;   in Loop: Header=BB347_15 Depth=1
	v_ffbh_u32_e32 v0, v29
	v_min_u32_e32 v0, 32, v0
	v_subrev_nc_u32_e32 v1, 28, v0
	v_sub_nc_u32_e32 v0, 29, v0
	v_lshlrev_b64 v[6:7], v1, v[29:30]
	v_and_b32_e32 v29, 7, v6
; %bb.639:                              ;   in Loop: Header=BB347_15 Depth=1
	s_or_b32 exec_lo, exec_lo, s23
	v_lshlrev_b32_e32 v1, 16, v13
	v_lshlrev_b32_e32 v6, 20, v29
	v_lshl_add_u32 v0, v0, 23, 0x3c000000
	v_and_b32_e32 v1, 0x80000000, v1
	v_or3_b32 v125, v6, v1, v0
.LBB347_640:                            ;   in Loop: Header=BB347_15 Depth=1
	s_or_b32 exec_lo, exec_lo, s22
.LBB347_641:                            ;   in Loop: Header=BB347_15 Depth=1
	s_or_b32 exec_lo, exec_lo, s21
.LBB347_642:                            ;   in Loop: Header=BB347_15 Depth=1
	s_or_b32 exec_lo, exec_lo, s20
	v_and_b32_sdwa v0, v28, v18 dst_sel:DWORD dst_unused:UNUSED_PAD src0_sel:WORD_1 src1_sel:DWORD
	v_mov_b32_e32 v12, 0
	v_mov_b32_e32 v35, 0
	s_mov_b32 s20, exec_lo
	v_cmpx_ne_u16_e32 0, v0
	s_cbranch_execz .LBB347_650
; %bb.643:                              ;   in Loop: Header=BB347_15 Depth=1
	v_bfrev_b32_e32 v35, 1
	s_mov_b32 s21, exec_lo
	v_cmpx_ne_u16_e32 0x80, v0
	s_cbranch_execz .LBB347_649
; %bb.644:                              ;   in Loop: Header=BB347_15 Depth=1
	v_bfe_u32 v1, v28, 16, 7
	v_mov_b32_e32 v35, 0x7f800001
	s_mov_b32 s22, exec_lo
	v_cmpx_ne_u32_e32 0x7f, v1
	s_cbranch_execz .LBB347_648
; %bb.645:                              ;   in Loop: Header=BB347_15 Depth=1
	v_and_b32_sdwa v13, v28, v51 dst_sel:DWORD dst_unused:UNUSED_PAD src0_sel:WORD_1 src1_sel:DWORD
	v_mov_b32_e32 v30, v14
	v_lshrrev_b32_e32 v0, 3, v1
	s_mov_b32 s23, exec_lo
	v_mov_b32_e32 v29, v13
	v_cmpx_gt_u32_e32 8, v1
; %bb.646:                              ;   in Loop: Header=BB347_15 Depth=1
	v_ffbh_u32_e32 v0, v13
	v_min_u32_e32 v0, 32, v0
	v_subrev_nc_u32_e32 v1, 28, v0
	v_sub_nc_u32_e32 v0, 29, v0
	v_lshlrev_b64 v[6:7], v1, v[13:14]
	v_and_b32_e32 v29, 7, v6
; %bb.647:                              ;   in Loop: Header=BB347_15 Depth=1
	s_or_b32 exec_lo, exec_lo, s23
	v_lshlrev_b32_sdwa v1, v52, v28 dst_sel:DWORD dst_unused:UNUSED_PAD src0_sel:DWORD src1_sel:WORD_1
	v_lshlrev_b32_e32 v6, 20, v29
	v_lshl_add_u32 v0, v0, 23, 0x3c000000
	v_and_b32_e32 v1, 0x80000000, v1
	v_or3_b32 v35, v6, v1, v0
.LBB347_648:                            ;   in Loop: Header=BB347_15 Depth=1
	s_or_b32 exec_lo, exec_lo, s22
.LBB347_649:                            ;   in Loop: Header=BB347_15 Depth=1
	s_or_b32 exec_lo, exec_lo, s21
.LBB347_650:                            ;   in Loop: Header=BB347_15 Depth=1
	s_or_b32 exec_lo, exec_lo, s20
	s_mov_b32 s20, exec_lo
	v_cmpx_lt_u64_e64 s[12:13], v[27:28]
	s_cbranch_execz .LBB347_658
; %bb.651:                              ;   in Loop: Header=BB347_15 Depth=1
	v_cmp_ne_u32_sdwa s5, v28, v22 src0_sel:BYTE_3 src1_sel:DWORD
	v_bfrev_b32_e32 v12, 1
	s_and_saveexec_b32 s21, s5
	s_cbranch_execz .LBB347_657
; %bb.652:                              ;   in Loop: Header=BB347_15 Depth=1
	v_bfe_u32 v1, v28, 24, 7
	v_mov_b32_e32 v12, 0x7f800001
	s_mov_b32 s22, exec_lo
	v_cmpx_ne_u32_e32 0x7f, v1
	s_cbranch_execz .LBB347_656
; %bb.653:                              ;   in Loop: Header=BB347_15 Depth=1
	v_and_b32_sdwa v13, v28, v51 dst_sel:DWORD dst_unused:UNUSED_PAD src0_sel:BYTE_3 src1_sel:DWORD
	v_mov_b32_e32 v30, v14
	v_lshrrev_b32_e32 v0, 3, v1
	s_mov_b32 s23, exec_lo
	v_mov_b32_e32 v29, v13
	v_cmpx_gt_u32_e32 8, v1
; %bb.654:                              ;   in Loop: Header=BB347_15 Depth=1
	v_ffbh_u32_e32 v0, v13
	v_min_u32_e32 v0, 32, v0
	v_subrev_nc_u32_e32 v1, 28, v0
	v_sub_nc_u32_e32 v0, 29, v0
	v_lshlrev_b64 v[6:7], v1, v[13:14]
	v_and_b32_e32 v29, 7, v6
; %bb.655:                              ;   in Loop: Header=BB347_15 Depth=1
	s_or_b32 exec_lo, exec_lo, s23
	v_lshlrev_b32_sdwa v1, v52, v28 dst_sel:DWORD dst_unused:UNUSED_PAD src0_sel:DWORD src1_sel:BYTE_3
	v_lshlrev_b32_e32 v6, 20, v29
	v_lshl_add_u32 v0, v0, 23, 0x3c000000
	v_and_b32_e32 v1, 0x80000000, v1
	v_or3_b32 v12, v6, v1, v0
.LBB347_656:                            ;   in Loop: Header=BB347_15 Depth=1
	s_or_b32 exec_lo, exec_lo, s22
.LBB347_657:                            ;   in Loop: Header=BB347_15 Depth=1
	s_or_b32 exec_lo, exec_lo, s21
.LBB347_658:                            ;   in Loop: Header=BB347_15 Depth=1
	s_or_b32 exec_lo, exec_lo, s20
	flat_load_dwordx2 v[27:28], v[24:25] offset:512
	v_mov_b32_e32 v126, 0
	v_mov_b32_e32 v39, 0
	s_waitcnt vmcnt(0) lgkmcnt(0)
	v_cmp_ne_u16_sdwa s5, v27, v14 src0_sel:BYTE_0 src1_sel:DWORD
	s_and_saveexec_b32 s20, s5
	s_cbranch_execz .LBB347_666
; %bb.659:                              ;   in Loop: Header=BB347_15 Depth=1
	v_cmp_ne_u16_sdwa s5, v27, v22 src0_sel:BYTE_0 src1_sel:DWORD
	v_bfrev_b32_e32 v39, 1
	s_and_saveexec_b32 s21, s5
	s_cbranch_execz .LBB347_665
; %bb.660:                              ;   in Loop: Header=BB347_15 Depth=1
	v_and_b32_e32 v1, 0x7f, v27
	v_mov_b32_e32 v39, 0x7f800001
	s_mov_b32 s22, exec_lo
	v_cmpx_ne_u32_e32 0x7f, v1
	s_cbranch_execz .LBB347_664
; %bb.661:                              ;   in Loop: Header=BB347_15 Depth=1
	v_mov_b32_e32 v30, v28
	v_lshrrev_b32_e32 v0, 3, v1
	v_mov_b32_e32 v29, v27
	s_mov_b32 s23, exec_lo
	v_cmpx_gt_u32_e32 8, v1
; %bb.662:                              ;   in Loop: Header=BB347_15 Depth=1
	v_and_b32_e32 v0, 7, v27
	v_ffbh_u32_e32 v0, v0
	v_min_u32_e32 v0, 32, v0
	v_subrev_nc_u32_e32 v1, 28, v0
	v_sub_nc_u32_e32 v0, 29, v0
	v_lshlrev_b64 v[29:30], v1, v[27:28]
; %bb.663:                              ;   in Loop: Header=BB347_15 Depth=1
	s_or_b32 exec_lo, exec_lo, s23
	v_lshlrev_b32_e32 v1, 20, v29
	v_lshlrev_b32_e32 v6, 24, v27
	v_lshl_add_u32 v0, v0, 23, 0x3c000000
	v_and_b32_e32 v1, 0x700000, v1
	v_and_b32_e32 v6, 0x80000000, v6
	v_or3_b32 v39, v1, v6, v0
.LBB347_664:                            ;   in Loop: Header=BB347_15 Depth=1
	s_or_b32 exec_lo, exec_lo, s22
.LBB347_665:                            ;   in Loop: Header=BB347_15 Depth=1
	s_or_b32 exec_lo, exec_lo, s21
.LBB347_666:                            ;   in Loop: Header=BB347_15 Depth=1
	s_or_b32 exec_lo, exec_lo, s20
	v_cmp_ne_u16_sdwa s5, v27, v14 src0_sel:BYTE_1 src1_sel:DWORD
	s_and_saveexec_b32 s20, s5
	s_cbranch_execz .LBB347_674
; %bb.667:                              ;   in Loop: Header=BB347_15 Depth=1
	v_cmp_ne_u16_sdwa s5, v27, v22 src0_sel:BYTE_1 src1_sel:DWORD
	v_bfrev_b32_e32 v126, 1
	s_and_saveexec_b32 s21, s5
	s_cbranch_execz .LBB347_673
; %bb.668:                              ;   in Loop: Header=BB347_15 Depth=1
	v_and_b32_sdwa v0, v50, v27 dst_sel:DWORD dst_unused:UNUSED_PAD src0_sel:DWORD src1_sel:BYTE_1
	v_mov_b32_e32 v126, 0x7f800001
	s_mov_b32 s22, exec_lo
	v_and_b32_e32 v1, 0x7f, v0
	v_cmpx_ne_u32_e32 0x7f, v1
	s_cbranch_execz .LBB347_672
; %bb.669:                              ;   in Loop: Header=BB347_15 Depth=1
	v_and_b32_e32 v13, 7, v0
	v_mov_b32_e32 v30, v14
	v_lshrrev_b32_e32 v0, 3, v1
	s_mov_b32 s23, exec_lo
	v_mov_b32_e32 v29, v13
	v_cmpx_gt_u32_e32 8, v1
; %bb.670:                              ;   in Loop: Header=BB347_15 Depth=1
	v_ffbh_u32_e32 v0, v13
	v_min_u32_e32 v0, 32, v0
	v_subrev_nc_u32_e32 v1, 28, v0
	v_sub_nc_u32_e32 v0, 29, v0
	v_lshlrev_b64 v[6:7], v1, v[13:14]
	v_and_b32_e32 v29, 7, v6
; %bb.671:                              ;   in Loop: Header=BB347_15 Depth=1
	s_or_b32 exec_lo, exec_lo, s23
	v_lshlrev_b32_e32 v1, 16, v27
	v_lshlrev_b32_e32 v6, 20, v29
	v_lshl_add_u32 v0, v0, 23, 0x3c000000
	v_and_b32_e32 v1, 0x80000000, v1
	v_or3_b32 v126, v6, v1, v0
.LBB347_672:                            ;   in Loop: Header=BB347_15 Depth=1
	s_or_b32 exec_lo, exec_lo, s22
.LBB347_673:                            ;   in Loop: Header=BB347_15 Depth=1
	s_or_b32 exec_lo, exec_lo, s21
.LBB347_674:                            ;   in Loop: Header=BB347_15 Depth=1
	s_or_b32 exec_lo, exec_lo, s20
	v_and_b32_sdwa v6, v27, v18 dst_sel:DWORD dst_unused:UNUSED_PAD src0_sel:WORD_1 src1_sel:DWORD
	v_mov_b32_e32 v0, 0
	v_mov_b32_e32 v1, 0
	s_mov_b32 s20, exec_lo
	v_cmpx_ne_u16_e32 0, v6
	s_cbranch_execz .LBB347_682
; %bb.675:                              ;   in Loop: Header=BB347_15 Depth=1
	v_bfrev_b32_e32 v1, 1
	s_mov_b32 s21, exec_lo
	v_cmpx_ne_u16_e32 0x80, v6
	s_cbranch_execz .LBB347_681
; %bb.676:                              ;   in Loop: Header=BB347_15 Depth=1
	v_bfe_u32 v6, v27, 16, 7
	v_mov_b32_e32 v1, 0x7f800001
	s_mov_b32 s22, exec_lo
	v_cmpx_ne_u32_e32 0x7f, v6
	s_cbranch_execz .LBB347_680
; %bb.677:                              ;   in Loop: Header=BB347_15 Depth=1
	v_and_b32_sdwa v13, v27, v51 dst_sel:DWORD dst_unused:UNUSED_PAD src0_sel:WORD_1 src1_sel:DWORD
	v_mov_b32_e32 v30, v14
	v_lshrrev_b32_e32 v1, 3, v6
	s_mov_b32 s23, exec_lo
	v_mov_b32_e32 v29, v13
	v_cmpx_gt_u32_e32 8, v6
; %bb.678:                              ;   in Loop: Header=BB347_15 Depth=1
	v_ffbh_u32_e32 v1, v13
	v_min_u32_e32 v1, 32, v1
	v_subrev_nc_u32_e32 v6, 28, v1
	v_sub_nc_u32_e32 v1, 29, v1
	v_lshlrev_b64 v[6:7], v6, v[13:14]
	v_and_b32_e32 v29, 7, v6
; %bb.679:                              ;   in Loop: Header=BB347_15 Depth=1
	s_or_b32 exec_lo, exec_lo, s23
	v_lshlrev_b32_sdwa v6, v52, v27 dst_sel:DWORD dst_unused:UNUSED_PAD src0_sel:DWORD src1_sel:WORD_1
	v_lshlrev_b32_e32 v7, 20, v29
	v_lshl_add_u32 v1, v1, 23, 0x3c000000
	v_and_b32_e32 v6, 0x80000000, v6
	v_or3_b32 v1, v7, v6, v1
.LBB347_680:                            ;   in Loop: Header=BB347_15 Depth=1
	s_or_b32 exec_lo, exec_lo, s22
.LBB347_681:                            ;   in Loop: Header=BB347_15 Depth=1
	s_or_b32 exec_lo, exec_lo, s21
.LBB347_682:                            ;   in Loop: Header=BB347_15 Depth=1
	s_or_b32 exec_lo, exec_lo, s20
	s_mov_b32 s20, exec_lo
	v_cmpx_lt_u32_e32 0xffffff, v27
	s_cbranch_execz .LBB347_690
; %bb.683:                              ;   in Loop: Header=BB347_15 Depth=1
	v_cmp_ne_u32_sdwa s5, v27, v22 src0_sel:BYTE_3 src1_sel:DWORD
	v_bfrev_b32_e32 v0, 1
	s_and_saveexec_b32 s21, s5
	s_cbranch_execz .LBB347_689
; %bb.684:                              ;   in Loop: Header=BB347_15 Depth=1
	v_bfe_u32 v6, v27, 24, 7
	v_mov_b32_e32 v0, 0x7f800001
	s_mov_b32 s22, exec_lo
	v_cmpx_ne_u32_e32 0x7f, v6
	s_cbranch_execz .LBB347_688
; %bb.685:                              ;   in Loop: Header=BB347_15 Depth=1
	v_and_b32_sdwa v13, v27, v51 dst_sel:DWORD dst_unused:UNUSED_PAD src0_sel:BYTE_3 src1_sel:DWORD
	v_mov_b32_e32 v30, v14
	v_lshrrev_b32_e32 v0, 3, v6
	s_mov_b32 s23, exec_lo
	v_mov_b32_e32 v29, v13
	v_cmpx_gt_u32_e32 8, v6
; %bb.686:                              ;   in Loop: Header=BB347_15 Depth=1
	v_ffbh_u32_e32 v0, v13
	v_min_u32_e32 v0, 32, v0
	v_subrev_nc_u32_e32 v6, 28, v0
	v_sub_nc_u32_e32 v0, 29, v0
	v_lshlrev_b64 v[6:7], v6, v[13:14]
	v_and_b32_e32 v29, 7, v6
; %bb.687:                              ;   in Loop: Header=BB347_15 Depth=1
	s_or_b32 exec_lo, exec_lo, s23
	v_lshlrev_b32_sdwa v6, v52, v27 dst_sel:DWORD dst_unused:UNUSED_PAD src0_sel:DWORD src1_sel:BYTE_3
	v_lshlrev_b32_e32 v7, 20, v29
	v_lshl_add_u32 v0, v0, 23, 0x3c000000
	v_and_b32_e32 v6, 0x80000000, v6
	v_or3_b32 v0, v7, v6, v0
.LBB347_688:                            ;   in Loop: Header=BB347_15 Depth=1
	s_or_b32 exec_lo, exec_lo, s22
.LBB347_689:                            ;   in Loop: Header=BB347_15 Depth=1
	s_or_b32 exec_lo, exec_lo, s21
.LBB347_690:                            ;   in Loop: Header=BB347_15 Depth=1
	s_or_b32 exec_lo, exec_lo, s20
	v_mov_b32_e32 v13, v28
	v_cmp_ne_u16_sdwa s5, v28, v14 src0_sel:BYTE_0 src1_sel:DWORD
	v_mov_b32_e32 v7, 0
	v_mov_b32_e32 v17, 0
	s_and_saveexec_b32 s20, s5
	s_cbranch_execz .LBB347_698
; %bb.691:                              ;   in Loop: Header=BB347_15 Depth=1
	v_cmp_ne_u16_sdwa s5, v28, v22 src0_sel:BYTE_0 src1_sel:DWORD
	v_bfrev_b32_e32 v17, 1
	s_and_saveexec_b32 s21, s5
	s_cbranch_execz .LBB347_697
; %bb.692:                              ;   in Loop: Header=BB347_15 Depth=1
	v_and_b32_e32 v8, 0x7f, v28
	v_mov_b32_e32 v17, 0x7f800001
	s_mov_b32 s22, exec_lo
	v_cmpx_ne_u32_e32 0x7f, v8
	s_cbranch_execz .LBB347_696
; %bb.693:                              ;   in Loop: Header=BB347_15 Depth=1
	v_mov_b32_e32 v30, v14
	v_lshrrev_b32_e32 v6, 3, v8
	v_mov_b32_e32 v29, v13
	s_mov_b32 s23, exec_lo
	v_cmpx_gt_u32_e32 8, v8
; %bb.694:                              ;   in Loop: Header=BB347_15 Depth=1
	v_and_b32_e32 v6, 7, v28
	v_ffbh_u32_e32 v6, v6
	v_min_u32_e32 v6, 32, v6
	v_subrev_nc_u32_e32 v8, 28, v6
	v_sub_nc_u32_e32 v6, 29, v6
	v_lshlrev_b64 v[29:30], v8, v[13:14]
; %bb.695:                              ;   in Loop: Header=BB347_15 Depth=1
	s_or_b32 exec_lo, exec_lo, s23
	v_lshlrev_b32_e32 v8, 20, v29
	v_lshlrev_b32_e32 v10, 24, v13
	v_lshl_add_u32 v6, v6, 23, 0x3c000000
	v_and_b32_e32 v8, 0x700000, v8
	v_and_b32_e32 v10, 0x80000000, v10
	v_or3_b32 v17, v8, v10, v6
.LBB347_696:                            ;   in Loop: Header=BB347_15 Depth=1
	s_or_b32 exec_lo, exec_lo, s22
.LBB347_697:                            ;   in Loop: Header=BB347_15 Depth=1
	s_or_b32 exec_lo, exec_lo, s21
.LBB347_698:                            ;   in Loop: Header=BB347_15 Depth=1
	s_or_b32 exec_lo, exec_lo, s20
	v_cmp_ne_u16_sdwa s5, v13, v14 src0_sel:BYTE_1 src1_sel:DWORD
	s_and_saveexec_b32 s20, s5
	s_cbranch_execz .LBB347_706
; %bb.699:                              ;   in Loop: Header=BB347_15 Depth=1
	v_cmp_ne_u16_sdwa s5, v13, v22 src0_sel:BYTE_1 src1_sel:DWORD
	v_bfrev_b32_e32 v7, 1
	s_and_saveexec_b32 s21, s5
	s_cbranch_execz .LBB347_705
; %bb.700:                              ;   in Loop: Header=BB347_15 Depth=1
	v_and_b32_sdwa v6, v50, v13 dst_sel:DWORD dst_unused:UNUSED_PAD src0_sel:DWORD src1_sel:BYTE_1
	v_mov_b32_e32 v7, 0x7f800001
	s_mov_b32 s22, exec_lo
	v_and_b32_e32 v8, 0x7f, v6
	v_cmpx_ne_u32_e32 0x7f, v8
	s_cbranch_execz .LBB347_704
; %bb.701:                              ;   in Loop: Header=BB347_15 Depth=1
	v_and_b32_e32 v29, 7, v6
	v_mov_b32_e32 v30, v14
	v_lshrrev_b32_e32 v6, 3, v8
	s_mov_b32 s23, exec_lo
	v_cmpx_gt_u32_e32 8, v8
; %bb.702:                              ;   in Loop: Header=BB347_15 Depth=1
	v_ffbh_u32_e32 v6, v29
	v_min_u32_e32 v6, 32, v6
	v_subrev_nc_u32_e32 v7, 28, v6
	v_sub_nc_u32_e32 v6, 29, v6
	v_lshlrev_b64 v[7:8], v7, v[29:30]
	v_and_b32_e32 v29, 7, v7
; %bb.703:                              ;   in Loop: Header=BB347_15 Depth=1
	s_or_b32 exec_lo, exec_lo, s23
	v_lshlrev_b32_e32 v7, 16, v13
	v_lshlrev_b32_e32 v8, 20, v29
	v_lshl_add_u32 v6, v6, 23, 0x3c000000
	v_and_b32_e32 v7, 0x80000000, v7
	v_or3_b32 v7, v8, v7, v6
.LBB347_704:                            ;   in Loop: Header=BB347_15 Depth=1
	s_or_b32 exec_lo, exec_lo, s22
.LBB347_705:                            ;   in Loop: Header=BB347_15 Depth=1
	s_or_b32 exec_lo, exec_lo, s21
.LBB347_706:                            ;   in Loop: Header=BB347_15 Depth=1
	s_or_b32 exec_lo, exec_lo, s20
	v_and_b32_sdwa v6, v28, v18 dst_sel:DWORD dst_unused:UNUSED_PAD src0_sel:WORD_1 src1_sel:DWORD
	v_mov_b32_e32 v11, 0
	v_mov_b32_e32 v10, 0
	s_mov_b32 s20, exec_lo
	v_cmpx_ne_u16_e32 0, v6
	s_cbranch_execz .LBB347_714
; %bb.707:                              ;   in Loop: Header=BB347_15 Depth=1
	v_bfrev_b32_e32 v10, 1
	s_mov_b32 s21, exec_lo
	v_cmpx_ne_u16_e32 0x80, v6
	s_cbranch_execz .LBB347_713
; %bb.708:                              ;   in Loop: Header=BB347_15 Depth=1
	v_bfe_u32 v8, v28, 16, 7
	v_mov_b32_e32 v10, 0x7f800001
	s_mov_b32 s22, exec_lo
	v_cmpx_ne_u32_e32 0x7f, v8
	s_cbranch_execz .LBB347_712
; %bb.709:                              ;   in Loop: Header=BB347_15 Depth=1
	v_and_b32_sdwa v13, v28, v51 dst_sel:DWORD dst_unused:UNUSED_PAD src0_sel:WORD_1 src1_sel:DWORD
	v_mov_b32_e32 v30, v14
	v_lshrrev_b32_e32 v6, 3, v8
	s_mov_b32 s23, exec_lo
	v_mov_b32_e32 v29, v13
	v_cmpx_gt_u32_e32 8, v8
; %bb.710:                              ;   in Loop: Header=BB347_15 Depth=1
	v_ffbh_u32_e32 v6, v13
	v_min_u32_e32 v6, 32, v6
	v_subrev_nc_u32_e32 v8, 28, v6
	v_sub_nc_u32_e32 v6, 29, v6
	v_lshlrev_b64 v[29:30], v8, v[13:14]
	v_and_b32_e32 v29, 7, v29
; %bb.711:                              ;   in Loop: Header=BB347_15 Depth=1
	s_or_b32 exec_lo, exec_lo, s23
	v_lshlrev_b32_sdwa v8, v52, v28 dst_sel:DWORD dst_unused:UNUSED_PAD src0_sel:DWORD src1_sel:WORD_1
	v_lshlrev_b32_e32 v10, 20, v29
	v_lshl_add_u32 v6, v6, 23, 0x3c000000
	v_and_b32_e32 v8, 0x80000000, v8
	v_or3_b32 v10, v10, v8, v6
.LBB347_712:                            ;   in Loop: Header=BB347_15 Depth=1
	s_or_b32 exec_lo, exec_lo, s22
.LBB347_713:                            ;   in Loop: Header=BB347_15 Depth=1
	s_or_b32 exec_lo, exec_lo, s21
.LBB347_714:                            ;   in Loop: Header=BB347_15 Depth=1
	s_or_b32 exec_lo, exec_lo, s20
	s_mov_b32 s20, exec_lo
	v_cmpx_lt_u64_e64 s[12:13], v[27:28]
	s_cbranch_execz .LBB347_722
; %bb.715:                              ;   in Loop: Header=BB347_15 Depth=1
	v_cmp_ne_u32_sdwa s5, v28, v22 src0_sel:BYTE_3 src1_sel:DWORD
	v_bfrev_b32_e32 v11, 1
	s_and_saveexec_b32 s21, s5
	s_cbranch_execz .LBB347_721
; %bb.716:                              ;   in Loop: Header=BB347_15 Depth=1
	v_bfe_u32 v8, v28, 24, 7
	v_mov_b32_e32 v11, 0x7f800001
	s_mov_b32 s22, exec_lo
	v_cmpx_ne_u32_e32 0x7f, v8
	s_cbranch_execz .LBB347_720
; %bb.717:                              ;   in Loop: Header=BB347_15 Depth=1
	v_and_b32_sdwa v13, v28, v51 dst_sel:DWORD dst_unused:UNUSED_PAD src0_sel:BYTE_3 src1_sel:DWORD
	v_mov_b32_e32 v30, v14
	v_lshrrev_b32_e32 v6, 3, v8
	s_mov_b32 s23, exec_lo
	v_mov_b32_e32 v29, v13
	v_cmpx_gt_u32_e32 8, v8
; %bb.718:                              ;   in Loop: Header=BB347_15 Depth=1
	v_ffbh_u32_e32 v6, v13
	v_min_u32_e32 v6, 32, v6
	v_subrev_nc_u32_e32 v8, 28, v6
	v_sub_nc_u32_e32 v6, 29, v6
	v_lshlrev_b64 v[29:30], v8, v[13:14]
	v_and_b32_e32 v29, 7, v29
; %bb.719:                              ;   in Loop: Header=BB347_15 Depth=1
	s_or_b32 exec_lo, exec_lo, s23
	v_lshlrev_b32_sdwa v8, v52, v28 dst_sel:DWORD dst_unused:UNUSED_PAD src0_sel:DWORD src1_sel:BYTE_3
	v_lshlrev_b32_e32 v11, 20, v29
	v_lshl_add_u32 v6, v6, 23, 0x3c000000
	v_and_b32_e32 v8, 0x80000000, v8
	v_or3_b32 v11, v11, v8, v6
.LBB347_720:                            ;   in Loop: Header=BB347_15 Depth=1
	s_or_b32 exec_lo, exec_lo, s22
.LBB347_721:                            ;   in Loop: Header=BB347_15 Depth=1
	s_or_b32 exec_lo, exec_lo, s21
.LBB347_722:                            ;   in Loop: Header=BB347_15 Depth=1
	s_or_b32 exec_lo, exec_lo, s20
	flat_load_dwordx2 v[24:25], v[24:25] offset:520
	v_mov_b32_e32 v30, 0
	v_mov_b32_e32 v29, 0
	s_waitcnt vmcnt(0) lgkmcnt(0)
	v_cmp_ne_u16_sdwa s5, v24, v14 src0_sel:BYTE_0 src1_sel:DWORD
	s_and_saveexec_b32 s20, s5
	s_cbranch_execz .LBB347_730
; %bb.723:                              ;   in Loop: Header=BB347_15 Depth=1
	v_cmp_ne_u16_sdwa s5, v24, v22 src0_sel:BYTE_0 src1_sel:DWORD
	v_bfrev_b32_e32 v29, 1
	s_and_saveexec_b32 s21, s5
	s_cbranch_execz .LBB347_729
; %bb.724:                              ;   in Loop: Header=BB347_15 Depth=1
	v_and_b32_e32 v8, 0x7f, v24
	v_mov_b32_e32 v29, 0x7f800001
	s_mov_b32 s22, exec_lo
	v_cmpx_ne_u32_e32 0x7f, v8
	s_cbranch_execz .LBB347_728
; %bb.725:                              ;   in Loop: Header=BB347_15 Depth=1
	v_mov_b32_e32 v28, v25
	v_lshrrev_b32_e32 v6, 3, v8
	v_mov_b32_e32 v27, v24
	s_mov_b32 s23, exec_lo
	v_cmpx_gt_u32_e32 8, v8
; %bb.726:                              ;   in Loop: Header=BB347_15 Depth=1
	v_and_b32_e32 v6, 7, v24
	v_ffbh_u32_e32 v6, v6
	v_min_u32_e32 v6, 32, v6
	v_subrev_nc_u32_e32 v8, 28, v6
	v_sub_nc_u32_e32 v6, 29, v6
	v_lshlrev_b64 v[27:28], v8, v[24:25]
; %bb.727:                              ;   in Loop: Header=BB347_15 Depth=1
	s_or_b32 exec_lo, exec_lo, s23
	v_lshlrev_b32_e32 v8, 20, v27
	v_lshlrev_b32_e32 v13, 24, v24
	v_lshl_add_u32 v6, v6, 23, 0x3c000000
	v_and_b32_e32 v8, 0x700000, v8
	v_and_b32_e32 v13, 0x80000000, v13
	v_or3_b32 v29, v8, v13, v6
.LBB347_728:                            ;   in Loop: Header=BB347_15 Depth=1
	s_or_b32 exec_lo, exec_lo, s22
.LBB347_729:                            ;   in Loop: Header=BB347_15 Depth=1
	s_or_b32 exec_lo, exec_lo, s21
.LBB347_730:                            ;   in Loop: Header=BB347_15 Depth=1
	s_or_b32 exec_lo, exec_lo, s20
	v_cmp_ne_u16_sdwa s5, v24, v14 src0_sel:BYTE_1 src1_sel:DWORD
	s_and_saveexec_b32 s20, s5
	s_cbranch_execz .LBB347_738
; %bb.731:                              ;   in Loop: Header=BB347_15 Depth=1
	v_cmp_ne_u16_sdwa s5, v24, v22 src0_sel:BYTE_1 src1_sel:DWORD
	v_bfrev_b32_e32 v30, 1
	s_and_saveexec_b32 s21, s5
	s_cbranch_execz .LBB347_737
; %bb.732:                              ;   in Loop: Header=BB347_15 Depth=1
	v_and_b32_sdwa v6, v50, v24 dst_sel:DWORD dst_unused:UNUSED_PAD src0_sel:DWORD src1_sel:BYTE_1
	v_mov_b32_e32 v30, 0x7f800001
	s_mov_b32 s22, exec_lo
	v_and_b32_e32 v8, 0x7f, v6
	v_cmpx_ne_u32_e32 0x7f, v8
	s_cbranch_execz .LBB347_736
; %bb.733:                              ;   in Loop: Header=BB347_15 Depth=1
	v_and_b32_e32 v13, 7, v6
	v_mov_b32_e32 v28, v14
	v_lshrrev_b32_e32 v6, 3, v8
	s_mov_b32 s23, exec_lo
	v_mov_b32_e32 v27, v13
	v_cmpx_gt_u32_e32 8, v8
; %bb.734:                              ;   in Loop: Header=BB347_15 Depth=1
	v_ffbh_u32_e32 v6, v13
	v_min_u32_e32 v6, 32, v6
	v_subrev_nc_u32_e32 v8, 28, v6
	v_sub_nc_u32_e32 v6, 29, v6
	v_lshlrev_b64 v[27:28], v8, v[13:14]
	v_and_b32_e32 v27, 7, v27
; %bb.735:                              ;   in Loop: Header=BB347_15 Depth=1
	s_or_b32 exec_lo, exec_lo, s23
	v_lshlrev_b32_e32 v8, 16, v24
	v_lshlrev_b32_e32 v13, 20, v27
	v_lshl_add_u32 v6, v6, 23, 0x3c000000
	v_and_b32_e32 v8, 0x80000000, v8
	v_or3_b32 v30, v13, v8, v6
.LBB347_736:                            ;   in Loop: Header=BB347_15 Depth=1
	s_or_b32 exec_lo, exec_lo, s22
.LBB347_737:                            ;   in Loop: Header=BB347_15 Depth=1
	s_or_b32 exec_lo, exec_lo, s21
.LBB347_738:                            ;   in Loop: Header=BB347_15 Depth=1
	s_or_b32 exec_lo, exec_lo, s20
	v_and_b32_sdwa v6, v24, v18 dst_sel:DWORD dst_unused:UNUSED_PAD src0_sel:WORD_1 src1_sel:DWORD
	v_mov_b32_e32 v8, 0
	v_mov_b32_e32 v127, 0
	s_mov_b32 s20, exec_lo
	v_cmpx_ne_u16_e32 0, v6
	s_cbranch_execz .LBB347_746
; %bb.739:                              ;   in Loop: Header=BB347_15 Depth=1
	v_bfrev_b32_e32 v127, 1
	s_mov_b32 s21, exec_lo
	v_cmpx_ne_u16_e32 0x80, v6
	s_cbranch_execz .LBB347_745
; %bb.740:                              ;   in Loop: Header=BB347_15 Depth=1
	v_bfe_u32 v27, v24, 16, 7
	v_mov_b32_e32 v127, 0x7f800001
	s_mov_b32 s22, exec_lo
	v_cmpx_ne_u32_e32 0x7f, v27
	s_cbranch_execz .LBB347_744
; %bb.741:                              ;   in Loop: Header=BB347_15 Depth=1
	v_and_b32_sdwa v13, v24, v51 dst_sel:DWORD dst_unused:UNUSED_PAD src0_sel:WORD_1 src1_sel:DWORD
	v_lshrrev_b32_e32 v6, 3, v27
	v_cmp_gt_u32_e64 s5, 8, v27
	v_mov_b32_e32 v28, v14
	v_mov_b32_e32 v27, v13
	s_and_saveexec_b32 s23, s5
; %bb.742:                              ;   in Loop: Header=BB347_15 Depth=1
	v_ffbh_u32_e32 v6, v13
	v_min_u32_e32 v6, 32, v6
	v_subrev_nc_u32_e32 v27, 28, v6
	v_sub_nc_u32_e32 v6, 29, v6
	v_lshlrev_b64 v[27:28], v27, v[13:14]
	v_and_b32_e32 v27, 7, v27
; %bb.743:                              ;   in Loop: Header=BB347_15 Depth=1
	s_or_b32 exec_lo, exec_lo, s23
	v_lshlrev_b32_sdwa v13, v52, v24 dst_sel:DWORD dst_unused:UNUSED_PAD src0_sel:DWORD src1_sel:WORD_1
	v_lshlrev_b32_e32 v27, 20, v27
	v_lshl_add_u32 v6, v6, 23, 0x3c000000
	v_and_b32_e32 v13, 0x80000000, v13
	v_or3_b32 v127, v27, v13, v6
.LBB347_744:                            ;   in Loop: Header=BB347_15 Depth=1
	s_or_b32 exec_lo, exec_lo, s22
.LBB347_745:                            ;   in Loop: Header=BB347_15 Depth=1
	s_or_b32 exec_lo, exec_lo, s21
.LBB347_746:                            ;   in Loop: Header=BB347_15 Depth=1
	s_or_b32 exec_lo, exec_lo, s20
	s_mov_b32 s20, exec_lo
	v_cmpx_lt_u32_e32 0xffffff, v24
	s_cbranch_execz .LBB347_754
; %bb.747:                              ;   in Loop: Header=BB347_15 Depth=1
	v_cmp_ne_u32_sdwa s5, v24, v22 src0_sel:BYTE_3 src1_sel:DWORD
	v_bfrev_b32_e32 v8, 1
	s_and_saveexec_b32 s21, s5
	s_cbranch_execz .LBB347_753
; %bb.748:                              ;   in Loop: Header=BB347_15 Depth=1
	v_bfe_u32 v27, v24, 24, 7
	v_mov_b32_e32 v8, 0x7f800001
	s_mov_b32 s22, exec_lo
	v_cmpx_ne_u32_e32 0x7f, v27
	s_cbranch_execz .LBB347_752
; %bb.749:                              ;   in Loop: Header=BB347_15 Depth=1
	v_and_b32_sdwa v13, v24, v51 dst_sel:DWORD dst_unused:UNUSED_PAD src0_sel:BYTE_3 src1_sel:DWORD
	v_lshrrev_b32_e32 v6, 3, v27
	v_cmp_gt_u32_e64 s5, 8, v27
	v_mov_b32_e32 v28, v14
	v_mov_b32_e32 v27, v13
	s_and_saveexec_b32 s23, s5
; %bb.750:                              ;   in Loop: Header=BB347_15 Depth=1
	v_ffbh_u32_e32 v6, v13
	v_min_u32_e32 v6, 32, v6
	v_subrev_nc_u32_e32 v8, 28, v6
	v_sub_nc_u32_e32 v6, 29, v6
	v_lshlrev_b64 v[27:28], v8, v[13:14]
	v_and_b32_e32 v27, 7, v27
; %bb.751:                              ;   in Loop: Header=BB347_15 Depth=1
	s_or_b32 exec_lo, exec_lo, s23
	v_lshlrev_b32_sdwa v8, v52, v24 dst_sel:DWORD dst_unused:UNUSED_PAD src0_sel:DWORD src1_sel:BYTE_3
	v_lshlrev_b32_e32 v13, 20, v27
	v_lshl_add_u32 v6, v6, 23, 0x3c000000
	v_and_b32_e32 v8, 0x80000000, v8
	v_or3_b32 v8, v13, v8, v6
.LBB347_752:                            ;   in Loop: Header=BB347_15 Depth=1
	s_or_b32 exec_lo, exec_lo, s22
.LBB347_753:                            ;   in Loop: Header=BB347_15 Depth=1
	s_or_b32 exec_lo, exec_lo, s21
.LBB347_754:                            ;   in Loop: Header=BB347_15 Depth=1
	s_or_b32 exec_lo, exec_lo, s20
	v_mov_b32_e32 v13, v25
	v_cmp_ne_u16_sdwa s5, v25, v14 src0_sel:BYTE_0 src1_sel:DWORD
	v_mov_b32_e32 v49, 0
	v_mov_b32_e32 v67, 0
	s_and_saveexec_b32 s20, s5
	s_cbranch_execz .LBB347_762
; %bb.755:                              ;   in Loop: Header=BB347_15 Depth=1
	v_cmp_ne_u16_sdwa s5, v25, v22 src0_sel:BYTE_0 src1_sel:DWORD
	v_bfrev_b32_e32 v67, 1
	s_and_saveexec_b32 s21, s5
	s_cbranch_execz .LBB347_761
; %bb.756:                              ;   in Loop: Header=BB347_15 Depth=1
	v_and_b32_e32 v27, 0x7f, v25
	v_mov_b32_e32 v67, 0x7f800001
	s_mov_b32 s22, exec_lo
	v_cmpx_ne_u32_e32 0x7f, v27
	s_cbranch_execz .LBB347_760
; %bb.757:                              ;   in Loop: Header=BB347_15 Depth=1
	v_lshrrev_b32_e32 v6, 3, v27
	v_cmp_gt_u32_e64 s5, 8, v27
	v_mov_b32_e32 v28, v14
	v_mov_b32_e32 v27, v13
	s_and_saveexec_b32 s23, s5
; %bb.758:                              ;   in Loop: Header=BB347_15 Depth=1
	v_and_b32_e32 v6, 7, v25
	v_ffbh_u32_e32 v6, v6
	v_min_u32_e32 v6, 32, v6
	v_subrev_nc_u32_e32 v27, 28, v6
	v_sub_nc_u32_e32 v6, 29, v6
	v_lshlrev_b64 v[27:28], v27, v[13:14]
; %bb.759:                              ;   in Loop: Header=BB347_15 Depth=1
	s_or_b32 exec_lo, exec_lo, s23
	v_lshlrev_b32_e32 v27, 20, v27
	v_lshlrev_b32_e32 v28, 24, v13
	v_lshl_add_u32 v6, v6, 23, 0x3c000000
	v_and_b32_e32 v27, 0x700000, v27
	v_and_b32_e32 v28, 0x80000000, v28
	v_or3_b32 v67, v27, v28, v6
.LBB347_760:                            ;   in Loop: Header=BB347_15 Depth=1
	s_or_b32 exec_lo, exec_lo, s22
.LBB347_761:                            ;   in Loop: Header=BB347_15 Depth=1
	s_or_b32 exec_lo, exec_lo, s21
.LBB347_762:                            ;   in Loop: Header=BB347_15 Depth=1
	s_or_b32 exec_lo, exec_lo, s20
	v_cmp_ne_u16_sdwa s5, v13, v14 src0_sel:BYTE_1 src1_sel:DWORD
	s_and_saveexec_b32 s20, s5
	s_cbranch_execz .LBB347_770
; %bb.763:                              ;   in Loop: Header=BB347_15 Depth=1
	v_cmp_ne_u16_sdwa s5, v13, v22 src0_sel:BYTE_1 src1_sel:DWORD
	v_bfrev_b32_e32 v49, 1
	s_and_saveexec_b32 s21, s5
	s_cbranch_execz .LBB347_769
; %bb.764:                              ;   in Loop: Header=BB347_15 Depth=1
	v_and_b32_sdwa v6, v50, v13 dst_sel:DWORD dst_unused:UNUSED_PAD src0_sel:DWORD src1_sel:BYTE_1
	v_mov_b32_e32 v49, 0x7f800001
	s_mov_b32 s22, exec_lo
	v_and_b32_e32 v38, 0x7f, v6
	v_cmpx_ne_u32_e32 0x7f, v38
	s_cbranch_execz .LBB347_768
; %bb.765:                              ;   in Loop: Header=BB347_15 Depth=1
	v_and_b32_e32 v27, 7, v6
	v_mov_b32_e32 v28, v14
	v_lshrrev_b32_e32 v6, 3, v38
	s_mov_b32 s23, exec_lo
	v_cmpx_gt_u32_e32 8, v38
; %bb.766:                              ;   in Loop: Header=BB347_15 Depth=1
	v_ffbh_u32_e32 v6, v27
	v_min_u32_e32 v6, 32, v6
	v_subrev_nc_u32_e32 v38, 28, v6
	v_sub_nc_u32_e32 v6, 29, v6
	v_lshlrev_b64 v[27:28], v38, v[27:28]
	v_and_b32_e32 v27, 7, v27
; %bb.767:                              ;   in Loop: Header=BB347_15 Depth=1
	s_or_b32 exec_lo, exec_lo, s23
	v_lshlrev_b32_e32 v13, 16, v13
	v_lshlrev_b32_e32 v27, 20, v27
	v_lshl_add_u32 v6, v6, 23, 0x3c000000
	v_and_b32_e32 v13, 0x80000000, v13
	v_or3_b32 v49, v27, v13, v6
.LBB347_768:                            ;   in Loop: Header=BB347_15 Depth=1
	s_or_b32 exec_lo, exec_lo, s22
.LBB347_769:                            ;   in Loop: Header=BB347_15 Depth=1
	s_or_b32 exec_lo, exec_lo, s21
.LBB347_770:                            ;   in Loop: Header=BB347_15 Depth=1
	s_or_b32 exec_lo, exec_lo, s20
	v_and_b32_sdwa v13, v25, v18 dst_sel:DWORD dst_unused:UNUSED_PAD src0_sel:WORD_1 src1_sel:DWORD
	v_mov_b32_e32 v68, 0
	v_mov_b32_e32 v6, 0
	s_mov_b32 s20, exec_lo
	v_cmpx_ne_u16_e32 0, v13
	s_cbranch_execz .LBB347_778
; %bb.771:                              ;   in Loop: Header=BB347_15 Depth=1
	v_bfrev_b32_e32 v6, 1
	s_mov_b32 s21, exec_lo
	v_cmpx_ne_u16_e32 0x80, v13
	s_cbranch_execz .LBB347_777
; %bb.772:                              ;   in Loop: Header=BB347_15 Depth=1
	v_bfe_u32 v27, v25, 16, 7
	v_mov_b32_e32 v6, 0x7f800001
	s_mov_b32 s22, exec_lo
	v_cmpx_ne_u32_e32 0x7f, v27
	s_cbranch_execz .LBB347_776
; %bb.773:                              ;   in Loop: Header=BB347_15 Depth=1
	v_and_b32_sdwa v13, v25, v51 dst_sel:DWORD dst_unused:UNUSED_PAD src0_sel:WORD_1 src1_sel:DWORD
	v_lshrrev_b32_e32 v6, 3, v27
	v_cmp_gt_u32_e64 s5, 8, v27
	v_mov_b32_e32 v28, v14
	v_mov_b32_e32 v27, v13
	s_and_saveexec_b32 s23, s5
; %bb.774:                              ;   in Loop: Header=BB347_15 Depth=1
	v_ffbh_u32_e32 v6, v13
	v_min_u32_e32 v6, 32, v6
	v_subrev_nc_u32_e32 v27, 28, v6
	v_sub_nc_u32_e32 v6, 29, v6
	v_lshlrev_b64 v[27:28], v27, v[13:14]
	v_and_b32_e32 v27, 7, v27
; %bb.775:                              ;   in Loop: Header=BB347_15 Depth=1
	s_or_b32 exec_lo, exec_lo, s23
	v_lshlrev_b32_sdwa v13, v52, v25 dst_sel:DWORD dst_unused:UNUSED_PAD src0_sel:DWORD src1_sel:WORD_1
	v_lshlrev_b32_e32 v27, 20, v27
	v_lshl_add_u32 v6, v6, 23, 0x3c000000
	v_and_b32_e32 v13, 0x80000000, v13
	v_or3_b32 v6, v27, v13, v6
.LBB347_776:                            ;   in Loop: Header=BB347_15 Depth=1
	s_or_b32 exec_lo, exec_lo, s22
.LBB347_777:                            ;   in Loop: Header=BB347_15 Depth=1
	s_or_b32 exec_lo, exec_lo, s21
.LBB347_778:                            ;   in Loop: Header=BB347_15 Depth=1
	s_or_b32 exec_lo, exec_lo, s20
	s_mov_b32 s20, exec_lo
	v_cmpx_lt_u64_e64 s[12:13], v[24:25]
	s_cbranch_execz .LBB347_13
; %bb.779:                              ;   in Loop: Header=BB347_15 Depth=1
	v_cmp_ne_u32_sdwa s5, v25, v22 src0_sel:BYTE_3 src1_sel:DWORD
	v_bfrev_b32_e32 v68, 1
	s_and_saveexec_b32 s21, s5
	s_cbranch_execz .LBB347_12
; %bb.780:                              ;   in Loop: Header=BB347_15 Depth=1
	v_bfe_u32 v27, v25, 24, 7
	v_mov_b32_e32 v68, 0x7f800001
	s_mov_b32 s22, exec_lo
	v_cmpx_ne_u32_e32 0x7f, v27
	s_cbranch_execz .LBB347_11
; %bb.781:                              ;   in Loop: Header=BB347_15 Depth=1
	v_and_b32_sdwa v13, v25, v51 dst_sel:DWORD dst_unused:UNUSED_PAD src0_sel:BYTE_3 src1_sel:DWORD
	v_lshrrev_b32_e32 v24, 3, v27
	v_cmp_gt_u32_e64 s5, 8, v27
	v_mov_b32_e32 v28, v14
	v_mov_b32_e32 v27, v13
	s_and_saveexec_b32 s23, s5
	s_cbranch_execz .LBB347_10
; %bb.782:                              ;   in Loop: Header=BB347_15 Depth=1
	v_ffbh_u32_e32 v24, v13
	v_min_u32_e32 v24, 32, v24
	v_subrev_nc_u32_e32 v27, 28, v24
	v_sub_nc_u32_e32 v24, 29, v24
	v_lshlrev_b64 v[27:28], v27, v[13:14]
	v_and_b32_e32 v27, 7, v27
	s_branch .LBB347_10
.LBB347_783:
	s_or_b32 exec_lo, exec_lo, s18
	s_clause 0xb
	buffer_load_dword v11, off, s[0:3], s32 offset:632
	buffer_load_dword v10, off, s[0:3], s32 offset:636
	;; [unrolled: 1-line block ×12, first 2 shown]
.LBB347_784:
	s_or_b32 exec_lo, exec_lo, s17
	v_mbcnt_lo_u32_b32 v0, -1, 0
	s_waitcnt lgkmcnt(0)
	s_lshr_b32 s12, s7, 16
	v_xor_b32_e32 v1, 16, v0
	v_xor_b32_e32 v4, 8, v0
	v_cmp_gt_i32_e32 vcc_lo, 32, v1
	v_cndmask_b32_e32 v1, v0, v1, vcc_lo
	v_cmp_gt_i32_e32 vcc_lo, 32, v4
	v_lshlrev_b32_e32 v1, 2, v1
	v_cndmask_b32_e32 v4, v0, v4, vcc_lo
	ds_bpermute_b32 v2, v1, v3
	v_max_f32_e32 v3, v3, v3
	s_waitcnt lgkmcnt(0)
	v_max_f32_e32 v5, v2, v2
	v_lshlrev_b32_e32 v2, 2, v4
	v_max_f32_e32 v4, v3, v5
	v_xor_b32_e32 v5, 4, v0
	ds_bpermute_b32 v3, v2, v4
	v_cmp_gt_i32_e32 vcc_lo, 32, v5
	v_cndmask_b32_e32 v5, v0, v5, vcc_lo
	s_waitcnt lgkmcnt(0)
	v_max_f32_e32 v6, v3, v3
	v_lshlrev_b32_e32 v3, 2, v5
	v_max_f32_e32 v4, v4, v6
	v_xor_b32_e32 v6, 2, v0
	ds_bpermute_b32 v5, v3, v4
	v_cmp_gt_i32_e32 vcc_lo, 32, v6
	v_cndmask_b32_e32 v6, v0, v6, vcc_lo
	v_lshlrev_b32_e32 v24, 2, v6
	v_xor_b32_e32 v6, 1, v0
	v_cmp_gt_i32_e32 vcc_lo, 32, v6
	s_waitcnt lgkmcnt(0)
	v_max_f32_e32 v5, v5, v5
	v_cndmask_b32_e32 v6, v0, v6, vcc_lo
	v_max_f32_e32 v4, v4, v5
	v_lshlrev_b32_e32 v28, 2, v6
	ds_bpermute_b32 v5, v24, v4
	s_waitcnt lgkmcnt(0)
	v_max_f32_e32 v5, v5, v5
	v_max_f32_e32 v0, v4, v5
	buffer_load_dword v4, off, s[0:3], s32 offset:276 ; 4-byte Folded Reload
	ds_bpermute_b32 v5, v28, v0
	s_waitcnt vmcnt(0)
	v_cmp_eq_u32_e32 vcc_lo, 0, v4
	buffer_load_dword v4, off, s[0:3], s32 offset:620 ; 4-byte Folded Reload
	s_waitcnt vmcnt(0)
	v_lshlrev_b32_e32 v4, 2, v4
	s_and_saveexec_b32 s5, vcc_lo
	s_cbranch_execz .LBB347_786
; %bb.785:
	s_waitcnt lgkmcnt(0)
	v_max_f32_e32 v5, v5, v5
	v_max_f32_e32 v0, v0, v0
	v_max_f32_e32 v0, v0, v5
	ds_write_b32 v4, v0 offset:192
.LBB347_786:
	s_or_b32 exec_lo, exec_lo, s5
	buffer_load_dword v0, off, s[0:3], s32 offset:276 ; 4-byte Folded Reload
	s_waitcnt vmcnt(0) lgkmcnt(0)
	s_waitcnt_vscnt null, 0x0
	s_barrier
	buffer_gl0_inv
	v_cmp_gt_u32_e64 s5, 4, v0
	v_mov_b32_e32 v0, 0xff7fffff
	s_and_saveexec_b32 s6, s5
; %bb.787:
	ds_read_b32 v0, v12 offset:192
; %bb.788:
	s_or_b32 exec_lo, exec_lo, s6
	s_waitcnt lgkmcnt(0)
	ds_bpermute_b32 v5, v24, v0
	v_max_f32_e32 v0, v0, v0
	buffer_load_dword v7, off, s[0:3], s32 offset:616 ; 4-byte Folded Reload
	s_waitcnt lgkmcnt(0)
	v_max_f32_e32 v5, v5, v5
	v_max_f32_e32 v0, v0, v5
	ds_bpermute_b32 v5, v28, v0
	s_waitcnt lgkmcnt(0)
	v_max_f32_e32 v5, v5, v5
	v_max_f32_e32 v0, v0, v5
	v_mov_b32_e32 v5, 0
	ds_bpermute_b32 v6, v5, v0
	buffer_load_dword v0, off, s[0:3], s32 offset:192 ; 4-byte Folded Reload
	s_waitcnt vmcnt(0)
	v_lshlrev_b32_e32 v0, 5, v0
	v_min_i32_e32 v0, v0, v32
	v_cmp_lt_i32_e64 s6, v7, v0
	s_and_saveexec_b32 s13, s6
	s_cbranch_execz .LBB347_792
; %bb.789:
	buffer_load_dword v8, off, s[0:3], s32 offset:616 ; 4-byte Folded Reload
	s_load_dword s7, s[8:9], 0x0
	v_mov_b32_e32 v5, 0
	s_mov_b32 s17, 0
	s_waitcnt vmcnt(0) lgkmcnt(0)
	v_lshl_add_u32 v7, v8, 2, s7
	.p2align	6
.LBB347_790:                            ; =>This Inner Loop Header: Depth=1
	ds_read_b32 v9, v7
	v_add_nc_u32_e32 v8, 0x80, v8
	v_cmp_ge_i32_e64 s7, v8, v0
	s_or_b32 s17, s7, s17
	s_waitcnt lgkmcnt(0)
	v_sub_f32_e32 v9, v9, v6
	v_mul_f32_e32 v9, 0x3fb8aa3b, v9
	v_exp_f32_e32 v9, v9
	ds_write_b32 v7, v9
	v_add_f32_e32 v5, v5, v9
	v_add_nc_u32_e32 v7, 0x200, v7
	s_andn2_b32 exec_lo, exec_lo, s17
	s_cbranch_execnz .LBB347_790
; %bb.791:
	s_or_b32 exec_lo, exec_lo, s17
.LBB347_792:
	s_or_b32 exec_lo, exec_lo, s13
	ds_bpermute_b32 v1, v1, v5
	s_waitcnt lgkmcnt(0)
	v_add_f32_e32 v1, v5, v1
	ds_bpermute_b32 v2, v2, v1
	s_waitcnt lgkmcnt(0)
	v_add_f32_e32 v1, v1, v2
	;; [unrolled: 3-line block ×5, first 2 shown]
	s_and_saveexec_b32 s7, vcc_lo
; %bb.793:
	ds_write_b32 v4, v1 offset:208
; %bb.794:
	s_or_b32 exec_lo, exec_lo, s7
	s_waitcnt lgkmcnt(0)
	s_barrier
	buffer_gl0_inv
	s_and_saveexec_b32 s7, s5
; %bb.795:
	ds_read_b32 v1, v12 offset:208
; %bb.796:
	s_or_b32 exec_lo, exec_lo, s7
	s_waitcnt lgkmcnt(0)
	ds_bpermute_b32 v2, v24, v1
	s_waitcnt lgkmcnt(0)
	v_add_f32_e32 v1, v1, v2
	ds_bpermute_b32 v2, v28, v1
	s_waitcnt lgkmcnt(0)
	v_add_f32_e32 v1, v1, v2
	v_mov_b32_e32 v2, 0
	ds_bpermute_b32 v1, v2, v1
	s_and_saveexec_b32 s5, s6
	s_cbranch_execz .LBB347_799
; %bb.797:
	s_waitcnt lgkmcnt(0)
	v_add_f32_e32 v2, 0x358637bd, v1
	s_load_dword s6, s[8:9], 0x0
	v_div_scale_f32 v1, null, v2, v2, 1.0
	v_div_scale_f32 v5, vcc_lo, 1.0, v2, 1.0
	v_rcp_f32_e32 v3, v1
	v_fma_f32 v4, -v1, v3, 1.0
	v_fmac_f32_e32 v3, v4, v3
	v_mul_f32_e32 v4, v5, v3
	v_fma_f32 v6, -v1, v4, v5
	v_fmac_f32_e32 v4, v6, v3
	v_fma_f32 v1, -v1, v4, v5
	v_div_fmas_f32 v3, v1, v3, v4
	buffer_load_dword v4, off, s[0:3], s32 offset:616 ; 4-byte Folded Reload
	v_div_fixup_f32 v2, v3, v2, 1.0
	s_waitcnt vmcnt(0) lgkmcnt(0)
	v_lshl_add_u32 v1, v4, 2, s6
	v_mov_b32_e32 v3, v4
	s_mov_b32 s6, 0
.LBB347_798:                            ; =>This Inner Loop Header: Depth=1
	ds_read_b32 v4, v1
	v_add_nc_u32_e32 v3, 0x80, v3
	v_cmp_ge_i32_e32 vcc_lo, v3, v0
	s_or_b32 s6, vcc_lo, s6
	s_waitcnt lgkmcnt(0)
	v_mul_f32_e32 v4, v2, v4
	ds_write_b32 v1, v4
	v_add_nc_u32_e32 v1, 0x200, v1
	s_andn2_b32 exec_lo, exec_lo, s6
	s_cbranch_execnz .LBB347_798
.LBB347_799:
	s_or_b32 exec_lo, exec_lo, s5
	buffer_load_dword v0, off, s[0:3], s32 offset:616 ; 4-byte Folded Reload
	v_mov_b32_e32 v22, 0
	v_mov_b32_e32 v23, 0
	;; [unrolled: 1-line block ×12, first 2 shown]
	s_waitcnt vmcnt(0) lgkmcnt(0)
	s_barrier
	buffer_gl0_inv
	v_and_b32_e32 v27, 3, v0
	s_and_saveexec_b32 s5, s4
	s_cbranch_execz .LBB347_1597
; %bb.800:
	buffer_store_dword v24, off, s[0:3], s32 offset:304 ; 4-byte Folded Spill
	buffer_store_dword v28, off, s[0:3], s32 offset:300 ; 4-byte Folded Spill
	s_clause 0x1
	buffer_load_dword v0, off, s[0:3], s32 offset:616
	buffer_load_dword v84, off, s[0:3], s32 offset:620
	v_max_i32_e32 v67, v26, v35
	v_mov_b32_e32 v6, 0
	v_mov_b32_e32 v7, 0
	v_lshlrev_b32_e32 v4, 5, v27
	v_and_b32_e32 v5, 0x7c, v25
	v_cvt_f32_u32_e32 v1, v67
	buffer_store_dword v6, off, s[0:3], s32 offset:224 ; 4-byte Folded Spill
	v_mov_b32_e32 v6, 0
	buffer_store_dword v7, off, s[0:3], s32 offset:244 ; 4-byte Folded Spill
	v_mov_b32_e32 v7, 0
	v_rcp_iflag_f32_e32 v1, v1
	v_add_co_u32 v2, vcc_lo, v30, v31
	buffer_store_dword v6, off, s[0:3], s32 offset:228 ; 4-byte Folded Spill
	v_mov_b32_e32 v6, 0
	buffer_store_dword v7, off, s[0:3], s32 offset:248 ; 4-byte Folded Spill
	v_mov_b32_e32 v7, 0
	v_add_co_ci_u32_e64 v3, null, v29, v49, vcc_lo
	buffer_store_dword v6, off, s[0:3], s32 offset:232 ; 4-byte Folded Spill
	v_mov_b32_e32 v6, 0
	v_mul_f32_e32 v1, 0x4f7ffffe, v1
	buffer_store_dword v7, off, s[0:3], s32 offset:252 ; 4-byte Folded Spill
	v_mov_b32_e32 v7, 0
	buffer_store_dword v27, off, s[0:3], s32 offset:308 ; 4-byte Folded Spill
	buffer_store_dword v6, off, s[0:3], s32 offset:236 ; 4-byte Folded Spill
	v_mov_b32_e32 v6, 0
	v_cvt_u32_f32_e32 v1, v1
	buffer_store_dword v7, off, s[0:3], s32 offset:256 ; 4-byte Folded Spill
	v_mov_b32_e32 v14, 0
	v_mov_b32_e32 v68, 0x80
	buffer_store_dword v6, off, s[0:3], s32 offset:240 ; 4-byte Folded Spill
	v_sub_nc_u32_e32 v6, 0, v67
	v_mov_b32_e32 v70, 0xff
	v_mov_b32_e32 v17, 0
	s_mov_b32 s6, -1
	s_mov_b32 s7, 0xffffff
	v_mul_lo_u32 v6, v6, v1
	s_mov_b32 s13, 0
	v_mul_hi_u32 v6, v1, v6
	s_waitcnt vmcnt(1)
	v_lshlrev_b32_e32 v0, 3, v0
	s_waitcnt vmcnt(0)
	v_lshl_or_b32 v82, v84, 7, v4
	v_add_co_u32 v4, vcc_lo, v5, v38
	v_add_co_ci_u32_e64 v5, null, 0, v39, vcc_lo
	v_and_b32_e32 v7, 24, v0
	v_and_b32_e32 v0, 0xf8, v0
	buffer_store_dword v7, off, s[0:3], s32 offset:288 ; 4-byte Folded Spill
	v_add_co_u32 v2, vcc_lo, v2, v0
	v_add_co_ci_u32_e64 v3, null, 0, v3, vcc_lo
	v_add_nc_u32_e32 v0, v1, v6
	buffer_store_dword v2, off, s[0:3], s32 offset:292 ; 4-byte Folded Spill
	buffer_store_dword v3, off, s[0:3], s32 offset:296 ; 4-byte Folded Spill
	v_add_co_u32 v10, vcc_lo, v10, v4
	buffer_store_dword v0, off, s[0:3], s32 offset:268 ; 4-byte Folded Spill
	v_mov_b32_e32 v0, 0
	v_add_co_ci_u32_e64 v11, null, v11, v5, vcc_lo
	buffer_store_dword v0, off, s[0:3], s32 offset:264 ; 4-byte Folded Spill
	v_mov_b32_e32 v0, 0
	buffer_store_dword v0, off, s[0:3], s32 offset:260 ; 4-byte Folded Spill
	s_branch .LBB347_803
.LBB347_801:                            ;   in Loop: Header=BB347_803 Depth=1
	s_or_b32 exec_lo, exec_lo, s4
	v_bfe_u32 v38, v6, 16, 1
	v_or_b32_e32 v71, 0x400000, v6
	v_cmp_u_f32_e32 vcc_lo, v6, v6
	v_lshlrev_b32_e32 v12, 16, v12
	v_lshlrev_b32_e32 v30, 16, v30
	v_add3_u32 v38, v38, v6, 0x7fff
	v_bfe_u32 v6, v7, 16, 1
	v_lshlrev_b32_e32 v48, 16, v48
	v_lshlrev_b32_e32 v29, 16, v29
	;; [unrolled: 1-line block ×3, first 2 shown]
	v_cndmask_b32_e32 v38, v38, v71, vcc_lo
	v_add3_u32 v6, v6, v7, 0x7fff
	v_or_b32_e32 v71, 0x400000, v7
	v_cmp_u_f32_e32 vcc_lo, v7, v7
	v_lshlrev_b32_e32 v15, 16, v15
	v_lshlrev_b32_e32 v1, 16, v1
	;; [unrolled: 1-line block ×4, first 2 shown]
	v_cndmask_b32_e32 v7, v6, v71, vcc_lo
	v_bfe_u32 v6, v8, 16, 1
	v_or_b32_e32 v71, 0x400000, v8
	v_cmp_u_f32_e32 vcc_lo, v8, v8
	v_lshlrev_b32_e32 v17, 16, v17
	v_and_b32_e32 v7, 0xffff0000, v7
	v_add3_u32 v6, v6, v8, 0x7fff
	v_bfe_u32 v8, v9, 16, 1
	v_cndmask_b32_e32 v6, v6, v71, vcc_lo
	v_add3_u32 v8, v8, v9, 0x7fff
	v_or_b32_e32 v71, 0x400000, v9
	v_cmp_u_f32_e32 vcc_lo, v9, v9
	v_bfe_u32 v9, v2, 16, 1
	v_cndmask_b32_e32 v8, v8, v71, vcc_lo
	v_add3_u32 v9, v9, v2, 0x7fff
	v_or_b32_e32 v71, 0x400000, v2
	v_cmp_u_f32_e32 vcc_lo, v2, v2
	v_cndmask_b32_e32 v2, v9, v71, vcc_lo
	v_bfe_u32 v9, v3, 16, 1
	v_or_b32_e32 v71, 0x400000, v3
	v_cmp_u_f32_e32 vcc_lo, v3, v3
	v_add3_u32 v9, v9, v3, 0x7fff
	v_cndmask_b32_e32 v3, v9, v71, vcc_lo
	v_bfe_u32 v9, v4, 16, 1
	v_or_b32_e32 v71, 0x400000, v4
	v_cmp_u_f32_e32 vcc_lo, v4, v4
	v_and_b32_e32 v3, 0xffff0000, v3
	v_add3_u32 v9, v9, v4, 0x7fff
	v_mul_f32_e32 v30, v3, v30
	v_cndmask_b32_e32 v4, v9, v71, vcc_lo
	v_bfe_u32 v9, v5, 16, 1
	v_or_b32_e32 v71, 0x400000, v5
	v_cmp_u_f32_e32 vcc_lo, v5, v5
	v_mul_f32_e32 v1, v3, v1
	v_and_b32_e32 v4, 0xffff0000, v4
	v_add3_u32 v9, v9, v5, 0x7fff
	v_lshlrev_b32_e32 v5, 16, v39
	v_mul_f32_e32 v12, v4, v12
	v_cndmask_b32_e32 v71, v9, v71, vcc_lo
	v_mul_f32_e32 v5, v7, v5
	v_mul_f32_e32 v15, v4, v15
	;; [unrolled: 1-line block ×3, first 2 shown]
	v_bfe_u32 v9, v5, 16, 1
	v_or_b32_e32 v39, 0x400000, v5
	v_cmp_u_f32_e32 vcc_lo, v5, v5
	v_add3_u32 v9, v9, v5, 0x7fff
	v_lshlrev_b32_e32 v5, 16, v35
	v_cndmask_b32_e32 v39, v9, v39, vcc_lo
	v_and_b32_e32 v9, 0xffff0000, v38
	v_and_b32_e32 v39, 0xffff0000, v39
	v_mul_f32_e32 v5, v9, v5
	v_bfe_u32 v35, v5, 16, 1
	v_or_b32_e32 v38, 0x400000, v5
	v_cmp_u_f32_e32 vcc_lo, v5, v5
	v_add3_u32 v35, v35, v5, 0x7fff
	v_and_b32_e32 v5, 0xffff0000, v8
	v_lshlrev_b32_e32 v8, 16, v65
	v_cndmask_b32_e32 v35, v35, v38, vcc_lo
	v_mul_f32_e32 v29, v5, v29
	v_mul_f32_e32 v8, v5, v8
	v_and_b32_e32 v35, 0xffff0000, v35
	v_bfe_u32 v38, v8, 16, 1
	v_or_b32_e32 v65, 0x400000, v8
	v_cmp_u_f32_e32 vcc_lo, v8, v8
	v_add_f32_e32 v35, v35, v39
	v_add3_u32 v38, v38, v8, 0x7fff
	v_and_b32_e32 v8, 0xffff0000, v6
	v_lshlrev_b32_e32 v6, 16, v66
	v_cndmask_b32_e32 v38, v38, v65, vcc_lo
	v_mul_f32_e32 v6, v8, v6
	v_and_b32_e32 v38, 0xffff0000, v38
	v_bfe_u32 v65, v6, 16, 1
	v_or_b32_e32 v66, 0x400000, v6
	v_cmp_u_f32_e32 vcc_lo, v6, v6
	v_add3_u32 v65, v65, v6, 0x7fff
	v_lshlrev_b32_e32 v6, 16, v55
	v_cndmask_b32_e32 v65, v65, v66, vcc_lo
	v_mul_f32_e32 v6, v3, v6
	v_and_b32_e32 v39, 0xffff0000, v65
	v_bfe_u32 v55, v6, 16, 1
	v_or_b32_e32 v66, 0x400000, v6
	v_cmp_u_f32_e32 vcc_lo, v6, v6
	v_add_f32_e32 v38, v39, v38
	v_add3_u32 v55, v55, v6, 0x7fff
	v_and_b32_e32 v6, 0xffff0000, v2
	v_lshlrev_b32_e32 v2, 16, v64
	v_add_f32_e32 v35, v35, v38
	v_cndmask_b32_e32 v55, v55, v66, vcc_lo
	v_mul_f32_e32 v48, v6, v48
	v_mul_f32_e32 v2, v6, v2
	;; [unrolled: 1-line block ×3, first 2 shown]
	v_and_b32_e32 v39, 0xffff0000, v55
	v_bfe_u32 v64, v2, 16, 1
	v_or_b32_e32 v66, 0x400000, v2
	v_cmp_u_f32_e32 vcc_lo, v2, v2
	v_add3_u32 v64, v64, v2, 0x7fff
	v_and_b32_e32 v2, 0xffff0000, v71
	v_cndmask_b32_e32 v64, v64, v66, vcc_lo
	v_lshlrev_b32_e32 v66, 16, v69
	v_mul_f32_e32 v21, v2, v21
	v_mul_f32_e32 v18, v2, v18
	v_and_b32_e32 v38, 0xffff0000, v64
	v_mul_f32_e32 v66, v2, v66
	v_add_f32_e32 v38, v38, v39
	v_bfe_u32 v69, v66, 16, 1
	v_or_b32_e32 v71, 0x400000, v66
	v_cmp_u_f32_e32 vcc_lo, v66, v66
	v_add_f32_e32 v35, v35, v38
	v_add3_u32 v69, v69, v66, 0x7fff
	v_cndmask_b32_e32 v66, v69, v71, vcc_lo
	v_bfe_u32 v69, v12, 16, 1
	v_or_b32_e32 v71, 0x400000, v12
	v_cmp_u_f32_e32 vcc_lo, v12, v12
	v_and_b32_e32 v38, 0xffff0000, v66
	v_add3_u32 v69, v69, v12, 0x7fff
	v_cndmask_b32_e32 v12, v69, v71, vcc_lo
	v_and_b32_e32 v12, 0xffff0000, v12
	v_add_f32_e32 v12, v12, v38
	v_add_f32_e32 v12, v35, v12
	buffer_load_dword v35, off, s[0:3], s32 offset:224 ; 4-byte Folded Reload
	s_waitcnt vmcnt(0)
	v_add_f32_e32 v35, v35, v12
	v_lshlrev_b32_e32 v12, 16, v52
	buffer_store_dword v35, off, s[0:3], s32 offset:224 ; 4-byte Folded Spill
	v_mul_f32_e32 v12, v7, v12
	v_bfe_u32 v35, v12, 16, 1
	v_or_b32_e32 v38, 0x400000, v12
	v_cmp_u_f32_e32 vcc_lo, v12, v12
	v_add3_u32 v35, v35, v12, 0x7fff
	v_cndmask_b32_e32 v12, v35, v38, vcc_lo
	v_lshlrev_b32_e32 v35, 16, v53
	v_and_b32_e32 v12, 0xffff0000, v12
	v_mul_f32_e32 v35, v9, v35
	v_bfe_u32 v38, v35, 16, 1
	v_or_b32_e32 v39, 0x400000, v35
	v_cmp_u_f32_e32 vcc_lo, v35, v35
	v_add3_u32 v38, v38, v35, 0x7fff
	v_cndmask_b32_e32 v35, v38, v39, vcc_lo
	v_lshlrev_b32_e32 v38, 16, v49
	v_and_b32_e32 v35, 0xffff0000, v35
	v_mul_f32_e32 v38, v5, v38
	v_add_f32_e32 v12, v35, v12
	v_bfe_u32 v39, v38, 16, 1
	v_or_b32_e32 v49, 0x400000, v38
	v_cmp_u_f32_e32 vcc_lo, v38, v38
	v_add3_u32 v39, v39, v38, 0x7fff
	v_cndmask_b32_e32 v38, v39, v49, vcc_lo
	v_lshlrev_b32_e32 v39, 16, v50
	v_and_b32_e32 v38, 0xffff0000, v38
	v_mul_f32_e32 v39, v8, v39
	v_bfe_u32 v49, v39, 16, 1
	v_or_b32_e32 v50, 0x400000, v39
	v_cmp_u_f32_e32 vcc_lo, v39, v39
	v_add3_u32 v49, v49, v39, 0x7fff
	v_cndmask_b32_e32 v39, v49, v50, vcc_lo
	v_bfe_u32 v49, v30, 16, 1
	v_or_b32_e32 v50, 0x400000, v30
	v_cmp_u_f32_e32 vcc_lo, v30, v30
	v_and_b32_e32 v35, 0xffff0000, v39
	v_add3_u32 v49, v49, v30, 0x7fff
	v_add_f32_e32 v35, v35, v38
	v_cndmask_b32_e32 v30, v49, v50, vcc_lo
	v_bfe_u32 v49, v48, 16, 1
	v_or_b32_e32 v50, 0x400000, v48
	v_cmp_u_f32_e32 vcc_lo, v48, v48
	v_add_f32_e32 v12, v12, v35
	v_and_b32_e32 v30, 0xffff0000, v30
	v_add3_u32 v49, v49, v48, 0x7fff
	v_cndmask_b32_e32 v48, v49, v50, vcc_lo
	v_lshlrev_b32_e32 v49, 16, v54
	v_and_b32_e32 v35, 0xffff0000, v48
	v_mul_f32_e32 v49, v2, v49
	v_add_f32_e32 v30, v35, v30
	v_bfe_u32 v50, v49, 16, 1
	v_or_b32_e32 v52, 0x400000, v49
	v_cmp_u_f32_e32 vcc_lo, v49, v49
	v_add_f32_e32 v12, v12, v30
	v_add3_u32 v50, v50, v49, 0x7fff
	v_cndmask_b32_e32 v49, v50, v52, vcc_lo
	v_lshlrev_b32_e32 v50, 16, v51
	v_and_b32_e32 v35, 0xffff0000, v49
	v_mul_f32_e32 v50, v4, v50
	v_bfe_u32 v51, v50, 16, 1
	v_or_b32_e32 v52, 0x400000, v50
	v_cmp_u_f32_e32 vcc_lo, v50, v50
	v_add3_u32 v51, v51, v50, 0x7fff
	v_cndmask_b32_e32 v50, v51, v52, vcc_lo
	v_and_b32_e32 v30, 0xffff0000, v50
	v_add_f32_e32 v30, v30, v35
	v_add_f32_e32 v12, v12, v30
	buffer_load_dword v30, off, s[0:3], s32 offset:228 ; 4-byte Folded Reload
	s_waitcnt vmcnt(0)
	v_add_f32_e32 v30, v30, v12
	v_lshlrev_b32_e32 v12, 16, v16
	buffer_store_dword v30, off, s[0:3], s32 offset:228 ; 4-byte Folded Spill
	v_mul_f32_e32 v12, v7, v12
	v_bfe_u32 v16, v12, 16, 1
	v_or_b32_e32 v30, 0x400000, v12
	v_cmp_u_f32_e32 vcc_lo, v12, v12
	v_add3_u32 v16, v16, v12, 0x7fff
	v_cndmask_b32_e32 v12, v16, v30, vcc_lo
	v_lshlrev_b32_e32 v16, 16, v83
	v_and_b32_e32 v12, 0xffff0000, v12
	v_mul_f32_e32 v16, v9, v16
	v_bfe_u32 v30, v16, 16, 1
	v_or_b32_e32 v35, 0x400000, v16
	v_cmp_u_f32_e32 vcc_lo, v16, v16
	v_add3_u32 v30, v30, v16, 0x7fff
	v_cndmask_b32_e32 v16, v30, v35, vcc_lo
	v_bfe_u32 v30, v29, 16, 1
	v_or_b32_e32 v35, 0x400000, v29
	v_cmp_u_f32_e32 vcc_lo, v29, v29
	v_and_b32_e32 v16, 0xffff0000, v16
	v_add3_u32 v30, v30, v29, 0x7fff
	v_add_f32_e32 v12, v16, v12
	v_cndmask_b32_e32 v29, v30, v35, vcc_lo
	v_lshlrev_b32_e32 v30, 16, v81
	v_and_b32_e32 v29, 0xffff0000, v29
	v_mul_f32_e32 v30, v8, v30
	v_bfe_u32 v35, v30, 16, 1
	v_or_b32_e32 v38, 0x400000, v30
	v_cmp_u_f32_e32 vcc_lo, v30, v30
	v_add3_u32 v35, v35, v30, 0x7fff
	v_cndmask_b32_e32 v30, v35, v38, vcc_lo
	v_lshlrev_b32_e32 v35, 16, v126
	v_and_b32_e32 v16, 0xffff0000, v30
	v_mul_f32_e32 v35, v3, v35
	v_add_f32_e32 v16, v16, v29
	v_bfe_u32 v38, v35, 16, 1
	v_or_b32_e32 v39, 0x400000, v35
	v_cmp_u_f32_e32 vcc_lo, v35, v35
	v_add_f32_e32 v12, v12, v16
	v_add3_u32 v38, v38, v35, 0x7fff
	v_cndmask_b32_e32 v35, v38, v39, vcc_lo
	v_lshlrev_b32_e32 v38, 16, v127
	v_and_b32_e32 v29, 0xffff0000, v35
	v_mul_f32_e32 v38, v6, v38
	v_bfe_u32 v39, v38, 16, 1
	v_or_b32_e32 v48, 0x400000, v38
	v_cmp_u_f32_e32 vcc_lo, v38, v38
	v_add3_u32 v39, v39, v38, 0x7fff
	v_cndmask_b32_e32 v38, v39, v48, vcc_lo
	v_bfe_u32 v39, v21, 16, 1
	v_or_b32_e32 v48, 0x400000, v21
	v_cmp_u_f32_e32 vcc_lo, v21, v21
	v_and_b32_e32 v16, 0xffff0000, v38
	v_add3_u32 v39, v39, v21, 0x7fff
	v_add_f32_e32 v16, v16, v29
	v_cndmask_b32_e32 v21, v39, v48, vcc_lo
	v_bfe_u32 v39, v15, 16, 1
	v_or_b32_e32 v48, 0x400000, v15
	v_cmp_u_f32_e32 vcc_lo, v15, v15
	v_add_f32_e32 v12, v12, v16
	v_and_b32_e32 v16, 0xffff0000, v21
	v_add3_u32 v39, v39, v15, 0x7fff
	v_cndmask_b32_e32 v15, v39, v48, vcc_lo
	v_and_b32_e32 v15, 0xffff0000, v15
	v_add_f32_e32 v15, v15, v16
	v_add_f32_e32 v12, v12, v15
	buffer_load_dword v15, off, s[0:3], s32 offset:232 ; 4-byte Folded Reload
	s_waitcnt vmcnt(0)
	v_add_f32_e32 v15, v15, v12
	v_lshlrev_b32_e32 v12, 16, v123
	buffer_store_dword v15, off, s[0:3], s32 offset:232 ; 4-byte Folded Spill
	v_mul_f32_e32 v12, v7, v12
	v_bfe_u32 v15, v12, 16, 1
	v_or_b32_e32 v16, 0x400000, v12
	v_cmp_u_f32_e32 vcc_lo, v12, v12
	v_add3_u32 v15, v15, v12, 0x7fff
	v_cndmask_b32_e32 v12, v15, v16, vcc_lo
	v_lshlrev_b32_e32 v15, 16, v124
	v_and_b32_e32 v12, 0xffff0000, v12
	v_mul_f32_e32 v15, v9, v15
	v_bfe_u32 v16, v15, 16, 1
	v_or_b32_e32 v21, 0x400000, v15
	v_cmp_u_f32_e32 vcc_lo, v15, v15
	v_add3_u32 v16, v16, v15, 0x7fff
	v_cndmask_b32_e32 v15, v16, v21, vcc_lo
	v_lshlrev_b32_e32 v16, 16, v120
	v_and_b32_e32 v15, 0xffff0000, v15
	v_mul_f32_e32 v16, v5, v16
	v_add_f32_e32 v12, v15, v12
	v_bfe_u32 v21, v16, 16, 1
	v_or_b32_e32 v29, 0x400000, v16
	v_cmp_u_f32_e32 vcc_lo, v16, v16
	v_add3_u32 v21, v21, v16, 0x7fff
	v_cndmask_b32_e32 v16, v21, v29, vcc_lo
	v_lshlrev_b32_e32 v21, 16, v121
	v_and_b32_e32 v16, 0xffff0000, v16
	v_mul_f32_e32 v21, v8, v21
	v_bfe_u32 v29, v21, 16, 1
	v_or_b32_e32 v30, 0x400000, v21
	v_cmp_u_f32_e32 vcc_lo, v21, v21
	v_add3_u32 v29, v29, v21, 0x7fff
	v_cndmask_b32_e32 v21, v29, v30, vcc_lo
	v_lshlrev_b32_e32 v29, 16, v110
	v_and_b32_e32 v15, 0xffff0000, v21
	v_mul_f32_e32 v29, v3, v29
	v_add_f32_e32 v15, v15, v16
	v_bfe_u32 v30, v29, 16, 1
	v_or_b32_e32 v35, 0x400000, v29
	v_cmp_u_f32_e32 vcc_lo, v29, v29
	v_add_f32_e32 v12, v12, v15
	v_add3_u32 v30, v30, v29, 0x7fff
	v_cndmask_b32_e32 v29, v30, v35, vcc_lo
	v_lshlrev_b32_e32 v30, 16, v111
	v_and_b32_e32 v16, 0xffff0000, v29
	v_mul_f32_e32 v30, v6, v30
	v_bfe_u32 v35, v30, 16, 1
	v_or_b32_e32 v38, 0x400000, v30
	v_cmp_u_f32_e32 vcc_lo, v30, v30
	v_add3_u32 v35, v35, v30, 0x7fff
	v_cndmask_b32_e32 v30, v35, v38, vcc_lo
	v_lshlrev_b32_e32 v35, 16, v125
	v_and_b32_e32 v15, 0xffff0000, v30
	v_mul_f32_e32 v35, v2, v35
	v_add_f32_e32 v15, v15, v16
	v_bfe_u32 v38, v35, 16, 1
	v_or_b32_e32 v39, 0x400000, v35
	v_cmp_u_f32_e32 vcc_lo, v35, v35
	v_add_f32_e32 v12, v12, v15
	v_add3_u32 v38, v38, v35, 0x7fff
	v_cndmask_b32_e32 v35, v38, v39, vcc_lo
	v_lshlrev_b32_e32 v38, 16, v122
	v_and_b32_e32 v16, 0xffff0000, v35
	v_mul_f32_e32 v38, v4, v38
	v_bfe_u32 v39, v38, 16, 1
	v_or_b32_e32 v48, 0x400000, v38
	v_cmp_u_f32_e32 vcc_lo, v38, v38
	v_add3_u32 v39, v39, v38, 0x7fff
	v_cndmask_b32_e32 v38, v39, v48, vcc_lo
	v_and_b32_e32 v15, 0xffff0000, v38
	v_add_f32_e32 v15, v15, v16
	v_add_f32_e32 v12, v12, v15
	buffer_load_dword v15, off, s[0:3], s32 offset:236 ; 4-byte Folded Reload
	s_waitcnt vmcnt(0)
	v_add_f32_e32 v15, v15, v12
	v_lshlrev_b32_e32 v12, 16, v107
	buffer_store_dword v15, off, s[0:3], s32 offset:236 ; 4-byte Folded Spill
	v_mul_f32_e32 v12, v7, v12
	v_bfe_u32 v15, v12, 16, 1
	v_or_b32_e32 v16, 0x400000, v12
	v_cmp_u_f32_e32 vcc_lo, v12, v12
	v_add3_u32 v15, v15, v12, 0x7fff
	v_cndmask_b32_e32 v12, v15, v16, vcc_lo
	v_lshlrev_b32_e32 v15, 16, v108
	v_and_b32_e32 v12, 0xffff0000, v12
	v_mul_f32_e32 v15, v9, v15
	v_bfe_u32 v16, v15, 16, 1
	v_or_b32_e32 v21, 0x400000, v15
	v_cmp_u_f32_e32 vcc_lo, v15, v15
	v_add3_u32 v16, v16, v15, 0x7fff
	v_cndmask_b32_e32 v15, v16, v21, vcc_lo
	v_lshlrev_b32_e32 v16, 16, v104
	v_and_b32_e32 v15, 0xffff0000, v15
	v_mul_f32_e32 v16, v5, v16
	v_add_f32_e32 v12, v15, v12
	v_bfe_u32 v21, v16, 16, 1
	v_or_b32_e32 v29, 0x400000, v16
	v_cmp_u_f32_e32 vcc_lo, v16, v16
	v_add3_u32 v21, v21, v16, 0x7fff
	v_cndmask_b32_e32 v16, v21, v29, vcc_lo
	v_lshlrev_b32_e32 v21, 16, v105
	v_and_b32_e32 v16, 0xffff0000, v16
	v_mul_f32_e32 v21, v8, v21
	v_bfe_u32 v29, v21, 16, 1
	v_or_b32_e32 v30, 0x400000, v21
	v_cmp_u_f32_e32 vcc_lo, v21, v21
	v_add3_u32 v29, v29, v21, 0x7fff
	v_cndmask_b32_e32 v21, v29, v30, vcc_lo
	v_lshlrev_b32_e32 v29, 16, v94
	v_and_b32_e32 v15, 0xffff0000, v21
	v_mul_f32_e32 v29, v3, v29
	v_add_f32_e32 v15, v15, v16
	v_bfe_u32 v30, v29, 16, 1
	v_or_b32_e32 v35, 0x400000, v29
	v_cmp_u_f32_e32 vcc_lo, v29, v29
	v_add_f32_e32 v12, v12, v15
	v_add3_u32 v30, v30, v29, 0x7fff
	v_cndmask_b32_e32 v29, v30, v35, vcc_lo
	v_lshlrev_b32_e32 v30, 16, v95
	v_and_b32_e32 v16, 0xffff0000, v29
	v_mul_f32_e32 v30, v6, v30
	v_bfe_u32 v35, v30, 16, 1
	v_or_b32_e32 v38, 0x400000, v30
	v_cmp_u_f32_e32 vcc_lo, v30, v30
	v_add3_u32 v35, v35, v30, 0x7fff
	v_cndmask_b32_e32 v30, v35, v38, vcc_lo
	v_lshlrev_b32_e32 v35, 16, v109
	v_and_b32_e32 v15, 0xffff0000, v30
	v_mul_f32_e32 v35, v2, v35
	v_add_f32_e32 v15, v15, v16
	v_bfe_u32 v38, v35, 16, 1
	v_or_b32_e32 v39, 0x400000, v35
	v_cmp_u_f32_e32 vcc_lo, v35, v35
	v_add_f32_e32 v12, v12, v15
	v_add3_u32 v38, v38, v35, 0x7fff
	v_cndmask_b32_e32 v35, v38, v39, vcc_lo
	v_lshlrev_b32_e32 v38, 16, v106
	v_and_b32_e32 v16, 0xffff0000, v35
	v_mul_f32_e32 v38, v4, v38
	v_bfe_u32 v39, v38, 16, 1
	v_or_b32_e32 v48, 0x400000, v38
	v_cmp_u_f32_e32 vcc_lo, v38, v38
	v_add3_u32 v39, v39, v38, 0x7fff
	v_cndmask_b32_e32 v38, v39, v48, vcc_lo
	v_and_b32_e32 v15, 0xffff0000, v38
	v_add_f32_e32 v15, v15, v16
	v_add_f32_e32 v12, v12, v15
	buffer_load_dword v15, off, s[0:3], s32 offset:240 ; 4-byte Folded Reload
	s_waitcnt vmcnt(0)
	v_add_f32_e32 v15, v15, v12
	v_lshlrev_b32_e32 v12, 16, v33
	buffer_store_dword v15, off, s[0:3], s32 offset:240 ; 4-byte Folded Spill
	v_mul_f32_e32 v12, v7, v12
	v_bfe_u32 v15, v12, 16, 1
	v_or_b32_e32 v16, 0x400000, v12
	v_cmp_u_f32_e32 vcc_lo, v12, v12
	v_add3_u32 v15, v15, v12, 0x7fff
	v_cndmask_b32_e32 v12, v15, v16, vcc_lo
	v_lshlrev_b32_e32 v15, 16, v31
	v_and_b32_e32 v12, 0xffff0000, v12
	v_mul_f32_e32 v15, v9, v15
	v_bfe_u32 v16, v15, 16, 1
	v_or_b32_e32 v21, 0x400000, v15
	v_cmp_u_f32_e32 vcc_lo, v15, v15
	v_add3_u32 v16, v16, v15, 0x7fff
	v_cndmask_b32_e32 v15, v16, v21, vcc_lo
	v_lshlrev_b32_e32 v16, 16, v22
	v_and_b32_e32 v15, 0xffff0000, v15
	v_mul_f32_e32 v16, v5, v16
	v_add_f32_e32 v12, v15, v12
	v_bfe_u32 v21, v16, 16, 1
	v_or_b32_e32 v22, 0x400000, v16
	v_cmp_u_f32_e32 vcc_lo, v16, v16
	v_add3_u32 v21, v21, v16, 0x7fff
	v_cndmask_b32_e32 v16, v21, v22, vcc_lo
	v_lshlrev_b32_e32 v21, 16, v23
	v_and_b32_e32 v16, 0xffff0000, v16
	v_mul_f32_e32 v21, v8, v21
	v_bfe_u32 v22, v21, 16, 1
	v_or_b32_e32 v23, 0x400000, v21
	v_cmp_u_f32_e32 vcc_lo, v21, v21
	v_add3_u32 v22, v22, v21, 0x7fff
	v_cndmask_b32_e32 v21, v22, v23, vcc_lo
	v_bfe_u32 v22, v1, 16, 1
	v_or_b32_e32 v23, 0x400000, v1
	v_cmp_u_f32_e32 vcc_lo, v1, v1
	v_and_b32_e32 v15, 0xffff0000, v21
	v_add3_u32 v22, v22, v1, 0x7fff
	v_add_f32_e32 v15, v15, v16
	v_cndmask_b32_e32 v1, v22, v23, vcc_lo
	v_bfe_u32 v22, v0, 16, 1
	v_or_b32_e32 v23, 0x400000, v0
	v_cmp_u_f32_e32 vcc_lo, v0, v0
	v_add_f32_e32 v12, v12, v15
	v_and_b32_e32 v1, 0xffff0000, v1
	v_add3_u32 v22, v22, v0, 0x7fff
	v_cndmask_b32_e32 v0, v22, v23, vcc_lo
	v_bfe_u32 v22, v18, 16, 1
	v_or_b32_e32 v23, 0x400000, v18
	v_cmp_u_f32_e32 vcc_lo, v18, v18
	v_and_b32_e32 v0, 0xffff0000, v0
	v_add3_u32 v22, v22, v18, 0x7fff
	v_add_f32_e32 v0, v0, v1
	v_cndmask_b32_e32 v18, v22, v23, vcc_lo
	v_bfe_u32 v22, v17, 16, 1
	v_or_b32_e32 v23, 0x400000, v17
	v_cmp_u_f32_e32 vcc_lo, v17, v17
	v_add_f32_e32 v0, v12, v0
	v_and_b32_e32 v12, 0xffff0000, v18
	v_add3_u32 v22, v22, v17, 0x7fff
	v_cndmask_b32_e32 v17, v22, v23, vcc_lo
	v_and_b32_e32 v1, 0xffff0000, v17
	v_add_f32_e32 v1, v1, v12
	v_add_f32_e32 v0, v0, v1
	buffer_load_dword v1, off, s[0:3], s32 offset:244 ; 4-byte Folded Reload
	s_waitcnt vmcnt(0)
	v_add_f32_e32 v1, v1, v0
	v_lshlrev_b32_e32 v0, 16, v93
	buffer_store_dword v1, off, s[0:3], s32 offset:244 ; 4-byte Folded Spill
	v_mul_f32_e32 v0, v7, v0
	v_bfe_u32 v1, v0, 16, 1
	v_or_b32_e32 v12, 0x400000, v0
	v_cmp_u_f32_e32 vcc_lo, v0, v0
	v_add3_u32 v1, v1, v0, 0x7fff
	v_cndmask_b32_e32 v0, v1, v12, vcc_lo
	v_lshlrev_b32_e32 v1, 16, v92
	v_and_b32_e32 v0, 0xffff0000, v0
	v_mul_f32_e32 v1, v9, v1
	v_bfe_u32 v12, v1, 16, 1
	v_or_b32_e32 v15, 0x400000, v1
	v_cmp_u_f32_e32 vcc_lo, v1, v1
	v_add3_u32 v12, v12, v1, 0x7fff
	v_cndmask_b32_e32 v1, v12, v15, vcc_lo
	v_lshlrev_b32_e32 v12, 16, v90
	v_and_b32_e32 v1, 0xffff0000, v1
	v_mul_f32_e32 v12, v5, v12
	v_add_f32_e32 v0, v1, v0
	v_bfe_u32 v15, v12, 16, 1
	v_or_b32_e32 v16, 0x400000, v12
	v_cmp_u_f32_e32 vcc_lo, v12, v12
	v_add3_u32 v15, v15, v12, 0x7fff
	v_cndmask_b32_e32 v12, v15, v16, vcc_lo
	v_lshlrev_b32_e32 v15, 16, v91
	v_and_b32_e32 v12, 0xffff0000, v12
	v_mul_f32_e32 v15, v8, v15
	v_bfe_u32 v16, v15, 16, 1
	v_or_b32_e32 v17, 0x400000, v15
	v_cmp_u_f32_e32 vcc_lo, v15, v15
	v_add3_u32 v16, v16, v15, 0x7fff
	v_cndmask_b32_e32 v15, v16, v17, vcc_lo
	v_lshlrev_b32_e32 v16, 16, v79
	v_and_b32_e32 v1, 0xffff0000, v15
	v_mul_f32_e32 v16, v3, v16
	v_add_f32_e32 v1, v1, v12
	v_bfe_u32 v17, v16, 16, 1
	v_or_b32_e32 v18, 0x400000, v16
	v_cmp_u_f32_e32 vcc_lo, v16, v16
	v_add_f32_e32 v0, v0, v1
	v_add3_u32 v17, v17, v16, 0x7fff
	v_cndmask_b32_e32 v16, v17, v18, vcc_lo
	v_lshlrev_b32_e32 v17, 16, v78
	v_and_b32_e32 v12, 0xffff0000, v16
	v_mul_f32_e32 v17, v6, v17
	v_bfe_u32 v18, v17, 16, 1
	v_or_b32_e32 v21, 0x400000, v17
	v_cmp_u_f32_e32 vcc_lo, v17, v17
	v_add3_u32 v18, v18, v17, 0x7fff
	v_cndmask_b32_e32 v17, v18, v21, vcc_lo
	v_lshlrev_b32_e32 v18, 16, v89
	v_and_b32_e32 v1, 0xffff0000, v17
	v_mul_f32_e32 v18, v2, v18
	v_add_f32_e32 v1, v1, v12
	v_bfe_u32 v21, v18, 16, 1
	v_or_b32_e32 v22, 0x400000, v18
	v_cmp_u_f32_e32 vcc_lo, v18, v18
	v_add_f32_e32 v0, v0, v1
	v_add3_u32 v21, v21, v18, 0x7fff
	v_cndmask_b32_e32 v18, v21, v22, vcc_lo
	v_lshlrev_b32_e32 v21, 16, v88
	v_and_b32_e32 v12, 0xffff0000, v18
	v_mul_f32_e32 v21, v4, v21
	v_bfe_u32 v22, v21, 16, 1
	v_or_b32_e32 v23, 0x400000, v21
	v_cmp_u_f32_e32 vcc_lo, v21, v21
	v_add3_u32 v22, v22, v21, 0x7fff
	v_cndmask_b32_e32 v21, v22, v23, vcc_lo
	v_and_b32_e32 v1, 0xffff0000, v21
	v_add_f32_e32 v1, v1, v12
	v_add_f32_e32 v0, v0, v1
	buffer_load_dword v1, off, s[0:3], s32 offset:248 ; 4-byte Folded Reload
	s_waitcnt vmcnt(0)
	v_add_f32_e32 v1, v1, v0
	v_lshlrev_b32_e32 v0, 16, v77
	buffer_store_dword v1, off, s[0:3], s32 offset:248 ; 4-byte Folded Spill
	v_mul_f32_e32 v0, v7, v0
	v_bfe_u32 v1, v0, 16, 1
	v_or_b32_e32 v12, 0x400000, v0
	v_cmp_u_f32_e32 vcc_lo, v0, v0
	v_add3_u32 v1, v1, v0, 0x7fff
	v_cndmask_b32_e32 v0, v1, v12, vcc_lo
	v_lshlrev_b32_e32 v1, 16, v76
	v_and_b32_e32 v0, 0xffff0000, v0
	v_mul_f32_e32 v1, v9, v1
	v_bfe_u32 v12, v1, 16, 1
	v_or_b32_e32 v15, 0x400000, v1
	v_cmp_u_f32_e32 vcc_lo, v1, v1
	v_add3_u32 v12, v12, v1, 0x7fff
	v_cndmask_b32_e32 v1, v12, v15, vcc_lo
	v_lshlrev_b32_e32 v12, 16, v74
	v_and_b32_e32 v1, 0xffff0000, v1
	v_mul_f32_e32 v12, v5, v12
	v_add_f32_e32 v0, v1, v0
	v_bfe_u32 v15, v12, 16, 1
	v_or_b32_e32 v16, 0x400000, v12
	v_cmp_u_f32_e32 vcc_lo, v12, v12
	v_add3_u32 v15, v15, v12, 0x7fff
	v_cndmask_b32_e32 v12, v15, v16, vcc_lo
	v_lshlrev_b32_e32 v15, 16, v75
	v_and_b32_e32 v12, 0xffff0000, v12
	v_mul_f32_e32 v15, v8, v15
	v_bfe_u32 v16, v15, 16, 1
	v_or_b32_e32 v17, 0x400000, v15
	v_cmp_u_f32_e32 vcc_lo, v15, v15
	v_add3_u32 v16, v16, v15, 0x7fff
	v_cndmask_b32_e32 v15, v16, v17, vcc_lo
	v_lshlrev_b32_e32 v16, 16, v63
	v_and_b32_e32 v1, 0xffff0000, v15
	v_mul_f32_e32 v16, v3, v16
	v_add_f32_e32 v1, v1, v12
	v_bfe_u32 v17, v16, 16, 1
	v_or_b32_e32 v18, 0x400000, v16
	v_cmp_u_f32_e32 vcc_lo, v16, v16
	v_add_f32_e32 v0, v0, v1
	v_add3_u32 v17, v17, v16, 0x7fff
	v_cndmask_b32_e32 v16, v17, v18, vcc_lo
	v_lshlrev_b32_e32 v17, 16, v62
	v_and_b32_e32 v12, 0xffff0000, v16
	v_mul_f32_e32 v17, v6, v17
	v_bfe_u32 v18, v17, 16, 1
	v_or_b32_e32 v21, 0x400000, v17
	v_cmp_u_f32_e32 vcc_lo, v17, v17
	v_add3_u32 v18, v18, v17, 0x7fff
	v_cndmask_b32_e32 v17, v18, v21, vcc_lo
	v_lshlrev_b32_e32 v18, 16, v73
	v_and_b32_e32 v1, 0xffff0000, v17
	v_mul_f32_e32 v18, v2, v18
	v_add_f32_e32 v1, v1, v12
	v_bfe_u32 v21, v18, 16, 1
	v_or_b32_e32 v22, 0x400000, v18
	v_cmp_u_f32_e32 vcc_lo, v18, v18
	v_add_f32_e32 v0, v0, v1
	v_add3_u32 v21, v21, v18, 0x7fff
	v_cndmask_b32_e32 v18, v21, v22, vcc_lo
	v_lshlrev_b32_e32 v21, 16, v72
	v_and_b32_e32 v12, 0xffff0000, v18
	v_mul_f32_e32 v21, v4, v21
	v_bfe_u32 v22, v21, 16, 1
	v_or_b32_e32 v23, 0x400000, v21
	v_cmp_u_f32_e32 vcc_lo, v21, v21
	v_add3_u32 v22, v22, v21, 0x7fff
	v_cndmask_b32_e32 v21, v22, v23, vcc_lo
	v_and_b32_e32 v1, 0xffff0000, v21
	v_add_f32_e32 v1, v1, v12
	v_add_f32_e32 v0, v0, v1
	buffer_load_dword v1, off, s[0:3], s32 offset:252 ; 4-byte Folded Reload
	s_waitcnt vmcnt(0)
	v_add_f32_e32 v1, v1, v0
	v_lshlrev_b32_e32 v0, 16, v44
	buffer_store_dword v1, off, s[0:3], s32 offset:252 ; 4-byte Folded Spill
	v_mul_f32_e32 v0, v7, v0
	v_bfe_u32 v1, v0, 16, 1
	v_or_b32_e32 v12, 0x400000, v0
	v_cmp_u_f32_e32 vcc_lo, v0, v0
	v_add3_u32 v1, v1, v0, 0x7fff
	v_cndmask_b32_e32 v0, v1, v12, vcc_lo
	v_lshlrev_b32_e32 v1, 16, v43
	v_and_b32_e32 v0, 0xffff0000, v0
	v_mul_f32_e32 v1, v9, v1
	v_bfe_u32 v12, v1, 16, 1
	v_or_b32_e32 v15, 0x400000, v1
	v_cmp_u_f32_e32 vcc_lo, v1, v1
	v_add3_u32 v12, v12, v1, 0x7fff
	v_cndmask_b32_e32 v1, v12, v15, vcc_lo
	v_lshlrev_b32_e32 v12, 16, v41
	v_and_b32_e32 v1, 0xffff0000, v1
	v_mul_f32_e32 v12, v5, v12
	v_add_f32_e32 v0, v1, v0
	v_bfe_u32 v15, v12, 16, 1
	v_or_b32_e32 v16, 0x400000, v12
	v_cmp_u_f32_e32 vcc_lo, v12, v12
	v_add3_u32 v15, v15, v12, 0x7fff
	v_cndmask_b32_e32 v12, v15, v16, vcc_lo
	v_lshlrev_b32_e32 v15, 16, v42
	v_and_b32_e32 v12, 0xffff0000, v12
	v_mul_f32_e32 v15, v8, v15
	v_bfe_u32 v16, v15, 16, 1
	v_or_b32_e32 v17, 0x400000, v15
	v_cmp_u_f32_e32 vcc_lo, v15, v15
	v_add3_u32 v16, v16, v15, 0x7fff
	v_cndmask_b32_e32 v15, v16, v17, vcc_lo
	v_lshlrev_b32_e32 v16, 16, v40
	v_and_b32_e32 v1, 0xffff0000, v15
	v_mul_f32_e32 v16, v3, v16
	v_add_f32_e32 v1, v1, v12
	v_bfe_u32 v17, v16, 16, 1
	v_or_b32_e32 v18, 0x400000, v16
	v_cmp_u_f32_e32 vcc_lo, v16, v16
	v_add_f32_e32 v0, v0, v1
	v_add3_u32 v17, v17, v16, 0x7fff
	v_cndmask_b32_e32 v16, v17, v18, vcc_lo
	v_lshlrev_b32_e32 v17, 16, v118
	v_and_b32_e32 v12, 0xffff0000, v16
	v_mul_f32_e32 v17, v6, v17
	v_bfe_u32 v18, v17, 16, 1
	v_or_b32_e32 v21, 0x400000, v17
	v_cmp_u_f32_e32 vcc_lo, v17, v17
	v_add3_u32 v18, v18, v17, 0x7fff
	v_cndmask_b32_e32 v17, v18, v21, vcc_lo
	v_lshlrev_b32_e32 v18, 16, v119
	v_and_b32_e32 v1, 0xffff0000, v17
	v_mul_f32_e32 v18, v2, v18
	v_add_f32_e32 v1, v1, v12
	v_bfe_u32 v21, v18, 16, 1
	v_or_b32_e32 v22, 0x400000, v18
	v_cmp_u_f32_e32 vcc_lo, v18, v18
	v_add_f32_e32 v0, v0, v1
	v_add3_u32 v21, v21, v18, 0x7fff
	v_cndmask_b32_e32 v18, v21, v22, vcc_lo
	v_lshlrev_b32_e32 v21, 16, v117
	v_and_b32_e32 v12, 0xffff0000, v18
	v_mul_f32_e32 v21, v4, v21
	v_bfe_u32 v22, v21, 16, 1
	v_or_b32_e32 v23, 0x400000, v21
	v_cmp_u_f32_e32 vcc_lo, v21, v21
	v_add3_u32 v22, v22, v21, 0x7fff
	v_cndmask_b32_e32 v21, v22, v23, vcc_lo
	v_and_b32_e32 v1, 0xffff0000, v21
	v_add_f32_e32 v1, v1, v12
	v_add_f32_e32 v0, v0, v1
	buffer_load_dword v1, off, s[0:3], s32 offset:256 ; 4-byte Folded Reload
	s_waitcnt vmcnt(0)
	v_add_f32_e32 v1, v1, v0
	v_lshlrev_b32_e32 v0, 16, v116
	buffer_store_dword v1, off, s[0:3], s32 offset:256 ; 4-byte Folded Spill
	v_mul_f32_e32 v0, v7, v0
	v_bfe_u32 v1, v0, 16, 1
	v_or_b32_e32 v12, 0x400000, v0
	v_cmp_u_f32_e32 vcc_lo, v0, v0
	v_add3_u32 v1, v1, v0, 0x7fff
	v_cndmask_b32_e32 v0, v1, v12, vcc_lo
	v_lshlrev_b32_e32 v1, 16, v115
	v_and_b32_e32 v0, 0xffff0000, v0
	v_mul_f32_e32 v1, v9, v1
	v_bfe_u32 v12, v1, 16, 1
	v_or_b32_e32 v15, 0x400000, v1
	v_cmp_u_f32_e32 vcc_lo, v1, v1
	v_add3_u32 v12, v12, v1, 0x7fff
	v_cndmask_b32_e32 v1, v12, v15, vcc_lo
	v_lshlrev_b32_e32 v12, 16, v114
	v_and_b32_e32 v1, 0xffff0000, v1
	v_mul_f32_e32 v12, v5, v12
	v_add_f32_e32 v0, v1, v0
	v_bfe_u32 v15, v12, 16, 1
	v_or_b32_e32 v16, 0x400000, v12
	v_cmp_u_f32_e32 vcc_lo, v12, v12
	v_add3_u32 v15, v15, v12, 0x7fff
	v_cndmask_b32_e32 v12, v15, v16, vcc_lo
	v_lshlrev_b32_e32 v15, 16, v113
	v_and_b32_e32 v12, 0xffff0000, v12
	v_mul_f32_e32 v15, v8, v15
	v_bfe_u32 v16, v15, 16, 1
	v_or_b32_e32 v17, 0x400000, v15
	v_cmp_u_f32_e32 vcc_lo, v15, v15
	v_add3_u32 v16, v16, v15, 0x7fff
	v_cndmask_b32_e32 v15, v16, v17, vcc_lo
	v_lshlrev_b32_e32 v16, 16, v112
	v_and_b32_e32 v1, 0xffff0000, v15
	v_mul_f32_e32 v16, v3, v16
	v_add_f32_e32 v1, v1, v12
	v_bfe_u32 v17, v16, 16, 1
	v_or_b32_e32 v18, 0x400000, v16
	v_cmp_u_f32_e32 vcc_lo, v16, v16
	v_add_f32_e32 v0, v0, v1
	v_add3_u32 v17, v17, v16, 0x7fff
	v_cndmask_b32_e32 v16, v17, v18, vcc_lo
	v_lshlrev_b32_e32 v17, 16, v103
	v_and_b32_e32 v12, 0xffff0000, v16
	v_mul_f32_e32 v17, v6, v17
	v_bfe_u32 v18, v17, 16, 1
	v_or_b32_e32 v21, 0x400000, v17
	v_cmp_u_f32_e32 vcc_lo, v17, v17
	v_add3_u32 v18, v18, v17, 0x7fff
	v_cndmask_b32_e32 v17, v18, v21, vcc_lo
	v_lshlrev_b32_e32 v18, 16, v102
	v_and_b32_e32 v1, 0xffff0000, v17
	v_mul_f32_e32 v18, v2, v18
	v_add_f32_e32 v1, v1, v12
	v_bfe_u32 v21, v18, 16, 1
	v_or_b32_e32 v22, 0x400000, v18
	v_cmp_u_f32_e32 vcc_lo, v18, v18
	v_add_f32_e32 v0, v0, v1
	v_add3_u32 v21, v21, v18, 0x7fff
	v_cndmask_b32_e32 v18, v21, v22, vcc_lo
	v_lshlrev_b32_e32 v21, 16, v101
	v_and_b32_e32 v12, 0xffff0000, v18
	v_mul_f32_e32 v21, v4, v21
	v_bfe_u32 v22, v21, 16, 1
	v_or_b32_e32 v23, 0x400000, v21
	v_cmp_u_f32_e32 vcc_lo, v21, v21
	v_add3_u32 v22, v22, v21, 0x7fff
	v_cndmask_b32_e32 v21, v22, v23, vcc_lo
	v_and_b32_e32 v1, 0xffff0000, v21
	v_add_f32_e32 v1, v1, v12
	v_add_f32_e32 v0, v0, v1
	buffer_load_dword v1, off, s[0:3], s32 offset:264 ; 4-byte Folded Reload
	s_waitcnt vmcnt(0)
	v_add_f32_e32 v1, v1, v0
	v_lshlrev_b32_e32 v0, 16, v100
	buffer_store_dword v1, off, s[0:3], s32 offset:264 ; 4-byte Folded Spill
	v_mul_f32_e32 v0, v7, v0
	v_bfe_u32 v1, v0, 16, 1
	v_or_b32_e32 v12, 0x400000, v0
	v_cmp_u_f32_e32 vcc_lo, v0, v0
	v_add3_u32 v1, v1, v0, 0x7fff
	v_cndmask_b32_e32 v0, v1, v12, vcc_lo
	v_lshlrev_b32_e32 v1, 16, v99
	v_and_b32_e32 v0, 0xffff0000, v0
	v_mul_f32_e32 v1, v9, v1
	v_bfe_u32 v12, v1, 16, 1
	v_or_b32_e32 v15, 0x400000, v1
	v_cmp_u_f32_e32 vcc_lo, v1, v1
	v_add3_u32 v12, v12, v1, 0x7fff
	v_cndmask_b32_e32 v1, v12, v15, vcc_lo
	v_lshlrev_b32_e32 v12, 16, v98
	v_and_b32_e32 v1, 0xffff0000, v1
	v_mul_f32_e32 v12, v5, v12
	v_add_f32_e32 v0, v1, v0
	v_bfe_u32 v15, v12, 16, 1
	v_or_b32_e32 v16, 0x400000, v12
	v_cmp_u_f32_e32 vcc_lo, v12, v12
	v_add3_u32 v15, v15, v12, 0x7fff
	v_cndmask_b32_e32 v12, v15, v16, vcc_lo
	v_lshlrev_b32_e32 v15, 16, v97
	v_and_b32_e32 v12, 0xffff0000, v12
	v_mul_f32_e32 v15, v8, v15
	v_bfe_u32 v16, v15, 16, 1
	v_or_b32_e32 v17, 0x400000, v15
	v_cmp_u_f32_e32 vcc_lo, v15, v15
	v_add3_u32 v16, v16, v15, 0x7fff
	v_cndmask_b32_e32 v15, v16, v17, vcc_lo
	v_lshlrev_b32_e32 v16, 16, v96
	v_and_b32_e32 v1, 0xffff0000, v15
	v_mul_f32_e32 v16, v3, v16
	v_add_f32_e32 v1, v1, v12
	v_bfe_u32 v17, v16, 16, 1
	v_or_b32_e32 v18, 0x400000, v16
	v_cmp_u_f32_e32 vcc_lo, v16, v16
	v_add_f32_e32 v0, v0, v1
	v_add3_u32 v17, v17, v16, 0x7fff
	v_cndmask_b32_e32 v16, v17, v18, vcc_lo
	buffer_load_dword v17, off, s[0:3], s32 offset:216 ; 4-byte Folded Reload
	v_and_b32_e32 v12, 0xffff0000, v16
	s_waitcnt vmcnt(0)
	v_lshlrev_b32_e32 v17, 16, v17
	v_mul_f32_e32 v17, v6, v17
	v_bfe_u32 v18, v17, 16, 1
	v_or_b32_e32 v21, 0x400000, v17
	v_cmp_u_f32_e32 vcc_lo, v17, v17
	v_add3_u32 v18, v18, v17, 0x7fff
	v_cndmask_b32_e32 v17, v18, v21, vcc_lo
	v_lshlrev_b32_e32 v18, 16, v87
	v_and_b32_e32 v1, 0xffff0000, v17
	v_mul_f32_e32 v18, v2, v18
	buffer_load_dword v17, off, s[0:3], s32 offset:272 ; 4-byte Folded Reload
	v_add_f32_e32 v1, v1, v12
	v_bfe_u32 v21, v18, 16, 1
	v_or_b32_e32 v22, 0x400000, v18
	v_cmp_u_f32_e32 vcc_lo, v18, v18
	v_add_f32_e32 v0, v0, v1
	v_add3_u32 v21, v21, v18, 0x7fff
	v_cndmask_b32_e32 v18, v21, v22, vcc_lo
	buffer_load_dword v21, off, s[0:3], s32 offset:212 ; 4-byte Folded Reload
	v_and_b32_e32 v12, 0xffff0000, v18
	s_waitcnt vmcnt(0)
	v_lshlrev_b32_e32 v21, 16, v21
	v_mul_f32_e32 v21, v4, v21
	v_bfe_u32 v22, v21, 16, 1
	v_or_b32_e32 v23, 0x400000, v21
	v_cmp_u_f32_e32 vcc_lo, v21, v21
	v_add3_u32 v22, v22, v21, 0x7fff
	v_cndmask_b32_e32 v21, v22, v23, vcc_lo
	v_and_b32_e32 v1, 0xffff0000, v21
	v_add_f32_e32 v1, v1, v12
	v_add_f32_e32 v0, v0, v1
	buffer_load_dword v1, off, s[0:3], s32 offset:260 ; 4-byte Folded Reload
	s_waitcnt vmcnt(0)
	v_add_f32_e32 v1, v1, v0
	v_lshlrev_b32_e32 v0, 16, v28
	buffer_store_dword v1, off, s[0:3], s32 offset:260 ; 4-byte Folded Spill
	v_mul_f32_e32 v0, v9, v0
	v_bfe_u32 v1, v0, 16, 1
	v_or_b32_e32 v9, 0x400000, v0
	v_cmp_u_f32_e32 vcc_lo, v0, v0
	v_add3_u32 v1, v1, v0, 0x7fff
	v_cndmask_b32_e32 v0, v1, v9, vcc_lo
	v_lshlrev_b32_e32 v1, 16, v27
	v_and_b32_e32 v0, 0xffff0000, v0
	v_mul_f32_e32 v1, v7, v1
	v_bfe_u32 v7, v1, 16, 1
	v_or_b32_e32 v9, 0x400000, v1
	v_cmp_u_f32_e32 vcc_lo, v1, v1
	v_add3_u32 v7, v7, v1, 0x7fff
	v_cndmask_b32_e32 v1, v7, v9, vcc_lo
	v_lshlrev_b32_e32 v7, 16, v25
	v_and_b32_e32 v1, 0xffff0000, v1
	v_mul_f32_e32 v7, v8, v7
	v_add_f32_e32 v0, v0, v1
	v_bfe_u32 v8, v7, 16, 1
	v_or_b32_e32 v9, 0x400000, v7
	v_cmp_u_f32_e32 vcc_lo, v7, v7
	v_add3_u32 v8, v8, v7, 0x7fff
	v_cndmask_b32_e32 v7, v8, v9, vcc_lo
	v_lshlrev_b32_e32 v8, 16, v20
	v_mul_f32_e32 v5, v5, v8
	v_bfe_u32 v8, v5, 16, 1
	v_or_b32_e32 v9, 0x400000, v5
	v_cmp_u_f32_e32 vcc_lo, v5, v5
	v_add3_u32 v8, v8, v5, 0x7fff
	v_cndmask_b32_e32 v5, v8, v9, vcc_lo
	v_lshlrev_b32_e32 v8, 16, v19
	v_and_b32_e32 v1, 0xffff0000, v5
	v_mul_f32_e32 v6, v6, v8
	v_and_b32_e32 v5, 0xffff0000, v7
	v_bfe_u32 v8, v6, 16, 1
	v_or_b32_e32 v9, 0x400000, v6
	v_cmp_u_f32_e32 vcc_lo, v6, v6
	v_add_f32_e32 v1, v5, v1
	v_add3_u32 v8, v8, v6, 0x7fff
	v_add_f32_e32 v0, v0, v1
	v_cndmask_b32_e32 v6, v8, v9, vcc_lo
	v_lshlrev_b32_e32 v8, 16, v13
	v_mul_f32_e32 v3, v3, v8
	v_bfe_u32 v8, v3, 16, 1
	v_or_b32_e32 v9, 0x400000, v3
	v_cmp_u_f32_e32 vcc_lo, v3, v3
	v_add3_u32 v8, v8, v3, 0x7fff
	v_cndmask_b32_e32 v3, v8, v9, vcc_lo
	v_lshlrev_b32_e32 v8, 16, v24
	v_and_b32_e32 v1, 0xffff0000, v3
	v_mul_f32_e32 v4, v4, v8
	v_and_b32_e32 v3, 0xffff0000, v6
	v_bfe_u32 v8, v4, 16, 1
	v_or_b32_e32 v9, 0x400000, v4
	v_cmp_u_f32_e32 vcc_lo, v4, v4
	v_add_f32_e32 v1, v3, v1
	v_add3_u32 v8, v8, v4, 0x7fff
	v_add_f32_e32 v0, v0, v1
	v_cndmask_b32_e32 v4, v8, v9, vcc_lo
	v_lshlrev_b32_e32 v8, 16, v26
	v_mul_f32_e32 v2, v2, v8
	v_bfe_u32 v8, v2, 16, 1
	v_or_b32_e32 v9, 0x400000, v2
	v_cmp_u_f32_e32 vcc_lo, v2, v2
	v_add3_u32 v8, v8, v2, 0x7fff
	v_cndmask_b32_e32 v2, v8, v9, vcc_lo
	v_and_b32_e32 v1, 0xffff0000, v2
	v_and_b32_e32 v2, 0xffff0000, v4
	v_add_f32_e32 v1, v2, v1
	v_add_f32_e32 v0, v0, v1
	;; [unrolled: 1-line block ×3, first 2 shown]
.LBB347_802:                            ;   in Loop: Header=BB347_803 Depth=1
	s_or_b32 exec_lo, exec_lo, s17
	buffer_load_dword v0, off, s[0:3], s32 offset:192 ; 4-byte Folded Reload
	v_add_nc_u32_e32 v84, 4, v84
	v_add_co_u32 v10, s4, v10, 16
	v_add_nc_u32_e32 v37, 0x80, v37
	v_add_nc_u32_e32 v82, 0x200, v82
	v_add_co_ci_u32_e64 v11, null, 0, v11, s4
	s_waitcnt vmcnt(0)
	v_cmp_ge_i32_e32 vcc_lo, v84, v0
	s_or_b32 s13, vcc_lo, s13
	s_andn2_b32 exec_lo, exec_lo, s13
	s_cbranch_execz .LBB347_1596
.LBB347_803:                            ; =>This Inner Loop Header: Depth=1
	buffer_load_dword v0, off, s[0:3], s32 offset:204 ; 4-byte Folded Reload
	s_waitcnt vmcnt(0)
	v_mul_hi_u32 v0, v37, v0
	v_mul_lo_u32 v1, v0, v34
	v_add_nc_u32_e32 v2, 1, v0
	v_sub_nc_u32_e32 v1, v37, v1
	v_sub_nc_u32_e32 v3, v1, v34
	v_cmp_ge_u32_e32 vcc_lo, v1, v34
	v_cndmask_b32_e32 v0, v0, v2, vcc_lo
	v_cndmask_b32_e32 v1, v1, v3, vcc_lo
	v_add_nc_u32_e32 v2, 1, v0
	v_cmp_ge_u32_e32 vcc_lo, v1, v34
	v_cndmask_b32_e32 v0, v0, v2, vcc_lo
	s_clause 0x2
	buffer_load_dword v1, off, s[0:3], s32 offset:196
	buffer_load_dword v2, off, s[0:3], s32 offset:200
	;; [unrolled: 1-line block ×3, first 2 shown]
	v_xor_b32_e32 v0, v0, v36
	v_sub_nc_u32_e32 v0, v0, v36
	s_waitcnt vmcnt(2)
	v_add_nc_u32_e32 v1, v0, v1
	s_waitcnt vmcnt(1)
	v_sub_nc_u32_e32 v2, 0, v1
	v_max_i32_e32 v2, v1, v2
	v_ashrrev_i32_e32 v1, 31, v1
	s_waitcnt vmcnt(0)
	v_mul_hi_u32 v3, v2, v3
	v_mul_lo_u32 v3, v3, v67
	v_sub_nc_u32_e32 v2, v2, v3
	v_sub_nc_u32_e32 v3, v2, v67
	v_cmp_ge_u32_e32 vcc_lo, v2, v67
	v_cndmask_b32_e32 v2, v2, v3, vcc_lo
	v_sub_nc_u32_e32 v3, v2, v67
	v_cmp_ge_u32_e32 vcc_lo, v2, v67
	v_cndmask_b32_e32 v2, v2, v3, vcc_lo
	v_xor_b32_e32 v2, v2, v1
	v_sub_nc_u32_e32 v1, v2, v1
	v_cmp_eq_u32_e32 vcc_lo, 0, v1
	buffer_load_dword v1, off, s[0:3], s32 offset:208 ; 4-byte Folded Reload
	s_waitcnt vmcnt(0)
	v_cmp_gt_i32_e64 s4, v0, v1
	s_or_b32 s4, vcc_lo, s4
	s_and_saveexec_b32 s17, s4
	s_cbranch_execz .LBB347_802
; %bb.804:                              ;   in Loop: Header=BB347_803 Depth=1
	buffer_store_dword v17, off, s[0:3], s32 offset:272 ; 4-byte Folded Spill
	flat_load_dword v0, v[10:11]
	s_clause 0x2
	buffer_load_dword v1, off, s[0:3], s32 offset:220
	buffer_load_dword v2, off, s[0:3], s32 offset:292
	;; [unrolled: 1-line block ×3, first 2 shown]
	s_waitcnt vmcnt(0) lgkmcnt(0)
	v_mad_i64_i32 v[19:20], null, v0, v1, v[2:3]
	flat_load_dwordx2 v[24:25], v[19:20]
	s_clause 0x1
	buffer_load_dword v0, off, s[0:3], s32 offset:280
	buffer_load_dword v1, off, s[0:3], s32 offset:284
	s_load_dword s4, s[8:9], 0x0
	s_waitcnt vmcnt(2) lgkmcnt(0)
	v_cmp_ne_u16_sdwa s18, v24, v14 src0_sel:BYTE_0 src1_sel:DWORD
	s_waitcnt vmcnt(0)
	flat_load_dword v45, v[0:1]
	v_add_nc_u32_e32 v0, s4, v82
	v_mov_b32_e32 v1, 0
	ds_read2_b64 v[6:9], v0 offset1:1
	ds_read2_b64 v[2:5], v0 offset0:2 offset1:3
	v_mov_b32_e32 v0, 0
	s_and_saveexec_b32 s4, s18
	s_cbranch_execz .LBB347_812
; %bb.805:                              ;   in Loop: Header=BB347_803 Depth=1
	v_cmp_ne_u16_sdwa s19, v24, v68 src0_sel:BYTE_0 src1_sel:DWORD
	v_bfrev_b32_e32 v0, 1
	s_and_saveexec_b32 s18, s19
	s_cbranch_execz .LBB347_811
; %bb.806:                              ;   in Loop: Header=BB347_803 Depth=1
	v_and_b32_e32 v12, 0x7f, v24
	v_mov_b32_e32 v0, 0x7f800001
	s_mov_b32 s19, exec_lo
	v_cmpx_ne_u32_e32 0x7f, v12
	s_cbranch_execz .LBB347_810
; %bb.807:                              ;   in Loop: Header=BB347_803 Depth=1
	v_mov_b32_e32 v27, v25
	v_lshrrev_b32_e32 v0, 3, v12
	v_mov_b32_e32 v26, v24
	s_mov_b32 s20, exec_lo
	v_cmpx_gt_u32_e32 8, v12
; %bb.808:                              ;   in Loop: Header=BB347_803 Depth=1
	v_and_b32_e32 v0, 7, v24
	v_ffbh_u32_e32 v0, v0
	v_min_u32_e32 v0, 32, v0
	v_subrev_nc_u32_e32 v12, 28, v0
	v_sub_nc_u32_e32 v0, 29, v0
	v_lshlrev_b64 v[26:27], v12, v[24:25]
; %bb.809:                              ;   in Loop: Header=BB347_803 Depth=1
	s_or_b32 exec_lo, exec_lo, s20
	v_lshlrev_b32_e32 v12, 20, v26
	v_lshlrev_b32_e32 v13, 24, v24
	v_lshl_add_u32 v0, v0, 23, 0x3c000000
	v_and_b32_e32 v12, 0x700000, v12
	v_and_b32_e32 v13, 0x80000000, v13
	v_or3_b32 v0, v12, v13, v0
.LBB347_810:                            ;   in Loop: Header=BB347_803 Depth=1
	s_or_b32 exec_lo, exec_lo, s19
.LBB347_811:                            ;   in Loop: Header=BB347_803 Depth=1
	s_or_b32 exec_lo, exec_lo, s18
.LBB347_812:                            ;   in Loop: Header=BB347_803 Depth=1
	s_or_b32 exec_lo, exec_lo, s4
	v_cmp_ne_u16_sdwa s18, v24, v14 src0_sel:BYTE_1 src1_sel:DWORD
	s_and_saveexec_b32 s4, s18
	s_cbranch_execz .LBB347_820
; %bb.813:                              ;   in Loop: Header=BB347_803 Depth=1
	v_cmp_ne_u16_sdwa s19, v24, v68 src0_sel:BYTE_1 src1_sel:DWORD
	v_bfrev_b32_e32 v1, 1
	s_and_saveexec_b32 s18, s19
	s_cbranch_execz .LBB347_819
; %bb.814:                              ;   in Loop: Header=BB347_803 Depth=1
	v_mov_b32_e32 v1, 0xffff
	s_mov_b32 s19, exec_lo
	v_and_b32_sdwa v13, v1, v24 dst_sel:DWORD dst_unused:UNUSED_PAD src0_sel:DWORD src1_sel:BYTE_1
	v_mov_b32_e32 v1, 0x7f800001
	v_and_b32_e32 v12, 0x7f, v13
	v_cmpx_ne_u32_e32 0x7f, v12
	s_cbranch_execz .LBB347_818
; %bb.815:                              ;   in Loop: Header=BB347_803 Depth=1
	v_and_b32_e32 v13, 7, v13
	v_lshrrev_b32_e32 v1, 3, v12
	s_mov_b32 s20, exec_lo
	v_cmpx_gt_u32_e32 8, v12
; %bb.816:                              ;   in Loop: Header=BB347_803 Depth=1
	v_ffbh_u32_e32 v1, v13
	v_min_u32_e32 v1, 32, v1
	v_subrev_nc_u32_e32 v12, 28, v1
	v_sub_nc_u32_e32 v1, 29, v1
	v_lshlrev_b64 v[12:13], v12, v[13:14]
	v_and_b32_e32 v13, 7, v12
; %bb.817:                              ;   in Loop: Header=BB347_803 Depth=1
	s_or_b32 exec_lo, exec_lo, s20
	v_lshlrev_b32_e32 v12, 16, v24
	v_lshlrev_b32_e32 v13, 20, v13
	v_lshl_add_u32 v1, v1, 23, 0x3c000000
	v_and_b32_e32 v12, 0x80000000, v12
	v_or3_b32 v1, v13, v12, v1
.LBB347_818:                            ;   in Loop: Header=BB347_803 Depth=1
	s_or_b32 exec_lo, exec_lo, s19
.LBB347_819:                            ;   in Loop: Header=BB347_803 Depth=1
	s_or_b32 exec_lo, exec_lo, s18
.LBB347_820:                            ;   in Loop: Header=BB347_803 Depth=1
	s_or_b32 exec_lo, exec_lo, s4
	v_and_b32_sdwa v13, v24, v70 dst_sel:DWORD dst_unused:UNUSED_PAD src0_sel:WORD_1 src1_sel:DWORD
	v_mov_b32_e32 v15, 0
	v_mov_b32_e32 v12, 0
	s_mov_b32 s4, exec_lo
	v_cmpx_ne_u16_e32 0, v13
	s_cbranch_execz .LBB347_828
; %bb.821:                              ;   in Loop: Header=BB347_803 Depth=1
	v_bfrev_b32_e32 v12, 1
	s_mov_b32 s18, exec_lo
	v_cmpx_ne_u16_e32 0x80, v13
	s_cbranch_execz .LBB347_827
; %bb.822:                              ;   in Loop: Header=BB347_803 Depth=1
	v_bfe_u32 v16, v24, 16, 7
	v_mov_b32_e32 v12, 0x7f800001
	s_mov_b32 s19, exec_lo
	v_cmpx_ne_u32_e32 0x7f, v16
	s_cbranch_execz .LBB347_826
; %bb.823:                              ;   in Loop: Header=BB347_803 Depth=1
	v_mov_b32_e32 v12, 7
	s_mov_b32 s20, exec_lo
	v_and_b32_sdwa v13, v24, v12 dst_sel:DWORD dst_unused:UNUSED_PAD src0_sel:WORD_1 src1_sel:DWORD
	v_lshrrev_b32_e32 v12, 3, v16
	v_cmpx_gt_u32_e32 8, v16
; %bb.824:                              ;   in Loop: Header=BB347_803 Depth=1
	v_ffbh_u32_e32 v12, v13
	v_min_u32_e32 v12, 32, v12
	v_subrev_nc_u32_e32 v16, 28, v12
	v_sub_nc_u32_e32 v12, 29, v12
	v_lshlrev_b64 v[16:17], v16, v[13:14]
	v_and_b32_e32 v13, 7, v16
; %bb.825:                              ;   in Loop: Header=BB347_803 Depth=1
	s_or_b32 exec_lo, exec_lo, s20
	v_mov_b32_e32 v16, 24
	v_lshlrev_b32_e32 v13, 20, v13
	v_lshl_add_u32 v12, v12, 23, 0x3c000000
	v_lshlrev_b32_sdwa v16, v16, v24 dst_sel:DWORD dst_unused:UNUSED_PAD src0_sel:DWORD src1_sel:WORD_1
	v_and_b32_e32 v16, 0x80000000, v16
	v_or3_b32 v12, v13, v16, v12
.LBB347_826:                            ;   in Loop: Header=BB347_803 Depth=1
	s_or_b32 exec_lo, exec_lo, s19
.LBB347_827:                            ;   in Loop: Header=BB347_803 Depth=1
	s_or_b32 exec_lo, exec_lo, s18
.LBB347_828:                            ;   in Loop: Header=BB347_803 Depth=1
	s_or_b32 exec_lo, exec_lo, s4
	s_mov_b32 s4, exec_lo
	v_cmpx_lt_u32_e32 0xffffff, v24
	s_cbranch_execz .LBB347_836
; %bb.829:                              ;   in Loop: Header=BB347_803 Depth=1
	v_cmp_ne_u32_sdwa s19, v24, v68 src0_sel:BYTE_3 src1_sel:DWORD
	v_bfrev_b32_e32 v15, 1
	s_and_saveexec_b32 s18, s19
	s_cbranch_execz .LBB347_835
; %bb.830:                              ;   in Loop: Header=BB347_803 Depth=1
	v_bfe_u32 v16, v24, 24, 7
	v_mov_b32_e32 v15, 0x7f800001
	s_mov_b32 s19, exec_lo
	v_cmpx_ne_u32_e32 0x7f, v16
	s_cbranch_execz .LBB347_834
; %bb.831:                              ;   in Loop: Header=BB347_803 Depth=1
	v_mov_b32_e32 v13, 7
	v_lshrrev_b32_e32 v15, 3, v16
	s_mov_b32 s20, exec_lo
	v_and_b32_sdwa v13, v24, v13 dst_sel:DWORD dst_unused:UNUSED_PAD src0_sel:BYTE_3 src1_sel:DWORD
	v_cmpx_gt_u32_e32 8, v16
; %bb.832:                              ;   in Loop: Header=BB347_803 Depth=1
	v_ffbh_u32_e32 v15, v13
	v_min_u32_e32 v15, 32, v15
	v_subrev_nc_u32_e32 v16, 28, v15
	v_sub_nc_u32_e32 v15, 29, v15
	v_lshlrev_b64 v[16:17], v16, v[13:14]
	v_and_b32_e32 v13, 7, v16
; %bb.833:                              ;   in Loop: Header=BB347_803 Depth=1
	s_or_b32 exec_lo, exec_lo, s20
	v_mov_b32_e32 v16, 24
	v_lshlrev_b32_e32 v13, 20, v13
	v_lshl_add_u32 v15, v15, 23, 0x3c000000
	v_lshlrev_b32_sdwa v16, v16, v24 dst_sel:DWORD dst_unused:UNUSED_PAD src0_sel:DWORD src1_sel:BYTE_3
	v_and_b32_e32 v16, 0x80000000, v16
	v_or3_b32 v15, v13, v16, v15
.LBB347_834:                            ;   in Loop: Header=BB347_803 Depth=1
	s_or_b32 exec_lo, exec_lo, s19
.LBB347_835:                            ;   in Loop: Header=BB347_803 Depth=1
	s_or_b32 exec_lo, exec_lo, s18
.LBB347_836:                            ;   in Loop: Header=BB347_803 Depth=1
	s_or_b32 exec_lo, exec_lo, s4
	v_mov_b32_e32 v13, v25
	v_cmp_ne_u16_sdwa s18, v25, v14 src0_sel:BYTE_0 src1_sel:DWORD
	v_mov_b32_e32 v17, 0
	v_mov_b32_e32 v16, 0
	s_and_saveexec_b32 s4, s18
	s_cbranch_execz .LBB347_844
; %bb.837:                              ;   in Loop: Header=BB347_803 Depth=1
	v_cmp_ne_u16_sdwa s19, v25, v68 src0_sel:BYTE_0 src1_sel:DWORD
	v_bfrev_b32_e32 v16, 1
	s_and_saveexec_b32 s18, s19
	s_cbranch_execz .LBB347_843
; %bb.838:                              ;   in Loop: Header=BB347_803 Depth=1
	v_and_b32_e32 v18, 0x7f, v25
	v_mov_b32_e32 v16, 0x7f800001
	s_mov_b32 s19, exec_lo
	v_cmpx_ne_u32_e32 0x7f, v18
	s_cbranch_execz .LBB347_842
; %bb.839:                              ;   in Loop: Header=BB347_803 Depth=1
	v_mov_b32_e32 v27, v14
	v_lshrrev_b32_e32 v16, 3, v18
	v_mov_b32_e32 v26, v13
	s_mov_b32 s20, exec_lo
	v_cmpx_gt_u32_e32 8, v18
; %bb.840:                              ;   in Loop: Header=BB347_803 Depth=1
	v_and_b32_e32 v16, 7, v25
	v_ffbh_u32_e32 v16, v16
	v_min_u32_e32 v16, 32, v16
	v_subrev_nc_u32_e32 v18, 28, v16
	v_sub_nc_u32_e32 v16, 29, v16
	v_lshlrev_b64 v[26:27], v18, v[13:14]
; %bb.841:                              ;   in Loop: Header=BB347_803 Depth=1
	s_or_b32 exec_lo, exec_lo, s20
	v_lshlrev_b32_e32 v18, 20, v26
	v_lshlrev_b32_e32 v21, 24, v13
	v_lshl_add_u32 v16, v16, 23, 0x3c000000
	v_and_b32_e32 v18, 0x700000, v18
	v_and_b32_e32 v21, 0x80000000, v21
	v_or3_b32 v16, v18, v21, v16
.LBB347_842:                            ;   in Loop: Header=BB347_803 Depth=1
	s_or_b32 exec_lo, exec_lo, s19
.LBB347_843:                            ;   in Loop: Header=BB347_803 Depth=1
	s_or_b32 exec_lo, exec_lo, s18
.LBB347_844:                            ;   in Loop: Header=BB347_803 Depth=1
	s_or_b32 exec_lo, exec_lo, s4
	v_cmp_ne_u16_sdwa s18, v13, v14 src0_sel:BYTE_1 src1_sel:DWORD
	s_and_saveexec_b32 s4, s18
	s_cbranch_execz .LBB347_852
; %bb.845:                              ;   in Loop: Header=BB347_803 Depth=1
	v_cmp_ne_u16_sdwa s19, v13, v68 src0_sel:BYTE_1 src1_sel:DWORD
	v_bfrev_b32_e32 v17, 1
	s_and_saveexec_b32 s18, s19
	s_cbranch_execz .LBB347_851
; %bb.846:                              ;   in Loop: Header=BB347_803 Depth=1
	v_mov_b32_e32 v17, 0xffff
	s_mov_b32 s19, exec_lo
	v_and_b32_sdwa v21, v17, v13 dst_sel:DWORD dst_unused:UNUSED_PAD src0_sel:DWORD src1_sel:BYTE_1
	v_mov_b32_e32 v17, 0x7f800001
	v_and_b32_e32 v18, 0x7f, v21
	v_cmpx_ne_u32_e32 0x7f, v18
	s_cbranch_execz .LBB347_850
; %bb.847:                              ;   in Loop: Header=BB347_803 Depth=1
	v_and_b32_e32 v26, 7, v21
	v_mov_b32_e32 v27, v14
	v_lshrrev_b32_e32 v17, 3, v18
	s_mov_b32 s20, exec_lo
	v_cmpx_gt_u32_e32 8, v18
; %bb.848:                              ;   in Loop: Header=BB347_803 Depth=1
	v_ffbh_u32_e32 v17, v26
	v_min_u32_e32 v17, 32, v17
	v_subrev_nc_u32_e32 v18, 28, v17
	v_sub_nc_u32_e32 v17, 29, v17
	v_lshlrev_b64 v[21:22], v18, v[26:27]
	v_and_b32_e32 v26, 7, v21
; %bb.849:                              ;   in Loop: Header=BB347_803 Depth=1
	s_or_b32 exec_lo, exec_lo, s20
	v_lshlrev_b32_e32 v13, 16, v13
	v_lshlrev_b32_e32 v18, 20, v26
	v_lshl_add_u32 v17, v17, 23, 0x3c000000
	v_and_b32_e32 v13, 0x80000000, v13
	v_or3_b32 v17, v18, v13, v17
.LBB347_850:                            ;   in Loop: Header=BB347_803 Depth=1
	s_or_b32 exec_lo, exec_lo, s19
.LBB347_851:                            ;   in Loop: Header=BB347_803 Depth=1
	s_or_b32 exec_lo, exec_lo, s18
.LBB347_852:                            ;   in Loop: Header=BB347_803 Depth=1
	s_or_b32 exec_lo, exec_lo, s4
	v_and_b32_sdwa v13, v25, v70 dst_sel:DWORD dst_unused:UNUSED_PAD src0_sel:WORD_1 src1_sel:DWORD
	v_mov_b32_e32 v18, 0
	v_mov_b32_e32 v21, 0
	s_mov_b32 s4, exec_lo
	v_cmpx_ne_u16_e32 0, v13
	s_cbranch_execz .LBB347_860
; %bb.853:                              ;   in Loop: Header=BB347_803 Depth=1
	v_bfrev_b32_e32 v21, 1
	s_mov_b32 s18, exec_lo
	v_cmpx_ne_u16_e32 0x80, v13
	s_cbranch_execz .LBB347_859
; %bb.854:                              ;   in Loop: Header=BB347_803 Depth=1
	v_bfe_u32 v22, v25, 16, 7
	v_mov_b32_e32 v21, 0x7f800001
	s_mov_b32 s19, exec_lo
	v_cmpx_ne_u32_e32 0x7f, v22
	s_cbranch_execz .LBB347_858
; %bb.855:                              ;   in Loop: Header=BB347_803 Depth=1
	v_mov_b32_e32 v13, 7
	v_lshrrev_b32_e32 v21, 3, v22
	s_mov_b32 s20, exec_lo
	v_and_b32_sdwa v13, v25, v13 dst_sel:DWORD dst_unused:UNUSED_PAD src0_sel:WORD_1 src1_sel:DWORD
	v_cmpx_gt_u32_e32 8, v22
; %bb.856:                              ;   in Loop: Header=BB347_803 Depth=1
	v_ffbh_u32_e32 v21, v13
	v_min_u32_e32 v21, 32, v21
	v_subrev_nc_u32_e32 v22, 28, v21
	v_sub_nc_u32_e32 v21, 29, v21
	v_lshlrev_b64 v[22:23], v22, v[13:14]
	v_and_b32_e32 v13, 7, v22
; %bb.857:                              ;   in Loop: Header=BB347_803 Depth=1
	s_or_b32 exec_lo, exec_lo, s20
	v_mov_b32_e32 v22, 24
	v_lshlrev_b32_e32 v13, 20, v13
	v_lshl_add_u32 v21, v21, 23, 0x3c000000
	v_lshlrev_b32_sdwa v22, v22, v25 dst_sel:DWORD dst_unused:UNUSED_PAD src0_sel:DWORD src1_sel:WORD_1
	v_and_b32_e32 v22, 0x80000000, v22
	v_or3_b32 v21, v13, v22, v21
.LBB347_858:                            ;   in Loop: Header=BB347_803 Depth=1
	s_or_b32 exec_lo, exec_lo, s19
.LBB347_859:                            ;   in Loop: Header=BB347_803 Depth=1
	s_or_b32 exec_lo, exec_lo, s18
.LBB347_860:                            ;   in Loop: Header=BB347_803 Depth=1
	s_or_b32 exec_lo, exec_lo, s4
	s_mov_b32 s4, exec_lo
	v_cmpx_lt_u64_e64 s[6:7], v[24:25]
	s_cbranch_execz .LBB347_868
; %bb.861:                              ;   in Loop: Header=BB347_803 Depth=1
	v_cmp_ne_u32_sdwa s19, v25, v68 src0_sel:BYTE_3 src1_sel:DWORD
	v_bfrev_b32_e32 v18, 1
	s_and_saveexec_b32 s18, s19
	s_cbranch_execz .LBB347_867
; %bb.862:                              ;   in Loop: Header=BB347_803 Depth=1
	v_bfe_u32 v22, v25, 24, 7
	v_mov_b32_e32 v18, 0x7f800001
	s_mov_b32 s19, exec_lo
	v_cmpx_ne_u32_e32 0x7f, v22
	s_cbranch_execz .LBB347_866
; %bb.863:                              ;   in Loop: Header=BB347_803 Depth=1
	v_mov_b32_e32 v13, 7
	v_lshrrev_b32_e32 v18, 3, v22
	s_mov_b32 s20, exec_lo
	v_and_b32_sdwa v13, v25, v13 dst_sel:DWORD dst_unused:UNUSED_PAD src0_sel:BYTE_3 src1_sel:DWORD
	v_cmpx_gt_u32_e32 8, v22
; %bb.864:                              ;   in Loop: Header=BB347_803 Depth=1
	v_ffbh_u32_e32 v18, v13
	v_min_u32_e32 v18, 32, v18
	v_subrev_nc_u32_e32 v22, 28, v18
	v_sub_nc_u32_e32 v18, 29, v18
	v_lshlrev_b64 v[22:23], v22, v[13:14]
	v_and_b32_e32 v13, 7, v22
; %bb.865:                              ;   in Loop: Header=BB347_803 Depth=1
	s_or_b32 exec_lo, exec_lo, s20
	v_mov_b32_e32 v22, 24
	v_lshlrev_b32_e32 v13, 20, v13
	v_lshl_add_u32 v18, v18, 23, 0x3c000000
	v_lshlrev_b32_sdwa v22, v22, v25 dst_sel:DWORD dst_unused:UNUSED_PAD src0_sel:DWORD src1_sel:BYTE_3
	v_and_b32_e32 v22, 0x80000000, v22
	v_or3_b32 v18, v13, v22, v18
.LBB347_866:                            ;   in Loop: Header=BB347_803 Depth=1
	s_or_b32 exec_lo, exec_lo, s19
.LBB347_867:                            ;   in Loop: Header=BB347_803 Depth=1
	s_or_b32 exec_lo, exec_lo, s18
.LBB347_868:                            ;   in Loop: Header=BB347_803 Depth=1
	s_or_b32 exec_lo, exec_lo, s4
	s_clause 0x1
	buffer_load_dword v13, off, s[0:3], s32 offset:192
	buffer_load_dword v22, off, s[0:3], s32 offset:288
	s_waitcnt vmcnt(2) lgkmcnt(2)
	v_mul_f32_e32 v17, v45, v17
	v_mul_f32_e32 v16, v45, v16
	;; [unrolled: 1-line block ×5, first 2 shown]
	v_cmp_u_f32_e64 s4, v17, v17
	v_bfe_u32 v23, v16, 16, 1
	v_or_b32_e32 v24, 0x400000, v16
	v_bfe_u32 v25, v15, 16, 1
	v_or_b32_e32 v26, 0x400000, v15
	v_mul_f32_e32 v0, v45, v0
	v_add3_u32 v23, v23, v16, 0x7fff
	s_waitcnt vmcnt(1)
	v_add_nc_u32_e32 v13, -1, v13
	s_waitcnt vmcnt(0)
	v_add_nc_u32_e32 v46, v22, v37
	v_or_b32_e32 v22, 0x400000, v17
	v_cmp_eq_u32_e32 vcc_lo, v13, v84
	v_bfe_u32 v13, v17, 16, 1
	v_add_nc_u32_e32 v61, 1, v46
	v_add_nc_u32_e32 v60, 2, v46
	;; [unrolled: 1-line block ×4, first 2 shown]
	v_add3_u32 v13, v13, v17, 0x7fff
	v_bfe_u32 v17, v12, 16, 1
	v_add_nc_u32_e32 v57, 5, v46
	v_add_nc_u32_e32 v56, 6, v46
	;; [unrolled: 1-line block ×3, first 2 shown]
	v_cndmask_b32_e64 v13, v13, v22, s4
	v_cmp_u_f32_e64 s4, v16, v16
	v_add3_u32 v22, v25, v15, 0x7fff
	v_lshrrev_b32_e32 v96, 16, v13
	v_cndmask_b32_e64 v16, v23, v24, s4
	v_cmp_u_f32_e64 s4, v15, v15
	v_add3_u32 v15, v17, v12, 0x7fff
	v_or_b32_e32 v17, 0x400000, v12
	v_lshrrev_b32_e32 v16, 16, v16
	v_cndmask_b32_e64 v13, v22, v26, s4
	v_cmp_u_f32_e64 s4, v12, v12
	buffer_store_dword v16, off, s[0:3], s32 offset:216 ; 4-byte Folded Spill
	v_lshrrev_b32_e32 v98, 16, v13
	v_bfe_u32 v13, v1, 16, 1
	v_cndmask_b32_e64 v12, v15, v17, s4
	v_mul_f32_e32 v15, v45, v21
	v_or_b32_e32 v16, 0x400000, v1
	v_mul_f32_e32 v17, v45, v18
	v_add3_u32 v13, v13, v1, 0x7fff
	v_bfe_u32 v18, v0, 16, 1
	v_cmp_u_f32_e64 s4, v1, v1
	v_bfe_u32 v21, v15, 16, 1
	v_or_b32_e32 v22, 0x400000, v15
	v_or_b32_e32 v23, 0x400000, v17
	v_lshrrev_b32_e32 v97, 16, v12
	v_cndmask_b32_e64 v1, v13, v16, s4
	v_add3_u32 v16, v18, v0, 0x7fff
	v_or_b32_e32 v18, 0x400000, v0
	v_cmp_u_f32_e64 s4, v0, v0
	v_bfe_u32 v13, v17, 16, 1
	v_add3_u32 v21, v21, v15, 0x7fff
	v_lshrrev_b32_e32 v100, 16, v1
	v_cndmask_b32_e64 v0, v16, v18, s4
	v_cmp_u_f32_e64 s4, v15, v15
	v_add3_u32 v13, v13, v17, 0x7fff
	v_lshrrev_b32_e32 v99, 16, v0
	v_cndmask_b32_e64 v15, v21, v22, s4
	v_cmp_u_f32_e64 s4, v17, v17
	v_lshrrev_b32_e32 v0, 16, v15
	v_cndmask_b32_e64 v13, v13, v23, s4
	buffer_store_dword v0, off, s[0:3], s32 offset:212 ; 4-byte Folded Spill
	v_lshrrev_b32_e32 v87, 16, v13
	s_and_saveexec_b32 s18, vcc_lo
	s_cbranch_execz .LBB347_870
; %bb.869:                              ;   in Loop: Header=BB347_803 Depth=1
	buffer_load_dword v0, off, s[0:3], s32 offset:216 ; 4-byte Folded Reload
	v_cmp_lt_i32_e64 s4, v46, v32
	v_cndmask_b32_e64 v99, 0, v99, s4
	v_cmp_lt_i32_e64 s4, v61, v32
	v_cndmask_b32_e64 v100, 0, v100, s4
	;; [unrolled: 2-line block ×4, first 2 shown]
	v_cmp_lt_i32_e64 s4, v58, v32
	s_waitcnt vmcnt(0)
	v_cndmask_b32_e64 v0, 0, v0, s4
	v_cmp_lt_i32_e64 s4, v57, v32
	buffer_store_dword v0, off, s[0:3], s32 offset:216 ; 4-byte Folded Spill
	buffer_load_dword v0, off, s[0:3], s32 offset:212 ; 4-byte Folded Reload
	v_cndmask_b32_e64 v96, 0, v96, s4
	v_cmp_lt_i32_e64 s4, v56, v32
	s_waitcnt vmcnt(0)
	v_cndmask_b32_e64 v0, 0, v0, s4
	v_cmp_lt_i32_e64 s4, v47, v32
	buffer_store_dword v0, off, s[0:3], s32 offset:212 ; 4-byte Folded Spill
	v_cndmask_b32_e64 v87, 0, v87, s4
.LBB347_870:                            ;   in Loop: Header=BB347_803 Depth=1
	s_or_b32 exec_lo, exec_lo, s18
	flat_load_dwordx2 v[24:25], v[19:20] offset:256
	v_mov_b32_e32 v1, 0
	v_mov_b32_e32 v0, 0
	s_waitcnt vmcnt(0) lgkmcnt(0)
	v_cmp_ne_u16_sdwa s4, v24, v14 src0_sel:BYTE_0 src1_sel:DWORD
	s_and_saveexec_b32 s18, s4
	s_cbranch_execz .LBB347_878
; %bb.871:                              ;   in Loop: Header=BB347_803 Depth=1
	v_cmp_ne_u16_sdwa s4, v24, v68 src0_sel:BYTE_0 src1_sel:DWORD
	v_bfrev_b32_e32 v0, 1
	s_and_saveexec_b32 s19, s4
	s_cbranch_execz .LBB347_877
; %bb.872:                              ;   in Loop: Header=BB347_803 Depth=1
	v_and_b32_e32 v12, 0x7f, v24
	v_mov_b32_e32 v0, 0x7f800001
	s_mov_b32 s20, exec_lo
	v_cmpx_ne_u32_e32 0x7f, v12
	s_cbranch_execz .LBB347_876
; %bb.873:                              ;   in Loop: Header=BB347_803 Depth=1
	v_mov_b32_e32 v27, v25
	v_lshrrev_b32_e32 v0, 3, v12
	v_mov_b32_e32 v26, v24
	s_mov_b32 s21, exec_lo
	v_cmpx_gt_u32_e32 8, v12
; %bb.874:                              ;   in Loop: Header=BB347_803 Depth=1
	v_and_b32_e32 v0, 7, v24
	v_ffbh_u32_e32 v0, v0
	v_min_u32_e32 v0, 32, v0
	v_subrev_nc_u32_e32 v12, 28, v0
	v_sub_nc_u32_e32 v0, 29, v0
	v_lshlrev_b64 v[26:27], v12, v[24:25]
; %bb.875:                              ;   in Loop: Header=BB347_803 Depth=1
	s_or_b32 exec_lo, exec_lo, s21
	v_lshlrev_b32_e32 v12, 20, v26
	v_lshlrev_b32_e32 v13, 24, v24
	v_lshl_add_u32 v0, v0, 23, 0x3c000000
	v_and_b32_e32 v12, 0x700000, v12
	v_and_b32_e32 v13, 0x80000000, v13
	v_or3_b32 v0, v12, v13, v0
.LBB347_876:                            ;   in Loop: Header=BB347_803 Depth=1
	s_or_b32 exec_lo, exec_lo, s20
.LBB347_877:                            ;   in Loop: Header=BB347_803 Depth=1
	s_or_b32 exec_lo, exec_lo, s19
.LBB347_878:                            ;   in Loop: Header=BB347_803 Depth=1
	s_or_b32 exec_lo, exec_lo, s18
	v_cmp_ne_u16_sdwa s4, v24, v14 src0_sel:BYTE_1 src1_sel:DWORD
	s_and_saveexec_b32 s18, s4
	s_cbranch_execz .LBB347_886
; %bb.879:                              ;   in Loop: Header=BB347_803 Depth=1
	v_cmp_ne_u16_sdwa s4, v24, v68 src0_sel:BYTE_1 src1_sel:DWORD
	v_bfrev_b32_e32 v1, 1
	s_and_saveexec_b32 s19, s4
	s_cbranch_execz .LBB347_885
; %bb.880:                              ;   in Loop: Header=BB347_803 Depth=1
	v_mov_b32_e32 v1, 0xffff
	s_mov_b32 s20, exec_lo
	v_and_b32_sdwa v13, v1, v24 dst_sel:DWORD dst_unused:UNUSED_PAD src0_sel:DWORD src1_sel:BYTE_1
	v_mov_b32_e32 v1, 0x7f800001
	v_and_b32_e32 v12, 0x7f, v13
	v_cmpx_ne_u32_e32 0x7f, v12
	s_cbranch_execz .LBB347_884
; %bb.881:                              ;   in Loop: Header=BB347_803 Depth=1
	v_and_b32_e32 v13, 7, v13
	v_lshrrev_b32_e32 v1, 3, v12
	s_mov_b32 s21, exec_lo
	v_cmpx_gt_u32_e32 8, v12
; %bb.882:                              ;   in Loop: Header=BB347_803 Depth=1
	v_ffbh_u32_e32 v1, v13
	v_min_u32_e32 v1, 32, v1
	v_subrev_nc_u32_e32 v12, 28, v1
	v_sub_nc_u32_e32 v1, 29, v1
	v_lshlrev_b64 v[12:13], v12, v[13:14]
	v_and_b32_e32 v13, 7, v12
; %bb.883:                              ;   in Loop: Header=BB347_803 Depth=1
	s_or_b32 exec_lo, exec_lo, s21
	v_lshlrev_b32_e32 v12, 16, v24
	v_lshlrev_b32_e32 v13, 20, v13
	v_lshl_add_u32 v1, v1, 23, 0x3c000000
	v_and_b32_e32 v12, 0x80000000, v12
	v_or3_b32 v1, v13, v12, v1
.LBB347_884:                            ;   in Loop: Header=BB347_803 Depth=1
	s_or_b32 exec_lo, exec_lo, s20
.LBB347_885:                            ;   in Loop: Header=BB347_803 Depth=1
	s_or_b32 exec_lo, exec_lo, s19
.LBB347_886:                            ;   in Loop: Header=BB347_803 Depth=1
	s_or_b32 exec_lo, exec_lo, s18
	v_and_b32_sdwa v13, v24, v70 dst_sel:DWORD dst_unused:UNUSED_PAD src0_sel:WORD_1 src1_sel:DWORD
	v_mov_b32_e32 v15, 0
	v_mov_b32_e32 v12, 0
	s_mov_b32 s18, exec_lo
	v_cmpx_ne_u16_e32 0, v13
	s_cbranch_execz .LBB347_894
; %bb.887:                              ;   in Loop: Header=BB347_803 Depth=1
	v_bfrev_b32_e32 v12, 1
	s_mov_b32 s19, exec_lo
	v_cmpx_ne_u16_e32 0x80, v13
	s_cbranch_execz .LBB347_893
; %bb.888:                              ;   in Loop: Header=BB347_803 Depth=1
	v_bfe_u32 v16, v24, 16, 7
	v_mov_b32_e32 v12, 0x7f800001
	s_mov_b32 s20, exec_lo
	v_cmpx_ne_u32_e32 0x7f, v16
	s_cbranch_execz .LBB347_892
; %bb.889:                              ;   in Loop: Header=BB347_803 Depth=1
	v_mov_b32_e32 v12, 7
	s_mov_b32 s21, exec_lo
	v_and_b32_sdwa v13, v24, v12 dst_sel:DWORD dst_unused:UNUSED_PAD src0_sel:WORD_1 src1_sel:DWORD
	v_lshrrev_b32_e32 v12, 3, v16
	v_cmpx_gt_u32_e32 8, v16
; %bb.890:                              ;   in Loop: Header=BB347_803 Depth=1
	v_ffbh_u32_e32 v12, v13
	v_min_u32_e32 v12, 32, v12
	v_subrev_nc_u32_e32 v16, 28, v12
	v_sub_nc_u32_e32 v12, 29, v12
	v_lshlrev_b64 v[16:17], v16, v[13:14]
	v_and_b32_e32 v13, 7, v16
; %bb.891:                              ;   in Loop: Header=BB347_803 Depth=1
	s_or_b32 exec_lo, exec_lo, s21
	v_mov_b32_e32 v16, 24
	v_lshlrev_b32_e32 v13, 20, v13
	v_lshl_add_u32 v12, v12, 23, 0x3c000000
	v_lshlrev_b32_sdwa v16, v16, v24 dst_sel:DWORD dst_unused:UNUSED_PAD src0_sel:DWORD src1_sel:WORD_1
	v_and_b32_e32 v16, 0x80000000, v16
	v_or3_b32 v12, v13, v16, v12
.LBB347_892:                            ;   in Loop: Header=BB347_803 Depth=1
	s_or_b32 exec_lo, exec_lo, s20
.LBB347_893:                            ;   in Loop: Header=BB347_803 Depth=1
	s_or_b32 exec_lo, exec_lo, s19
.LBB347_894:                            ;   in Loop: Header=BB347_803 Depth=1
	s_or_b32 exec_lo, exec_lo, s18
	s_mov_b32 s18, exec_lo
	v_cmpx_lt_u32_e32 0xffffff, v24
	s_cbranch_execz .LBB347_902
; %bb.895:                              ;   in Loop: Header=BB347_803 Depth=1
	v_cmp_ne_u32_sdwa s4, v24, v68 src0_sel:BYTE_3 src1_sel:DWORD
	v_bfrev_b32_e32 v15, 1
	s_and_saveexec_b32 s19, s4
	s_cbranch_execz .LBB347_901
; %bb.896:                              ;   in Loop: Header=BB347_803 Depth=1
	v_bfe_u32 v16, v24, 24, 7
	v_mov_b32_e32 v15, 0x7f800001
	s_mov_b32 s20, exec_lo
	v_cmpx_ne_u32_e32 0x7f, v16
	s_cbranch_execz .LBB347_900
; %bb.897:                              ;   in Loop: Header=BB347_803 Depth=1
	v_mov_b32_e32 v13, 7
	v_lshrrev_b32_e32 v15, 3, v16
	s_mov_b32 s21, exec_lo
	v_and_b32_sdwa v13, v24, v13 dst_sel:DWORD dst_unused:UNUSED_PAD src0_sel:BYTE_3 src1_sel:DWORD
	v_cmpx_gt_u32_e32 8, v16
; %bb.898:                              ;   in Loop: Header=BB347_803 Depth=1
	v_ffbh_u32_e32 v15, v13
	v_min_u32_e32 v15, 32, v15
	v_subrev_nc_u32_e32 v16, 28, v15
	v_sub_nc_u32_e32 v15, 29, v15
	v_lshlrev_b64 v[16:17], v16, v[13:14]
	v_and_b32_e32 v13, 7, v16
; %bb.899:                              ;   in Loop: Header=BB347_803 Depth=1
	s_or_b32 exec_lo, exec_lo, s21
	v_mov_b32_e32 v16, 24
	v_lshlrev_b32_e32 v13, 20, v13
	v_lshl_add_u32 v15, v15, 23, 0x3c000000
	v_lshlrev_b32_sdwa v16, v16, v24 dst_sel:DWORD dst_unused:UNUSED_PAD src0_sel:DWORD src1_sel:BYTE_3
	v_and_b32_e32 v16, 0x80000000, v16
	v_or3_b32 v15, v13, v16, v15
.LBB347_900:                            ;   in Loop: Header=BB347_803 Depth=1
	s_or_b32 exec_lo, exec_lo, s20
.LBB347_901:                            ;   in Loop: Header=BB347_803 Depth=1
	s_or_b32 exec_lo, exec_lo, s19
.LBB347_902:                            ;   in Loop: Header=BB347_803 Depth=1
	s_or_b32 exec_lo, exec_lo, s18
	v_mov_b32_e32 v13, v25
	v_cmp_ne_u16_sdwa s4, v25, v14 src0_sel:BYTE_0 src1_sel:DWORD
	v_mov_b32_e32 v17, 0
	v_mov_b32_e32 v16, 0
	s_and_saveexec_b32 s18, s4
	s_cbranch_execz .LBB347_910
; %bb.903:                              ;   in Loop: Header=BB347_803 Depth=1
	v_cmp_ne_u16_sdwa s4, v25, v68 src0_sel:BYTE_0 src1_sel:DWORD
	v_bfrev_b32_e32 v16, 1
	s_and_saveexec_b32 s19, s4
	s_cbranch_execz .LBB347_909
; %bb.904:                              ;   in Loop: Header=BB347_803 Depth=1
	v_and_b32_e32 v18, 0x7f, v25
	v_mov_b32_e32 v16, 0x7f800001
	s_mov_b32 s20, exec_lo
	v_cmpx_ne_u32_e32 0x7f, v18
	s_cbranch_execz .LBB347_908
; %bb.905:                              ;   in Loop: Header=BB347_803 Depth=1
	v_mov_b32_e32 v27, v14
	v_lshrrev_b32_e32 v16, 3, v18
	v_mov_b32_e32 v26, v13
	s_mov_b32 s21, exec_lo
	v_cmpx_gt_u32_e32 8, v18
; %bb.906:                              ;   in Loop: Header=BB347_803 Depth=1
	v_and_b32_e32 v16, 7, v25
	v_ffbh_u32_e32 v16, v16
	v_min_u32_e32 v16, 32, v16
	v_subrev_nc_u32_e32 v18, 28, v16
	v_sub_nc_u32_e32 v16, 29, v16
	v_lshlrev_b64 v[26:27], v18, v[13:14]
; %bb.907:                              ;   in Loop: Header=BB347_803 Depth=1
	s_or_b32 exec_lo, exec_lo, s21
	v_lshlrev_b32_e32 v18, 20, v26
	v_lshlrev_b32_e32 v21, 24, v13
	v_lshl_add_u32 v16, v16, 23, 0x3c000000
	v_and_b32_e32 v18, 0x700000, v18
	v_and_b32_e32 v21, 0x80000000, v21
	v_or3_b32 v16, v18, v21, v16
.LBB347_908:                            ;   in Loop: Header=BB347_803 Depth=1
	s_or_b32 exec_lo, exec_lo, s20
.LBB347_909:                            ;   in Loop: Header=BB347_803 Depth=1
	s_or_b32 exec_lo, exec_lo, s19
.LBB347_910:                            ;   in Loop: Header=BB347_803 Depth=1
	s_or_b32 exec_lo, exec_lo, s18
	v_cmp_ne_u16_sdwa s4, v13, v14 src0_sel:BYTE_1 src1_sel:DWORD
	s_and_saveexec_b32 s18, s4
	s_cbranch_execz .LBB347_918
; %bb.911:                              ;   in Loop: Header=BB347_803 Depth=1
	v_cmp_ne_u16_sdwa s4, v13, v68 src0_sel:BYTE_1 src1_sel:DWORD
	v_bfrev_b32_e32 v17, 1
	s_and_saveexec_b32 s19, s4
	s_cbranch_execz .LBB347_917
; %bb.912:                              ;   in Loop: Header=BB347_803 Depth=1
	v_mov_b32_e32 v17, 0xffff
	s_mov_b32 s20, exec_lo
	v_and_b32_sdwa v21, v17, v13 dst_sel:DWORD dst_unused:UNUSED_PAD src0_sel:DWORD src1_sel:BYTE_1
	v_mov_b32_e32 v17, 0x7f800001
	v_and_b32_e32 v18, 0x7f, v21
	v_cmpx_ne_u32_e32 0x7f, v18
	s_cbranch_execz .LBB347_916
; %bb.913:                              ;   in Loop: Header=BB347_803 Depth=1
	v_and_b32_e32 v26, 7, v21
	v_mov_b32_e32 v27, v14
	v_lshrrev_b32_e32 v17, 3, v18
	s_mov_b32 s21, exec_lo
	v_cmpx_gt_u32_e32 8, v18
; %bb.914:                              ;   in Loop: Header=BB347_803 Depth=1
	v_ffbh_u32_e32 v17, v26
	v_min_u32_e32 v17, 32, v17
	v_subrev_nc_u32_e32 v18, 28, v17
	v_sub_nc_u32_e32 v17, 29, v17
	v_lshlrev_b64 v[21:22], v18, v[26:27]
	v_and_b32_e32 v26, 7, v21
; %bb.915:                              ;   in Loop: Header=BB347_803 Depth=1
	s_or_b32 exec_lo, exec_lo, s21
	v_lshlrev_b32_e32 v13, 16, v13
	v_lshlrev_b32_e32 v18, 20, v26
	v_lshl_add_u32 v17, v17, 23, 0x3c000000
	v_and_b32_e32 v13, 0x80000000, v13
	v_or3_b32 v17, v18, v13, v17
.LBB347_916:                            ;   in Loop: Header=BB347_803 Depth=1
	s_or_b32 exec_lo, exec_lo, s20
.LBB347_917:                            ;   in Loop: Header=BB347_803 Depth=1
	s_or_b32 exec_lo, exec_lo, s19
.LBB347_918:                            ;   in Loop: Header=BB347_803 Depth=1
	s_or_b32 exec_lo, exec_lo, s18
	v_and_b32_sdwa v13, v25, v70 dst_sel:DWORD dst_unused:UNUSED_PAD src0_sel:WORD_1 src1_sel:DWORD
	v_mov_b32_e32 v18, 0
	v_mov_b32_e32 v21, 0
	s_mov_b32 s18, exec_lo
	v_cmpx_ne_u16_e32 0, v13
	s_cbranch_execz .LBB347_926
; %bb.919:                              ;   in Loop: Header=BB347_803 Depth=1
	v_bfrev_b32_e32 v21, 1
	s_mov_b32 s19, exec_lo
	v_cmpx_ne_u16_e32 0x80, v13
	s_cbranch_execz .LBB347_925
; %bb.920:                              ;   in Loop: Header=BB347_803 Depth=1
	v_bfe_u32 v22, v25, 16, 7
	v_mov_b32_e32 v21, 0x7f800001
	s_mov_b32 s20, exec_lo
	v_cmpx_ne_u32_e32 0x7f, v22
	s_cbranch_execz .LBB347_924
; %bb.921:                              ;   in Loop: Header=BB347_803 Depth=1
	v_mov_b32_e32 v13, 7
	v_lshrrev_b32_e32 v21, 3, v22
	s_mov_b32 s21, exec_lo
	v_and_b32_sdwa v13, v25, v13 dst_sel:DWORD dst_unused:UNUSED_PAD src0_sel:WORD_1 src1_sel:DWORD
	v_cmpx_gt_u32_e32 8, v22
; %bb.922:                              ;   in Loop: Header=BB347_803 Depth=1
	v_ffbh_u32_e32 v21, v13
	v_min_u32_e32 v21, 32, v21
	v_subrev_nc_u32_e32 v22, 28, v21
	v_sub_nc_u32_e32 v21, 29, v21
	v_lshlrev_b64 v[22:23], v22, v[13:14]
	v_and_b32_e32 v13, 7, v22
; %bb.923:                              ;   in Loop: Header=BB347_803 Depth=1
	s_or_b32 exec_lo, exec_lo, s21
	v_mov_b32_e32 v22, 24
	v_lshlrev_b32_e32 v13, 20, v13
	v_lshl_add_u32 v21, v21, 23, 0x3c000000
	v_lshlrev_b32_sdwa v22, v22, v25 dst_sel:DWORD dst_unused:UNUSED_PAD src0_sel:DWORD src1_sel:WORD_1
	v_and_b32_e32 v22, 0x80000000, v22
	v_or3_b32 v21, v13, v22, v21
.LBB347_924:                            ;   in Loop: Header=BB347_803 Depth=1
	s_or_b32 exec_lo, exec_lo, s20
.LBB347_925:                            ;   in Loop: Header=BB347_803 Depth=1
	s_or_b32 exec_lo, exec_lo, s19
.LBB347_926:                            ;   in Loop: Header=BB347_803 Depth=1
	s_or_b32 exec_lo, exec_lo, s18
	s_mov_b32 s18, exec_lo
	v_cmpx_lt_u64_e64 s[6:7], v[24:25]
	s_cbranch_execz .LBB347_934
; %bb.927:                              ;   in Loop: Header=BB347_803 Depth=1
	v_cmp_ne_u32_sdwa s4, v25, v68 src0_sel:BYTE_3 src1_sel:DWORD
	v_bfrev_b32_e32 v18, 1
	s_and_saveexec_b32 s19, s4
	s_cbranch_execz .LBB347_933
; %bb.928:                              ;   in Loop: Header=BB347_803 Depth=1
	v_bfe_u32 v22, v25, 24, 7
	v_mov_b32_e32 v18, 0x7f800001
	s_mov_b32 s20, exec_lo
	v_cmpx_ne_u32_e32 0x7f, v22
	s_cbranch_execz .LBB347_932
; %bb.929:                              ;   in Loop: Header=BB347_803 Depth=1
	v_mov_b32_e32 v13, 7
	v_lshrrev_b32_e32 v18, 3, v22
	s_mov_b32 s21, exec_lo
	v_and_b32_sdwa v13, v25, v13 dst_sel:DWORD dst_unused:UNUSED_PAD src0_sel:BYTE_3 src1_sel:DWORD
	v_cmpx_gt_u32_e32 8, v22
; %bb.930:                              ;   in Loop: Header=BB347_803 Depth=1
	v_ffbh_u32_e32 v18, v13
	v_min_u32_e32 v18, 32, v18
	v_subrev_nc_u32_e32 v22, 28, v18
	v_sub_nc_u32_e32 v18, 29, v18
	v_lshlrev_b64 v[22:23], v22, v[13:14]
	v_and_b32_e32 v13, 7, v22
; %bb.931:                              ;   in Loop: Header=BB347_803 Depth=1
	s_or_b32 exec_lo, exec_lo, s21
	v_mov_b32_e32 v22, 24
	v_lshlrev_b32_e32 v13, 20, v13
	v_lshl_add_u32 v18, v18, 23, 0x3c000000
	v_lshlrev_b32_sdwa v22, v22, v25 dst_sel:DWORD dst_unused:UNUSED_PAD src0_sel:DWORD src1_sel:BYTE_3
	v_and_b32_e32 v22, 0x80000000, v22
	v_or3_b32 v18, v13, v22, v18
.LBB347_932:                            ;   in Loop: Header=BB347_803 Depth=1
	s_or_b32 exec_lo, exec_lo, s20
.LBB347_933:                            ;   in Loop: Header=BB347_803 Depth=1
	s_or_b32 exec_lo, exec_lo, s19
.LBB347_934:                            ;   in Loop: Header=BB347_803 Depth=1
	s_or_b32 exec_lo, exec_lo, s18
	v_mul_f32_e32 v13, v45, v17
	v_mul_f32_e32 v16, v45, v16
	;; [unrolled: 1-line block ×5, first 2 shown]
	v_bfe_u32 v17, v13, 16, 1
	v_or_b32_e32 v22, 0x400000, v13
	v_bfe_u32 v23, v16, 16, 1
	v_cmp_u_f32_e64 s4, v13, v13
	v_or_b32_e32 v24, 0x400000, v16
	v_add3_u32 v17, v17, v13, 0x7fff
	v_bfe_u32 v25, v15, 16, 1
	v_add3_u32 v23, v23, v16, 0x7fff
	v_or_b32_e32 v26, 0x400000, v15
	v_bfe_u32 v27, v12, 16, 1
	v_cndmask_b32_e64 v13, v17, v22, s4
	v_cmp_u_f32_e64 s4, v16, v16
	v_add3_u32 v25, v25, v15, 0x7fff
	v_or_b32_e32 v17, 0x400000, v12
	v_mul_f32_e32 v0, v45, v0
	v_lshrrev_b32_e32 v112, 16, v13
	v_cndmask_b32_e64 v16, v23, v24, s4
	v_cmp_u_f32_e64 s4, v15, v15
	v_add3_u32 v13, v27, v12, 0x7fff
	v_lshrrev_b32_e32 v103, 16, v16
	v_cndmask_b32_e64 v15, v25, v26, s4
	v_cmp_u_f32_e64 s4, v12, v12
	v_or_b32_e32 v16, 0x400000, v1
	v_lshrrev_b32_e32 v114, 16, v15
	v_bfe_u32 v15, v1, 16, 1
	v_cndmask_b32_e64 v12, v13, v17, s4
	v_mul_f32_e32 v13, v45, v21
	v_mul_f32_e32 v17, v45, v18
	v_bfe_u32 v18, v0, 16, 1
	v_add3_u32 v15, v15, v1, 0x7fff
	v_cmp_u_f32_e64 s4, v1, v1
	v_bfe_u32 v21, v13, 16, 1
	v_or_b32_e32 v22, 0x400000, v13
	v_or_b32_e32 v23, 0x400000, v17
	v_lshrrev_b32_e32 v113, 16, v12
	v_cndmask_b32_e64 v1, v15, v16, s4
	v_add3_u32 v16, v18, v0, 0x7fff
	v_or_b32_e32 v18, 0x400000, v0
	v_cmp_u_f32_e64 s4, v0, v0
	v_bfe_u32 v15, v17, 16, 1
	v_add3_u32 v21, v21, v13, 0x7fff
	v_lshrrev_b32_e32 v116, 16, v1
	v_cndmask_b32_e64 v0, v16, v18, s4
	v_cmp_u_f32_e64 s4, v13, v13
	v_add3_u32 v15, v15, v17, 0x7fff
	v_lshrrev_b32_e32 v115, 16, v0
	v_cndmask_b32_e64 v13, v21, v22, s4
	v_cmp_u_f32_e64 s4, v17, v17
	v_lshrrev_b32_e32 v101, 16, v13
	v_cndmask_b32_e64 v15, v15, v23, s4
	v_lshrrev_b32_e32 v102, 16, v15
	s_and_saveexec_b32 s18, vcc_lo
	s_cbranch_execz .LBB347_936
; %bb.935:                              ;   in Loop: Header=BB347_803 Depth=1
	v_cmp_lt_i32_e64 s4, v46, v32
	v_cndmask_b32_e64 v115, 0, v115, s4
	v_cmp_lt_i32_e64 s4, v61, v32
	v_cndmask_b32_e64 v116, 0, v116, s4
	;; [unrolled: 2-line block ×8, first 2 shown]
.LBB347_936:                            ;   in Loop: Header=BB347_803 Depth=1
	s_or_b32 exec_lo, exec_lo, s18
	flat_load_dwordx2 v[24:25], v[19:20] offset:512
	v_mov_b32_e32 v1, 0
	v_mov_b32_e32 v0, 0
	s_waitcnt vmcnt(0) lgkmcnt(0)
	v_cmp_ne_u16_sdwa s4, v24, v14 src0_sel:BYTE_0 src1_sel:DWORD
	s_and_saveexec_b32 s18, s4
	s_cbranch_execz .LBB347_944
; %bb.937:                              ;   in Loop: Header=BB347_803 Depth=1
	v_cmp_ne_u16_sdwa s4, v24, v68 src0_sel:BYTE_0 src1_sel:DWORD
	v_bfrev_b32_e32 v0, 1
	s_and_saveexec_b32 s19, s4
	s_cbranch_execz .LBB347_943
; %bb.938:                              ;   in Loop: Header=BB347_803 Depth=1
	v_and_b32_e32 v12, 0x7f, v24
	v_mov_b32_e32 v0, 0x7f800001
	s_mov_b32 s20, exec_lo
	v_cmpx_ne_u32_e32 0x7f, v12
	s_cbranch_execz .LBB347_942
; %bb.939:                              ;   in Loop: Header=BB347_803 Depth=1
	v_mov_b32_e32 v27, v25
	v_lshrrev_b32_e32 v0, 3, v12
	v_mov_b32_e32 v26, v24
	s_mov_b32 s21, exec_lo
	v_cmpx_gt_u32_e32 8, v12
; %bb.940:                              ;   in Loop: Header=BB347_803 Depth=1
	v_and_b32_e32 v0, 7, v24
	v_ffbh_u32_e32 v0, v0
	v_min_u32_e32 v0, 32, v0
	v_subrev_nc_u32_e32 v12, 28, v0
	v_sub_nc_u32_e32 v0, 29, v0
	v_lshlrev_b64 v[26:27], v12, v[24:25]
; %bb.941:                              ;   in Loop: Header=BB347_803 Depth=1
	s_or_b32 exec_lo, exec_lo, s21
	v_lshlrev_b32_e32 v12, 20, v26
	v_lshlrev_b32_e32 v13, 24, v24
	v_lshl_add_u32 v0, v0, 23, 0x3c000000
	v_and_b32_e32 v12, 0x700000, v12
	v_and_b32_e32 v13, 0x80000000, v13
	v_or3_b32 v0, v12, v13, v0
.LBB347_942:                            ;   in Loop: Header=BB347_803 Depth=1
	s_or_b32 exec_lo, exec_lo, s20
.LBB347_943:                            ;   in Loop: Header=BB347_803 Depth=1
	s_or_b32 exec_lo, exec_lo, s19
.LBB347_944:                            ;   in Loop: Header=BB347_803 Depth=1
	s_or_b32 exec_lo, exec_lo, s18
	v_cmp_ne_u16_sdwa s4, v24, v14 src0_sel:BYTE_1 src1_sel:DWORD
	s_and_saveexec_b32 s18, s4
	s_cbranch_execz .LBB347_952
; %bb.945:                              ;   in Loop: Header=BB347_803 Depth=1
	v_cmp_ne_u16_sdwa s4, v24, v68 src0_sel:BYTE_1 src1_sel:DWORD
	v_bfrev_b32_e32 v1, 1
	s_and_saveexec_b32 s19, s4
	s_cbranch_execz .LBB347_951
; %bb.946:                              ;   in Loop: Header=BB347_803 Depth=1
	v_mov_b32_e32 v1, 0xffff
	s_mov_b32 s20, exec_lo
	v_and_b32_sdwa v13, v1, v24 dst_sel:DWORD dst_unused:UNUSED_PAD src0_sel:DWORD src1_sel:BYTE_1
	v_mov_b32_e32 v1, 0x7f800001
	v_and_b32_e32 v12, 0x7f, v13
	v_cmpx_ne_u32_e32 0x7f, v12
	s_cbranch_execz .LBB347_950
; %bb.947:                              ;   in Loop: Header=BB347_803 Depth=1
	v_and_b32_e32 v13, 7, v13
	v_lshrrev_b32_e32 v1, 3, v12
	s_mov_b32 s21, exec_lo
	v_cmpx_gt_u32_e32 8, v12
; %bb.948:                              ;   in Loop: Header=BB347_803 Depth=1
	v_ffbh_u32_e32 v1, v13
	v_min_u32_e32 v1, 32, v1
	v_subrev_nc_u32_e32 v12, 28, v1
	v_sub_nc_u32_e32 v1, 29, v1
	v_lshlrev_b64 v[12:13], v12, v[13:14]
	v_and_b32_e32 v13, 7, v12
; %bb.949:                              ;   in Loop: Header=BB347_803 Depth=1
	s_or_b32 exec_lo, exec_lo, s21
	v_lshlrev_b32_e32 v12, 16, v24
	v_lshlrev_b32_e32 v13, 20, v13
	v_lshl_add_u32 v1, v1, 23, 0x3c000000
	v_and_b32_e32 v12, 0x80000000, v12
	v_or3_b32 v1, v13, v12, v1
.LBB347_950:                            ;   in Loop: Header=BB347_803 Depth=1
	s_or_b32 exec_lo, exec_lo, s20
.LBB347_951:                            ;   in Loop: Header=BB347_803 Depth=1
	s_or_b32 exec_lo, exec_lo, s19
.LBB347_952:                            ;   in Loop: Header=BB347_803 Depth=1
	s_or_b32 exec_lo, exec_lo, s18
	v_and_b32_sdwa v13, v24, v70 dst_sel:DWORD dst_unused:UNUSED_PAD src0_sel:WORD_1 src1_sel:DWORD
	v_mov_b32_e32 v15, 0
	v_mov_b32_e32 v12, 0
	s_mov_b32 s18, exec_lo
	v_cmpx_ne_u16_e32 0, v13
	s_cbranch_execz .LBB347_960
; %bb.953:                              ;   in Loop: Header=BB347_803 Depth=1
	v_bfrev_b32_e32 v12, 1
	s_mov_b32 s19, exec_lo
	v_cmpx_ne_u16_e32 0x80, v13
	s_cbranch_execz .LBB347_959
; %bb.954:                              ;   in Loop: Header=BB347_803 Depth=1
	v_bfe_u32 v16, v24, 16, 7
	v_mov_b32_e32 v12, 0x7f800001
	s_mov_b32 s20, exec_lo
	v_cmpx_ne_u32_e32 0x7f, v16
	s_cbranch_execz .LBB347_958
; %bb.955:                              ;   in Loop: Header=BB347_803 Depth=1
	v_mov_b32_e32 v12, 7
	s_mov_b32 s21, exec_lo
	v_and_b32_sdwa v13, v24, v12 dst_sel:DWORD dst_unused:UNUSED_PAD src0_sel:WORD_1 src1_sel:DWORD
	v_lshrrev_b32_e32 v12, 3, v16
	v_cmpx_gt_u32_e32 8, v16
; %bb.956:                              ;   in Loop: Header=BB347_803 Depth=1
	v_ffbh_u32_e32 v12, v13
	v_min_u32_e32 v12, 32, v12
	v_subrev_nc_u32_e32 v16, 28, v12
	v_sub_nc_u32_e32 v12, 29, v12
	v_lshlrev_b64 v[16:17], v16, v[13:14]
	v_and_b32_e32 v13, 7, v16
; %bb.957:                              ;   in Loop: Header=BB347_803 Depth=1
	s_or_b32 exec_lo, exec_lo, s21
	v_mov_b32_e32 v16, 24
	v_lshlrev_b32_e32 v13, 20, v13
	v_lshl_add_u32 v12, v12, 23, 0x3c000000
	v_lshlrev_b32_sdwa v16, v16, v24 dst_sel:DWORD dst_unused:UNUSED_PAD src0_sel:DWORD src1_sel:WORD_1
	v_and_b32_e32 v16, 0x80000000, v16
	v_or3_b32 v12, v13, v16, v12
.LBB347_958:                            ;   in Loop: Header=BB347_803 Depth=1
	s_or_b32 exec_lo, exec_lo, s20
.LBB347_959:                            ;   in Loop: Header=BB347_803 Depth=1
	s_or_b32 exec_lo, exec_lo, s19
.LBB347_960:                            ;   in Loop: Header=BB347_803 Depth=1
	s_or_b32 exec_lo, exec_lo, s18
	s_mov_b32 s18, exec_lo
	v_cmpx_lt_u32_e32 0xffffff, v24
	s_cbranch_execz .LBB347_968
; %bb.961:                              ;   in Loop: Header=BB347_803 Depth=1
	v_cmp_ne_u32_sdwa s4, v24, v68 src0_sel:BYTE_3 src1_sel:DWORD
	v_bfrev_b32_e32 v15, 1
	s_and_saveexec_b32 s19, s4
	s_cbranch_execz .LBB347_967
; %bb.962:                              ;   in Loop: Header=BB347_803 Depth=1
	v_bfe_u32 v16, v24, 24, 7
	v_mov_b32_e32 v15, 0x7f800001
	s_mov_b32 s20, exec_lo
	v_cmpx_ne_u32_e32 0x7f, v16
	s_cbranch_execz .LBB347_966
; %bb.963:                              ;   in Loop: Header=BB347_803 Depth=1
	v_mov_b32_e32 v13, 7
	v_lshrrev_b32_e32 v15, 3, v16
	s_mov_b32 s21, exec_lo
	v_and_b32_sdwa v13, v24, v13 dst_sel:DWORD dst_unused:UNUSED_PAD src0_sel:BYTE_3 src1_sel:DWORD
	v_cmpx_gt_u32_e32 8, v16
; %bb.964:                              ;   in Loop: Header=BB347_803 Depth=1
	v_ffbh_u32_e32 v15, v13
	v_min_u32_e32 v15, 32, v15
	v_subrev_nc_u32_e32 v16, 28, v15
	v_sub_nc_u32_e32 v15, 29, v15
	v_lshlrev_b64 v[16:17], v16, v[13:14]
	v_and_b32_e32 v13, 7, v16
; %bb.965:                              ;   in Loop: Header=BB347_803 Depth=1
	s_or_b32 exec_lo, exec_lo, s21
	v_mov_b32_e32 v16, 24
	v_lshlrev_b32_e32 v13, 20, v13
	v_lshl_add_u32 v15, v15, 23, 0x3c000000
	v_lshlrev_b32_sdwa v16, v16, v24 dst_sel:DWORD dst_unused:UNUSED_PAD src0_sel:DWORD src1_sel:BYTE_3
	v_and_b32_e32 v16, 0x80000000, v16
	v_or3_b32 v15, v13, v16, v15
.LBB347_966:                            ;   in Loop: Header=BB347_803 Depth=1
	s_or_b32 exec_lo, exec_lo, s20
.LBB347_967:                            ;   in Loop: Header=BB347_803 Depth=1
	s_or_b32 exec_lo, exec_lo, s19
.LBB347_968:                            ;   in Loop: Header=BB347_803 Depth=1
	s_or_b32 exec_lo, exec_lo, s18
	v_mov_b32_e32 v13, v25
	v_cmp_ne_u16_sdwa s4, v25, v14 src0_sel:BYTE_0 src1_sel:DWORD
	v_mov_b32_e32 v17, 0
	v_mov_b32_e32 v16, 0
	s_and_saveexec_b32 s18, s4
	s_cbranch_execz .LBB347_976
; %bb.969:                              ;   in Loop: Header=BB347_803 Depth=1
	v_cmp_ne_u16_sdwa s4, v25, v68 src0_sel:BYTE_0 src1_sel:DWORD
	v_bfrev_b32_e32 v16, 1
	s_and_saveexec_b32 s19, s4
	s_cbranch_execz .LBB347_975
; %bb.970:                              ;   in Loop: Header=BB347_803 Depth=1
	v_and_b32_e32 v18, 0x7f, v25
	v_mov_b32_e32 v16, 0x7f800001
	s_mov_b32 s20, exec_lo
	v_cmpx_ne_u32_e32 0x7f, v18
	s_cbranch_execz .LBB347_974
; %bb.971:                              ;   in Loop: Header=BB347_803 Depth=1
	v_mov_b32_e32 v27, v14
	v_lshrrev_b32_e32 v16, 3, v18
	v_mov_b32_e32 v26, v13
	s_mov_b32 s21, exec_lo
	v_cmpx_gt_u32_e32 8, v18
; %bb.972:                              ;   in Loop: Header=BB347_803 Depth=1
	v_and_b32_e32 v16, 7, v25
	v_ffbh_u32_e32 v16, v16
	v_min_u32_e32 v16, 32, v16
	v_subrev_nc_u32_e32 v18, 28, v16
	v_sub_nc_u32_e32 v16, 29, v16
	v_lshlrev_b64 v[26:27], v18, v[13:14]
; %bb.973:                              ;   in Loop: Header=BB347_803 Depth=1
	s_or_b32 exec_lo, exec_lo, s21
	v_lshlrev_b32_e32 v18, 20, v26
	v_lshlrev_b32_e32 v21, 24, v13
	v_lshl_add_u32 v16, v16, 23, 0x3c000000
	v_and_b32_e32 v18, 0x700000, v18
	v_and_b32_e32 v21, 0x80000000, v21
	v_or3_b32 v16, v18, v21, v16
.LBB347_974:                            ;   in Loop: Header=BB347_803 Depth=1
	s_or_b32 exec_lo, exec_lo, s20
.LBB347_975:                            ;   in Loop: Header=BB347_803 Depth=1
	s_or_b32 exec_lo, exec_lo, s19
.LBB347_976:                            ;   in Loop: Header=BB347_803 Depth=1
	s_or_b32 exec_lo, exec_lo, s18
	v_cmp_ne_u16_sdwa s4, v13, v14 src0_sel:BYTE_1 src1_sel:DWORD
	s_and_saveexec_b32 s18, s4
	s_cbranch_execz .LBB347_984
; %bb.977:                              ;   in Loop: Header=BB347_803 Depth=1
	v_cmp_ne_u16_sdwa s4, v13, v68 src0_sel:BYTE_1 src1_sel:DWORD
	v_bfrev_b32_e32 v17, 1
	s_and_saveexec_b32 s19, s4
	s_cbranch_execz .LBB347_983
; %bb.978:                              ;   in Loop: Header=BB347_803 Depth=1
	v_mov_b32_e32 v17, 0xffff
	s_mov_b32 s20, exec_lo
	v_and_b32_sdwa v21, v17, v13 dst_sel:DWORD dst_unused:UNUSED_PAD src0_sel:DWORD src1_sel:BYTE_1
	v_mov_b32_e32 v17, 0x7f800001
	v_and_b32_e32 v18, 0x7f, v21
	v_cmpx_ne_u32_e32 0x7f, v18
	s_cbranch_execz .LBB347_982
; %bb.979:                              ;   in Loop: Header=BB347_803 Depth=1
	v_and_b32_e32 v26, 7, v21
	v_mov_b32_e32 v27, v14
	v_lshrrev_b32_e32 v17, 3, v18
	s_mov_b32 s21, exec_lo
	v_cmpx_gt_u32_e32 8, v18
; %bb.980:                              ;   in Loop: Header=BB347_803 Depth=1
	v_ffbh_u32_e32 v17, v26
	v_min_u32_e32 v17, 32, v17
	v_subrev_nc_u32_e32 v18, 28, v17
	v_sub_nc_u32_e32 v17, 29, v17
	v_lshlrev_b64 v[21:22], v18, v[26:27]
	v_and_b32_e32 v26, 7, v21
; %bb.981:                              ;   in Loop: Header=BB347_803 Depth=1
	s_or_b32 exec_lo, exec_lo, s21
	v_lshlrev_b32_e32 v13, 16, v13
	v_lshlrev_b32_e32 v18, 20, v26
	v_lshl_add_u32 v17, v17, 23, 0x3c000000
	v_and_b32_e32 v13, 0x80000000, v13
	v_or3_b32 v17, v18, v13, v17
.LBB347_982:                            ;   in Loop: Header=BB347_803 Depth=1
	s_or_b32 exec_lo, exec_lo, s20
.LBB347_983:                            ;   in Loop: Header=BB347_803 Depth=1
	s_or_b32 exec_lo, exec_lo, s19
.LBB347_984:                            ;   in Loop: Header=BB347_803 Depth=1
	s_or_b32 exec_lo, exec_lo, s18
	v_and_b32_sdwa v13, v25, v70 dst_sel:DWORD dst_unused:UNUSED_PAD src0_sel:WORD_1 src1_sel:DWORD
	v_mov_b32_e32 v18, 0
	v_mov_b32_e32 v21, 0
	s_mov_b32 s18, exec_lo
	v_cmpx_ne_u16_e32 0, v13
	s_cbranch_execz .LBB347_992
; %bb.985:                              ;   in Loop: Header=BB347_803 Depth=1
	v_bfrev_b32_e32 v21, 1
	s_mov_b32 s19, exec_lo
	v_cmpx_ne_u16_e32 0x80, v13
	s_cbranch_execz .LBB347_991
; %bb.986:                              ;   in Loop: Header=BB347_803 Depth=1
	v_bfe_u32 v22, v25, 16, 7
	v_mov_b32_e32 v21, 0x7f800001
	s_mov_b32 s20, exec_lo
	v_cmpx_ne_u32_e32 0x7f, v22
	s_cbranch_execz .LBB347_990
; %bb.987:                              ;   in Loop: Header=BB347_803 Depth=1
	v_mov_b32_e32 v13, 7
	v_lshrrev_b32_e32 v21, 3, v22
	s_mov_b32 s21, exec_lo
	v_and_b32_sdwa v13, v25, v13 dst_sel:DWORD dst_unused:UNUSED_PAD src0_sel:WORD_1 src1_sel:DWORD
	v_cmpx_gt_u32_e32 8, v22
; %bb.988:                              ;   in Loop: Header=BB347_803 Depth=1
	v_ffbh_u32_e32 v21, v13
	v_min_u32_e32 v21, 32, v21
	v_subrev_nc_u32_e32 v22, 28, v21
	v_sub_nc_u32_e32 v21, 29, v21
	v_lshlrev_b64 v[22:23], v22, v[13:14]
	v_and_b32_e32 v13, 7, v22
; %bb.989:                              ;   in Loop: Header=BB347_803 Depth=1
	s_or_b32 exec_lo, exec_lo, s21
	v_mov_b32_e32 v22, 24
	v_lshlrev_b32_e32 v13, 20, v13
	v_lshl_add_u32 v21, v21, 23, 0x3c000000
	v_lshlrev_b32_sdwa v22, v22, v25 dst_sel:DWORD dst_unused:UNUSED_PAD src0_sel:DWORD src1_sel:WORD_1
	v_and_b32_e32 v22, 0x80000000, v22
	v_or3_b32 v21, v13, v22, v21
.LBB347_990:                            ;   in Loop: Header=BB347_803 Depth=1
	s_or_b32 exec_lo, exec_lo, s20
.LBB347_991:                            ;   in Loop: Header=BB347_803 Depth=1
	s_or_b32 exec_lo, exec_lo, s19
.LBB347_992:                            ;   in Loop: Header=BB347_803 Depth=1
	s_or_b32 exec_lo, exec_lo, s18
	s_mov_b32 s18, exec_lo
	v_cmpx_lt_u64_e64 s[6:7], v[24:25]
	s_cbranch_execz .LBB347_1000
; %bb.993:                              ;   in Loop: Header=BB347_803 Depth=1
	v_cmp_ne_u32_sdwa s4, v25, v68 src0_sel:BYTE_3 src1_sel:DWORD
	v_bfrev_b32_e32 v18, 1
	s_and_saveexec_b32 s19, s4
	s_cbranch_execz .LBB347_999
; %bb.994:                              ;   in Loop: Header=BB347_803 Depth=1
	v_bfe_u32 v22, v25, 24, 7
	v_mov_b32_e32 v18, 0x7f800001
	s_mov_b32 s20, exec_lo
	v_cmpx_ne_u32_e32 0x7f, v22
	s_cbranch_execz .LBB347_998
; %bb.995:                              ;   in Loop: Header=BB347_803 Depth=1
	v_mov_b32_e32 v13, 7
	v_lshrrev_b32_e32 v18, 3, v22
	s_mov_b32 s21, exec_lo
	v_and_b32_sdwa v13, v25, v13 dst_sel:DWORD dst_unused:UNUSED_PAD src0_sel:BYTE_3 src1_sel:DWORD
	v_cmpx_gt_u32_e32 8, v22
; %bb.996:                              ;   in Loop: Header=BB347_803 Depth=1
	v_ffbh_u32_e32 v18, v13
	v_min_u32_e32 v18, 32, v18
	v_subrev_nc_u32_e32 v22, 28, v18
	v_sub_nc_u32_e32 v18, 29, v18
	v_lshlrev_b64 v[22:23], v22, v[13:14]
	v_and_b32_e32 v13, 7, v22
; %bb.997:                              ;   in Loop: Header=BB347_803 Depth=1
	s_or_b32 exec_lo, exec_lo, s21
	v_mov_b32_e32 v22, 24
	v_lshlrev_b32_e32 v13, 20, v13
	v_lshl_add_u32 v18, v18, 23, 0x3c000000
	v_lshlrev_b32_sdwa v22, v22, v25 dst_sel:DWORD dst_unused:UNUSED_PAD src0_sel:DWORD src1_sel:BYTE_3
	v_and_b32_e32 v22, 0x80000000, v22
	v_or3_b32 v18, v13, v22, v18
.LBB347_998:                            ;   in Loop: Header=BB347_803 Depth=1
	s_or_b32 exec_lo, exec_lo, s20
.LBB347_999:                            ;   in Loop: Header=BB347_803 Depth=1
	s_or_b32 exec_lo, exec_lo, s19
.LBB347_1000:                           ;   in Loop: Header=BB347_803 Depth=1
	s_or_b32 exec_lo, exec_lo, s18
	v_mul_f32_e32 v13, v45, v17
	v_mul_f32_e32 v16, v45, v16
	;; [unrolled: 1-line block ×5, first 2 shown]
	v_bfe_u32 v17, v13, 16, 1
	v_or_b32_e32 v22, 0x400000, v13
	v_bfe_u32 v23, v16, 16, 1
	v_cmp_u_f32_e64 s4, v13, v13
	v_or_b32_e32 v24, 0x400000, v16
	v_add3_u32 v17, v17, v13, 0x7fff
	v_bfe_u32 v25, v15, 16, 1
	v_add3_u32 v23, v23, v16, 0x7fff
	v_or_b32_e32 v26, 0x400000, v15
	v_bfe_u32 v27, v12, 16, 1
	v_cndmask_b32_e64 v13, v17, v22, s4
	v_cmp_u_f32_e64 s4, v16, v16
	v_add3_u32 v25, v25, v15, 0x7fff
	v_or_b32_e32 v17, 0x400000, v12
	v_mul_f32_e32 v0, v45, v0
	v_lshrrev_b32_e32 v40, 16, v13
	v_cndmask_b32_e64 v16, v23, v24, s4
	v_cmp_u_f32_e64 s4, v15, v15
	v_add3_u32 v13, v27, v12, 0x7fff
	v_lshrrev_b32_e32 v118, 16, v16
	v_cndmask_b32_e64 v15, v25, v26, s4
	v_cmp_u_f32_e64 s4, v12, v12
	v_or_b32_e32 v16, 0x400000, v1
	v_lshrrev_b32_e32 v41, 16, v15
	v_bfe_u32 v15, v1, 16, 1
	v_cndmask_b32_e64 v12, v13, v17, s4
	v_mul_f32_e32 v13, v45, v21
	v_mul_f32_e32 v17, v45, v18
	v_bfe_u32 v18, v0, 16, 1
	v_add3_u32 v15, v15, v1, 0x7fff
	v_cmp_u_f32_e64 s4, v1, v1
	v_bfe_u32 v21, v13, 16, 1
	v_or_b32_e32 v22, 0x400000, v13
	v_or_b32_e32 v23, 0x400000, v17
	v_lshrrev_b32_e32 v42, 16, v12
	v_cndmask_b32_e64 v1, v15, v16, s4
	v_add3_u32 v16, v18, v0, 0x7fff
	v_or_b32_e32 v18, 0x400000, v0
	v_cmp_u_f32_e64 s4, v0, v0
	v_bfe_u32 v15, v17, 16, 1
	v_add3_u32 v21, v21, v13, 0x7fff
	v_lshrrev_b32_e32 v44, 16, v1
	v_cndmask_b32_e64 v0, v16, v18, s4
	v_cmp_u_f32_e64 s4, v13, v13
	v_add3_u32 v15, v15, v17, 0x7fff
	v_lshrrev_b32_e32 v43, 16, v0
	v_cndmask_b32_e64 v13, v21, v22, s4
	v_cmp_u_f32_e64 s4, v17, v17
	v_lshrrev_b32_e32 v117, 16, v13
	v_cndmask_b32_e64 v15, v15, v23, s4
	v_lshrrev_b32_e32 v119, 16, v15
	s_and_saveexec_b32 s18, vcc_lo
	s_cbranch_execz .LBB347_1002
; %bb.1001:                             ;   in Loop: Header=BB347_803 Depth=1
	v_cmp_lt_i32_e64 s4, v46, v32
	v_cndmask_b32_e64 v43, 0, v43, s4
	v_cmp_lt_i32_e64 s4, v61, v32
	v_cndmask_b32_e64 v44, 0, v44, s4
	;; [unrolled: 2-line block ×8, first 2 shown]
.LBB347_1002:                           ;   in Loop: Header=BB347_803 Depth=1
	s_or_b32 exec_lo, exec_lo, s18
	flat_load_dwordx2 v[24:25], v[19:20] offset:768
	v_mov_b32_e32 v1, 0
	v_mov_b32_e32 v0, 0
	s_waitcnt vmcnt(0) lgkmcnt(0)
	v_cmp_ne_u16_sdwa s4, v24, v14 src0_sel:BYTE_0 src1_sel:DWORD
	s_and_saveexec_b32 s18, s4
	s_cbranch_execz .LBB347_1010
; %bb.1003:                             ;   in Loop: Header=BB347_803 Depth=1
	v_cmp_ne_u16_sdwa s4, v24, v68 src0_sel:BYTE_0 src1_sel:DWORD
	v_bfrev_b32_e32 v0, 1
	s_and_saveexec_b32 s19, s4
	s_cbranch_execz .LBB347_1009
; %bb.1004:                             ;   in Loop: Header=BB347_803 Depth=1
	v_and_b32_e32 v12, 0x7f, v24
	v_mov_b32_e32 v0, 0x7f800001
	s_mov_b32 s20, exec_lo
	v_cmpx_ne_u32_e32 0x7f, v12
	s_cbranch_execz .LBB347_1008
; %bb.1005:                             ;   in Loop: Header=BB347_803 Depth=1
	v_mov_b32_e32 v27, v25
	v_lshrrev_b32_e32 v0, 3, v12
	v_mov_b32_e32 v26, v24
	s_mov_b32 s21, exec_lo
	v_cmpx_gt_u32_e32 8, v12
; %bb.1006:                             ;   in Loop: Header=BB347_803 Depth=1
	v_and_b32_e32 v0, 7, v24
	v_ffbh_u32_e32 v0, v0
	v_min_u32_e32 v0, 32, v0
	v_subrev_nc_u32_e32 v12, 28, v0
	v_sub_nc_u32_e32 v0, 29, v0
	v_lshlrev_b64 v[26:27], v12, v[24:25]
; %bb.1007:                             ;   in Loop: Header=BB347_803 Depth=1
	s_or_b32 exec_lo, exec_lo, s21
	v_lshlrev_b32_e32 v12, 20, v26
	v_lshlrev_b32_e32 v13, 24, v24
	v_lshl_add_u32 v0, v0, 23, 0x3c000000
	v_and_b32_e32 v12, 0x700000, v12
	v_and_b32_e32 v13, 0x80000000, v13
	v_or3_b32 v0, v12, v13, v0
.LBB347_1008:                           ;   in Loop: Header=BB347_803 Depth=1
	s_or_b32 exec_lo, exec_lo, s20
.LBB347_1009:                           ;   in Loop: Header=BB347_803 Depth=1
	s_or_b32 exec_lo, exec_lo, s19
.LBB347_1010:                           ;   in Loop: Header=BB347_803 Depth=1
	s_or_b32 exec_lo, exec_lo, s18
	v_cmp_ne_u16_sdwa s4, v24, v14 src0_sel:BYTE_1 src1_sel:DWORD
	s_and_saveexec_b32 s18, s4
	s_cbranch_execz .LBB347_1018
; %bb.1011:                             ;   in Loop: Header=BB347_803 Depth=1
	v_cmp_ne_u16_sdwa s4, v24, v68 src0_sel:BYTE_1 src1_sel:DWORD
	v_bfrev_b32_e32 v1, 1
	s_and_saveexec_b32 s19, s4
	s_cbranch_execz .LBB347_1017
; %bb.1012:                             ;   in Loop: Header=BB347_803 Depth=1
	v_mov_b32_e32 v1, 0xffff
	s_mov_b32 s20, exec_lo
	v_and_b32_sdwa v13, v1, v24 dst_sel:DWORD dst_unused:UNUSED_PAD src0_sel:DWORD src1_sel:BYTE_1
	v_mov_b32_e32 v1, 0x7f800001
	v_and_b32_e32 v12, 0x7f, v13
	v_cmpx_ne_u32_e32 0x7f, v12
	s_cbranch_execz .LBB347_1016
; %bb.1013:                             ;   in Loop: Header=BB347_803 Depth=1
	v_and_b32_e32 v13, 7, v13
	v_lshrrev_b32_e32 v1, 3, v12
	s_mov_b32 s21, exec_lo
	v_cmpx_gt_u32_e32 8, v12
; %bb.1014:                             ;   in Loop: Header=BB347_803 Depth=1
	v_ffbh_u32_e32 v1, v13
	v_min_u32_e32 v1, 32, v1
	v_subrev_nc_u32_e32 v12, 28, v1
	v_sub_nc_u32_e32 v1, 29, v1
	v_lshlrev_b64 v[12:13], v12, v[13:14]
	v_and_b32_e32 v13, 7, v12
; %bb.1015:                             ;   in Loop: Header=BB347_803 Depth=1
	s_or_b32 exec_lo, exec_lo, s21
	v_lshlrev_b32_e32 v12, 16, v24
	v_lshlrev_b32_e32 v13, 20, v13
	v_lshl_add_u32 v1, v1, 23, 0x3c000000
	v_and_b32_e32 v12, 0x80000000, v12
	v_or3_b32 v1, v13, v12, v1
.LBB347_1016:                           ;   in Loop: Header=BB347_803 Depth=1
	s_or_b32 exec_lo, exec_lo, s20
.LBB347_1017:                           ;   in Loop: Header=BB347_803 Depth=1
	s_or_b32 exec_lo, exec_lo, s19
.LBB347_1018:                           ;   in Loop: Header=BB347_803 Depth=1
	s_or_b32 exec_lo, exec_lo, s18
	v_and_b32_sdwa v13, v24, v70 dst_sel:DWORD dst_unused:UNUSED_PAD src0_sel:WORD_1 src1_sel:DWORD
	v_mov_b32_e32 v15, 0
	v_mov_b32_e32 v12, 0
	s_mov_b32 s18, exec_lo
	v_cmpx_ne_u16_e32 0, v13
	s_cbranch_execz .LBB347_1026
; %bb.1019:                             ;   in Loop: Header=BB347_803 Depth=1
	v_bfrev_b32_e32 v12, 1
	s_mov_b32 s19, exec_lo
	v_cmpx_ne_u16_e32 0x80, v13
	s_cbranch_execz .LBB347_1025
; %bb.1020:                             ;   in Loop: Header=BB347_803 Depth=1
	v_bfe_u32 v16, v24, 16, 7
	v_mov_b32_e32 v12, 0x7f800001
	s_mov_b32 s20, exec_lo
	v_cmpx_ne_u32_e32 0x7f, v16
	s_cbranch_execz .LBB347_1024
; %bb.1021:                             ;   in Loop: Header=BB347_803 Depth=1
	v_mov_b32_e32 v12, 7
	s_mov_b32 s21, exec_lo
	v_and_b32_sdwa v13, v24, v12 dst_sel:DWORD dst_unused:UNUSED_PAD src0_sel:WORD_1 src1_sel:DWORD
	v_lshrrev_b32_e32 v12, 3, v16
	v_cmpx_gt_u32_e32 8, v16
; %bb.1022:                             ;   in Loop: Header=BB347_803 Depth=1
	v_ffbh_u32_e32 v12, v13
	v_min_u32_e32 v12, 32, v12
	v_subrev_nc_u32_e32 v16, 28, v12
	v_sub_nc_u32_e32 v12, 29, v12
	v_lshlrev_b64 v[16:17], v16, v[13:14]
	v_and_b32_e32 v13, 7, v16
; %bb.1023:                             ;   in Loop: Header=BB347_803 Depth=1
	s_or_b32 exec_lo, exec_lo, s21
	v_mov_b32_e32 v16, 24
	v_lshlrev_b32_e32 v13, 20, v13
	v_lshl_add_u32 v12, v12, 23, 0x3c000000
	v_lshlrev_b32_sdwa v16, v16, v24 dst_sel:DWORD dst_unused:UNUSED_PAD src0_sel:DWORD src1_sel:WORD_1
	v_and_b32_e32 v16, 0x80000000, v16
	v_or3_b32 v12, v13, v16, v12
.LBB347_1024:                           ;   in Loop: Header=BB347_803 Depth=1
	s_or_b32 exec_lo, exec_lo, s20
.LBB347_1025:                           ;   in Loop: Header=BB347_803 Depth=1
	s_or_b32 exec_lo, exec_lo, s19
.LBB347_1026:                           ;   in Loop: Header=BB347_803 Depth=1
	s_or_b32 exec_lo, exec_lo, s18
	s_mov_b32 s18, exec_lo
	v_cmpx_lt_u32_e32 0xffffff, v24
	s_cbranch_execz .LBB347_1034
; %bb.1027:                             ;   in Loop: Header=BB347_803 Depth=1
	v_cmp_ne_u32_sdwa s4, v24, v68 src0_sel:BYTE_3 src1_sel:DWORD
	v_bfrev_b32_e32 v15, 1
	s_and_saveexec_b32 s19, s4
	s_cbranch_execz .LBB347_1033
; %bb.1028:                             ;   in Loop: Header=BB347_803 Depth=1
	v_bfe_u32 v16, v24, 24, 7
	v_mov_b32_e32 v15, 0x7f800001
	s_mov_b32 s20, exec_lo
	v_cmpx_ne_u32_e32 0x7f, v16
	s_cbranch_execz .LBB347_1032
; %bb.1029:                             ;   in Loop: Header=BB347_803 Depth=1
	v_mov_b32_e32 v13, 7
	v_lshrrev_b32_e32 v15, 3, v16
	s_mov_b32 s21, exec_lo
	v_and_b32_sdwa v13, v24, v13 dst_sel:DWORD dst_unused:UNUSED_PAD src0_sel:BYTE_3 src1_sel:DWORD
	v_cmpx_gt_u32_e32 8, v16
; %bb.1030:                             ;   in Loop: Header=BB347_803 Depth=1
	v_ffbh_u32_e32 v15, v13
	v_min_u32_e32 v15, 32, v15
	v_subrev_nc_u32_e32 v16, 28, v15
	v_sub_nc_u32_e32 v15, 29, v15
	v_lshlrev_b64 v[16:17], v16, v[13:14]
	v_and_b32_e32 v13, 7, v16
; %bb.1031:                             ;   in Loop: Header=BB347_803 Depth=1
	s_or_b32 exec_lo, exec_lo, s21
	v_mov_b32_e32 v16, 24
	v_lshlrev_b32_e32 v13, 20, v13
	v_lshl_add_u32 v15, v15, 23, 0x3c000000
	v_lshlrev_b32_sdwa v16, v16, v24 dst_sel:DWORD dst_unused:UNUSED_PAD src0_sel:DWORD src1_sel:BYTE_3
	v_and_b32_e32 v16, 0x80000000, v16
	v_or3_b32 v15, v13, v16, v15
.LBB347_1032:                           ;   in Loop: Header=BB347_803 Depth=1
	s_or_b32 exec_lo, exec_lo, s20
.LBB347_1033:                           ;   in Loop: Header=BB347_803 Depth=1
	s_or_b32 exec_lo, exec_lo, s19
.LBB347_1034:                           ;   in Loop: Header=BB347_803 Depth=1
	s_or_b32 exec_lo, exec_lo, s18
	v_mov_b32_e32 v13, v25
	v_cmp_ne_u16_sdwa s4, v25, v14 src0_sel:BYTE_0 src1_sel:DWORD
	v_mov_b32_e32 v17, 0
	v_mov_b32_e32 v16, 0
	s_and_saveexec_b32 s18, s4
	s_cbranch_execz .LBB347_1042
; %bb.1035:                             ;   in Loop: Header=BB347_803 Depth=1
	v_cmp_ne_u16_sdwa s4, v25, v68 src0_sel:BYTE_0 src1_sel:DWORD
	v_bfrev_b32_e32 v16, 1
	s_and_saveexec_b32 s19, s4
	s_cbranch_execz .LBB347_1041
; %bb.1036:                             ;   in Loop: Header=BB347_803 Depth=1
	v_and_b32_e32 v18, 0x7f, v25
	v_mov_b32_e32 v16, 0x7f800001
	s_mov_b32 s20, exec_lo
	v_cmpx_ne_u32_e32 0x7f, v18
	s_cbranch_execz .LBB347_1040
; %bb.1037:                             ;   in Loop: Header=BB347_803 Depth=1
	v_mov_b32_e32 v27, v14
	v_lshrrev_b32_e32 v16, 3, v18
	v_mov_b32_e32 v26, v13
	s_mov_b32 s21, exec_lo
	v_cmpx_gt_u32_e32 8, v18
; %bb.1038:                             ;   in Loop: Header=BB347_803 Depth=1
	v_and_b32_e32 v16, 7, v25
	v_ffbh_u32_e32 v16, v16
	v_min_u32_e32 v16, 32, v16
	v_subrev_nc_u32_e32 v18, 28, v16
	v_sub_nc_u32_e32 v16, 29, v16
	v_lshlrev_b64 v[26:27], v18, v[13:14]
; %bb.1039:                             ;   in Loop: Header=BB347_803 Depth=1
	s_or_b32 exec_lo, exec_lo, s21
	v_lshlrev_b32_e32 v18, 20, v26
	v_lshlrev_b32_e32 v21, 24, v13
	v_lshl_add_u32 v16, v16, 23, 0x3c000000
	v_and_b32_e32 v18, 0x700000, v18
	v_and_b32_e32 v21, 0x80000000, v21
	v_or3_b32 v16, v18, v21, v16
.LBB347_1040:                           ;   in Loop: Header=BB347_803 Depth=1
	s_or_b32 exec_lo, exec_lo, s20
.LBB347_1041:                           ;   in Loop: Header=BB347_803 Depth=1
	s_or_b32 exec_lo, exec_lo, s19
.LBB347_1042:                           ;   in Loop: Header=BB347_803 Depth=1
	s_or_b32 exec_lo, exec_lo, s18
	v_cmp_ne_u16_sdwa s4, v13, v14 src0_sel:BYTE_1 src1_sel:DWORD
	s_and_saveexec_b32 s18, s4
	s_cbranch_execz .LBB347_1050
; %bb.1043:                             ;   in Loop: Header=BB347_803 Depth=1
	v_cmp_ne_u16_sdwa s4, v13, v68 src0_sel:BYTE_1 src1_sel:DWORD
	v_bfrev_b32_e32 v17, 1
	s_and_saveexec_b32 s19, s4
	s_cbranch_execz .LBB347_1049
; %bb.1044:                             ;   in Loop: Header=BB347_803 Depth=1
	v_mov_b32_e32 v17, 0xffff
	s_mov_b32 s20, exec_lo
	v_and_b32_sdwa v21, v17, v13 dst_sel:DWORD dst_unused:UNUSED_PAD src0_sel:DWORD src1_sel:BYTE_1
	v_mov_b32_e32 v17, 0x7f800001
	v_and_b32_e32 v18, 0x7f, v21
	v_cmpx_ne_u32_e32 0x7f, v18
	s_cbranch_execz .LBB347_1048
; %bb.1045:                             ;   in Loop: Header=BB347_803 Depth=1
	v_and_b32_e32 v26, 7, v21
	v_mov_b32_e32 v27, v14
	v_lshrrev_b32_e32 v17, 3, v18
	s_mov_b32 s21, exec_lo
	v_cmpx_gt_u32_e32 8, v18
; %bb.1046:                             ;   in Loop: Header=BB347_803 Depth=1
	v_ffbh_u32_e32 v17, v26
	v_min_u32_e32 v17, 32, v17
	v_subrev_nc_u32_e32 v18, 28, v17
	v_sub_nc_u32_e32 v17, 29, v17
	v_lshlrev_b64 v[21:22], v18, v[26:27]
	v_and_b32_e32 v26, 7, v21
; %bb.1047:                             ;   in Loop: Header=BB347_803 Depth=1
	s_or_b32 exec_lo, exec_lo, s21
	v_lshlrev_b32_e32 v13, 16, v13
	v_lshlrev_b32_e32 v18, 20, v26
	v_lshl_add_u32 v17, v17, 23, 0x3c000000
	v_and_b32_e32 v13, 0x80000000, v13
	v_or3_b32 v17, v18, v13, v17
.LBB347_1048:                           ;   in Loop: Header=BB347_803 Depth=1
	s_or_b32 exec_lo, exec_lo, s20
.LBB347_1049:                           ;   in Loop: Header=BB347_803 Depth=1
	s_or_b32 exec_lo, exec_lo, s19
.LBB347_1050:                           ;   in Loop: Header=BB347_803 Depth=1
	s_or_b32 exec_lo, exec_lo, s18
	v_and_b32_sdwa v13, v25, v70 dst_sel:DWORD dst_unused:UNUSED_PAD src0_sel:WORD_1 src1_sel:DWORD
	v_mov_b32_e32 v18, 0
	v_mov_b32_e32 v21, 0
	s_mov_b32 s18, exec_lo
	v_cmpx_ne_u16_e32 0, v13
	s_cbranch_execz .LBB347_1058
; %bb.1051:                             ;   in Loop: Header=BB347_803 Depth=1
	v_bfrev_b32_e32 v21, 1
	s_mov_b32 s19, exec_lo
	v_cmpx_ne_u16_e32 0x80, v13
	s_cbranch_execz .LBB347_1057
; %bb.1052:                             ;   in Loop: Header=BB347_803 Depth=1
	v_bfe_u32 v22, v25, 16, 7
	v_mov_b32_e32 v21, 0x7f800001
	s_mov_b32 s20, exec_lo
	v_cmpx_ne_u32_e32 0x7f, v22
	s_cbranch_execz .LBB347_1056
; %bb.1053:                             ;   in Loop: Header=BB347_803 Depth=1
	v_mov_b32_e32 v13, 7
	v_lshrrev_b32_e32 v21, 3, v22
	s_mov_b32 s21, exec_lo
	v_and_b32_sdwa v13, v25, v13 dst_sel:DWORD dst_unused:UNUSED_PAD src0_sel:WORD_1 src1_sel:DWORD
	v_cmpx_gt_u32_e32 8, v22
; %bb.1054:                             ;   in Loop: Header=BB347_803 Depth=1
	v_ffbh_u32_e32 v21, v13
	v_min_u32_e32 v21, 32, v21
	v_subrev_nc_u32_e32 v22, 28, v21
	v_sub_nc_u32_e32 v21, 29, v21
	v_lshlrev_b64 v[22:23], v22, v[13:14]
	v_and_b32_e32 v13, 7, v22
; %bb.1055:                             ;   in Loop: Header=BB347_803 Depth=1
	s_or_b32 exec_lo, exec_lo, s21
	v_mov_b32_e32 v22, 24
	v_lshlrev_b32_e32 v13, 20, v13
	v_lshl_add_u32 v21, v21, 23, 0x3c000000
	v_lshlrev_b32_sdwa v22, v22, v25 dst_sel:DWORD dst_unused:UNUSED_PAD src0_sel:DWORD src1_sel:WORD_1
	v_and_b32_e32 v22, 0x80000000, v22
	v_or3_b32 v21, v13, v22, v21
.LBB347_1056:                           ;   in Loop: Header=BB347_803 Depth=1
	s_or_b32 exec_lo, exec_lo, s20
.LBB347_1057:                           ;   in Loop: Header=BB347_803 Depth=1
	s_or_b32 exec_lo, exec_lo, s19
.LBB347_1058:                           ;   in Loop: Header=BB347_803 Depth=1
	s_or_b32 exec_lo, exec_lo, s18
	s_mov_b32 s18, exec_lo
	v_cmpx_lt_u64_e64 s[6:7], v[24:25]
	s_cbranch_execz .LBB347_1066
; %bb.1059:                             ;   in Loop: Header=BB347_803 Depth=1
	v_cmp_ne_u32_sdwa s4, v25, v68 src0_sel:BYTE_3 src1_sel:DWORD
	v_bfrev_b32_e32 v18, 1
	s_and_saveexec_b32 s19, s4
	s_cbranch_execz .LBB347_1065
; %bb.1060:                             ;   in Loop: Header=BB347_803 Depth=1
	v_bfe_u32 v22, v25, 24, 7
	v_mov_b32_e32 v18, 0x7f800001
	s_mov_b32 s20, exec_lo
	v_cmpx_ne_u32_e32 0x7f, v22
	s_cbranch_execz .LBB347_1064
; %bb.1061:                             ;   in Loop: Header=BB347_803 Depth=1
	v_mov_b32_e32 v13, 7
	v_lshrrev_b32_e32 v18, 3, v22
	s_mov_b32 s21, exec_lo
	v_and_b32_sdwa v13, v25, v13 dst_sel:DWORD dst_unused:UNUSED_PAD src0_sel:BYTE_3 src1_sel:DWORD
	v_cmpx_gt_u32_e32 8, v22
; %bb.1062:                             ;   in Loop: Header=BB347_803 Depth=1
	v_ffbh_u32_e32 v18, v13
	v_min_u32_e32 v18, 32, v18
	v_subrev_nc_u32_e32 v22, 28, v18
	v_sub_nc_u32_e32 v18, 29, v18
	v_lshlrev_b64 v[22:23], v22, v[13:14]
	v_and_b32_e32 v13, 7, v22
; %bb.1063:                             ;   in Loop: Header=BB347_803 Depth=1
	s_or_b32 exec_lo, exec_lo, s21
	v_mov_b32_e32 v22, 24
	v_lshlrev_b32_e32 v13, 20, v13
	v_lshl_add_u32 v18, v18, 23, 0x3c000000
	v_lshlrev_b32_sdwa v22, v22, v25 dst_sel:DWORD dst_unused:UNUSED_PAD src0_sel:DWORD src1_sel:BYTE_3
	v_and_b32_e32 v22, 0x80000000, v22
	v_or3_b32 v18, v13, v22, v18
.LBB347_1064:                           ;   in Loop: Header=BB347_803 Depth=1
	s_or_b32 exec_lo, exec_lo, s20
.LBB347_1065:                           ;   in Loop: Header=BB347_803 Depth=1
	s_or_b32 exec_lo, exec_lo, s19
.LBB347_1066:                           ;   in Loop: Header=BB347_803 Depth=1
	s_or_b32 exec_lo, exec_lo, s18
	v_mul_f32_e32 v13, v45, v17
	v_mul_f32_e32 v16, v45, v16
	;; [unrolled: 1-line block ×5, first 2 shown]
	v_bfe_u32 v17, v13, 16, 1
	v_or_b32_e32 v22, 0x400000, v13
	v_bfe_u32 v23, v16, 16, 1
	v_cmp_u_f32_e64 s4, v13, v13
	v_or_b32_e32 v24, 0x400000, v16
	v_add3_u32 v17, v17, v13, 0x7fff
	v_bfe_u32 v25, v15, 16, 1
	v_add3_u32 v23, v23, v16, 0x7fff
	v_or_b32_e32 v26, 0x400000, v15
	v_bfe_u32 v27, v12, 16, 1
	v_cndmask_b32_e64 v13, v17, v22, s4
	v_cmp_u_f32_e64 s4, v16, v16
	v_add3_u32 v25, v25, v15, 0x7fff
	v_or_b32_e32 v17, 0x400000, v12
	v_mul_f32_e32 v0, v45, v0
	v_lshrrev_b32_e32 v63, 16, v13
	v_cndmask_b32_e64 v16, v23, v24, s4
	v_cmp_u_f32_e64 s4, v15, v15
	v_add3_u32 v13, v27, v12, 0x7fff
	v_lshrrev_b32_e32 v62, 16, v16
	v_cndmask_b32_e64 v15, v25, v26, s4
	v_cmp_u_f32_e64 s4, v12, v12
	v_or_b32_e32 v16, 0x400000, v1
	v_lshrrev_b32_e32 v74, 16, v15
	v_bfe_u32 v15, v1, 16, 1
	v_cndmask_b32_e64 v12, v13, v17, s4
	v_mul_f32_e32 v13, v45, v21
	v_mul_f32_e32 v17, v45, v18
	v_bfe_u32 v18, v0, 16, 1
	v_add3_u32 v15, v15, v1, 0x7fff
	v_cmp_u_f32_e64 s4, v1, v1
	v_bfe_u32 v21, v13, 16, 1
	v_or_b32_e32 v22, 0x400000, v13
	v_or_b32_e32 v23, 0x400000, v17
	v_lshrrev_b32_e32 v75, 16, v12
	v_cndmask_b32_e64 v1, v15, v16, s4
	v_add3_u32 v16, v18, v0, 0x7fff
	v_or_b32_e32 v18, 0x400000, v0
	v_cmp_u_f32_e64 s4, v0, v0
	v_bfe_u32 v15, v17, 16, 1
	v_add3_u32 v21, v21, v13, 0x7fff
	v_lshrrev_b32_e32 v77, 16, v1
	v_cndmask_b32_e64 v0, v16, v18, s4
	v_cmp_u_f32_e64 s4, v13, v13
	v_add3_u32 v15, v15, v17, 0x7fff
	v_lshrrev_b32_e32 v76, 16, v0
	v_cndmask_b32_e64 v13, v21, v22, s4
	v_cmp_u_f32_e64 s4, v17, v17
	v_lshrrev_b32_e32 v72, 16, v13
	v_cndmask_b32_e64 v15, v15, v23, s4
	v_lshrrev_b32_e32 v73, 16, v15
	s_and_saveexec_b32 s18, vcc_lo
	s_cbranch_execz .LBB347_1068
; %bb.1067:                             ;   in Loop: Header=BB347_803 Depth=1
	v_cmp_lt_i32_e64 s4, v46, v32
	v_cndmask_b32_e64 v76, 0, v76, s4
	v_cmp_lt_i32_e64 s4, v61, v32
	v_cndmask_b32_e64 v77, 0, v77, s4
	;; [unrolled: 2-line block ×8, first 2 shown]
.LBB347_1068:                           ;   in Loop: Header=BB347_803 Depth=1
	s_or_b32 exec_lo, exec_lo, s18
	flat_load_dwordx2 v[24:25], v[19:20] offset:1024
	v_mov_b32_e32 v1, 0
	v_mov_b32_e32 v0, 0
	s_waitcnt vmcnt(0) lgkmcnt(0)
	v_cmp_ne_u16_sdwa s4, v24, v14 src0_sel:BYTE_0 src1_sel:DWORD
	s_and_saveexec_b32 s18, s4
	s_cbranch_execz .LBB347_1076
; %bb.1069:                             ;   in Loop: Header=BB347_803 Depth=1
	v_cmp_ne_u16_sdwa s4, v24, v68 src0_sel:BYTE_0 src1_sel:DWORD
	v_bfrev_b32_e32 v0, 1
	s_and_saveexec_b32 s19, s4
	s_cbranch_execz .LBB347_1075
; %bb.1070:                             ;   in Loop: Header=BB347_803 Depth=1
	v_and_b32_e32 v12, 0x7f, v24
	v_mov_b32_e32 v0, 0x7f800001
	s_mov_b32 s20, exec_lo
	v_cmpx_ne_u32_e32 0x7f, v12
	s_cbranch_execz .LBB347_1074
; %bb.1071:                             ;   in Loop: Header=BB347_803 Depth=1
	v_mov_b32_e32 v27, v25
	v_lshrrev_b32_e32 v0, 3, v12
	v_mov_b32_e32 v26, v24
	s_mov_b32 s21, exec_lo
	v_cmpx_gt_u32_e32 8, v12
; %bb.1072:                             ;   in Loop: Header=BB347_803 Depth=1
	v_and_b32_e32 v0, 7, v24
	v_ffbh_u32_e32 v0, v0
	v_min_u32_e32 v0, 32, v0
	v_subrev_nc_u32_e32 v12, 28, v0
	v_sub_nc_u32_e32 v0, 29, v0
	v_lshlrev_b64 v[26:27], v12, v[24:25]
; %bb.1073:                             ;   in Loop: Header=BB347_803 Depth=1
	s_or_b32 exec_lo, exec_lo, s21
	v_lshlrev_b32_e32 v12, 20, v26
	v_lshlrev_b32_e32 v13, 24, v24
	v_lshl_add_u32 v0, v0, 23, 0x3c000000
	v_and_b32_e32 v12, 0x700000, v12
	v_and_b32_e32 v13, 0x80000000, v13
	v_or3_b32 v0, v12, v13, v0
.LBB347_1074:                           ;   in Loop: Header=BB347_803 Depth=1
	s_or_b32 exec_lo, exec_lo, s20
.LBB347_1075:                           ;   in Loop: Header=BB347_803 Depth=1
	s_or_b32 exec_lo, exec_lo, s19
.LBB347_1076:                           ;   in Loop: Header=BB347_803 Depth=1
	s_or_b32 exec_lo, exec_lo, s18
	v_cmp_ne_u16_sdwa s4, v24, v14 src0_sel:BYTE_1 src1_sel:DWORD
	s_and_saveexec_b32 s18, s4
	s_cbranch_execz .LBB347_1084
; %bb.1077:                             ;   in Loop: Header=BB347_803 Depth=1
	v_cmp_ne_u16_sdwa s4, v24, v68 src0_sel:BYTE_1 src1_sel:DWORD
	v_bfrev_b32_e32 v1, 1
	s_and_saveexec_b32 s19, s4
	s_cbranch_execz .LBB347_1083
; %bb.1078:                             ;   in Loop: Header=BB347_803 Depth=1
	v_mov_b32_e32 v1, 0xffff
	s_mov_b32 s20, exec_lo
	v_and_b32_sdwa v13, v1, v24 dst_sel:DWORD dst_unused:UNUSED_PAD src0_sel:DWORD src1_sel:BYTE_1
	v_mov_b32_e32 v1, 0x7f800001
	v_and_b32_e32 v12, 0x7f, v13
	v_cmpx_ne_u32_e32 0x7f, v12
	s_cbranch_execz .LBB347_1082
; %bb.1079:                             ;   in Loop: Header=BB347_803 Depth=1
	v_and_b32_e32 v13, 7, v13
	v_lshrrev_b32_e32 v1, 3, v12
	s_mov_b32 s21, exec_lo
	v_cmpx_gt_u32_e32 8, v12
; %bb.1080:                             ;   in Loop: Header=BB347_803 Depth=1
	v_ffbh_u32_e32 v1, v13
	v_min_u32_e32 v1, 32, v1
	v_subrev_nc_u32_e32 v12, 28, v1
	v_sub_nc_u32_e32 v1, 29, v1
	v_lshlrev_b64 v[12:13], v12, v[13:14]
	v_and_b32_e32 v13, 7, v12
; %bb.1081:                             ;   in Loop: Header=BB347_803 Depth=1
	s_or_b32 exec_lo, exec_lo, s21
	v_lshlrev_b32_e32 v12, 16, v24
	v_lshlrev_b32_e32 v13, 20, v13
	v_lshl_add_u32 v1, v1, 23, 0x3c000000
	v_and_b32_e32 v12, 0x80000000, v12
	v_or3_b32 v1, v13, v12, v1
.LBB347_1082:                           ;   in Loop: Header=BB347_803 Depth=1
	s_or_b32 exec_lo, exec_lo, s20
.LBB347_1083:                           ;   in Loop: Header=BB347_803 Depth=1
	s_or_b32 exec_lo, exec_lo, s19
.LBB347_1084:                           ;   in Loop: Header=BB347_803 Depth=1
	s_or_b32 exec_lo, exec_lo, s18
	v_and_b32_sdwa v13, v24, v70 dst_sel:DWORD dst_unused:UNUSED_PAD src0_sel:WORD_1 src1_sel:DWORD
	v_mov_b32_e32 v15, 0
	v_mov_b32_e32 v12, 0
	s_mov_b32 s18, exec_lo
	v_cmpx_ne_u16_e32 0, v13
	s_cbranch_execz .LBB347_1092
; %bb.1085:                             ;   in Loop: Header=BB347_803 Depth=1
	v_bfrev_b32_e32 v12, 1
	s_mov_b32 s19, exec_lo
	v_cmpx_ne_u16_e32 0x80, v13
	s_cbranch_execz .LBB347_1091
; %bb.1086:                             ;   in Loop: Header=BB347_803 Depth=1
	v_bfe_u32 v16, v24, 16, 7
	v_mov_b32_e32 v12, 0x7f800001
	s_mov_b32 s20, exec_lo
	v_cmpx_ne_u32_e32 0x7f, v16
	s_cbranch_execz .LBB347_1090
; %bb.1087:                             ;   in Loop: Header=BB347_803 Depth=1
	v_mov_b32_e32 v12, 7
	s_mov_b32 s21, exec_lo
	v_and_b32_sdwa v13, v24, v12 dst_sel:DWORD dst_unused:UNUSED_PAD src0_sel:WORD_1 src1_sel:DWORD
	v_lshrrev_b32_e32 v12, 3, v16
	v_cmpx_gt_u32_e32 8, v16
; %bb.1088:                             ;   in Loop: Header=BB347_803 Depth=1
	v_ffbh_u32_e32 v12, v13
	v_min_u32_e32 v12, 32, v12
	v_subrev_nc_u32_e32 v16, 28, v12
	v_sub_nc_u32_e32 v12, 29, v12
	v_lshlrev_b64 v[16:17], v16, v[13:14]
	v_and_b32_e32 v13, 7, v16
; %bb.1089:                             ;   in Loop: Header=BB347_803 Depth=1
	s_or_b32 exec_lo, exec_lo, s21
	v_mov_b32_e32 v16, 24
	v_lshlrev_b32_e32 v13, 20, v13
	v_lshl_add_u32 v12, v12, 23, 0x3c000000
	v_lshlrev_b32_sdwa v16, v16, v24 dst_sel:DWORD dst_unused:UNUSED_PAD src0_sel:DWORD src1_sel:WORD_1
	v_and_b32_e32 v16, 0x80000000, v16
	v_or3_b32 v12, v13, v16, v12
.LBB347_1090:                           ;   in Loop: Header=BB347_803 Depth=1
	s_or_b32 exec_lo, exec_lo, s20
.LBB347_1091:                           ;   in Loop: Header=BB347_803 Depth=1
	s_or_b32 exec_lo, exec_lo, s19
.LBB347_1092:                           ;   in Loop: Header=BB347_803 Depth=1
	s_or_b32 exec_lo, exec_lo, s18
	s_mov_b32 s18, exec_lo
	v_cmpx_lt_u32_e32 0xffffff, v24
	s_cbranch_execz .LBB347_1100
; %bb.1093:                             ;   in Loop: Header=BB347_803 Depth=1
	v_cmp_ne_u32_sdwa s4, v24, v68 src0_sel:BYTE_3 src1_sel:DWORD
	v_bfrev_b32_e32 v15, 1
	s_and_saveexec_b32 s19, s4
	s_cbranch_execz .LBB347_1099
; %bb.1094:                             ;   in Loop: Header=BB347_803 Depth=1
	v_bfe_u32 v16, v24, 24, 7
	v_mov_b32_e32 v15, 0x7f800001
	s_mov_b32 s20, exec_lo
	v_cmpx_ne_u32_e32 0x7f, v16
	s_cbranch_execz .LBB347_1098
; %bb.1095:                             ;   in Loop: Header=BB347_803 Depth=1
	v_mov_b32_e32 v13, 7
	v_lshrrev_b32_e32 v15, 3, v16
	s_mov_b32 s21, exec_lo
	v_and_b32_sdwa v13, v24, v13 dst_sel:DWORD dst_unused:UNUSED_PAD src0_sel:BYTE_3 src1_sel:DWORD
	v_cmpx_gt_u32_e32 8, v16
; %bb.1096:                             ;   in Loop: Header=BB347_803 Depth=1
	v_ffbh_u32_e32 v15, v13
	v_min_u32_e32 v15, 32, v15
	v_subrev_nc_u32_e32 v16, 28, v15
	v_sub_nc_u32_e32 v15, 29, v15
	v_lshlrev_b64 v[16:17], v16, v[13:14]
	v_and_b32_e32 v13, 7, v16
; %bb.1097:                             ;   in Loop: Header=BB347_803 Depth=1
	s_or_b32 exec_lo, exec_lo, s21
	v_mov_b32_e32 v16, 24
	v_lshlrev_b32_e32 v13, 20, v13
	v_lshl_add_u32 v15, v15, 23, 0x3c000000
	v_lshlrev_b32_sdwa v16, v16, v24 dst_sel:DWORD dst_unused:UNUSED_PAD src0_sel:DWORD src1_sel:BYTE_3
	v_and_b32_e32 v16, 0x80000000, v16
	v_or3_b32 v15, v13, v16, v15
.LBB347_1098:                           ;   in Loop: Header=BB347_803 Depth=1
	s_or_b32 exec_lo, exec_lo, s20
.LBB347_1099:                           ;   in Loop: Header=BB347_803 Depth=1
	s_or_b32 exec_lo, exec_lo, s19
.LBB347_1100:                           ;   in Loop: Header=BB347_803 Depth=1
	s_or_b32 exec_lo, exec_lo, s18
	v_mov_b32_e32 v13, v25
	v_cmp_ne_u16_sdwa s4, v25, v14 src0_sel:BYTE_0 src1_sel:DWORD
	v_mov_b32_e32 v17, 0
	v_mov_b32_e32 v16, 0
	s_and_saveexec_b32 s18, s4
	s_cbranch_execz .LBB347_1108
; %bb.1101:                             ;   in Loop: Header=BB347_803 Depth=1
	v_cmp_ne_u16_sdwa s4, v25, v68 src0_sel:BYTE_0 src1_sel:DWORD
	v_bfrev_b32_e32 v16, 1
	s_and_saveexec_b32 s19, s4
	s_cbranch_execz .LBB347_1107
; %bb.1102:                             ;   in Loop: Header=BB347_803 Depth=1
	v_and_b32_e32 v18, 0x7f, v25
	v_mov_b32_e32 v16, 0x7f800001
	s_mov_b32 s20, exec_lo
	v_cmpx_ne_u32_e32 0x7f, v18
	s_cbranch_execz .LBB347_1106
; %bb.1103:                             ;   in Loop: Header=BB347_803 Depth=1
	v_mov_b32_e32 v27, v14
	v_lshrrev_b32_e32 v16, 3, v18
	v_mov_b32_e32 v26, v13
	s_mov_b32 s21, exec_lo
	v_cmpx_gt_u32_e32 8, v18
; %bb.1104:                             ;   in Loop: Header=BB347_803 Depth=1
	v_and_b32_e32 v16, 7, v25
	v_ffbh_u32_e32 v16, v16
	v_min_u32_e32 v16, 32, v16
	v_subrev_nc_u32_e32 v18, 28, v16
	v_sub_nc_u32_e32 v16, 29, v16
	v_lshlrev_b64 v[26:27], v18, v[13:14]
; %bb.1105:                             ;   in Loop: Header=BB347_803 Depth=1
	s_or_b32 exec_lo, exec_lo, s21
	v_lshlrev_b32_e32 v18, 20, v26
	v_lshlrev_b32_e32 v21, 24, v13
	v_lshl_add_u32 v16, v16, 23, 0x3c000000
	v_and_b32_e32 v18, 0x700000, v18
	v_and_b32_e32 v21, 0x80000000, v21
	v_or3_b32 v16, v18, v21, v16
.LBB347_1106:                           ;   in Loop: Header=BB347_803 Depth=1
	s_or_b32 exec_lo, exec_lo, s20
.LBB347_1107:                           ;   in Loop: Header=BB347_803 Depth=1
	s_or_b32 exec_lo, exec_lo, s19
.LBB347_1108:                           ;   in Loop: Header=BB347_803 Depth=1
	s_or_b32 exec_lo, exec_lo, s18
	v_cmp_ne_u16_sdwa s4, v13, v14 src0_sel:BYTE_1 src1_sel:DWORD
	s_and_saveexec_b32 s18, s4
	s_cbranch_execz .LBB347_1116
; %bb.1109:                             ;   in Loop: Header=BB347_803 Depth=1
	v_cmp_ne_u16_sdwa s4, v13, v68 src0_sel:BYTE_1 src1_sel:DWORD
	v_bfrev_b32_e32 v17, 1
	s_and_saveexec_b32 s19, s4
	s_cbranch_execz .LBB347_1115
; %bb.1110:                             ;   in Loop: Header=BB347_803 Depth=1
	v_mov_b32_e32 v17, 0xffff
	s_mov_b32 s20, exec_lo
	v_and_b32_sdwa v21, v17, v13 dst_sel:DWORD dst_unused:UNUSED_PAD src0_sel:DWORD src1_sel:BYTE_1
	v_mov_b32_e32 v17, 0x7f800001
	v_and_b32_e32 v18, 0x7f, v21
	v_cmpx_ne_u32_e32 0x7f, v18
	s_cbranch_execz .LBB347_1114
; %bb.1111:                             ;   in Loop: Header=BB347_803 Depth=1
	v_and_b32_e32 v26, 7, v21
	v_mov_b32_e32 v27, v14
	v_lshrrev_b32_e32 v17, 3, v18
	s_mov_b32 s21, exec_lo
	v_cmpx_gt_u32_e32 8, v18
; %bb.1112:                             ;   in Loop: Header=BB347_803 Depth=1
	v_ffbh_u32_e32 v17, v26
	v_min_u32_e32 v17, 32, v17
	v_subrev_nc_u32_e32 v18, 28, v17
	v_sub_nc_u32_e32 v17, 29, v17
	v_lshlrev_b64 v[21:22], v18, v[26:27]
	v_and_b32_e32 v26, 7, v21
; %bb.1113:                             ;   in Loop: Header=BB347_803 Depth=1
	s_or_b32 exec_lo, exec_lo, s21
	v_lshlrev_b32_e32 v13, 16, v13
	v_lshlrev_b32_e32 v18, 20, v26
	v_lshl_add_u32 v17, v17, 23, 0x3c000000
	v_and_b32_e32 v13, 0x80000000, v13
	v_or3_b32 v17, v18, v13, v17
.LBB347_1114:                           ;   in Loop: Header=BB347_803 Depth=1
	s_or_b32 exec_lo, exec_lo, s20
.LBB347_1115:                           ;   in Loop: Header=BB347_803 Depth=1
	s_or_b32 exec_lo, exec_lo, s19
.LBB347_1116:                           ;   in Loop: Header=BB347_803 Depth=1
	s_or_b32 exec_lo, exec_lo, s18
	v_and_b32_sdwa v13, v25, v70 dst_sel:DWORD dst_unused:UNUSED_PAD src0_sel:WORD_1 src1_sel:DWORD
	v_mov_b32_e32 v18, 0
	v_mov_b32_e32 v21, 0
	s_mov_b32 s18, exec_lo
	v_cmpx_ne_u16_e32 0, v13
	s_cbranch_execz .LBB347_1124
; %bb.1117:                             ;   in Loop: Header=BB347_803 Depth=1
	v_bfrev_b32_e32 v21, 1
	s_mov_b32 s19, exec_lo
	v_cmpx_ne_u16_e32 0x80, v13
	s_cbranch_execz .LBB347_1123
; %bb.1118:                             ;   in Loop: Header=BB347_803 Depth=1
	v_bfe_u32 v22, v25, 16, 7
	v_mov_b32_e32 v21, 0x7f800001
	s_mov_b32 s20, exec_lo
	v_cmpx_ne_u32_e32 0x7f, v22
	s_cbranch_execz .LBB347_1122
; %bb.1119:                             ;   in Loop: Header=BB347_803 Depth=1
	v_mov_b32_e32 v13, 7
	v_lshrrev_b32_e32 v21, 3, v22
	s_mov_b32 s21, exec_lo
	v_and_b32_sdwa v13, v25, v13 dst_sel:DWORD dst_unused:UNUSED_PAD src0_sel:WORD_1 src1_sel:DWORD
	v_mov_b32_e32 v27, v14
	v_mov_b32_e32 v26, v13
	v_cmpx_gt_u32_e32 8, v22
; %bb.1120:                             ;   in Loop: Header=BB347_803 Depth=1
	v_ffbh_u32_e32 v21, v13
	v_min_u32_e32 v21, 32, v21
	v_subrev_nc_u32_e32 v22, 28, v21
	v_sub_nc_u32_e32 v21, 29, v21
	v_lshlrev_b64 v[22:23], v22, v[13:14]
	v_and_b32_e32 v26, 7, v22
; %bb.1121:                             ;   in Loop: Header=BB347_803 Depth=1
	s_or_b32 exec_lo, exec_lo, s21
	v_mov_b32_e32 v13, 24
	v_lshlrev_b32_e32 v22, 20, v26
	v_lshl_add_u32 v21, v21, 23, 0x3c000000
	v_lshlrev_b32_sdwa v13, v13, v25 dst_sel:DWORD dst_unused:UNUSED_PAD src0_sel:DWORD src1_sel:WORD_1
	v_and_b32_e32 v13, 0x80000000, v13
	v_or3_b32 v21, v22, v13, v21
.LBB347_1122:                           ;   in Loop: Header=BB347_803 Depth=1
	s_or_b32 exec_lo, exec_lo, s20
.LBB347_1123:                           ;   in Loop: Header=BB347_803 Depth=1
	s_or_b32 exec_lo, exec_lo, s19
.LBB347_1124:                           ;   in Loop: Header=BB347_803 Depth=1
	s_or_b32 exec_lo, exec_lo, s18
	s_mov_b32 s18, exec_lo
	v_cmpx_lt_u64_e64 s[6:7], v[24:25]
	s_cbranch_execz .LBB347_1132
; %bb.1125:                             ;   in Loop: Header=BB347_803 Depth=1
	v_cmp_ne_u32_sdwa s4, v25, v68 src0_sel:BYTE_3 src1_sel:DWORD
	v_bfrev_b32_e32 v18, 1
	s_and_saveexec_b32 s19, s4
	s_cbranch_execz .LBB347_1131
; %bb.1126:                             ;   in Loop: Header=BB347_803 Depth=1
	v_bfe_u32 v22, v25, 24, 7
	v_mov_b32_e32 v18, 0x7f800001
	s_mov_b32 s20, exec_lo
	v_cmpx_ne_u32_e32 0x7f, v22
	s_cbranch_execz .LBB347_1130
; %bb.1127:                             ;   in Loop: Header=BB347_803 Depth=1
	v_mov_b32_e32 v13, 7
	v_lshrrev_b32_e32 v18, 3, v22
	s_mov_b32 s21, exec_lo
	v_and_b32_sdwa v13, v25, v13 dst_sel:DWORD dst_unused:UNUSED_PAD src0_sel:BYTE_3 src1_sel:DWORD
	v_mov_b32_e32 v27, v14
	v_mov_b32_e32 v26, v13
	v_cmpx_gt_u32_e32 8, v22
; %bb.1128:                             ;   in Loop: Header=BB347_803 Depth=1
	v_ffbh_u32_e32 v18, v13
	v_min_u32_e32 v18, 32, v18
	v_subrev_nc_u32_e32 v22, 28, v18
	v_sub_nc_u32_e32 v18, 29, v18
	v_lshlrev_b64 v[22:23], v22, v[13:14]
	v_and_b32_e32 v26, 7, v22
; %bb.1129:                             ;   in Loop: Header=BB347_803 Depth=1
	s_or_b32 exec_lo, exec_lo, s21
	v_mov_b32_e32 v13, 24
	v_lshlrev_b32_e32 v22, 20, v26
	v_lshl_add_u32 v18, v18, 23, 0x3c000000
	v_lshlrev_b32_sdwa v13, v13, v25 dst_sel:DWORD dst_unused:UNUSED_PAD src0_sel:DWORD src1_sel:BYTE_3
	v_and_b32_e32 v13, 0x80000000, v13
	v_or3_b32 v18, v22, v13, v18
.LBB347_1130:                           ;   in Loop: Header=BB347_803 Depth=1
	s_or_b32 exec_lo, exec_lo, s20
.LBB347_1131:                           ;   in Loop: Header=BB347_803 Depth=1
	s_or_b32 exec_lo, exec_lo, s19
.LBB347_1132:                           ;   in Loop: Header=BB347_803 Depth=1
	s_or_b32 exec_lo, exec_lo, s18
	v_mul_f32_e32 v13, v45, v17
	v_mul_f32_e32 v16, v45, v16
	;; [unrolled: 1-line block ×5, first 2 shown]
	v_bfe_u32 v17, v13, 16, 1
	v_or_b32_e32 v22, 0x400000, v13
	v_bfe_u32 v23, v16, 16, 1
	v_cmp_u_f32_e64 s4, v13, v13
	v_or_b32_e32 v24, 0x400000, v16
	v_add3_u32 v17, v17, v13, 0x7fff
	v_bfe_u32 v25, v15, 16, 1
	v_add3_u32 v23, v23, v16, 0x7fff
	v_or_b32_e32 v26, 0x400000, v15
	v_bfe_u32 v27, v12, 16, 1
	v_cndmask_b32_e64 v13, v17, v22, s4
	v_cmp_u_f32_e64 s4, v16, v16
	v_add3_u32 v25, v25, v15, 0x7fff
	v_or_b32_e32 v17, 0x400000, v12
	v_mul_f32_e32 v0, v45, v0
	v_lshrrev_b32_e32 v79, 16, v13
	v_cndmask_b32_e64 v16, v23, v24, s4
	v_cmp_u_f32_e64 s4, v15, v15
	v_add3_u32 v13, v27, v12, 0x7fff
	v_lshrrev_b32_e32 v78, 16, v16
	v_cndmask_b32_e64 v15, v25, v26, s4
	v_cmp_u_f32_e64 s4, v12, v12
	v_or_b32_e32 v16, 0x400000, v1
	v_lshrrev_b32_e32 v90, 16, v15
	v_bfe_u32 v15, v1, 16, 1
	v_cndmask_b32_e64 v12, v13, v17, s4
	v_mul_f32_e32 v13, v45, v21
	v_mul_f32_e32 v17, v45, v18
	v_bfe_u32 v18, v0, 16, 1
	v_add3_u32 v15, v15, v1, 0x7fff
	v_cmp_u_f32_e64 s4, v1, v1
	v_bfe_u32 v21, v13, 16, 1
	v_or_b32_e32 v22, 0x400000, v13
	v_or_b32_e32 v23, 0x400000, v17
	v_lshrrev_b32_e32 v91, 16, v12
	v_cndmask_b32_e64 v1, v15, v16, s4
	v_add3_u32 v16, v18, v0, 0x7fff
	v_or_b32_e32 v18, 0x400000, v0
	v_cmp_u_f32_e64 s4, v0, v0
	v_bfe_u32 v15, v17, 16, 1
	v_add3_u32 v21, v21, v13, 0x7fff
	v_lshrrev_b32_e32 v93, 16, v1
	v_cndmask_b32_e64 v0, v16, v18, s4
	v_cmp_u_f32_e64 s4, v13, v13
	v_add3_u32 v15, v15, v17, 0x7fff
	v_lshrrev_b32_e32 v92, 16, v0
	v_cndmask_b32_e64 v13, v21, v22, s4
	v_cmp_u_f32_e64 s4, v17, v17
	v_lshrrev_b32_e32 v88, 16, v13
	v_cndmask_b32_e64 v15, v15, v23, s4
	v_lshrrev_b32_e32 v89, 16, v15
	s_and_saveexec_b32 s18, vcc_lo
	s_cbranch_execz .LBB347_1134
; %bb.1133:                             ;   in Loop: Header=BB347_803 Depth=1
	v_cmp_lt_i32_e64 s4, v46, v32
	v_cndmask_b32_e64 v92, 0, v92, s4
	v_cmp_lt_i32_e64 s4, v61, v32
	v_cndmask_b32_e64 v93, 0, v93, s4
	;; [unrolled: 2-line block ×8, first 2 shown]
.LBB347_1134:                           ;   in Loop: Header=BB347_803 Depth=1
	s_or_b32 exec_lo, exec_lo, s18
	flat_load_dwordx2 v[24:25], v[19:20] offset:1280
	v_mov_b32_e32 v0, 0
	v_mov_b32_e32 v12, 0
	s_waitcnt vmcnt(0) lgkmcnt(0)
	v_cmp_ne_u16_sdwa s4, v24, v14 src0_sel:BYTE_0 src1_sel:DWORD
	s_and_saveexec_b32 s18, s4
	s_cbranch_execz .LBB347_1142
; %bb.1135:                             ;   in Loop: Header=BB347_803 Depth=1
	v_cmp_ne_u16_sdwa s4, v24, v68 src0_sel:BYTE_0 src1_sel:DWORD
	v_bfrev_b32_e32 v12, 1
	s_and_saveexec_b32 s19, s4
	s_cbranch_execz .LBB347_1141
; %bb.1136:                             ;   in Loop: Header=BB347_803 Depth=1
	v_and_b32_e32 v13, 0x7f, v24
	v_mov_b32_e32 v12, 0x7f800001
	s_mov_b32 s20, exec_lo
	v_cmpx_ne_u32_e32 0x7f, v13
	s_cbranch_execz .LBB347_1140
; %bb.1137:                             ;   in Loop: Header=BB347_803 Depth=1
	v_mov_b32_e32 v27, v25
	v_lshrrev_b32_e32 v1, 3, v13
	v_mov_b32_e32 v26, v24
	s_mov_b32 s21, exec_lo
	v_cmpx_gt_u32_e32 8, v13
; %bb.1138:                             ;   in Loop: Header=BB347_803 Depth=1
	v_and_b32_e32 v1, 7, v24
	v_ffbh_u32_e32 v1, v1
	v_min_u32_e32 v1, 32, v1
	v_subrev_nc_u32_e32 v12, 28, v1
	v_sub_nc_u32_e32 v1, 29, v1
	v_lshlrev_b64 v[26:27], v12, v[24:25]
; %bb.1139:                             ;   in Loop: Header=BB347_803 Depth=1
	s_or_b32 exec_lo, exec_lo, s21
	v_lshlrev_b32_e32 v12, 20, v26
	v_lshlrev_b32_e32 v13, 24, v24
	v_lshl_add_u32 v1, v1, 23, 0x3c000000
	v_and_b32_e32 v12, 0x700000, v12
	v_and_b32_e32 v13, 0x80000000, v13
	v_or3_b32 v12, v12, v13, v1
.LBB347_1140:                           ;   in Loop: Header=BB347_803 Depth=1
	s_or_b32 exec_lo, exec_lo, s20
.LBB347_1141:                           ;   in Loop: Header=BB347_803 Depth=1
	s_or_b32 exec_lo, exec_lo, s19
.LBB347_1142:                           ;   in Loop: Header=BB347_803 Depth=1
	s_or_b32 exec_lo, exec_lo, s18
	v_cmp_ne_u16_sdwa s4, v24, v14 src0_sel:BYTE_1 src1_sel:DWORD
	s_and_saveexec_b32 s18, s4
	s_cbranch_execz .LBB347_1150
; %bb.1143:                             ;   in Loop: Header=BB347_803 Depth=1
	v_cmp_ne_u16_sdwa s4, v24, v68 src0_sel:BYTE_1 src1_sel:DWORD
	v_bfrev_b32_e32 v0, 1
	s_and_saveexec_b32 s19, s4
	s_cbranch_execz .LBB347_1149
; %bb.1144:                             ;   in Loop: Header=BB347_803 Depth=1
	v_mov_b32_e32 v0, 0xffff
	s_mov_b32 s20, exec_lo
	v_and_b32_sdwa v13, v0, v24 dst_sel:DWORD dst_unused:UNUSED_PAD src0_sel:DWORD src1_sel:BYTE_1
	v_mov_b32_e32 v0, 0x7f800001
	v_and_b32_e32 v1, 0x7f, v13
	v_cmpx_ne_u32_e32 0x7f, v1
	s_cbranch_execz .LBB347_1148
; %bb.1145:                             ;   in Loop: Header=BB347_803 Depth=1
	v_and_b32_e32 v13, 7, v13
	v_mov_b32_e32 v27, v14
	v_lshrrev_b32_e32 v0, 3, v1
	s_mov_b32 s21, exec_lo
	v_mov_b32_e32 v26, v13
	v_cmpx_gt_u32_e32 8, v1
; %bb.1146:                             ;   in Loop: Header=BB347_803 Depth=1
	v_ffbh_u32_e32 v0, v13
	v_min_u32_e32 v0, 32, v0
	v_subrev_nc_u32_e32 v1, 28, v0
	v_sub_nc_u32_e32 v0, 29, v0
	v_lshlrev_b64 v[15:16], v1, v[13:14]
	v_and_b32_e32 v26, 7, v15
; %bb.1147:                             ;   in Loop: Header=BB347_803 Depth=1
	s_or_b32 exec_lo, exec_lo, s21
	v_lshlrev_b32_e32 v1, 16, v24
	v_lshlrev_b32_e32 v13, 20, v26
	v_lshl_add_u32 v0, v0, 23, 0x3c000000
	v_and_b32_e32 v1, 0x80000000, v1
	v_or3_b32 v0, v13, v1, v0
.LBB347_1148:                           ;   in Loop: Header=BB347_803 Depth=1
	s_or_b32 exec_lo, exec_lo, s20
.LBB347_1149:                           ;   in Loop: Header=BB347_803 Depth=1
	s_or_b32 exec_lo, exec_lo, s19
.LBB347_1150:                           ;   in Loop: Header=BB347_803 Depth=1
	s_or_b32 exec_lo, exec_lo, s18
	v_and_b32_sdwa v13, v24, v70 dst_sel:DWORD dst_unused:UNUSED_PAD src0_sel:WORD_1 src1_sel:DWORD
	v_mov_b32_e32 v15, 0
	v_mov_b32_e32 v1, 0
	s_mov_b32 s18, exec_lo
	v_cmpx_ne_u16_e32 0, v13
	s_cbranch_execz .LBB347_1158
; %bb.1151:                             ;   in Loop: Header=BB347_803 Depth=1
	v_bfrev_b32_e32 v1, 1
	s_mov_b32 s19, exec_lo
	v_cmpx_ne_u16_e32 0x80, v13
	s_cbranch_execz .LBB347_1157
; %bb.1152:                             ;   in Loop: Header=BB347_803 Depth=1
	v_bfe_u32 v16, v24, 16, 7
	v_mov_b32_e32 v1, 0x7f800001
	s_mov_b32 s20, exec_lo
	v_cmpx_ne_u32_e32 0x7f, v16
	s_cbranch_execz .LBB347_1156
; %bb.1153:                             ;   in Loop: Header=BB347_803 Depth=1
	v_mov_b32_e32 v1, 7
	s_mov_b32 s21, exec_lo
	v_and_b32_sdwa v13, v24, v1 dst_sel:DWORD dst_unused:UNUSED_PAD src0_sel:WORD_1 src1_sel:DWORD
	v_mov_b32_e32 v27, v14
	v_lshrrev_b32_e32 v1, 3, v16
	v_mov_b32_e32 v26, v13
	v_cmpx_gt_u32_e32 8, v16
; %bb.1154:                             ;   in Loop: Header=BB347_803 Depth=1
	v_ffbh_u32_e32 v1, v13
	v_min_u32_e32 v1, 32, v1
	v_subrev_nc_u32_e32 v16, 28, v1
	v_sub_nc_u32_e32 v1, 29, v1
	v_lshlrev_b64 v[16:17], v16, v[13:14]
	v_and_b32_e32 v26, 7, v16
; %bb.1155:                             ;   in Loop: Header=BB347_803 Depth=1
	s_or_b32 exec_lo, exec_lo, s21
	v_mov_b32_e32 v13, 24
	v_lshlrev_b32_e32 v16, 20, v26
	v_lshl_add_u32 v1, v1, 23, 0x3c000000
	v_lshlrev_b32_sdwa v13, v13, v24 dst_sel:DWORD dst_unused:UNUSED_PAD src0_sel:DWORD src1_sel:WORD_1
	v_and_b32_e32 v13, 0x80000000, v13
	v_or3_b32 v1, v16, v13, v1
.LBB347_1156:                           ;   in Loop: Header=BB347_803 Depth=1
	s_or_b32 exec_lo, exec_lo, s20
.LBB347_1157:                           ;   in Loop: Header=BB347_803 Depth=1
	s_or_b32 exec_lo, exec_lo, s19
.LBB347_1158:                           ;   in Loop: Header=BB347_803 Depth=1
	s_or_b32 exec_lo, exec_lo, s18
	s_mov_b32 s18, exec_lo
	v_cmpx_lt_u32_e32 0xffffff, v24
	s_cbranch_execz .LBB347_1166
; %bb.1159:                             ;   in Loop: Header=BB347_803 Depth=1
	v_cmp_ne_u32_sdwa s4, v24, v68 src0_sel:BYTE_3 src1_sel:DWORD
	v_bfrev_b32_e32 v15, 1
	s_and_saveexec_b32 s19, s4
	s_cbranch_execz .LBB347_1165
; %bb.1160:                             ;   in Loop: Header=BB347_803 Depth=1
	v_bfe_u32 v16, v24, 24, 7
	v_mov_b32_e32 v15, 0x7f800001
	s_mov_b32 s20, exec_lo
	v_cmpx_ne_u32_e32 0x7f, v16
	s_cbranch_execz .LBB347_1164
; %bb.1161:                             ;   in Loop: Header=BB347_803 Depth=1
	v_mov_b32_e32 v13, 7
	v_lshrrev_b32_e32 v15, 3, v16
	s_mov_b32 s21, exec_lo
	v_and_b32_sdwa v13, v24, v13 dst_sel:DWORD dst_unused:UNUSED_PAD src0_sel:BYTE_3 src1_sel:DWORD
	v_mov_b32_e32 v27, v14
	v_mov_b32_e32 v26, v13
	v_cmpx_gt_u32_e32 8, v16
; %bb.1162:                             ;   in Loop: Header=BB347_803 Depth=1
	v_ffbh_u32_e32 v15, v13
	v_min_u32_e32 v15, 32, v15
	v_subrev_nc_u32_e32 v16, 28, v15
	v_sub_nc_u32_e32 v15, 29, v15
	v_lshlrev_b64 v[16:17], v16, v[13:14]
	v_and_b32_e32 v26, 7, v16
; %bb.1163:                             ;   in Loop: Header=BB347_803 Depth=1
	s_or_b32 exec_lo, exec_lo, s21
	v_mov_b32_e32 v13, 24
	v_lshlrev_b32_e32 v16, 20, v26
	v_lshl_add_u32 v15, v15, 23, 0x3c000000
	v_lshlrev_b32_sdwa v13, v13, v24 dst_sel:DWORD dst_unused:UNUSED_PAD src0_sel:DWORD src1_sel:BYTE_3
	v_and_b32_e32 v13, 0x80000000, v13
	v_or3_b32 v15, v16, v13, v15
.LBB347_1164:                           ;   in Loop: Header=BB347_803 Depth=1
	s_or_b32 exec_lo, exec_lo, s20
.LBB347_1165:                           ;   in Loop: Header=BB347_803 Depth=1
	s_or_b32 exec_lo, exec_lo, s19
.LBB347_1166:                           ;   in Loop: Header=BB347_803 Depth=1
	s_or_b32 exec_lo, exec_lo, s18
	v_mov_b32_e32 v13, v25
	v_cmp_ne_u16_sdwa s4, v25, v14 src0_sel:BYTE_0 src1_sel:DWORD
	v_mov_b32_e32 v17, 0
	v_mov_b32_e32 v16, 0
	s_and_saveexec_b32 s18, s4
	s_cbranch_execz .LBB347_1174
; %bb.1167:                             ;   in Loop: Header=BB347_803 Depth=1
	v_cmp_ne_u16_sdwa s4, v25, v68 src0_sel:BYTE_0 src1_sel:DWORD
	v_bfrev_b32_e32 v16, 1
	s_and_saveexec_b32 s19, s4
	s_cbranch_execz .LBB347_1173
; %bb.1168:                             ;   in Loop: Header=BB347_803 Depth=1
	v_and_b32_e32 v18, 0x7f, v25
	v_mov_b32_e32 v16, 0x7f800001
	s_mov_b32 s20, exec_lo
	v_cmpx_ne_u32_e32 0x7f, v18
	s_cbranch_execz .LBB347_1172
; %bb.1169:                             ;   in Loop: Header=BB347_803 Depth=1
	v_mov_b32_e32 v27, v14
	v_lshrrev_b32_e32 v16, 3, v18
	v_mov_b32_e32 v26, v13
	s_mov_b32 s21, exec_lo
	v_cmpx_gt_u32_e32 8, v18
; %bb.1170:                             ;   in Loop: Header=BB347_803 Depth=1
	v_and_b32_e32 v16, 7, v25
	v_ffbh_u32_e32 v16, v16
	v_min_u32_e32 v16, 32, v16
	v_subrev_nc_u32_e32 v18, 28, v16
	v_sub_nc_u32_e32 v16, 29, v16
	v_lshlrev_b64 v[26:27], v18, v[13:14]
; %bb.1171:                             ;   in Loop: Header=BB347_803 Depth=1
	s_or_b32 exec_lo, exec_lo, s21
	v_lshlrev_b32_e32 v18, 20, v26
	v_lshlrev_b32_e32 v21, 24, v13
	v_lshl_add_u32 v16, v16, 23, 0x3c000000
	v_and_b32_e32 v18, 0x700000, v18
	v_and_b32_e32 v21, 0x80000000, v21
	v_or3_b32 v16, v18, v21, v16
.LBB347_1172:                           ;   in Loop: Header=BB347_803 Depth=1
	s_or_b32 exec_lo, exec_lo, s20
.LBB347_1173:                           ;   in Loop: Header=BB347_803 Depth=1
	s_or_b32 exec_lo, exec_lo, s19
.LBB347_1174:                           ;   in Loop: Header=BB347_803 Depth=1
	s_or_b32 exec_lo, exec_lo, s18
	v_cmp_ne_u16_sdwa s4, v13, v14 src0_sel:BYTE_1 src1_sel:DWORD
	s_and_saveexec_b32 s18, s4
	s_cbranch_execz .LBB347_1182
; %bb.1175:                             ;   in Loop: Header=BB347_803 Depth=1
	v_cmp_ne_u16_sdwa s4, v13, v68 src0_sel:BYTE_1 src1_sel:DWORD
	v_bfrev_b32_e32 v17, 1
	s_and_saveexec_b32 s19, s4
	s_cbranch_execz .LBB347_1181
; %bb.1176:                             ;   in Loop: Header=BB347_803 Depth=1
	v_mov_b32_e32 v17, 0xffff
	s_mov_b32 s20, exec_lo
	v_and_b32_sdwa v21, v17, v13 dst_sel:DWORD dst_unused:UNUSED_PAD src0_sel:DWORD src1_sel:BYTE_1
	v_mov_b32_e32 v17, 0x7f800001
	v_and_b32_e32 v18, 0x7f, v21
	v_cmpx_ne_u32_e32 0x7f, v18
	s_cbranch_execz .LBB347_1180
; %bb.1177:                             ;   in Loop: Header=BB347_803 Depth=1
	v_and_b32_e32 v26, 7, v21
	v_mov_b32_e32 v27, v14
	v_lshrrev_b32_e32 v17, 3, v18
	s_mov_b32 s21, exec_lo
	v_cmpx_gt_u32_e32 8, v18
; %bb.1178:                             ;   in Loop: Header=BB347_803 Depth=1
	v_ffbh_u32_e32 v17, v26
	v_min_u32_e32 v17, 32, v17
	v_subrev_nc_u32_e32 v18, 28, v17
	v_sub_nc_u32_e32 v17, 29, v17
	v_lshlrev_b64 v[21:22], v18, v[26:27]
	v_and_b32_e32 v26, 7, v21
; %bb.1179:                             ;   in Loop: Header=BB347_803 Depth=1
	s_or_b32 exec_lo, exec_lo, s21
	v_lshlrev_b32_e32 v13, 16, v13
	v_lshlrev_b32_e32 v18, 20, v26
	v_lshl_add_u32 v17, v17, 23, 0x3c000000
	v_and_b32_e32 v13, 0x80000000, v13
	v_or3_b32 v17, v18, v13, v17
.LBB347_1180:                           ;   in Loop: Header=BB347_803 Depth=1
	s_or_b32 exec_lo, exec_lo, s20
.LBB347_1181:                           ;   in Loop: Header=BB347_803 Depth=1
	s_or_b32 exec_lo, exec_lo, s19
.LBB347_1182:                           ;   in Loop: Header=BB347_803 Depth=1
	s_or_b32 exec_lo, exec_lo, s18
	v_and_b32_sdwa v13, v25, v70 dst_sel:DWORD dst_unused:UNUSED_PAD src0_sel:WORD_1 src1_sel:DWORD
	v_mov_b32_e32 v18, 0
	v_mov_b32_e32 v21, 0
	s_mov_b32 s18, exec_lo
	v_cmpx_ne_u16_e32 0, v13
	s_cbranch_execz .LBB347_1190
; %bb.1183:                             ;   in Loop: Header=BB347_803 Depth=1
	v_bfrev_b32_e32 v21, 1
	s_mov_b32 s19, exec_lo
	v_cmpx_ne_u16_e32 0x80, v13
	s_cbranch_execz .LBB347_1189
; %bb.1184:                             ;   in Loop: Header=BB347_803 Depth=1
	v_bfe_u32 v22, v25, 16, 7
	v_mov_b32_e32 v21, 0x7f800001
	s_mov_b32 s20, exec_lo
	v_cmpx_ne_u32_e32 0x7f, v22
	s_cbranch_execz .LBB347_1188
; %bb.1185:                             ;   in Loop: Header=BB347_803 Depth=1
	v_mov_b32_e32 v13, 7
	v_lshrrev_b32_e32 v21, 3, v22
	s_mov_b32 s21, exec_lo
	v_and_b32_sdwa v13, v25, v13 dst_sel:DWORD dst_unused:UNUSED_PAD src0_sel:WORD_1 src1_sel:DWORD
	v_mov_b32_e32 v27, v14
	v_mov_b32_e32 v26, v13
	v_cmpx_gt_u32_e32 8, v22
; %bb.1186:                             ;   in Loop: Header=BB347_803 Depth=1
	v_ffbh_u32_e32 v21, v13
	v_min_u32_e32 v21, 32, v21
	v_subrev_nc_u32_e32 v22, 28, v21
	v_sub_nc_u32_e32 v21, 29, v21
	v_lshlrev_b64 v[22:23], v22, v[13:14]
	v_and_b32_e32 v26, 7, v22
; %bb.1187:                             ;   in Loop: Header=BB347_803 Depth=1
	s_or_b32 exec_lo, exec_lo, s21
	v_mov_b32_e32 v13, 24
	v_lshlrev_b32_e32 v22, 20, v26
	v_lshl_add_u32 v21, v21, 23, 0x3c000000
	v_lshlrev_b32_sdwa v13, v13, v25 dst_sel:DWORD dst_unused:UNUSED_PAD src0_sel:DWORD src1_sel:WORD_1
	v_and_b32_e32 v13, 0x80000000, v13
	v_or3_b32 v21, v22, v13, v21
.LBB347_1188:                           ;   in Loop: Header=BB347_803 Depth=1
	s_or_b32 exec_lo, exec_lo, s20
.LBB347_1189:                           ;   in Loop: Header=BB347_803 Depth=1
	s_or_b32 exec_lo, exec_lo, s19
.LBB347_1190:                           ;   in Loop: Header=BB347_803 Depth=1
	s_or_b32 exec_lo, exec_lo, s18
	s_mov_b32 s18, exec_lo
	v_cmpx_lt_u64_e64 s[6:7], v[24:25]
	s_cbranch_execz .LBB347_1198
; %bb.1191:                             ;   in Loop: Header=BB347_803 Depth=1
	v_cmp_ne_u32_sdwa s4, v25, v68 src0_sel:BYTE_3 src1_sel:DWORD
	v_bfrev_b32_e32 v18, 1
	s_and_saveexec_b32 s19, s4
	s_cbranch_execz .LBB347_1197
; %bb.1192:                             ;   in Loop: Header=BB347_803 Depth=1
	v_bfe_u32 v22, v25, 24, 7
	v_mov_b32_e32 v18, 0x7f800001
	s_mov_b32 s20, exec_lo
	v_cmpx_ne_u32_e32 0x7f, v22
	s_cbranch_execz .LBB347_1196
; %bb.1193:                             ;   in Loop: Header=BB347_803 Depth=1
	v_mov_b32_e32 v13, 7
	v_lshrrev_b32_e32 v18, 3, v22
	s_mov_b32 s21, exec_lo
	v_and_b32_sdwa v13, v25, v13 dst_sel:DWORD dst_unused:UNUSED_PAD src0_sel:BYTE_3 src1_sel:DWORD
	v_mov_b32_e32 v27, v14
	v_mov_b32_e32 v26, v13
	v_cmpx_gt_u32_e32 8, v22
; %bb.1194:                             ;   in Loop: Header=BB347_803 Depth=1
	v_ffbh_u32_e32 v18, v13
	v_min_u32_e32 v18, 32, v18
	v_subrev_nc_u32_e32 v22, 28, v18
	v_sub_nc_u32_e32 v18, 29, v18
	v_lshlrev_b64 v[22:23], v22, v[13:14]
	v_and_b32_e32 v26, 7, v22
; %bb.1195:                             ;   in Loop: Header=BB347_803 Depth=1
	s_or_b32 exec_lo, exec_lo, s21
	v_mov_b32_e32 v13, 24
	v_lshlrev_b32_e32 v22, 20, v26
	v_lshl_add_u32 v18, v18, 23, 0x3c000000
	v_lshlrev_b32_sdwa v13, v13, v25 dst_sel:DWORD dst_unused:UNUSED_PAD src0_sel:DWORD src1_sel:BYTE_3
	v_and_b32_e32 v13, 0x80000000, v13
	v_or3_b32 v18, v22, v13, v18
.LBB347_1196:                           ;   in Loop: Header=BB347_803 Depth=1
	s_or_b32 exec_lo, exec_lo, s20
.LBB347_1197:                           ;   in Loop: Header=BB347_803 Depth=1
	s_or_b32 exec_lo, exec_lo, s19
.LBB347_1198:                           ;   in Loop: Header=BB347_803 Depth=1
	s_or_b32 exec_lo, exec_lo, s18
	v_mul_f32_e32 v13, v45, v17
	v_mul_f32_e32 v16, v45, v16
	;; [unrolled: 1-line block ×5, first 2 shown]
	v_bfe_u32 v1, v13, 16, 1
	v_or_b32_e32 v22, 0x400000, v13
	v_bfe_u32 v23, v16, 16, 1
	v_cmp_u_f32_e64 s4, v13, v13
	v_or_b32_e32 v24, 0x400000, v16
	v_add3_u32 v1, v1, v13, 0x7fff
	v_bfe_u32 v25, v15, 16, 1
	v_add3_u32 v23, v23, v16, 0x7fff
	v_or_b32_e32 v26, 0x400000, v15
	v_bfe_u32 v27, v17, 16, 1
	v_cndmask_b32_e64 v1, v1, v22, s4
	v_cmp_u_f32_e64 s4, v16, v16
	v_add3_u32 v25, v25, v15, 0x7fff
	v_mul_f32_e32 v16, v45, v0
	v_mul_f32_e32 v18, v45, v18
	v_lshrrev_b32_e32 v1, 16, v1
	v_cndmask_b32_e64 v13, v23, v24, s4
	v_cmp_u_f32_e64 s4, v15, v15
	v_add3_u32 v23, v27, v17, 0x7fff
	v_or_b32_e32 v24, 0x400000, v17
	v_lshrrev_b32_e32 v0, 16, v13
	v_cndmask_b32_e64 v15, v25, v26, s4
	v_bfe_u32 v13, v16, 16, 1
	v_cmp_u_f32_e64 s4, v17, v17
	v_mul_f32_e32 v17, v45, v21
	v_or_b32_e32 v21, 0x400000, v16
	v_lshrrev_b32_e32 v22, 16, v15
	v_add3_u32 v13, v13, v16, 0x7fff
	v_cndmask_b32_e64 v15, v23, v24, s4
	v_bfe_u32 v23, v12, 16, 1
	v_cmp_u_f32_e64 s4, v16, v16
	v_bfe_u32 v24, v17, 16, 1
	v_bfe_u32 v16, v18, 16, 1
	v_or_b32_e32 v25, 0x400000, v17
	v_or_b32_e32 v26, 0x400000, v18
	v_cndmask_b32_e64 v13, v13, v21, s4
	v_add3_u32 v21, v23, v12, 0x7fff
	v_or_b32_e32 v23, 0x400000, v12
	v_cmp_u_f32_e64 s4, v12, v12
	v_add3_u32 v24, v24, v17, 0x7fff
	v_add3_u32 v16, v16, v18, 0x7fff
	v_lshrrev_b32_e32 v33, 16, v13
	v_cndmask_b32_e64 v12, v21, v23, s4
	v_cmp_u_f32_e64 s4, v17, v17
	v_lshrrev_b32_e32 v23, 16, v15
	v_lshrrev_b32_e32 v31, 16, v12
	v_cndmask_b32_e64 v17, v24, v25, s4
	v_cmp_u_f32_e64 s4, v18, v18
	v_lshrrev_b32_e32 v17, 16, v17
	v_cndmask_b32_e64 v16, v16, v26, s4
	v_lshrrev_b32_e32 v18, 16, v16
	s_and_saveexec_b32 s18, vcc_lo
	s_cbranch_execz .LBB347_1200
; %bb.1199:                             ;   in Loop: Header=BB347_803 Depth=1
	v_cmp_lt_i32_e64 s4, v46, v32
	v_cndmask_b32_e64 v31, 0, v31, s4
	v_cmp_lt_i32_e64 s4, v61, v32
	v_cndmask_b32_e64 v33, 0, v33, s4
	;; [unrolled: 2-line block ×8, first 2 shown]
.LBB347_1200:                           ;   in Loop: Header=BB347_803 Depth=1
	s_or_b32 exec_lo, exec_lo, s18
	flat_load_dwordx2 v[24:25], v[19:20] offset:1536
	v_mov_b32_e32 v15, 0
	v_mov_b32_e32 v12, 0
	s_waitcnt vmcnt(0) lgkmcnt(0)
	v_cmp_ne_u16_sdwa s4, v24, v14 src0_sel:BYTE_0 src1_sel:DWORD
	s_and_saveexec_b32 s18, s4
	s_cbranch_execz .LBB347_1208
; %bb.1201:                             ;   in Loop: Header=BB347_803 Depth=1
	v_cmp_ne_u16_sdwa s4, v24, v68 src0_sel:BYTE_0 src1_sel:DWORD
	v_bfrev_b32_e32 v12, 1
	s_and_saveexec_b32 s19, s4
	s_cbranch_execz .LBB347_1207
; %bb.1202:                             ;   in Loop: Header=BB347_803 Depth=1
	v_and_b32_e32 v13, 0x7f, v24
	v_mov_b32_e32 v12, 0x7f800001
	s_mov_b32 s20, exec_lo
	v_cmpx_ne_u32_e32 0x7f, v13
	s_cbranch_execz .LBB347_1206
; %bb.1203:                             ;   in Loop: Header=BB347_803 Depth=1
	v_mov_b32_e32 v27, v25
	v_lshrrev_b32_e32 v12, 3, v13
	v_mov_b32_e32 v26, v24
	s_mov_b32 s21, exec_lo
	v_cmpx_gt_u32_e32 8, v13
; %bb.1204:                             ;   in Loop: Header=BB347_803 Depth=1
	v_and_b32_e32 v12, 7, v24
	v_ffbh_u32_e32 v12, v12
	v_min_u32_e32 v12, 32, v12
	v_subrev_nc_u32_e32 v13, 28, v12
	v_sub_nc_u32_e32 v12, 29, v12
	v_lshlrev_b64 v[26:27], v13, v[24:25]
; %bb.1205:                             ;   in Loop: Header=BB347_803 Depth=1
	s_or_b32 exec_lo, exec_lo, s21
	v_lshlrev_b32_e32 v13, 20, v26
	v_lshlrev_b32_e32 v16, 24, v24
	v_lshl_add_u32 v12, v12, 23, 0x3c000000
	v_and_b32_e32 v13, 0x700000, v13
	v_and_b32_e32 v16, 0x80000000, v16
	v_or3_b32 v12, v13, v16, v12
.LBB347_1206:                           ;   in Loop: Header=BB347_803 Depth=1
	s_or_b32 exec_lo, exec_lo, s20
.LBB347_1207:                           ;   in Loop: Header=BB347_803 Depth=1
	s_or_b32 exec_lo, exec_lo, s19
.LBB347_1208:                           ;   in Loop: Header=BB347_803 Depth=1
	s_or_b32 exec_lo, exec_lo, s18
	v_cmp_ne_u16_sdwa s4, v24, v14 src0_sel:BYTE_1 src1_sel:DWORD
	s_and_saveexec_b32 s18, s4
	s_cbranch_execz .LBB347_1216
; %bb.1209:                             ;   in Loop: Header=BB347_803 Depth=1
	v_cmp_ne_u16_sdwa s4, v24, v68 src0_sel:BYTE_1 src1_sel:DWORD
	v_bfrev_b32_e32 v15, 1
	s_and_saveexec_b32 s19, s4
	s_cbranch_execz .LBB347_1215
; %bb.1210:                             ;   in Loop: Header=BB347_803 Depth=1
	v_mov_b32_e32 v13, 0xffff
	v_mov_b32_e32 v15, 0x7f800001
	s_mov_b32 s20, exec_lo
	v_and_b32_sdwa v13, v13, v24 dst_sel:DWORD dst_unused:UNUSED_PAD src0_sel:DWORD src1_sel:BYTE_1
	v_and_b32_e32 v16, 0x7f, v13
	v_cmpx_ne_u32_e32 0x7f, v16
	s_cbranch_execz .LBB347_1214
; %bb.1211:                             ;   in Loop: Header=BB347_803 Depth=1
	v_and_b32_e32 v13, 7, v13
	v_mov_b32_e32 v27, v14
	v_lshrrev_b32_e32 v15, 3, v16
	s_mov_b32 s21, exec_lo
	v_mov_b32_e32 v26, v13
	v_cmpx_gt_u32_e32 8, v16
; %bb.1212:                             ;   in Loop: Header=BB347_803 Depth=1
	v_ffbh_u32_e32 v15, v13
	v_min_u32_e32 v15, 32, v15
	v_subrev_nc_u32_e32 v16, 28, v15
	v_sub_nc_u32_e32 v15, 29, v15
	v_lshlrev_b64 v[26:27], v16, v[13:14]
	v_and_b32_e32 v26, 7, v26
; %bb.1213:                             ;   in Loop: Header=BB347_803 Depth=1
	s_or_b32 exec_lo, exec_lo, s21
	v_lshlrev_b32_e32 v13, 16, v24
	v_lshlrev_b32_e32 v16, 20, v26
	v_lshl_add_u32 v15, v15, 23, 0x3c000000
	v_and_b32_e32 v13, 0x80000000, v13
	v_or3_b32 v15, v16, v13, v15
.LBB347_1214:                           ;   in Loop: Header=BB347_803 Depth=1
	s_or_b32 exec_lo, exec_lo, s20
.LBB347_1215:                           ;   in Loop: Header=BB347_803 Depth=1
	s_or_b32 exec_lo, exec_lo, s19
.LBB347_1216:                           ;   in Loop: Header=BB347_803 Depth=1
	s_or_b32 exec_lo, exec_lo, s18
	v_and_b32_sdwa v13, v24, v70 dst_sel:DWORD dst_unused:UNUSED_PAD src0_sel:WORD_1 src1_sel:DWORD
	v_mov_b32_e32 v21, 0
	v_mov_b32_e32 v16, 0
	s_mov_b32 s18, exec_lo
	v_cmpx_ne_u16_e32 0, v13
	s_cbranch_execz .LBB347_1224
; %bb.1217:                             ;   in Loop: Header=BB347_803 Depth=1
	v_bfrev_b32_e32 v16, 1
	s_mov_b32 s19, exec_lo
	v_cmpx_ne_u16_e32 0x80, v13
	s_cbranch_execz .LBB347_1223
; %bb.1218:                             ;   in Loop: Header=BB347_803 Depth=1
	v_bfe_u32 v26, v24, 16, 7
	v_mov_b32_e32 v16, 0x7f800001
	s_mov_b32 s20, exec_lo
	v_cmpx_ne_u32_e32 0x7f, v26
	s_cbranch_execz .LBB347_1222
; %bb.1219:                             ;   in Loop: Header=BB347_803 Depth=1
	v_mov_b32_e32 v13, 7
	v_lshrrev_b32_e32 v16, 3, v26
	v_cmp_gt_u32_e64 s4, 8, v26
	v_and_b32_sdwa v13, v24, v13 dst_sel:DWORD dst_unused:UNUSED_PAD src0_sel:WORD_1 src1_sel:DWORD
	v_mov_b32_e32 v27, v14
	v_mov_b32_e32 v26, v13
	s_and_saveexec_b32 s21, s4
; %bb.1220:                             ;   in Loop: Header=BB347_803 Depth=1
	v_ffbh_u32_e32 v16, v13
	v_min_u32_e32 v16, 32, v16
	v_subrev_nc_u32_e32 v26, 28, v16
	v_sub_nc_u32_e32 v16, 29, v16
	v_lshlrev_b64 v[26:27], v26, v[13:14]
	v_and_b32_e32 v26, 7, v26
; %bb.1221:                             ;   in Loop: Header=BB347_803 Depth=1
	s_or_b32 exec_lo, exec_lo, s21
	v_mov_b32_e32 v13, 24
	v_lshlrev_b32_e32 v26, 20, v26
	v_lshl_add_u32 v16, v16, 23, 0x3c000000
	v_lshlrev_b32_sdwa v13, v13, v24 dst_sel:DWORD dst_unused:UNUSED_PAD src0_sel:DWORD src1_sel:WORD_1
	v_and_b32_e32 v13, 0x80000000, v13
	v_or3_b32 v16, v26, v13, v16
.LBB347_1222:                           ;   in Loop: Header=BB347_803 Depth=1
	s_or_b32 exec_lo, exec_lo, s20
.LBB347_1223:                           ;   in Loop: Header=BB347_803 Depth=1
	s_or_b32 exec_lo, exec_lo, s19
.LBB347_1224:                           ;   in Loop: Header=BB347_803 Depth=1
	s_or_b32 exec_lo, exec_lo, s18
	s_mov_b32 s18, exec_lo
	v_cmpx_lt_u32_e32 0xffffff, v24
	s_cbranch_execz .LBB347_1232
; %bb.1225:                             ;   in Loop: Header=BB347_803 Depth=1
	v_cmp_ne_u32_sdwa s4, v24, v68 src0_sel:BYTE_3 src1_sel:DWORD
	v_bfrev_b32_e32 v21, 1
	s_and_saveexec_b32 s19, s4
	s_cbranch_execz .LBB347_1231
; %bb.1226:                             ;   in Loop: Header=BB347_803 Depth=1
	v_bfe_u32 v26, v24, 24, 7
	v_mov_b32_e32 v21, 0x7f800001
	s_mov_b32 s20, exec_lo
	v_cmpx_ne_u32_e32 0x7f, v26
	s_cbranch_execz .LBB347_1230
; %bb.1227:                             ;   in Loop: Header=BB347_803 Depth=1
	v_mov_b32_e32 v13, 7
	v_lshrrev_b32_e32 v21, 3, v26
	v_cmp_gt_u32_e64 s4, 8, v26
	v_and_b32_sdwa v13, v24, v13 dst_sel:DWORD dst_unused:UNUSED_PAD src0_sel:BYTE_3 src1_sel:DWORD
	v_mov_b32_e32 v27, v14
	v_mov_b32_e32 v26, v13
	s_and_saveexec_b32 s21, s4
; %bb.1228:                             ;   in Loop: Header=BB347_803 Depth=1
	v_ffbh_u32_e32 v21, v13
	v_min_u32_e32 v21, 32, v21
	v_subrev_nc_u32_e32 v26, 28, v21
	v_sub_nc_u32_e32 v21, 29, v21
	v_lshlrev_b64 v[26:27], v26, v[13:14]
	v_and_b32_e32 v26, 7, v26
; %bb.1229:                             ;   in Loop: Header=BB347_803 Depth=1
	s_or_b32 exec_lo, exec_lo, s21
	v_mov_b32_e32 v13, 24
	v_lshlrev_b32_e32 v26, 20, v26
	v_lshl_add_u32 v21, v21, 23, 0x3c000000
	v_lshlrev_b32_sdwa v13, v13, v24 dst_sel:DWORD dst_unused:UNUSED_PAD src0_sel:DWORD src1_sel:BYTE_3
	v_and_b32_e32 v13, 0x80000000, v13
	v_or3_b32 v21, v26, v13, v21
.LBB347_1230:                           ;   in Loop: Header=BB347_803 Depth=1
	s_or_b32 exec_lo, exec_lo, s20
.LBB347_1231:                           ;   in Loop: Header=BB347_803 Depth=1
	s_or_b32 exec_lo, exec_lo, s19
.LBB347_1232:                           ;   in Loop: Header=BB347_803 Depth=1
	s_or_b32 exec_lo, exec_lo, s18
	v_mov_b32_e32 v13, v25
	v_cmp_ne_u16_sdwa s4, v25, v14 src0_sel:BYTE_0 src1_sel:DWORD
	v_mov_b32_e32 v35, 0
	v_mov_b32_e32 v30, 0
	s_and_saveexec_b32 s18, s4
	s_cbranch_execz .LBB347_1240
; %bb.1233:                             ;   in Loop: Header=BB347_803 Depth=1
	v_cmp_ne_u16_sdwa s4, v25, v68 src0_sel:BYTE_0 src1_sel:DWORD
	v_bfrev_b32_e32 v30, 1
	s_and_saveexec_b32 s19, s4
	s_cbranch_execz .LBB347_1239
; %bb.1234:                             ;   in Loop: Header=BB347_803 Depth=1
	v_and_b32_e32 v26, 0x7f, v25
	v_mov_b32_e32 v30, 0x7f800001
	s_mov_b32 s20, exec_lo
	v_cmpx_ne_u32_e32 0x7f, v26
	s_cbranch_execz .LBB347_1238
; %bb.1235:                             ;   in Loop: Header=BB347_803 Depth=1
	v_lshrrev_b32_e32 v28, 3, v26
	v_cmp_gt_u32_e64 s4, 8, v26
	v_mov_b32_e32 v27, v14
	v_mov_b32_e32 v26, v13
	s_and_saveexec_b32 s21, s4
; %bb.1236:                             ;   in Loop: Header=BB347_803 Depth=1
	v_and_b32_e32 v26, 7, v25
	v_ffbh_u32_e32 v26, v26
	v_min_u32_e32 v28, 32, v26
	v_subrev_nc_u32_e32 v26, 28, v28
	v_sub_nc_u32_e32 v28, 29, v28
	v_lshlrev_b64 v[26:27], v26, v[13:14]
; %bb.1237:                             ;   in Loop: Header=BB347_803 Depth=1
	s_or_b32 exec_lo, exec_lo, s21
	v_lshlrev_b32_e32 v26, 20, v26
	v_lshlrev_b32_e32 v27, 24, v13
	v_lshl_add_u32 v28, v28, 23, 0x3c000000
	v_and_b32_e32 v26, 0x700000, v26
	v_and_b32_e32 v27, 0x80000000, v27
	v_or3_b32 v30, v26, v27, v28
.LBB347_1238:                           ;   in Loop: Header=BB347_803 Depth=1
	s_or_b32 exec_lo, exec_lo, s20
.LBB347_1239:                           ;   in Loop: Header=BB347_803 Depth=1
	s_or_b32 exec_lo, exec_lo, s19
.LBB347_1240:                           ;   in Loop: Header=BB347_803 Depth=1
	s_or_b32 exec_lo, exec_lo, s18
	v_cmp_ne_u16_sdwa s4, v13, v14 src0_sel:BYTE_1 src1_sel:DWORD
	s_and_saveexec_b32 s18, s4
	s_cbranch_execz .LBB347_1248
; %bb.1241:                             ;   in Loop: Header=BB347_803 Depth=1
	v_cmp_ne_u16_sdwa s4, v13, v68 src0_sel:BYTE_1 src1_sel:DWORD
	v_bfrev_b32_e32 v35, 1
	s_and_saveexec_b32 s19, s4
	s_cbranch_execz .LBB347_1247
; %bb.1242:                             ;   in Loop: Header=BB347_803 Depth=1
	v_mov_b32_e32 v26, 0xffff
	v_mov_b32_e32 v35, 0x7f800001
	s_mov_b32 s20, exec_lo
	v_and_b32_sdwa v26, v26, v13 dst_sel:DWORD dst_unused:UNUSED_PAD src0_sel:DWORD src1_sel:BYTE_1
	v_and_b32_e32 v29, 0x7f, v26
	v_cmpx_ne_u32_e32 0x7f, v29
	s_cbranch_execz .LBB347_1246
; %bb.1243:                             ;   in Loop: Header=BB347_803 Depth=1
	v_and_b32_e32 v26, 7, v26
	v_mov_b32_e32 v27, v14
	v_lshrrev_b32_e32 v28, 3, v29
	s_mov_b32 s21, exec_lo
	v_cmpx_gt_u32_e32 8, v29
; %bb.1244:                             ;   in Loop: Header=BB347_803 Depth=1
	v_ffbh_u32_e32 v28, v26
	v_min_u32_e32 v28, 32, v28
	v_subrev_nc_u32_e32 v29, 28, v28
	v_sub_nc_u32_e32 v28, 29, v28
	v_lshlrev_b64 v[26:27], v29, v[26:27]
	v_and_b32_e32 v26, 7, v26
; %bb.1245:                             ;   in Loop: Header=BB347_803 Depth=1
	s_or_b32 exec_lo, exec_lo, s21
	v_lshlrev_b32_e32 v13, 16, v13
	v_lshlrev_b32_e32 v26, 20, v26
	v_lshl_add_u32 v27, v28, 23, 0x3c000000
	v_and_b32_e32 v13, 0x80000000, v13
	v_or3_b32 v35, v26, v13, v27
.LBB347_1246:                           ;   in Loop: Header=BB347_803 Depth=1
	s_or_b32 exec_lo, exec_lo, s20
.LBB347_1247:                           ;   in Loop: Header=BB347_803 Depth=1
	s_or_b32 exec_lo, exec_lo, s19
.LBB347_1248:                           ;   in Loop: Header=BB347_803 Depth=1
	s_or_b32 exec_lo, exec_lo, s18
	v_and_b32_sdwa v13, v25, v70 dst_sel:DWORD dst_unused:UNUSED_PAD src0_sel:WORD_1 src1_sel:DWORD
	v_mov_b32_e32 v28, 0
	v_mov_b32_e32 v29, 0
	s_mov_b32 s18, exec_lo
	v_cmpx_ne_u16_e32 0, v13
	s_cbranch_execz .LBB347_1256
; %bb.1249:                             ;   in Loop: Header=BB347_803 Depth=1
	v_bfrev_b32_e32 v29, 1
	s_mov_b32 s19, exec_lo
	v_cmpx_ne_u16_e32 0x80, v13
	s_cbranch_execz .LBB347_1255
; %bb.1250:                             ;   in Loop: Header=BB347_803 Depth=1
	v_bfe_u32 v26, v25, 16, 7
	v_mov_b32_e32 v29, 0x7f800001
	s_mov_b32 s20, exec_lo
	v_cmpx_ne_u32_e32 0x7f, v26
	s_cbranch_execz .LBB347_1254
; %bb.1251:                             ;   in Loop: Header=BB347_803 Depth=1
	v_mov_b32_e32 v13, 7
	v_lshrrev_b32_e32 v29, 3, v26
	v_cmp_gt_u32_e64 s4, 8, v26
	v_and_b32_sdwa v13, v25, v13 dst_sel:DWORD dst_unused:UNUSED_PAD src0_sel:WORD_1 src1_sel:DWORD
	v_mov_b32_e32 v27, v14
	v_mov_b32_e32 v26, v13
	s_and_saveexec_b32 s21, s4
; %bb.1252:                             ;   in Loop: Header=BB347_803 Depth=1
	v_ffbh_u32_e32 v26, v13
	v_min_u32_e32 v29, 32, v26
	v_subrev_nc_u32_e32 v26, 28, v29
	v_sub_nc_u32_e32 v29, 29, v29
	v_lshlrev_b64 v[26:27], v26, v[13:14]
	v_and_b32_e32 v26, 7, v26
; %bb.1253:                             ;   in Loop: Header=BB347_803 Depth=1
	s_or_b32 exec_lo, exec_lo, s21
	v_mov_b32_e32 v13, 24
	v_lshlrev_b32_e32 v26, 20, v26
	v_lshl_add_u32 v27, v29, 23, 0x3c000000
	v_lshlrev_b32_sdwa v13, v13, v25 dst_sel:DWORD dst_unused:UNUSED_PAD src0_sel:DWORD src1_sel:WORD_1
	v_and_b32_e32 v13, 0x80000000, v13
	v_or3_b32 v29, v26, v13, v27
.LBB347_1254:                           ;   in Loop: Header=BB347_803 Depth=1
	s_or_b32 exec_lo, exec_lo, s20
.LBB347_1255:                           ;   in Loop: Header=BB347_803 Depth=1
	s_or_b32 exec_lo, exec_lo, s19
.LBB347_1256:                           ;   in Loop: Header=BB347_803 Depth=1
	s_or_b32 exec_lo, exec_lo, s18
	s_mov_b32 s18, exec_lo
	v_cmpx_lt_u64_e64 s[6:7], v[24:25]
	s_cbranch_execz .LBB347_1264
; %bb.1257:                             ;   in Loop: Header=BB347_803 Depth=1
	v_cmp_ne_u32_sdwa s4, v25, v68 src0_sel:BYTE_3 src1_sel:DWORD
	v_bfrev_b32_e32 v28, 1
	s_and_saveexec_b32 s19, s4
	s_cbranch_execz .LBB347_1263
; %bb.1258:                             ;   in Loop: Header=BB347_803 Depth=1
	v_bfe_u32 v26, v25, 24, 7
	v_mov_b32_e32 v28, 0x7f800001
	s_mov_b32 s20, exec_lo
	v_cmpx_ne_u32_e32 0x7f, v26
	s_cbranch_execz .LBB347_1262
; %bb.1259:                             ;   in Loop: Header=BB347_803 Depth=1
	v_mov_b32_e32 v13, 7
	v_lshrrev_b32_e32 v24, 3, v26
	v_cmp_gt_u32_e64 s4, 8, v26
	v_and_b32_sdwa v13, v25, v13 dst_sel:DWORD dst_unused:UNUSED_PAD src0_sel:BYTE_3 src1_sel:DWORD
	v_mov_b32_e32 v27, v14
	v_mov_b32_e32 v26, v13
	s_and_saveexec_b32 s21, s4
; %bb.1260:                             ;   in Loop: Header=BB347_803 Depth=1
	v_ffbh_u32_e32 v24, v13
	v_min_u32_e32 v24, 32, v24
	v_subrev_nc_u32_e32 v26, 28, v24
	v_sub_nc_u32_e32 v24, 29, v24
	v_lshlrev_b64 v[26:27], v26, v[13:14]
	v_and_b32_e32 v26, 7, v26
; %bb.1261:                             ;   in Loop: Header=BB347_803 Depth=1
	s_or_b32 exec_lo, exec_lo, s21
	v_mov_b32_e32 v13, 24
	v_lshl_add_u32 v24, v24, 23, 0x3c000000
	v_lshlrev_b32_sdwa v13, v13, v25 dst_sel:DWORD dst_unused:UNUSED_PAD src0_sel:DWORD src1_sel:BYTE_3
	v_lshlrev_b32_e32 v25, 20, v26
	v_and_b32_e32 v13, 0x80000000, v13
	v_or3_b32 v28, v25, v13, v24
.LBB347_1262:                           ;   in Loop: Header=BB347_803 Depth=1
	s_or_b32 exec_lo, exec_lo, s20
.LBB347_1263:                           ;   in Loop: Header=BB347_803 Depth=1
	s_or_b32 exec_lo, exec_lo, s19
.LBB347_1264:                           ;   in Loop: Header=BB347_803 Depth=1
	s_or_b32 exec_lo, exec_lo, s18
	v_mul_f32_e32 v13, v45, v35
	v_mul_f32_e32 v12, v45, v12
	v_bfe_u32 v24, v13, 16, 1
	v_or_b32_e32 v25, 0x400000, v13
	v_cmp_u_f32_e64 s4, v13, v13
	v_add3_u32 v24, v24, v13, 0x7fff
	v_cndmask_b32_e64 v13, v24, v25, s4
	v_lshrrev_b32_e32 v94, 16, v13
	v_mul_f32_e32 v13, v45, v30
	v_bfe_u32 v24, v13, 16, 1
	v_or_b32_e32 v25, 0x400000, v13
	v_cmp_u_f32_e64 s4, v13, v13
	v_add3_u32 v24, v24, v13, 0x7fff
	v_cndmask_b32_e64 v13, v24, v25, s4
	v_lshrrev_b32_e32 v95, 16, v13
	;; [unrolled: 7-line block ×4, first 2 shown]
	v_mul_f32_e32 v13, v45, v15
	v_bfe_u32 v15, v13, 16, 1
	v_or_b32_e32 v16, 0x400000, v13
	v_cmp_u_f32_e64 s4, v13, v13
	v_add3_u32 v15, v15, v13, 0x7fff
	v_cndmask_b32_e64 v13, v15, v16, s4
	v_or_b32_e32 v15, 0x400000, v12
	v_cmp_u_f32_e64 s4, v12, v12
	v_lshrrev_b32_e32 v107, 16, v13
	v_bfe_u32 v13, v12, 16, 1
	v_add3_u32 v13, v13, v12, 0x7fff
	v_cndmask_b32_e64 v12, v13, v15, s4
	v_lshrrev_b32_e32 v108, 16, v12
	v_mul_f32_e32 v12, v45, v29
	v_bfe_u32 v13, v12, 16, 1
	v_or_b32_e32 v15, 0x400000, v12
	v_cmp_u_f32_e64 s4, v12, v12
	v_add3_u32 v13, v13, v12, 0x7fff
	v_cndmask_b32_e64 v12, v13, v15, s4
	v_lshrrev_b32_e32 v106, 16, v12
	v_mul_f32_e32 v12, v45, v28
	v_bfe_u32 v13, v12, 16, 1
	v_or_b32_e32 v15, 0x400000, v12
	v_cmp_u_f32_e64 s4, v12, v12
	v_add3_u32 v13, v13, v12, 0x7fff
	v_cndmask_b32_e64 v12, v13, v15, s4
	v_lshrrev_b32_e32 v109, 16, v12
	s_and_saveexec_b32 s18, vcc_lo
	s_cbranch_execz .LBB347_1266
; %bb.1265:                             ;   in Loop: Header=BB347_803 Depth=1
	v_cmp_lt_i32_e64 s4, v46, v32
	v_cndmask_b32_e64 v108, 0, v108, s4
	v_cmp_lt_i32_e64 s4, v61, v32
	v_cndmask_b32_e64 v107, 0, v107, s4
	;; [unrolled: 2-line block ×8, first 2 shown]
.LBB347_1266:                           ;   in Loop: Header=BB347_803 Depth=1
	s_or_b32 exec_lo, exec_lo, s18
	flat_load_dwordx2 v[24:25], v[19:20] offset:1792
	v_mov_b32_e32 v15, 0
	v_mov_b32_e32 v12, 0
	s_waitcnt vmcnt(0) lgkmcnt(0)
	v_cmp_ne_u16_sdwa s4, v24, v14 src0_sel:BYTE_0 src1_sel:DWORD
	s_and_saveexec_b32 s18, s4
	s_cbranch_execz .LBB347_1274
; %bb.1267:                             ;   in Loop: Header=BB347_803 Depth=1
	v_cmp_ne_u16_sdwa s4, v24, v68 src0_sel:BYTE_0 src1_sel:DWORD
	v_bfrev_b32_e32 v12, 1
	s_and_saveexec_b32 s19, s4
	s_cbranch_execz .LBB347_1273
; %bb.1268:                             ;   in Loop: Header=BB347_803 Depth=1
	v_and_b32_e32 v13, 0x7f, v24
	v_mov_b32_e32 v12, 0x7f800001
	s_mov_b32 s20, exec_lo
	v_cmpx_ne_u32_e32 0x7f, v13
	s_cbranch_execz .LBB347_1272
; %bb.1269:                             ;   in Loop: Header=BB347_803 Depth=1
	v_mov_b32_e32 v27, v25
	v_lshrrev_b32_e32 v12, 3, v13
	v_mov_b32_e32 v26, v24
	s_mov_b32 s21, exec_lo
	v_cmpx_gt_u32_e32 8, v13
; %bb.1270:                             ;   in Loop: Header=BB347_803 Depth=1
	v_and_b32_e32 v12, 7, v24
	v_ffbh_u32_e32 v12, v12
	v_min_u32_e32 v12, 32, v12
	v_subrev_nc_u32_e32 v13, 28, v12
	v_sub_nc_u32_e32 v12, 29, v12
	v_lshlrev_b64 v[26:27], v13, v[24:25]
; %bb.1271:                             ;   in Loop: Header=BB347_803 Depth=1
	s_or_b32 exec_lo, exec_lo, s21
	v_lshlrev_b32_e32 v13, 20, v26
	v_lshlrev_b32_e32 v16, 24, v24
	v_lshl_add_u32 v12, v12, 23, 0x3c000000
	v_and_b32_e32 v13, 0x700000, v13
	v_and_b32_e32 v16, 0x80000000, v16
	v_or3_b32 v12, v13, v16, v12
.LBB347_1272:                           ;   in Loop: Header=BB347_803 Depth=1
	s_or_b32 exec_lo, exec_lo, s20
.LBB347_1273:                           ;   in Loop: Header=BB347_803 Depth=1
	s_or_b32 exec_lo, exec_lo, s19
.LBB347_1274:                           ;   in Loop: Header=BB347_803 Depth=1
	s_or_b32 exec_lo, exec_lo, s18
	v_cmp_ne_u16_sdwa s4, v24, v14 src0_sel:BYTE_1 src1_sel:DWORD
	s_and_saveexec_b32 s18, s4
	s_cbranch_execz .LBB347_1282
; %bb.1275:                             ;   in Loop: Header=BB347_803 Depth=1
	v_cmp_ne_u16_sdwa s4, v24, v68 src0_sel:BYTE_1 src1_sel:DWORD
	v_bfrev_b32_e32 v15, 1
	s_and_saveexec_b32 s19, s4
	s_cbranch_execz .LBB347_1281
; %bb.1276:                             ;   in Loop: Header=BB347_803 Depth=1
	v_mov_b32_e32 v13, 0xffff
	v_mov_b32_e32 v15, 0x7f800001
	s_mov_b32 s20, exec_lo
	v_and_b32_sdwa v13, v13, v24 dst_sel:DWORD dst_unused:UNUSED_PAD src0_sel:DWORD src1_sel:BYTE_1
	v_and_b32_e32 v16, 0x7f, v13
	v_cmpx_ne_u32_e32 0x7f, v16
	s_cbranch_execz .LBB347_1280
; %bb.1277:                             ;   in Loop: Header=BB347_803 Depth=1
	v_and_b32_e32 v13, 7, v13
	v_mov_b32_e32 v27, v14
	v_lshrrev_b32_e32 v15, 3, v16
	s_mov_b32 s21, exec_lo
	v_mov_b32_e32 v26, v13
	v_cmpx_gt_u32_e32 8, v16
; %bb.1278:                             ;   in Loop: Header=BB347_803 Depth=1
	v_ffbh_u32_e32 v15, v13
	v_min_u32_e32 v15, 32, v15
	v_subrev_nc_u32_e32 v16, 28, v15
	v_sub_nc_u32_e32 v15, 29, v15
	v_lshlrev_b64 v[26:27], v16, v[13:14]
	v_and_b32_e32 v26, 7, v26
; %bb.1279:                             ;   in Loop: Header=BB347_803 Depth=1
	s_or_b32 exec_lo, exec_lo, s21
	v_lshlrev_b32_e32 v13, 16, v24
	v_lshlrev_b32_e32 v16, 20, v26
	v_lshl_add_u32 v15, v15, 23, 0x3c000000
	v_and_b32_e32 v13, 0x80000000, v13
	v_or3_b32 v15, v16, v13, v15
.LBB347_1280:                           ;   in Loop: Header=BB347_803 Depth=1
	s_or_b32 exec_lo, exec_lo, s20
.LBB347_1281:                           ;   in Loop: Header=BB347_803 Depth=1
	s_or_b32 exec_lo, exec_lo, s19
.LBB347_1282:                           ;   in Loop: Header=BB347_803 Depth=1
	s_or_b32 exec_lo, exec_lo, s18
	v_and_b32_sdwa v13, v24, v70 dst_sel:DWORD dst_unused:UNUSED_PAD src0_sel:WORD_1 src1_sel:DWORD
	v_mov_b32_e32 v21, 0
	v_mov_b32_e32 v16, 0
	s_mov_b32 s18, exec_lo
	v_cmpx_ne_u16_e32 0, v13
	s_cbranch_execz .LBB347_1290
; %bb.1283:                             ;   in Loop: Header=BB347_803 Depth=1
	v_bfrev_b32_e32 v16, 1
	s_mov_b32 s19, exec_lo
	v_cmpx_ne_u16_e32 0x80, v13
	s_cbranch_execz .LBB347_1289
; %bb.1284:                             ;   in Loop: Header=BB347_803 Depth=1
	v_bfe_u32 v26, v24, 16, 7
	v_mov_b32_e32 v16, 0x7f800001
	s_mov_b32 s20, exec_lo
	v_cmpx_ne_u32_e32 0x7f, v26
	s_cbranch_execz .LBB347_1288
; %bb.1285:                             ;   in Loop: Header=BB347_803 Depth=1
	v_mov_b32_e32 v13, 7
	v_lshrrev_b32_e32 v16, 3, v26
	v_cmp_gt_u32_e64 s4, 8, v26
	v_and_b32_sdwa v13, v24, v13 dst_sel:DWORD dst_unused:UNUSED_PAD src0_sel:WORD_1 src1_sel:DWORD
	v_mov_b32_e32 v27, v14
	v_mov_b32_e32 v26, v13
	s_and_saveexec_b32 s21, s4
; %bb.1286:                             ;   in Loop: Header=BB347_803 Depth=1
	v_ffbh_u32_e32 v16, v13
	v_min_u32_e32 v16, 32, v16
	v_subrev_nc_u32_e32 v26, 28, v16
	v_sub_nc_u32_e32 v16, 29, v16
	v_lshlrev_b64 v[26:27], v26, v[13:14]
	v_and_b32_e32 v26, 7, v26
; %bb.1287:                             ;   in Loop: Header=BB347_803 Depth=1
	s_or_b32 exec_lo, exec_lo, s21
	v_mov_b32_e32 v13, 24
	v_lshlrev_b32_e32 v26, 20, v26
	v_lshl_add_u32 v16, v16, 23, 0x3c000000
	v_lshlrev_b32_sdwa v13, v13, v24 dst_sel:DWORD dst_unused:UNUSED_PAD src0_sel:DWORD src1_sel:WORD_1
	v_and_b32_e32 v13, 0x80000000, v13
	v_or3_b32 v16, v26, v13, v16
.LBB347_1288:                           ;   in Loop: Header=BB347_803 Depth=1
	s_or_b32 exec_lo, exec_lo, s20
.LBB347_1289:                           ;   in Loop: Header=BB347_803 Depth=1
	s_or_b32 exec_lo, exec_lo, s19
.LBB347_1290:                           ;   in Loop: Header=BB347_803 Depth=1
	s_or_b32 exec_lo, exec_lo, s18
	s_mov_b32 s18, exec_lo
	v_cmpx_lt_u32_e32 0xffffff, v24
	s_cbranch_execz .LBB347_1298
; %bb.1291:                             ;   in Loop: Header=BB347_803 Depth=1
	v_cmp_ne_u32_sdwa s4, v24, v68 src0_sel:BYTE_3 src1_sel:DWORD
	v_bfrev_b32_e32 v21, 1
	s_and_saveexec_b32 s19, s4
	s_cbranch_execz .LBB347_1297
; %bb.1292:                             ;   in Loop: Header=BB347_803 Depth=1
	v_bfe_u32 v26, v24, 24, 7
	v_mov_b32_e32 v21, 0x7f800001
	s_mov_b32 s20, exec_lo
	v_cmpx_ne_u32_e32 0x7f, v26
	s_cbranch_execz .LBB347_1296
; %bb.1293:                             ;   in Loop: Header=BB347_803 Depth=1
	v_mov_b32_e32 v13, 7
	v_lshrrev_b32_e32 v21, 3, v26
	v_cmp_gt_u32_e64 s4, 8, v26
	v_and_b32_sdwa v13, v24, v13 dst_sel:DWORD dst_unused:UNUSED_PAD src0_sel:BYTE_3 src1_sel:DWORD
	v_mov_b32_e32 v27, v14
	v_mov_b32_e32 v26, v13
	s_and_saveexec_b32 s21, s4
; %bb.1294:                             ;   in Loop: Header=BB347_803 Depth=1
	v_ffbh_u32_e32 v21, v13
	v_min_u32_e32 v21, 32, v21
	v_subrev_nc_u32_e32 v26, 28, v21
	v_sub_nc_u32_e32 v21, 29, v21
	v_lshlrev_b64 v[26:27], v26, v[13:14]
	v_and_b32_e32 v26, 7, v26
; %bb.1295:                             ;   in Loop: Header=BB347_803 Depth=1
	s_or_b32 exec_lo, exec_lo, s21
	v_mov_b32_e32 v13, 24
	v_lshlrev_b32_e32 v26, 20, v26
	v_lshl_add_u32 v21, v21, 23, 0x3c000000
	v_lshlrev_b32_sdwa v13, v13, v24 dst_sel:DWORD dst_unused:UNUSED_PAD src0_sel:DWORD src1_sel:BYTE_3
	v_and_b32_e32 v13, 0x80000000, v13
	v_or3_b32 v21, v26, v13, v21
.LBB347_1296:                           ;   in Loop: Header=BB347_803 Depth=1
	s_or_b32 exec_lo, exec_lo, s20
.LBB347_1297:                           ;   in Loop: Header=BB347_803 Depth=1
	s_or_b32 exec_lo, exec_lo, s19
.LBB347_1298:                           ;   in Loop: Header=BB347_803 Depth=1
	s_or_b32 exec_lo, exec_lo, s18
	v_mov_b32_e32 v13, v25
	v_cmp_ne_u16_sdwa s4, v25, v14 src0_sel:BYTE_0 src1_sel:DWORD
	v_mov_b32_e32 v35, 0
	v_mov_b32_e32 v30, 0
	s_and_saveexec_b32 s18, s4
	s_cbranch_execz .LBB347_1306
; %bb.1299:                             ;   in Loop: Header=BB347_803 Depth=1
	v_cmp_ne_u16_sdwa s4, v25, v68 src0_sel:BYTE_0 src1_sel:DWORD
	v_bfrev_b32_e32 v30, 1
	s_and_saveexec_b32 s19, s4
	s_cbranch_execz .LBB347_1305
; %bb.1300:                             ;   in Loop: Header=BB347_803 Depth=1
	v_and_b32_e32 v26, 0x7f, v25
	v_mov_b32_e32 v30, 0x7f800001
	s_mov_b32 s20, exec_lo
	v_cmpx_ne_u32_e32 0x7f, v26
	s_cbranch_execz .LBB347_1304
; %bb.1301:                             ;   in Loop: Header=BB347_803 Depth=1
	v_lshrrev_b32_e32 v28, 3, v26
	v_cmp_gt_u32_e64 s4, 8, v26
	v_mov_b32_e32 v27, v14
	v_mov_b32_e32 v26, v13
	s_and_saveexec_b32 s21, s4
; %bb.1302:                             ;   in Loop: Header=BB347_803 Depth=1
	v_and_b32_e32 v26, 7, v25
	v_ffbh_u32_e32 v26, v26
	v_min_u32_e32 v28, 32, v26
	v_subrev_nc_u32_e32 v26, 28, v28
	v_sub_nc_u32_e32 v28, 29, v28
	v_lshlrev_b64 v[26:27], v26, v[13:14]
; %bb.1303:                             ;   in Loop: Header=BB347_803 Depth=1
	s_or_b32 exec_lo, exec_lo, s21
	v_lshlrev_b32_e32 v26, 20, v26
	v_lshlrev_b32_e32 v27, 24, v13
	v_lshl_add_u32 v28, v28, 23, 0x3c000000
	v_and_b32_e32 v26, 0x700000, v26
	v_and_b32_e32 v27, 0x80000000, v27
	v_or3_b32 v30, v26, v27, v28
.LBB347_1304:                           ;   in Loop: Header=BB347_803 Depth=1
	s_or_b32 exec_lo, exec_lo, s20
.LBB347_1305:                           ;   in Loop: Header=BB347_803 Depth=1
	s_or_b32 exec_lo, exec_lo, s19
.LBB347_1306:                           ;   in Loop: Header=BB347_803 Depth=1
	s_or_b32 exec_lo, exec_lo, s18
	v_cmp_ne_u16_sdwa s4, v13, v14 src0_sel:BYTE_1 src1_sel:DWORD
	s_and_saveexec_b32 s18, s4
	s_cbranch_execz .LBB347_1314
; %bb.1307:                             ;   in Loop: Header=BB347_803 Depth=1
	v_cmp_ne_u16_sdwa s4, v13, v68 src0_sel:BYTE_1 src1_sel:DWORD
	v_bfrev_b32_e32 v35, 1
	s_and_saveexec_b32 s19, s4
	s_cbranch_execz .LBB347_1313
; %bb.1308:                             ;   in Loop: Header=BB347_803 Depth=1
	v_mov_b32_e32 v26, 0xffff
	v_mov_b32_e32 v35, 0x7f800001
	s_mov_b32 s20, exec_lo
	v_and_b32_sdwa v26, v26, v13 dst_sel:DWORD dst_unused:UNUSED_PAD src0_sel:DWORD src1_sel:BYTE_1
	v_and_b32_e32 v29, 0x7f, v26
	v_cmpx_ne_u32_e32 0x7f, v29
	s_cbranch_execz .LBB347_1312
; %bb.1309:                             ;   in Loop: Header=BB347_803 Depth=1
	v_and_b32_e32 v26, 7, v26
	v_mov_b32_e32 v27, v14
	v_lshrrev_b32_e32 v28, 3, v29
	s_mov_b32 s21, exec_lo
	v_cmpx_gt_u32_e32 8, v29
; %bb.1310:                             ;   in Loop: Header=BB347_803 Depth=1
	v_ffbh_u32_e32 v28, v26
	v_min_u32_e32 v28, 32, v28
	v_subrev_nc_u32_e32 v29, 28, v28
	v_sub_nc_u32_e32 v28, 29, v28
	v_lshlrev_b64 v[26:27], v29, v[26:27]
	v_and_b32_e32 v26, 7, v26
; %bb.1311:                             ;   in Loop: Header=BB347_803 Depth=1
	s_or_b32 exec_lo, exec_lo, s21
	v_lshlrev_b32_e32 v13, 16, v13
	v_lshlrev_b32_e32 v26, 20, v26
	v_lshl_add_u32 v27, v28, 23, 0x3c000000
	v_and_b32_e32 v13, 0x80000000, v13
	v_or3_b32 v35, v26, v13, v27
.LBB347_1312:                           ;   in Loop: Header=BB347_803 Depth=1
	s_or_b32 exec_lo, exec_lo, s20
.LBB347_1313:                           ;   in Loop: Header=BB347_803 Depth=1
	s_or_b32 exec_lo, exec_lo, s19
.LBB347_1314:                           ;   in Loop: Header=BB347_803 Depth=1
	s_or_b32 exec_lo, exec_lo, s18
	v_and_b32_sdwa v13, v25, v70 dst_sel:DWORD dst_unused:UNUSED_PAD src0_sel:WORD_1 src1_sel:DWORD
	v_mov_b32_e32 v28, 0
	v_mov_b32_e32 v29, 0
	s_mov_b32 s18, exec_lo
	v_cmpx_ne_u16_e32 0, v13
	s_cbranch_execz .LBB347_1322
; %bb.1315:                             ;   in Loop: Header=BB347_803 Depth=1
	v_bfrev_b32_e32 v29, 1
	s_mov_b32 s19, exec_lo
	v_cmpx_ne_u16_e32 0x80, v13
	s_cbranch_execz .LBB347_1321
; %bb.1316:                             ;   in Loop: Header=BB347_803 Depth=1
	v_bfe_u32 v26, v25, 16, 7
	v_mov_b32_e32 v29, 0x7f800001
	s_mov_b32 s20, exec_lo
	v_cmpx_ne_u32_e32 0x7f, v26
	s_cbranch_execz .LBB347_1320
; %bb.1317:                             ;   in Loop: Header=BB347_803 Depth=1
	v_mov_b32_e32 v13, 7
	v_lshrrev_b32_e32 v29, 3, v26
	v_cmp_gt_u32_e64 s4, 8, v26
	v_and_b32_sdwa v13, v25, v13 dst_sel:DWORD dst_unused:UNUSED_PAD src0_sel:WORD_1 src1_sel:DWORD
	v_mov_b32_e32 v27, v14
	v_mov_b32_e32 v26, v13
	s_and_saveexec_b32 s21, s4
; %bb.1318:                             ;   in Loop: Header=BB347_803 Depth=1
	v_ffbh_u32_e32 v26, v13
	v_min_u32_e32 v29, 32, v26
	v_subrev_nc_u32_e32 v26, 28, v29
	v_sub_nc_u32_e32 v29, 29, v29
	v_lshlrev_b64 v[26:27], v26, v[13:14]
	v_and_b32_e32 v26, 7, v26
; %bb.1319:                             ;   in Loop: Header=BB347_803 Depth=1
	s_or_b32 exec_lo, exec_lo, s21
	v_mov_b32_e32 v13, 24
	v_lshlrev_b32_e32 v26, 20, v26
	v_lshl_add_u32 v27, v29, 23, 0x3c000000
	v_lshlrev_b32_sdwa v13, v13, v25 dst_sel:DWORD dst_unused:UNUSED_PAD src0_sel:DWORD src1_sel:WORD_1
	v_and_b32_e32 v13, 0x80000000, v13
	v_or3_b32 v29, v26, v13, v27
.LBB347_1320:                           ;   in Loop: Header=BB347_803 Depth=1
	s_or_b32 exec_lo, exec_lo, s20
.LBB347_1321:                           ;   in Loop: Header=BB347_803 Depth=1
	s_or_b32 exec_lo, exec_lo, s19
.LBB347_1322:                           ;   in Loop: Header=BB347_803 Depth=1
	s_or_b32 exec_lo, exec_lo, s18
	s_mov_b32 s18, exec_lo
	v_cmpx_lt_u64_e64 s[6:7], v[24:25]
	s_cbranch_execz .LBB347_1330
; %bb.1323:                             ;   in Loop: Header=BB347_803 Depth=1
	v_cmp_ne_u32_sdwa s4, v25, v68 src0_sel:BYTE_3 src1_sel:DWORD
	v_bfrev_b32_e32 v28, 1
	s_and_saveexec_b32 s19, s4
	s_cbranch_execz .LBB347_1329
; %bb.1324:                             ;   in Loop: Header=BB347_803 Depth=1
	v_bfe_u32 v26, v25, 24, 7
	v_mov_b32_e32 v28, 0x7f800001
	s_mov_b32 s20, exec_lo
	v_cmpx_ne_u32_e32 0x7f, v26
	s_cbranch_execz .LBB347_1328
; %bb.1325:                             ;   in Loop: Header=BB347_803 Depth=1
	v_mov_b32_e32 v13, 7
	v_lshrrev_b32_e32 v24, 3, v26
	v_cmp_gt_u32_e64 s4, 8, v26
	v_and_b32_sdwa v13, v25, v13 dst_sel:DWORD dst_unused:UNUSED_PAD src0_sel:BYTE_3 src1_sel:DWORD
	v_mov_b32_e32 v27, v14
	v_mov_b32_e32 v26, v13
	s_and_saveexec_b32 s21, s4
; %bb.1326:                             ;   in Loop: Header=BB347_803 Depth=1
	v_ffbh_u32_e32 v24, v13
	v_min_u32_e32 v24, 32, v24
	v_subrev_nc_u32_e32 v26, 28, v24
	v_sub_nc_u32_e32 v24, 29, v24
	v_lshlrev_b64 v[26:27], v26, v[13:14]
	v_and_b32_e32 v26, 7, v26
; %bb.1327:                             ;   in Loop: Header=BB347_803 Depth=1
	s_or_b32 exec_lo, exec_lo, s21
	v_mov_b32_e32 v13, 24
	v_lshl_add_u32 v24, v24, 23, 0x3c000000
	v_lshlrev_b32_sdwa v13, v13, v25 dst_sel:DWORD dst_unused:UNUSED_PAD src0_sel:DWORD src1_sel:BYTE_3
	v_lshlrev_b32_e32 v25, 20, v26
	v_and_b32_e32 v13, 0x80000000, v13
	v_or3_b32 v28, v25, v13, v24
.LBB347_1328:                           ;   in Loop: Header=BB347_803 Depth=1
	s_or_b32 exec_lo, exec_lo, s20
.LBB347_1329:                           ;   in Loop: Header=BB347_803 Depth=1
	s_or_b32 exec_lo, exec_lo, s19
.LBB347_1330:                           ;   in Loop: Header=BB347_803 Depth=1
	s_or_b32 exec_lo, exec_lo, s18
	v_mul_f32_e32 v13, v45, v35
	v_mul_f32_e32 v12, v45, v12
	v_bfe_u32 v24, v13, 16, 1
	v_or_b32_e32 v25, 0x400000, v13
	v_cmp_u_f32_e64 s4, v13, v13
	v_add3_u32 v24, v24, v13, 0x7fff
	v_cndmask_b32_e64 v13, v24, v25, s4
	v_lshrrev_b32_e32 v110, 16, v13
	v_mul_f32_e32 v13, v45, v30
	v_bfe_u32 v24, v13, 16, 1
	v_or_b32_e32 v25, 0x400000, v13
	v_cmp_u_f32_e64 s4, v13, v13
	v_add3_u32 v24, v24, v13, 0x7fff
	v_cndmask_b32_e64 v13, v24, v25, s4
	v_lshrrev_b32_e32 v111, 16, v13
	v_mul_f32_e32 v13, v45, v21
	v_bfe_u32 v21, v13, 16, 1
	v_or_b32_e32 v24, 0x400000, v13
	v_cmp_u_f32_e64 s4, v13, v13
	v_add3_u32 v21, v21, v13, 0x7fff
	v_cndmask_b32_e64 v13, v21, v24, s4
	v_lshrrev_b32_e32 v120, 16, v13
	v_mul_f32_e32 v13, v45, v16
	v_bfe_u32 v16, v13, 16, 1
	v_or_b32_e32 v21, 0x400000, v13
	v_cmp_u_f32_e64 s4, v13, v13
	v_add3_u32 v16, v16, v13, 0x7fff
	v_cndmask_b32_e64 v13, v16, v21, s4
	v_lshrrev_b32_e32 v121, 16, v13
	v_mul_f32_e32 v13, v45, v15
	v_bfe_u32 v15, v13, 16, 1
	v_or_b32_e32 v16, 0x400000, v13
	v_cmp_u_f32_e64 s4, v13, v13
	v_add3_u32 v15, v15, v13, 0x7fff
	v_cndmask_b32_e64 v13, v15, v16, s4
	v_or_b32_e32 v15, 0x400000, v12
	v_cmp_u_f32_e64 s4, v12, v12
	v_lshrrev_b32_e32 v123, 16, v13
	v_bfe_u32 v13, v12, 16, 1
	v_add3_u32 v13, v13, v12, 0x7fff
	v_cndmask_b32_e64 v12, v13, v15, s4
	v_lshrrev_b32_e32 v124, 16, v12
	v_mul_f32_e32 v12, v45, v29
	v_bfe_u32 v13, v12, 16, 1
	v_or_b32_e32 v15, 0x400000, v12
	v_cmp_u_f32_e64 s4, v12, v12
	v_add3_u32 v13, v13, v12, 0x7fff
	v_cndmask_b32_e64 v12, v13, v15, s4
	v_lshrrev_b32_e32 v122, 16, v12
	v_mul_f32_e32 v12, v45, v28
	v_bfe_u32 v13, v12, 16, 1
	v_or_b32_e32 v15, 0x400000, v12
	v_cmp_u_f32_e64 s4, v12, v12
	v_add3_u32 v13, v13, v12, 0x7fff
	v_cndmask_b32_e64 v12, v13, v15, s4
	v_lshrrev_b32_e32 v125, 16, v12
	s_and_saveexec_b32 s18, vcc_lo
	s_cbranch_execz .LBB347_1332
; %bb.1331:                             ;   in Loop: Header=BB347_803 Depth=1
	v_cmp_lt_i32_e64 s4, v46, v32
	v_cndmask_b32_e64 v124, 0, v124, s4
	v_cmp_lt_i32_e64 s4, v61, v32
	v_cndmask_b32_e64 v123, 0, v123, s4
	;; [unrolled: 2-line block ×8, first 2 shown]
.LBB347_1332:                           ;   in Loop: Header=BB347_803 Depth=1
	s_or_b32 exec_lo, exec_lo, s18
	v_add_co_u32 v19, s4, 0x800, v19
	v_add_co_ci_u32_e64 v20, null, 0, v20, s4
	v_mov_b32_e32 v15, 0
	v_mov_b32_e32 v12, 0
	flat_load_dwordx2 v[24:25], v[19:20]
	s_waitcnt vmcnt(0) lgkmcnt(0)
	v_cmp_ne_u16_sdwa s4, v24, v14 src0_sel:BYTE_0 src1_sel:DWORD
	s_and_saveexec_b32 s18, s4
	s_cbranch_execz .LBB347_1340
; %bb.1333:                             ;   in Loop: Header=BB347_803 Depth=1
	v_cmp_ne_u16_sdwa s4, v24, v68 src0_sel:BYTE_0 src1_sel:DWORD
	v_bfrev_b32_e32 v12, 1
	s_and_saveexec_b32 s19, s4
	s_cbranch_execz .LBB347_1339
; %bb.1334:                             ;   in Loop: Header=BB347_803 Depth=1
	v_and_b32_e32 v13, 0x7f, v24
	v_mov_b32_e32 v12, 0x7f800001
	s_mov_b32 s20, exec_lo
	v_cmpx_ne_u32_e32 0x7f, v13
	s_cbranch_execz .LBB347_1338
; %bb.1335:                             ;   in Loop: Header=BB347_803 Depth=1
	v_mov_b32_e32 v27, v25
	v_lshrrev_b32_e32 v12, 3, v13
	v_mov_b32_e32 v26, v24
	s_mov_b32 s21, exec_lo
	v_cmpx_gt_u32_e32 8, v13
; %bb.1336:                             ;   in Loop: Header=BB347_803 Depth=1
	v_and_b32_e32 v12, 7, v24
	v_ffbh_u32_e32 v12, v12
	v_min_u32_e32 v12, 32, v12
	v_subrev_nc_u32_e32 v13, 28, v12
	v_sub_nc_u32_e32 v12, 29, v12
	v_lshlrev_b64 v[26:27], v13, v[24:25]
; %bb.1337:                             ;   in Loop: Header=BB347_803 Depth=1
	s_or_b32 exec_lo, exec_lo, s21
	v_lshlrev_b32_e32 v13, 20, v26
	v_lshlrev_b32_e32 v16, 24, v24
	v_lshl_add_u32 v12, v12, 23, 0x3c000000
	v_and_b32_e32 v13, 0x700000, v13
	v_and_b32_e32 v16, 0x80000000, v16
	v_or3_b32 v12, v13, v16, v12
.LBB347_1338:                           ;   in Loop: Header=BB347_803 Depth=1
	s_or_b32 exec_lo, exec_lo, s20
.LBB347_1339:                           ;   in Loop: Header=BB347_803 Depth=1
	s_or_b32 exec_lo, exec_lo, s19
.LBB347_1340:                           ;   in Loop: Header=BB347_803 Depth=1
	s_or_b32 exec_lo, exec_lo, s18
	v_cmp_ne_u16_sdwa s4, v24, v14 src0_sel:BYTE_1 src1_sel:DWORD
	s_and_saveexec_b32 s18, s4
	s_cbranch_execz .LBB347_1348
; %bb.1341:                             ;   in Loop: Header=BB347_803 Depth=1
	v_cmp_ne_u16_sdwa s4, v24, v68 src0_sel:BYTE_1 src1_sel:DWORD
	v_bfrev_b32_e32 v15, 1
	s_and_saveexec_b32 s19, s4
	s_cbranch_execz .LBB347_1347
; %bb.1342:                             ;   in Loop: Header=BB347_803 Depth=1
	v_mov_b32_e32 v13, 0xffff
	v_mov_b32_e32 v15, 0x7f800001
	s_mov_b32 s20, exec_lo
	v_and_b32_sdwa v13, v13, v24 dst_sel:DWORD dst_unused:UNUSED_PAD src0_sel:DWORD src1_sel:BYTE_1
	v_and_b32_e32 v16, 0x7f, v13
	v_cmpx_ne_u32_e32 0x7f, v16
	s_cbranch_execz .LBB347_1346
; %bb.1343:                             ;   in Loop: Header=BB347_803 Depth=1
	v_and_b32_e32 v13, 7, v13
	v_mov_b32_e32 v27, v14
	v_lshrrev_b32_e32 v15, 3, v16
	s_mov_b32 s21, exec_lo
	v_mov_b32_e32 v26, v13
	v_cmpx_gt_u32_e32 8, v16
; %bb.1344:                             ;   in Loop: Header=BB347_803 Depth=1
	v_ffbh_u32_e32 v15, v13
	v_min_u32_e32 v15, 32, v15
	v_subrev_nc_u32_e32 v16, 28, v15
	v_sub_nc_u32_e32 v15, 29, v15
	v_lshlrev_b64 v[26:27], v16, v[13:14]
	v_and_b32_e32 v26, 7, v26
; %bb.1345:                             ;   in Loop: Header=BB347_803 Depth=1
	s_or_b32 exec_lo, exec_lo, s21
	v_lshlrev_b32_e32 v13, 16, v24
	v_lshlrev_b32_e32 v16, 20, v26
	v_lshl_add_u32 v15, v15, 23, 0x3c000000
	v_and_b32_e32 v13, 0x80000000, v13
	v_or3_b32 v15, v16, v13, v15
.LBB347_1346:                           ;   in Loop: Header=BB347_803 Depth=1
	s_or_b32 exec_lo, exec_lo, s20
.LBB347_1347:                           ;   in Loop: Header=BB347_803 Depth=1
	s_or_b32 exec_lo, exec_lo, s19
.LBB347_1348:                           ;   in Loop: Header=BB347_803 Depth=1
	s_or_b32 exec_lo, exec_lo, s18
	v_and_b32_sdwa v13, v24, v70 dst_sel:DWORD dst_unused:UNUSED_PAD src0_sel:WORD_1 src1_sel:DWORD
	v_mov_b32_e32 v21, 0
	v_mov_b32_e32 v16, 0
	s_mov_b32 s18, exec_lo
	v_cmpx_ne_u16_e32 0, v13
	s_cbranch_execz .LBB347_1356
; %bb.1349:                             ;   in Loop: Header=BB347_803 Depth=1
	v_bfrev_b32_e32 v16, 1
	s_mov_b32 s19, exec_lo
	v_cmpx_ne_u16_e32 0x80, v13
	s_cbranch_execz .LBB347_1355
; %bb.1350:                             ;   in Loop: Header=BB347_803 Depth=1
	v_bfe_u32 v26, v24, 16, 7
	v_mov_b32_e32 v16, 0x7f800001
	s_mov_b32 s20, exec_lo
	v_cmpx_ne_u32_e32 0x7f, v26
	s_cbranch_execz .LBB347_1354
; %bb.1351:                             ;   in Loop: Header=BB347_803 Depth=1
	v_mov_b32_e32 v13, 7
	v_lshrrev_b32_e32 v16, 3, v26
	v_cmp_gt_u32_e64 s4, 8, v26
	v_and_b32_sdwa v13, v24, v13 dst_sel:DWORD dst_unused:UNUSED_PAD src0_sel:WORD_1 src1_sel:DWORD
	v_mov_b32_e32 v27, v14
	v_mov_b32_e32 v26, v13
	s_and_saveexec_b32 s21, s4
; %bb.1352:                             ;   in Loop: Header=BB347_803 Depth=1
	v_ffbh_u32_e32 v16, v13
	v_min_u32_e32 v16, 32, v16
	v_subrev_nc_u32_e32 v26, 28, v16
	v_sub_nc_u32_e32 v16, 29, v16
	v_lshlrev_b64 v[26:27], v26, v[13:14]
	v_and_b32_e32 v26, 7, v26
; %bb.1353:                             ;   in Loop: Header=BB347_803 Depth=1
	s_or_b32 exec_lo, exec_lo, s21
	v_mov_b32_e32 v13, 24
	v_lshlrev_b32_e32 v26, 20, v26
	v_lshl_add_u32 v16, v16, 23, 0x3c000000
	v_lshlrev_b32_sdwa v13, v13, v24 dst_sel:DWORD dst_unused:UNUSED_PAD src0_sel:DWORD src1_sel:WORD_1
	v_and_b32_e32 v13, 0x80000000, v13
	v_or3_b32 v16, v26, v13, v16
.LBB347_1354:                           ;   in Loop: Header=BB347_803 Depth=1
	s_or_b32 exec_lo, exec_lo, s20
.LBB347_1355:                           ;   in Loop: Header=BB347_803 Depth=1
	s_or_b32 exec_lo, exec_lo, s19
.LBB347_1356:                           ;   in Loop: Header=BB347_803 Depth=1
	s_or_b32 exec_lo, exec_lo, s18
	s_mov_b32 s18, exec_lo
	v_cmpx_lt_u32_e32 0xffffff, v24
	s_cbranch_execz .LBB347_1364
; %bb.1357:                             ;   in Loop: Header=BB347_803 Depth=1
	v_cmp_ne_u32_sdwa s4, v24, v68 src0_sel:BYTE_3 src1_sel:DWORD
	v_bfrev_b32_e32 v21, 1
	s_and_saveexec_b32 s19, s4
	s_cbranch_execz .LBB347_1363
; %bb.1358:                             ;   in Loop: Header=BB347_803 Depth=1
	v_bfe_u32 v26, v24, 24, 7
	v_mov_b32_e32 v21, 0x7f800001
	s_mov_b32 s20, exec_lo
	v_cmpx_ne_u32_e32 0x7f, v26
	s_cbranch_execz .LBB347_1362
; %bb.1359:                             ;   in Loop: Header=BB347_803 Depth=1
	v_mov_b32_e32 v13, 7
	v_lshrrev_b32_e32 v21, 3, v26
	v_cmp_gt_u32_e64 s4, 8, v26
	v_and_b32_sdwa v13, v24, v13 dst_sel:DWORD dst_unused:UNUSED_PAD src0_sel:BYTE_3 src1_sel:DWORD
	v_mov_b32_e32 v27, v14
	v_mov_b32_e32 v26, v13
	s_and_saveexec_b32 s21, s4
; %bb.1360:                             ;   in Loop: Header=BB347_803 Depth=1
	v_ffbh_u32_e32 v21, v13
	v_min_u32_e32 v21, 32, v21
	v_subrev_nc_u32_e32 v26, 28, v21
	v_sub_nc_u32_e32 v21, 29, v21
	v_lshlrev_b64 v[26:27], v26, v[13:14]
	v_and_b32_e32 v26, 7, v26
; %bb.1361:                             ;   in Loop: Header=BB347_803 Depth=1
	s_or_b32 exec_lo, exec_lo, s21
	v_mov_b32_e32 v13, 24
	v_lshlrev_b32_e32 v26, 20, v26
	v_lshl_add_u32 v21, v21, 23, 0x3c000000
	v_lshlrev_b32_sdwa v13, v13, v24 dst_sel:DWORD dst_unused:UNUSED_PAD src0_sel:DWORD src1_sel:BYTE_3
	v_and_b32_e32 v13, 0x80000000, v13
	v_or3_b32 v21, v26, v13, v21
.LBB347_1362:                           ;   in Loop: Header=BB347_803 Depth=1
	s_or_b32 exec_lo, exec_lo, s20
.LBB347_1363:                           ;   in Loop: Header=BB347_803 Depth=1
	s_or_b32 exec_lo, exec_lo, s19
.LBB347_1364:                           ;   in Loop: Header=BB347_803 Depth=1
	s_or_b32 exec_lo, exec_lo, s18
	v_mov_b32_e32 v13, v25
	v_cmp_ne_u16_sdwa s4, v25, v14 src0_sel:BYTE_0 src1_sel:DWORD
	v_mov_b32_e32 v35, 0
	v_mov_b32_e32 v29, 0
	s_and_saveexec_b32 s18, s4
	s_cbranch_execz .LBB347_1372
; %bb.1365:                             ;   in Loop: Header=BB347_803 Depth=1
	v_cmp_ne_u16_sdwa s4, v25, v68 src0_sel:BYTE_0 src1_sel:DWORD
	v_bfrev_b32_e32 v29, 1
	s_and_saveexec_b32 s19, s4
	s_cbranch_execz .LBB347_1371
; %bb.1366:                             ;   in Loop: Header=BB347_803 Depth=1
	v_and_b32_e32 v26, 0x7f, v25
	v_mov_b32_e32 v29, 0x7f800001
	s_mov_b32 s20, exec_lo
	v_cmpx_ne_u32_e32 0x7f, v26
	s_cbranch_execz .LBB347_1370
; %bb.1367:                             ;   in Loop: Header=BB347_803 Depth=1
	v_lshrrev_b32_e32 v28, 3, v26
	v_cmp_gt_u32_e64 s4, 8, v26
	v_mov_b32_e32 v27, v14
	v_mov_b32_e32 v26, v13
	s_and_saveexec_b32 s21, s4
; %bb.1368:                             ;   in Loop: Header=BB347_803 Depth=1
	v_and_b32_e32 v26, 7, v25
	v_ffbh_u32_e32 v26, v26
	v_min_u32_e32 v28, 32, v26
	v_subrev_nc_u32_e32 v26, 28, v28
	v_sub_nc_u32_e32 v28, 29, v28
	v_lshlrev_b64 v[26:27], v26, v[13:14]
; %bb.1369:                             ;   in Loop: Header=BB347_803 Depth=1
	s_or_b32 exec_lo, exec_lo, s21
	v_lshlrev_b32_e32 v26, 20, v26
	v_lshlrev_b32_e32 v27, 24, v13
	v_lshl_add_u32 v28, v28, 23, 0x3c000000
	v_and_b32_e32 v26, 0x700000, v26
	v_and_b32_e32 v27, 0x80000000, v27
	v_or3_b32 v29, v26, v27, v28
.LBB347_1370:                           ;   in Loop: Header=BB347_803 Depth=1
	s_or_b32 exec_lo, exec_lo, s20
.LBB347_1371:                           ;   in Loop: Header=BB347_803 Depth=1
	s_or_b32 exec_lo, exec_lo, s19
.LBB347_1372:                           ;   in Loop: Header=BB347_803 Depth=1
	s_or_b32 exec_lo, exec_lo, s18
	v_cmp_ne_u16_sdwa s4, v13, v14 src0_sel:BYTE_1 src1_sel:DWORD
	s_and_saveexec_b32 s18, s4
	s_cbranch_execz .LBB347_1380
; %bb.1373:                             ;   in Loop: Header=BB347_803 Depth=1
	v_cmp_ne_u16_sdwa s4, v13, v68 src0_sel:BYTE_1 src1_sel:DWORD
	v_bfrev_b32_e32 v35, 1
	s_and_saveexec_b32 s19, s4
	s_cbranch_execz .LBB347_1379
; %bb.1374:                             ;   in Loop: Header=BB347_803 Depth=1
	v_mov_b32_e32 v26, 0xffff
	v_mov_b32_e32 v35, 0x7f800001
	s_mov_b32 s20, exec_lo
	v_and_b32_sdwa v26, v26, v13 dst_sel:DWORD dst_unused:UNUSED_PAD src0_sel:DWORD src1_sel:BYTE_1
	v_and_b32_e32 v30, 0x7f, v26
	v_cmpx_ne_u32_e32 0x7f, v30
	s_cbranch_execz .LBB347_1378
; %bb.1375:                             ;   in Loop: Header=BB347_803 Depth=1
	v_and_b32_e32 v26, 7, v26
	v_mov_b32_e32 v27, v14
	v_lshrrev_b32_e32 v28, 3, v30
	s_mov_b32 s21, exec_lo
	v_cmpx_gt_u32_e32 8, v30
; %bb.1376:                             ;   in Loop: Header=BB347_803 Depth=1
	v_ffbh_u32_e32 v28, v26
	v_min_u32_e32 v28, 32, v28
	v_subrev_nc_u32_e32 v30, 28, v28
	v_sub_nc_u32_e32 v28, 29, v28
	v_lshlrev_b64 v[26:27], v30, v[26:27]
	v_and_b32_e32 v26, 7, v26
; %bb.1377:                             ;   in Loop: Header=BB347_803 Depth=1
	s_or_b32 exec_lo, exec_lo, s21
	v_lshlrev_b32_e32 v13, 16, v13
	v_lshlrev_b32_e32 v26, 20, v26
	v_lshl_add_u32 v27, v28, 23, 0x3c000000
	v_and_b32_e32 v13, 0x80000000, v13
	v_or3_b32 v35, v26, v13, v27
.LBB347_1378:                           ;   in Loop: Header=BB347_803 Depth=1
	s_or_b32 exec_lo, exec_lo, s20
.LBB347_1379:                           ;   in Loop: Header=BB347_803 Depth=1
	s_or_b32 exec_lo, exec_lo, s19
.LBB347_1380:                           ;   in Loop: Header=BB347_803 Depth=1
	s_or_b32 exec_lo, exec_lo, s18
	v_and_b32_sdwa v13, v25, v70 dst_sel:DWORD dst_unused:UNUSED_PAD src0_sel:WORD_1 src1_sel:DWORD
	v_mov_b32_e32 v28, 0
	v_mov_b32_e32 v30, 0
	s_mov_b32 s18, exec_lo
	v_cmpx_ne_u16_e32 0, v13
	s_cbranch_execz .LBB347_1388
; %bb.1381:                             ;   in Loop: Header=BB347_803 Depth=1
	v_bfrev_b32_e32 v30, 1
	s_mov_b32 s19, exec_lo
	v_cmpx_ne_u16_e32 0x80, v13
	s_cbranch_execz .LBB347_1387
; %bb.1382:                             ;   in Loop: Header=BB347_803 Depth=1
	v_bfe_u32 v26, v25, 16, 7
	v_mov_b32_e32 v30, 0x7f800001
	s_mov_b32 s20, exec_lo
	v_cmpx_ne_u32_e32 0x7f, v26
	s_cbranch_execz .LBB347_1386
; %bb.1383:                             ;   in Loop: Header=BB347_803 Depth=1
	v_mov_b32_e32 v13, 7
	v_lshrrev_b32_e32 v30, 3, v26
	v_cmp_gt_u32_e64 s4, 8, v26
	v_and_b32_sdwa v13, v25, v13 dst_sel:DWORD dst_unused:UNUSED_PAD src0_sel:WORD_1 src1_sel:DWORD
	v_mov_b32_e32 v27, v14
	v_mov_b32_e32 v26, v13
	s_and_saveexec_b32 s21, s4
; %bb.1384:                             ;   in Loop: Header=BB347_803 Depth=1
	v_ffbh_u32_e32 v26, v13
	v_min_u32_e32 v30, 32, v26
	v_subrev_nc_u32_e32 v26, 28, v30
	v_sub_nc_u32_e32 v30, 29, v30
	v_lshlrev_b64 v[26:27], v26, v[13:14]
	v_and_b32_e32 v26, 7, v26
; %bb.1385:                             ;   in Loop: Header=BB347_803 Depth=1
	s_or_b32 exec_lo, exec_lo, s21
	v_mov_b32_e32 v13, 24
	v_lshlrev_b32_e32 v26, 20, v26
	v_lshl_add_u32 v27, v30, 23, 0x3c000000
	v_lshlrev_b32_sdwa v13, v13, v25 dst_sel:DWORD dst_unused:UNUSED_PAD src0_sel:DWORD src1_sel:WORD_1
	v_and_b32_e32 v13, 0x80000000, v13
	v_or3_b32 v30, v26, v13, v27
.LBB347_1386:                           ;   in Loop: Header=BB347_803 Depth=1
	s_or_b32 exec_lo, exec_lo, s20
.LBB347_1387:                           ;   in Loop: Header=BB347_803 Depth=1
	s_or_b32 exec_lo, exec_lo, s19
.LBB347_1388:                           ;   in Loop: Header=BB347_803 Depth=1
	s_or_b32 exec_lo, exec_lo, s18
	s_mov_b32 s18, exec_lo
	v_cmpx_lt_u64_e64 s[6:7], v[24:25]
	s_cbranch_execz .LBB347_1396
; %bb.1389:                             ;   in Loop: Header=BB347_803 Depth=1
	v_cmp_ne_u32_sdwa s4, v25, v68 src0_sel:BYTE_3 src1_sel:DWORD
	v_bfrev_b32_e32 v28, 1
	s_and_saveexec_b32 s19, s4
	s_cbranch_execz .LBB347_1395
; %bb.1390:                             ;   in Loop: Header=BB347_803 Depth=1
	v_bfe_u32 v26, v25, 24, 7
	v_mov_b32_e32 v28, 0x7f800001
	s_mov_b32 s20, exec_lo
	v_cmpx_ne_u32_e32 0x7f, v26
	s_cbranch_execz .LBB347_1394
; %bb.1391:                             ;   in Loop: Header=BB347_803 Depth=1
	v_mov_b32_e32 v13, 7
	v_lshrrev_b32_e32 v24, 3, v26
	v_cmp_gt_u32_e64 s4, 8, v26
	v_and_b32_sdwa v13, v25, v13 dst_sel:DWORD dst_unused:UNUSED_PAD src0_sel:BYTE_3 src1_sel:DWORD
	v_mov_b32_e32 v27, v14
	v_mov_b32_e32 v26, v13
	s_and_saveexec_b32 s21, s4
; %bb.1392:                             ;   in Loop: Header=BB347_803 Depth=1
	v_ffbh_u32_e32 v24, v13
	v_min_u32_e32 v24, 32, v24
	v_subrev_nc_u32_e32 v26, 28, v24
	v_sub_nc_u32_e32 v24, 29, v24
	v_lshlrev_b64 v[26:27], v26, v[13:14]
	v_and_b32_e32 v26, 7, v26
; %bb.1393:                             ;   in Loop: Header=BB347_803 Depth=1
	s_or_b32 exec_lo, exec_lo, s21
	v_mov_b32_e32 v13, 24
	v_lshl_add_u32 v24, v24, 23, 0x3c000000
	v_lshlrev_b32_sdwa v13, v13, v25 dst_sel:DWORD dst_unused:UNUSED_PAD src0_sel:DWORD src1_sel:BYTE_3
	v_lshlrev_b32_e32 v25, 20, v26
	v_and_b32_e32 v13, 0x80000000, v13
	v_or3_b32 v28, v25, v13, v24
.LBB347_1394:                           ;   in Loop: Header=BB347_803 Depth=1
	s_or_b32 exec_lo, exec_lo, s20
.LBB347_1395:                           ;   in Loop: Header=BB347_803 Depth=1
	s_or_b32 exec_lo, exec_lo, s19
.LBB347_1396:                           ;   in Loop: Header=BB347_803 Depth=1
	s_or_b32 exec_lo, exec_lo, s18
	v_mul_f32_e32 v13, v45, v35
	v_mul_f32_e32 v12, v45, v12
	v_bfe_u32 v24, v13, 16, 1
	v_or_b32_e32 v25, 0x400000, v13
	v_cmp_u_f32_e64 s4, v13, v13
	v_add3_u32 v24, v24, v13, 0x7fff
	v_cndmask_b32_e64 v13, v24, v25, s4
	v_lshrrev_b32_e32 v126, 16, v13
	v_mul_f32_e32 v13, v45, v29
	v_bfe_u32 v24, v13, 16, 1
	v_or_b32_e32 v25, 0x400000, v13
	v_cmp_u_f32_e64 s4, v13, v13
	v_add3_u32 v24, v24, v13, 0x7fff
	v_cndmask_b32_e64 v13, v24, v25, s4
	v_lshrrev_b32_e32 v127, 16, v13
	;; [unrolled: 7-line block ×4, first 2 shown]
	v_mul_f32_e32 v13, v45, v15
	v_bfe_u32 v15, v13, 16, 1
	v_or_b32_e32 v16, 0x400000, v13
	v_cmp_u_f32_e64 s4, v13, v13
	v_add3_u32 v15, v15, v13, 0x7fff
	v_cndmask_b32_e64 v13, v15, v16, s4
	v_or_b32_e32 v15, 0x400000, v12
	v_cmp_u_f32_e64 s4, v12, v12
	v_lshrrev_b32_e32 v16, 16, v13
	v_bfe_u32 v13, v12, 16, 1
	v_add3_u32 v13, v13, v12, 0x7fff
	v_cndmask_b32_e64 v12, v13, v15, s4
	v_lshrrev_b32_e32 v83, 16, v12
	v_mul_f32_e32 v12, v45, v30
	v_bfe_u32 v13, v12, 16, 1
	v_or_b32_e32 v15, 0x400000, v12
	v_cmp_u_f32_e64 s4, v12, v12
	v_add3_u32 v13, v13, v12, 0x7fff
	v_cndmask_b32_e64 v12, v13, v15, s4
	v_lshrrev_b32_e32 v15, 16, v12
	v_mul_f32_e32 v12, v45, v28
	v_bfe_u32 v13, v12, 16, 1
	v_or_b32_e32 v21, 0x400000, v12
	v_cmp_u_f32_e64 s4, v12, v12
	v_add3_u32 v13, v13, v12, 0x7fff
	v_cndmask_b32_e64 v12, v13, v21, s4
	v_lshrrev_b32_e32 v21, 16, v12
	s_and_saveexec_b32 s18, vcc_lo
	s_cbranch_execz .LBB347_1398
; %bb.1397:                             ;   in Loop: Header=BB347_803 Depth=1
	v_cmp_lt_i32_e64 s4, v46, v32
	v_cndmask_b32_e64 v83, 0, v83, s4
	v_cmp_lt_i32_e64 s4, v61, v32
	v_cndmask_b32_e64 v16, 0, v16, s4
	;; [unrolled: 2-line block ×8, first 2 shown]
.LBB347_1398:                           ;   in Loop: Header=BB347_803 Depth=1
	s_or_b32 exec_lo, exec_lo, s18
	flat_load_dwordx2 v[24:25], v[19:20] offset:256
	v_mov_b32_e32 v28, 0
	v_mov_b32_e32 v12, 0
	s_waitcnt vmcnt(0) lgkmcnt(0)
	v_cmp_ne_u16_sdwa s4, v24, v14 src0_sel:BYTE_0 src1_sel:DWORD
	s_and_saveexec_b32 s18, s4
	s_cbranch_execz .LBB347_1406
; %bb.1399:                             ;   in Loop: Header=BB347_803 Depth=1
	v_cmp_ne_u16_sdwa s4, v24, v68 src0_sel:BYTE_0 src1_sel:DWORD
	v_bfrev_b32_e32 v12, 1
	s_and_saveexec_b32 s19, s4
	s_cbranch_execz .LBB347_1405
; %bb.1400:                             ;   in Loop: Header=BB347_803 Depth=1
	v_and_b32_e32 v13, 0x7f, v24
	v_mov_b32_e32 v12, 0x7f800001
	s_mov_b32 s20, exec_lo
	v_cmpx_ne_u32_e32 0x7f, v13
	s_cbranch_execz .LBB347_1404
; %bb.1401:                             ;   in Loop: Header=BB347_803 Depth=1
	v_mov_b32_e32 v27, v25
	v_lshrrev_b32_e32 v12, 3, v13
	v_mov_b32_e32 v26, v24
	s_mov_b32 s21, exec_lo
	v_cmpx_gt_u32_e32 8, v13
; %bb.1402:                             ;   in Loop: Header=BB347_803 Depth=1
	v_and_b32_e32 v12, 7, v24
	v_ffbh_u32_e32 v12, v12
	v_min_u32_e32 v12, 32, v12
	v_subrev_nc_u32_e32 v13, 28, v12
	v_sub_nc_u32_e32 v12, 29, v12
	v_lshlrev_b64 v[26:27], v13, v[24:25]
; %bb.1403:                             ;   in Loop: Header=BB347_803 Depth=1
	s_or_b32 exec_lo, exec_lo, s21
	v_lshlrev_b32_e32 v13, 20, v26
	v_lshlrev_b32_e32 v26, 24, v24
	v_lshl_add_u32 v12, v12, 23, 0x3c000000
	v_and_b32_e32 v13, 0x700000, v13
	v_and_b32_e32 v26, 0x80000000, v26
	v_or3_b32 v12, v13, v26, v12
.LBB347_1404:                           ;   in Loop: Header=BB347_803 Depth=1
	s_or_b32 exec_lo, exec_lo, s20
.LBB347_1405:                           ;   in Loop: Header=BB347_803 Depth=1
	s_or_b32 exec_lo, exec_lo, s19
.LBB347_1406:                           ;   in Loop: Header=BB347_803 Depth=1
	s_or_b32 exec_lo, exec_lo, s18
	v_cmp_ne_u16_sdwa s4, v24, v14 src0_sel:BYTE_1 src1_sel:DWORD
	s_and_saveexec_b32 s18, s4
	s_cbranch_execz .LBB347_1414
; %bb.1407:                             ;   in Loop: Header=BB347_803 Depth=1
	v_cmp_ne_u16_sdwa s4, v24, v68 src0_sel:BYTE_1 src1_sel:DWORD
	v_bfrev_b32_e32 v28, 1
	s_and_saveexec_b32 s19, s4
	s_cbranch_execz .LBB347_1413
; %bb.1408:                             ;   in Loop: Header=BB347_803 Depth=1
	v_mov_b32_e32 v13, 0xffff
	v_mov_b32_e32 v28, 0x7f800001
	s_mov_b32 s20, exec_lo
	v_and_b32_sdwa v13, v13, v24 dst_sel:DWORD dst_unused:UNUSED_PAD src0_sel:DWORD src1_sel:BYTE_1
	v_and_b32_e32 v26, 0x7f, v13
	v_cmpx_ne_u32_e32 0x7f, v26
	s_cbranch_execz .LBB347_1412
; %bb.1409:                             ;   in Loop: Header=BB347_803 Depth=1
	v_and_b32_e32 v13, 7, v13
	v_lshrrev_b32_e32 v28, 3, v26
	v_cmp_gt_u32_e64 s4, 8, v26
	v_mov_b32_e32 v27, v14
	v_mov_b32_e32 v26, v13
	s_and_saveexec_b32 s21, s4
; %bb.1410:                             ;   in Loop: Header=BB347_803 Depth=1
	v_ffbh_u32_e32 v26, v13
	v_min_u32_e32 v28, 32, v26
	v_subrev_nc_u32_e32 v26, 28, v28
	v_sub_nc_u32_e32 v28, 29, v28
	v_lshlrev_b64 v[26:27], v26, v[13:14]
	v_and_b32_e32 v26, 7, v26
; %bb.1411:                             ;   in Loop: Header=BB347_803 Depth=1
	s_or_b32 exec_lo, exec_lo, s21
	v_lshlrev_b32_e32 v13, 16, v24
	v_lshlrev_b32_e32 v26, 20, v26
	v_lshl_add_u32 v27, v28, 23, 0x3c000000
	v_and_b32_e32 v13, 0x80000000, v13
	v_or3_b32 v28, v26, v13, v27
.LBB347_1412:                           ;   in Loop: Header=BB347_803 Depth=1
	s_or_b32 exec_lo, exec_lo, s20
.LBB347_1413:                           ;   in Loop: Header=BB347_803 Depth=1
	s_or_b32 exec_lo, exec_lo, s19
.LBB347_1414:                           ;   in Loop: Header=BB347_803 Depth=1
	s_or_b32 exec_lo, exec_lo, s18
	v_and_b32_sdwa v13, v24, v70 dst_sel:DWORD dst_unused:UNUSED_PAD src0_sel:WORD_1 src1_sel:DWORD
	v_mov_b32_e32 v39, 0
	v_mov_b32_e32 v35, 0
	s_mov_b32 s18, exec_lo
	v_cmpx_ne_u16_e32 0, v13
	s_cbranch_execz .LBB347_1422
; %bb.1415:                             ;   in Loop: Header=BB347_803 Depth=1
	v_bfrev_b32_e32 v35, 1
	s_mov_b32 s19, exec_lo
	v_cmpx_ne_u16_e32 0x80, v13
	s_cbranch_execz .LBB347_1421
; %bb.1416:                             ;   in Loop: Header=BB347_803 Depth=1
	v_bfe_u32 v26, v24, 16, 7
	v_mov_b32_e32 v35, 0x7f800001
	s_mov_b32 s20, exec_lo
	v_cmpx_ne_u32_e32 0x7f, v26
	s_cbranch_execz .LBB347_1420
; %bb.1417:                             ;   in Loop: Header=BB347_803 Depth=1
	v_mov_b32_e32 v13, 7
	v_lshrrev_b32_e32 v30, 3, v26
	v_cmp_gt_u32_e64 s4, 8, v26
	v_and_b32_sdwa v13, v24, v13 dst_sel:DWORD dst_unused:UNUSED_PAD src0_sel:WORD_1 src1_sel:DWORD
	v_mov_b32_e32 v27, v14
	v_mov_b32_e32 v26, v13
	s_and_saveexec_b32 s21, s4
; %bb.1418:                             ;   in Loop: Header=BB347_803 Depth=1
	v_ffbh_u32_e32 v26, v13
	v_min_u32_e32 v30, 32, v26
	v_subrev_nc_u32_e32 v26, 28, v30
	v_sub_nc_u32_e32 v30, 29, v30
	v_lshlrev_b64 v[26:27], v26, v[13:14]
	v_and_b32_e32 v26, 7, v26
; %bb.1419:                             ;   in Loop: Header=BB347_803 Depth=1
	s_or_b32 exec_lo, exec_lo, s21
	v_mov_b32_e32 v13, 24
	v_lshlrev_b32_e32 v26, 20, v26
	v_lshl_add_u32 v27, v30, 23, 0x3c000000
	v_lshlrev_b32_sdwa v13, v13, v24 dst_sel:DWORD dst_unused:UNUSED_PAD src0_sel:DWORD src1_sel:WORD_1
	v_and_b32_e32 v13, 0x80000000, v13
	v_or3_b32 v35, v26, v13, v27
.LBB347_1420:                           ;   in Loop: Header=BB347_803 Depth=1
	s_or_b32 exec_lo, exec_lo, s20
.LBB347_1421:                           ;   in Loop: Header=BB347_803 Depth=1
	s_or_b32 exec_lo, exec_lo, s19
.LBB347_1422:                           ;   in Loop: Header=BB347_803 Depth=1
	s_or_b32 exec_lo, exec_lo, s18
	s_mov_b32 s18, exec_lo
	v_cmpx_lt_u32_e32 0xffffff, v24
	s_cbranch_execz .LBB347_1430
; %bb.1423:                             ;   in Loop: Header=BB347_803 Depth=1
	v_cmp_ne_u32_sdwa s4, v24, v68 src0_sel:BYTE_3 src1_sel:DWORD
	v_bfrev_b32_e32 v39, 1
	s_and_saveexec_b32 s19, s4
	s_cbranch_execz .LBB347_1429
; %bb.1424:                             ;   in Loop: Header=BB347_803 Depth=1
	v_bfe_u32 v26, v24, 24, 7
	v_mov_b32_e32 v39, 0x7f800001
	s_mov_b32 s20, exec_lo
	v_cmpx_ne_u32_e32 0x7f, v26
	s_cbranch_execz .LBB347_1428
; %bb.1425:                             ;   in Loop: Header=BB347_803 Depth=1
	v_mov_b32_e32 v13, 7
	v_lshrrev_b32_e32 v30, 3, v26
	v_cmp_gt_u32_e64 s4, 8, v26
	v_and_b32_sdwa v13, v24, v13 dst_sel:DWORD dst_unused:UNUSED_PAD src0_sel:BYTE_3 src1_sel:DWORD
	v_mov_b32_e32 v27, v14
	v_mov_b32_e32 v26, v13
	s_and_saveexec_b32 s21, s4
; %bb.1426:                             ;   in Loop: Header=BB347_803 Depth=1
	v_ffbh_u32_e32 v26, v13
	v_min_u32_e32 v30, 32, v26
	v_subrev_nc_u32_e32 v26, 28, v30
	v_sub_nc_u32_e32 v30, 29, v30
	v_lshlrev_b64 v[26:27], v26, v[13:14]
	v_and_b32_e32 v26, 7, v26
; %bb.1427:                             ;   in Loop: Header=BB347_803 Depth=1
	s_or_b32 exec_lo, exec_lo, s21
	v_mov_b32_e32 v13, 24
	v_lshlrev_b32_e32 v26, 20, v26
	v_lshl_add_u32 v27, v30, 23, 0x3c000000
	v_lshlrev_b32_sdwa v13, v13, v24 dst_sel:DWORD dst_unused:UNUSED_PAD src0_sel:DWORD src1_sel:BYTE_3
	v_and_b32_e32 v13, 0x80000000, v13
	v_or3_b32 v39, v26, v13, v27
.LBB347_1428:                           ;   in Loop: Header=BB347_803 Depth=1
	s_or_b32 exec_lo, exec_lo, s20
.LBB347_1429:                           ;   in Loop: Header=BB347_803 Depth=1
	s_or_b32 exec_lo, exec_lo, s19
.LBB347_1430:                           ;   in Loop: Header=BB347_803 Depth=1
	s_or_b32 exec_lo, exec_lo, s18
	v_mov_b32_e32 v13, v25
	v_cmp_ne_u16_sdwa s4, v25, v14 src0_sel:BYTE_0 src1_sel:DWORD
	v_mov_b32_e32 v30, 0
	v_mov_b32_e32 v38, 0
	s_and_saveexec_b32 s18, s4
	s_cbranch_execz .LBB347_1438
; %bb.1431:                             ;   in Loop: Header=BB347_803 Depth=1
	v_cmp_ne_u16_sdwa s4, v25, v68 src0_sel:BYTE_0 src1_sel:DWORD
	v_bfrev_b32_e32 v38, 1
	s_and_saveexec_b32 s19, s4
	s_cbranch_execz .LBB347_1437
; %bb.1432:                             ;   in Loop: Header=BB347_803 Depth=1
	v_and_b32_e32 v26, 0x7f, v25
	v_mov_b32_e32 v38, 0x7f800001
	s_mov_b32 s20, exec_lo
	v_cmpx_ne_u32_e32 0x7f, v26
	s_cbranch_execz .LBB347_1436
; %bb.1433:                             ;   in Loop: Header=BB347_803 Depth=1
	v_lshrrev_b32_e32 v38, 3, v26
	v_cmp_gt_u32_e64 s4, 8, v26
	v_mov_b32_e32 v27, v14
	v_mov_b32_e32 v26, v13
	s_and_saveexec_b32 s21, s4
; %bb.1434:                             ;   in Loop: Header=BB347_803 Depth=1
	v_and_b32_e32 v26, 7, v25
	v_ffbh_u32_e32 v26, v26
	v_min_u32_e32 v38, 32, v26
	v_subrev_nc_u32_e32 v26, 28, v38
	v_sub_nc_u32_e32 v38, 29, v38
	v_lshlrev_b64 v[26:27], v26, v[13:14]
; %bb.1435:                             ;   in Loop: Header=BB347_803 Depth=1
	s_or_b32 exec_lo, exec_lo, s21
	v_lshlrev_b32_e32 v26, 20, v26
	v_lshlrev_b32_e32 v27, 24, v13
	v_lshl_add_u32 v38, v38, 23, 0x3c000000
	v_and_b32_e32 v26, 0x700000, v26
	v_and_b32_e32 v27, 0x80000000, v27
	v_or3_b32 v38, v26, v27, v38
.LBB347_1436:                           ;   in Loop: Header=BB347_803 Depth=1
	s_or_b32 exec_lo, exec_lo, s20
.LBB347_1437:                           ;   in Loop: Header=BB347_803 Depth=1
	s_or_b32 exec_lo, exec_lo, s19
.LBB347_1438:                           ;   in Loop: Header=BB347_803 Depth=1
	s_or_b32 exec_lo, exec_lo, s18
	v_cmp_ne_u16_sdwa s4, v13, v14 src0_sel:BYTE_1 src1_sel:DWORD
	s_and_saveexec_b32 s18, s4
	s_cbranch_execz .LBB347_1446
; %bb.1439:                             ;   in Loop: Header=BB347_803 Depth=1
	v_cmp_ne_u16_sdwa s4, v13, v68 src0_sel:BYTE_1 src1_sel:DWORD
	v_bfrev_b32_e32 v30, 1
	s_and_saveexec_b32 s19, s4
	s_cbranch_execz .LBB347_1445
; %bb.1440:                             ;   in Loop: Header=BB347_803 Depth=1
	v_mov_b32_e32 v26, 0xffff
	v_mov_b32_e32 v30, 0x7f800001
	s_mov_b32 s20, exec_lo
	v_and_b32_sdwa v26, v26, v13 dst_sel:DWORD dst_unused:UNUSED_PAD src0_sel:DWORD src1_sel:BYTE_1
	v_and_b32_e32 v48, 0x7f, v26
	v_cmpx_ne_u32_e32 0x7f, v48
	s_cbranch_execz .LBB347_1444
; %bb.1441:                             ;   in Loop: Header=BB347_803 Depth=1
	v_and_b32_e32 v26, 7, v26
	v_mov_b32_e32 v27, v14
	v_lshrrev_b32_e32 v30, 3, v48
	s_mov_b32 s21, exec_lo
	v_cmpx_gt_u32_e32 8, v48
; %bb.1442:                             ;   in Loop: Header=BB347_803 Depth=1
	v_ffbh_u32_e32 v30, v26
	v_min_u32_e32 v30, 32, v30
	v_subrev_nc_u32_e32 v48, 28, v30
	v_sub_nc_u32_e32 v30, 29, v30
	v_lshlrev_b64 v[26:27], v48, v[26:27]
	v_and_b32_e32 v26, 7, v26
; %bb.1443:                             ;   in Loop: Header=BB347_803 Depth=1
	s_or_b32 exec_lo, exec_lo, s21
	v_lshlrev_b32_e32 v13, 16, v13
	v_lshlrev_b32_e32 v26, 20, v26
	v_lshl_add_u32 v27, v30, 23, 0x3c000000
	v_and_b32_e32 v13, 0x80000000, v13
	v_or3_b32 v30, v26, v13, v27
.LBB347_1444:                           ;   in Loop: Header=BB347_803 Depth=1
	s_or_b32 exec_lo, exec_lo, s20
.LBB347_1445:                           ;   in Loop: Header=BB347_803 Depth=1
	s_or_b32 exec_lo, exec_lo, s19
.LBB347_1446:                           ;   in Loop: Header=BB347_803 Depth=1
	s_or_b32 exec_lo, exec_lo, s18
	v_and_b32_sdwa v13, v25, v70 dst_sel:DWORD dst_unused:UNUSED_PAD src0_sel:WORD_1 src1_sel:DWORD
	v_mov_b32_e32 v54, 0
	v_mov_b32_e32 v51, 0
	s_mov_b32 s18, exec_lo
	v_cmpx_ne_u16_e32 0, v13
	s_cbranch_execz .LBB347_1454
; %bb.1447:                             ;   in Loop: Header=BB347_803 Depth=1
	v_bfrev_b32_e32 v51, 1
	s_mov_b32 s19, exec_lo
	v_cmpx_ne_u16_e32 0x80, v13
	s_cbranch_execz .LBB347_1453
; %bb.1448:                             ;   in Loop: Header=BB347_803 Depth=1
	v_bfe_u32 v26, v25, 16, 7
	v_mov_b32_e32 v51, 0x7f800001
	s_mov_b32 s20, exec_lo
	v_cmpx_ne_u32_e32 0x7f, v26
	s_cbranch_execz .LBB347_1452
; %bb.1449:                             ;   in Loop: Header=BB347_803 Depth=1
	v_mov_b32_e32 v13, 7
	v_lshrrev_b32_e32 v48, 3, v26
	v_cmp_gt_u32_e64 s4, 8, v26
	v_and_b32_sdwa v13, v25, v13 dst_sel:DWORD dst_unused:UNUSED_PAD src0_sel:WORD_1 src1_sel:DWORD
	v_mov_b32_e32 v27, v14
	v_mov_b32_e32 v26, v13
	s_and_saveexec_b32 s21, s4
; %bb.1450:                             ;   in Loop: Header=BB347_803 Depth=1
	v_ffbh_u32_e32 v26, v13
	v_min_u32_e32 v48, 32, v26
	v_subrev_nc_u32_e32 v26, 28, v48
	v_sub_nc_u32_e32 v48, 29, v48
	v_lshlrev_b64 v[26:27], v26, v[13:14]
	v_and_b32_e32 v26, 7, v26
; %bb.1451:                             ;   in Loop: Header=BB347_803 Depth=1
	s_or_b32 exec_lo, exec_lo, s21
	v_mov_b32_e32 v13, 24
	v_lshlrev_b32_e32 v26, 20, v26
	v_lshl_add_u32 v27, v48, 23, 0x3c000000
	v_lshlrev_b32_sdwa v13, v13, v25 dst_sel:DWORD dst_unused:UNUSED_PAD src0_sel:DWORD src1_sel:WORD_1
	v_and_b32_e32 v13, 0x80000000, v13
	v_or3_b32 v51, v26, v13, v27
.LBB347_1452:                           ;   in Loop: Header=BB347_803 Depth=1
	s_or_b32 exec_lo, exec_lo, s20
.LBB347_1453:                           ;   in Loop: Header=BB347_803 Depth=1
	s_or_b32 exec_lo, exec_lo, s19
.LBB347_1454:                           ;   in Loop: Header=BB347_803 Depth=1
	s_or_b32 exec_lo, exec_lo, s18
	s_mov_b32 s18, exec_lo
	v_cmpx_lt_u64_e64 s[6:7], v[24:25]
	s_cbranch_execz .LBB347_1462
; %bb.1455:                             ;   in Loop: Header=BB347_803 Depth=1
	v_cmp_ne_u32_sdwa s4, v25, v68 src0_sel:BYTE_3 src1_sel:DWORD
	v_bfrev_b32_e32 v54, 1
	s_and_saveexec_b32 s19, s4
	s_cbranch_execz .LBB347_1461
; %bb.1456:                             ;   in Loop: Header=BB347_803 Depth=1
	v_bfe_u32 v26, v25, 24, 7
	v_mov_b32_e32 v54, 0x7f800001
	s_mov_b32 s20, exec_lo
	v_cmpx_ne_u32_e32 0x7f, v26
	s_cbranch_execz .LBB347_1460
; %bb.1457:                             ;   in Loop: Header=BB347_803 Depth=1
	v_mov_b32_e32 v13, 7
	v_lshrrev_b32_e32 v24, 3, v26
	v_cmp_gt_u32_e64 s4, 8, v26
	v_and_b32_sdwa v13, v25, v13 dst_sel:DWORD dst_unused:UNUSED_PAD src0_sel:BYTE_3 src1_sel:DWORD
	v_mov_b32_e32 v27, v14
	v_mov_b32_e32 v26, v13
	s_and_saveexec_b32 s21, s4
; %bb.1458:                             ;   in Loop: Header=BB347_803 Depth=1
	v_ffbh_u32_e32 v24, v13
	v_min_u32_e32 v24, 32, v24
	v_subrev_nc_u32_e32 v26, 28, v24
	v_sub_nc_u32_e32 v24, 29, v24
	v_lshlrev_b64 v[26:27], v26, v[13:14]
	v_and_b32_e32 v26, 7, v26
; %bb.1459:                             ;   in Loop: Header=BB347_803 Depth=1
	s_or_b32 exec_lo, exec_lo, s21
	v_mov_b32_e32 v13, 24
	v_lshl_add_u32 v24, v24, 23, 0x3c000000
	v_lshlrev_b32_sdwa v13, v13, v25 dst_sel:DWORD dst_unused:UNUSED_PAD src0_sel:DWORD src1_sel:BYTE_3
	v_lshlrev_b32_e32 v25, 20, v26
	v_and_b32_e32 v13, 0x80000000, v13
	v_or3_b32 v54, v25, v13, v24
.LBB347_1460:                           ;   in Loop: Header=BB347_803 Depth=1
	s_or_b32 exec_lo, exec_lo, s20
.LBB347_1461:                           ;   in Loop: Header=BB347_803 Depth=1
	s_or_b32 exec_lo, exec_lo, s19
.LBB347_1462:                           ;   in Loop: Header=BB347_803 Depth=1
	s_or_b32 exec_lo, exec_lo, s18
	v_mul_f32_e32 v13, v45, v30
	v_mul_f32_e32 v12, v45, v12
	v_bfe_u32 v24, v13, 16, 1
	v_or_b32_e32 v25, 0x400000, v13
	v_cmp_u_f32_e64 s4, v13, v13
	v_add3_u32 v24, v24, v13, 0x7fff
	v_cndmask_b32_e64 v13, v24, v25, s4
	v_lshrrev_b32_e32 v30, 16, v13
	v_mul_f32_e32 v13, v45, v38
	v_bfe_u32 v24, v13, 16, 1
	v_or_b32_e32 v25, 0x400000, v13
	v_cmp_u_f32_e64 s4, v13, v13
	v_add3_u32 v24, v24, v13, 0x7fff
	v_cndmask_b32_e64 v13, v24, v25, s4
	v_lshrrev_b32_e32 v48, 16, v13
	;; [unrolled: 7-line block ×4, first 2 shown]
	v_mul_f32_e32 v13, v45, v28
	v_bfe_u32 v24, v13, 16, 1
	v_or_b32_e32 v25, 0x400000, v13
	v_cmp_u_f32_e64 s4, v13, v13
	v_add3_u32 v24, v24, v13, 0x7fff
	v_cndmask_b32_e64 v13, v24, v25, s4
	v_or_b32_e32 v24, 0x400000, v12
	v_cmp_u_f32_e64 s4, v12, v12
	v_lshrrev_b32_e32 v52, 16, v13
	v_bfe_u32 v13, v12, 16, 1
	v_add3_u32 v13, v13, v12, 0x7fff
	v_cndmask_b32_e64 v12, v13, v24, s4
	v_lshrrev_b32_e32 v53, 16, v12
	v_mul_f32_e32 v12, v45, v51
	v_bfe_u32 v13, v12, 16, 1
	v_or_b32_e32 v24, 0x400000, v12
	v_cmp_u_f32_e64 s4, v12, v12
	v_add3_u32 v13, v13, v12, 0x7fff
	v_cndmask_b32_e64 v12, v13, v24, s4
	v_lshrrev_b32_e32 v51, 16, v12
	v_mul_f32_e32 v12, v45, v54
	v_bfe_u32 v13, v12, 16, 1
	v_or_b32_e32 v24, 0x400000, v12
	v_cmp_u_f32_e64 s4, v12, v12
	v_add3_u32 v13, v13, v12, 0x7fff
	v_cndmask_b32_e64 v12, v13, v24, s4
	v_lshrrev_b32_e32 v54, 16, v12
	s_and_saveexec_b32 s18, vcc_lo
	s_cbranch_execz .LBB347_1464
; %bb.1463:                             ;   in Loop: Header=BB347_803 Depth=1
	v_cmp_lt_i32_e64 s4, v46, v32
	v_cndmask_b32_e64 v53, 0, v53, s4
	v_cmp_lt_i32_e64 s4, v61, v32
	v_cndmask_b32_e64 v52, 0, v52, s4
	;; [unrolled: 2-line block ×8, first 2 shown]
.LBB347_1464:                           ;   in Loop: Header=BB347_803 Depth=1
	s_or_b32 exec_lo, exec_lo, s18
	flat_load_dwordx2 v[24:25], v[19:20] offset:512
	v_mov_b32_e32 v28, 0
	v_mov_b32_e32 v12, 0
	s_waitcnt vmcnt(0) lgkmcnt(0)
	v_cmp_ne_u16_sdwa s4, v24, v14 src0_sel:BYTE_0 src1_sel:DWORD
	s_and_saveexec_b32 s18, s4
	s_cbranch_execz .LBB347_1472
; %bb.1465:                             ;   in Loop: Header=BB347_803 Depth=1
	v_cmp_ne_u16_sdwa s4, v24, v68 src0_sel:BYTE_0 src1_sel:DWORD
	v_bfrev_b32_e32 v12, 1
	s_and_saveexec_b32 s19, s4
	s_cbranch_execz .LBB347_1471
; %bb.1466:                             ;   in Loop: Header=BB347_803 Depth=1
	v_and_b32_e32 v13, 0x7f, v24
	v_mov_b32_e32 v12, 0x7f800001
	s_mov_b32 s20, exec_lo
	v_cmpx_ne_u32_e32 0x7f, v13
	s_cbranch_execz .LBB347_1470
; %bb.1467:                             ;   in Loop: Header=BB347_803 Depth=1
	v_mov_b32_e32 v27, v25
	v_lshrrev_b32_e32 v12, 3, v13
	v_mov_b32_e32 v26, v24
	s_mov_b32 s21, exec_lo
	v_cmpx_gt_u32_e32 8, v13
; %bb.1468:                             ;   in Loop: Header=BB347_803 Depth=1
	v_and_b32_e32 v12, 7, v24
	v_ffbh_u32_e32 v12, v12
	v_min_u32_e32 v12, 32, v12
	v_subrev_nc_u32_e32 v13, 28, v12
	v_sub_nc_u32_e32 v12, 29, v12
	v_lshlrev_b64 v[26:27], v13, v[24:25]
; %bb.1469:                             ;   in Loop: Header=BB347_803 Depth=1
	s_or_b32 exec_lo, exec_lo, s21
	v_lshlrev_b32_e32 v13, 20, v26
	v_lshlrev_b32_e32 v26, 24, v24
	v_lshl_add_u32 v12, v12, 23, 0x3c000000
	v_and_b32_e32 v13, 0x700000, v13
	v_and_b32_e32 v26, 0x80000000, v26
	v_or3_b32 v12, v13, v26, v12
.LBB347_1470:                           ;   in Loop: Header=BB347_803 Depth=1
	s_or_b32 exec_lo, exec_lo, s20
.LBB347_1471:                           ;   in Loop: Header=BB347_803 Depth=1
	s_or_b32 exec_lo, exec_lo, s19
.LBB347_1472:                           ;   in Loop: Header=BB347_803 Depth=1
	s_or_b32 exec_lo, exec_lo, s18
	v_cmp_ne_u16_sdwa s4, v24, v14 src0_sel:BYTE_1 src1_sel:DWORD
	s_and_saveexec_b32 s18, s4
	s_cbranch_execz .LBB347_1480
; %bb.1473:                             ;   in Loop: Header=BB347_803 Depth=1
	v_cmp_ne_u16_sdwa s4, v24, v68 src0_sel:BYTE_1 src1_sel:DWORD
	v_bfrev_b32_e32 v28, 1
	s_and_saveexec_b32 s19, s4
	s_cbranch_execz .LBB347_1479
; %bb.1474:                             ;   in Loop: Header=BB347_803 Depth=1
	v_mov_b32_e32 v13, 0xffff
	v_mov_b32_e32 v28, 0x7f800001
	s_mov_b32 s20, exec_lo
	v_and_b32_sdwa v13, v13, v24 dst_sel:DWORD dst_unused:UNUSED_PAD src0_sel:DWORD src1_sel:BYTE_1
	v_and_b32_e32 v26, 0x7f, v13
	v_cmpx_ne_u32_e32 0x7f, v26
	s_cbranch_execz .LBB347_1478
; %bb.1475:                             ;   in Loop: Header=BB347_803 Depth=1
	v_and_b32_e32 v13, 7, v13
	v_lshrrev_b32_e32 v28, 3, v26
	v_cmp_gt_u32_e64 s4, 8, v26
	v_mov_b32_e32 v27, v14
	v_mov_b32_e32 v26, v13
	s_and_saveexec_b32 s21, s4
; %bb.1476:                             ;   in Loop: Header=BB347_803 Depth=1
	v_ffbh_u32_e32 v26, v13
	v_min_u32_e32 v28, 32, v26
	v_subrev_nc_u32_e32 v26, 28, v28
	v_sub_nc_u32_e32 v28, 29, v28
	v_lshlrev_b64 v[26:27], v26, v[13:14]
	v_and_b32_e32 v26, 7, v26
; %bb.1477:                             ;   in Loop: Header=BB347_803 Depth=1
	s_or_b32 exec_lo, exec_lo, s21
	v_lshlrev_b32_e32 v13, 16, v24
	v_lshlrev_b32_e32 v26, 20, v26
	v_lshl_add_u32 v27, v28, 23, 0x3c000000
	v_and_b32_e32 v13, 0x80000000, v13
	v_or3_b32 v28, v26, v13, v27
.LBB347_1478:                           ;   in Loop: Header=BB347_803 Depth=1
	s_or_b32 exec_lo, exec_lo, s20
.LBB347_1479:                           ;   in Loop: Header=BB347_803 Depth=1
	s_or_b32 exec_lo, exec_lo, s19
.LBB347_1480:                           ;   in Loop: Header=BB347_803 Depth=1
	s_or_b32 exec_lo, exec_lo, s18
	v_and_b32_sdwa v13, v24, v70 dst_sel:DWORD dst_unused:UNUSED_PAD src0_sel:WORD_1 src1_sel:DWORD
	v_mov_b32_e32 v39, 0
	v_mov_b32_e32 v35, 0
	s_mov_b32 s18, exec_lo
	v_cmpx_ne_u16_e32 0, v13
	s_cbranch_execz .LBB347_1488
; %bb.1481:                             ;   in Loop: Header=BB347_803 Depth=1
	v_bfrev_b32_e32 v35, 1
	s_mov_b32 s19, exec_lo
	v_cmpx_ne_u16_e32 0x80, v13
	s_cbranch_execz .LBB347_1487
; %bb.1482:                             ;   in Loop: Header=BB347_803 Depth=1
	v_bfe_u32 v26, v24, 16, 7
	v_mov_b32_e32 v35, 0x7f800001
	s_mov_b32 s20, exec_lo
	v_cmpx_ne_u32_e32 0x7f, v26
	s_cbranch_execz .LBB347_1486
; %bb.1483:                             ;   in Loop: Header=BB347_803 Depth=1
	v_mov_b32_e32 v13, 7
	v_lshrrev_b32_e32 v35, 3, v26
	v_cmp_gt_u32_e64 s4, 8, v26
	v_and_b32_sdwa v13, v24, v13 dst_sel:DWORD dst_unused:UNUSED_PAD src0_sel:WORD_1 src1_sel:DWORD
	v_mov_b32_e32 v27, v14
	v_mov_b32_e32 v26, v13
	s_and_saveexec_b32 s21, s4
; %bb.1484:                             ;   in Loop: Header=BB347_803 Depth=1
	v_ffbh_u32_e32 v26, v13
	v_min_u32_e32 v35, 32, v26
	v_subrev_nc_u32_e32 v26, 28, v35
	v_sub_nc_u32_e32 v35, 29, v35
	v_lshlrev_b64 v[26:27], v26, v[13:14]
	v_and_b32_e32 v26, 7, v26
; %bb.1485:                             ;   in Loop: Header=BB347_803 Depth=1
	s_or_b32 exec_lo, exec_lo, s21
	v_mov_b32_e32 v13, 24
	v_lshlrev_b32_e32 v26, 20, v26
	v_lshl_add_u32 v27, v35, 23, 0x3c000000
	v_lshlrev_b32_sdwa v13, v13, v24 dst_sel:DWORD dst_unused:UNUSED_PAD src0_sel:DWORD src1_sel:WORD_1
	v_and_b32_e32 v13, 0x80000000, v13
	v_or3_b32 v35, v26, v13, v27
.LBB347_1486:                           ;   in Loop: Header=BB347_803 Depth=1
	s_or_b32 exec_lo, exec_lo, s20
.LBB347_1487:                           ;   in Loop: Header=BB347_803 Depth=1
	s_or_b32 exec_lo, exec_lo, s19
.LBB347_1488:                           ;   in Loop: Header=BB347_803 Depth=1
	s_or_b32 exec_lo, exec_lo, s18
	s_mov_b32 s18, exec_lo
	v_cmpx_lt_u32_e32 0xffffff, v24
	s_cbranch_execz .LBB347_1496
; %bb.1489:                             ;   in Loop: Header=BB347_803 Depth=1
	v_cmp_ne_u32_sdwa s4, v24, v68 src0_sel:BYTE_3 src1_sel:DWORD
	v_bfrev_b32_e32 v39, 1
	s_and_saveexec_b32 s19, s4
	s_cbranch_execz .LBB347_1495
; %bb.1490:                             ;   in Loop: Header=BB347_803 Depth=1
	v_bfe_u32 v26, v24, 24, 7
	v_mov_b32_e32 v39, 0x7f800001
	s_mov_b32 s20, exec_lo
	v_cmpx_ne_u32_e32 0x7f, v26
	s_cbranch_execz .LBB347_1494
; %bb.1491:                             ;   in Loop: Header=BB347_803 Depth=1
	v_mov_b32_e32 v13, 7
	v_lshrrev_b32_e32 v38, 3, v26
	v_cmp_gt_u32_e64 s4, 8, v26
	v_and_b32_sdwa v13, v24, v13 dst_sel:DWORD dst_unused:UNUSED_PAD src0_sel:BYTE_3 src1_sel:DWORD
	v_mov_b32_e32 v27, v14
	v_mov_b32_e32 v26, v13
	s_and_saveexec_b32 s21, s4
; %bb.1492:                             ;   in Loop: Header=BB347_803 Depth=1
	v_ffbh_u32_e32 v26, v13
	v_min_u32_e32 v38, 32, v26
	v_subrev_nc_u32_e32 v26, 28, v38
	v_sub_nc_u32_e32 v38, 29, v38
	v_lshlrev_b64 v[26:27], v26, v[13:14]
	v_and_b32_e32 v26, 7, v26
; %bb.1493:                             ;   in Loop: Header=BB347_803 Depth=1
	s_or_b32 exec_lo, exec_lo, s21
	v_mov_b32_e32 v13, 24
	v_lshlrev_b32_e32 v26, 20, v26
	v_lshl_add_u32 v27, v38, 23, 0x3c000000
	v_lshlrev_b32_sdwa v13, v13, v24 dst_sel:DWORD dst_unused:UNUSED_PAD src0_sel:DWORD src1_sel:BYTE_3
	v_and_b32_e32 v13, 0x80000000, v13
	v_or3_b32 v39, v26, v13, v27
.LBB347_1494:                           ;   in Loop: Header=BB347_803 Depth=1
	s_or_b32 exec_lo, exec_lo, s20
.LBB347_1495:                           ;   in Loop: Header=BB347_803 Depth=1
	s_or_b32 exec_lo, exec_lo, s19
.LBB347_1496:                           ;   in Loop: Header=BB347_803 Depth=1
	s_or_b32 exec_lo, exec_lo, s18
	v_mov_b32_e32 v13, v25
	v_cmp_ne_u16_sdwa s4, v25, v14 src0_sel:BYTE_0 src1_sel:DWORD
	v_mov_b32_e32 v55, 0
	v_mov_b32_e32 v38, 0
	s_and_saveexec_b32 s18, s4
	s_cbranch_execz .LBB347_1504
; %bb.1497:                             ;   in Loop: Header=BB347_803 Depth=1
	v_cmp_ne_u16_sdwa s4, v25, v68 src0_sel:BYTE_0 src1_sel:DWORD
	v_bfrev_b32_e32 v38, 1
	s_and_saveexec_b32 s19, s4
	s_cbranch_execz .LBB347_1503
; %bb.1498:                             ;   in Loop: Header=BB347_803 Depth=1
	v_and_b32_e32 v26, 0x7f, v25
	v_mov_b32_e32 v38, 0x7f800001
	s_mov_b32 s20, exec_lo
	v_cmpx_ne_u32_e32 0x7f, v26
	s_cbranch_execz .LBB347_1502
; %bb.1499:                             ;   in Loop: Header=BB347_803 Depth=1
	v_lshrrev_b32_e32 v38, 3, v26
	v_cmp_gt_u32_e64 s4, 8, v26
	v_mov_b32_e32 v27, v14
	v_mov_b32_e32 v26, v13
	s_and_saveexec_b32 s21, s4
; %bb.1500:                             ;   in Loop: Header=BB347_803 Depth=1
	v_and_b32_e32 v26, 7, v25
	v_ffbh_u32_e32 v26, v26
	v_min_u32_e32 v38, 32, v26
	v_subrev_nc_u32_e32 v26, 28, v38
	v_sub_nc_u32_e32 v38, 29, v38
	v_lshlrev_b64 v[26:27], v26, v[13:14]
; %bb.1501:                             ;   in Loop: Header=BB347_803 Depth=1
	s_or_b32 exec_lo, exec_lo, s21
	v_lshlrev_b32_e32 v26, 20, v26
	v_lshlrev_b32_e32 v27, 24, v13
	v_lshl_add_u32 v38, v38, 23, 0x3c000000
	v_and_b32_e32 v26, 0x700000, v26
	v_and_b32_e32 v27, 0x80000000, v27
	v_or3_b32 v38, v26, v27, v38
.LBB347_1502:                           ;   in Loop: Header=BB347_803 Depth=1
	s_or_b32 exec_lo, exec_lo, s20
.LBB347_1503:                           ;   in Loop: Header=BB347_803 Depth=1
	s_or_b32 exec_lo, exec_lo, s19
.LBB347_1504:                           ;   in Loop: Header=BB347_803 Depth=1
	s_or_b32 exec_lo, exec_lo, s18
	v_cmp_ne_u16_sdwa s4, v13, v14 src0_sel:BYTE_1 src1_sel:DWORD
	s_and_saveexec_b32 s18, s4
	s_cbranch_execz .LBB347_1512
; %bb.1505:                             ;   in Loop: Header=BB347_803 Depth=1
	v_cmp_ne_u16_sdwa s4, v13, v68 src0_sel:BYTE_1 src1_sel:DWORD
	v_bfrev_b32_e32 v55, 1
	s_and_saveexec_b32 s19, s4
	s_cbranch_execz .LBB347_1511
; %bb.1506:                             ;   in Loop: Header=BB347_803 Depth=1
	v_mov_b32_e32 v26, 0xffff
	v_mov_b32_e32 v55, 0x7f800001
	s_mov_b32 s20, exec_lo
	v_and_b32_sdwa v26, v26, v13 dst_sel:DWORD dst_unused:UNUSED_PAD src0_sel:DWORD src1_sel:BYTE_1
	v_and_b32_e32 v64, 0x7f, v26
	v_cmpx_ne_u32_e32 0x7f, v64
	s_cbranch_execz .LBB347_1510
; %bb.1507:                             ;   in Loop: Header=BB347_803 Depth=1
	v_and_b32_e32 v26, 7, v26
	v_mov_b32_e32 v27, v14
	v_lshrrev_b32_e32 v55, 3, v64
	s_mov_b32 s21, exec_lo
	v_cmpx_gt_u32_e32 8, v64
; %bb.1508:                             ;   in Loop: Header=BB347_803 Depth=1
	v_ffbh_u32_e32 v55, v26
	v_min_u32_e32 v55, 32, v55
	v_subrev_nc_u32_e32 v64, 28, v55
	v_sub_nc_u32_e32 v55, 29, v55
	v_lshlrev_b64 v[26:27], v64, v[26:27]
	v_and_b32_e32 v26, 7, v26
; %bb.1509:                             ;   in Loop: Header=BB347_803 Depth=1
	s_or_b32 exec_lo, exec_lo, s21
	v_lshlrev_b32_e32 v13, 16, v13
	v_lshlrev_b32_e32 v26, 20, v26
	v_lshl_add_u32 v27, v55, 23, 0x3c000000
	v_and_b32_e32 v13, 0x80000000, v13
	v_or3_b32 v55, v26, v13, v27
.LBB347_1510:                           ;   in Loop: Header=BB347_803 Depth=1
	s_or_b32 exec_lo, exec_lo, s20
.LBB347_1511:                           ;   in Loop: Header=BB347_803 Depth=1
	s_or_b32 exec_lo, exec_lo, s19
.LBB347_1512:                           ;   in Loop: Header=BB347_803 Depth=1
	s_or_b32 exec_lo, exec_lo, s18
	v_and_b32_sdwa v13, v25, v70 dst_sel:DWORD dst_unused:UNUSED_PAD src0_sel:WORD_1 src1_sel:DWORD
	v_mov_b32_e32 v69, 0
	v_mov_b32_e32 v71, 0
	s_mov_b32 s18, exec_lo
	v_cmpx_ne_u16_e32 0, v13
	s_cbranch_execz .LBB347_1520
; %bb.1513:                             ;   in Loop: Header=BB347_803 Depth=1
	v_bfrev_b32_e32 v71, 1
	s_mov_b32 s19, exec_lo
	v_cmpx_ne_u16_e32 0x80, v13
	s_cbranch_execz .LBB347_1519
; %bb.1514:                             ;   in Loop: Header=BB347_803 Depth=1
	v_bfe_u32 v26, v25, 16, 7
	v_mov_b32_e32 v71, 0x7f800001
	s_mov_b32 s20, exec_lo
	v_cmpx_ne_u32_e32 0x7f, v26
	s_cbranch_execz .LBB347_1518
; %bb.1515:                             ;   in Loop: Header=BB347_803 Depth=1
	v_mov_b32_e32 v13, 7
	v_lshrrev_b32_e32 v64, 3, v26
	v_cmp_gt_u32_e64 s4, 8, v26
	v_and_b32_sdwa v13, v25, v13 dst_sel:DWORD dst_unused:UNUSED_PAD src0_sel:WORD_1 src1_sel:DWORD
	v_mov_b32_e32 v27, v14
	v_mov_b32_e32 v26, v13
	s_and_saveexec_b32 s21, s4
; %bb.1516:                             ;   in Loop: Header=BB347_803 Depth=1
	v_ffbh_u32_e32 v26, v13
	v_min_u32_e32 v64, 32, v26
	v_subrev_nc_u32_e32 v26, 28, v64
	v_sub_nc_u32_e32 v64, 29, v64
	v_lshlrev_b64 v[26:27], v26, v[13:14]
	v_and_b32_e32 v26, 7, v26
; %bb.1517:                             ;   in Loop: Header=BB347_803 Depth=1
	s_or_b32 exec_lo, exec_lo, s21
	v_mov_b32_e32 v13, 24
	v_lshlrev_b32_e32 v26, 20, v26
	v_lshl_add_u32 v27, v64, 23, 0x3c000000
	v_lshlrev_b32_sdwa v13, v13, v25 dst_sel:DWORD dst_unused:UNUSED_PAD src0_sel:DWORD src1_sel:WORD_1
	v_and_b32_e32 v13, 0x80000000, v13
	v_or3_b32 v71, v26, v13, v27
.LBB347_1518:                           ;   in Loop: Header=BB347_803 Depth=1
	s_or_b32 exec_lo, exec_lo, s20
.LBB347_1519:                           ;   in Loop: Header=BB347_803 Depth=1
	s_or_b32 exec_lo, exec_lo, s19
.LBB347_1520:                           ;   in Loop: Header=BB347_803 Depth=1
	s_or_b32 exec_lo, exec_lo, s18
	s_mov_b32 s18, exec_lo
	v_cmpx_lt_u64_e64 s[6:7], v[24:25]
	s_cbranch_execz .LBB347_1528
; %bb.1521:                             ;   in Loop: Header=BB347_803 Depth=1
	v_cmp_ne_u32_sdwa s4, v25, v68 src0_sel:BYTE_3 src1_sel:DWORD
	v_bfrev_b32_e32 v69, 1
	s_and_saveexec_b32 s19, s4
	s_cbranch_execz .LBB347_1527
; %bb.1522:                             ;   in Loop: Header=BB347_803 Depth=1
	v_bfe_u32 v26, v25, 24, 7
	v_mov_b32_e32 v69, 0x7f800001
	s_mov_b32 s20, exec_lo
	v_cmpx_ne_u32_e32 0x7f, v26
	s_cbranch_execz .LBB347_1526
; %bb.1523:                             ;   in Loop: Header=BB347_803 Depth=1
	v_mov_b32_e32 v13, 7
	v_lshrrev_b32_e32 v24, 3, v26
	v_cmp_gt_u32_e64 s4, 8, v26
	v_and_b32_sdwa v13, v25, v13 dst_sel:DWORD dst_unused:UNUSED_PAD src0_sel:BYTE_3 src1_sel:DWORD
	v_mov_b32_e32 v27, v14
	v_mov_b32_e32 v26, v13
	s_and_saveexec_b32 s21, s4
; %bb.1524:                             ;   in Loop: Header=BB347_803 Depth=1
	v_ffbh_u32_e32 v24, v13
	v_min_u32_e32 v24, 32, v24
	v_subrev_nc_u32_e32 v26, 28, v24
	v_sub_nc_u32_e32 v24, 29, v24
	v_lshlrev_b64 v[26:27], v26, v[13:14]
	v_and_b32_e32 v26, 7, v26
; %bb.1525:                             ;   in Loop: Header=BB347_803 Depth=1
	s_or_b32 exec_lo, exec_lo, s21
	v_mov_b32_e32 v13, 24
	v_lshl_add_u32 v24, v24, 23, 0x3c000000
	v_lshlrev_b32_sdwa v13, v13, v25 dst_sel:DWORD dst_unused:UNUSED_PAD src0_sel:DWORD src1_sel:BYTE_3
	v_lshlrev_b32_e32 v25, 20, v26
	v_and_b32_e32 v13, 0x80000000, v13
	v_or3_b32 v69, v25, v13, v24
.LBB347_1526:                           ;   in Loop: Header=BB347_803 Depth=1
	s_or_b32 exec_lo, exec_lo, s20
.LBB347_1527:                           ;   in Loop: Header=BB347_803 Depth=1
	s_or_b32 exec_lo, exec_lo, s19
.LBB347_1528:                           ;   in Loop: Header=BB347_803 Depth=1
	s_or_b32 exec_lo, exec_lo, s18
	v_mul_f32_e32 v13, v45, v55
	v_mul_f32_e32 v12, v45, v12
	v_bfe_u32 v24, v13, 16, 1
	v_or_b32_e32 v25, 0x400000, v13
	v_cmp_u_f32_e64 s4, v13, v13
	v_add3_u32 v24, v24, v13, 0x7fff
	v_cndmask_b32_e64 v13, v24, v25, s4
	v_lshrrev_b32_e32 v55, 16, v13
	v_mul_f32_e32 v13, v45, v38
	v_bfe_u32 v24, v13, 16, 1
	v_or_b32_e32 v25, 0x400000, v13
	v_cmp_u_f32_e64 s4, v13, v13
	v_add3_u32 v24, v24, v13, 0x7fff
	v_cndmask_b32_e64 v13, v24, v25, s4
	v_lshrrev_b32_e32 v64, 16, v13
	;; [unrolled: 7-line block ×4, first 2 shown]
	v_mul_f32_e32 v13, v45, v28
	v_bfe_u32 v24, v13, 16, 1
	v_or_b32_e32 v25, 0x400000, v13
	v_cmp_u_f32_e64 s4, v13, v13
	v_add3_u32 v24, v24, v13, 0x7fff
	v_cndmask_b32_e64 v13, v24, v25, s4
	v_or_b32_e32 v24, 0x400000, v12
	v_cmp_u_f32_e64 s4, v12, v12
	v_lshrrev_b32_e32 v39, 16, v13
	v_bfe_u32 v13, v12, 16, 1
	v_add3_u32 v13, v13, v12, 0x7fff
	v_cndmask_b32_e64 v12, v13, v24, s4
	v_lshrrev_b32_e32 v35, 16, v12
	v_mul_f32_e32 v12, v45, v71
	v_bfe_u32 v13, v12, 16, 1
	v_or_b32_e32 v24, 0x400000, v12
	v_cmp_u_f32_e64 s4, v12, v12
	v_add3_u32 v13, v13, v12, 0x7fff
	v_cndmask_b32_e64 v12, v13, v24, s4
	v_mul_f32_e32 v13, v45, v69
	v_lshrrev_b32_e32 v12, 16, v12
	v_bfe_u32 v24, v13, 16, 1
	v_or_b32_e32 v25, 0x400000, v13
	v_cmp_u_f32_e64 s4, v13, v13
	v_add3_u32 v24, v24, v13, 0x7fff
	v_cndmask_b32_e64 v13, v24, v25, s4
	v_lshrrev_b32_e32 v69, 16, v13
	s_and_saveexec_b32 s18, vcc_lo
	s_cbranch_execz .LBB347_1530
; %bb.1529:                             ;   in Loop: Header=BB347_803 Depth=1
	v_cmp_lt_i32_e64 s4, v46, v32
	v_cndmask_b32_e64 v35, 0, v35, s4
	v_cmp_lt_i32_e64 s4, v61, v32
	v_cndmask_b32_e64 v39, 0, v39, s4
	;; [unrolled: 2-line block ×8, first 2 shown]
.LBB347_1530:                           ;   in Loop: Header=BB347_803 Depth=1
	s_or_b32 exec_lo, exec_lo, s18
	flat_load_dwordx2 v[19:20], v[19:20] offset:768
	v_mov_b32_e32 v27, 0
	v_mov_b32_e32 v26, 0
	s_waitcnt vmcnt(0) lgkmcnt(0)
	v_cmp_ne_u16_sdwa s4, v19, v14 src0_sel:BYTE_0 src1_sel:DWORD
	s_and_saveexec_b32 s18, s4
	s_cbranch_execz .LBB347_1538
; %bb.1531:                             ;   in Loop: Header=BB347_803 Depth=1
	v_cmp_ne_u16_sdwa s4, v19, v68 src0_sel:BYTE_0 src1_sel:DWORD
	v_bfrev_b32_e32 v26, 1
	s_and_saveexec_b32 s19, s4
	s_cbranch_execz .LBB347_1537
; %bb.1532:                             ;   in Loop: Header=BB347_803 Depth=1
	v_and_b32_e32 v24, 0x7f, v19
	v_mov_b32_e32 v26, 0x7f800001
	s_mov_b32 s20, exec_lo
	v_cmpx_ne_u32_e32 0x7f, v24
	s_cbranch_execz .LBB347_1536
; %bb.1533:                             ;   in Loop: Header=BB347_803 Depth=1
	v_lshrrev_b32_e32 v13, 3, v24
	v_cmp_gt_u32_e64 s4, 8, v24
	v_mov_b32_e32 v25, v20
	v_mov_b32_e32 v24, v19
	s_and_saveexec_b32 s21, s4
; %bb.1534:                             ;   in Loop: Header=BB347_803 Depth=1
	v_and_b32_e32 v13, 7, v19
	v_ffbh_u32_e32 v13, v13
	v_min_u32_e32 v13, 32, v13
	v_subrev_nc_u32_e32 v24, 28, v13
	v_sub_nc_u32_e32 v13, 29, v13
	v_lshlrev_b64 v[24:25], v24, v[19:20]
; %bb.1535:                             ;   in Loop: Header=BB347_803 Depth=1
	s_or_b32 exec_lo, exec_lo, s21
	v_lshlrev_b32_e32 v24, 20, v24
	v_lshlrev_b32_e32 v25, 24, v19
	v_lshl_add_u32 v13, v13, 23, 0x3c000000
	v_and_b32_e32 v24, 0x700000, v24
	v_and_b32_e32 v25, 0x80000000, v25
	v_or3_b32 v26, v24, v25, v13
.LBB347_1536:                           ;   in Loop: Header=BB347_803 Depth=1
	s_or_b32 exec_lo, exec_lo, s20
.LBB347_1537:                           ;   in Loop: Header=BB347_803 Depth=1
	s_or_b32 exec_lo, exec_lo, s19
.LBB347_1538:                           ;   in Loop: Header=BB347_803 Depth=1
	s_or_b32 exec_lo, exec_lo, s18
	v_cmp_ne_u16_sdwa s4, v19, v14 src0_sel:BYTE_1 src1_sel:DWORD
	s_and_saveexec_b32 s18, s4
	s_cbranch_execz .LBB347_1546
; %bb.1539:                             ;   in Loop: Header=BB347_803 Depth=1
	v_cmp_ne_u16_sdwa s4, v19, v68 src0_sel:BYTE_1 src1_sel:DWORD
	v_bfrev_b32_e32 v27, 1
	s_and_saveexec_b32 s19, s4
	s_cbranch_execz .LBB347_1545
; %bb.1540:                             ;   in Loop: Header=BB347_803 Depth=1
	v_mov_b32_e32 v13, 0xffff
	v_mov_b32_e32 v27, 0x7f800001
	s_mov_b32 s20, exec_lo
	v_and_b32_sdwa v13, v13, v19 dst_sel:DWORD dst_unused:UNUSED_PAD src0_sel:DWORD src1_sel:BYTE_1
	v_and_b32_e32 v24, 0x7f, v13
	v_cmpx_ne_u32_e32 0x7f, v24
	s_cbranch_execz .LBB347_1544
; %bb.1541:                             ;   in Loop: Header=BB347_803 Depth=1
	v_and_b32_e32 v13, 7, v13
	v_lshrrev_b32_e32 v27, 3, v24
	v_cmp_gt_u32_e64 s4, 8, v24
	v_mov_b32_e32 v25, v14
	v_mov_b32_e32 v24, v13
	s_and_saveexec_b32 s21, s4
; %bb.1542:                             ;   in Loop: Header=BB347_803 Depth=1
	v_ffbh_u32_e32 v24, v13
	v_min_u32_e32 v27, 32, v24
	v_subrev_nc_u32_e32 v24, 28, v27
	v_sub_nc_u32_e32 v27, 29, v27
	v_lshlrev_b64 v[24:25], v24, v[13:14]
	v_and_b32_e32 v24, 7, v24
; %bb.1543:                             ;   in Loop: Header=BB347_803 Depth=1
	s_or_b32 exec_lo, exec_lo, s21
	v_lshlrev_b32_e32 v13, 16, v19
	v_lshlrev_b32_e32 v24, 20, v24
	v_lshl_add_u32 v25, v27, 23, 0x3c000000
	v_and_b32_e32 v13, 0x80000000, v13
	v_or3_b32 v27, v24, v13, v25
.LBB347_1544:                           ;   in Loop: Header=BB347_803 Depth=1
	s_or_b32 exec_lo, exec_lo, s20
.LBB347_1545:                           ;   in Loop: Header=BB347_803 Depth=1
	s_or_b32 exec_lo, exec_lo, s19
.LBB347_1546:                           ;   in Loop: Header=BB347_803 Depth=1
	s_or_b32 exec_lo, exec_lo, s18
	v_and_b32_sdwa v13, v19, v70 dst_sel:DWORD dst_unused:UNUSED_PAD src0_sel:WORD_1 src1_sel:DWORD
	v_mov_b32_e32 v71, 0
	v_mov_b32_e32 v28, 0
	s_mov_b32 s18, exec_lo
	v_cmpx_ne_u16_e32 0, v13
	s_cbranch_execz .LBB347_1554
; %bb.1547:                             ;   in Loop: Header=BB347_803 Depth=1
	v_bfrev_b32_e32 v28, 1
	s_mov_b32 s19, exec_lo
	v_cmpx_ne_u16_e32 0x80, v13
	s_cbranch_execz .LBB347_1553
; %bb.1548:                             ;   in Loop: Header=BB347_803 Depth=1
	v_bfe_u32 v24, v19, 16, 7
	v_mov_b32_e32 v28, 0x7f800001
	s_mov_b32 s20, exec_lo
	v_cmpx_ne_u32_e32 0x7f, v24
	s_cbranch_execz .LBB347_1552
; %bb.1549:                             ;   in Loop: Header=BB347_803 Depth=1
	v_mov_b32_e32 v13, 7
	v_lshrrev_b32_e32 v28, 3, v24
	v_cmp_gt_u32_e64 s4, 8, v24
	v_and_b32_sdwa v13, v19, v13 dst_sel:DWORD dst_unused:UNUSED_PAD src0_sel:WORD_1 src1_sel:DWORD
	v_mov_b32_e32 v25, v14
	v_mov_b32_e32 v24, v13
	s_and_saveexec_b32 s21, s4
; %bb.1550:                             ;   in Loop: Header=BB347_803 Depth=1
	v_ffbh_u32_e32 v24, v13
	v_min_u32_e32 v28, 32, v24
	v_subrev_nc_u32_e32 v24, 28, v28
	v_sub_nc_u32_e32 v28, 29, v28
	v_lshlrev_b64 v[24:25], v24, v[13:14]
	v_and_b32_e32 v24, 7, v24
; %bb.1551:                             ;   in Loop: Header=BB347_803 Depth=1
	s_or_b32 exec_lo, exec_lo, s21
	v_mov_b32_e32 v13, 24
	v_lshlrev_b32_e32 v24, 20, v24
	v_lshl_add_u32 v25, v28, 23, 0x3c000000
	v_lshlrev_b32_sdwa v13, v13, v19 dst_sel:DWORD dst_unused:UNUSED_PAD src0_sel:DWORD src1_sel:WORD_1
	v_and_b32_e32 v13, 0x80000000, v13
	v_or3_b32 v28, v24, v13, v25
.LBB347_1552:                           ;   in Loop: Header=BB347_803 Depth=1
	s_or_b32 exec_lo, exec_lo, s20
.LBB347_1553:                           ;   in Loop: Header=BB347_803 Depth=1
	s_or_b32 exec_lo, exec_lo, s19
.LBB347_1554:                           ;   in Loop: Header=BB347_803 Depth=1
	s_or_b32 exec_lo, exec_lo, s18
	s_mov_b32 s18, exec_lo
	v_cmpx_lt_u32_e32 0xffffff, v19
	s_cbranch_execz .LBB347_1562
; %bb.1555:                             ;   in Loop: Header=BB347_803 Depth=1
	v_cmp_ne_u32_sdwa s4, v19, v68 src0_sel:BYTE_3 src1_sel:DWORD
	v_bfrev_b32_e32 v71, 1
	s_and_saveexec_b32 s19, s4
	s_cbranch_execz .LBB347_1561
; %bb.1556:                             ;   in Loop: Header=BB347_803 Depth=1
	v_bfe_u32 v24, v19, 24, 7
	v_mov_b32_e32 v71, 0x7f800001
	s_mov_b32 s20, exec_lo
	v_cmpx_ne_u32_e32 0x7f, v24
	s_cbranch_execz .LBB347_1560
; %bb.1557:                             ;   in Loop: Header=BB347_803 Depth=1
	v_mov_b32_e32 v13, 7
	v_lshrrev_b32_e32 v38, 3, v24
	v_cmp_gt_u32_e64 s4, 8, v24
	v_and_b32_sdwa v13, v19, v13 dst_sel:DWORD dst_unused:UNUSED_PAD src0_sel:BYTE_3 src1_sel:DWORD
	v_mov_b32_e32 v25, v14
	v_mov_b32_e32 v24, v13
	s_and_saveexec_b32 s21, s4
; %bb.1558:                             ;   in Loop: Header=BB347_803 Depth=1
	v_ffbh_u32_e32 v24, v13
	v_min_u32_e32 v38, 32, v24
	v_subrev_nc_u32_e32 v24, 28, v38
	v_sub_nc_u32_e32 v38, 29, v38
	v_lshlrev_b64 v[24:25], v24, v[13:14]
	v_and_b32_e32 v24, 7, v24
; %bb.1559:                             ;   in Loop: Header=BB347_803 Depth=1
	s_or_b32 exec_lo, exec_lo, s21
	v_mov_b32_e32 v13, 24
	v_lshlrev_b32_e32 v24, 20, v24
	v_lshl_add_u32 v25, v38, 23, 0x3c000000
	v_lshlrev_b32_sdwa v13, v13, v19 dst_sel:DWORD dst_unused:UNUSED_PAD src0_sel:DWORD src1_sel:BYTE_3
	v_and_b32_e32 v13, 0x80000000, v13
	v_or3_b32 v71, v24, v13, v25
.LBB347_1560:                           ;   in Loop: Header=BB347_803 Depth=1
	s_or_b32 exec_lo, exec_lo, s20
.LBB347_1561:                           ;   in Loop: Header=BB347_803 Depth=1
	s_or_b32 exec_lo, exec_lo, s19
.LBB347_1562:                           ;   in Loop: Header=BB347_803 Depth=1
	s_or_b32 exec_lo, exec_lo, s18
	v_mov_b32_e32 v13, v20
	v_cmp_ne_u16_sdwa s4, v20, v14 src0_sel:BYTE_0 src1_sel:DWORD
	v_mov_b32_e32 v86, 0
	v_mov_b32_e32 v85, 0
	s_and_saveexec_b32 s18, s4
	s_cbranch_execz .LBB347_1570
; %bb.1563:                             ;   in Loop: Header=BB347_803 Depth=1
	v_cmp_ne_u16_sdwa s4, v20, v68 src0_sel:BYTE_0 src1_sel:DWORD
	v_bfrev_b32_e32 v85, 1
	s_and_saveexec_b32 s19, s4
	s_cbranch_execz .LBB347_1569
; %bb.1564:                             ;   in Loop: Header=BB347_803 Depth=1
	v_and_b32_e32 v24, 0x7f, v20
	v_mov_b32_e32 v85, 0x7f800001
	s_mov_b32 s20, exec_lo
	v_cmpx_ne_u32_e32 0x7f, v24
	s_cbranch_execz .LBB347_1568
; %bb.1565:                             ;   in Loop: Header=BB347_803 Depth=1
	v_lshrrev_b32_e32 v38, 3, v24
	v_cmp_gt_u32_e64 s4, 8, v24
	v_mov_b32_e32 v25, v14
	v_mov_b32_e32 v24, v13
	s_and_saveexec_b32 s21, s4
; %bb.1566:                             ;   in Loop: Header=BB347_803 Depth=1
	v_and_b32_e32 v24, 7, v20
	v_ffbh_u32_e32 v24, v24
	v_min_u32_e32 v38, 32, v24
	v_subrev_nc_u32_e32 v24, 28, v38
	v_sub_nc_u32_e32 v38, 29, v38
	v_lshlrev_b64 v[24:25], v24, v[13:14]
; %bb.1567:                             ;   in Loop: Header=BB347_803 Depth=1
	s_or_b32 exec_lo, exec_lo, s21
	v_lshlrev_b32_e32 v24, 20, v24
	v_lshlrev_b32_e32 v25, 24, v13
	v_lshl_add_u32 v38, v38, 23, 0x3c000000
	v_and_b32_e32 v24, 0x700000, v24
	v_and_b32_e32 v25, 0x80000000, v25
	v_or3_b32 v85, v24, v25, v38
.LBB347_1568:                           ;   in Loop: Header=BB347_803 Depth=1
	s_or_b32 exec_lo, exec_lo, s20
.LBB347_1569:                           ;   in Loop: Header=BB347_803 Depth=1
	s_or_b32 exec_lo, exec_lo, s19
.LBB347_1570:                           ;   in Loop: Header=BB347_803 Depth=1
	s_or_b32 exec_lo, exec_lo, s18
	v_cmp_ne_u16_sdwa s4, v13, v14 src0_sel:BYTE_1 src1_sel:DWORD
	s_and_saveexec_b32 s18, s4
	s_cbranch_execz .LBB347_1578
; %bb.1571:                             ;   in Loop: Header=BB347_803 Depth=1
	v_cmp_ne_u16_sdwa s4, v13, v68 src0_sel:BYTE_1 src1_sel:DWORD
	v_bfrev_b32_e32 v86, 1
	s_and_saveexec_b32 s19, s4
	s_cbranch_execz .LBB347_1577
; %bb.1572:                             ;   in Loop: Header=BB347_803 Depth=1
	v_mov_b32_e32 v24, 0xffff
	v_mov_b32_e32 v86, 0x7f800001
	s_mov_b32 s20, exec_lo
	v_and_b32_sdwa v24, v24, v13 dst_sel:DWORD dst_unused:UNUSED_PAD src0_sel:DWORD src1_sel:BYTE_1
	v_and_b32_e32 v80, 0x7f, v24
	v_cmpx_ne_u32_e32 0x7f, v80
	s_cbranch_execz .LBB347_1576
; %bb.1573:                             ;   in Loop: Header=BB347_803 Depth=1
	v_and_b32_e32 v24, 7, v24
	v_mov_b32_e32 v25, v14
	v_lshrrev_b32_e32 v38, 3, v80
	s_mov_b32 s21, exec_lo
	v_cmpx_gt_u32_e32 8, v80
; %bb.1574:                             ;   in Loop: Header=BB347_803 Depth=1
	v_ffbh_u32_e32 v38, v24
	v_min_u32_e32 v38, 32, v38
	v_subrev_nc_u32_e32 v80, 28, v38
	v_sub_nc_u32_e32 v38, 29, v38
	v_lshlrev_b64 v[24:25], v80, v[24:25]
	v_and_b32_e32 v24, 7, v24
; %bb.1575:                             ;   in Loop: Header=BB347_803 Depth=1
	s_or_b32 exec_lo, exec_lo, s21
	v_lshlrev_b32_e32 v13, 16, v13
	v_lshlrev_b32_e32 v24, 20, v24
	v_lshl_add_u32 v25, v38, 23, 0x3c000000
	v_and_b32_e32 v13, 0x80000000, v13
	v_or3_b32 v86, v24, v13, v25
.LBB347_1576:                           ;   in Loop: Header=BB347_803 Depth=1
	s_or_b32 exec_lo, exec_lo, s20
.LBB347_1577:                           ;   in Loop: Header=BB347_803 Depth=1
	s_or_b32 exec_lo, exec_lo, s19
.LBB347_1578:                           ;   in Loop: Header=BB347_803 Depth=1
	s_or_b32 exec_lo, exec_lo, s18
	v_and_b32_sdwa v13, v20, v70 dst_sel:DWORD dst_unused:UNUSED_PAD src0_sel:WORD_1 src1_sel:DWORD
	v_mov_b32_e32 v80, 0
	v_mov_b32_e32 v38, 0
	s_mov_b32 s18, exec_lo
	v_cmpx_ne_u16_e32 0, v13
	s_cbranch_execz .LBB347_1586
; %bb.1579:                             ;   in Loop: Header=BB347_803 Depth=1
	v_bfrev_b32_e32 v38, 1
	s_mov_b32 s19, exec_lo
	v_cmpx_ne_u16_e32 0x80, v13
	s_cbranch_execz .LBB347_1585
; %bb.1580:                             ;   in Loop: Header=BB347_803 Depth=1
	v_bfe_u32 v24, v20, 16, 7
	v_mov_b32_e32 v38, 0x7f800001
	s_mov_b32 s20, exec_lo
	v_cmpx_ne_u32_e32 0x7f, v24
	s_cbranch_execz .LBB347_1584
; %bb.1581:                             ;   in Loop: Header=BB347_803 Depth=1
	v_mov_b32_e32 v13, 7
	v_lshrrev_b32_e32 v38, 3, v24
	v_cmp_gt_u32_e64 s4, 8, v24
	v_and_b32_sdwa v13, v20, v13 dst_sel:DWORD dst_unused:UNUSED_PAD src0_sel:WORD_1 src1_sel:DWORD
	v_mov_b32_e32 v25, v14
	v_mov_b32_e32 v24, v13
	s_and_saveexec_b32 s21, s4
; %bb.1582:                             ;   in Loop: Header=BB347_803 Depth=1
	v_ffbh_u32_e32 v24, v13
	v_min_u32_e32 v38, 32, v24
	v_subrev_nc_u32_e32 v24, 28, v38
	v_sub_nc_u32_e32 v38, 29, v38
	v_lshlrev_b64 v[24:25], v24, v[13:14]
	v_and_b32_e32 v24, 7, v24
; %bb.1583:                             ;   in Loop: Header=BB347_803 Depth=1
	s_or_b32 exec_lo, exec_lo, s21
	v_mov_b32_e32 v13, 24
	v_lshlrev_b32_e32 v24, 20, v24
	v_lshl_add_u32 v25, v38, 23, 0x3c000000
	v_lshlrev_b32_sdwa v13, v13, v20 dst_sel:DWORD dst_unused:UNUSED_PAD src0_sel:DWORD src1_sel:WORD_1
	v_and_b32_e32 v13, 0x80000000, v13
	v_or3_b32 v38, v24, v13, v25
.LBB347_1584:                           ;   in Loop: Header=BB347_803 Depth=1
	s_or_b32 exec_lo, exec_lo, s20
.LBB347_1585:                           ;   in Loop: Header=BB347_803 Depth=1
	s_or_b32 exec_lo, exec_lo, s19
.LBB347_1586:                           ;   in Loop: Header=BB347_803 Depth=1
	s_or_b32 exec_lo, exec_lo, s18
	s_mov_b32 s18, exec_lo
	v_cmpx_lt_u64_e64 s[6:7], v[19:20]
	s_cbranch_execz .LBB347_1594
; %bb.1587:                             ;   in Loop: Header=BB347_803 Depth=1
	v_cmp_ne_u32_sdwa s4, v20, v68 src0_sel:BYTE_3 src1_sel:DWORD
	v_bfrev_b32_e32 v80, 1
	s_and_saveexec_b32 s19, s4
	s_cbranch_execz .LBB347_1593
; %bb.1588:                             ;   in Loop: Header=BB347_803 Depth=1
	v_bfe_u32 v24, v20, 24, 7
	v_mov_b32_e32 v80, 0x7f800001
	s_mov_b32 s20, exec_lo
	v_cmpx_ne_u32_e32 0x7f, v24
	s_cbranch_execz .LBB347_1592
; %bb.1589:                             ;   in Loop: Header=BB347_803 Depth=1
	v_mov_b32_e32 v13, 7
	v_lshrrev_b32_e32 v19, 3, v24
	v_cmp_gt_u32_e64 s4, 8, v24
	v_and_b32_sdwa v13, v20, v13 dst_sel:DWORD dst_unused:UNUSED_PAD src0_sel:BYTE_3 src1_sel:DWORD
	v_mov_b32_e32 v25, v14
	v_mov_b32_e32 v24, v13
	s_and_saveexec_b32 s21, s4
; %bb.1590:                             ;   in Loop: Header=BB347_803 Depth=1
	v_ffbh_u32_e32 v19, v13
	v_min_u32_e32 v19, 32, v19
	v_subrev_nc_u32_e32 v24, 28, v19
	v_sub_nc_u32_e32 v19, 29, v19
	v_lshlrev_b64 v[24:25], v24, v[13:14]
	v_and_b32_e32 v24, 7, v24
; %bb.1591:                             ;   in Loop: Header=BB347_803 Depth=1
	s_or_b32 exec_lo, exec_lo, s21
	v_mov_b32_e32 v13, 24
	v_lshl_add_u32 v19, v19, 23, 0x3c000000
	v_lshlrev_b32_sdwa v13, v13, v20 dst_sel:DWORD dst_unused:UNUSED_PAD src0_sel:DWORD src1_sel:BYTE_3
	v_lshlrev_b32_e32 v20, 20, v24
	v_and_b32_e32 v13, 0x80000000, v13
	v_or3_b32 v80, v20, v13, v19
.LBB347_1592:                           ;   in Loop: Header=BB347_803 Depth=1
	s_or_b32 exec_lo, exec_lo, s20
.LBB347_1593:                           ;   in Loop: Header=BB347_803 Depth=1
	s_or_b32 exec_lo, exec_lo, s19
.LBB347_1594:                           ;   in Loop: Header=BB347_803 Depth=1
	s_or_b32 exec_lo, exec_lo, s18
	v_mul_f32_e32 v13, v45, v86
	v_bfe_u32 v19, v13, 16, 1
	v_or_b32_e32 v20, 0x400000, v13
	v_cmp_u_f32_e64 s4, v13, v13
	v_add3_u32 v19, v19, v13, 0x7fff
	v_cndmask_b32_e64 v13, v19, v20, s4
	v_mul_f32_e32 v19, v45, v85
	v_lshrrev_b32_e32 v13, 16, v13
	v_bfe_u32 v20, v19, 16, 1
	v_or_b32_e32 v24, 0x400000, v19
	v_cmp_u_f32_e64 s4, v19, v19
	v_add3_u32 v20, v20, v19, 0x7fff
	v_cndmask_b32_e64 v19, v20, v24, s4
	v_mul_f32_e32 v20, v45, v71
	v_lshrrev_b32_e32 v19, 16, v19
	;; [unrolled: 7-line block ×3, first 2 shown]
	v_bfe_u32 v25, v24, 16, 1
	v_or_b32_e32 v28, 0x400000, v24
	v_cmp_u_f32_e64 s4, v24, v24
	v_add3_u32 v25, v25, v24, 0x7fff
	v_cndmask_b32_e64 v24, v25, v28, s4
	v_lshrrev_b32_e32 v25, 16, v24
	v_mul_f32_e32 v24, v45, v27
	v_bfe_u32 v27, v24, 16, 1
	v_or_b32_e32 v28, 0x400000, v24
	v_cmp_u_f32_e64 s4, v24, v24
	v_add3_u32 v27, v27, v24, 0x7fff
	v_cndmask_b32_e64 v24, v27, v28, s4
	v_lshrrev_b32_e32 v27, 16, v24
	v_mul_f32_e32 v24, v45, v26
	;; [unrolled: 7-line block ×3, first 2 shown]
	v_bfe_u32 v26, v24, 16, 1
	v_or_b32_e32 v38, 0x400000, v24
	v_cmp_u_f32_e64 s4, v24, v24
	v_add3_u32 v26, v26, v24, 0x7fff
	v_cndmask_b32_e64 v24, v26, v38, s4
	v_mul_f32_e32 v26, v45, v80
	v_lshrrev_b32_e32 v24, 16, v24
	v_bfe_u32 v38, v26, 16, 1
	v_or_b32_e32 v71, 0x400000, v26
	v_cmp_u_f32_e64 s4, v26, v26
	v_add3_u32 v38, v38, v26, 0x7fff
	v_cndmask_b32_e64 v26, v38, v71, s4
	v_lshrrev_b32_e32 v26, 16, v26
	s_and_saveexec_b32 s4, vcc_lo
	s_cbranch_execz .LBB347_801
; %bb.1595:                             ;   in Loop: Header=BB347_803 Depth=1
	v_cmp_lt_i32_e32 vcc_lo, v46, v32
	v_cndmask_b32_e32 v28, 0, v28, vcc_lo
	v_cmp_lt_i32_e32 vcc_lo, v61, v32
	v_cndmask_b32_e32 v27, 0, v27, vcc_lo
	;; [unrolled: 2-line block ×8, first 2 shown]
	s_branch .LBB347_801
.LBB347_1596:
	s_or_b32 exec_lo, exec_lo, s13
	s_clause 0xd
	buffer_load_dword v28, off, s[0:3], s32 offset:300
	buffer_load_dword v24, off, s[0:3], s32 offset:304
	buffer_load_dword v27, off, s[0:3], s32 offset:308
	buffer_load_dword v16, off, s[0:3], s32 offset:224
	buffer_load_dword v15, off, s[0:3], s32 offset:228
	buffer_load_dword v14, off, s[0:3], s32 offset:232
	buffer_load_dword v13, off, s[0:3], s32 offset:236
	buffer_load_dword v12, off, s[0:3], s32 offset:240
	buffer_load_dword v18, off, s[0:3], s32 offset:244
	buffer_load_dword v19, off, s[0:3], s32 offset:248
	buffer_load_dword v20, off, s[0:3], s32 offset:252
	buffer_load_dword v21, off, s[0:3], s32 offset:256
	buffer_load_dword v22, off, s[0:3], s32 offset:260
	buffer_load_dword v23, off, s[0:3], s32 offset:264
.LBB347_1597:
	s_or_b32 exec_lo, exec_lo, s5
	s_waitcnt vmcnt(1)
	ds_bpermute_b32 v0, v24, v22
	ds_bpermute_b32 v5, v24, v18
	;; [unrolled: 1-line block ×6, first 2 shown]
	s_waitcnt vmcnt(0)
	ds_bpermute_b32 v1, v24, v23
	ds_bpermute_b32 v11, v24, v17
	;; [unrolled: 1-line block ×3, first 2 shown]
	s_waitcnt lgkmcnt(0)
	s_waitcnt_vscnt null, 0x0
	s_barrier
	buffer_gl0_inv
	ds_bpermute_b32 v4, v24, v19
	ds_bpermute_b32 v7, v24, v13
	;; [unrolled: 1-line block ×3, first 2 shown]
	s_load_dword s4, s[8:9], 0x0
	s_mov_b32 s5, exec_lo
	v_add_f32_e32 v0, v22, v0
	v_add_f32_e32 v5, v18, v5
	;; [unrolled: 1-line block ×6, first 2 shown]
	ds_bpermute_b32 v6, v28, v0
	ds_bpermute_b32 v20, v28, v5
	;; [unrolled: 1-line block ×3, first 2 shown]
	v_add_f32_e32 v1, v23, v1
	ds_bpermute_b32 v8, v28, v2
	ds_bpermute_b32 v18, v28, v3
	;; [unrolled: 1-line block ×3, first 2 shown]
	v_add_f32_e32 v17, v17, v11
	v_add_f32_e32 v15, v15, v9
	s_waitcnt lgkmcnt(0)
	v_add_f32_e32 v4, v19, v4
	v_add_f32_e32 v13, v13, v7
	;; [unrolled: 1-line block ×3, first 2 shown]
	ds_bpermute_b32 v7, v28, v1
	ds_bpermute_b32 v24, v28, v15
	;; [unrolled: 1-line block ×6, first 2 shown]
	v_add_f32_e32 v11, v0, v6
	v_add_f32_e32 v6, v5, v20
	;; [unrolled: 1-line block ×3, first 2 shown]
	buffer_load_dword v12, off, s[0:3], s32 offset:276 ; 4-byte Folded Reload
	v_add_f32_e32 v9, v2, v8
	v_add_f32_e32 v8, v3, v18
	v_add_f32_e32 v3, v14, v23
	s_clause 0x1
	buffer_load_dword v23, off, s[0:3], s32 offset:616
	buffer_load_dword v14, off, s[0:3], s32 offset:620
	s_waitcnt lgkmcnt(5)
	v_add_f32_e32 v10, v1, v7
	s_waitcnt lgkmcnt(4)
	v_add_f32_e32 v0, v15, v24
	;; [unrolled: 2-line block ×6, first 2 shown]
	s_waitcnt vmcnt(2)
	v_and_b32_e32 v13, 28, v12
	v_lshrrev_b32_e32 v12, 2, v12
	s_waitcnt vmcnt(1)
	v_and_b32_e32 v15, 0x3c3, v23
	v_add_nc_u32_e32 v13, s4, v13
	s_waitcnt vmcnt(0)
	v_mul_u32_u24_e32 v14, 0x180, v14
	v_cmpx_eq_u32_e32 64, v15
	s_cbranch_execz .LBB347_1599
; %bb.1598:
	v_add_nc_u32_e32 v15, v13, v14
	v_add_nc_u32_e32 v16, 0xfffffd00, v15
	;; [unrolled: 1-line block ×8, first 2 shown]
	ds_write_b32 v16, v11
	ds_write_b32 v17, v10
	ds_write_b32 v18, v9
	ds_write_b32 v19, v8
	ds_write_b32 v20, v7
	ds_write_b32 v21, v6
	ds_write_b32 v22, v5
	v_add_nc_u32_e32 v16, 0xfffffde0, v15
	v_add_nc_u32_e32 v17, 0xfffffe00, v15
	v_add_nc_u32_e32 v18, 0xfffffe20, v15
	v_add_nc_u32_e32 v19, 0xfffffe40, v15
	v_add_nc_u32_e32 v15, 0xfffffe60, v15
	ds_write_b32 v16, v4
	ds_write_b32 v17, v3
	;; [unrolled: 1-line block ×5, first 2 shown]
.LBB347_1599:
	s_or_b32 exec_lo, exec_lo, s5
	v_lshlrev_b32_e32 v12, 2, v12
	s_mov_b32 s5, exec_lo
	v_cmp_eq_u32_e32 vcc_lo, 0, v27
	s_waitcnt lgkmcnt(0)
	s_barrier
	v_add3_u32 v12, s4, v14, v12
	buffer_gl0_inv
	v_cmpx_gt_u32_e32 64, v23
	s_cbranch_execz .LBB347_1614
; %bb.1600:
	s_and_saveexec_b32 s4, vcc_lo
	s_cbranch_execnz .LBB347_1634
; %bb.1601:
	s_or_b32 exec_lo, exec_lo, s4
	s_and_saveexec_b32 s4, vcc_lo
	s_cbranch_execnz .LBB347_1635
.LBB347_1602:
	s_or_b32 exec_lo, exec_lo, s4
	s_and_saveexec_b32 s4, vcc_lo
	s_cbranch_execnz .LBB347_1636
.LBB347_1603:
	s_or_b32 exec_lo, exec_lo, s4
	s_and_saveexec_b32 s4, vcc_lo
	s_cbranch_execnz .LBB347_1637
.LBB347_1604:
	s_or_b32 exec_lo, exec_lo, s4
	s_and_saveexec_b32 s4, vcc_lo
	s_cbranch_execnz .LBB347_1638
.LBB347_1605:
	s_or_b32 exec_lo, exec_lo, s4
	s_and_saveexec_b32 s4, vcc_lo
	s_cbranch_execnz .LBB347_1639
.LBB347_1606:
	s_or_b32 exec_lo, exec_lo, s4
	s_and_saveexec_b32 s4, vcc_lo
	s_cbranch_execnz .LBB347_1640
.LBB347_1607:
	s_or_b32 exec_lo, exec_lo, s4
	s_and_saveexec_b32 s4, vcc_lo
	s_cbranch_execnz .LBB347_1641
.LBB347_1608:
	s_or_b32 exec_lo, exec_lo, s4
	s_and_saveexec_b32 s4, vcc_lo
	s_cbranch_execnz .LBB347_1642
.LBB347_1609:
	s_or_b32 exec_lo, exec_lo, s4
	s_and_saveexec_b32 s4, vcc_lo
	s_cbranch_execnz .LBB347_1643
.LBB347_1610:
	s_or_b32 exec_lo, exec_lo, s4
	s_and_saveexec_b32 s4, vcc_lo
	s_cbranch_execnz .LBB347_1644
.LBB347_1611:
	s_or_b32 exec_lo, exec_lo, s4
	s_and_saveexec_b32 s4, vcc_lo
	s_cbranch_execz .LBB347_1613
.LBB347_1612:
	ds_read_b32 v14, v12 offset:352
	s_waitcnt lgkmcnt(0)
	v_add_f32_e32 v2, v14, v2
.LBB347_1613:
	s_or_b32 exec_lo, exec_lo, s4
.LBB347_1614:
	s_or_b32 exec_lo, exec_lo, s5
	v_and_b32_e32 v14, 0x3e3, v23
	s_mov_b32 s5, exec_lo
	s_barrier
	buffer_gl0_inv
	v_cmpx_eq_u32_e32 32, v14
	s_cbranch_execz .LBB347_1616
; %bb.1615:
	ds_write2_b32 v13, v11, v10 offset1:8
	ds_write2_b32 v13, v9, v8 offset0:16 offset1:24
	ds_write2_b32 v13, v7, v6 offset0:32 offset1:40
	;; [unrolled: 1-line block ×5, first 2 shown]
.LBB347_1616:
	s_or_b32 exec_lo, exec_lo, s5
	s_mov_b32 s5, exec_lo
	s_waitcnt lgkmcnt(0)
	s_barrier
	buffer_gl0_inv
	v_cmpx_gt_u32_e32 32, v23
	s_cbranch_execz .LBB347_1631
; %bb.1617:
	s_and_saveexec_b32 s4, vcc_lo
	s_cbranch_execnz .LBB347_1645
; %bb.1618:
	s_or_b32 exec_lo, exec_lo, s4
	s_and_saveexec_b32 s4, vcc_lo
	s_cbranch_execnz .LBB347_1646
.LBB347_1619:
	s_or_b32 exec_lo, exec_lo, s4
	s_and_saveexec_b32 s4, vcc_lo
	s_cbranch_execnz .LBB347_1647
.LBB347_1620:
	s_or_b32 exec_lo, exec_lo, s4
	s_and_saveexec_b32 s4, vcc_lo
	s_cbranch_execnz .LBB347_1648
.LBB347_1621:
	s_or_b32 exec_lo, exec_lo, s4
	s_and_saveexec_b32 s4, vcc_lo
	s_cbranch_execnz .LBB347_1649
.LBB347_1622:
	s_or_b32 exec_lo, exec_lo, s4
	s_and_saveexec_b32 s4, vcc_lo
	s_cbranch_execnz .LBB347_1650
.LBB347_1623:
	s_or_b32 exec_lo, exec_lo, s4
	s_and_saveexec_b32 s4, vcc_lo
	s_cbranch_execnz .LBB347_1651
.LBB347_1624:
	s_or_b32 exec_lo, exec_lo, s4
	s_and_saveexec_b32 s4, vcc_lo
	s_cbranch_execnz .LBB347_1652
.LBB347_1625:
	s_or_b32 exec_lo, exec_lo, s4
	s_and_saveexec_b32 s4, vcc_lo
	s_cbranch_execnz .LBB347_1653
.LBB347_1626:
	s_or_b32 exec_lo, exec_lo, s4
	s_and_saveexec_b32 s4, vcc_lo
	s_cbranch_execnz .LBB347_1654
.LBB347_1627:
	s_or_b32 exec_lo, exec_lo, s4
	s_and_saveexec_b32 s4, vcc_lo
	s_cbranch_execnz .LBB347_1655
.LBB347_1628:
	s_or_b32 exec_lo, exec_lo, s4
	s_and_saveexec_b32 s4, vcc_lo
	s_cbranch_execz .LBB347_1630
.LBB347_1629:
	ds_read_b32 v12, v12 offset:352
	s_waitcnt lgkmcnt(0)
	v_add_f32_e32 v2, v12, v2
.LBB347_1630:
	s_or_b32 exec_lo, exec_lo, s4
.LBB347_1631:
	s_or_b32 exec_lo, exec_lo, s5
	s_mov_b32 s4, exec_lo
	s_barrier
	buffer_gl0_inv
	v_cmpx_eq_u32_e32 0, v14
	s_cbranch_execz .LBB347_1633
; %bb.1632:
	s_clause 0x1
	buffer_load_dword v15, off, s[0:3], s32 offset:628
	buffer_load_dword v16, off, s[0:3], s32 offset:624
	s_and_b32 s5, 0xffff, s12
	s_mul_i32 s6, s14, 0x60
	s_cmp_lg_u32 s5, 0
	v_lshrrev_b32_e32 v12, 1, v23
	s_cselect_b32 s5, -1, 0
	v_bfe_u32 v13, v11, 16, 1
	s_cmp_lg_u32 s5, 0
	v_or_b32_e32 v14, 0x400000, v11
	s_addc_u32 s5, s15, 0
	s_mul_i32 s7, s5, s10
	s_mul_i32 s10, s16, s5
	;; [unrolled: 1-line block ×3, first 2 shown]
	s_ashr_i32 s11, s10, 31
	s_mulk_i32 s8, 0x60
	s_ashr_i32 s7, s6, 31
	s_ashr_i32 s9, s8, 31
	s_lshl_b64 s[6:7], s[6:7], 1
	s_lshl_b64 s[8:9], s[8:9], 1
	v_add3_u32 v17, v13, v11, 0x7fff
	s_waitcnt vmcnt(1)
	v_add_co_u32 v15, vcc_lo, v15, s8
	s_waitcnt vmcnt(0)
	v_add_co_ci_u32_e64 v16, null, s9, v16, vcc_lo
	s_lshl_b64 s[8:9], s[10:11], 1
	v_add_co_u32 v15, vcc_lo, v15, s8
	v_add_co_ci_u32_e64 v16, null, s9, v16, vcc_lo
	v_add_co_u32 v15, vcc_lo, v15, s6
	v_add_co_ci_u32_e64 v16, null, s7, v16, vcc_lo
	;; [unrolled: 2-line block ×3, first 2 shown]
	v_bfe_u32 v15, v10, 16, 1
	v_cmp_u_f32_e32 vcc_lo, v11, v11
	v_or_b32_e32 v16, 0x400000, v10
	v_add3_u32 v15, v15, v10, 0x7fff
	v_cndmask_b32_e32 v11, v17, v14, vcc_lo
	v_bfe_u32 v14, v9, 16, 1
	v_cmp_u_f32_e32 vcc_lo, v10, v10
	flat_store_short_d16_hi v[12:13], v11
	v_add3_u32 v11, v14, v9, 0x7fff
	v_or_b32_e32 v14, 0x400000, v9
	v_cndmask_b32_e32 v10, v15, v16, vcc_lo
	v_bfe_u32 v15, v8, 16, 1
	v_cmp_u_f32_e32 vcc_lo, v9, v9
	flat_store_short_d16_hi v[12:13], v10 offset:16
	v_add3_u32 v10, v15, v8, 0x7fff
	v_cndmask_b32_e32 v9, v11, v14, vcc_lo
	v_bfe_u32 v11, v7, 16, 1
	v_or_b32_e32 v14, 0x400000, v8
	v_cmp_u_f32_e32 vcc_lo, v8, v8
	flat_store_short_d16_hi v[12:13], v9 offset:32
	v_add3_u32 v9, v11, v7, 0x7fff
	v_or_b32_e32 v11, 0x400000, v7
	v_cndmask_b32_e32 v8, v10, v14, vcc_lo
	v_bfe_u32 v10, v6, 16, 1
	v_cmp_u_f32_e32 vcc_lo, v7, v7
	flat_store_short_d16_hi v[12:13], v8 offset:48
	v_add3_u32 v8, v10, v6, 0x7fff
	v_cndmask_b32_e32 v7, v9, v11, vcc_lo
	v_bfe_u32 v9, v5, 16, 1
	v_or_b32_e32 v10, 0x400000, v6
	v_cmp_u_f32_e32 vcc_lo, v6, v6
	flat_store_short_d16_hi v[12:13], v7 offset:64
	v_add3_u32 v7, v9, v5, 0x7fff
	v_or_b32_e32 v9, 0x400000, v5
	v_cndmask_b32_e32 v6, v8, v10, vcc_lo
	v_bfe_u32 v8, v4, 16, 1
	v_cmp_u_f32_e32 vcc_lo, v5, v5
	v_or_b32_e32 v10, 0x400000, v2
	flat_store_short_d16_hi v[12:13], v6 offset:80
	v_add3_u32 v6, v8, v4, 0x7fff
	v_cndmask_b32_e32 v5, v7, v9, vcc_lo
	v_bfe_u32 v7, v3, 16, 1
	v_or_b32_e32 v8, 0x400000, v4
	v_cmp_u_f32_e32 vcc_lo, v4, v4
	v_or_b32_e32 v9, 0x400000, v1
	flat_store_short_d16_hi v[12:13], v5 offset:96
	v_add3_u32 v5, v7, v3, 0x7fff
	v_or_b32_e32 v7, 0x400000, v3
	v_cndmask_b32_e32 v4, v6, v8, vcc_lo
	v_bfe_u32 v6, v0, 16, 1
	v_cmp_u_f32_e32 vcc_lo, v3, v3
	v_bfe_u32 v8, v1, 16, 1
	v_add3_u32 v6, v6, v0, 0x7fff
	v_cndmask_b32_e32 v3, v5, v7, vcc_lo
	v_or_b32_e32 v7, 0x400000, v0
	v_cmp_u_f32_e32 vcc_lo, v0, v0
	v_bfe_u32 v5, v2, 16, 1
	v_add3_u32 v8, v8, v1, 0x7fff
	v_cndmask_b32_e32 v0, v6, v7, vcc_lo
	v_cmp_u_f32_e32 vcc_lo, v1, v1
	v_add3_u32 v5, v5, v2, 0x7fff
	v_cndmask_b32_e32 v1, v8, v9, vcc_lo
	v_cmp_u_f32_e32 vcc_lo, v2, v2
	v_cndmask_b32_e32 v2, v5, v10, vcc_lo
	flat_store_short_d16_hi v[12:13], v4 offset:112
	flat_store_short_d16_hi v[12:13], v3 offset:128
	;; [unrolled: 1-line block ×5, first 2 shown]
.LBB347_1633:
	s_or_b32 exec_lo, exec_lo, s4
	s_clause 0x2f
	buffer_load_dword v127, off, s[0:3], s32
	buffer_load_dword v126, off, s[0:3], s32 offset:4
	buffer_load_dword v125, off, s[0:3], s32 offset:8
	;; [unrolled: 1-line block ×47, first 2 shown]
	s_waitcnt vmcnt(0) lgkmcnt(0)
	s_setpc_b64 s[30:31]
.LBB347_1634:
	ds_read_b32 v14, v12
	s_waitcnt lgkmcnt(0)
	v_add_f32_e32 v11, v14, v11
	s_or_b32 exec_lo, exec_lo, s4
	s_and_saveexec_b32 s4, vcc_lo
	s_cbranch_execz .LBB347_1602
.LBB347_1635:
	ds_read_b32 v14, v12 offset:32
	s_waitcnt lgkmcnt(0)
	v_add_f32_e32 v10, v14, v10
	s_or_b32 exec_lo, exec_lo, s4
	s_and_saveexec_b32 s4, vcc_lo
	s_cbranch_execz .LBB347_1603
.LBB347_1636:
	ds_read_b32 v14, v12 offset:64
	s_waitcnt lgkmcnt(0)
	v_add_f32_e32 v9, v14, v9
	s_or_b32 exec_lo, exec_lo, s4
	s_and_saveexec_b32 s4, vcc_lo
	s_cbranch_execz .LBB347_1604
.LBB347_1637:
	ds_read_b32 v14, v12 offset:96
	s_waitcnt lgkmcnt(0)
	v_add_f32_e32 v8, v14, v8
	s_or_b32 exec_lo, exec_lo, s4
	s_and_saveexec_b32 s4, vcc_lo
	s_cbranch_execz .LBB347_1605
.LBB347_1638:
	ds_read_b32 v14, v12 offset:128
	s_waitcnt lgkmcnt(0)
	v_add_f32_e32 v7, v14, v7
	s_or_b32 exec_lo, exec_lo, s4
	s_and_saveexec_b32 s4, vcc_lo
	s_cbranch_execz .LBB347_1606
.LBB347_1639:
	ds_read_b32 v14, v12 offset:160
	s_waitcnt lgkmcnt(0)
	v_add_f32_e32 v6, v14, v6
	s_or_b32 exec_lo, exec_lo, s4
	s_and_saveexec_b32 s4, vcc_lo
	s_cbranch_execz .LBB347_1607
.LBB347_1640:
	ds_read_b32 v14, v12 offset:192
	s_waitcnt lgkmcnt(0)
	v_add_f32_e32 v5, v14, v5
	s_or_b32 exec_lo, exec_lo, s4
	s_and_saveexec_b32 s4, vcc_lo
	s_cbranch_execz .LBB347_1608
.LBB347_1641:
	ds_read_b32 v14, v12 offset:224
	s_waitcnt lgkmcnt(0)
	v_add_f32_e32 v4, v14, v4
	s_or_b32 exec_lo, exec_lo, s4
	s_and_saveexec_b32 s4, vcc_lo
	s_cbranch_execz .LBB347_1609
.LBB347_1642:
	ds_read_b32 v14, v12 offset:256
	s_waitcnt lgkmcnt(0)
	v_add_f32_e32 v3, v14, v3
	s_or_b32 exec_lo, exec_lo, s4
	s_and_saveexec_b32 s4, vcc_lo
	s_cbranch_execz .LBB347_1610
.LBB347_1643:
	ds_read_b32 v14, v12 offset:288
	s_waitcnt lgkmcnt(0)
	v_add_f32_e32 v0, v14, v0
	s_or_b32 exec_lo, exec_lo, s4
	s_and_saveexec_b32 s4, vcc_lo
	s_cbranch_execz .LBB347_1611
.LBB347_1644:
	ds_read_b32 v14, v12 offset:320
	s_waitcnt lgkmcnt(0)
	v_add_f32_e32 v1, v14, v1
	s_or_b32 exec_lo, exec_lo, s4
	s_and_saveexec_b32 s4, vcc_lo
	s_cbranch_execnz .LBB347_1612
	s_branch .LBB347_1613
.LBB347_1645:
	ds_read_b32 v13, v12
	s_waitcnt lgkmcnt(0)
	v_add_f32_e32 v11, v13, v11
	s_or_b32 exec_lo, exec_lo, s4
	s_and_saveexec_b32 s4, vcc_lo
	s_cbranch_execz .LBB347_1619
.LBB347_1646:
	ds_read_b32 v13, v12 offset:32
	s_waitcnt lgkmcnt(0)
	v_add_f32_e32 v10, v13, v10
	s_or_b32 exec_lo, exec_lo, s4
	s_and_saveexec_b32 s4, vcc_lo
	s_cbranch_execz .LBB347_1620
.LBB347_1647:
	ds_read_b32 v13, v12 offset:64
	s_waitcnt lgkmcnt(0)
	v_add_f32_e32 v9, v13, v9
	s_or_b32 exec_lo, exec_lo, s4
	s_and_saveexec_b32 s4, vcc_lo
	s_cbranch_execz .LBB347_1621
.LBB347_1648:
	ds_read_b32 v13, v12 offset:96
	s_waitcnt lgkmcnt(0)
	v_add_f32_e32 v8, v13, v8
	s_or_b32 exec_lo, exec_lo, s4
	s_and_saveexec_b32 s4, vcc_lo
	s_cbranch_execz .LBB347_1622
.LBB347_1649:
	ds_read_b32 v13, v12 offset:128
	s_waitcnt lgkmcnt(0)
	v_add_f32_e32 v7, v13, v7
	s_or_b32 exec_lo, exec_lo, s4
	s_and_saveexec_b32 s4, vcc_lo
	s_cbranch_execz .LBB347_1623
.LBB347_1650:
	ds_read_b32 v13, v12 offset:160
	s_waitcnt lgkmcnt(0)
	v_add_f32_e32 v6, v13, v6
	s_or_b32 exec_lo, exec_lo, s4
	s_and_saveexec_b32 s4, vcc_lo
	s_cbranch_execz .LBB347_1624
.LBB347_1651:
	ds_read_b32 v13, v12 offset:192
	s_waitcnt lgkmcnt(0)
	v_add_f32_e32 v5, v13, v5
	s_or_b32 exec_lo, exec_lo, s4
	s_and_saveexec_b32 s4, vcc_lo
	s_cbranch_execz .LBB347_1625
.LBB347_1652:
	ds_read_b32 v13, v12 offset:224
	s_waitcnt lgkmcnt(0)
	v_add_f32_e32 v4, v13, v4
	s_or_b32 exec_lo, exec_lo, s4
	s_and_saveexec_b32 s4, vcc_lo
	s_cbranch_execz .LBB347_1626
.LBB347_1653:
	ds_read_b32 v13, v12 offset:256
	s_waitcnt lgkmcnt(0)
	v_add_f32_e32 v3, v13, v3
	s_or_b32 exec_lo, exec_lo, s4
	s_and_saveexec_b32 s4, vcc_lo
	s_cbranch_execz .LBB347_1627
.LBB347_1654:
	ds_read_b32 v13, v12 offset:288
	s_waitcnt lgkmcnt(0)
	v_add_f32_e32 v0, v13, v0
	s_or_b32 exec_lo, exec_lo, s4
	s_and_saveexec_b32 s4, vcc_lo
	s_cbranch_execz .LBB347_1628
.LBB347_1655:
	ds_read_b32 v13, v12 offset:320
	s_waitcnt lgkmcnt(0)
	v_add_f32_e32 v1, v13, v1
	s_or_b32 exec_lo, exec_lo, s4
	s_and_saveexec_b32 s4, vcc_lo
	s_cbranch_execnz .LBB347_1629
	s_branch .LBB347_1630
.Lfunc_end347:
	.size	_ZN4vllm22paged_attention_kernelI14__hip_bfloat16hLi96ELi32ELi128ELNS_18Fp8KVCacheDataTypeE1ELb1ELi0EEEvPfS3_PT_PKS4_PKT0_SA_ifPKiSC_iPKfiiiSE_SE_iiiii, .Lfunc_end347-_ZN4vllm22paged_attention_kernelI14__hip_bfloat16hLi96ELi32ELi128ELNS_18Fp8KVCacheDataTypeE1ELb1ELi0EEEvPfS3_PT_PKS4_PKT0_SA_ifPKiSC_iPKfiiiSE_SE_iiiii
                                        ; -- End function
	.set .L_ZN4vllm22paged_attention_kernelI14__hip_bfloat16hLi96ELi32ELi128ELNS_18Fp8KVCacheDataTypeE1ELb1ELi0EEEvPfS3_PT_PKS4_PKT0_SA_ifPKiSC_iPKfiiiSE_SE_iiiii.num_vgpr, 128
	.set .L_ZN4vllm22paged_attention_kernelI14__hip_bfloat16hLi96ELi32ELi128ELNS_18Fp8KVCacheDataTypeE1ELb1ELi0EEEvPfS3_PT_PKS4_PKT0_SA_ifPKiSC_iPKfiiiSE_SE_iiiii.num_agpr, 0
	.set .L_ZN4vllm22paged_attention_kernelI14__hip_bfloat16hLi96ELi32ELi128ELNS_18Fp8KVCacheDataTypeE1ELb1ELi0EEEvPfS3_PT_PKS4_PKT0_SA_ifPKiSC_iPKfiiiSE_SE_iiiii.numbered_sgpr, 33
	.set .L_ZN4vllm22paged_attention_kernelI14__hip_bfloat16hLi96ELi32ELi128ELNS_18Fp8KVCacheDataTypeE1ELb1ELi0EEEvPfS3_PT_PKS4_PKT0_SA_ifPKiSC_iPKfiiiSE_SE_iiiii.num_named_barrier, 0
	.set .L_ZN4vllm22paged_attention_kernelI14__hip_bfloat16hLi96ELi32ELi128ELNS_18Fp8KVCacheDataTypeE1ELb1ELi0EEEvPfS3_PT_PKS4_PKT0_SA_ifPKiSC_iPKfiiiSE_SE_iiiii.private_seg_size, 684
	.set .L_ZN4vllm22paged_attention_kernelI14__hip_bfloat16hLi96ELi32ELi128ELNS_18Fp8KVCacheDataTypeE1ELb1ELi0EEEvPfS3_PT_PKS4_PKT0_SA_ifPKiSC_iPKfiiiSE_SE_iiiii.uses_vcc, 1
	.set .L_ZN4vllm22paged_attention_kernelI14__hip_bfloat16hLi96ELi32ELi128ELNS_18Fp8KVCacheDataTypeE1ELb1ELi0EEEvPfS3_PT_PKS4_PKT0_SA_ifPKiSC_iPKfiiiSE_SE_iiiii.uses_flat_scratch, 0
	.set .L_ZN4vllm22paged_attention_kernelI14__hip_bfloat16hLi96ELi32ELi128ELNS_18Fp8KVCacheDataTypeE1ELb1ELi0EEEvPfS3_PT_PKS4_PKT0_SA_ifPKiSC_iPKfiiiSE_SE_iiiii.has_dyn_sized_stack, 0
	.set .L_ZN4vllm22paged_attention_kernelI14__hip_bfloat16hLi96ELi32ELi128ELNS_18Fp8KVCacheDataTypeE1ELb1ELi0EEEvPfS3_PT_PKS4_PKT0_SA_ifPKiSC_iPKfiiiSE_SE_iiiii.has_recursion, 0
	.set .L_ZN4vllm22paged_attention_kernelI14__hip_bfloat16hLi96ELi32ELi128ELNS_18Fp8KVCacheDataTypeE1ELb1ELi0EEEvPfS3_PT_PKS4_PKT0_SA_ifPKiSC_iPKfiiiSE_SE_iiiii.has_indirect_call, 0
	.section	.AMDGPU.csdata,"",@progbits
; Function info:
; codeLenInByte = 64264
; TotalNumSgprs: 35
; NumVgprs: 128
; ScratchSize: 684
; MemoryBound: 0
	.section	.text._ZN4vllm25paged_attention_v1_kernelI14__hip_bfloat16hLi96ELi32ELi128ELNS_18Fp8KVCacheDataTypeE1ELb1EEEvPT_PKS3_PKT0_S9_ifPKiSB_iPKfiiiSD_SD_iiiii,"axG",@progbits,_ZN4vllm25paged_attention_v1_kernelI14__hip_bfloat16hLi96ELi32ELi128ELNS_18Fp8KVCacheDataTypeE1ELb1EEEvPT_PKS3_PKT0_S9_ifPKiSB_iPKfiiiSD_SD_iiiii,comdat
	.protected	_ZN4vllm25paged_attention_v1_kernelI14__hip_bfloat16hLi96ELi32ELi128ELNS_18Fp8KVCacheDataTypeE1ELb1EEEvPT_PKS3_PKT0_S9_ifPKiSB_iPKfiiiSD_SD_iiiii ; -- Begin function _ZN4vllm25paged_attention_v1_kernelI14__hip_bfloat16hLi96ELi32ELi128ELNS_18Fp8KVCacheDataTypeE1ELb1EEEvPT_PKS3_PKT0_S9_ifPKiSB_iPKfiiiSD_SD_iiiii
	.globl	_ZN4vllm25paged_attention_v1_kernelI14__hip_bfloat16hLi96ELi32ELi128ELNS_18Fp8KVCacheDataTypeE1ELb1EEEvPT_PKS3_PKT0_S9_ifPKiSB_iPKfiiiSD_SD_iiiii
	.p2align	8
	.type	_ZN4vllm25paged_attention_v1_kernelI14__hip_bfloat16hLi96ELi32ELi128ELNS_18Fp8KVCacheDataTypeE1ELb1EEEvPT_PKS3_PKT0_S9_ifPKiSB_iPKfiiiSD_SD_iiiii,@function
_ZN4vllm25paged_attention_v1_kernelI14__hip_bfloat16hLi96ELi32ELi128ELNS_18Fp8KVCacheDataTypeE1ELb1EEEvPT_PKS3_PKT0_S9_ifPKiSB_iPKfiiiSD_SD_iiiii: ; @_ZN4vllm25paged_attention_v1_kernelI14__hip_bfloat16hLi96ELi32ELi128ELNS_18Fp8KVCacheDataTypeE1ELb1EEEvPT_PKS3_PKT0_S9_ifPKiSB_iPKfiiiSD_SD_iiiii
; %bb.0:
	s_clause 0x7
	s_load_dwordx8 s[16:23], s[4:5], 0x0
	s_load_dwordx4 s[36:39], s[4:5], 0x20
	s_load_dwordx2 s[10:11], s[4:5], 0x30
	s_load_dword s13, s[4:5], 0x38
	s_load_dwordx2 s[34:35], s[4:5], 0x40
	s_load_dwordx8 s[24:31], s[4:5], 0x48
	s_load_dword s15, s[4:5], 0x78
	s_load_dwordx4 s[40:43], s[4:5], 0x68
	s_add_u32 s0, s0, s9
	s_addc_u32 s1, s1, 0
	v_mov_b32_e32 v31, v0
	s_mov_b32 s14, s8
	s_add_u32 s8, s4, 0x80
	s_addc_u32 s9, s5, 0
	s_getpc_b64 s[4:5]
	s_add_u32 s4, s4, _ZN4vllm22paged_attention_kernelI14__hip_bfloat16hLi96ELi32ELi128ELNS_18Fp8KVCacheDataTypeE1ELb1ELi0EEEvPfS3_PT_PKS4_PKT0_SA_ifPKiSC_iPKfiiiSE_SE_iiiii@rel32@lo+4
	s_addc_u32 s5, s5, _ZN4vllm22paged_attention_kernelI14__hip_bfloat16hLi96ELi32ELi128ELNS_18Fp8KVCacheDataTypeE1ELb1ELi0EEEvPfS3_PT_PKS4_PKT0_SA_ifPKiSC_iPKfiiiSE_SE_iiiii@rel32@hi+12
	s_mov_b32 s12, s6
	s_mov_b32 s32, 0
	s_waitcnt lgkmcnt(0)
	v_mov_b32_e32 v0, s16
	v_mov_b32_e32 v1, s17
	;; [unrolled: 1-line block ×29, first 2 shown]
	s_mov_b32 s13, s7
	s_mov_b32 s15, 15
	s_swappc_b64 s[30:31], s[4:5]
	s_endpgm
	.section	.rodata,"a",@progbits
	.p2align	6, 0x0
	.amdhsa_kernel _ZN4vllm25paged_attention_v1_kernelI14__hip_bfloat16hLi96ELi32ELi128ELNS_18Fp8KVCacheDataTypeE1ELb1EEEvPT_PKS3_PKT0_S9_ifPKiSB_iPKfiiiSD_SD_iiiii
		.amdhsa_group_segment_fixed_size 224
		.amdhsa_private_segment_fixed_size 684
		.amdhsa_kernarg_size 384
		.amdhsa_user_sgpr_count 6
		.amdhsa_user_sgpr_private_segment_buffer 1
		.amdhsa_user_sgpr_dispatch_ptr 0
		.amdhsa_user_sgpr_queue_ptr 0
		.amdhsa_user_sgpr_kernarg_segment_ptr 1
		.amdhsa_user_sgpr_dispatch_id 0
		.amdhsa_user_sgpr_flat_scratch_init 0
		.amdhsa_user_sgpr_private_segment_size 0
		.amdhsa_wavefront_size32 1
		.amdhsa_uses_dynamic_stack 0
		.amdhsa_system_sgpr_private_segment_wavefront_offset 1
		.amdhsa_system_sgpr_workgroup_id_x 1
		.amdhsa_system_sgpr_workgroup_id_y 1
		.amdhsa_system_sgpr_workgroup_id_z 1
		.amdhsa_system_sgpr_workgroup_info 0
		.amdhsa_system_vgpr_workitem_id 0
		.amdhsa_next_free_vgpr 128
		.amdhsa_next_free_sgpr 44
		.amdhsa_reserve_vcc 1
		.amdhsa_reserve_flat_scratch 0
		.amdhsa_float_round_mode_32 0
		.amdhsa_float_round_mode_16_64 0
		.amdhsa_float_denorm_mode_32 3
		.amdhsa_float_denorm_mode_16_64 3
		.amdhsa_dx10_clamp 1
		.amdhsa_ieee_mode 1
		.amdhsa_fp16_overflow 0
		.amdhsa_workgroup_processor_mode 1
		.amdhsa_memory_ordered 1
		.amdhsa_forward_progress 1
		.amdhsa_shared_vgpr_count 0
		.amdhsa_exception_fp_ieee_invalid_op 0
		.amdhsa_exception_fp_denorm_src 0
		.amdhsa_exception_fp_ieee_div_zero 0
		.amdhsa_exception_fp_ieee_overflow 0
		.amdhsa_exception_fp_ieee_underflow 0
		.amdhsa_exception_fp_ieee_inexact 0
		.amdhsa_exception_int_div_zero 0
	.end_amdhsa_kernel
	.section	.text._ZN4vllm25paged_attention_v1_kernelI14__hip_bfloat16hLi96ELi32ELi128ELNS_18Fp8KVCacheDataTypeE1ELb1EEEvPT_PKS3_PKT0_S9_ifPKiSB_iPKfiiiSD_SD_iiiii,"axG",@progbits,_ZN4vllm25paged_attention_v1_kernelI14__hip_bfloat16hLi96ELi32ELi128ELNS_18Fp8KVCacheDataTypeE1ELb1EEEvPT_PKS3_PKT0_S9_ifPKiSB_iPKfiiiSD_SD_iiiii,comdat
.Lfunc_end348:
	.size	_ZN4vllm25paged_attention_v1_kernelI14__hip_bfloat16hLi96ELi32ELi128ELNS_18Fp8KVCacheDataTypeE1ELb1EEEvPT_PKS3_PKT0_S9_ifPKiSB_iPKfiiiSD_SD_iiiii, .Lfunc_end348-_ZN4vllm25paged_attention_v1_kernelI14__hip_bfloat16hLi96ELi32ELi128ELNS_18Fp8KVCacheDataTypeE1ELb1EEEvPT_PKS3_PKT0_S9_ifPKiSB_iPKfiiiSD_SD_iiiii
                                        ; -- End function
	.set _ZN4vllm25paged_attention_v1_kernelI14__hip_bfloat16hLi96ELi32ELi128ELNS_18Fp8KVCacheDataTypeE1ELb1EEEvPT_PKS3_PKT0_S9_ifPKiSB_iPKfiiiSD_SD_iiiii.num_vgpr, max(32, .L_ZN4vllm22paged_attention_kernelI14__hip_bfloat16hLi96ELi32ELi128ELNS_18Fp8KVCacheDataTypeE1ELb1ELi0EEEvPfS3_PT_PKS4_PKT0_SA_ifPKiSC_iPKfiiiSE_SE_iiiii.num_vgpr)
	.set _ZN4vllm25paged_attention_v1_kernelI14__hip_bfloat16hLi96ELi32ELi128ELNS_18Fp8KVCacheDataTypeE1ELb1EEEvPT_PKS3_PKT0_S9_ifPKiSB_iPKfiiiSD_SD_iiiii.num_agpr, max(0, .L_ZN4vllm22paged_attention_kernelI14__hip_bfloat16hLi96ELi32ELi128ELNS_18Fp8KVCacheDataTypeE1ELb1ELi0EEEvPfS3_PT_PKS4_PKT0_SA_ifPKiSC_iPKfiiiSE_SE_iiiii.num_agpr)
	.set _ZN4vllm25paged_attention_v1_kernelI14__hip_bfloat16hLi96ELi32ELi128ELNS_18Fp8KVCacheDataTypeE1ELb1EEEvPT_PKS3_PKT0_S9_ifPKiSB_iPKfiiiSD_SD_iiiii.numbered_sgpr, max(44, .L_ZN4vllm22paged_attention_kernelI14__hip_bfloat16hLi96ELi32ELi128ELNS_18Fp8KVCacheDataTypeE1ELb1ELi0EEEvPfS3_PT_PKS4_PKT0_SA_ifPKiSC_iPKfiiiSE_SE_iiiii.numbered_sgpr)
	.set _ZN4vllm25paged_attention_v1_kernelI14__hip_bfloat16hLi96ELi32ELi128ELNS_18Fp8KVCacheDataTypeE1ELb1EEEvPT_PKS3_PKT0_S9_ifPKiSB_iPKfiiiSD_SD_iiiii.num_named_barrier, max(0, .L_ZN4vllm22paged_attention_kernelI14__hip_bfloat16hLi96ELi32ELi128ELNS_18Fp8KVCacheDataTypeE1ELb1ELi0EEEvPfS3_PT_PKS4_PKT0_SA_ifPKiSC_iPKfiiiSE_SE_iiiii.num_named_barrier)
	.set _ZN4vllm25paged_attention_v1_kernelI14__hip_bfloat16hLi96ELi32ELi128ELNS_18Fp8KVCacheDataTypeE1ELb1EEEvPT_PKS3_PKT0_S9_ifPKiSB_iPKfiiiSD_SD_iiiii.private_seg_size, 0+max(.L_ZN4vllm22paged_attention_kernelI14__hip_bfloat16hLi96ELi32ELi128ELNS_18Fp8KVCacheDataTypeE1ELb1ELi0EEEvPfS3_PT_PKS4_PKT0_SA_ifPKiSC_iPKfiiiSE_SE_iiiii.private_seg_size)
	.set _ZN4vllm25paged_attention_v1_kernelI14__hip_bfloat16hLi96ELi32ELi128ELNS_18Fp8KVCacheDataTypeE1ELb1EEEvPT_PKS3_PKT0_S9_ifPKiSB_iPKfiiiSD_SD_iiiii.uses_vcc, or(1, .L_ZN4vllm22paged_attention_kernelI14__hip_bfloat16hLi96ELi32ELi128ELNS_18Fp8KVCacheDataTypeE1ELb1ELi0EEEvPfS3_PT_PKS4_PKT0_SA_ifPKiSC_iPKfiiiSE_SE_iiiii.uses_vcc)
	.set _ZN4vllm25paged_attention_v1_kernelI14__hip_bfloat16hLi96ELi32ELi128ELNS_18Fp8KVCacheDataTypeE1ELb1EEEvPT_PKS3_PKT0_S9_ifPKiSB_iPKfiiiSD_SD_iiiii.uses_flat_scratch, or(0, .L_ZN4vllm22paged_attention_kernelI14__hip_bfloat16hLi96ELi32ELi128ELNS_18Fp8KVCacheDataTypeE1ELb1ELi0EEEvPfS3_PT_PKS4_PKT0_SA_ifPKiSC_iPKfiiiSE_SE_iiiii.uses_flat_scratch)
	.set _ZN4vllm25paged_attention_v1_kernelI14__hip_bfloat16hLi96ELi32ELi128ELNS_18Fp8KVCacheDataTypeE1ELb1EEEvPT_PKS3_PKT0_S9_ifPKiSB_iPKfiiiSD_SD_iiiii.has_dyn_sized_stack, or(0, .L_ZN4vllm22paged_attention_kernelI14__hip_bfloat16hLi96ELi32ELi128ELNS_18Fp8KVCacheDataTypeE1ELb1ELi0EEEvPfS3_PT_PKS4_PKT0_SA_ifPKiSC_iPKfiiiSE_SE_iiiii.has_dyn_sized_stack)
	.set _ZN4vllm25paged_attention_v1_kernelI14__hip_bfloat16hLi96ELi32ELi128ELNS_18Fp8KVCacheDataTypeE1ELb1EEEvPT_PKS3_PKT0_S9_ifPKiSB_iPKfiiiSD_SD_iiiii.has_recursion, or(0, .L_ZN4vllm22paged_attention_kernelI14__hip_bfloat16hLi96ELi32ELi128ELNS_18Fp8KVCacheDataTypeE1ELb1ELi0EEEvPfS3_PT_PKS4_PKT0_SA_ifPKiSC_iPKfiiiSE_SE_iiiii.has_recursion)
	.set _ZN4vllm25paged_attention_v1_kernelI14__hip_bfloat16hLi96ELi32ELi128ELNS_18Fp8KVCacheDataTypeE1ELb1EEEvPT_PKS3_PKT0_S9_ifPKiSB_iPKfiiiSD_SD_iiiii.has_indirect_call, or(0, .L_ZN4vllm22paged_attention_kernelI14__hip_bfloat16hLi96ELi32ELi128ELNS_18Fp8KVCacheDataTypeE1ELb1ELi0EEEvPfS3_PT_PKS4_PKT0_SA_ifPKiSC_iPKfiiiSE_SE_iiiii.has_indirect_call)
	.section	.AMDGPU.csdata,"",@progbits
; Kernel info:
; codeLenInByte = 260
; TotalNumSgprs: 46
; NumVgprs: 128
; ScratchSize: 684
; MemoryBound: 0
; FloatMode: 240
; IeeeMode: 1
; LDSByteSize: 224 bytes/workgroup (compile time only)
; SGPRBlocks: 0
; VGPRBlocks: 15
; NumSGPRsForWavesPerEU: 46
; NumVGPRsForWavesPerEU: 128
; Occupancy: 8
; WaveLimiterHint : 1
; COMPUTE_PGM_RSRC2:SCRATCH_EN: 1
; COMPUTE_PGM_RSRC2:USER_SGPR: 6
; COMPUTE_PGM_RSRC2:TRAP_HANDLER: 0
; COMPUTE_PGM_RSRC2:TGID_X_EN: 1
; COMPUTE_PGM_RSRC2:TGID_Y_EN: 1
; COMPUTE_PGM_RSRC2:TGID_Z_EN: 1
; COMPUTE_PGM_RSRC2:TIDIG_COMP_CNT: 0
	.text
	.p2align	2                               ; -- Begin function _ZN4vllm22paged_attention_kernelI14__hip_bfloat16hLi112ELi32ELi128ELNS_18Fp8KVCacheDataTypeE1ELb1ELi0EEEvPfS3_PT_PKS4_PKT0_SA_ifPKiSC_iPKfiiiSE_SE_iiiii
	.type	_ZN4vllm22paged_attention_kernelI14__hip_bfloat16hLi112ELi32ELi128ELNS_18Fp8KVCacheDataTypeE1ELb1ELi0EEEvPfS3_PT_PKS4_PKT0_SA_ifPKiSC_iPKfiiiSE_SE_iiiii,@function
_ZN4vllm22paged_attention_kernelI14__hip_bfloat16hLi112ELi32ELi128ELNS_18Fp8KVCacheDataTypeE1ELb1ELi0EEEvPfS3_PT_PKS4_PKT0_SA_ifPKiSC_iPKfiiiSE_SE_iiiii: ; @_ZN4vllm22paged_attention_kernelI14__hip_bfloat16hLi112ELi32ELi128ELNS_18Fp8KVCacheDataTypeE1ELb1ELi0EEEvPfS3_PT_PKS4_PKT0_SA_ifPKiSC_iPKfiiiSE_SE_iiiii
; %bb.0:
	s_waitcnt vmcnt(0) expcnt(0) lgkmcnt(0)
	buffer_store_dword v40, off, s[0:3], s32 offset:188 ; 4-byte Folded Spill
	buffer_store_dword v41, off, s[0:3], s32 offset:184 ; 4-byte Folded Spill
	;; [unrolled: 1-line block ×47, first 2 shown]
	buffer_store_dword v127, off, s[0:3], s32 ; 4-byte Folded Spill
	s_mov_b32 s10, s13
	s_ashr_i32 s11, s13, 31
	buffer_store_dword v22, off, s[0:3], s32 offset:356 ; 4-byte Folded Spill
	buffer_store_dword v23, off, s[0:3], s32 offset:360 ; 4-byte Folded Spill
	;; [unrolled: 1-line block ×6, first 2 shown]
	s_lshl_b64 s[6:7], s[10:11], 2
	buffer_store_dword v1, off, s[0:3], s32 offset:740 ; 4-byte Folded Spill
	buffer_store_dword v0, off, s[0:3], s32 offset:744 ; 4-byte Folded Spill
	v_add_co_u32 v0, vcc_lo, v12, s6
	v_add_co_ci_u32_e64 v1, null, s7, v13, vcc_lo
	s_clause 0x1
	s_load_dword s5, s[8:9], 0x10
	s_load_dword s6, s[8:9], 0x0
	v_mov_b32_e32 v30, v6
	flat_load_dword v32, v[0:1]
	v_sub_nc_u32_e32 v0, 0, v8
	v_mov_b32_e32 v29, v7
	s_mov_b32 s4, s15
	v_max_i32_e32 v0, v8, v0
	v_cvt_f32_u32_e32 v1, v0
	v_sub_nc_u32_e32 v6, 0, v0
	v_rcp_iflag_f32_e32 v1, v1
	s_waitcnt lgkmcnt(0)
	s_lshr_b32 s5, s5, 16
	s_cmp_lg_u32 s5, 0
	s_cselect_b32 s5, -1, 0
	s_cmp_lg_u32 s5, 0
	s_addc_u32 s11, s6, 0
	v_mul_f32_e32 v1, 0x4f7ffffe, v1
	s_abs_i32 s5, s11
	s_mov_b32 s6, exec_lo
	v_cvt_u32_f32_e32 v1, v1
	v_mul_lo_u32 v6, v6, v1
	v_mul_hi_u32 v6, v1, v6
	v_add_nc_u32_e32 v1, v1, v6
	v_mul_hi_u32 v1, s5, v1
	v_mul_lo_u32 v6, v1, v0
	v_add_nc_u32_e32 v7, 1, v1
	v_sub_nc_u32_e32 v6, s5, v6
	s_abs_i32 s5, s12
	v_sub_nc_u32_e32 v9, v6, v0
	v_cmp_ge_u32_e32 vcc_lo, v6, v0
	v_cndmask_b32_e32 v1, v1, v7, vcc_lo
	v_cndmask_b32_e32 v6, v6, v9, vcc_lo
	v_xor_b32_e32 v7, s11, v8
	v_add_nc_u32_e32 v9, 1, v1
	v_cmp_ge_u32_e32 vcc_lo, v6, v0
	v_ashrrev_i32_e32 v7, 31, v7
	v_cndmask_b32_e32 v0, v1, v9, vcc_lo
	v_xor_b32_e32 v0, v0, v7
	v_sub_nc_u32_e32 v1, v0, v7
	v_sub_nc_u32_e32 v0, 0, v1
	v_max_i32_e32 v0, v1, v0
	v_cvt_f32_u32_e32 v6, v0
	v_sub_nc_u32_e32 v7, 0, v0
	v_rcp_iflag_f32_e32 v6, v6
	v_mul_f32_e32 v6, 0x4f7ffffe, v6
	v_cvt_u32_f32_e32 v6, v6
	v_mul_lo_u32 v7, v7, v6
	v_mul_hi_u32 v7, v6, v7
	v_add_nc_u32_e32 v6, v6, v7
	v_mad_u64_u32 v[12:13], null, s5, v6, 0
	v_mov_b32_e32 v6, 0
	buffer_store_dword v6, off, s[0:3], s32 offset:236 ; 4-byte Folded Spill
	v_cmpx_ne_u64_e32 0, v[15:16]
	s_cbranch_execz .LBB349_2
; %bb.1:
	s_ashr_i32 s13, s12, 31
	s_lshl_b64 s[16:17], s[12:13], 2
	v_add_co_u32 v6, vcc_lo, v15, s16
	v_add_co_ci_u32_e64 v7, null, s17, v16, vcc_lo
	flat_load_dword v6, v[6:7]
	s_waitcnt vmcnt(0) lgkmcnt(0)
	buffer_store_dword v6, off, s[0:3], s32 offset:236 ; 4-byte Folded Spill
.LBB349_2:
	s_or_b32 exec_lo, exec_lo, s6
	v_and_b32_e32 v33, 0x3ff, v31
	v_ashrrev_i32_e32 v1, 31, v1
	s_ashr_i32 s6, s12, 31
	s_mul_i32 s16, s12, 0x70
	s_mov_b32 s7, exec_lo
	v_cmpx_gt_u32_e32 14, v33
	s_cbranch_execz .LBB349_4
; %bb.3:
	v_mul_lo_u32 v6, v17, s10
	s_ashr_i32 s17, s16, 31
	v_lshlrev_b32_e32 v15, 4, v33
	s_lshl_b64 s[18:19], s[16:17], 1
	v_ashrrev_i32_e32 v7, 31, v6
	v_lshlrev_b64 v[6:7], 1, v[6:7]
	v_add_co_u32 v2, vcc_lo, v2, v6
	v_add_co_ci_u32_e64 v3, null, v3, v7, vcc_lo
	v_add_co_u32 v2, vcc_lo, v2, s18
	v_add_co_ci_u32_e64 v3, null, s19, v3, vcc_lo
	;; [unrolled: 2-line block ×3, first 2 shown]
	flat_load_dwordx4 v[20:23], v[2:3]
	s_waitcnt vmcnt(0) lgkmcnt(0)
	ds_write_b128 v15, v[20:23]
.LBB349_4:
	s_or_b32 exec_lo, exec_lo, s7
	v_sub_nc_u32_e32 v2, 0, v27
	v_mul_lo_u32 v3, v13, v0
	v_add_nc_u32_e32 v7, 1, v13
	v_xor_b32_e32 v1, s6, v1
	v_max_i32_e32 v34, v27, v2
	v_sub_nc_u32_e32 v3, s5, v3
	v_cvt_f32_u32_e32 v2, v34
	v_sub_nc_u32_e32 v6, 0, v34
	s_mov_b32 s5, exec_lo
	v_sub_nc_u32_e32 v9, v3, v0
	v_rcp_iflag_f32_e32 v2, v2
	v_cmp_ge_u32_e32 vcc_lo, v3, v0
	v_cndmask_b32_e32 v7, v13, v7, vcc_lo
	v_cndmask_b32_e32 v3, v3, v9, vcc_lo
	v_mul_f32_e32 v2, 0x4f7ffffe, v2
	v_add_nc_u32_e32 v9, 1, v7
	v_cmp_ge_u32_e32 vcc_lo, v3, v0
	v_cvt_u32_f32_e32 v2, v2
	v_cndmask_b32_e32 v3, v7, v9, vcc_lo
	v_mul_lo_u32 v12, v6, v2
	s_waitcnt vmcnt(0)
	v_add_nc_u32_e32 v6, -1, v32
	v_xor_b32_e32 v7, v3, v1
	v_mul_hi_u32 v13, v2, v12
	v_sub_nc_u32_e32 v12, 0, v6
	v_max_i32_e32 v0, v6, v12
	v_add_nc_u32_e32 v2, v2, v13
	buffer_store_dword v2, off, s[0:3], s32 offset:208 ; 4-byte Folded Spill
	v_mad_u64_u32 v[2:3], null, v0, v2, 0
	v_sub_nc_u32_e32 v2, v7, v1
                                        ; implicit-def: $vgpr1
	s_waitcnt lgkmcnt(0)
	s_waitcnt_vscnt null, 0x0
	s_barrier
	buffer_gl0_inv
	buffer_store_dword v1, off, s[0:3], s32 offset:196 ; 4-byte Folded Spill
	buffer_store_dword v2, off, s[0:3], s32 offset:200 ; 4-byte Folded Spill
	v_cmpx_gt_i32_e32 0, v28
	s_xor_b32 s5, exec_lo, s5
	s_cbranch_execz .LBB349_6
; %bb.5:
	v_mad_u64_u32 v[7:8], null, v24, v8, v[2:3]
                                        ; implicit-def: $vgpr24
	v_mul_lo_u32 v1, v7, v28
                                        ; implicit-def: $vgpr28
	v_sub_nc_u32_e32 v1, 1, v1
	buffer_store_dword v1, off, s[0:3], s32 offset:196 ; 4-byte Folded Spill
	buffer_store_dword v2, off, s[0:3], s32 offset:200 ; 4-byte Folded Spill
.LBB349_6:
	s_or_saveexec_b32 s5, s5
	v_ashrrev_i32_e32 v1, 31, v6
	v_ashrrev_i32_e32 v6, 31, v27
	buffer_store_dword v6, off, s[0:3], s32 offset:204 ; 4-byte Folded Spill
	s_xor_b32 exec_lo, exec_lo, s5
	s_cbranch_execz .LBB349_8
; %bb.7:
	v_mad_u64_u32 v[6:7], null, s11, v24, s[12:13]
	v_mad_u64_u32 v[6:7], null, v6, v28, 1
	buffer_store_dword v6, off, s[0:3], s32 offset:196 ; 4-byte Folded Spill
	buffer_store_dword v7, off, s[0:3], s32 offset:200 ; 4-byte Folded Spill
.LBB349_8:
	s_or_b32 exec_lo, exec_lo, s5
	s_clause 0x1
	s_load_dword s7, s[8:9], 0x14
	s_load_dword s15, s[8:9], 0x8
	buffer_load_dword v8, off, s[0:3], s32 offset:204 ; 4-byte Folded Reload
	v_mul_lo_u32 v6, v3, v34
	v_add_nc_u32_e32 v7, 1, v3
	v_mul_lo_u32 v31, v2, v19
	v_lshrrev_b32_e32 v87, 5, v33
	v_and_b32_e32 v12, 31, v33
	s_ashr_i32 s5, s4, 31
	s_getpc_b64 s[8:9]
	s_add_u32 s8, s8, llvm.amdgcn.dynlds.offset.table@rel32@lo+4
	s_addc_u32 s9, s9, llvm.amdgcn.dynlds.offset.table@rel32@hi+12
	v_sub_nc_u32_e32 v48, 0, v26
	v_sub_nc_u32_e32 v6, v0, v6
	v_mul_lo_u32 v0, v14, s10
	s_lshl_b64 s[12:13], s[4:5], 2
	v_lshlrev_b32_e32 v37, 5, v87
	buffer_store_dword v12, off, s[0:3], s32 offset:352 ; 4-byte Folded Spill
	v_sub_nc_u32_e32 v9, v6, v34
	v_cmp_ge_u32_e32 vcc_lo, v6, v34
	v_lshlrev_b32_e32 v19, 2, v12
	v_ashrrev_i32_e32 v49, 31, v31
	v_lshrrev_b32_e32 v12, 3, v33
	s_add_u32 s8, s8, s12
	v_cndmask_b32_e32 v3, v3, v7, vcc_lo
	v_cndmask_b32_e32 v6, v6, v9, vcc_lo
	s_addc_u32 s9, s9, s13
	v_add_nc_u32_e32 v9, 1, v3
	v_cmp_ge_u32_e32 vcc_lo, v6, v34
	v_cndmask_b32_e32 v3, v3, v9, vcc_lo
	v_mov_b32_e32 v9, 0xff7fffff
	s_waitcnt vmcnt(0)
	v_xor_b32_e32 v8, v1, v8
	v_add_nc_u32_e32 v1, 31, v32
	v_xor_b32_e32 v3, v3, v8
	v_ashrrev_i32_e32 v7, 31, v1
	v_lshrrev_b32_e32 v7, 27, v7
	v_add_nc_u32_e32 v2, v1, v7
	v_ashrrev_i32_e32 v1, 31, v0
	v_ashrrev_i32_e32 v6, 5, v2
	v_sub_nc_u32_e32 v2, v3, v8
	v_lshlrev_b64 v[38:39], 2, v[0:1]
	v_cmp_lt_i32_e64 s4, v87, v6
	v_sub_nc_u32_e32 v0, v2, v25
	buffer_store_dword v6, off, s[0:3], s32 offset:192 ; 4-byte Folded Spill
	buffer_store_dword v0, off, s[0:3], s32 offset:212 ; 4-byte Folded Spill
	s_mov_b32 s17, exec_lo
	s_and_b32 s5, s17, s4
	buffer_store_dword v33, off, s[0:3], s32 offset:732 ; 4-byte Folded Spill
	buffer_store_dword v87, off, s[0:3], s32 offset:736 ; 4-byte Folded Spill
	s_mov_b32 exec_lo, s5
	s_cbranch_execz .LBB349_912
; %bb.9:
	v_mov_b32_e32 v14, 0
	buffer_store_dword v30, off, s[0:3], s32 offset:764 ; 4-byte Folded Spill
	buffer_store_dword v29, off, s[0:3], s32 offset:760 ; 4-byte Folded Spill
	v_max_i32_e32 v67, v26, v48
	v_lshlrev_b32_e32 v80, 5, v87
	v_lshl_or_b32 v81, v87, 7, v19
	ds_read_b128 v[0:3], v14
	ds_read_b128 v[6:9], v14 offset:16
	ds_read_b128 v[15:18], v14 offset:32
	v_mov_b32_e32 v82, 0x80
	v_mov_b32_e32 v84, 0xff
	;; [unrolled: 1-line block ×3, first 2 shown]
	s_mov_b32 s12, -1
	s_mov_b32 s18, 0
	s_mov_b32 s13, 0xffffff
	s_waitcnt lgkmcnt(0)
	v_lshlrev_b32_e32 v13, 16, v0
	v_and_b32_e32 v0, 0xffff0000, v0
	buffer_store_dword v13, off, s[0:3], s32 offset:252 ; 4-byte Folded Spill
	buffer_store_dword v0, off, s[0:3], s32 offset:256 ; 4-byte Folded Spill
	v_lshlrev_b32_e32 v0, 16, v1
	buffer_store_dword v0, off, s[0:3], s32 offset:260 ; 4-byte Folded Spill
	v_and_b32_e32 v0, 0xffff0000, v1
	buffer_store_dword v0, off, s[0:3], s32 offset:264 ; 4-byte Folded Spill
	v_lshlrev_b32_e32 v0, 16, v2
	buffer_store_dword v0, off, s[0:3], s32 offset:268 ; 4-byte Folded Spill
	v_and_b32_e32 v0, 0xffff0000, v2
	;; [unrolled: 4-line block ×4, first 2 shown]
	v_lshlrev_b32_e32 v6, 16, v15
	buffer_store_dword v0, off, s[0:3], s32 offset:292 ; 4-byte Folded Spill
	v_lshlrev_b32_e32 v0, 16, v7
	buffer_store_dword v6, off, s[0:3], s32 offset:320 ; 4-byte Folded Spill
	v_and_b32_e32 v6, 0xffff0000, v15
	buffer_store_dword v0, off, s[0:3], s32 offset:296 ; 4-byte Folded Spill
	v_and_b32_e32 v0, 0xffff0000, v7
	buffer_store_dword v6, off, s[0:3], s32 offset:324 ; 4-byte Folded Spill
	v_lshlrev_b32_e32 v6, 16, v16
	buffer_store_dword v0, off, s[0:3], s32 offset:300 ; 4-byte Folded Spill
	v_lshlrev_b32_e32 v0, 16, v8
	buffer_store_dword v6, off, s[0:3], s32 offset:328 ; 4-byte Folded Spill
	v_and_b32_e32 v6, 0xffff0000, v16
	buffer_store_dword v0, off, s[0:3], s32 offset:304 ; 4-byte Folded Spill
	v_and_b32_e32 v0, 0xffff0000, v8
	buffer_store_dword v6, off, s[0:3], s32 offset:332 ; 4-byte Folded Spill
	;; [unrolled: 8-line block ×3, first 2 shown]
	v_lshlrev_b32_e32 v6, 16, v18
	buffer_store_dword v0, off, s[0:3], s32 offset:316 ; 4-byte Folded Spill
	ds_read_b128 v[0:3], v14 offset:48
	buffer_store_dword v6, off, s[0:3], s32 offset:344 ; 4-byte Folded Spill
	v_and_b32_e32 v6, 0xffff0000, v18
	buffer_store_dword v6, off, s[0:3], s32 offset:348 ; 4-byte Folded Spill
	s_waitcnt lgkmcnt(0)
	v_lshlrev_b32_e32 v6, 16, v0
	v_and_b32_e32 v0, 0xffff0000, v0
	buffer_store_dword v6, off, s[0:3], s32 offset:364 ; 4-byte Folded Spill
	buffer_store_dword v0, off, s[0:3], s32 offset:368 ; 4-byte Folded Spill
	v_lshlrev_b32_e32 v0, 16, v1
	buffer_store_dword v0, off, s[0:3], s32 offset:376 ; 4-byte Folded Spill
	v_and_b32_e32 v0, 0xffff0000, v1
	buffer_store_dword v0, off, s[0:3], s32 offset:380 ; 4-byte Folded Spill
	v_lshlrev_b32_e32 v0, 16, v2
	buffer_store_dword v0, off, s[0:3], s32 offset:384 ; 4-byte Folded Spill
	v_and_b32_e32 v0, 0xffff0000, v2
	buffer_store_dword v0, off, s[0:3], s32 offset:388 ; 4-byte Folded Spill
	v_lshlrev_b32_e32 v0, 16, v3
	buffer_store_dword v0, off, s[0:3], s32 offset:392 ; 4-byte Folded Spill
	v_and_b32_e32 v0, 0xffff0000, v3
	buffer_store_dword v0, off, s[0:3], s32 offset:396 ; 4-byte Folded Spill
	ds_read_b128 v[0:3], v14 offset:64
	ds_read_b128 v[6:9], v14 offset:80
	s_waitcnt lgkmcnt(1)
	v_lshlrev_b32_e32 v13, 16, v0
	v_and_b32_e32 v0, 0xffff0000, v0
	buffer_store_dword v13, off, s[0:3], s32 offset:400 ; 4-byte Folded Spill
	buffer_store_dword v0, off, s[0:3], s32 offset:404 ; 4-byte Folded Spill
	v_lshlrev_b32_e32 v0, 16, v1
	buffer_store_dword v0, off, s[0:3], s32 offset:408 ; 4-byte Folded Spill
	v_and_b32_e32 v0, 0xffff0000, v1
	buffer_store_dword v0, off, s[0:3], s32 offset:412 ; 4-byte Folded Spill
	v_lshlrev_b32_e32 v0, 16, v2
	buffer_store_dword v0, off, s[0:3], s32 offset:416 ; 4-byte Folded Spill
	v_and_b32_e32 v0, 0xffff0000, v2
	buffer_store_dword v0, off, s[0:3], s32 offset:420 ; 4-byte Folded Spill
	v_lshlrev_b32_e32 v0, 16, v3
	buffer_store_dword v0, off, s[0:3], s32 offset:424 ; 4-byte Folded Spill
	v_and_b32_e32 v0, 0xffff0000, v3
	buffer_store_dword v0, off, s[0:3], s32 offset:428 ; 4-byte Folded Spill
	s_waitcnt lgkmcnt(0)
	v_lshlrev_b32_e32 v0, 16, v6
	buffer_store_dword v0, off, s[0:3], s32 offset:432 ; 4-byte Folded Spill
	v_and_b32_e32 v0, 0xffff0000, v6
	buffer_store_dword v0, off, s[0:3], s32 offset:436 ; 4-byte Folded Spill
	v_lshlrev_b32_e32 v0, 16, v7
	buffer_store_dword v0, off, s[0:3], s32 offset:440 ; 4-byte Folded Spill
	v_and_b32_e32 v0, 0xffff0000, v7
	buffer_store_dword v0, off, s[0:3], s32 offset:444 ; 4-byte Folded Spill
	v_lshlrev_b32_e32 v0, 16, v8
	buffer_store_dword v0, off, s[0:3], s32 offset:448 ; 4-byte Folded Spill
	v_and_b32_e32 v0, 0xffff0000, v8
	buffer_store_dword v0, off, s[0:3], s32 offset:452 ; 4-byte Folded Spill
	v_lshlrev_b32_e32 v0, 16, v9
	buffer_store_dword v0, off, s[0:3], s32 offset:456 ; 4-byte Folded Spill
	v_and_b32_e32 v0, 0xffff0000, v9
	buffer_store_dword v0, off, s[0:3], s32 offset:460 ; 4-byte Folded Spill
	ds_read_b128 v[0:3], v14 offset:96
	ds_read_b128 v[6:9], v14 offset:112
	s_waitcnt lgkmcnt(1)
	v_lshlrev_b32_e32 v13, 16, v0
	v_and_b32_e32 v0, 0xffff0000, v0
	buffer_store_dword v13, off, s[0:3], s32 offset:464 ; 4-byte Folded Spill
	buffer_store_dword v0, off, s[0:3], s32 offset:468 ; 4-byte Folded Spill
	v_lshlrev_b32_e32 v0, 16, v1
	buffer_store_dword v0, off, s[0:3], s32 offset:472 ; 4-byte Folded Spill
	v_and_b32_e32 v0, 0xffff0000, v1
	buffer_store_dword v0, off, s[0:3], s32 offset:476 ; 4-byte Folded Spill
	v_lshlrev_b32_e32 v0, 16, v2
	buffer_store_dword v0, off, s[0:3], s32 offset:480 ; 4-byte Folded Spill
	v_and_b32_e32 v0, 0xffff0000, v2
	buffer_store_dword v0, off, s[0:3], s32 offset:484 ; 4-byte Folded Spill
	v_lshlrev_b32_e32 v0, 16, v3
	buffer_store_dword v0, off, s[0:3], s32 offset:488 ; 4-byte Folded Spill
	v_and_b32_e32 v0, 0xffff0000, v3
	buffer_store_dword v0, off, s[0:3], s32 offset:492 ; 4-byte Folded Spill
	s_waitcnt lgkmcnt(0)
	v_lshlrev_b32_e32 v0, 16, v6
	buffer_store_dword v0, off, s[0:3], s32 offset:496 ; 4-byte Folded Spill
	v_and_b32_e32 v0, 0xffff0000, v6
	;; [unrolled: 36-line block ×5, first 2 shown]
	buffer_store_dword v0, off, s[0:3], s32 offset:692 ; 4-byte Folded Spill
	v_lshlrev_b32_e32 v0, 16, v7
	buffer_store_dword v0, off, s[0:3], s32 offset:696 ; 4-byte Folded Spill
	v_and_b32_e32 v0, 0xffff0000, v7
	buffer_store_dword v0, off, s[0:3], s32 offset:700 ; 4-byte Folded Spill
	v_lshlrev_b32_e32 v0, 16, v8
	buffer_store_dword v0, off, s[0:3], s32 offset:704 ; 4-byte Folded Spill
	v_and_b32_e32 v0, 0xffff0000, v8
	;; [unrolled: 4-line block ×3, first 2 shown]
	buffer_store_dword v0, off, s[0:3], s32 offset:716 ; 4-byte Folded Spill
	buffer_store_dword v31, off, s[0:3], s32 offset:780 ; 4-byte Folded Spill
	buffer_load_dword v3, off, s[0:3], s32 offset:352 ; 4-byte Folded Reload
	v_add_co_u32 v0, vcc_lo, v4, v31
	v_add_co_ci_u32_e64 v1, null, v5, v49, vcc_lo
	buffer_store_dword v49, off, s[0:3], s32 offset:788 ; 4-byte Folded Spill
	v_mov_b32_e32 v9, 0xff7fffff
	s_waitcnt vmcnt(0)
	v_lshlrev_b32_e32 v2, 4, v3
	v_add_co_u32 v0, vcc_lo, v0, v2
	v_add_co_ci_u32_e64 v1, null, 0, v1, vcc_lo
	buffer_store_dword v0, off, s[0:3], s32 offset:720 ; 4-byte Folded Spill
	buffer_store_dword v1, off, s[0:3], s32 offset:724 ; 4-byte Folded Spill
	;; [unrolled: 1-line block ×4, first 2 shown]
	v_cvt_f32_u32_e32 v0, v67
	v_sub_nc_u32_e32 v1, 0, v67
	v_rcp_iflag_f32_e32 v0, v0
	v_mul_f32_e32 v0, 0x4f7ffffe, v0
	v_cvt_u32_f32_e32 v0, v0
	v_mul_lo_u32 v1, v1, v0
	v_mul_hi_u32 v1, v0, v1
	v_add_nc_u32_e32 v0, v0, v1
	buffer_store_dword v0, off, s[0:3], s32 offset:228 ; 4-byte Folded Spill
	buffer_store_dword v12, off, s[0:3], s32 offset:776 ; 4-byte Folded Spill
	v_and_b32_e32 v0, 0x7c, v12
	v_add_co_u32 v0, vcc_lo, v0, v38
	buffer_store_dword v38, off, s[0:3], s32 offset:768 ; 4-byte Folded Spill
	buffer_store_dword v39, off, s[0:3], s32 offset:772 ; 4-byte Folded Spill
	s_load_dword s19, s[8:9], 0x0
	buffer_store_dword v10, off, s[0:3], s32 offset:752 ; 4-byte Folded Spill
	buffer_store_dword v11, off, s[0:3], s32 offset:748 ; 4-byte Folded Spill
	;; [unrolled: 1-line block ×3, first 2 shown]
	v_add_co_ci_u32_e64 v1, null, 0, v39, vcc_lo
	v_add_co_u32 v15, vcc_lo, v10, v0
	buffer_load_dword v0, off, s[0:3], s32 offset:236 ; 4-byte Folded Reload
	v_add_co_ci_u32_e64 v16, null, v11, v1, vcc_lo
	s_waitcnt vmcnt(0)
	v_cmp_neq_f32_e32 vcc_lo, 0, v0
	v_sub_nc_u32_e32 v0, v3, v32
	v_add_nc_u32_e32 v0, 1, v0
	buffer_store_dword v0, off, s[0:3], s32 offset:728 ; 4-byte Folded Spill
	s_branch .LBB349_15
.LBB349_10:                             ;   in Loop: Header=BB349_15 Depth=1
	s_or_b32 exec_lo, exec_lo, s23
	v_lshlrev_b32_sdwa v13, v86, v25 dst_sel:DWORD dst_unused:UNUSED_PAD src0_sel:DWORD src1_sel:BYTE_3
	v_lshlrev_b32_e32 v25, 20, v27
	v_lshl_add_u32 v24, v24, 23, 0x3c000000
	v_and_b32_e32 v13, 0x80000000, v13
	v_or3_b32 v98, v25, v13, v24
.LBB349_11:                             ;   in Loop: Header=BB349_15 Depth=1
	s_or_b32 exec_lo, exec_lo, s22
.LBB349_12:                             ;   in Loop: Header=BB349_15 Depth=1
	s_or_b32 exec_lo, exec_lo, s21
.LBB349_13:                             ;   in Loop: Header=BB349_15 Depth=1
	s_or_b32 exec_lo, exec_lo, s20
	v_mul_f32_e32 v13, v96, v100
	v_mul_f32_e32 v21, v96, v21
	v_mul_f32_e32 v9, v96, v9
	v_mul_f32_e32 v55, v96, v55
	v_mul_f32_e32 v54, v96, v54
	v_bfe_u32 v24, v13, 16, 1
	v_or_b32_e32 v25, 0x400000, v13
	v_cmp_u_f32_e64 s5, v13, v13
	v_mul_f32_e32 v53, v96, v53
	v_mul_f32_e32 v52, v96, v52
	v_add3_u32 v24, v24, v13, 0x7fff
	v_mul_f32_e32 v51, v96, v51
	v_mul_f32_e32 v22, v96, v22
	v_mul_f32_e32 v23, v96, v23
	v_mul_f32_e32 v31, v96, v31
	v_cndmask_b32_e64 v13, v24, v25, s5
	v_mul_f32_e32 v24, v96, v97
	v_mul_f32_e32 v26, v96, v26
	v_mul_f32_e32 v19, v96, v19
	v_mul_f32_e32 v38, v96, v38
	v_mul_f32_e32 v18, v96, v18
	v_bfe_u32 v25, v24, 16, 1
	v_or_b32_e32 v27, 0x400000, v24
	v_cmp_u_f32_e64 s5, v24, v24
	v_mul_f32_e32 v33, v96, v33
	v_mul_f32_e32 v10, v96, v10
	v_add3_u32 v25, v25, v24, 0x7fff
	v_mul_f32_e32 v11, v96, v11
	v_mul_f32_e32 v6, v96, v6
	v_mul_f32_e32 v7, v96, v7
	v_mul_f32_e32 v3, v96, v3
	v_cndmask_b32_e64 v24, v25, v27, s5
	;; [unrolled: 16-line block ×3, first 2 shown]
	v_bfe_u32 v27, v21, 16, 1
	v_or_b32_e32 v28, 0x400000, v21
	v_cmp_u_f32_e64 s5, v21, v21
	v_mul_f32_e32 v109, v96, v109
	v_mul_f32_e32 v108, v96, v108
	v_add3_u32 v27, v27, v21, 0x7fff
	v_bfe_u32 v21, v9, 16, 1
	v_mul_f32_e32 v107, v96, v107
	v_mul_f32_e32 v106, v96, v106
	;; [unrolled: 1-line block ×3, first 2 shown]
	v_cndmask_b32_e64 v27, v27, v28, s5
	v_add3_u32 v21, v21, v9, 0x7fff
	v_or_b32_e32 v28, 0x400000, v9
	v_cmp_u_f32_e64 s5, v9, v9
	v_mul_f32_e32 v9, v96, v48
	v_mul_f32_e32 v111, v96, v111
	;; [unrolled: 1-line block ×4, first 2 shown]
	v_cndmask_b32_e64 v28, v21, v28, s5
	v_bfe_u32 v21, v9, 16, 1
	v_or_b32_e32 v48, 0x400000, v9
	v_cmp_u_f32_e64 s5, v9, v9
	v_mul_f32_e32 v92, v96, v92
	v_mul_f32_e32 v91, v96, v91
	v_add3_u32 v21, v21, v9, 0x7fff
	v_mul_f32_e32 v9, v96, v102
	v_mul_f32_e32 v90, v96, v90
	;; [unrolled: 1-line block ×4, first 2 shown]
	v_cndmask_b32_e64 v68, v21, v48, s5
	v_bfe_u32 v21, v9, 16, 1
	v_or_b32_e32 v48, 0x400000, v9
	v_cmp_u_f32_e64 s5, v9, v9
	v_mul_f32_e32 v78, v96, v78
	v_mul_f32_e32 v77, v96, v77
	v_add3_u32 v21, v21, v9, 0x7fff
	v_mul_f32_e32 v76, v96, v76
	v_mul_f32_e32 v75, v96, v75
	;; [unrolled: 1-line block ×4, first 2 shown]
	v_cndmask_b32_e64 v9, v21, v48, s5
	v_mul_f32_e32 v21, v96, v101
	v_mul_f32_e32 v79, v96, v79
	;; [unrolled: 1-line block ×5, first 2 shown]
	v_bfe_u32 v48, v21, 16, 1
	v_or_b32_e32 v97, 0x400000, v21
	v_cmp_u_f32_e64 s5, v21, v21
	v_mul_f32_e32 v59, v96, v59
	v_mul_f32_e32 v58, v96, v58
	v_add3_u32 v48, v48, v21, 0x7fff
	v_mul_f32_e32 v21, v96, v64
	v_mul_f32_e32 v57, v96, v57
	v_mul_f32_e32 v63, v96, v63
	v_mul_f32_e32 v46, v96, v46
	v_cndmask_b32_e64 v48, v48, v97, s5
	v_bfe_u32 v64, v21, 16, 1
	v_or_b32_e32 v97, 0x400000, v21
	v_cmp_u_f32_e64 s5, v21, v21
	v_mul_f32_e32 v45, v96, v45
	v_mul_f32_e32 v44, v96, v44
	v_add3_u32 v64, v64, v21, 0x7fff
	v_mul_f32_e32 v43, v96, v43
	v_mul_f32_e32 v42, v96, v42
	v_mul_f32_e32 v41, v96, v41
	v_mul_f32_e32 v47, v96, v47
	v_cndmask_b32_e64 v21, v64, v97, s5
	;; [unrolled: 11-line block ×3, first 2 shown]
	v_bfe_u32 v64, v54, 16, 1
	v_or_b32_e32 v97, 0x400000, v54
	v_cmp_u_f32_e64 s5, v54, v54
	v_mul_f32_e32 v36, v96, v36
	v_mul_f32_e32 v20, v96, v20
	v_add3_u32 v64, v64, v54, 0x7fff
	v_mul_f32_e32 v5, v96, v5
	v_mul_f32_e32 v4, v96, v4
	s_load_dword s20, s[8:9], 0x0
	v_cndmask_b32_e64 v54, v64, v97, s5
	v_bfe_u32 v64, v53, 16, 1
	v_or_b32_e32 v97, 0x400000, v53
	v_cmp_u_f32_e64 s5, v53, v53
	v_add3_u32 v64, v64, v53, 0x7fff
	v_cndmask_b32_e64 v53, v64, v97, s5
	v_bfe_u32 v64, v52, 16, 1
	v_or_b32_e32 v97, 0x400000, v52
	v_cmp_u_f32_e64 s5, v52, v52
	v_add3_u32 v64, v64, v52, 0x7fff
	;; [unrolled: 5-line block ×3, first 2 shown]
	v_mul_f32_e32 v51, v96, v71
	v_cndmask_b32_e64 v97, v64, v97, s5
	v_bfe_u32 v64, v51, 16, 1
	v_or_b32_e32 v71, 0x400000, v51
	v_cmp_u_f32_e64 s5, v51, v51
	v_add3_u32 v64, v64, v51, 0x7fff
	v_cndmask_b32_e64 v51, v64, v71, s5
	v_mul_f32_e32 v64, v96, v66
	v_bfe_u32 v66, v64, 16, 1
	v_or_b32_e32 v71, 0x400000, v64
	v_cmp_u_f32_e64 s5, v64, v64
	v_add3_u32 v66, v66, v64, 0x7fff
	v_cndmask_b32_e64 v64, v66, v71, s5
	v_bfe_u32 v66, v22, 16, 1
	v_or_b32_e32 v71, 0x400000, v22
	v_cmp_u_f32_e64 s5, v22, v22
	v_add3_u32 v66, v66, v22, 0x7fff
	v_cndmask_b32_e64 v22, v66, v71, s5
	;; [unrolled: 5-line block ×6, first 2 shown]
	v_bfe_u32 v66, v38, 16, 1
	v_or_b32_e32 v71, 0x400000, v38
	v_cmp_u_f32_e64 s5, v38, v38
	v_add3_u32 v66, v66, v38, 0x7fff
	v_bfe_u32 v38, v18, 16, 1
	v_cndmask_b32_e64 v66, v66, v71, s5
	v_add3_u32 v38, v38, v18, 0x7fff
	v_or_b32_e32 v71, 0x400000, v18
	v_cmp_u_f32_e64 s5, v18, v18
	v_cndmask_b32_e64 v18, v38, v71, s5
	v_mul_f32_e32 v38, v96, v50
	v_bfe_u32 v50, v38, 16, 1
	v_or_b32_e32 v71, 0x400000, v38
	v_cmp_u_f32_e64 s5, v38, v38
	v_add3_u32 v50, v50, v38, 0x7fff
	v_cndmask_b32_e64 v38, v50, v71, s5
	v_bfe_u32 v50, v33, 16, 1
	v_or_b32_e32 v71, 0x400000, v33
	v_cmp_u_f32_e64 s5, v33, v33
	v_add3_u32 v50, v50, v33, 0x7fff
	v_cndmask_b32_e64 v33, v50, v71, s5
	;; [unrolled: 5-line block ×6, first 2 shown]
	v_mul_f32_e32 v50, v96, v70
	v_bfe_u32 v70, v50, 16, 1
	v_or_b32_e32 v71, 0x400000, v50
	v_cmp_u_f32_e64 s5, v50, v50
	v_add3_u32 v70, v70, v50, 0x7fff
	v_cndmask_b32_e64 v50, v70, v71, s5
	v_bfe_u32 v70, v3, 16, 1
	v_or_b32_e32 v71, 0x400000, v3
	v_cmp_u_f32_e64 s5, v3, v3
	v_add3_u32 v70, v70, v3, 0x7fff
	v_cndmask_b32_e64 v3, v70, v71, s5
	;; [unrolled: 5-line block ×5, first 2 shown]
	v_bfe_u32 v70, v1, 16, 1
	v_or_b32_e32 v71, 0x400000, v1
	v_cmp_u_f32_e64 s5, v1, v1
	v_and_b32_e32 v0, 0xffff0000, v0
	v_add3_u32 v70, v70, v1, 0x7fff
	v_cndmask_b32_e64 v1, v70, v71, s5
	v_bfe_u32 v70, v39, 16, 1
	v_or_b32_e32 v71, 0x400000, v39
	v_cmp_u_f32_e64 s5, v39, v39
	v_and_b32_e32 v1, 0xffff0000, v1
	v_add3_u32 v70, v70, v39, 0x7fff
	v_cndmask_b32_e64 v39, v70, v71, s5
	v_bfe_u32 v70, v35, 16, 1
	v_or_b32_e32 v71, 0x400000, v35
	v_cmp_u_f32_e64 s5, v35, v35
	v_add3_u32 v70, v70, v35, 0x7fff
	v_cndmask_b32_e64 v35, v70, v71, s5
	v_bfe_u32 v70, v12, 16, 1
	v_or_b32_e32 v71, 0x400000, v12
	v_cmp_u_f32_e64 s5, v12, v12
	v_add3_u32 v70, v70, v12, 0x7fff
	v_mul_f32_e32 v12, v96, v17
	v_cndmask_b32_e64 v70, v70, v71, s5
	v_bfe_u32 v17, v12, 16, 1
	v_or_b32_e32 v71, 0x400000, v12
	v_cmp_u_f32_e64 s5, v12, v12
	v_add3_u32 v17, v17, v12, 0x7fff
	v_cndmask_b32_e64 v12, v17, v71, s5
	v_mul_f32_e32 v17, v96, v49
	v_bfe_u32 v49, v17, 16, 1
	v_or_b32_e32 v71, 0x400000, v17
	v_cmp_u_f32_e64 s5, v17, v17
	v_add3_u32 v49, v49, v17, 0x7fff
	v_cndmask_b32_e64 v17, v49, v71, s5
	v_mul_f32_e32 v49, v96, v126
	;; [unrolled: 6-line block ×3, first 2 shown]
	v_and_b32_e32 v49, 0xffff0000, v49
	v_bfe_u32 v100, v71, 16, 1
	v_or_b32_e32 v101, 0x400000, v71
	v_cmp_u_f32_e64 s5, v71, v71
	v_add3_u32 v100, v100, v71, 0x7fff
	v_cndmask_b32_e64 v71, v100, v101, s5
	v_mul_f32_e32 v100, v96, v124
	v_bfe_u32 v101, v100, 16, 1
	v_or_b32_e32 v102, 0x400000, v100
	v_cmp_u_f32_e64 s5, v100, v100
	v_add3_u32 v101, v101, v100, 0x7fff
	v_cndmask_b32_e64 v100, v101, v102, s5
	v_mul_f32_e32 v101, v96, v123
	;; [unrolled: 6-line block ×3, first 2 shown]
	v_bfe_u32 v122, v102, 16, 1
	v_or_b32_e32 v123, 0x400000, v102
	v_cmp_u_f32_e64 s5, v102, v102
	v_add3_u32 v122, v122, v102, 0x7fff
	v_cndmask_b32_e64 v102, v122, v123, s5
	v_bfe_u32 v122, v121, 16, 1
	v_or_b32_e32 v123, 0x400000, v121
	v_cmp_u_f32_e64 s5, v121, v121
	v_add3_u32 v122, v122, v121, 0x7fff
	v_bfe_u32 v121, v8, 16, 1
	v_cndmask_b32_e64 v122, v122, v123, s5
	v_add3_u32 v121, v121, v8, 0x7fff
	v_or_b32_e32 v123, 0x400000, v8
	v_cmp_u_f32_e64 s5, v8, v8
	v_cndmask_b32_e64 v8, v121, v123, s5
	v_mul_f32_e32 v121, v96, v127
	v_and_b32_e32 v8, 0xffff0000, v8
	v_bfe_u32 v123, v121, 16, 1
	v_or_b32_e32 v124, 0x400000, v121
	v_cmp_u_f32_e64 s5, v121, v121
	v_add3_u32 v123, v123, v121, 0x7fff
	v_cndmask_b32_e64 v121, v123, v124, s5
	v_bfe_u32 v123, v110, 16, 1
	v_or_b32_e32 v124, 0x400000, v110
	v_cmp_u_f32_e64 s5, v110, v110
	v_add3_u32 v123, v123, v110, 0x7fff
	v_cndmask_b32_e64 v110, v123, v124, s5
	v_bfe_u32 v123, v109, 16, 1
	v_or_b32_e32 v124, 0x400000, v109
	v_cmp_u_f32_e64 s5, v109, v109
	v_add3_u32 v123, v123, v109, 0x7fff
	v_cndmask_b32_e64 v109, v123, v124, s5
	v_bfe_u32 v123, v108, 16, 1
	v_or_b32_e32 v124, 0x400000, v108
	v_cmp_u_f32_e64 s5, v108, v108
	v_add3_u32 v123, v123, v108, 0x7fff
	v_cndmask_b32_e64 v108, v123, v124, s5
	v_bfe_u32 v123, v107, 16, 1
	v_or_b32_e32 v124, 0x400000, v107
	v_cmp_u_f32_e64 s5, v107, v107
	v_add3_u32 v123, v123, v107, 0x7fff
	v_cndmask_b32_e64 v107, v123, v124, s5
	v_bfe_u32 v123, v106, 16, 1
	v_or_b32_e32 v124, 0x400000, v106
	v_cmp_u_f32_e64 s5, v106, v106
	v_add3_u32 v123, v123, v106, 0x7fff
	v_cndmask_b32_e64 v106, v123, v124, s5
	v_bfe_u32 v123, v105, 16, 1
	v_or_b32_e32 v124, 0x400000, v105
	v_cmp_u_f32_e64 s5, v105, v105
	v_add3_u32 v123, v123, v105, 0x7fff
	v_mul_f32_e32 v105, v96, v120
	v_cndmask_b32_e64 v123, v123, v124, s5
	v_bfe_u32 v120, v105, 16, 1
	v_or_b32_e32 v124, 0x400000, v105
	v_cmp_u_f32_e64 s5, v105, v105
	v_add3_u32 v120, v120, v105, 0x7fff
	v_cndmask_b32_e64 v105, v120, v124, s5
	v_bfe_u32 v120, v111, 16, 1
	v_or_b32_e32 v124, 0x400000, v111
	v_cmp_u_f32_e64 s5, v111, v111
	v_add3_u32 v120, v120, v111, 0x7fff
	v_cndmask_b32_e64 v111, v120, v124, s5
	v_bfe_u32 v120, v94, 16, 1
	v_or_b32_e32 v124, 0x400000, v94
	v_cmp_u_f32_e64 s5, v94, v94
	v_add3_u32 v120, v120, v94, 0x7fff
	v_cndmask_b32_e64 v94, v120, v124, s5
	v_bfe_u32 v120, v93, 16, 1
	v_or_b32_e32 v124, 0x400000, v93
	v_cmp_u_f32_e64 s5, v93, v93
	v_add3_u32 v120, v120, v93, 0x7fff
	v_cndmask_b32_e64 v93, v120, v124, s5
	v_bfe_u32 v120, v92, 16, 1
	v_or_b32_e32 v124, 0x400000, v92
	v_cmp_u_f32_e64 s5, v92, v92
	v_add3_u32 v120, v120, v92, 0x7fff
	v_cndmask_b32_e64 v92, v120, v124, s5
	v_bfe_u32 v120, v91, 16, 1
	v_or_b32_e32 v124, 0x400000, v91
	v_cmp_u_f32_e64 s5, v91, v91
	v_add3_u32 v120, v120, v91, 0x7fff
	v_cndmask_b32_e64 v91, v120, v124, s5
	v_bfe_u32 v120, v90, 16, 1
	v_or_b32_e32 v124, 0x400000, v90
	v_cmp_u_f32_e64 s5, v90, v90
	v_add3_u32 v120, v120, v90, 0x7fff
	v_cndmask_b32_e64 v90, v120, v124, s5
	v_bfe_u32 v120, v89, 16, 1
	v_or_b32_e32 v124, 0x400000, v89
	v_cmp_u_f32_e64 s5, v89, v89
	v_add3_u32 v120, v120, v89, 0x7fff
	v_mul_f32_e32 v89, v96, v104
	v_cndmask_b32_e64 v120, v120, v124, s5
	v_bfe_u32 v104, v89, 16, 1
	v_or_b32_e32 v124, 0x400000, v89
	v_cmp_u_f32_e64 s5, v89, v89
	v_add3_u32 v104, v104, v89, 0x7fff
	v_cndmask_b32_e64 v89, v104, v124, s5
	;; [unrolled: 41-line block ×5, first 2 shown]
	v_bfe_u32 v56, v47, 16, 1
	v_or_b32_e32 v124, 0x400000, v47
	v_cmp_u_f32_e64 s5, v47, v47
	v_add3_u32 v56, v56, v47, 0x7fff
	v_cndmask_b32_e64 v47, v56, v124, s5
	v_bfe_u32 v56, v118, 16, 1
	v_or_b32_e32 v124, 0x400000, v118
	v_cmp_u_f32_e64 s5, v118, v118
	v_add3_u32 v56, v56, v118, 0x7fff
	v_cndmask_b32_e64 v118, v56, v124, s5
	v_bfe_u32 v56, v117, 16, 1
	v_or_b32_e32 v124, 0x400000, v117
	v_cmp_u_f32_e64 s5, v117, v117
	v_add3_u32 v56, v56, v117, 0x7fff
	v_bfe_u32 v117, v116, 16, 1
	v_cndmask_b32_e64 v56, v56, v124, s5
	v_add3_u32 v117, v117, v116, 0x7fff
	v_or_b32_e32 v124, 0x400000, v116
	v_cmp_u_f32_e64 s5, v116, v116
	v_bfe_u32 v116, v115, 16, 1
	v_cndmask_b32_e64 v124, v117, v124, s5
	v_add3_u32 v116, v116, v115, 0x7fff
	v_or_b32_e32 v117, 0x400000, v115
	v_cmp_u_f32_e64 s5, v115, v115
	;; [unrolled: 5-line block ×3, first 2 shown]
	v_cndmask_b32_e64 v114, v115, v117, s5
	v_bfe_u32 v115, v113, 16, 1
	v_or_b32_e32 v117, 0x400000, v113
	v_cmp_u_f32_e64 s5, v113, v113
	v_add3_u32 v115, v115, v113, 0x7fff
	v_cndmask_b32_e64 v113, v115, v117, s5
	v_mul_f32_e32 v115, v96, v40
	v_bfe_u32 v117, v115, 16, 1
	v_or_b32_e32 v40, 0x400000, v115
	v_cmp_u_f32_e64 s5, v115, v115
	v_add3_u32 v117, v117, v115, 0x7fff
	v_mul_f32_e32 v115, v96, v119
	v_cndmask_b32_e64 v40, v117, v40, s5
	v_bfe_u32 v117, v115, 16, 1
	v_or_b32_e32 v119, 0x400000, v115
	v_cmp_u_f32_e64 s5, v115, v115
	v_add3_u32 v117, v117, v115, 0x7fff
	buffer_load_dword v115, off, s[0:3], s32 offset:216 ; 4-byte Folded Reload
	v_cndmask_b32_e64 v119, v117, v119, s5
	s_waitcnt vmcnt(0)
	v_mul_f32_e32 v115, v96, v115
	v_bfe_u32 v117, v115, 16, 1
	v_or_b32_e32 v125, 0x400000, v115
	v_cmp_u_f32_e64 s5, v115, v115
	v_add3_u32 v117, v117, v115, 0x7fff
	v_mul_f32_e32 v115, v96, v112
	v_cndmask_b32_e64 v125, v117, v125, s5
	v_bfe_u32 v117, v115, 16, 1
	v_or_b32_e32 v126, 0x400000, v115
	v_cmp_u_f32_e64 s5, v115, v115
	v_add3_u32 v117, v117, v115, 0x7fff
	v_mul_f32_e32 v115, v96, v103
	v_cndmask_b32_e64 v126, v117, v126, s5
	;; [unrolled: 6-line block ×3, first 2 shown]
	v_bfe_u32 v117, v115, 16, 1
	v_or_b32_e32 v103, 0x400000, v115
	v_cmp_u_f32_e64 s5, v115, v115
	v_add3_u32 v117, v117, v115, 0x7fff
	v_cndmask_b32_e64 v65, v117, v103, s5
	v_mul_f32_e32 v103, v96, v85
	buffer_load_dword v85, off, s[0:3], s32 offset:220 ; 4-byte Folded Reload
	v_and_b32_e32 v65, 0xffff0000, v65
	v_bfe_u32 v115, v103, 16, 1
	v_or_b32_e32 v117, 0x400000, v103
	v_cmp_u_f32_e64 s5, v103, v103
	v_add3_u32 v115, v115, v103, 0x7fff
	v_mul_f32_e32 v103, v96, v83
	buffer_load_dword v83, off, s[0:3], s32 offset:224 ; 4-byte Folded Reload
	v_cndmask_b32_e64 v117, v115, v117, s5
	v_bfe_u32 v115, v103, 16, 1
	v_or_b32_e32 v112, 0x400000, v103
	v_cmp_u_f32_e64 s5, v103, v103
	v_add3_u32 v115, v115, v103, 0x7fff
	v_cndmask_b32_e64 v115, v115, v112, s5
	s_waitcnt vmcnt(0)
	v_mul_f32_e32 v103, v96, v83
	v_bfe_u32 v112, v103, 16, 1
	v_or_b32_e32 v83, 0x400000, v103
	v_cmp_u_f32_e64 s5, v103, v103
	v_add3_u32 v112, v112, v103, 0x7fff
	v_mul_f32_e32 v103, v96, v85
	v_cndmask_b32_e64 v83, v112, v83, s5
	v_bfe_u32 v112, v103, 16, 1
	v_or_b32_e32 v85, 0x400000, v103
	v_cmp_u_f32_e64 s5, v103, v103
	v_and_b32_e32 v83, 0xffff0000, v83
	v_add3_u32 v112, v112, v103, 0x7fff
	v_bfe_u32 v103, v36, 16, 1
	v_cndmask_b32_e64 v85, v112, v85, s5
	v_add3_u32 v103, v103, v36, 0x7fff
	v_or_b32_e32 v112, 0x400000, v36
	v_cmp_u_f32_e64 s5, v36, v36
	v_cndmask_b32_e64 v36, v103, v112, s5
	v_bfe_u32 v103, v20, 16, 1
	v_or_b32_e32 v112, 0x400000, v20
	v_cmp_u_f32_e64 s5, v20, v20
	v_add3_u32 v103, v103, v20, 0x7fff
	v_cndmask_b32_e64 v20, v103, v112, s5
	v_bfe_u32 v103, v5, 16, 1
	v_or_b32_e32 v112, 0x400000, v5
	v_cmp_u_f32_e64 s5, v5, v5
	v_add3_u32 v103, v103, v5, 0x7fff
	;; [unrolled: 5-line block ×3, first 2 shown]
	v_mul_f32_e32 v4, v96, v30
	v_cndmask_b32_e64 v103, v103, v112, s5
	v_bfe_u32 v30, v4, 16, 1
	v_or_b32_e32 v112, 0x400000, v4
	v_cmp_u_f32_e64 s5, v4, v4
	v_add3_u32 v30, v30, v4, 0x7fff
	v_mul_f32_e32 v4, v96, v29
	v_cndmask_b32_e64 v30, v30, v112, s5
	v_bfe_u32 v29, v4, 16, 1
	v_or_b32_e32 v112, 0x400000, v4
	v_cmp_u_f32_e64 s5, v4, v4
	v_add3_u32 v29, v29, v4, 0x7fff
	v_mul_f32_e32 v4, v96, v99
	buffer_load_dword v99, off, s[0:3], s32 offset:284 ; 4-byte Folded Reload
	v_mul_f32_e32 v96, v96, v98
	v_cndmask_b32_e64 v112, v29, v112, s5
	v_bfe_u32 v29, v4, 16, 1
	v_or_b32_e32 v98, 0x400000, v4
	v_cmp_u_f32_e64 s5, v4, v4
	v_add3_u32 v29, v29, v4, 0x7fff
	v_bfe_u32 v4, v96, 16, 1
	v_cndmask_b32_e64 v29, v29, v98, s5
	v_add3_u32 v4, v4, v96, 0x7fff
	v_or_b32_e32 v98, 0x400000, v96
	v_cmp_u_f32_e64 s5, v96, v96
	v_and_b32_e32 v96, 0xffff0000, v113
	v_cndmask_b32_e64 v4, v4, v98, s5
	v_and_b32_e32 v98, 0xffff0000, v115
	s_waitcnt vmcnt(0)
	v_mul_f32_e32 v115, v99, v96
	s_clause 0x1
	buffer_load_dword v96, off, s[0:3], s32 offset:252
	buffer_load_dword v99, off, s[0:3], s32 offset:292
	s_waitcnt vmcnt(1)
	v_fmac_f32_e32 v115, v96, v98
	v_and_b32_e32 v96, 0xffff0000, v114
	v_and_b32_e32 v98, 0xffff0000, v117
	s_waitcnt vmcnt(0)
	v_mul_f32_e32 v117, v99, v96
	buffer_load_dword v96, off, s[0:3], s32 offset:256 ; 4-byte Folded Reload
	s_waitcnt vmcnt(0)
	v_fmac_f32_e32 v117, v96, v98
	buffer_load_dword v98, off, s[0:3], s32 offset:296 ; 4-byte Folded Reload
	v_and_b32_e32 v96, 0xffff0000, v116
	s_waitcnt vmcnt(0)
	v_mul_f32_e32 v116, v98, v96
	s_clause 0x1
	buffer_load_dword v96, off, s[0:3], s32 offset:260
	buffer_load_dword v98, off, s[0:3], s32 offset:300
	s_waitcnt vmcnt(1)
	v_fmac_f32_e32 v116, v96, v65
	v_and_b32_e32 v65, 0xffff0000, v124
	v_and_b32_e32 v96, 0xffff0000, v127
	s_waitcnt vmcnt(0)
	v_mul_f32_e32 v114, v98, v65
	s_clause 0x1
	buffer_load_dword v65, off, s[0:3], s32 offset:264
	buffer_load_dword v98, off, s[0:3], s32 offset:304
	s_waitcnt vmcnt(1)
	v_fmac_f32_e32 v114, v65, v96
	v_and_b32_e32 v65, 0xffff0000, v56
	;; [unrolled: 9-line block ×3, first 2 shown]
	v_and_b32_e32 v96, 0xffff0000, v125
	s_waitcnt vmcnt(0)
	v_mul_f32_e32 v99, v98, v65
	buffer_load_dword v65, off, s[0:3], s32 offset:272 ; 4-byte Folded Reload
	s_waitcnt vmcnt(0)
	v_fmac_f32_e32 v99, v65, v96
	buffer_load_dword v96, off, s[0:3], s32 offset:312 ; 4-byte Folded Reload
	v_and_b32_e32 v65, 0xffff0000, v40
	s_waitcnt vmcnt(0)
	v_mul_f32_e32 v96, v96, v65
	buffer_load_dword v65, off, s[0:3], s32 offset:276 ; 4-byte Folded Reload
	s_waitcnt vmcnt(0)
	v_fmac_f32_e32 v96, v65, v83
	v_and_b32_e32 v83, 0xffff0000, v85
	buffer_load_dword v85, off, s[0:3], s32 offset:316 ; 4-byte Folded Reload
	v_and_b32_e32 v65, 0xffff0000, v119
	s_waitcnt vmcnt(0)
	v_mul_f32_e32 v98, v85, v65
	buffer_load_dword v65, off, s[0:3], s32 offset:280 ; 4-byte Folded Reload
	s_waitcnt vmcnt(0)
	v_fmac_f32_e32 v98, v65, v83
	buffer_load_dword v83, off, s[0:3], s32 offset:320 ; 4-byte Folded Reload
	v_and_b32_e32 v65, 0xffff0000, v72
	s_waitcnt vmcnt(0)
	v_fmac_f32_e32 v115, v83, v65
	buffer_load_dword v83, off, s[0:3], s32 offset:324 ; 4-byte Folded Reload
	v_and_b32_e32 v65, 0xffff0000, v42
	;; [unrolled: 4-line block ×44, first 2 shown]
	s_waitcnt vmcnt(0)
	v_fmac_f32_e32 v114, v83, v65
	v_and_b32_e32 v65, 0xffff0000, v71
	buffer_load_dword v71, off, s[0:3], s32 offset:512 ; 4-byte Folded Reload
	s_waitcnt vmcnt(0)
	v_fmac_f32_e32 v113, v71, v65
	buffer_load_dword v65, off, s[0:3], s32 offset:516 ; 4-byte Folded Reload
	s_waitcnt vmcnt(0)
	v_fmac_f32_e32 v99, v65, v49
	;; [unrolled: 3-line block ×3, first 2 shown]
	buffer_load_dword v49, off, s[0:3], s32 offset:524 ; 4-byte Folded Reload
	v_and_b32_e32 v8, 0xffff0000, v121
	s_waitcnt vmcnt(0)
	v_fmac_f32_e32 v98, v49, v8
	buffer_load_dword v49, off, s[0:3], s32 offset:528 ; 4-byte Folded Reload
	v_and_b32_e32 v8, 0xffff0000, v70
	s_waitcnt vmcnt(0)
	v_fmac_f32_e32 v115, v49, v8
	v_and_b32_e32 v8, 0xffff0000, v35
	buffer_load_dword v35, off, s[0:3], s32 offset:532 ; 4-byte Folded Reload
	s_waitcnt vmcnt(0)
	v_fmac_f32_e32 v117, v35, v8
	buffer_load_dword v35, off, s[0:3], s32 offset:536 ; 4-byte Folded Reload
	v_and_b32_e32 v8, 0xffff0000, v39
	s_waitcnt vmcnt(0)
	v_fmac_f32_e32 v116, v35, v8
	buffer_load_dword v8, off, s[0:3], s32 offset:540 ; 4-byte Folded Reload
	s_waitcnt vmcnt(0)
	v_fmac_f32_e32 v114, v8, v1
	buffer_load_dword v1, off, s[0:3], s32 offset:544 ; 4-byte Folded Reload
	;; [unrolled: 3-line block ×3, first 2 shown]
	v_and_b32_e32 v0, 0xffff0000, v69
	s_waitcnt vmcnt(0)
	v_fmac_f32_e32 v99, v1, v0
	buffer_load_dword v1, off, s[0:3], s32 offset:552 ; 4-byte Folded Reload
	v_and_b32_e32 v0, 0xffff0000, v12
	s_waitcnt vmcnt(0)
	v_fmac_f32_e32 v96, v1, v0
	buffer_load_dword v1, off, s[0:3], s32 offset:556 ; 4-byte Folded Reload
	;; [unrolled: 4-line block ×10, first 2 shown]
	v_and_b32_e32 v0, 0xffff0000, v2
	buffer_load_dword v2, off, s[0:3], s32 offset:700 ; 4-byte Folded Reload
	s_waitcnt vmcnt(1)
	v_fmac_f32_e32 v98, v1, v0
	buffer_load_dword v1, off, s[0:3], s32 offset:592 ; 4-byte Folded Reload
	v_and_b32_e32 v0, 0xffff0000, v66
	s_waitcnt vmcnt(0)
	v_fmac_f32_e32 v115, v1, v0
	buffer_load_dword v1, off, s[0:3], s32 offset:596 ; 4-byte Folded Reload
	v_and_b32_e32 v0, 0xffff0000, v19
	;; [unrolled: 4-line block ×23, first 2 shown]
	buffer_load_dword v9, off, s[0:3], s32 offset:232 ; 4-byte Folded Reload
	s_waitcnt vmcnt(1)
	v_fmac_f32_e32 v96, v1, v0
	buffer_load_dword v1, off, s[0:3], s32 offset:684 ; 4-byte Folded Reload
	v_and_b32_e32 v0, 0xffff0000, v48
	s_waitcnt vmcnt(0)
	v_fmac_f32_e32 v98, v1, v0
	buffer_load_dword v1, off, s[0:3], s32 offset:688 ; 4-byte Folded Reload
	v_and_b32_e32 v0, 0xffff0000, v112
	;; [unrolled: 4-line block ×4, first 2 shown]
	s_waitcnt vmcnt(0)
	v_fmac_f32_e32 v116, v1, v0
	v_and_b32_e32 v1, 0xffff0000, v5
	v_add_f32_e32 v0, v115, v117
	v_fmac_f32_e32 v114, v2, v1
	buffer_load_dword v2, off, s[0:3], s32 offset:704 ; 4-byte Folded Reload
	v_and_b32_e32 v1, 0xffff0000, v20
	v_add_f32_e32 v0, v0, v116
	v_add_f32_e32 v0, v114, v0
	s_waitcnt vmcnt(0)
	v_fmac_f32_e32 v113, v2, v1
	buffer_load_dword v2, off, s[0:3], s32 offset:708 ; 4-byte Folded Reload
	v_and_b32_e32 v1, 0xffff0000, v36
	v_add_f32_e32 v0, v113, v0
	s_waitcnt vmcnt(0)
	v_fmac_f32_e32 v99, v2, v1
	buffer_load_dword v2, off, s[0:3], s32 offset:712 ; 4-byte Folded Reload
	v_and_b32_e32 v1, 0xffff0000, v29
	;; [unrolled: 5-line block ×3, first 2 shown]
	v_add_f32_e32 v0, v96, v0
	s_waitcnt vmcnt(0)
	v_fmac_f32_e32 v98, v2, v1
	s_clause 0x1
	buffer_load_dword v1, off, s[0:3], s32 offset:728
	buffer_load_dword v2, off, s[0:3], s32 offset:236
	v_add_f32_e32 v0, v98, v0
	s_waitcnt vmcnt(1)
	v_add_nc_u32_e32 v1, v1, v80
	v_cvt_f32_i32_e32 v1, v1
	s_waitcnt vmcnt(0)
	v_mul_f32_e32 v1, v2, v1
	buffer_load_dword v2, off, s[0:3], s32 offset:248 ; 4-byte Folded Reload
	v_cndmask_b32_e32 v1, 0, v1, vcc_lo
	s_waitcnt vmcnt(0)
	v_fmac_f32_e32 v1, v2, v0
	buffer_load_dword v0, off, s[0:3], s32 offset:352 ; 4-byte Folded Reload
	s_waitcnt vmcnt(0)
	v_add_nc_u32_e32 v0, v0, v80
	v_cmp_lt_i32_e64 s5, v0, v32
	s_waitcnt lgkmcnt(0)
	v_add_nc_u32_e32 v0, s20, v81
	v_cndmask_b32_e64 v2, 0, v1, s5
	ds_write_b32 v0, v2
	v_max_f32_e32 v0, v9, v9
	v_max_f32_e32 v0, v0, v1
	v_cndmask_b32_e64 v9, v9, v0, s5
.LBB349_14:                             ;   in Loop: Header=BB349_15 Depth=1
	s_or_b32 exec_lo, exec_lo, s6
	buffer_load_dword v0, off, s[0:3], s32 offset:192 ; 4-byte Folded Reload
	v_add_nc_u32_e32 v87, 4, v87
	v_add_co_u32 v15, s5, v15, 16
	v_add_co_ci_u32_e64 v16, null, 0, v16, s5
	v_add_nc_u32_e32 v80, 0x80, v80
	v_add_nc_u32_e32 v81, 0x200, v81
	s_waitcnt vmcnt(0)
	v_cmp_ge_i32_e64 s5, v87, v0
	s_or_b32 s18, s5, s18
	s_andn2_b32 exec_lo, exec_lo, s18
	s_cbranch_execz .LBB349_911
.LBB349_15:                             ; =>This Inner Loop Header: Depth=1
	buffer_load_dword v0, off, s[0:3], s32 offset:208 ; 4-byte Folded Reload
	s_waitcnt vmcnt(0)
	v_mul_hi_u32 v0, v80, v0
	v_mul_lo_u32 v1, v0, v34
	v_add_nc_u32_e32 v2, 1, v0
	v_sub_nc_u32_e32 v1, v80, v1
	v_sub_nc_u32_e32 v3, v1, v34
	v_cmp_ge_u32_e64 s5, v1, v34
	v_cndmask_b32_e64 v1, v1, v3, s5
	v_cndmask_b32_e64 v0, v0, v2, s5
	v_cmp_ge_u32_e64 s5, v1, v34
	buffer_load_dword v1, off, s[0:3], s32 offset:204 ; 4-byte Folded Reload
	v_add_nc_u32_e32 v2, 1, v0
	v_cndmask_b32_e64 v0, v0, v2, s5
	s_waitcnt vmcnt(0)
	v_xor_b32_e32 v0, v0, v1
	v_sub_nc_u32_e32 v0, v0, v1
	s_clause 0x2
	buffer_load_dword v1, off, s[0:3], s32 offset:196
	buffer_load_dword v2, off, s[0:3], s32 offset:200
	;; [unrolled: 1-line block ×3, first 2 shown]
	s_waitcnt vmcnt(2)
	v_add_nc_u32_e32 v1, v0, v1
	s_waitcnt vmcnt(1)
	v_sub_nc_u32_e32 v2, 0, v1
	v_max_i32_e32 v2, v1, v2
	v_ashrrev_i32_e32 v1, 31, v1
	s_waitcnt vmcnt(0)
	v_mul_hi_u32 v3, v2, v3
	v_mul_lo_u32 v3, v3, v67
	v_sub_nc_u32_e32 v2, v2, v3
	v_sub_nc_u32_e32 v3, v2, v67
	v_cmp_ge_u32_e64 s5, v2, v67
	v_cndmask_b32_e64 v2, v2, v3, s5
	v_sub_nc_u32_e32 v3, v2, v67
	v_cmp_ge_u32_e64 s5, v2, v67
	v_cndmask_b32_e64 v2, v2, v3, s5
	v_xor_b32_e32 v2, v2, v1
	v_sub_nc_u32_e32 v1, v2, v1
	v_cmp_ne_u32_e64 s5, 0, v1
	buffer_load_dword v1, off, s[0:3], s32 offset:212 ; 4-byte Folded Reload
	s_waitcnt vmcnt(0)
	v_cmp_le_i32_e64 s6, v0, v1
	s_and_b32 s5, s5, s6
	s_and_saveexec_b32 s6, s5
	s_xor_b32 s5, exec_lo, s6
	s_cbranch_execz .LBB349_17
; %bb.16:                               ;   in Loop: Header=BB349_15 Depth=1
	s_waitcnt lgkmcnt(0)
	v_add_nc_u32_e32 v0, s19, v81
	v_mov_b32_e32 v1, 0xff7fffff
	ds_write_b32 v0, v1
.LBB349_17:                             ;   in Loop: Header=BB349_15 Depth=1
	s_andn2_saveexec_b32 s6, s5
	s_cbranch_execz .LBB349_14
; %bb.18:                               ;   in Loop: Header=BB349_15 Depth=1
	buffer_store_dword v9, off, s[0:3], s32 offset:232 ; 4-byte Folded Spill
	flat_load_dword v0, v[15:16]
	s_clause 0x2
	buffer_load_dword v1, off, s[0:3], s32 offset:288
	buffer_load_dword v2, off, s[0:3], s32 offset:720
	;; [unrolled: 1-line block ×3, first 2 shown]
	v_mov_b32_e32 v85, 0
	v_mov_b32_e32 v83, 0
	s_waitcnt vmcnt(0) lgkmcnt(0)
	v_mad_i64_i32 v[24:25], null, v0, v1, v[2:3]
	flat_load_dwordx2 v[27:28], v[24:25]
	s_clause 0x1
	buffer_load_dword v0, off, s[0:3], s32 offset:240
	buffer_load_dword v1, off, s[0:3], s32 offset:244
	s_waitcnt vmcnt(2) lgkmcnt(0)
	v_cmp_ne_u16_sdwa s5, v27, v14 src0_sel:BYTE_0 src1_sel:DWORD
	s_waitcnt vmcnt(0)
	flat_load_dword v96, v[0:1]
	s_and_saveexec_b32 s20, s5
	s_cbranch_execz .LBB349_26
; %bb.19:                               ;   in Loop: Header=BB349_15 Depth=1
	v_cmp_ne_u16_sdwa s5, v27, v82 src0_sel:BYTE_0 src1_sel:DWORD
	v_bfrev_b32_e32 v83, 1
	s_and_saveexec_b32 s21, s5
	s_cbranch_execz .LBB349_25
; %bb.20:                               ;   in Loop: Header=BB349_15 Depth=1
	v_and_b32_e32 v1, 0x7f, v27
	v_mov_b32_e32 v83, 0x7f800001
	s_mov_b32 s22, exec_lo
	v_cmpx_ne_u32_e32 0x7f, v1
	s_cbranch_execz .LBB349_24
; %bb.21:                               ;   in Loop: Header=BB349_15 Depth=1
	v_mov_b32_e32 v30, v28
	v_lshrrev_b32_e32 v0, 3, v1
	v_mov_b32_e32 v29, v27
	s_mov_b32 s23, exec_lo
	v_cmpx_gt_u32_e32 8, v1
; %bb.22:                               ;   in Loop: Header=BB349_15 Depth=1
	v_and_b32_e32 v0, 7, v27
	v_ffbh_u32_e32 v0, v0
	v_min_u32_e32 v0, 32, v0
	v_subrev_nc_u32_e32 v1, 28, v0
	v_sub_nc_u32_e32 v0, 29, v0
	v_lshlrev_b64 v[29:30], v1, v[27:28]
; %bb.23:                               ;   in Loop: Header=BB349_15 Depth=1
	s_or_b32 exec_lo, exec_lo, s23
	v_lshlrev_b32_e32 v1, 20, v29
	v_lshlrev_b32_e32 v2, 24, v27
	v_lshl_add_u32 v0, v0, 23, 0x3c000000
	v_and_b32_e32 v1, 0x700000, v1
	v_and_b32_e32 v2, 0x80000000, v2
	v_or3_b32 v83, v1, v2, v0
.LBB349_24:                             ;   in Loop: Header=BB349_15 Depth=1
	s_or_b32 exec_lo, exec_lo, s22
.LBB349_25:                             ;   in Loop: Header=BB349_15 Depth=1
	s_or_b32 exec_lo, exec_lo, s21
.LBB349_26:                             ;   in Loop: Header=BB349_15 Depth=1
	s_or_b32 exec_lo, exec_lo, s20
	v_cmp_ne_u16_sdwa s5, v27, v14 src0_sel:BYTE_1 src1_sel:DWORD
	s_and_saveexec_b32 s20, s5
	s_cbranch_execz .LBB349_34
; %bb.27:                               ;   in Loop: Header=BB349_15 Depth=1
	v_cmp_ne_u16_sdwa s5, v27, v82 src0_sel:BYTE_1 src1_sel:DWORD
	v_bfrev_b32_e32 v85, 1
	s_and_saveexec_b32 s21, s5
	s_cbranch_execz .LBB349_33
; %bb.28:                               ;   in Loop: Header=BB349_15 Depth=1
	v_mov_b32_e32 v0, 0xffff
	v_mov_b32_e32 v85, 0x7f800001
	s_mov_b32 s22, exec_lo
	v_and_b32_sdwa v0, v0, v27 dst_sel:DWORD dst_unused:UNUSED_PAD src0_sel:DWORD src1_sel:BYTE_1
	v_and_b32_e32 v1, 0x7f, v0
	v_cmpx_ne_u32_e32 0x7f, v1
	s_cbranch_execz .LBB349_32
; %bb.29:                               ;   in Loop: Header=BB349_15 Depth=1
	v_and_b32_e32 v13, 7, v0
	v_lshrrev_b32_e32 v0, 3, v1
	s_mov_b32 s23, exec_lo
	v_cmpx_gt_u32_e32 8, v1
; %bb.30:                               ;   in Loop: Header=BB349_15 Depth=1
	v_ffbh_u32_e32 v0, v13
	v_min_u32_e32 v0, 32, v0
	v_subrev_nc_u32_e32 v1, 28, v0
	v_sub_nc_u32_e32 v0, 29, v0
	v_lshlrev_b64 v[1:2], v1, v[13:14]
	v_and_b32_e32 v13, 7, v1
; %bb.31:                               ;   in Loop: Header=BB349_15 Depth=1
	s_or_b32 exec_lo, exec_lo, s23
	v_lshlrev_b32_e32 v1, 16, v27
	v_lshlrev_b32_e32 v2, 20, v13
	v_lshl_add_u32 v0, v0, 23, 0x3c000000
	v_and_b32_e32 v1, 0x80000000, v1
	v_or3_b32 v85, v2, v1, v0
.LBB349_32:                             ;   in Loop: Header=BB349_15 Depth=1
	s_or_b32 exec_lo, exec_lo, s22
.LBB349_33:                             ;   in Loop: Header=BB349_15 Depth=1
	s_or_b32 exec_lo, exec_lo, s21
.LBB349_34:                             ;   in Loop: Header=BB349_15 Depth=1
	s_or_b32 exec_lo, exec_lo, s20
	v_and_b32_sdwa v0, v27, v84 dst_sel:DWORD dst_unused:UNUSED_PAD src0_sel:WORD_1 src1_sel:DWORD
	v_mov_b32_e32 v103, 0
	v_mov_b32_e32 v65, 0
	s_mov_b32 s20, exec_lo
	v_cmpx_ne_u16_e32 0, v0
	s_cbranch_execz .LBB349_42
; %bb.35:                               ;   in Loop: Header=BB349_15 Depth=1
	v_bfrev_b32_e32 v65, 1
	s_mov_b32 s21, exec_lo
	v_cmpx_ne_u16_e32 0x80, v0
	s_cbranch_execz .LBB349_41
; %bb.36:                               ;   in Loop: Header=BB349_15 Depth=1
	v_bfe_u32 v1, v27, 16, 7
	v_mov_b32_e32 v65, 0x7f800001
	s_mov_b32 s22, exec_lo
	v_cmpx_ne_u32_e32 0x7f, v1
	s_cbranch_execz .LBB349_40
; %bb.37:                               ;   in Loop: Header=BB349_15 Depth=1
	v_mov_b32_e32 v0, 7
	s_mov_b32 s23, exec_lo
	v_and_b32_sdwa v13, v27, v0 dst_sel:DWORD dst_unused:UNUSED_PAD src0_sel:WORD_1 src1_sel:DWORD
	v_lshrrev_b32_e32 v0, 3, v1
	v_cmpx_gt_u32_e32 8, v1
; %bb.38:                               ;   in Loop: Header=BB349_15 Depth=1
	v_ffbh_u32_e32 v0, v13
	v_min_u32_e32 v0, 32, v0
	v_subrev_nc_u32_e32 v1, 28, v0
	v_sub_nc_u32_e32 v0, 29, v0
	v_lshlrev_b64 v[1:2], v1, v[13:14]
	v_and_b32_e32 v13, 7, v1
; %bb.39:                               ;   in Loop: Header=BB349_15 Depth=1
	s_or_b32 exec_lo, exec_lo, s23
	v_lshlrev_b32_sdwa v1, v86, v27 dst_sel:DWORD dst_unused:UNUSED_PAD src0_sel:DWORD src1_sel:WORD_1
	v_lshlrev_b32_e32 v2, 20, v13
	v_lshl_add_u32 v0, v0, 23, 0x3c000000
	v_and_b32_e32 v1, 0x80000000, v1
	v_or3_b32 v65, v2, v1, v0
.LBB349_40:                             ;   in Loop: Header=BB349_15 Depth=1
	s_or_b32 exec_lo, exec_lo, s22
.LBB349_41:                             ;   in Loop: Header=BB349_15 Depth=1
	s_or_b32 exec_lo, exec_lo, s21
.LBB349_42:                             ;   in Loop: Header=BB349_15 Depth=1
	s_or_b32 exec_lo, exec_lo, s20
	s_mov_b32 s20, exec_lo
	v_cmpx_lt_u32_e32 0xffffff, v27
	s_cbranch_execz .LBB349_50
; %bb.43:                               ;   in Loop: Header=BB349_15 Depth=1
	v_cmp_ne_u32_sdwa s5, v27, v82 src0_sel:BYTE_3 src1_sel:DWORD
	v_bfrev_b32_e32 v103, 1
	s_and_saveexec_b32 s21, s5
	s_cbranch_execz .LBB349_49
; %bb.44:                               ;   in Loop: Header=BB349_15 Depth=1
	v_bfe_u32 v1, v27, 24, 7
	v_mov_b32_e32 v103, 0x7f800001
	s_mov_b32 s22, exec_lo
	v_cmpx_ne_u32_e32 0x7f, v1
	s_cbranch_execz .LBB349_48
; %bb.45:                               ;   in Loop: Header=BB349_15 Depth=1
	v_mov_b32_e32 v0, 7
	s_mov_b32 s23, exec_lo
	v_and_b32_sdwa v13, v27, v0 dst_sel:DWORD dst_unused:UNUSED_PAD src0_sel:BYTE_3 src1_sel:DWORD
	v_lshrrev_b32_e32 v0, 3, v1
	v_cmpx_gt_u32_e32 8, v1
; %bb.46:                               ;   in Loop: Header=BB349_15 Depth=1
	v_ffbh_u32_e32 v0, v13
	v_min_u32_e32 v0, 32, v0
	v_subrev_nc_u32_e32 v1, 28, v0
	v_sub_nc_u32_e32 v0, 29, v0
	v_lshlrev_b64 v[1:2], v1, v[13:14]
	v_and_b32_e32 v13, 7, v1
; %bb.47:                               ;   in Loop: Header=BB349_15 Depth=1
	s_or_b32 exec_lo, exec_lo, s23
	v_lshlrev_b32_sdwa v1, v86, v27 dst_sel:DWORD dst_unused:UNUSED_PAD src0_sel:DWORD src1_sel:BYTE_3
	v_lshlrev_b32_e32 v2, 20, v13
	v_lshl_add_u32 v0, v0, 23, 0x3c000000
	v_and_b32_e32 v1, 0x80000000, v1
	v_or3_b32 v103, v2, v1, v0
.LBB349_48:                             ;   in Loop: Header=BB349_15 Depth=1
	s_or_b32 exec_lo, exec_lo, s22
.LBB349_49:                             ;   in Loop: Header=BB349_15 Depth=1
	s_or_b32 exec_lo, exec_lo, s21
.LBB349_50:                             ;   in Loop: Header=BB349_15 Depth=1
	s_or_b32 exec_lo, exec_lo, s20
	v_mov_b32_e32 v13, v28
	v_cmp_ne_u16_sdwa s5, v28, v14 src0_sel:BYTE_0 src1_sel:DWORD
	v_mov_b32_e32 v0, 0
	v_mov_b32_e32 v112, 0
	buffer_store_dword v0, off, s[0:3], s32 offset:216 ; 4-byte Folded Spill
	s_and_saveexec_b32 s20, s5
	s_cbranch_execz .LBB349_58
; %bb.51:                               ;   in Loop: Header=BB349_15 Depth=1
	v_cmp_ne_u16_sdwa s5, v28, v82 src0_sel:BYTE_0 src1_sel:DWORD
	v_bfrev_b32_e32 v112, 1
	s_and_saveexec_b32 s21, s5
	s_cbranch_execz .LBB349_57
; %bb.52:                               ;   in Loop: Header=BB349_15 Depth=1
	v_and_b32_e32 v1, 0x7f, v28
	v_mov_b32_e32 v112, 0x7f800001
	s_mov_b32 s22, exec_lo
	v_cmpx_ne_u32_e32 0x7f, v1
	s_cbranch_execz .LBB349_56
; %bb.53:                               ;   in Loop: Header=BB349_15 Depth=1
	v_mov_b32_e32 v30, v14
	v_lshrrev_b32_e32 v0, 3, v1
	v_mov_b32_e32 v29, v13
	s_mov_b32 s23, exec_lo
	v_cmpx_gt_u32_e32 8, v1
; %bb.54:                               ;   in Loop: Header=BB349_15 Depth=1
	v_and_b32_e32 v0, 7, v28
	v_ffbh_u32_e32 v0, v0
	v_min_u32_e32 v0, 32, v0
	v_subrev_nc_u32_e32 v1, 28, v0
	v_sub_nc_u32_e32 v0, 29, v0
	v_lshlrev_b64 v[29:30], v1, v[13:14]
; %bb.55:                               ;   in Loop: Header=BB349_15 Depth=1
	s_or_b32 exec_lo, exec_lo, s23
	v_lshlrev_b32_e32 v1, 20, v29
	v_lshlrev_b32_e32 v2, 24, v13
	v_lshl_add_u32 v0, v0, 23, 0x3c000000
	v_and_b32_e32 v1, 0x700000, v1
	v_and_b32_e32 v2, 0x80000000, v2
	v_or3_b32 v112, v1, v2, v0
.LBB349_56:                             ;   in Loop: Header=BB349_15 Depth=1
	s_or_b32 exec_lo, exec_lo, s22
.LBB349_57:                             ;   in Loop: Header=BB349_15 Depth=1
	s_or_b32 exec_lo, exec_lo, s21
.LBB349_58:                             ;   in Loop: Header=BB349_15 Depth=1
	s_or_b32 exec_lo, exec_lo, s20
	v_cmp_ne_u16_sdwa s5, v13, v14 src0_sel:BYTE_1 src1_sel:DWORD
	s_and_saveexec_b32 s20, s5
	s_cbranch_execz .LBB349_66
; %bb.59:                               ;   in Loop: Header=BB349_15 Depth=1
	v_cmp_ne_u16_sdwa s5, v13, v82 src0_sel:BYTE_1 src1_sel:DWORD
	v_bfrev_b32_e32 v0, 1
	buffer_store_dword v0, off, s[0:3], s32 offset:216 ; 4-byte Folded Spill
	s_and_saveexec_b32 s21, s5
	s_cbranch_execz .LBB349_65
; %bb.60:                               ;   in Loop: Header=BB349_15 Depth=1
	v_mov_b32_e32 v0, 0xffff
	v_mov_b32_e32 v2, 0x7f800001
	s_mov_b32 s22, exec_lo
	v_and_b32_sdwa v0, v0, v13 dst_sel:DWORD dst_unused:UNUSED_PAD src0_sel:DWORD src1_sel:BYTE_1
	buffer_store_dword v2, off, s[0:3], s32 offset:216 ; 4-byte Folded Spill
	v_and_b32_e32 v1, 0x7f, v0
	v_cmpx_ne_u32_e32 0x7f, v1
	s_cbranch_execz .LBB349_64
; %bb.61:                               ;   in Loop: Header=BB349_15 Depth=1
	v_and_b32_e32 v29, 7, v0
	v_mov_b32_e32 v30, v14
	v_lshrrev_b32_e32 v0, 3, v1
	s_mov_b32 s23, exec_lo
	v_cmpx_gt_u32_e32 8, v1
; %bb.62:                               ;   in Loop: Header=BB349_15 Depth=1
	v_ffbh_u32_e32 v0, v29
	v_min_u32_e32 v0, 32, v0
	v_subrev_nc_u32_e32 v1, 28, v0
	v_sub_nc_u32_e32 v0, 29, v0
	v_lshlrev_b64 v[1:2], v1, v[29:30]
	v_and_b32_e32 v29, 7, v1
; %bb.63:                               ;   in Loop: Header=BB349_15 Depth=1
	s_or_b32 exec_lo, exec_lo, s23
	v_lshlrev_b32_e32 v1, 16, v13
	v_lshlrev_b32_e32 v2, 20, v29
	v_lshl_add_u32 v0, v0, 23, 0x3c000000
	v_and_b32_e32 v1, 0x80000000, v1
	v_or3_b32 v0, v2, v1, v0
	buffer_store_dword v0, off, s[0:3], s32 offset:216 ; 4-byte Folded Spill
.LBB349_64:                             ;   in Loop: Header=BB349_15 Depth=1
	s_or_b32 exec_lo, exec_lo, s22
.LBB349_65:                             ;   in Loop: Header=BB349_15 Depth=1
	s_or_b32 exec_lo, exec_lo, s21
.LBB349_66:                             ;   in Loop: Header=BB349_15 Depth=1
	s_or_b32 exec_lo, exec_lo, s20
	v_mov_b32_e32 v1, 0
	v_and_b32_sdwa v0, v28, v84 dst_sel:DWORD dst_unused:UNUSED_PAD src0_sel:WORD_1 src1_sel:DWORD
	s_mov_b32 s20, exec_lo
	buffer_store_dword v1, off, s[0:3], s32 offset:220 ; 4-byte Folded Spill
	v_mov_b32_e32 v1, 0
	buffer_store_dword v1, off, s[0:3], s32 offset:224 ; 4-byte Folded Spill
	v_cmpx_ne_u16_e32 0, v0
	s_cbranch_execz .LBB349_74
; %bb.67:                               ;   in Loop: Header=BB349_15 Depth=1
	v_cmp_ne_u16_e64 s5, 0x80, v0
	v_bfrev_b32_e32 v0, 1
	s_and_saveexec_b32 s21, s5
	s_cbranch_execz .LBB349_73
; %bb.68:                               ;   in Loop: Header=BB349_15 Depth=1
	v_bfe_u32 v1, v28, 16, 7
	v_mov_b32_e32 v0, 0x7f800001
	s_mov_b32 s22, exec_lo
	v_cmpx_ne_u32_e32 0x7f, v1
	s_cbranch_execz .LBB349_72
; %bb.69:                               ;   in Loop: Header=BB349_15 Depth=1
	v_mov_b32_e32 v0, 7
	s_mov_b32 s23, exec_lo
	v_and_b32_sdwa v13, v28, v0 dst_sel:DWORD dst_unused:UNUSED_PAD src0_sel:WORD_1 src1_sel:DWORD
	v_mov_b32_e32 v30, v14
	v_lshrrev_b32_e32 v0, 3, v1
	v_mov_b32_e32 v29, v13
	v_cmpx_gt_u32_e32 8, v1
; %bb.70:                               ;   in Loop: Header=BB349_15 Depth=1
	v_ffbh_u32_e32 v0, v13
	v_min_u32_e32 v0, 32, v0
	v_subrev_nc_u32_e32 v1, 28, v0
	v_sub_nc_u32_e32 v0, 29, v0
	v_lshlrev_b64 v[1:2], v1, v[13:14]
	v_and_b32_e32 v29, 7, v1
; %bb.71:                               ;   in Loop: Header=BB349_15 Depth=1
	s_or_b32 exec_lo, exec_lo, s23
	v_lshlrev_b32_sdwa v1, v86, v28 dst_sel:DWORD dst_unused:UNUSED_PAD src0_sel:DWORD src1_sel:WORD_1
	v_lshlrev_b32_e32 v2, 20, v29
	v_lshl_add_u32 v0, v0, 23, 0x3c000000
	v_and_b32_e32 v1, 0x80000000, v1
	v_or3_b32 v0, v2, v1, v0
.LBB349_72:                             ;   in Loop: Header=BB349_15 Depth=1
	s_or_b32 exec_lo, exec_lo, s22
.LBB349_73:                             ;   in Loop: Header=BB349_15 Depth=1
	s_or_b32 exec_lo, exec_lo, s21
	buffer_store_dword v0, off, s[0:3], s32 offset:224 ; 4-byte Folded Spill
.LBB349_74:                             ;   in Loop: Header=BB349_15 Depth=1
	s_or_b32 exec_lo, exec_lo, s20
	s_mov_b32 s20, exec_lo
	v_cmpx_lt_u64_e64 s[12:13], v[27:28]
	s_cbranch_execz .LBB349_82
; %bb.75:                               ;   in Loop: Header=BB349_15 Depth=1
	v_cmp_ne_u32_sdwa s5, v28, v82 src0_sel:BYTE_3 src1_sel:DWORD
	v_bfrev_b32_e32 v0, 1
	buffer_store_dword v0, off, s[0:3], s32 offset:220 ; 4-byte Folded Spill
	s_and_saveexec_b32 s21, s5
	s_cbranch_execz .LBB349_81
; %bb.76:                               ;   in Loop: Header=BB349_15 Depth=1
	v_bfe_u32 v1, v28, 24, 7
	v_mov_b32_e32 v0, 0x7f800001
	s_mov_b32 s22, exec_lo
	buffer_store_dword v0, off, s[0:3], s32 offset:220 ; 4-byte Folded Spill
	v_cmpx_ne_u32_e32 0x7f, v1
	s_cbranch_execz .LBB349_80
; %bb.77:                               ;   in Loop: Header=BB349_15 Depth=1
	v_mov_b32_e32 v0, 7
	s_mov_b32 s23, exec_lo
	v_and_b32_sdwa v13, v28, v0 dst_sel:DWORD dst_unused:UNUSED_PAD src0_sel:BYTE_3 src1_sel:DWORD
	v_mov_b32_e32 v30, v14
	v_lshrrev_b32_e32 v0, 3, v1
	v_mov_b32_e32 v29, v13
	v_cmpx_gt_u32_e32 8, v1
; %bb.78:                               ;   in Loop: Header=BB349_15 Depth=1
	v_ffbh_u32_e32 v0, v13
	v_min_u32_e32 v0, 32, v0
	v_subrev_nc_u32_e32 v1, 28, v0
	v_sub_nc_u32_e32 v0, 29, v0
	v_lshlrev_b64 v[1:2], v1, v[13:14]
	v_and_b32_e32 v29, 7, v1
; %bb.79:                               ;   in Loop: Header=BB349_15 Depth=1
	s_or_b32 exec_lo, exec_lo, s23
	v_lshlrev_b32_sdwa v1, v86, v28 dst_sel:DWORD dst_unused:UNUSED_PAD src0_sel:DWORD src1_sel:BYTE_3
	v_lshlrev_b32_e32 v2, 20, v29
	v_lshl_add_u32 v0, v0, 23, 0x3c000000
	v_and_b32_e32 v1, 0x80000000, v1
	v_or3_b32 v0, v2, v1, v0
	buffer_store_dword v0, off, s[0:3], s32 offset:220 ; 4-byte Folded Spill
.LBB349_80:                             ;   in Loop: Header=BB349_15 Depth=1
	s_or_b32 exec_lo, exec_lo, s22
.LBB349_81:                             ;   in Loop: Header=BB349_15 Depth=1
	s_or_b32 exec_lo, exec_lo, s21
.LBB349_82:                             ;   in Loop: Header=BB349_15 Depth=1
	s_or_b32 exec_lo, exec_lo, s20
	flat_load_dwordx2 v[27:28], v[24:25] offset:8
	v_mov_b32_e32 v114, 0
	v_mov_b32_e32 v113, 0
	s_waitcnt vmcnt(0) lgkmcnt(0)
	v_cmp_ne_u16_sdwa s5, v27, v14 src0_sel:BYTE_0 src1_sel:DWORD
	s_and_saveexec_b32 s20, s5
	s_cbranch_execz .LBB349_90
; %bb.83:                               ;   in Loop: Header=BB349_15 Depth=1
	v_cmp_ne_u16_sdwa s5, v27, v82 src0_sel:BYTE_0 src1_sel:DWORD
	v_bfrev_b32_e32 v113, 1
	s_and_saveexec_b32 s21, s5
	s_cbranch_execz .LBB349_89
; %bb.84:                               ;   in Loop: Header=BB349_15 Depth=1
	v_and_b32_e32 v1, 0x7f, v27
	v_mov_b32_e32 v113, 0x7f800001
	s_mov_b32 s22, exec_lo
	v_cmpx_ne_u32_e32 0x7f, v1
	s_cbranch_execz .LBB349_88
; %bb.85:                               ;   in Loop: Header=BB349_15 Depth=1
	v_mov_b32_e32 v30, v28
	v_lshrrev_b32_e32 v0, 3, v1
	v_mov_b32_e32 v29, v27
	s_mov_b32 s23, exec_lo
	v_cmpx_gt_u32_e32 8, v1
; %bb.86:                               ;   in Loop: Header=BB349_15 Depth=1
	v_and_b32_e32 v0, 7, v27
	v_ffbh_u32_e32 v0, v0
	v_min_u32_e32 v0, 32, v0
	v_subrev_nc_u32_e32 v1, 28, v0
	v_sub_nc_u32_e32 v0, 29, v0
	v_lshlrev_b64 v[29:30], v1, v[27:28]
; %bb.87:                               ;   in Loop: Header=BB349_15 Depth=1
	s_or_b32 exec_lo, exec_lo, s23
	v_lshlrev_b32_e32 v1, 20, v29
	v_lshlrev_b32_e32 v2, 24, v27
	v_lshl_add_u32 v0, v0, 23, 0x3c000000
	v_and_b32_e32 v1, 0x700000, v1
	v_and_b32_e32 v2, 0x80000000, v2
	v_or3_b32 v113, v1, v2, v0
.LBB349_88:                             ;   in Loop: Header=BB349_15 Depth=1
	s_or_b32 exec_lo, exec_lo, s22
.LBB349_89:                             ;   in Loop: Header=BB349_15 Depth=1
	s_or_b32 exec_lo, exec_lo, s21
.LBB349_90:                             ;   in Loop: Header=BB349_15 Depth=1
	s_or_b32 exec_lo, exec_lo, s20
	v_cmp_ne_u16_sdwa s5, v27, v14 src0_sel:BYTE_1 src1_sel:DWORD
	s_and_saveexec_b32 s20, s5
	s_cbranch_execz .LBB349_98
; %bb.91:                               ;   in Loop: Header=BB349_15 Depth=1
	v_cmp_ne_u16_sdwa s5, v27, v82 src0_sel:BYTE_1 src1_sel:DWORD
	v_bfrev_b32_e32 v114, 1
	s_and_saveexec_b32 s21, s5
	s_cbranch_execz .LBB349_97
; %bb.92:                               ;   in Loop: Header=BB349_15 Depth=1
	v_mov_b32_e32 v0, 0xffff
	v_mov_b32_e32 v114, 0x7f800001
	s_mov_b32 s22, exec_lo
	v_and_b32_sdwa v0, v0, v27 dst_sel:DWORD dst_unused:UNUSED_PAD src0_sel:DWORD src1_sel:BYTE_1
	v_and_b32_e32 v1, 0x7f, v0
	v_cmpx_ne_u32_e32 0x7f, v1
	s_cbranch_execz .LBB349_96
; %bb.93:                               ;   in Loop: Header=BB349_15 Depth=1
	v_and_b32_e32 v13, 7, v0
	v_mov_b32_e32 v30, v14
	v_lshrrev_b32_e32 v0, 3, v1
	s_mov_b32 s23, exec_lo
	v_mov_b32_e32 v29, v13
	v_cmpx_gt_u32_e32 8, v1
; %bb.94:                               ;   in Loop: Header=BB349_15 Depth=1
	v_ffbh_u32_e32 v0, v13
	v_min_u32_e32 v0, 32, v0
	v_subrev_nc_u32_e32 v1, 28, v0
	v_sub_nc_u32_e32 v0, 29, v0
	v_lshlrev_b64 v[1:2], v1, v[13:14]
	v_and_b32_e32 v29, 7, v1
; %bb.95:                               ;   in Loop: Header=BB349_15 Depth=1
	s_or_b32 exec_lo, exec_lo, s23
	v_lshlrev_b32_e32 v1, 16, v27
	v_lshlrev_b32_e32 v2, 20, v29
	v_lshl_add_u32 v0, v0, 23, 0x3c000000
	v_and_b32_e32 v1, 0x80000000, v1
	v_or3_b32 v114, v2, v1, v0
.LBB349_96:                             ;   in Loop: Header=BB349_15 Depth=1
	s_or_b32 exec_lo, exec_lo, s22
.LBB349_97:                             ;   in Loop: Header=BB349_15 Depth=1
	s_or_b32 exec_lo, exec_lo, s21
.LBB349_98:                             ;   in Loop: Header=BB349_15 Depth=1
	s_or_b32 exec_lo, exec_lo, s20
	v_and_b32_sdwa v0, v27, v84 dst_sel:DWORD dst_unused:UNUSED_PAD src0_sel:WORD_1 src1_sel:DWORD
	v_mov_b32_e32 v116, 0
	v_mov_b32_e32 v115, 0
	s_mov_b32 s20, exec_lo
	v_cmpx_ne_u16_e32 0, v0
	s_cbranch_execz .LBB349_106
; %bb.99:                               ;   in Loop: Header=BB349_15 Depth=1
	v_bfrev_b32_e32 v115, 1
	s_mov_b32 s21, exec_lo
	v_cmpx_ne_u16_e32 0x80, v0
	s_cbranch_execz .LBB349_105
; %bb.100:                              ;   in Loop: Header=BB349_15 Depth=1
	v_bfe_u32 v1, v27, 16, 7
	v_mov_b32_e32 v115, 0x7f800001
	s_mov_b32 s22, exec_lo
	v_cmpx_ne_u32_e32 0x7f, v1
	s_cbranch_execz .LBB349_104
; %bb.101:                              ;   in Loop: Header=BB349_15 Depth=1
	v_mov_b32_e32 v0, 7
	s_mov_b32 s23, exec_lo
	v_and_b32_sdwa v13, v27, v0 dst_sel:DWORD dst_unused:UNUSED_PAD src0_sel:WORD_1 src1_sel:DWORD
	v_mov_b32_e32 v30, v14
	v_lshrrev_b32_e32 v0, 3, v1
	v_mov_b32_e32 v29, v13
	v_cmpx_gt_u32_e32 8, v1
; %bb.102:                              ;   in Loop: Header=BB349_15 Depth=1
	v_ffbh_u32_e32 v0, v13
	v_min_u32_e32 v0, 32, v0
	v_subrev_nc_u32_e32 v1, 28, v0
	v_sub_nc_u32_e32 v0, 29, v0
	v_lshlrev_b64 v[1:2], v1, v[13:14]
	v_and_b32_e32 v29, 7, v1
; %bb.103:                              ;   in Loop: Header=BB349_15 Depth=1
	s_or_b32 exec_lo, exec_lo, s23
	v_lshlrev_b32_sdwa v1, v86, v27 dst_sel:DWORD dst_unused:UNUSED_PAD src0_sel:DWORD src1_sel:WORD_1
	v_lshlrev_b32_e32 v2, 20, v29
	v_lshl_add_u32 v0, v0, 23, 0x3c000000
	v_and_b32_e32 v1, 0x80000000, v1
	v_or3_b32 v115, v2, v1, v0
.LBB349_104:                            ;   in Loop: Header=BB349_15 Depth=1
	s_or_b32 exec_lo, exec_lo, s22
.LBB349_105:                            ;   in Loop: Header=BB349_15 Depth=1
	s_or_b32 exec_lo, exec_lo, s21
.LBB349_106:                            ;   in Loop: Header=BB349_15 Depth=1
	s_or_b32 exec_lo, exec_lo, s20
	s_mov_b32 s20, exec_lo
	v_cmpx_lt_u32_e32 0xffffff, v27
	s_cbranch_execz .LBB349_114
; %bb.107:                              ;   in Loop: Header=BB349_15 Depth=1
	v_cmp_ne_u32_sdwa s5, v27, v82 src0_sel:BYTE_3 src1_sel:DWORD
	v_bfrev_b32_e32 v116, 1
	s_and_saveexec_b32 s21, s5
	s_cbranch_execz .LBB349_113
; %bb.108:                              ;   in Loop: Header=BB349_15 Depth=1
	v_bfe_u32 v1, v27, 24, 7
	v_mov_b32_e32 v116, 0x7f800001
	s_mov_b32 s22, exec_lo
	v_cmpx_ne_u32_e32 0x7f, v1
	s_cbranch_execz .LBB349_112
; %bb.109:                              ;   in Loop: Header=BB349_15 Depth=1
	v_mov_b32_e32 v0, 7
	s_mov_b32 s23, exec_lo
	v_and_b32_sdwa v13, v27, v0 dst_sel:DWORD dst_unused:UNUSED_PAD src0_sel:BYTE_3 src1_sel:DWORD
	v_mov_b32_e32 v30, v14
	v_lshrrev_b32_e32 v0, 3, v1
	v_mov_b32_e32 v29, v13
	v_cmpx_gt_u32_e32 8, v1
; %bb.110:                              ;   in Loop: Header=BB349_15 Depth=1
	v_ffbh_u32_e32 v0, v13
	v_min_u32_e32 v0, 32, v0
	v_subrev_nc_u32_e32 v1, 28, v0
	v_sub_nc_u32_e32 v0, 29, v0
	v_lshlrev_b64 v[1:2], v1, v[13:14]
	v_and_b32_e32 v29, 7, v1
; %bb.111:                              ;   in Loop: Header=BB349_15 Depth=1
	s_or_b32 exec_lo, exec_lo, s23
	v_lshlrev_b32_sdwa v1, v86, v27 dst_sel:DWORD dst_unused:UNUSED_PAD src0_sel:DWORD src1_sel:BYTE_3
	v_lshlrev_b32_e32 v2, 20, v29
	v_lshl_add_u32 v0, v0, 23, 0x3c000000
	v_and_b32_e32 v1, 0x80000000, v1
	v_or3_b32 v116, v2, v1, v0
.LBB349_112:                            ;   in Loop: Header=BB349_15 Depth=1
	s_or_b32 exec_lo, exec_lo, s22
.LBB349_113:                            ;   in Loop: Header=BB349_15 Depth=1
	s_or_b32 exec_lo, exec_lo, s21
.LBB349_114:                            ;   in Loop: Header=BB349_15 Depth=1
	s_or_b32 exec_lo, exec_lo, s20
	v_mov_b32_e32 v13, v28
	v_cmp_ne_u16_sdwa s5, v28, v14 src0_sel:BYTE_0 src1_sel:DWORD
	v_mov_b32_e32 v118, 0
	v_mov_b32_e32 v117, 0
	s_and_saveexec_b32 s20, s5
	s_cbranch_execz .LBB349_122
; %bb.115:                              ;   in Loop: Header=BB349_15 Depth=1
	v_cmp_ne_u16_sdwa s5, v28, v82 src0_sel:BYTE_0 src1_sel:DWORD
	v_bfrev_b32_e32 v117, 1
	s_and_saveexec_b32 s21, s5
	s_cbranch_execz .LBB349_121
; %bb.116:                              ;   in Loop: Header=BB349_15 Depth=1
	v_and_b32_e32 v1, 0x7f, v28
	v_mov_b32_e32 v117, 0x7f800001
	s_mov_b32 s22, exec_lo
	v_cmpx_ne_u32_e32 0x7f, v1
	s_cbranch_execz .LBB349_120
; %bb.117:                              ;   in Loop: Header=BB349_15 Depth=1
	v_mov_b32_e32 v30, v14
	v_lshrrev_b32_e32 v0, 3, v1
	v_mov_b32_e32 v29, v13
	s_mov_b32 s23, exec_lo
	v_cmpx_gt_u32_e32 8, v1
; %bb.118:                              ;   in Loop: Header=BB349_15 Depth=1
	v_and_b32_e32 v0, 7, v28
	v_ffbh_u32_e32 v0, v0
	v_min_u32_e32 v0, 32, v0
	v_subrev_nc_u32_e32 v1, 28, v0
	v_sub_nc_u32_e32 v0, 29, v0
	v_lshlrev_b64 v[29:30], v1, v[13:14]
; %bb.119:                              ;   in Loop: Header=BB349_15 Depth=1
	s_or_b32 exec_lo, exec_lo, s23
	v_lshlrev_b32_e32 v1, 20, v29
	v_lshlrev_b32_e32 v2, 24, v13
	v_lshl_add_u32 v0, v0, 23, 0x3c000000
	v_and_b32_e32 v1, 0x700000, v1
	v_and_b32_e32 v2, 0x80000000, v2
	v_or3_b32 v117, v1, v2, v0
.LBB349_120:                            ;   in Loop: Header=BB349_15 Depth=1
	s_or_b32 exec_lo, exec_lo, s22
.LBB349_121:                            ;   in Loop: Header=BB349_15 Depth=1
	s_or_b32 exec_lo, exec_lo, s21
.LBB349_122:                            ;   in Loop: Header=BB349_15 Depth=1
	s_or_b32 exec_lo, exec_lo, s20
	v_cmp_ne_u16_sdwa s5, v13, v14 src0_sel:BYTE_1 src1_sel:DWORD
	s_and_saveexec_b32 s20, s5
	s_cbranch_execz .LBB349_130
; %bb.123:                              ;   in Loop: Header=BB349_15 Depth=1
	v_cmp_ne_u16_sdwa s5, v13, v82 src0_sel:BYTE_1 src1_sel:DWORD
	v_bfrev_b32_e32 v118, 1
	s_and_saveexec_b32 s21, s5
	s_cbranch_execz .LBB349_129
; %bb.124:                              ;   in Loop: Header=BB349_15 Depth=1
	v_mov_b32_e32 v0, 0xffff
	v_mov_b32_e32 v118, 0x7f800001
	s_mov_b32 s22, exec_lo
	v_and_b32_sdwa v0, v0, v13 dst_sel:DWORD dst_unused:UNUSED_PAD src0_sel:DWORD src1_sel:BYTE_1
	v_and_b32_e32 v1, 0x7f, v0
	v_cmpx_ne_u32_e32 0x7f, v1
	s_cbranch_execz .LBB349_128
; %bb.125:                              ;   in Loop: Header=BB349_15 Depth=1
	v_and_b32_e32 v29, 7, v0
	v_mov_b32_e32 v30, v14
	v_lshrrev_b32_e32 v0, 3, v1
	s_mov_b32 s23, exec_lo
	v_cmpx_gt_u32_e32 8, v1
; %bb.126:                              ;   in Loop: Header=BB349_15 Depth=1
	v_ffbh_u32_e32 v0, v29
	v_min_u32_e32 v0, 32, v0
	v_subrev_nc_u32_e32 v1, 28, v0
	v_sub_nc_u32_e32 v0, 29, v0
	v_lshlrev_b64 v[1:2], v1, v[29:30]
	v_and_b32_e32 v29, 7, v1
; %bb.127:                              ;   in Loop: Header=BB349_15 Depth=1
	s_or_b32 exec_lo, exec_lo, s23
	v_lshlrev_b32_e32 v1, 16, v13
	v_lshlrev_b32_e32 v2, 20, v29
	v_lshl_add_u32 v0, v0, 23, 0x3c000000
	v_and_b32_e32 v1, 0x80000000, v1
	v_or3_b32 v118, v2, v1, v0
.LBB349_128:                            ;   in Loop: Header=BB349_15 Depth=1
	s_or_b32 exec_lo, exec_lo, s22
.LBB349_129:                            ;   in Loop: Header=BB349_15 Depth=1
	s_or_b32 exec_lo, exec_lo, s21
.LBB349_130:                            ;   in Loop: Header=BB349_15 Depth=1
	s_or_b32 exec_lo, exec_lo, s20
	v_and_b32_sdwa v0, v28, v84 dst_sel:DWORD dst_unused:UNUSED_PAD src0_sel:WORD_1 src1_sel:DWORD
	v_mov_b32_e32 v119, 0
	v_mov_b32_e32 v40, 0
	s_mov_b32 s20, exec_lo
	v_cmpx_ne_u16_e32 0, v0
	s_cbranch_execz .LBB349_138
; %bb.131:                              ;   in Loop: Header=BB349_15 Depth=1
	v_bfrev_b32_e32 v40, 1
	s_mov_b32 s21, exec_lo
	v_cmpx_ne_u16_e32 0x80, v0
	s_cbranch_execz .LBB349_137
; %bb.132:                              ;   in Loop: Header=BB349_15 Depth=1
	v_bfe_u32 v1, v28, 16, 7
	v_mov_b32_e32 v40, 0x7f800001
	s_mov_b32 s22, exec_lo
	v_cmpx_ne_u32_e32 0x7f, v1
	s_cbranch_execz .LBB349_136
; %bb.133:                              ;   in Loop: Header=BB349_15 Depth=1
	v_mov_b32_e32 v0, 7
	s_mov_b32 s23, exec_lo
	v_and_b32_sdwa v13, v28, v0 dst_sel:DWORD dst_unused:UNUSED_PAD src0_sel:WORD_1 src1_sel:DWORD
	v_mov_b32_e32 v30, v14
	v_lshrrev_b32_e32 v0, 3, v1
	v_mov_b32_e32 v29, v13
	v_cmpx_gt_u32_e32 8, v1
; %bb.134:                              ;   in Loop: Header=BB349_15 Depth=1
	v_ffbh_u32_e32 v0, v13
	v_min_u32_e32 v0, 32, v0
	v_subrev_nc_u32_e32 v1, 28, v0
	v_sub_nc_u32_e32 v0, 29, v0
	v_lshlrev_b64 v[1:2], v1, v[13:14]
	v_and_b32_e32 v29, 7, v1
; %bb.135:                              ;   in Loop: Header=BB349_15 Depth=1
	s_or_b32 exec_lo, exec_lo, s23
	v_lshlrev_b32_sdwa v1, v86, v28 dst_sel:DWORD dst_unused:UNUSED_PAD src0_sel:DWORD src1_sel:WORD_1
	v_lshlrev_b32_e32 v2, 20, v29
	v_lshl_add_u32 v0, v0, 23, 0x3c000000
	v_and_b32_e32 v1, 0x80000000, v1
	v_or3_b32 v40, v2, v1, v0
.LBB349_136:                            ;   in Loop: Header=BB349_15 Depth=1
	s_or_b32 exec_lo, exec_lo, s22
.LBB349_137:                            ;   in Loop: Header=BB349_15 Depth=1
	s_or_b32 exec_lo, exec_lo, s21
.LBB349_138:                            ;   in Loop: Header=BB349_15 Depth=1
	s_or_b32 exec_lo, exec_lo, s20
	s_mov_b32 s20, exec_lo
	v_cmpx_lt_u64_e64 s[12:13], v[27:28]
	s_cbranch_execz .LBB349_146
; %bb.139:                              ;   in Loop: Header=BB349_15 Depth=1
	v_cmp_ne_u32_sdwa s5, v28, v82 src0_sel:BYTE_3 src1_sel:DWORD
	v_bfrev_b32_e32 v119, 1
	s_and_saveexec_b32 s21, s5
	s_cbranch_execz .LBB349_145
; %bb.140:                              ;   in Loop: Header=BB349_15 Depth=1
	v_bfe_u32 v1, v28, 24, 7
	v_mov_b32_e32 v119, 0x7f800001
	s_mov_b32 s22, exec_lo
	v_cmpx_ne_u32_e32 0x7f, v1
	s_cbranch_execz .LBB349_144
; %bb.141:                              ;   in Loop: Header=BB349_15 Depth=1
	v_mov_b32_e32 v0, 7
	s_mov_b32 s23, exec_lo
	v_and_b32_sdwa v13, v28, v0 dst_sel:DWORD dst_unused:UNUSED_PAD src0_sel:BYTE_3 src1_sel:DWORD
	v_mov_b32_e32 v30, v14
	v_lshrrev_b32_e32 v0, 3, v1
	v_mov_b32_e32 v29, v13
	v_cmpx_gt_u32_e32 8, v1
; %bb.142:                              ;   in Loop: Header=BB349_15 Depth=1
	v_ffbh_u32_e32 v0, v13
	v_min_u32_e32 v0, 32, v0
	v_subrev_nc_u32_e32 v1, 28, v0
	v_sub_nc_u32_e32 v0, 29, v0
	v_lshlrev_b64 v[1:2], v1, v[13:14]
	v_and_b32_e32 v29, 7, v1
; %bb.143:                              ;   in Loop: Header=BB349_15 Depth=1
	s_or_b32 exec_lo, exec_lo, s23
	v_lshlrev_b32_sdwa v1, v86, v28 dst_sel:DWORD dst_unused:UNUSED_PAD src0_sel:DWORD src1_sel:BYTE_3
	v_lshlrev_b32_e32 v2, 20, v29
	v_lshl_add_u32 v0, v0, 23, 0x3c000000
	v_and_b32_e32 v1, 0x80000000, v1
	v_or3_b32 v119, v2, v1, v0
.LBB349_144:                            ;   in Loop: Header=BB349_15 Depth=1
	s_or_b32 exec_lo, exec_lo, s22
.LBB349_145:                            ;   in Loop: Header=BB349_15 Depth=1
	s_or_b32 exec_lo, exec_lo, s21
.LBB349_146:                            ;   in Loop: Header=BB349_15 Depth=1
	s_or_b32 exec_lo, exec_lo, s20
	flat_load_dwordx2 v[27:28], v[24:25] offset:512
	v_mov_b32_e32 v42, 0
	v_mov_b32_e32 v41, 0
	s_waitcnt vmcnt(0) lgkmcnt(0)
	v_cmp_ne_u16_sdwa s5, v27, v14 src0_sel:BYTE_0 src1_sel:DWORD
	s_and_saveexec_b32 s20, s5
	s_cbranch_execz .LBB349_154
; %bb.147:                              ;   in Loop: Header=BB349_15 Depth=1
	v_cmp_ne_u16_sdwa s5, v27, v82 src0_sel:BYTE_0 src1_sel:DWORD
	v_bfrev_b32_e32 v41, 1
	s_and_saveexec_b32 s21, s5
	s_cbranch_execz .LBB349_153
; %bb.148:                              ;   in Loop: Header=BB349_15 Depth=1
	v_and_b32_e32 v1, 0x7f, v27
	v_mov_b32_e32 v41, 0x7f800001
	s_mov_b32 s22, exec_lo
	v_cmpx_ne_u32_e32 0x7f, v1
	s_cbranch_execz .LBB349_152
; %bb.149:                              ;   in Loop: Header=BB349_15 Depth=1
	v_mov_b32_e32 v30, v28
	v_lshrrev_b32_e32 v0, 3, v1
	v_mov_b32_e32 v29, v27
	s_mov_b32 s23, exec_lo
	v_cmpx_gt_u32_e32 8, v1
; %bb.150:                              ;   in Loop: Header=BB349_15 Depth=1
	v_and_b32_e32 v0, 7, v27
	v_ffbh_u32_e32 v0, v0
	v_min_u32_e32 v0, 32, v0
	v_subrev_nc_u32_e32 v1, 28, v0
	v_sub_nc_u32_e32 v0, 29, v0
	v_lshlrev_b64 v[29:30], v1, v[27:28]
; %bb.151:                              ;   in Loop: Header=BB349_15 Depth=1
	s_or_b32 exec_lo, exec_lo, s23
	v_lshlrev_b32_e32 v1, 20, v29
	v_lshlrev_b32_e32 v2, 24, v27
	v_lshl_add_u32 v0, v0, 23, 0x3c000000
	v_and_b32_e32 v1, 0x700000, v1
	v_and_b32_e32 v2, 0x80000000, v2
	v_or3_b32 v41, v1, v2, v0
.LBB349_152:                            ;   in Loop: Header=BB349_15 Depth=1
	s_or_b32 exec_lo, exec_lo, s22
.LBB349_153:                            ;   in Loop: Header=BB349_15 Depth=1
	s_or_b32 exec_lo, exec_lo, s21
.LBB349_154:                            ;   in Loop: Header=BB349_15 Depth=1
	s_or_b32 exec_lo, exec_lo, s20
	v_cmp_ne_u16_sdwa s5, v27, v14 src0_sel:BYTE_1 src1_sel:DWORD
	s_and_saveexec_b32 s20, s5
	s_cbranch_execz .LBB349_162
; %bb.155:                              ;   in Loop: Header=BB349_15 Depth=1
	v_cmp_ne_u16_sdwa s5, v27, v82 src0_sel:BYTE_1 src1_sel:DWORD
	v_bfrev_b32_e32 v42, 1
	s_and_saveexec_b32 s21, s5
	s_cbranch_execz .LBB349_161
; %bb.156:                              ;   in Loop: Header=BB349_15 Depth=1
	v_mov_b32_e32 v0, 0xffff
	v_mov_b32_e32 v42, 0x7f800001
	s_mov_b32 s22, exec_lo
	v_and_b32_sdwa v0, v0, v27 dst_sel:DWORD dst_unused:UNUSED_PAD src0_sel:DWORD src1_sel:BYTE_1
	v_and_b32_e32 v1, 0x7f, v0
	v_cmpx_ne_u32_e32 0x7f, v1
	s_cbranch_execz .LBB349_160
; %bb.157:                              ;   in Loop: Header=BB349_15 Depth=1
	v_and_b32_e32 v13, 7, v0
	v_mov_b32_e32 v30, v14
	v_lshrrev_b32_e32 v0, 3, v1
	s_mov_b32 s23, exec_lo
	v_mov_b32_e32 v29, v13
	v_cmpx_gt_u32_e32 8, v1
; %bb.158:                              ;   in Loop: Header=BB349_15 Depth=1
	v_ffbh_u32_e32 v0, v13
	v_min_u32_e32 v0, 32, v0
	v_subrev_nc_u32_e32 v1, 28, v0
	v_sub_nc_u32_e32 v0, 29, v0
	v_lshlrev_b64 v[1:2], v1, v[13:14]
	v_and_b32_e32 v29, 7, v1
; %bb.159:                              ;   in Loop: Header=BB349_15 Depth=1
	s_or_b32 exec_lo, exec_lo, s23
	v_lshlrev_b32_e32 v1, 16, v27
	v_lshlrev_b32_e32 v2, 20, v29
	v_lshl_add_u32 v0, v0, 23, 0x3c000000
	v_and_b32_e32 v1, 0x80000000, v1
	v_or3_b32 v42, v2, v1, v0
.LBB349_160:                            ;   in Loop: Header=BB349_15 Depth=1
	s_or_b32 exec_lo, exec_lo, s22
.LBB349_161:                            ;   in Loop: Header=BB349_15 Depth=1
	s_or_b32 exec_lo, exec_lo, s21
.LBB349_162:                            ;   in Loop: Header=BB349_15 Depth=1
	s_or_b32 exec_lo, exec_lo, s20
	v_and_b32_sdwa v0, v27, v84 dst_sel:DWORD dst_unused:UNUSED_PAD src0_sel:WORD_1 src1_sel:DWORD
	v_mov_b32_e32 v44, 0
	v_mov_b32_e32 v43, 0
	s_mov_b32 s20, exec_lo
	v_cmpx_ne_u16_e32 0, v0
	s_cbranch_execz .LBB349_170
; %bb.163:                              ;   in Loop: Header=BB349_15 Depth=1
	v_bfrev_b32_e32 v43, 1
	s_mov_b32 s21, exec_lo
	v_cmpx_ne_u16_e32 0x80, v0
	s_cbranch_execz .LBB349_169
; %bb.164:                              ;   in Loop: Header=BB349_15 Depth=1
	v_bfe_u32 v1, v27, 16, 7
	v_mov_b32_e32 v43, 0x7f800001
	s_mov_b32 s22, exec_lo
	v_cmpx_ne_u32_e32 0x7f, v1
	s_cbranch_execz .LBB349_168
; %bb.165:                              ;   in Loop: Header=BB349_15 Depth=1
	v_mov_b32_e32 v0, 7
	s_mov_b32 s23, exec_lo
	v_and_b32_sdwa v13, v27, v0 dst_sel:DWORD dst_unused:UNUSED_PAD src0_sel:WORD_1 src1_sel:DWORD
	v_mov_b32_e32 v30, v14
	v_lshrrev_b32_e32 v0, 3, v1
	v_mov_b32_e32 v29, v13
	v_cmpx_gt_u32_e32 8, v1
; %bb.166:                              ;   in Loop: Header=BB349_15 Depth=1
	v_ffbh_u32_e32 v0, v13
	v_min_u32_e32 v0, 32, v0
	v_subrev_nc_u32_e32 v1, 28, v0
	v_sub_nc_u32_e32 v0, 29, v0
	v_lshlrev_b64 v[1:2], v1, v[13:14]
	v_and_b32_e32 v29, 7, v1
; %bb.167:                              ;   in Loop: Header=BB349_15 Depth=1
	s_or_b32 exec_lo, exec_lo, s23
	v_lshlrev_b32_sdwa v1, v86, v27 dst_sel:DWORD dst_unused:UNUSED_PAD src0_sel:DWORD src1_sel:WORD_1
	v_lshlrev_b32_e32 v2, 20, v29
	v_lshl_add_u32 v0, v0, 23, 0x3c000000
	v_and_b32_e32 v1, 0x80000000, v1
	v_or3_b32 v43, v2, v1, v0
.LBB349_168:                            ;   in Loop: Header=BB349_15 Depth=1
	s_or_b32 exec_lo, exec_lo, s22
.LBB349_169:                            ;   in Loop: Header=BB349_15 Depth=1
	s_or_b32 exec_lo, exec_lo, s21
.LBB349_170:                            ;   in Loop: Header=BB349_15 Depth=1
	s_or_b32 exec_lo, exec_lo, s20
	s_mov_b32 s20, exec_lo
	v_cmpx_lt_u32_e32 0xffffff, v27
	s_cbranch_execz .LBB349_178
; %bb.171:                              ;   in Loop: Header=BB349_15 Depth=1
	v_cmp_ne_u32_sdwa s5, v27, v82 src0_sel:BYTE_3 src1_sel:DWORD
	v_bfrev_b32_e32 v44, 1
	s_and_saveexec_b32 s21, s5
	s_cbranch_execz .LBB349_177
; %bb.172:                              ;   in Loop: Header=BB349_15 Depth=1
	v_bfe_u32 v1, v27, 24, 7
	v_mov_b32_e32 v44, 0x7f800001
	s_mov_b32 s22, exec_lo
	v_cmpx_ne_u32_e32 0x7f, v1
	s_cbranch_execz .LBB349_176
; %bb.173:                              ;   in Loop: Header=BB349_15 Depth=1
	v_mov_b32_e32 v0, 7
	s_mov_b32 s23, exec_lo
	v_and_b32_sdwa v13, v27, v0 dst_sel:DWORD dst_unused:UNUSED_PAD src0_sel:BYTE_3 src1_sel:DWORD
	v_mov_b32_e32 v30, v14
	v_lshrrev_b32_e32 v0, 3, v1
	v_mov_b32_e32 v29, v13
	v_cmpx_gt_u32_e32 8, v1
; %bb.174:                              ;   in Loop: Header=BB349_15 Depth=1
	v_ffbh_u32_e32 v0, v13
	v_min_u32_e32 v0, 32, v0
	v_subrev_nc_u32_e32 v1, 28, v0
	v_sub_nc_u32_e32 v0, 29, v0
	v_lshlrev_b64 v[1:2], v1, v[13:14]
	v_and_b32_e32 v29, 7, v1
; %bb.175:                              ;   in Loop: Header=BB349_15 Depth=1
	s_or_b32 exec_lo, exec_lo, s23
	v_lshlrev_b32_sdwa v1, v86, v27 dst_sel:DWORD dst_unused:UNUSED_PAD src0_sel:DWORD src1_sel:BYTE_3
	v_lshlrev_b32_e32 v2, 20, v29
	v_lshl_add_u32 v0, v0, 23, 0x3c000000
	v_and_b32_e32 v1, 0x80000000, v1
	v_or3_b32 v44, v2, v1, v0
.LBB349_176:                            ;   in Loop: Header=BB349_15 Depth=1
	s_or_b32 exec_lo, exec_lo, s22
.LBB349_177:                            ;   in Loop: Header=BB349_15 Depth=1
	s_or_b32 exec_lo, exec_lo, s21
.LBB349_178:                            ;   in Loop: Header=BB349_15 Depth=1
	s_or_b32 exec_lo, exec_lo, s20
	v_mov_b32_e32 v13, v28
	v_cmp_ne_u16_sdwa s5, v28, v14 src0_sel:BYTE_0 src1_sel:DWORD
	v_mov_b32_e32 v46, 0
	v_mov_b32_e32 v45, 0
	s_and_saveexec_b32 s20, s5
	s_cbranch_execz .LBB349_186
; %bb.179:                              ;   in Loop: Header=BB349_15 Depth=1
	v_cmp_ne_u16_sdwa s5, v28, v82 src0_sel:BYTE_0 src1_sel:DWORD
	v_bfrev_b32_e32 v45, 1
	s_and_saveexec_b32 s21, s5
	s_cbranch_execz .LBB349_185
; %bb.180:                              ;   in Loop: Header=BB349_15 Depth=1
	v_and_b32_e32 v1, 0x7f, v28
	v_mov_b32_e32 v45, 0x7f800001
	s_mov_b32 s22, exec_lo
	v_cmpx_ne_u32_e32 0x7f, v1
	s_cbranch_execz .LBB349_184
; %bb.181:                              ;   in Loop: Header=BB349_15 Depth=1
	v_mov_b32_e32 v30, v14
	v_lshrrev_b32_e32 v0, 3, v1
	v_mov_b32_e32 v29, v13
	s_mov_b32 s23, exec_lo
	v_cmpx_gt_u32_e32 8, v1
; %bb.182:                              ;   in Loop: Header=BB349_15 Depth=1
	v_and_b32_e32 v0, 7, v28
	v_ffbh_u32_e32 v0, v0
	v_min_u32_e32 v0, 32, v0
	v_subrev_nc_u32_e32 v1, 28, v0
	v_sub_nc_u32_e32 v0, 29, v0
	v_lshlrev_b64 v[29:30], v1, v[13:14]
; %bb.183:                              ;   in Loop: Header=BB349_15 Depth=1
	s_or_b32 exec_lo, exec_lo, s23
	v_lshlrev_b32_e32 v1, 20, v29
	v_lshlrev_b32_e32 v2, 24, v13
	v_lshl_add_u32 v0, v0, 23, 0x3c000000
	v_and_b32_e32 v1, 0x700000, v1
	v_and_b32_e32 v2, 0x80000000, v2
	v_or3_b32 v45, v1, v2, v0
.LBB349_184:                            ;   in Loop: Header=BB349_15 Depth=1
	s_or_b32 exec_lo, exec_lo, s22
.LBB349_185:                            ;   in Loop: Header=BB349_15 Depth=1
	s_or_b32 exec_lo, exec_lo, s21
.LBB349_186:                            ;   in Loop: Header=BB349_15 Depth=1
	s_or_b32 exec_lo, exec_lo, s20
	v_cmp_ne_u16_sdwa s5, v13, v14 src0_sel:BYTE_1 src1_sel:DWORD
	s_and_saveexec_b32 s20, s5
	s_cbranch_execz .LBB349_194
; %bb.187:                              ;   in Loop: Header=BB349_15 Depth=1
	v_cmp_ne_u16_sdwa s5, v13, v82 src0_sel:BYTE_1 src1_sel:DWORD
	v_bfrev_b32_e32 v46, 1
	s_and_saveexec_b32 s21, s5
	s_cbranch_execz .LBB349_193
; %bb.188:                              ;   in Loop: Header=BB349_15 Depth=1
	v_mov_b32_e32 v0, 0xffff
	v_mov_b32_e32 v46, 0x7f800001
	s_mov_b32 s22, exec_lo
	v_and_b32_sdwa v0, v0, v13 dst_sel:DWORD dst_unused:UNUSED_PAD src0_sel:DWORD src1_sel:BYTE_1
	v_and_b32_e32 v1, 0x7f, v0
	v_cmpx_ne_u32_e32 0x7f, v1
	s_cbranch_execz .LBB349_192
; %bb.189:                              ;   in Loop: Header=BB349_15 Depth=1
	v_and_b32_e32 v29, 7, v0
	v_mov_b32_e32 v30, v14
	v_lshrrev_b32_e32 v0, 3, v1
	s_mov_b32 s23, exec_lo
	v_cmpx_gt_u32_e32 8, v1
; %bb.190:                              ;   in Loop: Header=BB349_15 Depth=1
	v_ffbh_u32_e32 v0, v29
	v_min_u32_e32 v0, 32, v0
	v_subrev_nc_u32_e32 v1, 28, v0
	v_sub_nc_u32_e32 v0, 29, v0
	v_lshlrev_b64 v[1:2], v1, v[29:30]
	v_and_b32_e32 v29, 7, v1
; %bb.191:                              ;   in Loop: Header=BB349_15 Depth=1
	s_or_b32 exec_lo, exec_lo, s23
	v_lshlrev_b32_e32 v1, 16, v13
	v_lshlrev_b32_e32 v2, 20, v29
	v_lshl_add_u32 v0, v0, 23, 0x3c000000
	v_and_b32_e32 v1, 0x80000000, v1
	v_or3_b32 v46, v2, v1, v0
.LBB349_192:                            ;   in Loop: Header=BB349_15 Depth=1
	s_or_b32 exec_lo, exec_lo, s22
.LBB349_193:                            ;   in Loop: Header=BB349_15 Depth=1
	s_or_b32 exec_lo, exec_lo, s21
.LBB349_194:                            ;   in Loop: Header=BB349_15 Depth=1
	s_or_b32 exec_lo, exec_lo, s20
	v_and_b32_sdwa v0, v28, v84 dst_sel:DWORD dst_unused:UNUSED_PAD src0_sel:WORD_1 src1_sel:DWORD
	v_mov_b32_e32 v47, 0
	v_mov_b32_e32 v56, 0
	s_mov_b32 s20, exec_lo
	v_cmpx_ne_u16_e32 0, v0
	s_cbranch_execz .LBB349_202
; %bb.195:                              ;   in Loop: Header=BB349_15 Depth=1
	v_bfrev_b32_e32 v56, 1
	s_mov_b32 s21, exec_lo
	v_cmpx_ne_u16_e32 0x80, v0
	s_cbranch_execz .LBB349_201
; %bb.196:                              ;   in Loop: Header=BB349_15 Depth=1
	v_bfe_u32 v1, v28, 16, 7
	v_mov_b32_e32 v56, 0x7f800001
	s_mov_b32 s22, exec_lo
	v_cmpx_ne_u32_e32 0x7f, v1
	s_cbranch_execz .LBB349_200
; %bb.197:                              ;   in Loop: Header=BB349_15 Depth=1
	v_mov_b32_e32 v0, 7
	s_mov_b32 s23, exec_lo
	v_and_b32_sdwa v13, v28, v0 dst_sel:DWORD dst_unused:UNUSED_PAD src0_sel:WORD_1 src1_sel:DWORD
	v_mov_b32_e32 v30, v14
	v_lshrrev_b32_e32 v0, 3, v1
	v_mov_b32_e32 v29, v13
	v_cmpx_gt_u32_e32 8, v1
; %bb.198:                              ;   in Loop: Header=BB349_15 Depth=1
	v_ffbh_u32_e32 v0, v13
	v_min_u32_e32 v0, 32, v0
	v_subrev_nc_u32_e32 v1, 28, v0
	v_sub_nc_u32_e32 v0, 29, v0
	v_lshlrev_b64 v[1:2], v1, v[13:14]
	v_and_b32_e32 v29, 7, v1
; %bb.199:                              ;   in Loop: Header=BB349_15 Depth=1
	s_or_b32 exec_lo, exec_lo, s23
	v_lshlrev_b32_sdwa v1, v86, v28 dst_sel:DWORD dst_unused:UNUSED_PAD src0_sel:DWORD src1_sel:WORD_1
	v_lshlrev_b32_e32 v2, 20, v29
	v_lshl_add_u32 v0, v0, 23, 0x3c000000
	v_and_b32_e32 v1, 0x80000000, v1
	v_or3_b32 v56, v2, v1, v0
.LBB349_200:                            ;   in Loop: Header=BB349_15 Depth=1
	s_or_b32 exec_lo, exec_lo, s22
.LBB349_201:                            ;   in Loop: Header=BB349_15 Depth=1
	s_or_b32 exec_lo, exec_lo, s21
.LBB349_202:                            ;   in Loop: Header=BB349_15 Depth=1
	s_or_b32 exec_lo, exec_lo, s20
	s_mov_b32 s20, exec_lo
	v_cmpx_lt_u64_e64 s[12:13], v[27:28]
	s_cbranch_execz .LBB349_210
; %bb.203:                              ;   in Loop: Header=BB349_15 Depth=1
	v_cmp_ne_u32_sdwa s5, v28, v82 src0_sel:BYTE_3 src1_sel:DWORD
	v_bfrev_b32_e32 v47, 1
	s_and_saveexec_b32 s21, s5
	s_cbranch_execz .LBB349_209
; %bb.204:                              ;   in Loop: Header=BB349_15 Depth=1
	v_bfe_u32 v1, v28, 24, 7
	v_mov_b32_e32 v47, 0x7f800001
	s_mov_b32 s22, exec_lo
	v_cmpx_ne_u32_e32 0x7f, v1
	s_cbranch_execz .LBB349_208
; %bb.205:                              ;   in Loop: Header=BB349_15 Depth=1
	v_mov_b32_e32 v0, 7
	s_mov_b32 s23, exec_lo
	v_and_b32_sdwa v13, v28, v0 dst_sel:DWORD dst_unused:UNUSED_PAD src0_sel:BYTE_3 src1_sel:DWORD
	v_mov_b32_e32 v30, v14
	v_lshrrev_b32_e32 v0, 3, v1
	v_mov_b32_e32 v29, v13
	v_cmpx_gt_u32_e32 8, v1
; %bb.206:                              ;   in Loop: Header=BB349_15 Depth=1
	v_ffbh_u32_e32 v0, v13
	v_min_u32_e32 v0, 32, v0
	v_subrev_nc_u32_e32 v1, 28, v0
	v_sub_nc_u32_e32 v0, 29, v0
	v_lshlrev_b64 v[1:2], v1, v[13:14]
	v_and_b32_e32 v29, 7, v1
; %bb.207:                              ;   in Loop: Header=BB349_15 Depth=1
	s_or_b32 exec_lo, exec_lo, s23
	v_lshlrev_b32_sdwa v1, v86, v28 dst_sel:DWORD dst_unused:UNUSED_PAD src0_sel:DWORD src1_sel:BYTE_3
	v_lshlrev_b32_e32 v2, 20, v29
	v_lshl_add_u32 v0, v0, 23, 0x3c000000
	v_and_b32_e32 v1, 0x80000000, v1
	v_or3_b32 v47, v2, v1, v0
.LBB349_208:                            ;   in Loop: Header=BB349_15 Depth=1
	s_or_b32 exec_lo, exec_lo, s22
.LBB349_209:                            ;   in Loop: Header=BB349_15 Depth=1
	s_or_b32 exec_lo, exec_lo, s21
.LBB349_210:                            ;   in Loop: Header=BB349_15 Depth=1
	s_or_b32 exec_lo, exec_lo, s20
	flat_load_dwordx2 v[27:28], v[24:25] offset:520
	v_mov_b32_e32 v58, 0
	v_mov_b32_e32 v57, 0
	s_waitcnt vmcnt(0) lgkmcnt(0)
	v_cmp_ne_u16_sdwa s5, v27, v14 src0_sel:BYTE_0 src1_sel:DWORD
	s_and_saveexec_b32 s20, s5
	s_cbranch_execz .LBB349_218
; %bb.211:                              ;   in Loop: Header=BB349_15 Depth=1
	v_cmp_ne_u16_sdwa s5, v27, v82 src0_sel:BYTE_0 src1_sel:DWORD
	v_bfrev_b32_e32 v57, 1
	s_and_saveexec_b32 s21, s5
	s_cbranch_execz .LBB349_217
; %bb.212:                              ;   in Loop: Header=BB349_15 Depth=1
	v_and_b32_e32 v1, 0x7f, v27
	v_mov_b32_e32 v57, 0x7f800001
	s_mov_b32 s22, exec_lo
	v_cmpx_ne_u32_e32 0x7f, v1
	s_cbranch_execz .LBB349_216
; %bb.213:                              ;   in Loop: Header=BB349_15 Depth=1
	v_mov_b32_e32 v30, v28
	v_lshrrev_b32_e32 v0, 3, v1
	v_mov_b32_e32 v29, v27
	s_mov_b32 s23, exec_lo
	v_cmpx_gt_u32_e32 8, v1
; %bb.214:                              ;   in Loop: Header=BB349_15 Depth=1
	v_and_b32_e32 v0, 7, v27
	v_ffbh_u32_e32 v0, v0
	v_min_u32_e32 v0, 32, v0
	v_subrev_nc_u32_e32 v1, 28, v0
	v_sub_nc_u32_e32 v0, 29, v0
	v_lshlrev_b64 v[29:30], v1, v[27:28]
; %bb.215:                              ;   in Loop: Header=BB349_15 Depth=1
	s_or_b32 exec_lo, exec_lo, s23
	v_lshlrev_b32_e32 v1, 20, v29
	v_lshlrev_b32_e32 v2, 24, v27
	v_lshl_add_u32 v0, v0, 23, 0x3c000000
	v_and_b32_e32 v1, 0x700000, v1
	v_and_b32_e32 v2, 0x80000000, v2
	v_or3_b32 v57, v1, v2, v0
.LBB349_216:                            ;   in Loop: Header=BB349_15 Depth=1
	s_or_b32 exec_lo, exec_lo, s22
.LBB349_217:                            ;   in Loop: Header=BB349_15 Depth=1
	s_or_b32 exec_lo, exec_lo, s21
.LBB349_218:                            ;   in Loop: Header=BB349_15 Depth=1
	s_or_b32 exec_lo, exec_lo, s20
	v_cmp_ne_u16_sdwa s5, v27, v14 src0_sel:BYTE_1 src1_sel:DWORD
	s_and_saveexec_b32 s20, s5
	s_cbranch_execz .LBB349_226
; %bb.219:                              ;   in Loop: Header=BB349_15 Depth=1
	v_cmp_ne_u16_sdwa s5, v27, v82 src0_sel:BYTE_1 src1_sel:DWORD
	v_bfrev_b32_e32 v58, 1
	s_and_saveexec_b32 s21, s5
	s_cbranch_execz .LBB349_225
; %bb.220:                              ;   in Loop: Header=BB349_15 Depth=1
	v_mov_b32_e32 v0, 0xffff
	v_mov_b32_e32 v58, 0x7f800001
	s_mov_b32 s22, exec_lo
	v_and_b32_sdwa v0, v0, v27 dst_sel:DWORD dst_unused:UNUSED_PAD src0_sel:DWORD src1_sel:BYTE_1
	v_and_b32_e32 v1, 0x7f, v0
	v_cmpx_ne_u32_e32 0x7f, v1
	s_cbranch_execz .LBB349_224
; %bb.221:                              ;   in Loop: Header=BB349_15 Depth=1
	v_and_b32_e32 v13, 7, v0
	v_mov_b32_e32 v30, v14
	v_lshrrev_b32_e32 v0, 3, v1
	s_mov_b32 s23, exec_lo
	v_mov_b32_e32 v29, v13
	v_cmpx_gt_u32_e32 8, v1
; %bb.222:                              ;   in Loop: Header=BB349_15 Depth=1
	v_ffbh_u32_e32 v0, v13
	v_min_u32_e32 v0, 32, v0
	v_subrev_nc_u32_e32 v1, 28, v0
	v_sub_nc_u32_e32 v0, 29, v0
	v_lshlrev_b64 v[1:2], v1, v[13:14]
	v_and_b32_e32 v29, 7, v1
; %bb.223:                              ;   in Loop: Header=BB349_15 Depth=1
	s_or_b32 exec_lo, exec_lo, s23
	v_lshlrev_b32_e32 v1, 16, v27
	v_lshlrev_b32_e32 v2, 20, v29
	v_lshl_add_u32 v0, v0, 23, 0x3c000000
	v_and_b32_e32 v1, 0x80000000, v1
	v_or3_b32 v58, v2, v1, v0
.LBB349_224:                            ;   in Loop: Header=BB349_15 Depth=1
	s_or_b32 exec_lo, exec_lo, s22
.LBB349_225:                            ;   in Loop: Header=BB349_15 Depth=1
	s_or_b32 exec_lo, exec_lo, s21
.LBB349_226:                            ;   in Loop: Header=BB349_15 Depth=1
	s_or_b32 exec_lo, exec_lo, s20
	v_and_b32_sdwa v0, v27, v84 dst_sel:DWORD dst_unused:UNUSED_PAD src0_sel:WORD_1 src1_sel:DWORD
	v_mov_b32_e32 v60, 0
	v_mov_b32_e32 v59, 0
	s_mov_b32 s20, exec_lo
	v_cmpx_ne_u16_e32 0, v0
	s_cbranch_execz .LBB349_234
; %bb.227:                              ;   in Loop: Header=BB349_15 Depth=1
	v_bfrev_b32_e32 v59, 1
	s_mov_b32 s21, exec_lo
	v_cmpx_ne_u16_e32 0x80, v0
	s_cbranch_execz .LBB349_233
; %bb.228:                              ;   in Loop: Header=BB349_15 Depth=1
	v_bfe_u32 v1, v27, 16, 7
	v_mov_b32_e32 v59, 0x7f800001
	s_mov_b32 s22, exec_lo
	v_cmpx_ne_u32_e32 0x7f, v1
	s_cbranch_execz .LBB349_232
; %bb.229:                              ;   in Loop: Header=BB349_15 Depth=1
	v_mov_b32_e32 v0, 7
	s_mov_b32 s23, exec_lo
	v_and_b32_sdwa v13, v27, v0 dst_sel:DWORD dst_unused:UNUSED_PAD src0_sel:WORD_1 src1_sel:DWORD
	v_mov_b32_e32 v30, v14
	v_lshrrev_b32_e32 v0, 3, v1
	v_mov_b32_e32 v29, v13
	v_cmpx_gt_u32_e32 8, v1
; %bb.230:                              ;   in Loop: Header=BB349_15 Depth=1
	v_ffbh_u32_e32 v0, v13
	v_min_u32_e32 v0, 32, v0
	v_subrev_nc_u32_e32 v1, 28, v0
	v_sub_nc_u32_e32 v0, 29, v0
	v_lshlrev_b64 v[1:2], v1, v[13:14]
	v_and_b32_e32 v29, 7, v1
; %bb.231:                              ;   in Loop: Header=BB349_15 Depth=1
	s_or_b32 exec_lo, exec_lo, s23
	v_lshlrev_b32_sdwa v1, v86, v27 dst_sel:DWORD dst_unused:UNUSED_PAD src0_sel:DWORD src1_sel:WORD_1
	v_lshlrev_b32_e32 v2, 20, v29
	v_lshl_add_u32 v0, v0, 23, 0x3c000000
	v_and_b32_e32 v1, 0x80000000, v1
	v_or3_b32 v59, v2, v1, v0
.LBB349_232:                            ;   in Loop: Header=BB349_15 Depth=1
	s_or_b32 exec_lo, exec_lo, s22
.LBB349_233:                            ;   in Loop: Header=BB349_15 Depth=1
	s_or_b32 exec_lo, exec_lo, s21
.LBB349_234:                            ;   in Loop: Header=BB349_15 Depth=1
	s_or_b32 exec_lo, exec_lo, s20
	s_mov_b32 s20, exec_lo
	v_cmpx_lt_u32_e32 0xffffff, v27
	s_cbranch_execz .LBB349_242
; %bb.235:                              ;   in Loop: Header=BB349_15 Depth=1
	v_cmp_ne_u32_sdwa s5, v27, v82 src0_sel:BYTE_3 src1_sel:DWORD
	v_bfrev_b32_e32 v60, 1
	s_and_saveexec_b32 s21, s5
	s_cbranch_execz .LBB349_241
; %bb.236:                              ;   in Loop: Header=BB349_15 Depth=1
	v_bfe_u32 v1, v27, 24, 7
	v_mov_b32_e32 v60, 0x7f800001
	s_mov_b32 s22, exec_lo
	v_cmpx_ne_u32_e32 0x7f, v1
	s_cbranch_execz .LBB349_240
; %bb.237:                              ;   in Loop: Header=BB349_15 Depth=1
	v_mov_b32_e32 v0, 7
	s_mov_b32 s23, exec_lo
	v_and_b32_sdwa v13, v27, v0 dst_sel:DWORD dst_unused:UNUSED_PAD src0_sel:BYTE_3 src1_sel:DWORD
	v_mov_b32_e32 v30, v14
	v_lshrrev_b32_e32 v0, 3, v1
	v_mov_b32_e32 v29, v13
	v_cmpx_gt_u32_e32 8, v1
; %bb.238:                              ;   in Loop: Header=BB349_15 Depth=1
	v_ffbh_u32_e32 v0, v13
	v_min_u32_e32 v0, 32, v0
	v_subrev_nc_u32_e32 v1, 28, v0
	v_sub_nc_u32_e32 v0, 29, v0
	v_lshlrev_b64 v[1:2], v1, v[13:14]
	v_and_b32_e32 v29, 7, v1
; %bb.239:                              ;   in Loop: Header=BB349_15 Depth=1
	s_or_b32 exec_lo, exec_lo, s23
	v_lshlrev_b32_sdwa v1, v86, v27 dst_sel:DWORD dst_unused:UNUSED_PAD src0_sel:DWORD src1_sel:BYTE_3
	v_lshlrev_b32_e32 v2, 20, v29
	v_lshl_add_u32 v0, v0, 23, 0x3c000000
	v_and_b32_e32 v1, 0x80000000, v1
	v_or3_b32 v60, v2, v1, v0
.LBB349_240:                            ;   in Loop: Header=BB349_15 Depth=1
	s_or_b32 exec_lo, exec_lo, s22
.LBB349_241:                            ;   in Loop: Header=BB349_15 Depth=1
	s_or_b32 exec_lo, exec_lo, s21
.LBB349_242:                            ;   in Loop: Header=BB349_15 Depth=1
	s_or_b32 exec_lo, exec_lo, s20
	v_mov_b32_e32 v13, v28
	v_cmp_ne_u16_sdwa s5, v28, v14 src0_sel:BYTE_0 src1_sel:DWORD
	v_mov_b32_e32 v62, 0
	v_mov_b32_e32 v61, 0
	s_and_saveexec_b32 s20, s5
	s_cbranch_execz .LBB349_250
; %bb.243:                              ;   in Loop: Header=BB349_15 Depth=1
	v_cmp_ne_u16_sdwa s5, v28, v82 src0_sel:BYTE_0 src1_sel:DWORD
	v_bfrev_b32_e32 v61, 1
	s_and_saveexec_b32 s21, s5
	s_cbranch_execz .LBB349_249
; %bb.244:                              ;   in Loop: Header=BB349_15 Depth=1
	v_and_b32_e32 v1, 0x7f, v28
	v_mov_b32_e32 v61, 0x7f800001
	s_mov_b32 s22, exec_lo
	v_cmpx_ne_u32_e32 0x7f, v1
	s_cbranch_execz .LBB349_248
; %bb.245:                              ;   in Loop: Header=BB349_15 Depth=1
	v_mov_b32_e32 v30, v14
	v_lshrrev_b32_e32 v0, 3, v1
	v_mov_b32_e32 v29, v13
	s_mov_b32 s23, exec_lo
	v_cmpx_gt_u32_e32 8, v1
; %bb.246:                              ;   in Loop: Header=BB349_15 Depth=1
	v_and_b32_e32 v0, 7, v28
	v_ffbh_u32_e32 v0, v0
	v_min_u32_e32 v0, 32, v0
	v_subrev_nc_u32_e32 v1, 28, v0
	v_sub_nc_u32_e32 v0, 29, v0
	v_lshlrev_b64 v[29:30], v1, v[13:14]
; %bb.247:                              ;   in Loop: Header=BB349_15 Depth=1
	s_or_b32 exec_lo, exec_lo, s23
	v_lshlrev_b32_e32 v1, 20, v29
	v_lshlrev_b32_e32 v2, 24, v13
	v_lshl_add_u32 v0, v0, 23, 0x3c000000
	v_and_b32_e32 v1, 0x700000, v1
	v_and_b32_e32 v2, 0x80000000, v2
	v_or3_b32 v61, v1, v2, v0
.LBB349_248:                            ;   in Loop: Header=BB349_15 Depth=1
	s_or_b32 exec_lo, exec_lo, s22
.LBB349_249:                            ;   in Loop: Header=BB349_15 Depth=1
	s_or_b32 exec_lo, exec_lo, s21
.LBB349_250:                            ;   in Loop: Header=BB349_15 Depth=1
	s_or_b32 exec_lo, exec_lo, s20
	v_cmp_ne_u16_sdwa s5, v13, v14 src0_sel:BYTE_1 src1_sel:DWORD
	s_and_saveexec_b32 s20, s5
	s_cbranch_execz .LBB349_258
; %bb.251:                              ;   in Loop: Header=BB349_15 Depth=1
	v_cmp_ne_u16_sdwa s5, v13, v82 src0_sel:BYTE_1 src1_sel:DWORD
	v_bfrev_b32_e32 v62, 1
	s_and_saveexec_b32 s21, s5
	s_cbranch_execz .LBB349_257
; %bb.252:                              ;   in Loop: Header=BB349_15 Depth=1
	v_mov_b32_e32 v0, 0xffff
	v_mov_b32_e32 v62, 0x7f800001
	s_mov_b32 s22, exec_lo
	v_and_b32_sdwa v0, v0, v13 dst_sel:DWORD dst_unused:UNUSED_PAD src0_sel:DWORD src1_sel:BYTE_1
	v_and_b32_e32 v1, 0x7f, v0
	v_cmpx_ne_u32_e32 0x7f, v1
	s_cbranch_execz .LBB349_256
; %bb.253:                              ;   in Loop: Header=BB349_15 Depth=1
	v_and_b32_e32 v29, 7, v0
	v_mov_b32_e32 v30, v14
	v_lshrrev_b32_e32 v0, 3, v1
	s_mov_b32 s23, exec_lo
	v_cmpx_gt_u32_e32 8, v1
; %bb.254:                              ;   in Loop: Header=BB349_15 Depth=1
	v_ffbh_u32_e32 v0, v29
	v_min_u32_e32 v0, 32, v0
	v_subrev_nc_u32_e32 v1, 28, v0
	v_sub_nc_u32_e32 v0, 29, v0
	v_lshlrev_b64 v[1:2], v1, v[29:30]
	v_and_b32_e32 v29, 7, v1
; %bb.255:                              ;   in Loop: Header=BB349_15 Depth=1
	s_or_b32 exec_lo, exec_lo, s23
	v_lshlrev_b32_e32 v1, 16, v13
	v_lshlrev_b32_e32 v2, 20, v29
	v_lshl_add_u32 v0, v0, 23, 0x3c000000
	v_and_b32_e32 v1, 0x80000000, v1
	v_or3_b32 v62, v2, v1, v0
.LBB349_256:                            ;   in Loop: Header=BB349_15 Depth=1
	s_or_b32 exec_lo, exec_lo, s22
.LBB349_257:                            ;   in Loop: Header=BB349_15 Depth=1
	s_or_b32 exec_lo, exec_lo, s21
.LBB349_258:                            ;   in Loop: Header=BB349_15 Depth=1
	s_or_b32 exec_lo, exec_lo, s20
	v_and_b32_sdwa v0, v28, v84 dst_sel:DWORD dst_unused:UNUSED_PAD src0_sel:WORD_1 src1_sel:DWORD
	v_mov_b32_e32 v63, 0
	v_mov_b32_e32 v72, 0
	s_mov_b32 s20, exec_lo
	v_cmpx_ne_u16_e32 0, v0
	s_cbranch_execz .LBB349_266
; %bb.259:                              ;   in Loop: Header=BB349_15 Depth=1
	v_bfrev_b32_e32 v72, 1
	s_mov_b32 s21, exec_lo
	v_cmpx_ne_u16_e32 0x80, v0
	s_cbranch_execz .LBB349_265
; %bb.260:                              ;   in Loop: Header=BB349_15 Depth=1
	v_bfe_u32 v1, v28, 16, 7
	v_mov_b32_e32 v72, 0x7f800001
	s_mov_b32 s22, exec_lo
	v_cmpx_ne_u32_e32 0x7f, v1
	s_cbranch_execz .LBB349_264
; %bb.261:                              ;   in Loop: Header=BB349_15 Depth=1
	v_mov_b32_e32 v0, 7
	s_mov_b32 s23, exec_lo
	v_and_b32_sdwa v13, v28, v0 dst_sel:DWORD dst_unused:UNUSED_PAD src0_sel:WORD_1 src1_sel:DWORD
	v_mov_b32_e32 v30, v14
	v_lshrrev_b32_e32 v0, 3, v1
	v_mov_b32_e32 v29, v13
	v_cmpx_gt_u32_e32 8, v1
; %bb.262:                              ;   in Loop: Header=BB349_15 Depth=1
	v_ffbh_u32_e32 v0, v13
	v_min_u32_e32 v0, 32, v0
	v_subrev_nc_u32_e32 v1, 28, v0
	v_sub_nc_u32_e32 v0, 29, v0
	v_lshlrev_b64 v[1:2], v1, v[13:14]
	v_and_b32_e32 v29, 7, v1
; %bb.263:                              ;   in Loop: Header=BB349_15 Depth=1
	s_or_b32 exec_lo, exec_lo, s23
	v_lshlrev_b32_sdwa v1, v86, v28 dst_sel:DWORD dst_unused:UNUSED_PAD src0_sel:DWORD src1_sel:WORD_1
	v_lshlrev_b32_e32 v2, 20, v29
	v_lshl_add_u32 v0, v0, 23, 0x3c000000
	v_and_b32_e32 v1, 0x80000000, v1
	v_or3_b32 v72, v2, v1, v0
.LBB349_264:                            ;   in Loop: Header=BB349_15 Depth=1
	s_or_b32 exec_lo, exec_lo, s22
.LBB349_265:                            ;   in Loop: Header=BB349_15 Depth=1
	s_or_b32 exec_lo, exec_lo, s21
.LBB349_266:                            ;   in Loop: Header=BB349_15 Depth=1
	s_or_b32 exec_lo, exec_lo, s20
	s_mov_b32 s20, exec_lo
	v_cmpx_lt_u64_e64 s[12:13], v[27:28]
	s_cbranch_execz .LBB349_274
; %bb.267:                              ;   in Loop: Header=BB349_15 Depth=1
	v_cmp_ne_u32_sdwa s5, v28, v82 src0_sel:BYTE_3 src1_sel:DWORD
	v_bfrev_b32_e32 v63, 1
	s_and_saveexec_b32 s21, s5
	s_cbranch_execz .LBB349_273
; %bb.268:                              ;   in Loop: Header=BB349_15 Depth=1
	v_bfe_u32 v1, v28, 24, 7
	v_mov_b32_e32 v63, 0x7f800001
	s_mov_b32 s22, exec_lo
	v_cmpx_ne_u32_e32 0x7f, v1
	s_cbranch_execz .LBB349_272
; %bb.269:                              ;   in Loop: Header=BB349_15 Depth=1
	v_mov_b32_e32 v0, 7
	s_mov_b32 s23, exec_lo
	v_and_b32_sdwa v13, v28, v0 dst_sel:DWORD dst_unused:UNUSED_PAD src0_sel:BYTE_3 src1_sel:DWORD
	v_mov_b32_e32 v30, v14
	v_lshrrev_b32_e32 v0, 3, v1
	v_mov_b32_e32 v29, v13
	v_cmpx_gt_u32_e32 8, v1
; %bb.270:                              ;   in Loop: Header=BB349_15 Depth=1
	v_ffbh_u32_e32 v0, v13
	v_min_u32_e32 v0, 32, v0
	v_subrev_nc_u32_e32 v1, 28, v0
	v_sub_nc_u32_e32 v0, 29, v0
	v_lshlrev_b64 v[1:2], v1, v[13:14]
	v_and_b32_e32 v29, 7, v1
; %bb.271:                              ;   in Loop: Header=BB349_15 Depth=1
	s_or_b32 exec_lo, exec_lo, s23
	v_lshlrev_b32_sdwa v1, v86, v28 dst_sel:DWORD dst_unused:UNUSED_PAD src0_sel:DWORD src1_sel:BYTE_3
	v_lshlrev_b32_e32 v2, 20, v29
	v_lshl_add_u32 v0, v0, 23, 0x3c000000
	v_and_b32_e32 v1, 0x80000000, v1
	v_or3_b32 v63, v2, v1, v0
.LBB349_272:                            ;   in Loop: Header=BB349_15 Depth=1
	s_or_b32 exec_lo, exec_lo, s22
.LBB349_273:                            ;   in Loop: Header=BB349_15 Depth=1
	s_or_b32 exec_lo, exec_lo, s21
.LBB349_274:                            ;   in Loop: Header=BB349_15 Depth=1
	s_or_b32 exec_lo, exec_lo, s20
	flat_load_dwordx2 v[27:28], v[24:25] offset:1024
	v_mov_b32_e32 v74, 0
	v_mov_b32_e32 v73, 0
	s_waitcnt vmcnt(0) lgkmcnt(0)
	v_cmp_ne_u16_sdwa s5, v27, v14 src0_sel:BYTE_0 src1_sel:DWORD
	s_and_saveexec_b32 s20, s5
	s_cbranch_execz .LBB349_282
; %bb.275:                              ;   in Loop: Header=BB349_15 Depth=1
	v_cmp_ne_u16_sdwa s5, v27, v82 src0_sel:BYTE_0 src1_sel:DWORD
	v_bfrev_b32_e32 v73, 1
	s_and_saveexec_b32 s21, s5
	s_cbranch_execz .LBB349_281
; %bb.276:                              ;   in Loop: Header=BB349_15 Depth=1
	v_and_b32_e32 v1, 0x7f, v27
	v_mov_b32_e32 v73, 0x7f800001
	s_mov_b32 s22, exec_lo
	v_cmpx_ne_u32_e32 0x7f, v1
	s_cbranch_execz .LBB349_280
; %bb.277:                              ;   in Loop: Header=BB349_15 Depth=1
	v_mov_b32_e32 v30, v28
	v_lshrrev_b32_e32 v0, 3, v1
	v_mov_b32_e32 v29, v27
	s_mov_b32 s23, exec_lo
	v_cmpx_gt_u32_e32 8, v1
; %bb.278:                              ;   in Loop: Header=BB349_15 Depth=1
	v_and_b32_e32 v0, 7, v27
	v_ffbh_u32_e32 v0, v0
	v_min_u32_e32 v0, 32, v0
	v_subrev_nc_u32_e32 v1, 28, v0
	v_sub_nc_u32_e32 v0, 29, v0
	v_lshlrev_b64 v[29:30], v1, v[27:28]
; %bb.279:                              ;   in Loop: Header=BB349_15 Depth=1
	s_or_b32 exec_lo, exec_lo, s23
	v_lshlrev_b32_e32 v1, 20, v29
	v_lshlrev_b32_e32 v2, 24, v27
	v_lshl_add_u32 v0, v0, 23, 0x3c000000
	v_and_b32_e32 v1, 0x700000, v1
	v_and_b32_e32 v2, 0x80000000, v2
	v_or3_b32 v73, v1, v2, v0
.LBB349_280:                            ;   in Loop: Header=BB349_15 Depth=1
	s_or_b32 exec_lo, exec_lo, s22
.LBB349_281:                            ;   in Loop: Header=BB349_15 Depth=1
	s_or_b32 exec_lo, exec_lo, s21
.LBB349_282:                            ;   in Loop: Header=BB349_15 Depth=1
	s_or_b32 exec_lo, exec_lo, s20
	v_cmp_ne_u16_sdwa s5, v27, v14 src0_sel:BYTE_1 src1_sel:DWORD
	s_and_saveexec_b32 s20, s5
	s_cbranch_execz .LBB349_290
; %bb.283:                              ;   in Loop: Header=BB349_15 Depth=1
	v_cmp_ne_u16_sdwa s5, v27, v82 src0_sel:BYTE_1 src1_sel:DWORD
	v_bfrev_b32_e32 v74, 1
	s_and_saveexec_b32 s21, s5
	s_cbranch_execz .LBB349_289
; %bb.284:                              ;   in Loop: Header=BB349_15 Depth=1
	v_mov_b32_e32 v0, 0xffff
	v_mov_b32_e32 v74, 0x7f800001
	s_mov_b32 s22, exec_lo
	v_and_b32_sdwa v0, v0, v27 dst_sel:DWORD dst_unused:UNUSED_PAD src0_sel:DWORD src1_sel:BYTE_1
	v_and_b32_e32 v1, 0x7f, v0
	v_cmpx_ne_u32_e32 0x7f, v1
	s_cbranch_execz .LBB349_288
; %bb.285:                              ;   in Loop: Header=BB349_15 Depth=1
	v_and_b32_e32 v13, 7, v0
	v_mov_b32_e32 v30, v14
	v_lshrrev_b32_e32 v0, 3, v1
	s_mov_b32 s23, exec_lo
	v_mov_b32_e32 v29, v13
	v_cmpx_gt_u32_e32 8, v1
; %bb.286:                              ;   in Loop: Header=BB349_15 Depth=1
	v_ffbh_u32_e32 v0, v13
	v_min_u32_e32 v0, 32, v0
	v_subrev_nc_u32_e32 v1, 28, v0
	v_sub_nc_u32_e32 v0, 29, v0
	v_lshlrev_b64 v[1:2], v1, v[13:14]
	v_and_b32_e32 v29, 7, v1
; %bb.287:                              ;   in Loop: Header=BB349_15 Depth=1
	s_or_b32 exec_lo, exec_lo, s23
	v_lshlrev_b32_e32 v1, 16, v27
	v_lshlrev_b32_e32 v2, 20, v29
	v_lshl_add_u32 v0, v0, 23, 0x3c000000
	v_and_b32_e32 v1, 0x80000000, v1
	v_or3_b32 v74, v2, v1, v0
.LBB349_288:                            ;   in Loop: Header=BB349_15 Depth=1
	s_or_b32 exec_lo, exec_lo, s22
.LBB349_289:                            ;   in Loop: Header=BB349_15 Depth=1
	s_or_b32 exec_lo, exec_lo, s21
.LBB349_290:                            ;   in Loop: Header=BB349_15 Depth=1
	s_or_b32 exec_lo, exec_lo, s20
	v_and_b32_sdwa v0, v27, v84 dst_sel:DWORD dst_unused:UNUSED_PAD src0_sel:WORD_1 src1_sel:DWORD
	v_mov_b32_e32 v76, 0
	v_mov_b32_e32 v75, 0
	s_mov_b32 s20, exec_lo
	v_cmpx_ne_u16_e32 0, v0
	s_cbranch_execz .LBB349_298
; %bb.291:                              ;   in Loop: Header=BB349_15 Depth=1
	v_bfrev_b32_e32 v75, 1
	s_mov_b32 s21, exec_lo
	v_cmpx_ne_u16_e32 0x80, v0
	s_cbranch_execz .LBB349_297
; %bb.292:                              ;   in Loop: Header=BB349_15 Depth=1
	v_bfe_u32 v1, v27, 16, 7
	v_mov_b32_e32 v75, 0x7f800001
	s_mov_b32 s22, exec_lo
	v_cmpx_ne_u32_e32 0x7f, v1
	s_cbranch_execz .LBB349_296
; %bb.293:                              ;   in Loop: Header=BB349_15 Depth=1
	v_mov_b32_e32 v0, 7
	s_mov_b32 s23, exec_lo
	v_and_b32_sdwa v13, v27, v0 dst_sel:DWORD dst_unused:UNUSED_PAD src0_sel:WORD_1 src1_sel:DWORD
	v_mov_b32_e32 v30, v14
	v_lshrrev_b32_e32 v0, 3, v1
	v_mov_b32_e32 v29, v13
	v_cmpx_gt_u32_e32 8, v1
; %bb.294:                              ;   in Loop: Header=BB349_15 Depth=1
	v_ffbh_u32_e32 v0, v13
	v_min_u32_e32 v0, 32, v0
	v_subrev_nc_u32_e32 v1, 28, v0
	v_sub_nc_u32_e32 v0, 29, v0
	v_lshlrev_b64 v[1:2], v1, v[13:14]
	v_and_b32_e32 v29, 7, v1
; %bb.295:                              ;   in Loop: Header=BB349_15 Depth=1
	s_or_b32 exec_lo, exec_lo, s23
	v_lshlrev_b32_sdwa v1, v86, v27 dst_sel:DWORD dst_unused:UNUSED_PAD src0_sel:DWORD src1_sel:WORD_1
	v_lshlrev_b32_e32 v2, 20, v29
	v_lshl_add_u32 v0, v0, 23, 0x3c000000
	v_and_b32_e32 v1, 0x80000000, v1
	v_or3_b32 v75, v2, v1, v0
.LBB349_296:                            ;   in Loop: Header=BB349_15 Depth=1
	s_or_b32 exec_lo, exec_lo, s22
.LBB349_297:                            ;   in Loop: Header=BB349_15 Depth=1
	s_or_b32 exec_lo, exec_lo, s21
.LBB349_298:                            ;   in Loop: Header=BB349_15 Depth=1
	s_or_b32 exec_lo, exec_lo, s20
	s_mov_b32 s20, exec_lo
	v_cmpx_lt_u32_e32 0xffffff, v27
	s_cbranch_execz .LBB349_306
; %bb.299:                              ;   in Loop: Header=BB349_15 Depth=1
	v_cmp_ne_u32_sdwa s5, v27, v82 src0_sel:BYTE_3 src1_sel:DWORD
	v_bfrev_b32_e32 v76, 1
	s_and_saveexec_b32 s21, s5
	s_cbranch_execz .LBB349_305
; %bb.300:                              ;   in Loop: Header=BB349_15 Depth=1
	v_bfe_u32 v1, v27, 24, 7
	v_mov_b32_e32 v76, 0x7f800001
	s_mov_b32 s22, exec_lo
	v_cmpx_ne_u32_e32 0x7f, v1
	s_cbranch_execz .LBB349_304
; %bb.301:                              ;   in Loop: Header=BB349_15 Depth=1
	v_mov_b32_e32 v0, 7
	s_mov_b32 s23, exec_lo
	v_and_b32_sdwa v13, v27, v0 dst_sel:DWORD dst_unused:UNUSED_PAD src0_sel:BYTE_3 src1_sel:DWORD
	v_mov_b32_e32 v30, v14
	v_lshrrev_b32_e32 v0, 3, v1
	v_mov_b32_e32 v29, v13
	v_cmpx_gt_u32_e32 8, v1
; %bb.302:                              ;   in Loop: Header=BB349_15 Depth=1
	v_ffbh_u32_e32 v0, v13
	v_min_u32_e32 v0, 32, v0
	v_subrev_nc_u32_e32 v1, 28, v0
	v_sub_nc_u32_e32 v0, 29, v0
	v_lshlrev_b64 v[1:2], v1, v[13:14]
	v_and_b32_e32 v29, 7, v1
; %bb.303:                              ;   in Loop: Header=BB349_15 Depth=1
	s_or_b32 exec_lo, exec_lo, s23
	v_lshlrev_b32_sdwa v1, v86, v27 dst_sel:DWORD dst_unused:UNUSED_PAD src0_sel:DWORD src1_sel:BYTE_3
	v_lshlrev_b32_e32 v2, 20, v29
	v_lshl_add_u32 v0, v0, 23, 0x3c000000
	v_and_b32_e32 v1, 0x80000000, v1
	v_or3_b32 v76, v2, v1, v0
.LBB349_304:                            ;   in Loop: Header=BB349_15 Depth=1
	s_or_b32 exec_lo, exec_lo, s22
.LBB349_305:                            ;   in Loop: Header=BB349_15 Depth=1
	s_or_b32 exec_lo, exec_lo, s21
.LBB349_306:                            ;   in Loop: Header=BB349_15 Depth=1
	s_or_b32 exec_lo, exec_lo, s20
	v_mov_b32_e32 v13, v28
	v_cmp_ne_u16_sdwa s5, v28, v14 src0_sel:BYTE_0 src1_sel:DWORD
	v_mov_b32_e32 v78, 0
	v_mov_b32_e32 v77, 0
	s_and_saveexec_b32 s20, s5
	s_cbranch_execz .LBB349_314
; %bb.307:                              ;   in Loop: Header=BB349_15 Depth=1
	v_cmp_ne_u16_sdwa s5, v28, v82 src0_sel:BYTE_0 src1_sel:DWORD
	v_bfrev_b32_e32 v77, 1
	s_and_saveexec_b32 s21, s5
	s_cbranch_execz .LBB349_313
; %bb.308:                              ;   in Loop: Header=BB349_15 Depth=1
	v_and_b32_e32 v1, 0x7f, v28
	v_mov_b32_e32 v77, 0x7f800001
	s_mov_b32 s22, exec_lo
	v_cmpx_ne_u32_e32 0x7f, v1
	s_cbranch_execz .LBB349_312
; %bb.309:                              ;   in Loop: Header=BB349_15 Depth=1
	v_mov_b32_e32 v30, v14
	v_lshrrev_b32_e32 v0, 3, v1
	v_mov_b32_e32 v29, v13
	s_mov_b32 s23, exec_lo
	v_cmpx_gt_u32_e32 8, v1
; %bb.310:                              ;   in Loop: Header=BB349_15 Depth=1
	v_and_b32_e32 v0, 7, v28
	v_ffbh_u32_e32 v0, v0
	v_min_u32_e32 v0, 32, v0
	v_subrev_nc_u32_e32 v1, 28, v0
	v_sub_nc_u32_e32 v0, 29, v0
	v_lshlrev_b64 v[29:30], v1, v[13:14]
; %bb.311:                              ;   in Loop: Header=BB349_15 Depth=1
	s_or_b32 exec_lo, exec_lo, s23
	v_lshlrev_b32_e32 v1, 20, v29
	v_lshlrev_b32_e32 v2, 24, v13
	v_lshl_add_u32 v0, v0, 23, 0x3c000000
	v_and_b32_e32 v1, 0x700000, v1
	v_and_b32_e32 v2, 0x80000000, v2
	v_or3_b32 v77, v1, v2, v0
.LBB349_312:                            ;   in Loop: Header=BB349_15 Depth=1
	s_or_b32 exec_lo, exec_lo, s22
.LBB349_313:                            ;   in Loop: Header=BB349_15 Depth=1
	s_or_b32 exec_lo, exec_lo, s21
.LBB349_314:                            ;   in Loop: Header=BB349_15 Depth=1
	s_or_b32 exec_lo, exec_lo, s20
	v_cmp_ne_u16_sdwa s5, v13, v14 src0_sel:BYTE_1 src1_sel:DWORD
	s_and_saveexec_b32 s20, s5
	s_cbranch_execz .LBB349_322
; %bb.315:                              ;   in Loop: Header=BB349_15 Depth=1
	v_cmp_ne_u16_sdwa s5, v13, v82 src0_sel:BYTE_1 src1_sel:DWORD
	v_bfrev_b32_e32 v78, 1
	s_and_saveexec_b32 s21, s5
	s_cbranch_execz .LBB349_321
; %bb.316:                              ;   in Loop: Header=BB349_15 Depth=1
	v_mov_b32_e32 v0, 0xffff
	v_mov_b32_e32 v78, 0x7f800001
	s_mov_b32 s22, exec_lo
	v_and_b32_sdwa v0, v0, v13 dst_sel:DWORD dst_unused:UNUSED_PAD src0_sel:DWORD src1_sel:BYTE_1
	v_and_b32_e32 v1, 0x7f, v0
	v_cmpx_ne_u32_e32 0x7f, v1
	s_cbranch_execz .LBB349_320
; %bb.317:                              ;   in Loop: Header=BB349_15 Depth=1
	v_and_b32_e32 v29, 7, v0
	v_mov_b32_e32 v30, v14
	v_lshrrev_b32_e32 v0, 3, v1
	s_mov_b32 s23, exec_lo
	v_cmpx_gt_u32_e32 8, v1
; %bb.318:                              ;   in Loop: Header=BB349_15 Depth=1
	v_ffbh_u32_e32 v0, v29
	v_min_u32_e32 v0, 32, v0
	v_subrev_nc_u32_e32 v1, 28, v0
	v_sub_nc_u32_e32 v0, 29, v0
	v_lshlrev_b64 v[1:2], v1, v[29:30]
	v_and_b32_e32 v29, 7, v1
; %bb.319:                              ;   in Loop: Header=BB349_15 Depth=1
	s_or_b32 exec_lo, exec_lo, s23
	v_lshlrev_b32_e32 v1, 16, v13
	v_lshlrev_b32_e32 v2, 20, v29
	v_lshl_add_u32 v0, v0, 23, 0x3c000000
	v_and_b32_e32 v1, 0x80000000, v1
	v_or3_b32 v78, v2, v1, v0
.LBB349_320:                            ;   in Loop: Header=BB349_15 Depth=1
	s_or_b32 exec_lo, exec_lo, s22
.LBB349_321:                            ;   in Loop: Header=BB349_15 Depth=1
	s_or_b32 exec_lo, exec_lo, s21
.LBB349_322:                            ;   in Loop: Header=BB349_15 Depth=1
	s_or_b32 exec_lo, exec_lo, s20
	v_and_b32_sdwa v0, v28, v84 dst_sel:DWORD dst_unused:UNUSED_PAD src0_sel:WORD_1 src1_sel:DWORD
	v_mov_b32_e32 v79, 0
	v_mov_b32_e32 v88, 0
	s_mov_b32 s20, exec_lo
	v_cmpx_ne_u16_e32 0, v0
	s_cbranch_execz .LBB349_330
; %bb.323:                              ;   in Loop: Header=BB349_15 Depth=1
	v_bfrev_b32_e32 v88, 1
	s_mov_b32 s21, exec_lo
	v_cmpx_ne_u16_e32 0x80, v0
	s_cbranch_execz .LBB349_329
; %bb.324:                              ;   in Loop: Header=BB349_15 Depth=1
	v_bfe_u32 v1, v28, 16, 7
	v_mov_b32_e32 v88, 0x7f800001
	s_mov_b32 s22, exec_lo
	v_cmpx_ne_u32_e32 0x7f, v1
	s_cbranch_execz .LBB349_328
; %bb.325:                              ;   in Loop: Header=BB349_15 Depth=1
	v_mov_b32_e32 v0, 7
	s_mov_b32 s23, exec_lo
	v_and_b32_sdwa v13, v28, v0 dst_sel:DWORD dst_unused:UNUSED_PAD src0_sel:WORD_1 src1_sel:DWORD
	v_mov_b32_e32 v30, v14
	v_lshrrev_b32_e32 v0, 3, v1
	v_mov_b32_e32 v29, v13
	v_cmpx_gt_u32_e32 8, v1
; %bb.326:                              ;   in Loop: Header=BB349_15 Depth=1
	v_ffbh_u32_e32 v0, v13
	v_min_u32_e32 v0, 32, v0
	v_subrev_nc_u32_e32 v1, 28, v0
	v_sub_nc_u32_e32 v0, 29, v0
	v_lshlrev_b64 v[1:2], v1, v[13:14]
	v_and_b32_e32 v29, 7, v1
; %bb.327:                              ;   in Loop: Header=BB349_15 Depth=1
	s_or_b32 exec_lo, exec_lo, s23
	v_lshlrev_b32_sdwa v1, v86, v28 dst_sel:DWORD dst_unused:UNUSED_PAD src0_sel:DWORD src1_sel:WORD_1
	v_lshlrev_b32_e32 v2, 20, v29
	v_lshl_add_u32 v0, v0, 23, 0x3c000000
	v_and_b32_e32 v1, 0x80000000, v1
	v_or3_b32 v88, v2, v1, v0
.LBB349_328:                            ;   in Loop: Header=BB349_15 Depth=1
	s_or_b32 exec_lo, exec_lo, s22
.LBB349_329:                            ;   in Loop: Header=BB349_15 Depth=1
	s_or_b32 exec_lo, exec_lo, s21
.LBB349_330:                            ;   in Loop: Header=BB349_15 Depth=1
	s_or_b32 exec_lo, exec_lo, s20
	s_mov_b32 s20, exec_lo
	v_cmpx_lt_u64_e64 s[12:13], v[27:28]
	s_cbranch_execz .LBB349_338
; %bb.331:                              ;   in Loop: Header=BB349_15 Depth=1
	v_cmp_ne_u32_sdwa s5, v28, v82 src0_sel:BYTE_3 src1_sel:DWORD
	v_bfrev_b32_e32 v79, 1
	s_and_saveexec_b32 s21, s5
	s_cbranch_execz .LBB349_337
; %bb.332:                              ;   in Loop: Header=BB349_15 Depth=1
	v_bfe_u32 v1, v28, 24, 7
	v_mov_b32_e32 v79, 0x7f800001
	s_mov_b32 s22, exec_lo
	v_cmpx_ne_u32_e32 0x7f, v1
	s_cbranch_execz .LBB349_336
; %bb.333:                              ;   in Loop: Header=BB349_15 Depth=1
	v_mov_b32_e32 v0, 7
	s_mov_b32 s23, exec_lo
	v_and_b32_sdwa v13, v28, v0 dst_sel:DWORD dst_unused:UNUSED_PAD src0_sel:BYTE_3 src1_sel:DWORD
	v_mov_b32_e32 v30, v14
	v_lshrrev_b32_e32 v0, 3, v1
	v_mov_b32_e32 v29, v13
	v_cmpx_gt_u32_e32 8, v1
; %bb.334:                              ;   in Loop: Header=BB349_15 Depth=1
	v_ffbh_u32_e32 v0, v13
	v_min_u32_e32 v0, 32, v0
	v_subrev_nc_u32_e32 v1, 28, v0
	v_sub_nc_u32_e32 v0, 29, v0
	v_lshlrev_b64 v[1:2], v1, v[13:14]
	v_and_b32_e32 v29, 7, v1
; %bb.335:                              ;   in Loop: Header=BB349_15 Depth=1
	s_or_b32 exec_lo, exec_lo, s23
	v_lshlrev_b32_sdwa v1, v86, v28 dst_sel:DWORD dst_unused:UNUSED_PAD src0_sel:DWORD src1_sel:BYTE_3
	v_lshlrev_b32_e32 v2, 20, v29
	v_lshl_add_u32 v0, v0, 23, 0x3c000000
	v_and_b32_e32 v1, 0x80000000, v1
	v_or3_b32 v79, v2, v1, v0
.LBB349_336:                            ;   in Loop: Header=BB349_15 Depth=1
	s_or_b32 exec_lo, exec_lo, s22
.LBB349_337:                            ;   in Loop: Header=BB349_15 Depth=1
	s_or_b32 exec_lo, exec_lo, s21
.LBB349_338:                            ;   in Loop: Header=BB349_15 Depth=1
	s_or_b32 exec_lo, exec_lo, s20
	flat_load_dwordx2 v[27:28], v[24:25] offset:1032
	v_mov_b32_e32 v90, 0
	v_mov_b32_e32 v89, 0
	s_waitcnt vmcnt(0) lgkmcnt(0)
	v_cmp_ne_u16_sdwa s5, v27, v14 src0_sel:BYTE_0 src1_sel:DWORD
	s_and_saveexec_b32 s20, s5
	s_cbranch_execz .LBB349_346
; %bb.339:                              ;   in Loop: Header=BB349_15 Depth=1
	v_cmp_ne_u16_sdwa s5, v27, v82 src0_sel:BYTE_0 src1_sel:DWORD
	v_bfrev_b32_e32 v89, 1
	s_and_saveexec_b32 s21, s5
	s_cbranch_execz .LBB349_345
; %bb.340:                              ;   in Loop: Header=BB349_15 Depth=1
	v_and_b32_e32 v1, 0x7f, v27
	v_mov_b32_e32 v89, 0x7f800001
	s_mov_b32 s22, exec_lo
	v_cmpx_ne_u32_e32 0x7f, v1
	s_cbranch_execz .LBB349_344
; %bb.341:                              ;   in Loop: Header=BB349_15 Depth=1
	v_mov_b32_e32 v30, v28
	v_lshrrev_b32_e32 v0, 3, v1
	v_mov_b32_e32 v29, v27
	s_mov_b32 s23, exec_lo
	v_cmpx_gt_u32_e32 8, v1
; %bb.342:                              ;   in Loop: Header=BB349_15 Depth=1
	v_and_b32_e32 v0, 7, v27
	v_ffbh_u32_e32 v0, v0
	v_min_u32_e32 v0, 32, v0
	v_subrev_nc_u32_e32 v1, 28, v0
	v_sub_nc_u32_e32 v0, 29, v0
	v_lshlrev_b64 v[29:30], v1, v[27:28]
; %bb.343:                              ;   in Loop: Header=BB349_15 Depth=1
	s_or_b32 exec_lo, exec_lo, s23
	v_lshlrev_b32_e32 v1, 20, v29
	v_lshlrev_b32_e32 v2, 24, v27
	v_lshl_add_u32 v0, v0, 23, 0x3c000000
	v_and_b32_e32 v1, 0x700000, v1
	v_and_b32_e32 v2, 0x80000000, v2
	v_or3_b32 v89, v1, v2, v0
.LBB349_344:                            ;   in Loop: Header=BB349_15 Depth=1
	s_or_b32 exec_lo, exec_lo, s22
.LBB349_345:                            ;   in Loop: Header=BB349_15 Depth=1
	s_or_b32 exec_lo, exec_lo, s21
.LBB349_346:                            ;   in Loop: Header=BB349_15 Depth=1
	s_or_b32 exec_lo, exec_lo, s20
	v_cmp_ne_u16_sdwa s5, v27, v14 src0_sel:BYTE_1 src1_sel:DWORD
	s_and_saveexec_b32 s20, s5
	s_cbranch_execz .LBB349_354
; %bb.347:                              ;   in Loop: Header=BB349_15 Depth=1
	v_cmp_ne_u16_sdwa s5, v27, v82 src0_sel:BYTE_1 src1_sel:DWORD
	v_bfrev_b32_e32 v90, 1
	s_and_saveexec_b32 s21, s5
	s_cbranch_execz .LBB349_353
; %bb.348:                              ;   in Loop: Header=BB349_15 Depth=1
	v_mov_b32_e32 v0, 0xffff
	v_mov_b32_e32 v90, 0x7f800001
	s_mov_b32 s22, exec_lo
	v_and_b32_sdwa v0, v0, v27 dst_sel:DWORD dst_unused:UNUSED_PAD src0_sel:DWORD src1_sel:BYTE_1
	v_and_b32_e32 v1, 0x7f, v0
	v_cmpx_ne_u32_e32 0x7f, v1
	s_cbranch_execz .LBB349_352
; %bb.349:                              ;   in Loop: Header=BB349_15 Depth=1
	v_and_b32_e32 v13, 7, v0
	v_mov_b32_e32 v30, v14
	v_lshrrev_b32_e32 v0, 3, v1
	s_mov_b32 s23, exec_lo
	v_mov_b32_e32 v29, v13
	v_cmpx_gt_u32_e32 8, v1
; %bb.350:                              ;   in Loop: Header=BB349_15 Depth=1
	v_ffbh_u32_e32 v0, v13
	v_min_u32_e32 v0, 32, v0
	v_subrev_nc_u32_e32 v1, 28, v0
	v_sub_nc_u32_e32 v0, 29, v0
	v_lshlrev_b64 v[1:2], v1, v[13:14]
	v_and_b32_e32 v29, 7, v1
; %bb.351:                              ;   in Loop: Header=BB349_15 Depth=1
	s_or_b32 exec_lo, exec_lo, s23
	v_lshlrev_b32_e32 v1, 16, v27
	v_lshlrev_b32_e32 v2, 20, v29
	v_lshl_add_u32 v0, v0, 23, 0x3c000000
	v_and_b32_e32 v1, 0x80000000, v1
	v_or3_b32 v90, v2, v1, v0
.LBB349_352:                            ;   in Loop: Header=BB349_15 Depth=1
	s_or_b32 exec_lo, exec_lo, s22
.LBB349_353:                            ;   in Loop: Header=BB349_15 Depth=1
	s_or_b32 exec_lo, exec_lo, s21
.LBB349_354:                            ;   in Loop: Header=BB349_15 Depth=1
	s_or_b32 exec_lo, exec_lo, s20
	v_and_b32_sdwa v0, v27, v84 dst_sel:DWORD dst_unused:UNUSED_PAD src0_sel:WORD_1 src1_sel:DWORD
	v_mov_b32_e32 v92, 0
	v_mov_b32_e32 v91, 0
	s_mov_b32 s20, exec_lo
	v_cmpx_ne_u16_e32 0, v0
	s_cbranch_execz .LBB349_362
; %bb.355:                              ;   in Loop: Header=BB349_15 Depth=1
	v_bfrev_b32_e32 v91, 1
	s_mov_b32 s21, exec_lo
	v_cmpx_ne_u16_e32 0x80, v0
	s_cbranch_execz .LBB349_361
; %bb.356:                              ;   in Loop: Header=BB349_15 Depth=1
	v_bfe_u32 v1, v27, 16, 7
	v_mov_b32_e32 v91, 0x7f800001
	s_mov_b32 s22, exec_lo
	v_cmpx_ne_u32_e32 0x7f, v1
	s_cbranch_execz .LBB349_360
; %bb.357:                              ;   in Loop: Header=BB349_15 Depth=1
	v_mov_b32_e32 v0, 7
	s_mov_b32 s23, exec_lo
	v_and_b32_sdwa v13, v27, v0 dst_sel:DWORD dst_unused:UNUSED_PAD src0_sel:WORD_1 src1_sel:DWORD
	v_mov_b32_e32 v30, v14
	v_lshrrev_b32_e32 v0, 3, v1
	v_mov_b32_e32 v29, v13
	v_cmpx_gt_u32_e32 8, v1
; %bb.358:                              ;   in Loop: Header=BB349_15 Depth=1
	v_ffbh_u32_e32 v0, v13
	v_min_u32_e32 v0, 32, v0
	v_subrev_nc_u32_e32 v1, 28, v0
	v_sub_nc_u32_e32 v0, 29, v0
	v_lshlrev_b64 v[1:2], v1, v[13:14]
	v_and_b32_e32 v29, 7, v1
; %bb.359:                              ;   in Loop: Header=BB349_15 Depth=1
	s_or_b32 exec_lo, exec_lo, s23
	v_lshlrev_b32_sdwa v1, v86, v27 dst_sel:DWORD dst_unused:UNUSED_PAD src0_sel:DWORD src1_sel:WORD_1
	v_lshlrev_b32_e32 v2, 20, v29
	v_lshl_add_u32 v0, v0, 23, 0x3c000000
	v_and_b32_e32 v1, 0x80000000, v1
	v_or3_b32 v91, v2, v1, v0
.LBB349_360:                            ;   in Loop: Header=BB349_15 Depth=1
	s_or_b32 exec_lo, exec_lo, s22
.LBB349_361:                            ;   in Loop: Header=BB349_15 Depth=1
	s_or_b32 exec_lo, exec_lo, s21
.LBB349_362:                            ;   in Loop: Header=BB349_15 Depth=1
	s_or_b32 exec_lo, exec_lo, s20
	s_mov_b32 s20, exec_lo
	v_cmpx_lt_u32_e32 0xffffff, v27
	s_cbranch_execz .LBB349_370
; %bb.363:                              ;   in Loop: Header=BB349_15 Depth=1
	v_cmp_ne_u32_sdwa s5, v27, v82 src0_sel:BYTE_3 src1_sel:DWORD
	v_bfrev_b32_e32 v92, 1
	s_and_saveexec_b32 s21, s5
	s_cbranch_execz .LBB349_369
; %bb.364:                              ;   in Loop: Header=BB349_15 Depth=1
	v_bfe_u32 v1, v27, 24, 7
	v_mov_b32_e32 v92, 0x7f800001
	s_mov_b32 s22, exec_lo
	v_cmpx_ne_u32_e32 0x7f, v1
	s_cbranch_execz .LBB349_368
; %bb.365:                              ;   in Loop: Header=BB349_15 Depth=1
	v_mov_b32_e32 v0, 7
	s_mov_b32 s23, exec_lo
	v_and_b32_sdwa v13, v27, v0 dst_sel:DWORD dst_unused:UNUSED_PAD src0_sel:BYTE_3 src1_sel:DWORD
	v_mov_b32_e32 v30, v14
	v_lshrrev_b32_e32 v0, 3, v1
	v_mov_b32_e32 v29, v13
	v_cmpx_gt_u32_e32 8, v1
; %bb.366:                              ;   in Loop: Header=BB349_15 Depth=1
	v_ffbh_u32_e32 v0, v13
	v_min_u32_e32 v0, 32, v0
	v_subrev_nc_u32_e32 v1, 28, v0
	v_sub_nc_u32_e32 v0, 29, v0
	v_lshlrev_b64 v[1:2], v1, v[13:14]
	v_and_b32_e32 v29, 7, v1
; %bb.367:                              ;   in Loop: Header=BB349_15 Depth=1
	s_or_b32 exec_lo, exec_lo, s23
	v_lshlrev_b32_sdwa v1, v86, v27 dst_sel:DWORD dst_unused:UNUSED_PAD src0_sel:DWORD src1_sel:BYTE_3
	v_lshlrev_b32_e32 v2, 20, v29
	v_lshl_add_u32 v0, v0, 23, 0x3c000000
	v_and_b32_e32 v1, 0x80000000, v1
	v_or3_b32 v92, v2, v1, v0
.LBB349_368:                            ;   in Loop: Header=BB349_15 Depth=1
	s_or_b32 exec_lo, exec_lo, s22
.LBB349_369:                            ;   in Loop: Header=BB349_15 Depth=1
	s_or_b32 exec_lo, exec_lo, s21
.LBB349_370:                            ;   in Loop: Header=BB349_15 Depth=1
	s_or_b32 exec_lo, exec_lo, s20
	v_mov_b32_e32 v13, v28
	v_cmp_ne_u16_sdwa s5, v28, v14 src0_sel:BYTE_0 src1_sel:DWORD
	v_mov_b32_e32 v94, 0
	v_mov_b32_e32 v93, 0
	s_and_saveexec_b32 s20, s5
	s_cbranch_execz .LBB349_378
; %bb.371:                              ;   in Loop: Header=BB349_15 Depth=1
	v_cmp_ne_u16_sdwa s5, v28, v82 src0_sel:BYTE_0 src1_sel:DWORD
	v_bfrev_b32_e32 v93, 1
	s_and_saveexec_b32 s21, s5
	s_cbranch_execz .LBB349_377
; %bb.372:                              ;   in Loop: Header=BB349_15 Depth=1
	v_and_b32_e32 v1, 0x7f, v28
	v_mov_b32_e32 v93, 0x7f800001
	s_mov_b32 s22, exec_lo
	v_cmpx_ne_u32_e32 0x7f, v1
	s_cbranch_execz .LBB349_376
; %bb.373:                              ;   in Loop: Header=BB349_15 Depth=1
	v_mov_b32_e32 v30, v14
	v_lshrrev_b32_e32 v0, 3, v1
	v_mov_b32_e32 v29, v13
	s_mov_b32 s23, exec_lo
	v_cmpx_gt_u32_e32 8, v1
; %bb.374:                              ;   in Loop: Header=BB349_15 Depth=1
	v_and_b32_e32 v0, 7, v28
	v_ffbh_u32_e32 v0, v0
	v_min_u32_e32 v0, 32, v0
	v_subrev_nc_u32_e32 v1, 28, v0
	v_sub_nc_u32_e32 v0, 29, v0
	v_lshlrev_b64 v[29:30], v1, v[13:14]
; %bb.375:                              ;   in Loop: Header=BB349_15 Depth=1
	s_or_b32 exec_lo, exec_lo, s23
	v_lshlrev_b32_e32 v1, 20, v29
	v_lshlrev_b32_e32 v2, 24, v13
	v_lshl_add_u32 v0, v0, 23, 0x3c000000
	v_and_b32_e32 v1, 0x700000, v1
	v_and_b32_e32 v2, 0x80000000, v2
	v_or3_b32 v93, v1, v2, v0
.LBB349_376:                            ;   in Loop: Header=BB349_15 Depth=1
	s_or_b32 exec_lo, exec_lo, s22
.LBB349_377:                            ;   in Loop: Header=BB349_15 Depth=1
	s_or_b32 exec_lo, exec_lo, s21
.LBB349_378:                            ;   in Loop: Header=BB349_15 Depth=1
	s_or_b32 exec_lo, exec_lo, s20
	v_cmp_ne_u16_sdwa s5, v13, v14 src0_sel:BYTE_1 src1_sel:DWORD
	s_and_saveexec_b32 s20, s5
	s_cbranch_execz .LBB349_386
; %bb.379:                              ;   in Loop: Header=BB349_15 Depth=1
	v_cmp_ne_u16_sdwa s5, v13, v82 src0_sel:BYTE_1 src1_sel:DWORD
	v_bfrev_b32_e32 v94, 1
	s_and_saveexec_b32 s21, s5
	s_cbranch_execz .LBB349_385
; %bb.380:                              ;   in Loop: Header=BB349_15 Depth=1
	v_mov_b32_e32 v0, 0xffff
	v_mov_b32_e32 v94, 0x7f800001
	s_mov_b32 s22, exec_lo
	v_and_b32_sdwa v0, v0, v13 dst_sel:DWORD dst_unused:UNUSED_PAD src0_sel:DWORD src1_sel:BYTE_1
	v_and_b32_e32 v1, 0x7f, v0
	v_cmpx_ne_u32_e32 0x7f, v1
	s_cbranch_execz .LBB349_384
; %bb.381:                              ;   in Loop: Header=BB349_15 Depth=1
	v_and_b32_e32 v29, 7, v0
	v_mov_b32_e32 v30, v14
	v_lshrrev_b32_e32 v0, 3, v1
	s_mov_b32 s23, exec_lo
	v_cmpx_gt_u32_e32 8, v1
; %bb.382:                              ;   in Loop: Header=BB349_15 Depth=1
	v_ffbh_u32_e32 v0, v29
	v_min_u32_e32 v0, 32, v0
	v_subrev_nc_u32_e32 v1, 28, v0
	v_sub_nc_u32_e32 v0, 29, v0
	v_lshlrev_b64 v[1:2], v1, v[29:30]
	v_and_b32_e32 v29, 7, v1
; %bb.383:                              ;   in Loop: Header=BB349_15 Depth=1
	s_or_b32 exec_lo, exec_lo, s23
	v_lshlrev_b32_e32 v1, 16, v13
	v_lshlrev_b32_e32 v2, 20, v29
	v_lshl_add_u32 v0, v0, 23, 0x3c000000
	v_and_b32_e32 v1, 0x80000000, v1
	v_or3_b32 v94, v2, v1, v0
.LBB349_384:                            ;   in Loop: Header=BB349_15 Depth=1
	s_or_b32 exec_lo, exec_lo, s22
.LBB349_385:                            ;   in Loop: Header=BB349_15 Depth=1
	s_or_b32 exec_lo, exec_lo, s21
.LBB349_386:                            ;   in Loop: Header=BB349_15 Depth=1
	s_or_b32 exec_lo, exec_lo, s20
	v_and_b32_sdwa v0, v28, v84 dst_sel:DWORD dst_unused:UNUSED_PAD src0_sel:WORD_1 src1_sel:DWORD
	v_mov_b32_e32 v95, 0
	v_mov_b32_e32 v104, 0
	s_mov_b32 s20, exec_lo
	v_cmpx_ne_u16_e32 0, v0
	s_cbranch_execz .LBB349_394
; %bb.387:                              ;   in Loop: Header=BB349_15 Depth=1
	v_bfrev_b32_e32 v104, 1
	s_mov_b32 s21, exec_lo
	v_cmpx_ne_u16_e32 0x80, v0
	s_cbranch_execz .LBB349_393
; %bb.388:                              ;   in Loop: Header=BB349_15 Depth=1
	v_bfe_u32 v1, v28, 16, 7
	v_mov_b32_e32 v104, 0x7f800001
	s_mov_b32 s22, exec_lo
	v_cmpx_ne_u32_e32 0x7f, v1
	s_cbranch_execz .LBB349_392
; %bb.389:                              ;   in Loop: Header=BB349_15 Depth=1
	v_mov_b32_e32 v0, 7
	s_mov_b32 s23, exec_lo
	v_and_b32_sdwa v13, v28, v0 dst_sel:DWORD dst_unused:UNUSED_PAD src0_sel:WORD_1 src1_sel:DWORD
	v_mov_b32_e32 v30, v14
	v_lshrrev_b32_e32 v0, 3, v1
	v_mov_b32_e32 v29, v13
	v_cmpx_gt_u32_e32 8, v1
; %bb.390:                              ;   in Loop: Header=BB349_15 Depth=1
	v_ffbh_u32_e32 v0, v13
	v_min_u32_e32 v0, 32, v0
	v_subrev_nc_u32_e32 v1, 28, v0
	v_sub_nc_u32_e32 v0, 29, v0
	v_lshlrev_b64 v[1:2], v1, v[13:14]
	v_and_b32_e32 v29, 7, v1
; %bb.391:                              ;   in Loop: Header=BB349_15 Depth=1
	s_or_b32 exec_lo, exec_lo, s23
	v_lshlrev_b32_sdwa v1, v86, v28 dst_sel:DWORD dst_unused:UNUSED_PAD src0_sel:DWORD src1_sel:WORD_1
	v_lshlrev_b32_e32 v2, 20, v29
	v_lshl_add_u32 v0, v0, 23, 0x3c000000
	v_and_b32_e32 v1, 0x80000000, v1
	v_or3_b32 v104, v2, v1, v0
.LBB349_392:                            ;   in Loop: Header=BB349_15 Depth=1
	s_or_b32 exec_lo, exec_lo, s22
.LBB349_393:                            ;   in Loop: Header=BB349_15 Depth=1
	s_or_b32 exec_lo, exec_lo, s21
.LBB349_394:                            ;   in Loop: Header=BB349_15 Depth=1
	s_or_b32 exec_lo, exec_lo, s20
	s_mov_b32 s20, exec_lo
	v_cmpx_lt_u64_e64 s[12:13], v[27:28]
	s_cbranch_execz .LBB349_402
; %bb.395:                              ;   in Loop: Header=BB349_15 Depth=1
	v_cmp_ne_u32_sdwa s5, v28, v82 src0_sel:BYTE_3 src1_sel:DWORD
	v_bfrev_b32_e32 v95, 1
	s_and_saveexec_b32 s21, s5
	s_cbranch_execz .LBB349_401
; %bb.396:                              ;   in Loop: Header=BB349_15 Depth=1
	v_bfe_u32 v1, v28, 24, 7
	v_mov_b32_e32 v95, 0x7f800001
	s_mov_b32 s22, exec_lo
	v_cmpx_ne_u32_e32 0x7f, v1
	s_cbranch_execz .LBB349_400
; %bb.397:                              ;   in Loop: Header=BB349_15 Depth=1
	v_mov_b32_e32 v0, 7
	s_mov_b32 s23, exec_lo
	v_and_b32_sdwa v13, v28, v0 dst_sel:DWORD dst_unused:UNUSED_PAD src0_sel:BYTE_3 src1_sel:DWORD
	v_mov_b32_e32 v30, v14
	v_lshrrev_b32_e32 v0, 3, v1
	v_mov_b32_e32 v29, v13
	v_cmpx_gt_u32_e32 8, v1
; %bb.398:                              ;   in Loop: Header=BB349_15 Depth=1
	v_ffbh_u32_e32 v0, v13
	v_min_u32_e32 v0, 32, v0
	v_subrev_nc_u32_e32 v1, 28, v0
	v_sub_nc_u32_e32 v0, 29, v0
	v_lshlrev_b64 v[1:2], v1, v[13:14]
	v_and_b32_e32 v29, 7, v1
; %bb.399:                              ;   in Loop: Header=BB349_15 Depth=1
	s_or_b32 exec_lo, exec_lo, s23
	v_lshlrev_b32_sdwa v1, v86, v28 dst_sel:DWORD dst_unused:UNUSED_PAD src0_sel:DWORD src1_sel:BYTE_3
	v_lshlrev_b32_e32 v2, 20, v29
	v_lshl_add_u32 v0, v0, 23, 0x3c000000
	v_and_b32_e32 v1, 0x80000000, v1
	v_or3_b32 v95, v2, v1, v0
.LBB349_400:                            ;   in Loop: Header=BB349_15 Depth=1
	s_or_b32 exec_lo, exec_lo, s22
.LBB349_401:                            ;   in Loop: Header=BB349_15 Depth=1
	s_or_b32 exec_lo, exec_lo, s21
.LBB349_402:                            ;   in Loop: Header=BB349_15 Depth=1
	s_or_b32 exec_lo, exec_lo, s20
	flat_load_dwordx2 v[27:28], v[24:25] offset:1536
	v_mov_b32_e32 v106, 0
	v_mov_b32_e32 v105, 0
	s_waitcnt vmcnt(0) lgkmcnt(0)
	v_cmp_ne_u16_sdwa s5, v27, v14 src0_sel:BYTE_0 src1_sel:DWORD
	s_and_saveexec_b32 s20, s5
	s_cbranch_execz .LBB349_410
; %bb.403:                              ;   in Loop: Header=BB349_15 Depth=1
	v_cmp_ne_u16_sdwa s5, v27, v82 src0_sel:BYTE_0 src1_sel:DWORD
	v_bfrev_b32_e32 v105, 1
	s_and_saveexec_b32 s21, s5
	s_cbranch_execz .LBB349_409
; %bb.404:                              ;   in Loop: Header=BB349_15 Depth=1
	v_and_b32_e32 v1, 0x7f, v27
	v_mov_b32_e32 v105, 0x7f800001
	s_mov_b32 s22, exec_lo
	v_cmpx_ne_u32_e32 0x7f, v1
	s_cbranch_execz .LBB349_408
; %bb.405:                              ;   in Loop: Header=BB349_15 Depth=1
	v_mov_b32_e32 v30, v28
	v_lshrrev_b32_e32 v0, 3, v1
	v_mov_b32_e32 v29, v27
	s_mov_b32 s23, exec_lo
	v_cmpx_gt_u32_e32 8, v1
; %bb.406:                              ;   in Loop: Header=BB349_15 Depth=1
	v_and_b32_e32 v0, 7, v27
	v_ffbh_u32_e32 v0, v0
	v_min_u32_e32 v0, 32, v0
	v_subrev_nc_u32_e32 v1, 28, v0
	v_sub_nc_u32_e32 v0, 29, v0
	v_lshlrev_b64 v[29:30], v1, v[27:28]
; %bb.407:                              ;   in Loop: Header=BB349_15 Depth=1
	s_or_b32 exec_lo, exec_lo, s23
	v_lshlrev_b32_e32 v1, 20, v29
	v_lshlrev_b32_e32 v2, 24, v27
	v_lshl_add_u32 v0, v0, 23, 0x3c000000
	v_and_b32_e32 v1, 0x700000, v1
	v_and_b32_e32 v2, 0x80000000, v2
	v_or3_b32 v105, v1, v2, v0
.LBB349_408:                            ;   in Loop: Header=BB349_15 Depth=1
	s_or_b32 exec_lo, exec_lo, s22
.LBB349_409:                            ;   in Loop: Header=BB349_15 Depth=1
	s_or_b32 exec_lo, exec_lo, s21
.LBB349_410:                            ;   in Loop: Header=BB349_15 Depth=1
	s_or_b32 exec_lo, exec_lo, s20
	v_cmp_ne_u16_sdwa s5, v27, v14 src0_sel:BYTE_1 src1_sel:DWORD
	s_and_saveexec_b32 s20, s5
	s_cbranch_execz .LBB349_418
; %bb.411:                              ;   in Loop: Header=BB349_15 Depth=1
	v_cmp_ne_u16_sdwa s5, v27, v82 src0_sel:BYTE_1 src1_sel:DWORD
	v_bfrev_b32_e32 v106, 1
	s_and_saveexec_b32 s21, s5
	s_cbranch_execz .LBB349_417
; %bb.412:                              ;   in Loop: Header=BB349_15 Depth=1
	v_mov_b32_e32 v0, 0xffff
	v_mov_b32_e32 v106, 0x7f800001
	s_mov_b32 s22, exec_lo
	v_and_b32_sdwa v0, v0, v27 dst_sel:DWORD dst_unused:UNUSED_PAD src0_sel:DWORD src1_sel:BYTE_1
	v_and_b32_e32 v1, 0x7f, v0
	v_cmpx_ne_u32_e32 0x7f, v1
	s_cbranch_execz .LBB349_416
; %bb.413:                              ;   in Loop: Header=BB349_15 Depth=1
	v_and_b32_e32 v13, 7, v0
	v_mov_b32_e32 v30, v14
	v_lshrrev_b32_e32 v0, 3, v1
	s_mov_b32 s23, exec_lo
	v_mov_b32_e32 v29, v13
	v_cmpx_gt_u32_e32 8, v1
; %bb.414:                              ;   in Loop: Header=BB349_15 Depth=1
	v_ffbh_u32_e32 v0, v13
	v_min_u32_e32 v0, 32, v0
	v_subrev_nc_u32_e32 v1, 28, v0
	v_sub_nc_u32_e32 v0, 29, v0
	v_lshlrev_b64 v[1:2], v1, v[13:14]
	v_and_b32_e32 v29, 7, v1
; %bb.415:                              ;   in Loop: Header=BB349_15 Depth=1
	s_or_b32 exec_lo, exec_lo, s23
	v_lshlrev_b32_e32 v1, 16, v27
	v_lshlrev_b32_e32 v2, 20, v29
	v_lshl_add_u32 v0, v0, 23, 0x3c000000
	v_and_b32_e32 v1, 0x80000000, v1
	v_or3_b32 v106, v2, v1, v0
.LBB349_416:                            ;   in Loop: Header=BB349_15 Depth=1
	s_or_b32 exec_lo, exec_lo, s22
.LBB349_417:                            ;   in Loop: Header=BB349_15 Depth=1
	s_or_b32 exec_lo, exec_lo, s21
.LBB349_418:                            ;   in Loop: Header=BB349_15 Depth=1
	s_or_b32 exec_lo, exec_lo, s20
	v_and_b32_sdwa v0, v27, v84 dst_sel:DWORD dst_unused:UNUSED_PAD src0_sel:WORD_1 src1_sel:DWORD
	v_mov_b32_e32 v108, 0
	v_mov_b32_e32 v107, 0
	s_mov_b32 s20, exec_lo
	v_cmpx_ne_u16_e32 0, v0
	s_cbranch_execz .LBB349_426
; %bb.419:                              ;   in Loop: Header=BB349_15 Depth=1
	v_bfrev_b32_e32 v107, 1
	s_mov_b32 s21, exec_lo
	v_cmpx_ne_u16_e32 0x80, v0
	s_cbranch_execz .LBB349_425
; %bb.420:                              ;   in Loop: Header=BB349_15 Depth=1
	v_bfe_u32 v1, v27, 16, 7
	v_mov_b32_e32 v107, 0x7f800001
	s_mov_b32 s22, exec_lo
	v_cmpx_ne_u32_e32 0x7f, v1
	s_cbranch_execz .LBB349_424
; %bb.421:                              ;   in Loop: Header=BB349_15 Depth=1
	v_mov_b32_e32 v0, 7
	s_mov_b32 s23, exec_lo
	v_and_b32_sdwa v13, v27, v0 dst_sel:DWORD dst_unused:UNUSED_PAD src0_sel:WORD_1 src1_sel:DWORD
	v_mov_b32_e32 v30, v14
	v_lshrrev_b32_e32 v0, 3, v1
	v_mov_b32_e32 v29, v13
	v_cmpx_gt_u32_e32 8, v1
; %bb.422:                              ;   in Loop: Header=BB349_15 Depth=1
	v_ffbh_u32_e32 v0, v13
	v_min_u32_e32 v0, 32, v0
	v_subrev_nc_u32_e32 v1, 28, v0
	v_sub_nc_u32_e32 v0, 29, v0
	v_lshlrev_b64 v[1:2], v1, v[13:14]
	v_and_b32_e32 v29, 7, v1
; %bb.423:                              ;   in Loop: Header=BB349_15 Depth=1
	s_or_b32 exec_lo, exec_lo, s23
	v_lshlrev_b32_sdwa v1, v86, v27 dst_sel:DWORD dst_unused:UNUSED_PAD src0_sel:DWORD src1_sel:WORD_1
	v_lshlrev_b32_e32 v2, 20, v29
	v_lshl_add_u32 v0, v0, 23, 0x3c000000
	v_and_b32_e32 v1, 0x80000000, v1
	v_or3_b32 v107, v2, v1, v0
.LBB349_424:                            ;   in Loop: Header=BB349_15 Depth=1
	s_or_b32 exec_lo, exec_lo, s22
.LBB349_425:                            ;   in Loop: Header=BB349_15 Depth=1
	s_or_b32 exec_lo, exec_lo, s21
.LBB349_426:                            ;   in Loop: Header=BB349_15 Depth=1
	s_or_b32 exec_lo, exec_lo, s20
	s_mov_b32 s20, exec_lo
	v_cmpx_lt_u32_e32 0xffffff, v27
	s_cbranch_execz .LBB349_434
; %bb.427:                              ;   in Loop: Header=BB349_15 Depth=1
	v_cmp_ne_u32_sdwa s5, v27, v82 src0_sel:BYTE_3 src1_sel:DWORD
	v_bfrev_b32_e32 v108, 1
	s_and_saveexec_b32 s21, s5
	s_cbranch_execz .LBB349_433
; %bb.428:                              ;   in Loop: Header=BB349_15 Depth=1
	v_bfe_u32 v1, v27, 24, 7
	v_mov_b32_e32 v108, 0x7f800001
	s_mov_b32 s22, exec_lo
	v_cmpx_ne_u32_e32 0x7f, v1
	s_cbranch_execz .LBB349_432
; %bb.429:                              ;   in Loop: Header=BB349_15 Depth=1
	v_mov_b32_e32 v0, 7
	s_mov_b32 s23, exec_lo
	v_and_b32_sdwa v13, v27, v0 dst_sel:DWORD dst_unused:UNUSED_PAD src0_sel:BYTE_3 src1_sel:DWORD
	v_mov_b32_e32 v30, v14
	v_lshrrev_b32_e32 v0, 3, v1
	v_mov_b32_e32 v29, v13
	v_cmpx_gt_u32_e32 8, v1
; %bb.430:                              ;   in Loop: Header=BB349_15 Depth=1
	v_ffbh_u32_e32 v0, v13
	v_min_u32_e32 v0, 32, v0
	v_subrev_nc_u32_e32 v1, 28, v0
	v_sub_nc_u32_e32 v0, 29, v0
	v_lshlrev_b64 v[1:2], v1, v[13:14]
	v_and_b32_e32 v29, 7, v1
; %bb.431:                              ;   in Loop: Header=BB349_15 Depth=1
	s_or_b32 exec_lo, exec_lo, s23
	v_lshlrev_b32_sdwa v1, v86, v27 dst_sel:DWORD dst_unused:UNUSED_PAD src0_sel:DWORD src1_sel:BYTE_3
	v_lshlrev_b32_e32 v2, 20, v29
	v_lshl_add_u32 v0, v0, 23, 0x3c000000
	v_and_b32_e32 v1, 0x80000000, v1
	v_or3_b32 v108, v2, v1, v0
.LBB349_432:                            ;   in Loop: Header=BB349_15 Depth=1
	s_or_b32 exec_lo, exec_lo, s22
.LBB349_433:                            ;   in Loop: Header=BB349_15 Depth=1
	s_or_b32 exec_lo, exec_lo, s21
.LBB349_434:                            ;   in Loop: Header=BB349_15 Depth=1
	s_or_b32 exec_lo, exec_lo, s20
	v_mov_b32_e32 v13, v28
	v_cmp_ne_u16_sdwa s5, v28, v14 src0_sel:BYTE_0 src1_sel:DWORD
	v_mov_b32_e32 v110, 0
	v_mov_b32_e32 v109, 0
	s_and_saveexec_b32 s20, s5
	s_cbranch_execz .LBB349_442
; %bb.435:                              ;   in Loop: Header=BB349_15 Depth=1
	v_cmp_ne_u16_sdwa s5, v28, v82 src0_sel:BYTE_0 src1_sel:DWORD
	v_bfrev_b32_e32 v109, 1
	s_and_saveexec_b32 s21, s5
	s_cbranch_execz .LBB349_441
; %bb.436:                              ;   in Loop: Header=BB349_15 Depth=1
	v_and_b32_e32 v1, 0x7f, v28
	v_mov_b32_e32 v109, 0x7f800001
	s_mov_b32 s22, exec_lo
	v_cmpx_ne_u32_e32 0x7f, v1
	s_cbranch_execz .LBB349_440
; %bb.437:                              ;   in Loop: Header=BB349_15 Depth=1
	v_mov_b32_e32 v30, v14
	v_lshrrev_b32_e32 v0, 3, v1
	v_mov_b32_e32 v29, v13
	s_mov_b32 s23, exec_lo
	v_cmpx_gt_u32_e32 8, v1
; %bb.438:                              ;   in Loop: Header=BB349_15 Depth=1
	v_and_b32_e32 v0, 7, v28
	v_ffbh_u32_e32 v0, v0
	v_min_u32_e32 v0, 32, v0
	v_subrev_nc_u32_e32 v1, 28, v0
	v_sub_nc_u32_e32 v0, 29, v0
	v_lshlrev_b64 v[29:30], v1, v[13:14]
; %bb.439:                              ;   in Loop: Header=BB349_15 Depth=1
	s_or_b32 exec_lo, exec_lo, s23
	v_lshlrev_b32_e32 v1, 20, v29
	v_lshlrev_b32_e32 v2, 24, v13
	v_lshl_add_u32 v0, v0, 23, 0x3c000000
	v_and_b32_e32 v1, 0x700000, v1
	v_and_b32_e32 v2, 0x80000000, v2
	v_or3_b32 v109, v1, v2, v0
.LBB349_440:                            ;   in Loop: Header=BB349_15 Depth=1
	s_or_b32 exec_lo, exec_lo, s22
.LBB349_441:                            ;   in Loop: Header=BB349_15 Depth=1
	s_or_b32 exec_lo, exec_lo, s21
.LBB349_442:                            ;   in Loop: Header=BB349_15 Depth=1
	s_or_b32 exec_lo, exec_lo, s20
	v_cmp_ne_u16_sdwa s5, v13, v14 src0_sel:BYTE_1 src1_sel:DWORD
	s_and_saveexec_b32 s20, s5
	s_cbranch_execz .LBB349_450
; %bb.443:                              ;   in Loop: Header=BB349_15 Depth=1
	v_cmp_ne_u16_sdwa s5, v13, v82 src0_sel:BYTE_1 src1_sel:DWORD
	v_bfrev_b32_e32 v110, 1
	s_and_saveexec_b32 s21, s5
	s_cbranch_execz .LBB349_449
; %bb.444:                              ;   in Loop: Header=BB349_15 Depth=1
	v_mov_b32_e32 v0, 0xffff
	v_mov_b32_e32 v110, 0x7f800001
	s_mov_b32 s22, exec_lo
	v_and_b32_sdwa v0, v0, v13 dst_sel:DWORD dst_unused:UNUSED_PAD src0_sel:DWORD src1_sel:BYTE_1
	v_and_b32_e32 v1, 0x7f, v0
	v_cmpx_ne_u32_e32 0x7f, v1
	s_cbranch_execz .LBB349_448
; %bb.445:                              ;   in Loop: Header=BB349_15 Depth=1
	v_and_b32_e32 v29, 7, v0
	v_mov_b32_e32 v30, v14
	v_lshrrev_b32_e32 v0, 3, v1
	s_mov_b32 s23, exec_lo
	v_cmpx_gt_u32_e32 8, v1
; %bb.446:                              ;   in Loop: Header=BB349_15 Depth=1
	v_ffbh_u32_e32 v0, v29
	v_min_u32_e32 v0, 32, v0
	v_subrev_nc_u32_e32 v1, 28, v0
	v_sub_nc_u32_e32 v0, 29, v0
	v_lshlrev_b64 v[1:2], v1, v[29:30]
	v_and_b32_e32 v29, 7, v1
; %bb.447:                              ;   in Loop: Header=BB349_15 Depth=1
	s_or_b32 exec_lo, exec_lo, s23
	v_lshlrev_b32_e32 v1, 16, v13
	v_lshlrev_b32_e32 v2, 20, v29
	v_lshl_add_u32 v0, v0, 23, 0x3c000000
	v_and_b32_e32 v1, 0x80000000, v1
	v_or3_b32 v110, v2, v1, v0
.LBB349_448:                            ;   in Loop: Header=BB349_15 Depth=1
	s_or_b32 exec_lo, exec_lo, s22
.LBB349_449:                            ;   in Loop: Header=BB349_15 Depth=1
	s_or_b32 exec_lo, exec_lo, s21
.LBB349_450:                            ;   in Loop: Header=BB349_15 Depth=1
	s_or_b32 exec_lo, exec_lo, s20
	v_and_b32_sdwa v0, v28, v84 dst_sel:DWORD dst_unused:UNUSED_PAD src0_sel:WORD_1 src1_sel:DWORD
	v_mov_b32_e32 v111, 0
	v_mov_b32_e32 v120, 0
	s_mov_b32 s20, exec_lo
	v_cmpx_ne_u16_e32 0, v0
	s_cbranch_execz .LBB349_458
; %bb.451:                              ;   in Loop: Header=BB349_15 Depth=1
	v_bfrev_b32_e32 v120, 1
	s_mov_b32 s21, exec_lo
	v_cmpx_ne_u16_e32 0x80, v0
	s_cbranch_execz .LBB349_457
; %bb.452:                              ;   in Loop: Header=BB349_15 Depth=1
	v_bfe_u32 v1, v28, 16, 7
	v_mov_b32_e32 v120, 0x7f800001
	s_mov_b32 s22, exec_lo
	v_cmpx_ne_u32_e32 0x7f, v1
	s_cbranch_execz .LBB349_456
; %bb.453:                              ;   in Loop: Header=BB349_15 Depth=1
	v_mov_b32_e32 v0, 7
	s_mov_b32 s23, exec_lo
	v_and_b32_sdwa v13, v28, v0 dst_sel:DWORD dst_unused:UNUSED_PAD src0_sel:WORD_1 src1_sel:DWORD
	v_mov_b32_e32 v30, v14
	v_lshrrev_b32_e32 v0, 3, v1
	v_mov_b32_e32 v29, v13
	v_cmpx_gt_u32_e32 8, v1
; %bb.454:                              ;   in Loop: Header=BB349_15 Depth=1
	v_ffbh_u32_e32 v0, v13
	v_min_u32_e32 v0, 32, v0
	v_subrev_nc_u32_e32 v1, 28, v0
	v_sub_nc_u32_e32 v0, 29, v0
	v_lshlrev_b64 v[1:2], v1, v[13:14]
	v_and_b32_e32 v29, 7, v1
; %bb.455:                              ;   in Loop: Header=BB349_15 Depth=1
	s_or_b32 exec_lo, exec_lo, s23
	v_lshlrev_b32_sdwa v1, v86, v28 dst_sel:DWORD dst_unused:UNUSED_PAD src0_sel:DWORD src1_sel:WORD_1
	v_lshlrev_b32_e32 v2, 20, v29
	v_lshl_add_u32 v0, v0, 23, 0x3c000000
	v_and_b32_e32 v1, 0x80000000, v1
	v_or3_b32 v120, v2, v1, v0
.LBB349_456:                            ;   in Loop: Header=BB349_15 Depth=1
	s_or_b32 exec_lo, exec_lo, s22
.LBB349_457:                            ;   in Loop: Header=BB349_15 Depth=1
	s_or_b32 exec_lo, exec_lo, s21
.LBB349_458:                            ;   in Loop: Header=BB349_15 Depth=1
	s_or_b32 exec_lo, exec_lo, s20
	s_mov_b32 s20, exec_lo
	v_cmpx_lt_u64_e64 s[12:13], v[27:28]
	s_cbranch_execz .LBB349_466
; %bb.459:                              ;   in Loop: Header=BB349_15 Depth=1
	v_cmp_ne_u32_sdwa s5, v28, v82 src0_sel:BYTE_3 src1_sel:DWORD
	v_bfrev_b32_e32 v111, 1
	s_and_saveexec_b32 s21, s5
	s_cbranch_execz .LBB349_465
; %bb.460:                              ;   in Loop: Header=BB349_15 Depth=1
	v_bfe_u32 v1, v28, 24, 7
	v_mov_b32_e32 v111, 0x7f800001
	s_mov_b32 s22, exec_lo
	v_cmpx_ne_u32_e32 0x7f, v1
	s_cbranch_execz .LBB349_464
; %bb.461:                              ;   in Loop: Header=BB349_15 Depth=1
	v_mov_b32_e32 v0, 7
	s_mov_b32 s23, exec_lo
	v_and_b32_sdwa v13, v28, v0 dst_sel:DWORD dst_unused:UNUSED_PAD src0_sel:BYTE_3 src1_sel:DWORD
	v_mov_b32_e32 v30, v14
	v_lshrrev_b32_e32 v0, 3, v1
	v_mov_b32_e32 v29, v13
	v_cmpx_gt_u32_e32 8, v1
; %bb.462:                              ;   in Loop: Header=BB349_15 Depth=1
	v_ffbh_u32_e32 v0, v13
	v_min_u32_e32 v0, 32, v0
	v_subrev_nc_u32_e32 v1, 28, v0
	v_sub_nc_u32_e32 v0, 29, v0
	v_lshlrev_b64 v[1:2], v1, v[13:14]
	v_and_b32_e32 v29, 7, v1
; %bb.463:                              ;   in Loop: Header=BB349_15 Depth=1
	s_or_b32 exec_lo, exec_lo, s23
	v_lshlrev_b32_sdwa v1, v86, v28 dst_sel:DWORD dst_unused:UNUSED_PAD src0_sel:DWORD src1_sel:BYTE_3
	v_lshlrev_b32_e32 v2, 20, v29
	v_lshl_add_u32 v0, v0, 23, 0x3c000000
	v_and_b32_e32 v1, 0x80000000, v1
	v_or3_b32 v111, v2, v1, v0
.LBB349_464:                            ;   in Loop: Header=BB349_15 Depth=1
	s_or_b32 exec_lo, exec_lo, s22
.LBB349_465:                            ;   in Loop: Header=BB349_15 Depth=1
	s_or_b32 exec_lo, exec_lo, s21
.LBB349_466:                            ;   in Loop: Header=BB349_15 Depth=1
	s_or_b32 exec_lo, exec_lo, s20
	flat_load_dwordx2 v[27:28], v[24:25] offset:1544
	v_mov_b32_e32 v122, 0
	v_mov_b32_e32 v121, 0
	s_waitcnt vmcnt(0) lgkmcnt(0)
	v_cmp_ne_u16_sdwa s5, v27, v14 src0_sel:BYTE_0 src1_sel:DWORD
	s_and_saveexec_b32 s20, s5
	s_cbranch_execz .LBB349_474
; %bb.467:                              ;   in Loop: Header=BB349_15 Depth=1
	v_cmp_ne_u16_sdwa s5, v27, v82 src0_sel:BYTE_0 src1_sel:DWORD
	v_bfrev_b32_e32 v121, 1
	s_and_saveexec_b32 s21, s5
	s_cbranch_execz .LBB349_473
; %bb.468:                              ;   in Loop: Header=BB349_15 Depth=1
	v_and_b32_e32 v1, 0x7f, v27
	v_mov_b32_e32 v121, 0x7f800001
	s_mov_b32 s22, exec_lo
	v_cmpx_ne_u32_e32 0x7f, v1
	s_cbranch_execz .LBB349_472
; %bb.469:                              ;   in Loop: Header=BB349_15 Depth=1
	v_mov_b32_e32 v30, v28
	v_lshrrev_b32_e32 v0, 3, v1
	v_mov_b32_e32 v29, v27
	s_mov_b32 s23, exec_lo
	v_cmpx_gt_u32_e32 8, v1
; %bb.470:                              ;   in Loop: Header=BB349_15 Depth=1
	v_and_b32_e32 v0, 7, v27
	v_ffbh_u32_e32 v0, v0
	v_min_u32_e32 v0, 32, v0
	v_subrev_nc_u32_e32 v1, 28, v0
	v_sub_nc_u32_e32 v0, 29, v0
	v_lshlrev_b64 v[29:30], v1, v[27:28]
; %bb.471:                              ;   in Loop: Header=BB349_15 Depth=1
	s_or_b32 exec_lo, exec_lo, s23
	v_lshlrev_b32_e32 v1, 20, v29
	v_lshlrev_b32_e32 v2, 24, v27
	v_lshl_add_u32 v0, v0, 23, 0x3c000000
	v_and_b32_e32 v1, 0x700000, v1
	v_and_b32_e32 v2, 0x80000000, v2
	v_or3_b32 v121, v1, v2, v0
.LBB349_472:                            ;   in Loop: Header=BB349_15 Depth=1
	s_or_b32 exec_lo, exec_lo, s22
.LBB349_473:                            ;   in Loop: Header=BB349_15 Depth=1
	s_or_b32 exec_lo, exec_lo, s21
.LBB349_474:                            ;   in Loop: Header=BB349_15 Depth=1
	s_or_b32 exec_lo, exec_lo, s20
	v_cmp_ne_u16_sdwa s5, v27, v14 src0_sel:BYTE_1 src1_sel:DWORD
	s_and_saveexec_b32 s20, s5
	s_cbranch_execz .LBB349_482
; %bb.475:                              ;   in Loop: Header=BB349_15 Depth=1
	v_cmp_ne_u16_sdwa s5, v27, v82 src0_sel:BYTE_1 src1_sel:DWORD
	v_bfrev_b32_e32 v122, 1
	s_and_saveexec_b32 s21, s5
	s_cbranch_execz .LBB349_481
; %bb.476:                              ;   in Loop: Header=BB349_15 Depth=1
	v_mov_b32_e32 v0, 0xffff
	v_mov_b32_e32 v122, 0x7f800001
	s_mov_b32 s22, exec_lo
	v_and_b32_sdwa v0, v0, v27 dst_sel:DWORD dst_unused:UNUSED_PAD src0_sel:DWORD src1_sel:BYTE_1
	v_and_b32_e32 v1, 0x7f, v0
	v_cmpx_ne_u32_e32 0x7f, v1
	s_cbranch_execz .LBB349_480
; %bb.477:                              ;   in Loop: Header=BB349_15 Depth=1
	v_and_b32_e32 v13, 7, v0
	v_mov_b32_e32 v30, v14
	v_lshrrev_b32_e32 v0, 3, v1
	s_mov_b32 s23, exec_lo
	v_mov_b32_e32 v29, v13
	v_cmpx_gt_u32_e32 8, v1
; %bb.478:                              ;   in Loop: Header=BB349_15 Depth=1
	v_ffbh_u32_e32 v0, v13
	v_min_u32_e32 v0, 32, v0
	v_subrev_nc_u32_e32 v1, 28, v0
	v_sub_nc_u32_e32 v0, 29, v0
	v_lshlrev_b64 v[1:2], v1, v[13:14]
	v_and_b32_e32 v29, 7, v1
; %bb.479:                              ;   in Loop: Header=BB349_15 Depth=1
	s_or_b32 exec_lo, exec_lo, s23
	v_lshlrev_b32_e32 v1, 16, v27
	v_lshlrev_b32_e32 v2, 20, v29
	v_lshl_add_u32 v0, v0, 23, 0x3c000000
	v_and_b32_e32 v1, 0x80000000, v1
	v_or3_b32 v122, v2, v1, v0
.LBB349_480:                            ;   in Loop: Header=BB349_15 Depth=1
	s_or_b32 exec_lo, exec_lo, s22
.LBB349_481:                            ;   in Loop: Header=BB349_15 Depth=1
	s_or_b32 exec_lo, exec_lo, s21
.LBB349_482:                            ;   in Loop: Header=BB349_15 Depth=1
	s_or_b32 exec_lo, exec_lo, s20
	v_and_b32_sdwa v0, v27, v84 dst_sel:DWORD dst_unused:UNUSED_PAD src0_sel:WORD_1 src1_sel:DWORD
	v_mov_b32_e32 v124, 0
	v_mov_b32_e32 v123, 0
	s_mov_b32 s20, exec_lo
	v_cmpx_ne_u16_e32 0, v0
	s_cbranch_execz .LBB349_490
; %bb.483:                              ;   in Loop: Header=BB349_15 Depth=1
	v_bfrev_b32_e32 v123, 1
	s_mov_b32 s21, exec_lo
	v_cmpx_ne_u16_e32 0x80, v0
	s_cbranch_execz .LBB349_489
; %bb.484:                              ;   in Loop: Header=BB349_15 Depth=1
	v_bfe_u32 v1, v27, 16, 7
	v_mov_b32_e32 v123, 0x7f800001
	s_mov_b32 s22, exec_lo
	v_cmpx_ne_u32_e32 0x7f, v1
	s_cbranch_execz .LBB349_488
; %bb.485:                              ;   in Loop: Header=BB349_15 Depth=1
	v_mov_b32_e32 v0, 7
	s_mov_b32 s23, exec_lo
	v_and_b32_sdwa v13, v27, v0 dst_sel:DWORD dst_unused:UNUSED_PAD src0_sel:WORD_1 src1_sel:DWORD
	v_mov_b32_e32 v30, v14
	v_lshrrev_b32_e32 v0, 3, v1
	v_mov_b32_e32 v29, v13
	v_cmpx_gt_u32_e32 8, v1
; %bb.486:                              ;   in Loop: Header=BB349_15 Depth=1
	v_ffbh_u32_e32 v0, v13
	v_min_u32_e32 v0, 32, v0
	v_subrev_nc_u32_e32 v1, 28, v0
	v_sub_nc_u32_e32 v0, 29, v0
	v_lshlrev_b64 v[1:2], v1, v[13:14]
	v_and_b32_e32 v29, 7, v1
; %bb.487:                              ;   in Loop: Header=BB349_15 Depth=1
	s_or_b32 exec_lo, exec_lo, s23
	v_lshlrev_b32_sdwa v1, v86, v27 dst_sel:DWORD dst_unused:UNUSED_PAD src0_sel:DWORD src1_sel:WORD_1
	v_lshlrev_b32_e32 v2, 20, v29
	v_lshl_add_u32 v0, v0, 23, 0x3c000000
	v_and_b32_e32 v1, 0x80000000, v1
	v_or3_b32 v123, v2, v1, v0
.LBB349_488:                            ;   in Loop: Header=BB349_15 Depth=1
	s_or_b32 exec_lo, exec_lo, s22
.LBB349_489:                            ;   in Loop: Header=BB349_15 Depth=1
	s_or_b32 exec_lo, exec_lo, s21
.LBB349_490:                            ;   in Loop: Header=BB349_15 Depth=1
	s_or_b32 exec_lo, exec_lo, s20
	s_mov_b32 s20, exec_lo
	v_cmpx_lt_u32_e32 0xffffff, v27
	s_cbranch_execz .LBB349_498
; %bb.491:                              ;   in Loop: Header=BB349_15 Depth=1
	v_cmp_ne_u32_sdwa s5, v27, v82 src0_sel:BYTE_3 src1_sel:DWORD
	v_bfrev_b32_e32 v124, 1
	s_and_saveexec_b32 s21, s5
	s_cbranch_execz .LBB349_497
; %bb.492:                              ;   in Loop: Header=BB349_15 Depth=1
	v_bfe_u32 v1, v27, 24, 7
	v_mov_b32_e32 v124, 0x7f800001
	s_mov_b32 s22, exec_lo
	v_cmpx_ne_u32_e32 0x7f, v1
	s_cbranch_execz .LBB349_496
; %bb.493:                              ;   in Loop: Header=BB349_15 Depth=1
	v_mov_b32_e32 v0, 7
	s_mov_b32 s23, exec_lo
	v_and_b32_sdwa v13, v27, v0 dst_sel:DWORD dst_unused:UNUSED_PAD src0_sel:BYTE_3 src1_sel:DWORD
	v_mov_b32_e32 v30, v14
	v_lshrrev_b32_e32 v0, 3, v1
	v_mov_b32_e32 v29, v13
	v_cmpx_gt_u32_e32 8, v1
; %bb.494:                              ;   in Loop: Header=BB349_15 Depth=1
	v_ffbh_u32_e32 v0, v13
	v_min_u32_e32 v0, 32, v0
	v_subrev_nc_u32_e32 v1, 28, v0
	v_sub_nc_u32_e32 v0, 29, v0
	v_lshlrev_b64 v[1:2], v1, v[13:14]
	v_and_b32_e32 v29, 7, v1
; %bb.495:                              ;   in Loop: Header=BB349_15 Depth=1
	s_or_b32 exec_lo, exec_lo, s23
	v_lshlrev_b32_sdwa v1, v86, v27 dst_sel:DWORD dst_unused:UNUSED_PAD src0_sel:DWORD src1_sel:BYTE_3
	v_lshlrev_b32_e32 v2, 20, v29
	v_lshl_add_u32 v0, v0, 23, 0x3c000000
	v_and_b32_e32 v1, 0x80000000, v1
	v_or3_b32 v124, v2, v1, v0
.LBB349_496:                            ;   in Loop: Header=BB349_15 Depth=1
	s_or_b32 exec_lo, exec_lo, s22
.LBB349_497:                            ;   in Loop: Header=BB349_15 Depth=1
	s_or_b32 exec_lo, exec_lo, s21
.LBB349_498:                            ;   in Loop: Header=BB349_15 Depth=1
	s_or_b32 exec_lo, exec_lo, s20
	v_mov_b32_e32 v13, v28
	v_cmp_ne_u16_sdwa s5, v28, v14 src0_sel:BYTE_0 src1_sel:DWORD
	v_mov_b32_e32 v126, 0
	v_mov_b32_e32 v125, 0
	s_and_saveexec_b32 s20, s5
	s_cbranch_execz .LBB349_506
; %bb.499:                              ;   in Loop: Header=BB349_15 Depth=1
	v_cmp_ne_u16_sdwa s5, v28, v82 src0_sel:BYTE_0 src1_sel:DWORD
	v_bfrev_b32_e32 v125, 1
	s_and_saveexec_b32 s21, s5
	s_cbranch_execz .LBB349_505
; %bb.500:                              ;   in Loop: Header=BB349_15 Depth=1
	v_and_b32_e32 v1, 0x7f, v28
	v_mov_b32_e32 v125, 0x7f800001
	s_mov_b32 s22, exec_lo
	v_cmpx_ne_u32_e32 0x7f, v1
	s_cbranch_execz .LBB349_504
; %bb.501:                              ;   in Loop: Header=BB349_15 Depth=1
	v_mov_b32_e32 v30, v14
	v_lshrrev_b32_e32 v0, 3, v1
	v_mov_b32_e32 v29, v13
	s_mov_b32 s23, exec_lo
	v_cmpx_gt_u32_e32 8, v1
; %bb.502:                              ;   in Loop: Header=BB349_15 Depth=1
	v_and_b32_e32 v0, 7, v28
	v_ffbh_u32_e32 v0, v0
	v_min_u32_e32 v0, 32, v0
	v_subrev_nc_u32_e32 v1, 28, v0
	v_sub_nc_u32_e32 v0, 29, v0
	v_lshlrev_b64 v[29:30], v1, v[13:14]
; %bb.503:                              ;   in Loop: Header=BB349_15 Depth=1
	s_or_b32 exec_lo, exec_lo, s23
	v_lshlrev_b32_e32 v1, 20, v29
	v_lshlrev_b32_e32 v2, 24, v13
	v_lshl_add_u32 v0, v0, 23, 0x3c000000
	v_and_b32_e32 v1, 0x700000, v1
	v_and_b32_e32 v2, 0x80000000, v2
	v_or3_b32 v125, v1, v2, v0
.LBB349_504:                            ;   in Loop: Header=BB349_15 Depth=1
	s_or_b32 exec_lo, exec_lo, s22
.LBB349_505:                            ;   in Loop: Header=BB349_15 Depth=1
	s_or_b32 exec_lo, exec_lo, s21
.LBB349_506:                            ;   in Loop: Header=BB349_15 Depth=1
	s_or_b32 exec_lo, exec_lo, s20
	v_cmp_ne_u16_sdwa s5, v13, v14 src0_sel:BYTE_1 src1_sel:DWORD
	s_and_saveexec_b32 s20, s5
	s_cbranch_execz .LBB349_514
; %bb.507:                              ;   in Loop: Header=BB349_15 Depth=1
	v_cmp_ne_u16_sdwa s5, v13, v82 src0_sel:BYTE_1 src1_sel:DWORD
	v_bfrev_b32_e32 v126, 1
	s_and_saveexec_b32 s21, s5
	s_cbranch_execz .LBB349_513
; %bb.508:                              ;   in Loop: Header=BB349_15 Depth=1
	v_mov_b32_e32 v0, 0xffff
	v_mov_b32_e32 v126, 0x7f800001
	s_mov_b32 s22, exec_lo
	v_and_b32_sdwa v0, v0, v13 dst_sel:DWORD dst_unused:UNUSED_PAD src0_sel:DWORD src1_sel:BYTE_1
	v_and_b32_e32 v1, 0x7f, v0
	v_cmpx_ne_u32_e32 0x7f, v1
	s_cbranch_execz .LBB349_512
; %bb.509:                              ;   in Loop: Header=BB349_15 Depth=1
	v_and_b32_e32 v29, 7, v0
	v_mov_b32_e32 v30, v14
	v_lshrrev_b32_e32 v0, 3, v1
	s_mov_b32 s23, exec_lo
	v_cmpx_gt_u32_e32 8, v1
; %bb.510:                              ;   in Loop: Header=BB349_15 Depth=1
	v_ffbh_u32_e32 v0, v29
	v_min_u32_e32 v0, 32, v0
	v_subrev_nc_u32_e32 v1, 28, v0
	v_sub_nc_u32_e32 v0, 29, v0
	v_lshlrev_b64 v[1:2], v1, v[29:30]
	v_and_b32_e32 v29, 7, v1
; %bb.511:                              ;   in Loop: Header=BB349_15 Depth=1
	s_or_b32 exec_lo, exec_lo, s23
	v_lshlrev_b32_e32 v1, 16, v13
	v_lshlrev_b32_e32 v2, 20, v29
	v_lshl_add_u32 v0, v0, 23, 0x3c000000
	v_and_b32_e32 v1, 0x80000000, v1
	v_or3_b32 v126, v2, v1, v0
.LBB349_512:                            ;   in Loop: Header=BB349_15 Depth=1
	s_or_b32 exec_lo, exec_lo, s22
.LBB349_513:                            ;   in Loop: Header=BB349_15 Depth=1
	s_or_b32 exec_lo, exec_lo, s21
.LBB349_514:                            ;   in Loop: Header=BB349_15 Depth=1
	s_or_b32 exec_lo, exec_lo, s20
	v_and_b32_sdwa v0, v28, v84 dst_sel:DWORD dst_unused:UNUSED_PAD src0_sel:WORD_1 src1_sel:DWORD
	v_mov_b32_e32 v127, 0
	v_mov_b32_e32 v8, 0
	s_mov_b32 s20, exec_lo
	v_cmpx_ne_u16_e32 0, v0
	s_cbranch_execz .LBB349_522
; %bb.515:                              ;   in Loop: Header=BB349_15 Depth=1
	v_bfrev_b32_e32 v8, 1
	s_mov_b32 s21, exec_lo
	v_cmpx_ne_u16_e32 0x80, v0
	s_cbranch_execz .LBB349_521
; %bb.516:                              ;   in Loop: Header=BB349_15 Depth=1
	v_bfe_u32 v1, v28, 16, 7
	v_mov_b32_e32 v8, 0x7f800001
	s_mov_b32 s22, exec_lo
	v_cmpx_ne_u32_e32 0x7f, v1
	s_cbranch_execz .LBB349_520
; %bb.517:                              ;   in Loop: Header=BB349_15 Depth=1
	v_mov_b32_e32 v0, 7
	s_mov_b32 s23, exec_lo
	v_and_b32_sdwa v13, v28, v0 dst_sel:DWORD dst_unused:UNUSED_PAD src0_sel:WORD_1 src1_sel:DWORD
	v_mov_b32_e32 v30, v14
	v_lshrrev_b32_e32 v0, 3, v1
	v_mov_b32_e32 v29, v13
	v_cmpx_gt_u32_e32 8, v1
; %bb.518:                              ;   in Loop: Header=BB349_15 Depth=1
	v_ffbh_u32_e32 v0, v13
	v_min_u32_e32 v0, 32, v0
	v_subrev_nc_u32_e32 v1, 28, v0
	v_sub_nc_u32_e32 v0, 29, v0
	v_lshlrev_b64 v[1:2], v1, v[13:14]
	v_and_b32_e32 v29, 7, v1
; %bb.519:                              ;   in Loop: Header=BB349_15 Depth=1
	s_or_b32 exec_lo, exec_lo, s23
	v_lshlrev_b32_sdwa v1, v86, v28 dst_sel:DWORD dst_unused:UNUSED_PAD src0_sel:DWORD src1_sel:WORD_1
	v_lshlrev_b32_e32 v2, 20, v29
	v_lshl_add_u32 v0, v0, 23, 0x3c000000
	v_and_b32_e32 v1, 0x80000000, v1
	v_or3_b32 v8, v2, v1, v0
.LBB349_520:                            ;   in Loop: Header=BB349_15 Depth=1
	s_or_b32 exec_lo, exec_lo, s22
.LBB349_521:                            ;   in Loop: Header=BB349_15 Depth=1
	s_or_b32 exec_lo, exec_lo, s21
.LBB349_522:                            ;   in Loop: Header=BB349_15 Depth=1
	s_or_b32 exec_lo, exec_lo, s20
	s_mov_b32 s20, exec_lo
	v_cmpx_lt_u64_e64 s[12:13], v[27:28]
	s_cbranch_execz .LBB349_530
; %bb.523:                              ;   in Loop: Header=BB349_15 Depth=1
	v_cmp_ne_u32_sdwa s5, v28, v82 src0_sel:BYTE_3 src1_sel:DWORD
	v_bfrev_b32_e32 v127, 1
	s_and_saveexec_b32 s21, s5
	s_cbranch_execz .LBB349_529
; %bb.524:                              ;   in Loop: Header=BB349_15 Depth=1
	v_bfe_u32 v1, v28, 24, 7
	v_mov_b32_e32 v127, 0x7f800001
	s_mov_b32 s22, exec_lo
	v_cmpx_ne_u32_e32 0x7f, v1
	s_cbranch_execz .LBB349_528
; %bb.525:                              ;   in Loop: Header=BB349_15 Depth=1
	v_mov_b32_e32 v0, 7
	s_mov_b32 s23, exec_lo
	v_and_b32_sdwa v13, v28, v0 dst_sel:DWORD dst_unused:UNUSED_PAD src0_sel:BYTE_3 src1_sel:DWORD
	v_mov_b32_e32 v30, v14
	v_lshrrev_b32_e32 v0, 3, v1
	v_mov_b32_e32 v29, v13
	v_cmpx_gt_u32_e32 8, v1
; %bb.526:                              ;   in Loop: Header=BB349_15 Depth=1
	v_ffbh_u32_e32 v0, v13
	v_min_u32_e32 v0, 32, v0
	v_subrev_nc_u32_e32 v1, 28, v0
	v_sub_nc_u32_e32 v0, 29, v0
	v_lshlrev_b64 v[1:2], v1, v[13:14]
	v_and_b32_e32 v29, 7, v1
; %bb.527:                              ;   in Loop: Header=BB349_15 Depth=1
	s_or_b32 exec_lo, exec_lo, s23
	v_lshlrev_b32_sdwa v1, v86, v28 dst_sel:DWORD dst_unused:UNUSED_PAD src0_sel:DWORD src1_sel:BYTE_3
	v_lshlrev_b32_e32 v2, 20, v29
	v_lshl_add_u32 v0, v0, 23, 0x3c000000
	v_and_b32_e32 v1, 0x80000000, v1
	v_or3_b32 v127, v2, v1, v0
.LBB349_528:                            ;   in Loop: Header=BB349_15 Depth=1
	s_or_b32 exec_lo, exec_lo, s22
.LBB349_529:                            ;   in Loop: Header=BB349_15 Depth=1
	s_or_b32 exec_lo, exec_lo, s21
.LBB349_530:                            ;   in Loop: Header=BB349_15 Depth=1
	s_or_b32 exec_lo, exec_lo, s20
	v_add_co_u32 v24, s5, 0x800, v24
	v_add_co_ci_u32_e64 v25, null, 0, v25, s5
	v_mov_b32_e32 v35, 0
	v_mov_b32_e32 v12, 0
	flat_load_dwordx2 v[27:28], v[24:25]
	s_waitcnt vmcnt(0) lgkmcnt(0)
	v_cmp_ne_u16_sdwa s5, v27, v14 src0_sel:BYTE_0 src1_sel:DWORD
	s_and_saveexec_b32 s20, s5
	s_cbranch_execz .LBB349_538
; %bb.531:                              ;   in Loop: Header=BB349_15 Depth=1
	v_cmp_ne_u16_sdwa s5, v27, v82 src0_sel:BYTE_0 src1_sel:DWORD
	v_bfrev_b32_e32 v12, 1
	s_and_saveexec_b32 s21, s5
	s_cbranch_execz .LBB349_537
; %bb.532:                              ;   in Loop: Header=BB349_15 Depth=1
	v_and_b32_e32 v1, 0x7f, v27
	v_mov_b32_e32 v12, 0x7f800001
	s_mov_b32 s22, exec_lo
	v_cmpx_ne_u32_e32 0x7f, v1
	s_cbranch_execz .LBB349_536
; %bb.533:                              ;   in Loop: Header=BB349_15 Depth=1
	v_mov_b32_e32 v30, v28
	v_lshrrev_b32_e32 v0, 3, v1
	v_mov_b32_e32 v29, v27
	s_mov_b32 s23, exec_lo
	v_cmpx_gt_u32_e32 8, v1
; %bb.534:                              ;   in Loop: Header=BB349_15 Depth=1
	v_and_b32_e32 v0, 7, v27
	v_ffbh_u32_e32 v0, v0
	v_min_u32_e32 v0, 32, v0
	v_subrev_nc_u32_e32 v1, 28, v0
	v_sub_nc_u32_e32 v0, 29, v0
	v_lshlrev_b64 v[29:30], v1, v[27:28]
; %bb.535:                              ;   in Loop: Header=BB349_15 Depth=1
	s_or_b32 exec_lo, exec_lo, s23
	v_lshlrev_b32_e32 v1, 20, v29
	v_lshlrev_b32_e32 v2, 24, v27
	v_lshl_add_u32 v0, v0, 23, 0x3c000000
	v_and_b32_e32 v1, 0x700000, v1
	v_and_b32_e32 v2, 0x80000000, v2
	v_or3_b32 v12, v1, v2, v0
.LBB349_536:                            ;   in Loop: Header=BB349_15 Depth=1
	s_or_b32 exec_lo, exec_lo, s22
.LBB349_537:                            ;   in Loop: Header=BB349_15 Depth=1
	s_or_b32 exec_lo, exec_lo, s21
.LBB349_538:                            ;   in Loop: Header=BB349_15 Depth=1
	s_or_b32 exec_lo, exec_lo, s20
	v_cmp_ne_u16_sdwa s5, v27, v14 src0_sel:BYTE_1 src1_sel:DWORD
	s_and_saveexec_b32 s20, s5
	s_cbranch_execz .LBB349_546
; %bb.539:                              ;   in Loop: Header=BB349_15 Depth=1
	v_cmp_ne_u16_sdwa s5, v27, v82 src0_sel:BYTE_1 src1_sel:DWORD
	v_bfrev_b32_e32 v35, 1
	s_and_saveexec_b32 s21, s5
	s_cbranch_execz .LBB349_545
; %bb.540:                              ;   in Loop: Header=BB349_15 Depth=1
	v_mov_b32_e32 v0, 0xffff
	v_mov_b32_e32 v35, 0x7f800001
	s_mov_b32 s22, exec_lo
	v_and_b32_sdwa v0, v0, v27 dst_sel:DWORD dst_unused:UNUSED_PAD src0_sel:DWORD src1_sel:BYTE_1
	v_and_b32_e32 v1, 0x7f, v0
	v_cmpx_ne_u32_e32 0x7f, v1
	s_cbranch_execz .LBB349_544
; %bb.541:                              ;   in Loop: Header=BB349_15 Depth=1
	v_and_b32_e32 v13, 7, v0
	v_mov_b32_e32 v30, v14
	v_lshrrev_b32_e32 v0, 3, v1
	s_mov_b32 s23, exec_lo
	v_mov_b32_e32 v29, v13
	v_cmpx_gt_u32_e32 8, v1
; %bb.542:                              ;   in Loop: Header=BB349_15 Depth=1
	v_ffbh_u32_e32 v0, v13
	v_min_u32_e32 v0, 32, v0
	v_subrev_nc_u32_e32 v1, 28, v0
	v_sub_nc_u32_e32 v0, 29, v0
	v_lshlrev_b64 v[1:2], v1, v[13:14]
	v_and_b32_e32 v29, 7, v1
; %bb.543:                              ;   in Loop: Header=BB349_15 Depth=1
	s_or_b32 exec_lo, exec_lo, s23
	v_lshlrev_b32_e32 v1, 16, v27
	v_lshlrev_b32_e32 v2, 20, v29
	v_lshl_add_u32 v0, v0, 23, 0x3c000000
	v_and_b32_e32 v1, 0x80000000, v1
	v_or3_b32 v35, v2, v1, v0
.LBB349_544:                            ;   in Loop: Header=BB349_15 Depth=1
	s_or_b32 exec_lo, exec_lo, s22
.LBB349_545:                            ;   in Loop: Header=BB349_15 Depth=1
	s_or_b32 exec_lo, exec_lo, s21
.LBB349_546:                            ;   in Loop: Header=BB349_15 Depth=1
	s_or_b32 exec_lo, exec_lo, s20
	v_and_b32_sdwa v0, v27, v84 dst_sel:DWORD dst_unused:UNUSED_PAD src0_sel:WORD_1 src1_sel:DWORD
	v_mov_b32_e32 v1, 0
	v_mov_b32_e32 v39, 0
	s_mov_b32 s20, exec_lo
	v_cmpx_ne_u16_e32 0, v0
	s_cbranch_execz .LBB349_554
; %bb.547:                              ;   in Loop: Header=BB349_15 Depth=1
	v_bfrev_b32_e32 v39, 1
	s_mov_b32 s21, exec_lo
	v_cmpx_ne_u16_e32 0x80, v0
	s_cbranch_execz .LBB349_553
; %bb.548:                              ;   in Loop: Header=BB349_15 Depth=1
	v_bfe_u32 v2, v27, 16, 7
	v_mov_b32_e32 v39, 0x7f800001
	s_mov_b32 s22, exec_lo
	v_cmpx_ne_u32_e32 0x7f, v2
	s_cbranch_execz .LBB349_552
; %bb.549:                              ;   in Loop: Header=BB349_15 Depth=1
	v_mov_b32_e32 v0, 7
	s_mov_b32 s23, exec_lo
	v_and_b32_sdwa v13, v27, v0 dst_sel:DWORD dst_unused:UNUSED_PAD src0_sel:WORD_1 src1_sel:DWORD
	v_mov_b32_e32 v30, v14
	v_lshrrev_b32_e32 v0, 3, v2
	v_mov_b32_e32 v29, v13
	v_cmpx_gt_u32_e32 8, v2
; %bb.550:                              ;   in Loop: Header=BB349_15 Depth=1
	v_ffbh_u32_e32 v0, v13
	v_min_u32_e32 v0, 32, v0
	v_subrev_nc_u32_e32 v2, 28, v0
	v_sub_nc_u32_e32 v0, 29, v0
	v_lshlrev_b64 v[2:3], v2, v[13:14]
	v_and_b32_e32 v29, 7, v2
; %bb.551:                              ;   in Loop: Header=BB349_15 Depth=1
	s_or_b32 exec_lo, exec_lo, s23
	v_lshlrev_b32_sdwa v2, v86, v27 dst_sel:DWORD dst_unused:UNUSED_PAD src0_sel:DWORD src1_sel:WORD_1
	v_lshlrev_b32_e32 v3, 20, v29
	v_lshl_add_u32 v0, v0, 23, 0x3c000000
	v_and_b32_e32 v2, 0x80000000, v2
	v_or3_b32 v39, v3, v2, v0
.LBB349_552:                            ;   in Loop: Header=BB349_15 Depth=1
	s_or_b32 exec_lo, exec_lo, s22
.LBB349_553:                            ;   in Loop: Header=BB349_15 Depth=1
	s_or_b32 exec_lo, exec_lo, s21
.LBB349_554:                            ;   in Loop: Header=BB349_15 Depth=1
	s_or_b32 exec_lo, exec_lo, s20
	s_mov_b32 s20, exec_lo
	v_cmpx_lt_u32_e32 0xffffff, v27
	s_cbranch_execz .LBB349_562
; %bb.555:                              ;   in Loop: Header=BB349_15 Depth=1
	v_cmp_ne_u32_sdwa s5, v27, v82 src0_sel:BYTE_3 src1_sel:DWORD
	v_bfrev_b32_e32 v1, 1
	s_and_saveexec_b32 s21, s5
	s_cbranch_execz .LBB349_561
; %bb.556:                              ;   in Loop: Header=BB349_15 Depth=1
	v_bfe_u32 v2, v27, 24, 7
	v_mov_b32_e32 v1, 0x7f800001
	s_mov_b32 s22, exec_lo
	v_cmpx_ne_u32_e32 0x7f, v2
	s_cbranch_execz .LBB349_560
; %bb.557:                              ;   in Loop: Header=BB349_15 Depth=1
	v_mov_b32_e32 v0, 7
	s_mov_b32 s23, exec_lo
	v_and_b32_sdwa v13, v27, v0 dst_sel:DWORD dst_unused:UNUSED_PAD src0_sel:BYTE_3 src1_sel:DWORD
	v_mov_b32_e32 v30, v14
	v_lshrrev_b32_e32 v0, 3, v2
	v_mov_b32_e32 v29, v13
	v_cmpx_gt_u32_e32 8, v2
; %bb.558:                              ;   in Loop: Header=BB349_15 Depth=1
	v_ffbh_u32_e32 v0, v13
	v_min_u32_e32 v0, 32, v0
	v_subrev_nc_u32_e32 v1, 28, v0
	v_sub_nc_u32_e32 v0, 29, v0
	v_lshlrev_b64 v[1:2], v1, v[13:14]
	v_and_b32_e32 v29, 7, v1
; %bb.559:                              ;   in Loop: Header=BB349_15 Depth=1
	s_or_b32 exec_lo, exec_lo, s23
	v_lshlrev_b32_sdwa v1, v86, v27 dst_sel:DWORD dst_unused:UNUSED_PAD src0_sel:DWORD src1_sel:BYTE_3
	v_lshlrev_b32_e32 v2, 20, v29
	v_lshl_add_u32 v0, v0, 23, 0x3c000000
	v_and_b32_e32 v1, 0x80000000, v1
	v_or3_b32 v1, v2, v1, v0
.LBB349_560:                            ;   in Loop: Header=BB349_15 Depth=1
	s_or_b32 exec_lo, exec_lo, s22
.LBB349_561:                            ;   in Loop: Header=BB349_15 Depth=1
	s_or_b32 exec_lo, exec_lo, s21
.LBB349_562:                            ;   in Loop: Header=BB349_15 Depth=1
	s_or_b32 exec_lo, exec_lo, s20
	v_mov_b32_e32 v13, v28
	v_cmp_ne_u16_sdwa s5, v28, v14 src0_sel:BYTE_0 src1_sel:DWORD
	v_mov_b32_e32 v69, 0
	v_mov_b32_e32 v0, 0
	s_and_saveexec_b32 s20, s5
	s_cbranch_execz .LBB349_570
; %bb.563:                              ;   in Loop: Header=BB349_15 Depth=1
	v_cmp_ne_u16_sdwa s5, v28, v82 src0_sel:BYTE_0 src1_sel:DWORD
	v_bfrev_b32_e32 v0, 1
	s_and_saveexec_b32 s21, s5
	s_cbranch_execz .LBB349_569
; %bb.564:                              ;   in Loop: Header=BB349_15 Depth=1
	v_and_b32_e32 v2, 0x7f, v28
	v_mov_b32_e32 v0, 0x7f800001
	s_mov_b32 s22, exec_lo
	v_cmpx_ne_u32_e32 0x7f, v2
	s_cbranch_execz .LBB349_568
; %bb.565:                              ;   in Loop: Header=BB349_15 Depth=1
	v_mov_b32_e32 v30, v14
	v_lshrrev_b32_e32 v0, 3, v2
	v_mov_b32_e32 v29, v13
	s_mov_b32 s23, exec_lo
	v_cmpx_gt_u32_e32 8, v2
; %bb.566:                              ;   in Loop: Header=BB349_15 Depth=1
	v_and_b32_e32 v0, 7, v28
	v_ffbh_u32_e32 v0, v0
	v_min_u32_e32 v0, 32, v0
	v_subrev_nc_u32_e32 v2, 28, v0
	v_sub_nc_u32_e32 v0, 29, v0
	v_lshlrev_b64 v[29:30], v2, v[13:14]
; %bb.567:                              ;   in Loop: Header=BB349_15 Depth=1
	s_or_b32 exec_lo, exec_lo, s23
	v_lshlrev_b32_e32 v2, 20, v29
	v_lshlrev_b32_e32 v3, 24, v13
	v_lshl_add_u32 v0, v0, 23, 0x3c000000
	v_and_b32_e32 v2, 0x700000, v2
	v_and_b32_e32 v3, 0x80000000, v3
	v_or3_b32 v0, v2, v3, v0
.LBB349_568:                            ;   in Loop: Header=BB349_15 Depth=1
	s_or_b32 exec_lo, exec_lo, s22
.LBB349_569:                            ;   in Loop: Header=BB349_15 Depth=1
	s_or_b32 exec_lo, exec_lo, s21
.LBB349_570:                            ;   in Loop: Header=BB349_15 Depth=1
	s_or_b32 exec_lo, exec_lo, s20
	v_cmp_ne_u16_sdwa s5, v13, v14 src0_sel:BYTE_1 src1_sel:DWORD
	s_and_saveexec_b32 s20, s5
	s_cbranch_execz .LBB349_578
; %bb.571:                              ;   in Loop: Header=BB349_15 Depth=1
	v_cmp_ne_u16_sdwa s5, v13, v82 src0_sel:BYTE_1 src1_sel:DWORD
	v_bfrev_b32_e32 v69, 1
	s_and_saveexec_b32 s21, s5
	s_cbranch_execz .LBB349_577
; %bb.572:                              ;   in Loop: Header=BB349_15 Depth=1
	v_mov_b32_e32 v2, 0xffff
	v_mov_b32_e32 v69, 0x7f800001
	s_mov_b32 s22, exec_lo
	v_and_b32_sdwa v2, v2, v13 dst_sel:DWORD dst_unused:UNUSED_PAD src0_sel:DWORD src1_sel:BYTE_1
	v_and_b32_e32 v3, 0x7f, v2
	v_cmpx_ne_u32_e32 0x7f, v3
	s_cbranch_execz .LBB349_576
; %bb.573:                              ;   in Loop: Header=BB349_15 Depth=1
	v_and_b32_e32 v29, 7, v2
	v_mov_b32_e32 v30, v14
	v_lshrrev_b32_e32 v2, 3, v3
	s_mov_b32 s23, exec_lo
	v_cmpx_gt_u32_e32 8, v3
; %bb.574:                              ;   in Loop: Header=BB349_15 Depth=1
	v_ffbh_u32_e32 v2, v29
	v_min_u32_e32 v2, 32, v2
	v_subrev_nc_u32_e32 v3, 28, v2
	v_sub_nc_u32_e32 v2, 29, v2
	v_lshlrev_b64 v[3:4], v3, v[29:30]
	v_and_b32_e32 v29, 7, v3
; %bb.575:                              ;   in Loop: Header=BB349_15 Depth=1
	s_or_b32 exec_lo, exec_lo, s23
	v_lshlrev_b32_e32 v3, 16, v13
	v_lshlrev_b32_e32 v4, 20, v29
	v_lshl_add_u32 v2, v2, 23, 0x3c000000
	v_and_b32_e32 v3, 0x80000000, v3
	v_or3_b32 v69, v4, v3, v2
.LBB349_576:                            ;   in Loop: Header=BB349_15 Depth=1
	s_or_b32 exec_lo, exec_lo, s22
.LBB349_577:                            ;   in Loop: Header=BB349_15 Depth=1
	s_or_b32 exec_lo, exec_lo, s21
.LBB349_578:                            ;   in Loop: Header=BB349_15 Depth=1
	s_or_b32 exec_lo, exec_lo, s20
	v_and_b32_sdwa v2, v28, v84 dst_sel:DWORD dst_unused:UNUSED_PAD src0_sel:WORD_1 src1_sel:DWORD
	v_mov_b32_e32 v49, 0
	v_mov_b32_e32 v17, 0
	s_mov_b32 s20, exec_lo
	v_cmpx_ne_u16_e32 0, v2
	s_cbranch_execz .LBB349_586
; %bb.579:                              ;   in Loop: Header=BB349_15 Depth=1
	v_bfrev_b32_e32 v17, 1
	s_mov_b32 s21, exec_lo
	v_cmpx_ne_u16_e32 0x80, v2
	s_cbranch_execz .LBB349_585
; %bb.580:                              ;   in Loop: Header=BB349_15 Depth=1
	v_bfe_u32 v3, v28, 16, 7
	v_mov_b32_e32 v17, 0x7f800001
	s_mov_b32 s22, exec_lo
	v_cmpx_ne_u32_e32 0x7f, v3
	s_cbranch_execz .LBB349_584
; %bb.581:                              ;   in Loop: Header=BB349_15 Depth=1
	v_mov_b32_e32 v2, 7
	s_mov_b32 s23, exec_lo
	v_and_b32_sdwa v13, v28, v2 dst_sel:DWORD dst_unused:UNUSED_PAD src0_sel:WORD_1 src1_sel:DWORD
	v_mov_b32_e32 v30, v14
	v_lshrrev_b32_e32 v2, 3, v3
	v_mov_b32_e32 v29, v13
	v_cmpx_gt_u32_e32 8, v3
; %bb.582:                              ;   in Loop: Header=BB349_15 Depth=1
	v_ffbh_u32_e32 v2, v13
	v_min_u32_e32 v2, 32, v2
	v_subrev_nc_u32_e32 v3, 28, v2
	v_sub_nc_u32_e32 v2, 29, v2
	v_lshlrev_b64 v[3:4], v3, v[13:14]
	v_and_b32_e32 v29, 7, v3
; %bb.583:                              ;   in Loop: Header=BB349_15 Depth=1
	s_or_b32 exec_lo, exec_lo, s23
	v_lshlrev_b32_sdwa v3, v86, v28 dst_sel:DWORD dst_unused:UNUSED_PAD src0_sel:DWORD src1_sel:WORD_1
	v_lshlrev_b32_e32 v4, 20, v29
	v_lshl_add_u32 v2, v2, 23, 0x3c000000
	v_and_b32_e32 v3, 0x80000000, v3
	v_or3_b32 v17, v4, v3, v2
.LBB349_584:                            ;   in Loop: Header=BB349_15 Depth=1
	s_or_b32 exec_lo, exec_lo, s22
.LBB349_585:                            ;   in Loop: Header=BB349_15 Depth=1
	s_or_b32 exec_lo, exec_lo, s21
.LBB349_586:                            ;   in Loop: Header=BB349_15 Depth=1
	s_or_b32 exec_lo, exec_lo, s20
	s_mov_b32 s20, exec_lo
	v_cmpx_lt_u64_e64 s[12:13], v[27:28]
	s_cbranch_execz .LBB349_594
; %bb.587:                              ;   in Loop: Header=BB349_15 Depth=1
	v_cmp_ne_u32_sdwa s5, v28, v82 src0_sel:BYTE_3 src1_sel:DWORD
	v_bfrev_b32_e32 v49, 1
	s_and_saveexec_b32 s21, s5
	s_cbranch_execz .LBB349_593
; %bb.588:                              ;   in Loop: Header=BB349_15 Depth=1
	v_bfe_u32 v3, v28, 24, 7
	v_mov_b32_e32 v49, 0x7f800001
	s_mov_b32 s22, exec_lo
	v_cmpx_ne_u32_e32 0x7f, v3
	s_cbranch_execz .LBB349_592
; %bb.589:                              ;   in Loop: Header=BB349_15 Depth=1
	v_mov_b32_e32 v2, 7
	s_mov_b32 s23, exec_lo
	v_and_b32_sdwa v13, v28, v2 dst_sel:DWORD dst_unused:UNUSED_PAD src0_sel:BYTE_3 src1_sel:DWORD
	v_mov_b32_e32 v30, v14
	v_lshrrev_b32_e32 v2, 3, v3
	v_mov_b32_e32 v29, v13
	v_cmpx_gt_u32_e32 8, v3
; %bb.590:                              ;   in Loop: Header=BB349_15 Depth=1
	v_ffbh_u32_e32 v2, v13
	v_min_u32_e32 v2, 32, v2
	v_subrev_nc_u32_e32 v3, 28, v2
	v_sub_nc_u32_e32 v2, 29, v2
	v_lshlrev_b64 v[3:4], v3, v[13:14]
	v_and_b32_e32 v29, 7, v3
; %bb.591:                              ;   in Loop: Header=BB349_15 Depth=1
	s_or_b32 exec_lo, exec_lo, s23
	v_lshlrev_b32_sdwa v3, v86, v28 dst_sel:DWORD dst_unused:UNUSED_PAD src0_sel:DWORD src1_sel:BYTE_3
	v_lshlrev_b32_e32 v4, 20, v29
	v_lshl_add_u32 v2, v2, 23, 0x3c000000
	v_and_b32_e32 v3, 0x80000000, v3
	v_or3_b32 v49, v4, v3, v2
.LBB349_592:                            ;   in Loop: Header=BB349_15 Depth=1
	s_or_b32 exec_lo, exec_lo, s22
.LBB349_593:                            ;   in Loop: Header=BB349_15 Depth=1
	s_or_b32 exec_lo, exec_lo, s21
.LBB349_594:                            ;   in Loop: Header=BB349_15 Depth=1
	s_or_b32 exec_lo, exec_lo, s20
	flat_load_dwordx2 v[27:28], v[24:25] offset:8
	v_mov_b32_e32 v7, 0
	v_mov_b32_e32 v70, 0
	s_waitcnt vmcnt(0) lgkmcnt(0)
	v_cmp_ne_u16_sdwa s5, v27, v14 src0_sel:BYTE_0 src1_sel:DWORD
	s_and_saveexec_b32 s20, s5
	s_cbranch_execz .LBB349_602
; %bb.595:                              ;   in Loop: Header=BB349_15 Depth=1
	v_cmp_ne_u16_sdwa s5, v27, v82 src0_sel:BYTE_0 src1_sel:DWORD
	v_bfrev_b32_e32 v70, 1
	s_and_saveexec_b32 s21, s5
	s_cbranch_execz .LBB349_601
; %bb.596:                              ;   in Loop: Header=BB349_15 Depth=1
	v_and_b32_e32 v3, 0x7f, v27
	v_mov_b32_e32 v70, 0x7f800001
	s_mov_b32 s22, exec_lo
	v_cmpx_ne_u32_e32 0x7f, v3
	s_cbranch_execz .LBB349_600
; %bb.597:                              ;   in Loop: Header=BB349_15 Depth=1
	v_mov_b32_e32 v30, v28
	v_lshrrev_b32_e32 v2, 3, v3
	v_mov_b32_e32 v29, v27
	s_mov_b32 s23, exec_lo
	v_cmpx_gt_u32_e32 8, v3
; %bb.598:                              ;   in Loop: Header=BB349_15 Depth=1
	v_and_b32_e32 v2, 7, v27
	v_ffbh_u32_e32 v2, v2
	v_min_u32_e32 v2, 32, v2
	v_subrev_nc_u32_e32 v3, 28, v2
	v_sub_nc_u32_e32 v2, 29, v2
	v_lshlrev_b64 v[29:30], v3, v[27:28]
; %bb.599:                              ;   in Loop: Header=BB349_15 Depth=1
	s_or_b32 exec_lo, exec_lo, s23
	v_lshlrev_b32_e32 v3, 20, v29
	v_lshlrev_b32_e32 v4, 24, v27
	v_lshl_add_u32 v2, v2, 23, 0x3c000000
	v_and_b32_e32 v3, 0x700000, v3
	v_and_b32_e32 v4, 0x80000000, v4
	v_or3_b32 v70, v3, v4, v2
.LBB349_600:                            ;   in Loop: Header=BB349_15 Depth=1
	s_or_b32 exec_lo, exec_lo, s22
.LBB349_601:                            ;   in Loop: Header=BB349_15 Depth=1
	s_or_b32 exec_lo, exec_lo, s21
.LBB349_602:                            ;   in Loop: Header=BB349_15 Depth=1
	s_or_b32 exec_lo, exec_lo, s20
	v_cmp_ne_u16_sdwa s5, v27, v14 src0_sel:BYTE_1 src1_sel:DWORD
	s_and_saveexec_b32 s20, s5
	s_cbranch_execz .LBB349_610
; %bb.603:                              ;   in Loop: Header=BB349_15 Depth=1
	v_cmp_ne_u16_sdwa s5, v27, v82 src0_sel:BYTE_1 src1_sel:DWORD
	v_bfrev_b32_e32 v7, 1
	s_and_saveexec_b32 s21, s5
	s_cbranch_execz .LBB349_609
; %bb.604:                              ;   in Loop: Header=BB349_15 Depth=1
	v_mov_b32_e32 v2, 0xffff
	v_mov_b32_e32 v7, 0x7f800001
	s_mov_b32 s22, exec_lo
	v_and_b32_sdwa v2, v2, v27 dst_sel:DWORD dst_unused:UNUSED_PAD src0_sel:DWORD src1_sel:BYTE_1
	v_and_b32_e32 v3, 0x7f, v2
	v_cmpx_ne_u32_e32 0x7f, v3
	s_cbranch_execz .LBB349_608
; %bb.605:                              ;   in Loop: Header=BB349_15 Depth=1
	v_and_b32_e32 v13, 7, v2
	v_mov_b32_e32 v30, v14
	v_lshrrev_b32_e32 v2, 3, v3
	s_mov_b32 s23, exec_lo
	v_mov_b32_e32 v29, v13
	v_cmpx_gt_u32_e32 8, v3
; %bb.606:                              ;   in Loop: Header=BB349_15 Depth=1
	v_ffbh_u32_e32 v2, v13
	v_min_u32_e32 v2, 32, v2
	v_subrev_nc_u32_e32 v3, 28, v2
	v_sub_nc_u32_e32 v2, 29, v2
	v_lshlrev_b64 v[3:4], v3, v[13:14]
	v_and_b32_e32 v29, 7, v3
; %bb.607:                              ;   in Loop: Header=BB349_15 Depth=1
	s_or_b32 exec_lo, exec_lo, s23
	v_lshlrev_b32_e32 v3, 16, v27
	v_lshlrev_b32_e32 v4, 20, v29
	v_lshl_add_u32 v2, v2, 23, 0x3c000000
	v_and_b32_e32 v3, 0x80000000, v3
	v_or3_b32 v7, v4, v3, v2
.LBB349_608:                            ;   in Loop: Header=BB349_15 Depth=1
	s_or_b32 exec_lo, exec_lo, s22
.LBB349_609:                            ;   in Loop: Header=BB349_15 Depth=1
	s_or_b32 exec_lo, exec_lo, s21
.LBB349_610:                            ;   in Loop: Header=BB349_15 Depth=1
	s_or_b32 exec_lo, exec_lo, s20
	v_and_b32_sdwa v2, v27, v84 dst_sel:DWORD dst_unused:UNUSED_PAD src0_sel:WORD_1 src1_sel:DWORD
	v_mov_b32_e32 v11, 0
	v_mov_b32_e32 v6, 0
	s_mov_b32 s20, exec_lo
	v_cmpx_ne_u16_e32 0, v2
	s_cbranch_execz .LBB349_618
; %bb.611:                              ;   in Loop: Header=BB349_15 Depth=1
	v_bfrev_b32_e32 v6, 1
	s_mov_b32 s21, exec_lo
	v_cmpx_ne_u16_e32 0x80, v2
	s_cbranch_execz .LBB349_617
; %bb.612:                              ;   in Loop: Header=BB349_15 Depth=1
	v_bfe_u32 v3, v27, 16, 7
	v_mov_b32_e32 v6, 0x7f800001
	s_mov_b32 s22, exec_lo
	v_cmpx_ne_u32_e32 0x7f, v3
	s_cbranch_execz .LBB349_616
; %bb.613:                              ;   in Loop: Header=BB349_15 Depth=1
	v_mov_b32_e32 v2, 7
	s_mov_b32 s23, exec_lo
	v_and_b32_sdwa v13, v27, v2 dst_sel:DWORD dst_unused:UNUSED_PAD src0_sel:WORD_1 src1_sel:DWORD
	v_mov_b32_e32 v30, v14
	v_lshrrev_b32_e32 v2, 3, v3
	v_mov_b32_e32 v29, v13
	v_cmpx_gt_u32_e32 8, v3
; %bb.614:                              ;   in Loop: Header=BB349_15 Depth=1
	v_ffbh_u32_e32 v2, v13
	v_min_u32_e32 v2, 32, v2
	v_subrev_nc_u32_e32 v3, 28, v2
	v_sub_nc_u32_e32 v2, 29, v2
	v_lshlrev_b64 v[3:4], v3, v[13:14]
	v_and_b32_e32 v29, 7, v3
; %bb.615:                              ;   in Loop: Header=BB349_15 Depth=1
	s_or_b32 exec_lo, exec_lo, s23
	v_lshlrev_b32_sdwa v3, v86, v27 dst_sel:DWORD dst_unused:UNUSED_PAD src0_sel:DWORD src1_sel:WORD_1
	v_lshlrev_b32_e32 v4, 20, v29
	v_lshl_add_u32 v2, v2, 23, 0x3c000000
	v_and_b32_e32 v3, 0x80000000, v3
	v_or3_b32 v6, v4, v3, v2
.LBB349_616:                            ;   in Loop: Header=BB349_15 Depth=1
	s_or_b32 exec_lo, exec_lo, s22
.LBB349_617:                            ;   in Loop: Header=BB349_15 Depth=1
	s_or_b32 exec_lo, exec_lo, s21
.LBB349_618:                            ;   in Loop: Header=BB349_15 Depth=1
	s_or_b32 exec_lo, exec_lo, s20
	s_mov_b32 s20, exec_lo
	v_cmpx_lt_u32_e32 0xffffff, v27
	s_cbranch_execz .LBB349_626
; %bb.619:                              ;   in Loop: Header=BB349_15 Depth=1
	v_cmp_ne_u32_sdwa s5, v27, v82 src0_sel:BYTE_3 src1_sel:DWORD
	v_bfrev_b32_e32 v11, 1
	s_and_saveexec_b32 s21, s5
	s_cbranch_execz .LBB349_625
; %bb.620:                              ;   in Loop: Header=BB349_15 Depth=1
	v_bfe_u32 v3, v27, 24, 7
	v_mov_b32_e32 v11, 0x7f800001
	s_mov_b32 s22, exec_lo
	v_cmpx_ne_u32_e32 0x7f, v3
	s_cbranch_execz .LBB349_624
; %bb.621:                              ;   in Loop: Header=BB349_15 Depth=1
	v_mov_b32_e32 v2, 7
	s_mov_b32 s23, exec_lo
	v_and_b32_sdwa v13, v27, v2 dst_sel:DWORD dst_unused:UNUSED_PAD src0_sel:BYTE_3 src1_sel:DWORD
	v_mov_b32_e32 v30, v14
	v_lshrrev_b32_e32 v2, 3, v3
	v_mov_b32_e32 v29, v13
	v_cmpx_gt_u32_e32 8, v3
; %bb.622:                              ;   in Loop: Header=BB349_15 Depth=1
	v_ffbh_u32_e32 v2, v13
	v_min_u32_e32 v2, 32, v2
	v_subrev_nc_u32_e32 v3, 28, v2
	v_sub_nc_u32_e32 v2, 29, v2
	v_lshlrev_b64 v[3:4], v3, v[13:14]
	v_and_b32_e32 v29, 7, v3
; %bb.623:                              ;   in Loop: Header=BB349_15 Depth=1
	s_or_b32 exec_lo, exec_lo, s23
	v_lshlrev_b32_sdwa v3, v86, v27 dst_sel:DWORD dst_unused:UNUSED_PAD src0_sel:DWORD src1_sel:BYTE_3
	v_lshlrev_b32_e32 v4, 20, v29
	v_lshl_add_u32 v2, v2, 23, 0x3c000000
	v_and_b32_e32 v3, 0x80000000, v3
	v_or3_b32 v11, v4, v3, v2
.LBB349_624:                            ;   in Loop: Header=BB349_15 Depth=1
	s_or_b32 exec_lo, exec_lo, s22
.LBB349_625:                            ;   in Loop: Header=BB349_15 Depth=1
	s_or_b32 exec_lo, exec_lo, s21
.LBB349_626:                            ;   in Loop: Header=BB349_15 Depth=1
	s_or_b32 exec_lo, exec_lo, s20
	v_mov_b32_e32 v13, v28
	v_cmp_ne_u16_sdwa s5, v28, v14 src0_sel:BYTE_0 src1_sel:DWORD
	v_mov_b32_e32 v33, 0
	v_mov_b32_e32 v10, 0
	s_and_saveexec_b32 s20, s5
	s_cbranch_execz .LBB349_634
; %bb.627:                              ;   in Loop: Header=BB349_15 Depth=1
	v_cmp_ne_u16_sdwa s5, v28, v82 src0_sel:BYTE_0 src1_sel:DWORD
	v_bfrev_b32_e32 v10, 1
	s_and_saveexec_b32 s21, s5
	s_cbranch_execz .LBB349_633
; %bb.628:                              ;   in Loop: Header=BB349_15 Depth=1
	v_and_b32_e32 v3, 0x7f, v28
	v_mov_b32_e32 v10, 0x7f800001
	s_mov_b32 s22, exec_lo
	v_cmpx_ne_u32_e32 0x7f, v3
	s_cbranch_execz .LBB349_632
; %bb.629:                              ;   in Loop: Header=BB349_15 Depth=1
	v_mov_b32_e32 v30, v14
	v_lshrrev_b32_e32 v2, 3, v3
	v_mov_b32_e32 v29, v13
	s_mov_b32 s23, exec_lo
	v_cmpx_gt_u32_e32 8, v3
; %bb.630:                              ;   in Loop: Header=BB349_15 Depth=1
	v_and_b32_e32 v2, 7, v28
	v_ffbh_u32_e32 v2, v2
	v_min_u32_e32 v2, 32, v2
	v_subrev_nc_u32_e32 v3, 28, v2
	v_sub_nc_u32_e32 v2, 29, v2
	v_lshlrev_b64 v[29:30], v3, v[13:14]
; %bb.631:                              ;   in Loop: Header=BB349_15 Depth=1
	s_or_b32 exec_lo, exec_lo, s23
	v_lshlrev_b32_e32 v3, 20, v29
	v_lshlrev_b32_e32 v4, 24, v13
	v_lshl_add_u32 v2, v2, 23, 0x3c000000
	v_and_b32_e32 v3, 0x700000, v3
	v_and_b32_e32 v4, 0x80000000, v4
	v_or3_b32 v10, v3, v4, v2
.LBB349_632:                            ;   in Loop: Header=BB349_15 Depth=1
	s_or_b32 exec_lo, exec_lo, s22
.LBB349_633:                            ;   in Loop: Header=BB349_15 Depth=1
	s_or_b32 exec_lo, exec_lo, s21
.LBB349_634:                            ;   in Loop: Header=BB349_15 Depth=1
	s_or_b32 exec_lo, exec_lo, s20
	v_cmp_ne_u16_sdwa s5, v13, v14 src0_sel:BYTE_1 src1_sel:DWORD
	s_and_saveexec_b32 s20, s5
	s_cbranch_execz .LBB349_642
; %bb.635:                              ;   in Loop: Header=BB349_15 Depth=1
	v_cmp_ne_u16_sdwa s5, v13, v82 src0_sel:BYTE_1 src1_sel:DWORD
	v_bfrev_b32_e32 v33, 1
	s_and_saveexec_b32 s21, s5
	s_cbranch_execz .LBB349_641
; %bb.636:                              ;   in Loop: Header=BB349_15 Depth=1
	v_mov_b32_e32 v2, 0xffff
	v_mov_b32_e32 v33, 0x7f800001
	s_mov_b32 s22, exec_lo
	v_and_b32_sdwa v2, v2, v13 dst_sel:DWORD dst_unused:UNUSED_PAD src0_sel:DWORD src1_sel:BYTE_1
	v_and_b32_e32 v3, 0x7f, v2
	v_cmpx_ne_u32_e32 0x7f, v3
	s_cbranch_execz .LBB349_640
; %bb.637:                              ;   in Loop: Header=BB349_15 Depth=1
	v_and_b32_e32 v29, 7, v2
	v_mov_b32_e32 v30, v14
	v_lshrrev_b32_e32 v2, 3, v3
	s_mov_b32 s23, exec_lo
	v_cmpx_gt_u32_e32 8, v3
; %bb.638:                              ;   in Loop: Header=BB349_15 Depth=1
	v_ffbh_u32_e32 v2, v29
	v_min_u32_e32 v2, 32, v2
	v_subrev_nc_u32_e32 v3, 28, v2
	v_sub_nc_u32_e32 v2, 29, v2
	v_lshlrev_b64 v[3:4], v3, v[29:30]
	v_and_b32_e32 v29, 7, v3
; %bb.639:                              ;   in Loop: Header=BB349_15 Depth=1
	s_or_b32 exec_lo, exec_lo, s23
	v_lshlrev_b32_e32 v3, 16, v13
	v_lshlrev_b32_e32 v4, 20, v29
	v_lshl_add_u32 v2, v2, 23, 0x3c000000
	v_and_b32_e32 v3, 0x80000000, v3
	v_or3_b32 v33, v4, v3, v2
.LBB349_640:                            ;   in Loop: Header=BB349_15 Depth=1
	s_or_b32 exec_lo, exec_lo, s22
.LBB349_641:                            ;   in Loop: Header=BB349_15 Depth=1
	s_or_b32 exec_lo, exec_lo, s21
.LBB349_642:                            ;   in Loop: Header=BB349_15 Depth=1
	s_or_b32 exec_lo, exec_lo, s20
	v_and_b32_sdwa v4, v28, v84 dst_sel:DWORD dst_unused:UNUSED_PAD src0_sel:WORD_1 src1_sel:DWORD
	v_mov_b32_e32 v2, 0
	v_mov_b32_e32 v3, 0
	s_mov_b32 s20, exec_lo
	v_cmpx_ne_u16_e32 0, v4
	s_cbranch_execz .LBB349_650
; %bb.643:                              ;   in Loop: Header=BB349_15 Depth=1
	v_bfrev_b32_e32 v3, 1
	s_mov_b32 s21, exec_lo
	v_cmpx_ne_u16_e32 0x80, v4
	s_cbranch_execz .LBB349_649
; %bb.644:                              ;   in Loop: Header=BB349_15 Depth=1
	v_bfe_u32 v4, v28, 16, 7
	v_mov_b32_e32 v3, 0x7f800001
	s_mov_b32 s22, exec_lo
	v_cmpx_ne_u32_e32 0x7f, v4
	s_cbranch_execz .LBB349_648
; %bb.645:                              ;   in Loop: Header=BB349_15 Depth=1
	v_mov_b32_e32 v3, 7
	s_mov_b32 s23, exec_lo
	v_and_b32_sdwa v13, v28, v3 dst_sel:DWORD dst_unused:UNUSED_PAD src0_sel:WORD_1 src1_sel:DWORD
	v_mov_b32_e32 v30, v14
	v_lshrrev_b32_e32 v3, 3, v4
	v_mov_b32_e32 v29, v13
	v_cmpx_gt_u32_e32 8, v4
; %bb.646:                              ;   in Loop: Header=BB349_15 Depth=1
	v_ffbh_u32_e32 v3, v13
	v_min_u32_e32 v3, 32, v3
	v_subrev_nc_u32_e32 v4, 28, v3
	v_sub_nc_u32_e32 v3, 29, v3
	v_lshlrev_b64 v[4:5], v4, v[13:14]
	v_and_b32_e32 v29, 7, v4
; %bb.647:                              ;   in Loop: Header=BB349_15 Depth=1
	s_or_b32 exec_lo, exec_lo, s23
	v_lshlrev_b32_sdwa v4, v86, v28 dst_sel:DWORD dst_unused:UNUSED_PAD src0_sel:DWORD src1_sel:WORD_1
	v_lshlrev_b32_e32 v5, 20, v29
	v_lshl_add_u32 v3, v3, 23, 0x3c000000
	v_and_b32_e32 v4, 0x80000000, v4
	v_or3_b32 v3, v5, v4, v3
.LBB349_648:                            ;   in Loop: Header=BB349_15 Depth=1
	s_or_b32 exec_lo, exec_lo, s22
.LBB349_649:                            ;   in Loop: Header=BB349_15 Depth=1
	s_or_b32 exec_lo, exec_lo, s21
.LBB349_650:                            ;   in Loop: Header=BB349_15 Depth=1
	s_or_b32 exec_lo, exec_lo, s20
	s_mov_b32 s20, exec_lo
	v_cmpx_lt_u64_e64 s[12:13], v[27:28]
	s_cbranch_execz .LBB349_658
; %bb.651:                              ;   in Loop: Header=BB349_15 Depth=1
	v_cmp_ne_u32_sdwa s5, v28, v82 src0_sel:BYTE_3 src1_sel:DWORD
	v_bfrev_b32_e32 v2, 1
	s_and_saveexec_b32 s21, s5
	s_cbranch_execz .LBB349_657
; %bb.652:                              ;   in Loop: Header=BB349_15 Depth=1
	v_bfe_u32 v4, v28, 24, 7
	v_mov_b32_e32 v2, 0x7f800001
	s_mov_b32 s22, exec_lo
	v_cmpx_ne_u32_e32 0x7f, v4
	s_cbranch_execz .LBB349_656
; %bb.653:                              ;   in Loop: Header=BB349_15 Depth=1
	v_mov_b32_e32 v2, 7
	s_mov_b32 s23, exec_lo
	v_and_b32_sdwa v13, v28, v2 dst_sel:DWORD dst_unused:UNUSED_PAD src0_sel:BYTE_3 src1_sel:DWORD
	v_mov_b32_e32 v30, v14
	v_lshrrev_b32_e32 v2, 3, v4
	v_mov_b32_e32 v29, v13
	v_cmpx_gt_u32_e32 8, v4
; %bb.654:                              ;   in Loop: Header=BB349_15 Depth=1
	v_ffbh_u32_e32 v2, v13
	v_min_u32_e32 v2, 32, v2
	v_subrev_nc_u32_e32 v4, 28, v2
	v_sub_nc_u32_e32 v2, 29, v2
	v_lshlrev_b64 v[4:5], v4, v[13:14]
	v_and_b32_e32 v29, 7, v4
; %bb.655:                              ;   in Loop: Header=BB349_15 Depth=1
	s_or_b32 exec_lo, exec_lo, s23
	v_lshlrev_b32_sdwa v4, v86, v28 dst_sel:DWORD dst_unused:UNUSED_PAD src0_sel:DWORD src1_sel:BYTE_3
	v_lshlrev_b32_e32 v5, 20, v29
	v_lshl_add_u32 v2, v2, 23, 0x3c000000
	v_and_b32_e32 v4, 0x80000000, v4
	v_or3_b32 v2, v5, v4, v2
.LBB349_656:                            ;   in Loop: Header=BB349_15 Depth=1
	s_or_b32 exec_lo, exec_lo, s22
.LBB349_657:                            ;   in Loop: Header=BB349_15 Depth=1
	s_or_b32 exec_lo, exec_lo, s21
.LBB349_658:                            ;   in Loop: Header=BB349_15 Depth=1
	s_or_b32 exec_lo, exec_lo, s20
	flat_load_dwordx2 v[27:28], v[24:25] offset:512
	v_mov_b32_e32 v19, 0
	v_mov_b32_e32 v38, 0
	s_waitcnt vmcnt(0) lgkmcnt(0)
	v_cmp_ne_u16_sdwa s5, v27, v14 src0_sel:BYTE_0 src1_sel:DWORD
	s_and_saveexec_b32 s20, s5
	s_cbranch_execz .LBB349_666
; %bb.659:                              ;   in Loop: Header=BB349_15 Depth=1
	v_cmp_ne_u16_sdwa s5, v27, v82 src0_sel:BYTE_0 src1_sel:DWORD
	v_bfrev_b32_e32 v38, 1
	s_and_saveexec_b32 s21, s5
	s_cbranch_execz .LBB349_665
; %bb.660:                              ;   in Loop: Header=BB349_15 Depth=1
	v_and_b32_e32 v5, 0x7f, v27
	v_mov_b32_e32 v38, 0x7f800001
	s_mov_b32 s22, exec_lo
	v_cmpx_ne_u32_e32 0x7f, v5
	s_cbranch_execz .LBB349_664
; %bb.661:                              ;   in Loop: Header=BB349_15 Depth=1
	v_mov_b32_e32 v30, v28
	v_lshrrev_b32_e32 v4, 3, v5
	v_mov_b32_e32 v29, v27
	s_mov_b32 s23, exec_lo
	v_cmpx_gt_u32_e32 8, v5
; %bb.662:                              ;   in Loop: Header=BB349_15 Depth=1
	v_and_b32_e32 v4, 7, v27
	v_ffbh_u32_e32 v4, v4
	v_min_u32_e32 v4, 32, v4
	v_subrev_nc_u32_e32 v5, 28, v4
	v_sub_nc_u32_e32 v4, 29, v4
	v_lshlrev_b64 v[29:30], v5, v[27:28]
; %bb.663:                              ;   in Loop: Header=BB349_15 Depth=1
	s_or_b32 exec_lo, exec_lo, s23
	v_lshlrev_b32_e32 v5, 20, v29
	v_lshlrev_b32_e32 v9, 24, v27
	v_lshl_add_u32 v4, v4, 23, 0x3c000000
	v_and_b32_e32 v5, 0x700000, v5
	v_and_b32_e32 v9, 0x80000000, v9
	v_or3_b32 v38, v5, v9, v4
.LBB349_664:                            ;   in Loop: Header=BB349_15 Depth=1
	s_or_b32 exec_lo, exec_lo, s22
.LBB349_665:                            ;   in Loop: Header=BB349_15 Depth=1
	s_or_b32 exec_lo, exec_lo, s21
.LBB349_666:                            ;   in Loop: Header=BB349_15 Depth=1
	s_or_b32 exec_lo, exec_lo, s20
	v_cmp_ne_u16_sdwa s5, v27, v14 src0_sel:BYTE_1 src1_sel:DWORD
	s_and_saveexec_b32 s20, s5
	s_cbranch_execz .LBB349_674
; %bb.667:                              ;   in Loop: Header=BB349_15 Depth=1
	v_cmp_ne_u16_sdwa s5, v27, v82 src0_sel:BYTE_1 src1_sel:DWORD
	v_bfrev_b32_e32 v19, 1
	s_and_saveexec_b32 s21, s5
	s_cbranch_execz .LBB349_673
; %bb.668:                              ;   in Loop: Header=BB349_15 Depth=1
	v_mov_b32_e32 v4, 0xffff
	v_mov_b32_e32 v19, 0x7f800001
	s_mov_b32 s22, exec_lo
	v_and_b32_sdwa v4, v4, v27 dst_sel:DWORD dst_unused:UNUSED_PAD src0_sel:DWORD src1_sel:BYTE_1
	v_and_b32_e32 v5, 0x7f, v4
	v_cmpx_ne_u32_e32 0x7f, v5
	s_cbranch_execz .LBB349_672
; %bb.669:                              ;   in Loop: Header=BB349_15 Depth=1
	v_and_b32_e32 v13, 7, v4
	v_mov_b32_e32 v30, v14
	v_lshrrev_b32_e32 v4, 3, v5
	s_mov_b32 s23, exec_lo
	v_mov_b32_e32 v29, v13
	v_cmpx_gt_u32_e32 8, v5
; %bb.670:                              ;   in Loop: Header=BB349_15 Depth=1
	v_ffbh_u32_e32 v4, v13
	v_min_u32_e32 v4, 32, v4
	v_subrev_nc_u32_e32 v5, 28, v4
	v_sub_nc_u32_e32 v4, 29, v4
	v_lshlrev_b64 v[18:19], v5, v[13:14]
	v_and_b32_e32 v29, 7, v18
; %bb.671:                              ;   in Loop: Header=BB349_15 Depth=1
	s_or_b32 exec_lo, exec_lo, s23
	v_lshlrev_b32_e32 v5, 16, v27
	v_lshlrev_b32_e32 v9, 20, v29
	v_lshl_add_u32 v4, v4, 23, 0x3c000000
	v_and_b32_e32 v5, 0x80000000, v5
	v_or3_b32 v19, v9, v5, v4
.LBB349_672:                            ;   in Loop: Header=BB349_15 Depth=1
	s_or_b32 exec_lo, exec_lo, s22
.LBB349_673:                            ;   in Loop: Header=BB349_15 Depth=1
	s_or_b32 exec_lo, exec_lo, s21
.LBB349_674:                            ;   in Loop: Header=BB349_15 Depth=1
	s_or_b32 exec_lo, exec_lo, s20
	v_and_b32_sdwa v4, v27, v84 dst_sel:DWORD dst_unused:UNUSED_PAD src0_sel:WORD_1 src1_sel:DWORD
	v_mov_b32_e32 v31, 0
	v_mov_b32_e32 v26, 0
	s_mov_b32 s20, exec_lo
	v_cmpx_ne_u16_e32 0, v4
	s_cbranch_execz .LBB349_682
; %bb.675:                              ;   in Loop: Header=BB349_15 Depth=1
	v_bfrev_b32_e32 v26, 1
	s_mov_b32 s21, exec_lo
	v_cmpx_ne_u16_e32 0x80, v4
	s_cbranch_execz .LBB349_681
; %bb.676:                              ;   in Loop: Header=BB349_15 Depth=1
	v_bfe_u32 v5, v27, 16, 7
	v_mov_b32_e32 v26, 0x7f800001
	s_mov_b32 s22, exec_lo
	v_cmpx_ne_u32_e32 0x7f, v5
	s_cbranch_execz .LBB349_680
; %bb.677:                              ;   in Loop: Header=BB349_15 Depth=1
	v_mov_b32_e32 v4, 7
	s_mov_b32 s23, exec_lo
	v_and_b32_sdwa v13, v27, v4 dst_sel:DWORD dst_unused:UNUSED_PAD src0_sel:WORD_1 src1_sel:DWORD
	v_mov_b32_e32 v30, v14
	v_lshrrev_b32_e32 v4, 3, v5
	v_mov_b32_e32 v29, v13
	v_cmpx_gt_u32_e32 8, v5
; %bb.678:                              ;   in Loop: Header=BB349_15 Depth=1
	v_ffbh_u32_e32 v4, v13
	v_min_u32_e32 v4, 32, v4
	v_subrev_nc_u32_e32 v5, 28, v4
	v_sub_nc_u32_e32 v4, 29, v4
	v_lshlrev_b64 v[20:21], v5, v[13:14]
	v_and_b32_e32 v29, 7, v20
; %bb.679:                              ;   in Loop: Header=BB349_15 Depth=1
	s_or_b32 exec_lo, exec_lo, s23
	v_lshlrev_b32_sdwa v5, v86, v27 dst_sel:DWORD dst_unused:UNUSED_PAD src0_sel:DWORD src1_sel:WORD_1
	v_lshlrev_b32_e32 v9, 20, v29
	v_lshl_add_u32 v4, v4, 23, 0x3c000000
	v_and_b32_e32 v5, 0x80000000, v5
	v_or3_b32 v26, v9, v5, v4
.LBB349_680:                            ;   in Loop: Header=BB349_15 Depth=1
	s_or_b32 exec_lo, exec_lo, s22
.LBB349_681:                            ;   in Loop: Header=BB349_15 Depth=1
	s_or_b32 exec_lo, exec_lo, s21
.LBB349_682:                            ;   in Loop: Header=BB349_15 Depth=1
	s_or_b32 exec_lo, exec_lo, s20
	s_mov_b32 s20, exec_lo
	v_cmpx_lt_u32_e32 0xffffff, v27
	s_cbranch_execz .LBB349_690
; %bb.683:                              ;   in Loop: Header=BB349_15 Depth=1
	v_cmp_ne_u32_sdwa s5, v27, v82 src0_sel:BYTE_3 src1_sel:DWORD
	v_bfrev_b32_e32 v31, 1
	s_and_saveexec_b32 s21, s5
	s_cbranch_execz .LBB349_689
; %bb.684:                              ;   in Loop: Header=BB349_15 Depth=1
	v_bfe_u32 v5, v27, 24, 7
	v_mov_b32_e32 v31, 0x7f800001
	s_mov_b32 s22, exec_lo
	v_cmpx_ne_u32_e32 0x7f, v5
	s_cbranch_execz .LBB349_688
; %bb.685:                              ;   in Loop: Header=BB349_15 Depth=1
	v_mov_b32_e32 v4, 7
	s_mov_b32 s23, exec_lo
	v_and_b32_sdwa v13, v27, v4 dst_sel:DWORD dst_unused:UNUSED_PAD src0_sel:BYTE_3 src1_sel:DWORD
	v_mov_b32_e32 v30, v14
	v_lshrrev_b32_e32 v4, 3, v5
	v_mov_b32_e32 v29, v13
	v_cmpx_gt_u32_e32 8, v5
; %bb.686:                              ;   in Loop: Header=BB349_15 Depth=1
	v_ffbh_u32_e32 v4, v13
	v_min_u32_e32 v4, 32, v4
	v_subrev_nc_u32_e32 v5, 28, v4
	v_sub_nc_u32_e32 v4, 29, v4
	v_lshlrev_b64 v[20:21], v5, v[13:14]
	v_and_b32_e32 v29, 7, v20
; %bb.687:                              ;   in Loop: Header=BB349_15 Depth=1
	s_or_b32 exec_lo, exec_lo, s23
	v_lshlrev_b32_sdwa v5, v86, v27 dst_sel:DWORD dst_unused:UNUSED_PAD src0_sel:DWORD src1_sel:BYTE_3
	v_lshlrev_b32_e32 v9, 20, v29
	v_lshl_add_u32 v4, v4, 23, 0x3c000000
	v_and_b32_e32 v5, 0x80000000, v5
	v_or3_b32 v31, v9, v5, v4
.LBB349_688:                            ;   in Loop: Header=BB349_15 Depth=1
	s_or_b32 exec_lo, exec_lo, s22
.LBB349_689:                            ;   in Loop: Header=BB349_15 Depth=1
	s_or_b32 exec_lo, exec_lo, s21
.LBB349_690:                            ;   in Loop: Header=BB349_15 Depth=1
	s_or_b32 exec_lo, exec_lo, s20
	v_mov_b32_e32 v13, v28
	v_cmp_ne_u16_sdwa s5, v28, v14 src0_sel:BYTE_0 src1_sel:DWORD
	v_mov_b32_e32 v22, 0
	v_mov_b32_e32 v23, 0
	s_and_saveexec_b32 s20, s5
	s_cbranch_execz .LBB349_698
; %bb.691:                              ;   in Loop: Header=BB349_15 Depth=1
	v_cmp_ne_u16_sdwa s5, v28, v82 src0_sel:BYTE_0 src1_sel:DWORD
	v_bfrev_b32_e32 v23, 1
	s_and_saveexec_b32 s21, s5
	s_cbranch_execz .LBB349_697
; %bb.692:                              ;   in Loop: Header=BB349_15 Depth=1
	v_and_b32_e32 v5, 0x7f, v28
	v_mov_b32_e32 v23, 0x7f800001
	s_mov_b32 s22, exec_lo
	v_cmpx_ne_u32_e32 0x7f, v5
	s_cbranch_execz .LBB349_696
; %bb.693:                              ;   in Loop: Header=BB349_15 Depth=1
	v_mov_b32_e32 v30, v14
	v_lshrrev_b32_e32 v4, 3, v5
	v_mov_b32_e32 v29, v13
	s_mov_b32 s23, exec_lo
	v_cmpx_gt_u32_e32 8, v5
; %bb.694:                              ;   in Loop: Header=BB349_15 Depth=1
	v_and_b32_e32 v4, 7, v28
	v_ffbh_u32_e32 v4, v4
	v_min_u32_e32 v4, 32, v4
	v_subrev_nc_u32_e32 v5, 28, v4
	v_sub_nc_u32_e32 v4, 29, v4
	v_lshlrev_b64 v[29:30], v5, v[13:14]
; %bb.695:                              ;   in Loop: Header=BB349_15 Depth=1
	s_or_b32 exec_lo, exec_lo, s23
	v_lshlrev_b32_e32 v5, 20, v29
	v_lshlrev_b32_e32 v9, 24, v13
	v_lshl_add_u32 v4, v4, 23, 0x3c000000
	v_and_b32_e32 v5, 0x700000, v5
	v_and_b32_e32 v9, 0x80000000, v9
	v_or3_b32 v23, v5, v9, v4
.LBB349_696:                            ;   in Loop: Header=BB349_15 Depth=1
	s_or_b32 exec_lo, exec_lo, s22
.LBB349_697:                            ;   in Loop: Header=BB349_15 Depth=1
	s_or_b32 exec_lo, exec_lo, s21
.LBB349_698:                            ;   in Loop: Header=BB349_15 Depth=1
	s_or_b32 exec_lo, exec_lo, s20
	v_cmp_ne_u16_sdwa s5, v13, v14 src0_sel:BYTE_1 src1_sel:DWORD
	s_and_saveexec_b32 s20, s5
	s_cbranch_execz .LBB349_706
; %bb.699:                              ;   in Loop: Header=BB349_15 Depth=1
	v_cmp_ne_u16_sdwa s5, v13, v82 src0_sel:BYTE_1 src1_sel:DWORD
	v_bfrev_b32_e32 v22, 1
	s_and_saveexec_b32 s21, s5
	s_cbranch_execz .LBB349_705
; %bb.700:                              ;   in Loop: Header=BB349_15 Depth=1
	v_mov_b32_e32 v4, 0xffff
	v_mov_b32_e32 v22, 0x7f800001
	s_mov_b32 s22, exec_lo
	v_and_b32_sdwa v4, v4, v13 dst_sel:DWORD dst_unused:UNUSED_PAD src0_sel:DWORD src1_sel:BYTE_1
	v_and_b32_e32 v5, 0x7f, v4
	v_cmpx_ne_u32_e32 0x7f, v5
	s_cbranch_execz .LBB349_704
; %bb.701:                              ;   in Loop: Header=BB349_15 Depth=1
	v_and_b32_e32 v29, 7, v4
	v_mov_b32_e32 v30, v14
	v_lshrrev_b32_e32 v4, 3, v5
	s_mov_b32 s23, exec_lo
	v_cmpx_gt_u32_e32 8, v5
; %bb.702:                              ;   in Loop: Header=BB349_15 Depth=1
	v_ffbh_u32_e32 v4, v29
	v_min_u32_e32 v4, 32, v4
	v_subrev_nc_u32_e32 v5, 28, v4
	v_sub_nc_u32_e32 v4, 29, v4
	v_lshlrev_b64 v[20:21], v5, v[29:30]
	v_and_b32_e32 v29, 7, v20
; %bb.703:                              ;   in Loop: Header=BB349_15 Depth=1
	s_or_b32 exec_lo, exec_lo, s23
	v_lshlrev_b32_e32 v5, 16, v13
	v_lshlrev_b32_e32 v9, 20, v29
	v_lshl_add_u32 v4, v4, 23, 0x3c000000
	v_and_b32_e32 v5, 0x80000000, v5
	v_or3_b32 v22, v9, v5, v4
.LBB349_704:                            ;   in Loop: Header=BB349_15 Depth=1
	s_or_b32 exec_lo, exec_lo, s22
.LBB349_705:                            ;   in Loop: Header=BB349_15 Depth=1
	s_or_b32 exec_lo, exec_lo, s21
.LBB349_706:                            ;   in Loop: Header=BB349_15 Depth=1
	s_or_b32 exec_lo, exec_lo, s20
	v_and_b32_sdwa v4, v28, v84 dst_sel:DWORD dst_unused:UNUSED_PAD src0_sel:WORD_1 src1_sel:DWORD
	v_mov_b32_e32 v50, 0
	v_mov_b32_e32 v18, 0
	s_mov_b32 s20, exec_lo
	v_cmpx_ne_u16_e32 0, v4
	s_cbranch_execz .LBB349_714
; %bb.707:                              ;   in Loop: Header=BB349_15 Depth=1
	v_bfrev_b32_e32 v18, 1
	s_mov_b32 s21, exec_lo
	v_cmpx_ne_u16_e32 0x80, v4
	s_cbranch_execz .LBB349_713
; %bb.708:                              ;   in Loop: Header=BB349_15 Depth=1
	v_bfe_u32 v5, v28, 16, 7
	v_mov_b32_e32 v18, 0x7f800001
	s_mov_b32 s22, exec_lo
	v_cmpx_ne_u32_e32 0x7f, v5
	s_cbranch_execz .LBB349_712
; %bb.709:                              ;   in Loop: Header=BB349_15 Depth=1
	v_mov_b32_e32 v4, 7
	s_mov_b32 s23, exec_lo
	v_and_b32_sdwa v13, v28, v4 dst_sel:DWORD dst_unused:UNUSED_PAD src0_sel:WORD_1 src1_sel:DWORD
	v_mov_b32_e32 v30, v14
	v_lshrrev_b32_e32 v4, 3, v5
	v_mov_b32_e32 v29, v13
	v_cmpx_gt_u32_e32 8, v5
; %bb.710:                              ;   in Loop: Header=BB349_15 Depth=1
	v_ffbh_u32_e32 v4, v13
	v_min_u32_e32 v4, 32, v4
	v_subrev_nc_u32_e32 v5, 28, v4
	v_sub_nc_u32_e32 v4, 29, v4
	v_lshlrev_b64 v[20:21], v5, v[13:14]
	v_and_b32_e32 v29, 7, v20
; %bb.711:                              ;   in Loop: Header=BB349_15 Depth=1
	s_or_b32 exec_lo, exec_lo, s23
	v_lshlrev_b32_sdwa v5, v86, v28 dst_sel:DWORD dst_unused:UNUSED_PAD src0_sel:DWORD src1_sel:WORD_1
	v_lshlrev_b32_e32 v9, 20, v29
	v_lshl_add_u32 v4, v4, 23, 0x3c000000
	v_and_b32_e32 v5, 0x80000000, v5
	v_or3_b32 v18, v9, v5, v4
.LBB349_712:                            ;   in Loop: Header=BB349_15 Depth=1
	s_or_b32 exec_lo, exec_lo, s22
.LBB349_713:                            ;   in Loop: Header=BB349_15 Depth=1
	s_or_b32 exec_lo, exec_lo, s21
.LBB349_714:                            ;   in Loop: Header=BB349_15 Depth=1
	s_or_b32 exec_lo, exec_lo, s20
	s_mov_b32 s20, exec_lo
	v_cmpx_lt_u64_e64 s[12:13], v[27:28]
	s_cbranch_execz .LBB349_722
; %bb.715:                              ;   in Loop: Header=BB349_15 Depth=1
	v_cmp_ne_u32_sdwa s5, v28, v82 src0_sel:BYTE_3 src1_sel:DWORD
	v_bfrev_b32_e32 v50, 1
	s_and_saveexec_b32 s21, s5
	s_cbranch_execz .LBB349_721
; %bb.716:                              ;   in Loop: Header=BB349_15 Depth=1
	v_bfe_u32 v5, v28, 24, 7
	v_mov_b32_e32 v50, 0x7f800001
	s_mov_b32 s22, exec_lo
	v_cmpx_ne_u32_e32 0x7f, v5
	s_cbranch_execz .LBB349_720
; %bb.717:                              ;   in Loop: Header=BB349_15 Depth=1
	v_mov_b32_e32 v4, 7
	s_mov_b32 s23, exec_lo
	v_and_b32_sdwa v13, v28, v4 dst_sel:DWORD dst_unused:UNUSED_PAD src0_sel:BYTE_3 src1_sel:DWORD
	v_mov_b32_e32 v30, v14
	v_lshrrev_b32_e32 v4, 3, v5
	v_mov_b32_e32 v29, v13
	v_cmpx_gt_u32_e32 8, v5
; %bb.718:                              ;   in Loop: Header=BB349_15 Depth=1
	v_ffbh_u32_e32 v4, v13
	v_min_u32_e32 v4, 32, v4
	v_subrev_nc_u32_e32 v5, 28, v4
	v_sub_nc_u32_e32 v4, 29, v4
	v_lshlrev_b64 v[20:21], v5, v[13:14]
	v_and_b32_e32 v29, 7, v20
; %bb.719:                              ;   in Loop: Header=BB349_15 Depth=1
	s_or_b32 exec_lo, exec_lo, s23
	v_lshlrev_b32_sdwa v5, v86, v28 dst_sel:DWORD dst_unused:UNUSED_PAD src0_sel:DWORD src1_sel:BYTE_3
	v_lshlrev_b32_e32 v9, 20, v29
	v_lshl_add_u32 v4, v4, 23, 0x3c000000
	v_and_b32_e32 v5, 0x80000000, v5
	v_or3_b32 v50, v9, v5, v4
.LBB349_720:                            ;   in Loop: Header=BB349_15 Depth=1
	s_or_b32 exec_lo, exec_lo, s22
.LBB349_721:                            ;   in Loop: Header=BB349_15 Depth=1
	s_or_b32 exec_lo, exec_lo, s21
.LBB349_722:                            ;   in Loop: Header=BB349_15 Depth=1
	s_or_b32 exec_lo, exec_lo, s20
	flat_load_dwordx2 v[27:28], v[24:25] offset:520
	v_mov_b32_e32 v52, 0
	v_mov_b32_e32 v51, 0
	s_waitcnt vmcnt(0) lgkmcnt(0)
	v_cmp_ne_u16_sdwa s5, v27, v14 src0_sel:BYTE_0 src1_sel:DWORD
	s_and_saveexec_b32 s20, s5
	s_cbranch_execz .LBB349_730
; %bb.723:                              ;   in Loop: Header=BB349_15 Depth=1
	v_cmp_ne_u16_sdwa s5, v27, v82 src0_sel:BYTE_0 src1_sel:DWORD
	v_bfrev_b32_e32 v51, 1
	s_and_saveexec_b32 s21, s5
	s_cbranch_execz .LBB349_729
; %bb.724:                              ;   in Loop: Header=BB349_15 Depth=1
	v_and_b32_e32 v5, 0x7f, v27
	v_mov_b32_e32 v51, 0x7f800001
	s_mov_b32 s22, exec_lo
	v_cmpx_ne_u32_e32 0x7f, v5
	s_cbranch_execz .LBB349_728
; %bb.725:                              ;   in Loop: Header=BB349_15 Depth=1
	v_mov_b32_e32 v30, v28
	v_lshrrev_b32_e32 v4, 3, v5
	v_mov_b32_e32 v29, v27
	s_mov_b32 s23, exec_lo
	v_cmpx_gt_u32_e32 8, v5
; %bb.726:                              ;   in Loop: Header=BB349_15 Depth=1
	v_and_b32_e32 v4, 7, v27
	v_ffbh_u32_e32 v4, v4
	v_min_u32_e32 v4, 32, v4
	v_subrev_nc_u32_e32 v5, 28, v4
	v_sub_nc_u32_e32 v4, 29, v4
	v_lshlrev_b64 v[29:30], v5, v[27:28]
; %bb.727:                              ;   in Loop: Header=BB349_15 Depth=1
	s_or_b32 exec_lo, exec_lo, s23
	v_lshlrev_b32_e32 v5, 20, v29
	v_lshlrev_b32_e32 v9, 24, v27
	v_lshl_add_u32 v4, v4, 23, 0x3c000000
	v_and_b32_e32 v5, 0x700000, v5
	v_and_b32_e32 v9, 0x80000000, v9
	v_or3_b32 v51, v5, v9, v4
.LBB349_728:                            ;   in Loop: Header=BB349_15 Depth=1
	s_or_b32 exec_lo, exec_lo, s22
.LBB349_729:                            ;   in Loop: Header=BB349_15 Depth=1
	s_or_b32 exec_lo, exec_lo, s21
.LBB349_730:                            ;   in Loop: Header=BB349_15 Depth=1
	s_or_b32 exec_lo, exec_lo, s20
	v_cmp_ne_u16_sdwa s5, v27, v14 src0_sel:BYTE_1 src1_sel:DWORD
	s_and_saveexec_b32 s20, s5
	s_cbranch_execz .LBB349_738
; %bb.731:                              ;   in Loop: Header=BB349_15 Depth=1
	v_cmp_ne_u16_sdwa s5, v27, v82 src0_sel:BYTE_1 src1_sel:DWORD
	v_bfrev_b32_e32 v52, 1
	s_and_saveexec_b32 s21, s5
	s_cbranch_execz .LBB349_737
; %bb.732:                              ;   in Loop: Header=BB349_15 Depth=1
	v_mov_b32_e32 v4, 0xffff
	v_mov_b32_e32 v52, 0x7f800001
	s_mov_b32 s22, exec_lo
	v_and_b32_sdwa v4, v4, v27 dst_sel:DWORD dst_unused:UNUSED_PAD src0_sel:DWORD src1_sel:BYTE_1
	v_and_b32_e32 v5, 0x7f, v4
	v_cmpx_ne_u32_e32 0x7f, v5
	s_cbranch_execz .LBB349_736
; %bb.733:                              ;   in Loop: Header=BB349_15 Depth=1
	v_and_b32_e32 v13, 7, v4
	v_mov_b32_e32 v30, v14
	v_lshrrev_b32_e32 v4, 3, v5
	s_mov_b32 s23, exec_lo
	v_mov_b32_e32 v29, v13
	v_cmpx_gt_u32_e32 8, v5
; %bb.734:                              ;   in Loop: Header=BB349_15 Depth=1
	v_ffbh_u32_e32 v4, v13
	v_min_u32_e32 v4, 32, v4
	v_subrev_nc_u32_e32 v5, 28, v4
	v_sub_nc_u32_e32 v4, 29, v4
	v_lshlrev_b64 v[20:21], v5, v[13:14]
	v_and_b32_e32 v29, 7, v20
; %bb.735:                              ;   in Loop: Header=BB349_15 Depth=1
	s_or_b32 exec_lo, exec_lo, s23
	v_lshlrev_b32_e32 v5, 16, v27
	v_lshlrev_b32_e32 v9, 20, v29
	v_lshl_add_u32 v4, v4, 23, 0x3c000000
	v_and_b32_e32 v5, 0x80000000, v5
	v_or3_b32 v52, v9, v5, v4
.LBB349_736:                            ;   in Loop: Header=BB349_15 Depth=1
	s_or_b32 exec_lo, exec_lo, s22
.LBB349_737:                            ;   in Loop: Header=BB349_15 Depth=1
	s_or_b32 exec_lo, exec_lo, s21
.LBB349_738:                            ;   in Loop: Header=BB349_15 Depth=1
	s_or_b32 exec_lo, exec_lo, s20
	v_and_b32_sdwa v4, v27, v84 dst_sel:DWORD dst_unused:UNUSED_PAD src0_sel:WORD_1 src1_sel:DWORD
	v_mov_b32_e32 v54, 0
	v_mov_b32_e32 v53, 0
	s_mov_b32 s20, exec_lo
	v_cmpx_ne_u16_e32 0, v4
	s_cbranch_execz .LBB349_746
; %bb.739:                              ;   in Loop: Header=BB349_15 Depth=1
	v_bfrev_b32_e32 v53, 1
	s_mov_b32 s21, exec_lo
	v_cmpx_ne_u16_e32 0x80, v4
	s_cbranch_execz .LBB349_745
; %bb.740:                              ;   in Loop: Header=BB349_15 Depth=1
	v_bfe_u32 v5, v27, 16, 7
	v_mov_b32_e32 v53, 0x7f800001
	s_mov_b32 s22, exec_lo
	v_cmpx_ne_u32_e32 0x7f, v5
	s_cbranch_execz .LBB349_744
; %bb.741:                              ;   in Loop: Header=BB349_15 Depth=1
	v_mov_b32_e32 v4, 7
	s_mov_b32 s23, exec_lo
	v_and_b32_sdwa v13, v27, v4 dst_sel:DWORD dst_unused:UNUSED_PAD src0_sel:WORD_1 src1_sel:DWORD
	v_mov_b32_e32 v30, v14
	v_lshrrev_b32_e32 v4, 3, v5
	v_mov_b32_e32 v29, v13
	v_cmpx_gt_u32_e32 8, v5
; %bb.742:                              ;   in Loop: Header=BB349_15 Depth=1
	v_ffbh_u32_e32 v4, v13
	v_min_u32_e32 v4, 32, v4
	v_subrev_nc_u32_e32 v5, 28, v4
	v_sub_nc_u32_e32 v4, 29, v4
	v_lshlrev_b64 v[20:21], v5, v[13:14]
	v_and_b32_e32 v29, 7, v20
; %bb.743:                              ;   in Loop: Header=BB349_15 Depth=1
	s_or_b32 exec_lo, exec_lo, s23
	v_lshlrev_b32_sdwa v5, v86, v27 dst_sel:DWORD dst_unused:UNUSED_PAD src0_sel:DWORD src1_sel:WORD_1
	v_lshlrev_b32_e32 v9, 20, v29
	v_lshl_add_u32 v4, v4, 23, 0x3c000000
	v_and_b32_e32 v5, 0x80000000, v5
	v_or3_b32 v53, v9, v5, v4
.LBB349_744:                            ;   in Loop: Header=BB349_15 Depth=1
	s_or_b32 exec_lo, exec_lo, s22
.LBB349_745:                            ;   in Loop: Header=BB349_15 Depth=1
	s_or_b32 exec_lo, exec_lo, s21
.LBB349_746:                            ;   in Loop: Header=BB349_15 Depth=1
	s_or_b32 exec_lo, exec_lo, s20
	s_mov_b32 s20, exec_lo
	v_cmpx_lt_u32_e32 0xffffff, v27
	s_cbranch_execz .LBB349_754
; %bb.747:                              ;   in Loop: Header=BB349_15 Depth=1
	v_cmp_ne_u32_sdwa s5, v27, v82 src0_sel:BYTE_3 src1_sel:DWORD
	v_bfrev_b32_e32 v54, 1
	s_and_saveexec_b32 s21, s5
	s_cbranch_execz .LBB349_753
; %bb.748:                              ;   in Loop: Header=BB349_15 Depth=1
	v_bfe_u32 v5, v27, 24, 7
	v_mov_b32_e32 v54, 0x7f800001
	s_mov_b32 s22, exec_lo
	v_cmpx_ne_u32_e32 0x7f, v5
	s_cbranch_execz .LBB349_752
; %bb.749:                              ;   in Loop: Header=BB349_15 Depth=1
	v_mov_b32_e32 v4, 7
	s_mov_b32 s23, exec_lo
	v_and_b32_sdwa v13, v27, v4 dst_sel:DWORD dst_unused:UNUSED_PAD src0_sel:BYTE_3 src1_sel:DWORD
	v_mov_b32_e32 v30, v14
	v_lshrrev_b32_e32 v4, 3, v5
	v_mov_b32_e32 v29, v13
	v_cmpx_gt_u32_e32 8, v5
; %bb.750:                              ;   in Loop: Header=BB349_15 Depth=1
	v_ffbh_u32_e32 v4, v13
	v_min_u32_e32 v4, 32, v4
	v_subrev_nc_u32_e32 v5, 28, v4
	v_sub_nc_u32_e32 v4, 29, v4
	v_lshlrev_b64 v[20:21], v5, v[13:14]
	v_and_b32_e32 v29, 7, v20
; %bb.751:                              ;   in Loop: Header=BB349_15 Depth=1
	s_or_b32 exec_lo, exec_lo, s23
	v_lshlrev_b32_sdwa v5, v86, v27 dst_sel:DWORD dst_unused:UNUSED_PAD src0_sel:DWORD src1_sel:BYTE_3
	v_lshlrev_b32_e32 v9, 20, v29
	v_lshl_add_u32 v4, v4, 23, 0x3c000000
	v_and_b32_e32 v5, 0x80000000, v5
	v_or3_b32 v54, v9, v5, v4
.LBB349_752:                            ;   in Loop: Header=BB349_15 Depth=1
	s_or_b32 exec_lo, exec_lo, s22
.LBB349_753:                            ;   in Loop: Header=BB349_15 Depth=1
	s_or_b32 exec_lo, exec_lo, s21
.LBB349_754:                            ;   in Loop: Header=BB349_15 Depth=1
	s_or_b32 exec_lo, exec_lo, s20
	v_mov_b32_e32 v13, v28
	v_cmp_ne_u16_sdwa s5, v28, v14 src0_sel:BYTE_0 src1_sel:DWORD
	v_mov_b32_e32 v64, 0
	v_mov_b32_e32 v55, 0
	s_and_saveexec_b32 s20, s5
	s_cbranch_execz .LBB349_762
; %bb.755:                              ;   in Loop: Header=BB349_15 Depth=1
	v_cmp_ne_u16_sdwa s5, v28, v82 src0_sel:BYTE_0 src1_sel:DWORD
	v_bfrev_b32_e32 v55, 1
	s_and_saveexec_b32 s21, s5
	s_cbranch_execz .LBB349_761
; %bb.756:                              ;   in Loop: Header=BB349_15 Depth=1
	v_and_b32_e32 v5, 0x7f, v28
	v_mov_b32_e32 v55, 0x7f800001
	s_mov_b32 s22, exec_lo
	v_cmpx_ne_u32_e32 0x7f, v5
	s_cbranch_execz .LBB349_760
; %bb.757:                              ;   in Loop: Header=BB349_15 Depth=1
	v_mov_b32_e32 v30, v14
	v_lshrrev_b32_e32 v4, 3, v5
	v_mov_b32_e32 v29, v13
	s_mov_b32 s23, exec_lo
	v_cmpx_gt_u32_e32 8, v5
; %bb.758:                              ;   in Loop: Header=BB349_15 Depth=1
	v_and_b32_e32 v4, 7, v28
	v_ffbh_u32_e32 v4, v4
	v_min_u32_e32 v4, 32, v4
	v_subrev_nc_u32_e32 v5, 28, v4
	v_sub_nc_u32_e32 v4, 29, v4
	v_lshlrev_b64 v[29:30], v5, v[13:14]
; %bb.759:                              ;   in Loop: Header=BB349_15 Depth=1
	s_or_b32 exec_lo, exec_lo, s23
	v_lshlrev_b32_e32 v5, 20, v29
	v_lshlrev_b32_e32 v9, 24, v13
	v_lshl_add_u32 v4, v4, 23, 0x3c000000
	v_and_b32_e32 v5, 0x700000, v5
	v_and_b32_e32 v9, 0x80000000, v9
	v_or3_b32 v55, v5, v9, v4
.LBB349_760:                            ;   in Loop: Header=BB349_15 Depth=1
	s_or_b32 exec_lo, exec_lo, s22
.LBB349_761:                            ;   in Loop: Header=BB349_15 Depth=1
	s_or_b32 exec_lo, exec_lo, s21
.LBB349_762:                            ;   in Loop: Header=BB349_15 Depth=1
	s_or_b32 exec_lo, exec_lo, s20
	v_cmp_ne_u16_sdwa s5, v13, v14 src0_sel:BYTE_1 src1_sel:DWORD
	s_and_saveexec_b32 s20, s5
	s_cbranch_execz .LBB349_770
; %bb.763:                              ;   in Loop: Header=BB349_15 Depth=1
	v_cmp_ne_u16_sdwa s5, v13, v82 src0_sel:BYTE_1 src1_sel:DWORD
	v_bfrev_b32_e32 v64, 1
	s_and_saveexec_b32 s21, s5
	s_cbranch_execz .LBB349_769
; %bb.764:                              ;   in Loop: Header=BB349_15 Depth=1
	v_mov_b32_e32 v4, 0xffff
	v_mov_b32_e32 v64, 0x7f800001
	s_mov_b32 s22, exec_lo
	v_and_b32_sdwa v4, v4, v13 dst_sel:DWORD dst_unused:UNUSED_PAD src0_sel:DWORD src1_sel:BYTE_1
	v_and_b32_e32 v5, 0x7f, v4
	v_cmpx_ne_u32_e32 0x7f, v5
	s_cbranch_execz .LBB349_768
; %bb.765:                              ;   in Loop: Header=BB349_15 Depth=1
	v_and_b32_e32 v29, 7, v4
	v_mov_b32_e32 v30, v14
	v_lshrrev_b32_e32 v4, 3, v5
	s_mov_b32 s23, exec_lo
	v_cmpx_gt_u32_e32 8, v5
; %bb.766:                              ;   in Loop: Header=BB349_15 Depth=1
	v_ffbh_u32_e32 v4, v29
	v_min_u32_e32 v4, 32, v4
	v_subrev_nc_u32_e32 v5, 28, v4
	v_sub_nc_u32_e32 v4, 29, v4
	v_lshlrev_b64 v[20:21], v5, v[29:30]
	v_and_b32_e32 v29, 7, v20
; %bb.767:                              ;   in Loop: Header=BB349_15 Depth=1
	s_or_b32 exec_lo, exec_lo, s23
	v_lshlrev_b32_e32 v5, 16, v13
	v_lshlrev_b32_e32 v9, 20, v29
	v_lshl_add_u32 v4, v4, 23, 0x3c000000
	v_and_b32_e32 v5, 0x80000000, v5
	v_or3_b32 v64, v9, v5, v4
.LBB349_768:                            ;   in Loop: Header=BB349_15 Depth=1
	s_or_b32 exec_lo, exec_lo, s22
.LBB349_769:                            ;   in Loop: Header=BB349_15 Depth=1
	s_or_b32 exec_lo, exec_lo, s21
.LBB349_770:                            ;   in Loop: Header=BB349_15 Depth=1
	s_or_b32 exec_lo, exec_lo, s20
	v_and_b32_sdwa v4, v28, v84 dst_sel:DWORD dst_unused:UNUSED_PAD src0_sel:WORD_1 src1_sel:DWORD
	v_mov_b32_e32 v66, 0
	v_mov_b32_e32 v71, 0
	s_mov_b32 s20, exec_lo
	v_cmpx_ne_u16_e32 0, v4
	s_cbranch_execz .LBB349_778
; %bb.771:                              ;   in Loop: Header=BB349_15 Depth=1
	v_bfrev_b32_e32 v71, 1
	s_mov_b32 s21, exec_lo
	v_cmpx_ne_u16_e32 0x80, v4
	s_cbranch_execz .LBB349_777
; %bb.772:                              ;   in Loop: Header=BB349_15 Depth=1
	v_bfe_u32 v5, v28, 16, 7
	v_mov_b32_e32 v71, 0x7f800001
	s_mov_b32 s22, exec_lo
	v_cmpx_ne_u32_e32 0x7f, v5
	s_cbranch_execz .LBB349_776
; %bb.773:                              ;   in Loop: Header=BB349_15 Depth=1
	v_mov_b32_e32 v4, 7
	s_mov_b32 s23, exec_lo
	v_and_b32_sdwa v13, v28, v4 dst_sel:DWORD dst_unused:UNUSED_PAD src0_sel:WORD_1 src1_sel:DWORD
	v_mov_b32_e32 v30, v14
	v_lshrrev_b32_e32 v4, 3, v5
	v_mov_b32_e32 v29, v13
	v_cmpx_gt_u32_e32 8, v5
; %bb.774:                              ;   in Loop: Header=BB349_15 Depth=1
	v_ffbh_u32_e32 v4, v13
	v_min_u32_e32 v4, 32, v4
	v_subrev_nc_u32_e32 v5, 28, v4
	v_sub_nc_u32_e32 v4, 29, v4
	v_lshlrev_b64 v[20:21], v5, v[13:14]
	v_and_b32_e32 v29, 7, v20
; %bb.775:                              ;   in Loop: Header=BB349_15 Depth=1
	s_or_b32 exec_lo, exec_lo, s23
	v_lshlrev_b32_sdwa v5, v86, v28 dst_sel:DWORD dst_unused:UNUSED_PAD src0_sel:DWORD src1_sel:WORD_1
	v_lshlrev_b32_e32 v9, 20, v29
	v_lshl_add_u32 v4, v4, 23, 0x3c000000
	v_and_b32_e32 v5, 0x80000000, v5
	v_or3_b32 v71, v9, v5, v4
.LBB349_776:                            ;   in Loop: Header=BB349_15 Depth=1
	s_or_b32 exec_lo, exec_lo, s22
.LBB349_777:                            ;   in Loop: Header=BB349_15 Depth=1
	s_or_b32 exec_lo, exec_lo, s21
.LBB349_778:                            ;   in Loop: Header=BB349_15 Depth=1
	s_or_b32 exec_lo, exec_lo, s20
	s_mov_b32 s20, exec_lo
	v_cmpx_lt_u64_e64 s[12:13], v[27:28]
	s_cbranch_execz .LBB349_786
; %bb.779:                              ;   in Loop: Header=BB349_15 Depth=1
	v_cmp_ne_u32_sdwa s5, v28, v82 src0_sel:BYTE_3 src1_sel:DWORD
	v_bfrev_b32_e32 v66, 1
	s_and_saveexec_b32 s21, s5
	s_cbranch_execz .LBB349_785
; %bb.780:                              ;   in Loop: Header=BB349_15 Depth=1
	v_bfe_u32 v5, v28, 24, 7
	v_mov_b32_e32 v66, 0x7f800001
	s_mov_b32 s22, exec_lo
	v_cmpx_ne_u32_e32 0x7f, v5
	s_cbranch_execz .LBB349_784
; %bb.781:                              ;   in Loop: Header=BB349_15 Depth=1
	v_mov_b32_e32 v4, 7
	s_mov_b32 s23, exec_lo
	v_and_b32_sdwa v13, v28, v4 dst_sel:DWORD dst_unused:UNUSED_PAD src0_sel:BYTE_3 src1_sel:DWORD
	v_mov_b32_e32 v30, v14
	v_lshrrev_b32_e32 v4, 3, v5
	v_mov_b32_e32 v29, v13
	v_cmpx_gt_u32_e32 8, v5
; %bb.782:                              ;   in Loop: Header=BB349_15 Depth=1
	v_ffbh_u32_e32 v4, v13
	v_min_u32_e32 v4, 32, v4
	v_subrev_nc_u32_e32 v5, 28, v4
	v_sub_nc_u32_e32 v4, 29, v4
	v_lshlrev_b64 v[20:21], v5, v[13:14]
	v_and_b32_e32 v29, 7, v20
; %bb.783:                              ;   in Loop: Header=BB349_15 Depth=1
	s_or_b32 exec_lo, exec_lo, s23
	v_lshlrev_b32_sdwa v5, v86, v28 dst_sel:DWORD dst_unused:UNUSED_PAD src0_sel:DWORD src1_sel:BYTE_3
	v_lshlrev_b32_e32 v9, 20, v29
	v_lshl_add_u32 v4, v4, 23, 0x3c000000
	v_and_b32_e32 v5, 0x80000000, v5
	v_or3_b32 v66, v9, v5, v4
.LBB349_784:                            ;   in Loop: Header=BB349_15 Depth=1
	s_or_b32 exec_lo, exec_lo, s22
.LBB349_785:                            ;   in Loop: Header=BB349_15 Depth=1
	s_or_b32 exec_lo, exec_lo, s21
.LBB349_786:                            ;   in Loop: Header=BB349_15 Depth=1
	s_or_b32 exec_lo, exec_lo, s20
	flat_load_dwordx2 v[27:28], v[24:25] offset:1024
	v_mov_b32_e32 v9, 0
	v_mov_b32_e32 v48, 0
	s_waitcnt vmcnt(0) lgkmcnt(0)
	v_cmp_ne_u16_sdwa s5, v27, v14 src0_sel:BYTE_0 src1_sel:DWORD
	s_and_saveexec_b32 s20, s5
	s_cbranch_execz .LBB349_794
; %bb.787:                              ;   in Loop: Header=BB349_15 Depth=1
	v_cmp_ne_u16_sdwa s5, v27, v82 src0_sel:BYTE_0 src1_sel:DWORD
	v_bfrev_b32_e32 v48, 1
	s_and_saveexec_b32 s21, s5
	s_cbranch_execz .LBB349_793
; %bb.788:                              ;   in Loop: Header=BB349_15 Depth=1
	v_and_b32_e32 v5, 0x7f, v27
	v_mov_b32_e32 v48, 0x7f800001
	s_mov_b32 s22, exec_lo
	v_cmpx_ne_u32_e32 0x7f, v5
	s_cbranch_execz .LBB349_792
; %bb.789:                              ;   in Loop: Header=BB349_15 Depth=1
	v_mov_b32_e32 v30, v28
	v_lshrrev_b32_e32 v4, 3, v5
	v_mov_b32_e32 v29, v27
	s_mov_b32 s23, exec_lo
	v_cmpx_gt_u32_e32 8, v5
; %bb.790:                              ;   in Loop: Header=BB349_15 Depth=1
	v_and_b32_e32 v4, 7, v27
	v_ffbh_u32_e32 v4, v4
	v_min_u32_e32 v4, 32, v4
	v_subrev_nc_u32_e32 v5, 28, v4
	v_sub_nc_u32_e32 v4, 29, v4
	v_lshlrev_b64 v[29:30], v5, v[27:28]
; %bb.791:                              ;   in Loop: Header=BB349_15 Depth=1
	s_or_b32 exec_lo, exec_lo, s23
	v_lshlrev_b32_e32 v5, 20, v29
	v_lshlrev_b32_e32 v13, 24, v27
	v_lshl_add_u32 v4, v4, 23, 0x3c000000
	v_and_b32_e32 v5, 0x700000, v5
	v_and_b32_e32 v13, 0x80000000, v13
	v_or3_b32 v48, v5, v13, v4
.LBB349_792:                            ;   in Loop: Header=BB349_15 Depth=1
	s_or_b32 exec_lo, exec_lo, s22
.LBB349_793:                            ;   in Loop: Header=BB349_15 Depth=1
	s_or_b32 exec_lo, exec_lo, s21
.LBB349_794:                            ;   in Loop: Header=BB349_15 Depth=1
	s_or_b32 exec_lo, exec_lo, s20
	v_cmp_ne_u16_sdwa s5, v27, v14 src0_sel:BYTE_1 src1_sel:DWORD
	s_and_saveexec_b32 s20, s5
	s_cbranch_execz .LBB349_802
; %bb.795:                              ;   in Loop: Header=BB349_15 Depth=1
	v_cmp_ne_u16_sdwa s5, v27, v82 src0_sel:BYTE_1 src1_sel:DWORD
	v_bfrev_b32_e32 v9, 1
	s_and_saveexec_b32 s21, s5
	s_cbranch_execz .LBB349_801
; %bb.796:                              ;   in Loop: Header=BB349_15 Depth=1
	v_mov_b32_e32 v4, 0xffff
	v_mov_b32_e32 v9, 0x7f800001
	s_mov_b32 s22, exec_lo
	v_and_b32_sdwa v4, v4, v27 dst_sel:DWORD dst_unused:UNUSED_PAD src0_sel:DWORD src1_sel:BYTE_1
	v_and_b32_e32 v5, 0x7f, v4
	v_cmpx_ne_u32_e32 0x7f, v5
	s_cbranch_execz .LBB349_800
; %bb.797:                              ;   in Loop: Header=BB349_15 Depth=1
	v_and_b32_e32 v13, 7, v4
	v_mov_b32_e32 v30, v14
	v_lshrrev_b32_e32 v4, 3, v5
	s_mov_b32 s23, exec_lo
	v_mov_b32_e32 v29, v13
	v_cmpx_gt_u32_e32 8, v5
; %bb.798:                              ;   in Loop: Header=BB349_15 Depth=1
	v_ffbh_u32_e32 v4, v13
	v_min_u32_e32 v4, 32, v4
	v_subrev_nc_u32_e32 v5, 28, v4
	v_sub_nc_u32_e32 v4, 29, v4
	v_lshlrev_b64 v[20:21], v5, v[13:14]
	v_and_b32_e32 v29, 7, v20
; %bb.799:                              ;   in Loop: Header=BB349_15 Depth=1
	s_or_b32 exec_lo, exec_lo, s23
	v_lshlrev_b32_e32 v5, 16, v27
	v_lshlrev_b32_e32 v9, 20, v29
	v_lshl_add_u32 v4, v4, 23, 0x3c000000
	v_and_b32_e32 v5, 0x80000000, v5
	v_or3_b32 v9, v9, v5, v4
.LBB349_800:                            ;   in Loop: Header=BB349_15 Depth=1
	s_or_b32 exec_lo, exec_lo, s22
.LBB349_801:                            ;   in Loop: Header=BB349_15 Depth=1
	s_or_b32 exec_lo, exec_lo, s21
.LBB349_802:                            ;   in Loop: Header=BB349_15 Depth=1
	s_or_b32 exec_lo, exec_lo, s20
	v_and_b32_sdwa v4, v27, v84 dst_sel:DWORD dst_unused:UNUSED_PAD src0_sel:WORD_1 src1_sel:DWORD
	v_mov_b32_e32 v68, 0
	v_mov_b32_e32 v21, 0
	s_mov_b32 s20, exec_lo
	v_cmpx_ne_u16_e32 0, v4
	s_cbranch_execz .LBB349_810
; %bb.803:                              ;   in Loop: Header=BB349_15 Depth=1
	v_bfrev_b32_e32 v21, 1
	s_mov_b32 s21, exec_lo
	v_cmpx_ne_u16_e32 0x80, v4
	s_cbranch_execz .LBB349_809
; %bb.804:                              ;   in Loop: Header=BB349_15 Depth=1
	v_bfe_u32 v5, v27, 16, 7
	v_mov_b32_e32 v21, 0x7f800001
	s_mov_b32 s22, exec_lo
	v_cmpx_ne_u32_e32 0x7f, v5
	s_cbranch_execz .LBB349_808
; %bb.805:                              ;   in Loop: Header=BB349_15 Depth=1
	v_mov_b32_e32 v4, 7
	s_mov_b32 s23, exec_lo
	v_and_b32_sdwa v13, v27, v4 dst_sel:DWORD dst_unused:UNUSED_PAD src0_sel:WORD_1 src1_sel:DWORD
	v_mov_b32_e32 v30, v14
	v_lshrrev_b32_e32 v4, 3, v5
	v_mov_b32_e32 v29, v13
	v_cmpx_gt_u32_e32 8, v5
; %bb.806:                              ;   in Loop: Header=BB349_15 Depth=1
	v_ffbh_u32_e32 v4, v13
	v_min_u32_e32 v4, 32, v4
	v_subrev_nc_u32_e32 v5, 28, v4
	v_sub_nc_u32_e32 v4, 29, v4
	v_lshlrev_b64 v[20:21], v5, v[13:14]
	v_and_b32_e32 v29, 7, v20
; %bb.807:                              ;   in Loop: Header=BB349_15 Depth=1
	s_or_b32 exec_lo, exec_lo, s23
	v_lshlrev_b32_sdwa v5, v86, v27 dst_sel:DWORD dst_unused:UNUSED_PAD src0_sel:DWORD src1_sel:WORD_1
	v_lshlrev_b32_e32 v13, 20, v29
	v_lshl_add_u32 v4, v4, 23, 0x3c000000
	v_and_b32_e32 v5, 0x80000000, v5
	v_or3_b32 v21, v13, v5, v4
.LBB349_808:                            ;   in Loop: Header=BB349_15 Depth=1
	s_or_b32 exec_lo, exec_lo, s22
.LBB349_809:                            ;   in Loop: Header=BB349_15 Depth=1
	s_or_b32 exec_lo, exec_lo, s21
.LBB349_810:                            ;   in Loop: Header=BB349_15 Depth=1
	s_or_b32 exec_lo, exec_lo, s20
	s_mov_b32 s20, exec_lo
	v_cmpx_lt_u32_e32 0xffffff, v27
	s_cbranch_execz .LBB349_818
; %bb.811:                              ;   in Loop: Header=BB349_15 Depth=1
	v_cmp_ne_u32_sdwa s5, v27, v82 src0_sel:BYTE_3 src1_sel:DWORD
	v_bfrev_b32_e32 v68, 1
	s_and_saveexec_b32 s21, s5
	s_cbranch_execz .LBB349_817
; %bb.812:                              ;   in Loop: Header=BB349_15 Depth=1
	v_bfe_u32 v5, v27, 24, 7
	v_mov_b32_e32 v68, 0x7f800001
	s_mov_b32 s22, exec_lo
	v_cmpx_ne_u32_e32 0x7f, v5
	s_cbranch_execz .LBB349_816
; %bb.813:                              ;   in Loop: Header=BB349_15 Depth=1
	v_mov_b32_e32 v4, 7
	s_mov_b32 s23, exec_lo
	v_and_b32_sdwa v13, v27, v4 dst_sel:DWORD dst_unused:UNUSED_PAD src0_sel:BYTE_3 src1_sel:DWORD
	v_mov_b32_e32 v30, v14
	v_lshrrev_b32_e32 v4, 3, v5
	v_mov_b32_e32 v29, v13
	v_cmpx_gt_u32_e32 8, v5
; %bb.814:                              ;   in Loop: Header=BB349_15 Depth=1
	v_ffbh_u32_e32 v4, v13
	v_min_u32_e32 v4, 32, v4
	v_subrev_nc_u32_e32 v5, 28, v4
	v_sub_nc_u32_e32 v4, 29, v4
	v_lshlrev_b64 v[29:30], v5, v[13:14]
	v_and_b32_e32 v29, 7, v29
; %bb.815:                              ;   in Loop: Header=BB349_15 Depth=1
	s_or_b32 exec_lo, exec_lo, s23
	v_lshlrev_b32_sdwa v5, v86, v27 dst_sel:DWORD dst_unused:UNUSED_PAD src0_sel:DWORD src1_sel:BYTE_3
	v_lshlrev_b32_e32 v13, 20, v29
	v_lshl_add_u32 v4, v4, 23, 0x3c000000
	v_and_b32_e32 v5, 0x80000000, v5
	v_or3_b32 v68, v13, v5, v4
.LBB349_816:                            ;   in Loop: Header=BB349_15 Depth=1
	s_or_b32 exec_lo, exec_lo, s22
.LBB349_817:                            ;   in Loop: Header=BB349_15 Depth=1
	s_or_b32 exec_lo, exec_lo, s21
.LBB349_818:                            ;   in Loop: Header=BB349_15 Depth=1
	s_or_b32 exec_lo, exec_lo, s20
	v_mov_b32_e32 v13, v28
	v_cmp_ne_u16_sdwa s5, v28, v14 src0_sel:BYTE_0 src1_sel:DWORD
	v_mov_b32_e32 v100, 0
	v_mov_b32_e32 v97, 0
	s_and_saveexec_b32 s20, s5
	s_cbranch_execz .LBB349_826
; %bb.819:                              ;   in Loop: Header=BB349_15 Depth=1
	v_cmp_ne_u16_sdwa s5, v28, v82 src0_sel:BYTE_0 src1_sel:DWORD
	v_bfrev_b32_e32 v97, 1
	s_and_saveexec_b32 s21, s5
	s_cbranch_execz .LBB349_825
; %bb.820:                              ;   in Loop: Header=BB349_15 Depth=1
	v_and_b32_e32 v5, 0x7f, v28
	v_mov_b32_e32 v97, 0x7f800001
	s_mov_b32 s22, exec_lo
	v_cmpx_ne_u32_e32 0x7f, v5
	s_cbranch_execz .LBB349_824
; %bb.821:                              ;   in Loop: Header=BB349_15 Depth=1
	v_mov_b32_e32 v30, v14
	v_lshrrev_b32_e32 v4, 3, v5
	v_mov_b32_e32 v29, v13
	s_mov_b32 s23, exec_lo
	v_cmpx_gt_u32_e32 8, v5
; %bb.822:                              ;   in Loop: Header=BB349_15 Depth=1
	v_and_b32_e32 v4, 7, v28
	v_ffbh_u32_e32 v4, v4
	v_min_u32_e32 v4, 32, v4
	v_subrev_nc_u32_e32 v5, 28, v4
	v_sub_nc_u32_e32 v4, 29, v4
	v_lshlrev_b64 v[29:30], v5, v[13:14]
; %bb.823:                              ;   in Loop: Header=BB349_15 Depth=1
	s_or_b32 exec_lo, exec_lo, s23
	v_lshlrev_b32_e32 v5, 20, v29
	v_lshlrev_b32_e32 v20, 24, v13
	v_lshl_add_u32 v4, v4, 23, 0x3c000000
	v_and_b32_e32 v5, 0x700000, v5
	v_and_b32_e32 v20, 0x80000000, v20
	v_or3_b32 v97, v5, v20, v4
.LBB349_824:                            ;   in Loop: Header=BB349_15 Depth=1
	s_or_b32 exec_lo, exec_lo, s22
.LBB349_825:                            ;   in Loop: Header=BB349_15 Depth=1
	s_or_b32 exec_lo, exec_lo, s21
.LBB349_826:                            ;   in Loop: Header=BB349_15 Depth=1
	s_or_b32 exec_lo, exec_lo, s20
	v_cmp_ne_u16_sdwa s5, v13, v14 src0_sel:BYTE_1 src1_sel:DWORD
	s_and_saveexec_b32 s20, s5
	s_cbranch_execz .LBB349_834
; %bb.827:                              ;   in Loop: Header=BB349_15 Depth=1
	v_cmp_ne_u16_sdwa s5, v13, v82 src0_sel:BYTE_1 src1_sel:DWORD
	v_bfrev_b32_e32 v100, 1
	s_and_saveexec_b32 s21, s5
	s_cbranch_execz .LBB349_833
; %bb.828:                              ;   in Loop: Header=BB349_15 Depth=1
	v_mov_b32_e32 v4, 0xffff
	v_mov_b32_e32 v100, 0x7f800001
	s_mov_b32 s22, exec_lo
	v_and_b32_sdwa v4, v4, v13 dst_sel:DWORD dst_unused:UNUSED_PAD src0_sel:DWORD src1_sel:BYTE_1
	v_and_b32_e32 v5, 0x7f, v4
	v_cmpx_ne_u32_e32 0x7f, v5
	s_cbranch_execz .LBB349_832
; %bb.829:                              ;   in Loop: Header=BB349_15 Depth=1
	v_and_b32_e32 v29, 7, v4
	v_mov_b32_e32 v30, v14
	v_lshrrev_b32_e32 v4, 3, v5
	s_mov_b32 s23, exec_lo
	v_cmpx_gt_u32_e32 8, v5
; %bb.830:                              ;   in Loop: Header=BB349_15 Depth=1
	v_ffbh_u32_e32 v4, v29
	v_min_u32_e32 v4, 32, v4
	v_subrev_nc_u32_e32 v5, 28, v4
	v_sub_nc_u32_e32 v4, 29, v4
	v_lshlrev_b64 v[29:30], v5, v[29:30]
	v_and_b32_e32 v29, 7, v29
; %bb.831:                              ;   in Loop: Header=BB349_15 Depth=1
	s_or_b32 exec_lo, exec_lo, s23
	v_lshlrev_b32_e32 v5, 16, v13
	v_lshlrev_b32_e32 v13, 20, v29
	v_lshl_add_u32 v4, v4, 23, 0x3c000000
	v_and_b32_e32 v5, 0x80000000, v5
	v_or3_b32 v100, v13, v5, v4
.LBB349_832:                            ;   in Loop: Header=BB349_15 Depth=1
	s_or_b32 exec_lo, exec_lo, s22
.LBB349_833:                            ;   in Loop: Header=BB349_15 Depth=1
	s_or_b32 exec_lo, exec_lo, s21
.LBB349_834:                            ;   in Loop: Header=BB349_15 Depth=1
	s_or_b32 exec_lo, exec_lo, s20
	v_and_b32_sdwa v4, v28, v84 dst_sel:DWORD dst_unused:UNUSED_PAD src0_sel:WORD_1 src1_sel:DWORD
	v_mov_b32_e32 v101, 0
	v_mov_b32_e32 v102, 0
	s_mov_b32 s20, exec_lo
	v_cmpx_ne_u16_e32 0, v4
	s_cbranch_execz .LBB349_842
; %bb.835:                              ;   in Loop: Header=BB349_15 Depth=1
	v_bfrev_b32_e32 v102, 1
	s_mov_b32 s21, exec_lo
	v_cmpx_ne_u16_e32 0x80, v4
	s_cbranch_execz .LBB349_841
; %bb.836:                              ;   in Loop: Header=BB349_15 Depth=1
	v_bfe_u32 v5, v28, 16, 7
	v_mov_b32_e32 v102, 0x7f800001
	s_mov_b32 s22, exec_lo
	v_cmpx_ne_u32_e32 0x7f, v5
	s_cbranch_execz .LBB349_840
; %bb.837:                              ;   in Loop: Header=BB349_15 Depth=1
	v_mov_b32_e32 v4, 7
	s_mov_b32 s23, exec_lo
	v_and_b32_sdwa v13, v28, v4 dst_sel:DWORD dst_unused:UNUSED_PAD src0_sel:WORD_1 src1_sel:DWORD
	v_mov_b32_e32 v30, v14
	v_lshrrev_b32_e32 v4, 3, v5
	v_mov_b32_e32 v29, v13
	v_cmpx_gt_u32_e32 8, v5
; %bb.838:                              ;   in Loop: Header=BB349_15 Depth=1
	v_ffbh_u32_e32 v4, v13
	v_min_u32_e32 v4, 32, v4
	v_subrev_nc_u32_e32 v5, 28, v4
	v_sub_nc_u32_e32 v4, 29, v4
	v_lshlrev_b64 v[29:30], v5, v[13:14]
	v_and_b32_e32 v29, 7, v29
; %bb.839:                              ;   in Loop: Header=BB349_15 Depth=1
	s_or_b32 exec_lo, exec_lo, s23
	v_lshlrev_b32_sdwa v5, v86, v28 dst_sel:DWORD dst_unused:UNUSED_PAD src0_sel:DWORD src1_sel:WORD_1
	v_lshlrev_b32_e32 v13, 20, v29
	v_lshl_add_u32 v4, v4, 23, 0x3c000000
	v_and_b32_e32 v5, 0x80000000, v5
	v_or3_b32 v102, v13, v5, v4
.LBB349_840:                            ;   in Loop: Header=BB349_15 Depth=1
	s_or_b32 exec_lo, exec_lo, s22
.LBB349_841:                            ;   in Loop: Header=BB349_15 Depth=1
	s_or_b32 exec_lo, exec_lo, s21
.LBB349_842:                            ;   in Loop: Header=BB349_15 Depth=1
	s_or_b32 exec_lo, exec_lo, s20
	s_mov_b32 s20, exec_lo
	v_cmpx_lt_u64_e64 s[12:13], v[27:28]
	s_cbranch_execz .LBB349_850
; %bb.843:                              ;   in Loop: Header=BB349_15 Depth=1
	v_cmp_ne_u32_sdwa s5, v28, v82 src0_sel:BYTE_3 src1_sel:DWORD
	v_bfrev_b32_e32 v101, 1
	s_and_saveexec_b32 s21, s5
	s_cbranch_execz .LBB349_849
; %bb.844:                              ;   in Loop: Header=BB349_15 Depth=1
	v_bfe_u32 v5, v28, 24, 7
	v_mov_b32_e32 v101, 0x7f800001
	s_mov_b32 s22, exec_lo
	v_cmpx_ne_u32_e32 0x7f, v5
	s_cbranch_execz .LBB349_848
; %bb.845:                              ;   in Loop: Header=BB349_15 Depth=1
	v_mov_b32_e32 v4, 7
	s_mov_b32 s23, exec_lo
	v_and_b32_sdwa v13, v28, v4 dst_sel:DWORD dst_unused:UNUSED_PAD src0_sel:BYTE_3 src1_sel:DWORD
	v_mov_b32_e32 v30, v14
	v_lshrrev_b32_e32 v4, 3, v5
	v_mov_b32_e32 v29, v13
	v_cmpx_gt_u32_e32 8, v5
; %bb.846:                              ;   in Loop: Header=BB349_15 Depth=1
	v_ffbh_u32_e32 v4, v13
	v_min_u32_e32 v4, 32, v4
	v_subrev_nc_u32_e32 v5, 28, v4
	v_sub_nc_u32_e32 v4, 29, v4
	v_lshlrev_b64 v[29:30], v5, v[13:14]
	v_and_b32_e32 v29, 7, v29
; %bb.847:                              ;   in Loop: Header=BB349_15 Depth=1
	s_or_b32 exec_lo, exec_lo, s23
	v_lshlrev_b32_sdwa v5, v86, v28 dst_sel:DWORD dst_unused:UNUSED_PAD src0_sel:DWORD src1_sel:BYTE_3
	v_lshlrev_b32_e32 v13, 20, v29
	v_lshl_add_u32 v4, v4, 23, 0x3c000000
	v_and_b32_e32 v5, 0x80000000, v5
	v_or3_b32 v101, v13, v5, v4
.LBB349_848:                            ;   in Loop: Header=BB349_15 Depth=1
	s_or_b32 exec_lo, exec_lo, s22
.LBB349_849:                            ;   in Loop: Header=BB349_15 Depth=1
	s_or_b32 exec_lo, exec_lo, s21
.LBB349_850:                            ;   in Loop: Header=BB349_15 Depth=1
	s_or_b32 exec_lo, exec_lo, s20
	flat_load_dwordx2 v[24:25], v[24:25] offset:1032
	v_mov_b32_e32 v30, 0
	v_mov_b32_e32 v29, 0
	s_waitcnt vmcnt(0) lgkmcnt(0)
	v_cmp_ne_u16_sdwa s5, v24, v14 src0_sel:BYTE_0 src1_sel:DWORD
	s_and_saveexec_b32 s20, s5
	s_cbranch_execz .LBB349_858
; %bb.851:                              ;   in Loop: Header=BB349_15 Depth=1
	v_cmp_ne_u16_sdwa s5, v24, v82 src0_sel:BYTE_0 src1_sel:DWORD
	v_bfrev_b32_e32 v29, 1
	s_and_saveexec_b32 s21, s5
	s_cbranch_execz .LBB349_857
; %bb.852:                              ;   in Loop: Header=BB349_15 Depth=1
	v_and_b32_e32 v5, 0x7f, v24
	v_mov_b32_e32 v29, 0x7f800001
	s_mov_b32 s22, exec_lo
	v_cmpx_ne_u32_e32 0x7f, v5
	s_cbranch_execz .LBB349_856
; %bb.853:                              ;   in Loop: Header=BB349_15 Depth=1
	v_mov_b32_e32 v28, v25
	v_lshrrev_b32_e32 v4, 3, v5
	v_mov_b32_e32 v27, v24
	s_mov_b32 s23, exec_lo
	v_cmpx_gt_u32_e32 8, v5
; %bb.854:                              ;   in Loop: Header=BB349_15 Depth=1
	v_and_b32_e32 v4, 7, v24
	v_ffbh_u32_e32 v4, v4
	v_min_u32_e32 v4, 32, v4
	v_subrev_nc_u32_e32 v5, 28, v4
	v_sub_nc_u32_e32 v4, 29, v4
	v_lshlrev_b64 v[27:28], v5, v[24:25]
; %bb.855:                              ;   in Loop: Header=BB349_15 Depth=1
	s_or_b32 exec_lo, exec_lo, s23
	v_lshlrev_b32_e32 v5, 20, v27
	v_lshlrev_b32_e32 v13, 24, v24
	v_lshl_add_u32 v4, v4, 23, 0x3c000000
	v_and_b32_e32 v5, 0x700000, v5
	v_and_b32_e32 v13, 0x80000000, v13
	v_or3_b32 v29, v5, v13, v4
.LBB349_856:                            ;   in Loop: Header=BB349_15 Depth=1
	s_or_b32 exec_lo, exec_lo, s22
.LBB349_857:                            ;   in Loop: Header=BB349_15 Depth=1
	s_or_b32 exec_lo, exec_lo, s21
.LBB349_858:                            ;   in Loop: Header=BB349_15 Depth=1
	s_or_b32 exec_lo, exec_lo, s20
	v_cmp_ne_u16_sdwa s5, v24, v14 src0_sel:BYTE_1 src1_sel:DWORD
	s_and_saveexec_b32 s20, s5
	s_cbranch_execz .LBB349_866
; %bb.859:                              ;   in Loop: Header=BB349_15 Depth=1
	v_cmp_ne_u16_sdwa s5, v24, v82 src0_sel:BYTE_1 src1_sel:DWORD
	v_bfrev_b32_e32 v30, 1
	s_and_saveexec_b32 s21, s5
	s_cbranch_execz .LBB349_865
; %bb.860:                              ;   in Loop: Header=BB349_15 Depth=1
	v_mov_b32_e32 v4, 0xffff
	v_mov_b32_e32 v30, 0x7f800001
	s_mov_b32 s22, exec_lo
	v_and_b32_sdwa v4, v4, v24 dst_sel:DWORD dst_unused:UNUSED_PAD src0_sel:DWORD src1_sel:BYTE_1
	v_and_b32_e32 v5, 0x7f, v4
	v_cmpx_ne_u32_e32 0x7f, v5
	s_cbranch_execz .LBB349_864
; %bb.861:                              ;   in Loop: Header=BB349_15 Depth=1
	v_and_b32_e32 v13, 7, v4
	v_mov_b32_e32 v28, v14
	v_lshrrev_b32_e32 v4, 3, v5
	s_mov_b32 s23, exec_lo
	v_mov_b32_e32 v27, v13
	v_cmpx_gt_u32_e32 8, v5
; %bb.862:                              ;   in Loop: Header=BB349_15 Depth=1
	v_ffbh_u32_e32 v4, v13
	v_min_u32_e32 v4, 32, v4
	v_subrev_nc_u32_e32 v5, 28, v4
	v_sub_nc_u32_e32 v4, 29, v4
	v_lshlrev_b64 v[27:28], v5, v[13:14]
	v_and_b32_e32 v27, 7, v27
; %bb.863:                              ;   in Loop: Header=BB349_15 Depth=1
	s_or_b32 exec_lo, exec_lo, s23
	v_lshlrev_b32_e32 v5, 16, v24
	v_lshlrev_b32_e32 v13, 20, v27
	v_lshl_add_u32 v4, v4, 23, 0x3c000000
	v_and_b32_e32 v5, 0x80000000, v5
	v_or3_b32 v30, v13, v5, v4
.LBB349_864:                            ;   in Loop: Header=BB349_15 Depth=1
	s_or_b32 exec_lo, exec_lo, s22
.LBB349_865:                            ;   in Loop: Header=BB349_15 Depth=1
	s_or_b32 exec_lo, exec_lo, s21
.LBB349_866:                            ;   in Loop: Header=BB349_15 Depth=1
	s_or_b32 exec_lo, exec_lo, s20
	v_and_b32_sdwa v13, v24, v84 dst_sel:DWORD dst_unused:UNUSED_PAD src0_sel:WORD_1 src1_sel:DWORD
	v_mov_b32_e32 v5, 0
	v_mov_b32_e32 v4, 0
	s_mov_b32 s20, exec_lo
	v_cmpx_ne_u16_e32 0, v13
	s_cbranch_execz .LBB349_874
; %bb.867:                              ;   in Loop: Header=BB349_15 Depth=1
	v_bfrev_b32_e32 v4, 1
	s_mov_b32 s21, exec_lo
	v_cmpx_ne_u16_e32 0x80, v13
	s_cbranch_execz .LBB349_873
; %bb.868:                              ;   in Loop: Header=BB349_15 Depth=1
	v_bfe_u32 v20, v24, 16, 7
	v_mov_b32_e32 v4, 0x7f800001
	s_mov_b32 s22, exec_lo
	v_cmpx_ne_u32_e32 0x7f, v20
	s_cbranch_execz .LBB349_872
; %bb.869:                              ;   in Loop: Header=BB349_15 Depth=1
	v_mov_b32_e32 v4, 7
	s_mov_b32 s23, exec_lo
	v_and_b32_sdwa v13, v24, v4 dst_sel:DWORD dst_unused:UNUSED_PAD src0_sel:WORD_1 src1_sel:DWORD
	v_mov_b32_e32 v28, v14
	v_lshrrev_b32_e32 v4, 3, v20
	v_mov_b32_e32 v27, v13
	v_cmpx_gt_u32_e32 8, v20
; %bb.870:                              ;   in Loop: Header=BB349_15 Depth=1
	v_ffbh_u32_e32 v4, v13
	v_min_u32_e32 v4, 32, v4
	v_subrev_nc_u32_e32 v20, 28, v4
	v_sub_nc_u32_e32 v4, 29, v4
	v_lshlrev_b64 v[27:28], v20, v[13:14]
	v_and_b32_e32 v27, 7, v27
; %bb.871:                              ;   in Loop: Header=BB349_15 Depth=1
	s_or_b32 exec_lo, exec_lo, s23
	v_lshlrev_b32_sdwa v13, v86, v24 dst_sel:DWORD dst_unused:UNUSED_PAD src0_sel:DWORD src1_sel:WORD_1
	v_lshlrev_b32_e32 v20, 20, v27
	v_lshl_add_u32 v4, v4, 23, 0x3c000000
	v_and_b32_e32 v13, 0x80000000, v13
	v_or3_b32 v4, v20, v13, v4
.LBB349_872:                            ;   in Loop: Header=BB349_15 Depth=1
	s_or_b32 exec_lo, exec_lo, s22
.LBB349_873:                            ;   in Loop: Header=BB349_15 Depth=1
	s_or_b32 exec_lo, exec_lo, s21
.LBB349_874:                            ;   in Loop: Header=BB349_15 Depth=1
	s_or_b32 exec_lo, exec_lo, s20
	s_mov_b32 s20, exec_lo
	v_cmpx_lt_u32_e32 0xffffff, v24
	s_cbranch_execz .LBB349_882
; %bb.875:                              ;   in Loop: Header=BB349_15 Depth=1
	v_cmp_ne_u32_sdwa s5, v24, v82 src0_sel:BYTE_3 src1_sel:DWORD
	v_bfrev_b32_e32 v5, 1
	s_and_saveexec_b32 s21, s5
	s_cbranch_execz .LBB349_881
; %bb.876:                              ;   in Loop: Header=BB349_15 Depth=1
	v_bfe_u32 v20, v24, 24, 7
	v_mov_b32_e32 v5, 0x7f800001
	s_mov_b32 s22, exec_lo
	v_cmpx_ne_u32_e32 0x7f, v20
	s_cbranch_execz .LBB349_880
; %bb.877:                              ;   in Loop: Header=BB349_15 Depth=1
	v_mov_b32_e32 v5, 7
	s_mov_b32 s23, exec_lo
	v_and_b32_sdwa v13, v24, v5 dst_sel:DWORD dst_unused:UNUSED_PAD src0_sel:BYTE_3 src1_sel:DWORD
	v_mov_b32_e32 v28, v14
	v_lshrrev_b32_e32 v5, 3, v20
	v_mov_b32_e32 v27, v13
	v_cmpx_gt_u32_e32 8, v20
; %bb.878:                              ;   in Loop: Header=BB349_15 Depth=1
	v_ffbh_u32_e32 v5, v13
	v_min_u32_e32 v5, 32, v5
	v_subrev_nc_u32_e32 v20, 28, v5
	v_sub_nc_u32_e32 v5, 29, v5
	v_lshlrev_b64 v[27:28], v20, v[13:14]
	v_and_b32_e32 v27, 7, v27
; %bb.879:                              ;   in Loop: Header=BB349_15 Depth=1
	s_or_b32 exec_lo, exec_lo, s23
	v_lshlrev_b32_sdwa v13, v86, v24 dst_sel:DWORD dst_unused:UNUSED_PAD src0_sel:DWORD src1_sel:BYTE_3
	v_lshlrev_b32_e32 v20, 20, v27
	v_lshl_add_u32 v5, v5, 23, 0x3c000000
	v_and_b32_e32 v13, 0x80000000, v13
	v_or3_b32 v5, v20, v13, v5
.LBB349_880:                            ;   in Loop: Header=BB349_15 Depth=1
	s_or_b32 exec_lo, exec_lo, s22
.LBB349_881:                            ;   in Loop: Header=BB349_15 Depth=1
	s_or_b32 exec_lo, exec_lo, s21
.LBB349_882:                            ;   in Loop: Header=BB349_15 Depth=1
	s_or_b32 exec_lo, exec_lo, s20
	v_mov_b32_e32 v13, v25
	v_cmp_ne_u16_sdwa s5, v25, v14 src0_sel:BYTE_0 src1_sel:DWORD
	v_mov_b32_e32 v36, 0
	v_mov_b32_e32 v20, 0
	s_and_saveexec_b32 s20, s5
	s_cbranch_execz .LBB349_890
; %bb.883:                              ;   in Loop: Header=BB349_15 Depth=1
	v_cmp_ne_u16_sdwa s5, v25, v82 src0_sel:BYTE_0 src1_sel:DWORD
	v_bfrev_b32_e32 v20, 1
	s_and_saveexec_b32 s21, s5
	s_cbranch_execz .LBB349_889
; %bb.884:                              ;   in Loop: Header=BB349_15 Depth=1
	v_and_b32_e32 v27, 0x7f, v25
	v_mov_b32_e32 v20, 0x7f800001
	s_mov_b32 s22, exec_lo
	v_cmpx_ne_u32_e32 0x7f, v27
	s_cbranch_execz .LBB349_888
; %bb.885:                              ;   in Loop: Header=BB349_15 Depth=1
	v_lshrrev_b32_e32 v20, 3, v27
	v_cmp_gt_u32_e64 s5, 8, v27
	v_mov_b32_e32 v28, v14
	v_mov_b32_e32 v27, v13
	s_and_saveexec_b32 s23, s5
; %bb.886:                              ;   in Loop: Header=BB349_15 Depth=1
	v_and_b32_e32 v20, 7, v25
	v_ffbh_u32_e32 v20, v20
	v_min_u32_e32 v20, 32, v20
	v_subrev_nc_u32_e32 v27, 28, v20
	v_sub_nc_u32_e32 v20, 29, v20
	v_lshlrev_b64 v[27:28], v27, v[13:14]
; %bb.887:                              ;   in Loop: Header=BB349_15 Depth=1
	s_or_b32 exec_lo, exec_lo, s23
	v_lshlrev_b32_e32 v27, 20, v27
	v_lshlrev_b32_e32 v28, 24, v13
	v_lshl_add_u32 v20, v20, 23, 0x3c000000
	v_and_b32_e32 v27, 0x700000, v27
	v_and_b32_e32 v28, 0x80000000, v28
	v_or3_b32 v20, v27, v28, v20
.LBB349_888:                            ;   in Loop: Header=BB349_15 Depth=1
	s_or_b32 exec_lo, exec_lo, s22
.LBB349_889:                            ;   in Loop: Header=BB349_15 Depth=1
	s_or_b32 exec_lo, exec_lo, s21
.LBB349_890:                            ;   in Loop: Header=BB349_15 Depth=1
	s_or_b32 exec_lo, exec_lo, s20
	v_cmp_ne_u16_sdwa s5, v13, v14 src0_sel:BYTE_1 src1_sel:DWORD
	s_and_saveexec_b32 s20, s5
	s_cbranch_execz .LBB349_898
; %bb.891:                              ;   in Loop: Header=BB349_15 Depth=1
	v_cmp_ne_u16_sdwa s5, v13, v82 src0_sel:BYTE_1 src1_sel:DWORD
	v_bfrev_b32_e32 v36, 1
	s_and_saveexec_b32 s21, s5
	s_cbranch_execz .LBB349_897
; %bb.892:                              ;   in Loop: Header=BB349_15 Depth=1
	v_mov_b32_e32 v27, 0xffff
	v_mov_b32_e32 v36, 0x7f800001
	s_mov_b32 s22, exec_lo
	v_and_b32_sdwa v27, v27, v13 dst_sel:DWORD dst_unused:UNUSED_PAD src0_sel:DWORD src1_sel:BYTE_1
	v_and_b32_e32 v98, 0x7f, v27
	v_cmpx_ne_u32_e32 0x7f, v98
	s_cbranch_execz .LBB349_896
; %bb.893:                              ;   in Loop: Header=BB349_15 Depth=1
	v_and_b32_e32 v27, 7, v27
	v_mov_b32_e32 v28, v14
	v_lshrrev_b32_e32 v36, 3, v98
	s_mov_b32 s23, exec_lo
	v_cmpx_gt_u32_e32 8, v98
; %bb.894:                              ;   in Loop: Header=BB349_15 Depth=1
	v_ffbh_u32_e32 v36, v27
	v_min_u32_e32 v36, 32, v36
	v_subrev_nc_u32_e32 v98, 28, v36
	v_sub_nc_u32_e32 v36, 29, v36
	v_lshlrev_b64 v[27:28], v98, v[27:28]
	v_and_b32_e32 v27, 7, v27
; %bb.895:                              ;   in Loop: Header=BB349_15 Depth=1
	s_or_b32 exec_lo, exec_lo, s23
	v_lshlrev_b32_e32 v13, 16, v13
	v_lshlrev_b32_e32 v27, 20, v27
	v_lshl_add_u32 v28, v36, 23, 0x3c000000
	v_and_b32_e32 v13, 0x80000000, v13
	v_or3_b32 v36, v27, v13, v28
.LBB349_896:                            ;   in Loop: Header=BB349_15 Depth=1
	s_or_b32 exec_lo, exec_lo, s22
.LBB349_897:                            ;   in Loop: Header=BB349_15 Depth=1
	s_or_b32 exec_lo, exec_lo, s21
.LBB349_898:                            ;   in Loop: Header=BB349_15 Depth=1
	s_or_b32 exec_lo, exec_lo, s20
	v_and_b32_sdwa v13, v25, v84 dst_sel:DWORD dst_unused:UNUSED_PAD src0_sel:WORD_1 src1_sel:DWORD
	v_mov_b32_e32 v98, 0
	v_mov_b32_e32 v99, 0
	s_mov_b32 s20, exec_lo
	v_cmpx_ne_u16_e32 0, v13
	s_cbranch_execz .LBB349_906
; %bb.899:                              ;   in Loop: Header=BB349_15 Depth=1
	v_bfrev_b32_e32 v99, 1
	s_mov_b32 s21, exec_lo
	v_cmpx_ne_u16_e32 0x80, v13
	s_cbranch_execz .LBB349_905
; %bb.900:                              ;   in Loop: Header=BB349_15 Depth=1
	v_bfe_u32 v27, v25, 16, 7
	v_mov_b32_e32 v99, 0x7f800001
	s_mov_b32 s22, exec_lo
	v_cmpx_ne_u32_e32 0x7f, v27
	s_cbranch_execz .LBB349_904
; %bb.901:                              ;   in Loop: Header=BB349_15 Depth=1
	v_mov_b32_e32 v13, 7
	v_lshrrev_b32_e32 v99, 3, v27
	v_cmp_gt_u32_e64 s5, 8, v27
	v_and_b32_sdwa v13, v25, v13 dst_sel:DWORD dst_unused:UNUSED_PAD src0_sel:WORD_1 src1_sel:DWORD
	v_mov_b32_e32 v28, v14
	v_mov_b32_e32 v27, v13
	s_and_saveexec_b32 s23, s5
; %bb.902:                              ;   in Loop: Header=BB349_15 Depth=1
	v_ffbh_u32_e32 v27, v13
	v_min_u32_e32 v99, 32, v27
	v_subrev_nc_u32_e32 v27, 28, v99
	v_sub_nc_u32_e32 v99, 29, v99
	v_lshlrev_b64 v[27:28], v27, v[13:14]
	v_and_b32_e32 v27, 7, v27
; %bb.903:                              ;   in Loop: Header=BB349_15 Depth=1
	s_or_b32 exec_lo, exec_lo, s23
	v_lshlrev_b32_sdwa v13, v86, v25 dst_sel:DWORD dst_unused:UNUSED_PAD src0_sel:DWORD src1_sel:WORD_1
	v_lshlrev_b32_e32 v27, 20, v27
	v_lshl_add_u32 v28, v99, 23, 0x3c000000
	v_and_b32_e32 v13, 0x80000000, v13
	v_or3_b32 v99, v27, v13, v28
.LBB349_904:                            ;   in Loop: Header=BB349_15 Depth=1
	s_or_b32 exec_lo, exec_lo, s22
.LBB349_905:                            ;   in Loop: Header=BB349_15 Depth=1
	s_or_b32 exec_lo, exec_lo, s21
.LBB349_906:                            ;   in Loop: Header=BB349_15 Depth=1
	s_or_b32 exec_lo, exec_lo, s20
	s_mov_b32 s20, exec_lo
	v_cmpx_lt_u64_e64 s[12:13], v[24:25]
	s_cbranch_execz .LBB349_13
; %bb.907:                              ;   in Loop: Header=BB349_15 Depth=1
	v_cmp_ne_u32_sdwa s5, v25, v82 src0_sel:BYTE_3 src1_sel:DWORD
	v_bfrev_b32_e32 v98, 1
	s_and_saveexec_b32 s21, s5
	s_cbranch_execz .LBB349_12
; %bb.908:                              ;   in Loop: Header=BB349_15 Depth=1
	v_bfe_u32 v27, v25, 24, 7
	v_mov_b32_e32 v98, 0x7f800001
	s_mov_b32 s22, exec_lo
	v_cmpx_ne_u32_e32 0x7f, v27
	s_cbranch_execz .LBB349_11
; %bb.909:                              ;   in Loop: Header=BB349_15 Depth=1
	v_mov_b32_e32 v13, 7
	v_lshrrev_b32_e32 v24, 3, v27
	v_cmp_gt_u32_e64 s5, 8, v27
	v_and_b32_sdwa v13, v25, v13 dst_sel:DWORD dst_unused:UNUSED_PAD src0_sel:BYTE_3 src1_sel:DWORD
	v_mov_b32_e32 v28, v14
	v_mov_b32_e32 v27, v13
	s_and_saveexec_b32 s23, s5
	s_cbranch_execz .LBB349_10
; %bb.910:                              ;   in Loop: Header=BB349_15 Depth=1
	v_ffbh_u32_e32 v24, v13
	v_min_u32_e32 v24, 32, v24
	v_subrev_nc_u32_e32 v27, 28, v24
	v_sub_nc_u32_e32 v24, 29, v24
	v_lshlrev_b64 v[27:28], v27, v[13:14]
	v_and_b32_e32 v27, 7, v27
	s_branch .LBB349_10
.LBB349_911:
	s_or_b32 exec_lo, exec_lo, s18
	s_clause 0xd
	buffer_load_dword v33, off, s[0:3], s32 offset:732
	buffer_load_dword v87, off, s[0:3], s32 offset:736
	;; [unrolled: 1-line block ×14, first 2 shown]
.LBB349_912:
	s_or_b32 exec_lo, exec_lo, s17
	v_mbcnt_lo_u32_b32 v0, -1, 0
	v_max_f32_e32 v4, v9, v9
	s_waitcnt lgkmcnt(0)
	s_lshr_b32 s12, s7, 16
	v_xor_b32_e32 v1, 16, v0
	v_xor_b32_e32 v3, 8, v0
	v_cmp_gt_i32_e32 vcc_lo, 32, v1
	v_cndmask_b32_e32 v1, v0, v1, vcc_lo
	v_cmp_gt_i32_e32 vcc_lo, 32, v3
	v_lshlrev_b32_e32 v1, 2, v1
	v_cndmask_b32_e32 v3, v0, v3, vcc_lo
	ds_bpermute_b32 v2, v1, v9
	s_waitcnt lgkmcnt(0)
	v_max_f32_e32 v5, v2, v2
	v_lshlrev_b32_e32 v2, 2, v3
	v_max_f32_e32 v4, v4, v5
	v_xor_b32_e32 v5, 4, v0
	ds_bpermute_b32 v3, v2, v4
	v_cmp_gt_i32_e32 vcc_lo, 32, v5
	v_cndmask_b32_e32 v5, v0, v5, vcc_lo
	s_waitcnt lgkmcnt(0)
	v_max_f32_e32 v6, v3, v3
	v_lshlrev_b32_e32 v3, 2, v5
	v_max_f32_e32 v4, v4, v6
	v_xor_b32_e32 v6, 2, v0
	ds_bpermute_b32 v5, v3, v4
	v_cmp_gt_i32_e32 vcc_lo, 32, v6
	v_cndmask_b32_e32 v6, v0, v6, vcc_lo
	v_lshlrev_b32_e32 v13, 2, v6
	v_xor_b32_e32 v6, 1, v0
	v_cmp_gt_i32_e32 vcc_lo, 32, v6
	s_waitcnt lgkmcnt(0)
	v_max_f32_e32 v5, v5, v5
	v_cndmask_b32_e32 v6, v0, v6, vcc_lo
	v_max_f32_e32 v4, v4, v5
	v_lshlrev_b32_e32 v35, 2, v6
	ds_bpermute_b32 v5, v13, v4
	s_waitcnt lgkmcnt(0)
	v_max_f32_e32 v5, v5, v5
	v_max_f32_e32 v0, v4, v5
	buffer_load_dword v4, off, s[0:3], s32 offset:352 ; 4-byte Folded Reload
	ds_bpermute_b32 v5, v35, v0
	s_waitcnt vmcnt(0)
	v_cmp_eq_u32_e32 vcc_lo, 0, v4
	v_lshlrev_b32_e32 v4, 2, v87
	s_and_saveexec_b32 s5, vcc_lo
	s_cbranch_execz .LBB349_914
; %bb.913:
	s_waitcnt lgkmcnt(0)
	v_max_f32_e32 v5, v5, v5
	v_max_f32_e32 v0, v0, v0
	;; [unrolled: 1-line block ×3, first 2 shown]
	ds_write_b32 v4, v0 offset:224
.LBB349_914:
	s_or_b32 exec_lo, exec_lo, s5
	buffer_load_dword v0, off, s[0:3], s32 offset:352 ; 4-byte Folded Reload
	s_waitcnt vmcnt(0) lgkmcnt(0)
	s_waitcnt_vscnt null, 0x0
	s_barrier
	buffer_gl0_inv
	v_cmp_gt_u32_e64 s5, 4, v0
	v_mov_b32_e32 v0, 0xff7fffff
	s_and_saveexec_b32 s6, s5
; %bb.915:
	ds_read_b32 v0, v19 offset:224
; %bb.916:
	s_or_b32 exec_lo, exec_lo, s6
	s_waitcnt lgkmcnt(0)
	ds_bpermute_b32 v5, v13, v0
	v_max_f32_e32 v0, v0, v0
	s_waitcnt lgkmcnt(0)
	v_max_f32_e32 v5, v5, v5
	v_max_f32_e32 v0, v0, v5
	ds_bpermute_b32 v5, v35, v0
	s_waitcnt lgkmcnt(0)
	v_max_f32_e32 v5, v5, v5
	v_max_f32_e32 v0, v0, v5
	v_mov_b32_e32 v5, 0
	ds_bpermute_b32 v6, v5, v0
	buffer_load_dword v0, off, s[0:3], s32 offset:192 ; 4-byte Folded Reload
	s_waitcnt vmcnt(0)
	v_lshlrev_b32_e32 v0, 5, v0
	v_min_i32_e32 v0, v0, v32
	v_cmp_lt_i32_e64 s6, v33, v0
	s_and_saveexec_b32 s13, s6
	s_cbranch_execz .LBB349_920
; %bb.917:
	s_load_dword s7, s[8:9], 0x0
	v_mov_b32_e32 v5, 0
	v_mov_b32_e32 v8, v33
	s_mov_b32 s17, 0
	s_waitcnt lgkmcnt(0)
	v_lshl_add_u32 v7, v33, 2, s7
	.p2align	6
.LBB349_918:                            ; =>This Inner Loop Header: Depth=1
	ds_read_b32 v9, v7
	v_add_nc_u32_e32 v8, 0x80, v8
	v_cmp_ge_i32_e64 s7, v8, v0
	s_or_b32 s17, s7, s17
	s_waitcnt lgkmcnt(0)
	v_sub_f32_e32 v9, v9, v6
	v_mul_f32_e32 v9, 0x3fb8aa3b, v9
	v_exp_f32_e32 v9, v9
	ds_write_b32 v7, v9
	v_add_f32_e32 v5, v5, v9
	v_add_nc_u32_e32 v7, 0x200, v7
	s_andn2_b32 exec_lo, exec_lo, s17
	s_cbranch_execnz .LBB349_918
; %bb.919:
	s_or_b32 exec_lo, exec_lo, s17
.LBB349_920:
	s_or_b32 exec_lo, exec_lo, s13
	ds_bpermute_b32 v1, v1, v5
	s_waitcnt lgkmcnt(0)
	v_add_f32_e32 v1, v5, v1
	ds_bpermute_b32 v2, v2, v1
	s_waitcnt lgkmcnt(0)
	v_add_f32_e32 v1, v1, v2
	;; [unrolled: 3-line block ×5, first 2 shown]
	s_and_saveexec_b32 s7, vcc_lo
; %bb.921:
	ds_write_b32 v4, v1 offset:240
; %bb.922:
	s_or_b32 exec_lo, exec_lo, s7
	s_waitcnt lgkmcnt(0)
	s_barrier
	buffer_gl0_inv
	s_and_saveexec_b32 s7, s5
; %bb.923:
	ds_read_b32 v1, v19 offset:240
; %bb.924:
	s_or_b32 exec_lo, exec_lo, s7
	s_waitcnt lgkmcnt(0)
	ds_bpermute_b32 v2, v13, v1
	s_waitcnt lgkmcnt(0)
	v_add_f32_e32 v1, v1, v2
	ds_bpermute_b32 v2, v35, v1
	s_waitcnt lgkmcnt(0)
	v_add_f32_e32 v1, v1, v2
	v_mov_b32_e32 v2, 0
	ds_bpermute_b32 v1, v2, v1
	s_and_saveexec_b32 s5, s6
	s_cbranch_execz .LBB349_927
; %bb.925:
	s_waitcnt lgkmcnt(0)
	v_add_f32_e32 v2, 0x358637bd, v1
	s_load_dword s6, s[8:9], 0x0
	v_div_scale_f32 v1, null, v2, v2, 1.0
	v_div_scale_f32 v5, vcc_lo, 1.0, v2, 1.0
	v_rcp_f32_e32 v3, v1
	v_fma_f32 v4, -v1, v3, 1.0
	v_fmac_f32_e32 v3, v4, v3
	v_mul_f32_e32 v4, v5, v3
	v_fma_f32 v6, -v1, v4, v5
	v_fmac_f32_e32 v4, v6, v3
	v_fma_f32 v1, -v1, v4, v5
	v_div_fmas_f32 v3, v1, v3, v4
	s_waitcnt lgkmcnt(0)
	v_lshl_add_u32 v1, v33, 2, s6
	s_mov_b32 s6, 0
	v_div_fixup_f32 v2, v3, v2, 1.0
	v_mov_b32_e32 v3, v33
.LBB349_926:                            ; =>This Inner Loop Header: Depth=1
	ds_read_b32 v4, v1
	v_add_nc_u32_e32 v3, 0x80, v3
	v_cmp_ge_i32_e32 vcc_lo, v3, v0
	s_or_b32 s6, vcc_lo, s6
	s_waitcnt lgkmcnt(0)
	v_mul_f32_e32 v4, v2, v4
	ds_write_b32 v1, v4
	v_add_nc_u32_e32 v1, 0x200, v1
	s_andn2_b32 exec_lo, exec_lo, s6
	s_cbranch_execnz .LBB349_926
.LBB349_927:
	s_or_b32 exec_lo, exec_lo, s5
	v_mov_b32_e32 v22, 0
	v_and_b32_e32 v36, 3, v33
	v_mov_b32_e32 v27, 0
	v_mov_b32_e32 v21, 0
	;; [unrolled: 1-line block ×13, first 2 shown]
	s_waitcnt lgkmcnt(0)
	s_barrier
	buffer_gl0_inv
	s_and_saveexec_b32 s5, s4
	s_cbranch_execz .LBB349_1857
; %bb.928:
	v_max_i32_e32 v69, v26, v48
	v_mov_b32_e32 v6, 0
	buffer_store_dword v13, off, s[0:3], s32 offset:380 ; 4-byte Folded Spill
	buffer_store_dword v35, off, s[0:3], s32 offset:376 ; 4-byte Folded Spill
	v_mov_b32_e32 v7, 0
	v_lshlrev_b32_e32 v0, 3, v33
	v_cvt_f32_u32_e32 v1, v69
	buffer_store_dword v6, off, s[0:3], s32 offset:292 ; 4-byte Folded Spill
	v_mov_b32_e32 v6, 0
	buffer_store_dword v7, off, s[0:3], s32 offset:312 ; 4-byte Folded Spill
	v_mov_b32_e32 v7, 0
	v_rcp_iflag_f32_e32 v1, v1
	v_lshlrev_b32_e32 v4, 5, v36
	buffer_store_dword v6, off, s[0:3], s32 offset:296 ; 4-byte Folded Spill
	v_mov_b32_e32 v6, 0
	buffer_store_dword v7, off, s[0:3], s32 offset:316 ; 4-byte Folded Spill
	v_mov_b32_e32 v7, 0
	v_and_b32_e32 v5, 0x7c, v12
	v_add_co_u32 v2, vcc_lo, v30, v31
	buffer_store_dword v6, off, s[0:3], s32 offset:300 ; 4-byte Folded Spill
	v_mov_b32_e32 v6, 0
	v_mul_f32_e32 v1, 0x4f7ffffe, v1
	buffer_store_dword v7, off, s[0:3], s32 offset:320 ; 4-byte Folded Spill
	v_mov_b32_e32 v7, 0
	v_add_co_ci_u32_e64 v3, null, v29, v49, vcc_lo
	buffer_store_dword v6, off, s[0:3], s32 offset:304 ; 4-byte Folded Spill
	v_mov_b32_e32 v6, 0
	v_cvt_u32_f32_e32 v1, v1
	buffer_store_dword v7, off, s[0:3], s32 offset:324 ; 4-byte Folded Spill
	v_and_b32_e32 v7, 24, v0
	v_and_b32_e32 v0, 0xf8, v0
	buffer_store_dword v6, off, s[0:3], s32 offset:308 ; 4-byte Folded Spill
	v_sub_nc_u32_e32 v6, 0, v69
	v_lshl_or_b32 v84, v87, 7, v4
	v_add_co_u32 v4, vcc_lo, v5, v38
	v_add_co_ci_u32_e64 v5, null, 0, v39, vcc_lo
	v_mul_lo_u32 v6, v6, v1
	v_add_co_u32 v2, vcc_lo, v2, v0
	v_add_co_ci_u32_e64 v3, null, 0, v3, vcc_lo
	buffer_store_dword v36, off, s[0:3], s32 offset:384 ; 4-byte Folded Spill
	buffer_store_dword v7, off, s[0:3], s32 offset:364 ; 4-byte Folded Spill
	;; [unrolled: 1-line block ×4, first 2 shown]
	v_mul_hi_u32 v6, v1, v6
	v_add_co_u32 v10, vcc_lo, v10, v4
	v_mov_b32_e32 v14, 0
	v_mov_b32_e32 v70, 0x80
	;; [unrolled: 1-line block ×4, first 2 shown]
	v_add_co_ci_u32_e64 v11, null, v11, v5, vcc_lo
	v_add_nc_u32_e32 v0, v1, v6
	v_mov_b32_e32 v86, v87
	s_mov_b32 s6, -1
	s_mov_b32 s7, 0xffffff
	s_mov_b32 s13, 0
	buffer_store_dword v0, off, s[0:3], s32 offset:344 ; 4-byte Folded Spill
	v_mov_b32_e32 v0, 0
	buffer_store_dword v0, off, s[0:3], s32 offset:328 ; 4-byte Folded Spill
	v_mov_b32_e32 v0, 0
	;; [unrolled: 2-line block ×4, first 2 shown]
	buffer_store_dword v0, off, s[0:3], s32 offset:336 ; 4-byte Folded Spill
	s_branch .LBB349_931
.LBB349_929:                            ;   in Loop: Header=BB349_931 Depth=1
	s_or_b32 exec_lo, exec_lo, s4
	v_bfe_u32 v36, v6, 16, 1
	v_or_b32_e32 v116, 0x400000, v6
	v_cmp_u_f32_e32 vcc_lo, v6, v6
	v_lshlrev_b32_e32 v113, 16, v113
	v_lshlrev_b32_e32 v96, 16, v96
	v_add3_u32 v36, v36, v6, 0x7fff
	v_lshlrev_b32_e32 v97, 16, v97
	v_lshlrev_b32_e32 v38, 16, v38
	v_lshlrev_b32_e32 v35, 16, v35
	v_lshlrev_b32_e32 v65, 16, v65
	v_cndmask_b32_e32 v6, v36, v116, vcc_lo
	v_bfe_u32 v36, v7, 16, 1
	v_or_b32_e32 v116, 0x400000, v7
	v_cmp_u_f32_e32 vcc_lo, v7, v7
	v_lshlrev_b32_e32 v66, 16, v66
	v_lshlrev_b32_e32 v12, 16, v12
	v_add3_u32 v36, v36, v7, 0x7fff
	v_lshlrev_b32_e32 v15, 16, v15
	v_lshlrev_b32_e32 v16, 16, v16
	;; [unrolled: 1-line block ×4, first 2 shown]
	v_cndmask_b32_e32 v7, v36, v116, vcc_lo
	v_bfe_u32 v36, v8, 16, 1
	v_or_b32_e32 v116, 0x400000, v8
	v_cmp_u_f32_e32 vcc_lo, v8, v8
	v_lshlrev_b32_e32 v1, 16, v1
	v_add3_u32 v36, v36, v8, 0x7fff
	v_bfe_u32 v8, v9, 16, 1
	v_cndmask_b32_e32 v36, v36, v116, vcc_lo
	v_add3_u32 v8, v8, v9, 0x7fff
	v_or_b32_e32 v116, 0x400000, v9
	v_cmp_u_f32_e32 vcc_lo, v9, v9
	v_or_b32_e32 v9, 0x400000, v2
	v_cndmask_b32_e32 v116, v8, v116, vcc_lo
	v_bfe_u32 v8, v2, 16, 1
	v_cmp_u_f32_e32 vcc_lo, v2, v2
	v_add3_u32 v8, v8, v2, 0x7fff
	v_cndmask_b32_e32 v2, v8, v9, vcc_lo
	v_bfe_u32 v8, v3, 16, 1
	v_or_b32_e32 v9, 0x400000, v3
	v_cmp_u_f32_e32 vcc_lo, v3, v3
	v_add3_u32 v8, v8, v3, 0x7fff
	v_cndmask_b32_e32 v3, v8, v9, vcc_lo
	v_bfe_u32 v8, v4, 16, 1
	v_or_b32_e32 v9, 0x400000, v4
	v_cmp_u_f32_e32 vcc_lo, v4, v4
	v_add3_u32 v8, v8, v4, 0x7fff
	v_bfe_u32 v4, v5, 16, 1
	v_cndmask_b32_e32 v117, v8, v9, vcc_lo
	v_add3_u32 v4, v4, v5, 0x7fff
	v_or_b32_e32 v8, 0x400000, v5
	v_cmp_u_f32_e32 vcc_lo, v5, v5
	v_and_b32_e32 v9, 0xffff0000, v6
	v_cndmask_b32_e32 v118, v4, v8, vcc_lo
	v_and_b32_e32 v8, 0xffff0000, v7
	v_lshlrev_b32_e32 v4, 16, v112
	v_mul_f32_e32 v35, v9, v35
	v_mul_f32_e32 v4, v8, v4
	v_bfe_u32 v5, v4, 16, 1
	v_or_b32_e32 v7, 0x400000, v4
	v_cmp_u_f32_e32 vcc_lo, v4, v4
	v_add3_u32 v5, v5, v4, 0x7fff
	v_lshlrev_b32_e32 v4, 16, v114
	v_cndmask_b32_e32 v112, v5, v7, vcc_lo
	v_mul_f32_e32 v4, v9, v4
	v_and_b32_e32 v112, 0xffff0000, v112
	v_bfe_u32 v5, v4, 16, 1
	v_or_b32_e32 v6, 0x400000, v4
	v_cmp_u_f32_e32 vcc_lo, v4, v4
	v_add3_u32 v5, v5, v4, 0x7fff
	v_lshlrev_b32_e32 v4, 16, v82
	v_cndmask_b32_e32 v114, v5, v6, vcc_lo
	v_and_b32_e32 v6, 0xffff0000, v116
	v_and_b32_e32 v114, 0xffff0000, v114
	v_mul_f32_e32 v4, v6, v4
	v_mul_f32_e32 v15, v6, v15
	v_add_f32_e32 v112, v114, v112
	v_bfe_u32 v5, v4, 16, 1
	v_or_b32_e32 v7, 0x400000, v4
	v_cmp_u_f32_e32 vcc_lo, v4, v4
	v_add3_u32 v5, v5, v4, 0x7fff
	v_lshlrev_b32_e32 v4, 16, v103
	v_cndmask_b32_e32 v82, v5, v7, vcc_lo
	v_and_b32_e32 v7, 0xffff0000, v36
	v_and_b32_e32 v82, 0xffff0000, v82
	v_mul_f32_e32 v4, v7, v4
	v_mul_f32_e32 v16, v7, v16
	v_bfe_u32 v5, v4, 16, 1
	v_or_b32_e32 v36, 0x400000, v4
	v_cmp_u_f32_e32 vcc_lo, v4, v4
	v_add3_u32 v5, v5, v4, 0x7fff
	v_and_b32_e32 v4, 0xffff0000, v3
	v_lshlrev_b32_e32 v3, 16, v71
	v_cndmask_b32_e32 v36, v5, v36, vcc_lo
	v_mul_f32_e32 v96, v4, v96
	v_mul_f32_e32 v3, v4, v3
	;; [unrolled: 1-line block ×4, first 2 shown]
	v_and_b32_e32 v36, 0xffff0000, v36
	v_bfe_u32 v5, v3, 16, 1
	v_or_b32_e32 v71, 0x400000, v3
	v_cmp_u_f32_e32 vcc_lo, v3, v3
	v_add_f32_e32 v36, v36, v82
	v_add3_u32 v5, v5, v3, 0x7fff
	v_add_f32_e32 v36, v112, v36
	v_cndmask_b32_e32 v71, v5, v71, vcc_lo
	v_and_b32_e32 v5, 0xffff0000, v2
	v_lshlrev_b32_e32 v2, 16, v81
	v_and_b32_e32 v71, 0xffff0000, v71
	v_mul_f32_e32 v97, v5, v97
	v_mul_f32_e32 v2, v5, v2
	;; [unrolled: 1-line block ×4, first 2 shown]
	v_bfe_u32 v3, v2, 16, 1
	v_or_b32_e32 v81, 0x400000, v2
	v_cmp_u_f32_e32 vcc_lo, v2, v2
	v_add3_u32 v3, v3, v2, 0x7fff
	v_and_b32_e32 v2, 0xffff0000, v118
	v_cndmask_b32_e32 v81, v3, v81, vcc_lo
	v_lshlrev_b32_e32 v3, 16, v115
	v_mul_f32_e32 v38, v2, v38
	v_mul_f32_e32 v30, v2, v30
	v_and_b32_e32 v81, 0xffff0000, v81
	v_mul_f32_e32 v3, v2, v3
	v_add_f32_e32 v71, v81, v71
	v_bfe_u32 v103, v3, 16, 1
	v_or_b32_e32 v115, 0x400000, v3
	v_cmp_u_f32_e32 vcc_lo, v3, v3
	v_add_f32_e32 v36, v36, v71
	v_add3_u32 v103, v103, v3, 0x7fff
	v_and_b32_e32 v3, 0xffff0000, v117
	v_cndmask_b32_e32 v103, v103, v115, vcc_lo
	v_mul_f32_e32 v113, v3, v113
	v_mul_f32_e32 v12, v3, v12
	v_and_b32_e32 v81, 0xffff0000, v103
	v_bfe_u32 v115, v113, 16, 1
	v_or_b32_e32 v116, 0x400000, v113
	v_cmp_u_f32_e32 vcc_lo, v113, v113
	v_add3_u32 v115, v115, v113, 0x7fff
	v_cndmask_b32_e32 v113, v115, v116, vcc_lo
	v_and_b32_e32 v71, 0xffff0000, v113
	v_add_f32_e32 v71, v71, v81
	v_add_f32_e32 v36, v36, v71
	buffer_load_dword v71, off, s[0:3], s32 offset:292 ; 4-byte Folded Reload
	s_waitcnt vmcnt(0)
	v_add_f32_e32 v71, v71, v36
	v_lshlrev_b32_e32 v36, 16, v100
	buffer_store_dword v71, off, s[0:3], s32 offset:292 ; 4-byte Folded Spill
	v_mul_f32_e32 v36, v8, v36
	v_bfe_u32 v71, v36, 16, 1
	v_or_b32_e32 v81, 0x400000, v36
	v_cmp_u_f32_e32 vcc_lo, v36, v36
	v_add3_u32 v71, v71, v36, 0x7fff
	v_cndmask_b32_e32 v36, v71, v81, vcc_lo
	v_lshlrev_b32_e32 v71, 16, v102
	v_and_b32_e32 v36, 0xffff0000, v36
	v_mul_f32_e32 v71, v9, v71
	v_bfe_u32 v81, v71, 16, 1
	v_or_b32_e32 v82, 0x400000, v71
	v_cmp_u_f32_e32 vcc_lo, v71, v71
	v_add3_u32 v81, v81, v71, 0x7fff
	v_cndmask_b32_e32 v71, v81, v82, vcc_lo
	v_lshlrev_b32_e32 v81, 16, v98
	v_and_b32_e32 v71, 0xffff0000, v71
	v_mul_f32_e32 v81, v6, v81
	v_add_f32_e32 v36, v71, v36
	v_bfe_u32 v82, v81, 16, 1
	v_or_b32_e32 v98, 0x400000, v81
	v_cmp_u_f32_e32 vcc_lo, v81, v81
	v_add3_u32 v82, v82, v81, 0x7fff
	v_cndmask_b32_e32 v81, v82, v98, vcc_lo
	v_lshlrev_b32_e32 v82, 16, v99
	v_and_b32_e32 v81, 0xffff0000, v81
	v_mul_f32_e32 v82, v7, v82
	v_bfe_u32 v98, v82, 16, 1
	v_or_b32_e32 v99, 0x400000, v82
	v_cmp_u_f32_e32 vcc_lo, v82, v82
	v_add3_u32 v98, v98, v82, 0x7fff
	v_cndmask_b32_e32 v82, v98, v99, vcc_lo
	v_bfe_u32 v98, v96, 16, 1
	v_or_b32_e32 v99, 0x400000, v96
	v_cmp_u_f32_e32 vcc_lo, v96, v96
	v_and_b32_e32 v71, 0xffff0000, v82
	v_add3_u32 v98, v98, v96, 0x7fff
	v_add_f32_e32 v71, v71, v81
	v_cndmask_b32_e32 v96, v98, v99, vcc_lo
	v_bfe_u32 v98, v97, 16, 1
	v_or_b32_e32 v99, 0x400000, v97
	v_cmp_u_f32_e32 vcc_lo, v97, v97
	v_add_f32_e32 v36, v36, v71
	v_and_b32_e32 v81, 0xffff0000, v96
	v_add3_u32 v98, v98, v97, 0x7fff
	v_cndmask_b32_e32 v97, v98, v99, vcc_lo
	v_bfe_u32 v98, v38, 16, 1
	v_or_b32_e32 v99, 0x400000, v38
	v_cmp_u_f32_e32 vcc_lo, v38, v38
	v_and_b32_e32 v71, 0xffff0000, v97
	v_add3_u32 v98, v98, v38, 0x7fff
	v_add_f32_e32 v71, v71, v81
	v_cndmask_b32_e32 v38, v98, v99, vcc_lo
	v_lshlrev_b32_e32 v98, 16, v101
	v_add_f32_e32 v36, v36, v71
	v_and_b32_e32 v38, 0xffff0000, v38
	v_mul_f32_e32 v98, v3, v98
	v_bfe_u32 v99, v98, 16, 1
	v_or_b32_e32 v100, 0x400000, v98
	v_cmp_u_f32_e32 vcc_lo, v98, v98
	v_add3_u32 v99, v99, v98, 0x7fff
	v_cndmask_b32_e32 v98, v99, v100, vcc_lo
	v_and_b32_e32 v71, 0xffff0000, v98
	v_add_f32_e32 v38, v71, v38
	v_add_f32_e32 v36, v36, v38
	buffer_load_dword v38, off, s[0:3], s32 offset:296 ; 4-byte Folded Reload
	s_waitcnt vmcnt(0)
	v_add_f32_e32 v38, v38, v36
	v_lshlrev_b32_e32 v36, 16, v39
	buffer_store_dword v38, off, s[0:3], s32 offset:296 ; 4-byte Folded Spill
	v_mul_f32_e32 v36, v8, v36
	v_bfe_u32 v38, v36, 16, 1
	v_or_b32_e32 v39, 0x400000, v36
	v_cmp_u_f32_e32 vcc_lo, v36, v36
	v_add3_u32 v38, v38, v36, 0x7fff
	v_cndmask_b32_e32 v36, v38, v39, vcc_lo
	v_bfe_u32 v38, v35, 16, 1
	v_or_b32_e32 v39, 0x400000, v35
	v_cmp_u_f32_e32 vcc_lo, v35, v35
	v_and_b32_e32 v36, 0xffff0000, v36
	v_add3_u32 v38, v38, v35, 0x7fff
	v_cndmask_b32_e32 v35, v38, v39, vcc_lo
	v_lshlrev_b32_e32 v38, 16, v67
	v_and_b32_e32 v35, 0xffff0000, v35
	v_mul_f32_e32 v38, v6, v38
	v_add_f32_e32 v35, v35, v36
	v_bfe_u32 v39, v38, 16, 1
	v_or_b32_e32 v67, 0x400000, v38
	v_cmp_u_f32_e32 vcc_lo, v38, v38
	v_add3_u32 v39, v39, v38, 0x7fff
	v_cndmask_b32_e32 v38, v39, v67, vcc_lo
	v_lshlrev_b32_e32 v39, 16, v68
	v_and_b32_e32 v38, 0xffff0000, v38
	v_mul_f32_e32 v39, v7, v39
	v_bfe_u32 v67, v39, 16, 1
	v_or_b32_e32 v68, 0x400000, v39
	v_cmp_u_f32_e32 vcc_lo, v39, v39
	v_add3_u32 v67, v67, v39, 0x7fff
	v_cndmask_b32_e32 v39, v67, v68, vcc_lo
	v_bfe_u32 v67, v65, 16, 1
	v_or_b32_e32 v68, 0x400000, v65
	v_cmp_u_f32_e32 vcc_lo, v65, v65
	v_and_b32_e32 v36, 0xffff0000, v39
	v_add3_u32 v67, v67, v65, 0x7fff
	v_add_f32_e32 v36, v36, v38
	v_cndmask_b32_e32 v65, v67, v68, vcc_lo
	v_bfe_u32 v67, v66, 16, 1
	v_or_b32_e32 v68, 0x400000, v66
	v_cmp_u_f32_e32 vcc_lo, v66, v66
	v_add_f32_e32 v35, v35, v36
	v_and_b32_e32 v38, 0xffff0000, v65
	v_add3_u32 v67, v67, v66, 0x7fff
	v_cndmask_b32_e32 v66, v67, v68, vcc_lo
	v_lshlrev_b32_e32 v67, 16, v87
	v_and_b32_e32 v36, 0xffff0000, v66
	v_mul_f32_e32 v67, v2, v67
	v_add_f32_e32 v36, v36, v38
	v_bfe_u32 v68, v67, 16, 1
	v_or_b32_e32 v71, 0x400000, v67
	v_cmp_u_f32_e32 vcc_lo, v67, v67
	v_add_f32_e32 v35, v35, v36
	v_add3_u32 v68, v68, v67, 0x7fff
	v_cndmask_b32_e32 v67, v68, v71, vcc_lo
	v_bfe_u32 v68, v12, 16, 1
	v_or_b32_e32 v71, 0x400000, v12
	v_cmp_u_f32_e32 vcc_lo, v12, v12
	v_and_b32_e32 v36, 0xffff0000, v67
	v_add3_u32 v68, v68, v12, 0x7fff
	v_cndmask_b32_e32 v12, v68, v71, vcc_lo
	v_and_b32_e32 v12, 0xffff0000, v12
	v_add_f32_e32 v12, v12, v36
	v_add_f32_e32 v12, v35, v12
	buffer_load_dword v35, off, s[0:3], s32 offset:300 ; 4-byte Folded Reload
	s_waitcnt vmcnt(0)
	v_add_f32_e32 v35, v35, v12
	v_lshlrev_b32_e32 v12, 16, v53
	buffer_store_dword v35, off, s[0:3], s32 offset:300 ; 4-byte Folded Spill
	v_mul_f32_e32 v12, v8, v12
	v_bfe_u32 v35, v12, 16, 1
	v_or_b32_e32 v36, 0x400000, v12
	v_cmp_u_f32_e32 vcc_lo, v12, v12
	v_add3_u32 v35, v35, v12, 0x7fff
	v_cndmask_b32_e32 v12, v35, v36, vcc_lo
	v_lshlrev_b32_e32 v35, 16, v54
	v_and_b32_e32 v12, 0xffff0000, v12
	v_mul_f32_e32 v35, v9, v35
	v_bfe_u32 v36, v35, 16, 1
	v_or_b32_e32 v38, 0x400000, v35
	v_cmp_u_f32_e32 vcc_lo, v35, v35
	v_add3_u32 v36, v36, v35, 0x7fff
	v_cndmask_b32_e32 v35, v36, v38, vcc_lo
	v_lshlrev_b32_e32 v36, 16, v50
	v_and_b32_e32 v35, 0xffff0000, v35
	v_mul_f32_e32 v36, v6, v36
	v_add_f32_e32 v12, v35, v12
	v_bfe_u32 v38, v36, 16, 1
	v_or_b32_e32 v39, 0x400000, v36
	v_cmp_u_f32_e32 vcc_lo, v36, v36
	v_add3_u32 v38, v38, v36, 0x7fff
	v_cndmask_b32_e32 v36, v38, v39, vcc_lo
	v_lshlrev_b32_e32 v38, 16, v51
	v_and_b32_e32 v36, 0xffff0000, v36
	v_mul_f32_e32 v38, v7, v38
	v_bfe_u32 v39, v38, 16, 1
	v_or_b32_e32 v50, 0x400000, v38
	v_cmp_u_f32_e32 vcc_lo, v38, v38
	v_add3_u32 v39, v39, v38, 0x7fff
	v_cndmask_b32_e32 v38, v39, v50, vcc_lo
	v_lshlrev_b32_e32 v39, 16, v48
	v_and_b32_e32 v35, 0xffff0000, v38
	v_mul_f32_e32 v39, v4, v39
	v_add_f32_e32 v35, v35, v36
	v_bfe_u32 v48, v39, 16, 1
	v_or_b32_e32 v50, 0x400000, v39
	v_cmp_u_f32_e32 vcc_lo, v39, v39
	v_add_f32_e32 v12, v12, v35
	v_add3_u32 v48, v48, v39, 0x7fff
	v_cndmask_b32_e32 v39, v48, v50, vcc_lo
	v_lshlrev_b32_e32 v48, 16, v49
	v_and_b32_e32 v36, 0xffff0000, v39
	v_mul_f32_e32 v48, v5, v48
	v_bfe_u32 v49, v48, 16, 1
	v_or_b32_e32 v50, 0x400000, v48
	v_cmp_u_f32_e32 vcc_lo, v48, v48
	v_add3_u32 v49, v49, v48, 0x7fff
	v_cndmask_b32_e32 v48, v49, v50, vcc_lo
	v_lshlrev_b32_e32 v49, 16, v55
	v_and_b32_e32 v35, 0xffff0000, v48
	v_mul_f32_e32 v49, v2, v49
	v_add_f32_e32 v35, v35, v36
	v_bfe_u32 v50, v49, 16, 1
	v_or_b32_e32 v51, 0x400000, v49
	v_cmp_u_f32_e32 vcc_lo, v49, v49
	v_add_f32_e32 v12, v12, v35
	v_add3_u32 v50, v50, v49, 0x7fff
	v_cndmask_b32_e32 v49, v50, v51, vcc_lo
	v_lshlrev_b32_e32 v50, 16, v52
	v_and_b32_e32 v36, 0xffff0000, v49
	v_mul_f32_e32 v50, v3, v50
	v_bfe_u32 v51, v50, 16, 1
	v_or_b32_e32 v52, 0x400000, v50
	v_cmp_u_f32_e32 vcc_lo, v50, v50
	v_add3_u32 v51, v51, v50, 0x7fff
	v_cndmask_b32_e32 v50, v51, v52, vcc_lo
	v_and_b32_e32 v35, 0xffff0000, v50
	v_add_f32_e32 v35, v35, v36
	v_add_f32_e32 v12, v12, v35
	buffer_load_dword v35, off, s[0:3], s32 offset:304 ; 4-byte Folded Reload
	s_waitcnt vmcnt(0)
	v_add_f32_e32 v35, v35, v12
	v_lshlrev_b32_e32 v12, 16, v21
	buffer_store_dword v35, off, s[0:3], s32 offset:304 ; 4-byte Folded Spill
	v_mul_f32_e32 v12, v8, v12
	v_bfe_u32 v21, v12, 16, 1
	v_or_b32_e32 v35, 0x400000, v12
	v_cmp_u_f32_e32 vcc_lo, v12, v12
	v_add3_u32 v21, v21, v12, 0x7fff
	v_cndmask_b32_e32 v12, v21, v35, vcc_lo
	v_lshlrev_b32_e32 v21, 16, v28
	v_and_b32_e32 v12, 0xffff0000, v12
	v_mul_f32_e32 v21, v9, v21
	v_bfe_u32 v28, v21, 16, 1
	v_or_b32_e32 v35, 0x400000, v21
	v_cmp_u_f32_e32 vcc_lo, v21, v21
	v_add3_u32 v28, v28, v21, 0x7fff
	v_cndmask_b32_e32 v21, v28, v35, vcc_lo
	v_bfe_u32 v28, v15, 16, 1
	v_or_b32_e32 v35, 0x400000, v15
	v_cmp_u_f32_e32 vcc_lo, v15, v15
	v_and_b32_e32 v21, 0xffff0000, v21
	v_add3_u32 v28, v28, v15, 0x7fff
	v_add_f32_e32 v12, v21, v12
	v_cndmask_b32_e32 v15, v28, v35, vcc_lo
	v_bfe_u32 v28, v16, 16, 1
	v_or_b32_e32 v35, 0x400000, v16
	v_cmp_u_f32_e32 vcc_lo, v16, v16
	v_and_b32_e32 v15, 0xffff0000, v15
	v_add3_u32 v28, v28, v16, 0x7fff
	v_cndmask_b32_e32 v16, v28, v35, vcc_lo
	v_lshlrev_b32_e32 v28, 16, v29
	v_and_b32_e32 v16, 0xffff0000, v16
	v_mul_f32_e32 v28, v4, v28
	v_add_f32_e32 v15, v16, v15
	v_bfe_u32 v29, v28, 16, 1
	v_or_b32_e32 v35, 0x400000, v28
	v_cmp_u_f32_e32 vcc_lo, v28, v28
	v_add_f32_e32 v12, v12, v15
	v_add3_u32 v29, v29, v28, 0x7fff
	v_cndmask_b32_e32 v28, v29, v35, vcc_lo
	v_lshlrev_b32_e32 v29, 16, v83
	v_and_b32_e32 v16, 0xffff0000, v28
	v_mul_f32_e32 v29, v5, v29
	v_bfe_u32 v35, v29, 16, 1
	v_or_b32_e32 v36, 0x400000, v29
	v_cmp_u_f32_e32 vcc_lo, v29, v29
	v_add3_u32 v35, v35, v29, 0x7fff
	v_cndmask_b32_e32 v29, v35, v36, vcc_lo
	v_bfe_u32 v35, v30, 16, 1
	v_or_b32_e32 v36, 0x400000, v30
	v_cmp_u_f32_e32 vcc_lo, v30, v30
	v_and_b32_e32 v15, 0xffff0000, v29
	v_add3_u32 v35, v35, v30, 0x7fff
	v_add_f32_e32 v15, v15, v16
	v_cndmask_b32_e32 v30, v35, v36, vcc_lo
	v_lshlrev_b32_e32 v35, 16, v85
	v_add_f32_e32 v12, v12, v15
	v_and_b32_e32 v16, 0xffff0000, v30
	v_mul_f32_e32 v35, v3, v35
	v_bfe_u32 v36, v35, 16, 1
	v_or_b32_e32 v38, 0x400000, v35
	v_cmp_u_f32_e32 vcc_lo, v35, v35
	v_add3_u32 v36, v36, v35, 0x7fff
	v_cndmask_b32_e32 v35, v36, v38, vcc_lo
	v_and_b32_e32 v15, 0xffff0000, v35
	v_add_f32_e32 v15, v15, v16
	v_add_f32_e32 v12, v12, v15
	buffer_load_dword v15, off, s[0:3], s32 offset:308 ; 4-byte Folded Reload
	s_waitcnt vmcnt(0)
	v_add_f32_e32 v15, v15, v12
	v_lshlrev_b32_e32 v12, 16, v125
	buffer_store_dword v15, off, s[0:3], s32 offset:308 ; 4-byte Folded Spill
	v_mul_f32_e32 v12, v8, v12
	v_bfe_u32 v15, v12, 16, 1
	v_or_b32_e32 v16, 0x400000, v12
	v_cmp_u_f32_e32 vcc_lo, v12, v12
	v_add3_u32 v15, v15, v12, 0x7fff
	v_cndmask_b32_e32 v12, v15, v16, vcc_lo
	v_lshlrev_b32_e32 v15, 16, v126
	v_and_b32_e32 v12, 0xffff0000, v12
	v_mul_f32_e32 v15, v9, v15
	v_bfe_u32 v16, v15, 16, 1
	v_or_b32_e32 v21, 0x400000, v15
	v_cmp_u_f32_e32 vcc_lo, v15, v15
	v_add3_u32 v16, v16, v15, 0x7fff
	v_cndmask_b32_e32 v15, v16, v21, vcc_lo
	v_lshlrev_b32_e32 v16, 16, v122
	v_and_b32_e32 v15, 0xffff0000, v15
	v_mul_f32_e32 v16, v6, v16
	v_add_f32_e32 v12, v15, v12
	v_bfe_u32 v21, v16, 16, 1
	v_or_b32_e32 v28, 0x400000, v16
	v_cmp_u_f32_e32 vcc_lo, v16, v16
	v_add3_u32 v21, v21, v16, 0x7fff
	v_cndmask_b32_e32 v16, v21, v28, vcc_lo
	v_lshlrev_b32_e32 v21, 16, v123
	v_and_b32_e32 v16, 0xffff0000, v16
	v_mul_f32_e32 v21, v7, v21
	v_bfe_u32 v28, v21, 16, 1
	v_or_b32_e32 v29, 0x400000, v21
	v_cmp_u_f32_e32 vcc_lo, v21, v21
	v_add3_u32 v28, v28, v21, 0x7fff
	v_cndmask_b32_e32 v21, v28, v29, vcc_lo
	v_lshlrev_b32_e32 v28, 16, v120
	v_and_b32_e32 v15, 0xffff0000, v21
	v_mul_f32_e32 v28, v4, v28
	v_add_f32_e32 v15, v15, v16
	v_bfe_u32 v29, v28, 16, 1
	v_or_b32_e32 v30, 0x400000, v28
	v_cmp_u_f32_e32 vcc_lo, v28, v28
	v_add_f32_e32 v12, v12, v15
	v_add3_u32 v29, v29, v28, 0x7fff
	v_cndmask_b32_e32 v28, v29, v30, vcc_lo
	v_lshlrev_b32_e32 v29, 16, v121
	v_and_b32_e32 v16, 0xffff0000, v28
	v_mul_f32_e32 v29, v5, v29
	v_bfe_u32 v30, v29, 16, 1
	v_or_b32_e32 v35, 0x400000, v29
	v_cmp_u_f32_e32 vcc_lo, v29, v29
	v_add3_u32 v30, v30, v29, 0x7fff
	v_cndmask_b32_e32 v29, v30, v35, vcc_lo
	v_lshlrev_b32_e32 v30, 16, v127
	v_and_b32_e32 v15, 0xffff0000, v29
	v_mul_f32_e32 v30, v2, v30
	v_add_f32_e32 v15, v15, v16
	v_bfe_u32 v35, v30, 16, 1
	v_or_b32_e32 v36, 0x400000, v30
	v_cmp_u_f32_e32 vcc_lo, v30, v30
	v_add_f32_e32 v12, v12, v15
	v_add3_u32 v35, v35, v30, 0x7fff
	v_cndmask_b32_e32 v30, v35, v36, vcc_lo
	v_lshlrev_b32_e32 v35, 16, v124
	v_and_b32_e32 v16, 0xffff0000, v30
	v_mul_f32_e32 v35, v3, v35
	v_bfe_u32 v36, v35, 16, 1
	v_or_b32_e32 v38, 0x400000, v35
	v_cmp_u_f32_e32 vcc_lo, v35, v35
	v_add3_u32 v36, v36, v35, 0x7fff
	v_cndmask_b32_e32 v35, v36, v38, vcc_lo
	v_and_b32_e32 v15, 0xffff0000, v35
	v_add_f32_e32 v15, v15, v16
	v_add_f32_e32 v12, v12, v15
	buffer_load_dword v15, off, s[0:3], s32 offset:312 ; 4-byte Folded Reload
	s_waitcnt vmcnt(0)
	v_add_f32_e32 v15, v15, v12
	v_lshlrev_b32_e32 v12, 16, v23
	buffer_store_dword v15, off, s[0:3], s32 offset:312 ; 4-byte Folded Spill
	v_mul_f32_e32 v12, v8, v12
	v_bfe_u32 v15, v12, 16, 1
	v_or_b32_e32 v16, 0x400000, v12
	v_cmp_u_f32_e32 vcc_lo, v12, v12
	v_add3_u32 v15, v15, v12, 0x7fff
	v_cndmask_b32_e32 v12, v15, v16, vcc_lo
	v_lshlrev_b32_e32 v15, 16, v31
	v_and_b32_e32 v12, 0xffff0000, v12
	v_mul_f32_e32 v15, v9, v15
	v_bfe_u32 v16, v15, 16, 1
	v_or_b32_e32 v21, 0x400000, v15
	v_cmp_u_f32_e32 vcc_lo, v15, v15
	v_add3_u32 v16, v16, v15, 0x7fff
	v_cndmask_b32_e32 v15, v16, v21, vcc_lo
	v_lshlrev_b32_e32 v16, 16, v17
	v_and_b32_e32 v15, 0xffff0000, v15
	v_mul_f32_e32 v16, v6, v16
	v_add_f32_e32 v12, v15, v12
	v_bfe_u32 v17, v16, 16, 1
	v_or_b32_e32 v21, 0x400000, v16
	v_cmp_u_f32_e32 vcc_lo, v16, v16
	v_add3_u32 v17, v17, v16, 0x7fff
	v_cndmask_b32_e32 v16, v17, v21, vcc_lo
	v_lshlrev_b32_e32 v17, 16, v18
	v_and_b32_e32 v16, 0xffff0000, v16
	v_mul_f32_e32 v17, v7, v17
	v_bfe_u32 v18, v17, 16, 1
	v_or_b32_e32 v21, 0x400000, v17
	v_cmp_u_f32_e32 vcc_lo, v17, v17
	v_add3_u32 v18, v18, v17, 0x7fff
	v_cndmask_b32_e32 v17, v18, v21, vcc_lo
	v_bfe_u32 v18, v0, 16, 1
	v_or_b32_e32 v21, 0x400000, v0
	v_cmp_u_f32_e32 vcc_lo, v0, v0
	v_and_b32_e32 v15, 0xffff0000, v17
	v_add3_u32 v18, v18, v0, 0x7fff
	v_add_f32_e32 v15, v15, v16
	v_cndmask_b32_e32 v0, v18, v21, vcc_lo
	v_bfe_u32 v18, v1, 16, 1
	v_or_b32_e32 v21, 0x400000, v1
	v_cmp_u_f32_e32 vcc_lo, v1, v1
	v_add_f32_e32 v12, v12, v15
	v_and_b32_e32 v0, 0xffff0000, v0
	v_add3_u32 v18, v18, v1, 0x7fff
	v_cndmask_b32_e32 v1, v18, v21, vcc_lo
	v_lshlrev_b32_e32 v18, 16, v33
	v_and_b32_e32 v1, 0xffff0000, v1
	v_mul_f32_e32 v18, v2, v18
	v_add_f32_e32 v0, v1, v0
	v_bfe_u32 v21, v18, 16, 1
	v_or_b32_e32 v23, 0x400000, v18
	v_cmp_u_f32_e32 vcc_lo, v18, v18
	v_add_f32_e32 v0, v12, v0
	v_add3_u32 v21, v21, v18, 0x7fff
	v_cndmask_b32_e32 v18, v21, v23, vcc_lo
	v_lshlrev_b32_e32 v21, 16, v22
	v_and_b32_e32 v12, 0xffff0000, v18
	v_mul_f32_e32 v21, v3, v21
	v_bfe_u32 v22, v21, 16, 1
	v_or_b32_e32 v23, 0x400000, v21
	v_cmp_u_f32_e32 vcc_lo, v21, v21
	v_add3_u32 v22, v22, v21, 0x7fff
	v_cndmask_b32_e32 v21, v22, v23, vcc_lo
	v_and_b32_e32 v1, 0xffff0000, v21
	v_add_f32_e32 v1, v1, v12
	v_add_f32_e32 v0, v0, v1
	buffer_load_dword v1, off, s[0:3], s32 offset:316 ; 4-byte Folded Reload
	s_waitcnt vmcnt(0)
	v_add_f32_e32 v1, v1, v0
	v_lshlrev_b32_e32 v0, 16, v111
	buffer_store_dword v1, off, s[0:3], s32 offset:316 ; 4-byte Folded Spill
	v_mul_f32_e32 v0, v8, v0
	v_bfe_u32 v1, v0, 16, 1
	v_or_b32_e32 v12, 0x400000, v0
	v_cmp_u_f32_e32 vcc_lo, v0, v0
	v_add3_u32 v1, v1, v0, 0x7fff
	v_cndmask_b32_e32 v0, v1, v12, vcc_lo
	v_lshlrev_b32_e32 v1, 16, v110
	v_and_b32_e32 v0, 0xffff0000, v0
	v_mul_f32_e32 v1, v9, v1
	v_bfe_u32 v12, v1, 16, 1
	v_or_b32_e32 v15, 0x400000, v1
	v_cmp_u_f32_e32 vcc_lo, v1, v1
	v_add3_u32 v12, v12, v1, 0x7fff
	v_cndmask_b32_e32 v1, v12, v15, vcc_lo
	v_lshlrev_b32_e32 v12, 16, v108
	v_and_b32_e32 v1, 0xffff0000, v1
	v_mul_f32_e32 v12, v6, v12
	v_add_f32_e32 v0, v1, v0
	v_bfe_u32 v15, v12, 16, 1
	v_or_b32_e32 v16, 0x400000, v12
	v_cmp_u_f32_e32 vcc_lo, v12, v12
	v_add3_u32 v15, v15, v12, 0x7fff
	v_cndmask_b32_e32 v12, v15, v16, vcc_lo
	v_lshlrev_b32_e32 v15, 16, v109
	v_and_b32_e32 v12, 0xffff0000, v12
	v_mul_f32_e32 v15, v7, v15
	v_bfe_u32 v16, v15, 16, 1
	v_or_b32_e32 v17, 0x400000, v15
	v_cmp_u_f32_e32 vcc_lo, v15, v15
	v_add3_u32 v16, v16, v15, 0x7fff
	v_cndmask_b32_e32 v15, v16, v17, vcc_lo
	v_lshlrev_b32_e32 v16, 16, v105
	v_and_b32_e32 v1, 0xffff0000, v15
	v_mul_f32_e32 v16, v4, v16
	v_add_f32_e32 v1, v1, v12
	v_bfe_u32 v17, v16, 16, 1
	v_or_b32_e32 v18, 0x400000, v16
	v_cmp_u_f32_e32 vcc_lo, v16, v16
	v_add_f32_e32 v0, v0, v1
	v_add3_u32 v17, v17, v16, 0x7fff
	v_cndmask_b32_e32 v16, v17, v18, vcc_lo
	v_lshlrev_b32_e32 v17, 16, v104
	v_and_b32_e32 v12, 0xffff0000, v16
	v_mul_f32_e32 v17, v5, v17
	v_bfe_u32 v18, v17, 16, 1
	v_or_b32_e32 v21, 0x400000, v17
	v_cmp_u_f32_e32 vcc_lo, v17, v17
	v_add3_u32 v18, v18, v17, 0x7fff
	v_cndmask_b32_e32 v17, v18, v21, vcc_lo
	v_lshlrev_b32_e32 v18, 16, v107
	v_and_b32_e32 v1, 0xffff0000, v17
	v_mul_f32_e32 v18, v2, v18
	v_add_f32_e32 v1, v1, v12
	v_bfe_u32 v21, v18, 16, 1
	v_or_b32_e32 v22, 0x400000, v18
	v_cmp_u_f32_e32 vcc_lo, v18, v18
	v_add_f32_e32 v0, v0, v1
	v_add3_u32 v21, v21, v18, 0x7fff
	v_cndmask_b32_e32 v18, v21, v22, vcc_lo
	v_lshlrev_b32_e32 v21, 16, v106
	v_and_b32_e32 v12, 0xffff0000, v18
	v_mul_f32_e32 v21, v3, v21
	v_bfe_u32 v22, v21, 16, 1
	v_or_b32_e32 v23, 0x400000, v21
	v_cmp_u_f32_e32 vcc_lo, v21, v21
	v_add3_u32 v22, v22, v21, 0x7fff
	v_cndmask_b32_e32 v21, v22, v23, vcc_lo
	v_and_b32_e32 v1, 0xffff0000, v21
	v_add_f32_e32 v1, v1, v12
	v_add_f32_e32 v0, v0, v1
	buffer_load_dword v1, off, s[0:3], s32 offset:320 ; 4-byte Folded Reload
	s_waitcnt vmcnt(0)
	v_add_f32_e32 v1, v1, v0
	v_lshlrev_b32_e32 v0, 16, v95
	buffer_store_dword v1, off, s[0:3], s32 offset:320 ; 4-byte Folded Spill
	v_mul_f32_e32 v0, v8, v0
	v_bfe_u32 v1, v0, 16, 1
	v_or_b32_e32 v12, 0x400000, v0
	v_cmp_u_f32_e32 vcc_lo, v0, v0
	v_add3_u32 v1, v1, v0, 0x7fff
	v_cndmask_b32_e32 v0, v1, v12, vcc_lo
	v_lshlrev_b32_e32 v1, 16, v94
	v_and_b32_e32 v0, 0xffff0000, v0
	v_mul_f32_e32 v1, v9, v1
	v_bfe_u32 v12, v1, 16, 1
	v_or_b32_e32 v15, 0x400000, v1
	v_cmp_u_f32_e32 vcc_lo, v1, v1
	v_add3_u32 v12, v12, v1, 0x7fff
	v_cndmask_b32_e32 v1, v12, v15, vcc_lo
	v_lshlrev_b32_e32 v12, 16, v92
	v_and_b32_e32 v1, 0xffff0000, v1
	v_mul_f32_e32 v12, v6, v12
	v_add_f32_e32 v0, v1, v0
	v_bfe_u32 v15, v12, 16, 1
	v_or_b32_e32 v16, 0x400000, v12
	v_cmp_u_f32_e32 vcc_lo, v12, v12
	v_add3_u32 v15, v15, v12, 0x7fff
	v_cndmask_b32_e32 v12, v15, v16, vcc_lo
	v_lshlrev_b32_e32 v15, 16, v93
	v_and_b32_e32 v12, 0xffff0000, v12
	v_mul_f32_e32 v15, v7, v15
	v_bfe_u32 v16, v15, 16, 1
	v_or_b32_e32 v17, 0x400000, v15
	v_cmp_u_f32_e32 vcc_lo, v15, v15
	v_add3_u32 v16, v16, v15, 0x7fff
	v_cndmask_b32_e32 v15, v16, v17, vcc_lo
	v_lshlrev_b32_e32 v16, 16, v90
	v_and_b32_e32 v1, 0xffff0000, v15
	v_mul_f32_e32 v16, v4, v16
	v_add_f32_e32 v1, v1, v12
	v_bfe_u32 v17, v16, 16, 1
	v_or_b32_e32 v18, 0x400000, v16
	v_cmp_u_f32_e32 vcc_lo, v16, v16
	v_add_f32_e32 v0, v0, v1
	v_add3_u32 v17, v17, v16, 0x7fff
	v_cndmask_b32_e32 v16, v17, v18, vcc_lo
	v_lshlrev_b32_e32 v17, 16, v89
	v_and_b32_e32 v12, 0xffff0000, v16
	v_mul_f32_e32 v17, v5, v17
	v_bfe_u32 v18, v17, 16, 1
	v_or_b32_e32 v21, 0x400000, v17
	v_cmp_u_f32_e32 vcc_lo, v17, v17
	v_add3_u32 v18, v18, v17, 0x7fff
	v_cndmask_b32_e32 v17, v18, v21, vcc_lo
	v_lshlrev_b32_e32 v18, 16, v91
	v_and_b32_e32 v1, 0xffff0000, v17
	v_mul_f32_e32 v18, v2, v18
	v_add_f32_e32 v1, v1, v12
	v_bfe_u32 v21, v18, 16, 1
	v_or_b32_e32 v22, 0x400000, v18
	v_cmp_u_f32_e32 vcc_lo, v18, v18
	v_add_f32_e32 v0, v0, v1
	v_add3_u32 v21, v21, v18, 0x7fff
	v_cndmask_b32_e32 v18, v21, v22, vcc_lo
	v_lshlrev_b32_e32 v21, 16, v88
	v_and_b32_e32 v12, 0xffff0000, v18
	v_mul_f32_e32 v21, v3, v21
	v_bfe_u32 v22, v21, 16, 1
	v_or_b32_e32 v23, 0x400000, v21
	v_cmp_u_f32_e32 vcc_lo, v21, v21
	v_add3_u32 v22, v22, v21, 0x7fff
	v_cndmask_b32_e32 v21, v22, v23, vcc_lo
	v_and_b32_e32 v1, 0xffff0000, v21
	v_add_f32_e32 v1, v1, v12
	v_add_f32_e32 v0, v0, v1
	buffer_load_dword v1, off, s[0:3], s32 offset:324 ; 4-byte Folded Reload
	s_waitcnt vmcnt(0)
	v_add_f32_e32 v1, v1, v0
	v_lshlrev_b32_e32 v0, 16, v63
	buffer_store_dword v1, off, s[0:3], s32 offset:324 ; 4-byte Folded Spill
	v_mul_f32_e32 v0, v8, v0
	v_bfe_u32 v1, v0, 16, 1
	v_or_b32_e32 v12, 0x400000, v0
	v_cmp_u_f32_e32 vcc_lo, v0, v0
	v_add3_u32 v1, v1, v0, 0x7fff
	v_cndmask_b32_e32 v0, v1, v12, vcc_lo
	v_lshlrev_b32_e32 v1, 16, v62
	v_and_b32_e32 v0, 0xffff0000, v0
	v_mul_f32_e32 v1, v9, v1
	v_bfe_u32 v12, v1, 16, 1
	v_or_b32_e32 v15, 0x400000, v1
	v_cmp_u_f32_e32 vcc_lo, v1, v1
	v_add3_u32 v12, v12, v1, 0x7fff
	v_cndmask_b32_e32 v1, v12, v15, vcc_lo
	v_lshlrev_b32_e32 v12, 16, v61
	v_and_b32_e32 v1, 0xffff0000, v1
	v_mul_f32_e32 v12, v6, v12
	v_add_f32_e32 v0, v1, v0
	v_bfe_u32 v15, v12, 16, 1
	v_or_b32_e32 v16, 0x400000, v12
	v_cmp_u_f32_e32 vcc_lo, v12, v12
	v_add3_u32 v15, v15, v12, 0x7fff
	v_cndmask_b32_e32 v12, v15, v16, vcc_lo
	v_lshlrev_b32_e32 v15, 16, v60
	v_and_b32_e32 v12, 0xffff0000, v12
	v_mul_f32_e32 v15, v7, v15
	v_bfe_u32 v16, v15, 16, 1
	v_or_b32_e32 v17, 0x400000, v15
	v_cmp_u_f32_e32 vcc_lo, v15, v15
	v_add3_u32 v16, v16, v15, 0x7fff
	v_cndmask_b32_e32 v15, v16, v17, vcc_lo
	v_lshlrev_b32_e32 v16, 16, v59
	v_and_b32_e32 v1, 0xffff0000, v15
	v_mul_f32_e32 v16, v4, v16
	v_add_f32_e32 v1, v1, v12
	v_bfe_u32 v17, v16, 16, 1
	v_or_b32_e32 v18, 0x400000, v16
	v_cmp_u_f32_e32 vcc_lo, v16, v16
	v_add_f32_e32 v0, v0, v1
	v_add3_u32 v17, v17, v16, 0x7fff
	v_cndmask_b32_e32 v16, v17, v18, vcc_lo
	v_lshlrev_b32_e32 v17, 16, v58
	v_and_b32_e32 v12, 0xffff0000, v16
	v_mul_f32_e32 v17, v5, v17
	v_bfe_u32 v18, v17, 16, 1
	v_or_b32_e32 v21, 0x400000, v17
	v_cmp_u_f32_e32 vcc_lo, v17, v17
	v_add3_u32 v18, v18, v17, 0x7fff
	v_cndmask_b32_e32 v17, v18, v21, vcc_lo
	v_lshlrev_b32_e32 v18, 16, v57
	v_and_b32_e32 v1, 0xffff0000, v17
	v_mul_f32_e32 v18, v2, v18
	v_add_f32_e32 v1, v1, v12
	v_bfe_u32 v21, v18, 16, 1
	v_or_b32_e32 v22, 0x400000, v18
	v_cmp_u_f32_e32 vcc_lo, v18, v18
	v_add_f32_e32 v0, v0, v1
	v_add3_u32 v21, v21, v18, 0x7fff
	v_cndmask_b32_e32 v18, v21, v22, vcc_lo
	v_lshlrev_b32_e32 v21, 16, v47
	v_and_b32_e32 v12, 0xffff0000, v18
	v_mul_f32_e32 v21, v3, v21
	v_bfe_u32 v22, v21, 16, 1
	v_or_b32_e32 v23, 0x400000, v21
	v_cmp_u_f32_e32 vcc_lo, v21, v21
	v_add3_u32 v22, v22, v21, 0x7fff
	v_cndmask_b32_e32 v21, v22, v23, vcc_lo
	v_and_b32_e32 v1, 0xffff0000, v21
	v_add_f32_e32 v1, v1, v12
	v_add_f32_e32 v0, v0, v1
	buffer_load_dword v1, off, s[0:3], s32 offset:328 ; 4-byte Folded Reload
	s_waitcnt vmcnt(0)
	v_add_f32_e32 v1, v1, v0
	v_lshlrev_b32_e32 v0, 16, v46
	buffer_store_dword v1, off, s[0:3], s32 offset:328 ; 4-byte Folded Spill
	v_mul_f32_e32 v0, v8, v0
	v_bfe_u32 v1, v0, 16, 1
	v_or_b32_e32 v12, 0x400000, v0
	v_cmp_u_f32_e32 vcc_lo, v0, v0
	v_add3_u32 v1, v1, v0, 0x7fff
	v_cndmask_b32_e32 v0, v1, v12, vcc_lo
	v_lshlrev_b32_e32 v1, 16, v45
	v_and_b32_e32 v0, 0xffff0000, v0
	v_mul_f32_e32 v1, v9, v1
	v_bfe_u32 v12, v1, 16, 1
	v_or_b32_e32 v15, 0x400000, v1
	v_cmp_u_f32_e32 vcc_lo, v1, v1
	v_add3_u32 v12, v12, v1, 0x7fff
	v_cndmask_b32_e32 v1, v12, v15, vcc_lo
	v_lshlrev_b32_e32 v12, 16, v44
	v_and_b32_e32 v1, 0xffff0000, v1
	v_mul_f32_e32 v12, v6, v12
	v_add_f32_e32 v0, v1, v0
	v_bfe_u32 v15, v12, 16, 1
	v_or_b32_e32 v16, 0x400000, v12
	v_cmp_u_f32_e32 vcc_lo, v12, v12
	v_add3_u32 v15, v15, v12, 0x7fff
	v_cndmask_b32_e32 v12, v15, v16, vcc_lo
	v_lshlrev_b32_e32 v15, 16, v43
	v_and_b32_e32 v12, 0xffff0000, v12
	v_mul_f32_e32 v15, v7, v15
	v_bfe_u32 v16, v15, 16, 1
	v_or_b32_e32 v17, 0x400000, v15
	v_cmp_u_f32_e32 vcc_lo, v15, v15
	v_add3_u32 v16, v16, v15, 0x7fff
	v_cndmask_b32_e32 v15, v16, v17, vcc_lo
	v_lshlrev_b32_e32 v16, 16, v42
	v_and_b32_e32 v1, 0xffff0000, v15
	v_mul_f32_e32 v16, v4, v16
	v_add_f32_e32 v1, v1, v12
	v_bfe_u32 v17, v16, 16, 1
	v_or_b32_e32 v18, 0x400000, v16
	v_cmp_u_f32_e32 vcc_lo, v16, v16
	v_add_f32_e32 v0, v0, v1
	v_add3_u32 v17, v17, v16, 0x7fff
	v_cndmask_b32_e32 v16, v17, v18, vcc_lo
	v_lshlrev_b32_e32 v17, 16, v41
	v_and_b32_e32 v12, 0xffff0000, v16
	v_mul_f32_e32 v17, v5, v17
	v_bfe_u32 v18, v17, 16, 1
	v_or_b32_e32 v21, 0x400000, v17
	v_cmp_u_f32_e32 vcc_lo, v17, v17
	v_add3_u32 v18, v18, v17, 0x7fff
	v_cndmask_b32_e32 v17, v18, v21, vcc_lo
	v_lshlrev_b32_e32 v18, 16, v40
	v_and_b32_e32 v1, 0xffff0000, v17
	v_mul_f32_e32 v18, v2, v18
	v_add_f32_e32 v1, v1, v12
	v_bfe_u32 v21, v18, 16, 1
	v_or_b32_e32 v22, 0x400000, v18
	v_cmp_u_f32_e32 vcc_lo, v18, v18
	v_add_f32_e32 v0, v0, v1
	v_add3_u32 v21, v21, v18, 0x7fff
	v_cndmask_b32_e32 v18, v21, v22, vcc_lo
	buffer_load_dword v21, off, s[0:3], s32 offset:284 ; 4-byte Folded Reload
	v_and_b32_e32 v12, 0xffff0000, v18
	s_waitcnt vmcnt(0)
	v_lshlrev_b32_e32 v21, 16, v21
	v_mul_f32_e32 v21, v3, v21
	v_bfe_u32 v22, v21, 16, 1
	v_or_b32_e32 v23, 0x400000, v21
	v_cmp_u_f32_e32 vcc_lo, v21, v21
	v_add3_u32 v22, v22, v21, 0x7fff
	v_cndmask_b32_e32 v21, v22, v23, vcc_lo
	v_and_b32_e32 v1, 0xffff0000, v21
	v_add_f32_e32 v1, v1, v12
	v_add_f32_e32 v0, v0, v1
	buffer_load_dword v1, off, s[0:3], s32 offset:332 ; 4-byte Folded Reload
	s_waitcnt vmcnt(0)
	v_add_f32_e32 v1, v1, v0
	buffer_load_dword v0, off, s[0:3], s32 offset:280 ; 4-byte Folded Reload
	buffer_store_dword v1, off, s[0:3], s32 offset:332 ; 4-byte Folded Spill
	s_waitcnt vmcnt(0)
	v_lshlrev_b32_e32 v0, 16, v0
	v_mul_f32_e32 v0, v8, v0
	v_bfe_u32 v1, v0, 16, 1
	v_or_b32_e32 v12, 0x400000, v0
	v_cmp_u_f32_e32 vcc_lo, v0, v0
	v_add3_u32 v1, v1, v0, 0x7fff
	v_cndmask_b32_e32 v0, v1, v12, vcc_lo
	buffer_load_dword v1, off, s[0:3], s32 offset:276 ; 4-byte Folded Reload
	v_and_b32_e32 v0, 0xffff0000, v0
	s_waitcnt vmcnt(0)
	v_lshlrev_b32_e32 v1, 16, v1
	v_mul_f32_e32 v1, v9, v1
	v_bfe_u32 v12, v1, 16, 1
	v_or_b32_e32 v15, 0x400000, v1
	v_cmp_u_f32_e32 vcc_lo, v1, v1
	v_add3_u32 v12, v12, v1, 0x7fff
	v_cndmask_b32_e32 v1, v12, v15, vcc_lo
	buffer_load_dword v12, off, s[0:3], s32 offset:272 ; 4-byte Folded Reload
	v_and_b32_e32 v1, 0xffff0000, v1
	v_add_f32_e32 v0, v1, v0
	s_waitcnt vmcnt(0)
	v_lshlrev_b32_e32 v12, 16, v12
	v_mul_f32_e32 v12, v6, v12
	v_bfe_u32 v15, v12, 16, 1
	v_or_b32_e32 v16, 0x400000, v12
	v_cmp_u_f32_e32 vcc_lo, v12, v12
	v_add3_u32 v15, v15, v12, 0x7fff
	v_cndmask_b32_e32 v12, v15, v16, vcc_lo
	buffer_load_dword v15, off, s[0:3], s32 offset:268 ; 4-byte Folded Reload
	v_and_b32_e32 v12, 0xffff0000, v12
	s_waitcnt vmcnt(0)
	v_lshlrev_b32_e32 v15, 16, v15
	v_mul_f32_e32 v15, v7, v15
	v_bfe_u32 v16, v15, 16, 1
	v_or_b32_e32 v17, 0x400000, v15
	v_cmp_u_f32_e32 vcc_lo, v15, v15
	v_add3_u32 v16, v16, v15, 0x7fff
	v_cndmask_b32_e32 v15, v16, v17, vcc_lo
	buffer_load_dword v16, off, s[0:3], s32 offset:264 ; 4-byte Folded Reload
	v_and_b32_e32 v1, 0xffff0000, v15
	v_add_f32_e32 v1, v1, v12
	v_add_f32_e32 v0, v0, v1
	s_waitcnt vmcnt(0)
	v_lshlrev_b32_e32 v16, 16, v16
	v_mul_f32_e32 v16, v4, v16
	v_bfe_u32 v17, v16, 16, 1
	v_or_b32_e32 v18, 0x400000, v16
	v_cmp_u_f32_e32 vcc_lo, v16, v16
	v_add3_u32 v17, v17, v16, 0x7fff
	v_cndmask_b32_e32 v16, v17, v18, vcc_lo
	buffer_load_dword v17, off, s[0:3], s32 offset:260 ; 4-byte Folded Reload
	v_and_b32_e32 v12, 0xffff0000, v16
	s_waitcnt vmcnt(0)
	v_lshlrev_b32_e32 v17, 16, v17
	v_mul_f32_e32 v17, v5, v17
	v_bfe_u32 v18, v17, 16, 1
	v_or_b32_e32 v21, 0x400000, v17
	v_cmp_u_f32_e32 vcc_lo, v17, v17
	v_add3_u32 v18, v18, v17, 0x7fff
	v_cndmask_b32_e32 v17, v18, v21, vcc_lo
	buffer_load_dword v18, off, s[0:3], s32 offset:256 ; 4-byte Folded Reload
	v_and_b32_e32 v1, 0xffff0000, v17
	v_add_f32_e32 v1, v1, v12
	v_add_f32_e32 v0, v0, v1
	s_waitcnt vmcnt(0)
	v_lshlrev_b32_e32 v18, 16, v18
	v_mul_f32_e32 v18, v2, v18
	v_bfe_u32 v21, v18, 16, 1
	v_or_b32_e32 v22, 0x400000, v18
	v_cmp_u_f32_e32 vcc_lo, v18, v18
	v_add3_u32 v21, v21, v18, 0x7fff
	v_cndmask_b32_e32 v18, v21, v22, vcc_lo
	buffer_load_dword v21, off, s[0:3], s32 offset:252 ; 4-byte Folded Reload
	v_and_b32_e32 v12, 0xffff0000, v18
	s_waitcnt vmcnt(0)
	v_lshlrev_b32_e32 v21, 16, v21
	v_mul_f32_e32 v21, v3, v21
	v_bfe_u32 v22, v21, 16, 1
	v_or_b32_e32 v23, 0x400000, v21
	v_cmp_u_f32_e32 vcc_lo, v21, v21
	v_add3_u32 v22, v22, v21, 0x7fff
	v_cndmask_b32_e32 v21, v22, v23, vcc_lo
	v_and_b32_e32 v1, 0xffff0000, v21
	v_add_f32_e32 v1, v1, v12
	v_add_f32_e32 v0, v0, v1
	buffer_load_dword v1, off, s[0:3], s32 offset:340 ; 4-byte Folded Reload
	s_waitcnt vmcnt(0)
	v_add_f32_e32 v1, v1, v0
	buffer_load_dword v0, off, s[0:3], s32 offset:248 ; 4-byte Folded Reload
	buffer_store_dword v1, off, s[0:3], s32 offset:340 ; 4-byte Folded Spill
	s_waitcnt vmcnt(0)
	v_lshlrev_b32_e32 v0, 16, v0
	v_mul_f32_e32 v0, v8, v0
	v_bfe_u32 v1, v0, 16, 1
	v_or_b32_e32 v12, 0x400000, v0
	v_cmp_u_f32_e32 vcc_lo, v0, v0
	v_add3_u32 v1, v1, v0, 0x7fff
	v_cndmask_b32_e32 v0, v1, v12, vcc_lo
	buffer_load_dword v1, off, s[0:3], s32 offset:240 ; 4-byte Folded Reload
	v_and_b32_e32 v0, 0xffff0000, v0
	s_waitcnt vmcnt(0)
	v_lshlrev_b32_e32 v1, 16, v1
	v_mul_f32_e32 v1, v9, v1
	v_bfe_u32 v12, v1, 16, 1
	v_or_b32_e32 v15, 0x400000, v1
	v_cmp_u_f32_e32 vcc_lo, v1, v1
	v_add3_u32 v12, v12, v1, 0x7fff
	v_cndmask_b32_e32 v1, v12, v15, vcc_lo
	buffer_load_dword v12, off, s[0:3], s32 offset:236 ; 4-byte Folded Reload
	v_and_b32_e32 v1, 0xffff0000, v1
	v_add_f32_e32 v0, v1, v0
	s_waitcnt vmcnt(0)
	v_lshlrev_b32_e32 v12, 16, v12
	v_mul_f32_e32 v12, v6, v12
	v_bfe_u32 v15, v12, 16, 1
	v_or_b32_e32 v16, 0x400000, v12
	v_cmp_u_f32_e32 vcc_lo, v12, v12
	v_add3_u32 v15, v15, v12, 0x7fff
	v_cndmask_b32_e32 v12, v15, v16, vcc_lo
	buffer_load_dword v15, off, s[0:3], s32 offset:232 ; 4-byte Folded Reload
	v_and_b32_e32 v12, 0xffff0000, v12
	s_waitcnt vmcnt(0)
	v_lshlrev_b32_e32 v15, 16, v15
	v_mul_f32_e32 v15, v7, v15
	v_bfe_u32 v16, v15, 16, 1
	v_or_b32_e32 v17, 0x400000, v15
	v_cmp_u_f32_e32 vcc_lo, v15, v15
	v_add3_u32 v16, v16, v15, 0x7fff
	v_cndmask_b32_e32 v15, v16, v17, vcc_lo
	buffer_load_dword v16, off, s[0:3], s32 offset:228 ; 4-byte Folded Reload
	v_and_b32_e32 v1, 0xffff0000, v15
	v_add_f32_e32 v1, v1, v12
	v_add_f32_e32 v0, v0, v1
	s_waitcnt vmcnt(0)
	v_lshlrev_b32_e32 v16, 16, v16
	v_mul_f32_e32 v16, v4, v16
	v_bfe_u32 v17, v16, 16, 1
	v_or_b32_e32 v18, 0x400000, v16
	v_cmp_u_f32_e32 vcc_lo, v16, v16
	v_add3_u32 v17, v17, v16, 0x7fff
	v_cndmask_b32_e32 v16, v17, v18, vcc_lo
	buffer_load_dword v17, off, s[0:3], s32 offset:220 ; 4-byte Folded Reload
	v_and_b32_e32 v12, 0xffff0000, v16
	s_waitcnt vmcnt(0)
	v_lshlrev_b32_e32 v17, 16, v17
	v_mul_f32_e32 v17, v5, v17
	v_bfe_u32 v18, v17, 16, 1
	v_or_b32_e32 v21, 0x400000, v17
	v_cmp_u_f32_e32 vcc_lo, v17, v17
	v_add3_u32 v18, v18, v17, 0x7fff
	v_cndmask_b32_e32 v17, v18, v21, vcc_lo
	buffer_load_dword v18, off, s[0:3], s32 offset:224 ; 4-byte Folded Reload
	v_and_b32_e32 v1, 0xffff0000, v17
	v_add_f32_e32 v1, v1, v12
	v_add_f32_e32 v0, v0, v1
	s_waitcnt vmcnt(0)
	v_lshlrev_b32_e32 v18, 16, v18
	v_mul_f32_e32 v18, v2, v18
	v_bfe_u32 v21, v18, 16, 1
	v_or_b32_e32 v22, 0x400000, v18
	v_cmp_u_f32_e32 vcc_lo, v18, v18
	v_add3_u32 v21, v21, v18, 0x7fff
	v_cndmask_b32_e32 v18, v21, v22, vcc_lo
	buffer_load_dword v21, off, s[0:3], s32 offset:216 ; 4-byte Folded Reload
	v_and_b32_e32 v12, 0xffff0000, v18
	s_waitcnt vmcnt(0)
	v_lshlrev_b32_e32 v21, 16, v21
	v_mul_f32_e32 v21, v3, v21
	v_bfe_u32 v22, v21, 16, 1
	v_or_b32_e32 v23, 0x400000, v21
	v_cmp_u_f32_e32 vcc_lo, v21, v21
	v_add3_u32 v22, v22, v21, 0x7fff
	v_cndmask_b32_e32 v21, v22, v23, vcc_lo
	v_and_b32_e32 v1, 0xffff0000, v21
	v_add_f32_e32 v1, v1, v12
	v_add_f32_e32 v0, v0, v1
	buffer_load_dword v1, off, s[0:3], s32 offset:336 ; 4-byte Folded Reload
	s_waitcnt vmcnt(0)
	v_add_f32_e32 v1, v1, v0
	v_lshlrev_b32_e32 v0, 16, v64
	buffer_store_dword v1, off, s[0:3], s32 offset:336 ; 4-byte Folded Spill
	v_mul_f32_e32 v0, v9, v0
	v_bfe_u32 v1, v0, 16, 1
	v_or_b32_e32 v9, 0x400000, v0
	v_cmp_u_f32_e32 vcc_lo, v0, v0
	v_add3_u32 v1, v1, v0, 0x7fff
	v_cndmask_b32_e32 v0, v1, v9, vcc_lo
	v_lshlrev_b32_e32 v1, 16, v27
	v_and_b32_e32 v0, 0xffff0000, v0
	v_mul_f32_e32 v1, v8, v1
	v_bfe_u32 v8, v1, 16, 1
	v_or_b32_e32 v9, 0x400000, v1
	v_cmp_u_f32_e32 vcc_lo, v1, v1
	v_add3_u32 v8, v8, v1, 0x7fff
	v_cndmask_b32_e32 v1, v8, v9, vcc_lo
	v_lshlrev_b32_e32 v8, 16, v25
	v_and_b32_e32 v1, 0xffff0000, v1
	v_mul_f32_e32 v7, v7, v8
	v_add_f32_e32 v0, v0, v1
	v_bfe_u32 v8, v7, 16, 1
	v_or_b32_e32 v9, 0x400000, v7
	v_cmp_u_f32_e32 vcc_lo, v7, v7
	v_add3_u32 v8, v8, v7, 0x7fff
	v_cndmask_b32_e32 v7, v8, v9, vcc_lo
	v_lshlrev_b32_e32 v8, 16, v20
	v_mul_f32_e32 v6, v6, v8
	v_bfe_u32 v8, v6, 16, 1
	v_or_b32_e32 v9, 0x400000, v6
	v_cmp_u_f32_e32 vcc_lo, v6, v6
	v_add3_u32 v8, v8, v6, 0x7fff
	v_cndmask_b32_e32 v6, v8, v9, vcc_lo
	v_lshlrev_b32_e32 v8, 16, v19
	buffer_load_dword v19, off, s[0:3], s32 offset:348 ; 4-byte Folded Reload
	v_and_b32_e32 v1, 0xffff0000, v6
	v_mul_f32_e32 v5, v5, v8
	v_and_b32_e32 v6, 0xffff0000, v7
	v_bfe_u32 v8, v5, 16, 1
	v_or_b32_e32 v9, 0x400000, v5
	v_cmp_u_f32_e32 vcc_lo, v5, v5
	v_add_f32_e32 v1, v6, v1
	v_add3_u32 v8, v8, v5, 0x7fff
	v_add_f32_e32 v0, v0, v1
	v_cndmask_b32_e32 v5, v8, v9, vcc_lo
	v_lshlrev_b32_e32 v8, 16, v13
	v_mul_f32_e32 v4, v4, v8
	v_bfe_u32 v8, v4, 16, 1
	v_or_b32_e32 v9, 0x400000, v4
	v_cmp_u_f32_e32 vcc_lo, v4, v4
	v_add3_u32 v8, v8, v4, 0x7fff
	v_cndmask_b32_e32 v4, v8, v9, vcc_lo
	v_lshlrev_b32_e32 v8, 16, v24
	v_and_b32_e32 v1, 0xffff0000, v4
	v_mul_f32_e32 v3, v3, v8
	v_and_b32_e32 v4, 0xffff0000, v5
	v_bfe_u32 v8, v3, 16, 1
	v_or_b32_e32 v9, 0x400000, v3
	v_cmp_u_f32_e32 vcc_lo, v3, v3
	v_add_f32_e32 v1, v4, v1
	v_add3_u32 v8, v8, v3, 0x7fff
	v_add_f32_e32 v0, v0, v1
	v_cndmask_b32_e32 v3, v8, v9, vcc_lo
	v_lshlrev_b32_e32 v8, 16, v26
	v_mul_f32_e32 v2, v2, v8
	v_bfe_u32 v8, v2, 16, 1
	v_or_b32_e32 v9, 0x400000, v2
	v_cmp_u_f32_e32 vcc_lo, v2, v2
	v_add3_u32 v8, v8, v2, 0x7fff
	v_cndmask_b32_e32 v2, v8, v9, vcc_lo
	v_and_b32_e32 v1, 0xffff0000, v2
	v_and_b32_e32 v2, 0xffff0000, v3
	v_add_f32_e32 v1, v2, v1
	v_add_f32_e32 v0, v0, v1
	s_waitcnt vmcnt(0)
	v_add_f32_e32 v19, v19, v0
.LBB349_930:                            ;   in Loop: Header=BB349_931 Depth=1
	s_or_b32 exec_lo, exec_lo, s17
	buffer_load_dword v0, off, s[0:3], s32 offset:192 ; 4-byte Folded Reload
	v_add_nc_u32_e32 v86, 4, v86
	v_add_co_u32 v10, s4, v10, 16
	v_add_nc_u32_e32 v37, 0x80, v37
	v_add_nc_u32_e32 v84, 0x200, v84
	v_add_co_ci_u32_e64 v11, null, 0, v11, s4
	s_waitcnt vmcnt(0)
	v_cmp_ge_i32_e32 vcc_lo, v86, v0
	s_or_b32 s13, vcc_lo, s13
	s_andn2_b32 exec_lo, exec_lo, s13
	s_cbranch_execz .LBB349_1856
.LBB349_931:                            ; =>This Inner Loop Header: Depth=1
	buffer_load_dword v0, off, s[0:3], s32 offset:208 ; 4-byte Folded Reload
	s_waitcnt vmcnt(0)
	v_mul_hi_u32 v0, v37, v0
	v_mul_lo_u32 v1, v0, v34
	v_add_nc_u32_e32 v2, 1, v0
	v_sub_nc_u32_e32 v1, v37, v1
	v_sub_nc_u32_e32 v3, v1, v34
	v_cmp_ge_u32_e32 vcc_lo, v1, v34
	v_cndmask_b32_e32 v1, v1, v3, vcc_lo
	v_cndmask_b32_e32 v0, v0, v2, vcc_lo
	v_cmp_ge_u32_e32 vcc_lo, v1, v34
	buffer_load_dword v1, off, s[0:3], s32 offset:204 ; 4-byte Folded Reload
	v_add_nc_u32_e32 v2, 1, v0
	v_cndmask_b32_e32 v0, v0, v2, vcc_lo
	s_waitcnt vmcnt(0)
	v_xor_b32_e32 v0, v0, v1
	v_sub_nc_u32_e32 v0, v0, v1
	s_clause 0x2
	buffer_load_dword v1, off, s[0:3], s32 offset:196
	buffer_load_dword v2, off, s[0:3], s32 offset:200
	;; [unrolled: 1-line block ×3, first 2 shown]
	s_waitcnt vmcnt(2)
	v_add_nc_u32_e32 v1, v0, v1
	s_waitcnt vmcnt(1)
	v_sub_nc_u32_e32 v2, 0, v1
	v_max_i32_e32 v2, v1, v2
	v_ashrrev_i32_e32 v1, 31, v1
	s_waitcnt vmcnt(0)
	v_mul_hi_u32 v3, v2, v3
	v_mul_lo_u32 v3, v3, v69
	v_sub_nc_u32_e32 v2, v2, v3
	v_sub_nc_u32_e32 v3, v2, v69
	v_cmp_ge_u32_e32 vcc_lo, v2, v69
	v_cndmask_b32_e32 v2, v2, v3, vcc_lo
	v_sub_nc_u32_e32 v3, v2, v69
	v_cmp_ge_u32_e32 vcc_lo, v2, v69
	v_cndmask_b32_e32 v2, v2, v3, vcc_lo
	v_xor_b32_e32 v2, v2, v1
	v_sub_nc_u32_e32 v1, v2, v1
	v_cmp_eq_u32_e32 vcc_lo, 0, v1
	buffer_load_dword v1, off, s[0:3], s32 offset:212 ; 4-byte Folded Reload
	s_waitcnt vmcnt(0)
	v_cmp_gt_i32_e64 s4, v0, v1
	s_or_b32 s4, vcc_lo, s4
	s_and_saveexec_b32 s17, s4
	s_cbranch_execz .LBB349_930
; %bb.932:                              ;   in Loop: Header=BB349_931 Depth=1
	buffer_store_dword v19, off, s[0:3], s32 offset:348 ; 4-byte Folded Spill
	flat_load_dword v0, v[10:11]
	s_clause 0x2
	buffer_load_dword v1, off, s[0:3], s32 offset:288
	buffer_load_dword v2, off, s[0:3], s32 offset:368
	;; [unrolled: 1-line block ×3, first 2 shown]
	s_waitcnt vmcnt(0) lgkmcnt(0)
	v_mad_i64_i32 v[19:20], null, v0, v1, v[2:3]
	flat_load_dwordx2 v[24:25], v[19:20]
	s_clause 0x1
	buffer_load_dword v0, off, s[0:3], s32 offset:356
	buffer_load_dword v1, off, s[0:3], s32 offset:360
	s_load_dword s4, s[8:9], 0x0
	s_waitcnt vmcnt(2) lgkmcnt(0)
	v_cmp_ne_u16_sdwa s18, v24, v14 src0_sel:BYTE_0 src1_sel:DWORD
	s_waitcnt vmcnt(0)
	flat_load_dword v56, v[0:1]
	v_add_nc_u32_e32 v0, s4, v84
	v_mov_b32_e32 v1, 0
	ds_read2_b64 v[6:9], v0 offset1:1
	ds_read2_b64 v[2:5], v0 offset0:2 offset1:3
	v_mov_b32_e32 v0, 0
	s_and_saveexec_b32 s4, s18
	s_cbranch_execz .LBB349_940
; %bb.933:                              ;   in Loop: Header=BB349_931 Depth=1
	v_cmp_ne_u16_sdwa s19, v24, v70 src0_sel:BYTE_0 src1_sel:DWORD
	v_bfrev_b32_e32 v0, 1
	s_and_saveexec_b32 s18, s19
	s_cbranch_execz .LBB349_939
; %bb.934:                              ;   in Loop: Header=BB349_931 Depth=1
	v_and_b32_e32 v12, 0x7f, v24
	v_mov_b32_e32 v0, 0x7f800001
	s_mov_b32 s19, exec_lo
	v_cmpx_ne_u32_e32 0x7f, v12
	s_cbranch_execz .LBB349_938
; %bb.935:                              ;   in Loop: Header=BB349_931 Depth=1
	v_mov_b32_e32 v27, v25
	v_lshrrev_b32_e32 v0, 3, v12
	v_mov_b32_e32 v26, v24
	s_mov_b32 s20, exec_lo
	v_cmpx_gt_u32_e32 8, v12
; %bb.936:                              ;   in Loop: Header=BB349_931 Depth=1
	v_and_b32_e32 v0, 7, v24
	v_ffbh_u32_e32 v0, v0
	v_min_u32_e32 v0, 32, v0
	v_subrev_nc_u32_e32 v12, 28, v0
	v_sub_nc_u32_e32 v0, 29, v0
	v_lshlrev_b64 v[26:27], v12, v[24:25]
; %bb.937:                              ;   in Loop: Header=BB349_931 Depth=1
	s_or_b32 exec_lo, exec_lo, s20
	v_lshlrev_b32_e32 v12, 20, v26
	v_lshlrev_b32_e32 v13, 24, v24
	v_lshl_add_u32 v0, v0, 23, 0x3c000000
	v_and_b32_e32 v12, 0x700000, v12
	v_and_b32_e32 v13, 0x80000000, v13
	v_or3_b32 v0, v12, v13, v0
.LBB349_938:                            ;   in Loop: Header=BB349_931 Depth=1
	s_or_b32 exec_lo, exec_lo, s19
.LBB349_939:                            ;   in Loop: Header=BB349_931 Depth=1
	s_or_b32 exec_lo, exec_lo, s18
.LBB349_940:                            ;   in Loop: Header=BB349_931 Depth=1
	s_or_b32 exec_lo, exec_lo, s4
	v_cmp_ne_u16_sdwa s18, v24, v14 src0_sel:BYTE_1 src1_sel:DWORD
	s_and_saveexec_b32 s4, s18
	s_cbranch_execz .LBB349_948
; %bb.941:                              ;   in Loop: Header=BB349_931 Depth=1
	v_cmp_ne_u16_sdwa s19, v24, v70 src0_sel:BYTE_1 src1_sel:DWORD
	v_bfrev_b32_e32 v1, 1
	s_and_saveexec_b32 s18, s19
	s_cbranch_execz .LBB349_947
; %bb.942:                              ;   in Loop: Header=BB349_931 Depth=1
	v_mov_b32_e32 v1, 0xffff
	s_mov_b32 s19, exec_lo
	v_and_b32_sdwa v13, v1, v24 dst_sel:DWORD dst_unused:UNUSED_PAD src0_sel:DWORD src1_sel:BYTE_1
	v_mov_b32_e32 v1, 0x7f800001
	v_and_b32_e32 v12, 0x7f, v13
	v_cmpx_ne_u32_e32 0x7f, v12
	s_cbranch_execz .LBB349_946
; %bb.943:                              ;   in Loop: Header=BB349_931 Depth=1
	v_and_b32_e32 v13, 7, v13
	v_mov_b32_e32 v27, v14
	v_lshrrev_b32_e32 v1, 3, v12
	s_mov_b32 s20, exec_lo
	v_mov_b32_e32 v26, v13
	v_cmpx_gt_u32_e32 8, v12
; %bb.944:                              ;   in Loop: Header=BB349_931 Depth=1
	v_ffbh_u32_e32 v1, v13
	v_min_u32_e32 v1, 32, v1
	v_subrev_nc_u32_e32 v12, 28, v1
	v_sub_nc_u32_e32 v1, 29, v1
	v_lshlrev_b64 v[12:13], v12, v[13:14]
	v_and_b32_e32 v26, 7, v12
; %bb.945:                              ;   in Loop: Header=BB349_931 Depth=1
	s_or_b32 exec_lo, exec_lo, s20
	v_lshlrev_b32_e32 v12, 16, v24
	v_lshlrev_b32_e32 v13, 20, v26
	v_lshl_add_u32 v1, v1, 23, 0x3c000000
	v_and_b32_e32 v12, 0x80000000, v12
	v_or3_b32 v1, v13, v12, v1
.LBB349_946:                            ;   in Loop: Header=BB349_931 Depth=1
	s_or_b32 exec_lo, exec_lo, s19
.LBB349_947:                            ;   in Loop: Header=BB349_931 Depth=1
	s_or_b32 exec_lo, exec_lo, s18
.LBB349_948:                            ;   in Loop: Header=BB349_931 Depth=1
	s_or_b32 exec_lo, exec_lo, s4
	v_and_b32_sdwa v13, v24, v80 dst_sel:DWORD dst_unused:UNUSED_PAD src0_sel:WORD_1 src1_sel:DWORD
	v_mov_b32_e32 v15, 0
	v_mov_b32_e32 v12, 0
	s_mov_b32 s4, exec_lo
	v_cmpx_ne_u16_e32 0, v13
	s_cbranch_execz .LBB349_956
; %bb.949:                              ;   in Loop: Header=BB349_931 Depth=1
	v_bfrev_b32_e32 v12, 1
	s_mov_b32 s18, exec_lo
	v_cmpx_ne_u16_e32 0x80, v13
	s_cbranch_execz .LBB349_955
; %bb.950:                              ;   in Loop: Header=BB349_931 Depth=1
	v_bfe_u32 v16, v24, 16, 7
	v_mov_b32_e32 v12, 0x7f800001
	s_mov_b32 s19, exec_lo
	v_cmpx_ne_u32_e32 0x7f, v16
	s_cbranch_execz .LBB349_954
; %bb.951:                              ;   in Loop: Header=BB349_931 Depth=1
	v_mov_b32_e32 v12, 7
	s_mov_b32 s20, exec_lo
	v_and_b32_sdwa v13, v24, v12 dst_sel:DWORD dst_unused:UNUSED_PAD src0_sel:WORD_1 src1_sel:DWORD
	v_mov_b32_e32 v27, v14
	v_lshrrev_b32_e32 v12, 3, v16
	v_mov_b32_e32 v26, v13
	v_cmpx_gt_u32_e32 8, v16
; %bb.952:                              ;   in Loop: Header=BB349_931 Depth=1
	v_ffbh_u32_e32 v12, v13
	v_min_u32_e32 v12, 32, v12
	v_subrev_nc_u32_e32 v16, 28, v12
	v_sub_nc_u32_e32 v12, 29, v12
	v_lshlrev_b64 v[16:17], v16, v[13:14]
	v_and_b32_e32 v26, 7, v16
; %bb.953:                              ;   in Loop: Header=BB349_931 Depth=1
	s_or_b32 exec_lo, exec_lo, s20
	v_mov_b32_e32 v13, 24
	v_lshlrev_b32_e32 v16, 20, v26
	v_lshl_add_u32 v12, v12, 23, 0x3c000000
	v_lshlrev_b32_sdwa v13, v13, v24 dst_sel:DWORD dst_unused:UNUSED_PAD src0_sel:DWORD src1_sel:WORD_1
	v_and_b32_e32 v13, 0x80000000, v13
	v_or3_b32 v12, v16, v13, v12
.LBB349_954:                            ;   in Loop: Header=BB349_931 Depth=1
	s_or_b32 exec_lo, exec_lo, s19
.LBB349_955:                            ;   in Loop: Header=BB349_931 Depth=1
	s_or_b32 exec_lo, exec_lo, s18
.LBB349_956:                            ;   in Loop: Header=BB349_931 Depth=1
	s_or_b32 exec_lo, exec_lo, s4
	s_mov_b32 s4, exec_lo
	v_cmpx_lt_u32_e32 0xffffff, v24
	s_cbranch_execz .LBB349_964
; %bb.957:                              ;   in Loop: Header=BB349_931 Depth=1
	v_cmp_ne_u32_sdwa s19, v24, v70 src0_sel:BYTE_3 src1_sel:DWORD
	v_bfrev_b32_e32 v15, 1
	s_and_saveexec_b32 s18, s19
	s_cbranch_execz .LBB349_963
; %bb.958:                              ;   in Loop: Header=BB349_931 Depth=1
	v_bfe_u32 v16, v24, 24, 7
	v_mov_b32_e32 v15, 0x7f800001
	s_mov_b32 s19, exec_lo
	v_cmpx_ne_u32_e32 0x7f, v16
	s_cbranch_execz .LBB349_962
; %bb.959:                              ;   in Loop: Header=BB349_931 Depth=1
	v_mov_b32_e32 v13, 7
	v_lshrrev_b32_e32 v15, 3, v16
	s_mov_b32 s20, exec_lo
	v_and_b32_sdwa v13, v24, v13 dst_sel:DWORD dst_unused:UNUSED_PAD src0_sel:BYTE_3 src1_sel:DWORD
	v_mov_b32_e32 v27, v14
	v_mov_b32_e32 v26, v13
	v_cmpx_gt_u32_e32 8, v16
; %bb.960:                              ;   in Loop: Header=BB349_931 Depth=1
	v_ffbh_u32_e32 v15, v13
	v_min_u32_e32 v15, 32, v15
	v_subrev_nc_u32_e32 v16, 28, v15
	v_sub_nc_u32_e32 v15, 29, v15
	v_lshlrev_b64 v[16:17], v16, v[13:14]
	v_and_b32_e32 v26, 7, v16
; %bb.961:                              ;   in Loop: Header=BB349_931 Depth=1
	s_or_b32 exec_lo, exec_lo, s20
	v_mov_b32_e32 v13, 24
	v_lshlrev_b32_e32 v16, 20, v26
	v_lshl_add_u32 v15, v15, 23, 0x3c000000
	v_lshlrev_b32_sdwa v13, v13, v24 dst_sel:DWORD dst_unused:UNUSED_PAD src0_sel:DWORD src1_sel:BYTE_3
	v_and_b32_e32 v13, 0x80000000, v13
	v_or3_b32 v15, v16, v13, v15
.LBB349_962:                            ;   in Loop: Header=BB349_931 Depth=1
	s_or_b32 exec_lo, exec_lo, s19
.LBB349_963:                            ;   in Loop: Header=BB349_931 Depth=1
	s_or_b32 exec_lo, exec_lo, s18
.LBB349_964:                            ;   in Loop: Header=BB349_931 Depth=1
	s_or_b32 exec_lo, exec_lo, s4
	v_mov_b32_e32 v13, v25
	v_cmp_ne_u16_sdwa s18, v25, v14 src0_sel:BYTE_0 src1_sel:DWORD
	v_mov_b32_e32 v17, 0
	v_mov_b32_e32 v16, 0
	s_and_saveexec_b32 s4, s18
	s_cbranch_execz .LBB349_972
; %bb.965:                              ;   in Loop: Header=BB349_931 Depth=1
	v_cmp_ne_u16_sdwa s19, v25, v70 src0_sel:BYTE_0 src1_sel:DWORD
	v_bfrev_b32_e32 v16, 1
	s_and_saveexec_b32 s18, s19
	s_cbranch_execz .LBB349_971
; %bb.966:                              ;   in Loop: Header=BB349_931 Depth=1
	v_and_b32_e32 v18, 0x7f, v25
	v_mov_b32_e32 v16, 0x7f800001
	s_mov_b32 s19, exec_lo
	v_cmpx_ne_u32_e32 0x7f, v18
	s_cbranch_execz .LBB349_970
; %bb.967:                              ;   in Loop: Header=BB349_931 Depth=1
	v_mov_b32_e32 v27, v14
	v_lshrrev_b32_e32 v16, 3, v18
	v_mov_b32_e32 v26, v13
	s_mov_b32 s20, exec_lo
	v_cmpx_gt_u32_e32 8, v18
; %bb.968:                              ;   in Loop: Header=BB349_931 Depth=1
	v_and_b32_e32 v16, 7, v25
	v_ffbh_u32_e32 v16, v16
	v_min_u32_e32 v16, 32, v16
	v_subrev_nc_u32_e32 v18, 28, v16
	v_sub_nc_u32_e32 v16, 29, v16
	v_lshlrev_b64 v[26:27], v18, v[13:14]
; %bb.969:                              ;   in Loop: Header=BB349_931 Depth=1
	s_or_b32 exec_lo, exec_lo, s20
	v_lshlrev_b32_e32 v18, 20, v26
	v_lshlrev_b32_e32 v21, 24, v13
	v_lshl_add_u32 v16, v16, 23, 0x3c000000
	v_and_b32_e32 v18, 0x700000, v18
	v_and_b32_e32 v21, 0x80000000, v21
	v_or3_b32 v16, v18, v21, v16
.LBB349_970:                            ;   in Loop: Header=BB349_931 Depth=1
	s_or_b32 exec_lo, exec_lo, s19
.LBB349_971:                            ;   in Loop: Header=BB349_931 Depth=1
	s_or_b32 exec_lo, exec_lo, s18
.LBB349_972:                            ;   in Loop: Header=BB349_931 Depth=1
	s_or_b32 exec_lo, exec_lo, s4
	v_cmp_ne_u16_sdwa s18, v13, v14 src0_sel:BYTE_1 src1_sel:DWORD
	s_and_saveexec_b32 s4, s18
	s_cbranch_execz .LBB349_980
; %bb.973:                              ;   in Loop: Header=BB349_931 Depth=1
	v_cmp_ne_u16_sdwa s19, v13, v70 src0_sel:BYTE_1 src1_sel:DWORD
	v_bfrev_b32_e32 v17, 1
	s_and_saveexec_b32 s18, s19
	s_cbranch_execz .LBB349_979
; %bb.974:                              ;   in Loop: Header=BB349_931 Depth=1
	v_mov_b32_e32 v17, 0xffff
	s_mov_b32 s19, exec_lo
	v_and_b32_sdwa v21, v17, v13 dst_sel:DWORD dst_unused:UNUSED_PAD src0_sel:DWORD src1_sel:BYTE_1
	v_mov_b32_e32 v17, 0x7f800001
	v_and_b32_e32 v18, 0x7f, v21
	v_cmpx_ne_u32_e32 0x7f, v18
	s_cbranch_execz .LBB349_978
; %bb.975:                              ;   in Loop: Header=BB349_931 Depth=1
	v_and_b32_e32 v26, 7, v21
	v_mov_b32_e32 v27, v14
	v_lshrrev_b32_e32 v17, 3, v18
	s_mov_b32 s20, exec_lo
	v_cmpx_gt_u32_e32 8, v18
; %bb.976:                              ;   in Loop: Header=BB349_931 Depth=1
	v_ffbh_u32_e32 v17, v26
	v_min_u32_e32 v17, 32, v17
	v_subrev_nc_u32_e32 v18, 28, v17
	v_sub_nc_u32_e32 v17, 29, v17
	v_lshlrev_b64 v[21:22], v18, v[26:27]
	v_and_b32_e32 v26, 7, v21
; %bb.977:                              ;   in Loop: Header=BB349_931 Depth=1
	s_or_b32 exec_lo, exec_lo, s20
	v_lshlrev_b32_e32 v13, 16, v13
	v_lshlrev_b32_e32 v18, 20, v26
	v_lshl_add_u32 v17, v17, 23, 0x3c000000
	v_and_b32_e32 v13, 0x80000000, v13
	v_or3_b32 v17, v18, v13, v17
.LBB349_978:                            ;   in Loop: Header=BB349_931 Depth=1
	s_or_b32 exec_lo, exec_lo, s19
.LBB349_979:                            ;   in Loop: Header=BB349_931 Depth=1
	s_or_b32 exec_lo, exec_lo, s18
.LBB349_980:                            ;   in Loop: Header=BB349_931 Depth=1
	s_or_b32 exec_lo, exec_lo, s4
	v_and_b32_sdwa v13, v25, v80 dst_sel:DWORD dst_unused:UNUSED_PAD src0_sel:WORD_1 src1_sel:DWORD
	v_mov_b32_e32 v18, 0
	v_mov_b32_e32 v21, 0
	s_mov_b32 s4, exec_lo
	v_cmpx_ne_u16_e32 0, v13
	s_cbranch_execz .LBB349_988
; %bb.981:                              ;   in Loop: Header=BB349_931 Depth=1
	v_bfrev_b32_e32 v21, 1
	s_mov_b32 s18, exec_lo
	v_cmpx_ne_u16_e32 0x80, v13
	s_cbranch_execz .LBB349_987
; %bb.982:                              ;   in Loop: Header=BB349_931 Depth=1
	v_bfe_u32 v22, v25, 16, 7
	v_mov_b32_e32 v21, 0x7f800001
	s_mov_b32 s19, exec_lo
	v_cmpx_ne_u32_e32 0x7f, v22
	s_cbranch_execz .LBB349_986
; %bb.983:                              ;   in Loop: Header=BB349_931 Depth=1
	v_mov_b32_e32 v13, 7
	v_lshrrev_b32_e32 v21, 3, v22
	s_mov_b32 s20, exec_lo
	v_and_b32_sdwa v13, v25, v13 dst_sel:DWORD dst_unused:UNUSED_PAD src0_sel:WORD_1 src1_sel:DWORD
	v_mov_b32_e32 v27, v14
	v_mov_b32_e32 v26, v13
	v_cmpx_gt_u32_e32 8, v22
; %bb.984:                              ;   in Loop: Header=BB349_931 Depth=1
	v_ffbh_u32_e32 v21, v13
	v_min_u32_e32 v21, 32, v21
	v_subrev_nc_u32_e32 v22, 28, v21
	v_sub_nc_u32_e32 v21, 29, v21
	v_lshlrev_b64 v[22:23], v22, v[13:14]
	v_and_b32_e32 v26, 7, v22
; %bb.985:                              ;   in Loop: Header=BB349_931 Depth=1
	s_or_b32 exec_lo, exec_lo, s20
	v_mov_b32_e32 v13, 24
	v_lshlrev_b32_e32 v22, 20, v26
	v_lshl_add_u32 v21, v21, 23, 0x3c000000
	v_lshlrev_b32_sdwa v13, v13, v25 dst_sel:DWORD dst_unused:UNUSED_PAD src0_sel:DWORD src1_sel:WORD_1
	v_and_b32_e32 v13, 0x80000000, v13
	v_or3_b32 v21, v22, v13, v21
.LBB349_986:                            ;   in Loop: Header=BB349_931 Depth=1
	s_or_b32 exec_lo, exec_lo, s19
.LBB349_987:                            ;   in Loop: Header=BB349_931 Depth=1
	s_or_b32 exec_lo, exec_lo, s18
.LBB349_988:                            ;   in Loop: Header=BB349_931 Depth=1
	s_or_b32 exec_lo, exec_lo, s4
	s_mov_b32 s4, exec_lo
	v_cmpx_lt_u64_e64 s[6:7], v[24:25]
	s_cbranch_execz .LBB349_996
; %bb.989:                              ;   in Loop: Header=BB349_931 Depth=1
	v_cmp_ne_u32_sdwa s19, v25, v70 src0_sel:BYTE_3 src1_sel:DWORD
	v_bfrev_b32_e32 v18, 1
	s_and_saveexec_b32 s18, s19
	s_cbranch_execz .LBB349_995
; %bb.990:                              ;   in Loop: Header=BB349_931 Depth=1
	v_bfe_u32 v22, v25, 24, 7
	v_mov_b32_e32 v18, 0x7f800001
	s_mov_b32 s19, exec_lo
	v_cmpx_ne_u32_e32 0x7f, v22
	s_cbranch_execz .LBB349_994
; %bb.991:                              ;   in Loop: Header=BB349_931 Depth=1
	v_mov_b32_e32 v13, 7
	v_lshrrev_b32_e32 v18, 3, v22
	s_mov_b32 s20, exec_lo
	v_and_b32_sdwa v13, v25, v13 dst_sel:DWORD dst_unused:UNUSED_PAD src0_sel:BYTE_3 src1_sel:DWORD
	v_mov_b32_e32 v27, v14
	v_mov_b32_e32 v26, v13
	v_cmpx_gt_u32_e32 8, v22
; %bb.992:                              ;   in Loop: Header=BB349_931 Depth=1
	v_ffbh_u32_e32 v18, v13
	v_min_u32_e32 v18, 32, v18
	v_subrev_nc_u32_e32 v22, 28, v18
	v_sub_nc_u32_e32 v18, 29, v18
	v_lshlrev_b64 v[22:23], v22, v[13:14]
	v_and_b32_e32 v26, 7, v22
; %bb.993:                              ;   in Loop: Header=BB349_931 Depth=1
	s_or_b32 exec_lo, exec_lo, s20
	v_mov_b32_e32 v13, 24
	v_lshlrev_b32_e32 v22, 20, v26
	v_lshl_add_u32 v18, v18, 23, 0x3c000000
	v_lshlrev_b32_sdwa v13, v13, v25 dst_sel:DWORD dst_unused:UNUSED_PAD src0_sel:DWORD src1_sel:BYTE_3
	v_and_b32_e32 v13, 0x80000000, v13
	v_or3_b32 v18, v22, v13, v18
.LBB349_994:                            ;   in Loop: Header=BB349_931 Depth=1
	s_or_b32 exec_lo, exec_lo, s19
.LBB349_995:                            ;   in Loop: Header=BB349_931 Depth=1
	s_or_b32 exec_lo, exec_lo, s18
.LBB349_996:                            ;   in Loop: Header=BB349_931 Depth=1
	s_or_b32 exec_lo, exec_lo, s4
	s_clause 0x1
	buffer_load_dword v13, off, s[0:3], s32 offset:192
	buffer_load_dword v22, off, s[0:3], s32 offset:364
	s_waitcnt vmcnt(2) lgkmcnt(2)
	v_mul_f32_e32 v17, v56, v17
	v_mul_f32_e32 v16, v56, v16
	;; [unrolled: 1-line block ×5, first 2 shown]
	v_cmp_u_f32_e64 s4, v17, v17
	v_bfe_u32 v23, v16, 16, 1
	v_or_b32_e32 v24, 0x400000, v16
	v_bfe_u32 v25, v15, 16, 1
	v_or_b32_e32 v26, 0x400000, v15
	v_mul_f32_e32 v0, v56, v0
	v_add3_u32 v23, v23, v16, 0x7fff
	s_waitcnt vmcnt(1)
	v_add_nc_u32_e32 v13, -1, v13
	s_waitcnt vmcnt(0)
	v_add_nc_u32_e32 v72, v22, v37
	v_or_b32_e32 v22, 0x400000, v17
	v_cmp_eq_u32_e32 vcc_lo, v13, v86
	v_bfe_u32 v13, v17, 16, 1
	v_add_nc_u32_e32 v79, 1, v72
	v_add_nc_u32_e32 v78, 2, v72
	;; [unrolled: 1-line block ×4, first 2 shown]
	v_add3_u32 v13, v13, v17, 0x7fff
	v_bfe_u32 v17, v12, 16, 1
	v_add_nc_u32_e32 v75, 5, v72
	v_add_nc_u32_e32 v74, 6, v72
	;; [unrolled: 1-line block ×3, first 2 shown]
	v_cndmask_b32_e64 v13, v13, v22, s4
	v_cmp_u_f32_e64 s4, v16, v16
	v_add3_u32 v22, v25, v15, 0x7fff
	v_lshrrev_b32_e32 v13, 16, v13
	v_cndmask_b32_e64 v16, v23, v24, s4
	v_cmp_u_f32_e64 s4, v15, v15
	v_add3_u32 v15, v17, v12, 0x7fff
	v_or_b32_e32 v17, 0x400000, v12
	buffer_store_dword v13, off, s[0:3], s32 offset:228 ; 4-byte Folded Spill
	v_lshrrev_b32_e32 v16, 16, v16
	v_cndmask_b32_e64 v13, v22, v26, s4
	v_cmp_u_f32_e64 s4, v12, v12
	buffer_store_dword v16, off, s[0:3], s32 offset:220 ; 4-byte Folded Spill
	v_lshrrev_b32_e32 v13, 16, v13
	v_cndmask_b32_e64 v12, v15, v17, s4
	v_mul_f32_e32 v15, v56, v21
	v_or_b32_e32 v16, 0x400000, v1
	v_mul_f32_e32 v17, v56, v18
	buffer_store_dword v13, off, s[0:3], s32 offset:236 ; 4-byte Folded Spill
	v_bfe_u32 v13, v1, 16, 1
	v_bfe_u32 v18, v0, 16, 1
	v_cmp_u_f32_e64 s4, v1, v1
	v_bfe_u32 v21, v15, 16, 1
	v_or_b32_e32 v22, 0x400000, v15
	v_add3_u32 v13, v13, v1, 0x7fff
	v_or_b32_e32 v23, 0x400000, v17
	v_lshrrev_b32_e32 v12, 16, v12
	v_add3_u32 v21, v21, v15, 0x7fff
	v_cndmask_b32_e64 v1, v13, v16, s4
	v_add3_u32 v16, v18, v0, 0x7fff
	v_or_b32_e32 v18, 0x400000, v0
	v_cmp_u_f32_e64 s4, v0, v0
	v_bfe_u32 v13, v17, 16, 1
	v_lshrrev_b32_e32 v1, 16, v1
	buffer_store_dword v12, off, s[0:3], s32 offset:232 ; 4-byte Folded Spill
	v_cndmask_b32_e64 v0, v16, v18, s4
	v_cmp_u_f32_e64 s4, v15, v15
	v_add3_u32 v13, v13, v17, 0x7fff
	buffer_store_dword v1, off, s[0:3], s32 offset:248 ; 4-byte Folded Spill
	v_lshrrev_b32_e32 v0, 16, v0
	v_cndmask_b32_e64 v15, v21, v22, s4
	v_cmp_u_f32_e64 s4, v17, v17
	buffer_store_dword v0, off, s[0:3], s32 offset:240 ; 4-byte Folded Spill
	v_lshrrev_b32_e32 v0, 16, v15
	v_cndmask_b32_e64 v13, v13, v23, s4
	buffer_store_dword v0, off, s[0:3], s32 offset:216 ; 4-byte Folded Spill
	v_lshrrev_b32_e32 v0, 16, v13
	buffer_store_dword v0, off, s[0:3], s32 offset:224 ; 4-byte Folded Spill
	s_and_saveexec_b32 s18, vcc_lo
	s_cbranch_execz .LBB349_998
; %bb.997:                              ;   in Loop: Header=BB349_931 Depth=1
	buffer_load_dword v0, off, s[0:3], s32 offset:240 ; 4-byte Folded Reload
	v_cmp_lt_i32_e64 s4, v72, v32
	s_waitcnt vmcnt(0)
	v_cndmask_b32_e64 v0, 0, v0, s4
	v_cmp_lt_i32_e64 s4, v79, v32
	buffer_store_dword v0, off, s[0:3], s32 offset:240 ; 4-byte Folded Spill
	buffer_load_dword v0, off, s[0:3], s32 offset:248 ; 4-byte Folded Reload
	s_waitcnt vmcnt(0)
	v_cndmask_b32_e64 v0, 0, v0, s4
	v_cmp_lt_i32_e64 s4, v78, v32
	buffer_store_dword v0, off, s[0:3], s32 offset:248 ; 4-byte Folded Spill
	buffer_load_dword v0, off, s[0:3], s32 offset:232 ; 4-byte Folded Reload
	;; [unrolled: 5-line block ×7, first 2 shown]
	s_waitcnt vmcnt(0)
	v_cndmask_b32_e64 v0, 0, v0, s4
	buffer_store_dword v0, off, s[0:3], s32 offset:224 ; 4-byte Folded Spill
.LBB349_998:                            ;   in Loop: Header=BB349_931 Depth=1
	s_or_b32 exec_lo, exec_lo, s18
	flat_load_dwordx2 v[24:25], v[19:20] offset:256
	v_mov_b32_e32 v1, 0
	v_mov_b32_e32 v0, 0
	s_waitcnt vmcnt(0) lgkmcnt(0)
	v_cmp_ne_u16_sdwa s4, v24, v14 src0_sel:BYTE_0 src1_sel:DWORD
	s_and_saveexec_b32 s18, s4
	s_cbranch_execz .LBB349_1006
; %bb.999:                              ;   in Loop: Header=BB349_931 Depth=1
	v_cmp_ne_u16_sdwa s4, v24, v70 src0_sel:BYTE_0 src1_sel:DWORD
	v_bfrev_b32_e32 v0, 1
	s_and_saveexec_b32 s19, s4
	s_cbranch_execz .LBB349_1005
; %bb.1000:                             ;   in Loop: Header=BB349_931 Depth=1
	v_and_b32_e32 v12, 0x7f, v24
	v_mov_b32_e32 v0, 0x7f800001
	s_mov_b32 s20, exec_lo
	v_cmpx_ne_u32_e32 0x7f, v12
	s_cbranch_execz .LBB349_1004
; %bb.1001:                             ;   in Loop: Header=BB349_931 Depth=1
	v_mov_b32_e32 v27, v25
	v_lshrrev_b32_e32 v0, 3, v12
	v_mov_b32_e32 v26, v24
	s_mov_b32 s21, exec_lo
	v_cmpx_gt_u32_e32 8, v12
; %bb.1002:                             ;   in Loop: Header=BB349_931 Depth=1
	v_and_b32_e32 v0, 7, v24
	v_ffbh_u32_e32 v0, v0
	v_min_u32_e32 v0, 32, v0
	v_subrev_nc_u32_e32 v12, 28, v0
	v_sub_nc_u32_e32 v0, 29, v0
	v_lshlrev_b64 v[26:27], v12, v[24:25]
; %bb.1003:                             ;   in Loop: Header=BB349_931 Depth=1
	s_or_b32 exec_lo, exec_lo, s21
	v_lshlrev_b32_e32 v12, 20, v26
	v_lshlrev_b32_e32 v13, 24, v24
	v_lshl_add_u32 v0, v0, 23, 0x3c000000
	v_and_b32_e32 v12, 0x700000, v12
	v_and_b32_e32 v13, 0x80000000, v13
	v_or3_b32 v0, v12, v13, v0
.LBB349_1004:                           ;   in Loop: Header=BB349_931 Depth=1
	s_or_b32 exec_lo, exec_lo, s20
.LBB349_1005:                           ;   in Loop: Header=BB349_931 Depth=1
	s_or_b32 exec_lo, exec_lo, s19
.LBB349_1006:                           ;   in Loop: Header=BB349_931 Depth=1
	s_or_b32 exec_lo, exec_lo, s18
	v_cmp_ne_u16_sdwa s4, v24, v14 src0_sel:BYTE_1 src1_sel:DWORD
	s_and_saveexec_b32 s18, s4
	s_cbranch_execz .LBB349_1014
; %bb.1007:                             ;   in Loop: Header=BB349_931 Depth=1
	v_cmp_ne_u16_sdwa s4, v24, v70 src0_sel:BYTE_1 src1_sel:DWORD
	v_bfrev_b32_e32 v1, 1
	s_and_saveexec_b32 s19, s4
	s_cbranch_execz .LBB349_1013
; %bb.1008:                             ;   in Loop: Header=BB349_931 Depth=1
	v_mov_b32_e32 v1, 0xffff
	s_mov_b32 s20, exec_lo
	v_and_b32_sdwa v13, v1, v24 dst_sel:DWORD dst_unused:UNUSED_PAD src0_sel:DWORD src1_sel:BYTE_1
	v_mov_b32_e32 v1, 0x7f800001
	v_and_b32_e32 v12, 0x7f, v13
	v_cmpx_ne_u32_e32 0x7f, v12
	s_cbranch_execz .LBB349_1012
; %bb.1009:                             ;   in Loop: Header=BB349_931 Depth=1
	v_and_b32_e32 v13, 7, v13
	v_mov_b32_e32 v27, v14
	v_lshrrev_b32_e32 v1, 3, v12
	s_mov_b32 s21, exec_lo
	v_mov_b32_e32 v26, v13
	v_cmpx_gt_u32_e32 8, v12
; %bb.1010:                             ;   in Loop: Header=BB349_931 Depth=1
	v_ffbh_u32_e32 v1, v13
	v_min_u32_e32 v1, 32, v1
	v_subrev_nc_u32_e32 v12, 28, v1
	v_sub_nc_u32_e32 v1, 29, v1
	v_lshlrev_b64 v[12:13], v12, v[13:14]
	v_and_b32_e32 v26, 7, v12
; %bb.1011:                             ;   in Loop: Header=BB349_931 Depth=1
	s_or_b32 exec_lo, exec_lo, s21
	v_lshlrev_b32_e32 v12, 16, v24
	v_lshlrev_b32_e32 v13, 20, v26
	v_lshl_add_u32 v1, v1, 23, 0x3c000000
	v_and_b32_e32 v12, 0x80000000, v12
	v_or3_b32 v1, v13, v12, v1
.LBB349_1012:                           ;   in Loop: Header=BB349_931 Depth=1
	s_or_b32 exec_lo, exec_lo, s20
.LBB349_1013:                           ;   in Loop: Header=BB349_931 Depth=1
	s_or_b32 exec_lo, exec_lo, s19
.LBB349_1014:                           ;   in Loop: Header=BB349_931 Depth=1
	s_or_b32 exec_lo, exec_lo, s18
	v_and_b32_sdwa v13, v24, v80 dst_sel:DWORD dst_unused:UNUSED_PAD src0_sel:WORD_1 src1_sel:DWORD
	v_mov_b32_e32 v15, 0
	v_mov_b32_e32 v12, 0
	s_mov_b32 s18, exec_lo
	v_cmpx_ne_u16_e32 0, v13
	s_cbranch_execz .LBB349_1022
; %bb.1015:                             ;   in Loop: Header=BB349_931 Depth=1
	v_bfrev_b32_e32 v12, 1
	s_mov_b32 s19, exec_lo
	v_cmpx_ne_u16_e32 0x80, v13
	s_cbranch_execz .LBB349_1021
; %bb.1016:                             ;   in Loop: Header=BB349_931 Depth=1
	v_bfe_u32 v16, v24, 16, 7
	v_mov_b32_e32 v12, 0x7f800001
	s_mov_b32 s20, exec_lo
	v_cmpx_ne_u32_e32 0x7f, v16
	s_cbranch_execz .LBB349_1020
; %bb.1017:                             ;   in Loop: Header=BB349_931 Depth=1
	v_mov_b32_e32 v12, 7
	s_mov_b32 s21, exec_lo
	v_and_b32_sdwa v13, v24, v12 dst_sel:DWORD dst_unused:UNUSED_PAD src0_sel:WORD_1 src1_sel:DWORD
	v_mov_b32_e32 v27, v14
	v_lshrrev_b32_e32 v12, 3, v16
	v_mov_b32_e32 v26, v13
	v_cmpx_gt_u32_e32 8, v16
; %bb.1018:                             ;   in Loop: Header=BB349_931 Depth=1
	v_ffbh_u32_e32 v12, v13
	v_min_u32_e32 v12, 32, v12
	v_subrev_nc_u32_e32 v16, 28, v12
	v_sub_nc_u32_e32 v12, 29, v12
	v_lshlrev_b64 v[16:17], v16, v[13:14]
	v_and_b32_e32 v26, 7, v16
; %bb.1019:                             ;   in Loop: Header=BB349_931 Depth=1
	s_or_b32 exec_lo, exec_lo, s21
	v_mov_b32_e32 v13, 24
	v_lshlrev_b32_e32 v16, 20, v26
	v_lshl_add_u32 v12, v12, 23, 0x3c000000
	v_lshlrev_b32_sdwa v13, v13, v24 dst_sel:DWORD dst_unused:UNUSED_PAD src0_sel:DWORD src1_sel:WORD_1
	v_and_b32_e32 v13, 0x80000000, v13
	v_or3_b32 v12, v16, v13, v12
.LBB349_1020:                           ;   in Loop: Header=BB349_931 Depth=1
	s_or_b32 exec_lo, exec_lo, s20
.LBB349_1021:                           ;   in Loop: Header=BB349_931 Depth=1
	s_or_b32 exec_lo, exec_lo, s19
.LBB349_1022:                           ;   in Loop: Header=BB349_931 Depth=1
	s_or_b32 exec_lo, exec_lo, s18
	s_mov_b32 s18, exec_lo
	v_cmpx_lt_u32_e32 0xffffff, v24
	s_cbranch_execz .LBB349_1030
; %bb.1023:                             ;   in Loop: Header=BB349_931 Depth=1
	v_cmp_ne_u32_sdwa s4, v24, v70 src0_sel:BYTE_3 src1_sel:DWORD
	v_bfrev_b32_e32 v15, 1
	s_and_saveexec_b32 s19, s4
	s_cbranch_execz .LBB349_1029
; %bb.1024:                             ;   in Loop: Header=BB349_931 Depth=1
	v_bfe_u32 v16, v24, 24, 7
	v_mov_b32_e32 v15, 0x7f800001
	s_mov_b32 s20, exec_lo
	v_cmpx_ne_u32_e32 0x7f, v16
	s_cbranch_execz .LBB349_1028
; %bb.1025:                             ;   in Loop: Header=BB349_931 Depth=1
	v_mov_b32_e32 v13, 7
	v_lshrrev_b32_e32 v15, 3, v16
	s_mov_b32 s21, exec_lo
	v_and_b32_sdwa v13, v24, v13 dst_sel:DWORD dst_unused:UNUSED_PAD src0_sel:BYTE_3 src1_sel:DWORD
	v_mov_b32_e32 v27, v14
	v_mov_b32_e32 v26, v13
	v_cmpx_gt_u32_e32 8, v16
; %bb.1026:                             ;   in Loop: Header=BB349_931 Depth=1
	v_ffbh_u32_e32 v15, v13
	v_min_u32_e32 v15, 32, v15
	v_subrev_nc_u32_e32 v16, 28, v15
	v_sub_nc_u32_e32 v15, 29, v15
	v_lshlrev_b64 v[16:17], v16, v[13:14]
	v_and_b32_e32 v26, 7, v16
; %bb.1027:                             ;   in Loop: Header=BB349_931 Depth=1
	s_or_b32 exec_lo, exec_lo, s21
	v_mov_b32_e32 v13, 24
	v_lshlrev_b32_e32 v16, 20, v26
	v_lshl_add_u32 v15, v15, 23, 0x3c000000
	v_lshlrev_b32_sdwa v13, v13, v24 dst_sel:DWORD dst_unused:UNUSED_PAD src0_sel:DWORD src1_sel:BYTE_3
	v_and_b32_e32 v13, 0x80000000, v13
	v_or3_b32 v15, v16, v13, v15
.LBB349_1028:                           ;   in Loop: Header=BB349_931 Depth=1
	s_or_b32 exec_lo, exec_lo, s20
.LBB349_1029:                           ;   in Loop: Header=BB349_931 Depth=1
	s_or_b32 exec_lo, exec_lo, s19
.LBB349_1030:                           ;   in Loop: Header=BB349_931 Depth=1
	s_or_b32 exec_lo, exec_lo, s18
	v_mov_b32_e32 v13, v25
	v_cmp_ne_u16_sdwa s4, v25, v14 src0_sel:BYTE_0 src1_sel:DWORD
	v_mov_b32_e32 v17, 0
	v_mov_b32_e32 v16, 0
	s_and_saveexec_b32 s18, s4
	s_cbranch_execz .LBB349_1038
; %bb.1031:                             ;   in Loop: Header=BB349_931 Depth=1
	v_cmp_ne_u16_sdwa s4, v25, v70 src0_sel:BYTE_0 src1_sel:DWORD
	v_bfrev_b32_e32 v16, 1
	s_and_saveexec_b32 s19, s4
	s_cbranch_execz .LBB349_1037
; %bb.1032:                             ;   in Loop: Header=BB349_931 Depth=1
	v_and_b32_e32 v18, 0x7f, v25
	v_mov_b32_e32 v16, 0x7f800001
	s_mov_b32 s20, exec_lo
	v_cmpx_ne_u32_e32 0x7f, v18
	s_cbranch_execz .LBB349_1036
; %bb.1033:                             ;   in Loop: Header=BB349_931 Depth=1
	v_mov_b32_e32 v27, v14
	v_lshrrev_b32_e32 v16, 3, v18
	v_mov_b32_e32 v26, v13
	s_mov_b32 s21, exec_lo
	v_cmpx_gt_u32_e32 8, v18
; %bb.1034:                             ;   in Loop: Header=BB349_931 Depth=1
	v_and_b32_e32 v16, 7, v25
	v_ffbh_u32_e32 v16, v16
	v_min_u32_e32 v16, 32, v16
	v_subrev_nc_u32_e32 v18, 28, v16
	v_sub_nc_u32_e32 v16, 29, v16
	v_lshlrev_b64 v[26:27], v18, v[13:14]
; %bb.1035:                             ;   in Loop: Header=BB349_931 Depth=1
	s_or_b32 exec_lo, exec_lo, s21
	v_lshlrev_b32_e32 v18, 20, v26
	v_lshlrev_b32_e32 v21, 24, v13
	v_lshl_add_u32 v16, v16, 23, 0x3c000000
	v_and_b32_e32 v18, 0x700000, v18
	v_and_b32_e32 v21, 0x80000000, v21
	v_or3_b32 v16, v18, v21, v16
.LBB349_1036:                           ;   in Loop: Header=BB349_931 Depth=1
	s_or_b32 exec_lo, exec_lo, s20
.LBB349_1037:                           ;   in Loop: Header=BB349_931 Depth=1
	s_or_b32 exec_lo, exec_lo, s19
.LBB349_1038:                           ;   in Loop: Header=BB349_931 Depth=1
	s_or_b32 exec_lo, exec_lo, s18
	v_cmp_ne_u16_sdwa s4, v13, v14 src0_sel:BYTE_1 src1_sel:DWORD
	s_and_saveexec_b32 s18, s4
	s_cbranch_execz .LBB349_1046
; %bb.1039:                             ;   in Loop: Header=BB349_931 Depth=1
	v_cmp_ne_u16_sdwa s4, v13, v70 src0_sel:BYTE_1 src1_sel:DWORD
	v_bfrev_b32_e32 v17, 1
	s_and_saveexec_b32 s19, s4
	s_cbranch_execz .LBB349_1045
; %bb.1040:                             ;   in Loop: Header=BB349_931 Depth=1
	v_mov_b32_e32 v17, 0xffff
	s_mov_b32 s20, exec_lo
	v_and_b32_sdwa v21, v17, v13 dst_sel:DWORD dst_unused:UNUSED_PAD src0_sel:DWORD src1_sel:BYTE_1
	v_mov_b32_e32 v17, 0x7f800001
	v_and_b32_e32 v18, 0x7f, v21
	v_cmpx_ne_u32_e32 0x7f, v18
	s_cbranch_execz .LBB349_1044
; %bb.1041:                             ;   in Loop: Header=BB349_931 Depth=1
	v_and_b32_e32 v26, 7, v21
	v_mov_b32_e32 v27, v14
	v_lshrrev_b32_e32 v17, 3, v18
	s_mov_b32 s21, exec_lo
	v_cmpx_gt_u32_e32 8, v18
; %bb.1042:                             ;   in Loop: Header=BB349_931 Depth=1
	v_ffbh_u32_e32 v17, v26
	v_min_u32_e32 v17, 32, v17
	v_subrev_nc_u32_e32 v18, 28, v17
	v_sub_nc_u32_e32 v17, 29, v17
	v_lshlrev_b64 v[21:22], v18, v[26:27]
	v_and_b32_e32 v26, 7, v21
; %bb.1043:                             ;   in Loop: Header=BB349_931 Depth=1
	s_or_b32 exec_lo, exec_lo, s21
	v_lshlrev_b32_e32 v13, 16, v13
	v_lshlrev_b32_e32 v18, 20, v26
	v_lshl_add_u32 v17, v17, 23, 0x3c000000
	v_and_b32_e32 v13, 0x80000000, v13
	v_or3_b32 v17, v18, v13, v17
.LBB349_1044:                           ;   in Loop: Header=BB349_931 Depth=1
	s_or_b32 exec_lo, exec_lo, s20
.LBB349_1045:                           ;   in Loop: Header=BB349_931 Depth=1
	s_or_b32 exec_lo, exec_lo, s19
.LBB349_1046:                           ;   in Loop: Header=BB349_931 Depth=1
	s_or_b32 exec_lo, exec_lo, s18
	v_and_b32_sdwa v13, v25, v80 dst_sel:DWORD dst_unused:UNUSED_PAD src0_sel:WORD_1 src1_sel:DWORD
	v_mov_b32_e32 v18, 0
	v_mov_b32_e32 v21, 0
	s_mov_b32 s18, exec_lo
	v_cmpx_ne_u16_e32 0, v13
	s_cbranch_execz .LBB349_1054
; %bb.1047:                             ;   in Loop: Header=BB349_931 Depth=1
	v_bfrev_b32_e32 v21, 1
	s_mov_b32 s19, exec_lo
	v_cmpx_ne_u16_e32 0x80, v13
	s_cbranch_execz .LBB349_1053
; %bb.1048:                             ;   in Loop: Header=BB349_931 Depth=1
	v_bfe_u32 v22, v25, 16, 7
	v_mov_b32_e32 v21, 0x7f800001
	s_mov_b32 s20, exec_lo
	v_cmpx_ne_u32_e32 0x7f, v22
	s_cbranch_execz .LBB349_1052
; %bb.1049:                             ;   in Loop: Header=BB349_931 Depth=1
	v_mov_b32_e32 v13, 7
	v_lshrrev_b32_e32 v21, 3, v22
	s_mov_b32 s21, exec_lo
	v_and_b32_sdwa v13, v25, v13 dst_sel:DWORD dst_unused:UNUSED_PAD src0_sel:WORD_1 src1_sel:DWORD
	v_mov_b32_e32 v27, v14
	v_mov_b32_e32 v26, v13
	v_cmpx_gt_u32_e32 8, v22
; %bb.1050:                             ;   in Loop: Header=BB349_931 Depth=1
	v_ffbh_u32_e32 v21, v13
	v_min_u32_e32 v21, 32, v21
	v_subrev_nc_u32_e32 v22, 28, v21
	v_sub_nc_u32_e32 v21, 29, v21
	v_lshlrev_b64 v[22:23], v22, v[13:14]
	v_and_b32_e32 v26, 7, v22
; %bb.1051:                             ;   in Loop: Header=BB349_931 Depth=1
	s_or_b32 exec_lo, exec_lo, s21
	v_mov_b32_e32 v13, 24
	v_lshlrev_b32_e32 v22, 20, v26
	v_lshl_add_u32 v21, v21, 23, 0x3c000000
	v_lshlrev_b32_sdwa v13, v13, v25 dst_sel:DWORD dst_unused:UNUSED_PAD src0_sel:DWORD src1_sel:WORD_1
	v_and_b32_e32 v13, 0x80000000, v13
	v_or3_b32 v21, v22, v13, v21
.LBB349_1052:                           ;   in Loop: Header=BB349_931 Depth=1
	s_or_b32 exec_lo, exec_lo, s20
.LBB349_1053:                           ;   in Loop: Header=BB349_931 Depth=1
	s_or_b32 exec_lo, exec_lo, s19
.LBB349_1054:                           ;   in Loop: Header=BB349_931 Depth=1
	s_or_b32 exec_lo, exec_lo, s18
	s_mov_b32 s18, exec_lo
	v_cmpx_lt_u64_e64 s[6:7], v[24:25]
	s_cbranch_execz .LBB349_1062
; %bb.1055:                             ;   in Loop: Header=BB349_931 Depth=1
	v_cmp_ne_u32_sdwa s4, v25, v70 src0_sel:BYTE_3 src1_sel:DWORD
	v_bfrev_b32_e32 v18, 1
	s_and_saveexec_b32 s19, s4
	s_cbranch_execz .LBB349_1061
; %bb.1056:                             ;   in Loop: Header=BB349_931 Depth=1
	v_bfe_u32 v22, v25, 24, 7
	v_mov_b32_e32 v18, 0x7f800001
	s_mov_b32 s20, exec_lo
	v_cmpx_ne_u32_e32 0x7f, v22
	s_cbranch_execz .LBB349_1060
; %bb.1057:                             ;   in Loop: Header=BB349_931 Depth=1
	v_mov_b32_e32 v13, 7
	v_lshrrev_b32_e32 v18, 3, v22
	s_mov_b32 s21, exec_lo
	v_and_b32_sdwa v13, v25, v13 dst_sel:DWORD dst_unused:UNUSED_PAD src0_sel:BYTE_3 src1_sel:DWORD
	v_mov_b32_e32 v27, v14
	v_mov_b32_e32 v26, v13
	v_cmpx_gt_u32_e32 8, v22
; %bb.1058:                             ;   in Loop: Header=BB349_931 Depth=1
	v_ffbh_u32_e32 v18, v13
	v_min_u32_e32 v18, 32, v18
	v_subrev_nc_u32_e32 v22, 28, v18
	v_sub_nc_u32_e32 v18, 29, v18
	v_lshlrev_b64 v[22:23], v22, v[13:14]
	v_and_b32_e32 v26, 7, v22
; %bb.1059:                             ;   in Loop: Header=BB349_931 Depth=1
	s_or_b32 exec_lo, exec_lo, s21
	v_mov_b32_e32 v13, 24
	v_lshlrev_b32_e32 v22, 20, v26
	v_lshl_add_u32 v18, v18, 23, 0x3c000000
	v_lshlrev_b32_sdwa v13, v13, v25 dst_sel:DWORD dst_unused:UNUSED_PAD src0_sel:DWORD src1_sel:BYTE_3
	v_and_b32_e32 v13, 0x80000000, v13
	v_or3_b32 v18, v22, v13, v18
.LBB349_1060:                           ;   in Loop: Header=BB349_931 Depth=1
	s_or_b32 exec_lo, exec_lo, s20
.LBB349_1061:                           ;   in Loop: Header=BB349_931 Depth=1
	s_or_b32 exec_lo, exec_lo, s19
.LBB349_1062:                           ;   in Loop: Header=BB349_931 Depth=1
	s_or_b32 exec_lo, exec_lo, s18
	v_mul_f32_e32 v13, v56, v17
	v_mul_f32_e32 v16, v56, v16
	;; [unrolled: 1-line block ×5, first 2 shown]
	v_bfe_u32 v17, v13, 16, 1
	v_or_b32_e32 v22, 0x400000, v13
	v_bfe_u32 v23, v16, 16, 1
	v_cmp_u_f32_e64 s4, v13, v13
	v_or_b32_e32 v24, 0x400000, v16
	v_add3_u32 v17, v17, v13, 0x7fff
	v_bfe_u32 v25, v15, 16, 1
	v_add3_u32 v23, v23, v16, 0x7fff
	v_or_b32_e32 v26, 0x400000, v15
	v_bfe_u32 v27, v12, 16, 1
	v_cndmask_b32_e64 v13, v17, v22, s4
	v_cmp_u_f32_e64 s4, v16, v16
	v_add3_u32 v25, v25, v15, 0x7fff
	v_or_b32_e32 v17, 0x400000, v12
	v_mul_f32_e32 v0, v56, v0
	v_lshrrev_b32_e32 v13, 16, v13
	v_cndmask_b32_e64 v16, v23, v24, s4
	v_cmp_u_f32_e64 s4, v15, v15
	buffer_store_dword v13, off, s[0:3], s32 offset:264 ; 4-byte Folded Spill
	v_add3_u32 v13, v27, v12, 0x7fff
	v_cndmask_b32_e64 v15, v25, v26, s4
	v_lshrrev_b32_e32 v16, 16, v16
	v_cmp_u_f32_e64 s4, v12, v12
	v_lshrrev_b32_e32 v15, 16, v15
	buffer_store_dword v16, off, s[0:3], s32 offset:260 ; 4-byte Folded Spill
	v_cndmask_b32_e64 v12, v13, v17, s4
	v_mul_f32_e32 v13, v56, v21
	v_or_b32_e32 v16, 0x400000, v1
	buffer_store_dword v15, off, s[0:3], s32 offset:272 ; 4-byte Folded Spill
	v_bfe_u32 v15, v1, 16, 1
	v_mul_f32_e32 v17, v56, v18
	v_bfe_u32 v18, v0, 16, 1
	v_cmp_u_f32_e64 s4, v1, v1
	v_bfe_u32 v21, v13, 16, 1
	v_add3_u32 v15, v15, v1, 0x7fff
	v_or_b32_e32 v22, 0x400000, v13
	v_or_b32_e32 v23, 0x400000, v17
	v_lshrrev_b32_e32 v12, 16, v12
	v_add3_u32 v21, v21, v13, 0x7fff
	v_cndmask_b32_e64 v1, v15, v16, s4
	v_add3_u32 v16, v18, v0, 0x7fff
	v_or_b32_e32 v18, 0x400000, v0
	v_cmp_u_f32_e64 s4, v0, v0
	v_bfe_u32 v15, v17, 16, 1
	v_lshrrev_b32_e32 v1, 16, v1
	buffer_store_dword v12, off, s[0:3], s32 offset:268 ; 4-byte Folded Spill
	v_cndmask_b32_e64 v0, v16, v18, s4
	v_cmp_u_f32_e64 s4, v13, v13
	v_add3_u32 v15, v15, v17, 0x7fff
	buffer_store_dword v1, off, s[0:3], s32 offset:280 ; 4-byte Folded Spill
	v_lshrrev_b32_e32 v0, 16, v0
	v_cndmask_b32_e64 v13, v21, v22, s4
	v_cmp_u_f32_e64 s4, v17, v17
	buffer_store_dword v0, off, s[0:3], s32 offset:276 ; 4-byte Folded Spill
	v_lshrrev_b32_e32 v0, 16, v13
	v_cndmask_b32_e64 v15, v15, v23, s4
	buffer_store_dword v0, off, s[0:3], s32 offset:252 ; 4-byte Folded Spill
	v_lshrrev_b32_e32 v0, 16, v15
	buffer_store_dword v0, off, s[0:3], s32 offset:256 ; 4-byte Folded Spill
	s_and_saveexec_b32 s18, vcc_lo
	s_cbranch_execz .LBB349_1064
; %bb.1063:                             ;   in Loop: Header=BB349_931 Depth=1
	buffer_load_dword v0, off, s[0:3], s32 offset:276 ; 4-byte Folded Reload
	v_cmp_lt_i32_e64 s4, v72, v32
	s_waitcnt vmcnt(0)
	v_cndmask_b32_e64 v0, 0, v0, s4
	v_cmp_lt_i32_e64 s4, v79, v32
	buffer_store_dword v0, off, s[0:3], s32 offset:276 ; 4-byte Folded Spill
	buffer_load_dword v0, off, s[0:3], s32 offset:280 ; 4-byte Folded Reload
	s_waitcnt vmcnt(0)
	v_cndmask_b32_e64 v0, 0, v0, s4
	v_cmp_lt_i32_e64 s4, v78, v32
	buffer_store_dword v0, off, s[0:3], s32 offset:280 ; 4-byte Folded Spill
	buffer_load_dword v0, off, s[0:3], s32 offset:268 ; 4-byte Folded Reload
	s_waitcnt vmcnt(0)
	v_cndmask_b32_e64 v0, 0, v0, s4
	v_cmp_lt_i32_e64 s4, v77, v32
	buffer_store_dword v0, off, s[0:3], s32 offset:268 ; 4-byte Folded Spill
	buffer_load_dword v0, off, s[0:3], s32 offset:272 ; 4-byte Folded Reload
	s_waitcnt vmcnt(0)
	v_cndmask_b32_e64 v0, 0, v0, s4
	v_cmp_lt_i32_e64 s4, v76, v32
	buffer_store_dword v0, off, s[0:3], s32 offset:272 ; 4-byte Folded Spill
	buffer_load_dword v0, off, s[0:3], s32 offset:260 ; 4-byte Folded Reload
	s_waitcnt vmcnt(0)
	v_cndmask_b32_e64 v0, 0, v0, s4
	v_cmp_lt_i32_e64 s4, v75, v32
	buffer_store_dword v0, off, s[0:3], s32 offset:260 ; 4-byte Folded Spill
	buffer_load_dword v0, off, s[0:3], s32 offset:264 ; 4-byte Folded Reload
	s_waitcnt vmcnt(0)
	v_cndmask_b32_e64 v0, 0, v0, s4
	v_cmp_lt_i32_e64 s4, v74, v32
	buffer_store_dword v0, off, s[0:3], s32 offset:264 ; 4-byte Folded Spill
	buffer_load_dword v0, off, s[0:3], s32 offset:252 ; 4-byte Folded Reload
	s_waitcnt vmcnt(0)
	v_cndmask_b32_e64 v0, 0, v0, s4
	v_cmp_lt_i32_e64 s4, v73, v32
	buffer_store_dword v0, off, s[0:3], s32 offset:252 ; 4-byte Folded Spill
	buffer_load_dword v0, off, s[0:3], s32 offset:256 ; 4-byte Folded Reload
	s_waitcnt vmcnt(0)
	v_cndmask_b32_e64 v0, 0, v0, s4
	buffer_store_dword v0, off, s[0:3], s32 offset:256 ; 4-byte Folded Spill
.LBB349_1064:                           ;   in Loop: Header=BB349_931 Depth=1
	s_or_b32 exec_lo, exec_lo, s18
	flat_load_dwordx2 v[24:25], v[19:20] offset:512
	v_mov_b32_e32 v1, 0
	v_mov_b32_e32 v0, 0
	s_waitcnt vmcnt(0) lgkmcnt(0)
	v_cmp_ne_u16_sdwa s4, v24, v14 src0_sel:BYTE_0 src1_sel:DWORD
	s_and_saveexec_b32 s18, s4
	s_cbranch_execz .LBB349_1072
; %bb.1065:                             ;   in Loop: Header=BB349_931 Depth=1
	v_cmp_ne_u16_sdwa s4, v24, v70 src0_sel:BYTE_0 src1_sel:DWORD
	v_bfrev_b32_e32 v0, 1
	s_and_saveexec_b32 s19, s4
	s_cbranch_execz .LBB349_1071
; %bb.1066:                             ;   in Loop: Header=BB349_931 Depth=1
	v_and_b32_e32 v12, 0x7f, v24
	v_mov_b32_e32 v0, 0x7f800001
	s_mov_b32 s20, exec_lo
	v_cmpx_ne_u32_e32 0x7f, v12
	s_cbranch_execz .LBB349_1070
; %bb.1067:                             ;   in Loop: Header=BB349_931 Depth=1
	v_mov_b32_e32 v27, v25
	v_lshrrev_b32_e32 v0, 3, v12
	v_mov_b32_e32 v26, v24
	s_mov_b32 s21, exec_lo
	v_cmpx_gt_u32_e32 8, v12
; %bb.1068:                             ;   in Loop: Header=BB349_931 Depth=1
	v_and_b32_e32 v0, 7, v24
	v_ffbh_u32_e32 v0, v0
	v_min_u32_e32 v0, 32, v0
	v_subrev_nc_u32_e32 v12, 28, v0
	v_sub_nc_u32_e32 v0, 29, v0
	v_lshlrev_b64 v[26:27], v12, v[24:25]
; %bb.1069:                             ;   in Loop: Header=BB349_931 Depth=1
	s_or_b32 exec_lo, exec_lo, s21
	v_lshlrev_b32_e32 v12, 20, v26
	v_lshlrev_b32_e32 v13, 24, v24
	v_lshl_add_u32 v0, v0, 23, 0x3c000000
	v_and_b32_e32 v12, 0x700000, v12
	v_and_b32_e32 v13, 0x80000000, v13
	v_or3_b32 v0, v12, v13, v0
.LBB349_1070:                           ;   in Loop: Header=BB349_931 Depth=1
	s_or_b32 exec_lo, exec_lo, s20
.LBB349_1071:                           ;   in Loop: Header=BB349_931 Depth=1
	s_or_b32 exec_lo, exec_lo, s19
.LBB349_1072:                           ;   in Loop: Header=BB349_931 Depth=1
	s_or_b32 exec_lo, exec_lo, s18
	v_cmp_ne_u16_sdwa s4, v24, v14 src0_sel:BYTE_1 src1_sel:DWORD
	s_and_saveexec_b32 s18, s4
	s_cbranch_execz .LBB349_1080
; %bb.1073:                             ;   in Loop: Header=BB349_931 Depth=1
	v_cmp_ne_u16_sdwa s4, v24, v70 src0_sel:BYTE_1 src1_sel:DWORD
	v_bfrev_b32_e32 v1, 1
	s_and_saveexec_b32 s19, s4
	s_cbranch_execz .LBB349_1079
; %bb.1074:                             ;   in Loop: Header=BB349_931 Depth=1
	v_mov_b32_e32 v1, 0xffff
	s_mov_b32 s20, exec_lo
	v_and_b32_sdwa v13, v1, v24 dst_sel:DWORD dst_unused:UNUSED_PAD src0_sel:DWORD src1_sel:BYTE_1
	v_mov_b32_e32 v1, 0x7f800001
	v_and_b32_e32 v12, 0x7f, v13
	v_cmpx_ne_u32_e32 0x7f, v12
	s_cbranch_execz .LBB349_1078
; %bb.1075:                             ;   in Loop: Header=BB349_931 Depth=1
	v_and_b32_e32 v13, 7, v13
	v_mov_b32_e32 v27, v14
	v_lshrrev_b32_e32 v1, 3, v12
	s_mov_b32 s21, exec_lo
	v_mov_b32_e32 v26, v13
	v_cmpx_gt_u32_e32 8, v12
; %bb.1076:                             ;   in Loop: Header=BB349_931 Depth=1
	v_ffbh_u32_e32 v1, v13
	v_min_u32_e32 v1, 32, v1
	v_subrev_nc_u32_e32 v12, 28, v1
	v_sub_nc_u32_e32 v1, 29, v1
	v_lshlrev_b64 v[12:13], v12, v[13:14]
	v_and_b32_e32 v26, 7, v12
; %bb.1077:                             ;   in Loop: Header=BB349_931 Depth=1
	s_or_b32 exec_lo, exec_lo, s21
	v_lshlrev_b32_e32 v12, 16, v24
	v_lshlrev_b32_e32 v13, 20, v26
	v_lshl_add_u32 v1, v1, 23, 0x3c000000
	v_and_b32_e32 v12, 0x80000000, v12
	v_or3_b32 v1, v13, v12, v1
.LBB349_1078:                           ;   in Loop: Header=BB349_931 Depth=1
	s_or_b32 exec_lo, exec_lo, s20
.LBB349_1079:                           ;   in Loop: Header=BB349_931 Depth=1
	s_or_b32 exec_lo, exec_lo, s19
.LBB349_1080:                           ;   in Loop: Header=BB349_931 Depth=1
	s_or_b32 exec_lo, exec_lo, s18
	v_and_b32_sdwa v13, v24, v80 dst_sel:DWORD dst_unused:UNUSED_PAD src0_sel:WORD_1 src1_sel:DWORD
	v_mov_b32_e32 v15, 0
	v_mov_b32_e32 v12, 0
	s_mov_b32 s18, exec_lo
	v_cmpx_ne_u16_e32 0, v13
	s_cbranch_execz .LBB349_1088
; %bb.1081:                             ;   in Loop: Header=BB349_931 Depth=1
	v_bfrev_b32_e32 v12, 1
	s_mov_b32 s19, exec_lo
	v_cmpx_ne_u16_e32 0x80, v13
	s_cbranch_execz .LBB349_1087
; %bb.1082:                             ;   in Loop: Header=BB349_931 Depth=1
	v_bfe_u32 v16, v24, 16, 7
	v_mov_b32_e32 v12, 0x7f800001
	s_mov_b32 s20, exec_lo
	v_cmpx_ne_u32_e32 0x7f, v16
	s_cbranch_execz .LBB349_1086
; %bb.1083:                             ;   in Loop: Header=BB349_931 Depth=1
	v_mov_b32_e32 v12, 7
	s_mov_b32 s21, exec_lo
	v_and_b32_sdwa v13, v24, v12 dst_sel:DWORD dst_unused:UNUSED_PAD src0_sel:WORD_1 src1_sel:DWORD
	v_mov_b32_e32 v27, v14
	v_lshrrev_b32_e32 v12, 3, v16
	v_mov_b32_e32 v26, v13
	v_cmpx_gt_u32_e32 8, v16
; %bb.1084:                             ;   in Loop: Header=BB349_931 Depth=1
	v_ffbh_u32_e32 v12, v13
	v_min_u32_e32 v12, 32, v12
	v_subrev_nc_u32_e32 v16, 28, v12
	v_sub_nc_u32_e32 v12, 29, v12
	v_lshlrev_b64 v[16:17], v16, v[13:14]
	v_and_b32_e32 v26, 7, v16
; %bb.1085:                             ;   in Loop: Header=BB349_931 Depth=1
	s_or_b32 exec_lo, exec_lo, s21
	v_mov_b32_e32 v13, 24
	v_lshlrev_b32_e32 v16, 20, v26
	v_lshl_add_u32 v12, v12, 23, 0x3c000000
	v_lshlrev_b32_sdwa v13, v13, v24 dst_sel:DWORD dst_unused:UNUSED_PAD src0_sel:DWORD src1_sel:WORD_1
	v_and_b32_e32 v13, 0x80000000, v13
	v_or3_b32 v12, v16, v13, v12
.LBB349_1086:                           ;   in Loop: Header=BB349_931 Depth=1
	s_or_b32 exec_lo, exec_lo, s20
.LBB349_1087:                           ;   in Loop: Header=BB349_931 Depth=1
	s_or_b32 exec_lo, exec_lo, s19
.LBB349_1088:                           ;   in Loop: Header=BB349_931 Depth=1
	s_or_b32 exec_lo, exec_lo, s18
	s_mov_b32 s18, exec_lo
	v_cmpx_lt_u32_e32 0xffffff, v24
	s_cbranch_execz .LBB349_1096
; %bb.1089:                             ;   in Loop: Header=BB349_931 Depth=1
	v_cmp_ne_u32_sdwa s4, v24, v70 src0_sel:BYTE_3 src1_sel:DWORD
	v_bfrev_b32_e32 v15, 1
	s_and_saveexec_b32 s19, s4
	s_cbranch_execz .LBB349_1095
; %bb.1090:                             ;   in Loop: Header=BB349_931 Depth=1
	v_bfe_u32 v16, v24, 24, 7
	v_mov_b32_e32 v15, 0x7f800001
	s_mov_b32 s20, exec_lo
	v_cmpx_ne_u32_e32 0x7f, v16
	s_cbranch_execz .LBB349_1094
; %bb.1091:                             ;   in Loop: Header=BB349_931 Depth=1
	v_mov_b32_e32 v13, 7
	v_lshrrev_b32_e32 v15, 3, v16
	s_mov_b32 s21, exec_lo
	v_and_b32_sdwa v13, v24, v13 dst_sel:DWORD dst_unused:UNUSED_PAD src0_sel:BYTE_3 src1_sel:DWORD
	v_mov_b32_e32 v27, v14
	v_mov_b32_e32 v26, v13
	v_cmpx_gt_u32_e32 8, v16
; %bb.1092:                             ;   in Loop: Header=BB349_931 Depth=1
	v_ffbh_u32_e32 v15, v13
	v_min_u32_e32 v15, 32, v15
	v_subrev_nc_u32_e32 v16, 28, v15
	v_sub_nc_u32_e32 v15, 29, v15
	v_lshlrev_b64 v[16:17], v16, v[13:14]
	v_and_b32_e32 v26, 7, v16
; %bb.1093:                             ;   in Loop: Header=BB349_931 Depth=1
	s_or_b32 exec_lo, exec_lo, s21
	v_mov_b32_e32 v13, 24
	v_lshlrev_b32_e32 v16, 20, v26
	v_lshl_add_u32 v15, v15, 23, 0x3c000000
	v_lshlrev_b32_sdwa v13, v13, v24 dst_sel:DWORD dst_unused:UNUSED_PAD src0_sel:DWORD src1_sel:BYTE_3
	v_and_b32_e32 v13, 0x80000000, v13
	v_or3_b32 v15, v16, v13, v15
.LBB349_1094:                           ;   in Loop: Header=BB349_931 Depth=1
	s_or_b32 exec_lo, exec_lo, s20
.LBB349_1095:                           ;   in Loop: Header=BB349_931 Depth=1
	s_or_b32 exec_lo, exec_lo, s19
.LBB349_1096:                           ;   in Loop: Header=BB349_931 Depth=1
	s_or_b32 exec_lo, exec_lo, s18
	v_mov_b32_e32 v13, v25
	v_cmp_ne_u16_sdwa s4, v25, v14 src0_sel:BYTE_0 src1_sel:DWORD
	v_mov_b32_e32 v17, 0
	v_mov_b32_e32 v16, 0
	s_and_saveexec_b32 s18, s4
	s_cbranch_execz .LBB349_1104
; %bb.1097:                             ;   in Loop: Header=BB349_931 Depth=1
	v_cmp_ne_u16_sdwa s4, v25, v70 src0_sel:BYTE_0 src1_sel:DWORD
	v_bfrev_b32_e32 v16, 1
	s_and_saveexec_b32 s19, s4
	s_cbranch_execz .LBB349_1103
; %bb.1098:                             ;   in Loop: Header=BB349_931 Depth=1
	v_and_b32_e32 v18, 0x7f, v25
	v_mov_b32_e32 v16, 0x7f800001
	s_mov_b32 s20, exec_lo
	v_cmpx_ne_u32_e32 0x7f, v18
	s_cbranch_execz .LBB349_1102
; %bb.1099:                             ;   in Loop: Header=BB349_931 Depth=1
	v_mov_b32_e32 v27, v14
	v_lshrrev_b32_e32 v16, 3, v18
	v_mov_b32_e32 v26, v13
	s_mov_b32 s21, exec_lo
	v_cmpx_gt_u32_e32 8, v18
; %bb.1100:                             ;   in Loop: Header=BB349_931 Depth=1
	v_and_b32_e32 v16, 7, v25
	v_ffbh_u32_e32 v16, v16
	v_min_u32_e32 v16, 32, v16
	v_subrev_nc_u32_e32 v18, 28, v16
	v_sub_nc_u32_e32 v16, 29, v16
	v_lshlrev_b64 v[26:27], v18, v[13:14]
; %bb.1101:                             ;   in Loop: Header=BB349_931 Depth=1
	s_or_b32 exec_lo, exec_lo, s21
	v_lshlrev_b32_e32 v18, 20, v26
	v_lshlrev_b32_e32 v21, 24, v13
	v_lshl_add_u32 v16, v16, 23, 0x3c000000
	v_and_b32_e32 v18, 0x700000, v18
	v_and_b32_e32 v21, 0x80000000, v21
	v_or3_b32 v16, v18, v21, v16
.LBB349_1102:                           ;   in Loop: Header=BB349_931 Depth=1
	s_or_b32 exec_lo, exec_lo, s20
.LBB349_1103:                           ;   in Loop: Header=BB349_931 Depth=1
	s_or_b32 exec_lo, exec_lo, s19
.LBB349_1104:                           ;   in Loop: Header=BB349_931 Depth=1
	s_or_b32 exec_lo, exec_lo, s18
	v_cmp_ne_u16_sdwa s4, v13, v14 src0_sel:BYTE_1 src1_sel:DWORD
	s_and_saveexec_b32 s18, s4
	s_cbranch_execz .LBB349_1112
; %bb.1105:                             ;   in Loop: Header=BB349_931 Depth=1
	v_cmp_ne_u16_sdwa s4, v13, v70 src0_sel:BYTE_1 src1_sel:DWORD
	v_bfrev_b32_e32 v17, 1
	s_and_saveexec_b32 s19, s4
	s_cbranch_execz .LBB349_1111
; %bb.1106:                             ;   in Loop: Header=BB349_931 Depth=1
	v_mov_b32_e32 v17, 0xffff
	s_mov_b32 s20, exec_lo
	v_and_b32_sdwa v21, v17, v13 dst_sel:DWORD dst_unused:UNUSED_PAD src0_sel:DWORD src1_sel:BYTE_1
	v_mov_b32_e32 v17, 0x7f800001
	v_and_b32_e32 v18, 0x7f, v21
	v_cmpx_ne_u32_e32 0x7f, v18
	s_cbranch_execz .LBB349_1110
; %bb.1107:                             ;   in Loop: Header=BB349_931 Depth=1
	v_and_b32_e32 v26, 7, v21
	v_mov_b32_e32 v27, v14
	v_lshrrev_b32_e32 v17, 3, v18
	s_mov_b32 s21, exec_lo
	v_cmpx_gt_u32_e32 8, v18
; %bb.1108:                             ;   in Loop: Header=BB349_931 Depth=1
	v_ffbh_u32_e32 v17, v26
	v_min_u32_e32 v17, 32, v17
	v_subrev_nc_u32_e32 v18, 28, v17
	v_sub_nc_u32_e32 v17, 29, v17
	v_lshlrev_b64 v[21:22], v18, v[26:27]
	v_and_b32_e32 v26, 7, v21
; %bb.1109:                             ;   in Loop: Header=BB349_931 Depth=1
	s_or_b32 exec_lo, exec_lo, s21
	v_lshlrev_b32_e32 v13, 16, v13
	v_lshlrev_b32_e32 v18, 20, v26
	v_lshl_add_u32 v17, v17, 23, 0x3c000000
	v_and_b32_e32 v13, 0x80000000, v13
	v_or3_b32 v17, v18, v13, v17
.LBB349_1110:                           ;   in Loop: Header=BB349_931 Depth=1
	s_or_b32 exec_lo, exec_lo, s20
.LBB349_1111:                           ;   in Loop: Header=BB349_931 Depth=1
	s_or_b32 exec_lo, exec_lo, s19
.LBB349_1112:                           ;   in Loop: Header=BB349_931 Depth=1
	s_or_b32 exec_lo, exec_lo, s18
	v_and_b32_sdwa v13, v25, v80 dst_sel:DWORD dst_unused:UNUSED_PAD src0_sel:WORD_1 src1_sel:DWORD
	v_mov_b32_e32 v18, 0
	v_mov_b32_e32 v21, 0
	s_mov_b32 s18, exec_lo
	v_cmpx_ne_u16_e32 0, v13
	s_cbranch_execz .LBB349_1120
; %bb.1113:                             ;   in Loop: Header=BB349_931 Depth=1
	v_bfrev_b32_e32 v21, 1
	s_mov_b32 s19, exec_lo
	v_cmpx_ne_u16_e32 0x80, v13
	s_cbranch_execz .LBB349_1119
; %bb.1114:                             ;   in Loop: Header=BB349_931 Depth=1
	v_bfe_u32 v22, v25, 16, 7
	v_mov_b32_e32 v21, 0x7f800001
	s_mov_b32 s20, exec_lo
	v_cmpx_ne_u32_e32 0x7f, v22
	s_cbranch_execz .LBB349_1118
; %bb.1115:                             ;   in Loop: Header=BB349_931 Depth=1
	v_mov_b32_e32 v13, 7
	v_lshrrev_b32_e32 v21, 3, v22
	s_mov_b32 s21, exec_lo
	v_and_b32_sdwa v13, v25, v13 dst_sel:DWORD dst_unused:UNUSED_PAD src0_sel:WORD_1 src1_sel:DWORD
	v_mov_b32_e32 v27, v14
	v_mov_b32_e32 v26, v13
	v_cmpx_gt_u32_e32 8, v22
; %bb.1116:                             ;   in Loop: Header=BB349_931 Depth=1
	v_ffbh_u32_e32 v21, v13
	v_min_u32_e32 v21, 32, v21
	v_subrev_nc_u32_e32 v22, 28, v21
	v_sub_nc_u32_e32 v21, 29, v21
	v_lshlrev_b64 v[22:23], v22, v[13:14]
	v_and_b32_e32 v26, 7, v22
; %bb.1117:                             ;   in Loop: Header=BB349_931 Depth=1
	s_or_b32 exec_lo, exec_lo, s21
	v_mov_b32_e32 v13, 24
	v_lshlrev_b32_e32 v22, 20, v26
	v_lshl_add_u32 v21, v21, 23, 0x3c000000
	v_lshlrev_b32_sdwa v13, v13, v25 dst_sel:DWORD dst_unused:UNUSED_PAD src0_sel:DWORD src1_sel:WORD_1
	v_and_b32_e32 v13, 0x80000000, v13
	v_or3_b32 v21, v22, v13, v21
.LBB349_1118:                           ;   in Loop: Header=BB349_931 Depth=1
	s_or_b32 exec_lo, exec_lo, s20
.LBB349_1119:                           ;   in Loop: Header=BB349_931 Depth=1
	s_or_b32 exec_lo, exec_lo, s19
.LBB349_1120:                           ;   in Loop: Header=BB349_931 Depth=1
	s_or_b32 exec_lo, exec_lo, s18
	s_mov_b32 s18, exec_lo
	v_cmpx_lt_u64_e64 s[6:7], v[24:25]
	s_cbranch_execz .LBB349_1128
; %bb.1121:                             ;   in Loop: Header=BB349_931 Depth=1
	v_cmp_ne_u32_sdwa s4, v25, v70 src0_sel:BYTE_3 src1_sel:DWORD
	v_bfrev_b32_e32 v18, 1
	s_and_saveexec_b32 s19, s4
	s_cbranch_execz .LBB349_1127
; %bb.1122:                             ;   in Loop: Header=BB349_931 Depth=1
	v_bfe_u32 v22, v25, 24, 7
	v_mov_b32_e32 v18, 0x7f800001
	s_mov_b32 s20, exec_lo
	v_cmpx_ne_u32_e32 0x7f, v22
	s_cbranch_execz .LBB349_1126
; %bb.1123:                             ;   in Loop: Header=BB349_931 Depth=1
	v_mov_b32_e32 v13, 7
	v_lshrrev_b32_e32 v18, 3, v22
	s_mov_b32 s21, exec_lo
	v_and_b32_sdwa v13, v25, v13 dst_sel:DWORD dst_unused:UNUSED_PAD src0_sel:BYTE_3 src1_sel:DWORD
	v_mov_b32_e32 v27, v14
	v_mov_b32_e32 v26, v13
	v_cmpx_gt_u32_e32 8, v22
; %bb.1124:                             ;   in Loop: Header=BB349_931 Depth=1
	v_ffbh_u32_e32 v18, v13
	v_min_u32_e32 v18, 32, v18
	v_subrev_nc_u32_e32 v22, 28, v18
	v_sub_nc_u32_e32 v18, 29, v18
	v_lshlrev_b64 v[22:23], v22, v[13:14]
	v_and_b32_e32 v26, 7, v22
; %bb.1125:                             ;   in Loop: Header=BB349_931 Depth=1
	s_or_b32 exec_lo, exec_lo, s21
	v_mov_b32_e32 v13, 24
	v_lshlrev_b32_e32 v22, 20, v26
	v_lshl_add_u32 v18, v18, 23, 0x3c000000
	v_lshlrev_b32_sdwa v13, v13, v25 dst_sel:DWORD dst_unused:UNUSED_PAD src0_sel:DWORD src1_sel:BYTE_3
	v_and_b32_e32 v13, 0x80000000, v13
	v_or3_b32 v18, v22, v13, v18
.LBB349_1126:                           ;   in Loop: Header=BB349_931 Depth=1
	s_or_b32 exec_lo, exec_lo, s20
.LBB349_1127:                           ;   in Loop: Header=BB349_931 Depth=1
	s_or_b32 exec_lo, exec_lo, s19
.LBB349_1128:                           ;   in Loop: Header=BB349_931 Depth=1
	s_or_b32 exec_lo, exec_lo, s18
	v_mul_f32_e32 v13, v56, v17
	v_mul_f32_e32 v16, v56, v16
	;; [unrolled: 1-line block ×5, first 2 shown]
	v_bfe_u32 v17, v13, 16, 1
	v_or_b32_e32 v22, 0x400000, v13
	v_bfe_u32 v23, v16, 16, 1
	v_cmp_u_f32_e64 s4, v13, v13
	v_or_b32_e32 v24, 0x400000, v16
	v_add3_u32 v17, v17, v13, 0x7fff
	v_bfe_u32 v25, v15, 16, 1
	v_add3_u32 v23, v23, v16, 0x7fff
	v_or_b32_e32 v26, 0x400000, v15
	v_bfe_u32 v27, v12, 16, 1
	v_cndmask_b32_e64 v13, v17, v22, s4
	v_cmp_u_f32_e64 s4, v16, v16
	v_add3_u32 v25, v25, v15, 0x7fff
	v_or_b32_e32 v17, 0x400000, v12
	v_mul_f32_e32 v0, v56, v0
	v_lshrrev_b32_e32 v42, 16, v13
	v_cndmask_b32_e64 v16, v23, v24, s4
	v_cmp_u_f32_e64 s4, v15, v15
	v_add3_u32 v13, v27, v12, 0x7fff
	v_lshrrev_b32_e32 v41, 16, v16
	v_cndmask_b32_e64 v15, v25, v26, s4
	v_cmp_u_f32_e64 s4, v12, v12
	v_or_b32_e32 v16, 0x400000, v1
	v_lshrrev_b32_e32 v44, 16, v15
	v_bfe_u32 v15, v1, 16, 1
	v_cndmask_b32_e64 v12, v13, v17, s4
	v_mul_f32_e32 v13, v56, v21
	v_mul_f32_e32 v17, v56, v18
	v_bfe_u32 v18, v0, 16, 1
	v_add3_u32 v15, v15, v1, 0x7fff
	v_cmp_u_f32_e64 s4, v1, v1
	v_bfe_u32 v21, v13, 16, 1
	v_or_b32_e32 v22, 0x400000, v13
	v_or_b32_e32 v23, 0x400000, v17
	v_lshrrev_b32_e32 v43, 16, v12
	v_cndmask_b32_e64 v1, v15, v16, s4
	v_add3_u32 v16, v18, v0, 0x7fff
	v_or_b32_e32 v18, 0x400000, v0
	v_cmp_u_f32_e64 s4, v0, v0
	v_bfe_u32 v15, v17, 16, 1
	v_add3_u32 v21, v21, v13, 0x7fff
	v_lshrrev_b32_e32 v46, 16, v1
	v_cndmask_b32_e64 v0, v16, v18, s4
	v_cmp_u_f32_e64 s4, v13, v13
	v_add3_u32 v15, v15, v17, 0x7fff
	v_lshrrev_b32_e32 v45, 16, v0
	v_cndmask_b32_e64 v13, v21, v22, s4
	v_cmp_u_f32_e64 s4, v17, v17
	v_lshrrev_b32_e32 v0, 16, v13
	v_cndmask_b32_e64 v15, v15, v23, s4
	buffer_store_dword v0, off, s[0:3], s32 offset:284 ; 4-byte Folded Spill
	v_lshrrev_b32_e32 v40, 16, v15
	s_and_saveexec_b32 s18, vcc_lo
	s_cbranch_execz .LBB349_1130
; %bb.1129:                             ;   in Loop: Header=BB349_931 Depth=1
	buffer_load_dword v0, off, s[0:3], s32 offset:284 ; 4-byte Folded Reload
	v_cmp_lt_i32_e64 s4, v72, v32
	v_cndmask_b32_e64 v45, 0, v45, s4
	v_cmp_lt_i32_e64 s4, v79, v32
	v_cndmask_b32_e64 v46, 0, v46, s4
	;; [unrolled: 2-line block ×6, first 2 shown]
	v_cmp_lt_i32_e64 s4, v74, v32
	s_waitcnt vmcnt(0)
	v_cndmask_b32_e64 v0, 0, v0, s4
	v_cmp_lt_i32_e64 s4, v73, v32
	buffer_store_dword v0, off, s[0:3], s32 offset:284 ; 4-byte Folded Spill
	v_cndmask_b32_e64 v40, 0, v40, s4
.LBB349_1130:                           ;   in Loop: Header=BB349_931 Depth=1
	s_or_b32 exec_lo, exec_lo, s18
	flat_load_dwordx2 v[24:25], v[19:20] offset:768
	v_mov_b32_e32 v1, 0
	v_mov_b32_e32 v0, 0
	s_waitcnt vmcnt(0) lgkmcnt(0)
	v_cmp_ne_u16_sdwa s4, v24, v14 src0_sel:BYTE_0 src1_sel:DWORD
	s_and_saveexec_b32 s18, s4
	s_cbranch_execz .LBB349_1138
; %bb.1131:                             ;   in Loop: Header=BB349_931 Depth=1
	v_cmp_ne_u16_sdwa s4, v24, v70 src0_sel:BYTE_0 src1_sel:DWORD
	v_bfrev_b32_e32 v0, 1
	s_and_saveexec_b32 s19, s4
	s_cbranch_execz .LBB349_1137
; %bb.1132:                             ;   in Loop: Header=BB349_931 Depth=1
	v_and_b32_e32 v12, 0x7f, v24
	v_mov_b32_e32 v0, 0x7f800001
	s_mov_b32 s20, exec_lo
	v_cmpx_ne_u32_e32 0x7f, v12
	s_cbranch_execz .LBB349_1136
; %bb.1133:                             ;   in Loop: Header=BB349_931 Depth=1
	v_mov_b32_e32 v27, v25
	v_lshrrev_b32_e32 v0, 3, v12
	v_mov_b32_e32 v26, v24
	s_mov_b32 s21, exec_lo
	v_cmpx_gt_u32_e32 8, v12
; %bb.1134:                             ;   in Loop: Header=BB349_931 Depth=1
	v_and_b32_e32 v0, 7, v24
	v_ffbh_u32_e32 v0, v0
	v_min_u32_e32 v0, 32, v0
	v_subrev_nc_u32_e32 v12, 28, v0
	v_sub_nc_u32_e32 v0, 29, v0
	v_lshlrev_b64 v[26:27], v12, v[24:25]
; %bb.1135:                             ;   in Loop: Header=BB349_931 Depth=1
	s_or_b32 exec_lo, exec_lo, s21
	v_lshlrev_b32_e32 v12, 20, v26
	v_lshlrev_b32_e32 v13, 24, v24
	v_lshl_add_u32 v0, v0, 23, 0x3c000000
	v_and_b32_e32 v12, 0x700000, v12
	v_and_b32_e32 v13, 0x80000000, v13
	v_or3_b32 v0, v12, v13, v0
.LBB349_1136:                           ;   in Loop: Header=BB349_931 Depth=1
	s_or_b32 exec_lo, exec_lo, s20
.LBB349_1137:                           ;   in Loop: Header=BB349_931 Depth=1
	s_or_b32 exec_lo, exec_lo, s19
.LBB349_1138:                           ;   in Loop: Header=BB349_931 Depth=1
	s_or_b32 exec_lo, exec_lo, s18
	v_cmp_ne_u16_sdwa s4, v24, v14 src0_sel:BYTE_1 src1_sel:DWORD
	s_and_saveexec_b32 s18, s4
	s_cbranch_execz .LBB349_1146
; %bb.1139:                             ;   in Loop: Header=BB349_931 Depth=1
	v_cmp_ne_u16_sdwa s4, v24, v70 src0_sel:BYTE_1 src1_sel:DWORD
	v_bfrev_b32_e32 v1, 1
	s_and_saveexec_b32 s19, s4
	s_cbranch_execz .LBB349_1145
; %bb.1140:                             ;   in Loop: Header=BB349_931 Depth=1
	v_mov_b32_e32 v1, 0xffff
	s_mov_b32 s20, exec_lo
	v_and_b32_sdwa v13, v1, v24 dst_sel:DWORD dst_unused:UNUSED_PAD src0_sel:DWORD src1_sel:BYTE_1
	v_mov_b32_e32 v1, 0x7f800001
	v_and_b32_e32 v12, 0x7f, v13
	v_cmpx_ne_u32_e32 0x7f, v12
	s_cbranch_execz .LBB349_1144
; %bb.1141:                             ;   in Loop: Header=BB349_931 Depth=1
	v_and_b32_e32 v13, 7, v13
	v_mov_b32_e32 v27, v14
	v_lshrrev_b32_e32 v1, 3, v12
	s_mov_b32 s21, exec_lo
	v_mov_b32_e32 v26, v13
	v_cmpx_gt_u32_e32 8, v12
; %bb.1142:                             ;   in Loop: Header=BB349_931 Depth=1
	v_ffbh_u32_e32 v1, v13
	v_min_u32_e32 v1, 32, v1
	v_subrev_nc_u32_e32 v12, 28, v1
	v_sub_nc_u32_e32 v1, 29, v1
	v_lshlrev_b64 v[12:13], v12, v[13:14]
	v_and_b32_e32 v26, 7, v12
; %bb.1143:                             ;   in Loop: Header=BB349_931 Depth=1
	s_or_b32 exec_lo, exec_lo, s21
	v_lshlrev_b32_e32 v12, 16, v24
	v_lshlrev_b32_e32 v13, 20, v26
	v_lshl_add_u32 v1, v1, 23, 0x3c000000
	v_and_b32_e32 v12, 0x80000000, v12
	v_or3_b32 v1, v13, v12, v1
.LBB349_1144:                           ;   in Loop: Header=BB349_931 Depth=1
	s_or_b32 exec_lo, exec_lo, s20
.LBB349_1145:                           ;   in Loop: Header=BB349_931 Depth=1
	s_or_b32 exec_lo, exec_lo, s19
.LBB349_1146:                           ;   in Loop: Header=BB349_931 Depth=1
	s_or_b32 exec_lo, exec_lo, s18
	v_and_b32_sdwa v13, v24, v80 dst_sel:DWORD dst_unused:UNUSED_PAD src0_sel:WORD_1 src1_sel:DWORD
	v_mov_b32_e32 v15, 0
	v_mov_b32_e32 v12, 0
	s_mov_b32 s18, exec_lo
	v_cmpx_ne_u16_e32 0, v13
	s_cbranch_execz .LBB349_1154
; %bb.1147:                             ;   in Loop: Header=BB349_931 Depth=1
	v_bfrev_b32_e32 v12, 1
	s_mov_b32 s19, exec_lo
	v_cmpx_ne_u16_e32 0x80, v13
	s_cbranch_execz .LBB349_1153
; %bb.1148:                             ;   in Loop: Header=BB349_931 Depth=1
	v_bfe_u32 v16, v24, 16, 7
	v_mov_b32_e32 v12, 0x7f800001
	s_mov_b32 s20, exec_lo
	v_cmpx_ne_u32_e32 0x7f, v16
	s_cbranch_execz .LBB349_1152
; %bb.1149:                             ;   in Loop: Header=BB349_931 Depth=1
	v_mov_b32_e32 v12, 7
	s_mov_b32 s21, exec_lo
	v_and_b32_sdwa v13, v24, v12 dst_sel:DWORD dst_unused:UNUSED_PAD src0_sel:WORD_1 src1_sel:DWORD
	v_mov_b32_e32 v27, v14
	v_lshrrev_b32_e32 v12, 3, v16
	v_mov_b32_e32 v26, v13
	v_cmpx_gt_u32_e32 8, v16
; %bb.1150:                             ;   in Loop: Header=BB349_931 Depth=1
	v_ffbh_u32_e32 v12, v13
	v_min_u32_e32 v12, 32, v12
	v_subrev_nc_u32_e32 v16, 28, v12
	v_sub_nc_u32_e32 v12, 29, v12
	v_lshlrev_b64 v[16:17], v16, v[13:14]
	v_and_b32_e32 v26, 7, v16
; %bb.1151:                             ;   in Loop: Header=BB349_931 Depth=1
	s_or_b32 exec_lo, exec_lo, s21
	v_mov_b32_e32 v13, 24
	v_lshlrev_b32_e32 v16, 20, v26
	v_lshl_add_u32 v12, v12, 23, 0x3c000000
	v_lshlrev_b32_sdwa v13, v13, v24 dst_sel:DWORD dst_unused:UNUSED_PAD src0_sel:DWORD src1_sel:WORD_1
	v_and_b32_e32 v13, 0x80000000, v13
	v_or3_b32 v12, v16, v13, v12
.LBB349_1152:                           ;   in Loop: Header=BB349_931 Depth=1
	s_or_b32 exec_lo, exec_lo, s20
.LBB349_1153:                           ;   in Loop: Header=BB349_931 Depth=1
	s_or_b32 exec_lo, exec_lo, s19
.LBB349_1154:                           ;   in Loop: Header=BB349_931 Depth=1
	s_or_b32 exec_lo, exec_lo, s18
	s_mov_b32 s18, exec_lo
	v_cmpx_lt_u32_e32 0xffffff, v24
	s_cbranch_execz .LBB349_1162
; %bb.1155:                             ;   in Loop: Header=BB349_931 Depth=1
	v_cmp_ne_u32_sdwa s4, v24, v70 src0_sel:BYTE_3 src1_sel:DWORD
	v_bfrev_b32_e32 v15, 1
	s_and_saveexec_b32 s19, s4
	s_cbranch_execz .LBB349_1161
; %bb.1156:                             ;   in Loop: Header=BB349_931 Depth=1
	v_bfe_u32 v16, v24, 24, 7
	v_mov_b32_e32 v15, 0x7f800001
	s_mov_b32 s20, exec_lo
	v_cmpx_ne_u32_e32 0x7f, v16
	s_cbranch_execz .LBB349_1160
; %bb.1157:                             ;   in Loop: Header=BB349_931 Depth=1
	v_mov_b32_e32 v13, 7
	v_lshrrev_b32_e32 v15, 3, v16
	s_mov_b32 s21, exec_lo
	v_and_b32_sdwa v13, v24, v13 dst_sel:DWORD dst_unused:UNUSED_PAD src0_sel:BYTE_3 src1_sel:DWORD
	v_mov_b32_e32 v27, v14
	v_mov_b32_e32 v26, v13
	v_cmpx_gt_u32_e32 8, v16
; %bb.1158:                             ;   in Loop: Header=BB349_931 Depth=1
	v_ffbh_u32_e32 v15, v13
	v_min_u32_e32 v15, 32, v15
	v_subrev_nc_u32_e32 v16, 28, v15
	v_sub_nc_u32_e32 v15, 29, v15
	v_lshlrev_b64 v[16:17], v16, v[13:14]
	v_and_b32_e32 v26, 7, v16
; %bb.1159:                             ;   in Loop: Header=BB349_931 Depth=1
	s_or_b32 exec_lo, exec_lo, s21
	v_mov_b32_e32 v13, 24
	v_lshlrev_b32_e32 v16, 20, v26
	v_lshl_add_u32 v15, v15, 23, 0x3c000000
	v_lshlrev_b32_sdwa v13, v13, v24 dst_sel:DWORD dst_unused:UNUSED_PAD src0_sel:DWORD src1_sel:BYTE_3
	v_and_b32_e32 v13, 0x80000000, v13
	v_or3_b32 v15, v16, v13, v15
.LBB349_1160:                           ;   in Loop: Header=BB349_931 Depth=1
	s_or_b32 exec_lo, exec_lo, s20
.LBB349_1161:                           ;   in Loop: Header=BB349_931 Depth=1
	s_or_b32 exec_lo, exec_lo, s19
.LBB349_1162:                           ;   in Loop: Header=BB349_931 Depth=1
	s_or_b32 exec_lo, exec_lo, s18
	v_mov_b32_e32 v13, v25
	v_cmp_ne_u16_sdwa s4, v25, v14 src0_sel:BYTE_0 src1_sel:DWORD
	v_mov_b32_e32 v17, 0
	v_mov_b32_e32 v16, 0
	s_and_saveexec_b32 s18, s4
	s_cbranch_execz .LBB349_1170
; %bb.1163:                             ;   in Loop: Header=BB349_931 Depth=1
	v_cmp_ne_u16_sdwa s4, v25, v70 src0_sel:BYTE_0 src1_sel:DWORD
	v_bfrev_b32_e32 v16, 1
	s_and_saveexec_b32 s19, s4
	s_cbranch_execz .LBB349_1169
; %bb.1164:                             ;   in Loop: Header=BB349_931 Depth=1
	v_and_b32_e32 v18, 0x7f, v25
	v_mov_b32_e32 v16, 0x7f800001
	s_mov_b32 s20, exec_lo
	v_cmpx_ne_u32_e32 0x7f, v18
	s_cbranch_execz .LBB349_1168
; %bb.1165:                             ;   in Loop: Header=BB349_931 Depth=1
	v_mov_b32_e32 v27, v14
	v_lshrrev_b32_e32 v16, 3, v18
	v_mov_b32_e32 v26, v13
	s_mov_b32 s21, exec_lo
	v_cmpx_gt_u32_e32 8, v18
; %bb.1166:                             ;   in Loop: Header=BB349_931 Depth=1
	v_and_b32_e32 v16, 7, v25
	v_ffbh_u32_e32 v16, v16
	v_min_u32_e32 v16, 32, v16
	v_subrev_nc_u32_e32 v18, 28, v16
	v_sub_nc_u32_e32 v16, 29, v16
	v_lshlrev_b64 v[26:27], v18, v[13:14]
; %bb.1167:                             ;   in Loop: Header=BB349_931 Depth=1
	s_or_b32 exec_lo, exec_lo, s21
	v_lshlrev_b32_e32 v18, 20, v26
	v_lshlrev_b32_e32 v21, 24, v13
	v_lshl_add_u32 v16, v16, 23, 0x3c000000
	v_and_b32_e32 v18, 0x700000, v18
	v_and_b32_e32 v21, 0x80000000, v21
	v_or3_b32 v16, v18, v21, v16
.LBB349_1168:                           ;   in Loop: Header=BB349_931 Depth=1
	s_or_b32 exec_lo, exec_lo, s20
.LBB349_1169:                           ;   in Loop: Header=BB349_931 Depth=1
	s_or_b32 exec_lo, exec_lo, s19
.LBB349_1170:                           ;   in Loop: Header=BB349_931 Depth=1
	s_or_b32 exec_lo, exec_lo, s18
	v_cmp_ne_u16_sdwa s4, v13, v14 src0_sel:BYTE_1 src1_sel:DWORD
	s_and_saveexec_b32 s18, s4
	s_cbranch_execz .LBB349_1178
; %bb.1171:                             ;   in Loop: Header=BB349_931 Depth=1
	v_cmp_ne_u16_sdwa s4, v13, v70 src0_sel:BYTE_1 src1_sel:DWORD
	v_bfrev_b32_e32 v17, 1
	s_and_saveexec_b32 s19, s4
	s_cbranch_execz .LBB349_1177
; %bb.1172:                             ;   in Loop: Header=BB349_931 Depth=1
	v_mov_b32_e32 v17, 0xffff
	s_mov_b32 s20, exec_lo
	v_and_b32_sdwa v21, v17, v13 dst_sel:DWORD dst_unused:UNUSED_PAD src0_sel:DWORD src1_sel:BYTE_1
	v_mov_b32_e32 v17, 0x7f800001
	v_and_b32_e32 v18, 0x7f, v21
	v_cmpx_ne_u32_e32 0x7f, v18
	s_cbranch_execz .LBB349_1176
; %bb.1173:                             ;   in Loop: Header=BB349_931 Depth=1
	v_and_b32_e32 v26, 7, v21
	v_mov_b32_e32 v27, v14
	v_lshrrev_b32_e32 v17, 3, v18
	s_mov_b32 s21, exec_lo
	v_cmpx_gt_u32_e32 8, v18
; %bb.1174:                             ;   in Loop: Header=BB349_931 Depth=1
	v_ffbh_u32_e32 v17, v26
	v_min_u32_e32 v17, 32, v17
	v_subrev_nc_u32_e32 v18, 28, v17
	v_sub_nc_u32_e32 v17, 29, v17
	v_lshlrev_b64 v[21:22], v18, v[26:27]
	v_and_b32_e32 v26, 7, v21
; %bb.1175:                             ;   in Loop: Header=BB349_931 Depth=1
	s_or_b32 exec_lo, exec_lo, s21
	v_lshlrev_b32_e32 v13, 16, v13
	v_lshlrev_b32_e32 v18, 20, v26
	v_lshl_add_u32 v17, v17, 23, 0x3c000000
	v_and_b32_e32 v13, 0x80000000, v13
	v_or3_b32 v17, v18, v13, v17
.LBB349_1176:                           ;   in Loop: Header=BB349_931 Depth=1
	s_or_b32 exec_lo, exec_lo, s20
.LBB349_1177:                           ;   in Loop: Header=BB349_931 Depth=1
	s_or_b32 exec_lo, exec_lo, s19
.LBB349_1178:                           ;   in Loop: Header=BB349_931 Depth=1
	s_or_b32 exec_lo, exec_lo, s18
	v_and_b32_sdwa v13, v25, v80 dst_sel:DWORD dst_unused:UNUSED_PAD src0_sel:WORD_1 src1_sel:DWORD
	v_mov_b32_e32 v18, 0
	v_mov_b32_e32 v21, 0
	s_mov_b32 s18, exec_lo
	v_cmpx_ne_u16_e32 0, v13
	s_cbranch_execz .LBB349_1186
; %bb.1179:                             ;   in Loop: Header=BB349_931 Depth=1
	v_bfrev_b32_e32 v21, 1
	s_mov_b32 s19, exec_lo
	v_cmpx_ne_u16_e32 0x80, v13
	s_cbranch_execz .LBB349_1185
; %bb.1180:                             ;   in Loop: Header=BB349_931 Depth=1
	v_bfe_u32 v22, v25, 16, 7
	v_mov_b32_e32 v21, 0x7f800001
	s_mov_b32 s20, exec_lo
	v_cmpx_ne_u32_e32 0x7f, v22
	s_cbranch_execz .LBB349_1184
; %bb.1181:                             ;   in Loop: Header=BB349_931 Depth=1
	v_mov_b32_e32 v13, 7
	v_lshrrev_b32_e32 v21, 3, v22
	s_mov_b32 s21, exec_lo
	v_and_b32_sdwa v13, v25, v13 dst_sel:DWORD dst_unused:UNUSED_PAD src0_sel:WORD_1 src1_sel:DWORD
	v_mov_b32_e32 v27, v14
	v_mov_b32_e32 v26, v13
	v_cmpx_gt_u32_e32 8, v22
; %bb.1182:                             ;   in Loop: Header=BB349_931 Depth=1
	v_ffbh_u32_e32 v21, v13
	v_min_u32_e32 v21, 32, v21
	v_subrev_nc_u32_e32 v22, 28, v21
	v_sub_nc_u32_e32 v21, 29, v21
	v_lshlrev_b64 v[22:23], v22, v[13:14]
	v_and_b32_e32 v26, 7, v22
; %bb.1183:                             ;   in Loop: Header=BB349_931 Depth=1
	s_or_b32 exec_lo, exec_lo, s21
	v_mov_b32_e32 v13, 24
	v_lshlrev_b32_e32 v22, 20, v26
	v_lshl_add_u32 v21, v21, 23, 0x3c000000
	v_lshlrev_b32_sdwa v13, v13, v25 dst_sel:DWORD dst_unused:UNUSED_PAD src0_sel:DWORD src1_sel:WORD_1
	v_and_b32_e32 v13, 0x80000000, v13
	v_or3_b32 v21, v22, v13, v21
.LBB349_1184:                           ;   in Loop: Header=BB349_931 Depth=1
	s_or_b32 exec_lo, exec_lo, s20
.LBB349_1185:                           ;   in Loop: Header=BB349_931 Depth=1
	s_or_b32 exec_lo, exec_lo, s19
.LBB349_1186:                           ;   in Loop: Header=BB349_931 Depth=1
	s_or_b32 exec_lo, exec_lo, s18
	s_mov_b32 s18, exec_lo
	v_cmpx_lt_u64_e64 s[6:7], v[24:25]
	s_cbranch_execz .LBB349_1194
; %bb.1187:                             ;   in Loop: Header=BB349_931 Depth=1
	v_cmp_ne_u32_sdwa s4, v25, v70 src0_sel:BYTE_3 src1_sel:DWORD
	v_bfrev_b32_e32 v18, 1
	s_and_saveexec_b32 s19, s4
	s_cbranch_execz .LBB349_1193
; %bb.1188:                             ;   in Loop: Header=BB349_931 Depth=1
	v_bfe_u32 v22, v25, 24, 7
	v_mov_b32_e32 v18, 0x7f800001
	s_mov_b32 s20, exec_lo
	v_cmpx_ne_u32_e32 0x7f, v22
	s_cbranch_execz .LBB349_1192
; %bb.1189:                             ;   in Loop: Header=BB349_931 Depth=1
	v_mov_b32_e32 v13, 7
	v_lshrrev_b32_e32 v18, 3, v22
	s_mov_b32 s21, exec_lo
	v_and_b32_sdwa v13, v25, v13 dst_sel:DWORD dst_unused:UNUSED_PAD src0_sel:BYTE_3 src1_sel:DWORD
	v_mov_b32_e32 v27, v14
	v_mov_b32_e32 v26, v13
	v_cmpx_gt_u32_e32 8, v22
; %bb.1190:                             ;   in Loop: Header=BB349_931 Depth=1
	v_ffbh_u32_e32 v18, v13
	v_min_u32_e32 v18, 32, v18
	v_subrev_nc_u32_e32 v22, 28, v18
	v_sub_nc_u32_e32 v18, 29, v18
	v_lshlrev_b64 v[22:23], v22, v[13:14]
	v_and_b32_e32 v26, 7, v22
; %bb.1191:                             ;   in Loop: Header=BB349_931 Depth=1
	s_or_b32 exec_lo, exec_lo, s21
	v_mov_b32_e32 v13, 24
	v_lshlrev_b32_e32 v22, 20, v26
	v_lshl_add_u32 v18, v18, 23, 0x3c000000
	v_lshlrev_b32_sdwa v13, v13, v25 dst_sel:DWORD dst_unused:UNUSED_PAD src0_sel:DWORD src1_sel:BYTE_3
	v_and_b32_e32 v13, 0x80000000, v13
	v_or3_b32 v18, v22, v13, v18
.LBB349_1192:                           ;   in Loop: Header=BB349_931 Depth=1
	s_or_b32 exec_lo, exec_lo, s20
.LBB349_1193:                           ;   in Loop: Header=BB349_931 Depth=1
	s_or_b32 exec_lo, exec_lo, s19
.LBB349_1194:                           ;   in Loop: Header=BB349_931 Depth=1
	s_or_b32 exec_lo, exec_lo, s18
	v_mul_f32_e32 v13, v56, v17
	v_mul_f32_e32 v16, v56, v16
	;; [unrolled: 1-line block ×5, first 2 shown]
	v_bfe_u32 v17, v13, 16, 1
	v_or_b32_e32 v22, 0x400000, v13
	v_bfe_u32 v23, v16, 16, 1
	v_cmp_u_f32_e64 s4, v13, v13
	v_or_b32_e32 v24, 0x400000, v16
	v_add3_u32 v17, v17, v13, 0x7fff
	v_bfe_u32 v25, v15, 16, 1
	v_add3_u32 v23, v23, v16, 0x7fff
	v_or_b32_e32 v26, 0x400000, v15
	v_bfe_u32 v27, v12, 16, 1
	v_cndmask_b32_e64 v13, v17, v22, s4
	v_cmp_u_f32_e64 s4, v16, v16
	v_add3_u32 v25, v25, v15, 0x7fff
	v_or_b32_e32 v17, 0x400000, v12
	v_mul_f32_e32 v0, v56, v0
	v_lshrrev_b32_e32 v59, 16, v13
	v_cndmask_b32_e64 v16, v23, v24, s4
	v_cmp_u_f32_e64 s4, v15, v15
	v_add3_u32 v13, v27, v12, 0x7fff
	v_lshrrev_b32_e32 v58, 16, v16
	v_cndmask_b32_e64 v15, v25, v26, s4
	v_cmp_u_f32_e64 s4, v12, v12
	v_or_b32_e32 v16, 0x400000, v1
	v_lshrrev_b32_e32 v61, 16, v15
	v_bfe_u32 v15, v1, 16, 1
	v_cndmask_b32_e64 v12, v13, v17, s4
	v_mul_f32_e32 v13, v56, v21
	v_mul_f32_e32 v17, v56, v18
	v_bfe_u32 v18, v0, 16, 1
	v_add3_u32 v15, v15, v1, 0x7fff
	v_cmp_u_f32_e64 s4, v1, v1
	v_bfe_u32 v21, v13, 16, 1
	v_or_b32_e32 v22, 0x400000, v13
	v_or_b32_e32 v23, 0x400000, v17
	v_lshrrev_b32_e32 v60, 16, v12
	v_cndmask_b32_e64 v1, v15, v16, s4
	v_add3_u32 v16, v18, v0, 0x7fff
	v_or_b32_e32 v18, 0x400000, v0
	v_cmp_u_f32_e64 s4, v0, v0
	v_bfe_u32 v15, v17, 16, 1
	v_add3_u32 v21, v21, v13, 0x7fff
	v_lshrrev_b32_e32 v63, 16, v1
	v_cndmask_b32_e64 v0, v16, v18, s4
	v_cmp_u_f32_e64 s4, v13, v13
	v_add3_u32 v15, v15, v17, 0x7fff
	v_lshrrev_b32_e32 v62, 16, v0
	v_cndmask_b32_e64 v13, v21, v22, s4
	v_cmp_u_f32_e64 s4, v17, v17
	v_lshrrev_b32_e32 v47, 16, v13
	v_cndmask_b32_e64 v15, v15, v23, s4
	v_lshrrev_b32_e32 v57, 16, v15
	s_and_saveexec_b32 s18, vcc_lo
	s_cbranch_execz .LBB349_1196
; %bb.1195:                             ;   in Loop: Header=BB349_931 Depth=1
	v_cmp_lt_i32_e64 s4, v72, v32
	v_cndmask_b32_e64 v62, 0, v62, s4
	v_cmp_lt_i32_e64 s4, v79, v32
	v_cndmask_b32_e64 v63, 0, v63, s4
	;; [unrolled: 2-line block ×8, first 2 shown]
.LBB349_1196:                           ;   in Loop: Header=BB349_931 Depth=1
	s_or_b32 exec_lo, exec_lo, s18
	flat_load_dwordx2 v[24:25], v[19:20] offset:1024
	v_mov_b32_e32 v1, 0
	v_mov_b32_e32 v0, 0
	s_waitcnt vmcnt(0) lgkmcnt(0)
	v_cmp_ne_u16_sdwa s4, v24, v14 src0_sel:BYTE_0 src1_sel:DWORD
	s_and_saveexec_b32 s18, s4
	s_cbranch_execz .LBB349_1204
; %bb.1197:                             ;   in Loop: Header=BB349_931 Depth=1
	v_cmp_ne_u16_sdwa s4, v24, v70 src0_sel:BYTE_0 src1_sel:DWORD
	v_bfrev_b32_e32 v0, 1
	s_and_saveexec_b32 s19, s4
	s_cbranch_execz .LBB349_1203
; %bb.1198:                             ;   in Loop: Header=BB349_931 Depth=1
	v_and_b32_e32 v12, 0x7f, v24
	v_mov_b32_e32 v0, 0x7f800001
	s_mov_b32 s20, exec_lo
	v_cmpx_ne_u32_e32 0x7f, v12
	s_cbranch_execz .LBB349_1202
; %bb.1199:                             ;   in Loop: Header=BB349_931 Depth=1
	v_mov_b32_e32 v27, v25
	v_lshrrev_b32_e32 v0, 3, v12
	v_mov_b32_e32 v26, v24
	s_mov_b32 s21, exec_lo
	v_cmpx_gt_u32_e32 8, v12
; %bb.1200:                             ;   in Loop: Header=BB349_931 Depth=1
	v_and_b32_e32 v0, 7, v24
	v_ffbh_u32_e32 v0, v0
	v_min_u32_e32 v0, 32, v0
	v_subrev_nc_u32_e32 v12, 28, v0
	v_sub_nc_u32_e32 v0, 29, v0
	v_lshlrev_b64 v[26:27], v12, v[24:25]
; %bb.1201:                             ;   in Loop: Header=BB349_931 Depth=1
	s_or_b32 exec_lo, exec_lo, s21
	v_lshlrev_b32_e32 v12, 20, v26
	v_lshlrev_b32_e32 v13, 24, v24
	v_lshl_add_u32 v0, v0, 23, 0x3c000000
	v_and_b32_e32 v12, 0x700000, v12
	v_and_b32_e32 v13, 0x80000000, v13
	v_or3_b32 v0, v12, v13, v0
.LBB349_1202:                           ;   in Loop: Header=BB349_931 Depth=1
	s_or_b32 exec_lo, exec_lo, s20
.LBB349_1203:                           ;   in Loop: Header=BB349_931 Depth=1
	s_or_b32 exec_lo, exec_lo, s19
.LBB349_1204:                           ;   in Loop: Header=BB349_931 Depth=1
	s_or_b32 exec_lo, exec_lo, s18
	v_cmp_ne_u16_sdwa s4, v24, v14 src0_sel:BYTE_1 src1_sel:DWORD
	s_and_saveexec_b32 s18, s4
	s_cbranch_execz .LBB349_1212
; %bb.1205:                             ;   in Loop: Header=BB349_931 Depth=1
	v_cmp_ne_u16_sdwa s4, v24, v70 src0_sel:BYTE_1 src1_sel:DWORD
	v_bfrev_b32_e32 v1, 1
	s_and_saveexec_b32 s19, s4
	s_cbranch_execz .LBB349_1211
; %bb.1206:                             ;   in Loop: Header=BB349_931 Depth=1
	v_mov_b32_e32 v1, 0xffff
	s_mov_b32 s20, exec_lo
	v_and_b32_sdwa v13, v1, v24 dst_sel:DWORD dst_unused:UNUSED_PAD src0_sel:DWORD src1_sel:BYTE_1
	v_mov_b32_e32 v1, 0x7f800001
	v_and_b32_e32 v12, 0x7f, v13
	v_cmpx_ne_u32_e32 0x7f, v12
	s_cbranch_execz .LBB349_1210
; %bb.1207:                             ;   in Loop: Header=BB349_931 Depth=1
	v_and_b32_e32 v13, 7, v13
	v_mov_b32_e32 v27, v14
	v_lshrrev_b32_e32 v1, 3, v12
	s_mov_b32 s21, exec_lo
	v_mov_b32_e32 v26, v13
	v_cmpx_gt_u32_e32 8, v12
; %bb.1208:                             ;   in Loop: Header=BB349_931 Depth=1
	v_ffbh_u32_e32 v1, v13
	v_min_u32_e32 v1, 32, v1
	v_subrev_nc_u32_e32 v12, 28, v1
	v_sub_nc_u32_e32 v1, 29, v1
	v_lshlrev_b64 v[12:13], v12, v[13:14]
	v_and_b32_e32 v26, 7, v12
; %bb.1209:                             ;   in Loop: Header=BB349_931 Depth=1
	s_or_b32 exec_lo, exec_lo, s21
	v_lshlrev_b32_e32 v12, 16, v24
	v_lshlrev_b32_e32 v13, 20, v26
	v_lshl_add_u32 v1, v1, 23, 0x3c000000
	v_and_b32_e32 v12, 0x80000000, v12
	v_or3_b32 v1, v13, v12, v1
.LBB349_1210:                           ;   in Loop: Header=BB349_931 Depth=1
	s_or_b32 exec_lo, exec_lo, s20
.LBB349_1211:                           ;   in Loop: Header=BB349_931 Depth=1
	s_or_b32 exec_lo, exec_lo, s19
.LBB349_1212:                           ;   in Loop: Header=BB349_931 Depth=1
	s_or_b32 exec_lo, exec_lo, s18
	v_and_b32_sdwa v13, v24, v80 dst_sel:DWORD dst_unused:UNUSED_PAD src0_sel:WORD_1 src1_sel:DWORD
	v_mov_b32_e32 v15, 0
	v_mov_b32_e32 v12, 0
	s_mov_b32 s18, exec_lo
	v_cmpx_ne_u16_e32 0, v13
	s_cbranch_execz .LBB349_1220
; %bb.1213:                             ;   in Loop: Header=BB349_931 Depth=1
	v_bfrev_b32_e32 v12, 1
	s_mov_b32 s19, exec_lo
	v_cmpx_ne_u16_e32 0x80, v13
	s_cbranch_execz .LBB349_1219
; %bb.1214:                             ;   in Loop: Header=BB349_931 Depth=1
	v_bfe_u32 v16, v24, 16, 7
	v_mov_b32_e32 v12, 0x7f800001
	s_mov_b32 s20, exec_lo
	v_cmpx_ne_u32_e32 0x7f, v16
	s_cbranch_execz .LBB349_1218
; %bb.1215:                             ;   in Loop: Header=BB349_931 Depth=1
	v_mov_b32_e32 v12, 7
	s_mov_b32 s21, exec_lo
	v_and_b32_sdwa v13, v24, v12 dst_sel:DWORD dst_unused:UNUSED_PAD src0_sel:WORD_1 src1_sel:DWORD
	v_mov_b32_e32 v27, v14
	v_lshrrev_b32_e32 v12, 3, v16
	v_mov_b32_e32 v26, v13
	v_cmpx_gt_u32_e32 8, v16
; %bb.1216:                             ;   in Loop: Header=BB349_931 Depth=1
	v_ffbh_u32_e32 v12, v13
	v_min_u32_e32 v12, 32, v12
	v_subrev_nc_u32_e32 v16, 28, v12
	v_sub_nc_u32_e32 v12, 29, v12
	v_lshlrev_b64 v[16:17], v16, v[13:14]
	v_and_b32_e32 v26, 7, v16
; %bb.1217:                             ;   in Loop: Header=BB349_931 Depth=1
	s_or_b32 exec_lo, exec_lo, s21
	v_mov_b32_e32 v13, 24
	v_lshlrev_b32_e32 v16, 20, v26
	v_lshl_add_u32 v12, v12, 23, 0x3c000000
	v_lshlrev_b32_sdwa v13, v13, v24 dst_sel:DWORD dst_unused:UNUSED_PAD src0_sel:DWORD src1_sel:WORD_1
	v_and_b32_e32 v13, 0x80000000, v13
	v_or3_b32 v12, v16, v13, v12
.LBB349_1218:                           ;   in Loop: Header=BB349_931 Depth=1
	s_or_b32 exec_lo, exec_lo, s20
.LBB349_1219:                           ;   in Loop: Header=BB349_931 Depth=1
	s_or_b32 exec_lo, exec_lo, s19
.LBB349_1220:                           ;   in Loop: Header=BB349_931 Depth=1
	s_or_b32 exec_lo, exec_lo, s18
	s_mov_b32 s18, exec_lo
	v_cmpx_lt_u32_e32 0xffffff, v24
	s_cbranch_execz .LBB349_1228
; %bb.1221:                             ;   in Loop: Header=BB349_931 Depth=1
	v_cmp_ne_u32_sdwa s4, v24, v70 src0_sel:BYTE_3 src1_sel:DWORD
	v_bfrev_b32_e32 v15, 1
	s_and_saveexec_b32 s19, s4
	s_cbranch_execz .LBB349_1227
; %bb.1222:                             ;   in Loop: Header=BB349_931 Depth=1
	v_bfe_u32 v16, v24, 24, 7
	v_mov_b32_e32 v15, 0x7f800001
	s_mov_b32 s20, exec_lo
	v_cmpx_ne_u32_e32 0x7f, v16
	s_cbranch_execz .LBB349_1226
; %bb.1223:                             ;   in Loop: Header=BB349_931 Depth=1
	v_mov_b32_e32 v13, 7
	v_lshrrev_b32_e32 v15, 3, v16
	s_mov_b32 s21, exec_lo
	v_and_b32_sdwa v13, v24, v13 dst_sel:DWORD dst_unused:UNUSED_PAD src0_sel:BYTE_3 src1_sel:DWORD
	v_mov_b32_e32 v27, v14
	v_mov_b32_e32 v26, v13
	v_cmpx_gt_u32_e32 8, v16
; %bb.1224:                             ;   in Loop: Header=BB349_931 Depth=1
	v_ffbh_u32_e32 v15, v13
	v_min_u32_e32 v15, 32, v15
	v_subrev_nc_u32_e32 v16, 28, v15
	v_sub_nc_u32_e32 v15, 29, v15
	v_lshlrev_b64 v[16:17], v16, v[13:14]
	v_and_b32_e32 v26, 7, v16
; %bb.1225:                             ;   in Loop: Header=BB349_931 Depth=1
	s_or_b32 exec_lo, exec_lo, s21
	v_mov_b32_e32 v13, 24
	v_lshlrev_b32_e32 v16, 20, v26
	v_lshl_add_u32 v15, v15, 23, 0x3c000000
	v_lshlrev_b32_sdwa v13, v13, v24 dst_sel:DWORD dst_unused:UNUSED_PAD src0_sel:DWORD src1_sel:BYTE_3
	v_and_b32_e32 v13, 0x80000000, v13
	v_or3_b32 v15, v16, v13, v15
.LBB349_1226:                           ;   in Loop: Header=BB349_931 Depth=1
	s_or_b32 exec_lo, exec_lo, s20
.LBB349_1227:                           ;   in Loop: Header=BB349_931 Depth=1
	s_or_b32 exec_lo, exec_lo, s19
.LBB349_1228:                           ;   in Loop: Header=BB349_931 Depth=1
	s_or_b32 exec_lo, exec_lo, s18
	v_mov_b32_e32 v13, v25
	v_cmp_ne_u16_sdwa s4, v25, v14 src0_sel:BYTE_0 src1_sel:DWORD
	v_mov_b32_e32 v17, 0
	v_mov_b32_e32 v16, 0
	s_and_saveexec_b32 s18, s4
	s_cbranch_execz .LBB349_1236
; %bb.1229:                             ;   in Loop: Header=BB349_931 Depth=1
	v_cmp_ne_u16_sdwa s4, v25, v70 src0_sel:BYTE_0 src1_sel:DWORD
	v_bfrev_b32_e32 v16, 1
	s_and_saveexec_b32 s19, s4
	s_cbranch_execz .LBB349_1235
; %bb.1230:                             ;   in Loop: Header=BB349_931 Depth=1
	v_and_b32_e32 v18, 0x7f, v25
	v_mov_b32_e32 v16, 0x7f800001
	s_mov_b32 s20, exec_lo
	v_cmpx_ne_u32_e32 0x7f, v18
	s_cbranch_execz .LBB349_1234
; %bb.1231:                             ;   in Loop: Header=BB349_931 Depth=1
	v_mov_b32_e32 v27, v14
	v_lshrrev_b32_e32 v16, 3, v18
	v_mov_b32_e32 v26, v13
	s_mov_b32 s21, exec_lo
	v_cmpx_gt_u32_e32 8, v18
; %bb.1232:                             ;   in Loop: Header=BB349_931 Depth=1
	v_and_b32_e32 v16, 7, v25
	v_ffbh_u32_e32 v16, v16
	v_min_u32_e32 v16, 32, v16
	v_subrev_nc_u32_e32 v18, 28, v16
	v_sub_nc_u32_e32 v16, 29, v16
	v_lshlrev_b64 v[26:27], v18, v[13:14]
; %bb.1233:                             ;   in Loop: Header=BB349_931 Depth=1
	s_or_b32 exec_lo, exec_lo, s21
	v_lshlrev_b32_e32 v18, 20, v26
	v_lshlrev_b32_e32 v21, 24, v13
	v_lshl_add_u32 v16, v16, 23, 0x3c000000
	v_and_b32_e32 v18, 0x700000, v18
	v_and_b32_e32 v21, 0x80000000, v21
	v_or3_b32 v16, v18, v21, v16
.LBB349_1234:                           ;   in Loop: Header=BB349_931 Depth=1
	s_or_b32 exec_lo, exec_lo, s20
.LBB349_1235:                           ;   in Loop: Header=BB349_931 Depth=1
	s_or_b32 exec_lo, exec_lo, s19
.LBB349_1236:                           ;   in Loop: Header=BB349_931 Depth=1
	s_or_b32 exec_lo, exec_lo, s18
	v_cmp_ne_u16_sdwa s4, v13, v14 src0_sel:BYTE_1 src1_sel:DWORD
	s_and_saveexec_b32 s18, s4
	s_cbranch_execz .LBB349_1244
; %bb.1237:                             ;   in Loop: Header=BB349_931 Depth=1
	v_cmp_ne_u16_sdwa s4, v13, v70 src0_sel:BYTE_1 src1_sel:DWORD
	v_bfrev_b32_e32 v17, 1
	s_and_saveexec_b32 s19, s4
	s_cbranch_execz .LBB349_1243
; %bb.1238:                             ;   in Loop: Header=BB349_931 Depth=1
	v_mov_b32_e32 v17, 0xffff
	s_mov_b32 s20, exec_lo
	v_and_b32_sdwa v21, v17, v13 dst_sel:DWORD dst_unused:UNUSED_PAD src0_sel:DWORD src1_sel:BYTE_1
	v_mov_b32_e32 v17, 0x7f800001
	v_and_b32_e32 v18, 0x7f, v21
	v_cmpx_ne_u32_e32 0x7f, v18
	s_cbranch_execz .LBB349_1242
; %bb.1239:                             ;   in Loop: Header=BB349_931 Depth=1
	v_and_b32_e32 v26, 7, v21
	v_mov_b32_e32 v27, v14
	v_lshrrev_b32_e32 v17, 3, v18
	s_mov_b32 s21, exec_lo
	v_cmpx_gt_u32_e32 8, v18
; %bb.1240:                             ;   in Loop: Header=BB349_931 Depth=1
	v_ffbh_u32_e32 v17, v26
	v_min_u32_e32 v17, 32, v17
	v_subrev_nc_u32_e32 v18, 28, v17
	v_sub_nc_u32_e32 v17, 29, v17
	v_lshlrev_b64 v[21:22], v18, v[26:27]
	v_and_b32_e32 v26, 7, v21
; %bb.1241:                             ;   in Loop: Header=BB349_931 Depth=1
	s_or_b32 exec_lo, exec_lo, s21
	v_lshlrev_b32_e32 v13, 16, v13
	v_lshlrev_b32_e32 v18, 20, v26
	v_lshl_add_u32 v17, v17, 23, 0x3c000000
	v_and_b32_e32 v13, 0x80000000, v13
	v_or3_b32 v17, v18, v13, v17
.LBB349_1242:                           ;   in Loop: Header=BB349_931 Depth=1
	s_or_b32 exec_lo, exec_lo, s20
.LBB349_1243:                           ;   in Loop: Header=BB349_931 Depth=1
	s_or_b32 exec_lo, exec_lo, s19
.LBB349_1244:                           ;   in Loop: Header=BB349_931 Depth=1
	s_or_b32 exec_lo, exec_lo, s18
	v_and_b32_sdwa v13, v25, v80 dst_sel:DWORD dst_unused:UNUSED_PAD src0_sel:WORD_1 src1_sel:DWORD
	v_mov_b32_e32 v18, 0
	v_mov_b32_e32 v21, 0
	s_mov_b32 s18, exec_lo
	v_cmpx_ne_u16_e32 0, v13
	s_cbranch_execz .LBB349_1252
; %bb.1245:                             ;   in Loop: Header=BB349_931 Depth=1
	v_bfrev_b32_e32 v21, 1
	s_mov_b32 s19, exec_lo
	v_cmpx_ne_u16_e32 0x80, v13
	s_cbranch_execz .LBB349_1251
; %bb.1246:                             ;   in Loop: Header=BB349_931 Depth=1
	v_bfe_u32 v22, v25, 16, 7
	v_mov_b32_e32 v21, 0x7f800001
	s_mov_b32 s20, exec_lo
	v_cmpx_ne_u32_e32 0x7f, v22
	s_cbranch_execz .LBB349_1250
; %bb.1247:                             ;   in Loop: Header=BB349_931 Depth=1
	v_mov_b32_e32 v13, 7
	v_lshrrev_b32_e32 v21, 3, v22
	s_mov_b32 s21, exec_lo
	v_and_b32_sdwa v13, v25, v13 dst_sel:DWORD dst_unused:UNUSED_PAD src0_sel:WORD_1 src1_sel:DWORD
	v_mov_b32_e32 v27, v14
	v_mov_b32_e32 v26, v13
	v_cmpx_gt_u32_e32 8, v22
; %bb.1248:                             ;   in Loop: Header=BB349_931 Depth=1
	v_ffbh_u32_e32 v21, v13
	v_min_u32_e32 v21, 32, v21
	v_subrev_nc_u32_e32 v22, 28, v21
	v_sub_nc_u32_e32 v21, 29, v21
	v_lshlrev_b64 v[22:23], v22, v[13:14]
	v_and_b32_e32 v26, 7, v22
; %bb.1249:                             ;   in Loop: Header=BB349_931 Depth=1
	s_or_b32 exec_lo, exec_lo, s21
	v_mov_b32_e32 v13, 24
	v_lshlrev_b32_e32 v22, 20, v26
	v_lshl_add_u32 v21, v21, 23, 0x3c000000
	v_lshlrev_b32_sdwa v13, v13, v25 dst_sel:DWORD dst_unused:UNUSED_PAD src0_sel:DWORD src1_sel:WORD_1
	v_and_b32_e32 v13, 0x80000000, v13
	v_or3_b32 v21, v22, v13, v21
.LBB349_1250:                           ;   in Loop: Header=BB349_931 Depth=1
	s_or_b32 exec_lo, exec_lo, s20
.LBB349_1251:                           ;   in Loop: Header=BB349_931 Depth=1
	s_or_b32 exec_lo, exec_lo, s19
.LBB349_1252:                           ;   in Loop: Header=BB349_931 Depth=1
	s_or_b32 exec_lo, exec_lo, s18
	s_mov_b32 s18, exec_lo
	v_cmpx_lt_u64_e64 s[6:7], v[24:25]
	s_cbranch_execz .LBB349_1260
; %bb.1253:                             ;   in Loop: Header=BB349_931 Depth=1
	v_cmp_ne_u32_sdwa s4, v25, v70 src0_sel:BYTE_3 src1_sel:DWORD
	v_bfrev_b32_e32 v18, 1
	s_and_saveexec_b32 s19, s4
	s_cbranch_execz .LBB349_1259
; %bb.1254:                             ;   in Loop: Header=BB349_931 Depth=1
	v_bfe_u32 v22, v25, 24, 7
	v_mov_b32_e32 v18, 0x7f800001
	s_mov_b32 s20, exec_lo
	v_cmpx_ne_u32_e32 0x7f, v22
	s_cbranch_execz .LBB349_1258
; %bb.1255:                             ;   in Loop: Header=BB349_931 Depth=1
	v_mov_b32_e32 v13, 7
	v_lshrrev_b32_e32 v18, 3, v22
	s_mov_b32 s21, exec_lo
	v_and_b32_sdwa v13, v25, v13 dst_sel:DWORD dst_unused:UNUSED_PAD src0_sel:BYTE_3 src1_sel:DWORD
	v_mov_b32_e32 v27, v14
	v_mov_b32_e32 v26, v13
	v_cmpx_gt_u32_e32 8, v22
; %bb.1256:                             ;   in Loop: Header=BB349_931 Depth=1
	v_ffbh_u32_e32 v18, v13
	v_min_u32_e32 v18, 32, v18
	v_subrev_nc_u32_e32 v22, 28, v18
	v_sub_nc_u32_e32 v18, 29, v18
	v_lshlrev_b64 v[22:23], v22, v[13:14]
	v_and_b32_e32 v26, 7, v22
; %bb.1257:                             ;   in Loop: Header=BB349_931 Depth=1
	s_or_b32 exec_lo, exec_lo, s21
	v_mov_b32_e32 v13, 24
	v_lshlrev_b32_e32 v22, 20, v26
	v_lshl_add_u32 v18, v18, 23, 0x3c000000
	v_lshlrev_b32_sdwa v13, v13, v25 dst_sel:DWORD dst_unused:UNUSED_PAD src0_sel:DWORD src1_sel:BYTE_3
	v_and_b32_e32 v13, 0x80000000, v13
	v_or3_b32 v18, v22, v13, v18
.LBB349_1258:                           ;   in Loop: Header=BB349_931 Depth=1
	s_or_b32 exec_lo, exec_lo, s20
.LBB349_1259:                           ;   in Loop: Header=BB349_931 Depth=1
	s_or_b32 exec_lo, exec_lo, s19
.LBB349_1260:                           ;   in Loop: Header=BB349_931 Depth=1
	s_or_b32 exec_lo, exec_lo, s18
	v_mul_f32_e32 v13, v56, v17
	v_mul_f32_e32 v16, v56, v16
	;; [unrolled: 1-line block ×5, first 2 shown]
	v_bfe_u32 v17, v13, 16, 1
	v_or_b32_e32 v22, 0x400000, v13
	v_bfe_u32 v23, v16, 16, 1
	v_cmp_u_f32_e64 s4, v13, v13
	v_or_b32_e32 v24, 0x400000, v16
	v_add3_u32 v17, v17, v13, 0x7fff
	v_bfe_u32 v25, v15, 16, 1
	v_add3_u32 v23, v23, v16, 0x7fff
	v_or_b32_e32 v26, 0x400000, v15
	v_bfe_u32 v27, v12, 16, 1
	v_cndmask_b32_e64 v13, v17, v22, s4
	v_cmp_u_f32_e64 s4, v16, v16
	v_add3_u32 v25, v25, v15, 0x7fff
	v_or_b32_e32 v17, 0x400000, v12
	v_mul_f32_e32 v0, v56, v0
	v_lshrrev_b32_e32 v90, 16, v13
	v_cndmask_b32_e64 v16, v23, v24, s4
	v_cmp_u_f32_e64 s4, v15, v15
	v_add3_u32 v13, v27, v12, 0x7fff
	v_lshrrev_b32_e32 v89, 16, v16
	v_cndmask_b32_e64 v15, v25, v26, s4
	v_cmp_u_f32_e64 s4, v12, v12
	v_or_b32_e32 v16, 0x400000, v1
	v_lshrrev_b32_e32 v92, 16, v15
	v_bfe_u32 v15, v1, 16, 1
	v_cndmask_b32_e64 v12, v13, v17, s4
	v_mul_f32_e32 v13, v56, v21
	v_mul_f32_e32 v17, v56, v18
	v_bfe_u32 v18, v0, 16, 1
	v_add3_u32 v15, v15, v1, 0x7fff
	v_cmp_u_f32_e64 s4, v1, v1
	v_bfe_u32 v21, v13, 16, 1
	v_or_b32_e32 v22, 0x400000, v13
	v_or_b32_e32 v23, 0x400000, v17
	v_lshrrev_b32_e32 v93, 16, v12
	v_cndmask_b32_e64 v1, v15, v16, s4
	v_add3_u32 v16, v18, v0, 0x7fff
	v_or_b32_e32 v18, 0x400000, v0
	v_cmp_u_f32_e64 s4, v0, v0
	v_bfe_u32 v15, v17, 16, 1
	v_add3_u32 v21, v21, v13, 0x7fff
	v_lshrrev_b32_e32 v95, 16, v1
	v_cndmask_b32_e64 v0, v16, v18, s4
	v_cmp_u_f32_e64 s4, v13, v13
	v_add3_u32 v15, v15, v17, 0x7fff
	v_lshrrev_b32_e32 v94, 16, v0
	v_cndmask_b32_e64 v13, v21, v22, s4
	v_cmp_u_f32_e64 s4, v17, v17
	v_lshrrev_b32_e32 v88, 16, v13
	v_cndmask_b32_e64 v15, v15, v23, s4
	v_lshrrev_b32_e32 v91, 16, v15
	s_and_saveexec_b32 s18, vcc_lo
	s_cbranch_execz .LBB349_1262
; %bb.1261:                             ;   in Loop: Header=BB349_931 Depth=1
	v_cmp_lt_i32_e64 s4, v72, v32
	v_cndmask_b32_e64 v94, 0, v94, s4
	v_cmp_lt_i32_e64 s4, v79, v32
	v_cndmask_b32_e64 v95, 0, v95, s4
	;; [unrolled: 2-line block ×8, first 2 shown]
.LBB349_1262:                           ;   in Loop: Header=BB349_931 Depth=1
	s_or_b32 exec_lo, exec_lo, s18
	flat_load_dwordx2 v[24:25], v[19:20] offset:1280
	v_mov_b32_e32 v1, 0
	v_mov_b32_e32 v0, 0
	s_waitcnt vmcnt(0) lgkmcnt(0)
	v_cmp_ne_u16_sdwa s4, v24, v14 src0_sel:BYTE_0 src1_sel:DWORD
	s_and_saveexec_b32 s18, s4
	s_cbranch_execz .LBB349_1270
; %bb.1263:                             ;   in Loop: Header=BB349_931 Depth=1
	v_cmp_ne_u16_sdwa s4, v24, v70 src0_sel:BYTE_0 src1_sel:DWORD
	v_bfrev_b32_e32 v0, 1
	s_and_saveexec_b32 s19, s4
	s_cbranch_execz .LBB349_1269
; %bb.1264:                             ;   in Loop: Header=BB349_931 Depth=1
	v_and_b32_e32 v12, 0x7f, v24
	v_mov_b32_e32 v0, 0x7f800001
	s_mov_b32 s20, exec_lo
	v_cmpx_ne_u32_e32 0x7f, v12
	s_cbranch_execz .LBB349_1268
; %bb.1265:                             ;   in Loop: Header=BB349_931 Depth=1
	v_mov_b32_e32 v27, v25
	v_lshrrev_b32_e32 v0, 3, v12
	v_mov_b32_e32 v26, v24
	s_mov_b32 s21, exec_lo
	v_cmpx_gt_u32_e32 8, v12
; %bb.1266:                             ;   in Loop: Header=BB349_931 Depth=1
	v_and_b32_e32 v0, 7, v24
	v_ffbh_u32_e32 v0, v0
	v_min_u32_e32 v0, 32, v0
	v_subrev_nc_u32_e32 v12, 28, v0
	v_sub_nc_u32_e32 v0, 29, v0
	v_lshlrev_b64 v[26:27], v12, v[24:25]
; %bb.1267:                             ;   in Loop: Header=BB349_931 Depth=1
	s_or_b32 exec_lo, exec_lo, s21
	v_lshlrev_b32_e32 v12, 20, v26
	v_lshlrev_b32_e32 v13, 24, v24
	v_lshl_add_u32 v0, v0, 23, 0x3c000000
	v_and_b32_e32 v12, 0x700000, v12
	v_and_b32_e32 v13, 0x80000000, v13
	v_or3_b32 v0, v12, v13, v0
.LBB349_1268:                           ;   in Loop: Header=BB349_931 Depth=1
	s_or_b32 exec_lo, exec_lo, s20
.LBB349_1269:                           ;   in Loop: Header=BB349_931 Depth=1
	s_or_b32 exec_lo, exec_lo, s19
.LBB349_1270:                           ;   in Loop: Header=BB349_931 Depth=1
	s_or_b32 exec_lo, exec_lo, s18
	v_cmp_ne_u16_sdwa s4, v24, v14 src0_sel:BYTE_1 src1_sel:DWORD
	s_and_saveexec_b32 s18, s4
	s_cbranch_execz .LBB349_1278
; %bb.1271:                             ;   in Loop: Header=BB349_931 Depth=1
	v_cmp_ne_u16_sdwa s4, v24, v70 src0_sel:BYTE_1 src1_sel:DWORD
	v_bfrev_b32_e32 v1, 1
	s_and_saveexec_b32 s19, s4
	s_cbranch_execz .LBB349_1277
; %bb.1272:                             ;   in Loop: Header=BB349_931 Depth=1
	v_mov_b32_e32 v1, 0xffff
	s_mov_b32 s20, exec_lo
	v_and_b32_sdwa v13, v1, v24 dst_sel:DWORD dst_unused:UNUSED_PAD src0_sel:DWORD src1_sel:BYTE_1
	v_mov_b32_e32 v1, 0x7f800001
	v_and_b32_e32 v12, 0x7f, v13
	v_cmpx_ne_u32_e32 0x7f, v12
	s_cbranch_execz .LBB349_1276
; %bb.1273:                             ;   in Loop: Header=BB349_931 Depth=1
	v_and_b32_e32 v13, 7, v13
	v_mov_b32_e32 v27, v14
	v_lshrrev_b32_e32 v1, 3, v12
	s_mov_b32 s21, exec_lo
	v_mov_b32_e32 v26, v13
	v_cmpx_gt_u32_e32 8, v12
; %bb.1274:                             ;   in Loop: Header=BB349_931 Depth=1
	v_ffbh_u32_e32 v1, v13
	v_min_u32_e32 v1, 32, v1
	v_subrev_nc_u32_e32 v12, 28, v1
	v_sub_nc_u32_e32 v1, 29, v1
	v_lshlrev_b64 v[12:13], v12, v[13:14]
	v_and_b32_e32 v26, 7, v12
; %bb.1275:                             ;   in Loop: Header=BB349_931 Depth=1
	s_or_b32 exec_lo, exec_lo, s21
	v_lshlrev_b32_e32 v12, 16, v24
	v_lshlrev_b32_e32 v13, 20, v26
	v_lshl_add_u32 v1, v1, 23, 0x3c000000
	v_and_b32_e32 v12, 0x80000000, v12
	v_or3_b32 v1, v13, v12, v1
.LBB349_1276:                           ;   in Loop: Header=BB349_931 Depth=1
	s_or_b32 exec_lo, exec_lo, s20
.LBB349_1277:                           ;   in Loop: Header=BB349_931 Depth=1
	s_or_b32 exec_lo, exec_lo, s19
.LBB349_1278:                           ;   in Loop: Header=BB349_931 Depth=1
	s_or_b32 exec_lo, exec_lo, s18
	v_and_b32_sdwa v13, v24, v80 dst_sel:DWORD dst_unused:UNUSED_PAD src0_sel:WORD_1 src1_sel:DWORD
	v_mov_b32_e32 v15, 0
	v_mov_b32_e32 v12, 0
	s_mov_b32 s18, exec_lo
	v_cmpx_ne_u16_e32 0, v13
	s_cbranch_execz .LBB349_1286
; %bb.1279:                             ;   in Loop: Header=BB349_931 Depth=1
	v_bfrev_b32_e32 v12, 1
	s_mov_b32 s19, exec_lo
	v_cmpx_ne_u16_e32 0x80, v13
	s_cbranch_execz .LBB349_1285
; %bb.1280:                             ;   in Loop: Header=BB349_931 Depth=1
	v_bfe_u32 v16, v24, 16, 7
	v_mov_b32_e32 v12, 0x7f800001
	s_mov_b32 s20, exec_lo
	v_cmpx_ne_u32_e32 0x7f, v16
	s_cbranch_execz .LBB349_1284
; %bb.1281:                             ;   in Loop: Header=BB349_931 Depth=1
	v_mov_b32_e32 v12, 7
	s_mov_b32 s21, exec_lo
	v_and_b32_sdwa v13, v24, v12 dst_sel:DWORD dst_unused:UNUSED_PAD src0_sel:WORD_1 src1_sel:DWORD
	v_mov_b32_e32 v27, v14
	v_lshrrev_b32_e32 v12, 3, v16
	v_mov_b32_e32 v26, v13
	v_cmpx_gt_u32_e32 8, v16
; %bb.1282:                             ;   in Loop: Header=BB349_931 Depth=1
	v_ffbh_u32_e32 v12, v13
	v_min_u32_e32 v12, 32, v12
	v_subrev_nc_u32_e32 v16, 28, v12
	v_sub_nc_u32_e32 v12, 29, v12
	v_lshlrev_b64 v[16:17], v16, v[13:14]
	v_and_b32_e32 v26, 7, v16
; %bb.1283:                             ;   in Loop: Header=BB349_931 Depth=1
	s_or_b32 exec_lo, exec_lo, s21
	v_mov_b32_e32 v13, 24
	v_lshlrev_b32_e32 v16, 20, v26
	v_lshl_add_u32 v12, v12, 23, 0x3c000000
	v_lshlrev_b32_sdwa v13, v13, v24 dst_sel:DWORD dst_unused:UNUSED_PAD src0_sel:DWORD src1_sel:WORD_1
	v_and_b32_e32 v13, 0x80000000, v13
	v_or3_b32 v12, v16, v13, v12
.LBB349_1284:                           ;   in Loop: Header=BB349_931 Depth=1
	s_or_b32 exec_lo, exec_lo, s20
.LBB349_1285:                           ;   in Loop: Header=BB349_931 Depth=1
	s_or_b32 exec_lo, exec_lo, s19
.LBB349_1286:                           ;   in Loop: Header=BB349_931 Depth=1
	s_or_b32 exec_lo, exec_lo, s18
	s_mov_b32 s18, exec_lo
	v_cmpx_lt_u32_e32 0xffffff, v24
	s_cbranch_execz .LBB349_1294
; %bb.1287:                             ;   in Loop: Header=BB349_931 Depth=1
	v_cmp_ne_u32_sdwa s4, v24, v70 src0_sel:BYTE_3 src1_sel:DWORD
	v_bfrev_b32_e32 v15, 1
	s_and_saveexec_b32 s19, s4
	s_cbranch_execz .LBB349_1293
; %bb.1288:                             ;   in Loop: Header=BB349_931 Depth=1
	v_bfe_u32 v16, v24, 24, 7
	v_mov_b32_e32 v15, 0x7f800001
	s_mov_b32 s20, exec_lo
	v_cmpx_ne_u32_e32 0x7f, v16
	s_cbranch_execz .LBB349_1292
; %bb.1289:                             ;   in Loop: Header=BB349_931 Depth=1
	v_mov_b32_e32 v13, 7
	v_lshrrev_b32_e32 v15, 3, v16
	s_mov_b32 s21, exec_lo
	v_and_b32_sdwa v13, v24, v13 dst_sel:DWORD dst_unused:UNUSED_PAD src0_sel:BYTE_3 src1_sel:DWORD
	v_mov_b32_e32 v27, v14
	v_mov_b32_e32 v26, v13
	v_cmpx_gt_u32_e32 8, v16
; %bb.1290:                             ;   in Loop: Header=BB349_931 Depth=1
	v_ffbh_u32_e32 v15, v13
	v_min_u32_e32 v15, 32, v15
	v_subrev_nc_u32_e32 v16, 28, v15
	v_sub_nc_u32_e32 v15, 29, v15
	v_lshlrev_b64 v[16:17], v16, v[13:14]
	v_and_b32_e32 v26, 7, v16
; %bb.1291:                             ;   in Loop: Header=BB349_931 Depth=1
	s_or_b32 exec_lo, exec_lo, s21
	v_mov_b32_e32 v13, 24
	v_lshlrev_b32_e32 v16, 20, v26
	v_lshl_add_u32 v15, v15, 23, 0x3c000000
	v_lshlrev_b32_sdwa v13, v13, v24 dst_sel:DWORD dst_unused:UNUSED_PAD src0_sel:DWORD src1_sel:BYTE_3
	v_and_b32_e32 v13, 0x80000000, v13
	v_or3_b32 v15, v16, v13, v15
.LBB349_1292:                           ;   in Loop: Header=BB349_931 Depth=1
	s_or_b32 exec_lo, exec_lo, s20
.LBB349_1293:                           ;   in Loop: Header=BB349_931 Depth=1
	s_or_b32 exec_lo, exec_lo, s19
.LBB349_1294:                           ;   in Loop: Header=BB349_931 Depth=1
	s_or_b32 exec_lo, exec_lo, s18
	v_mov_b32_e32 v13, v25
	v_cmp_ne_u16_sdwa s4, v25, v14 src0_sel:BYTE_0 src1_sel:DWORD
	v_mov_b32_e32 v17, 0
	v_mov_b32_e32 v16, 0
	s_and_saveexec_b32 s18, s4
	s_cbranch_execz .LBB349_1302
; %bb.1295:                             ;   in Loop: Header=BB349_931 Depth=1
	v_cmp_ne_u16_sdwa s4, v25, v70 src0_sel:BYTE_0 src1_sel:DWORD
	v_bfrev_b32_e32 v16, 1
	s_and_saveexec_b32 s19, s4
	s_cbranch_execz .LBB349_1301
; %bb.1296:                             ;   in Loop: Header=BB349_931 Depth=1
	v_and_b32_e32 v18, 0x7f, v25
	v_mov_b32_e32 v16, 0x7f800001
	s_mov_b32 s20, exec_lo
	v_cmpx_ne_u32_e32 0x7f, v18
	s_cbranch_execz .LBB349_1300
; %bb.1297:                             ;   in Loop: Header=BB349_931 Depth=1
	v_mov_b32_e32 v27, v14
	v_lshrrev_b32_e32 v16, 3, v18
	v_mov_b32_e32 v26, v13
	s_mov_b32 s21, exec_lo
	v_cmpx_gt_u32_e32 8, v18
; %bb.1298:                             ;   in Loop: Header=BB349_931 Depth=1
	v_and_b32_e32 v16, 7, v25
	v_ffbh_u32_e32 v16, v16
	v_min_u32_e32 v16, 32, v16
	v_subrev_nc_u32_e32 v18, 28, v16
	v_sub_nc_u32_e32 v16, 29, v16
	v_lshlrev_b64 v[26:27], v18, v[13:14]
; %bb.1299:                             ;   in Loop: Header=BB349_931 Depth=1
	s_or_b32 exec_lo, exec_lo, s21
	v_lshlrev_b32_e32 v18, 20, v26
	v_lshlrev_b32_e32 v21, 24, v13
	v_lshl_add_u32 v16, v16, 23, 0x3c000000
	v_and_b32_e32 v18, 0x700000, v18
	v_and_b32_e32 v21, 0x80000000, v21
	v_or3_b32 v16, v18, v21, v16
.LBB349_1300:                           ;   in Loop: Header=BB349_931 Depth=1
	s_or_b32 exec_lo, exec_lo, s20
.LBB349_1301:                           ;   in Loop: Header=BB349_931 Depth=1
	s_or_b32 exec_lo, exec_lo, s19
.LBB349_1302:                           ;   in Loop: Header=BB349_931 Depth=1
	s_or_b32 exec_lo, exec_lo, s18
	v_cmp_ne_u16_sdwa s4, v13, v14 src0_sel:BYTE_1 src1_sel:DWORD
	s_and_saveexec_b32 s18, s4
	s_cbranch_execz .LBB349_1310
; %bb.1303:                             ;   in Loop: Header=BB349_931 Depth=1
	v_cmp_ne_u16_sdwa s4, v13, v70 src0_sel:BYTE_1 src1_sel:DWORD
	v_bfrev_b32_e32 v17, 1
	s_and_saveexec_b32 s19, s4
	s_cbranch_execz .LBB349_1309
; %bb.1304:                             ;   in Loop: Header=BB349_931 Depth=1
	v_mov_b32_e32 v17, 0xffff
	s_mov_b32 s20, exec_lo
	v_and_b32_sdwa v21, v17, v13 dst_sel:DWORD dst_unused:UNUSED_PAD src0_sel:DWORD src1_sel:BYTE_1
	v_mov_b32_e32 v17, 0x7f800001
	v_and_b32_e32 v18, 0x7f, v21
	v_cmpx_ne_u32_e32 0x7f, v18
	s_cbranch_execz .LBB349_1308
; %bb.1305:                             ;   in Loop: Header=BB349_931 Depth=1
	v_and_b32_e32 v26, 7, v21
	v_mov_b32_e32 v27, v14
	v_lshrrev_b32_e32 v17, 3, v18
	s_mov_b32 s21, exec_lo
	v_cmpx_gt_u32_e32 8, v18
; %bb.1306:                             ;   in Loop: Header=BB349_931 Depth=1
	v_ffbh_u32_e32 v17, v26
	v_min_u32_e32 v17, 32, v17
	v_subrev_nc_u32_e32 v18, 28, v17
	v_sub_nc_u32_e32 v17, 29, v17
	v_lshlrev_b64 v[21:22], v18, v[26:27]
	v_and_b32_e32 v26, 7, v21
; %bb.1307:                             ;   in Loop: Header=BB349_931 Depth=1
	s_or_b32 exec_lo, exec_lo, s21
	v_lshlrev_b32_e32 v13, 16, v13
	v_lshlrev_b32_e32 v18, 20, v26
	v_lshl_add_u32 v17, v17, 23, 0x3c000000
	v_and_b32_e32 v13, 0x80000000, v13
	v_or3_b32 v17, v18, v13, v17
.LBB349_1308:                           ;   in Loop: Header=BB349_931 Depth=1
	s_or_b32 exec_lo, exec_lo, s20
.LBB349_1309:                           ;   in Loop: Header=BB349_931 Depth=1
	s_or_b32 exec_lo, exec_lo, s19
.LBB349_1310:                           ;   in Loop: Header=BB349_931 Depth=1
	s_or_b32 exec_lo, exec_lo, s18
	v_and_b32_sdwa v13, v25, v80 dst_sel:DWORD dst_unused:UNUSED_PAD src0_sel:WORD_1 src1_sel:DWORD
	v_mov_b32_e32 v18, 0
	v_mov_b32_e32 v21, 0
	s_mov_b32 s18, exec_lo
	v_cmpx_ne_u16_e32 0, v13
	s_cbranch_execz .LBB349_1318
; %bb.1311:                             ;   in Loop: Header=BB349_931 Depth=1
	v_bfrev_b32_e32 v21, 1
	s_mov_b32 s19, exec_lo
	v_cmpx_ne_u16_e32 0x80, v13
	s_cbranch_execz .LBB349_1317
; %bb.1312:                             ;   in Loop: Header=BB349_931 Depth=1
	v_bfe_u32 v22, v25, 16, 7
	v_mov_b32_e32 v21, 0x7f800001
	s_mov_b32 s20, exec_lo
	v_cmpx_ne_u32_e32 0x7f, v22
	s_cbranch_execz .LBB349_1316
; %bb.1313:                             ;   in Loop: Header=BB349_931 Depth=1
	v_mov_b32_e32 v13, 7
	v_lshrrev_b32_e32 v21, 3, v22
	s_mov_b32 s21, exec_lo
	v_and_b32_sdwa v13, v25, v13 dst_sel:DWORD dst_unused:UNUSED_PAD src0_sel:WORD_1 src1_sel:DWORD
	v_mov_b32_e32 v27, v14
	v_mov_b32_e32 v26, v13
	v_cmpx_gt_u32_e32 8, v22
; %bb.1314:                             ;   in Loop: Header=BB349_931 Depth=1
	v_ffbh_u32_e32 v21, v13
	v_min_u32_e32 v21, 32, v21
	v_subrev_nc_u32_e32 v22, 28, v21
	v_sub_nc_u32_e32 v21, 29, v21
	v_lshlrev_b64 v[22:23], v22, v[13:14]
	v_and_b32_e32 v26, 7, v22
; %bb.1315:                             ;   in Loop: Header=BB349_931 Depth=1
	s_or_b32 exec_lo, exec_lo, s21
	v_mov_b32_e32 v13, 24
	v_lshlrev_b32_e32 v22, 20, v26
	v_lshl_add_u32 v21, v21, 23, 0x3c000000
	v_lshlrev_b32_sdwa v13, v13, v25 dst_sel:DWORD dst_unused:UNUSED_PAD src0_sel:DWORD src1_sel:WORD_1
	v_and_b32_e32 v13, 0x80000000, v13
	v_or3_b32 v21, v22, v13, v21
.LBB349_1316:                           ;   in Loop: Header=BB349_931 Depth=1
	s_or_b32 exec_lo, exec_lo, s20
.LBB349_1317:                           ;   in Loop: Header=BB349_931 Depth=1
	s_or_b32 exec_lo, exec_lo, s19
.LBB349_1318:                           ;   in Loop: Header=BB349_931 Depth=1
	s_or_b32 exec_lo, exec_lo, s18
	s_mov_b32 s18, exec_lo
	v_cmpx_lt_u64_e64 s[6:7], v[24:25]
	s_cbranch_execz .LBB349_1326
; %bb.1319:                             ;   in Loop: Header=BB349_931 Depth=1
	v_cmp_ne_u32_sdwa s4, v25, v70 src0_sel:BYTE_3 src1_sel:DWORD
	v_bfrev_b32_e32 v18, 1
	s_and_saveexec_b32 s19, s4
	s_cbranch_execz .LBB349_1325
; %bb.1320:                             ;   in Loop: Header=BB349_931 Depth=1
	v_bfe_u32 v22, v25, 24, 7
	v_mov_b32_e32 v18, 0x7f800001
	s_mov_b32 s20, exec_lo
	v_cmpx_ne_u32_e32 0x7f, v22
	s_cbranch_execz .LBB349_1324
; %bb.1321:                             ;   in Loop: Header=BB349_931 Depth=1
	v_mov_b32_e32 v13, 7
	v_lshrrev_b32_e32 v18, 3, v22
	s_mov_b32 s21, exec_lo
	v_and_b32_sdwa v13, v25, v13 dst_sel:DWORD dst_unused:UNUSED_PAD src0_sel:BYTE_3 src1_sel:DWORD
	v_mov_b32_e32 v27, v14
	v_mov_b32_e32 v26, v13
	v_cmpx_gt_u32_e32 8, v22
; %bb.1322:                             ;   in Loop: Header=BB349_931 Depth=1
	v_ffbh_u32_e32 v18, v13
	v_min_u32_e32 v18, 32, v18
	v_subrev_nc_u32_e32 v22, 28, v18
	v_sub_nc_u32_e32 v18, 29, v18
	v_lshlrev_b64 v[22:23], v22, v[13:14]
	v_and_b32_e32 v26, 7, v22
; %bb.1323:                             ;   in Loop: Header=BB349_931 Depth=1
	s_or_b32 exec_lo, exec_lo, s21
	v_mov_b32_e32 v13, 24
	v_lshlrev_b32_e32 v22, 20, v26
	v_lshl_add_u32 v18, v18, 23, 0x3c000000
	v_lshlrev_b32_sdwa v13, v13, v25 dst_sel:DWORD dst_unused:UNUSED_PAD src0_sel:DWORD src1_sel:BYTE_3
	v_and_b32_e32 v13, 0x80000000, v13
	v_or3_b32 v18, v22, v13, v18
.LBB349_1324:                           ;   in Loop: Header=BB349_931 Depth=1
	s_or_b32 exec_lo, exec_lo, s20
.LBB349_1325:                           ;   in Loop: Header=BB349_931 Depth=1
	s_or_b32 exec_lo, exec_lo, s19
.LBB349_1326:                           ;   in Loop: Header=BB349_931 Depth=1
	s_or_b32 exec_lo, exec_lo, s18
	v_mul_f32_e32 v13, v56, v17
	v_mul_f32_e32 v16, v56, v16
	;; [unrolled: 1-line block ×5, first 2 shown]
	v_bfe_u32 v17, v13, 16, 1
	v_or_b32_e32 v22, 0x400000, v13
	v_bfe_u32 v23, v16, 16, 1
	v_cmp_u_f32_e64 s4, v13, v13
	v_or_b32_e32 v24, 0x400000, v16
	v_add3_u32 v17, v17, v13, 0x7fff
	v_bfe_u32 v25, v15, 16, 1
	v_add3_u32 v23, v23, v16, 0x7fff
	v_or_b32_e32 v26, 0x400000, v15
	v_bfe_u32 v27, v12, 16, 1
	v_cndmask_b32_e64 v13, v17, v22, s4
	v_cmp_u_f32_e64 s4, v16, v16
	v_add3_u32 v25, v25, v15, 0x7fff
	v_or_b32_e32 v17, 0x400000, v12
	v_mul_f32_e32 v0, v56, v0
	v_lshrrev_b32_e32 v105, 16, v13
	v_cndmask_b32_e64 v16, v23, v24, s4
	v_cmp_u_f32_e64 s4, v15, v15
	v_add3_u32 v13, v27, v12, 0x7fff
	v_lshrrev_b32_e32 v104, 16, v16
	v_cndmask_b32_e64 v15, v25, v26, s4
	v_cmp_u_f32_e64 s4, v12, v12
	v_or_b32_e32 v16, 0x400000, v1
	v_lshrrev_b32_e32 v108, 16, v15
	v_bfe_u32 v15, v1, 16, 1
	v_cndmask_b32_e64 v12, v13, v17, s4
	v_mul_f32_e32 v13, v56, v21
	v_mul_f32_e32 v17, v56, v18
	v_bfe_u32 v18, v0, 16, 1
	v_add3_u32 v15, v15, v1, 0x7fff
	v_cmp_u_f32_e64 s4, v1, v1
	v_bfe_u32 v21, v13, 16, 1
	v_or_b32_e32 v22, 0x400000, v13
	v_or_b32_e32 v23, 0x400000, v17
	v_lshrrev_b32_e32 v109, 16, v12
	v_cndmask_b32_e64 v1, v15, v16, s4
	v_add3_u32 v16, v18, v0, 0x7fff
	v_or_b32_e32 v18, 0x400000, v0
	v_cmp_u_f32_e64 s4, v0, v0
	v_bfe_u32 v15, v17, 16, 1
	v_add3_u32 v21, v21, v13, 0x7fff
	v_lshrrev_b32_e32 v111, 16, v1
	v_cndmask_b32_e64 v0, v16, v18, s4
	v_cmp_u_f32_e64 s4, v13, v13
	v_add3_u32 v15, v15, v17, 0x7fff
	v_lshrrev_b32_e32 v110, 16, v0
	v_cndmask_b32_e64 v13, v21, v22, s4
	v_cmp_u_f32_e64 s4, v17, v17
	v_lshrrev_b32_e32 v106, 16, v13
	v_cndmask_b32_e64 v15, v15, v23, s4
	v_lshrrev_b32_e32 v107, 16, v15
	s_and_saveexec_b32 s18, vcc_lo
	s_cbranch_execz .LBB349_1328
; %bb.1327:                             ;   in Loop: Header=BB349_931 Depth=1
	v_cmp_lt_i32_e64 s4, v72, v32
	v_cndmask_b32_e64 v110, 0, v110, s4
	v_cmp_lt_i32_e64 s4, v79, v32
	v_cndmask_b32_e64 v111, 0, v111, s4
	;; [unrolled: 2-line block ×8, first 2 shown]
.LBB349_1328:                           ;   in Loop: Header=BB349_931 Depth=1
	s_or_b32 exec_lo, exec_lo, s18
	flat_load_dwordx2 v[24:25], v[19:20] offset:1536
	v_mov_b32_e32 v15, 0
	v_mov_b32_e32 v12, 0
	s_waitcnt vmcnt(0) lgkmcnt(0)
	v_cmp_ne_u16_sdwa s4, v24, v14 src0_sel:BYTE_0 src1_sel:DWORD
	s_and_saveexec_b32 s18, s4
	s_cbranch_execz .LBB349_1336
; %bb.1329:                             ;   in Loop: Header=BB349_931 Depth=1
	v_cmp_ne_u16_sdwa s4, v24, v70 src0_sel:BYTE_0 src1_sel:DWORD
	v_bfrev_b32_e32 v12, 1
	s_and_saveexec_b32 s19, s4
	s_cbranch_execz .LBB349_1335
; %bb.1330:                             ;   in Loop: Header=BB349_931 Depth=1
	v_and_b32_e32 v1, 0x7f, v24
	v_mov_b32_e32 v12, 0x7f800001
	s_mov_b32 s20, exec_lo
	v_cmpx_ne_u32_e32 0x7f, v1
	s_cbranch_execz .LBB349_1334
; %bb.1331:                             ;   in Loop: Header=BB349_931 Depth=1
	v_mov_b32_e32 v27, v25
	v_lshrrev_b32_e32 v0, 3, v1
	v_mov_b32_e32 v26, v24
	s_mov_b32 s21, exec_lo
	v_cmpx_gt_u32_e32 8, v1
; %bb.1332:                             ;   in Loop: Header=BB349_931 Depth=1
	v_and_b32_e32 v0, 7, v24
	v_ffbh_u32_e32 v0, v0
	v_min_u32_e32 v0, 32, v0
	v_subrev_nc_u32_e32 v1, 28, v0
	v_sub_nc_u32_e32 v0, 29, v0
	v_lshlrev_b64 v[26:27], v1, v[24:25]
; %bb.1333:                             ;   in Loop: Header=BB349_931 Depth=1
	s_or_b32 exec_lo, exec_lo, s21
	v_lshlrev_b32_e32 v1, 20, v26
	v_lshlrev_b32_e32 v12, 24, v24
	v_lshl_add_u32 v0, v0, 23, 0x3c000000
	v_and_b32_e32 v1, 0x700000, v1
	v_and_b32_e32 v12, 0x80000000, v12
	v_or3_b32 v12, v1, v12, v0
.LBB349_1334:                           ;   in Loop: Header=BB349_931 Depth=1
	s_or_b32 exec_lo, exec_lo, s20
.LBB349_1335:                           ;   in Loop: Header=BB349_931 Depth=1
	s_or_b32 exec_lo, exec_lo, s19
.LBB349_1336:                           ;   in Loop: Header=BB349_931 Depth=1
	s_or_b32 exec_lo, exec_lo, s18
	v_cmp_ne_u16_sdwa s4, v24, v14 src0_sel:BYTE_1 src1_sel:DWORD
	s_and_saveexec_b32 s18, s4
	s_cbranch_execz .LBB349_1344
; %bb.1337:                             ;   in Loop: Header=BB349_931 Depth=1
	v_cmp_ne_u16_sdwa s4, v24, v70 src0_sel:BYTE_1 src1_sel:DWORD
	v_bfrev_b32_e32 v15, 1
	s_and_saveexec_b32 s19, s4
	s_cbranch_execz .LBB349_1343
; %bb.1338:                             ;   in Loop: Header=BB349_931 Depth=1
	v_mov_b32_e32 v0, 0xffff
	v_mov_b32_e32 v15, 0x7f800001
	s_mov_b32 s20, exec_lo
	v_and_b32_sdwa v0, v0, v24 dst_sel:DWORD dst_unused:UNUSED_PAD src0_sel:DWORD src1_sel:BYTE_1
	v_and_b32_e32 v1, 0x7f, v0
	v_cmpx_ne_u32_e32 0x7f, v1
	s_cbranch_execz .LBB349_1342
; %bb.1339:                             ;   in Loop: Header=BB349_931 Depth=1
	v_and_b32_e32 v13, 7, v0
	v_mov_b32_e32 v27, v14
	v_lshrrev_b32_e32 v0, 3, v1
	s_mov_b32 s21, exec_lo
	v_mov_b32_e32 v26, v13
	v_cmpx_gt_u32_e32 8, v1
; %bb.1340:                             ;   in Loop: Header=BB349_931 Depth=1
	v_ffbh_u32_e32 v0, v13
	v_min_u32_e32 v0, 32, v0
	v_subrev_nc_u32_e32 v1, 28, v0
	v_sub_nc_u32_e32 v0, 29, v0
	v_lshlrev_b64 v[15:16], v1, v[13:14]
	v_and_b32_e32 v26, 7, v15
; %bb.1341:                             ;   in Loop: Header=BB349_931 Depth=1
	s_or_b32 exec_lo, exec_lo, s21
	v_lshlrev_b32_e32 v1, 16, v24
	v_lshlrev_b32_e32 v13, 20, v26
	v_lshl_add_u32 v0, v0, 23, 0x3c000000
	v_and_b32_e32 v1, 0x80000000, v1
	v_or3_b32 v15, v13, v1, v0
.LBB349_1342:                           ;   in Loop: Header=BB349_931 Depth=1
	s_or_b32 exec_lo, exec_lo, s20
.LBB349_1343:                           ;   in Loop: Header=BB349_931 Depth=1
	s_or_b32 exec_lo, exec_lo, s19
.LBB349_1344:                           ;   in Loop: Header=BB349_931 Depth=1
	s_or_b32 exec_lo, exec_lo, s18
	v_and_b32_sdwa v0, v24, v80 dst_sel:DWORD dst_unused:UNUSED_PAD src0_sel:WORD_1 src1_sel:DWORD
	v_mov_b32_e32 v17, 0
	v_mov_b32_e32 v16, 0
	s_mov_b32 s18, exec_lo
	v_cmpx_ne_u16_e32 0, v0
	s_cbranch_execz .LBB349_1352
; %bb.1345:                             ;   in Loop: Header=BB349_931 Depth=1
	v_bfrev_b32_e32 v16, 1
	s_mov_b32 s19, exec_lo
	v_cmpx_ne_u16_e32 0x80, v0
	s_cbranch_execz .LBB349_1351
; %bb.1346:                             ;   in Loop: Header=BB349_931 Depth=1
	v_bfe_u32 v1, v24, 16, 7
	v_mov_b32_e32 v16, 0x7f800001
	s_mov_b32 s20, exec_lo
	v_cmpx_ne_u32_e32 0x7f, v1
	s_cbranch_execz .LBB349_1350
; %bb.1347:                             ;   in Loop: Header=BB349_931 Depth=1
	v_mov_b32_e32 v0, 7
	s_mov_b32 s21, exec_lo
	v_and_b32_sdwa v13, v24, v0 dst_sel:DWORD dst_unused:UNUSED_PAD src0_sel:WORD_1 src1_sel:DWORD
	v_mov_b32_e32 v27, v14
	v_lshrrev_b32_e32 v0, 3, v1
	v_mov_b32_e32 v26, v13
	v_cmpx_gt_u32_e32 8, v1
; %bb.1348:                             ;   in Loop: Header=BB349_931 Depth=1
	v_ffbh_u32_e32 v0, v13
	v_min_u32_e32 v0, 32, v0
	v_subrev_nc_u32_e32 v1, 28, v0
	v_sub_nc_u32_e32 v0, 29, v0
	v_lshlrev_b64 v[21:22], v1, v[13:14]
	v_and_b32_e32 v26, 7, v21
; %bb.1349:                             ;   in Loop: Header=BB349_931 Depth=1
	s_or_b32 exec_lo, exec_lo, s21
	v_mov_b32_e32 v1, 24
	v_lshlrev_b32_e32 v13, 20, v26
	v_lshl_add_u32 v0, v0, 23, 0x3c000000
	v_lshlrev_b32_sdwa v1, v1, v24 dst_sel:DWORD dst_unused:UNUSED_PAD src0_sel:DWORD src1_sel:WORD_1
	v_and_b32_e32 v1, 0x80000000, v1
	v_or3_b32 v16, v13, v1, v0
.LBB349_1350:                           ;   in Loop: Header=BB349_931 Depth=1
	s_or_b32 exec_lo, exec_lo, s20
.LBB349_1351:                           ;   in Loop: Header=BB349_931 Depth=1
	s_or_b32 exec_lo, exec_lo, s19
.LBB349_1352:                           ;   in Loop: Header=BB349_931 Depth=1
	s_or_b32 exec_lo, exec_lo, s18
	s_mov_b32 s18, exec_lo
	v_cmpx_lt_u32_e32 0xffffff, v24
	s_cbranch_execz .LBB349_1360
; %bb.1353:                             ;   in Loop: Header=BB349_931 Depth=1
	v_cmp_ne_u32_sdwa s4, v24, v70 src0_sel:BYTE_3 src1_sel:DWORD
	v_bfrev_b32_e32 v17, 1
	s_and_saveexec_b32 s19, s4
	s_cbranch_execz .LBB349_1359
; %bb.1354:                             ;   in Loop: Header=BB349_931 Depth=1
	v_bfe_u32 v1, v24, 24, 7
	v_mov_b32_e32 v17, 0x7f800001
	s_mov_b32 s20, exec_lo
	v_cmpx_ne_u32_e32 0x7f, v1
	s_cbranch_execz .LBB349_1358
; %bb.1355:                             ;   in Loop: Header=BB349_931 Depth=1
	v_mov_b32_e32 v0, 7
	s_mov_b32 s21, exec_lo
	v_and_b32_sdwa v13, v24, v0 dst_sel:DWORD dst_unused:UNUSED_PAD src0_sel:BYTE_3 src1_sel:DWORD
	v_mov_b32_e32 v27, v14
	v_lshrrev_b32_e32 v0, 3, v1
	v_mov_b32_e32 v26, v13
	v_cmpx_gt_u32_e32 8, v1
; %bb.1356:                             ;   in Loop: Header=BB349_931 Depth=1
	v_ffbh_u32_e32 v0, v13
	v_min_u32_e32 v0, 32, v0
	v_subrev_nc_u32_e32 v1, 28, v0
	v_sub_nc_u32_e32 v0, 29, v0
	v_lshlrev_b64 v[17:18], v1, v[13:14]
	v_and_b32_e32 v26, 7, v17
; %bb.1357:                             ;   in Loop: Header=BB349_931 Depth=1
	s_or_b32 exec_lo, exec_lo, s21
	v_mov_b32_e32 v1, 24
	v_lshlrev_b32_e32 v13, 20, v26
	v_lshl_add_u32 v0, v0, 23, 0x3c000000
	v_lshlrev_b32_sdwa v1, v1, v24 dst_sel:DWORD dst_unused:UNUSED_PAD src0_sel:DWORD src1_sel:BYTE_3
	v_and_b32_e32 v1, 0x80000000, v1
	v_or3_b32 v17, v13, v1, v0
.LBB349_1358:                           ;   in Loop: Header=BB349_931 Depth=1
	s_or_b32 exec_lo, exec_lo, s20
.LBB349_1359:                           ;   in Loop: Header=BB349_931 Depth=1
	s_or_b32 exec_lo, exec_lo, s19
.LBB349_1360:                           ;   in Loop: Header=BB349_931 Depth=1
	s_or_b32 exec_lo, exec_lo, s18
	v_mov_b32_e32 v13, v25
	v_cmp_ne_u16_sdwa s4, v25, v14 src0_sel:BYTE_0 src1_sel:DWORD
	v_mov_b32_e32 v0, 0
	v_mov_b32_e32 v1, 0
	s_and_saveexec_b32 s18, s4
	s_cbranch_execz .LBB349_1368
; %bb.1361:                             ;   in Loop: Header=BB349_931 Depth=1
	v_cmp_ne_u16_sdwa s4, v25, v70 src0_sel:BYTE_0 src1_sel:DWORD
	v_bfrev_b32_e32 v1, 1
	s_and_saveexec_b32 s19, s4
	s_cbranch_execz .LBB349_1367
; %bb.1362:                             ;   in Loop: Header=BB349_931 Depth=1
	v_and_b32_e32 v18, 0x7f, v25
	v_mov_b32_e32 v1, 0x7f800001
	s_mov_b32 s20, exec_lo
	v_cmpx_ne_u32_e32 0x7f, v18
	s_cbranch_execz .LBB349_1366
; %bb.1363:                             ;   in Loop: Header=BB349_931 Depth=1
	v_mov_b32_e32 v27, v14
	v_lshrrev_b32_e32 v1, 3, v18
	v_mov_b32_e32 v26, v13
	s_mov_b32 s21, exec_lo
	v_cmpx_gt_u32_e32 8, v18
; %bb.1364:                             ;   in Loop: Header=BB349_931 Depth=1
	v_and_b32_e32 v1, 7, v25
	v_ffbh_u32_e32 v1, v1
	v_min_u32_e32 v1, 32, v1
	v_subrev_nc_u32_e32 v18, 28, v1
	v_sub_nc_u32_e32 v1, 29, v1
	v_lshlrev_b64 v[26:27], v18, v[13:14]
; %bb.1365:                             ;   in Loop: Header=BB349_931 Depth=1
	s_or_b32 exec_lo, exec_lo, s21
	v_lshlrev_b32_e32 v18, 20, v26
	v_lshlrev_b32_e32 v21, 24, v13
	v_lshl_add_u32 v1, v1, 23, 0x3c000000
	v_and_b32_e32 v18, 0x700000, v18
	v_and_b32_e32 v21, 0x80000000, v21
	v_or3_b32 v1, v18, v21, v1
.LBB349_1366:                           ;   in Loop: Header=BB349_931 Depth=1
	s_or_b32 exec_lo, exec_lo, s20
.LBB349_1367:                           ;   in Loop: Header=BB349_931 Depth=1
	s_or_b32 exec_lo, exec_lo, s19
.LBB349_1368:                           ;   in Loop: Header=BB349_931 Depth=1
	s_or_b32 exec_lo, exec_lo, s18
	v_cmp_ne_u16_sdwa s4, v13, v14 src0_sel:BYTE_1 src1_sel:DWORD
	s_and_saveexec_b32 s18, s4
	s_cbranch_execz .LBB349_1376
; %bb.1369:                             ;   in Loop: Header=BB349_931 Depth=1
	v_cmp_ne_u16_sdwa s4, v13, v70 src0_sel:BYTE_1 src1_sel:DWORD
	v_bfrev_b32_e32 v0, 1
	s_and_saveexec_b32 s19, s4
	s_cbranch_execz .LBB349_1375
; %bb.1370:                             ;   in Loop: Header=BB349_931 Depth=1
	v_mov_b32_e32 v0, 0xffff
	s_mov_b32 s20, exec_lo
	v_and_b32_sdwa v21, v0, v13 dst_sel:DWORD dst_unused:UNUSED_PAD src0_sel:DWORD src1_sel:BYTE_1
	v_mov_b32_e32 v0, 0x7f800001
	v_and_b32_e32 v18, 0x7f, v21
	v_cmpx_ne_u32_e32 0x7f, v18
	s_cbranch_execz .LBB349_1374
; %bb.1371:                             ;   in Loop: Header=BB349_931 Depth=1
	v_and_b32_e32 v26, 7, v21
	v_mov_b32_e32 v27, v14
	v_lshrrev_b32_e32 v0, 3, v18
	s_mov_b32 s21, exec_lo
	v_cmpx_gt_u32_e32 8, v18
; %bb.1372:                             ;   in Loop: Header=BB349_931 Depth=1
	v_ffbh_u32_e32 v0, v26
	v_min_u32_e32 v0, 32, v0
	v_subrev_nc_u32_e32 v18, 28, v0
	v_sub_nc_u32_e32 v0, 29, v0
	v_lshlrev_b64 v[21:22], v18, v[26:27]
	v_and_b32_e32 v26, 7, v21
; %bb.1373:                             ;   in Loop: Header=BB349_931 Depth=1
	s_or_b32 exec_lo, exec_lo, s21
	v_lshlrev_b32_e32 v13, 16, v13
	v_lshlrev_b32_e32 v18, 20, v26
	v_lshl_add_u32 v0, v0, 23, 0x3c000000
	v_and_b32_e32 v13, 0x80000000, v13
	v_or3_b32 v0, v18, v13, v0
.LBB349_1374:                           ;   in Loop: Header=BB349_931 Depth=1
	s_or_b32 exec_lo, exec_lo, s20
.LBB349_1375:                           ;   in Loop: Header=BB349_931 Depth=1
	s_or_b32 exec_lo, exec_lo, s19
.LBB349_1376:                           ;   in Loop: Header=BB349_931 Depth=1
	s_or_b32 exec_lo, exec_lo, s18
	v_and_b32_sdwa v13, v25, v80 dst_sel:DWORD dst_unused:UNUSED_PAD src0_sel:WORD_1 src1_sel:DWORD
	v_mov_b32_e32 v21, 0
	v_mov_b32_e32 v22, 0
	s_mov_b32 s18, exec_lo
	v_cmpx_ne_u16_e32 0, v13
	s_cbranch_execz .LBB349_1384
; %bb.1377:                             ;   in Loop: Header=BB349_931 Depth=1
	v_bfrev_b32_e32 v22, 1
	s_mov_b32 s19, exec_lo
	v_cmpx_ne_u16_e32 0x80, v13
	s_cbranch_execz .LBB349_1383
; %bb.1378:                             ;   in Loop: Header=BB349_931 Depth=1
	v_bfe_u32 v23, v25, 16, 7
	v_mov_b32_e32 v22, 0x7f800001
	s_mov_b32 s20, exec_lo
	v_cmpx_ne_u32_e32 0x7f, v23
	s_cbranch_execz .LBB349_1382
; %bb.1379:                             ;   in Loop: Header=BB349_931 Depth=1
	v_mov_b32_e32 v13, 7
	v_lshrrev_b32_e32 v18, 3, v23
	s_mov_b32 s21, exec_lo
	v_and_b32_sdwa v13, v25, v13 dst_sel:DWORD dst_unused:UNUSED_PAD src0_sel:WORD_1 src1_sel:DWORD
	v_mov_b32_e32 v27, v14
	v_mov_b32_e32 v26, v13
	v_cmpx_gt_u32_e32 8, v23
; %bb.1380:                             ;   in Loop: Header=BB349_931 Depth=1
	v_ffbh_u32_e32 v18, v13
	v_min_u32_e32 v18, 32, v18
	v_subrev_nc_u32_e32 v22, 28, v18
	v_sub_nc_u32_e32 v18, 29, v18
	v_lshlrev_b64 v[22:23], v22, v[13:14]
	v_and_b32_e32 v26, 7, v22
; %bb.1381:                             ;   in Loop: Header=BB349_931 Depth=1
	s_or_b32 exec_lo, exec_lo, s21
	v_mov_b32_e32 v13, 24
	v_lshlrev_b32_e32 v22, 20, v26
	v_lshl_add_u32 v18, v18, 23, 0x3c000000
	v_lshlrev_b32_sdwa v13, v13, v25 dst_sel:DWORD dst_unused:UNUSED_PAD src0_sel:DWORD src1_sel:WORD_1
	v_and_b32_e32 v13, 0x80000000, v13
	v_or3_b32 v22, v22, v13, v18
.LBB349_1382:                           ;   in Loop: Header=BB349_931 Depth=1
	s_or_b32 exec_lo, exec_lo, s20
.LBB349_1383:                           ;   in Loop: Header=BB349_931 Depth=1
	s_or_b32 exec_lo, exec_lo, s19
.LBB349_1384:                           ;   in Loop: Header=BB349_931 Depth=1
	s_or_b32 exec_lo, exec_lo, s18
	s_mov_b32 s18, exec_lo
	v_cmpx_lt_u64_e64 s[6:7], v[24:25]
	s_cbranch_execz .LBB349_1392
; %bb.1385:                             ;   in Loop: Header=BB349_931 Depth=1
	v_cmp_ne_u32_sdwa s4, v25, v70 src0_sel:BYTE_3 src1_sel:DWORD
	v_bfrev_b32_e32 v21, 1
	s_and_saveexec_b32 s19, s4
	s_cbranch_execz .LBB349_1391
; %bb.1386:                             ;   in Loop: Header=BB349_931 Depth=1
	v_bfe_u32 v23, v25, 24, 7
	v_mov_b32_e32 v21, 0x7f800001
	s_mov_b32 s20, exec_lo
	v_cmpx_ne_u32_e32 0x7f, v23
	s_cbranch_execz .LBB349_1390
; %bb.1387:                             ;   in Loop: Header=BB349_931 Depth=1
	v_mov_b32_e32 v13, 7
	v_lshrrev_b32_e32 v18, 3, v23
	s_mov_b32 s21, exec_lo
	v_and_b32_sdwa v13, v25, v13 dst_sel:DWORD dst_unused:UNUSED_PAD src0_sel:BYTE_3 src1_sel:DWORD
	v_mov_b32_e32 v27, v14
	v_mov_b32_e32 v26, v13
	v_cmpx_gt_u32_e32 8, v23
; %bb.1388:                             ;   in Loop: Header=BB349_931 Depth=1
	v_ffbh_u32_e32 v18, v13
	v_min_u32_e32 v18, 32, v18
	v_subrev_nc_u32_e32 v21, 28, v18
	v_sub_nc_u32_e32 v18, 29, v18
	v_lshlrev_b64 v[23:24], v21, v[13:14]
	v_and_b32_e32 v26, 7, v23
; %bb.1389:                             ;   in Loop: Header=BB349_931 Depth=1
	s_or_b32 exec_lo, exec_lo, s21
	v_mov_b32_e32 v13, 24
	v_lshlrev_b32_e32 v21, 20, v26
	v_lshl_add_u32 v18, v18, 23, 0x3c000000
	v_lshlrev_b32_sdwa v13, v13, v25 dst_sel:DWORD dst_unused:UNUSED_PAD src0_sel:DWORD src1_sel:BYTE_3
	v_and_b32_e32 v13, 0x80000000, v13
	v_or3_b32 v21, v21, v13, v18
.LBB349_1390:                           ;   in Loop: Header=BB349_931 Depth=1
	s_or_b32 exec_lo, exec_lo, s20
.LBB349_1391:                           ;   in Loop: Header=BB349_931 Depth=1
	s_or_b32 exec_lo, exec_lo, s19
.LBB349_1392:                           ;   in Loop: Header=BB349_931 Depth=1
	s_or_b32 exec_lo, exec_lo, s18
	v_mul_f32_e32 v0, v56, v0
	v_mul_f32_e32 v1, v56, v1
	;; [unrolled: 1-line block ×3, first 2 shown]
	v_bfe_u32 v13, v0, 16, 1
	v_or_b32_e32 v18, 0x400000, v0
	v_cmp_u_f32_e64 s4, v0, v0
	v_add3_u32 v13, v13, v0, 0x7fff
	v_cndmask_b32_e64 v0, v13, v18, s4
	v_bfe_u32 v13, v1, 16, 1
	v_or_b32_e32 v18, 0x400000, v1
	v_cmp_u_f32_e64 s4, v1, v1
	v_lshrrev_b32_e32 v0, 16, v0
	v_add3_u32 v13, v13, v1, 0x7fff
	v_cndmask_b32_e64 v1, v13, v18, s4
	v_mul_f32_e32 v13, v56, v17
	v_lshrrev_b32_e32 v1, 16, v1
	v_bfe_u32 v17, v13, 16, 1
	v_or_b32_e32 v18, 0x400000, v13
	v_cmp_u_f32_e64 s4, v13, v13
	v_add3_u32 v17, v17, v13, 0x7fff
	v_cndmask_b32_e64 v13, v17, v18, s4
	v_lshrrev_b32_e32 v17, 16, v13
	v_mul_f32_e32 v13, v56, v16
	v_bfe_u32 v16, v13, 16, 1
	v_or_b32_e32 v18, 0x400000, v13
	v_cmp_u_f32_e64 s4, v13, v13
	v_add3_u32 v16, v16, v13, 0x7fff
	v_cndmask_b32_e64 v13, v16, v18, s4
	v_lshrrev_b32_e32 v18, 16, v13
	v_mul_f32_e32 v13, v56, v15
	v_bfe_u32 v15, v13, 16, 1
	v_or_b32_e32 v16, 0x400000, v13
	v_cmp_u_f32_e64 s4, v13, v13
	v_add3_u32 v15, v15, v13, 0x7fff
	v_cndmask_b32_e64 v13, v15, v16, s4
	v_or_b32_e32 v15, 0x400000, v12
	v_cmp_u_f32_e64 s4, v12, v12
	v_lshrrev_b32_e32 v23, 16, v13
	v_bfe_u32 v13, v12, 16, 1
	v_add3_u32 v13, v13, v12, 0x7fff
	v_cndmask_b32_e64 v12, v13, v15, s4
	v_lshrrev_b32_e32 v31, 16, v12
	v_mul_f32_e32 v12, v56, v22
	v_bfe_u32 v13, v12, 16, 1
	v_or_b32_e32 v15, 0x400000, v12
	v_cmp_u_f32_e64 s4, v12, v12
	v_add3_u32 v13, v13, v12, 0x7fff
	v_cndmask_b32_e64 v12, v13, v15, s4
	v_lshrrev_b32_e32 v22, 16, v12
	v_mul_f32_e32 v12, v56, v21
	v_bfe_u32 v13, v12, 16, 1
	v_or_b32_e32 v15, 0x400000, v12
	v_cmp_u_f32_e64 s4, v12, v12
	v_add3_u32 v13, v13, v12, 0x7fff
	v_cndmask_b32_e64 v12, v13, v15, s4
	v_lshrrev_b32_e32 v33, 16, v12
	s_and_saveexec_b32 s18, vcc_lo
	s_cbranch_execz .LBB349_1394
; %bb.1393:                             ;   in Loop: Header=BB349_931 Depth=1
	v_cmp_lt_i32_e64 s4, v72, v32
	v_cndmask_b32_e64 v31, 0, v31, s4
	v_cmp_lt_i32_e64 s4, v79, v32
	v_cndmask_b32_e64 v23, 0, v23, s4
	;; [unrolled: 2-line block ×8, first 2 shown]
.LBB349_1394:                           ;   in Loop: Header=BB349_931 Depth=1
	s_or_b32 exec_lo, exec_lo, s18
	flat_load_dwordx2 v[24:25], v[19:20] offset:1792
	v_mov_b32_e32 v15, 0
	v_mov_b32_e32 v12, 0
	s_waitcnt vmcnt(0) lgkmcnt(0)
	v_cmp_ne_u16_sdwa s4, v24, v14 src0_sel:BYTE_0 src1_sel:DWORD
	s_and_saveexec_b32 s18, s4
	s_cbranch_execz .LBB349_1402
; %bb.1395:                             ;   in Loop: Header=BB349_931 Depth=1
	v_cmp_ne_u16_sdwa s4, v24, v70 src0_sel:BYTE_0 src1_sel:DWORD
	v_bfrev_b32_e32 v12, 1
	s_and_saveexec_b32 s19, s4
	s_cbranch_execz .LBB349_1401
; %bb.1396:                             ;   in Loop: Header=BB349_931 Depth=1
	v_and_b32_e32 v13, 0x7f, v24
	v_mov_b32_e32 v12, 0x7f800001
	s_mov_b32 s20, exec_lo
	v_cmpx_ne_u32_e32 0x7f, v13
	s_cbranch_execz .LBB349_1400
; %bb.1397:                             ;   in Loop: Header=BB349_931 Depth=1
	v_mov_b32_e32 v27, v25
	v_lshrrev_b32_e32 v12, 3, v13
	v_mov_b32_e32 v26, v24
	s_mov_b32 s21, exec_lo
	v_cmpx_gt_u32_e32 8, v13
; %bb.1398:                             ;   in Loop: Header=BB349_931 Depth=1
	v_and_b32_e32 v12, 7, v24
	v_ffbh_u32_e32 v12, v12
	v_min_u32_e32 v12, 32, v12
	v_subrev_nc_u32_e32 v13, 28, v12
	v_sub_nc_u32_e32 v12, 29, v12
	v_lshlrev_b64 v[26:27], v13, v[24:25]
; %bb.1399:                             ;   in Loop: Header=BB349_931 Depth=1
	s_or_b32 exec_lo, exec_lo, s21
	v_lshlrev_b32_e32 v13, 20, v26
	v_lshlrev_b32_e32 v16, 24, v24
	v_lshl_add_u32 v12, v12, 23, 0x3c000000
	v_and_b32_e32 v13, 0x700000, v13
	v_and_b32_e32 v16, 0x80000000, v16
	v_or3_b32 v12, v13, v16, v12
.LBB349_1400:                           ;   in Loop: Header=BB349_931 Depth=1
	s_or_b32 exec_lo, exec_lo, s20
.LBB349_1401:                           ;   in Loop: Header=BB349_931 Depth=1
	s_or_b32 exec_lo, exec_lo, s19
.LBB349_1402:                           ;   in Loop: Header=BB349_931 Depth=1
	s_or_b32 exec_lo, exec_lo, s18
	v_cmp_ne_u16_sdwa s4, v24, v14 src0_sel:BYTE_1 src1_sel:DWORD
	s_and_saveexec_b32 s18, s4
	s_cbranch_execz .LBB349_1410
; %bb.1403:                             ;   in Loop: Header=BB349_931 Depth=1
	v_cmp_ne_u16_sdwa s4, v24, v70 src0_sel:BYTE_1 src1_sel:DWORD
	v_bfrev_b32_e32 v15, 1
	s_and_saveexec_b32 s19, s4
	s_cbranch_execz .LBB349_1409
; %bb.1404:                             ;   in Loop: Header=BB349_931 Depth=1
	v_mov_b32_e32 v13, 0xffff
	v_mov_b32_e32 v15, 0x7f800001
	s_mov_b32 s20, exec_lo
	v_and_b32_sdwa v13, v13, v24 dst_sel:DWORD dst_unused:UNUSED_PAD src0_sel:DWORD src1_sel:BYTE_1
	v_and_b32_e32 v16, 0x7f, v13
	v_cmpx_ne_u32_e32 0x7f, v16
	s_cbranch_execz .LBB349_1408
; %bb.1405:                             ;   in Loop: Header=BB349_931 Depth=1
	v_and_b32_e32 v13, 7, v13
	v_mov_b32_e32 v27, v14
	v_lshrrev_b32_e32 v15, 3, v16
	s_mov_b32 s21, exec_lo
	v_mov_b32_e32 v26, v13
	v_cmpx_gt_u32_e32 8, v16
; %bb.1406:                             ;   in Loop: Header=BB349_931 Depth=1
	v_ffbh_u32_e32 v15, v13
	v_min_u32_e32 v15, 32, v15
	v_subrev_nc_u32_e32 v16, 28, v15
	v_sub_nc_u32_e32 v15, 29, v15
	v_lshlrev_b64 v[26:27], v16, v[13:14]
	v_and_b32_e32 v26, 7, v26
; %bb.1407:                             ;   in Loop: Header=BB349_931 Depth=1
	s_or_b32 exec_lo, exec_lo, s21
	v_lshlrev_b32_e32 v13, 16, v24
	v_lshlrev_b32_e32 v16, 20, v26
	v_lshl_add_u32 v15, v15, 23, 0x3c000000
	v_and_b32_e32 v13, 0x80000000, v13
	v_or3_b32 v15, v16, v13, v15
.LBB349_1408:                           ;   in Loop: Header=BB349_931 Depth=1
	s_or_b32 exec_lo, exec_lo, s20
.LBB349_1409:                           ;   in Loop: Header=BB349_931 Depth=1
	s_or_b32 exec_lo, exec_lo, s19
.LBB349_1410:                           ;   in Loop: Header=BB349_931 Depth=1
	s_or_b32 exec_lo, exec_lo, s18
	v_and_b32_sdwa v13, v24, v80 dst_sel:DWORD dst_unused:UNUSED_PAD src0_sel:WORD_1 src1_sel:DWORD
	v_mov_b32_e32 v21, 0
	v_mov_b32_e32 v16, 0
	s_mov_b32 s18, exec_lo
	v_cmpx_ne_u16_e32 0, v13
	s_cbranch_execz .LBB349_1418
; %bb.1411:                             ;   in Loop: Header=BB349_931 Depth=1
	v_bfrev_b32_e32 v16, 1
	s_mov_b32 s19, exec_lo
	v_cmpx_ne_u16_e32 0x80, v13
	s_cbranch_execz .LBB349_1417
; %bb.1412:                             ;   in Loop: Header=BB349_931 Depth=1
	v_bfe_u32 v26, v24, 16, 7
	v_mov_b32_e32 v16, 0x7f800001
	s_mov_b32 s20, exec_lo
	v_cmpx_ne_u32_e32 0x7f, v26
	s_cbranch_execz .LBB349_1416
; %bb.1413:                             ;   in Loop: Header=BB349_931 Depth=1
	v_mov_b32_e32 v13, 7
	v_lshrrev_b32_e32 v16, 3, v26
	v_cmp_gt_u32_e64 s4, 8, v26
	v_and_b32_sdwa v13, v24, v13 dst_sel:DWORD dst_unused:UNUSED_PAD src0_sel:WORD_1 src1_sel:DWORD
	v_mov_b32_e32 v27, v14
	v_mov_b32_e32 v26, v13
	s_and_saveexec_b32 s21, s4
; %bb.1414:                             ;   in Loop: Header=BB349_931 Depth=1
	v_ffbh_u32_e32 v16, v13
	v_min_u32_e32 v16, 32, v16
	v_subrev_nc_u32_e32 v26, 28, v16
	v_sub_nc_u32_e32 v16, 29, v16
	v_lshlrev_b64 v[26:27], v26, v[13:14]
	v_and_b32_e32 v26, 7, v26
; %bb.1415:                             ;   in Loop: Header=BB349_931 Depth=1
	s_or_b32 exec_lo, exec_lo, s21
	v_mov_b32_e32 v13, 24
	v_lshlrev_b32_e32 v26, 20, v26
	v_lshl_add_u32 v16, v16, 23, 0x3c000000
	v_lshlrev_b32_sdwa v13, v13, v24 dst_sel:DWORD dst_unused:UNUSED_PAD src0_sel:DWORD src1_sel:WORD_1
	v_and_b32_e32 v13, 0x80000000, v13
	v_or3_b32 v16, v26, v13, v16
.LBB349_1416:                           ;   in Loop: Header=BB349_931 Depth=1
	s_or_b32 exec_lo, exec_lo, s20
.LBB349_1417:                           ;   in Loop: Header=BB349_931 Depth=1
	s_or_b32 exec_lo, exec_lo, s19
.LBB349_1418:                           ;   in Loop: Header=BB349_931 Depth=1
	s_or_b32 exec_lo, exec_lo, s18
	s_mov_b32 s18, exec_lo
	v_cmpx_lt_u32_e32 0xffffff, v24
	s_cbranch_execz .LBB349_1426
; %bb.1419:                             ;   in Loop: Header=BB349_931 Depth=1
	v_cmp_ne_u32_sdwa s4, v24, v70 src0_sel:BYTE_3 src1_sel:DWORD
	v_bfrev_b32_e32 v21, 1
	s_and_saveexec_b32 s19, s4
	s_cbranch_execz .LBB349_1425
; %bb.1420:                             ;   in Loop: Header=BB349_931 Depth=1
	v_bfe_u32 v26, v24, 24, 7
	v_mov_b32_e32 v21, 0x7f800001
	s_mov_b32 s20, exec_lo
	v_cmpx_ne_u32_e32 0x7f, v26
	s_cbranch_execz .LBB349_1424
; %bb.1421:                             ;   in Loop: Header=BB349_931 Depth=1
	v_mov_b32_e32 v13, 7
	v_lshrrev_b32_e32 v21, 3, v26
	v_cmp_gt_u32_e64 s4, 8, v26
	v_and_b32_sdwa v13, v24, v13 dst_sel:DWORD dst_unused:UNUSED_PAD src0_sel:BYTE_3 src1_sel:DWORD
	v_mov_b32_e32 v27, v14
	v_mov_b32_e32 v26, v13
	s_and_saveexec_b32 s21, s4
; %bb.1422:                             ;   in Loop: Header=BB349_931 Depth=1
	v_ffbh_u32_e32 v21, v13
	v_min_u32_e32 v21, 32, v21
	v_subrev_nc_u32_e32 v26, 28, v21
	v_sub_nc_u32_e32 v21, 29, v21
	v_lshlrev_b64 v[26:27], v26, v[13:14]
	v_and_b32_e32 v26, 7, v26
; %bb.1423:                             ;   in Loop: Header=BB349_931 Depth=1
	s_or_b32 exec_lo, exec_lo, s21
	v_mov_b32_e32 v13, 24
	v_lshlrev_b32_e32 v26, 20, v26
	v_lshl_add_u32 v21, v21, 23, 0x3c000000
	v_lshlrev_b32_sdwa v13, v13, v24 dst_sel:DWORD dst_unused:UNUSED_PAD src0_sel:DWORD src1_sel:BYTE_3
	v_and_b32_e32 v13, 0x80000000, v13
	v_or3_b32 v21, v26, v13, v21
.LBB349_1424:                           ;   in Loop: Header=BB349_931 Depth=1
	s_or_b32 exec_lo, exec_lo, s20
.LBB349_1425:                           ;   in Loop: Header=BB349_931 Depth=1
	s_or_b32 exec_lo, exec_lo, s19
.LBB349_1426:                           ;   in Loop: Header=BB349_931 Depth=1
	s_or_b32 exec_lo, exec_lo, s18
	v_mov_b32_e32 v13, v25
	v_cmp_ne_u16_sdwa s4, v25, v14 src0_sel:BYTE_0 src1_sel:DWORD
	v_mov_b32_e32 v35, 0
	v_mov_b32_e32 v30, 0
	s_and_saveexec_b32 s18, s4
	s_cbranch_execz .LBB349_1434
; %bb.1427:                             ;   in Loop: Header=BB349_931 Depth=1
	v_cmp_ne_u16_sdwa s4, v25, v70 src0_sel:BYTE_0 src1_sel:DWORD
	v_bfrev_b32_e32 v30, 1
	s_and_saveexec_b32 s19, s4
	s_cbranch_execz .LBB349_1433
; %bb.1428:                             ;   in Loop: Header=BB349_931 Depth=1
	v_and_b32_e32 v26, 0x7f, v25
	v_mov_b32_e32 v30, 0x7f800001
	s_mov_b32 s20, exec_lo
	v_cmpx_ne_u32_e32 0x7f, v26
	s_cbranch_execz .LBB349_1432
; %bb.1429:                             ;   in Loop: Header=BB349_931 Depth=1
	v_lshrrev_b32_e32 v28, 3, v26
	v_cmp_gt_u32_e64 s4, 8, v26
	v_mov_b32_e32 v27, v14
	v_mov_b32_e32 v26, v13
	s_and_saveexec_b32 s21, s4
; %bb.1430:                             ;   in Loop: Header=BB349_931 Depth=1
	v_and_b32_e32 v26, 7, v25
	v_ffbh_u32_e32 v26, v26
	v_min_u32_e32 v28, 32, v26
	v_subrev_nc_u32_e32 v26, 28, v28
	v_sub_nc_u32_e32 v28, 29, v28
	v_lshlrev_b64 v[26:27], v26, v[13:14]
; %bb.1431:                             ;   in Loop: Header=BB349_931 Depth=1
	s_or_b32 exec_lo, exec_lo, s21
	v_lshlrev_b32_e32 v26, 20, v26
	v_lshlrev_b32_e32 v27, 24, v13
	v_lshl_add_u32 v28, v28, 23, 0x3c000000
	v_and_b32_e32 v26, 0x700000, v26
	v_and_b32_e32 v27, 0x80000000, v27
	v_or3_b32 v30, v26, v27, v28
.LBB349_1432:                           ;   in Loop: Header=BB349_931 Depth=1
	s_or_b32 exec_lo, exec_lo, s20
.LBB349_1433:                           ;   in Loop: Header=BB349_931 Depth=1
	s_or_b32 exec_lo, exec_lo, s19
.LBB349_1434:                           ;   in Loop: Header=BB349_931 Depth=1
	s_or_b32 exec_lo, exec_lo, s18
	v_cmp_ne_u16_sdwa s4, v13, v14 src0_sel:BYTE_1 src1_sel:DWORD
	s_and_saveexec_b32 s18, s4
	s_cbranch_execz .LBB349_1442
; %bb.1435:                             ;   in Loop: Header=BB349_931 Depth=1
	v_cmp_ne_u16_sdwa s4, v13, v70 src0_sel:BYTE_1 src1_sel:DWORD
	v_bfrev_b32_e32 v35, 1
	s_and_saveexec_b32 s19, s4
	s_cbranch_execz .LBB349_1441
; %bb.1436:                             ;   in Loop: Header=BB349_931 Depth=1
	v_mov_b32_e32 v26, 0xffff
	v_mov_b32_e32 v35, 0x7f800001
	s_mov_b32 s20, exec_lo
	v_and_b32_sdwa v26, v26, v13 dst_sel:DWORD dst_unused:UNUSED_PAD src0_sel:DWORD src1_sel:BYTE_1
	v_and_b32_e32 v29, 0x7f, v26
	v_cmpx_ne_u32_e32 0x7f, v29
	s_cbranch_execz .LBB349_1440
; %bb.1437:                             ;   in Loop: Header=BB349_931 Depth=1
	v_and_b32_e32 v26, 7, v26
	v_mov_b32_e32 v27, v14
	v_lshrrev_b32_e32 v28, 3, v29
	s_mov_b32 s21, exec_lo
	v_cmpx_gt_u32_e32 8, v29
; %bb.1438:                             ;   in Loop: Header=BB349_931 Depth=1
	v_ffbh_u32_e32 v28, v26
	v_min_u32_e32 v28, 32, v28
	v_subrev_nc_u32_e32 v29, 28, v28
	v_sub_nc_u32_e32 v28, 29, v28
	v_lshlrev_b64 v[26:27], v29, v[26:27]
	v_and_b32_e32 v26, 7, v26
; %bb.1439:                             ;   in Loop: Header=BB349_931 Depth=1
	s_or_b32 exec_lo, exec_lo, s21
	v_lshlrev_b32_e32 v13, 16, v13
	v_lshlrev_b32_e32 v26, 20, v26
	v_lshl_add_u32 v27, v28, 23, 0x3c000000
	v_and_b32_e32 v13, 0x80000000, v13
	v_or3_b32 v35, v26, v13, v27
.LBB349_1440:                           ;   in Loop: Header=BB349_931 Depth=1
	s_or_b32 exec_lo, exec_lo, s20
.LBB349_1441:                           ;   in Loop: Header=BB349_931 Depth=1
	s_or_b32 exec_lo, exec_lo, s19
.LBB349_1442:                           ;   in Loop: Header=BB349_931 Depth=1
	s_or_b32 exec_lo, exec_lo, s18
	v_and_b32_sdwa v13, v25, v80 dst_sel:DWORD dst_unused:UNUSED_PAD src0_sel:WORD_1 src1_sel:DWORD
	v_mov_b32_e32 v28, 0
	v_mov_b32_e32 v29, 0
	s_mov_b32 s18, exec_lo
	v_cmpx_ne_u16_e32 0, v13
	s_cbranch_execz .LBB349_1450
; %bb.1443:                             ;   in Loop: Header=BB349_931 Depth=1
	v_bfrev_b32_e32 v29, 1
	s_mov_b32 s19, exec_lo
	v_cmpx_ne_u16_e32 0x80, v13
	s_cbranch_execz .LBB349_1449
; %bb.1444:                             ;   in Loop: Header=BB349_931 Depth=1
	v_bfe_u32 v26, v25, 16, 7
	v_mov_b32_e32 v29, 0x7f800001
	s_mov_b32 s20, exec_lo
	v_cmpx_ne_u32_e32 0x7f, v26
	s_cbranch_execz .LBB349_1448
; %bb.1445:                             ;   in Loop: Header=BB349_931 Depth=1
	v_mov_b32_e32 v13, 7
	v_lshrrev_b32_e32 v29, 3, v26
	v_cmp_gt_u32_e64 s4, 8, v26
	v_and_b32_sdwa v13, v25, v13 dst_sel:DWORD dst_unused:UNUSED_PAD src0_sel:WORD_1 src1_sel:DWORD
	v_mov_b32_e32 v27, v14
	v_mov_b32_e32 v26, v13
	s_and_saveexec_b32 s21, s4
; %bb.1446:                             ;   in Loop: Header=BB349_931 Depth=1
	v_ffbh_u32_e32 v26, v13
	v_min_u32_e32 v29, 32, v26
	v_subrev_nc_u32_e32 v26, 28, v29
	v_sub_nc_u32_e32 v29, 29, v29
	v_lshlrev_b64 v[26:27], v26, v[13:14]
	v_and_b32_e32 v26, 7, v26
; %bb.1447:                             ;   in Loop: Header=BB349_931 Depth=1
	s_or_b32 exec_lo, exec_lo, s21
	v_mov_b32_e32 v13, 24
	v_lshlrev_b32_e32 v26, 20, v26
	v_lshl_add_u32 v27, v29, 23, 0x3c000000
	v_lshlrev_b32_sdwa v13, v13, v25 dst_sel:DWORD dst_unused:UNUSED_PAD src0_sel:DWORD src1_sel:WORD_1
	v_and_b32_e32 v13, 0x80000000, v13
	v_or3_b32 v29, v26, v13, v27
.LBB349_1448:                           ;   in Loop: Header=BB349_931 Depth=1
	s_or_b32 exec_lo, exec_lo, s20
.LBB349_1449:                           ;   in Loop: Header=BB349_931 Depth=1
	s_or_b32 exec_lo, exec_lo, s19
.LBB349_1450:                           ;   in Loop: Header=BB349_931 Depth=1
	s_or_b32 exec_lo, exec_lo, s18
	s_mov_b32 s18, exec_lo
	v_cmpx_lt_u64_e64 s[6:7], v[24:25]
	s_cbranch_execz .LBB349_1458
; %bb.1451:                             ;   in Loop: Header=BB349_931 Depth=1
	v_cmp_ne_u32_sdwa s4, v25, v70 src0_sel:BYTE_3 src1_sel:DWORD
	v_bfrev_b32_e32 v28, 1
	s_and_saveexec_b32 s19, s4
	s_cbranch_execz .LBB349_1457
; %bb.1452:                             ;   in Loop: Header=BB349_931 Depth=1
	v_bfe_u32 v26, v25, 24, 7
	v_mov_b32_e32 v28, 0x7f800001
	s_mov_b32 s20, exec_lo
	v_cmpx_ne_u32_e32 0x7f, v26
	s_cbranch_execz .LBB349_1456
; %bb.1453:                             ;   in Loop: Header=BB349_931 Depth=1
	v_mov_b32_e32 v13, 7
	v_lshrrev_b32_e32 v24, 3, v26
	v_cmp_gt_u32_e64 s4, 8, v26
	v_and_b32_sdwa v13, v25, v13 dst_sel:DWORD dst_unused:UNUSED_PAD src0_sel:BYTE_3 src1_sel:DWORD
	v_mov_b32_e32 v27, v14
	v_mov_b32_e32 v26, v13
	s_and_saveexec_b32 s21, s4
; %bb.1454:                             ;   in Loop: Header=BB349_931 Depth=1
	v_ffbh_u32_e32 v24, v13
	v_min_u32_e32 v24, 32, v24
	v_subrev_nc_u32_e32 v26, 28, v24
	v_sub_nc_u32_e32 v24, 29, v24
	v_lshlrev_b64 v[26:27], v26, v[13:14]
	v_and_b32_e32 v26, 7, v26
; %bb.1455:                             ;   in Loop: Header=BB349_931 Depth=1
	s_or_b32 exec_lo, exec_lo, s21
	v_mov_b32_e32 v13, 24
	v_lshl_add_u32 v24, v24, 23, 0x3c000000
	v_lshlrev_b32_sdwa v13, v13, v25 dst_sel:DWORD dst_unused:UNUSED_PAD src0_sel:DWORD src1_sel:BYTE_3
	v_lshlrev_b32_e32 v25, 20, v26
	v_and_b32_e32 v13, 0x80000000, v13
	v_or3_b32 v28, v25, v13, v24
.LBB349_1456:                           ;   in Loop: Header=BB349_931 Depth=1
	s_or_b32 exec_lo, exec_lo, s20
.LBB349_1457:                           ;   in Loop: Header=BB349_931 Depth=1
	s_or_b32 exec_lo, exec_lo, s19
.LBB349_1458:                           ;   in Loop: Header=BB349_931 Depth=1
	s_or_b32 exec_lo, exec_lo, s18
	v_mul_f32_e32 v13, v56, v35
	v_mul_f32_e32 v12, v56, v12
	v_bfe_u32 v24, v13, 16, 1
	v_or_b32_e32 v25, 0x400000, v13
	v_cmp_u_f32_e64 s4, v13, v13
	v_add3_u32 v24, v24, v13, 0x7fff
	v_cndmask_b32_e64 v13, v24, v25, s4
	v_lshrrev_b32_e32 v120, 16, v13
	v_mul_f32_e32 v13, v56, v30
	v_bfe_u32 v24, v13, 16, 1
	v_or_b32_e32 v25, 0x400000, v13
	v_cmp_u_f32_e64 s4, v13, v13
	v_add3_u32 v24, v24, v13, 0x7fff
	v_cndmask_b32_e64 v13, v24, v25, s4
	v_lshrrev_b32_e32 v121, 16, v13
	;; [unrolled: 7-line block ×4, first 2 shown]
	v_mul_f32_e32 v13, v56, v15
	v_bfe_u32 v15, v13, 16, 1
	v_or_b32_e32 v16, 0x400000, v13
	v_cmp_u_f32_e64 s4, v13, v13
	v_add3_u32 v15, v15, v13, 0x7fff
	v_cndmask_b32_e64 v13, v15, v16, s4
	v_or_b32_e32 v15, 0x400000, v12
	v_cmp_u_f32_e64 s4, v12, v12
	v_lshrrev_b32_e32 v125, 16, v13
	v_bfe_u32 v13, v12, 16, 1
	v_add3_u32 v13, v13, v12, 0x7fff
	v_cndmask_b32_e64 v12, v13, v15, s4
	v_lshrrev_b32_e32 v126, 16, v12
	v_mul_f32_e32 v12, v56, v29
	v_bfe_u32 v13, v12, 16, 1
	v_or_b32_e32 v15, 0x400000, v12
	v_cmp_u_f32_e64 s4, v12, v12
	v_add3_u32 v13, v13, v12, 0x7fff
	v_cndmask_b32_e64 v12, v13, v15, s4
	v_lshrrev_b32_e32 v124, 16, v12
	v_mul_f32_e32 v12, v56, v28
	v_bfe_u32 v13, v12, 16, 1
	v_or_b32_e32 v15, 0x400000, v12
	v_cmp_u_f32_e64 s4, v12, v12
	v_add3_u32 v13, v13, v12, 0x7fff
	v_cndmask_b32_e64 v12, v13, v15, s4
	v_lshrrev_b32_e32 v127, 16, v12
	s_and_saveexec_b32 s18, vcc_lo
	s_cbranch_execz .LBB349_1460
; %bb.1459:                             ;   in Loop: Header=BB349_931 Depth=1
	v_cmp_lt_i32_e64 s4, v72, v32
	v_cndmask_b32_e64 v126, 0, v126, s4
	v_cmp_lt_i32_e64 s4, v79, v32
	v_cndmask_b32_e64 v125, 0, v125, s4
	;; [unrolled: 2-line block ×8, first 2 shown]
.LBB349_1460:                           ;   in Loop: Header=BB349_931 Depth=1
	s_or_b32 exec_lo, exec_lo, s18
	v_add_co_u32 v19, s4, 0x800, v19
	v_add_co_ci_u32_e64 v20, null, 0, v20, s4
	v_mov_b32_e32 v21, 0
	v_mov_b32_e32 v12, 0
	flat_load_dwordx2 v[24:25], v[19:20]
	s_waitcnt vmcnt(0) lgkmcnt(0)
	v_cmp_ne_u16_sdwa s4, v24, v14 src0_sel:BYTE_0 src1_sel:DWORD
	s_and_saveexec_b32 s18, s4
	s_cbranch_execz .LBB349_1468
; %bb.1461:                             ;   in Loop: Header=BB349_931 Depth=1
	v_cmp_ne_u16_sdwa s4, v24, v70 src0_sel:BYTE_0 src1_sel:DWORD
	v_bfrev_b32_e32 v12, 1
	s_and_saveexec_b32 s19, s4
	s_cbranch_execz .LBB349_1467
; %bb.1462:                             ;   in Loop: Header=BB349_931 Depth=1
	v_and_b32_e32 v13, 0x7f, v24
	v_mov_b32_e32 v12, 0x7f800001
	s_mov_b32 s20, exec_lo
	v_cmpx_ne_u32_e32 0x7f, v13
	s_cbranch_execz .LBB349_1466
; %bb.1463:                             ;   in Loop: Header=BB349_931 Depth=1
	v_mov_b32_e32 v27, v25
	v_lshrrev_b32_e32 v12, 3, v13
	v_mov_b32_e32 v26, v24
	s_mov_b32 s21, exec_lo
	v_cmpx_gt_u32_e32 8, v13
; %bb.1464:                             ;   in Loop: Header=BB349_931 Depth=1
	v_and_b32_e32 v12, 7, v24
	v_ffbh_u32_e32 v12, v12
	v_min_u32_e32 v12, 32, v12
	v_subrev_nc_u32_e32 v13, 28, v12
	v_sub_nc_u32_e32 v12, 29, v12
	v_lshlrev_b64 v[26:27], v13, v[24:25]
; %bb.1465:                             ;   in Loop: Header=BB349_931 Depth=1
	s_or_b32 exec_lo, exec_lo, s21
	v_lshlrev_b32_e32 v13, 20, v26
	v_lshlrev_b32_e32 v15, 24, v24
	v_lshl_add_u32 v12, v12, 23, 0x3c000000
	v_and_b32_e32 v13, 0x700000, v13
	v_and_b32_e32 v15, 0x80000000, v15
	v_or3_b32 v12, v13, v15, v12
.LBB349_1466:                           ;   in Loop: Header=BB349_931 Depth=1
	s_or_b32 exec_lo, exec_lo, s20
.LBB349_1467:                           ;   in Loop: Header=BB349_931 Depth=1
	s_or_b32 exec_lo, exec_lo, s19
.LBB349_1468:                           ;   in Loop: Header=BB349_931 Depth=1
	s_or_b32 exec_lo, exec_lo, s18
	v_cmp_ne_u16_sdwa s4, v24, v14 src0_sel:BYTE_1 src1_sel:DWORD
	s_and_saveexec_b32 s18, s4
	s_cbranch_execz .LBB349_1476
; %bb.1469:                             ;   in Loop: Header=BB349_931 Depth=1
	v_cmp_ne_u16_sdwa s4, v24, v70 src0_sel:BYTE_1 src1_sel:DWORD
	v_bfrev_b32_e32 v21, 1
	s_and_saveexec_b32 s19, s4
	s_cbranch_execz .LBB349_1475
; %bb.1470:                             ;   in Loop: Header=BB349_931 Depth=1
	v_mov_b32_e32 v13, 0xffff
	v_mov_b32_e32 v21, 0x7f800001
	s_mov_b32 s20, exec_lo
	v_and_b32_sdwa v13, v13, v24 dst_sel:DWORD dst_unused:UNUSED_PAD src0_sel:DWORD src1_sel:BYTE_1
	v_and_b32_e32 v16, 0x7f, v13
	v_cmpx_ne_u32_e32 0x7f, v16
	s_cbranch_execz .LBB349_1474
; %bb.1471:                             ;   in Loop: Header=BB349_931 Depth=1
	v_and_b32_e32 v13, 7, v13
	v_mov_b32_e32 v27, v14
	v_lshrrev_b32_e32 v15, 3, v16
	s_mov_b32 s21, exec_lo
	v_mov_b32_e32 v26, v13
	v_cmpx_gt_u32_e32 8, v16
; %bb.1472:                             ;   in Loop: Header=BB349_931 Depth=1
	v_ffbh_u32_e32 v15, v13
	v_min_u32_e32 v15, 32, v15
	v_subrev_nc_u32_e32 v16, 28, v15
	v_sub_nc_u32_e32 v15, 29, v15
	v_lshlrev_b64 v[26:27], v16, v[13:14]
	v_and_b32_e32 v26, 7, v26
; %bb.1473:                             ;   in Loop: Header=BB349_931 Depth=1
	s_or_b32 exec_lo, exec_lo, s21
	v_lshlrev_b32_e32 v13, 16, v24
	v_lshlrev_b32_e32 v16, 20, v26
	v_lshl_add_u32 v15, v15, 23, 0x3c000000
	v_and_b32_e32 v13, 0x80000000, v13
	v_or3_b32 v21, v16, v13, v15
.LBB349_1474:                           ;   in Loop: Header=BB349_931 Depth=1
	s_or_b32 exec_lo, exec_lo, s20
.LBB349_1475:                           ;   in Loop: Header=BB349_931 Depth=1
	s_or_b32 exec_lo, exec_lo, s19
.LBB349_1476:                           ;   in Loop: Header=BB349_931 Depth=1
	s_or_b32 exec_lo, exec_lo, s18
	v_and_b32_sdwa v13, v24, v80 dst_sel:DWORD dst_unused:UNUSED_PAD src0_sel:WORD_1 src1_sel:DWORD
	v_mov_b32_e32 v15, 0
	v_mov_b32_e32 v16, 0
	s_mov_b32 s18, exec_lo
	v_cmpx_ne_u16_e32 0, v13
	s_cbranch_execz .LBB349_1484
; %bb.1477:                             ;   in Loop: Header=BB349_931 Depth=1
	v_bfrev_b32_e32 v16, 1
	s_mov_b32 s19, exec_lo
	v_cmpx_ne_u16_e32 0x80, v13
	s_cbranch_execz .LBB349_1483
; %bb.1478:                             ;   in Loop: Header=BB349_931 Depth=1
	v_bfe_u32 v26, v24, 16, 7
	v_mov_b32_e32 v16, 0x7f800001
	s_mov_b32 s20, exec_lo
	v_cmpx_ne_u32_e32 0x7f, v26
	s_cbranch_execz .LBB349_1482
; %bb.1479:                             ;   in Loop: Header=BB349_931 Depth=1
	v_mov_b32_e32 v13, 7
	v_lshrrev_b32_e32 v16, 3, v26
	v_cmp_gt_u32_e64 s4, 8, v26
	v_and_b32_sdwa v13, v24, v13 dst_sel:DWORD dst_unused:UNUSED_PAD src0_sel:WORD_1 src1_sel:DWORD
	v_mov_b32_e32 v27, v14
	v_mov_b32_e32 v26, v13
	s_and_saveexec_b32 s21, s4
; %bb.1480:                             ;   in Loop: Header=BB349_931 Depth=1
	v_ffbh_u32_e32 v16, v13
	v_min_u32_e32 v16, 32, v16
	v_subrev_nc_u32_e32 v26, 28, v16
	v_sub_nc_u32_e32 v16, 29, v16
	v_lshlrev_b64 v[26:27], v26, v[13:14]
	v_and_b32_e32 v26, 7, v26
; %bb.1481:                             ;   in Loop: Header=BB349_931 Depth=1
	s_or_b32 exec_lo, exec_lo, s21
	v_mov_b32_e32 v13, 24
	v_lshlrev_b32_e32 v26, 20, v26
	v_lshl_add_u32 v16, v16, 23, 0x3c000000
	v_lshlrev_b32_sdwa v13, v13, v24 dst_sel:DWORD dst_unused:UNUSED_PAD src0_sel:DWORD src1_sel:WORD_1
	v_and_b32_e32 v13, 0x80000000, v13
	v_or3_b32 v16, v26, v13, v16
.LBB349_1482:                           ;   in Loop: Header=BB349_931 Depth=1
	s_or_b32 exec_lo, exec_lo, s20
.LBB349_1483:                           ;   in Loop: Header=BB349_931 Depth=1
	s_or_b32 exec_lo, exec_lo, s19
.LBB349_1484:                           ;   in Loop: Header=BB349_931 Depth=1
	s_or_b32 exec_lo, exec_lo, s18
	s_mov_b32 s18, exec_lo
	v_cmpx_lt_u32_e32 0xffffff, v24
	s_cbranch_execz .LBB349_1492
; %bb.1485:                             ;   in Loop: Header=BB349_931 Depth=1
	v_cmp_ne_u32_sdwa s4, v24, v70 src0_sel:BYTE_3 src1_sel:DWORD
	v_bfrev_b32_e32 v15, 1
	s_and_saveexec_b32 s19, s4
	s_cbranch_execz .LBB349_1491
; %bb.1486:                             ;   in Loop: Header=BB349_931 Depth=1
	v_bfe_u32 v26, v24, 24, 7
	v_mov_b32_e32 v15, 0x7f800001
	s_mov_b32 s20, exec_lo
	v_cmpx_ne_u32_e32 0x7f, v26
	s_cbranch_execz .LBB349_1490
; %bb.1487:                             ;   in Loop: Header=BB349_931 Depth=1
	v_mov_b32_e32 v13, 7
	v_lshrrev_b32_e32 v15, 3, v26
	v_cmp_gt_u32_e64 s4, 8, v26
	v_and_b32_sdwa v13, v24, v13 dst_sel:DWORD dst_unused:UNUSED_PAD src0_sel:BYTE_3 src1_sel:DWORD
	v_mov_b32_e32 v27, v14
	v_mov_b32_e32 v26, v13
	s_and_saveexec_b32 s21, s4
; %bb.1488:                             ;   in Loop: Header=BB349_931 Depth=1
	v_ffbh_u32_e32 v15, v13
	v_min_u32_e32 v15, 32, v15
	v_subrev_nc_u32_e32 v26, 28, v15
	v_sub_nc_u32_e32 v15, 29, v15
	v_lshlrev_b64 v[26:27], v26, v[13:14]
	v_and_b32_e32 v26, 7, v26
; %bb.1489:                             ;   in Loop: Header=BB349_931 Depth=1
	s_or_b32 exec_lo, exec_lo, s21
	v_mov_b32_e32 v13, 24
	v_lshlrev_b32_e32 v26, 20, v26
	v_lshl_add_u32 v15, v15, 23, 0x3c000000
	v_lshlrev_b32_sdwa v13, v13, v24 dst_sel:DWORD dst_unused:UNUSED_PAD src0_sel:DWORD src1_sel:BYTE_3
	v_and_b32_e32 v13, 0x80000000, v13
	v_or3_b32 v15, v26, v13, v15
.LBB349_1490:                           ;   in Loop: Header=BB349_931 Depth=1
	s_or_b32 exec_lo, exec_lo, s20
.LBB349_1491:                           ;   in Loop: Header=BB349_931 Depth=1
	s_or_b32 exec_lo, exec_lo, s19
.LBB349_1492:                           ;   in Loop: Header=BB349_931 Depth=1
	s_or_b32 exec_lo, exec_lo, s18
	v_mov_b32_e32 v13, v25
	v_cmp_ne_u16_sdwa s4, v25, v14 src0_sel:BYTE_0 src1_sel:DWORD
	v_mov_b32_e32 v29, 0
	v_mov_b32_e32 v28, 0
	s_and_saveexec_b32 s18, s4
	s_cbranch_execz .LBB349_1500
; %bb.1493:                             ;   in Loop: Header=BB349_931 Depth=1
	v_cmp_ne_u16_sdwa s4, v25, v70 src0_sel:BYTE_0 src1_sel:DWORD
	v_bfrev_b32_e32 v28, 1
	s_and_saveexec_b32 s19, s4
	s_cbranch_execz .LBB349_1499
; %bb.1494:                             ;   in Loop: Header=BB349_931 Depth=1
	v_and_b32_e32 v26, 0x7f, v25
	v_mov_b32_e32 v28, 0x7f800001
	s_mov_b32 s20, exec_lo
	v_cmpx_ne_u32_e32 0x7f, v26
	s_cbranch_execz .LBB349_1498
; %bb.1495:                             ;   in Loop: Header=BB349_931 Depth=1
	v_lshrrev_b32_e32 v28, 3, v26
	v_cmp_gt_u32_e64 s4, 8, v26
	v_mov_b32_e32 v27, v14
	v_mov_b32_e32 v26, v13
	s_and_saveexec_b32 s21, s4
; %bb.1496:                             ;   in Loop: Header=BB349_931 Depth=1
	v_and_b32_e32 v26, 7, v25
	v_ffbh_u32_e32 v26, v26
	v_min_u32_e32 v28, 32, v26
	v_subrev_nc_u32_e32 v26, 28, v28
	v_sub_nc_u32_e32 v28, 29, v28
	v_lshlrev_b64 v[26:27], v26, v[13:14]
; %bb.1497:                             ;   in Loop: Header=BB349_931 Depth=1
	s_or_b32 exec_lo, exec_lo, s21
	v_lshlrev_b32_e32 v26, 20, v26
	v_lshlrev_b32_e32 v27, 24, v13
	v_lshl_add_u32 v28, v28, 23, 0x3c000000
	v_and_b32_e32 v26, 0x700000, v26
	v_and_b32_e32 v27, 0x80000000, v27
	v_or3_b32 v28, v26, v27, v28
.LBB349_1498:                           ;   in Loop: Header=BB349_931 Depth=1
	s_or_b32 exec_lo, exec_lo, s20
.LBB349_1499:                           ;   in Loop: Header=BB349_931 Depth=1
	s_or_b32 exec_lo, exec_lo, s19
.LBB349_1500:                           ;   in Loop: Header=BB349_931 Depth=1
	s_or_b32 exec_lo, exec_lo, s18
	v_cmp_ne_u16_sdwa s4, v13, v14 src0_sel:BYTE_1 src1_sel:DWORD
	s_and_saveexec_b32 s18, s4
	s_cbranch_execz .LBB349_1508
; %bb.1501:                             ;   in Loop: Header=BB349_931 Depth=1
	v_cmp_ne_u16_sdwa s4, v13, v70 src0_sel:BYTE_1 src1_sel:DWORD
	v_bfrev_b32_e32 v29, 1
	s_and_saveexec_b32 s19, s4
	s_cbranch_execz .LBB349_1507
; %bb.1502:                             ;   in Loop: Header=BB349_931 Depth=1
	v_mov_b32_e32 v26, 0xffff
	v_mov_b32_e32 v29, 0x7f800001
	s_mov_b32 s20, exec_lo
	v_and_b32_sdwa v26, v26, v13 dst_sel:DWORD dst_unused:UNUSED_PAD src0_sel:DWORD src1_sel:BYTE_1
	v_and_b32_e32 v30, 0x7f, v26
	v_cmpx_ne_u32_e32 0x7f, v30
	s_cbranch_execz .LBB349_1506
; %bb.1503:                             ;   in Loop: Header=BB349_931 Depth=1
	v_and_b32_e32 v26, 7, v26
	v_mov_b32_e32 v27, v14
	v_lshrrev_b32_e32 v29, 3, v30
	s_mov_b32 s21, exec_lo
	v_cmpx_gt_u32_e32 8, v30
; %bb.1504:                             ;   in Loop: Header=BB349_931 Depth=1
	v_ffbh_u32_e32 v29, v26
	v_min_u32_e32 v29, 32, v29
	v_subrev_nc_u32_e32 v30, 28, v29
	v_sub_nc_u32_e32 v29, 29, v29
	v_lshlrev_b64 v[26:27], v30, v[26:27]
	v_and_b32_e32 v26, 7, v26
; %bb.1505:                             ;   in Loop: Header=BB349_931 Depth=1
	s_or_b32 exec_lo, exec_lo, s21
	v_lshlrev_b32_e32 v13, 16, v13
	v_lshlrev_b32_e32 v26, 20, v26
	v_lshl_add_u32 v27, v29, 23, 0x3c000000
	v_and_b32_e32 v13, 0x80000000, v13
	v_or3_b32 v29, v26, v13, v27
.LBB349_1506:                           ;   in Loop: Header=BB349_931 Depth=1
	s_or_b32 exec_lo, exec_lo, s20
.LBB349_1507:                           ;   in Loop: Header=BB349_931 Depth=1
	s_or_b32 exec_lo, exec_lo, s19
.LBB349_1508:                           ;   in Loop: Header=BB349_931 Depth=1
	s_or_b32 exec_lo, exec_lo, s18
	v_and_b32_sdwa v13, v25, v80 dst_sel:DWORD dst_unused:UNUSED_PAD src0_sel:WORD_1 src1_sel:DWORD
	v_mov_b32_e32 v30, 0
	v_mov_b32_e32 v35, 0
	s_mov_b32 s18, exec_lo
	v_cmpx_ne_u16_e32 0, v13
	s_cbranch_execz .LBB349_1516
; %bb.1509:                             ;   in Loop: Header=BB349_931 Depth=1
	v_bfrev_b32_e32 v35, 1
	s_mov_b32 s19, exec_lo
	v_cmpx_ne_u16_e32 0x80, v13
	s_cbranch_execz .LBB349_1515
; %bb.1510:                             ;   in Loop: Header=BB349_931 Depth=1
	v_bfe_u32 v26, v25, 16, 7
	v_mov_b32_e32 v35, 0x7f800001
	s_mov_b32 s20, exec_lo
	v_cmpx_ne_u32_e32 0x7f, v26
	s_cbranch_execz .LBB349_1514
; %bb.1511:                             ;   in Loop: Header=BB349_931 Depth=1
	v_mov_b32_e32 v13, 7
	v_lshrrev_b32_e32 v35, 3, v26
	v_cmp_gt_u32_e64 s4, 8, v26
	v_and_b32_sdwa v13, v25, v13 dst_sel:DWORD dst_unused:UNUSED_PAD src0_sel:WORD_1 src1_sel:DWORD
	v_mov_b32_e32 v27, v14
	v_mov_b32_e32 v26, v13
	s_and_saveexec_b32 s21, s4
; %bb.1512:                             ;   in Loop: Header=BB349_931 Depth=1
	v_ffbh_u32_e32 v26, v13
	v_min_u32_e32 v35, 32, v26
	v_subrev_nc_u32_e32 v26, 28, v35
	v_sub_nc_u32_e32 v35, 29, v35
	v_lshlrev_b64 v[26:27], v26, v[13:14]
	v_and_b32_e32 v26, 7, v26
; %bb.1513:                             ;   in Loop: Header=BB349_931 Depth=1
	s_or_b32 exec_lo, exec_lo, s21
	v_mov_b32_e32 v13, 24
	v_lshlrev_b32_e32 v26, 20, v26
	v_lshl_add_u32 v27, v35, 23, 0x3c000000
	v_lshlrev_b32_sdwa v13, v13, v25 dst_sel:DWORD dst_unused:UNUSED_PAD src0_sel:DWORD src1_sel:WORD_1
	v_and_b32_e32 v13, 0x80000000, v13
	v_or3_b32 v35, v26, v13, v27
.LBB349_1514:                           ;   in Loop: Header=BB349_931 Depth=1
	s_or_b32 exec_lo, exec_lo, s20
.LBB349_1515:                           ;   in Loop: Header=BB349_931 Depth=1
	s_or_b32 exec_lo, exec_lo, s19
.LBB349_1516:                           ;   in Loop: Header=BB349_931 Depth=1
	s_or_b32 exec_lo, exec_lo, s18
	s_mov_b32 s18, exec_lo
	v_cmpx_lt_u64_e64 s[6:7], v[24:25]
	s_cbranch_execz .LBB349_1524
; %bb.1517:                             ;   in Loop: Header=BB349_931 Depth=1
	v_cmp_ne_u32_sdwa s4, v25, v70 src0_sel:BYTE_3 src1_sel:DWORD
	v_bfrev_b32_e32 v30, 1
	s_and_saveexec_b32 s19, s4
	s_cbranch_execz .LBB349_1523
; %bb.1518:                             ;   in Loop: Header=BB349_931 Depth=1
	v_bfe_u32 v26, v25, 24, 7
	v_mov_b32_e32 v30, 0x7f800001
	s_mov_b32 s20, exec_lo
	v_cmpx_ne_u32_e32 0x7f, v26
	s_cbranch_execz .LBB349_1522
; %bb.1519:                             ;   in Loop: Header=BB349_931 Depth=1
	v_mov_b32_e32 v13, 7
	v_lshrrev_b32_e32 v24, 3, v26
	v_cmp_gt_u32_e64 s4, 8, v26
	v_and_b32_sdwa v13, v25, v13 dst_sel:DWORD dst_unused:UNUSED_PAD src0_sel:BYTE_3 src1_sel:DWORD
	v_mov_b32_e32 v27, v14
	v_mov_b32_e32 v26, v13
	s_and_saveexec_b32 s21, s4
; %bb.1520:                             ;   in Loop: Header=BB349_931 Depth=1
	v_ffbh_u32_e32 v24, v13
	v_min_u32_e32 v24, 32, v24
	v_subrev_nc_u32_e32 v26, 28, v24
	v_sub_nc_u32_e32 v24, 29, v24
	v_lshlrev_b64 v[26:27], v26, v[13:14]
	v_and_b32_e32 v26, 7, v26
; %bb.1521:                             ;   in Loop: Header=BB349_931 Depth=1
	s_or_b32 exec_lo, exec_lo, s21
	v_mov_b32_e32 v13, 24
	v_lshl_add_u32 v24, v24, 23, 0x3c000000
	v_lshlrev_b32_sdwa v13, v13, v25 dst_sel:DWORD dst_unused:UNUSED_PAD src0_sel:DWORD src1_sel:BYTE_3
	v_lshlrev_b32_e32 v25, 20, v26
	v_and_b32_e32 v13, 0x80000000, v13
	v_or3_b32 v30, v25, v13, v24
.LBB349_1522:                           ;   in Loop: Header=BB349_931 Depth=1
	s_or_b32 exec_lo, exec_lo, s20
.LBB349_1523:                           ;   in Loop: Header=BB349_931 Depth=1
	s_or_b32 exec_lo, exec_lo, s19
.LBB349_1524:                           ;   in Loop: Header=BB349_931 Depth=1
	s_or_b32 exec_lo, exec_lo, s18
	v_mul_f32_e32 v13, v56, v29
	v_mul_f32_e32 v12, v56, v12
	v_bfe_u32 v24, v13, 16, 1
	v_or_b32_e32 v25, 0x400000, v13
	v_cmp_u_f32_e64 s4, v13, v13
	v_add3_u32 v24, v24, v13, 0x7fff
	v_cndmask_b32_e64 v13, v24, v25, s4
	v_lshrrev_b32_e32 v29, 16, v13
	v_mul_f32_e32 v13, v56, v28
	v_bfe_u32 v24, v13, 16, 1
	v_or_b32_e32 v25, 0x400000, v13
	v_cmp_u_f32_e64 s4, v13, v13
	v_add3_u32 v24, v24, v13, 0x7fff
	v_cndmask_b32_e64 v13, v24, v25, s4
	v_lshrrev_b32_e32 v83, 16, v13
	;; [unrolled: 7-line block ×4, first 2 shown]
	v_mul_f32_e32 v13, v56, v21
	v_bfe_u32 v21, v13, 16, 1
	v_or_b32_e32 v24, 0x400000, v13
	v_cmp_u_f32_e64 s4, v13, v13
	v_add3_u32 v21, v21, v13, 0x7fff
	v_cndmask_b32_e64 v13, v21, v24, s4
	v_or_b32_e32 v24, 0x400000, v12
	v_cmp_u_f32_e64 s4, v12, v12
	v_lshrrev_b32_e32 v21, 16, v13
	v_bfe_u32 v13, v12, 16, 1
	v_add3_u32 v13, v13, v12, 0x7fff
	v_cndmask_b32_e64 v12, v13, v24, s4
	v_lshrrev_b32_e32 v28, 16, v12
	v_mul_f32_e32 v12, v56, v35
	v_bfe_u32 v13, v12, 16, 1
	v_or_b32_e32 v24, 0x400000, v12
	v_cmp_u_f32_e64 s4, v12, v12
	v_add3_u32 v13, v13, v12, 0x7fff
	v_cndmask_b32_e64 v12, v13, v24, s4
	v_lshrrev_b32_e32 v85, 16, v12
	v_mul_f32_e32 v12, v56, v30
	v_bfe_u32 v13, v12, 16, 1
	v_or_b32_e32 v24, 0x400000, v12
	v_cmp_u_f32_e64 s4, v12, v12
	v_add3_u32 v13, v13, v12, 0x7fff
	v_cndmask_b32_e64 v12, v13, v24, s4
	v_lshrrev_b32_e32 v30, 16, v12
	s_and_saveexec_b32 s18, vcc_lo
	s_cbranch_execz .LBB349_1526
; %bb.1525:                             ;   in Loop: Header=BB349_931 Depth=1
	v_cmp_lt_i32_e64 s4, v72, v32
	v_cndmask_b32_e64 v28, 0, v28, s4
	v_cmp_lt_i32_e64 s4, v79, v32
	v_cndmask_b32_e64 v21, 0, v21, s4
	;; [unrolled: 2-line block ×8, first 2 shown]
.LBB349_1526:                           ;   in Loop: Header=BB349_931 Depth=1
	s_or_b32 exec_lo, exec_lo, s18
	flat_load_dwordx2 v[24:25], v[19:20] offset:256
	v_mov_b32_e32 v35, 0
	v_mov_b32_e32 v12, 0
	s_waitcnt vmcnt(0) lgkmcnt(0)
	v_cmp_ne_u16_sdwa s4, v24, v14 src0_sel:BYTE_0 src1_sel:DWORD
	s_and_saveexec_b32 s18, s4
	s_cbranch_execz .LBB349_1534
; %bb.1527:                             ;   in Loop: Header=BB349_931 Depth=1
	v_cmp_ne_u16_sdwa s4, v24, v70 src0_sel:BYTE_0 src1_sel:DWORD
	v_bfrev_b32_e32 v12, 1
	s_and_saveexec_b32 s19, s4
	s_cbranch_execz .LBB349_1533
; %bb.1528:                             ;   in Loop: Header=BB349_931 Depth=1
	v_and_b32_e32 v13, 0x7f, v24
	v_mov_b32_e32 v12, 0x7f800001
	s_mov_b32 s20, exec_lo
	v_cmpx_ne_u32_e32 0x7f, v13
	s_cbranch_execz .LBB349_1532
; %bb.1529:                             ;   in Loop: Header=BB349_931 Depth=1
	v_mov_b32_e32 v27, v25
	v_lshrrev_b32_e32 v12, 3, v13
	v_mov_b32_e32 v26, v24
	s_mov_b32 s21, exec_lo
	v_cmpx_gt_u32_e32 8, v13
; %bb.1530:                             ;   in Loop: Header=BB349_931 Depth=1
	v_and_b32_e32 v12, 7, v24
	v_ffbh_u32_e32 v12, v12
	v_min_u32_e32 v12, 32, v12
	v_subrev_nc_u32_e32 v13, 28, v12
	v_sub_nc_u32_e32 v12, 29, v12
	v_lshlrev_b64 v[26:27], v13, v[24:25]
; %bb.1531:                             ;   in Loop: Header=BB349_931 Depth=1
	s_or_b32 exec_lo, exec_lo, s21
	v_lshlrev_b32_e32 v13, 20, v26
	v_lshlrev_b32_e32 v26, 24, v24
	v_lshl_add_u32 v12, v12, 23, 0x3c000000
	v_and_b32_e32 v13, 0x700000, v13
	v_and_b32_e32 v26, 0x80000000, v26
	v_or3_b32 v12, v13, v26, v12
.LBB349_1532:                           ;   in Loop: Header=BB349_931 Depth=1
	s_or_b32 exec_lo, exec_lo, s20
.LBB349_1533:                           ;   in Loop: Header=BB349_931 Depth=1
	s_or_b32 exec_lo, exec_lo, s19
.LBB349_1534:                           ;   in Loop: Header=BB349_931 Depth=1
	s_or_b32 exec_lo, exec_lo, s18
	v_cmp_ne_u16_sdwa s4, v24, v14 src0_sel:BYTE_1 src1_sel:DWORD
	s_and_saveexec_b32 s18, s4
	s_cbranch_execz .LBB349_1542
; %bb.1535:                             ;   in Loop: Header=BB349_931 Depth=1
	v_cmp_ne_u16_sdwa s4, v24, v70 src0_sel:BYTE_1 src1_sel:DWORD
	v_bfrev_b32_e32 v35, 1
	s_and_saveexec_b32 s19, s4
	s_cbranch_execz .LBB349_1541
; %bb.1536:                             ;   in Loop: Header=BB349_931 Depth=1
	v_mov_b32_e32 v13, 0xffff
	v_mov_b32_e32 v35, 0x7f800001
	s_mov_b32 s20, exec_lo
	v_and_b32_sdwa v13, v13, v24 dst_sel:DWORD dst_unused:UNUSED_PAD src0_sel:DWORD src1_sel:BYTE_1
	v_and_b32_e32 v26, 0x7f, v13
	v_cmpx_ne_u32_e32 0x7f, v26
	s_cbranch_execz .LBB349_1540
; %bb.1537:                             ;   in Loop: Header=BB349_931 Depth=1
	v_and_b32_e32 v13, 7, v13
	v_lshrrev_b32_e32 v35, 3, v26
	v_cmp_gt_u32_e64 s4, 8, v26
	v_mov_b32_e32 v27, v14
	v_mov_b32_e32 v26, v13
	s_and_saveexec_b32 s21, s4
; %bb.1538:                             ;   in Loop: Header=BB349_931 Depth=1
	v_ffbh_u32_e32 v26, v13
	v_min_u32_e32 v35, 32, v26
	v_subrev_nc_u32_e32 v26, 28, v35
	v_sub_nc_u32_e32 v35, 29, v35
	v_lshlrev_b64 v[26:27], v26, v[13:14]
	v_and_b32_e32 v26, 7, v26
; %bb.1539:                             ;   in Loop: Header=BB349_931 Depth=1
	s_or_b32 exec_lo, exec_lo, s21
	v_lshlrev_b32_e32 v13, 16, v24
	v_lshlrev_b32_e32 v26, 20, v26
	v_lshl_add_u32 v27, v35, 23, 0x3c000000
	v_and_b32_e32 v13, 0x80000000, v13
	v_or3_b32 v35, v26, v13, v27
.LBB349_1540:                           ;   in Loop: Header=BB349_931 Depth=1
	s_or_b32 exec_lo, exec_lo, s20
.LBB349_1541:                           ;   in Loop: Header=BB349_931 Depth=1
	s_or_b32 exec_lo, exec_lo, s19
.LBB349_1542:                           ;   in Loop: Header=BB349_931 Depth=1
	s_or_b32 exec_lo, exec_lo, s18
	v_and_b32_sdwa v13, v24, v80 dst_sel:DWORD dst_unused:UNUSED_PAD src0_sel:WORD_1 src1_sel:DWORD
	v_mov_b32_e32 v38, 0
	v_mov_b32_e32 v36, 0
	s_mov_b32 s18, exec_lo
	v_cmpx_ne_u16_e32 0, v13
	s_cbranch_execz .LBB349_1550
; %bb.1543:                             ;   in Loop: Header=BB349_931 Depth=1
	v_bfrev_b32_e32 v36, 1
	s_mov_b32 s19, exec_lo
	v_cmpx_ne_u16_e32 0x80, v13
	s_cbranch_execz .LBB349_1549
; %bb.1544:                             ;   in Loop: Header=BB349_931 Depth=1
	v_bfe_u32 v26, v24, 16, 7
	v_mov_b32_e32 v36, 0x7f800001
	s_mov_b32 s20, exec_lo
	v_cmpx_ne_u32_e32 0x7f, v26
	s_cbranch_execz .LBB349_1548
; %bb.1545:                             ;   in Loop: Header=BB349_931 Depth=1
	v_mov_b32_e32 v13, 7
	v_lshrrev_b32_e32 v36, 3, v26
	v_cmp_gt_u32_e64 s4, 8, v26
	v_and_b32_sdwa v13, v24, v13 dst_sel:DWORD dst_unused:UNUSED_PAD src0_sel:WORD_1 src1_sel:DWORD
	v_mov_b32_e32 v27, v14
	v_mov_b32_e32 v26, v13
	s_and_saveexec_b32 s21, s4
; %bb.1546:                             ;   in Loop: Header=BB349_931 Depth=1
	v_ffbh_u32_e32 v26, v13
	v_min_u32_e32 v36, 32, v26
	v_subrev_nc_u32_e32 v26, 28, v36
	v_sub_nc_u32_e32 v36, 29, v36
	v_lshlrev_b64 v[26:27], v26, v[13:14]
	v_and_b32_e32 v26, 7, v26
; %bb.1547:                             ;   in Loop: Header=BB349_931 Depth=1
	s_or_b32 exec_lo, exec_lo, s21
	v_mov_b32_e32 v13, 24
	v_lshlrev_b32_e32 v26, 20, v26
	v_lshl_add_u32 v27, v36, 23, 0x3c000000
	v_lshlrev_b32_sdwa v13, v13, v24 dst_sel:DWORD dst_unused:UNUSED_PAD src0_sel:DWORD src1_sel:WORD_1
	v_and_b32_e32 v13, 0x80000000, v13
	v_or3_b32 v36, v26, v13, v27
.LBB349_1548:                           ;   in Loop: Header=BB349_931 Depth=1
	s_or_b32 exec_lo, exec_lo, s20
.LBB349_1549:                           ;   in Loop: Header=BB349_931 Depth=1
	s_or_b32 exec_lo, exec_lo, s19
.LBB349_1550:                           ;   in Loop: Header=BB349_931 Depth=1
	s_or_b32 exec_lo, exec_lo, s18
	s_mov_b32 s18, exec_lo
	v_cmpx_lt_u32_e32 0xffffff, v24
	s_cbranch_execz .LBB349_1558
; %bb.1551:                             ;   in Loop: Header=BB349_931 Depth=1
	v_cmp_ne_u32_sdwa s4, v24, v70 src0_sel:BYTE_3 src1_sel:DWORD
	v_bfrev_b32_e32 v38, 1
	s_and_saveexec_b32 s19, s4
	s_cbranch_execz .LBB349_1557
; %bb.1552:                             ;   in Loop: Header=BB349_931 Depth=1
	v_bfe_u32 v26, v24, 24, 7
	v_mov_b32_e32 v38, 0x7f800001
	s_mov_b32 s20, exec_lo
	v_cmpx_ne_u32_e32 0x7f, v26
	s_cbranch_execz .LBB349_1556
; %bb.1553:                             ;   in Loop: Header=BB349_931 Depth=1
	v_mov_b32_e32 v13, 7
	v_lshrrev_b32_e32 v38, 3, v26
	v_cmp_gt_u32_e64 s4, 8, v26
	v_and_b32_sdwa v13, v24, v13 dst_sel:DWORD dst_unused:UNUSED_PAD src0_sel:BYTE_3 src1_sel:DWORD
	v_mov_b32_e32 v27, v14
	v_mov_b32_e32 v26, v13
	s_and_saveexec_b32 s21, s4
; %bb.1554:                             ;   in Loop: Header=BB349_931 Depth=1
	v_ffbh_u32_e32 v26, v13
	v_min_u32_e32 v38, 32, v26
	v_subrev_nc_u32_e32 v26, 28, v38
	v_sub_nc_u32_e32 v38, 29, v38
	v_lshlrev_b64 v[26:27], v26, v[13:14]
	v_and_b32_e32 v26, 7, v26
; %bb.1555:                             ;   in Loop: Header=BB349_931 Depth=1
	s_or_b32 exec_lo, exec_lo, s21
	v_mov_b32_e32 v13, 24
	v_lshlrev_b32_e32 v26, 20, v26
	v_lshl_add_u32 v27, v38, 23, 0x3c000000
	v_lshlrev_b32_sdwa v13, v13, v24 dst_sel:DWORD dst_unused:UNUSED_PAD src0_sel:DWORD src1_sel:BYTE_3
	v_and_b32_e32 v13, 0x80000000, v13
	v_or3_b32 v38, v26, v13, v27
.LBB349_1556:                           ;   in Loop: Header=BB349_931 Depth=1
	s_or_b32 exec_lo, exec_lo, s20
.LBB349_1557:                           ;   in Loop: Header=BB349_931 Depth=1
	s_or_b32 exec_lo, exec_lo, s19
.LBB349_1558:                           ;   in Loop: Header=BB349_931 Depth=1
	s_or_b32 exec_lo, exec_lo, s18
	v_mov_b32_e32 v13, v25
	v_cmp_ne_u16_sdwa s4, v25, v14 src0_sel:BYTE_0 src1_sel:DWORD
	v_mov_b32_e32 v48, 0
	v_mov_b32_e32 v49, 0
	s_and_saveexec_b32 s18, s4
	s_cbranch_execz .LBB349_1566
; %bb.1559:                             ;   in Loop: Header=BB349_931 Depth=1
	v_cmp_ne_u16_sdwa s4, v25, v70 src0_sel:BYTE_0 src1_sel:DWORD
	v_bfrev_b32_e32 v49, 1
	s_and_saveexec_b32 s19, s4
	s_cbranch_execz .LBB349_1565
; %bb.1560:                             ;   in Loop: Header=BB349_931 Depth=1
	v_and_b32_e32 v26, 0x7f, v25
	v_mov_b32_e32 v49, 0x7f800001
	s_mov_b32 s20, exec_lo
	v_cmpx_ne_u32_e32 0x7f, v26
	s_cbranch_execz .LBB349_1564
; %bb.1561:                             ;   in Loop: Header=BB349_931 Depth=1
	v_lshrrev_b32_e32 v39, 3, v26
	v_cmp_gt_u32_e64 s4, 8, v26
	v_mov_b32_e32 v27, v14
	v_mov_b32_e32 v26, v13
	s_and_saveexec_b32 s21, s4
; %bb.1562:                             ;   in Loop: Header=BB349_931 Depth=1
	v_and_b32_e32 v26, 7, v25
	v_ffbh_u32_e32 v26, v26
	v_min_u32_e32 v39, 32, v26
	v_subrev_nc_u32_e32 v26, 28, v39
	v_sub_nc_u32_e32 v39, 29, v39
	v_lshlrev_b64 v[26:27], v26, v[13:14]
; %bb.1563:                             ;   in Loop: Header=BB349_931 Depth=1
	s_or_b32 exec_lo, exec_lo, s21
	v_lshlrev_b32_e32 v26, 20, v26
	v_lshlrev_b32_e32 v27, 24, v13
	v_lshl_add_u32 v39, v39, 23, 0x3c000000
	v_and_b32_e32 v26, 0x700000, v26
	v_and_b32_e32 v27, 0x80000000, v27
	v_or3_b32 v49, v26, v27, v39
.LBB349_1564:                           ;   in Loop: Header=BB349_931 Depth=1
	s_or_b32 exec_lo, exec_lo, s20
.LBB349_1565:                           ;   in Loop: Header=BB349_931 Depth=1
	s_or_b32 exec_lo, exec_lo, s19
.LBB349_1566:                           ;   in Loop: Header=BB349_931 Depth=1
	s_or_b32 exec_lo, exec_lo, s18
	v_cmp_ne_u16_sdwa s4, v13, v14 src0_sel:BYTE_1 src1_sel:DWORD
	s_and_saveexec_b32 s18, s4
	s_cbranch_execz .LBB349_1574
; %bb.1567:                             ;   in Loop: Header=BB349_931 Depth=1
	v_cmp_ne_u16_sdwa s4, v13, v70 src0_sel:BYTE_1 src1_sel:DWORD
	v_bfrev_b32_e32 v48, 1
	s_and_saveexec_b32 s19, s4
	s_cbranch_execz .LBB349_1573
; %bb.1568:                             ;   in Loop: Header=BB349_931 Depth=1
	v_mov_b32_e32 v26, 0xffff
	v_mov_b32_e32 v48, 0x7f800001
	s_mov_b32 s20, exec_lo
	v_and_b32_sdwa v26, v26, v13 dst_sel:DWORD dst_unused:UNUSED_PAD src0_sel:DWORD src1_sel:BYTE_1
	v_and_b32_e32 v50, 0x7f, v26
	v_cmpx_ne_u32_e32 0x7f, v50
	s_cbranch_execz .LBB349_1572
; %bb.1569:                             ;   in Loop: Header=BB349_931 Depth=1
	v_and_b32_e32 v26, 7, v26
	v_mov_b32_e32 v27, v14
	v_lshrrev_b32_e32 v39, 3, v50
	s_mov_b32 s21, exec_lo
	v_cmpx_gt_u32_e32 8, v50
; %bb.1570:                             ;   in Loop: Header=BB349_931 Depth=1
	v_ffbh_u32_e32 v39, v26
	v_min_u32_e32 v39, 32, v39
	v_subrev_nc_u32_e32 v48, 28, v39
	v_sub_nc_u32_e32 v39, 29, v39
	v_lshlrev_b64 v[26:27], v48, v[26:27]
	v_and_b32_e32 v26, 7, v26
; %bb.1571:                             ;   in Loop: Header=BB349_931 Depth=1
	s_or_b32 exec_lo, exec_lo, s21
	v_lshlrev_b32_e32 v13, 16, v13
	v_lshlrev_b32_e32 v26, 20, v26
	v_lshl_add_u32 v27, v39, 23, 0x3c000000
	v_and_b32_e32 v13, 0x80000000, v13
	v_or3_b32 v48, v26, v13, v27
.LBB349_1572:                           ;   in Loop: Header=BB349_931 Depth=1
	s_or_b32 exec_lo, exec_lo, s20
.LBB349_1573:                           ;   in Loop: Header=BB349_931 Depth=1
	s_or_b32 exec_lo, exec_lo, s19
.LBB349_1574:                           ;   in Loop: Header=BB349_931 Depth=1
	s_or_b32 exec_lo, exec_lo, s18
	v_and_b32_sdwa v13, v25, v80 dst_sel:DWORD dst_unused:UNUSED_PAD src0_sel:WORD_1 src1_sel:DWORD
	v_mov_b32_e32 v39, 0
	v_mov_b32_e32 v52, 0
	s_mov_b32 s18, exec_lo
	v_cmpx_ne_u16_e32 0, v13
	s_cbranch_execz .LBB349_1582
; %bb.1575:                             ;   in Loop: Header=BB349_931 Depth=1
	v_bfrev_b32_e32 v52, 1
	s_mov_b32 s19, exec_lo
	v_cmpx_ne_u16_e32 0x80, v13
	s_cbranch_execz .LBB349_1581
; %bb.1576:                             ;   in Loop: Header=BB349_931 Depth=1
	v_bfe_u32 v26, v25, 16, 7
	v_mov_b32_e32 v52, 0x7f800001
	s_mov_b32 s20, exec_lo
	v_cmpx_ne_u32_e32 0x7f, v26
	s_cbranch_execz .LBB349_1580
; %bb.1577:                             ;   in Loop: Header=BB349_931 Depth=1
	v_mov_b32_e32 v13, 7
	v_lshrrev_b32_e32 v50, 3, v26
	v_cmp_gt_u32_e64 s4, 8, v26
	v_and_b32_sdwa v13, v25, v13 dst_sel:DWORD dst_unused:UNUSED_PAD src0_sel:WORD_1 src1_sel:DWORD
	v_mov_b32_e32 v27, v14
	v_mov_b32_e32 v26, v13
	s_and_saveexec_b32 s21, s4
; %bb.1578:                             ;   in Loop: Header=BB349_931 Depth=1
	v_ffbh_u32_e32 v26, v13
	v_min_u32_e32 v50, 32, v26
	v_subrev_nc_u32_e32 v26, 28, v50
	v_sub_nc_u32_e32 v50, 29, v50
	v_lshlrev_b64 v[26:27], v26, v[13:14]
	v_and_b32_e32 v26, 7, v26
; %bb.1579:                             ;   in Loop: Header=BB349_931 Depth=1
	s_or_b32 exec_lo, exec_lo, s21
	v_mov_b32_e32 v13, 24
	v_lshlrev_b32_e32 v26, 20, v26
	v_lshl_add_u32 v27, v50, 23, 0x3c000000
	v_lshlrev_b32_sdwa v13, v13, v25 dst_sel:DWORD dst_unused:UNUSED_PAD src0_sel:DWORD src1_sel:WORD_1
	v_and_b32_e32 v13, 0x80000000, v13
	v_or3_b32 v52, v26, v13, v27
.LBB349_1580:                           ;   in Loop: Header=BB349_931 Depth=1
	s_or_b32 exec_lo, exec_lo, s20
.LBB349_1581:                           ;   in Loop: Header=BB349_931 Depth=1
	s_or_b32 exec_lo, exec_lo, s19
.LBB349_1582:                           ;   in Loop: Header=BB349_931 Depth=1
	s_or_b32 exec_lo, exec_lo, s18
	s_mov_b32 s18, exec_lo
	v_cmpx_lt_u64_e64 s[6:7], v[24:25]
	s_cbranch_execz .LBB349_1590
; %bb.1583:                             ;   in Loop: Header=BB349_931 Depth=1
	v_cmp_ne_u32_sdwa s4, v25, v70 src0_sel:BYTE_3 src1_sel:DWORD
	v_bfrev_b32_e32 v39, 1
	s_and_saveexec_b32 s19, s4
	s_cbranch_execz .LBB349_1589
; %bb.1584:                             ;   in Loop: Header=BB349_931 Depth=1
	v_bfe_u32 v26, v25, 24, 7
	v_mov_b32_e32 v39, 0x7f800001
	s_mov_b32 s20, exec_lo
	v_cmpx_ne_u32_e32 0x7f, v26
	s_cbranch_execz .LBB349_1588
; %bb.1585:                             ;   in Loop: Header=BB349_931 Depth=1
	v_mov_b32_e32 v13, 7
	v_lshrrev_b32_e32 v24, 3, v26
	v_cmp_gt_u32_e64 s4, 8, v26
	v_and_b32_sdwa v13, v25, v13 dst_sel:DWORD dst_unused:UNUSED_PAD src0_sel:BYTE_3 src1_sel:DWORD
	v_mov_b32_e32 v27, v14
	v_mov_b32_e32 v26, v13
	s_and_saveexec_b32 s21, s4
; %bb.1586:                             ;   in Loop: Header=BB349_931 Depth=1
	v_ffbh_u32_e32 v24, v13
	v_min_u32_e32 v24, 32, v24
	v_subrev_nc_u32_e32 v26, 28, v24
	v_sub_nc_u32_e32 v24, 29, v24
	v_lshlrev_b64 v[26:27], v26, v[13:14]
	v_and_b32_e32 v26, 7, v26
; %bb.1587:                             ;   in Loop: Header=BB349_931 Depth=1
	s_or_b32 exec_lo, exec_lo, s21
	v_mov_b32_e32 v13, 24
	v_lshl_add_u32 v24, v24, 23, 0x3c000000
	v_lshlrev_b32_sdwa v13, v13, v25 dst_sel:DWORD dst_unused:UNUSED_PAD src0_sel:DWORD src1_sel:BYTE_3
	v_lshlrev_b32_e32 v25, 20, v26
	v_and_b32_e32 v13, 0x80000000, v13
	v_or3_b32 v39, v25, v13, v24
.LBB349_1588:                           ;   in Loop: Header=BB349_931 Depth=1
	s_or_b32 exec_lo, exec_lo, s20
.LBB349_1589:                           ;   in Loop: Header=BB349_931 Depth=1
	s_or_b32 exec_lo, exec_lo, s19
.LBB349_1590:                           ;   in Loop: Header=BB349_931 Depth=1
	s_or_b32 exec_lo, exec_lo, s18
	v_mul_f32_e32 v13, v56, v48
	v_mul_f32_e32 v12, v56, v12
	v_bfe_u32 v24, v13, 16, 1
	v_or_b32_e32 v25, 0x400000, v13
	v_cmp_u_f32_e64 s4, v13, v13
	v_add3_u32 v24, v24, v13, 0x7fff
	v_cndmask_b32_e64 v13, v24, v25, s4
	v_lshrrev_b32_e32 v48, 16, v13
	v_mul_f32_e32 v13, v56, v49
	v_bfe_u32 v24, v13, 16, 1
	v_or_b32_e32 v25, 0x400000, v13
	v_cmp_u_f32_e64 s4, v13, v13
	v_add3_u32 v24, v24, v13, 0x7fff
	v_cndmask_b32_e64 v13, v24, v25, s4
	v_lshrrev_b32_e32 v49, 16, v13
	v_mul_f32_e32 v13, v56, v38
	v_bfe_u32 v24, v13, 16, 1
	v_or_b32_e32 v25, 0x400000, v13
	v_cmp_u_f32_e64 s4, v13, v13
	v_add3_u32 v24, v24, v13, 0x7fff
	v_cndmask_b32_e64 v13, v24, v25, s4
	v_lshrrev_b32_e32 v50, 16, v13
	v_mul_f32_e32 v13, v56, v36
	v_bfe_u32 v24, v13, 16, 1
	v_or_b32_e32 v25, 0x400000, v13
	v_cmp_u_f32_e64 s4, v13, v13
	v_add3_u32 v24, v24, v13, 0x7fff
	v_cndmask_b32_e64 v13, v24, v25, s4
	v_lshrrev_b32_e32 v51, 16, v13
	v_mul_f32_e32 v13, v56, v35
	v_bfe_u32 v24, v13, 16, 1
	v_or_b32_e32 v25, 0x400000, v13
	v_cmp_u_f32_e64 s4, v13, v13
	v_add3_u32 v24, v24, v13, 0x7fff
	v_cndmask_b32_e64 v13, v24, v25, s4
	v_or_b32_e32 v24, 0x400000, v12
	v_cmp_u_f32_e64 s4, v12, v12
	v_lshrrev_b32_e32 v53, 16, v13
	v_bfe_u32 v13, v12, 16, 1
	v_add3_u32 v13, v13, v12, 0x7fff
	v_cndmask_b32_e64 v12, v13, v24, s4
	v_lshrrev_b32_e32 v54, 16, v12
	v_mul_f32_e32 v12, v56, v52
	v_bfe_u32 v13, v12, 16, 1
	v_or_b32_e32 v24, 0x400000, v12
	v_cmp_u_f32_e64 s4, v12, v12
	v_add3_u32 v13, v13, v12, 0x7fff
	v_cndmask_b32_e64 v12, v13, v24, s4
	v_lshrrev_b32_e32 v52, 16, v12
	v_mul_f32_e32 v12, v56, v39
	v_bfe_u32 v13, v12, 16, 1
	v_or_b32_e32 v24, 0x400000, v12
	v_cmp_u_f32_e64 s4, v12, v12
	v_add3_u32 v13, v13, v12, 0x7fff
	v_cndmask_b32_e64 v12, v13, v24, s4
	v_lshrrev_b32_e32 v55, 16, v12
	s_and_saveexec_b32 s18, vcc_lo
	s_cbranch_execz .LBB349_1592
; %bb.1591:                             ;   in Loop: Header=BB349_931 Depth=1
	v_cmp_lt_i32_e64 s4, v72, v32
	v_cndmask_b32_e64 v54, 0, v54, s4
	v_cmp_lt_i32_e64 s4, v79, v32
	v_cndmask_b32_e64 v53, 0, v53, s4
	;; [unrolled: 2-line block ×8, first 2 shown]
.LBB349_1592:                           ;   in Loop: Header=BB349_931 Depth=1
	s_or_b32 exec_lo, exec_lo, s18
	flat_load_dwordx2 v[24:25], v[19:20] offset:512
	v_mov_b32_e32 v35, 0
	v_mov_b32_e32 v12, 0
	s_waitcnt vmcnt(0) lgkmcnt(0)
	v_cmp_ne_u16_sdwa s4, v24, v14 src0_sel:BYTE_0 src1_sel:DWORD
	s_and_saveexec_b32 s18, s4
	s_cbranch_execz .LBB349_1600
; %bb.1593:                             ;   in Loop: Header=BB349_931 Depth=1
	v_cmp_ne_u16_sdwa s4, v24, v70 src0_sel:BYTE_0 src1_sel:DWORD
	v_bfrev_b32_e32 v12, 1
	s_and_saveexec_b32 s19, s4
	s_cbranch_execz .LBB349_1599
; %bb.1594:                             ;   in Loop: Header=BB349_931 Depth=1
	v_and_b32_e32 v13, 0x7f, v24
	v_mov_b32_e32 v12, 0x7f800001
	s_mov_b32 s20, exec_lo
	v_cmpx_ne_u32_e32 0x7f, v13
	s_cbranch_execz .LBB349_1598
; %bb.1595:                             ;   in Loop: Header=BB349_931 Depth=1
	v_mov_b32_e32 v27, v25
	v_lshrrev_b32_e32 v12, 3, v13
	v_mov_b32_e32 v26, v24
	s_mov_b32 s21, exec_lo
	v_cmpx_gt_u32_e32 8, v13
; %bb.1596:                             ;   in Loop: Header=BB349_931 Depth=1
	v_and_b32_e32 v12, 7, v24
	v_ffbh_u32_e32 v12, v12
	v_min_u32_e32 v12, 32, v12
	v_subrev_nc_u32_e32 v13, 28, v12
	v_sub_nc_u32_e32 v12, 29, v12
	v_lshlrev_b64 v[26:27], v13, v[24:25]
; %bb.1597:                             ;   in Loop: Header=BB349_931 Depth=1
	s_or_b32 exec_lo, exec_lo, s21
	v_lshlrev_b32_e32 v13, 20, v26
	v_lshlrev_b32_e32 v26, 24, v24
	v_lshl_add_u32 v12, v12, 23, 0x3c000000
	v_and_b32_e32 v13, 0x700000, v13
	v_and_b32_e32 v26, 0x80000000, v26
	v_or3_b32 v12, v13, v26, v12
.LBB349_1598:                           ;   in Loop: Header=BB349_931 Depth=1
	s_or_b32 exec_lo, exec_lo, s20
.LBB349_1599:                           ;   in Loop: Header=BB349_931 Depth=1
	s_or_b32 exec_lo, exec_lo, s19
.LBB349_1600:                           ;   in Loop: Header=BB349_931 Depth=1
	s_or_b32 exec_lo, exec_lo, s18
	v_cmp_ne_u16_sdwa s4, v24, v14 src0_sel:BYTE_1 src1_sel:DWORD
	s_and_saveexec_b32 s18, s4
	s_cbranch_execz .LBB349_1608
; %bb.1601:                             ;   in Loop: Header=BB349_931 Depth=1
	v_cmp_ne_u16_sdwa s4, v24, v70 src0_sel:BYTE_1 src1_sel:DWORD
	v_bfrev_b32_e32 v35, 1
	s_and_saveexec_b32 s19, s4
	s_cbranch_execz .LBB349_1607
; %bb.1602:                             ;   in Loop: Header=BB349_931 Depth=1
	v_mov_b32_e32 v13, 0xffff
	v_mov_b32_e32 v35, 0x7f800001
	s_mov_b32 s20, exec_lo
	v_and_b32_sdwa v13, v13, v24 dst_sel:DWORD dst_unused:UNUSED_PAD src0_sel:DWORD src1_sel:BYTE_1
	v_and_b32_e32 v26, 0x7f, v13
	v_cmpx_ne_u32_e32 0x7f, v26
	s_cbranch_execz .LBB349_1606
; %bb.1603:                             ;   in Loop: Header=BB349_931 Depth=1
	v_and_b32_e32 v13, 7, v13
	v_lshrrev_b32_e32 v35, 3, v26
	v_cmp_gt_u32_e64 s4, 8, v26
	v_mov_b32_e32 v27, v14
	v_mov_b32_e32 v26, v13
	s_and_saveexec_b32 s21, s4
; %bb.1604:                             ;   in Loop: Header=BB349_931 Depth=1
	v_ffbh_u32_e32 v26, v13
	v_min_u32_e32 v35, 32, v26
	v_subrev_nc_u32_e32 v26, 28, v35
	v_sub_nc_u32_e32 v35, 29, v35
	v_lshlrev_b64 v[26:27], v26, v[13:14]
	v_and_b32_e32 v26, 7, v26
; %bb.1605:                             ;   in Loop: Header=BB349_931 Depth=1
	s_or_b32 exec_lo, exec_lo, s21
	v_lshlrev_b32_e32 v13, 16, v24
	v_lshlrev_b32_e32 v26, 20, v26
	v_lshl_add_u32 v27, v35, 23, 0x3c000000
	v_and_b32_e32 v13, 0x80000000, v13
	v_or3_b32 v35, v26, v13, v27
.LBB349_1606:                           ;   in Loop: Header=BB349_931 Depth=1
	s_or_b32 exec_lo, exec_lo, s20
.LBB349_1607:                           ;   in Loop: Header=BB349_931 Depth=1
	s_or_b32 exec_lo, exec_lo, s19
.LBB349_1608:                           ;   in Loop: Header=BB349_931 Depth=1
	s_or_b32 exec_lo, exec_lo, s18
	v_and_b32_sdwa v13, v24, v80 dst_sel:DWORD dst_unused:UNUSED_PAD src0_sel:WORD_1 src1_sel:DWORD
	v_mov_b32_e32 v38, 0
	v_mov_b32_e32 v36, 0
	s_mov_b32 s18, exec_lo
	v_cmpx_ne_u16_e32 0, v13
	s_cbranch_execz .LBB349_1616
; %bb.1609:                             ;   in Loop: Header=BB349_931 Depth=1
	v_bfrev_b32_e32 v36, 1
	s_mov_b32 s19, exec_lo
	v_cmpx_ne_u16_e32 0x80, v13
	s_cbranch_execz .LBB349_1615
; %bb.1610:                             ;   in Loop: Header=BB349_931 Depth=1
	v_bfe_u32 v26, v24, 16, 7
	v_mov_b32_e32 v36, 0x7f800001
	s_mov_b32 s20, exec_lo
	v_cmpx_ne_u32_e32 0x7f, v26
	s_cbranch_execz .LBB349_1614
; %bb.1611:                             ;   in Loop: Header=BB349_931 Depth=1
	v_mov_b32_e32 v13, 7
	v_lshrrev_b32_e32 v36, 3, v26
	v_cmp_gt_u32_e64 s4, 8, v26
	v_and_b32_sdwa v13, v24, v13 dst_sel:DWORD dst_unused:UNUSED_PAD src0_sel:WORD_1 src1_sel:DWORD
	v_mov_b32_e32 v27, v14
	v_mov_b32_e32 v26, v13
	s_and_saveexec_b32 s21, s4
; %bb.1612:                             ;   in Loop: Header=BB349_931 Depth=1
	v_ffbh_u32_e32 v26, v13
	v_min_u32_e32 v36, 32, v26
	v_subrev_nc_u32_e32 v26, 28, v36
	v_sub_nc_u32_e32 v36, 29, v36
	v_lshlrev_b64 v[26:27], v26, v[13:14]
	v_and_b32_e32 v26, 7, v26
; %bb.1613:                             ;   in Loop: Header=BB349_931 Depth=1
	s_or_b32 exec_lo, exec_lo, s21
	v_mov_b32_e32 v13, 24
	v_lshlrev_b32_e32 v26, 20, v26
	v_lshl_add_u32 v27, v36, 23, 0x3c000000
	v_lshlrev_b32_sdwa v13, v13, v24 dst_sel:DWORD dst_unused:UNUSED_PAD src0_sel:DWORD src1_sel:WORD_1
	v_and_b32_e32 v13, 0x80000000, v13
	v_or3_b32 v36, v26, v13, v27
.LBB349_1614:                           ;   in Loop: Header=BB349_931 Depth=1
	s_or_b32 exec_lo, exec_lo, s20
.LBB349_1615:                           ;   in Loop: Header=BB349_931 Depth=1
	s_or_b32 exec_lo, exec_lo, s19
.LBB349_1616:                           ;   in Loop: Header=BB349_931 Depth=1
	s_or_b32 exec_lo, exec_lo, s18
	s_mov_b32 s18, exec_lo
	v_cmpx_lt_u32_e32 0xffffff, v24
	s_cbranch_execz .LBB349_1624
; %bb.1617:                             ;   in Loop: Header=BB349_931 Depth=1
	v_cmp_ne_u32_sdwa s4, v24, v70 src0_sel:BYTE_3 src1_sel:DWORD
	v_bfrev_b32_e32 v38, 1
	s_and_saveexec_b32 s19, s4
	s_cbranch_execz .LBB349_1623
; %bb.1618:                             ;   in Loop: Header=BB349_931 Depth=1
	v_bfe_u32 v26, v24, 24, 7
	v_mov_b32_e32 v38, 0x7f800001
	s_mov_b32 s20, exec_lo
	v_cmpx_ne_u32_e32 0x7f, v26
	s_cbranch_execz .LBB349_1622
; %bb.1619:                             ;   in Loop: Header=BB349_931 Depth=1
	v_mov_b32_e32 v13, 7
	v_lshrrev_b32_e32 v38, 3, v26
	v_cmp_gt_u32_e64 s4, 8, v26
	v_and_b32_sdwa v13, v24, v13 dst_sel:DWORD dst_unused:UNUSED_PAD src0_sel:BYTE_3 src1_sel:DWORD
	v_mov_b32_e32 v27, v14
	v_mov_b32_e32 v26, v13
	s_and_saveexec_b32 s21, s4
; %bb.1620:                             ;   in Loop: Header=BB349_931 Depth=1
	v_ffbh_u32_e32 v26, v13
	v_min_u32_e32 v38, 32, v26
	v_subrev_nc_u32_e32 v26, 28, v38
	v_sub_nc_u32_e32 v38, 29, v38
	v_lshlrev_b64 v[26:27], v26, v[13:14]
	v_and_b32_e32 v26, 7, v26
; %bb.1621:                             ;   in Loop: Header=BB349_931 Depth=1
	s_or_b32 exec_lo, exec_lo, s21
	v_mov_b32_e32 v13, 24
	v_lshlrev_b32_e32 v26, 20, v26
	v_lshl_add_u32 v27, v38, 23, 0x3c000000
	v_lshlrev_b32_sdwa v13, v13, v24 dst_sel:DWORD dst_unused:UNUSED_PAD src0_sel:DWORD src1_sel:BYTE_3
	v_and_b32_e32 v13, 0x80000000, v13
	v_or3_b32 v38, v26, v13, v27
.LBB349_1622:                           ;   in Loop: Header=BB349_931 Depth=1
	s_or_b32 exec_lo, exec_lo, s20
.LBB349_1623:                           ;   in Loop: Header=BB349_931 Depth=1
	s_or_b32 exec_lo, exec_lo, s19
.LBB349_1624:                           ;   in Loop: Header=BB349_931 Depth=1
	s_or_b32 exec_lo, exec_lo, s18
	v_mov_b32_e32 v13, v25
	v_cmp_ne_u16_sdwa s4, v25, v14 src0_sel:BYTE_0 src1_sel:DWORD
	v_mov_b32_e32 v65, 0
	v_mov_b32_e32 v39, 0
	s_and_saveexec_b32 s18, s4
	s_cbranch_execz .LBB349_1632
; %bb.1625:                             ;   in Loop: Header=BB349_931 Depth=1
	v_cmp_ne_u16_sdwa s4, v25, v70 src0_sel:BYTE_0 src1_sel:DWORD
	v_bfrev_b32_e32 v39, 1
	s_and_saveexec_b32 s19, s4
	s_cbranch_execz .LBB349_1631
; %bb.1626:                             ;   in Loop: Header=BB349_931 Depth=1
	v_and_b32_e32 v26, 0x7f, v25
	v_mov_b32_e32 v39, 0x7f800001
	s_mov_b32 s20, exec_lo
	v_cmpx_ne_u32_e32 0x7f, v26
	s_cbranch_execz .LBB349_1630
; %bb.1627:                             ;   in Loop: Header=BB349_931 Depth=1
	v_lshrrev_b32_e32 v39, 3, v26
	v_cmp_gt_u32_e64 s4, 8, v26
	v_mov_b32_e32 v27, v14
	v_mov_b32_e32 v26, v13
	s_and_saveexec_b32 s21, s4
; %bb.1628:                             ;   in Loop: Header=BB349_931 Depth=1
	v_and_b32_e32 v26, 7, v25
	v_ffbh_u32_e32 v26, v26
	v_min_u32_e32 v39, 32, v26
	v_subrev_nc_u32_e32 v26, 28, v39
	v_sub_nc_u32_e32 v39, 29, v39
	v_lshlrev_b64 v[26:27], v26, v[13:14]
; %bb.1629:                             ;   in Loop: Header=BB349_931 Depth=1
	s_or_b32 exec_lo, exec_lo, s21
	v_lshlrev_b32_e32 v26, 20, v26
	v_lshlrev_b32_e32 v27, 24, v13
	v_lshl_add_u32 v39, v39, 23, 0x3c000000
	v_and_b32_e32 v26, 0x700000, v26
	v_and_b32_e32 v27, 0x80000000, v27
	v_or3_b32 v39, v26, v27, v39
.LBB349_1630:                           ;   in Loop: Header=BB349_931 Depth=1
	s_or_b32 exec_lo, exec_lo, s20
.LBB349_1631:                           ;   in Loop: Header=BB349_931 Depth=1
	s_or_b32 exec_lo, exec_lo, s19
.LBB349_1632:                           ;   in Loop: Header=BB349_931 Depth=1
	s_or_b32 exec_lo, exec_lo, s18
	v_cmp_ne_u16_sdwa s4, v13, v14 src0_sel:BYTE_1 src1_sel:DWORD
	s_and_saveexec_b32 s18, s4
	s_cbranch_execz .LBB349_1640
; %bb.1633:                             ;   in Loop: Header=BB349_931 Depth=1
	v_cmp_ne_u16_sdwa s4, v13, v70 src0_sel:BYTE_1 src1_sel:DWORD
	v_bfrev_b32_e32 v65, 1
	s_and_saveexec_b32 s19, s4
	s_cbranch_execz .LBB349_1639
; %bb.1634:                             ;   in Loop: Header=BB349_931 Depth=1
	v_mov_b32_e32 v26, 0xffff
	v_mov_b32_e32 v65, 0x7f800001
	s_mov_b32 s20, exec_lo
	v_and_b32_sdwa v26, v26, v13 dst_sel:DWORD dst_unused:UNUSED_PAD src0_sel:DWORD src1_sel:BYTE_1
	v_and_b32_e32 v66, 0x7f, v26
	v_cmpx_ne_u32_e32 0x7f, v66
	s_cbranch_execz .LBB349_1638
; %bb.1635:                             ;   in Loop: Header=BB349_931 Depth=1
	v_and_b32_e32 v26, 7, v26
	v_mov_b32_e32 v27, v14
	v_lshrrev_b32_e32 v64, 3, v66
	s_mov_b32 s21, exec_lo
	v_cmpx_gt_u32_e32 8, v66
; %bb.1636:                             ;   in Loop: Header=BB349_931 Depth=1
	v_ffbh_u32_e32 v64, v26
	v_min_u32_e32 v64, 32, v64
	v_subrev_nc_u32_e32 v65, 28, v64
	v_sub_nc_u32_e32 v64, 29, v64
	v_lshlrev_b64 v[26:27], v65, v[26:27]
	v_and_b32_e32 v26, 7, v26
; %bb.1637:                             ;   in Loop: Header=BB349_931 Depth=1
	s_or_b32 exec_lo, exec_lo, s21
	v_lshlrev_b32_e32 v13, 16, v13
	v_lshlrev_b32_e32 v26, 20, v26
	v_lshl_add_u32 v27, v64, 23, 0x3c000000
	v_and_b32_e32 v13, 0x80000000, v13
	v_or3_b32 v65, v26, v13, v27
.LBB349_1638:                           ;   in Loop: Header=BB349_931 Depth=1
	s_or_b32 exec_lo, exec_lo, s20
.LBB349_1639:                           ;   in Loop: Header=BB349_931 Depth=1
	s_or_b32 exec_lo, exec_lo, s19
.LBB349_1640:                           ;   in Loop: Header=BB349_931 Depth=1
	s_or_b32 exec_lo, exec_lo, s18
	v_and_b32_sdwa v13, v25, v80 dst_sel:DWORD dst_unused:UNUSED_PAD src0_sel:WORD_1 src1_sel:DWORD
	v_mov_b32_e32 v64, 0
	v_mov_b32_e32 v71, 0
	s_mov_b32 s18, exec_lo
	v_cmpx_ne_u16_e32 0, v13
	s_cbranch_execz .LBB349_1648
; %bb.1641:                             ;   in Loop: Header=BB349_931 Depth=1
	v_bfrev_b32_e32 v71, 1
	s_mov_b32 s19, exec_lo
	v_cmpx_ne_u16_e32 0x80, v13
	s_cbranch_execz .LBB349_1647
; %bb.1642:                             ;   in Loop: Header=BB349_931 Depth=1
	v_bfe_u32 v26, v25, 16, 7
	v_mov_b32_e32 v71, 0x7f800001
	s_mov_b32 s20, exec_lo
	v_cmpx_ne_u32_e32 0x7f, v26
	s_cbranch_execz .LBB349_1646
; %bb.1643:                             ;   in Loop: Header=BB349_931 Depth=1
	v_mov_b32_e32 v13, 7
	v_lshrrev_b32_e32 v66, 3, v26
	v_cmp_gt_u32_e64 s4, 8, v26
	v_and_b32_sdwa v13, v25, v13 dst_sel:DWORD dst_unused:UNUSED_PAD src0_sel:WORD_1 src1_sel:DWORD
	v_mov_b32_e32 v27, v14
	v_mov_b32_e32 v26, v13
	s_and_saveexec_b32 s21, s4
; %bb.1644:                             ;   in Loop: Header=BB349_931 Depth=1
	v_ffbh_u32_e32 v26, v13
	v_min_u32_e32 v66, 32, v26
	v_subrev_nc_u32_e32 v26, 28, v66
	v_sub_nc_u32_e32 v66, 29, v66
	v_lshlrev_b64 v[26:27], v26, v[13:14]
	v_and_b32_e32 v26, 7, v26
; %bb.1645:                             ;   in Loop: Header=BB349_931 Depth=1
	s_or_b32 exec_lo, exec_lo, s21
	v_mov_b32_e32 v13, 24
	v_lshlrev_b32_e32 v26, 20, v26
	v_lshl_add_u32 v27, v66, 23, 0x3c000000
	v_lshlrev_b32_sdwa v13, v13, v25 dst_sel:DWORD dst_unused:UNUSED_PAD src0_sel:DWORD src1_sel:WORD_1
	v_and_b32_e32 v13, 0x80000000, v13
	v_or3_b32 v71, v26, v13, v27
.LBB349_1646:                           ;   in Loop: Header=BB349_931 Depth=1
	s_or_b32 exec_lo, exec_lo, s20
.LBB349_1647:                           ;   in Loop: Header=BB349_931 Depth=1
	s_or_b32 exec_lo, exec_lo, s19
.LBB349_1648:                           ;   in Loop: Header=BB349_931 Depth=1
	s_or_b32 exec_lo, exec_lo, s18
	s_mov_b32 s18, exec_lo
	v_cmpx_lt_u64_e64 s[6:7], v[24:25]
	s_cbranch_execz .LBB349_1656
; %bb.1649:                             ;   in Loop: Header=BB349_931 Depth=1
	v_cmp_ne_u32_sdwa s4, v25, v70 src0_sel:BYTE_3 src1_sel:DWORD
	v_bfrev_b32_e32 v64, 1
	s_and_saveexec_b32 s19, s4
	s_cbranch_execz .LBB349_1655
; %bb.1650:                             ;   in Loop: Header=BB349_931 Depth=1
	v_bfe_u32 v26, v25, 24, 7
	v_mov_b32_e32 v64, 0x7f800001
	s_mov_b32 s20, exec_lo
	v_cmpx_ne_u32_e32 0x7f, v26
	s_cbranch_execz .LBB349_1654
; %bb.1651:                             ;   in Loop: Header=BB349_931 Depth=1
	v_mov_b32_e32 v13, 7
	v_lshrrev_b32_e32 v24, 3, v26
	v_cmp_gt_u32_e64 s4, 8, v26
	v_and_b32_sdwa v13, v25, v13 dst_sel:DWORD dst_unused:UNUSED_PAD src0_sel:BYTE_3 src1_sel:DWORD
	v_mov_b32_e32 v27, v14
	v_mov_b32_e32 v26, v13
	s_and_saveexec_b32 s21, s4
; %bb.1652:                             ;   in Loop: Header=BB349_931 Depth=1
	v_ffbh_u32_e32 v24, v13
	v_min_u32_e32 v24, 32, v24
	v_subrev_nc_u32_e32 v26, 28, v24
	v_sub_nc_u32_e32 v24, 29, v24
	v_lshlrev_b64 v[26:27], v26, v[13:14]
	v_and_b32_e32 v26, 7, v26
; %bb.1653:                             ;   in Loop: Header=BB349_931 Depth=1
	s_or_b32 exec_lo, exec_lo, s21
	v_mov_b32_e32 v13, 24
	v_lshl_add_u32 v24, v24, 23, 0x3c000000
	v_lshlrev_b32_sdwa v13, v13, v25 dst_sel:DWORD dst_unused:UNUSED_PAD src0_sel:DWORD src1_sel:BYTE_3
	v_lshlrev_b32_e32 v25, 20, v26
	v_and_b32_e32 v13, 0x80000000, v13
	v_or3_b32 v64, v25, v13, v24
.LBB349_1654:                           ;   in Loop: Header=BB349_931 Depth=1
	s_or_b32 exec_lo, exec_lo, s20
.LBB349_1655:                           ;   in Loop: Header=BB349_931 Depth=1
	s_or_b32 exec_lo, exec_lo, s19
.LBB349_1656:                           ;   in Loop: Header=BB349_931 Depth=1
	s_or_b32 exec_lo, exec_lo, s18
	v_mul_f32_e32 v13, v56, v65
	v_mul_f32_e32 v12, v56, v12
	v_bfe_u32 v24, v13, 16, 1
	v_or_b32_e32 v25, 0x400000, v13
	v_cmp_u_f32_e64 s4, v13, v13
	v_add3_u32 v24, v24, v13, 0x7fff
	v_cndmask_b32_e64 v13, v24, v25, s4
	v_lshrrev_b32_e32 v65, 16, v13
	v_mul_f32_e32 v13, v56, v39
	v_bfe_u32 v24, v13, 16, 1
	v_or_b32_e32 v25, 0x400000, v13
	v_cmp_u_f32_e64 s4, v13, v13
	v_add3_u32 v24, v24, v13, 0x7fff
	v_cndmask_b32_e64 v13, v24, v25, s4
	v_lshrrev_b32_e32 v66, 16, v13
	;; [unrolled: 7-line block ×4, first 2 shown]
	v_mul_f32_e32 v13, v56, v35
	v_bfe_u32 v24, v13, 16, 1
	v_or_b32_e32 v25, 0x400000, v13
	v_cmp_u_f32_e64 s4, v13, v13
	v_add3_u32 v24, v24, v13, 0x7fff
	v_cndmask_b32_e64 v13, v24, v25, s4
	v_or_b32_e32 v24, 0x400000, v12
	v_cmp_u_f32_e64 s4, v12, v12
	v_lshrrev_b32_e32 v39, 16, v13
	v_bfe_u32 v13, v12, 16, 1
	v_add3_u32 v13, v13, v12, 0x7fff
	v_cndmask_b32_e64 v12, v13, v24, s4
	v_lshrrev_b32_e32 v35, 16, v12
	v_mul_f32_e32 v12, v56, v71
	v_bfe_u32 v13, v12, 16, 1
	v_or_b32_e32 v24, 0x400000, v12
	v_cmp_u_f32_e64 s4, v12, v12
	v_add3_u32 v13, v13, v12, 0x7fff
	v_cndmask_b32_e64 v12, v13, v24, s4
	v_mul_f32_e32 v13, v56, v64
	v_lshrrev_b32_e32 v12, 16, v12
	v_bfe_u32 v24, v13, 16, 1
	v_or_b32_e32 v25, 0x400000, v13
	v_cmp_u_f32_e64 s4, v13, v13
	v_add3_u32 v24, v24, v13, 0x7fff
	v_cndmask_b32_e64 v13, v24, v25, s4
	v_lshrrev_b32_e32 v87, 16, v13
	s_and_saveexec_b32 s18, vcc_lo
	s_cbranch_execz .LBB349_1658
; %bb.1657:                             ;   in Loop: Header=BB349_931 Depth=1
	v_cmp_lt_i32_e64 s4, v72, v32
	v_cndmask_b32_e64 v35, 0, v35, s4
	v_cmp_lt_i32_e64 s4, v79, v32
	v_cndmask_b32_e64 v39, 0, v39, s4
	;; [unrolled: 2-line block ×8, first 2 shown]
.LBB349_1658:                           ;   in Loop: Header=BB349_931 Depth=1
	s_or_b32 exec_lo, exec_lo, s18
	flat_load_dwordx2 v[24:25], v[19:20] offset:768
	v_mov_b32_e32 v38, 0
	v_mov_b32_e32 v36, 0
	s_waitcnt vmcnt(0) lgkmcnt(0)
	v_cmp_ne_u16_sdwa s4, v24, v14 src0_sel:BYTE_0 src1_sel:DWORD
	s_and_saveexec_b32 s18, s4
	s_cbranch_execz .LBB349_1666
; %bb.1659:                             ;   in Loop: Header=BB349_931 Depth=1
	v_cmp_ne_u16_sdwa s4, v24, v70 src0_sel:BYTE_0 src1_sel:DWORD
	v_bfrev_b32_e32 v36, 1
	s_and_saveexec_b32 s19, s4
	s_cbranch_execz .LBB349_1665
; %bb.1660:                             ;   in Loop: Header=BB349_931 Depth=1
	v_and_b32_e32 v26, 0x7f, v24
	v_mov_b32_e32 v36, 0x7f800001
	s_mov_b32 s20, exec_lo
	v_cmpx_ne_u32_e32 0x7f, v26
	s_cbranch_execz .LBB349_1664
; %bb.1661:                             ;   in Loop: Header=BB349_931 Depth=1
	v_lshrrev_b32_e32 v13, 3, v26
	v_cmp_gt_u32_e64 s4, 8, v26
	v_mov_b32_e32 v27, v25
	v_mov_b32_e32 v26, v24
	s_and_saveexec_b32 s21, s4
; %bb.1662:                             ;   in Loop: Header=BB349_931 Depth=1
	v_and_b32_e32 v13, 7, v24
	v_ffbh_u32_e32 v13, v13
	v_min_u32_e32 v13, 32, v13
	v_subrev_nc_u32_e32 v26, 28, v13
	v_sub_nc_u32_e32 v13, 29, v13
	v_lshlrev_b64 v[26:27], v26, v[24:25]
; %bb.1663:                             ;   in Loop: Header=BB349_931 Depth=1
	s_or_b32 exec_lo, exec_lo, s21
	v_lshlrev_b32_e32 v26, 20, v26
	v_lshlrev_b32_e32 v27, 24, v24
	v_lshl_add_u32 v13, v13, 23, 0x3c000000
	v_and_b32_e32 v26, 0x700000, v26
	v_and_b32_e32 v27, 0x80000000, v27
	v_or3_b32 v36, v26, v27, v13
.LBB349_1664:                           ;   in Loop: Header=BB349_931 Depth=1
	s_or_b32 exec_lo, exec_lo, s20
.LBB349_1665:                           ;   in Loop: Header=BB349_931 Depth=1
	s_or_b32 exec_lo, exec_lo, s19
.LBB349_1666:                           ;   in Loop: Header=BB349_931 Depth=1
	s_or_b32 exec_lo, exec_lo, s18
	v_cmp_ne_u16_sdwa s4, v24, v14 src0_sel:BYTE_1 src1_sel:DWORD
	s_and_saveexec_b32 s18, s4
	s_cbranch_execz .LBB349_1674
; %bb.1667:                             ;   in Loop: Header=BB349_931 Depth=1
	v_cmp_ne_u16_sdwa s4, v24, v70 src0_sel:BYTE_1 src1_sel:DWORD
	v_bfrev_b32_e32 v38, 1
	s_and_saveexec_b32 s19, s4
	s_cbranch_execz .LBB349_1673
; %bb.1668:                             ;   in Loop: Header=BB349_931 Depth=1
	v_mov_b32_e32 v13, 0xffff
	v_mov_b32_e32 v38, 0x7f800001
	s_mov_b32 s20, exec_lo
	v_and_b32_sdwa v13, v13, v24 dst_sel:DWORD dst_unused:UNUSED_PAD src0_sel:DWORD src1_sel:BYTE_1
	v_and_b32_e32 v26, 0x7f, v13
	v_cmpx_ne_u32_e32 0x7f, v26
	s_cbranch_execz .LBB349_1672
; %bb.1669:                             ;   in Loop: Header=BB349_931 Depth=1
	v_and_b32_e32 v13, 7, v13
	v_lshrrev_b32_e32 v38, 3, v26
	v_cmp_gt_u32_e64 s4, 8, v26
	v_mov_b32_e32 v27, v14
	v_mov_b32_e32 v26, v13
	s_and_saveexec_b32 s21, s4
; %bb.1670:                             ;   in Loop: Header=BB349_931 Depth=1
	v_ffbh_u32_e32 v26, v13
	v_min_u32_e32 v38, 32, v26
	v_subrev_nc_u32_e32 v26, 28, v38
	v_sub_nc_u32_e32 v38, 29, v38
	v_lshlrev_b64 v[26:27], v26, v[13:14]
	v_and_b32_e32 v26, 7, v26
; %bb.1671:                             ;   in Loop: Header=BB349_931 Depth=1
	s_or_b32 exec_lo, exec_lo, s21
	v_lshlrev_b32_e32 v13, 16, v24
	v_lshlrev_b32_e32 v26, 20, v26
	v_lshl_add_u32 v27, v38, 23, 0x3c000000
	v_and_b32_e32 v13, 0x80000000, v13
	v_or3_b32 v38, v26, v13, v27
.LBB349_1672:                           ;   in Loop: Header=BB349_931 Depth=1
	s_or_b32 exec_lo, exec_lo, s20
.LBB349_1673:                           ;   in Loop: Header=BB349_931 Depth=1
	s_or_b32 exec_lo, exec_lo, s19
.LBB349_1674:                           ;   in Loop: Header=BB349_931 Depth=1
	s_or_b32 exec_lo, exec_lo, s18
	v_and_b32_sdwa v13, v24, v80 dst_sel:DWORD dst_unused:UNUSED_PAD src0_sel:WORD_1 src1_sel:DWORD
	v_mov_b32_e32 v71, 0
	v_mov_b32_e32 v64, 0
	s_mov_b32 s18, exec_lo
	v_cmpx_ne_u16_e32 0, v13
	s_cbranch_execz .LBB349_1682
; %bb.1675:                             ;   in Loop: Header=BB349_931 Depth=1
	v_bfrev_b32_e32 v64, 1
	s_mov_b32 s19, exec_lo
	v_cmpx_ne_u16_e32 0x80, v13
	s_cbranch_execz .LBB349_1681
; %bb.1676:                             ;   in Loop: Header=BB349_931 Depth=1
	v_bfe_u32 v26, v24, 16, 7
	v_mov_b32_e32 v64, 0x7f800001
	s_mov_b32 s20, exec_lo
	v_cmpx_ne_u32_e32 0x7f, v26
	s_cbranch_execz .LBB349_1680
; %bb.1677:                             ;   in Loop: Header=BB349_931 Depth=1
	v_mov_b32_e32 v13, 7
	v_lshrrev_b32_e32 v64, 3, v26
	v_cmp_gt_u32_e64 s4, 8, v26
	v_and_b32_sdwa v13, v24, v13 dst_sel:DWORD dst_unused:UNUSED_PAD src0_sel:WORD_1 src1_sel:DWORD
	v_mov_b32_e32 v27, v14
	v_mov_b32_e32 v26, v13
	s_and_saveexec_b32 s21, s4
; %bb.1678:                             ;   in Loop: Header=BB349_931 Depth=1
	v_ffbh_u32_e32 v26, v13
	v_min_u32_e32 v64, 32, v26
	v_subrev_nc_u32_e32 v26, 28, v64
	v_sub_nc_u32_e32 v64, 29, v64
	v_lshlrev_b64 v[26:27], v26, v[13:14]
	v_and_b32_e32 v26, 7, v26
; %bb.1679:                             ;   in Loop: Header=BB349_931 Depth=1
	s_or_b32 exec_lo, exec_lo, s21
	v_mov_b32_e32 v13, 24
	v_lshlrev_b32_e32 v26, 20, v26
	v_lshl_add_u32 v27, v64, 23, 0x3c000000
	v_lshlrev_b32_sdwa v13, v13, v24 dst_sel:DWORD dst_unused:UNUSED_PAD src0_sel:DWORD src1_sel:WORD_1
	v_and_b32_e32 v13, 0x80000000, v13
	v_or3_b32 v64, v26, v13, v27
.LBB349_1680:                           ;   in Loop: Header=BB349_931 Depth=1
	s_or_b32 exec_lo, exec_lo, s20
.LBB349_1681:                           ;   in Loop: Header=BB349_931 Depth=1
	s_or_b32 exec_lo, exec_lo, s19
.LBB349_1682:                           ;   in Loop: Header=BB349_931 Depth=1
	s_or_b32 exec_lo, exec_lo, s18
	s_mov_b32 s18, exec_lo
	v_cmpx_lt_u32_e32 0xffffff, v24
	s_cbranch_execz .LBB349_1690
; %bb.1683:                             ;   in Loop: Header=BB349_931 Depth=1
	v_cmp_ne_u32_sdwa s4, v24, v70 src0_sel:BYTE_3 src1_sel:DWORD
	v_bfrev_b32_e32 v71, 1
	s_and_saveexec_b32 s19, s4
	s_cbranch_execz .LBB349_1689
; %bb.1684:                             ;   in Loop: Header=BB349_931 Depth=1
	v_bfe_u32 v26, v24, 24, 7
	v_mov_b32_e32 v71, 0x7f800001
	s_mov_b32 s20, exec_lo
	v_cmpx_ne_u32_e32 0x7f, v26
	s_cbranch_execz .LBB349_1688
; %bb.1685:                             ;   in Loop: Header=BB349_931 Depth=1
	v_mov_b32_e32 v13, 7
	v_lshrrev_b32_e32 v71, 3, v26
	v_cmp_gt_u32_e64 s4, 8, v26
	v_and_b32_sdwa v13, v24, v13 dst_sel:DWORD dst_unused:UNUSED_PAD src0_sel:BYTE_3 src1_sel:DWORD
	v_mov_b32_e32 v27, v14
	v_mov_b32_e32 v26, v13
	s_and_saveexec_b32 s21, s4
; %bb.1686:                             ;   in Loop: Header=BB349_931 Depth=1
	v_ffbh_u32_e32 v26, v13
	v_min_u32_e32 v71, 32, v26
	v_subrev_nc_u32_e32 v26, 28, v71
	v_sub_nc_u32_e32 v71, 29, v71
	v_lshlrev_b64 v[26:27], v26, v[13:14]
	v_and_b32_e32 v26, 7, v26
; %bb.1687:                             ;   in Loop: Header=BB349_931 Depth=1
	s_or_b32 exec_lo, exec_lo, s21
	v_mov_b32_e32 v13, 24
	v_lshlrev_b32_e32 v26, 20, v26
	v_lshl_add_u32 v27, v71, 23, 0x3c000000
	v_lshlrev_b32_sdwa v13, v13, v24 dst_sel:DWORD dst_unused:UNUSED_PAD src0_sel:DWORD src1_sel:BYTE_3
	v_and_b32_e32 v13, 0x80000000, v13
	v_or3_b32 v71, v26, v13, v27
.LBB349_1688:                           ;   in Loop: Header=BB349_931 Depth=1
	s_or_b32 exec_lo, exec_lo, s20
.LBB349_1689:                           ;   in Loop: Header=BB349_931 Depth=1
	s_or_b32 exec_lo, exec_lo, s19
.LBB349_1690:                           ;   in Loop: Header=BB349_931 Depth=1
	s_or_b32 exec_lo, exec_lo, s18
	v_mov_b32_e32 v13, v25
	v_cmp_ne_u16_sdwa s4, v25, v14 src0_sel:BYTE_0 src1_sel:DWORD
	v_mov_b32_e32 v96, 0
	v_mov_b32_e32 v97, 0
	s_and_saveexec_b32 s18, s4
	s_cbranch_execz .LBB349_1698
; %bb.1691:                             ;   in Loop: Header=BB349_931 Depth=1
	v_cmp_ne_u16_sdwa s4, v25, v70 src0_sel:BYTE_0 src1_sel:DWORD
	v_bfrev_b32_e32 v97, 1
	s_and_saveexec_b32 s19, s4
	s_cbranch_execz .LBB349_1697
; %bb.1692:                             ;   in Loop: Header=BB349_931 Depth=1
	v_and_b32_e32 v26, 0x7f, v25
	v_mov_b32_e32 v97, 0x7f800001
	s_mov_b32 s20, exec_lo
	v_cmpx_ne_u32_e32 0x7f, v26
	s_cbranch_execz .LBB349_1696
; %bb.1693:                             ;   in Loop: Header=BB349_931 Depth=1
	v_lshrrev_b32_e32 v81, 3, v26
	v_cmp_gt_u32_e64 s4, 8, v26
	v_mov_b32_e32 v27, v14
	v_mov_b32_e32 v26, v13
	s_and_saveexec_b32 s21, s4
; %bb.1694:                             ;   in Loop: Header=BB349_931 Depth=1
	v_and_b32_e32 v26, 7, v25
	v_ffbh_u32_e32 v26, v26
	v_min_u32_e32 v81, 32, v26
	v_subrev_nc_u32_e32 v26, 28, v81
	v_sub_nc_u32_e32 v81, 29, v81
	v_lshlrev_b64 v[26:27], v26, v[13:14]
; %bb.1695:                             ;   in Loop: Header=BB349_931 Depth=1
	s_or_b32 exec_lo, exec_lo, s21
	v_lshlrev_b32_e32 v26, 20, v26
	v_lshlrev_b32_e32 v27, 24, v13
	v_lshl_add_u32 v81, v81, 23, 0x3c000000
	v_and_b32_e32 v26, 0x700000, v26
	v_and_b32_e32 v27, 0x80000000, v27
	v_or3_b32 v97, v26, v27, v81
.LBB349_1696:                           ;   in Loop: Header=BB349_931 Depth=1
	s_or_b32 exec_lo, exec_lo, s20
.LBB349_1697:                           ;   in Loop: Header=BB349_931 Depth=1
	s_or_b32 exec_lo, exec_lo, s19
.LBB349_1698:                           ;   in Loop: Header=BB349_931 Depth=1
	s_or_b32 exec_lo, exec_lo, s18
	v_cmp_ne_u16_sdwa s4, v13, v14 src0_sel:BYTE_1 src1_sel:DWORD
	s_and_saveexec_b32 s18, s4
	s_cbranch_execz .LBB349_1706
; %bb.1699:                             ;   in Loop: Header=BB349_931 Depth=1
	v_cmp_ne_u16_sdwa s4, v13, v70 src0_sel:BYTE_1 src1_sel:DWORD
	v_bfrev_b32_e32 v96, 1
	s_and_saveexec_b32 s19, s4
	s_cbranch_execz .LBB349_1705
; %bb.1700:                             ;   in Loop: Header=BB349_931 Depth=1
	v_mov_b32_e32 v26, 0xffff
	v_mov_b32_e32 v96, 0x7f800001
	s_mov_b32 s20, exec_lo
	v_and_b32_sdwa v26, v26, v13 dst_sel:DWORD dst_unused:UNUSED_PAD src0_sel:DWORD src1_sel:BYTE_1
	v_and_b32_e32 v82, 0x7f, v26
	v_cmpx_ne_u32_e32 0x7f, v82
	s_cbranch_execz .LBB349_1704
; %bb.1701:                             ;   in Loop: Header=BB349_931 Depth=1
	v_and_b32_e32 v26, 7, v26
	v_mov_b32_e32 v27, v14
	v_lshrrev_b32_e32 v81, 3, v82
	s_mov_b32 s21, exec_lo
	v_cmpx_gt_u32_e32 8, v82
; %bb.1702:                             ;   in Loop: Header=BB349_931 Depth=1
	v_ffbh_u32_e32 v81, v26
	v_min_u32_e32 v81, 32, v81
	v_subrev_nc_u32_e32 v82, 28, v81
	v_sub_nc_u32_e32 v81, 29, v81
	v_lshlrev_b64 v[26:27], v82, v[26:27]
	v_and_b32_e32 v26, 7, v26
; %bb.1703:                             ;   in Loop: Header=BB349_931 Depth=1
	s_or_b32 exec_lo, exec_lo, s21
	v_lshlrev_b32_e32 v13, 16, v13
	v_lshlrev_b32_e32 v26, 20, v26
	v_lshl_add_u32 v27, v81, 23, 0x3c000000
	v_and_b32_e32 v13, 0x80000000, v13
	v_or3_b32 v96, v26, v13, v27
.LBB349_1704:                           ;   in Loop: Header=BB349_931 Depth=1
	s_or_b32 exec_lo, exec_lo, s20
.LBB349_1705:                           ;   in Loop: Header=BB349_931 Depth=1
	s_or_b32 exec_lo, exec_lo, s19
.LBB349_1706:                           ;   in Loop: Header=BB349_931 Depth=1
	s_or_b32 exec_lo, exec_lo, s18
	v_and_b32_sdwa v13, v25, v80 dst_sel:DWORD dst_unused:UNUSED_PAD src0_sel:WORD_1 src1_sel:DWORD
	v_mov_b32_e32 v81, 0
	v_mov_b32_e32 v82, 0
	s_mov_b32 s18, exec_lo
	v_cmpx_ne_u16_e32 0, v13
	s_cbranch_execz .LBB349_1714
; %bb.1707:                             ;   in Loop: Header=BB349_931 Depth=1
	v_bfrev_b32_e32 v82, 1
	s_mov_b32 s19, exec_lo
	v_cmpx_ne_u16_e32 0x80, v13
	s_cbranch_execz .LBB349_1713
; %bb.1708:                             ;   in Loop: Header=BB349_931 Depth=1
	v_bfe_u32 v26, v25, 16, 7
	v_mov_b32_e32 v82, 0x7f800001
	s_mov_b32 s20, exec_lo
	v_cmpx_ne_u32_e32 0x7f, v26
	s_cbranch_execz .LBB349_1712
; %bb.1709:                             ;   in Loop: Header=BB349_931 Depth=1
	v_mov_b32_e32 v13, 7
	v_lshrrev_b32_e32 v82, 3, v26
	v_cmp_gt_u32_e64 s4, 8, v26
	v_and_b32_sdwa v13, v25, v13 dst_sel:DWORD dst_unused:UNUSED_PAD src0_sel:WORD_1 src1_sel:DWORD
	v_mov_b32_e32 v27, v14
	v_mov_b32_e32 v26, v13
	s_and_saveexec_b32 s21, s4
; %bb.1710:                             ;   in Loop: Header=BB349_931 Depth=1
	v_ffbh_u32_e32 v26, v13
	v_min_u32_e32 v82, 32, v26
	v_subrev_nc_u32_e32 v26, 28, v82
	v_sub_nc_u32_e32 v82, 29, v82
	v_lshlrev_b64 v[26:27], v26, v[13:14]
	v_and_b32_e32 v26, 7, v26
; %bb.1711:                             ;   in Loop: Header=BB349_931 Depth=1
	s_or_b32 exec_lo, exec_lo, s21
	v_mov_b32_e32 v13, 24
	v_lshlrev_b32_e32 v26, 20, v26
	v_lshl_add_u32 v27, v82, 23, 0x3c000000
	v_lshlrev_b32_sdwa v13, v13, v25 dst_sel:DWORD dst_unused:UNUSED_PAD src0_sel:DWORD src1_sel:WORD_1
	v_and_b32_e32 v13, 0x80000000, v13
	v_or3_b32 v82, v26, v13, v27
.LBB349_1712:                           ;   in Loop: Header=BB349_931 Depth=1
	s_or_b32 exec_lo, exec_lo, s20
.LBB349_1713:                           ;   in Loop: Header=BB349_931 Depth=1
	s_or_b32 exec_lo, exec_lo, s19
.LBB349_1714:                           ;   in Loop: Header=BB349_931 Depth=1
	s_or_b32 exec_lo, exec_lo, s18
	s_mov_b32 s18, exec_lo
	v_cmpx_lt_u64_e64 s[6:7], v[24:25]
	s_cbranch_execz .LBB349_1722
; %bb.1715:                             ;   in Loop: Header=BB349_931 Depth=1
	v_cmp_ne_u32_sdwa s4, v25, v70 src0_sel:BYTE_3 src1_sel:DWORD
	v_bfrev_b32_e32 v81, 1
	s_and_saveexec_b32 s19, s4
	s_cbranch_execz .LBB349_1721
; %bb.1716:                             ;   in Loop: Header=BB349_931 Depth=1
	v_bfe_u32 v26, v25, 24, 7
	v_mov_b32_e32 v81, 0x7f800001
	s_mov_b32 s20, exec_lo
	v_cmpx_ne_u32_e32 0x7f, v26
	s_cbranch_execz .LBB349_1720
; %bb.1717:                             ;   in Loop: Header=BB349_931 Depth=1
	v_mov_b32_e32 v13, 7
	v_lshrrev_b32_e32 v24, 3, v26
	v_cmp_gt_u32_e64 s4, 8, v26
	v_and_b32_sdwa v13, v25, v13 dst_sel:DWORD dst_unused:UNUSED_PAD src0_sel:BYTE_3 src1_sel:DWORD
	v_mov_b32_e32 v27, v14
	v_mov_b32_e32 v26, v13
	s_and_saveexec_b32 s21, s4
; %bb.1718:                             ;   in Loop: Header=BB349_931 Depth=1
	v_ffbh_u32_e32 v24, v13
	v_min_u32_e32 v24, 32, v24
	v_subrev_nc_u32_e32 v26, 28, v24
	v_sub_nc_u32_e32 v24, 29, v24
	v_lshlrev_b64 v[26:27], v26, v[13:14]
	v_and_b32_e32 v26, 7, v26
; %bb.1719:                             ;   in Loop: Header=BB349_931 Depth=1
	s_or_b32 exec_lo, exec_lo, s21
	v_mov_b32_e32 v13, 24
	v_lshl_add_u32 v24, v24, 23, 0x3c000000
	v_lshlrev_b32_sdwa v13, v13, v25 dst_sel:DWORD dst_unused:UNUSED_PAD src0_sel:DWORD src1_sel:BYTE_3
	v_lshlrev_b32_e32 v25, 20, v26
	v_and_b32_e32 v13, 0x80000000, v13
	v_or3_b32 v81, v25, v13, v24
.LBB349_1720:                           ;   in Loop: Header=BB349_931 Depth=1
	s_or_b32 exec_lo, exec_lo, s20
.LBB349_1721:                           ;   in Loop: Header=BB349_931 Depth=1
	s_or_b32 exec_lo, exec_lo, s19
.LBB349_1722:                           ;   in Loop: Header=BB349_931 Depth=1
	s_or_b32 exec_lo, exec_lo, s18
	v_mul_f32_e32 v13, v56, v96
	v_bfe_u32 v24, v13, 16, 1
	v_or_b32_e32 v25, 0x400000, v13
	v_cmp_u_f32_e64 s4, v13, v13
	v_add3_u32 v24, v24, v13, 0x7fff
	v_cndmask_b32_e64 v13, v24, v25, s4
	v_lshrrev_b32_e32 v96, 16, v13
	v_mul_f32_e32 v13, v56, v97
	v_bfe_u32 v24, v13, 16, 1
	v_or_b32_e32 v25, 0x400000, v13
	v_cmp_u_f32_e64 s4, v13, v13
	v_add3_u32 v24, v24, v13, 0x7fff
	v_cndmask_b32_e64 v13, v24, v25, s4
	v_lshrrev_b32_e32 v97, 16, v13
	;; [unrolled: 7-line block ×8, first 2 shown]
	s_and_saveexec_b32 s18, vcc_lo
	s_cbranch_execz .LBB349_1724
; %bb.1723:                             ;   in Loop: Header=BB349_931 Depth=1
	v_cmp_lt_i32_e64 s4, v72, v32
	v_cndmask_b32_e64 v102, 0, v102, s4
	v_cmp_lt_i32_e64 s4, v79, v32
	v_cndmask_b32_e64 v100, 0, v100, s4
	;; [unrolled: 2-line block ×8, first 2 shown]
.LBB349_1724:                           ;   in Loop: Header=BB349_931 Depth=1
	s_or_b32 exec_lo, exec_lo, s18
	flat_load_dwordx2 v[24:25], v[19:20] offset:1024
	v_mov_b32_e32 v64, 0
	v_mov_b32_e32 v36, 0
	s_waitcnt vmcnt(0) lgkmcnt(0)
	v_cmp_ne_u16_sdwa s4, v24, v14 src0_sel:BYTE_0 src1_sel:DWORD
	s_and_saveexec_b32 s18, s4
	s_cbranch_execz .LBB349_1732
; %bb.1725:                             ;   in Loop: Header=BB349_931 Depth=1
	v_cmp_ne_u16_sdwa s4, v24, v70 src0_sel:BYTE_0 src1_sel:DWORD
	v_bfrev_b32_e32 v36, 1
	s_and_saveexec_b32 s19, s4
	s_cbranch_execz .LBB349_1731
; %bb.1726:                             ;   in Loop: Header=BB349_931 Depth=1
	v_and_b32_e32 v26, 0x7f, v24
	v_mov_b32_e32 v36, 0x7f800001
	s_mov_b32 s20, exec_lo
	v_cmpx_ne_u32_e32 0x7f, v26
	s_cbranch_execz .LBB349_1730
; %bb.1727:                             ;   in Loop: Header=BB349_931 Depth=1
	v_lshrrev_b32_e32 v13, 3, v26
	v_cmp_gt_u32_e64 s4, 8, v26
	v_mov_b32_e32 v27, v25
	v_mov_b32_e32 v26, v24
	s_and_saveexec_b32 s21, s4
; %bb.1728:                             ;   in Loop: Header=BB349_931 Depth=1
	v_and_b32_e32 v13, 7, v24
	v_ffbh_u32_e32 v13, v13
	v_min_u32_e32 v13, 32, v13
	v_subrev_nc_u32_e32 v26, 28, v13
	v_sub_nc_u32_e32 v13, 29, v13
	v_lshlrev_b64 v[26:27], v26, v[24:25]
; %bb.1729:                             ;   in Loop: Header=BB349_931 Depth=1
	s_or_b32 exec_lo, exec_lo, s21
	v_lshlrev_b32_e32 v26, 20, v26
	v_lshlrev_b32_e32 v27, 24, v24
	v_lshl_add_u32 v13, v13, 23, 0x3c000000
	v_and_b32_e32 v26, 0x700000, v26
	v_and_b32_e32 v27, 0x80000000, v27
	v_or3_b32 v36, v26, v27, v13
.LBB349_1730:                           ;   in Loop: Header=BB349_931 Depth=1
	s_or_b32 exec_lo, exec_lo, s20
.LBB349_1731:                           ;   in Loop: Header=BB349_931 Depth=1
	s_or_b32 exec_lo, exec_lo, s19
.LBB349_1732:                           ;   in Loop: Header=BB349_931 Depth=1
	s_or_b32 exec_lo, exec_lo, s18
	v_cmp_ne_u16_sdwa s4, v24, v14 src0_sel:BYTE_1 src1_sel:DWORD
	s_and_saveexec_b32 s18, s4
	s_cbranch_execz .LBB349_1740
; %bb.1733:                             ;   in Loop: Header=BB349_931 Depth=1
	v_cmp_ne_u16_sdwa s4, v24, v70 src0_sel:BYTE_1 src1_sel:DWORD
	v_bfrev_b32_e32 v64, 1
	s_and_saveexec_b32 s19, s4
	s_cbranch_execz .LBB349_1739
; %bb.1734:                             ;   in Loop: Header=BB349_931 Depth=1
	v_mov_b32_e32 v13, 0xffff
	v_mov_b32_e32 v64, 0x7f800001
	s_mov_b32 s20, exec_lo
	v_and_b32_sdwa v13, v13, v24 dst_sel:DWORD dst_unused:UNUSED_PAD src0_sel:DWORD src1_sel:BYTE_1
	v_and_b32_e32 v26, 0x7f, v13
	v_cmpx_ne_u32_e32 0x7f, v26
	s_cbranch_execz .LBB349_1738
; %bb.1735:                             ;   in Loop: Header=BB349_931 Depth=1
	v_and_b32_e32 v13, 7, v13
	v_lshrrev_b32_e32 v64, 3, v26
	v_cmp_gt_u32_e64 s4, 8, v26
	v_mov_b32_e32 v27, v14
	v_mov_b32_e32 v26, v13
	s_and_saveexec_b32 s21, s4
; %bb.1736:                             ;   in Loop: Header=BB349_931 Depth=1
	v_ffbh_u32_e32 v26, v13
	v_min_u32_e32 v64, 32, v26
	v_subrev_nc_u32_e32 v26, 28, v64
	v_sub_nc_u32_e32 v64, 29, v64
	v_lshlrev_b64 v[26:27], v26, v[13:14]
	v_and_b32_e32 v26, 7, v26
; %bb.1737:                             ;   in Loop: Header=BB349_931 Depth=1
	s_or_b32 exec_lo, exec_lo, s21
	v_lshlrev_b32_e32 v13, 16, v24
	v_lshlrev_b32_e32 v26, 20, v26
	v_lshl_add_u32 v27, v64, 23, 0x3c000000
	v_and_b32_e32 v13, 0x80000000, v13
	v_or3_b32 v64, v26, v13, v27
.LBB349_1738:                           ;   in Loop: Header=BB349_931 Depth=1
	s_or_b32 exec_lo, exec_lo, s20
.LBB349_1739:                           ;   in Loop: Header=BB349_931 Depth=1
	s_or_b32 exec_lo, exec_lo, s19
.LBB349_1740:                           ;   in Loop: Header=BB349_931 Depth=1
	s_or_b32 exec_lo, exec_lo, s18
	v_and_b32_sdwa v13, v24, v80 dst_sel:DWORD dst_unused:UNUSED_PAD src0_sel:WORD_1 src1_sel:DWORD
	v_mov_b32_e32 v82, 0
	v_mov_b32_e32 v103, 0
	s_mov_b32 s18, exec_lo
	v_cmpx_ne_u16_e32 0, v13
	s_cbranch_execz .LBB349_1748
; %bb.1741:                             ;   in Loop: Header=BB349_931 Depth=1
	v_bfrev_b32_e32 v103, 1
	s_mov_b32 s19, exec_lo
	v_cmpx_ne_u16_e32 0x80, v13
	s_cbranch_execz .LBB349_1747
; %bb.1742:                             ;   in Loop: Header=BB349_931 Depth=1
	v_bfe_u32 v26, v24, 16, 7
	v_mov_b32_e32 v103, 0x7f800001
	s_mov_b32 s20, exec_lo
	v_cmpx_ne_u32_e32 0x7f, v26
	s_cbranch_execz .LBB349_1746
; %bb.1743:                             ;   in Loop: Header=BB349_931 Depth=1
	v_mov_b32_e32 v13, 7
	v_lshrrev_b32_e32 v71, 3, v26
	v_cmp_gt_u32_e64 s4, 8, v26
	v_and_b32_sdwa v13, v24, v13 dst_sel:DWORD dst_unused:UNUSED_PAD src0_sel:WORD_1 src1_sel:DWORD
	v_mov_b32_e32 v27, v14
	v_mov_b32_e32 v26, v13
	s_and_saveexec_b32 s21, s4
; %bb.1744:                             ;   in Loop: Header=BB349_931 Depth=1
	v_ffbh_u32_e32 v26, v13
	v_min_u32_e32 v71, 32, v26
	v_subrev_nc_u32_e32 v26, 28, v71
	v_sub_nc_u32_e32 v71, 29, v71
	v_lshlrev_b64 v[26:27], v26, v[13:14]
	v_and_b32_e32 v26, 7, v26
; %bb.1745:                             ;   in Loop: Header=BB349_931 Depth=1
	s_or_b32 exec_lo, exec_lo, s21
	v_mov_b32_e32 v13, 24
	v_lshlrev_b32_e32 v26, 20, v26
	v_lshl_add_u32 v27, v71, 23, 0x3c000000
	v_lshlrev_b32_sdwa v13, v13, v24 dst_sel:DWORD dst_unused:UNUSED_PAD src0_sel:DWORD src1_sel:WORD_1
	v_and_b32_e32 v13, 0x80000000, v13
	v_or3_b32 v103, v26, v13, v27
.LBB349_1746:                           ;   in Loop: Header=BB349_931 Depth=1
	s_or_b32 exec_lo, exec_lo, s20
.LBB349_1747:                           ;   in Loop: Header=BB349_931 Depth=1
	s_or_b32 exec_lo, exec_lo, s19
.LBB349_1748:                           ;   in Loop: Header=BB349_931 Depth=1
	s_or_b32 exec_lo, exec_lo, s18
	s_mov_b32 s18, exec_lo
	v_cmpx_lt_u32_e32 0xffffff, v24
	s_cbranch_execz .LBB349_1756
; %bb.1749:                             ;   in Loop: Header=BB349_931 Depth=1
	v_cmp_ne_u32_sdwa s4, v24, v70 src0_sel:BYTE_3 src1_sel:DWORD
	v_bfrev_b32_e32 v82, 1
	s_and_saveexec_b32 s19, s4
	s_cbranch_execz .LBB349_1755
; %bb.1750:                             ;   in Loop: Header=BB349_931 Depth=1
	v_bfe_u32 v26, v24, 24, 7
	v_mov_b32_e32 v82, 0x7f800001
	s_mov_b32 s20, exec_lo
	v_cmpx_ne_u32_e32 0x7f, v26
	s_cbranch_execz .LBB349_1754
; %bb.1751:                             ;   in Loop: Header=BB349_931 Depth=1
	v_mov_b32_e32 v13, 7
	v_lshrrev_b32_e32 v71, 3, v26
	v_cmp_gt_u32_e64 s4, 8, v26
	v_and_b32_sdwa v13, v24, v13 dst_sel:DWORD dst_unused:UNUSED_PAD src0_sel:BYTE_3 src1_sel:DWORD
	v_mov_b32_e32 v27, v14
	v_mov_b32_e32 v26, v13
	s_and_saveexec_b32 s21, s4
; %bb.1752:                             ;   in Loop: Header=BB349_931 Depth=1
	v_ffbh_u32_e32 v26, v13
	v_min_u32_e32 v71, 32, v26
	v_subrev_nc_u32_e32 v26, 28, v71
	v_sub_nc_u32_e32 v71, 29, v71
	v_lshlrev_b64 v[26:27], v26, v[13:14]
	v_and_b32_e32 v26, 7, v26
; %bb.1753:                             ;   in Loop: Header=BB349_931 Depth=1
	s_or_b32 exec_lo, exec_lo, s21
	v_mov_b32_e32 v13, 24
	v_lshlrev_b32_e32 v26, 20, v26
	v_lshl_add_u32 v27, v71, 23, 0x3c000000
	v_lshlrev_b32_sdwa v13, v13, v24 dst_sel:DWORD dst_unused:UNUSED_PAD src0_sel:DWORD src1_sel:BYTE_3
	v_and_b32_e32 v13, 0x80000000, v13
	v_or3_b32 v82, v26, v13, v27
.LBB349_1754:                           ;   in Loop: Header=BB349_931 Depth=1
	s_or_b32 exec_lo, exec_lo, s20
.LBB349_1755:                           ;   in Loop: Header=BB349_931 Depth=1
	s_or_b32 exec_lo, exec_lo, s19
.LBB349_1756:                           ;   in Loop: Header=BB349_931 Depth=1
	s_or_b32 exec_lo, exec_lo, s18
	v_mov_b32_e32 v13, v25
	v_cmp_ne_u16_sdwa s4, v25, v14 src0_sel:BYTE_0 src1_sel:DWORD
	v_mov_b32_e32 v71, 0
	v_mov_b32_e32 v81, 0
	s_and_saveexec_b32 s18, s4
	s_cbranch_execz .LBB349_1764
; %bb.1757:                             ;   in Loop: Header=BB349_931 Depth=1
	v_cmp_ne_u16_sdwa s4, v25, v70 src0_sel:BYTE_0 src1_sel:DWORD
	v_bfrev_b32_e32 v81, 1
	s_and_saveexec_b32 s19, s4
	s_cbranch_execz .LBB349_1763
; %bb.1758:                             ;   in Loop: Header=BB349_931 Depth=1
	v_and_b32_e32 v26, 0x7f, v25
	v_mov_b32_e32 v81, 0x7f800001
	s_mov_b32 s20, exec_lo
	v_cmpx_ne_u32_e32 0x7f, v26
	s_cbranch_execz .LBB349_1762
; %bb.1759:                             ;   in Loop: Header=BB349_931 Depth=1
	v_lshrrev_b32_e32 v81, 3, v26
	v_cmp_gt_u32_e64 s4, 8, v26
	v_mov_b32_e32 v27, v14
	v_mov_b32_e32 v26, v13
	s_and_saveexec_b32 s21, s4
; %bb.1760:                             ;   in Loop: Header=BB349_931 Depth=1
	v_and_b32_e32 v26, 7, v25
	v_ffbh_u32_e32 v26, v26
	v_min_u32_e32 v81, 32, v26
	v_subrev_nc_u32_e32 v26, 28, v81
	v_sub_nc_u32_e32 v81, 29, v81
	v_lshlrev_b64 v[26:27], v26, v[13:14]
; %bb.1761:                             ;   in Loop: Header=BB349_931 Depth=1
	s_or_b32 exec_lo, exec_lo, s21
	v_lshlrev_b32_e32 v26, 20, v26
	v_lshlrev_b32_e32 v27, 24, v13
	v_lshl_add_u32 v81, v81, 23, 0x3c000000
	v_and_b32_e32 v26, 0x700000, v26
	v_and_b32_e32 v27, 0x80000000, v27
	v_or3_b32 v81, v26, v27, v81
.LBB349_1762:                           ;   in Loop: Header=BB349_931 Depth=1
	s_or_b32 exec_lo, exec_lo, s20
.LBB349_1763:                           ;   in Loop: Header=BB349_931 Depth=1
	s_or_b32 exec_lo, exec_lo, s19
.LBB349_1764:                           ;   in Loop: Header=BB349_931 Depth=1
	s_or_b32 exec_lo, exec_lo, s18
	v_cmp_ne_u16_sdwa s4, v13, v14 src0_sel:BYTE_1 src1_sel:DWORD
	s_and_saveexec_b32 s18, s4
	s_cbranch_execz .LBB349_1772
; %bb.1765:                             ;   in Loop: Header=BB349_931 Depth=1
	v_cmp_ne_u16_sdwa s4, v13, v70 src0_sel:BYTE_1 src1_sel:DWORD
	v_bfrev_b32_e32 v71, 1
	s_and_saveexec_b32 s19, s4
	s_cbranch_execz .LBB349_1771
; %bb.1766:                             ;   in Loop: Header=BB349_931 Depth=1
	v_mov_b32_e32 v26, 0xffff
	v_mov_b32_e32 v71, 0x7f800001
	s_mov_b32 s20, exec_lo
	v_and_b32_sdwa v26, v26, v13 dst_sel:DWORD dst_unused:UNUSED_PAD src0_sel:DWORD src1_sel:BYTE_1
	v_and_b32_e32 v112, 0x7f, v26
	v_cmpx_ne_u32_e32 0x7f, v112
	s_cbranch_execz .LBB349_1770
; %bb.1767:                             ;   in Loop: Header=BB349_931 Depth=1
	v_and_b32_e32 v26, 7, v26
	v_mov_b32_e32 v27, v14
	v_lshrrev_b32_e32 v71, 3, v112
	s_mov_b32 s21, exec_lo
	v_cmpx_gt_u32_e32 8, v112
; %bb.1768:                             ;   in Loop: Header=BB349_931 Depth=1
	v_ffbh_u32_e32 v71, v26
	v_min_u32_e32 v71, 32, v71
	v_subrev_nc_u32_e32 v112, 28, v71
	v_sub_nc_u32_e32 v71, 29, v71
	v_lshlrev_b64 v[26:27], v112, v[26:27]
	v_and_b32_e32 v26, 7, v26
; %bb.1769:                             ;   in Loop: Header=BB349_931 Depth=1
	s_or_b32 exec_lo, exec_lo, s21
	v_lshlrev_b32_e32 v13, 16, v13
	v_lshlrev_b32_e32 v26, 20, v26
	v_lshl_add_u32 v27, v71, 23, 0x3c000000
	v_and_b32_e32 v13, 0x80000000, v13
	v_or3_b32 v71, v26, v13, v27
.LBB349_1770:                           ;   in Loop: Header=BB349_931 Depth=1
	s_or_b32 exec_lo, exec_lo, s20
.LBB349_1771:                           ;   in Loop: Header=BB349_931 Depth=1
	s_or_b32 exec_lo, exec_lo, s19
.LBB349_1772:                           ;   in Loop: Header=BB349_931 Depth=1
	s_or_b32 exec_lo, exec_lo, s18
	v_and_b32_sdwa v13, v25, v80 dst_sel:DWORD dst_unused:UNUSED_PAD src0_sel:WORD_1 src1_sel:DWORD
	v_mov_b32_e32 v115, 0
	v_mov_b32_e32 v113, 0
	s_mov_b32 s18, exec_lo
	v_cmpx_ne_u16_e32 0, v13
	s_cbranch_execz .LBB349_1780
; %bb.1773:                             ;   in Loop: Header=BB349_931 Depth=1
	v_bfrev_b32_e32 v113, 1
	s_mov_b32 s19, exec_lo
	v_cmpx_ne_u16_e32 0x80, v13
	s_cbranch_execz .LBB349_1779
; %bb.1774:                             ;   in Loop: Header=BB349_931 Depth=1
	v_bfe_u32 v26, v25, 16, 7
	v_mov_b32_e32 v113, 0x7f800001
	s_mov_b32 s20, exec_lo
	v_cmpx_ne_u32_e32 0x7f, v26
	s_cbranch_execz .LBB349_1778
; %bb.1775:                             ;   in Loop: Header=BB349_931 Depth=1
	v_mov_b32_e32 v13, 7
	v_lshrrev_b32_e32 v112, 3, v26
	v_cmp_gt_u32_e64 s4, 8, v26
	v_and_b32_sdwa v13, v25, v13 dst_sel:DWORD dst_unused:UNUSED_PAD src0_sel:WORD_1 src1_sel:DWORD
	v_mov_b32_e32 v27, v14
	v_mov_b32_e32 v26, v13
	s_and_saveexec_b32 s21, s4
; %bb.1776:                             ;   in Loop: Header=BB349_931 Depth=1
	v_ffbh_u32_e32 v26, v13
	v_min_u32_e32 v112, 32, v26
	v_subrev_nc_u32_e32 v26, 28, v112
	v_sub_nc_u32_e32 v112, 29, v112
	v_lshlrev_b64 v[26:27], v26, v[13:14]
	v_and_b32_e32 v26, 7, v26
; %bb.1777:                             ;   in Loop: Header=BB349_931 Depth=1
	s_or_b32 exec_lo, exec_lo, s21
	v_mov_b32_e32 v13, 24
	v_lshlrev_b32_e32 v26, 20, v26
	v_lshl_add_u32 v27, v112, 23, 0x3c000000
	v_lshlrev_b32_sdwa v13, v13, v25 dst_sel:DWORD dst_unused:UNUSED_PAD src0_sel:DWORD src1_sel:WORD_1
	v_and_b32_e32 v13, 0x80000000, v13
	v_or3_b32 v113, v26, v13, v27
.LBB349_1778:                           ;   in Loop: Header=BB349_931 Depth=1
	s_or_b32 exec_lo, exec_lo, s20
.LBB349_1779:                           ;   in Loop: Header=BB349_931 Depth=1
	s_or_b32 exec_lo, exec_lo, s19
.LBB349_1780:                           ;   in Loop: Header=BB349_931 Depth=1
	s_or_b32 exec_lo, exec_lo, s18
	s_mov_b32 s18, exec_lo
	v_cmpx_lt_u64_e64 s[6:7], v[24:25]
	s_cbranch_execz .LBB349_1788
; %bb.1781:                             ;   in Loop: Header=BB349_931 Depth=1
	v_cmp_ne_u32_sdwa s4, v25, v70 src0_sel:BYTE_3 src1_sel:DWORD
	v_bfrev_b32_e32 v115, 1
	s_and_saveexec_b32 s19, s4
	s_cbranch_execz .LBB349_1787
; %bb.1782:                             ;   in Loop: Header=BB349_931 Depth=1
	v_bfe_u32 v26, v25, 24, 7
	v_mov_b32_e32 v115, 0x7f800001
	s_mov_b32 s20, exec_lo
	v_cmpx_ne_u32_e32 0x7f, v26
	s_cbranch_execz .LBB349_1786
; %bb.1783:                             ;   in Loop: Header=BB349_931 Depth=1
	v_mov_b32_e32 v13, 7
	v_lshrrev_b32_e32 v24, 3, v26
	v_cmp_gt_u32_e64 s4, 8, v26
	v_and_b32_sdwa v13, v25, v13 dst_sel:DWORD dst_unused:UNUSED_PAD src0_sel:BYTE_3 src1_sel:DWORD
	v_mov_b32_e32 v27, v14
	v_mov_b32_e32 v26, v13
	s_and_saveexec_b32 s21, s4
; %bb.1784:                             ;   in Loop: Header=BB349_931 Depth=1
	v_ffbh_u32_e32 v24, v13
	v_min_u32_e32 v24, 32, v24
	v_subrev_nc_u32_e32 v26, 28, v24
	v_sub_nc_u32_e32 v24, 29, v24
	v_lshlrev_b64 v[26:27], v26, v[13:14]
	v_and_b32_e32 v26, 7, v26
; %bb.1785:                             ;   in Loop: Header=BB349_931 Depth=1
	s_or_b32 exec_lo, exec_lo, s21
	v_mov_b32_e32 v13, 24
	v_lshl_add_u32 v24, v24, 23, 0x3c000000
	v_lshlrev_b32_sdwa v13, v13, v25 dst_sel:DWORD dst_unused:UNUSED_PAD src0_sel:DWORD src1_sel:BYTE_3
	v_lshlrev_b32_e32 v25, 20, v26
	v_and_b32_e32 v13, 0x80000000, v13
	v_or3_b32 v115, v25, v13, v24
.LBB349_1786:                           ;   in Loop: Header=BB349_931 Depth=1
	s_or_b32 exec_lo, exec_lo, s20
.LBB349_1787:                           ;   in Loop: Header=BB349_931 Depth=1
	s_or_b32 exec_lo, exec_lo, s19
.LBB349_1788:                           ;   in Loop: Header=BB349_931 Depth=1
	s_or_b32 exec_lo, exec_lo, s18
	v_mul_f32_e32 v13, v56, v71
	v_bfe_u32 v24, v13, 16, 1
	v_or_b32_e32 v25, 0x400000, v13
	v_cmp_u_f32_e64 s4, v13, v13
	v_add3_u32 v24, v24, v13, 0x7fff
	v_cndmask_b32_e64 v13, v24, v25, s4
	v_lshrrev_b32_e32 v71, 16, v13
	v_mul_f32_e32 v13, v56, v81
	v_bfe_u32 v24, v13, 16, 1
	v_or_b32_e32 v25, 0x400000, v13
	v_cmp_u_f32_e64 s4, v13, v13
	v_add3_u32 v24, v24, v13, 0x7fff
	v_cndmask_b32_e64 v13, v24, v25, s4
	v_lshrrev_b32_e32 v81, 16, v13
	;; [unrolled: 7-line block ×8, first 2 shown]
	s_and_saveexec_b32 s18, vcc_lo
	s_cbranch_execz .LBB349_1790
; %bb.1789:                             ;   in Loop: Header=BB349_931 Depth=1
	v_cmp_lt_i32_e64 s4, v72, v32
	v_cndmask_b32_e64 v114, 0, v114, s4
	v_cmp_lt_i32_e64 s4, v79, v32
	v_cndmask_b32_e64 v112, 0, v112, s4
	;; [unrolled: 2-line block ×8, first 2 shown]
.LBB349_1790:                           ;   in Loop: Header=BB349_931 Depth=1
	s_or_b32 exec_lo, exec_lo, s18
	flat_load_dwordx2 v[19:20], v[19:20] offset:1280
	v_mov_b32_e32 v27, 0
	v_mov_b32_e32 v26, 0
	s_waitcnt vmcnt(0) lgkmcnt(0)
	v_cmp_ne_u16_sdwa s4, v19, v14 src0_sel:BYTE_0 src1_sel:DWORD
	s_and_saveexec_b32 s18, s4
	s_cbranch_execz .LBB349_1798
; %bb.1791:                             ;   in Loop: Header=BB349_931 Depth=1
	v_cmp_ne_u16_sdwa s4, v19, v70 src0_sel:BYTE_0 src1_sel:DWORD
	v_bfrev_b32_e32 v26, 1
	s_and_saveexec_b32 s19, s4
	s_cbranch_execz .LBB349_1797
; %bb.1792:                             ;   in Loop: Header=BB349_931 Depth=1
	v_and_b32_e32 v24, 0x7f, v19
	v_mov_b32_e32 v26, 0x7f800001
	s_mov_b32 s20, exec_lo
	v_cmpx_ne_u32_e32 0x7f, v24
	s_cbranch_execz .LBB349_1796
; %bb.1793:                             ;   in Loop: Header=BB349_931 Depth=1
	v_lshrrev_b32_e32 v13, 3, v24
	v_cmp_gt_u32_e64 s4, 8, v24
	v_mov_b32_e32 v25, v20
	v_mov_b32_e32 v24, v19
	s_and_saveexec_b32 s21, s4
; %bb.1794:                             ;   in Loop: Header=BB349_931 Depth=1
	v_and_b32_e32 v13, 7, v19
	v_ffbh_u32_e32 v13, v13
	v_min_u32_e32 v13, 32, v13
	v_subrev_nc_u32_e32 v24, 28, v13
	v_sub_nc_u32_e32 v13, 29, v13
	v_lshlrev_b64 v[24:25], v24, v[19:20]
; %bb.1795:                             ;   in Loop: Header=BB349_931 Depth=1
	s_or_b32 exec_lo, exec_lo, s21
	v_lshlrev_b32_e32 v24, 20, v24
	v_lshlrev_b32_e32 v25, 24, v19
	v_lshl_add_u32 v13, v13, 23, 0x3c000000
	v_and_b32_e32 v24, 0x700000, v24
	v_and_b32_e32 v25, 0x80000000, v25
	v_or3_b32 v26, v24, v25, v13
.LBB349_1796:                           ;   in Loop: Header=BB349_931 Depth=1
	s_or_b32 exec_lo, exec_lo, s20
.LBB349_1797:                           ;   in Loop: Header=BB349_931 Depth=1
	s_or_b32 exec_lo, exec_lo, s19
.LBB349_1798:                           ;   in Loop: Header=BB349_931 Depth=1
	s_or_b32 exec_lo, exec_lo, s18
	v_cmp_ne_u16_sdwa s4, v19, v14 src0_sel:BYTE_1 src1_sel:DWORD
	s_and_saveexec_b32 s18, s4
	s_cbranch_execz .LBB349_1806
; %bb.1799:                             ;   in Loop: Header=BB349_931 Depth=1
	v_cmp_ne_u16_sdwa s4, v19, v70 src0_sel:BYTE_1 src1_sel:DWORD
	v_bfrev_b32_e32 v27, 1
	s_and_saveexec_b32 s19, s4
	s_cbranch_execz .LBB349_1805
; %bb.1800:                             ;   in Loop: Header=BB349_931 Depth=1
	v_mov_b32_e32 v13, 0xffff
	v_mov_b32_e32 v27, 0x7f800001
	s_mov_b32 s20, exec_lo
	v_and_b32_sdwa v13, v13, v19 dst_sel:DWORD dst_unused:UNUSED_PAD src0_sel:DWORD src1_sel:BYTE_1
	v_and_b32_e32 v24, 0x7f, v13
	v_cmpx_ne_u32_e32 0x7f, v24
	s_cbranch_execz .LBB349_1804
; %bb.1801:                             ;   in Loop: Header=BB349_931 Depth=1
	v_and_b32_e32 v13, 7, v13
	v_lshrrev_b32_e32 v27, 3, v24
	v_cmp_gt_u32_e64 s4, 8, v24
	v_mov_b32_e32 v25, v14
	v_mov_b32_e32 v24, v13
	s_and_saveexec_b32 s21, s4
; %bb.1802:                             ;   in Loop: Header=BB349_931 Depth=1
	v_ffbh_u32_e32 v24, v13
	v_min_u32_e32 v27, 32, v24
	v_subrev_nc_u32_e32 v24, 28, v27
	v_sub_nc_u32_e32 v27, 29, v27
	v_lshlrev_b64 v[24:25], v24, v[13:14]
	v_and_b32_e32 v24, 7, v24
; %bb.1803:                             ;   in Loop: Header=BB349_931 Depth=1
	s_or_b32 exec_lo, exec_lo, s21
	v_lshlrev_b32_e32 v13, 16, v19
	v_lshlrev_b32_e32 v24, 20, v24
	v_lshl_add_u32 v25, v27, 23, 0x3c000000
	v_and_b32_e32 v13, 0x80000000, v13
	v_or3_b32 v27, v24, v13, v25
.LBB349_1804:                           ;   in Loop: Header=BB349_931 Depth=1
	s_or_b32 exec_lo, exec_lo, s20
.LBB349_1805:                           ;   in Loop: Header=BB349_931 Depth=1
	s_or_b32 exec_lo, exec_lo, s19
.LBB349_1806:                           ;   in Loop: Header=BB349_931 Depth=1
	s_or_b32 exec_lo, exec_lo, s18
	v_and_b32_sdwa v13, v19, v80 dst_sel:DWORD dst_unused:UNUSED_PAD src0_sel:WORD_1 src1_sel:DWORD
	v_mov_b32_e32 v64, 0
	v_mov_b32_e32 v36, 0
	s_mov_b32 s18, exec_lo
	v_cmpx_ne_u16_e32 0, v13
	s_cbranch_execz .LBB349_1814
; %bb.1807:                             ;   in Loop: Header=BB349_931 Depth=1
	v_bfrev_b32_e32 v36, 1
	s_mov_b32 s19, exec_lo
	v_cmpx_ne_u16_e32 0x80, v13
	s_cbranch_execz .LBB349_1813
; %bb.1808:                             ;   in Loop: Header=BB349_931 Depth=1
	v_bfe_u32 v24, v19, 16, 7
	v_mov_b32_e32 v36, 0x7f800001
	s_mov_b32 s20, exec_lo
	v_cmpx_ne_u32_e32 0x7f, v24
	s_cbranch_execz .LBB349_1812
; %bb.1809:                             ;   in Loop: Header=BB349_931 Depth=1
	v_mov_b32_e32 v13, 7
	v_lshrrev_b32_e32 v36, 3, v24
	v_cmp_gt_u32_e64 s4, 8, v24
	v_and_b32_sdwa v13, v19, v13 dst_sel:DWORD dst_unused:UNUSED_PAD src0_sel:WORD_1 src1_sel:DWORD
	v_mov_b32_e32 v25, v14
	v_mov_b32_e32 v24, v13
	s_and_saveexec_b32 s21, s4
; %bb.1810:                             ;   in Loop: Header=BB349_931 Depth=1
	v_ffbh_u32_e32 v24, v13
	v_min_u32_e32 v36, 32, v24
	v_subrev_nc_u32_e32 v24, 28, v36
	v_sub_nc_u32_e32 v36, 29, v36
	v_lshlrev_b64 v[24:25], v24, v[13:14]
	v_and_b32_e32 v24, 7, v24
; %bb.1811:                             ;   in Loop: Header=BB349_931 Depth=1
	s_or_b32 exec_lo, exec_lo, s21
	v_mov_b32_e32 v13, 24
	v_lshlrev_b32_e32 v24, 20, v24
	v_lshl_add_u32 v25, v36, 23, 0x3c000000
	v_lshlrev_b32_sdwa v13, v13, v19 dst_sel:DWORD dst_unused:UNUSED_PAD src0_sel:DWORD src1_sel:WORD_1
	v_and_b32_e32 v13, 0x80000000, v13
	v_or3_b32 v36, v24, v13, v25
.LBB349_1812:                           ;   in Loop: Header=BB349_931 Depth=1
	s_or_b32 exec_lo, exec_lo, s20
.LBB349_1813:                           ;   in Loop: Header=BB349_931 Depth=1
	s_or_b32 exec_lo, exec_lo, s19
.LBB349_1814:                           ;   in Loop: Header=BB349_931 Depth=1
	s_or_b32 exec_lo, exec_lo, s18
	s_mov_b32 s18, exec_lo
	v_cmpx_lt_u32_e32 0xffffff, v19
	s_cbranch_execz .LBB349_1822
; %bb.1815:                             ;   in Loop: Header=BB349_931 Depth=1
	v_cmp_ne_u32_sdwa s4, v19, v70 src0_sel:BYTE_3 src1_sel:DWORD
	v_bfrev_b32_e32 v64, 1
	s_and_saveexec_b32 s19, s4
	s_cbranch_execz .LBB349_1821
; %bb.1816:                             ;   in Loop: Header=BB349_931 Depth=1
	v_bfe_u32 v24, v19, 24, 7
	v_mov_b32_e32 v64, 0x7f800001
	s_mov_b32 s20, exec_lo
	v_cmpx_ne_u32_e32 0x7f, v24
	s_cbranch_execz .LBB349_1820
; %bb.1817:                             ;   in Loop: Header=BB349_931 Depth=1
	v_mov_b32_e32 v13, 7
	v_lshrrev_b32_e32 v64, 3, v24
	v_cmp_gt_u32_e64 s4, 8, v24
	v_and_b32_sdwa v13, v19, v13 dst_sel:DWORD dst_unused:UNUSED_PAD src0_sel:BYTE_3 src1_sel:DWORD
	v_mov_b32_e32 v25, v14
	v_mov_b32_e32 v24, v13
	s_and_saveexec_b32 s21, s4
; %bb.1818:                             ;   in Loop: Header=BB349_931 Depth=1
	v_ffbh_u32_e32 v24, v13
	v_min_u32_e32 v64, 32, v24
	v_subrev_nc_u32_e32 v24, 28, v64
	v_sub_nc_u32_e32 v64, 29, v64
	v_lshlrev_b64 v[24:25], v24, v[13:14]
	v_and_b32_e32 v24, 7, v24
; %bb.1819:                             ;   in Loop: Header=BB349_931 Depth=1
	s_or_b32 exec_lo, exec_lo, s21
	v_mov_b32_e32 v13, 24
	v_lshlrev_b32_e32 v24, 20, v24
	v_lshl_add_u32 v25, v64, 23, 0x3c000000
	v_lshlrev_b32_sdwa v13, v13, v19 dst_sel:DWORD dst_unused:UNUSED_PAD src0_sel:DWORD src1_sel:BYTE_3
	v_and_b32_e32 v13, 0x80000000, v13
	v_or3_b32 v64, v24, v13, v25
.LBB349_1820:                           ;   in Loop: Header=BB349_931 Depth=1
	s_or_b32 exec_lo, exec_lo, s20
.LBB349_1821:                           ;   in Loop: Header=BB349_931 Depth=1
	s_or_b32 exec_lo, exec_lo, s19
.LBB349_1822:                           ;   in Loop: Header=BB349_931 Depth=1
	s_or_b32 exec_lo, exec_lo, s18
	v_mov_b32_e32 v13, v20
	v_cmp_ne_u16_sdwa s4, v20, v14 src0_sel:BYTE_0 src1_sel:DWORD
	v_mov_b32_e32 v119, 0
	v_mov_b32_e32 v118, 0
	s_and_saveexec_b32 s18, s4
	s_cbranch_execz .LBB349_1830
; %bb.1823:                             ;   in Loop: Header=BB349_931 Depth=1
	v_cmp_ne_u16_sdwa s4, v20, v70 src0_sel:BYTE_0 src1_sel:DWORD
	v_bfrev_b32_e32 v118, 1
	s_and_saveexec_b32 s19, s4
	s_cbranch_execz .LBB349_1829
; %bb.1824:                             ;   in Loop: Header=BB349_931 Depth=1
	v_and_b32_e32 v24, 0x7f, v20
	v_mov_b32_e32 v118, 0x7f800001
	s_mov_b32 s20, exec_lo
	v_cmpx_ne_u32_e32 0x7f, v24
	s_cbranch_execz .LBB349_1828
; %bb.1825:                             ;   in Loop: Header=BB349_931 Depth=1
	v_lshrrev_b32_e32 v116, 3, v24
	v_cmp_gt_u32_e64 s4, 8, v24
	v_mov_b32_e32 v25, v14
	v_mov_b32_e32 v24, v13
	s_and_saveexec_b32 s21, s4
; %bb.1826:                             ;   in Loop: Header=BB349_931 Depth=1
	v_and_b32_e32 v24, 7, v20
	v_ffbh_u32_e32 v24, v24
	v_min_u32_e32 v116, 32, v24
	v_subrev_nc_u32_e32 v24, 28, v116
	v_sub_nc_u32_e32 v116, 29, v116
	v_lshlrev_b64 v[24:25], v24, v[13:14]
; %bb.1827:                             ;   in Loop: Header=BB349_931 Depth=1
	s_or_b32 exec_lo, exec_lo, s21
	v_lshlrev_b32_e32 v24, 20, v24
	v_lshlrev_b32_e32 v25, 24, v13
	v_lshl_add_u32 v116, v116, 23, 0x3c000000
	v_and_b32_e32 v24, 0x700000, v24
	v_and_b32_e32 v25, 0x80000000, v25
	v_or3_b32 v118, v24, v25, v116
.LBB349_1828:                           ;   in Loop: Header=BB349_931 Depth=1
	s_or_b32 exec_lo, exec_lo, s20
.LBB349_1829:                           ;   in Loop: Header=BB349_931 Depth=1
	s_or_b32 exec_lo, exec_lo, s19
.LBB349_1830:                           ;   in Loop: Header=BB349_931 Depth=1
	s_or_b32 exec_lo, exec_lo, s18
	v_cmp_ne_u16_sdwa s4, v13, v14 src0_sel:BYTE_1 src1_sel:DWORD
	s_and_saveexec_b32 s18, s4
	s_cbranch_execz .LBB349_1838
; %bb.1831:                             ;   in Loop: Header=BB349_931 Depth=1
	v_cmp_ne_u16_sdwa s4, v13, v70 src0_sel:BYTE_1 src1_sel:DWORD
	v_bfrev_b32_e32 v119, 1
	s_and_saveexec_b32 s19, s4
	s_cbranch_execz .LBB349_1837
; %bb.1832:                             ;   in Loop: Header=BB349_931 Depth=1
	v_mov_b32_e32 v24, 0xffff
	v_mov_b32_e32 v119, 0x7f800001
	s_mov_b32 s20, exec_lo
	v_and_b32_sdwa v24, v24, v13 dst_sel:DWORD dst_unused:UNUSED_PAD src0_sel:DWORD src1_sel:BYTE_1
	v_and_b32_e32 v117, 0x7f, v24
	v_cmpx_ne_u32_e32 0x7f, v117
	s_cbranch_execz .LBB349_1836
; %bb.1833:                             ;   in Loop: Header=BB349_931 Depth=1
	v_and_b32_e32 v24, 7, v24
	v_mov_b32_e32 v25, v14
	v_lshrrev_b32_e32 v116, 3, v117
	s_mov_b32 s21, exec_lo
	v_cmpx_gt_u32_e32 8, v117
; %bb.1834:                             ;   in Loop: Header=BB349_931 Depth=1
	v_ffbh_u32_e32 v116, v24
	v_min_u32_e32 v116, 32, v116
	v_subrev_nc_u32_e32 v117, 28, v116
	v_sub_nc_u32_e32 v116, 29, v116
	v_lshlrev_b64 v[24:25], v117, v[24:25]
	v_and_b32_e32 v24, 7, v24
; %bb.1835:                             ;   in Loop: Header=BB349_931 Depth=1
	s_or_b32 exec_lo, exec_lo, s21
	v_lshlrev_b32_e32 v13, 16, v13
	v_lshlrev_b32_e32 v24, 20, v24
	v_lshl_add_u32 v25, v116, 23, 0x3c000000
	v_and_b32_e32 v13, 0x80000000, v13
	v_or3_b32 v119, v24, v13, v25
.LBB349_1836:                           ;   in Loop: Header=BB349_931 Depth=1
	s_or_b32 exec_lo, exec_lo, s20
.LBB349_1837:                           ;   in Loop: Header=BB349_931 Depth=1
	s_or_b32 exec_lo, exec_lo, s19
.LBB349_1838:                           ;   in Loop: Header=BB349_931 Depth=1
	s_or_b32 exec_lo, exec_lo, s18
	v_and_b32_sdwa v13, v20, v80 dst_sel:DWORD dst_unused:UNUSED_PAD src0_sel:WORD_1 src1_sel:DWORD
	v_mov_b32_e32 v116, 0
	v_mov_b32_e32 v117, 0
	s_mov_b32 s18, exec_lo
	v_cmpx_ne_u16_e32 0, v13
	s_cbranch_execz .LBB349_1846
; %bb.1839:                             ;   in Loop: Header=BB349_931 Depth=1
	v_bfrev_b32_e32 v117, 1
	s_mov_b32 s19, exec_lo
	v_cmpx_ne_u16_e32 0x80, v13
	s_cbranch_execz .LBB349_1845
; %bb.1840:                             ;   in Loop: Header=BB349_931 Depth=1
	v_bfe_u32 v24, v20, 16, 7
	v_mov_b32_e32 v117, 0x7f800001
	s_mov_b32 s20, exec_lo
	v_cmpx_ne_u32_e32 0x7f, v24
	s_cbranch_execz .LBB349_1844
; %bb.1841:                             ;   in Loop: Header=BB349_931 Depth=1
	v_mov_b32_e32 v13, 7
	v_lshrrev_b32_e32 v117, 3, v24
	v_cmp_gt_u32_e64 s4, 8, v24
	v_and_b32_sdwa v13, v20, v13 dst_sel:DWORD dst_unused:UNUSED_PAD src0_sel:WORD_1 src1_sel:DWORD
	v_mov_b32_e32 v25, v14
	v_mov_b32_e32 v24, v13
	s_and_saveexec_b32 s21, s4
; %bb.1842:                             ;   in Loop: Header=BB349_931 Depth=1
	v_ffbh_u32_e32 v24, v13
	v_min_u32_e32 v117, 32, v24
	v_subrev_nc_u32_e32 v24, 28, v117
	v_sub_nc_u32_e32 v117, 29, v117
	v_lshlrev_b64 v[24:25], v24, v[13:14]
	v_and_b32_e32 v24, 7, v24
; %bb.1843:                             ;   in Loop: Header=BB349_931 Depth=1
	s_or_b32 exec_lo, exec_lo, s21
	v_mov_b32_e32 v13, 24
	v_lshlrev_b32_e32 v24, 20, v24
	v_lshl_add_u32 v25, v117, 23, 0x3c000000
	v_lshlrev_b32_sdwa v13, v13, v20 dst_sel:DWORD dst_unused:UNUSED_PAD src0_sel:DWORD src1_sel:WORD_1
	v_and_b32_e32 v13, 0x80000000, v13
	v_or3_b32 v117, v24, v13, v25
.LBB349_1844:                           ;   in Loop: Header=BB349_931 Depth=1
	s_or_b32 exec_lo, exec_lo, s20
.LBB349_1845:                           ;   in Loop: Header=BB349_931 Depth=1
	s_or_b32 exec_lo, exec_lo, s19
.LBB349_1846:                           ;   in Loop: Header=BB349_931 Depth=1
	s_or_b32 exec_lo, exec_lo, s18
	s_mov_b32 s18, exec_lo
	v_cmpx_lt_u64_e64 s[6:7], v[19:20]
	s_cbranch_execz .LBB349_1854
; %bb.1847:                             ;   in Loop: Header=BB349_931 Depth=1
	v_cmp_ne_u32_sdwa s4, v20, v70 src0_sel:BYTE_3 src1_sel:DWORD
	v_bfrev_b32_e32 v116, 1
	s_and_saveexec_b32 s19, s4
	s_cbranch_execz .LBB349_1853
; %bb.1848:                             ;   in Loop: Header=BB349_931 Depth=1
	v_bfe_u32 v24, v20, 24, 7
	v_mov_b32_e32 v116, 0x7f800001
	s_mov_b32 s20, exec_lo
	v_cmpx_ne_u32_e32 0x7f, v24
	s_cbranch_execz .LBB349_1852
; %bb.1849:                             ;   in Loop: Header=BB349_931 Depth=1
	v_mov_b32_e32 v13, 7
	v_lshrrev_b32_e32 v19, 3, v24
	v_cmp_gt_u32_e64 s4, 8, v24
	v_and_b32_sdwa v13, v20, v13 dst_sel:DWORD dst_unused:UNUSED_PAD src0_sel:BYTE_3 src1_sel:DWORD
	v_mov_b32_e32 v25, v14
	v_mov_b32_e32 v24, v13
	s_and_saveexec_b32 s21, s4
; %bb.1850:                             ;   in Loop: Header=BB349_931 Depth=1
	v_ffbh_u32_e32 v19, v13
	v_min_u32_e32 v19, 32, v19
	v_subrev_nc_u32_e32 v24, 28, v19
	v_sub_nc_u32_e32 v19, 29, v19
	v_lshlrev_b64 v[24:25], v24, v[13:14]
	v_and_b32_e32 v24, 7, v24
; %bb.1851:                             ;   in Loop: Header=BB349_931 Depth=1
	s_or_b32 exec_lo, exec_lo, s21
	v_mov_b32_e32 v13, 24
	v_lshl_add_u32 v19, v19, 23, 0x3c000000
	v_lshlrev_b32_sdwa v13, v13, v20 dst_sel:DWORD dst_unused:UNUSED_PAD src0_sel:DWORD src1_sel:BYTE_3
	v_lshlrev_b32_e32 v20, 20, v24
	v_and_b32_e32 v13, 0x80000000, v13
	v_or3_b32 v116, v20, v13, v19
.LBB349_1852:                           ;   in Loop: Header=BB349_931 Depth=1
	s_or_b32 exec_lo, exec_lo, s20
.LBB349_1853:                           ;   in Loop: Header=BB349_931 Depth=1
	s_or_b32 exec_lo, exec_lo, s19
.LBB349_1854:                           ;   in Loop: Header=BB349_931 Depth=1
	s_or_b32 exec_lo, exec_lo, s18
	v_mul_f32_e32 v13, v56, v119
	v_bfe_u32 v19, v13, 16, 1
	v_or_b32_e32 v20, 0x400000, v13
	v_cmp_u_f32_e64 s4, v13, v13
	v_add3_u32 v19, v19, v13, 0x7fff
	v_cndmask_b32_e64 v13, v19, v20, s4
	v_mul_f32_e32 v19, v56, v118
	v_lshrrev_b32_e32 v13, 16, v13
	v_bfe_u32 v20, v19, 16, 1
	v_or_b32_e32 v24, 0x400000, v19
	v_cmp_u_f32_e64 s4, v19, v19
	v_add3_u32 v20, v20, v19, 0x7fff
	v_cndmask_b32_e64 v19, v20, v24, s4
	v_mul_f32_e32 v20, v56, v64
	v_lshrrev_b32_e32 v19, 16, v19
	;; [unrolled: 7-line block ×3, first 2 shown]
	v_bfe_u32 v25, v24, 16, 1
	v_or_b32_e32 v36, 0x400000, v24
	v_cmp_u_f32_e64 s4, v24, v24
	v_add3_u32 v25, v25, v24, 0x7fff
	v_cndmask_b32_e64 v24, v25, v36, s4
	v_lshrrev_b32_e32 v25, 16, v24
	v_mul_f32_e32 v24, v56, v27
	v_bfe_u32 v27, v24, 16, 1
	v_or_b32_e32 v36, 0x400000, v24
	v_cmp_u_f32_e64 s4, v24, v24
	v_add3_u32 v27, v27, v24, 0x7fff
	v_cndmask_b32_e64 v24, v27, v36, s4
	v_lshrrev_b32_e32 v27, 16, v24
	v_mul_f32_e32 v24, v56, v26
	;; [unrolled: 7-line block ×3, first 2 shown]
	v_bfe_u32 v26, v24, 16, 1
	v_or_b32_e32 v36, 0x400000, v24
	v_cmp_u_f32_e64 s4, v24, v24
	v_add3_u32 v26, v26, v24, 0x7fff
	v_cndmask_b32_e64 v24, v26, v36, s4
	v_mul_f32_e32 v26, v56, v116
	v_lshrrev_b32_e32 v24, 16, v24
	v_bfe_u32 v36, v26, 16, 1
	v_or_b32_e32 v116, 0x400000, v26
	v_cmp_u_f32_e64 s4, v26, v26
	v_add3_u32 v36, v36, v26, 0x7fff
	v_cndmask_b32_e64 v26, v36, v116, s4
	v_lshrrev_b32_e32 v26, 16, v26
	s_and_saveexec_b32 s4, vcc_lo
	s_cbranch_execz .LBB349_929
; %bb.1855:                             ;   in Loop: Header=BB349_931 Depth=1
	v_cmp_lt_i32_e32 vcc_lo, v72, v32
	v_cndmask_b32_e32 v64, 0, v64, vcc_lo
	v_cmp_lt_i32_e32 vcc_lo, v79, v32
	v_cndmask_b32_e32 v27, 0, v27, vcc_lo
	;; [unrolled: 2-line block ×8, first 2 shown]
	s_branch .LBB349_929
.LBB349_1856:
	s_or_b32 exec_lo, exec_lo, s13
	s_clause 0x11
	buffer_load_dword v33, off, s[0:3], s32 offset:732
	buffer_load_dword v87, off, s[0:3], s32 offset:736
	;; [unrolled: 1-line block ×18, first 2 shown]
.LBB349_1857:
	s_or_b32 exec_lo, exec_lo, s5
	s_waitcnt vmcnt(1)
	ds_bpermute_b32 v0, v13, v22
	ds_bpermute_b32 v6, v13, v15
	ds_bpermute_b32 v7, v13, v14
	ds_bpermute_b32 v2, v13, v21
	ds_bpermute_b32 v3, v13, v20
	s_waitcnt vmcnt(0)
	ds_bpermute_b32 v1, v13, v27
	ds_bpermute_b32 v4, v13, v17
	;; [unrolled: 1-line block ×9, first 2 shown]
	s_waitcnt lgkmcnt(0)
	s_waitcnt_vscnt null, 0x0
	s_barrier
	buffer_gl0_inv
	s_load_dword s4, s[8:9], 0x0
	s_mov_b32 s5, exec_lo
	v_add_f32_e32 v0, v22, v0
	v_add_f32_e32 v6, v15, v6
	;; [unrolled: 1-line block ×5, first 2 shown]
	ds_bpermute_b32 v7, v35, v0
	ds_bpermute_b32 v20, v35, v6
	;; [unrolled: 1-line block ×3, first 2 shown]
	v_add_f32_e32 v1, v27, v1
	v_mov_b32_e32 v27, v19
	v_add_f32_e32 v4, v17, v4
	v_add_f32_e32 v5, v16, v5
	;; [unrolled: 1-line block ×3, first 2 shown]
	ds_bpermute_b32 v15, v35, v1
	v_add_f32_e32 v27, v27, v13
	v_add_f32_e32 v23, v23, v9
	;; [unrolled: 1-line block ×5, first 2 shown]
	ds_bpermute_b32 v16, v35, v2
	ds_bpermute_b32 v17, v35, v3
	;; [unrolled: 1-line block ×6, first 2 shown]
	s_waitcnt lgkmcnt(0)
	v_add_f32_e32 v13, v0, v7
	v_add_f32_e32 v7, v6, v20
	v_add_f32_e32 v6, v14, v21
	buffer_load_dword v14, off, s[0:3], s32 offset:352 ; 4-byte Folded Reload
	ds_bpermute_b32 v29, v35, v24
	ds_bpermute_b32 v30, v35, v25
	;; [unrolled: 1-line block ×4, first 2 shown]
	v_add_f32_e32 v12, v1, v15
	v_add_f32_e32 v11, v2, v16
	v_add_f32_e32 v10, v3, v17
	v_add_f32_e32 v9, v4, v8
	v_add_f32_e32 v8, v5, v19
	v_add_f32_e32 v5, v18, v22
	v_add_f32_e32 v4, v23, v28
	v_and_b32_e32 v17, 0x3c3, v33
	v_mul_u32_u24_e32 v16, 0x1c0, v87
	s_waitcnt lgkmcnt(3)
	v_add_f32_e32 v3, v24, v29
	s_waitcnt lgkmcnt(2)
	v_add_f32_e32 v0, v25, v30
	;; [unrolled: 2-line block ×4, first 2 shown]
	s_waitcnt vmcnt(0)
	v_and_b32_e32 v15, 28, v14
	v_lshrrev_b32_e32 v14, 2, v14
	v_add_nc_u32_e32 v15, s4, v15
	v_cmpx_eq_u32_e32 64, v17
	s_cbranch_execz .LBB349_1859
; %bb.1858:
	v_add_nc_u32_e32 v17, v15, v16
	v_add_nc_u32_e32 v18, 0xfffffc80, v17
	;; [unrolled: 1-line block ×7, first 2 shown]
	ds_write_b32 v18, v13
	ds_write_b32 v19, v12
	;; [unrolled: 1-line block ×4, first 2 shown]
	v_add_nc_u32_e32 v18, 0xfffffd40, v17
	v_add_nc_u32_e32 v19, 0xfffffd60, v17
	;; [unrolled: 1-line block ×3, first 2 shown]
	ds_write_b32 v22, v9
	ds_write_b32 v23, v8
	;; [unrolled: 1-line block ×5, first 2 shown]
	v_add_nc_u32_e32 v18, 0xfffffda0, v17
	v_add_nc_u32_e32 v19, 0xfffffdc0, v17
	;; [unrolled: 1-line block ×5, first 2 shown]
	ds_write_b32 v18, v4
	ds_write_b32 v19, v3
	;; [unrolled: 1-line block ×5, first 2 shown]
.LBB349_1859:
	s_or_b32 exec_lo, exec_lo, s5
	v_lshlrev_b32_e32 v14, 2, v14
	s_mov_b32 s5, exec_lo
	v_cmp_eq_u32_e32 vcc_lo, 0, v36
	s_waitcnt lgkmcnt(0)
	s_barrier
	v_add3_u32 v14, s4, v16, v14
	buffer_gl0_inv
	v_cmpx_gt_u32_e32 64, v33
	s_cbranch_execz .LBB349_1876
; %bb.1860:
	s_and_saveexec_b32 s4, vcc_lo
	s_cbranch_execnz .LBB349_1898
; %bb.1861:
	s_or_b32 exec_lo, exec_lo, s4
	s_and_saveexec_b32 s4, vcc_lo
	s_cbranch_execnz .LBB349_1899
.LBB349_1862:
	s_or_b32 exec_lo, exec_lo, s4
	s_and_saveexec_b32 s4, vcc_lo
	s_cbranch_execnz .LBB349_1900
.LBB349_1863:
	s_or_b32 exec_lo, exec_lo, s4
	s_and_saveexec_b32 s4, vcc_lo
	s_cbranch_execnz .LBB349_1901
.LBB349_1864:
	s_or_b32 exec_lo, exec_lo, s4
	s_and_saveexec_b32 s4, vcc_lo
	s_cbranch_execnz .LBB349_1902
.LBB349_1865:
	s_or_b32 exec_lo, exec_lo, s4
	s_and_saveexec_b32 s4, vcc_lo
	s_cbranch_execnz .LBB349_1903
.LBB349_1866:
	s_or_b32 exec_lo, exec_lo, s4
	s_and_saveexec_b32 s4, vcc_lo
	s_cbranch_execnz .LBB349_1904
.LBB349_1867:
	s_or_b32 exec_lo, exec_lo, s4
	s_and_saveexec_b32 s4, vcc_lo
	s_cbranch_execnz .LBB349_1905
.LBB349_1868:
	s_or_b32 exec_lo, exec_lo, s4
	s_and_saveexec_b32 s4, vcc_lo
	s_cbranch_execnz .LBB349_1906
.LBB349_1869:
	s_or_b32 exec_lo, exec_lo, s4
	s_and_saveexec_b32 s4, vcc_lo
	s_cbranch_execnz .LBB349_1907
.LBB349_1870:
	s_or_b32 exec_lo, exec_lo, s4
	s_and_saveexec_b32 s4, vcc_lo
	s_cbranch_execnz .LBB349_1908
.LBB349_1871:
	s_or_b32 exec_lo, exec_lo, s4
	s_and_saveexec_b32 s4, vcc_lo
	s_cbranch_execnz .LBB349_1909
.LBB349_1872:
	s_or_b32 exec_lo, exec_lo, s4
	s_and_saveexec_b32 s4, vcc_lo
	s_cbranch_execnz .LBB349_1910
.LBB349_1873:
	s_or_b32 exec_lo, exec_lo, s4
	s_and_saveexec_b32 s4, vcc_lo
	s_cbranch_execz .LBB349_1875
.LBB349_1874:
	ds_read_b32 v16, v14 offset:416
	s_waitcnt lgkmcnt(0)
	v_add_f32_e32 v2, v16, v2
.LBB349_1875:
	s_or_b32 exec_lo, exec_lo, s4
.LBB349_1876:
	s_or_b32 exec_lo, exec_lo, s5
	v_and_b32_e32 v16, 0x3e3, v33
	s_mov_b32 s5, exec_lo
	s_barrier
	buffer_gl0_inv
	v_cmpx_eq_u32_e32 32, v16
	s_cbranch_execz .LBB349_1878
; %bb.1877:
	ds_write2_b32 v15, v13, v12 offset1:8
	ds_write2_b32 v15, v11, v10 offset0:16 offset1:24
	ds_write2_b32 v15, v9, v8 offset0:32 offset1:40
	;; [unrolled: 1-line block ×6, first 2 shown]
.LBB349_1878:
	s_or_b32 exec_lo, exec_lo, s5
	s_mov_b32 s5, exec_lo
	s_waitcnt lgkmcnt(0)
	s_barrier
	buffer_gl0_inv
	v_cmpx_gt_u32_e32 32, v33
	s_cbranch_execz .LBB349_1895
; %bb.1879:
	s_and_saveexec_b32 s4, vcc_lo
	s_cbranch_execnz .LBB349_1911
; %bb.1880:
	s_or_b32 exec_lo, exec_lo, s4
	s_and_saveexec_b32 s4, vcc_lo
	s_cbranch_execnz .LBB349_1912
.LBB349_1881:
	s_or_b32 exec_lo, exec_lo, s4
	s_and_saveexec_b32 s4, vcc_lo
	s_cbranch_execnz .LBB349_1913
.LBB349_1882:
	s_or_b32 exec_lo, exec_lo, s4
	s_and_saveexec_b32 s4, vcc_lo
	s_cbranch_execnz .LBB349_1914
.LBB349_1883:
	s_or_b32 exec_lo, exec_lo, s4
	s_and_saveexec_b32 s4, vcc_lo
	s_cbranch_execnz .LBB349_1915
.LBB349_1884:
	s_or_b32 exec_lo, exec_lo, s4
	s_and_saveexec_b32 s4, vcc_lo
	s_cbranch_execnz .LBB349_1916
.LBB349_1885:
	s_or_b32 exec_lo, exec_lo, s4
	s_and_saveexec_b32 s4, vcc_lo
	s_cbranch_execnz .LBB349_1917
.LBB349_1886:
	s_or_b32 exec_lo, exec_lo, s4
	s_and_saveexec_b32 s4, vcc_lo
	s_cbranch_execnz .LBB349_1918
.LBB349_1887:
	s_or_b32 exec_lo, exec_lo, s4
	s_and_saveexec_b32 s4, vcc_lo
	s_cbranch_execnz .LBB349_1919
.LBB349_1888:
	s_or_b32 exec_lo, exec_lo, s4
	s_and_saveexec_b32 s4, vcc_lo
	s_cbranch_execnz .LBB349_1920
.LBB349_1889:
	s_or_b32 exec_lo, exec_lo, s4
	s_and_saveexec_b32 s4, vcc_lo
	s_cbranch_execnz .LBB349_1921
.LBB349_1890:
	s_or_b32 exec_lo, exec_lo, s4
	s_and_saveexec_b32 s4, vcc_lo
	s_cbranch_execnz .LBB349_1922
.LBB349_1891:
	s_or_b32 exec_lo, exec_lo, s4
	s_and_saveexec_b32 s4, vcc_lo
	s_cbranch_execnz .LBB349_1923
.LBB349_1892:
	s_or_b32 exec_lo, exec_lo, s4
	s_and_saveexec_b32 s4, vcc_lo
	s_cbranch_execz .LBB349_1894
.LBB349_1893:
	ds_read_b32 v14, v14 offset:416
	s_waitcnt lgkmcnt(0)
	v_add_f32_e32 v2, v14, v2
.LBB349_1894:
	s_or_b32 exec_lo, exec_lo, s4
.LBB349_1895:
	s_or_b32 exec_lo, exec_lo, s5
	s_mov_b32 s4, exec_lo
	s_barrier
	buffer_gl0_inv
	v_cmpx_eq_u32_e32 0, v16
	s_cbranch_execz .LBB349_1897
; %bb.1896:
	s_clause 0x1
	buffer_load_dword v17, off, s[0:3], s32 offset:744
	buffer_load_dword v18, off, s[0:3], s32 offset:740
	s_and_b32 s5, 0xffff, s12
	s_mul_i32 s6, s14, 0x70
	s_cmp_lg_u32 s5, 0
	v_lshrrev_b32_e32 v14, 1, v33
	s_cselect_b32 s5, -1, 0
	v_bfe_u32 v15, v13, 16, 1
	s_cmp_lg_u32 s5, 0
	v_or_b32_e32 v16, 0x400000, v13
	s_addc_u32 s5, s15, 0
	s_mul_i32 s7, s5, s10
	s_mul_i32 s10, s16, s5
	;; [unrolled: 1-line block ×3, first 2 shown]
	s_ashr_i32 s11, s10, 31
	s_mulk_i32 s8, 0x70
	s_ashr_i32 s7, s6, 31
	s_ashr_i32 s9, s8, 31
	s_lshl_b64 s[6:7], s[6:7], 1
	s_lshl_b64 s[8:9], s[8:9], 1
	v_add3_u32 v19, v15, v13, 0x7fff
	s_waitcnt vmcnt(1)
	v_add_co_u32 v17, vcc_lo, v17, s8
	s_waitcnt vmcnt(0)
	v_add_co_ci_u32_e64 v18, null, s9, v18, vcc_lo
	s_lshl_b64 s[8:9], s[10:11], 1
	v_add_co_u32 v17, vcc_lo, v17, s8
	v_add_co_ci_u32_e64 v18, null, s9, v18, vcc_lo
	v_add_co_u32 v17, vcc_lo, v17, s6
	v_add_co_ci_u32_e64 v18, null, s7, v18, vcc_lo
	v_add_co_u32 v14, vcc_lo, v17, v14
	v_add_co_ci_u32_e64 v15, null, 0, v18, vcc_lo
	v_bfe_u32 v17, v12, 16, 1
	v_cmp_u_f32_e32 vcc_lo, v13, v13
	v_or_b32_e32 v18, 0x400000, v12
	v_add3_u32 v17, v17, v12, 0x7fff
	v_cndmask_b32_e32 v13, v19, v16, vcc_lo
	v_bfe_u32 v16, v11, 16, 1
	v_cmp_u_f32_e32 vcc_lo, v12, v12
	flat_store_short_d16_hi v[14:15], v13
	v_add3_u32 v13, v16, v11, 0x7fff
	v_or_b32_e32 v16, 0x400000, v11
	v_cndmask_b32_e32 v12, v17, v18, vcc_lo
	v_bfe_u32 v17, v10, 16, 1
	v_cmp_u_f32_e32 vcc_lo, v11, v11
	flat_store_short_d16_hi v[14:15], v12 offset:16
	v_add3_u32 v12, v17, v10, 0x7fff
	v_cndmask_b32_e32 v11, v13, v16, vcc_lo
	v_bfe_u32 v13, v9, 16, 1
	v_or_b32_e32 v16, 0x400000, v10
	v_cmp_u_f32_e32 vcc_lo, v10, v10
	flat_store_short_d16_hi v[14:15], v11 offset:32
	v_add3_u32 v11, v13, v9, 0x7fff
	v_or_b32_e32 v13, 0x400000, v9
	v_cndmask_b32_e32 v10, v12, v16, vcc_lo
	v_bfe_u32 v12, v8, 16, 1
	v_cmp_u_f32_e32 vcc_lo, v9, v9
	flat_store_short_d16_hi v[14:15], v10 offset:48
	v_add3_u32 v10, v12, v8, 0x7fff
	v_cndmask_b32_e32 v9, v11, v13, vcc_lo
	v_bfe_u32 v11, v7, 16, 1
	v_or_b32_e32 v12, 0x400000, v8
	v_cmp_u_f32_e32 vcc_lo, v8, v8
	flat_store_short_d16_hi v[14:15], v9 offset:64
	;; [unrolled: 12-line block ×3, first 2 shown]
	v_add3_u32 v7, v9, v5, 0x7fff
	v_or_b32_e32 v9, 0x400000, v5
	v_cndmask_b32_e32 v6, v8, v10, vcc_lo
	v_bfe_u32 v8, v4, 16, 1
	v_cmp_u_f32_e32 vcc_lo, v5, v5
	v_or_b32_e32 v10, 0x400000, v2
	flat_store_short_d16_hi v[14:15], v6 offset:112
	v_add3_u32 v6, v8, v4, 0x7fff
	v_cndmask_b32_e32 v5, v7, v9, vcc_lo
	v_bfe_u32 v7, v3, 16, 1
	v_or_b32_e32 v8, 0x400000, v4
	v_cmp_u_f32_e32 vcc_lo, v4, v4
	v_or_b32_e32 v9, 0x400000, v1
	flat_store_short_d16_hi v[14:15], v5 offset:128
	v_add3_u32 v5, v7, v3, 0x7fff
	v_or_b32_e32 v7, 0x400000, v3
	v_cndmask_b32_e32 v4, v6, v8, vcc_lo
	v_bfe_u32 v6, v0, 16, 1
	v_cmp_u_f32_e32 vcc_lo, v3, v3
	v_bfe_u32 v8, v1, 16, 1
	v_add3_u32 v6, v6, v0, 0x7fff
	v_cndmask_b32_e32 v3, v5, v7, vcc_lo
	v_or_b32_e32 v7, 0x400000, v0
	v_cmp_u_f32_e32 vcc_lo, v0, v0
	v_bfe_u32 v5, v2, 16, 1
	v_add3_u32 v8, v8, v1, 0x7fff
	v_cndmask_b32_e32 v0, v6, v7, vcc_lo
	v_cmp_u_f32_e32 vcc_lo, v1, v1
	v_add3_u32 v5, v5, v2, 0x7fff
	v_cndmask_b32_e32 v1, v8, v9, vcc_lo
	v_cmp_u_f32_e32 vcc_lo, v2, v2
	v_cndmask_b32_e32 v2, v5, v10, vcc_lo
	flat_store_short_d16_hi v[14:15], v4 offset:144
	flat_store_short_d16_hi v[14:15], v3 offset:160
	;; [unrolled: 1-line block ×5, first 2 shown]
.LBB349_1897:
	s_or_b32 exec_lo, exec_lo, s4
	s_clause 0x2f
	buffer_load_dword v127, off, s[0:3], s32
	buffer_load_dword v126, off, s[0:3], s32 offset:4
	buffer_load_dword v125, off, s[0:3], s32 offset:8
	;; [unrolled: 1-line block ×47, first 2 shown]
	s_waitcnt vmcnt(0) lgkmcnt(0)
	s_setpc_b64 s[30:31]
.LBB349_1898:
	ds_read_b32 v16, v14
	s_waitcnt lgkmcnt(0)
	v_add_f32_e32 v13, v16, v13
	s_or_b32 exec_lo, exec_lo, s4
	s_and_saveexec_b32 s4, vcc_lo
	s_cbranch_execz .LBB349_1862
.LBB349_1899:
	ds_read_b32 v16, v14 offset:32
	s_waitcnt lgkmcnt(0)
	v_add_f32_e32 v12, v16, v12
	s_or_b32 exec_lo, exec_lo, s4
	s_and_saveexec_b32 s4, vcc_lo
	s_cbranch_execz .LBB349_1863
.LBB349_1900:
	ds_read_b32 v16, v14 offset:64
	s_waitcnt lgkmcnt(0)
	v_add_f32_e32 v11, v16, v11
	s_or_b32 exec_lo, exec_lo, s4
	s_and_saveexec_b32 s4, vcc_lo
	s_cbranch_execz .LBB349_1864
.LBB349_1901:
	ds_read_b32 v16, v14 offset:96
	s_waitcnt lgkmcnt(0)
	v_add_f32_e32 v10, v16, v10
	s_or_b32 exec_lo, exec_lo, s4
	s_and_saveexec_b32 s4, vcc_lo
	s_cbranch_execz .LBB349_1865
.LBB349_1902:
	ds_read_b32 v16, v14 offset:128
	s_waitcnt lgkmcnt(0)
	v_add_f32_e32 v9, v16, v9
	s_or_b32 exec_lo, exec_lo, s4
	s_and_saveexec_b32 s4, vcc_lo
	s_cbranch_execz .LBB349_1866
.LBB349_1903:
	ds_read_b32 v16, v14 offset:160
	s_waitcnt lgkmcnt(0)
	v_add_f32_e32 v8, v16, v8
	s_or_b32 exec_lo, exec_lo, s4
	s_and_saveexec_b32 s4, vcc_lo
	s_cbranch_execz .LBB349_1867
.LBB349_1904:
	ds_read_b32 v16, v14 offset:192
	s_waitcnt lgkmcnt(0)
	v_add_f32_e32 v7, v16, v7
	s_or_b32 exec_lo, exec_lo, s4
	s_and_saveexec_b32 s4, vcc_lo
	s_cbranch_execz .LBB349_1868
.LBB349_1905:
	ds_read_b32 v16, v14 offset:224
	s_waitcnt lgkmcnt(0)
	v_add_f32_e32 v6, v16, v6
	s_or_b32 exec_lo, exec_lo, s4
	s_and_saveexec_b32 s4, vcc_lo
	s_cbranch_execz .LBB349_1869
.LBB349_1906:
	ds_read_b32 v16, v14 offset:256
	s_waitcnt lgkmcnt(0)
	v_add_f32_e32 v5, v16, v5
	s_or_b32 exec_lo, exec_lo, s4
	s_and_saveexec_b32 s4, vcc_lo
	s_cbranch_execz .LBB349_1870
.LBB349_1907:
	ds_read_b32 v16, v14 offset:288
	s_waitcnt lgkmcnt(0)
	v_add_f32_e32 v4, v16, v4
	s_or_b32 exec_lo, exec_lo, s4
	s_and_saveexec_b32 s4, vcc_lo
	s_cbranch_execz .LBB349_1871
.LBB349_1908:
	ds_read_b32 v16, v14 offset:320
	s_waitcnt lgkmcnt(0)
	v_add_f32_e32 v3, v16, v3
	s_or_b32 exec_lo, exec_lo, s4
	s_and_saveexec_b32 s4, vcc_lo
	s_cbranch_execz .LBB349_1872
.LBB349_1909:
	ds_read_b32 v16, v14 offset:352
	s_waitcnt lgkmcnt(0)
	v_add_f32_e32 v0, v16, v0
	s_or_b32 exec_lo, exec_lo, s4
	s_and_saveexec_b32 s4, vcc_lo
	s_cbranch_execz .LBB349_1873
.LBB349_1910:
	ds_read_b32 v16, v14 offset:384
	s_waitcnt lgkmcnt(0)
	v_add_f32_e32 v1, v16, v1
	s_or_b32 exec_lo, exec_lo, s4
	s_and_saveexec_b32 s4, vcc_lo
	s_cbranch_execnz .LBB349_1874
	s_branch .LBB349_1875
.LBB349_1911:
	ds_read_b32 v15, v14
	s_waitcnt lgkmcnt(0)
	v_add_f32_e32 v13, v15, v13
	s_or_b32 exec_lo, exec_lo, s4
	s_and_saveexec_b32 s4, vcc_lo
	s_cbranch_execz .LBB349_1881
.LBB349_1912:
	ds_read_b32 v15, v14 offset:32
	s_waitcnt lgkmcnt(0)
	v_add_f32_e32 v12, v15, v12
	s_or_b32 exec_lo, exec_lo, s4
	s_and_saveexec_b32 s4, vcc_lo
	s_cbranch_execz .LBB349_1882
.LBB349_1913:
	ds_read_b32 v15, v14 offset:64
	s_waitcnt lgkmcnt(0)
	v_add_f32_e32 v11, v15, v11
	s_or_b32 exec_lo, exec_lo, s4
	s_and_saveexec_b32 s4, vcc_lo
	s_cbranch_execz .LBB349_1883
.LBB349_1914:
	ds_read_b32 v15, v14 offset:96
	s_waitcnt lgkmcnt(0)
	v_add_f32_e32 v10, v15, v10
	s_or_b32 exec_lo, exec_lo, s4
	s_and_saveexec_b32 s4, vcc_lo
	s_cbranch_execz .LBB349_1884
.LBB349_1915:
	ds_read_b32 v15, v14 offset:128
	s_waitcnt lgkmcnt(0)
	v_add_f32_e32 v9, v15, v9
	s_or_b32 exec_lo, exec_lo, s4
	s_and_saveexec_b32 s4, vcc_lo
	s_cbranch_execz .LBB349_1885
.LBB349_1916:
	ds_read_b32 v15, v14 offset:160
	s_waitcnt lgkmcnt(0)
	v_add_f32_e32 v8, v15, v8
	s_or_b32 exec_lo, exec_lo, s4
	s_and_saveexec_b32 s4, vcc_lo
	s_cbranch_execz .LBB349_1886
.LBB349_1917:
	ds_read_b32 v15, v14 offset:192
	s_waitcnt lgkmcnt(0)
	v_add_f32_e32 v7, v15, v7
	s_or_b32 exec_lo, exec_lo, s4
	s_and_saveexec_b32 s4, vcc_lo
	s_cbranch_execz .LBB349_1887
.LBB349_1918:
	ds_read_b32 v15, v14 offset:224
	s_waitcnt lgkmcnt(0)
	v_add_f32_e32 v6, v15, v6
	s_or_b32 exec_lo, exec_lo, s4
	s_and_saveexec_b32 s4, vcc_lo
	s_cbranch_execz .LBB349_1888
.LBB349_1919:
	ds_read_b32 v15, v14 offset:256
	s_waitcnt lgkmcnt(0)
	v_add_f32_e32 v5, v15, v5
	s_or_b32 exec_lo, exec_lo, s4
	s_and_saveexec_b32 s4, vcc_lo
	s_cbranch_execz .LBB349_1889
.LBB349_1920:
	ds_read_b32 v15, v14 offset:288
	s_waitcnt lgkmcnt(0)
	v_add_f32_e32 v4, v15, v4
	s_or_b32 exec_lo, exec_lo, s4
	s_and_saveexec_b32 s4, vcc_lo
	s_cbranch_execz .LBB349_1890
.LBB349_1921:
	ds_read_b32 v15, v14 offset:320
	s_waitcnt lgkmcnt(0)
	v_add_f32_e32 v3, v15, v3
	s_or_b32 exec_lo, exec_lo, s4
	s_and_saveexec_b32 s4, vcc_lo
	s_cbranch_execz .LBB349_1891
.LBB349_1922:
	ds_read_b32 v15, v14 offset:352
	s_waitcnt lgkmcnt(0)
	v_add_f32_e32 v0, v15, v0
	s_or_b32 exec_lo, exec_lo, s4
	s_and_saveexec_b32 s4, vcc_lo
	s_cbranch_execz .LBB349_1892
.LBB349_1923:
	ds_read_b32 v15, v14 offset:384
	s_waitcnt lgkmcnt(0)
	v_add_f32_e32 v1, v15, v1
	s_or_b32 exec_lo, exec_lo, s4
	s_and_saveexec_b32 s4, vcc_lo
	s_cbranch_execnz .LBB349_1893
	s_branch .LBB349_1894
.Lfunc_end349:
	.size	_ZN4vllm22paged_attention_kernelI14__hip_bfloat16hLi112ELi32ELi128ELNS_18Fp8KVCacheDataTypeE1ELb1ELi0EEEvPfS3_PT_PKS4_PKT0_SA_ifPKiSC_iPKfiiiSE_SE_iiiii, .Lfunc_end349-_ZN4vllm22paged_attention_kernelI14__hip_bfloat16hLi112ELi32ELi128ELNS_18Fp8KVCacheDataTypeE1ELb1ELi0EEEvPfS3_PT_PKS4_PKT0_SA_ifPKiSC_iPKfiiiSE_SE_iiiii
                                        ; -- End function
	.set .L_ZN4vllm22paged_attention_kernelI14__hip_bfloat16hLi112ELi32ELi128ELNS_18Fp8KVCacheDataTypeE1ELb1ELi0EEEvPfS3_PT_PKS4_PKT0_SA_ifPKiSC_iPKfiiiSE_SE_iiiii.num_vgpr, 128
	.set .L_ZN4vllm22paged_attention_kernelI14__hip_bfloat16hLi112ELi32ELi128ELNS_18Fp8KVCacheDataTypeE1ELb1ELi0EEEvPfS3_PT_PKS4_PKT0_SA_ifPKiSC_iPKfiiiSE_SE_iiiii.num_agpr, 0
	.set .L_ZN4vllm22paged_attention_kernelI14__hip_bfloat16hLi112ELi32ELi128ELNS_18Fp8KVCacheDataTypeE1ELb1ELi0EEEvPfS3_PT_PKS4_PKT0_SA_ifPKiSC_iPKfiiiSE_SE_iiiii.numbered_sgpr, 33
	.set .L_ZN4vllm22paged_attention_kernelI14__hip_bfloat16hLi112ELi32ELi128ELNS_18Fp8KVCacheDataTypeE1ELb1ELi0EEEvPfS3_PT_PKS4_PKT0_SA_ifPKiSC_iPKfiiiSE_SE_iiiii.num_named_barrier, 0
	.set .L_ZN4vllm22paged_attention_kernelI14__hip_bfloat16hLi112ELi32ELi128ELNS_18Fp8KVCacheDataTypeE1ELb1ELi0EEEvPfS3_PT_PKS4_PKT0_SA_ifPKiSC_iPKfiiiSE_SE_iiiii.private_seg_size, 800
	.set .L_ZN4vllm22paged_attention_kernelI14__hip_bfloat16hLi112ELi32ELi128ELNS_18Fp8KVCacheDataTypeE1ELb1ELi0EEEvPfS3_PT_PKS4_PKT0_SA_ifPKiSC_iPKfiiiSE_SE_iiiii.uses_vcc, 1
	.set .L_ZN4vllm22paged_attention_kernelI14__hip_bfloat16hLi112ELi32ELi128ELNS_18Fp8KVCacheDataTypeE1ELb1ELi0EEEvPfS3_PT_PKS4_PKT0_SA_ifPKiSC_iPKfiiiSE_SE_iiiii.uses_flat_scratch, 0
	.set .L_ZN4vllm22paged_attention_kernelI14__hip_bfloat16hLi112ELi32ELi128ELNS_18Fp8KVCacheDataTypeE1ELb1ELi0EEEvPfS3_PT_PKS4_PKT0_SA_ifPKiSC_iPKfiiiSE_SE_iiiii.has_dyn_sized_stack, 0
	.set .L_ZN4vllm22paged_attention_kernelI14__hip_bfloat16hLi112ELi32ELi128ELNS_18Fp8KVCacheDataTypeE1ELb1ELi0EEEvPfS3_PT_PKS4_PKT0_SA_ifPKiSC_iPKfiiiSE_SE_iiiii.has_recursion, 0
	.set .L_ZN4vllm22paged_attention_kernelI14__hip_bfloat16hLi112ELi32ELi128ELNS_18Fp8KVCacheDataTypeE1ELb1ELi0EEEvPfS3_PT_PKS4_PKT0_SA_ifPKiSC_iPKfiiiSE_SE_iiiii.has_indirect_call, 0
	.section	.AMDGPU.csdata,"",@progbits
; Function info:
; codeLenInByte = 75916
; TotalNumSgprs: 35
; NumVgprs: 128
; ScratchSize: 800
; MemoryBound: 0
	.section	.text._ZN4vllm25paged_attention_v1_kernelI14__hip_bfloat16hLi112ELi32ELi128ELNS_18Fp8KVCacheDataTypeE1ELb1EEEvPT_PKS3_PKT0_S9_ifPKiSB_iPKfiiiSD_SD_iiiii,"axG",@progbits,_ZN4vllm25paged_attention_v1_kernelI14__hip_bfloat16hLi112ELi32ELi128ELNS_18Fp8KVCacheDataTypeE1ELb1EEEvPT_PKS3_PKT0_S9_ifPKiSB_iPKfiiiSD_SD_iiiii,comdat
	.protected	_ZN4vllm25paged_attention_v1_kernelI14__hip_bfloat16hLi112ELi32ELi128ELNS_18Fp8KVCacheDataTypeE1ELb1EEEvPT_PKS3_PKT0_S9_ifPKiSB_iPKfiiiSD_SD_iiiii ; -- Begin function _ZN4vllm25paged_attention_v1_kernelI14__hip_bfloat16hLi112ELi32ELi128ELNS_18Fp8KVCacheDataTypeE1ELb1EEEvPT_PKS3_PKT0_S9_ifPKiSB_iPKfiiiSD_SD_iiiii
	.globl	_ZN4vllm25paged_attention_v1_kernelI14__hip_bfloat16hLi112ELi32ELi128ELNS_18Fp8KVCacheDataTypeE1ELb1EEEvPT_PKS3_PKT0_S9_ifPKiSB_iPKfiiiSD_SD_iiiii
	.p2align	8
	.type	_ZN4vllm25paged_attention_v1_kernelI14__hip_bfloat16hLi112ELi32ELi128ELNS_18Fp8KVCacheDataTypeE1ELb1EEEvPT_PKS3_PKT0_S9_ifPKiSB_iPKfiiiSD_SD_iiiii,@function
_ZN4vllm25paged_attention_v1_kernelI14__hip_bfloat16hLi112ELi32ELi128ELNS_18Fp8KVCacheDataTypeE1ELb1EEEvPT_PKS3_PKT0_S9_ifPKiSB_iPKfiiiSD_SD_iiiii: ; @_ZN4vllm25paged_attention_v1_kernelI14__hip_bfloat16hLi112ELi32ELi128ELNS_18Fp8KVCacheDataTypeE1ELb1EEEvPT_PKS3_PKT0_S9_ifPKiSB_iPKfiiiSD_SD_iiiii
; %bb.0:
	s_clause 0x7
	s_load_dwordx8 s[16:23], s[4:5], 0x0
	s_load_dwordx4 s[36:39], s[4:5], 0x20
	s_load_dwordx2 s[10:11], s[4:5], 0x30
	s_load_dword s13, s[4:5], 0x38
	s_load_dwordx2 s[34:35], s[4:5], 0x40
	s_load_dwordx8 s[24:31], s[4:5], 0x48
	s_load_dword s15, s[4:5], 0x78
	s_load_dwordx4 s[40:43], s[4:5], 0x68
	s_add_u32 s0, s0, s9
	s_addc_u32 s1, s1, 0
	v_mov_b32_e32 v31, v0
	s_mov_b32 s14, s8
	s_add_u32 s8, s4, 0x80
	s_addc_u32 s9, s5, 0
	s_getpc_b64 s[4:5]
	s_add_u32 s4, s4, _ZN4vllm22paged_attention_kernelI14__hip_bfloat16hLi112ELi32ELi128ELNS_18Fp8KVCacheDataTypeE1ELb1ELi0EEEvPfS3_PT_PKS4_PKT0_SA_ifPKiSC_iPKfiiiSE_SE_iiiii@rel32@lo+4
	s_addc_u32 s5, s5, _ZN4vllm22paged_attention_kernelI14__hip_bfloat16hLi112ELi32ELi128ELNS_18Fp8KVCacheDataTypeE1ELb1ELi0EEEvPfS3_PT_PKS4_PKT0_SA_ifPKiSC_iPKfiiiSE_SE_iiiii@rel32@hi+12
	s_mov_b32 s12, s6
	s_mov_b32 s32, 0
	s_waitcnt lgkmcnt(0)
	v_mov_b32_e32 v0, s16
	v_mov_b32_e32 v1, s17
	;; [unrolled: 1-line block ×29, first 2 shown]
	s_mov_b32 s13, s7
	s_mov_b32 s15, 1
	s_swappc_b64 s[30:31], s[4:5]
	s_endpgm
	.section	.rodata,"a",@progbits
	.p2align	6, 0x0
	.amdhsa_kernel _ZN4vllm25paged_attention_v1_kernelI14__hip_bfloat16hLi112ELi32ELi128ELNS_18Fp8KVCacheDataTypeE1ELb1EEEvPT_PKS3_PKT0_S9_ifPKiSB_iPKfiiiSD_SD_iiiii
		.amdhsa_group_segment_fixed_size 256
		.amdhsa_private_segment_fixed_size 800
		.amdhsa_kernarg_size 384
		.amdhsa_user_sgpr_count 6
		.amdhsa_user_sgpr_private_segment_buffer 1
		.amdhsa_user_sgpr_dispatch_ptr 0
		.amdhsa_user_sgpr_queue_ptr 0
		.amdhsa_user_sgpr_kernarg_segment_ptr 1
		.amdhsa_user_sgpr_dispatch_id 0
		.amdhsa_user_sgpr_flat_scratch_init 0
		.amdhsa_user_sgpr_private_segment_size 0
		.amdhsa_wavefront_size32 1
		.amdhsa_uses_dynamic_stack 0
		.amdhsa_system_sgpr_private_segment_wavefront_offset 1
		.amdhsa_system_sgpr_workgroup_id_x 1
		.amdhsa_system_sgpr_workgroup_id_y 1
		.amdhsa_system_sgpr_workgroup_id_z 1
		.amdhsa_system_sgpr_workgroup_info 0
		.amdhsa_system_vgpr_workitem_id 0
		.amdhsa_next_free_vgpr 128
		.amdhsa_next_free_sgpr 44
		.amdhsa_reserve_vcc 1
		.amdhsa_reserve_flat_scratch 0
		.amdhsa_float_round_mode_32 0
		.amdhsa_float_round_mode_16_64 0
		.amdhsa_float_denorm_mode_32 3
		.amdhsa_float_denorm_mode_16_64 3
		.amdhsa_dx10_clamp 1
		.amdhsa_ieee_mode 1
		.amdhsa_fp16_overflow 0
		.amdhsa_workgroup_processor_mode 1
		.amdhsa_memory_ordered 1
		.amdhsa_forward_progress 1
		.amdhsa_shared_vgpr_count 0
		.amdhsa_exception_fp_ieee_invalid_op 0
		.amdhsa_exception_fp_denorm_src 0
		.amdhsa_exception_fp_ieee_div_zero 0
		.amdhsa_exception_fp_ieee_overflow 0
		.amdhsa_exception_fp_ieee_underflow 0
		.amdhsa_exception_fp_ieee_inexact 0
		.amdhsa_exception_int_div_zero 0
	.end_amdhsa_kernel
	.section	.text._ZN4vllm25paged_attention_v1_kernelI14__hip_bfloat16hLi112ELi32ELi128ELNS_18Fp8KVCacheDataTypeE1ELb1EEEvPT_PKS3_PKT0_S9_ifPKiSB_iPKfiiiSD_SD_iiiii,"axG",@progbits,_ZN4vllm25paged_attention_v1_kernelI14__hip_bfloat16hLi112ELi32ELi128ELNS_18Fp8KVCacheDataTypeE1ELb1EEEvPT_PKS3_PKT0_S9_ifPKiSB_iPKfiiiSD_SD_iiiii,comdat
.Lfunc_end350:
	.size	_ZN4vllm25paged_attention_v1_kernelI14__hip_bfloat16hLi112ELi32ELi128ELNS_18Fp8KVCacheDataTypeE1ELb1EEEvPT_PKS3_PKT0_S9_ifPKiSB_iPKfiiiSD_SD_iiiii, .Lfunc_end350-_ZN4vllm25paged_attention_v1_kernelI14__hip_bfloat16hLi112ELi32ELi128ELNS_18Fp8KVCacheDataTypeE1ELb1EEEvPT_PKS3_PKT0_S9_ifPKiSB_iPKfiiiSD_SD_iiiii
                                        ; -- End function
	.set _ZN4vllm25paged_attention_v1_kernelI14__hip_bfloat16hLi112ELi32ELi128ELNS_18Fp8KVCacheDataTypeE1ELb1EEEvPT_PKS3_PKT0_S9_ifPKiSB_iPKfiiiSD_SD_iiiii.num_vgpr, max(32, .L_ZN4vllm22paged_attention_kernelI14__hip_bfloat16hLi112ELi32ELi128ELNS_18Fp8KVCacheDataTypeE1ELb1ELi0EEEvPfS3_PT_PKS4_PKT0_SA_ifPKiSC_iPKfiiiSE_SE_iiiii.num_vgpr)
	.set _ZN4vllm25paged_attention_v1_kernelI14__hip_bfloat16hLi112ELi32ELi128ELNS_18Fp8KVCacheDataTypeE1ELb1EEEvPT_PKS3_PKT0_S9_ifPKiSB_iPKfiiiSD_SD_iiiii.num_agpr, max(0, .L_ZN4vllm22paged_attention_kernelI14__hip_bfloat16hLi112ELi32ELi128ELNS_18Fp8KVCacheDataTypeE1ELb1ELi0EEEvPfS3_PT_PKS4_PKT0_SA_ifPKiSC_iPKfiiiSE_SE_iiiii.num_agpr)
	.set _ZN4vllm25paged_attention_v1_kernelI14__hip_bfloat16hLi112ELi32ELi128ELNS_18Fp8KVCacheDataTypeE1ELb1EEEvPT_PKS3_PKT0_S9_ifPKiSB_iPKfiiiSD_SD_iiiii.numbered_sgpr, max(44, .L_ZN4vllm22paged_attention_kernelI14__hip_bfloat16hLi112ELi32ELi128ELNS_18Fp8KVCacheDataTypeE1ELb1ELi0EEEvPfS3_PT_PKS4_PKT0_SA_ifPKiSC_iPKfiiiSE_SE_iiiii.numbered_sgpr)
	.set _ZN4vllm25paged_attention_v1_kernelI14__hip_bfloat16hLi112ELi32ELi128ELNS_18Fp8KVCacheDataTypeE1ELb1EEEvPT_PKS3_PKT0_S9_ifPKiSB_iPKfiiiSD_SD_iiiii.num_named_barrier, max(0, .L_ZN4vllm22paged_attention_kernelI14__hip_bfloat16hLi112ELi32ELi128ELNS_18Fp8KVCacheDataTypeE1ELb1ELi0EEEvPfS3_PT_PKS4_PKT0_SA_ifPKiSC_iPKfiiiSE_SE_iiiii.num_named_barrier)
	.set _ZN4vllm25paged_attention_v1_kernelI14__hip_bfloat16hLi112ELi32ELi128ELNS_18Fp8KVCacheDataTypeE1ELb1EEEvPT_PKS3_PKT0_S9_ifPKiSB_iPKfiiiSD_SD_iiiii.private_seg_size, 0+max(.L_ZN4vllm22paged_attention_kernelI14__hip_bfloat16hLi112ELi32ELi128ELNS_18Fp8KVCacheDataTypeE1ELb1ELi0EEEvPfS3_PT_PKS4_PKT0_SA_ifPKiSC_iPKfiiiSE_SE_iiiii.private_seg_size)
	.set _ZN4vllm25paged_attention_v1_kernelI14__hip_bfloat16hLi112ELi32ELi128ELNS_18Fp8KVCacheDataTypeE1ELb1EEEvPT_PKS3_PKT0_S9_ifPKiSB_iPKfiiiSD_SD_iiiii.uses_vcc, or(1, .L_ZN4vllm22paged_attention_kernelI14__hip_bfloat16hLi112ELi32ELi128ELNS_18Fp8KVCacheDataTypeE1ELb1ELi0EEEvPfS3_PT_PKS4_PKT0_SA_ifPKiSC_iPKfiiiSE_SE_iiiii.uses_vcc)
	.set _ZN4vllm25paged_attention_v1_kernelI14__hip_bfloat16hLi112ELi32ELi128ELNS_18Fp8KVCacheDataTypeE1ELb1EEEvPT_PKS3_PKT0_S9_ifPKiSB_iPKfiiiSD_SD_iiiii.uses_flat_scratch, or(0, .L_ZN4vllm22paged_attention_kernelI14__hip_bfloat16hLi112ELi32ELi128ELNS_18Fp8KVCacheDataTypeE1ELb1ELi0EEEvPfS3_PT_PKS4_PKT0_SA_ifPKiSC_iPKfiiiSE_SE_iiiii.uses_flat_scratch)
	.set _ZN4vllm25paged_attention_v1_kernelI14__hip_bfloat16hLi112ELi32ELi128ELNS_18Fp8KVCacheDataTypeE1ELb1EEEvPT_PKS3_PKT0_S9_ifPKiSB_iPKfiiiSD_SD_iiiii.has_dyn_sized_stack, or(0, .L_ZN4vllm22paged_attention_kernelI14__hip_bfloat16hLi112ELi32ELi128ELNS_18Fp8KVCacheDataTypeE1ELb1ELi0EEEvPfS3_PT_PKS4_PKT0_SA_ifPKiSC_iPKfiiiSE_SE_iiiii.has_dyn_sized_stack)
	.set _ZN4vllm25paged_attention_v1_kernelI14__hip_bfloat16hLi112ELi32ELi128ELNS_18Fp8KVCacheDataTypeE1ELb1EEEvPT_PKS3_PKT0_S9_ifPKiSB_iPKfiiiSD_SD_iiiii.has_recursion, or(0, .L_ZN4vllm22paged_attention_kernelI14__hip_bfloat16hLi112ELi32ELi128ELNS_18Fp8KVCacheDataTypeE1ELb1ELi0EEEvPfS3_PT_PKS4_PKT0_SA_ifPKiSC_iPKfiiiSE_SE_iiiii.has_recursion)
	.set _ZN4vllm25paged_attention_v1_kernelI14__hip_bfloat16hLi112ELi32ELi128ELNS_18Fp8KVCacheDataTypeE1ELb1EEEvPT_PKS3_PKT0_S9_ifPKiSB_iPKfiiiSD_SD_iiiii.has_indirect_call, or(0, .L_ZN4vllm22paged_attention_kernelI14__hip_bfloat16hLi112ELi32ELi128ELNS_18Fp8KVCacheDataTypeE1ELb1ELi0EEEvPfS3_PT_PKS4_PKT0_SA_ifPKiSC_iPKfiiiSE_SE_iiiii.has_indirect_call)
	.section	.AMDGPU.csdata,"",@progbits
; Kernel info:
; codeLenInByte = 260
; TotalNumSgprs: 46
; NumVgprs: 128
; ScratchSize: 800
; MemoryBound: 0
; FloatMode: 240
; IeeeMode: 1
; LDSByteSize: 256 bytes/workgroup (compile time only)
; SGPRBlocks: 0
; VGPRBlocks: 15
; NumSGPRsForWavesPerEU: 46
; NumVGPRsForWavesPerEU: 128
; Occupancy: 8
; WaveLimiterHint : 1
; COMPUTE_PGM_RSRC2:SCRATCH_EN: 1
; COMPUTE_PGM_RSRC2:USER_SGPR: 6
; COMPUTE_PGM_RSRC2:TRAP_HANDLER: 0
; COMPUTE_PGM_RSRC2:TGID_X_EN: 1
; COMPUTE_PGM_RSRC2:TGID_Y_EN: 1
; COMPUTE_PGM_RSRC2:TGID_Z_EN: 1
; COMPUTE_PGM_RSRC2:TIDIG_COMP_CNT: 0
	.text
	.p2align	2                               ; -- Begin function _ZN4vllm22paged_attention_kernelI14__hip_bfloat16hLi120ELi32ELi128ELNS_18Fp8KVCacheDataTypeE1ELb1ELi0EEEvPfS3_PT_PKS4_PKT0_SA_ifPKiSC_iPKfiiiSE_SE_iiiii
	.type	_ZN4vllm22paged_attention_kernelI14__hip_bfloat16hLi120ELi32ELi128ELNS_18Fp8KVCacheDataTypeE1ELb1ELi0EEEvPfS3_PT_PKS4_PKT0_SA_ifPKiSC_iPKfiiiSE_SE_iiiii,@function
_ZN4vllm22paged_attention_kernelI14__hip_bfloat16hLi120ELi32ELi128ELNS_18Fp8KVCacheDataTypeE1ELb1ELi0EEEvPfS3_PT_PKS4_PKT0_SA_ifPKiSC_iPKfiiiSE_SE_iiiii: ; @_ZN4vllm22paged_attention_kernelI14__hip_bfloat16hLi120ELi32ELi128ELNS_18Fp8KVCacheDataTypeE1ELb1ELi0EEEvPfS3_PT_PKS4_PKT0_SA_ifPKiSC_iPKfiiiSE_SE_iiiii
; %bb.0:
	s_waitcnt vmcnt(0) expcnt(0) lgkmcnt(0)
	buffer_store_dword v40, off, s[0:3], s32 offset:188 ; 4-byte Folded Spill
	buffer_store_dword v41, off, s[0:3], s32 offset:184 ; 4-byte Folded Spill
	;; [unrolled: 1-line block ×47, first 2 shown]
	buffer_store_dword v127, off, s[0:3], s32 ; 4-byte Folded Spill
	s_mov_b32 s10, s13
	s_ashr_i32 s11, s13, 31
	buffer_store_dword v22, off, s[0:3], s32 offset:404 ; 4-byte Folded Spill
	buffer_store_dword v23, off, s[0:3], s32 offset:408 ; 4-byte Folded Spill
	;; [unrolled: 1-line block ×6, first 2 shown]
	s_lshl_b64 s[6:7], s[10:11], 2
	buffer_store_dword v1, off, s[0:3], s32 offset:800 ; 4-byte Folded Spill
	buffer_store_dword v0, off, s[0:3], s32 offset:804 ; 4-byte Folded Spill
	v_add_co_u32 v0, vcc_lo, v12, s6
	v_add_co_ci_u32_e64 v1, null, s7, v13, vcc_lo
	s_clause 0x1
	s_load_dword s5, s[8:9], 0x10
	s_load_dword s6, s[8:9], 0x0
	v_mov_b32_e32 v33, v6
	flat_load_dword v32, v[0:1]
	v_sub_nc_u32_e32 v0, 0, v8
	v_mov_b32_e32 v30, v7
	s_mov_b32 s4, s15
	v_max_i32_e32 v0, v8, v0
	v_cvt_f32_u32_e32 v1, v0
	v_sub_nc_u32_e32 v6, 0, v0
	v_rcp_iflag_f32_e32 v1, v1
	s_waitcnt lgkmcnt(0)
	s_lshr_b32 s5, s5, 16
	s_cmp_lg_u32 s5, 0
	s_cselect_b32 s5, -1, 0
	s_cmp_lg_u32 s5, 0
	s_addc_u32 s11, s6, 0
	v_mul_f32_e32 v1, 0x4f7ffffe, v1
	s_abs_i32 s5, s11
	s_mov_b32 s6, exec_lo
	v_cvt_u32_f32_e32 v1, v1
	v_mul_lo_u32 v6, v6, v1
	v_mul_hi_u32 v6, v1, v6
	v_add_nc_u32_e32 v1, v1, v6
	v_mul_hi_u32 v1, s5, v1
	v_mul_lo_u32 v6, v1, v0
	v_add_nc_u32_e32 v7, 1, v1
	v_sub_nc_u32_e32 v6, s5, v6
	s_abs_i32 s5, s12
	v_sub_nc_u32_e32 v9, v6, v0
	v_cmp_ge_u32_e32 vcc_lo, v6, v0
	v_cndmask_b32_e32 v1, v1, v7, vcc_lo
	v_cndmask_b32_e32 v6, v6, v9, vcc_lo
	v_xor_b32_e32 v7, s11, v8
	v_add_nc_u32_e32 v9, 1, v1
	v_cmp_ge_u32_e32 vcc_lo, v6, v0
	v_ashrrev_i32_e32 v7, 31, v7
	v_cndmask_b32_e32 v0, v1, v9, vcc_lo
	v_xor_b32_e32 v0, v0, v7
	v_sub_nc_u32_e32 v1, v0, v7
	v_sub_nc_u32_e32 v0, 0, v1
	v_max_i32_e32 v0, v1, v0
	v_cvt_f32_u32_e32 v6, v0
	v_sub_nc_u32_e32 v7, 0, v0
	v_rcp_iflag_f32_e32 v6, v6
	v_mul_f32_e32 v6, 0x4f7ffffe, v6
	v_cvt_u32_f32_e32 v6, v6
	v_mul_lo_u32 v7, v7, v6
	v_mul_hi_u32 v7, v6, v7
	v_add_nc_u32_e32 v6, v6, v7
	v_mad_u64_u32 v[12:13], null, s5, v6, 0
	v_mov_b32_e32 v6, 0
	buffer_store_dword v6, off, s[0:3], s32 offset:264 ; 4-byte Folded Spill
	v_cmpx_ne_u64_e32 0, v[15:16]
	s_cbranch_execz .LBB351_2
; %bb.1:
	s_ashr_i32 s13, s12, 31
	s_lshl_b64 s[16:17], s[12:13], 2
	v_add_co_u32 v6, vcc_lo, v15, s16
	v_add_co_ci_u32_e64 v7, null, s17, v16, vcc_lo
	flat_load_dword v6, v[6:7]
	s_waitcnt vmcnt(0) lgkmcnt(0)
	buffer_store_dword v6, off, s[0:3], s32 offset:264 ; 4-byte Folded Spill
.LBB351_2:
	s_or_b32 exec_lo, exec_lo, s6
	v_and_b32_e32 v6, 0x3ff, v31
	v_ashrrev_i32_e32 v1, 31, v1
	s_ashr_i32 s6, s12, 31
	s_mul_i32 s16, s12, 0x78
	s_mov_b32 s7, exec_lo
	buffer_store_dword v6, off, s[0:3], s32 offset:400 ; 4-byte Folded Spill
	v_cmpx_gt_u32_e32 15, v6
	s_cbranch_execz .LBB351_4
; %bb.3:
	buffer_load_dword v9, off, s[0:3], s32 offset:400 ; 4-byte Folded Reload
	v_mul_lo_u32 v6, v17, s10
	s_ashr_i32 s17, s16, 31
	s_lshl_b64 s[18:19], s[16:17], 1
	v_ashrrev_i32_e32 v7, 31, v6
	v_lshlrev_b64 v[6:7], 1, v[6:7]
	v_add_co_u32 v2, vcc_lo, v2, v6
	v_add_co_ci_u32_e64 v3, null, v3, v7, vcc_lo
	v_add_co_u32 v2, vcc_lo, v2, s18
	v_add_co_ci_u32_e64 v3, null, s19, v3, vcc_lo
	s_waitcnt vmcnt(0)
	v_lshlrev_b32_e32 v15, 4, v9
	v_add_co_u32 v2, vcc_lo, v2, v15
	v_add_co_ci_u32_e64 v3, null, 0, v3, vcc_lo
	flat_load_dwordx4 v[20:23], v[2:3]
	s_waitcnt vmcnt(0) lgkmcnt(0)
	ds_write_b128 v15, v[20:23]
.LBB351_4:
	s_or_b32 exec_lo, exec_lo, s7
	v_sub_nc_u32_e32 v2, 0, v27
	v_mul_lo_u32 v3, v13, v0
	v_add_nc_u32_e32 v7, 1, v13
	v_xor_b32_e32 v1, s6, v1
	v_max_i32_e32 v6, v27, v2
	v_sub_nc_u32_e32 v3, s5, v3
	v_cvt_f32_u32_e32 v2, v6
	buffer_store_dword v6, off, s[0:3], s32 offset:196 ; 4-byte Folded Spill
	v_sub_nc_u32_e32 v6, 0, v6
	s_mov_b32 s5, exec_lo
	v_sub_nc_u32_e32 v9, v3, v0
	v_rcp_iflag_f32_e32 v2, v2
	v_cmp_ge_u32_e32 vcc_lo, v3, v0
	v_cndmask_b32_e32 v7, v13, v7, vcc_lo
	v_cndmask_b32_e32 v3, v3, v9, vcc_lo
	v_mul_f32_e32 v2, 0x4f7ffffe, v2
	v_add_nc_u32_e32 v9, 1, v7
	v_cmp_ge_u32_e32 vcc_lo, v3, v0
	v_cvt_u32_f32_e32 v2, v2
	v_cndmask_b32_e32 v3, v7, v9, vcc_lo
	v_mul_lo_u32 v12, v6, v2
	s_waitcnt vmcnt(0)
	v_add_nc_u32_e32 v6, -1, v32
	v_xor_b32_e32 v7, v3, v1
	v_mul_hi_u32 v13, v2, v12
	v_sub_nc_u32_e32 v12, 0, v6
	v_max_i32_e32 v0, v6, v12
	v_add_nc_u32_e32 v2, v2, v13
	buffer_store_dword v2, off, s[0:3], s32 offset:212 ; 4-byte Folded Spill
	v_mad_u64_u32 v[2:3], null, v0, v2, 0
	v_sub_nc_u32_e32 v2, v7, v1
                                        ; implicit-def: $vgpr1
	s_waitcnt lgkmcnt(0)
	s_waitcnt_vscnt null, 0x0
	s_barrier
	buffer_gl0_inv
	buffer_store_dword v1, off, s[0:3], s32 offset:200 ; 4-byte Folded Spill
	buffer_store_dword v2, off, s[0:3], s32 offset:204 ; 4-byte Folded Spill
	v_cmpx_gt_i32_e32 0, v28
	s_xor_b32 s5, exec_lo, s5
	s_cbranch_execz .LBB351_6
; %bb.5:
	v_mad_u64_u32 v[7:8], null, v24, v8, v[2:3]
                                        ; implicit-def: $vgpr24
	v_mul_lo_u32 v1, v7, v28
                                        ; implicit-def: $vgpr28
	v_sub_nc_u32_e32 v1, 1, v1
	buffer_store_dword v1, off, s[0:3], s32 offset:200 ; 4-byte Folded Spill
	buffer_store_dword v2, off, s[0:3], s32 offset:204 ; 4-byte Folded Spill
.LBB351_6:
	s_or_saveexec_b32 s5, s5
	v_ashrrev_i32_e32 v1, 31, v6
	v_ashrrev_i32_e32 v6, 31, v27
	buffer_store_dword v6, off, s[0:3], s32 offset:208 ; 4-byte Folded Spill
	s_xor_b32 exec_lo, exec_lo, s5
	s_cbranch_execz .LBB351_8
; %bb.7:
	v_mad_u64_u32 v[6:7], null, s11, v24, s[12:13]
	v_mad_u64_u32 v[6:7], null, v6, v28, 1
	buffer_store_dword v6, off, s[0:3], s32 offset:200 ; 4-byte Folded Spill
	buffer_store_dword v7, off, s[0:3], s32 offset:204 ; 4-byte Folded Spill
.LBB351_8:
	s_or_b32 exec_lo, exec_lo, s5
	buffer_load_dword v13, off, s[0:3], s32 offset:196 ; 4-byte Folded Reload
	s_clause 0x1
	s_load_dword s7, s[8:9], 0x14
	s_load_dword s15, s[8:9], 0x8
	s_clause 0x1
	buffer_load_dword v8, off, s[0:3], s32 offset:208
	buffer_load_dword v15, off, s[0:3], s32 offset:400
	v_add_nc_u32_e32 v7, 1, v3
	v_mul_lo_u32 v37, v2, v19
	s_ashr_i32 s5, s4, 31
	s_getpc_b64 s[8:9]
	s_add_u32 s8, s8, llvm.amdgcn.dynlds.offset.table@rel32@lo+4
	s_addc_u32 s9, s9, llvm.amdgcn.dynlds.offset.table@rel32@hi+12
	v_sub_nc_u32_e32 v38, 0, v26
	s_lshl_b64 s[12:13], s[4:5], 2
	s_add_u32 s8, s8, s12
	s_addc_u32 s9, s9, s13
	v_ashrrev_i32_e32 v39, 31, v37
	s_waitcnt vmcnt(2)
	v_mul_lo_u32 v6, v3, v13
	s_waitcnt vmcnt(1)
	v_xor_b32_e32 v8, v1, v8
	v_add_nc_u32_e32 v1, 31, v32
	s_waitcnt vmcnt(0)
	v_and_b32_e32 v12, 31, v15
	v_lshrrev_b32_e32 v34, 3, v15
	v_sub_nc_u32_e32 v6, v0, v6
	v_mul_lo_u32 v0, v14, s10
	v_lshrrev_b32_e32 v14, 5, v15
	buffer_store_dword v12, off, s[0:3], s32 offset:396 ; 4-byte Folded Spill
	v_lshlrev_b32_e32 v19, 2, v12
	v_sub_nc_u32_e32 v9, v6, v13
	v_cmp_ge_u32_e32 vcc_lo, v6, v13
	v_cndmask_b32_e32 v3, v3, v7, vcc_lo
	v_cndmask_b32_e32 v6, v6, v9, vcc_lo
	v_ashrrev_i32_e32 v7, 31, v1
	v_add_nc_u32_e32 v9, 1, v3
	v_cmp_ge_u32_e32 vcc_lo, v6, v13
	v_lshrrev_b32_e32 v7, 27, v7
	v_cndmask_b32_e32 v3, v3, v9, vcc_lo
	v_add_nc_u32_e32 v2, v1, v7
	v_lshlrev_b32_e32 v1, 5, v14
	v_mov_b32_e32 v9, 0xff7fffff
	v_xor_b32_e32 v3, v3, v8
	v_ashrrev_i32_e32 v6, 5, v2
	buffer_store_dword v1, off, s[0:3], s32 offset:808 ; 4-byte Folded Spill
	v_ashrrev_i32_e32 v1, 31, v0
	buffer_store_dword v14, off, s[0:3], s32 offset:796 ; 4-byte Folded Spill
	buffer_store_dword v6, off, s[0:3], s32 offset:192 ; 4-byte Folded Spill
	v_sub_nc_u32_e32 v2, v3, v8
	v_cmp_lt_i32_e64 s4, v14, v6
	v_lshlrev_b64 v[12:13], 2, v[0:1]
	v_sub_nc_u32_e32 v0, v2, v25
	buffer_store_dword v0, off, s[0:3], s32 offset:216 ; 4-byte Folded Spill
	s_and_saveexec_b32 s17, s4
	s_cbranch_execz .LBB351_976
; %bb.9:
	v_mov_b32_e32 v14, 0
	buffer_store_dword v33, off, s[0:3], s32 offset:828 ; 4-byte Folded Spill
	buffer_store_dword v30, off, s[0:3], s32 offset:824 ; 4-byte Folded Spill
	v_mov_b32_e32 v98, 0x80
	s_mov_b32 s12, -1
	s_mov_b32 s18, 0
	ds_read_b128 v[0:3], v14
	ds_read_b128 v[6:9], v14 offset:16
	ds_read_b128 v[15:18], v14 offset:32
	s_mov_b32 s13, 0xffffff
	s_waitcnt lgkmcnt(0)
	v_lshlrev_b32_e32 v20, 16, v0
	v_and_b32_e32 v0, 0xffff0000, v0
	buffer_store_dword v20, off, s[0:3], s32 offset:280 ; 4-byte Folded Spill
	buffer_store_dword v0, off, s[0:3], s32 offset:284 ; 4-byte Folded Spill
	v_lshlrev_b32_e32 v0, 16, v1
	buffer_store_dword v0, off, s[0:3], s32 offset:288 ; 4-byte Folded Spill
	v_and_b32_e32 v0, 0xffff0000, v1
	buffer_store_dword v0, off, s[0:3], s32 offset:292 ; 4-byte Folded Spill
	v_lshlrev_b32_e32 v0, 16, v2
	buffer_store_dword v0, off, s[0:3], s32 offset:296 ; 4-byte Folded Spill
	v_and_b32_e32 v0, 0xffff0000, v2
	;; [unrolled: 4-line block ×4, first 2 shown]
	v_lshlrev_b32_e32 v6, 16, v15
	buffer_store_dword v0, off, s[0:3], s32 offset:316 ; 4-byte Folded Spill
	v_lshlrev_b32_e32 v0, 16, v7
	buffer_store_dword v6, off, s[0:3], s32 offset:348 ; 4-byte Folded Spill
	v_and_b32_e32 v6, 0xffff0000, v15
	buffer_store_dword v0, off, s[0:3], s32 offset:320 ; 4-byte Folded Spill
	v_and_b32_e32 v0, 0xffff0000, v7
	buffer_store_dword v6, off, s[0:3], s32 offset:352 ; 4-byte Folded Spill
	v_lshlrev_b32_e32 v6, 16, v16
	buffer_store_dword v0, off, s[0:3], s32 offset:324 ; 4-byte Folded Spill
	v_lshlrev_b32_e32 v0, 16, v8
	buffer_store_dword v6, off, s[0:3], s32 offset:356 ; 4-byte Folded Spill
	v_and_b32_e32 v6, 0xffff0000, v16
	buffer_store_dword v0, off, s[0:3], s32 offset:332 ; 4-byte Folded Spill
	v_and_b32_e32 v0, 0xffff0000, v8
	buffer_store_dword v6, off, s[0:3], s32 offset:360 ; 4-byte Folded Spill
	v_lshlrev_b32_e32 v6, 16, v17
	buffer_store_dword v0, off, s[0:3], s32 offset:336 ; 4-byte Folded Spill
	v_lshlrev_b32_e32 v0, 16, v9
	buffer_store_dword v6, off, s[0:3], s32 offset:364 ; 4-byte Folded Spill
	v_and_b32_e32 v6, 0xffff0000, v17
	buffer_store_dword v0, off, s[0:3], s32 offset:340 ; 4-byte Folded Spill
	v_and_b32_e32 v0, 0xffff0000, v9
	buffer_store_dword v6, off, s[0:3], s32 offset:368 ; 4-byte Folded Spill
	v_lshlrev_b32_e32 v6, 16, v18
	buffer_store_dword v0, off, s[0:3], s32 offset:344 ; 4-byte Folded Spill
	ds_read_b128 v[0:3], v14 offset:48
	buffer_store_dword v6, off, s[0:3], s32 offset:372 ; 4-byte Folded Spill
	v_and_b32_e32 v6, 0xffff0000, v18
	buffer_store_dword v6, off, s[0:3], s32 offset:376 ; 4-byte Folded Spill
	s_waitcnt lgkmcnt(0)
	v_lshlrev_b32_e32 v6, 16, v0
	v_and_b32_e32 v0, 0xffff0000, v0
	buffer_store_dword v6, off, s[0:3], s32 offset:380 ; 4-byte Folded Spill
	buffer_store_dword v0, off, s[0:3], s32 offset:384 ; 4-byte Folded Spill
	v_lshlrev_b32_e32 v0, 16, v1
	buffer_store_dword v0, off, s[0:3], s32 offset:388 ; 4-byte Folded Spill
	v_and_b32_e32 v0, 0xffff0000, v1
	buffer_store_dword v0, off, s[0:3], s32 offset:392 ; 4-byte Folded Spill
	v_lshlrev_b32_e32 v0, 16, v2
	buffer_store_dword v0, off, s[0:3], s32 offset:412 ; 4-byte Folded Spill
	v_and_b32_e32 v0, 0xffff0000, v2
	buffer_store_dword v0, off, s[0:3], s32 offset:416 ; 4-byte Folded Spill
	v_lshlrev_b32_e32 v0, 16, v3
	buffer_store_dword v0, off, s[0:3], s32 offset:424 ; 4-byte Folded Spill
	v_and_b32_e32 v0, 0xffff0000, v3
	buffer_store_dword v0, off, s[0:3], s32 offset:428 ; 4-byte Folded Spill
	ds_read_b128 v[0:3], v14 offset:64
	ds_read_b128 v[6:9], v14 offset:80
	s_waitcnt lgkmcnt(1)
	v_lshlrev_b32_e32 v15, 16, v0
	v_and_b32_e32 v0, 0xffff0000, v0
	buffer_store_dword v15, off, s[0:3], s32 offset:432 ; 4-byte Folded Spill
	buffer_store_dword v0, off, s[0:3], s32 offset:436 ; 4-byte Folded Spill
	v_lshlrev_b32_e32 v0, 16, v1
	buffer_store_dword v0, off, s[0:3], s32 offset:440 ; 4-byte Folded Spill
	v_and_b32_e32 v0, 0xffff0000, v1
	buffer_store_dword v0, off, s[0:3], s32 offset:444 ; 4-byte Folded Spill
	v_lshlrev_b32_e32 v0, 16, v2
	buffer_store_dword v0, off, s[0:3], s32 offset:448 ; 4-byte Folded Spill
	v_and_b32_e32 v0, 0xffff0000, v2
	buffer_store_dword v0, off, s[0:3], s32 offset:452 ; 4-byte Folded Spill
	v_lshlrev_b32_e32 v0, 16, v3
	buffer_store_dword v0, off, s[0:3], s32 offset:456 ; 4-byte Folded Spill
	v_and_b32_e32 v0, 0xffff0000, v3
	buffer_store_dword v0, off, s[0:3], s32 offset:460 ; 4-byte Folded Spill
	s_waitcnt lgkmcnt(0)
	v_lshlrev_b32_e32 v0, 16, v6
	buffer_store_dword v0, off, s[0:3], s32 offset:464 ; 4-byte Folded Spill
	v_and_b32_e32 v0, 0xffff0000, v6
	buffer_store_dword v0, off, s[0:3], s32 offset:468 ; 4-byte Folded Spill
	v_lshlrev_b32_e32 v0, 16, v7
	buffer_store_dword v0, off, s[0:3], s32 offset:472 ; 4-byte Folded Spill
	v_and_b32_e32 v0, 0xffff0000, v7
	buffer_store_dword v0, off, s[0:3], s32 offset:476 ; 4-byte Folded Spill
	v_lshlrev_b32_e32 v0, 16, v8
	buffer_store_dword v0, off, s[0:3], s32 offset:480 ; 4-byte Folded Spill
	v_and_b32_e32 v0, 0xffff0000, v8
	buffer_store_dword v0, off, s[0:3], s32 offset:484 ; 4-byte Folded Spill
	v_lshlrev_b32_e32 v0, 16, v9
	buffer_store_dword v0, off, s[0:3], s32 offset:488 ; 4-byte Folded Spill
	v_and_b32_e32 v0, 0xffff0000, v9
	buffer_store_dword v0, off, s[0:3], s32 offset:492 ; 4-byte Folded Spill
	ds_read_b128 v[0:3], v14 offset:96
	ds_read_b128 v[6:9], v14 offset:112
	s_waitcnt lgkmcnt(1)
	v_lshlrev_b32_e32 v15, 16, v0
	v_and_b32_e32 v0, 0xffff0000, v0
	buffer_store_dword v15, off, s[0:3], s32 offset:496 ; 4-byte Folded Spill
	buffer_store_dword v0, off, s[0:3], s32 offset:500 ; 4-byte Folded Spill
	v_lshlrev_b32_e32 v0, 16, v1
	buffer_store_dword v0, off, s[0:3], s32 offset:504 ; 4-byte Folded Spill
	v_and_b32_e32 v0, 0xffff0000, v1
	buffer_store_dword v0, off, s[0:3], s32 offset:508 ; 4-byte Folded Spill
	v_lshlrev_b32_e32 v0, 16, v2
	buffer_store_dword v0, off, s[0:3], s32 offset:512 ; 4-byte Folded Spill
	v_and_b32_e32 v0, 0xffff0000, v2
	buffer_store_dword v0, off, s[0:3], s32 offset:516 ; 4-byte Folded Spill
	v_lshlrev_b32_e32 v0, 16, v3
	buffer_store_dword v0, off, s[0:3], s32 offset:520 ; 4-byte Folded Spill
	v_and_b32_e32 v0, 0xffff0000, v3
	buffer_store_dword v0, off, s[0:3], s32 offset:524 ; 4-byte Folded Spill
	s_waitcnt lgkmcnt(0)
	v_lshlrev_b32_e32 v0, 16, v6
	buffer_store_dword v0, off, s[0:3], s32 offset:528 ; 4-byte Folded Spill
	v_and_b32_e32 v0, 0xffff0000, v6
	;; [unrolled: 36-line block ×5, first 2 shown]
	buffer_store_dword v0, off, s[0:3], s32 offset:724 ; 4-byte Folded Spill
	v_lshlrev_b32_e32 v0, 16, v7
	buffer_store_dword v0, off, s[0:3], s32 offset:728 ; 4-byte Folded Spill
	v_and_b32_e32 v0, 0xffff0000, v7
	buffer_store_dword v0, off, s[0:3], s32 offset:732 ; 4-byte Folded Spill
	v_lshlrev_b32_e32 v0, 16, v8
	buffer_store_dword v0, off, s[0:3], s32 offset:736 ; 4-byte Folded Spill
	v_and_b32_e32 v0, 0xffff0000, v8
	;; [unrolled: 4-line block ×3, first 2 shown]
	v_mov_b32_e32 v9, 0xff7fffff
	buffer_store_dword v0, off, s[0:3], s32 offset:748 ; 4-byte Folded Spill
	ds_read_b128 v[0:3], v14 offset:224
	s_waitcnt lgkmcnt(0)
	v_lshlrev_b32_e32 v6, 16, v0
	v_and_b32_e32 v0, 0xffff0000, v0
	buffer_store_dword v6, off, s[0:3], s32 offset:752 ; 4-byte Folded Spill
	buffer_store_dword v0, off, s[0:3], s32 offset:756 ; 4-byte Folded Spill
	v_lshlrev_b32_e32 v0, 16, v1
	buffer_store_dword v0, off, s[0:3], s32 offset:760 ; 4-byte Folded Spill
	v_and_b32_e32 v0, 0xffff0000, v1
	buffer_store_dword v0, off, s[0:3], s32 offset:764 ; 4-byte Folded Spill
	v_lshlrev_b32_e32 v0, 16, v2
	buffer_store_dword v0, off, s[0:3], s32 offset:768 ; 4-byte Folded Spill
	v_and_b32_e32 v0, 0xffff0000, v2
	;; [unrolled: 4-line block ×3, first 2 shown]
	buffer_store_dword v0, off, s[0:3], s32 offset:780 ; 4-byte Folded Spill
	buffer_store_dword v37, off, s[0:3], s32 offset:844 ; 4-byte Folded Spill
	buffer_load_dword v3, off, s[0:3], s32 offset:396 ; 4-byte Folded Reload
	v_add_co_u32 v0, vcc_lo, v4, v37
	v_add_co_ci_u32_e64 v1, null, v5, v39, vcc_lo
	buffer_store_dword v39, off, s[0:3], s32 offset:852 ; 4-byte Folded Spill
	s_waitcnt vmcnt(0)
	v_lshlrev_b32_e32 v2, 4, v3
	v_add_co_u32 v0, vcc_lo, v0, v2
	v_add_co_ci_u32_e64 v1, null, 0, v1, vcc_lo
	buffer_store_dword v0, off, s[0:3], s32 offset:784 ; 4-byte Folded Spill
	buffer_store_dword v1, off, s[0:3], s32 offset:788 ; 4-byte Folded Spill
	;; [unrolled: 1-line block ×4, first 2 shown]
	v_max_i32_e32 v1, v26, v38
	v_cvt_f32_u32_e32 v0, v1
	buffer_store_dword v1, off, s[0:3], s32 offset:244 ; 4-byte Folded Spill
	v_sub_nc_u32_e32 v1, 0, v1
	v_rcp_iflag_f32_e32 v0, v0
	v_mul_f32_e32 v0, 0x4f7ffffe, v0
	v_cvt_u32_f32_e32 v0, v0
	v_mul_lo_u32 v1, v1, v0
	v_mul_hi_u32 v1, v0, v1
	v_add_nc_u32_e32 v0, v0, v1
	buffer_store_dword v0, off, s[0:3], s32 offset:248 ; 4-byte Folded Spill
	buffer_store_dword v34, off, s[0:3], s32 offset:840 ; 4-byte Folded Spill
	v_and_b32_e32 v0, 0x7c, v34
	v_add_co_u32 v0, vcc_lo, v0, v12
	buffer_store_dword v12, off, s[0:3], s32 offset:832 ; 4-byte Folded Spill
	buffer_store_dword v13, off, s[0:3], s32 offset:836 ; 4-byte Folded Spill
	s_load_dword s19, s[8:9], 0x0
	buffer_store_dword v10, off, s[0:3], s32 offset:816 ; 4-byte Folded Spill
	buffer_store_dword v11, off, s[0:3], s32 offset:812 ; 4-byte Folded Spill
	;; [unrolled: 1-line block ×3, first 2 shown]
	v_add_co_ci_u32_e64 v1, null, 0, v13, vcc_lo
	v_add_co_u32 v15, vcc_lo, v10, v0
	buffer_load_dword v0, off, s[0:3], s32 offset:264 ; 4-byte Folded Reload
	v_add_co_ci_u32_e64 v16, null, v11, v1, vcc_lo
	s_waitcnt vmcnt(0)
	v_cmp_neq_f32_e32 vcc_lo, 0, v0
	v_sub_nc_u32_e32 v0, v3, v32
	v_add_nc_u32_e32 v0, 1, v0
	buffer_store_dword v0, off, s[0:3], s32 offset:792 ; 4-byte Folded Spill
	buffer_load_dword v0, off, s[0:3], s32 offset:796 ; 4-byte Folded Reload
	s_waitcnt vmcnt(0)
	v_lshlrev_b32_e32 v5, 5, v0
	v_lshl_or_b32 v6, v0, 7, v19
	v_mov_b32_e32 v1, v0
	s_branch .LBB351_15
.LBB351_10:                             ;   in Loop: Header=BB351_15 Depth=1
	s_or_b32 exec_lo, exec_lo, s23
	v_mov_b32_e32 v13, 24
	v_lshl_add_u32 v24, v24, 23, 0x3c000000
	v_lshlrev_b32_sdwa v13, v13, v25 dst_sel:DWORD dst_unused:UNUSED_PAD src0_sel:DWORD src1_sel:BYTE_3
	v_lshlrev_b32_e32 v25, 20, v27
	v_and_b32_e32 v13, 0x80000000, v13
	v_or3_b32 v42, v25, v13, v24
.LBB351_11:                             ;   in Loop: Header=BB351_15 Depth=1
	s_or_b32 exec_lo, exec_lo, s22
.LBB351_12:                             ;   in Loop: Header=BB351_15 Depth=1
	s_or_b32 exec_lo, exec_lo, s21
.LBB351_13:                             ;   in Loop: Header=BB351_15 Depth=1
	s_or_b32 exec_lo, exec_lo, s20
	v_mul_f32_e32 v13, v112, v44
	v_mul_f32_e32 v21, v112, v21
	v_mul_f32_e32 v9, v112, v9
	v_mul_f32_e32 v48, v112, v48
	v_mul_f32_e32 v5, v112, v5
	v_bfe_u32 v24, v13, 16, 1
	v_or_b32_e32 v25, 0x400000, v13
	v_cmp_u_f32_e64 s5, v13, v13
	v_mul_f32_e32 v4, v112, v4
	v_mul_f32_e32 v20, v112, v20
	v_add3_u32 v24, v24, v13, 0x7fff
	v_mul_f32_e32 v81, v112, v81
	v_mul_f32_e32 v80, v112, v80
	v_mul_f32_e32 v69, v112, v69
	v_mul_f32_e32 v68, v112, v68
	v_cndmask_b32_e64 v13, v24, v25, s5
	v_mul_f32_e32 v24, v112, v41
	v_mul_f32_e32 v67, v112, v67
	v_mul_f32_e32 v64, v112, v64
	v_mul_f32_e32 v55, v112, v55
	v_mul_f32_e32 v54, v112, v54
	v_bfe_u32 v25, v24, 16, 1
	v_or_b32_e32 v27, 0x400000, v24
	v_cmp_u_f32_e64 s5, v24, v24
	v_mul_f32_e32 v53, v112, v53
	v_mul_f32_e32 v52, v112, v52
	v_add3_u32 v25, v25, v24, 0x7fff
	v_mul_f32_e32 v51, v112, v51
	v_mul_f32_e32 v65, v112, v65
	v_mul_f32_e32 v22, v112, v22
	v_mul_f32_e32 v23, v112, v23
	v_cndmask_b32_e64 v24, v25, v27, s5
	;; [unrolled: 16-line block ×3, first 2 shown]
	v_mul_f32_e32 v27, v112, v117
	v_mul_f32_e32 v3, v112, v3
	;; [unrolled: 1-line block ×5, first 2 shown]
	v_bfe_u32 v28, v27, 16, 1
	v_or_b32_e32 v117, 0x400000, v27
	v_cmp_u_f32_e64 s5, v27, v27
	v_mul_f32_e32 v35, v112, v35
	v_mul_f32_e32 v12, v112, v12
	v_add3_u32 v28, v28, v27, 0x7fff
	v_mul_f32_e32 v0, v112, v0
	v_mul_f32_e32 v121, v112, v121
	;; [unrolled: 1-line block ×3, first 2 shown]
	buffer_load_dword v34, off, s[0:3], s32 offset:228 ; 4-byte Folded Reload
	v_cndmask_b32_e64 v27, v28, v117, s5
	v_mul_f32_e32 v28, v112, v115
	v_mul_f32_e32 v110, v112, v110
	;; [unrolled: 1-line block ×5, first 2 shown]
	v_bfe_u32 v115, v28, 16, 1
	v_or_b32_e32 v117, 0x400000, v28
	v_cmp_u_f32_e64 s5, v28, v28
	v_mul_f32_e32 v106, v112, v106
	v_mul_f32_e32 v105, v112, v105
	v_add3_u32 v115, v115, v28, 0x7fff
	v_mul_f32_e32 v28, v112, v116
	v_mul_f32_e32 v111, v112, v111
	v_mul_f32_e32 v94, v112, v94
	v_mul_f32_e32 v93, v112, v93
	v_cndmask_b32_e64 v115, v115, v117, s5
	v_bfe_u32 v116, v28, 16, 1
	v_or_b32_e32 v117, 0x400000, v28
	v_cmp_u_f32_e64 s5, v28, v28
	v_mul_f32_e32 v92, v112, v92
	v_mul_f32_e32 v91, v112, v91
	v_add3_u32 v116, v116, v28, 0x7fff
	v_mul_f32_e32 v28, v112, v83
	v_mul_f32_e32 v90, v112, v90
	v_mul_f32_e32 v89, v112, v89
	v_mul_f32_e32 v95, v112, v95
	v_cndmask_b32_e64 v117, v116, v117, s5
	;; [unrolled: 11-line block ×3, first 2 shown]
	v_mul_f32_e32 v83, v112, v45
	v_mul_f32_e32 v79, v112, v79
	v_mul_f32_e32 v62, v112, v62
	v_mul_f32_e32 v61, v112, v61
	v_mul_f32_e32 v60, v112, v60
	v_bfe_u32 v116, v83, 16, 1
	v_or_b32_e32 v118, 0x400000, v83
	v_cmp_u_f32_e64 s5, v83, v83
	v_mul_f32_e32 v59, v112, v59
	v_mul_f32_e32 v58, v112, v58
	v_add3_u32 v116, v116, v83, 0x7fff
	v_bfe_u32 v83, v21, 16, 1
	v_mul_f32_e32 v57, v112, v57
	v_mul_f32_e32 v46, v112, v46
	;; [unrolled: 1-line block ×3, first 2 shown]
	v_cndmask_b32_e64 v116, v116, v118, s5
	v_add3_u32 v83, v83, v21, 0x7fff
	v_or_b32_e32 v118, 0x400000, v21
	v_cmp_u_f32_e64 s5, v21, v21
	v_mul_f32_e32 v119, v112, v119
	v_mul_f32_e32 v114, v112, v114
	;; [unrolled: 1-line block ×4, first 2 shown]
	v_cndmask_b32_e64 v21, v83, v118, s5
	v_mul_f32_e32 v83, v112, v86
	v_bfe_u32 v86, v83, 16, 1
	v_or_b32_e32 v118, 0x400000, v83
	v_cmp_u_f32_e64 s5, v83, v83
	v_add3_u32 v86, v86, v83, 0x7fff
	v_bfe_u32 v83, v9, 16, 1
	v_cndmask_b32_e64 v86, v86, v118, s5
	v_add3_u32 v83, v83, v9, 0x7fff
	v_or_b32_e32 v118, 0x400000, v9
	v_cmp_u_f32_e64 s5, v9, v9
	v_cndmask_b32_e64 v9, v83, v118, s5
	v_bfe_u32 v83, v48, 16, 1
	v_or_b32_e32 v118, 0x400000, v48
	v_cmp_u_f32_e64 s5, v48, v48
	v_add3_u32 v83, v83, v48, 0x7fff
	v_cndmask_b32_e64 v48, v83, v118, s5
	v_bfe_u32 v83, v5, 16, 1
	v_or_b32_e32 v118, 0x400000, v5
	v_cmp_u_f32_e64 s5, v5, v5
	v_add3_u32 v83, v83, v5, 0x7fff
	;; [unrolled: 5-line block ×3, first 2 shown]
	v_mul_f32_e32 v4, v112, v36
	v_cndmask_b32_e64 v118, v83, v118, s5
	v_bfe_u32 v36, v4, 16, 1
	v_or_b32_e32 v83, 0x400000, v4
	v_cmp_u_f32_e64 s5, v4, v4
	v_add3_u32 v36, v36, v4, 0x7fff
	v_cndmask_b32_e64 v4, v36, v83, s5
	v_bfe_u32 v36, v20, 16, 1
	v_or_b32_e32 v83, 0x400000, v20
	v_cmp_u_f32_e64 s5, v20, v20
	v_add3_u32 v36, v36, v20, 0x7fff
	v_cndmask_b32_e64 v20, v36, v83, s5
	v_mul_f32_e32 v36, v112, v82
	v_bfe_u32 v82, v36, 16, 1
	v_or_b32_e32 v83, 0x400000, v36
	v_cmp_u_f32_e64 s5, v36, v36
	v_add3_u32 v82, v82, v36, 0x7fff
	v_cndmask_b32_e64 v36, v82, v83, s5
	v_bfe_u32 v82, v81, 16, 1
	v_or_b32_e32 v83, 0x400000, v81
	v_cmp_u_f32_e64 s5, v81, v81
	v_add3_u32 v82, v82, v81, 0x7fff
	v_cndmask_b32_e64 v81, v82, v83, s5
	;; [unrolled: 5-line block ×5, first 2 shown]
	v_bfe_u32 v82, v67, 16, 1
	v_or_b32_e32 v83, 0x400000, v67
	v_cmp_u_f32_e64 s5, v67, v67
	v_add3_u32 v82, v82, v67, 0x7fff
	v_mul_f32_e32 v67, v112, v87
	v_cndmask_b32_e64 v41, v82, v83, s5
	v_bfe_u32 v82, v67, 16, 1
	v_or_b32_e32 v83, 0x400000, v67
	v_cmp_u_f32_e64 s5, v67, v67
	v_add3_u32 v82, v82, v67, 0x7fff
	v_cndmask_b32_e64 v67, v82, v83, s5
	v_mul_f32_e32 v82, v112, v84
	v_bfe_u32 v83, v82, 16, 1
	v_or_b32_e32 v84, 0x400000, v82
	v_cmp_u_f32_e64 s5, v82, v82
	v_add3_u32 v83, v83, v82, 0x7fff
	v_cndmask_b32_e64 v82, v83, v84, s5
	v_bfe_u32 v83, v64, 16, 1
	v_or_b32_e32 v84, 0x400000, v64
	v_cmp_u_f32_e64 s5, v64, v64
	v_add3_u32 v83, v83, v64, 0x7fff
	v_cndmask_b32_e64 v64, v83, v84, s5
	;; [unrolled: 5-line block ×6, first 2 shown]
	v_bfe_u32 v83, v51, 16, 1
	v_or_b32_e32 v84, 0x400000, v51
	v_cmp_u_f32_e64 s5, v51, v51
	v_add3_u32 v83, v83, v51, 0x7fff
	v_mul_f32_e32 v51, v112, v66
	v_cndmask_b32_e64 v84, v83, v84, s5
	v_bfe_u32 v66, v51, 16, 1
	v_or_b32_e32 v83, 0x400000, v51
	v_cmp_u_f32_e64 s5, v51, v51
	v_add3_u32 v66, v66, v51, 0x7fff
	v_cndmask_b32_e64 v51, v66, v83, s5
	v_bfe_u32 v66, v65, 16, 1
	v_or_b32_e32 v83, 0x400000, v65
	v_cmp_u_f32_e64 s5, v65, v65
	v_add3_u32 v66, v66, v65, 0x7fff
	;; [unrolled: 5-line block ×8, first 2 shown]
	v_bfe_u32 v19, v18, 16, 1
	v_cndmask_b32_e64 v66, v66, v83, s5
	v_add3_u32 v19, v19, v18, 0x7fff
	v_or_b32_e32 v83, 0x400000, v18
	v_cmp_u_f32_e64 s5, v18, v18
	v_cndmask_b32_e64 v18, v19, v83, s5
	v_mul_f32_e32 v19, v112, v50
	v_bfe_u32 v50, v19, 16, 1
	v_or_b32_e32 v83, 0x400000, v19
	v_cmp_u_f32_e64 s5, v19, v19
	v_add3_u32 v50, v50, v19, 0x7fff
	v_cndmask_b32_e64 v19, v50, v83, s5
	v_bfe_u32 v50, v33, 16, 1
	v_or_b32_e32 v83, 0x400000, v33
	v_cmp_u_f32_e64 s5, v33, v33
	v_add3_u32 v50, v50, v33, 0x7fff
	v_cndmask_b32_e64 v33, v50, v83, s5
	v_bfe_u32 v50, v10, 16, 1
	v_or_b32_e32 v83, 0x400000, v10
	v_cmp_u_f32_e64 s5, v10, v10
	v_add3_u32 v50, v50, v10, 0x7fff
	v_cndmask_b32_e64 v10, v50, v83, s5
	v_bfe_u32 v50, v11, 16, 1
	v_or_b32_e32 v83, 0x400000, v11
	v_cmp_u_f32_e64 s5, v11, v11
	v_add3_u32 v50, v50, v11, 0x7fff
	v_cndmask_b32_e64 v11, v50, v83, s5
	v_bfe_u32 v50, v6, 16, 1
	v_or_b32_e32 v83, 0x400000, v6
	v_cmp_u_f32_e64 s5, v6, v6
	v_add3_u32 v50, v50, v6, 0x7fff
	v_cndmask_b32_e64 v6, v50, v83, s5
	v_bfe_u32 v50, v7, 16, 1
	v_or_b32_e32 v83, 0x400000, v7
	v_cmp_u_f32_e64 s5, v7, v7
	v_add3_u32 v50, v50, v7, 0x7fff
	v_cndmask_b32_e64 v7, v50, v83, s5
	v_mul_f32_e32 v50, v112, v71
	v_bfe_u32 v71, v50, 16, 1
	v_or_b32_e32 v83, 0x400000, v50
	v_cmp_u_f32_e64 s5, v50, v50
	v_add3_u32 v71, v71, v50, 0x7fff
	v_cndmask_b32_e64 v50, v71, v83, s5
	v_bfe_u32 v71, v3, 16, 1
	v_or_b32_e32 v83, 0x400000, v3
	v_cmp_u_f32_e64 s5, v3, v3
	v_add3_u32 v71, v71, v3, 0x7fff
	v_cndmask_b32_e64 v3, v71, v83, s5
	;; [unrolled: 5-line block ×7, first 2 shown]
	v_bfe_u32 v71, v0, 16, 1
	v_or_b32_e32 v83, 0x400000, v0
	v_cmp_u_f32_e64 s5, v0, v0
	v_add3_u32 v71, v71, v0, 0x7fff
	v_mul_f32_e32 v0, v112, v1
	v_cndmask_b32_e64 v71, v71, v83, s5
	v_bfe_u32 v1, v0, 16, 1
	v_or_b32_e32 v83, 0x400000, v0
	v_cmp_u_f32_e64 s5, v0, v0
	v_add3_u32 v1, v1, v0, 0x7fff
	v_mul_f32_e32 v0, v112, v17
	v_cndmask_b32_e64 v83, v1, v83, s5
	v_bfe_u32 v1, v0, 16, 1
	v_or_b32_e32 v17, 0x400000, v0
	v_cmp_u_f32_e64 s5, v0, v0
	v_add3_u32 v1, v1, v0, 0x7fff
	v_cndmask_b32_e64 v0, v1, v17, s5
	v_mul_f32_e32 v1, v112, v49
	v_and_b32_e32 v0, 0xffff0000, v0
	v_bfe_u32 v17, v1, 16, 1
	v_or_b32_e32 v49, 0x400000, v1
	v_cmp_u_f32_e64 s5, v1, v1
	v_add3_u32 v17, v17, v1, 0x7fff
	v_cndmask_b32_e64 v1, v17, v49, s5
	v_mul_f32_e32 v17, v112, v126
	v_bfe_u32 v49, v17, 16, 1
	v_or_b32_e32 v87, 0x400000, v17
	v_cmp_u_f32_e64 s5, v17, v17
	v_add3_u32 v49, v49, v17, 0x7fff
	v_cndmask_b32_e64 v17, v49, v87, s5
	v_mul_f32_e32 v49, v112, v125
	v_and_b32_e32 v17, 0xffff0000, v17
	v_bfe_u32 v87, v49, 16, 1
	v_or_b32_e32 v44, 0x400000, v49
	v_cmp_u_f32_e64 s5, v49, v49
	v_add3_u32 v87, v87, v49, 0x7fff
	v_cndmask_b32_e64 v49, v87, v44, s5
	v_mul_f32_e32 v87, v112, v124
	v_bfe_u32 v44, v87, 16, 1
	v_or_b32_e32 v45, 0x400000, v87
	v_cmp_u_f32_e64 s5, v87, v87
	v_add3_u32 v44, v44, v87, 0x7fff
	v_cndmask_b32_e64 v87, v44, v45, s5
	v_mul_f32_e32 v44, v112, v123
	;; [unrolled: 6-line block ×3, first 2 shown]
	v_bfe_u32 v122, v45, 16, 1
	v_or_b32_e32 v123, 0x400000, v45
	v_cmp_u_f32_e64 s5, v45, v45
	v_add3_u32 v122, v122, v45, 0x7fff
	v_cndmask_b32_e64 v45, v122, v123, s5
	v_bfe_u32 v122, v121, 16, 1
	v_or_b32_e32 v123, 0x400000, v121
	v_cmp_u_f32_e64 s5, v121, v121
	v_add3_u32 v122, v122, v121, 0x7fff
	v_bfe_u32 v121, v8, 16, 1
	v_cndmask_b32_e64 v122, v122, v123, s5
	v_add3_u32 v121, v121, v8, 0x7fff
	v_or_b32_e32 v123, 0x400000, v8
	v_cmp_u_f32_e64 s5, v8, v8
	v_cndmask_b32_e64 v8, v121, v123, s5
	v_mul_f32_e32 v121, v112, v127
	v_and_b32_e32 v8, 0xffff0000, v8
	v_bfe_u32 v123, v121, 16, 1
	v_or_b32_e32 v124, 0x400000, v121
	v_cmp_u_f32_e64 s5, v121, v121
	v_add3_u32 v123, v123, v121, 0x7fff
	v_cndmask_b32_e64 v121, v123, v124, s5
	v_bfe_u32 v123, v110, 16, 1
	v_or_b32_e32 v124, 0x400000, v110
	v_cmp_u_f32_e64 s5, v110, v110
	v_add3_u32 v123, v123, v110, 0x7fff
	v_cndmask_b32_e64 v110, v123, v124, s5
	v_bfe_u32 v123, v109, 16, 1
	v_or_b32_e32 v124, 0x400000, v109
	v_cmp_u_f32_e64 s5, v109, v109
	v_add3_u32 v123, v123, v109, 0x7fff
	v_cndmask_b32_e64 v109, v123, v124, s5
	v_bfe_u32 v123, v108, 16, 1
	v_or_b32_e32 v124, 0x400000, v108
	v_cmp_u_f32_e64 s5, v108, v108
	v_add3_u32 v123, v123, v108, 0x7fff
	v_cndmask_b32_e64 v108, v123, v124, s5
	v_bfe_u32 v123, v107, 16, 1
	v_or_b32_e32 v124, 0x400000, v107
	v_cmp_u_f32_e64 s5, v107, v107
	v_add3_u32 v123, v123, v107, 0x7fff
	v_cndmask_b32_e64 v107, v123, v124, s5
	v_bfe_u32 v123, v106, 16, 1
	v_or_b32_e32 v124, 0x400000, v106
	v_cmp_u_f32_e64 s5, v106, v106
	v_add3_u32 v123, v123, v106, 0x7fff
	v_cndmask_b32_e64 v106, v123, v124, s5
	v_bfe_u32 v123, v105, 16, 1
	v_or_b32_e32 v124, 0x400000, v105
	v_cmp_u_f32_e64 s5, v105, v105
	v_add3_u32 v123, v123, v105, 0x7fff
	v_mul_f32_e32 v105, v112, v120
	v_cndmask_b32_e64 v123, v123, v124, s5
	v_bfe_u32 v120, v105, 16, 1
	v_or_b32_e32 v124, 0x400000, v105
	v_cmp_u_f32_e64 s5, v105, v105
	v_add3_u32 v120, v120, v105, 0x7fff
	v_cndmask_b32_e64 v105, v120, v124, s5
	v_bfe_u32 v120, v111, 16, 1
	v_or_b32_e32 v124, 0x400000, v111
	v_cmp_u_f32_e64 s5, v111, v111
	v_add3_u32 v120, v120, v111, 0x7fff
	v_cndmask_b32_e64 v111, v120, v124, s5
	v_bfe_u32 v120, v94, 16, 1
	v_or_b32_e32 v124, 0x400000, v94
	v_cmp_u_f32_e64 s5, v94, v94
	v_add3_u32 v120, v120, v94, 0x7fff
	v_cndmask_b32_e64 v94, v120, v124, s5
	v_bfe_u32 v120, v93, 16, 1
	v_or_b32_e32 v124, 0x400000, v93
	v_cmp_u_f32_e64 s5, v93, v93
	v_add3_u32 v120, v120, v93, 0x7fff
	v_cndmask_b32_e64 v93, v120, v124, s5
	v_bfe_u32 v120, v92, 16, 1
	v_or_b32_e32 v124, 0x400000, v92
	v_cmp_u_f32_e64 s5, v92, v92
	v_add3_u32 v120, v120, v92, 0x7fff
	v_cndmask_b32_e64 v92, v120, v124, s5
	v_bfe_u32 v120, v91, 16, 1
	v_or_b32_e32 v124, 0x400000, v91
	v_cmp_u_f32_e64 s5, v91, v91
	v_add3_u32 v120, v120, v91, 0x7fff
	v_cndmask_b32_e64 v91, v120, v124, s5
	v_bfe_u32 v120, v90, 16, 1
	v_or_b32_e32 v124, 0x400000, v90
	v_cmp_u_f32_e64 s5, v90, v90
	v_add3_u32 v120, v120, v90, 0x7fff
	v_cndmask_b32_e64 v90, v120, v124, s5
	v_bfe_u32 v120, v89, 16, 1
	v_or_b32_e32 v124, 0x400000, v89
	v_cmp_u_f32_e64 s5, v89, v89
	v_add3_u32 v120, v120, v89, 0x7fff
	v_mul_f32_e32 v89, v112, v104
	v_cndmask_b32_e64 v120, v120, v124, s5
	v_bfe_u32 v104, v89, 16, 1
	v_or_b32_e32 v124, 0x400000, v89
	v_cmp_u_f32_e64 s5, v89, v89
	v_add3_u32 v104, v104, v89, 0x7fff
	v_cndmask_b32_e64 v89, v104, v124, s5
	;; [unrolled: 41-line block ×3, first 2 shown]
	v_bfe_u32 v88, v79, 16, 1
	v_or_b32_e32 v124, 0x400000, v79
	v_cmp_u_f32_e64 s5, v79, v79
	v_add3_u32 v88, v88, v79, 0x7fff
	v_cndmask_b32_e64 v79, v88, v124, s5
	v_bfe_u32 v88, v62, 16, 1
	v_or_b32_e32 v124, 0x400000, v62
	v_cmp_u_f32_e64 s5, v62, v62
	v_add3_u32 v88, v88, v62, 0x7fff
	v_cndmask_b32_e64 v62, v88, v124, s5
	;; [unrolled: 5-line block ×3, first 2 shown]
	v_bfe_u32 v88, v60, 16, 1
	v_or_b32_e32 v124, 0x400000, v60
	v_cmp_u_f32_e64 s5, v60, v60
	v_add3_u32 v88, v88, v60, 0x7fff
	v_bfe_u32 v60, v59, 16, 1
	v_cndmask_b32_e64 v88, v88, v124, s5
	v_add3_u32 v60, v60, v59, 0x7fff
	v_or_b32_e32 v124, 0x400000, v59
	v_cmp_u_f32_e64 s5, v59, v59
	v_bfe_u32 v59, v58, 16, 1
	v_cndmask_b32_e64 v124, v60, v124, s5
	v_add3_u32 v59, v59, v58, 0x7fff
	v_or_b32_e32 v60, 0x400000, v58
	v_cmp_u_f32_e64 s5, v58, v58
	;; [unrolled: 5-line block ×3, first 2 shown]
	v_mul_f32_e32 v57, v112, v72
	v_cndmask_b32_e64 v126, v58, v59, s5
	v_bfe_u32 v58, v57, 16, 1
	v_or_b32_e32 v59, 0x400000, v57
	v_cmp_u_f32_e64 s5, v57, v57
	v_add3_u32 v58, v58, v57, 0x7fff
	v_mul_f32_e32 v57, v112, v63
	v_cndmask_b32_e64 v72, v58, v59, s5
	v_bfe_u32 v58, v57, 16, 1
	v_or_b32_e32 v59, 0x400000, v57
	v_cmp_u_f32_e64 s5, v57, v57
	v_add3_u32 v58, v58, v57, 0x7fff
	v_bfe_u32 v57, v46, 16, 1
	v_cndmask_b32_e64 v63, v58, v59, s5
	v_add3_u32 v57, v57, v46, 0x7fff
	v_or_b32_e32 v58, 0x400000, v46
	v_cmp_u_f32_e64 s5, v46, v46
	s_waitcnt vmcnt(0)
	v_mul_f32_e32 v46, v112, v34
	buffer_load_dword v34, off, s[0:3], s32 offset:224 ; 4-byte Folded Reload
	v_cndmask_b32_e64 v58, v57, v58, s5
	v_bfe_u32 v57, v46, 16, 1
	v_or_b32_e32 v59, 0x400000, v46
	v_cmp_u_f32_e64 s5, v46, v46
	v_add3_u32 v57, v57, v46, 0x7fff
	v_cndmask_b32_e64 v57, v57, v59, s5
	s_waitcnt vmcnt(0)
	v_mul_f32_e32 v46, v112, v34
	buffer_load_dword v34, off, s[0:3], s32 offset:240 ; 4-byte Folded Reload
	v_bfe_u32 v59, v46, 16, 1
	v_or_b32_e32 v60, 0x400000, v46
	v_cmp_u_f32_e64 s5, v46, v46
	v_add3_u32 v59, v59, v46, 0x7fff
	v_mul_f32_e32 v46, v112, v56
	v_cndmask_b32_e64 v59, v59, v60, s5
	v_bfe_u32 v60, v46, 16, 1
	v_or_b32_e32 v127, 0x400000, v46
	v_cmp_u_f32_e64 s5, v46, v46
	v_add3_u32 v60, v60, v46, 0x7fff
	v_mul_f32_e32 v46, v112, v47
	v_cndmask_b32_e64 v60, v60, v127, s5
	;; [unrolled: 6-line block ×3, first 2 shown]
	v_bfe_u32 v47, v46, 16, 1
	v_or_b32_e32 v56, 0x400000, v46
	v_cmp_u_f32_e64 s5, v46, v46
	v_add3_u32 v47, v47, v46, 0x7fff
	v_cndmask_b32_e64 v56, v47, v56, s5
	s_waitcnt vmcnt(0)
	v_mul_f32_e32 v46, v112, v34
	buffer_load_dword v34, off, s[0:3], s32 offset:232 ; 4-byte Folded Reload
	v_bfe_u32 v47, v46, 16, 1
	v_or_b32_e32 v99, 0x400000, v46
	v_cmp_u_f32_e64 s5, v46, v46
	v_add3_u32 v47, v47, v46, 0x7fff
	v_cndmask_b32_e64 v99, v47, v99, s5
	s_waitcnt vmcnt(0)
	v_mul_f32_e32 v46, v112, v34
	v_bfe_u32 v47, v46, 16, 1
	v_or_b32_e32 v101, 0x400000, v46
	v_cmp_u_f32_e64 s5, v46, v46
	v_add3_u32 v47, v47, v46, 0x7fff
	v_mul_f32_e32 v46, v112, v102
	v_cndmask_b32_e64 v101, v47, v101, s5
	v_bfe_u32 v47, v46, 16, 1
	v_or_b32_e32 v102, 0x400000, v46
	v_cmp_u_f32_e64 s5, v46, v46
	v_add3_u32 v47, v47, v46, 0x7fff
	v_mul_f32_e32 v46, v112, v85
	v_cndmask_b32_e64 v102, v47, v102, s5
	;; [unrolled: 6-line block ×4, first 2 shown]
	v_bfe_u32 v47, v46, 16, 1
	v_or_b32_e32 v37, 0x400000, v46
	v_cmp_u_f32_e64 s5, v46, v46
	v_and_b32_e32 v34, 0xffff0000, v34
	v_add3_u32 v47, v47, v46, 0x7fff
	v_mul_f32_e32 v46, v112, v97
	v_cndmask_b32_e64 v37, v47, v37, s5
	v_bfe_u32 v47, v46, 16, 1
	v_or_b32_e32 v97, 0x400000, v46
	v_cmp_u_f32_e64 s5, v46, v46
	v_and_b32_e32 v37, 0xffff0000, v37
	v_add3_u32 v47, v47, v46, 0x7fff
	v_mul_f32_e32 v46, v112, v103
	v_cndmask_b32_e64 v97, v47, v97, s5
	;; [unrolled: 7-line block ×3, first 2 shown]
	v_bfe_u32 v47, v46, 16, 1
	v_or_b32_e32 v100, 0x400000, v46
	v_cmp_u_f32_e64 s5, v46, v46
	v_and_b32_e32 v103, 0xffff0000, v103
	v_add3_u32 v47, v47, v46, 0x7fff
	v_mul_f32_e32 v46, v112, v29
	buffer_load_dword v29, off, s[0:3], s32 offset:236 ; 4-byte Folded Reload
	v_cndmask_b32_e64 v100, v47, v100, s5
	v_bfe_u32 v47, v46, 16, 1
	v_or_b32_e32 v96, 0x400000, v46
	v_cmp_u_f32_e64 s5, v46, v46
	v_add3_u32 v47, v47, v46, 0x7fff
	v_bfe_u32 v46, v40, 16, 1
	v_cndmask_b32_e64 v96, v47, v96, s5
	v_add3_u32 v46, v46, v40, 0x7fff
	v_or_b32_e32 v47, 0x400000, v40
	v_cmp_u_f32_e64 s5, v40, v40
	v_cndmask_b32_e64 v40, v46, v47, s5
	v_bfe_u32 v46, v119, 16, 1
	v_or_b32_e32 v47, 0x400000, v119
	v_cmp_u_f32_e64 s5, v119, v119
	v_add3_u32 v46, v46, v119, 0x7fff
	v_cndmask_b32_e64 v119, v46, v47, s5
	v_bfe_u32 v46, v114, 16, 1
	v_or_b32_e32 v47, 0x400000, v114
	v_cmp_u_f32_e64 s5, v114, v114
	v_add3_u32 v46, v46, v114, 0x7fff
	v_cndmask_b32_e64 v114, v46, v47, s5
	v_bfe_u32 v46, v113, 16, 1
	v_or_b32_e32 v47, 0x400000, v113
	v_cmp_u_f32_e64 s5, v113, v113
	v_add3_u32 v46, v46, v113, 0x7fff
	v_cndmask_b32_e64 v113, v46, v47, s5
	v_bfe_u32 v46, v30, 16, 1
	v_or_b32_e32 v47, 0x400000, v30
	v_cmp_u_f32_e64 s5, v30, v30
	v_add3_u32 v46, v46, v30, 0x7fff
	v_cndmask_b32_e64 v46, v46, v47, s5
	s_waitcnt vmcnt(0)
	v_mul_f32_e32 v29, v112, v29
	v_bfe_u32 v30, v29, 16, 1
	v_or_b32_e32 v47, 0x400000, v29
	v_cmp_u_f32_e64 s5, v29, v29
	v_add3_u32 v30, v30, v29, 0x7fff
	v_mul_f32_e32 v29, v112, v43
	v_cndmask_b32_e64 v47, v30, v47, s5
	v_mul_f32_e32 v30, v112, v42
	v_bfe_u32 v112, v29, 16, 1
	v_or_b32_e32 v42, 0x400000, v29
	v_cmp_u_f32_e64 s5, v29, v29
	v_add3_u32 v112, v112, v29, 0x7fff
	v_cndmask_b32_e64 v29, v112, v42, s5
	v_bfe_u32 v112, v30, 16, 1
	v_or_b32_e32 v42, 0x400000, v30
	v_cmp_u_f32_e64 s5, v30, v30
	v_add3_u32 v112, v112, v30, 0x7fff
	v_cndmask_b32_e64 v30, v112, v42, s5
	buffer_load_dword v42, off, s[0:3], s32 offset:312 ; 4-byte Folded Reload
	v_and_b32_e32 v112, 0xffff0000, v56
	s_waitcnt vmcnt(0)
	v_mul_f32_e32 v112, v42, v112
	buffer_load_dword v42, off, s[0:3], s32 offset:280 ; 4-byte Folded Reload
	s_waitcnt vmcnt(0)
	v_fmac_f32_e32 v112, v42, v103
	buffer_load_dword v42, off, s[0:3], s32 offset:316 ; 4-byte Folded Reload
	v_and_b32_e32 v103, 0xffff0000, v127
	s_waitcnt vmcnt(0)
	v_mul_f32_e32 v42, v42, v103
	buffer_load_dword v103, off, s[0:3], s32 offset:284 ; 4-byte Folded Reload
	s_waitcnt vmcnt(0)
	v_fmac_f32_e32 v42, v103, v97
	;; [unrolled: 7-line block ×4, first 2 shown]
	v_and_b32_e32 v37, 0xffff0000, v85
	buffer_load_dword v85, off, s[0:3], s32 offset:332 ; 4-byte Folded Reload
	v_and_b32_e32 v34, 0xffff0000, v57
	s_waitcnt vmcnt(0)
	v_mul_f32_e32 v57, v85, v34
	s_clause 0x1
	buffer_load_dword v34, off, s[0:3], s32 offset:296
	buffer_load_dword v85, off, s[0:3], s32 offset:336
	s_waitcnt vmcnt(1)
	v_fmac_f32_e32 v57, v34, v37
	v_and_b32_e32 v34, 0xffff0000, v58
	v_and_b32_e32 v37, 0xffff0000, v102
	s_waitcnt vmcnt(0)
	v_mul_f32_e32 v58, v85, v34
	s_clause 0x1
	buffer_load_dword v34, off, s[0:3], s32 offset:300
	buffer_load_dword v85, off, s[0:3], s32 offset:340
	s_waitcnt vmcnt(1)
	v_fmac_f32_e32 v58, v34, v37
	v_and_b32_e32 v34, 0xffff0000, v99
	;; [unrolled: 9-line block ×3, first 2 shown]
	v_and_b32_e32 v37, 0xffff0000, v96
	s_waitcnt vmcnt(0)
	v_mul_f32_e32 v60, v85, v34
	buffer_load_dword v34, off, s[0:3], s32 offset:308 ; 4-byte Folded Reload
	s_waitcnt vmcnt(0)
	v_fmac_f32_e32 v60, v34, v37
	buffer_load_dword v37, off, s[0:3], s32 offset:348 ; 4-byte Folded Reload
	v_and_b32_e32 v34, 0xffff0000, v126
	s_waitcnt vmcnt(0)
	v_fmac_f32_e32 v112, v37, v34
	buffer_load_dword v37, off, s[0:3], s32 offset:352 ; 4-byte Folded Reload
	v_and_b32_e32 v34, 0xffff0000, v125
	;; [unrolled: 4-line block ×37, first 2 shown]
	s_waitcnt vmcnt(0)
	v_fmac_f32_e32 v57, v37, v34
	buffer_load_dword v34, off, s[0:3], s32 offset:516 ; 4-byte Folded Reload
	s_waitcnt vmcnt(0)
	v_fmac_f32_e32 v58, v34, v17
	buffer_load_dword v17, off, s[0:3], s32 offset:520 ; 4-byte Folded Reload
	s_waitcnt vmcnt(0)
	v_fmac_f32_e32 v59, v17, v8
	buffer_load_dword v17, off, s[0:3], s32 offset:524 ; 4-byte Folded Reload
	v_and_b32_e32 v8, 0xffff0000, v121
	s_waitcnt vmcnt(0)
	v_fmac_f32_e32 v60, v17, v8
	buffer_load_dword v17, off, s[0:3], s32 offset:528 ; 4-byte Folded Reload
	v_and_b32_e32 v8, 0xffff0000, v83
	s_waitcnt vmcnt(0)
	v_fmac_f32_e32 v112, v17, v8
	buffer_load_dword v17, off, s[0:3], s32 offset:532 ; 4-byte Folded Reload
	v_and_b32_e32 v8, 0xffff0000, v71
	s_waitcnt vmcnt(0)
	v_fmac_f32_e32 v42, v17, v8
	v_and_b32_e32 v8, 0xffff0000, v12
	buffer_load_dword v12, off, s[0:3], s32 offset:536 ; 4-byte Folded Reload
	s_waitcnt vmcnt(0)
	v_fmac_f32_e32 v43, v12, v8
	buffer_load_dword v12, off, s[0:3], s32 offset:540 ; 4-byte Folded Reload
	v_and_b32_e32 v8, 0xffff0000, v35
	s_waitcnt vmcnt(0)
	v_fmac_f32_e32 v56, v12, v8
	buffer_load_dword v12, off, s[0:3], s32 offset:544 ; 4-byte Folded Reload
	v_and_b32_e32 v8, 0xffff0000, v39
	;; [unrolled: 4-line block ×3, first 2 shown]
	s_waitcnt vmcnt(0)
	v_fmac_f32_e32 v58, v12, v8
	buffer_load_dword v8, off, s[0:3], s32 offset:552 ; 4-byte Folded Reload
	s_waitcnt vmcnt(0)
	v_fmac_f32_e32 v59, v8, v0
	v_and_b32_e32 v0, 0xffff0000, v1
	buffer_load_dword v1, off, s[0:3], s32 offset:556 ; 4-byte Folded Reload
	s_waitcnt vmcnt(0)
	v_fmac_f32_e32 v60, v1, v0
	buffer_load_dword v1, off, s[0:3], s32 offset:560 ; 4-byte Folded Reload
	v_and_b32_e32 v0, 0xffff0000, v50
	s_waitcnt vmcnt(0)
	v_fmac_f32_e32 v112, v1, v0
	buffer_load_dword v1, off, s[0:3], s32 offset:564 ; 4-byte Folded Reload
	v_and_b32_e32 v0, 0xffff0000, v7
	;; [unrolled: 4-line block ×8, first 2 shown]
	buffer_load_dword v2, off, s[0:3], s32 offset:764 ; 4-byte Folded Reload
	s_waitcnt vmcnt(1)
	v_fmac_f32_e32 v60, v1, v0
	buffer_load_dword v1, off, s[0:3], s32 offset:592 ; 4-byte Folded Reload
	v_and_b32_e32 v0, 0xffff0000, v66
	s_waitcnt vmcnt(0)
	v_fmac_f32_e32 v112, v1, v0
	buffer_load_dword v1, off, s[0:3], s32 offset:596 ; 4-byte Folded Reload
	v_and_b32_e32 v0, 0xffff0000, v26
	;; [unrolled: 4-line block ×43, first 2 shown]
	s_waitcnt vmcnt(0)
	v_fmac_f32_e32 v43, v1, v0
	v_and_b32_e32 v1, 0xffff0000, v114
	v_add_f32_e32 v0, v112, v42
	v_fmac_f32_e32 v56, v2, v1
	buffer_load_dword v2, off, s[0:3], s32 offset:768 ; 4-byte Folded Reload
	v_and_b32_e32 v1, 0xffff0000, v119
	v_add_f32_e32 v0, v0, v43
	v_add_f32_e32 v0, v56, v0
	s_waitcnt vmcnt(0)
	v_fmac_f32_e32 v57, v2, v1
	buffer_load_dword v2, off, s[0:3], s32 offset:772 ; 4-byte Folded Reload
	v_and_b32_e32 v1, 0xffff0000, v40
	v_add_f32_e32 v0, v57, v0
	s_waitcnt vmcnt(0)
	v_fmac_f32_e32 v58, v2, v1
	buffer_load_dword v2, off, s[0:3], s32 offset:776 ; 4-byte Folded Reload
	v_and_b32_e32 v1, 0xffff0000, v29
	;; [unrolled: 5-line block ×3, first 2 shown]
	v_add_f32_e32 v0, v59, v0
	s_waitcnt vmcnt(0)
	v_fmac_f32_e32 v60, v2, v1
	s_clause 0x4
	buffer_load_dword v1, off, s[0:3], s32 offset:792
	buffer_load_dword v5, off, s[0:3], s32 offset:256
	;; [unrolled: 1-line block ×5, first 2 shown]
	v_add_f32_e32 v0, v60, v0
	s_load_dword s20, s[8:9], 0x0
	s_waitcnt vmcnt(3)
	v_add_nc_u32_e32 v1, v1, v5
	v_cvt_f32_i32_e32 v1, v1
	s_waitcnt vmcnt(2)
	v_mul_f32_e32 v1, v2, v1
	buffer_load_dword v2, off, s[0:3], s32 offset:276 ; 4-byte Folded Reload
	v_cndmask_b32_e32 v1, 0, v1, vcc_lo
	s_waitcnt vmcnt(0)
	v_fmac_f32_e32 v1, v2, v0
	buffer_load_dword v0, off, s[0:3], s32 offset:396 ; 4-byte Folded Reload
	s_waitcnt vmcnt(0)
	v_add_nc_u32_e32 v0, v0, v5
	v_cmp_lt_i32_e64 s5, v0, v32
	s_waitcnt lgkmcnt(0)
	v_add_nc_u32_e32 v0, s20, v6
	v_cndmask_b32_e64 v2, 0, v1, s5
	ds_write_b32 v0, v2
	v_max_f32_e32 v0, v9, v9
	v_max_f32_e32 v0, v0, v1
	v_cndmask_b32_e64 v9, v9, v0, s5
.LBB351_14:                             ;   in Loop: Header=BB351_15 Depth=1
	s_or_b32 exec_lo, exec_lo, s6
	s_clause 0x1
	buffer_load_dword v1, off, s[0:3], s32 offset:220
	buffer_load_dword v0, off, s[0:3], s32 offset:192
	v_add_co_u32 v15, s5, v15, 16
	v_add_co_ci_u32_e64 v16, null, 0, v16, s5
	v_add_nc_u32_e32 v5, 0x80, v5
	v_add_nc_u32_e32 v6, 0x200, v6
	s_waitcnt vmcnt(1)
	v_add_nc_u32_e32 v1, 4, v1
	s_waitcnt vmcnt(0)
	v_cmp_ge_i32_e64 s5, v1, v0
	s_or_b32 s18, s5, s18
	s_andn2_b32 exec_lo, exec_lo, s18
	s_cbranch_execz .LBB351_975
.LBB351_15:                             ; =>This Inner Loop Header: Depth=1
	s_clause 0x1
	buffer_load_dword v0, off, s[0:3], s32 offset:212
	buffer_load_dword v4, off, s[0:3], s32 offset:196
	buffer_store_dword v1, off, s[0:3], s32 offset:220 ; 4-byte Folded Spill
	s_waitcnt vmcnt(1)
	v_mul_hi_u32 v0, v5, v0
	s_waitcnt vmcnt(0)
	v_mul_lo_u32 v1, v0, v4
	v_add_nc_u32_e32 v2, 1, v0
	v_sub_nc_u32_e32 v1, v5, v1
	v_sub_nc_u32_e32 v3, v1, v4
	v_cmp_ge_u32_e64 s5, v1, v4
	v_cndmask_b32_e64 v1, v1, v3, s5
	v_cndmask_b32_e64 v0, v0, v2, s5
	v_cmp_ge_u32_e64 s5, v1, v4
	buffer_load_dword v1, off, s[0:3], s32 offset:208 ; 4-byte Folded Reload
	v_add_nc_u32_e32 v2, 1, v0
	v_cndmask_b32_e64 v0, v0, v2, s5
	s_waitcnt vmcnt(0)
	v_xor_b32_e32 v0, v0, v1
	v_sub_nc_u32_e32 v0, v0, v1
	s_clause 0x3
	buffer_load_dword v1, off, s[0:3], s32 offset:200
	buffer_load_dword v2, off, s[0:3], s32 offset:204
	;; [unrolled: 1-line block ×4, first 2 shown]
	s_waitcnt vmcnt(3)
	v_add_nc_u32_e32 v1, v0, v1
	s_waitcnt vmcnt(2)
	v_sub_nc_u32_e32 v2, 0, v1
	v_max_i32_e32 v2, v1, v2
	v_ashrrev_i32_e32 v1, 31, v1
	s_waitcnt vmcnt(1)
	v_mul_hi_u32 v3, v2, v3
	s_waitcnt vmcnt(0)
	v_mul_lo_u32 v3, v3, v4
	v_sub_nc_u32_e32 v2, v2, v3
	v_sub_nc_u32_e32 v3, v2, v4
	v_cmp_ge_u32_e64 s5, v2, v4
	v_cndmask_b32_e64 v2, v2, v3, s5
	v_sub_nc_u32_e32 v3, v2, v4
	v_cmp_ge_u32_e64 s5, v2, v4
	v_cndmask_b32_e64 v2, v2, v3, s5
	v_xor_b32_e32 v2, v2, v1
	v_sub_nc_u32_e32 v1, v2, v1
	v_cmp_ne_u32_e64 s5, 0, v1
	buffer_load_dword v1, off, s[0:3], s32 offset:216 ; 4-byte Folded Reload
	s_waitcnt vmcnt(0)
	v_cmp_le_i32_e64 s6, v0, v1
	s_and_b32 s5, s5, s6
	s_and_saveexec_b32 s6, s5
	s_xor_b32 s5, exec_lo, s6
	s_cbranch_execz .LBB351_17
; %bb.16:                               ;   in Loop: Header=BB351_15 Depth=1
	s_waitcnt lgkmcnt(0)
	v_add_nc_u32_e32 v0, s19, v6
	v_mov_b32_e32 v1, 0xff7fffff
	ds_write_b32 v0, v1
.LBB351_17:                             ;   in Loop: Header=BB351_15 Depth=1
	s_andn2_saveexec_b32 s6, s5
	s_cbranch_execz .LBB351_14
; %bb.18:                               ;   in Loop: Header=BB351_15 Depth=1
	buffer_store_dword v6, off, s[0:3], s32 offset:260 ; 4-byte Folded Spill
	buffer_store_dword v5, off, s[0:3], s32 offset:256 ; 4-byte Folded Spill
	;; [unrolled: 1-line block ×3, first 2 shown]
	flat_load_dword v0, v[15:16]
	s_clause 0x2
	buffer_load_dword v1, off, s[0:3], s32 offset:328
	buffer_load_dword v2, off, s[0:3], s32 offset:784
	;; [unrolled: 1-line block ×3, first 2 shown]
	v_mov_b32_e32 v97, 0
	v_mov_b32_e32 v103, 0
	s_waitcnt vmcnt(0) lgkmcnt(0)
	v_mad_i64_i32 v[24:25], null, v0, v1, v[2:3]
	flat_load_dwordx2 v[27:28], v[24:25]
	s_clause 0x1
	buffer_load_dword v0, off, s[0:3], s32 offset:268
	buffer_load_dword v1, off, s[0:3], s32 offset:272
	s_waitcnt vmcnt(2) lgkmcnt(0)
	v_cmp_ne_u16_sdwa s5, v27, v14 src0_sel:BYTE_0 src1_sel:DWORD
	s_waitcnt vmcnt(0)
	flat_load_dword v112, v[0:1]
	s_mov_b32 s20, exec_lo
	v_mov_b32_e32 v5, 0xff
	s_and_b32 s5, s20, s5
	s_mov_b32 exec_lo, s5
	s_cbranch_execz .LBB351_26
; %bb.19:                               ;   in Loop: Header=BB351_15 Depth=1
	v_cmp_ne_u16_sdwa s5, v27, v98 src0_sel:BYTE_0 src1_sel:DWORD
	v_bfrev_b32_e32 v103, 1
	s_and_saveexec_b32 s21, s5
	s_cbranch_execz .LBB351_25
; %bb.20:                               ;   in Loop: Header=BB351_15 Depth=1
	v_and_b32_e32 v1, 0x7f, v27
	v_mov_b32_e32 v103, 0x7f800001
	s_mov_b32 s22, exec_lo
	v_cmpx_ne_u32_e32 0x7f, v1
	s_cbranch_execz .LBB351_24
; %bb.21:                               ;   in Loop: Header=BB351_15 Depth=1
	v_mov_b32_e32 v30, v28
	v_lshrrev_b32_e32 v0, 3, v1
	v_mov_b32_e32 v29, v27
	s_mov_b32 s23, exec_lo
	v_cmpx_gt_u32_e32 8, v1
; %bb.22:                               ;   in Loop: Header=BB351_15 Depth=1
	v_and_b32_e32 v0, 7, v27
	v_ffbh_u32_e32 v0, v0
	v_min_u32_e32 v0, 32, v0
	v_subrev_nc_u32_e32 v1, 28, v0
	v_sub_nc_u32_e32 v0, 29, v0
	v_lshlrev_b64 v[29:30], v1, v[27:28]
; %bb.23:                               ;   in Loop: Header=BB351_15 Depth=1
	s_or_b32 exec_lo, exec_lo, s23
	v_lshlrev_b32_e32 v1, 20, v29
	v_lshlrev_b32_e32 v2, 24, v27
	v_lshl_add_u32 v0, v0, 23, 0x3c000000
	v_and_b32_e32 v1, 0x700000, v1
	v_and_b32_e32 v2, 0x80000000, v2
	v_or3_b32 v103, v1, v2, v0
.LBB351_24:                             ;   in Loop: Header=BB351_15 Depth=1
	s_or_b32 exec_lo, exec_lo, s22
.LBB351_25:                             ;   in Loop: Header=BB351_15 Depth=1
	s_or_b32 exec_lo, exec_lo, s21
.LBB351_26:                             ;   in Loop: Header=BB351_15 Depth=1
	s_or_b32 exec_lo, exec_lo, s20
	v_cmp_ne_u16_sdwa s5, v27, v14 src0_sel:BYTE_1 src1_sel:DWORD
	s_and_saveexec_b32 s20, s5
	s_cbranch_execz .LBB351_34
; %bb.27:                               ;   in Loop: Header=BB351_15 Depth=1
	v_cmp_ne_u16_sdwa s5, v27, v98 src0_sel:BYTE_1 src1_sel:DWORD
	v_bfrev_b32_e32 v97, 1
	s_and_saveexec_b32 s21, s5
	s_cbranch_execz .LBB351_33
; %bb.28:                               ;   in Loop: Header=BB351_15 Depth=1
	v_mov_b32_e32 v0, 0xffff
	v_mov_b32_e32 v97, 0x7f800001
	s_mov_b32 s22, exec_lo
	v_and_b32_sdwa v0, v0, v27 dst_sel:DWORD dst_unused:UNUSED_PAD src0_sel:DWORD src1_sel:BYTE_1
	v_and_b32_e32 v1, 0x7f, v0
	v_cmpx_ne_u32_e32 0x7f, v1
	s_cbranch_execz .LBB351_32
; %bb.29:                               ;   in Loop: Header=BB351_15 Depth=1
	v_and_b32_e32 v13, 7, v0
	v_mov_b32_e32 v30, v14
	v_lshrrev_b32_e32 v0, 3, v1
	s_mov_b32 s23, exec_lo
	v_mov_b32_e32 v29, v13
	v_cmpx_gt_u32_e32 8, v1
; %bb.30:                               ;   in Loop: Header=BB351_15 Depth=1
	v_ffbh_u32_e32 v0, v13
	v_min_u32_e32 v0, 32, v0
	v_subrev_nc_u32_e32 v1, 28, v0
	v_sub_nc_u32_e32 v0, 29, v0
	v_lshlrev_b64 v[1:2], v1, v[13:14]
	v_and_b32_e32 v29, 7, v1
; %bb.31:                               ;   in Loop: Header=BB351_15 Depth=1
	s_or_b32 exec_lo, exec_lo, s23
	v_lshlrev_b32_e32 v1, 16, v27
	v_lshlrev_b32_e32 v2, 20, v29
	v_lshl_add_u32 v0, v0, 23, 0x3c000000
	v_and_b32_e32 v1, 0x80000000, v1
	v_or3_b32 v97, v2, v1, v0
.LBB351_32:                             ;   in Loop: Header=BB351_15 Depth=1
	s_or_b32 exec_lo, exec_lo, s22
.LBB351_33:                             ;   in Loop: Header=BB351_15 Depth=1
	s_or_b32 exec_lo, exec_lo, s21
.LBB351_34:                             ;   in Loop: Header=BB351_15 Depth=1
	s_or_b32 exec_lo, exec_lo, s20
	v_and_b32_sdwa v0, v27, v5 dst_sel:DWORD dst_unused:UNUSED_PAD src0_sel:WORD_1 src1_sel:DWORD
	v_mov_b32_e32 v100, 0
	v_mov_b32_e32 v37, 0
	s_mov_b32 s20, exec_lo
	v_cmpx_ne_u16_e32 0, v0
	s_cbranch_execz .LBB351_42
; %bb.35:                               ;   in Loop: Header=BB351_15 Depth=1
	v_bfrev_b32_e32 v37, 1
	s_mov_b32 s21, exec_lo
	v_cmpx_ne_u16_e32 0x80, v0
	s_cbranch_execz .LBB351_41
; %bb.36:                               ;   in Loop: Header=BB351_15 Depth=1
	v_bfe_u32 v1, v27, 16, 7
	v_mov_b32_e32 v37, 0x7f800001
	s_mov_b32 s22, exec_lo
	v_cmpx_ne_u32_e32 0x7f, v1
	s_cbranch_execz .LBB351_40
; %bb.37:                               ;   in Loop: Header=BB351_15 Depth=1
	v_mov_b32_e32 v0, 7
	s_mov_b32 s23, exec_lo
	v_and_b32_sdwa v13, v27, v0 dst_sel:DWORD dst_unused:UNUSED_PAD src0_sel:WORD_1 src1_sel:DWORD
	v_mov_b32_e32 v30, v14
	v_lshrrev_b32_e32 v0, 3, v1
	v_mov_b32_e32 v29, v13
	v_cmpx_gt_u32_e32 8, v1
; %bb.38:                               ;   in Loop: Header=BB351_15 Depth=1
	v_ffbh_u32_e32 v0, v13
	v_min_u32_e32 v0, 32, v0
	v_subrev_nc_u32_e32 v1, 28, v0
	v_sub_nc_u32_e32 v0, 29, v0
	v_lshlrev_b64 v[1:2], v1, v[13:14]
	v_and_b32_e32 v29, 7, v1
; %bb.39:                               ;   in Loop: Header=BB351_15 Depth=1
	s_or_b32 exec_lo, exec_lo, s23
	v_mov_b32_e32 v1, 24
	v_lshlrev_b32_e32 v2, 20, v29
	v_lshl_add_u32 v0, v0, 23, 0x3c000000
	v_lshlrev_b32_sdwa v1, v1, v27 dst_sel:DWORD dst_unused:UNUSED_PAD src0_sel:DWORD src1_sel:WORD_1
	v_and_b32_e32 v1, 0x80000000, v1
	v_or3_b32 v37, v2, v1, v0
.LBB351_40:                             ;   in Loop: Header=BB351_15 Depth=1
	s_or_b32 exec_lo, exec_lo, s22
.LBB351_41:                             ;   in Loop: Header=BB351_15 Depth=1
	s_or_b32 exec_lo, exec_lo, s21
.LBB351_42:                             ;   in Loop: Header=BB351_15 Depth=1
	s_or_b32 exec_lo, exec_lo, s20
	s_mov_b32 s20, exec_lo
	v_cmpx_lt_u32_e32 0xffffff, v27
	s_cbranch_execz .LBB351_50
; %bb.43:                               ;   in Loop: Header=BB351_15 Depth=1
	v_cmp_ne_u32_sdwa s5, v27, v98 src0_sel:BYTE_3 src1_sel:DWORD
	v_bfrev_b32_e32 v100, 1
	s_and_saveexec_b32 s21, s5
	s_cbranch_execz .LBB351_49
; %bb.44:                               ;   in Loop: Header=BB351_15 Depth=1
	v_bfe_u32 v1, v27, 24, 7
	v_mov_b32_e32 v100, 0x7f800001
	s_mov_b32 s22, exec_lo
	v_cmpx_ne_u32_e32 0x7f, v1
	s_cbranch_execz .LBB351_48
; %bb.45:                               ;   in Loop: Header=BB351_15 Depth=1
	v_mov_b32_e32 v0, 7
	s_mov_b32 s23, exec_lo
	v_and_b32_sdwa v13, v27, v0 dst_sel:DWORD dst_unused:UNUSED_PAD src0_sel:BYTE_3 src1_sel:DWORD
	v_mov_b32_e32 v30, v14
	v_lshrrev_b32_e32 v0, 3, v1
	v_mov_b32_e32 v29, v13
	v_cmpx_gt_u32_e32 8, v1
; %bb.46:                               ;   in Loop: Header=BB351_15 Depth=1
	v_ffbh_u32_e32 v0, v13
	v_min_u32_e32 v0, 32, v0
	v_subrev_nc_u32_e32 v1, 28, v0
	v_sub_nc_u32_e32 v0, 29, v0
	v_lshlrev_b64 v[1:2], v1, v[13:14]
	v_and_b32_e32 v29, 7, v1
; %bb.47:                               ;   in Loop: Header=BB351_15 Depth=1
	s_or_b32 exec_lo, exec_lo, s23
	v_mov_b32_e32 v1, 24
	v_lshlrev_b32_e32 v2, 20, v29
	v_lshl_add_u32 v0, v0, 23, 0x3c000000
	v_lshlrev_b32_sdwa v1, v1, v27 dst_sel:DWORD dst_unused:UNUSED_PAD src0_sel:DWORD src1_sel:BYTE_3
	v_and_b32_e32 v1, 0x80000000, v1
	v_or3_b32 v100, v2, v1, v0
.LBB351_48:                             ;   in Loop: Header=BB351_15 Depth=1
	s_or_b32 exec_lo, exec_lo, s22
.LBB351_49:                             ;   in Loop: Header=BB351_15 Depth=1
	s_or_b32 exec_lo, exec_lo, s21
.LBB351_50:                             ;   in Loop: Header=BB351_15 Depth=1
	s_or_b32 exec_lo, exec_lo, s20
	v_mov_b32_e32 v13, v28
	v_cmp_ne_u16_sdwa s5, v28, v14 src0_sel:BYTE_0 src1_sel:DWORD
	v_mov_b32_e32 v102, 0
	v_mov_b32_e32 v85, 0
	s_and_saveexec_b32 s20, s5
	s_cbranch_execz .LBB351_58
; %bb.51:                               ;   in Loop: Header=BB351_15 Depth=1
	v_cmp_ne_u16_sdwa s5, v28, v98 src0_sel:BYTE_0 src1_sel:DWORD
	v_bfrev_b32_e32 v85, 1
	s_and_saveexec_b32 s21, s5
	s_cbranch_execz .LBB351_57
; %bb.52:                               ;   in Loop: Header=BB351_15 Depth=1
	v_and_b32_e32 v1, 0x7f, v28
	v_mov_b32_e32 v85, 0x7f800001
	s_mov_b32 s22, exec_lo
	v_cmpx_ne_u32_e32 0x7f, v1
	s_cbranch_execz .LBB351_56
; %bb.53:                               ;   in Loop: Header=BB351_15 Depth=1
	v_mov_b32_e32 v30, v14
	v_lshrrev_b32_e32 v0, 3, v1
	v_mov_b32_e32 v29, v13
	s_mov_b32 s23, exec_lo
	v_cmpx_gt_u32_e32 8, v1
; %bb.54:                               ;   in Loop: Header=BB351_15 Depth=1
	v_and_b32_e32 v0, 7, v28
	v_ffbh_u32_e32 v0, v0
	v_min_u32_e32 v0, 32, v0
	v_subrev_nc_u32_e32 v1, 28, v0
	v_sub_nc_u32_e32 v0, 29, v0
	v_lshlrev_b64 v[29:30], v1, v[13:14]
; %bb.55:                               ;   in Loop: Header=BB351_15 Depth=1
	s_or_b32 exec_lo, exec_lo, s23
	v_lshlrev_b32_e32 v1, 20, v29
	v_lshlrev_b32_e32 v2, 24, v13
	v_lshl_add_u32 v0, v0, 23, 0x3c000000
	v_and_b32_e32 v1, 0x700000, v1
	v_and_b32_e32 v2, 0x80000000, v2
	v_or3_b32 v85, v1, v2, v0
.LBB351_56:                             ;   in Loop: Header=BB351_15 Depth=1
	s_or_b32 exec_lo, exec_lo, s22
.LBB351_57:                             ;   in Loop: Header=BB351_15 Depth=1
	s_or_b32 exec_lo, exec_lo, s21
.LBB351_58:                             ;   in Loop: Header=BB351_15 Depth=1
	s_or_b32 exec_lo, exec_lo, s20
	v_cmp_ne_u16_sdwa s5, v13, v14 src0_sel:BYTE_1 src1_sel:DWORD
	s_and_saveexec_b32 s20, s5
	s_cbranch_execz .LBB351_66
; %bb.59:                               ;   in Loop: Header=BB351_15 Depth=1
	v_cmp_ne_u16_sdwa s5, v13, v98 src0_sel:BYTE_1 src1_sel:DWORD
	v_bfrev_b32_e32 v102, 1
	s_and_saveexec_b32 s21, s5
	s_cbranch_execz .LBB351_65
; %bb.60:                               ;   in Loop: Header=BB351_15 Depth=1
	v_mov_b32_e32 v0, 0xffff
	v_mov_b32_e32 v102, 0x7f800001
	s_mov_b32 s22, exec_lo
	v_and_b32_sdwa v0, v0, v13 dst_sel:DWORD dst_unused:UNUSED_PAD src0_sel:DWORD src1_sel:BYTE_1
	v_and_b32_e32 v1, 0x7f, v0
	v_cmpx_ne_u32_e32 0x7f, v1
	s_cbranch_execz .LBB351_64
; %bb.61:                               ;   in Loop: Header=BB351_15 Depth=1
	v_and_b32_e32 v29, 7, v0
	v_mov_b32_e32 v30, v14
	v_lshrrev_b32_e32 v0, 3, v1
	s_mov_b32 s23, exec_lo
	v_cmpx_gt_u32_e32 8, v1
; %bb.62:                               ;   in Loop: Header=BB351_15 Depth=1
	v_ffbh_u32_e32 v0, v29
	v_min_u32_e32 v0, 32, v0
	v_subrev_nc_u32_e32 v1, 28, v0
	v_sub_nc_u32_e32 v0, 29, v0
	v_lshlrev_b64 v[1:2], v1, v[29:30]
	v_and_b32_e32 v29, 7, v1
; %bb.63:                               ;   in Loop: Header=BB351_15 Depth=1
	s_or_b32 exec_lo, exec_lo, s23
	v_lshlrev_b32_e32 v1, 16, v13
	v_lshlrev_b32_e32 v2, 20, v29
	v_lshl_add_u32 v0, v0, 23, 0x3c000000
	v_and_b32_e32 v1, 0x80000000, v1
	v_or3_b32 v102, v2, v1, v0
.LBB351_64:                             ;   in Loop: Header=BB351_15 Depth=1
	s_or_b32 exec_lo, exec_lo, s22
.LBB351_65:                             ;   in Loop: Header=BB351_15 Depth=1
	s_or_b32 exec_lo, exec_lo, s21
.LBB351_66:                             ;   in Loop: Header=BB351_15 Depth=1
	s_or_b32 exec_lo, exec_lo, s20
	v_and_b32_sdwa v0, v28, v5 dst_sel:DWORD dst_unused:UNUSED_PAD src0_sel:WORD_1 src1_sel:DWORD
	v_mov_b32_e32 v99, 0
	v_mov_b32_e32 v96, 0
	s_mov_b32 s20, exec_lo
	v_cmpx_ne_u16_e32 0, v0
	s_cbranch_execz .LBB351_74
; %bb.67:                               ;   in Loop: Header=BB351_15 Depth=1
	v_bfrev_b32_e32 v96, 1
	s_mov_b32 s21, exec_lo
	v_cmpx_ne_u16_e32 0x80, v0
	s_cbranch_execz .LBB351_73
; %bb.68:                               ;   in Loop: Header=BB351_15 Depth=1
	v_bfe_u32 v1, v28, 16, 7
	v_mov_b32_e32 v96, 0x7f800001
	s_mov_b32 s22, exec_lo
	v_cmpx_ne_u32_e32 0x7f, v1
	s_cbranch_execz .LBB351_72
; %bb.69:                               ;   in Loop: Header=BB351_15 Depth=1
	v_mov_b32_e32 v0, 7
	s_mov_b32 s23, exec_lo
	v_and_b32_sdwa v13, v28, v0 dst_sel:DWORD dst_unused:UNUSED_PAD src0_sel:WORD_1 src1_sel:DWORD
	v_mov_b32_e32 v30, v14
	v_lshrrev_b32_e32 v0, 3, v1
	v_mov_b32_e32 v29, v13
	v_cmpx_gt_u32_e32 8, v1
; %bb.70:                               ;   in Loop: Header=BB351_15 Depth=1
	v_ffbh_u32_e32 v0, v13
	v_min_u32_e32 v0, 32, v0
	v_subrev_nc_u32_e32 v1, 28, v0
	v_sub_nc_u32_e32 v0, 29, v0
	v_lshlrev_b64 v[1:2], v1, v[13:14]
	v_and_b32_e32 v29, 7, v1
; %bb.71:                               ;   in Loop: Header=BB351_15 Depth=1
	s_or_b32 exec_lo, exec_lo, s23
	v_mov_b32_e32 v1, 24
	v_lshlrev_b32_e32 v2, 20, v29
	v_lshl_add_u32 v0, v0, 23, 0x3c000000
	v_lshlrev_b32_sdwa v1, v1, v28 dst_sel:DWORD dst_unused:UNUSED_PAD src0_sel:DWORD src1_sel:WORD_1
	v_and_b32_e32 v1, 0x80000000, v1
	v_or3_b32 v96, v2, v1, v0
.LBB351_72:                             ;   in Loop: Header=BB351_15 Depth=1
	s_or_b32 exec_lo, exec_lo, s22
.LBB351_73:                             ;   in Loop: Header=BB351_15 Depth=1
	s_or_b32 exec_lo, exec_lo, s21
.LBB351_74:                             ;   in Loop: Header=BB351_15 Depth=1
	s_or_b32 exec_lo, exec_lo, s20
	s_mov_b32 s20, exec_lo
	v_cmpx_lt_u64_e64 s[12:13], v[27:28]
	s_cbranch_execz .LBB351_82
; %bb.75:                               ;   in Loop: Header=BB351_15 Depth=1
	v_cmp_ne_u32_sdwa s5, v28, v98 src0_sel:BYTE_3 src1_sel:DWORD
	v_bfrev_b32_e32 v99, 1
	s_and_saveexec_b32 s21, s5
	s_cbranch_execz .LBB351_81
; %bb.76:                               ;   in Loop: Header=BB351_15 Depth=1
	v_bfe_u32 v1, v28, 24, 7
	v_mov_b32_e32 v99, 0x7f800001
	s_mov_b32 s22, exec_lo
	v_cmpx_ne_u32_e32 0x7f, v1
	s_cbranch_execz .LBB351_80
; %bb.77:                               ;   in Loop: Header=BB351_15 Depth=1
	v_mov_b32_e32 v0, 7
	s_mov_b32 s23, exec_lo
	v_and_b32_sdwa v13, v28, v0 dst_sel:DWORD dst_unused:UNUSED_PAD src0_sel:BYTE_3 src1_sel:DWORD
	v_mov_b32_e32 v30, v14
	v_lshrrev_b32_e32 v0, 3, v1
	v_mov_b32_e32 v29, v13
	v_cmpx_gt_u32_e32 8, v1
; %bb.78:                               ;   in Loop: Header=BB351_15 Depth=1
	v_ffbh_u32_e32 v0, v13
	v_min_u32_e32 v0, 32, v0
	v_subrev_nc_u32_e32 v1, 28, v0
	v_sub_nc_u32_e32 v0, 29, v0
	v_lshlrev_b64 v[1:2], v1, v[13:14]
	v_and_b32_e32 v29, 7, v1
; %bb.79:                               ;   in Loop: Header=BB351_15 Depth=1
	s_or_b32 exec_lo, exec_lo, s23
	v_mov_b32_e32 v1, 24
	v_lshlrev_b32_e32 v2, 20, v29
	v_lshl_add_u32 v0, v0, 23, 0x3c000000
	v_lshlrev_b32_sdwa v1, v1, v28 dst_sel:DWORD dst_unused:UNUSED_PAD src0_sel:DWORD src1_sel:BYTE_3
	v_and_b32_e32 v1, 0x80000000, v1
	v_or3_b32 v99, v2, v1, v0
.LBB351_80:                             ;   in Loop: Header=BB351_15 Depth=1
	s_or_b32 exec_lo, exec_lo, s22
.LBB351_81:                             ;   in Loop: Header=BB351_15 Depth=1
	s_or_b32 exec_lo, exec_lo, s21
.LBB351_82:                             ;   in Loop: Header=BB351_15 Depth=1
	s_or_b32 exec_lo, exec_lo, s20
	flat_load_dwordx2 v[27:28], v[24:25] offset:8
	v_mov_b32_e32 v47, 0
	v_mov_b32_e32 v101, 0
	s_waitcnt vmcnt(0) lgkmcnt(0)
	v_cmp_ne_u16_sdwa s5, v27, v14 src0_sel:BYTE_0 src1_sel:DWORD
	s_and_saveexec_b32 s20, s5
	s_cbranch_execz .LBB351_90
; %bb.83:                               ;   in Loop: Header=BB351_15 Depth=1
	v_cmp_ne_u16_sdwa s5, v27, v98 src0_sel:BYTE_0 src1_sel:DWORD
	v_bfrev_b32_e32 v101, 1
	s_and_saveexec_b32 s21, s5
	s_cbranch_execz .LBB351_89
; %bb.84:                               ;   in Loop: Header=BB351_15 Depth=1
	v_and_b32_e32 v1, 0x7f, v27
	v_mov_b32_e32 v101, 0x7f800001
	s_mov_b32 s22, exec_lo
	v_cmpx_ne_u32_e32 0x7f, v1
	s_cbranch_execz .LBB351_88
; %bb.85:                               ;   in Loop: Header=BB351_15 Depth=1
	v_mov_b32_e32 v30, v28
	v_lshrrev_b32_e32 v0, 3, v1
	v_mov_b32_e32 v29, v27
	s_mov_b32 s23, exec_lo
	v_cmpx_gt_u32_e32 8, v1
; %bb.86:                               ;   in Loop: Header=BB351_15 Depth=1
	v_and_b32_e32 v0, 7, v27
	v_ffbh_u32_e32 v0, v0
	v_min_u32_e32 v0, 32, v0
	v_subrev_nc_u32_e32 v1, 28, v0
	v_sub_nc_u32_e32 v0, 29, v0
	v_lshlrev_b64 v[29:30], v1, v[27:28]
; %bb.87:                               ;   in Loop: Header=BB351_15 Depth=1
	s_or_b32 exec_lo, exec_lo, s23
	v_lshlrev_b32_e32 v1, 20, v29
	v_lshlrev_b32_e32 v2, 24, v27
	v_lshl_add_u32 v0, v0, 23, 0x3c000000
	v_and_b32_e32 v1, 0x700000, v1
	v_and_b32_e32 v2, 0x80000000, v2
	v_or3_b32 v101, v1, v2, v0
.LBB351_88:                             ;   in Loop: Header=BB351_15 Depth=1
	s_or_b32 exec_lo, exec_lo, s22
.LBB351_89:                             ;   in Loop: Header=BB351_15 Depth=1
	s_or_b32 exec_lo, exec_lo, s21
.LBB351_90:                             ;   in Loop: Header=BB351_15 Depth=1
	s_or_b32 exec_lo, exec_lo, s20
	v_cmp_ne_u16_sdwa s5, v27, v14 src0_sel:BYTE_1 src1_sel:DWORD
	s_and_saveexec_b32 s20, s5
	s_cbranch_execz .LBB351_98
; %bb.91:                               ;   in Loop: Header=BB351_15 Depth=1
	v_cmp_ne_u16_sdwa s5, v27, v98 src0_sel:BYTE_1 src1_sel:DWORD
	v_bfrev_b32_e32 v47, 1
	s_and_saveexec_b32 s21, s5
	s_cbranch_execz .LBB351_97
; %bb.92:                               ;   in Loop: Header=BB351_15 Depth=1
	v_mov_b32_e32 v0, 0xffff
	v_mov_b32_e32 v47, 0x7f800001
	s_mov_b32 s22, exec_lo
	v_and_b32_sdwa v0, v0, v27 dst_sel:DWORD dst_unused:UNUSED_PAD src0_sel:DWORD src1_sel:BYTE_1
	v_and_b32_e32 v1, 0x7f, v0
	v_cmpx_ne_u32_e32 0x7f, v1
	s_cbranch_execz .LBB351_96
; %bb.93:                               ;   in Loop: Header=BB351_15 Depth=1
	v_and_b32_e32 v13, 7, v0
	v_mov_b32_e32 v30, v14
	v_lshrrev_b32_e32 v0, 3, v1
	s_mov_b32 s23, exec_lo
	v_mov_b32_e32 v29, v13
	v_cmpx_gt_u32_e32 8, v1
; %bb.94:                               ;   in Loop: Header=BB351_15 Depth=1
	v_ffbh_u32_e32 v0, v13
	v_min_u32_e32 v0, 32, v0
	v_subrev_nc_u32_e32 v1, 28, v0
	v_sub_nc_u32_e32 v0, 29, v0
	v_lshlrev_b64 v[1:2], v1, v[13:14]
	v_and_b32_e32 v29, 7, v1
; %bb.95:                               ;   in Loop: Header=BB351_15 Depth=1
	s_or_b32 exec_lo, exec_lo, s23
	v_lshlrev_b32_e32 v1, 16, v27
	v_lshlrev_b32_e32 v2, 20, v29
	v_lshl_add_u32 v0, v0, 23, 0x3c000000
	v_and_b32_e32 v1, 0x80000000, v1
	v_or3_b32 v47, v2, v1, v0
.LBB351_96:                             ;   in Loop: Header=BB351_15 Depth=1
	s_or_b32 exec_lo, exec_lo, s22
.LBB351_97:                             ;   in Loop: Header=BB351_15 Depth=1
	s_or_b32 exec_lo, exec_lo, s21
.LBB351_98:                             ;   in Loop: Header=BB351_15 Depth=1
	s_or_b32 exec_lo, exec_lo, s20
	v_and_b32_sdwa v0, v27, v5 dst_sel:DWORD dst_unused:UNUSED_PAD src0_sel:WORD_1 src1_sel:DWORD
	v_mov_b32_e32 v1, 0
	v_mov_b32_e32 v56, 0
	s_mov_b32 s20, exec_lo
	buffer_store_dword v1, off, s[0:3], s32 offset:224 ; 4-byte Folded Spill
	v_cmpx_ne_u16_e32 0, v0
	s_cbranch_execz .LBB351_106
; %bb.99:                               ;   in Loop: Header=BB351_15 Depth=1
	v_bfrev_b32_e32 v56, 1
	s_mov_b32 s21, exec_lo
	v_cmpx_ne_u16_e32 0x80, v0
	s_cbranch_execz .LBB351_105
; %bb.100:                              ;   in Loop: Header=BB351_15 Depth=1
	v_bfe_u32 v1, v27, 16, 7
	v_mov_b32_e32 v56, 0x7f800001
	s_mov_b32 s22, exec_lo
	v_cmpx_ne_u32_e32 0x7f, v1
	s_cbranch_execz .LBB351_104
; %bb.101:                              ;   in Loop: Header=BB351_15 Depth=1
	v_mov_b32_e32 v0, 7
	s_mov_b32 s23, exec_lo
	v_and_b32_sdwa v13, v27, v0 dst_sel:DWORD dst_unused:UNUSED_PAD src0_sel:WORD_1 src1_sel:DWORD
	v_mov_b32_e32 v30, v14
	v_lshrrev_b32_e32 v0, 3, v1
	v_mov_b32_e32 v29, v13
	v_cmpx_gt_u32_e32 8, v1
; %bb.102:                              ;   in Loop: Header=BB351_15 Depth=1
	v_ffbh_u32_e32 v0, v13
	v_min_u32_e32 v0, 32, v0
	v_subrev_nc_u32_e32 v1, 28, v0
	v_sub_nc_u32_e32 v0, 29, v0
	v_lshlrev_b64 v[1:2], v1, v[13:14]
	v_and_b32_e32 v29, 7, v1
; %bb.103:                              ;   in Loop: Header=BB351_15 Depth=1
	s_or_b32 exec_lo, exec_lo, s23
	v_mov_b32_e32 v1, 24
	v_lshlrev_b32_e32 v2, 20, v29
	v_lshl_add_u32 v0, v0, 23, 0x3c000000
	v_lshlrev_b32_sdwa v1, v1, v27 dst_sel:DWORD dst_unused:UNUSED_PAD src0_sel:DWORD src1_sel:WORD_1
	v_and_b32_e32 v1, 0x80000000, v1
	v_or3_b32 v56, v2, v1, v0
.LBB351_104:                            ;   in Loop: Header=BB351_15 Depth=1
	s_or_b32 exec_lo, exec_lo, s22
.LBB351_105:                            ;   in Loop: Header=BB351_15 Depth=1
	s_or_b32 exec_lo, exec_lo, s21
.LBB351_106:                            ;   in Loop: Header=BB351_15 Depth=1
	s_or_b32 exec_lo, exec_lo, s20
	s_mov_b32 s20, exec_lo
	v_cmpx_lt_u32_e32 0xffffff, v27
	s_cbranch_execz .LBB351_114
; %bb.107:                              ;   in Loop: Header=BB351_15 Depth=1
	v_cmp_ne_u32_sdwa s5, v27, v98 src0_sel:BYTE_3 src1_sel:DWORD
	v_bfrev_b32_e32 v0, 1
	buffer_store_dword v0, off, s[0:3], s32 offset:224 ; 4-byte Folded Spill
	s_and_saveexec_b32 s21, s5
	s_cbranch_execz .LBB351_113
; %bb.108:                              ;   in Loop: Header=BB351_15 Depth=1
	v_bfe_u32 v1, v27, 24, 7
	v_mov_b32_e32 v0, 0x7f800001
	s_mov_b32 s22, exec_lo
	buffer_store_dword v0, off, s[0:3], s32 offset:224 ; 4-byte Folded Spill
	v_cmpx_ne_u32_e32 0x7f, v1
	s_cbranch_execz .LBB351_112
; %bb.109:                              ;   in Loop: Header=BB351_15 Depth=1
	v_mov_b32_e32 v0, 7
	s_mov_b32 s23, exec_lo
	v_and_b32_sdwa v13, v27, v0 dst_sel:DWORD dst_unused:UNUSED_PAD src0_sel:BYTE_3 src1_sel:DWORD
	v_mov_b32_e32 v30, v14
	v_lshrrev_b32_e32 v0, 3, v1
	v_mov_b32_e32 v29, v13
	v_cmpx_gt_u32_e32 8, v1
; %bb.110:                              ;   in Loop: Header=BB351_15 Depth=1
	v_ffbh_u32_e32 v0, v13
	v_min_u32_e32 v0, 32, v0
	v_subrev_nc_u32_e32 v1, 28, v0
	v_sub_nc_u32_e32 v0, 29, v0
	v_lshlrev_b64 v[1:2], v1, v[13:14]
	v_and_b32_e32 v29, 7, v1
; %bb.111:                              ;   in Loop: Header=BB351_15 Depth=1
	s_or_b32 exec_lo, exec_lo, s23
	v_mov_b32_e32 v1, 24
	v_lshlrev_b32_e32 v2, 20, v29
	v_lshl_add_u32 v0, v0, 23, 0x3c000000
	v_lshlrev_b32_sdwa v1, v1, v27 dst_sel:DWORD dst_unused:UNUSED_PAD src0_sel:DWORD src1_sel:BYTE_3
	v_and_b32_e32 v1, 0x80000000, v1
	v_or3_b32 v0, v2, v1, v0
	buffer_store_dword v0, off, s[0:3], s32 offset:224 ; 4-byte Folded Spill
.LBB351_112:                            ;   in Loop: Header=BB351_15 Depth=1
	s_or_b32 exec_lo, exec_lo, s22
.LBB351_113:                            ;   in Loop: Header=BB351_15 Depth=1
	s_or_b32 exec_lo, exec_lo, s21
.LBB351_114:                            ;   in Loop: Header=BB351_15 Depth=1
	s_or_b32 exec_lo, exec_lo, s20
	v_mov_b32_e32 v13, v28
	v_cmp_ne_u16_sdwa s5, v28, v14 src0_sel:BYTE_0 src1_sel:DWORD
	v_mov_b32_e32 v46, 0
	v_mov_b32_e32 v0, 0
	buffer_store_dword v0, off, s[0:3], s32 offset:228 ; 4-byte Folded Spill
	s_and_saveexec_b32 s20, s5
	s_cbranch_execz .LBB351_122
; %bb.115:                              ;   in Loop: Header=BB351_15 Depth=1
	v_cmp_ne_u16_sdwa s5, v28, v98 src0_sel:BYTE_0 src1_sel:DWORD
	v_bfrev_b32_e32 v0, 1
	buffer_store_dword v0, off, s[0:3], s32 offset:228 ; 4-byte Folded Spill
	s_and_saveexec_b32 s21, s5
	s_cbranch_execz .LBB351_121
; %bb.116:                              ;   in Loop: Header=BB351_15 Depth=1
	v_and_b32_e32 v1, 0x7f, v28
	v_mov_b32_e32 v0, 0x7f800001
	s_mov_b32 s22, exec_lo
	buffer_store_dword v0, off, s[0:3], s32 offset:228 ; 4-byte Folded Spill
	v_cmpx_ne_u32_e32 0x7f, v1
	s_cbranch_execz .LBB351_120
; %bb.117:                              ;   in Loop: Header=BB351_15 Depth=1
	v_mov_b32_e32 v30, v14
	v_lshrrev_b32_e32 v0, 3, v1
	v_mov_b32_e32 v29, v13
	s_mov_b32 s23, exec_lo
	v_cmpx_gt_u32_e32 8, v1
; %bb.118:                              ;   in Loop: Header=BB351_15 Depth=1
	v_and_b32_e32 v0, 7, v28
	v_ffbh_u32_e32 v0, v0
	v_min_u32_e32 v0, 32, v0
	v_subrev_nc_u32_e32 v1, 28, v0
	v_sub_nc_u32_e32 v0, 29, v0
	v_lshlrev_b64 v[29:30], v1, v[13:14]
; %bb.119:                              ;   in Loop: Header=BB351_15 Depth=1
	s_or_b32 exec_lo, exec_lo, s23
	v_lshlrev_b32_e32 v1, 20, v29
	v_lshlrev_b32_e32 v2, 24, v13
	v_lshl_add_u32 v0, v0, 23, 0x3c000000
	v_and_b32_e32 v1, 0x700000, v1
	v_and_b32_e32 v2, 0x80000000, v2
	v_or3_b32 v0, v1, v2, v0
	buffer_store_dword v0, off, s[0:3], s32 offset:228 ; 4-byte Folded Spill
.LBB351_120:                            ;   in Loop: Header=BB351_15 Depth=1
	s_or_b32 exec_lo, exec_lo, s22
.LBB351_121:                            ;   in Loop: Header=BB351_15 Depth=1
	s_or_b32 exec_lo, exec_lo, s21
.LBB351_122:                            ;   in Loop: Header=BB351_15 Depth=1
	s_or_b32 exec_lo, exec_lo, s20
	v_cmp_ne_u16_sdwa s5, v13, v14 src0_sel:BYTE_1 src1_sel:DWORD
	s_and_saveexec_b32 s20, s5
	s_cbranch_execz .LBB351_130
; %bb.123:                              ;   in Loop: Header=BB351_15 Depth=1
	v_cmp_ne_u16_sdwa s5, v13, v98 src0_sel:BYTE_1 src1_sel:DWORD
	v_bfrev_b32_e32 v46, 1
	s_and_saveexec_b32 s21, s5
	s_cbranch_execz .LBB351_129
; %bb.124:                              ;   in Loop: Header=BB351_15 Depth=1
	v_mov_b32_e32 v0, 0xffff
	v_mov_b32_e32 v46, 0x7f800001
	s_mov_b32 s22, exec_lo
	v_and_b32_sdwa v0, v0, v13 dst_sel:DWORD dst_unused:UNUSED_PAD src0_sel:DWORD src1_sel:BYTE_1
	v_and_b32_e32 v1, 0x7f, v0
	v_cmpx_ne_u32_e32 0x7f, v1
	s_cbranch_execz .LBB351_128
; %bb.125:                              ;   in Loop: Header=BB351_15 Depth=1
	v_and_b32_e32 v29, 7, v0
	v_mov_b32_e32 v30, v14
	v_lshrrev_b32_e32 v0, 3, v1
	s_mov_b32 s23, exec_lo
	v_cmpx_gt_u32_e32 8, v1
; %bb.126:                              ;   in Loop: Header=BB351_15 Depth=1
	v_ffbh_u32_e32 v0, v29
	v_min_u32_e32 v0, 32, v0
	v_subrev_nc_u32_e32 v1, 28, v0
	v_sub_nc_u32_e32 v0, 29, v0
	v_lshlrev_b64 v[1:2], v1, v[29:30]
	v_and_b32_e32 v29, 7, v1
; %bb.127:                              ;   in Loop: Header=BB351_15 Depth=1
	s_or_b32 exec_lo, exec_lo, s23
	v_lshlrev_b32_e32 v1, 16, v13
	v_lshlrev_b32_e32 v2, 20, v29
	v_lshl_add_u32 v0, v0, 23, 0x3c000000
	v_and_b32_e32 v1, 0x80000000, v1
	v_or3_b32 v46, v2, v1, v0
.LBB351_128:                            ;   in Loop: Header=BB351_15 Depth=1
	s_or_b32 exec_lo, exec_lo, s22
.LBB351_129:                            ;   in Loop: Header=BB351_15 Depth=1
	s_or_b32 exec_lo, exec_lo, s21
.LBB351_130:                            ;   in Loop: Header=BB351_15 Depth=1
	s_or_b32 exec_lo, exec_lo, s20
	v_mov_b32_e32 v1, 0
	v_and_b32_sdwa v0, v28, v5 dst_sel:DWORD dst_unused:UNUSED_PAD src0_sel:WORD_1 src1_sel:DWORD
	s_mov_b32 s20, exec_lo
	buffer_store_dword v1, off, s[0:3], s32 offset:232 ; 4-byte Folded Spill
	v_mov_b32_e32 v1, 0
	buffer_store_dword v1, off, s[0:3], s32 offset:240 ; 4-byte Folded Spill
	v_cmpx_ne_u16_e32 0, v0
	s_cbranch_execz .LBB351_138
; %bb.131:                              ;   in Loop: Header=BB351_15 Depth=1
	v_cmp_ne_u16_e64 s5, 0x80, v0
	v_bfrev_b32_e32 v0, 1
	s_and_saveexec_b32 s21, s5
	s_cbranch_execz .LBB351_137
; %bb.132:                              ;   in Loop: Header=BB351_15 Depth=1
	v_bfe_u32 v1, v28, 16, 7
	v_mov_b32_e32 v0, 0x7f800001
	s_mov_b32 s22, exec_lo
	v_cmpx_ne_u32_e32 0x7f, v1
	s_cbranch_execz .LBB351_136
; %bb.133:                              ;   in Loop: Header=BB351_15 Depth=1
	v_mov_b32_e32 v0, 7
	s_mov_b32 s23, exec_lo
	v_and_b32_sdwa v13, v28, v0 dst_sel:DWORD dst_unused:UNUSED_PAD src0_sel:WORD_1 src1_sel:DWORD
	v_mov_b32_e32 v30, v14
	v_lshrrev_b32_e32 v0, 3, v1
	v_mov_b32_e32 v29, v13
	v_cmpx_gt_u32_e32 8, v1
; %bb.134:                              ;   in Loop: Header=BB351_15 Depth=1
	v_ffbh_u32_e32 v0, v13
	v_min_u32_e32 v0, 32, v0
	v_subrev_nc_u32_e32 v1, 28, v0
	v_sub_nc_u32_e32 v0, 29, v0
	v_lshlrev_b64 v[1:2], v1, v[13:14]
	v_and_b32_e32 v29, 7, v1
; %bb.135:                              ;   in Loop: Header=BB351_15 Depth=1
	s_or_b32 exec_lo, exec_lo, s23
	v_mov_b32_e32 v1, 24
	v_lshlrev_b32_e32 v2, 20, v29
	v_lshl_add_u32 v0, v0, 23, 0x3c000000
	v_lshlrev_b32_sdwa v1, v1, v28 dst_sel:DWORD dst_unused:UNUSED_PAD src0_sel:DWORD src1_sel:WORD_1
	v_and_b32_e32 v1, 0x80000000, v1
	v_or3_b32 v0, v2, v1, v0
.LBB351_136:                            ;   in Loop: Header=BB351_15 Depth=1
	s_or_b32 exec_lo, exec_lo, s22
.LBB351_137:                            ;   in Loop: Header=BB351_15 Depth=1
	s_or_b32 exec_lo, exec_lo, s21
	buffer_store_dword v0, off, s[0:3], s32 offset:240 ; 4-byte Folded Spill
.LBB351_138:                            ;   in Loop: Header=BB351_15 Depth=1
	s_or_b32 exec_lo, exec_lo, s20
	s_mov_b32 s20, exec_lo
	v_cmpx_lt_u64_e64 s[12:13], v[27:28]
	s_cbranch_execz .LBB351_146
; %bb.139:                              ;   in Loop: Header=BB351_15 Depth=1
	v_cmp_ne_u32_sdwa s5, v28, v98 src0_sel:BYTE_3 src1_sel:DWORD
	v_bfrev_b32_e32 v0, 1
	buffer_store_dword v0, off, s[0:3], s32 offset:232 ; 4-byte Folded Spill
	s_and_saveexec_b32 s21, s5
	s_cbranch_execz .LBB351_145
; %bb.140:                              ;   in Loop: Header=BB351_15 Depth=1
	v_bfe_u32 v1, v28, 24, 7
	v_mov_b32_e32 v0, 0x7f800001
	s_mov_b32 s22, exec_lo
	buffer_store_dword v0, off, s[0:3], s32 offset:232 ; 4-byte Folded Spill
	v_cmpx_ne_u32_e32 0x7f, v1
	s_cbranch_execz .LBB351_144
; %bb.141:                              ;   in Loop: Header=BB351_15 Depth=1
	v_mov_b32_e32 v0, 7
	s_mov_b32 s23, exec_lo
	v_and_b32_sdwa v13, v28, v0 dst_sel:DWORD dst_unused:UNUSED_PAD src0_sel:BYTE_3 src1_sel:DWORD
	v_mov_b32_e32 v30, v14
	v_lshrrev_b32_e32 v0, 3, v1
	v_mov_b32_e32 v29, v13
	v_cmpx_gt_u32_e32 8, v1
; %bb.142:                              ;   in Loop: Header=BB351_15 Depth=1
	v_ffbh_u32_e32 v0, v13
	v_min_u32_e32 v0, 32, v0
	v_subrev_nc_u32_e32 v1, 28, v0
	v_sub_nc_u32_e32 v0, 29, v0
	v_lshlrev_b64 v[1:2], v1, v[13:14]
	v_and_b32_e32 v29, 7, v1
; %bb.143:                              ;   in Loop: Header=BB351_15 Depth=1
	s_or_b32 exec_lo, exec_lo, s23
	v_mov_b32_e32 v1, 24
	v_lshlrev_b32_e32 v2, 20, v29
	v_lshl_add_u32 v0, v0, 23, 0x3c000000
	v_lshlrev_b32_sdwa v1, v1, v28 dst_sel:DWORD dst_unused:UNUSED_PAD src0_sel:DWORD src1_sel:BYTE_3
	v_and_b32_e32 v1, 0x80000000, v1
	v_or3_b32 v0, v2, v1, v0
	buffer_store_dword v0, off, s[0:3], s32 offset:232 ; 4-byte Folded Spill
.LBB351_144:                            ;   in Loop: Header=BB351_15 Depth=1
	s_or_b32 exec_lo, exec_lo, s22
.LBB351_145:                            ;   in Loop: Header=BB351_15 Depth=1
	s_or_b32 exec_lo, exec_lo, s21
.LBB351_146:                            ;   in Loop: Header=BB351_15 Depth=1
	s_or_b32 exec_lo, exec_lo, s20
	flat_load_dwordx2 v[27:28], v[24:25] offset:512
	v_mov_b32_e32 v58, 0
	v_mov_b32_e32 v57, 0
	s_waitcnt vmcnt(0) lgkmcnt(0)
	v_cmp_ne_u16_sdwa s5, v27, v14 src0_sel:BYTE_0 src1_sel:DWORD
	s_and_saveexec_b32 s20, s5
	s_cbranch_execz .LBB351_154
; %bb.147:                              ;   in Loop: Header=BB351_15 Depth=1
	v_cmp_ne_u16_sdwa s5, v27, v98 src0_sel:BYTE_0 src1_sel:DWORD
	v_bfrev_b32_e32 v57, 1
	s_and_saveexec_b32 s21, s5
	s_cbranch_execz .LBB351_153
; %bb.148:                              ;   in Loop: Header=BB351_15 Depth=1
	v_and_b32_e32 v1, 0x7f, v27
	v_mov_b32_e32 v57, 0x7f800001
	s_mov_b32 s22, exec_lo
	v_cmpx_ne_u32_e32 0x7f, v1
	s_cbranch_execz .LBB351_152
; %bb.149:                              ;   in Loop: Header=BB351_15 Depth=1
	v_mov_b32_e32 v30, v28
	v_lshrrev_b32_e32 v0, 3, v1
	v_mov_b32_e32 v29, v27
	s_mov_b32 s23, exec_lo
	v_cmpx_gt_u32_e32 8, v1
; %bb.150:                              ;   in Loop: Header=BB351_15 Depth=1
	v_and_b32_e32 v0, 7, v27
	v_ffbh_u32_e32 v0, v0
	v_min_u32_e32 v0, 32, v0
	v_subrev_nc_u32_e32 v1, 28, v0
	v_sub_nc_u32_e32 v0, 29, v0
	v_lshlrev_b64 v[29:30], v1, v[27:28]
; %bb.151:                              ;   in Loop: Header=BB351_15 Depth=1
	s_or_b32 exec_lo, exec_lo, s23
	v_lshlrev_b32_e32 v1, 20, v29
	v_lshlrev_b32_e32 v2, 24, v27
	v_lshl_add_u32 v0, v0, 23, 0x3c000000
	v_and_b32_e32 v1, 0x700000, v1
	v_and_b32_e32 v2, 0x80000000, v2
	v_or3_b32 v57, v1, v2, v0
.LBB351_152:                            ;   in Loop: Header=BB351_15 Depth=1
	s_or_b32 exec_lo, exec_lo, s22
.LBB351_153:                            ;   in Loop: Header=BB351_15 Depth=1
	s_or_b32 exec_lo, exec_lo, s21
.LBB351_154:                            ;   in Loop: Header=BB351_15 Depth=1
	s_or_b32 exec_lo, exec_lo, s20
	v_cmp_ne_u16_sdwa s5, v27, v14 src0_sel:BYTE_1 src1_sel:DWORD
	s_and_saveexec_b32 s20, s5
	s_cbranch_execz .LBB351_162
; %bb.155:                              ;   in Loop: Header=BB351_15 Depth=1
	v_cmp_ne_u16_sdwa s5, v27, v98 src0_sel:BYTE_1 src1_sel:DWORD
	v_bfrev_b32_e32 v58, 1
	s_and_saveexec_b32 s21, s5
	s_cbranch_execz .LBB351_161
; %bb.156:                              ;   in Loop: Header=BB351_15 Depth=1
	v_mov_b32_e32 v0, 0xffff
	v_mov_b32_e32 v58, 0x7f800001
	s_mov_b32 s22, exec_lo
	v_and_b32_sdwa v0, v0, v27 dst_sel:DWORD dst_unused:UNUSED_PAD src0_sel:DWORD src1_sel:BYTE_1
	v_and_b32_e32 v1, 0x7f, v0
	v_cmpx_ne_u32_e32 0x7f, v1
	s_cbranch_execz .LBB351_160
; %bb.157:                              ;   in Loop: Header=BB351_15 Depth=1
	v_and_b32_e32 v13, 7, v0
	v_mov_b32_e32 v30, v14
	v_lshrrev_b32_e32 v0, 3, v1
	s_mov_b32 s23, exec_lo
	v_mov_b32_e32 v29, v13
	v_cmpx_gt_u32_e32 8, v1
; %bb.158:                              ;   in Loop: Header=BB351_15 Depth=1
	v_ffbh_u32_e32 v0, v13
	v_min_u32_e32 v0, 32, v0
	v_subrev_nc_u32_e32 v1, 28, v0
	v_sub_nc_u32_e32 v0, 29, v0
	v_lshlrev_b64 v[1:2], v1, v[13:14]
	v_and_b32_e32 v29, 7, v1
; %bb.159:                              ;   in Loop: Header=BB351_15 Depth=1
	s_or_b32 exec_lo, exec_lo, s23
	v_lshlrev_b32_e32 v1, 16, v27
	v_lshlrev_b32_e32 v2, 20, v29
	v_lshl_add_u32 v0, v0, 23, 0x3c000000
	v_and_b32_e32 v1, 0x80000000, v1
	v_or3_b32 v58, v2, v1, v0
.LBB351_160:                            ;   in Loop: Header=BB351_15 Depth=1
	s_or_b32 exec_lo, exec_lo, s22
.LBB351_161:                            ;   in Loop: Header=BB351_15 Depth=1
	s_or_b32 exec_lo, exec_lo, s21
.LBB351_162:                            ;   in Loop: Header=BB351_15 Depth=1
	s_or_b32 exec_lo, exec_lo, s20
	v_and_b32_sdwa v0, v27, v5 dst_sel:DWORD dst_unused:UNUSED_PAD src0_sel:WORD_1 src1_sel:DWORD
	v_mov_b32_e32 v60, 0
	v_mov_b32_e32 v59, 0
	s_mov_b32 s20, exec_lo
	v_cmpx_ne_u16_e32 0, v0
	s_cbranch_execz .LBB351_170
; %bb.163:                              ;   in Loop: Header=BB351_15 Depth=1
	v_bfrev_b32_e32 v59, 1
	s_mov_b32 s21, exec_lo
	v_cmpx_ne_u16_e32 0x80, v0
	s_cbranch_execz .LBB351_169
; %bb.164:                              ;   in Loop: Header=BB351_15 Depth=1
	v_bfe_u32 v1, v27, 16, 7
	v_mov_b32_e32 v59, 0x7f800001
	s_mov_b32 s22, exec_lo
	v_cmpx_ne_u32_e32 0x7f, v1
	s_cbranch_execz .LBB351_168
; %bb.165:                              ;   in Loop: Header=BB351_15 Depth=1
	v_mov_b32_e32 v0, 7
	s_mov_b32 s23, exec_lo
	v_and_b32_sdwa v13, v27, v0 dst_sel:DWORD dst_unused:UNUSED_PAD src0_sel:WORD_1 src1_sel:DWORD
	v_mov_b32_e32 v30, v14
	v_lshrrev_b32_e32 v0, 3, v1
	v_mov_b32_e32 v29, v13
	v_cmpx_gt_u32_e32 8, v1
; %bb.166:                              ;   in Loop: Header=BB351_15 Depth=1
	v_ffbh_u32_e32 v0, v13
	v_min_u32_e32 v0, 32, v0
	v_subrev_nc_u32_e32 v1, 28, v0
	v_sub_nc_u32_e32 v0, 29, v0
	v_lshlrev_b64 v[1:2], v1, v[13:14]
	v_and_b32_e32 v29, 7, v1
; %bb.167:                              ;   in Loop: Header=BB351_15 Depth=1
	s_or_b32 exec_lo, exec_lo, s23
	v_mov_b32_e32 v1, 24
	v_lshlrev_b32_e32 v2, 20, v29
	v_lshl_add_u32 v0, v0, 23, 0x3c000000
	v_lshlrev_b32_sdwa v1, v1, v27 dst_sel:DWORD dst_unused:UNUSED_PAD src0_sel:DWORD src1_sel:WORD_1
	v_and_b32_e32 v1, 0x80000000, v1
	v_or3_b32 v59, v2, v1, v0
.LBB351_168:                            ;   in Loop: Header=BB351_15 Depth=1
	s_or_b32 exec_lo, exec_lo, s22
.LBB351_169:                            ;   in Loop: Header=BB351_15 Depth=1
	s_or_b32 exec_lo, exec_lo, s21
.LBB351_170:                            ;   in Loop: Header=BB351_15 Depth=1
	s_or_b32 exec_lo, exec_lo, s20
	s_mov_b32 s20, exec_lo
	v_cmpx_lt_u32_e32 0xffffff, v27
	s_cbranch_execz .LBB351_178
; %bb.171:                              ;   in Loop: Header=BB351_15 Depth=1
	v_cmp_ne_u32_sdwa s5, v27, v98 src0_sel:BYTE_3 src1_sel:DWORD
	v_bfrev_b32_e32 v60, 1
	s_and_saveexec_b32 s21, s5
	s_cbranch_execz .LBB351_177
; %bb.172:                              ;   in Loop: Header=BB351_15 Depth=1
	v_bfe_u32 v1, v27, 24, 7
	v_mov_b32_e32 v60, 0x7f800001
	s_mov_b32 s22, exec_lo
	v_cmpx_ne_u32_e32 0x7f, v1
	s_cbranch_execz .LBB351_176
; %bb.173:                              ;   in Loop: Header=BB351_15 Depth=1
	v_mov_b32_e32 v0, 7
	s_mov_b32 s23, exec_lo
	v_and_b32_sdwa v13, v27, v0 dst_sel:DWORD dst_unused:UNUSED_PAD src0_sel:BYTE_3 src1_sel:DWORD
	v_mov_b32_e32 v30, v14
	v_lshrrev_b32_e32 v0, 3, v1
	v_mov_b32_e32 v29, v13
	v_cmpx_gt_u32_e32 8, v1
; %bb.174:                              ;   in Loop: Header=BB351_15 Depth=1
	v_ffbh_u32_e32 v0, v13
	v_min_u32_e32 v0, 32, v0
	v_subrev_nc_u32_e32 v1, 28, v0
	v_sub_nc_u32_e32 v0, 29, v0
	v_lshlrev_b64 v[1:2], v1, v[13:14]
	v_and_b32_e32 v29, 7, v1
; %bb.175:                              ;   in Loop: Header=BB351_15 Depth=1
	s_or_b32 exec_lo, exec_lo, s23
	v_mov_b32_e32 v1, 24
	v_lshlrev_b32_e32 v2, 20, v29
	v_lshl_add_u32 v0, v0, 23, 0x3c000000
	v_lshlrev_b32_sdwa v1, v1, v27 dst_sel:DWORD dst_unused:UNUSED_PAD src0_sel:DWORD src1_sel:BYTE_3
	v_and_b32_e32 v1, 0x80000000, v1
	v_or3_b32 v60, v2, v1, v0
.LBB351_176:                            ;   in Loop: Header=BB351_15 Depth=1
	s_or_b32 exec_lo, exec_lo, s22
.LBB351_177:                            ;   in Loop: Header=BB351_15 Depth=1
	s_or_b32 exec_lo, exec_lo, s21
.LBB351_178:                            ;   in Loop: Header=BB351_15 Depth=1
	s_or_b32 exec_lo, exec_lo, s20
	v_mov_b32_e32 v13, v28
	v_cmp_ne_u16_sdwa s5, v28, v14 src0_sel:BYTE_0 src1_sel:DWORD
	v_mov_b32_e32 v62, 0
	v_mov_b32_e32 v61, 0
	s_and_saveexec_b32 s20, s5
	s_cbranch_execz .LBB351_186
; %bb.179:                              ;   in Loop: Header=BB351_15 Depth=1
	v_cmp_ne_u16_sdwa s5, v28, v98 src0_sel:BYTE_0 src1_sel:DWORD
	v_bfrev_b32_e32 v61, 1
	s_and_saveexec_b32 s21, s5
	s_cbranch_execz .LBB351_185
; %bb.180:                              ;   in Loop: Header=BB351_15 Depth=1
	v_and_b32_e32 v1, 0x7f, v28
	v_mov_b32_e32 v61, 0x7f800001
	s_mov_b32 s22, exec_lo
	v_cmpx_ne_u32_e32 0x7f, v1
	s_cbranch_execz .LBB351_184
; %bb.181:                              ;   in Loop: Header=BB351_15 Depth=1
	v_mov_b32_e32 v30, v14
	v_lshrrev_b32_e32 v0, 3, v1
	v_mov_b32_e32 v29, v13
	s_mov_b32 s23, exec_lo
	v_cmpx_gt_u32_e32 8, v1
; %bb.182:                              ;   in Loop: Header=BB351_15 Depth=1
	v_and_b32_e32 v0, 7, v28
	v_ffbh_u32_e32 v0, v0
	v_min_u32_e32 v0, 32, v0
	v_subrev_nc_u32_e32 v1, 28, v0
	v_sub_nc_u32_e32 v0, 29, v0
	v_lshlrev_b64 v[29:30], v1, v[13:14]
; %bb.183:                              ;   in Loop: Header=BB351_15 Depth=1
	s_or_b32 exec_lo, exec_lo, s23
	v_lshlrev_b32_e32 v1, 20, v29
	v_lshlrev_b32_e32 v2, 24, v13
	v_lshl_add_u32 v0, v0, 23, 0x3c000000
	v_and_b32_e32 v1, 0x700000, v1
	v_and_b32_e32 v2, 0x80000000, v2
	v_or3_b32 v61, v1, v2, v0
.LBB351_184:                            ;   in Loop: Header=BB351_15 Depth=1
	s_or_b32 exec_lo, exec_lo, s22
.LBB351_185:                            ;   in Loop: Header=BB351_15 Depth=1
	s_or_b32 exec_lo, exec_lo, s21
.LBB351_186:                            ;   in Loop: Header=BB351_15 Depth=1
	s_or_b32 exec_lo, exec_lo, s20
	v_cmp_ne_u16_sdwa s5, v13, v14 src0_sel:BYTE_1 src1_sel:DWORD
	s_and_saveexec_b32 s20, s5
	s_cbranch_execz .LBB351_194
; %bb.187:                              ;   in Loop: Header=BB351_15 Depth=1
	v_cmp_ne_u16_sdwa s5, v13, v98 src0_sel:BYTE_1 src1_sel:DWORD
	v_bfrev_b32_e32 v62, 1
	s_and_saveexec_b32 s21, s5
	s_cbranch_execz .LBB351_193
; %bb.188:                              ;   in Loop: Header=BB351_15 Depth=1
	v_mov_b32_e32 v0, 0xffff
	v_mov_b32_e32 v62, 0x7f800001
	s_mov_b32 s22, exec_lo
	v_and_b32_sdwa v0, v0, v13 dst_sel:DWORD dst_unused:UNUSED_PAD src0_sel:DWORD src1_sel:BYTE_1
	v_and_b32_e32 v1, 0x7f, v0
	v_cmpx_ne_u32_e32 0x7f, v1
	s_cbranch_execz .LBB351_192
; %bb.189:                              ;   in Loop: Header=BB351_15 Depth=1
	v_and_b32_e32 v29, 7, v0
	v_mov_b32_e32 v30, v14
	v_lshrrev_b32_e32 v0, 3, v1
	s_mov_b32 s23, exec_lo
	v_cmpx_gt_u32_e32 8, v1
; %bb.190:                              ;   in Loop: Header=BB351_15 Depth=1
	v_ffbh_u32_e32 v0, v29
	v_min_u32_e32 v0, 32, v0
	v_subrev_nc_u32_e32 v1, 28, v0
	v_sub_nc_u32_e32 v0, 29, v0
	v_lshlrev_b64 v[1:2], v1, v[29:30]
	v_and_b32_e32 v29, 7, v1
; %bb.191:                              ;   in Loop: Header=BB351_15 Depth=1
	s_or_b32 exec_lo, exec_lo, s23
	v_lshlrev_b32_e32 v1, 16, v13
	v_lshlrev_b32_e32 v2, 20, v29
	v_lshl_add_u32 v0, v0, 23, 0x3c000000
	v_and_b32_e32 v1, 0x80000000, v1
	v_or3_b32 v62, v2, v1, v0
.LBB351_192:                            ;   in Loop: Header=BB351_15 Depth=1
	s_or_b32 exec_lo, exec_lo, s22
.LBB351_193:                            ;   in Loop: Header=BB351_15 Depth=1
	s_or_b32 exec_lo, exec_lo, s21
.LBB351_194:                            ;   in Loop: Header=BB351_15 Depth=1
	s_or_b32 exec_lo, exec_lo, s20
	v_and_b32_sdwa v0, v28, v5 dst_sel:DWORD dst_unused:UNUSED_PAD src0_sel:WORD_1 src1_sel:DWORD
	v_mov_b32_e32 v63, 0
	v_mov_b32_e32 v72, 0
	s_mov_b32 s20, exec_lo
	v_cmpx_ne_u16_e32 0, v0
	s_cbranch_execz .LBB351_202
; %bb.195:                              ;   in Loop: Header=BB351_15 Depth=1
	v_bfrev_b32_e32 v72, 1
	s_mov_b32 s21, exec_lo
	v_cmpx_ne_u16_e32 0x80, v0
	s_cbranch_execz .LBB351_201
; %bb.196:                              ;   in Loop: Header=BB351_15 Depth=1
	v_bfe_u32 v1, v28, 16, 7
	v_mov_b32_e32 v72, 0x7f800001
	s_mov_b32 s22, exec_lo
	v_cmpx_ne_u32_e32 0x7f, v1
	s_cbranch_execz .LBB351_200
; %bb.197:                              ;   in Loop: Header=BB351_15 Depth=1
	v_mov_b32_e32 v0, 7
	s_mov_b32 s23, exec_lo
	v_and_b32_sdwa v13, v28, v0 dst_sel:DWORD dst_unused:UNUSED_PAD src0_sel:WORD_1 src1_sel:DWORD
	v_mov_b32_e32 v30, v14
	v_lshrrev_b32_e32 v0, 3, v1
	v_mov_b32_e32 v29, v13
	v_cmpx_gt_u32_e32 8, v1
; %bb.198:                              ;   in Loop: Header=BB351_15 Depth=1
	v_ffbh_u32_e32 v0, v13
	v_min_u32_e32 v0, 32, v0
	v_subrev_nc_u32_e32 v1, 28, v0
	v_sub_nc_u32_e32 v0, 29, v0
	v_lshlrev_b64 v[1:2], v1, v[13:14]
	v_and_b32_e32 v29, 7, v1
; %bb.199:                              ;   in Loop: Header=BB351_15 Depth=1
	s_or_b32 exec_lo, exec_lo, s23
	v_mov_b32_e32 v1, 24
	v_lshlrev_b32_e32 v2, 20, v29
	v_lshl_add_u32 v0, v0, 23, 0x3c000000
	v_lshlrev_b32_sdwa v1, v1, v28 dst_sel:DWORD dst_unused:UNUSED_PAD src0_sel:DWORD src1_sel:WORD_1
	v_and_b32_e32 v1, 0x80000000, v1
	v_or3_b32 v72, v2, v1, v0
.LBB351_200:                            ;   in Loop: Header=BB351_15 Depth=1
	s_or_b32 exec_lo, exec_lo, s22
.LBB351_201:                            ;   in Loop: Header=BB351_15 Depth=1
	s_or_b32 exec_lo, exec_lo, s21
.LBB351_202:                            ;   in Loop: Header=BB351_15 Depth=1
	s_or_b32 exec_lo, exec_lo, s20
	s_mov_b32 s20, exec_lo
	v_cmpx_lt_u64_e64 s[12:13], v[27:28]
	s_cbranch_execz .LBB351_210
; %bb.203:                              ;   in Loop: Header=BB351_15 Depth=1
	v_cmp_ne_u32_sdwa s5, v28, v98 src0_sel:BYTE_3 src1_sel:DWORD
	v_bfrev_b32_e32 v63, 1
	s_and_saveexec_b32 s21, s5
	s_cbranch_execz .LBB351_209
; %bb.204:                              ;   in Loop: Header=BB351_15 Depth=1
	v_bfe_u32 v1, v28, 24, 7
	v_mov_b32_e32 v63, 0x7f800001
	s_mov_b32 s22, exec_lo
	v_cmpx_ne_u32_e32 0x7f, v1
	s_cbranch_execz .LBB351_208
; %bb.205:                              ;   in Loop: Header=BB351_15 Depth=1
	v_mov_b32_e32 v0, 7
	s_mov_b32 s23, exec_lo
	v_and_b32_sdwa v13, v28, v0 dst_sel:DWORD dst_unused:UNUSED_PAD src0_sel:BYTE_3 src1_sel:DWORD
	v_mov_b32_e32 v30, v14
	v_lshrrev_b32_e32 v0, 3, v1
	v_mov_b32_e32 v29, v13
	v_cmpx_gt_u32_e32 8, v1
; %bb.206:                              ;   in Loop: Header=BB351_15 Depth=1
	v_ffbh_u32_e32 v0, v13
	v_min_u32_e32 v0, 32, v0
	v_subrev_nc_u32_e32 v1, 28, v0
	v_sub_nc_u32_e32 v0, 29, v0
	v_lshlrev_b64 v[1:2], v1, v[13:14]
	v_and_b32_e32 v29, 7, v1
; %bb.207:                              ;   in Loop: Header=BB351_15 Depth=1
	s_or_b32 exec_lo, exec_lo, s23
	v_mov_b32_e32 v1, 24
	v_lshlrev_b32_e32 v2, 20, v29
	v_lshl_add_u32 v0, v0, 23, 0x3c000000
	v_lshlrev_b32_sdwa v1, v1, v28 dst_sel:DWORD dst_unused:UNUSED_PAD src0_sel:DWORD src1_sel:BYTE_3
	v_and_b32_e32 v1, 0x80000000, v1
	v_or3_b32 v63, v2, v1, v0
.LBB351_208:                            ;   in Loop: Header=BB351_15 Depth=1
	s_or_b32 exec_lo, exec_lo, s22
.LBB351_209:                            ;   in Loop: Header=BB351_15 Depth=1
	s_or_b32 exec_lo, exec_lo, s21
.LBB351_210:                            ;   in Loop: Header=BB351_15 Depth=1
	s_or_b32 exec_lo, exec_lo, s20
	flat_load_dwordx2 v[27:28], v[24:25] offset:520
	v_mov_b32_e32 v74, 0
	v_mov_b32_e32 v73, 0
	s_waitcnt vmcnt(0) lgkmcnt(0)
	v_cmp_ne_u16_sdwa s5, v27, v14 src0_sel:BYTE_0 src1_sel:DWORD
	s_and_saveexec_b32 s20, s5
	s_cbranch_execz .LBB351_218
; %bb.211:                              ;   in Loop: Header=BB351_15 Depth=1
	v_cmp_ne_u16_sdwa s5, v27, v98 src0_sel:BYTE_0 src1_sel:DWORD
	v_bfrev_b32_e32 v73, 1
	s_and_saveexec_b32 s21, s5
	s_cbranch_execz .LBB351_217
; %bb.212:                              ;   in Loop: Header=BB351_15 Depth=1
	v_and_b32_e32 v1, 0x7f, v27
	v_mov_b32_e32 v73, 0x7f800001
	s_mov_b32 s22, exec_lo
	v_cmpx_ne_u32_e32 0x7f, v1
	s_cbranch_execz .LBB351_216
; %bb.213:                              ;   in Loop: Header=BB351_15 Depth=1
	v_mov_b32_e32 v30, v28
	v_lshrrev_b32_e32 v0, 3, v1
	v_mov_b32_e32 v29, v27
	s_mov_b32 s23, exec_lo
	v_cmpx_gt_u32_e32 8, v1
; %bb.214:                              ;   in Loop: Header=BB351_15 Depth=1
	v_and_b32_e32 v0, 7, v27
	v_ffbh_u32_e32 v0, v0
	v_min_u32_e32 v0, 32, v0
	v_subrev_nc_u32_e32 v1, 28, v0
	v_sub_nc_u32_e32 v0, 29, v0
	v_lshlrev_b64 v[29:30], v1, v[27:28]
; %bb.215:                              ;   in Loop: Header=BB351_15 Depth=1
	s_or_b32 exec_lo, exec_lo, s23
	v_lshlrev_b32_e32 v1, 20, v29
	v_lshlrev_b32_e32 v2, 24, v27
	v_lshl_add_u32 v0, v0, 23, 0x3c000000
	v_and_b32_e32 v1, 0x700000, v1
	v_and_b32_e32 v2, 0x80000000, v2
	v_or3_b32 v73, v1, v2, v0
.LBB351_216:                            ;   in Loop: Header=BB351_15 Depth=1
	s_or_b32 exec_lo, exec_lo, s22
.LBB351_217:                            ;   in Loop: Header=BB351_15 Depth=1
	s_or_b32 exec_lo, exec_lo, s21
.LBB351_218:                            ;   in Loop: Header=BB351_15 Depth=1
	s_or_b32 exec_lo, exec_lo, s20
	v_cmp_ne_u16_sdwa s5, v27, v14 src0_sel:BYTE_1 src1_sel:DWORD
	s_and_saveexec_b32 s20, s5
	s_cbranch_execz .LBB351_226
; %bb.219:                              ;   in Loop: Header=BB351_15 Depth=1
	v_cmp_ne_u16_sdwa s5, v27, v98 src0_sel:BYTE_1 src1_sel:DWORD
	v_bfrev_b32_e32 v74, 1
	s_and_saveexec_b32 s21, s5
	s_cbranch_execz .LBB351_225
; %bb.220:                              ;   in Loop: Header=BB351_15 Depth=1
	v_mov_b32_e32 v0, 0xffff
	v_mov_b32_e32 v74, 0x7f800001
	s_mov_b32 s22, exec_lo
	v_and_b32_sdwa v0, v0, v27 dst_sel:DWORD dst_unused:UNUSED_PAD src0_sel:DWORD src1_sel:BYTE_1
	v_and_b32_e32 v1, 0x7f, v0
	v_cmpx_ne_u32_e32 0x7f, v1
	s_cbranch_execz .LBB351_224
; %bb.221:                              ;   in Loop: Header=BB351_15 Depth=1
	v_and_b32_e32 v13, 7, v0
	v_mov_b32_e32 v30, v14
	v_lshrrev_b32_e32 v0, 3, v1
	s_mov_b32 s23, exec_lo
	v_mov_b32_e32 v29, v13
	v_cmpx_gt_u32_e32 8, v1
; %bb.222:                              ;   in Loop: Header=BB351_15 Depth=1
	v_ffbh_u32_e32 v0, v13
	v_min_u32_e32 v0, 32, v0
	v_subrev_nc_u32_e32 v1, 28, v0
	v_sub_nc_u32_e32 v0, 29, v0
	v_lshlrev_b64 v[1:2], v1, v[13:14]
	v_and_b32_e32 v29, 7, v1
; %bb.223:                              ;   in Loop: Header=BB351_15 Depth=1
	s_or_b32 exec_lo, exec_lo, s23
	v_lshlrev_b32_e32 v1, 16, v27
	v_lshlrev_b32_e32 v2, 20, v29
	v_lshl_add_u32 v0, v0, 23, 0x3c000000
	v_and_b32_e32 v1, 0x80000000, v1
	v_or3_b32 v74, v2, v1, v0
.LBB351_224:                            ;   in Loop: Header=BB351_15 Depth=1
	s_or_b32 exec_lo, exec_lo, s22
.LBB351_225:                            ;   in Loop: Header=BB351_15 Depth=1
	s_or_b32 exec_lo, exec_lo, s21
.LBB351_226:                            ;   in Loop: Header=BB351_15 Depth=1
	s_or_b32 exec_lo, exec_lo, s20
	v_and_b32_sdwa v0, v27, v5 dst_sel:DWORD dst_unused:UNUSED_PAD src0_sel:WORD_1 src1_sel:DWORD
	v_mov_b32_e32 v76, 0
	v_mov_b32_e32 v75, 0
	s_mov_b32 s20, exec_lo
	v_cmpx_ne_u16_e32 0, v0
	s_cbranch_execz .LBB351_234
; %bb.227:                              ;   in Loop: Header=BB351_15 Depth=1
	v_bfrev_b32_e32 v75, 1
	s_mov_b32 s21, exec_lo
	v_cmpx_ne_u16_e32 0x80, v0
	s_cbranch_execz .LBB351_233
; %bb.228:                              ;   in Loop: Header=BB351_15 Depth=1
	v_bfe_u32 v1, v27, 16, 7
	v_mov_b32_e32 v75, 0x7f800001
	s_mov_b32 s22, exec_lo
	v_cmpx_ne_u32_e32 0x7f, v1
	s_cbranch_execz .LBB351_232
; %bb.229:                              ;   in Loop: Header=BB351_15 Depth=1
	v_mov_b32_e32 v0, 7
	s_mov_b32 s23, exec_lo
	v_and_b32_sdwa v13, v27, v0 dst_sel:DWORD dst_unused:UNUSED_PAD src0_sel:WORD_1 src1_sel:DWORD
	v_mov_b32_e32 v30, v14
	v_lshrrev_b32_e32 v0, 3, v1
	v_mov_b32_e32 v29, v13
	v_cmpx_gt_u32_e32 8, v1
; %bb.230:                              ;   in Loop: Header=BB351_15 Depth=1
	v_ffbh_u32_e32 v0, v13
	v_min_u32_e32 v0, 32, v0
	v_subrev_nc_u32_e32 v1, 28, v0
	v_sub_nc_u32_e32 v0, 29, v0
	v_lshlrev_b64 v[1:2], v1, v[13:14]
	v_and_b32_e32 v29, 7, v1
; %bb.231:                              ;   in Loop: Header=BB351_15 Depth=1
	s_or_b32 exec_lo, exec_lo, s23
	v_mov_b32_e32 v1, 24
	v_lshlrev_b32_e32 v2, 20, v29
	v_lshl_add_u32 v0, v0, 23, 0x3c000000
	v_lshlrev_b32_sdwa v1, v1, v27 dst_sel:DWORD dst_unused:UNUSED_PAD src0_sel:DWORD src1_sel:WORD_1
	v_and_b32_e32 v1, 0x80000000, v1
	v_or3_b32 v75, v2, v1, v0
.LBB351_232:                            ;   in Loop: Header=BB351_15 Depth=1
	s_or_b32 exec_lo, exec_lo, s22
.LBB351_233:                            ;   in Loop: Header=BB351_15 Depth=1
	s_or_b32 exec_lo, exec_lo, s21
.LBB351_234:                            ;   in Loop: Header=BB351_15 Depth=1
	s_or_b32 exec_lo, exec_lo, s20
	s_mov_b32 s20, exec_lo
	v_cmpx_lt_u32_e32 0xffffff, v27
	s_cbranch_execz .LBB351_242
; %bb.235:                              ;   in Loop: Header=BB351_15 Depth=1
	v_cmp_ne_u32_sdwa s5, v27, v98 src0_sel:BYTE_3 src1_sel:DWORD
	v_bfrev_b32_e32 v76, 1
	s_and_saveexec_b32 s21, s5
	s_cbranch_execz .LBB351_241
; %bb.236:                              ;   in Loop: Header=BB351_15 Depth=1
	v_bfe_u32 v1, v27, 24, 7
	v_mov_b32_e32 v76, 0x7f800001
	s_mov_b32 s22, exec_lo
	v_cmpx_ne_u32_e32 0x7f, v1
	s_cbranch_execz .LBB351_240
; %bb.237:                              ;   in Loop: Header=BB351_15 Depth=1
	v_mov_b32_e32 v0, 7
	s_mov_b32 s23, exec_lo
	v_and_b32_sdwa v13, v27, v0 dst_sel:DWORD dst_unused:UNUSED_PAD src0_sel:BYTE_3 src1_sel:DWORD
	v_mov_b32_e32 v30, v14
	v_lshrrev_b32_e32 v0, 3, v1
	v_mov_b32_e32 v29, v13
	v_cmpx_gt_u32_e32 8, v1
; %bb.238:                              ;   in Loop: Header=BB351_15 Depth=1
	v_ffbh_u32_e32 v0, v13
	v_min_u32_e32 v0, 32, v0
	v_subrev_nc_u32_e32 v1, 28, v0
	v_sub_nc_u32_e32 v0, 29, v0
	v_lshlrev_b64 v[1:2], v1, v[13:14]
	v_and_b32_e32 v29, 7, v1
; %bb.239:                              ;   in Loop: Header=BB351_15 Depth=1
	s_or_b32 exec_lo, exec_lo, s23
	v_mov_b32_e32 v1, 24
	v_lshlrev_b32_e32 v2, 20, v29
	v_lshl_add_u32 v0, v0, 23, 0x3c000000
	v_lshlrev_b32_sdwa v1, v1, v27 dst_sel:DWORD dst_unused:UNUSED_PAD src0_sel:DWORD src1_sel:BYTE_3
	v_and_b32_e32 v1, 0x80000000, v1
	v_or3_b32 v76, v2, v1, v0
.LBB351_240:                            ;   in Loop: Header=BB351_15 Depth=1
	s_or_b32 exec_lo, exec_lo, s22
.LBB351_241:                            ;   in Loop: Header=BB351_15 Depth=1
	s_or_b32 exec_lo, exec_lo, s21
.LBB351_242:                            ;   in Loop: Header=BB351_15 Depth=1
	s_or_b32 exec_lo, exec_lo, s20
	v_mov_b32_e32 v13, v28
	v_cmp_ne_u16_sdwa s5, v28, v14 src0_sel:BYTE_0 src1_sel:DWORD
	v_mov_b32_e32 v78, 0
	v_mov_b32_e32 v77, 0
	s_and_saveexec_b32 s20, s5
	s_cbranch_execz .LBB351_250
; %bb.243:                              ;   in Loop: Header=BB351_15 Depth=1
	v_cmp_ne_u16_sdwa s5, v28, v98 src0_sel:BYTE_0 src1_sel:DWORD
	v_bfrev_b32_e32 v77, 1
	s_and_saveexec_b32 s21, s5
	s_cbranch_execz .LBB351_249
; %bb.244:                              ;   in Loop: Header=BB351_15 Depth=1
	v_and_b32_e32 v1, 0x7f, v28
	v_mov_b32_e32 v77, 0x7f800001
	s_mov_b32 s22, exec_lo
	v_cmpx_ne_u32_e32 0x7f, v1
	s_cbranch_execz .LBB351_248
; %bb.245:                              ;   in Loop: Header=BB351_15 Depth=1
	v_mov_b32_e32 v30, v14
	v_lshrrev_b32_e32 v0, 3, v1
	v_mov_b32_e32 v29, v13
	s_mov_b32 s23, exec_lo
	v_cmpx_gt_u32_e32 8, v1
; %bb.246:                              ;   in Loop: Header=BB351_15 Depth=1
	v_and_b32_e32 v0, 7, v28
	v_ffbh_u32_e32 v0, v0
	v_min_u32_e32 v0, 32, v0
	v_subrev_nc_u32_e32 v1, 28, v0
	v_sub_nc_u32_e32 v0, 29, v0
	v_lshlrev_b64 v[29:30], v1, v[13:14]
; %bb.247:                              ;   in Loop: Header=BB351_15 Depth=1
	s_or_b32 exec_lo, exec_lo, s23
	v_lshlrev_b32_e32 v1, 20, v29
	v_lshlrev_b32_e32 v2, 24, v13
	v_lshl_add_u32 v0, v0, 23, 0x3c000000
	v_and_b32_e32 v1, 0x700000, v1
	v_and_b32_e32 v2, 0x80000000, v2
	v_or3_b32 v77, v1, v2, v0
.LBB351_248:                            ;   in Loop: Header=BB351_15 Depth=1
	s_or_b32 exec_lo, exec_lo, s22
.LBB351_249:                            ;   in Loop: Header=BB351_15 Depth=1
	s_or_b32 exec_lo, exec_lo, s21
.LBB351_250:                            ;   in Loop: Header=BB351_15 Depth=1
	s_or_b32 exec_lo, exec_lo, s20
	v_cmp_ne_u16_sdwa s5, v13, v14 src0_sel:BYTE_1 src1_sel:DWORD
	s_and_saveexec_b32 s20, s5
	s_cbranch_execz .LBB351_258
; %bb.251:                              ;   in Loop: Header=BB351_15 Depth=1
	v_cmp_ne_u16_sdwa s5, v13, v98 src0_sel:BYTE_1 src1_sel:DWORD
	v_bfrev_b32_e32 v78, 1
	s_and_saveexec_b32 s21, s5
	s_cbranch_execz .LBB351_257
; %bb.252:                              ;   in Loop: Header=BB351_15 Depth=1
	v_mov_b32_e32 v0, 0xffff
	v_mov_b32_e32 v78, 0x7f800001
	s_mov_b32 s22, exec_lo
	v_and_b32_sdwa v0, v0, v13 dst_sel:DWORD dst_unused:UNUSED_PAD src0_sel:DWORD src1_sel:BYTE_1
	v_and_b32_e32 v1, 0x7f, v0
	v_cmpx_ne_u32_e32 0x7f, v1
	s_cbranch_execz .LBB351_256
; %bb.253:                              ;   in Loop: Header=BB351_15 Depth=1
	v_and_b32_e32 v29, 7, v0
	v_mov_b32_e32 v30, v14
	v_lshrrev_b32_e32 v0, 3, v1
	s_mov_b32 s23, exec_lo
	v_cmpx_gt_u32_e32 8, v1
; %bb.254:                              ;   in Loop: Header=BB351_15 Depth=1
	v_ffbh_u32_e32 v0, v29
	v_min_u32_e32 v0, 32, v0
	v_subrev_nc_u32_e32 v1, 28, v0
	v_sub_nc_u32_e32 v0, 29, v0
	v_lshlrev_b64 v[1:2], v1, v[29:30]
	v_and_b32_e32 v29, 7, v1
; %bb.255:                              ;   in Loop: Header=BB351_15 Depth=1
	s_or_b32 exec_lo, exec_lo, s23
	v_lshlrev_b32_e32 v1, 16, v13
	v_lshlrev_b32_e32 v2, 20, v29
	v_lshl_add_u32 v0, v0, 23, 0x3c000000
	v_and_b32_e32 v1, 0x80000000, v1
	v_or3_b32 v78, v2, v1, v0
.LBB351_256:                            ;   in Loop: Header=BB351_15 Depth=1
	s_or_b32 exec_lo, exec_lo, s22
.LBB351_257:                            ;   in Loop: Header=BB351_15 Depth=1
	s_or_b32 exec_lo, exec_lo, s21
.LBB351_258:                            ;   in Loop: Header=BB351_15 Depth=1
	s_or_b32 exec_lo, exec_lo, s20
	v_and_b32_sdwa v0, v28, v5 dst_sel:DWORD dst_unused:UNUSED_PAD src0_sel:WORD_1 src1_sel:DWORD
	v_mov_b32_e32 v79, 0
	v_mov_b32_e32 v88, 0
	s_mov_b32 s20, exec_lo
	v_cmpx_ne_u16_e32 0, v0
	s_cbranch_execz .LBB351_266
; %bb.259:                              ;   in Loop: Header=BB351_15 Depth=1
	v_bfrev_b32_e32 v88, 1
	s_mov_b32 s21, exec_lo
	v_cmpx_ne_u16_e32 0x80, v0
	s_cbranch_execz .LBB351_265
; %bb.260:                              ;   in Loop: Header=BB351_15 Depth=1
	v_bfe_u32 v1, v28, 16, 7
	v_mov_b32_e32 v88, 0x7f800001
	s_mov_b32 s22, exec_lo
	v_cmpx_ne_u32_e32 0x7f, v1
	s_cbranch_execz .LBB351_264
; %bb.261:                              ;   in Loop: Header=BB351_15 Depth=1
	v_mov_b32_e32 v0, 7
	s_mov_b32 s23, exec_lo
	v_and_b32_sdwa v13, v28, v0 dst_sel:DWORD dst_unused:UNUSED_PAD src0_sel:WORD_1 src1_sel:DWORD
	v_mov_b32_e32 v30, v14
	v_lshrrev_b32_e32 v0, 3, v1
	v_mov_b32_e32 v29, v13
	v_cmpx_gt_u32_e32 8, v1
; %bb.262:                              ;   in Loop: Header=BB351_15 Depth=1
	v_ffbh_u32_e32 v0, v13
	v_min_u32_e32 v0, 32, v0
	v_subrev_nc_u32_e32 v1, 28, v0
	v_sub_nc_u32_e32 v0, 29, v0
	v_lshlrev_b64 v[1:2], v1, v[13:14]
	v_and_b32_e32 v29, 7, v1
; %bb.263:                              ;   in Loop: Header=BB351_15 Depth=1
	s_or_b32 exec_lo, exec_lo, s23
	v_mov_b32_e32 v1, 24
	v_lshlrev_b32_e32 v2, 20, v29
	v_lshl_add_u32 v0, v0, 23, 0x3c000000
	v_lshlrev_b32_sdwa v1, v1, v28 dst_sel:DWORD dst_unused:UNUSED_PAD src0_sel:DWORD src1_sel:WORD_1
	v_and_b32_e32 v1, 0x80000000, v1
	v_or3_b32 v88, v2, v1, v0
.LBB351_264:                            ;   in Loop: Header=BB351_15 Depth=1
	s_or_b32 exec_lo, exec_lo, s22
.LBB351_265:                            ;   in Loop: Header=BB351_15 Depth=1
	s_or_b32 exec_lo, exec_lo, s21
.LBB351_266:                            ;   in Loop: Header=BB351_15 Depth=1
	s_or_b32 exec_lo, exec_lo, s20
	s_mov_b32 s20, exec_lo
	v_cmpx_lt_u64_e64 s[12:13], v[27:28]
	s_cbranch_execz .LBB351_274
; %bb.267:                              ;   in Loop: Header=BB351_15 Depth=1
	v_cmp_ne_u32_sdwa s5, v28, v98 src0_sel:BYTE_3 src1_sel:DWORD
	v_bfrev_b32_e32 v79, 1
	s_and_saveexec_b32 s21, s5
	s_cbranch_execz .LBB351_273
; %bb.268:                              ;   in Loop: Header=BB351_15 Depth=1
	v_bfe_u32 v1, v28, 24, 7
	v_mov_b32_e32 v79, 0x7f800001
	s_mov_b32 s22, exec_lo
	v_cmpx_ne_u32_e32 0x7f, v1
	s_cbranch_execz .LBB351_272
; %bb.269:                              ;   in Loop: Header=BB351_15 Depth=1
	v_mov_b32_e32 v0, 7
	s_mov_b32 s23, exec_lo
	v_and_b32_sdwa v13, v28, v0 dst_sel:DWORD dst_unused:UNUSED_PAD src0_sel:BYTE_3 src1_sel:DWORD
	v_mov_b32_e32 v30, v14
	v_lshrrev_b32_e32 v0, 3, v1
	v_mov_b32_e32 v29, v13
	v_cmpx_gt_u32_e32 8, v1
; %bb.270:                              ;   in Loop: Header=BB351_15 Depth=1
	v_ffbh_u32_e32 v0, v13
	v_min_u32_e32 v0, 32, v0
	v_subrev_nc_u32_e32 v1, 28, v0
	v_sub_nc_u32_e32 v0, 29, v0
	v_lshlrev_b64 v[1:2], v1, v[13:14]
	v_and_b32_e32 v29, 7, v1
; %bb.271:                              ;   in Loop: Header=BB351_15 Depth=1
	s_or_b32 exec_lo, exec_lo, s23
	v_mov_b32_e32 v1, 24
	v_lshlrev_b32_e32 v2, 20, v29
	v_lshl_add_u32 v0, v0, 23, 0x3c000000
	v_lshlrev_b32_sdwa v1, v1, v28 dst_sel:DWORD dst_unused:UNUSED_PAD src0_sel:DWORD src1_sel:BYTE_3
	v_and_b32_e32 v1, 0x80000000, v1
	v_or3_b32 v79, v2, v1, v0
.LBB351_272:                            ;   in Loop: Header=BB351_15 Depth=1
	s_or_b32 exec_lo, exec_lo, s22
.LBB351_273:                            ;   in Loop: Header=BB351_15 Depth=1
	s_or_b32 exec_lo, exec_lo, s21
.LBB351_274:                            ;   in Loop: Header=BB351_15 Depth=1
	s_or_b32 exec_lo, exec_lo, s20
	flat_load_dwordx2 v[27:28], v[24:25] offset:1024
	v_mov_b32_e32 v90, 0
	v_mov_b32_e32 v89, 0
	s_waitcnt vmcnt(0) lgkmcnt(0)
	v_cmp_ne_u16_sdwa s5, v27, v14 src0_sel:BYTE_0 src1_sel:DWORD
	s_and_saveexec_b32 s20, s5
	s_cbranch_execz .LBB351_282
; %bb.275:                              ;   in Loop: Header=BB351_15 Depth=1
	v_cmp_ne_u16_sdwa s5, v27, v98 src0_sel:BYTE_0 src1_sel:DWORD
	v_bfrev_b32_e32 v89, 1
	s_and_saveexec_b32 s21, s5
	s_cbranch_execz .LBB351_281
; %bb.276:                              ;   in Loop: Header=BB351_15 Depth=1
	v_and_b32_e32 v1, 0x7f, v27
	v_mov_b32_e32 v89, 0x7f800001
	s_mov_b32 s22, exec_lo
	v_cmpx_ne_u32_e32 0x7f, v1
	s_cbranch_execz .LBB351_280
; %bb.277:                              ;   in Loop: Header=BB351_15 Depth=1
	v_mov_b32_e32 v30, v28
	v_lshrrev_b32_e32 v0, 3, v1
	v_mov_b32_e32 v29, v27
	s_mov_b32 s23, exec_lo
	v_cmpx_gt_u32_e32 8, v1
; %bb.278:                              ;   in Loop: Header=BB351_15 Depth=1
	v_and_b32_e32 v0, 7, v27
	v_ffbh_u32_e32 v0, v0
	v_min_u32_e32 v0, 32, v0
	v_subrev_nc_u32_e32 v1, 28, v0
	v_sub_nc_u32_e32 v0, 29, v0
	v_lshlrev_b64 v[29:30], v1, v[27:28]
; %bb.279:                              ;   in Loop: Header=BB351_15 Depth=1
	s_or_b32 exec_lo, exec_lo, s23
	v_lshlrev_b32_e32 v1, 20, v29
	v_lshlrev_b32_e32 v2, 24, v27
	v_lshl_add_u32 v0, v0, 23, 0x3c000000
	v_and_b32_e32 v1, 0x700000, v1
	v_and_b32_e32 v2, 0x80000000, v2
	v_or3_b32 v89, v1, v2, v0
.LBB351_280:                            ;   in Loop: Header=BB351_15 Depth=1
	s_or_b32 exec_lo, exec_lo, s22
.LBB351_281:                            ;   in Loop: Header=BB351_15 Depth=1
	s_or_b32 exec_lo, exec_lo, s21
.LBB351_282:                            ;   in Loop: Header=BB351_15 Depth=1
	s_or_b32 exec_lo, exec_lo, s20
	v_cmp_ne_u16_sdwa s5, v27, v14 src0_sel:BYTE_1 src1_sel:DWORD
	s_and_saveexec_b32 s20, s5
	s_cbranch_execz .LBB351_290
; %bb.283:                              ;   in Loop: Header=BB351_15 Depth=1
	v_cmp_ne_u16_sdwa s5, v27, v98 src0_sel:BYTE_1 src1_sel:DWORD
	v_bfrev_b32_e32 v90, 1
	s_and_saveexec_b32 s21, s5
	s_cbranch_execz .LBB351_289
; %bb.284:                              ;   in Loop: Header=BB351_15 Depth=1
	v_mov_b32_e32 v0, 0xffff
	v_mov_b32_e32 v90, 0x7f800001
	s_mov_b32 s22, exec_lo
	v_and_b32_sdwa v0, v0, v27 dst_sel:DWORD dst_unused:UNUSED_PAD src0_sel:DWORD src1_sel:BYTE_1
	v_and_b32_e32 v1, 0x7f, v0
	v_cmpx_ne_u32_e32 0x7f, v1
	s_cbranch_execz .LBB351_288
; %bb.285:                              ;   in Loop: Header=BB351_15 Depth=1
	v_and_b32_e32 v13, 7, v0
	v_mov_b32_e32 v30, v14
	v_lshrrev_b32_e32 v0, 3, v1
	s_mov_b32 s23, exec_lo
	v_mov_b32_e32 v29, v13
	v_cmpx_gt_u32_e32 8, v1
; %bb.286:                              ;   in Loop: Header=BB351_15 Depth=1
	v_ffbh_u32_e32 v0, v13
	v_min_u32_e32 v0, 32, v0
	v_subrev_nc_u32_e32 v1, 28, v0
	v_sub_nc_u32_e32 v0, 29, v0
	v_lshlrev_b64 v[1:2], v1, v[13:14]
	v_and_b32_e32 v29, 7, v1
; %bb.287:                              ;   in Loop: Header=BB351_15 Depth=1
	s_or_b32 exec_lo, exec_lo, s23
	v_lshlrev_b32_e32 v1, 16, v27
	v_lshlrev_b32_e32 v2, 20, v29
	v_lshl_add_u32 v0, v0, 23, 0x3c000000
	v_and_b32_e32 v1, 0x80000000, v1
	v_or3_b32 v90, v2, v1, v0
.LBB351_288:                            ;   in Loop: Header=BB351_15 Depth=1
	s_or_b32 exec_lo, exec_lo, s22
.LBB351_289:                            ;   in Loop: Header=BB351_15 Depth=1
	s_or_b32 exec_lo, exec_lo, s21
.LBB351_290:                            ;   in Loop: Header=BB351_15 Depth=1
	s_or_b32 exec_lo, exec_lo, s20
	v_and_b32_sdwa v0, v27, v5 dst_sel:DWORD dst_unused:UNUSED_PAD src0_sel:WORD_1 src1_sel:DWORD
	v_mov_b32_e32 v92, 0
	v_mov_b32_e32 v91, 0
	s_mov_b32 s20, exec_lo
	v_cmpx_ne_u16_e32 0, v0
	s_cbranch_execz .LBB351_298
; %bb.291:                              ;   in Loop: Header=BB351_15 Depth=1
	v_bfrev_b32_e32 v91, 1
	s_mov_b32 s21, exec_lo
	v_cmpx_ne_u16_e32 0x80, v0
	s_cbranch_execz .LBB351_297
; %bb.292:                              ;   in Loop: Header=BB351_15 Depth=1
	v_bfe_u32 v1, v27, 16, 7
	v_mov_b32_e32 v91, 0x7f800001
	s_mov_b32 s22, exec_lo
	v_cmpx_ne_u32_e32 0x7f, v1
	s_cbranch_execz .LBB351_296
; %bb.293:                              ;   in Loop: Header=BB351_15 Depth=1
	v_mov_b32_e32 v0, 7
	s_mov_b32 s23, exec_lo
	v_and_b32_sdwa v13, v27, v0 dst_sel:DWORD dst_unused:UNUSED_PAD src0_sel:WORD_1 src1_sel:DWORD
	v_mov_b32_e32 v30, v14
	v_lshrrev_b32_e32 v0, 3, v1
	v_mov_b32_e32 v29, v13
	v_cmpx_gt_u32_e32 8, v1
; %bb.294:                              ;   in Loop: Header=BB351_15 Depth=1
	v_ffbh_u32_e32 v0, v13
	v_min_u32_e32 v0, 32, v0
	v_subrev_nc_u32_e32 v1, 28, v0
	v_sub_nc_u32_e32 v0, 29, v0
	v_lshlrev_b64 v[1:2], v1, v[13:14]
	v_and_b32_e32 v29, 7, v1
; %bb.295:                              ;   in Loop: Header=BB351_15 Depth=1
	s_or_b32 exec_lo, exec_lo, s23
	v_mov_b32_e32 v1, 24
	v_lshlrev_b32_e32 v2, 20, v29
	v_lshl_add_u32 v0, v0, 23, 0x3c000000
	v_lshlrev_b32_sdwa v1, v1, v27 dst_sel:DWORD dst_unused:UNUSED_PAD src0_sel:DWORD src1_sel:WORD_1
	v_and_b32_e32 v1, 0x80000000, v1
	v_or3_b32 v91, v2, v1, v0
.LBB351_296:                            ;   in Loop: Header=BB351_15 Depth=1
	s_or_b32 exec_lo, exec_lo, s22
.LBB351_297:                            ;   in Loop: Header=BB351_15 Depth=1
	s_or_b32 exec_lo, exec_lo, s21
.LBB351_298:                            ;   in Loop: Header=BB351_15 Depth=1
	s_or_b32 exec_lo, exec_lo, s20
	s_mov_b32 s20, exec_lo
	v_cmpx_lt_u32_e32 0xffffff, v27
	s_cbranch_execz .LBB351_306
; %bb.299:                              ;   in Loop: Header=BB351_15 Depth=1
	v_cmp_ne_u32_sdwa s5, v27, v98 src0_sel:BYTE_3 src1_sel:DWORD
	v_bfrev_b32_e32 v92, 1
	s_and_saveexec_b32 s21, s5
	s_cbranch_execz .LBB351_305
; %bb.300:                              ;   in Loop: Header=BB351_15 Depth=1
	v_bfe_u32 v1, v27, 24, 7
	v_mov_b32_e32 v92, 0x7f800001
	s_mov_b32 s22, exec_lo
	v_cmpx_ne_u32_e32 0x7f, v1
	s_cbranch_execz .LBB351_304
; %bb.301:                              ;   in Loop: Header=BB351_15 Depth=1
	v_mov_b32_e32 v0, 7
	s_mov_b32 s23, exec_lo
	v_and_b32_sdwa v13, v27, v0 dst_sel:DWORD dst_unused:UNUSED_PAD src0_sel:BYTE_3 src1_sel:DWORD
	v_mov_b32_e32 v30, v14
	v_lshrrev_b32_e32 v0, 3, v1
	v_mov_b32_e32 v29, v13
	v_cmpx_gt_u32_e32 8, v1
; %bb.302:                              ;   in Loop: Header=BB351_15 Depth=1
	v_ffbh_u32_e32 v0, v13
	v_min_u32_e32 v0, 32, v0
	v_subrev_nc_u32_e32 v1, 28, v0
	v_sub_nc_u32_e32 v0, 29, v0
	v_lshlrev_b64 v[1:2], v1, v[13:14]
	v_and_b32_e32 v29, 7, v1
; %bb.303:                              ;   in Loop: Header=BB351_15 Depth=1
	s_or_b32 exec_lo, exec_lo, s23
	v_mov_b32_e32 v1, 24
	v_lshlrev_b32_e32 v2, 20, v29
	v_lshl_add_u32 v0, v0, 23, 0x3c000000
	v_lshlrev_b32_sdwa v1, v1, v27 dst_sel:DWORD dst_unused:UNUSED_PAD src0_sel:DWORD src1_sel:BYTE_3
	v_and_b32_e32 v1, 0x80000000, v1
	v_or3_b32 v92, v2, v1, v0
.LBB351_304:                            ;   in Loop: Header=BB351_15 Depth=1
	s_or_b32 exec_lo, exec_lo, s22
.LBB351_305:                            ;   in Loop: Header=BB351_15 Depth=1
	s_or_b32 exec_lo, exec_lo, s21
.LBB351_306:                            ;   in Loop: Header=BB351_15 Depth=1
	s_or_b32 exec_lo, exec_lo, s20
	v_mov_b32_e32 v13, v28
	v_cmp_ne_u16_sdwa s5, v28, v14 src0_sel:BYTE_0 src1_sel:DWORD
	v_mov_b32_e32 v94, 0
	v_mov_b32_e32 v93, 0
	s_and_saveexec_b32 s20, s5
	s_cbranch_execz .LBB351_314
; %bb.307:                              ;   in Loop: Header=BB351_15 Depth=1
	v_cmp_ne_u16_sdwa s5, v28, v98 src0_sel:BYTE_0 src1_sel:DWORD
	v_bfrev_b32_e32 v93, 1
	s_and_saveexec_b32 s21, s5
	s_cbranch_execz .LBB351_313
; %bb.308:                              ;   in Loop: Header=BB351_15 Depth=1
	v_and_b32_e32 v1, 0x7f, v28
	v_mov_b32_e32 v93, 0x7f800001
	s_mov_b32 s22, exec_lo
	v_cmpx_ne_u32_e32 0x7f, v1
	s_cbranch_execz .LBB351_312
; %bb.309:                              ;   in Loop: Header=BB351_15 Depth=1
	v_mov_b32_e32 v30, v14
	v_lshrrev_b32_e32 v0, 3, v1
	v_mov_b32_e32 v29, v13
	s_mov_b32 s23, exec_lo
	v_cmpx_gt_u32_e32 8, v1
; %bb.310:                              ;   in Loop: Header=BB351_15 Depth=1
	v_and_b32_e32 v0, 7, v28
	v_ffbh_u32_e32 v0, v0
	v_min_u32_e32 v0, 32, v0
	v_subrev_nc_u32_e32 v1, 28, v0
	v_sub_nc_u32_e32 v0, 29, v0
	v_lshlrev_b64 v[29:30], v1, v[13:14]
; %bb.311:                              ;   in Loop: Header=BB351_15 Depth=1
	s_or_b32 exec_lo, exec_lo, s23
	v_lshlrev_b32_e32 v1, 20, v29
	v_lshlrev_b32_e32 v2, 24, v13
	v_lshl_add_u32 v0, v0, 23, 0x3c000000
	v_and_b32_e32 v1, 0x700000, v1
	v_and_b32_e32 v2, 0x80000000, v2
	v_or3_b32 v93, v1, v2, v0
.LBB351_312:                            ;   in Loop: Header=BB351_15 Depth=1
	s_or_b32 exec_lo, exec_lo, s22
.LBB351_313:                            ;   in Loop: Header=BB351_15 Depth=1
	s_or_b32 exec_lo, exec_lo, s21
.LBB351_314:                            ;   in Loop: Header=BB351_15 Depth=1
	s_or_b32 exec_lo, exec_lo, s20
	v_cmp_ne_u16_sdwa s5, v13, v14 src0_sel:BYTE_1 src1_sel:DWORD
	s_and_saveexec_b32 s20, s5
	s_cbranch_execz .LBB351_322
; %bb.315:                              ;   in Loop: Header=BB351_15 Depth=1
	v_cmp_ne_u16_sdwa s5, v13, v98 src0_sel:BYTE_1 src1_sel:DWORD
	v_bfrev_b32_e32 v94, 1
	s_and_saveexec_b32 s21, s5
	s_cbranch_execz .LBB351_321
; %bb.316:                              ;   in Loop: Header=BB351_15 Depth=1
	v_mov_b32_e32 v0, 0xffff
	v_mov_b32_e32 v94, 0x7f800001
	s_mov_b32 s22, exec_lo
	v_and_b32_sdwa v0, v0, v13 dst_sel:DWORD dst_unused:UNUSED_PAD src0_sel:DWORD src1_sel:BYTE_1
	v_and_b32_e32 v1, 0x7f, v0
	v_cmpx_ne_u32_e32 0x7f, v1
	s_cbranch_execz .LBB351_320
; %bb.317:                              ;   in Loop: Header=BB351_15 Depth=1
	v_and_b32_e32 v29, 7, v0
	v_mov_b32_e32 v30, v14
	v_lshrrev_b32_e32 v0, 3, v1
	s_mov_b32 s23, exec_lo
	v_cmpx_gt_u32_e32 8, v1
; %bb.318:                              ;   in Loop: Header=BB351_15 Depth=1
	v_ffbh_u32_e32 v0, v29
	v_min_u32_e32 v0, 32, v0
	v_subrev_nc_u32_e32 v1, 28, v0
	v_sub_nc_u32_e32 v0, 29, v0
	v_lshlrev_b64 v[1:2], v1, v[29:30]
	v_and_b32_e32 v29, 7, v1
; %bb.319:                              ;   in Loop: Header=BB351_15 Depth=1
	s_or_b32 exec_lo, exec_lo, s23
	v_lshlrev_b32_e32 v1, 16, v13
	v_lshlrev_b32_e32 v2, 20, v29
	v_lshl_add_u32 v0, v0, 23, 0x3c000000
	v_and_b32_e32 v1, 0x80000000, v1
	v_or3_b32 v94, v2, v1, v0
.LBB351_320:                            ;   in Loop: Header=BB351_15 Depth=1
	s_or_b32 exec_lo, exec_lo, s22
.LBB351_321:                            ;   in Loop: Header=BB351_15 Depth=1
	s_or_b32 exec_lo, exec_lo, s21
.LBB351_322:                            ;   in Loop: Header=BB351_15 Depth=1
	s_or_b32 exec_lo, exec_lo, s20
	v_and_b32_sdwa v0, v28, v5 dst_sel:DWORD dst_unused:UNUSED_PAD src0_sel:WORD_1 src1_sel:DWORD
	v_mov_b32_e32 v95, 0
	v_mov_b32_e32 v104, 0
	s_mov_b32 s20, exec_lo
	v_cmpx_ne_u16_e32 0, v0
	s_cbranch_execz .LBB351_330
; %bb.323:                              ;   in Loop: Header=BB351_15 Depth=1
	v_bfrev_b32_e32 v104, 1
	s_mov_b32 s21, exec_lo
	v_cmpx_ne_u16_e32 0x80, v0
	s_cbranch_execz .LBB351_329
; %bb.324:                              ;   in Loop: Header=BB351_15 Depth=1
	v_bfe_u32 v1, v28, 16, 7
	v_mov_b32_e32 v104, 0x7f800001
	s_mov_b32 s22, exec_lo
	v_cmpx_ne_u32_e32 0x7f, v1
	s_cbranch_execz .LBB351_328
; %bb.325:                              ;   in Loop: Header=BB351_15 Depth=1
	v_mov_b32_e32 v0, 7
	s_mov_b32 s23, exec_lo
	v_and_b32_sdwa v13, v28, v0 dst_sel:DWORD dst_unused:UNUSED_PAD src0_sel:WORD_1 src1_sel:DWORD
	v_mov_b32_e32 v30, v14
	v_lshrrev_b32_e32 v0, 3, v1
	v_mov_b32_e32 v29, v13
	v_cmpx_gt_u32_e32 8, v1
; %bb.326:                              ;   in Loop: Header=BB351_15 Depth=1
	v_ffbh_u32_e32 v0, v13
	v_min_u32_e32 v0, 32, v0
	v_subrev_nc_u32_e32 v1, 28, v0
	v_sub_nc_u32_e32 v0, 29, v0
	v_lshlrev_b64 v[1:2], v1, v[13:14]
	v_and_b32_e32 v29, 7, v1
; %bb.327:                              ;   in Loop: Header=BB351_15 Depth=1
	s_or_b32 exec_lo, exec_lo, s23
	v_mov_b32_e32 v1, 24
	v_lshlrev_b32_e32 v2, 20, v29
	v_lshl_add_u32 v0, v0, 23, 0x3c000000
	v_lshlrev_b32_sdwa v1, v1, v28 dst_sel:DWORD dst_unused:UNUSED_PAD src0_sel:DWORD src1_sel:WORD_1
	v_and_b32_e32 v1, 0x80000000, v1
	v_or3_b32 v104, v2, v1, v0
.LBB351_328:                            ;   in Loop: Header=BB351_15 Depth=1
	s_or_b32 exec_lo, exec_lo, s22
.LBB351_329:                            ;   in Loop: Header=BB351_15 Depth=1
	s_or_b32 exec_lo, exec_lo, s21
.LBB351_330:                            ;   in Loop: Header=BB351_15 Depth=1
	s_or_b32 exec_lo, exec_lo, s20
	s_mov_b32 s20, exec_lo
	v_cmpx_lt_u64_e64 s[12:13], v[27:28]
	s_cbranch_execz .LBB351_338
; %bb.331:                              ;   in Loop: Header=BB351_15 Depth=1
	v_cmp_ne_u32_sdwa s5, v28, v98 src0_sel:BYTE_3 src1_sel:DWORD
	v_bfrev_b32_e32 v95, 1
	s_and_saveexec_b32 s21, s5
	s_cbranch_execz .LBB351_337
; %bb.332:                              ;   in Loop: Header=BB351_15 Depth=1
	v_bfe_u32 v1, v28, 24, 7
	v_mov_b32_e32 v95, 0x7f800001
	s_mov_b32 s22, exec_lo
	v_cmpx_ne_u32_e32 0x7f, v1
	s_cbranch_execz .LBB351_336
; %bb.333:                              ;   in Loop: Header=BB351_15 Depth=1
	v_mov_b32_e32 v0, 7
	s_mov_b32 s23, exec_lo
	v_and_b32_sdwa v13, v28, v0 dst_sel:DWORD dst_unused:UNUSED_PAD src0_sel:BYTE_3 src1_sel:DWORD
	v_mov_b32_e32 v30, v14
	v_lshrrev_b32_e32 v0, 3, v1
	v_mov_b32_e32 v29, v13
	v_cmpx_gt_u32_e32 8, v1
; %bb.334:                              ;   in Loop: Header=BB351_15 Depth=1
	v_ffbh_u32_e32 v0, v13
	v_min_u32_e32 v0, 32, v0
	v_subrev_nc_u32_e32 v1, 28, v0
	v_sub_nc_u32_e32 v0, 29, v0
	v_lshlrev_b64 v[1:2], v1, v[13:14]
	v_and_b32_e32 v29, 7, v1
; %bb.335:                              ;   in Loop: Header=BB351_15 Depth=1
	s_or_b32 exec_lo, exec_lo, s23
	v_mov_b32_e32 v1, 24
	v_lshlrev_b32_e32 v2, 20, v29
	v_lshl_add_u32 v0, v0, 23, 0x3c000000
	v_lshlrev_b32_sdwa v1, v1, v28 dst_sel:DWORD dst_unused:UNUSED_PAD src0_sel:DWORD src1_sel:BYTE_3
	v_and_b32_e32 v1, 0x80000000, v1
	v_or3_b32 v95, v2, v1, v0
.LBB351_336:                            ;   in Loop: Header=BB351_15 Depth=1
	s_or_b32 exec_lo, exec_lo, s22
.LBB351_337:                            ;   in Loop: Header=BB351_15 Depth=1
	s_or_b32 exec_lo, exec_lo, s21
.LBB351_338:                            ;   in Loop: Header=BB351_15 Depth=1
	s_or_b32 exec_lo, exec_lo, s20
	flat_load_dwordx2 v[27:28], v[24:25] offset:1032
	v_mov_b32_e32 v106, 0
	v_mov_b32_e32 v105, 0
	s_waitcnt vmcnt(0) lgkmcnt(0)
	v_cmp_ne_u16_sdwa s5, v27, v14 src0_sel:BYTE_0 src1_sel:DWORD
	s_and_saveexec_b32 s20, s5
	s_cbranch_execz .LBB351_346
; %bb.339:                              ;   in Loop: Header=BB351_15 Depth=1
	v_cmp_ne_u16_sdwa s5, v27, v98 src0_sel:BYTE_0 src1_sel:DWORD
	v_bfrev_b32_e32 v105, 1
	s_and_saveexec_b32 s21, s5
	s_cbranch_execz .LBB351_345
; %bb.340:                              ;   in Loop: Header=BB351_15 Depth=1
	v_and_b32_e32 v1, 0x7f, v27
	v_mov_b32_e32 v105, 0x7f800001
	s_mov_b32 s22, exec_lo
	v_cmpx_ne_u32_e32 0x7f, v1
	s_cbranch_execz .LBB351_344
; %bb.341:                              ;   in Loop: Header=BB351_15 Depth=1
	v_mov_b32_e32 v30, v28
	v_lshrrev_b32_e32 v0, 3, v1
	v_mov_b32_e32 v29, v27
	s_mov_b32 s23, exec_lo
	v_cmpx_gt_u32_e32 8, v1
; %bb.342:                              ;   in Loop: Header=BB351_15 Depth=1
	v_and_b32_e32 v0, 7, v27
	v_ffbh_u32_e32 v0, v0
	v_min_u32_e32 v0, 32, v0
	v_subrev_nc_u32_e32 v1, 28, v0
	v_sub_nc_u32_e32 v0, 29, v0
	v_lshlrev_b64 v[29:30], v1, v[27:28]
; %bb.343:                              ;   in Loop: Header=BB351_15 Depth=1
	s_or_b32 exec_lo, exec_lo, s23
	v_lshlrev_b32_e32 v1, 20, v29
	v_lshlrev_b32_e32 v2, 24, v27
	v_lshl_add_u32 v0, v0, 23, 0x3c000000
	v_and_b32_e32 v1, 0x700000, v1
	v_and_b32_e32 v2, 0x80000000, v2
	v_or3_b32 v105, v1, v2, v0
.LBB351_344:                            ;   in Loop: Header=BB351_15 Depth=1
	s_or_b32 exec_lo, exec_lo, s22
.LBB351_345:                            ;   in Loop: Header=BB351_15 Depth=1
	s_or_b32 exec_lo, exec_lo, s21
.LBB351_346:                            ;   in Loop: Header=BB351_15 Depth=1
	s_or_b32 exec_lo, exec_lo, s20
	v_cmp_ne_u16_sdwa s5, v27, v14 src0_sel:BYTE_1 src1_sel:DWORD
	s_and_saveexec_b32 s20, s5
	s_cbranch_execz .LBB351_354
; %bb.347:                              ;   in Loop: Header=BB351_15 Depth=1
	v_cmp_ne_u16_sdwa s5, v27, v98 src0_sel:BYTE_1 src1_sel:DWORD
	v_bfrev_b32_e32 v106, 1
	s_and_saveexec_b32 s21, s5
	s_cbranch_execz .LBB351_353
; %bb.348:                              ;   in Loop: Header=BB351_15 Depth=1
	v_mov_b32_e32 v0, 0xffff
	v_mov_b32_e32 v106, 0x7f800001
	s_mov_b32 s22, exec_lo
	v_and_b32_sdwa v0, v0, v27 dst_sel:DWORD dst_unused:UNUSED_PAD src0_sel:DWORD src1_sel:BYTE_1
	v_and_b32_e32 v1, 0x7f, v0
	v_cmpx_ne_u32_e32 0x7f, v1
	s_cbranch_execz .LBB351_352
; %bb.349:                              ;   in Loop: Header=BB351_15 Depth=1
	v_and_b32_e32 v13, 7, v0
	v_mov_b32_e32 v30, v14
	v_lshrrev_b32_e32 v0, 3, v1
	s_mov_b32 s23, exec_lo
	v_mov_b32_e32 v29, v13
	v_cmpx_gt_u32_e32 8, v1
; %bb.350:                              ;   in Loop: Header=BB351_15 Depth=1
	v_ffbh_u32_e32 v0, v13
	v_min_u32_e32 v0, 32, v0
	v_subrev_nc_u32_e32 v1, 28, v0
	v_sub_nc_u32_e32 v0, 29, v0
	v_lshlrev_b64 v[1:2], v1, v[13:14]
	v_and_b32_e32 v29, 7, v1
; %bb.351:                              ;   in Loop: Header=BB351_15 Depth=1
	s_or_b32 exec_lo, exec_lo, s23
	v_lshlrev_b32_e32 v1, 16, v27
	v_lshlrev_b32_e32 v2, 20, v29
	v_lshl_add_u32 v0, v0, 23, 0x3c000000
	v_and_b32_e32 v1, 0x80000000, v1
	v_or3_b32 v106, v2, v1, v0
.LBB351_352:                            ;   in Loop: Header=BB351_15 Depth=1
	s_or_b32 exec_lo, exec_lo, s22
.LBB351_353:                            ;   in Loop: Header=BB351_15 Depth=1
	s_or_b32 exec_lo, exec_lo, s21
.LBB351_354:                            ;   in Loop: Header=BB351_15 Depth=1
	s_or_b32 exec_lo, exec_lo, s20
	v_and_b32_sdwa v0, v27, v5 dst_sel:DWORD dst_unused:UNUSED_PAD src0_sel:WORD_1 src1_sel:DWORD
	v_mov_b32_e32 v108, 0
	v_mov_b32_e32 v107, 0
	s_mov_b32 s20, exec_lo
	v_cmpx_ne_u16_e32 0, v0
	s_cbranch_execz .LBB351_362
; %bb.355:                              ;   in Loop: Header=BB351_15 Depth=1
	v_bfrev_b32_e32 v107, 1
	s_mov_b32 s21, exec_lo
	v_cmpx_ne_u16_e32 0x80, v0
	s_cbranch_execz .LBB351_361
; %bb.356:                              ;   in Loop: Header=BB351_15 Depth=1
	v_bfe_u32 v1, v27, 16, 7
	v_mov_b32_e32 v107, 0x7f800001
	s_mov_b32 s22, exec_lo
	v_cmpx_ne_u32_e32 0x7f, v1
	s_cbranch_execz .LBB351_360
; %bb.357:                              ;   in Loop: Header=BB351_15 Depth=1
	v_mov_b32_e32 v0, 7
	s_mov_b32 s23, exec_lo
	v_and_b32_sdwa v13, v27, v0 dst_sel:DWORD dst_unused:UNUSED_PAD src0_sel:WORD_1 src1_sel:DWORD
	v_mov_b32_e32 v30, v14
	v_lshrrev_b32_e32 v0, 3, v1
	v_mov_b32_e32 v29, v13
	v_cmpx_gt_u32_e32 8, v1
; %bb.358:                              ;   in Loop: Header=BB351_15 Depth=1
	v_ffbh_u32_e32 v0, v13
	v_min_u32_e32 v0, 32, v0
	v_subrev_nc_u32_e32 v1, 28, v0
	v_sub_nc_u32_e32 v0, 29, v0
	v_lshlrev_b64 v[1:2], v1, v[13:14]
	v_and_b32_e32 v29, 7, v1
; %bb.359:                              ;   in Loop: Header=BB351_15 Depth=1
	s_or_b32 exec_lo, exec_lo, s23
	v_mov_b32_e32 v1, 24
	v_lshlrev_b32_e32 v2, 20, v29
	v_lshl_add_u32 v0, v0, 23, 0x3c000000
	v_lshlrev_b32_sdwa v1, v1, v27 dst_sel:DWORD dst_unused:UNUSED_PAD src0_sel:DWORD src1_sel:WORD_1
	v_and_b32_e32 v1, 0x80000000, v1
	v_or3_b32 v107, v2, v1, v0
.LBB351_360:                            ;   in Loop: Header=BB351_15 Depth=1
	s_or_b32 exec_lo, exec_lo, s22
.LBB351_361:                            ;   in Loop: Header=BB351_15 Depth=1
	s_or_b32 exec_lo, exec_lo, s21
.LBB351_362:                            ;   in Loop: Header=BB351_15 Depth=1
	s_or_b32 exec_lo, exec_lo, s20
	s_mov_b32 s20, exec_lo
	v_cmpx_lt_u32_e32 0xffffff, v27
	s_cbranch_execz .LBB351_370
; %bb.363:                              ;   in Loop: Header=BB351_15 Depth=1
	v_cmp_ne_u32_sdwa s5, v27, v98 src0_sel:BYTE_3 src1_sel:DWORD
	v_bfrev_b32_e32 v108, 1
	s_and_saveexec_b32 s21, s5
	s_cbranch_execz .LBB351_369
; %bb.364:                              ;   in Loop: Header=BB351_15 Depth=1
	v_bfe_u32 v1, v27, 24, 7
	v_mov_b32_e32 v108, 0x7f800001
	s_mov_b32 s22, exec_lo
	v_cmpx_ne_u32_e32 0x7f, v1
	s_cbranch_execz .LBB351_368
; %bb.365:                              ;   in Loop: Header=BB351_15 Depth=1
	v_mov_b32_e32 v0, 7
	s_mov_b32 s23, exec_lo
	v_and_b32_sdwa v13, v27, v0 dst_sel:DWORD dst_unused:UNUSED_PAD src0_sel:BYTE_3 src1_sel:DWORD
	v_mov_b32_e32 v30, v14
	v_lshrrev_b32_e32 v0, 3, v1
	v_mov_b32_e32 v29, v13
	v_cmpx_gt_u32_e32 8, v1
; %bb.366:                              ;   in Loop: Header=BB351_15 Depth=1
	v_ffbh_u32_e32 v0, v13
	v_min_u32_e32 v0, 32, v0
	v_subrev_nc_u32_e32 v1, 28, v0
	v_sub_nc_u32_e32 v0, 29, v0
	v_lshlrev_b64 v[1:2], v1, v[13:14]
	v_and_b32_e32 v29, 7, v1
; %bb.367:                              ;   in Loop: Header=BB351_15 Depth=1
	s_or_b32 exec_lo, exec_lo, s23
	v_mov_b32_e32 v1, 24
	v_lshlrev_b32_e32 v2, 20, v29
	v_lshl_add_u32 v0, v0, 23, 0x3c000000
	v_lshlrev_b32_sdwa v1, v1, v27 dst_sel:DWORD dst_unused:UNUSED_PAD src0_sel:DWORD src1_sel:BYTE_3
	v_and_b32_e32 v1, 0x80000000, v1
	v_or3_b32 v108, v2, v1, v0
.LBB351_368:                            ;   in Loop: Header=BB351_15 Depth=1
	s_or_b32 exec_lo, exec_lo, s22
.LBB351_369:                            ;   in Loop: Header=BB351_15 Depth=1
	s_or_b32 exec_lo, exec_lo, s21
.LBB351_370:                            ;   in Loop: Header=BB351_15 Depth=1
	s_or_b32 exec_lo, exec_lo, s20
	v_mov_b32_e32 v13, v28
	v_cmp_ne_u16_sdwa s5, v28, v14 src0_sel:BYTE_0 src1_sel:DWORD
	v_mov_b32_e32 v110, 0
	v_mov_b32_e32 v109, 0
	s_and_saveexec_b32 s20, s5
	s_cbranch_execz .LBB351_378
; %bb.371:                              ;   in Loop: Header=BB351_15 Depth=1
	v_cmp_ne_u16_sdwa s5, v28, v98 src0_sel:BYTE_0 src1_sel:DWORD
	v_bfrev_b32_e32 v109, 1
	s_and_saveexec_b32 s21, s5
	s_cbranch_execz .LBB351_377
; %bb.372:                              ;   in Loop: Header=BB351_15 Depth=1
	v_and_b32_e32 v1, 0x7f, v28
	v_mov_b32_e32 v109, 0x7f800001
	s_mov_b32 s22, exec_lo
	v_cmpx_ne_u32_e32 0x7f, v1
	s_cbranch_execz .LBB351_376
; %bb.373:                              ;   in Loop: Header=BB351_15 Depth=1
	v_mov_b32_e32 v30, v14
	v_lshrrev_b32_e32 v0, 3, v1
	v_mov_b32_e32 v29, v13
	s_mov_b32 s23, exec_lo
	v_cmpx_gt_u32_e32 8, v1
; %bb.374:                              ;   in Loop: Header=BB351_15 Depth=1
	v_and_b32_e32 v0, 7, v28
	v_ffbh_u32_e32 v0, v0
	v_min_u32_e32 v0, 32, v0
	v_subrev_nc_u32_e32 v1, 28, v0
	v_sub_nc_u32_e32 v0, 29, v0
	v_lshlrev_b64 v[29:30], v1, v[13:14]
; %bb.375:                              ;   in Loop: Header=BB351_15 Depth=1
	s_or_b32 exec_lo, exec_lo, s23
	v_lshlrev_b32_e32 v1, 20, v29
	v_lshlrev_b32_e32 v2, 24, v13
	v_lshl_add_u32 v0, v0, 23, 0x3c000000
	v_and_b32_e32 v1, 0x700000, v1
	v_and_b32_e32 v2, 0x80000000, v2
	v_or3_b32 v109, v1, v2, v0
.LBB351_376:                            ;   in Loop: Header=BB351_15 Depth=1
	s_or_b32 exec_lo, exec_lo, s22
.LBB351_377:                            ;   in Loop: Header=BB351_15 Depth=1
	s_or_b32 exec_lo, exec_lo, s21
.LBB351_378:                            ;   in Loop: Header=BB351_15 Depth=1
	s_or_b32 exec_lo, exec_lo, s20
	v_cmp_ne_u16_sdwa s5, v13, v14 src0_sel:BYTE_1 src1_sel:DWORD
	s_and_saveexec_b32 s20, s5
	s_cbranch_execz .LBB351_386
; %bb.379:                              ;   in Loop: Header=BB351_15 Depth=1
	v_cmp_ne_u16_sdwa s5, v13, v98 src0_sel:BYTE_1 src1_sel:DWORD
	v_bfrev_b32_e32 v110, 1
	s_and_saveexec_b32 s21, s5
	s_cbranch_execz .LBB351_385
; %bb.380:                              ;   in Loop: Header=BB351_15 Depth=1
	v_mov_b32_e32 v0, 0xffff
	v_mov_b32_e32 v110, 0x7f800001
	s_mov_b32 s22, exec_lo
	v_and_b32_sdwa v0, v0, v13 dst_sel:DWORD dst_unused:UNUSED_PAD src0_sel:DWORD src1_sel:BYTE_1
	v_and_b32_e32 v1, 0x7f, v0
	v_cmpx_ne_u32_e32 0x7f, v1
	s_cbranch_execz .LBB351_384
; %bb.381:                              ;   in Loop: Header=BB351_15 Depth=1
	v_and_b32_e32 v29, 7, v0
	v_mov_b32_e32 v30, v14
	v_lshrrev_b32_e32 v0, 3, v1
	s_mov_b32 s23, exec_lo
	v_cmpx_gt_u32_e32 8, v1
; %bb.382:                              ;   in Loop: Header=BB351_15 Depth=1
	v_ffbh_u32_e32 v0, v29
	v_min_u32_e32 v0, 32, v0
	v_subrev_nc_u32_e32 v1, 28, v0
	v_sub_nc_u32_e32 v0, 29, v0
	v_lshlrev_b64 v[1:2], v1, v[29:30]
	v_and_b32_e32 v29, 7, v1
; %bb.383:                              ;   in Loop: Header=BB351_15 Depth=1
	s_or_b32 exec_lo, exec_lo, s23
	v_lshlrev_b32_e32 v1, 16, v13
	v_lshlrev_b32_e32 v2, 20, v29
	v_lshl_add_u32 v0, v0, 23, 0x3c000000
	v_and_b32_e32 v1, 0x80000000, v1
	v_or3_b32 v110, v2, v1, v0
.LBB351_384:                            ;   in Loop: Header=BB351_15 Depth=1
	s_or_b32 exec_lo, exec_lo, s22
.LBB351_385:                            ;   in Loop: Header=BB351_15 Depth=1
	s_or_b32 exec_lo, exec_lo, s21
.LBB351_386:                            ;   in Loop: Header=BB351_15 Depth=1
	s_or_b32 exec_lo, exec_lo, s20
	v_and_b32_sdwa v0, v28, v5 dst_sel:DWORD dst_unused:UNUSED_PAD src0_sel:WORD_1 src1_sel:DWORD
	v_mov_b32_e32 v111, 0
	v_mov_b32_e32 v120, 0
	s_mov_b32 s20, exec_lo
	v_cmpx_ne_u16_e32 0, v0
	s_cbranch_execz .LBB351_394
; %bb.387:                              ;   in Loop: Header=BB351_15 Depth=1
	v_bfrev_b32_e32 v120, 1
	s_mov_b32 s21, exec_lo
	v_cmpx_ne_u16_e32 0x80, v0
	s_cbranch_execz .LBB351_393
; %bb.388:                              ;   in Loop: Header=BB351_15 Depth=1
	v_bfe_u32 v1, v28, 16, 7
	v_mov_b32_e32 v120, 0x7f800001
	s_mov_b32 s22, exec_lo
	v_cmpx_ne_u32_e32 0x7f, v1
	s_cbranch_execz .LBB351_392
; %bb.389:                              ;   in Loop: Header=BB351_15 Depth=1
	v_mov_b32_e32 v0, 7
	s_mov_b32 s23, exec_lo
	v_and_b32_sdwa v13, v28, v0 dst_sel:DWORD dst_unused:UNUSED_PAD src0_sel:WORD_1 src1_sel:DWORD
	v_mov_b32_e32 v30, v14
	v_lshrrev_b32_e32 v0, 3, v1
	v_mov_b32_e32 v29, v13
	v_cmpx_gt_u32_e32 8, v1
; %bb.390:                              ;   in Loop: Header=BB351_15 Depth=1
	v_ffbh_u32_e32 v0, v13
	v_min_u32_e32 v0, 32, v0
	v_subrev_nc_u32_e32 v1, 28, v0
	v_sub_nc_u32_e32 v0, 29, v0
	v_lshlrev_b64 v[1:2], v1, v[13:14]
	v_and_b32_e32 v29, 7, v1
; %bb.391:                              ;   in Loop: Header=BB351_15 Depth=1
	s_or_b32 exec_lo, exec_lo, s23
	v_mov_b32_e32 v1, 24
	v_lshlrev_b32_e32 v2, 20, v29
	v_lshl_add_u32 v0, v0, 23, 0x3c000000
	v_lshlrev_b32_sdwa v1, v1, v28 dst_sel:DWORD dst_unused:UNUSED_PAD src0_sel:DWORD src1_sel:WORD_1
	v_and_b32_e32 v1, 0x80000000, v1
	v_or3_b32 v120, v2, v1, v0
.LBB351_392:                            ;   in Loop: Header=BB351_15 Depth=1
	s_or_b32 exec_lo, exec_lo, s22
.LBB351_393:                            ;   in Loop: Header=BB351_15 Depth=1
	s_or_b32 exec_lo, exec_lo, s21
.LBB351_394:                            ;   in Loop: Header=BB351_15 Depth=1
	s_or_b32 exec_lo, exec_lo, s20
	s_mov_b32 s20, exec_lo
	v_cmpx_lt_u64_e64 s[12:13], v[27:28]
	s_cbranch_execz .LBB351_402
; %bb.395:                              ;   in Loop: Header=BB351_15 Depth=1
	v_cmp_ne_u32_sdwa s5, v28, v98 src0_sel:BYTE_3 src1_sel:DWORD
	v_bfrev_b32_e32 v111, 1
	s_and_saveexec_b32 s21, s5
	s_cbranch_execz .LBB351_401
; %bb.396:                              ;   in Loop: Header=BB351_15 Depth=1
	v_bfe_u32 v1, v28, 24, 7
	v_mov_b32_e32 v111, 0x7f800001
	s_mov_b32 s22, exec_lo
	v_cmpx_ne_u32_e32 0x7f, v1
	s_cbranch_execz .LBB351_400
; %bb.397:                              ;   in Loop: Header=BB351_15 Depth=1
	v_mov_b32_e32 v0, 7
	s_mov_b32 s23, exec_lo
	v_and_b32_sdwa v13, v28, v0 dst_sel:DWORD dst_unused:UNUSED_PAD src0_sel:BYTE_3 src1_sel:DWORD
	v_mov_b32_e32 v30, v14
	v_lshrrev_b32_e32 v0, 3, v1
	v_mov_b32_e32 v29, v13
	v_cmpx_gt_u32_e32 8, v1
; %bb.398:                              ;   in Loop: Header=BB351_15 Depth=1
	v_ffbh_u32_e32 v0, v13
	v_min_u32_e32 v0, 32, v0
	v_subrev_nc_u32_e32 v1, 28, v0
	v_sub_nc_u32_e32 v0, 29, v0
	v_lshlrev_b64 v[1:2], v1, v[13:14]
	v_and_b32_e32 v29, 7, v1
; %bb.399:                              ;   in Loop: Header=BB351_15 Depth=1
	s_or_b32 exec_lo, exec_lo, s23
	v_mov_b32_e32 v1, 24
	v_lshlrev_b32_e32 v2, 20, v29
	v_lshl_add_u32 v0, v0, 23, 0x3c000000
	v_lshlrev_b32_sdwa v1, v1, v28 dst_sel:DWORD dst_unused:UNUSED_PAD src0_sel:DWORD src1_sel:BYTE_3
	v_and_b32_e32 v1, 0x80000000, v1
	v_or3_b32 v111, v2, v1, v0
.LBB351_400:                            ;   in Loop: Header=BB351_15 Depth=1
	s_or_b32 exec_lo, exec_lo, s22
.LBB351_401:                            ;   in Loop: Header=BB351_15 Depth=1
	s_or_b32 exec_lo, exec_lo, s21
.LBB351_402:                            ;   in Loop: Header=BB351_15 Depth=1
	s_or_b32 exec_lo, exec_lo, s20
	flat_load_dwordx2 v[27:28], v[24:25] offset:1536
	v_mov_b32_e32 v122, 0
	v_mov_b32_e32 v121, 0
	s_waitcnt vmcnt(0) lgkmcnt(0)
	v_cmp_ne_u16_sdwa s5, v27, v14 src0_sel:BYTE_0 src1_sel:DWORD
	s_and_saveexec_b32 s20, s5
	s_cbranch_execz .LBB351_410
; %bb.403:                              ;   in Loop: Header=BB351_15 Depth=1
	v_cmp_ne_u16_sdwa s5, v27, v98 src0_sel:BYTE_0 src1_sel:DWORD
	v_bfrev_b32_e32 v121, 1
	s_and_saveexec_b32 s21, s5
	s_cbranch_execz .LBB351_409
; %bb.404:                              ;   in Loop: Header=BB351_15 Depth=1
	v_and_b32_e32 v1, 0x7f, v27
	v_mov_b32_e32 v121, 0x7f800001
	s_mov_b32 s22, exec_lo
	v_cmpx_ne_u32_e32 0x7f, v1
	s_cbranch_execz .LBB351_408
; %bb.405:                              ;   in Loop: Header=BB351_15 Depth=1
	v_mov_b32_e32 v30, v28
	v_lshrrev_b32_e32 v0, 3, v1
	v_mov_b32_e32 v29, v27
	s_mov_b32 s23, exec_lo
	v_cmpx_gt_u32_e32 8, v1
; %bb.406:                              ;   in Loop: Header=BB351_15 Depth=1
	v_and_b32_e32 v0, 7, v27
	v_ffbh_u32_e32 v0, v0
	v_min_u32_e32 v0, 32, v0
	v_subrev_nc_u32_e32 v1, 28, v0
	v_sub_nc_u32_e32 v0, 29, v0
	v_lshlrev_b64 v[29:30], v1, v[27:28]
; %bb.407:                              ;   in Loop: Header=BB351_15 Depth=1
	s_or_b32 exec_lo, exec_lo, s23
	v_lshlrev_b32_e32 v1, 20, v29
	v_lshlrev_b32_e32 v2, 24, v27
	v_lshl_add_u32 v0, v0, 23, 0x3c000000
	v_and_b32_e32 v1, 0x700000, v1
	v_and_b32_e32 v2, 0x80000000, v2
	v_or3_b32 v121, v1, v2, v0
.LBB351_408:                            ;   in Loop: Header=BB351_15 Depth=1
	s_or_b32 exec_lo, exec_lo, s22
.LBB351_409:                            ;   in Loop: Header=BB351_15 Depth=1
	s_or_b32 exec_lo, exec_lo, s21
.LBB351_410:                            ;   in Loop: Header=BB351_15 Depth=1
	s_or_b32 exec_lo, exec_lo, s20
	v_cmp_ne_u16_sdwa s5, v27, v14 src0_sel:BYTE_1 src1_sel:DWORD
	s_and_saveexec_b32 s20, s5
	s_cbranch_execz .LBB351_418
; %bb.411:                              ;   in Loop: Header=BB351_15 Depth=1
	v_cmp_ne_u16_sdwa s5, v27, v98 src0_sel:BYTE_1 src1_sel:DWORD
	v_bfrev_b32_e32 v122, 1
	s_and_saveexec_b32 s21, s5
	s_cbranch_execz .LBB351_417
; %bb.412:                              ;   in Loop: Header=BB351_15 Depth=1
	v_mov_b32_e32 v0, 0xffff
	v_mov_b32_e32 v122, 0x7f800001
	s_mov_b32 s22, exec_lo
	v_and_b32_sdwa v0, v0, v27 dst_sel:DWORD dst_unused:UNUSED_PAD src0_sel:DWORD src1_sel:BYTE_1
	v_and_b32_e32 v1, 0x7f, v0
	v_cmpx_ne_u32_e32 0x7f, v1
	s_cbranch_execz .LBB351_416
; %bb.413:                              ;   in Loop: Header=BB351_15 Depth=1
	v_and_b32_e32 v13, 7, v0
	v_mov_b32_e32 v30, v14
	v_lshrrev_b32_e32 v0, 3, v1
	s_mov_b32 s23, exec_lo
	v_mov_b32_e32 v29, v13
	v_cmpx_gt_u32_e32 8, v1
; %bb.414:                              ;   in Loop: Header=BB351_15 Depth=1
	v_ffbh_u32_e32 v0, v13
	v_min_u32_e32 v0, 32, v0
	v_subrev_nc_u32_e32 v1, 28, v0
	v_sub_nc_u32_e32 v0, 29, v0
	v_lshlrev_b64 v[1:2], v1, v[13:14]
	v_and_b32_e32 v29, 7, v1
; %bb.415:                              ;   in Loop: Header=BB351_15 Depth=1
	s_or_b32 exec_lo, exec_lo, s23
	v_lshlrev_b32_e32 v1, 16, v27
	v_lshlrev_b32_e32 v2, 20, v29
	v_lshl_add_u32 v0, v0, 23, 0x3c000000
	v_and_b32_e32 v1, 0x80000000, v1
	v_or3_b32 v122, v2, v1, v0
.LBB351_416:                            ;   in Loop: Header=BB351_15 Depth=1
	s_or_b32 exec_lo, exec_lo, s22
.LBB351_417:                            ;   in Loop: Header=BB351_15 Depth=1
	s_or_b32 exec_lo, exec_lo, s21
.LBB351_418:                            ;   in Loop: Header=BB351_15 Depth=1
	s_or_b32 exec_lo, exec_lo, s20
	v_and_b32_sdwa v0, v27, v5 dst_sel:DWORD dst_unused:UNUSED_PAD src0_sel:WORD_1 src1_sel:DWORD
	v_mov_b32_e32 v124, 0
	v_mov_b32_e32 v123, 0
	s_mov_b32 s20, exec_lo
	v_cmpx_ne_u16_e32 0, v0
	s_cbranch_execz .LBB351_426
; %bb.419:                              ;   in Loop: Header=BB351_15 Depth=1
	v_bfrev_b32_e32 v123, 1
	s_mov_b32 s21, exec_lo
	v_cmpx_ne_u16_e32 0x80, v0
	s_cbranch_execz .LBB351_425
; %bb.420:                              ;   in Loop: Header=BB351_15 Depth=1
	v_bfe_u32 v1, v27, 16, 7
	v_mov_b32_e32 v123, 0x7f800001
	s_mov_b32 s22, exec_lo
	v_cmpx_ne_u32_e32 0x7f, v1
	s_cbranch_execz .LBB351_424
; %bb.421:                              ;   in Loop: Header=BB351_15 Depth=1
	v_mov_b32_e32 v0, 7
	s_mov_b32 s23, exec_lo
	v_and_b32_sdwa v13, v27, v0 dst_sel:DWORD dst_unused:UNUSED_PAD src0_sel:WORD_1 src1_sel:DWORD
	v_mov_b32_e32 v30, v14
	v_lshrrev_b32_e32 v0, 3, v1
	v_mov_b32_e32 v29, v13
	v_cmpx_gt_u32_e32 8, v1
; %bb.422:                              ;   in Loop: Header=BB351_15 Depth=1
	v_ffbh_u32_e32 v0, v13
	v_min_u32_e32 v0, 32, v0
	v_subrev_nc_u32_e32 v1, 28, v0
	v_sub_nc_u32_e32 v0, 29, v0
	v_lshlrev_b64 v[1:2], v1, v[13:14]
	v_and_b32_e32 v29, 7, v1
; %bb.423:                              ;   in Loop: Header=BB351_15 Depth=1
	s_or_b32 exec_lo, exec_lo, s23
	v_mov_b32_e32 v1, 24
	v_lshlrev_b32_e32 v2, 20, v29
	v_lshl_add_u32 v0, v0, 23, 0x3c000000
	v_lshlrev_b32_sdwa v1, v1, v27 dst_sel:DWORD dst_unused:UNUSED_PAD src0_sel:DWORD src1_sel:WORD_1
	v_and_b32_e32 v1, 0x80000000, v1
	v_or3_b32 v123, v2, v1, v0
.LBB351_424:                            ;   in Loop: Header=BB351_15 Depth=1
	s_or_b32 exec_lo, exec_lo, s22
.LBB351_425:                            ;   in Loop: Header=BB351_15 Depth=1
	s_or_b32 exec_lo, exec_lo, s21
.LBB351_426:                            ;   in Loop: Header=BB351_15 Depth=1
	s_or_b32 exec_lo, exec_lo, s20
	s_mov_b32 s20, exec_lo
	v_cmpx_lt_u32_e32 0xffffff, v27
	s_cbranch_execz .LBB351_434
; %bb.427:                              ;   in Loop: Header=BB351_15 Depth=1
	v_cmp_ne_u32_sdwa s5, v27, v98 src0_sel:BYTE_3 src1_sel:DWORD
	v_bfrev_b32_e32 v124, 1
	s_and_saveexec_b32 s21, s5
	s_cbranch_execz .LBB351_433
; %bb.428:                              ;   in Loop: Header=BB351_15 Depth=1
	v_bfe_u32 v1, v27, 24, 7
	v_mov_b32_e32 v124, 0x7f800001
	s_mov_b32 s22, exec_lo
	v_cmpx_ne_u32_e32 0x7f, v1
	s_cbranch_execz .LBB351_432
; %bb.429:                              ;   in Loop: Header=BB351_15 Depth=1
	v_mov_b32_e32 v0, 7
	s_mov_b32 s23, exec_lo
	v_and_b32_sdwa v13, v27, v0 dst_sel:DWORD dst_unused:UNUSED_PAD src0_sel:BYTE_3 src1_sel:DWORD
	v_mov_b32_e32 v30, v14
	v_lshrrev_b32_e32 v0, 3, v1
	v_mov_b32_e32 v29, v13
	v_cmpx_gt_u32_e32 8, v1
; %bb.430:                              ;   in Loop: Header=BB351_15 Depth=1
	v_ffbh_u32_e32 v0, v13
	v_min_u32_e32 v0, 32, v0
	v_subrev_nc_u32_e32 v1, 28, v0
	v_sub_nc_u32_e32 v0, 29, v0
	v_lshlrev_b64 v[1:2], v1, v[13:14]
	v_and_b32_e32 v29, 7, v1
; %bb.431:                              ;   in Loop: Header=BB351_15 Depth=1
	s_or_b32 exec_lo, exec_lo, s23
	v_mov_b32_e32 v1, 24
	v_lshlrev_b32_e32 v2, 20, v29
	v_lshl_add_u32 v0, v0, 23, 0x3c000000
	v_lshlrev_b32_sdwa v1, v1, v27 dst_sel:DWORD dst_unused:UNUSED_PAD src0_sel:DWORD src1_sel:BYTE_3
	v_and_b32_e32 v1, 0x80000000, v1
	v_or3_b32 v124, v2, v1, v0
.LBB351_432:                            ;   in Loop: Header=BB351_15 Depth=1
	s_or_b32 exec_lo, exec_lo, s22
.LBB351_433:                            ;   in Loop: Header=BB351_15 Depth=1
	s_or_b32 exec_lo, exec_lo, s21
.LBB351_434:                            ;   in Loop: Header=BB351_15 Depth=1
	s_or_b32 exec_lo, exec_lo, s20
	v_mov_b32_e32 v13, v28
	v_cmp_ne_u16_sdwa s5, v28, v14 src0_sel:BYTE_0 src1_sel:DWORD
	v_mov_b32_e32 v126, 0
	v_mov_b32_e32 v125, 0
	s_and_saveexec_b32 s20, s5
	s_cbranch_execz .LBB351_442
; %bb.435:                              ;   in Loop: Header=BB351_15 Depth=1
	v_cmp_ne_u16_sdwa s5, v28, v98 src0_sel:BYTE_0 src1_sel:DWORD
	v_bfrev_b32_e32 v125, 1
	s_and_saveexec_b32 s21, s5
	s_cbranch_execz .LBB351_441
; %bb.436:                              ;   in Loop: Header=BB351_15 Depth=1
	v_and_b32_e32 v1, 0x7f, v28
	v_mov_b32_e32 v125, 0x7f800001
	s_mov_b32 s22, exec_lo
	v_cmpx_ne_u32_e32 0x7f, v1
	s_cbranch_execz .LBB351_440
; %bb.437:                              ;   in Loop: Header=BB351_15 Depth=1
	v_mov_b32_e32 v30, v14
	v_lshrrev_b32_e32 v0, 3, v1
	v_mov_b32_e32 v29, v13
	s_mov_b32 s23, exec_lo
	v_cmpx_gt_u32_e32 8, v1
; %bb.438:                              ;   in Loop: Header=BB351_15 Depth=1
	v_and_b32_e32 v0, 7, v28
	v_ffbh_u32_e32 v0, v0
	v_min_u32_e32 v0, 32, v0
	v_subrev_nc_u32_e32 v1, 28, v0
	v_sub_nc_u32_e32 v0, 29, v0
	v_lshlrev_b64 v[29:30], v1, v[13:14]
; %bb.439:                              ;   in Loop: Header=BB351_15 Depth=1
	s_or_b32 exec_lo, exec_lo, s23
	v_lshlrev_b32_e32 v1, 20, v29
	v_lshlrev_b32_e32 v2, 24, v13
	v_lshl_add_u32 v0, v0, 23, 0x3c000000
	v_and_b32_e32 v1, 0x700000, v1
	v_and_b32_e32 v2, 0x80000000, v2
	v_or3_b32 v125, v1, v2, v0
.LBB351_440:                            ;   in Loop: Header=BB351_15 Depth=1
	s_or_b32 exec_lo, exec_lo, s22
.LBB351_441:                            ;   in Loop: Header=BB351_15 Depth=1
	s_or_b32 exec_lo, exec_lo, s21
.LBB351_442:                            ;   in Loop: Header=BB351_15 Depth=1
	s_or_b32 exec_lo, exec_lo, s20
	v_cmp_ne_u16_sdwa s5, v13, v14 src0_sel:BYTE_1 src1_sel:DWORD
	s_and_saveexec_b32 s20, s5
	s_cbranch_execz .LBB351_450
; %bb.443:                              ;   in Loop: Header=BB351_15 Depth=1
	v_cmp_ne_u16_sdwa s5, v13, v98 src0_sel:BYTE_1 src1_sel:DWORD
	v_bfrev_b32_e32 v126, 1
	s_and_saveexec_b32 s21, s5
	s_cbranch_execz .LBB351_449
; %bb.444:                              ;   in Loop: Header=BB351_15 Depth=1
	v_mov_b32_e32 v0, 0xffff
	v_mov_b32_e32 v126, 0x7f800001
	s_mov_b32 s22, exec_lo
	v_and_b32_sdwa v0, v0, v13 dst_sel:DWORD dst_unused:UNUSED_PAD src0_sel:DWORD src1_sel:BYTE_1
	v_and_b32_e32 v1, 0x7f, v0
	v_cmpx_ne_u32_e32 0x7f, v1
	s_cbranch_execz .LBB351_448
; %bb.445:                              ;   in Loop: Header=BB351_15 Depth=1
	v_and_b32_e32 v29, 7, v0
	v_mov_b32_e32 v30, v14
	v_lshrrev_b32_e32 v0, 3, v1
	s_mov_b32 s23, exec_lo
	v_cmpx_gt_u32_e32 8, v1
; %bb.446:                              ;   in Loop: Header=BB351_15 Depth=1
	v_ffbh_u32_e32 v0, v29
	v_min_u32_e32 v0, 32, v0
	v_subrev_nc_u32_e32 v1, 28, v0
	v_sub_nc_u32_e32 v0, 29, v0
	v_lshlrev_b64 v[1:2], v1, v[29:30]
	v_and_b32_e32 v29, 7, v1
; %bb.447:                              ;   in Loop: Header=BB351_15 Depth=1
	s_or_b32 exec_lo, exec_lo, s23
	v_lshlrev_b32_e32 v1, 16, v13
	v_lshlrev_b32_e32 v2, 20, v29
	v_lshl_add_u32 v0, v0, 23, 0x3c000000
	v_and_b32_e32 v1, 0x80000000, v1
	v_or3_b32 v126, v2, v1, v0
.LBB351_448:                            ;   in Loop: Header=BB351_15 Depth=1
	s_or_b32 exec_lo, exec_lo, s22
.LBB351_449:                            ;   in Loop: Header=BB351_15 Depth=1
	s_or_b32 exec_lo, exec_lo, s21
.LBB351_450:                            ;   in Loop: Header=BB351_15 Depth=1
	s_or_b32 exec_lo, exec_lo, s20
	v_and_b32_sdwa v0, v28, v5 dst_sel:DWORD dst_unused:UNUSED_PAD src0_sel:WORD_1 src1_sel:DWORD
	v_mov_b32_e32 v127, 0
	v_mov_b32_e32 v8, 0
	s_mov_b32 s20, exec_lo
	v_cmpx_ne_u16_e32 0, v0
	s_cbranch_execz .LBB351_458
; %bb.451:                              ;   in Loop: Header=BB351_15 Depth=1
	v_bfrev_b32_e32 v8, 1
	s_mov_b32 s21, exec_lo
	v_cmpx_ne_u16_e32 0x80, v0
	s_cbranch_execz .LBB351_457
; %bb.452:                              ;   in Loop: Header=BB351_15 Depth=1
	v_bfe_u32 v1, v28, 16, 7
	v_mov_b32_e32 v8, 0x7f800001
	s_mov_b32 s22, exec_lo
	v_cmpx_ne_u32_e32 0x7f, v1
	s_cbranch_execz .LBB351_456
; %bb.453:                              ;   in Loop: Header=BB351_15 Depth=1
	v_mov_b32_e32 v0, 7
	s_mov_b32 s23, exec_lo
	v_and_b32_sdwa v13, v28, v0 dst_sel:DWORD dst_unused:UNUSED_PAD src0_sel:WORD_1 src1_sel:DWORD
	v_mov_b32_e32 v30, v14
	v_lshrrev_b32_e32 v0, 3, v1
	v_mov_b32_e32 v29, v13
	v_cmpx_gt_u32_e32 8, v1
; %bb.454:                              ;   in Loop: Header=BB351_15 Depth=1
	v_ffbh_u32_e32 v0, v13
	v_min_u32_e32 v0, 32, v0
	v_subrev_nc_u32_e32 v1, 28, v0
	v_sub_nc_u32_e32 v0, 29, v0
	v_lshlrev_b64 v[1:2], v1, v[13:14]
	v_and_b32_e32 v29, 7, v1
; %bb.455:                              ;   in Loop: Header=BB351_15 Depth=1
	s_or_b32 exec_lo, exec_lo, s23
	v_mov_b32_e32 v1, 24
	v_lshlrev_b32_e32 v2, 20, v29
	v_lshl_add_u32 v0, v0, 23, 0x3c000000
	v_lshlrev_b32_sdwa v1, v1, v28 dst_sel:DWORD dst_unused:UNUSED_PAD src0_sel:DWORD src1_sel:WORD_1
	v_and_b32_e32 v1, 0x80000000, v1
	v_or3_b32 v8, v2, v1, v0
.LBB351_456:                            ;   in Loop: Header=BB351_15 Depth=1
	s_or_b32 exec_lo, exec_lo, s22
.LBB351_457:                            ;   in Loop: Header=BB351_15 Depth=1
	s_or_b32 exec_lo, exec_lo, s21
.LBB351_458:                            ;   in Loop: Header=BB351_15 Depth=1
	s_or_b32 exec_lo, exec_lo, s20
	s_mov_b32 s20, exec_lo
	v_cmpx_lt_u64_e64 s[12:13], v[27:28]
	s_cbranch_execz .LBB351_466
; %bb.459:                              ;   in Loop: Header=BB351_15 Depth=1
	v_cmp_ne_u32_sdwa s5, v28, v98 src0_sel:BYTE_3 src1_sel:DWORD
	v_bfrev_b32_e32 v127, 1
	s_and_saveexec_b32 s21, s5
	s_cbranch_execz .LBB351_465
; %bb.460:                              ;   in Loop: Header=BB351_15 Depth=1
	v_bfe_u32 v1, v28, 24, 7
	v_mov_b32_e32 v127, 0x7f800001
	s_mov_b32 s22, exec_lo
	v_cmpx_ne_u32_e32 0x7f, v1
	s_cbranch_execz .LBB351_464
; %bb.461:                              ;   in Loop: Header=BB351_15 Depth=1
	v_mov_b32_e32 v0, 7
	s_mov_b32 s23, exec_lo
	v_and_b32_sdwa v13, v28, v0 dst_sel:DWORD dst_unused:UNUSED_PAD src0_sel:BYTE_3 src1_sel:DWORD
	v_mov_b32_e32 v30, v14
	v_lshrrev_b32_e32 v0, 3, v1
	v_mov_b32_e32 v29, v13
	v_cmpx_gt_u32_e32 8, v1
; %bb.462:                              ;   in Loop: Header=BB351_15 Depth=1
	v_ffbh_u32_e32 v0, v13
	v_min_u32_e32 v0, 32, v0
	v_subrev_nc_u32_e32 v1, 28, v0
	v_sub_nc_u32_e32 v0, 29, v0
	v_lshlrev_b64 v[1:2], v1, v[13:14]
	v_and_b32_e32 v29, 7, v1
; %bb.463:                              ;   in Loop: Header=BB351_15 Depth=1
	s_or_b32 exec_lo, exec_lo, s23
	v_mov_b32_e32 v1, 24
	v_lshlrev_b32_e32 v2, 20, v29
	v_lshl_add_u32 v0, v0, 23, 0x3c000000
	v_lshlrev_b32_sdwa v1, v1, v28 dst_sel:DWORD dst_unused:UNUSED_PAD src0_sel:DWORD src1_sel:BYTE_3
	v_and_b32_e32 v1, 0x80000000, v1
	v_or3_b32 v127, v2, v1, v0
.LBB351_464:                            ;   in Loop: Header=BB351_15 Depth=1
	s_or_b32 exec_lo, exec_lo, s22
.LBB351_465:                            ;   in Loop: Header=BB351_15 Depth=1
	s_or_b32 exec_lo, exec_lo, s21
.LBB351_466:                            ;   in Loop: Header=BB351_15 Depth=1
	s_or_b32 exec_lo, exec_lo, s20
	flat_load_dwordx2 v[27:28], v[24:25] offset:1544
	v_mov_b32_e32 v0, 0
	v_mov_b32_e32 v1, 0
	s_waitcnt vmcnt(0) lgkmcnt(0)
	v_cmp_ne_u16_sdwa s5, v27, v14 src0_sel:BYTE_0 src1_sel:DWORD
	s_and_saveexec_b32 s20, s5
	s_cbranch_execz .LBB351_474
; %bb.467:                              ;   in Loop: Header=BB351_15 Depth=1
	v_cmp_ne_u16_sdwa s5, v27, v98 src0_sel:BYTE_0 src1_sel:DWORD
	v_bfrev_b32_e32 v1, 1
	s_and_saveexec_b32 s21, s5
	s_cbranch_execz .LBB351_473
; %bb.468:                              ;   in Loop: Header=BB351_15 Depth=1
	v_and_b32_e32 v2, 0x7f, v27
	v_mov_b32_e32 v1, 0x7f800001
	s_mov_b32 s22, exec_lo
	v_cmpx_ne_u32_e32 0x7f, v2
	s_cbranch_execz .LBB351_472
; %bb.469:                              ;   in Loop: Header=BB351_15 Depth=1
	v_mov_b32_e32 v30, v28
	v_lshrrev_b32_e32 v1, 3, v2
	v_mov_b32_e32 v29, v27
	s_mov_b32 s23, exec_lo
	v_cmpx_gt_u32_e32 8, v2
; %bb.470:                              ;   in Loop: Header=BB351_15 Depth=1
	v_and_b32_e32 v1, 7, v27
	v_ffbh_u32_e32 v1, v1
	v_min_u32_e32 v1, 32, v1
	v_subrev_nc_u32_e32 v2, 28, v1
	v_sub_nc_u32_e32 v1, 29, v1
	v_lshlrev_b64 v[29:30], v2, v[27:28]
; %bb.471:                              ;   in Loop: Header=BB351_15 Depth=1
	s_or_b32 exec_lo, exec_lo, s23
	v_lshlrev_b32_e32 v2, 20, v29
	v_lshlrev_b32_e32 v3, 24, v27
	v_lshl_add_u32 v1, v1, 23, 0x3c000000
	v_and_b32_e32 v2, 0x700000, v2
	v_and_b32_e32 v3, 0x80000000, v3
	v_or3_b32 v1, v2, v3, v1
.LBB351_472:                            ;   in Loop: Header=BB351_15 Depth=1
	s_or_b32 exec_lo, exec_lo, s22
.LBB351_473:                            ;   in Loop: Header=BB351_15 Depth=1
	s_or_b32 exec_lo, exec_lo, s21
.LBB351_474:                            ;   in Loop: Header=BB351_15 Depth=1
	s_or_b32 exec_lo, exec_lo, s20
	v_cmp_ne_u16_sdwa s5, v27, v14 src0_sel:BYTE_1 src1_sel:DWORD
	s_and_saveexec_b32 s20, s5
	s_cbranch_execz .LBB351_482
; %bb.475:                              ;   in Loop: Header=BB351_15 Depth=1
	v_cmp_ne_u16_sdwa s5, v27, v98 src0_sel:BYTE_1 src1_sel:DWORD
	v_bfrev_b32_e32 v0, 1
	s_and_saveexec_b32 s21, s5
	s_cbranch_execz .LBB351_481
; %bb.476:                              ;   in Loop: Header=BB351_15 Depth=1
	v_mov_b32_e32 v0, 0xffff
	s_mov_b32 s22, exec_lo
	v_and_b32_sdwa v3, v0, v27 dst_sel:DWORD dst_unused:UNUSED_PAD src0_sel:DWORD src1_sel:BYTE_1
	v_mov_b32_e32 v0, 0x7f800001
	v_and_b32_e32 v2, 0x7f, v3
	v_cmpx_ne_u32_e32 0x7f, v2
	s_cbranch_execz .LBB351_480
; %bb.477:                              ;   in Loop: Header=BB351_15 Depth=1
	v_and_b32_e32 v13, 7, v3
	v_mov_b32_e32 v30, v14
	v_lshrrev_b32_e32 v0, 3, v2
	s_mov_b32 s23, exec_lo
	v_mov_b32_e32 v29, v13
	v_cmpx_gt_u32_e32 8, v2
; %bb.478:                              ;   in Loop: Header=BB351_15 Depth=1
	v_ffbh_u32_e32 v0, v13
	v_min_u32_e32 v0, 32, v0
	v_subrev_nc_u32_e32 v2, 28, v0
	v_sub_nc_u32_e32 v0, 29, v0
	v_lshlrev_b64 v[2:3], v2, v[13:14]
	v_and_b32_e32 v29, 7, v2
; %bb.479:                              ;   in Loop: Header=BB351_15 Depth=1
	s_or_b32 exec_lo, exec_lo, s23
	v_lshlrev_b32_e32 v2, 16, v27
	v_lshlrev_b32_e32 v3, 20, v29
	v_lshl_add_u32 v0, v0, 23, 0x3c000000
	v_and_b32_e32 v2, 0x80000000, v2
	v_or3_b32 v0, v3, v2, v0
.LBB351_480:                            ;   in Loop: Header=BB351_15 Depth=1
	s_or_b32 exec_lo, exec_lo, s22
.LBB351_481:                            ;   in Loop: Header=BB351_15 Depth=1
	s_or_b32 exec_lo, exec_lo, s21
.LBB351_482:                            ;   in Loop: Header=BB351_15 Depth=1
	s_or_b32 exec_lo, exec_lo, s20
	v_and_b32_sdwa v2, v27, v5 dst_sel:DWORD dst_unused:UNUSED_PAD src0_sel:WORD_1 src1_sel:DWORD
	v_mov_b32_e32 v35, 0
	v_mov_b32_e32 v12, 0
	s_mov_b32 s20, exec_lo
	v_cmpx_ne_u16_e32 0, v2
	s_cbranch_execz .LBB351_490
; %bb.483:                              ;   in Loop: Header=BB351_15 Depth=1
	v_bfrev_b32_e32 v12, 1
	s_mov_b32 s21, exec_lo
	v_cmpx_ne_u16_e32 0x80, v2
	s_cbranch_execz .LBB351_489
; %bb.484:                              ;   in Loop: Header=BB351_15 Depth=1
	v_bfe_u32 v3, v27, 16, 7
	v_mov_b32_e32 v12, 0x7f800001
	s_mov_b32 s22, exec_lo
	v_cmpx_ne_u32_e32 0x7f, v3
	s_cbranch_execz .LBB351_488
; %bb.485:                              ;   in Loop: Header=BB351_15 Depth=1
	v_mov_b32_e32 v2, 7
	s_mov_b32 s23, exec_lo
	v_and_b32_sdwa v13, v27, v2 dst_sel:DWORD dst_unused:UNUSED_PAD src0_sel:WORD_1 src1_sel:DWORD
	v_mov_b32_e32 v30, v14
	v_lshrrev_b32_e32 v2, 3, v3
	v_mov_b32_e32 v29, v13
	v_cmpx_gt_u32_e32 8, v3
; %bb.486:                              ;   in Loop: Header=BB351_15 Depth=1
	v_ffbh_u32_e32 v2, v13
	v_min_u32_e32 v2, 32, v2
	v_subrev_nc_u32_e32 v3, 28, v2
	v_sub_nc_u32_e32 v2, 29, v2
	v_lshlrev_b64 v[3:4], v3, v[13:14]
	v_and_b32_e32 v29, 7, v3
; %bb.487:                              ;   in Loop: Header=BB351_15 Depth=1
	s_or_b32 exec_lo, exec_lo, s23
	v_mov_b32_e32 v3, 24
	v_lshlrev_b32_e32 v4, 20, v29
	v_lshl_add_u32 v2, v2, 23, 0x3c000000
	v_lshlrev_b32_sdwa v3, v3, v27 dst_sel:DWORD dst_unused:UNUSED_PAD src0_sel:DWORD src1_sel:WORD_1
	v_and_b32_e32 v3, 0x80000000, v3
	v_or3_b32 v12, v4, v3, v2
.LBB351_488:                            ;   in Loop: Header=BB351_15 Depth=1
	s_or_b32 exec_lo, exec_lo, s22
.LBB351_489:                            ;   in Loop: Header=BB351_15 Depth=1
	s_or_b32 exec_lo, exec_lo, s21
.LBB351_490:                            ;   in Loop: Header=BB351_15 Depth=1
	s_or_b32 exec_lo, exec_lo, s20
	s_mov_b32 s20, exec_lo
	v_cmpx_lt_u32_e32 0xffffff, v27
	s_cbranch_execz .LBB351_498
; %bb.491:                              ;   in Loop: Header=BB351_15 Depth=1
	v_cmp_ne_u32_sdwa s5, v27, v98 src0_sel:BYTE_3 src1_sel:DWORD
	v_bfrev_b32_e32 v35, 1
	s_and_saveexec_b32 s21, s5
	s_cbranch_execz .LBB351_497
; %bb.492:                              ;   in Loop: Header=BB351_15 Depth=1
	v_bfe_u32 v3, v27, 24, 7
	v_mov_b32_e32 v35, 0x7f800001
	s_mov_b32 s22, exec_lo
	v_cmpx_ne_u32_e32 0x7f, v3
	s_cbranch_execz .LBB351_496
; %bb.493:                              ;   in Loop: Header=BB351_15 Depth=1
	v_mov_b32_e32 v2, 7
	s_mov_b32 s23, exec_lo
	v_and_b32_sdwa v13, v27, v2 dst_sel:DWORD dst_unused:UNUSED_PAD src0_sel:BYTE_3 src1_sel:DWORD
	v_mov_b32_e32 v30, v14
	v_lshrrev_b32_e32 v2, 3, v3
	v_mov_b32_e32 v29, v13
	v_cmpx_gt_u32_e32 8, v3
; %bb.494:                              ;   in Loop: Header=BB351_15 Depth=1
	v_ffbh_u32_e32 v2, v13
	v_min_u32_e32 v2, 32, v2
	v_subrev_nc_u32_e32 v3, 28, v2
	v_sub_nc_u32_e32 v2, 29, v2
	v_lshlrev_b64 v[3:4], v3, v[13:14]
	v_and_b32_e32 v29, 7, v3
; %bb.495:                              ;   in Loop: Header=BB351_15 Depth=1
	s_or_b32 exec_lo, exec_lo, s23
	v_mov_b32_e32 v3, 24
	v_lshlrev_b32_e32 v4, 20, v29
	v_lshl_add_u32 v2, v2, 23, 0x3c000000
	v_lshlrev_b32_sdwa v3, v3, v27 dst_sel:DWORD dst_unused:UNUSED_PAD src0_sel:DWORD src1_sel:BYTE_3
	v_and_b32_e32 v3, 0x80000000, v3
	v_or3_b32 v35, v4, v3, v2
.LBB351_496:                            ;   in Loop: Header=BB351_15 Depth=1
	s_or_b32 exec_lo, exec_lo, s22
.LBB351_497:                            ;   in Loop: Header=BB351_15 Depth=1
	s_or_b32 exec_lo, exec_lo, s21
.LBB351_498:                            ;   in Loop: Header=BB351_15 Depth=1
	s_or_b32 exec_lo, exec_lo, s20
	v_mov_b32_e32 v13, v28
	v_cmp_ne_u16_sdwa s5, v28, v14 src0_sel:BYTE_0 src1_sel:DWORD
	v_mov_b32_e32 v70, 0
	v_mov_b32_e32 v39, 0
	s_and_saveexec_b32 s20, s5
	s_cbranch_execz .LBB351_506
; %bb.499:                              ;   in Loop: Header=BB351_15 Depth=1
	v_cmp_ne_u16_sdwa s5, v28, v98 src0_sel:BYTE_0 src1_sel:DWORD
	v_bfrev_b32_e32 v39, 1
	s_and_saveexec_b32 s21, s5
	s_cbranch_execz .LBB351_505
; %bb.500:                              ;   in Loop: Header=BB351_15 Depth=1
	v_and_b32_e32 v3, 0x7f, v28
	v_mov_b32_e32 v39, 0x7f800001
	s_mov_b32 s22, exec_lo
	v_cmpx_ne_u32_e32 0x7f, v3
	s_cbranch_execz .LBB351_504
; %bb.501:                              ;   in Loop: Header=BB351_15 Depth=1
	v_mov_b32_e32 v30, v14
	v_lshrrev_b32_e32 v2, 3, v3
	v_mov_b32_e32 v29, v13
	s_mov_b32 s23, exec_lo
	v_cmpx_gt_u32_e32 8, v3
; %bb.502:                              ;   in Loop: Header=BB351_15 Depth=1
	v_and_b32_e32 v2, 7, v28
	v_ffbh_u32_e32 v2, v2
	v_min_u32_e32 v2, 32, v2
	v_subrev_nc_u32_e32 v3, 28, v2
	v_sub_nc_u32_e32 v2, 29, v2
	v_lshlrev_b64 v[29:30], v3, v[13:14]
; %bb.503:                              ;   in Loop: Header=BB351_15 Depth=1
	s_or_b32 exec_lo, exec_lo, s23
	v_lshlrev_b32_e32 v3, 20, v29
	v_lshlrev_b32_e32 v4, 24, v13
	v_lshl_add_u32 v2, v2, 23, 0x3c000000
	v_and_b32_e32 v3, 0x700000, v3
	v_and_b32_e32 v4, 0x80000000, v4
	v_or3_b32 v39, v3, v4, v2
.LBB351_504:                            ;   in Loop: Header=BB351_15 Depth=1
	s_or_b32 exec_lo, exec_lo, s22
.LBB351_505:                            ;   in Loop: Header=BB351_15 Depth=1
	s_or_b32 exec_lo, exec_lo, s21
.LBB351_506:                            ;   in Loop: Header=BB351_15 Depth=1
	s_or_b32 exec_lo, exec_lo, s20
	v_cmp_ne_u16_sdwa s5, v13, v14 src0_sel:BYTE_1 src1_sel:DWORD
	s_and_saveexec_b32 s20, s5
	s_cbranch_execz .LBB351_514
; %bb.507:                              ;   in Loop: Header=BB351_15 Depth=1
	v_cmp_ne_u16_sdwa s5, v13, v98 src0_sel:BYTE_1 src1_sel:DWORD
	v_bfrev_b32_e32 v70, 1
	s_and_saveexec_b32 s21, s5
	s_cbranch_execz .LBB351_513
; %bb.508:                              ;   in Loop: Header=BB351_15 Depth=1
	v_mov_b32_e32 v2, 0xffff
	v_mov_b32_e32 v70, 0x7f800001
	s_mov_b32 s22, exec_lo
	v_and_b32_sdwa v2, v2, v13 dst_sel:DWORD dst_unused:UNUSED_PAD src0_sel:DWORD src1_sel:BYTE_1
	v_and_b32_e32 v3, 0x7f, v2
	v_cmpx_ne_u32_e32 0x7f, v3
	s_cbranch_execz .LBB351_512
; %bb.509:                              ;   in Loop: Header=BB351_15 Depth=1
	v_and_b32_e32 v29, 7, v2
	v_mov_b32_e32 v30, v14
	v_lshrrev_b32_e32 v2, 3, v3
	s_mov_b32 s23, exec_lo
	v_cmpx_gt_u32_e32 8, v3
; %bb.510:                              ;   in Loop: Header=BB351_15 Depth=1
	v_ffbh_u32_e32 v2, v29
	v_min_u32_e32 v2, 32, v2
	v_subrev_nc_u32_e32 v3, 28, v2
	v_sub_nc_u32_e32 v2, 29, v2
	v_lshlrev_b64 v[3:4], v3, v[29:30]
	v_and_b32_e32 v29, 7, v3
; %bb.511:                              ;   in Loop: Header=BB351_15 Depth=1
	s_or_b32 exec_lo, exec_lo, s23
	v_lshlrev_b32_e32 v3, 16, v13
	v_lshlrev_b32_e32 v4, 20, v29
	v_lshl_add_u32 v2, v2, 23, 0x3c000000
	v_and_b32_e32 v3, 0x80000000, v3
	v_or3_b32 v70, v4, v3, v2
.LBB351_512:                            ;   in Loop: Header=BB351_15 Depth=1
	s_or_b32 exec_lo, exec_lo, s22
.LBB351_513:                            ;   in Loop: Header=BB351_15 Depth=1
	s_or_b32 exec_lo, exec_lo, s21
.LBB351_514:                            ;   in Loop: Header=BB351_15 Depth=1
	s_or_b32 exec_lo, exec_lo, s20
	v_and_b32_sdwa v2, v28, v5 dst_sel:DWORD dst_unused:UNUSED_PAD src0_sel:WORD_1 src1_sel:DWORD
	v_mov_b32_e32 v49, 0
	v_mov_b32_e32 v17, 0
	s_mov_b32 s20, exec_lo
	v_cmpx_ne_u16_e32 0, v2
	s_cbranch_execz .LBB351_522
; %bb.515:                              ;   in Loop: Header=BB351_15 Depth=1
	v_bfrev_b32_e32 v17, 1
	s_mov_b32 s21, exec_lo
	v_cmpx_ne_u16_e32 0x80, v2
	s_cbranch_execz .LBB351_521
; %bb.516:                              ;   in Loop: Header=BB351_15 Depth=1
	v_bfe_u32 v3, v28, 16, 7
	v_mov_b32_e32 v17, 0x7f800001
	s_mov_b32 s22, exec_lo
	v_cmpx_ne_u32_e32 0x7f, v3
	s_cbranch_execz .LBB351_520
; %bb.517:                              ;   in Loop: Header=BB351_15 Depth=1
	v_mov_b32_e32 v2, 7
	s_mov_b32 s23, exec_lo
	v_and_b32_sdwa v13, v28, v2 dst_sel:DWORD dst_unused:UNUSED_PAD src0_sel:WORD_1 src1_sel:DWORD
	v_mov_b32_e32 v30, v14
	v_lshrrev_b32_e32 v2, 3, v3
	v_mov_b32_e32 v29, v13
	v_cmpx_gt_u32_e32 8, v3
; %bb.518:                              ;   in Loop: Header=BB351_15 Depth=1
	v_ffbh_u32_e32 v2, v13
	v_min_u32_e32 v2, 32, v2
	v_subrev_nc_u32_e32 v3, 28, v2
	v_sub_nc_u32_e32 v2, 29, v2
	v_lshlrev_b64 v[3:4], v3, v[13:14]
	v_and_b32_e32 v29, 7, v3
; %bb.519:                              ;   in Loop: Header=BB351_15 Depth=1
	s_or_b32 exec_lo, exec_lo, s23
	v_mov_b32_e32 v3, 24
	v_lshlrev_b32_e32 v4, 20, v29
	v_lshl_add_u32 v2, v2, 23, 0x3c000000
	v_lshlrev_b32_sdwa v3, v3, v28 dst_sel:DWORD dst_unused:UNUSED_PAD src0_sel:DWORD src1_sel:WORD_1
	v_and_b32_e32 v3, 0x80000000, v3
	v_or3_b32 v17, v4, v3, v2
.LBB351_520:                            ;   in Loop: Header=BB351_15 Depth=1
	s_or_b32 exec_lo, exec_lo, s22
.LBB351_521:                            ;   in Loop: Header=BB351_15 Depth=1
	s_or_b32 exec_lo, exec_lo, s21
.LBB351_522:                            ;   in Loop: Header=BB351_15 Depth=1
	s_or_b32 exec_lo, exec_lo, s20
	s_mov_b32 s20, exec_lo
	v_cmpx_lt_u64_e64 s[12:13], v[27:28]
	s_cbranch_execz .LBB351_530
; %bb.523:                              ;   in Loop: Header=BB351_15 Depth=1
	v_cmp_ne_u32_sdwa s5, v28, v98 src0_sel:BYTE_3 src1_sel:DWORD
	v_bfrev_b32_e32 v49, 1
	s_and_saveexec_b32 s21, s5
	s_cbranch_execz .LBB351_529
; %bb.524:                              ;   in Loop: Header=BB351_15 Depth=1
	v_bfe_u32 v3, v28, 24, 7
	v_mov_b32_e32 v49, 0x7f800001
	s_mov_b32 s22, exec_lo
	v_cmpx_ne_u32_e32 0x7f, v3
	s_cbranch_execz .LBB351_528
; %bb.525:                              ;   in Loop: Header=BB351_15 Depth=1
	v_mov_b32_e32 v2, 7
	s_mov_b32 s23, exec_lo
	v_and_b32_sdwa v13, v28, v2 dst_sel:DWORD dst_unused:UNUSED_PAD src0_sel:BYTE_3 src1_sel:DWORD
	v_mov_b32_e32 v30, v14
	v_lshrrev_b32_e32 v2, 3, v3
	v_mov_b32_e32 v29, v13
	v_cmpx_gt_u32_e32 8, v3
; %bb.526:                              ;   in Loop: Header=BB351_15 Depth=1
	v_ffbh_u32_e32 v2, v13
	v_min_u32_e32 v2, 32, v2
	v_subrev_nc_u32_e32 v3, 28, v2
	v_sub_nc_u32_e32 v2, 29, v2
	v_lshlrev_b64 v[3:4], v3, v[13:14]
	v_and_b32_e32 v29, 7, v3
; %bb.527:                              ;   in Loop: Header=BB351_15 Depth=1
	s_or_b32 exec_lo, exec_lo, s23
	v_mov_b32_e32 v3, 24
	v_lshlrev_b32_e32 v4, 20, v29
	v_lshl_add_u32 v2, v2, 23, 0x3c000000
	v_lshlrev_b32_sdwa v3, v3, v28 dst_sel:DWORD dst_unused:UNUSED_PAD src0_sel:DWORD src1_sel:BYTE_3
	v_and_b32_e32 v3, 0x80000000, v3
	v_or3_b32 v49, v4, v3, v2
.LBB351_528:                            ;   in Loop: Header=BB351_15 Depth=1
	s_or_b32 exec_lo, exec_lo, s22
.LBB351_529:                            ;   in Loop: Header=BB351_15 Depth=1
	s_or_b32 exec_lo, exec_lo, s21
.LBB351_530:                            ;   in Loop: Header=BB351_15 Depth=1
	s_or_b32 exec_lo, exec_lo, s20
	v_add_co_u32 v24, s5, 0x800, v24
	v_add_co_ci_u32_e64 v25, null, 0, v25, s5
	v_mov_b32_e32 v7, 0
	v_mov_b32_e32 v71, 0
	flat_load_dwordx2 v[27:28], v[24:25]
	s_waitcnt vmcnt(0) lgkmcnt(0)
	v_cmp_ne_u16_sdwa s5, v27, v14 src0_sel:BYTE_0 src1_sel:DWORD
	s_and_saveexec_b32 s20, s5
	s_cbranch_execz .LBB351_538
; %bb.531:                              ;   in Loop: Header=BB351_15 Depth=1
	v_cmp_ne_u16_sdwa s5, v27, v98 src0_sel:BYTE_0 src1_sel:DWORD
	v_bfrev_b32_e32 v71, 1
	s_and_saveexec_b32 s21, s5
	s_cbranch_execz .LBB351_537
; %bb.532:                              ;   in Loop: Header=BB351_15 Depth=1
	v_and_b32_e32 v3, 0x7f, v27
	v_mov_b32_e32 v71, 0x7f800001
	s_mov_b32 s22, exec_lo
	v_cmpx_ne_u32_e32 0x7f, v3
	s_cbranch_execz .LBB351_536
; %bb.533:                              ;   in Loop: Header=BB351_15 Depth=1
	v_mov_b32_e32 v30, v28
	v_lshrrev_b32_e32 v2, 3, v3
	v_mov_b32_e32 v29, v27
	s_mov_b32 s23, exec_lo
	v_cmpx_gt_u32_e32 8, v3
; %bb.534:                              ;   in Loop: Header=BB351_15 Depth=1
	v_and_b32_e32 v2, 7, v27
	v_ffbh_u32_e32 v2, v2
	v_min_u32_e32 v2, 32, v2
	v_subrev_nc_u32_e32 v3, 28, v2
	v_sub_nc_u32_e32 v2, 29, v2
	v_lshlrev_b64 v[29:30], v3, v[27:28]
; %bb.535:                              ;   in Loop: Header=BB351_15 Depth=1
	s_or_b32 exec_lo, exec_lo, s23
	v_lshlrev_b32_e32 v3, 20, v29
	v_lshlrev_b32_e32 v4, 24, v27
	v_lshl_add_u32 v2, v2, 23, 0x3c000000
	v_and_b32_e32 v3, 0x700000, v3
	v_and_b32_e32 v4, 0x80000000, v4
	v_or3_b32 v71, v3, v4, v2
.LBB351_536:                            ;   in Loop: Header=BB351_15 Depth=1
	s_or_b32 exec_lo, exec_lo, s22
.LBB351_537:                            ;   in Loop: Header=BB351_15 Depth=1
	s_or_b32 exec_lo, exec_lo, s21
.LBB351_538:                            ;   in Loop: Header=BB351_15 Depth=1
	s_or_b32 exec_lo, exec_lo, s20
	v_cmp_ne_u16_sdwa s5, v27, v14 src0_sel:BYTE_1 src1_sel:DWORD
	s_and_saveexec_b32 s20, s5
	s_cbranch_execz .LBB351_546
; %bb.539:                              ;   in Loop: Header=BB351_15 Depth=1
	v_cmp_ne_u16_sdwa s5, v27, v98 src0_sel:BYTE_1 src1_sel:DWORD
	v_bfrev_b32_e32 v7, 1
	s_and_saveexec_b32 s21, s5
	s_cbranch_execz .LBB351_545
; %bb.540:                              ;   in Loop: Header=BB351_15 Depth=1
	v_mov_b32_e32 v2, 0xffff
	v_mov_b32_e32 v7, 0x7f800001
	s_mov_b32 s22, exec_lo
	v_and_b32_sdwa v2, v2, v27 dst_sel:DWORD dst_unused:UNUSED_PAD src0_sel:DWORD src1_sel:BYTE_1
	v_and_b32_e32 v3, 0x7f, v2
	v_cmpx_ne_u32_e32 0x7f, v3
	s_cbranch_execz .LBB351_544
; %bb.541:                              ;   in Loop: Header=BB351_15 Depth=1
	v_and_b32_e32 v13, 7, v2
	v_mov_b32_e32 v30, v14
	v_lshrrev_b32_e32 v2, 3, v3
	s_mov_b32 s23, exec_lo
	v_mov_b32_e32 v29, v13
	v_cmpx_gt_u32_e32 8, v3
; %bb.542:                              ;   in Loop: Header=BB351_15 Depth=1
	v_ffbh_u32_e32 v2, v13
	v_min_u32_e32 v2, 32, v2
	v_subrev_nc_u32_e32 v3, 28, v2
	v_sub_nc_u32_e32 v2, 29, v2
	v_lshlrev_b64 v[3:4], v3, v[13:14]
	v_and_b32_e32 v29, 7, v3
; %bb.543:                              ;   in Loop: Header=BB351_15 Depth=1
	s_or_b32 exec_lo, exec_lo, s23
	v_lshlrev_b32_e32 v3, 16, v27
	v_lshlrev_b32_e32 v4, 20, v29
	v_lshl_add_u32 v2, v2, 23, 0x3c000000
	v_and_b32_e32 v3, 0x80000000, v3
	v_or3_b32 v7, v4, v3, v2
.LBB351_544:                            ;   in Loop: Header=BB351_15 Depth=1
	s_or_b32 exec_lo, exec_lo, s22
.LBB351_545:                            ;   in Loop: Header=BB351_15 Depth=1
	s_or_b32 exec_lo, exec_lo, s21
.LBB351_546:                            ;   in Loop: Header=BB351_15 Depth=1
	s_or_b32 exec_lo, exec_lo, s20
	v_mov_b32_e32 v34, 0xff
	v_and_b32_sdwa v2, v27, v5 dst_sel:DWORD dst_unused:UNUSED_PAD src0_sel:WORD_1 src1_sel:DWORD
	v_mov_b32_e32 v11, 0
	v_mov_b32_e32 v6, 0
	s_mov_b32 s20, exec_lo
	v_cmpx_ne_u16_e32 0, v2
	s_cbranch_execz .LBB351_554
; %bb.547:                              ;   in Loop: Header=BB351_15 Depth=1
	v_bfrev_b32_e32 v6, 1
	s_mov_b32 s21, exec_lo
	v_cmpx_ne_u16_e32 0x80, v2
	s_cbranch_execz .LBB351_553
; %bb.548:                              ;   in Loop: Header=BB351_15 Depth=1
	v_bfe_u32 v3, v27, 16, 7
	v_mov_b32_e32 v6, 0x7f800001
	s_mov_b32 s22, exec_lo
	v_cmpx_ne_u32_e32 0x7f, v3
	s_cbranch_execz .LBB351_552
; %bb.549:                              ;   in Loop: Header=BB351_15 Depth=1
	v_mov_b32_e32 v2, 7
	s_mov_b32 s23, exec_lo
	v_and_b32_sdwa v13, v27, v2 dst_sel:DWORD dst_unused:UNUSED_PAD src0_sel:WORD_1 src1_sel:DWORD
	v_mov_b32_e32 v30, v14
	v_lshrrev_b32_e32 v2, 3, v3
	v_mov_b32_e32 v29, v13
	v_cmpx_gt_u32_e32 8, v3
; %bb.550:                              ;   in Loop: Header=BB351_15 Depth=1
	v_ffbh_u32_e32 v2, v13
	v_min_u32_e32 v2, 32, v2
	v_subrev_nc_u32_e32 v3, 28, v2
	v_sub_nc_u32_e32 v2, 29, v2
	v_lshlrev_b64 v[3:4], v3, v[13:14]
	v_and_b32_e32 v29, 7, v3
; %bb.551:                              ;   in Loop: Header=BB351_15 Depth=1
	s_or_b32 exec_lo, exec_lo, s23
	v_mov_b32_e32 v3, 24
	v_lshlrev_b32_e32 v4, 20, v29
	v_lshl_add_u32 v2, v2, 23, 0x3c000000
	v_lshlrev_b32_sdwa v3, v3, v27 dst_sel:DWORD dst_unused:UNUSED_PAD src0_sel:DWORD src1_sel:WORD_1
	v_and_b32_e32 v3, 0x80000000, v3
	v_or3_b32 v6, v4, v3, v2
.LBB351_552:                            ;   in Loop: Header=BB351_15 Depth=1
	s_or_b32 exec_lo, exec_lo, s22
.LBB351_553:                            ;   in Loop: Header=BB351_15 Depth=1
	s_or_b32 exec_lo, exec_lo, s21
.LBB351_554:                            ;   in Loop: Header=BB351_15 Depth=1
	s_or_b32 exec_lo, exec_lo, s20
	s_mov_b32 s20, exec_lo
	v_cmpx_lt_u32_e32 0xffffff, v27
	s_cbranch_execz .LBB351_562
; %bb.555:                              ;   in Loop: Header=BB351_15 Depth=1
	v_cmp_ne_u32_sdwa s5, v27, v98 src0_sel:BYTE_3 src1_sel:DWORD
	v_bfrev_b32_e32 v11, 1
	s_and_saveexec_b32 s21, s5
	s_cbranch_execz .LBB351_561
; %bb.556:                              ;   in Loop: Header=BB351_15 Depth=1
	v_bfe_u32 v3, v27, 24, 7
	v_mov_b32_e32 v11, 0x7f800001
	s_mov_b32 s22, exec_lo
	v_cmpx_ne_u32_e32 0x7f, v3
	s_cbranch_execz .LBB351_560
; %bb.557:                              ;   in Loop: Header=BB351_15 Depth=1
	v_mov_b32_e32 v2, 7
	s_mov_b32 s23, exec_lo
	v_and_b32_sdwa v13, v27, v2 dst_sel:DWORD dst_unused:UNUSED_PAD src0_sel:BYTE_3 src1_sel:DWORD
	v_mov_b32_e32 v30, v14
	v_lshrrev_b32_e32 v2, 3, v3
	v_mov_b32_e32 v29, v13
	v_cmpx_gt_u32_e32 8, v3
; %bb.558:                              ;   in Loop: Header=BB351_15 Depth=1
	v_ffbh_u32_e32 v2, v13
	v_min_u32_e32 v2, 32, v2
	v_subrev_nc_u32_e32 v3, 28, v2
	v_sub_nc_u32_e32 v2, 29, v2
	v_lshlrev_b64 v[3:4], v3, v[13:14]
	v_and_b32_e32 v29, 7, v3
; %bb.559:                              ;   in Loop: Header=BB351_15 Depth=1
	s_or_b32 exec_lo, exec_lo, s23
	v_mov_b32_e32 v3, 24
	v_lshlrev_b32_e32 v4, 20, v29
	v_lshl_add_u32 v2, v2, 23, 0x3c000000
	v_lshlrev_b32_sdwa v3, v3, v27 dst_sel:DWORD dst_unused:UNUSED_PAD src0_sel:DWORD src1_sel:BYTE_3
	v_and_b32_e32 v3, 0x80000000, v3
	v_or3_b32 v11, v4, v3, v2
.LBB351_560:                            ;   in Loop: Header=BB351_15 Depth=1
	s_or_b32 exec_lo, exec_lo, s22
.LBB351_561:                            ;   in Loop: Header=BB351_15 Depth=1
	s_or_b32 exec_lo, exec_lo, s21
.LBB351_562:                            ;   in Loop: Header=BB351_15 Depth=1
	s_or_b32 exec_lo, exec_lo, s20
	v_mov_b32_e32 v13, v28
	v_cmp_ne_u16_sdwa s5, v28, v14 src0_sel:BYTE_0 src1_sel:DWORD
	v_mov_b32_e32 v33, 0
	v_mov_b32_e32 v10, 0
	s_and_saveexec_b32 s20, s5
	s_cbranch_execz .LBB351_570
; %bb.563:                              ;   in Loop: Header=BB351_15 Depth=1
	v_cmp_ne_u16_sdwa s5, v28, v98 src0_sel:BYTE_0 src1_sel:DWORD
	v_bfrev_b32_e32 v10, 1
	s_and_saveexec_b32 s21, s5
	s_cbranch_execz .LBB351_569
; %bb.564:                              ;   in Loop: Header=BB351_15 Depth=1
	v_and_b32_e32 v3, 0x7f, v28
	v_mov_b32_e32 v10, 0x7f800001
	s_mov_b32 s22, exec_lo
	v_cmpx_ne_u32_e32 0x7f, v3
	s_cbranch_execz .LBB351_568
; %bb.565:                              ;   in Loop: Header=BB351_15 Depth=1
	v_mov_b32_e32 v30, v14
	v_lshrrev_b32_e32 v2, 3, v3
	v_mov_b32_e32 v29, v13
	s_mov_b32 s23, exec_lo
	v_cmpx_gt_u32_e32 8, v3
; %bb.566:                              ;   in Loop: Header=BB351_15 Depth=1
	v_and_b32_e32 v2, 7, v28
	v_ffbh_u32_e32 v2, v2
	v_min_u32_e32 v2, 32, v2
	v_subrev_nc_u32_e32 v3, 28, v2
	v_sub_nc_u32_e32 v2, 29, v2
	v_lshlrev_b64 v[29:30], v3, v[13:14]
; %bb.567:                              ;   in Loop: Header=BB351_15 Depth=1
	s_or_b32 exec_lo, exec_lo, s23
	v_lshlrev_b32_e32 v3, 20, v29
	v_lshlrev_b32_e32 v4, 24, v13
	v_lshl_add_u32 v2, v2, 23, 0x3c000000
	v_and_b32_e32 v3, 0x700000, v3
	v_and_b32_e32 v4, 0x80000000, v4
	v_or3_b32 v10, v3, v4, v2
.LBB351_568:                            ;   in Loop: Header=BB351_15 Depth=1
	s_or_b32 exec_lo, exec_lo, s22
.LBB351_569:                            ;   in Loop: Header=BB351_15 Depth=1
	s_or_b32 exec_lo, exec_lo, s21
.LBB351_570:                            ;   in Loop: Header=BB351_15 Depth=1
	s_or_b32 exec_lo, exec_lo, s20
	v_cmp_ne_u16_sdwa s5, v13, v14 src0_sel:BYTE_1 src1_sel:DWORD
	s_and_saveexec_b32 s20, s5
	s_cbranch_execz .LBB351_578
; %bb.571:                              ;   in Loop: Header=BB351_15 Depth=1
	v_cmp_ne_u16_sdwa s5, v13, v98 src0_sel:BYTE_1 src1_sel:DWORD
	v_bfrev_b32_e32 v33, 1
	s_and_saveexec_b32 s21, s5
	s_cbranch_execz .LBB351_577
; %bb.572:                              ;   in Loop: Header=BB351_15 Depth=1
	v_mov_b32_e32 v2, 0xffff
	v_mov_b32_e32 v33, 0x7f800001
	s_mov_b32 s22, exec_lo
	v_and_b32_sdwa v2, v2, v13 dst_sel:DWORD dst_unused:UNUSED_PAD src0_sel:DWORD src1_sel:BYTE_1
	v_and_b32_e32 v3, 0x7f, v2
	v_cmpx_ne_u32_e32 0x7f, v3
	s_cbranch_execz .LBB351_576
; %bb.573:                              ;   in Loop: Header=BB351_15 Depth=1
	v_and_b32_e32 v29, 7, v2
	v_mov_b32_e32 v30, v14
	v_lshrrev_b32_e32 v2, 3, v3
	s_mov_b32 s23, exec_lo
	v_cmpx_gt_u32_e32 8, v3
; %bb.574:                              ;   in Loop: Header=BB351_15 Depth=1
	v_ffbh_u32_e32 v2, v29
	v_min_u32_e32 v2, 32, v2
	v_subrev_nc_u32_e32 v3, 28, v2
	v_sub_nc_u32_e32 v2, 29, v2
	v_lshlrev_b64 v[3:4], v3, v[29:30]
	v_and_b32_e32 v29, 7, v3
; %bb.575:                              ;   in Loop: Header=BB351_15 Depth=1
	s_or_b32 exec_lo, exec_lo, s23
	v_lshlrev_b32_e32 v3, 16, v13
	v_lshlrev_b32_e32 v4, 20, v29
	v_lshl_add_u32 v2, v2, 23, 0x3c000000
	v_and_b32_e32 v3, 0x80000000, v3
	v_or3_b32 v33, v4, v3, v2
.LBB351_576:                            ;   in Loop: Header=BB351_15 Depth=1
	s_or_b32 exec_lo, exec_lo, s22
.LBB351_577:                            ;   in Loop: Header=BB351_15 Depth=1
	s_or_b32 exec_lo, exec_lo, s21
.LBB351_578:                            ;   in Loop: Header=BB351_15 Depth=1
	s_or_b32 exec_lo, exec_lo, s20
	v_and_b32_sdwa v4, v28, v34 dst_sel:DWORD dst_unused:UNUSED_PAD src0_sel:WORD_1 src1_sel:DWORD
	v_mov_b32_e32 v2, 0
	v_mov_b32_e32 v3, 0
	s_mov_b32 s20, exec_lo
	v_cmpx_ne_u16_e32 0, v4
	s_cbranch_execz .LBB351_586
; %bb.579:                              ;   in Loop: Header=BB351_15 Depth=1
	v_bfrev_b32_e32 v3, 1
	s_mov_b32 s21, exec_lo
	v_cmpx_ne_u16_e32 0x80, v4
	s_cbranch_execz .LBB351_585
; %bb.580:                              ;   in Loop: Header=BB351_15 Depth=1
	v_bfe_u32 v4, v28, 16, 7
	v_mov_b32_e32 v3, 0x7f800001
	s_mov_b32 s22, exec_lo
	v_cmpx_ne_u32_e32 0x7f, v4
	s_cbranch_execz .LBB351_584
; %bb.581:                              ;   in Loop: Header=BB351_15 Depth=1
	v_mov_b32_e32 v3, 7
	s_mov_b32 s23, exec_lo
	v_and_b32_sdwa v13, v28, v3 dst_sel:DWORD dst_unused:UNUSED_PAD src0_sel:WORD_1 src1_sel:DWORD
	v_mov_b32_e32 v30, v14
	v_lshrrev_b32_e32 v3, 3, v4
	v_mov_b32_e32 v29, v13
	v_cmpx_gt_u32_e32 8, v4
; %bb.582:                              ;   in Loop: Header=BB351_15 Depth=1
	v_ffbh_u32_e32 v3, v13
	v_min_u32_e32 v3, 32, v3
	v_subrev_nc_u32_e32 v4, 28, v3
	v_sub_nc_u32_e32 v3, 29, v3
	v_lshlrev_b64 v[4:5], v4, v[13:14]
	v_and_b32_e32 v29, 7, v4
; %bb.583:                              ;   in Loop: Header=BB351_15 Depth=1
	s_or_b32 exec_lo, exec_lo, s23
	v_mov_b32_e32 v4, 24
	v_lshlrev_b32_e32 v5, 20, v29
	v_lshl_add_u32 v3, v3, 23, 0x3c000000
	v_lshlrev_b32_sdwa v4, v4, v28 dst_sel:DWORD dst_unused:UNUSED_PAD src0_sel:DWORD src1_sel:WORD_1
	v_and_b32_e32 v4, 0x80000000, v4
	v_or3_b32 v3, v5, v4, v3
.LBB351_584:                            ;   in Loop: Header=BB351_15 Depth=1
	s_or_b32 exec_lo, exec_lo, s22
.LBB351_585:                            ;   in Loop: Header=BB351_15 Depth=1
	s_or_b32 exec_lo, exec_lo, s21
.LBB351_586:                            ;   in Loop: Header=BB351_15 Depth=1
	s_or_b32 exec_lo, exec_lo, s20
	s_mov_b32 s20, exec_lo
	v_cmpx_lt_u64_e64 s[12:13], v[27:28]
	s_cbranch_execz .LBB351_594
; %bb.587:                              ;   in Loop: Header=BB351_15 Depth=1
	v_cmp_ne_u32_sdwa s5, v28, v98 src0_sel:BYTE_3 src1_sel:DWORD
	v_bfrev_b32_e32 v2, 1
	s_and_saveexec_b32 s21, s5
	s_cbranch_execz .LBB351_593
; %bb.588:                              ;   in Loop: Header=BB351_15 Depth=1
	v_bfe_u32 v4, v28, 24, 7
	v_mov_b32_e32 v2, 0x7f800001
	s_mov_b32 s22, exec_lo
	v_cmpx_ne_u32_e32 0x7f, v4
	s_cbranch_execz .LBB351_592
; %bb.589:                              ;   in Loop: Header=BB351_15 Depth=1
	v_mov_b32_e32 v2, 7
	s_mov_b32 s23, exec_lo
	v_and_b32_sdwa v13, v28, v2 dst_sel:DWORD dst_unused:UNUSED_PAD src0_sel:BYTE_3 src1_sel:DWORD
	v_mov_b32_e32 v30, v14
	v_lshrrev_b32_e32 v2, 3, v4
	v_mov_b32_e32 v29, v13
	v_cmpx_gt_u32_e32 8, v4
; %bb.590:                              ;   in Loop: Header=BB351_15 Depth=1
	v_ffbh_u32_e32 v2, v13
	v_min_u32_e32 v2, 32, v2
	v_subrev_nc_u32_e32 v4, 28, v2
	v_sub_nc_u32_e32 v2, 29, v2
	v_lshlrev_b64 v[4:5], v4, v[13:14]
	v_and_b32_e32 v29, 7, v4
; %bb.591:                              ;   in Loop: Header=BB351_15 Depth=1
	s_or_b32 exec_lo, exec_lo, s23
	v_mov_b32_e32 v4, 24
	v_lshlrev_b32_e32 v5, 20, v29
	v_lshl_add_u32 v2, v2, 23, 0x3c000000
	v_lshlrev_b32_sdwa v4, v4, v28 dst_sel:DWORD dst_unused:UNUSED_PAD src0_sel:DWORD src1_sel:BYTE_3
	v_and_b32_e32 v4, 0x80000000, v4
	v_or3_b32 v2, v5, v4, v2
.LBB351_592:                            ;   in Loop: Header=BB351_15 Depth=1
	s_or_b32 exec_lo, exec_lo, s22
.LBB351_593:                            ;   in Loop: Header=BB351_15 Depth=1
	s_or_b32 exec_lo, exec_lo, s21
.LBB351_594:                            ;   in Loop: Header=BB351_15 Depth=1
	s_or_b32 exec_lo, exec_lo, s20
	flat_load_dwordx2 v[27:28], v[24:25] offset:8
	v_mov_b32_e32 v26, 0
	v_mov_b32_e32 v19, 0
	s_waitcnt vmcnt(0) lgkmcnt(0)
	v_cmp_ne_u16_sdwa s5, v27, v14 src0_sel:BYTE_0 src1_sel:DWORD
	s_and_saveexec_b32 s20, s5
	s_cbranch_execz .LBB351_602
; %bb.595:                              ;   in Loop: Header=BB351_15 Depth=1
	v_cmp_ne_u16_sdwa s5, v27, v98 src0_sel:BYTE_0 src1_sel:DWORD
	v_bfrev_b32_e32 v19, 1
	s_and_saveexec_b32 s21, s5
	s_cbranch_execz .LBB351_601
; %bb.596:                              ;   in Loop: Header=BB351_15 Depth=1
	v_and_b32_e32 v5, 0x7f, v27
	v_mov_b32_e32 v19, 0x7f800001
	s_mov_b32 s22, exec_lo
	v_cmpx_ne_u32_e32 0x7f, v5
	s_cbranch_execz .LBB351_600
; %bb.597:                              ;   in Loop: Header=BB351_15 Depth=1
	v_mov_b32_e32 v30, v28
	v_lshrrev_b32_e32 v4, 3, v5
	v_mov_b32_e32 v29, v27
	s_mov_b32 s23, exec_lo
	v_cmpx_gt_u32_e32 8, v5
; %bb.598:                              ;   in Loop: Header=BB351_15 Depth=1
	v_and_b32_e32 v4, 7, v27
	v_ffbh_u32_e32 v4, v4
	v_min_u32_e32 v4, 32, v4
	v_subrev_nc_u32_e32 v5, 28, v4
	v_sub_nc_u32_e32 v4, 29, v4
	v_lshlrev_b64 v[29:30], v5, v[27:28]
; %bb.599:                              ;   in Loop: Header=BB351_15 Depth=1
	s_or_b32 exec_lo, exec_lo, s23
	v_lshlrev_b32_e32 v5, 20, v29
	v_lshlrev_b32_e32 v9, 24, v27
	v_lshl_add_u32 v4, v4, 23, 0x3c000000
	v_and_b32_e32 v5, 0x700000, v5
	v_and_b32_e32 v9, 0x80000000, v9
	v_or3_b32 v19, v5, v9, v4
.LBB351_600:                            ;   in Loop: Header=BB351_15 Depth=1
	s_or_b32 exec_lo, exec_lo, s22
.LBB351_601:                            ;   in Loop: Header=BB351_15 Depth=1
	s_or_b32 exec_lo, exec_lo, s21
.LBB351_602:                            ;   in Loop: Header=BB351_15 Depth=1
	s_or_b32 exec_lo, exec_lo, s20
	v_cmp_ne_u16_sdwa s5, v27, v14 src0_sel:BYTE_1 src1_sel:DWORD
	s_and_saveexec_b32 s20, s5
	s_cbranch_execz .LBB351_610
; %bb.603:                              ;   in Loop: Header=BB351_15 Depth=1
	v_cmp_ne_u16_sdwa s5, v27, v98 src0_sel:BYTE_1 src1_sel:DWORD
	v_bfrev_b32_e32 v26, 1
	s_and_saveexec_b32 s21, s5
	s_cbranch_execz .LBB351_609
; %bb.604:                              ;   in Loop: Header=BB351_15 Depth=1
	v_mov_b32_e32 v4, 0xffff
	v_mov_b32_e32 v26, 0x7f800001
	s_mov_b32 s22, exec_lo
	v_and_b32_sdwa v4, v4, v27 dst_sel:DWORD dst_unused:UNUSED_PAD src0_sel:DWORD src1_sel:BYTE_1
	v_and_b32_e32 v5, 0x7f, v4
	v_cmpx_ne_u32_e32 0x7f, v5
	s_cbranch_execz .LBB351_608
; %bb.605:                              ;   in Loop: Header=BB351_15 Depth=1
	v_and_b32_e32 v13, 7, v4
	v_mov_b32_e32 v30, v14
	v_lshrrev_b32_e32 v4, 3, v5
	s_mov_b32 s23, exec_lo
	v_mov_b32_e32 v29, v13
	v_cmpx_gt_u32_e32 8, v5
; %bb.606:                              ;   in Loop: Header=BB351_15 Depth=1
	v_ffbh_u32_e32 v4, v13
	v_min_u32_e32 v4, 32, v4
	v_subrev_nc_u32_e32 v5, 28, v4
	v_sub_nc_u32_e32 v4, 29, v4
	v_lshlrev_b64 v[20:21], v5, v[13:14]
	v_and_b32_e32 v29, 7, v20
; %bb.607:                              ;   in Loop: Header=BB351_15 Depth=1
	s_or_b32 exec_lo, exec_lo, s23
	v_lshlrev_b32_e32 v5, 16, v27
	v_lshlrev_b32_e32 v9, 20, v29
	v_lshl_add_u32 v4, v4, 23, 0x3c000000
	v_and_b32_e32 v5, 0x80000000, v5
	v_or3_b32 v26, v9, v5, v4
.LBB351_608:                            ;   in Loop: Header=BB351_15 Depth=1
	s_or_b32 exec_lo, exec_lo, s22
.LBB351_609:                            ;   in Loop: Header=BB351_15 Depth=1
	s_or_b32 exec_lo, exec_lo, s21
.LBB351_610:                            ;   in Loop: Header=BB351_15 Depth=1
	s_or_b32 exec_lo, exec_lo, s20
	v_and_b32_sdwa v4, v27, v34 dst_sel:DWORD dst_unused:UNUSED_PAD src0_sel:WORD_1 src1_sel:DWORD
	v_mov_b32_e32 v31, 0
	v_mov_b32_e32 v38, 0
	s_mov_b32 s20, exec_lo
	v_cmpx_ne_u16_e32 0, v4
	s_cbranch_execz .LBB351_618
; %bb.611:                              ;   in Loop: Header=BB351_15 Depth=1
	v_bfrev_b32_e32 v38, 1
	s_mov_b32 s21, exec_lo
	v_cmpx_ne_u16_e32 0x80, v4
	s_cbranch_execz .LBB351_617
; %bb.612:                              ;   in Loop: Header=BB351_15 Depth=1
	v_bfe_u32 v5, v27, 16, 7
	v_mov_b32_e32 v38, 0x7f800001
	s_mov_b32 s22, exec_lo
	v_cmpx_ne_u32_e32 0x7f, v5
	s_cbranch_execz .LBB351_616
; %bb.613:                              ;   in Loop: Header=BB351_15 Depth=1
	v_mov_b32_e32 v4, 7
	s_mov_b32 s23, exec_lo
	v_and_b32_sdwa v13, v27, v4 dst_sel:DWORD dst_unused:UNUSED_PAD src0_sel:WORD_1 src1_sel:DWORD
	v_mov_b32_e32 v30, v14
	v_lshrrev_b32_e32 v4, 3, v5
	v_mov_b32_e32 v29, v13
	v_cmpx_gt_u32_e32 8, v5
; %bb.614:                              ;   in Loop: Header=BB351_15 Depth=1
	v_ffbh_u32_e32 v4, v13
	v_min_u32_e32 v4, 32, v4
	v_subrev_nc_u32_e32 v5, 28, v4
	v_sub_nc_u32_e32 v4, 29, v4
	v_lshlrev_b64 v[20:21], v5, v[13:14]
	v_and_b32_e32 v29, 7, v20
; %bb.615:                              ;   in Loop: Header=BB351_15 Depth=1
	s_or_b32 exec_lo, exec_lo, s23
	v_mov_b32_e32 v5, 24
	v_lshlrev_b32_e32 v9, 20, v29
	v_lshl_add_u32 v4, v4, 23, 0x3c000000
	v_lshlrev_b32_sdwa v5, v5, v27 dst_sel:DWORD dst_unused:UNUSED_PAD src0_sel:DWORD src1_sel:WORD_1
	v_and_b32_e32 v5, 0x80000000, v5
	v_or3_b32 v38, v9, v5, v4
.LBB351_616:                            ;   in Loop: Header=BB351_15 Depth=1
	s_or_b32 exec_lo, exec_lo, s22
.LBB351_617:                            ;   in Loop: Header=BB351_15 Depth=1
	s_or_b32 exec_lo, exec_lo, s21
.LBB351_618:                            ;   in Loop: Header=BB351_15 Depth=1
	s_or_b32 exec_lo, exec_lo, s20
	s_mov_b32 s20, exec_lo
	v_cmpx_lt_u32_e32 0xffffff, v27
	s_cbranch_execz .LBB351_626
; %bb.619:                              ;   in Loop: Header=BB351_15 Depth=1
	v_cmp_ne_u32_sdwa s5, v27, v98 src0_sel:BYTE_3 src1_sel:DWORD
	v_bfrev_b32_e32 v31, 1
	s_and_saveexec_b32 s21, s5
	s_cbranch_execz .LBB351_625
; %bb.620:                              ;   in Loop: Header=BB351_15 Depth=1
	v_bfe_u32 v5, v27, 24, 7
	v_mov_b32_e32 v31, 0x7f800001
	s_mov_b32 s22, exec_lo
	v_cmpx_ne_u32_e32 0x7f, v5
	s_cbranch_execz .LBB351_624
; %bb.621:                              ;   in Loop: Header=BB351_15 Depth=1
	v_mov_b32_e32 v4, 7
	s_mov_b32 s23, exec_lo
	v_and_b32_sdwa v13, v27, v4 dst_sel:DWORD dst_unused:UNUSED_PAD src0_sel:BYTE_3 src1_sel:DWORD
	v_mov_b32_e32 v30, v14
	v_lshrrev_b32_e32 v4, 3, v5
	v_mov_b32_e32 v29, v13
	v_cmpx_gt_u32_e32 8, v5
; %bb.622:                              ;   in Loop: Header=BB351_15 Depth=1
	v_ffbh_u32_e32 v4, v13
	v_min_u32_e32 v4, 32, v4
	v_subrev_nc_u32_e32 v5, 28, v4
	v_sub_nc_u32_e32 v4, 29, v4
	v_lshlrev_b64 v[20:21], v5, v[13:14]
	v_and_b32_e32 v29, 7, v20
; %bb.623:                              ;   in Loop: Header=BB351_15 Depth=1
	s_or_b32 exec_lo, exec_lo, s23
	v_mov_b32_e32 v5, 24
	v_lshlrev_b32_e32 v9, 20, v29
	v_lshl_add_u32 v4, v4, 23, 0x3c000000
	v_lshlrev_b32_sdwa v5, v5, v27 dst_sel:DWORD dst_unused:UNUSED_PAD src0_sel:DWORD src1_sel:BYTE_3
	v_and_b32_e32 v5, 0x80000000, v5
	v_or3_b32 v31, v9, v5, v4
.LBB351_624:                            ;   in Loop: Header=BB351_15 Depth=1
	s_or_b32 exec_lo, exec_lo, s22
.LBB351_625:                            ;   in Loop: Header=BB351_15 Depth=1
	s_or_b32 exec_lo, exec_lo, s21
.LBB351_626:                            ;   in Loop: Header=BB351_15 Depth=1
	s_or_b32 exec_lo, exec_lo, s20
	v_mov_b32_e32 v13, v28
	v_cmp_ne_u16_sdwa s5, v28, v14 src0_sel:BYTE_0 src1_sel:DWORD
	v_mov_b32_e32 v22, 0
	v_mov_b32_e32 v23, 0
	s_and_saveexec_b32 s20, s5
	s_cbranch_execz .LBB351_634
; %bb.627:                              ;   in Loop: Header=BB351_15 Depth=1
	v_cmp_ne_u16_sdwa s5, v28, v98 src0_sel:BYTE_0 src1_sel:DWORD
	v_bfrev_b32_e32 v23, 1
	s_and_saveexec_b32 s21, s5
	s_cbranch_execz .LBB351_633
; %bb.628:                              ;   in Loop: Header=BB351_15 Depth=1
	v_and_b32_e32 v5, 0x7f, v28
	v_mov_b32_e32 v23, 0x7f800001
	s_mov_b32 s22, exec_lo
	v_cmpx_ne_u32_e32 0x7f, v5
	s_cbranch_execz .LBB351_632
; %bb.629:                              ;   in Loop: Header=BB351_15 Depth=1
	v_mov_b32_e32 v30, v14
	v_lshrrev_b32_e32 v4, 3, v5
	v_mov_b32_e32 v29, v13
	s_mov_b32 s23, exec_lo
	v_cmpx_gt_u32_e32 8, v5
; %bb.630:                              ;   in Loop: Header=BB351_15 Depth=1
	v_and_b32_e32 v4, 7, v28
	v_ffbh_u32_e32 v4, v4
	v_min_u32_e32 v4, 32, v4
	v_subrev_nc_u32_e32 v5, 28, v4
	v_sub_nc_u32_e32 v4, 29, v4
	v_lshlrev_b64 v[29:30], v5, v[13:14]
; %bb.631:                              ;   in Loop: Header=BB351_15 Depth=1
	s_or_b32 exec_lo, exec_lo, s23
	v_lshlrev_b32_e32 v5, 20, v29
	v_lshlrev_b32_e32 v9, 24, v13
	v_lshl_add_u32 v4, v4, 23, 0x3c000000
	v_and_b32_e32 v5, 0x700000, v5
	v_and_b32_e32 v9, 0x80000000, v9
	v_or3_b32 v23, v5, v9, v4
.LBB351_632:                            ;   in Loop: Header=BB351_15 Depth=1
	s_or_b32 exec_lo, exec_lo, s22
.LBB351_633:                            ;   in Loop: Header=BB351_15 Depth=1
	s_or_b32 exec_lo, exec_lo, s21
.LBB351_634:                            ;   in Loop: Header=BB351_15 Depth=1
	s_or_b32 exec_lo, exec_lo, s20
	v_cmp_ne_u16_sdwa s5, v13, v14 src0_sel:BYTE_1 src1_sel:DWORD
	s_and_saveexec_b32 s20, s5
	s_cbranch_execz .LBB351_642
; %bb.635:                              ;   in Loop: Header=BB351_15 Depth=1
	v_cmp_ne_u16_sdwa s5, v13, v98 src0_sel:BYTE_1 src1_sel:DWORD
	v_bfrev_b32_e32 v22, 1
	s_and_saveexec_b32 s21, s5
	s_cbranch_execz .LBB351_641
; %bb.636:                              ;   in Loop: Header=BB351_15 Depth=1
	v_mov_b32_e32 v4, 0xffff
	v_mov_b32_e32 v22, 0x7f800001
	s_mov_b32 s22, exec_lo
	v_and_b32_sdwa v4, v4, v13 dst_sel:DWORD dst_unused:UNUSED_PAD src0_sel:DWORD src1_sel:BYTE_1
	v_and_b32_e32 v5, 0x7f, v4
	v_cmpx_ne_u32_e32 0x7f, v5
	s_cbranch_execz .LBB351_640
; %bb.637:                              ;   in Loop: Header=BB351_15 Depth=1
	v_and_b32_e32 v29, 7, v4
	v_mov_b32_e32 v30, v14
	v_lshrrev_b32_e32 v4, 3, v5
	s_mov_b32 s23, exec_lo
	v_cmpx_gt_u32_e32 8, v5
; %bb.638:                              ;   in Loop: Header=BB351_15 Depth=1
	v_ffbh_u32_e32 v4, v29
	v_min_u32_e32 v4, 32, v4
	v_subrev_nc_u32_e32 v5, 28, v4
	v_sub_nc_u32_e32 v4, 29, v4
	v_lshlrev_b64 v[20:21], v5, v[29:30]
	v_and_b32_e32 v29, 7, v20
; %bb.639:                              ;   in Loop: Header=BB351_15 Depth=1
	s_or_b32 exec_lo, exec_lo, s23
	v_lshlrev_b32_e32 v5, 16, v13
	v_lshlrev_b32_e32 v9, 20, v29
	v_lshl_add_u32 v4, v4, 23, 0x3c000000
	v_and_b32_e32 v5, 0x80000000, v5
	v_or3_b32 v22, v9, v5, v4
.LBB351_640:                            ;   in Loop: Header=BB351_15 Depth=1
	s_or_b32 exec_lo, exec_lo, s22
.LBB351_641:                            ;   in Loop: Header=BB351_15 Depth=1
	s_or_b32 exec_lo, exec_lo, s21
.LBB351_642:                            ;   in Loop: Header=BB351_15 Depth=1
	s_or_b32 exec_lo, exec_lo, s20
	v_and_b32_sdwa v4, v28, v34 dst_sel:DWORD dst_unused:UNUSED_PAD src0_sel:WORD_1 src1_sel:DWORD
	v_mov_b32_e32 v50, 0
	v_mov_b32_e32 v18, 0
	s_mov_b32 s20, exec_lo
	v_cmpx_ne_u16_e32 0, v4
	s_cbranch_execz .LBB351_650
; %bb.643:                              ;   in Loop: Header=BB351_15 Depth=1
	v_bfrev_b32_e32 v18, 1
	s_mov_b32 s21, exec_lo
	v_cmpx_ne_u16_e32 0x80, v4
	s_cbranch_execz .LBB351_649
; %bb.644:                              ;   in Loop: Header=BB351_15 Depth=1
	v_bfe_u32 v5, v28, 16, 7
	v_mov_b32_e32 v18, 0x7f800001
	s_mov_b32 s22, exec_lo
	v_cmpx_ne_u32_e32 0x7f, v5
	s_cbranch_execz .LBB351_648
; %bb.645:                              ;   in Loop: Header=BB351_15 Depth=1
	v_mov_b32_e32 v4, 7
	s_mov_b32 s23, exec_lo
	v_and_b32_sdwa v13, v28, v4 dst_sel:DWORD dst_unused:UNUSED_PAD src0_sel:WORD_1 src1_sel:DWORD
	v_mov_b32_e32 v30, v14
	v_lshrrev_b32_e32 v4, 3, v5
	v_mov_b32_e32 v29, v13
	v_cmpx_gt_u32_e32 8, v5
; %bb.646:                              ;   in Loop: Header=BB351_15 Depth=1
	v_ffbh_u32_e32 v4, v13
	v_min_u32_e32 v4, 32, v4
	v_subrev_nc_u32_e32 v5, 28, v4
	v_sub_nc_u32_e32 v4, 29, v4
	v_lshlrev_b64 v[20:21], v5, v[13:14]
	v_and_b32_e32 v29, 7, v20
; %bb.647:                              ;   in Loop: Header=BB351_15 Depth=1
	s_or_b32 exec_lo, exec_lo, s23
	v_mov_b32_e32 v5, 24
	v_lshlrev_b32_e32 v9, 20, v29
	v_lshl_add_u32 v4, v4, 23, 0x3c000000
	v_lshlrev_b32_sdwa v5, v5, v28 dst_sel:DWORD dst_unused:UNUSED_PAD src0_sel:DWORD src1_sel:WORD_1
	v_and_b32_e32 v5, 0x80000000, v5
	v_or3_b32 v18, v9, v5, v4
.LBB351_648:                            ;   in Loop: Header=BB351_15 Depth=1
	s_or_b32 exec_lo, exec_lo, s22
.LBB351_649:                            ;   in Loop: Header=BB351_15 Depth=1
	s_or_b32 exec_lo, exec_lo, s21
.LBB351_650:                            ;   in Loop: Header=BB351_15 Depth=1
	s_or_b32 exec_lo, exec_lo, s20
	s_mov_b32 s20, exec_lo
	v_cmpx_lt_u64_e64 s[12:13], v[27:28]
	s_cbranch_execz .LBB351_658
; %bb.651:                              ;   in Loop: Header=BB351_15 Depth=1
	v_cmp_ne_u32_sdwa s5, v28, v98 src0_sel:BYTE_3 src1_sel:DWORD
	v_bfrev_b32_e32 v50, 1
	s_and_saveexec_b32 s21, s5
	s_cbranch_execz .LBB351_657
; %bb.652:                              ;   in Loop: Header=BB351_15 Depth=1
	v_bfe_u32 v5, v28, 24, 7
	v_mov_b32_e32 v50, 0x7f800001
	s_mov_b32 s22, exec_lo
	v_cmpx_ne_u32_e32 0x7f, v5
	s_cbranch_execz .LBB351_656
; %bb.653:                              ;   in Loop: Header=BB351_15 Depth=1
	v_mov_b32_e32 v4, 7
	s_mov_b32 s23, exec_lo
	v_and_b32_sdwa v13, v28, v4 dst_sel:DWORD dst_unused:UNUSED_PAD src0_sel:BYTE_3 src1_sel:DWORD
	v_mov_b32_e32 v30, v14
	v_lshrrev_b32_e32 v4, 3, v5
	v_mov_b32_e32 v29, v13
	v_cmpx_gt_u32_e32 8, v5
; %bb.654:                              ;   in Loop: Header=BB351_15 Depth=1
	v_ffbh_u32_e32 v4, v13
	v_min_u32_e32 v4, 32, v4
	v_subrev_nc_u32_e32 v5, 28, v4
	v_sub_nc_u32_e32 v4, 29, v4
	v_lshlrev_b64 v[20:21], v5, v[13:14]
	v_and_b32_e32 v29, 7, v20
; %bb.655:                              ;   in Loop: Header=BB351_15 Depth=1
	s_or_b32 exec_lo, exec_lo, s23
	v_mov_b32_e32 v5, 24
	v_lshlrev_b32_e32 v9, 20, v29
	v_lshl_add_u32 v4, v4, 23, 0x3c000000
	v_lshlrev_b32_sdwa v5, v5, v28 dst_sel:DWORD dst_unused:UNUSED_PAD src0_sel:DWORD src1_sel:BYTE_3
	v_and_b32_e32 v5, 0x80000000, v5
	v_or3_b32 v50, v9, v5, v4
.LBB351_656:                            ;   in Loop: Header=BB351_15 Depth=1
	s_or_b32 exec_lo, exec_lo, s22
.LBB351_657:                            ;   in Loop: Header=BB351_15 Depth=1
	s_or_b32 exec_lo, exec_lo, s21
.LBB351_658:                            ;   in Loop: Header=BB351_15 Depth=1
	s_or_b32 exec_lo, exec_lo, s20
	flat_load_dwordx2 v[27:28], v[24:25] offset:512
	v_mov_b32_e32 v52, 0
	v_mov_b32_e32 v51, 0
	s_waitcnt vmcnt(0) lgkmcnt(0)
	v_cmp_ne_u16_sdwa s5, v27, v14 src0_sel:BYTE_0 src1_sel:DWORD
	s_and_saveexec_b32 s20, s5
	s_cbranch_execz .LBB351_666
; %bb.659:                              ;   in Loop: Header=BB351_15 Depth=1
	v_cmp_ne_u16_sdwa s5, v27, v98 src0_sel:BYTE_0 src1_sel:DWORD
	v_bfrev_b32_e32 v51, 1
	s_and_saveexec_b32 s21, s5
	s_cbranch_execz .LBB351_665
; %bb.660:                              ;   in Loop: Header=BB351_15 Depth=1
	v_and_b32_e32 v5, 0x7f, v27
	v_mov_b32_e32 v51, 0x7f800001
	s_mov_b32 s22, exec_lo
	v_cmpx_ne_u32_e32 0x7f, v5
	s_cbranch_execz .LBB351_664
; %bb.661:                              ;   in Loop: Header=BB351_15 Depth=1
	v_mov_b32_e32 v30, v28
	v_lshrrev_b32_e32 v4, 3, v5
	v_mov_b32_e32 v29, v27
	s_mov_b32 s23, exec_lo
	v_cmpx_gt_u32_e32 8, v5
; %bb.662:                              ;   in Loop: Header=BB351_15 Depth=1
	v_and_b32_e32 v4, 7, v27
	v_ffbh_u32_e32 v4, v4
	v_min_u32_e32 v4, 32, v4
	v_subrev_nc_u32_e32 v5, 28, v4
	v_sub_nc_u32_e32 v4, 29, v4
	v_lshlrev_b64 v[29:30], v5, v[27:28]
; %bb.663:                              ;   in Loop: Header=BB351_15 Depth=1
	s_or_b32 exec_lo, exec_lo, s23
	v_lshlrev_b32_e32 v5, 20, v29
	v_lshlrev_b32_e32 v9, 24, v27
	v_lshl_add_u32 v4, v4, 23, 0x3c000000
	v_and_b32_e32 v5, 0x700000, v5
	v_and_b32_e32 v9, 0x80000000, v9
	v_or3_b32 v51, v5, v9, v4
.LBB351_664:                            ;   in Loop: Header=BB351_15 Depth=1
	s_or_b32 exec_lo, exec_lo, s22
.LBB351_665:                            ;   in Loop: Header=BB351_15 Depth=1
	s_or_b32 exec_lo, exec_lo, s21
.LBB351_666:                            ;   in Loop: Header=BB351_15 Depth=1
	s_or_b32 exec_lo, exec_lo, s20
	v_cmp_ne_u16_sdwa s5, v27, v14 src0_sel:BYTE_1 src1_sel:DWORD
	s_and_saveexec_b32 s20, s5
	s_cbranch_execz .LBB351_674
; %bb.667:                              ;   in Loop: Header=BB351_15 Depth=1
	v_cmp_ne_u16_sdwa s5, v27, v98 src0_sel:BYTE_1 src1_sel:DWORD
	v_bfrev_b32_e32 v52, 1
	s_and_saveexec_b32 s21, s5
	s_cbranch_execz .LBB351_673
; %bb.668:                              ;   in Loop: Header=BB351_15 Depth=1
	v_mov_b32_e32 v4, 0xffff
	v_mov_b32_e32 v52, 0x7f800001
	s_mov_b32 s22, exec_lo
	v_and_b32_sdwa v4, v4, v27 dst_sel:DWORD dst_unused:UNUSED_PAD src0_sel:DWORD src1_sel:BYTE_1
	v_and_b32_e32 v5, 0x7f, v4
	v_cmpx_ne_u32_e32 0x7f, v5
	s_cbranch_execz .LBB351_672
; %bb.669:                              ;   in Loop: Header=BB351_15 Depth=1
	v_and_b32_e32 v13, 7, v4
	v_mov_b32_e32 v30, v14
	v_lshrrev_b32_e32 v4, 3, v5
	s_mov_b32 s23, exec_lo
	v_mov_b32_e32 v29, v13
	v_cmpx_gt_u32_e32 8, v5
; %bb.670:                              ;   in Loop: Header=BB351_15 Depth=1
	v_ffbh_u32_e32 v4, v13
	v_min_u32_e32 v4, 32, v4
	v_subrev_nc_u32_e32 v5, 28, v4
	v_sub_nc_u32_e32 v4, 29, v4
	v_lshlrev_b64 v[20:21], v5, v[13:14]
	v_and_b32_e32 v29, 7, v20
; %bb.671:                              ;   in Loop: Header=BB351_15 Depth=1
	s_or_b32 exec_lo, exec_lo, s23
	v_lshlrev_b32_e32 v5, 16, v27
	v_lshlrev_b32_e32 v9, 20, v29
	v_lshl_add_u32 v4, v4, 23, 0x3c000000
	v_and_b32_e32 v5, 0x80000000, v5
	v_or3_b32 v52, v9, v5, v4
.LBB351_672:                            ;   in Loop: Header=BB351_15 Depth=1
	s_or_b32 exec_lo, exec_lo, s22
.LBB351_673:                            ;   in Loop: Header=BB351_15 Depth=1
	s_or_b32 exec_lo, exec_lo, s21
.LBB351_674:                            ;   in Loop: Header=BB351_15 Depth=1
	s_or_b32 exec_lo, exec_lo, s20
	v_and_b32_sdwa v4, v27, v34 dst_sel:DWORD dst_unused:UNUSED_PAD src0_sel:WORD_1 src1_sel:DWORD
	v_mov_b32_e32 v54, 0
	v_mov_b32_e32 v53, 0
	s_mov_b32 s20, exec_lo
	v_cmpx_ne_u16_e32 0, v4
	s_cbranch_execz .LBB351_682
; %bb.675:                              ;   in Loop: Header=BB351_15 Depth=1
	v_bfrev_b32_e32 v53, 1
	s_mov_b32 s21, exec_lo
	v_cmpx_ne_u16_e32 0x80, v4
	s_cbranch_execz .LBB351_681
; %bb.676:                              ;   in Loop: Header=BB351_15 Depth=1
	v_bfe_u32 v5, v27, 16, 7
	v_mov_b32_e32 v53, 0x7f800001
	s_mov_b32 s22, exec_lo
	v_cmpx_ne_u32_e32 0x7f, v5
	s_cbranch_execz .LBB351_680
; %bb.677:                              ;   in Loop: Header=BB351_15 Depth=1
	v_mov_b32_e32 v4, 7
	s_mov_b32 s23, exec_lo
	v_and_b32_sdwa v13, v27, v4 dst_sel:DWORD dst_unused:UNUSED_PAD src0_sel:WORD_1 src1_sel:DWORD
	v_mov_b32_e32 v30, v14
	v_lshrrev_b32_e32 v4, 3, v5
	v_mov_b32_e32 v29, v13
	v_cmpx_gt_u32_e32 8, v5
; %bb.678:                              ;   in Loop: Header=BB351_15 Depth=1
	v_ffbh_u32_e32 v4, v13
	v_min_u32_e32 v4, 32, v4
	v_subrev_nc_u32_e32 v5, 28, v4
	v_sub_nc_u32_e32 v4, 29, v4
	v_lshlrev_b64 v[20:21], v5, v[13:14]
	v_and_b32_e32 v29, 7, v20
; %bb.679:                              ;   in Loop: Header=BB351_15 Depth=1
	s_or_b32 exec_lo, exec_lo, s23
	v_mov_b32_e32 v5, 24
	v_lshlrev_b32_e32 v9, 20, v29
	v_lshl_add_u32 v4, v4, 23, 0x3c000000
	v_lshlrev_b32_sdwa v5, v5, v27 dst_sel:DWORD dst_unused:UNUSED_PAD src0_sel:DWORD src1_sel:WORD_1
	v_and_b32_e32 v5, 0x80000000, v5
	v_or3_b32 v53, v9, v5, v4
.LBB351_680:                            ;   in Loop: Header=BB351_15 Depth=1
	s_or_b32 exec_lo, exec_lo, s22
.LBB351_681:                            ;   in Loop: Header=BB351_15 Depth=1
	s_or_b32 exec_lo, exec_lo, s21
.LBB351_682:                            ;   in Loop: Header=BB351_15 Depth=1
	s_or_b32 exec_lo, exec_lo, s20
	s_mov_b32 s20, exec_lo
	v_cmpx_lt_u32_e32 0xffffff, v27
	s_cbranch_execz .LBB351_690
; %bb.683:                              ;   in Loop: Header=BB351_15 Depth=1
	v_cmp_ne_u32_sdwa s5, v27, v98 src0_sel:BYTE_3 src1_sel:DWORD
	v_bfrev_b32_e32 v54, 1
	s_and_saveexec_b32 s21, s5
	s_cbranch_execz .LBB351_689
; %bb.684:                              ;   in Loop: Header=BB351_15 Depth=1
	v_bfe_u32 v5, v27, 24, 7
	v_mov_b32_e32 v54, 0x7f800001
	s_mov_b32 s22, exec_lo
	v_cmpx_ne_u32_e32 0x7f, v5
	s_cbranch_execz .LBB351_688
; %bb.685:                              ;   in Loop: Header=BB351_15 Depth=1
	v_mov_b32_e32 v4, 7
	s_mov_b32 s23, exec_lo
	v_and_b32_sdwa v13, v27, v4 dst_sel:DWORD dst_unused:UNUSED_PAD src0_sel:BYTE_3 src1_sel:DWORD
	v_mov_b32_e32 v30, v14
	v_lshrrev_b32_e32 v4, 3, v5
	v_mov_b32_e32 v29, v13
	v_cmpx_gt_u32_e32 8, v5
; %bb.686:                              ;   in Loop: Header=BB351_15 Depth=1
	v_ffbh_u32_e32 v4, v13
	v_min_u32_e32 v4, 32, v4
	v_subrev_nc_u32_e32 v5, 28, v4
	v_sub_nc_u32_e32 v4, 29, v4
	v_lshlrev_b64 v[20:21], v5, v[13:14]
	v_and_b32_e32 v29, 7, v20
; %bb.687:                              ;   in Loop: Header=BB351_15 Depth=1
	s_or_b32 exec_lo, exec_lo, s23
	v_mov_b32_e32 v5, 24
	v_lshlrev_b32_e32 v9, 20, v29
	v_lshl_add_u32 v4, v4, 23, 0x3c000000
	v_lshlrev_b32_sdwa v5, v5, v27 dst_sel:DWORD dst_unused:UNUSED_PAD src0_sel:DWORD src1_sel:BYTE_3
	v_and_b32_e32 v5, 0x80000000, v5
	v_or3_b32 v54, v9, v5, v4
.LBB351_688:                            ;   in Loop: Header=BB351_15 Depth=1
	s_or_b32 exec_lo, exec_lo, s22
.LBB351_689:                            ;   in Loop: Header=BB351_15 Depth=1
	s_or_b32 exec_lo, exec_lo, s21
.LBB351_690:                            ;   in Loop: Header=BB351_15 Depth=1
	s_or_b32 exec_lo, exec_lo, s20
	v_mov_b32_e32 v13, v28
	v_cmp_ne_u16_sdwa s5, v28, v14 src0_sel:BYTE_0 src1_sel:DWORD
	v_mov_b32_e32 v64, 0
	v_mov_b32_e32 v55, 0
	s_and_saveexec_b32 s20, s5
	s_cbranch_execz .LBB351_698
; %bb.691:                              ;   in Loop: Header=BB351_15 Depth=1
	v_cmp_ne_u16_sdwa s5, v28, v98 src0_sel:BYTE_0 src1_sel:DWORD
	v_bfrev_b32_e32 v55, 1
	s_and_saveexec_b32 s21, s5
	s_cbranch_execz .LBB351_697
; %bb.692:                              ;   in Loop: Header=BB351_15 Depth=1
	v_and_b32_e32 v5, 0x7f, v28
	v_mov_b32_e32 v55, 0x7f800001
	s_mov_b32 s22, exec_lo
	v_cmpx_ne_u32_e32 0x7f, v5
	s_cbranch_execz .LBB351_696
; %bb.693:                              ;   in Loop: Header=BB351_15 Depth=1
	v_mov_b32_e32 v30, v14
	v_lshrrev_b32_e32 v4, 3, v5
	v_mov_b32_e32 v29, v13
	s_mov_b32 s23, exec_lo
	v_cmpx_gt_u32_e32 8, v5
; %bb.694:                              ;   in Loop: Header=BB351_15 Depth=1
	v_and_b32_e32 v4, 7, v28
	v_ffbh_u32_e32 v4, v4
	v_min_u32_e32 v4, 32, v4
	v_subrev_nc_u32_e32 v5, 28, v4
	v_sub_nc_u32_e32 v4, 29, v4
	v_lshlrev_b64 v[29:30], v5, v[13:14]
; %bb.695:                              ;   in Loop: Header=BB351_15 Depth=1
	s_or_b32 exec_lo, exec_lo, s23
	v_lshlrev_b32_e32 v5, 20, v29
	v_lshlrev_b32_e32 v9, 24, v13
	v_lshl_add_u32 v4, v4, 23, 0x3c000000
	v_and_b32_e32 v5, 0x700000, v5
	v_and_b32_e32 v9, 0x80000000, v9
	v_or3_b32 v55, v5, v9, v4
.LBB351_696:                            ;   in Loop: Header=BB351_15 Depth=1
	s_or_b32 exec_lo, exec_lo, s22
.LBB351_697:                            ;   in Loop: Header=BB351_15 Depth=1
	s_or_b32 exec_lo, exec_lo, s21
.LBB351_698:                            ;   in Loop: Header=BB351_15 Depth=1
	s_or_b32 exec_lo, exec_lo, s20
	v_cmp_ne_u16_sdwa s5, v13, v14 src0_sel:BYTE_1 src1_sel:DWORD
	s_and_saveexec_b32 s20, s5
	s_cbranch_execz .LBB351_706
; %bb.699:                              ;   in Loop: Header=BB351_15 Depth=1
	v_cmp_ne_u16_sdwa s5, v13, v98 src0_sel:BYTE_1 src1_sel:DWORD
	v_bfrev_b32_e32 v64, 1
	s_and_saveexec_b32 s21, s5
	s_cbranch_execz .LBB351_705
; %bb.700:                              ;   in Loop: Header=BB351_15 Depth=1
	v_mov_b32_e32 v4, 0xffff
	v_mov_b32_e32 v64, 0x7f800001
	s_mov_b32 s22, exec_lo
	v_and_b32_sdwa v4, v4, v13 dst_sel:DWORD dst_unused:UNUSED_PAD src0_sel:DWORD src1_sel:BYTE_1
	v_and_b32_e32 v5, 0x7f, v4
	v_cmpx_ne_u32_e32 0x7f, v5
	s_cbranch_execz .LBB351_704
; %bb.701:                              ;   in Loop: Header=BB351_15 Depth=1
	v_and_b32_e32 v29, 7, v4
	v_mov_b32_e32 v30, v14
	v_lshrrev_b32_e32 v4, 3, v5
	s_mov_b32 s23, exec_lo
	v_cmpx_gt_u32_e32 8, v5
; %bb.702:                              ;   in Loop: Header=BB351_15 Depth=1
	v_ffbh_u32_e32 v4, v29
	v_min_u32_e32 v4, 32, v4
	v_subrev_nc_u32_e32 v5, 28, v4
	v_sub_nc_u32_e32 v4, 29, v4
	v_lshlrev_b64 v[20:21], v5, v[29:30]
	v_and_b32_e32 v29, 7, v20
; %bb.703:                              ;   in Loop: Header=BB351_15 Depth=1
	s_or_b32 exec_lo, exec_lo, s23
	v_lshlrev_b32_e32 v5, 16, v13
	v_lshlrev_b32_e32 v9, 20, v29
	v_lshl_add_u32 v4, v4, 23, 0x3c000000
	v_and_b32_e32 v5, 0x80000000, v5
	v_or3_b32 v64, v9, v5, v4
.LBB351_704:                            ;   in Loop: Header=BB351_15 Depth=1
	s_or_b32 exec_lo, exec_lo, s22
.LBB351_705:                            ;   in Loop: Header=BB351_15 Depth=1
	s_or_b32 exec_lo, exec_lo, s21
.LBB351_706:                            ;   in Loop: Header=BB351_15 Depth=1
	s_or_b32 exec_lo, exec_lo, s20
	v_and_b32_sdwa v4, v28, v34 dst_sel:DWORD dst_unused:UNUSED_PAD src0_sel:WORD_1 src1_sel:DWORD
	v_mov_b32_e32 v65, 0
	v_mov_b32_e32 v66, 0
	s_mov_b32 s20, exec_lo
	v_cmpx_ne_u16_e32 0, v4
	s_cbranch_execz .LBB351_714
; %bb.707:                              ;   in Loop: Header=BB351_15 Depth=1
	v_bfrev_b32_e32 v66, 1
	s_mov_b32 s21, exec_lo
	v_cmpx_ne_u16_e32 0x80, v4
	s_cbranch_execz .LBB351_713
; %bb.708:                              ;   in Loop: Header=BB351_15 Depth=1
	v_bfe_u32 v5, v28, 16, 7
	v_mov_b32_e32 v66, 0x7f800001
	s_mov_b32 s22, exec_lo
	v_cmpx_ne_u32_e32 0x7f, v5
	s_cbranch_execz .LBB351_712
; %bb.709:                              ;   in Loop: Header=BB351_15 Depth=1
	v_mov_b32_e32 v4, 7
	s_mov_b32 s23, exec_lo
	v_and_b32_sdwa v13, v28, v4 dst_sel:DWORD dst_unused:UNUSED_PAD src0_sel:WORD_1 src1_sel:DWORD
	v_mov_b32_e32 v30, v14
	v_lshrrev_b32_e32 v4, 3, v5
	v_mov_b32_e32 v29, v13
	v_cmpx_gt_u32_e32 8, v5
; %bb.710:                              ;   in Loop: Header=BB351_15 Depth=1
	v_ffbh_u32_e32 v4, v13
	v_min_u32_e32 v4, 32, v4
	v_subrev_nc_u32_e32 v5, 28, v4
	v_sub_nc_u32_e32 v4, 29, v4
	v_lshlrev_b64 v[20:21], v5, v[13:14]
	v_and_b32_e32 v29, 7, v20
; %bb.711:                              ;   in Loop: Header=BB351_15 Depth=1
	s_or_b32 exec_lo, exec_lo, s23
	v_mov_b32_e32 v5, 24
	v_lshlrev_b32_e32 v9, 20, v29
	v_lshl_add_u32 v4, v4, 23, 0x3c000000
	v_lshlrev_b32_sdwa v5, v5, v28 dst_sel:DWORD dst_unused:UNUSED_PAD src0_sel:DWORD src1_sel:WORD_1
	v_and_b32_e32 v5, 0x80000000, v5
	v_or3_b32 v66, v9, v5, v4
.LBB351_712:                            ;   in Loop: Header=BB351_15 Depth=1
	s_or_b32 exec_lo, exec_lo, s22
.LBB351_713:                            ;   in Loop: Header=BB351_15 Depth=1
	s_or_b32 exec_lo, exec_lo, s21
.LBB351_714:                            ;   in Loop: Header=BB351_15 Depth=1
	s_or_b32 exec_lo, exec_lo, s20
	s_mov_b32 s20, exec_lo
	v_cmpx_lt_u64_e64 s[12:13], v[27:28]
	s_cbranch_execz .LBB351_722
; %bb.715:                              ;   in Loop: Header=BB351_15 Depth=1
	v_cmp_ne_u32_sdwa s5, v28, v98 src0_sel:BYTE_3 src1_sel:DWORD
	v_bfrev_b32_e32 v65, 1
	s_and_saveexec_b32 s21, s5
	s_cbranch_execz .LBB351_721
; %bb.716:                              ;   in Loop: Header=BB351_15 Depth=1
	v_bfe_u32 v5, v28, 24, 7
	v_mov_b32_e32 v65, 0x7f800001
	s_mov_b32 s22, exec_lo
	v_cmpx_ne_u32_e32 0x7f, v5
	s_cbranch_execz .LBB351_720
; %bb.717:                              ;   in Loop: Header=BB351_15 Depth=1
	v_mov_b32_e32 v4, 7
	s_mov_b32 s23, exec_lo
	v_and_b32_sdwa v13, v28, v4 dst_sel:DWORD dst_unused:UNUSED_PAD src0_sel:BYTE_3 src1_sel:DWORD
	v_mov_b32_e32 v30, v14
	v_lshrrev_b32_e32 v4, 3, v5
	v_mov_b32_e32 v29, v13
	v_cmpx_gt_u32_e32 8, v5
; %bb.718:                              ;   in Loop: Header=BB351_15 Depth=1
	v_ffbh_u32_e32 v4, v13
	v_min_u32_e32 v4, 32, v4
	v_subrev_nc_u32_e32 v5, 28, v4
	v_sub_nc_u32_e32 v4, 29, v4
	v_lshlrev_b64 v[20:21], v5, v[13:14]
	v_and_b32_e32 v29, 7, v20
; %bb.719:                              ;   in Loop: Header=BB351_15 Depth=1
	s_or_b32 exec_lo, exec_lo, s23
	v_mov_b32_e32 v5, 24
	v_lshlrev_b32_e32 v9, 20, v29
	v_lshl_add_u32 v4, v4, 23, 0x3c000000
	v_lshlrev_b32_sdwa v5, v5, v28 dst_sel:DWORD dst_unused:UNUSED_PAD src0_sel:DWORD src1_sel:BYTE_3
	v_and_b32_e32 v5, 0x80000000, v5
	v_or3_b32 v65, v9, v5, v4
.LBB351_720:                            ;   in Loop: Header=BB351_15 Depth=1
	s_or_b32 exec_lo, exec_lo, s22
.LBB351_721:                            ;   in Loop: Header=BB351_15 Depth=1
	s_or_b32 exec_lo, exec_lo, s21
.LBB351_722:                            ;   in Loop: Header=BB351_15 Depth=1
	s_or_b32 exec_lo, exec_lo, s20
	flat_load_dwordx2 v[27:28], v[24:25] offset:520
	v_mov_b32_e32 v68, 0
	v_mov_b32_e32 v67, 0
	s_waitcnt vmcnt(0) lgkmcnt(0)
	v_cmp_ne_u16_sdwa s5, v27, v14 src0_sel:BYTE_0 src1_sel:DWORD
	s_and_saveexec_b32 s20, s5
	s_cbranch_execz .LBB351_730
; %bb.723:                              ;   in Loop: Header=BB351_15 Depth=1
	v_cmp_ne_u16_sdwa s5, v27, v98 src0_sel:BYTE_0 src1_sel:DWORD
	v_bfrev_b32_e32 v67, 1
	s_and_saveexec_b32 s21, s5
	s_cbranch_execz .LBB351_729
; %bb.724:                              ;   in Loop: Header=BB351_15 Depth=1
	v_and_b32_e32 v5, 0x7f, v27
	v_mov_b32_e32 v67, 0x7f800001
	s_mov_b32 s22, exec_lo
	v_cmpx_ne_u32_e32 0x7f, v5
	s_cbranch_execz .LBB351_728
; %bb.725:                              ;   in Loop: Header=BB351_15 Depth=1
	v_mov_b32_e32 v30, v28
	v_lshrrev_b32_e32 v4, 3, v5
	v_mov_b32_e32 v29, v27
	s_mov_b32 s23, exec_lo
	v_cmpx_gt_u32_e32 8, v5
; %bb.726:                              ;   in Loop: Header=BB351_15 Depth=1
	v_and_b32_e32 v4, 7, v27
	v_ffbh_u32_e32 v4, v4
	v_min_u32_e32 v4, 32, v4
	v_subrev_nc_u32_e32 v5, 28, v4
	v_sub_nc_u32_e32 v4, 29, v4
	v_lshlrev_b64 v[29:30], v5, v[27:28]
; %bb.727:                              ;   in Loop: Header=BB351_15 Depth=1
	s_or_b32 exec_lo, exec_lo, s23
	v_lshlrev_b32_e32 v5, 20, v29
	v_lshlrev_b32_e32 v9, 24, v27
	v_lshl_add_u32 v4, v4, 23, 0x3c000000
	v_and_b32_e32 v5, 0x700000, v5
	v_and_b32_e32 v9, 0x80000000, v9
	v_or3_b32 v67, v5, v9, v4
.LBB351_728:                            ;   in Loop: Header=BB351_15 Depth=1
	s_or_b32 exec_lo, exec_lo, s22
.LBB351_729:                            ;   in Loop: Header=BB351_15 Depth=1
	s_or_b32 exec_lo, exec_lo, s21
.LBB351_730:                            ;   in Loop: Header=BB351_15 Depth=1
	s_or_b32 exec_lo, exec_lo, s20
	v_cmp_ne_u16_sdwa s5, v27, v14 src0_sel:BYTE_1 src1_sel:DWORD
	s_and_saveexec_b32 s20, s5
	s_cbranch_execz .LBB351_738
; %bb.731:                              ;   in Loop: Header=BB351_15 Depth=1
	v_cmp_ne_u16_sdwa s5, v27, v98 src0_sel:BYTE_1 src1_sel:DWORD
	v_bfrev_b32_e32 v68, 1
	s_and_saveexec_b32 s21, s5
	s_cbranch_execz .LBB351_737
; %bb.732:                              ;   in Loop: Header=BB351_15 Depth=1
	v_mov_b32_e32 v4, 0xffff
	v_mov_b32_e32 v68, 0x7f800001
	s_mov_b32 s22, exec_lo
	v_and_b32_sdwa v4, v4, v27 dst_sel:DWORD dst_unused:UNUSED_PAD src0_sel:DWORD src1_sel:BYTE_1
	v_and_b32_e32 v5, 0x7f, v4
	v_cmpx_ne_u32_e32 0x7f, v5
	s_cbranch_execz .LBB351_736
; %bb.733:                              ;   in Loop: Header=BB351_15 Depth=1
	v_and_b32_e32 v13, 7, v4
	v_mov_b32_e32 v30, v14
	v_lshrrev_b32_e32 v4, 3, v5
	s_mov_b32 s23, exec_lo
	v_mov_b32_e32 v29, v13
	v_cmpx_gt_u32_e32 8, v5
; %bb.734:                              ;   in Loop: Header=BB351_15 Depth=1
	v_ffbh_u32_e32 v4, v13
	v_min_u32_e32 v4, 32, v4
	v_subrev_nc_u32_e32 v5, 28, v4
	v_sub_nc_u32_e32 v4, 29, v4
	v_lshlrev_b64 v[20:21], v5, v[13:14]
	v_and_b32_e32 v29, 7, v20
; %bb.735:                              ;   in Loop: Header=BB351_15 Depth=1
	s_or_b32 exec_lo, exec_lo, s23
	v_lshlrev_b32_e32 v5, 16, v27
	v_lshlrev_b32_e32 v9, 20, v29
	v_lshl_add_u32 v4, v4, 23, 0x3c000000
	v_and_b32_e32 v5, 0x80000000, v5
	v_or3_b32 v68, v9, v5, v4
.LBB351_736:                            ;   in Loop: Header=BB351_15 Depth=1
	s_or_b32 exec_lo, exec_lo, s22
.LBB351_737:                            ;   in Loop: Header=BB351_15 Depth=1
	s_or_b32 exec_lo, exec_lo, s21
.LBB351_738:                            ;   in Loop: Header=BB351_15 Depth=1
	s_or_b32 exec_lo, exec_lo, s20
	v_and_b32_sdwa v4, v27, v34 dst_sel:DWORD dst_unused:UNUSED_PAD src0_sel:WORD_1 src1_sel:DWORD
	v_mov_b32_e32 v80, 0
	v_mov_b32_e32 v69, 0
	s_mov_b32 s20, exec_lo
	v_cmpx_ne_u16_e32 0, v4
	s_cbranch_execz .LBB351_746
; %bb.739:                              ;   in Loop: Header=BB351_15 Depth=1
	v_bfrev_b32_e32 v69, 1
	s_mov_b32 s21, exec_lo
	v_cmpx_ne_u16_e32 0x80, v4
	s_cbranch_execz .LBB351_745
; %bb.740:                              ;   in Loop: Header=BB351_15 Depth=1
	v_bfe_u32 v5, v27, 16, 7
	v_mov_b32_e32 v69, 0x7f800001
	s_mov_b32 s22, exec_lo
	v_cmpx_ne_u32_e32 0x7f, v5
	s_cbranch_execz .LBB351_744
; %bb.741:                              ;   in Loop: Header=BB351_15 Depth=1
	v_mov_b32_e32 v4, 7
	s_mov_b32 s23, exec_lo
	v_and_b32_sdwa v13, v27, v4 dst_sel:DWORD dst_unused:UNUSED_PAD src0_sel:WORD_1 src1_sel:DWORD
	v_mov_b32_e32 v30, v14
	v_lshrrev_b32_e32 v4, 3, v5
	v_mov_b32_e32 v29, v13
	v_cmpx_gt_u32_e32 8, v5
; %bb.742:                              ;   in Loop: Header=BB351_15 Depth=1
	v_ffbh_u32_e32 v4, v13
	v_min_u32_e32 v4, 32, v4
	v_subrev_nc_u32_e32 v5, 28, v4
	v_sub_nc_u32_e32 v4, 29, v4
	v_lshlrev_b64 v[20:21], v5, v[13:14]
	v_and_b32_e32 v29, 7, v20
; %bb.743:                              ;   in Loop: Header=BB351_15 Depth=1
	s_or_b32 exec_lo, exec_lo, s23
	v_mov_b32_e32 v5, 24
	v_lshlrev_b32_e32 v9, 20, v29
	v_lshl_add_u32 v4, v4, 23, 0x3c000000
	v_lshlrev_b32_sdwa v5, v5, v27 dst_sel:DWORD dst_unused:UNUSED_PAD src0_sel:DWORD src1_sel:WORD_1
	v_and_b32_e32 v5, 0x80000000, v5
	v_or3_b32 v69, v9, v5, v4
.LBB351_744:                            ;   in Loop: Header=BB351_15 Depth=1
	s_or_b32 exec_lo, exec_lo, s22
.LBB351_745:                            ;   in Loop: Header=BB351_15 Depth=1
	s_or_b32 exec_lo, exec_lo, s21
.LBB351_746:                            ;   in Loop: Header=BB351_15 Depth=1
	s_or_b32 exec_lo, exec_lo, s20
	s_mov_b32 s20, exec_lo
	v_cmpx_lt_u32_e32 0xffffff, v27
	s_cbranch_execz .LBB351_754
; %bb.747:                              ;   in Loop: Header=BB351_15 Depth=1
	v_cmp_ne_u32_sdwa s5, v27, v98 src0_sel:BYTE_3 src1_sel:DWORD
	v_bfrev_b32_e32 v80, 1
	s_and_saveexec_b32 s21, s5
	s_cbranch_execz .LBB351_753
; %bb.748:                              ;   in Loop: Header=BB351_15 Depth=1
	v_bfe_u32 v5, v27, 24, 7
	v_mov_b32_e32 v80, 0x7f800001
	s_mov_b32 s22, exec_lo
	v_cmpx_ne_u32_e32 0x7f, v5
	s_cbranch_execz .LBB351_752
; %bb.749:                              ;   in Loop: Header=BB351_15 Depth=1
	v_mov_b32_e32 v4, 7
	s_mov_b32 s23, exec_lo
	v_and_b32_sdwa v13, v27, v4 dst_sel:DWORD dst_unused:UNUSED_PAD src0_sel:BYTE_3 src1_sel:DWORD
	v_mov_b32_e32 v30, v14
	v_lshrrev_b32_e32 v4, 3, v5
	v_mov_b32_e32 v29, v13
	v_cmpx_gt_u32_e32 8, v5
; %bb.750:                              ;   in Loop: Header=BB351_15 Depth=1
	v_ffbh_u32_e32 v4, v13
	v_min_u32_e32 v4, 32, v4
	v_subrev_nc_u32_e32 v5, 28, v4
	v_sub_nc_u32_e32 v4, 29, v4
	v_lshlrev_b64 v[20:21], v5, v[13:14]
	v_and_b32_e32 v29, 7, v20
; %bb.751:                              ;   in Loop: Header=BB351_15 Depth=1
	s_or_b32 exec_lo, exec_lo, s23
	v_mov_b32_e32 v5, 24
	v_lshlrev_b32_e32 v9, 20, v29
	v_lshl_add_u32 v4, v4, 23, 0x3c000000
	v_lshlrev_b32_sdwa v5, v5, v27 dst_sel:DWORD dst_unused:UNUSED_PAD src0_sel:DWORD src1_sel:BYTE_3
	v_and_b32_e32 v5, 0x80000000, v5
	v_or3_b32 v80, v9, v5, v4
.LBB351_752:                            ;   in Loop: Header=BB351_15 Depth=1
	s_or_b32 exec_lo, exec_lo, s22
.LBB351_753:                            ;   in Loop: Header=BB351_15 Depth=1
	s_or_b32 exec_lo, exec_lo, s21
.LBB351_754:                            ;   in Loop: Header=BB351_15 Depth=1
	s_or_b32 exec_lo, exec_lo, s20
	v_mov_b32_e32 v13, v28
	v_cmp_ne_u16_sdwa s5, v28, v14 src0_sel:BYTE_0 src1_sel:DWORD
	v_mov_b32_e32 v82, 0
	v_mov_b32_e32 v81, 0
	s_and_saveexec_b32 s20, s5
	s_cbranch_execz .LBB351_762
; %bb.755:                              ;   in Loop: Header=BB351_15 Depth=1
	v_cmp_ne_u16_sdwa s5, v28, v98 src0_sel:BYTE_0 src1_sel:DWORD
	v_bfrev_b32_e32 v81, 1
	s_and_saveexec_b32 s21, s5
	s_cbranch_execz .LBB351_761
; %bb.756:                              ;   in Loop: Header=BB351_15 Depth=1
	v_and_b32_e32 v5, 0x7f, v28
	v_mov_b32_e32 v81, 0x7f800001
	s_mov_b32 s22, exec_lo
	v_cmpx_ne_u32_e32 0x7f, v5
	s_cbranch_execz .LBB351_760
; %bb.757:                              ;   in Loop: Header=BB351_15 Depth=1
	v_mov_b32_e32 v30, v14
	v_lshrrev_b32_e32 v4, 3, v5
	v_mov_b32_e32 v29, v13
	s_mov_b32 s23, exec_lo
	v_cmpx_gt_u32_e32 8, v5
; %bb.758:                              ;   in Loop: Header=BB351_15 Depth=1
	v_and_b32_e32 v4, 7, v28
	v_ffbh_u32_e32 v4, v4
	v_min_u32_e32 v4, 32, v4
	v_subrev_nc_u32_e32 v5, 28, v4
	v_sub_nc_u32_e32 v4, 29, v4
	v_lshlrev_b64 v[29:30], v5, v[13:14]
; %bb.759:                              ;   in Loop: Header=BB351_15 Depth=1
	s_or_b32 exec_lo, exec_lo, s23
	v_lshlrev_b32_e32 v5, 20, v29
	v_lshlrev_b32_e32 v9, 24, v13
	v_lshl_add_u32 v4, v4, 23, 0x3c000000
	v_and_b32_e32 v5, 0x700000, v5
	v_and_b32_e32 v9, 0x80000000, v9
	v_or3_b32 v81, v5, v9, v4
.LBB351_760:                            ;   in Loop: Header=BB351_15 Depth=1
	s_or_b32 exec_lo, exec_lo, s22
.LBB351_761:                            ;   in Loop: Header=BB351_15 Depth=1
	s_or_b32 exec_lo, exec_lo, s21
.LBB351_762:                            ;   in Loop: Header=BB351_15 Depth=1
	s_or_b32 exec_lo, exec_lo, s20
	v_cmp_ne_u16_sdwa s5, v13, v14 src0_sel:BYTE_1 src1_sel:DWORD
	s_and_saveexec_b32 s20, s5
	s_cbranch_execz .LBB351_770
; %bb.763:                              ;   in Loop: Header=BB351_15 Depth=1
	v_cmp_ne_u16_sdwa s5, v13, v98 src0_sel:BYTE_1 src1_sel:DWORD
	v_bfrev_b32_e32 v82, 1
	s_and_saveexec_b32 s21, s5
	s_cbranch_execz .LBB351_769
; %bb.764:                              ;   in Loop: Header=BB351_15 Depth=1
	v_mov_b32_e32 v4, 0xffff
	v_mov_b32_e32 v82, 0x7f800001
	s_mov_b32 s22, exec_lo
	v_and_b32_sdwa v4, v4, v13 dst_sel:DWORD dst_unused:UNUSED_PAD src0_sel:DWORD src1_sel:BYTE_1
	v_and_b32_e32 v5, 0x7f, v4
	v_cmpx_ne_u32_e32 0x7f, v5
	s_cbranch_execz .LBB351_768
; %bb.765:                              ;   in Loop: Header=BB351_15 Depth=1
	v_and_b32_e32 v29, 7, v4
	v_mov_b32_e32 v30, v14
	v_lshrrev_b32_e32 v4, 3, v5
	s_mov_b32 s23, exec_lo
	v_cmpx_gt_u32_e32 8, v5
; %bb.766:                              ;   in Loop: Header=BB351_15 Depth=1
	v_ffbh_u32_e32 v4, v29
	v_min_u32_e32 v4, 32, v4
	v_subrev_nc_u32_e32 v5, 28, v4
	v_sub_nc_u32_e32 v4, 29, v4
	v_lshlrev_b64 v[20:21], v5, v[29:30]
	v_and_b32_e32 v29, 7, v20
; %bb.767:                              ;   in Loop: Header=BB351_15 Depth=1
	s_or_b32 exec_lo, exec_lo, s23
	v_lshlrev_b32_e32 v5, 16, v13
	v_lshlrev_b32_e32 v9, 20, v29
	v_lshl_add_u32 v4, v4, 23, 0x3c000000
	v_and_b32_e32 v5, 0x80000000, v5
	v_or3_b32 v82, v9, v5, v4
.LBB351_768:                            ;   in Loop: Header=BB351_15 Depth=1
	s_or_b32 exec_lo, exec_lo, s22
.LBB351_769:                            ;   in Loop: Header=BB351_15 Depth=1
	s_or_b32 exec_lo, exec_lo, s21
.LBB351_770:                            ;   in Loop: Header=BB351_15 Depth=1
	s_or_b32 exec_lo, exec_lo, s20
	v_and_b32_sdwa v4, v28, v34 dst_sel:DWORD dst_unused:UNUSED_PAD src0_sel:WORD_1 src1_sel:DWORD
	v_mov_b32_e32 v84, 0
	v_mov_b32_e32 v87, 0
	s_mov_b32 s20, exec_lo
	v_cmpx_ne_u16_e32 0, v4
	s_cbranch_execz .LBB351_778
; %bb.771:                              ;   in Loop: Header=BB351_15 Depth=1
	v_bfrev_b32_e32 v87, 1
	s_mov_b32 s21, exec_lo
	v_cmpx_ne_u16_e32 0x80, v4
	s_cbranch_execz .LBB351_777
; %bb.772:                              ;   in Loop: Header=BB351_15 Depth=1
	v_bfe_u32 v5, v28, 16, 7
	v_mov_b32_e32 v87, 0x7f800001
	s_mov_b32 s22, exec_lo
	v_cmpx_ne_u32_e32 0x7f, v5
	s_cbranch_execz .LBB351_776
; %bb.773:                              ;   in Loop: Header=BB351_15 Depth=1
	v_mov_b32_e32 v4, 7
	s_mov_b32 s23, exec_lo
	v_and_b32_sdwa v13, v28, v4 dst_sel:DWORD dst_unused:UNUSED_PAD src0_sel:WORD_1 src1_sel:DWORD
	v_mov_b32_e32 v30, v14
	v_lshrrev_b32_e32 v4, 3, v5
	v_mov_b32_e32 v29, v13
	v_cmpx_gt_u32_e32 8, v5
; %bb.774:                              ;   in Loop: Header=BB351_15 Depth=1
	v_ffbh_u32_e32 v4, v13
	v_min_u32_e32 v4, 32, v4
	v_subrev_nc_u32_e32 v5, 28, v4
	v_sub_nc_u32_e32 v4, 29, v4
	v_lshlrev_b64 v[20:21], v5, v[13:14]
	v_and_b32_e32 v29, 7, v20
; %bb.775:                              ;   in Loop: Header=BB351_15 Depth=1
	s_or_b32 exec_lo, exec_lo, s23
	v_mov_b32_e32 v5, 24
	v_lshlrev_b32_e32 v9, 20, v29
	v_lshl_add_u32 v4, v4, 23, 0x3c000000
	v_lshlrev_b32_sdwa v5, v5, v28 dst_sel:DWORD dst_unused:UNUSED_PAD src0_sel:DWORD src1_sel:WORD_1
	v_and_b32_e32 v5, 0x80000000, v5
	v_or3_b32 v87, v9, v5, v4
.LBB351_776:                            ;   in Loop: Header=BB351_15 Depth=1
	s_or_b32 exec_lo, exec_lo, s22
.LBB351_777:                            ;   in Loop: Header=BB351_15 Depth=1
	s_or_b32 exec_lo, exec_lo, s21
.LBB351_778:                            ;   in Loop: Header=BB351_15 Depth=1
	s_or_b32 exec_lo, exec_lo, s20
	s_mov_b32 s20, exec_lo
	v_cmpx_lt_u64_e64 s[12:13], v[27:28]
	s_cbranch_execz .LBB351_786
; %bb.779:                              ;   in Loop: Header=BB351_15 Depth=1
	v_cmp_ne_u32_sdwa s5, v28, v98 src0_sel:BYTE_3 src1_sel:DWORD
	v_bfrev_b32_e32 v84, 1
	s_and_saveexec_b32 s21, s5
	s_cbranch_execz .LBB351_785
; %bb.780:                              ;   in Loop: Header=BB351_15 Depth=1
	v_bfe_u32 v5, v28, 24, 7
	v_mov_b32_e32 v84, 0x7f800001
	s_mov_b32 s22, exec_lo
	v_cmpx_ne_u32_e32 0x7f, v5
	s_cbranch_execz .LBB351_784
; %bb.781:                              ;   in Loop: Header=BB351_15 Depth=1
	v_mov_b32_e32 v4, 7
	s_mov_b32 s23, exec_lo
	v_and_b32_sdwa v13, v28, v4 dst_sel:DWORD dst_unused:UNUSED_PAD src0_sel:BYTE_3 src1_sel:DWORD
	v_mov_b32_e32 v30, v14
	v_lshrrev_b32_e32 v4, 3, v5
	v_mov_b32_e32 v29, v13
	v_cmpx_gt_u32_e32 8, v5
; %bb.782:                              ;   in Loop: Header=BB351_15 Depth=1
	v_ffbh_u32_e32 v4, v13
	v_min_u32_e32 v4, 32, v4
	v_subrev_nc_u32_e32 v5, 28, v4
	v_sub_nc_u32_e32 v4, 29, v4
	v_lshlrev_b64 v[20:21], v5, v[13:14]
	v_and_b32_e32 v29, 7, v20
; %bb.783:                              ;   in Loop: Header=BB351_15 Depth=1
	s_or_b32 exec_lo, exec_lo, s23
	v_mov_b32_e32 v5, 24
	v_lshlrev_b32_e32 v9, 20, v29
	v_lshl_add_u32 v4, v4, 23, 0x3c000000
	v_lshlrev_b32_sdwa v5, v5, v28 dst_sel:DWORD dst_unused:UNUSED_PAD src0_sel:DWORD src1_sel:BYTE_3
	v_and_b32_e32 v5, 0x80000000, v5
	v_or3_b32 v84, v9, v5, v4
.LBB351_784:                            ;   in Loop: Header=BB351_15 Depth=1
	s_or_b32 exec_lo, exec_lo, s22
.LBB351_785:                            ;   in Loop: Header=BB351_15 Depth=1
	s_or_b32 exec_lo, exec_lo, s21
.LBB351_786:                            ;   in Loop: Header=BB351_15 Depth=1
	s_or_b32 exec_lo, exec_lo, s20
	flat_load_dwordx2 v[27:28], v[24:25] offset:1024
	v_mov_b32_e32 v5, 0
	v_mov_b32_e32 v4, 0
	s_waitcnt vmcnt(0) lgkmcnt(0)
	v_cmp_ne_u16_sdwa s5, v27, v14 src0_sel:BYTE_0 src1_sel:DWORD
	s_and_saveexec_b32 s20, s5
	s_cbranch_execz .LBB351_794
; %bb.787:                              ;   in Loop: Header=BB351_15 Depth=1
	v_cmp_ne_u16_sdwa s5, v27, v98 src0_sel:BYTE_0 src1_sel:DWORD
	v_bfrev_b32_e32 v4, 1
	s_and_saveexec_b32 s21, s5
	s_cbranch_execz .LBB351_793
; %bb.788:                              ;   in Loop: Header=BB351_15 Depth=1
	v_and_b32_e32 v9, 0x7f, v27
	v_mov_b32_e32 v4, 0x7f800001
	s_mov_b32 s22, exec_lo
	v_cmpx_ne_u32_e32 0x7f, v9
	s_cbranch_execz .LBB351_792
; %bb.789:                              ;   in Loop: Header=BB351_15 Depth=1
	v_mov_b32_e32 v30, v28
	v_lshrrev_b32_e32 v4, 3, v9
	v_mov_b32_e32 v29, v27
	s_mov_b32 s23, exec_lo
	v_cmpx_gt_u32_e32 8, v9
; %bb.790:                              ;   in Loop: Header=BB351_15 Depth=1
	v_and_b32_e32 v4, 7, v27
	v_ffbh_u32_e32 v4, v4
	v_min_u32_e32 v4, 32, v4
	v_subrev_nc_u32_e32 v9, 28, v4
	v_sub_nc_u32_e32 v4, 29, v4
	v_lshlrev_b64 v[29:30], v9, v[27:28]
; %bb.791:                              ;   in Loop: Header=BB351_15 Depth=1
	s_or_b32 exec_lo, exec_lo, s23
	v_lshlrev_b32_e32 v9, 20, v29
	v_lshlrev_b32_e32 v13, 24, v27
	v_lshl_add_u32 v4, v4, 23, 0x3c000000
	v_and_b32_e32 v9, 0x700000, v9
	v_and_b32_e32 v13, 0x80000000, v13
	v_or3_b32 v4, v9, v13, v4
.LBB351_792:                            ;   in Loop: Header=BB351_15 Depth=1
	s_or_b32 exec_lo, exec_lo, s22
.LBB351_793:                            ;   in Loop: Header=BB351_15 Depth=1
	s_or_b32 exec_lo, exec_lo, s21
.LBB351_794:                            ;   in Loop: Header=BB351_15 Depth=1
	s_or_b32 exec_lo, exec_lo, s20
	v_cmp_ne_u16_sdwa s5, v27, v14 src0_sel:BYTE_1 src1_sel:DWORD
	s_and_saveexec_b32 s20, s5
	s_cbranch_execz .LBB351_802
; %bb.795:                              ;   in Loop: Header=BB351_15 Depth=1
	v_cmp_ne_u16_sdwa s5, v27, v98 src0_sel:BYTE_1 src1_sel:DWORD
	v_bfrev_b32_e32 v5, 1
	s_and_saveexec_b32 s21, s5
	s_cbranch_execz .LBB351_801
; %bb.796:                              ;   in Loop: Header=BB351_15 Depth=1
	v_mov_b32_e32 v5, 0xffff
	s_mov_b32 s22, exec_lo
	v_and_b32_sdwa v13, v5, v27 dst_sel:DWORD dst_unused:UNUSED_PAD src0_sel:DWORD src1_sel:BYTE_1
	v_mov_b32_e32 v5, 0x7f800001
	v_and_b32_e32 v9, 0x7f, v13
	v_cmpx_ne_u32_e32 0x7f, v9
	s_cbranch_execz .LBB351_800
; %bb.797:                              ;   in Loop: Header=BB351_15 Depth=1
	v_and_b32_e32 v13, 7, v13
	v_mov_b32_e32 v30, v14
	v_lshrrev_b32_e32 v5, 3, v9
	s_mov_b32 s23, exec_lo
	v_mov_b32_e32 v29, v13
	v_cmpx_gt_u32_e32 8, v9
; %bb.798:                              ;   in Loop: Header=BB351_15 Depth=1
	v_ffbh_u32_e32 v5, v13
	v_min_u32_e32 v5, 32, v5
	v_subrev_nc_u32_e32 v9, 28, v5
	v_sub_nc_u32_e32 v5, 29, v5
	v_lshlrev_b64 v[20:21], v9, v[13:14]
	v_and_b32_e32 v29, 7, v20
; %bb.799:                              ;   in Loop: Header=BB351_15 Depth=1
	s_or_b32 exec_lo, exec_lo, s23
	v_lshlrev_b32_e32 v9, 16, v27
	v_lshlrev_b32_e32 v13, 20, v29
	v_lshl_add_u32 v5, v5, 23, 0x3c000000
	v_and_b32_e32 v9, 0x80000000, v9
	v_or3_b32 v5, v13, v9, v5
.LBB351_800:                            ;   in Loop: Header=BB351_15 Depth=1
	s_or_b32 exec_lo, exec_lo, s22
.LBB351_801:                            ;   in Loop: Header=BB351_15 Depth=1
	s_or_b32 exec_lo, exec_lo, s21
.LBB351_802:                            ;   in Loop: Header=BB351_15 Depth=1
	s_or_b32 exec_lo, exec_lo, s20
	v_and_b32_sdwa v13, v27, v34 dst_sel:DWORD dst_unused:UNUSED_PAD src0_sel:WORD_1 src1_sel:DWORD
	v_mov_b32_e32 v9, 0
	v_mov_b32_e32 v48, 0
	s_mov_b32 s20, exec_lo
	v_cmpx_ne_u16_e32 0, v13
	s_cbranch_execz .LBB351_810
; %bb.803:                              ;   in Loop: Header=BB351_15 Depth=1
	v_bfrev_b32_e32 v48, 1
	s_mov_b32 s21, exec_lo
	v_cmpx_ne_u16_e32 0x80, v13
	s_cbranch_execz .LBB351_809
; %bb.804:                              ;   in Loop: Header=BB351_15 Depth=1
	v_bfe_u32 v21, v27, 16, 7
	v_mov_b32_e32 v48, 0x7f800001
	s_mov_b32 s22, exec_lo
	v_cmpx_ne_u32_e32 0x7f, v21
	s_cbranch_execz .LBB351_808
; %bb.805:                              ;   in Loop: Header=BB351_15 Depth=1
	v_mov_b32_e32 v13, 7
	v_lshrrev_b32_e32 v20, 3, v21
	s_mov_b32 s23, exec_lo
	v_and_b32_sdwa v13, v27, v13 dst_sel:DWORD dst_unused:UNUSED_PAD src0_sel:WORD_1 src1_sel:DWORD
	v_mov_b32_e32 v30, v14
	v_mov_b32_e32 v29, v13
	v_cmpx_gt_u32_e32 8, v21
; %bb.806:                              ;   in Loop: Header=BB351_15 Depth=1
	v_ffbh_u32_e32 v20, v13
	v_min_u32_e32 v20, 32, v20
	v_subrev_nc_u32_e32 v21, 28, v20
	v_sub_nc_u32_e32 v20, 29, v20
	v_lshlrev_b64 v[29:30], v21, v[13:14]
	v_and_b32_e32 v29, 7, v29
; %bb.807:                              ;   in Loop: Header=BB351_15 Depth=1
	s_or_b32 exec_lo, exec_lo, s23
	v_mov_b32_e32 v13, 24
	v_lshlrev_b32_e32 v21, 20, v29
	v_lshl_add_u32 v20, v20, 23, 0x3c000000
	v_lshlrev_b32_sdwa v13, v13, v27 dst_sel:DWORD dst_unused:UNUSED_PAD src0_sel:DWORD src1_sel:WORD_1
	v_and_b32_e32 v13, 0x80000000, v13
	v_or3_b32 v48, v21, v13, v20
.LBB351_808:                            ;   in Loop: Header=BB351_15 Depth=1
	s_or_b32 exec_lo, exec_lo, s22
.LBB351_809:                            ;   in Loop: Header=BB351_15 Depth=1
	s_or_b32 exec_lo, exec_lo, s21
.LBB351_810:                            ;   in Loop: Header=BB351_15 Depth=1
	s_or_b32 exec_lo, exec_lo, s20
	s_mov_b32 s20, exec_lo
	v_cmpx_lt_u32_e32 0xffffff, v27
	s_cbranch_execz .LBB351_818
; %bb.811:                              ;   in Loop: Header=BB351_15 Depth=1
	v_cmp_ne_u32_sdwa s5, v27, v98 src0_sel:BYTE_3 src1_sel:DWORD
	v_bfrev_b32_e32 v9, 1
	s_and_saveexec_b32 s21, s5
	s_cbranch_execz .LBB351_817
; %bb.812:                              ;   in Loop: Header=BB351_15 Depth=1
	v_bfe_u32 v20, v27, 24, 7
	v_mov_b32_e32 v9, 0x7f800001
	s_mov_b32 s22, exec_lo
	v_cmpx_ne_u32_e32 0x7f, v20
	s_cbranch_execz .LBB351_816
; %bb.813:                              ;   in Loop: Header=BB351_15 Depth=1
	v_mov_b32_e32 v9, 7
	s_mov_b32 s23, exec_lo
	v_and_b32_sdwa v13, v27, v9 dst_sel:DWORD dst_unused:UNUSED_PAD src0_sel:BYTE_3 src1_sel:DWORD
	v_mov_b32_e32 v30, v14
	v_lshrrev_b32_e32 v9, 3, v20
	v_mov_b32_e32 v29, v13
	v_cmpx_gt_u32_e32 8, v20
; %bb.814:                              ;   in Loop: Header=BB351_15 Depth=1
	v_ffbh_u32_e32 v9, v13
	v_min_u32_e32 v9, 32, v9
	v_subrev_nc_u32_e32 v20, 28, v9
	v_sub_nc_u32_e32 v9, 29, v9
	v_lshlrev_b64 v[20:21], v20, v[13:14]
	v_and_b32_e32 v29, 7, v20
; %bb.815:                              ;   in Loop: Header=BB351_15 Depth=1
	s_or_b32 exec_lo, exec_lo, s23
	v_mov_b32_e32 v13, 24
	v_lshlrev_b32_e32 v20, 20, v29
	v_lshl_add_u32 v9, v9, 23, 0x3c000000
	v_lshlrev_b32_sdwa v13, v13, v27 dst_sel:DWORD dst_unused:UNUSED_PAD src0_sel:DWORD src1_sel:BYTE_3
	v_and_b32_e32 v13, 0x80000000, v13
	v_or3_b32 v9, v20, v13, v9
.LBB351_816:                            ;   in Loop: Header=BB351_15 Depth=1
	s_or_b32 exec_lo, exec_lo, s22
.LBB351_817:                            ;   in Loop: Header=BB351_15 Depth=1
	s_or_b32 exec_lo, exec_lo, s21
.LBB351_818:                            ;   in Loop: Header=BB351_15 Depth=1
	s_or_b32 exec_lo, exec_lo, s20
	v_mov_b32_e32 v13, v28
	v_cmp_ne_u16_sdwa s5, v28, v14 src0_sel:BYTE_0 src1_sel:DWORD
	v_mov_b32_e32 v21, 0
	v_mov_b32_e32 v86, 0
	s_and_saveexec_b32 s20, s5
	s_cbranch_execz .LBB351_826
; %bb.819:                              ;   in Loop: Header=BB351_15 Depth=1
	v_cmp_ne_u16_sdwa s5, v28, v98 src0_sel:BYTE_0 src1_sel:DWORD
	v_bfrev_b32_e32 v86, 1
	s_and_saveexec_b32 s21, s5
	s_cbranch_execz .LBB351_825
; %bb.820:                              ;   in Loop: Header=BB351_15 Depth=1
	v_and_b32_e32 v29, 0x7f, v28
	v_mov_b32_e32 v86, 0x7f800001
	s_mov_b32 s22, exec_lo
	v_cmpx_ne_u32_e32 0x7f, v29
	s_cbranch_execz .LBB351_824
; %bb.821:                              ;   in Loop: Header=BB351_15 Depth=1
	v_lshrrev_b32_e32 v20, 3, v29
	v_cmp_gt_u32_e64 s5, 8, v29
	v_mov_b32_e32 v30, v14
	v_mov_b32_e32 v29, v13
	s_and_saveexec_b32 s23, s5
; %bb.822:                              ;   in Loop: Header=BB351_15 Depth=1
	v_and_b32_e32 v20, 7, v28
	v_ffbh_u32_e32 v20, v20
	v_min_u32_e32 v20, 32, v20
	v_subrev_nc_u32_e32 v29, 28, v20
	v_sub_nc_u32_e32 v20, 29, v20
	v_lshlrev_b64 v[29:30], v29, v[13:14]
; %bb.823:                              ;   in Loop: Header=BB351_15 Depth=1
	s_or_b32 exec_lo, exec_lo, s23
	v_lshlrev_b32_e32 v29, 20, v29
	v_lshlrev_b32_e32 v30, 24, v13
	v_lshl_add_u32 v20, v20, 23, 0x3c000000
	v_and_b32_e32 v29, 0x700000, v29
	v_and_b32_e32 v30, 0x80000000, v30
	v_or3_b32 v86, v29, v30, v20
.LBB351_824:                            ;   in Loop: Header=BB351_15 Depth=1
	s_or_b32 exec_lo, exec_lo, s22
.LBB351_825:                            ;   in Loop: Header=BB351_15 Depth=1
	s_or_b32 exec_lo, exec_lo, s21
.LBB351_826:                            ;   in Loop: Header=BB351_15 Depth=1
	s_or_b32 exec_lo, exec_lo, s20
	v_cmp_ne_u16_sdwa s5, v13, v14 src0_sel:BYTE_1 src1_sel:DWORD
	s_and_saveexec_b32 s20, s5
	s_cbranch_execz .LBB351_834
; %bb.827:                              ;   in Loop: Header=BB351_15 Depth=1
	v_cmp_ne_u16_sdwa s5, v13, v98 src0_sel:BYTE_1 src1_sel:DWORD
	v_bfrev_b32_e32 v21, 1
	s_and_saveexec_b32 s21, s5
	s_cbranch_execz .LBB351_833
; %bb.828:                              ;   in Loop: Header=BB351_15 Depth=1
	v_mov_b32_e32 v20, 0xffff
	v_mov_b32_e32 v21, 0x7f800001
	s_mov_b32 s22, exec_lo
	v_and_b32_sdwa v20, v20, v13 dst_sel:DWORD dst_unused:UNUSED_PAD src0_sel:DWORD src1_sel:BYTE_1
	v_and_b32_e32 v36, 0x7f, v20
	v_cmpx_ne_u32_e32 0x7f, v36
	s_cbranch_execz .LBB351_832
; %bb.829:                              ;   in Loop: Header=BB351_15 Depth=1
	v_and_b32_e32 v29, 7, v20
	v_mov_b32_e32 v30, v14
	v_lshrrev_b32_e32 v20, 3, v36
	s_mov_b32 s23, exec_lo
	v_cmpx_gt_u32_e32 8, v36
; %bb.830:                              ;   in Loop: Header=BB351_15 Depth=1
	v_ffbh_u32_e32 v20, v29
	v_min_u32_e32 v20, 32, v20
	v_subrev_nc_u32_e32 v21, 28, v20
	v_sub_nc_u32_e32 v20, 29, v20
	v_lshlrev_b64 v[29:30], v21, v[29:30]
	v_and_b32_e32 v29, 7, v29
; %bb.831:                              ;   in Loop: Header=BB351_15 Depth=1
	s_or_b32 exec_lo, exec_lo, s23
	v_lshlrev_b32_e32 v13, 16, v13
	v_lshlrev_b32_e32 v21, 20, v29
	v_lshl_add_u32 v20, v20, 23, 0x3c000000
	v_and_b32_e32 v13, 0x80000000, v13
	v_or3_b32 v21, v21, v13, v20
.LBB351_832:                            ;   in Loop: Header=BB351_15 Depth=1
	s_or_b32 exec_lo, exec_lo, s22
.LBB351_833:                            ;   in Loop: Header=BB351_15 Depth=1
	s_or_b32 exec_lo, exec_lo, s21
.LBB351_834:                            ;   in Loop: Header=BB351_15 Depth=1
	s_or_b32 exec_lo, exec_lo, s20
	v_and_b32_sdwa v13, v28, v34 dst_sel:DWORD dst_unused:UNUSED_PAD src0_sel:WORD_1 src1_sel:DWORD
	v_mov_b32_e32 v20, 0
	v_mov_b32_e32 v36, 0
	s_mov_b32 s20, exec_lo
	v_cmpx_ne_u16_e32 0, v13
	s_cbranch_execz .LBB351_842
; %bb.835:                              ;   in Loop: Header=BB351_15 Depth=1
	v_bfrev_b32_e32 v36, 1
	s_mov_b32 s21, exec_lo
	v_cmpx_ne_u16_e32 0x80, v13
	s_cbranch_execz .LBB351_841
; %bb.836:                              ;   in Loop: Header=BB351_15 Depth=1
	v_bfe_u32 v29, v28, 16, 7
	v_mov_b32_e32 v36, 0x7f800001
	s_mov_b32 s22, exec_lo
	v_cmpx_ne_u32_e32 0x7f, v29
	s_cbranch_execz .LBB351_840
; %bb.837:                              ;   in Loop: Header=BB351_15 Depth=1
	v_mov_b32_e32 v13, 7
	v_lshrrev_b32_e32 v36, 3, v29
	v_cmp_gt_u32_e64 s5, 8, v29
	v_and_b32_sdwa v13, v28, v13 dst_sel:DWORD dst_unused:UNUSED_PAD src0_sel:WORD_1 src1_sel:DWORD
	v_mov_b32_e32 v30, v14
	v_mov_b32_e32 v29, v13
	s_and_saveexec_b32 s23, s5
; %bb.838:                              ;   in Loop: Header=BB351_15 Depth=1
	v_ffbh_u32_e32 v29, v13
	v_min_u32_e32 v36, 32, v29
	v_subrev_nc_u32_e32 v29, 28, v36
	v_sub_nc_u32_e32 v36, 29, v36
	v_lshlrev_b64 v[29:30], v29, v[13:14]
	v_and_b32_e32 v29, 7, v29
; %bb.839:                              ;   in Loop: Header=BB351_15 Depth=1
	s_or_b32 exec_lo, exec_lo, s23
	v_mov_b32_e32 v13, 24
	v_lshlrev_b32_e32 v29, 20, v29
	v_lshl_add_u32 v30, v36, 23, 0x3c000000
	v_lshlrev_b32_sdwa v13, v13, v28 dst_sel:DWORD dst_unused:UNUSED_PAD src0_sel:DWORD src1_sel:WORD_1
	v_and_b32_e32 v13, 0x80000000, v13
	v_or3_b32 v36, v29, v13, v30
.LBB351_840:                            ;   in Loop: Header=BB351_15 Depth=1
	s_or_b32 exec_lo, exec_lo, s22
.LBB351_841:                            ;   in Loop: Header=BB351_15 Depth=1
	s_or_b32 exec_lo, exec_lo, s21
.LBB351_842:                            ;   in Loop: Header=BB351_15 Depth=1
	s_or_b32 exec_lo, exec_lo, s20
	s_mov_b32 s20, exec_lo
	v_cmpx_lt_u64_e64 s[12:13], v[27:28]
	s_cbranch_execz .LBB351_850
; %bb.843:                              ;   in Loop: Header=BB351_15 Depth=1
	v_cmp_ne_u32_sdwa s5, v28, v98 src0_sel:BYTE_3 src1_sel:DWORD
	v_bfrev_b32_e32 v20, 1
	s_and_saveexec_b32 s21, s5
	s_cbranch_execz .LBB351_849
; %bb.844:                              ;   in Loop: Header=BB351_15 Depth=1
	v_bfe_u32 v27, v28, 24, 7
	v_mov_b32_e32 v20, 0x7f800001
	s_mov_b32 s22, exec_lo
	v_cmpx_ne_u32_e32 0x7f, v27
	s_cbranch_execz .LBB351_848
; %bb.845:                              ;   in Loop: Header=BB351_15 Depth=1
	v_mov_b32_e32 v13, 7
	v_lshrrev_b32_e32 v20, 3, v27
	s_mov_b32 s23, exec_lo
	v_and_b32_sdwa v13, v28, v13 dst_sel:DWORD dst_unused:UNUSED_PAD src0_sel:BYTE_3 src1_sel:DWORD
	v_mov_b32_e32 v30, v14
	v_mov_b32_e32 v29, v13
	v_cmpx_gt_u32_e32 8, v27
; %bb.846:                              ;   in Loop: Header=BB351_15 Depth=1
	v_ffbh_u32_e32 v20, v13
	v_min_u32_e32 v20, 32, v20
	v_subrev_nc_u32_e32 v27, 28, v20
	v_sub_nc_u32_e32 v20, 29, v20
	v_lshlrev_b64 v[29:30], v27, v[13:14]
	v_and_b32_e32 v29, 7, v29
; %bb.847:                              ;   in Loop: Header=BB351_15 Depth=1
	s_or_b32 exec_lo, exec_lo, s23
	v_mov_b32_e32 v13, 24
	v_lshlrev_b32_e32 v27, 20, v29
	v_lshl_add_u32 v20, v20, 23, 0x3c000000
	v_lshlrev_b32_sdwa v13, v13, v28 dst_sel:DWORD dst_unused:UNUSED_PAD src0_sel:DWORD src1_sel:BYTE_3
	v_and_b32_e32 v13, 0x80000000, v13
	v_or3_b32 v20, v27, v13, v20
.LBB351_848:                            ;   in Loop: Header=BB351_15 Depth=1
	s_or_b32 exec_lo, exec_lo, s22
.LBB351_849:                            ;   in Loop: Header=BB351_15 Depth=1
	s_or_b32 exec_lo, exec_lo, s21
.LBB351_850:                            ;   in Loop: Header=BB351_15 Depth=1
	s_or_b32 exec_lo, exec_lo, s20
	flat_load_dwordx2 v[27:28], v[24:25] offset:1032
	v_mov_b32_e32 v115, 0
	v_mov_b32_e32 v116, 0
	s_waitcnt vmcnt(0) lgkmcnt(0)
	v_cmp_ne_u16_sdwa s5, v27, v14 src0_sel:BYTE_0 src1_sel:DWORD
	s_and_saveexec_b32 s20, s5
	s_cbranch_execz .LBB351_858
; %bb.851:                              ;   in Loop: Header=BB351_15 Depth=1
	v_cmp_ne_u16_sdwa s5, v27, v98 src0_sel:BYTE_0 src1_sel:DWORD
	v_bfrev_b32_e32 v116, 1
	s_and_saveexec_b32 s21, s5
	s_cbranch_execz .LBB351_857
; %bb.852:                              ;   in Loop: Header=BB351_15 Depth=1
	v_and_b32_e32 v29, 0x7f, v27
	v_mov_b32_e32 v116, 0x7f800001
	s_mov_b32 s22, exec_lo
	v_cmpx_ne_u32_e32 0x7f, v29
	s_cbranch_execz .LBB351_856
; %bb.853:                              ;   in Loop: Header=BB351_15 Depth=1
	v_lshrrev_b32_e32 v13, 3, v29
	v_cmp_gt_u32_e64 s5, 8, v29
	v_mov_b32_e32 v30, v28
	v_mov_b32_e32 v29, v27
	s_and_saveexec_b32 s23, s5
; %bb.854:                              ;   in Loop: Header=BB351_15 Depth=1
	v_and_b32_e32 v13, 7, v27
	v_ffbh_u32_e32 v13, v13
	v_min_u32_e32 v13, 32, v13
	v_subrev_nc_u32_e32 v29, 28, v13
	v_sub_nc_u32_e32 v13, 29, v13
	v_lshlrev_b64 v[29:30], v29, v[27:28]
; %bb.855:                              ;   in Loop: Header=BB351_15 Depth=1
	s_or_b32 exec_lo, exec_lo, s23
	v_lshlrev_b32_e32 v29, 20, v29
	v_lshlrev_b32_e32 v30, 24, v27
	v_lshl_add_u32 v13, v13, 23, 0x3c000000
	v_and_b32_e32 v29, 0x700000, v29
	v_and_b32_e32 v30, 0x80000000, v30
	v_or3_b32 v116, v29, v30, v13
.LBB351_856:                            ;   in Loop: Header=BB351_15 Depth=1
	s_or_b32 exec_lo, exec_lo, s22
.LBB351_857:                            ;   in Loop: Header=BB351_15 Depth=1
	s_or_b32 exec_lo, exec_lo, s21
.LBB351_858:                            ;   in Loop: Header=BB351_15 Depth=1
	s_or_b32 exec_lo, exec_lo, s20
	v_cmp_ne_u16_sdwa s5, v27, v14 src0_sel:BYTE_1 src1_sel:DWORD
	s_and_saveexec_b32 s20, s5
	s_cbranch_execz .LBB351_866
; %bb.859:                              ;   in Loop: Header=BB351_15 Depth=1
	v_cmp_ne_u16_sdwa s5, v27, v98 src0_sel:BYTE_1 src1_sel:DWORD
	v_bfrev_b32_e32 v115, 1
	s_and_saveexec_b32 s21, s5
	s_cbranch_execz .LBB351_865
; %bb.860:                              ;   in Loop: Header=BB351_15 Depth=1
	v_mov_b32_e32 v13, 0xffff
	v_mov_b32_e32 v115, 0x7f800001
	s_mov_b32 s22, exec_lo
	v_and_b32_sdwa v13, v13, v27 dst_sel:DWORD dst_unused:UNUSED_PAD src0_sel:DWORD src1_sel:BYTE_1
	v_and_b32_e32 v29, 0x7f, v13
	v_cmpx_ne_u32_e32 0x7f, v29
	s_cbranch_execz .LBB351_864
; %bb.861:                              ;   in Loop: Header=BB351_15 Depth=1
	v_and_b32_e32 v13, 7, v13
	v_lshrrev_b32_e32 v83, 3, v29
	v_cmp_gt_u32_e64 s5, 8, v29
	v_mov_b32_e32 v30, v14
	v_mov_b32_e32 v29, v13
	s_and_saveexec_b32 s23, s5
; %bb.862:                              ;   in Loop: Header=BB351_15 Depth=1
	v_ffbh_u32_e32 v29, v13
	v_min_u32_e32 v83, 32, v29
	v_subrev_nc_u32_e32 v29, 28, v83
	v_sub_nc_u32_e32 v83, 29, v83
	v_lshlrev_b64 v[29:30], v29, v[13:14]
	v_and_b32_e32 v29, 7, v29
; %bb.863:                              ;   in Loop: Header=BB351_15 Depth=1
	s_or_b32 exec_lo, exec_lo, s23
	v_lshlrev_b32_e32 v13, 16, v27
	v_lshlrev_b32_e32 v29, 20, v29
	v_lshl_add_u32 v30, v83, 23, 0x3c000000
	v_and_b32_e32 v13, 0x80000000, v13
	v_or3_b32 v115, v29, v13, v30
.LBB351_864:                            ;   in Loop: Header=BB351_15 Depth=1
	s_or_b32 exec_lo, exec_lo, s22
.LBB351_865:                            ;   in Loop: Header=BB351_15 Depth=1
	s_or_b32 exec_lo, exec_lo, s21
.LBB351_866:                            ;   in Loop: Header=BB351_15 Depth=1
	s_or_b32 exec_lo, exec_lo, s20
	v_and_b32_sdwa v13, v27, v34 dst_sel:DWORD dst_unused:UNUSED_PAD src0_sel:WORD_1 src1_sel:DWORD
	v_mov_b32_e32 v118, 0
	v_mov_b32_e32 v117, 0
	s_mov_b32 s20, exec_lo
	v_cmpx_ne_u16_e32 0, v13
	s_cbranch_execz .LBB351_874
; %bb.867:                              ;   in Loop: Header=BB351_15 Depth=1
	v_bfrev_b32_e32 v117, 1
	s_mov_b32 s21, exec_lo
	v_cmpx_ne_u16_e32 0x80, v13
	s_cbranch_execz .LBB351_873
; %bb.868:                              ;   in Loop: Header=BB351_15 Depth=1
	v_bfe_u32 v29, v27, 16, 7
	v_mov_b32_e32 v117, 0x7f800001
	s_mov_b32 s22, exec_lo
	v_cmpx_ne_u32_e32 0x7f, v29
	s_cbranch_execz .LBB351_872
; %bb.869:                              ;   in Loop: Header=BB351_15 Depth=1
	v_mov_b32_e32 v13, 7
	v_lshrrev_b32_e32 v83, 3, v29
	v_cmp_gt_u32_e64 s5, 8, v29
	v_and_b32_sdwa v13, v27, v13 dst_sel:DWORD dst_unused:UNUSED_PAD src0_sel:WORD_1 src1_sel:DWORD
	v_mov_b32_e32 v30, v14
	v_mov_b32_e32 v29, v13
	s_and_saveexec_b32 s23, s5
; %bb.870:                              ;   in Loop: Header=BB351_15 Depth=1
	v_ffbh_u32_e32 v29, v13
	v_min_u32_e32 v83, 32, v29
	v_subrev_nc_u32_e32 v29, 28, v83
	v_sub_nc_u32_e32 v83, 29, v83
	v_lshlrev_b64 v[29:30], v29, v[13:14]
	v_and_b32_e32 v29, 7, v29
; %bb.871:                              ;   in Loop: Header=BB351_15 Depth=1
	s_or_b32 exec_lo, exec_lo, s23
	v_mov_b32_e32 v13, 24
	v_lshlrev_b32_e32 v29, 20, v29
	v_lshl_add_u32 v30, v83, 23, 0x3c000000
	v_lshlrev_b32_sdwa v13, v13, v27 dst_sel:DWORD dst_unused:UNUSED_PAD src0_sel:DWORD src1_sel:WORD_1
	v_and_b32_e32 v13, 0x80000000, v13
	v_or3_b32 v117, v29, v13, v30
.LBB351_872:                            ;   in Loop: Header=BB351_15 Depth=1
	s_or_b32 exec_lo, exec_lo, s22
.LBB351_873:                            ;   in Loop: Header=BB351_15 Depth=1
	s_or_b32 exec_lo, exec_lo, s21
.LBB351_874:                            ;   in Loop: Header=BB351_15 Depth=1
	s_or_b32 exec_lo, exec_lo, s20
	s_mov_b32 s20, exec_lo
	v_cmpx_lt_u32_e32 0xffffff, v27
	s_cbranch_execz .LBB351_882
; %bb.875:                              ;   in Loop: Header=BB351_15 Depth=1
	v_cmp_ne_u32_sdwa s5, v27, v98 src0_sel:BYTE_3 src1_sel:DWORD
	v_bfrev_b32_e32 v118, 1
	s_and_saveexec_b32 s21, s5
	s_cbranch_execz .LBB351_881
; %bb.876:                              ;   in Loop: Header=BB351_15 Depth=1
	v_bfe_u32 v29, v27, 24, 7
	v_mov_b32_e32 v118, 0x7f800001
	s_mov_b32 s22, exec_lo
	v_cmpx_ne_u32_e32 0x7f, v29
	s_cbranch_execz .LBB351_880
; %bb.877:                              ;   in Loop: Header=BB351_15 Depth=1
	v_mov_b32_e32 v13, 7
	v_lshrrev_b32_e32 v83, 3, v29
	v_cmp_gt_u32_e64 s5, 8, v29
	v_and_b32_sdwa v13, v27, v13 dst_sel:DWORD dst_unused:UNUSED_PAD src0_sel:BYTE_3 src1_sel:DWORD
	v_mov_b32_e32 v30, v14
	v_mov_b32_e32 v29, v13
	s_and_saveexec_b32 s23, s5
; %bb.878:                              ;   in Loop: Header=BB351_15 Depth=1
	v_ffbh_u32_e32 v29, v13
	v_min_u32_e32 v83, 32, v29
	v_subrev_nc_u32_e32 v29, 28, v83
	v_sub_nc_u32_e32 v83, 29, v83
	v_lshlrev_b64 v[29:30], v29, v[13:14]
	v_and_b32_e32 v29, 7, v29
; %bb.879:                              ;   in Loop: Header=BB351_15 Depth=1
	s_or_b32 exec_lo, exec_lo, s23
	v_mov_b32_e32 v13, 24
	v_lshlrev_b32_e32 v29, 20, v29
	v_lshl_add_u32 v30, v83, 23, 0x3c000000
	v_lshlrev_b32_sdwa v13, v13, v27 dst_sel:DWORD dst_unused:UNUSED_PAD src0_sel:DWORD src1_sel:BYTE_3
	v_and_b32_e32 v13, 0x80000000, v13
	v_or3_b32 v118, v29, v13, v30
.LBB351_880:                            ;   in Loop: Header=BB351_15 Depth=1
	s_or_b32 exec_lo, exec_lo, s22
.LBB351_881:                            ;   in Loop: Header=BB351_15 Depth=1
	s_or_b32 exec_lo, exec_lo, s21
.LBB351_882:                            ;   in Loop: Header=BB351_15 Depth=1
	s_or_b32 exec_lo, exec_lo, s20
	v_mov_b32_e32 v13, v28
	v_cmp_ne_u16_sdwa s5, v28, v14 src0_sel:BYTE_0 src1_sel:DWORD
	v_mov_b32_e32 v44, 0
	v_mov_b32_e32 v41, 0
	s_and_saveexec_b32 s20, s5
	s_cbranch_execz .LBB351_890
; %bb.883:                              ;   in Loop: Header=BB351_15 Depth=1
	v_cmp_ne_u16_sdwa s5, v28, v98 src0_sel:BYTE_0 src1_sel:DWORD
	v_bfrev_b32_e32 v41, 1
	s_and_saveexec_b32 s21, s5
	s_cbranch_execz .LBB351_889
; %bb.884:                              ;   in Loop: Header=BB351_15 Depth=1
	v_and_b32_e32 v29, 0x7f, v28
	v_mov_b32_e32 v41, 0x7f800001
	s_mov_b32 s22, exec_lo
	v_cmpx_ne_u32_e32 0x7f, v29
	s_cbranch_execz .LBB351_888
; %bb.885:                              ;   in Loop: Header=BB351_15 Depth=1
	v_lshrrev_b32_e32 v83, 3, v29
	v_cmp_gt_u32_e64 s5, 8, v29
	v_mov_b32_e32 v30, v14
	v_mov_b32_e32 v29, v13
	s_and_saveexec_b32 s23, s5
; %bb.886:                              ;   in Loop: Header=BB351_15 Depth=1
	v_and_b32_e32 v29, 7, v28
	v_ffbh_u32_e32 v29, v29
	v_min_u32_e32 v83, 32, v29
	v_subrev_nc_u32_e32 v29, 28, v83
	v_sub_nc_u32_e32 v83, 29, v83
	v_lshlrev_b64 v[29:30], v29, v[13:14]
; %bb.887:                              ;   in Loop: Header=BB351_15 Depth=1
	s_or_b32 exec_lo, exec_lo, s23
	v_lshlrev_b32_e32 v29, 20, v29
	v_lshlrev_b32_e32 v30, 24, v13
	v_lshl_add_u32 v83, v83, 23, 0x3c000000
	v_and_b32_e32 v29, 0x700000, v29
	v_and_b32_e32 v30, 0x80000000, v30
	v_or3_b32 v41, v29, v30, v83
.LBB351_888:                            ;   in Loop: Header=BB351_15 Depth=1
	s_or_b32 exec_lo, exec_lo, s22
.LBB351_889:                            ;   in Loop: Header=BB351_15 Depth=1
	s_or_b32 exec_lo, exec_lo, s21
.LBB351_890:                            ;   in Loop: Header=BB351_15 Depth=1
	s_or_b32 exec_lo, exec_lo, s20
	v_cmp_ne_u16_sdwa s5, v13, v14 src0_sel:BYTE_1 src1_sel:DWORD
	s_and_saveexec_b32 s20, s5
	s_cbranch_execz .LBB351_898
; %bb.891:                              ;   in Loop: Header=BB351_15 Depth=1
	v_cmp_ne_u16_sdwa s5, v13, v98 src0_sel:BYTE_1 src1_sel:DWORD
	v_bfrev_b32_e32 v44, 1
	s_and_saveexec_b32 s21, s5
	s_cbranch_execz .LBB351_897
; %bb.892:                              ;   in Loop: Header=BB351_15 Depth=1
	v_mov_b32_e32 v29, 0xffff
	v_mov_b32_e32 v44, 0x7f800001
	s_mov_b32 s22, exec_lo
	v_and_b32_sdwa v29, v29, v13 dst_sel:DWORD dst_unused:UNUSED_PAD src0_sel:DWORD src1_sel:BYTE_1
	v_and_b32_e32 v113, 0x7f, v29
	v_cmpx_ne_u32_e32 0x7f, v113
	s_cbranch_execz .LBB351_896
; %bb.893:                              ;   in Loop: Header=BB351_15 Depth=1
	v_and_b32_e32 v29, 7, v29
	v_mov_b32_e32 v30, v14
	v_lshrrev_b32_e32 v83, 3, v113
	s_mov_b32 s23, exec_lo
	v_cmpx_gt_u32_e32 8, v113
; %bb.894:                              ;   in Loop: Header=BB351_15 Depth=1
	v_ffbh_u32_e32 v83, v29
	v_min_u32_e32 v83, 32, v83
	v_subrev_nc_u32_e32 v113, 28, v83
	v_sub_nc_u32_e32 v83, 29, v83
	v_lshlrev_b64 v[29:30], v113, v[29:30]
	v_and_b32_e32 v29, 7, v29
; %bb.895:                              ;   in Loop: Header=BB351_15 Depth=1
	s_or_b32 exec_lo, exec_lo, s23
	v_lshlrev_b32_e32 v13, 16, v13
	v_lshlrev_b32_e32 v29, 20, v29
	v_lshl_add_u32 v30, v83, 23, 0x3c000000
	v_and_b32_e32 v13, 0x80000000, v13
	v_or3_b32 v44, v29, v13, v30
.LBB351_896:                            ;   in Loop: Header=BB351_15 Depth=1
	s_or_b32 exec_lo, exec_lo, s22
.LBB351_897:                            ;   in Loop: Header=BB351_15 Depth=1
	s_or_b32 exec_lo, exec_lo, s21
.LBB351_898:                            ;   in Loop: Header=BB351_15 Depth=1
	s_or_b32 exec_lo, exec_lo, s20
	v_and_b32_sdwa v13, v28, v34 dst_sel:DWORD dst_unused:UNUSED_PAD src0_sel:WORD_1 src1_sel:DWORD
	v_mov_b32_e32 v45, 0
	v_mov_b32_e32 v83, 0
	s_mov_b32 s20, exec_lo
	v_cmpx_ne_u16_e32 0, v13
	s_cbranch_execz .LBB351_906
; %bb.899:                              ;   in Loop: Header=BB351_15 Depth=1
	v_bfrev_b32_e32 v83, 1
	s_mov_b32 s21, exec_lo
	v_cmpx_ne_u16_e32 0x80, v13
	s_cbranch_execz .LBB351_905
; %bb.900:                              ;   in Loop: Header=BB351_15 Depth=1
	v_bfe_u32 v29, v28, 16, 7
	v_mov_b32_e32 v83, 0x7f800001
	s_mov_b32 s22, exec_lo
	v_cmpx_ne_u32_e32 0x7f, v29
	s_cbranch_execz .LBB351_904
; %bb.901:                              ;   in Loop: Header=BB351_15 Depth=1
	v_mov_b32_e32 v13, 7
	v_lshrrev_b32_e32 v83, 3, v29
	v_cmp_gt_u32_e64 s5, 8, v29
	v_and_b32_sdwa v13, v28, v13 dst_sel:DWORD dst_unused:UNUSED_PAD src0_sel:WORD_1 src1_sel:DWORD
	v_mov_b32_e32 v30, v14
	v_mov_b32_e32 v29, v13
	s_and_saveexec_b32 s23, s5
; %bb.902:                              ;   in Loop: Header=BB351_15 Depth=1
	v_ffbh_u32_e32 v29, v13
	v_min_u32_e32 v83, 32, v29
	v_subrev_nc_u32_e32 v29, 28, v83
	v_sub_nc_u32_e32 v83, 29, v83
	v_lshlrev_b64 v[29:30], v29, v[13:14]
	v_and_b32_e32 v29, 7, v29
; %bb.903:                              ;   in Loop: Header=BB351_15 Depth=1
	s_or_b32 exec_lo, exec_lo, s23
	v_mov_b32_e32 v13, 24
	v_lshlrev_b32_e32 v29, 20, v29
	v_lshl_add_u32 v30, v83, 23, 0x3c000000
	v_lshlrev_b32_sdwa v13, v13, v28 dst_sel:DWORD dst_unused:UNUSED_PAD src0_sel:DWORD src1_sel:WORD_1
	v_and_b32_e32 v13, 0x80000000, v13
	v_or3_b32 v83, v29, v13, v30
.LBB351_904:                            ;   in Loop: Header=BB351_15 Depth=1
	s_or_b32 exec_lo, exec_lo, s22
.LBB351_905:                            ;   in Loop: Header=BB351_15 Depth=1
	s_or_b32 exec_lo, exec_lo, s21
.LBB351_906:                            ;   in Loop: Header=BB351_15 Depth=1
	s_or_b32 exec_lo, exec_lo, s20
	s_mov_b32 s20, exec_lo
	v_cmpx_lt_u64_e64 s[12:13], v[27:28]
	s_cbranch_execz .LBB351_914
; %bb.907:                              ;   in Loop: Header=BB351_15 Depth=1
	v_cmp_ne_u32_sdwa s5, v28, v98 src0_sel:BYTE_3 src1_sel:DWORD
	v_bfrev_b32_e32 v45, 1
	s_and_saveexec_b32 s21, s5
	s_cbranch_execz .LBB351_913
; %bb.908:                              ;   in Loop: Header=BB351_15 Depth=1
	v_bfe_u32 v29, v28, 24, 7
	v_mov_b32_e32 v45, 0x7f800001
	s_mov_b32 s22, exec_lo
	v_cmpx_ne_u32_e32 0x7f, v29
	s_cbranch_execz .LBB351_912
; %bb.909:                              ;   in Loop: Header=BB351_15 Depth=1
	v_mov_b32_e32 v13, 7
	v_lshrrev_b32_e32 v27, 3, v29
	v_cmp_gt_u32_e64 s5, 8, v29
	v_and_b32_sdwa v13, v28, v13 dst_sel:DWORD dst_unused:UNUSED_PAD src0_sel:BYTE_3 src1_sel:DWORD
	v_mov_b32_e32 v30, v14
	v_mov_b32_e32 v29, v13
	s_and_saveexec_b32 s23, s5
; %bb.910:                              ;   in Loop: Header=BB351_15 Depth=1
	v_ffbh_u32_e32 v27, v13
	v_min_u32_e32 v27, 32, v27
	v_subrev_nc_u32_e32 v29, 28, v27
	v_sub_nc_u32_e32 v27, 29, v27
	v_lshlrev_b64 v[29:30], v29, v[13:14]
	v_and_b32_e32 v29, 7, v29
; %bb.911:                              ;   in Loop: Header=BB351_15 Depth=1
	s_or_b32 exec_lo, exec_lo, s23
	v_mov_b32_e32 v13, 24
	v_lshl_add_u32 v27, v27, 23, 0x3c000000
	v_lshlrev_b32_sdwa v13, v13, v28 dst_sel:DWORD dst_unused:UNUSED_PAD src0_sel:DWORD src1_sel:BYTE_3
	v_lshlrev_b32_e32 v28, 20, v29
	v_and_b32_e32 v13, 0x80000000, v13
	v_or3_b32 v45, v28, v13, v27
.LBB351_912:                            ;   in Loop: Header=BB351_15 Depth=1
	s_or_b32 exec_lo, exec_lo, s22
.LBB351_913:                            ;   in Loop: Header=BB351_15 Depth=1
	s_or_b32 exec_lo, exec_lo, s21
.LBB351_914:                            ;   in Loop: Header=BB351_15 Depth=1
	s_or_b32 exec_lo, exec_lo, s20
	flat_load_dwordx2 v[24:25], v[24:25] offset:1536
	v_mov_b32_e32 v30, 0
	v_mov_b32_e32 v13, 0
	buffer_store_dword v13, off, s[0:3], s32 offset:236 ; 4-byte Folded Spill
	s_waitcnt vmcnt(0) lgkmcnt(0)
	v_cmp_ne_u16_sdwa s5, v24, v14 src0_sel:BYTE_0 src1_sel:DWORD
	s_and_saveexec_b32 s20, s5
	s_cbranch_execz .LBB351_922
; %bb.915:                              ;   in Loop: Header=BB351_15 Depth=1
	v_cmp_ne_u16_sdwa s5, v24, v98 src0_sel:BYTE_0 src1_sel:DWORD
	v_bfrev_b32_e32 v13, 1
	buffer_store_dword v13, off, s[0:3], s32 offset:236 ; 4-byte Folded Spill
	s_and_saveexec_b32 s21, s5
	s_cbranch_execz .LBB351_921
; %bb.916:                              ;   in Loop: Header=BB351_15 Depth=1
	v_and_b32_e32 v27, 0x7f, v24
	v_mov_b32_e32 v13, 0x7f800001
	s_mov_b32 s22, exec_lo
	buffer_store_dword v13, off, s[0:3], s32 offset:236 ; 4-byte Folded Spill
	v_cmpx_ne_u32_e32 0x7f, v27
	s_cbranch_execz .LBB351_920
; %bb.917:                              ;   in Loop: Header=BB351_15 Depth=1
	v_lshrrev_b32_e32 v13, 3, v27
	v_cmp_gt_u32_e64 s5, 8, v27
	v_mov_b32_e32 v28, v25
	v_mov_b32_e32 v27, v24
	s_and_saveexec_b32 s23, s5
; %bb.918:                              ;   in Loop: Header=BB351_15 Depth=1
	v_and_b32_e32 v13, 7, v24
	v_ffbh_u32_e32 v13, v13
	v_min_u32_e32 v13, 32, v13
	v_subrev_nc_u32_e32 v27, 28, v13
	v_sub_nc_u32_e32 v13, 29, v13
	v_lshlrev_b64 v[27:28], v27, v[24:25]
; %bb.919:                              ;   in Loop: Header=BB351_15 Depth=1
	s_or_b32 exec_lo, exec_lo, s23
	v_lshlrev_b32_e32 v27, 20, v27
	v_lshlrev_b32_e32 v28, 24, v24
	v_lshl_add_u32 v13, v13, 23, 0x3c000000
	v_and_b32_e32 v27, 0x700000, v27
	v_and_b32_e32 v28, 0x80000000, v28
	v_or3_b32 v13, v27, v28, v13
	buffer_store_dword v13, off, s[0:3], s32 offset:236 ; 4-byte Folded Spill
.LBB351_920:                            ;   in Loop: Header=BB351_15 Depth=1
	s_or_b32 exec_lo, exec_lo, s22
.LBB351_921:                            ;   in Loop: Header=BB351_15 Depth=1
	s_or_b32 exec_lo, exec_lo, s21
.LBB351_922:                            ;   in Loop: Header=BB351_15 Depth=1
	s_or_b32 exec_lo, exec_lo, s20
	v_cmp_ne_u16_sdwa s5, v24, v14 src0_sel:BYTE_1 src1_sel:DWORD
	s_and_saveexec_b32 s20, s5
	s_cbranch_execz .LBB351_930
; %bb.923:                              ;   in Loop: Header=BB351_15 Depth=1
	v_cmp_ne_u16_sdwa s5, v24, v98 src0_sel:BYTE_1 src1_sel:DWORD
	v_bfrev_b32_e32 v30, 1
	s_and_saveexec_b32 s21, s5
	s_cbranch_execz .LBB351_929
; %bb.924:                              ;   in Loop: Header=BB351_15 Depth=1
	v_mov_b32_e32 v13, 0xffff
	v_mov_b32_e32 v30, 0x7f800001
	s_mov_b32 s22, exec_lo
	v_and_b32_sdwa v13, v13, v24 dst_sel:DWORD dst_unused:UNUSED_PAD src0_sel:DWORD src1_sel:BYTE_1
	v_and_b32_e32 v27, 0x7f, v13
	v_cmpx_ne_u32_e32 0x7f, v27
	s_cbranch_execz .LBB351_928
; %bb.925:                              ;   in Loop: Header=BB351_15 Depth=1
	v_and_b32_e32 v13, 7, v13
	v_lshrrev_b32_e32 v30, 3, v27
	v_cmp_gt_u32_e64 s5, 8, v27
	v_mov_b32_e32 v28, v14
	v_mov_b32_e32 v27, v13
	s_and_saveexec_b32 s23, s5
; %bb.926:                              ;   in Loop: Header=BB351_15 Depth=1
	v_ffbh_u32_e32 v27, v13
	v_min_u32_e32 v30, 32, v27
	v_subrev_nc_u32_e32 v27, 28, v30
	v_sub_nc_u32_e32 v30, 29, v30
	v_lshlrev_b64 v[27:28], v27, v[13:14]
	v_and_b32_e32 v27, 7, v27
; %bb.927:                              ;   in Loop: Header=BB351_15 Depth=1
	s_or_b32 exec_lo, exec_lo, s23
	v_lshlrev_b32_e32 v13, 16, v24
	v_lshlrev_b32_e32 v27, 20, v27
	v_lshl_add_u32 v28, v30, 23, 0x3c000000
	v_and_b32_e32 v13, 0x80000000, v13
	v_or3_b32 v30, v27, v13, v28
.LBB351_928:                            ;   in Loop: Header=BB351_15 Depth=1
	s_or_b32 exec_lo, exec_lo, s22
.LBB351_929:                            ;   in Loop: Header=BB351_15 Depth=1
	s_or_b32 exec_lo, exec_lo, s21
.LBB351_930:                            ;   in Loop: Header=BB351_15 Depth=1
	s_or_b32 exec_lo, exec_lo, s20
	v_and_b32_sdwa v13, v24, v34 dst_sel:DWORD dst_unused:UNUSED_PAD src0_sel:WORD_1 src1_sel:DWORD
	v_mov_b32_e32 v114, 0
	v_mov_b32_e32 v113, 0
	s_mov_b32 s20, exec_lo
	v_cmpx_ne_u16_e32 0, v13
	s_cbranch_execz .LBB351_938
; %bb.931:                              ;   in Loop: Header=BB351_15 Depth=1
	v_bfrev_b32_e32 v113, 1
	s_mov_b32 s21, exec_lo
	v_cmpx_ne_u16_e32 0x80, v13
	s_cbranch_execz .LBB351_937
; %bb.932:                              ;   in Loop: Header=BB351_15 Depth=1
	v_bfe_u32 v27, v24, 16, 7
	v_mov_b32_e32 v113, 0x7f800001
	s_mov_b32 s22, exec_lo
	v_cmpx_ne_u32_e32 0x7f, v27
	s_cbranch_execz .LBB351_936
; %bb.933:                              ;   in Loop: Header=BB351_15 Depth=1
	v_mov_b32_e32 v13, 7
	v_lshrrev_b32_e32 v113, 3, v27
	v_cmp_gt_u32_e64 s5, 8, v27
	v_and_b32_sdwa v13, v24, v13 dst_sel:DWORD dst_unused:UNUSED_PAD src0_sel:WORD_1 src1_sel:DWORD
	v_mov_b32_e32 v28, v14
	v_mov_b32_e32 v27, v13
	s_and_saveexec_b32 s23, s5
; %bb.934:                              ;   in Loop: Header=BB351_15 Depth=1
	v_ffbh_u32_e32 v27, v13
	v_min_u32_e32 v113, 32, v27
	v_subrev_nc_u32_e32 v27, 28, v113
	v_sub_nc_u32_e32 v113, 29, v113
	v_lshlrev_b64 v[27:28], v27, v[13:14]
	v_and_b32_e32 v27, 7, v27
; %bb.935:                              ;   in Loop: Header=BB351_15 Depth=1
	s_or_b32 exec_lo, exec_lo, s23
	v_mov_b32_e32 v13, 24
	v_lshlrev_b32_e32 v27, 20, v27
	v_lshl_add_u32 v28, v113, 23, 0x3c000000
	v_lshlrev_b32_sdwa v13, v13, v24 dst_sel:DWORD dst_unused:UNUSED_PAD src0_sel:DWORD src1_sel:WORD_1
	v_and_b32_e32 v13, 0x80000000, v13
	v_or3_b32 v113, v27, v13, v28
.LBB351_936:                            ;   in Loop: Header=BB351_15 Depth=1
	s_or_b32 exec_lo, exec_lo, s22
.LBB351_937:                            ;   in Loop: Header=BB351_15 Depth=1
	s_or_b32 exec_lo, exec_lo, s21
.LBB351_938:                            ;   in Loop: Header=BB351_15 Depth=1
	s_or_b32 exec_lo, exec_lo, s20
	s_mov_b32 s20, exec_lo
	v_cmpx_lt_u32_e32 0xffffff, v24
	s_cbranch_execz .LBB351_946
; %bb.939:                              ;   in Loop: Header=BB351_15 Depth=1
	v_cmp_ne_u32_sdwa s5, v24, v98 src0_sel:BYTE_3 src1_sel:DWORD
	v_bfrev_b32_e32 v114, 1
	s_and_saveexec_b32 s21, s5
	s_cbranch_execz .LBB351_945
; %bb.940:                              ;   in Loop: Header=BB351_15 Depth=1
	v_bfe_u32 v27, v24, 24, 7
	v_mov_b32_e32 v114, 0x7f800001
	s_mov_b32 s22, exec_lo
	v_cmpx_ne_u32_e32 0x7f, v27
	s_cbranch_execz .LBB351_944
; %bb.941:                              ;   in Loop: Header=BB351_15 Depth=1
	v_mov_b32_e32 v13, 7
	v_lshrrev_b32_e32 v114, 3, v27
	v_cmp_gt_u32_e64 s5, 8, v27
	v_and_b32_sdwa v13, v24, v13 dst_sel:DWORD dst_unused:UNUSED_PAD src0_sel:BYTE_3 src1_sel:DWORD
	v_mov_b32_e32 v28, v14
	v_mov_b32_e32 v27, v13
	s_and_saveexec_b32 s23, s5
; %bb.942:                              ;   in Loop: Header=BB351_15 Depth=1
	v_ffbh_u32_e32 v27, v13
	v_min_u32_e32 v114, 32, v27
	v_subrev_nc_u32_e32 v27, 28, v114
	v_sub_nc_u32_e32 v114, 29, v114
	v_lshlrev_b64 v[27:28], v27, v[13:14]
	v_and_b32_e32 v27, 7, v27
; %bb.943:                              ;   in Loop: Header=BB351_15 Depth=1
	s_or_b32 exec_lo, exec_lo, s23
	v_mov_b32_e32 v13, 24
	v_lshlrev_b32_e32 v27, 20, v27
	v_lshl_add_u32 v28, v114, 23, 0x3c000000
	v_lshlrev_b32_sdwa v13, v13, v24 dst_sel:DWORD dst_unused:UNUSED_PAD src0_sel:DWORD src1_sel:BYTE_3
	v_and_b32_e32 v13, 0x80000000, v13
	v_or3_b32 v114, v27, v13, v28
.LBB351_944:                            ;   in Loop: Header=BB351_15 Depth=1
	s_or_b32 exec_lo, exec_lo, s22
.LBB351_945:                            ;   in Loop: Header=BB351_15 Depth=1
	s_or_b32 exec_lo, exec_lo, s21
.LBB351_946:                            ;   in Loop: Header=BB351_15 Depth=1
	s_or_b32 exec_lo, exec_lo, s20
	v_mov_b32_e32 v13, v25
	v_cmp_ne_u16_sdwa s5, v25, v14 src0_sel:BYTE_0 src1_sel:DWORD
	v_mov_b32_e32 v40, 0
	v_mov_b32_e32 v119, 0
	s_and_saveexec_b32 s20, s5
	s_cbranch_execz .LBB351_954
; %bb.947:                              ;   in Loop: Header=BB351_15 Depth=1
	v_cmp_ne_u16_sdwa s5, v25, v98 src0_sel:BYTE_0 src1_sel:DWORD
	v_bfrev_b32_e32 v119, 1
	s_and_saveexec_b32 s21, s5
	s_cbranch_execz .LBB351_953
; %bb.948:                              ;   in Loop: Header=BB351_15 Depth=1
	v_and_b32_e32 v27, 0x7f, v25
	v_mov_b32_e32 v119, 0x7f800001
	s_mov_b32 s22, exec_lo
	v_cmpx_ne_u32_e32 0x7f, v27
	s_cbranch_execz .LBB351_952
; %bb.949:                              ;   in Loop: Header=BB351_15 Depth=1
	v_lshrrev_b32_e32 v119, 3, v27
	v_cmp_gt_u32_e64 s5, 8, v27
	v_mov_b32_e32 v28, v14
	v_mov_b32_e32 v27, v13
	s_and_saveexec_b32 s23, s5
; %bb.950:                              ;   in Loop: Header=BB351_15 Depth=1
	v_and_b32_e32 v27, 7, v25
	v_ffbh_u32_e32 v27, v27
	v_min_u32_e32 v119, 32, v27
	v_subrev_nc_u32_e32 v27, 28, v119
	v_sub_nc_u32_e32 v119, 29, v119
	v_lshlrev_b64 v[27:28], v27, v[13:14]
; %bb.951:                              ;   in Loop: Header=BB351_15 Depth=1
	s_or_b32 exec_lo, exec_lo, s23
	v_lshlrev_b32_e32 v27, 20, v27
	v_lshlrev_b32_e32 v28, 24, v13
	v_lshl_add_u32 v119, v119, 23, 0x3c000000
	v_and_b32_e32 v27, 0x700000, v27
	v_and_b32_e32 v28, 0x80000000, v28
	v_or3_b32 v119, v27, v28, v119
.LBB351_952:                            ;   in Loop: Header=BB351_15 Depth=1
	s_or_b32 exec_lo, exec_lo, s22
.LBB351_953:                            ;   in Loop: Header=BB351_15 Depth=1
	s_or_b32 exec_lo, exec_lo, s21
.LBB351_954:                            ;   in Loop: Header=BB351_15 Depth=1
	s_or_b32 exec_lo, exec_lo, s20
	v_cmp_ne_u16_sdwa s5, v13, v14 src0_sel:BYTE_1 src1_sel:DWORD
	s_and_saveexec_b32 s20, s5
	s_cbranch_execz .LBB351_962
; %bb.955:                              ;   in Loop: Header=BB351_15 Depth=1
	v_cmp_ne_u16_sdwa s5, v13, v98 src0_sel:BYTE_1 src1_sel:DWORD
	v_bfrev_b32_e32 v40, 1
	s_and_saveexec_b32 s21, s5
	s_cbranch_execz .LBB351_961
; %bb.956:                              ;   in Loop: Header=BB351_15 Depth=1
	v_mov_b32_e32 v27, 0xffff
	v_mov_b32_e32 v40, 0x7f800001
	s_mov_b32 s22, exec_lo
	v_and_b32_sdwa v27, v27, v13 dst_sel:DWORD dst_unused:UNUSED_PAD src0_sel:DWORD src1_sel:BYTE_1
	v_and_b32_e32 v42, 0x7f, v27
	v_cmpx_ne_u32_e32 0x7f, v42
	s_cbranch_execz .LBB351_960
; %bb.957:                              ;   in Loop: Header=BB351_15 Depth=1
	v_and_b32_e32 v27, 7, v27
	v_mov_b32_e32 v28, v14
	v_lshrrev_b32_e32 v40, 3, v42
	s_mov_b32 s23, exec_lo
	v_cmpx_gt_u32_e32 8, v42
; %bb.958:                              ;   in Loop: Header=BB351_15 Depth=1
	v_ffbh_u32_e32 v40, v27
	v_min_u32_e32 v40, 32, v40
	v_subrev_nc_u32_e32 v42, 28, v40
	v_sub_nc_u32_e32 v40, 29, v40
	v_lshlrev_b64 v[27:28], v42, v[27:28]
	v_and_b32_e32 v27, 7, v27
; %bb.959:                              ;   in Loop: Header=BB351_15 Depth=1
	s_or_b32 exec_lo, exec_lo, s23
	v_lshlrev_b32_e32 v13, 16, v13
	v_lshlrev_b32_e32 v27, 20, v27
	v_lshl_add_u32 v28, v40, 23, 0x3c000000
	v_and_b32_e32 v13, 0x80000000, v13
	v_or3_b32 v40, v27, v13, v28
.LBB351_960:                            ;   in Loop: Header=BB351_15 Depth=1
	s_or_b32 exec_lo, exec_lo, s22
.LBB351_961:                            ;   in Loop: Header=BB351_15 Depth=1
	s_or_b32 exec_lo, exec_lo, s21
.LBB351_962:                            ;   in Loop: Header=BB351_15 Depth=1
	s_or_b32 exec_lo, exec_lo, s20
	v_and_b32_sdwa v13, v25, v34 dst_sel:DWORD dst_unused:UNUSED_PAD src0_sel:WORD_1 src1_sel:DWORD
	v_mov_b32_e32 v42, 0
	v_mov_b32_e32 v43, 0
	s_mov_b32 s20, exec_lo
	v_cmpx_ne_u16_e32 0, v13
	s_cbranch_execz .LBB351_970
; %bb.963:                              ;   in Loop: Header=BB351_15 Depth=1
	v_bfrev_b32_e32 v43, 1
	s_mov_b32 s21, exec_lo
	v_cmpx_ne_u16_e32 0x80, v13
	s_cbranch_execz .LBB351_969
; %bb.964:                              ;   in Loop: Header=BB351_15 Depth=1
	v_bfe_u32 v27, v25, 16, 7
	v_mov_b32_e32 v43, 0x7f800001
	s_mov_b32 s22, exec_lo
	v_cmpx_ne_u32_e32 0x7f, v27
	s_cbranch_execz .LBB351_968
; %bb.965:                              ;   in Loop: Header=BB351_15 Depth=1
	v_mov_b32_e32 v13, 7
	v_lshrrev_b32_e32 v43, 3, v27
	v_cmp_gt_u32_e64 s5, 8, v27
	v_and_b32_sdwa v13, v25, v13 dst_sel:DWORD dst_unused:UNUSED_PAD src0_sel:WORD_1 src1_sel:DWORD
	v_mov_b32_e32 v28, v14
	v_mov_b32_e32 v27, v13
	s_and_saveexec_b32 s23, s5
; %bb.966:                              ;   in Loop: Header=BB351_15 Depth=1
	v_ffbh_u32_e32 v27, v13
	v_min_u32_e32 v43, 32, v27
	v_subrev_nc_u32_e32 v27, 28, v43
	v_sub_nc_u32_e32 v43, 29, v43
	v_lshlrev_b64 v[27:28], v27, v[13:14]
	v_and_b32_e32 v27, 7, v27
; %bb.967:                              ;   in Loop: Header=BB351_15 Depth=1
	s_or_b32 exec_lo, exec_lo, s23
	v_mov_b32_e32 v13, 24
	v_lshlrev_b32_e32 v27, 20, v27
	v_lshl_add_u32 v28, v43, 23, 0x3c000000
	v_lshlrev_b32_sdwa v13, v13, v25 dst_sel:DWORD dst_unused:UNUSED_PAD src0_sel:DWORD src1_sel:WORD_1
	v_and_b32_e32 v13, 0x80000000, v13
	v_or3_b32 v43, v27, v13, v28
.LBB351_968:                            ;   in Loop: Header=BB351_15 Depth=1
	s_or_b32 exec_lo, exec_lo, s22
.LBB351_969:                            ;   in Loop: Header=BB351_15 Depth=1
	s_or_b32 exec_lo, exec_lo, s21
.LBB351_970:                            ;   in Loop: Header=BB351_15 Depth=1
	s_or_b32 exec_lo, exec_lo, s20
	v_mov_b32_e32 v29, v99
	s_mov_b32 s20, exec_lo
	v_cmpx_lt_u64_e64 s[12:13], v[24:25]
	s_cbranch_execz .LBB351_13
; %bb.971:                              ;   in Loop: Header=BB351_15 Depth=1
	v_cmp_ne_u32_sdwa s5, v25, v98 src0_sel:BYTE_3 src1_sel:DWORD
	v_bfrev_b32_e32 v42, 1
	s_and_saveexec_b32 s21, s5
	s_cbranch_execz .LBB351_12
; %bb.972:                              ;   in Loop: Header=BB351_15 Depth=1
	v_bfe_u32 v27, v25, 24, 7
	v_mov_b32_e32 v42, 0x7f800001
	s_mov_b32 s22, exec_lo
	v_cmpx_ne_u32_e32 0x7f, v27
	s_cbranch_execz .LBB351_11
; %bb.973:                              ;   in Loop: Header=BB351_15 Depth=1
	v_mov_b32_e32 v13, 7
	v_lshrrev_b32_e32 v24, 3, v27
	v_cmp_gt_u32_e64 s5, 8, v27
	v_and_b32_sdwa v13, v25, v13 dst_sel:DWORD dst_unused:UNUSED_PAD src0_sel:BYTE_3 src1_sel:DWORD
	v_mov_b32_e32 v28, v14
	v_mov_b32_e32 v27, v13
	s_and_saveexec_b32 s23, s5
	s_cbranch_execz .LBB351_10
; %bb.974:                              ;   in Loop: Header=BB351_15 Depth=1
	v_ffbh_u32_e32 v24, v13
	v_min_u32_e32 v24, 32, v24
	v_subrev_nc_u32_e32 v27, 28, v24
	v_sub_nc_u32_e32 v24, 29, v24
	v_lshlrev_b64 v[27:28], v27, v[13:14]
	v_and_b32_e32 v27, 7, v27
	s_branch .LBB351_10
.LBB351_975:
	s_or_b32 exec_lo, exec_lo, s18
	s_clause 0xb
	buffer_load_dword v11, off, s[0:3], s32 offset:812
	buffer_load_dword v10, off, s[0:3], s32 offset:816
	;; [unrolled: 1-line block ×12, first 2 shown]
.LBB351_976:
	s_or_b32 exec_lo, exec_lo, s17
	v_mbcnt_lo_u32_b32 v0, -1, 0
	v_max_f32_e32 v4, v9, v9
	s_waitcnt lgkmcnt(0)
	s_lshr_b32 s12, s7, 16
	v_xor_b32_e32 v1, 16, v0
	v_xor_b32_e32 v3, 8, v0
	v_cmp_gt_i32_e32 vcc_lo, 32, v1
	v_cndmask_b32_e32 v1, v0, v1, vcc_lo
	v_cmp_gt_i32_e32 vcc_lo, 32, v3
	v_lshlrev_b32_e32 v1, 2, v1
	v_cndmask_b32_e32 v3, v0, v3, vcc_lo
	ds_bpermute_b32 v2, v1, v9
	s_waitcnt lgkmcnt(0)
	v_max_f32_e32 v5, v2, v2
	v_lshlrev_b32_e32 v2, 2, v3
	v_max_f32_e32 v4, v4, v5
	v_xor_b32_e32 v5, 4, v0
	ds_bpermute_b32 v3, v2, v4
	v_cmp_gt_i32_e32 vcc_lo, 32, v5
	v_cndmask_b32_e32 v5, v0, v5, vcc_lo
	s_waitcnt lgkmcnt(0)
	v_max_f32_e32 v6, v3, v3
	v_lshlrev_b32_e32 v3, 2, v5
	v_max_f32_e32 v4, v4, v6
	v_xor_b32_e32 v6, 2, v0
	ds_bpermute_b32 v5, v3, v4
	v_cmp_gt_i32_e32 vcc_lo, 32, v6
	v_cndmask_b32_e32 v6, v0, v6, vcc_lo
	v_lshlrev_b32_e32 v14, 2, v6
	v_xor_b32_e32 v6, 1, v0
	v_cmp_gt_i32_e32 vcc_lo, 32, v6
	s_waitcnt lgkmcnt(0)
	v_max_f32_e32 v5, v5, v5
	v_cndmask_b32_e32 v6, v0, v6, vcc_lo
	v_max_f32_e32 v4, v4, v5
	v_lshlrev_b32_e32 v35, 2, v6
	ds_bpermute_b32 v5, v14, v4
	s_waitcnt lgkmcnt(0)
	v_max_f32_e32 v5, v5, v5
	v_max_f32_e32 v0, v4, v5
	buffer_load_dword v4, off, s[0:3], s32 offset:396 ; 4-byte Folded Reload
	ds_bpermute_b32 v5, v35, v0
	s_waitcnt vmcnt(0)
	v_cmp_eq_u32_e32 vcc_lo, 0, v4
	buffer_load_dword v4, off, s[0:3], s32 offset:796 ; 4-byte Folded Reload
	s_waitcnt vmcnt(0)
	v_lshlrev_b32_e32 v4, 2, v4
	s_and_saveexec_b32 s5, vcc_lo
	s_cbranch_execz .LBB351_978
; %bb.977:
	s_waitcnt lgkmcnt(0)
	v_max_f32_e32 v5, v5, v5
	v_max_f32_e32 v0, v0, v0
	;; [unrolled: 1-line block ×3, first 2 shown]
	ds_write_b32 v4, v0 offset:240
.LBB351_978:
	s_or_b32 exec_lo, exec_lo, s5
	buffer_load_dword v0, off, s[0:3], s32 offset:396 ; 4-byte Folded Reload
	s_waitcnt vmcnt(0) lgkmcnt(0)
	s_waitcnt_vscnt null, 0x0
	s_barrier
	buffer_gl0_inv
	v_cmp_gt_u32_e64 s5, 4, v0
	v_mov_b32_e32 v0, 0xff7fffff
	s_and_saveexec_b32 s6, s5
; %bb.979:
	ds_read_b32 v0, v19 offset:240
; %bb.980:
	s_or_b32 exec_lo, exec_lo, s6
	s_waitcnt lgkmcnt(0)
	ds_bpermute_b32 v5, v14, v0
	v_max_f32_e32 v0, v0, v0
	buffer_load_dword v7, off, s[0:3], s32 offset:400 ; 4-byte Folded Reload
	s_waitcnt lgkmcnt(0)
	v_max_f32_e32 v5, v5, v5
	v_max_f32_e32 v0, v0, v5
	ds_bpermute_b32 v5, v35, v0
	s_waitcnt lgkmcnt(0)
	v_max_f32_e32 v5, v5, v5
	v_max_f32_e32 v0, v0, v5
	v_mov_b32_e32 v5, 0
	ds_bpermute_b32 v6, v5, v0
	buffer_load_dword v0, off, s[0:3], s32 offset:192 ; 4-byte Folded Reload
	s_waitcnt vmcnt(0)
	v_lshlrev_b32_e32 v0, 5, v0
	v_min_i32_e32 v0, v0, v32
	v_cmp_lt_i32_e64 s6, v7, v0
	s_and_saveexec_b32 s13, s6
	s_cbranch_execz .LBB351_984
; %bb.981:
	buffer_load_dword v8, off, s[0:3], s32 offset:400 ; 4-byte Folded Reload
	s_load_dword s7, s[8:9], 0x0
	v_mov_b32_e32 v5, 0
	s_mov_b32 s17, 0
	s_waitcnt vmcnt(0) lgkmcnt(0)
	v_lshl_add_u32 v7, v8, 2, s7
	.p2align	6
.LBB351_982:                            ; =>This Inner Loop Header: Depth=1
	ds_read_b32 v9, v7
	v_add_nc_u32_e32 v8, 0x80, v8
	v_cmp_ge_i32_e64 s7, v8, v0
	s_or_b32 s17, s7, s17
	s_waitcnt lgkmcnt(0)
	v_sub_f32_e32 v9, v9, v6
	v_mul_f32_e32 v9, 0x3fb8aa3b, v9
	v_exp_f32_e32 v9, v9
	ds_write_b32 v7, v9
	v_add_f32_e32 v5, v5, v9
	v_add_nc_u32_e32 v7, 0x200, v7
	s_andn2_b32 exec_lo, exec_lo, s17
	s_cbranch_execnz .LBB351_982
; %bb.983:
	s_or_b32 exec_lo, exec_lo, s17
.LBB351_984:
	s_or_b32 exec_lo, exec_lo, s13
	ds_bpermute_b32 v1, v1, v5
	s_waitcnt lgkmcnt(0)
	v_add_f32_e32 v1, v5, v1
	ds_bpermute_b32 v2, v2, v1
	s_waitcnt lgkmcnt(0)
	v_add_f32_e32 v1, v1, v2
	;; [unrolled: 3-line block ×5, first 2 shown]
	s_and_saveexec_b32 s7, vcc_lo
; %bb.985:
	ds_write_b32 v4, v1 offset:256
; %bb.986:
	s_or_b32 exec_lo, exec_lo, s7
	s_waitcnt lgkmcnt(0)
	s_barrier
	buffer_gl0_inv
	s_and_saveexec_b32 s7, s5
; %bb.987:
	ds_read_b32 v1, v19 offset:256
; %bb.988:
	s_or_b32 exec_lo, exec_lo, s7
	s_waitcnt lgkmcnt(0)
	ds_bpermute_b32 v2, v14, v1
	s_waitcnt lgkmcnt(0)
	v_add_f32_e32 v1, v1, v2
	ds_bpermute_b32 v2, v35, v1
	s_waitcnt lgkmcnt(0)
	v_add_f32_e32 v1, v1, v2
	v_mov_b32_e32 v2, 0
	ds_bpermute_b32 v1, v2, v1
	s_and_saveexec_b32 s5, s6
	s_cbranch_execz .LBB351_991
; %bb.989:
	s_waitcnt lgkmcnt(0)
	v_add_f32_e32 v2, 0x358637bd, v1
	s_load_dword s6, s[8:9], 0x0
	v_div_scale_f32 v1, null, v2, v2, 1.0
	v_div_scale_f32 v5, vcc_lo, 1.0, v2, 1.0
	v_rcp_f32_e32 v3, v1
	v_fma_f32 v4, -v1, v3, 1.0
	v_fmac_f32_e32 v3, v4, v3
	v_mul_f32_e32 v4, v5, v3
	v_fma_f32 v6, -v1, v4, v5
	v_fmac_f32_e32 v4, v6, v3
	v_fma_f32 v1, -v1, v4, v5
	v_div_fmas_f32 v3, v1, v3, v4
	buffer_load_dword v4, off, s[0:3], s32 offset:400 ; 4-byte Folded Reload
	v_div_fixup_f32 v2, v3, v2, 1.0
	s_waitcnt vmcnt(0) lgkmcnt(0)
	v_lshl_add_u32 v1, v4, 2, s6
	v_mov_b32_e32 v3, v4
	s_mov_b32 s6, 0
.LBB351_990:                            ; =>This Inner Loop Header: Depth=1
	ds_read_b32 v4, v1
	v_add_nc_u32_e32 v3, 0x80, v3
	v_cmp_ge_i32_e32 vcc_lo, v3, v0
	s_or_b32 s6, vcc_lo, s6
	s_waitcnt lgkmcnt(0)
	v_mul_f32_e32 v4, v2, v4
	ds_write_b32 v1, v4
	v_add_nc_u32_e32 v1, 0x200, v1
	s_andn2_b32 exec_lo, exec_lo, s6
	s_cbranch_execnz .LBB351_990
.LBB351_991:
	s_or_b32 exec_lo, exec_lo, s5
	buffer_load_dword v0, off, s[0:3], s32 offset:400 ; 4-byte Folded Reload
	v_mov_b32_e32 v24, 0
	v_mov_b32_e32 v25, 0
	;; [unrolled: 1-line block ×15, first 2 shown]
	s_waitcnt vmcnt(0) lgkmcnt(0)
	s_barrier
	buffer_gl0_inv
	v_and_b32_e32 v36, 3, v0
	s_and_saveexec_b32 s5, s4
	s_cbranch_execz .LBB351_1987
; %bb.992:
	buffer_store_dword v14, off, s[0:3], s32 offset:428 ; 4-byte Folded Spill
	buffer_store_dword v35, off, s[0:3], s32 offset:424 ; 4-byte Folded Spill
	s_clause 0x1
	buffer_load_dword v0, off, s[0:3], s32 offset:400
	buffer_load_dword v87, off, s[0:3], s32 offset:796
	v_mov_b32_e32 v7, 0
	v_mov_b32_e32 v6, 0
	v_lshlrev_b32_e32 v4, 5, v36
	v_and_b32_e32 v5, 0x7c, v34
	v_add_co_u32 v2, vcc_lo, v33, v37
	buffer_store_dword v7, off, s[0:3], s32 offset:352 ; 4-byte Folded Spill
	v_mov_b32_e32 v7, 0
	buffer_store_dword v6, off, s[0:3], s32 offset:332 ; 4-byte Folded Spill
	v_mov_b32_e32 v6, 0
	v_add_co_ci_u32_e64 v3, null, v30, v39, vcc_lo
	buffer_store_dword v7, off, s[0:3], s32 offset:356 ; 4-byte Folded Spill
	v_mov_b32_e32 v7, 0
	buffer_store_dword v6, off, s[0:3], s32 offset:336 ; 4-byte Folded Spill
	v_mov_b32_e32 v6, 0
	buffer_store_dword v36, off, s[0:3], s32 offset:432 ; 4-byte Folded Spill
	v_max_i32_e32 v70, v26, v38
	buffer_store_dword v7, off, s[0:3], s32 offset:360 ; 4-byte Folded Spill
	v_mov_b32_e32 v7, 0
	buffer_store_dword v6, off, s[0:3], s32 offset:340 ; 4-byte Folded Spill
	v_mov_b32_e32 v6, 0
	v_cvt_f32_u32_e32 v1, v70
	v_mov_b32_e32 v14, 0
	buffer_store_dword v7, off, s[0:3], s32 offset:364 ; 4-byte Folded Spill
	v_mov_b32_e32 v71, 0x80
	buffer_store_dword v6, off, s[0:3], s32 offset:344 ; 4-byte Folded Spill
	v_mov_b32_e32 v6, 0
	v_rcp_iflag_f32_e32 v1, v1
	v_mov_b32_e32 v81, 0xff
	v_mov_b32_e32 v19, 0
	s_mov_b32 s6, -1
	buffer_store_dword v6, off, s[0:3], s32 offset:348 ; 4-byte Folded Spill
	v_sub_nc_u32_e32 v6, 0, v70
	s_mov_b32 s7, 0xffffff
	s_mov_b32 s13, 0
	v_mul_f32_e32 v1, 0x4f7ffffe, v1
	v_cvt_u32_f32_e32 v1, v1
	v_mul_lo_u32 v6, v6, v1
	v_mul_hi_u32 v6, v1, v6
	s_waitcnt vmcnt(1)
	v_lshlrev_b32_e32 v0, 3, v0
	s_waitcnt vmcnt(0)
	v_lshl_or_b32 v85, v87, 7, v4
	v_add_co_u32 v4, vcc_lo, v5, v12
	v_add_co_ci_u32_e64 v5, null, 0, v13, vcc_lo
	v_and_b32_e32 v7, 24, v0
	v_and_b32_e32 v0, 0xf8, v0
	buffer_store_dword v7, off, s[0:3], s32 offset:412 ; 4-byte Folded Spill
	v_add_co_u32 v2, vcc_lo, v2, v0
	v_add_co_ci_u32_e64 v3, null, 0, v3, vcc_lo
	v_add_nc_u32_e32 v0, v1, v6
	buffer_store_dword v2, off, s[0:3], s32 offset:416 ; 4-byte Folded Spill
	buffer_store_dword v3, off, s[0:3], s32 offset:420 ; 4-byte Folded Spill
	buffer_load_dword v2, off, s[0:3], s32 offset:808 ; 4-byte Folded Reload
	buffer_store_dword v0, off, s[0:3], s32 offset:388 ; 4-byte Folded Spill
	v_mov_b32_e32 v0, 0
	v_add_co_u32 v10, vcc_lo, v10, v4
	v_add_co_ci_u32_e64 v11, null, v11, v5, vcc_lo
	buffer_store_dword v0, off, s[0:3], s32 offset:368 ; 4-byte Folded Spill
	v_mov_b32_e32 v0, 0
	buffer_store_dword v0, off, s[0:3], s32 offset:372 ; 4-byte Folded Spill
	v_mov_b32_e32 v0, 0
	;; [unrolled: 2-line block ×4, first 2 shown]
	buffer_store_dword v0, off, s[0:3], s32 offset:380 ; 4-byte Folded Spill
	s_branch .LBB351_995
.LBB351_993:                            ;   in Loop: Header=BB351_995 Depth=1
	s_or_b32 exec_lo, exec_lo, s4
	v_bfe_u32 v34, v6, 16, 1
	v_or_b32_e32 v37, 0x400000, v6
	v_cmp_u_f32_e32 vcc_lo, v6, v6
	v_lshlrev_b32_e32 v38, 16, v38
	v_lshlrev_b32_e32 v12, 16, v12
	v_add3_u32 v34, v34, v6, 0x7fff
	v_lshlrev_b32_e32 v21, 16, v21
	v_lshlrev_b32_e32 v35, 16, v35
	;; [unrolled: 1-line block ×4, first 2 shown]
	v_cndmask_b32_e32 v6, v34, v37, vcc_lo
	v_bfe_u32 v34, v7, 16, 1
	v_or_b32_e32 v37, 0x400000, v7
	v_cmp_u_f32_e32 vcc_lo, v7, v7
	v_lshlrev_b32_e32 v15, 16, v15
	v_lshlrev_b32_e32 v30, 16, v30
	v_add3_u32 v34, v34, v7, 0x7fff
	v_lshlrev_b32_e32 v29, 16, v29
	v_lshlrev_b32_e32 v0, 16, v0
	v_lshlrev_b32_e32 v1, 16, v1
	v_cndmask_b32_e32 v7, v34, v37, vcc_lo
	v_bfe_u32 v34, v8, 16, 1
	v_or_b32_e32 v37, 0x400000, v8
	v_cmp_u_f32_e32 vcc_lo, v8, v8
	v_add3_u32 v34, v34, v8, 0x7fff
	v_bfe_u32 v8, v9, 16, 1
	v_cndmask_b32_e32 v34, v34, v37, vcc_lo
	v_add3_u32 v8, v8, v9, 0x7fff
	v_or_b32_e32 v37, 0x400000, v9
	v_cmp_u_f32_e32 vcc_lo, v9, v9
	v_or_b32_e32 v9, 0x400000, v2
	v_cndmask_b32_e32 v37, v8, v37, vcc_lo
	v_bfe_u32 v8, v2, 16, 1
	v_cmp_u_f32_e32 vcc_lo, v2, v2
	v_add3_u32 v8, v8, v2, 0x7fff
	v_cndmask_b32_e32 v2, v8, v9, vcc_lo
	v_bfe_u32 v8, v3, 16, 1
	v_or_b32_e32 v9, 0x400000, v3
	v_cmp_u_f32_e32 vcc_lo, v3, v3
	v_add3_u32 v8, v8, v3, 0x7fff
	v_cndmask_b32_e32 v3, v8, v9, vcc_lo
	v_bfe_u32 v8, v4, 16, 1
	v_or_b32_e32 v9, 0x400000, v4
	v_cmp_u_f32_e32 vcc_lo, v4, v4
	v_add3_u32 v8, v8, v4, 0x7fff
	v_bfe_u32 v4, v5, 16, 1
	v_cndmask_b32_e32 v44, v8, v9, vcc_lo
	v_add3_u32 v4, v4, v5, 0x7fff
	v_or_b32_e32 v8, 0x400000, v5
	v_cmp_u_f32_e32 vcc_lo, v5, v5
	v_and_b32_e32 v9, 0xffff0000, v6
	v_cndmask_b32_e32 v45, v4, v8, vcc_lo
	v_and_b32_e32 v8, 0xffff0000, v7
	v_lshlrev_b32_e32 v4, 16, v41
	v_mul_f32_e32 v12, v8, v12
	v_mul_f32_e32 v4, v8, v4
	v_bfe_u32 v5, v4, 16, 1
	v_or_b32_e32 v7, 0x400000, v4
	v_cmp_u_f32_e32 vcc_lo, v4, v4
	v_add3_u32 v5, v5, v4, 0x7fff
	v_lshlrev_b32_e32 v4, 16, v43
	v_cndmask_b32_e32 v41, v5, v7, vcc_lo
	v_mul_f32_e32 v4, v9, v4
	v_and_b32_e32 v41, 0xffff0000, v41
	v_bfe_u32 v5, v4, 16, 1
	v_or_b32_e32 v6, 0x400000, v4
	v_cmp_u_f32_e32 vcc_lo, v4, v4
	v_add3_u32 v5, v5, v4, 0x7fff
	v_lshlrev_b32_e32 v4, 16, v83
	v_cndmask_b32_e32 v43, v5, v6, vcc_lo
	v_and_b32_e32 v6, 0xffff0000, v37
	v_mul_f32_e32 v4, v6, v4
	v_mul_f32_e32 v16, v6, v16
	v_bfe_u32 v5, v4, 16, 1
	v_or_b32_e32 v7, 0x400000, v4
	v_cmp_u_f32_e32 vcc_lo, v4, v4
	v_add3_u32 v5, v5, v4, 0x7fff
	v_lshlrev_b32_e32 v4, 16, v40
	v_cndmask_b32_e32 v37, v5, v7, vcc_lo
	v_and_b32_e32 v7, 0xffff0000, v34
	v_and_b32_e32 v37, 0xffff0000, v37
	v_mul_f32_e32 v4, v7, v4
	v_mul_f32_e32 v21, v7, v21
	v_bfe_u32 v5, v4, 16, 1
	v_or_b32_e32 v34, 0x400000, v4
	v_cmp_u_f32_e32 vcc_lo, v4, v4
	v_add3_u32 v5, v5, v4, 0x7fff
	v_and_b32_e32 v4, 0xffff0000, v3
	v_lshlrev_b32_e32 v3, 16, v80
	v_cndmask_b32_e32 v34, v5, v34, vcc_lo
	v_mul_f32_e32 v0, v4, v0
	v_mul_f32_e32 v3, v4, v3
	v_and_b32_e32 v34, 0xffff0000, v34
	v_bfe_u32 v5, v3, 16, 1
	v_or_b32_e32 v80, 0x400000, v3
	v_cmp_u_f32_e32 vcc_lo, v3, v3
	v_add_f32_e32 v34, v34, v37
	v_add3_u32 v5, v5, v3, 0x7fff
	v_cndmask_b32_e32 v80, v5, v80, vcc_lo
	v_and_b32_e32 v5, 0xffff0000, v2
	v_lshlrev_b32_e32 v2, 16, v82
	v_and_b32_e32 v80, 0xffff0000, v80
	v_mul_f32_e32 v15, v5, v15
	v_mul_f32_e32 v2, v5, v2
	;; [unrolled: 1-line block ×3, first 2 shown]
	v_bfe_u32 v3, v2, 16, 1
	v_or_b32_e32 v82, 0x400000, v2
	v_cmp_u_f32_e32 vcc_lo, v2, v2
	v_add3_u32 v3, v3, v2, 0x7fff
	v_and_b32_e32 v2, 0xffff0000, v45
	v_cndmask_b32_e32 v82, v3, v82, vcc_lo
	v_lshlrev_b32_e32 v3, 16, v36
	v_mul_f32_e32 v38, v2, v38
	v_mul_f32_e32 v35, v2, v35
	;; [unrolled: 1-line block ×3, first 2 shown]
	v_and_b32_e32 v37, 0xffff0000, v82
	v_mul_f32_e32 v3, v2, v3
	v_add_f32_e32 v37, v37, v80
	v_bfe_u32 v36, v3, 16, 1
	v_or_b32_e32 v83, 0x400000, v3
	v_cmp_u_f32_e32 vcc_lo, v3, v3
	v_add3_u32 v36, v36, v3, 0x7fff
	v_and_b32_e32 v3, 0xffff0000, v44
	v_cndmask_b32_e32 v36, v36, v83, vcc_lo
	v_lshlrev_b32_e32 v83, 16, v42
	v_mul_f32_e32 v28, v3, v28
	v_mul_f32_e32 v30, v3, v30
	v_and_b32_e32 v36, 0xffff0000, v36
	v_mul_f32_e32 v83, v3, v83
	v_bfe_u32 v40, v83, 16, 1
	v_or_b32_e32 v42, 0x400000, v83
	v_cmp_u_f32_e32 vcc_lo, v83, v83
	v_add3_u32 v40, v40, v83, 0x7fff
	v_cndmask_b32_e32 v83, v40, v42, vcc_lo
	v_and_b32_e32 v40, 0xffff0000, v43
	v_add_f32_e32 v40, v40, v41
	v_add_f32_e32 v34, v40, v34
	;; [unrolled: 1-line block ×3, first 2 shown]
	v_and_b32_e32 v37, 0xffff0000, v83
	v_add_f32_e32 v36, v37, v36
	v_add_f32_e32 v34, v34, v36
	buffer_load_dword v36, off, s[0:3], s32 offset:332 ; 4-byte Folded Reload
	s_waitcnt vmcnt(0)
	v_add_f32_e32 v36, v36, v34
	v_lshlrev_b32_e32 v34, 16, v116
	buffer_store_dword v36, off, s[0:3], s32 offset:332 ; 4-byte Folded Spill
	v_mul_f32_e32 v34, v8, v34
	v_bfe_u32 v36, v34, 16, 1
	v_or_b32_e32 v37, 0x400000, v34
	v_cmp_u_f32_e32 vcc_lo, v34, v34
	v_add3_u32 v36, v36, v34, 0x7fff
	v_cndmask_b32_e32 v34, v36, v37, vcc_lo
	v_lshlrev_b32_e32 v36, 16, v118
	v_and_b32_e32 v34, 0xffff0000, v34
	v_mul_f32_e32 v36, v9, v36
	v_bfe_u32 v37, v36, 16, 1
	v_or_b32_e32 v80, 0x400000, v36
	v_cmp_u_f32_e32 vcc_lo, v36, v36
	v_add3_u32 v37, v37, v36, 0x7fff
	v_cndmask_b32_e32 v36, v37, v80, vcc_lo
	v_lshlrev_b32_e32 v37, 16, v114
	v_and_b32_e32 v36, 0xffff0000, v36
	v_mul_f32_e32 v37, v6, v37
	v_add_f32_e32 v34, v36, v34
	v_bfe_u32 v80, v37, 16, 1
	v_or_b32_e32 v82, 0x400000, v37
	v_cmp_u_f32_e32 vcc_lo, v37, v37
	v_add3_u32 v80, v80, v37, 0x7fff
	v_cndmask_b32_e32 v37, v80, v82, vcc_lo
	v_lshlrev_b32_e32 v80, 16, v115
	v_and_b32_e32 v37, 0xffff0000, v37
	v_mul_f32_e32 v80, v7, v80
	v_bfe_u32 v82, v80, 16, 1
	v_or_b32_e32 v83, 0x400000, v80
	v_cmp_u_f32_e32 vcc_lo, v80, v80
	v_add3_u32 v82, v82, v80, 0x7fff
	v_cndmask_b32_e32 v80, v82, v83, vcc_lo
	v_lshlrev_b32_e32 v82, 16, v112
	v_and_b32_e32 v36, 0xffff0000, v80
	v_mul_f32_e32 v82, v4, v82
	v_add_f32_e32 v36, v36, v37
	v_bfe_u32 v83, v82, 16, 1
	v_or_b32_e32 v112, 0x400000, v82
	v_cmp_u_f32_e32 vcc_lo, v82, v82
	v_add_f32_e32 v34, v34, v36
	v_add3_u32 v83, v83, v82, 0x7fff
	v_cndmask_b32_e32 v82, v83, v112, vcc_lo
	v_lshlrev_b32_e32 v83, 16, v113
	v_and_b32_e32 v37, 0xffff0000, v82
	v_mul_f32_e32 v83, v5, v83
	v_bfe_u32 v112, v83, 16, 1
	v_or_b32_e32 v113, 0x400000, v83
	v_cmp_u_f32_e32 vcc_lo, v83, v83
	v_add3_u32 v112, v112, v83, 0x7fff
	v_cndmask_b32_e32 v83, v112, v113, vcc_lo
	v_lshlrev_b32_e32 v112, 16, v119
	v_and_b32_e32 v36, 0xffff0000, v83
	v_mul_f32_e32 v112, v2, v112
	v_add_f32_e32 v36, v36, v37
	v_bfe_u32 v113, v112, 16, 1
	v_or_b32_e32 v114, 0x400000, v112
	v_cmp_u_f32_e32 vcc_lo, v112, v112
	v_add_f32_e32 v34, v34, v36
	v_add3_u32 v113, v113, v112, 0x7fff
	v_cndmask_b32_e32 v112, v113, v114, vcc_lo
	v_lshlrev_b32_e32 v113, 16, v117
	v_and_b32_e32 v37, 0xffff0000, v112
	v_mul_f32_e32 v113, v3, v113
	v_bfe_u32 v114, v113, 16, 1
	v_or_b32_e32 v115, 0x400000, v113
	v_cmp_u_f32_e32 vcc_lo, v113, v113
	v_add3_u32 v114, v114, v113, 0x7fff
	v_cndmask_b32_e32 v113, v114, v115, vcc_lo
	v_and_b32_e32 v36, 0xffff0000, v113
	v_add_f32_e32 v36, v36, v37
	v_add_f32_e32 v34, v34, v36
	buffer_load_dword v36, off, s[0:3], s32 offset:336 ; 4-byte Folded Reload
	s_waitcnt vmcnt(0)
	v_add_f32_e32 v36, v36, v34
	v_lshlrev_b32_e32 v34, 16, v101
	buffer_store_dword v36, off, s[0:3], s32 offset:336 ; 4-byte Folded Spill
	v_mul_f32_e32 v34, v8, v34
	v_bfe_u32 v36, v34, 16, 1
	v_or_b32_e32 v37, 0x400000, v34
	v_cmp_u_f32_e32 vcc_lo, v34, v34
	v_add3_u32 v36, v36, v34, 0x7fff
	v_cndmask_b32_e32 v34, v36, v37, vcc_lo
	v_lshlrev_b32_e32 v36, 16, v103
	v_and_b32_e32 v34, 0xffff0000, v34
	v_mul_f32_e32 v36, v9, v36
	v_bfe_u32 v37, v36, 16, 1
	v_or_b32_e32 v80, 0x400000, v36
	v_cmp_u_f32_e32 vcc_lo, v36, v36
	v_add3_u32 v37, v37, v36, 0x7fff
	v_cndmask_b32_e32 v36, v37, v80, vcc_lo
	v_lshlrev_b32_e32 v37, 16, v99
	v_and_b32_e32 v36, 0xffff0000, v36
	v_mul_f32_e32 v37, v6, v37
	v_add_f32_e32 v34, v36, v34
	v_bfe_u32 v80, v37, 16, 1
	v_or_b32_e32 v82, 0x400000, v37
	v_cmp_u_f32_e32 vcc_lo, v37, v37
	v_add3_u32 v80, v80, v37, 0x7fff
	v_cndmask_b32_e32 v37, v80, v82, vcc_lo
	v_lshlrev_b32_e32 v80, 16, v100
	v_and_b32_e32 v37, 0xffff0000, v37
	v_mul_f32_e32 v80, v7, v80
	v_bfe_u32 v82, v80, 16, 1
	v_or_b32_e32 v83, 0x400000, v80
	v_cmp_u_f32_e32 vcc_lo, v80, v80
	v_add3_u32 v82, v82, v80, 0x7fff
	v_cndmask_b32_e32 v80, v82, v83, vcc_lo
	v_lshlrev_b32_e32 v82, 16, v97
	v_and_b32_e32 v36, 0xffff0000, v80
	v_mul_f32_e32 v82, v4, v82
	v_add_f32_e32 v36, v36, v37
	v_bfe_u32 v83, v82, 16, 1
	v_or_b32_e32 v97, 0x400000, v82
	v_cmp_u_f32_e32 vcc_lo, v82, v82
	v_add_f32_e32 v34, v34, v36
	v_add3_u32 v83, v83, v82, 0x7fff
	v_cndmask_b32_e32 v82, v83, v97, vcc_lo
	v_lshlrev_b32_e32 v83, 16, v98
	v_and_b32_e32 v37, 0xffff0000, v82
	v_mul_f32_e32 v83, v5, v83
	v_bfe_u32 v97, v83, 16, 1
	v_or_b32_e32 v98, 0x400000, v83
	v_cmp_u_f32_e32 vcc_lo, v83, v83
	v_add3_u32 v97, v97, v83, 0x7fff
	v_cndmask_b32_e32 v83, v97, v98, vcc_lo
	v_bfe_u32 v97, v38, 16, 1
	v_or_b32_e32 v98, 0x400000, v38
	v_cmp_u_f32_e32 vcc_lo, v38, v38
	v_and_b32_e32 v36, 0xffff0000, v83
	v_add3_u32 v97, v97, v38, 0x7fff
	v_add_f32_e32 v36, v36, v37
	v_cndmask_b32_e32 v38, v97, v98, vcc_lo
	v_lshlrev_b32_e32 v97, 16, v102
	v_add_f32_e32 v34, v34, v36
	v_and_b32_e32 v37, 0xffff0000, v38
	v_mul_f32_e32 v97, v3, v97
	v_bfe_u32 v98, v97, 16, 1
	v_or_b32_e32 v99, 0x400000, v97
	v_cmp_u_f32_e32 vcc_lo, v97, v97
	v_add3_u32 v98, v98, v97, 0x7fff
	v_cndmask_b32_e32 v97, v98, v99, vcc_lo
	v_cmp_u_f32_e32 vcc_lo, v12, v12
	v_and_b32_e32 v36, 0xffff0000, v97
	v_add_f32_e32 v36, v36, v37
	v_add_f32_e32 v34, v34, v36
	buffer_load_dword v36, off, s[0:3], s32 offset:340 ; 4-byte Folded Reload
	s_waitcnt vmcnt(0)
	v_add_f32_e32 v36, v36, v34
	v_bfe_u32 v34, v12, 16, 1
	buffer_store_dword v36, off, s[0:3], s32 offset:340 ; 4-byte Folded Spill
	v_add3_u32 v34, v34, v12, 0x7fff
	v_or_b32_e32 v36, 0x400000, v12
	v_cndmask_b32_e32 v12, v34, v36, vcc_lo
	v_lshlrev_b32_e32 v34, 16, v39
	v_and_b32_e32 v12, 0xffff0000, v12
	v_mul_f32_e32 v34, v9, v34
	v_bfe_u32 v36, v34, 16, 1
	v_or_b32_e32 v37, 0x400000, v34
	v_cmp_u_f32_e32 vcc_lo, v34, v34
	v_add3_u32 v36, v36, v34, 0x7fff
	v_cndmask_b32_e32 v34, v36, v37, vcc_lo
	v_lshlrev_b32_e32 v36, 16, v69
	v_and_b32_e32 v34, 0xffff0000, v34
	v_mul_f32_e32 v36, v6, v36
	v_add_f32_e32 v12, v34, v12
	v_bfe_u32 v37, v36, 16, 1
	v_or_b32_e32 v38, 0x400000, v36
	v_cmp_u_f32_e32 vcc_lo, v36, v36
	v_add3_u32 v37, v37, v36, 0x7fff
	v_cndmask_b32_e32 v36, v37, v38, vcc_lo
	v_bfe_u32 v37, v21, 16, 1
	v_or_b32_e32 v38, 0x400000, v21
	v_cmp_u_f32_e32 vcc_lo, v21, v21
	v_and_b32_e32 v34, 0xffff0000, v36
	v_add3_u32 v37, v37, v21, 0x7fff
	v_cndmask_b32_e32 v21, v37, v38, vcc_lo
	v_lshlrev_b32_e32 v37, 16, v67
	v_and_b32_e32 v21, 0xffff0000, v21
	v_mul_f32_e32 v37, v4, v37
	v_add_f32_e32 v21, v21, v34
	v_bfe_u32 v38, v37, 16, 1
	v_or_b32_e32 v39, 0x400000, v37
	v_cmp_u_f32_e32 vcc_lo, v37, v37
	v_add_f32_e32 v12, v12, v21
	v_add3_u32 v38, v38, v37, 0x7fff
	v_cndmask_b32_e32 v37, v38, v39, vcc_lo
	v_lshlrev_b32_e32 v38, 16, v68
	v_and_b32_e32 v34, 0xffff0000, v37
	v_mul_f32_e32 v38, v5, v38
	v_bfe_u32 v39, v38, 16, 1
	v_or_b32_e32 v67, 0x400000, v38
	v_cmp_u_f32_e32 vcc_lo, v38, v38
	v_add3_u32 v39, v39, v38, 0x7fff
	v_cndmask_b32_e32 v38, v39, v67, vcc_lo
	v_bfe_u32 v39, v35, 16, 1
	v_or_b32_e32 v67, 0x400000, v35
	v_cmp_u_f32_e32 vcc_lo, v35, v35
	v_and_b32_e32 v21, 0xffff0000, v38
	v_add3_u32 v39, v39, v35, 0x7fff
	v_add_f32_e32 v21, v21, v34
	v_cndmask_b32_e32 v35, v39, v67, vcc_lo
	v_bfe_u32 v39, v28, 16, 1
	v_or_b32_e32 v67, 0x400000, v28
	v_cmp_u_f32_e32 vcc_lo, v28, v28
	v_add_f32_e32 v12, v12, v21
	v_add3_u32 v39, v39, v28, 0x7fff
	v_cndmask_b32_e32 v28, v39, v67, vcc_lo
	v_and_b32_e32 v21, 0xffff0000, v28
	v_and_b32_e32 v28, 0xffff0000, v35
	v_add_f32_e32 v21, v21, v28
	v_add_f32_e32 v12, v12, v21
	buffer_load_dword v21, off, s[0:3], s32 offset:344 ; 4-byte Folded Reload
	s_waitcnt vmcnt(0)
	v_add_f32_e32 v21, v21, v12
	v_lshlrev_b32_e32 v12, 16, v64
	buffer_store_dword v21, off, s[0:3], s32 offset:344 ; 4-byte Folded Spill
	v_mul_f32_e32 v12, v8, v12
	v_bfe_u32 v21, v12, 16, 1
	v_or_b32_e32 v28, 0x400000, v12
	v_cmp_u_f32_e32 vcc_lo, v12, v12
	v_add3_u32 v21, v21, v12, 0x7fff
	v_cndmask_b32_e32 v12, v21, v28, vcc_lo
	v_lshlrev_b32_e32 v21, 16, v65
	v_and_b32_e32 v12, 0xffff0000, v12
	v_mul_f32_e32 v21, v9, v21
	v_bfe_u32 v28, v21, 16, 1
	v_or_b32_e32 v34, 0x400000, v21
	v_cmp_u_f32_e32 vcc_lo, v21, v21
	v_add3_u32 v28, v28, v21, 0x7fff
	v_cndmask_b32_e32 v21, v28, v34, vcc_lo
	v_lshlrev_b32_e32 v28, 16, v53
	v_and_b32_e32 v21, 0xffff0000, v21
	v_mul_f32_e32 v28, v6, v28
	v_add_f32_e32 v12, v21, v12
	v_bfe_u32 v34, v28, 16, 1
	v_or_b32_e32 v35, 0x400000, v28
	v_cmp_u_f32_e32 vcc_lo, v28, v28
	v_add3_u32 v34, v34, v28, 0x7fff
	v_cndmask_b32_e32 v28, v34, v35, vcc_lo
	v_lshlrev_b32_e32 v34, 16, v54
	v_and_b32_e32 v28, 0xffff0000, v28
	v_mul_f32_e32 v34, v7, v34
	v_bfe_u32 v35, v34, 16, 1
	v_or_b32_e32 v36, 0x400000, v34
	v_cmp_u_f32_e32 vcc_lo, v34, v34
	v_add3_u32 v35, v35, v34, 0x7fff
	v_cndmask_b32_e32 v34, v35, v36, vcc_lo
	v_lshlrev_b32_e32 v35, 16, v51
	v_and_b32_e32 v21, 0xffff0000, v34
	v_mul_f32_e32 v35, v4, v35
	v_add_f32_e32 v21, v21, v28
	v_bfe_u32 v36, v35, 16, 1
	v_or_b32_e32 v37, 0x400000, v35
	v_cmp_u_f32_e32 vcc_lo, v35, v35
	v_add_f32_e32 v12, v12, v21
	v_add3_u32 v36, v36, v35, 0x7fff
	v_cndmask_b32_e32 v35, v36, v37, vcc_lo
	v_lshlrev_b32_e32 v36, 16, v52
	v_and_b32_e32 v28, 0xffff0000, v35
	v_mul_f32_e32 v36, v5, v36
	v_bfe_u32 v37, v36, 16, 1
	v_or_b32_e32 v38, 0x400000, v36
	v_cmp_u_f32_e32 vcc_lo, v36, v36
	v_add3_u32 v37, v37, v36, 0x7fff
	v_cndmask_b32_e32 v36, v37, v38, vcc_lo
	v_lshlrev_b32_e32 v37, 16, v66
	v_and_b32_e32 v21, 0xffff0000, v36
	v_mul_f32_e32 v37, v2, v37
	v_add_f32_e32 v21, v21, v28
	v_bfe_u32 v38, v37, 16, 1
	v_or_b32_e32 v39, 0x400000, v37
	v_cmp_u_f32_e32 vcc_lo, v37, v37
	v_add_f32_e32 v12, v12, v21
	v_add3_u32 v38, v38, v37, 0x7fff
	v_cndmask_b32_e32 v37, v38, v39, vcc_lo
	v_lshlrev_b32_e32 v38, 16, v55
	v_and_b32_e32 v28, 0xffff0000, v37
	v_mul_f32_e32 v38, v3, v38
	v_bfe_u32 v39, v38, 16, 1
	v_or_b32_e32 v51, 0x400000, v38
	v_cmp_u_f32_e32 vcc_lo, v38, v38
	v_add3_u32 v39, v39, v38, 0x7fff
	v_cndmask_b32_e32 v38, v39, v51, vcc_lo
	v_and_b32_e32 v21, 0xffff0000, v38
	v_add_f32_e32 v21, v21, v28
	v_add_f32_e32 v12, v12, v21
	buffer_load_dword v21, off, s[0:3], s32 offset:348 ; 4-byte Folded Reload
	s_waitcnt vmcnt(0)
	v_add_f32_e32 v21, v21, v12
	v_lshlrev_b32_e32 v12, 16, v48
	buffer_store_dword v21, off, s[0:3], s32 offset:348 ; 4-byte Folded Spill
	v_mul_f32_e32 v12, v8, v12
	v_bfe_u32 v21, v12, 16, 1
	v_or_b32_e32 v28, 0x400000, v12
	v_cmp_u_f32_e32 vcc_lo, v12, v12
	v_add3_u32 v21, v21, v12, 0x7fff
	v_cndmask_b32_e32 v12, v21, v28, vcc_lo
	v_lshlrev_b32_e32 v21, 16, v49
	v_and_b32_e32 v12, 0xffff0000, v12
	v_mul_f32_e32 v21, v9, v21
	v_bfe_u32 v28, v21, 16, 1
	v_or_b32_e32 v34, 0x400000, v21
	v_cmp_u_f32_e32 vcc_lo, v21, v21
	v_add3_u32 v28, v28, v21, 0x7fff
	v_cndmask_b32_e32 v21, v28, v34, vcc_lo
	v_bfe_u32 v28, v16, 16, 1
	v_or_b32_e32 v34, 0x400000, v16
	v_cmp_u_f32_e32 vcc_lo, v16, v16
	v_and_b32_e32 v21, 0xffff0000, v21
	v_add3_u32 v28, v28, v16, 0x7fff
	v_add_f32_e32 v12, v21, v12
	v_cndmask_b32_e32 v16, v28, v34, vcc_lo
	v_lshlrev_b32_e32 v28, 16, v86
	v_and_b32_e32 v16, 0xffff0000, v16
	v_mul_f32_e32 v28, v7, v28
	v_bfe_u32 v34, v28, 16, 1
	v_or_b32_e32 v35, 0x400000, v28
	v_cmp_u_f32_e32 vcc_lo, v28, v28
	v_add3_u32 v34, v34, v28, 0x7fff
	v_cndmask_b32_e32 v28, v34, v35, vcc_lo
	v_lshlrev_b32_e32 v34, 16, v84
	v_and_b32_e32 v21, 0xffff0000, v28
	v_mul_f32_e32 v34, v4, v34
	v_add_f32_e32 v16, v21, v16
	v_bfe_u32 v35, v34, 16, 1
	v_or_b32_e32 v36, 0x400000, v34
	v_cmp_u_f32_e32 vcc_lo, v34, v34
	v_add_f32_e32 v12, v12, v16
	v_add3_u32 v35, v35, v34, 0x7fff
	v_cndmask_b32_e32 v34, v35, v36, vcc_lo
	v_bfe_u32 v35, v15, 16, 1
	v_or_b32_e32 v36, 0x400000, v15
	v_cmp_u_f32_e32 vcc_lo, v15, v15
	v_and_b32_e32 v16, 0xffff0000, v34
	v_add3_u32 v35, v35, v15, 0x7fff
	v_cndmask_b32_e32 v15, v35, v36, vcc_lo
	v_lshlrev_b32_e32 v35, 16, v50
	v_and_b32_e32 v15, 0xffff0000, v15
	v_mul_f32_e32 v35, v2, v35
	v_add_f32_e32 v15, v15, v16
	v_bfe_u32 v36, v35, 16, 1
	v_or_b32_e32 v37, 0x400000, v35
	v_cmp_u_f32_e32 vcc_lo, v35, v35
	v_add_f32_e32 v12, v12, v15
	v_add3_u32 v36, v36, v35, 0x7fff
	v_cndmask_b32_e32 v35, v36, v37, vcc_lo
	v_bfe_u32 v36, v30, 16, 1
	v_or_b32_e32 v37, 0x400000, v30
	v_cmp_u_f32_e32 vcc_lo, v30, v30
	v_and_b32_e32 v16, 0xffff0000, v35
	v_add3_u32 v36, v36, v30, 0x7fff
	v_cndmask_b32_e32 v30, v36, v37, vcc_lo
	v_and_b32_e32 v15, 0xffff0000, v30
	v_add_f32_e32 v15, v15, v16
	v_add_f32_e32 v12, v12, v15
	buffer_load_dword v15, off, s[0:3], s32 offset:352 ; 4-byte Folded Reload
	s_waitcnt vmcnt(0)
	v_add_f32_e32 v15, v15, v12
	v_lshlrev_b32_e32 v12, 16, v126
	buffer_store_dword v15, off, s[0:3], s32 offset:352 ; 4-byte Folded Spill
	v_mul_f32_e32 v12, v8, v12
	v_bfe_u32 v15, v12, 16, 1
	v_or_b32_e32 v16, 0x400000, v12
	v_cmp_u_f32_e32 vcc_lo, v12, v12
	v_add3_u32 v15, v15, v12, 0x7fff
	v_cndmask_b32_e32 v12, v15, v16, vcc_lo
	v_lshlrev_b32_e32 v15, 16, v127
	v_and_b32_e32 v12, 0xffff0000, v12
	v_mul_f32_e32 v15, v9, v15
	v_bfe_u32 v16, v15, 16, 1
	v_or_b32_e32 v21, 0x400000, v15
	v_cmp_u_f32_e32 vcc_lo, v15, v15
	v_add3_u32 v16, v16, v15, 0x7fff
	v_cndmask_b32_e32 v15, v16, v21, vcc_lo
	v_lshlrev_b32_e32 v16, 16, v123
	v_and_b32_e32 v15, 0xffff0000, v15
	v_mul_f32_e32 v16, v6, v16
	v_add_f32_e32 v12, v15, v12
	v_bfe_u32 v21, v16, 16, 1
	v_or_b32_e32 v28, 0x400000, v16
	v_cmp_u_f32_e32 vcc_lo, v16, v16
	v_add3_u32 v21, v21, v16, 0x7fff
	v_cndmask_b32_e32 v16, v21, v28, vcc_lo
	v_lshlrev_b32_e32 v21, 16, v124
	v_and_b32_e32 v16, 0xffff0000, v16
	v_mul_f32_e32 v21, v7, v21
	v_bfe_u32 v28, v21, 16, 1
	v_or_b32_e32 v30, 0x400000, v21
	v_cmp_u_f32_e32 vcc_lo, v21, v21
	v_add3_u32 v28, v28, v21, 0x7fff
	v_cndmask_b32_e32 v21, v28, v30, vcc_lo
	v_lshlrev_b32_e32 v28, 16, v121
	v_and_b32_e32 v15, 0xffff0000, v21
	v_mul_f32_e32 v28, v4, v28
	v_add_f32_e32 v15, v15, v16
	v_bfe_u32 v30, v28, 16, 1
	v_or_b32_e32 v34, 0x400000, v28
	v_cmp_u_f32_e32 vcc_lo, v28, v28
	v_add_f32_e32 v12, v12, v15
	v_add3_u32 v30, v30, v28, 0x7fff
	v_cndmask_b32_e32 v28, v30, v34, vcc_lo
	v_lshlrev_b32_e32 v30, 16, v122
	v_and_b32_e32 v16, 0xffff0000, v28
	v_mul_f32_e32 v30, v5, v30
	v_bfe_u32 v34, v30, 16, 1
	v_or_b32_e32 v35, 0x400000, v30
	v_cmp_u_f32_e32 vcc_lo, v30, v30
	v_add3_u32 v34, v34, v30, 0x7fff
	v_cndmask_b32_e32 v30, v34, v35, vcc_lo
	v_bfe_u32 v34, v29, 16, 1
	v_or_b32_e32 v35, 0x400000, v29
	v_cmp_u_f32_e32 vcc_lo, v29, v29
	v_and_b32_e32 v15, 0xffff0000, v30
	v_add3_u32 v34, v34, v29, 0x7fff
	v_add_f32_e32 v15, v15, v16
	v_cndmask_b32_e32 v29, v34, v35, vcc_lo
	v_lshlrev_b32_e32 v34, 16, v125
	v_add_f32_e32 v12, v12, v15
	v_and_b32_e32 v16, 0xffff0000, v29
	v_mul_f32_e32 v34, v3, v34
	v_bfe_u32 v35, v34, 16, 1
	v_or_b32_e32 v36, 0x400000, v34
	v_cmp_u_f32_e32 vcc_lo, v34, v34
	v_add3_u32 v35, v35, v34, 0x7fff
	v_cndmask_b32_e32 v34, v35, v36, vcc_lo
	v_and_b32_e32 v15, 0xffff0000, v34
	v_add_f32_e32 v15, v15, v16
	v_add_f32_e32 v12, v12, v15
	buffer_load_dword v15, off, s[0:3], s32 offset:356 ; 4-byte Folded Reload
	s_waitcnt vmcnt(0)
	v_add_f32_e32 v15, v15, v12
	v_lshlrev_b32_e32 v12, 16, v23
	buffer_store_dword v15, off, s[0:3], s32 offset:356 ; 4-byte Folded Spill
	v_mul_f32_e32 v12, v8, v12
	v_bfe_u32 v15, v12, 16, 1
	v_or_b32_e32 v16, 0x400000, v12
	v_cmp_u_f32_e32 vcc_lo, v12, v12
	v_add3_u32 v15, v15, v12, 0x7fff
	v_cndmask_b32_e32 v12, v15, v16, vcc_lo
	v_lshlrev_b32_e32 v15, 16, v31
	v_and_b32_e32 v12, 0xffff0000, v12
	v_mul_f32_e32 v15, v9, v15
	v_bfe_u32 v16, v15, 16, 1
	v_or_b32_e32 v21, 0x400000, v15
	v_cmp_u_f32_e32 vcc_lo, v15, v15
	v_add3_u32 v16, v16, v15, 0x7fff
	v_cndmask_b32_e32 v15, v16, v21, vcc_lo
	v_lshlrev_b32_e32 v16, 16, v17
	v_and_b32_e32 v15, 0xffff0000, v15
	v_mul_f32_e32 v16, v6, v16
	v_add_f32_e32 v12, v15, v12
	v_bfe_u32 v17, v16, 16, 1
	v_or_b32_e32 v21, 0x400000, v16
	v_cmp_u_f32_e32 vcc_lo, v16, v16
	v_add3_u32 v17, v17, v16, 0x7fff
	v_cndmask_b32_e32 v16, v17, v21, vcc_lo
	v_lshlrev_b32_e32 v17, 16, v18
	v_and_b32_e32 v16, 0xffff0000, v16
	v_mul_f32_e32 v17, v7, v17
	v_bfe_u32 v18, v17, 16, 1
	v_or_b32_e32 v21, 0x400000, v17
	v_cmp_u_f32_e32 vcc_lo, v17, v17
	v_add3_u32 v18, v18, v17, 0x7fff
	v_cndmask_b32_e32 v17, v18, v21, vcc_lo
	v_bfe_u32 v18, v0, 16, 1
	v_or_b32_e32 v21, 0x400000, v0
	v_cmp_u_f32_e32 vcc_lo, v0, v0
	v_and_b32_e32 v15, 0xffff0000, v17
	v_add3_u32 v18, v18, v0, 0x7fff
	v_add_f32_e32 v15, v15, v16
	v_cndmask_b32_e32 v0, v18, v21, vcc_lo
	v_bfe_u32 v18, v1, 16, 1
	v_or_b32_e32 v21, 0x400000, v1
	v_cmp_u_f32_e32 vcc_lo, v1, v1
	v_add_f32_e32 v12, v12, v15
	v_and_b32_e32 v0, 0xffff0000, v0
	v_add3_u32 v18, v18, v1, 0x7fff
	v_cndmask_b32_e32 v1, v18, v21, vcc_lo
	v_lshlrev_b32_e32 v18, 16, v33
	v_and_b32_e32 v1, 0xffff0000, v1
	v_mul_f32_e32 v18, v2, v18
	v_add_f32_e32 v0, v1, v0
	v_bfe_u32 v21, v18, 16, 1
	v_or_b32_e32 v23, 0x400000, v18
	v_cmp_u_f32_e32 vcc_lo, v18, v18
	v_add_f32_e32 v0, v12, v0
	v_add3_u32 v21, v21, v18, 0x7fff
	v_cndmask_b32_e32 v18, v21, v23, vcc_lo
	v_lshlrev_b32_e32 v21, 16, v22
	v_and_b32_e32 v12, 0xffff0000, v18
	v_mul_f32_e32 v21, v3, v21
	v_bfe_u32 v22, v21, 16, 1
	v_or_b32_e32 v23, 0x400000, v21
	v_cmp_u_f32_e32 vcc_lo, v21, v21
	v_add3_u32 v22, v22, v21, 0x7fff
	v_cndmask_b32_e32 v21, v22, v23, vcc_lo
	v_and_b32_e32 v1, 0xffff0000, v21
	v_add_f32_e32 v1, v1, v12
	v_add_f32_e32 v0, v0, v1
	buffer_load_dword v1, off, s[0:3], s32 offset:360 ; 4-byte Folded Reload
	s_waitcnt vmcnt(0)
	v_add_f32_e32 v1, v1, v0
	v_lshlrev_b32_e32 v0, 16, v120
	buffer_store_dword v1, off, s[0:3], s32 offset:360 ; 4-byte Folded Spill
	v_mul_f32_e32 v0, v8, v0
	v_bfe_u32 v1, v0, 16, 1
	v_or_b32_e32 v12, 0x400000, v0
	v_cmp_u_f32_e32 vcc_lo, v0, v0
	v_add3_u32 v1, v1, v0, 0x7fff
	v_cndmask_b32_e32 v0, v1, v12, vcc_lo
	v_lshlrev_b32_e32 v1, 16, v111
	v_and_b32_e32 v0, 0xffff0000, v0
	v_mul_f32_e32 v1, v9, v1
	v_bfe_u32 v12, v1, 16, 1
	v_or_b32_e32 v15, 0x400000, v1
	v_cmp_u_f32_e32 vcc_lo, v1, v1
	v_add3_u32 v12, v12, v1, 0x7fff
	v_cndmask_b32_e32 v1, v12, v15, vcc_lo
	v_lshlrev_b32_e32 v12, 16, v109
	v_and_b32_e32 v1, 0xffff0000, v1
	v_mul_f32_e32 v12, v6, v12
	v_add_f32_e32 v0, v1, v0
	v_bfe_u32 v15, v12, 16, 1
	v_or_b32_e32 v16, 0x400000, v12
	v_cmp_u_f32_e32 vcc_lo, v12, v12
	v_add3_u32 v15, v15, v12, 0x7fff
	v_cndmask_b32_e32 v12, v15, v16, vcc_lo
	v_lshlrev_b32_e32 v15, 16, v110
	v_and_b32_e32 v12, 0xffff0000, v12
	v_mul_f32_e32 v15, v7, v15
	v_bfe_u32 v16, v15, 16, 1
	v_or_b32_e32 v17, 0x400000, v15
	v_cmp_u_f32_e32 vcc_lo, v15, v15
	v_add3_u32 v16, v16, v15, 0x7fff
	v_cndmask_b32_e32 v15, v16, v17, vcc_lo
	v_lshlrev_b32_e32 v16, 16, v106
	v_and_b32_e32 v1, 0xffff0000, v15
	v_mul_f32_e32 v16, v4, v16
	v_add_f32_e32 v1, v1, v12
	v_bfe_u32 v17, v16, 16, 1
	v_or_b32_e32 v18, 0x400000, v16
	v_cmp_u_f32_e32 vcc_lo, v16, v16
	v_add_f32_e32 v0, v0, v1
	v_add3_u32 v17, v17, v16, 0x7fff
	v_cndmask_b32_e32 v16, v17, v18, vcc_lo
	v_lshlrev_b32_e32 v17, 16, v105
	v_and_b32_e32 v12, 0xffff0000, v16
	v_mul_f32_e32 v17, v5, v17
	v_bfe_u32 v18, v17, 16, 1
	v_or_b32_e32 v21, 0x400000, v17
	v_cmp_u_f32_e32 vcc_lo, v17, v17
	v_add3_u32 v18, v18, v17, 0x7fff
	v_cndmask_b32_e32 v17, v18, v21, vcc_lo
	v_lshlrev_b32_e32 v18, 16, v108
	v_and_b32_e32 v1, 0xffff0000, v17
	v_mul_f32_e32 v18, v2, v18
	v_add_f32_e32 v1, v1, v12
	v_bfe_u32 v21, v18, 16, 1
	v_or_b32_e32 v22, 0x400000, v18
	v_cmp_u_f32_e32 vcc_lo, v18, v18
	v_add_f32_e32 v0, v0, v1
	v_add3_u32 v21, v21, v18, 0x7fff
	v_cndmask_b32_e32 v18, v21, v22, vcc_lo
	v_lshlrev_b32_e32 v21, 16, v107
	v_and_b32_e32 v12, 0xffff0000, v18
	v_mul_f32_e32 v21, v3, v21
	v_bfe_u32 v22, v21, 16, 1
	v_or_b32_e32 v23, 0x400000, v21
	v_cmp_u_f32_e32 vcc_lo, v21, v21
	v_add3_u32 v22, v22, v21, 0x7fff
	v_cndmask_b32_e32 v21, v22, v23, vcc_lo
	v_and_b32_e32 v1, 0xffff0000, v21
	v_add_f32_e32 v1, v1, v12
	v_add_f32_e32 v0, v0, v1
	buffer_load_dword v1, off, s[0:3], s32 offset:364 ; 4-byte Folded Reload
	s_waitcnt vmcnt(0)
	v_add_f32_e32 v1, v1, v0
	v_lshlrev_b32_e32 v0, 16, v104
	buffer_store_dword v1, off, s[0:3], s32 offset:364 ; 4-byte Folded Spill
	v_mul_f32_e32 v0, v8, v0
	v_bfe_u32 v1, v0, 16, 1
	v_or_b32_e32 v12, 0x400000, v0
	v_cmp_u_f32_e32 vcc_lo, v0, v0
	v_add3_u32 v1, v1, v0, 0x7fff
	v_cndmask_b32_e32 v0, v1, v12, vcc_lo
	v_lshlrev_b32_e32 v1, 16, v95
	v_and_b32_e32 v0, 0xffff0000, v0
	v_mul_f32_e32 v1, v9, v1
	v_bfe_u32 v12, v1, 16, 1
	v_or_b32_e32 v15, 0x400000, v1
	v_cmp_u_f32_e32 vcc_lo, v1, v1
	v_add3_u32 v12, v12, v1, 0x7fff
	v_cndmask_b32_e32 v1, v12, v15, vcc_lo
	v_lshlrev_b32_e32 v12, 16, v93
	v_and_b32_e32 v1, 0xffff0000, v1
	v_mul_f32_e32 v12, v6, v12
	v_add_f32_e32 v0, v1, v0
	v_bfe_u32 v15, v12, 16, 1
	v_or_b32_e32 v16, 0x400000, v12
	v_cmp_u_f32_e32 vcc_lo, v12, v12
	v_add3_u32 v15, v15, v12, 0x7fff
	v_cndmask_b32_e32 v12, v15, v16, vcc_lo
	v_lshlrev_b32_e32 v15, 16, v94
	v_and_b32_e32 v12, 0xffff0000, v12
	v_mul_f32_e32 v15, v7, v15
	v_bfe_u32 v16, v15, 16, 1
	v_or_b32_e32 v17, 0x400000, v15
	v_cmp_u_f32_e32 vcc_lo, v15, v15
	v_add3_u32 v16, v16, v15, 0x7fff
	v_cndmask_b32_e32 v15, v16, v17, vcc_lo
	v_lshlrev_b32_e32 v16, 16, v91
	v_and_b32_e32 v1, 0xffff0000, v15
	v_mul_f32_e32 v16, v4, v16
	v_add_f32_e32 v1, v1, v12
	v_bfe_u32 v17, v16, 16, 1
	v_or_b32_e32 v18, 0x400000, v16
	v_cmp_u_f32_e32 vcc_lo, v16, v16
	v_add_f32_e32 v0, v0, v1
	v_add3_u32 v17, v17, v16, 0x7fff
	v_cndmask_b32_e32 v16, v17, v18, vcc_lo
	v_lshlrev_b32_e32 v17, 16, v89
	v_and_b32_e32 v12, 0xffff0000, v16
	v_mul_f32_e32 v17, v5, v17
	v_bfe_u32 v18, v17, 16, 1
	v_or_b32_e32 v21, 0x400000, v17
	v_cmp_u_f32_e32 vcc_lo, v17, v17
	v_add3_u32 v18, v18, v17, 0x7fff
	v_cndmask_b32_e32 v17, v18, v21, vcc_lo
	v_lshlrev_b32_e32 v18, 16, v92
	v_and_b32_e32 v1, 0xffff0000, v17
	v_mul_f32_e32 v18, v2, v18
	v_add_f32_e32 v1, v1, v12
	v_bfe_u32 v21, v18, 16, 1
	v_or_b32_e32 v22, 0x400000, v18
	v_cmp_u_f32_e32 vcc_lo, v18, v18
	v_add_f32_e32 v0, v0, v1
	v_add3_u32 v21, v21, v18, 0x7fff
	v_cndmask_b32_e32 v18, v21, v22, vcc_lo
	v_lshlrev_b32_e32 v21, 16, v90
	v_and_b32_e32 v12, 0xffff0000, v18
	v_mul_f32_e32 v21, v3, v21
	v_bfe_u32 v22, v21, 16, 1
	v_or_b32_e32 v23, 0x400000, v21
	v_cmp_u_f32_e32 vcc_lo, v21, v21
	v_add3_u32 v22, v22, v21, 0x7fff
	v_cndmask_b32_e32 v21, v22, v23, vcc_lo
	v_and_b32_e32 v1, 0xffff0000, v21
	v_add_f32_e32 v1, v1, v12
	v_add_f32_e32 v0, v0, v1
	buffer_load_dword v1, off, s[0:3], s32 offset:368 ; 4-byte Folded Reload
	s_waitcnt vmcnt(0)
	v_add_f32_e32 v1, v1, v0
	v_lshlrev_b32_e32 v0, 16, v72
	buffer_store_dword v1, off, s[0:3], s32 offset:368 ; 4-byte Folded Spill
	v_mul_f32_e32 v0, v8, v0
	v_bfe_u32 v1, v0, 16, 1
	v_or_b32_e32 v12, 0x400000, v0
	v_cmp_u_f32_e32 vcc_lo, v0, v0
	v_add3_u32 v1, v1, v0, 0x7fff
	v_cndmask_b32_e32 v0, v1, v12, vcc_lo
	v_lshlrev_b32_e32 v1, 16, v63
	v_and_b32_e32 v0, 0xffff0000, v0
	v_mul_f32_e32 v1, v9, v1
	v_bfe_u32 v12, v1, 16, 1
	v_or_b32_e32 v15, 0x400000, v1
	v_cmp_u_f32_e32 vcc_lo, v1, v1
	v_add3_u32 v12, v12, v1, 0x7fff
	v_cndmask_b32_e32 v1, v12, v15, vcc_lo
	v_lshlrev_b32_e32 v12, 16, v62
	v_and_b32_e32 v1, 0xffff0000, v1
	v_mul_f32_e32 v12, v6, v12
	v_add_f32_e32 v0, v1, v0
	v_bfe_u32 v15, v12, 16, 1
	v_or_b32_e32 v16, 0x400000, v12
	v_cmp_u_f32_e32 vcc_lo, v12, v12
	v_add3_u32 v15, v15, v12, 0x7fff
	v_cndmask_b32_e32 v12, v15, v16, vcc_lo
	v_lshlrev_b32_e32 v15, 16, v61
	v_and_b32_e32 v12, 0xffff0000, v12
	v_mul_f32_e32 v15, v7, v15
	v_bfe_u32 v16, v15, 16, 1
	v_or_b32_e32 v17, 0x400000, v15
	v_cmp_u_f32_e32 vcc_lo, v15, v15
	v_add3_u32 v16, v16, v15, 0x7fff
	v_cndmask_b32_e32 v15, v16, v17, vcc_lo
	v_lshlrev_b32_e32 v16, 16, v59
	v_and_b32_e32 v1, 0xffff0000, v15
	v_mul_f32_e32 v16, v4, v16
	v_add_f32_e32 v1, v1, v12
	v_bfe_u32 v17, v16, 16, 1
	v_or_b32_e32 v18, 0x400000, v16
	v_cmp_u_f32_e32 vcc_lo, v16, v16
	v_add_f32_e32 v0, v0, v1
	v_add3_u32 v17, v17, v16, 0x7fff
	v_cndmask_b32_e32 v16, v17, v18, vcc_lo
	v_lshlrev_b32_e32 v17, 16, v58
	v_and_b32_e32 v12, 0xffff0000, v16
	v_mul_f32_e32 v17, v5, v17
	v_bfe_u32 v18, v17, 16, 1
	v_or_b32_e32 v21, 0x400000, v17
	v_cmp_u_f32_e32 vcc_lo, v17, v17
	v_add3_u32 v18, v18, v17, 0x7fff
	v_cndmask_b32_e32 v17, v18, v21, vcc_lo
	buffer_load_dword v18, off, s[0:3], s32 offset:324 ; 4-byte Folded Reload
	v_and_b32_e32 v1, 0xffff0000, v17
	v_add_f32_e32 v1, v1, v12
	v_add_f32_e32 v0, v0, v1
	s_waitcnt vmcnt(0)
	v_lshlrev_b32_e32 v18, 16, v18
	v_mul_f32_e32 v18, v2, v18
	v_bfe_u32 v21, v18, 16, 1
	v_or_b32_e32 v22, 0x400000, v18
	v_cmp_u_f32_e32 vcc_lo, v18, v18
	v_add3_u32 v21, v21, v18, 0x7fff
	v_cndmask_b32_e32 v18, v21, v22, vcc_lo
	buffer_load_dword v21, off, s[0:3], s32 offset:320 ; 4-byte Folded Reload
	v_and_b32_e32 v12, 0xffff0000, v18
	s_waitcnt vmcnt(0)
	v_lshlrev_b32_e32 v21, 16, v21
	v_mul_f32_e32 v21, v3, v21
	v_bfe_u32 v22, v21, 16, 1
	v_or_b32_e32 v23, 0x400000, v21
	v_cmp_u_f32_e32 vcc_lo, v21, v21
	v_add3_u32 v22, v22, v21, 0x7fff
	v_cndmask_b32_e32 v21, v22, v23, vcc_lo
	v_and_b32_e32 v1, 0xffff0000, v21
	v_add_f32_e32 v1, v1, v12
	v_add_f32_e32 v0, v0, v1
	buffer_load_dword v1, off, s[0:3], s32 offset:372 ; 4-byte Folded Reload
	s_waitcnt vmcnt(0)
	v_add_f32_e32 v1, v1, v0
	buffer_load_dword v0, off, s[0:3], s32 offset:316 ; 4-byte Folded Reload
	buffer_store_dword v1, off, s[0:3], s32 offset:372 ; 4-byte Folded Spill
	s_waitcnt vmcnt(0)
	v_lshlrev_b32_e32 v0, 16, v0
	v_mul_f32_e32 v0, v8, v0
	v_bfe_u32 v1, v0, 16, 1
	v_or_b32_e32 v12, 0x400000, v0
	v_cmp_u_f32_e32 vcc_lo, v0, v0
	v_add3_u32 v1, v1, v0, 0x7fff
	v_cndmask_b32_e32 v0, v1, v12, vcc_lo
	buffer_load_dword v1, off, s[0:3], s32 offset:312 ; 4-byte Folded Reload
	v_and_b32_e32 v0, 0xffff0000, v0
	s_waitcnt vmcnt(0)
	v_lshlrev_b32_e32 v1, 16, v1
	v_mul_f32_e32 v1, v9, v1
	v_bfe_u32 v12, v1, 16, 1
	v_or_b32_e32 v15, 0x400000, v1
	v_cmp_u_f32_e32 vcc_lo, v1, v1
	v_add3_u32 v12, v12, v1, 0x7fff
	v_cndmask_b32_e32 v1, v12, v15, vcc_lo
	buffer_load_dword v12, off, s[0:3], s32 offset:308 ; 4-byte Folded Reload
	v_and_b32_e32 v1, 0xffff0000, v1
	v_add_f32_e32 v0, v1, v0
	s_waitcnt vmcnt(0)
	v_lshlrev_b32_e32 v12, 16, v12
	v_mul_f32_e32 v12, v6, v12
	v_bfe_u32 v15, v12, 16, 1
	v_or_b32_e32 v16, 0x400000, v12
	v_cmp_u_f32_e32 vcc_lo, v12, v12
	v_add3_u32 v15, v15, v12, 0x7fff
	v_cndmask_b32_e32 v12, v15, v16, vcc_lo
	buffer_load_dword v15, off, s[0:3], s32 offset:304 ; 4-byte Folded Reload
	v_and_b32_e32 v12, 0xffff0000, v12
	s_waitcnt vmcnt(0)
	v_lshlrev_b32_e32 v15, 16, v15
	v_mul_f32_e32 v15, v7, v15
	v_bfe_u32 v16, v15, 16, 1
	v_or_b32_e32 v17, 0x400000, v15
	v_cmp_u_f32_e32 vcc_lo, v15, v15
	v_add3_u32 v16, v16, v15, 0x7fff
	v_cndmask_b32_e32 v15, v16, v17, vcc_lo
	buffer_load_dword v16, off, s[0:3], s32 offset:300 ; 4-byte Folded Reload
	v_and_b32_e32 v1, 0xffff0000, v15
	v_add_f32_e32 v1, v1, v12
	v_add_f32_e32 v0, v0, v1
	s_waitcnt vmcnt(0)
	v_lshlrev_b32_e32 v16, 16, v16
	v_mul_f32_e32 v16, v4, v16
	v_bfe_u32 v17, v16, 16, 1
	v_or_b32_e32 v18, 0x400000, v16
	v_cmp_u_f32_e32 vcc_lo, v16, v16
	v_add3_u32 v17, v17, v16, 0x7fff
	v_cndmask_b32_e32 v16, v17, v18, vcc_lo
	buffer_load_dword v17, off, s[0:3], s32 offset:296 ; 4-byte Folded Reload
	v_and_b32_e32 v12, 0xffff0000, v16
	s_waitcnt vmcnt(0)
	v_lshlrev_b32_e32 v17, 16, v17
	v_mul_f32_e32 v17, v5, v17
	v_bfe_u32 v18, v17, 16, 1
	v_or_b32_e32 v21, 0x400000, v17
	v_cmp_u_f32_e32 vcc_lo, v17, v17
	v_add3_u32 v18, v18, v17, 0x7fff
	v_cndmask_b32_e32 v17, v18, v21, vcc_lo
	buffer_load_dword v18, off, s[0:3], s32 offset:292 ; 4-byte Folded Reload
	v_and_b32_e32 v1, 0xffff0000, v17
	v_add_f32_e32 v1, v1, v12
	v_add_f32_e32 v0, v0, v1
	s_waitcnt vmcnt(0)
	v_lshlrev_b32_e32 v18, 16, v18
	v_mul_f32_e32 v18, v2, v18
	v_bfe_u32 v21, v18, 16, 1
	v_or_b32_e32 v22, 0x400000, v18
	v_cmp_u_f32_e32 vcc_lo, v18, v18
	v_add3_u32 v21, v21, v18, 0x7fff
	v_cndmask_b32_e32 v18, v21, v22, vcc_lo
	buffer_load_dword v21, off, s[0:3], s32 offset:288 ; 4-byte Folded Reload
	v_and_b32_e32 v12, 0xffff0000, v18
	s_waitcnt vmcnt(0)
	v_lshlrev_b32_e32 v21, 16, v21
	v_mul_f32_e32 v21, v3, v21
	v_bfe_u32 v22, v21, 16, 1
	v_or_b32_e32 v23, 0x400000, v21
	v_cmp_u_f32_e32 vcc_lo, v21, v21
	v_add3_u32 v22, v22, v21, 0x7fff
	v_cndmask_b32_e32 v21, v22, v23, vcc_lo
	v_and_b32_e32 v1, 0xffff0000, v21
	v_add_f32_e32 v1, v1, v12
	v_add_f32_e32 v0, v0, v1
	buffer_load_dword v1, off, s[0:3], s32 offset:376 ; 4-byte Folded Reload
	s_waitcnt vmcnt(0)
	v_add_f32_e32 v1, v1, v0
	buffer_load_dword v0, off, s[0:3], s32 offset:284 ; 4-byte Folded Reload
	buffer_store_dword v1, off, s[0:3], s32 offset:376 ; 4-byte Folded Spill
	s_waitcnt vmcnt(0)
	v_lshlrev_b32_e32 v0, 16, v0
	v_mul_f32_e32 v0, v8, v0
	v_bfe_u32 v1, v0, 16, 1
	v_or_b32_e32 v12, 0x400000, v0
	v_cmp_u_f32_e32 vcc_lo, v0, v0
	v_add3_u32 v1, v1, v0, 0x7fff
	v_cndmask_b32_e32 v0, v1, v12, vcc_lo
	buffer_load_dword v1, off, s[0:3], s32 offset:280 ; 4-byte Folded Reload
	v_and_b32_e32 v0, 0xffff0000, v0
	s_waitcnt vmcnt(0)
	v_lshlrev_b32_e32 v1, 16, v1
	v_mul_f32_e32 v1, v9, v1
	v_bfe_u32 v12, v1, 16, 1
	v_or_b32_e32 v15, 0x400000, v1
	v_cmp_u_f32_e32 vcc_lo, v1, v1
	v_add3_u32 v12, v12, v1, 0x7fff
	v_cndmask_b32_e32 v1, v12, v15, vcc_lo
	buffer_load_dword v12, off, s[0:3], s32 offset:276 ; 4-byte Folded Reload
	v_and_b32_e32 v1, 0xffff0000, v1
	v_add_f32_e32 v0, v1, v0
	s_waitcnt vmcnt(0)
	v_lshlrev_b32_e32 v12, 16, v12
	v_mul_f32_e32 v12, v6, v12
	v_bfe_u32 v15, v12, 16, 1
	v_or_b32_e32 v16, 0x400000, v12
	v_cmp_u_f32_e32 vcc_lo, v12, v12
	v_add3_u32 v15, v15, v12, 0x7fff
	v_cndmask_b32_e32 v12, v15, v16, vcc_lo
	buffer_load_dword v15, off, s[0:3], s32 offset:268 ; 4-byte Folded Reload
	v_and_b32_e32 v12, 0xffff0000, v12
	s_waitcnt vmcnt(0)
	v_lshlrev_b32_e32 v15, 16, v15
	v_mul_f32_e32 v15, v7, v15
	v_bfe_u32 v16, v15, 16, 1
	v_or_b32_e32 v17, 0x400000, v15
	v_cmp_u_f32_e32 vcc_lo, v15, v15
	v_add3_u32 v16, v16, v15, 0x7fff
	v_cndmask_b32_e32 v15, v16, v17, vcc_lo
	buffer_load_dword v16, off, s[0:3], s32 offset:264 ; 4-byte Folded Reload
	v_and_b32_e32 v1, 0xffff0000, v15
	v_add_f32_e32 v1, v1, v12
	v_add_f32_e32 v0, v0, v1
	s_waitcnt vmcnt(0)
	v_lshlrev_b32_e32 v16, 16, v16
	v_mul_f32_e32 v16, v4, v16
	v_bfe_u32 v17, v16, 16, 1
	v_or_b32_e32 v18, 0x400000, v16
	v_cmp_u_f32_e32 vcc_lo, v16, v16
	v_add3_u32 v17, v17, v16, 0x7fff
	v_cndmask_b32_e32 v16, v17, v18, vcc_lo
	buffer_load_dword v17, off, s[0:3], s32 offset:260 ; 4-byte Folded Reload
	v_and_b32_e32 v12, 0xffff0000, v16
	s_waitcnt vmcnt(0)
	v_lshlrev_b32_e32 v17, 16, v17
	v_mul_f32_e32 v17, v5, v17
	v_bfe_u32 v18, v17, 16, 1
	v_or_b32_e32 v21, 0x400000, v17
	v_cmp_u_f32_e32 vcc_lo, v17, v17
	v_add3_u32 v18, v18, v17, 0x7fff
	v_cndmask_b32_e32 v17, v18, v21, vcc_lo
	buffer_load_dword v18, off, s[0:3], s32 offset:256 ; 4-byte Folded Reload
	v_and_b32_e32 v1, 0xffff0000, v17
	v_add_f32_e32 v1, v1, v12
	v_add_f32_e32 v0, v0, v1
	s_waitcnt vmcnt(0)
	v_lshlrev_b32_e32 v18, 16, v18
	v_mul_f32_e32 v18, v2, v18
	v_bfe_u32 v21, v18, 16, 1
	v_or_b32_e32 v22, 0x400000, v18
	v_cmp_u_f32_e32 vcc_lo, v18, v18
	v_add3_u32 v21, v21, v18, 0x7fff
	v_cndmask_b32_e32 v18, v21, v22, vcc_lo
	buffer_load_dword v21, off, s[0:3], s32 offset:252 ; 4-byte Folded Reload
	v_and_b32_e32 v12, 0xffff0000, v18
	s_waitcnt vmcnt(0)
	v_lshlrev_b32_e32 v21, 16, v21
	v_mul_f32_e32 v21, v3, v21
	v_bfe_u32 v22, v21, 16, 1
	v_or_b32_e32 v23, 0x400000, v21
	v_cmp_u_f32_e32 vcc_lo, v21, v21
	v_add3_u32 v22, v22, v21, 0x7fff
	v_cndmask_b32_e32 v21, v22, v23, vcc_lo
	v_and_b32_e32 v1, 0xffff0000, v21
	v_add_f32_e32 v1, v1, v12
	v_add_f32_e32 v0, v0, v1
	buffer_load_dword v1, off, s[0:3], s32 offset:384 ; 4-byte Folded Reload
	s_waitcnt vmcnt(0)
	v_add_f32_e32 v1, v1, v0
	buffer_load_dword v0, off, s[0:3], s32 offset:248 ; 4-byte Folded Reload
	buffer_store_dword v1, off, s[0:3], s32 offset:384 ; 4-byte Folded Spill
	s_waitcnt vmcnt(0)
	v_lshlrev_b32_e32 v0, 16, v0
	v_mul_f32_e32 v0, v8, v0
	v_bfe_u32 v1, v0, 16, 1
	v_or_b32_e32 v12, 0x400000, v0
	v_cmp_u_f32_e32 vcc_lo, v0, v0
	v_add3_u32 v1, v1, v0, 0x7fff
	v_cndmask_b32_e32 v0, v1, v12, vcc_lo
	buffer_load_dword v1, off, s[0:3], s32 offset:244 ; 4-byte Folded Reload
	v_and_b32_e32 v0, 0xffff0000, v0
	s_waitcnt vmcnt(0)
	v_lshlrev_b32_e32 v1, 16, v1
	v_mul_f32_e32 v1, v9, v1
	v_bfe_u32 v12, v1, 16, 1
	v_or_b32_e32 v15, 0x400000, v1
	v_cmp_u_f32_e32 vcc_lo, v1, v1
	v_add3_u32 v12, v12, v1, 0x7fff
	v_cndmask_b32_e32 v1, v12, v15, vcc_lo
	buffer_load_dword v12, off, s[0:3], s32 offset:240 ; 4-byte Folded Reload
	v_and_b32_e32 v1, 0xffff0000, v1
	v_add_f32_e32 v0, v1, v0
	s_waitcnt vmcnt(0)
	v_lshlrev_b32_e32 v12, 16, v12
	v_mul_f32_e32 v12, v6, v12
	v_bfe_u32 v15, v12, 16, 1
	v_or_b32_e32 v16, 0x400000, v12
	v_cmp_u_f32_e32 vcc_lo, v12, v12
	v_add3_u32 v15, v15, v12, 0x7fff
	v_cndmask_b32_e32 v12, v15, v16, vcc_lo
	buffer_load_dword v15, off, s[0:3], s32 offset:236 ; 4-byte Folded Reload
	v_and_b32_e32 v12, 0xffff0000, v12
	s_waitcnt vmcnt(0)
	v_lshlrev_b32_e32 v15, 16, v15
	v_mul_f32_e32 v15, v7, v15
	v_bfe_u32 v16, v15, 16, 1
	v_or_b32_e32 v17, 0x400000, v15
	v_cmp_u_f32_e32 vcc_lo, v15, v15
	v_add3_u32 v16, v16, v15, 0x7fff
	v_cndmask_b32_e32 v15, v16, v17, vcc_lo
	buffer_load_dword v16, off, s[0:3], s32 offset:232 ; 4-byte Folded Reload
	v_and_b32_e32 v1, 0xffff0000, v15
	v_add_f32_e32 v1, v1, v12
	v_add_f32_e32 v0, v0, v1
	s_waitcnt vmcnt(0)
	v_lshlrev_b32_e32 v16, 16, v16
	v_mul_f32_e32 v16, v4, v16
	v_bfe_u32 v17, v16, 16, 1
	v_or_b32_e32 v18, 0x400000, v16
	v_cmp_u_f32_e32 vcc_lo, v16, v16
	v_add3_u32 v17, v17, v16, 0x7fff
	v_cndmask_b32_e32 v16, v17, v18, vcc_lo
	buffer_load_dword v17, off, s[0:3], s32 offset:224 ; 4-byte Folded Reload
	v_and_b32_e32 v12, 0xffff0000, v16
	s_waitcnt vmcnt(0)
	v_lshlrev_b32_e32 v17, 16, v17
	v_mul_f32_e32 v17, v5, v17
	v_bfe_u32 v18, v17, 16, 1
	v_or_b32_e32 v21, 0x400000, v17
	v_cmp_u_f32_e32 vcc_lo, v17, v17
	v_add3_u32 v18, v18, v17, 0x7fff
	v_cndmask_b32_e32 v17, v18, v21, vcc_lo
	buffer_load_dword v18, off, s[0:3], s32 offset:228 ; 4-byte Folded Reload
	v_and_b32_e32 v1, 0xffff0000, v17
	v_add_f32_e32 v1, v1, v12
	v_add_f32_e32 v0, v0, v1
	s_waitcnt vmcnt(0)
	v_lshlrev_b32_e32 v18, 16, v18
	v_mul_f32_e32 v18, v2, v18
	v_bfe_u32 v21, v18, 16, 1
	v_or_b32_e32 v22, 0x400000, v18
	v_cmp_u_f32_e32 vcc_lo, v18, v18
	v_add3_u32 v21, v21, v18, 0x7fff
	v_cndmask_b32_e32 v18, v21, v22, vcc_lo
	buffer_load_dword v21, off, s[0:3], s32 offset:220 ; 4-byte Folded Reload
	v_and_b32_e32 v12, 0xffff0000, v18
	s_waitcnt vmcnt(0)
	v_lshlrev_b32_e32 v21, 16, v21
	v_mul_f32_e32 v21, v3, v21
	v_bfe_u32 v22, v21, 16, 1
	v_or_b32_e32 v23, 0x400000, v21
	v_cmp_u_f32_e32 vcc_lo, v21, v21
	v_add3_u32 v22, v22, v21, 0x7fff
	v_cndmask_b32_e32 v21, v22, v23, vcc_lo
	v_and_b32_e32 v1, 0xffff0000, v21
	v_add_f32_e32 v1, v1, v12
	v_add_f32_e32 v0, v0, v1
	buffer_load_dword v1, off, s[0:3], s32 offset:380 ; 4-byte Folded Reload
	s_waitcnt vmcnt(0)
	v_add_f32_e32 v1, v1, v0
	v_lshlrev_b32_e32 v0, 16, v96
	buffer_store_dword v1, off, s[0:3], s32 offset:380 ; 4-byte Folded Spill
	v_mul_f32_e32 v0, v9, v0
	v_bfe_u32 v1, v0, 16, 1
	v_or_b32_e32 v9, 0x400000, v0
	v_cmp_u_f32_e32 vcc_lo, v0, v0
	v_add3_u32 v1, v1, v0, 0x7fff
	v_cndmask_b32_e32 v0, v1, v9, vcc_lo
	v_lshlrev_b32_e32 v1, 16, v27
	v_and_b32_e32 v0, 0xffff0000, v0
	v_mul_f32_e32 v1, v8, v1
	v_bfe_u32 v8, v1, 16, 1
	v_or_b32_e32 v9, 0x400000, v1
	v_cmp_u_f32_e32 vcc_lo, v1, v1
	v_add3_u32 v8, v8, v1, 0x7fff
	v_cndmask_b32_e32 v1, v8, v9, vcc_lo
	v_lshlrev_b32_e32 v8, 16, v25
	v_and_b32_e32 v1, 0xffff0000, v1
	v_mul_f32_e32 v7, v7, v8
	v_add_f32_e32 v0, v0, v1
	v_bfe_u32 v8, v7, 16, 1
	v_or_b32_e32 v9, 0x400000, v7
	v_cmp_u_f32_e32 vcc_lo, v7, v7
	v_add3_u32 v8, v8, v7, 0x7fff
	v_cndmask_b32_e32 v7, v8, v9, vcc_lo
	v_lshlrev_b32_e32 v8, 16, v20
	v_mul_f32_e32 v6, v6, v8
	v_bfe_u32 v8, v6, 16, 1
	v_or_b32_e32 v9, 0x400000, v6
	v_cmp_u_f32_e32 vcc_lo, v6, v6
	v_add3_u32 v8, v8, v6, 0x7fff
	v_cndmask_b32_e32 v6, v8, v9, vcc_lo
	v_lshlrev_b32_e32 v8, 16, v19
	buffer_load_dword v19, off, s[0:3], s32 offset:392 ; 4-byte Folded Reload
	v_and_b32_e32 v1, 0xffff0000, v6
	v_mul_f32_e32 v5, v5, v8
	v_and_b32_e32 v6, 0xffff0000, v7
	v_bfe_u32 v8, v5, 16, 1
	v_or_b32_e32 v9, 0x400000, v5
	v_cmp_u_f32_e32 vcc_lo, v5, v5
	v_add_f32_e32 v1, v6, v1
	v_add3_u32 v8, v8, v5, 0x7fff
	v_add_f32_e32 v0, v0, v1
	v_cndmask_b32_e32 v5, v8, v9, vcc_lo
	v_lshlrev_b32_e32 v8, 16, v13
	v_mul_f32_e32 v4, v4, v8
	v_bfe_u32 v8, v4, 16, 1
	v_or_b32_e32 v9, 0x400000, v4
	v_cmp_u_f32_e32 vcc_lo, v4, v4
	v_add3_u32 v8, v8, v4, 0x7fff
	v_cndmask_b32_e32 v4, v8, v9, vcc_lo
	v_lshlrev_b32_e32 v8, 16, v24
	v_and_b32_e32 v1, 0xffff0000, v4
	v_mul_f32_e32 v3, v3, v8
	v_and_b32_e32 v4, 0xffff0000, v5
	v_bfe_u32 v8, v3, 16, 1
	v_or_b32_e32 v9, 0x400000, v3
	v_cmp_u_f32_e32 vcc_lo, v3, v3
	v_add_f32_e32 v1, v4, v1
	v_add3_u32 v8, v8, v3, 0x7fff
	v_add_f32_e32 v0, v0, v1
	v_cndmask_b32_e32 v3, v8, v9, vcc_lo
	v_lshlrev_b32_e32 v8, 16, v26
	v_mul_f32_e32 v2, v2, v8
	v_bfe_u32 v8, v2, 16, 1
	v_or_b32_e32 v9, 0x400000, v2
	v_cmp_u_f32_e32 vcc_lo, v2, v2
	v_add3_u32 v8, v8, v2, 0x7fff
	v_cndmask_b32_e32 v2, v8, v9, vcc_lo
	v_and_b32_e32 v1, 0xffff0000, v2
	v_and_b32_e32 v2, 0xffff0000, v3
	v_add_f32_e32 v1, v2, v1
	v_add_f32_e32 v0, v0, v1
	s_waitcnt vmcnt(0)
	v_add_f32_e32 v19, v19, v0
.LBB351_994:                            ;   in Loop: Header=BB351_995 Depth=1
	s_or_b32 exec_lo, exec_lo, s17
	buffer_load_dword v0, off, s[0:3], s32 offset:192 ; 4-byte Folded Reload
	v_add_nc_u32_e32 v87, 4, v87
	v_mov_b32_e32 v2, v57
	v_add_co_u32 v10, s4, v10, 16
	v_add_nc_u32_e32 v85, 0x200, v85
	v_add_co_ci_u32_e64 v11, null, 0, v11, s4
	v_add_nc_u32_e32 v2, 0x80, v2
	s_waitcnt vmcnt(0)
	v_cmp_ge_i32_e32 vcc_lo, v87, v0
	s_or_b32 s13, vcc_lo, s13
	s_andn2_b32 exec_lo, exec_lo, s13
	s_cbranch_execz .LBB351_1986
.LBB351_995:                            ; =>This Inner Loop Header: Depth=1
	s_clause 0x1
	buffer_load_dword v0, off, s[0:3], s32 offset:212
	buffer_load_dword v4, off, s[0:3], s32 offset:196
	s_waitcnt vmcnt(2)
	v_mov_b32_e32 v57, v2
	s_waitcnt vmcnt(1)
	v_mul_hi_u32 v0, v2, v0
	s_waitcnt vmcnt(0)
	v_mul_lo_u32 v1, v0, v4
	v_sub_nc_u32_e32 v1, v2, v1
	v_add_nc_u32_e32 v2, 1, v0
	v_sub_nc_u32_e32 v3, v1, v4
	v_cmp_ge_u32_e32 vcc_lo, v1, v4
	v_cndmask_b32_e32 v1, v1, v3, vcc_lo
	v_cndmask_b32_e32 v0, v0, v2, vcc_lo
	v_cmp_ge_u32_e32 vcc_lo, v1, v4
	buffer_load_dword v1, off, s[0:3], s32 offset:208 ; 4-byte Folded Reload
	v_add_nc_u32_e32 v2, 1, v0
	v_cndmask_b32_e32 v0, v0, v2, vcc_lo
	s_waitcnt vmcnt(0)
	v_xor_b32_e32 v0, v0, v1
	v_sub_nc_u32_e32 v0, v0, v1
	s_clause 0x2
	buffer_load_dword v1, off, s[0:3], s32 offset:200
	buffer_load_dword v2, off, s[0:3], s32 offset:204
	buffer_load_dword v3, off, s[0:3], s32 offset:388
	s_waitcnt vmcnt(2)
	v_add_nc_u32_e32 v1, v0, v1
	s_waitcnt vmcnt(1)
	v_sub_nc_u32_e32 v2, 0, v1
	v_max_i32_e32 v2, v1, v2
	v_ashrrev_i32_e32 v1, 31, v1
	s_waitcnt vmcnt(0)
	v_mul_hi_u32 v3, v2, v3
	v_mul_lo_u32 v3, v3, v70
	v_sub_nc_u32_e32 v2, v2, v3
	v_sub_nc_u32_e32 v3, v2, v70
	v_cmp_ge_u32_e32 vcc_lo, v2, v70
	v_cndmask_b32_e32 v2, v2, v3, vcc_lo
	v_sub_nc_u32_e32 v3, v2, v70
	v_cmp_ge_u32_e32 vcc_lo, v2, v70
	v_cndmask_b32_e32 v2, v2, v3, vcc_lo
	v_xor_b32_e32 v2, v2, v1
	v_sub_nc_u32_e32 v1, v2, v1
	v_cmp_eq_u32_e32 vcc_lo, 0, v1
	buffer_load_dword v1, off, s[0:3], s32 offset:216 ; 4-byte Folded Reload
	s_waitcnt vmcnt(0)
	v_cmp_gt_i32_e64 s4, v0, v1
	s_or_b32 s4, vcc_lo, s4
	s_and_saveexec_b32 s17, s4
	s_cbranch_execz .LBB351_994
; %bb.996:                              ;   in Loop: Header=BB351_995 Depth=1
	buffer_store_dword v19, off, s[0:3], s32 offset:392 ; 4-byte Folded Spill
	flat_load_dword v0, v[10:11]
	s_clause 0x2
	buffer_load_dword v1, off, s[0:3], s32 offset:328
	buffer_load_dword v2, off, s[0:3], s32 offset:416
	;; [unrolled: 1-line block ×3, first 2 shown]
	s_waitcnt vmcnt(0) lgkmcnt(0)
	v_mad_i64_i32 v[19:20], null, v0, v1, v[2:3]
	flat_load_dwordx2 v[24:25], v[19:20]
	s_clause 0x1
	buffer_load_dword v0, off, s[0:3], s32 offset:404
	buffer_load_dword v1, off, s[0:3], s32 offset:408
	s_load_dword s4, s[8:9], 0x0
	s_waitcnt vmcnt(2) lgkmcnt(0)
	v_cmp_ne_u16_sdwa s18, v24, v14 src0_sel:BYTE_0 src1_sel:DWORD
	s_waitcnt vmcnt(0)
	flat_load_dword v60, v[0:1]
	v_add_nc_u32_e32 v0, s4, v85
	v_mov_b32_e32 v1, 0
	ds_read2_b64 v[6:9], v0 offset1:1
	ds_read2_b64 v[2:5], v0 offset0:2 offset1:3
	v_mov_b32_e32 v0, 0
	s_and_saveexec_b32 s4, s18
	s_cbranch_execz .LBB351_1004
; %bb.997:                              ;   in Loop: Header=BB351_995 Depth=1
	v_cmp_ne_u16_sdwa s19, v24, v71 src0_sel:BYTE_0 src1_sel:DWORD
	v_bfrev_b32_e32 v0, 1
	s_and_saveexec_b32 s18, s19
	s_cbranch_execz .LBB351_1003
; %bb.998:                              ;   in Loop: Header=BB351_995 Depth=1
	v_and_b32_e32 v12, 0x7f, v24
	v_mov_b32_e32 v0, 0x7f800001
	s_mov_b32 s19, exec_lo
	v_cmpx_ne_u32_e32 0x7f, v12
	s_cbranch_execz .LBB351_1002
; %bb.999:                              ;   in Loop: Header=BB351_995 Depth=1
	v_mov_b32_e32 v27, v25
	v_lshrrev_b32_e32 v0, 3, v12
	v_mov_b32_e32 v26, v24
	s_mov_b32 s20, exec_lo
	v_cmpx_gt_u32_e32 8, v12
; %bb.1000:                             ;   in Loop: Header=BB351_995 Depth=1
	v_and_b32_e32 v0, 7, v24
	v_ffbh_u32_e32 v0, v0
	v_min_u32_e32 v0, 32, v0
	v_subrev_nc_u32_e32 v12, 28, v0
	v_sub_nc_u32_e32 v0, 29, v0
	v_lshlrev_b64 v[26:27], v12, v[24:25]
; %bb.1001:                             ;   in Loop: Header=BB351_995 Depth=1
	s_or_b32 exec_lo, exec_lo, s20
	v_lshlrev_b32_e32 v12, 20, v26
	v_lshlrev_b32_e32 v13, 24, v24
	v_lshl_add_u32 v0, v0, 23, 0x3c000000
	v_and_b32_e32 v12, 0x700000, v12
	v_and_b32_e32 v13, 0x80000000, v13
	v_or3_b32 v0, v12, v13, v0
.LBB351_1002:                           ;   in Loop: Header=BB351_995 Depth=1
	s_or_b32 exec_lo, exec_lo, s19
.LBB351_1003:                           ;   in Loop: Header=BB351_995 Depth=1
	s_or_b32 exec_lo, exec_lo, s18
.LBB351_1004:                           ;   in Loop: Header=BB351_995 Depth=1
	s_or_b32 exec_lo, exec_lo, s4
	v_cmp_ne_u16_sdwa s18, v24, v14 src0_sel:BYTE_1 src1_sel:DWORD
	s_and_saveexec_b32 s4, s18
	s_cbranch_execz .LBB351_1012
; %bb.1005:                             ;   in Loop: Header=BB351_995 Depth=1
	v_cmp_ne_u16_sdwa s19, v24, v71 src0_sel:BYTE_1 src1_sel:DWORD
	v_bfrev_b32_e32 v1, 1
	s_and_saveexec_b32 s18, s19
	s_cbranch_execz .LBB351_1011
; %bb.1006:                             ;   in Loop: Header=BB351_995 Depth=1
	v_mov_b32_e32 v1, 0xffff
	s_mov_b32 s19, exec_lo
	v_and_b32_sdwa v13, v1, v24 dst_sel:DWORD dst_unused:UNUSED_PAD src0_sel:DWORD src1_sel:BYTE_1
	v_mov_b32_e32 v1, 0x7f800001
	v_and_b32_e32 v12, 0x7f, v13
	v_cmpx_ne_u32_e32 0x7f, v12
	s_cbranch_execz .LBB351_1010
; %bb.1007:                             ;   in Loop: Header=BB351_995 Depth=1
	v_and_b32_e32 v13, 7, v13
	v_mov_b32_e32 v27, v14
	v_lshrrev_b32_e32 v1, 3, v12
	s_mov_b32 s20, exec_lo
	v_mov_b32_e32 v26, v13
	v_cmpx_gt_u32_e32 8, v12
; %bb.1008:                             ;   in Loop: Header=BB351_995 Depth=1
	v_ffbh_u32_e32 v1, v13
	v_min_u32_e32 v1, 32, v1
	v_subrev_nc_u32_e32 v12, 28, v1
	v_sub_nc_u32_e32 v1, 29, v1
	v_lshlrev_b64 v[12:13], v12, v[13:14]
	v_and_b32_e32 v26, 7, v12
; %bb.1009:                             ;   in Loop: Header=BB351_995 Depth=1
	s_or_b32 exec_lo, exec_lo, s20
	v_lshlrev_b32_e32 v12, 16, v24
	v_lshlrev_b32_e32 v13, 20, v26
	v_lshl_add_u32 v1, v1, 23, 0x3c000000
	v_and_b32_e32 v12, 0x80000000, v12
	v_or3_b32 v1, v13, v12, v1
.LBB351_1010:                           ;   in Loop: Header=BB351_995 Depth=1
	s_or_b32 exec_lo, exec_lo, s19
.LBB351_1011:                           ;   in Loop: Header=BB351_995 Depth=1
	s_or_b32 exec_lo, exec_lo, s18
.LBB351_1012:                           ;   in Loop: Header=BB351_995 Depth=1
	s_or_b32 exec_lo, exec_lo, s4
	v_and_b32_sdwa v13, v24, v81 dst_sel:DWORD dst_unused:UNUSED_PAD src0_sel:WORD_1 src1_sel:DWORD
	v_mov_b32_e32 v15, 0
	v_mov_b32_e32 v12, 0
	s_mov_b32 s4, exec_lo
	v_cmpx_ne_u16_e32 0, v13
	s_cbranch_execz .LBB351_1020
; %bb.1013:                             ;   in Loop: Header=BB351_995 Depth=1
	v_bfrev_b32_e32 v12, 1
	s_mov_b32 s18, exec_lo
	v_cmpx_ne_u16_e32 0x80, v13
	s_cbranch_execz .LBB351_1019
; %bb.1014:                             ;   in Loop: Header=BB351_995 Depth=1
	v_bfe_u32 v16, v24, 16, 7
	v_mov_b32_e32 v12, 0x7f800001
	s_mov_b32 s19, exec_lo
	v_cmpx_ne_u32_e32 0x7f, v16
	s_cbranch_execz .LBB351_1018
; %bb.1015:                             ;   in Loop: Header=BB351_995 Depth=1
	v_mov_b32_e32 v12, 7
	s_mov_b32 s20, exec_lo
	v_and_b32_sdwa v13, v24, v12 dst_sel:DWORD dst_unused:UNUSED_PAD src0_sel:WORD_1 src1_sel:DWORD
	v_mov_b32_e32 v27, v14
	v_lshrrev_b32_e32 v12, 3, v16
	v_mov_b32_e32 v26, v13
	v_cmpx_gt_u32_e32 8, v16
; %bb.1016:                             ;   in Loop: Header=BB351_995 Depth=1
	v_ffbh_u32_e32 v12, v13
	v_min_u32_e32 v12, 32, v12
	v_subrev_nc_u32_e32 v16, 28, v12
	v_sub_nc_u32_e32 v12, 29, v12
	v_lshlrev_b64 v[16:17], v16, v[13:14]
	v_and_b32_e32 v26, 7, v16
; %bb.1017:                             ;   in Loop: Header=BB351_995 Depth=1
	s_or_b32 exec_lo, exec_lo, s20
	v_mov_b32_e32 v13, 24
	v_lshlrev_b32_e32 v16, 20, v26
	v_lshl_add_u32 v12, v12, 23, 0x3c000000
	v_lshlrev_b32_sdwa v13, v13, v24 dst_sel:DWORD dst_unused:UNUSED_PAD src0_sel:DWORD src1_sel:WORD_1
	v_and_b32_e32 v13, 0x80000000, v13
	v_or3_b32 v12, v16, v13, v12
.LBB351_1018:                           ;   in Loop: Header=BB351_995 Depth=1
	s_or_b32 exec_lo, exec_lo, s19
.LBB351_1019:                           ;   in Loop: Header=BB351_995 Depth=1
	s_or_b32 exec_lo, exec_lo, s18
.LBB351_1020:                           ;   in Loop: Header=BB351_995 Depth=1
	s_or_b32 exec_lo, exec_lo, s4
	s_mov_b32 s4, exec_lo
	v_cmpx_lt_u32_e32 0xffffff, v24
	s_cbranch_execz .LBB351_1028
; %bb.1021:                             ;   in Loop: Header=BB351_995 Depth=1
	v_cmp_ne_u32_sdwa s19, v24, v71 src0_sel:BYTE_3 src1_sel:DWORD
	v_bfrev_b32_e32 v15, 1
	s_and_saveexec_b32 s18, s19
	s_cbranch_execz .LBB351_1027
; %bb.1022:                             ;   in Loop: Header=BB351_995 Depth=1
	v_bfe_u32 v16, v24, 24, 7
	v_mov_b32_e32 v15, 0x7f800001
	s_mov_b32 s19, exec_lo
	v_cmpx_ne_u32_e32 0x7f, v16
	s_cbranch_execz .LBB351_1026
; %bb.1023:                             ;   in Loop: Header=BB351_995 Depth=1
	v_mov_b32_e32 v13, 7
	v_lshrrev_b32_e32 v15, 3, v16
	s_mov_b32 s20, exec_lo
	v_and_b32_sdwa v13, v24, v13 dst_sel:DWORD dst_unused:UNUSED_PAD src0_sel:BYTE_3 src1_sel:DWORD
	v_mov_b32_e32 v27, v14
	v_mov_b32_e32 v26, v13
	v_cmpx_gt_u32_e32 8, v16
; %bb.1024:                             ;   in Loop: Header=BB351_995 Depth=1
	v_ffbh_u32_e32 v15, v13
	v_min_u32_e32 v15, 32, v15
	v_subrev_nc_u32_e32 v16, 28, v15
	v_sub_nc_u32_e32 v15, 29, v15
	v_lshlrev_b64 v[16:17], v16, v[13:14]
	v_and_b32_e32 v26, 7, v16
; %bb.1025:                             ;   in Loop: Header=BB351_995 Depth=1
	s_or_b32 exec_lo, exec_lo, s20
	v_mov_b32_e32 v13, 24
	v_lshlrev_b32_e32 v16, 20, v26
	v_lshl_add_u32 v15, v15, 23, 0x3c000000
	v_lshlrev_b32_sdwa v13, v13, v24 dst_sel:DWORD dst_unused:UNUSED_PAD src0_sel:DWORD src1_sel:BYTE_3
	v_and_b32_e32 v13, 0x80000000, v13
	v_or3_b32 v15, v16, v13, v15
.LBB351_1026:                           ;   in Loop: Header=BB351_995 Depth=1
	s_or_b32 exec_lo, exec_lo, s19
.LBB351_1027:                           ;   in Loop: Header=BB351_995 Depth=1
	s_or_b32 exec_lo, exec_lo, s18
.LBB351_1028:                           ;   in Loop: Header=BB351_995 Depth=1
	s_or_b32 exec_lo, exec_lo, s4
	v_mov_b32_e32 v13, v25
	v_cmp_ne_u16_sdwa s18, v25, v14 src0_sel:BYTE_0 src1_sel:DWORD
	v_mov_b32_e32 v17, 0
	v_mov_b32_e32 v16, 0
	s_and_saveexec_b32 s4, s18
	s_cbranch_execz .LBB351_1036
; %bb.1029:                             ;   in Loop: Header=BB351_995 Depth=1
	v_cmp_ne_u16_sdwa s19, v25, v71 src0_sel:BYTE_0 src1_sel:DWORD
	v_bfrev_b32_e32 v16, 1
	s_and_saveexec_b32 s18, s19
	s_cbranch_execz .LBB351_1035
; %bb.1030:                             ;   in Loop: Header=BB351_995 Depth=1
	v_and_b32_e32 v18, 0x7f, v25
	v_mov_b32_e32 v16, 0x7f800001
	s_mov_b32 s19, exec_lo
	v_cmpx_ne_u32_e32 0x7f, v18
	s_cbranch_execz .LBB351_1034
; %bb.1031:                             ;   in Loop: Header=BB351_995 Depth=1
	v_mov_b32_e32 v27, v14
	v_lshrrev_b32_e32 v16, 3, v18
	v_mov_b32_e32 v26, v13
	s_mov_b32 s20, exec_lo
	v_cmpx_gt_u32_e32 8, v18
; %bb.1032:                             ;   in Loop: Header=BB351_995 Depth=1
	v_and_b32_e32 v16, 7, v25
	v_ffbh_u32_e32 v16, v16
	v_min_u32_e32 v16, 32, v16
	v_subrev_nc_u32_e32 v18, 28, v16
	v_sub_nc_u32_e32 v16, 29, v16
	v_lshlrev_b64 v[26:27], v18, v[13:14]
; %bb.1033:                             ;   in Loop: Header=BB351_995 Depth=1
	s_or_b32 exec_lo, exec_lo, s20
	v_lshlrev_b32_e32 v18, 20, v26
	v_lshlrev_b32_e32 v21, 24, v13
	v_lshl_add_u32 v16, v16, 23, 0x3c000000
	v_and_b32_e32 v18, 0x700000, v18
	v_and_b32_e32 v21, 0x80000000, v21
	v_or3_b32 v16, v18, v21, v16
.LBB351_1034:                           ;   in Loop: Header=BB351_995 Depth=1
	s_or_b32 exec_lo, exec_lo, s19
.LBB351_1035:                           ;   in Loop: Header=BB351_995 Depth=1
	s_or_b32 exec_lo, exec_lo, s18
.LBB351_1036:                           ;   in Loop: Header=BB351_995 Depth=1
	s_or_b32 exec_lo, exec_lo, s4
	v_cmp_ne_u16_sdwa s18, v13, v14 src0_sel:BYTE_1 src1_sel:DWORD
	s_and_saveexec_b32 s4, s18
	s_cbranch_execz .LBB351_1044
; %bb.1037:                             ;   in Loop: Header=BB351_995 Depth=1
	v_cmp_ne_u16_sdwa s19, v13, v71 src0_sel:BYTE_1 src1_sel:DWORD
	v_bfrev_b32_e32 v17, 1
	s_and_saveexec_b32 s18, s19
	s_cbranch_execz .LBB351_1043
; %bb.1038:                             ;   in Loop: Header=BB351_995 Depth=1
	v_mov_b32_e32 v17, 0xffff
	s_mov_b32 s19, exec_lo
	v_and_b32_sdwa v21, v17, v13 dst_sel:DWORD dst_unused:UNUSED_PAD src0_sel:DWORD src1_sel:BYTE_1
	v_mov_b32_e32 v17, 0x7f800001
	v_and_b32_e32 v18, 0x7f, v21
	v_cmpx_ne_u32_e32 0x7f, v18
	s_cbranch_execz .LBB351_1042
; %bb.1039:                             ;   in Loop: Header=BB351_995 Depth=1
	v_and_b32_e32 v26, 7, v21
	v_mov_b32_e32 v27, v14
	v_lshrrev_b32_e32 v17, 3, v18
	s_mov_b32 s20, exec_lo
	v_cmpx_gt_u32_e32 8, v18
; %bb.1040:                             ;   in Loop: Header=BB351_995 Depth=1
	v_ffbh_u32_e32 v17, v26
	v_min_u32_e32 v17, 32, v17
	v_subrev_nc_u32_e32 v18, 28, v17
	v_sub_nc_u32_e32 v17, 29, v17
	v_lshlrev_b64 v[21:22], v18, v[26:27]
	v_and_b32_e32 v26, 7, v21
; %bb.1041:                             ;   in Loop: Header=BB351_995 Depth=1
	s_or_b32 exec_lo, exec_lo, s20
	v_lshlrev_b32_e32 v13, 16, v13
	v_lshlrev_b32_e32 v18, 20, v26
	v_lshl_add_u32 v17, v17, 23, 0x3c000000
	v_and_b32_e32 v13, 0x80000000, v13
	v_or3_b32 v17, v18, v13, v17
.LBB351_1042:                           ;   in Loop: Header=BB351_995 Depth=1
	s_or_b32 exec_lo, exec_lo, s19
.LBB351_1043:                           ;   in Loop: Header=BB351_995 Depth=1
	s_or_b32 exec_lo, exec_lo, s18
.LBB351_1044:                           ;   in Loop: Header=BB351_995 Depth=1
	s_or_b32 exec_lo, exec_lo, s4
	v_and_b32_sdwa v13, v25, v81 dst_sel:DWORD dst_unused:UNUSED_PAD src0_sel:WORD_1 src1_sel:DWORD
	v_mov_b32_e32 v18, 0
	v_mov_b32_e32 v21, 0
	s_mov_b32 s4, exec_lo
	v_cmpx_ne_u16_e32 0, v13
	s_cbranch_execz .LBB351_1052
; %bb.1045:                             ;   in Loop: Header=BB351_995 Depth=1
	v_bfrev_b32_e32 v21, 1
	s_mov_b32 s18, exec_lo
	v_cmpx_ne_u16_e32 0x80, v13
	s_cbranch_execz .LBB351_1051
; %bb.1046:                             ;   in Loop: Header=BB351_995 Depth=1
	v_bfe_u32 v22, v25, 16, 7
	v_mov_b32_e32 v21, 0x7f800001
	s_mov_b32 s19, exec_lo
	v_cmpx_ne_u32_e32 0x7f, v22
	s_cbranch_execz .LBB351_1050
; %bb.1047:                             ;   in Loop: Header=BB351_995 Depth=1
	v_mov_b32_e32 v13, 7
	v_lshrrev_b32_e32 v21, 3, v22
	s_mov_b32 s20, exec_lo
	v_and_b32_sdwa v13, v25, v13 dst_sel:DWORD dst_unused:UNUSED_PAD src0_sel:WORD_1 src1_sel:DWORD
	v_mov_b32_e32 v27, v14
	v_mov_b32_e32 v26, v13
	v_cmpx_gt_u32_e32 8, v22
; %bb.1048:                             ;   in Loop: Header=BB351_995 Depth=1
	v_ffbh_u32_e32 v21, v13
	v_min_u32_e32 v21, 32, v21
	v_subrev_nc_u32_e32 v22, 28, v21
	v_sub_nc_u32_e32 v21, 29, v21
	v_lshlrev_b64 v[22:23], v22, v[13:14]
	v_and_b32_e32 v26, 7, v22
; %bb.1049:                             ;   in Loop: Header=BB351_995 Depth=1
	s_or_b32 exec_lo, exec_lo, s20
	v_mov_b32_e32 v13, 24
	v_lshlrev_b32_e32 v22, 20, v26
	v_lshl_add_u32 v21, v21, 23, 0x3c000000
	v_lshlrev_b32_sdwa v13, v13, v25 dst_sel:DWORD dst_unused:UNUSED_PAD src0_sel:DWORD src1_sel:WORD_1
	v_and_b32_e32 v13, 0x80000000, v13
	v_or3_b32 v21, v22, v13, v21
.LBB351_1050:                           ;   in Loop: Header=BB351_995 Depth=1
	s_or_b32 exec_lo, exec_lo, s19
.LBB351_1051:                           ;   in Loop: Header=BB351_995 Depth=1
	s_or_b32 exec_lo, exec_lo, s18
.LBB351_1052:                           ;   in Loop: Header=BB351_995 Depth=1
	s_or_b32 exec_lo, exec_lo, s4
	s_mov_b32 s4, exec_lo
	v_cmpx_lt_u64_e64 s[6:7], v[24:25]
	s_cbranch_execz .LBB351_1060
; %bb.1053:                             ;   in Loop: Header=BB351_995 Depth=1
	v_cmp_ne_u32_sdwa s19, v25, v71 src0_sel:BYTE_3 src1_sel:DWORD
	v_bfrev_b32_e32 v18, 1
	s_and_saveexec_b32 s18, s19
	s_cbranch_execz .LBB351_1059
; %bb.1054:                             ;   in Loop: Header=BB351_995 Depth=1
	v_bfe_u32 v22, v25, 24, 7
	v_mov_b32_e32 v18, 0x7f800001
	s_mov_b32 s19, exec_lo
	v_cmpx_ne_u32_e32 0x7f, v22
	s_cbranch_execz .LBB351_1058
; %bb.1055:                             ;   in Loop: Header=BB351_995 Depth=1
	v_mov_b32_e32 v13, 7
	v_lshrrev_b32_e32 v18, 3, v22
	s_mov_b32 s20, exec_lo
	v_and_b32_sdwa v13, v25, v13 dst_sel:DWORD dst_unused:UNUSED_PAD src0_sel:BYTE_3 src1_sel:DWORD
	v_mov_b32_e32 v27, v14
	v_mov_b32_e32 v26, v13
	v_cmpx_gt_u32_e32 8, v22
; %bb.1056:                             ;   in Loop: Header=BB351_995 Depth=1
	v_ffbh_u32_e32 v18, v13
	v_min_u32_e32 v18, 32, v18
	v_subrev_nc_u32_e32 v22, 28, v18
	v_sub_nc_u32_e32 v18, 29, v18
	v_lshlrev_b64 v[22:23], v22, v[13:14]
	v_and_b32_e32 v26, 7, v22
; %bb.1057:                             ;   in Loop: Header=BB351_995 Depth=1
	s_or_b32 exec_lo, exec_lo, s20
	v_mov_b32_e32 v13, 24
	v_lshlrev_b32_e32 v22, 20, v26
	v_lshl_add_u32 v18, v18, 23, 0x3c000000
	v_lshlrev_b32_sdwa v13, v13, v25 dst_sel:DWORD dst_unused:UNUSED_PAD src0_sel:DWORD src1_sel:BYTE_3
	v_and_b32_e32 v13, 0x80000000, v13
	v_or3_b32 v18, v22, v13, v18
.LBB351_1058:                           ;   in Loop: Header=BB351_995 Depth=1
	s_or_b32 exec_lo, exec_lo, s19
.LBB351_1059:                           ;   in Loop: Header=BB351_995 Depth=1
	s_or_b32 exec_lo, exec_lo, s18
.LBB351_1060:                           ;   in Loop: Header=BB351_995 Depth=1
	s_or_b32 exec_lo, exec_lo, s4
	s_clause 0x1
	buffer_load_dword v13, off, s[0:3], s32 offset:192
	buffer_load_dword v22, off, s[0:3], s32 offset:412
	s_waitcnt vmcnt(2) lgkmcnt(2)
	v_mul_f32_e32 v17, v60, v17
	v_mul_f32_e32 v16, v60, v16
	v_mul_f32_e32 v15, v60, v15
	v_mul_f32_e32 v12, v60, v12
	v_mul_f32_e32 v1, v60, v1
	v_cmp_u_f32_e64 s4, v17, v17
	v_bfe_u32 v23, v16, 16, 1
	v_or_b32_e32 v24, 0x400000, v16
	v_bfe_u32 v25, v15, 16, 1
	v_or_b32_e32 v26, 0x400000, v15
	v_mul_f32_e32 v0, v60, v0
	v_add3_u32 v23, v23, v16, 0x7fff
	s_waitcnt vmcnt(1)
	v_add_nc_u32_e32 v13, -1, v13
	s_waitcnt vmcnt(0)
	v_add_nc_u32_e32 v73, v22, v57
	v_or_b32_e32 v22, 0x400000, v17
	v_cmp_eq_u32_e32 vcc_lo, v13, v87
	v_bfe_u32 v13, v17, 16, 1
	v_add_nc_u32_e32 v88, 1, v73
	v_add_nc_u32_e32 v79, 2, v73
	;; [unrolled: 1-line block ×4, first 2 shown]
	v_add3_u32 v13, v13, v17, 0x7fff
	v_bfe_u32 v17, v12, 16, 1
	v_add_nc_u32_e32 v76, 5, v73
	v_add_nc_u32_e32 v75, 6, v73
	;; [unrolled: 1-line block ×3, first 2 shown]
	v_cndmask_b32_e64 v13, v13, v22, s4
	v_cmp_u_f32_e64 s4, v16, v16
	v_add3_u32 v22, v25, v15, 0x7fff
	v_lshrrev_b32_e32 v13, 16, v13
	v_cndmask_b32_e64 v16, v23, v24, s4
	v_cmp_u_f32_e64 s4, v15, v15
	v_add3_u32 v15, v17, v12, 0x7fff
	v_or_b32_e32 v17, 0x400000, v12
	buffer_store_dword v13, off, s[0:3], s32 offset:232 ; 4-byte Folded Spill
	v_lshrrev_b32_e32 v16, 16, v16
	v_cndmask_b32_e64 v13, v22, v26, s4
	v_cmp_u_f32_e64 s4, v12, v12
	buffer_store_dword v16, off, s[0:3], s32 offset:224 ; 4-byte Folded Spill
	v_lshrrev_b32_e32 v13, 16, v13
	v_cndmask_b32_e64 v12, v15, v17, s4
	v_mul_f32_e32 v15, v60, v21
	v_or_b32_e32 v16, 0x400000, v1
	v_mul_f32_e32 v17, v60, v18
	buffer_store_dword v13, off, s[0:3], s32 offset:240 ; 4-byte Folded Spill
	v_bfe_u32 v13, v1, 16, 1
	v_bfe_u32 v18, v0, 16, 1
	v_cmp_u_f32_e64 s4, v1, v1
	v_bfe_u32 v21, v15, 16, 1
	v_or_b32_e32 v22, 0x400000, v15
	v_add3_u32 v13, v13, v1, 0x7fff
	v_or_b32_e32 v23, 0x400000, v17
	v_lshrrev_b32_e32 v12, 16, v12
	v_add3_u32 v21, v21, v15, 0x7fff
	v_cndmask_b32_e64 v1, v13, v16, s4
	v_add3_u32 v16, v18, v0, 0x7fff
	v_or_b32_e32 v18, 0x400000, v0
	v_cmp_u_f32_e64 s4, v0, v0
	v_bfe_u32 v13, v17, 16, 1
	v_lshrrev_b32_e32 v1, 16, v1
	buffer_store_dword v12, off, s[0:3], s32 offset:236 ; 4-byte Folded Spill
	v_cndmask_b32_e64 v0, v16, v18, s4
	v_cmp_u_f32_e64 s4, v15, v15
	v_add3_u32 v13, v13, v17, 0x7fff
	buffer_store_dword v1, off, s[0:3], s32 offset:248 ; 4-byte Folded Spill
	v_lshrrev_b32_e32 v0, 16, v0
	v_cndmask_b32_e64 v15, v21, v22, s4
	v_cmp_u_f32_e64 s4, v17, v17
	buffer_store_dword v0, off, s[0:3], s32 offset:244 ; 4-byte Folded Spill
	v_lshrrev_b32_e32 v0, 16, v15
	v_cndmask_b32_e64 v13, v13, v23, s4
	buffer_store_dword v0, off, s[0:3], s32 offset:220 ; 4-byte Folded Spill
	v_lshrrev_b32_e32 v0, 16, v13
	buffer_store_dword v0, off, s[0:3], s32 offset:228 ; 4-byte Folded Spill
	s_and_saveexec_b32 s18, vcc_lo
	s_cbranch_execz .LBB351_1062
; %bb.1061:                             ;   in Loop: Header=BB351_995 Depth=1
	buffer_load_dword v0, off, s[0:3], s32 offset:244 ; 4-byte Folded Reload
	v_cmp_lt_i32_e64 s4, v73, v32
	s_waitcnt vmcnt(0)
	v_cndmask_b32_e64 v0, 0, v0, s4
	v_cmp_lt_i32_e64 s4, v88, v32
	buffer_store_dword v0, off, s[0:3], s32 offset:244 ; 4-byte Folded Spill
	buffer_load_dword v0, off, s[0:3], s32 offset:248 ; 4-byte Folded Reload
	s_waitcnt vmcnt(0)
	v_cndmask_b32_e64 v0, 0, v0, s4
	v_cmp_lt_i32_e64 s4, v79, v32
	buffer_store_dword v0, off, s[0:3], s32 offset:248 ; 4-byte Folded Spill
	buffer_load_dword v0, off, s[0:3], s32 offset:236 ; 4-byte Folded Reload
	;; [unrolled: 5-line block ×7, first 2 shown]
	s_waitcnt vmcnt(0)
	v_cndmask_b32_e64 v0, 0, v0, s4
	buffer_store_dword v0, off, s[0:3], s32 offset:228 ; 4-byte Folded Spill
.LBB351_1062:                           ;   in Loop: Header=BB351_995 Depth=1
	s_or_b32 exec_lo, exec_lo, s18
	flat_load_dwordx2 v[24:25], v[19:20] offset:256
	v_mov_b32_e32 v1, 0
	v_mov_b32_e32 v0, 0
	s_waitcnt vmcnt(0) lgkmcnt(0)
	v_cmp_ne_u16_sdwa s4, v24, v14 src0_sel:BYTE_0 src1_sel:DWORD
	s_and_saveexec_b32 s18, s4
	s_cbranch_execz .LBB351_1070
; %bb.1063:                             ;   in Loop: Header=BB351_995 Depth=1
	v_cmp_ne_u16_sdwa s4, v24, v71 src0_sel:BYTE_0 src1_sel:DWORD
	v_bfrev_b32_e32 v0, 1
	s_and_saveexec_b32 s19, s4
	s_cbranch_execz .LBB351_1069
; %bb.1064:                             ;   in Loop: Header=BB351_995 Depth=1
	v_and_b32_e32 v12, 0x7f, v24
	v_mov_b32_e32 v0, 0x7f800001
	s_mov_b32 s20, exec_lo
	v_cmpx_ne_u32_e32 0x7f, v12
	s_cbranch_execz .LBB351_1068
; %bb.1065:                             ;   in Loop: Header=BB351_995 Depth=1
	v_mov_b32_e32 v27, v25
	v_lshrrev_b32_e32 v0, 3, v12
	v_mov_b32_e32 v26, v24
	s_mov_b32 s21, exec_lo
	v_cmpx_gt_u32_e32 8, v12
; %bb.1066:                             ;   in Loop: Header=BB351_995 Depth=1
	v_and_b32_e32 v0, 7, v24
	v_ffbh_u32_e32 v0, v0
	v_min_u32_e32 v0, 32, v0
	v_subrev_nc_u32_e32 v12, 28, v0
	v_sub_nc_u32_e32 v0, 29, v0
	v_lshlrev_b64 v[26:27], v12, v[24:25]
; %bb.1067:                             ;   in Loop: Header=BB351_995 Depth=1
	s_or_b32 exec_lo, exec_lo, s21
	v_lshlrev_b32_e32 v12, 20, v26
	v_lshlrev_b32_e32 v13, 24, v24
	v_lshl_add_u32 v0, v0, 23, 0x3c000000
	v_and_b32_e32 v12, 0x700000, v12
	v_and_b32_e32 v13, 0x80000000, v13
	v_or3_b32 v0, v12, v13, v0
.LBB351_1068:                           ;   in Loop: Header=BB351_995 Depth=1
	s_or_b32 exec_lo, exec_lo, s20
.LBB351_1069:                           ;   in Loop: Header=BB351_995 Depth=1
	s_or_b32 exec_lo, exec_lo, s19
.LBB351_1070:                           ;   in Loop: Header=BB351_995 Depth=1
	s_or_b32 exec_lo, exec_lo, s18
	v_cmp_ne_u16_sdwa s4, v24, v14 src0_sel:BYTE_1 src1_sel:DWORD
	s_and_saveexec_b32 s18, s4
	s_cbranch_execz .LBB351_1078
; %bb.1071:                             ;   in Loop: Header=BB351_995 Depth=1
	v_cmp_ne_u16_sdwa s4, v24, v71 src0_sel:BYTE_1 src1_sel:DWORD
	v_bfrev_b32_e32 v1, 1
	s_and_saveexec_b32 s19, s4
	s_cbranch_execz .LBB351_1077
; %bb.1072:                             ;   in Loop: Header=BB351_995 Depth=1
	v_mov_b32_e32 v1, 0xffff
	s_mov_b32 s20, exec_lo
	v_and_b32_sdwa v13, v1, v24 dst_sel:DWORD dst_unused:UNUSED_PAD src0_sel:DWORD src1_sel:BYTE_1
	v_mov_b32_e32 v1, 0x7f800001
	v_and_b32_e32 v12, 0x7f, v13
	v_cmpx_ne_u32_e32 0x7f, v12
	s_cbranch_execz .LBB351_1076
; %bb.1073:                             ;   in Loop: Header=BB351_995 Depth=1
	v_and_b32_e32 v13, 7, v13
	v_mov_b32_e32 v27, v14
	v_lshrrev_b32_e32 v1, 3, v12
	s_mov_b32 s21, exec_lo
	v_mov_b32_e32 v26, v13
	v_cmpx_gt_u32_e32 8, v12
; %bb.1074:                             ;   in Loop: Header=BB351_995 Depth=1
	v_ffbh_u32_e32 v1, v13
	v_min_u32_e32 v1, 32, v1
	v_subrev_nc_u32_e32 v12, 28, v1
	v_sub_nc_u32_e32 v1, 29, v1
	v_lshlrev_b64 v[12:13], v12, v[13:14]
	v_and_b32_e32 v26, 7, v12
; %bb.1075:                             ;   in Loop: Header=BB351_995 Depth=1
	s_or_b32 exec_lo, exec_lo, s21
	v_lshlrev_b32_e32 v12, 16, v24
	v_lshlrev_b32_e32 v13, 20, v26
	v_lshl_add_u32 v1, v1, 23, 0x3c000000
	v_and_b32_e32 v12, 0x80000000, v12
	v_or3_b32 v1, v13, v12, v1
.LBB351_1076:                           ;   in Loop: Header=BB351_995 Depth=1
	s_or_b32 exec_lo, exec_lo, s20
.LBB351_1077:                           ;   in Loop: Header=BB351_995 Depth=1
	s_or_b32 exec_lo, exec_lo, s19
.LBB351_1078:                           ;   in Loop: Header=BB351_995 Depth=1
	s_or_b32 exec_lo, exec_lo, s18
	v_and_b32_sdwa v13, v24, v81 dst_sel:DWORD dst_unused:UNUSED_PAD src0_sel:WORD_1 src1_sel:DWORD
	v_mov_b32_e32 v15, 0
	v_mov_b32_e32 v12, 0
	s_mov_b32 s18, exec_lo
	v_cmpx_ne_u16_e32 0, v13
	s_cbranch_execz .LBB351_1086
; %bb.1079:                             ;   in Loop: Header=BB351_995 Depth=1
	v_bfrev_b32_e32 v12, 1
	s_mov_b32 s19, exec_lo
	v_cmpx_ne_u16_e32 0x80, v13
	s_cbranch_execz .LBB351_1085
; %bb.1080:                             ;   in Loop: Header=BB351_995 Depth=1
	v_bfe_u32 v16, v24, 16, 7
	v_mov_b32_e32 v12, 0x7f800001
	s_mov_b32 s20, exec_lo
	v_cmpx_ne_u32_e32 0x7f, v16
	s_cbranch_execz .LBB351_1084
; %bb.1081:                             ;   in Loop: Header=BB351_995 Depth=1
	v_mov_b32_e32 v12, 7
	s_mov_b32 s21, exec_lo
	v_and_b32_sdwa v13, v24, v12 dst_sel:DWORD dst_unused:UNUSED_PAD src0_sel:WORD_1 src1_sel:DWORD
	v_mov_b32_e32 v27, v14
	v_lshrrev_b32_e32 v12, 3, v16
	v_mov_b32_e32 v26, v13
	v_cmpx_gt_u32_e32 8, v16
; %bb.1082:                             ;   in Loop: Header=BB351_995 Depth=1
	v_ffbh_u32_e32 v12, v13
	v_min_u32_e32 v12, 32, v12
	v_subrev_nc_u32_e32 v16, 28, v12
	v_sub_nc_u32_e32 v12, 29, v12
	v_lshlrev_b64 v[16:17], v16, v[13:14]
	v_and_b32_e32 v26, 7, v16
; %bb.1083:                             ;   in Loop: Header=BB351_995 Depth=1
	s_or_b32 exec_lo, exec_lo, s21
	v_mov_b32_e32 v13, 24
	v_lshlrev_b32_e32 v16, 20, v26
	v_lshl_add_u32 v12, v12, 23, 0x3c000000
	v_lshlrev_b32_sdwa v13, v13, v24 dst_sel:DWORD dst_unused:UNUSED_PAD src0_sel:DWORD src1_sel:WORD_1
	v_and_b32_e32 v13, 0x80000000, v13
	v_or3_b32 v12, v16, v13, v12
.LBB351_1084:                           ;   in Loop: Header=BB351_995 Depth=1
	s_or_b32 exec_lo, exec_lo, s20
.LBB351_1085:                           ;   in Loop: Header=BB351_995 Depth=1
	s_or_b32 exec_lo, exec_lo, s19
.LBB351_1086:                           ;   in Loop: Header=BB351_995 Depth=1
	s_or_b32 exec_lo, exec_lo, s18
	s_mov_b32 s18, exec_lo
	v_cmpx_lt_u32_e32 0xffffff, v24
	s_cbranch_execz .LBB351_1094
; %bb.1087:                             ;   in Loop: Header=BB351_995 Depth=1
	v_cmp_ne_u32_sdwa s4, v24, v71 src0_sel:BYTE_3 src1_sel:DWORD
	v_bfrev_b32_e32 v15, 1
	s_and_saveexec_b32 s19, s4
	s_cbranch_execz .LBB351_1093
; %bb.1088:                             ;   in Loop: Header=BB351_995 Depth=1
	v_bfe_u32 v16, v24, 24, 7
	v_mov_b32_e32 v15, 0x7f800001
	s_mov_b32 s20, exec_lo
	v_cmpx_ne_u32_e32 0x7f, v16
	s_cbranch_execz .LBB351_1092
; %bb.1089:                             ;   in Loop: Header=BB351_995 Depth=1
	v_mov_b32_e32 v13, 7
	v_lshrrev_b32_e32 v15, 3, v16
	s_mov_b32 s21, exec_lo
	v_and_b32_sdwa v13, v24, v13 dst_sel:DWORD dst_unused:UNUSED_PAD src0_sel:BYTE_3 src1_sel:DWORD
	v_mov_b32_e32 v27, v14
	v_mov_b32_e32 v26, v13
	v_cmpx_gt_u32_e32 8, v16
; %bb.1090:                             ;   in Loop: Header=BB351_995 Depth=1
	v_ffbh_u32_e32 v15, v13
	v_min_u32_e32 v15, 32, v15
	v_subrev_nc_u32_e32 v16, 28, v15
	v_sub_nc_u32_e32 v15, 29, v15
	v_lshlrev_b64 v[16:17], v16, v[13:14]
	v_and_b32_e32 v26, 7, v16
; %bb.1091:                             ;   in Loop: Header=BB351_995 Depth=1
	s_or_b32 exec_lo, exec_lo, s21
	v_mov_b32_e32 v13, 24
	v_lshlrev_b32_e32 v16, 20, v26
	v_lshl_add_u32 v15, v15, 23, 0x3c000000
	v_lshlrev_b32_sdwa v13, v13, v24 dst_sel:DWORD dst_unused:UNUSED_PAD src0_sel:DWORD src1_sel:BYTE_3
	v_and_b32_e32 v13, 0x80000000, v13
	v_or3_b32 v15, v16, v13, v15
.LBB351_1092:                           ;   in Loop: Header=BB351_995 Depth=1
	s_or_b32 exec_lo, exec_lo, s20
.LBB351_1093:                           ;   in Loop: Header=BB351_995 Depth=1
	s_or_b32 exec_lo, exec_lo, s19
.LBB351_1094:                           ;   in Loop: Header=BB351_995 Depth=1
	s_or_b32 exec_lo, exec_lo, s18
	v_mov_b32_e32 v13, v25
	v_cmp_ne_u16_sdwa s4, v25, v14 src0_sel:BYTE_0 src1_sel:DWORD
	v_mov_b32_e32 v17, 0
	v_mov_b32_e32 v16, 0
	s_and_saveexec_b32 s18, s4
	s_cbranch_execz .LBB351_1102
; %bb.1095:                             ;   in Loop: Header=BB351_995 Depth=1
	v_cmp_ne_u16_sdwa s4, v25, v71 src0_sel:BYTE_0 src1_sel:DWORD
	v_bfrev_b32_e32 v16, 1
	s_and_saveexec_b32 s19, s4
	s_cbranch_execz .LBB351_1101
; %bb.1096:                             ;   in Loop: Header=BB351_995 Depth=1
	v_and_b32_e32 v18, 0x7f, v25
	v_mov_b32_e32 v16, 0x7f800001
	s_mov_b32 s20, exec_lo
	v_cmpx_ne_u32_e32 0x7f, v18
	s_cbranch_execz .LBB351_1100
; %bb.1097:                             ;   in Loop: Header=BB351_995 Depth=1
	v_mov_b32_e32 v27, v14
	v_lshrrev_b32_e32 v16, 3, v18
	v_mov_b32_e32 v26, v13
	s_mov_b32 s21, exec_lo
	v_cmpx_gt_u32_e32 8, v18
; %bb.1098:                             ;   in Loop: Header=BB351_995 Depth=1
	v_and_b32_e32 v16, 7, v25
	v_ffbh_u32_e32 v16, v16
	v_min_u32_e32 v16, 32, v16
	v_subrev_nc_u32_e32 v18, 28, v16
	v_sub_nc_u32_e32 v16, 29, v16
	v_lshlrev_b64 v[26:27], v18, v[13:14]
; %bb.1099:                             ;   in Loop: Header=BB351_995 Depth=1
	s_or_b32 exec_lo, exec_lo, s21
	v_lshlrev_b32_e32 v18, 20, v26
	v_lshlrev_b32_e32 v21, 24, v13
	v_lshl_add_u32 v16, v16, 23, 0x3c000000
	v_and_b32_e32 v18, 0x700000, v18
	v_and_b32_e32 v21, 0x80000000, v21
	v_or3_b32 v16, v18, v21, v16
.LBB351_1100:                           ;   in Loop: Header=BB351_995 Depth=1
	s_or_b32 exec_lo, exec_lo, s20
.LBB351_1101:                           ;   in Loop: Header=BB351_995 Depth=1
	s_or_b32 exec_lo, exec_lo, s19
.LBB351_1102:                           ;   in Loop: Header=BB351_995 Depth=1
	s_or_b32 exec_lo, exec_lo, s18
	v_cmp_ne_u16_sdwa s4, v13, v14 src0_sel:BYTE_1 src1_sel:DWORD
	s_and_saveexec_b32 s18, s4
	s_cbranch_execz .LBB351_1110
; %bb.1103:                             ;   in Loop: Header=BB351_995 Depth=1
	v_cmp_ne_u16_sdwa s4, v13, v71 src0_sel:BYTE_1 src1_sel:DWORD
	v_bfrev_b32_e32 v17, 1
	s_and_saveexec_b32 s19, s4
	s_cbranch_execz .LBB351_1109
; %bb.1104:                             ;   in Loop: Header=BB351_995 Depth=1
	v_mov_b32_e32 v17, 0xffff
	s_mov_b32 s20, exec_lo
	v_and_b32_sdwa v21, v17, v13 dst_sel:DWORD dst_unused:UNUSED_PAD src0_sel:DWORD src1_sel:BYTE_1
	v_mov_b32_e32 v17, 0x7f800001
	v_and_b32_e32 v18, 0x7f, v21
	v_cmpx_ne_u32_e32 0x7f, v18
	s_cbranch_execz .LBB351_1108
; %bb.1105:                             ;   in Loop: Header=BB351_995 Depth=1
	v_and_b32_e32 v26, 7, v21
	v_mov_b32_e32 v27, v14
	v_lshrrev_b32_e32 v17, 3, v18
	s_mov_b32 s21, exec_lo
	v_cmpx_gt_u32_e32 8, v18
; %bb.1106:                             ;   in Loop: Header=BB351_995 Depth=1
	v_ffbh_u32_e32 v17, v26
	v_min_u32_e32 v17, 32, v17
	v_subrev_nc_u32_e32 v18, 28, v17
	v_sub_nc_u32_e32 v17, 29, v17
	v_lshlrev_b64 v[21:22], v18, v[26:27]
	v_and_b32_e32 v26, 7, v21
; %bb.1107:                             ;   in Loop: Header=BB351_995 Depth=1
	s_or_b32 exec_lo, exec_lo, s21
	v_lshlrev_b32_e32 v13, 16, v13
	v_lshlrev_b32_e32 v18, 20, v26
	v_lshl_add_u32 v17, v17, 23, 0x3c000000
	v_and_b32_e32 v13, 0x80000000, v13
	v_or3_b32 v17, v18, v13, v17
.LBB351_1108:                           ;   in Loop: Header=BB351_995 Depth=1
	s_or_b32 exec_lo, exec_lo, s20
.LBB351_1109:                           ;   in Loop: Header=BB351_995 Depth=1
	s_or_b32 exec_lo, exec_lo, s19
.LBB351_1110:                           ;   in Loop: Header=BB351_995 Depth=1
	s_or_b32 exec_lo, exec_lo, s18
	v_and_b32_sdwa v13, v25, v81 dst_sel:DWORD dst_unused:UNUSED_PAD src0_sel:WORD_1 src1_sel:DWORD
	v_mov_b32_e32 v18, 0
	v_mov_b32_e32 v21, 0
	s_mov_b32 s18, exec_lo
	v_cmpx_ne_u16_e32 0, v13
	s_cbranch_execz .LBB351_1118
; %bb.1111:                             ;   in Loop: Header=BB351_995 Depth=1
	v_bfrev_b32_e32 v21, 1
	s_mov_b32 s19, exec_lo
	v_cmpx_ne_u16_e32 0x80, v13
	s_cbranch_execz .LBB351_1117
; %bb.1112:                             ;   in Loop: Header=BB351_995 Depth=1
	v_bfe_u32 v22, v25, 16, 7
	v_mov_b32_e32 v21, 0x7f800001
	s_mov_b32 s20, exec_lo
	v_cmpx_ne_u32_e32 0x7f, v22
	s_cbranch_execz .LBB351_1116
; %bb.1113:                             ;   in Loop: Header=BB351_995 Depth=1
	v_mov_b32_e32 v13, 7
	v_lshrrev_b32_e32 v21, 3, v22
	s_mov_b32 s21, exec_lo
	v_and_b32_sdwa v13, v25, v13 dst_sel:DWORD dst_unused:UNUSED_PAD src0_sel:WORD_1 src1_sel:DWORD
	v_mov_b32_e32 v27, v14
	v_mov_b32_e32 v26, v13
	v_cmpx_gt_u32_e32 8, v22
; %bb.1114:                             ;   in Loop: Header=BB351_995 Depth=1
	v_ffbh_u32_e32 v21, v13
	v_min_u32_e32 v21, 32, v21
	v_subrev_nc_u32_e32 v22, 28, v21
	v_sub_nc_u32_e32 v21, 29, v21
	v_lshlrev_b64 v[22:23], v22, v[13:14]
	v_and_b32_e32 v26, 7, v22
; %bb.1115:                             ;   in Loop: Header=BB351_995 Depth=1
	s_or_b32 exec_lo, exec_lo, s21
	v_mov_b32_e32 v13, 24
	v_lshlrev_b32_e32 v22, 20, v26
	v_lshl_add_u32 v21, v21, 23, 0x3c000000
	v_lshlrev_b32_sdwa v13, v13, v25 dst_sel:DWORD dst_unused:UNUSED_PAD src0_sel:DWORD src1_sel:WORD_1
	v_and_b32_e32 v13, 0x80000000, v13
	v_or3_b32 v21, v22, v13, v21
.LBB351_1116:                           ;   in Loop: Header=BB351_995 Depth=1
	s_or_b32 exec_lo, exec_lo, s20
.LBB351_1117:                           ;   in Loop: Header=BB351_995 Depth=1
	s_or_b32 exec_lo, exec_lo, s19
.LBB351_1118:                           ;   in Loop: Header=BB351_995 Depth=1
	s_or_b32 exec_lo, exec_lo, s18
	s_mov_b32 s18, exec_lo
	v_cmpx_lt_u64_e64 s[6:7], v[24:25]
	s_cbranch_execz .LBB351_1126
; %bb.1119:                             ;   in Loop: Header=BB351_995 Depth=1
	v_cmp_ne_u32_sdwa s4, v25, v71 src0_sel:BYTE_3 src1_sel:DWORD
	v_bfrev_b32_e32 v18, 1
	s_and_saveexec_b32 s19, s4
	s_cbranch_execz .LBB351_1125
; %bb.1120:                             ;   in Loop: Header=BB351_995 Depth=1
	v_bfe_u32 v22, v25, 24, 7
	v_mov_b32_e32 v18, 0x7f800001
	s_mov_b32 s20, exec_lo
	v_cmpx_ne_u32_e32 0x7f, v22
	s_cbranch_execz .LBB351_1124
; %bb.1121:                             ;   in Loop: Header=BB351_995 Depth=1
	v_mov_b32_e32 v13, 7
	v_lshrrev_b32_e32 v18, 3, v22
	s_mov_b32 s21, exec_lo
	v_and_b32_sdwa v13, v25, v13 dst_sel:DWORD dst_unused:UNUSED_PAD src0_sel:BYTE_3 src1_sel:DWORD
	v_mov_b32_e32 v27, v14
	v_mov_b32_e32 v26, v13
	v_cmpx_gt_u32_e32 8, v22
; %bb.1122:                             ;   in Loop: Header=BB351_995 Depth=1
	v_ffbh_u32_e32 v18, v13
	v_min_u32_e32 v18, 32, v18
	v_subrev_nc_u32_e32 v22, 28, v18
	v_sub_nc_u32_e32 v18, 29, v18
	v_lshlrev_b64 v[22:23], v22, v[13:14]
	v_and_b32_e32 v26, 7, v22
; %bb.1123:                             ;   in Loop: Header=BB351_995 Depth=1
	s_or_b32 exec_lo, exec_lo, s21
	v_mov_b32_e32 v13, 24
	v_lshlrev_b32_e32 v22, 20, v26
	v_lshl_add_u32 v18, v18, 23, 0x3c000000
	v_lshlrev_b32_sdwa v13, v13, v25 dst_sel:DWORD dst_unused:UNUSED_PAD src0_sel:DWORD src1_sel:BYTE_3
	v_and_b32_e32 v13, 0x80000000, v13
	v_or3_b32 v18, v22, v13, v18
.LBB351_1124:                           ;   in Loop: Header=BB351_995 Depth=1
	s_or_b32 exec_lo, exec_lo, s20
.LBB351_1125:                           ;   in Loop: Header=BB351_995 Depth=1
	s_or_b32 exec_lo, exec_lo, s19
.LBB351_1126:                           ;   in Loop: Header=BB351_995 Depth=1
	s_or_b32 exec_lo, exec_lo, s18
	v_mul_f32_e32 v13, v60, v17
	v_mul_f32_e32 v16, v60, v16
	;; [unrolled: 1-line block ×5, first 2 shown]
	v_bfe_u32 v17, v13, 16, 1
	v_or_b32_e32 v22, 0x400000, v13
	v_bfe_u32 v23, v16, 16, 1
	v_cmp_u_f32_e64 s4, v13, v13
	v_or_b32_e32 v24, 0x400000, v16
	v_add3_u32 v17, v17, v13, 0x7fff
	v_bfe_u32 v25, v15, 16, 1
	v_add3_u32 v23, v23, v16, 0x7fff
	v_or_b32_e32 v26, 0x400000, v15
	v_bfe_u32 v27, v12, 16, 1
	v_cndmask_b32_e64 v13, v17, v22, s4
	v_cmp_u_f32_e64 s4, v16, v16
	v_add3_u32 v25, v25, v15, 0x7fff
	v_or_b32_e32 v17, 0x400000, v12
	v_mul_f32_e32 v0, v60, v0
	v_lshrrev_b32_e32 v13, 16, v13
	v_cndmask_b32_e64 v16, v23, v24, s4
	v_cmp_u_f32_e64 s4, v15, v15
	buffer_store_dword v13, off, s[0:3], s32 offset:264 ; 4-byte Folded Spill
	v_add3_u32 v13, v27, v12, 0x7fff
	v_cndmask_b32_e64 v15, v25, v26, s4
	v_lshrrev_b32_e32 v16, 16, v16
	v_cmp_u_f32_e64 s4, v12, v12
	v_lshrrev_b32_e32 v15, 16, v15
	buffer_store_dword v16, off, s[0:3], s32 offset:260 ; 4-byte Folded Spill
	v_cndmask_b32_e64 v12, v13, v17, s4
	v_mul_f32_e32 v13, v60, v21
	v_or_b32_e32 v16, 0x400000, v1
	buffer_store_dword v15, off, s[0:3], s32 offset:276 ; 4-byte Folded Spill
	v_bfe_u32 v15, v1, 16, 1
	v_mul_f32_e32 v17, v60, v18
	v_bfe_u32 v18, v0, 16, 1
	v_cmp_u_f32_e64 s4, v1, v1
	v_bfe_u32 v21, v13, 16, 1
	v_add3_u32 v15, v15, v1, 0x7fff
	v_or_b32_e32 v22, 0x400000, v13
	v_or_b32_e32 v23, 0x400000, v17
	v_lshrrev_b32_e32 v12, 16, v12
	v_add3_u32 v21, v21, v13, 0x7fff
	v_cndmask_b32_e64 v1, v15, v16, s4
	v_add3_u32 v16, v18, v0, 0x7fff
	v_or_b32_e32 v18, 0x400000, v0
	v_cmp_u_f32_e64 s4, v0, v0
	v_bfe_u32 v15, v17, 16, 1
	v_lshrrev_b32_e32 v1, 16, v1
	buffer_store_dword v12, off, s[0:3], s32 offset:268 ; 4-byte Folded Spill
	v_cndmask_b32_e64 v0, v16, v18, s4
	v_cmp_u_f32_e64 s4, v13, v13
	v_add3_u32 v15, v15, v17, 0x7fff
	buffer_store_dword v1, off, s[0:3], s32 offset:284 ; 4-byte Folded Spill
	v_lshrrev_b32_e32 v0, 16, v0
	v_cndmask_b32_e64 v13, v21, v22, s4
	v_cmp_u_f32_e64 s4, v17, v17
	buffer_store_dword v0, off, s[0:3], s32 offset:280 ; 4-byte Folded Spill
	v_lshrrev_b32_e32 v0, 16, v13
	v_cndmask_b32_e64 v15, v15, v23, s4
	buffer_store_dword v0, off, s[0:3], s32 offset:252 ; 4-byte Folded Spill
	v_lshrrev_b32_e32 v0, 16, v15
	buffer_store_dword v0, off, s[0:3], s32 offset:256 ; 4-byte Folded Spill
	s_and_saveexec_b32 s18, vcc_lo
	s_cbranch_execz .LBB351_1128
; %bb.1127:                             ;   in Loop: Header=BB351_995 Depth=1
	buffer_load_dword v0, off, s[0:3], s32 offset:280 ; 4-byte Folded Reload
	v_cmp_lt_i32_e64 s4, v73, v32
	s_waitcnt vmcnt(0)
	v_cndmask_b32_e64 v0, 0, v0, s4
	v_cmp_lt_i32_e64 s4, v88, v32
	buffer_store_dword v0, off, s[0:3], s32 offset:280 ; 4-byte Folded Spill
	buffer_load_dword v0, off, s[0:3], s32 offset:284 ; 4-byte Folded Reload
	s_waitcnt vmcnt(0)
	v_cndmask_b32_e64 v0, 0, v0, s4
	v_cmp_lt_i32_e64 s4, v79, v32
	buffer_store_dword v0, off, s[0:3], s32 offset:284 ; 4-byte Folded Spill
	buffer_load_dword v0, off, s[0:3], s32 offset:268 ; 4-byte Folded Reload
	;; [unrolled: 5-line block ×7, first 2 shown]
	s_waitcnt vmcnt(0)
	v_cndmask_b32_e64 v0, 0, v0, s4
	buffer_store_dword v0, off, s[0:3], s32 offset:256 ; 4-byte Folded Spill
.LBB351_1128:                           ;   in Loop: Header=BB351_995 Depth=1
	s_or_b32 exec_lo, exec_lo, s18
	flat_load_dwordx2 v[24:25], v[19:20] offset:512
	v_mov_b32_e32 v1, 0
	v_mov_b32_e32 v0, 0
	s_waitcnt vmcnt(0) lgkmcnt(0)
	v_cmp_ne_u16_sdwa s4, v24, v14 src0_sel:BYTE_0 src1_sel:DWORD
	s_and_saveexec_b32 s18, s4
	s_cbranch_execz .LBB351_1136
; %bb.1129:                             ;   in Loop: Header=BB351_995 Depth=1
	v_cmp_ne_u16_sdwa s4, v24, v71 src0_sel:BYTE_0 src1_sel:DWORD
	v_bfrev_b32_e32 v0, 1
	s_and_saveexec_b32 s19, s4
	s_cbranch_execz .LBB351_1135
; %bb.1130:                             ;   in Loop: Header=BB351_995 Depth=1
	v_and_b32_e32 v12, 0x7f, v24
	v_mov_b32_e32 v0, 0x7f800001
	s_mov_b32 s20, exec_lo
	v_cmpx_ne_u32_e32 0x7f, v12
	s_cbranch_execz .LBB351_1134
; %bb.1131:                             ;   in Loop: Header=BB351_995 Depth=1
	v_mov_b32_e32 v27, v25
	v_lshrrev_b32_e32 v0, 3, v12
	v_mov_b32_e32 v26, v24
	s_mov_b32 s21, exec_lo
	v_cmpx_gt_u32_e32 8, v12
; %bb.1132:                             ;   in Loop: Header=BB351_995 Depth=1
	v_and_b32_e32 v0, 7, v24
	v_ffbh_u32_e32 v0, v0
	v_min_u32_e32 v0, 32, v0
	v_subrev_nc_u32_e32 v12, 28, v0
	v_sub_nc_u32_e32 v0, 29, v0
	v_lshlrev_b64 v[26:27], v12, v[24:25]
; %bb.1133:                             ;   in Loop: Header=BB351_995 Depth=1
	s_or_b32 exec_lo, exec_lo, s21
	v_lshlrev_b32_e32 v12, 20, v26
	v_lshlrev_b32_e32 v13, 24, v24
	v_lshl_add_u32 v0, v0, 23, 0x3c000000
	v_and_b32_e32 v12, 0x700000, v12
	v_and_b32_e32 v13, 0x80000000, v13
	v_or3_b32 v0, v12, v13, v0
.LBB351_1134:                           ;   in Loop: Header=BB351_995 Depth=1
	s_or_b32 exec_lo, exec_lo, s20
.LBB351_1135:                           ;   in Loop: Header=BB351_995 Depth=1
	s_or_b32 exec_lo, exec_lo, s19
.LBB351_1136:                           ;   in Loop: Header=BB351_995 Depth=1
	s_or_b32 exec_lo, exec_lo, s18
	v_cmp_ne_u16_sdwa s4, v24, v14 src0_sel:BYTE_1 src1_sel:DWORD
	s_and_saveexec_b32 s18, s4
	s_cbranch_execz .LBB351_1144
; %bb.1137:                             ;   in Loop: Header=BB351_995 Depth=1
	v_cmp_ne_u16_sdwa s4, v24, v71 src0_sel:BYTE_1 src1_sel:DWORD
	v_bfrev_b32_e32 v1, 1
	s_and_saveexec_b32 s19, s4
	s_cbranch_execz .LBB351_1143
; %bb.1138:                             ;   in Loop: Header=BB351_995 Depth=1
	v_mov_b32_e32 v1, 0xffff
	s_mov_b32 s20, exec_lo
	v_and_b32_sdwa v13, v1, v24 dst_sel:DWORD dst_unused:UNUSED_PAD src0_sel:DWORD src1_sel:BYTE_1
	v_mov_b32_e32 v1, 0x7f800001
	v_and_b32_e32 v12, 0x7f, v13
	v_cmpx_ne_u32_e32 0x7f, v12
	s_cbranch_execz .LBB351_1142
; %bb.1139:                             ;   in Loop: Header=BB351_995 Depth=1
	v_and_b32_e32 v13, 7, v13
	v_mov_b32_e32 v27, v14
	v_lshrrev_b32_e32 v1, 3, v12
	s_mov_b32 s21, exec_lo
	v_mov_b32_e32 v26, v13
	v_cmpx_gt_u32_e32 8, v12
; %bb.1140:                             ;   in Loop: Header=BB351_995 Depth=1
	v_ffbh_u32_e32 v1, v13
	v_min_u32_e32 v1, 32, v1
	v_subrev_nc_u32_e32 v12, 28, v1
	v_sub_nc_u32_e32 v1, 29, v1
	v_lshlrev_b64 v[12:13], v12, v[13:14]
	v_and_b32_e32 v26, 7, v12
; %bb.1141:                             ;   in Loop: Header=BB351_995 Depth=1
	s_or_b32 exec_lo, exec_lo, s21
	v_lshlrev_b32_e32 v12, 16, v24
	v_lshlrev_b32_e32 v13, 20, v26
	v_lshl_add_u32 v1, v1, 23, 0x3c000000
	v_and_b32_e32 v12, 0x80000000, v12
	v_or3_b32 v1, v13, v12, v1
.LBB351_1142:                           ;   in Loop: Header=BB351_995 Depth=1
	s_or_b32 exec_lo, exec_lo, s20
.LBB351_1143:                           ;   in Loop: Header=BB351_995 Depth=1
	s_or_b32 exec_lo, exec_lo, s19
.LBB351_1144:                           ;   in Loop: Header=BB351_995 Depth=1
	s_or_b32 exec_lo, exec_lo, s18
	v_and_b32_sdwa v13, v24, v81 dst_sel:DWORD dst_unused:UNUSED_PAD src0_sel:WORD_1 src1_sel:DWORD
	v_mov_b32_e32 v15, 0
	v_mov_b32_e32 v12, 0
	s_mov_b32 s18, exec_lo
	v_cmpx_ne_u16_e32 0, v13
	s_cbranch_execz .LBB351_1152
; %bb.1145:                             ;   in Loop: Header=BB351_995 Depth=1
	v_bfrev_b32_e32 v12, 1
	s_mov_b32 s19, exec_lo
	v_cmpx_ne_u16_e32 0x80, v13
	s_cbranch_execz .LBB351_1151
; %bb.1146:                             ;   in Loop: Header=BB351_995 Depth=1
	v_bfe_u32 v16, v24, 16, 7
	v_mov_b32_e32 v12, 0x7f800001
	s_mov_b32 s20, exec_lo
	v_cmpx_ne_u32_e32 0x7f, v16
	s_cbranch_execz .LBB351_1150
; %bb.1147:                             ;   in Loop: Header=BB351_995 Depth=1
	v_mov_b32_e32 v12, 7
	s_mov_b32 s21, exec_lo
	v_and_b32_sdwa v13, v24, v12 dst_sel:DWORD dst_unused:UNUSED_PAD src0_sel:WORD_1 src1_sel:DWORD
	v_mov_b32_e32 v27, v14
	v_lshrrev_b32_e32 v12, 3, v16
	v_mov_b32_e32 v26, v13
	v_cmpx_gt_u32_e32 8, v16
; %bb.1148:                             ;   in Loop: Header=BB351_995 Depth=1
	v_ffbh_u32_e32 v12, v13
	v_min_u32_e32 v12, 32, v12
	v_subrev_nc_u32_e32 v16, 28, v12
	v_sub_nc_u32_e32 v12, 29, v12
	v_lshlrev_b64 v[16:17], v16, v[13:14]
	v_and_b32_e32 v26, 7, v16
; %bb.1149:                             ;   in Loop: Header=BB351_995 Depth=1
	s_or_b32 exec_lo, exec_lo, s21
	v_mov_b32_e32 v13, 24
	v_lshlrev_b32_e32 v16, 20, v26
	v_lshl_add_u32 v12, v12, 23, 0x3c000000
	v_lshlrev_b32_sdwa v13, v13, v24 dst_sel:DWORD dst_unused:UNUSED_PAD src0_sel:DWORD src1_sel:WORD_1
	v_and_b32_e32 v13, 0x80000000, v13
	v_or3_b32 v12, v16, v13, v12
.LBB351_1150:                           ;   in Loop: Header=BB351_995 Depth=1
	s_or_b32 exec_lo, exec_lo, s20
.LBB351_1151:                           ;   in Loop: Header=BB351_995 Depth=1
	s_or_b32 exec_lo, exec_lo, s19
.LBB351_1152:                           ;   in Loop: Header=BB351_995 Depth=1
	s_or_b32 exec_lo, exec_lo, s18
	s_mov_b32 s18, exec_lo
	v_cmpx_lt_u32_e32 0xffffff, v24
	s_cbranch_execz .LBB351_1160
; %bb.1153:                             ;   in Loop: Header=BB351_995 Depth=1
	v_cmp_ne_u32_sdwa s4, v24, v71 src0_sel:BYTE_3 src1_sel:DWORD
	v_bfrev_b32_e32 v15, 1
	s_and_saveexec_b32 s19, s4
	s_cbranch_execz .LBB351_1159
; %bb.1154:                             ;   in Loop: Header=BB351_995 Depth=1
	v_bfe_u32 v16, v24, 24, 7
	v_mov_b32_e32 v15, 0x7f800001
	s_mov_b32 s20, exec_lo
	v_cmpx_ne_u32_e32 0x7f, v16
	s_cbranch_execz .LBB351_1158
; %bb.1155:                             ;   in Loop: Header=BB351_995 Depth=1
	v_mov_b32_e32 v13, 7
	v_lshrrev_b32_e32 v15, 3, v16
	s_mov_b32 s21, exec_lo
	v_and_b32_sdwa v13, v24, v13 dst_sel:DWORD dst_unused:UNUSED_PAD src0_sel:BYTE_3 src1_sel:DWORD
	v_mov_b32_e32 v27, v14
	v_mov_b32_e32 v26, v13
	v_cmpx_gt_u32_e32 8, v16
; %bb.1156:                             ;   in Loop: Header=BB351_995 Depth=1
	v_ffbh_u32_e32 v15, v13
	v_min_u32_e32 v15, 32, v15
	v_subrev_nc_u32_e32 v16, 28, v15
	v_sub_nc_u32_e32 v15, 29, v15
	v_lshlrev_b64 v[16:17], v16, v[13:14]
	v_and_b32_e32 v26, 7, v16
; %bb.1157:                             ;   in Loop: Header=BB351_995 Depth=1
	s_or_b32 exec_lo, exec_lo, s21
	v_mov_b32_e32 v13, 24
	v_lshlrev_b32_e32 v16, 20, v26
	v_lshl_add_u32 v15, v15, 23, 0x3c000000
	v_lshlrev_b32_sdwa v13, v13, v24 dst_sel:DWORD dst_unused:UNUSED_PAD src0_sel:DWORD src1_sel:BYTE_3
	v_and_b32_e32 v13, 0x80000000, v13
	v_or3_b32 v15, v16, v13, v15
.LBB351_1158:                           ;   in Loop: Header=BB351_995 Depth=1
	s_or_b32 exec_lo, exec_lo, s20
.LBB351_1159:                           ;   in Loop: Header=BB351_995 Depth=1
	s_or_b32 exec_lo, exec_lo, s19
.LBB351_1160:                           ;   in Loop: Header=BB351_995 Depth=1
	s_or_b32 exec_lo, exec_lo, s18
	v_mov_b32_e32 v13, v25
	v_cmp_ne_u16_sdwa s4, v25, v14 src0_sel:BYTE_0 src1_sel:DWORD
	v_mov_b32_e32 v17, 0
	v_mov_b32_e32 v16, 0
	s_and_saveexec_b32 s18, s4
	s_cbranch_execz .LBB351_1168
; %bb.1161:                             ;   in Loop: Header=BB351_995 Depth=1
	v_cmp_ne_u16_sdwa s4, v25, v71 src0_sel:BYTE_0 src1_sel:DWORD
	v_bfrev_b32_e32 v16, 1
	s_and_saveexec_b32 s19, s4
	s_cbranch_execz .LBB351_1167
; %bb.1162:                             ;   in Loop: Header=BB351_995 Depth=1
	v_and_b32_e32 v18, 0x7f, v25
	v_mov_b32_e32 v16, 0x7f800001
	s_mov_b32 s20, exec_lo
	v_cmpx_ne_u32_e32 0x7f, v18
	s_cbranch_execz .LBB351_1166
; %bb.1163:                             ;   in Loop: Header=BB351_995 Depth=1
	v_mov_b32_e32 v27, v14
	v_lshrrev_b32_e32 v16, 3, v18
	v_mov_b32_e32 v26, v13
	s_mov_b32 s21, exec_lo
	v_cmpx_gt_u32_e32 8, v18
; %bb.1164:                             ;   in Loop: Header=BB351_995 Depth=1
	v_and_b32_e32 v16, 7, v25
	v_ffbh_u32_e32 v16, v16
	v_min_u32_e32 v16, 32, v16
	v_subrev_nc_u32_e32 v18, 28, v16
	v_sub_nc_u32_e32 v16, 29, v16
	v_lshlrev_b64 v[26:27], v18, v[13:14]
; %bb.1165:                             ;   in Loop: Header=BB351_995 Depth=1
	s_or_b32 exec_lo, exec_lo, s21
	v_lshlrev_b32_e32 v18, 20, v26
	v_lshlrev_b32_e32 v21, 24, v13
	v_lshl_add_u32 v16, v16, 23, 0x3c000000
	v_and_b32_e32 v18, 0x700000, v18
	v_and_b32_e32 v21, 0x80000000, v21
	v_or3_b32 v16, v18, v21, v16
.LBB351_1166:                           ;   in Loop: Header=BB351_995 Depth=1
	s_or_b32 exec_lo, exec_lo, s20
.LBB351_1167:                           ;   in Loop: Header=BB351_995 Depth=1
	s_or_b32 exec_lo, exec_lo, s19
.LBB351_1168:                           ;   in Loop: Header=BB351_995 Depth=1
	s_or_b32 exec_lo, exec_lo, s18
	v_cmp_ne_u16_sdwa s4, v13, v14 src0_sel:BYTE_1 src1_sel:DWORD
	s_and_saveexec_b32 s18, s4
	s_cbranch_execz .LBB351_1176
; %bb.1169:                             ;   in Loop: Header=BB351_995 Depth=1
	v_cmp_ne_u16_sdwa s4, v13, v71 src0_sel:BYTE_1 src1_sel:DWORD
	v_bfrev_b32_e32 v17, 1
	s_and_saveexec_b32 s19, s4
	s_cbranch_execz .LBB351_1175
; %bb.1170:                             ;   in Loop: Header=BB351_995 Depth=1
	v_mov_b32_e32 v17, 0xffff
	s_mov_b32 s20, exec_lo
	v_and_b32_sdwa v21, v17, v13 dst_sel:DWORD dst_unused:UNUSED_PAD src0_sel:DWORD src1_sel:BYTE_1
	v_mov_b32_e32 v17, 0x7f800001
	v_and_b32_e32 v18, 0x7f, v21
	v_cmpx_ne_u32_e32 0x7f, v18
	s_cbranch_execz .LBB351_1174
; %bb.1171:                             ;   in Loop: Header=BB351_995 Depth=1
	v_and_b32_e32 v26, 7, v21
	v_mov_b32_e32 v27, v14
	v_lshrrev_b32_e32 v17, 3, v18
	s_mov_b32 s21, exec_lo
	v_cmpx_gt_u32_e32 8, v18
; %bb.1172:                             ;   in Loop: Header=BB351_995 Depth=1
	v_ffbh_u32_e32 v17, v26
	v_min_u32_e32 v17, 32, v17
	v_subrev_nc_u32_e32 v18, 28, v17
	v_sub_nc_u32_e32 v17, 29, v17
	v_lshlrev_b64 v[21:22], v18, v[26:27]
	v_and_b32_e32 v26, 7, v21
; %bb.1173:                             ;   in Loop: Header=BB351_995 Depth=1
	s_or_b32 exec_lo, exec_lo, s21
	v_lshlrev_b32_e32 v13, 16, v13
	v_lshlrev_b32_e32 v18, 20, v26
	v_lshl_add_u32 v17, v17, 23, 0x3c000000
	v_and_b32_e32 v13, 0x80000000, v13
	v_or3_b32 v17, v18, v13, v17
.LBB351_1174:                           ;   in Loop: Header=BB351_995 Depth=1
	s_or_b32 exec_lo, exec_lo, s20
.LBB351_1175:                           ;   in Loop: Header=BB351_995 Depth=1
	s_or_b32 exec_lo, exec_lo, s19
.LBB351_1176:                           ;   in Loop: Header=BB351_995 Depth=1
	s_or_b32 exec_lo, exec_lo, s18
	v_and_b32_sdwa v13, v25, v81 dst_sel:DWORD dst_unused:UNUSED_PAD src0_sel:WORD_1 src1_sel:DWORD
	v_mov_b32_e32 v18, 0
	v_mov_b32_e32 v21, 0
	s_mov_b32 s18, exec_lo
	v_cmpx_ne_u16_e32 0, v13
	s_cbranch_execz .LBB351_1184
; %bb.1177:                             ;   in Loop: Header=BB351_995 Depth=1
	v_bfrev_b32_e32 v21, 1
	s_mov_b32 s19, exec_lo
	v_cmpx_ne_u16_e32 0x80, v13
	s_cbranch_execz .LBB351_1183
; %bb.1178:                             ;   in Loop: Header=BB351_995 Depth=1
	v_bfe_u32 v22, v25, 16, 7
	v_mov_b32_e32 v21, 0x7f800001
	s_mov_b32 s20, exec_lo
	v_cmpx_ne_u32_e32 0x7f, v22
	s_cbranch_execz .LBB351_1182
; %bb.1179:                             ;   in Loop: Header=BB351_995 Depth=1
	v_mov_b32_e32 v13, 7
	v_lshrrev_b32_e32 v21, 3, v22
	s_mov_b32 s21, exec_lo
	v_and_b32_sdwa v13, v25, v13 dst_sel:DWORD dst_unused:UNUSED_PAD src0_sel:WORD_1 src1_sel:DWORD
	v_mov_b32_e32 v27, v14
	v_mov_b32_e32 v26, v13
	v_cmpx_gt_u32_e32 8, v22
; %bb.1180:                             ;   in Loop: Header=BB351_995 Depth=1
	v_ffbh_u32_e32 v21, v13
	v_min_u32_e32 v21, 32, v21
	v_subrev_nc_u32_e32 v22, 28, v21
	v_sub_nc_u32_e32 v21, 29, v21
	v_lshlrev_b64 v[22:23], v22, v[13:14]
	v_and_b32_e32 v26, 7, v22
; %bb.1181:                             ;   in Loop: Header=BB351_995 Depth=1
	s_or_b32 exec_lo, exec_lo, s21
	v_mov_b32_e32 v13, 24
	v_lshlrev_b32_e32 v22, 20, v26
	v_lshl_add_u32 v21, v21, 23, 0x3c000000
	v_lshlrev_b32_sdwa v13, v13, v25 dst_sel:DWORD dst_unused:UNUSED_PAD src0_sel:DWORD src1_sel:WORD_1
	v_and_b32_e32 v13, 0x80000000, v13
	v_or3_b32 v21, v22, v13, v21
.LBB351_1182:                           ;   in Loop: Header=BB351_995 Depth=1
	s_or_b32 exec_lo, exec_lo, s20
.LBB351_1183:                           ;   in Loop: Header=BB351_995 Depth=1
	s_or_b32 exec_lo, exec_lo, s19
.LBB351_1184:                           ;   in Loop: Header=BB351_995 Depth=1
	s_or_b32 exec_lo, exec_lo, s18
	s_mov_b32 s18, exec_lo
	v_cmpx_lt_u64_e64 s[6:7], v[24:25]
	s_cbranch_execz .LBB351_1192
; %bb.1185:                             ;   in Loop: Header=BB351_995 Depth=1
	v_cmp_ne_u32_sdwa s4, v25, v71 src0_sel:BYTE_3 src1_sel:DWORD
	v_bfrev_b32_e32 v18, 1
	s_and_saveexec_b32 s19, s4
	s_cbranch_execz .LBB351_1191
; %bb.1186:                             ;   in Loop: Header=BB351_995 Depth=1
	v_bfe_u32 v22, v25, 24, 7
	v_mov_b32_e32 v18, 0x7f800001
	s_mov_b32 s20, exec_lo
	v_cmpx_ne_u32_e32 0x7f, v22
	s_cbranch_execz .LBB351_1190
; %bb.1187:                             ;   in Loop: Header=BB351_995 Depth=1
	v_mov_b32_e32 v13, 7
	v_lshrrev_b32_e32 v18, 3, v22
	s_mov_b32 s21, exec_lo
	v_and_b32_sdwa v13, v25, v13 dst_sel:DWORD dst_unused:UNUSED_PAD src0_sel:BYTE_3 src1_sel:DWORD
	v_mov_b32_e32 v27, v14
	v_mov_b32_e32 v26, v13
	v_cmpx_gt_u32_e32 8, v22
; %bb.1188:                             ;   in Loop: Header=BB351_995 Depth=1
	v_ffbh_u32_e32 v18, v13
	v_min_u32_e32 v18, 32, v18
	v_subrev_nc_u32_e32 v22, 28, v18
	v_sub_nc_u32_e32 v18, 29, v18
	v_lshlrev_b64 v[22:23], v22, v[13:14]
	v_and_b32_e32 v26, 7, v22
; %bb.1189:                             ;   in Loop: Header=BB351_995 Depth=1
	s_or_b32 exec_lo, exec_lo, s21
	v_mov_b32_e32 v13, 24
	v_lshlrev_b32_e32 v22, 20, v26
	v_lshl_add_u32 v18, v18, 23, 0x3c000000
	v_lshlrev_b32_sdwa v13, v13, v25 dst_sel:DWORD dst_unused:UNUSED_PAD src0_sel:DWORD src1_sel:BYTE_3
	v_and_b32_e32 v13, 0x80000000, v13
	v_or3_b32 v18, v22, v13, v18
.LBB351_1190:                           ;   in Loop: Header=BB351_995 Depth=1
	s_or_b32 exec_lo, exec_lo, s20
.LBB351_1191:                           ;   in Loop: Header=BB351_995 Depth=1
	s_or_b32 exec_lo, exec_lo, s19
.LBB351_1192:                           ;   in Loop: Header=BB351_995 Depth=1
	s_or_b32 exec_lo, exec_lo, s18
	v_mul_f32_e32 v13, v60, v17
	v_mul_f32_e32 v16, v60, v16
	;; [unrolled: 1-line block ×5, first 2 shown]
	v_bfe_u32 v17, v13, 16, 1
	v_or_b32_e32 v22, 0x400000, v13
	v_bfe_u32 v23, v16, 16, 1
	v_cmp_u_f32_e64 s4, v13, v13
	v_or_b32_e32 v24, 0x400000, v16
	v_add3_u32 v17, v17, v13, 0x7fff
	v_bfe_u32 v25, v15, 16, 1
	v_add3_u32 v23, v23, v16, 0x7fff
	v_or_b32_e32 v26, 0x400000, v15
	v_bfe_u32 v27, v12, 16, 1
	v_cndmask_b32_e64 v13, v17, v22, s4
	v_cmp_u_f32_e64 s4, v16, v16
	v_add3_u32 v25, v25, v15, 0x7fff
	v_or_b32_e32 v17, 0x400000, v12
	v_mul_f32_e32 v0, v60, v0
	v_lshrrev_b32_e32 v13, 16, v13
	v_cndmask_b32_e64 v16, v23, v24, s4
	v_cmp_u_f32_e64 s4, v15, v15
	buffer_store_dword v13, off, s[0:3], s32 offset:300 ; 4-byte Folded Spill
	v_add3_u32 v13, v27, v12, 0x7fff
	v_cndmask_b32_e64 v15, v25, v26, s4
	v_lshrrev_b32_e32 v16, 16, v16
	v_cmp_u_f32_e64 s4, v12, v12
	v_lshrrev_b32_e32 v15, 16, v15
	buffer_store_dword v16, off, s[0:3], s32 offset:296 ; 4-byte Folded Spill
	v_cndmask_b32_e64 v12, v13, v17, s4
	v_mul_f32_e32 v13, v60, v21
	v_or_b32_e32 v16, 0x400000, v1
	buffer_store_dword v15, off, s[0:3], s32 offset:308 ; 4-byte Folded Spill
	v_bfe_u32 v15, v1, 16, 1
	v_mul_f32_e32 v17, v60, v18
	v_bfe_u32 v18, v0, 16, 1
	v_cmp_u_f32_e64 s4, v1, v1
	v_bfe_u32 v21, v13, 16, 1
	v_add3_u32 v15, v15, v1, 0x7fff
	v_or_b32_e32 v22, 0x400000, v13
	v_or_b32_e32 v23, 0x400000, v17
	v_lshrrev_b32_e32 v12, 16, v12
	v_add3_u32 v21, v21, v13, 0x7fff
	v_cndmask_b32_e64 v1, v15, v16, s4
	v_add3_u32 v16, v18, v0, 0x7fff
	v_or_b32_e32 v18, 0x400000, v0
	v_cmp_u_f32_e64 s4, v0, v0
	v_bfe_u32 v15, v17, 16, 1
	v_lshrrev_b32_e32 v1, 16, v1
	buffer_store_dword v12, off, s[0:3], s32 offset:304 ; 4-byte Folded Spill
	v_cndmask_b32_e64 v0, v16, v18, s4
	v_cmp_u_f32_e64 s4, v13, v13
	v_add3_u32 v15, v15, v17, 0x7fff
	buffer_store_dword v1, off, s[0:3], s32 offset:316 ; 4-byte Folded Spill
	v_lshrrev_b32_e32 v0, 16, v0
	v_cndmask_b32_e64 v13, v21, v22, s4
	v_cmp_u_f32_e64 s4, v17, v17
	buffer_store_dword v0, off, s[0:3], s32 offset:312 ; 4-byte Folded Spill
	v_lshrrev_b32_e32 v0, 16, v13
	v_cndmask_b32_e64 v15, v15, v23, s4
	buffer_store_dword v0, off, s[0:3], s32 offset:288 ; 4-byte Folded Spill
	v_lshrrev_b32_e32 v0, 16, v15
	buffer_store_dword v0, off, s[0:3], s32 offset:292 ; 4-byte Folded Spill
	s_and_saveexec_b32 s18, vcc_lo
	s_cbranch_execz .LBB351_1194
; %bb.1193:                             ;   in Loop: Header=BB351_995 Depth=1
	buffer_load_dword v0, off, s[0:3], s32 offset:312 ; 4-byte Folded Reload
	v_cmp_lt_i32_e64 s4, v73, v32
	s_waitcnt vmcnt(0)
	v_cndmask_b32_e64 v0, 0, v0, s4
	v_cmp_lt_i32_e64 s4, v88, v32
	buffer_store_dword v0, off, s[0:3], s32 offset:312 ; 4-byte Folded Spill
	buffer_load_dword v0, off, s[0:3], s32 offset:316 ; 4-byte Folded Reload
	s_waitcnt vmcnt(0)
	v_cndmask_b32_e64 v0, 0, v0, s4
	v_cmp_lt_i32_e64 s4, v79, v32
	buffer_store_dword v0, off, s[0:3], s32 offset:316 ; 4-byte Folded Spill
	buffer_load_dword v0, off, s[0:3], s32 offset:304 ; 4-byte Folded Reload
	;; [unrolled: 5-line block ×7, first 2 shown]
	s_waitcnt vmcnt(0)
	v_cndmask_b32_e64 v0, 0, v0, s4
	buffer_store_dword v0, off, s[0:3], s32 offset:292 ; 4-byte Folded Spill
.LBB351_1194:                           ;   in Loop: Header=BB351_995 Depth=1
	s_or_b32 exec_lo, exec_lo, s18
	flat_load_dwordx2 v[24:25], v[19:20] offset:768
	v_mov_b32_e32 v1, 0
	v_mov_b32_e32 v0, 0
	s_waitcnt vmcnt(0) lgkmcnt(0)
	v_cmp_ne_u16_sdwa s4, v24, v14 src0_sel:BYTE_0 src1_sel:DWORD
	s_and_saveexec_b32 s18, s4
	s_cbranch_execz .LBB351_1202
; %bb.1195:                             ;   in Loop: Header=BB351_995 Depth=1
	v_cmp_ne_u16_sdwa s4, v24, v71 src0_sel:BYTE_0 src1_sel:DWORD
	v_bfrev_b32_e32 v0, 1
	s_and_saveexec_b32 s19, s4
	s_cbranch_execz .LBB351_1201
; %bb.1196:                             ;   in Loop: Header=BB351_995 Depth=1
	v_and_b32_e32 v12, 0x7f, v24
	v_mov_b32_e32 v0, 0x7f800001
	s_mov_b32 s20, exec_lo
	v_cmpx_ne_u32_e32 0x7f, v12
	s_cbranch_execz .LBB351_1200
; %bb.1197:                             ;   in Loop: Header=BB351_995 Depth=1
	v_mov_b32_e32 v27, v25
	v_lshrrev_b32_e32 v0, 3, v12
	v_mov_b32_e32 v26, v24
	s_mov_b32 s21, exec_lo
	v_cmpx_gt_u32_e32 8, v12
; %bb.1198:                             ;   in Loop: Header=BB351_995 Depth=1
	v_and_b32_e32 v0, 7, v24
	v_ffbh_u32_e32 v0, v0
	v_min_u32_e32 v0, 32, v0
	v_subrev_nc_u32_e32 v12, 28, v0
	v_sub_nc_u32_e32 v0, 29, v0
	v_lshlrev_b64 v[26:27], v12, v[24:25]
; %bb.1199:                             ;   in Loop: Header=BB351_995 Depth=1
	s_or_b32 exec_lo, exec_lo, s21
	v_lshlrev_b32_e32 v12, 20, v26
	v_lshlrev_b32_e32 v13, 24, v24
	v_lshl_add_u32 v0, v0, 23, 0x3c000000
	v_and_b32_e32 v12, 0x700000, v12
	v_and_b32_e32 v13, 0x80000000, v13
	v_or3_b32 v0, v12, v13, v0
.LBB351_1200:                           ;   in Loop: Header=BB351_995 Depth=1
	s_or_b32 exec_lo, exec_lo, s20
.LBB351_1201:                           ;   in Loop: Header=BB351_995 Depth=1
	s_or_b32 exec_lo, exec_lo, s19
.LBB351_1202:                           ;   in Loop: Header=BB351_995 Depth=1
	s_or_b32 exec_lo, exec_lo, s18
	v_cmp_ne_u16_sdwa s4, v24, v14 src0_sel:BYTE_1 src1_sel:DWORD
	s_and_saveexec_b32 s18, s4
	s_cbranch_execz .LBB351_1210
; %bb.1203:                             ;   in Loop: Header=BB351_995 Depth=1
	v_cmp_ne_u16_sdwa s4, v24, v71 src0_sel:BYTE_1 src1_sel:DWORD
	v_bfrev_b32_e32 v1, 1
	s_and_saveexec_b32 s19, s4
	s_cbranch_execz .LBB351_1209
; %bb.1204:                             ;   in Loop: Header=BB351_995 Depth=1
	v_mov_b32_e32 v1, 0xffff
	s_mov_b32 s20, exec_lo
	v_and_b32_sdwa v13, v1, v24 dst_sel:DWORD dst_unused:UNUSED_PAD src0_sel:DWORD src1_sel:BYTE_1
	v_mov_b32_e32 v1, 0x7f800001
	v_and_b32_e32 v12, 0x7f, v13
	v_cmpx_ne_u32_e32 0x7f, v12
	s_cbranch_execz .LBB351_1208
; %bb.1205:                             ;   in Loop: Header=BB351_995 Depth=1
	v_and_b32_e32 v13, 7, v13
	v_mov_b32_e32 v27, v14
	v_lshrrev_b32_e32 v1, 3, v12
	s_mov_b32 s21, exec_lo
	v_mov_b32_e32 v26, v13
	v_cmpx_gt_u32_e32 8, v12
; %bb.1206:                             ;   in Loop: Header=BB351_995 Depth=1
	v_ffbh_u32_e32 v1, v13
	v_min_u32_e32 v1, 32, v1
	v_subrev_nc_u32_e32 v12, 28, v1
	v_sub_nc_u32_e32 v1, 29, v1
	v_lshlrev_b64 v[12:13], v12, v[13:14]
	v_and_b32_e32 v26, 7, v12
; %bb.1207:                             ;   in Loop: Header=BB351_995 Depth=1
	s_or_b32 exec_lo, exec_lo, s21
	v_lshlrev_b32_e32 v12, 16, v24
	v_lshlrev_b32_e32 v13, 20, v26
	v_lshl_add_u32 v1, v1, 23, 0x3c000000
	v_and_b32_e32 v12, 0x80000000, v12
	v_or3_b32 v1, v13, v12, v1
.LBB351_1208:                           ;   in Loop: Header=BB351_995 Depth=1
	s_or_b32 exec_lo, exec_lo, s20
.LBB351_1209:                           ;   in Loop: Header=BB351_995 Depth=1
	s_or_b32 exec_lo, exec_lo, s19
.LBB351_1210:                           ;   in Loop: Header=BB351_995 Depth=1
	s_or_b32 exec_lo, exec_lo, s18
	v_and_b32_sdwa v13, v24, v81 dst_sel:DWORD dst_unused:UNUSED_PAD src0_sel:WORD_1 src1_sel:DWORD
	v_mov_b32_e32 v15, 0
	v_mov_b32_e32 v12, 0
	s_mov_b32 s18, exec_lo
	v_cmpx_ne_u16_e32 0, v13
	s_cbranch_execz .LBB351_1218
; %bb.1211:                             ;   in Loop: Header=BB351_995 Depth=1
	v_bfrev_b32_e32 v12, 1
	s_mov_b32 s19, exec_lo
	v_cmpx_ne_u16_e32 0x80, v13
	s_cbranch_execz .LBB351_1217
; %bb.1212:                             ;   in Loop: Header=BB351_995 Depth=1
	v_bfe_u32 v16, v24, 16, 7
	v_mov_b32_e32 v12, 0x7f800001
	s_mov_b32 s20, exec_lo
	v_cmpx_ne_u32_e32 0x7f, v16
	s_cbranch_execz .LBB351_1216
; %bb.1213:                             ;   in Loop: Header=BB351_995 Depth=1
	v_mov_b32_e32 v12, 7
	s_mov_b32 s21, exec_lo
	v_and_b32_sdwa v13, v24, v12 dst_sel:DWORD dst_unused:UNUSED_PAD src0_sel:WORD_1 src1_sel:DWORD
	v_mov_b32_e32 v27, v14
	v_lshrrev_b32_e32 v12, 3, v16
	v_mov_b32_e32 v26, v13
	v_cmpx_gt_u32_e32 8, v16
; %bb.1214:                             ;   in Loop: Header=BB351_995 Depth=1
	v_ffbh_u32_e32 v12, v13
	v_min_u32_e32 v12, 32, v12
	v_subrev_nc_u32_e32 v16, 28, v12
	v_sub_nc_u32_e32 v12, 29, v12
	v_lshlrev_b64 v[16:17], v16, v[13:14]
	v_and_b32_e32 v26, 7, v16
; %bb.1215:                             ;   in Loop: Header=BB351_995 Depth=1
	s_or_b32 exec_lo, exec_lo, s21
	v_mov_b32_e32 v13, 24
	v_lshlrev_b32_e32 v16, 20, v26
	v_lshl_add_u32 v12, v12, 23, 0x3c000000
	v_lshlrev_b32_sdwa v13, v13, v24 dst_sel:DWORD dst_unused:UNUSED_PAD src0_sel:DWORD src1_sel:WORD_1
	v_and_b32_e32 v13, 0x80000000, v13
	v_or3_b32 v12, v16, v13, v12
.LBB351_1216:                           ;   in Loop: Header=BB351_995 Depth=1
	s_or_b32 exec_lo, exec_lo, s20
.LBB351_1217:                           ;   in Loop: Header=BB351_995 Depth=1
	s_or_b32 exec_lo, exec_lo, s19
.LBB351_1218:                           ;   in Loop: Header=BB351_995 Depth=1
	s_or_b32 exec_lo, exec_lo, s18
	s_mov_b32 s18, exec_lo
	v_cmpx_lt_u32_e32 0xffffff, v24
	s_cbranch_execz .LBB351_1226
; %bb.1219:                             ;   in Loop: Header=BB351_995 Depth=1
	v_cmp_ne_u32_sdwa s4, v24, v71 src0_sel:BYTE_3 src1_sel:DWORD
	v_bfrev_b32_e32 v15, 1
	s_and_saveexec_b32 s19, s4
	s_cbranch_execz .LBB351_1225
; %bb.1220:                             ;   in Loop: Header=BB351_995 Depth=1
	v_bfe_u32 v16, v24, 24, 7
	v_mov_b32_e32 v15, 0x7f800001
	s_mov_b32 s20, exec_lo
	v_cmpx_ne_u32_e32 0x7f, v16
	s_cbranch_execz .LBB351_1224
; %bb.1221:                             ;   in Loop: Header=BB351_995 Depth=1
	v_mov_b32_e32 v13, 7
	v_lshrrev_b32_e32 v15, 3, v16
	s_mov_b32 s21, exec_lo
	v_and_b32_sdwa v13, v24, v13 dst_sel:DWORD dst_unused:UNUSED_PAD src0_sel:BYTE_3 src1_sel:DWORD
	v_mov_b32_e32 v27, v14
	v_mov_b32_e32 v26, v13
	v_cmpx_gt_u32_e32 8, v16
; %bb.1222:                             ;   in Loop: Header=BB351_995 Depth=1
	v_ffbh_u32_e32 v15, v13
	v_min_u32_e32 v15, 32, v15
	v_subrev_nc_u32_e32 v16, 28, v15
	v_sub_nc_u32_e32 v15, 29, v15
	v_lshlrev_b64 v[16:17], v16, v[13:14]
	v_and_b32_e32 v26, 7, v16
; %bb.1223:                             ;   in Loop: Header=BB351_995 Depth=1
	s_or_b32 exec_lo, exec_lo, s21
	v_mov_b32_e32 v13, 24
	v_lshlrev_b32_e32 v16, 20, v26
	v_lshl_add_u32 v15, v15, 23, 0x3c000000
	v_lshlrev_b32_sdwa v13, v13, v24 dst_sel:DWORD dst_unused:UNUSED_PAD src0_sel:DWORD src1_sel:BYTE_3
	v_and_b32_e32 v13, 0x80000000, v13
	v_or3_b32 v15, v16, v13, v15
.LBB351_1224:                           ;   in Loop: Header=BB351_995 Depth=1
	s_or_b32 exec_lo, exec_lo, s20
.LBB351_1225:                           ;   in Loop: Header=BB351_995 Depth=1
	s_or_b32 exec_lo, exec_lo, s19
.LBB351_1226:                           ;   in Loop: Header=BB351_995 Depth=1
	s_or_b32 exec_lo, exec_lo, s18
	v_mov_b32_e32 v13, v25
	v_cmp_ne_u16_sdwa s4, v25, v14 src0_sel:BYTE_0 src1_sel:DWORD
	v_mov_b32_e32 v17, 0
	v_mov_b32_e32 v16, 0
	s_and_saveexec_b32 s18, s4
	s_cbranch_execz .LBB351_1234
; %bb.1227:                             ;   in Loop: Header=BB351_995 Depth=1
	v_cmp_ne_u16_sdwa s4, v25, v71 src0_sel:BYTE_0 src1_sel:DWORD
	v_bfrev_b32_e32 v16, 1
	s_and_saveexec_b32 s19, s4
	s_cbranch_execz .LBB351_1233
; %bb.1228:                             ;   in Loop: Header=BB351_995 Depth=1
	v_and_b32_e32 v18, 0x7f, v25
	v_mov_b32_e32 v16, 0x7f800001
	s_mov_b32 s20, exec_lo
	v_cmpx_ne_u32_e32 0x7f, v18
	s_cbranch_execz .LBB351_1232
; %bb.1229:                             ;   in Loop: Header=BB351_995 Depth=1
	v_mov_b32_e32 v27, v14
	v_lshrrev_b32_e32 v16, 3, v18
	v_mov_b32_e32 v26, v13
	s_mov_b32 s21, exec_lo
	v_cmpx_gt_u32_e32 8, v18
; %bb.1230:                             ;   in Loop: Header=BB351_995 Depth=1
	v_and_b32_e32 v16, 7, v25
	v_ffbh_u32_e32 v16, v16
	v_min_u32_e32 v16, 32, v16
	v_subrev_nc_u32_e32 v18, 28, v16
	v_sub_nc_u32_e32 v16, 29, v16
	v_lshlrev_b64 v[26:27], v18, v[13:14]
; %bb.1231:                             ;   in Loop: Header=BB351_995 Depth=1
	s_or_b32 exec_lo, exec_lo, s21
	v_lshlrev_b32_e32 v18, 20, v26
	v_lshlrev_b32_e32 v21, 24, v13
	v_lshl_add_u32 v16, v16, 23, 0x3c000000
	v_and_b32_e32 v18, 0x700000, v18
	v_and_b32_e32 v21, 0x80000000, v21
	v_or3_b32 v16, v18, v21, v16
.LBB351_1232:                           ;   in Loop: Header=BB351_995 Depth=1
	s_or_b32 exec_lo, exec_lo, s20
.LBB351_1233:                           ;   in Loop: Header=BB351_995 Depth=1
	s_or_b32 exec_lo, exec_lo, s19
.LBB351_1234:                           ;   in Loop: Header=BB351_995 Depth=1
	s_or_b32 exec_lo, exec_lo, s18
	v_cmp_ne_u16_sdwa s4, v13, v14 src0_sel:BYTE_1 src1_sel:DWORD
	s_and_saveexec_b32 s18, s4
	s_cbranch_execz .LBB351_1242
; %bb.1235:                             ;   in Loop: Header=BB351_995 Depth=1
	v_cmp_ne_u16_sdwa s4, v13, v71 src0_sel:BYTE_1 src1_sel:DWORD
	v_bfrev_b32_e32 v17, 1
	s_and_saveexec_b32 s19, s4
	s_cbranch_execz .LBB351_1241
; %bb.1236:                             ;   in Loop: Header=BB351_995 Depth=1
	v_mov_b32_e32 v17, 0xffff
	s_mov_b32 s20, exec_lo
	v_and_b32_sdwa v21, v17, v13 dst_sel:DWORD dst_unused:UNUSED_PAD src0_sel:DWORD src1_sel:BYTE_1
	v_mov_b32_e32 v17, 0x7f800001
	v_and_b32_e32 v18, 0x7f, v21
	v_cmpx_ne_u32_e32 0x7f, v18
	s_cbranch_execz .LBB351_1240
; %bb.1237:                             ;   in Loop: Header=BB351_995 Depth=1
	v_and_b32_e32 v26, 7, v21
	v_mov_b32_e32 v27, v14
	v_lshrrev_b32_e32 v17, 3, v18
	s_mov_b32 s21, exec_lo
	v_cmpx_gt_u32_e32 8, v18
; %bb.1238:                             ;   in Loop: Header=BB351_995 Depth=1
	v_ffbh_u32_e32 v17, v26
	v_min_u32_e32 v17, 32, v17
	v_subrev_nc_u32_e32 v18, 28, v17
	v_sub_nc_u32_e32 v17, 29, v17
	v_lshlrev_b64 v[21:22], v18, v[26:27]
	v_and_b32_e32 v26, 7, v21
; %bb.1239:                             ;   in Loop: Header=BB351_995 Depth=1
	s_or_b32 exec_lo, exec_lo, s21
	v_lshlrev_b32_e32 v13, 16, v13
	v_lshlrev_b32_e32 v18, 20, v26
	v_lshl_add_u32 v17, v17, 23, 0x3c000000
	v_and_b32_e32 v13, 0x80000000, v13
	v_or3_b32 v17, v18, v13, v17
.LBB351_1240:                           ;   in Loop: Header=BB351_995 Depth=1
	s_or_b32 exec_lo, exec_lo, s20
.LBB351_1241:                           ;   in Loop: Header=BB351_995 Depth=1
	s_or_b32 exec_lo, exec_lo, s19
.LBB351_1242:                           ;   in Loop: Header=BB351_995 Depth=1
	s_or_b32 exec_lo, exec_lo, s18
	v_and_b32_sdwa v13, v25, v81 dst_sel:DWORD dst_unused:UNUSED_PAD src0_sel:WORD_1 src1_sel:DWORD
	v_mov_b32_e32 v18, 0
	v_mov_b32_e32 v21, 0
	s_mov_b32 s18, exec_lo
	v_cmpx_ne_u16_e32 0, v13
	s_cbranch_execz .LBB351_1250
; %bb.1243:                             ;   in Loop: Header=BB351_995 Depth=1
	v_bfrev_b32_e32 v21, 1
	s_mov_b32 s19, exec_lo
	v_cmpx_ne_u16_e32 0x80, v13
	s_cbranch_execz .LBB351_1249
; %bb.1244:                             ;   in Loop: Header=BB351_995 Depth=1
	v_bfe_u32 v22, v25, 16, 7
	v_mov_b32_e32 v21, 0x7f800001
	s_mov_b32 s20, exec_lo
	v_cmpx_ne_u32_e32 0x7f, v22
	s_cbranch_execz .LBB351_1248
; %bb.1245:                             ;   in Loop: Header=BB351_995 Depth=1
	v_mov_b32_e32 v13, 7
	v_lshrrev_b32_e32 v21, 3, v22
	s_mov_b32 s21, exec_lo
	v_and_b32_sdwa v13, v25, v13 dst_sel:DWORD dst_unused:UNUSED_PAD src0_sel:WORD_1 src1_sel:DWORD
	v_mov_b32_e32 v27, v14
	v_mov_b32_e32 v26, v13
	v_cmpx_gt_u32_e32 8, v22
; %bb.1246:                             ;   in Loop: Header=BB351_995 Depth=1
	v_ffbh_u32_e32 v21, v13
	v_min_u32_e32 v21, 32, v21
	v_subrev_nc_u32_e32 v22, 28, v21
	v_sub_nc_u32_e32 v21, 29, v21
	v_lshlrev_b64 v[22:23], v22, v[13:14]
	v_and_b32_e32 v26, 7, v22
; %bb.1247:                             ;   in Loop: Header=BB351_995 Depth=1
	s_or_b32 exec_lo, exec_lo, s21
	v_mov_b32_e32 v13, 24
	v_lshlrev_b32_e32 v22, 20, v26
	v_lshl_add_u32 v21, v21, 23, 0x3c000000
	v_lshlrev_b32_sdwa v13, v13, v25 dst_sel:DWORD dst_unused:UNUSED_PAD src0_sel:DWORD src1_sel:WORD_1
	v_and_b32_e32 v13, 0x80000000, v13
	v_or3_b32 v21, v22, v13, v21
.LBB351_1248:                           ;   in Loop: Header=BB351_995 Depth=1
	s_or_b32 exec_lo, exec_lo, s20
.LBB351_1249:                           ;   in Loop: Header=BB351_995 Depth=1
	s_or_b32 exec_lo, exec_lo, s19
.LBB351_1250:                           ;   in Loop: Header=BB351_995 Depth=1
	s_or_b32 exec_lo, exec_lo, s18
	s_mov_b32 s18, exec_lo
	v_cmpx_lt_u64_e64 s[6:7], v[24:25]
	s_cbranch_execz .LBB351_1258
; %bb.1251:                             ;   in Loop: Header=BB351_995 Depth=1
	v_cmp_ne_u32_sdwa s4, v25, v71 src0_sel:BYTE_3 src1_sel:DWORD
	v_bfrev_b32_e32 v18, 1
	s_and_saveexec_b32 s19, s4
	s_cbranch_execz .LBB351_1257
; %bb.1252:                             ;   in Loop: Header=BB351_995 Depth=1
	v_bfe_u32 v22, v25, 24, 7
	v_mov_b32_e32 v18, 0x7f800001
	s_mov_b32 s20, exec_lo
	v_cmpx_ne_u32_e32 0x7f, v22
	s_cbranch_execz .LBB351_1256
; %bb.1253:                             ;   in Loop: Header=BB351_995 Depth=1
	v_mov_b32_e32 v13, 7
	v_lshrrev_b32_e32 v18, 3, v22
	s_mov_b32 s21, exec_lo
	v_and_b32_sdwa v13, v25, v13 dst_sel:DWORD dst_unused:UNUSED_PAD src0_sel:BYTE_3 src1_sel:DWORD
	v_mov_b32_e32 v27, v14
	v_mov_b32_e32 v26, v13
	v_cmpx_gt_u32_e32 8, v22
; %bb.1254:                             ;   in Loop: Header=BB351_995 Depth=1
	v_ffbh_u32_e32 v18, v13
	v_min_u32_e32 v18, 32, v18
	v_subrev_nc_u32_e32 v22, 28, v18
	v_sub_nc_u32_e32 v18, 29, v18
	v_lshlrev_b64 v[22:23], v22, v[13:14]
	v_and_b32_e32 v26, 7, v22
; %bb.1255:                             ;   in Loop: Header=BB351_995 Depth=1
	s_or_b32 exec_lo, exec_lo, s21
	v_mov_b32_e32 v13, 24
	v_lshlrev_b32_e32 v22, 20, v26
	v_lshl_add_u32 v18, v18, 23, 0x3c000000
	v_lshlrev_b32_sdwa v13, v13, v25 dst_sel:DWORD dst_unused:UNUSED_PAD src0_sel:DWORD src1_sel:BYTE_3
	v_and_b32_e32 v13, 0x80000000, v13
	v_or3_b32 v18, v22, v13, v18
.LBB351_1256:                           ;   in Loop: Header=BB351_995 Depth=1
	s_or_b32 exec_lo, exec_lo, s20
.LBB351_1257:                           ;   in Loop: Header=BB351_995 Depth=1
	s_or_b32 exec_lo, exec_lo, s19
.LBB351_1258:                           ;   in Loop: Header=BB351_995 Depth=1
	s_or_b32 exec_lo, exec_lo, s18
	v_mul_f32_e32 v13, v60, v17
	v_mul_f32_e32 v16, v60, v16
	;; [unrolled: 1-line block ×5, first 2 shown]
	v_bfe_u32 v17, v13, 16, 1
	v_or_b32_e32 v22, 0x400000, v13
	v_bfe_u32 v23, v16, 16, 1
	v_cmp_u_f32_e64 s4, v13, v13
	v_or_b32_e32 v24, 0x400000, v16
	v_add3_u32 v17, v17, v13, 0x7fff
	v_bfe_u32 v25, v15, 16, 1
	v_add3_u32 v23, v23, v16, 0x7fff
	v_or_b32_e32 v26, 0x400000, v15
	v_bfe_u32 v27, v12, 16, 1
	v_cndmask_b32_e64 v13, v17, v22, s4
	v_cmp_u_f32_e64 s4, v16, v16
	v_add3_u32 v25, v25, v15, 0x7fff
	v_or_b32_e32 v17, 0x400000, v12
	v_mul_f32_e32 v0, v60, v0
	v_lshrrev_b32_e32 v59, 16, v13
	v_cndmask_b32_e64 v16, v23, v24, s4
	v_cmp_u_f32_e64 s4, v15, v15
	v_add3_u32 v13, v27, v12, 0x7fff
	v_lshrrev_b32_e32 v58, 16, v16
	v_cndmask_b32_e64 v15, v25, v26, s4
	v_cmp_u_f32_e64 s4, v12, v12
	v_or_b32_e32 v16, 0x400000, v1
	v_lshrrev_b32_e32 v62, 16, v15
	v_bfe_u32 v15, v1, 16, 1
	v_cndmask_b32_e64 v12, v13, v17, s4
	v_mul_f32_e32 v13, v60, v21
	v_mul_f32_e32 v17, v60, v18
	v_bfe_u32 v18, v0, 16, 1
	v_add3_u32 v15, v15, v1, 0x7fff
	v_cmp_u_f32_e64 s4, v1, v1
	v_bfe_u32 v21, v13, 16, 1
	v_or_b32_e32 v22, 0x400000, v13
	v_or_b32_e32 v23, 0x400000, v17
	v_lshrrev_b32_e32 v61, 16, v12
	v_cndmask_b32_e64 v1, v15, v16, s4
	v_add3_u32 v16, v18, v0, 0x7fff
	v_or_b32_e32 v18, 0x400000, v0
	v_cmp_u_f32_e64 s4, v0, v0
	v_bfe_u32 v15, v17, 16, 1
	v_add3_u32 v21, v21, v13, 0x7fff
	v_lshrrev_b32_e32 v72, 16, v1
	v_cndmask_b32_e64 v0, v16, v18, s4
	v_cmp_u_f32_e64 s4, v13, v13
	v_add3_u32 v15, v15, v17, 0x7fff
	v_lshrrev_b32_e32 v63, 16, v0
	v_cndmask_b32_e64 v13, v21, v22, s4
	v_cmp_u_f32_e64 s4, v17, v17
	v_lshrrev_b32_e32 v0, 16, v13
	v_cndmask_b32_e64 v15, v15, v23, s4
	buffer_store_dword v0, off, s[0:3], s32 offset:320 ; 4-byte Folded Spill
	v_lshrrev_b32_e32 v0, 16, v15
	buffer_store_dword v0, off, s[0:3], s32 offset:324 ; 4-byte Folded Spill
	s_and_saveexec_b32 s18, vcc_lo
	s_cbranch_execz .LBB351_1260
; %bb.1259:                             ;   in Loop: Header=BB351_995 Depth=1
	buffer_load_dword v0, off, s[0:3], s32 offset:320 ; 4-byte Folded Reload
	v_cmp_lt_i32_e64 s4, v73, v32
	v_cndmask_b32_e64 v63, 0, v63, s4
	v_cmp_lt_i32_e64 s4, v88, v32
	v_cndmask_b32_e64 v72, 0, v72, s4
	;; [unrolled: 2-line block ×6, first 2 shown]
	v_cmp_lt_i32_e64 s4, v75, v32
	s_waitcnt vmcnt(0)
	v_cndmask_b32_e64 v0, 0, v0, s4
	v_cmp_lt_i32_e64 s4, v74, v32
	buffer_store_dword v0, off, s[0:3], s32 offset:320 ; 4-byte Folded Spill
	buffer_load_dword v0, off, s[0:3], s32 offset:324 ; 4-byte Folded Reload
	s_waitcnt vmcnt(0)
	v_cndmask_b32_e64 v0, 0, v0, s4
	buffer_store_dword v0, off, s[0:3], s32 offset:324 ; 4-byte Folded Spill
.LBB351_1260:                           ;   in Loop: Header=BB351_995 Depth=1
	s_or_b32 exec_lo, exec_lo, s18
	flat_load_dwordx2 v[24:25], v[19:20] offset:1024
	v_mov_b32_e32 v1, 0
	v_mov_b32_e32 v0, 0
	s_waitcnt vmcnt(0) lgkmcnt(0)
	v_cmp_ne_u16_sdwa s4, v24, v14 src0_sel:BYTE_0 src1_sel:DWORD
	s_and_saveexec_b32 s18, s4
	s_cbranch_execz .LBB351_1268
; %bb.1261:                             ;   in Loop: Header=BB351_995 Depth=1
	v_cmp_ne_u16_sdwa s4, v24, v71 src0_sel:BYTE_0 src1_sel:DWORD
	v_bfrev_b32_e32 v0, 1
	s_and_saveexec_b32 s19, s4
	s_cbranch_execz .LBB351_1267
; %bb.1262:                             ;   in Loop: Header=BB351_995 Depth=1
	v_and_b32_e32 v12, 0x7f, v24
	v_mov_b32_e32 v0, 0x7f800001
	s_mov_b32 s20, exec_lo
	v_cmpx_ne_u32_e32 0x7f, v12
	s_cbranch_execz .LBB351_1266
; %bb.1263:                             ;   in Loop: Header=BB351_995 Depth=1
	v_mov_b32_e32 v27, v25
	v_lshrrev_b32_e32 v0, 3, v12
	v_mov_b32_e32 v26, v24
	s_mov_b32 s21, exec_lo
	v_cmpx_gt_u32_e32 8, v12
; %bb.1264:                             ;   in Loop: Header=BB351_995 Depth=1
	v_and_b32_e32 v0, 7, v24
	v_ffbh_u32_e32 v0, v0
	v_min_u32_e32 v0, 32, v0
	v_subrev_nc_u32_e32 v12, 28, v0
	v_sub_nc_u32_e32 v0, 29, v0
	v_lshlrev_b64 v[26:27], v12, v[24:25]
; %bb.1265:                             ;   in Loop: Header=BB351_995 Depth=1
	s_or_b32 exec_lo, exec_lo, s21
	v_lshlrev_b32_e32 v12, 20, v26
	v_lshlrev_b32_e32 v13, 24, v24
	v_lshl_add_u32 v0, v0, 23, 0x3c000000
	v_and_b32_e32 v12, 0x700000, v12
	v_and_b32_e32 v13, 0x80000000, v13
	v_or3_b32 v0, v12, v13, v0
.LBB351_1266:                           ;   in Loop: Header=BB351_995 Depth=1
	s_or_b32 exec_lo, exec_lo, s20
.LBB351_1267:                           ;   in Loop: Header=BB351_995 Depth=1
	s_or_b32 exec_lo, exec_lo, s19
.LBB351_1268:                           ;   in Loop: Header=BB351_995 Depth=1
	s_or_b32 exec_lo, exec_lo, s18
	v_cmp_ne_u16_sdwa s4, v24, v14 src0_sel:BYTE_1 src1_sel:DWORD
	s_and_saveexec_b32 s18, s4
	s_cbranch_execz .LBB351_1276
; %bb.1269:                             ;   in Loop: Header=BB351_995 Depth=1
	v_cmp_ne_u16_sdwa s4, v24, v71 src0_sel:BYTE_1 src1_sel:DWORD
	v_bfrev_b32_e32 v1, 1
	s_and_saveexec_b32 s19, s4
	s_cbranch_execz .LBB351_1275
; %bb.1270:                             ;   in Loop: Header=BB351_995 Depth=1
	v_mov_b32_e32 v1, 0xffff
	s_mov_b32 s20, exec_lo
	v_and_b32_sdwa v13, v1, v24 dst_sel:DWORD dst_unused:UNUSED_PAD src0_sel:DWORD src1_sel:BYTE_1
	v_mov_b32_e32 v1, 0x7f800001
	v_and_b32_e32 v12, 0x7f, v13
	v_cmpx_ne_u32_e32 0x7f, v12
	s_cbranch_execz .LBB351_1274
; %bb.1271:                             ;   in Loop: Header=BB351_995 Depth=1
	v_and_b32_e32 v13, 7, v13
	v_mov_b32_e32 v27, v14
	v_lshrrev_b32_e32 v1, 3, v12
	s_mov_b32 s21, exec_lo
	v_mov_b32_e32 v26, v13
	v_cmpx_gt_u32_e32 8, v12
; %bb.1272:                             ;   in Loop: Header=BB351_995 Depth=1
	v_ffbh_u32_e32 v1, v13
	v_min_u32_e32 v1, 32, v1
	v_subrev_nc_u32_e32 v12, 28, v1
	v_sub_nc_u32_e32 v1, 29, v1
	v_lshlrev_b64 v[12:13], v12, v[13:14]
	v_and_b32_e32 v26, 7, v12
; %bb.1273:                             ;   in Loop: Header=BB351_995 Depth=1
	s_or_b32 exec_lo, exec_lo, s21
	v_lshlrev_b32_e32 v12, 16, v24
	v_lshlrev_b32_e32 v13, 20, v26
	v_lshl_add_u32 v1, v1, 23, 0x3c000000
	v_and_b32_e32 v12, 0x80000000, v12
	v_or3_b32 v1, v13, v12, v1
.LBB351_1274:                           ;   in Loop: Header=BB351_995 Depth=1
	s_or_b32 exec_lo, exec_lo, s20
.LBB351_1275:                           ;   in Loop: Header=BB351_995 Depth=1
	s_or_b32 exec_lo, exec_lo, s19
.LBB351_1276:                           ;   in Loop: Header=BB351_995 Depth=1
	s_or_b32 exec_lo, exec_lo, s18
	v_and_b32_sdwa v13, v24, v81 dst_sel:DWORD dst_unused:UNUSED_PAD src0_sel:WORD_1 src1_sel:DWORD
	v_mov_b32_e32 v15, 0
	v_mov_b32_e32 v12, 0
	s_mov_b32 s18, exec_lo
	v_cmpx_ne_u16_e32 0, v13
	s_cbranch_execz .LBB351_1284
; %bb.1277:                             ;   in Loop: Header=BB351_995 Depth=1
	v_bfrev_b32_e32 v12, 1
	s_mov_b32 s19, exec_lo
	v_cmpx_ne_u16_e32 0x80, v13
	s_cbranch_execz .LBB351_1283
; %bb.1278:                             ;   in Loop: Header=BB351_995 Depth=1
	v_bfe_u32 v16, v24, 16, 7
	v_mov_b32_e32 v12, 0x7f800001
	s_mov_b32 s20, exec_lo
	v_cmpx_ne_u32_e32 0x7f, v16
	s_cbranch_execz .LBB351_1282
; %bb.1279:                             ;   in Loop: Header=BB351_995 Depth=1
	v_mov_b32_e32 v12, 7
	s_mov_b32 s21, exec_lo
	v_and_b32_sdwa v13, v24, v12 dst_sel:DWORD dst_unused:UNUSED_PAD src0_sel:WORD_1 src1_sel:DWORD
	v_mov_b32_e32 v27, v14
	v_lshrrev_b32_e32 v12, 3, v16
	v_mov_b32_e32 v26, v13
	v_cmpx_gt_u32_e32 8, v16
; %bb.1280:                             ;   in Loop: Header=BB351_995 Depth=1
	v_ffbh_u32_e32 v12, v13
	v_min_u32_e32 v12, 32, v12
	v_subrev_nc_u32_e32 v16, 28, v12
	v_sub_nc_u32_e32 v12, 29, v12
	v_lshlrev_b64 v[16:17], v16, v[13:14]
	v_and_b32_e32 v26, 7, v16
; %bb.1281:                             ;   in Loop: Header=BB351_995 Depth=1
	s_or_b32 exec_lo, exec_lo, s21
	v_mov_b32_e32 v13, 24
	v_lshlrev_b32_e32 v16, 20, v26
	v_lshl_add_u32 v12, v12, 23, 0x3c000000
	v_lshlrev_b32_sdwa v13, v13, v24 dst_sel:DWORD dst_unused:UNUSED_PAD src0_sel:DWORD src1_sel:WORD_1
	v_and_b32_e32 v13, 0x80000000, v13
	v_or3_b32 v12, v16, v13, v12
.LBB351_1282:                           ;   in Loop: Header=BB351_995 Depth=1
	s_or_b32 exec_lo, exec_lo, s20
.LBB351_1283:                           ;   in Loop: Header=BB351_995 Depth=1
	s_or_b32 exec_lo, exec_lo, s19
.LBB351_1284:                           ;   in Loop: Header=BB351_995 Depth=1
	s_or_b32 exec_lo, exec_lo, s18
	s_mov_b32 s18, exec_lo
	v_cmpx_lt_u32_e32 0xffffff, v24
	s_cbranch_execz .LBB351_1292
; %bb.1285:                             ;   in Loop: Header=BB351_995 Depth=1
	v_cmp_ne_u32_sdwa s4, v24, v71 src0_sel:BYTE_3 src1_sel:DWORD
	v_bfrev_b32_e32 v15, 1
	s_and_saveexec_b32 s19, s4
	s_cbranch_execz .LBB351_1291
; %bb.1286:                             ;   in Loop: Header=BB351_995 Depth=1
	v_bfe_u32 v16, v24, 24, 7
	v_mov_b32_e32 v15, 0x7f800001
	s_mov_b32 s20, exec_lo
	v_cmpx_ne_u32_e32 0x7f, v16
	s_cbranch_execz .LBB351_1290
; %bb.1287:                             ;   in Loop: Header=BB351_995 Depth=1
	v_mov_b32_e32 v13, 7
	v_lshrrev_b32_e32 v15, 3, v16
	s_mov_b32 s21, exec_lo
	v_and_b32_sdwa v13, v24, v13 dst_sel:DWORD dst_unused:UNUSED_PAD src0_sel:BYTE_3 src1_sel:DWORD
	v_mov_b32_e32 v27, v14
	v_mov_b32_e32 v26, v13
	v_cmpx_gt_u32_e32 8, v16
; %bb.1288:                             ;   in Loop: Header=BB351_995 Depth=1
	v_ffbh_u32_e32 v15, v13
	v_min_u32_e32 v15, 32, v15
	v_subrev_nc_u32_e32 v16, 28, v15
	v_sub_nc_u32_e32 v15, 29, v15
	v_lshlrev_b64 v[16:17], v16, v[13:14]
	v_and_b32_e32 v26, 7, v16
; %bb.1289:                             ;   in Loop: Header=BB351_995 Depth=1
	s_or_b32 exec_lo, exec_lo, s21
	v_mov_b32_e32 v13, 24
	v_lshlrev_b32_e32 v16, 20, v26
	v_lshl_add_u32 v15, v15, 23, 0x3c000000
	v_lshlrev_b32_sdwa v13, v13, v24 dst_sel:DWORD dst_unused:UNUSED_PAD src0_sel:DWORD src1_sel:BYTE_3
	v_and_b32_e32 v13, 0x80000000, v13
	v_or3_b32 v15, v16, v13, v15
.LBB351_1290:                           ;   in Loop: Header=BB351_995 Depth=1
	s_or_b32 exec_lo, exec_lo, s20
.LBB351_1291:                           ;   in Loop: Header=BB351_995 Depth=1
	s_or_b32 exec_lo, exec_lo, s19
.LBB351_1292:                           ;   in Loop: Header=BB351_995 Depth=1
	s_or_b32 exec_lo, exec_lo, s18
	v_mov_b32_e32 v13, v25
	v_cmp_ne_u16_sdwa s4, v25, v14 src0_sel:BYTE_0 src1_sel:DWORD
	v_mov_b32_e32 v17, 0
	v_mov_b32_e32 v16, 0
	s_and_saveexec_b32 s18, s4
	s_cbranch_execz .LBB351_1300
; %bb.1293:                             ;   in Loop: Header=BB351_995 Depth=1
	v_cmp_ne_u16_sdwa s4, v25, v71 src0_sel:BYTE_0 src1_sel:DWORD
	v_bfrev_b32_e32 v16, 1
	s_and_saveexec_b32 s19, s4
	s_cbranch_execz .LBB351_1299
; %bb.1294:                             ;   in Loop: Header=BB351_995 Depth=1
	v_and_b32_e32 v18, 0x7f, v25
	v_mov_b32_e32 v16, 0x7f800001
	s_mov_b32 s20, exec_lo
	v_cmpx_ne_u32_e32 0x7f, v18
	s_cbranch_execz .LBB351_1298
; %bb.1295:                             ;   in Loop: Header=BB351_995 Depth=1
	v_mov_b32_e32 v27, v14
	v_lshrrev_b32_e32 v16, 3, v18
	v_mov_b32_e32 v26, v13
	s_mov_b32 s21, exec_lo
	v_cmpx_gt_u32_e32 8, v18
; %bb.1296:                             ;   in Loop: Header=BB351_995 Depth=1
	v_and_b32_e32 v16, 7, v25
	v_ffbh_u32_e32 v16, v16
	v_min_u32_e32 v16, 32, v16
	v_subrev_nc_u32_e32 v18, 28, v16
	v_sub_nc_u32_e32 v16, 29, v16
	v_lshlrev_b64 v[26:27], v18, v[13:14]
; %bb.1297:                             ;   in Loop: Header=BB351_995 Depth=1
	s_or_b32 exec_lo, exec_lo, s21
	v_lshlrev_b32_e32 v18, 20, v26
	v_lshlrev_b32_e32 v21, 24, v13
	v_lshl_add_u32 v16, v16, 23, 0x3c000000
	v_and_b32_e32 v18, 0x700000, v18
	v_and_b32_e32 v21, 0x80000000, v21
	v_or3_b32 v16, v18, v21, v16
.LBB351_1298:                           ;   in Loop: Header=BB351_995 Depth=1
	s_or_b32 exec_lo, exec_lo, s20
.LBB351_1299:                           ;   in Loop: Header=BB351_995 Depth=1
	s_or_b32 exec_lo, exec_lo, s19
.LBB351_1300:                           ;   in Loop: Header=BB351_995 Depth=1
	s_or_b32 exec_lo, exec_lo, s18
	v_cmp_ne_u16_sdwa s4, v13, v14 src0_sel:BYTE_1 src1_sel:DWORD
	s_and_saveexec_b32 s18, s4
	s_cbranch_execz .LBB351_1308
; %bb.1301:                             ;   in Loop: Header=BB351_995 Depth=1
	v_cmp_ne_u16_sdwa s4, v13, v71 src0_sel:BYTE_1 src1_sel:DWORD
	v_bfrev_b32_e32 v17, 1
	s_and_saveexec_b32 s19, s4
	s_cbranch_execz .LBB351_1307
; %bb.1302:                             ;   in Loop: Header=BB351_995 Depth=1
	v_mov_b32_e32 v17, 0xffff
	s_mov_b32 s20, exec_lo
	v_and_b32_sdwa v21, v17, v13 dst_sel:DWORD dst_unused:UNUSED_PAD src0_sel:DWORD src1_sel:BYTE_1
	v_mov_b32_e32 v17, 0x7f800001
	v_and_b32_e32 v18, 0x7f, v21
	v_cmpx_ne_u32_e32 0x7f, v18
	s_cbranch_execz .LBB351_1306
; %bb.1303:                             ;   in Loop: Header=BB351_995 Depth=1
	v_and_b32_e32 v26, 7, v21
	v_mov_b32_e32 v27, v14
	v_lshrrev_b32_e32 v17, 3, v18
	s_mov_b32 s21, exec_lo
	v_cmpx_gt_u32_e32 8, v18
; %bb.1304:                             ;   in Loop: Header=BB351_995 Depth=1
	v_ffbh_u32_e32 v17, v26
	v_min_u32_e32 v17, 32, v17
	v_subrev_nc_u32_e32 v18, 28, v17
	v_sub_nc_u32_e32 v17, 29, v17
	v_lshlrev_b64 v[21:22], v18, v[26:27]
	v_and_b32_e32 v26, 7, v21
; %bb.1305:                             ;   in Loop: Header=BB351_995 Depth=1
	s_or_b32 exec_lo, exec_lo, s21
	v_lshlrev_b32_e32 v13, 16, v13
	v_lshlrev_b32_e32 v18, 20, v26
	v_lshl_add_u32 v17, v17, 23, 0x3c000000
	v_and_b32_e32 v13, 0x80000000, v13
	v_or3_b32 v17, v18, v13, v17
.LBB351_1306:                           ;   in Loop: Header=BB351_995 Depth=1
	s_or_b32 exec_lo, exec_lo, s20
.LBB351_1307:                           ;   in Loop: Header=BB351_995 Depth=1
	s_or_b32 exec_lo, exec_lo, s19
.LBB351_1308:                           ;   in Loop: Header=BB351_995 Depth=1
	s_or_b32 exec_lo, exec_lo, s18
	v_and_b32_sdwa v13, v25, v81 dst_sel:DWORD dst_unused:UNUSED_PAD src0_sel:WORD_1 src1_sel:DWORD
	v_mov_b32_e32 v18, 0
	v_mov_b32_e32 v21, 0
	s_mov_b32 s18, exec_lo
	v_cmpx_ne_u16_e32 0, v13
	s_cbranch_execz .LBB351_1316
; %bb.1309:                             ;   in Loop: Header=BB351_995 Depth=1
	v_bfrev_b32_e32 v21, 1
	s_mov_b32 s19, exec_lo
	v_cmpx_ne_u16_e32 0x80, v13
	s_cbranch_execz .LBB351_1315
; %bb.1310:                             ;   in Loop: Header=BB351_995 Depth=1
	v_bfe_u32 v22, v25, 16, 7
	v_mov_b32_e32 v21, 0x7f800001
	s_mov_b32 s20, exec_lo
	v_cmpx_ne_u32_e32 0x7f, v22
	s_cbranch_execz .LBB351_1314
; %bb.1311:                             ;   in Loop: Header=BB351_995 Depth=1
	v_mov_b32_e32 v13, 7
	v_lshrrev_b32_e32 v21, 3, v22
	s_mov_b32 s21, exec_lo
	v_and_b32_sdwa v13, v25, v13 dst_sel:DWORD dst_unused:UNUSED_PAD src0_sel:WORD_1 src1_sel:DWORD
	v_mov_b32_e32 v27, v14
	v_mov_b32_e32 v26, v13
	v_cmpx_gt_u32_e32 8, v22
; %bb.1312:                             ;   in Loop: Header=BB351_995 Depth=1
	v_ffbh_u32_e32 v21, v13
	v_min_u32_e32 v21, 32, v21
	v_subrev_nc_u32_e32 v22, 28, v21
	v_sub_nc_u32_e32 v21, 29, v21
	v_lshlrev_b64 v[22:23], v22, v[13:14]
	v_and_b32_e32 v26, 7, v22
; %bb.1313:                             ;   in Loop: Header=BB351_995 Depth=1
	s_or_b32 exec_lo, exec_lo, s21
	v_mov_b32_e32 v13, 24
	v_lshlrev_b32_e32 v22, 20, v26
	v_lshl_add_u32 v21, v21, 23, 0x3c000000
	v_lshlrev_b32_sdwa v13, v13, v25 dst_sel:DWORD dst_unused:UNUSED_PAD src0_sel:DWORD src1_sel:WORD_1
	v_and_b32_e32 v13, 0x80000000, v13
	v_or3_b32 v21, v22, v13, v21
.LBB351_1314:                           ;   in Loop: Header=BB351_995 Depth=1
	s_or_b32 exec_lo, exec_lo, s20
.LBB351_1315:                           ;   in Loop: Header=BB351_995 Depth=1
	s_or_b32 exec_lo, exec_lo, s19
.LBB351_1316:                           ;   in Loop: Header=BB351_995 Depth=1
	s_or_b32 exec_lo, exec_lo, s18
	s_mov_b32 s18, exec_lo
	v_cmpx_lt_u64_e64 s[6:7], v[24:25]
	s_cbranch_execz .LBB351_1324
; %bb.1317:                             ;   in Loop: Header=BB351_995 Depth=1
	v_cmp_ne_u32_sdwa s4, v25, v71 src0_sel:BYTE_3 src1_sel:DWORD
	v_bfrev_b32_e32 v18, 1
	s_and_saveexec_b32 s19, s4
	s_cbranch_execz .LBB351_1323
; %bb.1318:                             ;   in Loop: Header=BB351_995 Depth=1
	v_bfe_u32 v22, v25, 24, 7
	v_mov_b32_e32 v18, 0x7f800001
	s_mov_b32 s20, exec_lo
	v_cmpx_ne_u32_e32 0x7f, v22
	s_cbranch_execz .LBB351_1322
; %bb.1319:                             ;   in Loop: Header=BB351_995 Depth=1
	v_mov_b32_e32 v13, 7
	v_lshrrev_b32_e32 v18, 3, v22
	s_mov_b32 s21, exec_lo
	v_and_b32_sdwa v13, v25, v13 dst_sel:DWORD dst_unused:UNUSED_PAD src0_sel:BYTE_3 src1_sel:DWORD
	v_mov_b32_e32 v27, v14
	v_mov_b32_e32 v26, v13
	v_cmpx_gt_u32_e32 8, v22
; %bb.1320:                             ;   in Loop: Header=BB351_995 Depth=1
	v_ffbh_u32_e32 v18, v13
	v_min_u32_e32 v18, 32, v18
	v_subrev_nc_u32_e32 v22, 28, v18
	v_sub_nc_u32_e32 v18, 29, v18
	v_lshlrev_b64 v[22:23], v22, v[13:14]
	v_and_b32_e32 v26, 7, v22
; %bb.1321:                             ;   in Loop: Header=BB351_995 Depth=1
	s_or_b32 exec_lo, exec_lo, s21
	v_mov_b32_e32 v13, 24
	v_lshlrev_b32_e32 v22, 20, v26
	v_lshl_add_u32 v18, v18, 23, 0x3c000000
	v_lshlrev_b32_sdwa v13, v13, v25 dst_sel:DWORD dst_unused:UNUSED_PAD src0_sel:DWORD src1_sel:BYTE_3
	v_and_b32_e32 v13, 0x80000000, v13
	v_or3_b32 v18, v22, v13, v18
.LBB351_1322:                           ;   in Loop: Header=BB351_995 Depth=1
	s_or_b32 exec_lo, exec_lo, s20
.LBB351_1323:                           ;   in Loop: Header=BB351_995 Depth=1
	s_or_b32 exec_lo, exec_lo, s19
.LBB351_1324:                           ;   in Loop: Header=BB351_995 Depth=1
	s_or_b32 exec_lo, exec_lo, s18
	v_mul_f32_e32 v13, v60, v17
	v_mul_f32_e32 v16, v60, v16
	v_mul_f32_e32 v15, v60, v15
	v_mul_f32_e32 v12, v60, v12
	v_mul_f32_e32 v1, v60, v1
	v_bfe_u32 v17, v13, 16, 1
	v_or_b32_e32 v22, 0x400000, v13
	v_bfe_u32 v23, v16, 16, 1
	v_cmp_u_f32_e64 s4, v13, v13
	v_or_b32_e32 v24, 0x400000, v16
	v_add3_u32 v17, v17, v13, 0x7fff
	v_bfe_u32 v25, v15, 16, 1
	v_add3_u32 v23, v23, v16, 0x7fff
	v_or_b32_e32 v26, 0x400000, v15
	v_bfe_u32 v27, v12, 16, 1
	v_cndmask_b32_e64 v13, v17, v22, s4
	v_cmp_u_f32_e64 s4, v16, v16
	v_add3_u32 v25, v25, v15, 0x7fff
	v_or_b32_e32 v17, 0x400000, v12
	v_mul_f32_e32 v0, v60, v0
	v_lshrrev_b32_e32 v91, 16, v13
	v_cndmask_b32_e64 v16, v23, v24, s4
	v_cmp_u_f32_e64 s4, v15, v15
	v_add3_u32 v13, v27, v12, 0x7fff
	v_lshrrev_b32_e32 v89, 16, v16
	v_cndmask_b32_e64 v15, v25, v26, s4
	v_cmp_u_f32_e64 s4, v12, v12
	v_or_b32_e32 v16, 0x400000, v1
	v_lshrrev_b32_e32 v93, 16, v15
	v_bfe_u32 v15, v1, 16, 1
	v_cndmask_b32_e64 v12, v13, v17, s4
	v_mul_f32_e32 v13, v60, v21
	v_mul_f32_e32 v17, v60, v18
	v_bfe_u32 v18, v0, 16, 1
	v_add3_u32 v15, v15, v1, 0x7fff
	v_cmp_u_f32_e64 s4, v1, v1
	v_bfe_u32 v21, v13, 16, 1
	v_or_b32_e32 v22, 0x400000, v13
	v_or_b32_e32 v23, 0x400000, v17
	v_lshrrev_b32_e32 v94, 16, v12
	v_cndmask_b32_e64 v1, v15, v16, s4
	v_add3_u32 v16, v18, v0, 0x7fff
	v_or_b32_e32 v18, 0x400000, v0
	v_cmp_u_f32_e64 s4, v0, v0
	v_bfe_u32 v15, v17, 16, 1
	v_add3_u32 v21, v21, v13, 0x7fff
	v_lshrrev_b32_e32 v104, 16, v1
	v_cndmask_b32_e64 v0, v16, v18, s4
	v_cmp_u_f32_e64 s4, v13, v13
	v_add3_u32 v15, v15, v17, 0x7fff
	v_lshrrev_b32_e32 v95, 16, v0
	v_cndmask_b32_e64 v13, v21, v22, s4
	v_cmp_u_f32_e64 s4, v17, v17
	v_lshrrev_b32_e32 v90, 16, v13
	v_cndmask_b32_e64 v15, v15, v23, s4
	v_lshrrev_b32_e32 v92, 16, v15
	s_and_saveexec_b32 s18, vcc_lo
	s_cbranch_execz .LBB351_1326
; %bb.1325:                             ;   in Loop: Header=BB351_995 Depth=1
	v_cmp_lt_i32_e64 s4, v73, v32
	v_cndmask_b32_e64 v95, 0, v95, s4
	v_cmp_lt_i32_e64 s4, v88, v32
	v_cndmask_b32_e64 v104, 0, v104, s4
	;; [unrolled: 2-line block ×8, first 2 shown]
.LBB351_1326:                           ;   in Loop: Header=BB351_995 Depth=1
	s_or_b32 exec_lo, exec_lo, s18
	flat_load_dwordx2 v[24:25], v[19:20] offset:1280
	v_mov_b32_e32 v1, 0
	v_mov_b32_e32 v0, 0
	s_waitcnt vmcnt(0) lgkmcnt(0)
	v_cmp_ne_u16_sdwa s4, v24, v14 src0_sel:BYTE_0 src1_sel:DWORD
	s_and_saveexec_b32 s18, s4
	s_cbranch_execz .LBB351_1334
; %bb.1327:                             ;   in Loop: Header=BB351_995 Depth=1
	v_cmp_ne_u16_sdwa s4, v24, v71 src0_sel:BYTE_0 src1_sel:DWORD
	v_bfrev_b32_e32 v0, 1
	s_and_saveexec_b32 s19, s4
	s_cbranch_execz .LBB351_1333
; %bb.1328:                             ;   in Loop: Header=BB351_995 Depth=1
	v_and_b32_e32 v12, 0x7f, v24
	v_mov_b32_e32 v0, 0x7f800001
	s_mov_b32 s20, exec_lo
	v_cmpx_ne_u32_e32 0x7f, v12
	s_cbranch_execz .LBB351_1332
; %bb.1329:                             ;   in Loop: Header=BB351_995 Depth=1
	v_mov_b32_e32 v27, v25
	v_lshrrev_b32_e32 v0, 3, v12
	v_mov_b32_e32 v26, v24
	s_mov_b32 s21, exec_lo
	v_cmpx_gt_u32_e32 8, v12
; %bb.1330:                             ;   in Loop: Header=BB351_995 Depth=1
	v_and_b32_e32 v0, 7, v24
	v_ffbh_u32_e32 v0, v0
	v_min_u32_e32 v0, 32, v0
	v_subrev_nc_u32_e32 v12, 28, v0
	v_sub_nc_u32_e32 v0, 29, v0
	v_lshlrev_b64 v[26:27], v12, v[24:25]
; %bb.1331:                             ;   in Loop: Header=BB351_995 Depth=1
	s_or_b32 exec_lo, exec_lo, s21
	v_lshlrev_b32_e32 v12, 20, v26
	v_lshlrev_b32_e32 v13, 24, v24
	v_lshl_add_u32 v0, v0, 23, 0x3c000000
	v_and_b32_e32 v12, 0x700000, v12
	v_and_b32_e32 v13, 0x80000000, v13
	v_or3_b32 v0, v12, v13, v0
.LBB351_1332:                           ;   in Loop: Header=BB351_995 Depth=1
	s_or_b32 exec_lo, exec_lo, s20
.LBB351_1333:                           ;   in Loop: Header=BB351_995 Depth=1
	s_or_b32 exec_lo, exec_lo, s19
.LBB351_1334:                           ;   in Loop: Header=BB351_995 Depth=1
	s_or_b32 exec_lo, exec_lo, s18
	v_cmp_ne_u16_sdwa s4, v24, v14 src0_sel:BYTE_1 src1_sel:DWORD
	s_and_saveexec_b32 s18, s4
	s_cbranch_execz .LBB351_1342
; %bb.1335:                             ;   in Loop: Header=BB351_995 Depth=1
	v_cmp_ne_u16_sdwa s4, v24, v71 src0_sel:BYTE_1 src1_sel:DWORD
	v_bfrev_b32_e32 v1, 1
	s_and_saveexec_b32 s19, s4
	s_cbranch_execz .LBB351_1341
; %bb.1336:                             ;   in Loop: Header=BB351_995 Depth=1
	v_mov_b32_e32 v1, 0xffff
	s_mov_b32 s20, exec_lo
	v_and_b32_sdwa v13, v1, v24 dst_sel:DWORD dst_unused:UNUSED_PAD src0_sel:DWORD src1_sel:BYTE_1
	v_mov_b32_e32 v1, 0x7f800001
	v_and_b32_e32 v12, 0x7f, v13
	v_cmpx_ne_u32_e32 0x7f, v12
	s_cbranch_execz .LBB351_1340
; %bb.1337:                             ;   in Loop: Header=BB351_995 Depth=1
	v_and_b32_e32 v13, 7, v13
	v_mov_b32_e32 v27, v14
	v_lshrrev_b32_e32 v1, 3, v12
	s_mov_b32 s21, exec_lo
	v_mov_b32_e32 v26, v13
	v_cmpx_gt_u32_e32 8, v12
; %bb.1338:                             ;   in Loop: Header=BB351_995 Depth=1
	v_ffbh_u32_e32 v1, v13
	v_min_u32_e32 v1, 32, v1
	v_subrev_nc_u32_e32 v12, 28, v1
	v_sub_nc_u32_e32 v1, 29, v1
	v_lshlrev_b64 v[12:13], v12, v[13:14]
	v_and_b32_e32 v26, 7, v12
; %bb.1339:                             ;   in Loop: Header=BB351_995 Depth=1
	s_or_b32 exec_lo, exec_lo, s21
	v_lshlrev_b32_e32 v12, 16, v24
	v_lshlrev_b32_e32 v13, 20, v26
	v_lshl_add_u32 v1, v1, 23, 0x3c000000
	v_and_b32_e32 v12, 0x80000000, v12
	v_or3_b32 v1, v13, v12, v1
.LBB351_1340:                           ;   in Loop: Header=BB351_995 Depth=1
	s_or_b32 exec_lo, exec_lo, s20
.LBB351_1341:                           ;   in Loop: Header=BB351_995 Depth=1
	s_or_b32 exec_lo, exec_lo, s19
.LBB351_1342:                           ;   in Loop: Header=BB351_995 Depth=1
	s_or_b32 exec_lo, exec_lo, s18
	v_and_b32_sdwa v13, v24, v81 dst_sel:DWORD dst_unused:UNUSED_PAD src0_sel:WORD_1 src1_sel:DWORD
	v_mov_b32_e32 v15, 0
	v_mov_b32_e32 v12, 0
	s_mov_b32 s18, exec_lo
	v_cmpx_ne_u16_e32 0, v13
	s_cbranch_execz .LBB351_1350
; %bb.1343:                             ;   in Loop: Header=BB351_995 Depth=1
	v_bfrev_b32_e32 v12, 1
	s_mov_b32 s19, exec_lo
	v_cmpx_ne_u16_e32 0x80, v13
	s_cbranch_execz .LBB351_1349
; %bb.1344:                             ;   in Loop: Header=BB351_995 Depth=1
	v_bfe_u32 v16, v24, 16, 7
	v_mov_b32_e32 v12, 0x7f800001
	s_mov_b32 s20, exec_lo
	v_cmpx_ne_u32_e32 0x7f, v16
	s_cbranch_execz .LBB351_1348
; %bb.1345:                             ;   in Loop: Header=BB351_995 Depth=1
	v_mov_b32_e32 v12, 7
	s_mov_b32 s21, exec_lo
	v_and_b32_sdwa v13, v24, v12 dst_sel:DWORD dst_unused:UNUSED_PAD src0_sel:WORD_1 src1_sel:DWORD
	v_mov_b32_e32 v27, v14
	v_lshrrev_b32_e32 v12, 3, v16
	v_mov_b32_e32 v26, v13
	v_cmpx_gt_u32_e32 8, v16
; %bb.1346:                             ;   in Loop: Header=BB351_995 Depth=1
	v_ffbh_u32_e32 v12, v13
	v_min_u32_e32 v12, 32, v12
	v_subrev_nc_u32_e32 v16, 28, v12
	v_sub_nc_u32_e32 v12, 29, v12
	v_lshlrev_b64 v[16:17], v16, v[13:14]
	v_and_b32_e32 v26, 7, v16
; %bb.1347:                             ;   in Loop: Header=BB351_995 Depth=1
	s_or_b32 exec_lo, exec_lo, s21
	v_mov_b32_e32 v13, 24
	v_lshlrev_b32_e32 v16, 20, v26
	v_lshl_add_u32 v12, v12, 23, 0x3c000000
	v_lshlrev_b32_sdwa v13, v13, v24 dst_sel:DWORD dst_unused:UNUSED_PAD src0_sel:DWORD src1_sel:WORD_1
	v_and_b32_e32 v13, 0x80000000, v13
	v_or3_b32 v12, v16, v13, v12
.LBB351_1348:                           ;   in Loop: Header=BB351_995 Depth=1
	s_or_b32 exec_lo, exec_lo, s20
.LBB351_1349:                           ;   in Loop: Header=BB351_995 Depth=1
	s_or_b32 exec_lo, exec_lo, s19
.LBB351_1350:                           ;   in Loop: Header=BB351_995 Depth=1
	s_or_b32 exec_lo, exec_lo, s18
	s_mov_b32 s18, exec_lo
	v_cmpx_lt_u32_e32 0xffffff, v24
	s_cbranch_execz .LBB351_1358
; %bb.1351:                             ;   in Loop: Header=BB351_995 Depth=1
	v_cmp_ne_u32_sdwa s4, v24, v71 src0_sel:BYTE_3 src1_sel:DWORD
	v_bfrev_b32_e32 v15, 1
	s_and_saveexec_b32 s19, s4
	s_cbranch_execz .LBB351_1357
; %bb.1352:                             ;   in Loop: Header=BB351_995 Depth=1
	v_bfe_u32 v16, v24, 24, 7
	v_mov_b32_e32 v15, 0x7f800001
	s_mov_b32 s20, exec_lo
	v_cmpx_ne_u32_e32 0x7f, v16
	s_cbranch_execz .LBB351_1356
; %bb.1353:                             ;   in Loop: Header=BB351_995 Depth=1
	v_mov_b32_e32 v13, 7
	v_lshrrev_b32_e32 v15, 3, v16
	s_mov_b32 s21, exec_lo
	v_and_b32_sdwa v13, v24, v13 dst_sel:DWORD dst_unused:UNUSED_PAD src0_sel:BYTE_3 src1_sel:DWORD
	v_mov_b32_e32 v27, v14
	v_mov_b32_e32 v26, v13
	v_cmpx_gt_u32_e32 8, v16
; %bb.1354:                             ;   in Loop: Header=BB351_995 Depth=1
	v_ffbh_u32_e32 v15, v13
	v_min_u32_e32 v15, 32, v15
	v_subrev_nc_u32_e32 v16, 28, v15
	v_sub_nc_u32_e32 v15, 29, v15
	v_lshlrev_b64 v[16:17], v16, v[13:14]
	v_and_b32_e32 v26, 7, v16
; %bb.1355:                             ;   in Loop: Header=BB351_995 Depth=1
	s_or_b32 exec_lo, exec_lo, s21
	v_mov_b32_e32 v13, 24
	v_lshlrev_b32_e32 v16, 20, v26
	v_lshl_add_u32 v15, v15, 23, 0x3c000000
	v_lshlrev_b32_sdwa v13, v13, v24 dst_sel:DWORD dst_unused:UNUSED_PAD src0_sel:DWORD src1_sel:BYTE_3
	v_and_b32_e32 v13, 0x80000000, v13
	v_or3_b32 v15, v16, v13, v15
.LBB351_1356:                           ;   in Loop: Header=BB351_995 Depth=1
	s_or_b32 exec_lo, exec_lo, s20
.LBB351_1357:                           ;   in Loop: Header=BB351_995 Depth=1
	s_or_b32 exec_lo, exec_lo, s19
.LBB351_1358:                           ;   in Loop: Header=BB351_995 Depth=1
	s_or_b32 exec_lo, exec_lo, s18
	v_mov_b32_e32 v13, v25
	v_cmp_ne_u16_sdwa s4, v25, v14 src0_sel:BYTE_0 src1_sel:DWORD
	v_mov_b32_e32 v17, 0
	v_mov_b32_e32 v16, 0
	s_and_saveexec_b32 s18, s4
	s_cbranch_execz .LBB351_1366
; %bb.1359:                             ;   in Loop: Header=BB351_995 Depth=1
	v_cmp_ne_u16_sdwa s4, v25, v71 src0_sel:BYTE_0 src1_sel:DWORD
	v_bfrev_b32_e32 v16, 1
	s_and_saveexec_b32 s19, s4
	s_cbranch_execz .LBB351_1365
; %bb.1360:                             ;   in Loop: Header=BB351_995 Depth=1
	v_and_b32_e32 v18, 0x7f, v25
	v_mov_b32_e32 v16, 0x7f800001
	s_mov_b32 s20, exec_lo
	v_cmpx_ne_u32_e32 0x7f, v18
	s_cbranch_execz .LBB351_1364
; %bb.1361:                             ;   in Loop: Header=BB351_995 Depth=1
	v_mov_b32_e32 v27, v14
	v_lshrrev_b32_e32 v16, 3, v18
	v_mov_b32_e32 v26, v13
	s_mov_b32 s21, exec_lo
	v_cmpx_gt_u32_e32 8, v18
; %bb.1362:                             ;   in Loop: Header=BB351_995 Depth=1
	v_and_b32_e32 v16, 7, v25
	v_ffbh_u32_e32 v16, v16
	v_min_u32_e32 v16, 32, v16
	v_subrev_nc_u32_e32 v18, 28, v16
	v_sub_nc_u32_e32 v16, 29, v16
	v_lshlrev_b64 v[26:27], v18, v[13:14]
; %bb.1363:                             ;   in Loop: Header=BB351_995 Depth=1
	s_or_b32 exec_lo, exec_lo, s21
	v_lshlrev_b32_e32 v18, 20, v26
	v_lshlrev_b32_e32 v21, 24, v13
	v_lshl_add_u32 v16, v16, 23, 0x3c000000
	v_and_b32_e32 v18, 0x700000, v18
	v_and_b32_e32 v21, 0x80000000, v21
	v_or3_b32 v16, v18, v21, v16
.LBB351_1364:                           ;   in Loop: Header=BB351_995 Depth=1
	s_or_b32 exec_lo, exec_lo, s20
.LBB351_1365:                           ;   in Loop: Header=BB351_995 Depth=1
	s_or_b32 exec_lo, exec_lo, s19
.LBB351_1366:                           ;   in Loop: Header=BB351_995 Depth=1
	s_or_b32 exec_lo, exec_lo, s18
	v_cmp_ne_u16_sdwa s4, v13, v14 src0_sel:BYTE_1 src1_sel:DWORD
	s_and_saveexec_b32 s18, s4
	s_cbranch_execz .LBB351_1374
; %bb.1367:                             ;   in Loop: Header=BB351_995 Depth=1
	v_cmp_ne_u16_sdwa s4, v13, v71 src0_sel:BYTE_1 src1_sel:DWORD
	v_bfrev_b32_e32 v17, 1
	s_and_saveexec_b32 s19, s4
	s_cbranch_execz .LBB351_1373
; %bb.1368:                             ;   in Loop: Header=BB351_995 Depth=1
	v_mov_b32_e32 v17, 0xffff
	s_mov_b32 s20, exec_lo
	v_and_b32_sdwa v21, v17, v13 dst_sel:DWORD dst_unused:UNUSED_PAD src0_sel:DWORD src1_sel:BYTE_1
	v_mov_b32_e32 v17, 0x7f800001
	v_and_b32_e32 v18, 0x7f, v21
	v_cmpx_ne_u32_e32 0x7f, v18
	s_cbranch_execz .LBB351_1372
; %bb.1369:                             ;   in Loop: Header=BB351_995 Depth=1
	v_and_b32_e32 v26, 7, v21
	v_mov_b32_e32 v27, v14
	v_lshrrev_b32_e32 v17, 3, v18
	s_mov_b32 s21, exec_lo
	v_cmpx_gt_u32_e32 8, v18
; %bb.1370:                             ;   in Loop: Header=BB351_995 Depth=1
	v_ffbh_u32_e32 v17, v26
	v_min_u32_e32 v17, 32, v17
	v_subrev_nc_u32_e32 v18, 28, v17
	v_sub_nc_u32_e32 v17, 29, v17
	v_lshlrev_b64 v[21:22], v18, v[26:27]
	v_and_b32_e32 v26, 7, v21
; %bb.1371:                             ;   in Loop: Header=BB351_995 Depth=1
	s_or_b32 exec_lo, exec_lo, s21
	v_lshlrev_b32_e32 v13, 16, v13
	v_lshlrev_b32_e32 v18, 20, v26
	v_lshl_add_u32 v17, v17, 23, 0x3c000000
	v_and_b32_e32 v13, 0x80000000, v13
	v_or3_b32 v17, v18, v13, v17
.LBB351_1372:                           ;   in Loop: Header=BB351_995 Depth=1
	s_or_b32 exec_lo, exec_lo, s20
.LBB351_1373:                           ;   in Loop: Header=BB351_995 Depth=1
	s_or_b32 exec_lo, exec_lo, s19
.LBB351_1374:                           ;   in Loop: Header=BB351_995 Depth=1
	s_or_b32 exec_lo, exec_lo, s18
	v_and_b32_sdwa v13, v25, v81 dst_sel:DWORD dst_unused:UNUSED_PAD src0_sel:WORD_1 src1_sel:DWORD
	v_mov_b32_e32 v18, 0
	v_mov_b32_e32 v21, 0
	s_mov_b32 s18, exec_lo
	v_cmpx_ne_u16_e32 0, v13
	s_cbranch_execz .LBB351_1382
; %bb.1375:                             ;   in Loop: Header=BB351_995 Depth=1
	v_bfrev_b32_e32 v21, 1
	s_mov_b32 s19, exec_lo
	v_cmpx_ne_u16_e32 0x80, v13
	s_cbranch_execz .LBB351_1381
; %bb.1376:                             ;   in Loop: Header=BB351_995 Depth=1
	v_bfe_u32 v22, v25, 16, 7
	v_mov_b32_e32 v21, 0x7f800001
	s_mov_b32 s20, exec_lo
	v_cmpx_ne_u32_e32 0x7f, v22
	s_cbranch_execz .LBB351_1380
; %bb.1377:                             ;   in Loop: Header=BB351_995 Depth=1
	v_mov_b32_e32 v13, 7
	v_lshrrev_b32_e32 v21, 3, v22
	s_mov_b32 s21, exec_lo
	v_and_b32_sdwa v13, v25, v13 dst_sel:DWORD dst_unused:UNUSED_PAD src0_sel:WORD_1 src1_sel:DWORD
	v_mov_b32_e32 v27, v14
	v_mov_b32_e32 v26, v13
	v_cmpx_gt_u32_e32 8, v22
; %bb.1378:                             ;   in Loop: Header=BB351_995 Depth=1
	v_ffbh_u32_e32 v21, v13
	v_min_u32_e32 v21, 32, v21
	v_subrev_nc_u32_e32 v22, 28, v21
	v_sub_nc_u32_e32 v21, 29, v21
	v_lshlrev_b64 v[22:23], v22, v[13:14]
	v_and_b32_e32 v26, 7, v22
; %bb.1379:                             ;   in Loop: Header=BB351_995 Depth=1
	s_or_b32 exec_lo, exec_lo, s21
	v_mov_b32_e32 v13, 24
	v_lshlrev_b32_e32 v22, 20, v26
	v_lshl_add_u32 v21, v21, 23, 0x3c000000
	v_lshlrev_b32_sdwa v13, v13, v25 dst_sel:DWORD dst_unused:UNUSED_PAD src0_sel:DWORD src1_sel:WORD_1
	v_and_b32_e32 v13, 0x80000000, v13
	v_or3_b32 v21, v22, v13, v21
.LBB351_1380:                           ;   in Loop: Header=BB351_995 Depth=1
	s_or_b32 exec_lo, exec_lo, s20
.LBB351_1381:                           ;   in Loop: Header=BB351_995 Depth=1
	s_or_b32 exec_lo, exec_lo, s19
.LBB351_1382:                           ;   in Loop: Header=BB351_995 Depth=1
	s_or_b32 exec_lo, exec_lo, s18
	s_mov_b32 s18, exec_lo
	v_cmpx_lt_u64_e64 s[6:7], v[24:25]
	s_cbranch_execz .LBB351_1390
; %bb.1383:                             ;   in Loop: Header=BB351_995 Depth=1
	v_cmp_ne_u32_sdwa s4, v25, v71 src0_sel:BYTE_3 src1_sel:DWORD
	v_bfrev_b32_e32 v18, 1
	s_and_saveexec_b32 s19, s4
	s_cbranch_execz .LBB351_1389
; %bb.1384:                             ;   in Loop: Header=BB351_995 Depth=1
	v_bfe_u32 v22, v25, 24, 7
	v_mov_b32_e32 v18, 0x7f800001
	s_mov_b32 s20, exec_lo
	v_cmpx_ne_u32_e32 0x7f, v22
	s_cbranch_execz .LBB351_1388
; %bb.1385:                             ;   in Loop: Header=BB351_995 Depth=1
	v_mov_b32_e32 v13, 7
	v_lshrrev_b32_e32 v18, 3, v22
	s_mov_b32 s21, exec_lo
	v_and_b32_sdwa v13, v25, v13 dst_sel:DWORD dst_unused:UNUSED_PAD src0_sel:BYTE_3 src1_sel:DWORD
	v_mov_b32_e32 v27, v14
	v_mov_b32_e32 v26, v13
	v_cmpx_gt_u32_e32 8, v22
; %bb.1386:                             ;   in Loop: Header=BB351_995 Depth=1
	v_ffbh_u32_e32 v18, v13
	v_min_u32_e32 v18, 32, v18
	v_subrev_nc_u32_e32 v22, 28, v18
	v_sub_nc_u32_e32 v18, 29, v18
	v_lshlrev_b64 v[22:23], v22, v[13:14]
	v_and_b32_e32 v26, 7, v22
; %bb.1387:                             ;   in Loop: Header=BB351_995 Depth=1
	s_or_b32 exec_lo, exec_lo, s21
	v_mov_b32_e32 v13, 24
	v_lshlrev_b32_e32 v22, 20, v26
	v_lshl_add_u32 v18, v18, 23, 0x3c000000
	v_lshlrev_b32_sdwa v13, v13, v25 dst_sel:DWORD dst_unused:UNUSED_PAD src0_sel:DWORD src1_sel:BYTE_3
	v_and_b32_e32 v13, 0x80000000, v13
	v_or3_b32 v18, v22, v13, v18
.LBB351_1388:                           ;   in Loop: Header=BB351_995 Depth=1
	s_or_b32 exec_lo, exec_lo, s20
.LBB351_1389:                           ;   in Loop: Header=BB351_995 Depth=1
	s_or_b32 exec_lo, exec_lo, s19
.LBB351_1390:                           ;   in Loop: Header=BB351_995 Depth=1
	s_or_b32 exec_lo, exec_lo, s18
	v_mul_f32_e32 v13, v60, v17
	v_mul_f32_e32 v16, v60, v16
	;; [unrolled: 1-line block ×5, first 2 shown]
	v_bfe_u32 v17, v13, 16, 1
	v_or_b32_e32 v22, 0x400000, v13
	v_bfe_u32 v23, v16, 16, 1
	v_cmp_u_f32_e64 s4, v13, v13
	v_or_b32_e32 v24, 0x400000, v16
	v_add3_u32 v17, v17, v13, 0x7fff
	v_bfe_u32 v25, v15, 16, 1
	v_add3_u32 v23, v23, v16, 0x7fff
	v_or_b32_e32 v26, 0x400000, v15
	v_bfe_u32 v27, v12, 16, 1
	v_cndmask_b32_e64 v13, v17, v22, s4
	v_cmp_u_f32_e64 s4, v16, v16
	v_add3_u32 v25, v25, v15, 0x7fff
	v_or_b32_e32 v17, 0x400000, v12
	v_mul_f32_e32 v0, v60, v0
	v_lshrrev_b32_e32 v106, 16, v13
	v_cndmask_b32_e64 v16, v23, v24, s4
	v_cmp_u_f32_e64 s4, v15, v15
	v_add3_u32 v13, v27, v12, 0x7fff
	v_lshrrev_b32_e32 v105, 16, v16
	v_cndmask_b32_e64 v15, v25, v26, s4
	v_cmp_u_f32_e64 s4, v12, v12
	v_or_b32_e32 v16, 0x400000, v1
	v_lshrrev_b32_e32 v109, 16, v15
	v_bfe_u32 v15, v1, 16, 1
	v_cndmask_b32_e64 v12, v13, v17, s4
	v_mul_f32_e32 v13, v60, v21
	v_mul_f32_e32 v17, v60, v18
	v_bfe_u32 v18, v0, 16, 1
	v_add3_u32 v15, v15, v1, 0x7fff
	v_cmp_u_f32_e64 s4, v1, v1
	v_bfe_u32 v21, v13, 16, 1
	v_or_b32_e32 v22, 0x400000, v13
	v_or_b32_e32 v23, 0x400000, v17
	v_lshrrev_b32_e32 v110, 16, v12
	v_cndmask_b32_e64 v1, v15, v16, s4
	v_add3_u32 v16, v18, v0, 0x7fff
	v_or_b32_e32 v18, 0x400000, v0
	v_cmp_u_f32_e64 s4, v0, v0
	v_bfe_u32 v15, v17, 16, 1
	v_add3_u32 v21, v21, v13, 0x7fff
	v_lshrrev_b32_e32 v120, 16, v1
	v_cndmask_b32_e64 v0, v16, v18, s4
	v_cmp_u_f32_e64 s4, v13, v13
	v_add3_u32 v15, v15, v17, 0x7fff
	v_lshrrev_b32_e32 v111, 16, v0
	v_cndmask_b32_e64 v13, v21, v22, s4
	v_cmp_u_f32_e64 s4, v17, v17
	v_lshrrev_b32_e32 v107, 16, v13
	v_cndmask_b32_e64 v15, v15, v23, s4
	v_lshrrev_b32_e32 v108, 16, v15
	s_and_saveexec_b32 s18, vcc_lo
	s_cbranch_execz .LBB351_1392
; %bb.1391:                             ;   in Loop: Header=BB351_995 Depth=1
	v_cmp_lt_i32_e64 s4, v73, v32
	v_cndmask_b32_e64 v111, 0, v111, s4
	v_cmp_lt_i32_e64 s4, v88, v32
	v_cndmask_b32_e64 v120, 0, v120, s4
	;; [unrolled: 2-line block ×8, first 2 shown]
.LBB351_1392:                           ;   in Loop: Header=BB351_995 Depth=1
	s_or_b32 exec_lo, exec_lo, s18
	flat_load_dwordx2 v[24:25], v[19:20] offset:1536
	v_mov_b32_e32 v15, 0
	v_mov_b32_e32 v12, 0
	s_waitcnt vmcnt(0) lgkmcnt(0)
	v_cmp_ne_u16_sdwa s4, v24, v14 src0_sel:BYTE_0 src1_sel:DWORD
	s_and_saveexec_b32 s18, s4
	s_cbranch_execz .LBB351_1400
; %bb.1393:                             ;   in Loop: Header=BB351_995 Depth=1
	v_cmp_ne_u16_sdwa s4, v24, v71 src0_sel:BYTE_0 src1_sel:DWORD
	v_bfrev_b32_e32 v12, 1
	s_and_saveexec_b32 s19, s4
	s_cbranch_execz .LBB351_1399
; %bb.1394:                             ;   in Loop: Header=BB351_995 Depth=1
	v_and_b32_e32 v1, 0x7f, v24
	v_mov_b32_e32 v12, 0x7f800001
	s_mov_b32 s20, exec_lo
	v_cmpx_ne_u32_e32 0x7f, v1
	s_cbranch_execz .LBB351_1398
; %bb.1395:                             ;   in Loop: Header=BB351_995 Depth=1
	v_mov_b32_e32 v27, v25
	v_lshrrev_b32_e32 v0, 3, v1
	v_mov_b32_e32 v26, v24
	s_mov_b32 s21, exec_lo
	v_cmpx_gt_u32_e32 8, v1
; %bb.1396:                             ;   in Loop: Header=BB351_995 Depth=1
	v_and_b32_e32 v0, 7, v24
	v_ffbh_u32_e32 v0, v0
	v_min_u32_e32 v0, 32, v0
	v_subrev_nc_u32_e32 v1, 28, v0
	v_sub_nc_u32_e32 v0, 29, v0
	v_lshlrev_b64 v[26:27], v1, v[24:25]
; %bb.1397:                             ;   in Loop: Header=BB351_995 Depth=1
	s_or_b32 exec_lo, exec_lo, s21
	v_lshlrev_b32_e32 v1, 20, v26
	v_lshlrev_b32_e32 v12, 24, v24
	v_lshl_add_u32 v0, v0, 23, 0x3c000000
	v_and_b32_e32 v1, 0x700000, v1
	v_and_b32_e32 v12, 0x80000000, v12
	v_or3_b32 v12, v1, v12, v0
.LBB351_1398:                           ;   in Loop: Header=BB351_995 Depth=1
	s_or_b32 exec_lo, exec_lo, s20
.LBB351_1399:                           ;   in Loop: Header=BB351_995 Depth=1
	s_or_b32 exec_lo, exec_lo, s19
.LBB351_1400:                           ;   in Loop: Header=BB351_995 Depth=1
	s_or_b32 exec_lo, exec_lo, s18
	v_cmp_ne_u16_sdwa s4, v24, v14 src0_sel:BYTE_1 src1_sel:DWORD
	s_and_saveexec_b32 s18, s4
	s_cbranch_execz .LBB351_1408
; %bb.1401:                             ;   in Loop: Header=BB351_995 Depth=1
	v_cmp_ne_u16_sdwa s4, v24, v71 src0_sel:BYTE_1 src1_sel:DWORD
	v_bfrev_b32_e32 v15, 1
	s_and_saveexec_b32 s19, s4
	s_cbranch_execz .LBB351_1407
; %bb.1402:                             ;   in Loop: Header=BB351_995 Depth=1
	v_mov_b32_e32 v0, 0xffff
	v_mov_b32_e32 v15, 0x7f800001
	s_mov_b32 s20, exec_lo
	v_and_b32_sdwa v0, v0, v24 dst_sel:DWORD dst_unused:UNUSED_PAD src0_sel:DWORD src1_sel:BYTE_1
	v_and_b32_e32 v1, 0x7f, v0
	v_cmpx_ne_u32_e32 0x7f, v1
	s_cbranch_execz .LBB351_1406
; %bb.1403:                             ;   in Loop: Header=BB351_995 Depth=1
	v_and_b32_e32 v13, 7, v0
	v_mov_b32_e32 v27, v14
	v_lshrrev_b32_e32 v0, 3, v1
	s_mov_b32 s21, exec_lo
	v_mov_b32_e32 v26, v13
	v_cmpx_gt_u32_e32 8, v1
; %bb.1404:                             ;   in Loop: Header=BB351_995 Depth=1
	v_ffbh_u32_e32 v0, v13
	v_min_u32_e32 v0, 32, v0
	v_subrev_nc_u32_e32 v1, 28, v0
	v_sub_nc_u32_e32 v0, 29, v0
	v_lshlrev_b64 v[15:16], v1, v[13:14]
	v_and_b32_e32 v26, 7, v15
; %bb.1405:                             ;   in Loop: Header=BB351_995 Depth=1
	s_or_b32 exec_lo, exec_lo, s21
	v_lshlrev_b32_e32 v1, 16, v24
	v_lshlrev_b32_e32 v13, 20, v26
	v_lshl_add_u32 v0, v0, 23, 0x3c000000
	v_and_b32_e32 v1, 0x80000000, v1
	v_or3_b32 v15, v13, v1, v0
.LBB351_1406:                           ;   in Loop: Header=BB351_995 Depth=1
	s_or_b32 exec_lo, exec_lo, s20
.LBB351_1407:                           ;   in Loop: Header=BB351_995 Depth=1
	s_or_b32 exec_lo, exec_lo, s19
.LBB351_1408:                           ;   in Loop: Header=BB351_995 Depth=1
	s_or_b32 exec_lo, exec_lo, s18
	v_and_b32_sdwa v0, v24, v81 dst_sel:DWORD dst_unused:UNUSED_PAD src0_sel:WORD_1 src1_sel:DWORD
	v_mov_b32_e32 v17, 0
	v_mov_b32_e32 v16, 0
	s_mov_b32 s18, exec_lo
	v_cmpx_ne_u16_e32 0, v0
	s_cbranch_execz .LBB351_1416
; %bb.1409:                             ;   in Loop: Header=BB351_995 Depth=1
	v_bfrev_b32_e32 v16, 1
	s_mov_b32 s19, exec_lo
	v_cmpx_ne_u16_e32 0x80, v0
	s_cbranch_execz .LBB351_1415
; %bb.1410:                             ;   in Loop: Header=BB351_995 Depth=1
	v_bfe_u32 v1, v24, 16, 7
	v_mov_b32_e32 v16, 0x7f800001
	s_mov_b32 s20, exec_lo
	v_cmpx_ne_u32_e32 0x7f, v1
	s_cbranch_execz .LBB351_1414
; %bb.1411:                             ;   in Loop: Header=BB351_995 Depth=1
	v_mov_b32_e32 v0, 7
	s_mov_b32 s21, exec_lo
	v_and_b32_sdwa v13, v24, v0 dst_sel:DWORD dst_unused:UNUSED_PAD src0_sel:WORD_1 src1_sel:DWORD
	v_mov_b32_e32 v27, v14
	v_lshrrev_b32_e32 v0, 3, v1
	v_mov_b32_e32 v26, v13
	v_cmpx_gt_u32_e32 8, v1
; %bb.1412:                             ;   in Loop: Header=BB351_995 Depth=1
	v_ffbh_u32_e32 v0, v13
	v_min_u32_e32 v0, 32, v0
	v_subrev_nc_u32_e32 v1, 28, v0
	v_sub_nc_u32_e32 v0, 29, v0
	v_lshlrev_b64 v[21:22], v1, v[13:14]
	v_and_b32_e32 v26, 7, v21
; %bb.1413:                             ;   in Loop: Header=BB351_995 Depth=1
	s_or_b32 exec_lo, exec_lo, s21
	v_mov_b32_e32 v1, 24
	v_lshlrev_b32_e32 v13, 20, v26
	v_lshl_add_u32 v0, v0, 23, 0x3c000000
	v_lshlrev_b32_sdwa v1, v1, v24 dst_sel:DWORD dst_unused:UNUSED_PAD src0_sel:DWORD src1_sel:WORD_1
	v_and_b32_e32 v1, 0x80000000, v1
	v_or3_b32 v16, v13, v1, v0
.LBB351_1414:                           ;   in Loop: Header=BB351_995 Depth=1
	s_or_b32 exec_lo, exec_lo, s20
.LBB351_1415:                           ;   in Loop: Header=BB351_995 Depth=1
	s_or_b32 exec_lo, exec_lo, s19
.LBB351_1416:                           ;   in Loop: Header=BB351_995 Depth=1
	s_or_b32 exec_lo, exec_lo, s18
	s_mov_b32 s18, exec_lo
	v_cmpx_lt_u32_e32 0xffffff, v24
	s_cbranch_execz .LBB351_1424
; %bb.1417:                             ;   in Loop: Header=BB351_995 Depth=1
	v_cmp_ne_u32_sdwa s4, v24, v71 src0_sel:BYTE_3 src1_sel:DWORD
	v_bfrev_b32_e32 v17, 1
	s_and_saveexec_b32 s19, s4
	s_cbranch_execz .LBB351_1423
; %bb.1418:                             ;   in Loop: Header=BB351_995 Depth=1
	v_bfe_u32 v1, v24, 24, 7
	v_mov_b32_e32 v17, 0x7f800001
	s_mov_b32 s20, exec_lo
	v_cmpx_ne_u32_e32 0x7f, v1
	s_cbranch_execz .LBB351_1422
; %bb.1419:                             ;   in Loop: Header=BB351_995 Depth=1
	v_mov_b32_e32 v0, 7
	s_mov_b32 s21, exec_lo
	v_and_b32_sdwa v13, v24, v0 dst_sel:DWORD dst_unused:UNUSED_PAD src0_sel:BYTE_3 src1_sel:DWORD
	v_mov_b32_e32 v27, v14
	v_lshrrev_b32_e32 v0, 3, v1
	v_mov_b32_e32 v26, v13
	v_cmpx_gt_u32_e32 8, v1
; %bb.1420:                             ;   in Loop: Header=BB351_995 Depth=1
	v_ffbh_u32_e32 v0, v13
	v_min_u32_e32 v0, 32, v0
	v_subrev_nc_u32_e32 v1, 28, v0
	v_sub_nc_u32_e32 v0, 29, v0
	v_lshlrev_b64 v[17:18], v1, v[13:14]
	v_and_b32_e32 v26, 7, v17
; %bb.1421:                             ;   in Loop: Header=BB351_995 Depth=1
	s_or_b32 exec_lo, exec_lo, s21
	v_mov_b32_e32 v1, 24
	v_lshlrev_b32_e32 v13, 20, v26
	v_lshl_add_u32 v0, v0, 23, 0x3c000000
	v_lshlrev_b32_sdwa v1, v1, v24 dst_sel:DWORD dst_unused:UNUSED_PAD src0_sel:DWORD src1_sel:BYTE_3
	v_and_b32_e32 v1, 0x80000000, v1
	v_or3_b32 v17, v13, v1, v0
.LBB351_1422:                           ;   in Loop: Header=BB351_995 Depth=1
	s_or_b32 exec_lo, exec_lo, s20
.LBB351_1423:                           ;   in Loop: Header=BB351_995 Depth=1
	s_or_b32 exec_lo, exec_lo, s19
.LBB351_1424:                           ;   in Loop: Header=BB351_995 Depth=1
	s_or_b32 exec_lo, exec_lo, s18
	v_mov_b32_e32 v13, v25
	v_cmp_ne_u16_sdwa s4, v25, v14 src0_sel:BYTE_0 src1_sel:DWORD
	v_mov_b32_e32 v0, 0
	v_mov_b32_e32 v1, 0
	s_and_saveexec_b32 s18, s4
	s_cbranch_execz .LBB351_1432
; %bb.1425:                             ;   in Loop: Header=BB351_995 Depth=1
	v_cmp_ne_u16_sdwa s4, v25, v71 src0_sel:BYTE_0 src1_sel:DWORD
	v_bfrev_b32_e32 v1, 1
	s_and_saveexec_b32 s19, s4
	s_cbranch_execz .LBB351_1431
; %bb.1426:                             ;   in Loop: Header=BB351_995 Depth=1
	v_and_b32_e32 v18, 0x7f, v25
	v_mov_b32_e32 v1, 0x7f800001
	s_mov_b32 s20, exec_lo
	v_cmpx_ne_u32_e32 0x7f, v18
	s_cbranch_execz .LBB351_1430
; %bb.1427:                             ;   in Loop: Header=BB351_995 Depth=1
	v_mov_b32_e32 v27, v14
	v_lshrrev_b32_e32 v1, 3, v18
	v_mov_b32_e32 v26, v13
	s_mov_b32 s21, exec_lo
	v_cmpx_gt_u32_e32 8, v18
; %bb.1428:                             ;   in Loop: Header=BB351_995 Depth=1
	v_and_b32_e32 v1, 7, v25
	v_ffbh_u32_e32 v1, v1
	v_min_u32_e32 v1, 32, v1
	v_subrev_nc_u32_e32 v18, 28, v1
	v_sub_nc_u32_e32 v1, 29, v1
	v_lshlrev_b64 v[26:27], v18, v[13:14]
; %bb.1429:                             ;   in Loop: Header=BB351_995 Depth=1
	s_or_b32 exec_lo, exec_lo, s21
	v_lshlrev_b32_e32 v18, 20, v26
	v_lshlrev_b32_e32 v21, 24, v13
	v_lshl_add_u32 v1, v1, 23, 0x3c000000
	v_and_b32_e32 v18, 0x700000, v18
	v_and_b32_e32 v21, 0x80000000, v21
	v_or3_b32 v1, v18, v21, v1
.LBB351_1430:                           ;   in Loop: Header=BB351_995 Depth=1
	s_or_b32 exec_lo, exec_lo, s20
.LBB351_1431:                           ;   in Loop: Header=BB351_995 Depth=1
	s_or_b32 exec_lo, exec_lo, s19
.LBB351_1432:                           ;   in Loop: Header=BB351_995 Depth=1
	s_or_b32 exec_lo, exec_lo, s18
	v_cmp_ne_u16_sdwa s4, v13, v14 src0_sel:BYTE_1 src1_sel:DWORD
	s_and_saveexec_b32 s18, s4
	s_cbranch_execz .LBB351_1440
; %bb.1433:                             ;   in Loop: Header=BB351_995 Depth=1
	v_cmp_ne_u16_sdwa s4, v13, v71 src0_sel:BYTE_1 src1_sel:DWORD
	v_bfrev_b32_e32 v0, 1
	s_and_saveexec_b32 s19, s4
	s_cbranch_execz .LBB351_1439
; %bb.1434:                             ;   in Loop: Header=BB351_995 Depth=1
	v_mov_b32_e32 v0, 0xffff
	s_mov_b32 s20, exec_lo
	v_and_b32_sdwa v21, v0, v13 dst_sel:DWORD dst_unused:UNUSED_PAD src0_sel:DWORD src1_sel:BYTE_1
	v_mov_b32_e32 v0, 0x7f800001
	v_and_b32_e32 v18, 0x7f, v21
	v_cmpx_ne_u32_e32 0x7f, v18
	s_cbranch_execz .LBB351_1438
; %bb.1435:                             ;   in Loop: Header=BB351_995 Depth=1
	v_and_b32_e32 v26, 7, v21
	v_mov_b32_e32 v27, v14
	v_lshrrev_b32_e32 v0, 3, v18
	s_mov_b32 s21, exec_lo
	v_cmpx_gt_u32_e32 8, v18
; %bb.1436:                             ;   in Loop: Header=BB351_995 Depth=1
	v_ffbh_u32_e32 v0, v26
	v_min_u32_e32 v0, 32, v0
	v_subrev_nc_u32_e32 v18, 28, v0
	v_sub_nc_u32_e32 v0, 29, v0
	v_lshlrev_b64 v[21:22], v18, v[26:27]
	v_and_b32_e32 v26, 7, v21
; %bb.1437:                             ;   in Loop: Header=BB351_995 Depth=1
	s_or_b32 exec_lo, exec_lo, s21
	v_lshlrev_b32_e32 v13, 16, v13
	v_lshlrev_b32_e32 v18, 20, v26
	v_lshl_add_u32 v0, v0, 23, 0x3c000000
	v_and_b32_e32 v13, 0x80000000, v13
	v_or3_b32 v0, v18, v13, v0
.LBB351_1438:                           ;   in Loop: Header=BB351_995 Depth=1
	s_or_b32 exec_lo, exec_lo, s20
.LBB351_1439:                           ;   in Loop: Header=BB351_995 Depth=1
	s_or_b32 exec_lo, exec_lo, s19
.LBB351_1440:                           ;   in Loop: Header=BB351_995 Depth=1
	s_or_b32 exec_lo, exec_lo, s18
	v_and_b32_sdwa v13, v25, v81 dst_sel:DWORD dst_unused:UNUSED_PAD src0_sel:WORD_1 src1_sel:DWORD
	v_mov_b32_e32 v21, 0
	v_mov_b32_e32 v22, 0
	s_mov_b32 s18, exec_lo
	v_cmpx_ne_u16_e32 0, v13
	s_cbranch_execz .LBB351_1448
; %bb.1441:                             ;   in Loop: Header=BB351_995 Depth=1
	v_bfrev_b32_e32 v22, 1
	s_mov_b32 s19, exec_lo
	v_cmpx_ne_u16_e32 0x80, v13
	s_cbranch_execz .LBB351_1447
; %bb.1442:                             ;   in Loop: Header=BB351_995 Depth=1
	v_bfe_u32 v23, v25, 16, 7
	v_mov_b32_e32 v22, 0x7f800001
	s_mov_b32 s20, exec_lo
	v_cmpx_ne_u32_e32 0x7f, v23
	s_cbranch_execz .LBB351_1446
; %bb.1443:                             ;   in Loop: Header=BB351_995 Depth=1
	v_mov_b32_e32 v13, 7
	v_lshrrev_b32_e32 v18, 3, v23
	s_mov_b32 s21, exec_lo
	v_and_b32_sdwa v13, v25, v13 dst_sel:DWORD dst_unused:UNUSED_PAD src0_sel:WORD_1 src1_sel:DWORD
	v_mov_b32_e32 v27, v14
	v_mov_b32_e32 v26, v13
	v_cmpx_gt_u32_e32 8, v23
; %bb.1444:                             ;   in Loop: Header=BB351_995 Depth=1
	v_ffbh_u32_e32 v18, v13
	v_min_u32_e32 v18, 32, v18
	v_subrev_nc_u32_e32 v22, 28, v18
	v_sub_nc_u32_e32 v18, 29, v18
	v_lshlrev_b64 v[22:23], v22, v[13:14]
	v_and_b32_e32 v26, 7, v22
; %bb.1445:                             ;   in Loop: Header=BB351_995 Depth=1
	s_or_b32 exec_lo, exec_lo, s21
	v_mov_b32_e32 v13, 24
	v_lshlrev_b32_e32 v22, 20, v26
	v_lshl_add_u32 v18, v18, 23, 0x3c000000
	v_lshlrev_b32_sdwa v13, v13, v25 dst_sel:DWORD dst_unused:UNUSED_PAD src0_sel:DWORD src1_sel:WORD_1
	v_and_b32_e32 v13, 0x80000000, v13
	v_or3_b32 v22, v22, v13, v18
.LBB351_1446:                           ;   in Loop: Header=BB351_995 Depth=1
	s_or_b32 exec_lo, exec_lo, s20
.LBB351_1447:                           ;   in Loop: Header=BB351_995 Depth=1
	s_or_b32 exec_lo, exec_lo, s19
.LBB351_1448:                           ;   in Loop: Header=BB351_995 Depth=1
	s_or_b32 exec_lo, exec_lo, s18
	s_mov_b32 s18, exec_lo
	v_cmpx_lt_u64_e64 s[6:7], v[24:25]
	s_cbranch_execz .LBB351_1456
; %bb.1449:                             ;   in Loop: Header=BB351_995 Depth=1
	v_cmp_ne_u32_sdwa s4, v25, v71 src0_sel:BYTE_3 src1_sel:DWORD
	v_bfrev_b32_e32 v21, 1
	s_and_saveexec_b32 s19, s4
	s_cbranch_execz .LBB351_1455
; %bb.1450:                             ;   in Loop: Header=BB351_995 Depth=1
	v_bfe_u32 v23, v25, 24, 7
	v_mov_b32_e32 v21, 0x7f800001
	s_mov_b32 s20, exec_lo
	v_cmpx_ne_u32_e32 0x7f, v23
	s_cbranch_execz .LBB351_1454
; %bb.1451:                             ;   in Loop: Header=BB351_995 Depth=1
	v_mov_b32_e32 v13, 7
	v_lshrrev_b32_e32 v18, 3, v23
	s_mov_b32 s21, exec_lo
	v_and_b32_sdwa v13, v25, v13 dst_sel:DWORD dst_unused:UNUSED_PAD src0_sel:BYTE_3 src1_sel:DWORD
	v_mov_b32_e32 v27, v14
	v_mov_b32_e32 v26, v13
	v_cmpx_gt_u32_e32 8, v23
; %bb.1452:                             ;   in Loop: Header=BB351_995 Depth=1
	v_ffbh_u32_e32 v18, v13
	v_min_u32_e32 v18, 32, v18
	v_subrev_nc_u32_e32 v21, 28, v18
	v_sub_nc_u32_e32 v18, 29, v18
	v_lshlrev_b64 v[23:24], v21, v[13:14]
	v_and_b32_e32 v26, 7, v23
; %bb.1453:                             ;   in Loop: Header=BB351_995 Depth=1
	s_or_b32 exec_lo, exec_lo, s21
	v_mov_b32_e32 v13, 24
	v_lshlrev_b32_e32 v21, 20, v26
	v_lshl_add_u32 v18, v18, 23, 0x3c000000
	v_lshlrev_b32_sdwa v13, v13, v25 dst_sel:DWORD dst_unused:UNUSED_PAD src0_sel:DWORD src1_sel:BYTE_3
	v_and_b32_e32 v13, 0x80000000, v13
	v_or3_b32 v21, v21, v13, v18
.LBB351_1454:                           ;   in Loop: Header=BB351_995 Depth=1
	s_or_b32 exec_lo, exec_lo, s20
.LBB351_1455:                           ;   in Loop: Header=BB351_995 Depth=1
	s_or_b32 exec_lo, exec_lo, s19
.LBB351_1456:                           ;   in Loop: Header=BB351_995 Depth=1
	s_or_b32 exec_lo, exec_lo, s18
	v_mul_f32_e32 v0, v60, v0
	v_mul_f32_e32 v1, v60, v1
	;; [unrolled: 1-line block ×3, first 2 shown]
	v_bfe_u32 v13, v0, 16, 1
	v_or_b32_e32 v18, 0x400000, v0
	v_cmp_u_f32_e64 s4, v0, v0
	v_add3_u32 v13, v13, v0, 0x7fff
	v_cndmask_b32_e64 v0, v13, v18, s4
	v_bfe_u32 v13, v1, 16, 1
	v_or_b32_e32 v18, 0x400000, v1
	v_cmp_u_f32_e64 s4, v1, v1
	v_lshrrev_b32_e32 v0, 16, v0
	v_add3_u32 v13, v13, v1, 0x7fff
	v_cndmask_b32_e64 v1, v13, v18, s4
	v_mul_f32_e32 v13, v60, v17
	v_lshrrev_b32_e32 v1, 16, v1
	v_bfe_u32 v17, v13, 16, 1
	v_or_b32_e32 v18, 0x400000, v13
	v_cmp_u_f32_e64 s4, v13, v13
	v_add3_u32 v17, v17, v13, 0x7fff
	v_cndmask_b32_e64 v13, v17, v18, s4
	v_lshrrev_b32_e32 v17, 16, v13
	v_mul_f32_e32 v13, v60, v16
	v_bfe_u32 v16, v13, 16, 1
	v_or_b32_e32 v18, 0x400000, v13
	v_cmp_u_f32_e64 s4, v13, v13
	v_add3_u32 v16, v16, v13, 0x7fff
	v_cndmask_b32_e64 v13, v16, v18, s4
	v_lshrrev_b32_e32 v18, 16, v13
	v_mul_f32_e32 v13, v60, v15
	v_bfe_u32 v15, v13, 16, 1
	v_or_b32_e32 v16, 0x400000, v13
	v_cmp_u_f32_e64 s4, v13, v13
	v_add3_u32 v15, v15, v13, 0x7fff
	v_cndmask_b32_e64 v13, v15, v16, s4
	v_or_b32_e32 v15, 0x400000, v12
	v_cmp_u_f32_e64 s4, v12, v12
	v_lshrrev_b32_e32 v23, 16, v13
	v_bfe_u32 v13, v12, 16, 1
	v_add3_u32 v13, v13, v12, 0x7fff
	v_cndmask_b32_e64 v12, v13, v15, s4
	v_lshrrev_b32_e32 v31, 16, v12
	v_mul_f32_e32 v12, v60, v22
	v_bfe_u32 v13, v12, 16, 1
	v_or_b32_e32 v15, 0x400000, v12
	v_cmp_u_f32_e64 s4, v12, v12
	v_add3_u32 v13, v13, v12, 0x7fff
	v_cndmask_b32_e64 v12, v13, v15, s4
	v_lshrrev_b32_e32 v22, 16, v12
	v_mul_f32_e32 v12, v60, v21
	v_bfe_u32 v13, v12, 16, 1
	v_or_b32_e32 v15, 0x400000, v12
	v_cmp_u_f32_e64 s4, v12, v12
	v_add3_u32 v13, v13, v12, 0x7fff
	v_cndmask_b32_e64 v12, v13, v15, s4
	v_lshrrev_b32_e32 v33, 16, v12
	s_and_saveexec_b32 s18, vcc_lo
	s_cbranch_execz .LBB351_1458
; %bb.1457:                             ;   in Loop: Header=BB351_995 Depth=1
	v_cmp_lt_i32_e64 s4, v73, v32
	v_cndmask_b32_e64 v31, 0, v31, s4
	v_cmp_lt_i32_e64 s4, v88, v32
	v_cndmask_b32_e64 v23, 0, v23, s4
	v_cmp_lt_i32_e64 s4, v79, v32
	v_cndmask_b32_e64 v18, 0, v18, s4
	v_cmp_lt_i32_e64 s4, v78, v32
	v_cndmask_b32_e64 v17, 0, v17, s4
	v_cmp_lt_i32_e64 s4, v77, v32
	v_cndmask_b32_e64 v1, 0, v1, s4
	v_cmp_lt_i32_e64 s4, v76, v32
	v_cndmask_b32_e64 v0, 0, v0, s4
	v_cmp_lt_i32_e64 s4, v75, v32
	v_cndmask_b32_e64 v22, 0, v22, s4
	v_cmp_lt_i32_e64 s4, v74, v32
	v_cndmask_b32_e64 v33, 0, v33, s4
.LBB351_1458:                           ;   in Loop: Header=BB351_995 Depth=1
	s_or_b32 exec_lo, exec_lo, s18
	flat_load_dwordx2 v[24:25], v[19:20] offset:1792
	v_mov_b32_e32 v15, 0
	v_mov_b32_e32 v12, 0
	s_waitcnt vmcnt(0) lgkmcnt(0)
	v_cmp_ne_u16_sdwa s4, v24, v14 src0_sel:BYTE_0 src1_sel:DWORD
	s_and_saveexec_b32 s18, s4
	s_cbranch_execz .LBB351_1466
; %bb.1459:                             ;   in Loop: Header=BB351_995 Depth=1
	v_cmp_ne_u16_sdwa s4, v24, v71 src0_sel:BYTE_0 src1_sel:DWORD
	v_bfrev_b32_e32 v12, 1
	s_and_saveexec_b32 s19, s4
	s_cbranch_execz .LBB351_1465
; %bb.1460:                             ;   in Loop: Header=BB351_995 Depth=1
	v_and_b32_e32 v13, 0x7f, v24
	v_mov_b32_e32 v12, 0x7f800001
	s_mov_b32 s20, exec_lo
	v_cmpx_ne_u32_e32 0x7f, v13
	s_cbranch_execz .LBB351_1464
; %bb.1461:                             ;   in Loop: Header=BB351_995 Depth=1
	v_mov_b32_e32 v27, v25
	v_lshrrev_b32_e32 v12, 3, v13
	v_mov_b32_e32 v26, v24
	s_mov_b32 s21, exec_lo
	v_cmpx_gt_u32_e32 8, v13
; %bb.1462:                             ;   in Loop: Header=BB351_995 Depth=1
	v_and_b32_e32 v12, 7, v24
	v_ffbh_u32_e32 v12, v12
	v_min_u32_e32 v12, 32, v12
	v_subrev_nc_u32_e32 v13, 28, v12
	v_sub_nc_u32_e32 v12, 29, v12
	v_lshlrev_b64 v[26:27], v13, v[24:25]
; %bb.1463:                             ;   in Loop: Header=BB351_995 Depth=1
	s_or_b32 exec_lo, exec_lo, s21
	v_lshlrev_b32_e32 v13, 20, v26
	v_lshlrev_b32_e32 v16, 24, v24
	v_lshl_add_u32 v12, v12, 23, 0x3c000000
	v_and_b32_e32 v13, 0x700000, v13
	v_and_b32_e32 v16, 0x80000000, v16
	v_or3_b32 v12, v13, v16, v12
.LBB351_1464:                           ;   in Loop: Header=BB351_995 Depth=1
	s_or_b32 exec_lo, exec_lo, s20
.LBB351_1465:                           ;   in Loop: Header=BB351_995 Depth=1
	s_or_b32 exec_lo, exec_lo, s19
.LBB351_1466:                           ;   in Loop: Header=BB351_995 Depth=1
	s_or_b32 exec_lo, exec_lo, s18
	v_cmp_ne_u16_sdwa s4, v24, v14 src0_sel:BYTE_1 src1_sel:DWORD
	s_and_saveexec_b32 s18, s4
	s_cbranch_execz .LBB351_1474
; %bb.1467:                             ;   in Loop: Header=BB351_995 Depth=1
	v_cmp_ne_u16_sdwa s4, v24, v71 src0_sel:BYTE_1 src1_sel:DWORD
	v_bfrev_b32_e32 v15, 1
	s_and_saveexec_b32 s19, s4
	s_cbranch_execz .LBB351_1473
; %bb.1468:                             ;   in Loop: Header=BB351_995 Depth=1
	v_mov_b32_e32 v13, 0xffff
	v_mov_b32_e32 v15, 0x7f800001
	s_mov_b32 s20, exec_lo
	v_and_b32_sdwa v13, v13, v24 dst_sel:DWORD dst_unused:UNUSED_PAD src0_sel:DWORD src1_sel:BYTE_1
	v_and_b32_e32 v16, 0x7f, v13
	v_cmpx_ne_u32_e32 0x7f, v16
	s_cbranch_execz .LBB351_1472
; %bb.1469:                             ;   in Loop: Header=BB351_995 Depth=1
	v_and_b32_e32 v13, 7, v13
	v_mov_b32_e32 v27, v14
	v_lshrrev_b32_e32 v15, 3, v16
	s_mov_b32 s21, exec_lo
	v_mov_b32_e32 v26, v13
	v_cmpx_gt_u32_e32 8, v16
; %bb.1470:                             ;   in Loop: Header=BB351_995 Depth=1
	v_ffbh_u32_e32 v15, v13
	v_min_u32_e32 v15, 32, v15
	v_subrev_nc_u32_e32 v16, 28, v15
	v_sub_nc_u32_e32 v15, 29, v15
	v_lshlrev_b64 v[26:27], v16, v[13:14]
	v_and_b32_e32 v26, 7, v26
; %bb.1471:                             ;   in Loop: Header=BB351_995 Depth=1
	s_or_b32 exec_lo, exec_lo, s21
	v_lshlrev_b32_e32 v13, 16, v24
	v_lshlrev_b32_e32 v16, 20, v26
	v_lshl_add_u32 v15, v15, 23, 0x3c000000
	v_and_b32_e32 v13, 0x80000000, v13
	v_or3_b32 v15, v16, v13, v15
.LBB351_1472:                           ;   in Loop: Header=BB351_995 Depth=1
	s_or_b32 exec_lo, exec_lo, s20
.LBB351_1473:                           ;   in Loop: Header=BB351_995 Depth=1
	s_or_b32 exec_lo, exec_lo, s19
.LBB351_1474:                           ;   in Loop: Header=BB351_995 Depth=1
	s_or_b32 exec_lo, exec_lo, s18
	v_and_b32_sdwa v13, v24, v81 dst_sel:DWORD dst_unused:UNUSED_PAD src0_sel:WORD_1 src1_sel:DWORD
	v_mov_b32_e32 v21, 0
	v_mov_b32_e32 v16, 0
	s_mov_b32 s18, exec_lo
	v_cmpx_ne_u16_e32 0, v13
	s_cbranch_execz .LBB351_1482
; %bb.1475:                             ;   in Loop: Header=BB351_995 Depth=1
	v_bfrev_b32_e32 v16, 1
	s_mov_b32 s19, exec_lo
	v_cmpx_ne_u16_e32 0x80, v13
	s_cbranch_execz .LBB351_1481
; %bb.1476:                             ;   in Loop: Header=BB351_995 Depth=1
	v_bfe_u32 v26, v24, 16, 7
	v_mov_b32_e32 v16, 0x7f800001
	s_mov_b32 s20, exec_lo
	v_cmpx_ne_u32_e32 0x7f, v26
	s_cbranch_execz .LBB351_1480
; %bb.1477:                             ;   in Loop: Header=BB351_995 Depth=1
	v_mov_b32_e32 v13, 7
	v_lshrrev_b32_e32 v16, 3, v26
	v_cmp_gt_u32_e64 s4, 8, v26
	v_and_b32_sdwa v13, v24, v13 dst_sel:DWORD dst_unused:UNUSED_PAD src0_sel:WORD_1 src1_sel:DWORD
	v_mov_b32_e32 v27, v14
	v_mov_b32_e32 v26, v13
	s_and_saveexec_b32 s21, s4
; %bb.1478:                             ;   in Loop: Header=BB351_995 Depth=1
	v_ffbh_u32_e32 v16, v13
	v_min_u32_e32 v16, 32, v16
	v_subrev_nc_u32_e32 v26, 28, v16
	v_sub_nc_u32_e32 v16, 29, v16
	v_lshlrev_b64 v[26:27], v26, v[13:14]
	v_and_b32_e32 v26, 7, v26
; %bb.1479:                             ;   in Loop: Header=BB351_995 Depth=1
	s_or_b32 exec_lo, exec_lo, s21
	v_mov_b32_e32 v13, 24
	v_lshlrev_b32_e32 v26, 20, v26
	v_lshl_add_u32 v16, v16, 23, 0x3c000000
	v_lshlrev_b32_sdwa v13, v13, v24 dst_sel:DWORD dst_unused:UNUSED_PAD src0_sel:DWORD src1_sel:WORD_1
	v_and_b32_e32 v13, 0x80000000, v13
	v_or3_b32 v16, v26, v13, v16
.LBB351_1480:                           ;   in Loop: Header=BB351_995 Depth=1
	s_or_b32 exec_lo, exec_lo, s20
.LBB351_1481:                           ;   in Loop: Header=BB351_995 Depth=1
	s_or_b32 exec_lo, exec_lo, s19
.LBB351_1482:                           ;   in Loop: Header=BB351_995 Depth=1
	s_or_b32 exec_lo, exec_lo, s18
	s_mov_b32 s18, exec_lo
	v_cmpx_lt_u32_e32 0xffffff, v24
	s_cbranch_execz .LBB351_1490
; %bb.1483:                             ;   in Loop: Header=BB351_995 Depth=1
	v_cmp_ne_u32_sdwa s4, v24, v71 src0_sel:BYTE_3 src1_sel:DWORD
	v_bfrev_b32_e32 v21, 1
	s_and_saveexec_b32 s19, s4
	s_cbranch_execz .LBB351_1489
; %bb.1484:                             ;   in Loop: Header=BB351_995 Depth=1
	v_bfe_u32 v26, v24, 24, 7
	v_mov_b32_e32 v21, 0x7f800001
	s_mov_b32 s20, exec_lo
	v_cmpx_ne_u32_e32 0x7f, v26
	s_cbranch_execz .LBB351_1488
; %bb.1485:                             ;   in Loop: Header=BB351_995 Depth=1
	v_mov_b32_e32 v13, 7
	v_lshrrev_b32_e32 v21, 3, v26
	v_cmp_gt_u32_e64 s4, 8, v26
	v_and_b32_sdwa v13, v24, v13 dst_sel:DWORD dst_unused:UNUSED_PAD src0_sel:BYTE_3 src1_sel:DWORD
	v_mov_b32_e32 v27, v14
	v_mov_b32_e32 v26, v13
	s_and_saveexec_b32 s21, s4
; %bb.1486:                             ;   in Loop: Header=BB351_995 Depth=1
	v_ffbh_u32_e32 v21, v13
	v_min_u32_e32 v21, 32, v21
	v_subrev_nc_u32_e32 v26, 28, v21
	v_sub_nc_u32_e32 v21, 29, v21
	v_lshlrev_b64 v[26:27], v26, v[13:14]
	v_and_b32_e32 v26, 7, v26
; %bb.1487:                             ;   in Loop: Header=BB351_995 Depth=1
	s_or_b32 exec_lo, exec_lo, s21
	v_mov_b32_e32 v13, 24
	v_lshlrev_b32_e32 v26, 20, v26
	v_lshl_add_u32 v21, v21, 23, 0x3c000000
	v_lshlrev_b32_sdwa v13, v13, v24 dst_sel:DWORD dst_unused:UNUSED_PAD src0_sel:DWORD src1_sel:BYTE_3
	v_and_b32_e32 v13, 0x80000000, v13
	v_or3_b32 v21, v26, v13, v21
.LBB351_1488:                           ;   in Loop: Header=BB351_995 Depth=1
	s_or_b32 exec_lo, exec_lo, s20
.LBB351_1489:                           ;   in Loop: Header=BB351_995 Depth=1
	s_or_b32 exec_lo, exec_lo, s19
.LBB351_1490:                           ;   in Loop: Header=BB351_995 Depth=1
	s_or_b32 exec_lo, exec_lo, s18
	v_mov_b32_e32 v13, v25
	v_cmp_ne_u16_sdwa s4, v25, v14 src0_sel:BYTE_0 src1_sel:DWORD
	v_mov_b32_e32 v35, 0
	v_mov_b32_e32 v30, 0
	s_and_saveexec_b32 s18, s4
	s_cbranch_execz .LBB351_1498
; %bb.1491:                             ;   in Loop: Header=BB351_995 Depth=1
	v_cmp_ne_u16_sdwa s4, v25, v71 src0_sel:BYTE_0 src1_sel:DWORD
	v_bfrev_b32_e32 v30, 1
	s_and_saveexec_b32 s19, s4
	s_cbranch_execz .LBB351_1497
; %bb.1492:                             ;   in Loop: Header=BB351_995 Depth=1
	v_and_b32_e32 v26, 0x7f, v25
	v_mov_b32_e32 v30, 0x7f800001
	s_mov_b32 s20, exec_lo
	v_cmpx_ne_u32_e32 0x7f, v26
	s_cbranch_execz .LBB351_1496
; %bb.1493:                             ;   in Loop: Header=BB351_995 Depth=1
	v_lshrrev_b32_e32 v28, 3, v26
	v_cmp_gt_u32_e64 s4, 8, v26
	v_mov_b32_e32 v27, v14
	v_mov_b32_e32 v26, v13
	s_and_saveexec_b32 s21, s4
; %bb.1494:                             ;   in Loop: Header=BB351_995 Depth=1
	v_and_b32_e32 v26, 7, v25
	v_ffbh_u32_e32 v26, v26
	v_min_u32_e32 v28, 32, v26
	v_subrev_nc_u32_e32 v26, 28, v28
	v_sub_nc_u32_e32 v28, 29, v28
	v_lshlrev_b64 v[26:27], v26, v[13:14]
; %bb.1495:                             ;   in Loop: Header=BB351_995 Depth=1
	s_or_b32 exec_lo, exec_lo, s21
	v_lshlrev_b32_e32 v26, 20, v26
	v_lshlrev_b32_e32 v27, 24, v13
	v_lshl_add_u32 v28, v28, 23, 0x3c000000
	v_and_b32_e32 v26, 0x700000, v26
	v_and_b32_e32 v27, 0x80000000, v27
	v_or3_b32 v30, v26, v27, v28
.LBB351_1496:                           ;   in Loop: Header=BB351_995 Depth=1
	s_or_b32 exec_lo, exec_lo, s20
.LBB351_1497:                           ;   in Loop: Header=BB351_995 Depth=1
	s_or_b32 exec_lo, exec_lo, s19
.LBB351_1498:                           ;   in Loop: Header=BB351_995 Depth=1
	s_or_b32 exec_lo, exec_lo, s18
	v_cmp_ne_u16_sdwa s4, v13, v14 src0_sel:BYTE_1 src1_sel:DWORD
	s_and_saveexec_b32 s18, s4
	s_cbranch_execz .LBB351_1506
; %bb.1499:                             ;   in Loop: Header=BB351_995 Depth=1
	v_cmp_ne_u16_sdwa s4, v13, v71 src0_sel:BYTE_1 src1_sel:DWORD
	v_bfrev_b32_e32 v35, 1
	s_and_saveexec_b32 s19, s4
	s_cbranch_execz .LBB351_1505
; %bb.1500:                             ;   in Loop: Header=BB351_995 Depth=1
	v_mov_b32_e32 v26, 0xffff
	v_mov_b32_e32 v35, 0x7f800001
	s_mov_b32 s20, exec_lo
	v_and_b32_sdwa v26, v26, v13 dst_sel:DWORD dst_unused:UNUSED_PAD src0_sel:DWORD src1_sel:BYTE_1
	v_and_b32_e32 v29, 0x7f, v26
	v_cmpx_ne_u32_e32 0x7f, v29
	s_cbranch_execz .LBB351_1504
; %bb.1501:                             ;   in Loop: Header=BB351_995 Depth=1
	v_and_b32_e32 v26, 7, v26
	v_mov_b32_e32 v27, v14
	v_lshrrev_b32_e32 v28, 3, v29
	s_mov_b32 s21, exec_lo
	v_cmpx_gt_u32_e32 8, v29
; %bb.1502:                             ;   in Loop: Header=BB351_995 Depth=1
	v_ffbh_u32_e32 v28, v26
	v_min_u32_e32 v28, 32, v28
	v_subrev_nc_u32_e32 v29, 28, v28
	v_sub_nc_u32_e32 v28, 29, v28
	v_lshlrev_b64 v[26:27], v29, v[26:27]
	v_and_b32_e32 v26, 7, v26
; %bb.1503:                             ;   in Loop: Header=BB351_995 Depth=1
	s_or_b32 exec_lo, exec_lo, s21
	v_lshlrev_b32_e32 v13, 16, v13
	v_lshlrev_b32_e32 v26, 20, v26
	v_lshl_add_u32 v27, v28, 23, 0x3c000000
	v_and_b32_e32 v13, 0x80000000, v13
	v_or3_b32 v35, v26, v13, v27
.LBB351_1504:                           ;   in Loop: Header=BB351_995 Depth=1
	s_or_b32 exec_lo, exec_lo, s20
.LBB351_1505:                           ;   in Loop: Header=BB351_995 Depth=1
	s_or_b32 exec_lo, exec_lo, s19
.LBB351_1506:                           ;   in Loop: Header=BB351_995 Depth=1
	s_or_b32 exec_lo, exec_lo, s18
	v_and_b32_sdwa v13, v25, v81 dst_sel:DWORD dst_unused:UNUSED_PAD src0_sel:WORD_1 src1_sel:DWORD
	v_mov_b32_e32 v28, 0
	v_mov_b32_e32 v29, 0
	s_mov_b32 s18, exec_lo
	v_cmpx_ne_u16_e32 0, v13
	s_cbranch_execz .LBB351_1514
; %bb.1507:                             ;   in Loop: Header=BB351_995 Depth=1
	v_bfrev_b32_e32 v29, 1
	s_mov_b32 s19, exec_lo
	v_cmpx_ne_u16_e32 0x80, v13
	s_cbranch_execz .LBB351_1513
; %bb.1508:                             ;   in Loop: Header=BB351_995 Depth=1
	v_bfe_u32 v26, v25, 16, 7
	v_mov_b32_e32 v29, 0x7f800001
	s_mov_b32 s20, exec_lo
	v_cmpx_ne_u32_e32 0x7f, v26
	s_cbranch_execz .LBB351_1512
; %bb.1509:                             ;   in Loop: Header=BB351_995 Depth=1
	v_mov_b32_e32 v13, 7
	v_lshrrev_b32_e32 v29, 3, v26
	v_cmp_gt_u32_e64 s4, 8, v26
	v_and_b32_sdwa v13, v25, v13 dst_sel:DWORD dst_unused:UNUSED_PAD src0_sel:WORD_1 src1_sel:DWORD
	v_mov_b32_e32 v27, v14
	v_mov_b32_e32 v26, v13
	s_and_saveexec_b32 s21, s4
; %bb.1510:                             ;   in Loop: Header=BB351_995 Depth=1
	v_ffbh_u32_e32 v26, v13
	v_min_u32_e32 v29, 32, v26
	v_subrev_nc_u32_e32 v26, 28, v29
	v_sub_nc_u32_e32 v29, 29, v29
	v_lshlrev_b64 v[26:27], v26, v[13:14]
	v_and_b32_e32 v26, 7, v26
; %bb.1511:                             ;   in Loop: Header=BB351_995 Depth=1
	s_or_b32 exec_lo, exec_lo, s21
	v_mov_b32_e32 v13, 24
	v_lshlrev_b32_e32 v26, 20, v26
	v_lshl_add_u32 v27, v29, 23, 0x3c000000
	v_lshlrev_b32_sdwa v13, v13, v25 dst_sel:DWORD dst_unused:UNUSED_PAD src0_sel:DWORD src1_sel:WORD_1
	v_and_b32_e32 v13, 0x80000000, v13
	v_or3_b32 v29, v26, v13, v27
.LBB351_1512:                           ;   in Loop: Header=BB351_995 Depth=1
	s_or_b32 exec_lo, exec_lo, s20
.LBB351_1513:                           ;   in Loop: Header=BB351_995 Depth=1
	s_or_b32 exec_lo, exec_lo, s19
.LBB351_1514:                           ;   in Loop: Header=BB351_995 Depth=1
	s_or_b32 exec_lo, exec_lo, s18
	s_mov_b32 s18, exec_lo
	v_cmpx_lt_u64_e64 s[6:7], v[24:25]
	s_cbranch_execz .LBB351_1522
; %bb.1515:                             ;   in Loop: Header=BB351_995 Depth=1
	v_cmp_ne_u32_sdwa s4, v25, v71 src0_sel:BYTE_3 src1_sel:DWORD
	v_bfrev_b32_e32 v28, 1
	s_and_saveexec_b32 s19, s4
	s_cbranch_execz .LBB351_1521
; %bb.1516:                             ;   in Loop: Header=BB351_995 Depth=1
	v_bfe_u32 v26, v25, 24, 7
	v_mov_b32_e32 v28, 0x7f800001
	s_mov_b32 s20, exec_lo
	v_cmpx_ne_u32_e32 0x7f, v26
	s_cbranch_execz .LBB351_1520
; %bb.1517:                             ;   in Loop: Header=BB351_995 Depth=1
	v_mov_b32_e32 v13, 7
	v_lshrrev_b32_e32 v24, 3, v26
	v_cmp_gt_u32_e64 s4, 8, v26
	v_and_b32_sdwa v13, v25, v13 dst_sel:DWORD dst_unused:UNUSED_PAD src0_sel:BYTE_3 src1_sel:DWORD
	v_mov_b32_e32 v27, v14
	v_mov_b32_e32 v26, v13
	s_and_saveexec_b32 s21, s4
; %bb.1518:                             ;   in Loop: Header=BB351_995 Depth=1
	v_ffbh_u32_e32 v24, v13
	v_min_u32_e32 v24, 32, v24
	v_subrev_nc_u32_e32 v26, 28, v24
	v_sub_nc_u32_e32 v24, 29, v24
	v_lshlrev_b64 v[26:27], v26, v[13:14]
	v_and_b32_e32 v26, 7, v26
; %bb.1519:                             ;   in Loop: Header=BB351_995 Depth=1
	s_or_b32 exec_lo, exec_lo, s21
	v_mov_b32_e32 v13, 24
	v_lshl_add_u32 v24, v24, 23, 0x3c000000
	v_lshlrev_b32_sdwa v13, v13, v25 dst_sel:DWORD dst_unused:UNUSED_PAD src0_sel:DWORD src1_sel:BYTE_3
	v_lshlrev_b32_e32 v25, 20, v26
	v_and_b32_e32 v13, 0x80000000, v13
	v_or3_b32 v28, v25, v13, v24
.LBB351_1520:                           ;   in Loop: Header=BB351_995 Depth=1
	s_or_b32 exec_lo, exec_lo, s20
.LBB351_1521:                           ;   in Loop: Header=BB351_995 Depth=1
	s_or_b32 exec_lo, exec_lo, s19
.LBB351_1522:                           ;   in Loop: Header=BB351_995 Depth=1
	s_or_b32 exec_lo, exec_lo, s18
	v_mul_f32_e32 v13, v60, v35
	v_mul_f32_e32 v12, v60, v12
	v_bfe_u32 v24, v13, 16, 1
	v_or_b32_e32 v25, 0x400000, v13
	v_cmp_u_f32_e64 s4, v13, v13
	v_add3_u32 v24, v24, v13, 0x7fff
	v_cndmask_b32_e64 v13, v24, v25, s4
	v_lshrrev_b32_e32 v121, 16, v13
	v_mul_f32_e32 v13, v60, v30
	v_bfe_u32 v24, v13, 16, 1
	v_or_b32_e32 v25, 0x400000, v13
	v_cmp_u_f32_e64 s4, v13, v13
	v_add3_u32 v24, v24, v13, 0x7fff
	v_cndmask_b32_e64 v13, v24, v25, s4
	v_lshrrev_b32_e32 v122, 16, v13
	;; [unrolled: 7-line block ×4, first 2 shown]
	v_mul_f32_e32 v13, v60, v15
	v_bfe_u32 v15, v13, 16, 1
	v_or_b32_e32 v16, 0x400000, v13
	v_cmp_u_f32_e64 s4, v13, v13
	v_add3_u32 v15, v15, v13, 0x7fff
	v_cndmask_b32_e64 v13, v15, v16, s4
	v_or_b32_e32 v15, 0x400000, v12
	v_cmp_u_f32_e64 s4, v12, v12
	v_lshrrev_b32_e32 v126, 16, v13
	v_bfe_u32 v13, v12, 16, 1
	v_add3_u32 v13, v13, v12, 0x7fff
	v_cndmask_b32_e64 v12, v13, v15, s4
	v_lshrrev_b32_e32 v127, 16, v12
	v_mul_f32_e32 v12, v60, v29
	v_bfe_u32 v13, v12, 16, 1
	v_or_b32_e32 v15, 0x400000, v12
	v_cmp_u_f32_e64 s4, v12, v12
	v_add3_u32 v13, v13, v12, 0x7fff
	v_cndmask_b32_e64 v12, v13, v15, s4
	v_lshrrev_b32_e32 v125, 16, v12
	v_mul_f32_e32 v12, v60, v28
	v_bfe_u32 v13, v12, 16, 1
	v_or_b32_e32 v15, 0x400000, v12
	v_cmp_u_f32_e64 s4, v12, v12
	v_add3_u32 v13, v13, v12, 0x7fff
	v_cndmask_b32_e64 v12, v13, v15, s4
	v_lshrrev_b32_e32 v29, 16, v12
	s_and_saveexec_b32 s18, vcc_lo
	s_cbranch_execz .LBB351_1524
; %bb.1523:                             ;   in Loop: Header=BB351_995 Depth=1
	v_cmp_lt_i32_e64 s4, v73, v32
	v_cndmask_b32_e64 v127, 0, v127, s4
	v_cmp_lt_i32_e64 s4, v88, v32
	v_cndmask_b32_e64 v126, 0, v126, s4
	;; [unrolled: 2-line block ×8, first 2 shown]
.LBB351_1524:                           ;   in Loop: Header=BB351_995 Depth=1
	s_or_b32 exec_lo, exec_lo, s18
	v_add_co_u32 v19, s4, 0x800, v19
	v_add_co_ci_u32_e64 v20, null, 0, v20, s4
	v_mov_b32_e32 v21, 0
	v_mov_b32_e32 v12, 0
	flat_load_dwordx2 v[24:25], v[19:20]
	s_waitcnt vmcnt(0) lgkmcnt(0)
	v_cmp_ne_u16_sdwa s4, v24, v14 src0_sel:BYTE_0 src1_sel:DWORD
	s_and_saveexec_b32 s18, s4
	s_cbranch_execz .LBB351_1532
; %bb.1525:                             ;   in Loop: Header=BB351_995 Depth=1
	v_cmp_ne_u16_sdwa s4, v24, v71 src0_sel:BYTE_0 src1_sel:DWORD
	v_bfrev_b32_e32 v12, 1
	s_and_saveexec_b32 s19, s4
	s_cbranch_execz .LBB351_1531
; %bb.1526:                             ;   in Loop: Header=BB351_995 Depth=1
	v_and_b32_e32 v13, 0x7f, v24
	v_mov_b32_e32 v12, 0x7f800001
	s_mov_b32 s20, exec_lo
	v_cmpx_ne_u32_e32 0x7f, v13
	s_cbranch_execz .LBB351_1530
; %bb.1527:                             ;   in Loop: Header=BB351_995 Depth=1
	v_mov_b32_e32 v27, v25
	v_lshrrev_b32_e32 v12, 3, v13
	v_mov_b32_e32 v26, v24
	s_mov_b32 s21, exec_lo
	v_cmpx_gt_u32_e32 8, v13
; %bb.1528:                             ;   in Loop: Header=BB351_995 Depth=1
	v_and_b32_e32 v12, 7, v24
	v_ffbh_u32_e32 v12, v12
	v_min_u32_e32 v12, 32, v12
	v_subrev_nc_u32_e32 v13, 28, v12
	v_sub_nc_u32_e32 v12, 29, v12
	v_lshlrev_b64 v[26:27], v13, v[24:25]
; %bb.1529:                             ;   in Loop: Header=BB351_995 Depth=1
	s_or_b32 exec_lo, exec_lo, s21
	v_lshlrev_b32_e32 v13, 20, v26
	v_lshlrev_b32_e32 v15, 24, v24
	v_lshl_add_u32 v12, v12, 23, 0x3c000000
	v_and_b32_e32 v13, 0x700000, v13
	v_and_b32_e32 v15, 0x80000000, v15
	v_or3_b32 v12, v13, v15, v12
.LBB351_1530:                           ;   in Loop: Header=BB351_995 Depth=1
	s_or_b32 exec_lo, exec_lo, s20
.LBB351_1531:                           ;   in Loop: Header=BB351_995 Depth=1
	s_or_b32 exec_lo, exec_lo, s19
.LBB351_1532:                           ;   in Loop: Header=BB351_995 Depth=1
	s_or_b32 exec_lo, exec_lo, s18
	v_cmp_ne_u16_sdwa s4, v24, v14 src0_sel:BYTE_1 src1_sel:DWORD
	s_and_saveexec_b32 s18, s4
	s_cbranch_execz .LBB351_1540
; %bb.1533:                             ;   in Loop: Header=BB351_995 Depth=1
	v_cmp_ne_u16_sdwa s4, v24, v71 src0_sel:BYTE_1 src1_sel:DWORD
	v_bfrev_b32_e32 v21, 1
	s_and_saveexec_b32 s19, s4
	s_cbranch_execz .LBB351_1539
; %bb.1534:                             ;   in Loop: Header=BB351_995 Depth=1
	v_mov_b32_e32 v13, 0xffff
	v_mov_b32_e32 v21, 0x7f800001
	s_mov_b32 s20, exec_lo
	v_and_b32_sdwa v13, v13, v24 dst_sel:DWORD dst_unused:UNUSED_PAD src0_sel:DWORD src1_sel:BYTE_1
	v_and_b32_e32 v16, 0x7f, v13
	v_cmpx_ne_u32_e32 0x7f, v16
	s_cbranch_execz .LBB351_1538
; %bb.1535:                             ;   in Loop: Header=BB351_995 Depth=1
	v_and_b32_e32 v13, 7, v13
	v_mov_b32_e32 v27, v14
	v_lshrrev_b32_e32 v15, 3, v16
	s_mov_b32 s21, exec_lo
	v_mov_b32_e32 v26, v13
	v_cmpx_gt_u32_e32 8, v16
; %bb.1536:                             ;   in Loop: Header=BB351_995 Depth=1
	v_ffbh_u32_e32 v15, v13
	v_min_u32_e32 v15, 32, v15
	v_subrev_nc_u32_e32 v16, 28, v15
	v_sub_nc_u32_e32 v15, 29, v15
	v_lshlrev_b64 v[26:27], v16, v[13:14]
	v_and_b32_e32 v26, 7, v26
; %bb.1537:                             ;   in Loop: Header=BB351_995 Depth=1
	s_or_b32 exec_lo, exec_lo, s21
	v_lshlrev_b32_e32 v13, 16, v24
	v_lshlrev_b32_e32 v16, 20, v26
	v_lshl_add_u32 v15, v15, 23, 0x3c000000
	v_and_b32_e32 v13, 0x80000000, v13
	v_or3_b32 v21, v16, v13, v15
.LBB351_1538:                           ;   in Loop: Header=BB351_995 Depth=1
	s_or_b32 exec_lo, exec_lo, s20
.LBB351_1539:                           ;   in Loop: Header=BB351_995 Depth=1
	s_or_b32 exec_lo, exec_lo, s19
.LBB351_1540:                           ;   in Loop: Header=BB351_995 Depth=1
	s_or_b32 exec_lo, exec_lo, s18
	v_and_b32_sdwa v13, v24, v81 dst_sel:DWORD dst_unused:UNUSED_PAD src0_sel:WORD_1 src1_sel:DWORD
	v_mov_b32_e32 v16, 0
	v_mov_b32_e32 v28, 0
	s_mov_b32 s18, exec_lo
	v_cmpx_ne_u16_e32 0, v13
	s_cbranch_execz .LBB351_1548
; %bb.1541:                             ;   in Loop: Header=BB351_995 Depth=1
	v_bfrev_b32_e32 v28, 1
	s_mov_b32 s19, exec_lo
	v_cmpx_ne_u16_e32 0x80, v13
	s_cbranch_execz .LBB351_1547
; %bb.1542:                             ;   in Loop: Header=BB351_995 Depth=1
	v_bfe_u32 v26, v24, 16, 7
	v_mov_b32_e32 v28, 0x7f800001
	s_mov_b32 s20, exec_lo
	v_cmpx_ne_u32_e32 0x7f, v26
	s_cbranch_execz .LBB351_1546
; %bb.1543:                             ;   in Loop: Header=BB351_995 Depth=1
	v_mov_b32_e32 v13, 7
	v_lshrrev_b32_e32 v15, 3, v26
	v_cmp_gt_u32_e64 s4, 8, v26
	v_and_b32_sdwa v13, v24, v13 dst_sel:DWORD dst_unused:UNUSED_PAD src0_sel:WORD_1 src1_sel:DWORD
	v_mov_b32_e32 v27, v14
	v_mov_b32_e32 v26, v13
	s_and_saveexec_b32 s21, s4
; %bb.1544:                             ;   in Loop: Header=BB351_995 Depth=1
	v_ffbh_u32_e32 v15, v13
	v_min_u32_e32 v15, 32, v15
	v_subrev_nc_u32_e32 v26, 28, v15
	v_sub_nc_u32_e32 v15, 29, v15
	v_lshlrev_b64 v[26:27], v26, v[13:14]
	v_and_b32_e32 v26, 7, v26
; %bb.1545:                             ;   in Loop: Header=BB351_995 Depth=1
	s_or_b32 exec_lo, exec_lo, s21
	v_mov_b32_e32 v13, 24
	v_lshlrev_b32_e32 v26, 20, v26
	v_lshl_add_u32 v15, v15, 23, 0x3c000000
	v_lshlrev_b32_sdwa v13, v13, v24 dst_sel:DWORD dst_unused:UNUSED_PAD src0_sel:DWORD src1_sel:WORD_1
	v_and_b32_e32 v13, 0x80000000, v13
	v_or3_b32 v28, v26, v13, v15
.LBB351_1546:                           ;   in Loop: Header=BB351_995 Depth=1
	s_or_b32 exec_lo, exec_lo, s20
.LBB351_1547:                           ;   in Loop: Header=BB351_995 Depth=1
	s_or_b32 exec_lo, exec_lo, s19
.LBB351_1548:                           ;   in Loop: Header=BB351_995 Depth=1
	s_or_b32 exec_lo, exec_lo, s18
	s_mov_b32 s18, exec_lo
	v_cmpx_lt_u32_e32 0xffffff, v24
	s_cbranch_execz .LBB351_1556
; %bb.1549:                             ;   in Loop: Header=BB351_995 Depth=1
	v_cmp_ne_u32_sdwa s4, v24, v71 src0_sel:BYTE_3 src1_sel:DWORD
	v_bfrev_b32_e32 v16, 1
	s_and_saveexec_b32 s19, s4
	s_cbranch_execz .LBB351_1555
; %bb.1550:                             ;   in Loop: Header=BB351_995 Depth=1
	v_bfe_u32 v26, v24, 24, 7
	v_mov_b32_e32 v16, 0x7f800001
	s_mov_b32 s20, exec_lo
	v_cmpx_ne_u32_e32 0x7f, v26
	s_cbranch_execz .LBB351_1554
; %bb.1551:                             ;   in Loop: Header=BB351_995 Depth=1
	v_mov_b32_e32 v13, 7
	v_lshrrev_b32_e32 v15, 3, v26
	v_cmp_gt_u32_e64 s4, 8, v26
	v_and_b32_sdwa v13, v24, v13 dst_sel:DWORD dst_unused:UNUSED_PAD src0_sel:BYTE_3 src1_sel:DWORD
	v_mov_b32_e32 v27, v14
	v_mov_b32_e32 v26, v13
	s_and_saveexec_b32 s21, s4
; %bb.1552:                             ;   in Loop: Header=BB351_995 Depth=1
	v_ffbh_u32_e32 v15, v13
	v_min_u32_e32 v15, 32, v15
	v_subrev_nc_u32_e32 v16, 28, v15
	v_sub_nc_u32_e32 v15, 29, v15
	v_lshlrev_b64 v[26:27], v16, v[13:14]
	v_and_b32_e32 v26, 7, v26
; %bb.1553:                             ;   in Loop: Header=BB351_995 Depth=1
	s_or_b32 exec_lo, exec_lo, s21
	v_mov_b32_e32 v13, 24
	v_lshlrev_b32_e32 v16, 20, v26
	v_lshl_add_u32 v15, v15, 23, 0x3c000000
	v_lshlrev_b32_sdwa v13, v13, v24 dst_sel:DWORD dst_unused:UNUSED_PAD src0_sel:DWORD src1_sel:BYTE_3
	v_and_b32_e32 v13, 0x80000000, v13
	v_or3_b32 v16, v16, v13, v15
.LBB351_1554:                           ;   in Loop: Header=BB351_995 Depth=1
	s_or_b32 exec_lo, exec_lo, s20
.LBB351_1555:                           ;   in Loop: Header=BB351_995 Depth=1
	s_or_b32 exec_lo, exec_lo, s19
.LBB351_1556:                           ;   in Loop: Header=BB351_995 Depth=1
	s_or_b32 exec_lo, exec_lo, s18
	v_mov_b32_e32 v13, v25
	v_cmp_ne_u16_sdwa s4, v25, v14 src0_sel:BYTE_0 src1_sel:DWORD
	v_mov_b32_e32 v36, 0
	v_mov_b32_e32 v15, 0
	s_and_saveexec_b32 s18, s4
	s_cbranch_execz .LBB351_1564
; %bb.1557:                             ;   in Loop: Header=BB351_995 Depth=1
	v_cmp_ne_u16_sdwa s4, v25, v71 src0_sel:BYTE_0 src1_sel:DWORD
	v_bfrev_b32_e32 v15, 1
	s_and_saveexec_b32 s19, s4
	s_cbranch_execz .LBB351_1563
; %bb.1558:                             ;   in Loop: Header=BB351_995 Depth=1
	v_and_b32_e32 v26, 0x7f, v25
	v_mov_b32_e32 v15, 0x7f800001
	s_mov_b32 s20, exec_lo
	v_cmpx_ne_u32_e32 0x7f, v26
	s_cbranch_execz .LBB351_1562
; %bb.1559:                             ;   in Loop: Header=BB351_995 Depth=1
	v_lshrrev_b32_e32 v15, 3, v26
	v_cmp_gt_u32_e64 s4, 8, v26
	v_mov_b32_e32 v27, v14
	v_mov_b32_e32 v26, v13
	s_and_saveexec_b32 s21, s4
; %bb.1560:                             ;   in Loop: Header=BB351_995 Depth=1
	v_and_b32_e32 v15, 7, v25
	v_ffbh_u32_e32 v15, v15
	v_min_u32_e32 v15, 32, v15
	v_subrev_nc_u32_e32 v26, 28, v15
	v_sub_nc_u32_e32 v15, 29, v15
	v_lshlrev_b64 v[26:27], v26, v[13:14]
; %bb.1561:                             ;   in Loop: Header=BB351_995 Depth=1
	s_or_b32 exec_lo, exec_lo, s21
	v_lshlrev_b32_e32 v26, 20, v26
	v_lshlrev_b32_e32 v27, 24, v13
	v_lshl_add_u32 v15, v15, 23, 0x3c000000
	v_and_b32_e32 v26, 0x700000, v26
	v_and_b32_e32 v27, 0x80000000, v27
	v_or3_b32 v15, v26, v27, v15
.LBB351_1562:                           ;   in Loop: Header=BB351_995 Depth=1
	s_or_b32 exec_lo, exec_lo, s20
.LBB351_1563:                           ;   in Loop: Header=BB351_995 Depth=1
	s_or_b32 exec_lo, exec_lo, s19
.LBB351_1564:                           ;   in Loop: Header=BB351_995 Depth=1
	s_or_b32 exec_lo, exec_lo, s18
	v_cmp_ne_u16_sdwa s4, v13, v14 src0_sel:BYTE_1 src1_sel:DWORD
	s_and_saveexec_b32 s18, s4
	s_cbranch_execz .LBB351_1572
; %bb.1565:                             ;   in Loop: Header=BB351_995 Depth=1
	v_cmp_ne_u16_sdwa s4, v13, v71 src0_sel:BYTE_1 src1_sel:DWORD
	v_bfrev_b32_e32 v36, 1
	s_and_saveexec_b32 s19, s4
	s_cbranch_execz .LBB351_1571
; %bb.1566:                             ;   in Loop: Header=BB351_995 Depth=1
	v_mov_b32_e32 v26, 0xffff
	v_mov_b32_e32 v36, 0x7f800001
	s_mov_b32 s20, exec_lo
	v_and_b32_sdwa v26, v26, v13 dst_sel:DWORD dst_unused:UNUSED_PAD src0_sel:DWORD src1_sel:BYTE_1
	v_and_b32_e32 v35, 0x7f, v26
	v_cmpx_ne_u32_e32 0x7f, v35
	s_cbranch_execz .LBB351_1570
; %bb.1567:                             ;   in Loop: Header=BB351_995 Depth=1
	v_and_b32_e32 v26, 7, v26
	v_mov_b32_e32 v27, v14
	v_lshrrev_b32_e32 v30, 3, v35
	s_mov_b32 s21, exec_lo
	v_cmpx_gt_u32_e32 8, v35
; %bb.1568:                             ;   in Loop: Header=BB351_995 Depth=1
	v_ffbh_u32_e32 v30, v26
	v_min_u32_e32 v30, 32, v30
	v_subrev_nc_u32_e32 v34, 28, v30
	v_sub_nc_u32_e32 v30, 29, v30
	v_lshlrev_b64 v[26:27], v34, v[26:27]
	v_and_b32_e32 v26, 7, v26
; %bb.1569:                             ;   in Loop: Header=BB351_995 Depth=1
	s_or_b32 exec_lo, exec_lo, s21
	v_lshlrev_b32_e32 v13, 16, v13
	v_lshlrev_b32_e32 v26, 20, v26
	v_lshl_add_u32 v27, v30, 23, 0x3c000000
	v_and_b32_e32 v13, 0x80000000, v13
	v_or3_b32 v36, v26, v13, v27
.LBB351_1570:                           ;   in Loop: Header=BB351_995 Depth=1
	s_or_b32 exec_lo, exec_lo, s20
.LBB351_1571:                           ;   in Loop: Header=BB351_995 Depth=1
	s_or_b32 exec_lo, exec_lo, s19
.LBB351_1572:                           ;   in Loop: Header=BB351_995 Depth=1
	s_or_b32 exec_lo, exec_lo, s18
	v_and_b32_sdwa v13, v25, v81 dst_sel:DWORD dst_unused:UNUSED_PAD src0_sel:WORD_1 src1_sel:DWORD
	v_mov_b32_e32 v35, 0
	v_mov_b32_e32 v30, 0
	s_mov_b32 s18, exec_lo
	v_cmpx_ne_u16_e32 0, v13
	s_cbranch_execz .LBB351_1580
; %bb.1573:                             ;   in Loop: Header=BB351_995 Depth=1
	v_bfrev_b32_e32 v30, 1
	s_mov_b32 s19, exec_lo
	v_cmpx_ne_u16_e32 0x80, v13
	s_cbranch_execz .LBB351_1579
; %bb.1574:                             ;   in Loop: Header=BB351_995 Depth=1
	v_bfe_u32 v26, v25, 16, 7
	v_mov_b32_e32 v30, 0x7f800001
	s_mov_b32 s20, exec_lo
	v_cmpx_ne_u32_e32 0x7f, v26
	s_cbranch_execz .LBB351_1578
; %bb.1575:                             ;   in Loop: Header=BB351_995 Depth=1
	v_mov_b32_e32 v13, 7
	v_lshrrev_b32_e32 v30, 3, v26
	v_cmp_gt_u32_e64 s4, 8, v26
	v_and_b32_sdwa v13, v25, v13 dst_sel:DWORD dst_unused:UNUSED_PAD src0_sel:WORD_1 src1_sel:DWORD
	v_mov_b32_e32 v27, v14
	v_mov_b32_e32 v26, v13
	s_and_saveexec_b32 s21, s4
; %bb.1576:                             ;   in Loop: Header=BB351_995 Depth=1
	v_ffbh_u32_e32 v26, v13
	v_min_u32_e32 v30, 32, v26
	v_subrev_nc_u32_e32 v26, 28, v30
	v_sub_nc_u32_e32 v30, 29, v30
	v_lshlrev_b64 v[26:27], v26, v[13:14]
	v_and_b32_e32 v26, 7, v26
; %bb.1577:                             ;   in Loop: Header=BB351_995 Depth=1
	s_or_b32 exec_lo, exec_lo, s21
	v_mov_b32_e32 v13, 24
	v_lshlrev_b32_e32 v26, 20, v26
	v_lshl_add_u32 v27, v30, 23, 0x3c000000
	v_lshlrev_b32_sdwa v13, v13, v25 dst_sel:DWORD dst_unused:UNUSED_PAD src0_sel:DWORD src1_sel:WORD_1
	v_and_b32_e32 v13, 0x80000000, v13
	v_or3_b32 v30, v26, v13, v27
.LBB351_1578:                           ;   in Loop: Header=BB351_995 Depth=1
	s_or_b32 exec_lo, exec_lo, s20
.LBB351_1579:                           ;   in Loop: Header=BB351_995 Depth=1
	s_or_b32 exec_lo, exec_lo, s19
.LBB351_1580:                           ;   in Loop: Header=BB351_995 Depth=1
	s_or_b32 exec_lo, exec_lo, s18
	s_mov_b32 s18, exec_lo
	v_cmpx_lt_u64_e64 s[6:7], v[24:25]
	s_cbranch_execz .LBB351_1588
; %bb.1581:                             ;   in Loop: Header=BB351_995 Depth=1
	v_cmp_ne_u32_sdwa s4, v25, v71 src0_sel:BYTE_3 src1_sel:DWORD
	v_bfrev_b32_e32 v35, 1
	s_and_saveexec_b32 s19, s4
	s_cbranch_execz .LBB351_1587
; %bb.1582:                             ;   in Loop: Header=BB351_995 Depth=1
	v_bfe_u32 v26, v25, 24, 7
	v_mov_b32_e32 v35, 0x7f800001
	s_mov_b32 s20, exec_lo
	v_cmpx_ne_u32_e32 0x7f, v26
	s_cbranch_execz .LBB351_1586
; %bb.1583:                             ;   in Loop: Header=BB351_995 Depth=1
	v_mov_b32_e32 v13, 7
	v_lshrrev_b32_e32 v24, 3, v26
	v_cmp_gt_u32_e64 s4, 8, v26
	v_and_b32_sdwa v13, v25, v13 dst_sel:DWORD dst_unused:UNUSED_PAD src0_sel:BYTE_3 src1_sel:DWORD
	v_mov_b32_e32 v27, v14
	v_mov_b32_e32 v26, v13
	s_and_saveexec_b32 s21, s4
; %bb.1584:                             ;   in Loop: Header=BB351_995 Depth=1
	v_ffbh_u32_e32 v24, v13
	v_min_u32_e32 v24, 32, v24
	v_subrev_nc_u32_e32 v26, 28, v24
	v_sub_nc_u32_e32 v24, 29, v24
	v_lshlrev_b64 v[26:27], v26, v[13:14]
	v_and_b32_e32 v26, 7, v26
; %bb.1585:                             ;   in Loop: Header=BB351_995 Depth=1
	s_or_b32 exec_lo, exec_lo, s21
	v_mov_b32_e32 v13, 24
	v_lshl_add_u32 v24, v24, 23, 0x3c000000
	v_lshlrev_b32_sdwa v13, v13, v25 dst_sel:DWORD dst_unused:UNUSED_PAD src0_sel:DWORD src1_sel:BYTE_3
	v_lshlrev_b32_e32 v25, 20, v26
	v_and_b32_e32 v13, 0x80000000, v13
	v_or3_b32 v35, v25, v13, v24
.LBB351_1586:                           ;   in Loop: Header=BB351_995 Depth=1
	s_or_b32 exec_lo, exec_lo, s20
.LBB351_1587:                           ;   in Loop: Header=BB351_995 Depth=1
	s_or_b32 exec_lo, exec_lo, s19
.LBB351_1588:                           ;   in Loop: Header=BB351_995 Depth=1
	s_or_b32 exec_lo, exec_lo, s18
	v_mul_f32_e32 v13, v60, v36
	v_mul_f32_e32 v12, v60, v12
	v_bfe_u32 v24, v13, 16, 1
	v_or_b32_e32 v25, 0x400000, v13
	v_cmp_u_f32_e64 s4, v13, v13
	v_add3_u32 v24, v24, v13, 0x7fff
	v_cndmask_b32_e64 v13, v24, v25, s4
	v_lshrrev_b32_e32 v84, 16, v13
	v_mul_f32_e32 v13, v60, v15
	v_bfe_u32 v15, v13, 16, 1
	v_or_b32_e32 v24, 0x400000, v13
	v_cmp_u_f32_e64 s4, v13, v13
	v_add3_u32 v15, v15, v13, 0x7fff
	v_cndmask_b32_e64 v13, v15, v24, s4
	v_lshrrev_b32_e32 v15, 16, v13
	;; [unrolled: 7-line block ×4, first 2 shown]
	v_mul_f32_e32 v13, v60, v21
	v_bfe_u32 v21, v13, 16, 1
	v_or_b32_e32 v24, 0x400000, v13
	v_cmp_u_f32_e64 s4, v13, v13
	v_add3_u32 v21, v21, v13, 0x7fff
	v_cndmask_b32_e64 v13, v21, v24, s4
	v_or_b32_e32 v21, 0x400000, v12
	v_cmp_u_f32_e64 s4, v12, v12
	v_lshrrev_b32_e32 v48, 16, v13
	v_bfe_u32 v13, v12, 16, 1
	v_add3_u32 v13, v13, v12, 0x7fff
	v_cndmask_b32_e64 v12, v13, v21, s4
	v_lshrrev_b32_e32 v49, 16, v12
	v_mul_f32_e32 v12, v60, v30
	v_bfe_u32 v13, v12, 16, 1
	v_or_b32_e32 v21, 0x400000, v12
	v_cmp_u_f32_e64 s4, v12, v12
	v_add3_u32 v13, v13, v12, 0x7fff
	v_cndmask_b32_e64 v12, v13, v21, s4
	v_lshrrev_b32_e32 v30, 16, v12
	v_mul_f32_e32 v12, v60, v35
	v_bfe_u32 v13, v12, 16, 1
	v_or_b32_e32 v21, 0x400000, v12
	v_cmp_u_f32_e64 s4, v12, v12
	v_add3_u32 v13, v13, v12, 0x7fff
	v_cndmask_b32_e64 v12, v13, v21, s4
	v_lshrrev_b32_e32 v50, 16, v12
	s_and_saveexec_b32 s18, vcc_lo
	s_cbranch_execz .LBB351_1590
; %bb.1589:                             ;   in Loop: Header=BB351_995 Depth=1
	v_cmp_lt_i32_e64 s4, v73, v32
	v_cndmask_b32_e64 v49, 0, v49, s4
	v_cmp_lt_i32_e64 s4, v88, v32
	v_cndmask_b32_e64 v48, 0, v48, s4
	;; [unrolled: 2-line block ×8, first 2 shown]
.LBB351_1590:                           ;   in Loop: Header=BB351_995 Depth=1
	s_or_b32 exec_lo, exec_lo, s18
	flat_load_dwordx2 v[24:25], v[19:20] offset:256
	v_mov_b32_e32 v21, 0
	v_mov_b32_e32 v12, 0
	s_waitcnt vmcnt(0) lgkmcnt(0)
	v_cmp_ne_u16_sdwa s4, v24, v14 src0_sel:BYTE_0 src1_sel:DWORD
	s_and_saveexec_b32 s18, s4
	s_cbranch_execz .LBB351_1598
; %bb.1591:                             ;   in Loop: Header=BB351_995 Depth=1
	v_cmp_ne_u16_sdwa s4, v24, v71 src0_sel:BYTE_0 src1_sel:DWORD
	v_bfrev_b32_e32 v12, 1
	s_and_saveexec_b32 s19, s4
	s_cbranch_execz .LBB351_1597
; %bb.1592:                             ;   in Loop: Header=BB351_995 Depth=1
	v_and_b32_e32 v13, 0x7f, v24
	v_mov_b32_e32 v12, 0x7f800001
	s_mov_b32 s20, exec_lo
	v_cmpx_ne_u32_e32 0x7f, v13
	s_cbranch_execz .LBB351_1596
; %bb.1593:                             ;   in Loop: Header=BB351_995 Depth=1
	v_mov_b32_e32 v27, v25
	v_lshrrev_b32_e32 v12, 3, v13
	v_mov_b32_e32 v26, v24
	s_mov_b32 s21, exec_lo
	v_cmpx_gt_u32_e32 8, v13
; %bb.1594:                             ;   in Loop: Header=BB351_995 Depth=1
	v_and_b32_e32 v12, 7, v24
	v_ffbh_u32_e32 v12, v12
	v_min_u32_e32 v12, 32, v12
	v_subrev_nc_u32_e32 v13, 28, v12
	v_sub_nc_u32_e32 v12, 29, v12
	v_lshlrev_b64 v[26:27], v13, v[24:25]
; %bb.1595:                             ;   in Loop: Header=BB351_995 Depth=1
	s_or_b32 exec_lo, exec_lo, s21
	v_lshlrev_b32_e32 v13, 20, v26
	v_lshlrev_b32_e32 v26, 24, v24
	v_lshl_add_u32 v12, v12, 23, 0x3c000000
	v_and_b32_e32 v13, 0x700000, v13
	v_and_b32_e32 v26, 0x80000000, v26
	v_or3_b32 v12, v13, v26, v12
.LBB351_1596:                           ;   in Loop: Header=BB351_995 Depth=1
	s_or_b32 exec_lo, exec_lo, s20
.LBB351_1597:                           ;   in Loop: Header=BB351_995 Depth=1
	s_or_b32 exec_lo, exec_lo, s19
.LBB351_1598:                           ;   in Loop: Header=BB351_995 Depth=1
	s_or_b32 exec_lo, exec_lo, s18
	v_cmp_ne_u16_sdwa s4, v24, v14 src0_sel:BYTE_1 src1_sel:DWORD
	s_and_saveexec_b32 s18, s4
	s_cbranch_execz .LBB351_1606
; %bb.1599:                             ;   in Loop: Header=BB351_995 Depth=1
	v_cmp_ne_u16_sdwa s4, v24, v71 src0_sel:BYTE_1 src1_sel:DWORD
	v_bfrev_b32_e32 v21, 1
	s_and_saveexec_b32 s19, s4
	s_cbranch_execz .LBB351_1605
; %bb.1600:                             ;   in Loop: Header=BB351_995 Depth=1
	v_mov_b32_e32 v13, 0xffff
	v_mov_b32_e32 v21, 0x7f800001
	s_mov_b32 s20, exec_lo
	v_and_b32_sdwa v13, v13, v24 dst_sel:DWORD dst_unused:UNUSED_PAD src0_sel:DWORD src1_sel:BYTE_1
	v_and_b32_e32 v26, 0x7f, v13
	v_cmpx_ne_u32_e32 0x7f, v26
	s_cbranch_execz .LBB351_1604
; %bb.1601:                             ;   in Loop: Header=BB351_995 Depth=1
	v_and_b32_e32 v13, 7, v13
	v_lshrrev_b32_e32 v21, 3, v26
	v_cmp_gt_u32_e64 s4, 8, v26
	v_mov_b32_e32 v27, v14
	v_mov_b32_e32 v26, v13
	s_and_saveexec_b32 s21, s4
; %bb.1602:                             ;   in Loop: Header=BB351_995 Depth=1
	v_ffbh_u32_e32 v21, v13
	v_min_u32_e32 v21, 32, v21
	v_subrev_nc_u32_e32 v26, 28, v21
	v_sub_nc_u32_e32 v21, 29, v21
	v_lshlrev_b64 v[26:27], v26, v[13:14]
	v_and_b32_e32 v26, 7, v26
; %bb.1603:                             ;   in Loop: Header=BB351_995 Depth=1
	s_or_b32 exec_lo, exec_lo, s21
	v_lshlrev_b32_e32 v13, 16, v24
	v_lshlrev_b32_e32 v26, 20, v26
	v_lshl_add_u32 v21, v21, 23, 0x3c000000
	v_and_b32_e32 v13, 0x80000000, v13
	v_or3_b32 v21, v26, v13, v21
.LBB351_1604:                           ;   in Loop: Header=BB351_995 Depth=1
	s_or_b32 exec_lo, exec_lo, s20
.LBB351_1605:                           ;   in Loop: Header=BB351_995 Depth=1
	s_or_b32 exec_lo, exec_lo, s19
.LBB351_1606:                           ;   in Loop: Header=BB351_995 Depth=1
	s_or_b32 exec_lo, exec_lo, s18
	v_and_b32_sdwa v13, v24, v81 dst_sel:DWORD dst_unused:UNUSED_PAD src0_sel:WORD_1 src1_sel:DWORD
	v_mov_b32_e32 v35, 0
	v_mov_b32_e32 v28, 0
	s_mov_b32 s18, exec_lo
	v_cmpx_ne_u16_e32 0, v13
	s_cbranch_execz .LBB351_1614
; %bb.1607:                             ;   in Loop: Header=BB351_995 Depth=1
	v_bfrev_b32_e32 v28, 1
	s_mov_b32 s19, exec_lo
	v_cmpx_ne_u16_e32 0x80, v13
	s_cbranch_execz .LBB351_1613
; %bb.1608:                             ;   in Loop: Header=BB351_995 Depth=1
	v_bfe_u32 v26, v24, 16, 7
	v_mov_b32_e32 v28, 0x7f800001
	s_mov_b32 s20, exec_lo
	v_cmpx_ne_u32_e32 0x7f, v26
	s_cbranch_execz .LBB351_1612
; %bb.1609:                             ;   in Loop: Header=BB351_995 Depth=1
	v_mov_b32_e32 v13, 7
	v_lshrrev_b32_e32 v28, 3, v26
	v_cmp_gt_u32_e64 s4, 8, v26
	v_and_b32_sdwa v13, v24, v13 dst_sel:DWORD dst_unused:UNUSED_PAD src0_sel:WORD_1 src1_sel:DWORD
	v_mov_b32_e32 v27, v14
	v_mov_b32_e32 v26, v13
	s_and_saveexec_b32 s21, s4
; %bb.1610:                             ;   in Loop: Header=BB351_995 Depth=1
	v_ffbh_u32_e32 v26, v13
	v_min_u32_e32 v28, 32, v26
	v_subrev_nc_u32_e32 v26, 28, v28
	v_sub_nc_u32_e32 v28, 29, v28
	v_lshlrev_b64 v[26:27], v26, v[13:14]
	v_and_b32_e32 v26, 7, v26
; %bb.1611:                             ;   in Loop: Header=BB351_995 Depth=1
	s_or_b32 exec_lo, exec_lo, s21
	v_mov_b32_e32 v13, 24
	v_lshlrev_b32_e32 v26, 20, v26
	v_lshl_add_u32 v27, v28, 23, 0x3c000000
	v_lshlrev_b32_sdwa v13, v13, v24 dst_sel:DWORD dst_unused:UNUSED_PAD src0_sel:DWORD src1_sel:WORD_1
	v_and_b32_e32 v13, 0x80000000, v13
	v_or3_b32 v28, v26, v13, v27
.LBB351_1612:                           ;   in Loop: Header=BB351_995 Depth=1
	s_or_b32 exec_lo, exec_lo, s20
.LBB351_1613:                           ;   in Loop: Header=BB351_995 Depth=1
	s_or_b32 exec_lo, exec_lo, s19
.LBB351_1614:                           ;   in Loop: Header=BB351_995 Depth=1
	s_or_b32 exec_lo, exec_lo, s18
	s_mov_b32 s18, exec_lo
	v_cmpx_lt_u32_e32 0xffffff, v24
	s_cbranch_execz .LBB351_1622
; %bb.1615:                             ;   in Loop: Header=BB351_995 Depth=1
	v_cmp_ne_u32_sdwa s4, v24, v71 src0_sel:BYTE_3 src1_sel:DWORD
	v_bfrev_b32_e32 v35, 1
	s_and_saveexec_b32 s19, s4
	s_cbranch_execz .LBB351_1621
; %bb.1616:                             ;   in Loop: Header=BB351_995 Depth=1
	v_bfe_u32 v26, v24, 24, 7
	v_mov_b32_e32 v35, 0x7f800001
	s_mov_b32 s20, exec_lo
	v_cmpx_ne_u32_e32 0x7f, v26
	s_cbranch_execz .LBB351_1620
; %bb.1617:                             ;   in Loop: Header=BB351_995 Depth=1
	v_mov_b32_e32 v13, 7
	v_lshrrev_b32_e32 v35, 3, v26
	v_cmp_gt_u32_e64 s4, 8, v26
	v_and_b32_sdwa v13, v24, v13 dst_sel:DWORD dst_unused:UNUSED_PAD src0_sel:BYTE_3 src1_sel:DWORD
	v_mov_b32_e32 v27, v14
	v_mov_b32_e32 v26, v13
	s_and_saveexec_b32 s21, s4
; %bb.1618:                             ;   in Loop: Header=BB351_995 Depth=1
	v_ffbh_u32_e32 v26, v13
	v_min_u32_e32 v34, 32, v26
	v_subrev_nc_u32_e32 v26, 28, v34
	v_sub_nc_u32_e32 v35, 29, v34
	v_lshlrev_b64 v[26:27], v26, v[13:14]
	v_and_b32_e32 v26, 7, v26
; %bb.1619:                             ;   in Loop: Header=BB351_995 Depth=1
	s_or_b32 exec_lo, exec_lo, s21
	v_mov_b32_e32 v13, 24
	v_lshlrev_b32_e32 v26, 20, v26
	v_lshl_add_u32 v27, v35, 23, 0x3c000000
	v_lshlrev_b32_sdwa v13, v13, v24 dst_sel:DWORD dst_unused:UNUSED_PAD src0_sel:DWORD src1_sel:BYTE_3
	v_and_b32_e32 v13, 0x80000000, v13
	v_or3_b32 v35, v26, v13, v27
.LBB351_1620:                           ;   in Loop: Header=BB351_995 Depth=1
	s_or_b32 exec_lo, exec_lo, s20
.LBB351_1621:                           ;   in Loop: Header=BB351_995 Depth=1
	s_or_b32 exec_lo, exec_lo, s19
.LBB351_1622:                           ;   in Loop: Header=BB351_995 Depth=1
	s_or_b32 exec_lo, exec_lo, s18
	v_mov_b32_e32 v13, v25
	v_cmp_ne_u16_sdwa s4, v25, v14 src0_sel:BYTE_0 src1_sel:DWORD
	v_mov_b32_e32 v51, 0
	v_mov_b32_e32 v39, 0
	s_and_saveexec_b32 s18, s4
	s_cbranch_execz .LBB351_1630
; %bb.1623:                             ;   in Loop: Header=BB351_995 Depth=1
	v_cmp_ne_u16_sdwa s4, v25, v71 src0_sel:BYTE_0 src1_sel:DWORD
	v_bfrev_b32_e32 v39, 1
	s_and_saveexec_b32 s19, s4
	s_cbranch_execz .LBB351_1629
; %bb.1624:                             ;   in Loop: Header=BB351_995 Depth=1
	v_and_b32_e32 v26, 0x7f, v25
	v_mov_b32_e32 v39, 0x7f800001
	s_mov_b32 s20, exec_lo
	v_cmpx_ne_u32_e32 0x7f, v26
	s_cbranch_execz .LBB351_1628
; %bb.1625:                             ;   in Loop: Header=BB351_995 Depth=1
	v_lshrrev_b32_e32 v36, 3, v26
	v_cmp_gt_u32_e64 s4, 8, v26
	v_mov_b32_e32 v27, v14
	v_mov_b32_e32 v26, v13
	s_and_saveexec_b32 s21, s4
; %bb.1626:                             ;   in Loop: Header=BB351_995 Depth=1
	v_and_b32_e32 v26, 7, v25
	v_ffbh_u32_e32 v26, v26
	v_min_u32_e32 v34, 32, v26
	v_subrev_nc_u32_e32 v26, 28, v34
	v_sub_nc_u32_e32 v36, 29, v34
	v_lshlrev_b64 v[26:27], v26, v[13:14]
; %bb.1627:                             ;   in Loop: Header=BB351_995 Depth=1
	s_or_b32 exec_lo, exec_lo, s21
	v_lshlrev_b32_e32 v26, 20, v26
	v_lshlrev_b32_e32 v27, 24, v13
	v_lshl_add_u32 v34, v36, 23, 0x3c000000
	v_and_b32_e32 v26, 0x700000, v26
	v_and_b32_e32 v27, 0x80000000, v27
	v_or3_b32 v39, v26, v27, v34
.LBB351_1628:                           ;   in Loop: Header=BB351_995 Depth=1
	s_or_b32 exec_lo, exec_lo, s20
.LBB351_1629:                           ;   in Loop: Header=BB351_995 Depth=1
	s_or_b32 exec_lo, exec_lo, s19
.LBB351_1630:                           ;   in Loop: Header=BB351_995 Depth=1
	s_or_b32 exec_lo, exec_lo, s18
	v_cmp_ne_u16_sdwa s4, v13, v14 src0_sel:BYTE_1 src1_sel:DWORD
	s_and_saveexec_b32 s18, s4
	s_cbranch_execz .LBB351_1638
; %bb.1631:                             ;   in Loop: Header=BB351_995 Depth=1
	v_cmp_ne_u16_sdwa s4, v13, v71 src0_sel:BYTE_1 src1_sel:DWORD
	v_bfrev_b32_e32 v51, 1
	s_and_saveexec_b32 s19, s4
	s_cbranch_execz .LBB351_1637
; %bb.1632:                             ;   in Loop: Header=BB351_995 Depth=1
	v_mov_b32_e32 v26, 0xffff
	v_mov_b32_e32 v51, 0x7f800001
	s_mov_b32 s20, exec_lo
	v_and_b32_sdwa v26, v26, v13 dst_sel:DWORD dst_unused:UNUSED_PAD src0_sel:DWORD src1_sel:BYTE_1
	v_and_b32_e32 v38, 0x7f, v26
	v_cmpx_ne_u32_e32 0x7f, v38
	s_cbranch_execz .LBB351_1636
; %bb.1633:                             ;   in Loop: Header=BB351_995 Depth=1
	v_and_b32_e32 v26, 7, v26
	v_mov_b32_e32 v27, v14
	v_lshrrev_b32_e32 v36, 3, v38
	s_mov_b32 s21, exec_lo
	v_cmpx_gt_u32_e32 8, v38
; %bb.1634:                             ;   in Loop: Header=BB351_995 Depth=1
	v_ffbh_u32_e32 v34, v26
	v_min_u32_e32 v34, 32, v34
	v_subrev_nc_u32_e32 v36, 28, v34
	v_lshlrev_b64 v[26:27], v36, v[26:27]
	v_sub_nc_u32_e32 v36, 29, v34
	v_and_b32_e32 v26, 7, v26
; %bb.1635:                             ;   in Loop: Header=BB351_995 Depth=1
	s_or_b32 exec_lo, exec_lo, s21
	v_lshlrev_b32_e32 v13, 16, v13
	v_lshlrev_b32_e32 v26, 20, v26
	v_lshl_add_u32 v27, v36, 23, 0x3c000000
	v_and_b32_e32 v13, 0x80000000, v13
	v_or3_b32 v51, v26, v13, v27
.LBB351_1636:                           ;   in Loop: Header=BB351_995 Depth=1
	s_or_b32 exec_lo, exec_lo, s20
.LBB351_1637:                           ;   in Loop: Header=BB351_995 Depth=1
	s_or_b32 exec_lo, exec_lo, s19
.LBB351_1638:                           ;   in Loop: Header=BB351_995 Depth=1
	s_or_b32 exec_lo, exec_lo, s18
	v_and_b32_sdwa v13, v25, v81 dst_sel:DWORD dst_unused:UNUSED_PAD src0_sel:WORD_1 src1_sel:DWORD
	v_mov_b32_e32 v36, 0
	v_mov_b32_e32 v38, 0
	s_mov_b32 s18, exec_lo
	v_cmpx_ne_u16_e32 0, v13
	s_cbranch_execz .LBB351_1646
; %bb.1639:                             ;   in Loop: Header=BB351_995 Depth=1
	v_bfrev_b32_e32 v38, 1
	s_mov_b32 s19, exec_lo
	v_cmpx_ne_u16_e32 0x80, v13
	s_cbranch_execz .LBB351_1645
; %bb.1640:                             ;   in Loop: Header=BB351_995 Depth=1
	v_bfe_u32 v26, v25, 16, 7
	v_mov_b32_e32 v38, 0x7f800001
	s_mov_b32 s20, exec_lo
	v_cmpx_ne_u32_e32 0x7f, v26
	s_cbranch_execz .LBB351_1644
; %bb.1641:                             ;   in Loop: Header=BB351_995 Depth=1
	v_mov_b32_e32 v13, 7
	v_lshrrev_b32_e32 v38, 3, v26
	v_cmp_gt_u32_e64 s4, 8, v26
	v_and_b32_sdwa v13, v25, v13 dst_sel:DWORD dst_unused:UNUSED_PAD src0_sel:WORD_1 src1_sel:DWORD
	v_mov_b32_e32 v27, v14
	v_mov_b32_e32 v26, v13
	s_and_saveexec_b32 s21, s4
; %bb.1642:                             ;   in Loop: Header=BB351_995 Depth=1
	v_ffbh_u32_e32 v26, v13
	v_min_u32_e32 v34, 32, v26
	v_subrev_nc_u32_e32 v26, 28, v34
	v_sub_nc_u32_e32 v38, 29, v34
	v_lshlrev_b64 v[26:27], v26, v[13:14]
	v_and_b32_e32 v26, 7, v26
; %bb.1643:                             ;   in Loop: Header=BB351_995 Depth=1
	s_or_b32 exec_lo, exec_lo, s21
	v_mov_b32_e32 v13, 24
	v_lshlrev_b32_e32 v26, 20, v26
	v_lshl_add_u32 v27, v38, 23, 0x3c000000
	v_lshlrev_b32_sdwa v13, v13, v25 dst_sel:DWORD dst_unused:UNUSED_PAD src0_sel:DWORD src1_sel:WORD_1
	v_and_b32_e32 v13, 0x80000000, v13
	v_or3_b32 v38, v26, v13, v27
.LBB351_1644:                           ;   in Loop: Header=BB351_995 Depth=1
	s_or_b32 exec_lo, exec_lo, s20
.LBB351_1645:                           ;   in Loop: Header=BB351_995 Depth=1
	s_or_b32 exec_lo, exec_lo, s19
.LBB351_1646:                           ;   in Loop: Header=BB351_995 Depth=1
	s_or_b32 exec_lo, exec_lo, s18
	s_mov_b32 s18, exec_lo
	v_cmpx_lt_u64_e64 s[6:7], v[24:25]
	s_cbranch_execz .LBB351_1654
; %bb.1647:                             ;   in Loop: Header=BB351_995 Depth=1
	v_cmp_ne_u32_sdwa s4, v25, v71 src0_sel:BYTE_3 src1_sel:DWORD
	v_bfrev_b32_e32 v36, 1
	s_and_saveexec_b32 s19, s4
	s_cbranch_execz .LBB351_1653
; %bb.1648:                             ;   in Loop: Header=BB351_995 Depth=1
	v_bfe_u32 v26, v25, 24, 7
	v_mov_b32_e32 v36, 0x7f800001
	s_mov_b32 s20, exec_lo
	v_cmpx_ne_u32_e32 0x7f, v26
	s_cbranch_execz .LBB351_1652
; %bb.1649:                             ;   in Loop: Header=BB351_995 Depth=1
	v_mov_b32_e32 v13, 7
	v_lshrrev_b32_e32 v24, 3, v26
	v_cmp_gt_u32_e64 s4, 8, v26
	v_and_b32_sdwa v13, v25, v13 dst_sel:DWORD dst_unused:UNUSED_PAD src0_sel:BYTE_3 src1_sel:DWORD
	v_mov_b32_e32 v27, v14
	v_mov_b32_e32 v26, v13
	s_and_saveexec_b32 s21, s4
; %bb.1650:                             ;   in Loop: Header=BB351_995 Depth=1
	v_ffbh_u32_e32 v24, v13
	v_min_u32_e32 v24, 32, v24
	v_subrev_nc_u32_e32 v26, 28, v24
	v_sub_nc_u32_e32 v24, 29, v24
	v_lshlrev_b64 v[26:27], v26, v[13:14]
	v_and_b32_e32 v26, 7, v26
; %bb.1651:                             ;   in Loop: Header=BB351_995 Depth=1
	s_or_b32 exec_lo, exec_lo, s21
	v_mov_b32_e32 v13, 24
	v_lshl_add_u32 v24, v24, 23, 0x3c000000
	v_lshlrev_b32_sdwa v13, v13, v25 dst_sel:DWORD dst_unused:UNUSED_PAD src0_sel:DWORD src1_sel:BYTE_3
	v_lshlrev_b32_e32 v25, 20, v26
	v_and_b32_e32 v13, 0x80000000, v13
	v_or3_b32 v36, v25, v13, v24
.LBB351_1652:                           ;   in Loop: Header=BB351_995 Depth=1
	s_or_b32 exec_lo, exec_lo, s20
.LBB351_1653:                           ;   in Loop: Header=BB351_995 Depth=1
	s_or_b32 exec_lo, exec_lo, s19
.LBB351_1654:                           ;   in Loop: Header=BB351_995 Depth=1
	s_or_b32 exec_lo, exec_lo, s18
	v_mul_f32_e32 v13, v60, v51
	v_mul_f32_e32 v12, v60, v12
	v_bfe_u32 v24, v13, 16, 1
	v_or_b32_e32 v25, 0x400000, v13
	v_cmp_u_f32_e64 s4, v13, v13
	v_add3_u32 v24, v24, v13, 0x7fff
	v_cndmask_b32_e64 v13, v24, v25, s4
	v_lshrrev_b32_e32 v51, 16, v13
	v_mul_f32_e32 v13, v60, v39
	v_bfe_u32 v24, v13, 16, 1
	v_or_b32_e32 v25, 0x400000, v13
	v_cmp_u_f32_e64 s4, v13, v13
	v_add3_u32 v24, v24, v13, 0x7fff
	v_cndmask_b32_e64 v13, v24, v25, s4
	v_lshrrev_b32_e32 v52, 16, v13
	;; [unrolled: 7-line block ×4, first 2 shown]
	v_mul_f32_e32 v13, v60, v21
	v_bfe_u32 v21, v13, 16, 1
	v_or_b32_e32 v24, 0x400000, v13
	v_cmp_u_f32_e64 s4, v13, v13
	v_add3_u32 v21, v21, v13, 0x7fff
	v_cndmask_b32_e64 v13, v21, v24, s4
	v_or_b32_e32 v21, 0x400000, v12
	v_cmp_u_f32_e64 s4, v12, v12
	v_lshrrev_b32_e32 v64, 16, v13
	v_bfe_u32 v13, v12, 16, 1
	v_add3_u32 v13, v13, v12, 0x7fff
	v_cndmask_b32_e64 v12, v13, v21, s4
	v_lshrrev_b32_e32 v65, 16, v12
	v_mul_f32_e32 v12, v60, v38
	v_bfe_u32 v13, v12, 16, 1
	v_or_b32_e32 v21, 0x400000, v12
	v_cmp_u_f32_e64 s4, v12, v12
	v_add3_u32 v13, v13, v12, 0x7fff
	v_cndmask_b32_e64 v12, v13, v21, s4
	v_lshrrev_b32_e32 v55, 16, v12
	v_mul_f32_e32 v12, v60, v36
	v_bfe_u32 v13, v12, 16, 1
	v_or_b32_e32 v21, 0x400000, v12
	v_cmp_u_f32_e64 s4, v12, v12
	v_add3_u32 v13, v13, v12, 0x7fff
	v_cndmask_b32_e64 v12, v13, v21, s4
	v_lshrrev_b32_e32 v66, 16, v12
	s_and_saveexec_b32 s18, vcc_lo
	s_cbranch_execz .LBB351_1656
; %bb.1655:                             ;   in Loop: Header=BB351_995 Depth=1
	v_cmp_lt_i32_e64 s4, v73, v32
	v_cndmask_b32_e64 v65, 0, v65, s4
	v_cmp_lt_i32_e64 s4, v88, v32
	v_cndmask_b32_e64 v64, 0, v64, s4
	;; [unrolled: 2-line block ×8, first 2 shown]
.LBB351_1656:                           ;   in Loop: Header=BB351_995 Depth=1
	s_or_b32 exec_lo, exec_lo, s18
	flat_load_dwordx2 v[24:25], v[19:20] offset:512
	v_mov_b32_e32 v12, 0
	v_mov_b32_e32 v28, 0
	s_waitcnt vmcnt(0) lgkmcnt(0)
	v_cmp_ne_u16_sdwa s4, v24, v14 src0_sel:BYTE_0 src1_sel:DWORD
	s_and_saveexec_b32 s18, s4
	s_cbranch_execz .LBB351_1664
; %bb.1657:                             ;   in Loop: Header=BB351_995 Depth=1
	v_cmp_ne_u16_sdwa s4, v24, v71 src0_sel:BYTE_0 src1_sel:DWORD
	v_bfrev_b32_e32 v28, 1
	s_and_saveexec_b32 s19, s4
	s_cbranch_execz .LBB351_1663
; %bb.1658:                             ;   in Loop: Header=BB351_995 Depth=1
	v_and_b32_e32 v21, 0x7f, v24
	v_mov_b32_e32 v28, 0x7f800001
	s_mov_b32 s20, exec_lo
	v_cmpx_ne_u32_e32 0x7f, v21
	s_cbranch_execz .LBB351_1662
; %bb.1659:                             ;   in Loop: Header=BB351_995 Depth=1
	v_mov_b32_e32 v27, v25
	v_lshrrev_b32_e32 v13, 3, v21
	v_mov_b32_e32 v26, v24
	s_mov_b32 s21, exec_lo
	v_cmpx_gt_u32_e32 8, v21
; %bb.1660:                             ;   in Loop: Header=BB351_995 Depth=1
	v_and_b32_e32 v13, 7, v24
	v_ffbh_u32_e32 v13, v13
	v_min_u32_e32 v13, 32, v13
	v_subrev_nc_u32_e32 v21, 28, v13
	v_sub_nc_u32_e32 v13, 29, v13
	v_lshlrev_b64 v[26:27], v21, v[24:25]
; %bb.1661:                             ;   in Loop: Header=BB351_995 Depth=1
	s_or_b32 exec_lo, exec_lo, s21
	v_lshlrev_b32_e32 v21, 20, v26
	v_lshlrev_b32_e32 v26, 24, v24
	v_lshl_add_u32 v13, v13, 23, 0x3c000000
	v_and_b32_e32 v21, 0x700000, v21
	v_and_b32_e32 v26, 0x80000000, v26
	v_or3_b32 v28, v21, v26, v13
.LBB351_1662:                           ;   in Loop: Header=BB351_995 Depth=1
	s_or_b32 exec_lo, exec_lo, s20
.LBB351_1663:                           ;   in Loop: Header=BB351_995 Depth=1
	s_or_b32 exec_lo, exec_lo, s19
.LBB351_1664:                           ;   in Loop: Header=BB351_995 Depth=1
	s_or_b32 exec_lo, exec_lo, s18
	v_cmp_ne_u16_sdwa s4, v24, v14 src0_sel:BYTE_1 src1_sel:DWORD
	s_and_saveexec_b32 s18, s4
	s_cbranch_execz .LBB351_1672
; %bb.1665:                             ;   in Loop: Header=BB351_995 Depth=1
	v_cmp_ne_u16_sdwa s4, v24, v71 src0_sel:BYTE_1 src1_sel:DWORD
	v_bfrev_b32_e32 v12, 1
	s_and_saveexec_b32 s19, s4
	s_cbranch_execz .LBB351_1671
; %bb.1666:                             ;   in Loop: Header=BB351_995 Depth=1
	v_mov_b32_e32 v12, 0xffff
	s_mov_b32 s20, exec_lo
	v_and_b32_sdwa v13, v12, v24 dst_sel:DWORD dst_unused:UNUSED_PAD src0_sel:DWORD src1_sel:BYTE_1
	v_mov_b32_e32 v12, 0x7f800001
	v_and_b32_e32 v21, 0x7f, v13
	v_cmpx_ne_u32_e32 0x7f, v21
	s_cbranch_execz .LBB351_1670
; %bb.1667:                             ;   in Loop: Header=BB351_995 Depth=1
	v_and_b32_e32 v13, 7, v13
	v_mov_b32_e32 v27, v14
	v_lshrrev_b32_e32 v12, 3, v21
	s_mov_b32 s21, exec_lo
	v_mov_b32_e32 v26, v13
	v_cmpx_gt_u32_e32 8, v21
; %bb.1668:                             ;   in Loop: Header=BB351_995 Depth=1
	v_ffbh_u32_e32 v12, v13
	v_min_u32_e32 v12, 32, v12
	v_subrev_nc_u32_e32 v21, 28, v12
	v_sub_nc_u32_e32 v12, 29, v12
	v_lshlrev_b64 v[26:27], v21, v[13:14]
	v_and_b32_e32 v26, 7, v26
; %bb.1669:                             ;   in Loop: Header=BB351_995 Depth=1
	s_or_b32 exec_lo, exec_lo, s21
	v_lshlrev_b32_e32 v13, 16, v24
	v_lshlrev_b32_e32 v21, 20, v26
	v_lshl_add_u32 v12, v12, 23, 0x3c000000
	v_and_b32_e32 v13, 0x80000000, v13
	v_or3_b32 v12, v21, v13, v12
.LBB351_1670:                           ;   in Loop: Header=BB351_995 Depth=1
	s_or_b32 exec_lo, exec_lo, s20
.LBB351_1671:                           ;   in Loop: Header=BB351_995 Depth=1
	s_or_b32 exec_lo, exec_lo, s19
.LBB351_1672:                           ;   in Loop: Header=BB351_995 Depth=1
	s_or_b32 exec_lo, exec_lo, s18
	v_and_b32_sdwa v13, v24, v81 dst_sel:DWORD dst_unused:UNUSED_PAD src0_sel:WORD_1 src1_sel:DWORD
	v_mov_b32_e32 v35, 0
	v_mov_b32_e32 v21, 0
	s_mov_b32 s18, exec_lo
	v_cmpx_ne_u16_e32 0, v13
	s_cbranch_execz .LBB351_1680
; %bb.1673:                             ;   in Loop: Header=BB351_995 Depth=1
	v_bfrev_b32_e32 v21, 1
	s_mov_b32 s19, exec_lo
	v_cmpx_ne_u16_e32 0x80, v13
	s_cbranch_execz .LBB351_1679
; %bb.1674:                             ;   in Loop: Header=BB351_995 Depth=1
	v_bfe_u32 v26, v24, 16, 7
	v_mov_b32_e32 v21, 0x7f800001
	s_mov_b32 s20, exec_lo
	v_cmpx_ne_u32_e32 0x7f, v26
	s_cbranch_execz .LBB351_1678
; %bb.1675:                             ;   in Loop: Header=BB351_995 Depth=1
	v_mov_b32_e32 v13, 7
	v_lshrrev_b32_e32 v21, 3, v26
	v_cmp_gt_u32_e64 s4, 8, v26
	v_and_b32_sdwa v13, v24, v13 dst_sel:DWORD dst_unused:UNUSED_PAD src0_sel:WORD_1 src1_sel:DWORD
	v_mov_b32_e32 v27, v14
	v_mov_b32_e32 v26, v13
	s_and_saveexec_b32 s21, s4
; %bb.1676:                             ;   in Loop: Header=BB351_995 Depth=1
	v_ffbh_u32_e32 v21, v13
	v_min_u32_e32 v21, 32, v21
	v_subrev_nc_u32_e32 v26, 28, v21
	v_sub_nc_u32_e32 v21, 29, v21
	v_lshlrev_b64 v[26:27], v26, v[13:14]
	v_and_b32_e32 v26, 7, v26
; %bb.1677:                             ;   in Loop: Header=BB351_995 Depth=1
	s_or_b32 exec_lo, exec_lo, s21
	v_mov_b32_e32 v13, 24
	v_lshlrev_b32_e32 v26, 20, v26
	v_lshl_add_u32 v21, v21, 23, 0x3c000000
	v_lshlrev_b32_sdwa v13, v13, v24 dst_sel:DWORD dst_unused:UNUSED_PAD src0_sel:DWORD src1_sel:WORD_1
	v_and_b32_e32 v13, 0x80000000, v13
	v_or3_b32 v21, v26, v13, v21
.LBB351_1678:                           ;   in Loop: Header=BB351_995 Depth=1
	s_or_b32 exec_lo, exec_lo, s20
.LBB351_1679:                           ;   in Loop: Header=BB351_995 Depth=1
	s_or_b32 exec_lo, exec_lo, s19
.LBB351_1680:                           ;   in Loop: Header=BB351_995 Depth=1
	s_or_b32 exec_lo, exec_lo, s18
	s_mov_b32 s18, exec_lo
	v_cmpx_lt_u32_e32 0xffffff, v24
	s_cbranch_execz .LBB351_1688
; %bb.1681:                             ;   in Loop: Header=BB351_995 Depth=1
	v_cmp_ne_u32_sdwa s4, v24, v71 src0_sel:BYTE_3 src1_sel:DWORD
	v_bfrev_b32_e32 v35, 1
	s_and_saveexec_b32 s19, s4
	s_cbranch_execz .LBB351_1687
; %bb.1682:                             ;   in Loop: Header=BB351_995 Depth=1
	v_bfe_u32 v26, v24, 24, 7
	v_mov_b32_e32 v35, 0x7f800001
	s_mov_b32 s20, exec_lo
	v_cmpx_ne_u32_e32 0x7f, v26
	s_cbranch_execz .LBB351_1686
; %bb.1683:                             ;   in Loop: Header=BB351_995 Depth=1
	v_mov_b32_e32 v13, 7
	v_lshrrev_b32_e32 v35, 3, v26
	v_cmp_gt_u32_e64 s4, 8, v26
	v_and_b32_sdwa v13, v24, v13 dst_sel:DWORD dst_unused:UNUSED_PAD src0_sel:BYTE_3 src1_sel:DWORD
	v_mov_b32_e32 v27, v14
	v_mov_b32_e32 v26, v13
	s_and_saveexec_b32 s21, s4
; %bb.1684:                             ;   in Loop: Header=BB351_995 Depth=1
	v_ffbh_u32_e32 v26, v13
	v_min_u32_e32 v34, 32, v26
	v_subrev_nc_u32_e32 v26, 28, v34
	v_sub_nc_u32_e32 v35, 29, v34
	v_lshlrev_b64 v[26:27], v26, v[13:14]
	v_and_b32_e32 v26, 7, v26
; %bb.1685:                             ;   in Loop: Header=BB351_995 Depth=1
	s_or_b32 exec_lo, exec_lo, s21
	v_mov_b32_e32 v13, 24
	v_lshlrev_b32_e32 v26, 20, v26
	v_lshl_add_u32 v27, v35, 23, 0x3c000000
	v_lshlrev_b32_sdwa v13, v13, v24 dst_sel:DWORD dst_unused:UNUSED_PAD src0_sel:DWORD src1_sel:BYTE_3
	v_and_b32_e32 v13, 0x80000000, v13
	v_or3_b32 v35, v26, v13, v27
.LBB351_1686:                           ;   in Loop: Header=BB351_995 Depth=1
	s_or_b32 exec_lo, exec_lo, s20
.LBB351_1687:                           ;   in Loop: Header=BB351_995 Depth=1
	s_or_b32 exec_lo, exec_lo, s19
.LBB351_1688:                           ;   in Loop: Header=BB351_995 Depth=1
	s_or_b32 exec_lo, exec_lo, s18
	v_mov_b32_e32 v13, v25
	v_cmp_ne_u16_sdwa s4, v25, v14 src0_sel:BYTE_0 src1_sel:DWORD
	v_mov_b32_e32 v67, 0
	v_mov_b32_e32 v39, 0
	s_and_saveexec_b32 s18, s4
	s_cbranch_execz .LBB351_1696
; %bb.1689:                             ;   in Loop: Header=BB351_995 Depth=1
	v_cmp_ne_u16_sdwa s4, v25, v71 src0_sel:BYTE_0 src1_sel:DWORD
	v_bfrev_b32_e32 v39, 1
	s_and_saveexec_b32 s19, s4
	s_cbranch_execz .LBB351_1695
; %bb.1690:                             ;   in Loop: Header=BB351_995 Depth=1
	v_and_b32_e32 v26, 0x7f, v25
	v_mov_b32_e32 v39, 0x7f800001
	s_mov_b32 s20, exec_lo
	v_cmpx_ne_u32_e32 0x7f, v26
	s_cbranch_execz .LBB351_1694
; %bb.1691:                             ;   in Loop: Header=BB351_995 Depth=1
	v_lshrrev_b32_e32 v36, 3, v26
	v_cmp_gt_u32_e64 s4, 8, v26
	v_mov_b32_e32 v27, v14
	v_mov_b32_e32 v26, v13
	s_and_saveexec_b32 s21, s4
; %bb.1692:                             ;   in Loop: Header=BB351_995 Depth=1
	v_and_b32_e32 v26, 7, v25
	v_ffbh_u32_e32 v26, v26
	v_min_u32_e32 v34, 32, v26
	v_subrev_nc_u32_e32 v26, 28, v34
	v_sub_nc_u32_e32 v36, 29, v34
	v_lshlrev_b64 v[26:27], v26, v[13:14]
; %bb.1693:                             ;   in Loop: Header=BB351_995 Depth=1
	s_or_b32 exec_lo, exec_lo, s21
	v_lshlrev_b32_e32 v26, 20, v26
	v_lshlrev_b32_e32 v27, 24, v13
	v_lshl_add_u32 v34, v36, 23, 0x3c000000
	v_and_b32_e32 v26, 0x700000, v26
	v_and_b32_e32 v27, 0x80000000, v27
	v_or3_b32 v39, v26, v27, v34
.LBB351_1694:                           ;   in Loop: Header=BB351_995 Depth=1
	s_or_b32 exec_lo, exec_lo, s20
.LBB351_1695:                           ;   in Loop: Header=BB351_995 Depth=1
	s_or_b32 exec_lo, exec_lo, s19
.LBB351_1696:                           ;   in Loop: Header=BB351_995 Depth=1
	s_or_b32 exec_lo, exec_lo, s18
	v_cmp_ne_u16_sdwa s4, v13, v14 src0_sel:BYTE_1 src1_sel:DWORD
	s_and_saveexec_b32 s18, s4
	s_cbranch_execz .LBB351_1704
; %bb.1697:                             ;   in Loop: Header=BB351_995 Depth=1
	v_cmp_ne_u16_sdwa s4, v13, v71 src0_sel:BYTE_1 src1_sel:DWORD
	v_bfrev_b32_e32 v67, 1
	s_and_saveexec_b32 s19, s4
	s_cbranch_execz .LBB351_1703
; %bb.1698:                             ;   in Loop: Header=BB351_995 Depth=1
	v_mov_b32_e32 v26, 0xffff
	v_mov_b32_e32 v67, 0x7f800001
	s_mov_b32 s20, exec_lo
	v_and_b32_sdwa v26, v26, v13 dst_sel:DWORD dst_unused:UNUSED_PAD src0_sel:DWORD src1_sel:BYTE_1
	v_and_b32_e32 v38, 0x7f, v26
	v_cmpx_ne_u32_e32 0x7f, v38
	s_cbranch_execz .LBB351_1702
; %bb.1699:                             ;   in Loop: Header=BB351_995 Depth=1
	v_and_b32_e32 v26, 7, v26
	v_mov_b32_e32 v27, v14
	v_lshrrev_b32_e32 v36, 3, v38
	s_mov_b32 s21, exec_lo
	v_cmpx_gt_u32_e32 8, v38
; %bb.1700:                             ;   in Loop: Header=BB351_995 Depth=1
	v_ffbh_u32_e32 v34, v26
	v_min_u32_e32 v34, 32, v34
	v_subrev_nc_u32_e32 v36, 28, v34
	v_lshlrev_b64 v[26:27], v36, v[26:27]
	v_sub_nc_u32_e32 v36, 29, v34
	v_and_b32_e32 v26, 7, v26
; %bb.1701:                             ;   in Loop: Header=BB351_995 Depth=1
	s_or_b32 exec_lo, exec_lo, s21
	v_lshlrev_b32_e32 v13, 16, v13
	v_lshlrev_b32_e32 v26, 20, v26
	v_lshl_add_u32 v27, v36, 23, 0x3c000000
	v_and_b32_e32 v13, 0x80000000, v13
	v_or3_b32 v67, v26, v13, v27
.LBB351_1702:                           ;   in Loop: Header=BB351_995 Depth=1
	s_or_b32 exec_lo, exec_lo, s20
.LBB351_1703:                           ;   in Loop: Header=BB351_995 Depth=1
	s_or_b32 exec_lo, exec_lo, s19
.LBB351_1704:                           ;   in Loop: Header=BB351_995 Depth=1
	s_or_b32 exec_lo, exec_lo, s18
	v_and_b32_sdwa v13, v25, v81 dst_sel:DWORD dst_unused:UNUSED_PAD src0_sel:WORD_1 src1_sel:DWORD
	v_mov_b32_e32 v36, 0
	v_mov_b32_e32 v38, 0
	s_mov_b32 s18, exec_lo
	v_cmpx_ne_u16_e32 0, v13
	s_cbranch_execz .LBB351_1712
; %bb.1705:                             ;   in Loop: Header=BB351_995 Depth=1
	v_bfrev_b32_e32 v38, 1
	s_mov_b32 s19, exec_lo
	v_cmpx_ne_u16_e32 0x80, v13
	s_cbranch_execz .LBB351_1711
; %bb.1706:                             ;   in Loop: Header=BB351_995 Depth=1
	v_bfe_u32 v26, v25, 16, 7
	v_mov_b32_e32 v38, 0x7f800001
	s_mov_b32 s20, exec_lo
	v_cmpx_ne_u32_e32 0x7f, v26
	s_cbranch_execz .LBB351_1710
; %bb.1707:                             ;   in Loop: Header=BB351_995 Depth=1
	v_mov_b32_e32 v13, 7
	v_lshrrev_b32_e32 v38, 3, v26
	v_cmp_gt_u32_e64 s4, 8, v26
	v_and_b32_sdwa v13, v25, v13 dst_sel:DWORD dst_unused:UNUSED_PAD src0_sel:WORD_1 src1_sel:DWORD
	v_mov_b32_e32 v27, v14
	v_mov_b32_e32 v26, v13
	s_and_saveexec_b32 s21, s4
; %bb.1708:                             ;   in Loop: Header=BB351_995 Depth=1
	v_ffbh_u32_e32 v26, v13
	v_min_u32_e32 v34, 32, v26
	v_subrev_nc_u32_e32 v26, 28, v34
	v_sub_nc_u32_e32 v38, 29, v34
	v_lshlrev_b64 v[26:27], v26, v[13:14]
	v_and_b32_e32 v26, 7, v26
; %bb.1709:                             ;   in Loop: Header=BB351_995 Depth=1
	s_or_b32 exec_lo, exec_lo, s21
	v_mov_b32_e32 v13, 24
	v_lshlrev_b32_e32 v26, 20, v26
	v_lshl_add_u32 v27, v38, 23, 0x3c000000
	v_lshlrev_b32_sdwa v13, v13, v25 dst_sel:DWORD dst_unused:UNUSED_PAD src0_sel:DWORD src1_sel:WORD_1
	v_and_b32_e32 v13, 0x80000000, v13
	v_or3_b32 v38, v26, v13, v27
.LBB351_1710:                           ;   in Loop: Header=BB351_995 Depth=1
	s_or_b32 exec_lo, exec_lo, s20
.LBB351_1711:                           ;   in Loop: Header=BB351_995 Depth=1
	s_or_b32 exec_lo, exec_lo, s19
.LBB351_1712:                           ;   in Loop: Header=BB351_995 Depth=1
	s_or_b32 exec_lo, exec_lo, s18
	s_mov_b32 s18, exec_lo
	v_cmpx_lt_u64_e64 s[6:7], v[24:25]
	s_cbranch_execz .LBB351_1720
; %bb.1713:                             ;   in Loop: Header=BB351_995 Depth=1
	v_cmp_ne_u32_sdwa s4, v25, v71 src0_sel:BYTE_3 src1_sel:DWORD
	v_bfrev_b32_e32 v36, 1
	s_and_saveexec_b32 s19, s4
	s_cbranch_execz .LBB351_1719
; %bb.1714:                             ;   in Loop: Header=BB351_995 Depth=1
	v_bfe_u32 v26, v25, 24, 7
	v_mov_b32_e32 v36, 0x7f800001
	s_mov_b32 s20, exec_lo
	v_cmpx_ne_u32_e32 0x7f, v26
	s_cbranch_execz .LBB351_1718
; %bb.1715:                             ;   in Loop: Header=BB351_995 Depth=1
	v_mov_b32_e32 v13, 7
	v_lshrrev_b32_e32 v24, 3, v26
	v_cmp_gt_u32_e64 s4, 8, v26
	v_and_b32_sdwa v13, v25, v13 dst_sel:DWORD dst_unused:UNUSED_PAD src0_sel:BYTE_3 src1_sel:DWORD
	v_mov_b32_e32 v27, v14
	v_mov_b32_e32 v26, v13
	s_and_saveexec_b32 s21, s4
; %bb.1716:                             ;   in Loop: Header=BB351_995 Depth=1
	v_ffbh_u32_e32 v24, v13
	v_min_u32_e32 v24, 32, v24
	v_subrev_nc_u32_e32 v26, 28, v24
	v_sub_nc_u32_e32 v24, 29, v24
	v_lshlrev_b64 v[26:27], v26, v[13:14]
	v_and_b32_e32 v26, 7, v26
; %bb.1717:                             ;   in Loop: Header=BB351_995 Depth=1
	s_or_b32 exec_lo, exec_lo, s21
	v_mov_b32_e32 v13, 24
	v_lshl_add_u32 v24, v24, 23, 0x3c000000
	v_lshlrev_b32_sdwa v13, v13, v25 dst_sel:DWORD dst_unused:UNUSED_PAD src0_sel:DWORD src1_sel:BYTE_3
	v_lshlrev_b32_e32 v25, 20, v26
	v_and_b32_e32 v13, 0x80000000, v13
	v_or3_b32 v36, v25, v13, v24
.LBB351_1718:                           ;   in Loop: Header=BB351_995 Depth=1
	s_or_b32 exec_lo, exec_lo, s20
.LBB351_1719:                           ;   in Loop: Header=BB351_995 Depth=1
	s_or_b32 exec_lo, exec_lo, s19
.LBB351_1720:                           ;   in Loop: Header=BB351_995 Depth=1
	s_or_b32 exec_lo, exec_lo, s18
	v_mul_f32_e32 v13, v60, v67
	v_mul_f32_e32 v12, v60, v12
	v_bfe_u32 v24, v13, 16, 1
	v_or_b32_e32 v25, 0x400000, v13
	v_cmp_u_f32_e64 s4, v13, v13
	v_add3_u32 v24, v24, v13, 0x7fff
	v_cndmask_b32_e64 v13, v24, v25, s4
	v_lshrrev_b32_e32 v67, 16, v13
	v_mul_f32_e32 v13, v60, v39
	v_bfe_u32 v24, v13, 16, 1
	v_or_b32_e32 v25, 0x400000, v13
	v_cmp_u_f32_e64 s4, v13, v13
	v_add3_u32 v24, v24, v13, 0x7fff
	v_cndmask_b32_e64 v13, v24, v25, s4
	v_lshrrev_b32_e32 v68, 16, v13
	;; [unrolled: 7-line block ×3, first 2 shown]
	v_mul_f32_e32 v13, v60, v21
	v_bfe_u32 v21, v13, 16, 1
	v_or_b32_e32 v24, 0x400000, v13
	v_cmp_u_f32_e64 s4, v13, v13
	v_add3_u32 v21, v21, v13, 0x7fff
	v_cndmask_b32_e64 v13, v21, v24, s4
	v_or_b32_e32 v24, 0x400000, v12
	v_cmp_u_f32_e64 s4, v12, v12
	v_lshrrev_b32_e32 v21, 16, v13
	v_bfe_u32 v13, v12, 16, 1
	v_add3_u32 v13, v13, v12, 0x7fff
	v_cndmask_b32_e64 v12, v13, v24, s4
	v_mul_f32_e32 v13, v60, v28
	v_lshrrev_b32_e32 v12, 16, v12
	v_bfe_u32 v24, v13, 16, 1
	v_or_b32_e32 v25, 0x400000, v13
	v_cmp_u_f32_e64 s4, v13, v13
	v_add3_u32 v24, v24, v13, 0x7fff
	v_cndmask_b32_e64 v13, v24, v25, s4
	v_lshrrev_b32_e32 v39, 16, v13
	v_mul_f32_e32 v13, v60, v38
	v_bfe_u32 v24, v13, 16, 1
	v_or_b32_e32 v25, 0x400000, v13
	v_cmp_u_f32_e64 s4, v13, v13
	v_add3_u32 v24, v24, v13, 0x7fff
	v_cndmask_b32_e64 v13, v24, v25, s4
	v_lshrrev_b32_e32 v28, 16, v13
	v_mul_f32_e32 v13, v60, v36
	v_bfe_u32 v24, v13, 16, 1
	v_or_b32_e32 v25, 0x400000, v13
	v_cmp_u_f32_e64 s4, v13, v13
	v_add3_u32 v24, v24, v13, 0x7fff
	v_cndmask_b32_e64 v13, v24, v25, s4
	v_lshrrev_b32_e32 v35, 16, v13
	s_and_saveexec_b32 s18, vcc_lo
	s_cbranch_execz .LBB351_1722
; %bb.1721:                             ;   in Loop: Header=BB351_995 Depth=1
	v_cmp_lt_i32_e64 s4, v73, v32
	v_cndmask_b32_e64 v39, 0, v39, s4
	v_cmp_lt_i32_e64 s4, v88, v32
	v_cndmask_b32_e64 v12, 0, v12, s4
	;; [unrolled: 2-line block ×8, first 2 shown]
.LBB351_1722:                           ;   in Loop: Header=BB351_995 Depth=1
	s_or_b32 exec_lo, exec_lo, s18
	flat_load_dwordx2 v[24:25], v[19:20] offset:768
	v_mov_b32_e32 v38, 0
	v_mov_b32_e32 v36, 0
	s_waitcnt vmcnt(0) lgkmcnt(0)
	v_cmp_ne_u16_sdwa s4, v24, v14 src0_sel:BYTE_0 src1_sel:DWORD
	s_and_saveexec_b32 s18, s4
	s_cbranch_execz .LBB351_1730
; %bb.1723:                             ;   in Loop: Header=BB351_995 Depth=1
	v_cmp_ne_u16_sdwa s4, v24, v71 src0_sel:BYTE_0 src1_sel:DWORD
	v_bfrev_b32_e32 v36, 1
	s_and_saveexec_b32 s19, s4
	s_cbranch_execz .LBB351_1729
; %bb.1724:                             ;   in Loop: Header=BB351_995 Depth=1
	v_and_b32_e32 v26, 0x7f, v24
	v_mov_b32_e32 v36, 0x7f800001
	s_mov_b32 s20, exec_lo
	v_cmpx_ne_u32_e32 0x7f, v26
	s_cbranch_execz .LBB351_1728
; %bb.1725:                             ;   in Loop: Header=BB351_995 Depth=1
	v_lshrrev_b32_e32 v13, 3, v26
	v_cmp_gt_u32_e64 s4, 8, v26
	v_mov_b32_e32 v27, v25
	v_mov_b32_e32 v26, v24
	s_and_saveexec_b32 s21, s4
; %bb.1726:                             ;   in Loop: Header=BB351_995 Depth=1
	v_and_b32_e32 v13, 7, v24
	v_ffbh_u32_e32 v13, v13
	v_min_u32_e32 v13, 32, v13
	v_subrev_nc_u32_e32 v26, 28, v13
	v_sub_nc_u32_e32 v13, 29, v13
	v_lshlrev_b64 v[26:27], v26, v[24:25]
; %bb.1727:                             ;   in Loop: Header=BB351_995 Depth=1
	s_or_b32 exec_lo, exec_lo, s21
	v_lshlrev_b32_e32 v26, 20, v26
	v_lshlrev_b32_e32 v27, 24, v24
	v_lshl_add_u32 v13, v13, 23, 0x3c000000
	v_and_b32_e32 v26, 0x700000, v26
	v_and_b32_e32 v27, 0x80000000, v27
	v_or3_b32 v36, v26, v27, v13
.LBB351_1728:                           ;   in Loop: Header=BB351_995 Depth=1
	s_or_b32 exec_lo, exec_lo, s20
.LBB351_1729:                           ;   in Loop: Header=BB351_995 Depth=1
	s_or_b32 exec_lo, exec_lo, s19
.LBB351_1730:                           ;   in Loop: Header=BB351_995 Depth=1
	s_or_b32 exec_lo, exec_lo, s18
	v_cmp_ne_u16_sdwa s4, v24, v14 src0_sel:BYTE_1 src1_sel:DWORD
	s_and_saveexec_b32 s18, s4
	s_cbranch_execz .LBB351_1738
; %bb.1731:                             ;   in Loop: Header=BB351_995 Depth=1
	v_cmp_ne_u16_sdwa s4, v24, v71 src0_sel:BYTE_1 src1_sel:DWORD
	v_bfrev_b32_e32 v38, 1
	s_and_saveexec_b32 s19, s4
	s_cbranch_execz .LBB351_1737
; %bb.1732:                             ;   in Loop: Header=BB351_995 Depth=1
	v_mov_b32_e32 v13, 0xffff
	v_mov_b32_e32 v38, 0x7f800001
	s_mov_b32 s20, exec_lo
	v_and_b32_sdwa v13, v13, v24 dst_sel:DWORD dst_unused:UNUSED_PAD src0_sel:DWORD src1_sel:BYTE_1
	v_and_b32_e32 v26, 0x7f, v13
	v_cmpx_ne_u32_e32 0x7f, v26
	s_cbranch_execz .LBB351_1736
; %bb.1733:                             ;   in Loop: Header=BB351_995 Depth=1
	v_and_b32_e32 v13, 7, v13
	v_lshrrev_b32_e32 v38, 3, v26
	v_cmp_gt_u32_e64 s4, 8, v26
	v_mov_b32_e32 v27, v14
	v_mov_b32_e32 v26, v13
	s_and_saveexec_b32 s21, s4
; %bb.1734:                             ;   in Loop: Header=BB351_995 Depth=1
	v_ffbh_u32_e32 v26, v13
	v_min_u32_e32 v34, 32, v26
	v_subrev_nc_u32_e32 v26, 28, v34
	v_sub_nc_u32_e32 v38, 29, v34
	v_lshlrev_b64 v[26:27], v26, v[13:14]
	v_and_b32_e32 v26, 7, v26
; %bb.1735:                             ;   in Loop: Header=BB351_995 Depth=1
	s_or_b32 exec_lo, exec_lo, s21
	v_lshlrev_b32_e32 v13, 16, v24
	v_lshlrev_b32_e32 v26, 20, v26
	v_lshl_add_u32 v27, v38, 23, 0x3c000000
	v_and_b32_e32 v13, 0x80000000, v13
	v_or3_b32 v38, v26, v13, v27
.LBB351_1736:                           ;   in Loop: Header=BB351_995 Depth=1
	s_or_b32 exec_lo, exec_lo, s20
.LBB351_1737:                           ;   in Loop: Header=BB351_995 Depth=1
	s_or_b32 exec_lo, exec_lo, s19
.LBB351_1738:                           ;   in Loop: Header=BB351_995 Depth=1
	s_or_b32 exec_lo, exec_lo, s18
	v_and_b32_sdwa v13, v24, v81 dst_sel:DWORD dst_unused:UNUSED_PAD src0_sel:WORD_1 src1_sel:DWORD
	v_mov_b32_e32 v82, 0
	v_mov_b32_e32 v80, 0
	s_mov_b32 s18, exec_lo
	v_cmpx_ne_u16_e32 0, v13
	s_cbranch_execz .LBB351_1746
; %bb.1739:                             ;   in Loop: Header=BB351_995 Depth=1
	v_bfrev_b32_e32 v80, 1
	s_mov_b32 s19, exec_lo
	v_cmpx_ne_u16_e32 0x80, v13
	s_cbranch_execz .LBB351_1745
; %bb.1740:                             ;   in Loop: Header=BB351_995 Depth=1
	v_bfe_u32 v26, v24, 16, 7
	v_mov_b32_e32 v80, 0x7f800001
	s_mov_b32 s20, exec_lo
	v_cmpx_ne_u32_e32 0x7f, v26
	s_cbranch_execz .LBB351_1744
; %bb.1741:                             ;   in Loop: Header=BB351_995 Depth=1
	v_mov_b32_e32 v13, 7
	v_lshrrev_b32_e32 v80, 3, v26
	v_cmp_gt_u32_e64 s4, 8, v26
	v_and_b32_sdwa v13, v24, v13 dst_sel:DWORD dst_unused:UNUSED_PAD src0_sel:WORD_1 src1_sel:DWORD
	v_mov_b32_e32 v27, v14
	v_mov_b32_e32 v26, v13
	s_and_saveexec_b32 s21, s4
; %bb.1742:                             ;   in Loop: Header=BB351_995 Depth=1
	v_ffbh_u32_e32 v26, v13
	v_min_u32_e32 v34, 32, v26
	v_subrev_nc_u32_e32 v26, 28, v34
	v_sub_nc_u32_e32 v80, 29, v34
	v_lshlrev_b64 v[26:27], v26, v[13:14]
	v_and_b32_e32 v26, 7, v26
; %bb.1743:                             ;   in Loop: Header=BB351_995 Depth=1
	s_or_b32 exec_lo, exec_lo, s21
	v_mov_b32_e32 v13, 24
	v_lshlrev_b32_e32 v26, 20, v26
	v_lshl_add_u32 v27, v80, 23, 0x3c000000
	v_lshlrev_b32_sdwa v13, v13, v24 dst_sel:DWORD dst_unused:UNUSED_PAD src0_sel:DWORD src1_sel:WORD_1
	v_and_b32_e32 v13, 0x80000000, v13
	v_or3_b32 v80, v26, v13, v27
.LBB351_1744:                           ;   in Loop: Header=BB351_995 Depth=1
	s_or_b32 exec_lo, exec_lo, s20
.LBB351_1745:                           ;   in Loop: Header=BB351_995 Depth=1
	s_or_b32 exec_lo, exec_lo, s19
.LBB351_1746:                           ;   in Loop: Header=BB351_995 Depth=1
	s_or_b32 exec_lo, exec_lo, s18
	s_mov_b32 s18, exec_lo
	v_cmpx_lt_u32_e32 0xffffff, v24
	s_cbranch_execz .LBB351_1754
; %bb.1747:                             ;   in Loop: Header=BB351_995 Depth=1
	v_cmp_ne_u32_sdwa s4, v24, v71 src0_sel:BYTE_3 src1_sel:DWORD
	v_bfrev_b32_e32 v82, 1
	s_and_saveexec_b32 s19, s4
	s_cbranch_execz .LBB351_1753
; %bb.1748:                             ;   in Loop: Header=BB351_995 Depth=1
	v_bfe_u32 v26, v24, 24, 7
	v_mov_b32_e32 v82, 0x7f800001
	s_mov_b32 s20, exec_lo
	v_cmpx_ne_u32_e32 0x7f, v26
	s_cbranch_execz .LBB351_1752
; %bb.1749:                             ;   in Loop: Header=BB351_995 Depth=1
	v_mov_b32_e32 v13, 7
	v_lshrrev_b32_e32 v82, 3, v26
	v_cmp_gt_u32_e64 s4, 8, v26
	v_and_b32_sdwa v13, v24, v13 dst_sel:DWORD dst_unused:UNUSED_PAD src0_sel:BYTE_3 src1_sel:DWORD
	v_mov_b32_e32 v27, v14
	v_mov_b32_e32 v26, v13
	s_and_saveexec_b32 s21, s4
; %bb.1750:                             ;   in Loop: Header=BB351_995 Depth=1
	v_ffbh_u32_e32 v26, v13
	v_min_u32_e32 v34, 32, v26
	v_subrev_nc_u32_e32 v26, 28, v34
	v_sub_nc_u32_e32 v82, 29, v34
	v_lshlrev_b64 v[26:27], v26, v[13:14]
	v_and_b32_e32 v26, 7, v26
; %bb.1751:                             ;   in Loop: Header=BB351_995 Depth=1
	s_or_b32 exec_lo, exec_lo, s21
	v_mov_b32_e32 v13, 24
	v_lshlrev_b32_e32 v26, 20, v26
	v_lshl_add_u32 v27, v82, 23, 0x3c000000
	v_lshlrev_b32_sdwa v13, v13, v24 dst_sel:DWORD dst_unused:UNUSED_PAD src0_sel:DWORD src1_sel:BYTE_3
	v_and_b32_e32 v13, 0x80000000, v13
	v_or3_b32 v82, v26, v13, v27
.LBB351_1752:                           ;   in Loop: Header=BB351_995 Depth=1
	s_or_b32 exec_lo, exec_lo, s20
.LBB351_1753:                           ;   in Loop: Header=BB351_995 Depth=1
	s_or_b32 exec_lo, exec_lo, s19
.LBB351_1754:                           ;   in Loop: Header=BB351_995 Depth=1
	s_or_b32 exec_lo, exec_lo, s18
	v_mov_b32_e32 v13, v25
	v_cmp_ne_u16_sdwa s4, v25, v14 src0_sel:BYTE_0 src1_sel:DWORD
	v_mov_b32_e32 v97, 0
	v_mov_b32_e32 v98, 0
	s_and_saveexec_b32 s18, s4
	s_cbranch_execz .LBB351_1762
; %bb.1755:                             ;   in Loop: Header=BB351_995 Depth=1
	v_cmp_ne_u16_sdwa s4, v25, v71 src0_sel:BYTE_0 src1_sel:DWORD
	v_bfrev_b32_e32 v98, 1
	s_and_saveexec_b32 s19, s4
	s_cbranch_execz .LBB351_1761
; %bb.1756:                             ;   in Loop: Header=BB351_995 Depth=1
	v_and_b32_e32 v26, 0x7f, v25
	v_mov_b32_e32 v98, 0x7f800001
	s_mov_b32 s20, exec_lo
	v_cmpx_ne_u32_e32 0x7f, v26
	s_cbranch_execz .LBB351_1760
; %bb.1757:                             ;   in Loop: Header=BB351_995 Depth=1
	v_lshrrev_b32_e32 v83, 3, v26
	v_cmp_gt_u32_e64 s4, 8, v26
	v_mov_b32_e32 v27, v14
	v_mov_b32_e32 v26, v13
	s_and_saveexec_b32 s21, s4
; %bb.1758:                             ;   in Loop: Header=BB351_995 Depth=1
	v_and_b32_e32 v26, 7, v25
	v_ffbh_u32_e32 v26, v26
	v_min_u32_e32 v34, 32, v26
	v_subrev_nc_u32_e32 v26, 28, v34
	v_sub_nc_u32_e32 v83, 29, v34
	v_lshlrev_b64 v[26:27], v26, v[13:14]
; %bb.1759:                             ;   in Loop: Header=BB351_995 Depth=1
	s_or_b32 exec_lo, exec_lo, s21
	v_lshlrev_b32_e32 v26, 20, v26
	v_lshlrev_b32_e32 v27, 24, v13
	v_lshl_add_u32 v34, v83, 23, 0x3c000000
	v_and_b32_e32 v26, 0x700000, v26
	v_and_b32_e32 v27, 0x80000000, v27
	v_or3_b32 v98, v26, v27, v34
.LBB351_1760:                           ;   in Loop: Header=BB351_995 Depth=1
	s_or_b32 exec_lo, exec_lo, s20
.LBB351_1761:                           ;   in Loop: Header=BB351_995 Depth=1
	s_or_b32 exec_lo, exec_lo, s19
.LBB351_1762:                           ;   in Loop: Header=BB351_995 Depth=1
	s_or_b32 exec_lo, exec_lo, s18
	v_cmp_ne_u16_sdwa s4, v13, v14 src0_sel:BYTE_1 src1_sel:DWORD
	s_and_saveexec_b32 s18, s4
	s_cbranch_execz .LBB351_1770
; %bb.1763:                             ;   in Loop: Header=BB351_995 Depth=1
	v_cmp_ne_u16_sdwa s4, v13, v71 src0_sel:BYTE_1 src1_sel:DWORD
	v_bfrev_b32_e32 v97, 1
	s_and_saveexec_b32 s19, s4
	s_cbranch_execz .LBB351_1769
; %bb.1764:                             ;   in Loop: Header=BB351_995 Depth=1
	v_mov_b32_e32 v26, 0xffff
	v_mov_b32_e32 v97, 0x7f800001
	s_mov_b32 s20, exec_lo
	v_and_b32_sdwa v26, v26, v13 dst_sel:DWORD dst_unused:UNUSED_PAD src0_sel:DWORD src1_sel:BYTE_1
	v_and_b32_e32 v96, 0x7f, v26
	v_cmpx_ne_u32_e32 0x7f, v96
	s_cbranch_execz .LBB351_1768
; %bb.1765:                             ;   in Loop: Header=BB351_995 Depth=1
	v_and_b32_e32 v26, 7, v26
	v_mov_b32_e32 v27, v14
	v_lshrrev_b32_e32 v83, 3, v96
	s_mov_b32 s21, exec_lo
	v_cmpx_gt_u32_e32 8, v96
; %bb.1766:                             ;   in Loop: Header=BB351_995 Depth=1
	v_ffbh_u32_e32 v34, v26
	v_min_u32_e32 v34, 32, v34
	v_subrev_nc_u32_e32 v37, 28, v34
	v_sub_nc_u32_e32 v83, 29, v34
	v_lshlrev_b64 v[26:27], v37, v[26:27]
	v_and_b32_e32 v26, 7, v26
; %bb.1767:                             ;   in Loop: Header=BB351_995 Depth=1
	s_or_b32 exec_lo, exec_lo, s21
	v_lshlrev_b32_e32 v13, 16, v13
	v_lshlrev_b32_e32 v26, 20, v26
	v_lshl_add_u32 v27, v83, 23, 0x3c000000
	v_and_b32_e32 v13, 0x80000000, v13
	v_or3_b32 v97, v26, v13, v27
.LBB351_1768:                           ;   in Loop: Header=BB351_995 Depth=1
	s_or_b32 exec_lo, exec_lo, s20
.LBB351_1769:                           ;   in Loop: Header=BB351_995 Depth=1
	s_or_b32 exec_lo, exec_lo, s19
.LBB351_1770:                           ;   in Loop: Header=BB351_995 Depth=1
	s_or_b32 exec_lo, exec_lo, s18
	v_and_b32_sdwa v13, v25, v81 dst_sel:DWORD dst_unused:UNUSED_PAD src0_sel:WORD_1 src1_sel:DWORD
	v_mov_b32_e32 v83, 0
	v_mov_b32_e32 v96, 0
	s_mov_b32 s18, exec_lo
	v_cmpx_ne_u16_e32 0, v13
	s_cbranch_execz .LBB351_1778
; %bb.1771:                             ;   in Loop: Header=BB351_995 Depth=1
	v_bfrev_b32_e32 v96, 1
	s_mov_b32 s19, exec_lo
	v_cmpx_ne_u16_e32 0x80, v13
	s_cbranch_execz .LBB351_1777
; %bb.1772:                             ;   in Loop: Header=BB351_995 Depth=1
	v_bfe_u32 v26, v25, 16, 7
	v_mov_b32_e32 v96, 0x7f800001
	s_mov_b32 s20, exec_lo
	v_cmpx_ne_u32_e32 0x7f, v26
	s_cbranch_execz .LBB351_1776
; %bb.1773:                             ;   in Loop: Header=BB351_995 Depth=1
	v_mov_b32_e32 v13, 7
	v_lshrrev_b32_e32 v96, 3, v26
	v_cmp_gt_u32_e64 s4, 8, v26
	v_and_b32_sdwa v13, v25, v13 dst_sel:DWORD dst_unused:UNUSED_PAD src0_sel:WORD_1 src1_sel:DWORD
	v_mov_b32_e32 v27, v14
	v_mov_b32_e32 v26, v13
	s_and_saveexec_b32 s21, s4
; %bb.1774:                             ;   in Loop: Header=BB351_995 Depth=1
	v_ffbh_u32_e32 v26, v13
	v_min_u32_e32 v34, 32, v26
	v_subrev_nc_u32_e32 v26, 28, v34
	v_sub_nc_u32_e32 v96, 29, v34
	v_lshlrev_b64 v[26:27], v26, v[13:14]
	v_and_b32_e32 v26, 7, v26
; %bb.1775:                             ;   in Loop: Header=BB351_995 Depth=1
	s_or_b32 exec_lo, exec_lo, s21
	v_mov_b32_e32 v13, 24
	v_lshlrev_b32_e32 v26, 20, v26
	v_lshl_add_u32 v27, v96, 23, 0x3c000000
	v_lshlrev_b32_sdwa v13, v13, v25 dst_sel:DWORD dst_unused:UNUSED_PAD src0_sel:DWORD src1_sel:WORD_1
	v_and_b32_e32 v13, 0x80000000, v13
	v_or3_b32 v96, v26, v13, v27
.LBB351_1776:                           ;   in Loop: Header=BB351_995 Depth=1
	s_or_b32 exec_lo, exec_lo, s20
.LBB351_1777:                           ;   in Loop: Header=BB351_995 Depth=1
	s_or_b32 exec_lo, exec_lo, s19
.LBB351_1778:                           ;   in Loop: Header=BB351_995 Depth=1
	s_or_b32 exec_lo, exec_lo, s18
	s_mov_b32 s18, exec_lo
	v_cmpx_lt_u64_e64 s[6:7], v[24:25]
	s_cbranch_execz .LBB351_1786
; %bb.1779:                             ;   in Loop: Header=BB351_995 Depth=1
	v_cmp_ne_u32_sdwa s4, v25, v71 src0_sel:BYTE_3 src1_sel:DWORD
	v_bfrev_b32_e32 v83, 1
	s_and_saveexec_b32 s19, s4
	s_cbranch_execz .LBB351_1785
; %bb.1780:                             ;   in Loop: Header=BB351_995 Depth=1
	v_bfe_u32 v26, v25, 24, 7
	v_mov_b32_e32 v83, 0x7f800001
	s_mov_b32 s20, exec_lo
	v_cmpx_ne_u32_e32 0x7f, v26
	s_cbranch_execz .LBB351_1784
; %bb.1781:                             ;   in Loop: Header=BB351_995 Depth=1
	v_mov_b32_e32 v13, 7
	v_lshrrev_b32_e32 v24, 3, v26
	v_cmp_gt_u32_e64 s4, 8, v26
	v_and_b32_sdwa v13, v25, v13 dst_sel:DWORD dst_unused:UNUSED_PAD src0_sel:BYTE_3 src1_sel:DWORD
	v_mov_b32_e32 v27, v14
	v_mov_b32_e32 v26, v13
	s_and_saveexec_b32 s21, s4
; %bb.1782:                             ;   in Loop: Header=BB351_995 Depth=1
	v_ffbh_u32_e32 v24, v13
	v_min_u32_e32 v24, 32, v24
	v_subrev_nc_u32_e32 v26, 28, v24
	v_sub_nc_u32_e32 v24, 29, v24
	v_lshlrev_b64 v[26:27], v26, v[13:14]
	v_and_b32_e32 v26, 7, v26
; %bb.1783:                             ;   in Loop: Header=BB351_995 Depth=1
	s_or_b32 exec_lo, exec_lo, s21
	v_mov_b32_e32 v13, 24
	v_lshl_add_u32 v24, v24, 23, 0x3c000000
	v_lshlrev_b32_sdwa v13, v13, v25 dst_sel:DWORD dst_unused:UNUSED_PAD src0_sel:DWORD src1_sel:BYTE_3
	v_lshlrev_b32_e32 v25, 20, v26
	v_and_b32_e32 v13, 0x80000000, v13
	v_or3_b32 v83, v25, v13, v24
.LBB351_1784:                           ;   in Loop: Header=BB351_995 Depth=1
	s_or_b32 exec_lo, exec_lo, s20
.LBB351_1785:                           ;   in Loop: Header=BB351_995 Depth=1
	s_or_b32 exec_lo, exec_lo, s19
.LBB351_1786:                           ;   in Loop: Header=BB351_995 Depth=1
	s_or_b32 exec_lo, exec_lo, s18
	v_mul_f32_e32 v13, v60, v97
	v_bfe_u32 v24, v13, 16, 1
	v_or_b32_e32 v25, 0x400000, v13
	v_cmp_u_f32_e64 s4, v13, v13
	v_add3_u32 v24, v24, v13, 0x7fff
	v_cndmask_b32_e64 v13, v24, v25, s4
	v_lshrrev_b32_e32 v97, 16, v13
	v_mul_f32_e32 v13, v60, v98
	v_bfe_u32 v24, v13, 16, 1
	v_or_b32_e32 v25, 0x400000, v13
	v_cmp_u_f32_e64 s4, v13, v13
	v_add3_u32 v24, v24, v13, 0x7fff
	v_cndmask_b32_e64 v13, v24, v25, s4
	v_lshrrev_b32_e32 v98, 16, v13
	;; [unrolled: 7-line block ×8, first 2 shown]
	s_and_saveexec_b32 s18, vcc_lo
	s_cbranch_execz .LBB351_1788
; %bb.1787:                             ;   in Loop: Header=BB351_995 Depth=1
	v_cmp_lt_i32_e64 s4, v73, v32
	v_cndmask_b32_e64 v103, 0, v103, s4
	v_cmp_lt_i32_e64 s4, v88, v32
	v_cndmask_b32_e64 v101, 0, v101, s4
	;; [unrolled: 2-line block ×8, first 2 shown]
.LBB351_1788:                           ;   in Loop: Header=BB351_995 Depth=1
	s_or_b32 exec_lo, exec_lo, s18
	flat_load_dwordx2 v[24:25], v[19:20] offset:1024
	v_mov_b32_e32 v80, 0
	v_mov_b32_e32 v36, 0
	s_waitcnt vmcnt(0) lgkmcnt(0)
	v_cmp_ne_u16_sdwa s4, v24, v14 src0_sel:BYTE_0 src1_sel:DWORD
	s_and_saveexec_b32 s18, s4
	s_cbranch_execz .LBB351_1796
; %bb.1789:                             ;   in Loop: Header=BB351_995 Depth=1
	v_cmp_ne_u16_sdwa s4, v24, v71 src0_sel:BYTE_0 src1_sel:DWORD
	v_bfrev_b32_e32 v36, 1
	s_and_saveexec_b32 s19, s4
	s_cbranch_execz .LBB351_1795
; %bb.1790:                             ;   in Loop: Header=BB351_995 Depth=1
	v_and_b32_e32 v26, 0x7f, v24
	v_mov_b32_e32 v36, 0x7f800001
	s_mov_b32 s20, exec_lo
	v_cmpx_ne_u32_e32 0x7f, v26
	s_cbranch_execz .LBB351_1794
; %bb.1791:                             ;   in Loop: Header=BB351_995 Depth=1
	v_lshrrev_b32_e32 v13, 3, v26
	v_cmp_gt_u32_e64 s4, 8, v26
	v_mov_b32_e32 v27, v25
	v_mov_b32_e32 v26, v24
	s_and_saveexec_b32 s21, s4
; %bb.1792:                             ;   in Loop: Header=BB351_995 Depth=1
	v_and_b32_e32 v13, 7, v24
	v_ffbh_u32_e32 v13, v13
	v_min_u32_e32 v13, 32, v13
	v_subrev_nc_u32_e32 v26, 28, v13
	v_sub_nc_u32_e32 v13, 29, v13
	v_lshlrev_b64 v[26:27], v26, v[24:25]
; %bb.1793:                             ;   in Loop: Header=BB351_995 Depth=1
	s_or_b32 exec_lo, exec_lo, s21
	v_lshlrev_b32_e32 v26, 20, v26
	v_lshlrev_b32_e32 v27, 24, v24
	v_lshl_add_u32 v13, v13, 23, 0x3c000000
	v_and_b32_e32 v26, 0x700000, v26
	v_and_b32_e32 v27, 0x80000000, v27
	v_or3_b32 v36, v26, v27, v13
.LBB351_1794:                           ;   in Loop: Header=BB351_995 Depth=1
	s_or_b32 exec_lo, exec_lo, s20
.LBB351_1795:                           ;   in Loop: Header=BB351_995 Depth=1
	s_or_b32 exec_lo, exec_lo, s19
.LBB351_1796:                           ;   in Loop: Header=BB351_995 Depth=1
	s_or_b32 exec_lo, exec_lo, s18
	v_cmp_ne_u16_sdwa s4, v24, v14 src0_sel:BYTE_1 src1_sel:DWORD
	s_and_saveexec_b32 s18, s4
	s_cbranch_execz .LBB351_1804
; %bb.1797:                             ;   in Loop: Header=BB351_995 Depth=1
	v_cmp_ne_u16_sdwa s4, v24, v71 src0_sel:BYTE_1 src1_sel:DWORD
	v_bfrev_b32_e32 v80, 1
	s_and_saveexec_b32 s19, s4
	s_cbranch_execz .LBB351_1803
; %bb.1798:                             ;   in Loop: Header=BB351_995 Depth=1
	v_mov_b32_e32 v13, 0xffff
	v_mov_b32_e32 v80, 0x7f800001
	s_mov_b32 s20, exec_lo
	v_and_b32_sdwa v13, v13, v24 dst_sel:DWORD dst_unused:UNUSED_PAD src0_sel:DWORD src1_sel:BYTE_1
	v_and_b32_e32 v26, 0x7f, v13
	v_cmpx_ne_u32_e32 0x7f, v26
	s_cbranch_execz .LBB351_1802
; %bb.1799:                             ;   in Loop: Header=BB351_995 Depth=1
	v_and_b32_e32 v13, 7, v13
	v_lshrrev_b32_e32 v80, 3, v26
	v_cmp_gt_u32_e64 s4, 8, v26
	v_mov_b32_e32 v27, v14
	v_mov_b32_e32 v26, v13
	s_and_saveexec_b32 s21, s4
; %bb.1800:                             ;   in Loop: Header=BB351_995 Depth=1
	v_ffbh_u32_e32 v26, v13
	v_min_u32_e32 v34, 32, v26
	v_subrev_nc_u32_e32 v26, 28, v34
	v_sub_nc_u32_e32 v80, 29, v34
	v_lshlrev_b64 v[26:27], v26, v[13:14]
	v_and_b32_e32 v26, 7, v26
; %bb.1801:                             ;   in Loop: Header=BB351_995 Depth=1
	s_or_b32 exec_lo, exec_lo, s21
	v_lshlrev_b32_e32 v13, 16, v24
	v_lshlrev_b32_e32 v26, 20, v26
	v_lshl_add_u32 v27, v80, 23, 0x3c000000
	v_and_b32_e32 v13, 0x80000000, v13
	v_or3_b32 v80, v26, v13, v27
.LBB351_1802:                           ;   in Loop: Header=BB351_995 Depth=1
	s_or_b32 exec_lo, exec_lo, s20
.LBB351_1803:                           ;   in Loop: Header=BB351_995 Depth=1
	s_or_b32 exec_lo, exec_lo, s19
.LBB351_1804:                           ;   in Loop: Header=BB351_995 Depth=1
	s_or_b32 exec_lo, exec_lo, s18
	v_and_b32_sdwa v13, v24, v81 dst_sel:DWORD dst_unused:UNUSED_PAD src0_sel:WORD_1 src1_sel:DWORD
	v_mov_b32_e32 v83, 0
	v_mov_b32_e32 v82, 0
	s_mov_b32 s18, exec_lo
	v_cmpx_ne_u16_e32 0, v13
	s_cbranch_execz .LBB351_1812
; %bb.1805:                             ;   in Loop: Header=BB351_995 Depth=1
	v_bfrev_b32_e32 v82, 1
	s_mov_b32 s19, exec_lo
	v_cmpx_ne_u16_e32 0x80, v13
	s_cbranch_execz .LBB351_1811
; %bb.1806:                             ;   in Loop: Header=BB351_995 Depth=1
	v_bfe_u32 v26, v24, 16, 7
	v_mov_b32_e32 v82, 0x7f800001
	s_mov_b32 s20, exec_lo
	v_cmpx_ne_u32_e32 0x7f, v26
	s_cbranch_execz .LBB351_1810
; %bb.1807:                             ;   in Loop: Header=BB351_995 Depth=1
	v_mov_b32_e32 v13, 7
	v_lshrrev_b32_e32 v82, 3, v26
	v_cmp_gt_u32_e64 s4, 8, v26
	v_and_b32_sdwa v13, v24, v13 dst_sel:DWORD dst_unused:UNUSED_PAD src0_sel:WORD_1 src1_sel:DWORD
	v_mov_b32_e32 v27, v14
	v_mov_b32_e32 v26, v13
	s_and_saveexec_b32 s21, s4
; %bb.1808:                             ;   in Loop: Header=BB351_995 Depth=1
	v_ffbh_u32_e32 v26, v13
	v_min_u32_e32 v34, 32, v26
	v_subrev_nc_u32_e32 v26, 28, v34
	v_sub_nc_u32_e32 v82, 29, v34
	v_lshlrev_b64 v[26:27], v26, v[13:14]
	v_and_b32_e32 v26, 7, v26
; %bb.1809:                             ;   in Loop: Header=BB351_995 Depth=1
	s_or_b32 exec_lo, exec_lo, s21
	v_mov_b32_e32 v13, 24
	v_lshlrev_b32_e32 v26, 20, v26
	v_lshl_add_u32 v27, v82, 23, 0x3c000000
	v_lshlrev_b32_sdwa v13, v13, v24 dst_sel:DWORD dst_unused:UNUSED_PAD src0_sel:DWORD src1_sel:WORD_1
	v_and_b32_e32 v13, 0x80000000, v13
	v_or3_b32 v82, v26, v13, v27
.LBB351_1810:                           ;   in Loop: Header=BB351_995 Depth=1
	s_or_b32 exec_lo, exec_lo, s20
.LBB351_1811:                           ;   in Loop: Header=BB351_995 Depth=1
	s_or_b32 exec_lo, exec_lo, s19
.LBB351_1812:                           ;   in Loop: Header=BB351_995 Depth=1
	s_or_b32 exec_lo, exec_lo, s18
	s_mov_b32 s18, exec_lo
	v_cmpx_lt_u32_e32 0xffffff, v24
	s_cbranch_execz .LBB351_1820
; %bb.1813:                             ;   in Loop: Header=BB351_995 Depth=1
	v_cmp_ne_u32_sdwa s4, v24, v71 src0_sel:BYTE_3 src1_sel:DWORD
	v_bfrev_b32_e32 v83, 1
	s_and_saveexec_b32 s19, s4
	s_cbranch_execz .LBB351_1819
; %bb.1814:                             ;   in Loop: Header=BB351_995 Depth=1
	v_bfe_u32 v26, v24, 24, 7
	v_mov_b32_e32 v83, 0x7f800001
	s_mov_b32 s20, exec_lo
	v_cmpx_ne_u32_e32 0x7f, v26
	s_cbranch_execz .LBB351_1818
; %bb.1815:                             ;   in Loop: Header=BB351_995 Depth=1
	v_mov_b32_e32 v13, 7
	v_lshrrev_b32_e32 v83, 3, v26
	v_cmp_gt_u32_e64 s4, 8, v26
	v_and_b32_sdwa v13, v24, v13 dst_sel:DWORD dst_unused:UNUSED_PAD src0_sel:BYTE_3 src1_sel:DWORD
	v_mov_b32_e32 v27, v14
	v_mov_b32_e32 v26, v13
	s_and_saveexec_b32 s21, s4
; %bb.1816:                             ;   in Loop: Header=BB351_995 Depth=1
	v_ffbh_u32_e32 v26, v13
	v_min_u32_e32 v34, 32, v26
	v_subrev_nc_u32_e32 v26, 28, v34
	v_sub_nc_u32_e32 v83, 29, v34
	v_lshlrev_b64 v[26:27], v26, v[13:14]
	v_and_b32_e32 v26, 7, v26
; %bb.1817:                             ;   in Loop: Header=BB351_995 Depth=1
	s_or_b32 exec_lo, exec_lo, s21
	v_mov_b32_e32 v13, 24
	v_lshlrev_b32_e32 v26, 20, v26
	v_lshl_add_u32 v27, v83, 23, 0x3c000000
	v_lshlrev_b32_sdwa v13, v13, v24 dst_sel:DWORD dst_unused:UNUSED_PAD src0_sel:DWORD src1_sel:BYTE_3
	v_and_b32_e32 v13, 0x80000000, v13
	v_or3_b32 v83, v26, v13, v27
.LBB351_1818:                           ;   in Loop: Header=BB351_995 Depth=1
	s_or_b32 exec_lo, exec_lo, s20
.LBB351_1819:                           ;   in Loop: Header=BB351_995 Depth=1
	s_or_b32 exec_lo, exec_lo, s19
.LBB351_1820:                           ;   in Loop: Header=BB351_995 Depth=1
	s_or_b32 exec_lo, exec_lo, s18
	v_mov_b32_e32 v13, v25
	v_cmp_ne_u16_sdwa s4, v25, v14 src0_sel:BYTE_0 src1_sel:DWORD
	v_mov_b32_e32 v112, 0
	v_mov_b32_e32 v113, 0
	s_and_saveexec_b32 s18, s4
	s_cbranch_execz .LBB351_1828
; %bb.1821:                             ;   in Loop: Header=BB351_995 Depth=1
	v_cmp_ne_u16_sdwa s4, v25, v71 src0_sel:BYTE_0 src1_sel:DWORD
	v_bfrev_b32_e32 v113, 1
	s_and_saveexec_b32 s19, s4
	s_cbranch_execz .LBB351_1827
; %bb.1822:                             ;   in Loop: Header=BB351_995 Depth=1
	v_and_b32_e32 v26, 0x7f, v25
	v_mov_b32_e32 v113, 0x7f800001
	s_mov_b32 s20, exec_lo
	v_cmpx_ne_u32_e32 0x7f, v26
	s_cbranch_execz .LBB351_1826
; %bb.1823:                             ;   in Loop: Header=BB351_995 Depth=1
	v_lshrrev_b32_e32 v96, 3, v26
	v_cmp_gt_u32_e64 s4, 8, v26
	v_mov_b32_e32 v27, v14
	v_mov_b32_e32 v26, v13
	s_and_saveexec_b32 s21, s4
; %bb.1824:                             ;   in Loop: Header=BB351_995 Depth=1
	v_and_b32_e32 v26, 7, v25
	v_ffbh_u32_e32 v26, v26
	v_min_u32_e32 v34, 32, v26
	v_subrev_nc_u32_e32 v26, 28, v34
	v_sub_nc_u32_e32 v96, 29, v34
	v_lshlrev_b64 v[26:27], v26, v[13:14]
; %bb.1825:                             ;   in Loop: Header=BB351_995 Depth=1
	s_or_b32 exec_lo, exec_lo, s21
	v_lshlrev_b32_e32 v26, 20, v26
	v_lshlrev_b32_e32 v27, 24, v13
	v_lshl_add_u32 v34, v96, 23, 0x3c000000
	v_and_b32_e32 v26, 0x700000, v26
	v_and_b32_e32 v27, 0x80000000, v27
	v_or3_b32 v113, v26, v27, v34
.LBB351_1826:                           ;   in Loop: Header=BB351_995 Depth=1
	s_or_b32 exec_lo, exec_lo, s20
.LBB351_1827:                           ;   in Loop: Header=BB351_995 Depth=1
	s_or_b32 exec_lo, exec_lo, s19
.LBB351_1828:                           ;   in Loop: Header=BB351_995 Depth=1
	s_or_b32 exec_lo, exec_lo, s18
	v_cmp_ne_u16_sdwa s4, v13, v14 src0_sel:BYTE_1 src1_sel:DWORD
	s_and_saveexec_b32 s18, s4
	s_cbranch_execz .LBB351_1836
; %bb.1829:                             ;   in Loop: Header=BB351_995 Depth=1
	v_cmp_ne_u16_sdwa s4, v13, v71 src0_sel:BYTE_1 src1_sel:DWORD
	v_bfrev_b32_e32 v112, 1
	s_and_saveexec_b32 s19, s4
	s_cbranch_execz .LBB351_1835
; %bb.1830:                             ;   in Loop: Header=BB351_995 Depth=1
	v_mov_b32_e32 v26, 0xffff
	v_mov_b32_e32 v112, 0x7f800001
	s_mov_b32 s20, exec_lo
	v_and_b32_sdwa v26, v26, v13 dst_sel:DWORD dst_unused:UNUSED_PAD src0_sel:DWORD src1_sel:BYTE_1
	v_and_b32_e32 v114, 0x7f, v26
	v_cmpx_ne_u32_e32 0x7f, v114
	s_cbranch_execz .LBB351_1834
; %bb.1831:                             ;   in Loop: Header=BB351_995 Depth=1
	v_and_b32_e32 v26, 7, v26
	v_mov_b32_e32 v27, v14
	v_lshrrev_b32_e32 v96, 3, v114
	s_mov_b32 s21, exec_lo
	v_cmpx_gt_u32_e32 8, v114
; %bb.1832:                             ;   in Loop: Header=BB351_995 Depth=1
	v_ffbh_u32_e32 v34, v26
	v_min_u32_e32 v34, 32, v34
	v_subrev_nc_u32_e32 v37, 28, v34
	v_sub_nc_u32_e32 v96, 29, v34
	v_lshlrev_b64 v[26:27], v37, v[26:27]
	v_and_b32_e32 v26, 7, v26
; %bb.1833:                             ;   in Loop: Header=BB351_995 Depth=1
	s_or_b32 exec_lo, exec_lo, s21
	v_lshlrev_b32_e32 v13, 16, v13
	v_lshlrev_b32_e32 v26, 20, v26
	v_lshl_add_u32 v27, v96, 23, 0x3c000000
	v_and_b32_e32 v13, 0x80000000, v13
	v_or3_b32 v112, v26, v13, v27
.LBB351_1834:                           ;   in Loop: Header=BB351_995 Depth=1
	s_or_b32 exec_lo, exec_lo, s20
.LBB351_1835:                           ;   in Loop: Header=BB351_995 Depth=1
	s_or_b32 exec_lo, exec_lo, s19
.LBB351_1836:                           ;   in Loop: Header=BB351_995 Depth=1
	s_or_b32 exec_lo, exec_lo, s18
	v_and_b32_sdwa v13, v25, v81 dst_sel:DWORD dst_unused:UNUSED_PAD src0_sel:WORD_1 src1_sel:DWORD
	v_mov_b32_e32 v96, 0
	v_mov_b32_e32 v117, 0
	s_mov_b32 s18, exec_lo
	v_cmpx_ne_u16_e32 0, v13
	s_cbranch_execz .LBB351_1844
; %bb.1837:                             ;   in Loop: Header=BB351_995 Depth=1
	v_bfrev_b32_e32 v117, 1
	s_mov_b32 s19, exec_lo
	v_cmpx_ne_u16_e32 0x80, v13
	s_cbranch_execz .LBB351_1843
; %bb.1838:                             ;   in Loop: Header=BB351_995 Depth=1
	v_bfe_u32 v26, v25, 16, 7
	v_mov_b32_e32 v117, 0x7f800001
	s_mov_b32 s20, exec_lo
	v_cmpx_ne_u32_e32 0x7f, v26
	s_cbranch_execz .LBB351_1842
; %bb.1839:                             ;   in Loop: Header=BB351_995 Depth=1
	v_mov_b32_e32 v13, 7
	v_lshrrev_b32_e32 v114, 3, v26
	v_cmp_gt_u32_e64 s4, 8, v26
	v_and_b32_sdwa v13, v25, v13 dst_sel:DWORD dst_unused:UNUSED_PAD src0_sel:WORD_1 src1_sel:DWORD
	v_mov_b32_e32 v27, v14
	v_mov_b32_e32 v26, v13
	s_and_saveexec_b32 s21, s4
; %bb.1840:                             ;   in Loop: Header=BB351_995 Depth=1
	v_ffbh_u32_e32 v26, v13
	v_min_u32_e32 v34, 32, v26
	v_subrev_nc_u32_e32 v26, 28, v34
	v_sub_nc_u32_e32 v114, 29, v34
	v_lshlrev_b64 v[26:27], v26, v[13:14]
	v_and_b32_e32 v26, 7, v26
; %bb.1841:                             ;   in Loop: Header=BB351_995 Depth=1
	s_or_b32 exec_lo, exec_lo, s21
	v_mov_b32_e32 v13, 24
	v_lshlrev_b32_e32 v26, 20, v26
	v_lshl_add_u32 v27, v114, 23, 0x3c000000
	v_lshlrev_b32_sdwa v13, v13, v25 dst_sel:DWORD dst_unused:UNUSED_PAD src0_sel:DWORD src1_sel:WORD_1
	v_and_b32_e32 v13, 0x80000000, v13
	v_or3_b32 v117, v26, v13, v27
.LBB351_1842:                           ;   in Loop: Header=BB351_995 Depth=1
	s_or_b32 exec_lo, exec_lo, s20
.LBB351_1843:                           ;   in Loop: Header=BB351_995 Depth=1
	s_or_b32 exec_lo, exec_lo, s19
.LBB351_1844:                           ;   in Loop: Header=BB351_995 Depth=1
	s_or_b32 exec_lo, exec_lo, s18
	s_mov_b32 s18, exec_lo
	v_cmpx_lt_u64_e64 s[6:7], v[24:25]
	s_cbranch_execz .LBB351_1852
; %bb.1845:                             ;   in Loop: Header=BB351_995 Depth=1
	v_cmp_ne_u32_sdwa s4, v25, v71 src0_sel:BYTE_3 src1_sel:DWORD
	v_bfrev_b32_e32 v96, 1
	s_and_saveexec_b32 s19, s4
	s_cbranch_execz .LBB351_1851
; %bb.1846:                             ;   in Loop: Header=BB351_995 Depth=1
	v_bfe_u32 v26, v25, 24, 7
	v_mov_b32_e32 v96, 0x7f800001
	s_mov_b32 s20, exec_lo
	v_cmpx_ne_u32_e32 0x7f, v26
	s_cbranch_execz .LBB351_1850
; %bb.1847:                             ;   in Loop: Header=BB351_995 Depth=1
	v_mov_b32_e32 v13, 7
	v_lshrrev_b32_e32 v24, 3, v26
	v_cmp_gt_u32_e64 s4, 8, v26
	v_and_b32_sdwa v13, v25, v13 dst_sel:DWORD dst_unused:UNUSED_PAD src0_sel:BYTE_3 src1_sel:DWORD
	v_mov_b32_e32 v27, v14
	v_mov_b32_e32 v26, v13
	s_and_saveexec_b32 s21, s4
; %bb.1848:                             ;   in Loop: Header=BB351_995 Depth=1
	v_ffbh_u32_e32 v24, v13
	v_min_u32_e32 v24, 32, v24
	v_subrev_nc_u32_e32 v26, 28, v24
	v_sub_nc_u32_e32 v24, 29, v24
	v_lshlrev_b64 v[26:27], v26, v[13:14]
	v_and_b32_e32 v26, 7, v26
; %bb.1849:                             ;   in Loop: Header=BB351_995 Depth=1
	s_or_b32 exec_lo, exec_lo, s21
	v_mov_b32_e32 v13, 24
	v_lshl_add_u32 v24, v24, 23, 0x3c000000
	v_lshlrev_b32_sdwa v13, v13, v25 dst_sel:DWORD dst_unused:UNUSED_PAD src0_sel:DWORD src1_sel:BYTE_3
	v_lshlrev_b32_e32 v25, 20, v26
	v_and_b32_e32 v13, 0x80000000, v13
	v_or3_b32 v96, v25, v13, v24
.LBB351_1850:                           ;   in Loop: Header=BB351_995 Depth=1
	s_or_b32 exec_lo, exec_lo, s20
.LBB351_1851:                           ;   in Loop: Header=BB351_995 Depth=1
	s_or_b32 exec_lo, exec_lo, s19
.LBB351_1852:                           ;   in Loop: Header=BB351_995 Depth=1
	s_or_b32 exec_lo, exec_lo, s18
	v_mul_f32_e32 v13, v60, v112
	v_bfe_u32 v24, v13, 16, 1
	v_or_b32_e32 v25, 0x400000, v13
	v_cmp_u_f32_e64 s4, v13, v13
	v_add3_u32 v24, v24, v13, 0x7fff
	v_cndmask_b32_e64 v13, v24, v25, s4
	v_lshrrev_b32_e32 v112, 16, v13
	v_mul_f32_e32 v13, v60, v113
	v_bfe_u32 v24, v13, 16, 1
	v_or_b32_e32 v25, 0x400000, v13
	v_cmp_u_f32_e64 s4, v13, v13
	v_add3_u32 v24, v24, v13, 0x7fff
	v_cndmask_b32_e64 v13, v24, v25, s4
	v_lshrrev_b32_e32 v113, 16, v13
	;; [unrolled: 7-line block ×8, first 2 shown]
	s_and_saveexec_b32 s18, vcc_lo
	s_cbranch_execz .LBB351_1854
; %bb.1853:                             ;   in Loop: Header=BB351_995 Depth=1
	v_cmp_lt_i32_e64 s4, v73, v32
	v_cndmask_b32_e64 v118, 0, v118, s4
	v_cmp_lt_i32_e64 s4, v88, v32
	v_cndmask_b32_e64 v116, 0, v116, s4
	;; [unrolled: 2-line block ×8, first 2 shown]
.LBB351_1854:                           ;   in Loop: Header=BB351_995 Depth=1
	s_or_b32 exec_lo, exec_lo, s18
	flat_load_dwordx2 v[24:25], v[19:20] offset:1280
	v_mov_b32_e32 v96, 0
	v_mov_b32_e32 v36, 0
	s_waitcnt vmcnt(0) lgkmcnt(0)
	v_cmp_ne_u16_sdwa s4, v24, v14 src0_sel:BYTE_0 src1_sel:DWORD
	s_and_saveexec_b32 s18, s4
	s_cbranch_execz .LBB351_1862
; %bb.1855:                             ;   in Loop: Header=BB351_995 Depth=1
	v_cmp_ne_u16_sdwa s4, v24, v71 src0_sel:BYTE_0 src1_sel:DWORD
	v_bfrev_b32_e32 v36, 1
	s_and_saveexec_b32 s19, s4
	s_cbranch_execz .LBB351_1861
; %bb.1856:                             ;   in Loop: Header=BB351_995 Depth=1
	v_and_b32_e32 v26, 0x7f, v24
	v_mov_b32_e32 v36, 0x7f800001
	s_mov_b32 s20, exec_lo
	v_cmpx_ne_u32_e32 0x7f, v26
	s_cbranch_execz .LBB351_1860
; %bb.1857:                             ;   in Loop: Header=BB351_995 Depth=1
	v_lshrrev_b32_e32 v13, 3, v26
	v_cmp_gt_u32_e64 s4, 8, v26
	v_mov_b32_e32 v27, v25
	v_mov_b32_e32 v26, v24
	s_and_saveexec_b32 s21, s4
; %bb.1858:                             ;   in Loop: Header=BB351_995 Depth=1
	v_and_b32_e32 v13, 7, v24
	v_ffbh_u32_e32 v13, v13
	v_min_u32_e32 v13, 32, v13
	v_subrev_nc_u32_e32 v26, 28, v13
	v_sub_nc_u32_e32 v13, 29, v13
	v_lshlrev_b64 v[26:27], v26, v[24:25]
; %bb.1859:                             ;   in Loop: Header=BB351_995 Depth=1
	s_or_b32 exec_lo, exec_lo, s21
	v_lshlrev_b32_e32 v26, 20, v26
	v_lshlrev_b32_e32 v27, 24, v24
	v_lshl_add_u32 v13, v13, 23, 0x3c000000
	v_and_b32_e32 v26, 0x700000, v26
	v_and_b32_e32 v27, 0x80000000, v27
	v_or3_b32 v36, v26, v27, v13
.LBB351_1860:                           ;   in Loop: Header=BB351_995 Depth=1
	s_or_b32 exec_lo, exec_lo, s20
.LBB351_1861:                           ;   in Loop: Header=BB351_995 Depth=1
	s_or_b32 exec_lo, exec_lo, s19
.LBB351_1862:                           ;   in Loop: Header=BB351_995 Depth=1
	s_or_b32 exec_lo, exec_lo, s18
	v_cmp_ne_u16_sdwa s4, v24, v14 src0_sel:BYTE_1 src1_sel:DWORD
	s_and_saveexec_b32 s18, s4
	s_cbranch_execz .LBB351_1870
; %bb.1863:                             ;   in Loop: Header=BB351_995 Depth=1
	v_cmp_ne_u16_sdwa s4, v24, v71 src0_sel:BYTE_1 src1_sel:DWORD
	v_bfrev_b32_e32 v96, 1
	s_and_saveexec_b32 s19, s4
	s_cbranch_execz .LBB351_1869
; %bb.1864:                             ;   in Loop: Header=BB351_995 Depth=1
	v_mov_b32_e32 v13, 0xffff
	v_mov_b32_e32 v96, 0x7f800001
	s_mov_b32 s20, exec_lo
	v_and_b32_sdwa v13, v13, v24 dst_sel:DWORD dst_unused:UNUSED_PAD src0_sel:DWORD src1_sel:BYTE_1
	v_and_b32_e32 v26, 0x7f, v13
	v_cmpx_ne_u32_e32 0x7f, v26
	s_cbranch_execz .LBB351_1868
; %bb.1865:                             ;   in Loop: Header=BB351_995 Depth=1
	v_and_b32_e32 v13, 7, v13
	v_lshrrev_b32_e32 v80, 3, v26
	v_cmp_gt_u32_e64 s4, 8, v26
	v_mov_b32_e32 v27, v14
	v_mov_b32_e32 v26, v13
	s_and_saveexec_b32 s21, s4
; %bb.1866:                             ;   in Loop: Header=BB351_995 Depth=1
	v_ffbh_u32_e32 v26, v13
	v_min_u32_e32 v34, 32, v26
	v_subrev_nc_u32_e32 v26, 28, v34
	v_sub_nc_u32_e32 v80, 29, v34
	v_lshlrev_b64 v[26:27], v26, v[13:14]
	v_and_b32_e32 v26, 7, v26
; %bb.1867:                             ;   in Loop: Header=BB351_995 Depth=1
	s_or_b32 exec_lo, exec_lo, s21
	v_lshlrev_b32_e32 v13, 16, v24
	v_lshlrev_b32_e32 v26, 20, v26
	v_lshl_add_u32 v27, v80, 23, 0x3c000000
	v_and_b32_e32 v13, 0x80000000, v13
	v_or3_b32 v96, v26, v13, v27
.LBB351_1868:                           ;   in Loop: Header=BB351_995 Depth=1
	s_or_b32 exec_lo, exec_lo, s20
.LBB351_1869:                           ;   in Loop: Header=BB351_995 Depth=1
	s_or_b32 exec_lo, exec_lo, s19
.LBB351_1870:                           ;   in Loop: Header=BB351_995 Depth=1
	s_or_b32 exec_lo, exec_lo, s18
	v_and_b32_sdwa v13, v24, v81 dst_sel:DWORD dst_unused:UNUSED_PAD src0_sel:WORD_1 src1_sel:DWORD
	v_mov_b32_e32 v83, 0
	v_mov_b32_e32 v40, 0
	s_mov_b32 s18, exec_lo
	v_cmpx_ne_u16_e32 0, v13
	s_cbranch_execz .LBB351_1878
; %bb.1871:                             ;   in Loop: Header=BB351_995 Depth=1
	v_bfrev_b32_e32 v40, 1
	s_mov_b32 s19, exec_lo
	v_cmpx_ne_u16_e32 0x80, v13
	s_cbranch_execz .LBB351_1877
; %bb.1872:                             ;   in Loop: Header=BB351_995 Depth=1
	v_bfe_u32 v26, v24, 16, 7
	v_mov_b32_e32 v40, 0x7f800001
	s_mov_b32 s20, exec_lo
	v_cmpx_ne_u32_e32 0x7f, v26
	s_cbranch_execz .LBB351_1876
; %bb.1873:                             ;   in Loop: Header=BB351_995 Depth=1
	v_mov_b32_e32 v13, 7
	v_lshrrev_b32_e32 v80, 3, v26
	v_cmp_gt_u32_e64 s4, 8, v26
	v_and_b32_sdwa v13, v24, v13 dst_sel:DWORD dst_unused:UNUSED_PAD src0_sel:WORD_1 src1_sel:DWORD
	v_mov_b32_e32 v27, v14
	v_mov_b32_e32 v26, v13
	s_and_saveexec_b32 s21, s4
; %bb.1874:                             ;   in Loop: Header=BB351_995 Depth=1
	v_ffbh_u32_e32 v26, v13
	v_min_u32_e32 v34, 32, v26
	v_subrev_nc_u32_e32 v26, 28, v34
	v_sub_nc_u32_e32 v80, 29, v34
	v_lshlrev_b64 v[26:27], v26, v[13:14]
	v_and_b32_e32 v26, 7, v26
; %bb.1875:                             ;   in Loop: Header=BB351_995 Depth=1
	s_or_b32 exec_lo, exec_lo, s21
	v_mov_b32_e32 v13, 24
	v_lshlrev_b32_e32 v26, 20, v26
	v_lshl_add_u32 v27, v80, 23, 0x3c000000
	v_lshlrev_b32_sdwa v13, v13, v24 dst_sel:DWORD dst_unused:UNUSED_PAD src0_sel:DWORD src1_sel:WORD_1
	v_and_b32_e32 v13, 0x80000000, v13
	v_or3_b32 v40, v26, v13, v27
.LBB351_1876:                           ;   in Loop: Header=BB351_995 Depth=1
	s_or_b32 exec_lo, exec_lo, s20
.LBB351_1877:                           ;   in Loop: Header=BB351_995 Depth=1
	s_or_b32 exec_lo, exec_lo, s19
.LBB351_1878:                           ;   in Loop: Header=BB351_995 Depth=1
	s_or_b32 exec_lo, exec_lo, s18
	s_mov_b32 s18, exec_lo
	v_cmpx_lt_u32_e32 0xffffff, v24
	s_cbranch_execz .LBB351_1886
; %bb.1879:                             ;   in Loop: Header=BB351_995 Depth=1
	v_cmp_ne_u32_sdwa s4, v24, v71 src0_sel:BYTE_3 src1_sel:DWORD
	v_bfrev_b32_e32 v83, 1
	s_and_saveexec_b32 s19, s4
	s_cbranch_execz .LBB351_1885
; %bb.1880:                             ;   in Loop: Header=BB351_995 Depth=1
	v_bfe_u32 v26, v24, 24, 7
	v_mov_b32_e32 v83, 0x7f800001
	s_mov_b32 s20, exec_lo
	v_cmpx_ne_u32_e32 0x7f, v26
	s_cbranch_execz .LBB351_1884
; %bb.1881:                             ;   in Loop: Header=BB351_995 Depth=1
	v_mov_b32_e32 v13, 7
	v_lshrrev_b32_e32 v80, 3, v26
	v_cmp_gt_u32_e64 s4, 8, v26
	v_and_b32_sdwa v13, v24, v13 dst_sel:DWORD dst_unused:UNUSED_PAD src0_sel:BYTE_3 src1_sel:DWORD
	v_mov_b32_e32 v27, v14
	v_mov_b32_e32 v26, v13
	s_and_saveexec_b32 s21, s4
; %bb.1882:                             ;   in Loop: Header=BB351_995 Depth=1
	v_ffbh_u32_e32 v26, v13
	v_min_u32_e32 v34, 32, v26
	v_subrev_nc_u32_e32 v26, 28, v34
	v_sub_nc_u32_e32 v80, 29, v34
	v_lshlrev_b64 v[26:27], v26, v[13:14]
	v_and_b32_e32 v26, 7, v26
; %bb.1883:                             ;   in Loop: Header=BB351_995 Depth=1
	s_or_b32 exec_lo, exec_lo, s21
	v_mov_b32_e32 v13, 24
	v_lshlrev_b32_e32 v26, 20, v26
	v_lshl_add_u32 v27, v80, 23, 0x3c000000
	v_lshlrev_b32_sdwa v13, v13, v24 dst_sel:DWORD dst_unused:UNUSED_PAD src0_sel:DWORD src1_sel:BYTE_3
	v_and_b32_e32 v13, 0x80000000, v13
	v_or3_b32 v83, v26, v13, v27
.LBB351_1884:                           ;   in Loop: Header=BB351_995 Depth=1
	s_or_b32 exec_lo, exec_lo, s20
.LBB351_1885:                           ;   in Loop: Header=BB351_995 Depth=1
	s_or_b32 exec_lo, exec_lo, s19
.LBB351_1886:                           ;   in Loop: Header=BB351_995 Depth=1
	s_or_b32 exec_lo, exec_lo, s18
	v_mov_b32_e32 v13, v25
	v_cmp_ne_u16_sdwa s4, v25, v14 src0_sel:BYTE_0 src1_sel:DWORD
	v_mov_b32_e32 v80, 0
	v_mov_b32_e32 v82, 0
	s_and_saveexec_b32 s18, s4
	s_cbranch_execz .LBB351_1894
; %bb.1887:                             ;   in Loop: Header=BB351_995 Depth=1
	v_cmp_ne_u16_sdwa s4, v25, v71 src0_sel:BYTE_0 src1_sel:DWORD
	v_bfrev_b32_e32 v82, 1
	s_and_saveexec_b32 s19, s4
	s_cbranch_execz .LBB351_1893
; %bb.1888:                             ;   in Loop: Header=BB351_995 Depth=1
	v_and_b32_e32 v26, 0x7f, v25
	v_mov_b32_e32 v82, 0x7f800001
	s_mov_b32 s20, exec_lo
	v_cmpx_ne_u32_e32 0x7f, v26
	s_cbranch_execz .LBB351_1892
; %bb.1889:                             ;   in Loop: Header=BB351_995 Depth=1
	v_lshrrev_b32_e32 v82, 3, v26
	v_cmp_gt_u32_e64 s4, 8, v26
	v_mov_b32_e32 v27, v14
	v_mov_b32_e32 v26, v13
	s_and_saveexec_b32 s21, s4
; %bb.1890:                             ;   in Loop: Header=BB351_995 Depth=1
	v_and_b32_e32 v26, 7, v25
	v_ffbh_u32_e32 v26, v26
	v_min_u32_e32 v34, 32, v26
	v_subrev_nc_u32_e32 v26, 28, v34
	v_sub_nc_u32_e32 v82, 29, v34
	v_lshlrev_b64 v[26:27], v26, v[13:14]
; %bb.1891:                             ;   in Loop: Header=BB351_995 Depth=1
	s_or_b32 exec_lo, exec_lo, s21
	v_lshlrev_b32_e32 v26, 20, v26
	v_lshlrev_b32_e32 v27, 24, v13
	v_lshl_add_u32 v34, v82, 23, 0x3c000000
	v_and_b32_e32 v26, 0x700000, v26
	v_and_b32_e32 v27, 0x80000000, v27
	v_or3_b32 v82, v26, v27, v34
.LBB351_1892:                           ;   in Loop: Header=BB351_995 Depth=1
	s_or_b32 exec_lo, exec_lo, s20
.LBB351_1893:                           ;   in Loop: Header=BB351_995 Depth=1
	s_or_b32 exec_lo, exec_lo, s19
.LBB351_1894:                           ;   in Loop: Header=BB351_995 Depth=1
	s_or_b32 exec_lo, exec_lo, s18
	v_cmp_ne_u16_sdwa s4, v13, v14 src0_sel:BYTE_1 src1_sel:DWORD
	s_and_saveexec_b32 s18, s4
	s_cbranch_execz .LBB351_1902
; %bb.1895:                             ;   in Loop: Header=BB351_995 Depth=1
	v_cmp_ne_u16_sdwa s4, v13, v71 src0_sel:BYTE_1 src1_sel:DWORD
	v_bfrev_b32_e32 v80, 1
	s_and_saveexec_b32 s19, s4
	s_cbranch_execz .LBB351_1901
; %bb.1896:                             ;   in Loop: Header=BB351_995 Depth=1
	v_mov_b32_e32 v26, 0xffff
	v_mov_b32_e32 v80, 0x7f800001
	s_mov_b32 s20, exec_lo
	v_and_b32_sdwa v26, v26, v13 dst_sel:DWORD dst_unused:UNUSED_PAD src0_sel:DWORD src1_sel:BYTE_1
	v_and_b32_e32 v41, 0x7f, v26
	v_cmpx_ne_u32_e32 0x7f, v41
	s_cbranch_execz .LBB351_1900
; %bb.1897:                             ;   in Loop: Header=BB351_995 Depth=1
	v_and_b32_e32 v26, 7, v26
	v_mov_b32_e32 v27, v14
	v_lshrrev_b32_e32 v80, 3, v41
	s_mov_b32 s21, exec_lo
	v_cmpx_gt_u32_e32 8, v41
; %bb.1898:                             ;   in Loop: Header=BB351_995 Depth=1
	v_ffbh_u32_e32 v34, v26
	v_min_u32_e32 v34, 32, v34
	v_subrev_nc_u32_e32 v37, 28, v34
	v_sub_nc_u32_e32 v80, 29, v34
	v_lshlrev_b64 v[26:27], v37, v[26:27]
	v_and_b32_e32 v26, 7, v26
; %bb.1899:                             ;   in Loop: Header=BB351_995 Depth=1
	s_or_b32 exec_lo, exec_lo, s21
	v_lshlrev_b32_e32 v13, 16, v13
	v_lshlrev_b32_e32 v26, 20, v26
	v_lshl_add_u32 v27, v80, 23, 0x3c000000
	v_and_b32_e32 v13, 0x80000000, v13
	v_or3_b32 v80, v26, v13, v27
.LBB351_1900:                           ;   in Loop: Header=BB351_995 Depth=1
	s_or_b32 exec_lo, exec_lo, s20
.LBB351_1901:                           ;   in Loop: Header=BB351_995 Depth=1
	s_or_b32 exec_lo, exec_lo, s19
.LBB351_1902:                           ;   in Loop: Header=BB351_995 Depth=1
	s_or_b32 exec_lo, exec_lo, s18
	v_and_b32_sdwa v13, v25, v81 dst_sel:DWORD dst_unused:UNUSED_PAD src0_sel:WORD_1 src1_sel:DWORD
	v_mov_b32_e32 v44, 0
	v_mov_b32_e32 v42, 0
	s_mov_b32 s18, exec_lo
	v_cmpx_ne_u16_e32 0, v13
	s_cbranch_execz .LBB351_1910
; %bb.1903:                             ;   in Loop: Header=BB351_995 Depth=1
	v_bfrev_b32_e32 v42, 1
	s_mov_b32 s19, exec_lo
	v_cmpx_ne_u16_e32 0x80, v13
	s_cbranch_execz .LBB351_1909
; %bb.1904:                             ;   in Loop: Header=BB351_995 Depth=1
	v_bfe_u32 v26, v25, 16, 7
	v_mov_b32_e32 v42, 0x7f800001
	s_mov_b32 s20, exec_lo
	v_cmpx_ne_u32_e32 0x7f, v26
	s_cbranch_execz .LBB351_1908
; %bb.1905:                             ;   in Loop: Header=BB351_995 Depth=1
	v_mov_b32_e32 v13, 7
	v_lshrrev_b32_e32 v41, 3, v26
	v_cmp_gt_u32_e64 s4, 8, v26
	v_and_b32_sdwa v13, v25, v13 dst_sel:DWORD dst_unused:UNUSED_PAD src0_sel:WORD_1 src1_sel:DWORD
	v_mov_b32_e32 v27, v14
	v_mov_b32_e32 v26, v13
	s_and_saveexec_b32 s21, s4
; %bb.1906:                             ;   in Loop: Header=BB351_995 Depth=1
	v_ffbh_u32_e32 v26, v13
	v_min_u32_e32 v34, 32, v26
	v_subrev_nc_u32_e32 v26, 28, v34
	v_sub_nc_u32_e32 v41, 29, v34
	v_lshlrev_b64 v[26:27], v26, v[13:14]
	v_and_b32_e32 v26, 7, v26
; %bb.1907:                             ;   in Loop: Header=BB351_995 Depth=1
	s_or_b32 exec_lo, exec_lo, s21
	v_mov_b32_e32 v13, 24
	v_lshlrev_b32_e32 v26, 20, v26
	v_lshl_add_u32 v27, v41, 23, 0x3c000000
	v_lshlrev_b32_sdwa v13, v13, v25 dst_sel:DWORD dst_unused:UNUSED_PAD src0_sel:DWORD src1_sel:WORD_1
	v_and_b32_e32 v13, 0x80000000, v13
	v_or3_b32 v42, v26, v13, v27
.LBB351_1908:                           ;   in Loop: Header=BB351_995 Depth=1
	s_or_b32 exec_lo, exec_lo, s20
.LBB351_1909:                           ;   in Loop: Header=BB351_995 Depth=1
	s_or_b32 exec_lo, exec_lo, s19
.LBB351_1910:                           ;   in Loop: Header=BB351_995 Depth=1
	s_or_b32 exec_lo, exec_lo, s18
	s_mov_b32 s18, exec_lo
	v_cmpx_lt_u64_e64 s[6:7], v[24:25]
	s_cbranch_execz .LBB351_1918
; %bb.1911:                             ;   in Loop: Header=BB351_995 Depth=1
	v_cmp_ne_u32_sdwa s4, v25, v71 src0_sel:BYTE_3 src1_sel:DWORD
	v_bfrev_b32_e32 v44, 1
	s_and_saveexec_b32 s19, s4
	s_cbranch_execz .LBB351_1917
; %bb.1912:                             ;   in Loop: Header=BB351_995 Depth=1
	v_bfe_u32 v26, v25, 24, 7
	v_mov_b32_e32 v44, 0x7f800001
	s_mov_b32 s20, exec_lo
	v_cmpx_ne_u32_e32 0x7f, v26
	s_cbranch_execz .LBB351_1916
; %bb.1913:                             ;   in Loop: Header=BB351_995 Depth=1
	v_mov_b32_e32 v13, 7
	v_lshrrev_b32_e32 v24, 3, v26
	v_cmp_gt_u32_e64 s4, 8, v26
	v_and_b32_sdwa v13, v25, v13 dst_sel:DWORD dst_unused:UNUSED_PAD src0_sel:BYTE_3 src1_sel:DWORD
	v_mov_b32_e32 v27, v14
	v_mov_b32_e32 v26, v13
	s_and_saveexec_b32 s21, s4
; %bb.1914:                             ;   in Loop: Header=BB351_995 Depth=1
	v_ffbh_u32_e32 v24, v13
	v_min_u32_e32 v24, 32, v24
	v_subrev_nc_u32_e32 v26, 28, v24
	v_sub_nc_u32_e32 v24, 29, v24
	v_lshlrev_b64 v[26:27], v26, v[13:14]
	v_and_b32_e32 v26, 7, v26
; %bb.1915:                             ;   in Loop: Header=BB351_995 Depth=1
	s_or_b32 exec_lo, exec_lo, s21
	v_mov_b32_e32 v13, 24
	v_lshl_add_u32 v24, v24, 23, 0x3c000000
	v_lshlrev_b32_sdwa v13, v13, v25 dst_sel:DWORD dst_unused:UNUSED_PAD src0_sel:DWORD src1_sel:BYTE_3
	v_lshlrev_b32_e32 v25, 20, v26
	v_and_b32_e32 v13, 0x80000000, v13
	v_or3_b32 v44, v25, v13, v24
.LBB351_1916:                           ;   in Loop: Header=BB351_995 Depth=1
	s_or_b32 exec_lo, exec_lo, s20
.LBB351_1917:                           ;   in Loop: Header=BB351_995 Depth=1
	s_or_b32 exec_lo, exec_lo, s19
.LBB351_1918:                           ;   in Loop: Header=BB351_995 Depth=1
	s_or_b32 exec_lo, exec_lo, s18
	v_mul_f32_e32 v13, v60, v80
	v_bfe_u32 v24, v13, 16, 1
	v_or_b32_e32 v25, 0x400000, v13
	v_cmp_u_f32_e64 s4, v13, v13
	v_add3_u32 v24, v24, v13, 0x7fff
	v_cndmask_b32_e64 v13, v24, v25, s4
	v_lshrrev_b32_e32 v80, 16, v13
	v_mul_f32_e32 v13, v60, v82
	v_bfe_u32 v24, v13, 16, 1
	v_or_b32_e32 v25, 0x400000, v13
	v_cmp_u_f32_e64 s4, v13, v13
	v_add3_u32 v24, v24, v13, 0x7fff
	v_cndmask_b32_e64 v13, v24, v25, s4
	v_lshrrev_b32_e32 v82, 16, v13
	v_mul_f32_e32 v13, v60, v83
	v_bfe_u32 v24, v13, 16, 1
	v_or_b32_e32 v25, 0x400000, v13
	v_cmp_u_f32_e64 s4, v13, v13
	v_add3_u32 v24, v24, v13, 0x7fff
	v_cndmask_b32_e64 v13, v24, v25, s4
	v_lshrrev_b32_e32 v83, 16, v13
	v_mul_f32_e32 v13, v60, v40
	v_bfe_u32 v24, v13, 16, 1
	v_or_b32_e32 v25, 0x400000, v13
	v_cmp_u_f32_e64 s4, v13, v13
	v_add3_u32 v24, v24, v13, 0x7fff
	v_cndmask_b32_e64 v13, v24, v25, s4
	v_lshrrev_b32_e32 v40, 16, v13
	v_mul_f32_e32 v13, v60, v96
	v_bfe_u32 v24, v13, 16, 1
	v_or_b32_e32 v25, 0x400000, v13
	v_cmp_u_f32_e64 s4, v13, v13
	v_add3_u32 v24, v24, v13, 0x7fff
	v_cndmask_b32_e64 v13, v24, v25, s4
	v_lshrrev_b32_e32 v41, 16, v13
	v_mul_f32_e32 v13, v60, v36
	v_bfe_u32 v24, v13, 16, 1
	v_or_b32_e32 v25, 0x400000, v13
	v_cmp_u_f32_e64 s4, v13, v13
	v_add3_u32 v24, v24, v13, 0x7fff
	v_cndmask_b32_e64 v13, v24, v25, s4
	v_lshrrev_b32_e32 v43, 16, v13
	v_mul_f32_e32 v13, v60, v42
	v_bfe_u32 v24, v13, 16, 1
	v_or_b32_e32 v25, 0x400000, v13
	v_cmp_u_f32_e64 s4, v13, v13
	v_add3_u32 v24, v24, v13, 0x7fff
	v_cndmask_b32_e64 v13, v24, v25, s4
	v_lshrrev_b32_e32 v42, 16, v13
	v_mul_f32_e32 v13, v60, v44
	v_bfe_u32 v24, v13, 16, 1
	v_or_b32_e32 v25, 0x400000, v13
	v_cmp_u_f32_e64 s4, v13, v13
	v_add3_u32 v24, v24, v13, 0x7fff
	v_cndmask_b32_e64 v13, v24, v25, s4
	v_lshrrev_b32_e32 v36, 16, v13
	s_and_saveexec_b32 s18, vcc_lo
	s_cbranch_execz .LBB351_1920
; %bb.1919:                             ;   in Loop: Header=BB351_995 Depth=1
	v_cmp_lt_i32_e64 s4, v73, v32
	v_cndmask_b32_e64 v43, 0, v43, s4
	v_cmp_lt_i32_e64 s4, v88, v32
	v_cndmask_b32_e64 v41, 0, v41, s4
	;; [unrolled: 2-line block ×8, first 2 shown]
.LBB351_1920:                           ;   in Loop: Header=BB351_995 Depth=1
	s_or_b32 exec_lo, exec_lo, s18
	flat_load_dwordx2 v[19:20], v[19:20] offset:1536
	v_mov_b32_e32 v27, 0
	v_mov_b32_e32 v26, 0
	s_waitcnt vmcnt(0) lgkmcnt(0)
	v_cmp_ne_u16_sdwa s4, v19, v14 src0_sel:BYTE_0 src1_sel:DWORD
	s_and_saveexec_b32 s18, s4
	s_cbranch_execz .LBB351_1928
; %bb.1921:                             ;   in Loop: Header=BB351_995 Depth=1
	v_cmp_ne_u16_sdwa s4, v19, v71 src0_sel:BYTE_0 src1_sel:DWORD
	v_bfrev_b32_e32 v26, 1
	s_and_saveexec_b32 s19, s4
	s_cbranch_execz .LBB351_1927
; %bb.1922:                             ;   in Loop: Header=BB351_995 Depth=1
	v_and_b32_e32 v24, 0x7f, v19
	v_mov_b32_e32 v26, 0x7f800001
	s_mov_b32 s20, exec_lo
	v_cmpx_ne_u32_e32 0x7f, v24
	s_cbranch_execz .LBB351_1926
; %bb.1923:                             ;   in Loop: Header=BB351_995 Depth=1
	v_lshrrev_b32_e32 v13, 3, v24
	v_cmp_gt_u32_e64 s4, 8, v24
	v_mov_b32_e32 v25, v20
	v_mov_b32_e32 v24, v19
	s_and_saveexec_b32 s21, s4
; %bb.1924:                             ;   in Loop: Header=BB351_995 Depth=1
	v_and_b32_e32 v13, 7, v19
	v_ffbh_u32_e32 v13, v13
	v_min_u32_e32 v13, 32, v13
	v_subrev_nc_u32_e32 v24, 28, v13
	v_sub_nc_u32_e32 v13, 29, v13
	v_lshlrev_b64 v[24:25], v24, v[19:20]
; %bb.1925:                             ;   in Loop: Header=BB351_995 Depth=1
	s_or_b32 exec_lo, exec_lo, s21
	v_lshlrev_b32_e32 v24, 20, v24
	v_lshlrev_b32_e32 v25, 24, v19
	v_lshl_add_u32 v13, v13, 23, 0x3c000000
	v_and_b32_e32 v24, 0x700000, v24
	v_and_b32_e32 v25, 0x80000000, v25
	v_or3_b32 v26, v24, v25, v13
.LBB351_1926:                           ;   in Loop: Header=BB351_995 Depth=1
	s_or_b32 exec_lo, exec_lo, s20
.LBB351_1927:                           ;   in Loop: Header=BB351_995 Depth=1
	s_or_b32 exec_lo, exec_lo, s19
.LBB351_1928:                           ;   in Loop: Header=BB351_995 Depth=1
	s_or_b32 exec_lo, exec_lo, s18
	v_cmp_ne_u16_sdwa s4, v19, v14 src0_sel:BYTE_1 src1_sel:DWORD
	s_and_saveexec_b32 s18, s4
	s_cbranch_execz .LBB351_1936
; %bb.1929:                             ;   in Loop: Header=BB351_995 Depth=1
	v_cmp_ne_u16_sdwa s4, v19, v71 src0_sel:BYTE_1 src1_sel:DWORD
	v_bfrev_b32_e32 v27, 1
	s_and_saveexec_b32 s19, s4
	s_cbranch_execz .LBB351_1935
; %bb.1930:                             ;   in Loop: Header=BB351_995 Depth=1
	v_mov_b32_e32 v13, 0xffff
	v_mov_b32_e32 v27, 0x7f800001
	s_mov_b32 s20, exec_lo
	v_and_b32_sdwa v13, v13, v19 dst_sel:DWORD dst_unused:UNUSED_PAD src0_sel:DWORD src1_sel:BYTE_1
	v_and_b32_e32 v24, 0x7f, v13
	v_cmpx_ne_u32_e32 0x7f, v24
	s_cbranch_execz .LBB351_1934
; %bb.1931:                             ;   in Loop: Header=BB351_995 Depth=1
	v_and_b32_e32 v13, 7, v13
	v_lshrrev_b32_e32 v27, 3, v24
	v_cmp_gt_u32_e64 s4, 8, v24
	v_mov_b32_e32 v25, v14
	v_mov_b32_e32 v24, v13
	s_and_saveexec_b32 s21, s4
; %bb.1932:                             ;   in Loop: Header=BB351_995 Depth=1
	v_ffbh_u32_e32 v24, v13
	v_min_u32_e32 v27, 32, v24
	v_subrev_nc_u32_e32 v24, 28, v27
	v_sub_nc_u32_e32 v27, 29, v27
	v_lshlrev_b64 v[24:25], v24, v[13:14]
	v_and_b32_e32 v24, 7, v24
; %bb.1933:                             ;   in Loop: Header=BB351_995 Depth=1
	s_or_b32 exec_lo, exec_lo, s21
	v_lshlrev_b32_e32 v13, 16, v19
	v_lshlrev_b32_e32 v24, 20, v24
	v_lshl_add_u32 v25, v27, 23, 0x3c000000
	v_and_b32_e32 v13, 0x80000000, v13
	v_or3_b32 v27, v24, v13, v25
.LBB351_1934:                           ;   in Loop: Header=BB351_995 Depth=1
	s_or_b32 exec_lo, exec_lo, s20
.LBB351_1935:                           ;   in Loop: Header=BB351_995 Depth=1
	s_or_b32 exec_lo, exec_lo, s19
.LBB351_1936:                           ;   in Loop: Header=BB351_995 Depth=1
	s_or_b32 exec_lo, exec_lo, s18
	v_and_b32_sdwa v13, v19, v81 dst_sel:DWORD dst_unused:UNUSED_PAD src0_sel:WORD_1 src1_sel:DWORD
	v_mov_b32_e32 v44, 0
	v_mov_b32_e32 v96, 0
	s_mov_b32 s18, exec_lo
	v_cmpx_ne_u16_e32 0, v13
	s_cbranch_execz .LBB351_1944
; %bb.1937:                             ;   in Loop: Header=BB351_995 Depth=1
	v_bfrev_b32_e32 v96, 1
	s_mov_b32 s19, exec_lo
	v_cmpx_ne_u16_e32 0x80, v13
	s_cbranch_execz .LBB351_1943
; %bb.1938:                             ;   in Loop: Header=BB351_995 Depth=1
	v_bfe_u32 v24, v19, 16, 7
	v_mov_b32_e32 v96, 0x7f800001
	s_mov_b32 s20, exec_lo
	v_cmpx_ne_u32_e32 0x7f, v24
	s_cbranch_execz .LBB351_1942
; %bb.1939:                             ;   in Loop: Header=BB351_995 Depth=1
	v_mov_b32_e32 v13, 7
	v_lshrrev_b32_e32 v96, 3, v24
	v_cmp_gt_u32_e64 s4, 8, v24
	v_and_b32_sdwa v13, v19, v13 dst_sel:DWORD dst_unused:UNUSED_PAD src0_sel:WORD_1 src1_sel:DWORD
	v_mov_b32_e32 v25, v14
	v_mov_b32_e32 v24, v13
	s_and_saveexec_b32 s21, s4
; %bb.1940:                             ;   in Loop: Header=BB351_995 Depth=1
	v_ffbh_u32_e32 v24, v13
	v_min_u32_e32 v34, 32, v24
	v_subrev_nc_u32_e32 v24, 28, v34
	v_sub_nc_u32_e32 v96, 29, v34
	v_lshlrev_b64 v[24:25], v24, v[13:14]
	v_and_b32_e32 v24, 7, v24
; %bb.1941:                             ;   in Loop: Header=BB351_995 Depth=1
	s_or_b32 exec_lo, exec_lo, s21
	v_mov_b32_e32 v13, 24
	v_lshlrev_b32_e32 v24, 20, v24
	v_lshl_add_u32 v25, v96, 23, 0x3c000000
	v_lshlrev_b32_sdwa v13, v13, v19 dst_sel:DWORD dst_unused:UNUSED_PAD src0_sel:DWORD src1_sel:WORD_1
	v_and_b32_e32 v13, 0x80000000, v13
	v_or3_b32 v96, v24, v13, v25
.LBB351_1942:                           ;   in Loop: Header=BB351_995 Depth=1
	s_or_b32 exec_lo, exec_lo, s20
.LBB351_1943:                           ;   in Loop: Header=BB351_995 Depth=1
	s_or_b32 exec_lo, exec_lo, s19
.LBB351_1944:                           ;   in Loop: Header=BB351_995 Depth=1
	s_or_b32 exec_lo, exec_lo, s18
	s_mov_b32 s18, exec_lo
	v_cmpx_lt_u32_e32 0xffffff, v19
	s_cbranch_execz .LBB351_1952
; %bb.1945:                             ;   in Loop: Header=BB351_995 Depth=1
	v_cmp_ne_u32_sdwa s4, v19, v71 src0_sel:BYTE_3 src1_sel:DWORD
	v_bfrev_b32_e32 v44, 1
	s_and_saveexec_b32 s19, s4
	s_cbranch_execz .LBB351_1951
; %bb.1946:                             ;   in Loop: Header=BB351_995 Depth=1
	v_bfe_u32 v24, v19, 24, 7
	v_mov_b32_e32 v44, 0x7f800001
	s_mov_b32 s20, exec_lo
	v_cmpx_ne_u32_e32 0x7f, v24
	s_cbranch_execz .LBB351_1950
; %bb.1947:                             ;   in Loop: Header=BB351_995 Depth=1
	v_mov_b32_e32 v13, 7
	v_lshrrev_b32_e32 v44, 3, v24
	v_cmp_gt_u32_e64 s4, 8, v24
	v_and_b32_sdwa v13, v19, v13 dst_sel:DWORD dst_unused:UNUSED_PAD src0_sel:BYTE_3 src1_sel:DWORD
	v_mov_b32_e32 v25, v14
	v_mov_b32_e32 v24, v13
	s_and_saveexec_b32 s21, s4
; %bb.1948:                             ;   in Loop: Header=BB351_995 Depth=1
	v_ffbh_u32_e32 v24, v13
	v_min_u32_e32 v34, 32, v24
	v_subrev_nc_u32_e32 v24, 28, v34
	v_sub_nc_u32_e32 v44, 29, v34
	v_lshlrev_b64 v[24:25], v24, v[13:14]
	v_and_b32_e32 v24, 7, v24
; %bb.1949:                             ;   in Loop: Header=BB351_995 Depth=1
	s_or_b32 exec_lo, exec_lo, s21
	v_mov_b32_e32 v13, 24
	v_lshlrev_b32_e32 v24, 20, v24
	v_lshl_add_u32 v25, v44, 23, 0x3c000000
	v_lshlrev_b32_sdwa v13, v13, v19 dst_sel:DWORD dst_unused:UNUSED_PAD src0_sel:DWORD src1_sel:BYTE_3
	v_and_b32_e32 v13, 0x80000000, v13
	v_or3_b32 v44, v24, v13, v25
.LBB351_1950:                           ;   in Loop: Header=BB351_995 Depth=1
	s_or_b32 exec_lo, exec_lo, s20
.LBB351_1951:                           ;   in Loop: Header=BB351_995 Depth=1
	s_or_b32 exec_lo, exec_lo, s19
.LBB351_1952:                           ;   in Loop: Header=BB351_995 Depth=1
	s_or_b32 exec_lo, exec_lo, s18
	v_mov_b32_e32 v13, v20
	v_cmp_ne_u16_sdwa s4, v20, v14 src0_sel:BYTE_0 src1_sel:DWORD
	v_mov_b32_e32 v56, 0
	v_mov_b32_e32 v47, 0
	s_and_saveexec_b32 s18, s4
	s_cbranch_execz .LBB351_1960
; %bb.1953:                             ;   in Loop: Header=BB351_995 Depth=1
	v_cmp_ne_u16_sdwa s4, v20, v71 src0_sel:BYTE_0 src1_sel:DWORD
	v_bfrev_b32_e32 v47, 1
	s_and_saveexec_b32 s19, s4
	s_cbranch_execz .LBB351_1959
; %bb.1954:                             ;   in Loop: Header=BB351_995 Depth=1
	v_and_b32_e32 v24, 0x7f, v20
	v_mov_b32_e32 v47, 0x7f800001
	s_mov_b32 s20, exec_lo
	v_cmpx_ne_u32_e32 0x7f, v24
	s_cbranch_execz .LBB351_1958
; %bb.1955:                             ;   in Loop: Header=BB351_995 Depth=1
	v_lshrrev_b32_e32 v45, 3, v24
	v_cmp_gt_u32_e64 s4, 8, v24
	v_mov_b32_e32 v25, v14
	v_mov_b32_e32 v24, v13
	s_and_saveexec_b32 s21, s4
; %bb.1956:                             ;   in Loop: Header=BB351_995 Depth=1
	v_and_b32_e32 v24, 7, v20
	v_ffbh_u32_e32 v24, v24
	v_min_u32_e32 v34, 32, v24
	v_subrev_nc_u32_e32 v24, 28, v34
	v_sub_nc_u32_e32 v45, 29, v34
	v_lshlrev_b64 v[24:25], v24, v[13:14]
; %bb.1957:                             ;   in Loop: Header=BB351_995 Depth=1
	s_or_b32 exec_lo, exec_lo, s21
	v_lshlrev_b32_e32 v24, 20, v24
	v_lshlrev_b32_e32 v25, 24, v13
	v_lshl_add_u32 v34, v45, 23, 0x3c000000
	v_and_b32_e32 v24, 0x700000, v24
	v_and_b32_e32 v25, 0x80000000, v25
	v_or3_b32 v47, v24, v25, v34
.LBB351_1958:                           ;   in Loop: Header=BB351_995 Depth=1
	s_or_b32 exec_lo, exec_lo, s20
.LBB351_1959:                           ;   in Loop: Header=BB351_995 Depth=1
	s_or_b32 exec_lo, exec_lo, s19
.LBB351_1960:                           ;   in Loop: Header=BB351_995 Depth=1
	s_or_b32 exec_lo, exec_lo, s18
	v_cmp_ne_u16_sdwa s4, v13, v14 src0_sel:BYTE_1 src1_sel:DWORD
	s_and_saveexec_b32 s18, s4
	s_cbranch_execz .LBB351_1968
; %bb.1961:                             ;   in Loop: Header=BB351_995 Depth=1
	v_cmp_ne_u16_sdwa s4, v13, v71 src0_sel:BYTE_1 src1_sel:DWORD
	v_bfrev_b32_e32 v56, 1
	s_and_saveexec_b32 s19, s4
	s_cbranch_execz .LBB351_1967
; %bb.1962:                             ;   in Loop: Header=BB351_995 Depth=1
	v_mov_b32_e32 v24, 0xffff
	v_mov_b32_e32 v56, 0x7f800001
	s_mov_b32 s20, exec_lo
	v_and_b32_sdwa v24, v24, v13 dst_sel:DWORD dst_unused:UNUSED_PAD src0_sel:DWORD src1_sel:BYTE_1
	v_and_b32_e32 v46, 0x7f, v24
	v_cmpx_ne_u32_e32 0x7f, v46
	s_cbranch_execz .LBB351_1966
; %bb.1963:                             ;   in Loop: Header=BB351_995 Depth=1
	v_and_b32_e32 v24, 7, v24
	v_mov_b32_e32 v25, v14
	v_lshrrev_b32_e32 v45, 3, v46
	s_mov_b32 s21, exec_lo
	v_cmpx_gt_u32_e32 8, v46
; %bb.1964:                             ;   in Loop: Header=BB351_995 Depth=1
	v_ffbh_u32_e32 v34, v24
	v_min_u32_e32 v34, 32, v34
	v_subrev_nc_u32_e32 v37, 28, v34
	v_sub_nc_u32_e32 v45, 29, v34
	v_lshlrev_b64 v[24:25], v37, v[24:25]
	v_and_b32_e32 v24, 7, v24
; %bb.1965:                             ;   in Loop: Header=BB351_995 Depth=1
	s_or_b32 exec_lo, exec_lo, s21
	v_lshlrev_b32_e32 v13, 16, v13
	v_lshlrev_b32_e32 v24, 20, v24
	v_lshl_add_u32 v25, v45, 23, 0x3c000000
	v_and_b32_e32 v13, 0x80000000, v13
	v_or3_b32 v56, v24, v13, v25
.LBB351_1966:                           ;   in Loop: Header=BB351_995 Depth=1
	s_or_b32 exec_lo, exec_lo, s20
.LBB351_1967:                           ;   in Loop: Header=BB351_995 Depth=1
	s_or_b32 exec_lo, exec_lo, s19
.LBB351_1968:                           ;   in Loop: Header=BB351_995 Depth=1
	s_or_b32 exec_lo, exec_lo, s18
	v_and_b32_sdwa v13, v20, v81 dst_sel:DWORD dst_unused:UNUSED_PAD src0_sel:WORD_1 src1_sel:DWORD
	v_mov_b32_e32 v45, 0
	v_mov_b32_e32 v46, 0
	s_mov_b32 s18, exec_lo
	v_cmpx_ne_u16_e32 0, v13
	s_cbranch_execz .LBB351_1976
; %bb.1969:                             ;   in Loop: Header=BB351_995 Depth=1
	v_bfrev_b32_e32 v46, 1
	s_mov_b32 s19, exec_lo
	v_cmpx_ne_u16_e32 0x80, v13
	s_cbranch_execz .LBB351_1975
; %bb.1970:                             ;   in Loop: Header=BB351_995 Depth=1
	v_bfe_u32 v24, v20, 16, 7
	v_mov_b32_e32 v46, 0x7f800001
	s_mov_b32 s20, exec_lo
	v_cmpx_ne_u32_e32 0x7f, v24
	s_cbranch_execz .LBB351_1974
; %bb.1971:                             ;   in Loop: Header=BB351_995 Depth=1
	v_mov_b32_e32 v13, 7
	v_lshrrev_b32_e32 v46, 3, v24
	v_cmp_gt_u32_e64 s4, 8, v24
	v_and_b32_sdwa v13, v20, v13 dst_sel:DWORD dst_unused:UNUSED_PAD src0_sel:WORD_1 src1_sel:DWORD
	v_mov_b32_e32 v25, v14
	v_mov_b32_e32 v24, v13
	s_and_saveexec_b32 s21, s4
; %bb.1972:                             ;   in Loop: Header=BB351_995 Depth=1
	v_ffbh_u32_e32 v24, v13
	v_min_u32_e32 v34, 32, v24
	v_subrev_nc_u32_e32 v24, 28, v34
	v_sub_nc_u32_e32 v46, 29, v34
	v_lshlrev_b64 v[24:25], v24, v[13:14]
	v_and_b32_e32 v24, 7, v24
; %bb.1973:                             ;   in Loop: Header=BB351_995 Depth=1
	s_or_b32 exec_lo, exec_lo, s21
	v_mov_b32_e32 v13, 24
	v_lshlrev_b32_e32 v24, 20, v24
	v_lshl_add_u32 v25, v46, 23, 0x3c000000
	v_lshlrev_b32_sdwa v13, v13, v20 dst_sel:DWORD dst_unused:UNUSED_PAD src0_sel:DWORD src1_sel:WORD_1
	v_and_b32_e32 v13, 0x80000000, v13
	v_or3_b32 v46, v24, v13, v25
.LBB351_1974:                           ;   in Loop: Header=BB351_995 Depth=1
	s_or_b32 exec_lo, exec_lo, s20
.LBB351_1975:                           ;   in Loop: Header=BB351_995 Depth=1
	s_or_b32 exec_lo, exec_lo, s19
.LBB351_1976:                           ;   in Loop: Header=BB351_995 Depth=1
	s_or_b32 exec_lo, exec_lo, s18
	s_mov_b32 s18, exec_lo
	v_cmpx_lt_u64_e64 s[6:7], v[19:20]
	s_cbranch_execz .LBB351_1984
; %bb.1977:                             ;   in Loop: Header=BB351_995 Depth=1
	v_cmp_ne_u32_sdwa s4, v20, v71 src0_sel:BYTE_3 src1_sel:DWORD
	v_bfrev_b32_e32 v45, 1
	s_and_saveexec_b32 s19, s4
	s_cbranch_execz .LBB351_1983
; %bb.1978:                             ;   in Loop: Header=BB351_995 Depth=1
	v_bfe_u32 v24, v20, 24, 7
	v_mov_b32_e32 v45, 0x7f800001
	s_mov_b32 s20, exec_lo
	v_cmpx_ne_u32_e32 0x7f, v24
	s_cbranch_execz .LBB351_1982
; %bb.1979:                             ;   in Loop: Header=BB351_995 Depth=1
	v_mov_b32_e32 v13, 7
	v_lshrrev_b32_e32 v19, 3, v24
	v_cmp_gt_u32_e64 s4, 8, v24
	v_and_b32_sdwa v13, v20, v13 dst_sel:DWORD dst_unused:UNUSED_PAD src0_sel:BYTE_3 src1_sel:DWORD
	v_mov_b32_e32 v25, v14
	v_mov_b32_e32 v24, v13
	s_and_saveexec_b32 s21, s4
; %bb.1980:                             ;   in Loop: Header=BB351_995 Depth=1
	v_ffbh_u32_e32 v19, v13
	v_min_u32_e32 v19, 32, v19
	v_subrev_nc_u32_e32 v24, 28, v19
	v_sub_nc_u32_e32 v19, 29, v19
	v_lshlrev_b64 v[24:25], v24, v[13:14]
	v_and_b32_e32 v24, 7, v24
; %bb.1981:                             ;   in Loop: Header=BB351_995 Depth=1
	s_or_b32 exec_lo, exec_lo, s21
	v_mov_b32_e32 v13, 24
	v_lshl_add_u32 v19, v19, 23, 0x3c000000
	v_lshlrev_b32_sdwa v13, v13, v20 dst_sel:DWORD dst_unused:UNUSED_PAD src0_sel:DWORD src1_sel:BYTE_3
	v_lshlrev_b32_e32 v20, 20, v24
	v_and_b32_e32 v13, 0x80000000, v13
	v_or3_b32 v45, v20, v13, v19
.LBB351_1982:                           ;   in Loop: Header=BB351_995 Depth=1
	s_or_b32 exec_lo, exec_lo, s20
.LBB351_1983:                           ;   in Loop: Header=BB351_995 Depth=1
	s_or_b32 exec_lo, exec_lo, s19
.LBB351_1984:                           ;   in Loop: Header=BB351_995 Depth=1
	s_or_b32 exec_lo, exec_lo, s18
	v_mul_f32_e32 v13, v60, v56
	v_bfe_u32 v19, v13, 16, 1
	v_or_b32_e32 v20, 0x400000, v13
	v_cmp_u_f32_e64 s4, v13, v13
	v_add3_u32 v19, v19, v13, 0x7fff
	v_cndmask_b32_e64 v13, v19, v20, s4
	v_mul_f32_e32 v19, v60, v47
	v_lshrrev_b32_e32 v13, 16, v13
	v_bfe_u32 v20, v19, 16, 1
	v_or_b32_e32 v24, 0x400000, v19
	v_cmp_u_f32_e64 s4, v19, v19
	v_add3_u32 v20, v20, v19, 0x7fff
	v_cndmask_b32_e64 v19, v20, v24, s4
	v_mul_f32_e32 v20, v60, v44
	v_lshrrev_b32_e32 v19, 16, v19
	v_bfe_u32 v24, v20, 16, 1
	v_or_b32_e32 v25, 0x400000, v20
	v_cmp_u_f32_e64 s4, v20, v20
	v_add3_u32 v24, v24, v20, 0x7fff
	v_cndmask_b32_e64 v20, v24, v25, s4
	v_mul_f32_e32 v24, v60, v96
	v_lshrrev_b32_e32 v20, 16, v20
	v_bfe_u32 v25, v24, 16, 1
	v_or_b32_e32 v34, 0x400000, v24
	v_cmp_u_f32_e64 s4, v24, v24
	v_add3_u32 v25, v25, v24, 0x7fff
	v_cndmask_b32_e64 v24, v25, v34, s4
	v_lshrrev_b32_e32 v25, 16, v24
	v_mul_f32_e32 v24, v60, v27
	v_bfe_u32 v27, v24, 16, 1
	v_or_b32_e32 v34, 0x400000, v24
	v_cmp_u_f32_e64 s4, v24, v24
	v_add3_u32 v27, v27, v24, 0x7fff
	v_cndmask_b32_e64 v24, v27, v34, s4
	v_lshrrev_b32_e32 v27, 16, v24
	v_mul_f32_e32 v24, v60, v26
	;; [unrolled: 7-line block ×3, first 2 shown]
	v_bfe_u32 v26, v24, 16, 1
	v_or_b32_e32 v34, 0x400000, v24
	v_cmp_u_f32_e64 s4, v24, v24
	v_add3_u32 v26, v26, v24, 0x7fff
	v_cndmask_b32_e64 v24, v26, v34, s4
	v_mul_f32_e32 v26, v60, v45
	v_lshrrev_b32_e32 v24, 16, v24
	v_bfe_u32 v34, v26, 16, 1
	v_or_b32_e32 v37, 0x400000, v26
	v_cmp_u_f32_e64 s4, v26, v26
	v_add3_u32 v34, v34, v26, 0x7fff
	v_cndmask_b32_e64 v26, v34, v37, s4
	v_lshrrev_b32_e32 v26, 16, v26
	s_and_saveexec_b32 s4, vcc_lo
	s_cbranch_execz .LBB351_993
; %bb.1985:                             ;   in Loop: Header=BB351_995 Depth=1
	v_cmp_lt_i32_e32 vcc_lo, v73, v32
	v_cndmask_b32_e32 v96, 0, v96, vcc_lo
	v_cmp_lt_i32_e32 vcc_lo, v88, v32
	v_cndmask_b32_e32 v27, 0, v27, vcc_lo
	;; [unrolled: 2-line block ×8, first 2 shown]
	s_branch .LBB351_993
.LBB351_1986:
	s_or_b32 exec_lo, exec_lo, s13
	s_clause 0x10
	buffer_load_dword v35, off, s[0:3], s32 offset:424
	buffer_load_dword v14, off, s[0:3], s32 offset:428
	;; [unrolled: 1-line block ×17, first 2 shown]
.LBB351_1987:
	s_or_b32 exec_lo, exec_lo, s5
	s_waitcnt vmcnt(1)
	ds_bpermute_b32 v0, v14, v24
	ds_bpermute_b32 v2, v14, v18
	;; [unrolled: 1-line block ×4, first 2 shown]
	s_waitcnt vmcnt(0)
	ds_bpermute_b32 v1, v14, v25
	ds_bpermute_b32 v4, v14, v16
	;; [unrolled: 1-line block ×11, first 2 shown]
	v_mov_b32_e32 v30, v19
	s_waitcnt lgkmcnt(0)
	s_waitcnt_vscnt null, 0x0
	s_barrier
	buffer_gl0_inv
	s_load_dword s4, s[8:9], 0x0
	v_add_f32_e32 v0, v24, v0
	v_add_f32_e32 v2, v18, v2
	;; [unrolled: 1-line block ×5, first 2 shown]
	ds_bpermute_b32 v15, v35, v0
	ds_bpermute_b32 v17, v35, v2
	v_add_f32_e32 v4, v16, v4
	v_add_f32_e32 v6, v23, v6
	ds_bpermute_b32 v16, v35, v1
	v_add_f32_e32 v7, v22, v7
	v_add_f32_e32 v20, v20, v8
	;; [unrolled: 1-line block ×8, first 2 shown]
	ds_bpermute_b32 v18, v35, v3
	ds_bpermute_b32 v19, v35, v4
	;; [unrolled: 1-line block ×7, first 2 shown]
	s_waitcnt lgkmcnt(0)
	v_add_f32_e32 v14, v0, v15
	buffer_load_dword v15, off, s[0:3], s32 offset:396 ; 4-byte Folded Reload
	v_add_f32_e32 v12, v2, v17
	s_clause 0x1
	buffer_load_dword v2, off, s[0:3], s32 offset:400
	buffer_load_dword v17, off, s[0:3], s32 offset:796
	ds_bpermute_b32 v31, v35, v26
	ds_bpermute_b32 v32, v35, v27
	;; [unrolled: 1-line block ×5, first 2 shown]
	v_add_f32_e32 v13, v1, v16
	s_mov_b32 s5, exec_lo
	v_add_f32_e32 v11, v3, v18
	v_add_f32_e32 v10, v4, v19
	;; [unrolled: 1-line block ×7, first 2 shown]
	s_waitcnt lgkmcnt(4)
	v_add_f32_e32 v4, v26, v31
	s_waitcnt lgkmcnt(3)
	v_add_f32_e32 v3, v27, v32
	;; [unrolled: 2-line block ×4, first 2 shown]
	s_waitcnt vmcnt(2)
	v_and_b32_e32 v16, 28, v15
	v_lshrrev_b32_e32 v15, 2, v15
	s_waitcnt vmcnt(1)
	v_and_b32_e32 v18, 0x3c3, v2
	s_waitcnt lgkmcnt(0)
	v_add_f32_e32 v2, v30, v35
	s_waitcnt vmcnt(0)
	v_mul_u32_u24_e32 v17, 0x1e0, v17
	v_add_nc_u32_e32 v16, s4, v16
	v_cmpx_eq_u32_e32 64, v18
	s_cbranch_execz .LBB351_1989
; %bb.1988:
	v_add_nc_u32_e32 v18, v16, v17
	v_add_nc_u32_e32 v19, 0xfffffc40, v18
	;; [unrolled: 1-line block ×6, first 2 shown]
	ds_write_b32 v19, v14
	ds_write_b32 v20, v13
	;; [unrolled: 1-line block ×5, first 2 shown]
	v_add_nc_u32_e32 v19, 0xfffffce0, v18
	v_add_nc_u32_e32 v20, 0xfffffd00, v18
	;; [unrolled: 1-line block ×5, first 2 shown]
	ds_write_b32 v19, v9
	ds_write_b32 v20, v8
	;; [unrolled: 1-line block ×5, first 2 shown]
	v_add_nc_u32_e32 v19, 0xfffffd80, v18
	v_add_nc_u32_e32 v20, 0xfffffda0, v18
	;; [unrolled: 1-line block ×5, first 2 shown]
	ds_write_b32 v19, v4
	ds_write_b32 v20, v3
	;; [unrolled: 1-line block ×5, first 2 shown]
.LBB351_1989:
	s_or_b32 exec_lo, exec_lo, s5
	v_lshlrev_b32_e32 v15, 2, v15
	s_mov_b32 s5, exec_lo
	v_cmp_eq_u32_e32 vcc_lo, 0, v36
	v_add3_u32 v15, s4, v17, v15
	buffer_load_dword v17, off, s[0:3], s32 offset:400 ; 4-byte Folded Reload
	s_waitcnt vmcnt(0) lgkmcnt(0)
	s_barrier
	buffer_gl0_inv
	v_cmpx_gt_u32_e32 64, v17
	s_cbranch_execz .LBB351_2007
; %bb.1990:
	s_and_saveexec_b32 s4, vcc_lo
	s_cbranch_execnz .LBB351_2030
; %bb.1991:
	s_or_b32 exec_lo, exec_lo, s4
	s_and_saveexec_b32 s4, vcc_lo
	s_cbranch_execnz .LBB351_2031
.LBB351_1992:
	s_or_b32 exec_lo, exec_lo, s4
	s_and_saveexec_b32 s4, vcc_lo
	s_cbranch_execnz .LBB351_2032
.LBB351_1993:
	s_or_b32 exec_lo, exec_lo, s4
	s_and_saveexec_b32 s4, vcc_lo
	s_cbranch_execnz .LBB351_2033
.LBB351_1994:
	s_or_b32 exec_lo, exec_lo, s4
	s_and_saveexec_b32 s4, vcc_lo
	s_cbranch_execnz .LBB351_2034
.LBB351_1995:
	s_or_b32 exec_lo, exec_lo, s4
	s_and_saveexec_b32 s4, vcc_lo
	s_cbranch_execnz .LBB351_2035
.LBB351_1996:
	s_or_b32 exec_lo, exec_lo, s4
	s_and_saveexec_b32 s4, vcc_lo
	s_cbranch_execnz .LBB351_2036
.LBB351_1997:
	s_or_b32 exec_lo, exec_lo, s4
	s_and_saveexec_b32 s4, vcc_lo
	s_cbranch_execnz .LBB351_2037
.LBB351_1998:
	s_or_b32 exec_lo, exec_lo, s4
	s_and_saveexec_b32 s4, vcc_lo
	s_cbranch_execnz .LBB351_2038
.LBB351_1999:
	s_or_b32 exec_lo, exec_lo, s4
	s_and_saveexec_b32 s4, vcc_lo
	s_cbranch_execnz .LBB351_2039
.LBB351_2000:
	s_or_b32 exec_lo, exec_lo, s4
	s_and_saveexec_b32 s4, vcc_lo
	s_cbranch_execnz .LBB351_2040
.LBB351_2001:
	s_or_b32 exec_lo, exec_lo, s4
	s_and_saveexec_b32 s4, vcc_lo
	s_cbranch_execnz .LBB351_2041
.LBB351_2002:
	s_or_b32 exec_lo, exec_lo, s4
	s_and_saveexec_b32 s4, vcc_lo
	s_cbranch_execnz .LBB351_2042
.LBB351_2003:
	s_or_b32 exec_lo, exec_lo, s4
	s_and_saveexec_b32 s4, vcc_lo
	s_cbranch_execnz .LBB351_2043
.LBB351_2004:
	s_or_b32 exec_lo, exec_lo, s4
	s_and_saveexec_b32 s4, vcc_lo
	s_cbranch_execz .LBB351_2006
.LBB351_2005:
	ds_read_b32 v17, v15 offset:448
	s_waitcnt lgkmcnt(0)
	v_add_f32_e32 v2, v17, v2
.LBB351_2006:
	s_or_b32 exec_lo, exec_lo, s4
.LBB351_2007:
	s_or_b32 exec_lo, exec_lo, s5
	buffer_load_dword v17, off, s[0:3], s32 offset:400 ; 4-byte Folded Reload
	s_mov_b32 s5, exec_lo
	s_waitcnt vmcnt(0)
	s_barrier
	buffer_gl0_inv
	v_and_b32_e32 v17, 0x3e3, v17
	v_cmpx_eq_u32_e32 32, v17
	s_cbranch_execz .LBB351_2009
; %bb.2008:
	ds_write2_b32 v16, v14, v13 offset1:8
	ds_write2_b32 v16, v12, v11 offset0:16 offset1:24
	ds_write2_b32 v16, v10, v9 offset0:32 offset1:40
	;; [unrolled: 1-line block ×6, first 2 shown]
	ds_write_b32 v16, v2 offset:448
.LBB351_2009:
	s_or_b32 exec_lo, exec_lo, s5
	buffer_load_dword v16, off, s[0:3], s32 offset:400 ; 4-byte Folded Reload
	s_mov_b32 s5, exec_lo
	s_waitcnt vmcnt(0) lgkmcnt(0)
	s_barrier
	buffer_gl0_inv
	v_cmpx_gt_u32_e32 32, v16
	s_cbranch_execz .LBB351_2027
; %bb.2010:
	s_and_saveexec_b32 s4, vcc_lo
	s_cbranch_execnz .LBB351_2044
; %bb.2011:
	s_or_b32 exec_lo, exec_lo, s4
	s_and_saveexec_b32 s4, vcc_lo
	s_cbranch_execnz .LBB351_2045
.LBB351_2012:
	s_or_b32 exec_lo, exec_lo, s4
	s_and_saveexec_b32 s4, vcc_lo
	s_cbranch_execnz .LBB351_2046
.LBB351_2013:
	s_or_b32 exec_lo, exec_lo, s4
	s_and_saveexec_b32 s4, vcc_lo
	s_cbranch_execnz .LBB351_2047
.LBB351_2014:
	s_or_b32 exec_lo, exec_lo, s4
	s_and_saveexec_b32 s4, vcc_lo
	s_cbranch_execnz .LBB351_2048
.LBB351_2015:
	s_or_b32 exec_lo, exec_lo, s4
	s_and_saveexec_b32 s4, vcc_lo
	s_cbranch_execnz .LBB351_2049
.LBB351_2016:
	s_or_b32 exec_lo, exec_lo, s4
	s_and_saveexec_b32 s4, vcc_lo
	s_cbranch_execnz .LBB351_2050
.LBB351_2017:
	s_or_b32 exec_lo, exec_lo, s4
	s_and_saveexec_b32 s4, vcc_lo
	s_cbranch_execnz .LBB351_2051
.LBB351_2018:
	s_or_b32 exec_lo, exec_lo, s4
	s_and_saveexec_b32 s4, vcc_lo
	s_cbranch_execnz .LBB351_2052
.LBB351_2019:
	s_or_b32 exec_lo, exec_lo, s4
	s_and_saveexec_b32 s4, vcc_lo
	s_cbranch_execnz .LBB351_2053
.LBB351_2020:
	s_or_b32 exec_lo, exec_lo, s4
	s_and_saveexec_b32 s4, vcc_lo
	s_cbranch_execnz .LBB351_2054
.LBB351_2021:
	s_or_b32 exec_lo, exec_lo, s4
	s_and_saveexec_b32 s4, vcc_lo
	s_cbranch_execnz .LBB351_2055
.LBB351_2022:
	s_or_b32 exec_lo, exec_lo, s4
	s_and_saveexec_b32 s4, vcc_lo
	s_cbranch_execnz .LBB351_2056
.LBB351_2023:
	s_or_b32 exec_lo, exec_lo, s4
	s_and_saveexec_b32 s4, vcc_lo
	s_cbranch_execnz .LBB351_2057
.LBB351_2024:
	s_or_b32 exec_lo, exec_lo, s4
	s_and_saveexec_b32 s4, vcc_lo
	s_cbranch_execz .LBB351_2026
.LBB351_2025:
	ds_read_b32 v15, v15 offset:448
	s_waitcnt lgkmcnt(0)
	v_add_f32_e32 v2, v15, v2
.LBB351_2026:
	s_or_b32 exec_lo, exec_lo, s4
.LBB351_2027:
	s_or_b32 exec_lo, exec_lo, s5
	s_mov_b32 s4, exec_lo
	s_barrier
	buffer_gl0_inv
	v_cmpx_eq_u32_e32 0, v17
	s_cbranch_execz .LBB351_2029
; %bb.2028:
	s_clause 0x2
	buffer_load_dword v19, off, s[0:3], s32 offset:804
	buffer_load_dword v15, off, s[0:3], s32 offset:400
	;; [unrolled: 1-line block ×3, first 2 shown]
	s_and_b32 s5, 0xffff, s12
	s_mul_i32 s6, s14, 0x78
	s_cmp_lg_u32 s5, 0
	v_bfe_u32 v16, v14, 16, 1
	s_cselect_b32 s5, -1, 0
	v_or_b32_e32 v17, 0x400000, v14
	s_cmp_lg_u32 s5, 0
	v_bfe_u32 v18, v13, 16, 1
	s_addc_u32 s5, s15, 0
	v_add3_u32 v21, v16, v14, 0x7fff
	s_mul_i32 s7, s5, s10
	s_mul_i32 s10, s16, s5
	;; [unrolled: 1-line block ×3, first 2 shown]
	s_ashr_i32 s11, s10, 31
	s_mulk_i32 s8, 0x78
	s_ashr_i32 s7, s6, 31
	s_ashr_i32 s9, s8, 31
	s_lshl_b64 s[6:7], s[6:7], 1
	s_lshl_b64 s[8:9], s[8:9], 1
	v_add3_u32 v18, v18, v13, 0x7fff
	s_waitcnt vmcnt(2)
	v_add_co_u32 v19, vcc_lo, v19, s8
	s_waitcnt vmcnt(0)
	v_add_co_ci_u32_e64 v20, null, s9, v20, vcc_lo
	s_lshl_b64 s[8:9], s[10:11], 1
	v_lshrrev_b32_e32 v15, 1, v15
	v_add_co_u32 v19, vcc_lo, v19, s8
	v_add_co_ci_u32_e64 v20, null, s9, v20, vcc_lo
	v_add_co_u32 v19, vcc_lo, v19, s6
	v_add_co_ci_u32_e64 v20, null, s7, v20, vcc_lo
	;; [unrolled: 2-line block ×3, first 2 shown]
	v_cmp_u_f32_e32 vcc_lo, v14, v14
	v_or_b32_e32 v19, 0x400000, v13
	v_cndmask_b32_e32 v14, v21, v17, vcc_lo
	v_bfe_u32 v17, v12, 16, 1
	v_cmp_u_f32_e32 vcc_lo, v13, v13
	flat_store_short_d16_hi v[15:16], v14
	v_add3_u32 v14, v17, v12, 0x7fff
	v_cndmask_b32_e32 v13, v18, v19, vcc_lo
	v_bfe_u32 v18, v11, 16, 1
	v_or_b32_e32 v17, 0x400000, v12
	v_cmp_u_f32_e32 vcc_lo, v12, v12
	flat_store_short_d16_hi v[15:16], v13 offset:16
	v_add3_u32 v13, v18, v11, 0x7fff
	v_or_b32_e32 v18, 0x400000, v11
	v_cndmask_b32_e32 v12, v14, v17, vcc_lo
	v_bfe_u32 v14, v10, 16, 1
	v_cmp_u_f32_e32 vcc_lo, v11, v11
	flat_store_short_d16_hi v[15:16], v12 offset:32
	v_add3_u32 v12, v14, v10, 0x7fff
	v_cndmask_b32_e32 v11, v13, v18, vcc_lo
	v_bfe_u32 v13, v9, 16, 1
	v_or_b32_e32 v14, 0x400000, v10
	v_cmp_u_f32_e32 vcc_lo, v10, v10
	flat_store_short_d16_hi v[15:16], v11 offset:48
	v_add3_u32 v11, v13, v9, 0x7fff
	v_or_b32_e32 v13, 0x400000, v9
	v_cndmask_b32_e32 v10, v12, v14, vcc_lo
	v_bfe_u32 v12, v8, 16, 1
	v_cmp_u_f32_e32 vcc_lo, v9, v9
	flat_store_short_d16_hi v[15:16], v10 offset:64
	;; [unrolled: 12-line block ×3, first 2 shown]
	v_add3_u32 v8, v10, v6, 0x7fff
	v_cndmask_b32_e32 v7, v9, v11, vcc_lo
	v_bfe_u32 v9, v5, 16, 1
	v_or_b32_e32 v10, 0x400000, v6
	v_cmp_u_f32_e32 vcc_lo, v6, v6
	flat_store_short_d16_hi v[15:16], v7 offset:112
	v_add3_u32 v7, v9, v5, 0x7fff
	v_or_b32_e32 v9, 0x400000, v5
	v_cndmask_b32_e32 v6, v8, v10, vcc_lo
	v_bfe_u32 v8, v4, 16, 1
	v_cmp_u_f32_e32 vcc_lo, v5, v5
	v_or_b32_e32 v10, 0x400000, v2
	flat_store_short_d16_hi v[15:16], v6 offset:128
	v_add3_u32 v6, v8, v4, 0x7fff
	v_cndmask_b32_e32 v5, v7, v9, vcc_lo
	v_bfe_u32 v7, v3, 16, 1
	v_or_b32_e32 v8, 0x400000, v4
	v_cmp_u_f32_e32 vcc_lo, v4, v4
	v_or_b32_e32 v9, 0x400000, v1
	flat_store_short_d16_hi v[15:16], v5 offset:144
	v_add3_u32 v5, v7, v3, 0x7fff
	v_or_b32_e32 v7, 0x400000, v3
	v_cndmask_b32_e32 v4, v6, v8, vcc_lo
	v_bfe_u32 v6, v0, 16, 1
	v_cmp_u_f32_e32 vcc_lo, v3, v3
	v_bfe_u32 v8, v1, 16, 1
	v_add3_u32 v6, v6, v0, 0x7fff
	v_cndmask_b32_e32 v3, v5, v7, vcc_lo
	v_or_b32_e32 v7, 0x400000, v0
	v_cmp_u_f32_e32 vcc_lo, v0, v0
	v_bfe_u32 v5, v2, 16, 1
	v_add3_u32 v8, v8, v1, 0x7fff
	v_cndmask_b32_e32 v0, v6, v7, vcc_lo
	v_cmp_u_f32_e32 vcc_lo, v1, v1
	v_add3_u32 v5, v5, v2, 0x7fff
	v_cndmask_b32_e32 v1, v8, v9, vcc_lo
	v_cmp_u_f32_e32 vcc_lo, v2, v2
	v_cndmask_b32_e32 v2, v5, v10, vcc_lo
	flat_store_short_d16_hi v[15:16], v4 offset:160
	flat_store_short_d16_hi v[15:16], v3 offset:176
	;; [unrolled: 1-line block ×5, first 2 shown]
.LBB351_2029:
	s_or_b32 exec_lo, exec_lo, s4
	s_clause 0x2f
	buffer_load_dword v127, off, s[0:3], s32
	buffer_load_dword v126, off, s[0:3], s32 offset:4
	buffer_load_dword v125, off, s[0:3], s32 offset:8
	;; [unrolled: 1-line block ×47, first 2 shown]
	s_waitcnt vmcnt(0) lgkmcnt(0)
	s_setpc_b64 s[30:31]
.LBB351_2030:
	ds_read_b32 v17, v15
	s_waitcnt lgkmcnt(0)
	v_add_f32_e32 v14, v17, v14
	s_or_b32 exec_lo, exec_lo, s4
	s_and_saveexec_b32 s4, vcc_lo
	s_cbranch_execz .LBB351_1992
.LBB351_2031:
	ds_read_b32 v17, v15 offset:32
	s_waitcnt lgkmcnt(0)
	v_add_f32_e32 v13, v17, v13
	s_or_b32 exec_lo, exec_lo, s4
	s_and_saveexec_b32 s4, vcc_lo
	s_cbranch_execz .LBB351_1993
.LBB351_2032:
	ds_read_b32 v17, v15 offset:64
	s_waitcnt lgkmcnt(0)
	v_add_f32_e32 v12, v17, v12
	s_or_b32 exec_lo, exec_lo, s4
	s_and_saveexec_b32 s4, vcc_lo
	s_cbranch_execz .LBB351_1994
.LBB351_2033:
	ds_read_b32 v17, v15 offset:96
	s_waitcnt lgkmcnt(0)
	v_add_f32_e32 v11, v17, v11
	s_or_b32 exec_lo, exec_lo, s4
	s_and_saveexec_b32 s4, vcc_lo
	s_cbranch_execz .LBB351_1995
.LBB351_2034:
	ds_read_b32 v17, v15 offset:128
	s_waitcnt lgkmcnt(0)
	v_add_f32_e32 v10, v17, v10
	s_or_b32 exec_lo, exec_lo, s4
	s_and_saveexec_b32 s4, vcc_lo
	s_cbranch_execz .LBB351_1996
.LBB351_2035:
	ds_read_b32 v17, v15 offset:160
	s_waitcnt lgkmcnt(0)
	v_add_f32_e32 v9, v17, v9
	s_or_b32 exec_lo, exec_lo, s4
	s_and_saveexec_b32 s4, vcc_lo
	s_cbranch_execz .LBB351_1997
.LBB351_2036:
	ds_read_b32 v17, v15 offset:192
	s_waitcnt lgkmcnt(0)
	v_add_f32_e32 v8, v17, v8
	s_or_b32 exec_lo, exec_lo, s4
	s_and_saveexec_b32 s4, vcc_lo
	s_cbranch_execz .LBB351_1998
.LBB351_2037:
	ds_read_b32 v17, v15 offset:224
	s_waitcnt lgkmcnt(0)
	v_add_f32_e32 v7, v17, v7
	s_or_b32 exec_lo, exec_lo, s4
	s_and_saveexec_b32 s4, vcc_lo
	s_cbranch_execz .LBB351_1999
.LBB351_2038:
	ds_read_b32 v17, v15 offset:256
	s_waitcnt lgkmcnt(0)
	v_add_f32_e32 v6, v17, v6
	s_or_b32 exec_lo, exec_lo, s4
	s_and_saveexec_b32 s4, vcc_lo
	s_cbranch_execz .LBB351_2000
.LBB351_2039:
	ds_read_b32 v17, v15 offset:288
	s_waitcnt lgkmcnt(0)
	v_add_f32_e32 v5, v17, v5
	s_or_b32 exec_lo, exec_lo, s4
	s_and_saveexec_b32 s4, vcc_lo
	s_cbranch_execz .LBB351_2001
.LBB351_2040:
	ds_read_b32 v17, v15 offset:320
	s_waitcnt lgkmcnt(0)
	v_add_f32_e32 v4, v17, v4
	s_or_b32 exec_lo, exec_lo, s4
	s_and_saveexec_b32 s4, vcc_lo
	s_cbranch_execz .LBB351_2002
.LBB351_2041:
	ds_read_b32 v17, v15 offset:352
	s_waitcnt lgkmcnt(0)
	v_add_f32_e32 v3, v17, v3
	s_or_b32 exec_lo, exec_lo, s4
	s_and_saveexec_b32 s4, vcc_lo
	s_cbranch_execz .LBB351_2003
.LBB351_2042:
	ds_read_b32 v17, v15 offset:384
	s_waitcnt lgkmcnt(0)
	v_add_f32_e32 v0, v17, v0
	s_or_b32 exec_lo, exec_lo, s4
	s_and_saveexec_b32 s4, vcc_lo
	s_cbranch_execz .LBB351_2004
.LBB351_2043:
	ds_read_b32 v17, v15 offset:416
	s_waitcnt lgkmcnt(0)
	v_add_f32_e32 v1, v17, v1
	s_or_b32 exec_lo, exec_lo, s4
	s_and_saveexec_b32 s4, vcc_lo
	s_cbranch_execnz .LBB351_2005
	s_branch .LBB351_2006
.LBB351_2044:
	ds_read_b32 v16, v15
	s_waitcnt lgkmcnt(0)
	v_add_f32_e32 v14, v16, v14
	s_or_b32 exec_lo, exec_lo, s4
	s_and_saveexec_b32 s4, vcc_lo
	s_cbranch_execz .LBB351_2012
.LBB351_2045:
	ds_read_b32 v16, v15 offset:32
	s_waitcnt lgkmcnt(0)
	v_add_f32_e32 v13, v16, v13
	s_or_b32 exec_lo, exec_lo, s4
	s_and_saveexec_b32 s4, vcc_lo
	s_cbranch_execz .LBB351_2013
.LBB351_2046:
	ds_read_b32 v16, v15 offset:64
	s_waitcnt lgkmcnt(0)
	v_add_f32_e32 v12, v16, v12
	s_or_b32 exec_lo, exec_lo, s4
	s_and_saveexec_b32 s4, vcc_lo
	s_cbranch_execz .LBB351_2014
.LBB351_2047:
	ds_read_b32 v16, v15 offset:96
	s_waitcnt lgkmcnt(0)
	v_add_f32_e32 v11, v16, v11
	s_or_b32 exec_lo, exec_lo, s4
	s_and_saveexec_b32 s4, vcc_lo
	s_cbranch_execz .LBB351_2015
.LBB351_2048:
	ds_read_b32 v16, v15 offset:128
	s_waitcnt lgkmcnt(0)
	v_add_f32_e32 v10, v16, v10
	s_or_b32 exec_lo, exec_lo, s4
	s_and_saveexec_b32 s4, vcc_lo
	s_cbranch_execz .LBB351_2016
.LBB351_2049:
	ds_read_b32 v16, v15 offset:160
	s_waitcnt lgkmcnt(0)
	v_add_f32_e32 v9, v16, v9
	s_or_b32 exec_lo, exec_lo, s4
	s_and_saveexec_b32 s4, vcc_lo
	s_cbranch_execz .LBB351_2017
.LBB351_2050:
	ds_read_b32 v16, v15 offset:192
	s_waitcnt lgkmcnt(0)
	v_add_f32_e32 v8, v16, v8
	s_or_b32 exec_lo, exec_lo, s4
	s_and_saveexec_b32 s4, vcc_lo
	s_cbranch_execz .LBB351_2018
.LBB351_2051:
	ds_read_b32 v16, v15 offset:224
	s_waitcnt lgkmcnt(0)
	v_add_f32_e32 v7, v16, v7
	s_or_b32 exec_lo, exec_lo, s4
	s_and_saveexec_b32 s4, vcc_lo
	s_cbranch_execz .LBB351_2019
.LBB351_2052:
	ds_read_b32 v16, v15 offset:256
	s_waitcnt lgkmcnt(0)
	v_add_f32_e32 v6, v16, v6
	s_or_b32 exec_lo, exec_lo, s4
	s_and_saveexec_b32 s4, vcc_lo
	s_cbranch_execz .LBB351_2020
.LBB351_2053:
	ds_read_b32 v16, v15 offset:288
	s_waitcnt lgkmcnt(0)
	v_add_f32_e32 v5, v16, v5
	s_or_b32 exec_lo, exec_lo, s4
	s_and_saveexec_b32 s4, vcc_lo
	s_cbranch_execz .LBB351_2021
.LBB351_2054:
	ds_read_b32 v16, v15 offset:320
	s_waitcnt lgkmcnt(0)
	v_add_f32_e32 v4, v16, v4
	s_or_b32 exec_lo, exec_lo, s4
	s_and_saveexec_b32 s4, vcc_lo
	s_cbranch_execz .LBB351_2022
.LBB351_2055:
	ds_read_b32 v16, v15 offset:352
	s_waitcnt lgkmcnt(0)
	v_add_f32_e32 v3, v16, v3
	s_or_b32 exec_lo, exec_lo, s4
	s_and_saveexec_b32 s4, vcc_lo
	s_cbranch_execz .LBB351_2023
.LBB351_2056:
	ds_read_b32 v16, v15 offset:384
	s_waitcnt lgkmcnt(0)
	v_add_f32_e32 v0, v16, v0
	s_or_b32 exec_lo, exec_lo, s4
	s_and_saveexec_b32 s4, vcc_lo
	s_cbranch_execz .LBB351_2024
.LBB351_2057:
	ds_read_b32 v16, v15 offset:416
	s_waitcnt lgkmcnt(0)
	v_add_f32_e32 v1, v16, v1
	s_or_b32 exec_lo, exec_lo, s4
	s_and_saveexec_b32 s4, vcc_lo
	s_cbranch_execnz .LBB351_2025
	s_branch .LBB351_2026
.Lfunc_end351:
	.size	_ZN4vllm22paged_attention_kernelI14__hip_bfloat16hLi120ELi32ELi128ELNS_18Fp8KVCacheDataTypeE1ELb1ELi0EEEvPfS3_PT_PKS4_PKT0_SA_ifPKiSC_iPKfiiiSE_SE_iiiii, .Lfunc_end351-_ZN4vllm22paged_attention_kernelI14__hip_bfloat16hLi120ELi32ELi128ELNS_18Fp8KVCacheDataTypeE1ELb1ELi0EEEvPfS3_PT_PKS4_PKT0_SA_ifPKiSC_iPKfiiiSE_SE_iiiii
                                        ; -- End function
	.set .L_ZN4vllm22paged_attention_kernelI14__hip_bfloat16hLi120ELi32ELi128ELNS_18Fp8KVCacheDataTypeE1ELb1ELi0EEEvPfS3_PT_PKS4_PKT0_SA_ifPKiSC_iPKfiiiSE_SE_iiiii.num_vgpr, 128
	.set .L_ZN4vllm22paged_attention_kernelI14__hip_bfloat16hLi120ELi32ELi128ELNS_18Fp8KVCacheDataTypeE1ELb1ELi0EEEvPfS3_PT_PKS4_PKT0_SA_ifPKiSC_iPKfiiiSE_SE_iiiii.num_agpr, 0
	.set .L_ZN4vllm22paged_attention_kernelI14__hip_bfloat16hLi120ELi32ELi128ELNS_18Fp8KVCacheDataTypeE1ELb1ELi0EEEvPfS3_PT_PKS4_PKT0_SA_ifPKiSC_iPKfiiiSE_SE_iiiii.numbered_sgpr, 33
	.set .L_ZN4vllm22paged_attention_kernelI14__hip_bfloat16hLi120ELi32ELi128ELNS_18Fp8KVCacheDataTypeE1ELb1ELi0EEEvPfS3_PT_PKS4_PKT0_SA_ifPKiSC_iPKfiiiSE_SE_iiiii.num_named_barrier, 0
	.set .L_ZN4vllm22paged_attention_kernelI14__hip_bfloat16hLi120ELi32ELi128ELNS_18Fp8KVCacheDataTypeE1ELb1ELi0EEEvPfS3_PT_PKS4_PKT0_SA_ifPKiSC_iPKfiiiSE_SE_iiiii.private_seg_size, 864
	.set .L_ZN4vllm22paged_attention_kernelI14__hip_bfloat16hLi120ELi32ELi128ELNS_18Fp8KVCacheDataTypeE1ELb1ELi0EEEvPfS3_PT_PKS4_PKT0_SA_ifPKiSC_iPKfiiiSE_SE_iiiii.uses_vcc, 1
	.set .L_ZN4vllm22paged_attention_kernelI14__hip_bfloat16hLi120ELi32ELi128ELNS_18Fp8KVCacheDataTypeE1ELb1ELi0EEEvPfS3_PT_PKS4_PKT0_SA_ifPKiSC_iPKfiiiSE_SE_iiiii.uses_flat_scratch, 0
	.set .L_ZN4vllm22paged_attention_kernelI14__hip_bfloat16hLi120ELi32ELi128ELNS_18Fp8KVCacheDataTypeE1ELb1ELi0EEEvPfS3_PT_PKS4_PKT0_SA_ifPKiSC_iPKfiiiSE_SE_iiiii.has_dyn_sized_stack, 0
	.set .L_ZN4vllm22paged_attention_kernelI14__hip_bfloat16hLi120ELi32ELi128ELNS_18Fp8KVCacheDataTypeE1ELb1ELi0EEEvPfS3_PT_PKS4_PKT0_SA_ifPKiSC_iPKfiiiSE_SE_iiiii.has_recursion, 0
	.set .L_ZN4vllm22paged_attention_kernelI14__hip_bfloat16hLi120ELi32ELi128ELNS_18Fp8KVCacheDataTypeE1ELb1ELi0EEEvPfS3_PT_PKS4_PKT0_SA_ifPKiSC_iPKfiiiSE_SE_iiiii.has_indirect_call, 0
	.section	.AMDGPU.csdata,"",@progbits
; Function info:
; codeLenInByte = 81996
; TotalNumSgprs: 35
; NumVgprs: 128
; ScratchSize: 864
; MemoryBound: 0
	.section	.text._ZN4vllm25paged_attention_v1_kernelI14__hip_bfloat16hLi120ELi32ELi128ELNS_18Fp8KVCacheDataTypeE1ELb1EEEvPT_PKS3_PKT0_S9_ifPKiSB_iPKfiiiSD_SD_iiiii,"axG",@progbits,_ZN4vllm25paged_attention_v1_kernelI14__hip_bfloat16hLi120ELi32ELi128ELNS_18Fp8KVCacheDataTypeE1ELb1EEEvPT_PKS3_PKT0_S9_ifPKiSB_iPKfiiiSD_SD_iiiii,comdat
	.protected	_ZN4vllm25paged_attention_v1_kernelI14__hip_bfloat16hLi120ELi32ELi128ELNS_18Fp8KVCacheDataTypeE1ELb1EEEvPT_PKS3_PKT0_S9_ifPKiSB_iPKfiiiSD_SD_iiiii ; -- Begin function _ZN4vllm25paged_attention_v1_kernelI14__hip_bfloat16hLi120ELi32ELi128ELNS_18Fp8KVCacheDataTypeE1ELb1EEEvPT_PKS3_PKT0_S9_ifPKiSB_iPKfiiiSD_SD_iiiii
	.globl	_ZN4vllm25paged_attention_v1_kernelI14__hip_bfloat16hLi120ELi32ELi128ELNS_18Fp8KVCacheDataTypeE1ELb1EEEvPT_PKS3_PKT0_S9_ifPKiSB_iPKfiiiSD_SD_iiiii
	.p2align	8
	.type	_ZN4vllm25paged_attention_v1_kernelI14__hip_bfloat16hLi120ELi32ELi128ELNS_18Fp8KVCacheDataTypeE1ELb1EEEvPT_PKS3_PKT0_S9_ifPKiSB_iPKfiiiSD_SD_iiiii,@function
_ZN4vllm25paged_attention_v1_kernelI14__hip_bfloat16hLi120ELi32ELi128ELNS_18Fp8KVCacheDataTypeE1ELb1EEEvPT_PKS3_PKT0_S9_ifPKiSB_iPKfiiiSD_SD_iiiii: ; @_ZN4vllm25paged_attention_v1_kernelI14__hip_bfloat16hLi120ELi32ELi128ELNS_18Fp8KVCacheDataTypeE1ELb1EEEvPT_PKS3_PKT0_S9_ifPKiSB_iPKfiiiSD_SD_iiiii
; %bb.0:
	s_clause 0x7
	s_load_dwordx8 s[16:23], s[4:5], 0x0
	s_load_dwordx4 s[36:39], s[4:5], 0x20
	s_load_dwordx2 s[10:11], s[4:5], 0x30
	s_load_dword s13, s[4:5], 0x38
	s_load_dwordx2 s[34:35], s[4:5], 0x40
	s_load_dwordx8 s[24:31], s[4:5], 0x48
	s_load_dword s15, s[4:5], 0x78
	s_load_dwordx4 s[40:43], s[4:5], 0x68
	s_add_u32 s0, s0, s9
	s_addc_u32 s1, s1, 0
	v_mov_b32_e32 v31, v0
	s_mov_b32 s14, s8
	s_add_u32 s8, s4, 0x80
	s_addc_u32 s9, s5, 0
	s_getpc_b64 s[4:5]
	s_add_u32 s4, s4, _ZN4vllm22paged_attention_kernelI14__hip_bfloat16hLi120ELi32ELi128ELNS_18Fp8KVCacheDataTypeE1ELb1ELi0EEEvPfS3_PT_PKS4_PKT0_SA_ifPKiSC_iPKfiiiSE_SE_iiiii@rel32@lo+4
	s_addc_u32 s5, s5, _ZN4vllm22paged_attention_kernelI14__hip_bfloat16hLi120ELi32ELi128ELNS_18Fp8KVCacheDataTypeE1ELb1ELi0EEEvPfS3_PT_PKS4_PKT0_SA_ifPKiSC_iPKfiiiSE_SE_iiiii@rel32@hi+12
	s_mov_b32 s12, s6
	s_mov_b32 s32, 0
	s_waitcnt lgkmcnt(0)
	v_mov_b32_e32 v0, s16
	v_mov_b32_e32 v1, s17
	v_mov_b32_e32 v2, s18
	v_mov_b32_e32 v3, s19
	v_mov_b32_e32 v4, s20
	v_mov_b32_e32 v5, s21
	v_mov_b32_e32 v6, s22
	v_mov_b32_e32 v7, s23
	v_mov_b32_e32 v8, s36
	v_mov_b32_e32 v9, s37
	v_mov_b32_e32 v10, s38
	v_mov_b32_e32 v11, s39
	v_mov_b32_e32 v12, s10
	v_mov_b32_e32 v13, s11
	v_mov_b32_e32 v14, s13
	v_mov_b32_e32 v15, s34
	v_mov_b32_e32 v16, s35
	v_mov_b32_e32 v17, s24
	v_mov_b32_e32 v18, s25
	v_mov_b32_e32 v19, s26
	v_mov_b32_e32 v20, s28
	v_mov_b32_e32 v21, s29
	v_mov_b32_e32 v22, s30
	v_mov_b32_e32 v23, s31
	v_mov_b32_e32 v24, s40
	v_mov_b32_e32 v25, s41
	v_mov_b32_e32 v26, s42
	v_mov_b32_e32 v27, s43
	v_mov_b32_e32 v28, s15
	s_mov_b32 s13, s7
	s_mov_b32 s15, 3
	s_swappc_b64 s[30:31], s[4:5]
	s_endpgm
	.section	.rodata,"a",@progbits
	.p2align	6, 0x0
	.amdhsa_kernel _ZN4vllm25paged_attention_v1_kernelI14__hip_bfloat16hLi120ELi32ELi128ELNS_18Fp8KVCacheDataTypeE1ELb1EEEvPT_PKS3_PKT0_S9_ifPKiSB_iPKfiiiSD_SD_iiiii
		.amdhsa_group_segment_fixed_size 272
		.amdhsa_private_segment_fixed_size 864
		.amdhsa_kernarg_size 384
		.amdhsa_user_sgpr_count 6
		.amdhsa_user_sgpr_private_segment_buffer 1
		.amdhsa_user_sgpr_dispatch_ptr 0
		.amdhsa_user_sgpr_queue_ptr 0
		.amdhsa_user_sgpr_kernarg_segment_ptr 1
		.amdhsa_user_sgpr_dispatch_id 0
		.amdhsa_user_sgpr_flat_scratch_init 0
		.amdhsa_user_sgpr_private_segment_size 0
		.amdhsa_wavefront_size32 1
		.amdhsa_uses_dynamic_stack 0
		.amdhsa_system_sgpr_private_segment_wavefront_offset 1
		.amdhsa_system_sgpr_workgroup_id_x 1
		.amdhsa_system_sgpr_workgroup_id_y 1
		.amdhsa_system_sgpr_workgroup_id_z 1
		.amdhsa_system_sgpr_workgroup_info 0
		.amdhsa_system_vgpr_workitem_id 0
		.amdhsa_next_free_vgpr 128
		.amdhsa_next_free_sgpr 44
		.amdhsa_reserve_vcc 1
		.amdhsa_reserve_flat_scratch 0
		.amdhsa_float_round_mode_32 0
		.amdhsa_float_round_mode_16_64 0
		.amdhsa_float_denorm_mode_32 3
		.amdhsa_float_denorm_mode_16_64 3
		.amdhsa_dx10_clamp 1
		.amdhsa_ieee_mode 1
		.amdhsa_fp16_overflow 0
		.amdhsa_workgroup_processor_mode 1
		.amdhsa_memory_ordered 1
		.amdhsa_forward_progress 1
		.amdhsa_shared_vgpr_count 0
		.amdhsa_exception_fp_ieee_invalid_op 0
		.amdhsa_exception_fp_denorm_src 0
		.amdhsa_exception_fp_ieee_div_zero 0
		.amdhsa_exception_fp_ieee_overflow 0
		.amdhsa_exception_fp_ieee_underflow 0
		.amdhsa_exception_fp_ieee_inexact 0
		.amdhsa_exception_int_div_zero 0
	.end_amdhsa_kernel
	.section	.text._ZN4vllm25paged_attention_v1_kernelI14__hip_bfloat16hLi120ELi32ELi128ELNS_18Fp8KVCacheDataTypeE1ELb1EEEvPT_PKS3_PKT0_S9_ifPKiSB_iPKfiiiSD_SD_iiiii,"axG",@progbits,_ZN4vllm25paged_attention_v1_kernelI14__hip_bfloat16hLi120ELi32ELi128ELNS_18Fp8KVCacheDataTypeE1ELb1EEEvPT_PKS3_PKT0_S9_ifPKiSB_iPKfiiiSD_SD_iiiii,comdat
.Lfunc_end352:
	.size	_ZN4vllm25paged_attention_v1_kernelI14__hip_bfloat16hLi120ELi32ELi128ELNS_18Fp8KVCacheDataTypeE1ELb1EEEvPT_PKS3_PKT0_S9_ifPKiSB_iPKfiiiSD_SD_iiiii, .Lfunc_end352-_ZN4vllm25paged_attention_v1_kernelI14__hip_bfloat16hLi120ELi32ELi128ELNS_18Fp8KVCacheDataTypeE1ELb1EEEvPT_PKS3_PKT0_S9_ifPKiSB_iPKfiiiSD_SD_iiiii
                                        ; -- End function
	.set _ZN4vllm25paged_attention_v1_kernelI14__hip_bfloat16hLi120ELi32ELi128ELNS_18Fp8KVCacheDataTypeE1ELb1EEEvPT_PKS3_PKT0_S9_ifPKiSB_iPKfiiiSD_SD_iiiii.num_vgpr, max(32, .L_ZN4vllm22paged_attention_kernelI14__hip_bfloat16hLi120ELi32ELi128ELNS_18Fp8KVCacheDataTypeE1ELb1ELi0EEEvPfS3_PT_PKS4_PKT0_SA_ifPKiSC_iPKfiiiSE_SE_iiiii.num_vgpr)
	.set _ZN4vllm25paged_attention_v1_kernelI14__hip_bfloat16hLi120ELi32ELi128ELNS_18Fp8KVCacheDataTypeE1ELb1EEEvPT_PKS3_PKT0_S9_ifPKiSB_iPKfiiiSD_SD_iiiii.num_agpr, max(0, .L_ZN4vllm22paged_attention_kernelI14__hip_bfloat16hLi120ELi32ELi128ELNS_18Fp8KVCacheDataTypeE1ELb1ELi0EEEvPfS3_PT_PKS4_PKT0_SA_ifPKiSC_iPKfiiiSE_SE_iiiii.num_agpr)
	.set _ZN4vllm25paged_attention_v1_kernelI14__hip_bfloat16hLi120ELi32ELi128ELNS_18Fp8KVCacheDataTypeE1ELb1EEEvPT_PKS3_PKT0_S9_ifPKiSB_iPKfiiiSD_SD_iiiii.numbered_sgpr, max(44, .L_ZN4vllm22paged_attention_kernelI14__hip_bfloat16hLi120ELi32ELi128ELNS_18Fp8KVCacheDataTypeE1ELb1ELi0EEEvPfS3_PT_PKS4_PKT0_SA_ifPKiSC_iPKfiiiSE_SE_iiiii.numbered_sgpr)
	.set _ZN4vllm25paged_attention_v1_kernelI14__hip_bfloat16hLi120ELi32ELi128ELNS_18Fp8KVCacheDataTypeE1ELb1EEEvPT_PKS3_PKT0_S9_ifPKiSB_iPKfiiiSD_SD_iiiii.num_named_barrier, max(0, .L_ZN4vllm22paged_attention_kernelI14__hip_bfloat16hLi120ELi32ELi128ELNS_18Fp8KVCacheDataTypeE1ELb1ELi0EEEvPfS3_PT_PKS4_PKT0_SA_ifPKiSC_iPKfiiiSE_SE_iiiii.num_named_barrier)
	.set _ZN4vllm25paged_attention_v1_kernelI14__hip_bfloat16hLi120ELi32ELi128ELNS_18Fp8KVCacheDataTypeE1ELb1EEEvPT_PKS3_PKT0_S9_ifPKiSB_iPKfiiiSD_SD_iiiii.private_seg_size, 0+max(.L_ZN4vllm22paged_attention_kernelI14__hip_bfloat16hLi120ELi32ELi128ELNS_18Fp8KVCacheDataTypeE1ELb1ELi0EEEvPfS3_PT_PKS4_PKT0_SA_ifPKiSC_iPKfiiiSE_SE_iiiii.private_seg_size)
	.set _ZN4vllm25paged_attention_v1_kernelI14__hip_bfloat16hLi120ELi32ELi128ELNS_18Fp8KVCacheDataTypeE1ELb1EEEvPT_PKS3_PKT0_S9_ifPKiSB_iPKfiiiSD_SD_iiiii.uses_vcc, or(1, .L_ZN4vllm22paged_attention_kernelI14__hip_bfloat16hLi120ELi32ELi128ELNS_18Fp8KVCacheDataTypeE1ELb1ELi0EEEvPfS3_PT_PKS4_PKT0_SA_ifPKiSC_iPKfiiiSE_SE_iiiii.uses_vcc)
	.set _ZN4vllm25paged_attention_v1_kernelI14__hip_bfloat16hLi120ELi32ELi128ELNS_18Fp8KVCacheDataTypeE1ELb1EEEvPT_PKS3_PKT0_S9_ifPKiSB_iPKfiiiSD_SD_iiiii.uses_flat_scratch, or(0, .L_ZN4vllm22paged_attention_kernelI14__hip_bfloat16hLi120ELi32ELi128ELNS_18Fp8KVCacheDataTypeE1ELb1ELi0EEEvPfS3_PT_PKS4_PKT0_SA_ifPKiSC_iPKfiiiSE_SE_iiiii.uses_flat_scratch)
	.set _ZN4vllm25paged_attention_v1_kernelI14__hip_bfloat16hLi120ELi32ELi128ELNS_18Fp8KVCacheDataTypeE1ELb1EEEvPT_PKS3_PKT0_S9_ifPKiSB_iPKfiiiSD_SD_iiiii.has_dyn_sized_stack, or(0, .L_ZN4vllm22paged_attention_kernelI14__hip_bfloat16hLi120ELi32ELi128ELNS_18Fp8KVCacheDataTypeE1ELb1ELi0EEEvPfS3_PT_PKS4_PKT0_SA_ifPKiSC_iPKfiiiSE_SE_iiiii.has_dyn_sized_stack)
	.set _ZN4vllm25paged_attention_v1_kernelI14__hip_bfloat16hLi120ELi32ELi128ELNS_18Fp8KVCacheDataTypeE1ELb1EEEvPT_PKS3_PKT0_S9_ifPKiSB_iPKfiiiSD_SD_iiiii.has_recursion, or(0, .L_ZN4vllm22paged_attention_kernelI14__hip_bfloat16hLi120ELi32ELi128ELNS_18Fp8KVCacheDataTypeE1ELb1ELi0EEEvPfS3_PT_PKS4_PKT0_SA_ifPKiSC_iPKfiiiSE_SE_iiiii.has_recursion)
	.set _ZN4vllm25paged_attention_v1_kernelI14__hip_bfloat16hLi120ELi32ELi128ELNS_18Fp8KVCacheDataTypeE1ELb1EEEvPT_PKS3_PKT0_S9_ifPKiSB_iPKfiiiSD_SD_iiiii.has_indirect_call, or(0, .L_ZN4vllm22paged_attention_kernelI14__hip_bfloat16hLi120ELi32ELi128ELNS_18Fp8KVCacheDataTypeE1ELb1ELi0EEEvPfS3_PT_PKS4_PKT0_SA_ifPKiSC_iPKfiiiSE_SE_iiiii.has_indirect_call)
	.section	.AMDGPU.csdata,"",@progbits
; Kernel info:
; codeLenInByte = 260
; TotalNumSgprs: 46
; NumVgprs: 128
; ScratchSize: 864
; MemoryBound: 0
; FloatMode: 240
; IeeeMode: 1
; LDSByteSize: 272 bytes/workgroup (compile time only)
; SGPRBlocks: 0
; VGPRBlocks: 15
; NumSGPRsForWavesPerEU: 46
; NumVGPRsForWavesPerEU: 128
; Occupancy: 8
; WaveLimiterHint : 1
; COMPUTE_PGM_RSRC2:SCRATCH_EN: 1
; COMPUTE_PGM_RSRC2:USER_SGPR: 6
; COMPUTE_PGM_RSRC2:TRAP_HANDLER: 0
; COMPUTE_PGM_RSRC2:TGID_X_EN: 1
; COMPUTE_PGM_RSRC2:TGID_Y_EN: 1
; COMPUTE_PGM_RSRC2:TGID_Z_EN: 1
; COMPUTE_PGM_RSRC2:TIDIG_COMP_CNT: 0
	.text
	.p2align	2                               ; -- Begin function _ZN4vllm22paged_attention_kernelI14__hip_bfloat16hLi128ELi32ELi128ELNS_18Fp8KVCacheDataTypeE1ELb1ELi0EEEvPfS3_PT_PKS4_PKT0_SA_ifPKiSC_iPKfiiiSE_SE_iiiii
	.type	_ZN4vllm22paged_attention_kernelI14__hip_bfloat16hLi128ELi32ELi128ELNS_18Fp8KVCacheDataTypeE1ELb1ELi0EEEvPfS3_PT_PKS4_PKT0_SA_ifPKiSC_iPKfiiiSE_SE_iiiii,@function
_ZN4vllm22paged_attention_kernelI14__hip_bfloat16hLi128ELi32ELi128ELNS_18Fp8KVCacheDataTypeE1ELb1ELi0EEEvPfS3_PT_PKS4_PKT0_SA_ifPKiSC_iPKfiiiSE_SE_iiiii: ; @_ZN4vllm22paged_attention_kernelI14__hip_bfloat16hLi128ELi32ELi128ELNS_18Fp8KVCacheDataTypeE1ELb1ELi0EEEvPfS3_PT_PKS4_PKT0_SA_ifPKiSC_iPKfiiiSE_SE_iiiii
; %bb.0:
	s_waitcnt vmcnt(0) expcnt(0) lgkmcnt(0)
	buffer_store_dword v40, off, s[0:3], s32 offset:188 ; 4-byte Folded Spill
	buffer_store_dword v41, off, s[0:3], s32 offset:184 ; 4-byte Folded Spill
	;; [unrolled: 1-line block ×47, first 2 shown]
	buffer_store_dword v127, off, s[0:3], s32 ; 4-byte Folded Spill
	s_mov_b32 s10, s13
	s_ashr_i32 s11, s13, 31
	buffer_store_dword v22, off, s[0:3], s32 offset:436 ; 4-byte Folded Spill
	buffer_store_dword v23, off, s[0:3], s32 offset:440 ; 4-byte Folded Spill
	;; [unrolled: 1-line block ×6, first 2 shown]
	s_lshl_b64 s[6:7], s[10:11], 2
	buffer_store_dword v1, off, s[0:3], s32 offset:912 ; 4-byte Folded Spill
	buffer_store_dword v0, off, s[0:3], s32 offset:916 ; 4-byte Folded Spill
	v_add_co_u32 v0, vcc_lo, v12, s6
	v_add_co_ci_u32_e64 v1, null, s7, v13, vcc_lo
	s_clause 0x1
	s_load_dword s5, s[8:9], 0x10
	s_load_dword s6, s[8:9], 0x0
	v_mov_b32_e32 v35, v6
	flat_load_dword v32, v[0:1]
	v_sub_nc_u32_e32 v0, 0, v8
	v_mov_b32_e32 v33, v7
	s_mov_b32 s4, s15
	v_max_i32_e32 v0, v8, v0
	v_cvt_f32_u32_e32 v1, v0
	v_sub_nc_u32_e32 v6, 0, v0
	v_rcp_iflag_f32_e32 v1, v1
	s_waitcnt lgkmcnt(0)
	s_lshr_b32 s5, s5, 16
	s_cmp_lg_u32 s5, 0
	s_cselect_b32 s5, -1, 0
	s_cmp_lg_u32 s5, 0
	s_addc_u32 s11, s6, 0
	v_mul_f32_e32 v1, 0x4f7ffffe, v1
	s_abs_i32 s5, s11
	s_mov_b32 s6, exec_lo
	v_cvt_u32_f32_e32 v1, v1
	v_mul_lo_u32 v6, v6, v1
	v_mul_hi_u32 v6, v1, v6
	v_add_nc_u32_e32 v1, v1, v6
	v_mul_hi_u32 v1, s5, v1
	v_mul_lo_u32 v6, v1, v0
	v_add_nc_u32_e32 v7, 1, v1
	v_sub_nc_u32_e32 v6, s5, v6
	s_abs_i32 s5, s12
	v_sub_nc_u32_e32 v9, v6, v0
	v_cmp_ge_u32_e32 vcc_lo, v6, v0
	v_cndmask_b32_e32 v1, v1, v7, vcc_lo
	v_cndmask_b32_e32 v6, v6, v9, vcc_lo
	v_xor_b32_e32 v7, s11, v8
	v_add_nc_u32_e32 v9, 1, v1
	v_cmp_ge_u32_e32 vcc_lo, v6, v0
	v_ashrrev_i32_e32 v7, 31, v7
	v_cndmask_b32_e32 v0, v1, v9, vcc_lo
	v_xor_b32_e32 v0, v0, v7
	v_sub_nc_u32_e32 v1, v0, v7
	v_sub_nc_u32_e32 v0, 0, v1
	v_max_i32_e32 v0, v1, v0
	v_cvt_f32_u32_e32 v6, v0
	v_sub_nc_u32_e32 v7, 0, v0
	v_rcp_iflag_f32_e32 v6, v6
	v_mul_f32_e32 v6, 0x4f7ffffe, v6
	v_cvt_u32_f32_e32 v6, v6
	v_mul_lo_u32 v7, v7, v6
	v_mul_hi_u32 v7, v6, v7
	v_add_nc_u32_e32 v6, v6, v7
	v_mad_u64_u32 v[12:13], null, s5, v6, 0
	v_mov_b32_e32 v6, 0
	buffer_store_dword v6, off, s[0:3], s32 offset:344 ; 4-byte Folded Spill
	v_cmpx_ne_u64_e32 0, v[15:16]
	s_cbranch_execz .LBB353_2
; %bb.1:
	s_ashr_i32 s13, s12, 31
	s_lshl_b64 s[16:17], s[12:13], 2
	v_add_co_u32 v6, vcc_lo, v15, s16
	v_add_co_ci_u32_e64 v7, null, s17, v16, vcc_lo
	flat_load_dword v6, v[6:7]
	s_waitcnt vmcnt(0) lgkmcnt(0)
	buffer_store_dword v6, off, s[0:3], s32 offset:344 ; 4-byte Folded Spill
.LBB353_2:
	s_or_b32 exec_lo, exec_lo, s6
	v_and_b32_e32 v6, 0x3ff, v31
	v_ashrrev_i32_e32 v1, 31, v1
	s_ashr_i32 s6, s12, 31
	s_lshl_b32 s16, s12, 7
	s_mov_b32 s7, exec_lo
	buffer_store_dword v6, off, s[0:3], s32 offset:432 ; 4-byte Folded Spill
	v_cmpx_gt_u32_e32 16, v6
	s_cbranch_execz .LBB353_4
; %bb.3:
	buffer_load_dword v9, off, s[0:3], s32 offset:432 ; 4-byte Folded Reload
	v_mul_lo_u32 v6, v17, s10
	s_ashr_i32 s17, s16, 31
	s_lshl_b64 s[18:19], s[16:17], 1
	v_ashrrev_i32_e32 v7, 31, v6
	v_lshlrev_b64 v[6:7], 1, v[6:7]
	v_add_co_u32 v2, vcc_lo, v2, v6
	v_add_co_ci_u32_e64 v3, null, v3, v7, vcc_lo
	v_add_co_u32 v2, vcc_lo, v2, s18
	v_add_co_ci_u32_e64 v3, null, s19, v3, vcc_lo
	s_waitcnt vmcnt(0)
	v_lshlrev_b32_e32 v15, 4, v9
	v_add_co_u32 v2, vcc_lo, v2, v15
	v_add_co_ci_u32_e64 v3, null, 0, v3, vcc_lo
	flat_load_dwordx4 v[20:23], v[2:3]
	s_waitcnt vmcnt(0) lgkmcnt(0)
	ds_write_b128 v15, v[20:23]
.LBB353_4:
	s_or_b32 exec_lo, exec_lo, s7
	v_sub_nc_u32_e32 v2, 0, v27
	v_mul_lo_u32 v3, v13, v0
	v_add_nc_u32_e32 v7, 1, v13
	v_xor_b32_e32 v1, s6, v1
	v_max_i32_e32 v6, v27, v2
	v_sub_nc_u32_e32 v3, s5, v3
	v_cvt_f32_u32_e32 v2, v6
	buffer_store_dword v6, off, s[0:3], s32 offset:196 ; 4-byte Folded Spill
	v_sub_nc_u32_e32 v6, 0, v6
	s_mov_b32 s5, exec_lo
	v_sub_nc_u32_e32 v9, v3, v0
	v_rcp_iflag_f32_e32 v2, v2
	v_cmp_ge_u32_e32 vcc_lo, v3, v0
	v_cndmask_b32_e32 v7, v13, v7, vcc_lo
	v_cndmask_b32_e32 v3, v3, v9, vcc_lo
	v_mul_f32_e32 v2, 0x4f7ffffe, v2
	v_add_nc_u32_e32 v9, 1, v7
	v_cmp_ge_u32_e32 vcc_lo, v3, v0
	v_cvt_u32_f32_e32 v2, v2
	v_cndmask_b32_e32 v3, v7, v9, vcc_lo
	v_mul_lo_u32 v12, v6, v2
	s_waitcnt vmcnt(0)
	v_add_nc_u32_e32 v6, -1, v32
	v_xor_b32_e32 v7, v3, v1
	v_mul_hi_u32 v13, v2, v12
	v_sub_nc_u32_e32 v12, 0, v6
	v_max_i32_e32 v0, v6, v12
	v_add_nc_u32_e32 v2, v2, v13
	buffer_store_dword v2, off, s[0:3], s32 offset:212 ; 4-byte Folded Spill
	v_mad_u64_u32 v[2:3], null, v0, v2, 0
	v_sub_nc_u32_e32 v2, v7, v1
                                        ; implicit-def: $vgpr1
	s_waitcnt lgkmcnt(0)
	s_waitcnt_vscnt null, 0x0
	s_barrier
	buffer_gl0_inv
	buffer_store_dword v1, off, s[0:3], s32 offset:200 ; 4-byte Folded Spill
	buffer_store_dword v2, off, s[0:3], s32 offset:204 ; 4-byte Folded Spill
	v_cmpx_gt_i32_e32 0, v28
	s_xor_b32 s5, exec_lo, s5
	s_cbranch_execz .LBB353_6
; %bb.5:
	v_mad_u64_u32 v[7:8], null, v24, v8, v[2:3]
                                        ; implicit-def: $vgpr24
	v_mul_lo_u32 v1, v7, v28
                                        ; implicit-def: $vgpr28
	v_sub_nc_u32_e32 v1, 1, v1
	buffer_store_dword v1, off, s[0:3], s32 offset:200 ; 4-byte Folded Spill
	buffer_store_dword v2, off, s[0:3], s32 offset:204 ; 4-byte Folded Spill
.LBB353_6:
	s_or_saveexec_b32 s5, s5
	v_ashrrev_i32_e32 v1, 31, v6
	v_ashrrev_i32_e32 v6, 31, v27
	buffer_store_dword v6, off, s[0:3], s32 offset:208 ; 4-byte Folded Spill
	s_xor_b32 exec_lo, exec_lo, s5
	s_cbranch_execz .LBB353_8
; %bb.7:
	v_mad_u64_u32 v[6:7], null, s11, v24, s[12:13]
	v_mad_u64_u32 v[6:7], null, v6, v28, 1
	buffer_store_dword v6, off, s[0:3], s32 offset:200 ; 4-byte Folded Spill
	buffer_store_dword v7, off, s[0:3], s32 offset:204 ; 4-byte Folded Spill
.LBB353_8:
	s_or_b32 exec_lo, exec_lo, s5
	buffer_load_dword v13, off, s[0:3], s32 offset:196 ; 4-byte Folded Reload
	s_clause 0x1
	s_load_dword s7, s[8:9], 0x14
	s_load_dword s15, s[8:9], 0x8
	s_clause 0x1
	buffer_load_dword v8, off, s[0:3], s32 offset:208
	buffer_load_dword v15, off, s[0:3], s32 offset:432
	v_add_nc_u32_e32 v7, 1, v3
	v_mul_lo_u32 v37, v2, v19
	s_ashr_i32 s5, s4, 31
	s_getpc_b64 s[8:9]
	s_add_u32 s8, s8, llvm.amdgcn.dynlds.offset.table@rel32@lo+4
	s_addc_u32 s9, s9, llvm.amdgcn.dynlds.offset.table@rel32@hi+12
	v_sub_nc_u32_e32 v48, 0, v26
	s_lshl_b64 s[12:13], s[4:5], 2
	s_add_u32 s8, s8, s12
	s_addc_u32 s9, s9, s13
	v_ashrrev_i32_e32 v49, 31, v37
	s_waitcnt vmcnt(2)
	v_mul_lo_u32 v6, v3, v13
	s_waitcnt vmcnt(1)
	v_xor_b32_e32 v8, v1, v8
	v_add_nc_u32_e32 v1, 31, v32
	s_waitcnt vmcnt(0)
	v_and_b32_e32 v12, 31, v15
	v_lshrrev_b32_e32 v36, 3, v15
	v_sub_nc_u32_e32 v6, v0, v6
	v_mul_lo_u32 v0, v14, s10
	v_lshrrev_b32_e32 v14, 5, v15
	buffer_store_dword v12, off, s[0:3], s32 offset:428 ; 4-byte Folded Spill
	v_lshlrev_b32_e32 v19, 2, v12
	v_sub_nc_u32_e32 v9, v6, v13
	v_cmp_ge_u32_e32 vcc_lo, v6, v13
	v_cndmask_b32_e32 v3, v3, v7, vcc_lo
	v_cndmask_b32_e32 v6, v6, v9, vcc_lo
	v_ashrrev_i32_e32 v7, 31, v1
	v_add_nc_u32_e32 v9, 1, v3
	v_cmp_ge_u32_e32 vcc_lo, v6, v13
	v_lshrrev_b32_e32 v7, 27, v7
	v_cndmask_b32_e32 v3, v3, v9, vcc_lo
	v_add_nc_u32_e32 v2, v1, v7
	v_lshlrev_b32_e32 v1, 5, v14
	v_mov_b32_e32 v9, 0xff7fffff
	v_xor_b32_e32 v3, v3, v8
	v_ashrrev_i32_e32 v6, 5, v2
	buffer_store_dword v1, off, s[0:3], s32 offset:920 ; 4-byte Folded Spill
	v_ashrrev_i32_e32 v1, 31, v0
	buffer_store_dword v14, off, s[0:3], s32 offset:908 ; 4-byte Folded Spill
	buffer_store_dword v6, off, s[0:3], s32 offset:192 ; 4-byte Folded Spill
	v_sub_nc_u32_e32 v2, v3, v8
	v_cmp_lt_i32_e64 s4, v14, v6
	v_lshlrev_b64 v[12:13], 2, v[0:1]
	v_sub_nc_u32_e32 v0, v2, v25
	buffer_store_dword v0, off, s[0:3], s32 offset:216 ; 4-byte Folded Spill
	s_and_saveexec_b32 s17, s4
	s_cbranch_execz .LBB353_1040
; %bb.9:
	v_mov_b32_e32 v14, 0
	buffer_store_dword v35, off, s[0:3], s32 offset:940 ; 4-byte Folded Spill
	buffer_store_dword v33, off, s[0:3], s32 offset:936 ; 4-byte Folded Spill
	v_mov_b32_e32 v114, 0x80
	s_mov_b32 s12, -1
	s_mov_b32 s18, 0
	ds_read_b128 v[0:3], v14
	ds_read_b128 v[6:9], v14 offset:16
	ds_read_b128 v[15:18], v14 offset:32
	s_mov_b32 s13, 0xffffff
	s_waitcnt lgkmcnt(0)
	v_lshlrev_b32_e32 v20, 16, v0
	v_and_b32_e32 v0, 0xffff0000, v0
	buffer_store_dword v20, off, s[0:3], s32 offset:364 ; 4-byte Folded Spill
	buffer_store_dword v0, off, s[0:3], s32 offset:368 ; 4-byte Folded Spill
	v_lshlrev_b32_e32 v0, 16, v1
	buffer_store_dword v0, off, s[0:3], s32 offset:372 ; 4-byte Folded Spill
	v_and_b32_e32 v0, 0xffff0000, v1
	buffer_store_dword v0, off, s[0:3], s32 offset:376 ; 4-byte Folded Spill
	v_lshlrev_b32_e32 v0, 16, v2
	buffer_store_dword v0, off, s[0:3], s32 offset:380 ; 4-byte Folded Spill
	v_and_b32_e32 v0, 0xffff0000, v2
	;; [unrolled: 4-line block ×4, first 2 shown]
	v_lshlrev_b32_e32 v6, 16, v15
	buffer_store_dword v0, off, s[0:3], s32 offset:400 ; 4-byte Folded Spill
	v_lshlrev_b32_e32 v0, 16, v7
	buffer_store_dword v6, off, s[0:3], s32 offset:444 ; 4-byte Folded Spill
	v_and_b32_e32 v6, 0xffff0000, v15
	buffer_store_dword v0, off, s[0:3], s32 offset:404 ; 4-byte Folded Spill
	v_and_b32_e32 v0, 0xffff0000, v7
	buffer_store_dword v6, off, s[0:3], s32 offset:448 ; 4-byte Folded Spill
	v_lshlrev_b32_e32 v6, 16, v16
	buffer_store_dword v0, off, s[0:3], s32 offset:408 ; 4-byte Folded Spill
	v_lshlrev_b32_e32 v0, 16, v8
	buffer_store_dword v6, off, s[0:3], s32 offset:456 ; 4-byte Folded Spill
	v_and_b32_e32 v6, 0xffff0000, v16
	buffer_store_dword v0, off, s[0:3], s32 offset:412 ; 4-byte Folded Spill
	v_and_b32_e32 v0, 0xffff0000, v8
	buffer_store_dword v6, off, s[0:3], s32 offset:460 ; 4-byte Folded Spill
	;; [unrolled: 8-line block ×3, first 2 shown]
	v_lshlrev_b32_e32 v6, 16, v18
	buffer_store_dword v0, off, s[0:3], s32 offset:424 ; 4-byte Folded Spill
	ds_read_b128 v[0:3], v14 offset:48
	buffer_store_dword v6, off, s[0:3], s32 offset:472 ; 4-byte Folded Spill
	v_and_b32_e32 v6, 0xffff0000, v18
	buffer_store_dword v6, off, s[0:3], s32 offset:476 ; 4-byte Folded Spill
	s_waitcnt lgkmcnt(0)
	v_lshlrev_b32_e32 v6, 16, v0
	v_and_b32_e32 v0, 0xffff0000, v0
	buffer_store_dword v6, off, s[0:3], s32 offset:480 ; 4-byte Folded Spill
	buffer_store_dword v0, off, s[0:3], s32 offset:484 ; 4-byte Folded Spill
	v_lshlrev_b32_e32 v0, 16, v1
	buffer_store_dword v0, off, s[0:3], s32 offset:488 ; 4-byte Folded Spill
	v_and_b32_e32 v0, 0xffff0000, v1
	buffer_store_dword v0, off, s[0:3], s32 offset:492 ; 4-byte Folded Spill
	v_lshlrev_b32_e32 v0, 16, v2
	buffer_store_dword v0, off, s[0:3], s32 offset:496 ; 4-byte Folded Spill
	v_and_b32_e32 v0, 0xffff0000, v2
	buffer_store_dword v0, off, s[0:3], s32 offset:500 ; 4-byte Folded Spill
	v_lshlrev_b32_e32 v0, 16, v3
	buffer_store_dword v0, off, s[0:3], s32 offset:504 ; 4-byte Folded Spill
	v_and_b32_e32 v0, 0xffff0000, v3
	buffer_store_dword v0, off, s[0:3], s32 offset:508 ; 4-byte Folded Spill
	ds_read_b128 v[0:3], v14 offset:64
	ds_read_b128 v[6:9], v14 offset:80
	s_waitcnt lgkmcnt(1)
	v_lshlrev_b32_e32 v15, 16, v0
	v_and_b32_e32 v0, 0xffff0000, v0
	buffer_store_dword v15, off, s[0:3], s32 offset:512 ; 4-byte Folded Spill
	buffer_store_dword v0, off, s[0:3], s32 offset:516 ; 4-byte Folded Spill
	v_lshlrev_b32_e32 v0, 16, v1
	buffer_store_dword v0, off, s[0:3], s32 offset:520 ; 4-byte Folded Spill
	v_and_b32_e32 v0, 0xffff0000, v1
	buffer_store_dword v0, off, s[0:3], s32 offset:524 ; 4-byte Folded Spill
	v_lshlrev_b32_e32 v0, 16, v2
	buffer_store_dword v0, off, s[0:3], s32 offset:528 ; 4-byte Folded Spill
	v_and_b32_e32 v0, 0xffff0000, v2
	buffer_store_dword v0, off, s[0:3], s32 offset:532 ; 4-byte Folded Spill
	v_lshlrev_b32_e32 v0, 16, v3
	buffer_store_dword v0, off, s[0:3], s32 offset:536 ; 4-byte Folded Spill
	v_and_b32_e32 v0, 0xffff0000, v3
	buffer_store_dword v0, off, s[0:3], s32 offset:540 ; 4-byte Folded Spill
	s_waitcnt lgkmcnt(0)
	v_lshlrev_b32_e32 v0, 16, v6
	buffer_store_dword v0, off, s[0:3], s32 offset:544 ; 4-byte Folded Spill
	v_and_b32_e32 v0, 0xffff0000, v6
	buffer_store_dword v0, off, s[0:3], s32 offset:548 ; 4-byte Folded Spill
	v_lshlrev_b32_e32 v0, 16, v7
	buffer_store_dword v0, off, s[0:3], s32 offset:552 ; 4-byte Folded Spill
	v_and_b32_e32 v0, 0xffff0000, v7
	buffer_store_dword v0, off, s[0:3], s32 offset:556 ; 4-byte Folded Spill
	v_lshlrev_b32_e32 v0, 16, v8
	buffer_store_dword v0, off, s[0:3], s32 offset:560 ; 4-byte Folded Spill
	v_and_b32_e32 v0, 0xffff0000, v8
	buffer_store_dword v0, off, s[0:3], s32 offset:564 ; 4-byte Folded Spill
	v_lshlrev_b32_e32 v0, 16, v9
	buffer_store_dword v0, off, s[0:3], s32 offset:568 ; 4-byte Folded Spill
	v_and_b32_e32 v0, 0xffff0000, v9
	buffer_store_dword v0, off, s[0:3], s32 offset:572 ; 4-byte Folded Spill
	ds_read_b128 v[0:3], v14 offset:96
	ds_read_b128 v[6:9], v14 offset:112
	s_waitcnt lgkmcnt(1)
	v_lshlrev_b32_e32 v15, 16, v0
	v_and_b32_e32 v0, 0xffff0000, v0
	buffer_store_dword v15, off, s[0:3], s32 offset:576 ; 4-byte Folded Spill
	buffer_store_dword v0, off, s[0:3], s32 offset:580 ; 4-byte Folded Spill
	v_lshlrev_b32_e32 v0, 16, v1
	buffer_store_dword v0, off, s[0:3], s32 offset:584 ; 4-byte Folded Spill
	v_and_b32_e32 v0, 0xffff0000, v1
	buffer_store_dword v0, off, s[0:3], s32 offset:588 ; 4-byte Folded Spill
	v_lshlrev_b32_e32 v0, 16, v2
	buffer_store_dword v0, off, s[0:3], s32 offset:592 ; 4-byte Folded Spill
	v_and_b32_e32 v0, 0xffff0000, v2
	buffer_store_dword v0, off, s[0:3], s32 offset:596 ; 4-byte Folded Spill
	v_lshlrev_b32_e32 v0, 16, v3
	buffer_store_dword v0, off, s[0:3], s32 offset:600 ; 4-byte Folded Spill
	v_and_b32_e32 v0, 0xffff0000, v3
	buffer_store_dword v0, off, s[0:3], s32 offset:604 ; 4-byte Folded Spill
	s_waitcnt lgkmcnt(0)
	v_lshlrev_b32_e32 v0, 16, v6
	buffer_store_dword v0, off, s[0:3], s32 offset:608 ; 4-byte Folded Spill
	v_and_b32_e32 v0, 0xffff0000, v6
	;; [unrolled: 36-line block ×6, first 2 shown]
	buffer_store_dword v0, off, s[0:3], s32 offset:868 ; 4-byte Folded Spill
	v_lshlrev_b32_e32 v0, 16, v7
	buffer_store_dword v0, off, s[0:3], s32 offset:872 ; 4-byte Folded Spill
	v_and_b32_e32 v0, 0xffff0000, v7
	buffer_store_dword v0, off, s[0:3], s32 offset:876 ; 4-byte Folded Spill
	v_lshlrev_b32_e32 v0, 16, v8
	buffer_store_dword v0, off, s[0:3], s32 offset:880 ; 4-byte Folded Spill
	v_and_b32_e32 v0, 0xffff0000, v8
	;; [unrolled: 4-line block ×3, first 2 shown]
	buffer_store_dword v0, off, s[0:3], s32 offset:892 ; 4-byte Folded Spill
	buffer_store_dword v37, off, s[0:3], s32 offset:956 ; 4-byte Folded Spill
	buffer_load_dword v3, off, s[0:3], s32 offset:428 ; 4-byte Folded Reload
	v_add_co_u32 v0, vcc_lo, v4, v37
	v_add_co_ci_u32_e64 v1, null, v5, v49, vcc_lo
	buffer_store_dword v49, off, s[0:3], s32 offset:964 ; 4-byte Folded Spill
	v_mov_b32_e32 v9, 0xff7fffff
	s_waitcnt vmcnt(0)
	v_lshlrev_b32_e32 v2, 4, v3
	v_add_co_u32 v0, vcc_lo, v0, v2
	v_add_co_ci_u32_e64 v1, null, 0, v1, vcc_lo
	buffer_store_dword v0, off, s[0:3], s32 offset:896 ; 4-byte Folded Spill
	buffer_store_dword v1, off, s[0:3], s32 offset:900 ; 4-byte Folded Spill
	;; [unrolled: 1-line block ×4, first 2 shown]
	v_max_i32_e32 v1, v26, v48
	v_cvt_f32_u32_e32 v0, v1
	buffer_store_dword v1, off, s[0:3], s32 offset:288 ; 4-byte Folded Spill
	v_sub_nc_u32_e32 v1, 0, v1
	v_rcp_iflag_f32_e32 v0, v0
	v_mul_f32_e32 v0, 0x4f7ffffe, v0
	v_cvt_u32_f32_e32 v0, v0
	v_mul_lo_u32 v1, v1, v0
	v_mul_hi_u32 v1, v0, v1
	v_add_nc_u32_e32 v0, v0, v1
	buffer_store_dword v0, off, s[0:3], s32 offset:292 ; 4-byte Folded Spill
	buffer_store_dword v36, off, s[0:3], s32 offset:952 ; 4-byte Folded Spill
	v_and_b32_e32 v0, 0x7c, v36
	v_add_co_u32 v0, vcc_lo, v0, v12
	buffer_store_dword v12, off, s[0:3], s32 offset:944 ; 4-byte Folded Spill
	buffer_store_dword v13, off, s[0:3], s32 offset:948 ; 4-byte Folded Spill
	s_load_dword s19, s[8:9], 0x0
	buffer_store_dword v10, off, s[0:3], s32 offset:928 ; 4-byte Folded Spill
	buffer_store_dword v11, off, s[0:3], s32 offset:924 ; 4-byte Folded Spill
	;; [unrolled: 1-line block ×3, first 2 shown]
	v_add_co_ci_u32_e64 v1, null, 0, v13, vcc_lo
	v_add_co_u32 v15, vcc_lo, v10, v0
	buffer_load_dword v0, off, s[0:3], s32 offset:344 ; 4-byte Folded Reload
	v_add_co_ci_u32_e64 v16, null, v11, v1, vcc_lo
	s_waitcnt vmcnt(0)
	v_cmp_neq_f32_e32 vcc_lo, 0, v0
	v_sub_nc_u32_e32 v0, v3, v32
	v_add_nc_u32_e32 v0, 1, v0
	buffer_store_dword v0, off, s[0:3], s32 offset:904 ; 4-byte Folded Spill
	buffer_load_dword v0, off, s[0:3], s32 offset:908 ; 4-byte Folded Reload
	s_waitcnt vmcnt(0)
	v_lshlrev_b32_e32 v5, 5, v0
	v_lshl_or_b32 v6, v0, 7, v19
	v_mov_b32_e32 v1, v0
	s_branch .LBB353_15
.LBB353_10:                             ;   in Loop: Header=BB353_15 Depth=1
	s_or_b32 exec_lo, exec_lo, s23
	v_mov_b32_e32 v13, 24
	v_lshlrev_b32_e32 v24, 20, v27
	v_lshl_add_u32 v1, v1, 23, 0x3c000000
	v_lshlrev_b32_sdwa v13, v13, v25 dst_sel:DWORD dst_unused:UNUSED_PAD src0_sel:DWORD src1_sel:BYTE_3
	v_and_b32_e32 v13, 0x80000000, v13
	v_or3_b32 v62, v24, v13, v1
.LBB353_11:                             ;   in Loop: Header=BB353_15 Depth=1
	s_or_b32 exec_lo, exec_lo, s22
.LBB353_12:                             ;   in Loop: Header=BB353_15 Depth=1
	s_or_b32 exec_lo, exec_lo, s21
.LBB353_13:                             ;   in Loop: Header=BB353_15 Depth=1
	s_or_b32 exec_lo, exec_lo, s20
	v_mul_f32_e32 v1, v118, v73
	buffer_load_dword v29, off, s[0:3], s32 offset:248 ; 4-byte Folded Reload
	v_bfe_u32 v13, v1, 16, 1
	v_or_b32_e32 v24, 0x400000, v1
	v_cmp_u_f32_e64 s5, v1, v1
	v_add3_u32 v13, v13, v1, 0x7fff
	v_cndmask_b32_e64 v1, v13, v24, s5
	buffer_store_dword v1, off, s[0:3], s32 offset:308 ; 4-byte Folded Spill
	v_mul_f32_e32 v1, v118, v72
	v_bfe_u32 v24, v1, 16, 1
	v_or_b32_e32 v25, 0x400000, v1
	v_cmp_u_f32_e64 s5, v1, v1
	v_add3_u32 v24, v24, v1, 0x7fff
	v_cndmask_b32_e64 v1, v24, v25, s5
	buffer_store_dword v1, off, s[0:3], s32 offset:312 ; 4-byte Folded Spill
	v_mul_f32_e32 v1, v118, v60
	v_bfe_u32 v25, v1, 16, 1
	v_or_b32_e32 v27, 0x400000, v1
	v_cmp_u_f32_e64 s5, v1, v1
	v_add3_u32 v25, v25, v1, 0x7fff
	v_cndmask_b32_e64 v1, v25, v27, s5
	buffer_store_dword v1, off, s[0:3], s32 offset:316 ; 4-byte Folded Spill
	v_mul_f32_e32 v1, v118, v59
	v_bfe_u32 v27, v1, 16, 1
	v_or_b32_e32 v28, 0x400000, v1
	v_cmp_u_f32_e64 s5, v1, v1
	v_add3_u32 v27, v27, v1, 0x7fff
	v_cndmask_b32_e64 v1, v27, v28, s5
	buffer_store_dword v1, off, s[0:3], s32 offset:320 ; 4-byte Folded Spill
	v_mul_f32_e32 v1, v118, v57
	v_bfe_u32 v28, v1, 16, 1
	v_or_b32_e32 v34, 0x400000, v1
	v_cmp_u_f32_e64 s5, v1, v1
	v_add3_u32 v28, v28, v1, 0x7fff
	v_cndmask_b32_e64 v1, v28, v34, s5
	buffer_store_dword v1, off, s[0:3], s32 offset:328 ; 4-byte Folded Spill
	v_mul_f32_e32 v1, v118, v58
	v_bfe_u32 v28, v1, 16, 1
	v_or_b32_e32 v34, 0x400000, v1
	v_cmp_u_f32_e64 s5, v1, v1
	v_add3_u32 v28, v28, v1, 0x7fff
	v_cndmask_b32_e64 v1, v28, v34, s5
	buffer_store_dword v1, off, s[0:3], s32 offset:336 ; 4-byte Folded Spill
	v_mul_f32_e32 v1, v118, v75
	v_bfe_u32 v28, v1, 16, 1
	v_or_b32_e32 v34, 0x400000, v1
	v_cmp_u_f32_e64 s5, v1, v1
	v_add3_u32 v28, v28, v1, 0x7fff
	v_cndmask_b32_e64 v1, v28, v34, s5
	buffer_store_dword v1, off, s[0:3], s32 offset:324 ; 4-byte Folded Spill
	v_mul_f32_e32 v1, v118, v74
	v_bfe_u32 v34, v1, 16, 1
	v_or_b32_e32 v37, 0x400000, v1
	v_cmp_u_f32_e64 s5, v1, v1
	v_add3_u32 v34, v34, v1, 0x7fff
	v_cndmask_b32_e64 v1, v34, v37, s5
	buffer_store_dword v1, off, s[0:3], s32 offset:332 ; 4-byte Folded Spill
	v_mul_f32_e32 v1, v118, v44
	v_bfe_u32 v34, v1, 16, 1
	v_or_b32_e32 v37, 0x400000, v1
	v_cmp_u_f32_e64 s5, v1, v1
	v_add3_u32 v34, v34, v1, 0x7fff
	v_cndmask_b32_e64 v1, v34, v37, s5
	buffer_store_dword v1, off, s[0:3], s32 offset:340 ; 4-byte Folded Spill
	v_mul_f32_e32 v1, v118, v43
	v_bfe_u32 v34, v1, 16, 1
	v_or_b32_e32 v37, 0x400000, v1
	v_cmp_u_f32_e64 s5, v1, v1
	v_add3_u32 v34, v34, v1, 0x7fff
	v_mul_f32_e32 v1, v118, v102
	v_cndmask_b32_e64 v59, v34, v37, s5
	v_bfe_u32 v34, v1, 16, 1
	v_or_b32_e32 v37, 0x400000, v1
	v_cmp_u_f32_e64 s5, v1, v1
	v_add3_u32 v34, v34, v1, 0x7fff
	v_mul_f32_e32 v1, v118, v112
	v_cndmask_b32_e64 v58, v34, v37, s5
	;; [unrolled: 6-line block ×3, first 2 shown]
	v_bfe_u32 v34, v1, 16, 1
	v_or_b32_e32 v37, 0x400000, v1
	v_cmp_u_f32_e64 s5, v1, v1
	v_add3_u32 v34, v34, v1, 0x7fff
	v_mul_f32_e32 v1, v118, v0
	buffer_load_dword v0, off, s[0:3], s32 offset:268 ; 4-byte Folded Reload
	v_cndmask_b32_e64 v43, v34, v37, s5
	v_bfe_u32 v34, v1, 16, 1
	v_or_b32_e32 v37, 0x400000, v1
	v_cmp_u_f32_e64 s5, v1, v1
	v_add3_u32 v34, v34, v1, 0x7fff
	v_mul_f32_e32 v1, v118, v46
	v_cndmask_b32_e64 v60, v34, v37, s5
	v_bfe_u32 v34, v1, 16, 1
	v_or_b32_e32 v37, 0x400000, v1
	v_cmp_u_f32_e64 s5, v1, v1
	v_add3_u32 v34, v34, v1, 0x7fff
	v_mul_f32_e32 v1, v118, v45
	v_cndmask_b32_e64 v44, v34, v37, s5
	v_bfe_u32 v34, v1, 16, 1
	v_or_b32_e32 v37, 0x400000, v1
	v_cmp_u_f32_e64 s5, v1, v1
	v_add3_u32 v34, v34, v1, 0x7fff
	v_mul_f32_e32 v1, v118, v21
	v_cndmask_b32_e64 v45, v34, v37, s5
	v_bfe_u32 v21, v1, 16, 1
	v_or_b32_e32 v34, 0x400000, v1
	v_cmp_u_f32_e64 s5, v1, v1
	v_add3_u32 v21, v21, v1, 0x7fff
	v_mul_f32_e32 v1, v118, v113
	v_cndmask_b32_e64 v28, v21, v34, s5
	v_bfe_u32 v34, v1, 16, 1
	v_or_b32_e32 v37, 0x400000, v1
	v_cmp_u_f32_e64 s5, v1, v1
	v_add3_u32 v34, v34, v1, 0x7fff
	v_mul_f32_e32 v1, v118, v9
	v_cndmask_b32_e64 v27, v34, v37, s5
	v_bfe_u32 v9, v1, 16, 1
	v_or_b32_e32 v34, 0x400000, v1
	v_cmp_u_f32_e64 s5, v1, v1
	v_add3_u32 v9, v9, v1, 0x7fff
	v_mul_f32_e32 v1, v118, v115
	v_cndmask_b32_e64 v25, v9, v34, s5
	v_bfe_u32 v34, v1, 16, 1
	v_or_b32_e32 v37, 0x400000, v1
	v_cmp_u_f32_e64 s5, v1, v1
	v_add3_u32 v34, v34, v1, 0x7fff
	v_mul_f32_e32 v1, v118, v5
	v_cndmask_b32_e64 v24, v34, v37, s5
	v_bfe_u32 v5, v1, 16, 1
	v_or_b32_e32 v34, 0x400000, v1
	v_cmp_u_f32_e64 s5, v1, v1
	v_add3_u32 v5, v5, v1, 0x7fff
	v_mul_f32_e32 v1, v118, v4
	v_cndmask_b32_e64 v13, v5, v34, s5
	v_bfe_u32 v4, v1, 16, 1
	v_or_b32_e32 v34, 0x400000, v1
	v_cmp_u_f32_e64 s5, v1, v1
	v_add3_u32 v4, v4, v1, 0x7fff
	v_mul_f32_e32 v1, v118, v36
	v_cndmask_b32_e64 v46, v4, v34, s5
	v_bfe_u32 v4, v1, 16, 1
	v_or_b32_e32 v34, 0x400000, v1
	v_cmp_u_f32_e64 s5, v1, v1
	v_add3_u32 v4, v4, v1, 0x7fff
	v_mul_f32_e32 v1, v118, v20
	v_cndmask_b32_e64 v21, v4, v34, s5
	v_bfe_u32 v20, v1, 16, 1
	v_or_b32_e32 v34, 0x400000, v1
	v_cmp_u_f32_e64 s5, v1, v1
	v_add3_u32 v20, v20, v1, 0x7fff
	v_mul_f32_e32 v1, v118, v98
	v_cndmask_b32_e64 v20, v20, v34, s5
	v_bfe_u32 v34, v1, 16, 1
	v_or_b32_e32 v36, 0x400000, v1
	v_cmp_u_f32_e64 s5, v1, v1
	v_add3_u32 v34, v34, v1, 0x7fff
	v_mul_f32_e32 v1, v118, v48
	v_cndmask_b32_e64 v36, v34, v36, s5
	v_bfe_u32 v34, v1, 16, 1
	v_or_b32_e32 v37, 0x400000, v1
	v_cmp_u_f32_e64 s5, v1, v1
	v_add3_u32 v34, v34, v1, 0x7fff
	v_mul_f32_e32 v1, v118, v117
	v_cndmask_b32_e64 v9, v34, v37, s5
	v_bfe_u32 v34, v1, 16, 1
	v_or_b32_e32 v37, 0x400000, v1
	v_cmp_u_f32_e64 s5, v1, v1
	v_add3_u32 v34, v34, v1, 0x7fff
	v_mul_f32_e32 v1, v118, v41
	v_cndmask_b32_e64 v5, v34, v37, s5
	v_bfe_u32 v34, v1, 16, 1
	v_or_b32_e32 v37, 0x400000, v1
	v_cmp_u_f32_e64 s5, v1, v1
	v_add3_u32 v34, v34, v1, 0x7fff
	v_mul_f32_e32 v1, v118, v86
	v_cndmask_b32_e64 v4, v34, v37, s5
	v_bfe_u32 v34, v1, 16, 1
	v_or_b32_e32 v37, 0x400000, v1
	v_cmp_u_f32_e64 s5, v1, v1
	v_add3_u32 v34, v34, v1, 0x7fff
	v_mul_f32_e32 v1, v118, v85
	v_cndmask_b32_e64 v86, v34, v37, s5
	v_bfe_u32 v34, v1, 16, 1
	v_or_b32_e32 v37, 0x400000, v1
	v_cmp_u_f32_e64 s5, v1, v1
	v_add3_u32 v34, v34, v1, 0x7fff
	v_mul_f32_e32 v1, v118, v103
	v_cndmask_b32_e64 v72, v34, v37, s5
	v_bfe_u32 v34, v1, 16, 1
	v_or_b32_e32 v37, 0x400000, v1
	v_cmp_u_f32_e64 s5, v1, v1
	v_add3_u32 v34, v34, v1, 0x7fff
	v_mul_f32_e32 v1, v118, v100
	v_cndmask_b32_e64 v85, v34, v37, s5
	v_bfe_u32 v34, v1, 16, 1
	v_or_b32_e32 v37, 0x400000, v1
	v_cmp_u_f32_e64 s5, v1, v1
	v_add3_u32 v34, v34, v1, 0x7fff
	v_mul_f32_e32 v1, v118, v82
	v_cndmask_b32_e64 v98, v34, v37, s5
	v_bfe_u32 v34, v1, 16, 1
	v_or_b32_e32 v37, 0x400000, v1
	v_cmp_u_f32_e64 s5, v1, v1
	v_add3_u32 v34, v34, v1, 0x7fff
	v_mul_f32_e32 v1, v118, v81
	v_cndmask_b32_e64 v82, v34, v37, s5
	v_bfe_u32 v34, v1, 16, 1
	v_or_b32_e32 v37, 0x400000, v1
	v_cmp_u_f32_e64 s5, v1, v1
	v_add3_u32 v34, v34, v1, 0x7fff
	v_mul_f32_e32 v1, v118, v70
	v_cndmask_b32_e64 v81, v34, v37, s5
	v_bfe_u32 v34, v1, 16, 1
	v_or_b32_e32 v37, 0x400000, v1
	v_cmp_u_f32_e64 s5, v1, v1
	v_add3_u32 v34, v34, v1, 0x7fff
	v_mul_f32_e32 v1, v118, v69
	v_cndmask_b32_e64 v70, v34, v37, s5
	v_bfe_u32 v34, v1, 16, 1
	v_or_b32_e32 v37, 0x400000, v1
	v_cmp_u_f32_e64 s5, v1, v1
	v_add3_u32 v34, v34, v1, 0x7fff
	v_mul_f32_e32 v1, v118, v68
	v_cndmask_b32_e64 v69, v34, v37, s5
	v_bfe_u32 v34, v1, 16, 1
	v_or_b32_e32 v37, 0x400000, v1
	v_cmp_u_f32_e64 s5, v1, v1
	v_add3_u32 v34, v34, v1, 0x7fff
	v_mul_f32_e32 v1, v118, v67
	v_cndmask_b32_e64 v68, v34, v37, s5
	v_bfe_u32 v34, v1, 16, 1
	v_or_b32_e32 v37, 0x400000, v1
	v_cmp_u_f32_e64 s5, v1, v1
	v_add3_u32 v34, v34, v1, 0x7fff
	v_mul_f32_e32 v1, v118, v84
	v_cndmask_b32_e64 v100, v34, v37, s5
	v_bfe_u32 v34, v1, 16, 1
	v_or_b32_e32 v37, 0x400000, v1
	v_cmp_u_f32_e64 s5, v1, v1
	v_add3_u32 v34, v34, v1, 0x7fff
	v_mul_f32_e32 v1, v118, v83
	v_cndmask_b32_e64 v67, v34, v37, s5
	v_bfe_u32 v34, v1, 16, 1
	v_or_b32_e32 v37, 0x400000, v1
	v_cmp_u_f32_e64 s5, v1, v1
	v_add3_u32 v34, v34, v1, 0x7fff
	v_mul_f32_e32 v1, v118, v64
	v_cndmask_b32_e64 v83, v34, v37, s5
	v_bfe_u32 v34, v1, 16, 1
	v_or_b32_e32 v37, 0x400000, v1
	v_cmp_u_f32_e64 s5, v1, v1
	v_add3_u32 v34, v34, v1, 0x7fff
	v_mul_f32_e32 v1, v118, v55
	v_cndmask_b32_e64 v64, v34, v37, s5
	v_bfe_u32 v34, v1, 16, 1
	v_or_b32_e32 v37, 0x400000, v1
	v_cmp_u_f32_e64 s5, v1, v1
	v_add3_u32 v34, v34, v1, 0x7fff
	v_mul_f32_e32 v1, v118, v54
	v_cndmask_b32_e64 v55, v34, v37, s5
	v_bfe_u32 v34, v1, 16, 1
	v_or_b32_e32 v37, 0x400000, v1
	v_cmp_u_f32_e64 s5, v1, v1
	v_add3_u32 v34, v34, v1, 0x7fff
	v_mul_f32_e32 v1, v118, v53
	v_cndmask_b32_e64 v54, v34, v37, s5
	v_bfe_u32 v34, v1, 16, 1
	v_or_b32_e32 v37, 0x400000, v1
	v_cmp_u_f32_e64 s5, v1, v1
	v_add3_u32 v34, v34, v1, 0x7fff
	v_mul_f32_e32 v1, v118, v52
	v_cndmask_b32_e64 v53, v34, v37, s5
	v_bfe_u32 v34, v1, 16, 1
	v_or_b32_e32 v37, 0x400000, v1
	v_cmp_u_f32_e64 s5, v1, v1
	v_add3_u32 v34, v34, v1, 0x7fff
	v_mul_f32_e32 v1, v118, v38
	v_cndmask_b32_e64 v52, v34, v37, s5
	v_bfe_u32 v34, v1, 16, 1
	v_or_b32_e32 v37, 0x400000, v1
	v_cmp_u_f32_e64 s5, v1, v1
	v_add3_u32 v34, v34, v1, 0x7fff
	v_mul_f32_e32 v1, v118, v66
	v_cndmask_b32_e64 v84, v34, v37, s5
	v_bfe_u32 v34, v1, 16, 1
	v_or_b32_e32 v37, 0x400000, v1
	v_cmp_u_f32_e64 s5, v1, v1
	v_add3_u32 v34, v34, v1, 0x7fff
	v_mul_f32_e32 v1, v118, v65
	v_cndmask_b32_e64 v38, v34, v37, s5
	v_bfe_u32 v34, v1, 16, 1
	v_or_b32_e32 v37, 0x400000, v1
	v_cmp_u_f32_e64 s5, v1, v1
	v_add3_u32 v34, v34, v1, 0x7fff
	v_mul_f32_e32 v1, v118, v50
	v_cndmask_b32_e64 v65, v34, v37, s5
	v_bfe_u32 v34, v1, 16, 1
	v_or_b32_e32 v37, 0x400000, v1
	v_cmp_u_f32_e64 s5, v1, v1
	v_add3_u32 v34, v34, v1, 0x7fff
	v_mul_f32_e32 v1, v118, v22
	v_cndmask_b32_e64 v50, v34, v37, s5
	v_bfe_u32 v22, v1, 16, 1
	v_or_b32_e32 v34, 0x400000, v1
	v_cmp_u_f32_e64 s5, v1, v1
	v_add3_u32 v22, v22, v1, 0x7fff
	v_mul_f32_e32 v1, v118, v23
	v_cndmask_b32_e64 v22, v22, v34, s5
	v_bfe_u32 v23, v1, 16, 1
	v_or_b32_e32 v34, 0x400000, v1
	v_cmp_u_f32_e64 s5, v1, v1
	v_add3_u32 v23, v23, v1, 0x7fff
	v_mul_f32_e32 v1, v118, v31
	v_cndmask_b32_e64 v23, v23, v34, s5
	v_bfe_u32 v31, v1, 16, 1
	v_or_b32_e32 v34, 0x400000, v1
	v_cmp_u_f32_e64 s5, v1, v1
	v_add3_u32 v31, v31, v1, 0x7fff
	v_mul_f32_e32 v1, v118, v26
	v_cndmask_b32_e64 v31, v31, v34, s5
	v_bfe_u32 v26, v1, 16, 1
	v_or_b32_e32 v34, 0x400000, v1
	v_cmp_u_f32_e64 s5, v1, v1
	v_add3_u32 v26, v26, v1, 0x7fff
	v_mul_f32_e32 v1, v118, v19
	v_cndmask_b32_e64 v26, v26, v34, s5
	v_bfe_u32 v19, v1, 16, 1
	v_or_b32_e32 v34, 0x400000, v1
	v_cmp_u_f32_e64 s5, v1, v1
	v_add3_u32 v19, v19, v1, 0x7fff
	v_mul_f32_e32 v1, v118, v51
	v_cndmask_b32_e64 v66, v19, v34, s5
	v_bfe_u32 v19, v1, 16, 1
	v_or_b32_e32 v34, 0x400000, v1
	v_cmp_u_f32_e64 s5, v1, v1
	v_add3_u32 v19, v19, v1, 0x7fff
	v_mul_f32_e32 v1, v118, v18
	v_cndmask_b32_e64 v19, v19, v34, s5
	v_bfe_u32 v18, v1, 16, 1
	v_or_b32_e32 v34, 0x400000, v1
	v_cmp_u_f32_e64 s5, v1, v1
	v_add3_u32 v18, v18, v1, 0x7fff
	v_mul_f32_e32 v1, v118, v33
	v_cndmask_b32_e64 v18, v18, v34, s5
	v_bfe_u32 v33, v1, 16, 1
	v_or_b32_e32 v34, 0x400000, v1
	v_cmp_u_f32_e64 s5, v1, v1
	v_add3_u32 v33, v33, v1, 0x7fff
	v_mul_f32_e32 v1, v118, v10
	v_cndmask_b32_e64 v33, v33, v34, s5
	v_bfe_u32 v10, v1, 16, 1
	v_or_b32_e32 v34, 0x400000, v1
	v_cmp_u_f32_e64 s5, v1, v1
	v_add3_u32 v10, v10, v1, 0x7fff
	v_mul_f32_e32 v1, v118, v11
	v_cndmask_b32_e64 v10, v10, v34, s5
	v_bfe_u32 v11, v1, 16, 1
	v_or_b32_e32 v34, 0x400000, v1
	v_cmp_u_f32_e64 s5, v1, v1
	v_add3_u32 v11, v11, v1, 0x7fff
	v_mul_f32_e32 v1, v118, v6
	v_cndmask_b32_e64 v11, v11, v34, s5
	v_bfe_u32 v6, v1, 16, 1
	v_or_b32_e32 v34, 0x400000, v1
	v_cmp_u_f32_e64 s5, v1, v1
	v_add3_u32 v6, v6, v1, 0x7fff
	v_mul_f32_e32 v1, v118, v7
	v_cndmask_b32_e64 v6, v6, v34, s5
	v_bfe_u32 v7, v1, 16, 1
	v_or_b32_e32 v34, 0x400000, v1
	v_cmp_u_f32_e64 s5, v1, v1
	v_add3_u32 v7, v7, v1, 0x7fff
	v_mul_f32_e32 v1, v118, v80
	v_cndmask_b32_e64 v7, v7, v34, s5
	v_bfe_u32 v34, v1, 16, 1
	v_or_b32_e32 v37, 0x400000, v1
	v_cmp_u_f32_e64 s5, v1, v1
	v_add3_u32 v34, v34, v1, 0x7fff
	v_mul_f32_e32 v1, v118, v3
	v_cndmask_b32_e64 v51, v34, v37, s5
	v_bfe_u32 v3, v1, 16, 1
	v_or_b32_e32 v34, 0x400000, v1
	v_cmp_u_f32_e64 s5, v1, v1
	v_add3_u32 v3, v3, v1, 0x7fff
	v_mul_f32_e32 v1, v118, v2
	v_cndmask_b32_e64 v3, v3, v34, s5
	v_bfe_u32 v2, v1, 16, 1
	v_or_b32_e32 v34, 0x400000, v1
	v_cmp_u_f32_e64 s5, v1, v1
	v_add3_u32 v2, v2, v1, 0x7fff
	v_mul_f32_e32 v1, v118, v39
	v_cndmask_b32_e64 v2, v2, v34, s5
	v_bfe_u32 v34, v1, 16, 1
	v_or_b32_e32 v37, 0x400000, v1
	v_cmp_u_f32_e64 s5, v1, v1
	v_add3_u32 v34, v34, v1, 0x7fff
	v_mul_f32_e32 v1, v118, v35
	v_cndmask_b32_e64 v39, v34, v37, s5
	v_bfe_u32 v34, v1, 16, 1
	v_or_b32_e32 v35, 0x400000, v1
	v_cmp_u_f32_e64 s5, v1, v1
	v_add3_u32 v34, v34, v1, 0x7fff
	v_mul_f32_e32 v1, v118, v71
	v_cndmask_b32_e64 v35, v34, v35, s5
	v_bfe_u32 v34, v1, 16, 1
	v_or_b32_e32 v37, 0x400000, v1
	v_cmp_u_f32_e64 s5, v1, v1
	v_add3_u32 v34, v34, v1, 0x7fff
	v_mul_f32_e32 v1, v118, v12
	v_cndmask_b32_e64 v71, v34, v37, s5
	v_bfe_u32 v12, v1, 16, 1
	v_or_b32_e32 v34, 0x400000, v1
	v_cmp_u_f32_e64 s5, v1, v1
	v_add3_u32 v12, v12, v1, 0x7fff
	v_mul_f32_e32 v1, v118, v8
	v_cndmask_b32_e64 v12, v12, v34, s5
	v_bfe_u32 v8, v1, 16, 1
	v_or_b32_e32 v34, 0x400000, v1
	v_cmp_u_f32_e64 s5, v1, v1
	v_add3_u32 v8, v8, v1, 0x7fff
	v_mul_f32_e32 v1, v118, v127
	v_cndmask_b32_e64 v80, v8, v34, s5
	v_bfe_u32 v8, v1, 16, 1
	v_or_b32_e32 v34, 0x400000, v1
	v_cmp_u_f32_e64 s5, v1, v1
	v_add3_u32 v8, v8, v1, 0x7fff
	v_mul_f32_e32 v1, v118, v17
	v_cndmask_b32_e64 v103, v8, v34, s5
	v_bfe_u32 v8, v1, 16, 1
	v_or_b32_e32 v17, 0x400000, v1
	v_cmp_u_f32_e64 s5, v1, v1
	v_add3_u32 v8, v8, v1, 0x7fff
	v_mul_f32_e32 v1, v118, v49
	v_cndmask_b32_e64 v8, v8, v17, s5
	v_bfe_u32 v17, v1, 16, 1
	v_or_b32_e32 v34, 0x400000, v1
	v_cmp_u_f32_e64 s5, v1, v1
	v_add3_u32 v17, v17, v1, 0x7fff
	v_mul_f32_e32 v1, v118, v124
	v_cndmask_b32_e64 v17, v17, v34, s5
	v_bfe_u32 v34, v1, 16, 1
	v_or_b32_e32 v37, 0x400000, v1
	v_cmp_u_f32_e64 s5, v1, v1
	v_add3_u32 v34, v34, v1, 0x7fff
	v_mul_f32_e32 v1, v118, v123
	v_cndmask_b32_e64 v49, v34, v37, s5
	v_bfe_u32 v34, v1, 16, 1
	v_or_b32_e32 v37, 0x400000, v1
	v_cmp_u_f32_e64 s5, v1, v1
	v_add3_u32 v34, v34, v1, 0x7fff
	v_mul_f32_e32 v1, v118, v122
	v_cndmask_b32_e64 v73, v34, v37, s5
	v_bfe_u32 v34, v1, 16, 1
	v_or_b32_e32 v37, 0x400000, v1
	v_cmp_u_f32_e64 s5, v1, v1
	v_add3_u32 v34, v34, v1, 0x7fff
	v_mul_f32_e32 v1, v118, v121
	v_cndmask_b32_e64 v74, v34, v37, s5
	v_bfe_u32 v34, v1, 16, 1
	v_or_b32_e32 v37, 0x400000, v1
	v_cmp_u_f32_e64 s5, v1, v1
	v_add3_u32 v34, v34, v1, 0x7fff
	v_mul_f32_e32 v1, v118, v120
	v_cndmask_b32_e64 v75, v34, v37, s5
	v_bfe_u32 v34, v1, 16, 1
	v_or_b32_e32 v37, 0x400000, v1
	v_cmp_u_f32_e64 s5, v1, v1
	v_add3_u32 v34, v34, v1, 0x7fff
	v_mul_f32_e32 v1, v118, v111
	v_cndmask_b32_e64 v120, v34, v37, s5
	v_bfe_u32 v34, v1, 16, 1
	v_or_b32_e32 v37, 0x400000, v1
	v_cmp_u_f32_e64 s5, v1, v1
	v_add3_u32 v34, v34, v1, 0x7fff
	v_mul_f32_e32 v1, v118, v126
	v_cndmask_b32_e64 v122, v34, v37, s5
	v_bfe_u32 v34, v1, 16, 1
	v_or_b32_e32 v37, 0x400000, v1
	v_cmp_u_f32_e64 s5, v1, v1
	v_add3_u32 v34, v34, v1, 0x7fff
	v_mul_f32_e32 v1, v118, v125
	v_cndmask_b32_e64 v111, v34, v37, s5
	v_bfe_u32 v34, v1, 16, 1
	v_or_b32_e32 v37, 0x400000, v1
	v_cmp_u_f32_e64 s5, v1, v1
	v_add3_u32 v34, v34, v1, 0x7fff
	v_mul_f32_e32 v1, v118, v108
	v_cndmask_b32_e64 v121, v34, v37, s5
	v_bfe_u32 v34, v1, 16, 1
	v_or_b32_e32 v37, 0x400000, v1
	v_cmp_u_f32_e64 s5, v1, v1
	v_add3_u32 v34, v34, v1, 0x7fff
	v_mul_f32_e32 v1, v118, v107
	v_cndmask_b32_e64 v108, v34, v37, s5
	v_bfe_u32 v34, v1, 16, 1
	v_or_b32_e32 v37, 0x400000, v1
	v_cmp_u_f32_e64 s5, v1, v1
	v_add3_u32 v34, v34, v1, 0x7fff
	v_mul_f32_e32 v1, v118, v106
	v_cndmask_b32_e64 v107, v34, v37, s5
	v_bfe_u32 v34, v1, 16, 1
	v_or_b32_e32 v37, 0x400000, v1
	v_cmp_u_f32_e64 s5, v1, v1
	v_add3_u32 v34, v34, v1, 0x7fff
	v_mul_f32_e32 v1, v118, v105
	v_cndmask_b32_e64 v106, v34, v37, s5
	v_bfe_u32 v34, v1, 16, 1
	v_or_b32_e32 v37, 0x400000, v1
	v_cmp_u_f32_e64 s5, v1, v1
	v_add3_u32 v34, v34, v1, 0x7fff
	v_mul_f32_e32 v1, v118, v104
	v_cndmask_b32_e64 v105, v34, v37, s5
	v_bfe_u32 v34, v1, 16, 1
	v_or_b32_e32 v37, 0x400000, v1
	v_cmp_u_f32_e64 s5, v1, v1
	v_add3_u32 v34, v34, v1, 0x7fff
	v_mul_f32_e32 v1, v118, v95
	v_cndmask_b32_e64 v104, v34, v37, s5
	v_bfe_u32 v34, v1, 16, 1
	v_or_b32_e32 v37, 0x400000, v1
	v_cmp_u_f32_e64 s5, v1, v1
	v_add3_u32 v34, v34, v1, 0x7fff
	v_mul_f32_e32 v1, v118, v110
	v_cndmask_b32_e64 v123, v34, v37, s5
	v_bfe_u32 v34, v1, 16, 1
	v_or_b32_e32 v37, 0x400000, v1
	v_cmp_u_f32_e64 s5, v1, v1
	v_add3_u32 v34, v34, v1, 0x7fff
	v_mul_f32_e32 v1, v118, v109
	v_cndmask_b32_e64 v95, v34, v37, s5
	v_bfe_u32 v34, v1, 16, 1
	v_or_b32_e32 v37, 0x400000, v1
	v_cmp_u_f32_e64 s5, v1, v1
	v_add3_u32 v34, v34, v1, 0x7fff
	v_mul_f32_e32 v1, v118, v92
	v_cndmask_b32_e64 v109, v34, v37, s5
	v_bfe_u32 v34, v1, 16, 1
	v_or_b32_e32 v37, 0x400000, v1
	v_cmp_u_f32_e64 s5, v1, v1
	v_add3_u32 v34, v34, v1, 0x7fff
	v_mul_f32_e32 v1, v118, v91
	v_cndmask_b32_e64 v92, v34, v37, s5
	v_bfe_u32 v34, v1, 16, 1
	v_or_b32_e32 v37, 0x400000, v1
	v_cmp_u_f32_e64 s5, v1, v1
	v_add3_u32 v34, v34, v1, 0x7fff
	v_mul_f32_e32 v1, v118, v90
	v_cndmask_b32_e64 v91, v34, v37, s5
	v_bfe_u32 v34, v1, 16, 1
	v_or_b32_e32 v37, 0x400000, v1
	v_cmp_u_f32_e64 s5, v1, v1
	v_add3_u32 v34, v34, v1, 0x7fff
	v_mul_f32_e32 v1, v118, v89
	v_cndmask_b32_e64 v110, v34, v37, s5
	v_bfe_u32 v34, v1, 16, 1
	v_or_b32_e32 v37, 0x400000, v1
	v_cmp_u_f32_e64 s5, v1, v1
	v_add3_u32 v34, v34, v1, 0x7fff
	v_mul_f32_e32 v1, v118, v88
	v_cndmask_b32_e64 v124, v34, v37, s5
	v_bfe_u32 v34, v1, 16, 1
	v_or_b32_e32 v37, 0x400000, v1
	v_cmp_u_f32_e64 s5, v1, v1
	v_add3_u32 v34, v34, v1, 0x7fff
	v_mul_f32_e32 v1, v118, v79
	v_cndmask_b32_e64 v125, v34, v37, s5
	v_bfe_u32 v34, v1, 16, 1
	v_or_b32_e32 v37, 0x400000, v1
	v_cmp_u_f32_e64 s5, v1, v1
	v_add3_u32 v34, v34, v1, 0x7fff
	v_mul_f32_e32 v1, v118, v94
	v_cndmask_b32_e64 v126, v34, v37, s5
	v_bfe_u32 v34, v1, 16, 1
	v_or_b32_e32 v37, 0x400000, v1
	v_cmp_u_f32_e64 s5, v1, v1
	v_add3_u32 v34, v34, v1, 0x7fff
	v_mul_f32_e32 v1, v118, v93
	v_cndmask_b32_e64 v94, v34, v37, s5
	v_bfe_u32 v34, v1, 16, 1
	v_or_b32_e32 v37, 0x400000, v1
	v_cmp_u_f32_e64 s5, v1, v1
	v_add3_u32 v34, v34, v1, 0x7fff
	v_mul_f32_e32 v1, v118, v76
	v_cndmask_b32_e64 v93, v34, v37, s5
	v_bfe_u32 v34, v1, 16, 1
	v_or_b32_e32 v37, 0x400000, v1
	v_cmp_u_f32_e64 s5, v1, v1
	v_add3_u32 v34, v34, v1, 0x7fff
	s_waitcnt vmcnt(0)
	v_mul_f32_e32 v1, v118, v0
	buffer_load_dword v0, off, s[0:3], s32 offset:264 ; 4-byte Folded Reload
	v_cndmask_b32_e64 v127, v34, v37, s5
	v_bfe_u32 v34, v1, 16, 1
	v_or_b32_e32 v37, 0x400000, v1
	v_cmp_u_f32_e64 s5, v1, v1
	v_add3_u32 v34, v34, v1, 0x7fff
	v_cndmask_b32_e64 v115, v34, v37, s5
	s_waitcnt vmcnt(0)
	v_mul_f32_e32 v1, v118, v0
	buffer_load_dword v0, off, s[0:3], s32 offset:256 ; 4-byte Folded Reload
	v_bfe_u32 v34, v1, 16, 1
	v_or_b32_e32 v37, 0x400000, v1
	v_cmp_u_f32_e64 s5, v1, v1
	v_add3_u32 v34, v34, v1, 0x7fff
	v_cndmask_b32_e64 v1, v34, v37, s5
	v_mul_f32_e32 v34, v118, v42
	v_bfe_u32 v37, v34, 16, 1
	v_or_b32_e32 v101, 0x400000, v34
	v_cmp_u_f32_e64 s5, v34, v34
	v_add3_u32 v37, v37, v34, 0x7fff
	v_cndmask_b32_e64 v116, v37, v101, s5
	s_waitcnt vmcnt(0)
	v_mul_f32_e32 v34, v118, v0
	buffer_load_dword v0, off, s[0:3], s32 offset:252 ; 4-byte Folded Reload
	v_bfe_u32 v37, v34, 16, 1
	v_or_b32_e32 v101, 0x400000, v34
	v_cmp_u_f32_e64 s5, v34, v34
	v_add3_u32 v37, v37, v34, 0x7fff
	v_cndmask_b32_e64 v34, v37, v101, s5
	s_waitcnt vmcnt(0)
	v_mul_f32_e32 v37, v118, v0
	buffer_load_dword v0, off, s[0:3], s32 offset:244 ; 4-byte Folded Reload
	v_bfe_u32 v101, v37, 16, 1
	v_or_b32_e32 v113, 0x400000, v37
	v_cmp_u_f32_e64 s5, v37, v37
	v_add3_u32 v101, v101, v37, 0x7fff
	v_mul_f32_e32 v37, v118, v78
	v_cndmask_b32_e64 v113, v101, v113, s5
	v_bfe_u32 v101, v37, 16, 1
	v_or_b32_e32 v76, 0x400000, v37
	v_cmp_u_f32_e64 s5, v37, v37
	v_add3_u32 v101, v101, v37, 0x7fff
	v_mul_f32_e32 v37, v118, v77
	v_cndmask_b32_e64 v101, v101, v76, s5
	v_bfe_u32 v76, v37, 16, 1
	v_or_b32_e32 v77, 0x400000, v37
	v_cmp_u_f32_e64 s5, v37, v37
	v_add3_u32 v76, v76, v37, 0x7fff
	v_cndmask_b32_e64 v37, v76, v77, s5
	s_waitcnt vmcnt(0)
	v_mul_f32_e32 v76, v118, v0
	buffer_load_dword v0, off, s[0:3], s32 offset:240 ; 4-byte Folded Reload
	v_bfe_u32 v77, v76, 16, 1
	v_or_b32_e32 v78, 0x400000, v76
	v_cmp_u_f32_e64 s5, v76, v76
	v_add3_u32 v77, v77, v76, 0x7fff
	v_cndmask_b32_e64 v88, v77, v78, s5
	s_waitcnt vmcnt(0)
	v_mul_f32_e32 v76, v118, v0
	buffer_load_dword v0, off, s[0:3], s32 offset:236 ; 4-byte Folded Reload
	;; [unrolled: 8-line block ×6, first 2 shown]
	v_bfe_u32 v77, v76, 16, 1
	v_or_b32_e32 v117, 0x400000, v76
	v_cmp_u_f32_e64 s5, v76, v76
	v_add3_u32 v77, v77, v76, 0x7fff
	v_cndmask_b32_e64 v117, v77, v117, s5
	v_and_b32_e32 v117, 0xffff0000, v117
	s_waitcnt vmcnt(0)
	v_mul_f32_e32 v76, v118, v0
	v_bfe_u32 v77, v76, 16, 1
	v_or_b32_e32 v0, 0x400000, v76
	v_cmp_u_f32_e64 s5, v76, v76
	v_add3_u32 v77, v77, v76, 0x7fff
	v_mul_f32_e32 v76, v118, v29
	buffer_load_dword v29, off, s[0:3], s32 offset:272 ; 4-byte Folded Reload
	v_cndmask_b32_e64 v0, v77, v0, s5
	v_bfe_u32 v77, v76, 16, 1
	v_or_b32_e32 v112, 0x400000, v76
	v_cmp_u_f32_e64 s5, v76, v76
	v_and_b32_e32 v0, 0xffff0000, v0
	v_add3_u32 v77, v77, v76, 0x7fff
	v_mul_f32_e32 v76, v118, v119
	v_cndmask_b32_e64 v112, v77, v112, s5
	v_bfe_u32 v77, v76, 16, 1
	v_or_b32_e32 v119, 0x400000, v76
	v_cmp_u_f32_e64 s5, v76, v76
	v_add3_u32 v77, v77, v76, 0x7fff
	v_mul_f32_e32 v76, v118, v40
	v_cndmask_b32_e64 v119, v77, v119, s5
	v_bfe_u32 v77, v76, 16, 1
	v_or_b32_e32 v40, 0x400000, v76
	v_cmp_u_f32_e64 s5, v76, v76
	v_add3_u32 v77, v77, v76, 0x7fff
	v_cndmask_b32_e64 v40, v77, v40, s5
	s_waitcnt vmcnt(0)
	v_mul_f32_e32 v76, v118, v29
	v_bfe_u32 v77, v76, 16, 1
	v_or_b32_e32 v29, 0x400000, v76
	v_cmp_u_f32_e64 s5, v76, v76
	v_add3_u32 v77, v77, v76, 0x7fff
	v_cndmask_b32_e64 v41, v77, v29, s5
	v_mul_f32_e32 v29, v118, v96
	v_bfe_u32 v76, v29, 16, 1
	v_or_b32_e32 v77, 0x400000, v29
	v_cmp_u_f32_e64 s5, v29, v29
	v_add3_u32 v76, v76, v29, 0x7fff
	buffer_load_dword v29, off, s[0:3], s32 offset:260 ; 4-byte Folded Reload
	v_cndmask_b32_e64 v102, v76, v77, s5
	v_and_b32_e32 v102, 0xffff0000, v102
	s_waitcnt vmcnt(0)
	v_mul_f32_e32 v29, v118, v29
	v_bfe_u32 v76, v29, 16, 1
	v_or_b32_e32 v77, 0x400000, v29
	v_cmp_u_f32_e64 s5, v29, v29
	v_add3_u32 v76, v76, v29, 0x7fff
	v_mul_f32_e32 v29, v118, v97
	v_cndmask_b32_e64 v42, v76, v77, s5
	v_bfe_u32 v76, v29, 16, 1
	v_or_b32_e32 v77, 0x400000, v29
	v_cmp_u_f32_e64 s5, v29, v29
	v_add3_u32 v76, v76, v29, 0x7fff
	buffer_load_dword v29, off, s[0:3], s32 offset:276 ; 4-byte Folded Reload
	v_cndmask_b32_e64 v48, v76, v77, s5
	v_and_b32_e32 v48, 0xffff0000, v48
	s_waitcnt vmcnt(0)
	v_mul_f32_e32 v29, v118, v29
	v_bfe_u32 v76, v29, 16, 1
	v_or_b32_e32 v77, 0x400000, v29
	v_cmp_u_f32_e64 s5, v29, v29
	v_add3_u32 v76, v76, v29, 0x7fff
	buffer_load_dword v29, off, s[0:3], s32 offset:224 ; 4-byte Folded Reload
	v_cndmask_b32_e64 v97, v76, v77, s5
	s_waitcnt vmcnt(0)
	v_mul_f32_e32 v29, v118, v29
	v_bfe_u32 v76, v29, 16, 1
	v_or_b32_e32 v77, 0x400000, v29
	v_cmp_u_f32_e64 s5, v29, v29
	v_add3_u32 v76, v76, v29, 0x7fff
	v_mul_f32_e32 v29, v118, v61
	v_cndmask_b32_e64 v96, v76, v77, s5
	v_bfe_u32 v61, v29, 16, 1
	v_or_b32_e32 v76, 0x400000, v29
	v_cmp_u_f32_e64 s5, v29, v29
	v_add3_u32 v61, v61, v29, 0x7fff
	v_mul_f32_e32 v29, v118, v99
	v_cndmask_b32_e64 v61, v61, v76, s5
	;; [unrolled: 6-line block ×7, first 2 shown]
	v_mul_f32_e32 v30, v118, v62
	v_bfe_u32 v118, v29, 16, 1
	v_or_b32_e32 v62, 0x400000, v29
	v_cmp_u_f32_e64 s5, v29, v29
	v_add3_u32 v118, v118, v29, 0x7fff
	v_cndmask_b32_e64 v29, v118, v62, s5
	v_bfe_u32 v118, v30, 16, 1
	v_or_b32_e32 v62, 0x400000, v30
	v_cmp_u_f32_e64 s5, v30, v30
	v_add3_u32 v118, v118, v30, 0x7fff
	v_cndmask_b32_e64 v30, v118, v62, s5
	buffer_load_dword v118, off, s[0:3], s32 offset:396 ; 4-byte Folded Reload
	s_waitcnt vmcnt(0)
	v_mul_f32_e32 v118, v118, v117
	buffer_load_dword v117, off, s[0:3], s32 offset:364 ; 4-byte Folded Reload
	s_waitcnt vmcnt(0)
	v_fmac_f32_e32 v118, v117, v48
	v_and_b32_e32 v117, 0xffff0000, v42
	buffer_load_dword v42, off, s[0:3], s32 offset:400 ; 4-byte Folded Reload
	v_and_b32_e32 v48, 0xffff0000, v90
	s_waitcnt vmcnt(0)
	v_mul_f32_e32 v62, v42, v48
	buffer_load_dword v48, off, s[0:3], s32 offset:368 ; 4-byte Folded Reload
	s_waitcnt vmcnt(0)
	v_fmac_f32_e32 v62, v48, v117
	buffer_load_dword v117, off, s[0:3], s32 offset:404 ; 4-byte Folded Reload
	v_and_b32_e32 v48, 0xffff0000, v89
	s_waitcnt vmcnt(0)
	v_mul_f32_e32 v63, v117, v48
	s_clause 0x1
	buffer_load_dword v48, off, s[0:3], s32 offset:372
	buffer_load_dword v117, off, s[0:3], s32 offset:408
	s_waitcnt vmcnt(1)
	v_fmac_f32_e32 v63, v48, v102
	v_and_b32_e32 v48, 0xffff0000, v78
	v_and_b32_e32 v102, 0xffff0000, v41
	s_waitcnt vmcnt(0)
	v_mul_f32_e32 v78, v117, v48
	s_clause 0x1
	buffer_load_dword v48, off, s[0:3], s32 offset:376
	buffer_load_dword v117, off, s[0:3], s32 offset:412
	s_waitcnt vmcnt(1)
	v_fmac_f32_e32 v78, v48, v102
	v_and_b32_e32 v48, 0xffff0000, v79
	;; [unrolled: 9-line block ×3, first 2 shown]
	v_and_b32_e32 v102, 0xffff0000, v119
	s_waitcnt vmcnt(0)
	v_mul_f32_e32 v88, v117, v48
	buffer_load_dword v48, off, s[0:3], s32 offset:384 ; 4-byte Folded Reload
	s_waitcnt vmcnt(0)
	v_fmac_f32_e32 v88, v48, v102
	v_and_b32_e32 v48, 0xffff0000, v97
	buffer_load_dword v97, off, s[0:3], s32 offset:420 ; 4-byte Folded Reload
	s_waitcnt vmcnt(0)
	v_mul_f32_e32 v89, v97, v0
	buffer_load_dword v0, off, s[0:3], s32 offset:388 ; 4-byte Folded Reload
	s_waitcnt vmcnt(0)
	v_fmac_f32_e32 v89, v0, v48
	v_and_b32_e32 v48, 0xffff0000, v96
	buffer_load_dword v96, off, s[0:3], s32 offset:424 ; 4-byte Folded Reload
	v_and_b32_e32 v0, 0xffff0000, v112
	s_waitcnt vmcnt(0)
	v_mul_f32_e32 v90, v96, v0
	buffer_load_dword v0, off, s[0:3], s32 offset:392 ; 4-byte Folded Reload
	s_waitcnt vmcnt(0)
	v_fmac_f32_e32 v90, v0, v48
	buffer_load_dword v48, off, s[0:3], s32 offset:444 ; 4-byte Folded Reload
	v_and_b32_e32 v0, 0xffff0000, v113
	s_waitcnt vmcnt(0)
	v_fmac_f32_e32 v118, v48, v0
	v_and_b32_e32 v0, 0xffff0000, v34
	buffer_load_dword v34, off, s[0:3], s32 offset:448 ; 4-byte Folded Reload
	s_waitcnt vmcnt(0)
	v_fmac_f32_e32 v62, v34, v0
	buffer_load_dword v34, off, s[0:3], s32 offset:456 ; 4-byte Folded Reload
	v_and_b32_e32 v0, 0xffff0000, v116
	s_waitcnt vmcnt(0)
	v_fmac_f32_e32 v63, v34, v0
	v_and_b32_e32 v0, 0xffff0000, v1
	buffer_load_dword v1, off, s[0:3], s32 offset:460 ; 4-byte Folded Reload
	s_waitcnt vmcnt(0)
	v_fmac_f32_e32 v78, v1, v0
	buffer_load_dword v1, off, s[0:3], s32 offset:464 ; 4-byte Folded Reload
	v_and_b32_e32 v0, 0xffff0000, v115
	s_waitcnt vmcnt(0)
	v_fmac_f32_e32 v79, v1, v0
	buffer_load_dword v1, off, s[0:3], s32 offset:468 ; 4-byte Folded Reload
	v_and_b32_e32 v0, 0xffff0000, v127
	;; [unrolled: 4-line block ×44, first 2 shown]
	buffer_load_dword v2, off, s[0:3], s32 offset:876 ; 4-byte Folded Reload
	s_waitcnt vmcnt(1)
	v_fmac_f32_e32 v90, v1, v0
	buffer_load_dword v1, off, s[0:3], s32 offset:640 ; 4-byte Folded Reload
	v_and_b32_e32 v0, 0xffff0000, v66
	s_waitcnt vmcnt(0)
	v_fmac_f32_e32 v118, v1, v0
	buffer_load_dword v1, off, s[0:3], s32 offset:644 ; 4-byte Folded Reload
	v_and_b32_e32 v0, 0xffff0000, v26
	;; [unrolled: 4-line block ×45, first 2 shown]
	s_waitcnt vmcnt(0)
	v_fmac_f32_e32 v79, v1, v0
	s_clause 0x1
	buffer_load_dword v0, off, s[0:3], s32 offset:340
	buffer_load_dword v1, off, s[0:3], s32 offset:820
	s_waitcnt vmcnt(1)
	v_and_b32_e32 v0, 0xffff0000, v0
	s_waitcnt vmcnt(0)
	v_fmac_f32_e32 v88, v1, v0
	buffer_load_dword v1, off, s[0:3], s32 offset:824 ; 4-byte Folded Reload
	v_and_b32_e32 v0, 0xffff0000, v44
	s_waitcnt vmcnt(0)
	v_fmac_f32_e32 v89, v1, v0
	buffer_load_dword v1, off, s[0:3], s32 offset:828 ; 4-byte Folded Reload
	v_and_b32_e32 v0, 0xffff0000, v45
	s_waitcnt vmcnt(0)
	v_fmac_f32_e32 v90, v1, v0
	s_clause 0x1
	buffer_load_dword v0, off, s[0:3], s32 offset:336
	buffer_load_dword v1, off, s[0:3], s32 offset:832
	s_waitcnt vmcnt(1)
	v_and_b32_e32 v0, 0xffff0000, v0
	s_waitcnt vmcnt(0)
	v_fmac_f32_e32 v118, v1, v0
	s_clause 0x1
	buffer_load_dword v0, off, s[0:3], s32 offset:328
	buffer_load_dword v1, off, s[0:3], s32 offset:836
	s_waitcnt vmcnt(1)
	;; [unrolled: 7-line block ×8, first 2 shown]
	v_and_b32_e32 v0, 0xffff0000, v0
	s_waitcnt vmcnt(0)
	v_fmac_f32_e32 v90, v1, v0
	buffer_load_dword v1, off, s[0:3], s32 offset:864 ; 4-byte Folded Reload
	v_and_b32_e32 v0, 0xffff0000, v77
	s_waitcnt vmcnt(0)
	v_fmac_f32_e32 v118, v1, v0
	buffer_load_dword v1, off, s[0:3], s32 offset:868 ; 4-byte Folded Reload
	;; [unrolled: 4-line block ×3, first 2 shown]
	v_and_b32_e32 v0, 0xffff0000, v47
	s_waitcnt vmcnt(0)
	v_fmac_f32_e32 v63, v1, v0
	v_and_b32_e32 v1, 0xffff0000, v56
	v_add_f32_e32 v0, v118, v62
	v_fmac_f32_e32 v78, v2, v1
	buffer_load_dword v2, off, s[0:3], s32 offset:880 ; 4-byte Folded Reload
	v_and_b32_e32 v1, 0xffff0000, v99
	v_add_f32_e32 v0, v0, v63
	v_add_f32_e32 v0, v78, v0
	s_waitcnt vmcnt(0)
	v_fmac_f32_e32 v79, v2, v1
	buffer_load_dword v2, off, s[0:3], s32 offset:884 ; 4-byte Folded Reload
	v_and_b32_e32 v1, 0xffff0000, v61
	v_add_f32_e32 v0, v79, v0
	s_waitcnt vmcnt(0)
	v_fmac_f32_e32 v88, v2, v1
	buffer_load_dword v2, off, s[0:3], s32 offset:888 ; 4-byte Folded Reload
	v_and_b32_e32 v1, 0xffff0000, v29
	;; [unrolled: 5-line block ×3, first 2 shown]
	v_add_f32_e32 v0, v89, v0
	s_waitcnt vmcnt(0)
	v_fmac_f32_e32 v90, v2, v1
	s_clause 0x4
	buffer_load_dword v1, off, s[0:3], s32 offset:904
	buffer_load_dword v5, off, s[0:3], s32 offset:300
	;; [unrolled: 1-line block ×5, first 2 shown]
	v_add_f32_e32 v0, v90, v0
	s_load_dword s20, s[8:9], 0x0
	s_waitcnt vmcnt(3)
	v_add_nc_u32_e32 v1, v1, v5
	v_cvt_f32_i32_e32 v1, v1
	s_waitcnt vmcnt(2)
	v_mul_f32_e32 v1, v2, v1
	buffer_load_dword v2, off, s[0:3], s32 offset:360 ; 4-byte Folded Reload
	v_cndmask_b32_e32 v1, 0, v1, vcc_lo
	s_waitcnt vmcnt(0)
	v_fmac_f32_e32 v1, v2, v0
	buffer_load_dword v0, off, s[0:3], s32 offset:428 ; 4-byte Folded Reload
	s_waitcnt vmcnt(0)
	v_add_nc_u32_e32 v0, v0, v5
	v_cmp_lt_i32_e64 s5, v0, v32
	s_waitcnt lgkmcnt(0)
	v_add_nc_u32_e32 v0, s20, v6
	v_cndmask_b32_e64 v2, 0, v1, s5
	ds_write_b32 v0, v2
	v_max_f32_e32 v0, v9, v9
	v_max_f32_e32 v0, v0, v1
	v_cndmask_b32_e64 v9, v9, v0, s5
.LBB353_14:                             ;   in Loop: Header=BB353_15 Depth=1
	s_or_b32 exec_lo, exec_lo, s6
	s_clause 0x1
	buffer_load_dword v1, off, s[0:3], s32 offset:220
	buffer_load_dword v0, off, s[0:3], s32 offset:192
	v_add_co_u32 v15, s5, v15, 16
	v_add_co_ci_u32_e64 v16, null, 0, v16, s5
	v_add_nc_u32_e32 v5, 0x80, v5
	v_add_nc_u32_e32 v6, 0x200, v6
	s_waitcnt vmcnt(1)
	v_add_nc_u32_e32 v1, 4, v1
	s_waitcnt vmcnt(0)
	v_cmp_ge_i32_e64 s5, v1, v0
	s_or_b32 s18, s5, s18
	s_andn2_b32 exec_lo, exec_lo, s18
	s_cbranch_execz .LBB353_1039
.LBB353_15:                             ; =>This Inner Loop Header: Depth=1
	buffer_load_dword v0, off, s[0:3], s32 offset:212 ; 4-byte Folded Reload
	buffer_store_dword v1, off, s[0:3], s32 offset:220 ; 4-byte Folded Spill
	s_waitcnt vmcnt(0)
	v_mul_hi_u32 v1, v5, v0
	buffer_load_dword v0, off, s[0:3], s32 offset:196 ; 4-byte Folded Reload
	v_add_nc_u32_e32 v3, 1, v1
	s_waitcnt vmcnt(0)
	v_mul_lo_u32 v2, v1, v0
	v_sub_nc_u32_e32 v2, v5, v2
	v_sub_nc_u32_e32 v4, v2, v0
	v_cmp_ge_u32_e64 s5, v2, v0
	v_cndmask_b32_e64 v2, v2, v4, s5
	v_cndmask_b32_e64 v1, v1, v3, s5
	v_cmp_ge_u32_e64 s5, v2, v0
	buffer_load_dword v0, off, s[0:3], s32 offset:208 ; 4-byte Folded Reload
	v_add_nc_u32_e32 v3, 1, v1
	v_cndmask_b32_e64 v1, v1, v3, s5
	s_clause 0x1
	buffer_load_dword v2, off, s[0:3], s32 offset:200
	buffer_load_dword v3, off, s[0:3], s32 offset:204
	s_waitcnt vmcnt(2)
	v_xor_b32_e32 v1, v1, v0
	v_sub_nc_u32_e32 v1, v1, v0
	buffer_load_dword v0, off, s[0:3], s32 offset:292 ; 4-byte Folded Reload
	s_waitcnt vmcnt(2)
	v_add_nc_u32_e32 v2, v1, v2
	s_waitcnt vmcnt(1)
	v_sub_nc_u32_e32 v3, 0, v2
	v_max_i32_e32 v3, v2, v3
	v_ashrrev_i32_e32 v2, 31, v2
	s_waitcnt vmcnt(0)
	v_mul_hi_u32 v4, v3, v0
	buffer_load_dword v0, off, s[0:3], s32 offset:288 ; 4-byte Folded Reload
	s_waitcnt vmcnt(0)
	v_mul_lo_u32 v4, v4, v0
	v_sub_nc_u32_e32 v3, v3, v4
	v_sub_nc_u32_e32 v4, v3, v0
	v_cmp_ge_u32_e64 s5, v3, v0
	v_cndmask_b32_e64 v3, v3, v4, s5
	v_sub_nc_u32_e32 v4, v3, v0
	v_cmp_ge_u32_e64 s5, v3, v0
	buffer_load_dword v0, off, s[0:3], s32 offset:216 ; 4-byte Folded Reload
	v_cndmask_b32_e64 v3, v3, v4, s5
	v_xor_b32_e32 v3, v3, v2
	v_sub_nc_u32_e32 v2, v3, v2
	v_cmp_ne_u32_e64 s5, 0, v2
	s_waitcnt vmcnt(0)
	v_cmp_le_i32_e64 s6, v1, v0
	s_and_b32 s5, s5, s6
	s_and_saveexec_b32 s6, s5
	s_xor_b32 s5, exec_lo, s6
	s_cbranch_execz .LBB353_17
; %bb.16:                               ;   in Loop: Header=BB353_15 Depth=1
	s_waitcnt lgkmcnt(0)
	v_add_nc_u32_e32 v1, s19, v6
	v_mov_b32_e32 v2, 0xff7fffff
	ds_write_b32 v1, v2
.LBB353_17:                             ;   in Loop: Header=BB353_15 Depth=1
	s_andn2_saveexec_b32 s6, s5
	s_cbranch_execz .LBB353_14
; %bb.18:                               ;   in Loop: Header=BB353_15 Depth=1
	buffer_store_dword v6, off, s[0:3], s32 offset:304 ; 4-byte Folded Spill
	buffer_store_dword v5, off, s[0:3], s32 offset:300 ; 4-byte Folded Spill
	buffer_store_dword v9, off, s[0:3], s32 offset:296 ; 4-byte Folded Spill
	flat_load_dword v1, v[15:16]
	s_clause 0x2
	buffer_load_dword v0, off, s[0:3], s32 offset:356
	buffer_load_dword v2, off, s[0:3], s32 offset:896
	;; [unrolled: 1-line block ×3, first 2 shown]
	v_mov_b32_e32 v97, 0
	s_waitcnt vmcnt(0) lgkmcnt(0)
	v_mad_i64_i32 v[24:25], null, v1, v0, v[2:3]
	flat_load_dwordx2 v[27:28], v[24:25]
	s_clause 0x1
	buffer_load_dword v0, off, s[0:3], s32 offset:348
	buffer_load_dword v1, off, s[0:3], s32 offset:352
	s_waitcnt vmcnt(2) lgkmcnt(0)
	v_cmp_ne_u16_sdwa s5, v27, v14 src0_sel:BYTE_0 src1_sel:DWORD
	s_waitcnt vmcnt(0)
	flat_load_dword v118, v[0:1]
	v_mov_b32_e32 v0, 0
	buffer_store_dword v0, off, s[0:3], s32 offset:260 ; 4-byte Folded Spill
	s_mov_b32 s20, exec_lo
	v_mov_b32_e32 v9, 0xff
	s_and_b32 s5, s20, s5
	s_mov_b32 exec_lo, s5
	s_cbranch_execz .LBB353_26
; %bb.19:                               ;   in Loop: Header=BB353_15 Depth=1
	v_cmp_ne_u16_sdwa s5, v27, v114 src0_sel:BYTE_0 src1_sel:DWORD
	v_bfrev_b32_e32 v97, 1
	s_and_saveexec_b32 s21, s5
	s_cbranch_execz .LBB353_25
; %bb.20:                               ;   in Loop: Header=BB353_15 Depth=1
	v_and_b32_e32 v2, 0x7f, v27
	v_mov_b32_e32 v97, 0x7f800001
	s_mov_b32 s22, exec_lo
	v_cmpx_ne_u32_e32 0x7f, v2
	s_cbranch_execz .LBB353_24
; %bb.21:                               ;   in Loop: Header=BB353_15 Depth=1
	v_mov_b32_e32 v30, v28
	v_lshrrev_b32_e32 v1, 3, v2
	v_mov_b32_e32 v29, v27
	s_mov_b32 s23, exec_lo
	v_cmpx_gt_u32_e32 8, v2
; %bb.22:                               ;   in Loop: Header=BB353_15 Depth=1
	v_and_b32_e32 v1, 7, v27
	v_ffbh_u32_e32 v1, v1
	v_min_u32_e32 v1, 32, v1
	v_subrev_nc_u32_e32 v2, 28, v1
	v_sub_nc_u32_e32 v1, 29, v1
	v_lshlrev_b64 v[29:30], v2, v[27:28]
; %bb.23:                               ;   in Loop: Header=BB353_15 Depth=1
	s_or_b32 exec_lo, exec_lo, s23
	v_lshlrev_b32_e32 v2, 20, v29
	v_lshlrev_b32_e32 v3, 24, v27
	v_lshl_add_u32 v1, v1, 23, 0x3c000000
	v_and_b32_e32 v2, 0x700000, v2
	v_and_b32_e32 v3, 0x80000000, v3
	v_or3_b32 v97, v2, v3, v1
.LBB353_24:                             ;   in Loop: Header=BB353_15 Depth=1
	s_or_b32 exec_lo, exec_lo, s22
.LBB353_25:                             ;   in Loop: Header=BB353_15 Depth=1
	s_or_b32 exec_lo, exec_lo, s21
.LBB353_26:                             ;   in Loop: Header=BB353_15 Depth=1
	s_or_b32 exec_lo, exec_lo, s20
	v_cmp_ne_u16_sdwa s5, v27, v14 src0_sel:BYTE_1 src1_sel:DWORD
	s_and_saveexec_b32 s20, s5
	s_cbranch_execz .LBB353_34
; %bb.27:                               ;   in Loop: Header=BB353_15 Depth=1
	v_cmp_ne_u16_sdwa s5, v27, v114 src0_sel:BYTE_1 src1_sel:DWORD
	v_bfrev_b32_e32 v0, 1
	buffer_store_dword v0, off, s[0:3], s32 offset:260 ; 4-byte Folded Spill
	s_and_saveexec_b32 s21, s5
	s_cbranch_execz .LBB353_33
; %bb.28:                               ;   in Loop: Header=BB353_15 Depth=1
	v_mov_b32_e32 v0, 0xffff
	s_mov_b32 s22, exec_lo
	v_and_b32_sdwa v1, v0, v27 dst_sel:DWORD dst_unused:UNUSED_PAD src0_sel:DWORD src1_sel:BYTE_1
	v_mov_b32_e32 v0, 0x7f800001
	v_and_b32_e32 v2, 0x7f, v1
	buffer_store_dword v0, off, s[0:3], s32 offset:260 ; 4-byte Folded Spill
	v_cmpx_ne_u32_e32 0x7f, v2
	s_cbranch_execz .LBB353_32
; %bb.29:                               ;   in Loop: Header=BB353_15 Depth=1
	v_and_b32_e32 v13, 7, v1
	v_mov_b32_e32 v30, v14
	v_lshrrev_b32_e32 v1, 3, v2
	s_mov_b32 s23, exec_lo
	v_mov_b32_e32 v29, v13
	v_cmpx_gt_u32_e32 8, v2
; %bb.30:                               ;   in Loop: Header=BB353_15 Depth=1
	v_ffbh_u32_e32 v1, v13
	v_min_u32_e32 v1, 32, v1
	v_subrev_nc_u32_e32 v2, 28, v1
	v_sub_nc_u32_e32 v1, 29, v1
	v_lshlrev_b64 v[2:3], v2, v[13:14]
	v_and_b32_e32 v29, 7, v2
; %bb.31:                               ;   in Loop: Header=BB353_15 Depth=1
	s_or_b32 exec_lo, exec_lo, s23
	v_lshlrev_b32_e32 v2, 16, v27
	v_lshlrev_b32_e32 v3, 20, v29
	v_lshl_add_u32 v1, v1, 23, 0x3c000000
	v_and_b32_e32 v2, 0x80000000, v2
	v_or3_b32 v0, v3, v2, v1
	buffer_store_dword v0, off, s[0:3], s32 offset:260 ; 4-byte Folded Spill
.LBB353_32:                             ;   in Loop: Header=BB353_15 Depth=1
	s_or_b32 exec_lo, exec_lo, s22
.LBB353_33:                             ;   in Loop: Header=BB353_15 Depth=1
	s_or_b32 exec_lo, exec_lo, s21
.LBB353_34:                             ;   in Loop: Header=BB353_15 Depth=1
	s_or_b32 exec_lo, exec_lo, s20
	v_and_b32_sdwa v1, v27, v9 dst_sel:DWORD dst_unused:UNUSED_PAD src0_sel:WORD_1 src1_sel:DWORD
	v_mov_b32_e32 v0, 0
	v_mov_b32_e32 v116, 0
	s_mov_b32 s20, exec_lo
	buffer_store_dword v0, off, s[0:3], s32 offset:272 ; 4-byte Folded Spill
	v_cmpx_ne_u16_e32 0, v1
	s_cbranch_execz .LBB353_42
; %bb.35:                               ;   in Loop: Header=BB353_15 Depth=1
	v_bfrev_b32_e32 v116, 1
	s_mov_b32 s21, exec_lo
	v_cmpx_ne_u16_e32 0x80, v1
	s_cbranch_execz .LBB353_41
; %bb.36:                               ;   in Loop: Header=BB353_15 Depth=1
	v_bfe_u32 v2, v27, 16, 7
	v_mov_b32_e32 v116, 0x7f800001
	s_mov_b32 s22, exec_lo
	v_cmpx_ne_u32_e32 0x7f, v2
	s_cbranch_execz .LBB353_40
; %bb.37:                               ;   in Loop: Header=BB353_15 Depth=1
	v_mov_b32_e32 v0, 7
	v_lshrrev_b32_e32 v1, 3, v2
	s_mov_b32 s23, exec_lo
	v_and_b32_sdwa v13, v27, v0 dst_sel:DWORD dst_unused:UNUSED_PAD src0_sel:WORD_1 src1_sel:DWORD
	v_mov_b32_e32 v30, v14
	v_mov_b32_e32 v29, v13
	v_cmpx_gt_u32_e32 8, v2
; %bb.38:                               ;   in Loop: Header=BB353_15 Depth=1
	v_ffbh_u32_e32 v1, v13
	v_min_u32_e32 v1, 32, v1
	v_subrev_nc_u32_e32 v2, 28, v1
	v_sub_nc_u32_e32 v1, 29, v1
	v_lshlrev_b64 v[2:3], v2, v[13:14]
	v_and_b32_e32 v29, 7, v2
; %bb.39:                               ;   in Loop: Header=BB353_15 Depth=1
	s_or_b32 exec_lo, exec_lo, s23
	v_mov_b32_e32 v0, 24
	v_lshlrev_b32_e32 v3, 20, v29
	v_lshl_add_u32 v1, v1, 23, 0x3c000000
	v_lshlrev_b32_sdwa v2, v0, v27 dst_sel:DWORD dst_unused:UNUSED_PAD src0_sel:DWORD src1_sel:WORD_1
	v_and_b32_e32 v2, 0x80000000, v2
	v_or3_b32 v116, v3, v2, v1
.LBB353_40:                             ;   in Loop: Header=BB353_15 Depth=1
	s_or_b32 exec_lo, exec_lo, s22
.LBB353_41:                             ;   in Loop: Header=BB353_15 Depth=1
	s_or_b32 exec_lo, exec_lo, s21
.LBB353_42:                             ;   in Loop: Header=BB353_15 Depth=1
	s_or_b32 exec_lo, exec_lo, s20
	s_mov_b32 s20, exec_lo
	v_cmpx_lt_u32_e32 0xffffff, v27
	s_cbranch_execz .LBB353_50
; %bb.43:                               ;   in Loop: Header=BB353_15 Depth=1
	v_cmp_ne_u32_sdwa s5, v27, v114 src0_sel:BYTE_3 src1_sel:DWORD
	v_bfrev_b32_e32 v0, 1
	buffer_store_dword v0, off, s[0:3], s32 offset:272 ; 4-byte Folded Spill
	s_and_saveexec_b32 s21, s5
	s_cbranch_execz .LBB353_49
; %bb.44:                               ;   in Loop: Header=BB353_15 Depth=1
	v_bfe_u32 v2, v27, 24, 7
	v_mov_b32_e32 v0, 0x7f800001
	s_mov_b32 s22, exec_lo
	buffer_store_dword v0, off, s[0:3], s32 offset:272 ; 4-byte Folded Spill
	v_cmpx_ne_u32_e32 0x7f, v2
	s_cbranch_execz .LBB353_48
; %bb.45:                               ;   in Loop: Header=BB353_15 Depth=1
	v_mov_b32_e32 v0, 7
	v_lshrrev_b32_e32 v1, 3, v2
	s_mov_b32 s23, exec_lo
	v_and_b32_sdwa v13, v27, v0 dst_sel:DWORD dst_unused:UNUSED_PAD src0_sel:BYTE_3 src1_sel:DWORD
	v_mov_b32_e32 v30, v14
	v_mov_b32_e32 v29, v13
	v_cmpx_gt_u32_e32 8, v2
; %bb.46:                               ;   in Loop: Header=BB353_15 Depth=1
	v_ffbh_u32_e32 v1, v13
	v_min_u32_e32 v1, 32, v1
	v_subrev_nc_u32_e32 v2, 28, v1
	v_sub_nc_u32_e32 v1, 29, v1
	v_lshlrev_b64 v[2:3], v2, v[13:14]
	v_and_b32_e32 v29, 7, v2
; %bb.47:                               ;   in Loop: Header=BB353_15 Depth=1
	s_or_b32 exec_lo, exec_lo, s23
	v_mov_b32_e32 v0, 24
	v_lshlrev_b32_e32 v3, 20, v29
	v_lshl_add_u32 v1, v1, 23, 0x3c000000
	v_lshlrev_b32_sdwa v2, v0, v27 dst_sel:DWORD dst_unused:UNUSED_PAD src0_sel:DWORD src1_sel:BYTE_3
	v_and_b32_e32 v2, 0x80000000, v2
	v_or3_b32 v0, v3, v2, v1
	buffer_store_dword v0, off, s[0:3], s32 offset:272 ; 4-byte Folded Spill
.LBB353_48:                             ;   in Loop: Header=BB353_15 Depth=1
	s_or_b32 exec_lo, exec_lo, s22
.LBB353_49:                             ;   in Loop: Header=BB353_15 Depth=1
	s_or_b32 exec_lo, exec_lo, s21
.LBB353_50:                             ;   in Loop: Header=BB353_15 Depth=1
	s_or_b32 exec_lo, exec_lo, s20
	v_mov_b32_e32 v13, v28
	v_cmp_ne_u16_sdwa s5, v28, v14 src0_sel:BYTE_0 src1_sel:DWORD
	v_mov_b32_e32 v119, 0
	v_mov_b32_e32 v40, 0
	s_and_saveexec_b32 s20, s5
	s_cbranch_execz .LBB353_58
; %bb.51:                               ;   in Loop: Header=BB353_15 Depth=1
	v_cmp_ne_u16_sdwa s5, v28, v114 src0_sel:BYTE_0 src1_sel:DWORD
	v_bfrev_b32_e32 v40, 1
	s_and_saveexec_b32 s21, s5
	s_cbranch_execz .LBB353_57
; %bb.52:                               ;   in Loop: Header=BB353_15 Depth=1
	v_and_b32_e32 v2, 0x7f, v28
	v_mov_b32_e32 v40, 0x7f800001
	s_mov_b32 s22, exec_lo
	v_cmpx_ne_u32_e32 0x7f, v2
	s_cbranch_execz .LBB353_56
; %bb.53:                               ;   in Loop: Header=BB353_15 Depth=1
	v_mov_b32_e32 v30, v14
	v_lshrrev_b32_e32 v1, 3, v2
	v_mov_b32_e32 v29, v13
	s_mov_b32 s23, exec_lo
	v_cmpx_gt_u32_e32 8, v2
; %bb.54:                               ;   in Loop: Header=BB353_15 Depth=1
	v_and_b32_e32 v1, 7, v28
	v_ffbh_u32_e32 v1, v1
	v_min_u32_e32 v1, 32, v1
	v_subrev_nc_u32_e32 v2, 28, v1
	v_sub_nc_u32_e32 v1, 29, v1
	v_lshlrev_b64 v[29:30], v2, v[13:14]
; %bb.55:                               ;   in Loop: Header=BB353_15 Depth=1
	s_or_b32 exec_lo, exec_lo, s23
	v_lshlrev_b32_e32 v2, 20, v29
	v_lshlrev_b32_e32 v3, 24, v13
	v_lshl_add_u32 v1, v1, 23, 0x3c000000
	v_and_b32_e32 v2, 0x700000, v2
	v_and_b32_e32 v3, 0x80000000, v3
	v_or3_b32 v40, v2, v3, v1
.LBB353_56:                             ;   in Loop: Header=BB353_15 Depth=1
	s_or_b32 exec_lo, exec_lo, s22
.LBB353_57:                             ;   in Loop: Header=BB353_15 Depth=1
	s_or_b32 exec_lo, exec_lo, s21
.LBB353_58:                             ;   in Loop: Header=BB353_15 Depth=1
	s_or_b32 exec_lo, exec_lo, s20
	v_cmp_ne_u16_sdwa s5, v13, v14 src0_sel:BYTE_1 src1_sel:DWORD
	s_and_saveexec_b32 s20, s5
	s_cbranch_execz .LBB353_66
; %bb.59:                               ;   in Loop: Header=BB353_15 Depth=1
	v_cmp_ne_u16_sdwa s5, v13, v114 src0_sel:BYTE_1 src1_sel:DWORD
	v_bfrev_b32_e32 v119, 1
	s_and_saveexec_b32 s21, s5
	s_cbranch_execz .LBB353_65
; %bb.60:                               ;   in Loop: Header=BB353_15 Depth=1
	v_mov_b32_e32 v0, 0xffff
	v_mov_b32_e32 v119, 0x7f800001
	s_mov_b32 s22, exec_lo
	v_and_b32_sdwa v1, v0, v13 dst_sel:DWORD dst_unused:UNUSED_PAD src0_sel:DWORD src1_sel:BYTE_1
	v_and_b32_e32 v2, 0x7f, v1
	v_cmpx_ne_u32_e32 0x7f, v2
	s_cbranch_execz .LBB353_64
; %bb.61:                               ;   in Loop: Header=BB353_15 Depth=1
	v_and_b32_e32 v29, 7, v1
	v_mov_b32_e32 v30, v14
	v_lshrrev_b32_e32 v1, 3, v2
	s_mov_b32 s23, exec_lo
	v_cmpx_gt_u32_e32 8, v2
; %bb.62:                               ;   in Loop: Header=BB353_15 Depth=1
	v_ffbh_u32_e32 v1, v29
	v_min_u32_e32 v1, 32, v1
	v_subrev_nc_u32_e32 v2, 28, v1
	v_sub_nc_u32_e32 v1, 29, v1
	v_lshlrev_b64 v[2:3], v2, v[29:30]
	v_and_b32_e32 v29, 7, v2
; %bb.63:                               ;   in Loop: Header=BB353_15 Depth=1
	s_or_b32 exec_lo, exec_lo, s23
	v_lshlrev_b32_e32 v2, 16, v13
	v_lshlrev_b32_e32 v3, 20, v29
	v_lshl_add_u32 v1, v1, 23, 0x3c000000
	v_and_b32_e32 v2, 0x80000000, v2
	v_or3_b32 v119, v3, v2, v1
.LBB353_64:                             ;   in Loop: Header=BB353_15 Depth=1
	s_or_b32 exec_lo, exec_lo, s22
.LBB353_65:                             ;   in Loop: Header=BB353_15 Depth=1
	s_or_b32 exec_lo, exec_lo, s21
.LBB353_66:                             ;   in Loop: Header=BB353_15 Depth=1
	s_or_b32 exec_lo, exec_lo, s20
	v_mov_b32_e32 v0, 0
	v_and_b32_sdwa v1, v28, v9 dst_sel:DWORD dst_unused:UNUSED_PAD src0_sel:WORD_1 src1_sel:DWORD
	s_mov_b32 s20, exec_lo
	buffer_store_dword v0, off, s[0:3], s32 offset:224 ; 4-byte Folded Spill
	v_mov_b32_e32 v0, 0
	buffer_store_dword v0, off, s[0:3], s32 offset:276 ; 4-byte Folded Spill
	v_cmpx_ne_u16_e32 0, v1
	s_cbranch_execz .LBB353_74
; %bb.67:                               ;   in Loop: Header=BB353_15 Depth=1
	v_bfrev_b32_e32 v0, 1
	s_mov_b32 s21, exec_lo
	v_cmpx_ne_u16_e32 0x80, v1
	s_cbranch_execz .LBB353_73
; %bb.68:                               ;   in Loop: Header=BB353_15 Depth=1
	v_bfe_u32 v2, v28, 16, 7
	v_mov_b32_e32 v0, 0x7f800001
	s_mov_b32 s22, exec_lo
	v_cmpx_ne_u32_e32 0x7f, v2
	s_cbranch_execz .LBB353_72
; %bb.69:                               ;   in Loop: Header=BB353_15 Depth=1
	v_mov_b32_e32 v0, 7
	v_lshrrev_b32_e32 v1, 3, v2
	s_mov_b32 s23, exec_lo
	v_and_b32_sdwa v13, v28, v0 dst_sel:DWORD dst_unused:UNUSED_PAD src0_sel:WORD_1 src1_sel:DWORD
	v_mov_b32_e32 v30, v14
	v_mov_b32_e32 v29, v13
	v_cmpx_gt_u32_e32 8, v2
; %bb.70:                               ;   in Loop: Header=BB353_15 Depth=1
	v_ffbh_u32_e32 v1, v13
	v_min_u32_e32 v1, 32, v1
	v_subrev_nc_u32_e32 v2, 28, v1
	v_sub_nc_u32_e32 v1, 29, v1
	v_lshlrev_b64 v[2:3], v2, v[13:14]
	v_and_b32_e32 v29, 7, v2
; %bb.71:                               ;   in Loop: Header=BB353_15 Depth=1
	s_or_b32 exec_lo, exec_lo, s23
	v_mov_b32_e32 v0, 24
	v_lshlrev_b32_e32 v3, 20, v29
	v_lshl_add_u32 v1, v1, 23, 0x3c000000
	v_lshlrev_b32_sdwa v2, v0, v28 dst_sel:DWORD dst_unused:UNUSED_PAD src0_sel:DWORD src1_sel:WORD_1
	v_and_b32_e32 v2, 0x80000000, v2
	v_or3_b32 v0, v3, v2, v1
.LBB353_72:                             ;   in Loop: Header=BB353_15 Depth=1
	s_or_b32 exec_lo, exec_lo, s22
.LBB353_73:                             ;   in Loop: Header=BB353_15 Depth=1
	s_or_b32 exec_lo, exec_lo, s21
	buffer_store_dword v0, off, s[0:3], s32 offset:276 ; 4-byte Folded Spill
.LBB353_74:                             ;   in Loop: Header=BB353_15 Depth=1
	s_or_b32 exec_lo, exec_lo, s20
	s_mov_b32 s20, exec_lo
	v_cmpx_lt_u64_e64 s[12:13], v[27:28]
	s_cbranch_execz .LBB353_82
; %bb.75:                               ;   in Loop: Header=BB353_15 Depth=1
	v_cmp_ne_u32_sdwa s5, v28, v114 src0_sel:BYTE_3 src1_sel:DWORD
	v_bfrev_b32_e32 v0, 1
	buffer_store_dword v0, off, s[0:3], s32 offset:224 ; 4-byte Folded Spill
	s_and_saveexec_b32 s21, s5
	s_cbranch_execz .LBB353_81
; %bb.76:                               ;   in Loop: Header=BB353_15 Depth=1
	v_bfe_u32 v2, v28, 24, 7
	v_mov_b32_e32 v0, 0x7f800001
	s_mov_b32 s22, exec_lo
	buffer_store_dword v0, off, s[0:3], s32 offset:224 ; 4-byte Folded Spill
	v_cmpx_ne_u32_e32 0x7f, v2
	s_cbranch_execz .LBB353_80
; %bb.77:                               ;   in Loop: Header=BB353_15 Depth=1
	v_mov_b32_e32 v0, 7
	v_lshrrev_b32_e32 v1, 3, v2
	s_mov_b32 s23, exec_lo
	v_and_b32_sdwa v13, v28, v0 dst_sel:DWORD dst_unused:UNUSED_PAD src0_sel:BYTE_3 src1_sel:DWORD
	v_mov_b32_e32 v30, v14
	v_mov_b32_e32 v29, v13
	v_cmpx_gt_u32_e32 8, v2
; %bb.78:                               ;   in Loop: Header=BB353_15 Depth=1
	v_ffbh_u32_e32 v1, v13
	v_min_u32_e32 v1, 32, v1
	v_subrev_nc_u32_e32 v2, 28, v1
	v_sub_nc_u32_e32 v1, 29, v1
	v_lshlrev_b64 v[2:3], v2, v[13:14]
	v_and_b32_e32 v29, 7, v2
; %bb.79:                               ;   in Loop: Header=BB353_15 Depth=1
	s_or_b32 exec_lo, exec_lo, s23
	v_mov_b32_e32 v0, 24
	v_lshlrev_b32_e32 v3, 20, v29
	v_lshl_add_u32 v1, v1, 23, 0x3c000000
	v_lshlrev_b32_sdwa v2, v0, v28 dst_sel:DWORD dst_unused:UNUSED_PAD src0_sel:DWORD src1_sel:BYTE_3
	v_and_b32_e32 v2, 0x80000000, v2
	v_or3_b32 v0, v3, v2, v1
	buffer_store_dword v0, off, s[0:3], s32 offset:224 ; 4-byte Folded Spill
.LBB353_80:                             ;   in Loop: Header=BB353_15 Depth=1
	s_or_b32 exec_lo, exec_lo, s22
.LBB353_81:                             ;   in Loop: Header=BB353_15 Depth=1
	s_or_b32 exec_lo, exec_lo, s21
.LBB353_82:                             ;   in Loop: Header=BB353_15 Depth=1
	s_or_b32 exec_lo, exec_lo, s20
	flat_load_dwordx2 v[27:28], v[24:25] offset:8
	v_mov_b32_e32 v0, 0
	buffer_store_dword v0, off, s[0:3], s32 offset:232 ; 4-byte Folded Spill
	v_mov_b32_e32 v0, 0
	buffer_store_dword v0, off, s[0:3], s32 offset:228 ; 4-byte Folded Spill
	s_waitcnt vmcnt(0) lgkmcnt(0)
	v_cmp_ne_u16_sdwa s5, v27, v14 src0_sel:BYTE_0 src1_sel:DWORD
	s_and_saveexec_b32 s20, s5
	s_cbranch_execz .LBB353_90
; %bb.83:                               ;   in Loop: Header=BB353_15 Depth=1
	v_cmp_ne_u16_sdwa s5, v27, v114 src0_sel:BYTE_0 src1_sel:DWORD
	v_bfrev_b32_e32 v0, 1
	buffer_store_dword v0, off, s[0:3], s32 offset:228 ; 4-byte Folded Spill
	s_and_saveexec_b32 s21, s5
	s_cbranch_execz .LBB353_89
; %bb.84:                               ;   in Loop: Header=BB353_15 Depth=1
	v_and_b32_e32 v2, 0x7f, v27
	v_mov_b32_e32 v0, 0x7f800001
	s_mov_b32 s22, exec_lo
	buffer_store_dword v0, off, s[0:3], s32 offset:228 ; 4-byte Folded Spill
	v_cmpx_ne_u32_e32 0x7f, v2
	s_cbranch_execz .LBB353_88
; %bb.85:                               ;   in Loop: Header=BB353_15 Depth=1
	v_mov_b32_e32 v30, v28
	v_lshrrev_b32_e32 v1, 3, v2
	v_mov_b32_e32 v29, v27
	s_mov_b32 s23, exec_lo
	v_cmpx_gt_u32_e32 8, v2
; %bb.86:                               ;   in Loop: Header=BB353_15 Depth=1
	v_and_b32_e32 v1, 7, v27
	v_ffbh_u32_e32 v1, v1
	v_min_u32_e32 v1, 32, v1
	v_subrev_nc_u32_e32 v2, 28, v1
	v_sub_nc_u32_e32 v1, 29, v1
	v_lshlrev_b64 v[29:30], v2, v[27:28]
; %bb.87:                               ;   in Loop: Header=BB353_15 Depth=1
	s_or_b32 exec_lo, exec_lo, s23
	v_lshlrev_b32_e32 v2, 20, v29
	v_lshlrev_b32_e32 v3, 24, v27
	v_lshl_add_u32 v1, v1, 23, 0x3c000000
	v_and_b32_e32 v2, 0x700000, v2
	v_and_b32_e32 v3, 0x80000000, v3
	v_or3_b32 v0, v2, v3, v1
	buffer_store_dword v0, off, s[0:3], s32 offset:228 ; 4-byte Folded Spill
.LBB353_88:                             ;   in Loop: Header=BB353_15 Depth=1
	s_or_b32 exec_lo, exec_lo, s22
.LBB353_89:                             ;   in Loop: Header=BB353_15 Depth=1
	s_or_b32 exec_lo, exec_lo, s21
.LBB353_90:                             ;   in Loop: Header=BB353_15 Depth=1
	s_or_b32 exec_lo, exec_lo, s20
	v_cmp_ne_u16_sdwa s5, v27, v14 src0_sel:BYTE_1 src1_sel:DWORD
	s_and_saveexec_b32 s20, s5
	s_cbranch_execz .LBB353_98
; %bb.91:                               ;   in Loop: Header=BB353_15 Depth=1
	v_cmp_ne_u16_sdwa s5, v27, v114 src0_sel:BYTE_1 src1_sel:DWORD
	v_bfrev_b32_e32 v0, 1
	buffer_store_dword v0, off, s[0:3], s32 offset:232 ; 4-byte Folded Spill
	s_and_saveexec_b32 s21, s5
	s_cbranch_execz .LBB353_97
; %bb.92:                               ;   in Loop: Header=BB353_15 Depth=1
	v_mov_b32_e32 v0, 0xffff
	s_mov_b32 s22, exec_lo
	v_and_b32_sdwa v1, v0, v27 dst_sel:DWORD dst_unused:UNUSED_PAD src0_sel:DWORD src1_sel:BYTE_1
	v_mov_b32_e32 v0, 0x7f800001
	v_and_b32_e32 v2, 0x7f, v1
	buffer_store_dword v0, off, s[0:3], s32 offset:232 ; 4-byte Folded Spill
	v_cmpx_ne_u32_e32 0x7f, v2
	s_cbranch_execz .LBB353_96
; %bb.93:                               ;   in Loop: Header=BB353_15 Depth=1
	v_and_b32_e32 v13, 7, v1
	v_mov_b32_e32 v30, v14
	v_lshrrev_b32_e32 v1, 3, v2
	s_mov_b32 s23, exec_lo
	v_mov_b32_e32 v29, v13
	v_cmpx_gt_u32_e32 8, v2
; %bb.94:                               ;   in Loop: Header=BB353_15 Depth=1
	v_ffbh_u32_e32 v1, v13
	v_min_u32_e32 v1, 32, v1
	v_subrev_nc_u32_e32 v2, 28, v1
	v_sub_nc_u32_e32 v1, 29, v1
	v_lshlrev_b64 v[2:3], v2, v[13:14]
	v_and_b32_e32 v29, 7, v2
; %bb.95:                               ;   in Loop: Header=BB353_15 Depth=1
	s_or_b32 exec_lo, exec_lo, s23
	v_lshlrev_b32_e32 v2, 16, v27
	v_lshlrev_b32_e32 v3, 20, v29
	v_lshl_add_u32 v1, v1, 23, 0x3c000000
	v_and_b32_e32 v2, 0x80000000, v2
	v_or3_b32 v0, v3, v2, v1
	buffer_store_dword v0, off, s[0:3], s32 offset:232 ; 4-byte Folded Spill
.LBB353_96:                             ;   in Loop: Header=BB353_15 Depth=1
	s_or_b32 exec_lo, exec_lo, s22
.LBB353_97:                             ;   in Loop: Header=BB353_15 Depth=1
	s_or_b32 exec_lo, exec_lo, s21
.LBB353_98:                             ;   in Loop: Header=BB353_15 Depth=1
	s_or_b32 exec_lo, exec_lo, s20
	v_mov_b32_e32 v0, 0
	v_and_b32_sdwa v1, v27, v9 dst_sel:DWORD dst_unused:UNUSED_PAD src0_sel:WORD_1 src1_sel:DWORD
	s_mov_b32 s20, exec_lo
	buffer_store_dword v0, off, s[0:3], s32 offset:236 ; 4-byte Folded Spill
	v_mov_b32_e32 v0, 0
	buffer_store_dword v0, off, s[0:3], s32 offset:280 ; 4-byte Folded Spill
	v_cmpx_ne_u16_e32 0, v1
	s_cbranch_execz .LBB353_106
; %bb.99:                               ;   in Loop: Header=BB353_15 Depth=1
	v_bfrev_b32_e32 v0, 1
	s_mov_b32 s21, exec_lo
	v_cmpx_ne_u16_e32 0x80, v1
	s_cbranch_execz .LBB353_105
; %bb.100:                              ;   in Loop: Header=BB353_15 Depth=1
	v_bfe_u32 v2, v27, 16, 7
	v_mov_b32_e32 v0, 0x7f800001
	s_mov_b32 s22, exec_lo
	v_cmpx_ne_u32_e32 0x7f, v2
	s_cbranch_execz .LBB353_104
; %bb.101:                              ;   in Loop: Header=BB353_15 Depth=1
	v_mov_b32_e32 v0, 7
	v_lshrrev_b32_e32 v1, 3, v2
	s_mov_b32 s23, exec_lo
	v_and_b32_sdwa v13, v27, v0 dst_sel:DWORD dst_unused:UNUSED_PAD src0_sel:WORD_1 src1_sel:DWORD
	v_mov_b32_e32 v30, v14
	v_mov_b32_e32 v29, v13
	v_cmpx_gt_u32_e32 8, v2
; %bb.102:                              ;   in Loop: Header=BB353_15 Depth=1
	v_ffbh_u32_e32 v1, v13
	v_min_u32_e32 v1, 32, v1
	v_subrev_nc_u32_e32 v2, 28, v1
	v_sub_nc_u32_e32 v1, 29, v1
	v_lshlrev_b64 v[2:3], v2, v[13:14]
	v_and_b32_e32 v29, 7, v2
; %bb.103:                              ;   in Loop: Header=BB353_15 Depth=1
	s_or_b32 exec_lo, exec_lo, s23
	v_mov_b32_e32 v0, 24
	v_lshlrev_b32_e32 v3, 20, v29
	v_lshl_add_u32 v1, v1, 23, 0x3c000000
	v_lshlrev_b32_sdwa v2, v0, v27 dst_sel:DWORD dst_unused:UNUSED_PAD src0_sel:DWORD src1_sel:WORD_1
	v_and_b32_e32 v2, 0x80000000, v2
	v_or3_b32 v0, v3, v2, v1
.LBB353_104:                            ;   in Loop: Header=BB353_15 Depth=1
	s_or_b32 exec_lo, exec_lo, s22
.LBB353_105:                            ;   in Loop: Header=BB353_15 Depth=1
	s_or_b32 exec_lo, exec_lo, s21
	buffer_store_dword v0, off, s[0:3], s32 offset:280 ; 4-byte Folded Spill
.LBB353_106:                            ;   in Loop: Header=BB353_15 Depth=1
	s_or_b32 exec_lo, exec_lo, s20
	s_mov_b32 s20, exec_lo
	v_cmpx_lt_u32_e32 0xffffff, v27
	s_cbranch_execz .LBB353_114
; %bb.107:                              ;   in Loop: Header=BB353_15 Depth=1
	v_cmp_ne_u32_sdwa s5, v27, v114 src0_sel:BYTE_3 src1_sel:DWORD
	v_bfrev_b32_e32 v0, 1
	buffer_store_dword v0, off, s[0:3], s32 offset:236 ; 4-byte Folded Spill
	s_and_saveexec_b32 s21, s5
	s_cbranch_execz .LBB353_113
; %bb.108:                              ;   in Loop: Header=BB353_15 Depth=1
	v_bfe_u32 v2, v27, 24, 7
	v_mov_b32_e32 v0, 0x7f800001
	s_mov_b32 s22, exec_lo
	buffer_store_dword v0, off, s[0:3], s32 offset:236 ; 4-byte Folded Spill
	v_cmpx_ne_u32_e32 0x7f, v2
	s_cbranch_execz .LBB353_112
; %bb.109:                              ;   in Loop: Header=BB353_15 Depth=1
	v_mov_b32_e32 v0, 7
	v_lshrrev_b32_e32 v1, 3, v2
	s_mov_b32 s23, exec_lo
	v_and_b32_sdwa v13, v27, v0 dst_sel:DWORD dst_unused:UNUSED_PAD src0_sel:BYTE_3 src1_sel:DWORD
	v_mov_b32_e32 v30, v14
	v_mov_b32_e32 v29, v13
	v_cmpx_gt_u32_e32 8, v2
; %bb.110:                              ;   in Loop: Header=BB353_15 Depth=1
	v_ffbh_u32_e32 v1, v13
	v_min_u32_e32 v1, 32, v1
	v_subrev_nc_u32_e32 v2, 28, v1
	v_sub_nc_u32_e32 v1, 29, v1
	v_lshlrev_b64 v[2:3], v2, v[13:14]
	v_and_b32_e32 v29, 7, v2
; %bb.111:                              ;   in Loop: Header=BB353_15 Depth=1
	s_or_b32 exec_lo, exec_lo, s23
	v_mov_b32_e32 v0, 24
	v_lshlrev_b32_e32 v3, 20, v29
	v_lshl_add_u32 v1, v1, 23, 0x3c000000
	v_lshlrev_b32_sdwa v2, v0, v27 dst_sel:DWORD dst_unused:UNUSED_PAD src0_sel:DWORD src1_sel:BYTE_3
	v_and_b32_e32 v2, 0x80000000, v2
	v_or3_b32 v0, v3, v2, v1
	buffer_store_dword v0, off, s[0:3], s32 offset:236 ; 4-byte Folded Spill
.LBB353_112:                            ;   in Loop: Header=BB353_15 Depth=1
	s_or_b32 exec_lo, exec_lo, s22
.LBB353_113:                            ;   in Loop: Header=BB353_15 Depth=1
	s_or_b32 exec_lo, exec_lo, s21
.LBB353_114:                            ;   in Loop: Header=BB353_15 Depth=1
	s_or_b32 exec_lo, exec_lo, s20
	v_mov_b32_e32 v0, 0
	v_mov_b32_e32 v13, v28
	v_cmp_ne_u16_sdwa s5, v28, v14 src0_sel:BYTE_0 src1_sel:DWORD
	buffer_store_dword v0, off, s[0:3], s32 offset:244 ; 4-byte Folded Spill
	v_mov_b32_e32 v0, 0
	buffer_store_dword v0, off, s[0:3], s32 offset:240 ; 4-byte Folded Spill
	s_and_saveexec_b32 s20, s5
	s_cbranch_execz .LBB353_122
; %bb.115:                              ;   in Loop: Header=BB353_15 Depth=1
	v_cmp_ne_u16_sdwa s5, v28, v114 src0_sel:BYTE_0 src1_sel:DWORD
	v_bfrev_b32_e32 v0, 1
	buffer_store_dword v0, off, s[0:3], s32 offset:240 ; 4-byte Folded Spill
	s_and_saveexec_b32 s21, s5
	s_cbranch_execz .LBB353_121
; %bb.116:                              ;   in Loop: Header=BB353_15 Depth=1
	v_and_b32_e32 v2, 0x7f, v28
	v_mov_b32_e32 v0, 0x7f800001
	s_mov_b32 s22, exec_lo
	buffer_store_dword v0, off, s[0:3], s32 offset:240 ; 4-byte Folded Spill
	v_cmpx_ne_u32_e32 0x7f, v2
	s_cbranch_execz .LBB353_120
; %bb.117:                              ;   in Loop: Header=BB353_15 Depth=1
	v_mov_b32_e32 v30, v14
	v_lshrrev_b32_e32 v1, 3, v2
	v_mov_b32_e32 v29, v13
	s_mov_b32 s23, exec_lo
	v_cmpx_gt_u32_e32 8, v2
; %bb.118:                              ;   in Loop: Header=BB353_15 Depth=1
	v_and_b32_e32 v1, 7, v28
	v_ffbh_u32_e32 v1, v1
	v_min_u32_e32 v1, 32, v1
	v_subrev_nc_u32_e32 v2, 28, v1
	v_sub_nc_u32_e32 v1, 29, v1
	v_lshlrev_b64 v[29:30], v2, v[13:14]
; %bb.119:                              ;   in Loop: Header=BB353_15 Depth=1
	s_or_b32 exec_lo, exec_lo, s23
	v_lshlrev_b32_e32 v2, 20, v29
	v_lshlrev_b32_e32 v3, 24, v13
	v_lshl_add_u32 v1, v1, 23, 0x3c000000
	v_and_b32_e32 v2, 0x700000, v2
	v_and_b32_e32 v3, 0x80000000, v3
	v_or3_b32 v0, v2, v3, v1
	buffer_store_dword v0, off, s[0:3], s32 offset:240 ; 4-byte Folded Spill
.LBB353_120:                            ;   in Loop: Header=BB353_15 Depth=1
	s_or_b32 exec_lo, exec_lo, s22
.LBB353_121:                            ;   in Loop: Header=BB353_15 Depth=1
	s_or_b32 exec_lo, exec_lo, s21
.LBB353_122:                            ;   in Loop: Header=BB353_15 Depth=1
	s_or_b32 exec_lo, exec_lo, s20
	v_cmp_ne_u16_sdwa s5, v13, v14 src0_sel:BYTE_1 src1_sel:DWORD
	s_and_saveexec_b32 s20, s5
	s_cbranch_execz .LBB353_130
; %bb.123:                              ;   in Loop: Header=BB353_15 Depth=1
	v_cmp_ne_u16_sdwa s5, v13, v114 src0_sel:BYTE_1 src1_sel:DWORD
	v_bfrev_b32_e32 v0, 1
	buffer_store_dword v0, off, s[0:3], s32 offset:244 ; 4-byte Folded Spill
	s_and_saveexec_b32 s21, s5
	s_cbranch_execz .LBB353_129
; %bb.124:                              ;   in Loop: Header=BB353_15 Depth=1
	v_mov_b32_e32 v0, 0xffff
	s_mov_b32 s22, exec_lo
	v_and_b32_sdwa v1, v0, v13 dst_sel:DWORD dst_unused:UNUSED_PAD src0_sel:DWORD src1_sel:BYTE_1
	v_mov_b32_e32 v0, 0x7f800001
	v_and_b32_e32 v2, 0x7f, v1
	buffer_store_dword v0, off, s[0:3], s32 offset:244 ; 4-byte Folded Spill
	v_cmpx_ne_u32_e32 0x7f, v2
	s_cbranch_execz .LBB353_128
; %bb.125:                              ;   in Loop: Header=BB353_15 Depth=1
	v_and_b32_e32 v29, 7, v1
	v_mov_b32_e32 v30, v14
	v_lshrrev_b32_e32 v1, 3, v2
	s_mov_b32 s23, exec_lo
	v_cmpx_gt_u32_e32 8, v2
; %bb.126:                              ;   in Loop: Header=BB353_15 Depth=1
	v_ffbh_u32_e32 v1, v29
	v_min_u32_e32 v1, 32, v1
	v_subrev_nc_u32_e32 v2, 28, v1
	v_sub_nc_u32_e32 v1, 29, v1
	v_lshlrev_b64 v[2:3], v2, v[29:30]
	v_and_b32_e32 v29, 7, v2
; %bb.127:                              ;   in Loop: Header=BB353_15 Depth=1
	s_or_b32 exec_lo, exec_lo, s23
	v_lshlrev_b32_e32 v2, 16, v13
	v_lshlrev_b32_e32 v3, 20, v29
	v_lshl_add_u32 v1, v1, 23, 0x3c000000
	v_and_b32_e32 v2, 0x80000000, v2
	v_or3_b32 v0, v3, v2, v1
	buffer_store_dword v0, off, s[0:3], s32 offset:244 ; 4-byte Folded Spill
.LBB353_128:                            ;   in Loop: Header=BB353_15 Depth=1
	s_or_b32 exec_lo, exec_lo, s22
.LBB353_129:                            ;   in Loop: Header=BB353_15 Depth=1
	s_or_b32 exec_lo, exec_lo, s21
.LBB353_130:                            ;   in Loop: Header=BB353_15 Depth=1
	s_or_b32 exec_lo, exec_lo, s20
	v_mov_b32_e32 v0, 0
	v_and_b32_sdwa v1, v28, v9 dst_sel:DWORD dst_unused:UNUSED_PAD src0_sel:WORD_1 src1_sel:DWORD
	s_mov_b32 s20, exec_lo
	buffer_store_dword v0, off, s[0:3], s32 offset:248 ; 4-byte Folded Spill
	v_mov_b32_e32 v0, 0
	buffer_store_dword v0, off, s[0:3], s32 offset:284 ; 4-byte Folded Spill
	v_cmpx_ne_u16_e32 0, v1
	s_cbranch_execz .LBB353_138
; %bb.131:                              ;   in Loop: Header=BB353_15 Depth=1
	v_bfrev_b32_e32 v0, 1
	s_mov_b32 s21, exec_lo
	v_cmpx_ne_u16_e32 0x80, v1
	s_cbranch_execz .LBB353_137
; %bb.132:                              ;   in Loop: Header=BB353_15 Depth=1
	v_bfe_u32 v2, v28, 16, 7
	v_mov_b32_e32 v0, 0x7f800001
	s_mov_b32 s22, exec_lo
	v_cmpx_ne_u32_e32 0x7f, v2
	s_cbranch_execz .LBB353_136
; %bb.133:                              ;   in Loop: Header=BB353_15 Depth=1
	v_mov_b32_e32 v0, 7
	v_lshrrev_b32_e32 v1, 3, v2
	s_mov_b32 s23, exec_lo
	v_and_b32_sdwa v13, v28, v0 dst_sel:DWORD dst_unused:UNUSED_PAD src0_sel:WORD_1 src1_sel:DWORD
	v_mov_b32_e32 v30, v14
	v_mov_b32_e32 v29, v13
	v_cmpx_gt_u32_e32 8, v2
; %bb.134:                              ;   in Loop: Header=BB353_15 Depth=1
	v_ffbh_u32_e32 v1, v13
	v_min_u32_e32 v1, 32, v1
	v_subrev_nc_u32_e32 v2, 28, v1
	v_sub_nc_u32_e32 v1, 29, v1
	v_lshlrev_b64 v[2:3], v2, v[13:14]
	v_and_b32_e32 v29, 7, v2
; %bb.135:                              ;   in Loop: Header=BB353_15 Depth=1
	s_or_b32 exec_lo, exec_lo, s23
	v_mov_b32_e32 v0, 24
	v_lshlrev_b32_e32 v3, 20, v29
	v_lshl_add_u32 v1, v1, 23, 0x3c000000
	v_lshlrev_b32_sdwa v2, v0, v28 dst_sel:DWORD dst_unused:UNUSED_PAD src0_sel:DWORD src1_sel:WORD_1
	v_and_b32_e32 v2, 0x80000000, v2
	v_or3_b32 v0, v3, v2, v1
.LBB353_136:                            ;   in Loop: Header=BB353_15 Depth=1
	s_or_b32 exec_lo, exec_lo, s22
.LBB353_137:                            ;   in Loop: Header=BB353_15 Depth=1
	s_or_b32 exec_lo, exec_lo, s21
	buffer_store_dword v0, off, s[0:3], s32 offset:284 ; 4-byte Folded Spill
.LBB353_138:                            ;   in Loop: Header=BB353_15 Depth=1
	s_or_b32 exec_lo, exec_lo, s20
	s_mov_b32 s20, exec_lo
	v_cmpx_lt_u64_e64 s[12:13], v[27:28]
	s_cbranch_execz .LBB353_146
; %bb.139:                              ;   in Loop: Header=BB353_15 Depth=1
	v_cmp_ne_u32_sdwa s5, v28, v114 src0_sel:BYTE_3 src1_sel:DWORD
	v_bfrev_b32_e32 v0, 1
	buffer_store_dword v0, off, s[0:3], s32 offset:248 ; 4-byte Folded Spill
	s_and_saveexec_b32 s21, s5
	s_cbranch_execz .LBB353_145
; %bb.140:                              ;   in Loop: Header=BB353_15 Depth=1
	v_bfe_u32 v2, v28, 24, 7
	v_mov_b32_e32 v0, 0x7f800001
	s_mov_b32 s22, exec_lo
	buffer_store_dword v0, off, s[0:3], s32 offset:248 ; 4-byte Folded Spill
	v_cmpx_ne_u32_e32 0x7f, v2
	s_cbranch_execz .LBB353_144
; %bb.141:                              ;   in Loop: Header=BB353_15 Depth=1
	v_mov_b32_e32 v0, 7
	v_lshrrev_b32_e32 v1, 3, v2
	s_mov_b32 s23, exec_lo
	v_and_b32_sdwa v13, v28, v0 dst_sel:DWORD dst_unused:UNUSED_PAD src0_sel:BYTE_3 src1_sel:DWORD
	v_mov_b32_e32 v30, v14
	v_mov_b32_e32 v29, v13
	v_cmpx_gt_u32_e32 8, v2
; %bb.142:                              ;   in Loop: Header=BB353_15 Depth=1
	v_ffbh_u32_e32 v1, v13
	v_min_u32_e32 v1, 32, v1
	v_subrev_nc_u32_e32 v2, 28, v1
	v_sub_nc_u32_e32 v1, 29, v1
	v_lshlrev_b64 v[2:3], v2, v[13:14]
	v_and_b32_e32 v29, 7, v2
; %bb.143:                              ;   in Loop: Header=BB353_15 Depth=1
	s_or_b32 exec_lo, exec_lo, s23
	v_mov_b32_e32 v0, 24
	v_lshlrev_b32_e32 v3, 20, v29
	v_lshl_add_u32 v1, v1, 23, 0x3c000000
	v_lshlrev_b32_sdwa v2, v0, v28 dst_sel:DWORD dst_unused:UNUSED_PAD src0_sel:DWORD src1_sel:BYTE_3
	v_and_b32_e32 v2, 0x80000000, v2
	v_or3_b32 v0, v3, v2, v1
	buffer_store_dword v0, off, s[0:3], s32 offset:248 ; 4-byte Folded Spill
.LBB353_144:                            ;   in Loop: Header=BB353_15 Depth=1
	s_or_b32 exec_lo, exec_lo, s22
.LBB353_145:                            ;   in Loop: Header=BB353_15 Depth=1
	s_or_b32 exec_lo, exec_lo, s21
.LBB353_146:                            ;   in Loop: Header=BB353_15 Depth=1
	s_or_b32 exec_lo, exec_lo, s20
	flat_load_dwordx2 v[27:28], v[24:25] offset:512
	v_mov_b32_e32 v0, 0
	buffer_store_dword v0, off, s[0:3], s32 offset:256 ; 4-byte Folded Spill
	v_mov_b32_e32 v0, 0
	buffer_store_dword v0, off, s[0:3], s32 offset:252 ; 4-byte Folded Spill
	s_waitcnt vmcnt(0) lgkmcnt(0)
	v_cmp_ne_u16_sdwa s5, v27, v14 src0_sel:BYTE_0 src1_sel:DWORD
	s_and_saveexec_b32 s20, s5
	s_cbranch_execz .LBB353_154
; %bb.147:                              ;   in Loop: Header=BB353_15 Depth=1
	v_cmp_ne_u16_sdwa s5, v27, v114 src0_sel:BYTE_0 src1_sel:DWORD
	v_bfrev_b32_e32 v0, 1
	buffer_store_dword v0, off, s[0:3], s32 offset:252 ; 4-byte Folded Spill
	s_and_saveexec_b32 s21, s5
	s_cbranch_execz .LBB353_153
; %bb.148:                              ;   in Loop: Header=BB353_15 Depth=1
	v_and_b32_e32 v2, 0x7f, v27
	v_mov_b32_e32 v0, 0x7f800001
	s_mov_b32 s22, exec_lo
	buffer_store_dword v0, off, s[0:3], s32 offset:252 ; 4-byte Folded Spill
	v_cmpx_ne_u32_e32 0x7f, v2
	s_cbranch_execz .LBB353_152
; %bb.149:                              ;   in Loop: Header=BB353_15 Depth=1
	v_mov_b32_e32 v30, v28
	v_lshrrev_b32_e32 v1, 3, v2
	v_mov_b32_e32 v29, v27
	s_mov_b32 s23, exec_lo
	v_cmpx_gt_u32_e32 8, v2
; %bb.150:                              ;   in Loop: Header=BB353_15 Depth=1
	v_and_b32_e32 v1, 7, v27
	v_ffbh_u32_e32 v1, v1
	v_min_u32_e32 v1, 32, v1
	v_subrev_nc_u32_e32 v2, 28, v1
	v_sub_nc_u32_e32 v1, 29, v1
	v_lshlrev_b64 v[29:30], v2, v[27:28]
; %bb.151:                              ;   in Loop: Header=BB353_15 Depth=1
	s_or_b32 exec_lo, exec_lo, s23
	v_lshlrev_b32_e32 v2, 20, v29
	v_lshlrev_b32_e32 v3, 24, v27
	v_lshl_add_u32 v1, v1, 23, 0x3c000000
	v_and_b32_e32 v2, 0x700000, v2
	v_and_b32_e32 v3, 0x80000000, v3
	v_or3_b32 v0, v2, v3, v1
	buffer_store_dword v0, off, s[0:3], s32 offset:252 ; 4-byte Folded Spill
.LBB353_152:                            ;   in Loop: Header=BB353_15 Depth=1
	s_or_b32 exec_lo, exec_lo, s22
.LBB353_153:                            ;   in Loop: Header=BB353_15 Depth=1
	s_or_b32 exec_lo, exec_lo, s21
.LBB353_154:                            ;   in Loop: Header=BB353_15 Depth=1
	s_or_b32 exec_lo, exec_lo, s20
	v_cmp_ne_u16_sdwa s5, v27, v14 src0_sel:BYTE_1 src1_sel:DWORD
	s_and_saveexec_b32 s20, s5
	s_cbranch_execz .LBB353_162
; %bb.155:                              ;   in Loop: Header=BB353_15 Depth=1
	v_cmp_ne_u16_sdwa s5, v27, v114 src0_sel:BYTE_1 src1_sel:DWORD
	v_bfrev_b32_e32 v0, 1
	buffer_store_dword v0, off, s[0:3], s32 offset:256 ; 4-byte Folded Spill
	s_and_saveexec_b32 s21, s5
	s_cbranch_execz .LBB353_161
; %bb.156:                              ;   in Loop: Header=BB353_15 Depth=1
	v_mov_b32_e32 v0, 0xffff
	s_mov_b32 s22, exec_lo
	v_and_b32_sdwa v1, v0, v27 dst_sel:DWORD dst_unused:UNUSED_PAD src0_sel:DWORD src1_sel:BYTE_1
	v_mov_b32_e32 v0, 0x7f800001
	v_and_b32_e32 v2, 0x7f, v1
	buffer_store_dword v0, off, s[0:3], s32 offset:256 ; 4-byte Folded Spill
	v_cmpx_ne_u32_e32 0x7f, v2
	s_cbranch_execz .LBB353_160
; %bb.157:                              ;   in Loop: Header=BB353_15 Depth=1
	v_and_b32_e32 v13, 7, v1
	v_mov_b32_e32 v30, v14
	v_lshrrev_b32_e32 v1, 3, v2
	s_mov_b32 s23, exec_lo
	v_mov_b32_e32 v29, v13
	v_cmpx_gt_u32_e32 8, v2
; %bb.158:                              ;   in Loop: Header=BB353_15 Depth=1
	v_ffbh_u32_e32 v1, v13
	v_min_u32_e32 v1, 32, v1
	v_subrev_nc_u32_e32 v2, 28, v1
	v_sub_nc_u32_e32 v1, 29, v1
	v_lshlrev_b64 v[2:3], v2, v[13:14]
	v_and_b32_e32 v29, 7, v2
; %bb.159:                              ;   in Loop: Header=BB353_15 Depth=1
	s_or_b32 exec_lo, exec_lo, s23
	v_lshlrev_b32_e32 v2, 16, v27
	v_lshlrev_b32_e32 v3, 20, v29
	v_lshl_add_u32 v1, v1, 23, 0x3c000000
	v_and_b32_e32 v2, 0x80000000, v2
	v_or3_b32 v0, v3, v2, v1
	buffer_store_dword v0, off, s[0:3], s32 offset:256 ; 4-byte Folded Spill
.LBB353_160:                            ;   in Loop: Header=BB353_15 Depth=1
	s_or_b32 exec_lo, exec_lo, s22
.LBB353_161:                            ;   in Loop: Header=BB353_15 Depth=1
	s_or_b32 exec_lo, exec_lo, s21
.LBB353_162:                            ;   in Loop: Header=BB353_15 Depth=1
	s_or_b32 exec_lo, exec_lo, s20
	v_and_b32_sdwa v1, v27, v9 dst_sel:DWORD dst_unused:UNUSED_PAD src0_sel:WORD_1 src1_sel:DWORD
	v_mov_b32_e32 v0, 0
	v_mov_b32_e32 v42, 0
	s_mov_b32 s20, exec_lo
	buffer_store_dword v0, off, s[0:3], s32 offset:264 ; 4-byte Folded Spill
	v_cmpx_ne_u16_e32 0, v1
	s_cbranch_execz .LBB353_170
; %bb.163:                              ;   in Loop: Header=BB353_15 Depth=1
	v_bfrev_b32_e32 v42, 1
	s_mov_b32 s21, exec_lo
	v_cmpx_ne_u16_e32 0x80, v1
	s_cbranch_execz .LBB353_169
; %bb.164:                              ;   in Loop: Header=BB353_15 Depth=1
	v_bfe_u32 v2, v27, 16, 7
	v_mov_b32_e32 v42, 0x7f800001
	s_mov_b32 s22, exec_lo
	v_cmpx_ne_u32_e32 0x7f, v2
	s_cbranch_execz .LBB353_168
; %bb.165:                              ;   in Loop: Header=BB353_15 Depth=1
	v_mov_b32_e32 v0, 7
	v_lshrrev_b32_e32 v1, 3, v2
	s_mov_b32 s23, exec_lo
	v_and_b32_sdwa v13, v27, v0 dst_sel:DWORD dst_unused:UNUSED_PAD src0_sel:WORD_1 src1_sel:DWORD
	v_mov_b32_e32 v30, v14
	v_mov_b32_e32 v29, v13
	v_cmpx_gt_u32_e32 8, v2
; %bb.166:                              ;   in Loop: Header=BB353_15 Depth=1
	v_ffbh_u32_e32 v1, v13
	v_min_u32_e32 v1, 32, v1
	v_subrev_nc_u32_e32 v2, 28, v1
	v_sub_nc_u32_e32 v1, 29, v1
	v_lshlrev_b64 v[2:3], v2, v[13:14]
	v_and_b32_e32 v29, 7, v2
; %bb.167:                              ;   in Loop: Header=BB353_15 Depth=1
	s_or_b32 exec_lo, exec_lo, s23
	v_mov_b32_e32 v0, 24
	v_lshlrev_b32_e32 v3, 20, v29
	v_lshl_add_u32 v1, v1, 23, 0x3c000000
	v_lshlrev_b32_sdwa v2, v0, v27 dst_sel:DWORD dst_unused:UNUSED_PAD src0_sel:DWORD src1_sel:WORD_1
	v_and_b32_e32 v2, 0x80000000, v2
	v_or3_b32 v42, v3, v2, v1
.LBB353_168:                            ;   in Loop: Header=BB353_15 Depth=1
	s_or_b32 exec_lo, exec_lo, s22
.LBB353_169:                            ;   in Loop: Header=BB353_15 Depth=1
	s_or_b32 exec_lo, exec_lo, s21
.LBB353_170:                            ;   in Loop: Header=BB353_15 Depth=1
	s_or_b32 exec_lo, exec_lo, s20
	s_mov_b32 s20, exec_lo
	v_cmpx_lt_u32_e32 0xffffff, v27
	s_cbranch_execz .LBB353_178
; %bb.171:                              ;   in Loop: Header=BB353_15 Depth=1
	v_cmp_ne_u32_sdwa s5, v27, v114 src0_sel:BYTE_3 src1_sel:DWORD
	v_bfrev_b32_e32 v0, 1
	buffer_store_dword v0, off, s[0:3], s32 offset:264 ; 4-byte Folded Spill
	s_and_saveexec_b32 s21, s5
	s_cbranch_execz .LBB353_177
; %bb.172:                              ;   in Loop: Header=BB353_15 Depth=1
	v_bfe_u32 v2, v27, 24, 7
	v_mov_b32_e32 v0, 0x7f800001
	s_mov_b32 s22, exec_lo
	buffer_store_dword v0, off, s[0:3], s32 offset:264 ; 4-byte Folded Spill
	v_cmpx_ne_u32_e32 0x7f, v2
	s_cbranch_execz .LBB353_176
; %bb.173:                              ;   in Loop: Header=BB353_15 Depth=1
	v_mov_b32_e32 v0, 7
	v_lshrrev_b32_e32 v1, 3, v2
	s_mov_b32 s23, exec_lo
	v_and_b32_sdwa v13, v27, v0 dst_sel:DWORD dst_unused:UNUSED_PAD src0_sel:BYTE_3 src1_sel:DWORD
	v_mov_b32_e32 v30, v14
	v_mov_b32_e32 v29, v13
	v_cmpx_gt_u32_e32 8, v2
; %bb.174:                              ;   in Loop: Header=BB353_15 Depth=1
	v_ffbh_u32_e32 v1, v13
	v_min_u32_e32 v1, 32, v1
	v_subrev_nc_u32_e32 v2, 28, v1
	v_sub_nc_u32_e32 v1, 29, v1
	v_lshlrev_b64 v[2:3], v2, v[13:14]
	v_and_b32_e32 v29, 7, v2
; %bb.175:                              ;   in Loop: Header=BB353_15 Depth=1
	s_or_b32 exec_lo, exec_lo, s23
	v_mov_b32_e32 v0, 24
	v_lshlrev_b32_e32 v3, 20, v29
	v_lshl_add_u32 v1, v1, 23, 0x3c000000
	v_lshlrev_b32_sdwa v2, v0, v27 dst_sel:DWORD dst_unused:UNUSED_PAD src0_sel:DWORD src1_sel:BYTE_3
	v_and_b32_e32 v2, 0x80000000, v2
	v_or3_b32 v0, v3, v2, v1
	buffer_store_dword v0, off, s[0:3], s32 offset:264 ; 4-byte Folded Spill
.LBB353_176:                            ;   in Loop: Header=BB353_15 Depth=1
	s_or_b32 exec_lo, exec_lo, s22
.LBB353_177:                            ;   in Loop: Header=BB353_15 Depth=1
	s_or_b32 exec_lo, exec_lo, s21
.LBB353_178:                            ;   in Loop: Header=BB353_15 Depth=1
	s_or_b32 exec_lo, exec_lo, s20
	v_mov_b32_e32 v13, v28
	v_cmp_ne_u16_sdwa s5, v28, v14 src0_sel:BYTE_0 src1_sel:DWORD
	v_mov_b32_e32 v76, 0
	v_mov_b32_e32 v0, 0
	buffer_store_dword v0, off, s[0:3], s32 offset:268 ; 4-byte Folded Spill
	s_and_saveexec_b32 s20, s5
	s_cbranch_execz .LBB353_186
; %bb.179:                              ;   in Loop: Header=BB353_15 Depth=1
	v_cmp_ne_u16_sdwa s5, v28, v114 src0_sel:BYTE_0 src1_sel:DWORD
	v_bfrev_b32_e32 v0, 1
	buffer_store_dword v0, off, s[0:3], s32 offset:268 ; 4-byte Folded Spill
	s_and_saveexec_b32 s21, s5
	s_cbranch_execz .LBB353_185
; %bb.180:                              ;   in Loop: Header=BB353_15 Depth=1
	v_and_b32_e32 v2, 0x7f, v28
	v_mov_b32_e32 v0, 0x7f800001
	s_mov_b32 s22, exec_lo
	buffer_store_dword v0, off, s[0:3], s32 offset:268 ; 4-byte Folded Spill
	v_cmpx_ne_u32_e32 0x7f, v2
	s_cbranch_execz .LBB353_184
; %bb.181:                              ;   in Loop: Header=BB353_15 Depth=1
	v_mov_b32_e32 v30, v14
	v_lshrrev_b32_e32 v1, 3, v2
	v_mov_b32_e32 v29, v13
	s_mov_b32 s23, exec_lo
	v_cmpx_gt_u32_e32 8, v2
; %bb.182:                              ;   in Loop: Header=BB353_15 Depth=1
	v_and_b32_e32 v1, 7, v28
	v_ffbh_u32_e32 v1, v1
	v_min_u32_e32 v1, 32, v1
	v_subrev_nc_u32_e32 v2, 28, v1
	v_sub_nc_u32_e32 v1, 29, v1
	v_lshlrev_b64 v[29:30], v2, v[13:14]
; %bb.183:                              ;   in Loop: Header=BB353_15 Depth=1
	s_or_b32 exec_lo, exec_lo, s23
	v_lshlrev_b32_e32 v2, 20, v29
	v_lshlrev_b32_e32 v3, 24, v13
	v_lshl_add_u32 v1, v1, 23, 0x3c000000
	v_and_b32_e32 v2, 0x700000, v2
	v_and_b32_e32 v3, 0x80000000, v3
	v_or3_b32 v0, v2, v3, v1
	buffer_store_dword v0, off, s[0:3], s32 offset:268 ; 4-byte Folded Spill
.LBB353_184:                            ;   in Loop: Header=BB353_15 Depth=1
	s_or_b32 exec_lo, exec_lo, s22
.LBB353_185:                            ;   in Loop: Header=BB353_15 Depth=1
	s_or_b32 exec_lo, exec_lo, s21
.LBB353_186:                            ;   in Loop: Header=BB353_15 Depth=1
	s_or_b32 exec_lo, exec_lo, s20
	v_cmp_ne_u16_sdwa s5, v13, v14 src0_sel:BYTE_1 src1_sel:DWORD
	s_and_saveexec_b32 s20, s5
	s_cbranch_execz .LBB353_194
; %bb.187:                              ;   in Loop: Header=BB353_15 Depth=1
	v_cmp_ne_u16_sdwa s5, v13, v114 src0_sel:BYTE_1 src1_sel:DWORD
	v_bfrev_b32_e32 v76, 1
	s_and_saveexec_b32 s21, s5
	s_cbranch_execz .LBB353_193
; %bb.188:                              ;   in Loop: Header=BB353_15 Depth=1
	v_mov_b32_e32 v0, 0xffff
	v_mov_b32_e32 v76, 0x7f800001
	s_mov_b32 s22, exec_lo
	v_and_b32_sdwa v1, v0, v13 dst_sel:DWORD dst_unused:UNUSED_PAD src0_sel:DWORD src1_sel:BYTE_1
	v_and_b32_e32 v2, 0x7f, v1
	v_cmpx_ne_u32_e32 0x7f, v2
	s_cbranch_execz .LBB353_192
; %bb.189:                              ;   in Loop: Header=BB353_15 Depth=1
	v_and_b32_e32 v29, 7, v1
	v_mov_b32_e32 v30, v14
	v_lshrrev_b32_e32 v1, 3, v2
	s_mov_b32 s23, exec_lo
	v_cmpx_gt_u32_e32 8, v2
; %bb.190:                              ;   in Loop: Header=BB353_15 Depth=1
	v_ffbh_u32_e32 v1, v29
	v_min_u32_e32 v1, 32, v1
	v_subrev_nc_u32_e32 v2, 28, v1
	v_sub_nc_u32_e32 v1, 29, v1
	v_lshlrev_b64 v[2:3], v2, v[29:30]
	v_and_b32_e32 v29, 7, v2
; %bb.191:                              ;   in Loop: Header=BB353_15 Depth=1
	s_or_b32 exec_lo, exec_lo, s23
	v_lshlrev_b32_e32 v2, 16, v13
	v_lshlrev_b32_e32 v3, 20, v29
	v_lshl_add_u32 v1, v1, 23, 0x3c000000
	v_and_b32_e32 v2, 0x80000000, v2
	v_or3_b32 v76, v3, v2, v1
.LBB353_192:                            ;   in Loop: Header=BB353_15 Depth=1
	s_or_b32 exec_lo, exec_lo, s22
.LBB353_193:                            ;   in Loop: Header=BB353_15 Depth=1
	s_or_b32 exec_lo, exec_lo, s21
.LBB353_194:                            ;   in Loop: Header=BB353_15 Depth=1
	s_or_b32 exec_lo, exec_lo, s20
	v_and_b32_sdwa v1, v28, v9 dst_sel:DWORD dst_unused:UNUSED_PAD src0_sel:WORD_1 src1_sel:DWORD
	v_mov_b32_e32 v77, 0
	v_mov_b32_e32 v78, 0
	s_mov_b32 s20, exec_lo
	v_cmpx_ne_u16_e32 0, v1
	s_cbranch_execz .LBB353_202
; %bb.195:                              ;   in Loop: Header=BB353_15 Depth=1
	v_bfrev_b32_e32 v78, 1
	s_mov_b32 s21, exec_lo
	v_cmpx_ne_u16_e32 0x80, v1
	s_cbranch_execz .LBB353_201
; %bb.196:                              ;   in Loop: Header=BB353_15 Depth=1
	v_bfe_u32 v2, v28, 16, 7
	v_mov_b32_e32 v78, 0x7f800001
	s_mov_b32 s22, exec_lo
	v_cmpx_ne_u32_e32 0x7f, v2
	s_cbranch_execz .LBB353_200
; %bb.197:                              ;   in Loop: Header=BB353_15 Depth=1
	v_mov_b32_e32 v0, 7
	v_lshrrev_b32_e32 v1, 3, v2
	s_mov_b32 s23, exec_lo
	v_and_b32_sdwa v13, v28, v0 dst_sel:DWORD dst_unused:UNUSED_PAD src0_sel:WORD_1 src1_sel:DWORD
	v_mov_b32_e32 v30, v14
	v_mov_b32_e32 v29, v13
	v_cmpx_gt_u32_e32 8, v2
; %bb.198:                              ;   in Loop: Header=BB353_15 Depth=1
	v_ffbh_u32_e32 v1, v13
	v_min_u32_e32 v1, 32, v1
	v_subrev_nc_u32_e32 v2, 28, v1
	v_sub_nc_u32_e32 v1, 29, v1
	v_lshlrev_b64 v[2:3], v2, v[13:14]
	v_and_b32_e32 v29, 7, v2
; %bb.199:                              ;   in Loop: Header=BB353_15 Depth=1
	s_or_b32 exec_lo, exec_lo, s23
	v_mov_b32_e32 v0, 24
	v_lshlrev_b32_e32 v3, 20, v29
	v_lshl_add_u32 v1, v1, 23, 0x3c000000
	v_lshlrev_b32_sdwa v2, v0, v28 dst_sel:DWORD dst_unused:UNUSED_PAD src0_sel:DWORD src1_sel:WORD_1
	v_and_b32_e32 v2, 0x80000000, v2
	v_or3_b32 v78, v3, v2, v1
.LBB353_200:                            ;   in Loop: Header=BB353_15 Depth=1
	s_or_b32 exec_lo, exec_lo, s22
.LBB353_201:                            ;   in Loop: Header=BB353_15 Depth=1
	s_or_b32 exec_lo, exec_lo, s21
.LBB353_202:                            ;   in Loop: Header=BB353_15 Depth=1
	s_or_b32 exec_lo, exec_lo, s20
	s_mov_b32 s20, exec_lo
	v_cmpx_lt_u64_e64 s[12:13], v[27:28]
	s_cbranch_execz .LBB353_210
; %bb.203:                              ;   in Loop: Header=BB353_15 Depth=1
	v_cmp_ne_u32_sdwa s5, v28, v114 src0_sel:BYTE_3 src1_sel:DWORD
	v_bfrev_b32_e32 v77, 1
	s_and_saveexec_b32 s21, s5
	s_cbranch_execz .LBB353_209
; %bb.204:                              ;   in Loop: Header=BB353_15 Depth=1
	v_bfe_u32 v2, v28, 24, 7
	v_mov_b32_e32 v77, 0x7f800001
	s_mov_b32 s22, exec_lo
	v_cmpx_ne_u32_e32 0x7f, v2
	s_cbranch_execz .LBB353_208
; %bb.205:                              ;   in Loop: Header=BB353_15 Depth=1
	v_mov_b32_e32 v0, 7
	v_lshrrev_b32_e32 v1, 3, v2
	s_mov_b32 s23, exec_lo
	v_and_b32_sdwa v13, v28, v0 dst_sel:DWORD dst_unused:UNUSED_PAD src0_sel:BYTE_3 src1_sel:DWORD
	v_mov_b32_e32 v30, v14
	v_mov_b32_e32 v29, v13
	v_cmpx_gt_u32_e32 8, v2
; %bb.206:                              ;   in Loop: Header=BB353_15 Depth=1
	v_ffbh_u32_e32 v1, v13
	v_min_u32_e32 v1, 32, v1
	v_subrev_nc_u32_e32 v2, 28, v1
	v_sub_nc_u32_e32 v1, 29, v1
	v_lshlrev_b64 v[2:3], v2, v[13:14]
	v_and_b32_e32 v29, 7, v2
; %bb.207:                              ;   in Loop: Header=BB353_15 Depth=1
	s_or_b32 exec_lo, exec_lo, s23
	v_mov_b32_e32 v0, 24
	v_lshlrev_b32_e32 v3, 20, v29
	v_lshl_add_u32 v1, v1, 23, 0x3c000000
	v_lshlrev_b32_sdwa v2, v0, v28 dst_sel:DWORD dst_unused:UNUSED_PAD src0_sel:DWORD src1_sel:BYTE_3
	v_and_b32_e32 v2, 0x80000000, v2
	v_or3_b32 v77, v3, v2, v1
.LBB353_208:                            ;   in Loop: Header=BB353_15 Depth=1
	s_or_b32 exec_lo, exec_lo, s22
.LBB353_209:                            ;   in Loop: Header=BB353_15 Depth=1
	s_or_b32 exec_lo, exec_lo, s21
.LBB353_210:                            ;   in Loop: Header=BB353_15 Depth=1
	s_or_b32 exec_lo, exec_lo, s20
	flat_load_dwordx2 v[27:28], v[24:25] offset:520
	v_mov_b32_e32 v88, 0
	v_mov_b32_e32 v79, 0
	s_waitcnt vmcnt(0) lgkmcnt(0)
	v_cmp_ne_u16_sdwa s5, v27, v14 src0_sel:BYTE_0 src1_sel:DWORD
	s_and_saveexec_b32 s20, s5
	s_cbranch_execz .LBB353_218
; %bb.211:                              ;   in Loop: Header=BB353_15 Depth=1
	v_cmp_ne_u16_sdwa s5, v27, v114 src0_sel:BYTE_0 src1_sel:DWORD
	v_bfrev_b32_e32 v79, 1
	s_and_saveexec_b32 s21, s5
	s_cbranch_execz .LBB353_217
; %bb.212:                              ;   in Loop: Header=BB353_15 Depth=1
	v_and_b32_e32 v2, 0x7f, v27
	v_mov_b32_e32 v79, 0x7f800001
	s_mov_b32 s22, exec_lo
	v_cmpx_ne_u32_e32 0x7f, v2
	s_cbranch_execz .LBB353_216
; %bb.213:                              ;   in Loop: Header=BB353_15 Depth=1
	v_mov_b32_e32 v30, v28
	v_lshrrev_b32_e32 v1, 3, v2
	v_mov_b32_e32 v29, v27
	s_mov_b32 s23, exec_lo
	v_cmpx_gt_u32_e32 8, v2
; %bb.214:                              ;   in Loop: Header=BB353_15 Depth=1
	v_and_b32_e32 v1, 7, v27
	v_ffbh_u32_e32 v1, v1
	v_min_u32_e32 v1, 32, v1
	v_subrev_nc_u32_e32 v2, 28, v1
	v_sub_nc_u32_e32 v1, 29, v1
	v_lshlrev_b64 v[29:30], v2, v[27:28]
; %bb.215:                              ;   in Loop: Header=BB353_15 Depth=1
	s_or_b32 exec_lo, exec_lo, s23
	v_lshlrev_b32_e32 v2, 20, v29
	v_lshlrev_b32_e32 v3, 24, v27
	v_lshl_add_u32 v1, v1, 23, 0x3c000000
	v_and_b32_e32 v2, 0x700000, v2
	v_and_b32_e32 v3, 0x80000000, v3
	v_or3_b32 v79, v2, v3, v1
.LBB353_216:                            ;   in Loop: Header=BB353_15 Depth=1
	s_or_b32 exec_lo, exec_lo, s22
.LBB353_217:                            ;   in Loop: Header=BB353_15 Depth=1
	s_or_b32 exec_lo, exec_lo, s21
.LBB353_218:                            ;   in Loop: Header=BB353_15 Depth=1
	s_or_b32 exec_lo, exec_lo, s20
	v_cmp_ne_u16_sdwa s5, v27, v14 src0_sel:BYTE_1 src1_sel:DWORD
	s_and_saveexec_b32 s20, s5
	s_cbranch_execz .LBB353_226
; %bb.219:                              ;   in Loop: Header=BB353_15 Depth=1
	v_cmp_ne_u16_sdwa s5, v27, v114 src0_sel:BYTE_1 src1_sel:DWORD
	v_bfrev_b32_e32 v88, 1
	s_and_saveexec_b32 s21, s5
	s_cbranch_execz .LBB353_225
; %bb.220:                              ;   in Loop: Header=BB353_15 Depth=1
	v_mov_b32_e32 v0, 0xffff
	v_mov_b32_e32 v88, 0x7f800001
	s_mov_b32 s22, exec_lo
	v_and_b32_sdwa v1, v0, v27 dst_sel:DWORD dst_unused:UNUSED_PAD src0_sel:DWORD src1_sel:BYTE_1
	v_and_b32_e32 v2, 0x7f, v1
	v_cmpx_ne_u32_e32 0x7f, v2
	s_cbranch_execz .LBB353_224
; %bb.221:                              ;   in Loop: Header=BB353_15 Depth=1
	v_and_b32_e32 v13, 7, v1
	v_mov_b32_e32 v30, v14
	v_lshrrev_b32_e32 v1, 3, v2
	s_mov_b32 s23, exec_lo
	v_mov_b32_e32 v29, v13
	v_cmpx_gt_u32_e32 8, v2
; %bb.222:                              ;   in Loop: Header=BB353_15 Depth=1
	v_ffbh_u32_e32 v1, v13
	v_min_u32_e32 v1, 32, v1
	v_subrev_nc_u32_e32 v2, 28, v1
	v_sub_nc_u32_e32 v1, 29, v1
	v_lshlrev_b64 v[2:3], v2, v[13:14]
	v_and_b32_e32 v29, 7, v2
; %bb.223:                              ;   in Loop: Header=BB353_15 Depth=1
	s_or_b32 exec_lo, exec_lo, s23
	v_lshlrev_b32_e32 v2, 16, v27
	v_lshlrev_b32_e32 v3, 20, v29
	v_lshl_add_u32 v1, v1, 23, 0x3c000000
	v_and_b32_e32 v2, 0x80000000, v2
	v_or3_b32 v88, v3, v2, v1
.LBB353_224:                            ;   in Loop: Header=BB353_15 Depth=1
	s_or_b32 exec_lo, exec_lo, s22
.LBB353_225:                            ;   in Loop: Header=BB353_15 Depth=1
	s_or_b32 exec_lo, exec_lo, s21
.LBB353_226:                            ;   in Loop: Header=BB353_15 Depth=1
	s_or_b32 exec_lo, exec_lo, s20
	v_and_b32_sdwa v1, v27, v9 dst_sel:DWORD dst_unused:UNUSED_PAD src0_sel:WORD_1 src1_sel:DWORD
	v_mov_b32_e32 v90, 0
	v_mov_b32_e32 v89, 0
	s_mov_b32 s20, exec_lo
	v_cmpx_ne_u16_e32 0, v1
	s_cbranch_execz .LBB353_234
; %bb.227:                              ;   in Loop: Header=BB353_15 Depth=1
	v_bfrev_b32_e32 v89, 1
	s_mov_b32 s21, exec_lo
	v_cmpx_ne_u16_e32 0x80, v1
	s_cbranch_execz .LBB353_233
; %bb.228:                              ;   in Loop: Header=BB353_15 Depth=1
	v_bfe_u32 v2, v27, 16, 7
	v_mov_b32_e32 v89, 0x7f800001
	s_mov_b32 s22, exec_lo
	v_cmpx_ne_u32_e32 0x7f, v2
	s_cbranch_execz .LBB353_232
; %bb.229:                              ;   in Loop: Header=BB353_15 Depth=1
	v_mov_b32_e32 v0, 7
	v_lshrrev_b32_e32 v1, 3, v2
	s_mov_b32 s23, exec_lo
	v_and_b32_sdwa v13, v27, v0 dst_sel:DWORD dst_unused:UNUSED_PAD src0_sel:WORD_1 src1_sel:DWORD
	v_mov_b32_e32 v30, v14
	v_mov_b32_e32 v29, v13
	v_cmpx_gt_u32_e32 8, v2
; %bb.230:                              ;   in Loop: Header=BB353_15 Depth=1
	v_ffbh_u32_e32 v1, v13
	v_min_u32_e32 v1, 32, v1
	v_subrev_nc_u32_e32 v2, 28, v1
	v_sub_nc_u32_e32 v1, 29, v1
	v_lshlrev_b64 v[2:3], v2, v[13:14]
	v_and_b32_e32 v29, 7, v2
; %bb.231:                              ;   in Loop: Header=BB353_15 Depth=1
	s_or_b32 exec_lo, exec_lo, s23
	v_mov_b32_e32 v0, 24
	v_lshlrev_b32_e32 v3, 20, v29
	v_lshl_add_u32 v1, v1, 23, 0x3c000000
	v_lshlrev_b32_sdwa v2, v0, v27 dst_sel:DWORD dst_unused:UNUSED_PAD src0_sel:DWORD src1_sel:WORD_1
	v_and_b32_e32 v2, 0x80000000, v2
	v_or3_b32 v89, v3, v2, v1
.LBB353_232:                            ;   in Loop: Header=BB353_15 Depth=1
	s_or_b32 exec_lo, exec_lo, s22
.LBB353_233:                            ;   in Loop: Header=BB353_15 Depth=1
	s_or_b32 exec_lo, exec_lo, s21
.LBB353_234:                            ;   in Loop: Header=BB353_15 Depth=1
	s_or_b32 exec_lo, exec_lo, s20
	s_mov_b32 s20, exec_lo
	v_cmpx_lt_u32_e32 0xffffff, v27
	s_cbranch_execz .LBB353_242
; %bb.235:                              ;   in Loop: Header=BB353_15 Depth=1
	v_cmp_ne_u32_sdwa s5, v27, v114 src0_sel:BYTE_3 src1_sel:DWORD
	v_bfrev_b32_e32 v90, 1
	s_and_saveexec_b32 s21, s5
	s_cbranch_execz .LBB353_241
; %bb.236:                              ;   in Loop: Header=BB353_15 Depth=1
	v_bfe_u32 v2, v27, 24, 7
	v_mov_b32_e32 v90, 0x7f800001
	s_mov_b32 s22, exec_lo
	v_cmpx_ne_u32_e32 0x7f, v2
	s_cbranch_execz .LBB353_240
; %bb.237:                              ;   in Loop: Header=BB353_15 Depth=1
	v_mov_b32_e32 v0, 7
	v_lshrrev_b32_e32 v1, 3, v2
	s_mov_b32 s23, exec_lo
	v_and_b32_sdwa v13, v27, v0 dst_sel:DWORD dst_unused:UNUSED_PAD src0_sel:BYTE_3 src1_sel:DWORD
	v_mov_b32_e32 v30, v14
	v_mov_b32_e32 v29, v13
	v_cmpx_gt_u32_e32 8, v2
; %bb.238:                              ;   in Loop: Header=BB353_15 Depth=1
	v_ffbh_u32_e32 v1, v13
	v_min_u32_e32 v1, 32, v1
	v_subrev_nc_u32_e32 v2, 28, v1
	v_sub_nc_u32_e32 v1, 29, v1
	v_lshlrev_b64 v[2:3], v2, v[13:14]
	v_and_b32_e32 v29, 7, v2
; %bb.239:                              ;   in Loop: Header=BB353_15 Depth=1
	s_or_b32 exec_lo, exec_lo, s23
	v_mov_b32_e32 v0, 24
	v_lshlrev_b32_e32 v3, 20, v29
	v_lshl_add_u32 v1, v1, 23, 0x3c000000
	v_lshlrev_b32_sdwa v2, v0, v27 dst_sel:DWORD dst_unused:UNUSED_PAD src0_sel:DWORD src1_sel:BYTE_3
	v_and_b32_e32 v2, 0x80000000, v2
	v_or3_b32 v90, v3, v2, v1
.LBB353_240:                            ;   in Loop: Header=BB353_15 Depth=1
	s_or_b32 exec_lo, exec_lo, s22
.LBB353_241:                            ;   in Loop: Header=BB353_15 Depth=1
	s_or_b32 exec_lo, exec_lo, s21
.LBB353_242:                            ;   in Loop: Header=BB353_15 Depth=1
	s_or_b32 exec_lo, exec_lo, s20
	v_mov_b32_e32 v13, v28
	v_cmp_ne_u16_sdwa s5, v28, v14 src0_sel:BYTE_0 src1_sel:DWORD
	v_mov_b32_e32 v92, 0
	v_mov_b32_e32 v91, 0
	s_and_saveexec_b32 s20, s5
	s_cbranch_execz .LBB353_250
; %bb.243:                              ;   in Loop: Header=BB353_15 Depth=1
	v_cmp_ne_u16_sdwa s5, v28, v114 src0_sel:BYTE_0 src1_sel:DWORD
	v_bfrev_b32_e32 v91, 1
	s_and_saveexec_b32 s21, s5
	s_cbranch_execz .LBB353_249
; %bb.244:                              ;   in Loop: Header=BB353_15 Depth=1
	v_and_b32_e32 v2, 0x7f, v28
	v_mov_b32_e32 v91, 0x7f800001
	s_mov_b32 s22, exec_lo
	v_cmpx_ne_u32_e32 0x7f, v2
	s_cbranch_execz .LBB353_248
; %bb.245:                              ;   in Loop: Header=BB353_15 Depth=1
	v_mov_b32_e32 v30, v14
	v_lshrrev_b32_e32 v1, 3, v2
	v_mov_b32_e32 v29, v13
	s_mov_b32 s23, exec_lo
	v_cmpx_gt_u32_e32 8, v2
; %bb.246:                              ;   in Loop: Header=BB353_15 Depth=1
	v_and_b32_e32 v1, 7, v28
	v_ffbh_u32_e32 v1, v1
	v_min_u32_e32 v1, 32, v1
	v_subrev_nc_u32_e32 v2, 28, v1
	v_sub_nc_u32_e32 v1, 29, v1
	v_lshlrev_b64 v[29:30], v2, v[13:14]
; %bb.247:                              ;   in Loop: Header=BB353_15 Depth=1
	s_or_b32 exec_lo, exec_lo, s23
	v_lshlrev_b32_e32 v2, 20, v29
	v_lshlrev_b32_e32 v3, 24, v13
	v_lshl_add_u32 v1, v1, 23, 0x3c000000
	v_and_b32_e32 v2, 0x700000, v2
	v_and_b32_e32 v3, 0x80000000, v3
	v_or3_b32 v91, v2, v3, v1
.LBB353_248:                            ;   in Loop: Header=BB353_15 Depth=1
	s_or_b32 exec_lo, exec_lo, s22
.LBB353_249:                            ;   in Loop: Header=BB353_15 Depth=1
	s_or_b32 exec_lo, exec_lo, s21
.LBB353_250:                            ;   in Loop: Header=BB353_15 Depth=1
	s_or_b32 exec_lo, exec_lo, s20
	v_cmp_ne_u16_sdwa s5, v13, v14 src0_sel:BYTE_1 src1_sel:DWORD
	s_and_saveexec_b32 s20, s5
	s_cbranch_execz .LBB353_258
; %bb.251:                              ;   in Loop: Header=BB353_15 Depth=1
	v_cmp_ne_u16_sdwa s5, v13, v114 src0_sel:BYTE_1 src1_sel:DWORD
	v_bfrev_b32_e32 v92, 1
	s_and_saveexec_b32 s21, s5
	s_cbranch_execz .LBB353_257
; %bb.252:                              ;   in Loop: Header=BB353_15 Depth=1
	v_mov_b32_e32 v0, 0xffff
	v_mov_b32_e32 v92, 0x7f800001
	s_mov_b32 s22, exec_lo
	v_and_b32_sdwa v1, v0, v13 dst_sel:DWORD dst_unused:UNUSED_PAD src0_sel:DWORD src1_sel:BYTE_1
	v_and_b32_e32 v2, 0x7f, v1
	v_cmpx_ne_u32_e32 0x7f, v2
	s_cbranch_execz .LBB353_256
; %bb.253:                              ;   in Loop: Header=BB353_15 Depth=1
	v_and_b32_e32 v29, 7, v1
	v_mov_b32_e32 v30, v14
	v_lshrrev_b32_e32 v1, 3, v2
	s_mov_b32 s23, exec_lo
	v_cmpx_gt_u32_e32 8, v2
; %bb.254:                              ;   in Loop: Header=BB353_15 Depth=1
	v_ffbh_u32_e32 v1, v29
	v_min_u32_e32 v1, 32, v1
	v_subrev_nc_u32_e32 v2, 28, v1
	v_sub_nc_u32_e32 v1, 29, v1
	v_lshlrev_b64 v[2:3], v2, v[29:30]
	v_and_b32_e32 v29, 7, v2
; %bb.255:                              ;   in Loop: Header=BB353_15 Depth=1
	s_or_b32 exec_lo, exec_lo, s23
	v_lshlrev_b32_e32 v2, 16, v13
	v_lshlrev_b32_e32 v3, 20, v29
	v_lshl_add_u32 v1, v1, 23, 0x3c000000
	v_and_b32_e32 v2, 0x80000000, v2
	v_or3_b32 v92, v3, v2, v1
.LBB353_256:                            ;   in Loop: Header=BB353_15 Depth=1
	s_or_b32 exec_lo, exec_lo, s22
.LBB353_257:                            ;   in Loop: Header=BB353_15 Depth=1
	s_or_b32 exec_lo, exec_lo, s21
.LBB353_258:                            ;   in Loop: Header=BB353_15 Depth=1
	s_or_b32 exec_lo, exec_lo, s20
	v_and_b32_sdwa v1, v28, v9 dst_sel:DWORD dst_unused:UNUSED_PAD src0_sel:WORD_1 src1_sel:DWORD
	v_mov_b32_e32 v93, 0
	v_mov_b32_e32 v94, 0
	s_mov_b32 s20, exec_lo
	v_cmpx_ne_u16_e32 0, v1
	s_cbranch_execz .LBB353_266
; %bb.259:                              ;   in Loop: Header=BB353_15 Depth=1
	v_bfrev_b32_e32 v94, 1
	s_mov_b32 s21, exec_lo
	v_cmpx_ne_u16_e32 0x80, v1
	s_cbranch_execz .LBB353_265
; %bb.260:                              ;   in Loop: Header=BB353_15 Depth=1
	v_bfe_u32 v2, v28, 16, 7
	v_mov_b32_e32 v94, 0x7f800001
	s_mov_b32 s22, exec_lo
	v_cmpx_ne_u32_e32 0x7f, v2
	s_cbranch_execz .LBB353_264
; %bb.261:                              ;   in Loop: Header=BB353_15 Depth=1
	v_mov_b32_e32 v0, 7
	v_lshrrev_b32_e32 v1, 3, v2
	s_mov_b32 s23, exec_lo
	v_and_b32_sdwa v13, v28, v0 dst_sel:DWORD dst_unused:UNUSED_PAD src0_sel:WORD_1 src1_sel:DWORD
	v_mov_b32_e32 v30, v14
	v_mov_b32_e32 v29, v13
	v_cmpx_gt_u32_e32 8, v2
; %bb.262:                              ;   in Loop: Header=BB353_15 Depth=1
	v_ffbh_u32_e32 v1, v13
	v_min_u32_e32 v1, 32, v1
	v_subrev_nc_u32_e32 v2, 28, v1
	v_sub_nc_u32_e32 v1, 29, v1
	v_lshlrev_b64 v[2:3], v2, v[13:14]
	v_and_b32_e32 v29, 7, v2
; %bb.263:                              ;   in Loop: Header=BB353_15 Depth=1
	s_or_b32 exec_lo, exec_lo, s23
	v_mov_b32_e32 v0, 24
	v_lshlrev_b32_e32 v3, 20, v29
	v_lshl_add_u32 v1, v1, 23, 0x3c000000
	v_lshlrev_b32_sdwa v2, v0, v28 dst_sel:DWORD dst_unused:UNUSED_PAD src0_sel:DWORD src1_sel:WORD_1
	v_and_b32_e32 v2, 0x80000000, v2
	v_or3_b32 v94, v3, v2, v1
.LBB353_264:                            ;   in Loop: Header=BB353_15 Depth=1
	s_or_b32 exec_lo, exec_lo, s22
.LBB353_265:                            ;   in Loop: Header=BB353_15 Depth=1
	s_or_b32 exec_lo, exec_lo, s21
.LBB353_266:                            ;   in Loop: Header=BB353_15 Depth=1
	s_or_b32 exec_lo, exec_lo, s20
	s_mov_b32 s20, exec_lo
	v_cmpx_lt_u64_e64 s[12:13], v[27:28]
	s_cbranch_execz .LBB353_274
; %bb.267:                              ;   in Loop: Header=BB353_15 Depth=1
	v_cmp_ne_u32_sdwa s5, v28, v114 src0_sel:BYTE_3 src1_sel:DWORD
	v_bfrev_b32_e32 v93, 1
	s_and_saveexec_b32 s21, s5
	s_cbranch_execz .LBB353_273
; %bb.268:                              ;   in Loop: Header=BB353_15 Depth=1
	v_bfe_u32 v2, v28, 24, 7
	v_mov_b32_e32 v93, 0x7f800001
	s_mov_b32 s22, exec_lo
	v_cmpx_ne_u32_e32 0x7f, v2
	s_cbranch_execz .LBB353_272
; %bb.269:                              ;   in Loop: Header=BB353_15 Depth=1
	v_mov_b32_e32 v0, 7
	v_lshrrev_b32_e32 v1, 3, v2
	s_mov_b32 s23, exec_lo
	v_and_b32_sdwa v13, v28, v0 dst_sel:DWORD dst_unused:UNUSED_PAD src0_sel:BYTE_3 src1_sel:DWORD
	v_mov_b32_e32 v30, v14
	v_mov_b32_e32 v29, v13
	v_cmpx_gt_u32_e32 8, v2
; %bb.270:                              ;   in Loop: Header=BB353_15 Depth=1
	v_ffbh_u32_e32 v1, v13
	v_min_u32_e32 v1, 32, v1
	v_subrev_nc_u32_e32 v2, 28, v1
	v_sub_nc_u32_e32 v1, 29, v1
	v_lshlrev_b64 v[2:3], v2, v[13:14]
	v_and_b32_e32 v29, 7, v2
; %bb.271:                              ;   in Loop: Header=BB353_15 Depth=1
	s_or_b32 exec_lo, exec_lo, s23
	v_mov_b32_e32 v0, 24
	v_lshlrev_b32_e32 v3, 20, v29
	v_lshl_add_u32 v1, v1, 23, 0x3c000000
	v_lshlrev_b32_sdwa v2, v0, v28 dst_sel:DWORD dst_unused:UNUSED_PAD src0_sel:DWORD src1_sel:BYTE_3
	v_and_b32_e32 v2, 0x80000000, v2
	v_or3_b32 v93, v3, v2, v1
.LBB353_272:                            ;   in Loop: Header=BB353_15 Depth=1
	s_or_b32 exec_lo, exec_lo, s22
.LBB353_273:                            ;   in Loop: Header=BB353_15 Depth=1
	s_or_b32 exec_lo, exec_lo, s21
.LBB353_274:                            ;   in Loop: Header=BB353_15 Depth=1
	s_or_b32 exec_lo, exec_lo, s20
	flat_load_dwordx2 v[27:28], v[24:25] offset:1024
	v_mov_b32_e32 v104, 0
	v_mov_b32_e32 v95, 0
	s_waitcnt vmcnt(0) lgkmcnt(0)
	v_cmp_ne_u16_sdwa s5, v27, v14 src0_sel:BYTE_0 src1_sel:DWORD
	s_and_saveexec_b32 s20, s5
	s_cbranch_execz .LBB353_282
; %bb.275:                              ;   in Loop: Header=BB353_15 Depth=1
	v_cmp_ne_u16_sdwa s5, v27, v114 src0_sel:BYTE_0 src1_sel:DWORD
	v_bfrev_b32_e32 v95, 1
	s_and_saveexec_b32 s21, s5
	s_cbranch_execz .LBB353_281
; %bb.276:                              ;   in Loop: Header=BB353_15 Depth=1
	v_and_b32_e32 v2, 0x7f, v27
	v_mov_b32_e32 v95, 0x7f800001
	s_mov_b32 s22, exec_lo
	v_cmpx_ne_u32_e32 0x7f, v2
	s_cbranch_execz .LBB353_280
; %bb.277:                              ;   in Loop: Header=BB353_15 Depth=1
	v_mov_b32_e32 v30, v28
	v_lshrrev_b32_e32 v1, 3, v2
	v_mov_b32_e32 v29, v27
	s_mov_b32 s23, exec_lo
	v_cmpx_gt_u32_e32 8, v2
; %bb.278:                              ;   in Loop: Header=BB353_15 Depth=1
	v_and_b32_e32 v1, 7, v27
	v_ffbh_u32_e32 v1, v1
	v_min_u32_e32 v1, 32, v1
	v_subrev_nc_u32_e32 v2, 28, v1
	v_sub_nc_u32_e32 v1, 29, v1
	v_lshlrev_b64 v[29:30], v2, v[27:28]
; %bb.279:                              ;   in Loop: Header=BB353_15 Depth=1
	s_or_b32 exec_lo, exec_lo, s23
	v_lshlrev_b32_e32 v2, 20, v29
	v_lshlrev_b32_e32 v3, 24, v27
	v_lshl_add_u32 v1, v1, 23, 0x3c000000
	v_and_b32_e32 v2, 0x700000, v2
	v_and_b32_e32 v3, 0x80000000, v3
	v_or3_b32 v95, v2, v3, v1
.LBB353_280:                            ;   in Loop: Header=BB353_15 Depth=1
	s_or_b32 exec_lo, exec_lo, s22
.LBB353_281:                            ;   in Loop: Header=BB353_15 Depth=1
	s_or_b32 exec_lo, exec_lo, s21
.LBB353_282:                            ;   in Loop: Header=BB353_15 Depth=1
	s_or_b32 exec_lo, exec_lo, s20
	v_cmp_ne_u16_sdwa s5, v27, v14 src0_sel:BYTE_1 src1_sel:DWORD
	s_and_saveexec_b32 s20, s5
	s_cbranch_execz .LBB353_290
; %bb.283:                              ;   in Loop: Header=BB353_15 Depth=1
	v_cmp_ne_u16_sdwa s5, v27, v114 src0_sel:BYTE_1 src1_sel:DWORD
	v_bfrev_b32_e32 v104, 1
	s_and_saveexec_b32 s21, s5
	s_cbranch_execz .LBB353_289
; %bb.284:                              ;   in Loop: Header=BB353_15 Depth=1
	v_mov_b32_e32 v0, 0xffff
	v_mov_b32_e32 v104, 0x7f800001
	s_mov_b32 s22, exec_lo
	v_and_b32_sdwa v1, v0, v27 dst_sel:DWORD dst_unused:UNUSED_PAD src0_sel:DWORD src1_sel:BYTE_1
	v_and_b32_e32 v2, 0x7f, v1
	v_cmpx_ne_u32_e32 0x7f, v2
	s_cbranch_execz .LBB353_288
; %bb.285:                              ;   in Loop: Header=BB353_15 Depth=1
	v_and_b32_e32 v13, 7, v1
	v_mov_b32_e32 v30, v14
	v_lshrrev_b32_e32 v1, 3, v2
	s_mov_b32 s23, exec_lo
	v_mov_b32_e32 v29, v13
	v_cmpx_gt_u32_e32 8, v2
; %bb.286:                              ;   in Loop: Header=BB353_15 Depth=1
	v_ffbh_u32_e32 v1, v13
	v_min_u32_e32 v1, 32, v1
	v_subrev_nc_u32_e32 v2, 28, v1
	v_sub_nc_u32_e32 v1, 29, v1
	v_lshlrev_b64 v[2:3], v2, v[13:14]
	v_and_b32_e32 v29, 7, v2
; %bb.287:                              ;   in Loop: Header=BB353_15 Depth=1
	s_or_b32 exec_lo, exec_lo, s23
	v_lshlrev_b32_e32 v2, 16, v27
	v_lshlrev_b32_e32 v3, 20, v29
	v_lshl_add_u32 v1, v1, 23, 0x3c000000
	v_and_b32_e32 v2, 0x80000000, v2
	v_or3_b32 v104, v3, v2, v1
.LBB353_288:                            ;   in Loop: Header=BB353_15 Depth=1
	s_or_b32 exec_lo, exec_lo, s22
.LBB353_289:                            ;   in Loop: Header=BB353_15 Depth=1
	s_or_b32 exec_lo, exec_lo, s21
.LBB353_290:                            ;   in Loop: Header=BB353_15 Depth=1
	s_or_b32 exec_lo, exec_lo, s20
	v_and_b32_sdwa v1, v27, v9 dst_sel:DWORD dst_unused:UNUSED_PAD src0_sel:WORD_1 src1_sel:DWORD
	v_mov_b32_e32 v106, 0
	v_mov_b32_e32 v105, 0
	s_mov_b32 s20, exec_lo
	v_cmpx_ne_u16_e32 0, v1
	s_cbranch_execz .LBB353_298
; %bb.291:                              ;   in Loop: Header=BB353_15 Depth=1
	v_bfrev_b32_e32 v105, 1
	s_mov_b32 s21, exec_lo
	v_cmpx_ne_u16_e32 0x80, v1
	s_cbranch_execz .LBB353_297
; %bb.292:                              ;   in Loop: Header=BB353_15 Depth=1
	v_bfe_u32 v2, v27, 16, 7
	v_mov_b32_e32 v105, 0x7f800001
	s_mov_b32 s22, exec_lo
	v_cmpx_ne_u32_e32 0x7f, v2
	s_cbranch_execz .LBB353_296
; %bb.293:                              ;   in Loop: Header=BB353_15 Depth=1
	v_mov_b32_e32 v0, 7
	v_lshrrev_b32_e32 v1, 3, v2
	s_mov_b32 s23, exec_lo
	v_and_b32_sdwa v13, v27, v0 dst_sel:DWORD dst_unused:UNUSED_PAD src0_sel:WORD_1 src1_sel:DWORD
	v_mov_b32_e32 v30, v14
	v_mov_b32_e32 v29, v13
	v_cmpx_gt_u32_e32 8, v2
; %bb.294:                              ;   in Loop: Header=BB353_15 Depth=1
	v_ffbh_u32_e32 v1, v13
	v_min_u32_e32 v1, 32, v1
	v_subrev_nc_u32_e32 v2, 28, v1
	v_sub_nc_u32_e32 v1, 29, v1
	v_lshlrev_b64 v[2:3], v2, v[13:14]
	v_and_b32_e32 v29, 7, v2
; %bb.295:                              ;   in Loop: Header=BB353_15 Depth=1
	s_or_b32 exec_lo, exec_lo, s23
	v_mov_b32_e32 v0, 24
	v_lshlrev_b32_e32 v3, 20, v29
	v_lshl_add_u32 v1, v1, 23, 0x3c000000
	v_lshlrev_b32_sdwa v2, v0, v27 dst_sel:DWORD dst_unused:UNUSED_PAD src0_sel:DWORD src1_sel:WORD_1
	v_and_b32_e32 v2, 0x80000000, v2
	v_or3_b32 v105, v3, v2, v1
.LBB353_296:                            ;   in Loop: Header=BB353_15 Depth=1
	s_or_b32 exec_lo, exec_lo, s22
.LBB353_297:                            ;   in Loop: Header=BB353_15 Depth=1
	s_or_b32 exec_lo, exec_lo, s21
.LBB353_298:                            ;   in Loop: Header=BB353_15 Depth=1
	s_or_b32 exec_lo, exec_lo, s20
	s_mov_b32 s20, exec_lo
	v_cmpx_lt_u32_e32 0xffffff, v27
	s_cbranch_execz .LBB353_306
; %bb.299:                              ;   in Loop: Header=BB353_15 Depth=1
	v_cmp_ne_u32_sdwa s5, v27, v114 src0_sel:BYTE_3 src1_sel:DWORD
	v_bfrev_b32_e32 v106, 1
	s_and_saveexec_b32 s21, s5
	s_cbranch_execz .LBB353_305
; %bb.300:                              ;   in Loop: Header=BB353_15 Depth=1
	v_bfe_u32 v2, v27, 24, 7
	v_mov_b32_e32 v106, 0x7f800001
	s_mov_b32 s22, exec_lo
	v_cmpx_ne_u32_e32 0x7f, v2
	s_cbranch_execz .LBB353_304
; %bb.301:                              ;   in Loop: Header=BB353_15 Depth=1
	v_mov_b32_e32 v0, 7
	v_lshrrev_b32_e32 v1, 3, v2
	s_mov_b32 s23, exec_lo
	v_and_b32_sdwa v13, v27, v0 dst_sel:DWORD dst_unused:UNUSED_PAD src0_sel:BYTE_3 src1_sel:DWORD
	v_mov_b32_e32 v30, v14
	v_mov_b32_e32 v29, v13
	v_cmpx_gt_u32_e32 8, v2
; %bb.302:                              ;   in Loop: Header=BB353_15 Depth=1
	v_ffbh_u32_e32 v1, v13
	v_min_u32_e32 v1, 32, v1
	v_subrev_nc_u32_e32 v2, 28, v1
	v_sub_nc_u32_e32 v1, 29, v1
	v_lshlrev_b64 v[2:3], v2, v[13:14]
	v_and_b32_e32 v29, 7, v2
; %bb.303:                              ;   in Loop: Header=BB353_15 Depth=1
	s_or_b32 exec_lo, exec_lo, s23
	v_mov_b32_e32 v0, 24
	v_lshlrev_b32_e32 v3, 20, v29
	v_lshl_add_u32 v1, v1, 23, 0x3c000000
	v_lshlrev_b32_sdwa v2, v0, v27 dst_sel:DWORD dst_unused:UNUSED_PAD src0_sel:DWORD src1_sel:BYTE_3
	v_and_b32_e32 v2, 0x80000000, v2
	v_or3_b32 v106, v3, v2, v1
.LBB353_304:                            ;   in Loop: Header=BB353_15 Depth=1
	s_or_b32 exec_lo, exec_lo, s22
.LBB353_305:                            ;   in Loop: Header=BB353_15 Depth=1
	s_or_b32 exec_lo, exec_lo, s21
.LBB353_306:                            ;   in Loop: Header=BB353_15 Depth=1
	s_or_b32 exec_lo, exec_lo, s20
	v_mov_b32_e32 v13, v28
	v_cmp_ne_u16_sdwa s5, v28, v14 src0_sel:BYTE_0 src1_sel:DWORD
	v_mov_b32_e32 v108, 0
	v_mov_b32_e32 v107, 0
	s_and_saveexec_b32 s20, s5
	s_cbranch_execz .LBB353_314
; %bb.307:                              ;   in Loop: Header=BB353_15 Depth=1
	v_cmp_ne_u16_sdwa s5, v28, v114 src0_sel:BYTE_0 src1_sel:DWORD
	v_bfrev_b32_e32 v107, 1
	s_and_saveexec_b32 s21, s5
	s_cbranch_execz .LBB353_313
; %bb.308:                              ;   in Loop: Header=BB353_15 Depth=1
	v_and_b32_e32 v2, 0x7f, v28
	v_mov_b32_e32 v107, 0x7f800001
	s_mov_b32 s22, exec_lo
	v_cmpx_ne_u32_e32 0x7f, v2
	s_cbranch_execz .LBB353_312
; %bb.309:                              ;   in Loop: Header=BB353_15 Depth=1
	v_mov_b32_e32 v30, v14
	v_lshrrev_b32_e32 v1, 3, v2
	v_mov_b32_e32 v29, v13
	s_mov_b32 s23, exec_lo
	v_cmpx_gt_u32_e32 8, v2
; %bb.310:                              ;   in Loop: Header=BB353_15 Depth=1
	v_and_b32_e32 v1, 7, v28
	v_ffbh_u32_e32 v1, v1
	v_min_u32_e32 v1, 32, v1
	v_subrev_nc_u32_e32 v2, 28, v1
	v_sub_nc_u32_e32 v1, 29, v1
	v_lshlrev_b64 v[29:30], v2, v[13:14]
; %bb.311:                              ;   in Loop: Header=BB353_15 Depth=1
	s_or_b32 exec_lo, exec_lo, s23
	v_lshlrev_b32_e32 v2, 20, v29
	v_lshlrev_b32_e32 v3, 24, v13
	v_lshl_add_u32 v1, v1, 23, 0x3c000000
	v_and_b32_e32 v2, 0x700000, v2
	v_and_b32_e32 v3, 0x80000000, v3
	v_or3_b32 v107, v2, v3, v1
.LBB353_312:                            ;   in Loop: Header=BB353_15 Depth=1
	s_or_b32 exec_lo, exec_lo, s22
.LBB353_313:                            ;   in Loop: Header=BB353_15 Depth=1
	s_or_b32 exec_lo, exec_lo, s21
.LBB353_314:                            ;   in Loop: Header=BB353_15 Depth=1
	s_or_b32 exec_lo, exec_lo, s20
	v_cmp_ne_u16_sdwa s5, v13, v14 src0_sel:BYTE_1 src1_sel:DWORD
	s_and_saveexec_b32 s20, s5
	s_cbranch_execz .LBB353_322
; %bb.315:                              ;   in Loop: Header=BB353_15 Depth=1
	v_cmp_ne_u16_sdwa s5, v13, v114 src0_sel:BYTE_1 src1_sel:DWORD
	v_bfrev_b32_e32 v108, 1
	s_and_saveexec_b32 s21, s5
	s_cbranch_execz .LBB353_321
; %bb.316:                              ;   in Loop: Header=BB353_15 Depth=1
	v_mov_b32_e32 v0, 0xffff
	v_mov_b32_e32 v108, 0x7f800001
	s_mov_b32 s22, exec_lo
	v_and_b32_sdwa v1, v0, v13 dst_sel:DWORD dst_unused:UNUSED_PAD src0_sel:DWORD src1_sel:BYTE_1
	v_and_b32_e32 v2, 0x7f, v1
	v_cmpx_ne_u32_e32 0x7f, v2
	s_cbranch_execz .LBB353_320
; %bb.317:                              ;   in Loop: Header=BB353_15 Depth=1
	v_and_b32_e32 v29, 7, v1
	v_mov_b32_e32 v30, v14
	v_lshrrev_b32_e32 v1, 3, v2
	s_mov_b32 s23, exec_lo
	v_cmpx_gt_u32_e32 8, v2
; %bb.318:                              ;   in Loop: Header=BB353_15 Depth=1
	v_ffbh_u32_e32 v1, v29
	v_min_u32_e32 v1, 32, v1
	v_subrev_nc_u32_e32 v2, 28, v1
	v_sub_nc_u32_e32 v1, 29, v1
	v_lshlrev_b64 v[2:3], v2, v[29:30]
	v_and_b32_e32 v29, 7, v2
; %bb.319:                              ;   in Loop: Header=BB353_15 Depth=1
	s_or_b32 exec_lo, exec_lo, s23
	v_lshlrev_b32_e32 v2, 16, v13
	v_lshlrev_b32_e32 v3, 20, v29
	v_lshl_add_u32 v1, v1, 23, 0x3c000000
	v_and_b32_e32 v2, 0x80000000, v2
	v_or3_b32 v108, v3, v2, v1
.LBB353_320:                            ;   in Loop: Header=BB353_15 Depth=1
	s_or_b32 exec_lo, exec_lo, s22
.LBB353_321:                            ;   in Loop: Header=BB353_15 Depth=1
	s_or_b32 exec_lo, exec_lo, s21
.LBB353_322:                            ;   in Loop: Header=BB353_15 Depth=1
	s_or_b32 exec_lo, exec_lo, s20
	v_and_b32_sdwa v1, v28, v9 dst_sel:DWORD dst_unused:UNUSED_PAD src0_sel:WORD_1 src1_sel:DWORD
	v_mov_b32_e32 v109, 0
	v_mov_b32_e32 v110, 0
	s_mov_b32 s20, exec_lo
	v_cmpx_ne_u16_e32 0, v1
	s_cbranch_execz .LBB353_330
; %bb.323:                              ;   in Loop: Header=BB353_15 Depth=1
	v_bfrev_b32_e32 v110, 1
	s_mov_b32 s21, exec_lo
	v_cmpx_ne_u16_e32 0x80, v1
	s_cbranch_execz .LBB353_329
; %bb.324:                              ;   in Loop: Header=BB353_15 Depth=1
	v_bfe_u32 v2, v28, 16, 7
	v_mov_b32_e32 v110, 0x7f800001
	s_mov_b32 s22, exec_lo
	v_cmpx_ne_u32_e32 0x7f, v2
	s_cbranch_execz .LBB353_328
; %bb.325:                              ;   in Loop: Header=BB353_15 Depth=1
	v_mov_b32_e32 v0, 7
	v_lshrrev_b32_e32 v1, 3, v2
	s_mov_b32 s23, exec_lo
	v_and_b32_sdwa v13, v28, v0 dst_sel:DWORD dst_unused:UNUSED_PAD src0_sel:WORD_1 src1_sel:DWORD
	v_mov_b32_e32 v30, v14
	v_mov_b32_e32 v29, v13
	v_cmpx_gt_u32_e32 8, v2
; %bb.326:                              ;   in Loop: Header=BB353_15 Depth=1
	v_ffbh_u32_e32 v1, v13
	v_min_u32_e32 v1, 32, v1
	v_subrev_nc_u32_e32 v2, 28, v1
	v_sub_nc_u32_e32 v1, 29, v1
	v_lshlrev_b64 v[2:3], v2, v[13:14]
	v_and_b32_e32 v29, 7, v2
; %bb.327:                              ;   in Loop: Header=BB353_15 Depth=1
	s_or_b32 exec_lo, exec_lo, s23
	v_mov_b32_e32 v0, 24
	v_lshlrev_b32_e32 v3, 20, v29
	v_lshl_add_u32 v1, v1, 23, 0x3c000000
	v_lshlrev_b32_sdwa v2, v0, v28 dst_sel:DWORD dst_unused:UNUSED_PAD src0_sel:DWORD src1_sel:WORD_1
	v_and_b32_e32 v2, 0x80000000, v2
	v_or3_b32 v110, v3, v2, v1
.LBB353_328:                            ;   in Loop: Header=BB353_15 Depth=1
	s_or_b32 exec_lo, exec_lo, s22
.LBB353_329:                            ;   in Loop: Header=BB353_15 Depth=1
	s_or_b32 exec_lo, exec_lo, s21
.LBB353_330:                            ;   in Loop: Header=BB353_15 Depth=1
	s_or_b32 exec_lo, exec_lo, s20
	s_mov_b32 s20, exec_lo
	v_cmpx_lt_u64_e64 s[12:13], v[27:28]
	s_cbranch_execz .LBB353_338
; %bb.331:                              ;   in Loop: Header=BB353_15 Depth=1
	v_cmp_ne_u32_sdwa s5, v28, v114 src0_sel:BYTE_3 src1_sel:DWORD
	v_bfrev_b32_e32 v109, 1
	s_and_saveexec_b32 s21, s5
	s_cbranch_execz .LBB353_337
; %bb.332:                              ;   in Loop: Header=BB353_15 Depth=1
	v_bfe_u32 v2, v28, 24, 7
	v_mov_b32_e32 v109, 0x7f800001
	s_mov_b32 s22, exec_lo
	v_cmpx_ne_u32_e32 0x7f, v2
	s_cbranch_execz .LBB353_336
; %bb.333:                              ;   in Loop: Header=BB353_15 Depth=1
	v_mov_b32_e32 v0, 7
	v_lshrrev_b32_e32 v1, 3, v2
	s_mov_b32 s23, exec_lo
	v_and_b32_sdwa v13, v28, v0 dst_sel:DWORD dst_unused:UNUSED_PAD src0_sel:BYTE_3 src1_sel:DWORD
	v_mov_b32_e32 v30, v14
	v_mov_b32_e32 v29, v13
	v_cmpx_gt_u32_e32 8, v2
; %bb.334:                              ;   in Loop: Header=BB353_15 Depth=1
	v_ffbh_u32_e32 v1, v13
	v_min_u32_e32 v1, 32, v1
	v_subrev_nc_u32_e32 v2, 28, v1
	v_sub_nc_u32_e32 v1, 29, v1
	v_lshlrev_b64 v[2:3], v2, v[13:14]
	v_and_b32_e32 v29, 7, v2
; %bb.335:                              ;   in Loop: Header=BB353_15 Depth=1
	s_or_b32 exec_lo, exec_lo, s23
	v_mov_b32_e32 v0, 24
	v_lshlrev_b32_e32 v3, 20, v29
	v_lshl_add_u32 v1, v1, 23, 0x3c000000
	v_lshlrev_b32_sdwa v2, v0, v28 dst_sel:DWORD dst_unused:UNUSED_PAD src0_sel:DWORD src1_sel:BYTE_3
	v_and_b32_e32 v2, 0x80000000, v2
	v_or3_b32 v109, v3, v2, v1
.LBB353_336:                            ;   in Loop: Header=BB353_15 Depth=1
	s_or_b32 exec_lo, exec_lo, s22
.LBB353_337:                            ;   in Loop: Header=BB353_15 Depth=1
	s_or_b32 exec_lo, exec_lo, s21
.LBB353_338:                            ;   in Loop: Header=BB353_15 Depth=1
	s_or_b32 exec_lo, exec_lo, s20
	flat_load_dwordx2 v[27:28], v[24:25] offset:1032
	v_mov_b32_e32 v120, 0
	v_mov_b32_e32 v111, 0
	s_waitcnt vmcnt(0) lgkmcnt(0)
	v_cmp_ne_u16_sdwa s5, v27, v14 src0_sel:BYTE_0 src1_sel:DWORD
	s_and_saveexec_b32 s20, s5
	s_cbranch_execz .LBB353_346
; %bb.339:                              ;   in Loop: Header=BB353_15 Depth=1
	v_cmp_ne_u16_sdwa s5, v27, v114 src0_sel:BYTE_0 src1_sel:DWORD
	v_bfrev_b32_e32 v111, 1
	s_and_saveexec_b32 s21, s5
	s_cbranch_execz .LBB353_345
; %bb.340:                              ;   in Loop: Header=BB353_15 Depth=1
	v_and_b32_e32 v2, 0x7f, v27
	v_mov_b32_e32 v111, 0x7f800001
	s_mov_b32 s22, exec_lo
	v_cmpx_ne_u32_e32 0x7f, v2
	s_cbranch_execz .LBB353_344
; %bb.341:                              ;   in Loop: Header=BB353_15 Depth=1
	v_mov_b32_e32 v30, v28
	v_lshrrev_b32_e32 v1, 3, v2
	v_mov_b32_e32 v29, v27
	s_mov_b32 s23, exec_lo
	v_cmpx_gt_u32_e32 8, v2
; %bb.342:                              ;   in Loop: Header=BB353_15 Depth=1
	v_and_b32_e32 v1, 7, v27
	v_ffbh_u32_e32 v1, v1
	v_min_u32_e32 v1, 32, v1
	v_subrev_nc_u32_e32 v2, 28, v1
	v_sub_nc_u32_e32 v1, 29, v1
	v_lshlrev_b64 v[29:30], v2, v[27:28]
; %bb.343:                              ;   in Loop: Header=BB353_15 Depth=1
	s_or_b32 exec_lo, exec_lo, s23
	v_lshlrev_b32_e32 v2, 20, v29
	v_lshlrev_b32_e32 v3, 24, v27
	v_lshl_add_u32 v1, v1, 23, 0x3c000000
	v_and_b32_e32 v2, 0x700000, v2
	v_and_b32_e32 v3, 0x80000000, v3
	v_or3_b32 v111, v2, v3, v1
.LBB353_344:                            ;   in Loop: Header=BB353_15 Depth=1
	s_or_b32 exec_lo, exec_lo, s22
.LBB353_345:                            ;   in Loop: Header=BB353_15 Depth=1
	s_or_b32 exec_lo, exec_lo, s21
.LBB353_346:                            ;   in Loop: Header=BB353_15 Depth=1
	s_or_b32 exec_lo, exec_lo, s20
	v_cmp_ne_u16_sdwa s5, v27, v14 src0_sel:BYTE_1 src1_sel:DWORD
	s_and_saveexec_b32 s20, s5
	s_cbranch_execz .LBB353_354
; %bb.347:                              ;   in Loop: Header=BB353_15 Depth=1
	v_cmp_ne_u16_sdwa s5, v27, v114 src0_sel:BYTE_1 src1_sel:DWORD
	v_bfrev_b32_e32 v120, 1
	s_and_saveexec_b32 s21, s5
	s_cbranch_execz .LBB353_353
; %bb.348:                              ;   in Loop: Header=BB353_15 Depth=1
	v_mov_b32_e32 v0, 0xffff
	v_mov_b32_e32 v120, 0x7f800001
	s_mov_b32 s22, exec_lo
	v_and_b32_sdwa v1, v0, v27 dst_sel:DWORD dst_unused:UNUSED_PAD src0_sel:DWORD src1_sel:BYTE_1
	v_and_b32_e32 v2, 0x7f, v1
	v_cmpx_ne_u32_e32 0x7f, v2
	s_cbranch_execz .LBB353_352
; %bb.349:                              ;   in Loop: Header=BB353_15 Depth=1
	v_and_b32_e32 v13, 7, v1
	v_mov_b32_e32 v30, v14
	v_lshrrev_b32_e32 v1, 3, v2
	s_mov_b32 s23, exec_lo
	v_mov_b32_e32 v29, v13
	v_cmpx_gt_u32_e32 8, v2
; %bb.350:                              ;   in Loop: Header=BB353_15 Depth=1
	v_ffbh_u32_e32 v1, v13
	v_min_u32_e32 v1, 32, v1
	v_subrev_nc_u32_e32 v2, 28, v1
	v_sub_nc_u32_e32 v1, 29, v1
	v_lshlrev_b64 v[2:3], v2, v[13:14]
	v_and_b32_e32 v29, 7, v2
; %bb.351:                              ;   in Loop: Header=BB353_15 Depth=1
	s_or_b32 exec_lo, exec_lo, s23
	v_lshlrev_b32_e32 v2, 16, v27
	v_lshlrev_b32_e32 v3, 20, v29
	v_lshl_add_u32 v1, v1, 23, 0x3c000000
	v_and_b32_e32 v2, 0x80000000, v2
	v_or3_b32 v120, v3, v2, v1
.LBB353_352:                            ;   in Loop: Header=BB353_15 Depth=1
	s_or_b32 exec_lo, exec_lo, s22
.LBB353_353:                            ;   in Loop: Header=BB353_15 Depth=1
	s_or_b32 exec_lo, exec_lo, s21
.LBB353_354:                            ;   in Loop: Header=BB353_15 Depth=1
	s_or_b32 exec_lo, exec_lo, s20
	v_and_b32_sdwa v1, v27, v9 dst_sel:DWORD dst_unused:UNUSED_PAD src0_sel:WORD_1 src1_sel:DWORD
	v_mov_b32_e32 v122, 0
	v_mov_b32_e32 v121, 0
	s_mov_b32 s20, exec_lo
	v_cmpx_ne_u16_e32 0, v1
	s_cbranch_execz .LBB353_362
; %bb.355:                              ;   in Loop: Header=BB353_15 Depth=1
	v_bfrev_b32_e32 v121, 1
	s_mov_b32 s21, exec_lo
	v_cmpx_ne_u16_e32 0x80, v1
	s_cbranch_execz .LBB353_361
; %bb.356:                              ;   in Loop: Header=BB353_15 Depth=1
	v_bfe_u32 v2, v27, 16, 7
	v_mov_b32_e32 v121, 0x7f800001
	s_mov_b32 s22, exec_lo
	v_cmpx_ne_u32_e32 0x7f, v2
	s_cbranch_execz .LBB353_360
; %bb.357:                              ;   in Loop: Header=BB353_15 Depth=1
	v_mov_b32_e32 v0, 7
	v_lshrrev_b32_e32 v1, 3, v2
	s_mov_b32 s23, exec_lo
	v_and_b32_sdwa v13, v27, v0 dst_sel:DWORD dst_unused:UNUSED_PAD src0_sel:WORD_1 src1_sel:DWORD
	v_mov_b32_e32 v30, v14
	v_mov_b32_e32 v29, v13
	v_cmpx_gt_u32_e32 8, v2
; %bb.358:                              ;   in Loop: Header=BB353_15 Depth=1
	v_ffbh_u32_e32 v1, v13
	v_min_u32_e32 v1, 32, v1
	v_subrev_nc_u32_e32 v2, 28, v1
	v_sub_nc_u32_e32 v1, 29, v1
	v_lshlrev_b64 v[2:3], v2, v[13:14]
	v_and_b32_e32 v29, 7, v2
; %bb.359:                              ;   in Loop: Header=BB353_15 Depth=1
	s_or_b32 exec_lo, exec_lo, s23
	v_mov_b32_e32 v0, 24
	v_lshlrev_b32_e32 v3, 20, v29
	v_lshl_add_u32 v1, v1, 23, 0x3c000000
	v_lshlrev_b32_sdwa v2, v0, v27 dst_sel:DWORD dst_unused:UNUSED_PAD src0_sel:DWORD src1_sel:WORD_1
	v_and_b32_e32 v2, 0x80000000, v2
	v_or3_b32 v121, v3, v2, v1
.LBB353_360:                            ;   in Loop: Header=BB353_15 Depth=1
	s_or_b32 exec_lo, exec_lo, s22
.LBB353_361:                            ;   in Loop: Header=BB353_15 Depth=1
	s_or_b32 exec_lo, exec_lo, s21
.LBB353_362:                            ;   in Loop: Header=BB353_15 Depth=1
	s_or_b32 exec_lo, exec_lo, s20
	s_mov_b32 s20, exec_lo
	v_cmpx_lt_u32_e32 0xffffff, v27
	s_cbranch_execz .LBB353_370
; %bb.363:                              ;   in Loop: Header=BB353_15 Depth=1
	v_cmp_ne_u32_sdwa s5, v27, v114 src0_sel:BYTE_3 src1_sel:DWORD
	v_bfrev_b32_e32 v122, 1
	s_and_saveexec_b32 s21, s5
	s_cbranch_execz .LBB353_369
; %bb.364:                              ;   in Loop: Header=BB353_15 Depth=1
	v_bfe_u32 v2, v27, 24, 7
	v_mov_b32_e32 v122, 0x7f800001
	s_mov_b32 s22, exec_lo
	v_cmpx_ne_u32_e32 0x7f, v2
	s_cbranch_execz .LBB353_368
; %bb.365:                              ;   in Loop: Header=BB353_15 Depth=1
	v_mov_b32_e32 v0, 7
	v_lshrrev_b32_e32 v1, 3, v2
	s_mov_b32 s23, exec_lo
	v_and_b32_sdwa v13, v27, v0 dst_sel:DWORD dst_unused:UNUSED_PAD src0_sel:BYTE_3 src1_sel:DWORD
	v_mov_b32_e32 v30, v14
	v_mov_b32_e32 v29, v13
	v_cmpx_gt_u32_e32 8, v2
; %bb.366:                              ;   in Loop: Header=BB353_15 Depth=1
	v_ffbh_u32_e32 v1, v13
	v_min_u32_e32 v1, 32, v1
	v_subrev_nc_u32_e32 v2, 28, v1
	v_sub_nc_u32_e32 v1, 29, v1
	v_lshlrev_b64 v[2:3], v2, v[13:14]
	v_and_b32_e32 v29, 7, v2
; %bb.367:                              ;   in Loop: Header=BB353_15 Depth=1
	s_or_b32 exec_lo, exec_lo, s23
	v_mov_b32_e32 v0, 24
	v_lshlrev_b32_e32 v3, 20, v29
	v_lshl_add_u32 v1, v1, 23, 0x3c000000
	v_lshlrev_b32_sdwa v2, v0, v27 dst_sel:DWORD dst_unused:UNUSED_PAD src0_sel:DWORD src1_sel:BYTE_3
	v_and_b32_e32 v2, 0x80000000, v2
	v_or3_b32 v122, v3, v2, v1
.LBB353_368:                            ;   in Loop: Header=BB353_15 Depth=1
	s_or_b32 exec_lo, exec_lo, s22
.LBB353_369:                            ;   in Loop: Header=BB353_15 Depth=1
	s_or_b32 exec_lo, exec_lo, s21
.LBB353_370:                            ;   in Loop: Header=BB353_15 Depth=1
	s_or_b32 exec_lo, exec_lo, s20
	v_mov_b32_e32 v13, v28
	v_cmp_ne_u16_sdwa s5, v28, v14 src0_sel:BYTE_0 src1_sel:DWORD
	v_mov_b32_e32 v124, 0
	v_mov_b32_e32 v123, 0
	s_and_saveexec_b32 s20, s5
	s_cbranch_execz .LBB353_378
; %bb.371:                              ;   in Loop: Header=BB353_15 Depth=1
	v_cmp_ne_u16_sdwa s5, v28, v114 src0_sel:BYTE_0 src1_sel:DWORD
	v_bfrev_b32_e32 v123, 1
	s_and_saveexec_b32 s21, s5
	s_cbranch_execz .LBB353_377
; %bb.372:                              ;   in Loop: Header=BB353_15 Depth=1
	v_and_b32_e32 v2, 0x7f, v28
	v_mov_b32_e32 v123, 0x7f800001
	s_mov_b32 s22, exec_lo
	v_cmpx_ne_u32_e32 0x7f, v2
	s_cbranch_execz .LBB353_376
; %bb.373:                              ;   in Loop: Header=BB353_15 Depth=1
	v_mov_b32_e32 v30, v14
	v_lshrrev_b32_e32 v1, 3, v2
	v_mov_b32_e32 v29, v13
	s_mov_b32 s23, exec_lo
	v_cmpx_gt_u32_e32 8, v2
; %bb.374:                              ;   in Loop: Header=BB353_15 Depth=1
	v_and_b32_e32 v1, 7, v28
	v_ffbh_u32_e32 v1, v1
	v_min_u32_e32 v1, 32, v1
	v_subrev_nc_u32_e32 v2, 28, v1
	v_sub_nc_u32_e32 v1, 29, v1
	v_lshlrev_b64 v[29:30], v2, v[13:14]
; %bb.375:                              ;   in Loop: Header=BB353_15 Depth=1
	s_or_b32 exec_lo, exec_lo, s23
	v_lshlrev_b32_e32 v2, 20, v29
	v_lshlrev_b32_e32 v3, 24, v13
	v_lshl_add_u32 v1, v1, 23, 0x3c000000
	v_and_b32_e32 v2, 0x700000, v2
	v_and_b32_e32 v3, 0x80000000, v3
	v_or3_b32 v123, v2, v3, v1
.LBB353_376:                            ;   in Loop: Header=BB353_15 Depth=1
	s_or_b32 exec_lo, exec_lo, s22
.LBB353_377:                            ;   in Loop: Header=BB353_15 Depth=1
	s_or_b32 exec_lo, exec_lo, s21
.LBB353_378:                            ;   in Loop: Header=BB353_15 Depth=1
	s_or_b32 exec_lo, exec_lo, s20
	v_cmp_ne_u16_sdwa s5, v13, v14 src0_sel:BYTE_1 src1_sel:DWORD
	s_and_saveexec_b32 s20, s5
	s_cbranch_execz .LBB353_386
; %bb.379:                              ;   in Loop: Header=BB353_15 Depth=1
	v_cmp_ne_u16_sdwa s5, v13, v114 src0_sel:BYTE_1 src1_sel:DWORD
	v_bfrev_b32_e32 v124, 1
	s_and_saveexec_b32 s21, s5
	s_cbranch_execz .LBB353_385
; %bb.380:                              ;   in Loop: Header=BB353_15 Depth=1
	v_mov_b32_e32 v0, 0xffff
	v_mov_b32_e32 v124, 0x7f800001
	s_mov_b32 s22, exec_lo
	v_and_b32_sdwa v1, v0, v13 dst_sel:DWORD dst_unused:UNUSED_PAD src0_sel:DWORD src1_sel:BYTE_1
	v_and_b32_e32 v2, 0x7f, v1
	v_cmpx_ne_u32_e32 0x7f, v2
	s_cbranch_execz .LBB353_384
; %bb.381:                              ;   in Loop: Header=BB353_15 Depth=1
	v_and_b32_e32 v29, 7, v1
	v_mov_b32_e32 v30, v14
	v_lshrrev_b32_e32 v1, 3, v2
	s_mov_b32 s23, exec_lo
	v_cmpx_gt_u32_e32 8, v2
; %bb.382:                              ;   in Loop: Header=BB353_15 Depth=1
	v_ffbh_u32_e32 v1, v29
	v_min_u32_e32 v1, 32, v1
	v_subrev_nc_u32_e32 v2, 28, v1
	v_sub_nc_u32_e32 v1, 29, v1
	v_lshlrev_b64 v[2:3], v2, v[29:30]
	v_and_b32_e32 v29, 7, v2
; %bb.383:                              ;   in Loop: Header=BB353_15 Depth=1
	s_or_b32 exec_lo, exec_lo, s23
	v_lshlrev_b32_e32 v2, 16, v13
	v_lshlrev_b32_e32 v3, 20, v29
	v_lshl_add_u32 v1, v1, 23, 0x3c000000
	v_and_b32_e32 v2, 0x80000000, v2
	v_or3_b32 v124, v3, v2, v1
.LBB353_384:                            ;   in Loop: Header=BB353_15 Depth=1
	s_or_b32 exec_lo, exec_lo, s22
.LBB353_385:                            ;   in Loop: Header=BB353_15 Depth=1
	s_or_b32 exec_lo, exec_lo, s21
.LBB353_386:                            ;   in Loop: Header=BB353_15 Depth=1
	s_or_b32 exec_lo, exec_lo, s20
	v_and_b32_sdwa v1, v28, v9 dst_sel:DWORD dst_unused:UNUSED_PAD src0_sel:WORD_1 src1_sel:DWORD
	v_mov_b32_e32 v125, 0
	v_mov_b32_e32 v126, 0
	s_mov_b32 s20, exec_lo
	v_cmpx_ne_u16_e32 0, v1
	s_cbranch_execz .LBB353_394
; %bb.387:                              ;   in Loop: Header=BB353_15 Depth=1
	v_bfrev_b32_e32 v126, 1
	s_mov_b32 s21, exec_lo
	v_cmpx_ne_u16_e32 0x80, v1
	s_cbranch_execz .LBB353_393
; %bb.388:                              ;   in Loop: Header=BB353_15 Depth=1
	v_bfe_u32 v2, v28, 16, 7
	v_mov_b32_e32 v126, 0x7f800001
	s_mov_b32 s22, exec_lo
	v_cmpx_ne_u32_e32 0x7f, v2
	s_cbranch_execz .LBB353_392
; %bb.389:                              ;   in Loop: Header=BB353_15 Depth=1
	v_mov_b32_e32 v0, 7
	v_lshrrev_b32_e32 v1, 3, v2
	s_mov_b32 s23, exec_lo
	v_and_b32_sdwa v13, v28, v0 dst_sel:DWORD dst_unused:UNUSED_PAD src0_sel:WORD_1 src1_sel:DWORD
	v_mov_b32_e32 v30, v14
	v_mov_b32_e32 v29, v13
	v_cmpx_gt_u32_e32 8, v2
; %bb.390:                              ;   in Loop: Header=BB353_15 Depth=1
	v_ffbh_u32_e32 v1, v13
	v_min_u32_e32 v1, 32, v1
	v_subrev_nc_u32_e32 v2, 28, v1
	v_sub_nc_u32_e32 v1, 29, v1
	v_lshlrev_b64 v[2:3], v2, v[13:14]
	v_and_b32_e32 v29, 7, v2
; %bb.391:                              ;   in Loop: Header=BB353_15 Depth=1
	s_or_b32 exec_lo, exec_lo, s23
	v_mov_b32_e32 v0, 24
	v_lshlrev_b32_e32 v3, 20, v29
	v_lshl_add_u32 v1, v1, 23, 0x3c000000
	v_lshlrev_b32_sdwa v2, v0, v28 dst_sel:DWORD dst_unused:UNUSED_PAD src0_sel:DWORD src1_sel:WORD_1
	v_and_b32_e32 v2, 0x80000000, v2
	v_or3_b32 v126, v3, v2, v1
.LBB353_392:                            ;   in Loop: Header=BB353_15 Depth=1
	s_or_b32 exec_lo, exec_lo, s22
.LBB353_393:                            ;   in Loop: Header=BB353_15 Depth=1
	s_or_b32 exec_lo, exec_lo, s21
.LBB353_394:                            ;   in Loop: Header=BB353_15 Depth=1
	s_or_b32 exec_lo, exec_lo, s20
	s_mov_b32 s20, exec_lo
	v_cmpx_lt_u64_e64 s[12:13], v[27:28]
	s_cbranch_execz .LBB353_402
; %bb.395:                              ;   in Loop: Header=BB353_15 Depth=1
	v_cmp_ne_u32_sdwa s5, v28, v114 src0_sel:BYTE_3 src1_sel:DWORD
	v_bfrev_b32_e32 v125, 1
	s_and_saveexec_b32 s21, s5
	s_cbranch_execz .LBB353_401
; %bb.396:                              ;   in Loop: Header=BB353_15 Depth=1
	v_bfe_u32 v2, v28, 24, 7
	v_mov_b32_e32 v125, 0x7f800001
	s_mov_b32 s22, exec_lo
	v_cmpx_ne_u32_e32 0x7f, v2
	s_cbranch_execz .LBB353_400
; %bb.397:                              ;   in Loop: Header=BB353_15 Depth=1
	v_mov_b32_e32 v0, 7
	v_lshrrev_b32_e32 v1, 3, v2
	s_mov_b32 s23, exec_lo
	v_and_b32_sdwa v13, v28, v0 dst_sel:DWORD dst_unused:UNUSED_PAD src0_sel:BYTE_3 src1_sel:DWORD
	v_mov_b32_e32 v30, v14
	v_mov_b32_e32 v29, v13
	v_cmpx_gt_u32_e32 8, v2
; %bb.398:                              ;   in Loop: Header=BB353_15 Depth=1
	v_ffbh_u32_e32 v1, v13
	v_min_u32_e32 v1, 32, v1
	v_subrev_nc_u32_e32 v2, 28, v1
	v_sub_nc_u32_e32 v1, 29, v1
	v_lshlrev_b64 v[2:3], v2, v[13:14]
	v_and_b32_e32 v29, 7, v2
; %bb.399:                              ;   in Loop: Header=BB353_15 Depth=1
	s_or_b32 exec_lo, exec_lo, s23
	v_mov_b32_e32 v0, 24
	v_lshlrev_b32_e32 v3, 20, v29
	v_lshl_add_u32 v1, v1, 23, 0x3c000000
	v_lshlrev_b32_sdwa v2, v0, v28 dst_sel:DWORD dst_unused:UNUSED_PAD src0_sel:DWORD src1_sel:BYTE_3
	v_and_b32_e32 v2, 0x80000000, v2
	v_or3_b32 v125, v3, v2, v1
.LBB353_400:                            ;   in Loop: Header=BB353_15 Depth=1
	s_or_b32 exec_lo, exec_lo, s22
.LBB353_401:                            ;   in Loop: Header=BB353_15 Depth=1
	s_or_b32 exec_lo, exec_lo, s21
.LBB353_402:                            ;   in Loop: Header=BB353_15 Depth=1
	s_or_b32 exec_lo, exec_lo, s20
	flat_load_dwordx2 v[27:28], v[24:25] offset:1536
	v_mov_b32_e32 v8, 0
	v_mov_b32_e32 v127, 0
	s_waitcnt vmcnt(0) lgkmcnt(0)
	v_cmp_ne_u16_sdwa s5, v27, v14 src0_sel:BYTE_0 src1_sel:DWORD
	s_and_saveexec_b32 s20, s5
	s_cbranch_execz .LBB353_410
; %bb.403:                              ;   in Loop: Header=BB353_15 Depth=1
	v_cmp_ne_u16_sdwa s5, v27, v114 src0_sel:BYTE_0 src1_sel:DWORD
	v_bfrev_b32_e32 v127, 1
	s_and_saveexec_b32 s21, s5
	s_cbranch_execz .LBB353_409
; %bb.404:                              ;   in Loop: Header=BB353_15 Depth=1
	v_and_b32_e32 v2, 0x7f, v27
	v_mov_b32_e32 v127, 0x7f800001
	s_mov_b32 s22, exec_lo
	v_cmpx_ne_u32_e32 0x7f, v2
	s_cbranch_execz .LBB353_408
; %bb.405:                              ;   in Loop: Header=BB353_15 Depth=1
	v_mov_b32_e32 v30, v28
	v_lshrrev_b32_e32 v1, 3, v2
	v_mov_b32_e32 v29, v27
	s_mov_b32 s23, exec_lo
	v_cmpx_gt_u32_e32 8, v2
; %bb.406:                              ;   in Loop: Header=BB353_15 Depth=1
	v_and_b32_e32 v1, 7, v27
	v_ffbh_u32_e32 v1, v1
	v_min_u32_e32 v1, 32, v1
	v_subrev_nc_u32_e32 v2, 28, v1
	v_sub_nc_u32_e32 v1, 29, v1
	v_lshlrev_b64 v[29:30], v2, v[27:28]
; %bb.407:                              ;   in Loop: Header=BB353_15 Depth=1
	s_or_b32 exec_lo, exec_lo, s23
	v_lshlrev_b32_e32 v2, 20, v29
	v_lshlrev_b32_e32 v3, 24, v27
	v_lshl_add_u32 v1, v1, 23, 0x3c000000
	v_and_b32_e32 v2, 0x700000, v2
	v_and_b32_e32 v3, 0x80000000, v3
	v_or3_b32 v127, v2, v3, v1
.LBB353_408:                            ;   in Loop: Header=BB353_15 Depth=1
	s_or_b32 exec_lo, exec_lo, s22
.LBB353_409:                            ;   in Loop: Header=BB353_15 Depth=1
	s_or_b32 exec_lo, exec_lo, s21
.LBB353_410:                            ;   in Loop: Header=BB353_15 Depth=1
	s_or_b32 exec_lo, exec_lo, s20
	v_cmp_ne_u16_sdwa s5, v27, v14 src0_sel:BYTE_1 src1_sel:DWORD
	s_and_saveexec_b32 s20, s5
	s_cbranch_execz .LBB353_418
; %bb.411:                              ;   in Loop: Header=BB353_15 Depth=1
	v_cmp_ne_u16_sdwa s5, v27, v114 src0_sel:BYTE_1 src1_sel:DWORD
	v_bfrev_b32_e32 v8, 1
	s_and_saveexec_b32 s21, s5
	s_cbranch_execz .LBB353_417
; %bb.412:                              ;   in Loop: Header=BB353_15 Depth=1
	v_mov_b32_e32 v0, 0xffff
	v_mov_b32_e32 v8, 0x7f800001
	s_mov_b32 s22, exec_lo
	v_and_b32_sdwa v1, v0, v27 dst_sel:DWORD dst_unused:UNUSED_PAD src0_sel:DWORD src1_sel:BYTE_1
	v_and_b32_e32 v2, 0x7f, v1
	v_cmpx_ne_u32_e32 0x7f, v2
	s_cbranch_execz .LBB353_416
; %bb.413:                              ;   in Loop: Header=BB353_15 Depth=1
	v_and_b32_e32 v13, 7, v1
	v_mov_b32_e32 v30, v14
	v_lshrrev_b32_e32 v1, 3, v2
	s_mov_b32 s23, exec_lo
	v_mov_b32_e32 v29, v13
	v_cmpx_gt_u32_e32 8, v2
; %bb.414:                              ;   in Loop: Header=BB353_15 Depth=1
	v_ffbh_u32_e32 v1, v13
	v_min_u32_e32 v1, 32, v1
	v_subrev_nc_u32_e32 v2, 28, v1
	v_sub_nc_u32_e32 v1, 29, v1
	v_lshlrev_b64 v[2:3], v2, v[13:14]
	v_and_b32_e32 v29, 7, v2
; %bb.415:                              ;   in Loop: Header=BB353_15 Depth=1
	s_or_b32 exec_lo, exec_lo, s23
	v_lshlrev_b32_e32 v2, 16, v27
	v_lshlrev_b32_e32 v3, 20, v29
	v_lshl_add_u32 v1, v1, 23, 0x3c000000
	v_and_b32_e32 v2, 0x80000000, v2
	v_or3_b32 v8, v3, v2, v1
.LBB353_416:                            ;   in Loop: Header=BB353_15 Depth=1
	s_or_b32 exec_lo, exec_lo, s22
.LBB353_417:                            ;   in Loop: Header=BB353_15 Depth=1
	s_or_b32 exec_lo, exec_lo, s21
.LBB353_418:                            ;   in Loop: Header=BB353_15 Depth=1
	s_or_b32 exec_lo, exec_lo, s20
	v_and_b32_sdwa v1, v27, v9 dst_sel:DWORD dst_unused:UNUSED_PAD src0_sel:WORD_1 src1_sel:DWORD
	v_mov_b32_e32 v71, 0
	v_mov_b32_e32 v12, 0
	s_mov_b32 s20, exec_lo
	v_cmpx_ne_u16_e32 0, v1
	s_cbranch_execz .LBB353_426
; %bb.419:                              ;   in Loop: Header=BB353_15 Depth=1
	v_bfrev_b32_e32 v12, 1
	s_mov_b32 s21, exec_lo
	v_cmpx_ne_u16_e32 0x80, v1
	s_cbranch_execz .LBB353_425
; %bb.420:                              ;   in Loop: Header=BB353_15 Depth=1
	v_bfe_u32 v2, v27, 16, 7
	v_mov_b32_e32 v12, 0x7f800001
	s_mov_b32 s22, exec_lo
	v_cmpx_ne_u32_e32 0x7f, v2
	s_cbranch_execz .LBB353_424
; %bb.421:                              ;   in Loop: Header=BB353_15 Depth=1
	v_mov_b32_e32 v0, 7
	v_lshrrev_b32_e32 v1, 3, v2
	s_mov_b32 s23, exec_lo
	v_and_b32_sdwa v13, v27, v0 dst_sel:DWORD dst_unused:UNUSED_PAD src0_sel:WORD_1 src1_sel:DWORD
	v_mov_b32_e32 v30, v14
	v_mov_b32_e32 v29, v13
	v_cmpx_gt_u32_e32 8, v2
; %bb.422:                              ;   in Loop: Header=BB353_15 Depth=1
	v_ffbh_u32_e32 v1, v13
	v_min_u32_e32 v1, 32, v1
	v_subrev_nc_u32_e32 v2, 28, v1
	v_sub_nc_u32_e32 v1, 29, v1
	v_lshlrev_b64 v[2:3], v2, v[13:14]
	v_and_b32_e32 v29, 7, v2
; %bb.423:                              ;   in Loop: Header=BB353_15 Depth=1
	s_or_b32 exec_lo, exec_lo, s23
	v_mov_b32_e32 v0, 24
	v_lshlrev_b32_e32 v3, 20, v29
	v_lshl_add_u32 v1, v1, 23, 0x3c000000
	v_lshlrev_b32_sdwa v2, v0, v27 dst_sel:DWORD dst_unused:UNUSED_PAD src0_sel:DWORD src1_sel:WORD_1
	v_and_b32_e32 v2, 0x80000000, v2
	v_or3_b32 v12, v3, v2, v1
.LBB353_424:                            ;   in Loop: Header=BB353_15 Depth=1
	s_or_b32 exec_lo, exec_lo, s22
.LBB353_425:                            ;   in Loop: Header=BB353_15 Depth=1
	s_or_b32 exec_lo, exec_lo, s21
.LBB353_426:                            ;   in Loop: Header=BB353_15 Depth=1
	s_or_b32 exec_lo, exec_lo, s20
	s_mov_b32 s20, exec_lo
	v_cmpx_lt_u32_e32 0xffffff, v27
	s_cbranch_execz .LBB353_434
; %bb.427:                              ;   in Loop: Header=BB353_15 Depth=1
	v_cmp_ne_u32_sdwa s5, v27, v114 src0_sel:BYTE_3 src1_sel:DWORD
	v_bfrev_b32_e32 v71, 1
	s_and_saveexec_b32 s21, s5
	s_cbranch_execz .LBB353_433
; %bb.428:                              ;   in Loop: Header=BB353_15 Depth=1
	v_bfe_u32 v2, v27, 24, 7
	v_mov_b32_e32 v71, 0x7f800001
	s_mov_b32 s22, exec_lo
	v_cmpx_ne_u32_e32 0x7f, v2
	s_cbranch_execz .LBB353_432
; %bb.429:                              ;   in Loop: Header=BB353_15 Depth=1
	v_mov_b32_e32 v0, 7
	v_lshrrev_b32_e32 v1, 3, v2
	s_mov_b32 s23, exec_lo
	v_and_b32_sdwa v13, v27, v0 dst_sel:DWORD dst_unused:UNUSED_PAD src0_sel:BYTE_3 src1_sel:DWORD
	v_mov_b32_e32 v30, v14
	v_mov_b32_e32 v29, v13
	v_cmpx_gt_u32_e32 8, v2
; %bb.430:                              ;   in Loop: Header=BB353_15 Depth=1
	v_ffbh_u32_e32 v1, v13
	v_min_u32_e32 v1, 32, v1
	v_subrev_nc_u32_e32 v2, 28, v1
	v_sub_nc_u32_e32 v1, 29, v1
	v_lshlrev_b64 v[2:3], v2, v[13:14]
	v_and_b32_e32 v29, 7, v2
; %bb.431:                              ;   in Loop: Header=BB353_15 Depth=1
	s_or_b32 exec_lo, exec_lo, s23
	v_mov_b32_e32 v0, 24
	v_lshlrev_b32_e32 v3, 20, v29
	v_lshl_add_u32 v1, v1, 23, 0x3c000000
	v_lshlrev_b32_sdwa v2, v0, v27 dst_sel:DWORD dst_unused:UNUSED_PAD src0_sel:DWORD src1_sel:BYTE_3
	v_and_b32_e32 v2, 0x80000000, v2
	v_or3_b32 v71, v3, v2, v1
.LBB353_432:                            ;   in Loop: Header=BB353_15 Depth=1
	s_or_b32 exec_lo, exec_lo, s22
.LBB353_433:                            ;   in Loop: Header=BB353_15 Depth=1
	s_or_b32 exec_lo, exec_lo, s21
.LBB353_434:                            ;   in Loop: Header=BB353_15 Depth=1
	s_or_b32 exec_lo, exec_lo, s20
	v_mov_b32_e32 v13, v28
	v_cmp_ne_u16_sdwa s5, v28, v14 src0_sel:BYTE_0 src1_sel:DWORD
	v_mov_b32_e32 v39, 0
	v_mov_b32_e32 v35, 0
	s_and_saveexec_b32 s20, s5
	s_cbranch_execz .LBB353_442
; %bb.435:                              ;   in Loop: Header=BB353_15 Depth=1
	v_cmp_ne_u16_sdwa s5, v28, v114 src0_sel:BYTE_0 src1_sel:DWORD
	v_bfrev_b32_e32 v35, 1
	s_and_saveexec_b32 s21, s5
	s_cbranch_execz .LBB353_441
; %bb.436:                              ;   in Loop: Header=BB353_15 Depth=1
	v_and_b32_e32 v2, 0x7f, v28
	v_mov_b32_e32 v35, 0x7f800001
	s_mov_b32 s22, exec_lo
	v_cmpx_ne_u32_e32 0x7f, v2
	s_cbranch_execz .LBB353_440
; %bb.437:                              ;   in Loop: Header=BB353_15 Depth=1
	v_mov_b32_e32 v30, v14
	v_lshrrev_b32_e32 v1, 3, v2
	v_mov_b32_e32 v29, v13
	s_mov_b32 s23, exec_lo
	v_cmpx_gt_u32_e32 8, v2
; %bb.438:                              ;   in Loop: Header=BB353_15 Depth=1
	v_and_b32_e32 v1, 7, v28
	v_ffbh_u32_e32 v1, v1
	v_min_u32_e32 v1, 32, v1
	v_subrev_nc_u32_e32 v2, 28, v1
	v_sub_nc_u32_e32 v1, 29, v1
	v_lshlrev_b64 v[29:30], v2, v[13:14]
; %bb.439:                              ;   in Loop: Header=BB353_15 Depth=1
	s_or_b32 exec_lo, exec_lo, s23
	v_lshlrev_b32_e32 v2, 20, v29
	v_lshlrev_b32_e32 v3, 24, v13
	v_lshl_add_u32 v1, v1, 23, 0x3c000000
	v_and_b32_e32 v2, 0x700000, v2
	v_and_b32_e32 v3, 0x80000000, v3
	v_or3_b32 v35, v2, v3, v1
.LBB353_440:                            ;   in Loop: Header=BB353_15 Depth=1
	s_or_b32 exec_lo, exec_lo, s22
.LBB353_441:                            ;   in Loop: Header=BB353_15 Depth=1
	s_or_b32 exec_lo, exec_lo, s21
.LBB353_442:                            ;   in Loop: Header=BB353_15 Depth=1
	s_or_b32 exec_lo, exec_lo, s20
	v_cmp_ne_u16_sdwa s5, v13, v14 src0_sel:BYTE_1 src1_sel:DWORD
	s_and_saveexec_b32 s20, s5
	s_cbranch_execz .LBB353_450
; %bb.443:                              ;   in Loop: Header=BB353_15 Depth=1
	v_cmp_ne_u16_sdwa s5, v13, v114 src0_sel:BYTE_1 src1_sel:DWORD
	v_bfrev_b32_e32 v39, 1
	s_and_saveexec_b32 s21, s5
	s_cbranch_execz .LBB353_449
; %bb.444:                              ;   in Loop: Header=BB353_15 Depth=1
	v_mov_b32_e32 v0, 0xffff
	v_mov_b32_e32 v39, 0x7f800001
	s_mov_b32 s22, exec_lo
	v_and_b32_sdwa v1, v0, v13 dst_sel:DWORD dst_unused:UNUSED_PAD src0_sel:DWORD src1_sel:BYTE_1
	v_and_b32_e32 v2, 0x7f, v1
	v_cmpx_ne_u32_e32 0x7f, v2
	s_cbranch_execz .LBB353_448
; %bb.445:                              ;   in Loop: Header=BB353_15 Depth=1
	v_and_b32_e32 v29, 7, v1
	v_mov_b32_e32 v30, v14
	v_lshrrev_b32_e32 v1, 3, v2
	s_mov_b32 s23, exec_lo
	v_cmpx_gt_u32_e32 8, v2
; %bb.446:                              ;   in Loop: Header=BB353_15 Depth=1
	v_ffbh_u32_e32 v1, v29
	v_min_u32_e32 v1, 32, v1
	v_subrev_nc_u32_e32 v2, 28, v1
	v_sub_nc_u32_e32 v1, 29, v1
	v_lshlrev_b64 v[2:3], v2, v[29:30]
	v_and_b32_e32 v29, 7, v2
; %bb.447:                              ;   in Loop: Header=BB353_15 Depth=1
	s_or_b32 exec_lo, exec_lo, s23
	v_lshlrev_b32_e32 v2, 16, v13
	v_lshlrev_b32_e32 v3, 20, v29
	v_lshl_add_u32 v1, v1, 23, 0x3c000000
	v_and_b32_e32 v2, 0x80000000, v2
	v_or3_b32 v39, v3, v2, v1
.LBB353_448:                            ;   in Loop: Header=BB353_15 Depth=1
	s_or_b32 exec_lo, exec_lo, s22
.LBB353_449:                            ;   in Loop: Header=BB353_15 Depth=1
	s_or_b32 exec_lo, exec_lo, s21
.LBB353_450:                            ;   in Loop: Header=BB353_15 Depth=1
	s_or_b32 exec_lo, exec_lo, s20
	v_and_b32_sdwa v1, v28, v9 dst_sel:DWORD dst_unused:UNUSED_PAD src0_sel:WORD_1 src1_sel:DWORD
	v_mov_b32_e32 v49, 0
	v_mov_b32_e32 v17, 0
	s_mov_b32 s20, exec_lo
	v_cmpx_ne_u16_e32 0, v1
	s_cbranch_execz .LBB353_458
; %bb.451:                              ;   in Loop: Header=BB353_15 Depth=1
	v_bfrev_b32_e32 v17, 1
	s_mov_b32 s21, exec_lo
	v_cmpx_ne_u16_e32 0x80, v1
	s_cbranch_execz .LBB353_457
; %bb.452:                              ;   in Loop: Header=BB353_15 Depth=1
	v_bfe_u32 v2, v28, 16, 7
	v_mov_b32_e32 v17, 0x7f800001
	s_mov_b32 s22, exec_lo
	v_cmpx_ne_u32_e32 0x7f, v2
	s_cbranch_execz .LBB353_456
; %bb.453:                              ;   in Loop: Header=BB353_15 Depth=1
	v_mov_b32_e32 v0, 7
	v_lshrrev_b32_e32 v1, 3, v2
	s_mov_b32 s23, exec_lo
	v_and_b32_sdwa v13, v28, v0 dst_sel:DWORD dst_unused:UNUSED_PAD src0_sel:WORD_1 src1_sel:DWORD
	v_mov_b32_e32 v30, v14
	v_mov_b32_e32 v29, v13
	v_cmpx_gt_u32_e32 8, v2
; %bb.454:                              ;   in Loop: Header=BB353_15 Depth=1
	v_ffbh_u32_e32 v1, v13
	v_min_u32_e32 v1, 32, v1
	v_subrev_nc_u32_e32 v2, 28, v1
	v_sub_nc_u32_e32 v1, 29, v1
	v_lshlrev_b64 v[2:3], v2, v[13:14]
	v_and_b32_e32 v29, 7, v2
; %bb.455:                              ;   in Loop: Header=BB353_15 Depth=1
	s_or_b32 exec_lo, exec_lo, s23
	v_mov_b32_e32 v0, 24
	v_lshlrev_b32_e32 v3, 20, v29
	v_lshl_add_u32 v1, v1, 23, 0x3c000000
	v_lshlrev_b32_sdwa v2, v0, v28 dst_sel:DWORD dst_unused:UNUSED_PAD src0_sel:DWORD src1_sel:WORD_1
	v_and_b32_e32 v2, 0x80000000, v2
	v_or3_b32 v17, v3, v2, v1
.LBB353_456:                            ;   in Loop: Header=BB353_15 Depth=1
	s_or_b32 exec_lo, exec_lo, s22
.LBB353_457:                            ;   in Loop: Header=BB353_15 Depth=1
	s_or_b32 exec_lo, exec_lo, s21
.LBB353_458:                            ;   in Loop: Header=BB353_15 Depth=1
	s_or_b32 exec_lo, exec_lo, s20
	s_mov_b32 s20, exec_lo
	v_cmpx_lt_u64_e64 s[12:13], v[27:28]
	s_cbranch_execz .LBB353_466
; %bb.459:                              ;   in Loop: Header=BB353_15 Depth=1
	v_cmp_ne_u32_sdwa s5, v28, v114 src0_sel:BYTE_3 src1_sel:DWORD
	v_bfrev_b32_e32 v49, 1
	s_and_saveexec_b32 s21, s5
	s_cbranch_execz .LBB353_465
; %bb.460:                              ;   in Loop: Header=BB353_15 Depth=1
	v_bfe_u32 v2, v28, 24, 7
	v_mov_b32_e32 v49, 0x7f800001
	s_mov_b32 s22, exec_lo
	v_cmpx_ne_u32_e32 0x7f, v2
	s_cbranch_execz .LBB353_464
; %bb.461:                              ;   in Loop: Header=BB353_15 Depth=1
	v_mov_b32_e32 v0, 7
	v_lshrrev_b32_e32 v1, 3, v2
	s_mov_b32 s23, exec_lo
	v_and_b32_sdwa v13, v28, v0 dst_sel:DWORD dst_unused:UNUSED_PAD src0_sel:BYTE_3 src1_sel:DWORD
	v_mov_b32_e32 v30, v14
	v_mov_b32_e32 v29, v13
	v_cmpx_gt_u32_e32 8, v2
; %bb.462:                              ;   in Loop: Header=BB353_15 Depth=1
	v_ffbh_u32_e32 v1, v13
	v_min_u32_e32 v1, 32, v1
	v_subrev_nc_u32_e32 v2, 28, v1
	v_sub_nc_u32_e32 v1, 29, v1
	v_lshlrev_b64 v[2:3], v2, v[13:14]
	v_and_b32_e32 v29, 7, v2
; %bb.463:                              ;   in Loop: Header=BB353_15 Depth=1
	s_or_b32 exec_lo, exec_lo, s23
	v_mov_b32_e32 v0, 24
	v_lshlrev_b32_e32 v3, 20, v29
	v_lshl_add_u32 v1, v1, 23, 0x3c000000
	v_lshlrev_b32_sdwa v2, v0, v28 dst_sel:DWORD dst_unused:UNUSED_PAD src0_sel:DWORD src1_sel:BYTE_3
	v_and_b32_e32 v2, 0x80000000, v2
	v_or3_b32 v49, v3, v2, v1
.LBB353_464:                            ;   in Loop: Header=BB353_15 Depth=1
	s_or_b32 exec_lo, exec_lo, s22
.LBB353_465:                            ;   in Loop: Header=BB353_15 Depth=1
	s_or_b32 exec_lo, exec_lo, s21
.LBB353_466:                            ;   in Loop: Header=BB353_15 Depth=1
	s_or_b32 exec_lo, exec_lo, s20
	flat_load_dwordx2 v[27:28], v[24:25] offset:1544
	v_mov_b32_e32 v7, 0
	v_mov_b32_e32 v80, 0
	s_waitcnt vmcnt(0) lgkmcnt(0)
	v_cmp_ne_u16_sdwa s5, v27, v14 src0_sel:BYTE_0 src1_sel:DWORD
	s_and_saveexec_b32 s20, s5
	s_cbranch_execz .LBB353_474
; %bb.467:                              ;   in Loop: Header=BB353_15 Depth=1
	v_cmp_ne_u16_sdwa s5, v27, v114 src0_sel:BYTE_0 src1_sel:DWORD
	v_bfrev_b32_e32 v80, 1
	s_and_saveexec_b32 s21, s5
	s_cbranch_execz .LBB353_473
; %bb.468:                              ;   in Loop: Header=BB353_15 Depth=1
	v_and_b32_e32 v2, 0x7f, v27
	v_mov_b32_e32 v80, 0x7f800001
	s_mov_b32 s22, exec_lo
	v_cmpx_ne_u32_e32 0x7f, v2
	s_cbranch_execz .LBB353_472
; %bb.469:                              ;   in Loop: Header=BB353_15 Depth=1
	v_mov_b32_e32 v30, v28
	v_lshrrev_b32_e32 v1, 3, v2
	v_mov_b32_e32 v29, v27
	s_mov_b32 s23, exec_lo
	v_cmpx_gt_u32_e32 8, v2
; %bb.470:                              ;   in Loop: Header=BB353_15 Depth=1
	v_and_b32_e32 v1, 7, v27
	v_ffbh_u32_e32 v1, v1
	v_min_u32_e32 v1, 32, v1
	v_subrev_nc_u32_e32 v2, 28, v1
	v_sub_nc_u32_e32 v1, 29, v1
	v_lshlrev_b64 v[29:30], v2, v[27:28]
; %bb.471:                              ;   in Loop: Header=BB353_15 Depth=1
	s_or_b32 exec_lo, exec_lo, s23
	v_lshlrev_b32_e32 v2, 20, v29
	v_lshlrev_b32_e32 v3, 24, v27
	v_lshl_add_u32 v1, v1, 23, 0x3c000000
	v_and_b32_e32 v2, 0x700000, v2
	v_and_b32_e32 v3, 0x80000000, v3
	v_or3_b32 v80, v2, v3, v1
.LBB353_472:                            ;   in Loop: Header=BB353_15 Depth=1
	s_or_b32 exec_lo, exec_lo, s22
.LBB353_473:                            ;   in Loop: Header=BB353_15 Depth=1
	s_or_b32 exec_lo, exec_lo, s21
.LBB353_474:                            ;   in Loop: Header=BB353_15 Depth=1
	s_or_b32 exec_lo, exec_lo, s20
	v_cmp_ne_u16_sdwa s5, v27, v14 src0_sel:BYTE_1 src1_sel:DWORD
	s_and_saveexec_b32 s20, s5
	s_cbranch_execz .LBB353_482
; %bb.475:                              ;   in Loop: Header=BB353_15 Depth=1
	v_cmp_ne_u16_sdwa s5, v27, v114 src0_sel:BYTE_1 src1_sel:DWORD
	v_bfrev_b32_e32 v7, 1
	s_and_saveexec_b32 s21, s5
	s_cbranch_execz .LBB353_481
; %bb.476:                              ;   in Loop: Header=BB353_15 Depth=1
	v_mov_b32_e32 v0, 0xffff
	v_mov_b32_e32 v7, 0x7f800001
	s_mov_b32 s22, exec_lo
	v_and_b32_sdwa v1, v0, v27 dst_sel:DWORD dst_unused:UNUSED_PAD src0_sel:DWORD src1_sel:BYTE_1
	v_and_b32_e32 v2, 0x7f, v1
	v_cmpx_ne_u32_e32 0x7f, v2
	s_cbranch_execz .LBB353_480
; %bb.477:                              ;   in Loop: Header=BB353_15 Depth=1
	v_and_b32_e32 v13, 7, v1
	v_mov_b32_e32 v30, v14
	v_lshrrev_b32_e32 v1, 3, v2
	s_mov_b32 s23, exec_lo
	v_mov_b32_e32 v29, v13
	v_cmpx_gt_u32_e32 8, v2
; %bb.478:                              ;   in Loop: Header=BB353_15 Depth=1
	v_ffbh_u32_e32 v1, v13
	v_min_u32_e32 v1, 32, v1
	v_subrev_nc_u32_e32 v2, 28, v1
	v_sub_nc_u32_e32 v1, 29, v1
	v_lshlrev_b64 v[2:3], v2, v[13:14]
	v_and_b32_e32 v29, 7, v2
; %bb.479:                              ;   in Loop: Header=BB353_15 Depth=1
	s_or_b32 exec_lo, exec_lo, s23
	v_lshlrev_b32_e32 v2, 16, v27
	v_lshlrev_b32_e32 v3, 20, v29
	v_lshl_add_u32 v1, v1, 23, 0x3c000000
	v_and_b32_e32 v2, 0x80000000, v2
	v_or3_b32 v7, v3, v2, v1
.LBB353_480:                            ;   in Loop: Header=BB353_15 Depth=1
	s_or_b32 exec_lo, exec_lo, s22
.LBB353_481:                            ;   in Loop: Header=BB353_15 Depth=1
	s_or_b32 exec_lo, exec_lo, s21
.LBB353_482:                            ;   in Loop: Header=BB353_15 Depth=1
	s_or_b32 exec_lo, exec_lo, s20
	v_and_b32_sdwa v1, v27, v9 dst_sel:DWORD dst_unused:UNUSED_PAD src0_sel:WORD_1 src1_sel:DWORD
	v_mov_b32_e32 v11, 0
	v_mov_b32_e32 v6, 0
	s_mov_b32 s20, exec_lo
	v_cmpx_ne_u16_e32 0, v1
	s_cbranch_execz .LBB353_490
; %bb.483:                              ;   in Loop: Header=BB353_15 Depth=1
	v_bfrev_b32_e32 v6, 1
	s_mov_b32 s21, exec_lo
	v_cmpx_ne_u16_e32 0x80, v1
	s_cbranch_execz .LBB353_489
; %bb.484:                              ;   in Loop: Header=BB353_15 Depth=1
	v_bfe_u32 v2, v27, 16, 7
	v_mov_b32_e32 v6, 0x7f800001
	s_mov_b32 s22, exec_lo
	v_cmpx_ne_u32_e32 0x7f, v2
	s_cbranch_execz .LBB353_488
; %bb.485:                              ;   in Loop: Header=BB353_15 Depth=1
	v_mov_b32_e32 v0, 7
	v_lshrrev_b32_e32 v1, 3, v2
	s_mov_b32 s23, exec_lo
	v_and_b32_sdwa v13, v27, v0 dst_sel:DWORD dst_unused:UNUSED_PAD src0_sel:WORD_1 src1_sel:DWORD
	v_mov_b32_e32 v30, v14
	v_mov_b32_e32 v29, v13
	v_cmpx_gt_u32_e32 8, v2
; %bb.486:                              ;   in Loop: Header=BB353_15 Depth=1
	v_ffbh_u32_e32 v1, v13
	v_min_u32_e32 v1, 32, v1
	v_subrev_nc_u32_e32 v2, 28, v1
	v_sub_nc_u32_e32 v1, 29, v1
	v_lshlrev_b64 v[2:3], v2, v[13:14]
	v_and_b32_e32 v29, 7, v2
; %bb.487:                              ;   in Loop: Header=BB353_15 Depth=1
	s_or_b32 exec_lo, exec_lo, s23
	v_mov_b32_e32 v0, 24
	v_lshlrev_b32_e32 v3, 20, v29
	v_lshl_add_u32 v1, v1, 23, 0x3c000000
	v_lshlrev_b32_sdwa v2, v0, v27 dst_sel:DWORD dst_unused:UNUSED_PAD src0_sel:DWORD src1_sel:WORD_1
	v_and_b32_e32 v2, 0x80000000, v2
	v_or3_b32 v6, v3, v2, v1
.LBB353_488:                            ;   in Loop: Header=BB353_15 Depth=1
	s_or_b32 exec_lo, exec_lo, s22
.LBB353_489:                            ;   in Loop: Header=BB353_15 Depth=1
	s_or_b32 exec_lo, exec_lo, s21
.LBB353_490:                            ;   in Loop: Header=BB353_15 Depth=1
	s_or_b32 exec_lo, exec_lo, s20
	s_mov_b32 s20, exec_lo
	v_cmpx_lt_u32_e32 0xffffff, v27
	s_cbranch_execz .LBB353_498
; %bb.491:                              ;   in Loop: Header=BB353_15 Depth=1
	v_cmp_ne_u32_sdwa s5, v27, v114 src0_sel:BYTE_3 src1_sel:DWORD
	v_bfrev_b32_e32 v11, 1
	s_and_saveexec_b32 s21, s5
	s_cbranch_execz .LBB353_497
; %bb.492:                              ;   in Loop: Header=BB353_15 Depth=1
	v_bfe_u32 v2, v27, 24, 7
	v_mov_b32_e32 v11, 0x7f800001
	s_mov_b32 s22, exec_lo
	v_cmpx_ne_u32_e32 0x7f, v2
	s_cbranch_execz .LBB353_496
; %bb.493:                              ;   in Loop: Header=BB353_15 Depth=1
	v_mov_b32_e32 v0, 7
	v_lshrrev_b32_e32 v1, 3, v2
	s_mov_b32 s23, exec_lo
	v_and_b32_sdwa v13, v27, v0 dst_sel:DWORD dst_unused:UNUSED_PAD src0_sel:BYTE_3 src1_sel:DWORD
	v_mov_b32_e32 v30, v14
	v_mov_b32_e32 v29, v13
	v_cmpx_gt_u32_e32 8, v2
; %bb.494:                              ;   in Loop: Header=BB353_15 Depth=1
	v_ffbh_u32_e32 v1, v13
	v_min_u32_e32 v1, 32, v1
	v_subrev_nc_u32_e32 v2, 28, v1
	v_sub_nc_u32_e32 v1, 29, v1
	v_lshlrev_b64 v[2:3], v2, v[13:14]
	v_and_b32_e32 v29, 7, v2
; %bb.495:                              ;   in Loop: Header=BB353_15 Depth=1
	s_or_b32 exec_lo, exec_lo, s23
	v_mov_b32_e32 v0, 24
	v_lshlrev_b32_e32 v3, 20, v29
	v_lshl_add_u32 v1, v1, 23, 0x3c000000
	v_lshlrev_b32_sdwa v2, v0, v27 dst_sel:DWORD dst_unused:UNUSED_PAD src0_sel:DWORD src1_sel:BYTE_3
	v_and_b32_e32 v2, 0x80000000, v2
	v_or3_b32 v11, v3, v2, v1
.LBB353_496:                            ;   in Loop: Header=BB353_15 Depth=1
	s_or_b32 exec_lo, exec_lo, s22
.LBB353_497:                            ;   in Loop: Header=BB353_15 Depth=1
	s_or_b32 exec_lo, exec_lo, s21
.LBB353_498:                            ;   in Loop: Header=BB353_15 Depth=1
	s_or_b32 exec_lo, exec_lo, s20
	v_mov_b32_e32 v13, v28
	v_cmp_ne_u16_sdwa s5, v28, v14 src0_sel:BYTE_0 src1_sel:DWORD
	v_mov_b32_e32 v33, 0
	v_mov_b32_e32 v10, 0
	s_and_saveexec_b32 s20, s5
	s_cbranch_execz .LBB353_506
; %bb.499:                              ;   in Loop: Header=BB353_15 Depth=1
	v_cmp_ne_u16_sdwa s5, v28, v114 src0_sel:BYTE_0 src1_sel:DWORD
	v_bfrev_b32_e32 v10, 1
	s_and_saveexec_b32 s21, s5
	s_cbranch_execz .LBB353_505
; %bb.500:                              ;   in Loop: Header=BB353_15 Depth=1
	v_and_b32_e32 v2, 0x7f, v28
	v_mov_b32_e32 v10, 0x7f800001
	s_mov_b32 s22, exec_lo
	v_cmpx_ne_u32_e32 0x7f, v2
	s_cbranch_execz .LBB353_504
; %bb.501:                              ;   in Loop: Header=BB353_15 Depth=1
	v_mov_b32_e32 v30, v14
	v_lshrrev_b32_e32 v1, 3, v2
	v_mov_b32_e32 v29, v13
	s_mov_b32 s23, exec_lo
	v_cmpx_gt_u32_e32 8, v2
; %bb.502:                              ;   in Loop: Header=BB353_15 Depth=1
	v_and_b32_e32 v1, 7, v28
	v_ffbh_u32_e32 v1, v1
	v_min_u32_e32 v1, 32, v1
	v_subrev_nc_u32_e32 v2, 28, v1
	v_sub_nc_u32_e32 v1, 29, v1
	v_lshlrev_b64 v[29:30], v2, v[13:14]
; %bb.503:                              ;   in Loop: Header=BB353_15 Depth=1
	s_or_b32 exec_lo, exec_lo, s23
	v_lshlrev_b32_e32 v2, 20, v29
	v_lshlrev_b32_e32 v3, 24, v13
	v_lshl_add_u32 v1, v1, 23, 0x3c000000
	v_and_b32_e32 v2, 0x700000, v2
	v_and_b32_e32 v3, 0x80000000, v3
	v_or3_b32 v10, v2, v3, v1
.LBB353_504:                            ;   in Loop: Header=BB353_15 Depth=1
	s_or_b32 exec_lo, exec_lo, s22
.LBB353_505:                            ;   in Loop: Header=BB353_15 Depth=1
	s_or_b32 exec_lo, exec_lo, s21
.LBB353_506:                            ;   in Loop: Header=BB353_15 Depth=1
	s_or_b32 exec_lo, exec_lo, s20
	v_cmp_ne_u16_sdwa s5, v13, v14 src0_sel:BYTE_1 src1_sel:DWORD
	s_and_saveexec_b32 s20, s5
	s_cbranch_execz .LBB353_514
; %bb.507:                              ;   in Loop: Header=BB353_15 Depth=1
	v_cmp_ne_u16_sdwa s5, v13, v114 src0_sel:BYTE_1 src1_sel:DWORD
	v_bfrev_b32_e32 v33, 1
	s_and_saveexec_b32 s21, s5
	s_cbranch_execz .LBB353_513
; %bb.508:                              ;   in Loop: Header=BB353_15 Depth=1
	v_mov_b32_e32 v0, 0xffff
	v_mov_b32_e32 v33, 0x7f800001
	s_mov_b32 s22, exec_lo
	v_and_b32_sdwa v1, v0, v13 dst_sel:DWORD dst_unused:UNUSED_PAD src0_sel:DWORD src1_sel:BYTE_1
	v_and_b32_e32 v2, 0x7f, v1
	v_cmpx_ne_u32_e32 0x7f, v2
	s_cbranch_execz .LBB353_512
; %bb.509:                              ;   in Loop: Header=BB353_15 Depth=1
	v_and_b32_e32 v29, 7, v1
	v_mov_b32_e32 v30, v14
	v_lshrrev_b32_e32 v1, 3, v2
	s_mov_b32 s23, exec_lo
	v_cmpx_gt_u32_e32 8, v2
; %bb.510:                              ;   in Loop: Header=BB353_15 Depth=1
	v_ffbh_u32_e32 v1, v29
	v_min_u32_e32 v1, 32, v1
	v_subrev_nc_u32_e32 v2, 28, v1
	v_sub_nc_u32_e32 v1, 29, v1
	v_lshlrev_b64 v[2:3], v2, v[29:30]
	v_and_b32_e32 v29, 7, v2
; %bb.511:                              ;   in Loop: Header=BB353_15 Depth=1
	s_or_b32 exec_lo, exec_lo, s23
	v_lshlrev_b32_e32 v2, 16, v13
	v_lshlrev_b32_e32 v3, 20, v29
	v_lshl_add_u32 v1, v1, 23, 0x3c000000
	v_and_b32_e32 v2, 0x80000000, v2
	v_or3_b32 v33, v3, v2, v1
.LBB353_512:                            ;   in Loop: Header=BB353_15 Depth=1
	s_or_b32 exec_lo, exec_lo, s22
.LBB353_513:                            ;   in Loop: Header=BB353_15 Depth=1
	s_or_b32 exec_lo, exec_lo, s21
.LBB353_514:                            ;   in Loop: Header=BB353_15 Depth=1
	s_or_b32 exec_lo, exec_lo, s20
	v_and_b32_sdwa v1, v28, v9 dst_sel:DWORD dst_unused:UNUSED_PAD src0_sel:WORD_1 src1_sel:DWORD
	v_mov_b32_e32 v2, 0
	v_mov_b32_e32 v3, 0
	s_mov_b32 s20, exec_lo
	v_cmpx_ne_u16_e32 0, v1
	s_cbranch_execz .LBB353_522
; %bb.515:                              ;   in Loop: Header=BB353_15 Depth=1
	v_bfrev_b32_e32 v3, 1
	s_mov_b32 s21, exec_lo
	v_cmpx_ne_u16_e32 0x80, v1
	s_cbranch_execz .LBB353_521
; %bb.516:                              ;   in Loop: Header=BB353_15 Depth=1
	v_bfe_u32 v4, v28, 16, 7
	v_mov_b32_e32 v3, 0x7f800001
	s_mov_b32 s22, exec_lo
	v_cmpx_ne_u32_e32 0x7f, v4
	s_cbranch_execz .LBB353_520
; %bb.517:                              ;   in Loop: Header=BB353_15 Depth=1
	v_mov_b32_e32 v0, 7
	v_lshrrev_b32_e32 v1, 3, v4
	s_mov_b32 s23, exec_lo
	v_and_b32_sdwa v13, v28, v0 dst_sel:DWORD dst_unused:UNUSED_PAD src0_sel:WORD_1 src1_sel:DWORD
	v_mov_b32_e32 v30, v14
	v_mov_b32_e32 v29, v13
	v_cmpx_gt_u32_e32 8, v4
; %bb.518:                              ;   in Loop: Header=BB353_15 Depth=1
	v_ffbh_u32_e32 v1, v13
	v_min_u32_e32 v1, 32, v1
	v_subrev_nc_u32_e32 v3, 28, v1
	v_sub_nc_u32_e32 v1, 29, v1
	v_lshlrev_b64 v[3:4], v3, v[13:14]
	v_and_b32_e32 v29, 7, v3
; %bb.519:                              ;   in Loop: Header=BB353_15 Depth=1
	s_or_b32 exec_lo, exec_lo, s23
	v_mov_b32_e32 v0, 24
	v_lshlrev_b32_e32 v4, 20, v29
	v_lshl_add_u32 v1, v1, 23, 0x3c000000
	v_lshlrev_b32_sdwa v3, v0, v28 dst_sel:DWORD dst_unused:UNUSED_PAD src0_sel:DWORD src1_sel:WORD_1
	v_and_b32_e32 v3, 0x80000000, v3
	v_or3_b32 v3, v4, v3, v1
.LBB353_520:                            ;   in Loop: Header=BB353_15 Depth=1
	s_or_b32 exec_lo, exec_lo, s22
.LBB353_521:                            ;   in Loop: Header=BB353_15 Depth=1
	s_or_b32 exec_lo, exec_lo, s21
.LBB353_522:                            ;   in Loop: Header=BB353_15 Depth=1
	s_or_b32 exec_lo, exec_lo, s20
	s_mov_b32 s20, exec_lo
	v_cmpx_lt_u64_e64 s[12:13], v[27:28]
	s_cbranch_execz .LBB353_530
; %bb.523:                              ;   in Loop: Header=BB353_15 Depth=1
	v_cmp_ne_u32_sdwa s5, v28, v114 src0_sel:BYTE_3 src1_sel:DWORD
	v_bfrev_b32_e32 v2, 1
	s_and_saveexec_b32 s21, s5
	s_cbranch_execz .LBB353_529
; %bb.524:                              ;   in Loop: Header=BB353_15 Depth=1
	v_bfe_u32 v4, v28, 24, 7
	v_mov_b32_e32 v2, 0x7f800001
	s_mov_b32 s22, exec_lo
	v_cmpx_ne_u32_e32 0x7f, v4
	s_cbranch_execz .LBB353_528
; %bb.525:                              ;   in Loop: Header=BB353_15 Depth=1
	v_mov_b32_e32 v0, 7
	v_lshrrev_b32_e32 v1, 3, v4
	s_mov_b32 s23, exec_lo
	v_and_b32_sdwa v13, v28, v0 dst_sel:DWORD dst_unused:UNUSED_PAD src0_sel:BYTE_3 src1_sel:DWORD
	v_mov_b32_e32 v30, v14
	v_mov_b32_e32 v29, v13
	v_cmpx_gt_u32_e32 8, v4
; %bb.526:                              ;   in Loop: Header=BB353_15 Depth=1
	v_ffbh_u32_e32 v1, v13
	v_min_u32_e32 v1, 32, v1
	v_subrev_nc_u32_e32 v2, 28, v1
	v_sub_nc_u32_e32 v1, 29, v1
	v_lshlrev_b64 v[4:5], v2, v[13:14]
	v_and_b32_e32 v29, 7, v4
; %bb.527:                              ;   in Loop: Header=BB353_15 Depth=1
	s_or_b32 exec_lo, exec_lo, s23
	v_mov_b32_e32 v0, 24
	v_lshlrev_b32_e32 v4, 20, v29
	v_lshl_add_u32 v1, v1, 23, 0x3c000000
	v_lshlrev_b32_sdwa v2, v0, v28 dst_sel:DWORD dst_unused:UNUSED_PAD src0_sel:DWORD src1_sel:BYTE_3
	v_and_b32_e32 v2, 0x80000000, v2
	v_or3_b32 v2, v4, v2, v1
.LBB353_528:                            ;   in Loop: Header=BB353_15 Depth=1
	s_or_b32 exec_lo, exec_lo, s22
.LBB353_529:                            ;   in Loop: Header=BB353_15 Depth=1
	s_or_b32 exec_lo, exec_lo, s21
.LBB353_530:                            ;   in Loop: Header=BB353_15 Depth=1
	s_or_b32 exec_lo, exec_lo, s20
	v_add_co_u32 v24, s5, 0x800, v24
	v_add_co_ci_u32_e64 v25, null, 0, v25, s5
	v_mov_b32_e32 v26, 0
	v_mov_b32_e32 v19, 0
	flat_load_dwordx2 v[27:28], v[24:25]
	s_waitcnt vmcnt(0) lgkmcnt(0)
	v_cmp_ne_u16_sdwa s5, v27, v14 src0_sel:BYTE_0 src1_sel:DWORD
	s_and_saveexec_b32 s20, s5
	s_cbranch_execz .LBB353_538
; %bb.531:                              ;   in Loop: Header=BB353_15 Depth=1
	v_cmp_ne_u16_sdwa s5, v27, v114 src0_sel:BYTE_0 src1_sel:DWORD
	v_bfrev_b32_e32 v19, 1
	s_and_saveexec_b32 s21, s5
	s_cbranch_execz .LBB353_537
; %bb.532:                              ;   in Loop: Header=BB353_15 Depth=1
	v_and_b32_e32 v4, 0x7f, v27
	v_mov_b32_e32 v19, 0x7f800001
	s_mov_b32 s22, exec_lo
	v_cmpx_ne_u32_e32 0x7f, v4
	s_cbranch_execz .LBB353_536
; %bb.533:                              ;   in Loop: Header=BB353_15 Depth=1
	v_mov_b32_e32 v30, v28
	v_lshrrev_b32_e32 v1, 3, v4
	v_mov_b32_e32 v29, v27
	s_mov_b32 s23, exec_lo
	v_cmpx_gt_u32_e32 8, v4
; %bb.534:                              ;   in Loop: Header=BB353_15 Depth=1
	v_and_b32_e32 v1, 7, v27
	v_ffbh_u32_e32 v1, v1
	v_min_u32_e32 v1, 32, v1
	v_subrev_nc_u32_e32 v4, 28, v1
	v_sub_nc_u32_e32 v1, 29, v1
	v_lshlrev_b64 v[29:30], v4, v[27:28]
; %bb.535:                              ;   in Loop: Header=BB353_15 Depth=1
	s_or_b32 exec_lo, exec_lo, s23
	v_lshlrev_b32_e32 v4, 20, v29
	v_lshlrev_b32_e32 v5, 24, v27
	v_lshl_add_u32 v1, v1, 23, 0x3c000000
	v_and_b32_e32 v4, 0x700000, v4
	v_and_b32_e32 v5, 0x80000000, v5
	v_or3_b32 v19, v4, v5, v1
.LBB353_536:                            ;   in Loop: Header=BB353_15 Depth=1
	s_or_b32 exec_lo, exec_lo, s22
.LBB353_537:                            ;   in Loop: Header=BB353_15 Depth=1
	s_or_b32 exec_lo, exec_lo, s21
.LBB353_538:                            ;   in Loop: Header=BB353_15 Depth=1
	s_or_b32 exec_lo, exec_lo, s20
	v_cmp_ne_u16_sdwa s5, v27, v14 src0_sel:BYTE_1 src1_sel:DWORD
	s_and_saveexec_b32 s20, s5
	s_cbranch_execz .LBB353_546
; %bb.539:                              ;   in Loop: Header=BB353_15 Depth=1
	v_cmp_ne_u16_sdwa s5, v27, v114 src0_sel:BYTE_1 src1_sel:DWORD
	v_bfrev_b32_e32 v26, 1
	s_and_saveexec_b32 s21, s5
	s_cbranch_execz .LBB353_545
; %bb.540:                              ;   in Loop: Header=BB353_15 Depth=1
	v_mov_b32_e32 v0, 0xffff
	v_mov_b32_e32 v26, 0x7f800001
	s_mov_b32 s22, exec_lo
	v_and_b32_sdwa v1, v0, v27 dst_sel:DWORD dst_unused:UNUSED_PAD src0_sel:DWORD src1_sel:BYTE_1
	v_and_b32_e32 v4, 0x7f, v1
	v_cmpx_ne_u32_e32 0x7f, v4
	s_cbranch_execz .LBB353_544
; %bb.541:                              ;   in Loop: Header=BB353_15 Depth=1
	v_and_b32_e32 v13, 7, v1
	v_mov_b32_e32 v30, v14
	v_lshrrev_b32_e32 v1, 3, v4
	s_mov_b32 s23, exec_lo
	v_mov_b32_e32 v29, v13
	v_cmpx_gt_u32_e32 8, v4
; %bb.542:                              ;   in Loop: Header=BB353_15 Depth=1
	v_ffbh_u32_e32 v1, v13
	v_min_u32_e32 v1, 32, v1
	v_subrev_nc_u32_e32 v4, 28, v1
	v_sub_nc_u32_e32 v1, 29, v1
	v_lshlrev_b64 v[4:5], v4, v[13:14]
	v_and_b32_e32 v29, 7, v4
; %bb.543:                              ;   in Loop: Header=BB353_15 Depth=1
	s_or_b32 exec_lo, exec_lo, s23
	v_lshlrev_b32_e32 v4, 16, v27
	v_lshlrev_b32_e32 v5, 20, v29
	v_lshl_add_u32 v1, v1, 23, 0x3c000000
	v_and_b32_e32 v4, 0x80000000, v4
	v_or3_b32 v26, v5, v4, v1
.LBB353_544:                            ;   in Loop: Header=BB353_15 Depth=1
	s_or_b32 exec_lo, exec_lo, s22
.LBB353_545:                            ;   in Loop: Header=BB353_15 Depth=1
	s_or_b32 exec_lo, exec_lo, s21
.LBB353_546:                            ;   in Loop: Header=BB353_15 Depth=1
	s_or_b32 exec_lo, exec_lo, s20
	v_and_b32_sdwa v1, v27, v9 dst_sel:DWORD dst_unused:UNUSED_PAD src0_sel:WORD_1 src1_sel:DWORD
	v_mov_b32_e32 v23, 0
	v_mov_b32_e32 v31, 0
	s_mov_b32 s20, exec_lo
	v_cmpx_ne_u16_e32 0, v1
	s_cbranch_execz .LBB353_554
; %bb.547:                              ;   in Loop: Header=BB353_15 Depth=1
	v_bfrev_b32_e32 v31, 1
	s_mov_b32 s21, exec_lo
	v_cmpx_ne_u16_e32 0x80, v1
	s_cbranch_execz .LBB353_553
; %bb.548:                              ;   in Loop: Header=BB353_15 Depth=1
	v_bfe_u32 v4, v27, 16, 7
	v_mov_b32_e32 v31, 0x7f800001
	s_mov_b32 s22, exec_lo
	v_cmpx_ne_u32_e32 0x7f, v4
	s_cbranch_execz .LBB353_552
; %bb.549:                              ;   in Loop: Header=BB353_15 Depth=1
	v_mov_b32_e32 v0, 7
	v_lshrrev_b32_e32 v1, 3, v4
	s_mov_b32 s23, exec_lo
	v_and_b32_sdwa v13, v27, v0 dst_sel:DWORD dst_unused:UNUSED_PAD src0_sel:WORD_1 src1_sel:DWORD
	v_mov_b32_e32 v30, v14
	v_mov_b32_e32 v29, v13
	v_cmpx_gt_u32_e32 8, v4
; %bb.550:                              ;   in Loop: Header=BB353_15 Depth=1
	v_ffbh_u32_e32 v1, v13
	v_min_u32_e32 v1, 32, v1
	v_subrev_nc_u32_e32 v4, 28, v1
	v_sub_nc_u32_e32 v1, 29, v1
	v_lshlrev_b64 v[4:5], v4, v[13:14]
	v_and_b32_e32 v29, 7, v4
; %bb.551:                              ;   in Loop: Header=BB353_15 Depth=1
	s_or_b32 exec_lo, exec_lo, s23
	v_mov_b32_e32 v0, 24
	v_lshlrev_b32_e32 v5, 20, v29
	v_lshl_add_u32 v1, v1, 23, 0x3c000000
	v_lshlrev_b32_sdwa v4, v0, v27 dst_sel:DWORD dst_unused:UNUSED_PAD src0_sel:DWORD src1_sel:WORD_1
	v_and_b32_e32 v4, 0x80000000, v4
	v_or3_b32 v31, v5, v4, v1
.LBB353_552:                            ;   in Loop: Header=BB353_15 Depth=1
	s_or_b32 exec_lo, exec_lo, s22
.LBB353_553:                            ;   in Loop: Header=BB353_15 Depth=1
	s_or_b32 exec_lo, exec_lo, s21
.LBB353_554:                            ;   in Loop: Header=BB353_15 Depth=1
	s_or_b32 exec_lo, exec_lo, s20
	s_mov_b32 s20, exec_lo
	v_cmpx_lt_u32_e32 0xffffff, v27
	s_cbranch_execz .LBB353_562
; %bb.555:                              ;   in Loop: Header=BB353_15 Depth=1
	v_cmp_ne_u32_sdwa s5, v27, v114 src0_sel:BYTE_3 src1_sel:DWORD
	v_bfrev_b32_e32 v23, 1
	s_and_saveexec_b32 s21, s5
	s_cbranch_execz .LBB353_561
; %bb.556:                              ;   in Loop: Header=BB353_15 Depth=1
	v_bfe_u32 v4, v27, 24, 7
	v_mov_b32_e32 v23, 0x7f800001
	s_mov_b32 s22, exec_lo
	v_cmpx_ne_u32_e32 0x7f, v4
	s_cbranch_execz .LBB353_560
; %bb.557:                              ;   in Loop: Header=BB353_15 Depth=1
	v_mov_b32_e32 v0, 7
	v_lshrrev_b32_e32 v1, 3, v4
	s_mov_b32 s23, exec_lo
	v_and_b32_sdwa v13, v27, v0 dst_sel:DWORD dst_unused:UNUSED_PAD src0_sel:BYTE_3 src1_sel:DWORD
	v_mov_b32_e32 v30, v14
	v_mov_b32_e32 v29, v13
	v_cmpx_gt_u32_e32 8, v4
; %bb.558:                              ;   in Loop: Header=BB353_15 Depth=1
	v_ffbh_u32_e32 v1, v13
	v_min_u32_e32 v1, 32, v1
	v_subrev_nc_u32_e32 v4, 28, v1
	v_sub_nc_u32_e32 v1, 29, v1
	v_lshlrev_b64 v[4:5], v4, v[13:14]
	v_and_b32_e32 v29, 7, v4
; %bb.559:                              ;   in Loop: Header=BB353_15 Depth=1
	s_or_b32 exec_lo, exec_lo, s23
	v_mov_b32_e32 v0, 24
	v_lshlrev_b32_e32 v5, 20, v29
	v_lshl_add_u32 v1, v1, 23, 0x3c000000
	v_lshlrev_b32_sdwa v4, v0, v27 dst_sel:DWORD dst_unused:UNUSED_PAD src0_sel:DWORD src1_sel:BYTE_3
	v_and_b32_e32 v4, 0x80000000, v4
	v_or3_b32 v23, v5, v4, v1
.LBB353_560:                            ;   in Loop: Header=BB353_15 Depth=1
	s_or_b32 exec_lo, exec_lo, s22
.LBB353_561:                            ;   in Loop: Header=BB353_15 Depth=1
	s_or_b32 exec_lo, exec_lo, s21
.LBB353_562:                            ;   in Loop: Header=BB353_15 Depth=1
	s_or_b32 exec_lo, exec_lo, s20
	v_mov_b32_e32 v13, v28
	v_cmp_ne_u16_sdwa s5, v28, v14 src0_sel:BYTE_0 src1_sel:DWORD
	v_mov_b32_e32 v50, 0
	v_mov_b32_e32 v22, 0
	s_and_saveexec_b32 s20, s5
	s_cbranch_execz .LBB353_570
; %bb.563:                              ;   in Loop: Header=BB353_15 Depth=1
	v_cmp_ne_u16_sdwa s5, v28, v114 src0_sel:BYTE_0 src1_sel:DWORD
	v_bfrev_b32_e32 v22, 1
	s_and_saveexec_b32 s21, s5
	s_cbranch_execz .LBB353_569
; %bb.564:                              ;   in Loop: Header=BB353_15 Depth=1
	v_and_b32_e32 v4, 0x7f, v28
	v_mov_b32_e32 v22, 0x7f800001
	s_mov_b32 s22, exec_lo
	v_cmpx_ne_u32_e32 0x7f, v4
	s_cbranch_execz .LBB353_568
; %bb.565:                              ;   in Loop: Header=BB353_15 Depth=1
	v_mov_b32_e32 v30, v14
	v_lshrrev_b32_e32 v1, 3, v4
	v_mov_b32_e32 v29, v13
	s_mov_b32 s23, exec_lo
	v_cmpx_gt_u32_e32 8, v4
; %bb.566:                              ;   in Loop: Header=BB353_15 Depth=1
	v_and_b32_e32 v1, 7, v28
	v_ffbh_u32_e32 v1, v1
	v_min_u32_e32 v1, 32, v1
	v_subrev_nc_u32_e32 v4, 28, v1
	v_sub_nc_u32_e32 v1, 29, v1
	v_lshlrev_b64 v[29:30], v4, v[13:14]
; %bb.567:                              ;   in Loop: Header=BB353_15 Depth=1
	s_or_b32 exec_lo, exec_lo, s23
	v_lshlrev_b32_e32 v4, 20, v29
	v_lshlrev_b32_e32 v5, 24, v13
	v_lshl_add_u32 v1, v1, 23, 0x3c000000
	v_and_b32_e32 v4, 0x700000, v4
	v_and_b32_e32 v5, 0x80000000, v5
	v_or3_b32 v22, v4, v5, v1
.LBB353_568:                            ;   in Loop: Header=BB353_15 Depth=1
	s_or_b32 exec_lo, exec_lo, s22
.LBB353_569:                            ;   in Loop: Header=BB353_15 Depth=1
	s_or_b32 exec_lo, exec_lo, s21
.LBB353_570:                            ;   in Loop: Header=BB353_15 Depth=1
	s_or_b32 exec_lo, exec_lo, s20
	v_cmp_ne_u16_sdwa s5, v13, v14 src0_sel:BYTE_1 src1_sel:DWORD
	s_and_saveexec_b32 s20, s5
	s_cbranch_execz .LBB353_578
; %bb.571:                              ;   in Loop: Header=BB353_15 Depth=1
	v_cmp_ne_u16_sdwa s5, v13, v114 src0_sel:BYTE_1 src1_sel:DWORD
	v_bfrev_b32_e32 v50, 1
	s_and_saveexec_b32 s21, s5
	s_cbranch_execz .LBB353_577
; %bb.572:                              ;   in Loop: Header=BB353_15 Depth=1
	v_mov_b32_e32 v0, 0xffff
	v_mov_b32_e32 v50, 0x7f800001
	s_mov_b32 s22, exec_lo
	v_and_b32_sdwa v1, v0, v13 dst_sel:DWORD dst_unused:UNUSED_PAD src0_sel:DWORD src1_sel:BYTE_1
	v_and_b32_e32 v4, 0x7f, v1
	v_cmpx_ne_u32_e32 0x7f, v4
	s_cbranch_execz .LBB353_576
; %bb.573:                              ;   in Loop: Header=BB353_15 Depth=1
	v_and_b32_e32 v29, 7, v1
	v_mov_b32_e32 v30, v14
	v_lshrrev_b32_e32 v1, 3, v4
	s_mov_b32 s23, exec_lo
	v_cmpx_gt_u32_e32 8, v4
; %bb.574:                              ;   in Loop: Header=BB353_15 Depth=1
	v_ffbh_u32_e32 v1, v29
	v_min_u32_e32 v1, 32, v1
	v_subrev_nc_u32_e32 v4, 28, v1
	v_sub_nc_u32_e32 v1, 29, v1
	v_lshlrev_b64 v[4:5], v4, v[29:30]
	v_and_b32_e32 v29, 7, v4
; %bb.575:                              ;   in Loop: Header=BB353_15 Depth=1
	s_or_b32 exec_lo, exec_lo, s23
	v_lshlrev_b32_e32 v4, 16, v13
	v_lshlrev_b32_e32 v5, 20, v29
	v_lshl_add_u32 v1, v1, 23, 0x3c000000
	v_and_b32_e32 v4, 0x80000000, v4
	v_or3_b32 v50, v5, v4, v1
.LBB353_576:                            ;   in Loop: Header=BB353_15 Depth=1
	s_or_b32 exec_lo, exec_lo, s22
.LBB353_577:                            ;   in Loop: Header=BB353_15 Depth=1
	s_or_b32 exec_lo, exec_lo, s21
.LBB353_578:                            ;   in Loop: Header=BB353_15 Depth=1
	s_or_b32 exec_lo, exec_lo, s20
	v_and_b32_sdwa v1, v28, v9 dst_sel:DWORD dst_unused:UNUSED_PAD src0_sel:WORD_1 src1_sel:DWORD
	v_mov_b32_e32 v18, 0
	v_mov_b32_e32 v51, 0
	s_mov_b32 s20, exec_lo
	v_cmpx_ne_u16_e32 0, v1
	s_cbranch_execz .LBB353_586
; %bb.579:                              ;   in Loop: Header=BB353_15 Depth=1
	v_bfrev_b32_e32 v51, 1
	s_mov_b32 s21, exec_lo
	v_cmpx_ne_u16_e32 0x80, v1
	s_cbranch_execz .LBB353_585
; %bb.580:                              ;   in Loop: Header=BB353_15 Depth=1
	v_bfe_u32 v4, v28, 16, 7
	v_mov_b32_e32 v51, 0x7f800001
	s_mov_b32 s22, exec_lo
	v_cmpx_ne_u32_e32 0x7f, v4
	s_cbranch_execz .LBB353_584
; %bb.581:                              ;   in Loop: Header=BB353_15 Depth=1
	v_mov_b32_e32 v0, 7
	v_lshrrev_b32_e32 v1, 3, v4
	s_mov_b32 s23, exec_lo
	v_and_b32_sdwa v13, v28, v0 dst_sel:DWORD dst_unused:UNUSED_PAD src0_sel:WORD_1 src1_sel:DWORD
	v_mov_b32_e32 v30, v14
	v_mov_b32_e32 v29, v13
	v_cmpx_gt_u32_e32 8, v4
; %bb.582:                              ;   in Loop: Header=BB353_15 Depth=1
	v_ffbh_u32_e32 v1, v13
	v_min_u32_e32 v1, 32, v1
	v_subrev_nc_u32_e32 v4, 28, v1
	v_sub_nc_u32_e32 v1, 29, v1
	v_lshlrev_b64 v[4:5], v4, v[13:14]
	v_and_b32_e32 v29, 7, v4
; %bb.583:                              ;   in Loop: Header=BB353_15 Depth=1
	s_or_b32 exec_lo, exec_lo, s23
	v_mov_b32_e32 v0, 24
	v_lshlrev_b32_e32 v5, 20, v29
	v_lshl_add_u32 v1, v1, 23, 0x3c000000
	v_lshlrev_b32_sdwa v4, v0, v28 dst_sel:DWORD dst_unused:UNUSED_PAD src0_sel:DWORD src1_sel:WORD_1
	v_and_b32_e32 v4, 0x80000000, v4
	v_or3_b32 v51, v5, v4, v1
.LBB353_584:                            ;   in Loop: Header=BB353_15 Depth=1
	s_or_b32 exec_lo, exec_lo, s22
.LBB353_585:                            ;   in Loop: Header=BB353_15 Depth=1
	s_or_b32 exec_lo, exec_lo, s21
.LBB353_586:                            ;   in Loop: Header=BB353_15 Depth=1
	s_or_b32 exec_lo, exec_lo, s20
	s_mov_b32 s20, exec_lo
	v_cmpx_lt_u64_e64 s[12:13], v[27:28]
	s_cbranch_execz .LBB353_594
; %bb.587:                              ;   in Loop: Header=BB353_15 Depth=1
	v_cmp_ne_u32_sdwa s5, v28, v114 src0_sel:BYTE_3 src1_sel:DWORD
	v_bfrev_b32_e32 v18, 1
	s_and_saveexec_b32 s21, s5
	s_cbranch_execz .LBB353_593
; %bb.588:                              ;   in Loop: Header=BB353_15 Depth=1
	v_bfe_u32 v4, v28, 24, 7
	v_mov_b32_e32 v18, 0x7f800001
	s_mov_b32 s22, exec_lo
	v_cmpx_ne_u32_e32 0x7f, v4
	s_cbranch_execz .LBB353_592
; %bb.589:                              ;   in Loop: Header=BB353_15 Depth=1
	v_mov_b32_e32 v0, 7
	v_lshrrev_b32_e32 v1, 3, v4
	s_mov_b32 s23, exec_lo
	v_and_b32_sdwa v13, v28, v0 dst_sel:DWORD dst_unused:UNUSED_PAD src0_sel:BYTE_3 src1_sel:DWORD
	v_mov_b32_e32 v30, v14
	v_mov_b32_e32 v29, v13
	v_cmpx_gt_u32_e32 8, v4
; %bb.590:                              ;   in Loop: Header=BB353_15 Depth=1
	v_ffbh_u32_e32 v1, v13
	v_min_u32_e32 v1, 32, v1
	v_subrev_nc_u32_e32 v4, 28, v1
	v_sub_nc_u32_e32 v1, 29, v1
	v_lshlrev_b64 v[4:5], v4, v[13:14]
	v_and_b32_e32 v29, 7, v4
; %bb.591:                              ;   in Loop: Header=BB353_15 Depth=1
	s_or_b32 exec_lo, exec_lo, s23
	v_mov_b32_e32 v0, 24
	v_lshlrev_b32_e32 v5, 20, v29
	v_lshl_add_u32 v1, v1, 23, 0x3c000000
	v_lshlrev_b32_sdwa v4, v0, v28 dst_sel:DWORD dst_unused:UNUSED_PAD src0_sel:DWORD src1_sel:BYTE_3
	v_and_b32_e32 v4, 0x80000000, v4
	v_or3_b32 v18, v5, v4, v1
.LBB353_592:                            ;   in Loop: Header=BB353_15 Depth=1
	s_or_b32 exec_lo, exec_lo, s22
.LBB353_593:                            ;   in Loop: Header=BB353_15 Depth=1
	s_or_b32 exec_lo, exec_lo, s21
.LBB353_594:                            ;   in Loop: Header=BB353_15 Depth=1
	s_or_b32 exec_lo, exec_lo, s20
	flat_load_dwordx2 v[27:28], v[24:25] offset:8
	v_mov_b32_e32 v52, 0
	v_mov_b32_e32 v38, 0
	s_waitcnt vmcnt(0) lgkmcnt(0)
	v_cmp_ne_u16_sdwa s5, v27, v14 src0_sel:BYTE_0 src1_sel:DWORD
	s_and_saveexec_b32 s20, s5
	s_cbranch_execz .LBB353_602
; %bb.595:                              ;   in Loop: Header=BB353_15 Depth=1
	v_cmp_ne_u16_sdwa s5, v27, v114 src0_sel:BYTE_0 src1_sel:DWORD
	v_bfrev_b32_e32 v38, 1
	s_and_saveexec_b32 s21, s5
	s_cbranch_execz .LBB353_601
; %bb.596:                              ;   in Loop: Header=BB353_15 Depth=1
	v_and_b32_e32 v4, 0x7f, v27
	v_mov_b32_e32 v38, 0x7f800001
	s_mov_b32 s22, exec_lo
	v_cmpx_ne_u32_e32 0x7f, v4
	s_cbranch_execz .LBB353_600
; %bb.597:                              ;   in Loop: Header=BB353_15 Depth=1
	v_mov_b32_e32 v30, v28
	v_lshrrev_b32_e32 v1, 3, v4
	v_mov_b32_e32 v29, v27
	s_mov_b32 s23, exec_lo
	v_cmpx_gt_u32_e32 8, v4
; %bb.598:                              ;   in Loop: Header=BB353_15 Depth=1
	v_and_b32_e32 v1, 7, v27
	v_ffbh_u32_e32 v1, v1
	v_min_u32_e32 v1, 32, v1
	v_subrev_nc_u32_e32 v4, 28, v1
	v_sub_nc_u32_e32 v1, 29, v1
	v_lshlrev_b64 v[29:30], v4, v[27:28]
; %bb.599:                              ;   in Loop: Header=BB353_15 Depth=1
	s_or_b32 exec_lo, exec_lo, s23
	v_lshlrev_b32_e32 v4, 20, v29
	v_lshlrev_b32_e32 v5, 24, v27
	v_lshl_add_u32 v1, v1, 23, 0x3c000000
	v_and_b32_e32 v4, 0x700000, v4
	v_and_b32_e32 v5, 0x80000000, v5
	v_or3_b32 v38, v4, v5, v1
.LBB353_600:                            ;   in Loop: Header=BB353_15 Depth=1
	s_or_b32 exec_lo, exec_lo, s22
.LBB353_601:                            ;   in Loop: Header=BB353_15 Depth=1
	s_or_b32 exec_lo, exec_lo, s21
.LBB353_602:                            ;   in Loop: Header=BB353_15 Depth=1
	s_or_b32 exec_lo, exec_lo, s20
	v_cmp_ne_u16_sdwa s5, v27, v14 src0_sel:BYTE_1 src1_sel:DWORD
	s_and_saveexec_b32 s20, s5
	s_cbranch_execz .LBB353_610
; %bb.603:                              ;   in Loop: Header=BB353_15 Depth=1
	v_cmp_ne_u16_sdwa s5, v27, v114 src0_sel:BYTE_1 src1_sel:DWORD
	v_bfrev_b32_e32 v52, 1
	s_and_saveexec_b32 s21, s5
	s_cbranch_execz .LBB353_609
; %bb.604:                              ;   in Loop: Header=BB353_15 Depth=1
	v_mov_b32_e32 v0, 0xffff
	v_mov_b32_e32 v52, 0x7f800001
	s_mov_b32 s22, exec_lo
	v_and_b32_sdwa v1, v0, v27 dst_sel:DWORD dst_unused:UNUSED_PAD src0_sel:DWORD src1_sel:BYTE_1
	v_and_b32_e32 v4, 0x7f, v1
	v_cmpx_ne_u32_e32 0x7f, v4
	s_cbranch_execz .LBB353_608
; %bb.605:                              ;   in Loop: Header=BB353_15 Depth=1
	v_and_b32_e32 v13, 7, v1
	v_mov_b32_e32 v30, v14
	v_lshrrev_b32_e32 v1, 3, v4
	s_mov_b32 s23, exec_lo
	v_mov_b32_e32 v29, v13
	v_cmpx_gt_u32_e32 8, v4
; %bb.606:                              ;   in Loop: Header=BB353_15 Depth=1
	v_ffbh_u32_e32 v1, v13
	v_min_u32_e32 v1, 32, v1
	v_subrev_nc_u32_e32 v4, 28, v1
	v_sub_nc_u32_e32 v1, 29, v1
	v_lshlrev_b64 v[4:5], v4, v[13:14]
	v_and_b32_e32 v29, 7, v4
; %bb.607:                              ;   in Loop: Header=BB353_15 Depth=1
	s_or_b32 exec_lo, exec_lo, s23
	v_lshlrev_b32_e32 v4, 16, v27
	v_lshlrev_b32_e32 v5, 20, v29
	v_lshl_add_u32 v1, v1, 23, 0x3c000000
	v_and_b32_e32 v4, 0x80000000, v4
	v_or3_b32 v52, v5, v4, v1
.LBB353_608:                            ;   in Loop: Header=BB353_15 Depth=1
	s_or_b32 exec_lo, exec_lo, s22
.LBB353_609:                            ;   in Loop: Header=BB353_15 Depth=1
	s_or_b32 exec_lo, exec_lo, s21
.LBB353_610:                            ;   in Loop: Header=BB353_15 Depth=1
	s_or_b32 exec_lo, exec_lo, s20
	v_and_b32_sdwa v1, v27, v9 dst_sel:DWORD dst_unused:UNUSED_PAD src0_sel:WORD_1 src1_sel:DWORD
	v_mov_b32_e32 v54, 0
	v_mov_b32_e32 v53, 0
	s_mov_b32 s20, exec_lo
	v_cmpx_ne_u16_e32 0, v1
	s_cbranch_execz .LBB353_618
; %bb.611:                              ;   in Loop: Header=BB353_15 Depth=1
	v_bfrev_b32_e32 v53, 1
	s_mov_b32 s21, exec_lo
	v_cmpx_ne_u16_e32 0x80, v1
	s_cbranch_execz .LBB353_617
; %bb.612:                              ;   in Loop: Header=BB353_15 Depth=1
	v_bfe_u32 v4, v27, 16, 7
	v_mov_b32_e32 v53, 0x7f800001
	s_mov_b32 s22, exec_lo
	v_cmpx_ne_u32_e32 0x7f, v4
	s_cbranch_execz .LBB353_616
; %bb.613:                              ;   in Loop: Header=BB353_15 Depth=1
	v_mov_b32_e32 v0, 7
	v_lshrrev_b32_e32 v1, 3, v4
	s_mov_b32 s23, exec_lo
	v_and_b32_sdwa v13, v27, v0 dst_sel:DWORD dst_unused:UNUSED_PAD src0_sel:WORD_1 src1_sel:DWORD
	v_mov_b32_e32 v30, v14
	v_mov_b32_e32 v29, v13
	v_cmpx_gt_u32_e32 8, v4
; %bb.614:                              ;   in Loop: Header=BB353_15 Depth=1
	v_ffbh_u32_e32 v1, v13
	v_min_u32_e32 v1, 32, v1
	v_subrev_nc_u32_e32 v4, 28, v1
	v_sub_nc_u32_e32 v1, 29, v1
	v_lshlrev_b64 v[4:5], v4, v[13:14]
	v_and_b32_e32 v29, 7, v4
; %bb.615:                              ;   in Loop: Header=BB353_15 Depth=1
	s_or_b32 exec_lo, exec_lo, s23
	v_mov_b32_e32 v0, 24
	v_lshlrev_b32_e32 v5, 20, v29
	v_lshl_add_u32 v1, v1, 23, 0x3c000000
	v_lshlrev_b32_sdwa v4, v0, v27 dst_sel:DWORD dst_unused:UNUSED_PAD src0_sel:DWORD src1_sel:WORD_1
	v_and_b32_e32 v4, 0x80000000, v4
	v_or3_b32 v53, v5, v4, v1
.LBB353_616:                            ;   in Loop: Header=BB353_15 Depth=1
	s_or_b32 exec_lo, exec_lo, s22
.LBB353_617:                            ;   in Loop: Header=BB353_15 Depth=1
	s_or_b32 exec_lo, exec_lo, s21
.LBB353_618:                            ;   in Loop: Header=BB353_15 Depth=1
	s_or_b32 exec_lo, exec_lo, s20
	s_mov_b32 s20, exec_lo
	v_cmpx_lt_u32_e32 0xffffff, v27
	s_cbranch_execz .LBB353_626
; %bb.619:                              ;   in Loop: Header=BB353_15 Depth=1
	v_cmp_ne_u32_sdwa s5, v27, v114 src0_sel:BYTE_3 src1_sel:DWORD
	v_bfrev_b32_e32 v54, 1
	s_and_saveexec_b32 s21, s5
	s_cbranch_execz .LBB353_625
; %bb.620:                              ;   in Loop: Header=BB353_15 Depth=1
	v_bfe_u32 v4, v27, 24, 7
	v_mov_b32_e32 v54, 0x7f800001
	s_mov_b32 s22, exec_lo
	v_cmpx_ne_u32_e32 0x7f, v4
	s_cbranch_execz .LBB353_624
; %bb.621:                              ;   in Loop: Header=BB353_15 Depth=1
	v_mov_b32_e32 v0, 7
	v_lshrrev_b32_e32 v1, 3, v4
	s_mov_b32 s23, exec_lo
	v_and_b32_sdwa v13, v27, v0 dst_sel:DWORD dst_unused:UNUSED_PAD src0_sel:BYTE_3 src1_sel:DWORD
	v_mov_b32_e32 v30, v14
	v_mov_b32_e32 v29, v13
	v_cmpx_gt_u32_e32 8, v4
; %bb.622:                              ;   in Loop: Header=BB353_15 Depth=1
	v_ffbh_u32_e32 v1, v13
	v_min_u32_e32 v1, 32, v1
	v_subrev_nc_u32_e32 v4, 28, v1
	v_sub_nc_u32_e32 v1, 29, v1
	v_lshlrev_b64 v[4:5], v4, v[13:14]
	v_and_b32_e32 v29, 7, v4
; %bb.623:                              ;   in Loop: Header=BB353_15 Depth=1
	s_or_b32 exec_lo, exec_lo, s23
	v_mov_b32_e32 v0, 24
	v_lshlrev_b32_e32 v5, 20, v29
	v_lshl_add_u32 v1, v1, 23, 0x3c000000
	v_lshlrev_b32_sdwa v4, v0, v27 dst_sel:DWORD dst_unused:UNUSED_PAD src0_sel:DWORD src1_sel:BYTE_3
	v_and_b32_e32 v4, 0x80000000, v4
	v_or3_b32 v54, v5, v4, v1
.LBB353_624:                            ;   in Loop: Header=BB353_15 Depth=1
	s_or_b32 exec_lo, exec_lo, s22
.LBB353_625:                            ;   in Loop: Header=BB353_15 Depth=1
	s_or_b32 exec_lo, exec_lo, s21
.LBB353_626:                            ;   in Loop: Header=BB353_15 Depth=1
	s_or_b32 exec_lo, exec_lo, s20
	v_mov_b32_e32 v13, v28
	v_cmp_ne_u16_sdwa s5, v28, v14 src0_sel:BYTE_0 src1_sel:DWORD
	v_mov_b32_e32 v64, 0
	v_mov_b32_e32 v55, 0
	s_and_saveexec_b32 s20, s5
	s_cbranch_execz .LBB353_634
; %bb.627:                              ;   in Loop: Header=BB353_15 Depth=1
	v_cmp_ne_u16_sdwa s5, v28, v114 src0_sel:BYTE_0 src1_sel:DWORD
	v_bfrev_b32_e32 v55, 1
	s_and_saveexec_b32 s21, s5
	s_cbranch_execz .LBB353_633
; %bb.628:                              ;   in Loop: Header=BB353_15 Depth=1
	v_and_b32_e32 v4, 0x7f, v28
	v_mov_b32_e32 v55, 0x7f800001
	s_mov_b32 s22, exec_lo
	v_cmpx_ne_u32_e32 0x7f, v4
	s_cbranch_execz .LBB353_632
; %bb.629:                              ;   in Loop: Header=BB353_15 Depth=1
	v_mov_b32_e32 v30, v14
	v_lshrrev_b32_e32 v1, 3, v4
	v_mov_b32_e32 v29, v13
	s_mov_b32 s23, exec_lo
	v_cmpx_gt_u32_e32 8, v4
; %bb.630:                              ;   in Loop: Header=BB353_15 Depth=1
	v_and_b32_e32 v1, 7, v28
	v_ffbh_u32_e32 v1, v1
	v_min_u32_e32 v1, 32, v1
	v_subrev_nc_u32_e32 v4, 28, v1
	v_sub_nc_u32_e32 v1, 29, v1
	v_lshlrev_b64 v[29:30], v4, v[13:14]
; %bb.631:                              ;   in Loop: Header=BB353_15 Depth=1
	s_or_b32 exec_lo, exec_lo, s23
	v_lshlrev_b32_e32 v4, 20, v29
	v_lshlrev_b32_e32 v5, 24, v13
	v_lshl_add_u32 v1, v1, 23, 0x3c000000
	v_and_b32_e32 v4, 0x700000, v4
	v_and_b32_e32 v5, 0x80000000, v5
	v_or3_b32 v55, v4, v5, v1
.LBB353_632:                            ;   in Loop: Header=BB353_15 Depth=1
	s_or_b32 exec_lo, exec_lo, s22
.LBB353_633:                            ;   in Loop: Header=BB353_15 Depth=1
	s_or_b32 exec_lo, exec_lo, s21
.LBB353_634:                            ;   in Loop: Header=BB353_15 Depth=1
	s_or_b32 exec_lo, exec_lo, s20
	v_cmp_ne_u16_sdwa s5, v13, v14 src0_sel:BYTE_1 src1_sel:DWORD
	s_and_saveexec_b32 s20, s5
	s_cbranch_execz .LBB353_642
; %bb.635:                              ;   in Loop: Header=BB353_15 Depth=1
	v_cmp_ne_u16_sdwa s5, v13, v114 src0_sel:BYTE_1 src1_sel:DWORD
	v_bfrev_b32_e32 v64, 1
	s_and_saveexec_b32 s21, s5
	s_cbranch_execz .LBB353_641
; %bb.636:                              ;   in Loop: Header=BB353_15 Depth=1
	v_mov_b32_e32 v0, 0xffff
	v_mov_b32_e32 v64, 0x7f800001
	s_mov_b32 s22, exec_lo
	v_and_b32_sdwa v1, v0, v13 dst_sel:DWORD dst_unused:UNUSED_PAD src0_sel:DWORD src1_sel:BYTE_1
	v_and_b32_e32 v4, 0x7f, v1
	v_cmpx_ne_u32_e32 0x7f, v4
	s_cbranch_execz .LBB353_640
; %bb.637:                              ;   in Loop: Header=BB353_15 Depth=1
	v_and_b32_e32 v29, 7, v1
	v_mov_b32_e32 v30, v14
	v_lshrrev_b32_e32 v1, 3, v4
	s_mov_b32 s23, exec_lo
	v_cmpx_gt_u32_e32 8, v4
; %bb.638:                              ;   in Loop: Header=BB353_15 Depth=1
	v_ffbh_u32_e32 v1, v29
	v_min_u32_e32 v1, 32, v1
	v_subrev_nc_u32_e32 v4, 28, v1
	v_sub_nc_u32_e32 v1, 29, v1
	v_lshlrev_b64 v[4:5], v4, v[29:30]
	v_and_b32_e32 v29, 7, v4
; %bb.639:                              ;   in Loop: Header=BB353_15 Depth=1
	s_or_b32 exec_lo, exec_lo, s23
	v_lshlrev_b32_e32 v4, 16, v13
	v_lshlrev_b32_e32 v5, 20, v29
	v_lshl_add_u32 v1, v1, 23, 0x3c000000
	v_and_b32_e32 v4, 0x80000000, v4
	v_or3_b32 v64, v5, v4, v1
.LBB353_640:                            ;   in Loop: Header=BB353_15 Depth=1
	s_or_b32 exec_lo, exec_lo, s22
.LBB353_641:                            ;   in Loop: Header=BB353_15 Depth=1
	s_or_b32 exec_lo, exec_lo, s21
.LBB353_642:                            ;   in Loop: Header=BB353_15 Depth=1
	s_or_b32 exec_lo, exec_lo, s20
	v_and_b32_sdwa v1, v28, v9 dst_sel:DWORD dst_unused:UNUSED_PAD src0_sel:WORD_1 src1_sel:DWORD
	v_mov_b32_e32 v65, 0
	v_mov_b32_e32 v66, 0
	s_mov_b32 s20, exec_lo
	v_cmpx_ne_u16_e32 0, v1
	s_cbranch_execz .LBB353_650
; %bb.643:                              ;   in Loop: Header=BB353_15 Depth=1
	v_bfrev_b32_e32 v66, 1
	s_mov_b32 s21, exec_lo
	v_cmpx_ne_u16_e32 0x80, v1
	s_cbranch_execz .LBB353_649
; %bb.644:                              ;   in Loop: Header=BB353_15 Depth=1
	v_bfe_u32 v4, v28, 16, 7
	v_mov_b32_e32 v66, 0x7f800001
	s_mov_b32 s22, exec_lo
	v_cmpx_ne_u32_e32 0x7f, v4
	s_cbranch_execz .LBB353_648
; %bb.645:                              ;   in Loop: Header=BB353_15 Depth=1
	v_mov_b32_e32 v0, 7
	v_lshrrev_b32_e32 v1, 3, v4
	s_mov_b32 s23, exec_lo
	v_and_b32_sdwa v13, v28, v0 dst_sel:DWORD dst_unused:UNUSED_PAD src0_sel:WORD_1 src1_sel:DWORD
	v_mov_b32_e32 v30, v14
	v_mov_b32_e32 v29, v13
	v_cmpx_gt_u32_e32 8, v4
; %bb.646:                              ;   in Loop: Header=BB353_15 Depth=1
	v_ffbh_u32_e32 v1, v13
	v_min_u32_e32 v1, 32, v1
	v_subrev_nc_u32_e32 v4, 28, v1
	v_sub_nc_u32_e32 v1, 29, v1
	v_lshlrev_b64 v[4:5], v4, v[13:14]
	v_and_b32_e32 v29, 7, v4
; %bb.647:                              ;   in Loop: Header=BB353_15 Depth=1
	s_or_b32 exec_lo, exec_lo, s23
	v_mov_b32_e32 v0, 24
	v_lshlrev_b32_e32 v5, 20, v29
	v_lshl_add_u32 v1, v1, 23, 0x3c000000
	v_lshlrev_b32_sdwa v4, v0, v28 dst_sel:DWORD dst_unused:UNUSED_PAD src0_sel:DWORD src1_sel:WORD_1
	v_and_b32_e32 v4, 0x80000000, v4
	v_or3_b32 v66, v5, v4, v1
.LBB353_648:                            ;   in Loop: Header=BB353_15 Depth=1
	s_or_b32 exec_lo, exec_lo, s22
.LBB353_649:                            ;   in Loop: Header=BB353_15 Depth=1
	s_or_b32 exec_lo, exec_lo, s21
.LBB353_650:                            ;   in Loop: Header=BB353_15 Depth=1
	s_or_b32 exec_lo, exec_lo, s20
	s_mov_b32 s20, exec_lo
	v_cmpx_lt_u64_e64 s[12:13], v[27:28]
	s_cbranch_execz .LBB353_658
; %bb.651:                              ;   in Loop: Header=BB353_15 Depth=1
	v_cmp_ne_u32_sdwa s5, v28, v114 src0_sel:BYTE_3 src1_sel:DWORD
	v_bfrev_b32_e32 v65, 1
	s_and_saveexec_b32 s21, s5
	s_cbranch_execz .LBB353_657
; %bb.652:                              ;   in Loop: Header=BB353_15 Depth=1
	v_bfe_u32 v4, v28, 24, 7
	v_mov_b32_e32 v65, 0x7f800001
	s_mov_b32 s22, exec_lo
	v_cmpx_ne_u32_e32 0x7f, v4
	s_cbranch_execz .LBB353_656
; %bb.653:                              ;   in Loop: Header=BB353_15 Depth=1
	v_mov_b32_e32 v0, 7
	v_lshrrev_b32_e32 v1, 3, v4
	s_mov_b32 s23, exec_lo
	v_and_b32_sdwa v13, v28, v0 dst_sel:DWORD dst_unused:UNUSED_PAD src0_sel:BYTE_3 src1_sel:DWORD
	v_mov_b32_e32 v30, v14
	v_mov_b32_e32 v29, v13
	v_cmpx_gt_u32_e32 8, v4
; %bb.654:                              ;   in Loop: Header=BB353_15 Depth=1
	v_ffbh_u32_e32 v1, v13
	v_min_u32_e32 v1, 32, v1
	v_subrev_nc_u32_e32 v4, 28, v1
	v_sub_nc_u32_e32 v1, 29, v1
	v_lshlrev_b64 v[4:5], v4, v[13:14]
	v_and_b32_e32 v29, 7, v4
; %bb.655:                              ;   in Loop: Header=BB353_15 Depth=1
	s_or_b32 exec_lo, exec_lo, s23
	v_mov_b32_e32 v0, 24
	v_lshlrev_b32_e32 v5, 20, v29
	v_lshl_add_u32 v1, v1, 23, 0x3c000000
	v_lshlrev_b32_sdwa v4, v0, v28 dst_sel:DWORD dst_unused:UNUSED_PAD src0_sel:DWORD src1_sel:BYTE_3
	v_and_b32_e32 v4, 0x80000000, v4
	v_or3_b32 v65, v5, v4, v1
.LBB353_656:                            ;   in Loop: Header=BB353_15 Depth=1
	s_or_b32 exec_lo, exec_lo, s22
.LBB353_657:                            ;   in Loop: Header=BB353_15 Depth=1
	s_or_b32 exec_lo, exec_lo, s21
.LBB353_658:                            ;   in Loop: Header=BB353_15 Depth=1
	s_or_b32 exec_lo, exec_lo, s20
	flat_load_dwordx2 v[27:28], v[24:25] offset:512
	v_mov_b32_e32 v68, 0
	v_mov_b32_e32 v67, 0
	s_waitcnt vmcnt(0) lgkmcnt(0)
	v_cmp_ne_u16_sdwa s5, v27, v14 src0_sel:BYTE_0 src1_sel:DWORD
	s_and_saveexec_b32 s20, s5
	s_cbranch_execz .LBB353_666
; %bb.659:                              ;   in Loop: Header=BB353_15 Depth=1
	v_cmp_ne_u16_sdwa s5, v27, v114 src0_sel:BYTE_0 src1_sel:DWORD
	v_bfrev_b32_e32 v67, 1
	s_and_saveexec_b32 s21, s5
	s_cbranch_execz .LBB353_665
; %bb.660:                              ;   in Loop: Header=BB353_15 Depth=1
	v_and_b32_e32 v4, 0x7f, v27
	v_mov_b32_e32 v67, 0x7f800001
	s_mov_b32 s22, exec_lo
	v_cmpx_ne_u32_e32 0x7f, v4
	s_cbranch_execz .LBB353_664
; %bb.661:                              ;   in Loop: Header=BB353_15 Depth=1
	v_mov_b32_e32 v30, v28
	v_lshrrev_b32_e32 v1, 3, v4
	v_mov_b32_e32 v29, v27
	s_mov_b32 s23, exec_lo
	v_cmpx_gt_u32_e32 8, v4
; %bb.662:                              ;   in Loop: Header=BB353_15 Depth=1
	v_and_b32_e32 v1, 7, v27
	v_ffbh_u32_e32 v1, v1
	v_min_u32_e32 v1, 32, v1
	v_subrev_nc_u32_e32 v4, 28, v1
	v_sub_nc_u32_e32 v1, 29, v1
	v_lshlrev_b64 v[29:30], v4, v[27:28]
; %bb.663:                              ;   in Loop: Header=BB353_15 Depth=1
	s_or_b32 exec_lo, exec_lo, s23
	v_lshlrev_b32_e32 v4, 20, v29
	v_lshlrev_b32_e32 v5, 24, v27
	v_lshl_add_u32 v1, v1, 23, 0x3c000000
	v_and_b32_e32 v4, 0x700000, v4
	v_and_b32_e32 v5, 0x80000000, v5
	v_or3_b32 v67, v4, v5, v1
.LBB353_664:                            ;   in Loop: Header=BB353_15 Depth=1
	s_or_b32 exec_lo, exec_lo, s22
.LBB353_665:                            ;   in Loop: Header=BB353_15 Depth=1
	s_or_b32 exec_lo, exec_lo, s21
.LBB353_666:                            ;   in Loop: Header=BB353_15 Depth=1
	s_or_b32 exec_lo, exec_lo, s20
	v_cmp_ne_u16_sdwa s5, v27, v14 src0_sel:BYTE_1 src1_sel:DWORD
	s_and_saveexec_b32 s20, s5
	s_cbranch_execz .LBB353_674
; %bb.667:                              ;   in Loop: Header=BB353_15 Depth=1
	v_cmp_ne_u16_sdwa s5, v27, v114 src0_sel:BYTE_1 src1_sel:DWORD
	v_bfrev_b32_e32 v68, 1
	s_and_saveexec_b32 s21, s5
	s_cbranch_execz .LBB353_673
; %bb.668:                              ;   in Loop: Header=BB353_15 Depth=1
	v_mov_b32_e32 v0, 0xffff
	v_mov_b32_e32 v68, 0x7f800001
	s_mov_b32 s22, exec_lo
	v_and_b32_sdwa v1, v0, v27 dst_sel:DWORD dst_unused:UNUSED_PAD src0_sel:DWORD src1_sel:BYTE_1
	v_and_b32_e32 v4, 0x7f, v1
	v_cmpx_ne_u32_e32 0x7f, v4
	s_cbranch_execz .LBB353_672
; %bb.669:                              ;   in Loop: Header=BB353_15 Depth=1
	v_and_b32_e32 v13, 7, v1
	v_mov_b32_e32 v30, v14
	v_lshrrev_b32_e32 v1, 3, v4
	s_mov_b32 s23, exec_lo
	v_mov_b32_e32 v29, v13
	v_cmpx_gt_u32_e32 8, v4
; %bb.670:                              ;   in Loop: Header=BB353_15 Depth=1
	v_ffbh_u32_e32 v1, v13
	v_min_u32_e32 v1, 32, v1
	v_subrev_nc_u32_e32 v4, 28, v1
	v_sub_nc_u32_e32 v1, 29, v1
	v_lshlrev_b64 v[4:5], v4, v[13:14]
	v_and_b32_e32 v29, 7, v4
; %bb.671:                              ;   in Loop: Header=BB353_15 Depth=1
	s_or_b32 exec_lo, exec_lo, s23
	v_lshlrev_b32_e32 v4, 16, v27
	v_lshlrev_b32_e32 v5, 20, v29
	v_lshl_add_u32 v1, v1, 23, 0x3c000000
	v_and_b32_e32 v4, 0x80000000, v4
	v_or3_b32 v68, v5, v4, v1
.LBB353_672:                            ;   in Loop: Header=BB353_15 Depth=1
	s_or_b32 exec_lo, exec_lo, s22
.LBB353_673:                            ;   in Loop: Header=BB353_15 Depth=1
	s_or_b32 exec_lo, exec_lo, s21
.LBB353_674:                            ;   in Loop: Header=BB353_15 Depth=1
	s_or_b32 exec_lo, exec_lo, s20
	v_and_b32_sdwa v1, v27, v9 dst_sel:DWORD dst_unused:UNUSED_PAD src0_sel:WORD_1 src1_sel:DWORD
	v_mov_b32_e32 v70, 0
	v_mov_b32_e32 v69, 0
	s_mov_b32 s20, exec_lo
	v_cmpx_ne_u16_e32 0, v1
	s_cbranch_execz .LBB353_682
; %bb.675:                              ;   in Loop: Header=BB353_15 Depth=1
	v_bfrev_b32_e32 v69, 1
	s_mov_b32 s21, exec_lo
	v_cmpx_ne_u16_e32 0x80, v1
	s_cbranch_execz .LBB353_681
; %bb.676:                              ;   in Loop: Header=BB353_15 Depth=1
	v_bfe_u32 v4, v27, 16, 7
	v_mov_b32_e32 v69, 0x7f800001
	s_mov_b32 s22, exec_lo
	v_cmpx_ne_u32_e32 0x7f, v4
	s_cbranch_execz .LBB353_680
; %bb.677:                              ;   in Loop: Header=BB353_15 Depth=1
	v_mov_b32_e32 v0, 7
	v_lshrrev_b32_e32 v1, 3, v4
	s_mov_b32 s23, exec_lo
	v_and_b32_sdwa v13, v27, v0 dst_sel:DWORD dst_unused:UNUSED_PAD src0_sel:WORD_1 src1_sel:DWORD
	v_mov_b32_e32 v30, v14
	v_mov_b32_e32 v29, v13
	v_cmpx_gt_u32_e32 8, v4
; %bb.678:                              ;   in Loop: Header=BB353_15 Depth=1
	v_ffbh_u32_e32 v1, v13
	v_min_u32_e32 v1, 32, v1
	v_subrev_nc_u32_e32 v4, 28, v1
	v_sub_nc_u32_e32 v1, 29, v1
	v_lshlrev_b64 v[4:5], v4, v[13:14]
	v_and_b32_e32 v29, 7, v4
; %bb.679:                              ;   in Loop: Header=BB353_15 Depth=1
	s_or_b32 exec_lo, exec_lo, s23
	v_mov_b32_e32 v0, 24
	v_lshlrev_b32_e32 v5, 20, v29
	v_lshl_add_u32 v1, v1, 23, 0x3c000000
	v_lshlrev_b32_sdwa v4, v0, v27 dst_sel:DWORD dst_unused:UNUSED_PAD src0_sel:DWORD src1_sel:WORD_1
	v_and_b32_e32 v4, 0x80000000, v4
	v_or3_b32 v69, v5, v4, v1
.LBB353_680:                            ;   in Loop: Header=BB353_15 Depth=1
	s_or_b32 exec_lo, exec_lo, s22
.LBB353_681:                            ;   in Loop: Header=BB353_15 Depth=1
	s_or_b32 exec_lo, exec_lo, s21
.LBB353_682:                            ;   in Loop: Header=BB353_15 Depth=1
	s_or_b32 exec_lo, exec_lo, s20
	s_mov_b32 s20, exec_lo
	v_cmpx_lt_u32_e32 0xffffff, v27
	s_cbranch_execz .LBB353_690
; %bb.683:                              ;   in Loop: Header=BB353_15 Depth=1
	v_cmp_ne_u32_sdwa s5, v27, v114 src0_sel:BYTE_3 src1_sel:DWORD
	v_bfrev_b32_e32 v70, 1
	s_and_saveexec_b32 s21, s5
	s_cbranch_execz .LBB353_689
; %bb.684:                              ;   in Loop: Header=BB353_15 Depth=1
	v_bfe_u32 v4, v27, 24, 7
	v_mov_b32_e32 v70, 0x7f800001
	s_mov_b32 s22, exec_lo
	v_cmpx_ne_u32_e32 0x7f, v4
	s_cbranch_execz .LBB353_688
; %bb.685:                              ;   in Loop: Header=BB353_15 Depth=1
	v_mov_b32_e32 v0, 7
	v_lshrrev_b32_e32 v1, 3, v4
	s_mov_b32 s23, exec_lo
	v_and_b32_sdwa v13, v27, v0 dst_sel:DWORD dst_unused:UNUSED_PAD src0_sel:BYTE_3 src1_sel:DWORD
	v_mov_b32_e32 v30, v14
	v_mov_b32_e32 v29, v13
	v_cmpx_gt_u32_e32 8, v4
; %bb.686:                              ;   in Loop: Header=BB353_15 Depth=1
	v_ffbh_u32_e32 v1, v13
	v_min_u32_e32 v1, 32, v1
	v_subrev_nc_u32_e32 v4, 28, v1
	v_sub_nc_u32_e32 v1, 29, v1
	v_lshlrev_b64 v[4:5], v4, v[13:14]
	v_and_b32_e32 v29, 7, v4
; %bb.687:                              ;   in Loop: Header=BB353_15 Depth=1
	s_or_b32 exec_lo, exec_lo, s23
	v_mov_b32_e32 v0, 24
	v_lshlrev_b32_e32 v5, 20, v29
	v_lshl_add_u32 v1, v1, 23, 0x3c000000
	v_lshlrev_b32_sdwa v4, v0, v27 dst_sel:DWORD dst_unused:UNUSED_PAD src0_sel:DWORD src1_sel:BYTE_3
	v_and_b32_e32 v4, 0x80000000, v4
	v_or3_b32 v70, v5, v4, v1
.LBB353_688:                            ;   in Loop: Header=BB353_15 Depth=1
	s_or_b32 exec_lo, exec_lo, s22
.LBB353_689:                            ;   in Loop: Header=BB353_15 Depth=1
	s_or_b32 exec_lo, exec_lo, s21
.LBB353_690:                            ;   in Loop: Header=BB353_15 Depth=1
	s_or_b32 exec_lo, exec_lo, s20
	v_mov_b32_e32 v13, v28
	v_cmp_ne_u16_sdwa s5, v28, v14 src0_sel:BYTE_0 src1_sel:DWORD
	v_mov_b32_e32 v82, 0
	v_mov_b32_e32 v81, 0
	s_and_saveexec_b32 s20, s5
	s_cbranch_execz .LBB353_698
; %bb.691:                              ;   in Loop: Header=BB353_15 Depth=1
	v_cmp_ne_u16_sdwa s5, v28, v114 src0_sel:BYTE_0 src1_sel:DWORD
	v_bfrev_b32_e32 v81, 1
	s_and_saveexec_b32 s21, s5
	s_cbranch_execz .LBB353_697
; %bb.692:                              ;   in Loop: Header=BB353_15 Depth=1
	v_and_b32_e32 v4, 0x7f, v28
	v_mov_b32_e32 v81, 0x7f800001
	s_mov_b32 s22, exec_lo
	v_cmpx_ne_u32_e32 0x7f, v4
	s_cbranch_execz .LBB353_696
; %bb.693:                              ;   in Loop: Header=BB353_15 Depth=1
	v_mov_b32_e32 v30, v14
	v_lshrrev_b32_e32 v1, 3, v4
	v_mov_b32_e32 v29, v13
	s_mov_b32 s23, exec_lo
	v_cmpx_gt_u32_e32 8, v4
; %bb.694:                              ;   in Loop: Header=BB353_15 Depth=1
	v_and_b32_e32 v1, 7, v28
	v_ffbh_u32_e32 v1, v1
	v_min_u32_e32 v1, 32, v1
	v_subrev_nc_u32_e32 v4, 28, v1
	v_sub_nc_u32_e32 v1, 29, v1
	v_lshlrev_b64 v[29:30], v4, v[13:14]
; %bb.695:                              ;   in Loop: Header=BB353_15 Depth=1
	s_or_b32 exec_lo, exec_lo, s23
	v_lshlrev_b32_e32 v4, 20, v29
	v_lshlrev_b32_e32 v5, 24, v13
	v_lshl_add_u32 v1, v1, 23, 0x3c000000
	v_and_b32_e32 v4, 0x700000, v4
	v_and_b32_e32 v5, 0x80000000, v5
	v_or3_b32 v81, v4, v5, v1
.LBB353_696:                            ;   in Loop: Header=BB353_15 Depth=1
	s_or_b32 exec_lo, exec_lo, s22
.LBB353_697:                            ;   in Loop: Header=BB353_15 Depth=1
	s_or_b32 exec_lo, exec_lo, s21
.LBB353_698:                            ;   in Loop: Header=BB353_15 Depth=1
	s_or_b32 exec_lo, exec_lo, s20
	v_cmp_ne_u16_sdwa s5, v13, v14 src0_sel:BYTE_1 src1_sel:DWORD
	s_and_saveexec_b32 s20, s5
	s_cbranch_execz .LBB353_706
; %bb.699:                              ;   in Loop: Header=BB353_15 Depth=1
	v_cmp_ne_u16_sdwa s5, v13, v114 src0_sel:BYTE_1 src1_sel:DWORD
	v_bfrev_b32_e32 v82, 1
	s_and_saveexec_b32 s21, s5
	s_cbranch_execz .LBB353_705
; %bb.700:                              ;   in Loop: Header=BB353_15 Depth=1
	v_mov_b32_e32 v0, 0xffff
	v_mov_b32_e32 v82, 0x7f800001
	s_mov_b32 s22, exec_lo
	v_and_b32_sdwa v1, v0, v13 dst_sel:DWORD dst_unused:UNUSED_PAD src0_sel:DWORD src1_sel:BYTE_1
	v_and_b32_e32 v4, 0x7f, v1
	v_cmpx_ne_u32_e32 0x7f, v4
	s_cbranch_execz .LBB353_704
; %bb.701:                              ;   in Loop: Header=BB353_15 Depth=1
	v_and_b32_e32 v29, 7, v1
	v_mov_b32_e32 v30, v14
	v_lshrrev_b32_e32 v1, 3, v4
	s_mov_b32 s23, exec_lo
	v_cmpx_gt_u32_e32 8, v4
; %bb.702:                              ;   in Loop: Header=BB353_15 Depth=1
	v_ffbh_u32_e32 v1, v29
	v_min_u32_e32 v1, 32, v1
	v_subrev_nc_u32_e32 v4, 28, v1
	v_sub_nc_u32_e32 v1, 29, v1
	v_lshlrev_b64 v[4:5], v4, v[29:30]
	v_and_b32_e32 v29, 7, v4
; %bb.703:                              ;   in Loop: Header=BB353_15 Depth=1
	s_or_b32 exec_lo, exec_lo, s23
	v_lshlrev_b32_e32 v4, 16, v13
	v_lshlrev_b32_e32 v5, 20, v29
	v_lshl_add_u32 v1, v1, 23, 0x3c000000
	v_and_b32_e32 v4, 0x80000000, v4
	v_or3_b32 v82, v5, v4, v1
.LBB353_704:                            ;   in Loop: Header=BB353_15 Depth=1
	s_or_b32 exec_lo, exec_lo, s22
.LBB353_705:                            ;   in Loop: Header=BB353_15 Depth=1
	s_or_b32 exec_lo, exec_lo, s21
.LBB353_706:                            ;   in Loop: Header=BB353_15 Depth=1
	s_or_b32 exec_lo, exec_lo, s20
	v_and_b32_sdwa v1, v28, v9 dst_sel:DWORD dst_unused:UNUSED_PAD src0_sel:WORD_1 src1_sel:DWORD
	v_mov_b32_e32 v83, 0
	v_mov_b32_e32 v84, 0
	s_mov_b32 s20, exec_lo
	v_cmpx_ne_u16_e32 0, v1
	s_cbranch_execz .LBB353_714
; %bb.707:                              ;   in Loop: Header=BB353_15 Depth=1
	v_bfrev_b32_e32 v84, 1
	s_mov_b32 s21, exec_lo
	v_cmpx_ne_u16_e32 0x80, v1
	s_cbranch_execz .LBB353_713
; %bb.708:                              ;   in Loop: Header=BB353_15 Depth=1
	v_bfe_u32 v4, v28, 16, 7
	v_mov_b32_e32 v84, 0x7f800001
	s_mov_b32 s22, exec_lo
	v_cmpx_ne_u32_e32 0x7f, v4
	s_cbranch_execz .LBB353_712
; %bb.709:                              ;   in Loop: Header=BB353_15 Depth=1
	v_mov_b32_e32 v0, 7
	v_lshrrev_b32_e32 v1, 3, v4
	s_mov_b32 s23, exec_lo
	v_and_b32_sdwa v13, v28, v0 dst_sel:DWORD dst_unused:UNUSED_PAD src0_sel:WORD_1 src1_sel:DWORD
	v_mov_b32_e32 v30, v14
	v_mov_b32_e32 v29, v13
	v_cmpx_gt_u32_e32 8, v4
; %bb.710:                              ;   in Loop: Header=BB353_15 Depth=1
	v_ffbh_u32_e32 v1, v13
	v_min_u32_e32 v1, 32, v1
	v_subrev_nc_u32_e32 v4, 28, v1
	v_sub_nc_u32_e32 v1, 29, v1
	v_lshlrev_b64 v[4:5], v4, v[13:14]
	v_and_b32_e32 v29, 7, v4
; %bb.711:                              ;   in Loop: Header=BB353_15 Depth=1
	s_or_b32 exec_lo, exec_lo, s23
	v_mov_b32_e32 v0, 24
	v_lshlrev_b32_e32 v5, 20, v29
	v_lshl_add_u32 v1, v1, 23, 0x3c000000
	v_lshlrev_b32_sdwa v4, v0, v28 dst_sel:DWORD dst_unused:UNUSED_PAD src0_sel:DWORD src1_sel:WORD_1
	v_and_b32_e32 v4, 0x80000000, v4
	v_or3_b32 v84, v5, v4, v1
.LBB353_712:                            ;   in Loop: Header=BB353_15 Depth=1
	s_or_b32 exec_lo, exec_lo, s22
.LBB353_713:                            ;   in Loop: Header=BB353_15 Depth=1
	s_or_b32 exec_lo, exec_lo, s21
.LBB353_714:                            ;   in Loop: Header=BB353_15 Depth=1
	s_or_b32 exec_lo, exec_lo, s20
	s_mov_b32 s20, exec_lo
	v_cmpx_lt_u64_e64 s[12:13], v[27:28]
	s_cbranch_execz .LBB353_722
; %bb.715:                              ;   in Loop: Header=BB353_15 Depth=1
	v_cmp_ne_u32_sdwa s5, v28, v114 src0_sel:BYTE_3 src1_sel:DWORD
	v_bfrev_b32_e32 v83, 1
	s_and_saveexec_b32 s21, s5
	s_cbranch_execz .LBB353_721
; %bb.716:                              ;   in Loop: Header=BB353_15 Depth=1
	v_bfe_u32 v4, v28, 24, 7
	v_mov_b32_e32 v83, 0x7f800001
	s_mov_b32 s22, exec_lo
	v_cmpx_ne_u32_e32 0x7f, v4
	s_cbranch_execz .LBB353_720
; %bb.717:                              ;   in Loop: Header=BB353_15 Depth=1
	v_mov_b32_e32 v0, 7
	v_lshrrev_b32_e32 v1, 3, v4
	s_mov_b32 s23, exec_lo
	v_and_b32_sdwa v13, v28, v0 dst_sel:DWORD dst_unused:UNUSED_PAD src0_sel:BYTE_3 src1_sel:DWORD
	v_mov_b32_e32 v30, v14
	v_mov_b32_e32 v29, v13
	v_cmpx_gt_u32_e32 8, v4
; %bb.718:                              ;   in Loop: Header=BB353_15 Depth=1
	v_ffbh_u32_e32 v1, v13
	v_min_u32_e32 v1, 32, v1
	v_subrev_nc_u32_e32 v4, 28, v1
	v_sub_nc_u32_e32 v1, 29, v1
	v_lshlrev_b64 v[4:5], v4, v[13:14]
	v_and_b32_e32 v29, 7, v4
; %bb.719:                              ;   in Loop: Header=BB353_15 Depth=1
	s_or_b32 exec_lo, exec_lo, s23
	v_mov_b32_e32 v0, 24
	v_lshlrev_b32_e32 v5, 20, v29
	v_lshl_add_u32 v1, v1, 23, 0x3c000000
	v_lshlrev_b32_sdwa v4, v0, v28 dst_sel:DWORD dst_unused:UNUSED_PAD src0_sel:DWORD src1_sel:BYTE_3
	v_and_b32_e32 v4, 0x80000000, v4
	v_or3_b32 v83, v5, v4, v1
.LBB353_720:                            ;   in Loop: Header=BB353_15 Depth=1
	s_or_b32 exec_lo, exec_lo, s22
.LBB353_721:                            ;   in Loop: Header=BB353_15 Depth=1
	s_or_b32 exec_lo, exec_lo, s21
.LBB353_722:                            ;   in Loop: Header=BB353_15 Depth=1
	s_or_b32 exec_lo, exec_lo, s20
	flat_load_dwordx2 v[27:28], v[24:25] offset:520
	v_mov_b32_e32 v86, 0
	v_mov_b32_e32 v85, 0
	s_waitcnt vmcnt(0) lgkmcnt(0)
	v_cmp_ne_u16_sdwa s5, v27, v14 src0_sel:BYTE_0 src1_sel:DWORD
	s_and_saveexec_b32 s20, s5
	s_cbranch_execz .LBB353_730
; %bb.723:                              ;   in Loop: Header=BB353_15 Depth=1
	v_cmp_ne_u16_sdwa s5, v27, v114 src0_sel:BYTE_0 src1_sel:DWORD
	v_bfrev_b32_e32 v85, 1
	s_and_saveexec_b32 s21, s5
	s_cbranch_execz .LBB353_729
; %bb.724:                              ;   in Loop: Header=BB353_15 Depth=1
	v_and_b32_e32 v4, 0x7f, v27
	v_mov_b32_e32 v85, 0x7f800001
	s_mov_b32 s22, exec_lo
	v_cmpx_ne_u32_e32 0x7f, v4
	s_cbranch_execz .LBB353_728
; %bb.725:                              ;   in Loop: Header=BB353_15 Depth=1
	v_mov_b32_e32 v30, v28
	v_lshrrev_b32_e32 v1, 3, v4
	v_mov_b32_e32 v29, v27
	s_mov_b32 s23, exec_lo
	v_cmpx_gt_u32_e32 8, v4
; %bb.726:                              ;   in Loop: Header=BB353_15 Depth=1
	v_and_b32_e32 v1, 7, v27
	v_ffbh_u32_e32 v1, v1
	v_min_u32_e32 v1, 32, v1
	v_subrev_nc_u32_e32 v4, 28, v1
	v_sub_nc_u32_e32 v1, 29, v1
	v_lshlrev_b64 v[29:30], v4, v[27:28]
; %bb.727:                              ;   in Loop: Header=BB353_15 Depth=1
	s_or_b32 exec_lo, exec_lo, s23
	v_lshlrev_b32_e32 v4, 20, v29
	v_lshlrev_b32_e32 v5, 24, v27
	v_lshl_add_u32 v1, v1, 23, 0x3c000000
	v_and_b32_e32 v4, 0x700000, v4
	v_and_b32_e32 v5, 0x80000000, v5
	v_or3_b32 v85, v4, v5, v1
.LBB353_728:                            ;   in Loop: Header=BB353_15 Depth=1
	s_or_b32 exec_lo, exec_lo, s22
.LBB353_729:                            ;   in Loop: Header=BB353_15 Depth=1
	s_or_b32 exec_lo, exec_lo, s21
.LBB353_730:                            ;   in Loop: Header=BB353_15 Depth=1
	s_or_b32 exec_lo, exec_lo, s20
	v_cmp_ne_u16_sdwa s5, v27, v14 src0_sel:BYTE_1 src1_sel:DWORD
	s_and_saveexec_b32 s20, s5
	s_cbranch_execz .LBB353_738
; %bb.731:                              ;   in Loop: Header=BB353_15 Depth=1
	v_cmp_ne_u16_sdwa s5, v27, v114 src0_sel:BYTE_1 src1_sel:DWORD
	v_bfrev_b32_e32 v86, 1
	s_and_saveexec_b32 s21, s5
	s_cbranch_execz .LBB353_737
; %bb.732:                              ;   in Loop: Header=BB353_15 Depth=1
	v_mov_b32_e32 v0, 0xffff
	v_mov_b32_e32 v86, 0x7f800001
	s_mov_b32 s22, exec_lo
	v_and_b32_sdwa v1, v0, v27 dst_sel:DWORD dst_unused:UNUSED_PAD src0_sel:DWORD src1_sel:BYTE_1
	v_and_b32_e32 v4, 0x7f, v1
	v_cmpx_ne_u32_e32 0x7f, v4
	s_cbranch_execz .LBB353_736
; %bb.733:                              ;   in Loop: Header=BB353_15 Depth=1
	v_and_b32_e32 v13, 7, v1
	v_mov_b32_e32 v30, v14
	v_lshrrev_b32_e32 v1, 3, v4
	s_mov_b32 s23, exec_lo
	v_mov_b32_e32 v29, v13
	v_cmpx_gt_u32_e32 8, v4
; %bb.734:                              ;   in Loop: Header=BB353_15 Depth=1
	v_ffbh_u32_e32 v1, v13
	v_min_u32_e32 v1, 32, v1
	v_subrev_nc_u32_e32 v4, 28, v1
	v_sub_nc_u32_e32 v1, 29, v1
	v_lshlrev_b64 v[4:5], v4, v[13:14]
	v_and_b32_e32 v29, 7, v4
; %bb.735:                              ;   in Loop: Header=BB353_15 Depth=1
	s_or_b32 exec_lo, exec_lo, s23
	v_lshlrev_b32_e32 v4, 16, v27
	v_lshlrev_b32_e32 v5, 20, v29
	v_lshl_add_u32 v1, v1, 23, 0x3c000000
	v_and_b32_e32 v4, 0x80000000, v4
	v_or3_b32 v86, v5, v4, v1
.LBB353_736:                            ;   in Loop: Header=BB353_15 Depth=1
	s_or_b32 exec_lo, exec_lo, s22
.LBB353_737:                            ;   in Loop: Header=BB353_15 Depth=1
	s_or_b32 exec_lo, exec_lo, s21
.LBB353_738:                            ;   in Loop: Header=BB353_15 Depth=1
	s_or_b32 exec_lo, exec_lo, s20
	v_and_b32_sdwa v1, v27, v9 dst_sel:DWORD dst_unused:UNUSED_PAD src0_sel:WORD_1 src1_sel:DWORD
	v_mov_b32_e32 v117, 0
	v_mov_b32_e32 v41, 0
	s_mov_b32 s20, exec_lo
	v_cmpx_ne_u16_e32 0, v1
	s_cbranch_execz .LBB353_746
; %bb.739:                              ;   in Loop: Header=BB353_15 Depth=1
	v_bfrev_b32_e32 v41, 1
	s_mov_b32 s21, exec_lo
	v_cmpx_ne_u16_e32 0x80, v1
	s_cbranch_execz .LBB353_745
; %bb.740:                              ;   in Loop: Header=BB353_15 Depth=1
	v_bfe_u32 v4, v27, 16, 7
	v_mov_b32_e32 v41, 0x7f800001
	s_mov_b32 s22, exec_lo
	v_cmpx_ne_u32_e32 0x7f, v4
	s_cbranch_execz .LBB353_744
; %bb.741:                              ;   in Loop: Header=BB353_15 Depth=1
	v_mov_b32_e32 v0, 7
	v_lshrrev_b32_e32 v1, 3, v4
	s_mov_b32 s23, exec_lo
	v_and_b32_sdwa v13, v27, v0 dst_sel:DWORD dst_unused:UNUSED_PAD src0_sel:WORD_1 src1_sel:DWORD
	v_mov_b32_e32 v30, v14
	v_mov_b32_e32 v29, v13
	v_cmpx_gt_u32_e32 8, v4
; %bb.742:                              ;   in Loop: Header=BB353_15 Depth=1
	v_ffbh_u32_e32 v1, v13
	v_min_u32_e32 v1, 32, v1
	v_subrev_nc_u32_e32 v4, 28, v1
	v_sub_nc_u32_e32 v1, 29, v1
	v_lshlrev_b64 v[4:5], v4, v[13:14]
	v_and_b32_e32 v29, 7, v4
; %bb.743:                              ;   in Loop: Header=BB353_15 Depth=1
	s_or_b32 exec_lo, exec_lo, s23
	v_mov_b32_e32 v0, 24
	v_lshlrev_b32_e32 v5, 20, v29
	v_lshl_add_u32 v1, v1, 23, 0x3c000000
	v_lshlrev_b32_sdwa v4, v0, v27 dst_sel:DWORD dst_unused:UNUSED_PAD src0_sel:DWORD src1_sel:WORD_1
	v_and_b32_e32 v4, 0x80000000, v4
	v_or3_b32 v41, v5, v4, v1
.LBB353_744:                            ;   in Loop: Header=BB353_15 Depth=1
	s_or_b32 exec_lo, exec_lo, s22
.LBB353_745:                            ;   in Loop: Header=BB353_15 Depth=1
	s_or_b32 exec_lo, exec_lo, s21
.LBB353_746:                            ;   in Loop: Header=BB353_15 Depth=1
	s_or_b32 exec_lo, exec_lo, s20
	s_mov_b32 s20, exec_lo
	v_cmpx_lt_u32_e32 0xffffff, v27
	s_cbranch_execz .LBB353_754
; %bb.747:                              ;   in Loop: Header=BB353_15 Depth=1
	v_cmp_ne_u32_sdwa s5, v27, v114 src0_sel:BYTE_3 src1_sel:DWORD
	v_bfrev_b32_e32 v117, 1
	s_and_saveexec_b32 s21, s5
	s_cbranch_execz .LBB353_753
; %bb.748:                              ;   in Loop: Header=BB353_15 Depth=1
	v_bfe_u32 v4, v27, 24, 7
	v_mov_b32_e32 v117, 0x7f800001
	s_mov_b32 s22, exec_lo
	v_cmpx_ne_u32_e32 0x7f, v4
	s_cbranch_execz .LBB353_752
; %bb.749:                              ;   in Loop: Header=BB353_15 Depth=1
	v_mov_b32_e32 v0, 7
	v_lshrrev_b32_e32 v1, 3, v4
	s_mov_b32 s23, exec_lo
	v_and_b32_sdwa v13, v27, v0 dst_sel:DWORD dst_unused:UNUSED_PAD src0_sel:BYTE_3 src1_sel:DWORD
	v_mov_b32_e32 v30, v14
	v_mov_b32_e32 v29, v13
	v_cmpx_gt_u32_e32 8, v4
; %bb.750:                              ;   in Loop: Header=BB353_15 Depth=1
	v_ffbh_u32_e32 v1, v13
	v_min_u32_e32 v1, 32, v1
	v_subrev_nc_u32_e32 v4, 28, v1
	v_sub_nc_u32_e32 v1, 29, v1
	v_lshlrev_b64 v[4:5], v4, v[13:14]
	v_and_b32_e32 v29, 7, v4
; %bb.751:                              ;   in Loop: Header=BB353_15 Depth=1
	s_or_b32 exec_lo, exec_lo, s23
	v_mov_b32_e32 v0, 24
	v_lshlrev_b32_e32 v5, 20, v29
	v_lshl_add_u32 v1, v1, 23, 0x3c000000
	v_lshlrev_b32_sdwa v4, v0, v27 dst_sel:DWORD dst_unused:UNUSED_PAD src0_sel:DWORD src1_sel:BYTE_3
	v_and_b32_e32 v4, 0x80000000, v4
	v_or3_b32 v117, v5, v4, v1
.LBB353_752:                            ;   in Loop: Header=BB353_15 Depth=1
	s_or_b32 exec_lo, exec_lo, s22
.LBB353_753:                            ;   in Loop: Header=BB353_15 Depth=1
	s_or_b32 exec_lo, exec_lo, s21
.LBB353_754:                            ;   in Loop: Header=BB353_15 Depth=1
	s_or_b32 exec_lo, exec_lo, s20
	v_mov_b32_e32 v13, v28
	v_cmp_ne_u16_sdwa s5, v28, v14 src0_sel:BYTE_0 src1_sel:DWORD
	v_mov_b32_e32 v98, 0
	v_mov_b32_e32 v48, 0
	s_and_saveexec_b32 s20, s5
	s_cbranch_execz .LBB353_762
; %bb.755:                              ;   in Loop: Header=BB353_15 Depth=1
	v_cmp_ne_u16_sdwa s5, v28, v114 src0_sel:BYTE_0 src1_sel:DWORD
	v_bfrev_b32_e32 v48, 1
	s_and_saveexec_b32 s21, s5
	s_cbranch_execz .LBB353_761
; %bb.756:                              ;   in Loop: Header=BB353_15 Depth=1
	v_and_b32_e32 v4, 0x7f, v28
	v_mov_b32_e32 v48, 0x7f800001
	s_mov_b32 s22, exec_lo
	v_cmpx_ne_u32_e32 0x7f, v4
	s_cbranch_execz .LBB353_760
; %bb.757:                              ;   in Loop: Header=BB353_15 Depth=1
	v_mov_b32_e32 v30, v14
	v_lshrrev_b32_e32 v1, 3, v4
	v_mov_b32_e32 v29, v13
	s_mov_b32 s23, exec_lo
	v_cmpx_gt_u32_e32 8, v4
; %bb.758:                              ;   in Loop: Header=BB353_15 Depth=1
	v_and_b32_e32 v1, 7, v28
	v_ffbh_u32_e32 v1, v1
	v_min_u32_e32 v1, 32, v1
	v_subrev_nc_u32_e32 v4, 28, v1
	v_sub_nc_u32_e32 v1, 29, v1
	v_lshlrev_b64 v[29:30], v4, v[13:14]
; %bb.759:                              ;   in Loop: Header=BB353_15 Depth=1
	s_or_b32 exec_lo, exec_lo, s23
	v_lshlrev_b32_e32 v4, 20, v29
	v_lshlrev_b32_e32 v5, 24, v13
	v_lshl_add_u32 v1, v1, 23, 0x3c000000
	v_and_b32_e32 v4, 0x700000, v4
	v_and_b32_e32 v5, 0x80000000, v5
	v_or3_b32 v48, v4, v5, v1
.LBB353_760:                            ;   in Loop: Header=BB353_15 Depth=1
	s_or_b32 exec_lo, exec_lo, s22
.LBB353_761:                            ;   in Loop: Header=BB353_15 Depth=1
	s_or_b32 exec_lo, exec_lo, s21
.LBB353_762:                            ;   in Loop: Header=BB353_15 Depth=1
	s_or_b32 exec_lo, exec_lo, s20
	v_cmp_ne_u16_sdwa s5, v13, v14 src0_sel:BYTE_1 src1_sel:DWORD
	s_and_saveexec_b32 s20, s5
	s_cbranch_execz .LBB353_770
; %bb.763:                              ;   in Loop: Header=BB353_15 Depth=1
	v_cmp_ne_u16_sdwa s5, v13, v114 src0_sel:BYTE_1 src1_sel:DWORD
	v_bfrev_b32_e32 v98, 1
	s_and_saveexec_b32 s21, s5
	s_cbranch_execz .LBB353_769
; %bb.764:                              ;   in Loop: Header=BB353_15 Depth=1
	v_mov_b32_e32 v0, 0xffff
	v_mov_b32_e32 v98, 0x7f800001
	s_mov_b32 s22, exec_lo
	v_and_b32_sdwa v1, v0, v13 dst_sel:DWORD dst_unused:UNUSED_PAD src0_sel:DWORD src1_sel:BYTE_1
	v_and_b32_e32 v4, 0x7f, v1
	v_cmpx_ne_u32_e32 0x7f, v4
	s_cbranch_execz .LBB353_768
; %bb.765:                              ;   in Loop: Header=BB353_15 Depth=1
	v_and_b32_e32 v29, 7, v1
	v_mov_b32_e32 v30, v14
	v_lshrrev_b32_e32 v1, 3, v4
	s_mov_b32 s23, exec_lo
	v_cmpx_gt_u32_e32 8, v4
; %bb.766:                              ;   in Loop: Header=BB353_15 Depth=1
	v_ffbh_u32_e32 v1, v29
	v_min_u32_e32 v1, 32, v1
	v_subrev_nc_u32_e32 v4, 28, v1
	v_sub_nc_u32_e32 v1, 29, v1
	v_lshlrev_b64 v[4:5], v4, v[29:30]
	v_and_b32_e32 v29, 7, v4
; %bb.767:                              ;   in Loop: Header=BB353_15 Depth=1
	s_or_b32 exec_lo, exec_lo, s23
	v_lshlrev_b32_e32 v4, 16, v13
	v_lshlrev_b32_e32 v5, 20, v29
	v_lshl_add_u32 v1, v1, 23, 0x3c000000
	v_and_b32_e32 v4, 0x80000000, v4
	v_or3_b32 v98, v5, v4, v1
.LBB353_768:                            ;   in Loop: Header=BB353_15 Depth=1
	s_or_b32 exec_lo, exec_lo, s22
.LBB353_769:                            ;   in Loop: Header=BB353_15 Depth=1
	s_or_b32 exec_lo, exec_lo, s21
.LBB353_770:                            ;   in Loop: Header=BB353_15 Depth=1
	s_or_b32 exec_lo, exec_lo, s20
	v_and_b32_sdwa v1, v28, v9 dst_sel:DWORD dst_unused:UNUSED_PAD src0_sel:WORD_1 src1_sel:DWORD
	v_mov_b32_e32 v100, 0
	v_mov_b32_e32 v103, 0
	s_mov_b32 s20, exec_lo
	v_cmpx_ne_u16_e32 0, v1
	s_cbranch_execz .LBB353_778
; %bb.771:                              ;   in Loop: Header=BB353_15 Depth=1
	v_bfrev_b32_e32 v103, 1
	s_mov_b32 s21, exec_lo
	v_cmpx_ne_u16_e32 0x80, v1
	s_cbranch_execz .LBB353_777
; %bb.772:                              ;   in Loop: Header=BB353_15 Depth=1
	v_bfe_u32 v4, v28, 16, 7
	v_mov_b32_e32 v103, 0x7f800001
	s_mov_b32 s22, exec_lo
	v_cmpx_ne_u32_e32 0x7f, v4
	s_cbranch_execz .LBB353_776
; %bb.773:                              ;   in Loop: Header=BB353_15 Depth=1
	v_mov_b32_e32 v0, 7
	v_lshrrev_b32_e32 v1, 3, v4
	s_mov_b32 s23, exec_lo
	v_and_b32_sdwa v13, v28, v0 dst_sel:DWORD dst_unused:UNUSED_PAD src0_sel:WORD_1 src1_sel:DWORD
	v_mov_b32_e32 v30, v14
	v_mov_b32_e32 v29, v13
	v_cmpx_gt_u32_e32 8, v4
; %bb.774:                              ;   in Loop: Header=BB353_15 Depth=1
	v_ffbh_u32_e32 v1, v13
	v_min_u32_e32 v1, 32, v1
	v_subrev_nc_u32_e32 v4, 28, v1
	v_sub_nc_u32_e32 v1, 29, v1
	v_lshlrev_b64 v[4:5], v4, v[13:14]
	v_and_b32_e32 v29, 7, v4
; %bb.775:                              ;   in Loop: Header=BB353_15 Depth=1
	s_or_b32 exec_lo, exec_lo, s23
	v_mov_b32_e32 v0, 24
	v_lshlrev_b32_e32 v5, 20, v29
	v_lshl_add_u32 v1, v1, 23, 0x3c000000
	v_lshlrev_b32_sdwa v4, v0, v28 dst_sel:DWORD dst_unused:UNUSED_PAD src0_sel:DWORD src1_sel:WORD_1
	v_and_b32_e32 v4, 0x80000000, v4
	v_or3_b32 v103, v5, v4, v1
.LBB353_776:                            ;   in Loop: Header=BB353_15 Depth=1
	s_or_b32 exec_lo, exec_lo, s22
.LBB353_777:                            ;   in Loop: Header=BB353_15 Depth=1
	s_or_b32 exec_lo, exec_lo, s21
.LBB353_778:                            ;   in Loop: Header=BB353_15 Depth=1
	s_or_b32 exec_lo, exec_lo, s20
	s_mov_b32 s20, exec_lo
	v_cmpx_lt_u64_e64 s[12:13], v[27:28]
	s_cbranch_execz .LBB353_786
; %bb.779:                              ;   in Loop: Header=BB353_15 Depth=1
	v_cmp_ne_u32_sdwa s5, v28, v114 src0_sel:BYTE_3 src1_sel:DWORD
	v_bfrev_b32_e32 v100, 1
	s_and_saveexec_b32 s21, s5
	s_cbranch_execz .LBB353_785
; %bb.780:                              ;   in Loop: Header=BB353_15 Depth=1
	v_bfe_u32 v4, v28, 24, 7
	v_mov_b32_e32 v100, 0x7f800001
	s_mov_b32 s22, exec_lo
	v_cmpx_ne_u32_e32 0x7f, v4
	s_cbranch_execz .LBB353_784
; %bb.781:                              ;   in Loop: Header=BB353_15 Depth=1
	v_mov_b32_e32 v0, 7
	v_lshrrev_b32_e32 v1, 3, v4
	s_mov_b32 s23, exec_lo
	v_and_b32_sdwa v13, v28, v0 dst_sel:DWORD dst_unused:UNUSED_PAD src0_sel:BYTE_3 src1_sel:DWORD
	v_mov_b32_e32 v30, v14
	v_mov_b32_e32 v29, v13
	v_cmpx_gt_u32_e32 8, v4
; %bb.782:                              ;   in Loop: Header=BB353_15 Depth=1
	v_ffbh_u32_e32 v1, v13
	v_min_u32_e32 v1, 32, v1
	v_subrev_nc_u32_e32 v4, 28, v1
	v_sub_nc_u32_e32 v1, 29, v1
	v_lshlrev_b64 v[4:5], v4, v[13:14]
	v_and_b32_e32 v29, 7, v4
; %bb.783:                              ;   in Loop: Header=BB353_15 Depth=1
	s_or_b32 exec_lo, exec_lo, s23
	v_mov_b32_e32 v0, 24
	v_lshlrev_b32_e32 v5, 20, v29
	v_lshl_add_u32 v1, v1, 23, 0x3c000000
	v_lshlrev_b32_sdwa v4, v0, v28 dst_sel:DWORD dst_unused:UNUSED_PAD src0_sel:DWORD src1_sel:BYTE_3
	v_and_b32_e32 v4, 0x80000000, v4
	v_or3_b32 v100, v5, v4, v1
.LBB353_784:                            ;   in Loop: Header=BB353_15 Depth=1
	s_or_b32 exec_lo, exec_lo, s22
.LBB353_785:                            ;   in Loop: Header=BB353_15 Depth=1
	s_or_b32 exec_lo, exec_lo, s21
.LBB353_786:                            ;   in Loop: Header=BB353_15 Depth=1
	s_or_b32 exec_lo, exec_lo, s20
	flat_load_dwordx2 v[27:28], v[24:25] offset:1024
	v_mov_b32_e32 v5, 0
	v_mov_b32_e32 v4, 0
	s_waitcnt vmcnt(0) lgkmcnt(0)
	v_cmp_ne_u16_sdwa s5, v27, v14 src0_sel:BYTE_0 src1_sel:DWORD
	s_and_saveexec_b32 s20, s5
	s_cbranch_execz .LBB353_794
; %bb.787:                              ;   in Loop: Header=BB353_15 Depth=1
	v_cmp_ne_u16_sdwa s5, v27, v114 src0_sel:BYTE_0 src1_sel:DWORD
	v_bfrev_b32_e32 v4, 1
	s_and_saveexec_b32 s21, s5
	s_cbranch_execz .LBB353_793
; %bb.788:                              ;   in Loop: Header=BB353_15 Depth=1
	v_and_b32_e32 v9, 0x7f, v27
	v_mov_b32_e32 v4, 0x7f800001
	s_mov_b32 s22, exec_lo
	v_cmpx_ne_u32_e32 0x7f, v9
	s_cbranch_execz .LBB353_792
; %bb.789:                              ;   in Loop: Header=BB353_15 Depth=1
	v_mov_b32_e32 v30, v28
	v_lshrrev_b32_e32 v1, 3, v9
	v_mov_b32_e32 v29, v27
	s_mov_b32 s23, exec_lo
	v_cmpx_gt_u32_e32 8, v9
; %bb.790:                              ;   in Loop: Header=BB353_15 Depth=1
	v_and_b32_e32 v1, 7, v27
	v_ffbh_u32_e32 v1, v1
	v_min_u32_e32 v1, 32, v1
	v_subrev_nc_u32_e32 v4, 28, v1
	v_sub_nc_u32_e32 v1, 29, v1
	v_lshlrev_b64 v[29:30], v4, v[27:28]
; %bb.791:                              ;   in Loop: Header=BB353_15 Depth=1
	s_or_b32 exec_lo, exec_lo, s23
	v_lshlrev_b32_e32 v4, 20, v29
	v_lshlrev_b32_e32 v9, 24, v27
	v_lshl_add_u32 v1, v1, 23, 0x3c000000
	v_and_b32_e32 v4, 0x700000, v4
	v_and_b32_e32 v9, 0x80000000, v9
	v_or3_b32 v4, v4, v9, v1
.LBB353_792:                            ;   in Loop: Header=BB353_15 Depth=1
	s_or_b32 exec_lo, exec_lo, s22
	v_mov_b32_e32 v9, 0xff
.LBB353_793:                            ;   in Loop: Header=BB353_15 Depth=1
	s_or_b32 exec_lo, exec_lo, s21
.LBB353_794:                            ;   in Loop: Header=BB353_15 Depth=1
	s_or_b32 exec_lo, exec_lo, s20
	v_cmp_ne_u16_sdwa s5, v27, v14 src0_sel:BYTE_1 src1_sel:DWORD
	s_and_saveexec_b32 s20, s5
	s_cbranch_execz .LBB353_802
; %bb.795:                              ;   in Loop: Header=BB353_15 Depth=1
	v_cmp_ne_u16_sdwa s5, v27, v114 src0_sel:BYTE_1 src1_sel:DWORD
	v_bfrev_b32_e32 v5, 1
	s_and_saveexec_b32 s21, s5
	s_cbranch_execz .LBB353_801
; %bb.796:                              ;   in Loop: Header=BB353_15 Depth=1
	v_mov_b32_e32 v0, 0xffff
	v_mov_b32_e32 v5, 0x7f800001
	s_mov_b32 s22, exec_lo
	v_and_b32_sdwa v1, v0, v27 dst_sel:DWORD dst_unused:UNUSED_PAD src0_sel:DWORD src1_sel:BYTE_1
	v_and_b32_e32 v9, 0x7f, v1
	v_cmpx_ne_u32_e32 0x7f, v9
	s_cbranch_execz .LBB353_800
; %bb.797:                              ;   in Loop: Header=BB353_15 Depth=1
	v_and_b32_e32 v13, 7, v1
	v_mov_b32_e32 v30, v14
	v_lshrrev_b32_e32 v1, 3, v9
	s_mov_b32 s23, exec_lo
	v_mov_b32_e32 v29, v13
	v_cmpx_gt_u32_e32 8, v9
; %bb.798:                              ;   in Loop: Header=BB353_15 Depth=1
	v_ffbh_u32_e32 v1, v13
	v_min_u32_e32 v1, 32, v1
	v_subrev_nc_u32_e32 v5, 28, v1
	v_sub_nc_u32_e32 v1, 29, v1
	v_lshlrev_b64 v[20:21], v5, v[13:14]
	v_and_b32_e32 v29, 7, v20
; %bb.799:                              ;   in Loop: Header=BB353_15 Depth=1
	s_or_b32 exec_lo, exec_lo, s23
	v_lshlrev_b32_e32 v5, 16, v27
	v_lshlrev_b32_e32 v9, 20, v29
	v_lshl_add_u32 v1, v1, 23, 0x3c000000
	v_and_b32_e32 v5, 0x80000000, v5
	v_or3_b32 v5, v9, v5, v1
.LBB353_800:                            ;   in Loop: Header=BB353_15 Depth=1
	s_or_b32 exec_lo, exec_lo, s22
	v_mov_b32_e32 v9, 0xff
.LBB353_801:                            ;   in Loop: Header=BB353_15 Depth=1
	s_or_b32 exec_lo, exec_lo, s21
.LBB353_802:                            ;   in Loop: Header=BB353_15 Depth=1
	s_or_b32 exec_lo, exec_lo, s20
	v_mov_b32_e32 v37, 0xff
	v_and_b32_sdwa v1, v27, v9 dst_sel:DWORD dst_unused:UNUSED_PAD src0_sel:WORD_1 src1_sel:DWORD
	v_mov_b32_e32 v9, 0
	v_mov_b32_e32 v115, 0
	s_mov_b32 s20, exec_lo
	v_cmpx_ne_u16_e32 0, v1
	s_cbranch_execz .LBB353_810
; %bb.803:                              ;   in Loop: Header=BB353_15 Depth=1
	v_bfrev_b32_e32 v115, 1
	s_mov_b32 s21, exec_lo
	v_cmpx_ne_u16_e32 0x80, v1
	s_cbranch_execz .LBB353_809
; %bb.804:                              ;   in Loop: Header=BB353_15 Depth=1
	v_bfe_u32 v20, v27, 16, 7
	v_mov_b32_e32 v115, 0x7f800001
	s_mov_b32 s22, exec_lo
	v_cmpx_ne_u32_e32 0x7f, v20
	s_cbranch_execz .LBB353_808
; %bb.805:                              ;   in Loop: Header=BB353_15 Depth=1
	v_mov_b32_e32 v0, 7
	v_lshrrev_b32_e32 v1, 3, v20
	s_mov_b32 s23, exec_lo
	v_and_b32_sdwa v13, v27, v0 dst_sel:DWORD dst_unused:UNUSED_PAD src0_sel:WORD_1 src1_sel:DWORD
	v_mov_b32_e32 v30, v14
	v_mov_b32_e32 v29, v13
	v_cmpx_gt_u32_e32 8, v20
; %bb.806:                              ;   in Loop: Header=BB353_15 Depth=1
	v_ffbh_u32_e32 v1, v13
	v_min_u32_e32 v1, 32, v1
	v_subrev_nc_u32_e32 v20, 28, v1
	v_sub_nc_u32_e32 v1, 29, v1
	v_lshlrev_b64 v[20:21], v20, v[13:14]
	v_and_b32_e32 v29, 7, v20
; %bb.807:                              ;   in Loop: Header=BB353_15 Depth=1
	s_or_b32 exec_lo, exec_lo, s23
	v_mov_b32_e32 v0, 24
	v_lshlrev_b32_e32 v20, 20, v29
	v_lshl_add_u32 v1, v1, 23, 0x3c000000
	v_lshlrev_b32_sdwa v13, v0, v27 dst_sel:DWORD dst_unused:UNUSED_PAD src0_sel:DWORD src1_sel:WORD_1
	v_and_b32_e32 v13, 0x80000000, v13
	v_or3_b32 v115, v20, v13, v1
.LBB353_808:                            ;   in Loop: Header=BB353_15 Depth=1
	s_or_b32 exec_lo, exec_lo, s22
.LBB353_809:                            ;   in Loop: Header=BB353_15 Depth=1
	s_or_b32 exec_lo, exec_lo, s21
.LBB353_810:                            ;   in Loop: Header=BB353_15 Depth=1
	s_or_b32 exec_lo, exec_lo, s20
	s_mov_b32 s20, exec_lo
	v_cmpx_lt_u32_e32 0xffffff, v27
	s_cbranch_execz .LBB353_818
; %bb.811:                              ;   in Loop: Header=BB353_15 Depth=1
	v_cmp_ne_u32_sdwa s5, v27, v114 src0_sel:BYTE_3 src1_sel:DWORD
	v_bfrev_b32_e32 v9, 1
	s_and_saveexec_b32 s21, s5
	s_cbranch_execz .LBB353_817
; %bb.812:                              ;   in Loop: Header=BB353_15 Depth=1
	v_bfe_u32 v20, v27, 24, 7
	v_mov_b32_e32 v9, 0x7f800001
	s_mov_b32 s22, exec_lo
	v_cmpx_ne_u32_e32 0x7f, v20
	s_cbranch_execz .LBB353_816
; %bb.813:                              ;   in Loop: Header=BB353_15 Depth=1
	v_mov_b32_e32 v0, 7
	v_lshrrev_b32_e32 v1, 3, v20
	s_mov_b32 s23, exec_lo
	v_and_b32_sdwa v13, v27, v0 dst_sel:DWORD dst_unused:UNUSED_PAD src0_sel:BYTE_3 src1_sel:DWORD
	v_mov_b32_e32 v30, v14
	v_mov_b32_e32 v29, v13
	v_cmpx_gt_u32_e32 8, v20
; %bb.814:                              ;   in Loop: Header=BB353_15 Depth=1
	v_ffbh_u32_e32 v1, v13
	v_min_u32_e32 v1, 32, v1
	v_subrev_nc_u32_e32 v9, 28, v1
	v_sub_nc_u32_e32 v1, 29, v1
	v_lshlrev_b64 v[20:21], v9, v[13:14]
	v_and_b32_e32 v29, 7, v20
; %bb.815:                              ;   in Loop: Header=BB353_15 Depth=1
	s_or_b32 exec_lo, exec_lo, s23
	v_mov_b32_e32 v0, 24
	v_lshlrev_b32_e32 v13, 20, v29
	v_lshl_add_u32 v1, v1, 23, 0x3c000000
	v_lshlrev_b32_sdwa v9, v0, v27 dst_sel:DWORD dst_unused:UNUSED_PAD src0_sel:DWORD src1_sel:BYTE_3
	v_and_b32_e32 v9, 0x80000000, v9
	v_or3_b32 v9, v13, v9, v1
.LBB353_816:                            ;   in Loop: Header=BB353_15 Depth=1
	s_or_b32 exec_lo, exec_lo, s22
.LBB353_817:                            ;   in Loop: Header=BB353_15 Depth=1
	s_or_b32 exec_lo, exec_lo, s21
.LBB353_818:                            ;   in Loop: Header=BB353_15 Depth=1
	s_or_b32 exec_lo, exec_lo, s20
	v_mov_b32_e32 v13, v28
	v_cmp_ne_u16_sdwa s5, v28, v14 src0_sel:BYTE_0 src1_sel:DWORD
	v_mov_b32_e32 v21, 0
	v_mov_b32_e32 v113, 0
	s_and_saveexec_b32 s20, s5
	s_cbranch_execz .LBB353_826
; %bb.819:                              ;   in Loop: Header=BB353_15 Depth=1
	v_cmp_ne_u16_sdwa s5, v28, v114 src0_sel:BYTE_0 src1_sel:DWORD
	v_bfrev_b32_e32 v113, 1
	s_and_saveexec_b32 s21, s5
	s_cbranch_execz .LBB353_825
; %bb.820:                              ;   in Loop: Header=BB353_15 Depth=1
	v_and_b32_e32 v20, 0x7f, v28
	v_mov_b32_e32 v113, 0x7f800001
	s_mov_b32 s22, exec_lo
	v_cmpx_ne_u32_e32 0x7f, v20
	s_cbranch_execz .LBB353_824
; %bb.821:                              ;   in Loop: Header=BB353_15 Depth=1
	v_mov_b32_e32 v30, v14
	v_lshrrev_b32_e32 v1, 3, v20
	v_mov_b32_e32 v29, v13
	s_mov_b32 s23, exec_lo
	v_cmpx_gt_u32_e32 8, v20
; %bb.822:                              ;   in Loop: Header=BB353_15 Depth=1
	v_and_b32_e32 v1, 7, v28
	v_ffbh_u32_e32 v1, v1
	v_min_u32_e32 v1, 32, v1
	v_subrev_nc_u32_e32 v20, 28, v1
	v_sub_nc_u32_e32 v1, 29, v1
	v_lshlrev_b64 v[29:30], v20, v[13:14]
; %bb.823:                              ;   in Loop: Header=BB353_15 Depth=1
	s_or_b32 exec_lo, exec_lo, s23
	v_lshlrev_b32_e32 v20, 20, v29
	v_lshlrev_b32_e32 v29, 24, v13
	v_lshl_add_u32 v1, v1, 23, 0x3c000000
	v_and_b32_e32 v20, 0x700000, v20
	v_and_b32_e32 v29, 0x80000000, v29
	v_or3_b32 v113, v20, v29, v1
.LBB353_824:                            ;   in Loop: Header=BB353_15 Depth=1
	s_or_b32 exec_lo, exec_lo, s22
.LBB353_825:                            ;   in Loop: Header=BB353_15 Depth=1
	s_or_b32 exec_lo, exec_lo, s21
.LBB353_826:                            ;   in Loop: Header=BB353_15 Depth=1
	s_or_b32 exec_lo, exec_lo, s20
	v_cmp_ne_u16_sdwa s5, v13, v14 src0_sel:BYTE_1 src1_sel:DWORD
	s_and_saveexec_b32 s20, s5
	s_cbranch_execz .LBB353_834
; %bb.827:                              ;   in Loop: Header=BB353_15 Depth=1
	v_cmp_ne_u16_sdwa s5, v13, v114 src0_sel:BYTE_1 src1_sel:DWORD
	v_bfrev_b32_e32 v21, 1
	s_and_saveexec_b32 s21, s5
	s_cbranch_execz .LBB353_833
; %bb.828:                              ;   in Loop: Header=BB353_15 Depth=1
	v_mov_b32_e32 v0, 0xffff
	v_mov_b32_e32 v21, 0x7f800001
	s_mov_b32 s22, exec_lo
	v_and_b32_sdwa v1, v0, v13 dst_sel:DWORD dst_unused:UNUSED_PAD src0_sel:DWORD src1_sel:BYTE_1
	v_and_b32_e32 v20, 0x7f, v1
	v_cmpx_ne_u32_e32 0x7f, v20
	s_cbranch_execz .LBB353_832
; %bb.829:                              ;   in Loop: Header=BB353_15 Depth=1
	v_and_b32_e32 v29, 7, v1
	v_mov_b32_e32 v30, v14
	v_lshrrev_b32_e32 v1, 3, v20
	s_mov_b32 s23, exec_lo
	v_cmpx_gt_u32_e32 8, v20
; %bb.830:                              ;   in Loop: Header=BB353_15 Depth=1
	v_ffbh_u32_e32 v1, v29
	v_min_u32_e32 v1, 32, v1
	v_subrev_nc_u32_e32 v20, 28, v1
	v_sub_nc_u32_e32 v1, 29, v1
	v_lshlrev_b64 v[20:21], v20, v[29:30]
	v_and_b32_e32 v29, 7, v20
; %bb.831:                              ;   in Loop: Header=BB353_15 Depth=1
	s_or_b32 exec_lo, exec_lo, s23
	v_lshlrev_b32_e32 v13, 16, v13
	v_lshlrev_b32_e32 v20, 20, v29
	v_lshl_add_u32 v1, v1, 23, 0x3c000000
	v_and_b32_e32 v13, 0x80000000, v13
	v_or3_b32 v21, v20, v13, v1
.LBB353_832:                            ;   in Loop: Header=BB353_15 Depth=1
	s_or_b32 exec_lo, exec_lo, s22
.LBB353_833:                            ;   in Loop: Header=BB353_15 Depth=1
	s_or_b32 exec_lo, exec_lo, s21
.LBB353_834:                            ;   in Loop: Header=BB353_15 Depth=1
	s_or_b32 exec_lo, exec_lo, s20
	v_and_b32_sdwa v1, v28, v37 dst_sel:DWORD dst_unused:UNUSED_PAD src0_sel:WORD_1 src1_sel:DWORD
	v_mov_b32_e32 v20, 0
	v_mov_b32_e32 v36, 0
	s_mov_b32 s20, exec_lo
	v_cmpx_ne_u16_e32 0, v1
	s_cbranch_execz .LBB353_842
; %bb.835:                              ;   in Loop: Header=BB353_15 Depth=1
	v_bfrev_b32_e32 v36, 1
	s_mov_b32 s21, exec_lo
	v_cmpx_ne_u16_e32 0x80, v1
	s_cbranch_execz .LBB353_841
; %bb.836:                              ;   in Loop: Header=BB353_15 Depth=1
	v_bfe_u32 v29, v28, 16, 7
	v_mov_b32_e32 v36, 0x7f800001
	s_mov_b32 s22, exec_lo
	v_cmpx_ne_u32_e32 0x7f, v29
	s_cbranch_execz .LBB353_840
; %bb.837:                              ;   in Loop: Header=BB353_15 Depth=1
	v_mov_b32_e32 v0, 7
	v_lshrrev_b32_e32 v1, 3, v29
	v_cmp_gt_u32_e64 s5, 8, v29
	v_and_b32_sdwa v13, v28, v0 dst_sel:DWORD dst_unused:UNUSED_PAD src0_sel:WORD_1 src1_sel:DWORD
	v_mov_b32_e32 v30, v14
	v_mov_b32_e32 v29, v13
	s_and_saveexec_b32 s23, s5
; %bb.838:                              ;   in Loop: Header=BB353_15 Depth=1
	v_ffbh_u32_e32 v1, v13
	v_min_u32_e32 v1, 32, v1
	v_subrev_nc_u32_e32 v29, 28, v1
	v_sub_nc_u32_e32 v1, 29, v1
	v_lshlrev_b64 v[29:30], v29, v[13:14]
	v_and_b32_e32 v29, 7, v29
; %bb.839:                              ;   in Loop: Header=BB353_15 Depth=1
	s_or_b32 exec_lo, exec_lo, s23
	v_mov_b32_e32 v0, 24
	v_lshlrev_b32_e32 v29, 20, v29
	v_lshl_add_u32 v1, v1, 23, 0x3c000000
	v_lshlrev_b32_sdwa v13, v0, v28 dst_sel:DWORD dst_unused:UNUSED_PAD src0_sel:DWORD src1_sel:WORD_1
	v_and_b32_e32 v13, 0x80000000, v13
	v_or3_b32 v36, v29, v13, v1
.LBB353_840:                            ;   in Loop: Header=BB353_15 Depth=1
	s_or_b32 exec_lo, exec_lo, s22
.LBB353_841:                            ;   in Loop: Header=BB353_15 Depth=1
	s_or_b32 exec_lo, exec_lo, s21
.LBB353_842:                            ;   in Loop: Header=BB353_15 Depth=1
	s_or_b32 exec_lo, exec_lo, s20
	s_mov_b32 s20, exec_lo
	v_cmpx_lt_u64_e64 s[12:13], v[27:28]
	s_cbranch_execz .LBB353_850
; %bb.843:                              ;   in Loop: Header=BB353_15 Depth=1
	v_cmp_ne_u32_sdwa s5, v28, v114 src0_sel:BYTE_3 src1_sel:DWORD
	v_bfrev_b32_e32 v20, 1
	s_and_saveexec_b32 s21, s5
	s_cbranch_execz .LBB353_849
; %bb.844:                              ;   in Loop: Header=BB353_15 Depth=1
	v_bfe_u32 v27, v28, 24, 7
	v_mov_b32_e32 v20, 0x7f800001
	s_mov_b32 s22, exec_lo
	v_cmpx_ne_u32_e32 0x7f, v27
	s_cbranch_execz .LBB353_848
; %bb.845:                              ;   in Loop: Header=BB353_15 Depth=1
	v_mov_b32_e32 v0, 7
	v_lshrrev_b32_e32 v1, 3, v27
	s_mov_b32 s23, exec_lo
	v_and_b32_sdwa v13, v28, v0 dst_sel:DWORD dst_unused:UNUSED_PAD src0_sel:BYTE_3 src1_sel:DWORD
	v_mov_b32_e32 v30, v14
	v_mov_b32_e32 v29, v13
	v_cmpx_gt_u32_e32 8, v27
; %bb.846:                              ;   in Loop: Header=BB353_15 Depth=1
	v_ffbh_u32_e32 v1, v13
	v_min_u32_e32 v1, 32, v1
	v_subrev_nc_u32_e32 v20, 28, v1
	v_sub_nc_u32_e32 v1, 29, v1
	v_lshlrev_b64 v[29:30], v20, v[13:14]
	v_and_b32_e32 v29, 7, v29
; %bb.847:                              ;   in Loop: Header=BB353_15 Depth=1
	s_or_b32 exec_lo, exec_lo, s23
	v_mov_b32_e32 v0, 24
	v_lshlrev_b32_e32 v20, 20, v29
	v_lshl_add_u32 v1, v1, 23, 0x3c000000
	v_lshlrev_b32_sdwa v13, v0, v28 dst_sel:DWORD dst_unused:UNUSED_PAD src0_sel:DWORD src1_sel:BYTE_3
	v_and_b32_e32 v13, 0x80000000, v13
	v_or3_b32 v20, v20, v13, v1
.LBB353_848:                            ;   in Loop: Header=BB353_15 Depth=1
	s_or_b32 exec_lo, exec_lo, s22
.LBB353_849:                            ;   in Loop: Header=BB353_15 Depth=1
	s_or_b32 exec_lo, exec_lo, s21
.LBB353_850:                            ;   in Loop: Header=BB353_15 Depth=1
	s_or_b32 exec_lo, exec_lo, s20
	flat_load_dwordx2 v[27:28], v[24:25] offset:1032
	v_mov_b32_e32 v101, 0
	v_mov_b32_e32 v0, 0
	s_waitcnt vmcnt(0) lgkmcnt(0)
	v_cmp_ne_u16_sdwa s5, v27, v14 src0_sel:BYTE_0 src1_sel:DWORD
	s_and_saveexec_b32 s20, s5
	s_cbranch_execz .LBB353_858
; %bb.851:                              ;   in Loop: Header=BB353_15 Depth=1
	v_cmp_ne_u16_sdwa s5, v27, v114 src0_sel:BYTE_0 src1_sel:DWORD
	v_bfrev_b32_e32 v0, 1
	s_and_saveexec_b32 s21, s5
	s_cbranch_execz .LBB353_857
; %bb.852:                              ;   in Loop: Header=BB353_15 Depth=1
	v_and_b32_e32 v13, 0x7f, v27
	v_mov_b32_e32 v0, 0x7f800001
	s_mov_b32 s22, exec_lo
	v_cmpx_ne_u32_e32 0x7f, v13
	s_cbranch_execz .LBB353_856
; %bb.853:                              ;   in Loop: Header=BB353_15 Depth=1
	v_mov_b32_e32 v30, v28
	v_lshrrev_b32_e32 v1, 3, v13
	v_mov_b32_e32 v29, v27
	s_mov_b32 s23, exec_lo
	v_cmpx_gt_u32_e32 8, v13
; %bb.854:                              ;   in Loop: Header=BB353_15 Depth=1
	v_and_b32_e32 v1, 7, v27
	v_ffbh_u32_e32 v1, v1
	v_min_u32_e32 v1, 32, v1
	v_subrev_nc_u32_e32 v13, 28, v1
	v_sub_nc_u32_e32 v1, 29, v1
	v_lshlrev_b64 v[29:30], v13, v[27:28]
; %bb.855:                              ;   in Loop: Header=BB353_15 Depth=1
	s_or_b32 exec_lo, exec_lo, s23
	v_lshlrev_b32_e32 v13, 20, v29
	v_lshlrev_b32_e32 v29, 24, v27
	v_lshl_add_u32 v1, v1, 23, 0x3c000000
	v_and_b32_e32 v13, 0x700000, v13
	v_and_b32_e32 v29, 0x80000000, v29
	v_or3_b32 v0, v13, v29, v1
.LBB353_856:                            ;   in Loop: Header=BB353_15 Depth=1
	s_or_b32 exec_lo, exec_lo, s22
.LBB353_857:                            ;   in Loop: Header=BB353_15 Depth=1
	s_or_b32 exec_lo, exec_lo, s21
.LBB353_858:                            ;   in Loop: Header=BB353_15 Depth=1
	s_or_b32 exec_lo, exec_lo, s20
	v_cmp_ne_u16_sdwa s5, v27, v14 src0_sel:BYTE_1 src1_sel:DWORD
	s_and_saveexec_b32 s20, s5
	s_cbranch_execz .LBB353_866
; %bb.859:                              ;   in Loop: Header=BB353_15 Depth=1
	v_cmp_ne_u16_sdwa s5, v27, v114 src0_sel:BYTE_1 src1_sel:DWORD
	v_bfrev_b32_e32 v101, 1
	s_and_saveexec_b32 s21, s5
	s_cbranch_execz .LBB353_865
; %bb.860:                              ;   in Loop: Header=BB353_15 Depth=1
	v_mov_b32_e32 v1, 0xffff
	v_mov_b32_e32 v101, 0x7f800001
	s_mov_b32 s22, exec_lo
	v_and_b32_sdwa v1, v1, v27 dst_sel:DWORD dst_unused:UNUSED_PAD src0_sel:DWORD src1_sel:BYTE_1
	v_and_b32_e32 v29, 0x7f, v1
	v_cmpx_ne_u32_e32 0x7f, v29
	s_cbranch_execz .LBB353_864
; %bb.861:                              ;   in Loop: Header=BB353_15 Depth=1
	v_and_b32_e32 v13, 7, v1
	v_lshrrev_b32_e32 v1, 3, v29
	v_cmp_gt_u32_e64 s5, 8, v29
	v_mov_b32_e32 v30, v14
	v_mov_b32_e32 v29, v13
	s_and_saveexec_b32 s23, s5
; %bb.862:                              ;   in Loop: Header=BB353_15 Depth=1
	v_ffbh_u32_e32 v1, v13
	v_min_u32_e32 v1, 32, v1
	v_subrev_nc_u32_e32 v29, 28, v1
	v_sub_nc_u32_e32 v1, 29, v1
	v_lshlrev_b64 v[29:30], v29, v[13:14]
	v_and_b32_e32 v29, 7, v29
; %bb.863:                              ;   in Loop: Header=BB353_15 Depth=1
	s_or_b32 exec_lo, exec_lo, s23
	v_lshlrev_b32_e32 v13, 16, v27
	v_lshlrev_b32_e32 v29, 20, v29
	v_lshl_add_u32 v1, v1, 23, 0x3c000000
	v_and_b32_e32 v13, 0x80000000, v13
	v_or3_b32 v101, v29, v13, v1
.LBB353_864:                            ;   in Loop: Header=BB353_15 Depth=1
	s_or_b32 exec_lo, exec_lo, s22
.LBB353_865:                            ;   in Loop: Header=BB353_15 Depth=1
	s_or_b32 exec_lo, exec_lo, s21
.LBB353_866:                            ;   in Loop: Header=BB353_15 Depth=1
	s_or_b32 exec_lo, exec_lo, s20
	v_and_b32_sdwa v1, v27, v37 dst_sel:DWORD dst_unused:UNUSED_PAD src0_sel:WORD_1 src1_sel:DWORD
	v_mov_b32_e32 v102, 0
	v_mov_b32_e32 v112, 0
	s_mov_b32 s20, exec_lo
	v_cmpx_ne_u16_e32 0, v1
	s_cbranch_execz .LBB353_874
; %bb.867:                              ;   in Loop: Header=BB353_15 Depth=1
	v_bfrev_b32_e32 v112, 1
	s_mov_b32 s21, exec_lo
	v_cmpx_ne_u16_e32 0x80, v1
	s_cbranch_execz .LBB353_873
; %bb.868:                              ;   in Loop: Header=BB353_15 Depth=1
	v_bfe_u32 v29, v27, 16, 7
	v_mov_b32_e32 v112, 0x7f800001
	s_mov_b32 s22, exec_lo
	v_cmpx_ne_u32_e32 0x7f, v29
	s_cbranch_execz .LBB353_872
; %bb.869:                              ;   in Loop: Header=BB353_15 Depth=1
	v_mov_b32_e32 v1, 7
	v_cmp_gt_u32_e64 s5, 8, v29
	v_and_b32_sdwa v13, v27, v1 dst_sel:DWORD dst_unused:UNUSED_PAD src0_sel:WORD_1 src1_sel:DWORD
	v_lshrrev_b32_e32 v1, 3, v29
	v_mov_b32_e32 v30, v14
	v_mov_b32_e32 v29, v13
	s_and_saveexec_b32 s23, s5
; %bb.870:                              ;   in Loop: Header=BB353_15 Depth=1
	v_ffbh_u32_e32 v1, v13
	v_min_u32_e32 v1, 32, v1
	v_subrev_nc_u32_e32 v29, 28, v1
	v_sub_nc_u32_e32 v1, 29, v1
	v_lshlrev_b64 v[29:30], v29, v[13:14]
	v_and_b32_e32 v29, 7, v29
; %bb.871:                              ;   in Loop: Header=BB353_15 Depth=1
	s_or_b32 exec_lo, exec_lo, s23
	v_mov_b32_e32 v13, 24
	v_lshlrev_b32_e32 v29, 20, v29
	v_lshl_add_u32 v1, v1, 23, 0x3c000000
	v_lshlrev_b32_sdwa v13, v13, v27 dst_sel:DWORD dst_unused:UNUSED_PAD src0_sel:DWORD src1_sel:WORD_1
	v_and_b32_e32 v13, 0x80000000, v13
	v_or3_b32 v112, v29, v13, v1
.LBB353_872:                            ;   in Loop: Header=BB353_15 Depth=1
	s_or_b32 exec_lo, exec_lo, s22
.LBB353_873:                            ;   in Loop: Header=BB353_15 Depth=1
	s_or_b32 exec_lo, exec_lo, s21
.LBB353_874:                            ;   in Loop: Header=BB353_15 Depth=1
	s_or_b32 exec_lo, exec_lo, s20
	s_mov_b32 s20, exec_lo
	v_cmpx_lt_u32_e32 0xffffff, v27
	s_cbranch_execz .LBB353_882
; %bb.875:                              ;   in Loop: Header=BB353_15 Depth=1
	v_cmp_ne_u32_sdwa s5, v27, v114 src0_sel:BYTE_3 src1_sel:DWORD
	v_bfrev_b32_e32 v102, 1
	s_and_saveexec_b32 s21, s5
	s_cbranch_execz .LBB353_881
; %bb.876:                              ;   in Loop: Header=BB353_15 Depth=1
	v_bfe_u32 v29, v27, 24, 7
	v_mov_b32_e32 v102, 0x7f800001
	s_mov_b32 s22, exec_lo
	v_cmpx_ne_u32_e32 0x7f, v29
	s_cbranch_execz .LBB353_880
; %bb.877:                              ;   in Loop: Header=BB353_15 Depth=1
	v_mov_b32_e32 v1, 7
	v_cmp_gt_u32_e64 s5, 8, v29
	v_and_b32_sdwa v13, v27, v1 dst_sel:DWORD dst_unused:UNUSED_PAD src0_sel:BYTE_3 src1_sel:DWORD
	v_lshrrev_b32_e32 v1, 3, v29
	v_mov_b32_e32 v30, v14
	v_mov_b32_e32 v29, v13
	s_and_saveexec_b32 s23, s5
; %bb.878:                              ;   in Loop: Header=BB353_15 Depth=1
	v_ffbh_u32_e32 v1, v13
	v_min_u32_e32 v1, 32, v1
	v_subrev_nc_u32_e32 v29, 28, v1
	v_sub_nc_u32_e32 v1, 29, v1
	v_lshlrev_b64 v[29:30], v29, v[13:14]
	v_and_b32_e32 v29, 7, v29
; %bb.879:                              ;   in Loop: Header=BB353_15 Depth=1
	s_or_b32 exec_lo, exec_lo, s23
	v_mov_b32_e32 v13, 24
	v_lshlrev_b32_e32 v29, 20, v29
	v_lshl_add_u32 v1, v1, 23, 0x3c000000
	v_lshlrev_b32_sdwa v13, v13, v27 dst_sel:DWORD dst_unused:UNUSED_PAD src0_sel:DWORD src1_sel:BYTE_3
	v_and_b32_e32 v13, 0x80000000, v13
	v_or3_b32 v102, v29, v13, v1
.LBB353_880:                            ;   in Loop: Header=BB353_15 Depth=1
	s_or_b32 exec_lo, exec_lo, s22
.LBB353_881:                            ;   in Loop: Header=BB353_15 Depth=1
	s_or_b32 exec_lo, exec_lo, s21
.LBB353_882:                            ;   in Loop: Header=BB353_15 Depth=1
	s_or_b32 exec_lo, exec_lo, s20
	v_mov_b32_e32 v13, v28
	v_cmp_ne_u16_sdwa s5, v28, v14 src0_sel:BYTE_0 src1_sel:DWORD
	v_mov_b32_e32 v44, 0
	v_mov_b32_e32 v43, 0
	s_and_saveexec_b32 s20, s5
	s_cbranch_execz .LBB353_890
; %bb.883:                              ;   in Loop: Header=BB353_15 Depth=1
	v_cmp_ne_u16_sdwa s5, v28, v114 src0_sel:BYTE_0 src1_sel:DWORD
	v_bfrev_b32_e32 v43, 1
	s_and_saveexec_b32 s21, s5
	s_cbranch_execz .LBB353_889
; %bb.884:                              ;   in Loop: Header=BB353_15 Depth=1
	v_and_b32_e32 v29, 0x7f, v28
	v_mov_b32_e32 v43, 0x7f800001
	s_mov_b32 s22, exec_lo
	v_cmpx_ne_u32_e32 0x7f, v29
	s_cbranch_execz .LBB353_888
; %bb.885:                              ;   in Loop: Header=BB353_15 Depth=1
	v_lshrrev_b32_e32 v1, 3, v29
	v_cmp_gt_u32_e64 s5, 8, v29
	v_mov_b32_e32 v30, v14
	v_mov_b32_e32 v29, v13
	s_and_saveexec_b32 s23, s5
; %bb.886:                              ;   in Loop: Header=BB353_15 Depth=1
	v_and_b32_e32 v1, 7, v28
	v_ffbh_u32_e32 v1, v1
	v_min_u32_e32 v1, 32, v1
	v_subrev_nc_u32_e32 v29, 28, v1
	v_sub_nc_u32_e32 v1, 29, v1
	v_lshlrev_b64 v[29:30], v29, v[13:14]
; %bb.887:                              ;   in Loop: Header=BB353_15 Depth=1
	s_or_b32 exec_lo, exec_lo, s23
	v_lshlrev_b32_e32 v29, 20, v29
	v_lshlrev_b32_e32 v30, 24, v13
	v_lshl_add_u32 v1, v1, 23, 0x3c000000
	v_and_b32_e32 v29, 0x700000, v29
	v_and_b32_e32 v30, 0x80000000, v30
	v_or3_b32 v43, v29, v30, v1
.LBB353_888:                            ;   in Loop: Header=BB353_15 Depth=1
	s_or_b32 exec_lo, exec_lo, s22
.LBB353_889:                            ;   in Loop: Header=BB353_15 Depth=1
	s_or_b32 exec_lo, exec_lo, s21
.LBB353_890:                            ;   in Loop: Header=BB353_15 Depth=1
	s_or_b32 exec_lo, exec_lo, s20
	v_cmp_ne_u16_sdwa s5, v13, v14 src0_sel:BYTE_1 src1_sel:DWORD
	s_and_saveexec_b32 s20, s5
	s_cbranch_execz .LBB353_898
; %bb.891:                              ;   in Loop: Header=BB353_15 Depth=1
	v_cmp_ne_u16_sdwa s5, v13, v114 src0_sel:BYTE_1 src1_sel:DWORD
	v_bfrev_b32_e32 v44, 1
	s_and_saveexec_b32 s21, s5
	s_cbranch_execz .LBB353_897
; %bb.892:                              ;   in Loop: Header=BB353_15 Depth=1
	v_mov_b32_e32 v1, 0xffff
	v_mov_b32_e32 v44, 0x7f800001
	s_mov_b32 s22, exec_lo
	v_and_b32_sdwa v1, v1, v13 dst_sel:DWORD dst_unused:UNUSED_PAD src0_sel:DWORD src1_sel:BYTE_1
	v_and_b32_e32 v34, 0x7f, v1
	v_cmpx_ne_u32_e32 0x7f, v34
	s_cbranch_execz .LBB353_896
; %bb.893:                              ;   in Loop: Header=BB353_15 Depth=1
	v_and_b32_e32 v29, 7, v1
	v_mov_b32_e32 v30, v14
	v_lshrrev_b32_e32 v1, 3, v34
	s_mov_b32 s23, exec_lo
	v_cmpx_gt_u32_e32 8, v34
; %bb.894:                              ;   in Loop: Header=BB353_15 Depth=1
	v_ffbh_u32_e32 v1, v29
	v_min_u32_e32 v1, 32, v1
	v_subrev_nc_u32_e32 v34, 28, v1
	v_sub_nc_u32_e32 v1, 29, v1
	v_lshlrev_b64 v[29:30], v34, v[29:30]
	v_and_b32_e32 v29, 7, v29
; %bb.895:                              ;   in Loop: Header=BB353_15 Depth=1
	s_or_b32 exec_lo, exec_lo, s23
	v_lshlrev_b32_e32 v13, 16, v13
	v_lshlrev_b32_e32 v29, 20, v29
	v_lshl_add_u32 v1, v1, 23, 0x3c000000
	v_and_b32_e32 v13, 0x80000000, v13
	v_or3_b32 v44, v29, v13, v1
.LBB353_896:                            ;   in Loop: Header=BB353_15 Depth=1
	s_or_b32 exec_lo, exec_lo, s22
.LBB353_897:                            ;   in Loop: Header=BB353_15 Depth=1
	s_or_b32 exec_lo, exec_lo, s21
.LBB353_898:                            ;   in Loop: Header=BB353_15 Depth=1
	s_or_b32 exec_lo, exec_lo, s20
	v_and_b32_sdwa v1, v28, v37 dst_sel:DWORD dst_unused:UNUSED_PAD src0_sel:WORD_1 src1_sel:DWORD
	v_mov_b32_e32 v45, 0
	v_mov_b32_e32 v46, 0
	s_mov_b32 s20, exec_lo
	v_cmpx_ne_u16_e32 0, v1
	s_cbranch_execz .LBB353_906
; %bb.899:                              ;   in Loop: Header=BB353_15 Depth=1
	v_bfrev_b32_e32 v46, 1
	s_mov_b32 s21, exec_lo
	v_cmpx_ne_u16_e32 0x80, v1
	s_cbranch_execz .LBB353_905
; %bb.900:                              ;   in Loop: Header=BB353_15 Depth=1
	v_bfe_u32 v29, v28, 16, 7
	v_mov_b32_e32 v46, 0x7f800001
	s_mov_b32 s22, exec_lo
	v_cmpx_ne_u32_e32 0x7f, v29
	s_cbranch_execz .LBB353_904
; %bb.901:                              ;   in Loop: Header=BB353_15 Depth=1
	v_mov_b32_e32 v1, 7
	v_cmp_gt_u32_e64 s5, 8, v29
	v_and_b32_sdwa v13, v28, v1 dst_sel:DWORD dst_unused:UNUSED_PAD src0_sel:WORD_1 src1_sel:DWORD
	v_lshrrev_b32_e32 v1, 3, v29
	v_mov_b32_e32 v30, v14
	v_mov_b32_e32 v29, v13
	s_and_saveexec_b32 s23, s5
; %bb.902:                              ;   in Loop: Header=BB353_15 Depth=1
	v_ffbh_u32_e32 v1, v13
	v_min_u32_e32 v1, 32, v1
	v_subrev_nc_u32_e32 v29, 28, v1
	v_sub_nc_u32_e32 v1, 29, v1
	v_lshlrev_b64 v[29:30], v29, v[13:14]
	v_and_b32_e32 v29, 7, v29
; %bb.903:                              ;   in Loop: Header=BB353_15 Depth=1
	s_or_b32 exec_lo, exec_lo, s23
	v_mov_b32_e32 v13, 24
	v_lshlrev_b32_e32 v29, 20, v29
	v_lshl_add_u32 v1, v1, 23, 0x3c000000
	v_lshlrev_b32_sdwa v13, v13, v28 dst_sel:DWORD dst_unused:UNUSED_PAD src0_sel:DWORD src1_sel:WORD_1
	v_and_b32_e32 v13, 0x80000000, v13
	v_or3_b32 v46, v29, v13, v1
.LBB353_904:                            ;   in Loop: Header=BB353_15 Depth=1
	s_or_b32 exec_lo, exec_lo, s22
.LBB353_905:                            ;   in Loop: Header=BB353_15 Depth=1
	s_or_b32 exec_lo, exec_lo, s21
.LBB353_906:                            ;   in Loop: Header=BB353_15 Depth=1
	s_or_b32 exec_lo, exec_lo, s20
	s_mov_b32 s20, exec_lo
	v_cmpx_lt_u64_e64 s[12:13], v[27:28]
	s_cbranch_execz .LBB353_914
; %bb.907:                              ;   in Loop: Header=BB353_15 Depth=1
	v_cmp_ne_u32_sdwa s5, v28, v114 src0_sel:BYTE_3 src1_sel:DWORD
	v_bfrev_b32_e32 v45, 1
	s_and_saveexec_b32 s21, s5
	s_cbranch_execz .LBB353_913
; %bb.908:                              ;   in Loop: Header=BB353_15 Depth=1
	v_bfe_u32 v27, v28, 24, 7
	v_mov_b32_e32 v45, 0x7f800001
	s_mov_b32 s22, exec_lo
	v_cmpx_ne_u32_e32 0x7f, v27
	s_cbranch_execz .LBB353_912
; %bb.909:                              ;   in Loop: Header=BB353_15 Depth=1
	v_mov_b32_e32 v1, 7
	s_mov_b32 s23, exec_lo
	v_and_b32_sdwa v13, v28, v1 dst_sel:DWORD dst_unused:UNUSED_PAD src0_sel:BYTE_3 src1_sel:DWORD
	v_mov_b32_e32 v30, v14
	v_lshrrev_b32_e32 v1, 3, v27
	v_mov_b32_e32 v29, v13
	v_cmpx_gt_u32_e32 8, v27
; %bb.910:                              ;   in Loop: Header=BB353_15 Depth=1
	v_ffbh_u32_e32 v1, v13
	v_min_u32_e32 v1, 32, v1
	v_subrev_nc_u32_e32 v27, 28, v1
	v_sub_nc_u32_e32 v1, 29, v1
	v_lshlrev_b64 v[29:30], v27, v[13:14]
	v_and_b32_e32 v29, 7, v29
; %bb.911:                              ;   in Loop: Header=BB353_15 Depth=1
	s_or_b32 exec_lo, exec_lo, s23
	v_mov_b32_e32 v13, 24
	v_lshlrev_b32_e32 v27, 20, v29
	v_lshl_add_u32 v1, v1, 23, 0x3c000000
	v_lshlrev_b32_sdwa v13, v13, v28 dst_sel:DWORD dst_unused:UNUSED_PAD src0_sel:DWORD src1_sel:BYTE_3
	v_and_b32_e32 v13, 0x80000000, v13
	v_or3_b32 v45, v27, v13, v1
.LBB353_912:                            ;   in Loop: Header=BB353_15 Depth=1
	s_or_b32 exec_lo, exec_lo, s22
.LBB353_913:                            ;   in Loop: Header=BB353_15 Depth=1
	s_or_b32 exec_lo, exec_lo, s21
.LBB353_914:                            ;   in Loop: Header=BB353_15 Depth=1
	s_or_b32 exec_lo, exec_lo, s20
	flat_load_dwordx2 v[27:28], v[24:25] offset:1536
	v_mov_b32_e32 v57, 0
	v_mov_b32_e32 v58, 0
	s_waitcnt vmcnt(0) lgkmcnt(0)
	v_cmp_ne_u16_sdwa s5, v27, v14 src0_sel:BYTE_0 src1_sel:DWORD
	s_and_saveexec_b32 s20, s5
	s_cbranch_execz .LBB353_922
; %bb.915:                              ;   in Loop: Header=BB353_15 Depth=1
	v_cmp_ne_u16_sdwa s5, v27, v114 src0_sel:BYTE_0 src1_sel:DWORD
	v_bfrev_b32_e32 v58, 1
	s_and_saveexec_b32 s21, s5
	s_cbranch_execz .LBB353_921
; %bb.916:                              ;   in Loop: Header=BB353_15 Depth=1
	v_and_b32_e32 v13, 0x7f, v27
	v_mov_b32_e32 v58, 0x7f800001
	s_mov_b32 s22, exec_lo
	v_cmpx_ne_u32_e32 0x7f, v13
	s_cbranch_execz .LBB353_920
; %bb.917:                              ;   in Loop: Header=BB353_15 Depth=1
	v_mov_b32_e32 v30, v28
	v_lshrrev_b32_e32 v1, 3, v13
	v_mov_b32_e32 v29, v27
	s_mov_b32 s23, exec_lo
	v_cmpx_gt_u32_e32 8, v13
; %bb.918:                              ;   in Loop: Header=BB353_15 Depth=1
	v_and_b32_e32 v1, 7, v27
	v_ffbh_u32_e32 v1, v1
	v_min_u32_e32 v1, 32, v1
	v_subrev_nc_u32_e32 v13, 28, v1
	v_sub_nc_u32_e32 v1, 29, v1
	v_lshlrev_b64 v[29:30], v13, v[27:28]
; %bb.919:                              ;   in Loop: Header=BB353_15 Depth=1
	s_or_b32 exec_lo, exec_lo, s23
	v_lshlrev_b32_e32 v13, 20, v29
	v_lshlrev_b32_e32 v29, 24, v27
	v_lshl_add_u32 v1, v1, 23, 0x3c000000
	v_and_b32_e32 v13, 0x700000, v13
	v_and_b32_e32 v29, 0x80000000, v29
	v_or3_b32 v58, v13, v29, v1
.LBB353_920:                            ;   in Loop: Header=BB353_15 Depth=1
	s_or_b32 exec_lo, exec_lo, s22
.LBB353_921:                            ;   in Loop: Header=BB353_15 Depth=1
	s_or_b32 exec_lo, exec_lo, s21
.LBB353_922:                            ;   in Loop: Header=BB353_15 Depth=1
	s_or_b32 exec_lo, exec_lo, s20
	v_cmp_ne_u16_sdwa s5, v27, v14 src0_sel:BYTE_1 src1_sel:DWORD
	s_and_saveexec_b32 s20, s5
	s_cbranch_execz .LBB353_930
; %bb.923:                              ;   in Loop: Header=BB353_15 Depth=1
	v_cmp_ne_u16_sdwa s5, v27, v114 src0_sel:BYTE_1 src1_sel:DWORD
	v_bfrev_b32_e32 v57, 1
	s_and_saveexec_b32 s21, s5
	s_cbranch_execz .LBB353_929
; %bb.924:                              ;   in Loop: Header=BB353_15 Depth=1
	v_mov_b32_e32 v1, 0xffff
	v_mov_b32_e32 v57, 0x7f800001
	s_mov_b32 s22, exec_lo
	v_and_b32_sdwa v1, v1, v27 dst_sel:DWORD dst_unused:UNUSED_PAD src0_sel:DWORD src1_sel:BYTE_1
	v_and_b32_e32 v29, 0x7f, v1
	v_cmpx_ne_u32_e32 0x7f, v29
	s_cbranch_execz .LBB353_928
; %bb.925:                              ;   in Loop: Header=BB353_15 Depth=1
	v_and_b32_e32 v13, 7, v1
	v_lshrrev_b32_e32 v1, 3, v29
	v_cmp_gt_u32_e64 s5, 8, v29
	v_mov_b32_e32 v30, v14
	v_mov_b32_e32 v29, v13
	s_and_saveexec_b32 s23, s5
; %bb.926:                              ;   in Loop: Header=BB353_15 Depth=1
	v_ffbh_u32_e32 v1, v13
	v_min_u32_e32 v1, 32, v1
	v_subrev_nc_u32_e32 v29, 28, v1
	v_sub_nc_u32_e32 v1, 29, v1
	v_lshlrev_b64 v[29:30], v29, v[13:14]
	v_and_b32_e32 v29, 7, v29
; %bb.927:                              ;   in Loop: Header=BB353_15 Depth=1
	s_or_b32 exec_lo, exec_lo, s23
	v_lshlrev_b32_e32 v13, 16, v27
	v_lshlrev_b32_e32 v29, 20, v29
	v_lshl_add_u32 v1, v1, 23, 0x3c000000
	v_and_b32_e32 v13, 0x80000000, v13
	v_or3_b32 v57, v29, v13, v1
.LBB353_928:                            ;   in Loop: Header=BB353_15 Depth=1
	s_or_b32 exec_lo, exec_lo, s22
.LBB353_929:                            ;   in Loop: Header=BB353_15 Depth=1
	s_or_b32 exec_lo, exec_lo, s21
.LBB353_930:                            ;   in Loop: Header=BB353_15 Depth=1
	s_or_b32 exec_lo, exec_lo, s20
	v_and_b32_sdwa v1, v27, v37 dst_sel:DWORD dst_unused:UNUSED_PAD src0_sel:WORD_1 src1_sel:DWORD
	v_mov_b32_e32 v60, 0
	v_mov_b32_e32 v59, 0
	s_mov_b32 s20, exec_lo
	v_cmpx_ne_u16_e32 0, v1
	s_cbranch_execz .LBB353_938
; %bb.931:                              ;   in Loop: Header=BB353_15 Depth=1
	v_bfrev_b32_e32 v59, 1
	s_mov_b32 s21, exec_lo
	v_cmpx_ne_u16_e32 0x80, v1
	s_cbranch_execz .LBB353_937
; %bb.932:                              ;   in Loop: Header=BB353_15 Depth=1
	v_bfe_u32 v29, v27, 16, 7
	v_mov_b32_e32 v59, 0x7f800001
	s_mov_b32 s22, exec_lo
	v_cmpx_ne_u32_e32 0x7f, v29
	s_cbranch_execz .LBB353_936
; %bb.933:                              ;   in Loop: Header=BB353_15 Depth=1
	v_mov_b32_e32 v1, 7
	v_cmp_gt_u32_e64 s5, 8, v29
	v_and_b32_sdwa v13, v27, v1 dst_sel:DWORD dst_unused:UNUSED_PAD src0_sel:WORD_1 src1_sel:DWORD
	v_lshrrev_b32_e32 v1, 3, v29
	v_mov_b32_e32 v30, v14
	v_mov_b32_e32 v29, v13
	s_and_saveexec_b32 s23, s5
; %bb.934:                              ;   in Loop: Header=BB353_15 Depth=1
	v_ffbh_u32_e32 v1, v13
	v_min_u32_e32 v1, 32, v1
	v_subrev_nc_u32_e32 v29, 28, v1
	v_sub_nc_u32_e32 v1, 29, v1
	v_lshlrev_b64 v[29:30], v29, v[13:14]
	v_and_b32_e32 v29, 7, v29
; %bb.935:                              ;   in Loop: Header=BB353_15 Depth=1
	s_or_b32 exec_lo, exec_lo, s23
	v_mov_b32_e32 v13, 24
	v_lshlrev_b32_e32 v29, 20, v29
	v_lshl_add_u32 v1, v1, 23, 0x3c000000
	v_lshlrev_b32_sdwa v13, v13, v27 dst_sel:DWORD dst_unused:UNUSED_PAD src0_sel:DWORD src1_sel:WORD_1
	v_and_b32_e32 v13, 0x80000000, v13
	v_or3_b32 v59, v29, v13, v1
.LBB353_936:                            ;   in Loop: Header=BB353_15 Depth=1
	s_or_b32 exec_lo, exec_lo, s22
.LBB353_937:                            ;   in Loop: Header=BB353_15 Depth=1
	s_or_b32 exec_lo, exec_lo, s21
.LBB353_938:                            ;   in Loop: Header=BB353_15 Depth=1
	s_or_b32 exec_lo, exec_lo, s20
	s_mov_b32 s20, exec_lo
	v_cmpx_lt_u32_e32 0xffffff, v27
	s_cbranch_execz .LBB353_946
; %bb.939:                              ;   in Loop: Header=BB353_15 Depth=1
	v_cmp_ne_u32_sdwa s5, v27, v114 src0_sel:BYTE_3 src1_sel:DWORD
	v_bfrev_b32_e32 v60, 1
	s_and_saveexec_b32 s21, s5
	s_cbranch_execz .LBB353_945
; %bb.940:                              ;   in Loop: Header=BB353_15 Depth=1
	v_bfe_u32 v29, v27, 24, 7
	v_mov_b32_e32 v60, 0x7f800001
	s_mov_b32 s22, exec_lo
	v_cmpx_ne_u32_e32 0x7f, v29
	s_cbranch_execz .LBB353_944
; %bb.941:                              ;   in Loop: Header=BB353_15 Depth=1
	v_mov_b32_e32 v1, 7
	v_cmp_gt_u32_e64 s5, 8, v29
	v_and_b32_sdwa v13, v27, v1 dst_sel:DWORD dst_unused:UNUSED_PAD src0_sel:BYTE_3 src1_sel:DWORD
	v_lshrrev_b32_e32 v1, 3, v29
	v_mov_b32_e32 v30, v14
	v_mov_b32_e32 v29, v13
	s_and_saveexec_b32 s23, s5
; %bb.942:                              ;   in Loop: Header=BB353_15 Depth=1
	v_ffbh_u32_e32 v1, v13
	v_min_u32_e32 v1, 32, v1
	v_subrev_nc_u32_e32 v29, 28, v1
	v_sub_nc_u32_e32 v1, 29, v1
	v_lshlrev_b64 v[29:30], v29, v[13:14]
	v_and_b32_e32 v29, 7, v29
; %bb.943:                              ;   in Loop: Header=BB353_15 Depth=1
	s_or_b32 exec_lo, exec_lo, s23
	v_mov_b32_e32 v13, 24
	v_lshlrev_b32_e32 v29, 20, v29
	v_lshl_add_u32 v1, v1, 23, 0x3c000000
	v_lshlrev_b32_sdwa v13, v13, v27 dst_sel:DWORD dst_unused:UNUSED_PAD src0_sel:DWORD src1_sel:BYTE_3
	v_and_b32_e32 v13, 0x80000000, v13
	v_or3_b32 v60, v29, v13, v1
.LBB353_944:                            ;   in Loop: Header=BB353_15 Depth=1
	s_or_b32 exec_lo, exec_lo, s22
.LBB353_945:                            ;   in Loop: Header=BB353_15 Depth=1
	s_or_b32 exec_lo, exec_lo, s21
.LBB353_946:                            ;   in Loop: Header=BB353_15 Depth=1
	s_or_b32 exec_lo, exec_lo, s20
	v_mov_b32_e32 v13, v28
	v_cmp_ne_u16_sdwa s5, v28, v14 src0_sel:BYTE_0 src1_sel:DWORD
	v_mov_b32_e32 v73, 0
	v_mov_b32_e32 v72, 0
	s_and_saveexec_b32 s20, s5
	s_cbranch_execz .LBB353_954
; %bb.947:                              ;   in Loop: Header=BB353_15 Depth=1
	v_cmp_ne_u16_sdwa s5, v28, v114 src0_sel:BYTE_0 src1_sel:DWORD
	v_bfrev_b32_e32 v72, 1
	s_and_saveexec_b32 s21, s5
	s_cbranch_execz .LBB353_953
; %bb.948:                              ;   in Loop: Header=BB353_15 Depth=1
	v_and_b32_e32 v29, 0x7f, v28
	v_mov_b32_e32 v72, 0x7f800001
	s_mov_b32 s22, exec_lo
	v_cmpx_ne_u32_e32 0x7f, v29
	s_cbranch_execz .LBB353_952
; %bb.949:                              ;   in Loop: Header=BB353_15 Depth=1
	v_lshrrev_b32_e32 v1, 3, v29
	v_cmp_gt_u32_e64 s5, 8, v29
	v_mov_b32_e32 v30, v14
	v_mov_b32_e32 v29, v13
	s_and_saveexec_b32 s23, s5
; %bb.950:                              ;   in Loop: Header=BB353_15 Depth=1
	v_and_b32_e32 v1, 7, v28
	v_ffbh_u32_e32 v1, v1
	v_min_u32_e32 v1, 32, v1
	v_subrev_nc_u32_e32 v29, 28, v1
	v_sub_nc_u32_e32 v1, 29, v1
	v_lshlrev_b64 v[29:30], v29, v[13:14]
; %bb.951:                              ;   in Loop: Header=BB353_15 Depth=1
	s_or_b32 exec_lo, exec_lo, s23
	v_lshlrev_b32_e32 v29, 20, v29
	v_lshlrev_b32_e32 v30, 24, v13
	v_lshl_add_u32 v1, v1, 23, 0x3c000000
	v_and_b32_e32 v29, 0x700000, v29
	v_and_b32_e32 v30, 0x80000000, v30
	v_or3_b32 v72, v29, v30, v1
.LBB353_952:                            ;   in Loop: Header=BB353_15 Depth=1
	s_or_b32 exec_lo, exec_lo, s22
.LBB353_953:                            ;   in Loop: Header=BB353_15 Depth=1
	s_or_b32 exec_lo, exec_lo, s21
.LBB353_954:                            ;   in Loop: Header=BB353_15 Depth=1
	s_or_b32 exec_lo, exec_lo, s20
	v_cmp_ne_u16_sdwa s5, v13, v14 src0_sel:BYTE_1 src1_sel:DWORD
	s_and_saveexec_b32 s20, s5
	s_cbranch_execz .LBB353_962
; %bb.955:                              ;   in Loop: Header=BB353_15 Depth=1
	v_cmp_ne_u16_sdwa s5, v13, v114 src0_sel:BYTE_1 src1_sel:DWORD
	v_bfrev_b32_e32 v73, 1
	s_and_saveexec_b32 s21, s5
	s_cbranch_execz .LBB353_961
; %bb.956:                              ;   in Loop: Header=BB353_15 Depth=1
	v_mov_b32_e32 v1, 0xffff
	v_mov_b32_e32 v73, 0x7f800001
	s_mov_b32 s22, exec_lo
	v_and_b32_sdwa v1, v1, v13 dst_sel:DWORD dst_unused:UNUSED_PAD src0_sel:DWORD src1_sel:BYTE_1
	v_and_b32_e32 v34, 0x7f, v1
	v_cmpx_ne_u32_e32 0x7f, v34
	s_cbranch_execz .LBB353_960
; %bb.957:                              ;   in Loop: Header=BB353_15 Depth=1
	v_and_b32_e32 v29, 7, v1
	v_mov_b32_e32 v30, v14
	v_lshrrev_b32_e32 v1, 3, v34
	s_mov_b32 s23, exec_lo
	v_cmpx_gt_u32_e32 8, v34
; %bb.958:                              ;   in Loop: Header=BB353_15 Depth=1
	v_ffbh_u32_e32 v1, v29
	v_min_u32_e32 v1, 32, v1
	v_subrev_nc_u32_e32 v34, 28, v1
	v_sub_nc_u32_e32 v1, 29, v1
	v_lshlrev_b64 v[29:30], v34, v[29:30]
	v_and_b32_e32 v29, 7, v29
; %bb.959:                              ;   in Loop: Header=BB353_15 Depth=1
	s_or_b32 exec_lo, exec_lo, s23
	v_lshlrev_b32_e32 v13, 16, v13
	v_lshlrev_b32_e32 v29, 20, v29
	v_lshl_add_u32 v1, v1, 23, 0x3c000000
	v_and_b32_e32 v13, 0x80000000, v13
	v_or3_b32 v73, v29, v13, v1
.LBB353_960:                            ;   in Loop: Header=BB353_15 Depth=1
	s_or_b32 exec_lo, exec_lo, s22
.LBB353_961:                            ;   in Loop: Header=BB353_15 Depth=1
	s_or_b32 exec_lo, exec_lo, s21
.LBB353_962:                            ;   in Loop: Header=BB353_15 Depth=1
	s_or_b32 exec_lo, exec_lo, s20
	v_and_b32_sdwa v1, v28, v37 dst_sel:DWORD dst_unused:UNUSED_PAD src0_sel:WORD_1 src1_sel:DWORD
	v_mov_b32_e32 v74, 0
	v_mov_b32_e32 v75, 0
	s_mov_b32 s20, exec_lo
	v_cmpx_ne_u16_e32 0, v1
	s_cbranch_execz .LBB353_970
; %bb.963:                              ;   in Loop: Header=BB353_15 Depth=1
	v_bfrev_b32_e32 v75, 1
	s_mov_b32 s21, exec_lo
	v_cmpx_ne_u16_e32 0x80, v1
	s_cbranch_execz .LBB353_969
; %bb.964:                              ;   in Loop: Header=BB353_15 Depth=1
	v_bfe_u32 v29, v28, 16, 7
	v_mov_b32_e32 v75, 0x7f800001
	s_mov_b32 s22, exec_lo
	v_cmpx_ne_u32_e32 0x7f, v29
	s_cbranch_execz .LBB353_968
; %bb.965:                              ;   in Loop: Header=BB353_15 Depth=1
	v_mov_b32_e32 v1, 7
	v_cmp_gt_u32_e64 s5, 8, v29
	v_and_b32_sdwa v13, v28, v1 dst_sel:DWORD dst_unused:UNUSED_PAD src0_sel:WORD_1 src1_sel:DWORD
	v_lshrrev_b32_e32 v1, 3, v29
	v_mov_b32_e32 v30, v14
	v_mov_b32_e32 v29, v13
	s_and_saveexec_b32 s23, s5
; %bb.966:                              ;   in Loop: Header=BB353_15 Depth=1
	v_ffbh_u32_e32 v1, v13
	v_min_u32_e32 v1, 32, v1
	v_subrev_nc_u32_e32 v29, 28, v1
	v_sub_nc_u32_e32 v1, 29, v1
	v_lshlrev_b64 v[29:30], v29, v[13:14]
	v_and_b32_e32 v29, 7, v29
; %bb.967:                              ;   in Loop: Header=BB353_15 Depth=1
	s_or_b32 exec_lo, exec_lo, s23
	v_mov_b32_e32 v13, 24
	v_lshlrev_b32_e32 v29, 20, v29
	v_lshl_add_u32 v1, v1, 23, 0x3c000000
	v_lshlrev_b32_sdwa v13, v13, v28 dst_sel:DWORD dst_unused:UNUSED_PAD src0_sel:DWORD src1_sel:WORD_1
	v_and_b32_e32 v13, 0x80000000, v13
	v_or3_b32 v75, v29, v13, v1
.LBB353_968:                            ;   in Loop: Header=BB353_15 Depth=1
	s_or_b32 exec_lo, exec_lo, s22
.LBB353_969:                            ;   in Loop: Header=BB353_15 Depth=1
	s_or_b32 exec_lo, exec_lo, s21
.LBB353_970:                            ;   in Loop: Header=BB353_15 Depth=1
	s_or_b32 exec_lo, exec_lo, s20
	s_mov_b32 s20, exec_lo
	v_cmpx_lt_u64_e64 s[12:13], v[27:28]
	s_cbranch_execz .LBB353_978
; %bb.971:                              ;   in Loop: Header=BB353_15 Depth=1
	v_cmp_ne_u32_sdwa s5, v28, v114 src0_sel:BYTE_3 src1_sel:DWORD
	v_bfrev_b32_e32 v74, 1
	s_and_saveexec_b32 s21, s5
	s_cbranch_execz .LBB353_977
; %bb.972:                              ;   in Loop: Header=BB353_15 Depth=1
	v_bfe_u32 v27, v28, 24, 7
	v_mov_b32_e32 v74, 0x7f800001
	s_mov_b32 s22, exec_lo
	v_cmpx_ne_u32_e32 0x7f, v27
	s_cbranch_execz .LBB353_976
; %bb.973:                              ;   in Loop: Header=BB353_15 Depth=1
	v_mov_b32_e32 v1, 7
	s_mov_b32 s23, exec_lo
	v_and_b32_sdwa v13, v28, v1 dst_sel:DWORD dst_unused:UNUSED_PAD src0_sel:BYTE_3 src1_sel:DWORD
	v_mov_b32_e32 v30, v14
	v_lshrrev_b32_e32 v1, 3, v27
	v_mov_b32_e32 v29, v13
	v_cmpx_gt_u32_e32 8, v27
; %bb.974:                              ;   in Loop: Header=BB353_15 Depth=1
	v_ffbh_u32_e32 v1, v13
	v_min_u32_e32 v1, 32, v1
	v_subrev_nc_u32_e32 v27, 28, v1
	v_sub_nc_u32_e32 v1, 29, v1
	v_lshlrev_b64 v[29:30], v27, v[13:14]
	v_and_b32_e32 v29, 7, v29
; %bb.975:                              ;   in Loop: Header=BB353_15 Depth=1
	s_or_b32 exec_lo, exec_lo, s23
	v_mov_b32_e32 v13, 24
	v_lshlrev_b32_e32 v27, 20, v29
	v_lshl_add_u32 v1, v1, 23, 0x3c000000
	v_lshlrev_b32_sdwa v13, v13, v28 dst_sel:DWORD dst_unused:UNUSED_PAD src0_sel:DWORD src1_sel:BYTE_3
	v_and_b32_e32 v13, 0x80000000, v13
	v_or3_b32 v74, v27, v13, v1
.LBB353_976:                            ;   in Loop: Header=BB353_15 Depth=1
	s_or_b32 exec_lo, exec_lo, s22
.LBB353_977:                            ;   in Loop: Header=BB353_15 Depth=1
	s_or_b32 exec_lo, exec_lo, s21
.LBB353_978:                            ;   in Loop: Header=BB353_15 Depth=1
	s_or_b32 exec_lo, exec_lo, s20
	flat_load_dwordx2 v[24:25], v[24:25] offset:1544
	v_mov_b32_e32 v30, 0
	v_mov_b32_e32 v87, 0
	s_waitcnt vmcnt(0) lgkmcnt(0)
	v_cmp_ne_u16_sdwa s5, v24, v14 src0_sel:BYTE_0 src1_sel:DWORD
	s_and_saveexec_b32 s20, s5
	s_cbranch_execz .LBB353_986
; %bb.979:                              ;   in Loop: Header=BB353_15 Depth=1
	v_cmp_ne_u16_sdwa s5, v24, v114 src0_sel:BYTE_0 src1_sel:DWORD
	v_bfrev_b32_e32 v87, 1
	s_and_saveexec_b32 s21, s5
	s_cbranch_execz .LBB353_985
; %bb.980:                              ;   in Loop: Header=BB353_15 Depth=1
	v_and_b32_e32 v13, 0x7f, v24
	v_mov_b32_e32 v87, 0x7f800001
	s_mov_b32 s22, exec_lo
	v_cmpx_ne_u32_e32 0x7f, v13
	s_cbranch_execz .LBB353_984
; %bb.981:                              ;   in Loop: Header=BB353_15 Depth=1
	v_mov_b32_e32 v28, v25
	v_lshrrev_b32_e32 v1, 3, v13
	v_mov_b32_e32 v27, v24
	s_mov_b32 s23, exec_lo
	v_cmpx_gt_u32_e32 8, v13
; %bb.982:                              ;   in Loop: Header=BB353_15 Depth=1
	v_and_b32_e32 v1, 7, v24
	v_ffbh_u32_e32 v1, v1
	v_min_u32_e32 v1, 32, v1
	v_subrev_nc_u32_e32 v13, 28, v1
	v_sub_nc_u32_e32 v1, 29, v1
	v_lshlrev_b64 v[27:28], v13, v[24:25]
; %bb.983:                              ;   in Loop: Header=BB353_15 Depth=1
	s_or_b32 exec_lo, exec_lo, s23
	v_lshlrev_b32_e32 v13, 20, v27
	v_lshlrev_b32_e32 v27, 24, v24
	v_lshl_add_u32 v1, v1, 23, 0x3c000000
	v_and_b32_e32 v13, 0x700000, v13
	v_and_b32_e32 v27, 0x80000000, v27
	v_or3_b32 v87, v13, v27, v1
.LBB353_984:                            ;   in Loop: Header=BB353_15 Depth=1
	s_or_b32 exec_lo, exec_lo, s22
.LBB353_985:                            ;   in Loop: Header=BB353_15 Depth=1
	s_or_b32 exec_lo, exec_lo, s21
.LBB353_986:                            ;   in Loop: Header=BB353_15 Depth=1
	s_or_b32 exec_lo, exec_lo, s20
	v_cmp_ne_u16_sdwa s5, v24, v14 src0_sel:BYTE_1 src1_sel:DWORD
	s_and_saveexec_b32 s20, s5
	s_cbranch_execz .LBB353_994
; %bb.987:                              ;   in Loop: Header=BB353_15 Depth=1
	v_cmp_ne_u16_sdwa s5, v24, v114 src0_sel:BYTE_1 src1_sel:DWORD
	v_bfrev_b32_e32 v30, 1
	s_and_saveexec_b32 s21, s5
	s_cbranch_execz .LBB353_993
; %bb.988:                              ;   in Loop: Header=BB353_15 Depth=1
	v_mov_b32_e32 v1, 0xffff
	v_mov_b32_e32 v30, 0x7f800001
	s_mov_b32 s22, exec_lo
	v_and_b32_sdwa v1, v1, v24 dst_sel:DWORD dst_unused:UNUSED_PAD src0_sel:DWORD src1_sel:BYTE_1
	v_and_b32_e32 v34, 0x7f, v1
	v_cmpx_ne_u32_e32 0x7f, v34
	s_cbranch_execz .LBB353_992
; %bb.989:                              ;   in Loop: Header=BB353_15 Depth=1
	v_and_b32_e32 v13, 7, v1
	v_mov_b32_e32 v28, v14
	v_lshrrev_b32_e32 v1, 3, v34
	s_mov_b32 s23, exec_lo
	v_mov_b32_e32 v27, v13
	v_cmpx_gt_u32_e32 8, v34
; %bb.990:                              ;   in Loop: Header=BB353_15 Depth=1
	v_ffbh_u32_e32 v1, v13
	v_min_u32_e32 v1, 32, v1
	v_subrev_nc_u32_e32 v27, 28, v1
	v_sub_nc_u32_e32 v1, 29, v1
	v_lshlrev_b64 v[27:28], v27, v[13:14]
	v_and_b32_e32 v27, 7, v27
; %bb.991:                              ;   in Loop: Header=BB353_15 Depth=1
	s_or_b32 exec_lo, exec_lo, s23
	v_lshlrev_b32_e32 v13, 16, v24
	v_lshlrev_b32_e32 v27, 20, v27
	v_lshl_add_u32 v1, v1, 23, 0x3c000000
	v_and_b32_e32 v13, 0x80000000, v13
	v_or3_b32 v30, v27, v13, v1
.LBB353_992:                            ;   in Loop: Header=BB353_15 Depth=1
	s_or_b32 exec_lo, exec_lo, s22
.LBB353_993:                            ;   in Loop: Header=BB353_15 Depth=1
	s_or_b32 exec_lo, exec_lo, s21
.LBB353_994:                            ;   in Loop: Header=BB353_15 Depth=1
	s_or_b32 exec_lo, exec_lo, s20
	v_and_b32_sdwa v1, v24, v37 dst_sel:DWORD dst_unused:UNUSED_PAD src0_sel:WORD_1 src1_sel:DWORD
	v_mov_b32_e32 v56, 0
	v_mov_b32_e32 v47, 0
	s_mov_b32 s20, exec_lo
	v_cmpx_ne_u16_e32 0, v1
	s_cbranch_execz .LBB353_1002
; %bb.995:                              ;   in Loop: Header=BB353_15 Depth=1
	v_bfrev_b32_e32 v47, 1
	s_mov_b32 s21, exec_lo
	v_cmpx_ne_u16_e32 0x80, v1
	s_cbranch_execz .LBB353_1001
; %bb.996:                              ;   in Loop: Header=BB353_15 Depth=1
	v_bfe_u32 v34, v24, 16, 7
	v_mov_b32_e32 v47, 0x7f800001
	s_mov_b32 s22, exec_lo
	v_cmpx_ne_u32_e32 0x7f, v34
	s_cbranch_execz .LBB353_1000
; %bb.997:                              ;   in Loop: Header=BB353_15 Depth=1
	v_mov_b32_e32 v1, 7
	s_mov_b32 s23, exec_lo
	v_and_b32_sdwa v13, v24, v1 dst_sel:DWORD dst_unused:UNUSED_PAD src0_sel:WORD_1 src1_sel:DWORD
	v_mov_b32_e32 v28, v14
	v_lshrrev_b32_e32 v1, 3, v34
	v_mov_b32_e32 v27, v13
	v_cmpx_gt_u32_e32 8, v34
; %bb.998:                              ;   in Loop: Header=BB353_15 Depth=1
	v_ffbh_u32_e32 v1, v13
	v_min_u32_e32 v1, 32, v1
	v_subrev_nc_u32_e32 v27, 28, v1
	v_sub_nc_u32_e32 v1, 29, v1
	v_lshlrev_b64 v[27:28], v27, v[13:14]
	v_and_b32_e32 v27, 7, v27
; %bb.999:                              ;   in Loop: Header=BB353_15 Depth=1
	s_or_b32 exec_lo, exec_lo, s23
	v_mov_b32_e32 v13, 24
	v_lshlrev_b32_e32 v27, 20, v27
	v_lshl_add_u32 v1, v1, 23, 0x3c000000
	v_lshlrev_b32_sdwa v13, v13, v24 dst_sel:DWORD dst_unused:UNUSED_PAD src0_sel:DWORD src1_sel:WORD_1
	v_and_b32_e32 v13, 0x80000000, v13
	v_or3_b32 v47, v27, v13, v1
.LBB353_1000:                           ;   in Loop: Header=BB353_15 Depth=1
	s_or_b32 exec_lo, exec_lo, s22
.LBB353_1001:                           ;   in Loop: Header=BB353_15 Depth=1
	s_or_b32 exec_lo, exec_lo, s21
.LBB353_1002:                           ;   in Loop: Header=BB353_15 Depth=1
	s_or_b32 exec_lo, exec_lo, s20
	s_mov_b32 s20, exec_lo
	v_cmpx_lt_u32_e32 0xffffff, v24
	s_cbranch_execz .LBB353_1010
; %bb.1003:                             ;   in Loop: Header=BB353_15 Depth=1
	v_cmp_ne_u32_sdwa s5, v24, v114 src0_sel:BYTE_3 src1_sel:DWORD
	v_bfrev_b32_e32 v56, 1
	s_and_saveexec_b32 s21, s5
	s_cbranch_execz .LBB353_1009
; %bb.1004:                             ;   in Loop: Header=BB353_15 Depth=1
	v_bfe_u32 v34, v24, 24, 7
	v_mov_b32_e32 v56, 0x7f800001
	s_mov_b32 s22, exec_lo
	v_cmpx_ne_u32_e32 0x7f, v34
	s_cbranch_execz .LBB353_1008
; %bb.1005:                             ;   in Loop: Header=BB353_15 Depth=1
	v_mov_b32_e32 v1, 7
	s_mov_b32 s23, exec_lo
	v_and_b32_sdwa v13, v24, v1 dst_sel:DWORD dst_unused:UNUSED_PAD src0_sel:BYTE_3 src1_sel:DWORD
	v_mov_b32_e32 v28, v14
	v_lshrrev_b32_e32 v1, 3, v34
	v_mov_b32_e32 v27, v13
	v_cmpx_gt_u32_e32 8, v34
; %bb.1006:                             ;   in Loop: Header=BB353_15 Depth=1
	v_ffbh_u32_e32 v1, v13
	v_min_u32_e32 v1, 32, v1
	v_subrev_nc_u32_e32 v27, 28, v1
	v_sub_nc_u32_e32 v1, 29, v1
	v_lshlrev_b64 v[27:28], v27, v[13:14]
	v_and_b32_e32 v27, 7, v27
; %bb.1007:                             ;   in Loop: Header=BB353_15 Depth=1
	s_or_b32 exec_lo, exec_lo, s23
	v_mov_b32_e32 v13, 24
	v_lshlrev_b32_e32 v27, 20, v27
	v_lshl_add_u32 v1, v1, 23, 0x3c000000
	v_lshlrev_b32_sdwa v13, v13, v24 dst_sel:DWORD dst_unused:UNUSED_PAD src0_sel:DWORD src1_sel:BYTE_3
	v_and_b32_e32 v13, 0x80000000, v13
	v_or3_b32 v56, v27, v13, v1
.LBB353_1008:                           ;   in Loop: Header=BB353_15 Depth=1
	s_or_b32 exec_lo, exec_lo, s22
.LBB353_1009:                           ;   in Loop: Header=BB353_15 Depth=1
	s_or_b32 exec_lo, exec_lo, s21
.LBB353_1010:                           ;   in Loop: Header=BB353_15 Depth=1
	s_or_b32 exec_lo, exec_lo, s20
	v_mov_b32_e32 v13, v25
	v_cmp_ne_u16_sdwa s5, v25, v14 src0_sel:BYTE_0 src1_sel:DWORD
	v_mov_b32_e32 v61, 0
	v_mov_b32_e32 v99, 0
	s_and_saveexec_b32 s20, s5
	s_cbranch_execz .LBB353_1018
; %bb.1011:                             ;   in Loop: Header=BB353_15 Depth=1
	v_cmp_ne_u16_sdwa s5, v25, v114 src0_sel:BYTE_0 src1_sel:DWORD
	v_bfrev_b32_e32 v99, 1
	s_and_saveexec_b32 s21, s5
	s_cbranch_execz .LBB353_1017
; %bb.1012:                             ;   in Loop: Header=BB353_15 Depth=1
	v_and_b32_e32 v34, 0x7f, v25
	v_mov_b32_e32 v99, 0x7f800001
	s_mov_b32 s22, exec_lo
	v_cmpx_ne_u32_e32 0x7f, v34
	s_cbranch_execz .LBB353_1016
; %bb.1013:                             ;   in Loop: Header=BB353_15 Depth=1
	v_mov_b32_e32 v28, v14
	v_mov_b32_e32 v27, v13
	v_lshrrev_b32_e32 v1, 3, v34
	s_mov_b32 s23, exec_lo
	v_cmpx_gt_u32_e32 8, v34
; %bb.1014:                             ;   in Loop: Header=BB353_15 Depth=1
	v_and_b32_e32 v1, 7, v25
	v_ffbh_u32_e32 v1, v1
	v_min_u32_e32 v1, 32, v1
	v_subrev_nc_u32_e32 v27, 28, v1
	v_sub_nc_u32_e32 v1, 29, v1
	v_lshlrev_b64 v[27:28], v27, v[13:14]
; %bb.1015:                             ;   in Loop: Header=BB353_15 Depth=1
	s_or_b32 exec_lo, exec_lo, s23
	v_lshlrev_b32_e32 v27, 20, v27
	v_lshlrev_b32_e32 v28, 24, v13
	v_lshl_add_u32 v1, v1, 23, 0x3c000000
	v_and_b32_e32 v27, 0x700000, v27
	v_and_b32_e32 v28, 0x80000000, v28
	v_or3_b32 v99, v27, v28, v1
.LBB353_1016:                           ;   in Loop: Header=BB353_15 Depth=1
	s_or_b32 exec_lo, exec_lo, s22
.LBB353_1017:                           ;   in Loop: Header=BB353_15 Depth=1
	s_or_b32 exec_lo, exec_lo, s21
.LBB353_1018:                           ;   in Loop: Header=BB353_15 Depth=1
	s_or_b32 exec_lo, exec_lo, s20
	v_cmp_ne_u16_sdwa s5, v13, v14 src0_sel:BYTE_1 src1_sel:DWORD
	s_and_saveexec_b32 s20, s5
	s_cbranch_execz .LBB353_1026
; %bb.1019:                             ;   in Loop: Header=BB353_15 Depth=1
	v_cmp_ne_u16_sdwa s5, v13, v114 src0_sel:BYTE_1 src1_sel:DWORD
	v_bfrev_b32_e32 v61, 1
	s_and_saveexec_b32 s21, s5
	s_cbranch_execz .LBB353_1025
; %bb.1020:                             ;   in Loop: Header=BB353_15 Depth=1
	v_mov_b32_e32 v1, 0xffff
	v_mov_b32_e32 v61, 0x7f800001
	s_mov_b32 s22, exec_lo
	v_and_b32_sdwa v1, v1, v13 dst_sel:DWORD dst_unused:UNUSED_PAD src0_sel:DWORD src1_sel:BYTE_1
	v_and_b32_e32 v34, 0x7f, v1
	v_cmpx_ne_u32_e32 0x7f, v34
	s_cbranch_execz .LBB353_1024
; %bb.1021:                             ;   in Loop: Header=BB353_15 Depth=1
	v_and_b32_e32 v27, 7, v1
	v_mov_b32_e32 v28, v14
	v_lshrrev_b32_e32 v1, 3, v34
	s_mov_b32 s23, exec_lo
	v_cmpx_gt_u32_e32 8, v34
; %bb.1022:                             ;   in Loop: Header=BB353_15 Depth=1
	v_ffbh_u32_e32 v1, v27
	v_min_u32_e32 v1, 32, v1
	v_subrev_nc_u32_e32 v34, 28, v1
	v_sub_nc_u32_e32 v1, 29, v1
	v_lshlrev_b64 v[27:28], v34, v[27:28]
	v_and_b32_e32 v27, 7, v27
; %bb.1023:                             ;   in Loop: Header=BB353_15 Depth=1
	s_or_b32 exec_lo, exec_lo, s23
	v_lshlrev_b32_e32 v13, 16, v13
	v_lshlrev_b32_e32 v27, 20, v27
	v_lshl_add_u32 v1, v1, 23, 0x3c000000
	v_and_b32_e32 v13, 0x80000000, v13
	v_or3_b32 v61, v27, v13, v1
.LBB353_1024:                           ;   in Loop: Header=BB353_15 Depth=1
	s_or_b32 exec_lo, exec_lo, s22
.LBB353_1025:                           ;   in Loop: Header=BB353_15 Depth=1
	s_or_b32 exec_lo, exec_lo, s21
.LBB353_1026:                           ;   in Loop: Header=BB353_15 Depth=1
	s_or_b32 exec_lo, exec_lo, s20
	v_and_b32_sdwa v1, v25, v37 dst_sel:DWORD dst_unused:UNUSED_PAD src0_sel:WORD_1 src1_sel:DWORD
	v_mov_b32_e32 v62, 0
	v_mov_b32_e32 v63, 0
	s_mov_b32 s20, exec_lo
	v_cmpx_ne_u16_e32 0, v1
	s_cbranch_execz .LBB353_1034
; %bb.1027:                             ;   in Loop: Header=BB353_15 Depth=1
	v_bfrev_b32_e32 v63, 1
	s_mov_b32 s21, exec_lo
	v_cmpx_ne_u16_e32 0x80, v1
	s_cbranch_execz .LBB353_1033
; %bb.1028:                             ;   in Loop: Header=BB353_15 Depth=1
	v_bfe_u32 v34, v25, 16, 7
	v_mov_b32_e32 v63, 0x7f800001
	s_mov_b32 s22, exec_lo
	v_cmpx_ne_u32_e32 0x7f, v34
	s_cbranch_execz .LBB353_1032
; %bb.1029:                             ;   in Loop: Header=BB353_15 Depth=1
	v_mov_b32_e32 v1, 7
	s_mov_b32 s23, exec_lo
	v_and_b32_sdwa v13, v25, v1 dst_sel:DWORD dst_unused:UNUSED_PAD src0_sel:WORD_1 src1_sel:DWORD
	v_mov_b32_e32 v28, v14
	v_lshrrev_b32_e32 v1, 3, v34
	v_mov_b32_e32 v27, v13
	v_cmpx_gt_u32_e32 8, v34
; %bb.1030:                             ;   in Loop: Header=BB353_15 Depth=1
	v_ffbh_u32_e32 v1, v13
	v_min_u32_e32 v1, 32, v1
	v_subrev_nc_u32_e32 v27, 28, v1
	v_sub_nc_u32_e32 v1, 29, v1
	v_lshlrev_b64 v[27:28], v27, v[13:14]
	v_and_b32_e32 v27, 7, v27
; %bb.1031:                             ;   in Loop: Header=BB353_15 Depth=1
	s_or_b32 exec_lo, exec_lo, s23
	v_mov_b32_e32 v13, 24
	v_lshlrev_b32_e32 v27, 20, v27
	v_lshl_add_u32 v1, v1, 23, 0x3c000000
	v_lshlrev_b32_sdwa v13, v13, v25 dst_sel:DWORD dst_unused:UNUSED_PAD src0_sel:DWORD src1_sel:WORD_1
	v_and_b32_e32 v13, 0x80000000, v13
	v_or3_b32 v63, v27, v13, v1
.LBB353_1032:                           ;   in Loop: Header=BB353_15 Depth=1
	s_or_b32 exec_lo, exec_lo, s22
.LBB353_1033:                           ;   in Loop: Header=BB353_15 Depth=1
	s_or_b32 exec_lo, exec_lo, s21
.LBB353_1034:                           ;   in Loop: Header=BB353_15 Depth=1
	s_or_b32 exec_lo, exec_lo, s20
	v_mov_b32_e32 v96, v116
	s_mov_b32 s20, exec_lo
	v_cmpx_lt_u64_e64 s[12:13], v[24:25]
	s_cbranch_execz .LBB353_13
; %bb.1035:                             ;   in Loop: Header=BB353_15 Depth=1
	v_cmp_ne_u32_sdwa s5, v25, v114 src0_sel:BYTE_3 src1_sel:DWORD
	v_bfrev_b32_e32 v62, 1
	s_and_saveexec_b32 s21, s5
	s_cbranch_execz .LBB353_12
; %bb.1036:                             ;   in Loop: Header=BB353_15 Depth=1
	v_bfe_u32 v24, v25, 24, 7
	v_mov_b32_e32 v62, 0x7f800001
	s_mov_b32 s22, exec_lo
	v_cmpx_ne_u32_e32 0x7f, v24
	s_cbranch_execz .LBB353_11
; %bb.1037:                             ;   in Loop: Header=BB353_15 Depth=1
	v_mov_b32_e32 v1, 7
	s_mov_b32 s23, exec_lo
	v_and_b32_sdwa v13, v25, v1 dst_sel:DWORD dst_unused:UNUSED_PAD src0_sel:BYTE_3 src1_sel:DWORD
	v_mov_b32_e32 v28, v14
	v_lshrrev_b32_e32 v1, 3, v24
	v_mov_b32_e32 v27, v13
	v_cmpx_gt_u32_e32 8, v24
	s_cbranch_execz .LBB353_10
; %bb.1038:                             ;   in Loop: Header=BB353_15 Depth=1
	v_ffbh_u32_e32 v1, v13
	v_min_u32_e32 v1, 32, v1
	v_subrev_nc_u32_e32 v24, 28, v1
	v_sub_nc_u32_e32 v1, 29, v1
	v_lshlrev_b64 v[27:28], v24, v[13:14]
	v_and_b32_e32 v27, 7, v27
	s_branch .LBB353_10
.LBB353_1039:
	s_or_b32 exec_lo, exec_lo, s18
	s_clause 0xb
	buffer_load_dword v11, off, s[0:3], s32 offset:924
	buffer_load_dword v10, off, s[0:3], s32 offset:928
	buffer_load_dword v26, off, s[0:3], s32 offset:932
	buffer_load_dword v33, off, s[0:3], s32 offset:936
	buffer_load_dword v35, off, s[0:3], s32 offset:940
	buffer_load_dword v12, off, s[0:3], s32 offset:944
	buffer_load_dword v13, off, s[0:3], s32 offset:948
	buffer_load_dword v36, off, s[0:3], s32 offset:952
	buffer_load_dword v37, off, s[0:3], s32 offset:956
	buffer_load_dword v48, off, s[0:3], s32 offset:960
	buffer_load_dword v49, off, s[0:3], s32 offset:964
	buffer_load_dword v19, off, s[0:3], s32 offset:968
.LBB353_1040:
	s_or_b32 exec_lo, exec_lo, s17
	v_mbcnt_lo_u32_b32 v0, -1, 0
	v_max_f32_e32 v4, v9, v9
	s_waitcnt lgkmcnt(0)
	s_lshr_b32 s12, s7, 16
	v_xor_b32_e32 v1, 16, v0
	v_xor_b32_e32 v3, 8, v0
	v_cmp_gt_i32_e32 vcc_lo, 32, v1
	v_cndmask_b32_e32 v1, v0, v1, vcc_lo
	v_cmp_gt_i32_e32 vcc_lo, 32, v3
	v_lshlrev_b32_e32 v1, 2, v1
	v_cndmask_b32_e32 v3, v0, v3, vcc_lo
	ds_bpermute_b32 v2, v1, v9
	s_waitcnt lgkmcnt(0)
	v_max_f32_e32 v5, v2, v2
	v_lshlrev_b32_e32 v2, 2, v3
	v_max_f32_e32 v4, v4, v5
	v_xor_b32_e32 v5, 4, v0
	ds_bpermute_b32 v3, v2, v4
	v_cmp_gt_i32_e32 vcc_lo, 32, v5
	v_cndmask_b32_e32 v5, v0, v5, vcc_lo
	s_waitcnt lgkmcnt(0)
	v_max_f32_e32 v6, v3, v3
	v_lshlrev_b32_e32 v3, 2, v5
	v_max_f32_e32 v4, v4, v6
	v_xor_b32_e32 v6, 2, v0
	ds_bpermute_b32 v5, v3, v4
	v_cmp_gt_i32_e32 vcc_lo, 32, v6
	v_cndmask_b32_e32 v6, v0, v6, vcc_lo
	v_lshlrev_b32_e32 v15, 2, v6
	v_xor_b32_e32 v6, 1, v0
	v_cmp_gt_i32_e32 vcc_lo, 32, v6
	s_waitcnt lgkmcnt(0)
	v_max_f32_e32 v5, v5, v5
	v_cndmask_b32_e32 v6, v0, v6, vcc_lo
	v_max_f32_e32 v4, v4, v5
	v_lshlrev_b32_e32 v38, 2, v6
	ds_bpermute_b32 v5, v15, v4
	s_waitcnt lgkmcnt(0)
	v_max_f32_e32 v5, v5, v5
	v_max_f32_e32 v0, v4, v5
	buffer_load_dword v4, off, s[0:3], s32 offset:428 ; 4-byte Folded Reload
	ds_bpermute_b32 v5, v38, v0
	s_waitcnt vmcnt(0)
	v_cmp_eq_u32_e32 vcc_lo, 0, v4
	buffer_load_dword v4, off, s[0:3], s32 offset:908 ; 4-byte Folded Reload
	s_waitcnt vmcnt(0)
	v_lshlrev_b32_e32 v4, 2, v4
	s_and_saveexec_b32 s5, vcc_lo
	s_cbranch_execz .LBB353_1042
; %bb.1041:
	s_waitcnt lgkmcnt(0)
	v_max_f32_e32 v5, v5, v5
	v_max_f32_e32 v0, v0, v0
	;; [unrolled: 1-line block ×3, first 2 shown]
	ds_write_b32 v4, v0 offset:256
.LBB353_1042:
	s_or_b32 exec_lo, exec_lo, s5
	buffer_load_dword v0, off, s[0:3], s32 offset:428 ; 4-byte Folded Reload
	s_waitcnt vmcnt(0) lgkmcnt(0)
	s_waitcnt_vscnt null, 0x0
	s_barrier
	buffer_gl0_inv
	v_cmp_gt_u32_e64 s5, 4, v0
	v_mov_b32_e32 v0, 0xff7fffff
	s_and_saveexec_b32 s6, s5
; %bb.1043:
	ds_read_b32 v0, v19 offset:256
; %bb.1044:
	s_or_b32 exec_lo, exec_lo, s6
	s_waitcnt lgkmcnt(0)
	ds_bpermute_b32 v5, v15, v0
	v_max_f32_e32 v0, v0, v0
	buffer_load_dword v7, off, s[0:3], s32 offset:432 ; 4-byte Folded Reload
	s_waitcnt lgkmcnt(0)
	v_max_f32_e32 v5, v5, v5
	v_max_f32_e32 v0, v0, v5
	ds_bpermute_b32 v5, v38, v0
	s_waitcnt lgkmcnt(0)
	v_max_f32_e32 v5, v5, v5
	v_max_f32_e32 v0, v0, v5
	v_mov_b32_e32 v5, 0
	ds_bpermute_b32 v6, v5, v0
	buffer_load_dword v0, off, s[0:3], s32 offset:192 ; 4-byte Folded Reload
	s_waitcnt vmcnt(0)
	v_lshlrev_b32_e32 v0, 5, v0
	v_min_i32_e32 v0, v0, v32
	v_cmp_lt_i32_e64 s6, v7, v0
	s_and_saveexec_b32 s13, s6
	s_cbranch_execz .LBB353_1048
; %bb.1045:
	buffer_load_dword v8, off, s[0:3], s32 offset:432 ; 4-byte Folded Reload
	s_load_dword s7, s[8:9], 0x0
	v_mov_b32_e32 v5, 0
	s_mov_b32 s17, 0
	s_waitcnt vmcnt(0) lgkmcnt(0)
	v_lshl_add_u32 v7, v8, 2, s7
	.p2align	6
.LBB353_1046:                           ; =>This Inner Loop Header: Depth=1
	ds_read_b32 v9, v7
	v_add_nc_u32_e32 v8, 0x80, v8
	v_cmp_ge_i32_e64 s7, v8, v0
	s_or_b32 s17, s7, s17
	s_waitcnt lgkmcnt(0)
	v_sub_f32_e32 v9, v9, v6
	v_mul_f32_e32 v9, 0x3fb8aa3b, v9
	v_exp_f32_e32 v9, v9
	ds_write_b32 v7, v9
	v_add_f32_e32 v5, v5, v9
	v_add_nc_u32_e32 v7, 0x200, v7
	s_andn2_b32 exec_lo, exec_lo, s17
	s_cbranch_execnz .LBB353_1046
; %bb.1047:
	s_or_b32 exec_lo, exec_lo, s17
.LBB353_1048:
	s_or_b32 exec_lo, exec_lo, s13
	ds_bpermute_b32 v1, v1, v5
	s_waitcnt lgkmcnt(0)
	v_add_f32_e32 v1, v5, v1
	ds_bpermute_b32 v2, v2, v1
	s_waitcnt lgkmcnt(0)
	v_add_f32_e32 v1, v1, v2
	;; [unrolled: 3-line block ×5, first 2 shown]
	s_and_saveexec_b32 s7, vcc_lo
; %bb.1049:
	ds_write_b32 v4, v1 offset:272
; %bb.1050:
	s_or_b32 exec_lo, exec_lo, s7
	s_waitcnt lgkmcnt(0)
	s_barrier
	buffer_gl0_inv
	s_and_saveexec_b32 s7, s5
; %bb.1051:
	ds_read_b32 v1, v19 offset:272
; %bb.1052:
	s_or_b32 exec_lo, exec_lo, s7
	s_waitcnt lgkmcnt(0)
	ds_bpermute_b32 v2, v15, v1
	s_waitcnt lgkmcnt(0)
	v_add_f32_e32 v1, v1, v2
	ds_bpermute_b32 v2, v38, v1
	s_waitcnt lgkmcnt(0)
	v_add_f32_e32 v1, v1, v2
	v_mov_b32_e32 v2, 0
	ds_bpermute_b32 v1, v2, v1
	s_and_saveexec_b32 s5, s6
	s_cbranch_execz .LBB353_1055
; %bb.1053:
	s_waitcnt lgkmcnt(0)
	v_add_f32_e32 v2, 0x358637bd, v1
	s_load_dword s6, s[8:9], 0x0
	v_div_scale_f32 v1, null, v2, v2, 1.0
	v_div_scale_f32 v5, vcc_lo, 1.0, v2, 1.0
	v_rcp_f32_e32 v3, v1
	v_fma_f32 v4, -v1, v3, 1.0
	v_fmac_f32_e32 v3, v4, v3
	v_mul_f32_e32 v4, v5, v3
	v_fma_f32 v6, -v1, v4, v5
	v_fmac_f32_e32 v4, v6, v3
	v_fma_f32 v1, -v1, v4, v5
	v_div_fmas_f32 v3, v1, v3, v4
	buffer_load_dword v4, off, s[0:3], s32 offset:432 ; 4-byte Folded Reload
	v_div_fixup_f32 v2, v3, v2, 1.0
	s_waitcnt vmcnt(0) lgkmcnt(0)
	v_lshl_add_u32 v1, v4, 2, s6
	v_mov_b32_e32 v3, v4
	s_mov_b32 s6, 0
.LBB353_1054:                           ; =>This Inner Loop Header: Depth=1
	ds_read_b32 v4, v1
	v_add_nc_u32_e32 v3, 0x80, v3
	v_cmp_ge_i32_e32 vcc_lo, v3, v0
	s_or_b32 s6, vcc_lo, s6
	s_waitcnt lgkmcnt(0)
	v_mul_f32_e32 v4, v2, v4
	ds_write_b32 v1, v4
	v_add_nc_u32_e32 v1, 0x200, v1
	s_andn2_b32 exec_lo, exec_lo, s6
	s_cbranch_execnz .LBB353_1054
.LBB353_1055:
	s_or_b32 exec_lo, exec_lo, s5
	buffer_load_dword v0, off, s[0:3], s32 offset:432 ; 4-byte Folded Reload
	v_mov_b32_e32 v21, 0
	v_mov_b32_e32 v27, 0
	v_mov_b32_e32 v20, 0
	v_mov_b32_e32 v18, 0
	v_mov_b32_e32 v17, 0
	v_mov_b32_e32 v16, 0
	v_mov_b32_e32 v28, 0
	v_mov_b32_e32 v25, 0
	v_mov_b32_e32 v22, 0
	v_mov_b32_e32 v23, 0
	v_mov_b32_e32 v24, 0
	v_mov_b32_e32 v29, 0
	v_mov_b32_e32 v30, 0
	v_mov_b32_e32 v31, 0
	v_mov_b32_e32 v34, 0
	v_mov_b32_e32 v19, 0
	s_waitcnt vmcnt(0) lgkmcnt(0)
	s_barrier
	buffer_gl0_inv
	v_and_b32_e32 v39, 3, v0
	s_and_saveexec_b32 s5, s4
	s_cbranch_execz .LBB353_2117
; %bb.1056:
	buffer_store_dword v15, off, s[0:3], s32 offset:460 ; 4-byte Folded Spill
	buffer_store_dword v38, off, s[0:3], s32 offset:456 ; 4-byte Folded Spill
	s_clause 0x1
	buffer_load_dword v0, off, s[0:3], s32 offset:432
	buffer_load_dword v96, off, s[0:3], s32 offset:908
	v_mov_b32_e32 v7, 0
	v_mov_b32_e32 v6, 0
	v_lshlrev_b32_e32 v4, 5, v39
	v_and_b32_e32 v5, 0x7c, v36
	v_add_co_u32 v2, vcc_lo, v35, v37
	buffer_store_dword v7, off, s[0:3], s32 offset:380 ; 4-byte Folded Spill
	v_mov_b32_e32 v7, 0
	buffer_store_dword v6, off, s[0:3], s32 offset:360 ; 4-byte Folded Spill
	v_mov_b32_e32 v6, 0
	v_add_co_ci_u32_e64 v3, null, v33, v49, vcc_lo
	buffer_store_dword v7, off, s[0:3], s32 offset:384 ; 4-byte Folded Spill
	v_mov_b32_e32 v7, 0
	buffer_store_dword v6, off, s[0:3], s32 offset:364 ; 4-byte Folded Spill
	v_mov_b32_e32 v6, 0
	buffer_store_dword v39, off, s[0:3], s32 offset:464 ; 4-byte Folded Spill
	v_max_i32_e32 v71, v26, v48
	buffer_store_dword v7, off, s[0:3], s32 offset:388 ; 4-byte Folded Spill
	v_mov_b32_e32 v7, 0
	buffer_store_dword v6, off, s[0:3], s32 offset:368 ; 4-byte Folded Spill
	v_mov_b32_e32 v6, 0
	v_cvt_f32_u32_e32 v1, v71
	v_mov_b32_e32 v14, 0
	buffer_store_dword v7, off, s[0:3], s32 offset:392 ; 4-byte Folded Spill
	v_mov_b32_e32 v80, 0x80
	buffer_store_dword v6, off, s[0:3], s32 offset:372 ; 4-byte Folded Spill
	v_mov_b32_e32 v6, 0
	v_rcp_iflag_f32_e32 v1, v1
	v_mov_b32_e32 v82, 0xff
	v_mov_b32_e32 v19, 0
	s_mov_b32 s6, -1
	buffer_store_dword v6, off, s[0:3], s32 offset:376 ; 4-byte Folded Spill
	v_sub_nc_u32_e32 v6, 0, v71
	s_mov_b32 s7, 0xffffff
	s_mov_b32 s13, 0
	v_mul_f32_e32 v1, 0x4f7ffffe, v1
	v_cvt_u32_f32_e32 v1, v1
	v_mul_lo_u32 v6, v6, v1
	v_mul_hi_u32 v6, v1, v6
	s_waitcnt vmcnt(1)
	v_lshlrev_b32_e32 v0, 3, v0
	s_waitcnt vmcnt(0)
	v_lshl_or_b32 v86, v96, 7, v4
	v_add_co_u32 v4, vcc_lo, v5, v12
	v_add_co_ci_u32_e64 v5, null, 0, v13, vcc_lo
	v_and_b32_e32 v7, 24, v0
	v_and_b32_e32 v0, 0xf8, v0
	buffer_store_dword v7, off, s[0:3], s32 offset:444 ; 4-byte Folded Spill
	v_add_co_u32 v2, vcc_lo, v2, v0
	v_add_co_ci_u32_e64 v3, null, 0, v3, vcc_lo
	v_add_nc_u32_e32 v0, v1, v6
	buffer_store_dword v2, off, s[0:3], s32 offset:448 ; 4-byte Folded Spill
	buffer_store_dword v3, off, s[0:3], s32 offset:452 ; 4-byte Folded Spill
	buffer_load_dword v2, off, s[0:3], s32 offset:920 ; 4-byte Folded Reload
	buffer_store_dword v0, off, s[0:3], s32 offset:420 ; 4-byte Folded Spill
	v_mov_b32_e32 v0, 0
	v_add_co_u32 v10, vcc_lo, v10, v4
	v_add_co_ci_u32_e64 v11, null, v11, v5, vcc_lo
	buffer_store_dword v0, off, s[0:3], s32 offset:396 ; 4-byte Folded Spill
	v_mov_b32_e32 v0, 0
	buffer_store_dword v0, off, s[0:3], s32 offset:400 ; 4-byte Folded Spill
	v_mov_b32_e32 v0, 0
	;; [unrolled: 2-line block ×5, first 2 shown]
	buffer_store_dword v0, off, s[0:3], s32 offset:412 ; 4-byte Folded Spill
	s_branch .LBB353_1059
.LBB353_1057:                           ;   in Loop: Header=BB353_1059 Depth=1
	s_or_b32 exec_lo, exec_lo, s4
	v_bfe_u32 v34, v6, 16, 1
	v_or_b32_e32 v37, 0x400000, v6
	v_cmp_u_f32_e32 vcc_lo, v6, v6
	v_lshlrev_b32_e32 v12, 16, v12
	v_lshlrev_b32_e32 v21, 16, v21
	v_add3_u32 v34, v34, v6, 0x7fff
	v_lshlrev_b32_e32 v35, 16, v35
	v_lshlrev_b32_e32 v28, 16, v28
	;; [unrolled: 1-line block ×4, first 2 shown]
	v_cndmask_b32_e32 v6, v34, v37, vcc_lo
	v_bfe_u32 v34, v7, 16, 1
	v_or_b32_e32 v37, 0x400000, v7
	v_cmp_u_f32_e32 vcc_lo, v7, v7
	v_lshlrev_b32_e32 v16, 16, v16
	v_lshlrev_b32_e32 v0, 16, v0
	v_add3_u32 v34, v34, v7, 0x7fff
	v_lshlrev_b32_e32 v17, 16, v17
	v_lshlrev_b32_e32 v18, 16, v18
	;; [unrolled: 1-line block ×3, first 2 shown]
	v_cndmask_b32_e32 v7, v34, v37, vcc_lo
	v_bfe_u32 v34, v8, 16, 1
	v_or_b32_e32 v37, 0x400000, v8
	v_cmp_u_f32_e32 vcc_lo, v8, v8
	v_add3_u32 v34, v34, v8, 0x7fff
	v_bfe_u32 v8, v9, 16, 1
	v_cndmask_b32_e32 v34, v34, v37, vcc_lo
	v_add3_u32 v8, v8, v9, 0x7fff
	v_or_b32_e32 v37, 0x400000, v9
	v_cmp_u_f32_e32 vcc_lo, v9, v9
	v_or_b32_e32 v9, 0x400000, v2
	v_cndmask_b32_e32 v37, v8, v37, vcc_lo
	v_bfe_u32 v8, v2, 16, 1
	v_cmp_u_f32_e32 vcc_lo, v2, v2
	v_add3_u32 v8, v8, v2, 0x7fff
	v_cndmask_b32_e32 v2, v8, v9, vcc_lo
	v_bfe_u32 v8, v3, 16, 1
	v_or_b32_e32 v9, 0x400000, v3
	v_cmp_u_f32_e32 vcc_lo, v3, v3
	v_add3_u32 v8, v8, v3, 0x7fff
	v_cndmask_b32_e32 v3, v8, v9, vcc_lo
	v_bfe_u32 v8, v4, 16, 1
	v_or_b32_e32 v9, 0x400000, v4
	v_cmp_u_f32_e32 vcc_lo, v4, v4
	v_add3_u32 v8, v8, v4, 0x7fff
	v_bfe_u32 v4, v5, 16, 1
	v_cndmask_b32_e32 v61, v8, v9, vcc_lo
	v_add3_u32 v4, v4, v5, 0x7fff
	v_or_b32_e32 v8, 0x400000, v5
	v_cmp_u_f32_e32 vcc_lo, v5, v5
	v_and_b32_e32 v9, 0xffff0000, v6
	v_cndmask_b32_e32 v62, v4, v8, vcc_lo
	v_and_b32_e32 v8, 0xffff0000, v7
	v_lshlrev_b32_e32 v4, 16, v84
	v_mul_f32_e32 v0, v9, v0
	v_mul_f32_e32 v12, v8, v12
	;; [unrolled: 1-line block ×3, first 2 shown]
	v_bfe_u32 v5, v4, 16, 1
	v_or_b32_e32 v7, 0x400000, v4
	v_cmp_u_f32_e32 vcc_lo, v4, v4
	v_add3_u32 v5, v5, v4, 0x7fff
	v_lshlrev_b32_e32 v4, 16, v59
	v_cndmask_b32_e32 v84, v5, v7, vcc_lo
	v_mul_f32_e32 v4, v9, v4
	v_and_b32_e32 v84, 0xffff0000, v84
	v_bfe_u32 v5, v4, 16, 1
	v_or_b32_e32 v6, 0x400000, v4
	v_cmp_u_f32_e32 vcc_lo, v4, v4
	v_add3_u32 v5, v5, v4, 0x7fff
	v_lshlrev_b32_e32 v4, 16, v81
	v_cndmask_b32_e32 v59, v5, v6, vcc_lo
	v_and_b32_e32 v6, 0xffff0000, v37
	v_mul_f32_e32 v4, v6, v4
	v_bfe_u32 v5, v4, 16, 1
	v_or_b32_e32 v7, 0x400000, v4
	v_cmp_u_f32_e32 vcc_lo, v4, v4
	v_add3_u32 v5, v5, v4, 0x7fff
	v_lshlrev_b32_e32 v4, 16, v83
	v_cndmask_b32_e32 v37, v5, v7, vcc_lo
	v_and_b32_e32 v7, 0xffff0000, v34
	v_and_b32_e32 v37, 0xffff0000, v37
	v_mul_f32_e32 v4, v7, v4
	v_mul_f32_e32 v21, v7, v21
	;; [unrolled: 1-line block ×3, first 2 shown]
	v_bfe_u32 v5, v4, 16, 1
	v_or_b32_e32 v34, 0x400000, v4
	v_cmp_u_f32_e32 vcc_lo, v4, v4
	v_add3_u32 v5, v5, v4, 0x7fff
	v_and_b32_e32 v4, 0xffff0000, v3
	v_lshlrev_b32_e32 v3, 16, v36
	v_cndmask_b32_e32 v34, v5, v34, vcc_lo
	v_mul_f32_e32 v15, v4, v15
	v_mul_f32_e32 v3, v4, v3
	;; [unrolled: 1-line block ×3, first 2 shown]
	v_and_b32_e32 v34, 0xffff0000, v34
	v_bfe_u32 v5, v3, 16, 1
	v_or_b32_e32 v36, 0x400000, v3
	v_cmp_u_f32_e32 vcc_lo, v3, v3
	v_add_f32_e32 v34, v34, v37
	v_add3_u32 v5, v5, v3, 0x7fff
	v_cndmask_b32_e32 v36, v5, v36, vcc_lo
	v_and_b32_e32 v5, 0xffff0000, v2
	v_lshlrev_b32_e32 v2, 16, v57
	v_and_b32_e32 v36, 0xffff0000, v36
	v_mul_f32_e32 v16, v5, v16
	v_mul_f32_e32 v2, v5, v2
	;; [unrolled: 1-line block ×3, first 2 shown]
	v_bfe_u32 v3, v2, 16, 1
	v_or_b32_e32 v81, 0x400000, v2
	v_cmp_u_f32_e32 vcc_lo, v2, v2
	v_add3_u32 v3, v3, v2, 0x7fff
	v_and_b32_e32 v2, 0xffff0000, v62
	v_cndmask_b32_e32 v81, v3, v81, vcc_lo
	v_lshlrev_b32_e32 v3, 16, v60
	v_mul_f32_e32 v35, v2, v35
	v_mul_f32_e32 v1, v2, v1
	v_and_b32_e32 v37, 0xffff0000, v81
	v_mul_f32_e32 v3, v2, v3
	v_add_f32_e32 v36, v37, v36
	v_bfe_u32 v83, v3, 16, 1
	v_or_b32_e32 v57, 0x400000, v3
	v_cmp_u_f32_e32 vcc_lo, v3, v3
	v_add3_u32 v83, v83, v3, 0x7fff
	v_and_b32_e32 v3, 0xffff0000, v61
	v_cndmask_b32_e32 v83, v83, v57, vcc_lo
	v_lshlrev_b32_e32 v57, 16, v58
	v_mul_f32_e32 v28, v3, v28
	v_and_b32_e32 v37, 0xffff0000, v83
	v_mul_f32_e32 v57, v3, v57
	v_bfe_u32 v58, v57, 16, 1
	v_or_b32_e32 v60, 0x400000, v57
	v_cmp_u_f32_e32 vcc_lo, v57, v57
	v_add3_u32 v58, v58, v57, 0x7fff
	v_cndmask_b32_e32 v57, v58, v60, vcc_lo
	v_and_b32_e32 v58, 0xffff0000, v59
	v_add_f32_e32 v84, v58, v84
	v_add_f32_e32 v34, v84, v34
	;; [unrolled: 1-line block ×3, first 2 shown]
	v_and_b32_e32 v36, 0xffff0000, v57
	v_add_f32_e32 v36, v36, v37
	v_add_f32_e32 v34, v34, v36
	buffer_load_dword v36, off, s[0:3], s32 offset:360 ; 4-byte Folded Reload
	s_waitcnt vmcnt(0)
	v_add_f32_e32 v36, v36, v34
	v_lshlrev_b32_e32 v34, 16, v45
	buffer_store_dword v36, off, s[0:3], s32 offset:360 ; 4-byte Folded Spill
	v_mul_f32_e32 v34, v8, v34
	v_bfe_u32 v36, v34, 16, 1
	v_or_b32_e32 v37, 0x400000, v34
	v_cmp_u_f32_e32 vcc_lo, v34, v34
	v_add3_u32 v36, v36, v34, 0x7fff
	v_cndmask_b32_e32 v34, v36, v37, vcc_lo
	v_lshlrev_b32_e32 v36, 16, v47
	v_and_b32_e32 v34, 0xffff0000, v34
	v_mul_f32_e32 v36, v9, v36
	v_bfe_u32 v37, v36, 16, 1
	v_or_b32_e32 v81, 0x400000, v36
	v_cmp_u_f32_e32 vcc_lo, v36, v36
	v_add3_u32 v37, v37, v36, 0x7fff
	v_cndmask_b32_e32 v36, v37, v81, vcc_lo
	v_lshlrev_b32_e32 v37, 16, v43
	v_and_b32_e32 v36, 0xffff0000, v36
	v_mul_f32_e32 v37, v6, v37
	v_add_f32_e32 v34, v36, v34
	v_bfe_u32 v81, v37, 16, 1
	v_or_b32_e32 v83, 0x400000, v37
	v_cmp_u_f32_e32 vcc_lo, v37, v37
	v_add3_u32 v81, v81, v37, 0x7fff
	v_cndmask_b32_e32 v37, v81, v83, vcc_lo
	v_lshlrev_b32_e32 v81, 16, v44
	v_and_b32_e32 v37, 0xffff0000, v37
	v_mul_f32_e32 v81, v7, v81
	v_bfe_u32 v83, v81, 16, 1
	v_or_b32_e32 v84, 0x400000, v81
	v_cmp_u_f32_e32 vcc_lo, v81, v81
	v_add3_u32 v83, v83, v81, 0x7fff
	v_cndmask_b32_e32 v81, v83, v84, vcc_lo
	v_lshlrev_b32_e32 v83, 16, v41
	v_and_b32_e32 v36, 0xffff0000, v81
	v_mul_f32_e32 v83, v4, v83
	v_add_f32_e32 v36, v36, v37
	v_bfe_u32 v84, v83, 16, 1
	v_or_b32_e32 v41, 0x400000, v83
	v_cmp_u_f32_e32 vcc_lo, v83, v83
	v_add_f32_e32 v34, v34, v36
	v_add3_u32 v84, v84, v83, 0x7fff
	v_cndmask_b32_e32 v83, v84, v41, vcc_lo
	v_lshlrev_b32_e32 v84, 16, v42
	v_and_b32_e32 v37, 0xffff0000, v83
	v_mul_f32_e32 v84, v5, v84
	v_bfe_u32 v41, v84, 16, 1
	v_or_b32_e32 v42, 0x400000, v84
	v_cmp_u_f32_e32 vcc_lo, v84, v84
	v_add3_u32 v41, v41, v84, 0x7fff
	v_cndmask_b32_e32 v84, v41, v42, vcc_lo
	v_lshlrev_b32_e32 v41, 16, v56
	v_and_b32_e32 v36, 0xffff0000, v84
	v_mul_f32_e32 v41, v2, v41
	v_add_f32_e32 v36, v36, v37
	v_bfe_u32 v42, v41, 16, 1
	v_or_b32_e32 v43, 0x400000, v41
	v_cmp_u_f32_e32 vcc_lo, v41, v41
	v_add_f32_e32 v34, v34, v36
	v_add3_u32 v42, v42, v41, 0x7fff
	v_cndmask_b32_e32 v41, v42, v43, vcc_lo
	v_lshlrev_b32_e32 v42, 16, v46
	v_and_b32_e32 v37, 0xffff0000, v41
	v_mul_f32_e32 v42, v3, v42
	v_bfe_u32 v43, v42, 16, 1
	v_or_b32_e32 v44, 0x400000, v42
	v_cmp_u_f32_e32 vcc_lo, v42, v42
	v_add3_u32 v43, v43, v42, 0x7fff
	v_cndmask_b32_e32 v42, v43, v44, vcc_lo
	v_and_b32_e32 v36, 0xffff0000, v42
	v_add_f32_e32 v36, v36, v37
	v_add_f32_e32 v34, v34, v36
	buffer_load_dword v36, off, s[0:3], s32 offset:364 ; 4-byte Folded Reload
	s_waitcnt vmcnt(0)
	v_add_f32_e32 v36, v36, v34
	v_lshlrev_b32_e32 v34, 16, v117
	buffer_store_dword v36, off, s[0:3], s32 offset:364 ; 4-byte Folded Spill
	v_mul_f32_e32 v34, v8, v34
	v_bfe_u32 v36, v34, 16, 1
	v_or_b32_e32 v37, 0x400000, v34
	v_cmp_u_f32_e32 vcc_lo, v34, v34
	v_add3_u32 v36, v36, v34, 0x7fff
	v_cndmask_b32_e32 v34, v36, v37, vcc_lo
	v_lshlrev_b32_e32 v36, 16, v119
	v_and_b32_e32 v34, 0xffff0000, v34
	v_mul_f32_e32 v36, v9, v36
	v_bfe_u32 v37, v36, 16, 1
	v_or_b32_e32 v81, 0x400000, v36
	v_cmp_u_f32_e32 vcc_lo, v36, v36
	v_add3_u32 v37, v37, v36, 0x7fff
	v_cndmask_b32_e32 v36, v37, v81, vcc_lo
	v_lshlrev_b32_e32 v37, 16, v115
	v_and_b32_e32 v36, 0xffff0000, v36
	v_mul_f32_e32 v37, v6, v37
	v_add_f32_e32 v34, v36, v34
	v_bfe_u32 v81, v37, 16, 1
	v_or_b32_e32 v83, 0x400000, v37
	v_cmp_u_f32_e32 vcc_lo, v37, v37
	v_add3_u32 v81, v81, v37, 0x7fff
	v_cndmask_b32_e32 v37, v81, v83, vcc_lo
	v_lshlrev_b32_e32 v81, 16, v116
	v_and_b32_e32 v37, 0xffff0000, v37
	v_mul_f32_e32 v81, v7, v81
	v_bfe_u32 v83, v81, 16, 1
	v_or_b32_e32 v84, 0x400000, v81
	v_cmp_u_f32_e32 vcc_lo, v81, v81
	v_add3_u32 v83, v83, v81, 0x7fff
	v_cndmask_b32_e32 v81, v83, v84, vcc_lo
	v_lshlrev_b32_e32 v83, 16, v113
	v_and_b32_e32 v36, 0xffff0000, v81
	v_mul_f32_e32 v83, v4, v83
	v_add_f32_e32 v36, v36, v37
	v_bfe_u32 v84, v83, 16, 1
	v_or_b32_e32 v113, 0x400000, v83
	v_cmp_u_f32_e32 vcc_lo, v83, v83
	v_add_f32_e32 v34, v34, v36
	v_add3_u32 v84, v84, v83, 0x7fff
	v_cndmask_b32_e32 v83, v84, v113, vcc_lo
	v_lshlrev_b32_e32 v84, 16, v114
	v_and_b32_e32 v37, 0xffff0000, v83
	v_mul_f32_e32 v84, v5, v84
	v_bfe_u32 v113, v84, 16, 1
	v_or_b32_e32 v114, 0x400000, v84
	v_cmp_u_f32_e32 vcc_lo, v84, v84
	v_add3_u32 v113, v113, v84, 0x7fff
	v_cndmask_b32_e32 v84, v113, v114, vcc_lo
	v_lshlrev_b32_e32 v113, 16, v40
	v_and_b32_e32 v36, 0xffff0000, v84
	v_mul_f32_e32 v113, v2, v113
	v_add_f32_e32 v36, v36, v37
	v_bfe_u32 v114, v113, 16, 1
	v_or_b32_e32 v115, 0x400000, v113
	v_cmp_u_f32_e32 vcc_lo, v113, v113
	v_add_f32_e32 v34, v34, v36
	v_add3_u32 v114, v114, v113, 0x7fff
	v_cndmask_b32_e32 v113, v114, v115, vcc_lo
	v_lshlrev_b32_e32 v114, 16, v118
	v_and_b32_e32 v37, 0xffff0000, v113
	v_mul_f32_e32 v114, v3, v114
	v_bfe_u32 v115, v114, 16, 1
	v_or_b32_e32 v116, 0x400000, v114
	v_cmp_u_f32_e32 vcc_lo, v114, v114
	v_add3_u32 v115, v115, v114, 0x7fff
	v_cndmask_b32_e32 v114, v115, v116, vcc_lo
	v_and_b32_e32 v36, 0xffff0000, v114
	v_add_f32_e32 v36, v36, v37
	v_add_f32_e32 v34, v34, v36
	buffer_load_dword v36, off, s[0:3], s32 offset:368 ; 4-byte Folded Reload
	s_waitcnt vmcnt(0)
	v_add_f32_e32 v36, v36, v34
	v_lshlrev_b32_e32 v34, 16, v101
	buffer_store_dword v36, off, s[0:3], s32 offset:368 ; 4-byte Folded Spill
	v_mul_f32_e32 v34, v8, v34
	v_bfe_u32 v36, v34, 16, 1
	v_or_b32_e32 v37, 0x400000, v34
	v_cmp_u_f32_e32 vcc_lo, v34, v34
	v_add3_u32 v36, v36, v34, 0x7fff
	v_cndmask_b32_e32 v34, v36, v37, vcc_lo
	v_lshlrev_b32_e32 v36, 16, v103
	v_and_b32_e32 v34, 0xffff0000, v34
	v_mul_f32_e32 v36, v9, v36
	v_bfe_u32 v37, v36, 16, 1
	v_or_b32_e32 v81, 0x400000, v36
	v_cmp_u_f32_e32 vcc_lo, v36, v36
	v_add3_u32 v37, v37, v36, 0x7fff
	v_cndmask_b32_e32 v36, v37, v81, vcc_lo
	v_lshlrev_b32_e32 v37, 16, v99
	v_and_b32_e32 v36, 0xffff0000, v36
	v_mul_f32_e32 v37, v6, v37
	v_add_f32_e32 v34, v36, v34
	v_bfe_u32 v81, v37, 16, 1
	v_or_b32_e32 v83, 0x400000, v37
	v_cmp_u_f32_e32 vcc_lo, v37, v37
	v_add3_u32 v81, v81, v37, 0x7fff
	v_cndmask_b32_e32 v37, v81, v83, vcc_lo
	v_lshlrev_b32_e32 v81, 16, v100
	v_and_b32_e32 v37, 0xffff0000, v37
	v_mul_f32_e32 v81, v7, v81
	v_bfe_u32 v83, v81, 16, 1
	v_or_b32_e32 v84, 0x400000, v81
	v_cmp_u_f32_e32 vcc_lo, v81, v81
	v_add3_u32 v83, v83, v81, 0x7fff
	v_cndmask_b32_e32 v81, v83, v84, vcc_lo
	v_lshlrev_b32_e32 v83, 16, v97
	v_and_b32_e32 v36, 0xffff0000, v81
	v_mul_f32_e32 v83, v4, v83
	v_add_f32_e32 v36, v36, v37
	v_bfe_u32 v84, v83, 16, 1
	v_or_b32_e32 v97, 0x400000, v83
	v_cmp_u_f32_e32 vcc_lo, v83, v83
	v_add_f32_e32 v34, v34, v36
	v_add3_u32 v84, v84, v83, 0x7fff
	v_cndmask_b32_e32 v83, v84, v97, vcc_lo
	v_lshlrev_b32_e32 v84, 16, v98
	v_and_b32_e32 v37, 0xffff0000, v83
	v_mul_f32_e32 v84, v5, v84
	v_bfe_u32 v97, v84, 16, 1
	v_or_b32_e32 v98, 0x400000, v84
	v_cmp_u_f32_e32 vcc_lo, v84, v84
	v_add3_u32 v97, v97, v84, 0x7fff
	v_cndmask_b32_e32 v84, v97, v98, vcc_lo
	v_lshlrev_b32_e32 v97, 16, v112
	v_and_b32_e32 v36, 0xffff0000, v84
	v_mul_f32_e32 v97, v2, v97
	v_add_f32_e32 v36, v36, v37
	v_bfe_u32 v98, v97, 16, 1
	v_or_b32_e32 v99, 0x400000, v97
	v_cmp_u_f32_e32 vcc_lo, v97, v97
	v_add_f32_e32 v34, v34, v36
	v_add3_u32 v98, v98, v97, 0x7fff
	v_cndmask_b32_e32 v97, v98, v99, vcc_lo
	v_lshlrev_b32_e32 v98, 16, v102
	v_and_b32_e32 v37, 0xffff0000, v97
	v_mul_f32_e32 v98, v3, v98
	v_bfe_u32 v99, v98, 16, 1
	v_or_b32_e32 v100, 0x400000, v98
	v_cmp_u_f32_e32 vcc_lo, v98, v98
	v_add3_u32 v99, v99, v98, 0x7fff
	v_cndmask_b32_e32 v98, v99, v100, vcc_lo
	v_cmp_u_f32_e32 vcc_lo, v12, v12
	v_and_b32_e32 v36, 0xffff0000, v98
	v_add_f32_e32 v36, v36, v37
	v_add_f32_e32 v34, v34, v36
	buffer_load_dword v36, off, s[0:3], s32 offset:372 ; 4-byte Folded Reload
	s_waitcnt vmcnt(0)
	v_add_f32_e32 v36, v36, v34
	v_bfe_u32 v34, v12, 16, 1
	buffer_store_dword v36, off, s[0:3], s32 offset:372 ; 4-byte Folded Spill
	v_add3_u32 v34, v34, v12, 0x7fff
	v_or_b32_e32 v36, 0x400000, v12
	v_cndmask_b32_e32 v12, v34, v36, vcc_lo
	v_lshlrev_b32_e32 v34, 16, v39
	v_and_b32_e32 v12, 0xffff0000, v12
	v_mul_f32_e32 v34, v9, v34
	v_bfe_u32 v36, v34, 16, 1
	v_or_b32_e32 v37, 0x400000, v34
	v_cmp_u_f32_e32 vcc_lo, v34, v34
	v_add3_u32 v36, v36, v34, 0x7fff
	v_cndmask_b32_e32 v34, v36, v37, vcc_lo
	v_lshlrev_b32_e32 v36, 16, v70
	v_and_b32_e32 v34, 0xffff0000, v34
	v_mul_f32_e32 v36, v6, v36
	v_add_f32_e32 v12, v34, v12
	v_bfe_u32 v37, v36, 16, 1
	v_or_b32_e32 v39, 0x400000, v36
	v_cmp_u_f32_e32 vcc_lo, v36, v36
	v_add3_u32 v37, v37, v36, 0x7fff
	v_cndmask_b32_e32 v36, v37, v39, vcc_lo
	v_bfe_u32 v37, v21, 16, 1
	v_or_b32_e32 v39, 0x400000, v21
	v_cmp_u_f32_e32 vcc_lo, v21, v21
	v_and_b32_e32 v34, 0xffff0000, v36
	v_add3_u32 v37, v37, v21, 0x7fff
	v_cndmask_b32_e32 v21, v37, v39, vcc_lo
	v_lshlrev_b32_e32 v37, 16, v68
	v_and_b32_e32 v21, 0xffff0000, v21
	v_mul_f32_e32 v37, v4, v37
	v_add_f32_e32 v21, v21, v34
	v_bfe_u32 v39, v37, 16, 1
	v_or_b32_e32 v68, 0x400000, v37
	v_cmp_u_f32_e32 vcc_lo, v37, v37
	v_add_f32_e32 v12, v12, v21
	v_add3_u32 v39, v39, v37, 0x7fff
	v_cndmask_b32_e32 v37, v39, v68, vcc_lo
	v_lshlrev_b32_e32 v39, 16, v69
	v_and_b32_e32 v34, 0xffff0000, v37
	v_mul_f32_e32 v39, v5, v39
	v_bfe_u32 v68, v39, 16, 1
	v_or_b32_e32 v69, 0x400000, v39
	v_cmp_u_f32_e32 vcc_lo, v39, v39
	v_add3_u32 v68, v68, v39, 0x7fff
	v_cndmask_b32_e32 v39, v68, v69, vcc_lo
	v_bfe_u32 v68, v35, 16, 1
	v_or_b32_e32 v69, 0x400000, v35
	v_cmp_u_f32_e32 vcc_lo, v35, v35
	v_and_b32_e32 v21, 0xffff0000, v39
	v_add3_u32 v68, v68, v35, 0x7fff
	v_add_f32_e32 v21, v21, v34
	v_cndmask_b32_e32 v35, v68, v69, vcc_lo
	v_bfe_u32 v68, v28, 16, 1
	v_or_b32_e32 v69, 0x400000, v28
	v_cmp_u_f32_e32 vcc_lo, v28, v28
	v_add_f32_e32 v12, v12, v21
	v_add3_u32 v68, v68, v28, 0x7fff
	v_cndmask_b32_e32 v28, v68, v69, vcc_lo
	v_and_b32_e32 v21, 0xffff0000, v28
	v_and_b32_e32 v28, 0xffff0000, v35
	v_add_f32_e32 v21, v21, v28
	v_add_f32_e32 v12, v12, v21
	buffer_load_dword v21, off, s[0:3], s32 offset:376 ; 4-byte Folded Reload
	s_waitcnt vmcnt(0)
	v_add_f32_e32 v21, v21, v12
	v_lshlrev_b32_e32 v12, 16, v65
	buffer_store_dword v21, off, s[0:3], s32 offset:376 ; 4-byte Folded Spill
	v_mul_f32_e32 v12, v8, v12
	v_bfe_u32 v21, v12, 16, 1
	v_or_b32_e32 v28, 0x400000, v12
	v_cmp_u_f32_e32 vcc_lo, v12, v12
	v_add3_u32 v21, v21, v12, 0x7fff
	v_cndmask_b32_e32 v12, v21, v28, vcc_lo
	v_lshlrev_b32_e32 v21, 16, v66
	v_and_b32_e32 v12, 0xffff0000, v12
	v_mul_f32_e32 v21, v9, v21
	v_bfe_u32 v28, v21, 16, 1
	v_or_b32_e32 v34, 0x400000, v21
	v_cmp_u_f32_e32 vcc_lo, v21, v21
	v_add3_u32 v28, v28, v21, 0x7fff
	v_cndmask_b32_e32 v21, v28, v34, vcc_lo
	v_lshlrev_b32_e32 v28, 16, v54
	v_and_b32_e32 v21, 0xffff0000, v21
	v_mul_f32_e32 v28, v6, v28
	v_add_f32_e32 v12, v21, v12
	v_bfe_u32 v34, v28, 16, 1
	v_or_b32_e32 v35, 0x400000, v28
	v_cmp_u_f32_e32 vcc_lo, v28, v28
	v_add3_u32 v34, v34, v28, 0x7fff
	v_cndmask_b32_e32 v28, v34, v35, vcc_lo
	v_lshlrev_b32_e32 v34, 16, v55
	v_and_b32_e32 v28, 0xffff0000, v28
	v_mul_f32_e32 v34, v7, v34
	v_bfe_u32 v35, v34, 16, 1
	v_or_b32_e32 v36, 0x400000, v34
	v_cmp_u_f32_e32 vcc_lo, v34, v34
	v_add3_u32 v35, v35, v34, 0x7fff
	v_cndmask_b32_e32 v34, v35, v36, vcc_lo
	v_lshlrev_b32_e32 v35, 16, v52
	v_and_b32_e32 v21, 0xffff0000, v34
	v_mul_f32_e32 v35, v4, v35
	v_add_f32_e32 v21, v21, v28
	v_bfe_u32 v36, v35, 16, 1
	v_or_b32_e32 v37, 0x400000, v35
	v_cmp_u_f32_e32 vcc_lo, v35, v35
	v_add_f32_e32 v12, v12, v21
	v_add3_u32 v36, v36, v35, 0x7fff
	v_cndmask_b32_e32 v35, v36, v37, vcc_lo
	v_lshlrev_b32_e32 v36, 16, v53
	v_and_b32_e32 v28, 0xffff0000, v35
	v_mul_f32_e32 v36, v5, v36
	v_bfe_u32 v37, v36, 16, 1
	v_or_b32_e32 v39, 0x400000, v36
	v_cmp_u_f32_e32 vcc_lo, v36, v36
	v_add3_u32 v37, v37, v36, 0x7fff
	v_cndmask_b32_e32 v36, v37, v39, vcc_lo
	v_lshlrev_b32_e32 v37, 16, v67
	v_and_b32_e32 v21, 0xffff0000, v36
	v_mul_f32_e32 v37, v2, v37
	v_add_f32_e32 v21, v21, v28
	v_bfe_u32 v39, v37, 16, 1
	v_or_b32_e32 v52, 0x400000, v37
	v_cmp_u_f32_e32 vcc_lo, v37, v37
	v_add_f32_e32 v12, v12, v21
	v_add3_u32 v39, v39, v37, 0x7fff
	v_cndmask_b32_e32 v37, v39, v52, vcc_lo
	v_lshlrev_b32_e32 v39, 16, v64
	v_and_b32_e32 v28, 0xffff0000, v37
	v_mul_f32_e32 v39, v3, v39
	v_bfe_u32 v52, v39, 16, 1
	v_or_b32_e32 v53, 0x400000, v39
	v_cmp_u_f32_e32 vcc_lo, v39, v39
	v_add3_u32 v52, v52, v39, 0x7fff
	v_cndmask_b32_e32 v39, v52, v53, vcc_lo
	v_and_b32_e32 v21, 0xffff0000, v39
	v_add_f32_e32 v21, v21, v28
	v_add_f32_e32 v12, v12, v21
	buffer_load_dword v21, off, s[0:3], s32 offset:380 ; 4-byte Folded Reload
	s_waitcnt vmcnt(0)
	v_add_f32_e32 v21, v21, v12
	v_lshlrev_b32_e32 v12, 16, v49
	buffer_store_dword v21, off, s[0:3], s32 offset:380 ; 4-byte Folded Spill
	v_mul_f32_e32 v12, v8, v12
	v_bfe_u32 v21, v12, 16, 1
	v_or_b32_e32 v28, 0x400000, v12
	v_cmp_u_f32_e32 vcc_lo, v12, v12
	v_add3_u32 v21, v21, v12, 0x7fff
	v_cndmask_b32_e32 v12, v21, v28, vcc_lo
	v_lshlrev_b32_e32 v21, 16, v50
	v_and_b32_e32 v12, 0xffff0000, v12
	v_mul_f32_e32 v21, v9, v21
	v_bfe_u32 v28, v21, 16, 1
	v_or_b32_e32 v34, 0x400000, v21
	v_cmp_u_f32_e32 vcc_lo, v21, v21
	v_add3_u32 v28, v28, v21, 0x7fff
	v_cndmask_b32_e32 v21, v28, v34, vcc_lo
	v_lshlrev_b32_e32 v28, 16, v87
	v_and_b32_e32 v21, 0xffff0000, v21
	v_mul_f32_e32 v28, v6, v28
	v_add_f32_e32 v12, v21, v12
	v_bfe_u32 v34, v28, 16, 1
	v_or_b32_e32 v35, 0x400000, v28
	v_cmp_u_f32_e32 vcc_lo, v28, v28
	v_add3_u32 v34, v34, v28, 0x7fff
	v_cndmask_b32_e32 v28, v34, v35, vcc_lo
	v_bfe_u32 v34, v30, 16, 1
	v_or_b32_e32 v35, 0x400000, v30
	v_cmp_u_f32_e32 vcc_lo, v30, v30
	v_and_b32_e32 v28, 0xffff0000, v28
	v_add3_u32 v34, v34, v30, 0x7fff
	v_cndmask_b32_e32 v30, v34, v35, vcc_lo
	v_bfe_u32 v34, v15, 16, 1
	v_or_b32_e32 v35, 0x400000, v15
	v_cmp_u_f32_e32 vcc_lo, v15, v15
	v_and_b32_e32 v21, 0xffff0000, v30
	v_add3_u32 v34, v34, v15, 0x7fff
	v_add_f32_e32 v21, v21, v28
	v_cndmask_b32_e32 v15, v34, v35, vcc_lo
	v_bfe_u32 v34, v16, 16, 1
	v_or_b32_e32 v35, 0x400000, v16
	v_cmp_u_f32_e32 vcc_lo, v16, v16
	v_add_f32_e32 v12, v12, v21
	v_and_b32_e32 v15, 0xffff0000, v15
	v_add3_u32 v34, v34, v16, 0x7fff
	v_cndmask_b32_e32 v16, v34, v35, vcc_lo
	v_lshlrev_b32_e32 v34, 16, v51
	v_and_b32_e32 v16, 0xffff0000, v16
	v_mul_f32_e32 v34, v2, v34
	v_add_f32_e32 v15, v16, v15
	v_bfe_u32 v35, v34, 16, 1
	v_or_b32_e32 v36, 0x400000, v34
	v_cmp_u_f32_e32 vcc_lo, v34, v34
	v_add_f32_e32 v12, v12, v15
	v_add3_u32 v35, v35, v34, 0x7fff
	v_cndmask_b32_e32 v34, v35, v36, vcc_lo
	v_lshlrev_b32_e32 v35, 16, v48
	v_and_b32_e32 v16, 0xffff0000, v34
	v_mul_f32_e32 v35, v3, v35
	v_bfe_u32 v36, v35, 16, 1
	v_or_b32_e32 v37, 0x400000, v35
	v_cmp_u_f32_e32 vcc_lo, v35, v35
	v_add3_u32 v36, v36, v35, 0x7fff
	v_cndmask_b32_e32 v35, v36, v37, vcc_lo
	v_and_b32_e32 v15, 0xffff0000, v35
	v_add_f32_e32 v15, v15, v16
	v_add_f32_e32 v12, v12, v15
	buffer_load_dword v15, off, s[0:3], s32 offset:384 ; 4-byte Folded Reload
	s_waitcnt vmcnt(0)
	v_add_f32_e32 v15, v15, v12
	v_lshlrev_b32_e32 v12, 16, v33
	buffer_store_dword v15, off, s[0:3], s32 offset:384 ; 4-byte Folded Spill
	v_mul_f32_e32 v12, v8, v12
	v_bfe_u32 v15, v12, 16, 1
	v_or_b32_e32 v16, 0x400000, v12
	v_cmp_u_f32_e32 vcc_lo, v12, v12
	v_add3_u32 v15, v15, v12, 0x7fff
	v_cndmask_b32_e32 v12, v15, v16, vcc_lo
	v_bfe_u32 v15, v0, 16, 1
	v_or_b32_e32 v16, 0x400000, v0
	v_cmp_u_f32_e32 vcc_lo, v0, v0
	v_and_b32_e32 v12, 0xffff0000, v12
	v_add3_u32 v15, v15, v0, 0x7fff
	v_cndmask_b32_e32 v0, v15, v16, vcc_lo
	v_lshlrev_b32_e32 v15, 16, v22
	v_and_b32_e32 v0, 0xffff0000, v0
	v_mul_f32_e32 v15, v6, v15
	v_add_f32_e32 v0, v0, v12
	v_bfe_u32 v16, v15, 16, 1
	v_or_b32_e32 v21, 0x400000, v15
	v_cmp_u_f32_e32 vcc_lo, v15, v15
	v_add3_u32 v16, v16, v15, 0x7fff
	v_cndmask_b32_e32 v15, v16, v21, vcc_lo
	v_lshlrev_b32_e32 v16, 16, v23
	v_and_b32_e32 v15, 0xffff0000, v15
	v_mul_f32_e32 v16, v7, v16
	v_bfe_u32 v21, v16, 16, 1
	v_or_b32_e32 v22, 0x400000, v16
	v_cmp_u_f32_e32 vcc_lo, v16, v16
	v_add3_u32 v21, v21, v16, 0x7fff
	v_cndmask_b32_e32 v16, v21, v22, vcc_lo
	v_bfe_u32 v21, v17, 16, 1
	v_or_b32_e32 v22, 0x400000, v17
	v_cmp_u_f32_e32 vcc_lo, v17, v17
	v_and_b32_e32 v12, 0xffff0000, v16
	v_add3_u32 v21, v21, v17, 0x7fff
	v_add_f32_e32 v12, v12, v15
	v_cndmask_b32_e32 v17, v21, v22, vcc_lo
	v_bfe_u32 v21, v18, 16, 1
	v_or_b32_e32 v22, 0x400000, v18
	v_cmp_u_f32_e32 vcc_lo, v18, v18
	v_add_f32_e32 v0, v0, v12
	v_and_b32_e32 v15, 0xffff0000, v17
	v_add3_u32 v21, v21, v18, 0x7fff
	v_cndmask_b32_e32 v18, v21, v22, vcc_lo
	v_lshlrev_b32_e32 v21, 16, v85
	v_and_b32_e32 v12, 0xffff0000, v18
	v_mul_f32_e32 v21, v2, v21
	v_add_f32_e32 v12, v12, v15
	v_bfe_u32 v22, v21, 16, 1
	v_or_b32_e32 v23, 0x400000, v21
	v_cmp_u_f32_e32 vcc_lo, v21, v21
	v_add_f32_e32 v0, v0, v12
	v_add3_u32 v22, v22, v21, 0x7fff
	v_cndmask_b32_e32 v21, v22, v23, vcc_lo
	v_lshlrev_b32_e32 v22, 16, v31
	v_and_b32_e32 v15, 0xffff0000, v21
	v_mul_f32_e32 v22, v3, v22
	v_bfe_u32 v23, v22, 16, 1
	v_or_b32_e32 v28, 0x400000, v22
	v_cmp_u_f32_e32 vcc_lo, v22, v22
	v_add3_u32 v23, v23, v22, 0x7fff
	v_cndmask_b32_e32 v22, v23, v28, vcc_lo
	v_and_b32_e32 v12, 0xffff0000, v22
	v_add_f32_e32 v12, v12, v15
	v_add_f32_e32 v0, v0, v12
	buffer_load_dword v12, off, s[0:3], s32 offset:388 ; 4-byte Folded Reload
	s_waitcnt vmcnt(0)
	v_add_f32_e32 v12, v12, v0
	v_lshlrev_b32_e32 v0, 16, v127
	buffer_store_dword v12, off, s[0:3], s32 offset:388 ; 4-byte Folded Spill
	v_mul_f32_e32 v0, v8, v0
	v_bfe_u32 v12, v0, 16, 1
	v_or_b32_e32 v15, 0x400000, v0
	v_cmp_u_f32_e32 vcc_lo, v0, v0
	v_add3_u32 v12, v12, v0, 0x7fff
	v_cndmask_b32_e32 v0, v12, v15, vcc_lo
	v_lshlrev_b32_e32 v12, 16, v29
	v_and_b32_e32 v0, 0xffff0000, v0
	v_mul_f32_e32 v12, v9, v12
	v_bfe_u32 v15, v12, 16, 1
	v_or_b32_e32 v16, 0x400000, v12
	v_cmp_u_f32_e32 vcc_lo, v12, v12
	v_add3_u32 v15, v15, v12, 0x7fff
	v_cndmask_b32_e32 v12, v15, v16, vcc_lo
	v_lshlrev_b32_e32 v15, 16, v124
	v_and_b32_e32 v12, 0xffff0000, v12
	v_mul_f32_e32 v15, v6, v15
	v_add_f32_e32 v0, v12, v0
	v_bfe_u32 v16, v15, 16, 1
	v_or_b32_e32 v17, 0x400000, v15
	v_cmp_u_f32_e32 vcc_lo, v15, v15
	v_add3_u32 v16, v16, v15, 0x7fff
	v_cndmask_b32_e32 v15, v16, v17, vcc_lo
	v_lshlrev_b32_e32 v16, 16, v125
	v_and_b32_e32 v15, 0xffff0000, v15
	v_mul_f32_e32 v16, v7, v16
	v_bfe_u32 v17, v16, 16, 1
	v_or_b32_e32 v18, 0x400000, v16
	v_cmp_u_f32_e32 vcc_lo, v16, v16
	v_add3_u32 v17, v17, v16, 0x7fff
	v_cndmask_b32_e32 v16, v17, v18, vcc_lo
	v_lshlrev_b32_e32 v17, 16, v122
	v_and_b32_e32 v12, 0xffff0000, v16
	v_mul_f32_e32 v17, v4, v17
	v_add_f32_e32 v12, v12, v15
	v_bfe_u32 v18, v17, 16, 1
	v_or_b32_e32 v21, 0x400000, v17
	v_cmp_u_f32_e32 vcc_lo, v17, v17
	v_add_f32_e32 v0, v0, v12
	v_add3_u32 v18, v18, v17, 0x7fff
	v_cndmask_b32_e32 v17, v18, v21, vcc_lo
	v_lshlrev_b32_e32 v18, 16, v123
	v_and_b32_e32 v15, 0xffff0000, v17
	v_mul_f32_e32 v18, v5, v18
	v_bfe_u32 v21, v18, 16, 1
	v_or_b32_e32 v22, 0x400000, v18
	v_cmp_u_f32_e32 vcc_lo, v18, v18
	v_add3_u32 v21, v21, v18, 0x7fff
	v_cndmask_b32_e32 v18, v21, v22, vcc_lo
	v_bfe_u32 v21, v1, 16, 1
	v_or_b32_e32 v22, 0x400000, v1
	v_cmp_u_f32_e32 vcc_lo, v1, v1
	v_and_b32_e32 v12, 0xffff0000, v18
	v_add3_u32 v21, v21, v1, 0x7fff
	v_add_f32_e32 v12, v12, v15
	v_cndmask_b32_e32 v1, v21, v22, vcc_lo
	v_lshlrev_b32_e32 v21, 16, v126
	v_add_f32_e32 v0, v0, v12
	v_and_b32_e32 v1, 0xffff0000, v1
	v_mul_f32_e32 v21, v3, v21
	v_bfe_u32 v22, v21, 16, 1
	v_or_b32_e32 v23, 0x400000, v21
	v_cmp_u_f32_e32 vcc_lo, v21, v21
	v_add3_u32 v22, v22, v21, 0x7fff
	v_cndmask_b32_e32 v21, v22, v23, vcc_lo
	v_and_b32_e32 v12, 0xffff0000, v21
	v_add_f32_e32 v1, v12, v1
	v_add_f32_e32 v0, v0, v1
	buffer_load_dword v1, off, s[0:3], s32 offset:392 ; 4-byte Folded Reload
	s_waitcnt vmcnt(0)
	v_add_f32_e32 v1, v1, v0
	v_lshlrev_b32_e32 v0, 16, v121
	buffer_store_dword v1, off, s[0:3], s32 offset:392 ; 4-byte Folded Spill
	v_mul_f32_e32 v0, v8, v0
	v_bfe_u32 v1, v0, 16, 1
	v_or_b32_e32 v12, 0x400000, v0
	v_cmp_u_f32_e32 vcc_lo, v0, v0
	v_add3_u32 v1, v1, v0, 0x7fff
	v_cndmask_b32_e32 v0, v1, v12, vcc_lo
	v_lshlrev_b32_e32 v1, 16, v120
	v_and_b32_e32 v0, 0xffff0000, v0
	v_mul_f32_e32 v1, v9, v1
	v_bfe_u32 v12, v1, 16, 1
	v_or_b32_e32 v15, 0x400000, v1
	v_cmp_u_f32_e32 vcc_lo, v1, v1
	v_add3_u32 v12, v12, v1, 0x7fff
	v_cndmask_b32_e32 v1, v12, v15, vcc_lo
	v_lshlrev_b32_e32 v12, 16, v110
	v_and_b32_e32 v1, 0xffff0000, v1
	v_mul_f32_e32 v12, v6, v12
	v_add_f32_e32 v0, v1, v0
	v_bfe_u32 v15, v12, 16, 1
	v_or_b32_e32 v16, 0x400000, v12
	v_cmp_u_f32_e32 vcc_lo, v12, v12
	v_add3_u32 v15, v15, v12, 0x7fff
	v_cndmask_b32_e32 v12, v15, v16, vcc_lo
	v_lshlrev_b32_e32 v15, 16, v111
	v_and_b32_e32 v12, 0xffff0000, v12
	v_mul_f32_e32 v15, v7, v15
	v_bfe_u32 v16, v15, 16, 1
	v_or_b32_e32 v17, 0x400000, v15
	v_cmp_u_f32_e32 vcc_lo, v15, v15
	v_add3_u32 v16, v16, v15, 0x7fff
	v_cndmask_b32_e32 v15, v16, v17, vcc_lo
	v_lshlrev_b32_e32 v16, 16, v107
	v_and_b32_e32 v1, 0xffff0000, v15
	v_mul_f32_e32 v16, v4, v16
	v_add_f32_e32 v1, v1, v12
	v_bfe_u32 v17, v16, 16, 1
	v_or_b32_e32 v18, 0x400000, v16
	v_cmp_u_f32_e32 vcc_lo, v16, v16
	v_add_f32_e32 v0, v0, v1
	v_add3_u32 v17, v17, v16, 0x7fff
	v_cndmask_b32_e32 v16, v17, v18, vcc_lo
	v_lshlrev_b32_e32 v17, 16, v106
	v_and_b32_e32 v12, 0xffff0000, v16
	v_mul_f32_e32 v17, v5, v17
	v_bfe_u32 v18, v17, 16, 1
	v_or_b32_e32 v21, 0x400000, v17
	v_cmp_u_f32_e32 vcc_lo, v17, v17
	v_add3_u32 v18, v18, v17, 0x7fff
	v_cndmask_b32_e32 v17, v18, v21, vcc_lo
	v_lshlrev_b32_e32 v18, 16, v109
	v_and_b32_e32 v1, 0xffff0000, v17
	v_mul_f32_e32 v18, v2, v18
	v_add_f32_e32 v1, v1, v12
	v_bfe_u32 v21, v18, 16, 1
	v_or_b32_e32 v22, 0x400000, v18
	v_cmp_u_f32_e32 vcc_lo, v18, v18
	v_add_f32_e32 v0, v0, v1
	v_add3_u32 v21, v21, v18, 0x7fff
	v_cndmask_b32_e32 v18, v21, v22, vcc_lo
	v_lshlrev_b32_e32 v21, 16, v108
	v_and_b32_e32 v12, 0xffff0000, v18
	v_mul_f32_e32 v21, v3, v21
	v_bfe_u32 v22, v21, 16, 1
	v_or_b32_e32 v23, 0x400000, v21
	v_cmp_u_f32_e32 vcc_lo, v21, v21
	v_add3_u32 v22, v22, v21, 0x7fff
	v_cndmask_b32_e32 v21, v22, v23, vcc_lo
	v_and_b32_e32 v1, 0xffff0000, v21
	v_add_f32_e32 v1, v1, v12
	v_add_f32_e32 v0, v0, v1
	buffer_load_dword v1, off, s[0:3], s32 offset:396 ; 4-byte Folded Reload
	s_waitcnt vmcnt(0)
	v_add_f32_e32 v1, v1, v0
	v_lshlrev_b32_e32 v0, 16, v105
	buffer_store_dword v1, off, s[0:3], s32 offset:396 ; 4-byte Folded Spill
	v_mul_f32_e32 v0, v8, v0
	v_bfe_u32 v1, v0, 16, 1
	v_or_b32_e32 v12, 0x400000, v0
	v_cmp_u_f32_e32 vcc_lo, v0, v0
	v_add3_u32 v1, v1, v0, 0x7fff
	v_cndmask_b32_e32 v0, v1, v12, vcc_lo
	v_lshlrev_b32_e32 v1, 16, v104
	v_and_b32_e32 v0, 0xffff0000, v0
	v_mul_f32_e32 v1, v9, v1
	v_bfe_u32 v12, v1, 16, 1
	v_or_b32_e32 v15, 0x400000, v1
	v_cmp_u_f32_e32 vcc_lo, v1, v1
	v_add3_u32 v12, v12, v1, 0x7fff
	v_cndmask_b32_e32 v1, v12, v15, vcc_lo
	v_lshlrev_b32_e32 v12, 16, v94
	v_and_b32_e32 v1, 0xffff0000, v1
	v_mul_f32_e32 v12, v6, v12
	v_add_f32_e32 v0, v1, v0
	v_bfe_u32 v15, v12, 16, 1
	v_or_b32_e32 v16, 0x400000, v12
	v_cmp_u_f32_e32 vcc_lo, v12, v12
	v_add3_u32 v15, v15, v12, 0x7fff
	v_cndmask_b32_e32 v12, v15, v16, vcc_lo
	v_lshlrev_b32_e32 v15, 16, v95
	v_and_b32_e32 v12, 0xffff0000, v12
	v_mul_f32_e32 v15, v7, v15
	v_bfe_u32 v16, v15, 16, 1
	v_or_b32_e32 v17, 0x400000, v15
	v_cmp_u_f32_e32 vcc_lo, v15, v15
	v_add3_u32 v16, v16, v15, 0x7fff
	v_cndmask_b32_e32 v15, v16, v17, vcc_lo
	v_lshlrev_b32_e32 v16, 16, v91
	v_and_b32_e32 v1, 0xffff0000, v15
	v_mul_f32_e32 v16, v4, v16
	v_add_f32_e32 v1, v1, v12
	v_bfe_u32 v17, v16, 16, 1
	v_or_b32_e32 v18, 0x400000, v16
	v_cmp_u_f32_e32 vcc_lo, v16, v16
	v_add_f32_e32 v0, v0, v1
	v_add3_u32 v17, v17, v16, 0x7fff
	v_cndmask_b32_e32 v16, v17, v18, vcc_lo
	buffer_load_dword v17, off, s[0:3], s32 offset:348 ; 4-byte Folded Reload
	v_and_b32_e32 v12, 0xffff0000, v16
	s_waitcnt vmcnt(0)
	v_lshlrev_b32_e32 v17, 16, v17
	v_mul_f32_e32 v17, v5, v17
	v_bfe_u32 v18, v17, 16, 1
	v_or_b32_e32 v21, 0x400000, v17
	v_cmp_u_f32_e32 vcc_lo, v17, v17
	v_add3_u32 v18, v18, v17, 0x7fff
	v_cndmask_b32_e32 v17, v18, v21, vcc_lo
	v_lshlrev_b32_e32 v18, 16, v93
	v_and_b32_e32 v1, 0xffff0000, v17
	v_mul_f32_e32 v18, v2, v18
	v_add_f32_e32 v1, v1, v12
	v_bfe_u32 v21, v18, 16, 1
	v_or_b32_e32 v22, 0x400000, v18
	v_cmp_u_f32_e32 vcc_lo, v18, v18
	v_add_f32_e32 v0, v0, v1
	v_add3_u32 v21, v21, v18, 0x7fff
	v_cndmask_b32_e32 v18, v21, v22, vcc_lo
	v_lshlrev_b32_e32 v21, 16, v92
	v_and_b32_e32 v12, 0xffff0000, v18
	v_mul_f32_e32 v21, v3, v21
	v_bfe_u32 v22, v21, 16, 1
	v_or_b32_e32 v23, 0x400000, v21
	v_cmp_u_f32_e32 vcc_lo, v21, v21
	v_add3_u32 v22, v22, v21, 0x7fff
	v_cndmask_b32_e32 v21, v22, v23, vcc_lo
	v_and_b32_e32 v1, 0xffff0000, v21
	v_add_f32_e32 v1, v1, v12
	v_add_f32_e32 v0, v0, v1
	buffer_load_dword v1, off, s[0:3], s32 offset:400 ; 4-byte Folded Reload
	s_waitcnt vmcnt(0)
	v_add_f32_e32 v1, v1, v0
	buffer_load_dword v0, off, s[0:3], s32 offset:344 ; 4-byte Folded Reload
	buffer_store_dword v1, off, s[0:3], s32 offset:400 ; 4-byte Folded Spill
	s_waitcnt vmcnt(0)
	v_lshlrev_b32_e32 v0, 16, v0
	v_mul_f32_e32 v0, v8, v0
	v_bfe_u32 v1, v0, 16, 1
	v_or_b32_e32 v12, 0x400000, v0
	v_cmp_u_f32_e32 vcc_lo, v0, v0
	v_add3_u32 v1, v1, v0, 0x7fff
	v_cndmask_b32_e32 v0, v1, v12, vcc_lo
	buffer_load_dword v1, off, s[0:3], s32 offset:340 ; 4-byte Folded Reload
	v_and_b32_e32 v0, 0xffff0000, v0
	s_waitcnt vmcnt(0)
	v_lshlrev_b32_e32 v1, 16, v1
	v_mul_f32_e32 v1, v9, v1
	v_bfe_u32 v12, v1, 16, 1
	v_or_b32_e32 v15, 0x400000, v1
	v_cmp_u_f32_e32 vcc_lo, v1, v1
	v_add3_u32 v12, v12, v1, 0x7fff
	v_cndmask_b32_e32 v1, v12, v15, vcc_lo
	buffer_load_dword v12, off, s[0:3], s32 offset:336 ; 4-byte Folded Reload
	v_and_b32_e32 v1, 0xffff0000, v1
	v_add_f32_e32 v0, v1, v0
	s_waitcnt vmcnt(0)
	v_lshlrev_b32_e32 v12, 16, v12
	v_mul_f32_e32 v12, v6, v12
	v_bfe_u32 v15, v12, 16, 1
	v_or_b32_e32 v16, 0x400000, v12
	v_cmp_u_f32_e32 vcc_lo, v12, v12
	v_add3_u32 v15, v15, v12, 0x7fff
	v_cndmask_b32_e32 v12, v15, v16, vcc_lo
	buffer_load_dword v15, off, s[0:3], s32 offset:332 ; 4-byte Folded Reload
	v_and_b32_e32 v12, 0xffff0000, v12
	s_waitcnt vmcnt(0)
	v_lshlrev_b32_e32 v15, 16, v15
	v_mul_f32_e32 v15, v7, v15
	v_bfe_u32 v16, v15, 16, 1
	v_or_b32_e32 v17, 0x400000, v15
	v_cmp_u_f32_e32 vcc_lo, v15, v15
	v_add3_u32 v16, v16, v15, 0x7fff
	v_cndmask_b32_e32 v15, v16, v17, vcc_lo
	buffer_load_dword v16, off, s[0:3], s32 offset:328 ; 4-byte Folded Reload
	v_and_b32_e32 v1, 0xffff0000, v15
	v_add_f32_e32 v1, v1, v12
	v_add_f32_e32 v0, v0, v1
	s_waitcnt vmcnt(0)
	v_lshlrev_b32_e32 v16, 16, v16
	v_mul_f32_e32 v16, v4, v16
	v_bfe_u32 v17, v16, 16, 1
	v_or_b32_e32 v18, 0x400000, v16
	v_cmp_u_f32_e32 vcc_lo, v16, v16
	v_add3_u32 v17, v17, v16, 0x7fff
	v_cndmask_b32_e32 v16, v17, v18, vcc_lo
	buffer_load_dword v17, off, s[0:3], s32 offset:324 ; 4-byte Folded Reload
	v_and_b32_e32 v12, 0xffff0000, v16
	s_waitcnt vmcnt(0)
	v_lshlrev_b32_e32 v17, 16, v17
	v_mul_f32_e32 v17, v5, v17
	v_bfe_u32 v18, v17, 16, 1
	v_or_b32_e32 v21, 0x400000, v17
	v_cmp_u_f32_e32 vcc_lo, v17, v17
	v_add3_u32 v18, v18, v17, 0x7fff
	v_cndmask_b32_e32 v17, v18, v21, vcc_lo
	buffer_load_dword v18, off, s[0:3], s32 offset:320 ; 4-byte Folded Reload
	v_and_b32_e32 v1, 0xffff0000, v17
	v_add_f32_e32 v1, v1, v12
	v_add_f32_e32 v0, v0, v1
	s_waitcnt vmcnt(0)
	v_lshlrev_b32_e32 v18, 16, v18
	v_mul_f32_e32 v18, v2, v18
	v_bfe_u32 v21, v18, 16, 1
	v_or_b32_e32 v22, 0x400000, v18
	v_cmp_u_f32_e32 vcc_lo, v18, v18
	v_add3_u32 v21, v21, v18, 0x7fff
	v_cndmask_b32_e32 v18, v21, v22, vcc_lo
	buffer_load_dword v21, off, s[0:3], s32 offset:316 ; 4-byte Folded Reload
	v_and_b32_e32 v12, 0xffff0000, v18
	s_waitcnt vmcnt(0)
	v_lshlrev_b32_e32 v21, 16, v21
	v_mul_f32_e32 v21, v3, v21
	v_bfe_u32 v22, v21, 16, 1
	v_or_b32_e32 v23, 0x400000, v21
	v_cmp_u_f32_e32 vcc_lo, v21, v21
	v_add3_u32 v22, v22, v21, 0x7fff
	v_cndmask_b32_e32 v21, v22, v23, vcc_lo
	v_and_b32_e32 v1, 0xffff0000, v21
	v_add_f32_e32 v1, v1, v12
	v_add_f32_e32 v0, v0, v1
	buffer_load_dword v1, off, s[0:3], s32 offset:404 ; 4-byte Folded Reload
	s_waitcnt vmcnt(0)
	v_add_f32_e32 v1, v1, v0
	buffer_load_dword v0, off, s[0:3], s32 offset:312 ; 4-byte Folded Reload
	buffer_store_dword v1, off, s[0:3], s32 offset:404 ; 4-byte Folded Spill
	s_waitcnt vmcnt(0)
	v_lshlrev_b32_e32 v0, 16, v0
	v_mul_f32_e32 v0, v8, v0
	v_bfe_u32 v1, v0, 16, 1
	v_or_b32_e32 v12, 0x400000, v0
	v_cmp_u_f32_e32 vcc_lo, v0, v0
	v_add3_u32 v1, v1, v0, 0x7fff
	v_cndmask_b32_e32 v0, v1, v12, vcc_lo
	buffer_load_dword v1, off, s[0:3], s32 offset:308 ; 4-byte Folded Reload
	v_and_b32_e32 v0, 0xffff0000, v0
	s_waitcnt vmcnt(0)
	v_lshlrev_b32_e32 v1, 16, v1
	v_mul_f32_e32 v1, v9, v1
	v_bfe_u32 v12, v1, 16, 1
	v_or_b32_e32 v15, 0x400000, v1
	v_cmp_u_f32_e32 vcc_lo, v1, v1
	v_add3_u32 v12, v12, v1, 0x7fff
	v_cndmask_b32_e32 v1, v12, v15, vcc_lo
	buffer_load_dword v12, off, s[0:3], s32 offset:304 ; 4-byte Folded Reload
	v_and_b32_e32 v1, 0xffff0000, v1
	v_add_f32_e32 v0, v1, v0
	s_waitcnt vmcnt(0)
	v_lshlrev_b32_e32 v12, 16, v12
	v_mul_f32_e32 v12, v6, v12
	v_bfe_u32 v15, v12, 16, 1
	v_or_b32_e32 v16, 0x400000, v12
	v_cmp_u_f32_e32 vcc_lo, v12, v12
	v_add3_u32 v15, v15, v12, 0x7fff
	v_cndmask_b32_e32 v12, v15, v16, vcc_lo
	buffer_load_dword v15, off, s[0:3], s32 offset:300 ; 4-byte Folded Reload
	v_and_b32_e32 v12, 0xffff0000, v12
	s_waitcnt vmcnt(0)
	v_lshlrev_b32_e32 v15, 16, v15
	v_mul_f32_e32 v15, v7, v15
	v_bfe_u32 v16, v15, 16, 1
	v_or_b32_e32 v17, 0x400000, v15
	v_cmp_u_f32_e32 vcc_lo, v15, v15
	v_add3_u32 v16, v16, v15, 0x7fff
	v_cndmask_b32_e32 v15, v16, v17, vcc_lo
	buffer_load_dword v16, off, s[0:3], s32 offset:296 ; 4-byte Folded Reload
	v_and_b32_e32 v1, 0xffff0000, v15
	v_add_f32_e32 v1, v1, v12
	v_add_f32_e32 v0, v0, v1
	s_waitcnt vmcnt(0)
	v_lshlrev_b32_e32 v16, 16, v16
	v_mul_f32_e32 v16, v4, v16
	v_bfe_u32 v17, v16, 16, 1
	v_or_b32_e32 v18, 0x400000, v16
	v_cmp_u_f32_e32 vcc_lo, v16, v16
	v_add3_u32 v17, v17, v16, 0x7fff
	v_cndmask_b32_e32 v16, v17, v18, vcc_lo
	buffer_load_dword v17, off, s[0:3], s32 offset:292 ; 4-byte Folded Reload
	v_and_b32_e32 v12, 0xffff0000, v16
	s_waitcnt vmcnt(0)
	v_lshlrev_b32_e32 v17, 16, v17
	v_mul_f32_e32 v17, v5, v17
	v_bfe_u32 v18, v17, 16, 1
	v_or_b32_e32 v21, 0x400000, v17
	v_cmp_u_f32_e32 vcc_lo, v17, v17
	v_add3_u32 v18, v18, v17, 0x7fff
	v_cndmask_b32_e32 v17, v18, v21, vcc_lo
	buffer_load_dword v18, off, s[0:3], s32 offset:288 ; 4-byte Folded Reload
	v_and_b32_e32 v1, 0xffff0000, v17
	v_add_f32_e32 v1, v1, v12
	v_add_f32_e32 v0, v0, v1
	s_waitcnt vmcnt(0)
	v_lshlrev_b32_e32 v18, 16, v18
	v_mul_f32_e32 v18, v2, v18
	v_bfe_u32 v21, v18, 16, 1
	v_or_b32_e32 v22, 0x400000, v18
	v_cmp_u_f32_e32 vcc_lo, v18, v18
	v_add3_u32 v21, v21, v18, 0x7fff
	v_cndmask_b32_e32 v18, v21, v22, vcc_lo
	buffer_load_dword v21, off, s[0:3], s32 offset:284 ; 4-byte Folded Reload
	v_and_b32_e32 v12, 0xffff0000, v18
	s_waitcnt vmcnt(0)
	v_lshlrev_b32_e32 v21, 16, v21
	v_mul_f32_e32 v21, v3, v21
	v_bfe_u32 v22, v21, 16, 1
	v_or_b32_e32 v23, 0x400000, v21
	v_cmp_u_f32_e32 vcc_lo, v21, v21
	v_add3_u32 v22, v22, v21, 0x7fff
	v_cndmask_b32_e32 v21, v22, v23, vcc_lo
	v_and_b32_e32 v1, 0xffff0000, v21
	v_add_f32_e32 v1, v1, v12
	v_add_f32_e32 v0, v0, v1
	buffer_load_dword v1, off, s[0:3], s32 offset:408 ; 4-byte Folded Reload
	s_waitcnt vmcnt(0)
	v_add_f32_e32 v1, v1, v0
	buffer_load_dword v0, off, s[0:3], s32 offset:280 ; 4-byte Folded Reload
	buffer_store_dword v1, off, s[0:3], s32 offset:408 ; 4-byte Folded Spill
	s_waitcnt vmcnt(0)
	v_lshlrev_b32_e32 v0, 16, v0
	v_mul_f32_e32 v0, v8, v0
	v_bfe_u32 v1, v0, 16, 1
	v_or_b32_e32 v12, 0x400000, v0
	v_cmp_u_f32_e32 vcc_lo, v0, v0
	v_add3_u32 v1, v1, v0, 0x7fff
	v_cndmask_b32_e32 v0, v1, v12, vcc_lo
	buffer_load_dword v1, off, s[0:3], s32 offset:276 ; 4-byte Folded Reload
	v_and_b32_e32 v0, 0xffff0000, v0
	s_waitcnt vmcnt(0)
	v_lshlrev_b32_e32 v1, 16, v1
	v_mul_f32_e32 v1, v9, v1
	v_bfe_u32 v12, v1, 16, 1
	v_or_b32_e32 v15, 0x400000, v1
	v_cmp_u_f32_e32 vcc_lo, v1, v1
	v_add3_u32 v12, v12, v1, 0x7fff
	v_cndmask_b32_e32 v1, v12, v15, vcc_lo
	buffer_load_dword v12, off, s[0:3], s32 offset:272 ; 4-byte Folded Reload
	v_and_b32_e32 v1, 0xffff0000, v1
	v_add_f32_e32 v0, v1, v0
	s_waitcnt vmcnt(0)
	v_lshlrev_b32_e32 v12, 16, v12
	v_mul_f32_e32 v12, v6, v12
	v_bfe_u32 v15, v12, 16, 1
	v_or_b32_e32 v16, 0x400000, v12
	v_cmp_u_f32_e32 vcc_lo, v12, v12
	v_add3_u32 v15, v15, v12, 0x7fff
	v_cndmask_b32_e32 v12, v15, v16, vcc_lo
	buffer_load_dword v15, off, s[0:3], s32 offset:268 ; 4-byte Folded Reload
	v_and_b32_e32 v12, 0xffff0000, v12
	s_waitcnt vmcnt(0)
	v_lshlrev_b32_e32 v15, 16, v15
	v_mul_f32_e32 v15, v7, v15
	v_bfe_u32 v16, v15, 16, 1
	v_or_b32_e32 v17, 0x400000, v15
	v_cmp_u_f32_e32 vcc_lo, v15, v15
	v_add3_u32 v16, v16, v15, 0x7fff
	v_cndmask_b32_e32 v15, v16, v17, vcc_lo
	buffer_load_dword v16, off, s[0:3], s32 offset:264 ; 4-byte Folded Reload
	v_and_b32_e32 v1, 0xffff0000, v15
	v_add_f32_e32 v1, v1, v12
	v_add_f32_e32 v0, v0, v1
	s_waitcnt vmcnt(0)
	v_lshlrev_b32_e32 v16, 16, v16
	v_mul_f32_e32 v16, v4, v16
	v_bfe_u32 v17, v16, 16, 1
	v_or_b32_e32 v18, 0x400000, v16
	v_cmp_u_f32_e32 vcc_lo, v16, v16
	v_add3_u32 v17, v17, v16, 0x7fff
	v_cndmask_b32_e32 v16, v17, v18, vcc_lo
	buffer_load_dword v17, off, s[0:3], s32 offset:260 ; 4-byte Folded Reload
	v_and_b32_e32 v12, 0xffff0000, v16
	s_waitcnt vmcnt(0)
	v_lshlrev_b32_e32 v17, 16, v17
	v_mul_f32_e32 v17, v5, v17
	v_bfe_u32 v18, v17, 16, 1
	v_or_b32_e32 v21, 0x400000, v17
	v_cmp_u_f32_e32 vcc_lo, v17, v17
	v_add3_u32 v18, v18, v17, 0x7fff
	v_cndmask_b32_e32 v17, v18, v21, vcc_lo
	buffer_load_dword v18, off, s[0:3], s32 offset:256 ; 4-byte Folded Reload
	v_and_b32_e32 v1, 0xffff0000, v17
	v_add_f32_e32 v1, v1, v12
	v_add_f32_e32 v0, v0, v1
	s_waitcnt vmcnt(0)
	v_lshlrev_b32_e32 v18, 16, v18
	v_mul_f32_e32 v18, v2, v18
	v_bfe_u32 v21, v18, 16, 1
	v_or_b32_e32 v22, 0x400000, v18
	v_cmp_u_f32_e32 vcc_lo, v18, v18
	v_add3_u32 v21, v21, v18, 0x7fff
	v_cndmask_b32_e32 v18, v21, v22, vcc_lo
	buffer_load_dword v21, off, s[0:3], s32 offset:252 ; 4-byte Folded Reload
	v_and_b32_e32 v12, 0xffff0000, v18
	s_waitcnt vmcnt(0)
	v_lshlrev_b32_e32 v21, 16, v21
	v_mul_f32_e32 v21, v3, v21
	v_bfe_u32 v22, v21, 16, 1
	v_or_b32_e32 v23, 0x400000, v21
	v_cmp_u_f32_e32 vcc_lo, v21, v21
	v_add3_u32 v22, v22, v21, 0x7fff
	v_cndmask_b32_e32 v21, v22, v23, vcc_lo
	v_and_b32_e32 v1, 0xffff0000, v21
	v_add_f32_e32 v1, v1, v12
	v_add_f32_e32 v0, v0, v1
	buffer_load_dword v1, off, s[0:3], s32 offset:416 ; 4-byte Folded Reload
	s_waitcnt vmcnt(0)
	v_add_f32_e32 v1, v1, v0
	buffer_load_dword v0, off, s[0:3], s32 offset:248 ; 4-byte Folded Reload
	buffer_store_dword v1, off, s[0:3], s32 offset:416 ; 4-byte Folded Spill
	s_waitcnt vmcnt(0)
	v_lshlrev_b32_e32 v0, 16, v0
	v_mul_f32_e32 v0, v8, v0
	v_bfe_u32 v1, v0, 16, 1
	v_or_b32_e32 v12, 0x400000, v0
	v_cmp_u_f32_e32 vcc_lo, v0, v0
	v_add3_u32 v1, v1, v0, 0x7fff
	v_cndmask_b32_e32 v0, v1, v12, vcc_lo
	buffer_load_dword v1, off, s[0:3], s32 offset:244 ; 4-byte Folded Reload
	v_and_b32_e32 v0, 0xffff0000, v0
	s_waitcnt vmcnt(0)
	v_lshlrev_b32_e32 v1, 16, v1
	v_mul_f32_e32 v1, v9, v1
	v_bfe_u32 v12, v1, 16, 1
	v_or_b32_e32 v15, 0x400000, v1
	v_cmp_u_f32_e32 vcc_lo, v1, v1
	v_add3_u32 v12, v12, v1, 0x7fff
	v_cndmask_b32_e32 v1, v12, v15, vcc_lo
	buffer_load_dword v12, off, s[0:3], s32 offset:240 ; 4-byte Folded Reload
	v_and_b32_e32 v1, 0xffff0000, v1
	v_add_f32_e32 v0, v1, v0
	s_waitcnt vmcnt(0)
	v_lshlrev_b32_e32 v12, 16, v12
	v_mul_f32_e32 v12, v6, v12
	v_bfe_u32 v15, v12, 16, 1
	v_or_b32_e32 v16, 0x400000, v12
	v_cmp_u_f32_e32 vcc_lo, v12, v12
	v_add3_u32 v15, v15, v12, 0x7fff
	v_cndmask_b32_e32 v12, v15, v16, vcc_lo
	buffer_load_dword v15, off, s[0:3], s32 offset:236 ; 4-byte Folded Reload
	v_and_b32_e32 v12, 0xffff0000, v12
	s_waitcnt vmcnt(0)
	v_lshlrev_b32_e32 v15, 16, v15
	v_mul_f32_e32 v15, v7, v15
	v_bfe_u32 v16, v15, 16, 1
	v_or_b32_e32 v17, 0x400000, v15
	v_cmp_u_f32_e32 vcc_lo, v15, v15
	v_add3_u32 v16, v16, v15, 0x7fff
	v_cndmask_b32_e32 v15, v16, v17, vcc_lo
	buffer_load_dword v16, off, s[0:3], s32 offset:232 ; 4-byte Folded Reload
	v_and_b32_e32 v1, 0xffff0000, v15
	v_add_f32_e32 v1, v1, v12
	v_add_f32_e32 v0, v0, v1
	s_waitcnt vmcnt(0)
	v_lshlrev_b32_e32 v16, 16, v16
	v_mul_f32_e32 v16, v4, v16
	v_bfe_u32 v17, v16, 16, 1
	v_or_b32_e32 v18, 0x400000, v16
	v_cmp_u_f32_e32 vcc_lo, v16, v16
	v_add3_u32 v17, v17, v16, 0x7fff
	v_cndmask_b32_e32 v16, v17, v18, vcc_lo
	buffer_load_dword v17, off, s[0:3], s32 offset:224 ; 4-byte Folded Reload
	v_and_b32_e32 v12, 0xffff0000, v16
	s_waitcnt vmcnt(0)
	v_lshlrev_b32_e32 v17, 16, v17
	v_mul_f32_e32 v17, v5, v17
	v_bfe_u32 v18, v17, 16, 1
	v_or_b32_e32 v21, 0x400000, v17
	v_cmp_u_f32_e32 vcc_lo, v17, v17
	v_add3_u32 v18, v18, v17, 0x7fff
	v_cndmask_b32_e32 v17, v18, v21, vcc_lo
	buffer_load_dword v18, off, s[0:3], s32 offset:228 ; 4-byte Folded Reload
	v_and_b32_e32 v1, 0xffff0000, v17
	v_add_f32_e32 v1, v1, v12
	v_add_f32_e32 v0, v0, v1
	s_waitcnt vmcnt(0)
	v_lshlrev_b32_e32 v18, 16, v18
	v_mul_f32_e32 v18, v2, v18
	v_bfe_u32 v21, v18, 16, 1
	v_or_b32_e32 v22, 0x400000, v18
	v_cmp_u_f32_e32 vcc_lo, v18, v18
	v_add3_u32 v21, v21, v18, 0x7fff
	v_cndmask_b32_e32 v18, v21, v22, vcc_lo
	buffer_load_dword v21, off, s[0:3], s32 offset:220 ; 4-byte Folded Reload
	v_and_b32_e32 v12, 0xffff0000, v18
	s_waitcnt vmcnt(0)
	v_lshlrev_b32_e32 v21, 16, v21
	v_mul_f32_e32 v21, v3, v21
	v_bfe_u32 v22, v21, 16, 1
	v_or_b32_e32 v23, 0x400000, v21
	v_cmp_u_f32_e32 vcc_lo, v21, v21
	v_add3_u32 v22, v22, v21, 0x7fff
	v_cndmask_b32_e32 v21, v22, v23, vcc_lo
	v_and_b32_e32 v1, 0xffff0000, v21
	v_add_f32_e32 v1, v1, v12
	v_add_f32_e32 v0, v0, v1
	buffer_load_dword v1, off, s[0:3], s32 offset:412 ; 4-byte Folded Reload
	s_waitcnt vmcnt(0)
	v_add_f32_e32 v1, v1, v0
	v_lshlrev_b32_e32 v0, 16, v38
	buffer_store_dword v1, off, s[0:3], s32 offset:412 ; 4-byte Folded Spill
	v_mul_f32_e32 v0, v9, v0
	v_bfe_u32 v1, v0, 16, 1
	v_or_b32_e32 v9, 0x400000, v0
	v_cmp_u_f32_e32 vcc_lo, v0, v0
	v_add3_u32 v1, v1, v0, 0x7fff
	v_cndmask_b32_e32 v0, v1, v9, vcc_lo
	v_lshlrev_b32_e32 v1, 16, v27
	v_and_b32_e32 v0, 0xffff0000, v0
	v_mul_f32_e32 v1, v8, v1
	v_bfe_u32 v8, v1, 16, 1
	v_or_b32_e32 v9, 0x400000, v1
	v_cmp_u_f32_e32 vcc_lo, v1, v1
	v_add3_u32 v8, v8, v1, 0x7fff
	v_cndmask_b32_e32 v1, v8, v9, vcc_lo
	v_lshlrev_b32_e32 v8, 16, v25
	v_and_b32_e32 v1, 0xffff0000, v1
	v_mul_f32_e32 v7, v7, v8
	v_add_f32_e32 v0, v0, v1
	v_bfe_u32 v8, v7, 16, 1
	v_or_b32_e32 v9, 0x400000, v7
	v_cmp_u_f32_e32 vcc_lo, v7, v7
	v_add3_u32 v8, v8, v7, 0x7fff
	v_cndmask_b32_e32 v7, v8, v9, vcc_lo
	v_lshlrev_b32_e32 v8, 16, v20
	v_mul_f32_e32 v6, v6, v8
	v_bfe_u32 v8, v6, 16, 1
	v_or_b32_e32 v9, 0x400000, v6
	v_cmp_u_f32_e32 vcc_lo, v6, v6
	v_add3_u32 v8, v8, v6, 0x7fff
	v_cndmask_b32_e32 v6, v8, v9, vcc_lo
	v_lshlrev_b32_e32 v8, 16, v19
	buffer_load_dword v19, off, s[0:3], s32 offset:424 ; 4-byte Folded Reload
	v_and_b32_e32 v1, 0xffff0000, v6
	v_mul_f32_e32 v5, v5, v8
	v_and_b32_e32 v6, 0xffff0000, v7
	v_bfe_u32 v8, v5, 16, 1
	v_or_b32_e32 v9, 0x400000, v5
	v_cmp_u_f32_e32 vcc_lo, v5, v5
	v_add_f32_e32 v1, v6, v1
	v_add3_u32 v8, v8, v5, 0x7fff
	v_add_f32_e32 v0, v0, v1
	v_cndmask_b32_e32 v5, v8, v9, vcc_lo
	v_lshlrev_b32_e32 v8, 16, v13
	v_mul_f32_e32 v4, v4, v8
	v_bfe_u32 v8, v4, 16, 1
	v_or_b32_e32 v9, 0x400000, v4
	v_cmp_u_f32_e32 vcc_lo, v4, v4
	v_add3_u32 v8, v8, v4, 0x7fff
	v_cndmask_b32_e32 v4, v8, v9, vcc_lo
	v_lshlrev_b32_e32 v8, 16, v24
	v_and_b32_e32 v1, 0xffff0000, v4
	v_mul_f32_e32 v3, v3, v8
	v_and_b32_e32 v4, 0xffff0000, v5
	v_bfe_u32 v8, v3, 16, 1
	v_or_b32_e32 v9, 0x400000, v3
	v_cmp_u_f32_e32 vcc_lo, v3, v3
	v_add_f32_e32 v1, v4, v1
	v_add3_u32 v8, v8, v3, 0x7fff
	v_add_f32_e32 v0, v0, v1
	v_cndmask_b32_e32 v3, v8, v9, vcc_lo
	v_lshlrev_b32_e32 v8, 16, v26
	v_mul_f32_e32 v2, v2, v8
	v_bfe_u32 v8, v2, 16, 1
	v_or_b32_e32 v9, 0x400000, v2
	v_cmp_u_f32_e32 vcc_lo, v2, v2
	v_add3_u32 v8, v8, v2, 0x7fff
	v_cndmask_b32_e32 v2, v8, v9, vcc_lo
	v_and_b32_e32 v1, 0xffff0000, v2
	v_and_b32_e32 v2, 0xffff0000, v3
	v_add_f32_e32 v1, v2, v1
	v_add_f32_e32 v0, v0, v1
	s_waitcnt vmcnt(0)
	v_add_f32_e32 v19, v19, v0
.LBB353_1058:                           ;   in Loop: Header=BB353_1059 Depth=1
	s_or_b32 exec_lo, exec_lo, s17
	buffer_load_dword v0, off, s[0:3], s32 offset:192 ; 4-byte Folded Reload
	v_add_nc_u32_e32 v96, 4, v96
	v_mov_b32_e32 v2, v90
	v_add_co_u32 v10, s4, v10, 16
	v_add_nc_u32_e32 v86, 0x200, v86
	v_add_co_ci_u32_e64 v11, null, 0, v11, s4
	v_add_nc_u32_e32 v2, 0x80, v2
	s_waitcnt vmcnt(0)
	v_cmp_ge_i32_e32 vcc_lo, v96, v0
	s_or_b32 s13, vcc_lo, s13
	s_andn2_b32 exec_lo, exec_lo, s13
	s_cbranch_execz .LBB353_2116
.LBB353_1059:                           ; =>This Inner Loop Header: Depth=1
	s_clause 0x1
	buffer_load_dword v0, off, s[0:3], s32 offset:212
	buffer_load_dword v4, off, s[0:3], s32 offset:196
	s_waitcnt vmcnt(2)
	v_mov_b32_e32 v90, v2
	s_waitcnt vmcnt(1)
	v_mul_hi_u32 v0, v2, v0
	s_waitcnt vmcnt(0)
	v_mul_lo_u32 v1, v0, v4
	v_sub_nc_u32_e32 v1, v2, v1
	v_add_nc_u32_e32 v2, 1, v0
	v_sub_nc_u32_e32 v3, v1, v4
	v_cmp_ge_u32_e32 vcc_lo, v1, v4
	v_cndmask_b32_e32 v1, v1, v3, vcc_lo
	v_cndmask_b32_e32 v0, v0, v2, vcc_lo
	v_cmp_ge_u32_e32 vcc_lo, v1, v4
	buffer_load_dword v1, off, s[0:3], s32 offset:208 ; 4-byte Folded Reload
	v_add_nc_u32_e32 v2, 1, v0
	v_cndmask_b32_e32 v0, v0, v2, vcc_lo
	s_waitcnt vmcnt(0)
	v_xor_b32_e32 v0, v0, v1
	v_sub_nc_u32_e32 v0, v0, v1
	s_clause 0x2
	buffer_load_dword v1, off, s[0:3], s32 offset:200
	buffer_load_dword v2, off, s[0:3], s32 offset:204
	;; [unrolled: 1-line block ×3, first 2 shown]
	s_waitcnt vmcnt(2)
	v_add_nc_u32_e32 v1, v0, v1
	s_waitcnt vmcnt(1)
	v_sub_nc_u32_e32 v2, 0, v1
	v_max_i32_e32 v2, v1, v2
	v_ashrrev_i32_e32 v1, 31, v1
	s_waitcnt vmcnt(0)
	v_mul_hi_u32 v3, v2, v3
	v_mul_lo_u32 v3, v3, v71
	v_sub_nc_u32_e32 v2, v2, v3
	v_sub_nc_u32_e32 v3, v2, v71
	v_cmp_ge_u32_e32 vcc_lo, v2, v71
	v_cndmask_b32_e32 v2, v2, v3, vcc_lo
	v_sub_nc_u32_e32 v3, v2, v71
	v_cmp_ge_u32_e32 vcc_lo, v2, v71
	v_cndmask_b32_e32 v2, v2, v3, vcc_lo
	v_xor_b32_e32 v2, v2, v1
	v_sub_nc_u32_e32 v1, v2, v1
	v_cmp_eq_u32_e32 vcc_lo, 0, v1
	buffer_load_dword v1, off, s[0:3], s32 offset:216 ; 4-byte Folded Reload
	s_waitcnt vmcnt(0)
	v_cmp_gt_i32_e64 s4, v0, v1
	s_or_b32 s4, vcc_lo, s4
	s_and_saveexec_b32 s17, s4
	s_cbranch_execz .LBB353_1058
; %bb.1060:                             ;   in Loop: Header=BB353_1059 Depth=1
	buffer_store_dword v19, off, s[0:3], s32 offset:424 ; 4-byte Folded Spill
	flat_load_dword v0, v[10:11]
	s_clause 0x2
	buffer_load_dword v1, off, s[0:3], s32 offset:356
	buffer_load_dword v2, off, s[0:3], s32 offset:448
	;; [unrolled: 1-line block ×3, first 2 shown]
	s_waitcnt vmcnt(0) lgkmcnt(0)
	v_mad_i64_i32 v[19:20], null, v0, v1, v[2:3]
	flat_load_dwordx2 v[24:25], v[19:20]
	s_clause 0x1
	buffer_load_dword v0, off, s[0:3], s32 offset:436
	buffer_load_dword v1, off, s[0:3], s32 offset:440
	s_load_dword s4, s[8:9], 0x0
	s_waitcnt vmcnt(2) lgkmcnt(0)
	v_cmp_ne_u16_sdwa s18, v24, v14 src0_sel:BYTE_0 src1_sel:DWORD
	s_waitcnt vmcnt(0)
	flat_load_dword v72, v[0:1]
	v_add_nc_u32_e32 v0, s4, v86
	v_mov_b32_e32 v1, 0
	ds_read2_b64 v[6:9], v0 offset1:1
	ds_read2_b64 v[2:5], v0 offset0:2 offset1:3
	v_mov_b32_e32 v0, 0
	s_and_saveexec_b32 s4, s18
	s_cbranch_execz .LBB353_1068
; %bb.1061:                             ;   in Loop: Header=BB353_1059 Depth=1
	v_cmp_ne_u16_sdwa s19, v24, v80 src0_sel:BYTE_0 src1_sel:DWORD
	v_bfrev_b32_e32 v0, 1
	s_and_saveexec_b32 s18, s19
	s_cbranch_execz .LBB353_1067
; %bb.1062:                             ;   in Loop: Header=BB353_1059 Depth=1
	v_and_b32_e32 v12, 0x7f, v24
	v_mov_b32_e32 v0, 0x7f800001
	s_mov_b32 s19, exec_lo
	v_cmpx_ne_u32_e32 0x7f, v12
	s_cbranch_execz .LBB353_1066
; %bb.1063:                             ;   in Loop: Header=BB353_1059 Depth=1
	v_mov_b32_e32 v27, v25
	v_lshrrev_b32_e32 v0, 3, v12
	v_mov_b32_e32 v26, v24
	s_mov_b32 s20, exec_lo
	v_cmpx_gt_u32_e32 8, v12
; %bb.1064:                             ;   in Loop: Header=BB353_1059 Depth=1
	v_and_b32_e32 v0, 7, v24
	v_ffbh_u32_e32 v0, v0
	v_min_u32_e32 v0, 32, v0
	v_subrev_nc_u32_e32 v12, 28, v0
	v_sub_nc_u32_e32 v0, 29, v0
	v_lshlrev_b64 v[26:27], v12, v[24:25]
; %bb.1065:                             ;   in Loop: Header=BB353_1059 Depth=1
	s_or_b32 exec_lo, exec_lo, s20
	v_lshlrev_b32_e32 v12, 20, v26
	v_lshlrev_b32_e32 v13, 24, v24
	v_lshl_add_u32 v0, v0, 23, 0x3c000000
	v_and_b32_e32 v12, 0x700000, v12
	v_and_b32_e32 v13, 0x80000000, v13
	v_or3_b32 v0, v12, v13, v0
.LBB353_1066:                           ;   in Loop: Header=BB353_1059 Depth=1
	s_or_b32 exec_lo, exec_lo, s19
.LBB353_1067:                           ;   in Loop: Header=BB353_1059 Depth=1
	s_or_b32 exec_lo, exec_lo, s18
.LBB353_1068:                           ;   in Loop: Header=BB353_1059 Depth=1
	s_or_b32 exec_lo, exec_lo, s4
	v_cmp_ne_u16_sdwa s18, v24, v14 src0_sel:BYTE_1 src1_sel:DWORD
	s_and_saveexec_b32 s4, s18
	s_cbranch_execz .LBB353_1076
; %bb.1069:                             ;   in Loop: Header=BB353_1059 Depth=1
	v_cmp_ne_u16_sdwa s19, v24, v80 src0_sel:BYTE_1 src1_sel:DWORD
	v_bfrev_b32_e32 v1, 1
	s_and_saveexec_b32 s18, s19
	s_cbranch_execz .LBB353_1075
; %bb.1070:                             ;   in Loop: Header=BB353_1059 Depth=1
	v_mov_b32_e32 v1, 0xffff
	s_mov_b32 s19, exec_lo
	v_and_b32_sdwa v13, v1, v24 dst_sel:DWORD dst_unused:UNUSED_PAD src0_sel:DWORD src1_sel:BYTE_1
	v_mov_b32_e32 v1, 0x7f800001
	v_and_b32_e32 v12, 0x7f, v13
	v_cmpx_ne_u32_e32 0x7f, v12
	s_cbranch_execz .LBB353_1074
; %bb.1071:                             ;   in Loop: Header=BB353_1059 Depth=1
	v_and_b32_e32 v13, 7, v13
	v_mov_b32_e32 v27, v14
	v_lshrrev_b32_e32 v1, 3, v12
	s_mov_b32 s20, exec_lo
	v_mov_b32_e32 v26, v13
	v_cmpx_gt_u32_e32 8, v12
; %bb.1072:                             ;   in Loop: Header=BB353_1059 Depth=1
	v_ffbh_u32_e32 v1, v13
	v_min_u32_e32 v1, 32, v1
	v_subrev_nc_u32_e32 v12, 28, v1
	v_sub_nc_u32_e32 v1, 29, v1
	v_lshlrev_b64 v[12:13], v12, v[13:14]
	v_and_b32_e32 v26, 7, v12
; %bb.1073:                             ;   in Loop: Header=BB353_1059 Depth=1
	s_or_b32 exec_lo, exec_lo, s20
	v_lshlrev_b32_e32 v12, 16, v24
	v_lshlrev_b32_e32 v13, 20, v26
	v_lshl_add_u32 v1, v1, 23, 0x3c000000
	v_and_b32_e32 v12, 0x80000000, v12
	v_or3_b32 v1, v13, v12, v1
.LBB353_1074:                           ;   in Loop: Header=BB353_1059 Depth=1
	s_or_b32 exec_lo, exec_lo, s19
.LBB353_1075:                           ;   in Loop: Header=BB353_1059 Depth=1
	s_or_b32 exec_lo, exec_lo, s18
.LBB353_1076:                           ;   in Loop: Header=BB353_1059 Depth=1
	s_or_b32 exec_lo, exec_lo, s4
	v_and_b32_sdwa v13, v24, v82 dst_sel:DWORD dst_unused:UNUSED_PAD src0_sel:WORD_1 src1_sel:DWORD
	v_mov_b32_e32 v15, 0
	v_mov_b32_e32 v12, 0
	s_mov_b32 s4, exec_lo
	v_cmpx_ne_u16_e32 0, v13
	s_cbranch_execz .LBB353_1084
; %bb.1077:                             ;   in Loop: Header=BB353_1059 Depth=1
	v_bfrev_b32_e32 v12, 1
	s_mov_b32 s18, exec_lo
	v_cmpx_ne_u16_e32 0x80, v13
	s_cbranch_execz .LBB353_1083
; %bb.1078:                             ;   in Loop: Header=BB353_1059 Depth=1
	v_bfe_u32 v16, v24, 16, 7
	v_mov_b32_e32 v12, 0x7f800001
	s_mov_b32 s19, exec_lo
	v_cmpx_ne_u32_e32 0x7f, v16
	s_cbranch_execz .LBB353_1082
; %bb.1079:                             ;   in Loop: Header=BB353_1059 Depth=1
	v_mov_b32_e32 v12, 7
	s_mov_b32 s20, exec_lo
	v_and_b32_sdwa v13, v24, v12 dst_sel:DWORD dst_unused:UNUSED_PAD src0_sel:WORD_1 src1_sel:DWORD
	v_mov_b32_e32 v27, v14
	v_lshrrev_b32_e32 v12, 3, v16
	v_mov_b32_e32 v26, v13
	v_cmpx_gt_u32_e32 8, v16
; %bb.1080:                             ;   in Loop: Header=BB353_1059 Depth=1
	v_ffbh_u32_e32 v12, v13
	v_min_u32_e32 v12, 32, v12
	v_subrev_nc_u32_e32 v16, 28, v12
	v_sub_nc_u32_e32 v12, 29, v12
	v_lshlrev_b64 v[16:17], v16, v[13:14]
	v_and_b32_e32 v26, 7, v16
; %bb.1081:                             ;   in Loop: Header=BB353_1059 Depth=1
	s_or_b32 exec_lo, exec_lo, s20
	v_mov_b32_e32 v13, 24
	v_lshlrev_b32_e32 v16, 20, v26
	v_lshl_add_u32 v12, v12, 23, 0x3c000000
	v_lshlrev_b32_sdwa v13, v13, v24 dst_sel:DWORD dst_unused:UNUSED_PAD src0_sel:DWORD src1_sel:WORD_1
	v_and_b32_e32 v13, 0x80000000, v13
	v_or3_b32 v12, v16, v13, v12
.LBB353_1082:                           ;   in Loop: Header=BB353_1059 Depth=1
	s_or_b32 exec_lo, exec_lo, s19
.LBB353_1083:                           ;   in Loop: Header=BB353_1059 Depth=1
	s_or_b32 exec_lo, exec_lo, s18
.LBB353_1084:                           ;   in Loop: Header=BB353_1059 Depth=1
	s_or_b32 exec_lo, exec_lo, s4
	s_mov_b32 s4, exec_lo
	v_cmpx_lt_u32_e32 0xffffff, v24
	s_cbranch_execz .LBB353_1092
; %bb.1085:                             ;   in Loop: Header=BB353_1059 Depth=1
	v_cmp_ne_u32_sdwa s19, v24, v80 src0_sel:BYTE_3 src1_sel:DWORD
	v_bfrev_b32_e32 v15, 1
	s_and_saveexec_b32 s18, s19
	s_cbranch_execz .LBB353_1091
; %bb.1086:                             ;   in Loop: Header=BB353_1059 Depth=1
	v_bfe_u32 v16, v24, 24, 7
	v_mov_b32_e32 v15, 0x7f800001
	s_mov_b32 s19, exec_lo
	v_cmpx_ne_u32_e32 0x7f, v16
	s_cbranch_execz .LBB353_1090
; %bb.1087:                             ;   in Loop: Header=BB353_1059 Depth=1
	v_mov_b32_e32 v13, 7
	v_lshrrev_b32_e32 v15, 3, v16
	s_mov_b32 s20, exec_lo
	v_and_b32_sdwa v13, v24, v13 dst_sel:DWORD dst_unused:UNUSED_PAD src0_sel:BYTE_3 src1_sel:DWORD
	v_mov_b32_e32 v27, v14
	v_mov_b32_e32 v26, v13
	v_cmpx_gt_u32_e32 8, v16
; %bb.1088:                             ;   in Loop: Header=BB353_1059 Depth=1
	v_ffbh_u32_e32 v15, v13
	v_min_u32_e32 v15, 32, v15
	v_subrev_nc_u32_e32 v16, 28, v15
	v_sub_nc_u32_e32 v15, 29, v15
	v_lshlrev_b64 v[16:17], v16, v[13:14]
	v_and_b32_e32 v26, 7, v16
; %bb.1089:                             ;   in Loop: Header=BB353_1059 Depth=1
	s_or_b32 exec_lo, exec_lo, s20
	v_mov_b32_e32 v13, 24
	v_lshlrev_b32_e32 v16, 20, v26
	v_lshl_add_u32 v15, v15, 23, 0x3c000000
	v_lshlrev_b32_sdwa v13, v13, v24 dst_sel:DWORD dst_unused:UNUSED_PAD src0_sel:DWORD src1_sel:BYTE_3
	v_and_b32_e32 v13, 0x80000000, v13
	v_or3_b32 v15, v16, v13, v15
.LBB353_1090:                           ;   in Loop: Header=BB353_1059 Depth=1
	s_or_b32 exec_lo, exec_lo, s19
.LBB353_1091:                           ;   in Loop: Header=BB353_1059 Depth=1
	s_or_b32 exec_lo, exec_lo, s18
.LBB353_1092:                           ;   in Loop: Header=BB353_1059 Depth=1
	s_or_b32 exec_lo, exec_lo, s4
	v_mov_b32_e32 v13, v25
	v_cmp_ne_u16_sdwa s18, v25, v14 src0_sel:BYTE_0 src1_sel:DWORD
	v_mov_b32_e32 v17, 0
	v_mov_b32_e32 v16, 0
	s_and_saveexec_b32 s4, s18
	s_cbranch_execz .LBB353_1100
; %bb.1093:                             ;   in Loop: Header=BB353_1059 Depth=1
	v_cmp_ne_u16_sdwa s19, v25, v80 src0_sel:BYTE_0 src1_sel:DWORD
	v_bfrev_b32_e32 v16, 1
	s_and_saveexec_b32 s18, s19
	s_cbranch_execz .LBB353_1099
; %bb.1094:                             ;   in Loop: Header=BB353_1059 Depth=1
	v_and_b32_e32 v18, 0x7f, v25
	v_mov_b32_e32 v16, 0x7f800001
	s_mov_b32 s19, exec_lo
	v_cmpx_ne_u32_e32 0x7f, v18
	s_cbranch_execz .LBB353_1098
; %bb.1095:                             ;   in Loop: Header=BB353_1059 Depth=1
	v_mov_b32_e32 v27, v14
	v_lshrrev_b32_e32 v16, 3, v18
	v_mov_b32_e32 v26, v13
	s_mov_b32 s20, exec_lo
	v_cmpx_gt_u32_e32 8, v18
; %bb.1096:                             ;   in Loop: Header=BB353_1059 Depth=1
	v_and_b32_e32 v16, 7, v25
	v_ffbh_u32_e32 v16, v16
	v_min_u32_e32 v16, 32, v16
	v_subrev_nc_u32_e32 v18, 28, v16
	v_sub_nc_u32_e32 v16, 29, v16
	v_lshlrev_b64 v[26:27], v18, v[13:14]
; %bb.1097:                             ;   in Loop: Header=BB353_1059 Depth=1
	s_or_b32 exec_lo, exec_lo, s20
	v_lshlrev_b32_e32 v18, 20, v26
	v_lshlrev_b32_e32 v21, 24, v13
	v_lshl_add_u32 v16, v16, 23, 0x3c000000
	v_and_b32_e32 v18, 0x700000, v18
	v_and_b32_e32 v21, 0x80000000, v21
	v_or3_b32 v16, v18, v21, v16
.LBB353_1098:                           ;   in Loop: Header=BB353_1059 Depth=1
	s_or_b32 exec_lo, exec_lo, s19
.LBB353_1099:                           ;   in Loop: Header=BB353_1059 Depth=1
	s_or_b32 exec_lo, exec_lo, s18
.LBB353_1100:                           ;   in Loop: Header=BB353_1059 Depth=1
	s_or_b32 exec_lo, exec_lo, s4
	v_cmp_ne_u16_sdwa s18, v13, v14 src0_sel:BYTE_1 src1_sel:DWORD
	s_and_saveexec_b32 s4, s18
	s_cbranch_execz .LBB353_1108
; %bb.1101:                             ;   in Loop: Header=BB353_1059 Depth=1
	v_cmp_ne_u16_sdwa s19, v13, v80 src0_sel:BYTE_1 src1_sel:DWORD
	v_bfrev_b32_e32 v17, 1
	s_and_saveexec_b32 s18, s19
	s_cbranch_execz .LBB353_1107
; %bb.1102:                             ;   in Loop: Header=BB353_1059 Depth=1
	v_mov_b32_e32 v17, 0xffff
	s_mov_b32 s19, exec_lo
	v_and_b32_sdwa v21, v17, v13 dst_sel:DWORD dst_unused:UNUSED_PAD src0_sel:DWORD src1_sel:BYTE_1
	v_mov_b32_e32 v17, 0x7f800001
	v_and_b32_e32 v18, 0x7f, v21
	v_cmpx_ne_u32_e32 0x7f, v18
	s_cbranch_execz .LBB353_1106
; %bb.1103:                             ;   in Loop: Header=BB353_1059 Depth=1
	v_and_b32_e32 v26, 7, v21
	v_mov_b32_e32 v27, v14
	v_lshrrev_b32_e32 v17, 3, v18
	s_mov_b32 s20, exec_lo
	v_cmpx_gt_u32_e32 8, v18
; %bb.1104:                             ;   in Loop: Header=BB353_1059 Depth=1
	v_ffbh_u32_e32 v17, v26
	v_min_u32_e32 v17, 32, v17
	v_subrev_nc_u32_e32 v18, 28, v17
	v_sub_nc_u32_e32 v17, 29, v17
	v_lshlrev_b64 v[21:22], v18, v[26:27]
	v_and_b32_e32 v26, 7, v21
; %bb.1105:                             ;   in Loop: Header=BB353_1059 Depth=1
	s_or_b32 exec_lo, exec_lo, s20
	v_lshlrev_b32_e32 v13, 16, v13
	v_lshlrev_b32_e32 v18, 20, v26
	v_lshl_add_u32 v17, v17, 23, 0x3c000000
	v_and_b32_e32 v13, 0x80000000, v13
	v_or3_b32 v17, v18, v13, v17
.LBB353_1106:                           ;   in Loop: Header=BB353_1059 Depth=1
	s_or_b32 exec_lo, exec_lo, s19
.LBB353_1107:                           ;   in Loop: Header=BB353_1059 Depth=1
	s_or_b32 exec_lo, exec_lo, s18
.LBB353_1108:                           ;   in Loop: Header=BB353_1059 Depth=1
	s_or_b32 exec_lo, exec_lo, s4
	v_and_b32_sdwa v13, v25, v82 dst_sel:DWORD dst_unused:UNUSED_PAD src0_sel:WORD_1 src1_sel:DWORD
	v_mov_b32_e32 v18, 0
	v_mov_b32_e32 v21, 0
	s_mov_b32 s4, exec_lo
	v_cmpx_ne_u16_e32 0, v13
	s_cbranch_execz .LBB353_1116
; %bb.1109:                             ;   in Loop: Header=BB353_1059 Depth=1
	v_bfrev_b32_e32 v21, 1
	s_mov_b32 s18, exec_lo
	v_cmpx_ne_u16_e32 0x80, v13
	s_cbranch_execz .LBB353_1115
; %bb.1110:                             ;   in Loop: Header=BB353_1059 Depth=1
	v_bfe_u32 v22, v25, 16, 7
	v_mov_b32_e32 v21, 0x7f800001
	s_mov_b32 s19, exec_lo
	v_cmpx_ne_u32_e32 0x7f, v22
	s_cbranch_execz .LBB353_1114
; %bb.1111:                             ;   in Loop: Header=BB353_1059 Depth=1
	v_mov_b32_e32 v13, 7
	v_lshrrev_b32_e32 v21, 3, v22
	s_mov_b32 s20, exec_lo
	v_and_b32_sdwa v13, v25, v13 dst_sel:DWORD dst_unused:UNUSED_PAD src0_sel:WORD_1 src1_sel:DWORD
	v_mov_b32_e32 v27, v14
	v_mov_b32_e32 v26, v13
	v_cmpx_gt_u32_e32 8, v22
; %bb.1112:                             ;   in Loop: Header=BB353_1059 Depth=1
	v_ffbh_u32_e32 v21, v13
	v_min_u32_e32 v21, 32, v21
	v_subrev_nc_u32_e32 v22, 28, v21
	v_sub_nc_u32_e32 v21, 29, v21
	v_lshlrev_b64 v[22:23], v22, v[13:14]
	v_and_b32_e32 v26, 7, v22
; %bb.1113:                             ;   in Loop: Header=BB353_1059 Depth=1
	s_or_b32 exec_lo, exec_lo, s20
	v_mov_b32_e32 v13, 24
	v_lshlrev_b32_e32 v22, 20, v26
	v_lshl_add_u32 v21, v21, 23, 0x3c000000
	v_lshlrev_b32_sdwa v13, v13, v25 dst_sel:DWORD dst_unused:UNUSED_PAD src0_sel:DWORD src1_sel:WORD_1
	v_and_b32_e32 v13, 0x80000000, v13
	v_or3_b32 v21, v22, v13, v21
.LBB353_1114:                           ;   in Loop: Header=BB353_1059 Depth=1
	s_or_b32 exec_lo, exec_lo, s19
.LBB353_1115:                           ;   in Loop: Header=BB353_1059 Depth=1
	s_or_b32 exec_lo, exec_lo, s18
.LBB353_1116:                           ;   in Loop: Header=BB353_1059 Depth=1
	s_or_b32 exec_lo, exec_lo, s4
	s_mov_b32 s4, exec_lo
	v_cmpx_lt_u64_e64 s[6:7], v[24:25]
	s_cbranch_execz .LBB353_1124
; %bb.1117:                             ;   in Loop: Header=BB353_1059 Depth=1
	v_cmp_ne_u32_sdwa s19, v25, v80 src0_sel:BYTE_3 src1_sel:DWORD
	v_bfrev_b32_e32 v18, 1
	s_and_saveexec_b32 s18, s19
	s_cbranch_execz .LBB353_1123
; %bb.1118:                             ;   in Loop: Header=BB353_1059 Depth=1
	v_bfe_u32 v22, v25, 24, 7
	v_mov_b32_e32 v18, 0x7f800001
	s_mov_b32 s19, exec_lo
	v_cmpx_ne_u32_e32 0x7f, v22
	s_cbranch_execz .LBB353_1122
; %bb.1119:                             ;   in Loop: Header=BB353_1059 Depth=1
	v_mov_b32_e32 v13, 7
	v_lshrrev_b32_e32 v18, 3, v22
	s_mov_b32 s20, exec_lo
	v_and_b32_sdwa v13, v25, v13 dst_sel:DWORD dst_unused:UNUSED_PAD src0_sel:BYTE_3 src1_sel:DWORD
	v_mov_b32_e32 v27, v14
	v_mov_b32_e32 v26, v13
	v_cmpx_gt_u32_e32 8, v22
; %bb.1120:                             ;   in Loop: Header=BB353_1059 Depth=1
	v_ffbh_u32_e32 v18, v13
	v_min_u32_e32 v18, 32, v18
	v_subrev_nc_u32_e32 v22, 28, v18
	v_sub_nc_u32_e32 v18, 29, v18
	v_lshlrev_b64 v[22:23], v22, v[13:14]
	v_and_b32_e32 v26, 7, v22
; %bb.1121:                             ;   in Loop: Header=BB353_1059 Depth=1
	s_or_b32 exec_lo, exec_lo, s20
	v_mov_b32_e32 v13, 24
	v_lshlrev_b32_e32 v22, 20, v26
	v_lshl_add_u32 v18, v18, 23, 0x3c000000
	v_lshlrev_b32_sdwa v13, v13, v25 dst_sel:DWORD dst_unused:UNUSED_PAD src0_sel:DWORD src1_sel:BYTE_3
	v_and_b32_e32 v13, 0x80000000, v13
	v_or3_b32 v18, v22, v13, v18
.LBB353_1122:                           ;   in Loop: Header=BB353_1059 Depth=1
	s_or_b32 exec_lo, exec_lo, s19
.LBB353_1123:                           ;   in Loop: Header=BB353_1059 Depth=1
	s_or_b32 exec_lo, exec_lo, s18
.LBB353_1124:                           ;   in Loop: Header=BB353_1059 Depth=1
	s_or_b32 exec_lo, exec_lo, s4
	s_clause 0x1
	buffer_load_dword v13, off, s[0:3], s32 offset:192
	buffer_load_dword v22, off, s[0:3], s32 offset:444
	s_waitcnt vmcnt(2) lgkmcnt(2)
	v_mul_f32_e32 v17, v72, v17
	v_mul_f32_e32 v16, v72, v16
	;; [unrolled: 1-line block ×5, first 2 shown]
	v_cmp_u_f32_e64 s4, v17, v17
	v_bfe_u32 v23, v16, 16, 1
	v_or_b32_e32 v24, 0x400000, v16
	v_bfe_u32 v25, v15, 16, 1
	v_or_b32_e32 v26, 0x400000, v15
	v_mul_f32_e32 v0, v72, v0
	v_add3_u32 v23, v23, v16, 0x7fff
	s_waitcnt vmcnt(1)
	v_add_nc_u32_e32 v13, -1, v13
	s_waitcnt vmcnt(0)
	v_add_nc_u32_e32 v74, v22, v90
	v_or_b32_e32 v22, 0x400000, v17
	v_cmp_eq_u32_e32 vcc_lo, v13, v96
	v_bfe_u32 v13, v17, 16, 1
	v_add_nc_u32_e32 v89, 1, v74
	v_add_nc_u32_e32 v88, 2, v74
	;; [unrolled: 1-line block ×4, first 2 shown]
	v_add3_u32 v13, v13, v17, 0x7fff
	v_bfe_u32 v17, v12, 16, 1
	v_add_nc_u32_e32 v77, 5, v74
	v_add_nc_u32_e32 v76, 6, v74
	;; [unrolled: 1-line block ×3, first 2 shown]
	v_cndmask_b32_e64 v13, v13, v22, s4
	v_cmp_u_f32_e64 s4, v16, v16
	v_add3_u32 v22, v25, v15, 0x7fff
	v_lshrrev_b32_e32 v13, 16, v13
	v_cndmask_b32_e64 v16, v23, v24, s4
	v_cmp_u_f32_e64 s4, v15, v15
	v_add3_u32 v15, v17, v12, 0x7fff
	v_or_b32_e32 v17, 0x400000, v12
	buffer_store_dword v13, off, s[0:3], s32 offset:232 ; 4-byte Folded Spill
	v_lshrrev_b32_e32 v16, 16, v16
	v_cndmask_b32_e64 v13, v22, v26, s4
	v_cmp_u_f32_e64 s4, v12, v12
	buffer_store_dword v16, off, s[0:3], s32 offset:224 ; 4-byte Folded Spill
	v_lshrrev_b32_e32 v13, 16, v13
	v_cndmask_b32_e64 v12, v15, v17, s4
	v_mul_f32_e32 v15, v72, v21
	v_or_b32_e32 v16, 0x400000, v1
	v_mul_f32_e32 v17, v72, v18
	buffer_store_dword v13, off, s[0:3], s32 offset:240 ; 4-byte Folded Spill
	v_bfe_u32 v13, v1, 16, 1
	v_bfe_u32 v18, v0, 16, 1
	v_cmp_u_f32_e64 s4, v1, v1
	v_bfe_u32 v21, v15, 16, 1
	v_or_b32_e32 v22, 0x400000, v15
	v_add3_u32 v13, v13, v1, 0x7fff
	v_or_b32_e32 v23, 0x400000, v17
	v_lshrrev_b32_e32 v12, 16, v12
	v_add3_u32 v21, v21, v15, 0x7fff
	v_cndmask_b32_e64 v1, v13, v16, s4
	v_add3_u32 v16, v18, v0, 0x7fff
	v_or_b32_e32 v18, 0x400000, v0
	v_cmp_u_f32_e64 s4, v0, v0
	v_bfe_u32 v13, v17, 16, 1
	v_lshrrev_b32_e32 v1, 16, v1
	buffer_store_dword v12, off, s[0:3], s32 offset:236 ; 4-byte Folded Spill
	v_cndmask_b32_e64 v0, v16, v18, s4
	v_cmp_u_f32_e64 s4, v15, v15
	v_add3_u32 v13, v13, v17, 0x7fff
	buffer_store_dword v1, off, s[0:3], s32 offset:248 ; 4-byte Folded Spill
	v_lshrrev_b32_e32 v0, 16, v0
	v_cndmask_b32_e64 v15, v21, v22, s4
	v_cmp_u_f32_e64 s4, v17, v17
	buffer_store_dword v0, off, s[0:3], s32 offset:244 ; 4-byte Folded Spill
	v_lshrrev_b32_e32 v0, 16, v15
	v_cndmask_b32_e64 v13, v13, v23, s4
	buffer_store_dword v0, off, s[0:3], s32 offset:220 ; 4-byte Folded Spill
	v_lshrrev_b32_e32 v0, 16, v13
	buffer_store_dword v0, off, s[0:3], s32 offset:228 ; 4-byte Folded Spill
	s_and_saveexec_b32 s18, vcc_lo
	s_cbranch_execz .LBB353_1126
; %bb.1125:                             ;   in Loop: Header=BB353_1059 Depth=1
	buffer_load_dword v0, off, s[0:3], s32 offset:244 ; 4-byte Folded Reload
	v_cmp_lt_i32_e64 s4, v74, v32
	s_waitcnt vmcnt(0)
	v_cndmask_b32_e64 v0, 0, v0, s4
	v_cmp_lt_i32_e64 s4, v89, v32
	buffer_store_dword v0, off, s[0:3], s32 offset:244 ; 4-byte Folded Spill
	buffer_load_dword v0, off, s[0:3], s32 offset:248 ; 4-byte Folded Reload
	s_waitcnt vmcnt(0)
	v_cndmask_b32_e64 v0, 0, v0, s4
	v_cmp_lt_i32_e64 s4, v88, v32
	buffer_store_dword v0, off, s[0:3], s32 offset:248 ; 4-byte Folded Spill
	buffer_load_dword v0, off, s[0:3], s32 offset:236 ; 4-byte Folded Reload
	;; [unrolled: 5-line block ×7, first 2 shown]
	s_waitcnt vmcnt(0)
	v_cndmask_b32_e64 v0, 0, v0, s4
	buffer_store_dword v0, off, s[0:3], s32 offset:228 ; 4-byte Folded Spill
.LBB353_1126:                           ;   in Loop: Header=BB353_1059 Depth=1
	s_or_b32 exec_lo, exec_lo, s18
	flat_load_dwordx2 v[24:25], v[19:20] offset:256
	v_mov_b32_e32 v1, 0
	v_mov_b32_e32 v0, 0
	s_waitcnt vmcnt(0) lgkmcnt(0)
	v_cmp_ne_u16_sdwa s4, v24, v14 src0_sel:BYTE_0 src1_sel:DWORD
	s_and_saveexec_b32 s18, s4
	s_cbranch_execz .LBB353_1134
; %bb.1127:                             ;   in Loop: Header=BB353_1059 Depth=1
	v_cmp_ne_u16_sdwa s4, v24, v80 src0_sel:BYTE_0 src1_sel:DWORD
	v_bfrev_b32_e32 v0, 1
	s_and_saveexec_b32 s19, s4
	s_cbranch_execz .LBB353_1133
; %bb.1128:                             ;   in Loop: Header=BB353_1059 Depth=1
	v_and_b32_e32 v12, 0x7f, v24
	v_mov_b32_e32 v0, 0x7f800001
	s_mov_b32 s20, exec_lo
	v_cmpx_ne_u32_e32 0x7f, v12
	s_cbranch_execz .LBB353_1132
; %bb.1129:                             ;   in Loop: Header=BB353_1059 Depth=1
	v_mov_b32_e32 v27, v25
	v_lshrrev_b32_e32 v0, 3, v12
	v_mov_b32_e32 v26, v24
	s_mov_b32 s21, exec_lo
	v_cmpx_gt_u32_e32 8, v12
; %bb.1130:                             ;   in Loop: Header=BB353_1059 Depth=1
	v_and_b32_e32 v0, 7, v24
	v_ffbh_u32_e32 v0, v0
	v_min_u32_e32 v0, 32, v0
	v_subrev_nc_u32_e32 v12, 28, v0
	v_sub_nc_u32_e32 v0, 29, v0
	v_lshlrev_b64 v[26:27], v12, v[24:25]
; %bb.1131:                             ;   in Loop: Header=BB353_1059 Depth=1
	s_or_b32 exec_lo, exec_lo, s21
	v_lshlrev_b32_e32 v12, 20, v26
	v_lshlrev_b32_e32 v13, 24, v24
	v_lshl_add_u32 v0, v0, 23, 0x3c000000
	v_and_b32_e32 v12, 0x700000, v12
	v_and_b32_e32 v13, 0x80000000, v13
	v_or3_b32 v0, v12, v13, v0
.LBB353_1132:                           ;   in Loop: Header=BB353_1059 Depth=1
	s_or_b32 exec_lo, exec_lo, s20
.LBB353_1133:                           ;   in Loop: Header=BB353_1059 Depth=1
	s_or_b32 exec_lo, exec_lo, s19
.LBB353_1134:                           ;   in Loop: Header=BB353_1059 Depth=1
	s_or_b32 exec_lo, exec_lo, s18
	v_cmp_ne_u16_sdwa s4, v24, v14 src0_sel:BYTE_1 src1_sel:DWORD
	s_and_saveexec_b32 s18, s4
	s_cbranch_execz .LBB353_1142
; %bb.1135:                             ;   in Loop: Header=BB353_1059 Depth=1
	v_cmp_ne_u16_sdwa s4, v24, v80 src0_sel:BYTE_1 src1_sel:DWORD
	v_bfrev_b32_e32 v1, 1
	s_and_saveexec_b32 s19, s4
	s_cbranch_execz .LBB353_1141
; %bb.1136:                             ;   in Loop: Header=BB353_1059 Depth=1
	v_mov_b32_e32 v1, 0xffff
	s_mov_b32 s20, exec_lo
	v_and_b32_sdwa v13, v1, v24 dst_sel:DWORD dst_unused:UNUSED_PAD src0_sel:DWORD src1_sel:BYTE_1
	v_mov_b32_e32 v1, 0x7f800001
	v_and_b32_e32 v12, 0x7f, v13
	v_cmpx_ne_u32_e32 0x7f, v12
	s_cbranch_execz .LBB353_1140
; %bb.1137:                             ;   in Loop: Header=BB353_1059 Depth=1
	v_and_b32_e32 v13, 7, v13
	v_mov_b32_e32 v27, v14
	v_lshrrev_b32_e32 v1, 3, v12
	s_mov_b32 s21, exec_lo
	v_mov_b32_e32 v26, v13
	v_cmpx_gt_u32_e32 8, v12
; %bb.1138:                             ;   in Loop: Header=BB353_1059 Depth=1
	v_ffbh_u32_e32 v1, v13
	v_min_u32_e32 v1, 32, v1
	v_subrev_nc_u32_e32 v12, 28, v1
	v_sub_nc_u32_e32 v1, 29, v1
	v_lshlrev_b64 v[12:13], v12, v[13:14]
	v_and_b32_e32 v26, 7, v12
; %bb.1139:                             ;   in Loop: Header=BB353_1059 Depth=1
	s_or_b32 exec_lo, exec_lo, s21
	v_lshlrev_b32_e32 v12, 16, v24
	v_lshlrev_b32_e32 v13, 20, v26
	v_lshl_add_u32 v1, v1, 23, 0x3c000000
	v_and_b32_e32 v12, 0x80000000, v12
	v_or3_b32 v1, v13, v12, v1
.LBB353_1140:                           ;   in Loop: Header=BB353_1059 Depth=1
	s_or_b32 exec_lo, exec_lo, s20
.LBB353_1141:                           ;   in Loop: Header=BB353_1059 Depth=1
	s_or_b32 exec_lo, exec_lo, s19
.LBB353_1142:                           ;   in Loop: Header=BB353_1059 Depth=1
	s_or_b32 exec_lo, exec_lo, s18
	v_and_b32_sdwa v13, v24, v82 dst_sel:DWORD dst_unused:UNUSED_PAD src0_sel:WORD_1 src1_sel:DWORD
	v_mov_b32_e32 v15, 0
	v_mov_b32_e32 v12, 0
	s_mov_b32 s18, exec_lo
	v_cmpx_ne_u16_e32 0, v13
	s_cbranch_execz .LBB353_1150
; %bb.1143:                             ;   in Loop: Header=BB353_1059 Depth=1
	v_bfrev_b32_e32 v12, 1
	s_mov_b32 s19, exec_lo
	v_cmpx_ne_u16_e32 0x80, v13
	s_cbranch_execz .LBB353_1149
; %bb.1144:                             ;   in Loop: Header=BB353_1059 Depth=1
	v_bfe_u32 v16, v24, 16, 7
	v_mov_b32_e32 v12, 0x7f800001
	s_mov_b32 s20, exec_lo
	v_cmpx_ne_u32_e32 0x7f, v16
	s_cbranch_execz .LBB353_1148
; %bb.1145:                             ;   in Loop: Header=BB353_1059 Depth=1
	v_mov_b32_e32 v12, 7
	s_mov_b32 s21, exec_lo
	v_and_b32_sdwa v13, v24, v12 dst_sel:DWORD dst_unused:UNUSED_PAD src0_sel:WORD_1 src1_sel:DWORD
	v_mov_b32_e32 v27, v14
	v_lshrrev_b32_e32 v12, 3, v16
	v_mov_b32_e32 v26, v13
	v_cmpx_gt_u32_e32 8, v16
; %bb.1146:                             ;   in Loop: Header=BB353_1059 Depth=1
	v_ffbh_u32_e32 v12, v13
	v_min_u32_e32 v12, 32, v12
	v_subrev_nc_u32_e32 v16, 28, v12
	v_sub_nc_u32_e32 v12, 29, v12
	v_lshlrev_b64 v[16:17], v16, v[13:14]
	v_and_b32_e32 v26, 7, v16
; %bb.1147:                             ;   in Loop: Header=BB353_1059 Depth=1
	s_or_b32 exec_lo, exec_lo, s21
	v_mov_b32_e32 v13, 24
	v_lshlrev_b32_e32 v16, 20, v26
	v_lshl_add_u32 v12, v12, 23, 0x3c000000
	v_lshlrev_b32_sdwa v13, v13, v24 dst_sel:DWORD dst_unused:UNUSED_PAD src0_sel:DWORD src1_sel:WORD_1
	v_and_b32_e32 v13, 0x80000000, v13
	v_or3_b32 v12, v16, v13, v12
.LBB353_1148:                           ;   in Loop: Header=BB353_1059 Depth=1
	s_or_b32 exec_lo, exec_lo, s20
.LBB353_1149:                           ;   in Loop: Header=BB353_1059 Depth=1
	s_or_b32 exec_lo, exec_lo, s19
.LBB353_1150:                           ;   in Loop: Header=BB353_1059 Depth=1
	s_or_b32 exec_lo, exec_lo, s18
	s_mov_b32 s18, exec_lo
	v_cmpx_lt_u32_e32 0xffffff, v24
	s_cbranch_execz .LBB353_1158
; %bb.1151:                             ;   in Loop: Header=BB353_1059 Depth=1
	v_cmp_ne_u32_sdwa s4, v24, v80 src0_sel:BYTE_3 src1_sel:DWORD
	v_bfrev_b32_e32 v15, 1
	s_and_saveexec_b32 s19, s4
	s_cbranch_execz .LBB353_1157
; %bb.1152:                             ;   in Loop: Header=BB353_1059 Depth=1
	v_bfe_u32 v16, v24, 24, 7
	v_mov_b32_e32 v15, 0x7f800001
	s_mov_b32 s20, exec_lo
	v_cmpx_ne_u32_e32 0x7f, v16
	s_cbranch_execz .LBB353_1156
; %bb.1153:                             ;   in Loop: Header=BB353_1059 Depth=1
	v_mov_b32_e32 v13, 7
	v_lshrrev_b32_e32 v15, 3, v16
	s_mov_b32 s21, exec_lo
	v_and_b32_sdwa v13, v24, v13 dst_sel:DWORD dst_unused:UNUSED_PAD src0_sel:BYTE_3 src1_sel:DWORD
	v_mov_b32_e32 v27, v14
	v_mov_b32_e32 v26, v13
	v_cmpx_gt_u32_e32 8, v16
; %bb.1154:                             ;   in Loop: Header=BB353_1059 Depth=1
	v_ffbh_u32_e32 v15, v13
	v_min_u32_e32 v15, 32, v15
	v_subrev_nc_u32_e32 v16, 28, v15
	v_sub_nc_u32_e32 v15, 29, v15
	v_lshlrev_b64 v[16:17], v16, v[13:14]
	v_and_b32_e32 v26, 7, v16
; %bb.1155:                             ;   in Loop: Header=BB353_1059 Depth=1
	s_or_b32 exec_lo, exec_lo, s21
	v_mov_b32_e32 v13, 24
	v_lshlrev_b32_e32 v16, 20, v26
	v_lshl_add_u32 v15, v15, 23, 0x3c000000
	v_lshlrev_b32_sdwa v13, v13, v24 dst_sel:DWORD dst_unused:UNUSED_PAD src0_sel:DWORD src1_sel:BYTE_3
	v_and_b32_e32 v13, 0x80000000, v13
	v_or3_b32 v15, v16, v13, v15
.LBB353_1156:                           ;   in Loop: Header=BB353_1059 Depth=1
	s_or_b32 exec_lo, exec_lo, s20
.LBB353_1157:                           ;   in Loop: Header=BB353_1059 Depth=1
	s_or_b32 exec_lo, exec_lo, s19
.LBB353_1158:                           ;   in Loop: Header=BB353_1059 Depth=1
	s_or_b32 exec_lo, exec_lo, s18
	v_mov_b32_e32 v13, v25
	v_cmp_ne_u16_sdwa s4, v25, v14 src0_sel:BYTE_0 src1_sel:DWORD
	v_mov_b32_e32 v17, 0
	v_mov_b32_e32 v16, 0
	s_and_saveexec_b32 s18, s4
	s_cbranch_execz .LBB353_1166
; %bb.1159:                             ;   in Loop: Header=BB353_1059 Depth=1
	v_cmp_ne_u16_sdwa s4, v25, v80 src0_sel:BYTE_0 src1_sel:DWORD
	v_bfrev_b32_e32 v16, 1
	s_and_saveexec_b32 s19, s4
	s_cbranch_execz .LBB353_1165
; %bb.1160:                             ;   in Loop: Header=BB353_1059 Depth=1
	v_and_b32_e32 v18, 0x7f, v25
	v_mov_b32_e32 v16, 0x7f800001
	s_mov_b32 s20, exec_lo
	v_cmpx_ne_u32_e32 0x7f, v18
	s_cbranch_execz .LBB353_1164
; %bb.1161:                             ;   in Loop: Header=BB353_1059 Depth=1
	v_mov_b32_e32 v27, v14
	v_lshrrev_b32_e32 v16, 3, v18
	v_mov_b32_e32 v26, v13
	s_mov_b32 s21, exec_lo
	v_cmpx_gt_u32_e32 8, v18
; %bb.1162:                             ;   in Loop: Header=BB353_1059 Depth=1
	v_and_b32_e32 v16, 7, v25
	v_ffbh_u32_e32 v16, v16
	v_min_u32_e32 v16, 32, v16
	v_subrev_nc_u32_e32 v18, 28, v16
	v_sub_nc_u32_e32 v16, 29, v16
	v_lshlrev_b64 v[26:27], v18, v[13:14]
; %bb.1163:                             ;   in Loop: Header=BB353_1059 Depth=1
	s_or_b32 exec_lo, exec_lo, s21
	v_lshlrev_b32_e32 v18, 20, v26
	v_lshlrev_b32_e32 v21, 24, v13
	v_lshl_add_u32 v16, v16, 23, 0x3c000000
	v_and_b32_e32 v18, 0x700000, v18
	v_and_b32_e32 v21, 0x80000000, v21
	v_or3_b32 v16, v18, v21, v16
.LBB353_1164:                           ;   in Loop: Header=BB353_1059 Depth=1
	s_or_b32 exec_lo, exec_lo, s20
.LBB353_1165:                           ;   in Loop: Header=BB353_1059 Depth=1
	s_or_b32 exec_lo, exec_lo, s19
.LBB353_1166:                           ;   in Loop: Header=BB353_1059 Depth=1
	s_or_b32 exec_lo, exec_lo, s18
	v_cmp_ne_u16_sdwa s4, v13, v14 src0_sel:BYTE_1 src1_sel:DWORD
	s_and_saveexec_b32 s18, s4
	s_cbranch_execz .LBB353_1174
; %bb.1167:                             ;   in Loop: Header=BB353_1059 Depth=1
	v_cmp_ne_u16_sdwa s4, v13, v80 src0_sel:BYTE_1 src1_sel:DWORD
	v_bfrev_b32_e32 v17, 1
	s_and_saveexec_b32 s19, s4
	s_cbranch_execz .LBB353_1173
; %bb.1168:                             ;   in Loop: Header=BB353_1059 Depth=1
	v_mov_b32_e32 v17, 0xffff
	s_mov_b32 s20, exec_lo
	v_and_b32_sdwa v21, v17, v13 dst_sel:DWORD dst_unused:UNUSED_PAD src0_sel:DWORD src1_sel:BYTE_1
	v_mov_b32_e32 v17, 0x7f800001
	v_and_b32_e32 v18, 0x7f, v21
	v_cmpx_ne_u32_e32 0x7f, v18
	s_cbranch_execz .LBB353_1172
; %bb.1169:                             ;   in Loop: Header=BB353_1059 Depth=1
	v_and_b32_e32 v26, 7, v21
	v_mov_b32_e32 v27, v14
	v_lshrrev_b32_e32 v17, 3, v18
	s_mov_b32 s21, exec_lo
	v_cmpx_gt_u32_e32 8, v18
; %bb.1170:                             ;   in Loop: Header=BB353_1059 Depth=1
	v_ffbh_u32_e32 v17, v26
	v_min_u32_e32 v17, 32, v17
	v_subrev_nc_u32_e32 v18, 28, v17
	v_sub_nc_u32_e32 v17, 29, v17
	v_lshlrev_b64 v[21:22], v18, v[26:27]
	v_and_b32_e32 v26, 7, v21
; %bb.1171:                             ;   in Loop: Header=BB353_1059 Depth=1
	s_or_b32 exec_lo, exec_lo, s21
	v_lshlrev_b32_e32 v13, 16, v13
	v_lshlrev_b32_e32 v18, 20, v26
	v_lshl_add_u32 v17, v17, 23, 0x3c000000
	v_and_b32_e32 v13, 0x80000000, v13
	v_or3_b32 v17, v18, v13, v17
.LBB353_1172:                           ;   in Loop: Header=BB353_1059 Depth=1
	s_or_b32 exec_lo, exec_lo, s20
.LBB353_1173:                           ;   in Loop: Header=BB353_1059 Depth=1
	s_or_b32 exec_lo, exec_lo, s19
.LBB353_1174:                           ;   in Loop: Header=BB353_1059 Depth=1
	s_or_b32 exec_lo, exec_lo, s18
	v_and_b32_sdwa v13, v25, v82 dst_sel:DWORD dst_unused:UNUSED_PAD src0_sel:WORD_1 src1_sel:DWORD
	v_mov_b32_e32 v18, 0
	v_mov_b32_e32 v21, 0
	s_mov_b32 s18, exec_lo
	v_cmpx_ne_u16_e32 0, v13
	s_cbranch_execz .LBB353_1182
; %bb.1175:                             ;   in Loop: Header=BB353_1059 Depth=1
	v_bfrev_b32_e32 v21, 1
	s_mov_b32 s19, exec_lo
	v_cmpx_ne_u16_e32 0x80, v13
	s_cbranch_execz .LBB353_1181
; %bb.1176:                             ;   in Loop: Header=BB353_1059 Depth=1
	v_bfe_u32 v22, v25, 16, 7
	v_mov_b32_e32 v21, 0x7f800001
	s_mov_b32 s20, exec_lo
	v_cmpx_ne_u32_e32 0x7f, v22
	s_cbranch_execz .LBB353_1180
; %bb.1177:                             ;   in Loop: Header=BB353_1059 Depth=1
	v_mov_b32_e32 v13, 7
	v_lshrrev_b32_e32 v21, 3, v22
	s_mov_b32 s21, exec_lo
	v_and_b32_sdwa v13, v25, v13 dst_sel:DWORD dst_unused:UNUSED_PAD src0_sel:WORD_1 src1_sel:DWORD
	v_mov_b32_e32 v27, v14
	v_mov_b32_e32 v26, v13
	v_cmpx_gt_u32_e32 8, v22
; %bb.1178:                             ;   in Loop: Header=BB353_1059 Depth=1
	v_ffbh_u32_e32 v21, v13
	v_min_u32_e32 v21, 32, v21
	v_subrev_nc_u32_e32 v22, 28, v21
	v_sub_nc_u32_e32 v21, 29, v21
	v_lshlrev_b64 v[22:23], v22, v[13:14]
	v_and_b32_e32 v26, 7, v22
; %bb.1179:                             ;   in Loop: Header=BB353_1059 Depth=1
	s_or_b32 exec_lo, exec_lo, s21
	v_mov_b32_e32 v13, 24
	v_lshlrev_b32_e32 v22, 20, v26
	v_lshl_add_u32 v21, v21, 23, 0x3c000000
	v_lshlrev_b32_sdwa v13, v13, v25 dst_sel:DWORD dst_unused:UNUSED_PAD src0_sel:DWORD src1_sel:WORD_1
	v_and_b32_e32 v13, 0x80000000, v13
	v_or3_b32 v21, v22, v13, v21
.LBB353_1180:                           ;   in Loop: Header=BB353_1059 Depth=1
	s_or_b32 exec_lo, exec_lo, s20
.LBB353_1181:                           ;   in Loop: Header=BB353_1059 Depth=1
	s_or_b32 exec_lo, exec_lo, s19
.LBB353_1182:                           ;   in Loop: Header=BB353_1059 Depth=1
	s_or_b32 exec_lo, exec_lo, s18
	s_mov_b32 s18, exec_lo
	v_cmpx_lt_u64_e64 s[6:7], v[24:25]
	s_cbranch_execz .LBB353_1190
; %bb.1183:                             ;   in Loop: Header=BB353_1059 Depth=1
	v_cmp_ne_u32_sdwa s4, v25, v80 src0_sel:BYTE_3 src1_sel:DWORD
	v_bfrev_b32_e32 v18, 1
	s_and_saveexec_b32 s19, s4
	s_cbranch_execz .LBB353_1189
; %bb.1184:                             ;   in Loop: Header=BB353_1059 Depth=1
	v_bfe_u32 v22, v25, 24, 7
	v_mov_b32_e32 v18, 0x7f800001
	s_mov_b32 s20, exec_lo
	v_cmpx_ne_u32_e32 0x7f, v22
	s_cbranch_execz .LBB353_1188
; %bb.1185:                             ;   in Loop: Header=BB353_1059 Depth=1
	v_mov_b32_e32 v13, 7
	v_lshrrev_b32_e32 v18, 3, v22
	s_mov_b32 s21, exec_lo
	v_and_b32_sdwa v13, v25, v13 dst_sel:DWORD dst_unused:UNUSED_PAD src0_sel:BYTE_3 src1_sel:DWORD
	v_mov_b32_e32 v27, v14
	v_mov_b32_e32 v26, v13
	v_cmpx_gt_u32_e32 8, v22
; %bb.1186:                             ;   in Loop: Header=BB353_1059 Depth=1
	v_ffbh_u32_e32 v18, v13
	v_min_u32_e32 v18, 32, v18
	v_subrev_nc_u32_e32 v22, 28, v18
	v_sub_nc_u32_e32 v18, 29, v18
	v_lshlrev_b64 v[22:23], v22, v[13:14]
	v_and_b32_e32 v26, 7, v22
; %bb.1187:                             ;   in Loop: Header=BB353_1059 Depth=1
	s_or_b32 exec_lo, exec_lo, s21
	v_mov_b32_e32 v13, 24
	v_lshlrev_b32_e32 v22, 20, v26
	v_lshl_add_u32 v18, v18, 23, 0x3c000000
	v_lshlrev_b32_sdwa v13, v13, v25 dst_sel:DWORD dst_unused:UNUSED_PAD src0_sel:DWORD src1_sel:BYTE_3
	v_and_b32_e32 v13, 0x80000000, v13
	v_or3_b32 v18, v22, v13, v18
.LBB353_1188:                           ;   in Loop: Header=BB353_1059 Depth=1
	s_or_b32 exec_lo, exec_lo, s20
.LBB353_1189:                           ;   in Loop: Header=BB353_1059 Depth=1
	s_or_b32 exec_lo, exec_lo, s19
.LBB353_1190:                           ;   in Loop: Header=BB353_1059 Depth=1
	s_or_b32 exec_lo, exec_lo, s18
	v_mul_f32_e32 v13, v72, v17
	v_mul_f32_e32 v16, v72, v16
	;; [unrolled: 1-line block ×5, first 2 shown]
	v_bfe_u32 v17, v13, 16, 1
	v_or_b32_e32 v22, 0x400000, v13
	v_bfe_u32 v23, v16, 16, 1
	v_cmp_u_f32_e64 s4, v13, v13
	v_or_b32_e32 v24, 0x400000, v16
	v_add3_u32 v17, v17, v13, 0x7fff
	v_bfe_u32 v25, v15, 16, 1
	v_add3_u32 v23, v23, v16, 0x7fff
	v_or_b32_e32 v26, 0x400000, v15
	v_bfe_u32 v27, v12, 16, 1
	v_cndmask_b32_e64 v13, v17, v22, s4
	v_cmp_u_f32_e64 s4, v16, v16
	v_add3_u32 v25, v25, v15, 0x7fff
	v_or_b32_e32 v17, 0x400000, v12
	v_mul_f32_e32 v0, v72, v0
	v_lshrrev_b32_e32 v13, 16, v13
	v_cndmask_b32_e64 v16, v23, v24, s4
	v_cmp_u_f32_e64 s4, v15, v15
	buffer_store_dword v13, off, s[0:3], s32 offset:264 ; 4-byte Folded Spill
	v_add3_u32 v13, v27, v12, 0x7fff
	v_cndmask_b32_e64 v15, v25, v26, s4
	v_lshrrev_b32_e32 v16, 16, v16
	v_cmp_u_f32_e64 s4, v12, v12
	v_lshrrev_b32_e32 v15, 16, v15
	buffer_store_dword v16, off, s[0:3], s32 offset:260 ; 4-byte Folded Spill
	v_cndmask_b32_e64 v12, v13, v17, s4
	v_mul_f32_e32 v13, v72, v21
	v_or_b32_e32 v16, 0x400000, v1
	buffer_store_dword v15, off, s[0:3], s32 offset:272 ; 4-byte Folded Spill
	v_bfe_u32 v15, v1, 16, 1
	v_mul_f32_e32 v17, v72, v18
	v_bfe_u32 v18, v0, 16, 1
	v_cmp_u_f32_e64 s4, v1, v1
	v_bfe_u32 v21, v13, 16, 1
	v_add3_u32 v15, v15, v1, 0x7fff
	v_or_b32_e32 v22, 0x400000, v13
	v_or_b32_e32 v23, 0x400000, v17
	v_lshrrev_b32_e32 v12, 16, v12
	v_add3_u32 v21, v21, v13, 0x7fff
	v_cndmask_b32_e64 v1, v15, v16, s4
	v_add3_u32 v16, v18, v0, 0x7fff
	v_or_b32_e32 v18, 0x400000, v0
	v_cmp_u_f32_e64 s4, v0, v0
	v_bfe_u32 v15, v17, 16, 1
	v_lshrrev_b32_e32 v1, 16, v1
	buffer_store_dword v12, off, s[0:3], s32 offset:268 ; 4-byte Folded Spill
	v_cndmask_b32_e64 v0, v16, v18, s4
	v_cmp_u_f32_e64 s4, v13, v13
	v_add3_u32 v15, v15, v17, 0x7fff
	buffer_store_dword v1, off, s[0:3], s32 offset:280 ; 4-byte Folded Spill
	v_lshrrev_b32_e32 v0, 16, v0
	v_cndmask_b32_e64 v13, v21, v22, s4
	v_cmp_u_f32_e64 s4, v17, v17
	buffer_store_dword v0, off, s[0:3], s32 offset:276 ; 4-byte Folded Spill
	v_lshrrev_b32_e32 v0, 16, v13
	v_cndmask_b32_e64 v15, v15, v23, s4
	buffer_store_dword v0, off, s[0:3], s32 offset:252 ; 4-byte Folded Spill
	v_lshrrev_b32_e32 v0, 16, v15
	buffer_store_dword v0, off, s[0:3], s32 offset:256 ; 4-byte Folded Spill
	s_and_saveexec_b32 s18, vcc_lo
	s_cbranch_execz .LBB353_1192
; %bb.1191:                             ;   in Loop: Header=BB353_1059 Depth=1
	buffer_load_dword v0, off, s[0:3], s32 offset:276 ; 4-byte Folded Reload
	v_cmp_lt_i32_e64 s4, v74, v32
	s_waitcnt vmcnt(0)
	v_cndmask_b32_e64 v0, 0, v0, s4
	v_cmp_lt_i32_e64 s4, v89, v32
	buffer_store_dword v0, off, s[0:3], s32 offset:276 ; 4-byte Folded Spill
	buffer_load_dword v0, off, s[0:3], s32 offset:280 ; 4-byte Folded Reload
	s_waitcnt vmcnt(0)
	v_cndmask_b32_e64 v0, 0, v0, s4
	v_cmp_lt_i32_e64 s4, v88, v32
	buffer_store_dword v0, off, s[0:3], s32 offset:280 ; 4-byte Folded Spill
	buffer_load_dword v0, off, s[0:3], s32 offset:268 ; 4-byte Folded Reload
	s_waitcnt vmcnt(0)
	v_cndmask_b32_e64 v0, 0, v0, s4
	v_cmp_lt_i32_e64 s4, v79, v32
	buffer_store_dword v0, off, s[0:3], s32 offset:268 ; 4-byte Folded Spill
	buffer_load_dword v0, off, s[0:3], s32 offset:272 ; 4-byte Folded Reload
	s_waitcnt vmcnt(0)
	v_cndmask_b32_e64 v0, 0, v0, s4
	v_cmp_lt_i32_e64 s4, v78, v32
	buffer_store_dword v0, off, s[0:3], s32 offset:272 ; 4-byte Folded Spill
	buffer_load_dword v0, off, s[0:3], s32 offset:260 ; 4-byte Folded Reload
	s_waitcnt vmcnt(0)
	v_cndmask_b32_e64 v0, 0, v0, s4
	v_cmp_lt_i32_e64 s4, v77, v32
	buffer_store_dword v0, off, s[0:3], s32 offset:260 ; 4-byte Folded Spill
	buffer_load_dword v0, off, s[0:3], s32 offset:264 ; 4-byte Folded Reload
	s_waitcnt vmcnt(0)
	v_cndmask_b32_e64 v0, 0, v0, s4
	v_cmp_lt_i32_e64 s4, v76, v32
	buffer_store_dword v0, off, s[0:3], s32 offset:264 ; 4-byte Folded Spill
	buffer_load_dword v0, off, s[0:3], s32 offset:252 ; 4-byte Folded Reload
	s_waitcnt vmcnt(0)
	v_cndmask_b32_e64 v0, 0, v0, s4
	v_cmp_lt_i32_e64 s4, v75, v32
	buffer_store_dword v0, off, s[0:3], s32 offset:252 ; 4-byte Folded Spill
	buffer_load_dword v0, off, s[0:3], s32 offset:256 ; 4-byte Folded Reload
	s_waitcnt vmcnt(0)
	v_cndmask_b32_e64 v0, 0, v0, s4
	buffer_store_dword v0, off, s[0:3], s32 offset:256 ; 4-byte Folded Spill
.LBB353_1192:                           ;   in Loop: Header=BB353_1059 Depth=1
	s_or_b32 exec_lo, exec_lo, s18
	flat_load_dwordx2 v[24:25], v[19:20] offset:512
	v_mov_b32_e32 v1, 0
	v_mov_b32_e32 v0, 0
	s_waitcnt vmcnt(0) lgkmcnt(0)
	v_cmp_ne_u16_sdwa s4, v24, v14 src0_sel:BYTE_0 src1_sel:DWORD
	s_and_saveexec_b32 s18, s4
	s_cbranch_execz .LBB353_1200
; %bb.1193:                             ;   in Loop: Header=BB353_1059 Depth=1
	v_cmp_ne_u16_sdwa s4, v24, v80 src0_sel:BYTE_0 src1_sel:DWORD
	v_bfrev_b32_e32 v0, 1
	s_and_saveexec_b32 s19, s4
	s_cbranch_execz .LBB353_1199
; %bb.1194:                             ;   in Loop: Header=BB353_1059 Depth=1
	v_and_b32_e32 v12, 0x7f, v24
	v_mov_b32_e32 v0, 0x7f800001
	s_mov_b32 s20, exec_lo
	v_cmpx_ne_u32_e32 0x7f, v12
	s_cbranch_execz .LBB353_1198
; %bb.1195:                             ;   in Loop: Header=BB353_1059 Depth=1
	v_mov_b32_e32 v27, v25
	v_lshrrev_b32_e32 v0, 3, v12
	v_mov_b32_e32 v26, v24
	s_mov_b32 s21, exec_lo
	v_cmpx_gt_u32_e32 8, v12
; %bb.1196:                             ;   in Loop: Header=BB353_1059 Depth=1
	v_and_b32_e32 v0, 7, v24
	v_ffbh_u32_e32 v0, v0
	v_min_u32_e32 v0, 32, v0
	v_subrev_nc_u32_e32 v12, 28, v0
	v_sub_nc_u32_e32 v0, 29, v0
	v_lshlrev_b64 v[26:27], v12, v[24:25]
; %bb.1197:                             ;   in Loop: Header=BB353_1059 Depth=1
	s_or_b32 exec_lo, exec_lo, s21
	v_lshlrev_b32_e32 v12, 20, v26
	v_lshlrev_b32_e32 v13, 24, v24
	v_lshl_add_u32 v0, v0, 23, 0x3c000000
	v_and_b32_e32 v12, 0x700000, v12
	v_and_b32_e32 v13, 0x80000000, v13
	v_or3_b32 v0, v12, v13, v0
.LBB353_1198:                           ;   in Loop: Header=BB353_1059 Depth=1
	s_or_b32 exec_lo, exec_lo, s20
.LBB353_1199:                           ;   in Loop: Header=BB353_1059 Depth=1
	s_or_b32 exec_lo, exec_lo, s19
.LBB353_1200:                           ;   in Loop: Header=BB353_1059 Depth=1
	s_or_b32 exec_lo, exec_lo, s18
	v_cmp_ne_u16_sdwa s4, v24, v14 src0_sel:BYTE_1 src1_sel:DWORD
	s_and_saveexec_b32 s18, s4
	s_cbranch_execz .LBB353_1208
; %bb.1201:                             ;   in Loop: Header=BB353_1059 Depth=1
	v_cmp_ne_u16_sdwa s4, v24, v80 src0_sel:BYTE_1 src1_sel:DWORD
	v_bfrev_b32_e32 v1, 1
	s_and_saveexec_b32 s19, s4
	s_cbranch_execz .LBB353_1207
; %bb.1202:                             ;   in Loop: Header=BB353_1059 Depth=1
	v_mov_b32_e32 v1, 0xffff
	s_mov_b32 s20, exec_lo
	v_and_b32_sdwa v13, v1, v24 dst_sel:DWORD dst_unused:UNUSED_PAD src0_sel:DWORD src1_sel:BYTE_1
	v_mov_b32_e32 v1, 0x7f800001
	v_and_b32_e32 v12, 0x7f, v13
	v_cmpx_ne_u32_e32 0x7f, v12
	s_cbranch_execz .LBB353_1206
; %bb.1203:                             ;   in Loop: Header=BB353_1059 Depth=1
	v_and_b32_e32 v13, 7, v13
	v_mov_b32_e32 v27, v14
	v_lshrrev_b32_e32 v1, 3, v12
	s_mov_b32 s21, exec_lo
	v_mov_b32_e32 v26, v13
	v_cmpx_gt_u32_e32 8, v12
; %bb.1204:                             ;   in Loop: Header=BB353_1059 Depth=1
	v_ffbh_u32_e32 v1, v13
	v_min_u32_e32 v1, 32, v1
	v_subrev_nc_u32_e32 v12, 28, v1
	v_sub_nc_u32_e32 v1, 29, v1
	v_lshlrev_b64 v[12:13], v12, v[13:14]
	v_and_b32_e32 v26, 7, v12
; %bb.1205:                             ;   in Loop: Header=BB353_1059 Depth=1
	s_or_b32 exec_lo, exec_lo, s21
	v_lshlrev_b32_e32 v12, 16, v24
	v_lshlrev_b32_e32 v13, 20, v26
	v_lshl_add_u32 v1, v1, 23, 0x3c000000
	v_and_b32_e32 v12, 0x80000000, v12
	v_or3_b32 v1, v13, v12, v1
.LBB353_1206:                           ;   in Loop: Header=BB353_1059 Depth=1
	s_or_b32 exec_lo, exec_lo, s20
.LBB353_1207:                           ;   in Loop: Header=BB353_1059 Depth=1
	s_or_b32 exec_lo, exec_lo, s19
.LBB353_1208:                           ;   in Loop: Header=BB353_1059 Depth=1
	s_or_b32 exec_lo, exec_lo, s18
	v_and_b32_sdwa v13, v24, v82 dst_sel:DWORD dst_unused:UNUSED_PAD src0_sel:WORD_1 src1_sel:DWORD
	v_mov_b32_e32 v15, 0
	v_mov_b32_e32 v12, 0
	s_mov_b32 s18, exec_lo
	v_cmpx_ne_u16_e32 0, v13
	s_cbranch_execz .LBB353_1216
; %bb.1209:                             ;   in Loop: Header=BB353_1059 Depth=1
	v_bfrev_b32_e32 v12, 1
	s_mov_b32 s19, exec_lo
	v_cmpx_ne_u16_e32 0x80, v13
	s_cbranch_execz .LBB353_1215
; %bb.1210:                             ;   in Loop: Header=BB353_1059 Depth=1
	v_bfe_u32 v16, v24, 16, 7
	v_mov_b32_e32 v12, 0x7f800001
	s_mov_b32 s20, exec_lo
	v_cmpx_ne_u32_e32 0x7f, v16
	s_cbranch_execz .LBB353_1214
; %bb.1211:                             ;   in Loop: Header=BB353_1059 Depth=1
	v_mov_b32_e32 v12, 7
	s_mov_b32 s21, exec_lo
	v_and_b32_sdwa v13, v24, v12 dst_sel:DWORD dst_unused:UNUSED_PAD src0_sel:WORD_1 src1_sel:DWORD
	v_mov_b32_e32 v27, v14
	v_lshrrev_b32_e32 v12, 3, v16
	v_mov_b32_e32 v26, v13
	v_cmpx_gt_u32_e32 8, v16
; %bb.1212:                             ;   in Loop: Header=BB353_1059 Depth=1
	v_ffbh_u32_e32 v12, v13
	v_min_u32_e32 v12, 32, v12
	v_subrev_nc_u32_e32 v16, 28, v12
	v_sub_nc_u32_e32 v12, 29, v12
	v_lshlrev_b64 v[16:17], v16, v[13:14]
	v_and_b32_e32 v26, 7, v16
; %bb.1213:                             ;   in Loop: Header=BB353_1059 Depth=1
	s_or_b32 exec_lo, exec_lo, s21
	v_mov_b32_e32 v13, 24
	v_lshlrev_b32_e32 v16, 20, v26
	v_lshl_add_u32 v12, v12, 23, 0x3c000000
	v_lshlrev_b32_sdwa v13, v13, v24 dst_sel:DWORD dst_unused:UNUSED_PAD src0_sel:DWORD src1_sel:WORD_1
	v_and_b32_e32 v13, 0x80000000, v13
	v_or3_b32 v12, v16, v13, v12
.LBB353_1214:                           ;   in Loop: Header=BB353_1059 Depth=1
	s_or_b32 exec_lo, exec_lo, s20
.LBB353_1215:                           ;   in Loop: Header=BB353_1059 Depth=1
	s_or_b32 exec_lo, exec_lo, s19
.LBB353_1216:                           ;   in Loop: Header=BB353_1059 Depth=1
	s_or_b32 exec_lo, exec_lo, s18
	s_mov_b32 s18, exec_lo
	v_cmpx_lt_u32_e32 0xffffff, v24
	s_cbranch_execz .LBB353_1224
; %bb.1217:                             ;   in Loop: Header=BB353_1059 Depth=1
	v_cmp_ne_u32_sdwa s4, v24, v80 src0_sel:BYTE_3 src1_sel:DWORD
	v_bfrev_b32_e32 v15, 1
	s_and_saveexec_b32 s19, s4
	s_cbranch_execz .LBB353_1223
; %bb.1218:                             ;   in Loop: Header=BB353_1059 Depth=1
	v_bfe_u32 v16, v24, 24, 7
	v_mov_b32_e32 v15, 0x7f800001
	s_mov_b32 s20, exec_lo
	v_cmpx_ne_u32_e32 0x7f, v16
	s_cbranch_execz .LBB353_1222
; %bb.1219:                             ;   in Loop: Header=BB353_1059 Depth=1
	v_mov_b32_e32 v13, 7
	v_lshrrev_b32_e32 v15, 3, v16
	s_mov_b32 s21, exec_lo
	v_and_b32_sdwa v13, v24, v13 dst_sel:DWORD dst_unused:UNUSED_PAD src0_sel:BYTE_3 src1_sel:DWORD
	v_mov_b32_e32 v27, v14
	v_mov_b32_e32 v26, v13
	v_cmpx_gt_u32_e32 8, v16
; %bb.1220:                             ;   in Loop: Header=BB353_1059 Depth=1
	v_ffbh_u32_e32 v15, v13
	v_min_u32_e32 v15, 32, v15
	v_subrev_nc_u32_e32 v16, 28, v15
	v_sub_nc_u32_e32 v15, 29, v15
	v_lshlrev_b64 v[16:17], v16, v[13:14]
	v_and_b32_e32 v26, 7, v16
; %bb.1221:                             ;   in Loop: Header=BB353_1059 Depth=1
	s_or_b32 exec_lo, exec_lo, s21
	v_mov_b32_e32 v13, 24
	v_lshlrev_b32_e32 v16, 20, v26
	v_lshl_add_u32 v15, v15, 23, 0x3c000000
	v_lshlrev_b32_sdwa v13, v13, v24 dst_sel:DWORD dst_unused:UNUSED_PAD src0_sel:DWORD src1_sel:BYTE_3
	v_and_b32_e32 v13, 0x80000000, v13
	v_or3_b32 v15, v16, v13, v15
.LBB353_1222:                           ;   in Loop: Header=BB353_1059 Depth=1
	s_or_b32 exec_lo, exec_lo, s20
.LBB353_1223:                           ;   in Loop: Header=BB353_1059 Depth=1
	s_or_b32 exec_lo, exec_lo, s19
.LBB353_1224:                           ;   in Loop: Header=BB353_1059 Depth=1
	s_or_b32 exec_lo, exec_lo, s18
	v_mov_b32_e32 v13, v25
	v_cmp_ne_u16_sdwa s4, v25, v14 src0_sel:BYTE_0 src1_sel:DWORD
	v_mov_b32_e32 v17, 0
	v_mov_b32_e32 v16, 0
	s_and_saveexec_b32 s18, s4
	s_cbranch_execz .LBB353_1232
; %bb.1225:                             ;   in Loop: Header=BB353_1059 Depth=1
	v_cmp_ne_u16_sdwa s4, v25, v80 src0_sel:BYTE_0 src1_sel:DWORD
	v_bfrev_b32_e32 v16, 1
	s_and_saveexec_b32 s19, s4
	s_cbranch_execz .LBB353_1231
; %bb.1226:                             ;   in Loop: Header=BB353_1059 Depth=1
	v_and_b32_e32 v18, 0x7f, v25
	v_mov_b32_e32 v16, 0x7f800001
	s_mov_b32 s20, exec_lo
	v_cmpx_ne_u32_e32 0x7f, v18
	s_cbranch_execz .LBB353_1230
; %bb.1227:                             ;   in Loop: Header=BB353_1059 Depth=1
	v_mov_b32_e32 v27, v14
	v_lshrrev_b32_e32 v16, 3, v18
	v_mov_b32_e32 v26, v13
	s_mov_b32 s21, exec_lo
	v_cmpx_gt_u32_e32 8, v18
; %bb.1228:                             ;   in Loop: Header=BB353_1059 Depth=1
	v_and_b32_e32 v16, 7, v25
	v_ffbh_u32_e32 v16, v16
	v_min_u32_e32 v16, 32, v16
	v_subrev_nc_u32_e32 v18, 28, v16
	v_sub_nc_u32_e32 v16, 29, v16
	v_lshlrev_b64 v[26:27], v18, v[13:14]
; %bb.1229:                             ;   in Loop: Header=BB353_1059 Depth=1
	s_or_b32 exec_lo, exec_lo, s21
	v_lshlrev_b32_e32 v18, 20, v26
	v_lshlrev_b32_e32 v21, 24, v13
	v_lshl_add_u32 v16, v16, 23, 0x3c000000
	v_and_b32_e32 v18, 0x700000, v18
	v_and_b32_e32 v21, 0x80000000, v21
	v_or3_b32 v16, v18, v21, v16
.LBB353_1230:                           ;   in Loop: Header=BB353_1059 Depth=1
	s_or_b32 exec_lo, exec_lo, s20
.LBB353_1231:                           ;   in Loop: Header=BB353_1059 Depth=1
	s_or_b32 exec_lo, exec_lo, s19
.LBB353_1232:                           ;   in Loop: Header=BB353_1059 Depth=1
	s_or_b32 exec_lo, exec_lo, s18
	v_cmp_ne_u16_sdwa s4, v13, v14 src0_sel:BYTE_1 src1_sel:DWORD
	s_and_saveexec_b32 s18, s4
	s_cbranch_execz .LBB353_1240
; %bb.1233:                             ;   in Loop: Header=BB353_1059 Depth=1
	v_cmp_ne_u16_sdwa s4, v13, v80 src0_sel:BYTE_1 src1_sel:DWORD
	v_bfrev_b32_e32 v17, 1
	s_and_saveexec_b32 s19, s4
	s_cbranch_execz .LBB353_1239
; %bb.1234:                             ;   in Loop: Header=BB353_1059 Depth=1
	v_mov_b32_e32 v17, 0xffff
	s_mov_b32 s20, exec_lo
	v_and_b32_sdwa v21, v17, v13 dst_sel:DWORD dst_unused:UNUSED_PAD src0_sel:DWORD src1_sel:BYTE_1
	v_mov_b32_e32 v17, 0x7f800001
	v_and_b32_e32 v18, 0x7f, v21
	v_cmpx_ne_u32_e32 0x7f, v18
	s_cbranch_execz .LBB353_1238
; %bb.1235:                             ;   in Loop: Header=BB353_1059 Depth=1
	v_and_b32_e32 v26, 7, v21
	v_mov_b32_e32 v27, v14
	v_lshrrev_b32_e32 v17, 3, v18
	s_mov_b32 s21, exec_lo
	v_cmpx_gt_u32_e32 8, v18
; %bb.1236:                             ;   in Loop: Header=BB353_1059 Depth=1
	v_ffbh_u32_e32 v17, v26
	v_min_u32_e32 v17, 32, v17
	v_subrev_nc_u32_e32 v18, 28, v17
	v_sub_nc_u32_e32 v17, 29, v17
	v_lshlrev_b64 v[21:22], v18, v[26:27]
	v_and_b32_e32 v26, 7, v21
; %bb.1237:                             ;   in Loop: Header=BB353_1059 Depth=1
	s_or_b32 exec_lo, exec_lo, s21
	v_lshlrev_b32_e32 v13, 16, v13
	v_lshlrev_b32_e32 v18, 20, v26
	v_lshl_add_u32 v17, v17, 23, 0x3c000000
	v_and_b32_e32 v13, 0x80000000, v13
	v_or3_b32 v17, v18, v13, v17
.LBB353_1238:                           ;   in Loop: Header=BB353_1059 Depth=1
	s_or_b32 exec_lo, exec_lo, s20
.LBB353_1239:                           ;   in Loop: Header=BB353_1059 Depth=1
	s_or_b32 exec_lo, exec_lo, s19
.LBB353_1240:                           ;   in Loop: Header=BB353_1059 Depth=1
	s_or_b32 exec_lo, exec_lo, s18
	v_and_b32_sdwa v13, v25, v82 dst_sel:DWORD dst_unused:UNUSED_PAD src0_sel:WORD_1 src1_sel:DWORD
	v_mov_b32_e32 v18, 0
	v_mov_b32_e32 v21, 0
	s_mov_b32 s18, exec_lo
	v_cmpx_ne_u16_e32 0, v13
	s_cbranch_execz .LBB353_1248
; %bb.1241:                             ;   in Loop: Header=BB353_1059 Depth=1
	v_bfrev_b32_e32 v21, 1
	s_mov_b32 s19, exec_lo
	v_cmpx_ne_u16_e32 0x80, v13
	s_cbranch_execz .LBB353_1247
; %bb.1242:                             ;   in Loop: Header=BB353_1059 Depth=1
	v_bfe_u32 v22, v25, 16, 7
	v_mov_b32_e32 v21, 0x7f800001
	s_mov_b32 s20, exec_lo
	v_cmpx_ne_u32_e32 0x7f, v22
	s_cbranch_execz .LBB353_1246
; %bb.1243:                             ;   in Loop: Header=BB353_1059 Depth=1
	v_mov_b32_e32 v13, 7
	v_lshrrev_b32_e32 v21, 3, v22
	s_mov_b32 s21, exec_lo
	v_and_b32_sdwa v13, v25, v13 dst_sel:DWORD dst_unused:UNUSED_PAD src0_sel:WORD_1 src1_sel:DWORD
	v_mov_b32_e32 v27, v14
	v_mov_b32_e32 v26, v13
	v_cmpx_gt_u32_e32 8, v22
; %bb.1244:                             ;   in Loop: Header=BB353_1059 Depth=1
	v_ffbh_u32_e32 v21, v13
	v_min_u32_e32 v21, 32, v21
	v_subrev_nc_u32_e32 v22, 28, v21
	v_sub_nc_u32_e32 v21, 29, v21
	v_lshlrev_b64 v[22:23], v22, v[13:14]
	v_and_b32_e32 v26, 7, v22
; %bb.1245:                             ;   in Loop: Header=BB353_1059 Depth=1
	s_or_b32 exec_lo, exec_lo, s21
	v_mov_b32_e32 v13, 24
	v_lshlrev_b32_e32 v22, 20, v26
	v_lshl_add_u32 v21, v21, 23, 0x3c000000
	v_lshlrev_b32_sdwa v13, v13, v25 dst_sel:DWORD dst_unused:UNUSED_PAD src0_sel:DWORD src1_sel:WORD_1
	v_and_b32_e32 v13, 0x80000000, v13
	v_or3_b32 v21, v22, v13, v21
.LBB353_1246:                           ;   in Loop: Header=BB353_1059 Depth=1
	s_or_b32 exec_lo, exec_lo, s20
.LBB353_1247:                           ;   in Loop: Header=BB353_1059 Depth=1
	s_or_b32 exec_lo, exec_lo, s19
.LBB353_1248:                           ;   in Loop: Header=BB353_1059 Depth=1
	s_or_b32 exec_lo, exec_lo, s18
	s_mov_b32 s18, exec_lo
	v_cmpx_lt_u64_e64 s[6:7], v[24:25]
	s_cbranch_execz .LBB353_1256
; %bb.1249:                             ;   in Loop: Header=BB353_1059 Depth=1
	v_cmp_ne_u32_sdwa s4, v25, v80 src0_sel:BYTE_3 src1_sel:DWORD
	v_bfrev_b32_e32 v18, 1
	s_and_saveexec_b32 s19, s4
	s_cbranch_execz .LBB353_1255
; %bb.1250:                             ;   in Loop: Header=BB353_1059 Depth=1
	v_bfe_u32 v22, v25, 24, 7
	v_mov_b32_e32 v18, 0x7f800001
	s_mov_b32 s20, exec_lo
	v_cmpx_ne_u32_e32 0x7f, v22
	s_cbranch_execz .LBB353_1254
; %bb.1251:                             ;   in Loop: Header=BB353_1059 Depth=1
	v_mov_b32_e32 v13, 7
	v_lshrrev_b32_e32 v18, 3, v22
	s_mov_b32 s21, exec_lo
	v_and_b32_sdwa v13, v25, v13 dst_sel:DWORD dst_unused:UNUSED_PAD src0_sel:BYTE_3 src1_sel:DWORD
	v_mov_b32_e32 v27, v14
	v_mov_b32_e32 v26, v13
	v_cmpx_gt_u32_e32 8, v22
; %bb.1252:                             ;   in Loop: Header=BB353_1059 Depth=1
	v_ffbh_u32_e32 v18, v13
	v_min_u32_e32 v18, 32, v18
	v_subrev_nc_u32_e32 v22, 28, v18
	v_sub_nc_u32_e32 v18, 29, v18
	v_lshlrev_b64 v[22:23], v22, v[13:14]
	v_and_b32_e32 v26, 7, v22
; %bb.1253:                             ;   in Loop: Header=BB353_1059 Depth=1
	s_or_b32 exec_lo, exec_lo, s21
	v_mov_b32_e32 v13, 24
	v_lshlrev_b32_e32 v22, 20, v26
	v_lshl_add_u32 v18, v18, 23, 0x3c000000
	v_lshlrev_b32_sdwa v13, v13, v25 dst_sel:DWORD dst_unused:UNUSED_PAD src0_sel:DWORD src1_sel:BYTE_3
	v_and_b32_e32 v13, 0x80000000, v13
	v_or3_b32 v18, v22, v13, v18
.LBB353_1254:                           ;   in Loop: Header=BB353_1059 Depth=1
	s_or_b32 exec_lo, exec_lo, s20
.LBB353_1255:                           ;   in Loop: Header=BB353_1059 Depth=1
	s_or_b32 exec_lo, exec_lo, s19
.LBB353_1256:                           ;   in Loop: Header=BB353_1059 Depth=1
	s_or_b32 exec_lo, exec_lo, s18
	v_mul_f32_e32 v13, v72, v17
	v_mul_f32_e32 v16, v72, v16
	;; [unrolled: 1-line block ×5, first 2 shown]
	v_bfe_u32 v17, v13, 16, 1
	v_or_b32_e32 v22, 0x400000, v13
	v_bfe_u32 v23, v16, 16, 1
	v_cmp_u_f32_e64 s4, v13, v13
	v_or_b32_e32 v24, 0x400000, v16
	v_add3_u32 v17, v17, v13, 0x7fff
	v_bfe_u32 v25, v15, 16, 1
	v_add3_u32 v23, v23, v16, 0x7fff
	v_or_b32_e32 v26, 0x400000, v15
	v_bfe_u32 v27, v12, 16, 1
	v_cndmask_b32_e64 v13, v17, v22, s4
	v_cmp_u_f32_e64 s4, v16, v16
	v_add3_u32 v25, v25, v15, 0x7fff
	v_or_b32_e32 v17, 0x400000, v12
	v_mul_f32_e32 v0, v72, v0
	v_lshrrev_b32_e32 v13, 16, v13
	v_cndmask_b32_e64 v16, v23, v24, s4
	v_cmp_u_f32_e64 s4, v15, v15
	buffer_store_dword v13, off, s[0:3], s32 offset:296 ; 4-byte Folded Spill
	v_add3_u32 v13, v27, v12, 0x7fff
	v_cndmask_b32_e64 v15, v25, v26, s4
	v_lshrrev_b32_e32 v16, 16, v16
	v_cmp_u_f32_e64 s4, v12, v12
	v_lshrrev_b32_e32 v15, 16, v15
	buffer_store_dword v16, off, s[0:3], s32 offset:292 ; 4-byte Folded Spill
	v_cndmask_b32_e64 v12, v13, v17, s4
	v_mul_f32_e32 v13, v72, v21
	v_or_b32_e32 v16, 0x400000, v1
	buffer_store_dword v15, off, s[0:3], s32 offset:304 ; 4-byte Folded Spill
	v_bfe_u32 v15, v1, 16, 1
	v_mul_f32_e32 v17, v72, v18
	v_bfe_u32 v18, v0, 16, 1
	v_cmp_u_f32_e64 s4, v1, v1
	v_bfe_u32 v21, v13, 16, 1
	v_add3_u32 v15, v15, v1, 0x7fff
	v_or_b32_e32 v22, 0x400000, v13
	v_or_b32_e32 v23, 0x400000, v17
	v_lshrrev_b32_e32 v12, 16, v12
	v_add3_u32 v21, v21, v13, 0x7fff
	v_cndmask_b32_e64 v1, v15, v16, s4
	v_add3_u32 v16, v18, v0, 0x7fff
	v_or_b32_e32 v18, 0x400000, v0
	v_cmp_u_f32_e64 s4, v0, v0
	v_bfe_u32 v15, v17, 16, 1
	v_lshrrev_b32_e32 v1, 16, v1
	buffer_store_dword v12, off, s[0:3], s32 offset:300 ; 4-byte Folded Spill
	v_cndmask_b32_e64 v0, v16, v18, s4
	v_cmp_u_f32_e64 s4, v13, v13
	v_add3_u32 v15, v15, v17, 0x7fff
	buffer_store_dword v1, off, s[0:3], s32 offset:312 ; 4-byte Folded Spill
	v_lshrrev_b32_e32 v0, 16, v0
	v_cndmask_b32_e64 v13, v21, v22, s4
	v_cmp_u_f32_e64 s4, v17, v17
	buffer_store_dword v0, off, s[0:3], s32 offset:308 ; 4-byte Folded Spill
	v_lshrrev_b32_e32 v0, 16, v13
	v_cndmask_b32_e64 v15, v15, v23, s4
	buffer_store_dword v0, off, s[0:3], s32 offset:284 ; 4-byte Folded Spill
	v_lshrrev_b32_e32 v0, 16, v15
	buffer_store_dword v0, off, s[0:3], s32 offset:288 ; 4-byte Folded Spill
	s_and_saveexec_b32 s18, vcc_lo
	s_cbranch_execz .LBB353_1258
; %bb.1257:                             ;   in Loop: Header=BB353_1059 Depth=1
	buffer_load_dword v0, off, s[0:3], s32 offset:308 ; 4-byte Folded Reload
	v_cmp_lt_i32_e64 s4, v74, v32
	s_waitcnt vmcnt(0)
	v_cndmask_b32_e64 v0, 0, v0, s4
	v_cmp_lt_i32_e64 s4, v89, v32
	buffer_store_dword v0, off, s[0:3], s32 offset:308 ; 4-byte Folded Spill
	buffer_load_dword v0, off, s[0:3], s32 offset:312 ; 4-byte Folded Reload
	s_waitcnt vmcnt(0)
	v_cndmask_b32_e64 v0, 0, v0, s4
	v_cmp_lt_i32_e64 s4, v88, v32
	buffer_store_dword v0, off, s[0:3], s32 offset:312 ; 4-byte Folded Spill
	buffer_load_dword v0, off, s[0:3], s32 offset:300 ; 4-byte Folded Reload
	;; [unrolled: 5-line block ×7, first 2 shown]
	s_waitcnt vmcnt(0)
	v_cndmask_b32_e64 v0, 0, v0, s4
	buffer_store_dword v0, off, s[0:3], s32 offset:288 ; 4-byte Folded Spill
.LBB353_1258:                           ;   in Loop: Header=BB353_1059 Depth=1
	s_or_b32 exec_lo, exec_lo, s18
	flat_load_dwordx2 v[24:25], v[19:20] offset:768
	v_mov_b32_e32 v1, 0
	v_mov_b32_e32 v0, 0
	s_waitcnt vmcnt(0) lgkmcnt(0)
	v_cmp_ne_u16_sdwa s4, v24, v14 src0_sel:BYTE_0 src1_sel:DWORD
	s_and_saveexec_b32 s18, s4
	s_cbranch_execz .LBB353_1266
; %bb.1259:                             ;   in Loop: Header=BB353_1059 Depth=1
	v_cmp_ne_u16_sdwa s4, v24, v80 src0_sel:BYTE_0 src1_sel:DWORD
	v_bfrev_b32_e32 v0, 1
	s_and_saveexec_b32 s19, s4
	s_cbranch_execz .LBB353_1265
; %bb.1260:                             ;   in Loop: Header=BB353_1059 Depth=1
	v_and_b32_e32 v12, 0x7f, v24
	v_mov_b32_e32 v0, 0x7f800001
	s_mov_b32 s20, exec_lo
	v_cmpx_ne_u32_e32 0x7f, v12
	s_cbranch_execz .LBB353_1264
; %bb.1261:                             ;   in Loop: Header=BB353_1059 Depth=1
	v_mov_b32_e32 v27, v25
	v_lshrrev_b32_e32 v0, 3, v12
	v_mov_b32_e32 v26, v24
	s_mov_b32 s21, exec_lo
	v_cmpx_gt_u32_e32 8, v12
; %bb.1262:                             ;   in Loop: Header=BB353_1059 Depth=1
	v_and_b32_e32 v0, 7, v24
	v_ffbh_u32_e32 v0, v0
	v_min_u32_e32 v0, 32, v0
	v_subrev_nc_u32_e32 v12, 28, v0
	v_sub_nc_u32_e32 v0, 29, v0
	v_lshlrev_b64 v[26:27], v12, v[24:25]
; %bb.1263:                             ;   in Loop: Header=BB353_1059 Depth=1
	s_or_b32 exec_lo, exec_lo, s21
	v_lshlrev_b32_e32 v12, 20, v26
	v_lshlrev_b32_e32 v13, 24, v24
	v_lshl_add_u32 v0, v0, 23, 0x3c000000
	v_and_b32_e32 v12, 0x700000, v12
	v_and_b32_e32 v13, 0x80000000, v13
	v_or3_b32 v0, v12, v13, v0
.LBB353_1264:                           ;   in Loop: Header=BB353_1059 Depth=1
	s_or_b32 exec_lo, exec_lo, s20
.LBB353_1265:                           ;   in Loop: Header=BB353_1059 Depth=1
	s_or_b32 exec_lo, exec_lo, s19
.LBB353_1266:                           ;   in Loop: Header=BB353_1059 Depth=1
	s_or_b32 exec_lo, exec_lo, s18
	v_cmp_ne_u16_sdwa s4, v24, v14 src0_sel:BYTE_1 src1_sel:DWORD
	s_and_saveexec_b32 s18, s4
	s_cbranch_execz .LBB353_1274
; %bb.1267:                             ;   in Loop: Header=BB353_1059 Depth=1
	v_cmp_ne_u16_sdwa s4, v24, v80 src0_sel:BYTE_1 src1_sel:DWORD
	v_bfrev_b32_e32 v1, 1
	s_and_saveexec_b32 s19, s4
	s_cbranch_execz .LBB353_1273
; %bb.1268:                             ;   in Loop: Header=BB353_1059 Depth=1
	v_mov_b32_e32 v1, 0xffff
	s_mov_b32 s20, exec_lo
	v_and_b32_sdwa v13, v1, v24 dst_sel:DWORD dst_unused:UNUSED_PAD src0_sel:DWORD src1_sel:BYTE_1
	v_mov_b32_e32 v1, 0x7f800001
	v_and_b32_e32 v12, 0x7f, v13
	v_cmpx_ne_u32_e32 0x7f, v12
	s_cbranch_execz .LBB353_1272
; %bb.1269:                             ;   in Loop: Header=BB353_1059 Depth=1
	v_and_b32_e32 v13, 7, v13
	v_mov_b32_e32 v27, v14
	v_lshrrev_b32_e32 v1, 3, v12
	s_mov_b32 s21, exec_lo
	v_mov_b32_e32 v26, v13
	v_cmpx_gt_u32_e32 8, v12
; %bb.1270:                             ;   in Loop: Header=BB353_1059 Depth=1
	v_ffbh_u32_e32 v1, v13
	v_min_u32_e32 v1, 32, v1
	v_subrev_nc_u32_e32 v12, 28, v1
	v_sub_nc_u32_e32 v1, 29, v1
	v_lshlrev_b64 v[12:13], v12, v[13:14]
	v_and_b32_e32 v26, 7, v12
; %bb.1271:                             ;   in Loop: Header=BB353_1059 Depth=1
	s_or_b32 exec_lo, exec_lo, s21
	v_lshlrev_b32_e32 v12, 16, v24
	v_lshlrev_b32_e32 v13, 20, v26
	v_lshl_add_u32 v1, v1, 23, 0x3c000000
	v_and_b32_e32 v12, 0x80000000, v12
	v_or3_b32 v1, v13, v12, v1
.LBB353_1272:                           ;   in Loop: Header=BB353_1059 Depth=1
	s_or_b32 exec_lo, exec_lo, s20
.LBB353_1273:                           ;   in Loop: Header=BB353_1059 Depth=1
	s_or_b32 exec_lo, exec_lo, s19
.LBB353_1274:                           ;   in Loop: Header=BB353_1059 Depth=1
	s_or_b32 exec_lo, exec_lo, s18
	v_and_b32_sdwa v13, v24, v82 dst_sel:DWORD dst_unused:UNUSED_PAD src0_sel:WORD_1 src1_sel:DWORD
	v_mov_b32_e32 v15, 0
	v_mov_b32_e32 v12, 0
	s_mov_b32 s18, exec_lo
	v_cmpx_ne_u16_e32 0, v13
	s_cbranch_execz .LBB353_1282
; %bb.1275:                             ;   in Loop: Header=BB353_1059 Depth=1
	v_bfrev_b32_e32 v12, 1
	s_mov_b32 s19, exec_lo
	v_cmpx_ne_u16_e32 0x80, v13
	s_cbranch_execz .LBB353_1281
; %bb.1276:                             ;   in Loop: Header=BB353_1059 Depth=1
	v_bfe_u32 v16, v24, 16, 7
	v_mov_b32_e32 v12, 0x7f800001
	s_mov_b32 s20, exec_lo
	v_cmpx_ne_u32_e32 0x7f, v16
	s_cbranch_execz .LBB353_1280
; %bb.1277:                             ;   in Loop: Header=BB353_1059 Depth=1
	v_mov_b32_e32 v12, 7
	s_mov_b32 s21, exec_lo
	v_and_b32_sdwa v13, v24, v12 dst_sel:DWORD dst_unused:UNUSED_PAD src0_sel:WORD_1 src1_sel:DWORD
	v_mov_b32_e32 v27, v14
	v_lshrrev_b32_e32 v12, 3, v16
	v_mov_b32_e32 v26, v13
	v_cmpx_gt_u32_e32 8, v16
; %bb.1278:                             ;   in Loop: Header=BB353_1059 Depth=1
	v_ffbh_u32_e32 v12, v13
	v_min_u32_e32 v12, 32, v12
	v_subrev_nc_u32_e32 v16, 28, v12
	v_sub_nc_u32_e32 v12, 29, v12
	v_lshlrev_b64 v[16:17], v16, v[13:14]
	v_and_b32_e32 v26, 7, v16
; %bb.1279:                             ;   in Loop: Header=BB353_1059 Depth=1
	s_or_b32 exec_lo, exec_lo, s21
	v_mov_b32_e32 v13, 24
	v_lshlrev_b32_e32 v16, 20, v26
	v_lshl_add_u32 v12, v12, 23, 0x3c000000
	v_lshlrev_b32_sdwa v13, v13, v24 dst_sel:DWORD dst_unused:UNUSED_PAD src0_sel:DWORD src1_sel:WORD_1
	v_and_b32_e32 v13, 0x80000000, v13
	v_or3_b32 v12, v16, v13, v12
.LBB353_1280:                           ;   in Loop: Header=BB353_1059 Depth=1
	s_or_b32 exec_lo, exec_lo, s20
.LBB353_1281:                           ;   in Loop: Header=BB353_1059 Depth=1
	s_or_b32 exec_lo, exec_lo, s19
.LBB353_1282:                           ;   in Loop: Header=BB353_1059 Depth=1
	s_or_b32 exec_lo, exec_lo, s18
	s_mov_b32 s18, exec_lo
	v_cmpx_lt_u32_e32 0xffffff, v24
	s_cbranch_execz .LBB353_1290
; %bb.1283:                             ;   in Loop: Header=BB353_1059 Depth=1
	v_cmp_ne_u32_sdwa s4, v24, v80 src0_sel:BYTE_3 src1_sel:DWORD
	v_bfrev_b32_e32 v15, 1
	s_and_saveexec_b32 s19, s4
	s_cbranch_execz .LBB353_1289
; %bb.1284:                             ;   in Loop: Header=BB353_1059 Depth=1
	v_bfe_u32 v16, v24, 24, 7
	v_mov_b32_e32 v15, 0x7f800001
	s_mov_b32 s20, exec_lo
	v_cmpx_ne_u32_e32 0x7f, v16
	s_cbranch_execz .LBB353_1288
; %bb.1285:                             ;   in Loop: Header=BB353_1059 Depth=1
	v_mov_b32_e32 v13, 7
	v_lshrrev_b32_e32 v15, 3, v16
	s_mov_b32 s21, exec_lo
	v_and_b32_sdwa v13, v24, v13 dst_sel:DWORD dst_unused:UNUSED_PAD src0_sel:BYTE_3 src1_sel:DWORD
	v_mov_b32_e32 v27, v14
	v_mov_b32_e32 v26, v13
	v_cmpx_gt_u32_e32 8, v16
; %bb.1286:                             ;   in Loop: Header=BB353_1059 Depth=1
	v_ffbh_u32_e32 v15, v13
	v_min_u32_e32 v15, 32, v15
	v_subrev_nc_u32_e32 v16, 28, v15
	v_sub_nc_u32_e32 v15, 29, v15
	v_lshlrev_b64 v[16:17], v16, v[13:14]
	v_and_b32_e32 v26, 7, v16
; %bb.1287:                             ;   in Loop: Header=BB353_1059 Depth=1
	s_or_b32 exec_lo, exec_lo, s21
	v_mov_b32_e32 v13, 24
	v_lshlrev_b32_e32 v16, 20, v26
	v_lshl_add_u32 v15, v15, 23, 0x3c000000
	v_lshlrev_b32_sdwa v13, v13, v24 dst_sel:DWORD dst_unused:UNUSED_PAD src0_sel:DWORD src1_sel:BYTE_3
	v_and_b32_e32 v13, 0x80000000, v13
	v_or3_b32 v15, v16, v13, v15
.LBB353_1288:                           ;   in Loop: Header=BB353_1059 Depth=1
	s_or_b32 exec_lo, exec_lo, s20
.LBB353_1289:                           ;   in Loop: Header=BB353_1059 Depth=1
	s_or_b32 exec_lo, exec_lo, s19
.LBB353_1290:                           ;   in Loop: Header=BB353_1059 Depth=1
	s_or_b32 exec_lo, exec_lo, s18
	v_mov_b32_e32 v13, v25
	v_cmp_ne_u16_sdwa s4, v25, v14 src0_sel:BYTE_0 src1_sel:DWORD
	v_mov_b32_e32 v17, 0
	v_mov_b32_e32 v16, 0
	s_and_saveexec_b32 s18, s4
	s_cbranch_execz .LBB353_1298
; %bb.1291:                             ;   in Loop: Header=BB353_1059 Depth=1
	v_cmp_ne_u16_sdwa s4, v25, v80 src0_sel:BYTE_0 src1_sel:DWORD
	v_bfrev_b32_e32 v16, 1
	s_and_saveexec_b32 s19, s4
	s_cbranch_execz .LBB353_1297
; %bb.1292:                             ;   in Loop: Header=BB353_1059 Depth=1
	v_and_b32_e32 v18, 0x7f, v25
	v_mov_b32_e32 v16, 0x7f800001
	s_mov_b32 s20, exec_lo
	v_cmpx_ne_u32_e32 0x7f, v18
	s_cbranch_execz .LBB353_1296
; %bb.1293:                             ;   in Loop: Header=BB353_1059 Depth=1
	v_mov_b32_e32 v27, v14
	v_lshrrev_b32_e32 v16, 3, v18
	v_mov_b32_e32 v26, v13
	s_mov_b32 s21, exec_lo
	v_cmpx_gt_u32_e32 8, v18
; %bb.1294:                             ;   in Loop: Header=BB353_1059 Depth=1
	v_and_b32_e32 v16, 7, v25
	v_ffbh_u32_e32 v16, v16
	v_min_u32_e32 v16, 32, v16
	v_subrev_nc_u32_e32 v18, 28, v16
	v_sub_nc_u32_e32 v16, 29, v16
	v_lshlrev_b64 v[26:27], v18, v[13:14]
; %bb.1295:                             ;   in Loop: Header=BB353_1059 Depth=1
	s_or_b32 exec_lo, exec_lo, s21
	v_lshlrev_b32_e32 v18, 20, v26
	v_lshlrev_b32_e32 v21, 24, v13
	v_lshl_add_u32 v16, v16, 23, 0x3c000000
	v_and_b32_e32 v18, 0x700000, v18
	v_and_b32_e32 v21, 0x80000000, v21
	v_or3_b32 v16, v18, v21, v16
.LBB353_1296:                           ;   in Loop: Header=BB353_1059 Depth=1
	s_or_b32 exec_lo, exec_lo, s20
.LBB353_1297:                           ;   in Loop: Header=BB353_1059 Depth=1
	s_or_b32 exec_lo, exec_lo, s19
.LBB353_1298:                           ;   in Loop: Header=BB353_1059 Depth=1
	s_or_b32 exec_lo, exec_lo, s18
	v_cmp_ne_u16_sdwa s4, v13, v14 src0_sel:BYTE_1 src1_sel:DWORD
	s_and_saveexec_b32 s18, s4
	s_cbranch_execz .LBB353_1306
; %bb.1299:                             ;   in Loop: Header=BB353_1059 Depth=1
	v_cmp_ne_u16_sdwa s4, v13, v80 src0_sel:BYTE_1 src1_sel:DWORD
	v_bfrev_b32_e32 v17, 1
	s_and_saveexec_b32 s19, s4
	s_cbranch_execz .LBB353_1305
; %bb.1300:                             ;   in Loop: Header=BB353_1059 Depth=1
	v_mov_b32_e32 v17, 0xffff
	s_mov_b32 s20, exec_lo
	v_and_b32_sdwa v21, v17, v13 dst_sel:DWORD dst_unused:UNUSED_PAD src0_sel:DWORD src1_sel:BYTE_1
	v_mov_b32_e32 v17, 0x7f800001
	v_and_b32_e32 v18, 0x7f, v21
	v_cmpx_ne_u32_e32 0x7f, v18
	s_cbranch_execz .LBB353_1304
; %bb.1301:                             ;   in Loop: Header=BB353_1059 Depth=1
	v_and_b32_e32 v26, 7, v21
	v_mov_b32_e32 v27, v14
	v_lshrrev_b32_e32 v17, 3, v18
	s_mov_b32 s21, exec_lo
	v_cmpx_gt_u32_e32 8, v18
; %bb.1302:                             ;   in Loop: Header=BB353_1059 Depth=1
	v_ffbh_u32_e32 v17, v26
	v_min_u32_e32 v17, 32, v17
	v_subrev_nc_u32_e32 v18, 28, v17
	v_sub_nc_u32_e32 v17, 29, v17
	v_lshlrev_b64 v[21:22], v18, v[26:27]
	v_and_b32_e32 v26, 7, v21
; %bb.1303:                             ;   in Loop: Header=BB353_1059 Depth=1
	s_or_b32 exec_lo, exec_lo, s21
	v_lshlrev_b32_e32 v13, 16, v13
	v_lshlrev_b32_e32 v18, 20, v26
	v_lshl_add_u32 v17, v17, 23, 0x3c000000
	v_and_b32_e32 v13, 0x80000000, v13
	v_or3_b32 v17, v18, v13, v17
.LBB353_1304:                           ;   in Loop: Header=BB353_1059 Depth=1
	s_or_b32 exec_lo, exec_lo, s20
.LBB353_1305:                           ;   in Loop: Header=BB353_1059 Depth=1
	s_or_b32 exec_lo, exec_lo, s19
.LBB353_1306:                           ;   in Loop: Header=BB353_1059 Depth=1
	s_or_b32 exec_lo, exec_lo, s18
	v_and_b32_sdwa v13, v25, v82 dst_sel:DWORD dst_unused:UNUSED_PAD src0_sel:WORD_1 src1_sel:DWORD
	v_mov_b32_e32 v18, 0
	v_mov_b32_e32 v21, 0
	s_mov_b32 s18, exec_lo
	v_cmpx_ne_u16_e32 0, v13
	s_cbranch_execz .LBB353_1314
; %bb.1307:                             ;   in Loop: Header=BB353_1059 Depth=1
	v_bfrev_b32_e32 v21, 1
	s_mov_b32 s19, exec_lo
	v_cmpx_ne_u16_e32 0x80, v13
	s_cbranch_execz .LBB353_1313
; %bb.1308:                             ;   in Loop: Header=BB353_1059 Depth=1
	v_bfe_u32 v22, v25, 16, 7
	v_mov_b32_e32 v21, 0x7f800001
	s_mov_b32 s20, exec_lo
	v_cmpx_ne_u32_e32 0x7f, v22
	s_cbranch_execz .LBB353_1312
; %bb.1309:                             ;   in Loop: Header=BB353_1059 Depth=1
	v_mov_b32_e32 v13, 7
	v_lshrrev_b32_e32 v21, 3, v22
	s_mov_b32 s21, exec_lo
	v_and_b32_sdwa v13, v25, v13 dst_sel:DWORD dst_unused:UNUSED_PAD src0_sel:WORD_1 src1_sel:DWORD
	v_mov_b32_e32 v27, v14
	v_mov_b32_e32 v26, v13
	v_cmpx_gt_u32_e32 8, v22
; %bb.1310:                             ;   in Loop: Header=BB353_1059 Depth=1
	v_ffbh_u32_e32 v21, v13
	v_min_u32_e32 v21, 32, v21
	v_subrev_nc_u32_e32 v22, 28, v21
	v_sub_nc_u32_e32 v21, 29, v21
	v_lshlrev_b64 v[22:23], v22, v[13:14]
	v_and_b32_e32 v26, 7, v22
; %bb.1311:                             ;   in Loop: Header=BB353_1059 Depth=1
	s_or_b32 exec_lo, exec_lo, s21
	v_mov_b32_e32 v13, 24
	v_lshlrev_b32_e32 v22, 20, v26
	v_lshl_add_u32 v21, v21, 23, 0x3c000000
	v_lshlrev_b32_sdwa v13, v13, v25 dst_sel:DWORD dst_unused:UNUSED_PAD src0_sel:DWORD src1_sel:WORD_1
	v_and_b32_e32 v13, 0x80000000, v13
	v_or3_b32 v21, v22, v13, v21
.LBB353_1312:                           ;   in Loop: Header=BB353_1059 Depth=1
	s_or_b32 exec_lo, exec_lo, s20
.LBB353_1313:                           ;   in Loop: Header=BB353_1059 Depth=1
	s_or_b32 exec_lo, exec_lo, s19
.LBB353_1314:                           ;   in Loop: Header=BB353_1059 Depth=1
	s_or_b32 exec_lo, exec_lo, s18
	s_mov_b32 s18, exec_lo
	v_cmpx_lt_u64_e64 s[6:7], v[24:25]
	s_cbranch_execz .LBB353_1322
; %bb.1315:                             ;   in Loop: Header=BB353_1059 Depth=1
	v_cmp_ne_u32_sdwa s4, v25, v80 src0_sel:BYTE_3 src1_sel:DWORD
	v_bfrev_b32_e32 v18, 1
	s_and_saveexec_b32 s19, s4
	s_cbranch_execz .LBB353_1321
; %bb.1316:                             ;   in Loop: Header=BB353_1059 Depth=1
	v_bfe_u32 v22, v25, 24, 7
	v_mov_b32_e32 v18, 0x7f800001
	s_mov_b32 s20, exec_lo
	v_cmpx_ne_u32_e32 0x7f, v22
	s_cbranch_execz .LBB353_1320
; %bb.1317:                             ;   in Loop: Header=BB353_1059 Depth=1
	v_mov_b32_e32 v13, 7
	v_lshrrev_b32_e32 v18, 3, v22
	s_mov_b32 s21, exec_lo
	v_and_b32_sdwa v13, v25, v13 dst_sel:DWORD dst_unused:UNUSED_PAD src0_sel:BYTE_3 src1_sel:DWORD
	v_mov_b32_e32 v27, v14
	v_mov_b32_e32 v26, v13
	v_cmpx_gt_u32_e32 8, v22
; %bb.1318:                             ;   in Loop: Header=BB353_1059 Depth=1
	v_ffbh_u32_e32 v18, v13
	v_min_u32_e32 v18, 32, v18
	v_subrev_nc_u32_e32 v22, 28, v18
	v_sub_nc_u32_e32 v18, 29, v18
	v_lshlrev_b64 v[22:23], v22, v[13:14]
	v_and_b32_e32 v26, 7, v22
; %bb.1319:                             ;   in Loop: Header=BB353_1059 Depth=1
	s_or_b32 exec_lo, exec_lo, s21
	v_mov_b32_e32 v13, 24
	v_lshlrev_b32_e32 v22, 20, v26
	v_lshl_add_u32 v18, v18, 23, 0x3c000000
	v_lshlrev_b32_sdwa v13, v13, v25 dst_sel:DWORD dst_unused:UNUSED_PAD src0_sel:DWORD src1_sel:BYTE_3
	v_and_b32_e32 v13, 0x80000000, v13
	v_or3_b32 v18, v22, v13, v18
.LBB353_1320:                           ;   in Loop: Header=BB353_1059 Depth=1
	s_or_b32 exec_lo, exec_lo, s20
.LBB353_1321:                           ;   in Loop: Header=BB353_1059 Depth=1
	s_or_b32 exec_lo, exec_lo, s19
.LBB353_1322:                           ;   in Loop: Header=BB353_1059 Depth=1
	s_or_b32 exec_lo, exec_lo, s18
	v_mul_f32_e32 v13, v72, v17
	v_mul_f32_e32 v16, v72, v16
	;; [unrolled: 1-line block ×5, first 2 shown]
	v_bfe_u32 v17, v13, 16, 1
	v_or_b32_e32 v22, 0x400000, v13
	v_bfe_u32 v23, v16, 16, 1
	v_cmp_u_f32_e64 s4, v13, v13
	v_or_b32_e32 v24, 0x400000, v16
	v_add3_u32 v17, v17, v13, 0x7fff
	v_bfe_u32 v25, v15, 16, 1
	v_add3_u32 v23, v23, v16, 0x7fff
	v_or_b32_e32 v26, 0x400000, v15
	v_bfe_u32 v27, v12, 16, 1
	v_cndmask_b32_e64 v13, v17, v22, s4
	v_cmp_u_f32_e64 s4, v16, v16
	v_add3_u32 v25, v25, v15, 0x7fff
	v_or_b32_e32 v17, 0x400000, v12
	v_mul_f32_e32 v0, v72, v0
	v_lshrrev_b32_e32 v13, 16, v13
	v_cndmask_b32_e64 v16, v23, v24, s4
	v_cmp_u_f32_e64 s4, v15, v15
	buffer_store_dword v13, off, s[0:3], s32 offset:328 ; 4-byte Folded Spill
	v_add3_u32 v13, v27, v12, 0x7fff
	v_cndmask_b32_e64 v15, v25, v26, s4
	v_lshrrev_b32_e32 v16, 16, v16
	v_cmp_u_f32_e64 s4, v12, v12
	v_lshrrev_b32_e32 v15, 16, v15
	buffer_store_dword v16, off, s[0:3], s32 offset:324 ; 4-byte Folded Spill
	v_cndmask_b32_e64 v12, v13, v17, s4
	v_mul_f32_e32 v13, v72, v21
	v_or_b32_e32 v16, 0x400000, v1
	buffer_store_dword v15, off, s[0:3], s32 offset:336 ; 4-byte Folded Spill
	v_bfe_u32 v15, v1, 16, 1
	v_mul_f32_e32 v17, v72, v18
	v_bfe_u32 v18, v0, 16, 1
	v_cmp_u_f32_e64 s4, v1, v1
	v_bfe_u32 v21, v13, 16, 1
	v_add3_u32 v15, v15, v1, 0x7fff
	v_or_b32_e32 v22, 0x400000, v13
	v_or_b32_e32 v23, 0x400000, v17
	v_lshrrev_b32_e32 v12, 16, v12
	v_add3_u32 v21, v21, v13, 0x7fff
	v_cndmask_b32_e64 v1, v15, v16, s4
	v_add3_u32 v16, v18, v0, 0x7fff
	v_or_b32_e32 v18, 0x400000, v0
	v_cmp_u_f32_e64 s4, v0, v0
	v_bfe_u32 v15, v17, 16, 1
	v_lshrrev_b32_e32 v1, 16, v1
	buffer_store_dword v12, off, s[0:3], s32 offset:332 ; 4-byte Folded Spill
	v_cndmask_b32_e64 v0, v16, v18, s4
	v_cmp_u_f32_e64 s4, v13, v13
	v_add3_u32 v15, v15, v17, 0x7fff
	buffer_store_dword v1, off, s[0:3], s32 offset:344 ; 4-byte Folded Spill
	v_lshrrev_b32_e32 v0, 16, v0
	v_cndmask_b32_e64 v13, v21, v22, s4
	v_cmp_u_f32_e64 s4, v17, v17
	buffer_store_dword v0, off, s[0:3], s32 offset:340 ; 4-byte Folded Spill
	v_lshrrev_b32_e32 v0, 16, v13
	v_cndmask_b32_e64 v15, v15, v23, s4
	buffer_store_dword v0, off, s[0:3], s32 offset:316 ; 4-byte Folded Spill
	v_lshrrev_b32_e32 v0, 16, v15
	buffer_store_dword v0, off, s[0:3], s32 offset:320 ; 4-byte Folded Spill
	s_and_saveexec_b32 s18, vcc_lo
	s_cbranch_execz .LBB353_1324
; %bb.1323:                             ;   in Loop: Header=BB353_1059 Depth=1
	buffer_load_dword v0, off, s[0:3], s32 offset:340 ; 4-byte Folded Reload
	v_cmp_lt_i32_e64 s4, v74, v32
	s_waitcnt vmcnt(0)
	v_cndmask_b32_e64 v0, 0, v0, s4
	v_cmp_lt_i32_e64 s4, v89, v32
	buffer_store_dword v0, off, s[0:3], s32 offset:340 ; 4-byte Folded Spill
	buffer_load_dword v0, off, s[0:3], s32 offset:344 ; 4-byte Folded Reload
	s_waitcnt vmcnt(0)
	v_cndmask_b32_e64 v0, 0, v0, s4
	v_cmp_lt_i32_e64 s4, v88, v32
	buffer_store_dword v0, off, s[0:3], s32 offset:344 ; 4-byte Folded Spill
	buffer_load_dword v0, off, s[0:3], s32 offset:332 ; 4-byte Folded Reload
	;; [unrolled: 5-line block ×7, first 2 shown]
	s_waitcnt vmcnt(0)
	v_cndmask_b32_e64 v0, 0, v0, s4
	buffer_store_dword v0, off, s[0:3], s32 offset:320 ; 4-byte Folded Spill
.LBB353_1324:                           ;   in Loop: Header=BB353_1059 Depth=1
	s_or_b32 exec_lo, exec_lo, s18
	flat_load_dwordx2 v[24:25], v[19:20] offset:1024
	v_mov_b32_e32 v1, 0
	v_mov_b32_e32 v0, 0
	s_waitcnt vmcnt(0) lgkmcnt(0)
	v_cmp_ne_u16_sdwa s4, v24, v14 src0_sel:BYTE_0 src1_sel:DWORD
	s_and_saveexec_b32 s18, s4
	s_cbranch_execz .LBB353_1332
; %bb.1325:                             ;   in Loop: Header=BB353_1059 Depth=1
	v_cmp_ne_u16_sdwa s4, v24, v80 src0_sel:BYTE_0 src1_sel:DWORD
	v_bfrev_b32_e32 v0, 1
	s_and_saveexec_b32 s19, s4
	s_cbranch_execz .LBB353_1331
; %bb.1326:                             ;   in Loop: Header=BB353_1059 Depth=1
	v_and_b32_e32 v12, 0x7f, v24
	v_mov_b32_e32 v0, 0x7f800001
	s_mov_b32 s20, exec_lo
	v_cmpx_ne_u32_e32 0x7f, v12
	s_cbranch_execz .LBB353_1330
; %bb.1327:                             ;   in Loop: Header=BB353_1059 Depth=1
	v_mov_b32_e32 v27, v25
	v_lshrrev_b32_e32 v0, 3, v12
	v_mov_b32_e32 v26, v24
	s_mov_b32 s21, exec_lo
	v_cmpx_gt_u32_e32 8, v12
; %bb.1328:                             ;   in Loop: Header=BB353_1059 Depth=1
	v_and_b32_e32 v0, 7, v24
	v_ffbh_u32_e32 v0, v0
	v_min_u32_e32 v0, 32, v0
	v_subrev_nc_u32_e32 v12, 28, v0
	v_sub_nc_u32_e32 v0, 29, v0
	v_lshlrev_b64 v[26:27], v12, v[24:25]
; %bb.1329:                             ;   in Loop: Header=BB353_1059 Depth=1
	s_or_b32 exec_lo, exec_lo, s21
	v_lshlrev_b32_e32 v12, 20, v26
	v_lshlrev_b32_e32 v13, 24, v24
	v_lshl_add_u32 v0, v0, 23, 0x3c000000
	v_and_b32_e32 v12, 0x700000, v12
	v_and_b32_e32 v13, 0x80000000, v13
	v_or3_b32 v0, v12, v13, v0
.LBB353_1330:                           ;   in Loop: Header=BB353_1059 Depth=1
	s_or_b32 exec_lo, exec_lo, s20
.LBB353_1331:                           ;   in Loop: Header=BB353_1059 Depth=1
	s_or_b32 exec_lo, exec_lo, s19
.LBB353_1332:                           ;   in Loop: Header=BB353_1059 Depth=1
	s_or_b32 exec_lo, exec_lo, s18
	v_cmp_ne_u16_sdwa s4, v24, v14 src0_sel:BYTE_1 src1_sel:DWORD
	s_and_saveexec_b32 s18, s4
	s_cbranch_execz .LBB353_1340
; %bb.1333:                             ;   in Loop: Header=BB353_1059 Depth=1
	v_cmp_ne_u16_sdwa s4, v24, v80 src0_sel:BYTE_1 src1_sel:DWORD
	v_bfrev_b32_e32 v1, 1
	s_and_saveexec_b32 s19, s4
	s_cbranch_execz .LBB353_1339
; %bb.1334:                             ;   in Loop: Header=BB353_1059 Depth=1
	v_mov_b32_e32 v1, 0xffff
	s_mov_b32 s20, exec_lo
	v_and_b32_sdwa v13, v1, v24 dst_sel:DWORD dst_unused:UNUSED_PAD src0_sel:DWORD src1_sel:BYTE_1
	v_mov_b32_e32 v1, 0x7f800001
	v_and_b32_e32 v12, 0x7f, v13
	v_cmpx_ne_u32_e32 0x7f, v12
	s_cbranch_execz .LBB353_1338
; %bb.1335:                             ;   in Loop: Header=BB353_1059 Depth=1
	v_and_b32_e32 v13, 7, v13
	v_mov_b32_e32 v27, v14
	v_lshrrev_b32_e32 v1, 3, v12
	s_mov_b32 s21, exec_lo
	v_mov_b32_e32 v26, v13
	v_cmpx_gt_u32_e32 8, v12
; %bb.1336:                             ;   in Loop: Header=BB353_1059 Depth=1
	v_ffbh_u32_e32 v1, v13
	v_min_u32_e32 v1, 32, v1
	v_subrev_nc_u32_e32 v12, 28, v1
	v_sub_nc_u32_e32 v1, 29, v1
	v_lshlrev_b64 v[12:13], v12, v[13:14]
	v_and_b32_e32 v26, 7, v12
; %bb.1337:                             ;   in Loop: Header=BB353_1059 Depth=1
	s_or_b32 exec_lo, exec_lo, s21
	v_lshlrev_b32_e32 v12, 16, v24
	v_lshlrev_b32_e32 v13, 20, v26
	v_lshl_add_u32 v1, v1, 23, 0x3c000000
	v_and_b32_e32 v12, 0x80000000, v12
	v_or3_b32 v1, v13, v12, v1
.LBB353_1338:                           ;   in Loop: Header=BB353_1059 Depth=1
	s_or_b32 exec_lo, exec_lo, s20
.LBB353_1339:                           ;   in Loop: Header=BB353_1059 Depth=1
	s_or_b32 exec_lo, exec_lo, s19
.LBB353_1340:                           ;   in Loop: Header=BB353_1059 Depth=1
	s_or_b32 exec_lo, exec_lo, s18
	v_and_b32_sdwa v13, v24, v82 dst_sel:DWORD dst_unused:UNUSED_PAD src0_sel:WORD_1 src1_sel:DWORD
	v_mov_b32_e32 v15, 0
	v_mov_b32_e32 v12, 0
	s_mov_b32 s18, exec_lo
	v_cmpx_ne_u16_e32 0, v13
	s_cbranch_execz .LBB353_1348
; %bb.1341:                             ;   in Loop: Header=BB353_1059 Depth=1
	v_bfrev_b32_e32 v12, 1
	s_mov_b32 s19, exec_lo
	v_cmpx_ne_u16_e32 0x80, v13
	s_cbranch_execz .LBB353_1347
; %bb.1342:                             ;   in Loop: Header=BB353_1059 Depth=1
	v_bfe_u32 v16, v24, 16, 7
	v_mov_b32_e32 v12, 0x7f800001
	s_mov_b32 s20, exec_lo
	v_cmpx_ne_u32_e32 0x7f, v16
	s_cbranch_execz .LBB353_1346
; %bb.1343:                             ;   in Loop: Header=BB353_1059 Depth=1
	v_mov_b32_e32 v12, 7
	s_mov_b32 s21, exec_lo
	v_and_b32_sdwa v13, v24, v12 dst_sel:DWORD dst_unused:UNUSED_PAD src0_sel:WORD_1 src1_sel:DWORD
	v_mov_b32_e32 v27, v14
	v_lshrrev_b32_e32 v12, 3, v16
	v_mov_b32_e32 v26, v13
	v_cmpx_gt_u32_e32 8, v16
; %bb.1344:                             ;   in Loop: Header=BB353_1059 Depth=1
	v_ffbh_u32_e32 v12, v13
	v_min_u32_e32 v12, 32, v12
	v_subrev_nc_u32_e32 v16, 28, v12
	v_sub_nc_u32_e32 v12, 29, v12
	v_lshlrev_b64 v[16:17], v16, v[13:14]
	v_and_b32_e32 v26, 7, v16
; %bb.1345:                             ;   in Loop: Header=BB353_1059 Depth=1
	s_or_b32 exec_lo, exec_lo, s21
	v_mov_b32_e32 v13, 24
	v_lshlrev_b32_e32 v16, 20, v26
	v_lshl_add_u32 v12, v12, 23, 0x3c000000
	v_lshlrev_b32_sdwa v13, v13, v24 dst_sel:DWORD dst_unused:UNUSED_PAD src0_sel:DWORD src1_sel:WORD_1
	v_and_b32_e32 v13, 0x80000000, v13
	v_or3_b32 v12, v16, v13, v12
.LBB353_1346:                           ;   in Loop: Header=BB353_1059 Depth=1
	s_or_b32 exec_lo, exec_lo, s20
.LBB353_1347:                           ;   in Loop: Header=BB353_1059 Depth=1
	s_or_b32 exec_lo, exec_lo, s19
.LBB353_1348:                           ;   in Loop: Header=BB353_1059 Depth=1
	s_or_b32 exec_lo, exec_lo, s18
	s_mov_b32 s18, exec_lo
	v_cmpx_lt_u32_e32 0xffffff, v24
	s_cbranch_execz .LBB353_1356
; %bb.1349:                             ;   in Loop: Header=BB353_1059 Depth=1
	v_cmp_ne_u32_sdwa s4, v24, v80 src0_sel:BYTE_3 src1_sel:DWORD
	v_bfrev_b32_e32 v15, 1
	s_and_saveexec_b32 s19, s4
	s_cbranch_execz .LBB353_1355
; %bb.1350:                             ;   in Loop: Header=BB353_1059 Depth=1
	v_bfe_u32 v16, v24, 24, 7
	v_mov_b32_e32 v15, 0x7f800001
	s_mov_b32 s20, exec_lo
	v_cmpx_ne_u32_e32 0x7f, v16
	s_cbranch_execz .LBB353_1354
; %bb.1351:                             ;   in Loop: Header=BB353_1059 Depth=1
	v_mov_b32_e32 v13, 7
	v_lshrrev_b32_e32 v15, 3, v16
	s_mov_b32 s21, exec_lo
	v_and_b32_sdwa v13, v24, v13 dst_sel:DWORD dst_unused:UNUSED_PAD src0_sel:BYTE_3 src1_sel:DWORD
	v_mov_b32_e32 v27, v14
	v_mov_b32_e32 v26, v13
	v_cmpx_gt_u32_e32 8, v16
; %bb.1352:                             ;   in Loop: Header=BB353_1059 Depth=1
	v_ffbh_u32_e32 v15, v13
	v_min_u32_e32 v15, 32, v15
	v_subrev_nc_u32_e32 v16, 28, v15
	v_sub_nc_u32_e32 v15, 29, v15
	v_lshlrev_b64 v[16:17], v16, v[13:14]
	v_and_b32_e32 v26, 7, v16
; %bb.1353:                             ;   in Loop: Header=BB353_1059 Depth=1
	s_or_b32 exec_lo, exec_lo, s21
	v_mov_b32_e32 v13, 24
	v_lshlrev_b32_e32 v16, 20, v26
	v_lshl_add_u32 v15, v15, 23, 0x3c000000
	v_lshlrev_b32_sdwa v13, v13, v24 dst_sel:DWORD dst_unused:UNUSED_PAD src0_sel:DWORD src1_sel:BYTE_3
	v_and_b32_e32 v13, 0x80000000, v13
	v_or3_b32 v15, v16, v13, v15
.LBB353_1354:                           ;   in Loop: Header=BB353_1059 Depth=1
	s_or_b32 exec_lo, exec_lo, s20
.LBB353_1355:                           ;   in Loop: Header=BB353_1059 Depth=1
	s_or_b32 exec_lo, exec_lo, s19
.LBB353_1356:                           ;   in Loop: Header=BB353_1059 Depth=1
	s_or_b32 exec_lo, exec_lo, s18
	v_mov_b32_e32 v13, v25
	v_cmp_ne_u16_sdwa s4, v25, v14 src0_sel:BYTE_0 src1_sel:DWORD
	v_mov_b32_e32 v17, 0
	v_mov_b32_e32 v16, 0
	s_and_saveexec_b32 s18, s4
	s_cbranch_execz .LBB353_1364
; %bb.1357:                             ;   in Loop: Header=BB353_1059 Depth=1
	v_cmp_ne_u16_sdwa s4, v25, v80 src0_sel:BYTE_0 src1_sel:DWORD
	v_bfrev_b32_e32 v16, 1
	s_and_saveexec_b32 s19, s4
	s_cbranch_execz .LBB353_1363
; %bb.1358:                             ;   in Loop: Header=BB353_1059 Depth=1
	v_and_b32_e32 v18, 0x7f, v25
	v_mov_b32_e32 v16, 0x7f800001
	s_mov_b32 s20, exec_lo
	v_cmpx_ne_u32_e32 0x7f, v18
	s_cbranch_execz .LBB353_1362
; %bb.1359:                             ;   in Loop: Header=BB353_1059 Depth=1
	v_mov_b32_e32 v27, v14
	v_lshrrev_b32_e32 v16, 3, v18
	v_mov_b32_e32 v26, v13
	s_mov_b32 s21, exec_lo
	v_cmpx_gt_u32_e32 8, v18
; %bb.1360:                             ;   in Loop: Header=BB353_1059 Depth=1
	v_and_b32_e32 v16, 7, v25
	v_ffbh_u32_e32 v16, v16
	v_min_u32_e32 v16, 32, v16
	v_subrev_nc_u32_e32 v18, 28, v16
	v_sub_nc_u32_e32 v16, 29, v16
	v_lshlrev_b64 v[26:27], v18, v[13:14]
; %bb.1361:                             ;   in Loop: Header=BB353_1059 Depth=1
	s_or_b32 exec_lo, exec_lo, s21
	v_lshlrev_b32_e32 v18, 20, v26
	v_lshlrev_b32_e32 v21, 24, v13
	v_lshl_add_u32 v16, v16, 23, 0x3c000000
	v_and_b32_e32 v18, 0x700000, v18
	v_and_b32_e32 v21, 0x80000000, v21
	v_or3_b32 v16, v18, v21, v16
.LBB353_1362:                           ;   in Loop: Header=BB353_1059 Depth=1
	s_or_b32 exec_lo, exec_lo, s20
.LBB353_1363:                           ;   in Loop: Header=BB353_1059 Depth=1
	s_or_b32 exec_lo, exec_lo, s19
.LBB353_1364:                           ;   in Loop: Header=BB353_1059 Depth=1
	s_or_b32 exec_lo, exec_lo, s18
	v_cmp_ne_u16_sdwa s4, v13, v14 src0_sel:BYTE_1 src1_sel:DWORD
	s_and_saveexec_b32 s18, s4
	s_cbranch_execz .LBB353_1372
; %bb.1365:                             ;   in Loop: Header=BB353_1059 Depth=1
	v_cmp_ne_u16_sdwa s4, v13, v80 src0_sel:BYTE_1 src1_sel:DWORD
	v_bfrev_b32_e32 v17, 1
	s_and_saveexec_b32 s19, s4
	s_cbranch_execz .LBB353_1371
; %bb.1366:                             ;   in Loop: Header=BB353_1059 Depth=1
	v_mov_b32_e32 v17, 0xffff
	s_mov_b32 s20, exec_lo
	v_and_b32_sdwa v21, v17, v13 dst_sel:DWORD dst_unused:UNUSED_PAD src0_sel:DWORD src1_sel:BYTE_1
	v_mov_b32_e32 v17, 0x7f800001
	v_and_b32_e32 v18, 0x7f, v21
	v_cmpx_ne_u32_e32 0x7f, v18
	s_cbranch_execz .LBB353_1370
; %bb.1367:                             ;   in Loop: Header=BB353_1059 Depth=1
	v_and_b32_e32 v26, 7, v21
	v_mov_b32_e32 v27, v14
	v_lshrrev_b32_e32 v17, 3, v18
	s_mov_b32 s21, exec_lo
	v_cmpx_gt_u32_e32 8, v18
; %bb.1368:                             ;   in Loop: Header=BB353_1059 Depth=1
	v_ffbh_u32_e32 v17, v26
	v_min_u32_e32 v17, 32, v17
	v_subrev_nc_u32_e32 v18, 28, v17
	v_sub_nc_u32_e32 v17, 29, v17
	v_lshlrev_b64 v[21:22], v18, v[26:27]
	v_and_b32_e32 v26, 7, v21
; %bb.1369:                             ;   in Loop: Header=BB353_1059 Depth=1
	s_or_b32 exec_lo, exec_lo, s21
	v_lshlrev_b32_e32 v13, 16, v13
	v_lshlrev_b32_e32 v18, 20, v26
	v_lshl_add_u32 v17, v17, 23, 0x3c000000
	v_and_b32_e32 v13, 0x80000000, v13
	v_or3_b32 v17, v18, v13, v17
.LBB353_1370:                           ;   in Loop: Header=BB353_1059 Depth=1
	s_or_b32 exec_lo, exec_lo, s20
.LBB353_1371:                           ;   in Loop: Header=BB353_1059 Depth=1
	s_or_b32 exec_lo, exec_lo, s19
.LBB353_1372:                           ;   in Loop: Header=BB353_1059 Depth=1
	s_or_b32 exec_lo, exec_lo, s18
	v_and_b32_sdwa v13, v25, v82 dst_sel:DWORD dst_unused:UNUSED_PAD src0_sel:WORD_1 src1_sel:DWORD
	v_mov_b32_e32 v18, 0
	v_mov_b32_e32 v21, 0
	s_mov_b32 s18, exec_lo
	v_cmpx_ne_u16_e32 0, v13
	s_cbranch_execz .LBB353_1380
; %bb.1373:                             ;   in Loop: Header=BB353_1059 Depth=1
	v_bfrev_b32_e32 v21, 1
	s_mov_b32 s19, exec_lo
	v_cmpx_ne_u16_e32 0x80, v13
	s_cbranch_execz .LBB353_1379
; %bb.1374:                             ;   in Loop: Header=BB353_1059 Depth=1
	v_bfe_u32 v22, v25, 16, 7
	v_mov_b32_e32 v21, 0x7f800001
	s_mov_b32 s20, exec_lo
	v_cmpx_ne_u32_e32 0x7f, v22
	s_cbranch_execz .LBB353_1378
; %bb.1375:                             ;   in Loop: Header=BB353_1059 Depth=1
	v_mov_b32_e32 v13, 7
	v_lshrrev_b32_e32 v21, 3, v22
	s_mov_b32 s21, exec_lo
	v_and_b32_sdwa v13, v25, v13 dst_sel:DWORD dst_unused:UNUSED_PAD src0_sel:WORD_1 src1_sel:DWORD
	v_mov_b32_e32 v27, v14
	v_mov_b32_e32 v26, v13
	v_cmpx_gt_u32_e32 8, v22
; %bb.1376:                             ;   in Loop: Header=BB353_1059 Depth=1
	v_ffbh_u32_e32 v21, v13
	v_min_u32_e32 v21, 32, v21
	v_subrev_nc_u32_e32 v22, 28, v21
	v_sub_nc_u32_e32 v21, 29, v21
	v_lshlrev_b64 v[22:23], v22, v[13:14]
	v_and_b32_e32 v26, 7, v22
; %bb.1377:                             ;   in Loop: Header=BB353_1059 Depth=1
	s_or_b32 exec_lo, exec_lo, s21
	v_mov_b32_e32 v13, 24
	v_lshlrev_b32_e32 v22, 20, v26
	v_lshl_add_u32 v21, v21, 23, 0x3c000000
	v_lshlrev_b32_sdwa v13, v13, v25 dst_sel:DWORD dst_unused:UNUSED_PAD src0_sel:DWORD src1_sel:WORD_1
	v_and_b32_e32 v13, 0x80000000, v13
	v_or3_b32 v21, v22, v13, v21
.LBB353_1378:                           ;   in Loop: Header=BB353_1059 Depth=1
	s_or_b32 exec_lo, exec_lo, s20
.LBB353_1379:                           ;   in Loop: Header=BB353_1059 Depth=1
	s_or_b32 exec_lo, exec_lo, s19
.LBB353_1380:                           ;   in Loop: Header=BB353_1059 Depth=1
	s_or_b32 exec_lo, exec_lo, s18
	s_mov_b32 s18, exec_lo
	v_cmpx_lt_u64_e64 s[6:7], v[24:25]
	s_cbranch_execz .LBB353_1388
; %bb.1381:                             ;   in Loop: Header=BB353_1059 Depth=1
	v_cmp_ne_u32_sdwa s4, v25, v80 src0_sel:BYTE_3 src1_sel:DWORD
	v_bfrev_b32_e32 v18, 1
	s_and_saveexec_b32 s19, s4
	s_cbranch_execz .LBB353_1387
; %bb.1382:                             ;   in Loop: Header=BB353_1059 Depth=1
	v_bfe_u32 v22, v25, 24, 7
	v_mov_b32_e32 v18, 0x7f800001
	s_mov_b32 s20, exec_lo
	v_cmpx_ne_u32_e32 0x7f, v22
	s_cbranch_execz .LBB353_1386
; %bb.1383:                             ;   in Loop: Header=BB353_1059 Depth=1
	v_mov_b32_e32 v13, 7
	v_lshrrev_b32_e32 v18, 3, v22
	s_mov_b32 s21, exec_lo
	v_and_b32_sdwa v13, v25, v13 dst_sel:DWORD dst_unused:UNUSED_PAD src0_sel:BYTE_3 src1_sel:DWORD
	v_mov_b32_e32 v27, v14
	v_mov_b32_e32 v26, v13
	v_cmpx_gt_u32_e32 8, v22
; %bb.1384:                             ;   in Loop: Header=BB353_1059 Depth=1
	v_ffbh_u32_e32 v18, v13
	v_min_u32_e32 v18, 32, v18
	v_subrev_nc_u32_e32 v22, 28, v18
	v_sub_nc_u32_e32 v18, 29, v18
	v_lshlrev_b64 v[22:23], v22, v[13:14]
	v_and_b32_e32 v26, 7, v22
; %bb.1385:                             ;   in Loop: Header=BB353_1059 Depth=1
	s_or_b32 exec_lo, exec_lo, s21
	v_mov_b32_e32 v13, 24
	v_lshlrev_b32_e32 v22, 20, v26
	v_lshl_add_u32 v18, v18, 23, 0x3c000000
	v_lshlrev_b32_sdwa v13, v13, v25 dst_sel:DWORD dst_unused:UNUSED_PAD src0_sel:DWORD src1_sel:BYTE_3
	v_and_b32_e32 v13, 0x80000000, v13
	v_or3_b32 v18, v22, v13, v18
.LBB353_1386:                           ;   in Loop: Header=BB353_1059 Depth=1
	s_or_b32 exec_lo, exec_lo, s20
.LBB353_1387:                           ;   in Loop: Header=BB353_1059 Depth=1
	s_or_b32 exec_lo, exec_lo, s19
.LBB353_1388:                           ;   in Loop: Header=BB353_1059 Depth=1
	s_or_b32 exec_lo, exec_lo, s18
	v_mul_f32_e32 v13, v72, v17
	v_mul_f32_e32 v16, v72, v16
	v_mul_f32_e32 v15, v72, v15
	v_mul_f32_e32 v12, v72, v12
	v_mul_f32_e32 v1, v72, v1
	v_bfe_u32 v17, v13, 16, 1
	v_or_b32_e32 v22, 0x400000, v13
	v_bfe_u32 v23, v16, 16, 1
	v_cmp_u_f32_e64 s4, v13, v13
	v_or_b32_e32 v24, 0x400000, v16
	v_add3_u32 v17, v17, v13, 0x7fff
	v_bfe_u32 v25, v15, 16, 1
	v_add3_u32 v23, v23, v16, 0x7fff
	v_or_b32_e32 v26, 0x400000, v15
	v_bfe_u32 v27, v12, 16, 1
	v_cndmask_b32_e64 v13, v17, v22, s4
	v_cmp_u_f32_e64 s4, v16, v16
	v_add3_u32 v25, v25, v15, 0x7fff
	v_or_b32_e32 v17, 0x400000, v12
	v_mul_f32_e32 v0, v72, v0
	v_lshrrev_b32_e32 v91, 16, v13
	v_cndmask_b32_e64 v16, v23, v24, s4
	v_cmp_u_f32_e64 s4, v15, v15
	v_add3_u32 v13, v27, v12, 0x7fff
	v_lshrrev_b32_e32 v16, 16, v16
	v_cndmask_b32_e64 v15, v25, v26, s4
	v_cmp_u_f32_e64 s4, v12, v12
	buffer_store_dword v16, off, s[0:3], s32 offset:348 ; 4-byte Folded Spill
	v_lshrrev_b32_e32 v94, 16, v15
	v_bfe_u32 v15, v1, 16, 1
	v_cndmask_b32_e64 v12, v13, v17, s4
	v_mul_f32_e32 v13, v72, v21
	v_or_b32_e32 v16, 0x400000, v1
	v_mul_f32_e32 v17, v72, v18
	v_add3_u32 v15, v15, v1, 0x7fff
	v_bfe_u32 v18, v0, 16, 1
	v_cmp_u_f32_e64 s4, v1, v1
	v_bfe_u32 v21, v13, 16, 1
	v_or_b32_e32 v22, 0x400000, v13
	v_or_b32_e32 v23, 0x400000, v17
	v_lshrrev_b32_e32 v95, 16, v12
	v_cndmask_b32_e64 v1, v15, v16, s4
	v_add3_u32 v16, v18, v0, 0x7fff
	v_or_b32_e32 v18, 0x400000, v0
	v_cmp_u_f32_e64 s4, v0, v0
	v_bfe_u32 v15, v17, 16, 1
	v_add3_u32 v21, v21, v13, 0x7fff
	v_lshrrev_b32_e32 v105, 16, v1
	v_cndmask_b32_e64 v0, v16, v18, s4
	v_cmp_u_f32_e64 s4, v13, v13
	v_add3_u32 v15, v15, v17, 0x7fff
	v_lshrrev_b32_e32 v104, 16, v0
	v_cndmask_b32_e64 v13, v21, v22, s4
	v_cmp_u_f32_e64 s4, v17, v17
	v_lshrrev_b32_e32 v92, 16, v13
	v_cndmask_b32_e64 v15, v15, v23, s4
	v_lshrrev_b32_e32 v93, 16, v15
	s_and_saveexec_b32 s18, vcc_lo
	s_cbranch_execz .LBB353_1390
; %bb.1389:                             ;   in Loop: Header=BB353_1059 Depth=1
	buffer_load_dword v0, off, s[0:3], s32 offset:348 ; 4-byte Folded Reload
	v_cmp_lt_i32_e64 s4, v74, v32
	v_cndmask_b32_e64 v104, 0, v104, s4
	v_cmp_lt_i32_e64 s4, v89, v32
	v_cndmask_b32_e64 v105, 0, v105, s4
	v_cmp_lt_i32_e64 s4, v88, v32
	v_cndmask_b32_e64 v95, 0, v95, s4
	v_cmp_lt_i32_e64 s4, v79, v32
	v_cndmask_b32_e64 v94, 0, v94, s4
	v_cmp_lt_i32_e64 s4, v78, v32
	s_waitcnt vmcnt(0)
	v_cndmask_b32_e64 v0, 0, v0, s4
	v_cmp_lt_i32_e64 s4, v77, v32
	buffer_store_dword v0, off, s[0:3], s32 offset:348 ; 4-byte Folded Spill
	v_cndmask_b32_e64 v91, 0, v91, s4
	v_cmp_lt_i32_e64 s4, v76, v32
	v_cndmask_b32_e64 v92, 0, v92, s4
	v_cmp_lt_i32_e64 s4, v75, v32
	v_cndmask_b32_e64 v93, 0, v93, s4
.LBB353_1390:                           ;   in Loop: Header=BB353_1059 Depth=1
	s_or_b32 exec_lo, exec_lo, s18
	flat_load_dwordx2 v[24:25], v[19:20] offset:1280
	v_mov_b32_e32 v1, 0
	v_mov_b32_e32 v0, 0
	s_waitcnt vmcnt(0) lgkmcnt(0)
	v_cmp_ne_u16_sdwa s4, v24, v14 src0_sel:BYTE_0 src1_sel:DWORD
	s_and_saveexec_b32 s18, s4
	s_cbranch_execz .LBB353_1398
; %bb.1391:                             ;   in Loop: Header=BB353_1059 Depth=1
	v_cmp_ne_u16_sdwa s4, v24, v80 src0_sel:BYTE_0 src1_sel:DWORD
	v_bfrev_b32_e32 v0, 1
	s_and_saveexec_b32 s19, s4
	s_cbranch_execz .LBB353_1397
; %bb.1392:                             ;   in Loop: Header=BB353_1059 Depth=1
	v_and_b32_e32 v12, 0x7f, v24
	v_mov_b32_e32 v0, 0x7f800001
	s_mov_b32 s20, exec_lo
	v_cmpx_ne_u32_e32 0x7f, v12
	s_cbranch_execz .LBB353_1396
; %bb.1393:                             ;   in Loop: Header=BB353_1059 Depth=1
	v_mov_b32_e32 v27, v25
	v_lshrrev_b32_e32 v0, 3, v12
	v_mov_b32_e32 v26, v24
	s_mov_b32 s21, exec_lo
	v_cmpx_gt_u32_e32 8, v12
; %bb.1394:                             ;   in Loop: Header=BB353_1059 Depth=1
	v_and_b32_e32 v0, 7, v24
	v_ffbh_u32_e32 v0, v0
	v_min_u32_e32 v0, 32, v0
	v_subrev_nc_u32_e32 v12, 28, v0
	v_sub_nc_u32_e32 v0, 29, v0
	v_lshlrev_b64 v[26:27], v12, v[24:25]
; %bb.1395:                             ;   in Loop: Header=BB353_1059 Depth=1
	s_or_b32 exec_lo, exec_lo, s21
	v_lshlrev_b32_e32 v12, 20, v26
	v_lshlrev_b32_e32 v13, 24, v24
	v_lshl_add_u32 v0, v0, 23, 0x3c000000
	v_and_b32_e32 v12, 0x700000, v12
	v_and_b32_e32 v13, 0x80000000, v13
	v_or3_b32 v0, v12, v13, v0
.LBB353_1396:                           ;   in Loop: Header=BB353_1059 Depth=1
	s_or_b32 exec_lo, exec_lo, s20
.LBB353_1397:                           ;   in Loop: Header=BB353_1059 Depth=1
	s_or_b32 exec_lo, exec_lo, s19
.LBB353_1398:                           ;   in Loop: Header=BB353_1059 Depth=1
	s_or_b32 exec_lo, exec_lo, s18
	v_cmp_ne_u16_sdwa s4, v24, v14 src0_sel:BYTE_1 src1_sel:DWORD
	s_and_saveexec_b32 s18, s4
	s_cbranch_execz .LBB353_1406
; %bb.1399:                             ;   in Loop: Header=BB353_1059 Depth=1
	v_cmp_ne_u16_sdwa s4, v24, v80 src0_sel:BYTE_1 src1_sel:DWORD
	v_bfrev_b32_e32 v1, 1
	s_and_saveexec_b32 s19, s4
	s_cbranch_execz .LBB353_1405
; %bb.1400:                             ;   in Loop: Header=BB353_1059 Depth=1
	v_mov_b32_e32 v1, 0xffff
	s_mov_b32 s20, exec_lo
	v_and_b32_sdwa v13, v1, v24 dst_sel:DWORD dst_unused:UNUSED_PAD src0_sel:DWORD src1_sel:BYTE_1
	v_mov_b32_e32 v1, 0x7f800001
	v_and_b32_e32 v12, 0x7f, v13
	v_cmpx_ne_u32_e32 0x7f, v12
	s_cbranch_execz .LBB353_1404
; %bb.1401:                             ;   in Loop: Header=BB353_1059 Depth=1
	v_and_b32_e32 v13, 7, v13
	v_mov_b32_e32 v27, v14
	v_lshrrev_b32_e32 v1, 3, v12
	s_mov_b32 s21, exec_lo
	v_mov_b32_e32 v26, v13
	v_cmpx_gt_u32_e32 8, v12
; %bb.1402:                             ;   in Loop: Header=BB353_1059 Depth=1
	v_ffbh_u32_e32 v1, v13
	v_min_u32_e32 v1, 32, v1
	v_subrev_nc_u32_e32 v12, 28, v1
	v_sub_nc_u32_e32 v1, 29, v1
	v_lshlrev_b64 v[12:13], v12, v[13:14]
	v_and_b32_e32 v26, 7, v12
; %bb.1403:                             ;   in Loop: Header=BB353_1059 Depth=1
	s_or_b32 exec_lo, exec_lo, s21
	v_lshlrev_b32_e32 v12, 16, v24
	v_lshlrev_b32_e32 v13, 20, v26
	v_lshl_add_u32 v1, v1, 23, 0x3c000000
	v_and_b32_e32 v12, 0x80000000, v12
	v_or3_b32 v1, v13, v12, v1
.LBB353_1404:                           ;   in Loop: Header=BB353_1059 Depth=1
	s_or_b32 exec_lo, exec_lo, s20
.LBB353_1405:                           ;   in Loop: Header=BB353_1059 Depth=1
	s_or_b32 exec_lo, exec_lo, s19
.LBB353_1406:                           ;   in Loop: Header=BB353_1059 Depth=1
	s_or_b32 exec_lo, exec_lo, s18
	v_and_b32_sdwa v13, v24, v82 dst_sel:DWORD dst_unused:UNUSED_PAD src0_sel:WORD_1 src1_sel:DWORD
	v_mov_b32_e32 v15, 0
	v_mov_b32_e32 v12, 0
	s_mov_b32 s18, exec_lo
	v_cmpx_ne_u16_e32 0, v13
	s_cbranch_execz .LBB353_1414
; %bb.1407:                             ;   in Loop: Header=BB353_1059 Depth=1
	v_bfrev_b32_e32 v12, 1
	s_mov_b32 s19, exec_lo
	v_cmpx_ne_u16_e32 0x80, v13
	s_cbranch_execz .LBB353_1413
; %bb.1408:                             ;   in Loop: Header=BB353_1059 Depth=1
	v_bfe_u32 v16, v24, 16, 7
	v_mov_b32_e32 v12, 0x7f800001
	s_mov_b32 s20, exec_lo
	v_cmpx_ne_u32_e32 0x7f, v16
	s_cbranch_execz .LBB353_1412
; %bb.1409:                             ;   in Loop: Header=BB353_1059 Depth=1
	v_mov_b32_e32 v12, 7
	s_mov_b32 s21, exec_lo
	v_and_b32_sdwa v13, v24, v12 dst_sel:DWORD dst_unused:UNUSED_PAD src0_sel:WORD_1 src1_sel:DWORD
	v_mov_b32_e32 v27, v14
	v_lshrrev_b32_e32 v12, 3, v16
	v_mov_b32_e32 v26, v13
	v_cmpx_gt_u32_e32 8, v16
; %bb.1410:                             ;   in Loop: Header=BB353_1059 Depth=1
	v_ffbh_u32_e32 v12, v13
	v_min_u32_e32 v12, 32, v12
	v_subrev_nc_u32_e32 v16, 28, v12
	v_sub_nc_u32_e32 v12, 29, v12
	v_lshlrev_b64 v[16:17], v16, v[13:14]
	v_and_b32_e32 v26, 7, v16
; %bb.1411:                             ;   in Loop: Header=BB353_1059 Depth=1
	s_or_b32 exec_lo, exec_lo, s21
	v_mov_b32_e32 v13, 24
	v_lshlrev_b32_e32 v16, 20, v26
	v_lshl_add_u32 v12, v12, 23, 0x3c000000
	v_lshlrev_b32_sdwa v13, v13, v24 dst_sel:DWORD dst_unused:UNUSED_PAD src0_sel:DWORD src1_sel:WORD_1
	v_and_b32_e32 v13, 0x80000000, v13
	v_or3_b32 v12, v16, v13, v12
.LBB353_1412:                           ;   in Loop: Header=BB353_1059 Depth=1
	s_or_b32 exec_lo, exec_lo, s20
.LBB353_1413:                           ;   in Loop: Header=BB353_1059 Depth=1
	s_or_b32 exec_lo, exec_lo, s19
.LBB353_1414:                           ;   in Loop: Header=BB353_1059 Depth=1
	s_or_b32 exec_lo, exec_lo, s18
	s_mov_b32 s18, exec_lo
	v_cmpx_lt_u32_e32 0xffffff, v24
	s_cbranch_execz .LBB353_1422
; %bb.1415:                             ;   in Loop: Header=BB353_1059 Depth=1
	v_cmp_ne_u32_sdwa s4, v24, v80 src0_sel:BYTE_3 src1_sel:DWORD
	v_bfrev_b32_e32 v15, 1
	s_and_saveexec_b32 s19, s4
	s_cbranch_execz .LBB353_1421
; %bb.1416:                             ;   in Loop: Header=BB353_1059 Depth=1
	v_bfe_u32 v16, v24, 24, 7
	v_mov_b32_e32 v15, 0x7f800001
	s_mov_b32 s20, exec_lo
	v_cmpx_ne_u32_e32 0x7f, v16
	s_cbranch_execz .LBB353_1420
; %bb.1417:                             ;   in Loop: Header=BB353_1059 Depth=1
	v_mov_b32_e32 v13, 7
	v_lshrrev_b32_e32 v15, 3, v16
	s_mov_b32 s21, exec_lo
	v_and_b32_sdwa v13, v24, v13 dst_sel:DWORD dst_unused:UNUSED_PAD src0_sel:BYTE_3 src1_sel:DWORD
	v_mov_b32_e32 v27, v14
	v_mov_b32_e32 v26, v13
	v_cmpx_gt_u32_e32 8, v16
; %bb.1418:                             ;   in Loop: Header=BB353_1059 Depth=1
	v_ffbh_u32_e32 v15, v13
	v_min_u32_e32 v15, 32, v15
	v_subrev_nc_u32_e32 v16, 28, v15
	v_sub_nc_u32_e32 v15, 29, v15
	v_lshlrev_b64 v[16:17], v16, v[13:14]
	v_and_b32_e32 v26, 7, v16
; %bb.1419:                             ;   in Loop: Header=BB353_1059 Depth=1
	s_or_b32 exec_lo, exec_lo, s21
	v_mov_b32_e32 v13, 24
	v_lshlrev_b32_e32 v16, 20, v26
	v_lshl_add_u32 v15, v15, 23, 0x3c000000
	v_lshlrev_b32_sdwa v13, v13, v24 dst_sel:DWORD dst_unused:UNUSED_PAD src0_sel:DWORD src1_sel:BYTE_3
	v_and_b32_e32 v13, 0x80000000, v13
	v_or3_b32 v15, v16, v13, v15
.LBB353_1420:                           ;   in Loop: Header=BB353_1059 Depth=1
	s_or_b32 exec_lo, exec_lo, s20
.LBB353_1421:                           ;   in Loop: Header=BB353_1059 Depth=1
	s_or_b32 exec_lo, exec_lo, s19
.LBB353_1422:                           ;   in Loop: Header=BB353_1059 Depth=1
	s_or_b32 exec_lo, exec_lo, s18
	v_mov_b32_e32 v13, v25
	v_cmp_ne_u16_sdwa s4, v25, v14 src0_sel:BYTE_0 src1_sel:DWORD
	v_mov_b32_e32 v17, 0
	v_mov_b32_e32 v16, 0
	s_and_saveexec_b32 s18, s4
	s_cbranch_execz .LBB353_1430
; %bb.1423:                             ;   in Loop: Header=BB353_1059 Depth=1
	v_cmp_ne_u16_sdwa s4, v25, v80 src0_sel:BYTE_0 src1_sel:DWORD
	v_bfrev_b32_e32 v16, 1
	s_and_saveexec_b32 s19, s4
	s_cbranch_execz .LBB353_1429
; %bb.1424:                             ;   in Loop: Header=BB353_1059 Depth=1
	v_and_b32_e32 v18, 0x7f, v25
	v_mov_b32_e32 v16, 0x7f800001
	s_mov_b32 s20, exec_lo
	v_cmpx_ne_u32_e32 0x7f, v18
	s_cbranch_execz .LBB353_1428
; %bb.1425:                             ;   in Loop: Header=BB353_1059 Depth=1
	v_mov_b32_e32 v27, v14
	v_lshrrev_b32_e32 v16, 3, v18
	v_mov_b32_e32 v26, v13
	s_mov_b32 s21, exec_lo
	v_cmpx_gt_u32_e32 8, v18
; %bb.1426:                             ;   in Loop: Header=BB353_1059 Depth=1
	v_and_b32_e32 v16, 7, v25
	v_ffbh_u32_e32 v16, v16
	v_min_u32_e32 v16, 32, v16
	v_subrev_nc_u32_e32 v18, 28, v16
	v_sub_nc_u32_e32 v16, 29, v16
	v_lshlrev_b64 v[26:27], v18, v[13:14]
; %bb.1427:                             ;   in Loop: Header=BB353_1059 Depth=1
	s_or_b32 exec_lo, exec_lo, s21
	v_lshlrev_b32_e32 v18, 20, v26
	v_lshlrev_b32_e32 v21, 24, v13
	v_lshl_add_u32 v16, v16, 23, 0x3c000000
	v_and_b32_e32 v18, 0x700000, v18
	v_and_b32_e32 v21, 0x80000000, v21
	v_or3_b32 v16, v18, v21, v16
.LBB353_1428:                           ;   in Loop: Header=BB353_1059 Depth=1
	s_or_b32 exec_lo, exec_lo, s20
.LBB353_1429:                           ;   in Loop: Header=BB353_1059 Depth=1
	s_or_b32 exec_lo, exec_lo, s19
.LBB353_1430:                           ;   in Loop: Header=BB353_1059 Depth=1
	s_or_b32 exec_lo, exec_lo, s18
	v_cmp_ne_u16_sdwa s4, v13, v14 src0_sel:BYTE_1 src1_sel:DWORD
	s_and_saveexec_b32 s18, s4
	s_cbranch_execz .LBB353_1438
; %bb.1431:                             ;   in Loop: Header=BB353_1059 Depth=1
	v_cmp_ne_u16_sdwa s4, v13, v80 src0_sel:BYTE_1 src1_sel:DWORD
	v_bfrev_b32_e32 v17, 1
	s_and_saveexec_b32 s19, s4
	s_cbranch_execz .LBB353_1437
; %bb.1432:                             ;   in Loop: Header=BB353_1059 Depth=1
	v_mov_b32_e32 v17, 0xffff
	s_mov_b32 s20, exec_lo
	v_and_b32_sdwa v21, v17, v13 dst_sel:DWORD dst_unused:UNUSED_PAD src0_sel:DWORD src1_sel:BYTE_1
	v_mov_b32_e32 v17, 0x7f800001
	v_and_b32_e32 v18, 0x7f, v21
	v_cmpx_ne_u32_e32 0x7f, v18
	s_cbranch_execz .LBB353_1436
; %bb.1433:                             ;   in Loop: Header=BB353_1059 Depth=1
	v_and_b32_e32 v26, 7, v21
	v_mov_b32_e32 v27, v14
	v_lshrrev_b32_e32 v17, 3, v18
	s_mov_b32 s21, exec_lo
	v_cmpx_gt_u32_e32 8, v18
; %bb.1434:                             ;   in Loop: Header=BB353_1059 Depth=1
	v_ffbh_u32_e32 v17, v26
	v_min_u32_e32 v17, 32, v17
	v_subrev_nc_u32_e32 v18, 28, v17
	v_sub_nc_u32_e32 v17, 29, v17
	v_lshlrev_b64 v[21:22], v18, v[26:27]
	v_and_b32_e32 v26, 7, v21
; %bb.1435:                             ;   in Loop: Header=BB353_1059 Depth=1
	s_or_b32 exec_lo, exec_lo, s21
	v_lshlrev_b32_e32 v13, 16, v13
	v_lshlrev_b32_e32 v18, 20, v26
	v_lshl_add_u32 v17, v17, 23, 0x3c000000
	v_and_b32_e32 v13, 0x80000000, v13
	v_or3_b32 v17, v18, v13, v17
.LBB353_1436:                           ;   in Loop: Header=BB353_1059 Depth=1
	s_or_b32 exec_lo, exec_lo, s20
.LBB353_1437:                           ;   in Loop: Header=BB353_1059 Depth=1
	s_or_b32 exec_lo, exec_lo, s19
.LBB353_1438:                           ;   in Loop: Header=BB353_1059 Depth=1
	s_or_b32 exec_lo, exec_lo, s18
	v_and_b32_sdwa v13, v25, v82 dst_sel:DWORD dst_unused:UNUSED_PAD src0_sel:WORD_1 src1_sel:DWORD
	v_mov_b32_e32 v18, 0
	v_mov_b32_e32 v21, 0
	s_mov_b32 s18, exec_lo
	v_cmpx_ne_u16_e32 0, v13
	s_cbranch_execz .LBB353_1446
; %bb.1439:                             ;   in Loop: Header=BB353_1059 Depth=1
	v_bfrev_b32_e32 v21, 1
	s_mov_b32 s19, exec_lo
	v_cmpx_ne_u16_e32 0x80, v13
	s_cbranch_execz .LBB353_1445
; %bb.1440:                             ;   in Loop: Header=BB353_1059 Depth=1
	v_bfe_u32 v22, v25, 16, 7
	v_mov_b32_e32 v21, 0x7f800001
	s_mov_b32 s20, exec_lo
	v_cmpx_ne_u32_e32 0x7f, v22
	s_cbranch_execz .LBB353_1444
; %bb.1441:                             ;   in Loop: Header=BB353_1059 Depth=1
	v_mov_b32_e32 v13, 7
	v_lshrrev_b32_e32 v21, 3, v22
	s_mov_b32 s21, exec_lo
	v_and_b32_sdwa v13, v25, v13 dst_sel:DWORD dst_unused:UNUSED_PAD src0_sel:WORD_1 src1_sel:DWORD
	v_mov_b32_e32 v27, v14
	v_mov_b32_e32 v26, v13
	v_cmpx_gt_u32_e32 8, v22
; %bb.1442:                             ;   in Loop: Header=BB353_1059 Depth=1
	v_ffbh_u32_e32 v21, v13
	v_min_u32_e32 v21, 32, v21
	v_subrev_nc_u32_e32 v22, 28, v21
	v_sub_nc_u32_e32 v21, 29, v21
	v_lshlrev_b64 v[22:23], v22, v[13:14]
	v_and_b32_e32 v26, 7, v22
; %bb.1443:                             ;   in Loop: Header=BB353_1059 Depth=1
	s_or_b32 exec_lo, exec_lo, s21
	v_mov_b32_e32 v13, 24
	v_lshlrev_b32_e32 v22, 20, v26
	v_lshl_add_u32 v21, v21, 23, 0x3c000000
	v_lshlrev_b32_sdwa v13, v13, v25 dst_sel:DWORD dst_unused:UNUSED_PAD src0_sel:DWORD src1_sel:WORD_1
	v_and_b32_e32 v13, 0x80000000, v13
	v_or3_b32 v21, v22, v13, v21
.LBB353_1444:                           ;   in Loop: Header=BB353_1059 Depth=1
	s_or_b32 exec_lo, exec_lo, s20
.LBB353_1445:                           ;   in Loop: Header=BB353_1059 Depth=1
	s_or_b32 exec_lo, exec_lo, s19
.LBB353_1446:                           ;   in Loop: Header=BB353_1059 Depth=1
	s_or_b32 exec_lo, exec_lo, s18
	s_mov_b32 s18, exec_lo
	v_cmpx_lt_u64_e64 s[6:7], v[24:25]
	s_cbranch_execz .LBB353_1454
; %bb.1447:                             ;   in Loop: Header=BB353_1059 Depth=1
	v_cmp_ne_u32_sdwa s4, v25, v80 src0_sel:BYTE_3 src1_sel:DWORD
	v_bfrev_b32_e32 v18, 1
	s_and_saveexec_b32 s19, s4
	s_cbranch_execz .LBB353_1453
; %bb.1448:                             ;   in Loop: Header=BB353_1059 Depth=1
	v_bfe_u32 v22, v25, 24, 7
	v_mov_b32_e32 v18, 0x7f800001
	s_mov_b32 s20, exec_lo
	v_cmpx_ne_u32_e32 0x7f, v22
	s_cbranch_execz .LBB353_1452
; %bb.1449:                             ;   in Loop: Header=BB353_1059 Depth=1
	v_mov_b32_e32 v13, 7
	v_lshrrev_b32_e32 v18, 3, v22
	s_mov_b32 s21, exec_lo
	v_and_b32_sdwa v13, v25, v13 dst_sel:DWORD dst_unused:UNUSED_PAD src0_sel:BYTE_3 src1_sel:DWORD
	v_mov_b32_e32 v27, v14
	v_mov_b32_e32 v26, v13
	v_cmpx_gt_u32_e32 8, v22
; %bb.1450:                             ;   in Loop: Header=BB353_1059 Depth=1
	v_ffbh_u32_e32 v18, v13
	v_min_u32_e32 v18, 32, v18
	v_subrev_nc_u32_e32 v22, 28, v18
	v_sub_nc_u32_e32 v18, 29, v18
	v_lshlrev_b64 v[22:23], v22, v[13:14]
	v_and_b32_e32 v26, 7, v22
; %bb.1451:                             ;   in Loop: Header=BB353_1059 Depth=1
	s_or_b32 exec_lo, exec_lo, s21
	v_mov_b32_e32 v13, 24
	v_lshlrev_b32_e32 v22, 20, v26
	v_lshl_add_u32 v18, v18, 23, 0x3c000000
	v_lshlrev_b32_sdwa v13, v13, v25 dst_sel:DWORD dst_unused:UNUSED_PAD src0_sel:DWORD src1_sel:BYTE_3
	v_and_b32_e32 v13, 0x80000000, v13
	v_or3_b32 v18, v22, v13, v18
.LBB353_1452:                           ;   in Loop: Header=BB353_1059 Depth=1
	s_or_b32 exec_lo, exec_lo, s20
.LBB353_1453:                           ;   in Loop: Header=BB353_1059 Depth=1
	s_or_b32 exec_lo, exec_lo, s19
.LBB353_1454:                           ;   in Loop: Header=BB353_1059 Depth=1
	s_or_b32 exec_lo, exec_lo, s18
	v_mul_f32_e32 v13, v72, v17
	v_mul_f32_e32 v16, v72, v16
	;; [unrolled: 1-line block ×5, first 2 shown]
	v_bfe_u32 v17, v13, 16, 1
	v_or_b32_e32 v22, 0x400000, v13
	v_bfe_u32 v23, v16, 16, 1
	v_cmp_u_f32_e64 s4, v13, v13
	v_or_b32_e32 v24, 0x400000, v16
	v_add3_u32 v17, v17, v13, 0x7fff
	v_bfe_u32 v25, v15, 16, 1
	v_add3_u32 v23, v23, v16, 0x7fff
	v_or_b32_e32 v26, 0x400000, v15
	v_bfe_u32 v27, v12, 16, 1
	v_cndmask_b32_e64 v13, v17, v22, s4
	v_cmp_u_f32_e64 s4, v16, v16
	v_add3_u32 v25, v25, v15, 0x7fff
	v_or_b32_e32 v17, 0x400000, v12
	v_mul_f32_e32 v0, v72, v0
	v_lshrrev_b32_e32 v107, 16, v13
	v_cndmask_b32_e64 v16, v23, v24, s4
	v_cmp_u_f32_e64 s4, v15, v15
	v_add3_u32 v13, v27, v12, 0x7fff
	v_lshrrev_b32_e32 v106, 16, v16
	v_cndmask_b32_e64 v15, v25, v26, s4
	v_cmp_u_f32_e64 s4, v12, v12
	v_or_b32_e32 v16, 0x400000, v1
	v_lshrrev_b32_e32 v110, 16, v15
	v_bfe_u32 v15, v1, 16, 1
	v_cndmask_b32_e64 v12, v13, v17, s4
	v_mul_f32_e32 v13, v72, v21
	v_mul_f32_e32 v17, v72, v18
	v_bfe_u32 v18, v0, 16, 1
	v_add3_u32 v15, v15, v1, 0x7fff
	v_cmp_u_f32_e64 s4, v1, v1
	v_bfe_u32 v21, v13, 16, 1
	v_or_b32_e32 v22, 0x400000, v13
	v_or_b32_e32 v23, 0x400000, v17
	v_lshrrev_b32_e32 v111, 16, v12
	v_cndmask_b32_e64 v1, v15, v16, s4
	v_add3_u32 v16, v18, v0, 0x7fff
	v_or_b32_e32 v18, 0x400000, v0
	v_cmp_u_f32_e64 s4, v0, v0
	v_bfe_u32 v15, v17, 16, 1
	v_add3_u32 v21, v21, v13, 0x7fff
	v_lshrrev_b32_e32 v121, 16, v1
	v_cndmask_b32_e64 v0, v16, v18, s4
	v_cmp_u_f32_e64 s4, v13, v13
	v_add3_u32 v15, v15, v17, 0x7fff
	v_lshrrev_b32_e32 v120, 16, v0
	v_cndmask_b32_e64 v13, v21, v22, s4
	v_cmp_u_f32_e64 s4, v17, v17
	v_lshrrev_b32_e32 v108, 16, v13
	v_cndmask_b32_e64 v15, v15, v23, s4
	v_lshrrev_b32_e32 v109, 16, v15
	s_and_saveexec_b32 s18, vcc_lo
	s_cbranch_execz .LBB353_1456
; %bb.1455:                             ;   in Loop: Header=BB353_1059 Depth=1
	v_cmp_lt_i32_e64 s4, v74, v32
	v_cndmask_b32_e64 v120, 0, v120, s4
	v_cmp_lt_i32_e64 s4, v89, v32
	v_cndmask_b32_e64 v121, 0, v121, s4
	v_cmp_lt_i32_e64 s4, v88, v32
	v_cndmask_b32_e64 v111, 0, v111, s4
	v_cmp_lt_i32_e64 s4, v79, v32
	v_cndmask_b32_e64 v110, 0, v110, s4
	v_cmp_lt_i32_e64 s4, v78, v32
	v_cndmask_b32_e64 v106, 0, v106, s4
	v_cmp_lt_i32_e64 s4, v77, v32
	v_cndmask_b32_e64 v107, 0, v107, s4
	v_cmp_lt_i32_e64 s4, v76, v32
	v_cndmask_b32_e64 v108, 0, v108, s4
	v_cmp_lt_i32_e64 s4, v75, v32
	v_cndmask_b32_e64 v109, 0, v109, s4
.LBB353_1456:                           ;   in Loop: Header=BB353_1059 Depth=1
	s_or_b32 exec_lo, exec_lo, s18
	flat_load_dwordx2 v[24:25], v[19:20] offset:1536
	v_mov_b32_e32 v1, 0
	v_mov_b32_e32 v0, 0
	s_waitcnt vmcnt(0) lgkmcnt(0)
	v_cmp_ne_u16_sdwa s4, v24, v14 src0_sel:BYTE_0 src1_sel:DWORD
	s_and_saveexec_b32 s18, s4
	s_cbranch_execz .LBB353_1464
; %bb.1457:                             ;   in Loop: Header=BB353_1059 Depth=1
	v_cmp_ne_u16_sdwa s4, v24, v80 src0_sel:BYTE_0 src1_sel:DWORD
	v_bfrev_b32_e32 v0, 1
	s_and_saveexec_b32 s19, s4
	s_cbranch_execz .LBB353_1463
; %bb.1458:                             ;   in Loop: Header=BB353_1059 Depth=1
	v_and_b32_e32 v12, 0x7f, v24
	v_mov_b32_e32 v0, 0x7f800001
	s_mov_b32 s20, exec_lo
	v_cmpx_ne_u32_e32 0x7f, v12
	s_cbranch_execz .LBB353_1462
; %bb.1459:                             ;   in Loop: Header=BB353_1059 Depth=1
	v_mov_b32_e32 v27, v25
	v_lshrrev_b32_e32 v0, 3, v12
	v_mov_b32_e32 v26, v24
	s_mov_b32 s21, exec_lo
	v_cmpx_gt_u32_e32 8, v12
; %bb.1460:                             ;   in Loop: Header=BB353_1059 Depth=1
	v_and_b32_e32 v0, 7, v24
	v_ffbh_u32_e32 v0, v0
	v_min_u32_e32 v0, 32, v0
	v_subrev_nc_u32_e32 v12, 28, v0
	v_sub_nc_u32_e32 v0, 29, v0
	v_lshlrev_b64 v[26:27], v12, v[24:25]
; %bb.1461:                             ;   in Loop: Header=BB353_1059 Depth=1
	s_or_b32 exec_lo, exec_lo, s21
	v_lshlrev_b32_e32 v12, 20, v26
	v_lshlrev_b32_e32 v13, 24, v24
	v_lshl_add_u32 v0, v0, 23, 0x3c000000
	v_and_b32_e32 v12, 0x700000, v12
	v_and_b32_e32 v13, 0x80000000, v13
	v_or3_b32 v0, v12, v13, v0
.LBB353_1462:                           ;   in Loop: Header=BB353_1059 Depth=1
	s_or_b32 exec_lo, exec_lo, s20
.LBB353_1463:                           ;   in Loop: Header=BB353_1059 Depth=1
	s_or_b32 exec_lo, exec_lo, s19
.LBB353_1464:                           ;   in Loop: Header=BB353_1059 Depth=1
	s_or_b32 exec_lo, exec_lo, s18
	v_cmp_ne_u16_sdwa s4, v24, v14 src0_sel:BYTE_1 src1_sel:DWORD
	s_and_saveexec_b32 s18, s4
	s_cbranch_execz .LBB353_1472
; %bb.1465:                             ;   in Loop: Header=BB353_1059 Depth=1
	v_cmp_ne_u16_sdwa s4, v24, v80 src0_sel:BYTE_1 src1_sel:DWORD
	v_bfrev_b32_e32 v1, 1
	s_and_saveexec_b32 s19, s4
	s_cbranch_execz .LBB353_1471
; %bb.1466:                             ;   in Loop: Header=BB353_1059 Depth=1
	v_mov_b32_e32 v1, 0xffff
	s_mov_b32 s20, exec_lo
	v_and_b32_sdwa v13, v1, v24 dst_sel:DWORD dst_unused:UNUSED_PAD src0_sel:DWORD src1_sel:BYTE_1
	v_mov_b32_e32 v1, 0x7f800001
	v_and_b32_e32 v12, 0x7f, v13
	v_cmpx_ne_u32_e32 0x7f, v12
	s_cbranch_execz .LBB353_1470
; %bb.1467:                             ;   in Loop: Header=BB353_1059 Depth=1
	v_and_b32_e32 v13, 7, v13
	v_mov_b32_e32 v27, v14
	v_lshrrev_b32_e32 v1, 3, v12
	s_mov_b32 s21, exec_lo
	v_mov_b32_e32 v26, v13
	v_cmpx_gt_u32_e32 8, v12
; %bb.1468:                             ;   in Loop: Header=BB353_1059 Depth=1
	v_ffbh_u32_e32 v1, v13
	v_min_u32_e32 v1, 32, v1
	v_subrev_nc_u32_e32 v12, 28, v1
	v_sub_nc_u32_e32 v1, 29, v1
	v_lshlrev_b64 v[12:13], v12, v[13:14]
	v_and_b32_e32 v26, 7, v12
; %bb.1469:                             ;   in Loop: Header=BB353_1059 Depth=1
	s_or_b32 exec_lo, exec_lo, s21
	v_lshlrev_b32_e32 v12, 16, v24
	v_lshlrev_b32_e32 v13, 20, v26
	v_lshl_add_u32 v1, v1, 23, 0x3c000000
	v_and_b32_e32 v12, 0x80000000, v12
	v_or3_b32 v1, v13, v12, v1
.LBB353_1470:                           ;   in Loop: Header=BB353_1059 Depth=1
	s_or_b32 exec_lo, exec_lo, s20
.LBB353_1471:                           ;   in Loop: Header=BB353_1059 Depth=1
	s_or_b32 exec_lo, exec_lo, s19
.LBB353_1472:                           ;   in Loop: Header=BB353_1059 Depth=1
	s_or_b32 exec_lo, exec_lo, s18
	v_and_b32_sdwa v13, v24, v82 dst_sel:DWORD dst_unused:UNUSED_PAD src0_sel:WORD_1 src1_sel:DWORD
	v_mov_b32_e32 v15, 0
	v_mov_b32_e32 v12, 0
	s_mov_b32 s18, exec_lo
	v_cmpx_ne_u16_e32 0, v13
	s_cbranch_execz .LBB353_1480
; %bb.1473:                             ;   in Loop: Header=BB353_1059 Depth=1
	v_bfrev_b32_e32 v12, 1
	s_mov_b32 s19, exec_lo
	v_cmpx_ne_u16_e32 0x80, v13
	s_cbranch_execz .LBB353_1479
; %bb.1474:                             ;   in Loop: Header=BB353_1059 Depth=1
	v_bfe_u32 v16, v24, 16, 7
	v_mov_b32_e32 v12, 0x7f800001
	s_mov_b32 s20, exec_lo
	v_cmpx_ne_u32_e32 0x7f, v16
	s_cbranch_execz .LBB353_1478
; %bb.1475:                             ;   in Loop: Header=BB353_1059 Depth=1
	v_mov_b32_e32 v12, 7
	s_mov_b32 s21, exec_lo
	v_and_b32_sdwa v13, v24, v12 dst_sel:DWORD dst_unused:UNUSED_PAD src0_sel:WORD_1 src1_sel:DWORD
	v_mov_b32_e32 v27, v14
	v_lshrrev_b32_e32 v12, 3, v16
	v_mov_b32_e32 v26, v13
	v_cmpx_gt_u32_e32 8, v16
; %bb.1476:                             ;   in Loop: Header=BB353_1059 Depth=1
	v_ffbh_u32_e32 v12, v13
	v_min_u32_e32 v12, 32, v12
	v_subrev_nc_u32_e32 v16, 28, v12
	v_sub_nc_u32_e32 v12, 29, v12
	v_lshlrev_b64 v[16:17], v16, v[13:14]
	v_and_b32_e32 v26, 7, v16
; %bb.1477:                             ;   in Loop: Header=BB353_1059 Depth=1
	s_or_b32 exec_lo, exec_lo, s21
	v_mov_b32_e32 v13, 24
	v_lshlrev_b32_e32 v16, 20, v26
	v_lshl_add_u32 v12, v12, 23, 0x3c000000
	v_lshlrev_b32_sdwa v13, v13, v24 dst_sel:DWORD dst_unused:UNUSED_PAD src0_sel:DWORD src1_sel:WORD_1
	v_and_b32_e32 v13, 0x80000000, v13
	v_or3_b32 v12, v16, v13, v12
.LBB353_1478:                           ;   in Loop: Header=BB353_1059 Depth=1
	s_or_b32 exec_lo, exec_lo, s20
.LBB353_1479:                           ;   in Loop: Header=BB353_1059 Depth=1
	s_or_b32 exec_lo, exec_lo, s19
.LBB353_1480:                           ;   in Loop: Header=BB353_1059 Depth=1
	s_or_b32 exec_lo, exec_lo, s18
	s_mov_b32 s18, exec_lo
	v_cmpx_lt_u32_e32 0xffffff, v24
	s_cbranch_execz .LBB353_1488
; %bb.1481:                             ;   in Loop: Header=BB353_1059 Depth=1
	v_cmp_ne_u32_sdwa s4, v24, v80 src0_sel:BYTE_3 src1_sel:DWORD
	v_bfrev_b32_e32 v15, 1
	s_and_saveexec_b32 s19, s4
	s_cbranch_execz .LBB353_1487
; %bb.1482:                             ;   in Loop: Header=BB353_1059 Depth=1
	v_bfe_u32 v16, v24, 24, 7
	v_mov_b32_e32 v15, 0x7f800001
	s_mov_b32 s20, exec_lo
	v_cmpx_ne_u32_e32 0x7f, v16
	s_cbranch_execz .LBB353_1486
; %bb.1483:                             ;   in Loop: Header=BB353_1059 Depth=1
	v_mov_b32_e32 v13, 7
	v_lshrrev_b32_e32 v15, 3, v16
	s_mov_b32 s21, exec_lo
	v_and_b32_sdwa v13, v24, v13 dst_sel:DWORD dst_unused:UNUSED_PAD src0_sel:BYTE_3 src1_sel:DWORD
	v_mov_b32_e32 v27, v14
	v_mov_b32_e32 v26, v13
	v_cmpx_gt_u32_e32 8, v16
; %bb.1484:                             ;   in Loop: Header=BB353_1059 Depth=1
	v_ffbh_u32_e32 v15, v13
	v_min_u32_e32 v15, 32, v15
	v_subrev_nc_u32_e32 v16, 28, v15
	v_sub_nc_u32_e32 v15, 29, v15
	v_lshlrev_b64 v[16:17], v16, v[13:14]
	v_and_b32_e32 v26, 7, v16
; %bb.1485:                             ;   in Loop: Header=BB353_1059 Depth=1
	s_or_b32 exec_lo, exec_lo, s21
	v_mov_b32_e32 v13, 24
	v_lshlrev_b32_e32 v16, 20, v26
	v_lshl_add_u32 v15, v15, 23, 0x3c000000
	v_lshlrev_b32_sdwa v13, v13, v24 dst_sel:DWORD dst_unused:UNUSED_PAD src0_sel:DWORD src1_sel:BYTE_3
	v_and_b32_e32 v13, 0x80000000, v13
	v_or3_b32 v15, v16, v13, v15
.LBB353_1486:                           ;   in Loop: Header=BB353_1059 Depth=1
	s_or_b32 exec_lo, exec_lo, s20
.LBB353_1487:                           ;   in Loop: Header=BB353_1059 Depth=1
	s_or_b32 exec_lo, exec_lo, s19
.LBB353_1488:                           ;   in Loop: Header=BB353_1059 Depth=1
	s_or_b32 exec_lo, exec_lo, s18
	v_mov_b32_e32 v13, v25
	v_cmp_ne_u16_sdwa s4, v25, v14 src0_sel:BYTE_0 src1_sel:DWORD
	v_mov_b32_e32 v21, 0
	v_mov_b32_e32 v18, 0
	s_and_saveexec_b32 s18, s4
	s_cbranch_execz .LBB353_1496
; %bb.1489:                             ;   in Loop: Header=BB353_1059 Depth=1
	v_cmp_ne_u16_sdwa s4, v25, v80 src0_sel:BYTE_0 src1_sel:DWORD
	v_bfrev_b32_e32 v18, 1
	s_and_saveexec_b32 s19, s4
	s_cbranch_execz .LBB353_1495
; %bb.1490:                             ;   in Loop: Header=BB353_1059 Depth=1
	v_and_b32_e32 v17, 0x7f, v25
	v_mov_b32_e32 v18, 0x7f800001
	s_mov_b32 s20, exec_lo
	v_cmpx_ne_u32_e32 0x7f, v17
	s_cbranch_execz .LBB353_1494
; %bb.1491:                             ;   in Loop: Header=BB353_1059 Depth=1
	v_mov_b32_e32 v27, v14
	v_lshrrev_b32_e32 v16, 3, v17
	v_mov_b32_e32 v26, v13
	s_mov_b32 s21, exec_lo
	v_cmpx_gt_u32_e32 8, v17
; %bb.1492:                             ;   in Loop: Header=BB353_1059 Depth=1
	v_and_b32_e32 v16, 7, v25
	v_ffbh_u32_e32 v16, v16
	v_min_u32_e32 v16, 32, v16
	v_subrev_nc_u32_e32 v17, 28, v16
	v_sub_nc_u32_e32 v16, 29, v16
	v_lshlrev_b64 v[26:27], v17, v[13:14]
; %bb.1493:                             ;   in Loop: Header=BB353_1059 Depth=1
	s_or_b32 exec_lo, exec_lo, s21
	v_lshlrev_b32_e32 v17, 20, v26
	v_lshlrev_b32_e32 v18, 24, v13
	v_lshl_add_u32 v16, v16, 23, 0x3c000000
	v_and_b32_e32 v17, 0x700000, v17
	v_and_b32_e32 v18, 0x80000000, v18
	v_or3_b32 v18, v17, v18, v16
.LBB353_1494:                           ;   in Loop: Header=BB353_1059 Depth=1
	s_or_b32 exec_lo, exec_lo, s20
.LBB353_1495:                           ;   in Loop: Header=BB353_1059 Depth=1
	s_or_b32 exec_lo, exec_lo, s19
.LBB353_1496:                           ;   in Loop: Header=BB353_1059 Depth=1
	s_or_b32 exec_lo, exec_lo, s18
	v_cmp_ne_u16_sdwa s4, v13, v14 src0_sel:BYTE_1 src1_sel:DWORD
	s_and_saveexec_b32 s18, s4
	s_cbranch_execz .LBB353_1504
; %bb.1497:                             ;   in Loop: Header=BB353_1059 Depth=1
	v_cmp_ne_u16_sdwa s4, v13, v80 src0_sel:BYTE_1 src1_sel:DWORD
	v_bfrev_b32_e32 v21, 1
	s_and_saveexec_b32 s19, s4
	s_cbranch_execz .LBB353_1503
; %bb.1498:                             ;   in Loop: Header=BB353_1059 Depth=1
	v_mov_b32_e32 v16, 0xffff
	v_mov_b32_e32 v21, 0x7f800001
	s_mov_b32 s20, exec_lo
	v_and_b32_sdwa v16, v16, v13 dst_sel:DWORD dst_unused:UNUSED_PAD src0_sel:DWORD src1_sel:BYTE_1
	v_and_b32_e32 v17, 0x7f, v16
	v_cmpx_ne_u32_e32 0x7f, v17
	s_cbranch_execz .LBB353_1502
; %bb.1499:                             ;   in Loop: Header=BB353_1059 Depth=1
	v_and_b32_e32 v26, 7, v16
	v_mov_b32_e32 v27, v14
	v_lshrrev_b32_e32 v16, 3, v17
	s_mov_b32 s21, exec_lo
	v_cmpx_gt_u32_e32 8, v17
; %bb.1500:                             ;   in Loop: Header=BB353_1059 Depth=1
	v_ffbh_u32_e32 v16, v26
	v_min_u32_e32 v16, 32, v16
	v_subrev_nc_u32_e32 v17, 28, v16
	v_sub_nc_u32_e32 v16, 29, v16
	v_lshlrev_b64 v[21:22], v17, v[26:27]
	v_and_b32_e32 v26, 7, v21
; %bb.1501:                             ;   in Loop: Header=BB353_1059 Depth=1
	s_or_b32 exec_lo, exec_lo, s21
	v_lshlrev_b32_e32 v13, 16, v13
	v_lshlrev_b32_e32 v17, 20, v26
	v_lshl_add_u32 v16, v16, 23, 0x3c000000
	v_and_b32_e32 v13, 0x80000000, v13
	v_or3_b32 v21, v17, v13, v16
.LBB353_1502:                           ;   in Loop: Header=BB353_1059 Depth=1
	s_or_b32 exec_lo, exec_lo, s20
.LBB353_1503:                           ;   in Loop: Header=BB353_1059 Depth=1
	s_or_b32 exec_lo, exec_lo, s19
.LBB353_1504:                           ;   in Loop: Header=BB353_1059 Depth=1
	s_or_b32 exec_lo, exec_lo, s18
	v_and_b32_sdwa v13, v25, v82 dst_sel:DWORD dst_unused:UNUSED_PAD src0_sel:WORD_1 src1_sel:DWORD
	v_mov_b32_e32 v16, 0
	v_mov_b32_e32 v17, 0
	s_mov_b32 s18, exec_lo
	v_cmpx_ne_u16_e32 0, v13
	s_cbranch_execz .LBB353_1512
; %bb.1505:                             ;   in Loop: Header=BB353_1059 Depth=1
	v_bfrev_b32_e32 v17, 1
	s_mov_b32 s19, exec_lo
	v_cmpx_ne_u16_e32 0x80, v13
	s_cbranch_execz .LBB353_1511
; %bb.1506:                             ;   in Loop: Header=BB353_1059 Depth=1
	v_bfe_u32 v22, v25, 16, 7
	v_mov_b32_e32 v17, 0x7f800001
	s_mov_b32 s20, exec_lo
	v_cmpx_ne_u32_e32 0x7f, v22
	s_cbranch_execz .LBB353_1510
; %bb.1507:                             ;   in Loop: Header=BB353_1059 Depth=1
	v_mov_b32_e32 v13, 7
	v_lshrrev_b32_e32 v17, 3, v22
	s_mov_b32 s21, exec_lo
	v_and_b32_sdwa v13, v25, v13 dst_sel:DWORD dst_unused:UNUSED_PAD src0_sel:WORD_1 src1_sel:DWORD
	v_mov_b32_e32 v27, v14
	v_mov_b32_e32 v26, v13
	v_cmpx_gt_u32_e32 8, v22
; %bb.1508:                             ;   in Loop: Header=BB353_1059 Depth=1
	v_ffbh_u32_e32 v17, v13
	v_min_u32_e32 v17, 32, v17
	v_subrev_nc_u32_e32 v22, 28, v17
	v_sub_nc_u32_e32 v17, 29, v17
	v_lshlrev_b64 v[22:23], v22, v[13:14]
	v_and_b32_e32 v26, 7, v22
; %bb.1509:                             ;   in Loop: Header=BB353_1059 Depth=1
	s_or_b32 exec_lo, exec_lo, s21
	v_mov_b32_e32 v13, 24
	v_lshlrev_b32_e32 v22, 20, v26
	v_lshl_add_u32 v17, v17, 23, 0x3c000000
	v_lshlrev_b32_sdwa v13, v13, v25 dst_sel:DWORD dst_unused:UNUSED_PAD src0_sel:DWORD src1_sel:WORD_1
	v_and_b32_e32 v13, 0x80000000, v13
	v_or3_b32 v17, v22, v13, v17
.LBB353_1510:                           ;   in Loop: Header=BB353_1059 Depth=1
	s_or_b32 exec_lo, exec_lo, s20
.LBB353_1511:                           ;   in Loop: Header=BB353_1059 Depth=1
	s_or_b32 exec_lo, exec_lo, s19
.LBB353_1512:                           ;   in Loop: Header=BB353_1059 Depth=1
	s_or_b32 exec_lo, exec_lo, s18
	s_mov_b32 s18, exec_lo
	v_cmpx_lt_u64_e64 s[6:7], v[24:25]
	s_cbranch_execz .LBB353_1520
; %bb.1513:                             ;   in Loop: Header=BB353_1059 Depth=1
	v_cmp_ne_u32_sdwa s4, v25, v80 src0_sel:BYTE_3 src1_sel:DWORD
	v_bfrev_b32_e32 v16, 1
	s_and_saveexec_b32 s19, s4
	s_cbranch_execz .LBB353_1519
; %bb.1514:                             ;   in Loop: Header=BB353_1059 Depth=1
	v_bfe_u32 v22, v25, 24, 7
	v_mov_b32_e32 v16, 0x7f800001
	s_mov_b32 s20, exec_lo
	v_cmpx_ne_u32_e32 0x7f, v22
	s_cbranch_execz .LBB353_1518
; %bb.1515:                             ;   in Loop: Header=BB353_1059 Depth=1
	v_mov_b32_e32 v13, 7
	v_lshrrev_b32_e32 v16, 3, v22
	s_mov_b32 s21, exec_lo
	v_and_b32_sdwa v13, v25, v13 dst_sel:DWORD dst_unused:UNUSED_PAD src0_sel:BYTE_3 src1_sel:DWORD
	v_mov_b32_e32 v27, v14
	v_mov_b32_e32 v26, v13
	v_cmpx_gt_u32_e32 8, v22
; %bb.1516:                             ;   in Loop: Header=BB353_1059 Depth=1
	v_ffbh_u32_e32 v16, v13
	v_min_u32_e32 v16, 32, v16
	v_subrev_nc_u32_e32 v22, 28, v16
	v_sub_nc_u32_e32 v16, 29, v16
	v_lshlrev_b64 v[22:23], v22, v[13:14]
	v_and_b32_e32 v26, 7, v22
; %bb.1517:                             ;   in Loop: Header=BB353_1059 Depth=1
	s_or_b32 exec_lo, exec_lo, s21
	v_mov_b32_e32 v13, 24
	v_lshlrev_b32_e32 v22, 20, v26
	v_lshl_add_u32 v16, v16, 23, 0x3c000000
	v_lshlrev_b32_sdwa v13, v13, v25 dst_sel:DWORD dst_unused:UNUSED_PAD src0_sel:DWORD src1_sel:BYTE_3
	v_and_b32_e32 v13, 0x80000000, v13
	v_or3_b32 v16, v22, v13, v16
.LBB353_1518:                           ;   in Loop: Header=BB353_1059 Depth=1
	s_or_b32 exec_lo, exec_lo, s20
.LBB353_1519:                           ;   in Loop: Header=BB353_1059 Depth=1
	s_or_b32 exec_lo, exec_lo, s19
.LBB353_1520:                           ;   in Loop: Header=BB353_1059 Depth=1
	s_or_b32 exec_lo, exec_lo, s18
	v_mul_f32_e32 v13, v72, v21
	v_mul_f32_e32 v12, v72, v12
	;; [unrolled: 1-line block ×4, first 2 shown]
	v_bfe_u32 v21, v13, 16, 1
	v_or_b32_e32 v22, 0x400000, v13
	v_cmp_u_f32_e64 s4, v13, v13
	v_add3_u32 v21, v21, v13, 0x7fff
	v_cndmask_b32_e64 v13, v21, v22, s4
	v_lshrrev_b32_e32 v122, 16, v13
	v_mul_f32_e32 v13, v72, v18
	v_bfe_u32 v18, v13, 16, 1
	v_or_b32_e32 v21, 0x400000, v13
	v_cmp_u_f32_e64 s4, v13, v13
	v_add3_u32 v18, v18, v13, 0x7fff
	v_cndmask_b32_e64 v13, v18, v21, s4
	v_lshrrev_b32_e32 v123, 16, v13
	v_mul_f32_e32 v13, v72, v15
	v_bfe_u32 v15, v13, 16, 1
	v_or_b32_e32 v18, 0x400000, v13
	v_cmp_u_f32_e64 s4, v13, v13
	v_add3_u32 v15, v15, v13, 0x7fff
	v_cndmask_b32_e64 v13, v15, v18, s4
	v_or_b32_e32 v15, 0x400000, v12
	v_cmp_u_f32_e64 s4, v12, v12
	v_lshrrev_b32_e32 v124, 16, v13
	v_bfe_u32 v13, v12, 16, 1
	v_add3_u32 v13, v13, v12, 0x7fff
	v_cndmask_b32_e64 v12, v13, v15, s4
	v_or_b32_e32 v13, 0x400000, v1
	v_cmp_u_f32_e64 s4, v1, v1
	v_lshrrev_b32_e32 v125, 16, v12
	v_bfe_u32 v12, v1, 16, 1
	;; [unrolled: 6-line block ×3, first 2 shown]
	v_add3_u32 v1, v1, v0, 0x7fff
	v_cndmask_b32_e64 v0, v1, v12, s4
	v_lshrrev_b32_e32 v29, 16, v0
	v_mul_f32_e32 v0, v72, v17
	v_bfe_u32 v1, v0, 16, 1
	v_or_b32_e32 v12, 0x400000, v0
	v_cmp_u_f32_e64 s4, v0, v0
	v_add3_u32 v1, v1, v0, 0x7fff
	v_cndmask_b32_e64 v0, v1, v12, s4
	v_lshrrev_b32_e32 v126, 16, v0
	v_mul_f32_e32 v0, v72, v16
	v_bfe_u32 v1, v0, 16, 1
	v_or_b32_e32 v12, 0x400000, v0
	v_cmp_u_f32_e64 s4, v0, v0
	v_add3_u32 v1, v1, v0, 0x7fff
	v_cndmask_b32_e64 v0, v1, v12, s4
	v_lshrrev_b32_e32 v1, 16, v0
	s_and_saveexec_b32 s18, vcc_lo
	s_cbranch_execz .LBB353_1522
; %bb.1521:                             ;   in Loop: Header=BB353_1059 Depth=1
	v_cmp_lt_i32_e64 s4, v74, v32
	v_cndmask_b32_e64 v29, 0, v29, s4
	v_cmp_lt_i32_e64 s4, v89, v32
	v_cndmask_b32_e64 v127, 0, v127, s4
	v_cmp_lt_i32_e64 s4, v88, v32
	v_cndmask_b32_e64 v125, 0, v125, s4
	v_cmp_lt_i32_e64 s4, v79, v32
	v_cndmask_b32_e64 v124, 0, v124, s4
	v_cmp_lt_i32_e64 s4, v78, v32
	v_cndmask_b32_e64 v123, 0, v123, s4
	v_cmp_lt_i32_e64 s4, v77, v32
	v_cndmask_b32_e64 v122, 0, v122, s4
	v_cmp_lt_i32_e64 s4, v76, v32
	v_cndmask_b32_e64 v126, 0, v126, s4
	v_cmp_lt_i32_e64 s4, v75, v32
	v_cndmask_b32_e64 v1, 0, v1, s4
.LBB353_1522:                           ;   in Loop: Header=BB353_1059 Depth=1
	s_or_b32 exec_lo, exec_lo, s18
	flat_load_dwordx2 v[24:25], v[19:20] offset:1792
	v_mov_b32_e32 v12, 0
	v_mov_b32_e32 v0, 0
	s_waitcnt vmcnt(0) lgkmcnt(0)
	v_cmp_ne_u16_sdwa s4, v24, v14 src0_sel:BYTE_0 src1_sel:DWORD
	s_and_saveexec_b32 s18, s4
	s_cbranch_execz .LBB353_1530
; %bb.1523:                             ;   in Loop: Header=BB353_1059 Depth=1
	v_cmp_ne_u16_sdwa s4, v24, v80 src0_sel:BYTE_0 src1_sel:DWORD
	v_bfrev_b32_e32 v0, 1
	s_and_saveexec_b32 s19, s4
	s_cbranch_execz .LBB353_1529
; %bb.1524:                             ;   in Loop: Header=BB353_1059 Depth=1
	v_and_b32_e32 v13, 0x7f, v24
	v_mov_b32_e32 v0, 0x7f800001
	s_mov_b32 s20, exec_lo
	v_cmpx_ne_u32_e32 0x7f, v13
	s_cbranch_execz .LBB353_1528
; %bb.1525:                             ;   in Loop: Header=BB353_1059 Depth=1
	v_mov_b32_e32 v27, v25
	v_lshrrev_b32_e32 v0, 3, v13
	v_mov_b32_e32 v26, v24
	s_mov_b32 s21, exec_lo
	v_cmpx_gt_u32_e32 8, v13
; %bb.1526:                             ;   in Loop: Header=BB353_1059 Depth=1
	v_and_b32_e32 v0, 7, v24
	v_ffbh_u32_e32 v0, v0
	v_min_u32_e32 v0, 32, v0
	v_subrev_nc_u32_e32 v13, 28, v0
	v_sub_nc_u32_e32 v0, 29, v0
	v_lshlrev_b64 v[26:27], v13, v[24:25]
; %bb.1527:                             ;   in Loop: Header=BB353_1059 Depth=1
	s_or_b32 exec_lo, exec_lo, s21
	v_lshlrev_b32_e32 v13, 20, v26
	v_lshlrev_b32_e32 v15, 24, v24
	v_lshl_add_u32 v0, v0, 23, 0x3c000000
	v_and_b32_e32 v13, 0x700000, v13
	v_and_b32_e32 v15, 0x80000000, v15
	v_or3_b32 v0, v13, v15, v0
.LBB353_1528:                           ;   in Loop: Header=BB353_1059 Depth=1
	s_or_b32 exec_lo, exec_lo, s20
.LBB353_1529:                           ;   in Loop: Header=BB353_1059 Depth=1
	s_or_b32 exec_lo, exec_lo, s19
.LBB353_1530:                           ;   in Loop: Header=BB353_1059 Depth=1
	s_or_b32 exec_lo, exec_lo, s18
	v_cmp_ne_u16_sdwa s4, v24, v14 src0_sel:BYTE_1 src1_sel:DWORD
	s_and_saveexec_b32 s18, s4
	s_cbranch_execz .LBB353_1538
; %bb.1531:                             ;   in Loop: Header=BB353_1059 Depth=1
	v_cmp_ne_u16_sdwa s4, v24, v80 src0_sel:BYTE_1 src1_sel:DWORD
	v_bfrev_b32_e32 v12, 1
	s_and_saveexec_b32 s19, s4
	s_cbranch_execz .LBB353_1537
; %bb.1532:                             ;   in Loop: Header=BB353_1059 Depth=1
	v_mov_b32_e32 v12, 0xffff
	s_mov_b32 s20, exec_lo
	v_and_b32_sdwa v13, v12, v24 dst_sel:DWORD dst_unused:UNUSED_PAD src0_sel:DWORD src1_sel:BYTE_1
	v_mov_b32_e32 v12, 0x7f800001
	v_and_b32_e32 v15, 0x7f, v13
	v_cmpx_ne_u32_e32 0x7f, v15
	s_cbranch_execz .LBB353_1536
; %bb.1533:                             ;   in Loop: Header=BB353_1059 Depth=1
	v_and_b32_e32 v13, 7, v13
	v_mov_b32_e32 v27, v14
	v_lshrrev_b32_e32 v12, 3, v15
	s_mov_b32 s21, exec_lo
	v_mov_b32_e32 v26, v13
	v_cmpx_gt_u32_e32 8, v15
; %bb.1534:                             ;   in Loop: Header=BB353_1059 Depth=1
	v_ffbh_u32_e32 v12, v13
	v_min_u32_e32 v12, 32, v12
	v_subrev_nc_u32_e32 v15, 28, v12
	v_sub_nc_u32_e32 v12, 29, v12
	v_lshlrev_b64 v[15:16], v15, v[13:14]
	v_and_b32_e32 v26, 7, v15
; %bb.1535:                             ;   in Loop: Header=BB353_1059 Depth=1
	s_or_b32 exec_lo, exec_lo, s21
	v_lshlrev_b32_e32 v13, 16, v24
	v_lshlrev_b32_e32 v15, 20, v26
	v_lshl_add_u32 v12, v12, 23, 0x3c000000
	v_and_b32_e32 v13, 0x80000000, v13
	v_or3_b32 v12, v15, v13, v12
.LBB353_1536:                           ;   in Loop: Header=BB353_1059 Depth=1
	s_or_b32 exec_lo, exec_lo, s20
.LBB353_1537:                           ;   in Loop: Header=BB353_1059 Depth=1
	s_or_b32 exec_lo, exec_lo, s19
.LBB353_1538:                           ;   in Loop: Header=BB353_1059 Depth=1
	s_or_b32 exec_lo, exec_lo, s18
	v_and_b32_sdwa v13, v24, v82 dst_sel:DWORD dst_unused:UNUSED_PAD src0_sel:WORD_1 src1_sel:DWORD
	v_mov_b32_e32 v16, 0
	v_mov_b32_e32 v15, 0
	s_mov_b32 s18, exec_lo
	v_cmpx_ne_u16_e32 0, v13
	s_cbranch_execz .LBB353_1546
; %bb.1539:                             ;   in Loop: Header=BB353_1059 Depth=1
	v_bfrev_b32_e32 v15, 1
	s_mov_b32 s19, exec_lo
	v_cmpx_ne_u16_e32 0x80, v13
	s_cbranch_execz .LBB353_1545
; %bb.1540:                             ;   in Loop: Header=BB353_1059 Depth=1
	v_bfe_u32 v17, v24, 16, 7
	v_mov_b32_e32 v15, 0x7f800001
	s_mov_b32 s20, exec_lo
	v_cmpx_ne_u32_e32 0x7f, v17
	s_cbranch_execz .LBB353_1544
; %bb.1541:                             ;   in Loop: Header=BB353_1059 Depth=1
	v_mov_b32_e32 v13, 7
	v_lshrrev_b32_e32 v15, 3, v17
	s_mov_b32 s21, exec_lo
	v_and_b32_sdwa v13, v24, v13 dst_sel:DWORD dst_unused:UNUSED_PAD src0_sel:WORD_1 src1_sel:DWORD
	v_mov_b32_e32 v27, v14
	v_mov_b32_e32 v26, v13
	v_cmpx_gt_u32_e32 8, v17
; %bb.1542:                             ;   in Loop: Header=BB353_1059 Depth=1
	v_ffbh_u32_e32 v15, v13
	v_min_u32_e32 v15, 32, v15
	v_subrev_nc_u32_e32 v17, 28, v15
	v_sub_nc_u32_e32 v15, 29, v15
	v_lshlrev_b64 v[17:18], v17, v[13:14]
	v_and_b32_e32 v26, 7, v17
; %bb.1543:                             ;   in Loop: Header=BB353_1059 Depth=1
	s_or_b32 exec_lo, exec_lo, s21
	v_mov_b32_e32 v13, 24
	v_lshlrev_b32_e32 v17, 20, v26
	v_lshl_add_u32 v15, v15, 23, 0x3c000000
	v_lshlrev_b32_sdwa v13, v13, v24 dst_sel:DWORD dst_unused:UNUSED_PAD src0_sel:DWORD src1_sel:WORD_1
	v_and_b32_e32 v13, 0x80000000, v13
	v_or3_b32 v15, v17, v13, v15
.LBB353_1544:                           ;   in Loop: Header=BB353_1059 Depth=1
	s_or_b32 exec_lo, exec_lo, s20
.LBB353_1545:                           ;   in Loop: Header=BB353_1059 Depth=1
	s_or_b32 exec_lo, exec_lo, s19
.LBB353_1546:                           ;   in Loop: Header=BB353_1059 Depth=1
	s_or_b32 exec_lo, exec_lo, s18
	s_mov_b32 s18, exec_lo
	v_cmpx_lt_u32_e32 0xffffff, v24
	s_cbranch_execz .LBB353_1554
; %bb.1547:                             ;   in Loop: Header=BB353_1059 Depth=1
	v_cmp_ne_u32_sdwa s4, v24, v80 src0_sel:BYTE_3 src1_sel:DWORD
	v_bfrev_b32_e32 v16, 1
	s_and_saveexec_b32 s19, s4
	s_cbranch_execz .LBB353_1553
; %bb.1548:                             ;   in Loop: Header=BB353_1059 Depth=1
	v_bfe_u32 v17, v24, 24, 7
	v_mov_b32_e32 v16, 0x7f800001
	s_mov_b32 s20, exec_lo
	v_cmpx_ne_u32_e32 0x7f, v17
	s_cbranch_execz .LBB353_1552
; %bb.1549:                             ;   in Loop: Header=BB353_1059 Depth=1
	v_mov_b32_e32 v13, 7
	v_lshrrev_b32_e32 v16, 3, v17
	s_mov_b32 s21, exec_lo
	v_and_b32_sdwa v13, v24, v13 dst_sel:DWORD dst_unused:UNUSED_PAD src0_sel:BYTE_3 src1_sel:DWORD
	v_mov_b32_e32 v27, v14
	v_mov_b32_e32 v26, v13
	v_cmpx_gt_u32_e32 8, v17
; %bb.1550:                             ;   in Loop: Header=BB353_1059 Depth=1
	v_ffbh_u32_e32 v16, v13
	v_min_u32_e32 v16, 32, v16
	v_subrev_nc_u32_e32 v17, 28, v16
	v_sub_nc_u32_e32 v16, 29, v16
	v_lshlrev_b64 v[17:18], v17, v[13:14]
	v_and_b32_e32 v26, 7, v17
; %bb.1551:                             ;   in Loop: Header=BB353_1059 Depth=1
	s_or_b32 exec_lo, exec_lo, s21
	v_mov_b32_e32 v13, 24
	v_lshlrev_b32_e32 v17, 20, v26
	v_lshl_add_u32 v16, v16, 23, 0x3c000000
	v_lshlrev_b32_sdwa v13, v13, v24 dst_sel:DWORD dst_unused:UNUSED_PAD src0_sel:DWORD src1_sel:BYTE_3
	v_and_b32_e32 v13, 0x80000000, v13
	v_or3_b32 v16, v17, v13, v16
.LBB353_1552:                           ;   in Loop: Header=BB353_1059 Depth=1
	s_or_b32 exec_lo, exec_lo, s20
.LBB353_1553:                           ;   in Loop: Header=BB353_1059 Depth=1
	s_or_b32 exec_lo, exec_lo, s19
.LBB353_1554:                           ;   in Loop: Header=BB353_1059 Depth=1
	s_or_b32 exec_lo, exec_lo, s18
	v_mov_b32_e32 v13, v25
	v_cmp_ne_u16_sdwa s4, v25, v14 src0_sel:BYTE_0 src1_sel:DWORD
	v_mov_b32_e32 v17, 0
	v_mov_b32_e32 v18, 0
	s_and_saveexec_b32 s18, s4
	s_cbranch_execz .LBB353_1562
; %bb.1555:                             ;   in Loop: Header=BB353_1059 Depth=1
	v_cmp_ne_u16_sdwa s4, v25, v80 src0_sel:BYTE_0 src1_sel:DWORD
	v_bfrev_b32_e32 v18, 1
	s_and_saveexec_b32 s19, s4
	s_cbranch_execz .LBB353_1561
; %bb.1556:                             ;   in Loop: Header=BB353_1059 Depth=1
	v_and_b32_e32 v21, 0x7f, v25
	v_mov_b32_e32 v18, 0x7f800001
	s_mov_b32 s20, exec_lo
	v_cmpx_ne_u32_e32 0x7f, v21
	s_cbranch_execz .LBB353_1560
; %bb.1557:                             ;   in Loop: Header=BB353_1059 Depth=1
	v_mov_b32_e32 v27, v14
	v_lshrrev_b32_e32 v18, 3, v21
	v_mov_b32_e32 v26, v13
	s_mov_b32 s21, exec_lo
	v_cmpx_gt_u32_e32 8, v21
; %bb.1558:                             ;   in Loop: Header=BB353_1059 Depth=1
	v_and_b32_e32 v18, 7, v25
	v_ffbh_u32_e32 v18, v18
	v_min_u32_e32 v18, 32, v18
	v_subrev_nc_u32_e32 v21, 28, v18
	v_sub_nc_u32_e32 v18, 29, v18
	v_lshlrev_b64 v[26:27], v21, v[13:14]
; %bb.1559:                             ;   in Loop: Header=BB353_1059 Depth=1
	s_or_b32 exec_lo, exec_lo, s21
	v_lshlrev_b32_e32 v21, 20, v26
	v_lshlrev_b32_e32 v22, 24, v13
	v_lshl_add_u32 v18, v18, 23, 0x3c000000
	v_and_b32_e32 v21, 0x700000, v21
	v_and_b32_e32 v22, 0x80000000, v22
	v_or3_b32 v18, v21, v22, v18
.LBB353_1560:                           ;   in Loop: Header=BB353_1059 Depth=1
	s_or_b32 exec_lo, exec_lo, s20
.LBB353_1561:                           ;   in Loop: Header=BB353_1059 Depth=1
	s_or_b32 exec_lo, exec_lo, s19
.LBB353_1562:                           ;   in Loop: Header=BB353_1059 Depth=1
	s_or_b32 exec_lo, exec_lo, s18
	v_cmp_ne_u16_sdwa s4, v13, v14 src0_sel:BYTE_1 src1_sel:DWORD
	s_and_saveexec_b32 s18, s4
	s_cbranch_execz .LBB353_1570
; %bb.1563:                             ;   in Loop: Header=BB353_1059 Depth=1
	v_cmp_ne_u16_sdwa s4, v13, v80 src0_sel:BYTE_1 src1_sel:DWORD
	v_bfrev_b32_e32 v17, 1
	s_and_saveexec_b32 s19, s4
	s_cbranch_execz .LBB353_1569
; %bb.1564:                             ;   in Loop: Header=BB353_1059 Depth=1
	v_mov_b32_e32 v17, 0xffff
	s_mov_b32 s20, exec_lo
	v_and_b32_sdwa v22, v17, v13 dst_sel:DWORD dst_unused:UNUSED_PAD src0_sel:DWORD src1_sel:BYTE_1
	v_mov_b32_e32 v17, 0x7f800001
	v_and_b32_e32 v21, 0x7f, v22
	v_cmpx_ne_u32_e32 0x7f, v21
	s_cbranch_execz .LBB353_1568
; %bb.1565:                             ;   in Loop: Header=BB353_1059 Depth=1
	v_and_b32_e32 v26, 7, v22
	v_mov_b32_e32 v27, v14
	v_lshrrev_b32_e32 v17, 3, v21
	s_mov_b32 s21, exec_lo
	v_cmpx_gt_u32_e32 8, v21
; %bb.1566:                             ;   in Loop: Header=BB353_1059 Depth=1
	v_ffbh_u32_e32 v17, v26
	v_min_u32_e32 v17, 32, v17
	v_subrev_nc_u32_e32 v21, 28, v17
	v_sub_nc_u32_e32 v17, 29, v17
	v_lshlrev_b64 v[21:22], v21, v[26:27]
	v_and_b32_e32 v26, 7, v21
; %bb.1567:                             ;   in Loop: Header=BB353_1059 Depth=1
	s_or_b32 exec_lo, exec_lo, s21
	v_lshlrev_b32_e32 v13, 16, v13
	v_lshlrev_b32_e32 v21, 20, v26
	v_lshl_add_u32 v17, v17, 23, 0x3c000000
	v_and_b32_e32 v13, 0x80000000, v13
	v_or3_b32 v17, v21, v13, v17
.LBB353_1568:                           ;   in Loop: Header=BB353_1059 Depth=1
	s_or_b32 exec_lo, exec_lo, s20
.LBB353_1569:                           ;   in Loop: Header=BB353_1059 Depth=1
	s_or_b32 exec_lo, exec_lo, s19
.LBB353_1570:                           ;   in Loop: Header=BB353_1059 Depth=1
	s_or_b32 exec_lo, exec_lo, s18
	v_and_b32_sdwa v13, v25, v82 dst_sel:DWORD dst_unused:UNUSED_PAD src0_sel:WORD_1 src1_sel:DWORD
	v_mov_b32_e32 v21, 0
	v_mov_b32_e32 v28, 0
	s_mov_b32 s18, exec_lo
	v_cmpx_ne_u16_e32 0, v13
	s_cbranch_execz .LBB353_1578
; %bb.1571:                             ;   in Loop: Header=BB353_1059 Depth=1
	v_bfrev_b32_e32 v28, 1
	s_mov_b32 s19, exec_lo
	v_cmpx_ne_u16_e32 0x80, v13
	s_cbranch_execz .LBB353_1577
; %bb.1572:                             ;   in Loop: Header=BB353_1059 Depth=1
	v_bfe_u32 v23, v25, 16, 7
	v_mov_b32_e32 v28, 0x7f800001
	s_mov_b32 s20, exec_lo
	v_cmpx_ne_u32_e32 0x7f, v23
	s_cbranch_execz .LBB353_1576
; %bb.1573:                             ;   in Loop: Header=BB353_1059 Depth=1
	v_mov_b32_e32 v13, 7
	v_lshrrev_b32_e32 v22, 3, v23
	s_mov_b32 s21, exec_lo
	v_and_b32_sdwa v13, v25, v13 dst_sel:DWORD dst_unused:UNUSED_PAD src0_sel:WORD_1 src1_sel:DWORD
	v_mov_b32_e32 v27, v14
	v_mov_b32_e32 v26, v13
	v_cmpx_gt_u32_e32 8, v23
; %bb.1574:                             ;   in Loop: Header=BB353_1059 Depth=1
	v_ffbh_u32_e32 v22, v13
	v_min_u32_e32 v22, 32, v22
	v_subrev_nc_u32_e32 v23, 28, v22
	v_sub_nc_u32_e32 v22, 29, v22
	v_lshlrev_b64 v[26:27], v23, v[13:14]
	v_and_b32_e32 v26, 7, v26
; %bb.1575:                             ;   in Loop: Header=BB353_1059 Depth=1
	s_or_b32 exec_lo, exec_lo, s21
	v_mov_b32_e32 v13, 24
	v_lshlrev_b32_e32 v23, 20, v26
	v_lshl_add_u32 v22, v22, 23, 0x3c000000
	v_lshlrev_b32_sdwa v13, v13, v25 dst_sel:DWORD dst_unused:UNUSED_PAD src0_sel:DWORD src1_sel:WORD_1
	v_and_b32_e32 v13, 0x80000000, v13
	v_or3_b32 v28, v23, v13, v22
.LBB353_1576:                           ;   in Loop: Header=BB353_1059 Depth=1
	s_or_b32 exec_lo, exec_lo, s20
.LBB353_1577:                           ;   in Loop: Header=BB353_1059 Depth=1
	s_or_b32 exec_lo, exec_lo, s19
.LBB353_1578:                           ;   in Loop: Header=BB353_1059 Depth=1
	s_or_b32 exec_lo, exec_lo, s18
	s_mov_b32 s18, exec_lo
	v_cmpx_lt_u64_e64 s[6:7], v[24:25]
	s_cbranch_execz .LBB353_1586
; %bb.1579:                             ;   in Loop: Header=BB353_1059 Depth=1
	v_cmp_ne_u32_sdwa s4, v25, v80 src0_sel:BYTE_3 src1_sel:DWORD
	v_bfrev_b32_e32 v21, 1
	s_and_saveexec_b32 s19, s4
	s_cbranch_execz .LBB353_1585
; %bb.1580:                             ;   in Loop: Header=BB353_1059 Depth=1
	v_bfe_u32 v22, v25, 24, 7
	v_mov_b32_e32 v21, 0x7f800001
	s_mov_b32 s20, exec_lo
	v_cmpx_ne_u32_e32 0x7f, v22
	s_cbranch_execz .LBB353_1584
; %bb.1581:                             ;   in Loop: Header=BB353_1059 Depth=1
	v_mov_b32_e32 v13, 7
	v_lshrrev_b32_e32 v21, 3, v22
	s_mov_b32 s21, exec_lo
	v_and_b32_sdwa v13, v25, v13 dst_sel:DWORD dst_unused:UNUSED_PAD src0_sel:BYTE_3 src1_sel:DWORD
	v_mov_b32_e32 v27, v14
	v_mov_b32_e32 v26, v13
	v_cmpx_gt_u32_e32 8, v22
; %bb.1582:                             ;   in Loop: Header=BB353_1059 Depth=1
	v_ffbh_u32_e32 v21, v13
	v_min_u32_e32 v21, 32, v21
	v_subrev_nc_u32_e32 v22, 28, v21
	v_sub_nc_u32_e32 v21, 29, v21
	v_lshlrev_b64 v[22:23], v22, v[13:14]
	v_and_b32_e32 v26, 7, v22
; %bb.1583:                             ;   in Loop: Header=BB353_1059 Depth=1
	s_or_b32 exec_lo, exec_lo, s21
	v_mov_b32_e32 v13, 24
	v_lshlrev_b32_e32 v22, 20, v26
	v_lshl_add_u32 v21, v21, 23, 0x3c000000
	v_lshlrev_b32_sdwa v13, v13, v25 dst_sel:DWORD dst_unused:UNUSED_PAD src0_sel:DWORD src1_sel:BYTE_3
	v_and_b32_e32 v13, 0x80000000, v13
	v_or3_b32 v21, v22, v13, v21
.LBB353_1584:                           ;   in Loop: Header=BB353_1059 Depth=1
	s_or_b32 exec_lo, exec_lo, s20
.LBB353_1585:                           ;   in Loop: Header=BB353_1059 Depth=1
	s_or_b32 exec_lo, exec_lo, s19
.LBB353_1586:                           ;   in Loop: Header=BB353_1059 Depth=1
	s_or_b32 exec_lo, exec_lo, s18
	v_mul_f32_e32 v13, v72, v17
	v_mul_f32_e32 v12, v72, v12
	;; [unrolled: 1-line block ×3, first 2 shown]
	v_bfe_u32 v17, v13, 16, 1
	v_or_b32_e32 v22, 0x400000, v13
	v_cmp_u_f32_e64 s4, v13, v13
	v_add3_u32 v17, v17, v13, 0x7fff
	v_cndmask_b32_e64 v13, v17, v22, s4
	v_lshrrev_b32_e32 v17, 16, v13
	v_mul_f32_e32 v13, v72, v18
	v_bfe_u32 v18, v13, 16, 1
	v_or_b32_e32 v22, 0x400000, v13
	v_cmp_u_f32_e64 s4, v13, v13
	v_add3_u32 v18, v18, v13, 0x7fff
	v_cndmask_b32_e64 v13, v18, v22, s4
	v_lshrrev_b32_e32 v18, 16, v13
	v_mul_f32_e32 v13, v72, v16
	v_bfe_u32 v16, v13, 16, 1
	v_or_b32_e32 v22, 0x400000, v13
	v_cmp_u_f32_e64 s4, v13, v13
	v_add3_u32 v16, v16, v13, 0x7fff
	v_cndmask_b32_e64 v13, v16, v22, s4
	v_lshrrev_b32_e32 v22, 16, v13
	v_mul_f32_e32 v13, v72, v15
	v_bfe_u32 v15, v13, 16, 1
	v_or_b32_e32 v16, 0x400000, v13
	v_cmp_u_f32_e64 s4, v13, v13
	v_add3_u32 v15, v15, v13, 0x7fff
	v_cndmask_b32_e64 v13, v15, v16, s4
	v_or_b32_e32 v15, 0x400000, v12
	v_cmp_u_f32_e64 s4, v12, v12
	v_lshrrev_b32_e32 v23, 16, v13
	v_bfe_u32 v13, v12, 16, 1
	v_add3_u32 v13, v13, v12, 0x7fff
	v_cndmask_b32_e64 v12, v13, v15, s4
	v_or_b32_e32 v13, 0x400000, v0
	v_cmp_u_f32_e64 s4, v0, v0
	v_lshrrev_b32_e32 v33, 16, v12
	v_bfe_u32 v12, v0, 16, 1
	v_add3_u32 v12, v12, v0, 0x7fff
	v_cndmask_b32_e64 v0, v12, v13, s4
	v_mul_f32_e32 v12, v72, v28
	v_lshrrev_b32_e32 v0, 16, v0
	v_bfe_u32 v13, v12, 16, 1
	v_or_b32_e32 v15, 0x400000, v12
	v_cmp_u_f32_e64 s4, v12, v12
	v_add3_u32 v13, v13, v12, 0x7fff
	v_cndmask_b32_e64 v12, v13, v15, s4
	v_lshrrev_b32_e32 v31, 16, v12
	v_mul_f32_e32 v12, v72, v21
	v_bfe_u32 v13, v12, 16, 1
	v_or_b32_e32 v15, 0x400000, v12
	v_cmp_u_f32_e64 s4, v12, v12
	v_add3_u32 v13, v13, v12, 0x7fff
	v_cndmask_b32_e64 v12, v13, v15, s4
	v_lshrrev_b32_e32 v85, 16, v12
	s_and_saveexec_b32 s18, vcc_lo
	s_cbranch_execz .LBB353_1588
; %bb.1587:                             ;   in Loop: Header=BB353_1059 Depth=1
	v_cmp_lt_i32_e64 s4, v74, v32
	v_cndmask_b32_e64 v0, 0, v0, s4
	v_cmp_lt_i32_e64 s4, v89, v32
	v_cndmask_b32_e64 v33, 0, v33, s4
	;; [unrolled: 2-line block ×8, first 2 shown]
.LBB353_1588:                           ;   in Loop: Header=BB353_1059 Depth=1
	s_or_b32 exec_lo, exec_lo, s18
	v_add_co_u32 v19, s4, 0x800, v19
	v_add_co_ci_u32_e64 v20, null, 0, v20, s4
	v_mov_b32_e32 v21, 0
	v_mov_b32_e32 v12, 0
	flat_load_dwordx2 v[24:25], v[19:20]
	s_waitcnt vmcnt(0) lgkmcnt(0)
	v_cmp_ne_u16_sdwa s4, v24, v14 src0_sel:BYTE_0 src1_sel:DWORD
	s_and_saveexec_b32 s18, s4
	s_cbranch_execz .LBB353_1596
; %bb.1589:                             ;   in Loop: Header=BB353_1059 Depth=1
	v_cmp_ne_u16_sdwa s4, v24, v80 src0_sel:BYTE_0 src1_sel:DWORD
	v_bfrev_b32_e32 v12, 1
	s_and_saveexec_b32 s19, s4
	s_cbranch_execz .LBB353_1595
; %bb.1590:                             ;   in Loop: Header=BB353_1059 Depth=1
	v_and_b32_e32 v13, 0x7f, v24
	v_mov_b32_e32 v12, 0x7f800001
	s_mov_b32 s20, exec_lo
	v_cmpx_ne_u32_e32 0x7f, v13
	s_cbranch_execz .LBB353_1594
; %bb.1591:                             ;   in Loop: Header=BB353_1059 Depth=1
	v_mov_b32_e32 v27, v25
	v_lshrrev_b32_e32 v12, 3, v13
	v_mov_b32_e32 v26, v24
	s_mov_b32 s21, exec_lo
	v_cmpx_gt_u32_e32 8, v13
; %bb.1592:                             ;   in Loop: Header=BB353_1059 Depth=1
	v_and_b32_e32 v12, 7, v24
	v_ffbh_u32_e32 v12, v12
	v_min_u32_e32 v12, 32, v12
	v_subrev_nc_u32_e32 v13, 28, v12
	v_sub_nc_u32_e32 v12, 29, v12
	v_lshlrev_b64 v[26:27], v13, v[24:25]
; %bb.1593:                             ;   in Loop: Header=BB353_1059 Depth=1
	s_or_b32 exec_lo, exec_lo, s21
	v_lshlrev_b32_e32 v13, 20, v26
	v_lshlrev_b32_e32 v15, 24, v24
	v_lshl_add_u32 v12, v12, 23, 0x3c000000
	v_and_b32_e32 v13, 0x700000, v13
	v_and_b32_e32 v15, 0x80000000, v15
	v_or3_b32 v12, v13, v15, v12
.LBB353_1594:                           ;   in Loop: Header=BB353_1059 Depth=1
	s_or_b32 exec_lo, exec_lo, s20
.LBB353_1595:                           ;   in Loop: Header=BB353_1059 Depth=1
	s_or_b32 exec_lo, exec_lo, s19
.LBB353_1596:                           ;   in Loop: Header=BB353_1059 Depth=1
	s_or_b32 exec_lo, exec_lo, s18
	v_cmp_ne_u16_sdwa s4, v24, v14 src0_sel:BYTE_1 src1_sel:DWORD
	s_and_saveexec_b32 s18, s4
	s_cbranch_execz .LBB353_1604
; %bb.1597:                             ;   in Loop: Header=BB353_1059 Depth=1
	v_cmp_ne_u16_sdwa s4, v24, v80 src0_sel:BYTE_1 src1_sel:DWORD
	v_bfrev_b32_e32 v21, 1
	s_and_saveexec_b32 s19, s4
	s_cbranch_execz .LBB353_1603
; %bb.1598:                             ;   in Loop: Header=BB353_1059 Depth=1
	v_mov_b32_e32 v13, 0xffff
	v_mov_b32_e32 v21, 0x7f800001
	s_mov_b32 s20, exec_lo
	v_and_b32_sdwa v13, v13, v24 dst_sel:DWORD dst_unused:UNUSED_PAD src0_sel:DWORD src1_sel:BYTE_1
	v_and_b32_e32 v16, 0x7f, v13
	v_cmpx_ne_u32_e32 0x7f, v16
	s_cbranch_execz .LBB353_1602
; %bb.1599:                             ;   in Loop: Header=BB353_1059 Depth=1
	v_and_b32_e32 v13, 7, v13
	v_mov_b32_e32 v27, v14
	v_lshrrev_b32_e32 v15, 3, v16
	s_mov_b32 s21, exec_lo
	v_mov_b32_e32 v26, v13
	v_cmpx_gt_u32_e32 8, v16
; %bb.1600:                             ;   in Loop: Header=BB353_1059 Depth=1
	v_ffbh_u32_e32 v15, v13
	v_min_u32_e32 v15, 32, v15
	v_subrev_nc_u32_e32 v16, 28, v15
	v_sub_nc_u32_e32 v15, 29, v15
	v_lshlrev_b64 v[26:27], v16, v[13:14]
	v_and_b32_e32 v26, 7, v26
; %bb.1601:                             ;   in Loop: Header=BB353_1059 Depth=1
	s_or_b32 exec_lo, exec_lo, s21
	v_lshlrev_b32_e32 v13, 16, v24
	v_lshlrev_b32_e32 v16, 20, v26
	v_lshl_add_u32 v15, v15, 23, 0x3c000000
	v_and_b32_e32 v13, 0x80000000, v13
	v_or3_b32 v21, v16, v13, v15
.LBB353_1602:                           ;   in Loop: Header=BB353_1059 Depth=1
	s_or_b32 exec_lo, exec_lo, s20
.LBB353_1603:                           ;   in Loop: Header=BB353_1059 Depth=1
	s_or_b32 exec_lo, exec_lo, s19
.LBB353_1604:                           ;   in Loop: Header=BB353_1059 Depth=1
	s_or_b32 exec_lo, exec_lo, s18
	v_and_b32_sdwa v13, v24, v82 dst_sel:DWORD dst_unused:UNUSED_PAD src0_sel:WORD_1 src1_sel:DWORD
	v_mov_b32_e32 v30, 0
	v_mov_b32_e32 v28, 0
	s_mov_b32 s18, exec_lo
	v_cmpx_ne_u16_e32 0, v13
	s_cbranch_execz .LBB353_1612
; %bb.1605:                             ;   in Loop: Header=BB353_1059 Depth=1
	v_bfrev_b32_e32 v28, 1
	s_mov_b32 s19, exec_lo
	v_cmpx_ne_u16_e32 0x80, v13
	s_cbranch_execz .LBB353_1611
; %bb.1606:                             ;   in Loop: Header=BB353_1059 Depth=1
	v_bfe_u32 v16, v24, 16, 7
	v_mov_b32_e32 v28, 0x7f800001
	s_mov_b32 s20, exec_lo
	v_cmpx_ne_u32_e32 0x7f, v16
	s_cbranch_execz .LBB353_1610
; %bb.1607:                             ;   in Loop: Header=BB353_1059 Depth=1
	v_mov_b32_e32 v13, 7
	v_lshrrev_b32_e32 v15, 3, v16
	s_mov_b32 s21, exec_lo
	v_and_b32_sdwa v13, v24, v13 dst_sel:DWORD dst_unused:UNUSED_PAD src0_sel:WORD_1 src1_sel:DWORD
	v_mov_b32_e32 v27, v14
	v_mov_b32_e32 v26, v13
	v_cmpx_gt_u32_e32 8, v16
; %bb.1608:                             ;   in Loop: Header=BB353_1059 Depth=1
	v_ffbh_u32_e32 v15, v13
	v_min_u32_e32 v15, 32, v15
	v_subrev_nc_u32_e32 v16, 28, v15
	v_sub_nc_u32_e32 v15, 29, v15
	v_lshlrev_b64 v[26:27], v16, v[13:14]
	v_and_b32_e32 v26, 7, v26
; %bb.1609:                             ;   in Loop: Header=BB353_1059 Depth=1
	s_or_b32 exec_lo, exec_lo, s21
	v_mov_b32_e32 v13, 24
	v_lshlrev_b32_e32 v16, 20, v26
	v_lshl_add_u32 v15, v15, 23, 0x3c000000
	v_lshlrev_b32_sdwa v13, v13, v24 dst_sel:DWORD dst_unused:UNUSED_PAD src0_sel:DWORD src1_sel:WORD_1
	v_and_b32_e32 v13, 0x80000000, v13
	v_or3_b32 v28, v16, v13, v15
.LBB353_1610:                           ;   in Loop: Header=BB353_1059 Depth=1
	s_or_b32 exec_lo, exec_lo, s20
.LBB353_1611:                           ;   in Loop: Header=BB353_1059 Depth=1
	s_or_b32 exec_lo, exec_lo, s19
.LBB353_1612:                           ;   in Loop: Header=BB353_1059 Depth=1
	s_or_b32 exec_lo, exec_lo, s18
	s_mov_b32 s18, exec_lo
	v_cmpx_lt_u32_e32 0xffffff, v24
	s_cbranch_execz .LBB353_1620
; %bb.1613:                             ;   in Loop: Header=BB353_1059 Depth=1
	v_cmp_ne_u32_sdwa s4, v24, v80 src0_sel:BYTE_3 src1_sel:DWORD
	v_bfrev_b32_e32 v30, 1
	s_and_saveexec_b32 s19, s4
	s_cbranch_execz .LBB353_1619
; %bb.1614:                             ;   in Loop: Header=BB353_1059 Depth=1
	v_bfe_u32 v16, v24, 24, 7
	v_mov_b32_e32 v30, 0x7f800001
	s_mov_b32 s20, exec_lo
	v_cmpx_ne_u32_e32 0x7f, v16
	s_cbranch_execz .LBB353_1618
; %bb.1615:                             ;   in Loop: Header=BB353_1059 Depth=1
	v_mov_b32_e32 v13, 7
	v_lshrrev_b32_e32 v15, 3, v16
	s_mov_b32 s21, exec_lo
	v_and_b32_sdwa v13, v24, v13 dst_sel:DWORD dst_unused:UNUSED_PAD src0_sel:BYTE_3 src1_sel:DWORD
	v_mov_b32_e32 v27, v14
	v_mov_b32_e32 v26, v13
	v_cmpx_gt_u32_e32 8, v16
; %bb.1616:                             ;   in Loop: Header=BB353_1059 Depth=1
	v_ffbh_u32_e32 v15, v13
	v_min_u32_e32 v15, 32, v15
	v_subrev_nc_u32_e32 v16, 28, v15
	v_sub_nc_u32_e32 v15, 29, v15
	v_lshlrev_b64 v[26:27], v16, v[13:14]
	v_and_b32_e32 v26, 7, v26
; %bb.1617:                             ;   in Loop: Header=BB353_1059 Depth=1
	s_or_b32 exec_lo, exec_lo, s21
	v_mov_b32_e32 v13, 24
	v_lshlrev_b32_e32 v16, 20, v26
	v_lshl_add_u32 v15, v15, 23, 0x3c000000
	v_lshlrev_b32_sdwa v13, v13, v24 dst_sel:DWORD dst_unused:UNUSED_PAD src0_sel:DWORD src1_sel:BYTE_3
	v_and_b32_e32 v13, 0x80000000, v13
	v_or3_b32 v30, v16, v13, v15
.LBB353_1618:                           ;   in Loop: Header=BB353_1059 Depth=1
	s_or_b32 exec_lo, exec_lo, s20
.LBB353_1619:                           ;   in Loop: Header=BB353_1059 Depth=1
	s_or_b32 exec_lo, exec_lo, s19
.LBB353_1620:                           ;   in Loop: Header=BB353_1059 Depth=1
	s_or_b32 exec_lo, exec_lo, s18
	v_mov_b32_e32 v13, v25
	v_cmp_ne_u16_sdwa s4, v25, v14 src0_sel:BYTE_0 src1_sel:DWORD
	v_mov_b32_e32 v15, 0
	v_mov_b32_e32 v16, 0
	s_and_saveexec_b32 s18, s4
	s_cbranch_execz .LBB353_1628
; %bb.1621:                             ;   in Loop: Header=BB353_1059 Depth=1
	v_cmp_ne_u16_sdwa s4, v25, v80 src0_sel:BYTE_0 src1_sel:DWORD
	v_bfrev_b32_e32 v16, 1
	s_and_saveexec_b32 s19, s4
	s_cbranch_execz .LBB353_1627
; %bb.1622:                             ;   in Loop: Header=BB353_1059 Depth=1
	v_and_b32_e32 v26, 0x7f, v25
	v_mov_b32_e32 v16, 0x7f800001
	s_mov_b32 s20, exec_lo
	v_cmpx_ne_u32_e32 0x7f, v26
	s_cbranch_execz .LBB353_1626
; %bb.1623:                             ;   in Loop: Header=BB353_1059 Depth=1
	v_lshrrev_b32_e32 v16, 3, v26
	v_cmp_gt_u32_e64 s4, 8, v26
	v_mov_b32_e32 v27, v14
	v_mov_b32_e32 v26, v13
	s_and_saveexec_b32 s21, s4
; %bb.1624:                             ;   in Loop: Header=BB353_1059 Depth=1
	v_and_b32_e32 v16, 7, v25
	v_ffbh_u32_e32 v16, v16
	v_min_u32_e32 v16, 32, v16
	v_subrev_nc_u32_e32 v26, 28, v16
	v_sub_nc_u32_e32 v16, 29, v16
	v_lshlrev_b64 v[26:27], v26, v[13:14]
; %bb.1625:                             ;   in Loop: Header=BB353_1059 Depth=1
	s_or_b32 exec_lo, exec_lo, s21
	v_lshlrev_b32_e32 v26, 20, v26
	v_lshlrev_b32_e32 v27, 24, v13
	v_lshl_add_u32 v16, v16, 23, 0x3c000000
	v_and_b32_e32 v26, 0x700000, v26
	v_and_b32_e32 v27, 0x80000000, v27
	v_or3_b32 v16, v26, v27, v16
.LBB353_1626:                           ;   in Loop: Header=BB353_1059 Depth=1
	s_or_b32 exec_lo, exec_lo, s20
.LBB353_1627:                           ;   in Loop: Header=BB353_1059 Depth=1
	s_or_b32 exec_lo, exec_lo, s19
.LBB353_1628:                           ;   in Loop: Header=BB353_1059 Depth=1
	s_or_b32 exec_lo, exec_lo, s18
	v_cmp_ne_u16_sdwa s4, v13, v14 src0_sel:BYTE_1 src1_sel:DWORD
	s_and_saveexec_b32 s18, s4
	s_cbranch_execz .LBB353_1636
; %bb.1629:                             ;   in Loop: Header=BB353_1059 Depth=1
	v_cmp_ne_u16_sdwa s4, v13, v80 src0_sel:BYTE_1 src1_sel:DWORD
	v_bfrev_b32_e32 v15, 1
	s_and_saveexec_b32 s19, s4
	s_cbranch_execz .LBB353_1635
; %bb.1630:                             ;   in Loop: Header=BB353_1059 Depth=1
	v_mov_b32_e32 v15, 0xffff
	s_mov_b32 s20, exec_lo
	v_and_b32_sdwa v26, v15, v13 dst_sel:DWORD dst_unused:UNUSED_PAD src0_sel:DWORD src1_sel:BYTE_1
	v_mov_b32_e32 v15, 0x7f800001
	v_and_b32_e32 v34, 0x7f, v26
	v_cmpx_ne_u32_e32 0x7f, v34
	s_cbranch_execz .LBB353_1634
; %bb.1631:                             ;   in Loop: Header=BB353_1059 Depth=1
	v_and_b32_e32 v26, 7, v26
	v_mov_b32_e32 v27, v14
	v_lshrrev_b32_e32 v15, 3, v34
	s_mov_b32 s21, exec_lo
	v_cmpx_gt_u32_e32 8, v34
; %bb.1632:                             ;   in Loop: Header=BB353_1059 Depth=1
	v_ffbh_u32_e32 v15, v26
	v_min_u32_e32 v15, 32, v15
	v_subrev_nc_u32_e32 v34, 28, v15
	v_sub_nc_u32_e32 v15, 29, v15
	v_lshlrev_b64 v[26:27], v34, v[26:27]
	v_and_b32_e32 v26, 7, v26
; %bb.1633:                             ;   in Loop: Header=BB353_1059 Depth=1
	s_or_b32 exec_lo, exec_lo, s21
	v_lshlrev_b32_e32 v13, 16, v13
	v_lshlrev_b32_e32 v26, 20, v26
	v_lshl_add_u32 v15, v15, 23, 0x3c000000
	v_and_b32_e32 v13, 0x80000000, v13
	v_or3_b32 v15, v26, v13, v15
.LBB353_1634:                           ;   in Loop: Header=BB353_1059 Depth=1
	s_or_b32 exec_lo, exec_lo, s20
.LBB353_1635:                           ;   in Loop: Header=BB353_1059 Depth=1
	s_or_b32 exec_lo, exec_lo, s19
.LBB353_1636:                           ;   in Loop: Header=BB353_1059 Depth=1
	s_or_b32 exec_lo, exec_lo, s18
	v_and_b32_sdwa v13, v25, v82 dst_sel:DWORD dst_unused:UNUSED_PAD src0_sel:WORD_1 src1_sel:DWORD
	v_mov_b32_e32 v35, 0
	v_mov_b32_e32 v36, 0
	s_mov_b32 s18, exec_lo
	v_cmpx_ne_u16_e32 0, v13
	s_cbranch_execz .LBB353_1644
; %bb.1637:                             ;   in Loop: Header=BB353_1059 Depth=1
	v_bfrev_b32_e32 v36, 1
	s_mov_b32 s19, exec_lo
	v_cmpx_ne_u16_e32 0x80, v13
	s_cbranch_execz .LBB353_1643
; %bb.1638:                             ;   in Loop: Header=BB353_1059 Depth=1
	v_bfe_u32 v26, v25, 16, 7
	v_mov_b32_e32 v36, 0x7f800001
	s_mov_b32 s20, exec_lo
	v_cmpx_ne_u32_e32 0x7f, v26
	s_cbranch_execz .LBB353_1642
; %bb.1639:                             ;   in Loop: Header=BB353_1059 Depth=1
	v_mov_b32_e32 v13, 7
	v_lshrrev_b32_e32 v34, 3, v26
	v_cmp_gt_u32_e64 s4, 8, v26
	v_and_b32_sdwa v13, v25, v13 dst_sel:DWORD dst_unused:UNUSED_PAD src0_sel:WORD_1 src1_sel:DWORD
	v_mov_b32_e32 v27, v14
	v_mov_b32_e32 v26, v13
	s_and_saveexec_b32 s21, s4
; %bb.1640:                             ;   in Loop: Header=BB353_1059 Depth=1
	v_ffbh_u32_e32 v26, v13
	v_min_u32_e32 v34, 32, v26
	v_subrev_nc_u32_e32 v26, 28, v34
	v_sub_nc_u32_e32 v34, 29, v34
	v_lshlrev_b64 v[26:27], v26, v[13:14]
	v_and_b32_e32 v26, 7, v26
; %bb.1641:                             ;   in Loop: Header=BB353_1059 Depth=1
	s_or_b32 exec_lo, exec_lo, s21
	v_mov_b32_e32 v13, 24
	v_lshlrev_b32_e32 v26, 20, v26
	v_lshl_add_u32 v27, v34, 23, 0x3c000000
	v_lshlrev_b32_sdwa v13, v13, v25 dst_sel:DWORD dst_unused:UNUSED_PAD src0_sel:DWORD src1_sel:WORD_1
	v_and_b32_e32 v13, 0x80000000, v13
	v_or3_b32 v36, v26, v13, v27
.LBB353_1642:                           ;   in Loop: Header=BB353_1059 Depth=1
	s_or_b32 exec_lo, exec_lo, s20
.LBB353_1643:                           ;   in Loop: Header=BB353_1059 Depth=1
	s_or_b32 exec_lo, exec_lo, s19
.LBB353_1644:                           ;   in Loop: Header=BB353_1059 Depth=1
	s_or_b32 exec_lo, exec_lo, s18
	s_mov_b32 s18, exec_lo
	v_cmpx_lt_u64_e64 s[6:7], v[24:25]
	s_cbranch_execz .LBB353_1652
; %bb.1645:                             ;   in Loop: Header=BB353_1059 Depth=1
	v_cmp_ne_u32_sdwa s4, v25, v80 src0_sel:BYTE_3 src1_sel:DWORD
	v_bfrev_b32_e32 v35, 1
	s_and_saveexec_b32 s19, s4
	s_cbranch_execz .LBB353_1651
; %bb.1646:                             ;   in Loop: Header=BB353_1059 Depth=1
	v_bfe_u32 v26, v25, 24, 7
	v_mov_b32_e32 v35, 0x7f800001
	s_mov_b32 s20, exec_lo
	v_cmpx_ne_u32_e32 0x7f, v26
	s_cbranch_execz .LBB353_1650
; %bb.1647:                             ;   in Loop: Header=BB353_1059 Depth=1
	v_mov_b32_e32 v13, 7
	v_lshrrev_b32_e32 v24, 3, v26
	v_cmp_gt_u32_e64 s4, 8, v26
	v_and_b32_sdwa v13, v25, v13 dst_sel:DWORD dst_unused:UNUSED_PAD src0_sel:BYTE_3 src1_sel:DWORD
	v_mov_b32_e32 v27, v14
	v_mov_b32_e32 v26, v13
	s_and_saveexec_b32 s21, s4
; %bb.1648:                             ;   in Loop: Header=BB353_1059 Depth=1
	v_ffbh_u32_e32 v24, v13
	v_min_u32_e32 v24, 32, v24
	v_subrev_nc_u32_e32 v26, 28, v24
	v_sub_nc_u32_e32 v24, 29, v24
	v_lshlrev_b64 v[26:27], v26, v[13:14]
	v_and_b32_e32 v26, 7, v26
; %bb.1649:                             ;   in Loop: Header=BB353_1059 Depth=1
	s_or_b32 exec_lo, exec_lo, s21
	v_mov_b32_e32 v13, 24
	v_lshl_add_u32 v24, v24, 23, 0x3c000000
	v_lshlrev_b32_sdwa v13, v13, v25 dst_sel:DWORD dst_unused:UNUSED_PAD src0_sel:DWORD src1_sel:BYTE_3
	v_lshlrev_b32_e32 v25, 20, v26
	v_and_b32_e32 v13, 0x80000000, v13
	v_or3_b32 v35, v25, v13, v24
.LBB353_1650:                           ;   in Loop: Header=BB353_1059 Depth=1
	s_or_b32 exec_lo, exec_lo, s20
.LBB353_1651:                           ;   in Loop: Header=BB353_1059 Depth=1
	s_or_b32 exec_lo, exec_lo, s19
.LBB353_1652:                           ;   in Loop: Header=BB353_1059 Depth=1
	s_or_b32 exec_lo, exec_lo, s18
	v_mul_f32_e32 v13, v72, v15
	v_mul_f32_e32 v12, v72, v12
	v_bfe_u32 v15, v13, 16, 1
	v_or_b32_e32 v24, 0x400000, v13
	v_cmp_u_f32_e64 s4, v13, v13
	v_add3_u32 v15, v15, v13, 0x7fff
	v_cndmask_b32_e64 v13, v15, v24, s4
	v_lshrrev_b32_e32 v15, 16, v13
	v_mul_f32_e32 v13, v72, v16
	v_bfe_u32 v16, v13, 16, 1
	v_or_b32_e32 v24, 0x400000, v13
	v_cmp_u_f32_e64 s4, v13, v13
	v_add3_u32 v16, v16, v13, 0x7fff
	v_cndmask_b32_e64 v13, v16, v24, s4
	v_lshrrev_b32_e32 v16, 16, v13
	;; [unrolled: 7-line block ×4, first 2 shown]
	v_mul_f32_e32 v13, v72, v21
	v_bfe_u32 v21, v13, 16, 1
	v_or_b32_e32 v24, 0x400000, v13
	v_cmp_u_f32_e64 s4, v13, v13
	v_add3_u32 v21, v21, v13, 0x7fff
	v_cndmask_b32_e64 v13, v21, v24, s4
	v_or_b32_e32 v21, 0x400000, v12
	v_cmp_u_f32_e64 s4, v12, v12
	v_lshrrev_b32_e32 v49, 16, v13
	v_bfe_u32 v13, v12, 16, 1
	v_add3_u32 v13, v13, v12, 0x7fff
	v_cndmask_b32_e64 v12, v13, v21, s4
	v_lshrrev_b32_e32 v50, 16, v12
	v_mul_f32_e32 v12, v72, v36
	v_bfe_u32 v13, v12, 16, 1
	v_or_b32_e32 v21, 0x400000, v12
	v_cmp_u_f32_e64 s4, v12, v12
	v_add3_u32 v13, v13, v12, 0x7fff
	v_cndmask_b32_e64 v12, v13, v21, s4
	v_lshrrev_b32_e32 v48, 16, v12
	v_mul_f32_e32 v12, v72, v35
	v_bfe_u32 v13, v12, 16, 1
	v_or_b32_e32 v21, 0x400000, v12
	v_cmp_u_f32_e64 s4, v12, v12
	v_add3_u32 v13, v13, v12, 0x7fff
	v_cndmask_b32_e64 v12, v13, v21, s4
	v_lshrrev_b32_e32 v51, 16, v12
	s_and_saveexec_b32 s18, vcc_lo
	s_cbranch_execz .LBB353_1654
; %bb.1653:                             ;   in Loop: Header=BB353_1059 Depth=1
	v_cmp_lt_i32_e64 s4, v74, v32
	v_cndmask_b32_e64 v50, 0, v50, s4
	v_cmp_lt_i32_e64 s4, v89, v32
	v_cndmask_b32_e64 v49, 0, v49, s4
	;; [unrolled: 2-line block ×8, first 2 shown]
.LBB353_1654:                           ;   in Loop: Header=BB353_1059 Depth=1
	s_or_b32 exec_lo, exec_lo, s18
	flat_load_dwordx2 v[24:25], v[19:20] offset:256
	v_mov_b32_e32 v21, 0
	v_mov_b32_e32 v12, 0
	s_waitcnt vmcnt(0) lgkmcnt(0)
	v_cmp_ne_u16_sdwa s4, v24, v14 src0_sel:BYTE_0 src1_sel:DWORD
	s_and_saveexec_b32 s18, s4
	s_cbranch_execz .LBB353_1662
; %bb.1655:                             ;   in Loop: Header=BB353_1059 Depth=1
	v_cmp_ne_u16_sdwa s4, v24, v80 src0_sel:BYTE_0 src1_sel:DWORD
	v_bfrev_b32_e32 v12, 1
	s_and_saveexec_b32 s19, s4
	s_cbranch_execz .LBB353_1661
; %bb.1656:                             ;   in Loop: Header=BB353_1059 Depth=1
	v_and_b32_e32 v13, 0x7f, v24
	v_mov_b32_e32 v12, 0x7f800001
	s_mov_b32 s20, exec_lo
	v_cmpx_ne_u32_e32 0x7f, v13
	s_cbranch_execz .LBB353_1660
; %bb.1657:                             ;   in Loop: Header=BB353_1059 Depth=1
	v_mov_b32_e32 v27, v25
	v_lshrrev_b32_e32 v12, 3, v13
	v_mov_b32_e32 v26, v24
	s_mov_b32 s21, exec_lo
	v_cmpx_gt_u32_e32 8, v13
; %bb.1658:                             ;   in Loop: Header=BB353_1059 Depth=1
	v_and_b32_e32 v12, 7, v24
	v_ffbh_u32_e32 v12, v12
	v_min_u32_e32 v12, 32, v12
	v_subrev_nc_u32_e32 v13, 28, v12
	v_sub_nc_u32_e32 v12, 29, v12
	v_lshlrev_b64 v[26:27], v13, v[24:25]
; %bb.1659:                             ;   in Loop: Header=BB353_1059 Depth=1
	s_or_b32 exec_lo, exec_lo, s21
	v_lshlrev_b32_e32 v13, 20, v26
	v_lshlrev_b32_e32 v26, 24, v24
	v_lshl_add_u32 v12, v12, 23, 0x3c000000
	v_and_b32_e32 v13, 0x700000, v13
	v_and_b32_e32 v26, 0x80000000, v26
	v_or3_b32 v12, v13, v26, v12
.LBB353_1660:                           ;   in Loop: Header=BB353_1059 Depth=1
	s_or_b32 exec_lo, exec_lo, s20
.LBB353_1661:                           ;   in Loop: Header=BB353_1059 Depth=1
	s_or_b32 exec_lo, exec_lo, s19
.LBB353_1662:                           ;   in Loop: Header=BB353_1059 Depth=1
	s_or_b32 exec_lo, exec_lo, s18
	v_cmp_ne_u16_sdwa s4, v24, v14 src0_sel:BYTE_1 src1_sel:DWORD
	s_and_saveexec_b32 s18, s4
	s_cbranch_execz .LBB353_1670
; %bb.1663:                             ;   in Loop: Header=BB353_1059 Depth=1
	v_cmp_ne_u16_sdwa s4, v24, v80 src0_sel:BYTE_1 src1_sel:DWORD
	v_bfrev_b32_e32 v21, 1
	s_and_saveexec_b32 s19, s4
	s_cbranch_execz .LBB353_1669
; %bb.1664:                             ;   in Loop: Header=BB353_1059 Depth=1
	v_mov_b32_e32 v13, 0xffff
	v_mov_b32_e32 v21, 0x7f800001
	s_mov_b32 s20, exec_lo
	v_and_b32_sdwa v13, v13, v24 dst_sel:DWORD dst_unused:UNUSED_PAD src0_sel:DWORD src1_sel:BYTE_1
	v_and_b32_e32 v26, 0x7f, v13
	v_cmpx_ne_u32_e32 0x7f, v26
	s_cbranch_execz .LBB353_1668
; %bb.1665:                             ;   in Loop: Header=BB353_1059 Depth=1
	v_and_b32_e32 v13, 7, v13
	v_lshrrev_b32_e32 v21, 3, v26
	v_cmp_gt_u32_e64 s4, 8, v26
	v_mov_b32_e32 v27, v14
	v_mov_b32_e32 v26, v13
	s_and_saveexec_b32 s21, s4
; %bb.1666:                             ;   in Loop: Header=BB353_1059 Depth=1
	v_ffbh_u32_e32 v21, v13
	v_min_u32_e32 v21, 32, v21
	v_subrev_nc_u32_e32 v26, 28, v21
	v_sub_nc_u32_e32 v21, 29, v21
	v_lshlrev_b64 v[26:27], v26, v[13:14]
	v_and_b32_e32 v26, 7, v26
; %bb.1667:                             ;   in Loop: Header=BB353_1059 Depth=1
	s_or_b32 exec_lo, exec_lo, s21
	v_lshlrev_b32_e32 v13, 16, v24
	v_lshlrev_b32_e32 v26, 20, v26
	v_lshl_add_u32 v21, v21, 23, 0x3c000000
	v_and_b32_e32 v13, 0x80000000, v13
	v_or3_b32 v21, v26, v13, v21
.LBB353_1668:                           ;   in Loop: Header=BB353_1059 Depth=1
	s_or_b32 exec_lo, exec_lo, s20
.LBB353_1669:                           ;   in Loop: Header=BB353_1059 Depth=1
	s_or_b32 exec_lo, exec_lo, s19
.LBB353_1670:                           ;   in Loop: Header=BB353_1059 Depth=1
	s_or_b32 exec_lo, exec_lo, s18
	v_and_b32_sdwa v13, v24, v82 dst_sel:DWORD dst_unused:UNUSED_PAD src0_sel:WORD_1 src1_sel:DWORD
	v_mov_b32_e32 v35, 0
	v_mov_b32_e32 v28, 0
	s_mov_b32 s18, exec_lo
	v_cmpx_ne_u16_e32 0, v13
	s_cbranch_execz .LBB353_1678
; %bb.1671:                             ;   in Loop: Header=BB353_1059 Depth=1
	v_bfrev_b32_e32 v28, 1
	s_mov_b32 s19, exec_lo
	v_cmpx_ne_u16_e32 0x80, v13
	s_cbranch_execz .LBB353_1677
; %bb.1672:                             ;   in Loop: Header=BB353_1059 Depth=1
	v_bfe_u32 v26, v24, 16, 7
	v_mov_b32_e32 v28, 0x7f800001
	s_mov_b32 s20, exec_lo
	v_cmpx_ne_u32_e32 0x7f, v26
	s_cbranch_execz .LBB353_1676
; %bb.1673:                             ;   in Loop: Header=BB353_1059 Depth=1
	v_mov_b32_e32 v13, 7
	v_lshrrev_b32_e32 v28, 3, v26
	v_cmp_gt_u32_e64 s4, 8, v26
	v_and_b32_sdwa v13, v24, v13 dst_sel:DWORD dst_unused:UNUSED_PAD src0_sel:WORD_1 src1_sel:DWORD
	v_mov_b32_e32 v27, v14
	v_mov_b32_e32 v26, v13
	s_and_saveexec_b32 s21, s4
; %bb.1674:                             ;   in Loop: Header=BB353_1059 Depth=1
	v_ffbh_u32_e32 v26, v13
	v_min_u32_e32 v28, 32, v26
	v_subrev_nc_u32_e32 v26, 28, v28
	v_sub_nc_u32_e32 v28, 29, v28
	v_lshlrev_b64 v[26:27], v26, v[13:14]
	v_and_b32_e32 v26, 7, v26
; %bb.1675:                             ;   in Loop: Header=BB353_1059 Depth=1
	s_or_b32 exec_lo, exec_lo, s21
	v_mov_b32_e32 v13, 24
	v_lshlrev_b32_e32 v26, 20, v26
	v_lshl_add_u32 v27, v28, 23, 0x3c000000
	v_lshlrev_b32_sdwa v13, v13, v24 dst_sel:DWORD dst_unused:UNUSED_PAD src0_sel:DWORD src1_sel:WORD_1
	v_and_b32_e32 v13, 0x80000000, v13
	v_or3_b32 v28, v26, v13, v27
.LBB353_1676:                           ;   in Loop: Header=BB353_1059 Depth=1
	s_or_b32 exec_lo, exec_lo, s20
.LBB353_1677:                           ;   in Loop: Header=BB353_1059 Depth=1
	s_or_b32 exec_lo, exec_lo, s19
.LBB353_1678:                           ;   in Loop: Header=BB353_1059 Depth=1
	s_or_b32 exec_lo, exec_lo, s18
	s_mov_b32 s18, exec_lo
	v_cmpx_lt_u32_e32 0xffffff, v24
	s_cbranch_execz .LBB353_1686
; %bb.1679:                             ;   in Loop: Header=BB353_1059 Depth=1
	v_cmp_ne_u32_sdwa s4, v24, v80 src0_sel:BYTE_3 src1_sel:DWORD
	v_bfrev_b32_e32 v35, 1
	s_and_saveexec_b32 s19, s4
	s_cbranch_execz .LBB353_1685
; %bb.1680:                             ;   in Loop: Header=BB353_1059 Depth=1
	v_bfe_u32 v26, v24, 24, 7
	v_mov_b32_e32 v35, 0x7f800001
	s_mov_b32 s20, exec_lo
	v_cmpx_ne_u32_e32 0x7f, v26
	s_cbranch_execz .LBB353_1684
; %bb.1681:                             ;   in Loop: Header=BB353_1059 Depth=1
	v_mov_b32_e32 v13, 7
	v_lshrrev_b32_e32 v34, 3, v26
	v_cmp_gt_u32_e64 s4, 8, v26
	v_and_b32_sdwa v13, v24, v13 dst_sel:DWORD dst_unused:UNUSED_PAD src0_sel:BYTE_3 src1_sel:DWORD
	v_mov_b32_e32 v27, v14
	v_mov_b32_e32 v26, v13
	s_and_saveexec_b32 s21, s4
; %bb.1682:                             ;   in Loop: Header=BB353_1059 Depth=1
	v_ffbh_u32_e32 v26, v13
	v_min_u32_e32 v34, 32, v26
	v_subrev_nc_u32_e32 v26, 28, v34
	v_sub_nc_u32_e32 v34, 29, v34
	v_lshlrev_b64 v[26:27], v26, v[13:14]
	v_and_b32_e32 v26, 7, v26
; %bb.1683:                             ;   in Loop: Header=BB353_1059 Depth=1
	s_or_b32 exec_lo, exec_lo, s21
	v_mov_b32_e32 v13, 24
	v_lshlrev_b32_e32 v26, 20, v26
	v_lshl_add_u32 v27, v34, 23, 0x3c000000
	v_lshlrev_b32_sdwa v13, v13, v24 dst_sel:DWORD dst_unused:UNUSED_PAD src0_sel:DWORD src1_sel:BYTE_3
	v_and_b32_e32 v13, 0x80000000, v13
	v_or3_b32 v35, v26, v13, v27
.LBB353_1684:                           ;   in Loop: Header=BB353_1059 Depth=1
	s_or_b32 exec_lo, exec_lo, s20
.LBB353_1685:                           ;   in Loop: Header=BB353_1059 Depth=1
	s_or_b32 exec_lo, exec_lo, s19
.LBB353_1686:                           ;   in Loop: Header=BB353_1059 Depth=1
	s_or_b32 exec_lo, exec_lo, s18
	v_mov_b32_e32 v13, v25
	v_cmp_ne_u16_sdwa s4, v25, v14 src0_sel:BYTE_0 src1_sel:DWORD
	v_mov_b32_e32 v34, 0
	v_mov_b32_e32 v39, 0
	s_and_saveexec_b32 s18, s4
	s_cbranch_execz .LBB353_1694
; %bb.1687:                             ;   in Loop: Header=BB353_1059 Depth=1
	v_cmp_ne_u16_sdwa s4, v25, v80 src0_sel:BYTE_0 src1_sel:DWORD
	v_bfrev_b32_e32 v39, 1
	s_and_saveexec_b32 s19, s4
	s_cbranch_execz .LBB353_1693
; %bb.1688:                             ;   in Loop: Header=BB353_1059 Depth=1
	v_and_b32_e32 v26, 0x7f, v25
	v_mov_b32_e32 v39, 0x7f800001
	s_mov_b32 s20, exec_lo
	v_cmpx_ne_u32_e32 0x7f, v26
	s_cbranch_execz .LBB353_1692
; %bb.1689:                             ;   in Loop: Header=BB353_1059 Depth=1
	v_lshrrev_b32_e32 v36, 3, v26
	v_cmp_gt_u32_e64 s4, 8, v26
	v_mov_b32_e32 v27, v14
	v_mov_b32_e32 v26, v13
	s_and_saveexec_b32 s21, s4
; %bb.1690:                             ;   in Loop: Header=BB353_1059 Depth=1
	v_and_b32_e32 v26, 7, v25
	v_ffbh_u32_e32 v26, v26
	v_min_u32_e32 v36, 32, v26
	v_subrev_nc_u32_e32 v26, 28, v36
	v_sub_nc_u32_e32 v36, 29, v36
	v_lshlrev_b64 v[26:27], v26, v[13:14]
; %bb.1691:                             ;   in Loop: Header=BB353_1059 Depth=1
	s_or_b32 exec_lo, exec_lo, s21
	v_lshlrev_b32_e32 v26, 20, v26
	v_lshlrev_b32_e32 v27, 24, v13
	v_lshl_add_u32 v36, v36, 23, 0x3c000000
	v_and_b32_e32 v26, 0x700000, v26
	v_and_b32_e32 v27, 0x80000000, v27
	v_or3_b32 v39, v26, v27, v36
.LBB353_1692:                           ;   in Loop: Header=BB353_1059 Depth=1
	s_or_b32 exec_lo, exec_lo, s20
.LBB353_1693:                           ;   in Loop: Header=BB353_1059 Depth=1
	s_or_b32 exec_lo, exec_lo, s19
.LBB353_1694:                           ;   in Loop: Header=BB353_1059 Depth=1
	s_or_b32 exec_lo, exec_lo, s18
	v_cmp_ne_u16_sdwa s4, v13, v14 src0_sel:BYTE_1 src1_sel:DWORD
	s_and_saveexec_b32 s18, s4
	s_cbranch_execz .LBB353_1702
; %bb.1695:                             ;   in Loop: Header=BB353_1059 Depth=1
	v_cmp_ne_u16_sdwa s4, v13, v80 src0_sel:BYTE_1 src1_sel:DWORD
	v_bfrev_b32_e32 v34, 1
	s_and_saveexec_b32 s19, s4
	s_cbranch_execz .LBB353_1701
; %bb.1696:                             ;   in Loop: Header=BB353_1059 Depth=1
	v_mov_b32_e32 v26, 0xffff
	v_mov_b32_e32 v34, 0x7f800001
	s_mov_b32 s20, exec_lo
	v_and_b32_sdwa v26, v26, v13 dst_sel:DWORD dst_unused:UNUSED_PAD src0_sel:DWORD src1_sel:BYTE_1
	v_and_b32_e32 v36, 0x7f, v26
	v_cmpx_ne_u32_e32 0x7f, v36
	s_cbranch_execz .LBB353_1700
; %bb.1697:                             ;   in Loop: Header=BB353_1059 Depth=1
	v_and_b32_e32 v26, 7, v26
	v_mov_b32_e32 v27, v14
	v_lshrrev_b32_e32 v34, 3, v36
	s_mov_b32 s21, exec_lo
	v_cmpx_gt_u32_e32 8, v36
; %bb.1698:                             ;   in Loop: Header=BB353_1059 Depth=1
	v_ffbh_u32_e32 v34, v26
	v_min_u32_e32 v34, 32, v34
	v_subrev_nc_u32_e32 v36, 28, v34
	v_sub_nc_u32_e32 v34, 29, v34
	v_lshlrev_b64 v[26:27], v36, v[26:27]
	v_and_b32_e32 v26, 7, v26
; %bb.1699:                             ;   in Loop: Header=BB353_1059 Depth=1
	s_or_b32 exec_lo, exec_lo, s21
	v_lshlrev_b32_e32 v13, 16, v13
	v_lshlrev_b32_e32 v26, 20, v26
	v_lshl_add_u32 v27, v34, 23, 0x3c000000
	v_and_b32_e32 v13, 0x80000000, v13
	v_or3_b32 v34, v26, v13, v27
.LBB353_1700:                           ;   in Loop: Header=BB353_1059 Depth=1
	s_or_b32 exec_lo, exec_lo, s20
.LBB353_1701:                           ;   in Loop: Header=BB353_1059 Depth=1
	s_or_b32 exec_lo, exec_lo, s19
.LBB353_1702:                           ;   in Loop: Header=BB353_1059 Depth=1
	s_or_b32 exec_lo, exec_lo, s18
	v_and_b32_sdwa v13, v25, v82 dst_sel:DWORD dst_unused:UNUSED_PAD src0_sel:WORD_1 src1_sel:DWORD
	v_mov_b32_e32 v36, 0
	v_mov_b32_e32 v38, 0
	s_mov_b32 s18, exec_lo
	v_cmpx_ne_u16_e32 0, v13
	s_cbranch_execz .LBB353_1710
; %bb.1703:                             ;   in Loop: Header=BB353_1059 Depth=1
	v_bfrev_b32_e32 v38, 1
	s_mov_b32 s19, exec_lo
	v_cmpx_ne_u16_e32 0x80, v13
	s_cbranch_execz .LBB353_1709
; %bb.1704:                             ;   in Loop: Header=BB353_1059 Depth=1
	v_bfe_u32 v26, v25, 16, 7
	v_mov_b32_e32 v38, 0x7f800001
	s_mov_b32 s20, exec_lo
	v_cmpx_ne_u32_e32 0x7f, v26
	s_cbranch_execz .LBB353_1708
; %bb.1705:                             ;   in Loop: Header=BB353_1059 Depth=1
	v_mov_b32_e32 v13, 7
	v_lshrrev_b32_e32 v37, 3, v26
	v_cmp_gt_u32_e64 s4, 8, v26
	v_and_b32_sdwa v13, v25, v13 dst_sel:DWORD dst_unused:UNUSED_PAD src0_sel:WORD_1 src1_sel:DWORD
	v_mov_b32_e32 v27, v14
	v_mov_b32_e32 v26, v13
	s_and_saveexec_b32 s21, s4
; %bb.1706:                             ;   in Loop: Header=BB353_1059 Depth=1
	v_ffbh_u32_e32 v26, v13
	v_min_u32_e32 v37, 32, v26
	v_subrev_nc_u32_e32 v26, 28, v37
	v_sub_nc_u32_e32 v37, 29, v37
	v_lshlrev_b64 v[26:27], v26, v[13:14]
	v_and_b32_e32 v26, 7, v26
; %bb.1707:                             ;   in Loop: Header=BB353_1059 Depth=1
	s_or_b32 exec_lo, exec_lo, s21
	v_mov_b32_e32 v13, 24
	v_lshlrev_b32_e32 v26, 20, v26
	v_lshl_add_u32 v27, v37, 23, 0x3c000000
	v_lshlrev_b32_sdwa v13, v13, v25 dst_sel:DWORD dst_unused:UNUSED_PAD src0_sel:DWORD src1_sel:WORD_1
	v_and_b32_e32 v13, 0x80000000, v13
	v_or3_b32 v38, v26, v13, v27
.LBB353_1708:                           ;   in Loop: Header=BB353_1059 Depth=1
	s_or_b32 exec_lo, exec_lo, s20
.LBB353_1709:                           ;   in Loop: Header=BB353_1059 Depth=1
	s_or_b32 exec_lo, exec_lo, s19
.LBB353_1710:                           ;   in Loop: Header=BB353_1059 Depth=1
	s_or_b32 exec_lo, exec_lo, s18
	s_mov_b32 s18, exec_lo
	v_cmpx_lt_u64_e64 s[6:7], v[24:25]
	s_cbranch_execz .LBB353_1718
; %bb.1711:                             ;   in Loop: Header=BB353_1059 Depth=1
	v_cmp_ne_u32_sdwa s4, v25, v80 src0_sel:BYTE_3 src1_sel:DWORD
	v_bfrev_b32_e32 v36, 1
	s_and_saveexec_b32 s19, s4
	s_cbranch_execz .LBB353_1717
; %bb.1712:                             ;   in Loop: Header=BB353_1059 Depth=1
	v_bfe_u32 v26, v25, 24, 7
	v_mov_b32_e32 v36, 0x7f800001
	s_mov_b32 s20, exec_lo
	v_cmpx_ne_u32_e32 0x7f, v26
	s_cbranch_execz .LBB353_1716
; %bb.1713:                             ;   in Loop: Header=BB353_1059 Depth=1
	v_mov_b32_e32 v13, 7
	v_lshrrev_b32_e32 v24, 3, v26
	v_cmp_gt_u32_e64 s4, 8, v26
	v_and_b32_sdwa v13, v25, v13 dst_sel:DWORD dst_unused:UNUSED_PAD src0_sel:BYTE_3 src1_sel:DWORD
	v_mov_b32_e32 v27, v14
	v_mov_b32_e32 v26, v13
	s_and_saveexec_b32 s21, s4
; %bb.1714:                             ;   in Loop: Header=BB353_1059 Depth=1
	v_ffbh_u32_e32 v24, v13
	v_min_u32_e32 v24, 32, v24
	v_subrev_nc_u32_e32 v26, 28, v24
	v_sub_nc_u32_e32 v24, 29, v24
	v_lshlrev_b64 v[26:27], v26, v[13:14]
	v_and_b32_e32 v26, 7, v26
; %bb.1715:                             ;   in Loop: Header=BB353_1059 Depth=1
	s_or_b32 exec_lo, exec_lo, s21
	v_mov_b32_e32 v13, 24
	v_lshl_add_u32 v24, v24, 23, 0x3c000000
	v_lshlrev_b32_sdwa v13, v13, v25 dst_sel:DWORD dst_unused:UNUSED_PAD src0_sel:DWORD src1_sel:BYTE_3
	v_lshlrev_b32_e32 v25, 20, v26
	v_and_b32_e32 v13, 0x80000000, v13
	v_or3_b32 v36, v25, v13, v24
.LBB353_1716:                           ;   in Loop: Header=BB353_1059 Depth=1
	s_or_b32 exec_lo, exec_lo, s20
.LBB353_1717:                           ;   in Loop: Header=BB353_1059 Depth=1
	s_or_b32 exec_lo, exec_lo, s19
.LBB353_1718:                           ;   in Loop: Header=BB353_1059 Depth=1
	s_or_b32 exec_lo, exec_lo, s18
	v_mul_f32_e32 v13, v72, v34
	v_mul_f32_e32 v12, v72, v12
	v_bfe_u32 v24, v13, 16, 1
	v_or_b32_e32 v25, 0x400000, v13
	v_cmp_u_f32_e64 s4, v13, v13
	v_add3_u32 v24, v24, v13, 0x7fff
	v_cndmask_b32_e64 v13, v24, v25, s4
	v_lshrrev_b32_e32 v52, 16, v13
	v_mul_f32_e32 v13, v72, v39
	v_bfe_u32 v24, v13, 16, 1
	v_or_b32_e32 v25, 0x400000, v13
	v_cmp_u_f32_e64 s4, v13, v13
	v_add3_u32 v24, v24, v13, 0x7fff
	v_cndmask_b32_e64 v13, v24, v25, s4
	v_lshrrev_b32_e32 v53, 16, v13
	;; [unrolled: 7-line block ×4, first 2 shown]
	v_mul_f32_e32 v13, v72, v21
	v_bfe_u32 v21, v13, 16, 1
	v_or_b32_e32 v24, 0x400000, v13
	v_cmp_u_f32_e64 s4, v13, v13
	v_add3_u32 v21, v21, v13, 0x7fff
	v_cndmask_b32_e64 v13, v21, v24, s4
	v_or_b32_e32 v21, 0x400000, v12
	v_cmp_u_f32_e64 s4, v12, v12
	v_lshrrev_b32_e32 v65, 16, v13
	v_bfe_u32 v13, v12, 16, 1
	v_add3_u32 v13, v13, v12, 0x7fff
	v_cndmask_b32_e64 v12, v13, v21, s4
	v_lshrrev_b32_e32 v66, 16, v12
	v_mul_f32_e32 v12, v72, v38
	v_bfe_u32 v13, v12, 16, 1
	v_or_b32_e32 v21, 0x400000, v12
	v_cmp_u_f32_e64 s4, v12, v12
	v_add3_u32 v13, v13, v12, 0x7fff
	v_cndmask_b32_e64 v12, v13, v21, s4
	v_lshrrev_b32_e32 v64, 16, v12
	v_mul_f32_e32 v12, v72, v36
	v_bfe_u32 v13, v12, 16, 1
	v_or_b32_e32 v21, 0x400000, v12
	v_cmp_u_f32_e64 s4, v12, v12
	v_add3_u32 v13, v13, v12, 0x7fff
	v_cndmask_b32_e64 v12, v13, v21, s4
	v_lshrrev_b32_e32 v67, 16, v12
	s_and_saveexec_b32 s18, vcc_lo
	s_cbranch_execz .LBB353_1720
; %bb.1719:                             ;   in Loop: Header=BB353_1059 Depth=1
	v_cmp_lt_i32_e64 s4, v74, v32
	v_cndmask_b32_e64 v66, 0, v66, s4
	v_cmp_lt_i32_e64 s4, v89, v32
	v_cndmask_b32_e64 v65, 0, v65, s4
	;; [unrolled: 2-line block ×8, first 2 shown]
.LBB353_1720:                           ;   in Loop: Header=BB353_1059 Depth=1
	s_or_b32 exec_lo, exec_lo, s18
	flat_load_dwordx2 v[24:25], v[19:20] offset:512
	v_mov_b32_e32 v12, 0
	v_mov_b32_e32 v28, 0
	s_waitcnt vmcnt(0) lgkmcnt(0)
	v_cmp_ne_u16_sdwa s4, v24, v14 src0_sel:BYTE_0 src1_sel:DWORD
	s_and_saveexec_b32 s18, s4
	s_cbranch_execz .LBB353_1728
; %bb.1721:                             ;   in Loop: Header=BB353_1059 Depth=1
	v_cmp_ne_u16_sdwa s4, v24, v80 src0_sel:BYTE_0 src1_sel:DWORD
	v_bfrev_b32_e32 v28, 1
	s_and_saveexec_b32 s19, s4
	s_cbranch_execz .LBB353_1727
; %bb.1722:                             ;   in Loop: Header=BB353_1059 Depth=1
	v_and_b32_e32 v21, 0x7f, v24
	v_mov_b32_e32 v28, 0x7f800001
	s_mov_b32 s20, exec_lo
	v_cmpx_ne_u32_e32 0x7f, v21
	s_cbranch_execz .LBB353_1726
; %bb.1723:                             ;   in Loop: Header=BB353_1059 Depth=1
	v_mov_b32_e32 v27, v25
	v_lshrrev_b32_e32 v13, 3, v21
	v_mov_b32_e32 v26, v24
	s_mov_b32 s21, exec_lo
	v_cmpx_gt_u32_e32 8, v21
; %bb.1724:                             ;   in Loop: Header=BB353_1059 Depth=1
	v_and_b32_e32 v13, 7, v24
	v_ffbh_u32_e32 v13, v13
	v_min_u32_e32 v13, 32, v13
	v_subrev_nc_u32_e32 v21, 28, v13
	v_sub_nc_u32_e32 v13, 29, v13
	v_lshlrev_b64 v[26:27], v21, v[24:25]
; %bb.1725:                             ;   in Loop: Header=BB353_1059 Depth=1
	s_or_b32 exec_lo, exec_lo, s21
	v_lshlrev_b32_e32 v21, 20, v26
	v_lshlrev_b32_e32 v26, 24, v24
	v_lshl_add_u32 v13, v13, 23, 0x3c000000
	v_and_b32_e32 v21, 0x700000, v21
	v_and_b32_e32 v26, 0x80000000, v26
	v_or3_b32 v28, v21, v26, v13
.LBB353_1726:                           ;   in Loop: Header=BB353_1059 Depth=1
	s_or_b32 exec_lo, exec_lo, s20
.LBB353_1727:                           ;   in Loop: Header=BB353_1059 Depth=1
	s_or_b32 exec_lo, exec_lo, s19
.LBB353_1728:                           ;   in Loop: Header=BB353_1059 Depth=1
	s_or_b32 exec_lo, exec_lo, s18
	v_cmp_ne_u16_sdwa s4, v24, v14 src0_sel:BYTE_1 src1_sel:DWORD
	s_and_saveexec_b32 s18, s4
	s_cbranch_execz .LBB353_1736
; %bb.1729:                             ;   in Loop: Header=BB353_1059 Depth=1
	v_cmp_ne_u16_sdwa s4, v24, v80 src0_sel:BYTE_1 src1_sel:DWORD
	v_bfrev_b32_e32 v12, 1
	s_and_saveexec_b32 s19, s4
	s_cbranch_execz .LBB353_1735
; %bb.1730:                             ;   in Loop: Header=BB353_1059 Depth=1
	v_mov_b32_e32 v12, 0xffff
	s_mov_b32 s20, exec_lo
	v_and_b32_sdwa v13, v12, v24 dst_sel:DWORD dst_unused:UNUSED_PAD src0_sel:DWORD src1_sel:BYTE_1
	v_mov_b32_e32 v12, 0x7f800001
	v_and_b32_e32 v21, 0x7f, v13
	v_cmpx_ne_u32_e32 0x7f, v21
	s_cbranch_execz .LBB353_1734
; %bb.1731:                             ;   in Loop: Header=BB353_1059 Depth=1
	v_and_b32_e32 v13, 7, v13
	v_mov_b32_e32 v27, v14
	v_lshrrev_b32_e32 v12, 3, v21
	s_mov_b32 s21, exec_lo
	v_mov_b32_e32 v26, v13
	v_cmpx_gt_u32_e32 8, v21
; %bb.1732:                             ;   in Loop: Header=BB353_1059 Depth=1
	v_ffbh_u32_e32 v12, v13
	v_min_u32_e32 v12, 32, v12
	v_subrev_nc_u32_e32 v21, 28, v12
	v_sub_nc_u32_e32 v12, 29, v12
	v_lshlrev_b64 v[26:27], v21, v[13:14]
	v_and_b32_e32 v26, 7, v26
; %bb.1733:                             ;   in Loop: Header=BB353_1059 Depth=1
	s_or_b32 exec_lo, exec_lo, s21
	v_lshlrev_b32_e32 v13, 16, v24
	v_lshlrev_b32_e32 v21, 20, v26
	v_lshl_add_u32 v12, v12, 23, 0x3c000000
	v_and_b32_e32 v13, 0x80000000, v13
	v_or3_b32 v12, v21, v13, v12
.LBB353_1734:                           ;   in Loop: Header=BB353_1059 Depth=1
	s_or_b32 exec_lo, exec_lo, s20
.LBB353_1735:                           ;   in Loop: Header=BB353_1059 Depth=1
	s_or_b32 exec_lo, exec_lo, s19
.LBB353_1736:                           ;   in Loop: Header=BB353_1059 Depth=1
	s_or_b32 exec_lo, exec_lo, s18
	v_and_b32_sdwa v13, v24, v82 dst_sel:DWORD dst_unused:UNUSED_PAD src0_sel:WORD_1 src1_sel:DWORD
	v_mov_b32_e32 v35, 0
	v_mov_b32_e32 v21, 0
	s_mov_b32 s18, exec_lo
	v_cmpx_ne_u16_e32 0, v13
	s_cbranch_execz .LBB353_1744
; %bb.1737:                             ;   in Loop: Header=BB353_1059 Depth=1
	v_bfrev_b32_e32 v21, 1
	s_mov_b32 s19, exec_lo
	v_cmpx_ne_u16_e32 0x80, v13
	s_cbranch_execz .LBB353_1743
; %bb.1738:                             ;   in Loop: Header=BB353_1059 Depth=1
	v_bfe_u32 v26, v24, 16, 7
	v_mov_b32_e32 v21, 0x7f800001
	s_mov_b32 s20, exec_lo
	v_cmpx_ne_u32_e32 0x7f, v26
	s_cbranch_execz .LBB353_1742
; %bb.1739:                             ;   in Loop: Header=BB353_1059 Depth=1
	v_mov_b32_e32 v13, 7
	v_lshrrev_b32_e32 v21, 3, v26
	v_cmp_gt_u32_e64 s4, 8, v26
	v_and_b32_sdwa v13, v24, v13 dst_sel:DWORD dst_unused:UNUSED_PAD src0_sel:WORD_1 src1_sel:DWORD
	v_mov_b32_e32 v27, v14
	v_mov_b32_e32 v26, v13
	s_and_saveexec_b32 s21, s4
; %bb.1740:                             ;   in Loop: Header=BB353_1059 Depth=1
	v_ffbh_u32_e32 v21, v13
	v_min_u32_e32 v21, 32, v21
	v_subrev_nc_u32_e32 v26, 28, v21
	v_sub_nc_u32_e32 v21, 29, v21
	v_lshlrev_b64 v[26:27], v26, v[13:14]
	v_and_b32_e32 v26, 7, v26
; %bb.1741:                             ;   in Loop: Header=BB353_1059 Depth=1
	s_or_b32 exec_lo, exec_lo, s21
	v_mov_b32_e32 v13, 24
	v_lshlrev_b32_e32 v26, 20, v26
	v_lshl_add_u32 v21, v21, 23, 0x3c000000
	v_lshlrev_b32_sdwa v13, v13, v24 dst_sel:DWORD dst_unused:UNUSED_PAD src0_sel:DWORD src1_sel:WORD_1
	v_and_b32_e32 v13, 0x80000000, v13
	v_or3_b32 v21, v26, v13, v21
.LBB353_1742:                           ;   in Loop: Header=BB353_1059 Depth=1
	s_or_b32 exec_lo, exec_lo, s20
.LBB353_1743:                           ;   in Loop: Header=BB353_1059 Depth=1
	s_or_b32 exec_lo, exec_lo, s19
.LBB353_1744:                           ;   in Loop: Header=BB353_1059 Depth=1
	s_or_b32 exec_lo, exec_lo, s18
	s_mov_b32 s18, exec_lo
	v_cmpx_lt_u32_e32 0xffffff, v24
	s_cbranch_execz .LBB353_1752
; %bb.1745:                             ;   in Loop: Header=BB353_1059 Depth=1
	v_cmp_ne_u32_sdwa s4, v24, v80 src0_sel:BYTE_3 src1_sel:DWORD
	v_bfrev_b32_e32 v35, 1
	s_and_saveexec_b32 s19, s4
	s_cbranch_execz .LBB353_1751
; %bb.1746:                             ;   in Loop: Header=BB353_1059 Depth=1
	v_bfe_u32 v26, v24, 24, 7
	v_mov_b32_e32 v35, 0x7f800001
	s_mov_b32 s20, exec_lo
	v_cmpx_ne_u32_e32 0x7f, v26
	s_cbranch_execz .LBB353_1750
; %bb.1747:                             ;   in Loop: Header=BB353_1059 Depth=1
	v_mov_b32_e32 v13, 7
	v_lshrrev_b32_e32 v34, 3, v26
	v_cmp_gt_u32_e64 s4, 8, v26
	v_and_b32_sdwa v13, v24, v13 dst_sel:DWORD dst_unused:UNUSED_PAD src0_sel:BYTE_3 src1_sel:DWORD
	v_mov_b32_e32 v27, v14
	v_mov_b32_e32 v26, v13
	s_and_saveexec_b32 s21, s4
; %bb.1748:                             ;   in Loop: Header=BB353_1059 Depth=1
	v_ffbh_u32_e32 v26, v13
	v_min_u32_e32 v34, 32, v26
	v_subrev_nc_u32_e32 v26, 28, v34
	v_sub_nc_u32_e32 v34, 29, v34
	v_lshlrev_b64 v[26:27], v26, v[13:14]
	v_and_b32_e32 v26, 7, v26
; %bb.1749:                             ;   in Loop: Header=BB353_1059 Depth=1
	s_or_b32 exec_lo, exec_lo, s21
	v_mov_b32_e32 v13, 24
	v_lshlrev_b32_e32 v26, 20, v26
	v_lshl_add_u32 v27, v34, 23, 0x3c000000
	v_lshlrev_b32_sdwa v13, v13, v24 dst_sel:DWORD dst_unused:UNUSED_PAD src0_sel:DWORD src1_sel:BYTE_3
	v_and_b32_e32 v13, 0x80000000, v13
	v_or3_b32 v35, v26, v13, v27
.LBB353_1750:                           ;   in Loop: Header=BB353_1059 Depth=1
	s_or_b32 exec_lo, exec_lo, s20
.LBB353_1751:                           ;   in Loop: Header=BB353_1059 Depth=1
	s_or_b32 exec_lo, exec_lo, s19
.LBB353_1752:                           ;   in Loop: Header=BB353_1059 Depth=1
	s_or_b32 exec_lo, exec_lo, s18
	v_mov_b32_e32 v13, v25
	v_cmp_ne_u16_sdwa s4, v25, v14 src0_sel:BYTE_0 src1_sel:DWORD
	v_mov_b32_e32 v34, 0
	v_mov_b32_e32 v39, 0
	s_and_saveexec_b32 s18, s4
	s_cbranch_execz .LBB353_1760
; %bb.1753:                             ;   in Loop: Header=BB353_1059 Depth=1
	v_cmp_ne_u16_sdwa s4, v25, v80 src0_sel:BYTE_0 src1_sel:DWORD
	v_bfrev_b32_e32 v39, 1
	s_and_saveexec_b32 s19, s4
	s_cbranch_execz .LBB353_1759
; %bb.1754:                             ;   in Loop: Header=BB353_1059 Depth=1
	v_and_b32_e32 v26, 0x7f, v25
	v_mov_b32_e32 v39, 0x7f800001
	s_mov_b32 s20, exec_lo
	v_cmpx_ne_u32_e32 0x7f, v26
	s_cbranch_execz .LBB353_1758
; %bb.1755:                             ;   in Loop: Header=BB353_1059 Depth=1
	v_lshrrev_b32_e32 v36, 3, v26
	v_cmp_gt_u32_e64 s4, 8, v26
	v_mov_b32_e32 v27, v14
	v_mov_b32_e32 v26, v13
	s_and_saveexec_b32 s21, s4
; %bb.1756:                             ;   in Loop: Header=BB353_1059 Depth=1
	v_and_b32_e32 v26, 7, v25
	v_ffbh_u32_e32 v26, v26
	v_min_u32_e32 v36, 32, v26
	v_subrev_nc_u32_e32 v26, 28, v36
	v_sub_nc_u32_e32 v36, 29, v36
	v_lshlrev_b64 v[26:27], v26, v[13:14]
; %bb.1757:                             ;   in Loop: Header=BB353_1059 Depth=1
	s_or_b32 exec_lo, exec_lo, s21
	v_lshlrev_b32_e32 v26, 20, v26
	v_lshlrev_b32_e32 v27, 24, v13
	v_lshl_add_u32 v36, v36, 23, 0x3c000000
	v_and_b32_e32 v26, 0x700000, v26
	v_and_b32_e32 v27, 0x80000000, v27
	v_or3_b32 v39, v26, v27, v36
.LBB353_1758:                           ;   in Loop: Header=BB353_1059 Depth=1
	s_or_b32 exec_lo, exec_lo, s20
.LBB353_1759:                           ;   in Loop: Header=BB353_1059 Depth=1
	s_or_b32 exec_lo, exec_lo, s19
.LBB353_1760:                           ;   in Loop: Header=BB353_1059 Depth=1
	s_or_b32 exec_lo, exec_lo, s18
	v_cmp_ne_u16_sdwa s4, v13, v14 src0_sel:BYTE_1 src1_sel:DWORD
	s_and_saveexec_b32 s18, s4
	s_cbranch_execz .LBB353_1768
; %bb.1761:                             ;   in Loop: Header=BB353_1059 Depth=1
	v_cmp_ne_u16_sdwa s4, v13, v80 src0_sel:BYTE_1 src1_sel:DWORD
	v_bfrev_b32_e32 v34, 1
	s_and_saveexec_b32 s19, s4
	s_cbranch_execz .LBB353_1767
; %bb.1762:                             ;   in Loop: Header=BB353_1059 Depth=1
	v_mov_b32_e32 v26, 0xffff
	v_mov_b32_e32 v34, 0x7f800001
	s_mov_b32 s20, exec_lo
	v_and_b32_sdwa v26, v26, v13 dst_sel:DWORD dst_unused:UNUSED_PAD src0_sel:DWORD src1_sel:BYTE_1
	v_and_b32_e32 v36, 0x7f, v26
	v_cmpx_ne_u32_e32 0x7f, v36
	s_cbranch_execz .LBB353_1766
; %bb.1763:                             ;   in Loop: Header=BB353_1059 Depth=1
	v_and_b32_e32 v26, 7, v26
	v_mov_b32_e32 v27, v14
	v_lshrrev_b32_e32 v34, 3, v36
	s_mov_b32 s21, exec_lo
	v_cmpx_gt_u32_e32 8, v36
; %bb.1764:                             ;   in Loop: Header=BB353_1059 Depth=1
	v_ffbh_u32_e32 v34, v26
	v_min_u32_e32 v34, 32, v34
	v_subrev_nc_u32_e32 v36, 28, v34
	v_sub_nc_u32_e32 v34, 29, v34
	v_lshlrev_b64 v[26:27], v36, v[26:27]
	v_and_b32_e32 v26, 7, v26
; %bb.1765:                             ;   in Loop: Header=BB353_1059 Depth=1
	s_or_b32 exec_lo, exec_lo, s21
	v_lshlrev_b32_e32 v13, 16, v13
	v_lshlrev_b32_e32 v26, 20, v26
	v_lshl_add_u32 v27, v34, 23, 0x3c000000
	v_and_b32_e32 v13, 0x80000000, v13
	v_or3_b32 v34, v26, v13, v27
.LBB353_1766:                           ;   in Loop: Header=BB353_1059 Depth=1
	s_or_b32 exec_lo, exec_lo, s20
.LBB353_1767:                           ;   in Loop: Header=BB353_1059 Depth=1
	s_or_b32 exec_lo, exec_lo, s19
.LBB353_1768:                           ;   in Loop: Header=BB353_1059 Depth=1
	s_or_b32 exec_lo, exec_lo, s18
	v_and_b32_sdwa v13, v25, v82 dst_sel:DWORD dst_unused:UNUSED_PAD src0_sel:WORD_1 src1_sel:DWORD
	v_mov_b32_e32 v36, 0
	v_mov_b32_e32 v38, 0
	s_mov_b32 s18, exec_lo
	v_cmpx_ne_u16_e32 0, v13
	s_cbranch_execz .LBB353_1776
; %bb.1769:                             ;   in Loop: Header=BB353_1059 Depth=1
	v_bfrev_b32_e32 v38, 1
	s_mov_b32 s19, exec_lo
	v_cmpx_ne_u16_e32 0x80, v13
	s_cbranch_execz .LBB353_1775
; %bb.1770:                             ;   in Loop: Header=BB353_1059 Depth=1
	v_bfe_u32 v26, v25, 16, 7
	v_mov_b32_e32 v38, 0x7f800001
	s_mov_b32 s20, exec_lo
	v_cmpx_ne_u32_e32 0x7f, v26
	s_cbranch_execz .LBB353_1774
; %bb.1771:                             ;   in Loop: Header=BB353_1059 Depth=1
	v_mov_b32_e32 v13, 7
	v_lshrrev_b32_e32 v37, 3, v26
	v_cmp_gt_u32_e64 s4, 8, v26
	v_and_b32_sdwa v13, v25, v13 dst_sel:DWORD dst_unused:UNUSED_PAD src0_sel:WORD_1 src1_sel:DWORD
	v_mov_b32_e32 v27, v14
	v_mov_b32_e32 v26, v13
	s_and_saveexec_b32 s21, s4
; %bb.1772:                             ;   in Loop: Header=BB353_1059 Depth=1
	v_ffbh_u32_e32 v26, v13
	v_min_u32_e32 v37, 32, v26
	v_subrev_nc_u32_e32 v26, 28, v37
	v_sub_nc_u32_e32 v37, 29, v37
	v_lshlrev_b64 v[26:27], v26, v[13:14]
	v_and_b32_e32 v26, 7, v26
; %bb.1773:                             ;   in Loop: Header=BB353_1059 Depth=1
	s_or_b32 exec_lo, exec_lo, s21
	v_mov_b32_e32 v13, 24
	v_lshlrev_b32_e32 v26, 20, v26
	v_lshl_add_u32 v27, v37, 23, 0x3c000000
	v_lshlrev_b32_sdwa v13, v13, v25 dst_sel:DWORD dst_unused:UNUSED_PAD src0_sel:DWORD src1_sel:WORD_1
	v_and_b32_e32 v13, 0x80000000, v13
	v_or3_b32 v38, v26, v13, v27
.LBB353_1774:                           ;   in Loop: Header=BB353_1059 Depth=1
	s_or_b32 exec_lo, exec_lo, s20
.LBB353_1775:                           ;   in Loop: Header=BB353_1059 Depth=1
	s_or_b32 exec_lo, exec_lo, s19
.LBB353_1776:                           ;   in Loop: Header=BB353_1059 Depth=1
	s_or_b32 exec_lo, exec_lo, s18
	s_mov_b32 s18, exec_lo
	v_cmpx_lt_u64_e64 s[6:7], v[24:25]
	s_cbranch_execz .LBB353_1784
; %bb.1777:                             ;   in Loop: Header=BB353_1059 Depth=1
	v_cmp_ne_u32_sdwa s4, v25, v80 src0_sel:BYTE_3 src1_sel:DWORD
	v_bfrev_b32_e32 v36, 1
	s_and_saveexec_b32 s19, s4
	s_cbranch_execz .LBB353_1783
; %bb.1778:                             ;   in Loop: Header=BB353_1059 Depth=1
	v_bfe_u32 v26, v25, 24, 7
	v_mov_b32_e32 v36, 0x7f800001
	s_mov_b32 s20, exec_lo
	v_cmpx_ne_u32_e32 0x7f, v26
	s_cbranch_execz .LBB353_1782
; %bb.1779:                             ;   in Loop: Header=BB353_1059 Depth=1
	v_mov_b32_e32 v13, 7
	v_lshrrev_b32_e32 v24, 3, v26
	v_cmp_gt_u32_e64 s4, 8, v26
	v_and_b32_sdwa v13, v25, v13 dst_sel:DWORD dst_unused:UNUSED_PAD src0_sel:BYTE_3 src1_sel:DWORD
	v_mov_b32_e32 v27, v14
	v_mov_b32_e32 v26, v13
	s_and_saveexec_b32 s21, s4
; %bb.1780:                             ;   in Loop: Header=BB353_1059 Depth=1
	v_ffbh_u32_e32 v24, v13
	v_min_u32_e32 v24, 32, v24
	v_subrev_nc_u32_e32 v26, 28, v24
	v_sub_nc_u32_e32 v24, 29, v24
	v_lshlrev_b64 v[26:27], v26, v[13:14]
	v_and_b32_e32 v26, 7, v26
; %bb.1781:                             ;   in Loop: Header=BB353_1059 Depth=1
	s_or_b32 exec_lo, exec_lo, s21
	v_mov_b32_e32 v13, 24
	v_lshl_add_u32 v24, v24, 23, 0x3c000000
	v_lshlrev_b32_sdwa v13, v13, v25 dst_sel:DWORD dst_unused:UNUSED_PAD src0_sel:DWORD src1_sel:BYTE_3
	v_lshlrev_b32_e32 v25, 20, v26
	v_and_b32_e32 v13, 0x80000000, v13
	v_or3_b32 v36, v25, v13, v24
.LBB353_1782:                           ;   in Loop: Header=BB353_1059 Depth=1
	s_or_b32 exec_lo, exec_lo, s20
.LBB353_1783:                           ;   in Loop: Header=BB353_1059 Depth=1
	s_or_b32 exec_lo, exec_lo, s19
.LBB353_1784:                           ;   in Loop: Header=BB353_1059 Depth=1
	s_or_b32 exec_lo, exec_lo, s18
	v_mul_f32_e32 v13, v72, v34
	v_mul_f32_e32 v12, v72, v12
	v_bfe_u32 v24, v13, 16, 1
	v_or_b32_e32 v25, 0x400000, v13
	v_cmp_u_f32_e64 s4, v13, v13
	v_add3_u32 v24, v24, v13, 0x7fff
	v_cndmask_b32_e64 v13, v24, v25, s4
	v_lshrrev_b32_e32 v68, 16, v13
	v_mul_f32_e32 v13, v72, v39
	v_bfe_u32 v24, v13, 16, 1
	v_or_b32_e32 v25, 0x400000, v13
	v_cmp_u_f32_e64 s4, v13, v13
	v_add3_u32 v24, v24, v13, 0x7fff
	v_cndmask_b32_e64 v13, v24, v25, s4
	v_lshrrev_b32_e32 v69, 16, v13
	;; [unrolled: 7-line block ×3, first 2 shown]
	v_mul_f32_e32 v13, v72, v21
	v_bfe_u32 v21, v13, 16, 1
	v_or_b32_e32 v24, 0x400000, v13
	v_cmp_u_f32_e64 s4, v13, v13
	v_add3_u32 v21, v21, v13, 0x7fff
	v_cndmask_b32_e64 v13, v21, v24, s4
	v_or_b32_e32 v24, 0x400000, v12
	v_cmp_u_f32_e64 s4, v12, v12
	v_lshrrev_b32_e32 v21, 16, v13
	v_bfe_u32 v13, v12, 16, 1
	v_add3_u32 v13, v13, v12, 0x7fff
	v_cndmask_b32_e64 v12, v13, v24, s4
	v_mul_f32_e32 v13, v72, v28
	v_lshrrev_b32_e32 v12, 16, v12
	v_bfe_u32 v24, v13, 16, 1
	v_or_b32_e32 v25, 0x400000, v13
	v_cmp_u_f32_e64 s4, v13, v13
	v_add3_u32 v24, v24, v13, 0x7fff
	v_cndmask_b32_e64 v13, v24, v25, s4
	v_lshrrev_b32_e32 v39, 16, v13
	v_mul_f32_e32 v13, v72, v38
	v_bfe_u32 v24, v13, 16, 1
	v_or_b32_e32 v25, 0x400000, v13
	v_cmp_u_f32_e64 s4, v13, v13
	v_add3_u32 v24, v24, v13, 0x7fff
	v_cndmask_b32_e64 v13, v24, v25, s4
	v_lshrrev_b32_e32 v28, 16, v13
	v_mul_f32_e32 v13, v72, v36
	v_bfe_u32 v24, v13, 16, 1
	v_or_b32_e32 v25, 0x400000, v13
	v_cmp_u_f32_e64 s4, v13, v13
	v_add3_u32 v24, v24, v13, 0x7fff
	v_cndmask_b32_e64 v13, v24, v25, s4
	v_lshrrev_b32_e32 v35, 16, v13
	s_and_saveexec_b32 s18, vcc_lo
	s_cbranch_execz .LBB353_1786
; %bb.1785:                             ;   in Loop: Header=BB353_1059 Depth=1
	v_cmp_lt_i32_e64 s4, v74, v32
	v_cndmask_b32_e64 v39, 0, v39, s4
	v_cmp_lt_i32_e64 s4, v89, v32
	v_cndmask_b32_e64 v12, 0, v12, s4
	;; [unrolled: 2-line block ×8, first 2 shown]
.LBB353_1786:                           ;   in Loop: Header=BB353_1059 Depth=1
	s_or_b32 exec_lo, exec_lo, s18
	flat_load_dwordx2 v[24:25], v[19:20] offset:768
	v_mov_b32_e32 v38, 0
	v_mov_b32_e32 v36, 0
	s_waitcnt vmcnt(0) lgkmcnt(0)
	v_cmp_ne_u16_sdwa s4, v24, v14 src0_sel:BYTE_0 src1_sel:DWORD
	s_and_saveexec_b32 s18, s4
	s_cbranch_execz .LBB353_1794
; %bb.1787:                             ;   in Loop: Header=BB353_1059 Depth=1
	v_cmp_ne_u16_sdwa s4, v24, v80 src0_sel:BYTE_0 src1_sel:DWORD
	v_bfrev_b32_e32 v36, 1
	s_and_saveexec_b32 s19, s4
	s_cbranch_execz .LBB353_1793
; %bb.1788:                             ;   in Loop: Header=BB353_1059 Depth=1
	v_and_b32_e32 v26, 0x7f, v24
	v_mov_b32_e32 v36, 0x7f800001
	s_mov_b32 s20, exec_lo
	v_cmpx_ne_u32_e32 0x7f, v26
	s_cbranch_execz .LBB353_1792
; %bb.1789:                             ;   in Loop: Header=BB353_1059 Depth=1
	v_lshrrev_b32_e32 v13, 3, v26
	v_cmp_gt_u32_e64 s4, 8, v26
	v_mov_b32_e32 v27, v25
	v_mov_b32_e32 v26, v24
	s_and_saveexec_b32 s21, s4
; %bb.1790:                             ;   in Loop: Header=BB353_1059 Depth=1
	v_and_b32_e32 v13, 7, v24
	v_ffbh_u32_e32 v13, v13
	v_min_u32_e32 v13, 32, v13
	v_subrev_nc_u32_e32 v26, 28, v13
	v_sub_nc_u32_e32 v13, 29, v13
	v_lshlrev_b64 v[26:27], v26, v[24:25]
; %bb.1791:                             ;   in Loop: Header=BB353_1059 Depth=1
	s_or_b32 exec_lo, exec_lo, s21
	v_lshlrev_b32_e32 v26, 20, v26
	v_lshlrev_b32_e32 v27, 24, v24
	v_lshl_add_u32 v13, v13, 23, 0x3c000000
	v_and_b32_e32 v26, 0x700000, v26
	v_and_b32_e32 v27, 0x80000000, v27
	v_or3_b32 v36, v26, v27, v13
.LBB353_1792:                           ;   in Loop: Header=BB353_1059 Depth=1
	s_or_b32 exec_lo, exec_lo, s20
.LBB353_1793:                           ;   in Loop: Header=BB353_1059 Depth=1
	s_or_b32 exec_lo, exec_lo, s19
.LBB353_1794:                           ;   in Loop: Header=BB353_1059 Depth=1
	s_or_b32 exec_lo, exec_lo, s18
	v_cmp_ne_u16_sdwa s4, v24, v14 src0_sel:BYTE_1 src1_sel:DWORD
	s_and_saveexec_b32 s18, s4
	s_cbranch_execz .LBB353_1802
; %bb.1795:                             ;   in Loop: Header=BB353_1059 Depth=1
	v_cmp_ne_u16_sdwa s4, v24, v80 src0_sel:BYTE_1 src1_sel:DWORD
	v_bfrev_b32_e32 v38, 1
	s_and_saveexec_b32 s19, s4
	s_cbranch_execz .LBB353_1801
; %bb.1796:                             ;   in Loop: Header=BB353_1059 Depth=1
	v_mov_b32_e32 v13, 0xffff
	v_mov_b32_e32 v38, 0x7f800001
	s_mov_b32 s20, exec_lo
	v_and_b32_sdwa v13, v13, v24 dst_sel:DWORD dst_unused:UNUSED_PAD src0_sel:DWORD src1_sel:BYTE_1
	v_and_b32_e32 v26, 0x7f, v13
	v_cmpx_ne_u32_e32 0x7f, v26
	s_cbranch_execz .LBB353_1800
; %bb.1797:                             ;   in Loop: Header=BB353_1059 Depth=1
	v_and_b32_e32 v13, 7, v13
	v_lshrrev_b32_e32 v34, 3, v26
	v_cmp_gt_u32_e64 s4, 8, v26
	v_mov_b32_e32 v27, v14
	v_mov_b32_e32 v26, v13
	s_and_saveexec_b32 s21, s4
; %bb.1798:                             ;   in Loop: Header=BB353_1059 Depth=1
	v_ffbh_u32_e32 v26, v13
	v_min_u32_e32 v34, 32, v26
	v_subrev_nc_u32_e32 v26, 28, v34
	v_sub_nc_u32_e32 v34, 29, v34
	v_lshlrev_b64 v[26:27], v26, v[13:14]
	v_and_b32_e32 v26, 7, v26
; %bb.1799:                             ;   in Loop: Header=BB353_1059 Depth=1
	s_or_b32 exec_lo, exec_lo, s21
	v_lshlrev_b32_e32 v13, 16, v24
	v_lshlrev_b32_e32 v26, 20, v26
	v_lshl_add_u32 v27, v34, 23, 0x3c000000
	v_and_b32_e32 v13, 0x80000000, v13
	v_or3_b32 v38, v26, v13, v27
.LBB353_1800:                           ;   in Loop: Header=BB353_1059 Depth=1
	s_or_b32 exec_lo, exec_lo, s20
.LBB353_1801:                           ;   in Loop: Header=BB353_1059 Depth=1
	s_or_b32 exec_lo, exec_lo, s19
.LBB353_1802:                           ;   in Loop: Header=BB353_1059 Depth=1
	s_or_b32 exec_lo, exec_lo, s18
	v_and_b32_sdwa v13, v24, v82 dst_sel:DWORD dst_unused:UNUSED_PAD src0_sel:WORD_1 src1_sel:DWORD
	v_mov_b32_e32 v83, 0
	v_mov_b32_e32 v81, 0
	s_mov_b32 s18, exec_lo
	v_cmpx_ne_u16_e32 0, v13
	s_cbranch_execz .LBB353_1810
; %bb.1803:                             ;   in Loop: Header=BB353_1059 Depth=1
	v_bfrev_b32_e32 v81, 1
	s_mov_b32 s19, exec_lo
	v_cmpx_ne_u16_e32 0x80, v13
	s_cbranch_execz .LBB353_1809
; %bb.1804:                             ;   in Loop: Header=BB353_1059 Depth=1
	v_bfe_u32 v26, v24, 16, 7
	v_mov_b32_e32 v81, 0x7f800001
	s_mov_b32 s20, exec_lo
	v_cmpx_ne_u32_e32 0x7f, v26
	s_cbranch_execz .LBB353_1808
; %bb.1805:                             ;   in Loop: Header=BB353_1059 Depth=1
	v_mov_b32_e32 v13, 7
	v_lshrrev_b32_e32 v34, 3, v26
	v_cmp_gt_u32_e64 s4, 8, v26
	v_and_b32_sdwa v13, v24, v13 dst_sel:DWORD dst_unused:UNUSED_PAD src0_sel:WORD_1 src1_sel:DWORD
	v_mov_b32_e32 v27, v14
	v_mov_b32_e32 v26, v13
	s_and_saveexec_b32 s21, s4
; %bb.1806:                             ;   in Loop: Header=BB353_1059 Depth=1
	v_ffbh_u32_e32 v26, v13
	v_min_u32_e32 v34, 32, v26
	v_subrev_nc_u32_e32 v26, 28, v34
	v_sub_nc_u32_e32 v34, 29, v34
	v_lshlrev_b64 v[26:27], v26, v[13:14]
	v_and_b32_e32 v26, 7, v26
; %bb.1807:                             ;   in Loop: Header=BB353_1059 Depth=1
	s_or_b32 exec_lo, exec_lo, s21
	v_mov_b32_e32 v13, 24
	v_lshlrev_b32_e32 v26, 20, v26
	v_lshl_add_u32 v27, v34, 23, 0x3c000000
	v_lshlrev_b32_sdwa v13, v13, v24 dst_sel:DWORD dst_unused:UNUSED_PAD src0_sel:DWORD src1_sel:WORD_1
	v_and_b32_e32 v13, 0x80000000, v13
	v_or3_b32 v81, v26, v13, v27
.LBB353_1808:                           ;   in Loop: Header=BB353_1059 Depth=1
	s_or_b32 exec_lo, exec_lo, s20
.LBB353_1809:                           ;   in Loop: Header=BB353_1059 Depth=1
	s_or_b32 exec_lo, exec_lo, s19
.LBB353_1810:                           ;   in Loop: Header=BB353_1059 Depth=1
	s_or_b32 exec_lo, exec_lo, s18
	s_mov_b32 s18, exec_lo
	v_cmpx_lt_u32_e32 0xffffff, v24
	s_cbranch_execz .LBB353_1818
; %bb.1811:                             ;   in Loop: Header=BB353_1059 Depth=1
	v_cmp_ne_u32_sdwa s4, v24, v80 src0_sel:BYTE_3 src1_sel:DWORD
	v_bfrev_b32_e32 v83, 1
	s_and_saveexec_b32 s19, s4
	s_cbranch_execz .LBB353_1817
; %bb.1812:                             ;   in Loop: Header=BB353_1059 Depth=1
	v_bfe_u32 v26, v24, 24, 7
	v_mov_b32_e32 v83, 0x7f800001
	s_mov_b32 s20, exec_lo
	v_cmpx_ne_u32_e32 0x7f, v26
	s_cbranch_execz .LBB353_1816
; %bb.1813:                             ;   in Loop: Header=BB353_1059 Depth=1
	v_mov_b32_e32 v13, 7
	v_lshrrev_b32_e32 v34, 3, v26
	v_cmp_gt_u32_e64 s4, 8, v26
	v_and_b32_sdwa v13, v24, v13 dst_sel:DWORD dst_unused:UNUSED_PAD src0_sel:BYTE_3 src1_sel:DWORD
	v_mov_b32_e32 v27, v14
	v_mov_b32_e32 v26, v13
	s_and_saveexec_b32 s21, s4
; %bb.1814:                             ;   in Loop: Header=BB353_1059 Depth=1
	v_ffbh_u32_e32 v26, v13
	v_min_u32_e32 v34, 32, v26
	v_subrev_nc_u32_e32 v26, 28, v34
	v_sub_nc_u32_e32 v34, 29, v34
	v_lshlrev_b64 v[26:27], v26, v[13:14]
	v_and_b32_e32 v26, 7, v26
; %bb.1815:                             ;   in Loop: Header=BB353_1059 Depth=1
	s_or_b32 exec_lo, exec_lo, s21
	v_mov_b32_e32 v13, 24
	v_lshlrev_b32_e32 v26, 20, v26
	v_lshl_add_u32 v27, v34, 23, 0x3c000000
	v_lshlrev_b32_sdwa v13, v13, v24 dst_sel:DWORD dst_unused:UNUSED_PAD src0_sel:DWORD src1_sel:BYTE_3
	v_and_b32_e32 v13, 0x80000000, v13
	v_or3_b32 v83, v26, v13, v27
.LBB353_1816:                           ;   in Loop: Header=BB353_1059 Depth=1
	s_or_b32 exec_lo, exec_lo, s20
.LBB353_1817:                           ;   in Loop: Header=BB353_1059 Depth=1
	s_or_b32 exec_lo, exec_lo, s19
.LBB353_1818:                           ;   in Loop: Header=BB353_1059 Depth=1
	s_or_b32 exec_lo, exec_lo, s18
	v_mov_b32_e32 v13, v25
	v_cmp_ne_u16_sdwa s4, v25, v14 src0_sel:BYTE_0 src1_sel:DWORD
	v_mov_b32_e32 v34, 0
	v_mov_b32_e32 v98, 0
	s_and_saveexec_b32 s18, s4
	s_cbranch_execz .LBB353_1826
; %bb.1819:                             ;   in Loop: Header=BB353_1059 Depth=1
	v_cmp_ne_u16_sdwa s4, v25, v80 src0_sel:BYTE_0 src1_sel:DWORD
	v_bfrev_b32_e32 v98, 1
	s_and_saveexec_b32 s19, s4
	s_cbranch_execz .LBB353_1825
; %bb.1820:                             ;   in Loop: Header=BB353_1059 Depth=1
	v_and_b32_e32 v26, 0x7f, v25
	v_mov_b32_e32 v98, 0x7f800001
	s_mov_b32 s20, exec_lo
	v_cmpx_ne_u32_e32 0x7f, v26
	s_cbranch_execz .LBB353_1824
; %bb.1821:                             ;   in Loop: Header=BB353_1059 Depth=1
	v_lshrrev_b32_e32 v37, 3, v26
	v_cmp_gt_u32_e64 s4, 8, v26
	v_mov_b32_e32 v27, v14
	v_mov_b32_e32 v26, v13
	s_and_saveexec_b32 s21, s4
; %bb.1822:                             ;   in Loop: Header=BB353_1059 Depth=1
	v_and_b32_e32 v26, 7, v25
	v_ffbh_u32_e32 v26, v26
	v_min_u32_e32 v37, 32, v26
	v_subrev_nc_u32_e32 v26, 28, v37
	v_sub_nc_u32_e32 v37, 29, v37
	v_lshlrev_b64 v[26:27], v26, v[13:14]
; %bb.1823:                             ;   in Loop: Header=BB353_1059 Depth=1
	s_or_b32 exec_lo, exec_lo, s21
	v_lshlrev_b32_e32 v26, 20, v26
	v_lshlrev_b32_e32 v27, 24, v13
	v_lshl_add_u32 v37, v37, 23, 0x3c000000
	v_and_b32_e32 v26, 0x700000, v26
	v_and_b32_e32 v27, 0x80000000, v27
	v_or3_b32 v98, v26, v27, v37
.LBB353_1824:                           ;   in Loop: Header=BB353_1059 Depth=1
	s_or_b32 exec_lo, exec_lo, s20
.LBB353_1825:                           ;   in Loop: Header=BB353_1059 Depth=1
	s_or_b32 exec_lo, exec_lo, s19
.LBB353_1826:                           ;   in Loop: Header=BB353_1059 Depth=1
	s_or_b32 exec_lo, exec_lo, s18
	v_cmp_ne_u16_sdwa s4, v13, v14 src0_sel:BYTE_1 src1_sel:DWORD
	s_and_saveexec_b32 s18, s4
	s_cbranch_execz .LBB353_1834
; %bb.1827:                             ;   in Loop: Header=BB353_1059 Depth=1
	v_cmp_ne_u16_sdwa s4, v13, v80 src0_sel:BYTE_1 src1_sel:DWORD
	v_bfrev_b32_e32 v34, 1
	s_and_saveexec_b32 s19, s4
	s_cbranch_execz .LBB353_1833
; %bb.1828:                             ;   in Loop: Header=BB353_1059 Depth=1
	v_mov_b32_e32 v26, 0xffff
	v_mov_b32_e32 v34, 0x7f800001
	s_mov_b32 s20, exec_lo
	v_and_b32_sdwa v26, v26, v13 dst_sel:DWORD dst_unused:UNUSED_PAD src0_sel:DWORD src1_sel:BYTE_1
	v_and_b32_e32 v37, 0x7f, v26
	v_cmpx_ne_u32_e32 0x7f, v37
	s_cbranch_execz .LBB353_1832
; %bb.1829:                             ;   in Loop: Header=BB353_1059 Depth=1
	v_and_b32_e32 v26, 7, v26
	v_mov_b32_e32 v27, v14
	v_lshrrev_b32_e32 v34, 3, v37
	s_mov_b32 s21, exec_lo
	v_cmpx_gt_u32_e32 8, v37
; %bb.1830:                             ;   in Loop: Header=BB353_1059 Depth=1
	v_ffbh_u32_e32 v34, v26
	v_min_u32_e32 v34, 32, v34
	v_subrev_nc_u32_e32 v37, 28, v34
	v_sub_nc_u32_e32 v34, 29, v34
	v_lshlrev_b64 v[26:27], v37, v[26:27]
	v_and_b32_e32 v26, 7, v26
; %bb.1831:                             ;   in Loop: Header=BB353_1059 Depth=1
	s_or_b32 exec_lo, exec_lo, s21
	v_lshlrev_b32_e32 v13, 16, v13
	v_lshlrev_b32_e32 v26, 20, v26
	v_lshl_add_u32 v27, v34, 23, 0x3c000000
	v_and_b32_e32 v13, 0x80000000, v13
	v_or3_b32 v34, v26, v13, v27
.LBB353_1832:                           ;   in Loop: Header=BB353_1059 Depth=1
	s_or_b32 exec_lo, exec_lo, s20
.LBB353_1833:                           ;   in Loop: Header=BB353_1059 Depth=1
	s_or_b32 exec_lo, exec_lo, s19
.LBB353_1834:                           ;   in Loop: Header=BB353_1059 Depth=1
	s_or_b32 exec_lo, exec_lo, s18
	v_and_b32_sdwa v13, v25, v82 dst_sel:DWORD dst_unused:UNUSED_PAD src0_sel:WORD_1 src1_sel:DWORD
	v_mov_b32_e32 v84, 0
	v_mov_b32_e32 v102, 0
	s_mov_b32 s18, exec_lo
	v_cmpx_ne_u16_e32 0, v13
	s_cbranch_execz .LBB353_1842
; %bb.1835:                             ;   in Loop: Header=BB353_1059 Depth=1
	v_bfrev_b32_e32 v102, 1
	s_mov_b32 s19, exec_lo
	v_cmpx_ne_u16_e32 0x80, v13
	s_cbranch_execz .LBB353_1841
; %bb.1836:                             ;   in Loop: Header=BB353_1059 Depth=1
	v_bfe_u32 v26, v25, 16, 7
	v_mov_b32_e32 v102, 0x7f800001
	s_mov_b32 s20, exec_lo
	v_cmpx_ne_u32_e32 0x7f, v26
	s_cbranch_execz .LBB353_1840
; %bb.1837:                             ;   in Loop: Header=BB353_1059 Depth=1
	v_mov_b32_e32 v13, 7
	v_lshrrev_b32_e32 v37, 3, v26
	v_cmp_gt_u32_e64 s4, 8, v26
	v_and_b32_sdwa v13, v25, v13 dst_sel:DWORD dst_unused:UNUSED_PAD src0_sel:WORD_1 src1_sel:DWORD
	v_mov_b32_e32 v27, v14
	v_mov_b32_e32 v26, v13
	s_and_saveexec_b32 s21, s4
; %bb.1838:                             ;   in Loop: Header=BB353_1059 Depth=1
	v_ffbh_u32_e32 v26, v13
	v_min_u32_e32 v37, 32, v26
	v_subrev_nc_u32_e32 v26, 28, v37
	v_sub_nc_u32_e32 v37, 29, v37
	v_lshlrev_b64 v[26:27], v26, v[13:14]
	v_and_b32_e32 v26, 7, v26
; %bb.1839:                             ;   in Loop: Header=BB353_1059 Depth=1
	s_or_b32 exec_lo, exec_lo, s21
	v_mov_b32_e32 v13, 24
	v_lshlrev_b32_e32 v26, 20, v26
	v_lshl_add_u32 v27, v37, 23, 0x3c000000
	v_lshlrev_b32_sdwa v13, v13, v25 dst_sel:DWORD dst_unused:UNUSED_PAD src0_sel:DWORD src1_sel:WORD_1
	v_and_b32_e32 v13, 0x80000000, v13
	v_or3_b32 v102, v26, v13, v27
.LBB353_1840:                           ;   in Loop: Header=BB353_1059 Depth=1
	s_or_b32 exec_lo, exec_lo, s20
.LBB353_1841:                           ;   in Loop: Header=BB353_1059 Depth=1
	s_or_b32 exec_lo, exec_lo, s19
.LBB353_1842:                           ;   in Loop: Header=BB353_1059 Depth=1
	s_or_b32 exec_lo, exec_lo, s18
	s_mov_b32 s18, exec_lo
	v_cmpx_lt_u64_e64 s[6:7], v[24:25]
	s_cbranch_execz .LBB353_1850
; %bb.1843:                             ;   in Loop: Header=BB353_1059 Depth=1
	v_cmp_ne_u32_sdwa s4, v25, v80 src0_sel:BYTE_3 src1_sel:DWORD
	v_bfrev_b32_e32 v84, 1
	s_and_saveexec_b32 s19, s4
	s_cbranch_execz .LBB353_1849
; %bb.1844:                             ;   in Loop: Header=BB353_1059 Depth=1
	v_bfe_u32 v26, v25, 24, 7
	v_mov_b32_e32 v84, 0x7f800001
	s_mov_b32 s20, exec_lo
	v_cmpx_ne_u32_e32 0x7f, v26
	s_cbranch_execz .LBB353_1848
; %bb.1845:                             ;   in Loop: Header=BB353_1059 Depth=1
	v_mov_b32_e32 v13, 7
	v_lshrrev_b32_e32 v24, 3, v26
	v_cmp_gt_u32_e64 s4, 8, v26
	v_and_b32_sdwa v13, v25, v13 dst_sel:DWORD dst_unused:UNUSED_PAD src0_sel:BYTE_3 src1_sel:DWORD
	v_mov_b32_e32 v27, v14
	v_mov_b32_e32 v26, v13
	s_and_saveexec_b32 s21, s4
; %bb.1846:                             ;   in Loop: Header=BB353_1059 Depth=1
	v_ffbh_u32_e32 v24, v13
	v_min_u32_e32 v24, 32, v24
	v_subrev_nc_u32_e32 v26, 28, v24
	v_sub_nc_u32_e32 v24, 29, v24
	v_lshlrev_b64 v[26:27], v26, v[13:14]
	v_and_b32_e32 v26, 7, v26
; %bb.1847:                             ;   in Loop: Header=BB353_1059 Depth=1
	s_or_b32 exec_lo, exec_lo, s21
	v_mov_b32_e32 v13, 24
	v_lshl_add_u32 v24, v24, 23, 0x3c000000
	v_lshlrev_b32_sdwa v13, v13, v25 dst_sel:DWORD dst_unused:UNUSED_PAD src0_sel:DWORD src1_sel:BYTE_3
	v_lshlrev_b32_e32 v25, 20, v26
	v_and_b32_e32 v13, 0x80000000, v13
	v_or3_b32 v84, v25, v13, v24
.LBB353_1848:                           ;   in Loop: Header=BB353_1059 Depth=1
	s_or_b32 exec_lo, exec_lo, s20
.LBB353_1849:                           ;   in Loop: Header=BB353_1059 Depth=1
	s_or_b32 exec_lo, exec_lo, s19
.LBB353_1850:                           ;   in Loop: Header=BB353_1059 Depth=1
	s_or_b32 exec_lo, exec_lo, s18
	v_mul_f32_e32 v13, v72, v34
	v_bfe_u32 v24, v13, 16, 1
	v_or_b32_e32 v25, 0x400000, v13
	v_cmp_u_f32_e64 s4, v13, v13
	v_add3_u32 v24, v24, v13, 0x7fff
	v_cndmask_b32_e64 v13, v24, v25, s4
	v_lshrrev_b32_e32 v97, 16, v13
	v_mul_f32_e32 v13, v72, v98
	v_bfe_u32 v24, v13, 16, 1
	v_or_b32_e32 v25, 0x400000, v13
	v_cmp_u_f32_e64 s4, v13, v13
	v_add3_u32 v24, v24, v13, 0x7fff
	v_cndmask_b32_e64 v13, v24, v25, s4
	v_lshrrev_b32_e32 v98, 16, v13
	;; [unrolled: 7-line block ×8, first 2 shown]
	s_and_saveexec_b32 s18, vcc_lo
	s_cbranch_execz .LBB353_1852
; %bb.1851:                             ;   in Loop: Header=BB353_1059 Depth=1
	v_cmp_lt_i32_e64 s4, v74, v32
	v_cndmask_b32_e64 v103, 0, v103, s4
	v_cmp_lt_i32_e64 s4, v89, v32
	v_cndmask_b32_e64 v101, 0, v101, s4
	;; [unrolled: 2-line block ×8, first 2 shown]
.LBB353_1852:                           ;   in Loop: Header=BB353_1059 Depth=1
	s_or_b32 exec_lo, exec_lo, s18
	flat_load_dwordx2 v[24:25], v[19:20] offset:1024
	v_mov_b32_e32 v38, 0
	v_mov_b32_e32 v36, 0
	s_waitcnt vmcnt(0) lgkmcnt(0)
	v_cmp_ne_u16_sdwa s4, v24, v14 src0_sel:BYTE_0 src1_sel:DWORD
	s_and_saveexec_b32 s18, s4
	s_cbranch_execz .LBB353_1860
; %bb.1853:                             ;   in Loop: Header=BB353_1059 Depth=1
	v_cmp_ne_u16_sdwa s4, v24, v80 src0_sel:BYTE_0 src1_sel:DWORD
	v_bfrev_b32_e32 v36, 1
	s_and_saveexec_b32 s19, s4
	s_cbranch_execz .LBB353_1859
; %bb.1854:                             ;   in Loop: Header=BB353_1059 Depth=1
	v_and_b32_e32 v26, 0x7f, v24
	v_mov_b32_e32 v36, 0x7f800001
	s_mov_b32 s20, exec_lo
	v_cmpx_ne_u32_e32 0x7f, v26
	s_cbranch_execz .LBB353_1858
; %bb.1855:                             ;   in Loop: Header=BB353_1059 Depth=1
	v_lshrrev_b32_e32 v13, 3, v26
	v_cmp_gt_u32_e64 s4, 8, v26
	v_mov_b32_e32 v27, v25
	v_mov_b32_e32 v26, v24
	s_and_saveexec_b32 s21, s4
; %bb.1856:                             ;   in Loop: Header=BB353_1059 Depth=1
	v_and_b32_e32 v13, 7, v24
	v_ffbh_u32_e32 v13, v13
	v_min_u32_e32 v13, 32, v13
	v_subrev_nc_u32_e32 v26, 28, v13
	v_sub_nc_u32_e32 v13, 29, v13
	v_lshlrev_b64 v[26:27], v26, v[24:25]
; %bb.1857:                             ;   in Loop: Header=BB353_1059 Depth=1
	s_or_b32 exec_lo, exec_lo, s21
	v_lshlrev_b32_e32 v26, 20, v26
	v_lshlrev_b32_e32 v27, 24, v24
	v_lshl_add_u32 v13, v13, 23, 0x3c000000
	v_and_b32_e32 v26, 0x700000, v26
	v_and_b32_e32 v27, 0x80000000, v27
	v_or3_b32 v36, v26, v27, v13
.LBB353_1858:                           ;   in Loop: Header=BB353_1059 Depth=1
	s_or_b32 exec_lo, exec_lo, s20
.LBB353_1859:                           ;   in Loop: Header=BB353_1059 Depth=1
	s_or_b32 exec_lo, exec_lo, s19
.LBB353_1860:                           ;   in Loop: Header=BB353_1059 Depth=1
	s_or_b32 exec_lo, exec_lo, s18
	v_cmp_ne_u16_sdwa s4, v24, v14 src0_sel:BYTE_1 src1_sel:DWORD
	s_and_saveexec_b32 s18, s4
	s_cbranch_execz .LBB353_1868
; %bb.1861:                             ;   in Loop: Header=BB353_1059 Depth=1
	v_cmp_ne_u16_sdwa s4, v24, v80 src0_sel:BYTE_1 src1_sel:DWORD
	v_bfrev_b32_e32 v38, 1
	s_and_saveexec_b32 s19, s4
	s_cbranch_execz .LBB353_1867
; %bb.1862:                             ;   in Loop: Header=BB353_1059 Depth=1
	v_mov_b32_e32 v13, 0xffff
	v_mov_b32_e32 v38, 0x7f800001
	s_mov_b32 s20, exec_lo
	v_and_b32_sdwa v13, v13, v24 dst_sel:DWORD dst_unused:UNUSED_PAD src0_sel:DWORD src1_sel:BYTE_1
	v_and_b32_e32 v26, 0x7f, v13
	v_cmpx_ne_u32_e32 0x7f, v26
	s_cbranch_execz .LBB353_1866
; %bb.1863:                             ;   in Loop: Header=BB353_1059 Depth=1
	v_and_b32_e32 v13, 7, v13
	v_lshrrev_b32_e32 v34, 3, v26
	v_cmp_gt_u32_e64 s4, 8, v26
	v_mov_b32_e32 v27, v14
	v_mov_b32_e32 v26, v13
	s_and_saveexec_b32 s21, s4
; %bb.1864:                             ;   in Loop: Header=BB353_1059 Depth=1
	v_ffbh_u32_e32 v26, v13
	v_min_u32_e32 v34, 32, v26
	v_subrev_nc_u32_e32 v26, 28, v34
	v_sub_nc_u32_e32 v34, 29, v34
	v_lshlrev_b64 v[26:27], v26, v[13:14]
	v_and_b32_e32 v26, 7, v26
; %bb.1865:                             ;   in Loop: Header=BB353_1059 Depth=1
	s_or_b32 exec_lo, exec_lo, s21
	v_lshlrev_b32_e32 v13, 16, v24
	v_lshlrev_b32_e32 v26, 20, v26
	v_lshl_add_u32 v27, v34, 23, 0x3c000000
	v_and_b32_e32 v13, 0x80000000, v13
	v_or3_b32 v38, v26, v13, v27
.LBB353_1866:                           ;   in Loop: Header=BB353_1059 Depth=1
	s_or_b32 exec_lo, exec_lo, s20
.LBB353_1867:                           ;   in Loop: Header=BB353_1059 Depth=1
	s_or_b32 exec_lo, exec_lo, s19
.LBB353_1868:                           ;   in Loop: Header=BB353_1059 Depth=1
	s_or_b32 exec_lo, exec_lo, s18
	v_and_b32_sdwa v13, v24, v82 dst_sel:DWORD dst_unused:UNUSED_PAD src0_sel:WORD_1 src1_sel:DWORD
	v_mov_b32_e32 v83, 0
	v_mov_b32_e32 v81, 0
	s_mov_b32 s18, exec_lo
	v_cmpx_ne_u16_e32 0, v13
	s_cbranch_execz .LBB353_1876
; %bb.1869:                             ;   in Loop: Header=BB353_1059 Depth=1
	v_bfrev_b32_e32 v81, 1
	s_mov_b32 s19, exec_lo
	v_cmpx_ne_u16_e32 0x80, v13
	s_cbranch_execz .LBB353_1875
; %bb.1870:                             ;   in Loop: Header=BB353_1059 Depth=1
	v_bfe_u32 v26, v24, 16, 7
	v_mov_b32_e32 v81, 0x7f800001
	s_mov_b32 s20, exec_lo
	v_cmpx_ne_u32_e32 0x7f, v26
	s_cbranch_execz .LBB353_1874
; %bb.1871:                             ;   in Loop: Header=BB353_1059 Depth=1
	v_mov_b32_e32 v13, 7
	v_lshrrev_b32_e32 v34, 3, v26
	v_cmp_gt_u32_e64 s4, 8, v26
	v_and_b32_sdwa v13, v24, v13 dst_sel:DWORD dst_unused:UNUSED_PAD src0_sel:WORD_1 src1_sel:DWORD
	v_mov_b32_e32 v27, v14
	v_mov_b32_e32 v26, v13
	s_and_saveexec_b32 s21, s4
; %bb.1872:                             ;   in Loop: Header=BB353_1059 Depth=1
	v_ffbh_u32_e32 v26, v13
	v_min_u32_e32 v34, 32, v26
	v_subrev_nc_u32_e32 v26, 28, v34
	v_sub_nc_u32_e32 v34, 29, v34
	v_lshlrev_b64 v[26:27], v26, v[13:14]
	v_and_b32_e32 v26, 7, v26
; %bb.1873:                             ;   in Loop: Header=BB353_1059 Depth=1
	s_or_b32 exec_lo, exec_lo, s21
	v_mov_b32_e32 v13, 24
	v_lshlrev_b32_e32 v26, 20, v26
	v_lshl_add_u32 v27, v34, 23, 0x3c000000
	v_lshlrev_b32_sdwa v13, v13, v24 dst_sel:DWORD dst_unused:UNUSED_PAD src0_sel:DWORD src1_sel:WORD_1
	v_and_b32_e32 v13, 0x80000000, v13
	v_or3_b32 v81, v26, v13, v27
.LBB353_1874:                           ;   in Loop: Header=BB353_1059 Depth=1
	s_or_b32 exec_lo, exec_lo, s20
.LBB353_1875:                           ;   in Loop: Header=BB353_1059 Depth=1
	s_or_b32 exec_lo, exec_lo, s19
.LBB353_1876:                           ;   in Loop: Header=BB353_1059 Depth=1
	s_or_b32 exec_lo, exec_lo, s18
	s_mov_b32 s18, exec_lo
	v_cmpx_lt_u32_e32 0xffffff, v24
	s_cbranch_execz .LBB353_1884
; %bb.1877:                             ;   in Loop: Header=BB353_1059 Depth=1
	v_cmp_ne_u32_sdwa s4, v24, v80 src0_sel:BYTE_3 src1_sel:DWORD
	v_bfrev_b32_e32 v83, 1
	s_and_saveexec_b32 s19, s4
	s_cbranch_execz .LBB353_1883
; %bb.1878:                             ;   in Loop: Header=BB353_1059 Depth=1
	v_bfe_u32 v26, v24, 24, 7
	v_mov_b32_e32 v83, 0x7f800001
	s_mov_b32 s20, exec_lo
	v_cmpx_ne_u32_e32 0x7f, v26
	s_cbranch_execz .LBB353_1882
; %bb.1879:                             ;   in Loop: Header=BB353_1059 Depth=1
	v_mov_b32_e32 v13, 7
	v_lshrrev_b32_e32 v34, 3, v26
	v_cmp_gt_u32_e64 s4, 8, v26
	v_and_b32_sdwa v13, v24, v13 dst_sel:DWORD dst_unused:UNUSED_PAD src0_sel:BYTE_3 src1_sel:DWORD
	v_mov_b32_e32 v27, v14
	v_mov_b32_e32 v26, v13
	s_and_saveexec_b32 s21, s4
; %bb.1880:                             ;   in Loop: Header=BB353_1059 Depth=1
	v_ffbh_u32_e32 v26, v13
	v_min_u32_e32 v34, 32, v26
	v_subrev_nc_u32_e32 v26, 28, v34
	v_sub_nc_u32_e32 v34, 29, v34
	v_lshlrev_b64 v[26:27], v26, v[13:14]
	v_and_b32_e32 v26, 7, v26
; %bb.1881:                             ;   in Loop: Header=BB353_1059 Depth=1
	s_or_b32 exec_lo, exec_lo, s21
	v_mov_b32_e32 v13, 24
	v_lshlrev_b32_e32 v26, 20, v26
	v_lshl_add_u32 v27, v34, 23, 0x3c000000
	v_lshlrev_b32_sdwa v13, v13, v24 dst_sel:DWORD dst_unused:UNUSED_PAD src0_sel:DWORD src1_sel:BYTE_3
	v_and_b32_e32 v13, 0x80000000, v13
	v_or3_b32 v83, v26, v13, v27
.LBB353_1882:                           ;   in Loop: Header=BB353_1059 Depth=1
	s_or_b32 exec_lo, exec_lo, s20
.LBB353_1883:                           ;   in Loop: Header=BB353_1059 Depth=1
	s_or_b32 exec_lo, exec_lo, s19
.LBB353_1884:                           ;   in Loop: Header=BB353_1059 Depth=1
	s_or_b32 exec_lo, exec_lo, s18
	v_mov_b32_e32 v13, v25
	v_cmp_ne_u16_sdwa s4, v25, v14 src0_sel:BYTE_0 src1_sel:DWORD
	v_mov_b32_e32 v34, 0
	v_mov_b32_e32 v114, 0
	s_and_saveexec_b32 s18, s4
	s_cbranch_execz .LBB353_1892
; %bb.1885:                             ;   in Loop: Header=BB353_1059 Depth=1
	v_cmp_ne_u16_sdwa s4, v25, v80 src0_sel:BYTE_0 src1_sel:DWORD
	v_bfrev_b32_e32 v114, 1
	s_and_saveexec_b32 s19, s4
	s_cbranch_execz .LBB353_1891
; %bb.1886:                             ;   in Loop: Header=BB353_1059 Depth=1
	v_and_b32_e32 v26, 0x7f, v25
	v_mov_b32_e32 v114, 0x7f800001
	s_mov_b32 s20, exec_lo
	v_cmpx_ne_u32_e32 0x7f, v26
	s_cbranch_execz .LBB353_1890
; %bb.1887:                             ;   in Loop: Header=BB353_1059 Depth=1
	v_lshrrev_b32_e32 v37, 3, v26
	v_cmp_gt_u32_e64 s4, 8, v26
	v_mov_b32_e32 v27, v14
	v_mov_b32_e32 v26, v13
	s_and_saveexec_b32 s21, s4
; %bb.1888:                             ;   in Loop: Header=BB353_1059 Depth=1
	v_and_b32_e32 v26, 7, v25
	v_ffbh_u32_e32 v26, v26
	v_min_u32_e32 v37, 32, v26
	v_subrev_nc_u32_e32 v26, 28, v37
	v_sub_nc_u32_e32 v37, 29, v37
	v_lshlrev_b64 v[26:27], v26, v[13:14]
; %bb.1889:                             ;   in Loop: Header=BB353_1059 Depth=1
	s_or_b32 exec_lo, exec_lo, s21
	v_lshlrev_b32_e32 v26, 20, v26
	v_lshlrev_b32_e32 v27, 24, v13
	v_lshl_add_u32 v37, v37, 23, 0x3c000000
	v_and_b32_e32 v26, 0x700000, v26
	v_and_b32_e32 v27, 0x80000000, v27
	v_or3_b32 v114, v26, v27, v37
.LBB353_1890:                           ;   in Loop: Header=BB353_1059 Depth=1
	s_or_b32 exec_lo, exec_lo, s20
.LBB353_1891:                           ;   in Loop: Header=BB353_1059 Depth=1
	s_or_b32 exec_lo, exec_lo, s19
.LBB353_1892:                           ;   in Loop: Header=BB353_1059 Depth=1
	s_or_b32 exec_lo, exec_lo, s18
	v_cmp_ne_u16_sdwa s4, v13, v14 src0_sel:BYTE_1 src1_sel:DWORD
	s_and_saveexec_b32 s18, s4
	s_cbranch_execz .LBB353_1900
; %bb.1893:                             ;   in Loop: Header=BB353_1059 Depth=1
	v_cmp_ne_u16_sdwa s4, v13, v80 src0_sel:BYTE_1 src1_sel:DWORD
	v_bfrev_b32_e32 v34, 1
	s_and_saveexec_b32 s19, s4
	s_cbranch_execz .LBB353_1899
; %bb.1894:                             ;   in Loop: Header=BB353_1059 Depth=1
	v_mov_b32_e32 v26, 0xffff
	v_mov_b32_e32 v34, 0x7f800001
	s_mov_b32 s20, exec_lo
	v_and_b32_sdwa v26, v26, v13 dst_sel:DWORD dst_unused:UNUSED_PAD src0_sel:DWORD src1_sel:BYTE_1
	v_and_b32_e32 v37, 0x7f, v26
	v_cmpx_ne_u32_e32 0x7f, v37
	s_cbranch_execz .LBB353_1898
; %bb.1895:                             ;   in Loop: Header=BB353_1059 Depth=1
	v_and_b32_e32 v26, 7, v26
	v_mov_b32_e32 v27, v14
	v_lshrrev_b32_e32 v34, 3, v37
	s_mov_b32 s21, exec_lo
	v_cmpx_gt_u32_e32 8, v37
; %bb.1896:                             ;   in Loop: Header=BB353_1059 Depth=1
	v_ffbh_u32_e32 v34, v26
	v_min_u32_e32 v34, 32, v34
	v_subrev_nc_u32_e32 v37, 28, v34
	v_sub_nc_u32_e32 v34, 29, v34
	v_lshlrev_b64 v[26:27], v37, v[26:27]
	v_and_b32_e32 v26, 7, v26
; %bb.1897:                             ;   in Loop: Header=BB353_1059 Depth=1
	s_or_b32 exec_lo, exec_lo, s21
	v_lshlrev_b32_e32 v13, 16, v13
	v_lshlrev_b32_e32 v26, 20, v26
	v_lshl_add_u32 v27, v34, 23, 0x3c000000
	v_and_b32_e32 v13, 0x80000000, v13
	v_or3_b32 v34, v26, v13, v27
.LBB353_1898:                           ;   in Loop: Header=BB353_1059 Depth=1
	s_or_b32 exec_lo, exec_lo, s20
.LBB353_1899:                           ;   in Loop: Header=BB353_1059 Depth=1
	s_or_b32 exec_lo, exec_lo, s19
.LBB353_1900:                           ;   in Loop: Header=BB353_1059 Depth=1
	s_or_b32 exec_lo, exec_lo, s18
	v_and_b32_sdwa v13, v25, v82 dst_sel:DWORD dst_unused:UNUSED_PAD src0_sel:WORD_1 src1_sel:DWORD
	v_mov_b32_e32 v84, 0
	v_mov_b32_e32 v118, 0
	s_mov_b32 s18, exec_lo
	v_cmpx_ne_u16_e32 0, v13
	s_cbranch_execz .LBB353_1908
; %bb.1901:                             ;   in Loop: Header=BB353_1059 Depth=1
	v_bfrev_b32_e32 v118, 1
	s_mov_b32 s19, exec_lo
	v_cmpx_ne_u16_e32 0x80, v13
	s_cbranch_execz .LBB353_1907
; %bb.1902:                             ;   in Loop: Header=BB353_1059 Depth=1
	v_bfe_u32 v26, v25, 16, 7
	v_mov_b32_e32 v118, 0x7f800001
	s_mov_b32 s20, exec_lo
	v_cmpx_ne_u32_e32 0x7f, v26
	s_cbranch_execz .LBB353_1906
; %bb.1903:                             ;   in Loop: Header=BB353_1059 Depth=1
	v_mov_b32_e32 v13, 7
	v_lshrrev_b32_e32 v37, 3, v26
	v_cmp_gt_u32_e64 s4, 8, v26
	v_and_b32_sdwa v13, v25, v13 dst_sel:DWORD dst_unused:UNUSED_PAD src0_sel:WORD_1 src1_sel:DWORD
	v_mov_b32_e32 v27, v14
	v_mov_b32_e32 v26, v13
	s_and_saveexec_b32 s21, s4
; %bb.1904:                             ;   in Loop: Header=BB353_1059 Depth=1
	v_ffbh_u32_e32 v26, v13
	v_min_u32_e32 v37, 32, v26
	v_subrev_nc_u32_e32 v26, 28, v37
	v_sub_nc_u32_e32 v37, 29, v37
	v_lshlrev_b64 v[26:27], v26, v[13:14]
	v_and_b32_e32 v26, 7, v26
; %bb.1905:                             ;   in Loop: Header=BB353_1059 Depth=1
	s_or_b32 exec_lo, exec_lo, s21
	v_mov_b32_e32 v13, 24
	v_lshlrev_b32_e32 v26, 20, v26
	v_lshl_add_u32 v27, v37, 23, 0x3c000000
	v_lshlrev_b32_sdwa v13, v13, v25 dst_sel:DWORD dst_unused:UNUSED_PAD src0_sel:DWORD src1_sel:WORD_1
	v_and_b32_e32 v13, 0x80000000, v13
	v_or3_b32 v118, v26, v13, v27
.LBB353_1906:                           ;   in Loop: Header=BB353_1059 Depth=1
	s_or_b32 exec_lo, exec_lo, s20
.LBB353_1907:                           ;   in Loop: Header=BB353_1059 Depth=1
	s_or_b32 exec_lo, exec_lo, s19
.LBB353_1908:                           ;   in Loop: Header=BB353_1059 Depth=1
	s_or_b32 exec_lo, exec_lo, s18
	s_mov_b32 s18, exec_lo
	v_cmpx_lt_u64_e64 s[6:7], v[24:25]
	s_cbranch_execz .LBB353_1916
; %bb.1909:                             ;   in Loop: Header=BB353_1059 Depth=1
	v_cmp_ne_u32_sdwa s4, v25, v80 src0_sel:BYTE_3 src1_sel:DWORD
	v_bfrev_b32_e32 v84, 1
	s_and_saveexec_b32 s19, s4
	s_cbranch_execz .LBB353_1915
; %bb.1910:                             ;   in Loop: Header=BB353_1059 Depth=1
	v_bfe_u32 v26, v25, 24, 7
	v_mov_b32_e32 v84, 0x7f800001
	s_mov_b32 s20, exec_lo
	v_cmpx_ne_u32_e32 0x7f, v26
	s_cbranch_execz .LBB353_1914
; %bb.1911:                             ;   in Loop: Header=BB353_1059 Depth=1
	v_mov_b32_e32 v13, 7
	v_lshrrev_b32_e32 v24, 3, v26
	v_cmp_gt_u32_e64 s4, 8, v26
	v_and_b32_sdwa v13, v25, v13 dst_sel:DWORD dst_unused:UNUSED_PAD src0_sel:BYTE_3 src1_sel:DWORD
	v_mov_b32_e32 v27, v14
	v_mov_b32_e32 v26, v13
	s_and_saveexec_b32 s21, s4
; %bb.1912:                             ;   in Loop: Header=BB353_1059 Depth=1
	v_ffbh_u32_e32 v24, v13
	v_min_u32_e32 v24, 32, v24
	v_subrev_nc_u32_e32 v26, 28, v24
	v_sub_nc_u32_e32 v24, 29, v24
	v_lshlrev_b64 v[26:27], v26, v[13:14]
	v_and_b32_e32 v26, 7, v26
; %bb.1913:                             ;   in Loop: Header=BB353_1059 Depth=1
	s_or_b32 exec_lo, exec_lo, s21
	v_mov_b32_e32 v13, 24
	v_lshl_add_u32 v24, v24, 23, 0x3c000000
	v_lshlrev_b32_sdwa v13, v13, v25 dst_sel:DWORD dst_unused:UNUSED_PAD src0_sel:DWORD src1_sel:BYTE_3
	v_lshlrev_b32_e32 v25, 20, v26
	v_and_b32_e32 v13, 0x80000000, v13
	v_or3_b32 v84, v25, v13, v24
.LBB353_1914:                           ;   in Loop: Header=BB353_1059 Depth=1
	s_or_b32 exec_lo, exec_lo, s20
.LBB353_1915:                           ;   in Loop: Header=BB353_1059 Depth=1
	s_or_b32 exec_lo, exec_lo, s19
.LBB353_1916:                           ;   in Loop: Header=BB353_1059 Depth=1
	s_or_b32 exec_lo, exec_lo, s18
	v_mul_f32_e32 v13, v72, v34
	v_bfe_u32 v24, v13, 16, 1
	v_or_b32_e32 v25, 0x400000, v13
	v_cmp_u_f32_e64 s4, v13, v13
	v_add3_u32 v24, v24, v13, 0x7fff
	v_cndmask_b32_e64 v13, v24, v25, s4
	v_lshrrev_b32_e32 v113, 16, v13
	v_mul_f32_e32 v13, v72, v114
	v_bfe_u32 v24, v13, 16, 1
	v_or_b32_e32 v25, 0x400000, v13
	v_cmp_u_f32_e64 s4, v13, v13
	v_add3_u32 v24, v24, v13, 0x7fff
	v_cndmask_b32_e64 v13, v24, v25, s4
	v_lshrrev_b32_e32 v114, 16, v13
	;; [unrolled: 7-line block ×8, first 2 shown]
	s_and_saveexec_b32 s18, vcc_lo
	s_cbranch_execz .LBB353_1918
; %bb.1917:                             ;   in Loop: Header=BB353_1059 Depth=1
	v_cmp_lt_i32_e64 s4, v74, v32
	v_cndmask_b32_e64 v119, 0, v119, s4
	v_cmp_lt_i32_e64 s4, v89, v32
	v_cndmask_b32_e64 v117, 0, v117, s4
	;; [unrolled: 2-line block ×8, first 2 shown]
.LBB353_1918:                           ;   in Loop: Header=BB353_1059 Depth=1
	s_or_b32 exec_lo, exec_lo, s18
	flat_load_dwordx2 v[24:25], v[19:20] offset:1280
	v_mov_b32_e32 v38, 0
	v_mov_b32_e32 v36, 0
	s_waitcnt vmcnt(0) lgkmcnt(0)
	v_cmp_ne_u16_sdwa s4, v24, v14 src0_sel:BYTE_0 src1_sel:DWORD
	s_and_saveexec_b32 s18, s4
	s_cbranch_execz .LBB353_1926
; %bb.1919:                             ;   in Loop: Header=BB353_1059 Depth=1
	v_cmp_ne_u16_sdwa s4, v24, v80 src0_sel:BYTE_0 src1_sel:DWORD
	v_bfrev_b32_e32 v36, 1
	s_and_saveexec_b32 s19, s4
	s_cbranch_execz .LBB353_1925
; %bb.1920:                             ;   in Loop: Header=BB353_1059 Depth=1
	v_and_b32_e32 v26, 0x7f, v24
	v_mov_b32_e32 v36, 0x7f800001
	s_mov_b32 s20, exec_lo
	v_cmpx_ne_u32_e32 0x7f, v26
	s_cbranch_execz .LBB353_1924
; %bb.1921:                             ;   in Loop: Header=BB353_1059 Depth=1
	v_lshrrev_b32_e32 v13, 3, v26
	v_cmp_gt_u32_e64 s4, 8, v26
	v_mov_b32_e32 v27, v25
	v_mov_b32_e32 v26, v24
	s_and_saveexec_b32 s21, s4
; %bb.1922:                             ;   in Loop: Header=BB353_1059 Depth=1
	v_and_b32_e32 v13, 7, v24
	v_ffbh_u32_e32 v13, v13
	v_min_u32_e32 v13, 32, v13
	v_subrev_nc_u32_e32 v26, 28, v13
	v_sub_nc_u32_e32 v13, 29, v13
	v_lshlrev_b64 v[26:27], v26, v[24:25]
; %bb.1923:                             ;   in Loop: Header=BB353_1059 Depth=1
	s_or_b32 exec_lo, exec_lo, s21
	v_lshlrev_b32_e32 v26, 20, v26
	v_lshlrev_b32_e32 v27, 24, v24
	v_lshl_add_u32 v13, v13, 23, 0x3c000000
	v_and_b32_e32 v26, 0x700000, v26
	v_and_b32_e32 v27, 0x80000000, v27
	v_or3_b32 v36, v26, v27, v13
.LBB353_1924:                           ;   in Loop: Header=BB353_1059 Depth=1
	s_or_b32 exec_lo, exec_lo, s20
.LBB353_1925:                           ;   in Loop: Header=BB353_1059 Depth=1
	s_or_b32 exec_lo, exec_lo, s19
.LBB353_1926:                           ;   in Loop: Header=BB353_1059 Depth=1
	s_or_b32 exec_lo, exec_lo, s18
	v_cmp_ne_u16_sdwa s4, v24, v14 src0_sel:BYTE_1 src1_sel:DWORD
	s_and_saveexec_b32 s18, s4
	s_cbranch_execz .LBB353_1934
; %bb.1927:                             ;   in Loop: Header=BB353_1059 Depth=1
	v_cmp_ne_u16_sdwa s4, v24, v80 src0_sel:BYTE_1 src1_sel:DWORD
	v_bfrev_b32_e32 v38, 1
	s_and_saveexec_b32 s19, s4
	s_cbranch_execz .LBB353_1933
; %bb.1928:                             ;   in Loop: Header=BB353_1059 Depth=1
	v_mov_b32_e32 v13, 0xffff
	v_mov_b32_e32 v38, 0x7f800001
	s_mov_b32 s20, exec_lo
	v_and_b32_sdwa v13, v13, v24 dst_sel:DWORD dst_unused:UNUSED_PAD src0_sel:DWORD src1_sel:BYTE_1
	v_and_b32_e32 v26, 0x7f, v13
	v_cmpx_ne_u32_e32 0x7f, v26
	s_cbranch_execz .LBB353_1932
; %bb.1929:                             ;   in Loop: Header=BB353_1059 Depth=1
	v_and_b32_e32 v13, 7, v13
	v_lshrrev_b32_e32 v34, 3, v26
	v_cmp_gt_u32_e64 s4, 8, v26
	v_mov_b32_e32 v27, v14
	v_mov_b32_e32 v26, v13
	s_and_saveexec_b32 s21, s4
; %bb.1930:                             ;   in Loop: Header=BB353_1059 Depth=1
	v_ffbh_u32_e32 v26, v13
	v_min_u32_e32 v34, 32, v26
	v_subrev_nc_u32_e32 v26, 28, v34
	v_sub_nc_u32_e32 v34, 29, v34
	v_lshlrev_b64 v[26:27], v26, v[13:14]
	v_and_b32_e32 v26, 7, v26
; %bb.1931:                             ;   in Loop: Header=BB353_1059 Depth=1
	s_or_b32 exec_lo, exec_lo, s21
	v_lshlrev_b32_e32 v13, 16, v24
	v_lshlrev_b32_e32 v26, 20, v26
	v_lshl_add_u32 v27, v34, 23, 0x3c000000
	v_and_b32_e32 v13, 0x80000000, v13
	v_or3_b32 v38, v26, v13, v27
.LBB353_1932:                           ;   in Loop: Header=BB353_1059 Depth=1
	s_or_b32 exec_lo, exec_lo, s20
.LBB353_1933:                           ;   in Loop: Header=BB353_1059 Depth=1
	s_or_b32 exec_lo, exec_lo, s19
.LBB353_1934:                           ;   in Loop: Header=BB353_1059 Depth=1
	s_or_b32 exec_lo, exec_lo, s18
	v_and_b32_sdwa v13, v24, v82 dst_sel:DWORD dst_unused:UNUSED_PAD src0_sel:WORD_1 src1_sel:DWORD
	v_mov_b32_e32 v83, 0
	v_mov_b32_e32 v81, 0
	s_mov_b32 s18, exec_lo
	v_cmpx_ne_u16_e32 0, v13
	s_cbranch_execz .LBB353_1942
; %bb.1935:                             ;   in Loop: Header=BB353_1059 Depth=1
	v_bfrev_b32_e32 v81, 1
	s_mov_b32 s19, exec_lo
	v_cmpx_ne_u16_e32 0x80, v13
	s_cbranch_execz .LBB353_1941
; %bb.1936:                             ;   in Loop: Header=BB353_1059 Depth=1
	v_bfe_u32 v26, v24, 16, 7
	v_mov_b32_e32 v81, 0x7f800001
	s_mov_b32 s20, exec_lo
	v_cmpx_ne_u32_e32 0x7f, v26
	s_cbranch_execz .LBB353_1940
; %bb.1937:                             ;   in Loop: Header=BB353_1059 Depth=1
	v_mov_b32_e32 v13, 7
	v_lshrrev_b32_e32 v34, 3, v26
	v_cmp_gt_u32_e64 s4, 8, v26
	v_and_b32_sdwa v13, v24, v13 dst_sel:DWORD dst_unused:UNUSED_PAD src0_sel:WORD_1 src1_sel:DWORD
	v_mov_b32_e32 v27, v14
	v_mov_b32_e32 v26, v13
	s_and_saveexec_b32 s21, s4
; %bb.1938:                             ;   in Loop: Header=BB353_1059 Depth=1
	v_ffbh_u32_e32 v26, v13
	v_min_u32_e32 v34, 32, v26
	v_subrev_nc_u32_e32 v26, 28, v34
	v_sub_nc_u32_e32 v34, 29, v34
	v_lshlrev_b64 v[26:27], v26, v[13:14]
	v_and_b32_e32 v26, 7, v26
; %bb.1939:                             ;   in Loop: Header=BB353_1059 Depth=1
	s_or_b32 exec_lo, exec_lo, s21
	v_mov_b32_e32 v13, 24
	v_lshlrev_b32_e32 v26, 20, v26
	v_lshl_add_u32 v27, v34, 23, 0x3c000000
	v_lshlrev_b32_sdwa v13, v13, v24 dst_sel:DWORD dst_unused:UNUSED_PAD src0_sel:DWORD src1_sel:WORD_1
	v_and_b32_e32 v13, 0x80000000, v13
	v_or3_b32 v81, v26, v13, v27
.LBB353_1940:                           ;   in Loop: Header=BB353_1059 Depth=1
	s_or_b32 exec_lo, exec_lo, s20
.LBB353_1941:                           ;   in Loop: Header=BB353_1059 Depth=1
	s_or_b32 exec_lo, exec_lo, s19
.LBB353_1942:                           ;   in Loop: Header=BB353_1059 Depth=1
	s_or_b32 exec_lo, exec_lo, s18
	s_mov_b32 s18, exec_lo
	v_cmpx_lt_u32_e32 0xffffff, v24
	s_cbranch_execz .LBB353_1950
; %bb.1943:                             ;   in Loop: Header=BB353_1059 Depth=1
	v_cmp_ne_u32_sdwa s4, v24, v80 src0_sel:BYTE_3 src1_sel:DWORD
	v_bfrev_b32_e32 v83, 1
	s_and_saveexec_b32 s19, s4
	s_cbranch_execz .LBB353_1949
; %bb.1944:                             ;   in Loop: Header=BB353_1059 Depth=1
	v_bfe_u32 v26, v24, 24, 7
	v_mov_b32_e32 v83, 0x7f800001
	s_mov_b32 s20, exec_lo
	v_cmpx_ne_u32_e32 0x7f, v26
	s_cbranch_execz .LBB353_1948
; %bb.1945:                             ;   in Loop: Header=BB353_1059 Depth=1
	v_mov_b32_e32 v13, 7
	v_lshrrev_b32_e32 v34, 3, v26
	v_cmp_gt_u32_e64 s4, 8, v26
	v_and_b32_sdwa v13, v24, v13 dst_sel:DWORD dst_unused:UNUSED_PAD src0_sel:BYTE_3 src1_sel:DWORD
	v_mov_b32_e32 v27, v14
	v_mov_b32_e32 v26, v13
	s_and_saveexec_b32 s21, s4
; %bb.1946:                             ;   in Loop: Header=BB353_1059 Depth=1
	v_ffbh_u32_e32 v26, v13
	v_min_u32_e32 v34, 32, v26
	v_subrev_nc_u32_e32 v26, 28, v34
	v_sub_nc_u32_e32 v34, 29, v34
	v_lshlrev_b64 v[26:27], v26, v[13:14]
	v_and_b32_e32 v26, 7, v26
; %bb.1947:                             ;   in Loop: Header=BB353_1059 Depth=1
	s_or_b32 exec_lo, exec_lo, s21
	v_mov_b32_e32 v13, 24
	v_lshlrev_b32_e32 v26, 20, v26
	v_lshl_add_u32 v27, v34, 23, 0x3c000000
	v_lshlrev_b32_sdwa v13, v13, v24 dst_sel:DWORD dst_unused:UNUSED_PAD src0_sel:DWORD src1_sel:BYTE_3
	v_and_b32_e32 v13, 0x80000000, v13
	v_or3_b32 v83, v26, v13, v27
.LBB353_1948:                           ;   in Loop: Header=BB353_1059 Depth=1
	s_or_b32 exec_lo, exec_lo, s20
.LBB353_1949:                           ;   in Loop: Header=BB353_1059 Depth=1
	s_or_b32 exec_lo, exec_lo, s19
.LBB353_1950:                           ;   in Loop: Header=BB353_1059 Depth=1
	s_or_b32 exec_lo, exec_lo, s18
	v_mov_b32_e32 v13, v25
	v_cmp_ne_u16_sdwa s4, v25, v14 src0_sel:BYTE_0 src1_sel:DWORD
	v_mov_b32_e32 v34, 0
	v_mov_b32_e32 v42, 0
	s_and_saveexec_b32 s18, s4
	s_cbranch_execz .LBB353_1958
; %bb.1951:                             ;   in Loop: Header=BB353_1059 Depth=1
	v_cmp_ne_u16_sdwa s4, v25, v80 src0_sel:BYTE_0 src1_sel:DWORD
	v_bfrev_b32_e32 v42, 1
	s_and_saveexec_b32 s19, s4
	s_cbranch_execz .LBB353_1957
; %bb.1952:                             ;   in Loop: Header=BB353_1059 Depth=1
	v_and_b32_e32 v26, 0x7f, v25
	v_mov_b32_e32 v42, 0x7f800001
	s_mov_b32 s20, exec_lo
	v_cmpx_ne_u32_e32 0x7f, v26
	s_cbranch_execz .LBB353_1956
; %bb.1953:                             ;   in Loop: Header=BB353_1059 Depth=1
	v_lshrrev_b32_e32 v37, 3, v26
	v_cmp_gt_u32_e64 s4, 8, v26
	v_mov_b32_e32 v27, v14
	v_mov_b32_e32 v26, v13
	s_and_saveexec_b32 s21, s4
; %bb.1954:                             ;   in Loop: Header=BB353_1059 Depth=1
	v_and_b32_e32 v26, 7, v25
	v_ffbh_u32_e32 v26, v26
	v_min_u32_e32 v37, 32, v26
	v_subrev_nc_u32_e32 v26, 28, v37
	v_sub_nc_u32_e32 v37, 29, v37
	v_lshlrev_b64 v[26:27], v26, v[13:14]
; %bb.1955:                             ;   in Loop: Header=BB353_1059 Depth=1
	s_or_b32 exec_lo, exec_lo, s21
	v_lshlrev_b32_e32 v26, 20, v26
	v_lshlrev_b32_e32 v27, 24, v13
	v_lshl_add_u32 v37, v37, 23, 0x3c000000
	v_and_b32_e32 v26, 0x700000, v26
	v_and_b32_e32 v27, 0x80000000, v27
	v_or3_b32 v42, v26, v27, v37
.LBB353_1956:                           ;   in Loop: Header=BB353_1059 Depth=1
	s_or_b32 exec_lo, exec_lo, s20
.LBB353_1957:                           ;   in Loop: Header=BB353_1059 Depth=1
	s_or_b32 exec_lo, exec_lo, s19
.LBB353_1958:                           ;   in Loop: Header=BB353_1059 Depth=1
	s_or_b32 exec_lo, exec_lo, s18
	v_cmp_ne_u16_sdwa s4, v13, v14 src0_sel:BYTE_1 src1_sel:DWORD
	s_and_saveexec_b32 s18, s4
	s_cbranch_execz .LBB353_1966
; %bb.1959:                             ;   in Loop: Header=BB353_1059 Depth=1
	v_cmp_ne_u16_sdwa s4, v13, v80 src0_sel:BYTE_1 src1_sel:DWORD
	v_bfrev_b32_e32 v34, 1
	s_and_saveexec_b32 s19, s4
	s_cbranch_execz .LBB353_1965
; %bb.1960:                             ;   in Loop: Header=BB353_1059 Depth=1
	v_mov_b32_e32 v26, 0xffff
	v_mov_b32_e32 v34, 0x7f800001
	s_mov_b32 s20, exec_lo
	v_and_b32_sdwa v26, v26, v13 dst_sel:DWORD dst_unused:UNUSED_PAD src0_sel:DWORD src1_sel:BYTE_1
	v_and_b32_e32 v37, 0x7f, v26
	v_cmpx_ne_u32_e32 0x7f, v37
	s_cbranch_execz .LBB353_1964
; %bb.1961:                             ;   in Loop: Header=BB353_1059 Depth=1
	v_and_b32_e32 v26, 7, v26
	v_mov_b32_e32 v27, v14
	v_lshrrev_b32_e32 v34, 3, v37
	s_mov_b32 s21, exec_lo
	v_cmpx_gt_u32_e32 8, v37
; %bb.1962:                             ;   in Loop: Header=BB353_1059 Depth=1
	v_ffbh_u32_e32 v34, v26
	v_min_u32_e32 v34, 32, v34
	v_subrev_nc_u32_e32 v37, 28, v34
	v_sub_nc_u32_e32 v34, 29, v34
	v_lshlrev_b64 v[26:27], v37, v[26:27]
	v_and_b32_e32 v26, 7, v26
; %bb.1963:                             ;   in Loop: Header=BB353_1059 Depth=1
	s_or_b32 exec_lo, exec_lo, s21
	v_lshlrev_b32_e32 v13, 16, v13
	v_lshlrev_b32_e32 v26, 20, v26
	v_lshl_add_u32 v27, v34, 23, 0x3c000000
	v_and_b32_e32 v13, 0x80000000, v13
	v_or3_b32 v34, v26, v13, v27
.LBB353_1964:                           ;   in Loop: Header=BB353_1059 Depth=1
	s_or_b32 exec_lo, exec_lo, s20
.LBB353_1965:                           ;   in Loop: Header=BB353_1059 Depth=1
	s_or_b32 exec_lo, exec_lo, s19
.LBB353_1966:                           ;   in Loop: Header=BB353_1059 Depth=1
	s_or_b32 exec_lo, exec_lo, s18
	v_and_b32_sdwa v13, v25, v82 dst_sel:DWORD dst_unused:UNUSED_PAD src0_sel:WORD_1 src1_sel:DWORD
	v_mov_b32_e32 v84, 0
	v_mov_b32_e32 v46, 0
	s_mov_b32 s18, exec_lo
	v_cmpx_ne_u16_e32 0, v13
	s_cbranch_execz .LBB353_1974
; %bb.1967:                             ;   in Loop: Header=BB353_1059 Depth=1
	v_bfrev_b32_e32 v46, 1
	s_mov_b32 s19, exec_lo
	v_cmpx_ne_u16_e32 0x80, v13
	s_cbranch_execz .LBB353_1973
; %bb.1968:                             ;   in Loop: Header=BB353_1059 Depth=1
	v_bfe_u32 v26, v25, 16, 7
	v_mov_b32_e32 v46, 0x7f800001
	s_mov_b32 s20, exec_lo
	v_cmpx_ne_u32_e32 0x7f, v26
	s_cbranch_execz .LBB353_1972
; %bb.1969:                             ;   in Loop: Header=BB353_1059 Depth=1
	v_mov_b32_e32 v13, 7
	v_lshrrev_b32_e32 v37, 3, v26
	v_cmp_gt_u32_e64 s4, 8, v26
	v_and_b32_sdwa v13, v25, v13 dst_sel:DWORD dst_unused:UNUSED_PAD src0_sel:WORD_1 src1_sel:DWORD
	v_mov_b32_e32 v27, v14
	v_mov_b32_e32 v26, v13
	s_and_saveexec_b32 s21, s4
; %bb.1970:                             ;   in Loop: Header=BB353_1059 Depth=1
	v_ffbh_u32_e32 v26, v13
	v_min_u32_e32 v37, 32, v26
	v_subrev_nc_u32_e32 v26, 28, v37
	v_sub_nc_u32_e32 v37, 29, v37
	v_lshlrev_b64 v[26:27], v26, v[13:14]
	v_and_b32_e32 v26, 7, v26
; %bb.1971:                             ;   in Loop: Header=BB353_1059 Depth=1
	s_or_b32 exec_lo, exec_lo, s21
	v_mov_b32_e32 v13, 24
	v_lshlrev_b32_e32 v26, 20, v26
	v_lshl_add_u32 v27, v37, 23, 0x3c000000
	v_lshlrev_b32_sdwa v13, v13, v25 dst_sel:DWORD dst_unused:UNUSED_PAD src0_sel:DWORD src1_sel:WORD_1
	v_and_b32_e32 v13, 0x80000000, v13
	v_or3_b32 v46, v26, v13, v27
.LBB353_1972:                           ;   in Loop: Header=BB353_1059 Depth=1
	s_or_b32 exec_lo, exec_lo, s20
.LBB353_1973:                           ;   in Loop: Header=BB353_1059 Depth=1
	s_or_b32 exec_lo, exec_lo, s19
.LBB353_1974:                           ;   in Loop: Header=BB353_1059 Depth=1
	s_or_b32 exec_lo, exec_lo, s18
	s_mov_b32 s18, exec_lo
	v_cmpx_lt_u64_e64 s[6:7], v[24:25]
	s_cbranch_execz .LBB353_1982
; %bb.1975:                             ;   in Loop: Header=BB353_1059 Depth=1
	v_cmp_ne_u32_sdwa s4, v25, v80 src0_sel:BYTE_3 src1_sel:DWORD
	v_bfrev_b32_e32 v84, 1
	s_and_saveexec_b32 s19, s4
	s_cbranch_execz .LBB353_1981
; %bb.1976:                             ;   in Loop: Header=BB353_1059 Depth=1
	v_bfe_u32 v26, v25, 24, 7
	v_mov_b32_e32 v84, 0x7f800001
	s_mov_b32 s20, exec_lo
	v_cmpx_ne_u32_e32 0x7f, v26
	s_cbranch_execz .LBB353_1980
; %bb.1977:                             ;   in Loop: Header=BB353_1059 Depth=1
	v_mov_b32_e32 v13, 7
	v_lshrrev_b32_e32 v24, 3, v26
	v_cmp_gt_u32_e64 s4, 8, v26
	v_and_b32_sdwa v13, v25, v13 dst_sel:DWORD dst_unused:UNUSED_PAD src0_sel:BYTE_3 src1_sel:DWORD
	v_mov_b32_e32 v27, v14
	v_mov_b32_e32 v26, v13
	s_and_saveexec_b32 s21, s4
; %bb.1978:                             ;   in Loop: Header=BB353_1059 Depth=1
	v_ffbh_u32_e32 v24, v13
	v_min_u32_e32 v24, 32, v24
	v_subrev_nc_u32_e32 v26, 28, v24
	v_sub_nc_u32_e32 v24, 29, v24
	v_lshlrev_b64 v[26:27], v26, v[13:14]
	v_and_b32_e32 v26, 7, v26
; %bb.1979:                             ;   in Loop: Header=BB353_1059 Depth=1
	s_or_b32 exec_lo, exec_lo, s21
	v_mov_b32_e32 v13, 24
	v_lshl_add_u32 v24, v24, 23, 0x3c000000
	v_lshlrev_b32_sdwa v13, v13, v25 dst_sel:DWORD dst_unused:UNUSED_PAD src0_sel:DWORD src1_sel:BYTE_3
	v_lshlrev_b32_e32 v25, 20, v26
	v_and_b32_e32 v13, 0x80000000, v13
	v_or3_b32 v84, v25, v13, v24
.LBB353_1980:                           ;   in Loop: Header=BB353_1059 Depth=1
	s_or_b32 exec_lo, exec_lo, s20
.LBB353_1981:                           ;   in Loop: Header=BB353_1059 Depth=1
	s_or_b32 exec_lo, exec_lo, s19
.LBB353_1982:                           ;   in Loop: Header=BB353_1059 Depth=1
	s_or_b32 exec_lo, exec_lo, s18
	v_mul_f32_e32 v13, v72, v34
	v_bfe_u32 v24, v13, 16, 1
	v_or_b32_e32 v25, 0x400000, v13
	v_cmp_u_f32_e64 s4, v13, v13
	v_add3_u32 v24, v24, v13, 0x7fff
	v_cndmask_b32_e64 v13, v24, v25, s4
	v_lshrrev_b32_e32 v41, 16, v13
	v_mul_f32_e32 v13, v72, v42
	v_bfe_u32 v24, v13, 16, 1
	v_or_b32_e32 v25, 0x400000, v13
	v_cmp_u_f32_e64 s4, v13, v13
	v_add3_u32 v24, v24, v13, 0x7fff
	v_cndmask_b32_e64 v13, v24, v25, s4
	v_lshrrev_b32_e32 v42, 16, v13
	;; [unrolled: 7-line block ×8, first 2 shown]
	s_and_saveexec_b32 s18, vcc_lo
	s_cbranch_execz .LBB353_1984
; %bb.1983:                             ;   in Loop: Header=BB353_1059 Depth=1
	v_cmp_lt_i32_e64 s4, v74, v32
	v_cndmask_b32_e64 v47, 0, v47, s4
	v_cmp_lt_i32_e64 s4, v89, v32
	v_cndmask_b32_e64 v45, 0, v45, s4
	;; [unrolled: 2-line block ×8, first 2 shown]
.LBB353_1984:                           ;   in Loop: Header=BB353_1059 Depth=1
	s_or_b32 exec_lo, exec_lo, s18
	flat_load_dwordx2 v[24:25], v[19:20] offset:1536
	v_mov_b32_e32 v84, 0
	v_mov_b32_e32 v38, 0
	s_waitcnt vmcnt(0) lgkmcnt(0)
	v_cmp_ne_u16_sdwa s4, v24, v14 src0_sel:BYTE_0 src1_sel:DWORD
	s_and_saveexec_b32 s18, s4
	s_cbranch_execz .LBB353_1992
; %bb.1985:                             ;   in Loop: Header=BB353_1059 Depth=1
	v_cmp_ne_u16_sdwa s4, v24, v80 src0_sel:BYTE_0 src1_sel:DWORD
	v_bfrev_b32_e32 v38, 1
	s_and_saveexec_b32 s19, s4
	s_cbranch_execz .LBB353_1991
; %bb.1986:                             ;   in Loop: Header=BB353_1059 Depth=1
	v_and_b32_e32 v26, 0x7f, v24
	v_mov_b32_e32 v38, 0x7f800001
	s_mov_b32 s20, exec_lo
	v_cmpx_ne_u32_e32 0x7f, v26
	s_cbranch_execz .LBB353_1990
; %bb.1987:                             ;   in Loop: Header=BB353_1059 Depth=1
	v_lshrrev_b32_e32 v13, 3, v26
	v_cmp_gt_u32_e64 s4, 8, v26
	v_mov_b32_e32 v27, v25
	v_mov_b32_e32 v26, v24
	s_and_saveexec_b32 s21, s4
; %bb.1988:                             ;   in Loop: Header=BB353_1059 Depth=1
	v_and_b32_e32 v13, 7, v24
	v_ffbh_u32_e32 v13, v13
	v_min_u32_e32 v13, 32, v13
	v_subrev_nc_u32_e32 v26, 28, v13
	v_sub_nc_u32_e32 v13, 29, v13
	v_lshlrev_b64 v[26:27], v26, v[24:25]
; %bb.1989:                             ;   in Loop: Header=BB353_1059 Depth=1
	s_or_b32 exec_lo, exec_lo, s21
	v_lshlrev_b32_e32 v26, 20, v26
	v_lshlrev_b32_e32 v27, 24, v24
	v_lshl_add_u32 v13, v13, 23, 0x3c000000
	v_and_b32_e32 v26, 0x700000, v26
	v_and_b32_e32 v27, 0x80000000, v27
	v_or3_b32 v38, v26, v27, v13
.LBB353_1990:                           ;   in Loop: Header=BB353_1059 Depth=1
	s_or_b32 exec_lo, exec_lo, s20
.LBB353_1991:                           ;   in Loop: Header=BB353_1059 Depth=1
	s_or_b32 exec_lo, exec_lo, s19
.LBB353_1992:                           ;   in Loop: Header=BB353_1059 Depth=1
	s_or_b32 exec_lo, exec_lo, s18
	v_cmp_ne_u16_sdwa s4, v24, v14 src0_sel:BYTE_1 src1_sel:DWORD
	s_and_saveexec_b32 s18, s4
	s_cbranch_execz .LBB353_2000
; %bb.1993:                             ;   in Loop: Header=BB353_1059 Depth=1
	v_cmp_ne_u16_sdwa s4, v24, v80 src0_sel:BYTE_1 src1_sel:DWORD
	v_bfrev_b32_e32 v84, 1
	s_and_saveexec_b32 s19, s4
	s_cbranch_execz .LBB353_1999
; %bb.1994:                             ;   in Loop: Header=BB353_1059 Depth=1
	v_mov_b32_e32 v13, 0xffff
	v_mov_b32_e32 v84, 0x7f800001
	s_mov_b32 s20, exec_lo
	v_and_b32_sdwa v13, v13, v24 dst_sel:DWORD dst_unused:UNUSED_PAD src0_sel:DWORD src1_sel:BYTE_1
	v_and_b32_e32 v26, 0x7f, v13
	v_cmpx_ne_u32_e32 0x7f, v26
	s_cbranch_execz .LBB353_1998
; %bb.1995:                             ;   in Loop: Header=BB353_1059 Depth=1
	v_and_b32_e32 v13, 7, v13
	v_lshrrev_b32_e32 v34, 3, v26
	v_cmp_gt_u32_e64 s4, 8, v26
	v_mov_b32_e32 v27, v14
	v_mov_b32_e32 v26, v13
	s_and_saveexec_b32 s21, s4
; %bb.1996:                             ;   in Loop: Header=BB353_1059 Depth=1
	v_ffbh_u32_e32 v26, v13
	v_min_u32_e32 v34, 32, v26
	v_subrev_nc_u32_e32 v26, 28, v34
	v_sub_nc_u32_e32 v34, 29, v34
	v_lshlrev_b64 v[26:27], v26, v[13:14]
	v_and_b32_e32 v26, 7, v26
; %bb.1997:                             ;   in Loop: Header=BB353_1059 Depth=1
	s_or_b32 exec_lo, exec_lo, s21
	v_lshlrev_b32_e32 v13, 16, v24
	v_lshlrev_b32_e32 v26, 20, v26
	v_lshl_add_u32 v27, v34, 23, 0x3c000000
	v_and_b32_e32 v13, 0x80000000, v13
	v_or3_b32 v84, v26, v13, v27
.LBB353_1998:                           ;   in Loop: Header=BB353_1059 Depth=1
	s_or_b32 exec_lo, exec_lo, s20
.LBB353_1999:                           ;   in Loop: Header=BB353_1059 Depth=1
	s_or_b32 exec_lo, exec_lo, s19
.LBB353_2000:                           ;   in Loop: Header=BB353_1059 Depth=1
	s_or_b32 exec_lo, exec_lo, s18
	v_and_b32_sdwa v13, v24, v82 dst_sel:DWORD dst_unused:UNUSED_PAD src0_sel:WORD_1 src1_sel:DWORD
	v_mov_b32_e32 v81, 0
	v_mov_b32_e32 v83, 0
	s_mov_b32 s18, exec_lo
	v_cmpx_ne_u16_e32 0, v13
	s_cbranch_execz .LBB353_2008
; %bb.2001:                             ;   in Loop: Header=BB353_1059 Depth=1
	v_bfrev_b32_e32 v83, 1
	s_mov_b32 s19, exec_lo
	v_cmpx_ne_u16_e32 0x80, v13
	s_cbranch_execz .LBB353_2007
; %bb.2002:                             ;   in Loop: Header=BB353_1059 Depth=1
	v_bfe_u32 v26, v24, 16, 7
	v_mov_b32_e32 v83, 0x7f800001
	s_mov_b32 s20, exec_lo
	v_cmpx_ne_u32_e32 0x7f, v26
	s_cbranch_execz .LBB353_2006
; %bb.2003:                             ;   in Loop: Header=BB353_1059 Depth=1
	v_mov_b32_e32 v13, 7
	v_lshrrev_b32_e32 v34, 3, v26
	v_cmp_gt_u32_e64 s4, 8, v26
	v_and_b32_sdwa v13, v24, v13 dst_sel:DWORD dst_unused:UNUSED_PAD src0_sel:WORD_1 src1_sel:DWORD
	v_mov_b32_e32 v27, v14
	v_mov_b32_e32 v26, v13
	s_and_saveexec_b32 s21, s4
; %bb.2004:                             ;   in Loop: Header=BB353_1059 Depth=1
	v_ffbh_u32_e32 v26, v13
	v_min_u32_e32 v34, 32, v26
	v_subrev_nc_u32_e32 v26, 28, v34
	v_sub_nc_u32_e32 v34, 29, v34
	v_lshlrev_b64 v[26:27], v26, v[13:14]
	v_and_b32_e32 v26, 7, v26
; %bb.2005:                             ;   in Loop: Header=BB353_1059 Depth=1
	s_or_b32 exec_lo, exec_lo, s21
	v_mov_b32_e32 v13, 24
	v_lshlrev_b32_e32 v26, 20, v26
	v_lshl_add_u32 v27, v34, 23, 0x3c000000
	v_lshlrev_b32_sdwa v13, v13, v24 dst_sel:DWORD dst_unused:UNUSED_PAD src0_sel:DWORD src1_sel:WORD_1
	v_and_b32_e32 v13, 0x80000000, v13
	v_or3_b32 v83, v26, v13, v27
.LBB353_2006:                           ;   in Loop: Header=BB353_1059 Depth=1
	s_or_b32 exec_lo, exec_lo, s20
.LBB353_2007:                           ;   in Loop: Header=BB353_1059 Depth=1
	s_or_b32 exec_lo, exec_lo, s19
.LBB353_2008:                           ;   in Loop: Header=BB353_1059 Depth=1
	s_or_b32 exec_lo, exec_lo, s18
	s_mov_b32 s18, exec_lo
	v_cmpx_lt_u32_e32 0xffffff, v24
	s_cbranch_execz .LBB353_2016
; %bb.2009:                             ;   in Loop: Header=BB353_1059 Depth=1
	v_cmp_ne_u32_sdwa s4, v24, v80 src0_sel:BYTE_3 src1_sel:DWORD
	v_bfrev_b32_e32 v81, 1
	s_and_saveexec_b32 s19, s4
	s_cbranch_execz .LBB353_2015
; %bb.2010:                             ;   in Loop: Header=BB353_1059 Depth=1
	v_bfe_u32 v26, v24, 24, 7
	v_mov_b32_e32 v81, 0x7f800001
	s_mov_b32 s20, exec_lo
	v_cmpx_ne_u32_e32 0x7f, v26
	s_cbranch_execz .LBB353_2014
; %bb.2011:                             ;   in Loop: Header=BB353_1059 Depth=1
	v_mov_b32_e32 v13, 7
	v_lshrrev_b32_e32 v34, 3, v26
	v_cmp_gt_u32_e64 s4, 8, v26
	v_and_b32_sdwa v13, v24, v13 dst_sel:DWORD dst_unused:UNUSED_PAD src0_sel:BYTE_3 src1_sel:DWORD
	v_mov_b32_e32 v27, v14
	v_mov_b32_e32 v26, v13
	s_and_saveexec_b32 s21, s4
; %bb.2012:                             ;   in Loop: Header=BB353_1059 Depth=1
	v_ffbh_u32_e32 v26, v13
	v_min_u32_e32 v34, 32, v26
	v_subrev_nc_u32_e32 v26, 28, v34
	v_sub_nc_u32_e32 v34, 29, v34
	v_lshlrev_b64 v[26:27], v26, v[13:14]
	v_and_b32_e32 v26, 7, v26
; %bb.2013:                             ;   in Loop: Header=BB353_1059 Depth=1
	s_or_b32 exec_lo, exec_lo, s21
	v_mov_b32_e32 v13, 24
	v_lshlrev_b32_e32 v26, 20, v26
	v_lshl_add_u32 v27, v34, 23, 0x3c000000
	v_lshlrev_b32_sdwa v13, v13, v24 dst_sel:DWORD dst_unused:UNUSED_PAD src0_sel:DWORD src1_sel:BYTE_3
	v_and_b32_e32 v13, 0x80000000, v13
	v_or3_b32 v81, v26, v13, v27
.LBB353_2014:                           ;   in Loop: Header=BB353_1059 Depth=1
	s_or_b32 exec_lo, exec_lo, s20
.LBB353_2015:                           ;   in Loop: Header=BB353_1059 Depth=1
	s_or_b32 exec_lo, exec_lo, s19
.LBB353_2016:                           ;   in Loop: Header=BB353_1059 Depth=1
	s_or_b32 exec_lo, exec_lo, s18
	v_mov_b32_e32 v13, v25
	v_cmp_ne_u16_sdwa s4, v25, v14 src0_sel:BYTE_0 src1_sel:DWORD
	v_mov_b32_e32 v34, 0
	v_mov_b32_e32 v57, 0
	s_and_saveexec_b32 s18, s4
	s_cbranch_execz .LBB353_2024
; %bb.2017:                             ;   in Loop: Header=BB353_1059 Depth=1
	v_cmp_ne_u16_sdwa s4, v25, v80 src0_sel:BYTE_0 src1_sel:DWORD
	v_bfrev_b32_e32 v57, 1
	s_and_saveexec_b32 s19, s4
	s_cbranch_execz .LBB353_2023
; %bb.2018:                             ;   in Loop: Header=BB353_1059 Depth=1
	v_and_b32_e32 v26, 0x7f, v25
	v_mov_b32_e32 v57, 0x7f800001
	s_mov_b32 s20, exec_lo
	v_cmpx_ne_u32_e32 0x7f, v26
	s_cbranch_execz .LBB353_2022
; %bb.2019:                             ;   in Loop: Header=BB353_1059 Depth=1
	v_lshrrev_b32_e32 v36, 3, v26
	v_cmp_gt_u32_e64 s4, 8, v26
	v_mov_b32_e32 v27, v14
	v_mov_b32_e32 v26, v13
	s_and_saveexec_b32 s21, s4
; %bb.2020:                             ;   in Loop: Header=BB353_1059 Depth=1
	v_and_b32_e32 v26, 7, v25
	v_ffbh_u32_e32 v26, v26
	v_min_u32_e32 v36, 32, v26
	v_subrev_nc_u32_e32 v26, 28, v36
	v_sub_nc_u32_e32 v36, 29, v36
	v_lshlrev_b64 v[26:27], v26, v[13:14]
; %bb.2021:                             ;   in Loop: Header=BB353_1059 Depth=1
	s_or_b32 exec_lo, exec_lo, s21
	v_lshlrev_b32_e32 v26, 20, v26
	v_lshlrev_b32_e32 v27, 24, v13
	v_lshl_add_u32 v36, v36, 23, 0x3c000000
	v_and_b32_e32 v26, 0x700000, v26
	v_and_b32_e32 v27, 0x80000000, v27
	v_or3_b32 v57, v26, v27, v36
.LBB353_2022:                           ;   in Loop: Header=BB353_1059 Depth=1
	s_or_b32 exec_lo, exec_lo, s20
.LBB353_2023:                           ;   in Loop: Header=BB353_1059 Depth=1
	s_or_b32 exec_lo, exec_lo, s19
.LBB353_2024:                           ;   in Loop: Header=BB353_1059 Depth=1
	s_or_b32 exec_lo, exec_lo, s18
	v_cmp_ne_u16_sdwa s4, v13, v14 src0_sel:BYTE_1 src1_sel:DWORD
	s_and_saveexec_b32 s18, s4
	s_cbranch_execz .LBB353_2032
; %bb.2025:                             ;   in Loop: Header=BB353_1059 Depth=1
	v_cmp_ne_u16_sdwa s4, v13, v80 src0_sel:BYTE_1 src1_sel:DWORD
	v_bfrev_b32_e32 v34, 1
	s_and_saveexec_b32 s19, s4
	s_cbranch_execz .LBB353_2031
; %bb.2026:                             ;   in Loop: Header=BB353_1059 Depth=1
	v_mov_b32_e32 v26, 0xffff
	v_mov_b32_e32 v34, 0x7f800001
	s_mov_b32 s20, exec_lo
	v_and_b32_sdwa v26, v26, v13 dst_sel:DWORD dst_unused:UNUSED_PAD src0_sel:DWORD src1_sel:BYTE_1
	v_and_b32_e32 v36, 0x7f, v26
	v_cmpx_ne_u32_e32 0x7f, v36
	s_cbranch_execz .LBB353_2030
; %bb.2027:                             ;   in Loop: Header=BB353_1059 Depth=1
	v_and_b32_e32 v26, 7, v26
	v_mov_b32_e32 v27, v14
	v_lshrrev_b32_e32 v34, 3, v36
	s_mov_b32 s21, exec_lo
	v_cmpx_gt_u32_e32 8, v36
; %bb.2028:                             ;   in Loop: Header=BB353_1059 Depth=1
	v_ffbh_u32_e32 v34, v26
	v_min_u32_e32 v34, 32, v34
	v_subrev_nc_u32_e32 v36, 28, v34
	v_sub_nc_u32_e32 v34, 29, v34
	v_lshlrev_b64 v[26:27], v36, v[26:27]
	v_and_b32_e32 v26, 7, v26
; %bb.2029:                             ;   in Loop: Header=BB353_1059 Depth=1
	s_or_b32 exec_lo, exec_lo, s21
	v_lshlrev_b32_e32 v13, 16, v13
	v_lshlrev_b32_e32 v26, 20, v26
	v_lshl_add_u32 v27, v34, 23, 0x3c000000
	v_and_b32_e32 v13, 0x80000000, v13
	v_or3_b32 v34, v26, v13, v27
.LBB353_2030:                           ;   in Loop: Header=BB353_1059 Depth=1
	s_or_b32 exec_lo, exec_lo, s20
.LBB353_2031:                           ;   in Loop: Header=BB353_1059 Depth=1
	s_or_b32 exec_lo, exec_lo, s19
.LBB353_2032:                           ;   in Loop: Header=BB353_1059 Depth=1
	s_or_b32 exec_lo, exec_lo, s18
	v_and_b32_sdwa v13, v25, v82 dst_sel:DWORD dst_unused:UNUSED_PAD src0_sel:WORD_1 src1_sel:DWORD
	v_mov_b32_e32 v60, 0
	v_mov_b32_e32 v58, 0
	s_mov_b32 s18, exec_lo
	v_cmpx_ne_u16_e32 0, v13
	s_cbranch_execz .LBB353_2040
; %bb.2033:                             ;   in Loop: Header=BB353_1059 Depth=1
	v_bfrev_b32_e32 v58, 1
	s_mov_b32 s19, exec_lo
	v_cmpx_ne_u16_e32 0x80, v13
	s_cbranch_execz .LBB353_2039
; %bb.2034:                             ;   in Loop: Header=BB353_1059 Depth=1
	v_bfe_u32 v26, v25, 16, 7
	v_mov_b32_e32 v58, 0x7f800001
	s_mov_b32 s20, exec_lo
	v_cmpx_ne_u32_e32 0x7f, v26
	s_cbranch_execz .LBB353_2038
; %bb.2035:                             ;   in Loop: Header=BB353_1059 Depth=1
	v_mov_b32_e32 v13, 7
	v_lshrrev_b32_e32 v36, 3, v26
	v_cmp_gt_u32_e64 s4, 8, v26
	v_and_b32_sdwa v13, v25, v13 dst_sel:DWORD dst_unused:UNUSED_PAD src0_sel:WORD_1 src1_sel:DWORD
	v_mov_b32_e32 v27, v14
	v_mov_b32_e32 v26, v13
	s_and_saveexec_b32 s21, s4
; %bb.2036:                             ;   in Loop: Header=BB353_1059 Depth=1
	v_ffbh_u32_e32 v26, v13
	v_min_u32_e32 v36, 32, v26
	v_subrev_nc_u32_e32 v26, 28, v36
	v_sub_nc_u32_e32 v36, 29, v36
	v_lshlrev_b64 v[26:27], v26, v[13:14]
	v_and_b32_e32 v26, 7, v26
; %bb.2037:                             ;   in Loop: Header=BB353_1059 Depth=1
	s_or_b32 exec_lo, exec_lo, s21
	v_mov_b32_e32 v13, 24
	v_lshlrev_b32_e32 v26, 20, v26
	v_lshl_add_u32 v27, v36, 23, 0x3c000000
	v_lshlrev_b32_sdwa v13, v13, v25 dst_sel:DWORD dst_unused:UNUSED_PAD src0_sel:DWORD src1_sel:WORD_1
	v_and_b32_e32 v13, 0x80000000, v13
	v_or3_b32 v58, v26, v13, v27
.LBB353_2038:                           ;   in Loop: Header=BB353_1059 Depth=1
	s_or_b32 exec_lo, exec_lo, s20
.LBB353_2039:                           ;   in Loop: Header=BB353_1059 Depth=1
	s_or_b32 exec_lo, exec_lo, s19
.LBB353_2040:                           ;   in Loop: Header=BB353_1059 Depth=1
	s_or_b32 exec_lo, exec_lo, s18
	s_mov_b32 s18, exec_lo
	v_cmpx_lt_u64_e64 s[6:7], v[24:25]
	s_cbranch_execz .LBB353_2048
; %bb.2041:                             ;   in Loop: Header=BB353_1059 Depth=1
	v_cmp_ne_u32_sdwa s4, v25, v80 src0_sel:BYTE_3 src1_sel:DWORD
	v_bfrev_b32_e32 v60, 1
	s_and_saveexec_b32 s19, s4
	s_cbranch_execz .LBB353_2047
; %bb.2042:                             ;   in Loop: Header=BB353_1059 Depth=1
	v_bfe_u32 v26, v25, 24, 7
	v_mov_b32_e32 v60, 0x7f800001
	s_mov_b32 s20, exec_lo
	v_cmpx_ne_u32_e32 0x7f, v26
	s_cbranch_execz .LBB353_2046
; %bb.2043:                             ;   in Loop: Header=BB353_1059 Depth=1
	v_mov_b32_e32 v13, 7
	v_lshrrev_b32_e32 v24, 3, v26
	v_cmp_gt_u32_e64 s4, 8, v26
	v_and_b32_sdwa v13, v25, v13 dst_sel:DWORD dst_unused:UNUSED_PAD src0_sel:BYTE_3 src1_sel:DWORD
	v_mov_b32_e32 v27, v14
	v_mov_b32_e32 v26, v13
	s_and_saveexec_b32 s21, s4
; %bb.2044:                             ;   in Loop: Header=BB353_1059 Depth=1
	v_ffbh_u32_e32 v24, v13
	v_min_u32_e32 v24, 32, v24
	v_subrev_nc_u32_e32 v26, 28, v24
	v_sub_nc_u32_e32 v24, 29, v24
	v_lshlrev_b64 v[26:27], v26, v[13:14]
	v_and_b32_e32 v26, 7, v26
; %bb.2045:                             ;   in Loop: Header=BB353_1059 Depth=1
	s_or_b32 exec_lo, exec_lo, s21
	v_mov_b32_e32 v13, 24
	v_lshl_add_u32 v24, v24, 23, 0x3c000000
	v_lshlrev_b32_sdwa v13, v13, v25 dst_sel:DWORD dst_unused:UNUSED_PAD src0_sel:DWORD src1_sel:BYTE_3
	v_lshlrev_b32_e32 v25, 20, v26
	v_and_b32_e32 v13, 0x80000000, v13
	v_or3_b32 v60, v25, v13, v24
.LBB353_2046:                           ;   in Loop: Header=BB353_1059 Depth=1
	s_or_b32 exec_lo, exec_lo, s20
.LBB353_2047:                           ;   in Loop: Header=BB353_1059 Depth=1
	s_or_b32 exec_lo, exec_lo, s19
.LBB353_2048:                           ;   in Loop: Header=BB353_1059 Depth=1
	s_or_b32 exec_lo, exec_lo, s18
	v_mul_f32_e32 v13, v72, v34
	v_bfe_u32 v24, v13, 16, 1
	v_or_b32_e32 v25, 0x400000, v13
	v_cmp_u_f32_e64 s4, v13, v13
	v_add3_u32 v24, v24, v13, 0x7fff
	v_cndmask_b32_e64 v13, v24, v25, s4
	v_lshrrev_b32_e32 v36, 16, v13
	v_mul_f32_e32 v13, v72, v57
	v_bfe_u32 v24, v13, 16, 1
	v_or_b32_e32 v25, 0x400000, v13
	v_cmp_u_f32_e64 s4, v13, v13
	v_add3_u32 v24, v24, v13, 0x7fff
	v_cndmask_b32_e64 v13, v24, v25, s4
	v_lshrrev_b32_e32 v57, 16, v13
	;; [unrolled: 7-line block ×8, first 2 shown]
	s_and_saveexec_b32 s18, vcc_lo
	s_cbranch_execz .LBB353_2050
; %bb.2049:                             ;   in Loop: Header=BB353_1059 Depth=1
	v_cmp_lt_i32_e64 s4, v74, v32
	v_cndmask_b32_e64 v59, 0, v59, s4
	v_cmp_lt_i32_e64 s4, v89, v32
	v_cndmask_b32_e64 v84, 0, v84, s4
	;; [unrolled: 2-line block ×8, first 2 shown]
.LBB353_2050:                           ;   in Loop: Header=BB353_1059 Depth=1
	s_or_b32 exec_lo, exec_lo, s18
	flat_load_dwordx2 v[19:20], v[19:20] offset:1792
	v_mov_b32_e32 v27, 0
	v_mov_b32_e32 v26, 0
	s_waitcnt vmcnt(0) lgkmcnt(0)
	v_cmp_ne_u16_sdwa s4, v19, v14 src0_sel:BYTE_0 src1_sel:DWORD
	s_and_saveexec_b32 s18, s4
	s_cbranch_execz .LBB353_2058
; %bb.2051:                             ;   in Loop: Header=BB353_1059 Depth=1
	v_cmp_ne_u16_sdwa s4, v19, v80 src0_sel:BYTE_0 src1_sel:DWORD
	v_bfrev_b32_e32 v26, 1
	s_and_saveexec_b32 s19, s4
	s_cbranch_execz .LBB353_2057
; %bb.2052:                             ;   in Loop: Header=BB353_1059 Depth=1
	v_and_b32_e32 v24, 0x7f, v19
	v_mov_b32_e32 v26, 0x7f800001
	s_mov_b32 s20, exec_lo
	v_cmpx_ne_u32_e32 0x7f, v24
	s_cbranch_execz .LBB353_2056
; %bb.2053:                             ;   in Loop: Header=BB353_1059 Depth=1
	v_lshrrev_b32_e32 v13, 3, v24
	v_cmp_gt_u32_e64 s4, 8, v24
	v_mov_b32_e32 v25, v20
	v_mov_b32_e32 v24, v19
	s_and_saveexec_b32 s21, s4
; %bb.2054:                             ;   in Loop: Header=BB353_1059 Depth=1
	v_and_b32_e32 v13, 7, v19
	v_ffbh_u32_e32 v13, v13
	v_min_u32_e32 v13, 32, v13
	v_subrev_nc_u32_e32 v24, 28, v13
	v_sub_nc_u32_e32 v13, 29, v13
	v_lshlrev_b64 v[24:25], v24, v[19:20]
; %bb.2055:                             ;   in Loop: Header=BB353_1059 Depth=1
	s_or_b32 exec_lo, exec_lo, s21
	v_lshlrev_b32_e32 v24, 20, v24
	v_lshlrev_b32_e32 v25, 24, v19
	v_lshl_add_u32 v13, v13, 23, 0x3c000000
	v_and_b32_e32 v24, 0x700000, v24
	v_and_b32_e32 v25, 0x80000000, v25
	v_or3_b32 v26, v24, v25, v13
.LBB353_2056:                           ;   in Loop: Header=BB353_1059 Depth=1
	s_or_b32 exec_lo, exec_lo, s20
.LBB353_2057:                           ;   in Loop: Header=BB353_1059 Depth=1
	s_or_b32 exec_lo, exec_lo, s19
.LBB353_2058:                           ;   in Loop: Header=BB353_1059 Depth=1
	s_or_b32 exec_lo, exec_lo, s18
	v_cmp_ne_u16_sdwa s4, v19, v14 src0_sel:BYTE_1 src1_sel:DWORD
	s_and_saveexec_b32 s18, s4
	s_cbranch_execz .LBB353_2066
; %bb.2059:                             ;   in Loop: Header=BB353_1059 Depth=1
	v_cmp_ne_u16_sdwa s4, v19, v80 src0_sel:BYTE_1 src1_sel:DWORD
	v_bfrev_b32_e32 v27, 1
	s_and_saveexec_b32 s19, s4
	s_cbranch_execz .LBB353_2065
; %bb.2060:                             ;   in Loop: Header=BB353_1059 Depth=1
	v_mov_b32_e32 v13, 0xffff
	v_mov_b32_e32 v27, 0x7f800001
	s_mov_b32 s20, exec_lo
	v_and_b32_sdwa v13, v13, v19 dst_sel:DWORD dst_unused:UNUSED_PAD src0_sel:DWORD src1_sel:BYTE_1
	v_and_b32_e32 v34, 0x7f, v13
	v_cmpx_ne_u32_e32 0x7f, v34
	s_cbranch_execz .LBB353_2064
; %bb.2061:                             ;   in Loop: Header=BB353_1059 Depth=1
	v_and_b32_e32 v13, 7, v13
	v_mov_b32_e32 v25, v14
	v_lshrrev_b32_e32 v25, 3, v34
	s_mov_b32 s21, exec_lo
	v_mov_b32_e32 v24, v13
	v_cmpx_gt_u32_e32 8, v34
; %bb.2062:                             ;   in Loop: Header=BB353_1059 Depth=1
	v_ffbh_u32_e32 v24, v13
	v_min_u32_e32 v27, 32, v24
	v_subrev_nc_u32_e32 v24, 28, v27
	v_lshlrev_b64 v[24:25], v24, v[13:14]
	v_sub_nc_u32_e32 v25, 29, v27
	v_and_b32_e32 v24, 7, v24
; %bb.2063:                             ;   in Loop: Header=BB353_1059 Depth=1
	s_or_b32 exec_lo, exec_lo, s21
	v_lshlrev_b32_e32 v13, 16, v19
	v_lshlrev_b32_e32 v24, 20, v24
	v_lshl_add_u32 v25, v25, 23, 0x3c000000
	v_and_b32_e32 v13, 0x80000000, v13
	v_or3_b32 v27, v24, v13, v25
.LBB353_2064:                           ;   in Loop: Header=BB353_1059 Depth=1
	s_or_b32 exec_lo, exec_lo, s20
.LBB353_2065:                           ;   in Loop: Header=BB353_1059 Depth=1
	s_or_b32 exec_lo, exec_lo, s19
.LBB353_2066:                           ;   in Loop: Header=BB353_1059 Depth=1
	s_or_b32 exec_lo, exec_lo, s18
	v_and_b32_sdwa v13, v19, v82 dst_sel:DWORD dst_unused:UNUSED_PAD src0_sel:WORD_1 src1_sel:DWORD
	v_mov_b32_e32 v61, 0
	v_mov_b32_e32 v38, 0
	s_mov_b32 s18, exec_lo
	v_cmpx_ne_u16_e32 0, v13
	s_cbranch_execz .LBB353_2074
; %bb.2067:                             ;   in Loop: Header=BB353_1059 Depth=1
	v_bfrev_b32_e32 v38, 1
	s_mov_b32 s19, exec_lo
	v_cmpx_ne_u16_e32 0x80, v13
	s_cbranch_execz .LBB353_2073
; %bb.2068:                             ;   in Loop: Header=BB353_1059 Depth=1
	v_bfe_u32 v34, v19, 16, 7
	v_mov_b32_e32 v38, 0x7f800001
	s_mov_b32 s20, exec_lo
	v_cmpx_ne_u32_e32 0x7f, v34
	s_cbranch_execz .LBB353_2072
; %bb.2069:                             ;   in Loop: Header=BB353_1059 Depth=1
	v_mov_b32_e32 v13, 7
	s_mov_b32 s21, exec_lo
	v_and_b32_sdwa v13, v19, v13 dst_sel:DWORD dst_unused:UNUSED_PAD src0_sel:WORD_1 src1_sel:DWORD
	v_mov_b32_e32 v25, v14
	v_lshrrev_b32_e32 v25, 3, v34
	v_mov_b32_e32 v24, v13
	v_cmpx_gt_u32_e32 8, v34
; %bb.2070:                             ;   in Loop: Header=BB353_1059 Depth=1
	v_ffbh_u32_e32 v24, v13
	v_min_u32_e32 v34, 32, v24
	v_subrev_nc_u32_e32 v24, 28, v34
	v_lshlrev_b64 v[24:25], v24, v[13:14]
	v_sub_nc_u32_e32 v25, 29, v34
	v_and_b32_e32 v24, 7, v24
; %bb.2071:                             ;   in Loop: Header=BB353_1059 Depth=1
	s_or_b32 exec_lo, exec_lo, s21
	v_mov_b32_e32 v13, 24
	v_lshlrev_b32_e32 v24, 20, v24
	v_lshl_add_u32 v25, v25, 23, 0x3c000000
	v_lshlrev_b32_sdwa v13, v13, v19 dst_sel:DWORD dst_unused:UNUSED_PAD src0_sel:DWORD src1_sel:WORD_1
	v_and_b32_e32 v13, 0x80000000, v13
	v_or3_b32 v38, v24, v13, v25
.LBB353_2072:                           ;   in Loop: Header=BB353_1059 Depth=1
	s_or_b32 exec_lo, exec_lo, s20
.LBB353_2073:                           ;   in Loop: Header=BB353_1059 Depth=1
	s_or_b32 exec_lo, exec_lo, s19
.LBB353_2074:                           ;   in Loop: Header=BB353_1059 Depth=1
	s_or_b32 exec_lo, exec_lo, s18
	s_mov_b32 s18, exec_lo
	v_cmpx_lt_u32_e32 0xffffff, v19
	s_cbranch_execz .LBB353_2082
; %bb.2075:                             ;   in Loop: Header=BB353_1059 Depth=1
	v_cmp_ne_u32_sdwa s4, v19, v80 src0_sel:BYTE_3 src1_sel:DWORD
	v_bfrev_b32_e32 v61, 1
	s_and_saveexec_b32 s19, s4
	s_cbranch_execz .LBB353_2081
; %bb.2076:                             ;   in Loop: Header=BB353_1059 Depth=1
	v_bfe_u32 v34, v19, 24, 7
	v_mov_b32_e32 v61, 0x7f800001
	s_mov_b32 s20, exec_lo
	v_cmpx_ne_u32_e32 0x7f, v34
	s_cbranch_execz .LBB353_2080
; %bb.2077:                             ;   in Loop: Header=BB353_1059 Depth=1
	v_mov_b32_e32 v13, 7
	s_mov_b32 s21, exec_lo
	v_and_b32_sdwa v13, v19, v13 dst_sel:DWORD dst_unused:UNUSED_PAD src0_sel:BYTE_3 src1_sel:DWORD
	v_mov_b32_e32 v25, v14
	v_lshrrev_b32_e32 v25, 3, v34
	v_mov_b32_e32 v24, v13
	v_cmpx_gt_u32_e32 8, v34
; %bb.2078:                             ;   in Loop: Header=BB353_1059 Depth=1
	v_ffbh_u32_e32 v24, v13
	v_min_u32_e32 v34, 32, v24
	v_subrev_nc_u32_e32 v24, 28, v34
	v_lshlrev_b64 v[24:25], v24, v[13:14]
	v_sub_nc_u32_e32 v25, 29, v34
	v_and_b32_e32 v24, 7, v24
; %bb.2079:                             ;   in Loop: Header=BB353_1059 Depth=1
	s_or_b32 exec_lo, exec_lo, s21
	v_mov_b32_e32 v13, 24
	v_lshlrev_b32_e32 v24, 20, v24
	v_lshl_add_u32 v25, v25, 23, 0x3c000000
	v_lshlrev_b32_sdwa v13, v13, v19 dst_sel:DWORD dst_unused:UNUSED_PAD src0_sel:DWORD src1_sel:BYTE_3
	v_and_b32_e32 v13, 0x80000000, v13
	v_or3_b32 v61, v24, v13, v25
.LBB353_2080:                           ;   in Loop: Header=BB353_1059 Depth=1
	s_or_b32 exec_lo, exec_lo, s20
.LBB353_2081:                           ;   in Loop: Header=BB353_1059 Depth=1
	s_or_b32 exec_lo, exec_lo, s19
.LBB353_2082:                           ;   in Loop: Header=BB353_1059 Depth=1
	s_or_b32 exec_lo, exec_lo, s18
	v_mov_b32_e32 v13, v20
	v_cmp_ne_u16_sdwa s4, v20, v14 src0_sel:BYTE_0 src1_sel:DWORD
	v_mov_b32_e32 v34, 0
	v_mov_b32_e32 v73, 0
	s_and_saveexec_b32 s18, s4
	s_cbranch_execz .LBB353_2090
; %bb.2083:                             ;   in Loop: Header=BB353_1059 Depth=1
	v_cmp_ne_u16_sdwa s4, v20, v80 src0_sel:BYTE_0 src1_sel:DWORD
	v_bfrev_b32_e32 v73, 1
	s_and_saveexec_b32 s19, s4
	s_cbranch_execz .LBB353_2089
; %bb.2084:                             ;   in Loop: Header=BB353_1059 Depth=1
	v_and_b32_e32 v37, 0x7f, v20
	v_mov_b32_e32 v73, 0x7f800001
	s_mov_b32 s20, exec_lo
	v_cmpx_ne_u32_e32 0x7f, v37
	s_cbranch_execz .LBB353_2088
; %bb.2085:                             ;   in Loop: Header=BB353_1059 Depth=1
	v_mov_b32_e32 v25, v14
	v_mov_b32_e32 v24, v13
	v_lshrrev_b32_e32 v25, 3, v37
	s_mov_b32 s21, exec_lo
	v_cmpx_gt_u32_e32 8, v37
; %bb.2086:                             ;   in Loop: Header=BB353_1059 Depth=1
	v_and_b32_e32 v24, 7, v20
	v_ffbh_u32_e32 v24, v24
	v_min_u32_e32 v37, 32, v24
	v_subrev_nc_u32_e32 v24, 28, v37
	v_lshlrev_b64 v[24:25], v24, v[13:14]
	v_sub_nc_u32_e32 v25, 29, v37
; %bb.2087:                             ;   in Loop: Header=BB353_1059 Depth=1
	s_or_b32 exec_lo, exec_lo, s21
	v_lshlrev_b32_e32 v24, 20, v24
	v_lshlrev_b32_e32 v37, 24, v13
	v_lshl_add_u32 v25, v25, 23, 0x3c000000
	v_and_b32_e32 v24, 0x700000, v24
	v_and_b32_e32 v37, 0x80000000, v37
	v_or3_b32 v73, v24, v37, v25
.LBB353_2088:                           ;   in Loop: Header=BB353_1059 Depth=1
	s_or_b32 exec_lo, exec_lo, s20
.LBB353_2089:                           ;   in Loop: Header=BB353_1059 Depth=1
	s_or_b32 exec_lo, exec_lo, s19
.LBB353_2090:                           ;   in Loop: Header=BB353_1059 Depth=1
	s_or_b32 exec_lo, exec_lo, s18
	v_cmp_ne_u16_sdwa s4, v13, v14 src0_sel:BYTE_1 src1_sel:DWORD
	s_and_saveexec_b32 s18, s4
	s_cbranch_execz .LBB353_2098
; %bb.2091:                             ;   in Loop: Header=BB353_1059 Depth=1
	v_cmp_ne_u16_sdwa s4, v13, v80 src0_sel:BYTE_1 src1_sel:DWORD
	v_bfrev_b32_e32 v34, 1
	s_and_saveexec_b32 s19, s4
	s_cbranch_execz .LBB353_2097
; %bb.2092:                             ;   in Loop: Header=BB353_1059 Depth=1
	v_mov_b32_e32 v24, 0xffff
	v_mov_b32_e32 v34, 0x7f800001
	s_mov_b32 s20, exec_lo
	v_and_b32_sdwa v24, v24, v13 dst_sel:DWORD dst_unused:UNUSED_PAD src0_sel:DWORD src1_sel:BYTE_1
	v_and_b32_e32 v37, 0x7f, v24
	v_cmpx_ne_u32_e32 0x7f, v37
	s_cbranch_execz .LBB353_2096
; %bb.2093:                             ;   in Loop: Header=BB353_1059 Depth=1
	v_and_b32_e32 v24, 7, v24
	v_mov_b32_e32 v25, v14
	v_lshrrev_b32_e32 v34, 3, v37
	s_mov_b32 s21, exec_lo
	v_cmpx_gt_u32_e32 8, v37
; %bb.2094:                             ;   in Loop: Header=BB353_1059 Depth=1
	v_ffbh_u32_e32 v34, v24
	v_min_u32_e32 v34, 32, v34
	v_subrev_nc_u32_e32 v37, 28, v34
	v_sub_nc_u32_e32 v34, 29, v34
	v_lshlrev_b64 v[24:25], v37, v[24:25]
	v_and_b32_e32 v24, 7, v24
; %bb.2095:                             ;   in Loop: Header=BB353_1059 Depth=1
	s_or_b32 exec_lo, exec_lo, s21
	v_lshlrev_b32_e32 v13, 16, v13
	v_lshlrev_b32_e32 v24, 20, v24
	v_lshl_add_u32 v25, v34, 23, 0x3c000000
	v_and_b32_e32 v13, 0x80000000, v13
	v_or3_b32 v34, v24, v13, v25
.LBB353_2096:                           ;   in Loop: Header=BB353_1059 Depth=1
	s_or_b32 exec_lo, exec_lo, s20
.LBB353_2097:                           ;   in Loop: Header=BB353_1059 Depth=1
	s_or_b32 exec_lo, exec_lo, s19
.LBB353_2098:                           ;   in Loop: Header=BB353_1059 Depth=1
	s_or_b32 exec_lo, exec_lo, s18
	v_and_b32_sdwa v13, v20, v82 dst_sel:DWORD dst_unused:UNUSED_PAD src0_sel:WORD_1 src1_sel:DWORD
	v_mov_b32_e32 v62, 0
	v_mov_b32_e32 v63, 0
	s_mov_b32 s18, exec_lo
	v_cmpx_ne_u16_e32 0, v13
	s_cbranch_execz .LBB353_2106
; %bb.2099:                             ;   in Loop: Header=BB353_1059 Depth=1
	v_bfrev_b32_e32 v63, 1
	s_mov_b32 s19, exec_lo
	v_cmpx_ne_u16_e32 0x80, v13
	s_cbranch_execz .LBB353_2105
; %bb.2100:                             ;   in Loop: Header=BB353_1059 Depth=1
	v_bfe_u32 v37, v20, 16, 7
	v_mov_b32_e32 v63, 0x7f800001
	s_mov_b32 s20, exec_lo
	v_cmpx_ne_u32_e32 0x7f, v37
	s_cbranch_execz .LBB353_2104
; %bb.2101:                             ;   in Loop: Header=BB353_1059 Depth=1
	v_mov_b32_e32 v13, 7
	s_mov_b32 s21, exec_lo
	v_and_b32_sdwa v13, v20, v13 dst_sel:DWORD dst_unused:UNUSED_PAD src0_sel:WORD_1 src1_sel:DWORD
	v_mov_b32_e32 v25, v14
	v_lshrrev_b32_e32 v25, 3, v37
	v_mov_b32_e32 v24, v13
	v_cmpx_gt_u32_e32 8, v37
; %bb.2102:                             ;   in Loop: Header=BB353_1059 Depth=1
	v_ffbh_u32_e32 v24, v13
	v_min_u32_e32 v37, 32, v24
	v_subrev_nc_u32_e32 v24, 28, v37
	v_lshlrev_b64 v[24:25], v24, v[13:14]
	v_sub_nc_u32_e32 v25, 29, v37
	v_and_b32_e32 v24, 7, v24
; %bb.2103:                             ;   in Loop: Header=BB353_1059 Depth=1
	s_or_b32 exec_lo, exec_lo, s21
	v_mov_b32_e32 v13, 24
	v_lshlrev_b32_e32 v24, 20, v24
	v_lshl_add_u32 v25, v25, 23, 0x3c000000
	v_lshlrev_b32_sdwa v13, v13, v20 dst_sel:DWORD dst_unused:UNUSED_PAD src0_sel:DWORD src1_sel:WORD_1
	v_and_b32_e32 v13, 0x80000000, v13
	v_or3_b32 v63, v24, v13, v25
.LBB353_2104:                           ;   in Loop: Header=BB353_1059 Depth=1
	s_or_b32 exec_lo, exec_lo, s20
.LBB353_2105:                           ;   in Loop: Header=BB353_1059 Depth=1
	s_or_b32 exec_lo, exec_lo, s19
.LBB353_2106:                           ;   in Loop: Header=BB353_1059 Depth=1
	s_or_b32 exec_lo, exec_lo, s18
	s_mov_b32 s18, exec_lo
	v_cmpx_lt_u64_e64 s[6:7], v[19:20]
	s_cbranch_execz .LBB353_2114
; %bb.2107:                             ;   in Loop: Header=BB353_1059 Depth=1
	v_cmp_ne_u32_sdwa s4, v20, v80 src0_sel:BYTE_3 src1_sel:DWORD
	v_bfrev_b32_e32 v62, 1
	s_and_saveexec_b32 s19, s4
	s_cbranch_execz .LBB353_2113
; %bb.2108:                             ;   in Loop: Header=BB353_1059 Depth=1
	v_bfe_u32 v37, v20, 24, 7
	v_mov_b32_e32 v62, 0x7f800001
	s_mov_b32 s20, exec_lo
	v_cmpx_ne_u32_e32 0x7f, v37
	s_cbranch_execz .LBB353_2112
; %bb.2109:                             ;   in Loop: Header=BB353_1059 Depth=1
	v_mov_b32_e32 v13, 7
	v_lshrrev_b32_e32 v19, 3, v37
	s_mov_b32 s21, exec_lo
	v_and_b32_sdwa v13, v20, v13 dst_sel:DWORD dst_unused:UNUSED_PAD src0_sel:BYTE_3 src1_sel:DWORD
	v_mov_b32_e32 v25, v14
	v_mov_b32_e32 v24, v13
	v_cmpx_gt_u32_e32 8, v37
; %bb.2110:                             ;   in Loop: Header=BB353_1059 Depth=1
	v_ffbh_u32_e32 v19, v13
	v_min_u32_e32 v19, 32, v19
	v_subrev_nc_u32_e32 v24, 28, v19
	v_sub_nc_u32_e32 v19, 29, v19
	v_lshlrev_b64 v[24:25], v24, v[13:14]
	v_and_b32_e32 v24, 7, v24
; %bb.2111:                             ;   in Loop: Header=BB353_1059 Depth=1
	s_or_b32 exec_lo, exec_lo, s21
	v_mov_b32_e32 v13, 24
	v_lshl_add_u32 v19, v19, 23, 0x3c000000
	v_lshlrev_b32_sdwa v13, v13, v20 dst_sel:DWORD dst_unused:UNUSED_PAD src0_sel:DWORD src1_sel:BYTE_3
	v_lshlrev_b32_e32 v20, 20, v24
	v_and_b32_e32 v13, 0x80000000, v13
	v_or3_b32 v62, v20, v13, v19
.LBB353_2112:                           ;   in Loop: Header=BB353_1059 Depth=1
	s_or_b32 exec_lo, exec_lo, s20
.LBB353_2113:                           ;   in Loop: Header=BB353_1059 Depth=1
	s_or_b32 exec_lo, exec_lo, s19
.LBB353_2114:                           ;   in Loop: Header=BB353_1059 Depth=1
	s_or_b32 exec_lo, exec_lo, s18
	v_mul_f32_e32 v13, v72, v34
	v_bfe_u32 v19, v13, 16, 1
	v_or_b32_e32 v20, 0x400000, v13
	v_cmp_u_f32_e64 s4, v13, v13
	v_add3_u32 v19, v19, v13, 0x7fff
	v_cndmask_b32_e64 v13, v19, v20, s4
	v_mul_f32_e32 v19, v72, v73
	v_lshrrev_b32_e32 v13, 16, v13
	v_bfe_u32 v20, v19, 16, 1
	v_or_b32_e32 v24, 0x400000, v19
	v_cmp_u_f32_e64 s4, v19, v19
	v_add3_u32 v20, v20, v19, 0x7fff
	v_cndmask_b32_e64 v19, v20, v24, s4
	v_mul_f32_e32 v20, v72, v61
	v_lshrrev_b32_e32 v19, 16, v19
	;; [unrolled: 7-line block ×3, first 2 shown]
	v_bfe_u32 v25, v24, 16, 1
	v_or_b32_e32 v34, 0x400000, v24
	v_cmp_u_f32_e64 s4, v24, v24
	v_add3_u32 v25, v25, v24, 0x7fff
	v_cndmask_b32_e64 v24, v25, v34, s4
	v_lshrrev_b32_e32 v25, 16, v24
	v_mul_f32_e32 v24, v72, v27
	v_bfe_u32 v27, v24, 16, 1
	v_or_b32_e32 v34, 0x400000, v24
	v_cmp_u_f32_e64 s4, v24, v24
	v_add3_u32 v27, v27, v24, 0x7fff
	v_cndmask_b32_e64 v24, v27, v34, s4
	v_lshrrev_b32_e32 v27, 16, v24
	v_mul_f32_e32 v24, v72, v26
	;; [unrolled: 7-line block ×3, first 2 shown]
	v_bfe_u32 v26, v24, 16, 1
	v_or_b32_e32 v34, 0x400000, v24
	v_cmp_u_f32_e64 s4, v24, v24
	v_add3_u32 v26, v26, v24, 0x7fff
	v_cndmask_b32_e64 v24, v26, v34, s4
	v_mul_f32_e32 v26, v72, v62
	v_lshrrev_b32_e32 v24, 16, v24
	v_bfe_u32 v34, v26, 16, 1
	v_or_b32_e32 v37, 0x400000, v26
	v_cmp_u_f32_e64 s4, v26, v26
	v_add3_u32 v34, v34, v26, 0x7fff
	v_cndmask_b32_e64 v26, v34, v37, s4
	v_lshrrev_b32_e32 v26, 16, v26
	s_and_saveexec_b32 s4, vcc_lo
	s_cbranch_execz .LBB353_1057
; %bb.2115:                             ;   in Loop: Header=BB353_1059 Depth=1
	v_cmp_lt_i32_e32 vcc_lo, v74, v32
	v_cndmask_b32_e32 v38, 0, v38, vcc_lo
	v_cmp_lt_i32_e32 vcc_lo, v89, v32
	v_cndmask_b32_e32 v27, 0, v27, vcc_lo
	;; [unrolled: 2-line block ×8, first 2 shown]
	s_branch .LBB353_1057
.LBB353_2116:
	s_or_b32 exec_lo, exec_lo, s13
	s_clause 0x11
	buffer_load_dword v38, off, s[0:3], s32 offset:456
	buffer_load_dword v15, off, s[0:3], s32 offset:460
	;; [unrolled: 1-line block ×18, first 2 shown]
.LBB353_2117:
	s_or_b32 exec_lo, exec_lo, s5
	s_waitcnt vmcnt(1)
	ds_bpermute_b32 v0, v15, v21
	ds_bpermute_b32 v2, v15, v20
	;; [unrolled: 1-line block ×4, first 2 shown]
	s_waitcnt vmcnt(0)
	ds_bpermute_b32 v1, v15, v27
	ds_bpermute_b32 v4, v15, v17
	;; [unrolled: 1-line block ×12, first 2 shown]
	v_mov_b32_e32 v33, v19
	s_waitcnt lgkmcnt(0)
	s_waitcnt_vscnt null, 0x0
	s_barrier
	buffer_gl0_inv
	v_add_f32_e32 v0, v21, v0
	v_add_f32_e32 v2, v20, v2
	;; [unrolled: 1-line block ×5, first 2 shown]
	ds_bpermute_b32 v16, v38, v0
	ds_bpermute_b32 v18, v38, v2
	v_add_f32_e32 v4, v17, v4
	v_add_f32_e32 v6, v28, v6
	ds_bpermute_b32 v17, v38, v1
	v_add_f32_e32 v7, v25, v7
	v_add_f32_e32 v22, v22, v8
	;; [unrolled: 1-line block ×9, first 2 shown]
	ds_bpermute_b32 v19, v38, v3
	ds_bpermute_b32 v20, v38, v4
	;; [unrolled: 1-line block ×6, first 2 shown]
	s_waitcnt lgkmcnt(8)
	v_add_f32_e32 v15, v0, v16
	buffer_load_dword v16, off, s[0:3], s32 offset:428 ; 4-byte Folded Reload
	s_waitcnt lgkmcnt(7)
	v_add_f32_e32 v13, v2, v18
	s_clause 0x1
	buffer_load_dword v2, off, s[0:3], s32 offset:432
	buffer_load_dword v18, off, s[0:3], s32 offset:908
	ds_bpermute_b32 v27, v38, v23
	ds_bpermute_b32 v28, v38, v24
	;; [unrolled: 1-line block ×7, first 2 shown]
	s_load_dword s4, s[8:9], 0x0
	s_waitcnt lgkmcnt(0)
	v_add_f32_e32 v14, v1, v17
	v_add_f32_e32 v12, v3, v19
	;; [unrolled: 1-line block ×7, first 2 shown]
	s_mov_b32 s5, exec_lo
	v_add_f32_e32 v6, v23, v27
	v_add_f32_e32 v5, v24, v28
	v_add_f32_e32 v4, v29, v34
	v_add_f32_e32 v3, v30, v35
	v_add_f32_e32 v0, v31, v36
	v_add_f32_e32 v1, v32, v37
	s_waitcnt vmcnt(2)
	v_and_b32_e32 v17, 28, v16
	v_lshrrev_b32_e32 v16, 2, v16
	s_waitcnt vmcnt(1)
	v_and_b32_e32 v19, 0x3c3, v2
	v_add_f32_e32 v2, v33, v38
	s_waitcnt vmcnt(0)
	v_lshlrev_b32_e32 v18, 9, v18
	v_add_nc_u32_e32 v17, s4, v17
	v_cmpx_eq_u32_e32 64, v19
	s_cbranch_execz .LBB353_2119
; %bb.2118:
	v_add_nc_u32_e32 v19, v17, v18
	v_add_nc_u32_e32 v20, 0xfffffc00, v19
	;; [unrolled: 1-line block ×7, first 2 shown]
	ds_write_b32 v20, v15
	ds_write_b32 v21, v14
	;; [unrolled: 1-line block ×6, first 2 shown]
	v_add_nc_u32_e32 v20, 0xfffffcc0, v19
	v_add_nc_u32_e32 v21, 0xfffffce0, v19
	;; [unrolled: 1-line block ×5, first 2 shown]
	ds_write_b32 v20, v9
	ds_write_b32 v21, v8
	;; [unrolled: 1-line block ×5, first 2 shown]
	v_add_nc_u32_e32 v20, 0xfffffd60, v19
	v_add_nc_u32_e32 v21, 0xfffffd80, v19
	;; [unrolled: 1-line block ×5, first 2 shown]
	ds_write_b32 v20, v4
	ds_write_b32 v21, v3
	;; [unrolled: 1-line block ×5, first 2 shown]
.LBB353_2119:
	s_or_b32 exec_lo, exec_lo, s5
	v_lshlrev_b32_e32 v16, 2, v16
	s_mov_b32 s5, exec_lo
	v_cmp_eq_u32_e32 vcc_lo, 0, v39
	v_add3_u32 v16, s4, v18, v16
	buffer_load_dword v18, off, s[0:3], s32 offset:432 ; 4-byte Folded Reload
	s_waitcnt vmcnt(0) lgkmcnt(0)
	s_barrier
	buffer_gl0_inv
	v_cmpx_gt_u32_e32 64, v18
	s_cbranch_execz .LBB353_2138
; %bb.2120:
	s_and_saveexec_b32 s4, vcc_lo
	s_cbranch_execnz .LBB353_2162
; %bb.2121:
	s_or_b32 exec_lo, exec_lo, s4
	s_and_saveexec_b32 s4, vcc_lo
	s_cbranch_execnz .LBB353_2163
.LBB353_2122:
	s_or_b32 exec_lo, exec_lo, s4
	s_and_saveexec_b32 s4, vcc_lo
	s_cbranch_execnz .LBB353_2164
.LBB353_2123:
	s_or_b32 exec_lo, exec_lo, s4
	s_and_saveexec_b32 s4, vcc_lo
	s_cbranch_execnz .LBB353_2165
.LBB353_2124:
	s_or_b32 exec_lo, exec_lo, s4
	s_and_saveexec_b32 s4, vcc_lo
	s_cbranch_execnz .LBB353_2166
.LBB353_2125:
	s_or_b32 exec_lo, exec_lo, s4
	s_and_saveexec_b32 s4, vcc_lo
	s_cbranch_execnz .LBB353_2167
.LBB353_2126:
	s_or_b32 exec_lo, exec_lo, s4
	s_and_saveexec_b32 s4, vcc_lo
	s_cbranch_execnz .LBB353_2168
.LBB353_2127:
	s_or_b32 exec_lo, exec_lo, s4
	s_and_saveexec_b32 s4, vcc_lo
	s_cbranch_execnz .LBB353_2169
.LBB353_2128:
	s_or_b32 exec_lo, exec_lo, s4
	s_and_saveexec_b32 s4, vcc_lo
	s_cbranch_execnz .LBB353_2170
.LBB353_2129:
	s_or_b32 exec_lo, exec_lo, s4
	s_and_saveexec_b32 s4, vcc_lo
	s_cbranch_execnz .LBB353_2171
.LBB353_2130:
	s_or_b32 exec_lo, exec_lo, s4
	s_and_saveexec_b32 s4, vcc_lo
	s_cbranch_execnz .LBB353_2172
.LBB353_2131:
	s_or_b32 exec_lo, exec_lo, s4
	s_and_saveexec_b32 s4, vcc_lo
	s_cbranch_execnz .LBB353_2173
.LBB353_2132:
	s_or_b32 exec_lo, exec_lo, s4
	s_and_saveexec_b32 s4, vcc_lo
	s_cbranch_execnz .LBB353_2174
.LBB353_2133:
	s_or_b32 exec_lo, exec_lo, s4
	s_and_saveexec_b32 s4, vcc_lo
	s_cbranch_execnz .LBB353_2175
.LBB353_2134:
	s_or_b32 exec_lo, exec_lo, s4
	s_and_saveexec_b32 s4, vcc_lo
	s_cbranch_execnz .LBB353_2176
.LBB353_2135:
	s_or_b32 exec_lo, exec_lo, s4
	s_and_saveexec_b32 s4, vcc_lo
	s_cbranch_execz .LBB353_2137
.LBB353_2136:
	ds_read_b32 v18, v16 offset:480
	s_waitcnt lgkmcnt(0)
	v_add_f32_e32 v2, v18, v2
.LBB353_2137:
	s_or_b32 exec_lo, exec_lo, s4
.LBB353_2138:
	s_or_b32 exec_lo, exec_lo, s5
	buffer_load_dword v18, off, s[0:3], s32 offset:432 ; 4-byte Folded Reload
	s_mov_b32 s5, exec_lo
	s_waitcnt vmcnt(0)
	s_barrier
	buffer_gl0_inv
	v_and_b32_e32 v18, 0x3e3, v18
	v_cmpx_eq_u32_e32 32, v18
	s_cbranch_execz .LBB353_2140
; %bb.2139:
	ds_write2_b32 v17, v15, v14 offset1:8
	ds_write2_b32 v17, v13, v12 offset0:16 offset1:24
	ds_write2_b32 v17, v11, v10 offset0:32 offset1:40
	;; [unrolled: 1-line block ×7, first 2 shown]
.LBB353_2140:
	s_or_b32 exec_lo, exec_lo, s5
	buffer_load_dword v17, off, s[0:3], s32 offset:432 ; 4-byte Folded Reload
	s_mov_b32 s5, exec_lo
	s_waitcnt vmcnt(0) lgkmcnt(0)
	s_barrier
	buffer_gl0_inv
	v_cmpx_gt_u32_e32 32, v17
	s_cbranch_execz .LBB353_2159
; %bb.2141:
	s_and_saveexec_b32 s4, vcc_lo
	s_cbranch_execnz .LBB353_2177
; %bb.2142:
	s_or_b32 exec_lo, exec_lo, s4
	s_and_saveexec_b32 s4, vcc_lo
	s_cbranch_execnz .LBB353_2178
.LBB353_2143:
	s_or_b32 exec_lo, exec_lo, s4
	s_and_saveexec_b32 s4, vcc_lo
	s_cbranch_execnz .LBB353_2179
.LBB353_2144:
	s_or_b32 exec_lo, exec_lo, s4
	s_and_saveexec_b32 s4, vcc_lo
	s_cbranch_execnz .LBB353_2180
.LBB353_2145:
	s_or_b32 exec_lo, exec_lo, s4
	s_and_saveexec_b32 s4, vcc_lo
	s_cbranch_execnz .LBB353_2181
.LBB353_2146:
	s_or_b32 exec_lo, exec_lo, s4
	s_and_saveexec_b32 s4, vcc_lo
	s_cbranch_execnz .LBB353_2182
.LBB353_2147:
	s_or_b32 exec_lo, exec_lo, s4
	s_and_saveexec_b32 s4, vcc_lo
	s_cbranch_execnz .LBB353_2183
.LBB353_2148:
	s_or_b32 exec_lo, exec_lo, s4
	s_and_saveexec_b32 s4, vcc_lo
	s_cbranch_execnz .LBB353_2184
.LBB353_2149:
	s_or_b32 exec_lo, exec_lo, s4
	s_and_saveexec_b32 s4, vcc_lo
	s_cbranch_execnz .LBB353_2185
.LBB353_2150:
	s_or_b32 exec_lo, exec_lo, s4
	s_and_saveexec_b32 s4, vcc_lo
	s_cbranch_execnz .LBB353_2186
.LBB353_2151:
	s_or_b32 exec_lo, exec_lo, s4
	s_and_saveexec_b32 s4, vcc_lo
	s_cbranch_execnz .LBB353_2187
.LBB353_2152:
	s_or_b32 exec_lo, exec_lo, s4
	s_and_saveexec_b32 s4, vcc_lo
	s_cbranch_execnz .LBB353_2188
.LBB353_2153:
	s_or_b32 exec_lo, exec_lo, s4
	s_and_saveexec_b32 s4, vcc_lo
	s_cbranch_execnz .LBB353_2189
.LBB353_2154:
	s_or_b32 exec_lo, exec_lo, s4
	s_and_saveexec_b32 s4, vcc_lo
	s_cbranch_execnz .LBB353_2190
.LBB353_2155:
	s_or_b32 exec_lo, exec_lo, s4
	s_and_saveexec_b32 s4, vcc_lo
	s_cbranch_execnz .LBB353_2191
.LBB353_2156:
	s_or_b32 exec_lo, exec_lo, s4
	s_and_saveexec_b32 s4, vcc_lo
	s_cbranch_execz .LBB353_2158
.LBB353_2157:
	ds_read_b32 v16, v16 offset:480
	s_waitcnt lgkmcnt(0)
	v_add_f32_e32 v2, v16, v2
.LBB353_2158:
	s_or_b32 exec_lo, exec_lo, s4
.LBB353_2159:
	s_or_b32 exec_lo, exec_lo, s5
	s_mov_b32 s4, exec_lo
	s_barrier
	buffer_gl0_inv
	v_cmpx_eq_u32_e32 0, v18
	s_cbranch_execz .LBB353_2161
; %bb.2160:
	s_clause 0x2
	buffer_load_dword v19, off, s[0:3], s32 offset:916
	buffer_load_dword v16, off, s[0:3], s32 offset:432
	;; [unrolled: 1-line block ×3, first 2 shown]
	s_and_b32 s5, 0xffff, s12
	v_bfe_u32 v17, v15, 16, 1
	s_cmp_lg_u32 s5, 0
	v_or_b32_e32 v18, 0x400000, v15
	s_cselect_b32 s5, -1, 0
	s_cmp_lg_u32 s5, 0
	v_add3_u32 v21, v17, v15, 0x7fff
	s_addc_u32 s5, s15, 0
	s_lshl_b32 s6, s14, 7
	s_mul_i32 s7, s10, s5
	s_mul_i32 s8, s16, s5
	;; [unrolled: 1-line block ×3, first 2 shown]
	s_ashr_i32 s9, s8, 31
	s_lshl_b32 s10, s7, 7
	s_lshl_b64 s[8:9], s[8:9], 1
	s_ashr_i32 s11, s10, 31
	s_ashr_i32 s7, s6, 31
	s_lshl_b64 s[10:11], s[10:11], 1
	s_lshl_b64 s[6:7], s[6:7], 1
	s_waitcnt vmcnt(2)
	v_add_co_u32 v19, vcc_lo, v19, s10
	s_waitcnt vmcnt(0)
	v_add_co_ci_u32_e64 v20, null, s11, v20, vcc_lo
	v_lshrrev_b32_e32 v16, 1, v16
	v_add_co_u32 v19, vcc_lo, v19, s8
	v_add_co_ci_u32_e64 v20, null, s9, v20, vcc_lo
	v_add_co_u32 v19, vcc_lo, v19, s6
	v_add_co_ci_u32_e64 v20, null, s7, v20, vcc_lo
	;; [unrolled: 2-line block ×3, first 2 shown]
	v_bfe_u32 v19, v14, 16, 1
	v_cmp_u_f32_e32 vcc_lo, v15, v15
	v_or_b32_e32 v20, 0x400000, v14
	v_add3_u32 v19, v19, v14, 0x7fff
	v_cndmask_b32_e32 v15, v21, v18, vcc_lo
	v_bfe_u32 v18, v13, 16, 1
	v_cmp_u_f32_e32 vcc_lo, v14, v14
	flat_store_short_d16_hi v[16:17], v15
	v_add3_u32 v15, v18, v13, 0x7fff
	v_or_b32_e32 v18, 0x400000, v13
	v_cndmask_b32_e32 v14, v19, v20, vcc_lo
	v_bfe_u32 v19, v12, 16, 1
	v_cmp_u_f32_e32 vcc_lo, v13, v13
	flat_store_short_d16_hi v[16:17], v14 offset:16
	v_add3_u32 v14, v19, v12, 0x7fff
	v_cndmask_b32_e32 v13, v15, v18, vcc_lo
	v_bfe_u32 v15, v11, 16, 1
	v_or_b32_e32 v18, 0x400000, v12
	v_cmp_u_f32_e32 vcc_lo, v12, v12
	flat_store_short_d16_hi v[16:17], v13 offset:32
	v_add3_u32 v13, v15, v11, 0x7fff
	v_or_b32_e32 v15, 0x400000, v11
	v_cndmask_b32_e32 v12, v14, v18, vcc_lo
	v_bfe_u32 v14, v10, 16, 1
	v_cmp_u_f32_e32 vcc_lo, v11, v11
	flat_store_short_d16_hi v[16:17], v12 offset:48
	v_add3_u32 v12, v14, v10, 0x7fff
	v_cndmask_b32_e32 v11, v13, v15, vcc_lo
	v_bfe_u32 v13, v9, 16, 1
	v_or_b32_e32 v14, 0x400000, v10
	v_cmp_u_f32_e32 vcc_lo, v10, v10
	flat_store_short_d16_hi v[16:17], v11 offset:64
	;; [unrolled: 12-line block ×4, first 2 shown]
	v_add3_u32 v7, v9, v5, 0x7fff
	v_or_b32_e32 v9, 0x400000, v5
	v_cndmask_b32_e32 v6, v8, v10, vcc_lo
	v_bfe_u32 v8, v4, 16, 1
	v_cmp_u_f32_e32 vcc_lo, v5, v5
	v_or_b32_e32 v10, 0x400000, v2
	flat_store_short_d16_hi v[16:17], v6 offset:144
	v_add3_u32 v6, v8, v4, 0x7fff
	v_cndmask_b32_e32 v5, v7, v9, vcc_lo
	v_bfe_u32 v7, v3, 16, 1
	v_or_b32_e32 v8, 0x400000, v4
	v_cmp_u_f32_e32 vcc_lo, v4, v4
	v_or_b32_e32 v9, 0x400000, v1
	flat_store_short_d16_hi v[16:17], v5 offset:160
	v_add3_u32 v5, v7, v3, 0x7fff
	v_or_b32_e32 v7, 0x400000, v3
	v_cndmask_b32_e32 v4, v6, v8, vcc_lo
	v_bfe_u32 v6, v0, 16, 1
	v_cmp_u_f32_e32 vcc_lo, v3, v3
	v_bfe_u32 v8, v1, 16, 1
	v_add3_u32 v6, v6, v0, 0x7fff
	v_cndmask_b32_e32 v3, v5, v7, vcc_lo
	v_or_b32_e32 v7, 0x400000, v0
	v_cmp_u_f32_e32 vcc_lo, v0, v0
	v_bfe_u32 v5, v2, 16, 1
	v_add3_u32 v8, v8, v1, 0x7fff
	v_cndmask_b32_e32 v0, v6, v7, vcc_lo
	v_cmp_u_f32_e32 vcc_lo, v1, v1
	v_add3_u32 v5, v5, v2, 0x7fff
	v_cndmask_b32_e32 v1, v8, v9, vcc_lo
	v_cmp_u_f32_e32 vcc_lo, v2, v2
	v_cndmask_b32_e32 v2, v5, v10, vcc_lo
	flat_store_short_d16_hi v[16:17], v4 offset:176
	flat_store_short_d16_hi v[16:17], v3 offset:192
	;; [unrolled: 1-line block ×5, first 2 shown]
.LBB353_2161:
	s_or_b32 exec_lo, exec_lo, s4
	s_clause 0x2f
	buffer_load_dword v127, off, s[0:3], s32
	buffer_load_dword v126, off, s[0:3], s32 offset:4
	buffer_load_dword v125, off, s[0:3], s32 offset:8
	;; [unrolled: 1-line block ×47, first 2 shown]
	s_waitcnt vmcnt(0) lgkmcnt(0)
	s_setpc_b64 s[30:31]
.LBB353_2162:
	ds_read_b32 v18, v16
	s_waitcnt lgkmcnt(0)
	v_add_f32_e32 v15, v18, v15
	s_or_b32 exec_lo, exec_lo, s4
	s_and_saveexec_b32 s4, vcc_lo
	s_cbranch_execz .LBB353_2122
.LBB353_2163:
	ds_read_b32 v18, v16 offset:32
	s_waitcnt lgkmcnt(0)
	v_add_f32_e32 v14, v18, v14
	s_or_b32 exec_lo, exec_lo, s4
	s_and_saveexec_b32 s4, vcc_lo
	s_cbranch_execz .LBB353_2123
.LBB353_2164:
	ds_read_b32 v18, v16 offset:64
	s_waitcnt lgkmcnt(0)
	v_add_f32_e32 v13, v18, v13
	s_or_b32 exec_lo, exec_lo, s4
	s_and_saveexec_b32 s4, vcc_lo
	s_cbranch_execz .LBB353_2124
.LBB353_2165:
	ds_read_b32 v18, v16 offset:96
	s_waitcnt lgkmcnt(0)
	v_add_f32_e32 v12, v18, v12
	s_or_b32 exec_lo, exec_lo, s4
	s_and_saveexec_b32 s4, vcc_lo
	s_cbranch_execz .LBB353_2125
.LBB353_2166:
	ds_read_b32 v18, v16 offset:128
	s_waitcnt lgkmcnt(0)
	v_add_f32_e32 v11, v18, v11
	s_or_b32 exec_lo, exec_lo, s4
	s_and_saveexec_b32 s4, vcc_lo
	s_cbranch_execz .LBB353_2126
.LBB353_2167:
	ds_read_b32 v18, v16 offset:160
	s_waitcnt lgkmcnt(0)
	v_add_f32_e32 v10, v18, v10
	s_or_b32 exec_lo, exec_lo, s4
	s_and_saveexec_b32 s4, vcc_lo
	s_cbranch_execz .LBB353_2127
.LBB353_2168:
	ds_read_b32 v18, v16 offset:192
	s_waitcnt lgkmcnt(0)
	v_add_f32_e32 v9, v18, v9
	s_or_b32 exec_lo, exec_lo, s4
	s_and_saveexec_b32 s4, vcc_lo
	s_cbranch_execz .LBB353_2128
.LBB353_2169:
	ds_read_b32 v18, v16 offset:224
	s_waitcnt lgkmcnt(0)
	v_add_f32_e32 v8, v18, v8
	s_or_b32 exec_lo, exec_lo, s4
	s_and_saveexec_b32 s4, vcc_lo
	s_cbranch_execz .LBB353_2129
.LBB353_2170:
	ds_read_b32 v18, v16 offset:256
	s_waitcnt lgkmcnt(0)
	v_add_f32_e32 v7, v18, v7
	s_or_b32 exec_lo, exec_lo, s4
	s_and_saveexec_b32 s4, vcc_lo
	s_cbranch_execz .LBB353_2130
.LBB353_2171:
	ds_read_b32 v18, v16 offset:288
	s_waitcnt lgkmcnt(0)
	v_add_f32_e32 v6, v18, v6
	s_or_b32 exec_lo, exec_lo, s4
	s_and_saveexec_b32 s4, vcc_lo
	s_cbranch_execz .LBB353_2131
.LBB353_2172:
	ds_read_b32 v18, v16 offset:320
	s_waitcnt lgkmcnt(0)
	v_add_f32_e32 v5, v18, v5
	s_or_b32 exec_lo, exec_lo, s4
	s_and_saveexec_b32 s4, vcc_lo
	s_cbranch_execz .LBB353_2132
.LBB353_2173:
	ds_read_b32 v18, v16 offset:352
	s_waitcnt lgkmcnt(0)
	v_add_f32_e32 v4, v18, v4
	s_or_b32 exec_lo, exec_lo, s4
	s_and_saveexec_b32 s4, vcc_lo
	s_cbranch_execz .LBB353_2133
.LBB353_2174:
	ds_read_b32 v18, v16 offset:384
	s_waitcnt lgkmcnt(0)
	v_add_f32_e32 v3, v18, v3
	s_or_b32 exec_lo, exec_lo, s4
	s_and_saveexec_b32 s4, vcc_lo
	s_cbranch_execz .LBB353_2134
.LBB353_2175:
	ds_read_b32 v18, v16 offset:416
	s_waitcnt lgkmcnt(0)
	v_add_f32_e32 v0, v18, v0
	s_or_b32 exec_lo, exec_lo, s4
	s_and_saveexec_b32 s4, vcc_lo
	s_cbranch_execz .LBB353_2135
.LBB353_2176:
	ds_read_b32 v18, v16 offset:448
	s_waitcnt lgkmcnt(0)
	v_add_f32_e32 v1, v18, v1
	s_or_b32 exec_lo, exec_lo, s4
	s_and_saveexec_b32 s4, vcc_lo
	s_cbranch_execnz .LBB353_2136
	s_branch .LBB353_2137
.LBB353_2177:
	ds_read_b32 v17, v16
	s_waitcnt lgkmcnt(0)
	v_add_f32_e32 v15, v17, v15
	s_or_b32 exec_lo, exec_lo, s4
	s_and_saveexec_b32 s4, vcc_lo
	s_cbranch_execz .LBB353_2143
.LBB353_2178:
	ds_read_b32 v17, v16 offset:32
	s_waitcnt lgkmcnt(0)
	v_add_f32_e32 v14, v17, v14
	s_or_b32 exec_lo, exec_lo, s4
	s_and_saveexec_b32 s4, vcc_lo
	s_cbranch_execz .LBB353_2144
.LBB353_2179:
	ds_read_b32 v17, v16 offset:64
	s_waitcnt lgkmcnt(0)
	v_add_f32_e32 v13, v17, v13
	s_or_b32 exec_lo, exec_lo, s4
	s_and_saveexec_b32 s4, vcc_lo
	s_cbranch_execz .LBB353_2145
.LBB353_2180:
	ds_read_b32 v17, v16 offset:96
	s_waitcnt lgkmcnt(0)
	v_add_f32_e32 v12, v17, v12
	s_or_b32 exec_lo, exec_lo, s4
	s_and_saveexec_b32 s4, vcc_lo
	s_cbranch_execz .LBB353_2146
.LBB353_2181:
	ds_read_b32 v17, v16 offset:128
	s_waitcnt lgkmcnt(0)
	v_add_f32_e32 v11, v17, v11
	s_or_b32 exec_lo, exec_lo, s4
	s_and_saveexec_b32 s4, vcc_lo
	s_cbranch_execz .LBB353_2147
.LBB353_2182:
	ds_read_b32 v17, v16 offset:160
	s_waitcnt lgkmcnt(0)
	v_add_f32_e32 v10, v17, v10
	s_or_b32 exec_lo, exec_lo, s4
	s_and_saveexec_b32 s4, vcc_lo
	s_cbranch_execz .LBB353_2148
.LBB353_2183:
	ds_read_b32 v17, v16 offset:192
	s_waitcnt lgkmcnt(0)
	v_add_f32_e32 v9, v17, v9
	s_or_b32 exec_lo, exec_lo, s4
	s_and_saveexec_b32 s4, vcc_lo
	s_cbranch_execz .LBB353_2149
.LBB353_2184:
	ds_read_b32 v17, v16 offset:224
	s_waitcnt lgkmcnt(0)
	v_add_f32_e32 v8, v17, v8
	s_or_b32 exec_lo, exec_lo, s4
	s_and_saveexec_b32 s4, vcc_lo
	s_cbranch_execz .LBB353_2150
.LBB353_2185:
	ds_read_b32 v17, v16 offset:256
	s_waitcnt lgkmcnt(0)
	v_add_f32_e32 v7, v17, v7
	s_or_b32 exec_lo, exec_lo, s4
	s_and_saveexec_b32 s4, vcc_lo
	s_cbranch_execz .LBB353_2151
.LBB353_2186:
	ds_read_b32 v17, v16 offset:288
	s_waitcnt lgkmcnt(0)
	v_add_f32_e32 v6, v17, v6
	s_or_b32 exec_lo, exec_lo, s4
	s_and_saveexec_b32 s4, vcc_lo
	s_cbranch_execz .LBB353_2152
.LBB353_2187:
	ds_read_b32 v17, v16 offset:320
	s_waitcnt lgkmcnt(0)
	v_add_f32_e32 v5, v17, v5
	s_or_b32 exec_lo, exec_lo, s4
	s_and_saveexec_b32 s4, vcc_lo
	s_cbranch_execz .LBB353_2153
.LBB353_2188:
	ds_read_b32 v17, v16 offset:352
	s_waitcnt lgkmcnt(0)
	v_add_f32_e32 v4, v17, v4
	s_or_b32 exec_lo, exec_lo, s4
	s_and_saveexec_b32 s4, vcc_lo
	s_cbranch_execz .LBB353_2154
.LBB353_2189:
	ds_read_b32 v17, v16 offset:384
	s_waitcnt lgkmcnt(0)
	v_add_f32_e32 v3, v17, v3
	s_or_b32 exec_lo, exec_lo, s4
	s_and_saveexec_b32 s4, vcc_lo
	s_cbranch_execz .LBB353_2155
.LBB353_2190:
	ds_read_b32 v17, v16 offset:416
	s_waitcnt lgkmcnt(0)
	v_add_f32_e32 v0, v17, v0
	s_or_b32 exec_lo, exec_lo, s4
	s_and_saveexec_b32 s4, vcc_lo
	s_cbranch_execz .LBB353_2156
.LBB353_2191:
	ds_read_b32 v17, v16 offset:448
	s_waitcnt lgkmcnt(0)
	v_add_f32_e32 v1, v17, v1
	s_or_b32 exec_lo, exec_lo, s4
	s_and_saveexec_b32 s4, vcc_lo
	s_cbranch_execnz .LBB353_2157
	s_branch .LBB353_2158
.Lfunc_end353:
	.size	_ZN4vllm22paged_attention_kernelI14__hip_bfloat16hLi128ELi32ELi128ELNS_18Fp8KVCacheDataTypeE1ELb1ELi0EEEvPfS3_PT_PKS4_PKT0_SA_ifPKiSC_iPKfiiiSE_SE_iiiii, .Lfunc_end353-_ZN4vllm22paged_attention_kernelI14__hip_bfloat16hLi128ELi32ELi128ELNS_18Fp8KVCacheDataTypeE1ELb1ELi0EEEvPfS3_PT_PKS4_PKT0_SA_ifPKiSC_iPKfiiiSE_SE_iiiii
                                        ; -- End function
	.set .L_ZN4vllm22paged_attention_kernelI14__hip_bfloat16hLi128ELi32ELi128ELNS_18Fp8KVCacheDataTypeE1ELb1ELi0EEEvPfS3_PT_PKS4_PKT0_SA_ifPKiSC_iPKfiiiSE_SE_iiiii.num_vgpr, 128
	.set .L_ZN4vllm22paged_attention_kernelI14__hip_bfloat16hLi128ELi32ELi128ELNS_18Fp8KVCacheDataTypeE1ELb1ELi0EEEvPfS3_PT_PKS4_PKT0_SA_ifPKiSC_iPKfiiiSE_SE_iiiii.num_agpr, 0
	.set .L_ZN4vllm22paged_attention_kernelI14__hip_bfloat16hLi128ELi32ELi128ELNS_18Fp8KVCacheDataTypeE1ELb1ELi0EEEvPfS3_PT_PKS4_PKT0_SA_ifPKiSC_iPKfiiiSE_SE_iiiii.numbered_sgpr, 33
	.set .L_ZN4vllm22paged_attention_kernelI14__hip_bfloat16hLi128ELi32ELi128ELNS_18Fp8KVCacheDataTypeE1ELb1ELi0EEEvPfS3_PT_PKS4_PKT0_SA_ifPKiSC_iPKfiiiSE_SE_iiiii.num_named_barrier, 0
	.set .L_ZN4vllm22paged_attention_kernelI14__hip_bfloat16hLi128ELi32ELi128ELNS_18Fp8KVCacheDataTypeE1ELb1ELi0EEEvPfS3_PT_PKS4_PKT0_SA_ifPKiSC_iPKfiiiSE_SE_iiiii.private_seg_size, 976
	.set .L_ZN4vllm22paged_attention_kernelI14__hip_bfloat16hLi128ELi32ELi128ELNS_18Fp8KVCacheDataTypeE1ELb1ELi0EEEvPfS3_PT_PKS4_PKT0_SA_ifPKiSC_iPKfiiiSE_SE_iiiii.uses_vcc, 1
	.set .L_ZN4vllm22paged_attention_kernelI14__hip_bfloat16hLi128ELi32ELi128ELNS_18Fp8KVCacheDataTypeE1ELb1ELi0EEEvPfS3_PT_PKS4_PKT0_SA_ifPKiSC_iPKfiiiSE_SE_iiiii.uses_flat_scratch, 0
	.set .L_ZN4vllm22paged_attention_kernelI14__hip_bfloat16hLi128ELi32ELi128ELNS_18Fp8KVCacheDataTypeE1ELb1ELi0EEEvPfS3_PT_PKS4_PKT0_SA_ifPKiSC_iPKfiiiSE_SE_iiiii.has_dyn_sized_stack, 0
	.set .L_ZN4vllm22paged_attention_kernelI14__hip_bfloat16hLi128ELi32ELi128ELNS_18Fp8KVCacheDataTypeE1ELb1ELi0EEEvPfS3_PT_PKS4_PKT0_SA_ifPKiSC_iPKfiiiSE_SE_iiiii.has_recursion, 0
	.set .L_ZN4vllm22paged_attention_kernelI14__hip_bfloat16hLi128ELi32ELi128ELNS_18Fp8KVCacheDataTypeE1ELb1ELi0EEEvPfS3_PT_PKS4_PKT0_SA_ifPKiSC_iPKfiiiSE_SE_iiiii.has_indirect_call, 0
	.section	.AMDGPU.csdata,"",@progbits
; Function info:
; codeLenInByte = 87856
; TotalNumSgprs: 35
; NumVgprs: 128
; ScratchSize: 976
; MemoryBound: 0
	.section	.text._ZN4vllm25paged_attention_v1_kernelI14__hip_bfloat16hLi128ELi32ELi128ELNS_18Fp8KVCacheDataTypeE1ELb1EEEvPT_PKS3_PKT0_S9_ifPKiSB_iPKfiiiSD_SD_iiiii,"axG",@progbits,_ZN4vllm25paged_attention_v1_kernelI14__hip_bfloat16hLi128ELi32ELi128ELNS_18Fp8KVCacheDataTypeE1ELb1EEEvPT_PKS3_PKT0_S9_ifPKiSB_iPKfiiiSD_SD_iiiii,comdat
	.protected	_ZN4vllm25paged_attention_v1_kernelI14__hip_bfloat16hLi128ELi32ELi128ELNS_18Fp8KVCacheDataTypeE1ELb1EEEvPT_PKS3_PKT0_S9_ifPKiSB_iPKfiiiSD_SD_iiiii ; -- Begin function _ZN4vllm25paged_attention_v1_kernelI14__hip_bfloat16hLi128ELi32ELi128ELNS_18Fp8KVCacheDataTypeE1ELb1EEEvPT_PKS3_PKT0_S9_ifPKiSB_iPKfiiiSD_SD_iiiii
	.globl	_ZN4vllm25paged_attention_v1_kernelI14__hip_bfloat16hLi128ELi32ELi128ELNS_18Fp8KVCacheDataTypeE1ELb1EEEvPT_PKS3_PKT0_S9_ifPKiSB_iPKfiiiSD_SD_iiiii
	.p2align	8
	.type	_ZN4vllm25paged_attention_v1_kernelI14__hip_bfloat16hLi128ELi32ELi128ELNS_18Fp8KVCacheDataTypeE1ELb1EEEvPT_PKS3_PKT0_S9_ifPKiSB_iPKfiiiSD_SD_iiiii,@function
_ZN4vllm25paged_attention_v1_kernelI14__hip_bfloat16hLi128ELi32ELi128ELNS_18Fp8KVCacheDataTypeE1ELb1EEEvPT_PKS3_PKT0_S9_ifPKiSB_iPKfiiiSD_SD_iiiii: ; @_ZN4vllm25paged_attention_v1_kernelI14__hip_bfloat16hLi128ELi32ELi128ELNS_18Fp8KVCacheDataTypeE1ELb1EEEvPT_PKS3_PKT0_S9_ifPKiSB_iPKfiiiSD_SD_iiiii
; %bb.0:
	s_clause 0x7
	s_load_dwordx8 s[16:23], s[4:5], 0x0
	s_load_dwordx4 s[36:39], s[4:5], 0x20
	s_load_dwordx2 s[10:11], s[4:5], 0x30
	s_load_dword s13, s[4:5], 0x38
	s_load_dwordx2 s[34:35], s[4:5], 0x40
	s_load_dwordx8 s[24:31], s[4:5], 0x48
	s_load_dword s15, s[4:5], 0x78
	s_load_dwordx4 s[40:43], s[4:5], 0x68
	s_add_u32 s0, s0, s9
	s_addc_u32 s1, s1, 0
	v_mov_b32_e32 v31, v0
	s_mov_b32 s14, s8
	s_add_u32 s8, s4, 0x80
	s_addc_u32 s9, s5, 0
	s_getpc_b64 s[4:5]
	s_add_u32 s4, s4, _ZN4vllm22paged_attention_kernelI14__hip_bfloat16hLi128ELi32ELi128ELNS_18Fp8KVCacheDataTypeE1ELb1ELi0EEEvPfS3_PT_PKS4_PKT0_SA_ifPKiSC_iPKfiiiSE_SE_iiiii@rel32@lo+4
	s_addc_u32 s5, s5, _ZN4vllm22paged_attention_kernelI14__hip_bfloat16hLi128ELi32ELi128ELNS_18Fp8KVCacheDataTypeE1ELb1ELi0EEEvPfS3_PT_PKS4_PKT0_SA_ifPKiSC_iPKfiiiSE_SE_iiiii@rel32@hi+12
	s_mov_b32 s12, s6
	s_mov_b32 s32, 0
	s_waitcnt lgkmcnt(0)
	v_mov_b32_e32 v0, s16
	v_mov_b32_e32 v1, s17
	;; [unrolled: 1-line block ×29, first 2 shown]
	s_mov_b32 s13, s7
	s_mov_b32 s15, 5
	s_swappc_b64 s[30:31], s[4:5]
	s_endpgm
	.section	.rodata,"a",@progbits
	.p2align	6, 0x0
	.amdhsa_kernel _ZN4vllm25paged_attention_v1_kernelI14__hip_bfloat16hLi128ELi32ELi128ELNS_18Fp8KVCacheDataTypeE1ELb1EEEvPT_PKS3_PKT0_S9_ifPKiSB_iPKfiiiSD_SD_iiiii
		.amdhsa_group_segment_fixed_size 288
		.amdhsa_private_segment_fixed_size 976
		.amdhsa_kernarg_size 384
		.amdhsa_user_sgpr_count 6
		.amdhsa_user_sgpr_private_segment_buffer 1
		.amdhsa_user_sgpr_dispatch_ptr 0
		.amdhsa_user_sgpr_queue_ptr 0
		.amdhsa_user_sgpr_kernarg_segment_ptr 1
		.amdhsa_user_sgpr_dispatch_id 0
		.amdhsa_user_sgpr_flat_scratch_init 0
		.amdhsa_user_sgpr_private_segment_size 0
		.amdhsa_wavefront_size32 1
		.amdhsa_uses_dynamic_stack 0
		.amdhsa_system_sgpr_private_segment_wavefront_offset 1
		.amdhsa_system_sgpr_workgroup_id_x 1
		.amdhsa_system_sgpr_workgroup_id_y 1
		.amdhsa_system_sgpr_workgroup_id_z 1
		.amdhsa_system_sgpr_workgroup_info 0
		.amdhsa_system_vgpr_workitem_id 0
		.amdhsa_next_free_vgpr 128
		.amdhsa_next_free_sgpr 44
		.amdhsa_reserve_vcc 1
		.amdhsa_reserve_flat_scratch 0
		.amdhsa_float_round_mode_32 0
		.amdhsa_float_round_mode_16_64 0
		.amdhsa_float_denorm_mode_32 3
		.amdhsa_float_denorm_mode_16_64 3
		.amdhsa_dx10_clamp 1
		.amdhsa_ieee_mode 1
		.amdhsa_fp16_overflow 0
		.amdhsa_workgroup_processor_mode 1
		.amdhsa_memory_ordered 1
		.amdhsa_forward_progress 1
		.amdhsa_shared_vgpr_count 0
		.amdhsa_exception_fp_ieee_invalid_op 0
		.amdhsa_exception_fp_denorm_src 0
		.amdhsa_exception_fp_ieee_div_zero 0
		.amdhsa_exception_fp_ieee_overflow 0
		.amdhsa_exception_fp_ieee_underflow 0
		.amdhsa_exception_fp_ieee_inexact 0
		.amdhsa_exception_int_div_zero 0
	.end_amdhsa_kernel
	.section	.text._ZN4vllm25paged_attention_v1_kernelI14__hip_bfloat16hLi128ELi32ELi128ELNS_18Fp8KVCacheDataTypeE1ELb1EEEvPT_PKS3_PKT0_S9_ifPKiSB_iPKfiiiSD_SD_iiiii,"axG",@progbits,_ZN4vllm25paged_attention_v1_kernelI14__hip_bfloat16hLi128ELi32ELi128ELNS_18Fp8KVCacheDataTypeE1ELb1EEEvPT_PKS3_PKT0_S9_ifPKiSB_iPKfiiiSD_SD_iiiii,comdat
.Lfunc_end354:
	.size	_ZN4vllm25paged_attention_v1_kernelI14__hip_bfloat16hLi128ELi32ELi128ELNS_18Fp8KVCacheDataTypeE1ELb1EEEvPT_PKS3_PKT0_S9_ifPKiSB_iPKfiiiSD_SD_iiiii, .Lfunc_end354-_ZN4vllm25paged_attention_v1_kernelI14__hip_bfloat16hLi128ELi32ELi128ELNS_18Fp8KVCacheDataTypeE1ELb1EEEvPT_PKS3_PKT0_S9_ifPKiSB_iPKfiiiSD_SD_iiiii
                                        ; -- End function
	.set _ZN4vllm25paged_attention_v1_kernelI14__hip_bfloat16hLi128ELi32ELi128ELNS_18Fp8KVCacheDataTypeE1ELb1EEEvPT_PKS3_PKT0_S9_ifPKiSB_iPKfiiiSD_SD_iiiii.num_vgpr, max(32, .L_ZN4vllm22paged_attention_kernelI14__hip_bfloat16hLi128ELi32ELi128ELNS_18Fp8KVCacheDataTypeE1ELb1ELi0EEEvPfS3_PT_PKS4_PKT0_SA_ifPKiSC_iPKfiiiSE_SE_iiiii.num_vgpr)
	.set _ZN4vllm25paged_attention_v1_kernelI14__hip_bfloat16hLi128ELi32ELi128ELNS_18Fp8KVCacheDataTypeE1ELb1EEEvPT_PKS3_PKT0_S9_ifPKiSB_iPKfiiiSD_SD_iiiii.num_agpr, max(0, .L_ZN4vllm22paged_attention_kernelI14__hip_bfloat16hLi128ELi32ELi128ELNS_18Fp8KVCacheDataTypeE1ELb1ELi0EEEvPfS3_PT_PKS4_PKT0_SA_ifPKiSC_iPKfiiiSE_SE_iiiii.num_agpr)
	.set _ZN4vllm25paged_attention_v1_kernelI14__hip_bfloat16hLi128ELi32ELi128ELNS_18Fp8KVCacheDataTypeE1ELb1EEEvPT_PKS3_PKT0_S9_ifPKiSB_iPKfiiiSD_SD_iiiii.numbered_sgpr, max(44, .L_ZN4vllm22paged_attention_kernelI14__hip_bfloat16hLi128ELi32ELi128ELNS_18Fp8KVCacheDataTypeE1ELb1ELi0EEEvPfS3_PT_PKS4_PKT0_SA_ifPKiSC_iPKfiiiSE_SE_iiiii.numbered_sgpr)
	.set _ZN4vllm25paged_attention_v1_kernelI14__hip_bfloat16hLi128ELi32ELi128ELNS_18Fp8KVCacheDataTypeE1ELb1EEEvPT_PKS3_PKT0_S9_ifPKiSB_iPKfiiiSD_SD_iiiii.num_named_barrier, max(0, .L_ZN4vllm22paged_attention_kernelI14__hip_bfloat16hLi128ELi32ELi128ELNS_18Fp8KVCacheDataTypeE1ELb1ELi0EEEvPfS3_PT_PKS4_PKT0_SA_ifPKiSC_iPKfiiiSE_SE_iiiii.num_named_barrier)
	.set _ZN4vllm25paged_attention_v1_kernelI14__hip_bfloat16hLi128ELi32ELi128ELNS_18Fp8KVCacheDataTypeE1ELb1EEEvPT_PKS3_PKT0_S9_ifPKiSB_iPKfiiiSD_SD_iiiii.private_seg_size, 0+max(.L_ZN4vllm22paged_attention_kernelI14__hip_bfloat16hLi128ELi32ELi128ELNS_18Fp8KVCacheDataTypeE1ELb1ELi0EEEvPfS3_PT_PKS4_PKT0_SA_ifPKiSC_iPKfiiiSE_SE_iiiii.private_seg_size)
	.set _ZN4vllm25paged_attention_v1_kernelI14__hip_bfloat16hLi128ELi32ELi128ELNS_18Fp8KVCacheDataTypeE1ELb1EEEvPT_PKS3_PKT0_S9_ifPKiSB_iPKfiiiSD_SD_iiiii.uses_vcc, or(1, .L_ZN4vllm22paged_attention_kernelI14__hip_bfloat16hLi128ELi32ELi128ELNS_18Fp8KVCacheDataTypeE1ELb1ELi0EEEvPfS3_PT_PKS4_PKT0_SA_ifPKiSC_iPKfiiiSE_SE_iiiii.uses_vcc)
	.set _ZN4vllm25paged_attention_v1_kernelI14__hip_bfloat16hLi128ELi32ELi128ELNS_18Fp8KVCacheDataTypeE1ELb1EEEvPT_PKS3_PKT0_S9_ifPKiSB_iPKfiiiSD_SD_iiiii.uses_flat_scratch, or(0, .L_ZN4vllm22paged_attention_kernelI14__hip_bfloat16hLi128ELi32ELi128ELNS_18Fp8KVCacheDataTypeE1ELb1ELi0EEEvPfS3_PT_PKS4_PKT0_SA_ifPKiSC_iPKfiiiSE_SE_iiiii.uses_flat_scratch)
	.set _ZN4vllm25paged_attention_v1_kernelI14__hip_bfloat16hLi128ELi32ELi128ELNS_18Fp8KVCacheDataTypeE1ELb1EEEvPT_PKS3_PKT0_S9_ifPKiSB_iPKfiiiSD_SD_iiiii.has_dyn_sized_stack, or(0, .L_ZN4vllm22paged_attention_kernelI14__hip_bfloat16hLi128ELi32ELi128ELNS_18Fp8KVCacheDataTypeE1ELb1ELi0EEEvPfS3_PT_PKS4_PKT0_SA_ifPKiSC_iPKfiiiSE_SE_iiiii.has_dyn_sized_stack)
	.set _ZN4vllm25paged_attention_v1_kernelI14__hip_bfloat16hLi128ELi32ELi128ELNS_18Fp8KVCacheDataTypeE1ELb1EEEvPT_PKS3_PKT0_S9_ifPKiSB_iPKfiiiSD_SD_iiiii.has_recursion, or(0, .L_ZN4vllm22paged_attention_kernelI14__hip_bfloat16hLi128ELi32ELi128ELNS_18Fp8KVCacheDataTypeE1ELb1ELi0EEEvPfS3_PT_PKS4_PKT0_SA_ifPKiSC_iPKfiiiSE_SE_iiiii.has_recursion)
	.set _ZN4vllm25paged_attention_v1_kernelI14__hip_bfloat16hLi128ELi32ELi128ELNS_18Fp8KVCacheDataTypeE1ELb1EEEvPT_PKS3_PKT0_S9_ifPKiSB_iPKfiiiSD_SD_iiiii.has_indirect_call, or(0, .L_ZN4vllm22paged_attention_kernelI14__hip_bfloat16hLi128ELi32ELi128ELNS_18Fp8KVCacheDataTypeE1ELb1ELi0EEEvPfS3_PT_PKS4_PKT0_SA_ifPKiSC_iPKfiiiSE_SE_iiiii.has_indirect_call)
	.section	.AMDGPU.csdata,"",@progbits
; Kernel info:
; codeLenInByte = 260
; TotalNumSgprs: 46
; NumVgprs: 128
; ScratchSize: 976
; MemoryBound: 0
; FloatMode: 240
; IeeeMode: 1
; LDSByteSize: 288 bytes/workgroup (compile time only)
; SGPRBlocks: 0
; VGPRBlocks: 15
; NumSGPRsForWavesPerEU: 46
; NumVGPRsForWavesPerEU: 128
; Occupancy: 8
; WaveLimiterHint : 1
; COMPUTE_PGM_RSRC2:SCRATCH_EN: 1
; COMPUTE_PGM_RSRC2:USER_SGPR: 6
; COMPUTE_PGM_RSRC2:TRAP_HANDLER: 0
; COMPUTE_PGM_RSRC2:TGID_X_EN: 1
; COMPUTE_PGM_RSRC2:TGID_Y_EN: 1
; COMPUTE_PGM_RSRC2:TGID_Z_EN: 1
; COMPUTE_PGM_RSRC2:TIDIG_COMP_CNT: 0
	.text
	.p2align	2                               ; -- Begin function _ZN4vllm22paged_attention_kernelI14__hip_bfloat16hLi192ELi32ELi128ELNS_18Fp8KVCacheDataTypeE1ELb1ELi0EEEvPfS3_PT_PKS4_PKT0_SA_ifPKiSC_iPKfiiiSE_SE_iiiii
	.type	_ZN4vllm22paged_attention_kernelI14__hip_bfloat16hLi192ELi32ELi128ELNS_18Fp8KVCacheDataTypeE1ELb1ELi0EEEvPfS3_PT_PKS4_PKT0_SA_ifPKiSC_iPKfiiiSE_SE_iiiii,@function
_ZN4vllm22paged_attention_kernelI14__hip_bfloat16hLi192ELi32ELi128ELNS_18Fp8KVCacheDataTypeE1ELb1ELi0EEEvPfS3_PT_PKS4_PKT0_SA_ifPKiSC_iPKfiiiSE_SE_iiiii: ; @_ZN4vllm22paged_attention_kernelI14__hip_bfloat16hLi192ELi32ELi128ELNS_18Fp8KVCacheDataTypeE1ELb1ELi0EEEvPfS3_PT_PKS4_PKT0_SA_ifPKiSC_iPKfiiiSE_SE_iiiii
; %bb.0:
	s_waitcnt vmcnt(0) expcnt(0) lgkmcnt(0)
	buffer_store_dword v40, off, s[0:3], s32 offset:188 ; 4-byte Folded Spill
	buffer_store_dword v41, off, s[0:3], s32 offset:184 ; 4-byte Folded Spill
	buffer_store_dword v42, off, s[0:3], s32 offset:180 ; 4-byte Folded Spill
	buffer_store_dword v43, off, s[0:3], s32 offset:176 ; 4-byte Folded Spill
	buffer_store_dword v44, off, s[0:3], s32 offset:172 ; 4-byte Folded Spill
	buffer_store_dword v45, off, s[0:3], s32 offset:168 ; 4-byte Folded Spill
	buffer_store_dword v46, off, s[0:3], s32 offset:164 ; 4-byte Folded Spill
	buffer_store_dword v47, off, s[0:3], s32 offset:160 ; 4-byte Folded Spill
	buffer_store_dword v56, off, s[0:3], s32 offset:156 ; 4-byte Folded Spill
	buffer_store_dword v57, off, s[0:3], s32 offset:152 ; 4-byte Folded Spill
	buffer_store_dword v58, off, s[0:3], s32 offset:148 ; 4-byte Folded Spill
	buffer_store_dword v59, off, s[0:3], s32 offset:144 ; 4-byte Folded Spill
	buffer_store_dword v60, off, s[0:3], s32 offset:140 ; 4-byte Folded Spill
	buffer_store_dword v61, off, s[0:3], s32 offset:136 ; 4-byte Folded Spill
	buffer_store_dword v62, off, s[0:3], s32 offset:132 ; 4-byte Folded Spill
	buffer_store_dword v63, off, s[0:3], s32 offset:128 ; 4-byte Folded Spill
	buffer_store_dword v72, off, s[0:3], s32 offset:124 ; 4-byte Folded Spill
	buffer_store_dword v73, off, s[0:3], s32 offset:120 ; 4-byte Folded Spill
	buffer_store_dword v74, off, s[0:3], s32 offset:116 ; 4-byte Folded Spill
	buffer_store_dword v75, off, s[0:3], s32 offset:112 ; 4-byte Folded Spill
	buffer_store_dword v76, off, s[0:3], s32 offset:108 ; 4-byte Folded Spill
	buffer_store_dword v77, off, s[0:3], s32 offset:104 ; 4-byte Folded Spill
	buffer_store_dword v78, off, s[0:3], s32 offset:100 ; 4-byte Folded Spill
	buffer_store_dword v79, off, s[0:3], s32 offset:96 ; 4-byte Folded Spill
	buffer_store_dword v88, off, s[0:3], s32 offset:92 ; 4-byte Folded Spill
	buffer_store_dword v89, off, s[0:3], s32 offset:88 ; 4-byte Folded Spill
	buffer_store_dword v90, off, s[0:3], s32 offset:84 ; 4-byte Folded Spill
	buffer_store_dword v91, off, s[0:3], s32 offset:80 ; 4-byte Folded Spill
	buffer_store_dword v92, off, s[0:3], s32 offset:76 ; 4-byte Folded Spill
	buffer_store_dword v93, off, s[0:3], s32 offset:72 ; 4-byte Folded Spill
	buffer_store_dword v94, off, s[0:3], s32 offset:68 ; 4-byte Folded Spill
	buffer_store_dword v95, off, s[0:3], s32 offset:64 ; 4-byte Folded Spill
	buffer_store_dword v104, off, s[0:3], s32 offset:60 ; 4-byte Folded Spill
	buffer_store_dword v105, off, s[0:3], s32 offset:56 ; 4-byte Folded Spill
	buffer_store_dword v106, off, s[0:3], s32 offset:52 ; 4-byte Folded Spill
	buffer_store_dword v107, off, s[0:3], s32 offset:48 ; 4-byte Folded Spill
	buffer_store_dword v108, off, s[0:3], s32 offset:44 ; 4-byte Folded Spill
	buffer_store_dword v109, off, s[0:3], s32 offset:40 ; 4-byte Folded Spill
	buffer_store_dword v110, off, s[0:3], s32 offset:36 ; 4-byte Folded Spill
	buffer_store_dword v111, off, s[0:3], s32 offset:32 ; 4-byte Folded Spill
	buffer_store_dword v120, off, s[0:3], s32 offset:28 ; 4-byte Folded Spill
	buffer_store_dword v121, off, s[0:3], s32 offset:24 ; 4-byte Folded Spill
	buffer_store_dword v122, off, s[0:3], s32 offset:20 ; 4-byte Folded Spill
	buffer_store_dword v123, off, s[0:3], s32 offset:16 ; 4-byte Folded Spill
	buffer_store_dword v124, off, s[0:3], s32 offset:12 ; 4-byte Folded Spill
	buffer_store_dword v125, off, s[0:3], s32 offset:8 ; 4-byte Folded Spill
	buffer_store_dword v126, off, s[0:3], s32 offset:4 ; 4-byte Folded Spill
	buffer_store_dword v127, off, s[0:3], s32 ; 4-byte Folded Spill
	s_mov_b32 s10, s13
	s_ashr_i32 s11, s13, 31
	buffer_store_dword v26, off, s[0:3], s32 offset:1668 ; 4-byte Folded Spill
	buffer_store_dword v22, off, s[0:3], s32 offset:864 ; 4-byte Folded Spill
	;; [unrolled: 1-line block ×13, first 2 shown]
	s_lshl_b64 s[6:7], s[10:11], 2
	s_load_dword s5, s[8:9], 0x10
	v_add_co_u32 v0, vcc_lo, v12, s6
	v_add_co_ci_u32_e64 v1, null, s7, v13, vcc_lo
	s_load_dword s6, s[8:9], 0x0
	s_mov_b32 s4, s15
	flat_load_dword v123, v[0:1]
	v_sub_nc_u32_e32 v0, 0, v8
	v_max_i32_e32 v0, v8, v0
	v_cvt_f32_u32_e32 v1, v0
	v_sub_nc_u32_e32 v6, 0, v0
	s_waitcnt lgkmcnt(0)
	s_lshr_b32 s5, s5, 16
	s_cmp_lg_u32 s5, 0
	v_rcp_iflag_f32_e32 v1, v1
	s_cselect_b32 s5, -1, 0
	s_cmp_lg_u32 s5, 0
	s_addc_u32 s11, s6, 0
	s_mov_b32 s6, exec_lo
	s_abs_i32 s5, s11
	v_mul_f32_e32 v1, 0x4f7ffffe, v1
	v_cvt_u32_f32_e32 v1, v1
	v_mul_lo_u32 v6, v6, v1
	v_mul_hi_u32 v6, v1, v6
	v_add_nc_u32_e32 v1, v1, v6
	v_mul_hi_u32 v1, s5, v1
	v_mul_lo_u32 v6, v1, v0
	v_add_nc_u32_e32 v7, 1, v1
	v_sub_nc_u32_e32 v6, s5, v6
	s_abs_i32 s5, s12
	v_sub_nc_u32_e32 v9, v6, v0
	v_cmp_ge_u32_e32 vcc_lo, v6, v0
	v_cndmask_b32_e32 v1, v1, v7, vcc_lo
	v_cndmask_b32_e32 v6, v6, v9, vcc_lo
	v_xor_b32_e32 v7, s11, v8
	v_add_nc_u32_e32 v9, 1, v1
	v_cmp_ge_u32_e32 vcc_lo, v6, v0
	v_ashrrev_i32_e32 v7, 31, v7
	v_cndmask_b32_e32 v0, v1, v9, vcc_lo
	v_xor_b32_e32 v0, v0, v7
	v_sub_nc_u32_e32 v1, v0, v7
	v_sub_nc_u32_e32 v0, 0, v1
	v_max_i32_e32 v0, v1, v0
	v_cvt_f32_u32_e32 v6, v0
	v_sub_nc_u32_e32 v7, 0, v0
	v_rcp_iflag_f32_e32 v6, v6
	v_mul_f32_e32 v6, 0x4f7ffffe, v6
	v_cvt_u32_f32_e32 v6, v6
	v_mul_lo_u32 v7, v7, v6
	v_mul_hi_u32 v7, v6, v7
	v_add_nc_u32_e32 v6, v6, v7
	v_mad_u64_u32 v[12:13], null, s5, v6, 0
	v_mov_b32_e32 v6, 0
	buffer_store_dword v6, off, s[0:3], s32 offset:860 ; 4-byte Folded Spill
	v_cmpx_ne_u64_e32 0, v[15:16]
	s_cbranch_execz .LBB355_2
; %bb.1:
	s_ashr_i32 s13, s12, 31
	s_lshl_b64 s[16:17], s[12:13], 2
	v_add_co_u32 v6, vcc_lo, v15, s16
	v_add_co_ci_u32_e64 v7, null, s17, v16, vcc_lo
	flat_load_dword v6, v[6:7]
	s_waitcnt vmcnt(0) lgkmcnt(0)
	buffer_store_dword v6, off, s[0:3], s32 offset:860 ; 4-byte Folded Spill
.LBB355_2:
	s_or_b32 exec_lo, exec_lo, s6
	v_and_b32_e32 v6, 0x3ff, v31
	v_ashrrev_i32_e32 v1, 31, v1
	s_ashr_i32 s6, s12, 31
	s_mul_i32 s16, s12, 0xc0
	s_mov_b32 s7, exec_lo
	buffer_store_dword v6, off, s[0:3], s32 offset:856 ; 4-byte Folded Spill
	v_cmpx_gt_u32_e32 24, v6
	s_cbranch_execz .LBB355_4
; %bb.3:
	buffer_load_dword v9, off, s[0:3], s32 offset:856 ; 4-byte Folded Reload
	v_mul_lo_u32 v6, v17, s10
	s_ashr_i32 s17, s16, 31
	s_lshl_b64 s[18:19], s[16:17], 1
	v_ashrrev_i32_e32 v7, 31, v6
	v_lshlrev_b64 v[6:7], 1, v[6:7]
	v_add_co_u32 v2, vcc_lo, v2, v6
	v_add_co_ci_u32_e64 v3, null, v3, v7, vcc_lo
	v_add_co_u32 v2, vcc_lo, v2, s18
	v_add_co_ci_u32_e64 v3, null, s19, v3, vcc_lo
	s_waitcnt vmcnt(0)
	v_lshlrev_b32_e32 v15, 4, v9
	v_add_co_u32 v2, vcc_lo, v2, v15
	v_add_co_ci_u32_e64 v3, null, 0, v3, vcc_lo
	flat_load_dwordx4 v[9:12], v[2:3]
	s_waitcnt vmcnt(0) lgkmcnt(0)
	ds_write_b128 v15, v[9:12]
.LBB355_4:
	s_or_b32 exec_lo, exec_lo, s7
	v_sub_nc_u32_e32 v2, 0, v27
	v_mul_lo_u32 v3, v13, v0
	v_add_nc_u32_e32 v7, 1, v13
	v_xor_b32_e32 v1, s6, v1
	v_max_i32_e32 v6, v27, v2
	v_sub_nc_u32_e32 v3, s5, v3
	v_cvt_f32_u32_e32 v2, v6
	buffer_store_dword v6, off, s[0:3], s32 offset:204 ; 4-byte Folded Spill
	v_sub_nc_u32_e32 v6, 0, v6
	s_mov_b32 s5, exec_lo
	v_sub_nc_u32_e32 v9, v3, v0
	v_rcp_iflag_f32_e32 v2, v2
	v_cmp_ge_u32_e32 vcc_lo, v3, v0
	v_cndmask_b32_e32 v7, v13, v7, vcc_lo
	v_cndmask_b32_e32 v3, v3, v9, vcc_lo
	v_mul_f32_e32 v2, 0x4f7ffffe, v2
	v_add_nc_u32_e32 v9, 1, v7
	v_cmp_ge_u32_e32 vcc_lo, v3, v0
	v_cvt_u32_f32_e32 v2, v2
	v_cndmask_b32_e32 v3, v7, v9, vcc_lo
	v_mul_lo_u32 v10, v6, v2
	s_waitcnt vmcnt(0)
	v_add_nc_u32_e32 v6, -1, v123
	v_xor_b32_e32 v7, v3, v1
	v_sub_nc_u32_e32 v11, 0, v6
	v_mul_hi_u32 v10, v2, v10
	v_max_i32_e32 v0, v6, v11
	v_add_nc_u32_e32 v2, v2, v10
	buffer_store_dword v2, off, s[0:3], s32 offset:220 ; 4-byte Folded Spill
	v_mad_u64_u32 v[2:3], null, v0, v2, 0
	v_sub_nc_u32_e32 v2, v7, v1
                                        ; implicit-def: $vgpr1
	s_waitcnt lgkmcnt(0)
	s_waitcnt_vscnt null, 0x0
	s_barrier
	buffer_gl0_inv
	buffer_store_dword v1, off, s[0:3], s32 offset:208 ; 4-byte Folded Spill
	buffer_store_dword v2, off, s[0:3], s32 offset:212 ; 4-byte Folded Spill
	v_cmpx_gt_i32_e32 0, v28
	s_xor_b32 s5, exec_lo, s5
	s_cbranch_execz .LBB355_6
; %bb.5:
	v_mad_u64_u32 v[7:8], null, v24, v8, v[2:3]
                                        ; implicit-def: $vgpr24
	v_mul_lo_u32 v1, v7, v28
                                        ; implicit-def: $vgpr28
	v_sub_nc_u32_e32 v1, 1, v1
	buffer_store_dword v1, off, s[0:3], s32 offset:208 ; 4-byte Folded Spill
	buffer_store_dword v2, off, s[0:3], s32 offset:212 ; 4-byte Folded Spill
.LBB355_6:
	s_or_saveexec_b32 s5, s5
	v_ashrrev_i32_e32 v1, 31, v6
	v_ashrrev_i32_e32 v6, 31, v27
	buffer_store_dword v6, off, s[0:3], s32 offset:216 ; 4-byte Folded Spill
	s_xor_b32 exec_lo, exec_lo, s5
	s_cbranch_execz .LBB355_8
; %bb.7:
	v_mad_u64_u32 v[6:7], null, s11, v24, s[12:13]
	v_mad_u64_u32 v[6:7], null, v6, v28, 1
	buffer_store_dword v6, off, s[0:3], s32 offset:208 ; 4-byte Folded Spill
	buffer_store_dword v7, off, s[0:3], s32 offset:212 ; 4-byte Folded Spill
.LBB355_8:
	s_or_b32 exec_lo, exec_lo, s5
	buffer_load_dword v12, off, s[0:3], s32 offset:204 ; 4-byte Folded Reload
	s_clause 0x1
	s_load_dword s7, s[8:9], 0x14
	s_load_dword s15, s[8:9], 0x8
	s_clause 0x1
	buffer_load_dword v9, off, s[0:3], s32 offset:216
	buffer_load_dword v10, off, s[0:3], s32 offset:856
	v_add_nc_u32_e32 v7, 31, v123
	s_ashr_i32 s5, s4, 31
	s_getpc_b64 s[8:9]
	s_add_u32 s8, s8, llvm.amdgcn.dynlds.offset.table@rel32@lo+4
	s_addc_u32 s9, s9, llvm.amdgcn.dynlds.offset.table@rel32@hi+12
	s_lshl_b64 s[12:13], s[4:5], 2
	s_add_u32 s8, s8, s12
	s_addc_u32 s9, s9, s13
	s_waitcnt vmcnt(2)
	v_mul_lo_u32 v6, v3, v12
	s_waitcnt vmcnt(1)
	v_xor_b32_e32 v9, v1, v9
	v_ashrrev_i32_e32 v1, 31, v7
	s_waitcnt vmcnt(0)
	v_lshrrev_b32_e32 v11, 5, v10
	v_and_b32_e32 v10, 31, v10
	v_lshrrev_b32_e32 v1, 27, v1
	v_sub_nc_u32_e32 v6, v0, v6
	v_add_nc_u32_e32 v0, 1, v3
	v_sub_nc_u32_e32 v8, v6, v12
	v_cmp_ge_u32_e32 vcc_lo, v6, v12
	v_cndmask_b32_e32 v3, v3, v0, vcc_lo
	v_cndmask_b32_e32 v6, v6, v8, vcc_lo
	v_mul_lo_u32 v0, v14, s10
	v_add_nc_u32_e32 v8, 1, v3
	v_cmp_ge_u32_e32 vcc_lo, v6, v12
	v_mov_b32_e32 v12, 0xff7fffff
	v_cndmask_b32_e32 v3, v3, v8, vcc_lo
	v_mul_lo_u32 v8, v2, v19
	v_add_nc_u32_e32 v2, v7, v1
	buffer_load_dword v1, off, s[0:3], s32 offset:1668 ; 4-byte Folded Reload
	v_lshlrev_b32_e32 v19, 2, v10
	v_xor_b32_e32 v3, v3, v9
	v_ashrrev_i32_e32 v6, 5, v2
	buffer_store_dword v8, off, s[0:3], s32 offset:1680 ; 4-byte Folded Spill
	v_sub_nc_u32_e32 v2, v3, v9
	v_ashrrev_i32_e32 v3, 31, v8
	v_cmp_lt_i32_e64 s4, v11, v6
	buffer_store_dword v3, off, s[0:3], s32 offset:1684 ; 4-byte Folded Spill
	s_waitcnt vmcnt(0)
	v_sub_nc_u32_e32 v1, 0, v1
	buffer_store_dword v1, off, s[0:3], s32 offset:1688 ; 4-byte Folded Spill
	v_ashrrev_i32_e32 v1, 31, v0
	v_lshlrev_b64 v[0:1], 2, v[0:1]
	buffer_store_dword v0, off, s[0:3], s32 offset:1692 ; 4-byte Folded Spill
	buffer_store_dword v1, off, s[0:3], s32 offset:1696 ; 4-byte Folded Spill
	;; [unrolled: 1-line block ×4, first 2 shown]
	v_sub_nc_u32_e32 v0, v2, v25
	buffer_store_dword v0, off, s[0:3], s32 offset:224 ; 4-byte Folded Spill
	buffer_store_dword v10, off, s[0:3], s32 offset:852 ; 4-byte Folded Spill
	s_and_saveexec_b32 s17, s4
	s_cbranch_execz .LBB355_1552
; %bb.9:
	v_mov_b32_e32 v14, 0
	s_mov_b32 s12, -1
	s_mov_b32 s18, 0
	s_mov_b32 s13, 0xffffff
	ds_read_b128 v[0:3], v14
	ds_read_b128 v[6:9], v14 offset:16
	ds_read_b128 v[10:13], v14 offset:32
	;; [unrolled: 1-line block ×3, first 2 shown]
	s_waitcnt lgkmcnt(0)
	v_lshlrev_b32_e32 v20, 16, v0
	v_and_b32_e32 v0, 0xffff0000, v0
	buffer_store_dword v20, off, s[0:3], s32 offset:884 ; 4-byte Folded Spill
	buffer_store_dword v0, off, s[0:3], s32 offset:888 ; 4-byte Folded Spill
	v_lshlrev_b32_e32 v0, 16, v1
	buffer_store_dword v0, off, s[0:3], s32 offset:892 ; 4-byte Folded Spill
	v_and_b32_e32 v0, 0xffff0000, v1
	buffer_store_dword v0, off, s[0:3], s32 offset:896 ; 4-byte Folded Spill
	v_lshlrev_b32_e32 v0, 16, v2
	buffer_store_dword v0, off, s[0:3], s32 offset:900 ; 4-byte Folded Spill
	v_and_b32_e32 v0, 0xffff0000, v2
	;; [unrolled: 4-line block ×4, first 2 shown]
	v_and_b32_e32 v6, 0xffff0000, v15
	buffer_store_dword v0, off, s[0:3], s32 offset:920 ; 4-byte Folded Spill
	v_lshlrev_b32_e32 v0, 16, v7
	buffer_store_dword v6, off, s[0:3], s32 offset:984 ; 4-byte Folded Spill
	v_lshlrev_b32_e32 v6, 16, v16
	buffer_store_dword v0, off, s[0:3], s32 offset:924 ; 4-byte Folded Spill
	v_and_b32_e32 v0, 0xffff0000, v7
	buffer_store_dword v6, off, s[0:3], s32 offset:988 ; 4-byte Folded Spill
	v_and_b32_e32 v6, 0xffff0000, v16
	buffer_store_dword v0, off, s[0:3], s32 offset:928 ; 4-byte Folded Spill
	v_lshlrev_b32_e32 v0, 16, v8
	buffer_store_dword v6, off, s[0:3], s32 offset:992 ; 4-byte Folded Spill
	v_lshlrev_b32_e32 v6, 16, v17
	buffer_store_dword v0, off, s[0:3], s32 offset:932 ; 4-byte Folded Spill
	v_and_b32_e32 v0, 0xffff0000, v8
	buffer_store_dword v6, off, s[0:3], s32 offset:996 ; 4-byte Folded Spill
	;; [unrolled: 8-line block ×3, first 2 shown]
	v_and_b32_e32 v6, 0xffff0000, v18
	buffer_store_dword v0, off, s[0:3], s32 offset:944 ; 4-byte Folded Spill
	v_lshlrev_b32_e32 v0, 16, v10
	buffer_store_dword v6, off, s[0:3], s32 offset:1008 ; 4-byte Folded Spill
	ds_read_b128 v[6:9], v14 offset:80
	buffer_store_dword v0, off, s[0:3], s32 offset:948 ; 4-byte Folded Spill
	v_and_b32_e32 v0, 0xffff0000, v10
	buffer_store_dword v0, off, s[0:3], s32 offset:952 ; 4-byte Folded Spill
	v_lshlrev_b32_e32 v0, 16, v11
	buffer_store_dword v0, off, s[0:3], s32 offset:956 ; 4-byte Folded Spill
	v_and_b32_e32 v0, 0xffff0000, v11
	buffer_store_dword v0, off, s[0:3], s32 offset:960 ; 4-byte Folded Spill
	v_lshlrev_b32_e32 v0, 16, v12
	buffer_store_dword v0, off, s[0:3], s32 offset:964 ; 4-byte Folded Spill
	v_and_b32_e32 v0, 0xffff0000, v12
	v_mov_b32_e32 v12, 0xff7fffff
	buffer_store_dword v0, off, s[0:3], s32 offset:968 ; 4-byte Folded Spill
	v_lshlrev_b32_e32 v0, 16, v13
	buffer_store_dword v0, off, s[0:3], s32 offset:972 ; 4-byte Folded Spill
	v_and_b32_e32 v0, 0xffff0000, v13
	buffer_store_dword v0, off, s[0:3], s32 offset:976 ; 4-byte Folded Spill
	v_lshlrev_b32_e32 v0, 16, v15
	buffer_store_dword v0, off, s[0:3], s32 offset:980 ; 4-byte Folded Spill
	ds_read_b128 v[0:3], v14 offset:64
	s_waitcnt lgkmcnt(0)
	v_lshlrev_b32_e32 v10, 16, v0
	v_and_b32_e32 v0, 0xffff0000, v0
	buffer_store_dword v10, off, s[0:3], s32 offset:1012 ; 4-byte Folded Spill
	buffer_store_dword v0, off, s[0:3], s32 offset:1016 ; 4-byte Folded Spill
	v_lshlrev_b32_e32 v0, 16, v1
	buffer_store_dword v0, off, s[0:3], s32 offset:1020 ; 4-byte Folded Spill
	v_and_b32_e32 v0, 0xffff0000, v1
	buffer_store_dword v0, off, s[0:3], s32 offset:1024 ; 4-byte Folded Spill
	v_lshlrev_b32_e32 v0, 16, v2
	buffer_store_dword v0, off, s[0:3], s32 offset:1028 ; 4-byte Folded Spill
	v_and_b32_e32 v0, 0xffff0000, v2
	;; [unrolled: 4-line block ×7, first 2 shown]
	buffer_store_dword v0, off, s[0:3], s32 offset:1072 ; 4-byte Folded Spill
	ds_read_b128 v[0:3], v14 offset:96
	ds_read_b128 v[6:9], v14 offset:112
	s_waitcnt lgkmcnt(1)
	v_lshlrev_b32_e32 v10, 16, v0
	v_and_b32_e32 v0, 0xffff0000, v0
	buffer_store_dword v10, off, s[0:3], s32 offset:1076 ; 4-byte Folded Spill
	buffer_store_dword v0, off, s[0:3], s32 offset:1080 ; 4-byte Folded Spill
	v_lshlrev_b32_e32 v0, 16, v1
	buffer_store_dword v0, off, s[0:3], s32 offset:1084 ; 4-byte Folded Spill
	v_and_b32_e32 v0, 0xffff0000, v1
	buffer_store_dword v0, off, s[0:3], s32 offset:1088 ; 4-byte Folded Spill
	v_lshlrev_b32_e32 v0, 16, v2
	buffer_store_dword v0, off, s[0:3], s32 offset:1092 ; 4-byte Folded Spill
	v_and_b32_e32 v0, 0xffff0000, v2
	buffer_store_dword v0, off, s[0:3], s32 offset:1096 ; 4-byte Folded Spill
	v_lshlrev_b32_e32 v0, 16, v3
	buffer_store_dword v0, off, s[0:3], s32 offset:1100 ; 4-byte Folded Spill
	v_and_b32_e32 v0, 0xffff0000, v3
	buffer_store_dword v0, off, s[0:3], s32 offset:1104 ; 4-byte Folded Spill
	s_waitcnt lgkmcnt(0)
	v_lshlrev_b32_e32 v0, 16, v6
	buffer_store_dword v0, off, s[0:3], s32 offset:1108 ; 4-byte Folded Spill
	v_and_b32_e32 v0, 0xffff0000, v6
	buffer_store_dword v0, off, s[0:3], s32 offset:1112 ; 4-byte Folded Spill
	v_lshlrev_b32_e32 v0, 16, v7
	buffer_store_dword v0, off, s[0:3], s32 offset:1116 ; 4-byte Folded Spill
	v_and_b32_e32 v0, 0xffff0000, v7
	buffer_store_dword v0, off, s[0:3], s32 offset:1120 ; 4-byte Folded Spill
	v_lshlrev_b32_e32 v0, 16, v8
	buffer_store_dword v0, off, s[0:3], s32 offset:1124 ; 4-byte Folded Spill
	v_and_b32_e32 v0, 0xffff0000, v8
	buffer_store_dword v0, off, s[0:3], s32 offset:1128 ; 4-byte Folded Spill
	v_lshlrev_b32_e32 v0, 16, v9
	buffer_store_dword v0, off, s[0:3], s32 offset:1132 ; 4-byte Folded Spill
	v_and_b32_e32 v0, 0xffff0000, v9
	buffer_store_dword v0, off, s[0:3], s32 offset:1136 ; 4-byte Folded Spill
	ds_read_b128 v[0:3], v14 offset:128
	ds_read_b128 v[6:9], v14 offset:144
	s_waitcnt lgkmcnt(1)
	v_lshlrev_b32_e32 v10, 16, v0
	v_and_b32_e32 v0, 0xffff0000, v0
	buffer_store_dword v10, off, s[0:3], s32 offset:1140 ; 4-byte Folded Spill
	buffer_store_dword v0, off, s[0:3], s32 offset:1144 ; 4-byte Folded Spill
	v_lshlrev_b32_e32 v0, 16, v1
	buffer_store_dword v0, off, s[0:3], s32 offset:1148 ; 4-byte Folded Spill
	v_and_b32_e32 v0, 0xffff0000, v1
	buffer_store_dword v0, off, s[0:3], s32 offset:1152 ; 4-byte Folded Spill
	v_lshlrev_b32_e32 v0, 16, v2
	buffer_store_dword v0, off, s[0:3], s32 offset:1156 ; 4-byte Folded Spill
	v_and_b32_e32 v0, 0xffff0000, v2
	buffer_store_dword v0, off, s[0:3], s32 offset:1160 ; 4-byte Folded Spill
	v_lshlrev_b32_e32 v0, 16, v3
	buffer_store_dword v0, off, s[0:3], s32 offset:1164 ; 4-byte Folded Spill
	v_and_b32_e32 v0, 0xffff0000, v3
	buffer_store_dword v0, off, s[0:3], s32 offset:1168 ; 4-byte Folded Spill
	s_waitcnt lgkmcnt(0)
	v_lshlrev_b32_e32 v0, 16, v6
	buffer_store_dword v0, off, s[0:3], s32 offset:1172 ; 4-byte Folded Spill
	v_and_b32_e32 v0, 0xffff0000, v6
	buffer_store_dword v0, off, s[0:3], s32 offset:1176 ; 4-byte Folded Spill
	v_lshlrev_b32_e32 v0, 16, v7
	buffer_store_dword v0, off, s[0:3], s32 offset:1180 ; 4-byte Folded Spill
	v_and_b32_e32 v0, 0xffff0000, v7
	buffer_store_dword v0, off, s[0:3], s32 offset:1184 ; 4-byte Folded Spill
	v_lshlrev_b32_e32 v0, 16, v8
	buffer_store_dword v0, off, s[0:3], s32 offset:1188 ; 4-byte Folded Spill
	v_and_b32_e32 v0, 0xffff0000, v8
	buffer_store_dword v0, off, s[0:3], s32 offset:1192 ; 4-byte Folded Spill
	v_lshlrev_b32_e32 v0, 16, v9
	buffer_store_dword v0, off, s[0:3], s32 offset:1196 ; 4-byte Folded Spill
	v_and_b32_e32 v0, 0xffff0000, v9
	;; [unrolled: 36-line block ×8, first 2 shown]
	buffer_store_dword v0, off, s[0:3], s32 offset:1584 ; 4-byte Folded Spill
	ds_read_b128 v[0:3], v14 offset:352
	ds_read_b128 v[6:9], v14 offset:368
	s_waitcnt lgkmcnt(1)
	v_lshlrev_b32_e32 v10, 16, v0
	v_and_b32_e32 v0, 0xffff0000, v0
	buffer_store_dword v10, off, s[0:3], s32 offset:1588 ; 4-byte Folded Spill
	buffer_store_dword v0, off, s[0:3], s32 offset:1592 ; 4-byte Folded Spill
	v_lshlrev_b32_e32 v0, 16, v1
	buffer_store_dword v0, off, s[0:3], s32 offset:1596 ; 4-byte Folded Spill
	v_and_b32_e32 v0, 0xffff0000, v1
	buffer_load_dword v1, off, s[0:3], s32 offset:1684 ; 4-byte Folded Reload
	buffer_store_dword v0, off, s[0:3], s32 offset:1600 ; 4-byte Folded Spill
	v_lshlrev_b32_e32 v0, 16, v2
	buffer_store_dword v0, off, s[0:3], s32 offset:1604 ; 4-byte Folded Spill
	v_and_b32_e32 v0, 0xffff0000, v2
	buffer_store_dword v0, off, s[0:3], s32 offset:1608 ; 4-byte Folded Spill
	v_lshlrev_b32_e32 v0, 16, v3
	buffer_store_dword v0, off, s[0:3], s32 offset:1612 ; 4-byte Folded Spill
	v_and_b32_e32 v0, 0xffff0000, v3
	buffer_load_dword v3, off, s[0:3], s32 offset:852 ; 4-byte Folded Reload
	buffer_store_dword v0, off, s[0:3], s32 offset:1616 ; 4-byte Folded Spill
	s_waitcnt lgkmcnt(0)
	v_lshlrev_b32_e32 v0, 16, v6
	buffer_store_dword v0, off, s[0:3], s32 offset:1620 ; 4-byte Folded Spill
	v_and_b32_e32 v0, 0xffff0000, v6
	buffer_store_dword v0, off, s[0:3], s32 offset:1624 ; 4-byte Folded Spill
	v_lshlrev_b32_e32 v0, 16, v7
	buffer_store_dword v0, off, s[0:3], s32 offset:1628 ; 4-byte Folded Spill
	v_and_b32_e32 v0, 0xffff0000, v7
	v_mov_b32_e32 v7, 0x80
	buffer_store_dword v0, off, s[0:3], s32 offset:1632 ; 4-byte Folded Spill
	v_lshlrev_b32_e32 v0, 16, v8
	buffer_store_dword v0, off, s[0:3], s32 offset:1636 ; 4-byte Folded Spill
	v_and_b32_e32 v0, 0xffff0000, v8
	buffer_store_dword v0, off, s[0:3], s32 offset:1640 ; 4-byte Folded Spill
	v_lshlrev_b32_e32 v0, 16, v9
	buffer_store_dword v0, off, s[0:3], s32 offset:1644 ; 4-byte Folded Spill
	v_and_b32_e32 v0, 0xffff0000, v9
	buffer_store_dword v0, off, s[0:3], s32 offset:1648 ; 4-byte Folded Spill
	buffer_load_dword v0, off, s[0:3], s32 offset:1680 ; 4-byte Folded Reload
	s_waitcnt vmcnt(1)
	v_lshlrev_b32_e32 v2, 4, v3
	s_waitcnt vmcnt(0)
	v_add_co_u32 v0, vcc_lo, v4, v0
	v_add_co_ci_u32_e64 v1, null, v5, v1, vcc_lo
	v_add_co_u32 v0, vcc_lo, v0, v2
	v_add_co_ci_u32_e64 v1, null, 0, v1, vcc_lo
	buffer_store_dword v0, off, s[0:3], s32 offset:1652 ; 4-byte Folded Spill
	buffer_store_dword v1, off, s[0:3], s32 offset:1656 ; 4-byte Folded Spill
	s_clause 0x1
	buffer_load_dword v0, off, s[0:3], s32 offset:1668
	buffer_load_dword v1, off, s[0:3], s32 offset:1688
	s_waitcnt vmcnt(0)
	v_max_i32_e32 v1, v0, v1
	v_cvt_f32_u32_e32 v0, v1
	buffer_store_dword v1, off, s[0:3], s32 offset:528 ; 4-byte Folded Spill
	v_sub_nc_u32_e32 v1, 0, v1
	v_rcp_iflag_f32_e32 v0, v0
	v_mul_f32_e32 v0, 0x4f7ffffe, v0
	v_cvt_u32_f32_e32 v0, v0
	v_mul_lo_u32 v1, v1, v0
	v_mul_hi_u32 v1, v0, v1
	v_add_nc_u32_e32 v0, v0, v1
	buffer_store_dword v0, off, s[0:3], s32 offset:532 ; 4-byte Folded Spill
	s_clause 0x2
	buffer_load_dword v0, off, s[0:3], s32 offset:856
	buffer_load_dword v1, off, s[0:3], s32 offset:1692
	;; [unrolled: 1-line block ×3, first 2 shown]
	s_waitcnt vmcnt(2)
	v_lshrrev_b32_e32 v0, 3, v0
	v_and_b32_e32 v0, 0x7c, v0
	s_waitcnt vmcnt(1)
	v_add_co_u32 v0, vcc_lo, v0, v1
	s_waitcnt vmcnt(0)
	v_add_co_ci_u32_e64 v1, null, 0, v2, vcc_lo
	buffer_load_dword v2, off, s[0:3], s32 offset:1676 ; 4-byte Folded Reload
	s_waitcnt vmcnt(0)
	v_add_co_u32 v4, vcc_lo, v2, v0
	buffer_load_dword v0, off, s[0:3], s32 offset:1672 ; 4-byte Folded Reload
	s_waitcnt vmcnt(0)
	v_add_co_ci_u32_e64 v5, null, v0, v1, vcc_lo
	buffer_store_dword v4, off, s[0:3], s32 offset:196 ; 4-byte Folded Spill
	buffer_store_dword v5, off, s[0:3], s32 offset:200 ; 4-byte Folded Spill
	buffer_load_dword v0, off, s[0:3], s32 offset:860 ; 4-byte Folded Reload
	s_load_dword s19, s[8:9], 0x0
	buffer_store_dword v19, off, s[0:3], s32 offset:1716 ; 4-byte Folded Spill
	s_waitcnt vmcnt(0)
	v_cmp_neq_f32_e32 vcc_lo, 0, v0
	v_sub_nc_u32_e32 v0, v3, v123
	v_add_nc_u32_e32 v0, 1, v0
	buffer_store_dword v0, off, s[0:3], s32 offset:1660 ; 4-byte Folded Spill
	buffer_load_dword v0, off, s[0:3], s32 offset:1664 ; 4-byte Folded Reload
	s_waitcnt vmcnt(0)
	v_lshlrev_b32_e32 v5, 5, v0
	v_lshl_or_b32 v6, v0, 7, v19
	v_mov_b32_e32 v2, v0
	s_branch .LBB355_15
.LBB355_10:                             ;   in Loop: Header=BB355_15 Depth=1
	s_or_b32 exec_lo, exec_lo, s23
	v_mov_b32_e32 v13, 24
	v_lshl_add_u32 v24, v24, 23, 0x3c000000
	v_lshlrev_b32_sdwa v13, v13, v25 dst_sel:DWORD dst_unused:UNUSED_PAD src0_sel:DWORD src1_sel:BYTE_3
	v_lshlrev_b32_e32 v25, 20, v27
	v_and_b32_e32 v13, 0x80000000, v13
	v_or3_b32 v49, v25, v13, v24
.LBB355_11:                             ;   in Loop: Header=BB355_15 Depth=1
	s_or_b32 exec_lo, exec_lo, s22
.LBB355_12:                             ;   in Loop: Header=BB355_15 Depth=1
	s_or_b32 exec_lo, exec_lo, s21
.LBB355_13:                             ;   in Loop: Header=BB355_15 Depth=1
	s_or_b32 exec_lo, exec_lo, s20
	v_mul_f32_e32 v6, v12, v6
	v_mul_f32_e32 v1, v12, v1
	;; [unrolled: 1-line block ×3, first 2 shown]
	v_bfe_u32 v13, v6, 16, 1
	v_or_b32_e32 v24, 0x400000, v6
	v_cmp_u_f32_e64 s5, v6, v6
	v_add3_u32 v13, v13, v6, 0x7fff
	v_cndmask_b32_e64 v6, v13, v24, s5
	buffer_store_dword v6, off, s[0:3], s32 offset:556 ; 4-byte Folded Spill
	v_mul_f32_e32 v6, v12, v95
	v_bfe_u32 v13, v6, 16, 1
	v_or_b32_e32 v24, 0x400000, v6
	v_cmp_u_f32_e64 s5, v6, v6
	v_add3_u32 v13, v13, v6, 0x7fff
	v_cndmask_b32_e64 v6, v13, v24, s5
	buffer_store_dword v6, off, s[0:3], s32 offset:560 ; 4-byte Folded Spill
	v_mul_f32_e32 v6, v12, v125
	;; [unrolled: 7-line block ×19, first 2 shown]
	v_bfe_u32 v10, v6, 16, 1
	v_or_b32_e32 v13, 0x400000, v6
	v_cmp_u_f32_e64 s5, v6, v6
	v_add3_u32 v10, v10, v6, 0x7fff
	v_cndmask_b32_e64 v6, v10, v13, s5
	v_or_b32_e32 v10, 0x400000, v1
	v_cmp_u_f32_e64 s5, v1, v1
	buffer_store_dword v6, off, s[0:3], s32 offset:644 ; 4-byte Folded Spill
	v_bfe_u32 v6, v1, 16, 1
	v_add3_u32 v6, v6, v1, 0x7fff
	v_cndmask_b32_e64 v1, v6, v10, s5
	v_or_b32_e32 v6, 0x400000, v0
	v_cmp_u_f32_e64 s5, v0, v0
	buffer_store_dword v1, off, s[0:3], s32 offset:652 ; 4-byte Folded Spill
	v_bfe_u32 v1, v0, 16, 1
	v_add3_u32 v1, v1, v0, 0x7fff
	v_cndmask_b32_e64 v0, v1, v6, s5
	buffer_store_dword v0, off, s[0:3], s32 offset:660 ; 4-byte Folded Spill
	v_mul_f32_e32 v0, v12, v80
	v_bfe_u32 v1, v0, 16, 1
	v_or_b32_e32 v6, 0x400000, v0
	v_cmp_u_f32_e64 s5, v0, v0
	v_add3_u32 v1, v1, v0, 0x7fff
	v_cndmask_b32_e64 v0, v1, v6, s5
	buffer_store_dword v0, off, s[0:3], s32 offset:648 ; 4-byte Folded Spill
	v_mul_f32_e32 v0, v12, v81
	v_bfe_u32 v1, v0, 16, 1
	v_or_b32_e32 v6, 0x400000, v0
	v_cmp_u_f32_e64 s5, v0, v0
	;; [unrolled: 7-line block ×48, first 2 shown]
	v_add3_u32 v1, v1, v0, 0x7fff
	v_mul_f32_e32 v0, v12, v23
	v_cndmask_b32_e64 v79, v1, v6, s5
	v_bfe_u32 v1, v0, 16, 1
	v_or_b32_e32 v6, 0x400000, v0
	v_cmp_u_f32_e64 s5, v0, v0
	v_add3_u32 v1, v1, v0, 0x7fff
	v_cndmask_b32_e64 v0, v1, v6, s5
	buffer_store_dword v0, off, s[0:3], s32 offset:844 ; 4-byte Folded Spill
	v_mul_f32_e32 v0, v12, v50
	v_bfe_u32 v1, v0, 16, 1
	v_or_b32_e32 v6, 0x400000, v0
	v_cmp_u_f32_e64 s5, v0, v0
	v_add3_u32 v1, v1, v0, 0x7fff
	v_mul_f32_e32 v0, v12, v70
	v_cndmask_b32_e64 v90, v1, v6, s5
	v_bfe_u32 v1, v0, 16, 1
	v_or_b32_e32 v6, 0x400000, v0
	v_cmp_u_f32_e64 s5, v0, v0
	v_add3_u32 v1, v1, v0, 0x7fff
	v_mul_f32_e32 v0, v12, v75
	v_cndmask_b32_e64 v78, v1, v6, s5
	;; [unrolled: 6-line block ×10, first 2 shown]
	v_bfe_u32 v1, v0, 16, 1
	v_or_b32_e32 v6, 0x400000, v0
	v_cmp_u_f32_e64 s5, v0, v0
	v_add3_u32 v1, v1, v0, 0x7fff
	v_mul_f32_e32 v0, v12, v35
	buffer_load_dword v35, off, s[0:3], s32 offset:248 ; 4-byte Folded Reload
	v_cndmask_b32_e64 v21, v1, v6, s5
	v_bfe_u32 v1, v0, 16, 1
	v_or_b32_e32 v6, 0x400000, v0
	v_cmp_u_f32_e64 s5, v0, v0
	v_add3_u32 v1, v1, v0, 0x7fff
	v_mul_f32_e32 v0, v12, v9
	v_cndmask_b32_e64 v16, v1, v6, s5
	v_bfe_u32 v1, v0, 16, 1
	v_or_b32_e32 v6, 0x400000, v0
	v_cmp_u_f32_e64 s5, v0, v0
	v_add3_u32 v1, v1, v0, 0x7fff
	v_mul_f32_e32 v0, v12, v18
	;; [unrolled: 6-line block ×18, first 2 shown]
	v_cndmask_b32_e64 v105, v1, v6, s5
	v_bfe_u32 v1, v0, 16, 1
	v_or_b32_e32 v6, 0x400000, v0
	v_cmp_u_f32_e64 s5, v0, v0
	v_add3_u32 v1, v1, v0, 0x7fff
	buffer_load_dword v0, off, s[0:3], s32 offset:452 ; 4-byte Folded Reload
	v_cndmask_b32_e64 v104, v1, v6, s5
	s_waitcnt vmcnt(0)
	v_mul_f32_e32 v0, v12, v0
	v_bfe_u32 v1, v0, 16, 1
	v_or_b32_e32 v6, 0x400000, v0
	v_cmp_u_f32_e64 s5, v0, v0
	v_add3_u32 v1, v1, v0, 0x7fff
	v_mul_f32_e32 v0, v12, v110
	v_cndmask_b32_e64 v124, v1, v6, s5
	v_bfe_u32 v1, v0, 16, 1
	v_or_b32_e32 v6, 0x400000, v0
	v_cmp_u_f32_e64 s5, v0, v0
	v_add3_u32 v1, v1, v0, 0x7fff
	v_mul_f32_e32 v0, v12, v109
	v_cndmask_b32_e64 v95, v1, v6, s5
	v_bfe_u32 v1, v0, 16, 1
	v_or_b32_e32 v6, 0x400000, v0
	v_cmp_u_f32_e64 s5, v0, v0
	v_add3_u32 v1, v1, v0, 0x7fff
	buffer_load_dword v0, off, s[0:3], s32 offset:444 ; 4-byte Folded Reload
	v_cndmask_b32_e64 v109, v1, v6, s5
	s_waitcnt vmcnt(0)
	v_mul_f32_e32 v0, v12, v0
	v_bfe_u32 v1, v0, 16, 1
	v_or_b32_e32 v6, 0x400000, v0
	v_cmp_u_f32_e64 s5, v0, v0
	v_add3_u32 v1, v1, v0, 0x7fff
	buffer_load_dword v0, off, s[0:3], s32 offset:440 ; 4-byte Folded Reload
	v_cndmask_b32_e64 v110, v1, v6, s5
	s_waitcnt vmcnt(0)
	v_mul_f32_e32 v0, v12, v0
	;; [unrolled: 8-line block ×3, first 2 shown]
	v_bfe_u32 v1, v0, 16, 1
	v_or_b32_e32 v6, 0x400000, v0
	v_cmp_u_f32_e64 s5, v0, v0
	v_add3_u32 v1, v1, v0, 0x7fff
	v_mul_f32_e32 v0, v12, v76
	v_cndmask_b32_e64 v37, v1, v6, s5
	v_bfe_u32 v1, v0, 16, 1
	v_or_b32_e32 v6, 0x400000, v0
	v_cmp_u_f32_e64 s5, v0, v0
	v_add3_u32 v1, v1, v0, 0x7fff
	buffer_load_dword v0, off, s[0:3], s32 offset:432 ; 4-byte Folded Reload
	v_cndmask_b32_e64 v6, v1, v6, s5
	s_waitcnt vmcnt(0)
	v_mul_f32_e32 v0, v12, v0
	v_bfe_u32 v1, v0, 16, 1
	v_or_b32_e32 v10, 0x400000, v0
	v_cmp_u_f32_e64 s5, v0, v0
	v_add3_u32 v1, v1, v0, 0x7fff
	v_cndmask_b32_e64 v0, v1, v10, s5
	buffer_load_dword v1, off, s[0:3], s32 offset:428 ; 4-byte Folded Reload
	v_and_b32_e32 v0, 0xffff0000, v0
	s_waitcnt vmcnt(0)
	v_mul_f32_e32 v1, v12, v1
	v_bfe_u32 v10, v1, 16, 1
	v_or_b32_e32 v11, 0x400000, v1
	v_cmp_u_f32_e64 s5, v1, v1
	v_add3_u32 v10, v10, v1, 0x7fff
	v_mul_f32_e32 v1, v12, v77
	v_cndmask_b32_e64 v26, v10, v11, s5
	v_bfe_u32 v10, v1, 16, 1
	v_or_b32_e32 v11, 0x400000, v1
	v_cmp_u_f32_e64 s5, v1, v1
	v_add3_u32 v10, v10, v1, 0x7fff
	buffer_load_dword v1, off, s[0:3], s32 offset:448 ; 4-byte Folded Reload
	v_cndmask_b32_e64 v10, v10, v11, s5
	s_waitcnt vmcnt(0)
	v_mul_f32_e32 v1, v12, v1
	v_bfe_u32 v11, v1, 16, 1
	v_or_b32_e32 v15, 0x400000, v1
	v_cmp_u_f32_e64 s5, v1, v1
	v_add3_u32 v11, v11, v1, 0x7fff
	v_cndmask_b32_e64 v1, v11, v15, s5
	buffer_load_dword v11, off, s[0:3], s32 offset:420 ; 4-byte Folded Reload
	s_waitcnt vmcnt(0)
	v_mul_f32_e32 v11, v12, v11
	v_bfe_u32 v15, v11, 16, 1
	v_or_b32_e32 v17, 0x400000, v11
	v_cmp_u_f32_e64 s5, v11, v11
	v_add3_u32 v15, v15, v11, 0x7fff
	buffer_load_dword v11, off, s[0:3], s32 offset:416 ; 4-byte Folded Reload
	v_cndmask_b32_e64 v17, v15, v17, s5
	s_waitcnt vmcnt(0)
	v_mul_f32_e32 v11, v12, v11
	v_bfe_u32 v15, v11, 16, 1
	v_or_b32_e32 v23, 0x400000, v11
	v_cmp_u_f32_e64 s5, v11, v11
	v_add3_u32 v15, v15, v11, 0x7fff
	buffer_load_dword v11, off, s[0:3], s32 offset:412 ; 4-byte Folded Reload
	v_cndmask_b32_e64 v29, v15, v23, s5
	;; [unrolled: 8-line block ×19, first 2 shown]
	s_waitcnt vmcnt(0)
	v_mul_f32_e32 v11, v12, v11
	v_bfe_u32 v15, v11, 16, 1
	v_or_b32_e32 v23, 0x400000, v11
	v_cmp_u_f32_e64 s5, v11, v11
	v_add3_u32 v15, v15, v11, 0x7fff
	v_cndmask_b32_e64 v11, v15, v23, s5
	buffer_load_dword v15, off, s[0:3], s32 offset:360 ; 4-byte Folded Reload
	v_and_b32_e32 v11, 0xffff0000, v11
	s_waitcnt vmcnt(0)
	v_mul_f32_e32 v15, v12, v15
	v_bfe_u32 v23, v15, 16, 1
	v_or_b32_e32 v33, 0x400000, v15
	v_cmp_u_f32_e64 s5, v15, v15
	v_add3_u32 v23, v23, v15, 0x7fff
	buffer_load_dword v15, off, s[0:3], s32 offset:356 ; 4-byte Folded Reload
	v_cndmask_b32_e64 v99, v23, v33, s5
	s_waitcnt vmcnt(0)
	v_mul_f32_e32 v15, v12, v15
	v_bfe_u32 v23, v15, 16, 1
	v_or_b32_e32 v33, 0x400000, v15
	v_cmp_u_f32_e64 s5, v15, v15
	v_add3_u32 v23, v23, v15, 0x7fff
	buffer_load_dword v15, off, s[0:3], s32 offset:508 ; 4-byte Folded Reload
	v_cndmask_b32_e64 v86, v23, v33, s5
	;; [unrolled: 8-line block ×21, first 2 shown]
	s_waitcnt vmcnt(0)
	v_mul_f32_e32 v15, v12, v15
	v_bfe_u32 v23, v15, 16, 1
	v_or_b32_e32 v33, 0x400000, v15
	v_cmp_u_f32_e64 s5, v15, v15
	v_add3_u32 v23, v23, v15, 0x7fff
	v_cndmask_b32_e64 v15, v23, v33, s5
	buffer_load_dword v23, off, s[0:3], s32 offset:288 ; 4-byte Folded Reload
	v_and_b32_e32 v15, 0xffff0000, v15
	s_waitcnt vmcnt(0)
	v_mul_f32_e32 v23, v12, v23
	v_bfe_u32 v33, v23, 16, 1
	v_or_b32_e32 v34, 0x400000, v23
	v_cmp_u_f32_e64 s5, v23, v23
	v_add3_u32 v33, v33, v23, 0x7fff
	buffer_load_dword v23, off, s[0:3], s32 offset:476 ; 4-byte Folded Reload
	v_cndmask_b32_e64 v53, v33, v34, s5
	s_waitcnt vmcnt(0)
	v_mul_f32_e32 v23, v12, v23
	v_bfe_u32 v33, v23, 16, 1
	v_or_b32_e32 v34, 0x400000, v23
	v_cmp_u_f32_e64 s5, v23, v23
	v_add3_u32 v33, v33, v23, 0x7fff
	buffer_load_dword v23, off, s[0:3], s32 offset:284 ; 4-byte Folded Reload
	v_cndmask_b32_e64 v51, v33, v34, s5
	;; [unrolled: 8-line block ×12, first 2 shown]
	s_waitcnt vmcnt(0)
	v_mul_f32_e32 v23, v12, v23
	v_bfe_u32 v33, v23, 16, 1
	v_or_b32_e32 v87, 0x400000, v23
	v_cmp_u_f32_e64 s5, v23, v23
	v_add3_u32 v33, v33, v23, 0x7fff
	v_cndmask_b32_e64 v23, v33, v87, s5
	buffer_load_dword v33, off, s[0:3], s32 offset:276 ; 4-byte Folded Reload
	s_waitcnt vmcnt(0)
	v_mul_f32_e32 v33, v12, v33
	v_bfe_u32 v87, v33, 16, 1
	v_or_b32_e32 v96, 0x400000, v33
	v_cmp_u_f32_e64 s5, v33, v33
	v_add3_u32 v87, v87, v33, 0x7fff
	v_cndmask_b32_e64 v33, v87, v96, s5
	v_mul_f32_e32 v87, v12, v35
	buffer_load_dword v35, off, s[0:3], s32 offset:244 ; 4-byte Folded Reload
	v_bfe_u32 v96, v87, 16, 1
	v_or_b32_e32 v97, 0x400000, v87
	v_cmp_u_f32_e64 s5, v87, v87
	v_add3_u32 v96, v96, v87, 0x7fff
	v_cndmask_b32_e64 v100, v96, v97, s5
	s_waitcnt vmcnt(0)
	v_mul_f32_e32 v87, v12, v35
	buffer_load_dword v35, off, s[0:3], s32 offset:240 ; 4-byte Folded Reload
	v_bfe_u32 v96, v87, 16, 1
	v_or_b32_e32 v97, 0x400000, v87
	v_cmp_u_f32_e64 s5, v87, v87
	v_add3_u32 v96, v96, v87, 0x7fff
	v_cndmask_b32_e64 v87, v96, v97, s5
	s_waitcnt vmcnt(0)
	;; [unrolled: 8-line block ×7, first 2 shown]
	v_mul_f32_e32 v102, v12, v35
	v_bfe_u32 v103, v102, 16, 1
	v_or_b32_e32 v115, 0x400000, v102
	v_cmp_u_f32_e64 s5, v102, v102
	v_add3_u32 v103, v103, v102, 0x7fff
	v_mul_f32_e32 v102, v12, v94
	v_cndmask_b32_e64 v35, v103, v115, s5
	v_bfe_u32 v103, v102, 16, 1
	v_or_b32_e32 v115, 0x400000, v102
	v_cmp_u_f32_e64 s5, v102, v102
	v_add3_u32 v103, v103, v102, 0x7fff
	v_mul_f32_e32 v102, v12, v19
	buffer_load_dword v19, off, s[0:3], s32 offset:548 ; 4-byte Folded Reload
	v_cndmask_b32_e64 v127, v103, v115, s5
	v_bfe_u32 v103, v102, 16, 1
	v_or_b32_e32 v115, 0x400000, v102
	v_cmp_u_f32_e64 s5, v102, v102
	v_add3_u32 v103, v103, v102, 0x7fff
	v_mul_f32_e32 v102, v12, v93
	v_cndmask_b32_e64 v73, v103, v115, s5
	v_bfe_u32 v103, v102, 16, 1
	v_or_b32_e32 v115, 0x400000, v102
	v_cmp_u_f32_e64 s5, v102, v102
	v_add3_u32 v103, v103, v102, 0x7fff
	v_mul_f32_e32 v102, v12, v31
	v_cndmask_b32_e64 v39, v103, v115, s5
	v_bfe_u32 v103, v102, 16, 1
	v_or_b32_e32 v115, 0x400000, v102
	v_cmp_u_f32_e64 s5, v102, v102
	v_add3_u32 v103, v103, v102, 0x7fff
	v_cndmask_b32_e64 v72, v103, v115, s5
	s_waitcnt vmcnt(0)
	v_mul_f32_e32 v102, v12, v19
	buffer_load_dword v19, off, s[0:3], s32 offset:456 ; 4-byte Folded Reload
	v_bfe_u32 v103, v102, 16, 1
	v_or_b32_e32 v115, 0x400000, v102
	v_cmp_u_f32_e64 s5, v102, v102
	v_add3_u32 v103, v103, v102, 0x7fff
	v_mul_f32_e32 v102, v12, v22
	v_cndmask_b32_e64 v94, v103, v115, s5
	v_bfe_u32 v103, v102, 16, 1
	v_or_b32_e32 v115, 0x400000, v102
	v_cmp_u_f32_e64 s5, v102, v102
	v_add3_u32 v103, v103, v102, 0x7fff
	v_cndmask_b32_e64 v93, v103, v115, s5
	s_waitcnt vmcnt(0)
	v_mul_f32_e32 v102, v12, v19
	buffer_load_dword v19, off, s[0:3], s32 offset:552 ; 4-byte Folded Reload
	v_bfe_u32 v103, v102, 16, 1
	v_or_b32_e32 v115, 0x400000, v102
	v_cmp_u_f32_e64 s5, v102, v102
	v_add3_u32 v103, v103, v102, 0x7fff
	v_cndmask_b32_e64 v31, v103, v115, s5
	v_and_b32_e32 v31, 0xffff0000, v31
	s_waitcnt vmcnt(0)
	v_mul_f32_e32 v102, v12, v19
	buffer_load_dword v19, off, s[0:3], s32 offset:584 ; 4-byte Folded Reload
	v_bfe_u32 v103, v102, 16, 1
	v_or_b32_e32 v115, 0x400000, v102
	v_cmp_u_f32_e64 s5, v102, v102
	v_add3_u32 v103, v103, v102, 0x7fff
	v_mul_f32_e32 v102, v12, v92
	v_cndmask_b32_e64 v22, v103, v115, s5
	v_bfe_u32 v103, v102, 16, 1
	v_or_b32_e32 v115, 0x400000, v102
	v_cmp_u_f32_e64 s5, v102, v102
	v_and_b32_e32 v22, 0xffff0000, v22
	v_add3_u32 v103, v103, v102, 0x7fff
	v_mul_f32_e32 v102, v12, v91
	v_cndmask_b32_e64 v92, v103, v115, s5
	v_bfe_u32 v103, v102, 16, 1
	v_or_b32_e32 v115, 0x400000, v102
	v_cmp_u_f32_e64 s5, v102, v102
	v_add3_u32 v103, v103, v102, 0x7fff
	v_mul_f32_e32 v102, v12, v89
	v_cndmask_b32_e64 v91, v103, v115, s5
	v_bfe_u32 v103, v102, 16, 1
	v_or_b32_e32 v115, 0x400000, v102
	v_cmp_u_f32_e64 s5, v102, v102
	;; [unrolled: 6-line block ×3, first 2 shown]
	v_add3_u32 v103, v103, v102, 0x7fff
	v_cndmask_b32_e64 v88, v103, v115, s5
	s_waitcnt vmcnt(0)
	v_mul_f32_e32 v102, v12, v19
	buffer_load_dword v19, off, s[0:3], s32 offset:568 ; 4-byte Folded Reload
	v_bfe_u32 v103, v102, 16, 1
	v_or_b32_e32 v115, 0x400000, v102
	v_cmp_u_f32_e64 s5, v102, v102
	v_add3_u32 v103, v103, v102, 0x7fff
	v_cndmask_b32_e64 v103, v103, v115, s5
	s_waitcnt vmcnt(0)
	v_mul_f32_e32 v102, v12, v19
	v_bfe_u32 v115, v102, 16, 1
	v_or_b32_e32 v19, 0x400000, v102
	v_cmp_u_f32_e64 s5, v102, v102
	v_add3_u32 v115, v115, v102, 0x7fff
	v_cndmask_b32_e64 v115, v115, v19, s5
	v_mul_f32_e32 v19, v12, v32
	v_mul_f32_e32 v32, v12, v49
	v_bfe_u32 v12, v19, 16, 1
	v_or_b32_e32 v49, 0x400000, v19
	v_cmp_u_f32_e64 s5, v19, v19
	v_add3_u32 v12, v12, v19, 0x7fff
	v_bfe_u32 v19, v32, 16, 1
	v_cndmask_b32_e64 v12, v12, v49, s5
	v_add3_u32 v19, v19, v32, 0x7fff
	v_or_b32_e32 v49, 0x400000, v32
	v_cmp_u_f32_e64 s5, v32, v32
	v_and_b32_e32 v32, 0xffff0000, v93
	v_cndmask_b32_e64 v102, v19, v49, s5
	buffer_load_dword v49, off, s[0:3], s32 offset:916 ; 4-byte Folded Reload
	v_and_b32_e32 v19, 0xffff0000, v58
	s_waitcnt vmcnt(0)
	v_mul_f32_e32 v93, v49, v19
	s_clause 0x1
	buffer_load_dword v19, off, s[0:3], s32 offset:884
	buffer_load_dword v49, off, s[0:3], s32 offset:920
	s_waitcnt vmcnt(1)
	v_fmac_f32_e32 v93, v19, v32
	v_and_b32_e32 v19, 0xffff0000, v57
	v_and_b32_e32 v32, 0xffff0000, v94
	s_waitcnt vmcnt(0)
	v_mul_f32_e32 v94, v49, v19
	s_clause 0x1
	buffer_load_dword v19, off, s[0:3], s32 offset:888
	buffer_load_dword v49, off, s[0:3], s32 offset:924
	s_waitcnt vmcnt(1)
	v_fmac_f32_e32 v94, v19, v32
	v_and_b32_e32 v19, 0xffff0000, v97
	v_and_b32_e32 v32, 0xffff0000, v72
	s_waitcnt vmcnt(0)
	v_mul_f32_e32 v97, v49, v19
	buffer_load_dword v19, off, s[0:3], s32 offset:892 ; 4-byte Folded Reload
	s_waitcnt vmcnt(0)
	v_fmac_f32_e32 v97, v19, v32
	v_and_b32_e32 v32, 0xffff0000, v39
	buffer_load_dword v39, off, s[0:3], s32 offset:928 ; 4-byte Folded Reload
	v_and_b32_e32 v19, 0xffff0000, v96
	s_waitcnt vmcnt(0)
	v_mul_f32_e32 v96, v39, v19
	s_clause 0x1
	buffer_load_dword v19, off, s[0:3], s32 offset:896
	buffer_load_dword v39, off, s[0:3], s32 offset:932
	s_waitcnt vmcnt(1)
	v_fmac_f32_e32 v96, v19, v32
	v_and_b32_e32 v19, 0xffff0000, v87
	v_and_b32_e32 v32, 0xffff0000, v73
	s_waitcnt vmcnt(0)
	v_mul_f32_e32 v87, v39, v19
	s_clause 0x1
	buffer_load_dword v19, off, s[0:3], s32 offset:900
	buffer_load_dword v39, off, s[0:3], s32 offset:936
	s_waitcnt vmcnt(1)
	v_fmac_f32_e32 v87, v19, v32
	v_and_b32_e32 v19, 0xffff0000, v100
	v_and_b32_e32 v32, 0xffff0000, v127
	s_waitcnt vmcnt(0)
	v_mul_f32_e32 v57, v39, v19
	buffer_load_dword v19, off, s[0:3], s32 offset:904 ; 4-byte Folded Reload
	s_waitcnt vmcnt(0)
	v_fmac_f32_e32 v57, v19, v32
	buffer_load_dword v32, off, s[0:3], s32 offset:940 ; 4-byte Folded Reload
	v_and_b32_e32 v19, 0xffff0000, v74
	s_waitcnt vmcnt(0)
	v_mul_f32_e32 v100, v32, v19
	buffer_load_dword v19, off, s[0:3], s32 offset:908 ; 4-byte Folded Reload
	s_waitcnt vmcnt(0)
	v_fmac_f32_e32 v100, v19, v31
	buffer_load_dword v31, off, s[0:3], s32 offset:944 ; 4-byte Folded Reload
	;; [unrolled: 7-line block ×3, first 2 shown]
	v_and_b32_e32 v19, 0xffff0000, v76
	s_waitcnt vmcnt(0)
	v_fmac_f32_e32 v93, v22, v19
	buffer_load_dword v22, off, s[0:3], s32 offset:952 ; 4-byte Folded Reload
	v_and_b32_e32 v19, 0xffff0000, v64
	s_waitcnt vmcnt(0)
	v_fmac_f32_e32 v94, v22, v19
	buffer_load_dword v22, off, s[0:3], s32 offset:956 ; 4-byte Folded Reload
	;; [unrolled: 4-line block ×12, first 2 shown]
	s_waitcnt vmcnt(0)
	v_fmac_f32_e32 v87, v19, v15
	buffer_load_dword v19, off, s[0:3], s32 offset:1000 ; 4-byte Folded Reload
	v_and_b32_e32 v15, 0xffff0000, v85
	s_waitcnt vmcnt(0)
	v_fmac_f32_e32 v57, v19, v15
	buffer_load_dword v19, off, s[0:3], s32 offset:1004 ; 4-byte Folded Reload
	v_and_b32_e32 v15, 0xffff0000, v54
	;; [unrolled: 4-line block ×21, first 2 shown]
	s_waitcnt vmcnt(0)
	v_fmac_f32_e32 v94, v19, v15
	buffer_load_dword v15, off, s[0:3], s32 offset:1084 ; 4-byte Folded Reload
	s_waitcnt vmcnt(0)
	v_fmac_f32_e32 v97, v15, v11
	buffer_load_dword v15, off, s[0:3], s32 offset:1088 ; 4-byte Folded Reload
	v_and_b32_e32 v11, 0xffff0000, v61
	s_waitcnt vmcnt(0)
	v_fmac_f32_e32 v96, v15, v11
	buffer_load_dword v15, off, s[0:3], s32 offset:1092 ; 4-byte Folded Reload
	v_and_b32_e32 v11, 0xffff0000, v48
	;; [unrolled: 4-line block ×22, first 2 shown]
	s_waitcnt vmcnt(0)
	v_fmac_f32_e32 v93, v15, v11
	buffer_load_dword v11, off, s[0:3], s32 offset:1176 ; 4-byte Folded Reload
	s_waitcnt vmcnt(0)
	v_fmac_f32_e32 v94, v11, v0
	v_and_b32_e32 v0, 0xffff0000, v6
	buffer_load_dword v6, off, s[0:3], s32 offset:1180 ; 4-byte Folded Reload
	s_waitcnt vmcnt(0)
	v_fmac_f32_e32 v97, v6, v0
	buffer_load_dword v6, off, s[0:3], s32 offset:1184 ; 4-byte Folded Reload
	v_and_b32_e32 v0, 0xffff0000, v37
	s_waitcnt vmcnt(0)
	v_fmac_f32_e32 v96, v6, v0
	buffer_load_dword v6, off, s[0:3], s32 offset:1188 ; 4-byte Folded Reload
	v_and_b32_e32 v0, 0xffff0000, v125
	;; [unrolled: 4-line block ×4, first 2 shown]
	s_waitcnt vmcnt(0)
	v_fmac_f32_e32 v100, v6, v0
	v_and_b32_e32 v0, 0xffff0000, v1
	buffer_load_dword v1, off, s[0:3], s32 offset:1200 ; 4-byte Folded Reload
	s_waitcnt vmcnt(0)
	v_fmac_f32_e32 v58, v1, v0
	buffer_load_dword v1, off, s[0:3], s32 offset:1204 ; 4-byte Folded Reload
	v_and_b32_e32 v0, 0xffff0000, v124
	s_waitcnt vmcnt(0)
	v_fmac_f32_e32 v93, v1, v0
	buffer_load_dword v1, off, s[0:3], s32 offset:1208 ; 4-byte Folded Reload
	v_and_b32_e32 v0, 0xffff0000, v104
	;; [unrolled: 4-line block ×13, first 2 shown]
	buffer_load_dword v2, off, s[0:3], s32 offset:1632 ; 4-byte Folded Reload
	s_waitcnt vmcnt(1)
	v_fmac_f32_e32 v87, v1, v0
	buffer_load_dword v1, off, s[0:3], s32 offset:1256 ; 4-byte Folded Reload
	v_and_b32_e32 v0, 0xffff0000, v3
	s_waitcnt vmcnt(0)
	v_fmac_f32_e32 v57, v1, v0
	buffer_load_dword v1, off, s[0:3], s32 offset:1260 ; 4-byte Folded Reload
	v_and_b32_e32 v0, 0xffff0000, v4
	;; [unrolled: 4-line block ×20, first 2 shown]
	s_waitcnt vmcnt(0)
	v_fmac_f32_e32 v93, v1, v0
	s_clause 0x1
	buffer_load_dword v0, off, s[0:3], s32 offset:848
	buffer_load_dword v1, off, s[0:3], s32 offset:1336
	s_waitcnt vmcnt(1)
	v_and_b32_e32 v0, 0xffff0000, v0
	s_waitcnt vmcnt(0)
	v_fmac_f32_e32 v94, v1, v0
	s_clause 0x1
	buffer_load_dword v0, off, s[0:3], s32 offset:840
	buffer_load_dword v1, off, s[0:3], s32 offset:1340
	s_waitcnt vmcnt(1)
	v_and_b32_e32 v0, 0xffff0000, v0
	;; [unrolled: 7-line block ×6, first 2 shown]
	s_waitcnt vmcnt(0)
	v_fmac_f32_e32 v100, v1, v0
	buffer_load_dword v1, off, s[0:3], s32 offset:1360 ; 4-byte Folded Reload
	v_and_b32_e32 v0, 0xffff0000, v90
	s_waitcnt vmcnt(0)
	v_fmac_f32_e32 v58, v1, v0
	s_clause 0x1
	buffer_load_dword v0, off, s[0:3], s32 offset:824
	buffer_load_dword v1, off, s[0:3], s32 offset:1364
	s_waitcnt vmcnt(1)
	v_and_b32_e32 v0, 0xffff0000, v0
	s_waitcnt vmcnt(0)
	v_fmac_f32_e32 v93, v1, v0
	s_clause 0x1
	buffer_load_dword v0, off, s[0:3], s32 offset:816
	buffer_load_dword v1, off, s[0:3], s32 offset:1368
	s_waitcnt vmcnt(1)
	;; [unrolled: 7-line block ×64, first 2 shown]
	v_and_b32_e32 v0, 0xffff0000, v0
	s_waitcnt vmcnt(0)
	v_fmac_f32_e32 v58, v1, v0
	buffer_load_dword v1, off, s[0:3], s32 offset:1620 ; 4-byte Folded Reload
	v_and_b32_e32 v0, 0xffff0000, v115
	s_waitcnt vmcnt(0)
	v_fmac_f32_e32 v93, v1, v0
	buffer_load_dword v1, off, s[0:3], s32 offset:1624 ; 4-byte Folded Reload
	;; [unrolled: 4-line block ×3, first 2 shown]
	v_and_b32_e32 v0, 0xffff0000, v88
	s_waitcnt vmcnt(0)
	v_fmac_f32_e32 v97, v1, v0
	v_and_b32_e32 v1, 0xffff0000, v89
	v_add_f32_e32 v0, v93, v94
	v_fmac_f32_e32 v96, v2, v1
	buffer_load_dword v2, off, s[0:3], s32 offset:1636 ; 4-byte Folded Reload
	v_and_b32_e32 v1, 0xffff0000, v91
	v_add_f32_e32 v0, v0, v97
	v_add_f32_e32 v0, v96, v0
	s_waitcnt vmcnt(0)
	v_fmac_f32_e32 v87, v2, v1
	buffer_load_dword v2, off, s[0:3], s32 offset:1640 ; 4-byte Folded Reload
	v_and_b32_e32 v1, 0xffff0000, v92
	v_add_f32_e32 v0, v87, v0
	s_waitcnt vmcnt(0)
	v_fmac_f32_e32 v57, v2, v1
	buffer_load_dword v2, off, s[0:3], s32 offset:1644 ; 4-byte Folded Reload
	v_and_b32_e32 v1, 0xffff0000, v12
	;; [unrolled: 5-line block ×3, first 2 shown]
	v_add_f32_e32 v0, v100, v0
	s_waitcnt vmcnt(0)
	v_fmac_f32_e32 v58, v2, v1
	s_clause 0x2
	buffer_load_dword v1, off, s[0:3], s32 offset:1660
	buffer_load_dword v5, off, s[0:3], s32 offset:540
	;; [unrolled: 1-line block ×3, first 2 shown]
	s_load_dword s20, s[8:9], 0x0
	s_clause 0x1
	buffer_load_dword v6, off, s[0:3], s32 offset:544
	buffer_load_dword v12, off, s[0:3], s32 offset:536
	v_add_f32_e32 v0, v58, v0
	s_waitcnt vmcnt(3)
	v_add_nc_u32_e32 v1, v1, v5
	v_cvt_f32_i32_e32 v1, v1
	s_waitcnt vmcnt(2)
	v_mul_f32_e32 v1, v2, v1
	buffer_load_dword v2, off, s[0:3], s32 offset:880 ; 4-byte Folded Reload
	v_cndmask_b32_e32 v1, 0, v1, vcc_lo
	s_waitcnt vmcnt(0)
	v_fmac_f32_e32 v1, v2, v0
	buffer_load_dword v0, off, s[0:3], s32 offset:852 ; 4-byte Folded Reload
	s_waitcnt vmcnt(0)
	v_add_nc_u32_e32 v0, v0, v5
	v_cmp_lt_i32_e64 s5, v0, v123
	s_waitcnt lgkmcnt(0)
	v_add_nc_u32_e32 v0, s20, v6
	v_cndmask_b32_e64 v2, 0, v1, s5
	ds_write_b32 v0, v2
	v_max_f32_e32 v0, v12, v12
	v_max_f32_e32 v0, v0, v1
	v_cndmask_b32_e64 v12, v12, v0, s5
.LBB355_14:                             ;   in Loop: Header=BB355_15 Depth=1
	s_or_b32 exec_lo, exec_lo, s6
	s_clause 0x2
	buffer_load_dword v2, off, s[0:3], s32 offset:228
	buffer_load_dword v0, off, s[0:3], s32 offset:196
	buffer_load_dword v1, off, s[0:3], s32 offset:200
	v_add_nc_u32_e32 v5, 0x80, v5
	v_add_nc_u32_e32 v6, 0x200, v6
	s_waitcnt vmcnt(1)
	v_add_co_u32 v0, s5, v0, 16
	s_waitcnt vmcnt(0)
	v_add_co_ci_u32_e64 v1, null, 0, v1, s5
	v_add_nc_u32_e32 v2, 4, v2
	buffer_store_dword v0, off, s[0:3], s32 offset:196 ; 4-byte Folded Spill
	buffer_store_dword v1, off, s[0:3], s32 offset:200 ; 4-byte Folded Spill
	buffer_load_dword v0, off, s[0:3], s32 offset:192 ; 4-byte Folded Reload
	s_waitcnt vmcnt(0)
	v_cmp_ge_i32_e64 s5, v2, v0
	s_or_b32 s18, s5, s18
	s_andn2_b32 exec_lo, exec_lo, s18
	s_cbranch_execz .LBB355_1551
.LBB355_15:                             ; =>This Inner Loop Header: Depth=1
	s_clause 0x1
	buffer_load_dword v0, off, s[0:3], s32 offset:220
	buffer_load_dword v4, off, s[0:3], s32 offset:204
	buffer_store_dword v2, off, s[0:3], s32 offset:228 ; 4-byte Folded Spill
	s_waitcnt vmcnt(1)
	v_mul_hi_u32 v0, v5, v0
	s_waitcnt vmcnt(0)
	v_mul_lo_u32 v1, v0, v4
	v_add_nc_u32_e32 v2, 1, v0
	v_sub_nc_u32_e32 v1, v5, v1
	v_sub_nc_u32_e32 v3, v1, v4
	v_cmp_ge_u32_e64 s5, v1, v4
	v_cndmask_b32_e64 v1, v1, v3, s5
	v_cndmask_b32_e64 v0, v0, v2, s5
	v_cmp_ge_u32_e64 s5, v1, v4
	buffer_load_dword v1, off, s[0:3], s32 offset:216 ; 4-byte Folded Reload
	v_add_nc_u32_e32 v2, 1, v0
	v_cndmask_b32_e64 v0, v0, v2, s5
	s_waitcnt vmcnt(0)
	v_xor_b32_e32 v0, v0, v1
	v_sub_nc_u32_e32 v0, v0, v1
	s_clause 0x3
	buffer_load_dword v1, off, s[0:3], s32 offset:208
	buffer_load_dword v2, off, s[0:3], s32 offset:212
	;; [unrolled: 1-line block ×4, first 2 shown]
	s_waitcnt vmcnt(3)
	v_add_nc_u32_e32 v1, v0, v1
	s_waitcnt vmcnt(2)
	v_sub_nc_u32_e32 v2, 0, v1
	v_max_i32_e32 v2, v1, v2
	v_ashrrev_i32_e32 v1, 31, v1
	s_waitcnt vmcnt(1)
	v_mul_hi_u32 v3, v2, v3
	s_waitcnt vmcnt(0)
	v_mul_lo_u32 v3, v3, v4
	v_sub_nc_u32_e32 v2, v2, v3
	v_sub_nc_u32_e32 v3, v2, v4
	v_cmp_ge_u32_e64 s5, v2, v4
	v_cndmask_b32_e64 v2, v2, v3, s5
	v_sub_nc_u32_e32 v3, v2, v4
	v_cmp_ge_u32_e64 s5, v2, v4
	v_cndmask_b32_e64 v2, v2, v3, s5
	v_xor_b32_e32 v2, v2, v1
	v_sub_nc_u32_e32 v1, v2, v1
	v_cmp_ne_u32_e64 s5, 0, v1
	buffer_load_dword v1, off, s[0:3], s32 offset:224 ; 4-byte Folded Reload
	s_waitcnt vmcnt(0)
	v_cmp_le_i32_e64 s6, v0, v1
	s_and_b32 s5, s5, s6
	s_and_saveexec_b32 s6, s5
	s_xor_b32 s5, exec_lo, s6
	s_cbranch_execz .LBB355_17
; %bb.16:                               ;   in Loop: Header=BB355_15 Depth=1
	s_waitcnt lgkmcnt(0)
	v_add_nc_u32_e32 v0, s19, v6
	v_mov_b32_e32 v1, 0xff7fffff
	ds_write_b32 v0, v1
.LBB355_17:                             ;   in Loop: Header=BB355_15 Depth=1
	s_andn2_saveexec_b32 s6, s5
	s_cbranch_execz .LBB355_14
; %bb.18:                               ;   in Loop: Header=BB355_15 Depth=1
	buffer_store_dword v6, off, s[0:3], s32 offset:544 ; 4-byte Folded Spill
	buffer_store_dword v5, off, s[0:3], s32 offset:540 ; 4-byte Folded Spill
	;; [unrolled: 1-line block ×3, first 2 shown]
	s_clause 0x1
	buffer_load_dword v0, off, s[0:3], s32 offset:196
	buffer_load_dword v1, off, s[0:3], s32 offset:200
	v_mov_b32_e32 v49, 0
	s_waitcnt vmcnt(0)
	flat_load_dword v0, v[0:1]
	s_clause 0x2
	buffer_load_dword v1, off, s[0:3], s32 offset:600
	buffer_load_dword v2, off, s[0:3], s32 offset:1652
	;; [unrolled: 1-line block ×3, first 2 shown]
	s_waitcnt vmcnt(0) lgkmcnt(0)
	v_mad_i64_i32 v[24:25], null, v0, v1, v[2:3]
	flat_load_dwordx2 v[27:28], v[24:25]
	s_clause 0x1
	buffer_load_dword v0, off, s[0:3], s32 offset:872
	buffer_load_dword v1, off, s[0:3], s32 offset:876
	s_waitcnt vmcnt(2) lgkmcnt(0)
	v_cmp_ne_u16_sdwa s5, v27, v14 src0_sel:BYTE_0 src1_sel:DWORD
	s_waitcnt vmcnt(0)
	flat_load_dword v12, v[0:1]
	v_mov_b32_e32 v0, 0
	buffer_store_dword v0, off, s[0:3], s32 offset:352 ; 4-byte Folded Spill
	s_and_saveexec_b32 s20, s5
	s_cbranch_execz .LBB355_26
; %bb.19:                               ;   in Loop: Header=BB355_15 Depth=1
	v_cmp_ne_u16_sdwa s5, v27, v7 src0_sel:BYTE_0 src1_sel:DWORD
	v_bfrev_b32_e32 v0, 1
	buffer_store_dword v0, off, s[0:3], s32 offset:352 ; 4-byte Folded Spill
	s_and_saveexec_b32 s21, s5
	s_cbranch_execz .LBB355_25
; %bb.20:                               ;   in Loop: Header=BB355_15 Depth=1
	v_and_b32_e32 v1, 0x7f, v27
	v_mov_b32_e32 v0, 0x7f800001
	s_mov_b32 s22, exec_lo
	buffer_store_dword v0, off, s[0:3], s32 offset:352 ; 4-byte Folded Spill
	v_cmpx_ne_u32_e32 0x7f, v1
	s_cbranch_execz .LBB355_24
; %bb.21:                               ;   in Loop: Header=BB355_15 Depth=1
	v_mov_b32_e32 v30, v28
	v_lshrrev_b32_e32 v0, 3, v1
	v_mov_b32_e32 v29, v27
	s_mov_b32 s23, exec_lo
	v_cmpx_gt_u32_e32 8, v1
; %bb.22:                               ;   in Loop: Header=BB355_15 Depth=1
	v_and_b32_e32 v0, 7, v27
	v_ffbh_u32_e32 v0, v0
	v_min_u32_e32 v0, 32, v0
	v_subrev_nc_u32_e32 v1, 28, v0
	v_sub_nc_u32_e32 v0, 29, v0
	v_lshlrev_b64 v[29:30], v1, v[27:28]
; %bb.23:                               ;   in Loop: Header=BB355_15 Depth=1
	s_or_b32 exec_lo, exec_lo, s23
	v_lshlrev_b32_e32 v1, 20, v29
	v_lshlrev_b32_e32 v2, 24, v27
	v_lshl_add_u32 v0, v0, 23, 0x3c000000
	v_and_b32_e32 v1, 0x700000, v1
	v_and_b32_e32 v2, 0x80000000, v2
	v_or3_b32 v0, v1, v2, v0
	buffer_store_dword v0, off, s[0:3], s32 offset:352 ; 4-byte Folded Spill
.LBB355_24:                             ;   in Loop: Header=BB355_15 Depth=1
	s_or_b32 exec_lo, exec_lo, s22
.LBB355_25:                             ;   in Loop: Header=BB355_15 Depth=1
	s_or_b32 exec_lo, exec_lo, s21
.LBB355_26:                             ;   in Loop: Header=BB355_15 Depth=1
	s_or_b32 exec_lo, exec_lo, s20
	v_cmp_ne_u16_sdwa s5, v27, v14 src0_sel:BYTE_1 src1_sel:DWORD
	s_and_saveexec_b32 s20, s5
	s_cbranch_execz .LBB355_34
; %bb.27:                               ;   in Loop: Header=BB355_15 Depth=1
	v_cmp_ne_u16_sdwa s5, v27, v7 src0_sel:BYTE_1 src1_sel:DWORD
	v_bfrev_b32_e32 v49, 1
	s_and_saveexec_b32 s21, s5
	s_cbranch_execz .LBB355_33
; %bb.28:                               ;   in Loop: Header=BB355_15 Depth=1
	v_mov_b32_e32 v0, 0xffff
	v_mov_b32_e32 v49, 0x7f800001
	s_mov_b32 s22, exec_lo
	v_and_b32_sdwa v0, v0, v27 dst_sel:DWORD dst_unused:UNUSED_PAD src0_sel:DWORD src1_sel:BYTE_1
	v_and_b32_e32 v1, 0x7f, v0
	v_cmpx_ne_u32_e32 0x7f, v1
	s_cbranch_execz .LBB355_32
; %bb.29:                               ;   in Loop: Header=BB355_15 Depth=1
	v_and_b32_e32 v13, 7, v0
	v_mov_b32_e32 v30, v14
	v_lshrrev_b32_e32 v0, 3, v1
	s_mov_b32 s23, exec_lo
	v_mov_b32_e32 v29, v13
	v_cmpx_gt_u32_e32 8, v1
; %bb.30:                               ;   in Loop: Header=BB355_15 Depth=1
	v_ffbh_u32_e32 v0, v13
	v_min_u32_e32 v0, 32, v0
	v_subrev_nc_u32_e32 v1, 28, v0
	v_sub_nc_u32_e32 v0, 29, v0
	v_lshlrev_b64 v[1:2], v1, v[13:14]
	v_and_b32_e32 v29, 7, v1
; %bb.31:                               ;   in Loop: Header=BB355_15 Depth=1
	s_or_b32 exec_lo, exec_lo, s23
	v_lshlrev_b32_e32 v1, 16, v27
	v_lshlrev_b32_e32 v2, 20, v29
	v_lshl_add_u32 v0, v0, 23, 0x3c000000
	v_and_b32_e32 v1, 0x80000000, v1
	v_or3_b32 v49, v2, v1, v0
.LBB355_32:                             ;   in Loop: Header=BB355_15 Depth=1
	s_or_b32 exec_lo, exec_lo, s22
.LBB355_33:                             ;   in Loop: Header=BB355_15 Depth=1
	s_or_b32 exec_lo, exec_lo, s21
.LBB355_34:                             ;   in Loop: Header=BB355_15 Depth=1
	s_or_b32 exec_lo, exec_lo, s20
	v_mov_b32_e32 v0, 0xff
	v_mov_b32_e32 v93, 0
	;; [unrolled: 1-line block ×3, first 2 shown]
	s_mov_b32 s20, exec_lo
	v_and_b32_sdwa v0, v27, v0 dst_sel:DWORD dst_unused:UNUSED_PAD src0_sel:WORD_1 src1_sel:DWORD
	buffer_store_dword v1, off, s[0:3], s32 offset:496 ; 4-byte Folded Spill
	v_cmpx_ne_u16_e32 0, v0
	s_cbranch_execz .LBB355_42
; %bb.35:                               ;   in Loop: Header=BB355_15 Depth=1
	v_cmp_ne_u16_e64 s5, 0x80, v0
	v_bfrev_b32_e32 v0, 1
	s_and_saveexec_b32 s21, s5
	s_cbranch_execz .LBB355_41
; %bb.36:                               ;   in Loop: Header=BB355_15 Depth=1
	v_bfe_u32 v1, v27, 16, 7
	v_mov_b32_e32 v0, 0x7f800001
	s_mov_b32 s22, exec_lo
	v_cmpx_ne_u32_e32 0x7f, v1
	s_cbranch_execz .LBB355_40
; %bb.37:                               ;   in Loop: Header=BB355_15 Depth=1
	v_mov_b32_e32 v0, 7
	s_mov_b32 s23, exec_lo
	v_and_b32_sdwa v13, v27, v0 dst_sel:DWORD dst_unused:UNUSED_PAD src0_sel:WORD_1 src1_sel:DWORD
	v_mov_b32_e32 v30, v14
	v_lshrrev_b32_e32 v0, 3, v1
	v_mov_b32_e32 v29, v13
	v_cmpx_gt_u32_e32 8, v1
; %bb.38:                               ;   in Loop: Header=BB355_15 Depth=1
	v_ffbh_u32_e32 v0, v13
	v_min_u32_e32 v0, 32, v0
	v_subrev_nc_u32_e32 v1, 28, v0
	v_sub_nc_u32_e32 v0, 29, v0
	v_lshlrev_b64 v[1:2], v1, v[13:14]
	v_and_b32_e32 v29, 7, v1
; %bb.39:                               ;   in Loop: Header=BB355_15 Depth=1
	s_or_b32 exec_lo, exec_lo, s23
	v_mov_b32_e32 v1, 24
	v_lshlrev_b32_e32 v2, 20, v29
	v_lshl_add_u32 v0, v0, 23, 0x3c000000
	v_lshlrev_b32_sdwa v1, v1, v27 dst_sel:DWORD dst_unused:UNUSED_PAD src0_sel:DWORD src1_sel:WORD_1
	v_and_b32_e32 v1, 0x80000000, v1
	v_or3_b32 v0, v2, v1, v0
.LBB355_40:                             ;   in Loop: Header=BB355_15 Depth=1
	s_or_b32 exec_lo, exec_lo, s22
.LBB355_41:                             ;   in Loop: Header=BB355_15 Depth=1
	s_or_b32 exec_lo, exec_lo, s21
	buffer_store_dword v0, off, s[0:3], s32 offset:496 ; 4-byte Folded Spill
.LBB355_42:                             ;   in Loop: Header=BB355_15 Depth=1
	s_or_b32 exec_lo, exec_lo, s20
	s_mov_b32 s20, exec_lo
	v_cmpx_lt_u32_e32 0xffffff, v27
	s_cbranch_execz .LBB355_50
; %bb.43:                               ;   in Loop: Header=BB355_15 Depth=1
	v_cmp_ne_u32_sdwa s5, v27, v7 src0_sel:BYTE_3 src1_sel:DWORD
	v_bfrev_b32_e32 v93, 1
	s_and_saveexec_b32 s21, s5
	s_cbranch_execz .LBB355_49
; %bb.44:                               ;   in Loop: Header=BB355_15 Depth=1
	v_bfe_u32 v1, v27, 24, 7
	v_mov_b32_e32 v93, 0x7f800001
	s_mov_b32 s22, exec_lo
	v_cmpx_ne_u32_e32 0x7f, v1
	s_cbranch_execz .LBB355_48
; %bb.45:                               ;   in Loop: Header=BB355_15 Depth=1
	v_mov_b32_e32 v0, 7
	s_mov_b32 s23, exec_lo
	v_and_b32_sdwa v13, v27, v0 dst_sel:DWORD dst_unused:UNUSED_PAD src0_sel:BYTE_3 src1_sel:DWORD
	v_mov_b32_e32 v30, v14
	v_lshrrev_b32_e32 v0, 3, v1
	v_mov_b32_e32 v29, v13
	v_cmpx_gt_u32_e32 8, v1
; %bb.46:                               ;   in Loop: Header=BB355_15 Depth=1
	v_ffbh_u32_e32 v0, v13
	v_min_u32_e32 v0, 32, v0
	v_subrev_nc_u32_e32 v1, 28, v0
	v_sub_nc_u32_e32 v0, 29, v0
	v_lshlrev_b64 v[1:2], v1, v[13:14]
	v_and_b32_e32 v29, 7, v1
; %bb.47:                               ;   in Loop: Header=BB355_15 Depth=1
	s_or_b32 exec_lo, exec_lo, s23
	v_mov_b32_e32 v1, 24
	v_lshlrev_b32_e32 v2, 20, v29
	v_lshl_add_u32 v0, v0, 23, 0x3c000000
	v_lshlrev_b32_sdwa v1, v1, v27 dst_sel:DWORD dst_unused:UNUSED_PAD src0_sel:DWORD src1_sel:BYTE_3
	v_and_b32_e32 v1, 0x80000000, v1
	v_or3_b32 v93, v2, v1, v0
.LBB355_48:                             ;   in Loop: Header=BB355_15 Depth=1
	s_or_b32 exec_lo, exec_lo, s22
.LBB355_49:                             ;   in Loop: Header=BB355_15 Depth=1
	s_or_b32 exec_lo, exec_lo, s21
.LBB355_50:                             ;   in Loop: Header=BB355_15 Depth=1
	s_or_b32 exec_lo, exec_lo, s20
	v_mov_b32_e32 v13, v28
	v_cmp_ne_u16_sdwa s5, v28, v14 src0_sel:BYTE_0 src1_sel:DWORD
	v_mov_b32_e32 v94, 0
	v_mov_b32_e32 v19, 0
	s_and_saveexec_b32 s20, s5
	s_cbranch_execz .LBB355_58
; %bb.51:                               ;   in Loop: Header=BB355_15 Depth=1
	v_cmp_ne_u16_sdwa s5, v28, v7 src0_sel:BYTE_0 src1_sel:DWORD
	v_bfrev_b32_e32 v19, 1
	s_and_saveexec_b32 s21, s5
	s_cbranch_execz .LBB355_57
; %bb.52:                               ;   in Loop: Header=BB355_15 Depth=1
	v_and_b32_e32 v1, 0x7f, v28
	v_mov_b32_e32 v19, 0x7f800001
	s_mov_b32 s22, exec_lo
	v_cmpx_ne_u32_e32 0x7f, v1
	s_cbranch_execz .LBB355_56
; %bb.53:                               ;   in Loop: Header=BB355_15 Depth=1
	v_mov_b32_e32 v30, v14
	v_lshrrev_b32_e32 v0, 3, v1
	v_mov_b32_e32 v29, v13
	s_mov_b32 s23, exec_lo
	v_cmpx_gt_u32_e32 8, v1
; %bb.54:                               ;   in Loop: Header=BB355_15 Depth=1
	v_and_b32_e32 v0, 7, v28
	v_ffbh_u32_e32 v0, v0
	v_min_u32_e32 v0, 32, v0
	v_subrev_nc_u32_e32 v1, 28, v0
	v_sub_nc_u32_e32 v0, 29, v0
	v_lshlrev_b64 v[29:30], v1, v[13:14]
; %bb.55:                               ;   in Loop: Header=BB355_15 Depth=1
	s_or_b32 exec_lo, exec_lo, s23
	v_lshlrev_b32_e32 v1, 20, v29
	v_lshlrev_b32_e32 v2, 24, v13
	v_lshl_add_u32 v0, v0, 23, 0x3c000000
	v_and_b32_e32 v1, 0x700000, v1
	v_and_b32_e32 v2, 0x80000000, v2
	v_or3_b32 v19, v1, v2, v0
.LBB355_56:                             ;   in Loop: Header=BB355_15 Depth=1
	s_or_b32 exec_lo, exec_lo, s22
.LBB355_57:                             ;   in Loop: Header=BB355_15 Depth=1
	s_or_b32 exec_lo, exec_lo, s21
.LBB355_58:                             ;   in Loop: Header=BB355_15 Depth=1
	s_or_b32 exec_lo, exec_lo, s20
	v_cmp_ne_u16_sdwa s5, v13, v14 src0_sel:BYTE_1 src1_sel:DWORD
	s_and_saveexec_b32 s20, s5
	s_cbranch_execz .LBB355_66
; %bb.59:                               ;   in Loop: Header=BB355_15 Depth=1
	v_cmp_ne_u16_sdwa s5, v13, v7 src0_sel:BYTE_1 src1_sel:DWORD
	v_bfrev_b32_e32 v94, 1
	s_and_saveexec_b32 s21, s5
	s_cbranch_execz .LBB355_65
; %bb.60:                               ;   in Loop: Header=BB355_15 Depth=1
	v_mov_b32_e32 v0, 0xffff
	v_mov_b32_e32 v94, 0x7f800001
	s_mov_b32 s22, exec_lo
	v_and_b32_sdwa v0, v0, v13 dst_sel:DWORD dst_unused:UNUSED_PAD src0_sel:DWORD src1_sel:BYTE_1
	v_and_b32_e32 v1, 0x7f, v0
	v_cmpx_ne_u32_e32 0x7f, v1
	s_cbranch_execz .LBB355_64
; %bb.61:                               ;   in Loop: Header=BB355_15 Depth=1
	v_and_b32_e32 v29, 7, v0
	v_mov_b32_e32 v30, v14
	v_lshrrev_b32_e32 v0, 3, v1
	s_mov_b32 s23, exec_lo
	v_cmpx_gt_u32_e32 8, v1
; %bb.62:                               ;   in Loop: Header=BB355_15 Depth=1
	v_ffbh_u32_e32 v0, v29
	v_min_u32_e32 v0, 32, v0
	v_subrev_nc_u32_e32 v1, 28, v0
	v_sub_nc_u32_e32 v0, 29, v0
	v_lshlrev_b64 v[1:2], v1, v[29:30]
	v_and_b32_e32 v29, 7, v1
; %bb.63:                               ;   in Loop: Header=BB355_15 Depth=1
	s_or_b32 exec_lo, exec_lo, s23
	v_lshlrev_b32_e32 v1, 16, v13
	v_lshlrev_b32_e32 v2, 20, v29
	v_lshl_add_u32 v0, v0, 23, 0x3c000000
	v_and_b32_e32 v1, 0x80000000, v1
	v_or3_b32 v94, v2, v1, v0
.LBB355_64:                             ;   in Loop: Header=BB355_15 Depth=1
	s_or_b32 exec_lo, exec_lo, s22
.LBB355_65:                             ;   in Loop: Header=BB355_15 Depth=1
	s_or_b32 exec_lo, exec_lo, s21
.LBB355_66:                             ;   in Loop: Header=BB355_15 Depth=1
	s_or_b32 exec_lo, exec_lo, s20
	v_mov_b32_e32 v0, 0xff
	v_mov_b32_e32 v102, 0
	;; [unrolled: 1-line block ×3, first 2 shown]
	s_mov_b32 s20, exec_lo
	v_and_b32_sdwa v0, v28, v0 dst_sel:DWORD dst_unused:UNUSED_PAD src0_sel:WORD_1 src1_sel:DWORD
	buffer_store_dword v1, off, s[0:3], s32 offset:456 ; 4-byte Folded Spill
	v_cmpx_ne_u16_e32 0, v0
	s_cbranch_execz .LBB355_74
; %bb.67:                               ;   in Loop: Header=BB355_15 Depth=1
	v_cmp_ne_u16_e64 s5, 0x80, v0
	v_bfrev_b32_e32 v0, 1
	s_and_saveexec_b32 s21, s5
	s_cbranch_execz .LBB355_73
; %bb.68:                               ;   in Loop: Header=BB355_15 Depth=1
	v_bfe_u32 v1, v28, 16, 7
	v_mov_b32_e32 v0, 0x7f800001
	s_mov_b32 s22, exec_lo
	v_cmpx_ne_u32_e32 0x7f, v1
	s_cbranch_execz .LBB355_72
; %bb.69:                               ;   in Loop: Header=BB355_15 Depth=1
	v_mov_b32_e32 v0, 7
	s_mov_b32 s23, exec_lo
	v_and_b32_sdwa v13, v28, v0 dst_sel:DWORD dst_unused:UNUSED_PAD src0_sel:WORD_1 src1_sel:DWORD
	v_mov_b32_e32 v30, v14
	v_lshrrev_b32_e32 v0, 3, v1
	v_mov_b32_e32 v29, v13
	v_cmpx_gt_u32_e32 8, v1
; %bb.70:                               ;   in Loop: Header=BB355_15 Depth=1
	v_ffbh_u32_e32 v0, v13
	v_min_u32_e32 v0, 32, v0
	v_subrev_nc_u32_e32 v1, 28, v0
	v_sub_nc_u32_e32 v0, 29, v0
	v_lshlrev_b64 v[1:2], v1, v[13:14]
	v_and_b32_e32 v29, 7, v1
; %bb.71:                               ;   in Loop: Header=BB355_15 Depth=1
	s_or_b32 exec_lo, exec_lo, s23
	v_mov_b32_e32 v1, 24
	v_lshlrev_b32_e32 v2, 20, v29
	v_lshl_add_u32 v0, v0, 23, 0x3c000000
	v_lshlrev_b32_sdwa v1, v1, v28 dst_sel:DWORD dst_unused:UNUSED_PAD src0_sel:DWORD src1_sel:WORD_1
	v_and_b32_e32 v1, 0x80000000, v1
	v_or3_b32 v0, v2, v1, v0
.LBB355_72:                             ;   in Loop: Header=BB355_15 Depth=1
	s_or_b32 exec_lo, exec_lo, s22
.LBB355_73:                             ;   in Loop: Header=BB355_15 Depth=1
	s_or_b32 exec_lo, exec_lo, s21
	buffer_store_dword v0, off, s[0:3], s32 offset:456 ; 4-byte Folded Spill
.LBB355_74:                             ;   in Loop: Header=BB355_15 Depth=1
	s_or_b32 exec_lo, exec_lo, s20
	s_mov_b32 s20, exec_lo
	v_cmpx_lt_u64_e64 s[12:13], v[27:28]
	s_cbranch_execz .LBB355_82
; %bb.75:                               ;   in Loop: Header=BB355_15 Depth=1
	v_cmp_ne_u32_sdwa s5, v28, v7 src0_sel:BYTE_3 src1_sel:DWORD
	v_bfrev_b32_e32 v102, 1
	s_and_saveexec_b32 s21, s5
	s_cbranch_execz .LBB355_81
; %bb.76:                               ;   in Loop: Header=BB355_15 Depth=1
	v_bfe_u32 v1, v28, 24, 7
	v_mov_b32_e32 v102, 0x7f800001
	s_mov_b32 s22, exec_lo
	v_cmpx_ne_u32_e32 0x7f, v1
	s_cbranch_execz .LBB355_80
; %bb.77:                               ;   in Loop: Header=BB355_15 Depth=1
	v_mov_b32_e32 v0, 7
	s_mov_b32 s23, exec_lo
	v_and_b32_sdwa v13, v28, v0 dst_sel:DWORD dst_unused:UNUSED_PAD src0_sel:BYTE_3 src1_sel:DWORD
	v_mov_b32_e32 v30, v14
	v_lshrrev_b32_e32 v0, 3, v1
	v_mov_b32_e32 v29, v13
	v_cmpx_gt_u32_e32 8, v1
; %bb.78:                               ;   in Loop: Header=BB355_15 Depth=1
	v_ffbh_u32_e32 v0, v13
	v_min_u32_e32 v0, 32, v0
	v_subrev_nc_u32_e32 v1, 28, v0
	v_sub_nc_u32_e32 v0, 29, v0
	v_lshlrev_b64 v[1:2], v1, v[13:14]
	v_and_b32_e32 v29, 7, v1
; %bb.79:                               ;   in Loop: Header=BB355_15 Depth=1
	s_or_b32 exec_lo, exec_lo, s23
	v_mov_b32_e32 v1, 24
	v_lshlrev_b32_e32 v2, 20, v29
	v_lshl_add_u32 v0, v0, 23, 0x3c000000
	v_lshlrev_b32_sdwa v1, v1, v28 dst_sel:DWORD dst_unused:UNUSED_PAD src0_sel:DWORD src1_sel:BYTE_3
	v_and_b32_e32 v1, 0x80000000, v1
	v_or3_b32 v102, v2, v1, v0
.LBB355_80:                             ;   in Loop: Header=BB355_15 Depth=1
	s_or_b32 exec_lo, exec_lo, s22
.LBB355_81:                             ;   in Loop: Header=BB355_15 Depth=1
	s_or_b32 exec_lo, exec_lo, s21
.LBB355_82:                             ;   in Loop: Header=BB355_15 Depth=1
	s_or_b32 exec_lo, exec_lo, s20
	flat_load_dwordx2 v[27:28], v[24:25] offset:8
	v_mov_b32_e32 v0, 0
	buffer_store_dword v0, off, s[0:3], s32 offset:236 ; 4-byte Folded Spill
	v_mov_b32_e32 v0, 0
	buffer_store_dword v0, off, s[0:3], s32 offset:232 ; 4-byte Folded Spill
	s_waitcnt vmcnt(0) lgkmcnt(0)
	v_cmp_ne_u16_sdwa s5, v27, v14 src0_sel:BYTE_0 src1_sel:DWORD
	s_and_saveexec_b32 s20, s5
	s_cbranch_execz .LBB355_90
; %bb.83:                               ;   in Loop: Header=BB355_15 Depth=1
	v_cmp_ne_u16_sdwa s5, v27, v7 src0_sel:BYTE_0 src1_sel:DWORD
	v_bfrev_b32_e32 v0, 1
	buffer_store_dword v0, off, s[0:3], s32 offset:232 ; 4-byte Folded Spill
	s_and_saveexec_b32 s21, s5
	s_cbranch_execz .LBB355_89
; %bb.84:                               ;   in Loop: Header=BB355_15 Depth=1
	v_and_b32_e32 v1, 0x7f, v27
	v_mov_b32_e32 v0, 0x7f800001
	s_mov_b32 s22, exec_lo
	buffer_store_dword v0, off, s[0:3], s32 offset:232 ; 4-byte Folded Spill
	v_cmpx_ne_u32_e32 0x7f, v1
	s_cbranch_execz .LBB355_88
; %bb.85:                               ;   in Loop: Header=BB355_15 Depth=1
	v_mov_b32_e32 v30, v28
	v_lshrrev_b32_e32 v0, 3, v1
	v_mov_b32_e32 v29, v27
	s_mov_b32 s23, exec_lo
	v_cmpx_gt_u32_e32 8, v1
; %bb.86:                               ;   in Loop: Header=BB355_15 Depth=1
	v_and_b32_e32 v0, 7, v27
	v_ffbh_u32_e32 v0, v0
	v_min_u32_e32 v0, 32, v0
	v_subrev_nc_u32_e32 v1, 28, v0
	v_sub_nc_u32_e32 v0, 29, v0
	v_lshlrev_b64 v[29:30], v1, v[27:28]
; %bb.87:                               ;   in Loop: Header=BB355_15 Depth=1
	s_or_b32 exec_lo, exec_lo, s23
	v_lshlrev_b32_e32 v1, 20, v29
	v_lshlrev_b32_e32 v2, 24, v27
	v_lshl_add_u32 v0, v0, 23, 0x3c000000
	v_and_b32_e32 v1, 0x700000, v1
	v_and_b32_e32 v2, 0x80000000, v2
	v_or3_b32 v0, v1, v2, v0
	buffer_store_dword v0, off, s[0:3], s32 offset:232 ; 4-byte Folded Spill
.LBB355_88:                             ;   in Loop: Header=BB355_15 Depth=1
	s_or_b32 exec_lo, exec_lo, s22
.LBB355_89:                             ;   in Loop: Header=BB355_15 Depth=1
	s_or_b32 exec_lo, exec_lo, s21
.LBB355_90:                             ;   in Loop: Header=BB355_15 Depth=1
	s_or_b32 exec_lo, exec_lo, s20
	v_cmp_ne_u16_sdwa s5, v27, v14 src0_sel:BYTE_1 src1_sel:DWORD
	s_and_saveexec_b32 s20, s5
	s_cbranch_execz .LBB355_98
; %bb.91:                               ;   in Loop: Header=BB355_15 Depth=1
	v_cmp_ne_u16_sdwa s5, v27, v7 src0_sel:BYTE_1 src1_sel:DWORD
	v_bfrev_b32_e32 v0, 1
	buffer_store_dword v0, off, s[0:3], s32 offset:236 ; 4-byte Folded Spill
	s_and_saveexec_b32 s21, s5
	s_cbranch_execz .LBB355_97
; %bb.92:                               ;   in Loop: Header=BB355_15 Depth=1
	v_mov_b32_e32 v0, 0xffff
	v_mov_b32_e32 v2, 0x7f800001
	s_mov_b32 s22, exec_lo
	v_and_b32_sdwa v0, v0, v27 dst_sel:DWORD dst_unused:UNUSED_PAD src0_sel:DWORD src1_sel:BYTE_1
	buffer_store_dword v2, off, s[0:3], s32 offset:236 ; 4-byte Folded Spill
	v_and_b32_e32 v1, 0x7f, v0
	v_cmpx_ne_u32_e32 0x7f, v1
	s_cbranch_execz .LBB355_96
; %bb.93:                               ;   in Loop: Header=BB355_15 Depth=1
	v_and_b32_e32 v13, 7, v0
	v_mov_b32_e32 v30, v14
	v_lshrrev_b32_e32 v0, 3, v1
	s_mov_b32 s23, exec_lo
	v_mov_b32_e32 v29, v13
	v_cmpx_gt_u32_e32 8, v1
; %bb.94:                               ;   in Loop: Header=BB355_15 Depth=1
	v_ffbh_u32_e32 v0, v13
	v_min_u32_e32 v0, 32, v0
	v_subrev_nc_u32_e32 v1, 28, v0
	v_sub_nc_u32_e32 v0, 29, v0
	v_lshlrev_b64 v[1:2], v1, v[13:14]
	v_and_b32_e32 v29, 7, v1
; %bb.95:                               ;   in Loop: Header=BB355_15 Depth=1
	s_or_b32 exec_lo, exec_lo, s23
	v_lshlrev_b32_e32 v1, 16, v27
	v_lshlrev_b32_e32 v2, 20, v29
	v_lshl_add_u32 v0, v0, 23, 0x3c000000
	v_and_b32_e32 v1, 0x80000000, v1
	v_or3_b32 v0, v2, v1, v0
	buffer_store_dword v0, off, s[0:3], s32 offset:236 ; 4-byte Folded Spill
.LBB355_96:                             ;   in Loop: Header=BB355_15 Depth=1
	s_or_b32 exec_lo, exec_lo, s22
.LBB355_97:                             ;   in Loop: Header=BB355_15 Depth=1
	s_or_b32 exec_lo, exec_lo, s21
.LBB355_98:                             ;   in Loop: Header=BB355_15 Depth=1
	s_or_b32 exec_lo, exec_lo, s20
	v_mov_b32_e32 v0, 0xff
	v_mov_b32_e32 v1, 0
	s_mov_b32 s20, exec_lo
	v_and_b32_sdwa v0, v27, v0 dst_sel:DWORD dst_unused:UNUSED_PAD src0_sel:WORD_1 src1_sel:DWORD
	buffer_store_dword v1, off, s[0:3], s32 offset:240 ; 4-byte Folded Spill
	v_mov_b32_e32 v1, 0
	buffer_store_dword v1, off, s[0:3], s32 offset:460 ; 4-byte Folded Spill
	v_cmpx_ne_u16_e32 0, v0
	s_cbranch_execz .LBB355_106
; %bb.99:                               ;   in Loop: Header=BB355_15 Depth=1
	v_cmp_ne_u16_e64 s5, 0x80, v0
	v_bfrev_b32_e32 v0, 1
	s_and_saveexec_b32 s21, s5
	s_cbranch_execz .LBB355_105
; %bb.100:                              ;   in Loop: Header=BB355_15 Depth=1
	v_bfe_u32 v1, v27, 16, 7
	v_mov_b32_e32 v0, 0x7f800001
	s_mov_b32 s22, exec_lo
	v_cmpx_ne_u32_e32 0x7f, v1
	s_cbranch_execz .LBB355_104
; %bb.101:                              ;   in Loop: Header=BB355_15 Depth=1
	v_mov_b32_e32 v0, 7
	s_mov_b32 s23, exec_lo
	v_and_b32_sdwa v13, v27, v0 dst_sel:DWORD dst_unused:UNUSED_PAD src0_sel:WORD_1 src1_sel:DWORD
	v_mov_b32_e32 v30, v14
	v_lshrrev_b32_e32 v0, 3, v1
	v_mov_b32_e32 v29, v13
	v_cmpx_gt_u32_e32 8, v1
; %bb.102:                              ;   in Loop: Header=BB355_15 Depth=1
	v_ffbh_u32_e32 v0, v13
	v_min_u32_e32 v0, 32, v0
	v_subrev_nc_u32_e32 v1, 28, v0
	v_sub_nc_u32_e32 v0, 29, v0
	v_lshlrev_b64 v[1:2], v1, v[13:14]
	v_and_b32_e32 v29, 7, v1
; %bb.103:                              ;   in Loop: Header=BB355_15 Depth=1
	s_or_b32 exec_lo, exec_lo, s23
	v_mov_b32_e32 v1, 24
	v_lshlrev_b32_e32 v2, 20, v29
	v_lshl_add_u32 v0, v0, 23, 0x3c000000
	v_lshlrev_b32_sdwa v1, v1, v27 dst_sel:DWORD dst_unused:UNUSED_PAD src0_sel:DWORD src1_sel:WORD_1
	v_and_b32_e32 v1, 0x80000000, v1
	v_or3_b32 v0, v2, v1, v0
.LBB355_104:                            ;   in Loop: Header=BB355_15 Depth=1
	s_or_b32 exec_lo, exec_lo, s22
.LBB355_105:                            ;   in Loop: Header=BB355_15 Depth=1
	s_or_b32 exec_lo, exec_lo, s21
	buffer_store_dword v0, off, s[0:3], s32 offset:460 ; 4-byte Folded Spill
.LBB355_106:                            ;   in Loop: Header=BB355_15 Depth=1
	s_or_b32 exec_lo, exec_lo, s20
	s_mov_b32 s20, exec_lo
	v_cmpx_lt_u32_e32 0xffffff, v27
	s_cbranch_execz .LBB355_114
; %bb.107:                              ;   in Loop: Header=BB355_15 Depth=1
	v_cmp_ne_u32_sdwa s5, v27, v7 src0_sel:BYTE_3 src1_sel:DWORD
	v_bfrev_b32_e32 v0, 1
	buffer_store_dword v0, off, s[0:3], s32 offset:240 ; 4-byte Folded Spill
	s_and_saveexec_b32 s21, s5
	s_cbranch_execz .LBB355_113
; %bb.108:                              ;   in Loop: Header=BB355_15 Depth=1
	v_bfe_u32 v1, v27, 24, 7
	v_mov_b32_e32 v0, 0x7f800001
	s_mov_b32 s22, exec_lo
	buffer_store_dword v0, off, s[0:3], s32 offset:240 ; 4-byte Folded Spill
	v_cmpx_ne_u32_e32 0x7f, v1
	s_cbranch_execz .LBB355_112
; %bb.109:                              ;   in Loop: Header=BB355_15 Depth=1
	v_mov_b32_e32 v0, 7
	s_mov_b32 s23, exec_lo
	v_and_b32_sdwa v13, v27, v0 dst_sel:DWORD dst_unused:UNUSED_PAD src0_sel:BYTE_3 src1_sel:DWORD
	v_mov_b32_e32 v30, v14
	v_lshrrev_b32_e32 v0, 3, v1
	v_mov_b32_e32 v29, v13
	v_cmpx_gt_u32_e32 8, v1
; %bb.110:                              ;   in Loop: Header=BB355_15 Depth=1
	v_ffbh_u32_e32 v0, v13
	v_min_u32_e32 v0, 32, v0
	v_subrev_nc_u32_e32 v1, 28, v0
	v_sub_nc_u32_e32 v0, 29, v0
	v_lshlrev_b64 v[1:2], v1, v[13:14]
	v_and_b32_e32 v29, 7, v1
; %bb.111:                              ;   in Loop: Header=BB355_15 Depth=1
	s_or_b32 exec_lo, exec_lo, s23
	v_mov_b32_e32 v1, 24
	v_lshlrev_b32_e32 v2, 20, v29
	v_lshl_add_u32 v0, v0, 23, 0x3c000000
	v_lshlrev_b32_sdwa v1, v1, v27 dst_sel:DWORD dst_unused:UNUSED_PAD src0_sel:DWORD src1_sel:BYTE_3
	v_and_b32_e32 v1, 0x80000000, v1
	v_or3_b32 v0, v2, v1, v0
	buffer_store_dword v0, off, s[0:3], s32 offset:240 ; 4-byte Folded Spill
.LBB355_112:                            ;   in Loop: Header=BB355_15 Depth=1
	s_or_b32 exec_lo, exec_lo, s22
.LBB355_113:                            ;   in Loop: Header=BB355_15 Depth=1
	s_or_b32 exec_lo, exec_lo, s21
.LBB355_114:                            ;   in Loop: Header=BB355_15 Depth=1
	s_or_b32 exec_lo, exec_lo, s20
	v_mov_b32_e32 v0, 0
	v_mov_b32_e32 v13, v28
	v_cmp_ne_u16_sdwa s5, v28, v14 src0_sel:BYTE_0 src1_sel:DWORD
	buffer_store_dword v0, off, s[0:3], s32 offset:248 ; 4-byte Folded Spill
	v_mov_b32_e32 v0, 0
	buffer_store_dword v0, off, s[0:3], s32 offset:244 ; 4-byte Folded Spill
	s_and_saveexec_b32 s20, s5
	s_cbranch_execz .LBB355_122
; %bb.115:                              ;   in Loop: Header=BB355_15 Depth=1
	v_cmp_ne_u16_sdwa s5, v28, v7 src0_sel:BYTE_0 src1_sel:DWORD
	v_bfrev_b32_e32 v0, 1
	buffer_store_dword v0, off, s[0:3], s32 offset:244 ; 4-byte Folded Spill
	s_and_saveexec_b32 s21, s5
	s_cbranch_execz .LBB355_121
; %bb.116:                              ;   in Loop: Header=BB355_15 Depth=1
	v_and_b32_e32 v1, 0x7f, v28
	v_mov_b32_e32 v0, 0x7f800001
	s_mov_b32 s22, exec_lo
	buffer_store_dword v0, off, s[0:3], s32 offset:244 ; 4-byte Folded Spill
	v_cmpx_ne_u32_e32 0x7f, v1
	s_cbranch_execz .LBB355_120
; %bb.117:                              ;   in Loop: Header=BB355_15 Depth=1
	v_mov_b32_e32 v30, v14
	v_lshrrev_b32_e32 v0, 3, v1
	v_mov_b32_e32 v29, v13
	s_mov_b32 s23, exec_lo
	v_cmpx_gt_u32_e32 8, v1
; %bb.118:                              ;   in Loop: Header=BB355_15 Depth=1
	v_and_b32_e32 v0, 7, v28
	v_ffbh_u32_e32 v0, v0
	v_min_u32_e32 v0, 32, v0
	v_subrev_nc_u32_e32 v1, 28, v0
	v_sub_nc_u32_e32 v0, 29, v0
	v_lshlrev_b64 v[29:30], v1, v[13:14]
; %bb.119:                              ;   in Loop: Header=BB355_15 Depth=1
	s_or_b32 exec_lo, exec_lo, s23
	v_lshlrev_b32_e32 v1, 20, v29
	v_lshlrev_b32_e32 v2, 24, v13
	v_lshl_add_u32 v0, v0, 23, 0x3c000000
	v_and_b32_e32 v1, 0x700000, v1
	v_and_b32_e32 v2, 0x80000000, v2
	v_or3_b32 v0, v1, v2, v0
	buffer_store_dword v0, off, s[0:3], s32 offset:244 ; 4-byte Folded Spill
.LBB355_120:                            ;   in Loop: Header=BB355_15 Depth=1
	s_or_b32 exec_lo, exec_lo, s22
.LBB355_121:                            ;   in Loop: Header=BB355_15 Depth=1
	s_or_b32 exec_lo, exec_lo, s21
.LBB355_122:                            ;   in Loop: Header=BB355_15 Depth=1
	s_or_b32 exec_lo, exec_lo, s20
	v_cmp_ne_u16_sdwa s5, v13, v14 src0_sel:BYTE_1 src1_sel:DWORD
	s_and_saveexec_b32 s20, s5
	s_cbranch_execz .LBB355_130
; %bb.123:                              ;   in Loop: Header=BB355_15 Depth=1
	v_cmp_ne_u16_sdwa s5, v13, v7 src0_sel:BYTE_1 src1_sel:DWORD
	v_bfrev_b32_e32 v0, 1
	buffer_store_dword v0, off, s[0:3], s32 offset:248 ; 4-byte Folded Spill
	s_and_saveexec_b32 s21, s5
	s_cbranch_execz .LBB355_129
; %bb.124:                              ;   in Loop: Header=BB355_15 Depth=1
	v_mov_b32_e32 v0, 0xffff
	v_mov_b32_e32 v2, 0x7f800001
	s_mov_b32 s22, exec_lo
	v_and_b32_sdwa v0, v0, v13 dst_sel:DWORD dst_unused:UNUSED_PAD src0_sel:DWORD src1_sel:BYTE_1
	buffer_store_dword v2, off, s[0:3], s32 offset:248 ; 4-byte Folded Spill
	v_and_b32_e32 v1, 0x7f, v0
	v_cmpx_ne_u32_e32 0x7f, v1
	s_cbranch_execz .LBB355_128
; %bb.125:                              ;   in Loop: Header=BB355_15 Depth=1
	v_and_b32_e32 v29, 7, v0
	v_mov_b32_e32 v30, v14
	v_lshrrev_b32_e32 v0, 3, v1
	s_mov_b32 s23, exec_lo
	v_cmpx_gt_u32_e32 8, v1
; %bb.126:                              ;   in Loop: Header=BB355_15 Depth=1
	v_ffbh_u32_e32 v0, v29
	v_min_u32_e32 v0, 32, v0
	v_subrev_nc_u32_e32 v1, 28, v0
	v_sub_nc_u32_e32 v0, 29, v0
	v_lshlrev_b64 v[1:2], v1, v[29:30]
	v_and_b32_e32 v29, 7, v1
; %bb.127:                              ;   in Loop: Header=BB355_15 Depth=1
	s_or_b32 exec_lo, exec_lo, s23
	v_lshlrev_b32_e32 v1, 16, v13
	v_lshlrev_b32_e32 v2, 20, v29
	v_lshl_add_u32 v0, v0, 23, 0x3c000000
	v_and_b32_e32 v1, 0x80000000, v1
	v_or3_b32 v0, v2, v1, v0
	buffer_store_dword v0, off, s[0:3], s32 offset:248 ; 4-byte Folded Spill
.LBB355_128:                            ;   in Loop: Header=BB355_15 Depth=1
	s_or_b32 exec_lo, exec_lo, s22
.LBB355_129:                            ;   in Loop: Header=BB355_15 Depth=1
	s_or_b32 exec_lo, exec_lo, s21
.LBB355_130:                            ;   in Loop: Header=BB355_15 Depth=1
	s_or_b32 exec_lo, exec_lo, s20
	v_mov_b32_e32 v0, 0xff
	v_mov_b32_e32 v1, 0
	s_mov_b32 s20, exec_lo
	v_and_b32_sdwa v0, v28, v0 dst_sel:DWORD dst_unused:UNUSED_PAD src0_sel:WORD_1 src1_sel:DWORD
	buffer_store_dword v1, off, s[0:3], s32 offset:252 ; 4-byte Folded Spill
	v_mov_b32_e32 v1, 0
	buffer_store_dword v1, off, s[0:3], s32 offset:464 ; 4-byte Folded Spill
	v_cmpx_ne_u16_e32 0, v0
	s_cbranch_execz .LBB355_138
; %bb.131:                              ;   in Loop: Header=BB355_15 Depth=1
	v_cmp_ne_u16_e64 s5, 0x80, v0
	v_bfrev_b32_e32 v0, 1
	s_and_saveexec_b32 s21, s5
	s_cbranch_execz .LBB355_137
; %bb.132:                              ;   in Loop: Header=BB355_15 Depth=1
	v_bfe_u32 v1, v28, 16, 7
	v_mov_b32_e32 v0, 0x7f800001
	s_mov_b32 s22, exec_lo
	v_cmpx_ne_u32_e32 0x7f, v1
	s_cbranch_execz .LBB355_136
; %bb.133:                              ;   in Loop: Header=BB355_15 Depth=1
	v_mov_b32_e32 v0, 7
	s_mov_b32 s23, exec_lo
	v_and_b32_sdwa v13, v28, v0 dst_sel:DWORD dst_unused:UNUSED_PAD src0_sel:WORD_1 src1_sel:DWORD
	v_mov_b32_e32 v30, v14
	v_lshrrev_b32_e32 v0, 3, v1
	v_mov_b32_e32 v29, v13
	v_cmpx_gt_u32_e32 8, v1
; %bb.134:                              ;   in Loop: Header=BB355_15 Depth=1
	v_ffbh_u32_e32 v0, v13
	v_min_u32_e32 v0, 32, v0
	v_subrev_nc_u32_e32 v1, 28, v0
	v_sub_nc_u32_e32 v0, 29, v0
	v_lshlrev_b64 v[1:2], v1, v[13:14]
	v_and_b32_e32 v29, 7, v1
; %bb.135:                              ;   in Loop: Header=BB355_15 Depth=1
	s_or_b32 exec_lo, exec_lo, s23
	v_mov_b32_e32 v1, 24
	v_lshlrev_b32_e32 v2, 20, v29
	v_lshl_add_u32 v0, v0, 23, 0x3c000000
	v_lshlrev_b32_sdwa v1, v1, v28 dst_sel:DWORD dst_unused:UNUSED_PAD src0_sel:DWORD src1_sel:WORD_1
	v_and_b32_e32 v1, 0x80000000, v1
	v_or3_b32 v0, v2, v1, v0
.LBB355_136:                            ;   in Loop: Header=BB355_15 Depth=1
	s_or_b32 exec_lo, exec_lo, s22
.LBB355_137:                            ;   in Loop: Header=BB355_15 Depth=1
	s_or_b32 exec_lo, exec_lo, s21
	buffer_store_dword v0, off, s[0:3], s32 offset:464 ; 4-byte Folded Spill
.LBB355_138:                            ;   in Loop: Header=BB355_15 Depth=1
	s_or_b32 exec_lo, exec_lo, s20
	s_mov_b32 s20, exec_lo
	v_cmpx_lt_u64_e64 s[12:13], v[27:28]
	s_cbranch_execz .LBB355_146
; %bb.139:                              ;   in Loop: Header=BB355_15 Depth=1
	v_cmp_ne_u32_sdwa s5, v28, v7 src0_sel:BYTE_3 src1_sel:DWORD
	v_bfrev_b32_e32 v0, 1
	buffer_store_dword v0, off, s[0:3], s32 offset:252 ; 4-byte Folded Spill
	s_and_saveexec_b32 s21, s5
	s_cbranch_execz .LBB355_145
; %bb.140:                              ;   in Loop: Header=BB355_15 Depth=1
	v_bfe_u32 v1, v28, 24, 7
	v_mov_b32_e32 v0, 0x7f800001
	s_mov_b32 s22, exec_lo
	buffer_store_dword v0, off, s[0:3], s32 offset:252 ; 4-byte Folded Spill
	v_cmpx_ne_u32_e32 0x7f, v1
	s_cbranch_execz .LBB355_144
; %bb.141:                              ;   in Loop: Header=BB355_15 Depth=1
	v_mov_b32_e32 v0, 7
	s_mov_b32 s23, exec_lo
	v_and_b32_sdwa v13, v28, v0 dst_sel:DWORD dst_unused:UNUSED_PAD src0_sel:BYTE_3 src1_sel:DWORD
	v_mov_b32_e32 v30, v14
	v_lshrrev_b32_e32 v0, 3, v1
	v_mov_b32_e32 v29, v13
	v_cmpx_gt_u32_e32 8, v1
; %bb.142:                              ;   in Loop: Header=BB355_15 Depth=1
	v_ffbh_u32_e32 v0, v13
	v_min_u32_e32 v0, 32, v0
	v_subrev_nc_u32_e32 v1, 28, v0
	v_sub_nc_u32_e32 v0, 29, v0
	v_lshlrev_b64 v[1:2], v1, v[13:14]
	v_and_b32_e32 v29, 7, v1
; %bb.143:                              ;   in Loop: Header=BB355_15 Depth=1
	s_or_b32 exec_lo, exec_lo, s23
	v_mov_b32_e32 v1, 24
	v_lshlrev_b32_e32 v2, 20, v29
	v_lshl_add_u32 v0, v0, 23, 0x3c000000
	v_lshlrev_b32_sdwa v1, v1, v28 dst_sel:DWORD dst_unused:UNUSED_PAD src0_sel:DWORD src1_sel:BYTE_3
	v_and_b32_e32 v1, 0x80000000, v1
	v_or3_b32 v0, v2, v1, v0
	buffer_store_dword v0, off, s[0:3], s32 offset:252 ; 4-byte Folded Spill
.LBB355_144:                            ;   in Loop: Header=BB355_15 Depth=1
	s_or_b32 exec_lo, exec_lo, s22
.LBB355_145:                            ;   in Loop: Header=BB355_15 Depth=1
	s_or_b32 exec_lo, exec_lo, s21
.LBB355_146:                            ;   in Loop: Header=BB355_15 Depth=1
	s_or_b32 exec_lo, exec_lo, s20
	flat_load_dwordx2 v[27:28], v[24:25] offset:512
	v_mov_b32_e32 v0, 0
	buffer_store_dword v0, off, s[0:3], s32 offset:260 ; 4-byte Folded Spill
	v_mov_b32_e32 v0, 0
	buffer_store_dword v0, off, s[0:3], s32 offset:256 ; 4-byte Folded Spill
	s_waitcnt vmcnt(0) lgkmcnt(0)
	v_cmp_ne_u16_sdwa s5, v27, v14 src0_sel:BYTE_0 src1_sel:DWORD
	s_and_saveexec_b32 s20, s5
	s_cbranch_execz .LBB355_154
; %bb.147:                              ;   in Loop: Header=BB355_15 Depth=1
	v_cmp_ne_u16_sdwa s5, v27, v7 src0_sel:BYTE_0 src1_sel:DWORD
	v_bfrev_b32_e32 v0, 1
	buffer_store_dword v0, off, s[0:3], s32 offset:256 ; 4-byte Folded Spill
	s_and_saveexec_b32 s21, s5
	s_cbranch_execz .LBB355_153
; %bb.148:                              ;   in Loop: Header=BB355_15 Depth=1
	v_and_b32_e32 v1, 0x7f, v27
	v_mov_b32_e32 v0, 0x7f800001
	s_mov_b32 s22, exec_lo
	buffer_store_dword v0, off, s[0:3], s32 offset:256 ; 4-byte Folded Spill
	v_cmpx_ne_u32_e32 0x7f, v1
	s_cbranch_execz .LBB355_152
; %bb.149:                              ;   in Loop: Header=BB355_15 Depth=1
	v_mov_b32_e32 v30, v28
	v_lshrrev_b32_e32 v0, 3, v1
	v_mov_b32_e32 v29, v27
	s_mov_b32 s23, exec_lo
	v_cmpx_gt_u32_e32 8, v1
; %bb.150:                              ;   in Loop: Header=BB355_15 Depth=1
	v_and_b32_e32 v0, 7, v27
	v_ffbh_u32_e32 v0, v0
	v_min_u32_e32 v0, 32, v0
	v_subrev_nc_u32_e32 v1, 28, v0
	v_sub_nc_u32_e32 v0, 29, v0
	v_lshlrev_b64 v[29:30], v1, v[27:28]
; %bb.151:                              ;   in Loop: Header=BB355_15 Depth=1
	s_or_b32 exec_lo, exec_lo, s23
	v_lshlrev_b32_e32 v1, 20, v29
	v_lshlrev_b32_e32 v2, 24, v27
	v_lshl_add_u32 v0, v0, 23, 0x3c000000
	v_and_b32_e32 v1, 0x700000, v1
	v_and_b32_e32 v2, 0x80000000, v2
	v_or3_b32 v0, v1, v2, v0
	buffer_store_dword v0, off, s[0:3], s32 offset:256 ; 4-byte Folded Spill
.LBB355_152:                            ;   in Loop: Header=BB355_15 Depth=1
	s_or_b32 exec_lo, exec_lo, s22
.LBB355_153:                            ;   in Loop: Header=BB355_15 Depth=1
	s_or_b32 exec_lo, exec_lo, s21
.LBB355_154:                            ;   in Loop: Header=BB355_15 Depth=1
	s_or_b32 exec_lo, exec_lo, s20
	v_cmp_ne_u16_sdwa s5, v27, v14 src0_sel:BYTE_1 src1_sel:DWORD
	s_and_saveexec_b32 s20, s5
	s_cbranch_execz .LBB355_162
; %bb.155:                              ;   in Loop: Header=BB355_15 Depth=1
	v_cmp_ne_u16_sdwa s5, v27, v7 src0_sel:BYTE_1 src1_sel:DWORD
	v_bfrev_b32_e32 v0, 1
	buffer_store_dword v0, off, s[0:3], s32 offset:260 ; 4-byte Folded Spill
	s_and_saveexec_b32 s21, s5
	s_cbranch_execz .LBB355_161
; %bb.156:                              ;   in Loop: Header=BB355_15 Depth=1
	v_mov_b32_e32 v0, 0xffff
	v_mov_b32_e32 v2, 0x7f800001
	s_mov_b32 s22, exec_lo
	v_and_b32_sdwa v0, v0, v27 dst_sel:DWORD dst_unused:UNUSED_PAD src0_sel:DWORD src1_sel:BYTE_1
	buffer_store_dword v2, off, s[0:3], s32 offset:260 ; 4-byte Folded Spill
	v_and_b32_e32 v1, 0x7f, v0
	v_cmpx_ne_u32_e32 0x7f, v1
	s_cbranch_execz .LBB355_160
; %bb.157:                              ;   in Loop: Header=BB355_15 Depth=1
	v_and_b32_e32 v13, 7, v0
	v_mov_b32_e32 v30, v14
	v_lshrrev_b32_e32 v0, 3, v1
	s_mov_b32 s23, exec_lo
	v_mov_b32_e32 v29, v13
	v_cmpx_gt_u32_e32 8, v1
; %bb.158:                              ;   in Loop: Header=BB355_15 Depth=1
	v_ffbh_u32_e32 v0, v13
	v_min_u32_e32 v0, 32, v0
	v_subrev_nc_u32_e32 v1, 28, v0
	v_sub_nc_u32_e32 v0, 29, v0
	v_lshlrev_b64 v[1:2], v1, v[13:14]
	v_and_b32_e32 v29, 7, v1
; %bb.159:                              ;   in Loop: Header=BB355_15 Depth=1
	s_or_b32 exec_lo, exec_lo, s23
	v_lshlrev_b32_e32 v1, 16, v27
	v_lshlrev_b32_e32 v2, 20, v29
	v_lshl_add_u32 v0, v0, 23, 0x3c000000
	v_and_b32_e32 v1, 0x80000000, v1
	v_or3_b32 v0, v2, v1, v0
	buffer_store_dword v0, off, s[0:3], s32 offset:260 ; 4-byte Folded Spill
.LBB355_160:                            ;   in Loop: Header=BB355_15 Depth=1
	s_or_b32 exec_lo, exec_lo, s22
.LBB355_161:                            ;   in Loop: Header=BB355_15 Depth=1
	s_or_b32 exec_lo, exec_lo, s21
.LBB355_162:                            ;   in Loop: Header=BB355_15 Depth=1
	s_or_b32 exec_lo, exec_lo, s20
	v_mov_b32_e32 v0, 0xff
	v_mov_b32_e32 v1, 0
	s_mov_b32 s20, exec_lo
	v_and_b32_sdwa v0, v27, v0 dst_sel:DWORD dst_unused:UNUSED_PAD src0_sel:WORD_1 src1_sel:DWORD
	buffer_store_dword v1, off, s[0:3], s32 offset:264 ; 4-byte Folded Spill
	v_mov_b32_e32 v1, 0
	buffer_store_dword v1, off, s[0:3], s32 offset:468 ; 4-byte Folded Spill
	v_cmpx_ne_u16_e32 0, v0
	s_cbranch_execz .LBB355_170
; %bb.163:                              ;   in Loop: Header=BB355_15 Depth=1
	v_cmp_ne_u16_e64 s5, 0x80, v0
	v_bfrev_b32_e32 v0, 1
	s_and_saveexec_b32 s21, s5
	s_cbranch_execz .LBB355_169
; %bb.164:                              ;   in Loop: Header=BB355_15 Depth=1
	v_bfe_u32 v1, v27, 16, 7
	v_mov_b32_e32 v0, 0x7f800001
	s_mov_b32 s22, exec_lo
	v_cmpx_ne_u32_e32 0x7f, v1
	s_cbranch_execz .LBB355_168
; %bb.165:                              ;   in Loop: Header=BB355_15 Depth=1
	v_mov_b32_e32 v0, 7
	s_mov_b32 s23, exec_lo
	v_and_b32_sdwa v13, v27, v0 dst_sel:DWORD dst_unused:UNUSED_PAD src0_sel:WORD_1 src1_sel:DWORD
	v_mov_b32_e32 v30, v14
	v_lshrrev_b32_e32 v0, 3, v1
	v_mov_b32_e32 v29, v13
	v_cmpx_gt_u32_e32 8, v1
; %bb.166:                              ;   in Loop: Header=BB355_15 Depth=1
	v_ffbh_u32_e32 v0, v13
	v_min_u32_e32 v0, 32, v0
	v_subrev_nc_u32_e32 v1, 28, v0
	v_sub_nc_u32_e32 v0, 29, v0
	v_lshlrev_b64 v[1:2], v1, v[13:14]
	v_and_b32_e32 v29, 7, v1
; %bb.167:                              ;   in Loop: Header=BB355_15 Depth=1
	s_or_b32 exec_lo, exec_lo, s23
	v_mov_b32_e32 v1, 24
	v_lshlrev_b32_e32 v2, 20, v29
	v_lshl_add_u32 v0, v0, 23, 0x3c000000
	v_lshlrev_b32_sdwa v1, v1, v27 dst_sel:DWORD dst_unused:UNUSED_PAD src0_sel:DWORD src1_sel:WORD_1
	v_and_b32_e32 v1, 0x80000000, v1
	v_or3_b32 v0, v2, v1, v0
.LBB355_168:                            ;   in Loop: Header=BB355_15 Depth=1
	s_or_b32 exec_lo, exec_lo, s22
.LBB355_169:                            ;   in Loop: Header=BB355_15 Depth=1
	s_or_b32 exec_lo, exec_lo, s21
	buffer_store_dword v0, off, s[0:3], s32 offset:468 ; 4-byte Folded Spill
.LBB355_170:                            ;   in Loop: Header=BB355_15 Depth=1
	s_or_b32 exec_lo, exec_lo, s20
	s_mov_b32 s20, exec_lo
	v_cmpx_lt_u32_e32 0xffffff, v27
	s_cbranch_execz .LBB355_178
; %bb.171:                              ;   in Loop: Header=BB355_15 Depth=1
	v_cmp_ne_u32_sdwa s5, v27, v7 src0_sel:BYTE_3 src1_sel:DWORD
	v_bfrev_b32_e32 v0, 1
	buffer_store_dword v0, off, s[0:3], s32 offset:264 ; 4-byte Folded Spill
	s_and_saveexec_b32 s21, s5
	s_cbranch_execz .LBB355_177
; %bb.172:                              ;   in Loop: Header=BB355_15 Depth=1
	v_bfe_u32 v1, v27, 24, 7
	v_mov_b32_e32 v0, 0x7f800001
	s_mov_b32 s22, exec_lo
	buffer_store_dword v0, off, s[0:3], s32 offset:264 ; 4-byte Folded Spill
	v_cmpx_ne_u32_e32 0x7f, v1
	s_cbranch_execz .LBB355_176
; %bb.173:                              ;   in Loop: Header=BB355_15 Depth=1
	v_mov_b32_e32 v0, 7
	s_mov_b32 s23, exec_lo
	v_and_b32_sdwa v13, v27, v0 dst_sel:DWORD dst_unused:UNUSED_PAD src0_sel:BYTE_3 src1_sel:DWORD
	v_mov_b32_e32 v30, v14
	v_lshrrev_b32_e32 v0, 3, v1
	v_mov_b32_e32 v29, v13
	v_cmpx_gt_u32_e32 8, v1
; %bb.174:                              ;   in Loop: Header=BB355_15 Depth=1
	v_ffbh_u32_e32 v0, v13
	v_min_u32_e32 v0, 32, v0
	v_subrev_nc_u32_e32 v1, 28, v0
	v_sub_nc_u32_e32 v0, 29, v0
	v_lshlrev_b64 v[1:2], v1, v[13:14]
	v_and_b32_e32 v29, 7, v1
; %bb.175:                              ;   in Loop: Header=BB355_15 Depth=1
	s_or_b32 exec_lo, exec_lo, s23
	v_mov_b32_e32 v1, 24
	v_lshlrev_b32_e32 v2, 20, v29
	v_lshl_add_u32 v0, v0, 23, 0x3c000000
	v_lshlrev_b32_sdwa v1, v1, v27 dst_sel:DWORD dst_unused:UNUSED_PAD src0_sel:DWORD src1_sel:BYTE_3
	v_and_b32_e32 v1, 0x80000000, v1
	v_or3_b32 v0, v2, v1, v0
	buffer_store_dword v0, off, s[0:3], s32 offset:264 ; 4-byte Folded Spill
.LBB355_176:                            ;   in Loop: Header=BB355_15 Depth=1
	s_or_b32 exec_lo, exec_lo, s22
.LBB355_177:                            ;   in Loop: Header=BB355_15 Depth=1
	s_or_b32 exec_lo, exec_lo, s21
.LBB355_178:                            ;   in Loop: Header=BB355_15 Depth=1
	s_or_b32 exec_lo, exec_lo, s20
	v_mov_b32_e32 v0, 0
	v_mov_b32_e32 v13, v28
	v_cmp_ne_u16_sdwa s5, v28, v14 src0_sel:BYTE_0 src1_sel:DWORD
	buffer_store_dword v0, off, s[0:3], s32 offset:272 ; 4-byte Folded Spill
	v_mov_b32_e32 v0, 0
	buffer_store_dword v0, off, s[0:3], s32 offset:268 ; 4-byte Folded Spill
	s_and_saveexec_b32 s20, s5
	s_cbranch_execz .LBB355_186
; %bb.179:                              ;   in Loop: Header=BB355_15 Depth=1
	v_cmp_ne_u16_sdwa s5, v28, v7 src0_sel:BYTE_0 src1_sel:DWORD
	v_bfrev_b32_e32 v0, 1
	buffer_store_dword v0, off, s[0:3], s32 offset:268 ; 4-byte Folded Spill
	s_and_saveexec_b32 s21, s5
	s_cbranch_execz .LBB355_185
; %bb.180:                              ;   in Loop: Header=BB355_15 Depth=1
	v_and_b32_e32 v1, 0x7f, v28
	v_mov_b32_e32 v0, 0x7f800001
	s_mov_b32 s22, exec_lo
	buffer_store_dword v0, off, s[0:3], s32 offset:268 ; 4-byte Folded Spill
	v_cmpx_ne_u32_e32 0x7f, v1
	s_cbranch_execz .LBB355_184
; %bb.181:                              ;   in Loop: Header=BB355_15 Depth=1
	v_mov_b32_e32 v30, v14
	v_lshrrev_b32_e32 v0, 3, v1
	v_mov_b32_e32 v29, v13
	s_mov_b32 s23, exec_lo
	v_cmpx_gt_u32_e32 8, v1
; %bb.182:                              ;   in Loop: Header=BB355_15 Depth=1
	v_and_b32_e32 v0, 7, v28
	v_ffbh_u32_e32 v0, v0
	v_min_u32_e32 v0, 32, v0
	v_subrev_nc_u32_e32 v1, 28, v0
	v_sub_nc_u32_e32 v0, 29, v0
	v_lshlrev_b64 v[29:30], v1, v[13:14]
; %bb.183:                              ;   in Loop: Header=BB355_15 Depth=1
	s_or_b32 exec_lo, exec_lo, s23
	v_lshlrev_b32_e32 v1, 20, v29
	v_lshlrev_b32_e32 v2, 24, v13
	v_lshl_add_u32 v0, v0, 23, 0x3c000000
	v_and_b32_e32 v1, 0x700000, v1
	v_and_b32_e32 v2, 0x80000000, v2
	v_or3_b32 v0, v1, v2, v0
	buffer_store_dword v0, off, s[0:3], s32 offset:268 ; 4-byte Folded Spill
.LBB355_184:                            ;   in Loop: Header=BB355_15 Depth=1
	s_or_b32 exec_lo, exec_lo, s22
.LBB355_185:                            ;   in Loop: Header=BB355_15 Depth=1
	s_or_b32 exec_lo, exec_lo, s21
.LBB355_186:                            ;   in Loop: Header=BB355_15 Depth=1
	s_or_b32 exec_lo, exec_lo, s20
	v_cmp_ne_u16_sdwa s5, v13, v14 src0_sel:BYTE_1 src1_sel:DWORD
	s_and_saveexec_b32 s20, s5
	s_cbranch_execz .LBB355_194
; %bb.187:                              ;   in Loop: Header=BB355_15 Depth=1
	v_cmp_ne_u16_sdwa s5, v13, v7 src0_sel:BYTE_1 src1_sel:DWORD
	v_bfrev_b32_e32 v0, 1
	buffer_store_dword v0, off, s[0:3], s32 offset:272 ; 4-byte Folded Spill
	s_and_saveexec_b32 s21, s5
	s_cbranch_execz .LBB355_193
; %bb.188:                              ;   in Loop: Header=BB355_15 Depth=1
	v_mov_b32_e32 v0, 0xffff
	v_mov_b32_e32 v2, 0x7f800001
	s_mov_b32 s22, exec_lo
	v_and_b32_sdwa v0, v0, v13 dst_sel:DWORD dst_unused:UNUSED_PAD src0_sel:DWORD src1_sel:BYTE_1
	buffer_store_dword v2, off, s[0:3], s32 offset:272 ; 4-byte Folded Spill
	v_and_b32_e32 v1, 0x7f, v0
	v_cmpx_ne_u32_e32 0x7f, v1
	s_cbranch_execz .LBB355_192
; %bb.189:                              ;   in Loop: Header=BB355_15 Depth=1
	v_and_b32_e32 v29, 7, v0
	v_mov_b32_e32 v30, v14
	v_lshrrev_b32_e32 v0, 3, v1
	s_mov_b32 s23, exec_lo
	v_cmpx_gt_u32_e32 8, v1
; %bb.190:                              ;   in Loop: Header=BB355_15 Depth=1
	v_ffbh_u32_e32 v0, v29
	v_min_u32_e32 v0, 32, v0
	v_subrev_nc_u32_e32 v1, 28, v0
	v_sub_nc_u32_e32 v0, 29, v0
	v_lshlrev_b64 v[1:2], v1, v[29:30]
	v_and_b32_e32 v29, 7, v1
; %bb.191:                              ;   in Loop: Header=BB355_15 Depth=1
	s_or_b32 exec_lo, exec_lo, s23
	v_lshlrev_b32_e32 v1, 16, v13
	v_lshlrev_b32_e32 v2, 20, v29
	v_lshl_add_u32 v0, v0, 23, 0x3c000000
	v_and_b32_e32 v1, 0x80000000, v1
	v_or3_b32 v0, v2, v1, v0
	buffer_store_dword v0, off, s[0:3], s32 offset:272 ; 4-byte Folded Spill
.LBB355_192:                            ;   in Loop: Header=BB355_15 Depth=1
	s_or_b32 exec_lo, exec_lo, s22
.LBB355_193:                            ;   in Loop: Header=BB355_15 Depth=1
	s_or_b32 exec_lo, exec_lo, s21
.LBB355_194:                            ;   in Loop: Header=BB355_15 Depth=1
	s_or_b32 exec_lo, exec_lo, s20
	v_mov_b32_e32 v0, 0xff
	v_mov_b32_e32 v1, 0
	s_mov_b32 s20, exec_lo
	v_and_b32_sdwa v0, v28, v0 dst_sel:DWORD dst_unused:UNUSED_PAD src0_sel:WORD_1 src1_sel:DWORD
	buffer_store_dword v1, off, s[0:3], s32 offset:276 ; 4-byte Folded Spill
	v_mov_b32_e32 v1, 0
	buffer_store_dword v1, off, s[0:3], s32 offset:472 ; 4-byte Folded Spill
	v_cmpx_ne_u16_e32 0, v0
	s_cbranch_execz .LBB355_202
; %bb.195:                              ;   in Loop: Header=BB355_15 Depth=1
	v_cmp_ne_u16_e64 s5, 0x80, v0
	v_bfrev_b32_e32 v0, 1
	s_and_saveexec_b32 s21, s5
	s_cbranch_execz .LBB355_201
; %bb.196:                              ;   in Loop: Header=BB355_15 Depth=1
	v_bfe_u32 v1, v28, 16, 7
	v_mov_b32_e32 v0, 0x7f800001
	s_mov_b32 s22, exec_lo
	v_cmpx_ne_u32_e32 0x7f, v1
	s_cbranch_execz .LBB355_200
; %bb.197:                              ;   in Loop: Header=BB355_15 Depth=1
	v_mov_b32_e32 v0, 7
	s_mov_b32 s23, exec_lo
	v_and_b32_sdwa v13, v28, v0 dst_sel:DWORD dst_unused:UNUSED_PAD src0_sel:WORD_1 src1_sel:DWORD
	v_mov_b32_e32 v30, v14
	v_lshrrev_b32_e32 v0, 3, v1
	v_mov_b32_e32 v29, v13
	v_cmpx_gt_u32_e32 8, v1
; %bb.198:                              ;   in Loop: Header=BB355_15 Depth=1
	v_ffbh_u32_e32 v0, v13
	v_min_u32_e32 v0, 32, v0
	v_subrev_nc_u32_e32 v1, 28, v0
	v_sub_nc_u32_e32 v0, 29, v0
	v_lshlrev_b64 v[1:2], v1, v[13:14]
	v_and_b32_e32 v29, 7, v1
; %bb.199:                              ;   in Loop: Header=BB355_15 Depth=1
	s_or_b32 exec_lo, exec_lo, s23
	v_mov_b32_e32 v1, 24
	v_lshlrev_b32_e32 v2, 20, v29
	v_lshl_add_u32 v0, v0, 23, 0x3c000000
	v_lshlrev_b32_sdwa v1, v1, v28 dst_sel:DWORD dst_unused:UNUSED_PAD src0_sel:DWORD src1_sel:WORD_1
	v_and_b32_e32 v1, 0x80000000, v1
	v_or3_b32 v0, v2, v1, v0
.LBB355_200:                            ;   in Loop: Header=BB355_15 Depth=1
	s_or_b32 exec_lo, exec_lo, s22
.LBB355_201:                            ;   in Loop: Header=BB355_15 Depth=1
	s_or_b32 exec_lo, exec_lo, s21
	buffer_store_dword v0, off, s[0:3], s32 offset:472 ; 4-byte Folded Spill
.LBB355_202:                            ;   in Loop: Header=BB355_15 Depth=1
	s_or_b32 exec_lo, exec_lo, s20
	s_mov_b32 s20, exec_lo
	v_cmpx_lt_u64_e64 s[12:13], v[27:28]
	s_cbranch_execz .LBB355_210
; %bb.203:                              ;   in Loop: Header=BB355_15 Depth=1
	v_cmp_ne_u32_sdwa s5, v28, v7 src0_sel:BYTE_3 src1_sel:DWORD
	v_bfrev_b32_e32 v0, 1
	buffer_store_dword v0, off, s[0:3], s32 offset:276 ; 4-byte Folded Spill
	s_and_saveexec_b32 s21, s5
	s_cbranch_execz .LBB355_209
; %bb.204:                              ;   in Loop: Header=BB355_15 Depth=1
	v_bfe_u32 v1, v28, 24, 7
	v_mov_b32_e32 v0, 0x7f800001
	s_mov_b32 s22, exec_lo
	buffer_store_dword v0, off, s[0:3], s32 offset:276 ; 4-byte Folded Spill
	v_cmpx_ne_u32_e32 0x7f, v1
	s_cbranch_execz .LBB355_208
; %bb.205:                              ;   in Loop: Header=BB355_15 Depth=1
	v_mov_b32_e32 v0, 7
	s_mov_b32 s23, exec_lo
	v_and_b32_sdwa v13, v28, v0 dst_sel:DWORD dst_unused:UNUSED_PAD src0_sel:BYTE_3 src1_sel:DWORD
	v_mov_b32_e32 v30, v14
	v_lshrrev_b32_e32 v0, 3, v1
	v_mov_b32_e32 v29, v13
	v_cmpx_gt_u32_e32 8, v1
; %bb.206:                              ;   in Loop: Header=BB355_15 Depth=1
	v_ffbh_u32_e32 v0, v13
	v_min_u32_e32 v0, 32, v0
	v_subrev_nc_u32_e32 v1, 28, v0
	v_sub_nc_u32_e32 v0, 29, v0
	v_lshlrev_b64 v[1:2], v1, v[13:14]
	v_and_b32_e32 v29, 7, v1
; %bb.207:                              ;   in Loop: Header=BB355_15 Depth=1
	s_or_b32 exec_lo, exec_lo, s23
	v_mov_b32_e32 v1, 24
	v_lshlrev_b32_e32 v2, 20, v29
	v_lshl_add_u32 v0, v0, 23, 0x3c000000
	v_lshlrev_b32_sdwa v1, v1, v28 dst_sel:DWORD dst_unused:UNUSED_PAD src0_sel:DWORD src1_sel:BYTE_3
	v_and_b32_e32 v1, 0x80000000, v1
	v_or3_b32 v0, v2, v1, v0
	buffer_store_dword v0, off, s[0:3], s32 offset:276 ; 4-byte Folded Spill
.LBB355_208:                            ;   in Loop: Header=BB355_15 Depth=1
	s_or_b32 exec_lo, exec_lo, s22
.LBB355_209:                            ;   in Loop: Header=BB355_15 Depth=1
	s_or_b32 exec_lo, exec_lo, s21
.LBB355_210:                            ;   in Loop: Header=BB355_15 Depth=1
	s_or_b32 exec_lo, exec_lo, s20
	flat_load_dwordx2 v[27:28], v[24:25] offset:520
	v_mov_b32_e32 v0, 0
	buffer_store_dword v0, off, s[0:3], s32 offset:284 ; 4-byte Folded Spill
	v_mov_b32_e32 v0, 0
	buffer_store_dword v0, off, s[0:3], s32 offset:280 ; 4-byte Folded Spill
	s_waitcnt vmcnt(0) lgkmcnt(0)
	v_cmp_ne_u16_sdwa s5, v27, v14 src0_sel:BYTE_0 src1_sel:DWORD
	s_and_saveexec_b32 s20, s5
	s_cbranch_execz .LBB355_218
; %bb.211:                              ;   in Loop: Header=BB355_15 Depth=1
	v_cmp_ne_u16_sdwa s5, v27, v7 src0_sel:BYTE_0 src1_sel:DWORD
	v_bfrev_b32_e32 v0, 1
	buffer_store_dword v0, off, s[0:3], s32 offset:280 ; 4-byte Folded Spill
	s_and_saveexec_b32 s21, s5
	s_cbranch_execz .LBB355_217
; %bb.212:                              ;   in Loop: Header=BB355_15 Depth=1
	v_and_b32_e32 v1, 0x7f, v27
	v_mov_b32_e32 v0, 0x7f800001
	s_mov_b32 s22, exec_lo
	buffer_store_dword v0, off, s[0:3], s32 offset:280 ; 4-byte Folded Spill
	v_cmpx_ne_u32_e32 0x7f, v1
	s_cbranch_execz .LBB355_216
; %bb.213:                              ;   in Loop: Header=BB355_15 Depth=1
	v_mov_b32_e32 v30, v28
	v_lshrrev_b32_e32 v0, 3, v1
	v_mov_b32_e32 v29, v27
	s_mov_b32 s23, exec_lo
	v_cmpx_gt_u32_e32 8, v1
; %bb.214:                              ;   in Loop: Header=BB355_15 Depth=1
	v_and_b32_e32 v0, 7, v27
	v_ffbh_u32_e32 v0, v0
	v_min_u32_e32 v0, 32, v0
	v_subrev_nc_u32_e32 v1, 28, v0
	v_sub_nc_u32_e32 v0, 29, v0
	v_lshlrev_b64 v[29:30], v1, v[27:28]
; %bb.215:                              ;   in Loop: Header=BB355_15 Depth=1
	s_or_b32 exec_lo, exec_lo, s23
	v_lshlrev_b32_e32 v1, 20, v29
	v_lshlrev_b32_e32 v2, 24, v27
	v_lshl_add_u32 v0, v0, 23, 0x3c000000
	v_and_b32_e32 v1, 0x700000, v1
	v_and_b32_e32 v2, 0x80000000, v2
	v_or3_b32 v0, v1, v2, v0
	buffer_store_dword v0, off, s[0:3], s32 offset:280 ; 4-byte Folded Spill
.LBB355_216:                            ;   in Loop: Header=BB355_15 Depth=1
	s_or_b32 exec_lo, exec_lo, s22
.LBB355_217:                            ;   in Loop: Header=BB355_15 Depth=1
	s_or_b32 exec_lo, exec_lo, s21
.LBB355_218:                            ;   in Loop: Header=BB355_15 Depth=1
	s_or_b32 exec_lo, exec_lo, s20
	v_cmp_ne_u16_sdwa s5, v27, v14 src0_sel:BYTE_1 src1_sel:DWORD
	s_and_saveexec_b32 s20, s5
	s_cbranch_execz .LBB355_226
; %bb.219:                              ;   in Loop: Header=BB355_15 Depth=1
	v_cmp_ne_u16_sdwa s5, v27, v7 src0_sel:BYTE_1 src1_sel:DWORD
	v_bfrev_b32_e32 v0, 1
	buffer_store_dword v0, off, s[0:3], s32 offset:284 ; 4-byte Folded Spill
	s_and_saveexec_b32 s21, s5
	s_cbranch_execz .LBB355_225
; %bb.220:                              ;   in Loop: Header=BB355_15 Depth=1
	v_mov_b32_e32 v0, 0xffff
	v_mov_b32_e32 v2, 0x7f800001
	s_mov_b32 s22, exec_lo
	v_and_b32_sdwa v0, v0, v27 dst_sel:DWORD dst_unused:UNUSED_PAD src0_sel:DWORD src1_sel:BYTE_1
	buffer_store_dword v2, off, s[0:3], s32 offset:284 ; 4-byte Folded Spill
	v_and_b32_e32 v1, 0x7f, v0
	v_cmpx_ne_u32_e32 0x7f, v1
	s_cbranch_execz .LBB355_224
; %bb.221:                              ;   in Loop: Header=BB355_15 Depth=1
	v_and_b32_e32 v13, 7, v0
	v_mov_b32_e32 v30, v14
	v_lshrrev_b32_e32 v0, 3, v1
	s_mov_b32 s23, exec_lo
	v_mov_b32_e32 v29, v13
	v_cmpx_gt_u32_e32 8, v1
; %bb.222:                              ;   in Loop: Header=BB355_15 Depth=1
	v_ffbh_u32_e32 v0, v13
	v_min_u32_e32 v0, 32, v0
	v_subrev_nc_u32_e32 v1, 28, v0
	v_sub_nc_u32_e32 v0, 29, v0
	v_lshlrev_b64 v[1:2], v1, v[13:14]
	v_and_b32_e32 v29, 7, v1
; %bb.223:                              ;   in Loop: Header=BB355_15 Depth=1
	s_or_b32 exec_lo, exec_lo, s23
	v_lshlrev_b32_e32 v1, 16, v27
	v_lshlrev_b32_e32 v2, 20, v29
	v_lshl_add_u32 v0, v0, 23, 0x3c000000
	v_and_b32_e32 v1, 0x80000000, v1
	v_or3_b32 v0, v2, v1, v0
	buffer_store_dword v0, off, s[0:3], s32 offset:284 ; 4-byte Folded Spill
.LBB355_224:                            ;   in Loop: Header=BB355_15 Depth=1
	s_or_b32 exec_lo, exec_lo, s22
.LBB355_225:                            ;   in Loop: Header=BB355_15 Depth=1
	s_or_b32 exec_lo, exec_lo, s21
.LBB355_226:                            ;   in Loop: Header=BB355_15 Depth=1
	s_or_b32 exec_lo, exec_lo, s20
	v_mov_b32_e32 v0, 0xff
	v_mov_b32_e32 v1, 0
	s_mov_b32 s20, exec_lo
	v_and_b32_sdwa v0, v27, v0 dst_sel:DWORD dst_unused:UNUSED_PAD src0_sel:WORD_1 src1_sel:DWORD
	buffer_store_dword v1, off, s[0:3], s32 offset:288 ; 4-byte Folded Spill
	v_mov_b32_e32 v1, 0
	buffer_store_dword v1, off, s[0:3], s32 offset:476 ; 4-byte Folded Spill
	v_cmpx_ne_u16_e32 0, v0
	s_cbranch_execz .LBB355_234
; %bb.227:                              ;   in Loop: Header=BB355_15 Depth=1
	v_cmp_ne_u16_e64 s5, 0x80, v0
	v_bfrev_b32_e32 v0, 1
	s_and_saveexec_b32 s21, s5
	s_cbranch_execz .LBB355_233
; %bb.228:                              ;   in Loop: Header=BB355_15 Depth=1
	v_bfe_u32 v1, v27, 16, 7
	v_mov_b32_e32 v0, 0x7f800001
	s_mov_b32 s22, exec_lo
	v_cmpx_ne_u32_e32 0x7f, v1
	s_cbranch_execz .LBB355_232
; %bb.229:                              ;   in Loop: Header=BB355_15 Depth=1
	v_mov_b32_e32 v0, 7
	s_mov_b32 s23, exec_lo
	v_and_b32_sdwa v13, v27, v0 dst_sel:DWORD dst_unused:UNUSED_PAD src0_sel:WORD_1 src1_sel:DWORD
	v_mov_b32_e32 v30, v14
	v_lshrrev_b32_e32 v0, 3, v1
	v_mov_b32_e32 v29, v13
	v_cmpx_gt_u32_e32 8, v1
; %bb.230:                              ;   in Loop: Header=BB355_15 Depth=1
	v_ffbh_u32_e32 v0, v13
	v_min_u32_e32 v0, 32, v0
	v_subrev_nc_u32_e32 v1, 28, v0
	v_sub_nc_u32_e32 v0, 29, v0
	v_lshlrev_b64 v[1:2], v1, v[13:14]
	v_and_b32_e32 v29, 7, v1
; %bb.231:                              ;   in Loop: Header=BB355_15 Depth=1
	s_or_b32 exec_lo, exec_lo, s23
	v_mov_b32_e32 v1, 24
	v_lshlrev_b32_e32 v2, 20, v29
	v_lshl_add_u32 v0, v0, 23, 0x3c000000
	v_lshlrev_b32_sdwa v1, v1, v27 dst_sel:DWORD dst_unused:UNUSED_PAD src0_sel:DWORD src1_sel:WORD_1
	v_and_b32_e32 v1, 0x80000000, v1
	v_or3_b32 v0, v2, v1, v0
.LBB355_232:                            ;   in Loop: Header=BB355_15 Depth=1
	s_or_b32 exec_lo, exec_lo, s22
.LBB355_233:                            ;   in Loop: Header=BB355_15 Depth=1
	s_or_b32 exec_lo, exec_lo, s21
	buffer_store_dword v0, off, s[0:3], s32 offset:476 ; 4-byte Folded Spill
.LBB355_234:                            ;   in Loop: Header=BB355_15 Depth=1
	s_or_b32 exec_lo, exec_lo, s20
	s_mov_b32 s20, exec_lo
	v_cmpx_lt_u32_e32 0xffffff, v27
	s_cbranch_execz .LBB355_242
; %bb.235:                              ;   in Loop: Header=BB355_15 Depth=1
	v_cmp_ne_u32_sdwa s5, v27, v7 src0_sel:BYTE_3 src1_sel:DWORD
	v_bfrev_b32_e32 v0, 1
	buffer_store_dword v0, off, s[0:3], s32 offset:288 ; 4-byte Folded Spill
	s_and_saveexec_b32 s21, s5
	s_cbranch_execz .LBB355_241
; %bb.236:                              ;   in Loop: Header=BB355_15 Depth=1
	v_bfe_u32 v1, v27, 24, 7
	v_mov_b32_e32 v0, 0x7f800001
	s_mov_b32 s22, exec_lo
	buffer_store_dword v0, off, s[0:3], s32 offset:288 ; 4-byte Folded Spill
	v_cmpx_ne_u32_e32 0x7f, v1
	s_cbranch_execz .LBB355_240
; %bb.237:                              ;   in Loop: Header=BB355_15 Depth=1
	v_mov_b32_e32 v0, 7
	s_mov_b32 s23, exec_lo
	v_and_b32_sdwa v13, v27, v0 dst_sel:DWORD dst_unused:UNUSED_PAD src0_sel:BYTE_3 src1_sel:DWORD
	v_mov_b32_e32 v30, v14
	v_lshrrev_b32_e32 v0, 3, v1
	v_mov_b32_e32 v29, v13
	v_cmpx_gt_u32_e32 8, v1
; %bb.238:                              ;   in Loop: Header=BB355_15 Depth=1
	v_ffbh_u32_e32 v0, v13
	v_min_u32_e32 v0, 32, v0
	v_subrev_nc_u32_e32 v1, 28, v0
	v_sub_nc_u32_e32 v0, 29, v0
	v_lshlrev_b64 v[1:2], v1, v[13:14]
	v_and_b32_e32 v29, 7, v1
; %bb.239:                              ;   in Loop: Header=BB355_15 Depth=1
	s_or_b32 exec_lo, exec_lo, s23
	v_mov_b32_e32 v1, 24
	v_lshlrev_b32_e32 v2, 20, v29
	v_lshl_add_u32 v0, v0, 23, 0x3c000000
	v_lshlrev_b32_sdwa v1, v1, v27 dst_sel:DWORD dst_unused:UNUSED_PAD src0_sel:DWORD src1_sel:BYTE_3
	v_and_b32_e32 v1, 0x80000000, v1
	v_or3_b32 v0, v2, v1, v0
	buffer_store_dword v0, off, s[0:3], s32 offset:288 ; 4-byte Folded Spill
.LBB355_240:                            ;   in Loop: Header=BB355_15 Depth=1
	s_or_b32 exec_lo, exec_lo, s22
.LBB355_241:                            ;   in Loop: Header=BB355_15 Depth=1
	s_or_b32 exec_lo, exec_lo, s21
.LBB355_242:                            ;   in Loop: Header=BB355_15 Depth=1
	s_or_b32 exec_lo, exec_lo, s20
	v_mov_b32_e32 v0, 0
	v_mov_b32_e32 v13, v28
	v_cmp_ne_u16_sdwa s5, v28, v14 src0_sel:BYTE_0 src1_sel:DWORD
	buffer_store_dword v0, off, s[0:3], s32 offset:296 ; 4-byte Folded Spill
	v_mov_b32_e32 v0, 0
	buffer_store_dword v0, off, s[0:3], s32 offset:292 ; 4-byte Folded Spill
	s_and_saveexec_b32 s20, s5
	s_cbranch_execz .LBB355_250
; %bb.243:                              ;   in Loop: Header=BB355_15 Depth=1
	v_cmp_ne_u16_sdwa s5, v28, v7 src0_sel:BYTE_0 src1_sel:DWORD
	v_bfrev_b32_e32 v0, 1
	buffer_store_dword v0, off, s[0:3], s32 offset:292 ; 4-byte Folded Spill
	s_and_saveexec_b32 s21, s5
	s_cbranch_execz .LBB355_249
; %bb.244:                              ;   in Loop: Header=BB355_15 Depth=1
	v_and_b32_e32 v1, 0x7f, v28
	v_mov_b32_e32 v0, 0x7f800001
	s_mov_b32 s22, exec_lo
	buffer_store_dword v0, off, s[0:3], s32 offset:292 ; 4-byte Folded Spill
	v_cmpx_ne_u32_e32 0x7f, v1
	s_cbranch_execz .LBB355_248
; %bb.245:                              ;   in Loop: Header=BB355_15 Depth=1
	v_mov_b32_e32 v30, v14
	v_lshrrev_b32_e32 v0, 3, v1
	v_mov_b32_e32 v29, v13
	s_mov_b32 s23, exec_lo
	v_cmpx_gt_u32_e32 8, v1
; %bb.246:                              ;   in Loop: Header=BB355_15 Depth=1
	v_and_b32_e32 v0, 7, v28
	v_ffbh_u32_e32 v0, v0
	v_min_u32_e32 v0, 32, v0
	v_subrev_nc_u32_e32 v1, 28, v0
	v_sub_nc_u32_e32 v0, 29, v0
	v_lshlrev_b64 v[29:30], v1, v[13:14]
; %bb.247:                              ;   in Loop: Header=BB355_15 Depth=1
	s_or_b32 exec_lo, exec_lo, s23
	v_lshlrev_b32_e32 v1, 20, v29
	v_lshlrev_b32_e32 v2, 24, v13
	v_lshl_add_u32 v0, v0, 23, 0x3c000000
	v_and_b32_e32 v1, 0x700000, v1
	v_and_b32_e32 v2, 0x80000000, v2
	v_or3_b32 v0, v1, v2, v0
	buffer_store_dword v0, off, s[0:3], s32 offset:292 ; 4-byte Folded Spill
.LBB355_248:                            ;   in Loop: Header=BB355_15 Depth=1
	s_or_b32 exec_lo, exec_lo, s22
.LBB355_249:                            ;   in Loop: Header=BB355_15 Depth=1
	s_or_b32 exec_lo, exec_lo, s21
.LBB355_250:                            ;   in Loop: Header=BB355_15 Depth=1
	s_or_b32 exec_lo, exec_lo, s20
	v_cmp_ne_u16_sdwa s5, v13, v14 src0_sel:BYTE_1 src1_sel:DWORD
	s_and_saveexec_b32 s20, s5
	s_cbranch_execz .LBB355_258
; %bb.251:                              ;   in Loop: Header=BB355_15 Depth=1
	v_cmp_ne_u16_sdwa s5, v13, v7 src0_sel:BYTE_1 src1_sel:DWORD
	v_bfrev_b32_e32 v0, 1
	buffer_store_dword v0, off, s[0:3], s32 offset:296 ; 4-byte Folded Spill
	s_and_saveexec_b32 s21, s5
	s_cbranch_execz .LBB355_257
; %bb.252:                              ;   in Loop: Header=BB355_15 Depth=1
	v_mov_b32_e32 v0, 0xffff
	v_mov_b32_e32 v2, 0x7f800001
	s_mov_b32 s22, exec_lo
	v_and_b32_sdwa v0, v0, v13 dst_sel:DWORD dst_unused:UNUSED_PAD src0_sel:DWORD src1_sel:BYTE_1
	buffer_store_dword v2, off, s[0:3], s32 offset:296 ; 4-byte Folded Spill
	v_and_b32_e32 v1, 0x7f, v0
	v_cmpx_ne_u32_e32 0x7f, v1
	s_cbranch_execz .LBB355_256
; %bb.253:                              ;   in Loop: Header=BB355_15 Depth=1
	v_and_b32_e32 v29, 7, v0
	v_mov_b32_e32 v30, v14
	v_lshrrev_b32_e32 v0, 3, v1
	s_mov_b32 s23, exec_lo
	v_cmpx_gt_u32_e32 8, v1
; %bb.254:                              ;   in Loop: Header=BB355_15 Depth=1
	v_ffbh_u32_e32 v0, v29
	v_min_u32_e32 v0, 32, v0
	v_subrev_nc_u32_e32 v1, 28, v0
	v_sub_nc_u32_e32 v0, 29, v0
	v_lshlrev_b64 v[1:2], v1, v[29:30]
	v_and_b32_e32 v29, 7, v1
; %bb.255:                              ;   in Loop: Header=BB355_15 Depth=1
	s_or_b32 exec_lo, exec_lo, s23
	v_lshlrev_b32_e32 v1, 16, v13
	v_lshlrev_b32_e32 v2, 20, v29
	v_lshl_add_u32 v0, v0, 23, 0x3c000000
	v_and_b32_e32 v1, 0x80000000, v1
	v_or3_b32 v0, v2, v1, v0
	buffer_store_dword v0, off, s[0:3], s32 offset:296 ; 4-byte Folded Spill
.LBB355_256:                            ;   in Loop: Header=BB355_15 Depth=1
	s_or_b32 exec_lo, exec_lo, s22
.LBB355_257:                            ;   in Loop: Header=BB355_15 Depth=1
	s_or_b32 exec_lo, exec_lo, s21
.LBB355_258:                            ;   in Loop: Header=BB355_15 Depth=1
	s_or_b32 exec_lo, exec_lo, s20
	v_mov_b32_e32 v0, 0xff
	v_mov_b32_e32 v1, 0
	s_mov_b32 s20, exec_lo
	v_and_b32_sdwa v0, v28, v0 dst_sel:DWORD dst_unused:UNUSED_PAD src0_sel:WORD_1 src1_sel:DWORD
	buffer_store_dword v1, off, s[0:3], s32 offset:300 ; 4-byte Folded Spill
	v_mov_b32_e32 v1, 0
	buffer_store_dword v1, off, s[0:3], s32 offset:480 ; 4-byte Folded Spill
	v_cmpx_ne_u16_e32 0, v0
	s_cbranch_execz .LBB355_266
; %bb.259:                              ;   in Loop: Header=BB355_15 Depth=1
	v_cmp_ne_u16_e64 s5, 0x80, v0
	v_bfrev_b32_e32 v0, 1
	s_and_saveexec_b32 s21, s5
	s_cbranch_execz .LBB355_265
; %bb.260:                              ;   in Loop: Header=BB355_15 Depth=1
	v_bfe_u32 v1, v28, 16, 7
	v_mov_b32_e32 v0, 0x7f800001
	s_mov_b32 s22, exec_lo
	v_cmpx_ne_u32_e32 0x7f, v1
	s_cbranch_execz .LBB355_264
; %bb.261:                              ;   in Loop: Header=BB355_15 Depth=1
	v_mov_b32_e32 v0, 7
	s_mov_b32 s23, exec_lo
	v_and_b32_sdwa v13, v28, v0 dst_sel:DWORD dst_unused:UNUSED_PAD src0_sel:WORD_1 src1_sel:DWORD
	v_mov_b32_e32 v30, v14
	v_lshrrev_b32_e32 v0, 3, v1
	v_mov_b32_e32 v29, v13
	v_cmpx_gt_u32_e32 8, v1
; %bb.262:                              ;   in Loop: Header=BB355_15 Depth=1
	v_ffbh_u32_e32 v0, v13
	v_min_u32_e32 v0, 32, v0
	v_subrev_nc_u32_e32 v1, 28, v0
	v_sub_nc_u32_e32 v0, 29, v0
	v_lshlrev_b64 v[1:2], v1, v[13:14]
	v_and_b32_e32 v29, 7, v1
; %bb.263:                              ;   in Loop: Header=BB355_15 Depth=1
	s_or_b32 exec_lo, exec_lo, s23
	v_mov_b32_e32 v1, 24
	v_lshlrev_b32_e32 v2, 20, v29
	v_lshl_add_u32 v0, v0, 23, 0x3c000000
	v_lshlrev_b32_sdwa v1, v1, v28 dst_sel:DWORD dst_unused:UNUSED_PAD src0_sel:DWORD src1_sel:WORD_1
	v_and_b32_e32 v1, 0x80000000, v1
	v_or3_b32 v0, v2, v1, v0
.LBB355_264:                            ;   in Loop: Header=BB355_15 Depth=1
	s_or_b32 exec_lo, exec_lo, s22
.LBB355_265:                            ;   in Loop: Header=BB355_15 Depth=1
	s_or_b32 exec_lo, exec_lo, s21
	buffer_store_dword v0, off, s[0:3], s32 offset:480 ; 4-byte Folded Spill
.LBB355_266:                            ;   in Loop: Header=BB355_15 Depth=1
	s_or_b32 exec_lo, exec_lo, s20
	s_mov_b32 s20, exec_lo
	v_cmpx_lt_u64_e64 s[12:13], v[27:28]
	s_cbranch_execz .LBB355_274
; %bb.267:                              ;   in Loop: Header=BB355_15 Depth=1
	v_cmp_ne_u32_sdwa s5, v28, v7 src0_sel:BYTE_3 src1_sel:DWORD
	v_bfrev_b32_e32 v0, 1
	buffer_store_dword v0, off, s[0:3], s32 offset:300 ; 4-byte Folded Spill
	s_and_saveexec_b32 s21, s5
	s_cbranch_execz .LBB355_273
; %bb.268:                              ;   in Loop: Header=BB355_15 Depth=1
	v_bfe_u32 v1, v28, 24, 7
	v_mov_b32_e32 v0, 0x7f800001
	s_mov_b32 s22, exec_lo
	buffer_store_dword v0, off, s[0:3], s32 offset:300 ; 4-byte Folded Spill
	v_cmpx_ne_u32_e32 0x7f, v1
	s_cbranch_execz .LBB355_272
; %bb.269:                              ;   in Loop: Header=BB355_15 Depth=1
	v_mov_b32_e32 v0, 7
	s_mov_b32 s23, exec_lo
	v_and_b32_sdwa v13, v28, v0 dst_sel:DWORD dst_unused:UNUSED_PAD src0_sel:BYTE_3 src1_sel:DWORD
	v_mov_b32_e32 v30, v14
	v_lshrrev_b32_e32 v0, 3, v1
	v_mov_b32_e32 v29, v13
	v_cmpx_gt_u32_e32 8, v1
; %bb.270:                              ;   in Loop: Header=BB355_15 Depth=1
	v_ffbh_u32_e32 v0, v13
	v_min_u32_e32 v0, 32, v0
	v_subrev_nc_u32_e32 v1, 28, v0
	v_sub_nc_u32_e32 v0, 29, v0
	v_lshlrev_b64 v[1:2], v1, v[13:14]
	v_and_b32_e32 v29, 7, v1
; %bb.271:                              ;   in Loop: Header=BB355_15 Depth=1
	s_or_b32 exec_lo, exec_lo, s23
	v_mov_b32_e32 v1, 24
	v_lshlrev_b32_e32 v2, 20, v29
	v_lshl_add_u32 v0, v0, 23, 0x3c000000
	v_lshlrev_b32_sdwa v1, v1, v28 dst_sel:DWORD dst_unused:UNUSED_PAD src0_sel:DWORD src1_sel:BYTE_3
	v_and_b32_e32 v1, 0x80000000, v1
	v_or3_b32 v0, v2, v1, v0
	buffer_store_dword v0, off, s[0:3], s32 offset:300 ; 4-byte Folded Spill
.LBB355_272:                            ;   in Loop: Header=BB355_15 Depth=1
	s_or_b32 exec_lo, exec_lo, s22
.LBB355_273:                            ;   in Loop: Header=BB355_15 Depth=1
	s_or_b32 exec_lo, exec_lo, s21
.LBB355_274:                            ;   in Loop: Header=BB355_15 Depth=1
	s_or_b32 exec_lo, exec_lo, s20
	flat_load_dwordx2 v[27:28], v[24:25] offset:1024
	v_mov_b32_e32 v0, 0
	buffer_store_dword v0, off, s[0:3], s32 offset:308 ; 4-byte Folded Spill
	v_mov_b32_e32 v0, 0
	buffer_store_dword v0, off, s[0:3], s32 offset:304 ; 4-byte Folded Spill
	s_waitcnt vmcnt(0) lgkmcnt(0)
	v_cmp_ne_u16_sdwa s5, v27, v14 src0_sel:BYTE_0 src1_sel:DWORD
	s_and_saveexec_b32 s20, s5
	s_cbranch_execz .LBB355_282
; %bb.275:                              ;   in Loop: Header=BB355_15 Depth=1
	v_cmp_ne_u16_sdwa s5, v27, v7 src0_sel:BYTE_0 src1_sel:DWORD
	v_bfrev_b32_e32 v0, 1
	buffer_store_dword v0, off, s[0:3], s32 offset:304 ; 4-byte Folded Spill
	s_and_saveexec_b32 s21, s5
	s_cbranch_execz .LBB355_281
; %bb.276:                              ;   in Loop: Header=BB355_15 Depth=1
	v_and_b32_e32 v1, 0x7f, v27
	v_mov_b32_e32 v0, 0x7f800001
	s_mov_b32 s22, exec_lo
	buffer_store_dword v0, off, s[0:3], s32 offset:304 ; 4-byte Folded Spill
	v_cmpx_ne_u32_e32 0x7f, v1
	s_cbranch_execz .LBB355_280
; %bb.277:                              ;   in Loop: Header=BB355_15 Depth=1
	v_mov_b32_e32 v30, v28
	v_lshrrev_b32_e32 v0, 3, v1
	v_mov_b32_e32 v29, v27
	s_mov_b32 s23, exec_lo
	v_cmpx_gt_u32_e32 8, v1
; %bb.278:                              ;   in Loop: Header=BB355_15 Depth=1
	v_and_b32_e32 v0, 7, v27
	v_ffbh_u32_e32 v0, v0
	v_min_u32_e32 v0, 32, v0
	v_subrev_nc_u32_e32 v1, 28, v0
	v_sub_nc_u32_e32 v0, 29, v0
	v_lshlrev_b64 v[29:30], v1, v[27:28]
; %bb.279:                              ;   in Loop: Header=BB355_15 Depth=1
	s_or_b32 exec_lo, exec_lo, s23
	v_lshlrev_b32_e32 v1, 20, v29
	v_lshlrev_b32_e32 v2, 24, v27
	v_lshl_add_u32 v0, v0, 23, 0x3c000000
	v_and_b32_e32 v1, 0x700000, v1
	v_and_b32_e32 v2, 0x80000000, v2
	v_or3_b32 v0, v1, v2, v0
	buffer_store_dword v0, off, s[0:3], s32 offset:304 ; 4-byte Folded Spill
.LBB355_280:                            ;   in Loop: Header=BB355_15 Depth=1
	s_or_b32 exec_lo, exec_lo, s22
.LBB355_281:                            ;   in Loop: Header=BB355_15 Depth=1
	s_or_b32 exec_lo, exec_lo, s21
.LBB355_282:                            ;   in Loop: Header=BB355_15 Depth=1
	s_or_b32 exec_lo, exec_lo, s20
	v_cmp_ne_u16_sdwa s5, v27, v14 src0_sel:BYTE_1 src1_sel:DWORD
	s_and_saveexec_b32 s20, s5
	s_cbranch_execz .LBB355_290
; %bb.283:                              ;   in Loop: Header=BB355_15 Depth=1
	v_cmp_ne_u16_sdwa s5, v27, v7 src0_sel:BYTE_1 src1_sel:DWORD
	v_bfrev_b32_e32 v0, 1
	buffer_store_dword v0, off, s[0:3], s32 offset:308 ; 4-byte Folded Spill
	s_and_saveexec_b32 s21, s5
	s_cbranch_execz .LBB355_289
; %bb.284:                              ;   in Loop: Header=BB355_15 Depth=1
	v_mov_b32_e32 v0, 0xffff
	v_mov_b32_e32 v2, 0x7f800001
	s_mov_b32 s22, exec_lo
	v_and_b32_sdwa v0, v0, v27 dst_sel:DWORD dst_unused:UNUSED_PAD src0_sel:DWORD src1_sel:BYTE_1
	buffer_store_dword v2, off, s[0:3], s32 offset:308 ; 4-byte Folded Spill
	v_and_b32_e32 v1, 0x7f, v0
	v_cmpx_ne_u32_e32 0x7f, v1
	s_cbranch_execz .LBB355_288
; %bb.285:                              ;   in Loop: Header=BB355_15 Depth=1
	v_and_b32_e32 v13, 7, v0
	v_mov_b32_e32 v30, v14
	v_lshrrev_b32_e32 v0, 3, v1
	s_mov_b32 s23, exec_lo
	v_mov_b32_e32 v29, v13
	v_cmpx_gt_u32_e32 8, v1
; %bb.286:                              ;   in Loop: Header=BB355_15 Depth=1
	v_ffbh_u32_e32 v0, v13
	v_min_u32_e32 v0, 32, v0
	v_subrev_nc_u32_e32 v1, 28, v0
	v_sub_nc_u32_e32 v0, 29, v0
	v_lshlrev_b64 v[1:2], v1, v[13:14]
	v_and_b32_e32 v29, 7, v1
; %bb.287:                              ;   in Loop: Header=BB355_15 Depth=1
	s_or_b32 exec_lo, exec_lo, s23
	v_lshlrev_b32_e32 v1, 16, v27
	v_lshlrev_b32_e32 v2, 20, v29
	v_lshl_add_u32 v0, v0, 23, 0x3c000000
	v_and_b32_e32 v1, 0x80000000, v1
	v_or3_b32 v0, v2, v1, v0
	buffer_store_dword v0, off, s[0:3], s32 offset:308 ; 4-byte Folded Spill
.LBB355_288:                            ;   in Loop: Header=BB355_15 Depth=1
	s_or_b32 exec_lo, exec_lo, s22
.LBB355_289:                            ;   in Loop: Header=BB355_15 Depth=1
	s_or_b32 exec_lo, exec_lo, s21
.LBB355_290:                            ;   in Loop: Header=BB355_15 Depth=1
	s_or_b32 exec_lo, exec_lo, s20
	v_mov_b32_e32 v0, 0xff
	v_mov_b32_e32 v1, 0
	s_mov_b32 s20, exec_lo
	v_and_b32_sdwa v0, v27, v0 dst_sel:DWORD dst_unused:UNUSED_PAD src0_sel:WORD_1 src1_sel:DWORD
	buffer_store_dword v1, off, s[0:3], s32 offset:312 ; 4-byte Folded Spill
	v_mov_b32_e32 v1, 0
	buffer_store_dword v1, off, s[0:3], s32 offset:484 ; 4-byte Folded Spill
	v_cmpx_ne_u16_e32 0, v0
	s_cbranch_execz .LBB355_298
; %bb.291:                              ;   in Loop: Header=BB355_15 Depth=1
	v_cmp_ne_u16_e64 s5, 0x80, v0
	v_bfrev_b32_e32 v0, 1
	s_and_saveexec_b32 s21, s5
	s_cbranch_execz .LBB355_297
; %bb.292:                              ;   in Loop: Header=BB355_15 Depth=1
	v_bfe_u32 v1, v27, 16, 7
	v_mov_b32_e32 v0, 0x7f800001
	s_mov_b32 s22, exec_lo
	v_cmpx_ne_u32_e32 0x7f, v1
	s_cbranch_execz .LBB355_296
; %bb.293:                              ;   in Loop: Header=BB355_15 Depth=1
	v_mov_b32_e32 v0, 7
	s_mov_b32 s23, exec_lo
	v_and_b32_sdwa v13, v27, v0 dst_sel:DWORD dst_unused:UNUSED_PAD src0_sel:WORD_1 src1_sel:DWORD
	v_mov_b32_e32 v30, v14
	v_lshrrev_b32_e32 v0, 3, v1
	v_mov_b32_e32 v29, v13
	v_cmpx_gt_u32_e32 8, v1
; %bb.294:                              ;   in Loop: Header=BB355_15 Depth=1
	v_ffbh_u32_e32 v0, v13
	v_min_u32_e32 v0, 32, v0
	v_subrev_nc_u32_e32 v1, 28, v0
	v_sub_nc_u32_e32 v0, 29, v0
	v_lshlrev_b64 v[1:2], v1, v[13:14]
	v_and_b32_e32 v29, 7, v1
; %bb.295:                              ;   in Loop: Header=BB355_15 Depth=1
	s_or_b32 exec_lo, exec_lo, s23
	v_mov_b32_e32 v1, 24
	v_lshlrev_b32_e32 v2, 20, v29
	v_lshl_add_u32 v0, v0, 23, 0x3c000000
	v_lshlrev_b32_sdwa v1, v1, v27 dst_sel:DWORD dst_unused:UNUSED_PAD src0_sel:DWORD src1_sel:WORD_1
	v_and_b32_e32 v1, 0x80000000, v1
	v_or3_b32 v0, v2, v1, v0
.LBB355_296:                            ;   in Loop: Header=BB355_15 Depth=1
	s_or_b32 exec_lo, exec_lo, s22
.LBB355_297:                            ;   in Loop: Header=BB355_15 Depth=1
	s_or_b32 exec_lo, exec_lo, s21
	buffer_store_dword v0, off, s[0:3], s32 offset:484 ; 4-byte Folded Spill
.LBB355_298:                            ;   in Loop: Header=BB355_15 Depth=1
	s_or_b32 exec_lo, exec_lo, s20
	s_mov_b32 s20, exec_lo
	v_cmpx_lt_u32_e32 0xffffff, v27
	s_cbranch_execz .LBB355_306
; %bb.299:                              ;   in Loop: Header=BB355_15 Depth=1
	v_cmp_ne_u32_sdwa s5, v27, v7 src0_sel:BYTE_3 src1_sel:DWORD
	v_bfrev_b32_e32 v0, 1
	buffer_store_dword v0, off, s[0:3], s32 offset:312 ; 4-byte Folded Spill
	s_and_saveexec_b32 s21, s5
	s_cbranch_execz .LBB355_305
; %bb.300:                              ;   in Loop: Header=BB355_15 Depth=1
	v_bfe_u32 v1, v27, 24, 7
	v_mov_b32_e32 v0, 0x7f800001
	s_mov_b32 s22, exec_lo
	buffer_store_dword v0, off, s[0:3], s32 offset:312 ; 4-byte Folded Spill
	v_cmpx_ne_u32_e32 0x7f, v1
	s_cbranch_execz .LBB355_304
; %bb.301:                              ;   in Loop: Header=BB355_15 Depth=1
	v_mov_b32_e32 v0, 7
	s_mov_b32 s23, exec_lo
	v_and_b32_sdwa v13, v27, v0 dst_sel:DWORD dst_unused:UNUSED_PAD src0_sel:BYTE_3 src1_sel:DWORD
	v_mov_b32_e32 v30, v14
	v_lshrrev_b32_e32 v0, 3, v1
	v_mov_b32_e32 v29, v13
	v_cmpx_gt_u32_e32 8, v1
; %bb.302:                              ;   in Loop: Header=BB355_15 Depth=1
	v_ffbh_u32_e32 v0, v13
	v_min_u32_e32 v0, 32, v0
	v_subrev_nc_u32_e32 v1, 28, v0
	v_sub_nc_u32_e32 v0, 29, v0
	v_lshlrev_b64 v[1:2], v1, v[13:14]
	v_and_b32_e32 v29, 7, v1
; %bb.303:                              ;   in Loop: Header=BB355_15 Depth=1
	s_or_b32 exec_lo, exec_lo, s23
	v_mov_b32_e32 v1, 24
	v_lshlrev_b32_e32 v2, 20, v29
	v_lshl_add_u32 v0, v0, 23, 0x3c000000
	v_lshlrev_b32_sdwa v1, v1, v27 dst_sel:DWORD dst_unused:UNUSED_PAD src0_sel:DWORD src1_sel:BYTE_3
	v_and_b32_e32 v1, 0x80000000, v1
	v_or3_b32 v0, v2, v1, v0
	buffer_store_dword v0, off, s[0:3], s32 offset:312 ; 4-byte Folded Spill
.LBB355_304:                            ;   in Loop: Header=BB355_15 Depth=1
	s_or_b32 exec_lo, exec_lo, s22
.LBB355_305:                            ;   in Loop: Header=BB355_15 Depth=1
	s_or_b32 exec_lo, exec_lo, s21
.LBB355_306:                            ;   in Loop: Header=BB355_15 Depth=1
	s_or_b32 exec_lo, exec_lo, s20
	v_mov_b32_e32 v0, 0
	v_mov_b32_e32 v13, v28
	v_cmp_ne_u16_sdwa s5, v28, v14 src0_sel:BYTE_0 src1_sel:DWORD
	buffer_store_dword v0, off, s[0:3], s32 offset:320 ; 4-byte Folded Spill
	v_mov_b32_e32 v0, 0
	buffer_store_dword v0, off, s[0:3], s32 offset:316 ; 4-byte Folded Spill
	s_and_saveexec_b32 s20, s5
	s_cbranch_execz .LBB355_314
; %bb.307:                              ;   in Loop: Header=BB355_15 Depth=1
	v_cmp_ne_u16_sdwa s5, v28, v7 src0_sel:BYTE_0 src1_sel:DWORD
	v_bfrev_b32_e32 v0, 1
	buffer_store_dword v0, off, s[0:3], s32 offset:316 ; 4-byte Folded Spill
	s_and_saveexec_b32 s21, s5
	s_cbranch_execz .LBB355_313
; %bb.308:                              ;   in Loop: Header=BB355_15 Depth=1
	v_and_b32_e32 v1, 0x7f, v28
	v_mov_b32_e32 v0, 0x7f800001
	s_mov_b32 s22, exec_lo
	buffer_store_dword v0, off, s[0:3], s32 offset:316 ; 4-byte Folded Spill
	v_cmpx_ne_u32_e32 0x7f, v1
	s_cbranch_execz .LBB355_312
; %bb.309:                              ;   in Loop: Header=BB355_15 Depth=1
	v_mov_b32_e32 v30, v14
	v_lshrrev_b32_e32 v0, 3, v1
	v_mov_b32_e32 v29, v13
	s_mov_b32 s23, exec_lo
	v_cmpx_gt_u32_e32 8, v1
; %bb.310:                              ;   in Loop: Header=BB355_15 Depth=1
	v_and_b32_e32 v0, 7, v28
	v_ffbh_u32_e32 v0, v0
	v_min_u32_e32 v0, 32, v0
	v_subrev_nc_u32_e32 v1, 28, v0
	v_sub_nc_u32_e32 v0, 29, v0
	v_lshlrev_b64 v[29:30], v1, v[13:14]
; %bb.311:                              ;   in Loop: Header=BB355_15 Depth=1
	s_or_b32 exec_lo, exec_lo, s23
	v_lshlrev_b32_e32 v1, 20, v29
	v_lshlrev_b32_e32 v2, 24, v13
	v_lshl_add_u32 v0, v0, 23, 0x3c000000
	v_and_b32_e32 v1, 0x700000, v1
	v_and_b32_e32 v2, 0x80000000, v2
	v_or3_b32 v0, v1, v2, v0
	buffer_store_dword v0, off, s[0:3], s32 offset:316 ; 4-byte Folded Spill
.LBB355_312:                            ;   in Loop: Header=BB355_15 Depth=1
	s_or_b32 exec_lo, exec_lo, s22
.LBB355_313:                            ;   in Loop: Header=BB355_15 Depth=1
	s_or_b32 exec_lo, exec_lo, s21
.LBB355_314:                            ;   in Loop: Header=BB355_15 Depth=1
	s_or_b32 exec_lo, exec_lo, s20
	v_cmp_ne_u16_sdwa s5, v13, v14 src0_sel:BYTE_1 src1_sel:DWORD
	s_and_saveexec_b32 s20, s5
	s_cbranch_execz .LBB355_322
; %bb.315:                              ;   in Loop: Header=BB355_15 Depth=1
	v_cmp_ne_u16_sdwa s5, v13, v7 src0_sel:BYTE_1 src1_sel:DWORD
	v_bfrev_b32_e32 v0, 1
	buffer_store_dword v0, off, s[0:3], s32 offset:320 ; 4-byte Folded Spill
	s_and_saveexec_b32 s21, s5
	s_cbranch_execz .LBB355_321
; %bb.316:                              ;   in Loop: Header=BB355_15 Depth=1
	v_mov_b32_e32 v0, 0xffff
	v_mov_b32_e32 v2, 0x7f800001
	s_mov_b32 s22, exec_lo
	v_and_b32_sdwa v0, v0, v13 dst_sel:DWORD dst_unused:UNUSED_PAD src0_sel:DWORD src1_sel:BYTE_1
	buffer_store_dword v2, off, s[0:3], s32 offset:320 ; 4-byte Folded Spill
	v_and_b32_e32 v1, 0x7f, v0
	v_cmpx_ne_u32_e32 0x7f, v1
	s_cbranch_execz .LBB355_320
; %bb.317:                              ;   in Loop: Header=BB355_15 Depth=1
	v_and_b32_e32 v29, 7, v0
	v_mov_b32_e32 v30, v14
	v_lshrrev_b32_e32 v0, 3, v1
	s_mov_b32 s23, exec_lo
	v_cmpx_gt_u32_e32 8, v1
; %bb.318:                              ;   in Loop: Header=BB355_15 Depth=1
	v_ffbh_u32_e32 v0, v29
	v_min_u32_e32 v0, 32, v0
	v_subrev_nc_u32_e32 v1, 28, v0
	v_sub_nc_u32_e32 v0, 29, v0
	v_lshlrev_b64 v[1:2], v1, v[29:30]
	v_and_b32_e32 v29, 7, v1
; %bb.319:                              ;   in Loop: Header=BB355_15 Depth=1
	s_or_b32 exec_lo, exec_lo, s23
	v_lshlrev_b32_e32 v1, 16, v13
	v_lshlrev_b32_e32 v2, 20, v29
	v_lshl_add_u32 v0, v0, 23, 0x3c000000
	v_and_b32_e32 v1, 0x80000000, v1
	v_or3_b32 v0, v2, v1, v0
	buffer_store_dword v0, off, s[0:3], s32 offset:320 ; 4-byte Folded Spill
.LBB355_320:                            ;   in Loop: Header=BB355_15 Depth=1
	s_or_b32 exec_lo, exec_lo, s22
.LBB355_321:                            ;   in Loop: Header=BB355_15 Depth=1
	s_or_b32 exec_lo, exec_lo, s21
.LBB355_322:                            ;   in Loop: Header=BB355_15 Depth=1
	s_or_b32 exec_lo, exec_lo, s20
	v_mov_b32_e32 v0, 0xff
	v_mov_b32_e32 v1, 0
	s_mov_b32 s20, exec_lo
	v_and_b32_sdwa v0, v28, v0 dst_sel:DWORD dst_unused:UNUSED_PAD src0_sel:WORD_1 src1_sel:DWORD
	buffer_store_dword v1, off, s[0:3], s32 offset:324 ; 4-byte Folded Spill
	v_mov_b32_e32 v1, 0
	buffer_store_dword v1, off, s[0:3], s32 offset:488 ; 4-byte Folded Spill
	v_cmpx_ne_u16_e32 0, v0
	s_cbranch_execz .LBB355_330
; %bb.323:                              ;   in Loop: Header=BB355_15 Depth=1
	v_cmp_ne_u16_e64 s5, 0x80, v0
	v_bfrev_b32_e32 v0, 1
	s_and_saveexec_b32 s21, s5
	s_cbranch_execz .LBB355_329
; %bb.324:                              ;   in Loop: Header=BB355_15 Depth=1
	v_bfe_u32 v1, v28, 16, 7
	v_mov_b32_e32 v0, 0x7f800001
	s_mov_b32 s22, exec_lo
	v_cmpx_ne_u32_e32 0x7f, v1
	s_cbranch_execz .LBB355_328
; %bb.325:                              ;   in Loop: Header=BB355_15 Depth=1
	v_mov_b32_e32 v0, 7
	s_mov_b32 s23, exec_lo
	v_and_b32_sdwa v13, v28, v0 dst_sel:DWORD dst_unused:UNUSED_PAD src0_sel:WORD_1 src1_sel:DWORD
	v_mov_b32_e32 v30, v14
	v_lshrrev_b32_e32 v0, 3, v1
	v_mov_b32_e32 v29, v13
	v_cmpx_gt_u32_e32 8, v1
; %bb.326:                              ;   in Loop: Header=BB355_15 Depth=1
	v_ffbh_u32_e32 v0, v13
	v_min_u32_e32 v0, 32, v0
	v_subrev_nc_u32_e32 v1, 28, v0
	v_sub_nc_u32_e32 v0, 29, v0
	v_lshlrev_b64 v[1:2], v1, v[13:14]
	v_and_b32_e32 v29, 7, v1
; %bb.327:                              ;   in Loop: Header=BB355_15 Depth=1
	s_or_b32 exec_lo, exec_lo, s23
	v_mov_b32_e32 v1, 24
	v_lshlrev_b32_e32 v2, 20, v29
	v_lshl_add_u32 v0, v0, 23, 0x3c000000
	v_lshlrev_b32_sdwa v1, v1, v28 dst_sel:DWORD dst_unused:UNUSED_PAD src0_sel:DWORD src1_sel:WORD_1
	v_and_b32_e32 v1, 0x80000000, v1
	v_or3_b32 v0, v2, v1, v0
.LBB355_328:                            ;   in Loop: Header=BB355_15 Depth=1
	s_or_b32 exec_lo, exec_lo, s22
.LBB355_329:                            ;   in Loop: Header=BB355_15 Depth=1
	s_or_b32 exec_lo, exec_lo, s21
	buffer_store_dword v0, off, s[0:3], s32 offset:488 ; 4-byte Folded Spill
.LBB355_330:                            ;   in Loop: Header=BB355_15 Depth=1
	s_or_b32 exec_lo, exec_lo, s20
	s_mov_b32 s20, exec_lo
	v_cmpx_lt_u64_e64 s[12:13], v[27:28]
	s_cbranch_execz .LBB355_338
; %bb.331:                              ;   in Loop: Header=BB355_15 Depth=1
	v_cmp_ne_u32_sdwa s5, v28, v7 src0_sel:BYTE_3 src1_sel:DWORD
	v_bfrev_b32_e32 v0, 1
	buffer_store_dword v0, off, s[0:3], s32 offset:324 ; 4-byte Folded Spill
	s_and_saveexec_b32 s21, s5
	s_cbranch_execz .LBB355_337
; %bb.332:                              ;   in Loop: Header=BB355_15 Depth=1
	v_bfe_u32 v1, v28, 24, 7
	v_mov_b32_e32 v0, 0x7f800001
	s_mov_b32 s22, exec_lo
	buffer_store_dword v0, off, s[0:3], s32 offset:324 ; 4-byte Folded Spill
	v_cmpx_ne_u32_e32 0x7f, v1
	s_cbranch_execz .LBB355_336
; %bb.333:                              ;   in Loop: Header=BB355_15 Depth=1
	v_mov_b32_e32 v0, 7
	s_mov_b32 s23, exec_lo
	v_and_b32_sdwa v13, v28, v0 dst_sel:DWORD dst_unused:UNUSED_PAD src0_sel:BYTE_3 src1_sel:DWORD
	v_mov_b32_e32 v30, v14
	v_lshrrev_b32_e32 v0, 3, v1
	v_mov_b32_e32 v29, v13
	v_cmpx_gt_u32_e32 8, v1
; %bb.334:                              ;   in Loop: Header=BB355_15 Depth=1
	v_ffbh_u32_e32 v0, v13
	v_min_u32_e32 v0, 32, v0
	v_subrev_nc_u32_e32 v1, 28, v0
	v_sub_nc_u32_e32 v0, 29, v0
	v_lshlrev_b64 v[1:2], v1, v[13:14]
	v_and_b32_e32 v29, 7, v1
; %bb.335:                              ;   in Loop: Header=BB355_15 Depth=1
	s_or_b32 exec_lo, exec_lo, s23
	v_mov_b32_e32 v1, 24
	v_lshlrev_b32_e32 v2, 20, v29
	v_lshl_add_u32 v0, v0, 23, 0x3c000000
	v_lshlrev_b32_sdwa v1, v1, v28 dst_sel:DWORD dst_unused:UNUSED_PAD src0_sel:DWORD src1_sel:BYTE_3
	v_and_b32_e32 v1, 0x80000000, v1
	v_or3_b32 v0, v2, v1, v0
	buffer_store_dword v0, off, s[0:3], s32 offset:324 ; 4-byte Folded Spill
.LBB355_336:                            ;   in Loop: Header=BB355_15 Depth=1
	s_or_b32 exec_lo, exec_lo, s22
.LBB355_337:                            ;   in Loop: Header=BB355_15 Depth=1
	s_or_b32 exec_lo, exec_lo, s21
.LBB355_338:                            ;   in Loop: Header=BB355_15 Depth=1
	s_or_b32 exec_lo, exec_lo, s20
	flat_load_dwordx2 v[27:28], v[24:25] offset:1032
	v_mov_b32_e32 v0, 0
	buffer_store_dword v0, off, s[0:3], s32 offset:332 ; 4-byte Folded Spill
	v_mov_b32_e32 v0, 0
	buffer_store_dword v0, off, s[0:3], s32 offset:328 ; 4-byte Folded Spill
	s_waitcnt vmcnt(0) lgkmcnt(0)
	v_cmp_ne_u16_sdwa s5, v27, v14 src0_sel:BYTE_0 src1_sel:DWORD
	s_and_saveexec_b32 s20, s5
	s_cbranch_execz .LBB355_346
; %bb.339:                              ;   in Loop: Header=BB355_15 Depth=1
	v_cmp_ne_u16_sdwa s5, v27, v7 src0_sel:BYTE_0 src1_sel:DWORD
	v_bfrev_b32_e32 v0, 1
	buffer_store_dword v0, off, s[0:3], s32 offset:328 ; 4-byte Folded Spill
	s_and_saveexec_b32 s21, s5
	s_cbranch_execz .LBB355_345
; %bb.340:                              ;   in Loop: Header=BB355_15 Depth=1
	v_and_b32_e32 v1, 0x7f, v27
	v_mov_b32_e32 v0, 0x7f800001
	s_mov_b32 s22, exec_lo
	buffer_store_dword v0, off, s[0:3], s32 offset:328 ; 4-byte Folded Spill
	v_cmpx_ne_u32_e32 0x7f, v1
	s_cbranch_execz .LBB355_344
; %bb.341:                              ;   in Loop: Header=BB355_15 Depth=1
	v_mov_b32_e32 v30, v28
	v_lshrrev_b32_e32 v0, 3, v1
	v_mov_b32_e32 v29, v27
	s_mov_b32 s23, exec_lo
	v_cmpx_gt_u32_e32 8, v1
; %bb.342:                              ;   in Loop: Header=BB355_15 Depth=1
	v_and_b32_e32 v0, 7, v27
	v_ffbh_u32_e32 v0, v0
	v_min_u32_e32 v0, 32, v0
	v_subrev_nc_u32_e32 v1, 28, v0
	v_sub_nc_u32_e32 v0, 29, v0
	v_lshlrev_b64 v[29:30], v1, v[27:28]
; %bb.343:                              ;   in Loop: Header=BB355_15 Depth=1
	s_or_b32 exec_lo, exec_lo, s23
	v_lshlrev_b32_e32 v1, 20, v29
	v_lshlrev_b32_e32 v2, 24, v27
	v_lshl_add_u32 v0, v0, 23, 0x3c000000
	v_and_b32_e32 v1, 0x700000, v1
	v_and_b32_e32 v2, 0x80000000, v2
	v_or3_b32 v0, v1, v2, v0
	buffer_store_dword v0, off, s[0:3], s32 offset:328 ; 4-byte Folded Spill
.LBB355_344:                            ;   in Loop: Header=BB355_15 Depth=1
	s_or_b32 exec_lo, exec_lo, s22
.LBB355_345:                            ;   in Loop: Header=BB355_15 Depth=1
	s_or_b32 exec_lo, exec_lo, s21
.LBB355_346:                            ;   in Loop: Header=BB355_15 Depth=1
	s_or_b32 exec_lo, exec_lo, s20
	v_cmp_ne_u16_sdwa s5, v27, v14 src0_sel:BYTE_1 src1_sel:DWORD
	s_and_saveexec_b32 s20, s5
	s_cbranch_execz .LBB355_354
; %bb.347:                              ;   in Loop: Header=BB355_15 Depth=1
	v_cmp_ne_u16_sdwa s5, v27, v7 src0_sel:BYTE_1 src1_sel:DWORD
	v_bfrev_b32_e32 v0, 1
	buffer_store_dword v0, off, s[0:3], s32 offset:332 ; 4-byte Folded Spill
	s_and_saveexec_b32 s21, s5
	s_cbranch_execz .LBB355_353
; %bb.348:                              ;   in Loop: Header=BB355_15 Depth=1
	v_mov_b32_e32 v0, 0xffff
	v_mov_b32_e32 v2, 0x7f800001
	s_mov_b32 s22, exec_lo
	v_and_b32_sdwa v0, v0, v27 dst_sel:DWORD dst_unused:UNUSED_PAD src0_sel:DWORD src1_sel:BYTE_1
	buffer_store_dword v2, off, s[0:3], s32 offset:332 ; 4-byte Folded Spill
	v_and_b32_e32 v1, 0x7f, v0
	v_cmpx_ne_u32_e32 0x7f, v1
	s_cbranch_execz .LBB355_352
; %bb.349:                              ;   in Loop: Header=BB355_15 Depth=1
	v_and_b32_e32 v13, 7, v0
	v_mov_b32_e32 v30, v14
	v_lshrrev_b32_e32 v0, 3, v1
	s_mov_b32 s23, exec_lo
	v_mov_b32_e32 v29, v13
	v_cmpx_gt_u32_e32 8, v1
; %bb.350:                              ;   in Loop: Header=BB355_15 Depth=1
	v_ffbh_u32_e32 v0, v13
	v_min_u32_e32 v0, 32, v0
	v_subrev_nc_u32_e32 v1, 28, v0
	v_sub_nc_u32_e32 v0, 29, v0
	v_lshlrev_b64 v[1:2], v1, v[13:14]
	v_and_b32_e32 v29, 7, v1
; %bb.351:                              ;   in Loop: Header=BB355_15 Depth=1
	s_or_b32 exec_lo, exec_lo, s23
	v_lshlrev_b32_e32 v1, 16, v27
	v_lshlrev_b32_e32 v2, 20, v29
	v_lshl_add_u32 v0, v0, 23, 0x3c000000
	v_and_b32_e32 v1, 0x80000000, v1
	v_or3_b32 v0, v2, v1, v0
	buffer_store_dword v0, off, s[0:3], s32 offset:332 ; 4-byte Folded Spill
.LBB355_352:                            ;   in Loop: Header=BB355_15 Depth=1
	s_or_b32 exec_lo, exec_lo, s22
.LBB355_353:                            ;   in Loop: Header=BB355_15 Depth=1
	s_or_b32 exec_lo, exec_lo, s21
.LBB355_354:                            ;   in Loop: Header=BB355_15 Depth=1
	s_or_b32 exec_lo, exec_lo, s20
	v_mov_b32_e32 v0, 0xff
	v_mov_b32_e32 v1, 0
	s_mov_b32 s20, exec_lo
	v_and_b32_sdwa v0, v27, v0 dst_sel:DWORD dst_unused:UNUSED_PAD src0_sel:WORD_1 src1_sel:DWORD
	buffer_store_dword v1, off, s[0:3], s32 offset:336 ; 4-byte Folded Spill
	v_mov_b32_e32 v1, 0
	buffer_store_dword v1, off, s[0:3], s32 offset:492 ; 4-byte Folded Spill
	v_cmpx_ne_u16_e32 0, v0
	s_cbranch_execz .LBB355_362
; %bb.355:                              ;   in Loop: Header=BB355_15 Depth=1
	v_cmp_ne_u16_e64 s5, 0x80, v0
	v_bfrev_b32_e32 v0, 1
	s_and_saveexec_b32 s21, s5
	s_cbranch_execz .LBB355_361
; %bb.356:                              ;   in Loop: Header=BB355_15 Depth=1
	v_bfe_u32 v1, v27, 16, 7
	v_mov_b32_e32 v0, 0x7f800001
	s_mov_b32 s22, exec_lo
	v_cmpx_ne_u32_e32 0x7f, v1
	s_cbranch_execz .LBB355_360
; %bb.357:                              ;   in Loop: Header=BB355_15 Depth=1
	v_mov_b32_e32 v0, 7
	s_mov_b32 s23, exec_lo
	v_and_b32_sdwa v13, v27, v0 dst_sel:DWORD dst_unused:UNUSED_PAD src0_sel:WORD_1 src1_sel:DWORD
	v_mov_b32_e32 v30, v14
	v_lshrrev_b32_e32 v0, 3, v1
	v_mov_b32_e32 v29, v13
	v_cmpx_gt_u32_e32 8, v1
; %bb.358:                              ;   in Loop: Header=BB355_15 Depth=1
	v_ffbh_u32_e32 v0, v13
	v_min_u32_e32 v0, 32, v0
	v_subrev_nc_u32_e32 v1, 28, v0
	v_sub_nc_u32_e32 v0, 29, v0
	v_lshlrev_b64 v[1:2], v1, v[13:14]
	v_and_b32_e32 v29, 7, v1
; %bb.359:                              ;   in Loop: Header=BB355_15 Depth=1
	s_or_b32 exec_lo, exec_lo, s23
	v_mov_b32_e32 v1, 24
	v_lshlrev_b32_e32 v2, 20, v29
	v_lshl_add_u32 v0, v0, 23, 0x3c000000
	v_lshlrev_b32_sdwa v1, v1, v27 dst_sel:DWORD dst_unused:UNUSED_PAD src0_sel:DWORD src1_sel:WORD_1
	v_and_b32_e32 v1, 0x80000000, v1
	v_or3_b32 v0, v2, v1, v0
.LBB355_360:                            ;   in Loop: Header=BB355_15 Depth=1
	s_or_b32 exec_lo, exec_lo, s22
.LBB355_361:                            ;   in Loop: Header=BB355_15 Depth=1
	s_or_b32 exec_lo, exec_lo, s21
	buffer_store_dword v0, off, s[0:3], s32 offset:492 ; 4-byte Folded Spill
.LBB355_362:                            ;   in Loop: Header=BB355_15 Depth=1
	s_or_b32 exec_lo, exec_lo, s20
	s_mov_b32 s20, exec_lo
	v_cmpx_lt_u32_e32 0xffffff, v27
	s_cbranch_execz .LBB355_370
; %bb.363:                              ;   in Loop: Header=BB355_15 Depth=1
	v_cmp_ne_u32_sdwa s5, v27, v7 src0_sel:BYTE_3 src1_sel:DWORD
	v_bfrev_b32_e32 v0, 1
	buffer_store_dword v0, off, s[0:3], s32 offset:336 ; 4-byte Folded Spill
	s_and_saveexec_b32 s21, s5
	s_cbranch_execz .LBB355_369
; %bb.364:                              ;   in Loop: Header=BB355_15 Depth=1
	v_bfe_u32 v1, v27, 24, 7
	v_mov_b32_e32 v0, 0x7f800001
	s_mov_b32 s22, exec_lo
	buffer_store_dword v0, off, s[0:3], s32 offset:336 ; 4-byte Folded Spill
	v_cmpx_ne_u32_e32 0x7f, v1
	s_cbranch_execz .LBB355_368
; %bb.365:                              ;   in Loop: Header=BB355_15 Depth=1
	v_mov_b32_e32 v0, 7
	s_mov_b32 s23, exec_lo
	v_and_b32_sdwa v13, v27, v0 dst_sel:DWORD dst_unused:UNUSED_PAD src0_sel:BYTE_3 src1_sel:DWORD
	v_mov_b32_e32 v30, v14
	v_lshrrev_b32_e32 v0, 3, v1
	v_mov_b32_e32 v29, v13
	v_cmpx_gt_u32_e32 8, v1
; %bb.366:                              ;   in Loop: Header=BB355_15 Depth=1
	v_ffbh_u32_e32 v0, v13
	v_min_u32_e32 v0, 32, v0
	v_subrev_nc_u32_e32 v1, 28, v0
	v_sub_nc_u32_e32 v0, 29, v0
	v_lshlrev_b64 v[1:2], v1, v[13:14]
	v_and_b32_e32 v29, 7, v1
; %bb.367:                              ;   in Loop: Header=BB355_15 Depth=1
	s_or_b32 exec_lo, exec_lo, s23
	v_mov_b32_e32 v1, 24
	v_lshlrev_b32_e32 v2, 20, v29
	v_lshl_add_u32 v0, v0, 23, 0x3c000000
	v_lshlrev_b32_sdwa v1, v1, v27 dst_sel:DWORD dst_unused:UNUSED_PAD src0_sel:DWORD src1_sel:BYTE_3
	v_and_b32_e32 v1, 0x80000000, v1
	v_or3_b32 v0, v2, v1, v0
	buffer_store_dword v0, off, s[0:3], s32 offset:336 ; 4-byte Folded Spill
.LBB355_368:                            ;   in Loop: Header=BB355_15 Depth=1
	s_or_b32 exec_lo, exec_lo, s22
.LBB355_369:                            ;   in Loop: Header=BB355_15 Depth=1
	s_or_b32 exec_lo, exec_lo, s21
.LBB355_370:                            ;   in Loop: Header=BB355_15 Depth=1
	s_or_b32 exec_lo, exec_lo, s20
	v_mov_b32_e32 v0, 0
	v_mov_b32_e32 v13, v28
	v_cmp_ne_u16_sdwa s5, v28, v14 src0_sel:BYTE_0 src1_sel:DWORD
	buffer_store_dword v0, off, s[0:3], s32 offset:344 ; 4-byte Folded Spill
	v_mov_b32_e32 v0, 0
	buffer_store_dword v0, off, s[0:3], s32 offset:340 ; 4-byte Folded Spill
	s_and_saveexec_b32 s20, s5
	s_cbranch_execz .LBB355_378
; %bb.371:                              ;   in Loop: Header=BB355_15 Depth=1
	v_cmp_ne_u16_sdwa s5, v28, v7 src0_sel:BYTE_0 src1_sel:DWORD
	v_bfrev_b32_e32 v0, 1
	buffer_store_dword v0, off, s[0:3], s32 offset:340 ; 4-byte Folded Spill
	s_and_saveexec_b32 s21, s5
	s_cbranch_execz .LBB355_377
; %bb.372:                              ;   in Loop: Header=BB355_15 Depth=1
	v_and_b32_e32 v1, 0x7f, v28
	v_mov_b32_e32 v0, 0x7f800001
	s_mov_b32 s22, exec_lo
	buffer_store_dword v0, off, s[0:3], s32 offset:340 ; 4-byte Folded Spill
	v_cmpx_ne_u32_e32 0x7f, v1
	s_cbranch_execz .LBB355_376
; %bb.373:                              ;   in Loop: Header=BB355_15 Depth=1
	v_mov_b32_e32 v30, v14
	v_lshrrev_b32_e32 v0, 3, v1
	v_mov_b32_e32 v29, v13
	s_mov_b32 s23, exec_lo
	v_cmpx_gt_u32_e32 8, v1
; %bb.374:                              ;   in Loop: Header=BB355_15 Depth=1
	v_and_b32_e32 v0, 7, v28
	v_ffbh_u32_e32 v0, v0
	v_min_u32_e32 v0, 32, v0
	v_subrev_nc_u32_e32 v1, 28, v0
	v_sub_nc_u32_e32 v0, 29, v0
	v_lshlrev_b64 v[29:30], v1, v[13:14]
; %bb.375:                              ;   in Loop: Header=BB355_15 Depth=1
	s_or_b32 exec_lo, exec_lo, s23
	v_lshlrev_b32_e32 v1, 20, v29
	v_lshlrev_b32_e32 v2, 24, v13
	v_lshl_add_u32 v0, v0, 23, 0x3c000000
	v_and_b32_e32 v1, 0x700000, v1
	v_and_b32_e32 v2, 0x80000000, v2
	v_or3_b32 v0, v1, v2, v0
	buffer_store_dword v0, off, s[0:3], s32 offset:340 ; 4-byte Folded Spill
.LBB355_376:                            ;   in Loop: Header=BB355_15 Depth=1
	s_or_b32 exec_lo, exec_lo, s22
.LBB355_377:                            ;   in Loop: Header=BB355_15 Depth=1
	s_or_b32 exec_lo, exec_lo, s21
.LBB355_378:                            ;   in Loop: Header=BB355_15 Depth=1
	s_or_b32 exec_lo, exec_lo, s20
	v_cmp_ne_u16_sdwa s5, v13, v14 src0_sel:BYTE_1 src1_sel:DWORD
	s_and_saveexec_b32 s20, s5
	s_cbranch_execz .LBB355_386
; %bb.379:                              ;   in Loop: Header=BB355_15 Depth=1
	v_cmp_ne_u16_sdwa s5, v13, v7 src0_sel:BYTE_1 src1_sel:DWORD
	v_bfrev_b32_e32 v0, 1
	buffer_store_dword v0, off, s[0:3], s32 offset:344 ; 4-byte Folded Spill
	s_and_saveexec_b32 s21, s5
	s_cbranch_execz .LBB355_385
; %bb.380:                              ;   in Loop: Header=BB355_15 Depth=1
	v_mov_b32_e32 v0, 0xffff
	v_mov_b32_e32 v2, 0x7f800001
	s_mov_b32 s22, exec_lo
	v_and_b32_sdwa v0, v0, v13 dst_sel:DWORD dst_unused:UNUSED_PAD src0_sel:DWORD src1_sel:BYTE_1
	buffer_store_dword v2, off, s[0:3], s32 offset:344 ; 4-byte Folded Spill
	v_and_b32_e32 v1, 0x7f, v0
	v_cmpx_ne_u32_e32 0x7f, v1
	s_cbranch_execz .LBB355_384
; %bb.381:                              ;   in Loop: Header=BB355_15 Depth=1
	v_and_b32_e32 v29, 7, v0
	v_mov_b32_e32 v30, v14
	v_lshrrev_b32_e32 v0, 3, v1
	s_mov_b32 s23, exec_lo
	v_cmpx_gt_u32_e32 8, v1
; %bb.382:                              ;   in Loop: Header=BB355_15 Depth=1
	v_ffbh_u32_e32 v0, v29
	v_min_u32_e32 v0, 32, v0
	v_subrev_nc_u32_e32 v1, 28, v0
	v_sub_nc_u32_e32 v0, 29, v0
	v_lshlrev_b64 v[1:2], v1, v[29:30]
	v_and_b32_e32 v29, 7, v1
; %bb.383:                              ;   in Loop: Header=BB355_15 Depth=1
	s_or_b32 exec_lo, exec_lo, s23
	v_lshlrev_b32_e32 v1, 16, v13
	v_lshlrev_b32_e32 v2, 20, v29
	v_lshl_add_u32 v0, v0, 23, 0x3c000000
	v_and_b32_e32 v1, 0x80000000, v1
	v_or3_b32 v0, v2, v1, v0
	buffer_store_dword v0, off, s[0:3], s32 offset:344 ; 4-byte Folded Spill
.LBB355_384:                            ;   in Loop: Header=BB355_15 Depth=1
	s_or_b32 exec_lo, exec_lo, s22
.LBB355_385:                            ;   in Loop: Header=BB355_15 Depth=1
	s_or_b32 exec_lo, exec_lo, s21
.LBB355_386:                            ;   in Loop: Header=BB355_15 Depth=1
	s_or_b32 exec_lo, exec_lo, s20
	v_mov_b32_e32 v0, 0xff
	v_mov_b32_e32 v1, 0
	s_mov_b32 s20, exec_lo
	v_and_b32_sdwa v0, v28, v0 dst_sel:DWORD dst_unused:UNUSED_PAD src0_sel:WORD_1 src1_sel:DWORD
	buffer_store_dword v1, off, s[0:3], s32 offset:348 ; 4-byte Folded Spill
	v_mov_b32_e32 v1, 0
	buffer_store_dword v1, off, s[0:3], s32 offset:500 ; 4-byte Folded Spill
	v_cmpx_ne_u16_e32 0, v0
	s_cbranch_execz .LBB355_394
; %bb.387:                              ;   in Loop: Header=BB355_15 Depth=1
	v_cmp_ne_u16_e64 s5, 0x80, v0
	v_bfrev_b32_e32 v0, 1
	s_and_saveexec_b32 s21, s5
	s_cbranch_execz .LBB355_393
; %bb.388:                              ;   in Loop: Header=BB355_15 Depth=1
	v_bfe_u32 v1, v28, 16, 7
	v_mov_b32_e32 v0, 0x7f800001
	s_mov_b32 s22, exec_lo
	v_cmpx_ne_u32_e32 0x7f, v1
	s_cbranch_execz .LBB355_392
; %bb.389:                              ;   in Loop: Header=BB355_15 Depth=1
	v_mov_b32_e32 v0, 7
	s_mov_b32 s23, exec_lo
	v_and_b32_sdwa v13, v28, v0 dst_sel:DWORD dst_unused:UNUSED_PAD src0_sel:WORD_1 src1_sel:DWORD
	v_mov_b32_e32 v30, v14
	v_lshrrev_b32_e32 v0, 3, v1
	v_mov_b32_e32 v29, v13
	v_cmpx_gt_u32_e32 8, v1
; %bb.390:                              ;   in Loop: Header=BB355_15 Depth=1
	v_ffbh_u32_e32 v0, v13
	v_min_u32_e32 v0, 32, v0
	v_subrev_nc_u32_e32 v1, 28, v0
	v_sub_nc_u32_e32 v0, 29, v0
	v_lshlrev_b64 v[1:2], v1, v[13:14]
	v_and_b32_e32 v29, 7, v1
; %bb.391:                              ;   in Loop: Header=BB355_15 Depth=1
	s_or_b32 exec_lo, exec_lo, s23
	v_mov_b32_e32 v1, 24
	v_lshlrev_b32_e32 v2, 20, v29
	v_lshl_add_u32 v0, v0, 23, 0x3c000000
	v_lshlrev_b32_sdwa v1, v1, v28 dst_sel:DWORD dst_unused:UNUSED_PAD src0_sel:DWORD src1_sel:WORD_1
	v_and_b32_e32 v1, 0x80000000, v1
	v_or3_b32 v0, v2, v1, v0
.LBB355_392:                            ;   in Loop: Header=BB355_15 Depth=1
	s_or_b32 exec_lo, exec_lo, s22
.LBB355_393:                            ;   in Loop: Header=BB355_15 Depth=1
	s_or_b32 exec_lo, exec_lo, s21
	buffer_store_dword v0, off, s[0:3], s32 offset:500 ; 4-byte Folded Spill
.LBB355_394:                            ;   in Loop: Header=BB355_15 Depth=1
	s_or_b32 exec_lo, exec_lo, s20
	s_mov_b32 s20, exec_lo
	v_cmpx_lt_u64_e64 s[12:13], v[27:28]
	s_cbranch_execz .LBB355_402
; %bb.395:                              ;   in Loop: Header=BB355_15 Depth=1
	v_cmp_ne_u32_sdwa s5, v28, v7 src0_sel:BYTE_3 src1_sel:DWORD
	v_bfrev_b32_e32 v0, 1
	buffer_store_dword v0, off, s[0:3], s32 offset:348 ; 4-byte Folded Spill
	s_and_saveexec_b32 s21, s5
	s_cbranch_execz .LBB355_401
; %bb.396:                              ;   in Loop: Header=BB355_15 Depth=1
	v_bfe_u32 v1, v28, 24, 7
	v_mov_b32_e32 v0, 0x7f800001
	s_mov_b32 s22, exec_lo
	buffer_store_dword v0, off, s[0:3], s32 offset:348 ; 4-byte Folded Spill
	v_cmpx_ne_u32_e32 0x7f, v1
	s_cbranch_execz .LBB355_400
; %bb.397:                              ;   in Loop: Header=BB355_15 Depth=1
	v_mov_b32_e32 v0, 7
	s_mov_b32 s23, exec_lo
	v_and_b32_sdwa v13, v28, v0 dst_sel:DWORD dst_unused:UNUSED_PAD src0_sel:BYTE_3 src1_sel:DWORD
	v_mov_b32_e32 v30, v14
	v_lshrrev_b32_e32 v0, 3, v1
	v_mov_b32_e32 v29, v13
	v_cmpx_gt_u32_e32 8, v1
; %bb.398:                              ;   in Loop: Header=BB355_15 Depth=1
	v_ffbh_u32_e32 v0, v13
	v_min_u32_e32 v0, 32, v0
	v_subrev_nc_u32_e32 v1, 28, v0
	v_sub_nc_u32_e32 v0, 29, v0
	v_lshlrev_b64 v[1:2], v1, v[13:14]
	v_and_b32_e32 v29, 7, v1
; %bb.399:                              ;   in Loop: Header=BB355_15 Depth=1
	s_or_b32 exec_lo, exec_lo, s23
	v_mov_b32_e32 v1, 24
	v_lshlrev_b32_e32 v2, 20, v29
	v_lshl_add_u32 v0, v0, 23, 0x3c000000
	v_lshlrev_b32_sdwa v1, v1, v28 dst_sel:DWORD dst_unused:UNUSED_PAD src0_sel:DWORD src1_sel:BYTE_3
	v_and_b32_e32 v1, 0x80000000, v1
	v_or3_b32 v0, v2, v1, v0
	buffer_store_dword v0, off, s[0:3], s32 offset:348 ; 4-byte Folded Spill
.LBB355_400:                            ;   in Loop: Header=BB355_15 Depth=1
	s_or_b32 exec_lo, exec_lo, s22
.LBB355_401:                            ;   in Loop: Header=BB355_15 Depth=1
	s_or_b32 exec_lo, exec_lo, s21
.LBB355_402:                            ;   in Loop: Header=BB355_15 Depth=1
	s_or_b32 exec_lo, exec_lo, s20
	flat_load_dwordx2 v[27:28], v[24:25] offset:1536
	v_mov_b32_e32 v0, 0
	buffer_store_dword v0, off, s[0:3], s32 offset:360 ; 4-byte Folded Spill
	v_mov_b32_e32 v0, 0
	buffer_store_dword v0, off, s[0:3], s32 offset:356 ; 4-byte Folded Spill
	s_waitcnt vmcnt(0) lgkmcnt(0)
	v_cmp_ne_u16_sdwa s5, v27, v14 src0_sel:BYTE_0 src1_sel:DWORD
	s_and_saveexec_b32 s20, s5
	s_cbranch_execz .LBB355_410
; %bb.403:                              ;   in Loop: Header=BB355_15 Depth=1
	v_cmp_ne_u16_sdwa s5, v27, v7 src0_sel:BYTE_0 src1_sel:DWORD
	v_bfrev_b32_e32 v0, 1
	buffer_store_dword v0, off, s[0:3], s32 offset:356 ; 4-byte Folded Spill
	s_and_saveexec_b32 s21, s5
	s_cbranch_execz .LBB355_409
; %bb.404:                              ;   in Loop: Header=BB355_15 Depth=1
	v_and_b32_e32 v1, 0x7f, v27
	v_mov_b32_e32 v0, 0x7f800001
	s_mov_b32 s22, exec_lo
	buffer_store_dword v0, off, s[0:3], s32 offset:356 ; 4-byte Folded Spill
	v_cmpx_ne_u32_e32 0x7f, v1
	s_cbranch_execz .LBB355_408
; %bb.405:                              ;   in Loop: Header=BB355_15 Depth=1
	v_mov_b32_e32 v30, v28
	v_lshrrev_b32_e32 v0, 3, v1
	v_mov_b32_e32 v29, v27
	s_mov_b32 s23, exec_lo
	v_cmpx_gt_u32_e32 8, v1
; %bb.406:                              ;   in Loop: Header=BB355_15 Depth=1
	v_and_b32_e32 v0, 7, v27
	v_ffbh_u32_e32 v0, v0
	v_min_u32_e32 v0, 32, v0
	v_subrev_nc_u32_e32 v1, 28, v0
	v_sub_nc_u32_e32 v0, 29, v0
	v_lshlrev_b64 v[29:30], v1, v[27:28]
; %bb.407:                              ;   in Loop: Header=BB355_15 Depth=1
	s_or_b32 exec_lo, exec_lo, s23
	v_lshlrev_b32_e32 v1, 20, v29
	v_lshlrev_b32_e32 v2, 24, v27
	v_lshl_add_u32 v0, v0, 23, 0x3c000000
	v_and_b32_e32 v1, 0x700000, v1
	v_and_b32_e32 v2, 0x80000000, v2
	v_or3_b32 v0, v1, v2, v0
	buffer_store_dword v0, off, s[0:3], s32 offset:356 ; 4-byte Folded Spill
.LBB355_408:                            ;   in Loop: Header=BB355_15 Depth=1
	s_or_b32 exec_lo, exec_lo, s22
.LBB355_409:                            ;   in Loop: Header=BB355_15 Depth=1
	s_or_b32 exec_lo, exec_lo, s21
.LBB355_410:                            ;   in Loop: Header=BB355_15 Depth=1
	s_or_b32 exec_lo, exec_lo, s20
	v_cmp_ne_u16_sdwa s5, v27, v14 src0_sel:BYTE_1 src1_sel:DWORD
	s_and_saveexec_b32 s20, s5
	s_cbranch_execz .LBB355_418
; %bb.411:                              ;   in Loop: Header=BB355_15 Depth=1
	v_cmp_ne_u16_sdwa s5, v27, v7 src0_sel:BYTE_1 src1_sel:DWORD
	v_bfrev_b32_e32 v0, 1
	buffer_store_dword v0, off, s[0:3], s32 offset:360 ; 4-byte Folded Spill
	s_and_saveexec_b32 s21, s5
	s_cbranch_execz .LBB355_417
; %bb.412:                              ;   in Loop: Header=BB355_15 Depth=1
	v_mov_b32_e32 v0, 0xffff
	v_mov_b32_e32 v2, 0x7f800001
	s_mov_b32 s22, exec_lo
	v_and_b32_sdwa v0, v0, v27 dst_sel:DWORD dst_unused:UNUSED_PAD src0_sel:DWORD src1_sel:BYTE_1
	buffer_store_dword v2, off, s[0:3], s32 offset:360 ; 4-byte Folded Spill
	v_and_b32_e32 v1, 0x7f, v0
	v_cmpx_ne_u32_e32 0x7f, v1
	s_cbranch_execz .LBB355_416
; %bb.413:                              ;   in Loop: Header=BB355_15 Depth=1
	v_and_b32_e32 v13, 7, v0
	v_mov_b32_e32 v30, v14
	v_lshrrev_b32_e32 v0, 3, v1
	s_mov_b32 s23, exec_lo
	v_mov_b32_e32 v29, v13
	v_cmpx_gt_u32_e32 8, v1
; %bb.414:                              ;   in Loop: Header=BB355_15 Depth=1
	v_ffbh_u32_e32 v0, v13
	v_min_u32_e32 v0, 32, v0
	v_subrev_nc_u32_e32 v1, 28, v0
	v_sub_nc_u32_e32 v0, 29, v0
	v_lshlrev_b64 v[1:2], v1, v[13:14]
	v_and_b32_e32 v29, 7, v1
; %bb.415:                              ;   in Loop: Header=BB355_15 Depth=1
	s_or_b32 exec_lo, exec_lo, s23
	v_lshlrev_b32_e32 v1, 16, v27
	v_lshlrev_b32_e32 v2, 20, v29
	v_lshl_add_u32 v0, v0, 23, 0x3c000000
	v_and_b32_e32 v1, 0x80000000, v1
	v_or3_b32 v0, v2, v1, v0
	buffer_store_dword v0, off, s[0:3], s32 offset:360 ; 4-byte Folded Spill
.LBB355_416:                            ;   in Loop: Header=BB355_15 Depth=1
	s_or_b32 exec_lo, exec_lo, s22
.LBB355_417:                            ;   in Loop: Header=BB355_15 Depth=1
	s_or_b32 exec_lo, exec_lo, s21
.LBB355_418:                            ;   in Loop: Header=BB355_15 Depth=1
	s_or_b32 exec_lo, exec_lo, s20
	v_mov_b32_e32 v0, 0xff
	v_mov_b32_e32 v1, 0
	s_mov_b32 s20, exec_lo
	v_and_b32_sdwa v0, v27, v0 dst_sel:DWORD dst_unused:UNUSED_PAD src0_sel:WORD_1 src1_sel:DWORD
	buffer_store_dword v1, off, s[0:3], s32 offset:364 ; 4-byte Folded Spill
	v_mov_b32_e32 v1, 0
	buffer_store_dword v1, off, s[0:3], s32 offset:504 ; 4-byte Folded Spill
	v_cmpx_ne_u16_e32 0, v0
	s_cbranch_execz .LBB355_426
; %bb.419:                              ;   in Loop: Header=BB355_15 Depth=1
	v_cmp_ne_u16_e64 s5, 0x80, v0
	v_bfrev_b32_e32 v0, 1
	s_and_saveexec_b32 s21, s5
	s_cbranch_execz .LBB355_425
; %bb.420:                              ;   in Loop: Header=BB355_15 Depth=1
	v_bfe_u32 v1, v27, 16, 7
	v_mov_b32_e32 v0, 0x7f800001
	s_mov_b32 s22, exec_lo
	v_cmpx_ne_u32_e32 0x7f, v1
	s_cbranch_execz .LBB355_424
; %bb.421:                              ;   in Loop: Header=BB355_15 Depth=1
	v_mov_b32_e32 v0, 7
	s_mov_b32 s23, exec_lo
	v_and_b32_sdwa v13, v27, v0 dst_sel:DWORD dst_unused:UNUSED_PAD src0_sel:WORD_1 src1_sel:DWORD
	v_mov_b32_e32 v30, v14
	v_lshrrev_b32_e32 v0, 3, v1
	v_mov_b32_e32 v29, v13
	v_cmpx_gt_u32_e32 8, v1
; %bb.422:                              ;   in Loop: Header=BB355_15 Depth=1
	v_ffbh_u32_e32 v0, v13
	v_min_u32_e32 v0, 32, v0
	v_subrev_nc_u32_e32 v1, 28, v0
	v_sub_nc_u32_e32 v0, 29, v0
	v_lshlrev_b64 v[1:2], v1, v[13:14]
	v_and_b32_e32 v29, 7, v1
; %bb.423:                              ;   in Loop: Header=BB355_15 Depth=1
	s_or_b32 exec_lo, exec_lo, s23
	v_mov_b32_e32 v1, 24
	v_lshlrev_b32_e32 v2, 20, v29
	v_lshl_add_u32 v0, v0, 23, 0x3c000000
	v_lshlrev_b32_sdwa v1, v1, v27 dst_sel:DWORD dst_unused:UNUSED_PAD src0_sel:DWORD src1_sel:WORD_1
	v_and_b32_e32 v1, 0x80000000, v1
	v_or3_b32 v0, v2, v1, v0
.LBB355_424:                            ;   in Loop: Header=BB355_15 Depth=1
	s_or_b32 exec_lo, exec_lo, s22
.LBB355_425:                            ;   in Loop: Header=BB355_15 Depth=1
	s_or_b32 exec_lo, exec_lo, s21
	buffer_store_dword v0, off, s[0:3], s32 offset:504 ; 4-byte Folded Spill
.LBB355_426:                            ;   in Loop: Header=BB355_15 Depth=1
	s_or_b32 exec_lo, exec_lo, s20
	s_mov_b32 s20, exec_lo
	v_cmpx_lt_u32_e32 0xffffff, v27
	s_cbranch_execz .LBB355_434
; %bb.427:                              ;   in Loop: Header=BB355_15 Depth=1
	v_cmp_ne_u32_sdwa s5, v27, v7 src0_sel:BYTE_3 src1_sel:DWORD
	v_bfrev_b32_e32 v0, 1
	buffer_store_dword v0, off, s[0:3], s32 offset:364 ; 4-byte Folded Spill
	s_and_saveexec_b32 s21, s5
	s_cbranch_execz .LBB355_433
; %bb.428:                              ;   in Loop: Header=BB355_15 Depth=1
	v_bfe_u32 v1, v27, 24, 7
	v_mov_b32_e32 v0, 0x7f800001
	s_mov_b32 s22, exec_lo
	buffer_store_dword v0, off, s[0:3], s32 offset:364 ; 4-byte Folded Spill
	v_cmpx_ne_u32_e32 0x7f, v1
	s_cbranch_execz .LBB355_432
; %bb.429:                              ;   in Loop: Header=BB355_15 Depth=1
	v_mov_b32_e32 v0, 7
	s_mov_b32 s23, exec_lo
	v_and_b32_sdwa v13, v27, v0 dst_sel:DWORD dst_unused:UNUSED_PAD src0_sel:BYTE_3 src1_sel:DWORD
	v_mov_b32_e32 v30, v14
	v_lshrrev_b32_e32 v0, 3, v1
	v_mov_b32_e32 v29, v13
	v_cmpx_gt_u32_e32 8, v1
; %bb.430:                              ;   in Loop: Header=BB355_15 Depth=1
	v_ffbh_u32_e32 v0, v13
	v_min_u32_e32 v0, 32, v0
	v_subrev_nc_u32_e32 v1, 28, v0
	v_sub_nc_u32_e32 v0, 29, v0
	v_lshlrev_b64 v[1:2], v1, v[13:14]
	v_and_b32_e32 v29, 7, v1
; %bb.431:                              ;   in Loop: Header=BB355_15 Depth=1
	s_or_b32 exec_lo, exec_lo, s23
	v_mov_b32_e32 v1, 24
	v_lshlrev_b32_e32 v2, 20, v29
	v_lshl_add_u32 v0, v0, 23, 0x3c000000
	v_lshlrev_b32_sdwa v1, v1, v27 dst_sel:DWORD dst_unused:UNUSED_PAD src0_sel:DWORD src1_sel:BYTE_3
	v_and_b32_e32 v1, 0x80000000, v1
	v_or3_b32 v0, v2, v1, v0
	buffer_store_dword v0, off, s[0:3], s32 offset:364 ; 4-byte Folded Spill
.LBB355_432:                            ;   in Loop: Header=BB355_15 Depth=1
	s_or_b32 exec_lo, exec_lo, s22
.LBB355_433:                            ;   in Loop: Header=BB355_15 Depth=1
	s_or_b32 exec_lo, exec_lo, s21
.LBB355_434:                            ;   in Loop: Header=BB355_15 Depth=1
	s_or_b32 exec_lo, exec_lo, s20
	v_mov_b32_e32 v0, 0
	v_mov_b32_e32 v13, v28
	v_cmp_ne_u16_sdwa s5, v28, v14 src0_sel:BYTE_0 src1_sel:DWORD
	buffer_store_dword v0, off, s[0:3], s32 offset:372 ; 4-byte Folded Spill
	v_mov_b32_e32 v0, 0
	buffer_store_dword v0, off, s[0:3], s32 offset:368 ; 4-byte Folded Spill
	s_and_saveexec_b32 s20, s5
	s_cbranch_execz .LBB355_442
; %bb.435:                              ;   in Loop: Header=BB355_15 Depth=1
	v_cmp_ne_u16_sdwa s5, v28, v7 src0_sel:BYTE_0 src1_sel:DWORD
	v_bfrev_b32_e32 v0, 1
	buffer_store_dword v0, off, s[0:3], s32 offset:368 ; 4-byte Folded Spill
	s_and_saveexec_b32 s21, s5
	s_cbranch_execz .LBB355_441
; %bb.436:                              ;   in Loop: Header=BB355_15 Depth=1
	v_and_b32_e32 v1, 0x7f, v28
	v_mov_b32_e32 v0, 0x7f800001
	s_mov_b32 s22, exec_lo
	buffer_store_dword v0, off, s[0:3], s32 offset:368 ; 4-byte Folded Spill
	v_cmpx_ne_u32_e32 0x7f, v1
	s_cbranch_execz .LBB355_440
; %bb.437:                              ;   in Loop: Header=BB355_15 Depth=1
	v_mov_b32_e32 v30, v14
	v_lshrrev_b32_e32 v0, 3, v1
	v_mov_b32_e32 v29, v13
	s_mov_b32 s23, exec_lo
	v_cmpx_gt_u32_e32 8, v1
; %bb.438:                              ;   in Loop: Header=BB355_15 Depth=1
	v_and_b32_e32 v0, 7, v28
	v_ffbh_u32_e32 v0, v0
	v_min_u32_e32 v0, 32, v0
	v_subrev_nc_u32_e32 v1, 28, v0
	v_sub_nc_u32_e32 v0, 29, v0
	v_lshlrev_b64 v[29:30], v1, v[13:14]
; %bb.439:                              ;   in Loop: Header=BB355_15 Depth=1
	s_or_b32 exec_lo, exec_lo, s23
	v_lshlrev_b32_e32 v1, 20, v29
	v_lshlrev_b32_e32 v2, 24, v13
	v_lshl_add_u32 v0, v0, 23, 0x3c000000
	v_and_b32_e32 v1, 0x700000, v1
	v_and_b32_e32 v2, 0x80000000, v2
	v_or3_b32 v0, v1, v2, v0
	buffer_store_dword v0, off, s[0:3], s32 offset:368 ; 4-byte Folded Spill
.LBB355_440:                            ;   in Loop: Header=BB355_15 Depth=1
	s_or_b32 exec_lo, exec_lo, s22
.LBB355_441:                            ;   in Loop: Header=BB355_15 Depth=1
	s_or_b32 exec_lo, exec_lo, s21
.LBB355_442:                            ;   in Loop: Header=BB355_15 Depth=1
	s_or_b32 exec_lo, exec_lo, s20
	v_cmp_ne_u16_sdwa s5, v13, v14 src0_sel:BYTE_1 src1_sel:DWORD
	s_and_saveexec_b32 s20, s5
	s_cbranch_execz .LBB355_450
; %bb.443:                              ;   in Loop: Header=BB355_15 Depth=1
	v_cmp_ne_u16_sdwa s5, v13, v7 src0_sel:BYTE_1 src1_sel:DWORD
	v_bfrev_b32_e32 v0, 1
	buffer_store_dword v0, off, s[0:3], s32 offset:372 ; 4-byte Folded Spill
	s_and_saveexec_b32 s21, s5
	s_cbranch_execz .LBB355_449
; %bb.444:                              ;   in Loop: Header=BB355_15 Depth=1
	v_mov_b32_e32 v0, 0xffff
	v_mov_b32_e32 v2, 0x7f800001
	s_mov_b32 s22, exec_lo
	v_and_b32_sdwa v0, v0, v13 dst_sel:DWORD dst_unused:UNUSED_PAD src0_sel:DWORD src1_sel:BYTE_1
	buffer_store_dword v2, off, s[0:3], s32 offset:372 ; 4-byte Folded Spill
	v_and_b32_e32 v1, 0x7f, v0
	v_cmpx_ne_u32_e32 0x7f, v1
	s_cbranch_execz .LBB355_448
; %bb.445:                              ;   in Loop: Header=BB355_15 Depth=1
	v_and_b32_e32 v29, 7, v0
	v_mov_b32_e32 v30, v14
	v_lshrrev_b32_e32 v0, 3, v1
	s_mov_b32 s23, exec_lo
	v_cmpx_gt_u32_e32 8, v1
; %bb.446:                              ;   in Loop: Header=BB355_15 Depth=1
	v_ffbh_u32_e32 v0, v29
	v_min_u32_e32 v0, 32, v0
	v_subrev_nc_u32_e32 v1, 28, v0
	v_sub_nc_u32_e32 v0, 29, v0
	v_lshlrev_b64 v[1:2], v1, v[29:30]
	v_and_b32_e32 v29, 7, v1
; %bb.447:                              ;   in Loop: Header=BB355_15 Depth=1
	s_or_b32 exec_lo, exec_lo, s23
	v_lshlrev_b32_e32 v1, 16, v13
	v_lshlrev_b32_e32 v2, 20, v29
	v_lshl_add_u32 v0, v0, 23, 0x3c000000
	v_and_b32_e32 v1, 0x80000000, v1
	v_or3_b32 v0, v2, v1, v0
	buffer_store_dword v0, off, s[0:3], s32 offset:372 ; 4-byte Folded Spill
.LBB355_448:                            ;   in Loop: Header=BB355_15 Depth=1
	s_or_b32 exec_lo, exec_lo, s22
.LBB355_449:                            ;   in Loop: Header=BB355_15 Depth=1
	s_or_b32 exec_lo, exec_lo, s21
.LBB355_450:                            ;   in Loop: Header=BB355_15 Depth=1
	s_or_b32 exec_lo, exec_lo, s20
	v_mov_b32_e32 v0, 0xff
	v_mov_b32_e32 v1, 0
	s_mov_b32 s20, exec_lo
	v_and_b32_sdwa v0, v28, v0 dst_sel:DWORD dst_unused:UNUSED_PAD src0_sel:WORD_1 src1_sel:DWORD
	buffer_store_dword v1, off, s[0:3], s32 offset:376 ; 4-byte Folded Spill
	v_mov_b32_e32 v1, 0
	buffer_store_dword v1, off, s[0:3], s32 offset:508 ; 4-byte Folded Spill
	v_cmpx_ne_u16_e32 0, v0
	s_cbranch_execz .LBB355_458
; %bb.451:                              ;   in Loop: Header=BB355_15 Depth=1
	v_cmp_ne_u16_e64 s5, 0x80, v0
	v_bfrev_b32_e32 v0, 1
	s_and_saveexec_b32 s21, s5
	s_cbranch_execz .LBB355_457
; %bb.452:                              ;   in Loop: Header=BB355_15 Depth=1
	v_bfe_u32 v1, v28, 16, 7
	v_mov_b32_e32 v0, 0x7f800001
	s_mov_b32 s22, exec_lo
	v_cmpx_ne_u32_e32 0x7f, v1
	s_cbranch_execz .LBB355_456
; %bb.453:                              ;   in Loop: Header=BB355_15 Depth=1
	v_mov_b32_e32 v0, 7
	s_mov_b32 s23, exec_lo
	v_and_b32_sdwa v13, v28, v0 dst_sel:DWORD dst_unused:UNUSED_PAD src0_sel:WORD_1 src1_sel:DWORD
	v_mov_b32_e32 v30, v14
	v_lshrrev_b32_e32 v0, 3, v1
	v_mov_b32_e32 v29, v13
	v_cmpx_gt_u32_e32 8, v1
; %bb.454:                              ;   in Loop: Header=BB355_15 Depth=1
	v_ffbh_u32_e32 v0, v13
	v_min_u32_e32 v0, 32, v0
	v_subrev_nc_u32_e32 v1, 28, v0
	v_sub_nc_u32_e32 v0, 29, v0
	v_lshlrev_b64 v[1:2], v1, v[13:14]
	v_and_b32_e32 v29, 7, v1
; %bb.455:                              ;   in Loop: Header=BB355_15 Depth=1
	s_or_b32 exec_lo, exec_lo, s23
	v_mov_b32_e32 v1, 24
	v_lshlrev_b32_e32 v2, 20, v29
	v_lshl_add_u32 v0, v0, 23, 0x3c000000
	v_lshlrev_b32_sdwa v1, v1, v28 dst_sel:DWORD dst_unused:UNUSED_PAD src0_sel:DWORD src1_sel:WORD_1
	v_and_b32_e32 v1, 0x80000000, v1
	v_or3_b32 v0, v2, v1, v0
.LBB355_456:                            ;   in Loop: Header=BB355_15 Depth=1
	s_or_b32 exec_lo, exec_lo, s22
.LBB355_457:                            ;   in Loop: Header=BB355_15 Depth=1
	s_or_b32 exec_lo, exec_lo, s21
	buffer_store_dword v0, off, s[0:3], s32 offset:508 ; 4-byte Folded Spill
.LBB355_458:                            ;   in Loop: Header=BB355_15 Depth=1
	s_or_b32 exec_lo, exec_lo, s20
	s_mov_b32 s20, exec_lo
	v_cmpx_lt_u64_e64 s[12:13], v[27:28]
	s_cbranch_execz .LBB355_466
; %bb.459:                              ;   in Loop: Header=BB355_15 Depth=1
	v_cmp_ne_u32_sdwa s5, v28, v7 src0_sel:BYTE_3 src1_sel:DWORD
	v_bfrev_b32_e32 v0, 1
	buffer_store_dword v0, off, s[0:3], s32 offset:376 ; 4-byte Folded Spill
	s_and_saveexec_b32 s21, s5
	s_cbranch_execz .LBB355_465
; %bb.460:                              ;   in Loop: Header=BB355_15 Depth=1
	v_bfe_u32 v1, v28, 24, 7
	v_mov_b32_e32 v0, 0x7f800001
	s_mov_b32 s22, exec_lo
	buffer_store_dword v0, off, s[0:3], s32 offset:376 ; 4-byte Folded Spill
	v_cmpx_ne_u32_e32 0x7f, v1
	s_cbranch_execz .LBB355_464
; %bb.461:                              ;   in Loop: Header=BB355_15 Depth=1
	v_mov_b32_e32 v0, 7
	s_mov_b32 s23, exec_lo
	v_and_b32_sdwa v13, v28, v0 dst_sel:DWORD dst_unused:UNUSED_PAD src0_sel:BYTE_3 src1_sel:DWORD
	v_mov_b32_e32 v30, v14
	v_lshrrev_b32_e32 v0, 3, v1
	v_mov_b32_e32 v29, v13
	v_cmpx_gt_u32_e32 8, v1
; %bb.462:                              ;   in Loop: Header=BB355_15 Depth=1
	v_ffbh_u32_e32 v0, v13
	v_min_u32_e32 v0, 32, v0
	v_subrev_nc_u32_e32 v1, 28, v0
	v_sub_nc_u32_e32 v0, 29, v0
	v_lshlrev_b64 v[1:2], v1, v[13:14]
	v_and_b32_e32 v29, 7, v1
; %bb.463:                              ;   in Loop: Header=BB355_15 Depth=1
	s_or_b32 exec_lo, exec_lo, s23
	v_mov_b32_e32 v1, 24
	v_lshlrev_b32_e32 v2, 20, v29
	v_lshl_add_u32 v0, v0, 23, 0x3c000000
	v_lshlrev_b32_sdwa v1, v1, v28 dst_sel:DWORD dst_unused:UNUSED_PAD src0_sel:DWORD src1_sel:BYTE_3
	v_and_b32_e32 v1, 0x80000000, v1
	v_or3_b32 v0, v2, v1, v0
	buffer_store_dword v0, off, s[0:3], s32 offset:376 ; 4-byte Folded Spill
.LBB355_464:                            ;   in Loop: Header=BB355_15 Depth=1
	s_or_b32 exec_lo, exec_lo, s22
.LBB355_465:                            ;   in Loop: Header=BB355_15 Depth=1
	s_or_b32 exec_lo, exec_lo, s21
.LBB355_466:                            ;   in Loop: Header=BB355_15 Depth=1
	s_or_b32 exec_lo, exec_lo, s20
	flat_load_dwordx2 v[27:28], v[24:25] offset:1544
	v_mov_b32_e32 v0, 0
	buffer_store_dword v0, off, s[0:3], s32 offset:384 ; 4-byte Folded Spill
	v_mov_b32_e32 v0, 0
	buffer_store_dword v0, off, s[0:3], s32 offset:380 ; 4-byte Folded Spill
	s_waitcnt vmcnt(0) lgkmcnt(0)
	v_cmp_ne_u16_sdwa s5, v27, v14 src0_sel:BYTE_0 src1_sel:DWORD
	s_and_saveexec_b32 s20, s5
	s_cbranch_execz .LBB355_474
; %bb.467:                              ;   in Loop: Header=BB355_15 Depth=1
	v_cmp_ne_u16_sdwa s5, v27, v7 src0_sel:BYTE_0 src1_sel:DWORD
	v_bfrev_b32_e32 v0, 1
	buffer_store_dword v0, off, s[0:3], s32 offset:380 ; 4-byte Folded Spill
	s_and_saveexec_b32 s21, s5
	s_cbranch_execz .LBB355_473
; %bb.468:                              ;   in Loop: Header=BB355_15 Depth=1
	v_and_b32_e32 v1, 0x7f, v27
	v_mov_b32_e32 v0, 0x7f800001
	s_mov_b32 s22, exec_lo
	buffer_store_dword v0, off, s[0:3], s32 offset:380 ; 4-byte Folded Spill
	v_cmpx_ne_u32_e32 0x7f, v1
	s_cbranch_execz .LBB355_472
; %bb.469:                              ;   in Loop: Header=BB355_15 Depth=1
	v_mov_b32_e32 v30, v28
	v_lshrrev_b32_e32 v0, 3, v1
	v_mov_b32_e32 v29, v27
	s_mov_b32 s23, exec_lo
	v_cmpx_gt_u32_e32 8, v1
; %bb.470:                              ;   in Loop: Header=BB355_15 Depth=1
	v_and_b32_e32 v0, 7, v27
	v_ffbh_u32_e32 v0, v0
	v_min_u32_e32 v0, 32, v0
	v_subrev_nc_u32_e32 v1, 28, v0
	v_sub_nc_u32_e32 v0, 29, v0
	v_lshlrev_b64 v[29:30], v1, v[27:28]
; %bb.471:                              ;   in Loop: Header=BB355_15 Depth=1
	s_or_b32 exec_lo, exec_lo, s23
	v_lshlrev_b32_e32 v1, 20, v29
	v_lshlrev_b32_e32 v2, 24, v27
	v_lshl_add_u32 v0, v0, 23, 0x3c000000
	v_and_b32_e32 v1, 0x700000, v1
	v_and_b32_e32 v2, 0x80000000, v2
	v_or3_b32 v0, v1, v2, v0
	buffer_store_dword v0, off, s[0:3], s32 offset:380 ; 4-byte Folded Spill
.LBB355_472:                            ;   in Loop: Header=BB355_15 Depth=1
	s_or_b32 exec_lo, exec_lo, s22
.LBB355_473:                            ;   in Loop: Header=BB355_15 Depth=1
	s_or_b32 exec_lo, exec_lo, s21
.LBB355_474:                            ;   in Loop: Header=BB355_15 Depth=1
	s_or_b32 exec_lo, exec_lo, s20
	v_cmp_ne_u16_sdwa s5, v27, v14 src0_sel:BYTE_1 src1_sel:DWORD
	s_and_saveexec_b32 s20, s5
	s_cbranch_execz .LBB355_482
; %bb.475:                              ;   in Loop: Header=BB355_15 Depth=1
	v_cmp_ne_u16_sdwa s5, v27, v7 src0_sel:BYTE_1 src1_sel:DWORD
	v_bfrev_b32_e32 v0, 1
	buffer_store_dword v0, off, s[0:3], s32 offset:384 ; 4-byte Folded Spill
	s_and_saveexec_b32 s21, s5
	s_cbranch_execz .LBB355_481
; %bb.476:                              ;   in Loop: Header=BB355_15 Depth=1
	v_mov_b32_e32 v0, 0xffff
	v_mov_b32_e32 v2, 0x7f800001
	s_mov_b32 s22, exec_lo
	v_and_b32_sdwa v0, v0, v27 dst_sel:DWORD dst_unused:UNUSED_PAD src0_sel:DWORD src1_sel:BYTE_1
	buffer_store_dword v2, off, s[0:3], s32 offset:384 ; 4-byte Folded Spill
	v_and_b32_e32 v1, 0x7f, v0
	v_cmpx_ne_u32_e32 0x7f, v1
	s_cbranch_execz .LBB355_480
; %bb.477:                              ;   in Loop: Header=BB355_15 Depth=1
	v_and_b32_e32 v13, 7, v0
	v_mov_b32_e32 v30, v14
	v_lshrrev_b32_e32 v0, 3, v1
	s_mov_b32 s23, exec_lo
	v_mov_b32_e32 v29, v13
	v_cmpx_gt_u32_e32 8, v1
; %bb.478:                              ;   in Loop: Header=BB355_15 Depth=1
	v_ffbh_u32_e32 v0, v13
	v_min_u32_e32 v0, 32, v0
	v_subrev_nc_u32_e32 v1, 28, v0
	v_sub_nc_u32_e32 v0, 29, v0
	v_lshlrev_b64 v[1:2], v1, v[13:14]
	v_and_b32_e32 v29, 7, v1
; %bb.479:                              ;   in Loop: Header=BB355_15 Depth=1
	s_or_b32 exec_lo, exec_lo, s23
	v_lshlrev_b32_e32 v1, 16, v27
	v_lshlrev_b32_e32 v2, 20, v29
	v_lshl_add_u32 v0, v0, 23, 0x3c000000
	v_and_b32_e32 v1, 0x80000000, v1
	v_or3_b32 v0, v2, v1, v0
	buffer_store_dword v0, off, s[0:3], s32 offset:384 ; 4-byte Folded Spill
.LBB355_480:                            ;   in Loop: Header=BB355_15 Depth=1
	s_or_b32 exec_lo, exec_lo, s22
.LBB355_481:                            ;   in Loop: Header=BB355_15 Depth=1
	s_or_b32 exec_lo, exec_lo, s21
.LBB355_482:                            ;   in Loop: Header=BB355_15 Depth=1
	s_or_b32 exec_lo, exec_lo, s20
	v_mov_b32_e32 v0, 0xff
	v_mov_b32_e32 v1, 0
	s_mov_b32 s20, exec_lo
	v_and_b32_sdwa v0, v27, v0 dst_sel:DWORD dst_unused:UNUSED_PAD src0_sel:WORD_1 src1_sel:DWORD
	buffer_store_dword v1, off, s[0:3], s32 offset:388 ; 4-byte Folded Spill
	v_mov_b32_e32 v1, 0
	buffer_store_dword v1, off, s[0:3], s32 offset:512 ; 4-byte Folded Spill
	v_cmpx_ne_u16_e32 0, v0
	s_cbranch_execz .LBB355_490
; %bb.483:                              ;   in Loop: Header=BB355_15 Depth=1
	v_cmp_ne_u16_e64 s5, 0x80, v0
	v_bfrev_b32_e32 v0, 1
	s_and_saveexec_b32 s21, s5
	s_cbranch_execz .LBB355_489
; %bb.484:                              ;   in Loop: Header=BB355_15 Depth=1
	v_bfe_u32 v1, v27, 16, 7
	v_mov_b32_e32 v0, 0x7f800001
	s_mov_b32 s22, exec_lo
	v_cmpx_ne_u32_e32 0x7f, v1
	s_cbranch_execz .LBB355_488
; %bb.485:                              ;   in Loop: Header=BB355_15 Depth=1
	v_mov_b32_e32 v0, 7
	s_mov_b32 s23, exec_lo
	v_and_b32_sdwa v13, v27, v0 dst_sel:DWORD dst_unused:UNUSED_PAD src0_sel:WORD_1 src1_sel:DWORD
	v_mov_b32_e32 v30, v14
	v_lshrrev_b32_e32 v0, 3, v1
	v_mov_b32_e32 v29, v13
	v_cmpx_gt_u32_e32 8, v1
; %bb.486:                              ;   in Loop: Header=BB355_15 Depth=1
	v_ffbh_u32_e32 v0, v13
	v_min_u32_e32 v0, 32, v0
	v_subrev_nc_u32_e32 v1, 28, v0
	v_sub_nc_u32_e32 v0, 29, v0
	v_lshlrev_b64 v[1:2], v1, v[13:14]
	v_and_b32_e32 v29, 7, v1
; %bb.487:                              ;   in Loop: Header=BB355_15 Depth=1
	s_or_b32 exec_lo, exec_lo, s23
	v_mov_b32_e32 v1, 24
	v_lshlrev_b32_e32 v2, 20, v29
	v_lshl_add_u32 v0, v0, 23, 0x3c000000
	v_lshlrev_b32_sdwa v1, v1, v27 dst_sel:DWORD dst_unused:UNUSED_PAD src0_sel:DWORD src1_sel:WORD_1
	v_and_b32_e32 v1, 0x80000000, v1
	v_or3_b32 v0, v2, v1, v0
.LBB355_488:                            ;   in Loop: Header=BB355_15 Depth=1
	s_or_b32 exec_lo, exec_lo, s22
.LBB355_489:                            ;   in Loop: Header=BB355_15 Depth=1
	s_or_b32 exec_lo, exec_lo, s21
	buffer_store_dword v0, off, s[0:3], s32 offset:512 ; 4-byte Folded Spill
.LBB355_490:                            ;   in Loop: Header=BB355_15 Depth=1
	s_or_b32 exec_lo, exec_lo, s20
	s_mov_b32 s20, exec_lo
	v_cmpx_lt_u32_e32 0xffffff, v27
	s_cbranch_execz .LBB355_498
; %bb.491:                              ;   in Loop: Header=BB355_15 Depth=1
	v_cmp_ne_u32_sdwa s5, v27, v7 src0_sel:BYTE_3 src1_sel:DWORD
	v_bfrev_b32_e32 v0, 1
	buffer_store_dword v0, off, s[0:3], s32 offset:388 ; 4-byte Folded Spill
	s_and_saveexec_b32 s21, s5
	s_cbranch_execz .LBB355_497
; %bb.492:                              ;   in Loop: Header=BB355_15 Depth=1
	v_bfe_u32 v1, v27, 24, 7
	v_mov_b32_e32 v0, 0x7f800001
	s_mov_b32 s22, exec_lo
	buffer_store_dword v0, off, s[0:3], s32 offset:388 ; 4-byte Folded Spill
	v_cmpx_ne_u32_e32 0x7f, v1
	s_cbranch_execz .LBB355_496
; %bb.493:                              ;   in Loop: Header=BB355_15 Depth=1
	v_mov_b32_e32 v0, 7
	s_mov_b32 s23, exec_lo
	v_and_b32_sdwa v13, v27, v0 dst_sel:DWORD dst_unused:UNUSED_PAD src0_sel:BYTE_3 src1_sel:DWORD
	v_mov_b32_e32 v30, v14
	v_lshrrev_b32_e32 v0, 3, v1
	v_mov_b32_e32 v29, v13
	v_cmpx_gt_u32_e32 8, v1
; %bb.494:                              ;   in Loop: Header=BB355_15 Depth=1
	v_ffbh_u32_e32 v0, v13
	v_min_u32_e32 v0, 32, v0
	v_subrev_nc_u32_e32 v1, 28, v0
	v_sub_nc_u32_e32 v0, 29, v0
	v_lshlrev_b64 v[1:2], v1, v[13:14]
	v_and_b32_e32 v29, 7, v1
; %bb.495:                              ;   in Loop: Header=BB355_15 Depth=1
	s_or_b32 exec_lo, exec_lo, s23
	v_mov_b32_e32 v1, 24
	v_lshlrev_b32_e32 v2, 20, v29
	v_lshl_add_u32 v0, v0, 23, 0x3c000000
	v_lshlrev_b32_sdwa v1, v1, v27 dst_sel:DWORD dst_unused:UNUSED_PAD src0_sel:DWORD src1_sel:BYTE_3
	v_and_b32_e32 v1, 0x80000000, v1
	v_or3_b32 v0, v2, v1, v0
	buffer_store_dword v0, off, s[0:3], s32 offset:388 ; 4-byte Folded Spill
.LBB355_496:                            ;   in Loop: Header=BB355_15 Depth=1
	s_or_b32 exec_lo, exec_lo, s22
.LBB355_497:                            ;   in Loop: Header=BB355_15 Depth=1
	s_or_b32 exec_lo, exec_lo, s21
.LBB355_498:                            ;   in Loop: Header=BB355_15 Depth=1
	s_or_b32 exec_lo, exec_lo, s20
	v_mov_b32_e32 v0, 0
	v_mov_b32_e32 v13, v28
	v_cmp_ne_u16_sdwa s5, v28, v14 src0_sel:BYTE_0 src1_sel:DWORD
	buffer_store_dword v0, off, s[0:3], s32 offset:396 ; 4-byte Folded Spill
	v_mov_b32_e32 v0, 0
	buffer_store_dword v0, off, s[0:3], s32 offset:392 ; 4-byte Folded Spill
	s_and_saveexec_b32 s20, s5
	s_cbranch_execz .LBB355_506
; %bb.499:                              ;   in Loop: Header=BB355_15 Depth=1
	v_cmp_ne_u16_sdwa s5, v28, v7 src0_sel:BYTE_0 src1_sel:DWORD
	v_bfrev_b32_e32 v0, 1
	buffer_store_dword v0, off, s[0:3], s32 offset:392 ; 4-byte Folded Spill
	s_and_saveexec_b32 s21, s5
	s_cbranch_execz .LBB355_505
; %bb.500:                              ;   in Loop: Header=BB355_15 Depth=1
	v_and_b32_e32 v1, 0x7f, v28
	v_mov_b32_e32 v0, 0x7f800001
	s_mov_b32 s22, exec_lo
	buffer_store_dword v0, off, s[0:3], s32 offset:392 ; 4-byte Folded Spill
	v_cmpx_ne_u32_e32 0x7f, v1
	s_cbranch_execz .LBB355_504
; %bb.501:                              ;   in Loop: Header=BB355_15 Depth=1
	v_mov_b32_e32 v30, v14
	v_lshrrev_b32_e32 v0, 3, v1
	v_mov_b32_e32 v29, v13
	s_mov_b32 s23, exec_lo
	v_cmpx_gt_u32_e32 8, v1
; %bb.502:                              ;   in Loop: Header=BB355_15 Depth=1
	v_and_b32_e32 v0, 7, v28
	v_ffbh_u32_e32 v0, v0
	v_min_u32_e32 v0, 32, v0
	v_subrev_nc_u32_e32 v1, 28, v0
	v_sub_nc_u32_e32 v0, 29, v0
	v_lshlrev_b64 v[29:30], v1, v[13:14]
; %bb.503:                              ;   in Loop: Header=BB355_15 Depth=1
	s_or_b32 exec_lo, exec_lo, s23
	v_lshlrev_b32_e32 v1, 20, v29
	v_lshlrev_b32_e32 v2, 24, v13
	v_lshl_add_u32 v0, v0, 23, 0x3c000000
	v_and_b32_e32 v1, 0x700000, v1
	v_and_b32_e32 v2, 0x80000000, v2
	v_or3_b32 v0, v1, v2, v0
	buffer_store_dword v0, off, s[0:3], s32 offset:392 ; 4-byte Folded Spill
.LBB355_504:                            ;   in Loop: Header=BB355_15 Depth=1
	s_or_b32 exec_lo, exec_lo, s22
.LBB355_505:                            ;   in Loop: Header=BB355_15 Depth=1
	s_or_b32 exec_lo, exec_lo, s21
.LBB355_506:                            ;   in Loop: Header=BB355_15 Depth=1
	s_or_b32 exec_lo, exec_lo, s20
	v_cmp_ne_u16_sdwa s5, v13, v14 src0_sel:BYTE_1 src1_sel:DWORD
	s_and_saveexec_b32 s20, s5
	s_cbranch_execz .LBB355_514
; %bb.507:                              ;   in Loop: Header=BB355_15 Depth=1
	v_cmp_ne_u16_sdwa s5, v13, v7 src0_sel:BYTE_1 src1_sel:DWORD
	v_bfrev_b32_e32 v0, 1
	buffer_store_dword v0, off, s[0:3], s32 offset:396 ; 4-byte Folded Spill
	s_and_saveexec_b32 s21, s5
	s_cbranch_execz .LBB355_513
; %bb.508:                              ;   in Loop: Header=BB355_15 Depth=1
	v_mov_b32_e32 v0, 0xffff
	v_mov_b32_e32 v2, 0x7f800001
	s_mov_b32 s22, exec_lo
	v_and_b32_sdwa v0, v0, v13 dst_sel:DWORD dst_unused:UNUSED_PAD src0_sel:DWORD src1_sel:BYTE_1
	buffer_store_dword v2, off, s[0:3], s32 offset:396 ; 4-byte Folded Spill
	v_and_b32_e32 v1, 0x7f, v0
	v_cmpx_ne_u32_e32 0x7f, v1
	s_cbranch_execz .LBB355_512
; %bb.509:                              ;   in Loop: Header=BB355_15 Depth=1
	v_and_b32_e32 v29, 7, v0
	v_mov_b32_e32 v30, v14
	v_lshrrev_b32_e32 v0, 3, v1
	s_mov_b32 s23, exec_lo
	v_cmpx_gt_u32_e32 8, v1
; %bb.510:                              ;   in Loop: Header=BB355_15 Depth=1
	v_ffbh_u32_e32 v0, v29
	v_min_u32_e32 v0, 32, v0
	v_subrev_nc_u32_e32 v1, 28, v0
	v_sub_nc_u32_e32 v0, 29, v0
	v_lshlrev_b64 v[1:2], v1, v[29:30]
	v_and_b32_e32 v29, 7, v1
; %bb.511:                              ;   in Loop: Header=BB355_15 Depth=1
	s_or_b32 exec_lo, exec_lo, s23
	v_lshlrev_b32_e32 v1, 16, v13
	v_lshlrev_b32_e32 v2, 20, v29
	v_lshl_add_u32 v0, v0, 23, 0x3c000000
	v_and_b32_e32 v1, 0x80000000, v1
	v_or3_b32 v0, v2, v1, v0
	buffer_store_dword v0, off, s[0:3], s32 offset:396 ; 4-byte Folded Spill
.LBB355_512:                            ;   in Loop: Header=BB355_15 Depth=1
	s_or_b32 exec_lo, exec_lo, s22
.LBB355_513:                            ;   in Loop: Header=BB355_15 Depth=1
	s_or_b32 exec_lo, exec_lo, s21
.LBB355_514:                            ;   in Loop: Header=BB355_15 Depth=1
	s_or_b32 exec_lo, exec_lo, s20
	v_mov_b32_e32 v0, 0xff
	v_mov_b32_e32 v1, 0
	s_mov_b32 s20, exec_lo
	v_and_b32_sdwa v0, v28, v0 dst_sel:DWORD dst_unused:UNUSED_PAD src0_sel:WORD_1 src1_sel:DWORD
	buffer_store_dword v1, off, s[0:3], s32 offset:400 ; 4-byte Folded Spill
	v_mov_b32_e32 v1, 0
	buffer_store_dword v1, off, s[0:3], s32 offset:516 ; 4-byte Folded Spill
	v_cmpx_ne_u16_e32 0, v0
	s_cbranch_execz .LBB355_522
; %bb.515:                              ;   in Loop: Header=BB355_15 Depth=1
	v_cmp_ne_u16_e64 s5, 0x80, v0
	v_bfrev_b32_e32 v0, 1
	s_and_saveexec_b32 s21, s5
	s_cbranch_execz .LBB355_521
; %bb.516:                              ;   in Loop: Header=BB355_15 Depth=1
	v_bfe_u32 v1, v28, 16, 7
	v_mov_b32_e32 v0, 0x7f800001
	s_mov_b32 s22, exec_lo
	v_cmpx_ne_u32_e32 0x7f, v1
	s_cbranch_execz .LBB355_520
; %bb.517:                              ;   in Loop: Header=BB355_15 Depth=1
	v_mov_b32_e32 v0, 7
	s_mov_b32 s23, exec_lo
	v_and_b32_sdwa v13, v28, v0 dst_sel:DWORD dst_unused:UNUSED_PAD src0_sel:WORD_1 src1_sel:DWORD
	v_mov_b32_e32 v30, v14
	v_lshrrev_b32_e32 v0, 3, v1
	v_mov_b32_e32 v29, v13
	v_cmpx_gt_u32_e32 8, v1
; %bb.518:                              ;   in Loop: Header=BB355_15 Depth=1
	v_ffbh_u32_e32 v0, v13
	v_min_u32_e32 v0, 32, v0
	v_subrev_nc_u32_e32 v1, 28, v0
	v_sub_nc_u32_e32 v0, 29, v0
	v_lshlrev_b64 v[1:2], v1, v[13:14]
	v_and_b32_e32 v29, 7, v1
; %bb.519:                              ;   in Loop: Header=BB355_15 Depth=1
	s_or_b32 exec_lo, exec_lo, s23
	v_mov_b32_e32 v1, 24
	v_lshlrev_b32_e32 v2, 20, v29
	v_lshl_add_u32 v0, v0, 23, 0x3c000000
	v_lshlrev_b32_sdwa v1, v1, v28 dst_sel:DWORD dst_unused:UNUSED_PAD src0_sel:DWORD src1_sel:WORD_1
	v_and_b32_e32 v1, 0x80000000, v1
	v_or3_b32 v0, v2, v1, v0
.LBB355_520:                            ;   in Loop: Header=BB355_15 Depth=1
	s_or_b32 exec_lo, exec_lo, s22
.LBB355_521:                            ;   in Loop: Header=BB355_15 Depth=1
	s_or_b32 exec_lo, exec_lo, s21
	buffer_store_dword v0, off, s[0:3], s32 offset:516 ; 4-byte Folded Spill
.LBB355_522:                            ;   in Loop: Header=BB355_15 Depth=1
	s_or_b32 exec_lo, exec_lo, s20
	s_mov_b32 s20, exec_lo
	v_cmpx_lt_u64_e64 s[12:13], v[27:28]
	s_cbranch_execz .LBB355_530
; %bb.523:                              ;   in Loop: Header=BB355_15 Depth=1
	v_cmp_ne_u32_sdwa s5, v28, v7 src0_sel:BYTE_3 src1_sel:DWORD
	v_bfrev_b32_e32 v0, 1
	buffer_store_dword v0, off, s[0:3], s32 offset:400 ; 4-byte Folded Spill
	s_and_saveexec_b32 s21, s5
	s_cbranch_execz .LBB355_529
; %bb.524:                              ;   in Loop: Header=BB355_15 Depth=1
	v_bfe_u32 v1, v28, 24, 7
	v_mov_b32_e32 v0, 0x7f800001
	s_mov_b32 s22, exec_lo
	buffer_store_dword v0, off, s[0:3], s32 offset:400 ; 4-byte Folded Spill
	v_cmpx_ne_u32_e32 0x7f, v1
	s_cbranch_execz .LBB355_528
; %bb.525:                              ;   in Loop: Header=BB355_15 Depth=1
	v_mov_b32_e32 v0, 7
	s_mov_b32 s23, exec_lo
	v_and_b32_sdwa v13, v28, v0 dst_sel:DWORD dst_unused:UNUSED_PAD src0_sel:BYTE_3 src1_sel:DWORD
	v_mov_b32_e32 v30, v14
	v_lshrrev_b32_e32 v0, 3, v1
	v_mov_b32_e32 v29, v13
	v_cmpx_gt_u32_e32 8, v1
; %bb.526:                              ;   in Loop: Header=BB355_15 Depth=1
	v_ffbh_u32_e32 v0, v13
	v_min_u32_e32 v0, 32, v0
	v_subrev_nc_u32_e32 v1, 28, v0
	v_sub_nc_u32_e32 v0, 29, v0
	v_lshlrev_b64 v[1:2], v1, v[13:14]
	v_and_b32_e32 v29, 7, v1
; %bb.527:                              ;   in Loop: Header=BB355_15 Depth=1
	s_or_b32 exec_lo, exec_lo, s23
	v_mov_b32_e32 v1, 24
	v_lshlrev_b32_e32 v2, 20, v29
	v_lshl_add_u32 v0, v0, 23, 0x3c000000
	v_lshlrev_b32_sdwa v1, v1, v28 dst_sel:DWORD dst_unused:UNUSED_PAD src0_sel:DWORD src1_sel:BYTE_3
	v_and_b32_e32 v1, 0x80000000, v1
	v_or3_b32 v0, v2, v1, v0
	buffer_store_dword v0, off, s[0:3], s32 offset:400 ; 4-byte Folded Spill
.LBB355_528:                            ;   in Loop: Header=BB355_15 Depth=1
	s_or_b32 exec_lo, exec_lo, s22
.LBB355_529:                            ;   in Loop: Header=BB355_15 Depth=1
	s_or_b32 exec_lo, exec_lo, s21
.LBB355_530:                            ;   in Loop: Header=BB355_15 Depth=1
	s_or_b32 exec_lo, exec_lo, s20
	v_add_co_u32 v27, s5, 0x800, v24
	v_add_co_ci_u32_e64 v28, null, 0, v25, s5
	v_mov_b32_e32 v0, 0
	flat_load_dwordx2 v[29:30], v[27:28]
	buffer_store_dword v0, off, s[0:3], s32 offset:408 ; 4-byte Folded Spill
	v_mov_b32_e32 v0, 0
	buffer_store_dword v0, off, s[0:3], s32 offset:404 ; 4-byte Folded Spill
	s_waitcnt vmcnt(0) lgkmcnt(0)
	v_cmp_ne_u16_sdwa s5, v29, v14 src0_sel:BYTE_0 src1_sel:DWORD
	s_and_saveexec_b32 s20, s5
	s_cbranch_execz .LBB355_538
; %bb.531:                              ;   in Loop: Header=BB355_15 Depth=1
	v_cmp_ne_u16_sdwa s5, v29, v7 src0_sel:BYTE_0 src1_sel:DWORD
	v_bfrev_b32_e32 v0, 1
	buffer_store_dword v0, off, s[0:3], s32 offset:404 ; 4-byte Folded Spill
	s_and_saveexec_b32 s21, s5
	s_cbranch_execz .LBB355_537
; %bb.532:                              ;   in Loop: Header=BB355_15 Depth=1
	v_and_b32_e32 v1, 0x7f, v29
	v_mov_b32_e32 v0, 0x7f800001
	s_mov_b32 s22, exec_lo
	buffer_store_dword v0, off, s[0:3], s32 offset:404 ; 4-byte Folded Spill
	v_cmpx_ne_u32_e32 0x7f, v1
	s_cbranch_execz .LBB355_536
; %bb.533:                              ;   in Loop: Header=BB355_15 Depth=1
	v_mov_b32_e32 v32, v30
	v_lshrrev_b32_e32 v0, 3, v1
	v_mov_b32_e32 v31, v29
	s_mov_b32 s23, exec_lo
	v_cmpx_gt_u32_e32 8, v1
; %bb.534:                              ;   in Loop: Header=BB355_15 Depth=1
	v_and_b32_e32 v0, 7, v29
	v_ffbh_u32_e32 v0, v0
	v_min_u32_e32 v0, 32, v0
	v_subrev_nc_u32_e32 v1, 28, v0
	v_sub_nc_u32_e32 v0, 29, v0
	v_lshlrev_b64 v[31:32], v1, v[29:30]
; %bb.535:                              ;   in Loop: Header=BB355_15 Depth=1
	s_or_b32 exec_lo, exec_lo, s23
	v_lshlrev_b32_e32 v1, 20, v31
	v_lshlrev_b32_e32 v2, 24, v29
	v_lshl_add_u32 v0, v0, 23, 0x3c000000
	v_and_b32_e32 v1, 0x700000, v1
	v_and_b32_e32 v2, 0x80000000, v2
	v_or3_b32 v0, v1, v2, v0
	buffer_store_dword v0, off, s[0:3], s32 offset:404 ; 4-byte Folded Spill
.LBB355_536:                            ;   in Loop: Header=BB355_15 Depth=1
	s_or_b32 exec_lo, exec_lo, s22
.LBB355_537:                            ;   in Loop: Header=BB355_15 Depth=1
	s_or_b32 exec_lo, exec_lo, s21
.LBB355_538:                            ;   in Loop: Header=BB355_15 Depth=1
	s_or_b32 exec_lo, exec_lo, s20
	v_cmp_ne_u16_sdwa s5, v29, v14 src0_sel:BYTE_1 src1_sel:DWORD
	s_and_saveexec_b32 s20, s5
	s_cbranch_execz .LBB355_546
; %bb.539:                              ;   in Loop: Header=BB355_15 Depth=1
	v_cmp_ne_u16_sdwa s5, v29, v7 src0_sel:BYTE_1 src1_sel:DWORD
	v_bfrev_b32_e32 v0, 1
	buffer_store_dword v0, off, s[0:3], s32 offset:408 ; 4-byte Folded Spill
	s_and_saveexec_b32 s21, s5
	s_cbranch_execz .LBB355_545
; %bb.540:                              ;   in Loop: Header=BB355_15 Depth=1
	v_mov_b32_e32 v0, 0xffff
	v_mov_b32_e32 v2, 0x7f800001
	s_mov_b32 s22, exec_lo
	v_and_b32_sdwa v0, v0, v29 dst_sel:DWORD dst_unused:UNUSED_PAD src0_sel:DWORD src1_sel:BYTE_1
	buffer_store_dword v2, off, s[0:3], s32 offset:408 ; 4-byte Folded Spill
	v_and_b32_e32 v1, 0x7f, v0
	v_cmpx_ne_u32_e32 0x7f, v1
	s_cbranch_execz .LBB355_544
; %bb.541:                              ;   in Loop: Header=BB355_15 Depth=1
	v_and_b32_e32 v13, 7, v0
	v_mov_b32_e32 v32, v14
	v_lshrrev_b32_e32 v0, 3, v1
	s_mov_b32 s23, exec_lo
	v_mov_b32_e32 v31, v13
	v_cmpx_gt_u32_e32 8, v1
; %bb.542:                              ;   in Loop: Header=BB355_15 Depth=1
	v_ffbh_u32_e32 v0, v13
	v_min_u32_e32 v0, 32, v0
	v_subrev_nc_u32_e32 v1, 28, v0
	v_sub_nc_u32_e32 v0, 29, v0
	v_lshlrev_b64 v[1:2], v1, v[13:14]
	v_and_b32_e32 v31, 7, v1
; %bb.543:                              ;   in Loop: Header=BB355_15 Depth=1
	s_or_b32 exec_lo, exec_lo, s23
	v_lshlrev_b32_e32 v1, 16, v29
	v_lshlrev_b32_e32 v2, 20, v31
	v_lshl_add_u32 v0, v0, 23, 0x3c000000
	v_and_b32_e32 v1, 0x80000000, v1
	v_or3_b32 v0, v2, v1, v0
	buffer_store_dword v0, off, s[0:3], s32 offset:408 ; 4-byte Folded Spill
.LBB355_544:                            ;   in Loop: Header=BB355_15 Depth=1
	s_or_b32 exec_lo, exec_lo, s22
.LBB355_545:                            ;   in Loop: Header=BB355_15 Depth=1
	s_or_b32 exec_lo, exec_lo, s21
.LBB355_546:                            ;   in Loop: Header=BB355_15 Depth=1
	s_or_b32 exec_lo, exec_lo, s20
	v_mov_b32_e32 v0, 0xff
	v_mov_b32_e32 v1, 0
	s_mov_b32 s20, exec_lo
	v_and_b32_sdwa v0, v29, v0 dst_sel:DWORD dst_unused:UNUSED_PAD src0_sel:WORD_1 src1_sel:DWORD
	buffer_store_dword v1, off, s[0:3], s32 offset:412 ; 4-byte Folded Spill
	v_mov_b32_e32 v1, 0
	buffer_store_dword v1, off, s[0:3], s32 offset:520 ; 4-byte Folded Spill
	v_cmpx_ne_u16_e32 0, v0
	s_cbranch_execz .LBB355_554
; %bb.547:                              ;   in Loop: Header=BB355_15 Depth=1
	v_cmp_ne_u16_e64 s5, 0x80, v0
	v_bfrev_b32_e32 v0, 1
	s_and_saveexec_b32 s21, s5
	s_cbranch_execz .LBB355_553
; %bb.548:                              ;   in Loop: Header=BB355_15 Depth=1
	v_bfe_u32 v1, v29, 16, 7
	v_mov_b32_e32 v0, 0x7f800001
	s_mov_b32 s22, exec_lo
	v_cmpx_ne_u32_e32 0x7f, v1
	s_cbranch_execz .LBB355_552
; %bb.549:                              ;   in Loop: Header=BB355_15 Depth=1
	v_mov_b32_e32 v0, 7
	s_mov_b32 s23, exec_lo
	v_and_b32_sdwa v13, v29, v0 dst_sel:DWORD dst_unused:UNUSED_PAD src0_sel:WORD_1 src1_sel:DWORD
	v_mov_b32_e32 v32, v14
	v_lshrrev_b32_e32 v0, 3, v1
	v_mov_b32_e32 v31, v13
	v_cmpx_gt_u32_e32 8, v1
; %bb.550:                              ;   in Loop: Header=BB355_15 Depth=1
	v_ffbh_u32_e32 v0, v13
	v_min_u32_e32 v0, 32, v0
	v_subrev_nc_u32_e32 v1, 28, v0
	v_sub_nc_u32_e32 v0, 29, v0
	v_lshlrev_b64 v[1:2], v1, v[13:14]
	v_and_b32_e32 v31, 7, v1
; %bb.551:                              ;   in Loop: Header=BB355_15 Depth=1
	s_or_b32 exec_lo, exec_lo, s23
	v_mov_b32_e32 v1, 24
	v_lshlrev_b32_e32 v2, 20, v31
	v_lshl_add_u32 v0, v0, 23, 0x3c000000
	v_lshlrev_b32_sdwa v1, v1, v29 dst_sel:DWORD dst_unused:UNUSED_PAD src0_sel:DWORD src1_sel:WORD_1
	v_and_b32_e32 v1, 0x80000000, v1
	v_or3_b32 v0, v2, v1, v0
.LBB355_552:                            ;   in Loop: Header=BB355_15 Depth=1
	s_or_b32 exec_lo, exec_lo, s22
.LBB355_553:                            ;   in Loop: Header=BB355_15 Depth=1
	s_or_b32 exec_lo, exec_lo, s21
	buffer_store_dword v0, off, s[0:3], s32 offset:520 ; 4-byte Folded Spill
.LBB355_554:                            ;   in Loop: Header=BB355_15 Depth=1
	s_or_b32 exec_lo, exec_lo, s20
	s_mov_b32 s20, exec_lo
	v_cmpx_lt_u32_e32 0xffffff, v29
	s_cbranch_execz .LBB355_562
; %bb.555:                              ;   in Loop: Header=BB355_15 Depth=1
	v_cmp_ne_u32_sdwa s5, v29, v7 src0_sel:BYTE_3 src1_sel:DWORD
	v_bfrev_b32_e32 v0, 1
	buffer_store_dword v0, off, s[0:3], s32 offset:412 ; 4-byte Folded Spill
	s_and_saveexec_b32 s21, s5
	s_cbranch_execz .LBB355_561
; %bb.556:                              ;   in Loop: Header=BB355_15 Depth=1
	v_bfe_u32 v1, v29, 24, 7
	v_mov_b32_e32 v0, 0x7f800001
	s_mov_b32 s22, exec_lo
	buffer_store_dword v0, off, s[0:3], s32 offset:412 ; 4-byte Folded Spill
	v_cmpx_ne_u32_e32 0x7f, v1
	s_cbranch_execz .LBB355_560
; %bb.557:                              ;   in Loop: Header=BB355_15 Depth=1
	v_mov_b32_e32 v0, 7
	s_mov_b32 s23, exec_lo
	v_and_b32_sdwa v13, v29, v0 dst_sel:DWORD dst_unused:UNUSED_PAD src0_sel:BYTE_3 src1_sel:DWORD
	v_mov_b32_e32 v32, v14
	v_lshrrev_b32_e32 v0, 3, v1
	v_mov_b32_e32 v31, v13
	v_cmpx_gt_u32_e32 8, v1
; %bb.558:                              ;   in Loop: Header=BB355_15 Depth=1
	v_ffbh_u32_e32 v0, v13
	v_min_u32_e32 v0, 32, v0
	v_subrev_nc_u32_e32 v1, 28, v0
	v_sub_nc_u32_e32 v0, 29, v0
	v_lshlrev_b64 v[1:2], v1, v[13:14]
	v_and_b32_e32 v31, 7, v1
; %bb.559:                              ;   in Loop: Header=BB355_15 Depth=1
	s_or_b32 exec_lo, exec_lo, s23
	v_mov_b32_e32 v1, 24
	v_lshlrev_b32_e32 v2, 20, v31
	v_lshl_add_u32 v0, v0, 23, 0x3c000000
	v_lshlrev_b32_sdwa v1, v1, v29 dst_sel:DWORD dst_unused:UNUSED_PAD src0_sel:DWORD src1_sel:BYTE_3
	v_and_b32_e32 v1, 0x80000000, v1
	v_or3_b32 v0, v2, v1, v0
	buffer_store_dword v0, off, s[0:3], s32 offset:412 ; 4-byte Folded Spill
.LBB355_560:                            ;   in Loop: Header=BB355_15 Depth=1
	s_or_b32 exec_lo, exec_lo, s22
.LBB355_561:                            ;   in Loop: Header=BB355_15 Depth=1
	s_or_b32 exec_lo, exec_lo, s21
.LBB355_562:                            ;   in Loop: Header=BB355_15 Depth=1
	s_or_b32 exec_lo, exec_lo, s20
	v_mov_b32_e32 v0, 0
	v_mov_b32_e32 v13, v30
	v_cmp_ne_u16_sdwa s5, v30, v14 src0_sel:BYTE_0 src1_sel:DWORD
	buffer_store_dword v0, off, s[0:3], s32 offset:420 ; 4-byte Folded Spill
	v_mov_b32_e32 v0, 0
	buffer_store_dword v0, off, s[0:3], s32 offset:416 ; 4-byte Folded Spill
	s_and_saveexec_b32 s20, s5
	s_cbranch_execz .LBB355_570
; %bb.563:                              ;   in Loop: Header=BB355_15 Depth=1
	v_cmp_ne_u16_sdwa s5, v30, v7 src0_sel:BYTE_0 src1_sel:DWORD
	v_bfrev_b32_e32 v0, 1
	buffer_store_dword v0, off, s[0:3], s32 offset:416 ; 4-byte Folded Spill
	s_and_saveexec_b32 s21, s5
	s_cbranch_execz .LBB355_569
; %bb.564:                              ;   in Loop: Header=BB355_15 Depth=1
	v_and_b32_e32 v1, 0x7f, v30
	v_mov_b32_e32 v0, 0x7f800001
	s_mov_b32 s22, exec_lo
	buffer_store_dword v0, off, s[0:3], s32 offset:416 ; 4-byte Folded Spill
	v_cmpx_ne_u32_e32 0x7f, v1
	s_cbranch_execz .LBB355_568
; %bb.565:                              ;   in Loop: Header=BB355_15 Depth=1
	v_mov_b32_e32 v32, v14
	v_lshrrev_b32_e32 v0, 3, v1
	v_mov_b32_e32 v31, v13
	s_mov_b32 s23, exec_lo
	v_cmpx_gt_u32_e32 8, v1
; %bb.566:                              ;   in Loop: Header=BB355_15 Depth=1
	v_and_b32_e32 v0, 7, v30
	v_ffbh_u32_e32 v0, v0
	v_min_u32_e32 v0, 32, v0
	v_subrev_nc_u32_e32 v1, 28, v0
	v_sub_nc_u32_e32 v0, 29, v0
	v_lshlrev_b64 v[31:32], v1, v[13:14]
; %bb.567:                              ;   in Loop: Header=BB355_15 Depth=1
	s_or_b32 exec_lo, exec_lo, s23
	v_lshlrev_b32_e32 v1, 20, v31
	v_lshlrev_b32_e32 v2, 24, v13
	v_lshl_add_u32 v0, v0, 23, 0x3c000000
	v_and_b32_e32 v1, 0x700000, v1
	v_and_b32_e32 v2, 0x80000000, v2
	v_or3_b32 v0, v1, v2, v0
	buffer_store_dword v0, off, s[0:3], s32 offset:416 ; 4-byte Folded Spill
.LBB355_568:                            ;   in Loop: Header=BB355_15 Depth=1
	s_or_b32 exec_lo, exec_lo, s22
.LBB355_569:                            ;   in Loop: Header=BB355_15 Depth=1
	s_or_b32 exec_lo, exec_lo, s21
.LBB355_570:                            ;   in Loop: Header=BB355_15 Depth=1
	s_or_b32 exec_lo, exec_lo, s20
	v_cmp_ne_u16_sdwa s5, v13, v14 src0_sel:BYTE_1 src1_sel:DWORD
	s_and_saveexec_b32 s20, s5
	s_cbranch_execz .LBB355_578
; %bb.571:                              ;   in Loop: Header=BB355_15 Depth=1
	v_cmp_ne_u16_sdwa s5, v13, v7 src0_sel:BYTE_1 src1_sel:DWORD
	v_bfrev_b32_e32 v0, 1
	buffer_store_dword v0, off, s[0:3], s32 offset:420 ; 4-byte Folded Spill
	s_and_saveexec_b32 s21, s5
	s_cbranch_execz .LBB355_577
; %bb.572:                              ;   in Loop: Header=BB355_15 Depth=1
	v_mov_b32_e32 v0, 0xffff
	v_mov_b32_e32 v2, 0x7f800001
	s_mov_b32 s22, exec_lo
	v_and_b32_sdwa v0, v0, v13 dst_sel:DWORD dst_unused:UNUSED_PAD src0_sel:DWORD src1_sel:BYTE_1
	buffer_store_dword v2, off, s[0:3], s32 offset:420 ; 4-byte Folded Spill
	v_and_b32_e32 v1, 0x7f, v0
	v_cmpx_ne_u32_e32 0x7f, v1
	s_cbranch_execz .LBB355_576
; %bb.573:                              ;   in Loop: Header=BB355_15 Depth=1
	v_and_b32_e32 v31, 7, v0
	v_mov_b32_e32 v32, v14
	v_lshrrev_b32_e32 v0, 3, v1
	s_mov_b32 s23, exec_lo
	v_cmpx_gt_u32_e32 8, v1
; %bb.574:                              ;   in Loop: Header=BB355_15 Depth=1
	v_ffbh_u32_e32 v0, v31
	v_min_u32_e32 v0, 32, v0
	v_subrev_nc_u32_e32 v1, 28, v0
	v_sub_nc_u32_e32 v0, 29, v0
	v_lshlrev_b64 v[1:2], v1, v[31:32]
	v_and_b32_e32 v31, 7, v1
; %bb.575:                              ;   in Loop: Header=BB355_15 Depth=1
	s_or_b32 exec_lo, exec_lo, s23
	v_lshlrev_b32_e32 v1, 16, v13
	v_lshlrev_b32_e32 v2, 20, v31
	v_lshl_add_u32 v0, v0, 23, 0x3c000000
	v_and_b32_e32 v1, 0x80000000, v1
	v_or3_b32 v0, v2, v1, v0
	buffer_store_dword v0, off, s[0:3], s32 offset:420 ; 4-byte Folded Spill
.LBB355_576:                            ;   in Loop: Header=BB355_15 Depth=1
	s_or_b32 exec_lo, exec_lo, s22
.LBB355_577:                            ;   in Loop: Header=BB355_15 Depth=1
	s_or_b32 exec_lo, exec_lo, s21
.LBB355_578:                            ;   in Loop: Header=BB355_15 Depth=1
	s_or_b32 exec_lo, exec_lo, s20
	v_mov_b32_e32 v0, 0xff
	v_mov_b32_e32 v1, 0
	s_mov_b32 s20, exec_lo
	v_and_b32_sdwa v0, v30, v0 dst_sel:DWORD dst_unused:UNUSED_PAD src0_sel:WORD_1 src1_sel:DWORD
	buffer_store_dword v1, off, s[0:3], s32 offset:424 ; 4-byte Folded Spill
	v_mov_b32_e32 v1, 0
	buffer_store_dword v1, off, s[0:3], s32 offset:524 ; 4-byte Folded Spill
	v_cmpx_ne_u16_e32 0, v0
	s_cbranch_execz .LBB355_586
; %bb.579:                              ;   in Loop: Header=BB355_15 Depth=1
	v_cmp_ne_u16_e64 s5, 0x80, v0
	v_bfrev_b32_e32 v0, 1
	s_and_saveexec_b32 s21, s5
	s_cbranch_execz .LBB355_585
; %bb.580:                              ;   in Loop: Header=BB355_15 Depth=1
	v_bfe_u32 v1, v30, 16, 7
	v_mov_b32_e32 v0, 0x7f800001
	s_mov_b32 s22, exec_lo
	v_cmpx_ne_u32_e32 0x7f, v1
	s_cbranch_execz .LBB355_584
; %bb.581:                              ;   in Loop: Header=BB355_15 Depth=1
	v_mov_b32_e32 v0, 7
	s_mov_b32 s23, exec_lo
	v_and_b32_sdwa v13, v30, v0 dst_sel:DWORD dst_unused:UNUSED_PAD src0_sel:WORD_1 src1_sel:DWORD
	v_mov_b32_e32 v32, v14
	v_lshrrev_b32_e32 v0, 3, v1
	v_mov_b32_e32 v31, v13
	v_cmpx_gt_u32_e32 8, v1
; %bb.582:                              ;   in Loop: Header=BB355_15 Depth=1
	v_ffbh_u32_e32 v0, v13
	v_min_u32_e32 v0, 32, v0
	v_subrev_nc_u32_e32 v1, 28, v0
	v_sub_nc_u32_e32 v0, 29, v0
	v_lshlrev_b64 v[1:2], v1, v[13:14]
	v_and_b32_e32 v31, 7, v1
; %bb.583:                              ;   in Loop: Header=BB355_15 Depth=1
	s_or_b32 exec_lo, exec_lo, s23
	v_mov_b32_e32 v1, 24
	v_lshlrev_b32_e32 v2, 20, v31
	v_lshl_add_u32 v0, v0, 23, 0x3c000000
	v_lshlrev_b32_sdwa v1, v1, v30 dst_sel:DWORD dst_unused:UNUSED_PAD src0_sel:DWORD src1_sel:WORD_1
	v_and_b32_e32 v1, 0x80000000, v1
	v_or3_b32 v0, v2, v1, v0
.LBB355_584:                            ;   in Loop: Header=BB355_15 Depth=1
	s_or_b32 exec_lo, exec_lo, s22
.LBB355_585:                            ;   in Loop: Header=BB355_15 Depth=1
	s_or_b32 exec_lo, exec_lo, s21
	buffer_store_dword v0, off, s[0:3], s32 offset:524 ; 4-byte Folded Spill
.LBB355_586:                            ;   in Loop: Header=BB355_15 Depth=1
	s_or_b32 exec_lo, exec_lo, s20
	s_mov_b32 s20, exec_lo
	v_cmpx_lt_u64_e64 s[12:13], v[29:30]
	s_cbranch_execz .LBB355_594
; %bb.587:                              ;   in Loop: Header=BB355_15 Depth=1
	v_cmp_ne_u32_sdwa s5, v30, v7 src0_sel:BYTE_3 src1_sel:DWORD
	v_bfrev_b32_e32 v0, 1
	buffer_store_dword v0, off, s[0:3], s32 offset:424 ; 4-byte Folded Spill
	s_and_saveexec_b32 s21, s5
	s_cbranch_execz .LBB355_593
; %bb.588:                              ;   in Loop: Header=BB355_15 Depth=1
	v_bfe_u32 v1, v30, 24, 7
	v_mov_b32_e32 v0, 0x7f800001
	s_mov_b32 s22, exec_lo
	buffer_store_dword v0, off, s[0:3], s32 offset:424 ; 4-byte Folded Spill
	v_cmpx_ne_u32_e32 0x7f, v1
	s_cbranch_execz .LBB355_592
; %bb.589:                              ;   in Loop: Header=BB355_15 Depth=1
	v_mov_b32_e32 v0, 7
	s_mov_b32 s23, exec_lo
	v_and_b32_sdwa v13, v30, v0 dst_sel:DWORD dst_unused:UNUSED_PAD src0_sel:BYTE_3 src1_sel:DWORD
	v_mov_b32_e32 v32, v14
	v_lshrrev_b32_e32 v0, 3, v1
	v_mov_b32_e32 v31, v13
	v_cmpx_gt_u32_e32 8, v1
; %bb.590:                              ;   in Loop: Header=BB355_15 Depth=1
	v_ffbh_u32_e32 v0, v13
	v_min_u32_e32 v0, 32, v0
	v_subrev_nc_u32_e32 v1, 28, v0
	v_sub_nc_u32_e32 v0, 29, v0
	v_lshlrev_b64 v[1:2], v1, v[13:14]
	v_and_b32_e32 v31, 7, v1
; %bb.591:                              ;   in Loop: Header=BB355_15 Depth=1
	s_or_b32 exec_lo, exec_lo, s23
	v_mov_b32_e32 v1, 24
	v_lshlrev_b32_e32 v2, 20, v31
	v_lshl_add_u32 v0, v0, 23, 0x3c000000
	v_lshlrev_b32_sdwa v1, v1, v30 dst_sel:DWORD dst_unused:UNUSED_PAD src0_sel:DWORD src1_sel:BYTE_3
	v_and_b32_e32 v1, 0x80000000, v1
	v_or3_b32 v0, v2, v1, v0
	buffer_store_dword v0, off, s[0:3], s32 offset:424 ; 4-byte Folded Spill
.LBB355_592:                            ;   in Loop: Header=BB355_15 Depth=1
	s_or_b32 exec_lo, exec_lo, s22
.LBB355_593:                            ;   in Loop: Header=BB355_15 Depth=1
	s_or_b32 exec_lo, exec_lo, s21
.LBB355_594:                            ;   in Loop: Header=BB355_15 Depth=1
	s_or_b32 exec_lo, exec_lo, s20
	flat_load_dwordx2 v[29:30], v[27:28] offset:8
	v_mov_b32_e32 v0, 0
	buffer_store_dword v0, off, s[0:3], s32 offset:432 ; 4-byte Folded Spill
	v_mov_b32_e32 v0, 0
	buffer_store_dword v0, off, s[0:3], s32 offset:428 ; 4-byte Folded Spill
	s_waitcnt vmcnt(0) lgkmcnt(0)
	v_cmp_ne_u16_sdwa s5, v29, v14 src0_sel:BYTE_0 src1_sel:DWORD
	s_and_saveexec_b32 s20, s5
	s_cbranch_execz .LBB355_602
; %bb.595:                              ;   in Loop: Header=BB355_15 Depth=1
	v_cmp_ne_u16_sdwa s5, v29, v7 src0_sel:BYTE_0 src1_sel:DWORD
	v_bfrev_b32_e32 v0, 1
	buffer_store_dword v0, off, s[0:3], s32 offset:428 ; 4-byte Folded Spill
	s_and_saveexec_b32 s21, s5
	s_cbranch_execz .LBB355_601
; %bb.596:                              ;   in Loop: Header=BB355_15 Depth=1
	v_and_b32_e32 v1, 0x7f, v29
	v_mov_b32_e32 v0, 0x7f800001
	s_mov_b32 s22, exec_lo
	buffer_store_dword v0, off, s[0:3], s32 offset:428 ; 4-byte Folded Spill
	v_cmpx_ne_u32_e32 0x7f, v1
	s_cbranch_execz .LBB355_600
; %bb.597:                              ;   in Loop: Header=BB355_15 Depth=1
	v_mov_b32_e32 v32, v30
	v_lshrrev_b32_e32 v0, 3, v1
	v_mov_b32_e32 v31, v29
	s_mov_b32 s23, exec_lo
	v_cmpx_gt_u32_e32 8, v1
; %bb.598:                              ;   in Loop: Header=BB355_15 Depth=1
	v_and_b32_e32 v0, 7, v29
	v_ffbh_u32_e32 v0, v0
	v_min_u32_e32 v0, 32, v0
	v_subrev_nc_u32_e32 v1, 28, v0
	v_sub_nc_u32_e32 v0, 29, v0
	v_lshlrev_b64 v[31:32], v1, v[29:30]
; %bb.599:                              ;   in Loop: Header=BB355_15 Depth=1
	s_or_b32 exec_lo, exec_lo, s23
	v_lshlrev_b32_e32 v1, 20, v31
	v_lshlrev_b32_e32 v2, 24, v29
	v_lshl_add_u32 v0, v0, 23, 0x3c000000
	v_and_b32_e32 v1, 0x700000, v1
	v_and_b32_e32 v2, 0x80000000, v2
	v_or3_b32 v0, v1, v2, v0
	buffer_store_dword v0, off, s[0:3], s32 offset:428 ; 4-byte Folded Spill
.LBB355_600:                            ;   in Loop: Header=BB355_15 Depth=1
	s_or_b32 exec_lo, exec_lo, s22
.LBB355_601:                            ;   in Loop: Header=BB355_15 Depth=1
	s_or_b32 exec_lo, exec_lo, s21
.LBB355_602:                            ;   in Loop: Header=BB355_15 Depth=1
	s_or_b32 exec_lo, exec_lo, s20
	v_cmp_ne_u16_sdwa s5, v29, v14 src0_sel:BYTE_1 src1_sel:DWORD
	s_and_saveexec_b32 s20, s5
	s_cbranch_execz .LBB355_610
; %bb.603:                              ;   in Loop: Header=BB355_15 Depth=1
	v_cmp_ne_u16_sdwa s5, v29, v7 src0_sel:BYTE_1 src1_sel:DWORD
	v_bfrev_b32_e32 v0, 1
	buffer_store_dword v0, off, s[0:3], s32 offset:432 ; 4-byte Folded Spill
	s_and_saveexec_b32 s21, s5
	s_cbranch_execz .LBB355_609
; %bb.604:                              ;   in Loop: Header=BB355_15 Depth=1
	v_mov_b32_e32 v0, 0xffff
	v_mov_b32_e32 v2, 0x7f800001
	s_mov_b32 s22, exec_lo
	v_and_b32_sdwa v0, v0, v29 dst_sel:DWORD dst_unused:UNUSED_PAD src0_sel:DWORD src1_sel:BYTE_1
	buffer_store_dword v2, off, s[0:3], s32 offset:432 ; 4-byte Folded Spill
	v_and_b32_e32 v1, 0x7f, v0
	v_cmpx_ne_u32_e32 0x7f, v1
	s_cbranch_execz .LBB355_608
; %bb.605:                              ;   in Loop: Header=BB355_15 Depth=1
	v_and_b32_e32 v13, 7, v0
	v_mov_b32_e32 v32, v14
	v_lshrrev_b32_e32 v0, 3, v1
	s_mov_b32 s23, exec_lo
	v_mov_b32_e32 v31, v13
	v_cmpx_gt_u32_e32 8, v1
; %bb.606:                              ;   in Loop: Header=BB355_15 Depth=1
	v_ffbh_u32_e32 v0, v13
	v_min_u32_e32 v0, 32, v0
	v_subrev_nc_u32_e32 v1, 28, v0
	v_sub_nc_u32_e32 v0, 29, v0
	v_lshlrev_b64 v[1:2], v1, v[13:14]
	v_and_b32_e32 v31, 7, v1
; %bb.607:                              ;   in Loop: Header=BB355_15 Depth=1
	s_or_b32 exec_lo, exec_lo, s23
	v_lshlrev_b32_e32 v1, 16, v29
	v_lshlrev_b32_e32 v2, 20, v31
	v_lshl_add_u32 v0, v0, 23, 0x3c000000
	v_and_b32_e32 v1, 0x80000000, v1
	v_or3_b32 v0, v2, v1, v0
	buffer_store_dword v0, off, s[0:3], s32 offset:432 ; 4-byte Folded Spill
.LBB355_608:                            ;   in Loop: Header=BB355_15 Depth=1
	s_or_b32 exec_lo, exec_lo, s22
.LBB355_609:                            ;   in Loop: Header=BB355_15 Depth=1
	s_or_b32 exec_lo, exec_lo, s21
.LBB355_610:                            ;   in Loop: Header=BB355_15 Depth=1
	s_or_b32 exec_lo, exec_lo, s20
	v_mov_b32_e32 v0, 0xff
	v_mov_b32_e32 v1, 0
	;; [unrolled: 1-line block ×3, first 2 shown]
	s_mov_b32 s20, exec_lo
	v_and_b32_sdwa v0, v29, v0 dst_sel:DWORD dst_unused:UNUSED_PAD src0_sel:WORD_1 src1_sel:DWORD
	buffer_store_dword v1, off, s[0:3], s32 offset:436 ; 4-byte Folded Spill
	v_cmpx_ne_u16_e32 0, v0
	s_cbranch_execz .LBB355_618
; %bb.611:                              ;   in Loop: Header=BB355_15 Depth=1
	v_bfrev_b32_e32 v76, 1
	s_mov_b32 s21, exec_lo
	v_cmpx_ne_u16_e32 0x80, v0
	s_cbranch_execz .LBB355_617
; %bb.612:                              ;   in Loop: Header=BB355_15 Depth=1
	v_bfe_u32 v1, v29, 16, 7
	v_mov_b32_e32 v76, 0x7f800001
	s_mov_b32 s22, exec_lo
	v_cmpx_ne_u32_e32 0x7f, v1
	s_cbranch_execz .LBB355_616
; %bb.613:                              ;   in Loop: Header=BB355_15 Depth=1
	v_mov_b32_e32 v0, 7
	s_mov_b32 s23, exec_lo
	v_and_b32_sdwa v13, v29, v0 dst_sel:DWORD dst_unused:UNUSED_PAD src0_sel:WORD_1 src1_sel:DWORD
	v_mov_b32_e32 v32, v14
	v_lshrrev_b32_e32 v0, 3, v1
	v_mov_b32_e32 v31, v13
	v_cmpx_gt_u32_e32 8, v1
; %bb.614:                              ;   in Loop: Header=BB355_15 Depth=1
	v_ffbh_u32_e32 v0, v13
	v_min_u32_e32 v0, 32, v0
	v_subrev_nc_u32_e32 v1, 28, v0
	v_sub_nc_u32_e32 v0, 29, v0
	v_lshlrev_b64 v[1:2], v1, v[13:14]
	v_and_b32_e32 v31, 7, v1
; %bb.615:                              ;   in Loop: Header=BB355_15 Depth=1
	s_or_b32 exec_lo, exec_lo, s23
	v_mov_b32_e32 v1, 24
	v_lshlrev_b32_e32 v2, 20, v31
	v_lshl_add_u32 v0, v0, 23, 0x3c000000
	v_lshlrev_b32_sdwa v1, v1, v29 dst_sel:DWORD dst_unused:UNUSED_PAD src0_sel:DWORD src1_sel:WORD_1
	v_and_b32_e32 v1, 0x80000000, v1
	v_or3_b32 v76, v2, v1, v0
.LBB355_616:                            ;   in Loop: Header=BB355_15 Depth=1
	s_or_b32 exec_lo, exec_lo, s22
.LBB355_617:                            ;   in Loop: Header=BB355_15 Depth=1
	s_or_b32 exec_lo, exec_lo, s21
.LBB355_618:                            ;   in Loop: Header=BB355_15 Depth=1
	s_or_b32 exec_lo, exec_lo, s20
	s_mov_b32 s20, exec_lo
	v_cmpx_lt_u32_e32 0xffffff, v29
	s_cbranch_execz .LBB355_626
; %bb.619:                              ;   in Loop: Header=BB355_15 Depth=1
	v_cmp_ne_u32_sdwa s5, v29, v7 src0_sel:BYTE_3 src1_sel:DWORD
	v_bfrev_b32_e32 v0, 1
	buffer_store_dword v0, off, s[0:3], s32 offset:436 ; 4-byte Folded Spill
	s_and_saveexec_b32 s21, s5
	s_cbranch_execz .LBB355_625
; %bb.620:                              ;   in Loop: Header=BB355_15 Depth=1
	v_bfe_u32 v1, v29, 24, 7
	v_mov_b32_e32 v0, 0x7f800001
	s_mov_b32 s22, exec_lo
	buffer_store_dword v0, off, s[0:3], s32 offset:436 ; 4-byte Folded Spill
	v_cmpx_ne_u32_e32 0x7f, v1
	s_cbranch_execz .LBB355_624
; %bb.621:                              ;   in Loop: Header=BB355_15 Depth=1
	v_mov_b32_e32 v0, 7
	s_mov_b32 s23, exec_lo
	v_and_b32_sdwa v13, v29, v0 dst_sel:DWORD dst_unused:UNUSED_PAD src0_sel:BYTE_3 src1_sel:DWORD
	v_mov_b32_e32 v32, v14
	v_lshrrev_b32_e32 v0, 3, v1
	v_mov_b32_e32 v31, v13
	v_cmpx_gt_u32_e32 8, v1
; %bb.622:                              ;   in Loop: Header=BB355_15 Depth=1
	v_ffbh_u32_e32 v0, v13
	v_min_u32_e32 v0, 32, v0
	v_subrev_nc_u32_e32 v1, 28, v0
	v_sub_nc_u32_e32 v0, 29, v0
	v_lshlrev_b64 v[1:2], v1, v[13:14]
	v_and_b32_e32 v31, 7, v1
; %bb.623:                              ;   in Loop: Header=BB355_15 Depth=1
	s_or_b32 exec_lo, exec_lo, s23
	v_mov_b32_e32 v1, 24
	v_lshlrev_b32_e32 v2, 20, v31
	v_lshl_add_u32 v0, v0, 23, 0x3c000000
	v_lshlrev_b32_sdwa v1, v1, v29 dst_sel:DWORD dst_unused:UNUSED_PAD src0_sel:DWORD src1_sel:BYTE_3
	v_and_b32_e32 v1, 0x80000000, v1
	v_or3_b32 v0, v2, v1, v0
	buffer_store_dword v0, off, s[0:3], s32 offset:436 ; 4-byte Folded Spill
.LBB355_624:                            ;   in Loop: Header=BB355_15 Depth=1
	s_or_b32 exec_lo, exec_lo, s22
.LBB355_625:                            ;   in Loop: Header=BB355_15 Depth=1
	s_or_b32 exec_lo, exec_lo, s21
.LBB355_626:                            ;   in Loop: Header=BB355_15 Depth=1
	s_or_b32 exec_lo, exec_lo, s20
	v_mov_b32_e32 v0, 0
	v_mov_b32_e32 v13, v30
	v_cmp_ne_u16_sdwa s5, v30, v14 src0_sel:BYTE_0 src1_sel:DWORD
	buffer_store_dword v0, off, s[0:3], s32 offset:444 ; 4-byte Folded Spill
	v_mov_b32_e32 v0, 0
	buffer_store_dword v0, off, s[0:3], s32 offset:440 ; 4-byte Folded Spill
	s_and_saveexec_b32 s20, s5
	s_cbranch_execz .LBB355_634
; %bb.627:                              ;   in Loop: Header=BB355_15 Depth=1
	v_cmp_ne_u16_sdwa s5, v30, v7 src0_sel:BYTE_0 src1_sel:DWORD
	v_bfrev_b32_e32 v0, 1
	buffer_store_dword v0, off, s[0:3], s32 offset:440 ; 4-byte Folded Spill
	s_and_saveexec_b32 s21, s5
	s_cbranch_execz .LBB355_633
; %bb.628:                              ;   in Loop: Header=BB355_15 Depth=1
	v_and_b32_e32 v1, 0x7f, v30
	v_mov_b32_e32 v0, 0x7f800001
	s_mov_b32 s22, exec_lo
	buffer_store_dword v0, off, s[0:3], s32 offset:440 ; 4-byte Folded Spill
	v_cmpx_ne_u32_e32 0x7f, v1
	s_cbranch_execz .LBB355_632
; %bb.629:                              ;   in Loop: Header=BB355_15 Depth=1
	v_mov_b32_e32 v32, v14
	v_lshrrev_b32_e32 v0, 3, v1
	v_mov_b32_e32 v31, v13
	s_mov_b32 s23, exec_lo
	v_cmpx_gt_u32_e32 8, v1
; %bb.630:                              ;   in Loop: Header=BB355_15 Depth=1
	v_and_b32_e32 v0, 7, v30
	v_ffbh_u32_e32 v0, v0
	v_min_u32_e32 v0, 32, v0
	v_subrev_nc_u32_e32 v1, 28, v0
	v_sub_nc_u32_e32 v0, 29, v0
	v_lshlrev_b64 v[31:32], v1, v[13:14]
; %bb.631:                              ;   in Loop: Header=BB355_15 Depth=1
	s_or_b32 exec_lo, exec_lo, s23
	v_lshlrev_b32_e32 v1, 20, v31
	v_lshlrev_b32_e32 v2, 24, v13
	v_lshl_add_u32 v0, v0, 23, 0x3c000000
	v_and_b32_e32 v1, 0x700000, v1
	v_and_b32_e32 v2, 0x80000000, v2
	v_or3_b32 v0, v1, v2, v0
	buffer_store_dword v0, off, s[0:3], s32 offset:440 ; 4-byte Folded Spill
.LBB355_632:                            ;   in Loop: Header=BB355_15 Depth=1
	s_or_b32 exec_lo, exec_lo, s22
.LBB355_633:                            ;   in Loop: Header=BB355_15 Depth=1
	s_or_b32 exec_lo, exec_lo, s21
.LBB355_634:                            ;   in Loop: Header=BB355_15 Depth=1
	s_or_b32 exec_lo, exec_lo, s20
	v_cmp_ne_u16_sdwa s5, v13, v14 src0_sel:BYTE_1 src1_sel:DWORD
	s_and_saveexec_b32 s20, s5
	s_cbranch_execz .LBB355_642
; %bb.635:                              ;   in Loop: Header=BB355_15 Depth=1
	v_cmp_ne_u16_sdwa s5, v13, v7 src0_sel:BYTE_1 src1_sel:DWORD
	v_bfrev_b32_e32 v0, 1
	buffer_store_dword v0, off, s[0:3], s32 offset:444 ; 4-byte Folded Spill
	s_and_saveexec_b32 s21, s5
	s_cbranch_execz .LBB355_641
; %bb.636:                              ;   in Loop: Header=BB355_15 Depth=1
	v_mov_b32_e32 v0, 0xffff
	v_mov_b32_e32 v2, 0x7f800001
	s_mov_b32 s22, exec_lo
	v_and_b32_sdwa v0, v0, v13 dst_sel:DWORD dst_unused:UNUSED_PAD src0_sel:DWORD src1_sel:BYTE_1
	buffer_store_dword v2, off, s[0:3], s32 offset:444 ; 4-byte Folded Spill
	v_and_b32_e32 v1, 0x7f, v0
	v_cmpx_ne_u32_e32 0x7f, v1
	s_cbranch_execz .LBB355_640
; %bb.637:                              ;   in Loop: Header=BB355_15 Depth=1
	v_and_b32_e32 v31, 7, v0
	v_mov_b32_e32 v32, v14
	v_lshrrev_b32_e32 v0, 3, v1
	s_mov_b32 s23, exec_lo
	v_cmpx_gt_u32_e32 8, v1
; %bb.638:                              ;   in Loop: Header=BB355_15 Depth=1
	v_ffbh_u32_e32 v0, v31
	v_min_u32_e32 v0, 32, v0
	v_subrev_nc_u32_e32 v1, 28, v0
	v_sub_nc_u32_e32 v0, 29, v0
	v_lshlrev_b64 v[1:2], v1, v[31:32]
	v_and_b32_e32 v31, 7, v1
; %bb.639:                              ;   in Loop: Header=BB355_15 Depth=1
	s_or_b32 exec_lo, exec_lo, s23
	v_lshlrev_b32_e32 v1, 16, v13
	v_lshlrev_b32_e32 v2, 20, v31
	v_lshl_add_u32 v0, v0, 23, 0x3c000000
	v_and_b32_e32 v1, 0x80000000, v1
	v_or3_b32 v0, v2, v1, v0
	buffer_store_dword v0, off, s[0:3], s32 offset:444 ; 4-byte Folded Spill
.LBB355_640:                            ;   in Loop: Header=BB355_15 Depth=1
	s_or_b32 exec_lo, exec_lo, s22
.LBB355_641:                            ;   in Loop: Header=BB355_15 Depth=1
	s_or_b32 exec_lo, exec_lo, s21
.LBB355_642:                            ;   in Loop: Header=BB355_15 Depth=1
	s_or_b32 exec_lo, exec_lo, s20
	v_mov_b32_e32 v0, 0xff
	v_mov_b32_e32 v1, 0
	;; [unrolled: 1-line block ×3, first 2 shown]
	s_mov_b32 s20, exec_lo
	v_and_b32_sdwa v0, v30, v0 dst_sel:DWORD dst_unused:UNUSED_PAD src0_sel:WORD_1 src1_sel:DWORD
	buffer_store_dword v1, off, s[0:3], s32 offset:448 ; 4-byte Folded Spill
	v_cmpx_ne_u16_e32 0, v0
	s_cbranch_execz .LBB355_650
; %bb.643:                              ;   in Loop: Header=BB355_15 Depth=1
	v_bfrev_b32_e32 v77, 1
	s_mov_b32 s21, exec_lo
	v_cmpx_ne_u16_e32 0x80, v0
	s_cbranch_execz .LBB355_649
; %bb.644:                              ;   in Loop: Header=BB355_15 Depth=1
	v_bfe_u32 v1, v30, 16, 7
	v_mov_b32_e32 v77, 0x7f800001
	s_mov_b32 s22, exec_lo
	v_cmpx_ne_u32_e32 0x7f, v1
	s_cbranch_execz .LBB355_648
; %bb.645:                              ;   in Loop: Header=BB355_15 Depth=1
	v_mov_b32_e32 v0, 7
	s_mov_b32 s23, exec_lo
	v_and_b32_sdwa v13, v30, v0 dst_sel:DWORD dst_unused:UNUSED_PAD src0_sel:WORD_1 src1_sel:DWORD
	v_mov_b32_e32 v32, v14
	v_lshrrev_b32_e32 v0, 3, v1
	v_mov_b32_e32 v31, v13
	v_cmpx_gt_u32_e32 8, v1
; %bb.646:                              ;   in Loop: Header=BB355_15 Depth=1
	v_ffbh_u32_e32 v0, v13
	v_min_u32_e32 v0, 32, v0
	v_subrev_nc_u32_e32 v1, 28, v0
	v_sub_nc_u32_e32 v0, 29, v0
	v_lshlrev_b64 v[1:2], v1, v[13:14]
	v_and_b32_e32 v31, 7, v1
; %bb.647:                              ;   in Loop: Header=BB355_15 Depth=1
	s_or_b32 exec_lo, exec_lo, s23
	v_mov_b32_e32 v1, 24
	v_lshlrev_b32_e32 v2, 20, v31
	v_lshl_add_u32 v0, v0, 23, 0x3c000000
	v_lshlrev_b32_sdwa v1, v1, v30 dst_sel:DWORD dst_unused:UNUSED_PAD src0_sel:DWORD src1_sel:WORD_1
	v_and_b32_e32 v1, 0x80000000, v1
	v_or3_b32 v77, v2, v1, v0
.LBB355_648:                            ;   in Loop: Header=BB355_15 Depth=1
	s_or_b32 exec_lo, exec_lo, s22
.LBB355_649:                            ;   in Loop: Header=BB355_15 Depth=1
	s_or_b32 exec_lo, exec_lo, s21
.LBB355_650:                            ;   in Loop: Header=BB355_15 Depth=1
	s_or_b32 exec_lo, exec_lo, s20
	s_mov_b32 s20, exec_lo
	v_cmpx_lt_u64_e64 s[12:13], v[29:30]
	s_cbranch_execz .LBB355_658
; %bb.651:                              ;   in Loop: Header=BB355_15 Depth=1
	v_cmp_ne_u32_sdwa s5, v30, v7 src0_sel:BYTE_3 src1_sel:DWORD
	v_bfrev_b32_e32 v0, 1
	buffer_store_dword v0, off, s[0:3], s32 offset:448 ; 4-byte Folded Spill
	s_and_saveexec_b32 s21, s5
	s_cbranch_execz .LBB355_657
; %bb.652:                              ;   in Loop: Header=BB355_15 Depth=1
	v_bfe_u32 v1, v30, 24, 7
	v_mov_b32_e32 v0, 0x7f800001
	s_mov_b32 s22, exec_lo
	buffer_store_dword v0, off, s[0:3], s32 offset:448 ; 4-byte Folded Spill
	v_cmpx_ne_u32_e32 0x7f, v1
	s_cbranch_execz .LBB355_656
; %bb.653:                              ;   in Loop: Header=BB355_15 Depth=1
	v_mov_b32_e32 v0, 7
	s_mov_b32 s23, exec_lo
	v_and_b32_sdwa v13, v30, v0 dst_sel:DWORD dst_unused:UNUSED_PAD src0_sel:BYTE_3 src1_sel:DWORD
	v_mov_b32_e32 v32, v14
	v_lshrrev_b32_e32 v0, 3, v1
	v_mov_b32_e32 v31, v13
	v_cmpx_gt_u32_e32 8, v1
; %bb.654:                              ;   in Loop: Header=BB355_15 Depth=1
	v_ffbh_u32_e32 v0, v13
	v_min_u32_e32 v0, 32, v0
	v_subrev_nc_u32_e32 v1, 28, v0
	v_sub_nc_u32_e32 v0, 29, v0
	v_lshlrev_b64 v[1:2], v1, v[13:14]
	v_and_b32_e32 v31, 7, v1
; %bb.655:                              ;   in Loop: Header=BB355_15 Depth=1
	s_or_b32 exec_lo, exec_lo, s23
	v_mov_b32_e32 v1, 24
	v_lshlrev_b32_e32 v2, 20, v31
	v_lshl_add_u32 v0, v0, 23, 0x3c000000
	v_lshlrev_b32_sdwa v1, v1, v30 dst_sel:DWORD dst_unused:UNUSED_PAD src0_sel:DWORD src1_sel:BYTE_3
	v_and_b32_e32 v1, 0x80000000, v1
	v_or3_b32 v0, v2, v1, v0
	buffer_store_dword v0, off, s[0:3], s32 offset:448 ; 4-byte Folded Spill
.LBB355_656:                            ;   in Loop: Header=BB355_15 Depth=1
	s_or_b32 exec_lo, exec_lo, s22
.LBB355_657:                            ;   in Loop: Header=BB355_15 Depth=1
	s_or_b32 exec_lo, exec_lo, s21
.LBB355_658:                            ;   in Loop: Header=BB355_15 Depth=1
	s_or_b32 exec_lo, exec_lo, s20
	flat_load_dwordx2 v[29:30], v[27:28] offset:512
	v_mov_b32_e32 v104, 0
	v_mov_b32_e32 v0, 0
	buffer_store_dword v0, off, s[0:3], s32 offset:452 ; 4-byte Folded Spill
	s_waitcnt vmcnt(0) lgkmcnt(0)
	v_cmp_ne_u16_sdwa s5, v29, v14 src0_sel:BYTE_0 src1_sel:DWORD
	s_and_saveexec_b32 s20, s5
	s_cbranch_execz .LBB355_666
; %bb.659:                              ;   in Loop: Header=BB355_15 Depth=1
	v_cmp_ne_u16_sdwa s5, v29, v7 src0_sel:BYTE_0 src1_sel:DWORD
	v_bfrev_b32_e32 v0, 1
	buffer_store_dword v0, off, s[0:3], s32 offset:452 ; 4-byte Folded Spill
	s_and_saveexec_b32 s21, s5
	s_cbranch_execz .LBB355_665
; %bb.660:                              ;   in Loop: Header=BB355_15 Depth=1
	v_and_b32_e32 v1, 0x7f, v29
	v_mov_b32_e32 v0, 0x7f800001
	s_mov_b32 s22, exec_lo
	buffer_store_dword v0, off, s[0:3], s32 offset:452 ; 4-byte Folded Spill
	v_cmpx_ne_u32_e32 0x7f, v1
	s_cbranch_execz .LBB355_664
; %bb.661:                              ;   in Loop: Header=BB355_15 Depth=1
	v_mov_b32_e32 v32, v30
	v_lshrrev_b32_e32 v0, 3, v1
	v_mov_b32_e32 v31, v29
	s_mov_b32 s23, exec_lo
	v_cmpx_gt_u32_e32 8, v1
; %bb.662:                              ;   in Loop: Header=BB355_15 Depth=1
	v_and_b32_e32 v0, 7, v29
	v_ffbh_u32_e32 v0, v0
	v_min_u32_e32 v0, 32, v0
	v_subrev_nc_u32_e32 v1, 28, v0
	v_sub_nc_u32_e32 v0, 29, v0
	v_lshlrev_b64 v[31:32], v1, v[29:30]
; %bb.663:                              ;   in Loop: Header=BB355_15 Depth=1
	s_or_b32 exec_lo, exec_lo, s23
	v_lshlrev_b32_e32 v1, 20, v31
	v_lshlrev_b32_e32 v2, 24, v29
	v_lshl_add_u32 v0, v0, 23, 0x3c000000
	v_and_b32_e32 v1, 0x700000, v1
	v_and_b32_e32 v2, 0x80000000, v2
	v_or3_b32 v0, v1, v2, v0
	buffer_store_dword v0, off, s[0:3], s32 offset:452 ; 4-byte Folded Spill
.LBB355_664:                            ;   in Loop: Header=BB355_15 Depth=1
	s_or_b32 exec_lo, exec_lo, s22
.LBB355_665:                            ;   in Loop: Header=BB355_15 Depth=1
	s_or_b32 exec_lo, exec_lo, s21
.LBB355_666:                            ;   in Loop: Header=BB355_15 Depth=1
	s_or_b32 exec_lo, exec_lo, s20
	v_cmp_ne_u16_sdwa s5, v29, v14 src0_sel:BYTE_1 src1_sel:DWORD
	s_and_saveexec_b32 s20, s5
	s_cbranch_execz .LBB355_674
; %bb.667:                              ;   in Loop: Header=BB355_15 Depth=1
	v_cmp_ne_u16_sdwa s5, v29, v7 src0_sel:BYTE_1 src1_sel:DWORD
	v_bfrev_b32_e32 v104, 1
	s_and_saveexec_b32 s21, s5
	s_cbranch_execz .LBB355_673
; %bb.668:                              ;   in Loop: Header=BB355_15 Depth=1
	v_mov_b32_e32 v0, 0xffff
	v_mov_b32_e32 v104, 0x7f800001
	s_mov_b32 s22, exec_lo
	v_and_b32_sdwa v0, v0, v29 dst_sel:DWORD dst_unused:UNUSED_PAD src0_sel:DWORD src1_sel:BYTE_1
	v_and_b32_e32 v1, 0x7f, v0
	v_cmpx_ne_u32_e32 0x7f, v1
	s_cbranch_execz .LBB355_672
; %bb.669:                              ;   in Loop: Header=BB355_15 Depth=1
	v_and_b32_e32 v13, 7, v0
	v_mov_b32_e32 v32, v14
	v_lshrrev_b32_e32 v0, 3, v1
	s_mov_b32 s23, exec_lo
	v_mov_b32_e32 v31, v13
	v_cmpx_gt_u32_e32 8, v1
; %bb.670:                              ;   in Loop: Header=BB355_15 Depth=1
	v_ffbh_u32_e32 v0, v13
	v_min_u32_e32 v0, 32, v0
	v_subrev_nc_u32_e32 v1, 28, v0
	v_sub_nc_u32_e32 v0, 29, v0
	v_lshlrev_b64 v[1:2], v1, v[13:14]
	v_and_b32_e32 v31, 7, v1
; %bb.671:                              ;   in Loop: Header=BB355_15 Depth=1
	s_or_b32 exec_lo, exec_lo, s23
	v_lshlrev_b32_e32 v1, 16, v29
	v_lshlrev_b32_e32 v2, 20, v31
	v_lshl_add_u32 v0, v0, 23, 0x3c000000
	v_and_b32_e32 v1, 0x80000000, v1
	v_or3_b32 v104, v2, v1, v0
.LBB355_672:                            ;   in Loop: Header=BB355_15 Depth=1
	s_or_b32 exec_lo, exec_lo, s22
.LBB355_673:                            ;   in Loop: Header=BB355_15 Depth=1
	s_or_b32 exec_lo, exec_lo, s21
.LBB355_674:                            ;   in Loop: Header=BB355_15 Depth=1
	s_or_b32 exec_lo, exec_lo, s20
	v_mov_b32_e32 v0, 0xff
	v_mov_b32_e32 v106, 0
	v_mov_b32_e32 v105, 0
	s_mov_b32 s20, exec_lo
	v_and_b32_sdwa v0, v29, v0 dst_sel:DWORD dst_unused:UNUSED_PAD src0_sel:WORD_1 src1_sel:DWORD
	v_cmpx_ne_u16_e32 0, v0
	s_cbranch_execz .LBB355_682
; %bb.675:                              ;   in Loop: Header=BB355_15 Depth=1
	v_bfrev_b32_e32 v105, 1
	s_mov_b32 s21, exec_lo
	v_cmpx_ne_u16_e32 0x80, v0
	s_cbranch_execz .LBB355_681
; %bb.676:                              ;   in Loop: Header=BB355_15 Depth=1
	v_bfe_u32 v1, v29, 16, 7
	v_mov_b32_e32 v105, 0x7f800001
	s_mov_b32 s22, exec_lo
	v_cmpx_ne_u32_e32 0x7f, v1
	s_cbranch_execz .LBB355_680
; %bb.677:                              ;   in Loop: Header=BB355_15 Depth=1
	v_mov_b32_e32 v0, 7
	s_mov_b32 s23, exec_lo
	v_and_b32_sdwa v13, v29, v0 dst_sel:DWORD dst_unused:UNUSED_PAD src0_sel:WORD_1 src1_sel:DWORD
	v_mov_b32_e32 v32, v14
	v_lshrrev_b32_e32 v0, 3, v1
	v_mov_b32_e32 v31, v13
	v_cmpx_gt_u32_e32 8, v1
; %bb.678:                              ;   in Loop: Header=BB355_15 Depth=1
	v_ffbh_u32_e32 v0, v13
	v_min_u32_e32 v0, 32, v0
	v_subrev_nc_u32_e32 v1, 28, v0
	v_sub_nc_u32_e32 v0, 29, v0
	v_lshlrev_b64 v[1:2], v1, v[13:14]
	v_and_b32_e32 v31, 7, v1
; %bb.679:                              ;   in Loop: Header=BB355_15 Depth=1
	s_or_b32 exec_lo, exec_lo, s23
	v_mov_b32_e32 v1, 24
	v_lshlrev_b32_e32 v2, 20, v31
	v_lshl_add_u32 v0, v0, 23, 0x3c000000
	v_lshlrev_b32_sdwa v1, v1, v29 dst_sel:DWORD dst_unused:UNUSED_PAD src0_sel:DWORD src1_sel:WORD_1
	v_and_b32_e32 v1, 0x80000000, v1
	v_or3_b32 v105, v2, v1, v0
.LBB355_680:                            ;   in Loop: Header=BB355_15 Depth=1
	s_or_b32 exec_lo, exec_lo, s22
.LBB355_681:                            ;   in Loop: Header=BB355_15 Depth=1
	s_or_b32 exec_lo, exec_lo, s21
.LBB355_682:                            ;   in Loop: Header=BB355_15 Depth=1
	s_or_b32 exec_lo, exec_lo, s20
	s_mov_b32 s20, exec_lo
	v_cmpx_lt_u32_e32 0xffffff, v29
	s_cbranch_execz .LBB355_690
; %bb.683:                              ;   in Loop: Header=BB355_15 Depth=1
	v_cmp_ne_u32_sdwa s5, v29, v7 src0_sel:BYTE_3 src1_sel:DWORD
	v_bfrev_b32_e32 v106, 1
	s_and_saveexec_b32 s21, s5
	s_cbranch_execz .LBB355_689
; %bb.684:                              ;   in Loop: Header=BB355_15 Depth=1
	v_bfe_u32 v1, v29, 24, 7
	v_mov_b32_e32 v106, 0x7f800001
	s_mov_b32 s22, exec_lo
	v_cmpx_ne_u32_e32 0x7f, v1
	s_cbranch_execz .LBB355_688
; %bb.685:                              ;   in Loop: Header=BB355_15 Depth=1
	v_mov_b32_e32 v0, 7
	s_mov_b32 s23, exec_lo
	v_and_b32_sdwa v13, v29, v0 dst_sel:DWORD dst_unused:UNUSED_PAD src0_sel:BYTE_3 src1_sel:DWORD
	v_mov_b32_e32 v32, v14
	v_lshrrev_b32_e32 v0, 3, v1
	v_mov_b32_e32 v31, v13
	v_cmpx_gt_u32_e32 8, v1
; %bb.686:                              ;   in Loop: Header=BB355_15 Depth=1
	v_ffbh_u32_e32 v0, v13
	v_min_u32_e32 v0, 32, v0
	v_subrev_nc_u32_e32 v1, 28, v0
	v_sub_nc_u32_e32 v0, 29, v0
	v_lshlrev_b64 v[1:2], v1, v[13:14]
	v_and_b32_e32 v31, 7, v1
; %bb.687:                              ;   in Loop: Header=BB355_15 Depth=1
	s_or_b32 exec_lo, exec_lo, s23
	v_mov_b32_e32 v1, 24
	v_lshlrev_b32_e32 v2, 20, v31
	v_lshl_add_u32 v0, v0, 23, 0x3c000000
	v_lshlrev_b32_sdwa v1, v1, v29 dst_sel:DWORD dst_unused:UNUSED_PAD src0_sel:DWORD src1_sel:BYTE_3
	v_and_b32_e32 v1, 0x80000000, v1
	v_or3_b32 v106, v2, v1, v0
.LBB355_688:                            ;   in Loop: Header=BB355_15 Depth=1
	s_or_b32 exec_lo, exec_lo, s22
.LBB355_689:                            ;   in Loop: Header=BB355_15 Depth=1
	s_or_b32 exec_lo, exec_lo, s21
.LBB355_690:                            ;   in Loop: Header=BB355_15 Depth=1
	s_or_b32 exec_lo, exec_lo, s20
	v_mov_b32_e32 v13, v30
	v_cmp_ne_u16_sdwa s5, v30, v14 src0_sel:BYTE_0 src1_sel:DWORD
	v_mov_b32_e32 v108, 0
	v_mov_b32_e32 v107, 0
	s_and_saveexec_b32 s20, s5
	s_cbranch_execz .LBB355_698
; %bb.691:                              ;   in Loop: Header=BB355_15 Depth=1
	v_cmp_ne_u16_sdwa s5, v30, v7 src0_sel:BYTE_0 src1_sel:DWORD
	v_bfrev_b32_e32 v107, 1
	s_and_saveexec_b32 s21, s5
	s_cbranch_execz .LBB355_697
; %bb.692:                              ;   in Loop: Header=BB355_15 Depth=1
	v_and_b32_e32 v1, 0x7f, v30
	v_mov_b32_e32 v107, 0x7f800001
	s_mov_b32 s22, exec_lo
	v_cmpx_ne_u32_e32 0x7f, v1
	s_cbranch_execz .LBB355_696
; %bb.693:                              ;   in Loop: Header=BB355_15 Depth=1
	v_mov_b32_e32 v32, v14
	v_lshrrev_b32_e32 v0, 3, v1
	v_mov_b32_e32 v31, v13
	s_mov_b32 s23, exec_lo
	v_cmpx_gt_u32_e32 8, v1
; %bb.694:                              ;   in Loop: Header=BB355_15 Depth=1
	v_and_b32_e32 v0, 7, v30
	v_ffbh_u32_e32 v0, v0
	v_min_u32_e32 v0, 32, v0
	v_subrev_nc_u32_e32 v1, 28, v0
	v_sub_nc_u32_e32 v0, 29, v0
	v_lshlrev_b64 v[31:32], v1, v[13:14]
; %bb.695:                              ;   in Loop: Header=BB355_15 Depth=1
	s_or_b32 exec_lo, exec_lo, s23
	v_lshlrev_b32_e32 v1, 20, v31
	v_lshlrev_b32_e32 v2, 24, v13
	v_lshl_add_u32 v0, v0, 23, 0x3c000000
	v_and_b32_e32 v1, 0x700000, v1
	v_and_b32_e32 v2, 0x80000000, v2
	v_or3_b32 v107, v1, v2, v0
.LBB355_696:                            ;   in Loop: Header=BB355_15 Depth=1
	s_or_b32 exec_lo, exec_lo, s22
.LBB355_697:                            ;   in Loop: Header=BB355_15 Depth=1
	s_or_b32 exec_lo, exec_lo, s21
.LBB355_698:                            ;   in Loop: Header=BB355_15 Depth=1
	s_or_b32 exec_lo, exec_lo, s20
	v_cmp_ne_u16_sdwa s5, v13, v14 src0_sel:BYTE_1 src1_sel:DWORD
	s_and_saveexec_b32 s20, s5
	s_cbranch_execz .LBB355_706
; %bb.699:                              ;   in Loop: Header=BB355_15 Depth=1
	v_cmp_ne_u16_sdwa s5, v13, v7 src0_sel:BYTE_1 src1_sel:DWORD
	v_bfrev_b32_e32 v108, 1
	s_and_saveexec_b32 s21, s5
	s_cbranch_execz .LBB355_705
; %bb.700:                              ;   in Loop: Header=BB355_15 Depth=1
	v_mov_b32_e32 v0, 0xffff
	v_mov_b32_e32 v108, 0x7f800001
	s_mov_b32 s22, exec_lo
	v_and_b32_sdwa v0, v0, v13 dst_sel:DWORD dst_unused:UNUSED_PAD src0_sel:DWORD src1_sel:BYTE_1
	v_and_b32_e32 v1, 0x7f, v0
	v_cmpx_ne_u32_e32 0x7f, v1
	s_cbranch_execz .LBB355_704
; %bb.701:                              ;   in Loop: Header=BB355_15 Depth=1
	v_and_b32_e32 v31, 7, v0
	v_mov_b32_e32 v32, v14
	v_lshrrev_b32_e32 v0, 3, v1
	s_mov_b32 s23, exec_lo
	v_cmpx_gt_u32_e32 8, v1
; %bb.702:                              ;   in Loop: Header=BB355_15 Depth=1
	v_ffbh_u32_e32 v0, v31
	v_min_u32_e32 v0, 32, v0
	v_subrev_nc_u32_e32 v1, 28, v0
	v_sub_nc_u32_e32 v0, 29, v0
	v_lshlrev_b64 v[1:2], v1, v[31:32]
	v_and_b32_e32 v31, 7, v1
; %bb.703:                              ;   in Loop: Header=BB355_15 Depth=1
	s_or_b32 exec_lo, exec_lo, s23
	v_lshlrev_b32_e32 v1, 16, v13
	v_lshlrev_b32_e32 v2, 20, v31
	v_lshl_add_u32 v0, v0, 23, 0x3c000000
	v_and_b32_e32 v1, 0x80000000, v1
	v_or3_b32 v108, v2, v1, v0
.LBB355_704:                            ;   in Loop: Header=BB355_15 Depth=1
	s_or_b32 exec_lo, exec_lo, s22
.LBB355_705:                            ;   in Loop: Header=BB355_15 Depth=1
	s_or_b32 exec_lo, exec_lo, s21
.LBB355_706:                            ;   in Loop: Header=BB355_15 Depth=1
	s_or_b32 exec_lo, exec_lo, s20
	v_mov_b32_e32 v0, 0xff
	v_mov_b32_e32 v109, 0
	;; [unrolled: 1-line block ×3, first 2 shown]
	s_mov_b32 s20, exec_lo
	v_and_b32_sdwa v0, v30, v0 dst_sel:DWORD dst_unused:UNUSED_PAD src0_sel:WORD_1 src1_sel:DWORD
	v_cmpx_ne_u16_e32 0, v0
	s_cbranch_execz .LBB355_714
; %bb.707:                              ;   in Loop: Header=BB355_15 Depth=1
	v_bfrev_b32_e32 v110, 1
	s_mov_b32 s21, exec_lo
	v_cmpx_ne_u16_e32 0x80, v0
	s_cbranch_execz .LBB355_713
; %bb.708:                              ;   in Loop: Header=BB355_15 Depth=1
	v_bfe_u32 v1, v30, 16, 7
	v_mov_b32_e32 v110, 0x7f800001
	s_mov_b32 s22, exec_lo
	v_cmpx_ne_u32_e32 0x7f, v1
	s_cbranch_execz .LBB355_712
; %bb.709:                              ;   in Loop: Header=BB355_15 Depth=1
	v_mov_b32_e32 v0, 7
	s_mov_b32 s23, exec_lo
	v_and_b32_sdwa v13, v30, v0 dst_sel:DWORD dst_unused:UNUSED_PAD src0_sel:WORD_1 src1_sel:DWORD
	v_mov_b32_e32 v32, v14
	v_lshrrev_b32_e32 v0, 3, v1
	v_mov_b32_e32 v31, v13
	v_cmpx_gt_u32_e32 8, v1
; %bb.710:                              ;   in Loop: Header=BB355_15 Depth=1
	v_ffbh_u32_e32 v0, v13
	v_min_u32_e32 v0, 32, v0
	v_subrev_nc_u32_e32 v1, 28, v0
	v_sub_nc_u32_e32 v0, 29, v0
	v_lshlrev_b64 v[1:2], v1, v[13:14]
	v_and_b32_e32 v31, 7, v1
; %bb.711:                              ;   in Loop: Header=BB355_15 Depth=1
	s_or_b32 exec_lo, exec_lo, s23
	v_mov_b32_e32 v1, 24
	v_lshlrev_b32_e32 v2, 20, v31
	v_lshl_add_u32 v0, v0, 23, 0x3c000000
	v_lshlrev_b32_sdwa v1, v1, v30 dst_sel:DWORD dst_unused:UNUSED_PAD src0_sel:DWORD src1_sel:WORD_1
	v_and_b32_e32 v1, 0x80000000, v1
	v_or3_b32 v110, v2, v1, v0
.LBB355_712:                            ;   in Loop: Header=BB355_15 Depth=1
	s_or_b32 exec_lo, exec_lo, s22
.LBB355_713:                            ;   in Loop: Header=BB355_15 Depth=1
	s_or_b32 exec_lo, exec_lo, s21
.LBB355_714:                            ;   in Loop: Header=BB355_15 Depth=1
	s_or_b32 exec_lo, exec_lo, s20
	s_mov_b32 s20, exec_lo
	v_cmpx_lt_u64_e64 s[12:13], v[29:30]
	s_cbranch_execz .LBB355_722
; %bb.715:                              ;   in Loop: Header=BB355_15 Depth=1
	v_cmp_ne_u32_sdwa s5, v30, v7 src0_sel:BYTE_3 src1_sel:DWORD
	v_bfrev_b32_e32 v109, 1
	s_and_saveexec_b32 s21, s5
	s_cbranch_execz .LBB355_721
; %bb.716:                              ;   in Loop: Header=BB355_15 Depth=1
	v_bfe_u32 v1, v30, 24, 7
	v_mov_b32_e32 v109, 0x7f800001
	s_mov_b32 s22, exec_lo
	v_cmpx_ne_u32_e32 0x7f, v1
	s_cbranch_execz .LBB355_720
; %bb.717:                              ;   in Loop: Header=BB355_15 Depth=1
	v_mov_b32_e32 v0, 7
	s_mov_b32 s23, exec_lo
	v_and_b32_sdwa v13, v30, v0 dst_sel:DWORD dst_unused:UNUSED_PAD src0_sel:BYTE_3 src1_sel:DWORD
	v_mov_b32_e32 v32, v14
	v_lshrrev_b32_e32 v0, 3, v1
	v_mov_b32_e32 v31, v13
	v_cmpx_gt_u32_e32 8, v1
; %bb.718:                              ;   in Loop: Header=BB355_15 Depth=1
	v_ffbh_u32_e32 v0, v13
	v_min_u32_e32 v0, 32, v0
	v_subrev_nc_u32_e32 v1, 28, v0
	v_sub_nc_u32_e32 v0, 29, v0
	v_lshlrev_b64 v[1:2], v1, v[13:14]
	v_and_b32_e32 v31, 7, v1
; %bb.719:                              ;   in Loop: Header=BB355_15 Depth=1
	s_or_b32 exec_lo, exec_lo, s23
	v_mov_b32_e32 v1, 24
	v_lshlrev_b32_e32 v2, 20, v31
	v_lshl_add_u32 v0, v0, 23, 0x3c000000
	v_lshlrev_b32_sdwa v1, v1, v30 dst_sel:DWORD dst_unused:UNUSED_PAD src0_sel:DWORD src1_sel:BYTE_3
	v_and_b32_e32 v1, 0x80000000, v1
	v_or3_b32 v109, v2, v1, v0
.LBB355_720:                            ;   in Loop: Header=BB355_15 Depth=1
	s_or_b32 exec_lo, exec_lo, s22
.LBB355_721:                            ;   in Loop: Header=BB355_15 Depth=1
	s_or_b32 exec_lo, exec_lo, s21
.LBB355_722:                            ;   in Loop: Header=BB355_15 Depth=1
	s_or_b32 exec_lo, exec_lo, s20
	flat_load_dwordx2 v[29:30], v[27:28] offset:520
	v_mov_b32_e32 v120, 0
	v_mov_b32_e32 v111, 0
	s_waitcnt vmcnt(0) lgkmcnt(0)
	v_cmp_ne_u16_sdwa s5, v29, v14 src0_sel:BYTE_0 src1_sel:DWORD
	s_and_saveexec_b32 s20, s5
	s_cbranch_execz .LBB355_730
; %bb.723:                              ;   in Loop: Header=BB355_15 Depth=1
	v_cmp_ne_u16_sdwa s5, v29, v7 src0_sel:BYTE_0 src1_sel:DWORD
	v_bfrev_b32_e32 v111, 1
	s_and_saveexec_b32 s21, s5
	s_cbranch_execz .LBB355_729
; %bb.724:                              ;   in Loop: Header=BB355_15 Depth=1
	v_and_b32_e32 v1, 0x7f, v29
	v_mov_b32_e32 v111, 0x7f800001
	s_mov_b32 s22, exec_lo
	v_cmpx_ne_u32_e32 0x7f, v1
	s_cbranch_execz .LBB355_728
; %bb.725:                              ;   in Loop: Header=BB355_15 Depth=1
	v_mov_b32_e32 v32, v30
	v_lshrrev_b32_e32 v0, 3, v1
	v_mov_b32_e32 v31, v29
	s_mov_b32 s23, exec_lo
	v_cmpx_gt_u32_e32 8, v1
; %bb.726:                              ;   in Loop: Header=BB355_15 Depth=1
	v_and_b32_e32 v0, 7, v29
	v_ffbh_u32_e32 v0, v0
	v_min_u32_e32 v0, 32, v0
	v_subrev_nc_u32_e32 v1, 28, v0
	v_sub_nc_u32_e32 v0, 29, v0
	v_lshlrev_b64 v[31:32], v1, v[29:30]
; %bb.727:                              ;   in Loop: Header=BB355_15 Depth=1
	s_or_b32 exec_lo, exec_lo, s23
	v_lshlrev_b32_e32 v1, 20, v31
	v_lshlrev_b32_e32 v2, 24, v29
	v_lshl_add_u32 v0, v0, 23, 0x3c000000
	v_and_b32_e32 v1, 0x700000, v1
	v_and_b32_e32 v2, 0x80000000, v2
	v_or3_b32 v111, v1, v2, v0
.LBB355_728:                            ;   in Loop: Header=BB355_15 Depth=1
	s_or_b32 exec_lo, exec_lo, s22
.LBB355_729:                            ;   in Loop: Header=BB355_15 Depth=1
	s_or_b32 exec_lo, exec_lo, s21
.LBB355_730:                            ;   in Loop: Header=BB355_15 Depth=1
	s_or_b32 exec_lo, exec_lo, s20
	v_cmp_ne_u16_sdwa s5, v29, v14 src0_sel:BYTE_1 src1_sel:DWORD
	s_and_saveexec_b32 s20, s5
	s_cbranch_execz .LBB355_738
; %bb.731:                              ;   in Loop: Header=BB355_15 Depth=1
	v_cmp_ne_u16_sdwa s5, v29, v7 src0_sel:BYTE_1 src1_sel:DWORD
	v_bfrev_b32_e32 v120, 1
	s_and_saveexec_b32 s21, s5
	s_cbranch_execz .LBB355_737
; %bb.732:                              ;   in Loop: Header=BB355_15 Depth=1
	v_mov_b32_e32 v0, 0xffff
	v_mov_b32_e32 v120, 0x7f800001
	s_mov_b32 s22, exec_lo
	v_and_b32_sdwa v0, v0, v29 dst_sel:DWORD dst_unused:UNUSED_PAD src0_sel:DWORD src1_sel:BYTE_1
	v_and_b32_e32 v1, 0x7f, v0
	v_cmpx_ne_u32_e32 0x7f, v1
	s_cbranch_execz .LBB355_736
; %bb.733:                              ;   in Loop: Header=BB355_15 Depth=1
	v_and_b32_e32 v13, 7, v0
	v_mov_b32_e32 v32, v14
	v_lshrrev_b32_e32 v0, 3, v1
	s_mov_b32 s23, exec_lo
	v_mov_b32_e32 v31, v13
	v_cmpx_gt_u32_e32 8, v1
; %bb.734:                              ;   in Loop: Header=BB355_15 Depth=1
	v_ffbh_u32_e32 v0, v13
	v_min_u32_e32 v0, 32, v0
	v_subrev_nc_u32_e32 v1, 28, v0
	v_sub_nc_u32_e32 v0, 29, v0
	v_lshlrev_b64 v[1:2], v1, v[13:14]
	v_and_b32_e32 v31, 7, v1
; %bb.735:                              ;   in Loop: Header=BB355_15 Depth=1
	s_or_b32 exec_lo, exec_lo, s23
	v_lshlrev_b32_e32 v1, 16, v29
	v_lshlrev_b32_e32 v2, 20, v31
	v_lshl_add_u32 v0, v0, 23, 0x3c000000
	v_and_b32_e32 v1, 0x80000000, v1
	v_or3_b32 v120, v2, v1, v0
.LBB355_736:                            ;   in Loop: Header=BB355_15 Depth=1
	s_or_b32 exec_lo, exec_lo, s22
.LBB355_737:                            ;   in Loop: Header=BB355_15 Depth=1
	s_or_b32 exec_lo, exec_lo, s21
.LBB355_738:                            ;   in Loop: Header=BB355_15 Depth=1
	s_or_b32 exec_lo, exec_lo, s20
	v_mov_b32_e32 v0, 0xff
	v_mov_b32_e32 v122, 0
	;; [unrolled: 1-line block ×3, first 2 shown]
	s_mov_b32 s20, exec_lo
	v_and_b32_sdwa v0, v29, v0 dst_sel:DWORD dst_unused:UNUSED_PAD src0_sel:WORD_1 src1_sel:DWORD
	v_cmpx_ne_u16_e32 0, v0
	s_cbranch_execz .LBB355_746
; %bb.739:                              ;   in Loop: Header=BB355_15 Depth=1
	v_bfrev_b32_e32 v121, 1
	s_mov_b32 s21, exec_lo
	v_cmpx_ne_u16_e32 0x80, v0
	s_cbranch_execz .LBB355_745
; %bb.740:                              ;   in Loop: Header=BB355_15 Depth=1
	v_bfe_u32 v1, v29, 16, 7
	v_mov_b32_e32 v121, 0x7f800001
	s_mov_b32 s22, exec_lo
	v_cmpx_ne_u32_e32 0x7f, v1
	s_cbranch_execz .LBB355_744
; %bb.741:                              ;   in Loop: Header=BB355_15 Depth=1
	v_mov_b32_e32 v0, 7
	s_mov_b32 s23, exec_lo
	v_and_b32_sdwa v13, v29, v0 dst_sel:DWORD dst_unused:UNUSED_PAD src0_sel:WORD_1 src1_sel:DWORD
	v_mov_b32_e32 v32, v14
	v_lshrrev_b32_e32 v0, 3, v1
	v_mov_b32_e32 v31, v13
	v_cmpx_gt_u32_e32 8, v1
; %bb.742:                              ;   in Loop: Header=BB355_15 Depth=1
	v_ffbh_u32_e32 v0, v13
	v_min_u32_e32 v0, 32, v0
	v_subrev_nc_u32_e32 v1, 28, v0
	v_sub_nc_u32_e32 v0, 29, v0
	v_lshlrev_b64 v[1:2], v1, v[13:14]
	v_and_b32_e32 v31, 7, v1
; %bb.743:                              ;   in Loop: Header=BB355_15 Depth=1
	s_or_b32 exec_lo, exec_lo, s23
	v_mov_b32_e32 v1, 24
	v_lshlrev_b32_e32 v2, 20, v31
	v_lshl_add_u32 v0, v0, 23, 0x3c000000
	v_lshlrev_b32_sdwa v1, v1, v29 dst_sel:DWORD dst_unused:UNUSED_PAD src0_sel:DWORD src1_sel:WORD_1
	v_and_b32_e32 v1, 0x80000000, v1
	v_or3_b32 v121, v2, v1, v0
.LBB355_744:                            ;   in Loop: Header=BB355_15 Depth=1
	s_or_b32 exec_lo, exec_lo, s22
.LBB355_745:                            ;   in Loop: Header=BB355_15 Depth=1
	s_or_b32 exec_lo, exec_lo, s21
.LBB355_746:                            ;   in Loop: Header=BB355_15 Depth=1
	s_or_b32 exec_lo, exec_lo, s20
	s_mov_b32 s20, exec_lo
	v_cmpx_lt_u32_e32 0xffffff, v29
	s_cbranch_execz .LBB355_754
; %bb.747:                              ;   in Loop: Header=BB355_15 Depth=1
	v_cmp_ne_u32_sdwa s5, v29, v7 src0_sel:BYTE_3 src1_sel:DWORD
	v_bfrev_b32_e32 v122, 1
	s_and_saveexec_b32 s21, s5
	s_cbranch_execz .LBB355_753
; %bb.748:                              ;   in Loop: Header=BB355_15 Depth=1
	v_bfe_u32 v1, v29, 24, 7
	v_mov_b32_e32 v122, 0x7f800001
	s_mov_b32 s22, exec_lo
	v_cmpx_ne_u32_e32 0x7f, v1
	s_cbranch_execz .LBB355_752
; %bb.749:                              ;   in Loop: Header=BB355_15 Depth=1
	v_mov_b32_e32 v0, 7
	s_mov_b32 s23, exec_lo
	v_and_b32_sdwa v13, v29, v0 dst_sel:DWORD dst_unused:UNUSED_PAD src0_sel:BYTE_3 src1_sel:DWORD
	v_mov_b32_e32 v32, v14
	v_lshrrev_b32_e32 v0, 3, v1
	v_mov_b32_e32 v31, v13
	v_cmpx_gt_u32_e32 8, v1
; %bb.750:                              ;   in Loop: Header=BB355_15 Depth=1
	v_ffbh_u32_e32 v0, v13
	v_min_u32_e32 v0, 32, v0
	v_subrev_nc_u32_e32 v1, 28, v0
	v_sub_nc_u32_e32 v0, 29, v0
	v_lshlrev_b64 v[1:2], v1, v[13:14]
	v_and_b32_e32 v31, 7, v1
; %bb.751:                              ;   in Loop: Header=BB355_15 Depth=1
	s_or_b32 exec_lo, exec_lo, s23
	v_mov_b32_e32 v1, 24
	v_lshlrev_b32_e32 v2, 20, v31
	v_lshl_add_u32 v0, v0, 23, 0x3c000000
	v_lshlrev_b32_sdwa v1, v1, v29 dst_sel:DWORD dst_unused:UNUSED_PAD src0_sel:DWORD src1_sel:BYTE_3
	v_and_b32_e32 v1, 0x80000000, v1
	v_or3_b32 v122, v2, v1, v0
.LBB355_752:                            ;   in Loop: Header=BB355_15 Depth=1
	s_or_b32 exec_lo, exec_lo, s22
.LBB355_753:                            ;   in Loop: Header=BB355_15 Depth=1
	s_or_b32 exec_lo, exec_lo, s21
.LBB355_754:                            ;   in Loop: Header=BB355_15 Depth=1
	s_or_b32 exec_lo, exec_lo, s20
	v_mov_b32_e32 v13, v30
	v_cmp_ne_u16_sdwa s5, v30, v14 src0_sel:BYTE_0 src1_sel:DWORD
	v_mov_b32_e32 v124, 0
	v_mov_b32_e32 v39, 0
	s_and_saveexec_b32 s20, s5
	s_cbranch_execz .LBB355_762
; %bb.755:                              ;   in Loop: Header=BB355_15 Depth=1
	v_cmp_ne_u16_sdwa s5, v30, v7 src0_sel:BYTE_0 src1_sel:DWORD
	v_bfrev_b32_e32 v39, 1
	s_and_saveexec_b32 s21, s5
	s_cbranch_execz .LBB355_761
; %bb.756:                              ;   in Loop: Header=BB355_15 Depth=1
	v_and_b32_e32 v1, 0x7f, v30
	v_mov_b32_e32 v39, 0x7f800001
	s_mov_b32 s22, exec_lo
	v_cmpx_ne_u32_e32 0x7f, v1
	s_cbranch_execz .LBB355_760
; %bb.757:                              ;   in Loop: Header=BB355_15 Depth=1
	v_mov_b32_e32 v32, v14
	v_lshrrev_b32_e32 v0, 3, v1
	v_mov_b32_e32 v31, v13
	s_mov_b32 s23, exec_lo
	v_cmpx_gt_u32_e32 8, v1
; %bb.758:                              ;   in Loop: Header=BB355_15 Depth=1
	v_and_b32_e32 v0, 7, v30
	v_ffbh_u32_e32 v0, v0
	v_min_u32_e32 v0, 32, v0
	v_subrev_nc_u32_e32 v1, 28, v0
	v_sub_nc_u32_e32 v0, 29, v0
	v_lshlrev_b64 v[31:32], v1, v[13:14]
; %bb.759:                              ;   in Loop: Header=BB355_15 Depth=1
	s_or_b32 exec_lo, exec_lo, s23
	v_lshlrev_b32_e32 v1, 20, v31
	v_lshlrev_b32_e32 v2, 24, v13
	v_lshl_add_u32 v0, v0, 23, 0x3c000000
	v_and_b32_e32 v1, 0x700000, v1
	v_and_b32_e32 v2, 0x80000000, v2
	v_or3_b32 v39, v1, v2, v0
.LBB355_760:                            ;   in Loop: Header=BB355_15 Depth=1
	s_or_b32 exec_lo, exec_lo, s22
.LBB355_761:                            ;   in Loop: Header=BB355_15 Depth=1
	s_or_b32 exec_lo, exec_lo, s21
.LBB355_762:                            ;   in Loop: Header=BB355_15 Depth=1
	s_or_b32 exec_lo, exec_lo, s20
	v_cmp_ne_u16_sdwa s5, v13, v14 src0_sel:BYTE_1 src1_sel:DWORD
	s_and_saveexec_b32 s20, s5
	s_cbranch_execz .LBB355_770
; %bb.763:                              ;   in Loop: Header=BB355_15 Depth=1
	v_cmp_ne_u16_sdwa s5, v13, v7 src0_sel:BYTE_1 src1_sel:DWORD
	v_bfrev_b32_e32 v124, 1
	s_and_saveexec_b32 s21, s5
	s_cbranch_execz .LBB355_769
; %bb.764:                              ;   in Loop: Header=BB355_15 Depth=1
	v_mov_b32_e32 v0, 0xffff
	v_mov_b32_e32 v124, 0x7f800001
	s_mov_b32 s22, exec_lo
	v_and_b32_sdwa v0, v0, v13 dst_sel:DWORD dst_unused:UNUSED_PAD src0_sel:DWORD src1_sel:BYTE_1
	v_and_b32_e32 v1, 0x7f, v0
	v_cmpx_ne_u32_e32 0x7f, v1
	s_cbranch_execz .LBB355_768
; %bb.765:                              ;   in Loop: Header=BB355_15 Depth=1
	v_and_b32_e32 v31, 7, v0
	v_mov_b32_e32 v32, v14
	v_lshrrev_b32_e32 v0, 3, v1
	s_mov_b32 s23, exec_lo
	v_cmpx_gt_u32_e32 8, v1
; %bb.766:                              ;   in Loop: Header=BB355_15 Depth=1
	v_ffbh_u32_e32 v0, v31
	v_min_u32_e32 v0, 32, v0
	v_subrev_nc_u32_e32 v1, 28, v0
	v_sub_nc_u32_e32 v0, 29, v0
	v_lshlrev_b64 v[1:2], v1, v[31:32]
	v_and_b32_e32 v31, 7, v1
; %bb.767:                              ;   in Loop: Header=BB355_15 Depth=1
	s_or_b32 exec_lo, exec_lo, s23
	v_lshlrev_b32_e32 v1, 16, v13
	v_lshlrev_b32_e32 v2, 20, v31
	v_lshl_add_u32 v0, v0, 23, 0x3c000000
	v_and_b32_e32 v1, 0x80000000, v1
	v_or3_b32 v124, v2, v1, v0
.LBB355_768:                            ;   in Loop: Header=BB355_15 Depth=1
	s_or_b32 exec_lo, exec_lo, s22
.LBB355_769:                            ;   in Loop: Header=BB355_15 Depth=1
	s_or_b32 exec_lo, exec_lo, s21
.LBB355_770:                            ;   in Loop: Header=BB355_15 Depth=1
	s_or_b32 exec_lo, exec_lo, s20
	v_mov_b32_e32 v0, 0xff
	v_mov_b32_e32 v8, 0
	v_mov_b32_e32 v4, 0
	s_mov_b32 s20, exec_lo
	v_and_b32_sdwa v0, v30, v0 dst_sel:DWORD dst_unused:UNUSED_PAD src0_sel:WORD_1 src1_sel:DWORD
	v_cmpx_ne_u16_e32 0, v0
	s_cbranch_execz .LBB355_778
; %bb.771:                              ;   in Loop: Header=BB355_15 Depth=1
	v_bfrev_b32_e32 v4, 1
	s_mov_b32 s21, exec_lo
	v_cmpx_ne_u16_e32 0x80, v0
	s_cbranch_execz .LBB355_777
; %bb.772:                              ;   in Loop: Header=BB355_15 Depth=1
	v_bfe_u32 v1, v30, 16, 7
	v_mov_b32_e32 v4, 0x7f800001
	s_mov_b32 s22, exec_lo
	v_cmpx_ne_u32_e32 0x7f, v1
	s_cbranch_execz .LBB355_776
; %bb.773:                              ;   in Loop: Header=BB355_15 Depth=1
	v_mov_b32_e32 v0, 7
	s_mov_b32 s23, exec_lo
	v_and_b32_sdwa v13, v30, v0 dst_sel:DWORD dst_unused:UNUSED_PAD src0_sel:WORD_1 src1_sel:DWORD
	v_mov_b32_e32 v32, v14
	v_lshrrev_b32_e32 v0, 3, v1
	v_mov_b32_e32 v31, v13
	v_cmpx_gt_u32_e32 8, v1
; %bb.774:                              ;   in Loop: Header=BB355_15 Depth=1
	v_ffbh_u32_e32 v0, v13
	v_min_u32_e32 v0, 32, v0
	v_subrev_nc_u32_e32 v1, 28, v0
	v_sub_nc_u32_e32 v0, 29, v0
	v_lshlrev_b64 v[1:2], v1, v[13:14]
	v_and_b32_e32 v31, 7, v1
; %bb.775:                              ;   in Loop: Header=BB355_15 Depth=1
	s_or_b32 exec_lo, exec_lo, s23
	v_mov_b32_e32 v1, 24
	v_lshlrev_b32_e32 v2, 20, v31
	v_lshl_add_u32 v0, v0, 23, 0x3c000000
	v_lshlrev_b32_sdwa v1, v1, v30 dst_sel:DWORD dst_unused:UNUSED_PAD src0_sel:DWORD src1_sel:WORD_1
	v_and_b32_e32 v1, 0x80000000, v1
	v_or3_b32 v4, v2, v1, v0
.LBB355_776:                            ;   in Loop: Header=BB355_15 Depth=1
	s_or_b32 exec_lo, exec_lo, s22
.LBB355_777:                            ;   in Loop: Header=BB355_15 Depth=1
	s_or_b32 exec_lo, exec_lo, s21
.LBB355_778:                            ;   in Loop: Header=BB355_15 Depth=1
	s_or_b32 exec_lo, exec_lo, s20
	s_mov_b32 s20, exec_lo
	v_cmpx_lt_u64_e64 s[12:13], v[29:30]
	s_cbranch_execz .LBB355_786
; %bb.779:                              ;   in Loop: Header=BB355_15 Depth=1
	v_cmp_ne_u32_sdwa s5, v30, v7 src0_sel:BYTE_3 src1_sel:DWORD
	v_bfrev_b32_e32 v8, 1
	s_and_saveexec_b32 s21, s5
	s_cbranch_execz .LBB355_785
; %bb.780:                              ;   in Loop: Header=BB355_15 Depth=1
	v_bfe_u32 v1, v30, 24, 7
	v_mov_b32_e32 v8, 0x7f800001
	s_mov_b32 s22, exec_lo
	v_cmpx_ne_u32_e32 0x7f, v1
	s_cbranch_execz .LBB355_784
; %bb.781:                              ;   in Loop: Header=BB355_15 Depth=1
	v_mov_b32_e32 v0, 7
	s_mov_b32 s23, exec_lo
	v_and_b32_sdwa v13, v30, v0 dst_sel:DWORD dst_unused:UNUSED_PAD src0_sel:BYTE_3 src1_sel:DWORD
	v_mov_b32_e32 v32, v14
	v_lshrrev_b32_e32 v0, 3, v1
	v_mov_b32_e32 v31, v13
	v_cmpx_gt_u32_e32 8, v1
; %bb.782:                              ;   in Loop: Header=BB355_15 Depth=1
	v_ffbh_u32_e32 v0, v13
	v_min_u32_e32 v0, 32, v0
	v_subrev_nc_u32_e32 v1, 28, v0
	v_sub_nc_u32_e32 v0, 29, v0
	v_lshlrev_b64 v[1:2], v1, v[13:14]
	v_and_b32_e32 v31, 7, v1
; %bb.783:                              ;   in Loop: Header=BB355_15 Depth=1
	s_or_b32 exec_lo, exec_lo, s23
	v_mov_b32_e32 v1, 24
	v_lshlrev_b32_e32 v2, 20, v31
	v_lshl_add_u32 v0, v0, 23, 0x3c000000
	v_lshlrev_b32_sdwa v1, v1, v30 dst_sel:DWORD dst_unused:UNUSED_PAD src0_sel:DWORD src1_sel:BYTE_3
	v_and_b32_e32 v1, 0x80000000, v1
	v_or3_b32 v8, v2, v1, v0
.LBB355_784:                            ;   in Loop: Header=BB355_15 Depth=1
	s_or_b32 exec_lo, exec_lo, s22
.LBB355_785:                            ;   in Loop: Header=BB355_15 Depth=1
	s_or_b32 exec_lo, exec_lo, s21
.LBB355_786:                            ;   in Loop: Header=BB355_15 Depth=1
	s_or_b32 exec_lo, exec_lo, s20
	flat_load_dwordx2 v[29:30], v[27:28] offset:1024
	v_mov_b32_e32 v18, 0
	v_mov_b32_e32 v5, 0
	s_waitcnt vmcnt(0) lgkmcnt(0)
	v_cmp_ne_u16_sdwa s5, v29, v14 src0_sel:BYTE_0 src1_sel:DWORD
	s_and_saveexec_b32 s20, s5
	s_cbranch_execz .LBB355_794
; %bb.787:                              ;   in Loop: Header=BB355_15 Depth=1
	v_cmp_ne_u16_sdwa s5, v29, v7 src0_sel:BYTE_0 src1_sel:DWORD
	v_bfrev_b32_e32 v5, 1
	s_and_saveexec_b32 s21, s5
	s_cbranch_execz .LBB355_793
; %bb.788:                              ;   in Loop: Header=BB355_15 Depth=1
	v_and_b32_e32 v1, 0x7f, v29
	v_mov_b32_e32 v5, 0x7f800001
	s_mov_b32 s22, exec_lo
	v_cmpx_ne_u32_e32 0x7f, v1
	s_cbranch_execz .LBB355_792
; %bb.789:                              ;   in Loop: Header=BB355_15 Depth=1
	v_mov_b32_e32 v32, v30
	v_lshrrev_b32_e32 v0, 3, v1
	v_mov_b32_e32 v31, v29
	s_mov_b32 s23, exec_lo
	v_cmpx_gt_u32_e32 8, v1
; %bb.790:                              ;   in Loop: Header=BB355_15 Depth=1
	v_and_b32_e32 v0, 7, v29
	v_ffbh_u32_e32 v0, v0
	v_min_u32_e32 v0, 32, v0
	v_subrev_nc_u32_e32 v1, 28, v0
	v_sub_nc_u32_e32 v0, 29, v0
	v_lshlrev_b64 v[31:32], v1, v[29:30]
; %bb.791:                              ;   in Loop: Header=BB355_15 Depth=1
	s_or_b32 exec_lo, exec_lo, s23
	v_lshlrev_b32_e32 v1, 20, v31
	v_lshlrev_b32_e32 v2, 24, v29
	v_lshl_add_u32 v0, v0, 23, 0x3c000000
	v_and_b32_e32 v1, 0x700000, v1
	v_and_b32_e32 v2, 0x80000000, v2
	v_or3_b32 v5, v1, v2, v0
.LBB355_792:                            ;   in Loop: Header=BB355_15 Depth=1
	s_or_b32 exec_lo, exec_lo, s22
.LBB355_793:                            ;   in Loop: Header=BB355_15 Depth=1
	s_or_b32 exec_lo, exec_lo, s21
.LBB355_794:                            ;   in Loop: Header=BB355_15 Depth=1
	s_or_b32 exec_lo, exec_lo, s20
	v_cmp_ne_u16_sdwa s5, v29, v14 src0_sel:BYTE_1 src1_sel:DWORD
	s_and_saveexec_b32 s20, s5
	s_cbranch_execz .LBB355_802
; %bb.795:                              ;   in Loop: Header=BB355_15 Depth=1
	v_cmp_ne_u16_sdwa s5, v29, v7 src0_sel:BYTE_1 src1_sel:DWORD
	v_bfrev_b32_e32 v18, 1
	s_and_saveexec_b32 s21, s5
	s_cbranch_execz .LBB355_801
; %bb.796:                              ;   in Loop: Header=BB355_15 Depth=1
	v_mov_b32_e32 v0, 0xffff
	v_mov_b32_e32 v18, 0x7f800001
	s_mov_b32 s22, exec_lo
	v_and_b32_sdwa v0, v0, v29 dst_sel:DWORD dst_unused:UNUSED_PAD src0_sel:DWORD src1_sel:BYTE_1
	v_and_b32_e32 v1, 0x7f, v0
	v_cmpx_ne_u32_e32 0x7f, v1
	s_cbranch_execz .LBB355_800
; %bb.797:                              ;   in Loop: Header=BB355_15 Depth=1
	v_and_b32_e32 v13, 7, v0
	v_mov_b32_e32 v32, v14
	v_lshrrev_b32_e32 v0, 3, v1
	s_mov_b32 s23, exec_lo
	v_mov_b32_e32 v31, v13
	v_cmpx_gt_u32_e32 8, v1
; %bb.798:                              ;   in Loop: Header=BB355_15 Depth=1
	v_ffbh_u32_e32 v0, v13
	v_min_u32_e32 v0, 32, v0
	v_subrev_nc_u32_e32 v1, 28, v0
	v_sub_nc_u32_e32 v0, 29, v0
	v_lshlrev_b64 v[1:2], v1, v[13:14]
	v_and_b32_e32 v31, 7, v1
; %bb.799:                              ;   in Loop: Header=BB355_15 Depth=1
	s_or_b32 exec_lo, exec_lo, s23
	v_lshlrev_b32_e32 v1, 16, v29
	v_lshlrev_b32_e32 v2, 20, v31
	v_lshl_add_u32 v0, v0, 23, 0x3c000000
	v_and_b32_e32 v1, 0x80000000, v1
	v_or3_b32 v18, v2, v1, v0
.LBB355_800:                            ;   in Loop: Header=BB355_15 Depth=1
	s_or_b32 exec_lo, exec_lo, s22
.LBB355_801:                            ;   in Loop: Header=BB355_15 Depth=1
	s_or_b32 exec_lo, exec_lo, s21
.LBB355_802:                            ;   in Loop: Header=BB355_15 Depth=1
	s_or_b32 exec_lo, exec_lo, s20
	v_mov_b32_e32 v0, 0xff
	v_mov_b32_e32 v35, 0
	;; [unrolled: 1-line block ×3, first 2 shown]
	s_mov_b32 s20, exec_lo
	v_and_b32_sdwa v0, v29, v0 dst_sel:DWORD dst_unused:UNUSED_PAD src0_sel:WORD_1 src1_sel:DWORD
	v_cmpx_ne_u16_e32 0, v0
	s_cbranch_execz .LBB355_810
; %bb.803:                              ;   in Loop: Header=BB355_15 Depth=1
	v_bfrev_b32_e32 v9, 1
	s_mov_b32 s21, exec_lo
	v_cmpx_ne_u16_e32 0x80, v0
	s_cbranch_execz .LBB355_809
; %bb.804:                              ;   in Loop: Header=BB355_15 Depth=1
	v_bfe_u32 v1, v29, 16, 7
	v_mov_b32_e32 v9, 0x7f800001
	s_mov_b32 s22, exec_lo
	v_cmpx_ne_u32_e32 0x7f, v1
	s_cbranch_execz .LBB355_808
; %bb.805:                              ;   in Loop: Header=BB355_15 Depth=1
	v_mov_b32_e32 v0, 7
	s_mov_b32 s23, exec_lo
	v_and_b32_sdwa v13, v29, v0 dst_sel:DWORD dst_unused:UNUSED_PAD src0_sel:WORD_1 src1_sel:DWORD
	v_mov_b32_e32 v32, v14
	v_lshrrev_b32_e32 v0, 3, v1
	v_mov_b32_e32 v31, v13
	v_cmpx_gt_u32_e32 8, v1
; %bb.806:                              ;   in Loop: Header=BB355_15 Depth=1
	v_ffbh_u32_e32 v0, v13
	v_min_u32_e32 v0, 32, v0
	v_subrev_nc_u32_e32 v1, 28, v0
	v_sub_nc_u32_e32 v0, 29, v0
	v_lshlrev_b64 v[1:2], v1, v[13:14]
	v_and_b32_e32 v31, 7, v1
; %bb.807:                              ;   in Loop: Header=BB355_15 Depth=1
	s_or_b32 exec_lo, exec_lo, s23
	v_mov_b32_e32 v1, 24
	v_lshlrev_b32_e32 v2, 20, v31
	v_lshl_add_u32 v0, v0, 23, 0x3c000000
	v_lshlrev_b32_sdwa v1, v1, v29 dst_sel:DWORD dst_unused:UNUSED_PAD src0_sel:DWORD src1_sel:WORD_1
	v_and_b32_e32 v1, 0x80000000, v1
	v_or3_b32 v9, v2, v1, v0
.LBB355_808:                            ;   in Loop: Header=BB355_15 Depth=1
	s_or_b32 exec_lo, exec_lo, s22
.LBB355_809:                            ;   in Loop: Header=BB355_15 Depth=1
	s_or_b32 exec_lo, exec_lo, s21
.LBB355_810:                            ;   in Loop: Header=BB355_15 Depth=1
	s_or_b32 exec_lo, exec_lo, s20
	s_mov_b32 s20, exec_lo
	v_cmpx_lt_u32_e32 0xffffff, v29
	s_cbranch_execz .LBB355_818
; %bb.811:                              ;   in Loop: Header=BB355_15 Depth=1
	v_cmp_ne_u32_sdwa s5, v29, v7 src0_sel:BYTE_3 src1_sel:DWORD
	v_bfrev_b32_e32 v35, 1
	s_and_saveexec_b32 s21, s5
	s_cbranch_execz .LBB355_817
; %bb.812:                              ;   in Loop: Header=BB355_15 Depth=1
	v_bfe_u32 v1, v29, 24, 7
	v_mov_b32_e32 v35, 0x7f800001
	s_mov_b32 s22, exec_lo
	v_cmpx_ne_u32_e32 0x7f, v1
	s_cbranch_execz .LBB355_816
; %bb.813:                              ;   in Loop: Header=BB355_15 Depth=1
	v_mov_b32_e32 v0, 7
	s_mov_b32 s23, exec_lo
	v_and_b32_sdwa v13, v29, v0 dst_sel:DWORD dst_unused:UNUSED_PAD src0_sel:BYTE_3 src1_sel:DWORD
	v_mov_b32_e32 v32, v14
	v_lshrrev_b32_e32 v0, 3, v1
	v_mov_b32_e32 v31, v13
	v_cmpx_gt_u32_e32 8, v1
; %bb.814:                              ;   in Loop: Header=BB355_15 Depth=1
	v_ffbh_u32_e32 v0, v13
	v_min_u32_e32 v0, 32, v0
	v_subrev_nc_u32_e32 v1, 28, v0
	v_sub_nc_u32_e32 v0, 29, v0
	v_lshlrev_b64 v[1:2], v1, v[13:14]
	v_and_b32_e32 v31, 7, v1
; %bb.815:                              ;   in Loop: Header=BB355_15 Depth=1
	s_or_b32 exec_lo, exec_lo, s23
	v_mov_b32_e32 v1, 24
	v_lshlrev_b32_e32 v2, 20, v31
	v_lshl_add_u32 v0, v0, 23, 0x3c000000
	v_lshlrev_b32_sdwa v1, v1, v29 dst_sel:DWORD dst_unused:UNUSED_PAD src0_sel:DWORD src1_sel:BYTE_3
	v_and_b32_e32 v1, 0x80000000, v1
	v_or3_b32 v35, v2, v1, v0
.LBB355_816:                            ;   in Loop: Header=BB355_15 Depth=1
	s_or_b32 exec_lo, exec_lo, s22
.LBB355_817:                            ;   in Loop: Header=BB355_15 Depth=1
	s_or_b32 exec_lo, exec_lo, s21
.LBB355_818:                            ;   in Loop: Header=BB355_15 Depth=1
	s_or_b32 exec_lo, exec_lo, s20
	v_mov_b32_e32 v13, v30
	v_cmp_ne_u16_sdwa s5, v30, v14 src0_sel:BYTE_0 src1_sel:DWORD
	v_mov_b32_e32 v20, 0
	v_mov_b32_e32 v21, 0
	s_and_saveexec_b32 s20, s5
	s_cbranch_execz .LBB355_826
; %bb.819:                              ;   in Loop: Header=BB355_15 Depth=1
	v_cmp_ne_u16_sdwa s5, v30, v7 src0_sel:BYTE_0 src1_sel:DWORD
	v_bfrev_b32_e32 v21, 1
	s_and_saveexec_b32 s21, s5
	s_cbranch_execz .LBB355_825
; %bb.820:                              ;   in Loop: Header=BB355_15 Depth=1
	v_and_b32_e32 v1, 0x7f, v30
	v_mov_b32_e32 v21, 0x7f800001
	s_mov_b32 s22, exec_lo
	v_cmpx_ne_u32_e32 0x7f, v1
	s_cbranch_execz .LBB355_824
; %bb.821:                              ;   in Loop: Header=BB355_15 Depth=1
	v_mov_b32_e32 v32, v14
	v_lshrrev_b32_e32 v0, 3, v1
	v_mov_b32_e32 v31, v13
	s_mov_b32 s23, exec_lo
	v_cmpx_gt_u32_e32 8, v1
; %bb.822:                              ;   in Loop: Header=BB355_15 Depth=1
	v_and_b32_e32 v0, 7, v30
	v_ffbh_u32_e32 v0, v0
	v_min_u32_e32 v0, 32, v0
	v_subrev_nc_u32_e32 v1, 28, v0
	v_sub_nc_u32_e32 v0, 29, v0
	v_lshlrev_b64 v[31:32], v1, v[13:14]
; %bb.823:                              ;   in Loop: Header=BB355_15 Depth=1
	s_or_b32 exec_lo, exec_lo, s23
	v_lshlrev_b32_e32 v1, 20, v31
	v_lshlrev_b32_e32 v2, 24, v13
	v_lshl_add_u32 v0, v0, 23, 0x3c000000
	v_and_b32_e32 v1, 0x700000, v1
	v_and_b32_e32 v2, 0x80000000, v2
	v_or3_b32 v21, v1, v2, v0
.LBB355_824:                            ;   in Loop: Header=BB355_15 Depth=1
	s_or_b32 exec_lo, exec_lo, s22
.LBB355_825:                            ;   in Loop: Header=BB355_15 Depth=1
	s_or_b32 exec_lo, exec_lo, s21
.LBB355_826:                            ;   in Loop: Header=BB355_15 Depth=1
	s_or_b32 exec_lo, exec_lo, s20
	v_cmp_ne_u16_sdwa s5, v13, v14 src0_sel:BYTE_1 src1_sel:DWORD
	s_and_saveexec_b32 s20, s5
	s_cbranch_execz .LBB355_834
; %bb.827:                              ;   in Loop: Header=BB355_15 Depth=1
	v_cmp_ne_u16_sdwa s5, v13, v7 src0_sel:BYTE_1 src1_sel:DWORD
	v_bfrev_b32_e32 v20, 1
	s_and_saveexec_b32 s21, s5
	s_cbranch_execz .LBB355_833
; %bb.828:                              ;   in Loop: Header=BB355_15 Depth=1
	v_mov_b32_e32 v0, 0xffff
	v_mov_b32_e32 v20, 0x7f800001
	s_mov_b32 s22, exec_lo
	v_and_b32_sdwa v0, v0, v13 dst_sel:DWORD dst_unused:UNUSED_PAD src0_sel:DWORD src1_sel:BYTE_1
	v_and_b32_e32 v1, 0x7f, v0
	v_cmpx_ne_u32_e32 0x7f, v1
	s_cbranch_execz .LBB355_832
; %bb.829:                              ;   in Loop: Header=BB355_15 Depth=1
	v_and_b32_e32 v31, 7, v0
	v_mov_b32_e32 v32, v14
	v_lshrrev_b32_e32 v0, 3, v1
	s_mov_b32 s23, exec_lo
	v_cmpx_gt_u32_e32 8, v1
; %bb.830:                              ;   in Loop: Header=BB355_15 Depth=1
	v_ffbh_u32_e32 v0, v31
	v_min_u32_e32 v0, 32, v0
	v_subrev_nc_u32_e32 v1, 28, v0
	v_sub_nc_u32_e32 v0, 29, v0
	v_lshlrev_b64 v[1:2], v1, v[31:32]
	v_and_b32_e32 v31, 7, v1
; %bb.831:                              ;   in Loop: Header=BB355_15 Depth=1
	s_or_b32 exec_lo, exec_lo, s23
	v_lshlrev_b32_e32 v1, 16, v13
	v_lshlrev_b32_e32 v2, 20, v31
	v_lshl_add_u32 v0, v0, 23, 0x3c000000
	v_and_b32_e32 v1, 0x80000000, v1
	v_or3_b32 v20, v2, v1, v0
.LBB355_832:                            ;   in Loop: Header=BB355_15 Depth=1
	s_or_b32 exec_lo, exec_lo, s22
.LBB355_833:                            ;   in Loop: Header=BB355_15 Depth=1
	s_or_b32 exec_lo, exec_lo, s21
.LBB355_834:                            ;   in Loop: Header=BB355_15 Depth=1
	s_or_b32 exec_lo, exec_lo, s20
	v_mov_b32_e32 v0, 0xff
	v_mov_b32_e32 v61, 0
	;; [unrolled: 1-line block ×3, first 2 shown]
	s_mov_b32 s20, exec_lo
	v_and_b32_sdwa v0, v30, v0 dst_sel:DWORD dst_unused:UNUSED_PAD src0_sel:WORD_1 src1_sel:DWORD
	v_cmpx_ne_u16_e32 0, v0
	s_cbranch_execz .LBB355_842
; %bb.835:                              ;   in Loop: Header=BB355_15 Depth=1
	v_bfrev_b32_e32 v38, 1
	s_mov_b32 s21, exec_lo
	v_cmpx_ne_u16_e32 0x80, v0
	s_cbranch_execz .LBB355_841
; %bb.836:                              ;   in Loop: Header=BB355_15 Depth=1
	v_bfe_u32 v1, v30, 16, 7
	v_mov_b32_e32 v38, 0x7f800001
	s_mov_b32 s22, exec_lo
	v_cmpx_ne_u32_e32 0x7f, v1
	s_cbranch_execz .LBB355_840
; %bb.837:                              ;   in Loop: Header=BB355_15 Depth=1
	v_mov_b32_e32 v0, 7
	s_mov_b32 s23, exec_lo
	v_and_b32_sdwa v13, v30, v0 dst_sel:DWORD dst_unused:UNUSED_PAD src0_sel:WORD_1 src1_sel:DWORD
	v_mov_b32_e32 v32, v14
	v_lshrrev_b32_e32 v0, 3, v1
	v_mov_b32_e32 v31, v13
	v_cmpx_gt_u32_e32 8, v1
; %bb.838:                              ;   in Loop: Header=BB355_15 Depth=1
	v_ffbh_u32_e32 v0, v13
	v_min_u32_e32 v0, 32, v0
	v_subrev_nc_u32_e32 v1, 28, v0
	v_sub_nc_u32_e32 v0, 29, v0
	v_lshlrev_b64 v[1:2], v1, v[13:14]
	v_and_b32_e32 v31, 7, v1
; %bb.839:                              ;   in Loop: Header=BB355_15 Depth=1
	s_or_b32 exec_lo, exec_lo, s23
	v_mov_b32_e32 v1, 24
	v_lshlrev_b32_e32 v2, 20, v31
	v_lshl_add_u32 v0, v0, 23, 0x3c000000
	v_lshlrev_b32_sdwa v1, v1, v30 dst_sel:DWORD dst_unused:UNUSED_PAD src0_sel:DWORD src1_sel:WORD_1
	v_and_b32_e32 v1, 0x80000000, v1
	v_or3_b32 v38, v2, v1, v0
.LBB355_840:                            ;   in Loop: Header=BB355_15 Depth=1
	s_or_b32 exec_lo, exec_lo, s22
.LBB355_841:                            ;   in Loop: Header=BB355_15 Depth=1
	s_or_b32 exec_lo, exec_lo, s21
.LBB355_842:                            ;   in Loop: Header=BB355_15 Depth=1
	s_or_b32 exec_lo, exec_lo, s20
	s_mov_b32 s20, exec_lo
	v_cmpx_lt_u64_e64 s[12:13], v[29:30]
	s_cbranch_execz .LBB355_850
; %bb.843:                              ;   in Loop: Header=BB355_15 Depth=1
	v_cmp_ne_u32_sdwa s5, v30, v7 src0_sel:BYTE_3 src1_sel:DWORD
	v_bfrev_b32_e32 v61, 1
	s_and_saveexec_b32 s21, s5
	s_cbranch_execz .LBB355_849
; %bb.844:                              ;   in Loop: Header=BB355_15 Depth=1
	v_bfe_u32 v1, v30, 24, 7
	v_mov_b32_e32 v61, 0x7f800001
	s_mov_b32 s22, exec_lo
	v_cmpx_ne_u32_e32 0x7f, v1
	s_cbranch_execz .LBB355_848
; %bb.845:                              ;   in Loop: Header=BB355_15 Depth=1
	v_mov_b32_e32 v0, 7
	s_mov_b32 s23, exec_lo
	v_and_b32_sdwa v13, v30, v0 dst_sel:DWORD dst_unused:UNUSED_PAD src0_sel:BYTE_3 src1_sel:DWORD
	v_mov_b32_e32 v32, v14
	v_lshrrev_b32_e32 v0, 3, v1
	v_mov_b32_e32 v31, v13
	v_cmpx_gt_u32_e32 8, v1
; %bb.846:                              ;   in Loop: Header=BB355_15 Depth=1
	v_ffbh_u32_e32 v0, v13
	v_min_u32_e32 v0, 32, v0
	v_subrev_nc_u32_e32 v1, 28, v0
	v_sub_nc_u32_e32 v0, 29, v0
	v_lshlrev_b64 v[1:2], v1, v[13:14]
	v_and_b32_e32 v31, 7, v1
; %bb.847:                              ;   in Loop: Header=BB355_15 Depth=1
	s_or_b32 exec_lo, exec_lo, s23
	v_mov_b32_e32 v1, 24
	v_lshlrev_b32_e32 v2, 20, v31
	v_lshl_add_u32 v0, v0, 23, 0x3c000000
	v_lshlrev_b32_sdwa v1, v1, v30 dst_sel:DWORD dst_unused:UNUSED_PAD src0_sel:DWORD src1_sel:BYTE_3
	v_and_b32_e32 v1, 0x80000000, v1
	v_or3_b32 v61, v2, v1, v0
.LBB355_848:                            ;   in Loop: Header=BB355_15 Depth=1
	s_or_b32 exec_lo, exec_lo, s22
.LBB355_849:                            ;   in Loop: Header=BB355_15 Depth=1
	s_or_b32 exec_lo, exec_lo, s21
.LBB355_850:                            ;   in Loop: Header=BB355_15 Depth=1
	s_or_b32 exec_lo, exec_lo, s20
	flat_load_dwordx2 v[29:30], v[27:28] offset:1032
	v_mov_b32_e32 v2, 0
	v_mov_b32_e32 v126, 0
	s_waitcnt vmcnt(0) lgkmcnt(0)
	v_cmp_ne_u16_sdwa s5, v29, v14 src0_sel:BYTE_0 src1_sel:DWORD
	s_and_saveexec_b32 s20, s5
	s_cbranch_execz .LBB355_858
; %bb.851:                              ;   in Loop: Header=BB355_15 Depth=1
	v_cmp_ne_u16_sdwa s5, v29, v7 src0_sel:BYTE_0 src1_sel:DWORD
	v_bfrev_b32_e32 v126, 1
	s_and_saveexec_b32 s21, s5
	s_cbranch_execz .LBB355_857
; %bb.852:                              ;   in Loop: Header=BB355_15 Depth=1
	v_and_b32_e32 v1, 0x7f, v29
	v_mov_b32_e32 v126, 0x7f800001
	s_mov_b32 s22, exec_lo
	v_cmpx_ne_u32_e32 0x7f, v1
	s_cbranch_execz .LBB355_856
; %bb.853:                              ;   in Loop: Header=BB355_15 Depth=1
	v_mov_b32_e32 v32, v30
	v_lshrrev_b32_e32 v0, 3, v1
	v_mov_b32_e32 v31, v29
	s_mov_b32 s23, exec_lo
	v_cmpx_gt_u32_e32 8, v1
; %bb.854:                              ;   in Loop: Header=BB355_15 Depth=1
	v_and_b32_e32 v0, 7, v29
	v_ffbh_u32_e32 v0, v0
	v_min_u32_e32 v0, 32, v0
	v_subrev_nc_u32_e32 v1, 28, v0
	v_sub_nc_u32_e32 v0, 29, v0
	v_lshlrev_b64 v[31:32], v1, v[29:30]
; %bb.855:                              ;   in Loop: Header=BB355_15 Depth=1
	s_or_b32 exec_lo, exec_lo, s23
	v_lshlrev_b32_e32 v1, 20, v31
	v_lshlrev_b32_e32 v3, 24, v29
	v_lshl_add_u32 v0, v0, 23, 0x3c000000
	v_and_b32_e32 v1, 0x700000, v1
	v_and_b32_e32 v3, 0x80000000, v3
	v_or3_b32 v126, v1, v3, v0
.LBB355_856:                            ;   in Loop: Header=BB355_15 Depth=1
	s_or_b32 exec_lo, exec_lo, s22
.LBB355_857:                            ;   in Loop: Header=BB355_15 Depth=1
	s_or_b32 exec_lo, exec_lo, s21
.LBB355_858:                            ;   in Loop: Header=BB355_15 Depth=1
	s_or_b32 exec_lo, exec_lo, s20
	v_cmp_ne_u16_sdwa s5, v29, v14 src0_sel:BYTE_1 src1_sel:DWORD
	s_and_saveexec_b32 s20, s5
	s_cbranch_execz .LBB355_866
; %bb.859:                              ;   in Loop: Header=BB355_15 Depth=1
	v_cmp_ne_u16_sdwa s5, v29, v7 src0_sel:BYTE_1 src1_sel:DWORD
	v_bfrev_b32_e32 v2, 1
	s_and_saveexec_b32 s21, s5
	s_cbranch_execz .LBB355_865
; %bb.860:                              ;   in Loop: Header=BB355_15 Depth=1
	v_mov_b32_e32 v0, 0xffff
	v_mov_b32_e32 v2, 0x7f800001
	s_mov_b32 s22, exec_lo
	v_and_b32_sdwa v0, v0, v29 dst_sel:DWORD dst_unused:UNUSED_PAD src0_sel:DWORD src1_sel:BYTE_1
	v_and_b32_e32 v1, 0x7f, v0
	v_cmpx_ne_u32_e32 0x7f, v1
	s_cbranch_execz .LBB355_864
; %bb.861:                              ;   in Loop: Header=BB355_15 Depth=1
	v_and_b32_e32 v13, 7, v0
	v_mov_b32_e32 v32, v14
	v_lshrrev_b32_e32 v0, 3, v1
	s_mov_b32 s23, exec_lo
	v_mov_b32_e32 v31, v13
	v_cmpx_gt_u32_e32 8, v1
; %bb.862:                              ;   in Loop: Header=BB355_15 Depth=1
	v_ffbh_u32_e32 v0, v13
	v_min_u32_e32 v0, 32, v0
	v_subrev_nc_u32_e32 v1, 28, v0
	v_sub_nc_u32_e32 v0, 29, v0
	v_lshlrev_b64 v[1:2], v1, v[13:14]
	v_and_b32_e32 v31, 7, v1
; %bb.863:                              ;   in Loop: Header=BB355_15 Depth=1
	s_or_b32 exec_lo, exec_lo, s23
	v_lshlrev_b32_e32 v1, 16, v29
	v_lshlrev_b32_e32 v2, 20, v31
	v_lshl_add_u32 v0, v0, 23, 0x3c000000
	v_and_b32_e32 v1, 0x80000000, v1
	v_or3_b32 v2, v2, v1, v0
.LBB355_864:                            ;   in Loop: Header=BB355_15 Depth=1
	s_or_b32 exec_lo, exec_lo, s22
.LBB355_865:                            ;   in Loop: Header=BB355_15 Depth=1
	s_or_b32 exec_lo, exec_lo, s21
.LBB355_866:                            ;   in Loop: Header=BB355_15 Depth=1
	s_or_b32 exec_lo, exec_lo, s20
	v_mov_b32_e32 v0, 0xff
	v_mov_b32_e32 v127, 0
	;; [unrolled: 1-line block ×3, first 2 shown]
	s_mov_b32 s20, exec_lo
	v_and_b32_sdwa v0, v29, v0 dst_sel:DWORD dst_unused:UNUSED_PAD src0_sel:WORD_1 src1_sel:DWORD
	v_cmpx_ne_u16_e32 0, v0
	s_cbranch_execz .LBB355_874
; %bb.867:                              ;   in Loop: Header=BB355_15 Depth=1
	v_bfrev_b32_e32 v3, 1
	s_mov_b32 s21, exec_lo
	v_cmpx_ne_u16_e32 0x80, v0
	s_cbranch_execz .LBB355_873
; %bb.868:                              ;   in Loop: Header=BB355_15 Depth=1
	v_bfe_u32 v1, v29, 16, 7
	v_mov_b32_e32 v3, 0x7f800001
	s_mov_b32 s22, exec_lo
	v_cmpx_ne_u32_e32 0x7f, v1
	s_cbranch_execz .LBB355_872
; %bb.869:                              ;   in Loop: Header=BB355_15 Depth=1
	v_mov_b32_e32 v0, 7
	s_mov_b32 s23, exec_lo
	v_and_b32_sdwa v13, v29, v0 dst_sel:DWORD dst_unused:UNUSED_PAD src0_sel:WORD_1 src1_sel:DWORD
	v_mov_b32_e32 v32, v14
	v_lshrrev_b32_e32 v0, 3, v1
	v_mov_b32_e32 v31, v13
	v_cmpx_gt_u32_e32 8, v1
; %bb.870:                              ;   in Loop: Header=BB355_15 Depth=1
	v_ffbh_u32_e32 v0, v13
	v_min_u32_e32 v0, 32, v0
	v_subrev_nc_u32_e32 v1, 28, v0
	v_sub_nc_u32_e32 v0, 29, v0
	v_lshlrev_b64 v[10:11], v1, v[13:14]
	v_and_b32_e32 v31, 7, v10
; %bb.871:                              ;   in Loop: Header=BB355_15 Depth=1
	s_or_b32 exec_lo, exec_lo, s23
	v_mov_b32_e32 v1, 24
	v_lshlrev_b32_e32 v3, 20, v31
	v_lshl_add_u32 v0, v0, 23, 0x3c000000
	v_lshlrev_b32_sdwa v1, v1, v29 dst_sel:DWORD dst_unused:UNUSED_PAD src0_sel:DWORD src1_sel:WORD_1
	v_and_b32_e32 v1, 0x80000000, v1
	v_or3_b32 v3, v3, v1, v0
.LBB355_872:                            ;   in Loop: Header=BB355_15 Depth=1
	s_or_b32 exec_lo, exec_lo, s22
.LBB355_873:                            ;   in Loop: Header=BB355_15 Depth=1
	s_or_b32 exec_lo, exec_lo, s21
.LBB355_874:                            ;   in Loop: Header=BB355_15 Depth=1
	s_or_b32 exec_lo, exec_lo, s20
	s_mov_b32 s20, exec_lo
	v_cmpx_lt_u32_e32 0xffffff, v29
	s_cbranch_execz .LBB355_882
; %bb.875:                              ;   in Loop: Header=BB355_15 Depth=1
	v_cmp_ne_u32_sdwa s5, v29, v7 src0_sel:BYTE_3 src1_sel:DWORD
	v_bfrev_b32_e32 v127, 1
	s_and_saveexec_b32 s21, s5
	s_cbranch_execz .LBB355_881
; %bb.876:                              ;   in Loop: Header=BB355_15 Depth=1
	v_bfe_u32 v1, v29, 24, 7
	v_mov_b32_e32 v127, 0x7f800001
	s_mov_b32 s22, exec_lo
	v_cmpx_ne_u32_e32 0x7f, v1
	s_cbranch_execz .LBB355_880
; %bb.877:                              ;   in Loop: Header=BB355_15 Depth=1
	v_mov_b32_e32 v0, 7
	s_mov_b32 s23, exec_lo
	v_and_b32_sdwa v13, v29, v0 dst_sel:DWORD dst_unused:UNUSED_PAD src0_sel:BYTE_3 src1_sel:DWORD
	v_mov_b32_e32 v32, v14
	v_lshrrev_b32_e32 v0, 3, v1
	v_mov_b32_e32 v31, v13
	v_cmpx_gt_u32_e32 8, v1
; %bb.878:                              ;   in Loop: Header=BB355_15 Depth=1
	v_ffbh_u32_e32 v0, v13
	v_min_u32_e32 v0, 32, v0
	v_subrev_nc_u32_e32 v1, 28, v0
	v_sub_nc_u32_e32 v0, 29, v0
	v_lshlrev_b64 v[10:11], v1, v[13:14]
	v_and_b32_e32 v31, 7, v10
; %bb.879:                              ;   in Loop: Header=BB355_15 Depth=1
	s_or_b32 exec_lo, exec_lo, s23
	v_mov_b32_e32 v1, 24
	v_lshlrev_b32_e32 v6, 20, v31
	v_lshl_add_u32 v0, v0, 23, 0x3c000000
	v_lshlrev_b32_sdwa v1, v1, v29 dst_sel:DWORD dst_unused:UNUSED_PAD src0_sel:DWORD src1_sel:BYTE_3
	v_and_b32_e32 v1, 0x80000000, v1
	v_or3_b32 v127, v6, v1, v0
.LBB355_880:                            ;   in Loop: Header=BB355_15 Depth=1
	s_or_b32 exec_lo, exec_lo, s22
.LBB355_881:                            ;   in Loop: Header=BB355_15 Depth=1
	s_or_b32 exec_lo, exec_lo, s21
.LBB355_882:                            ;   in Loop: Header=BB355_15 Depth=1
	s_or_b32 exec_lo, exec_lo, s20
	v_mov_b32_e32 v13, v30
	v_cmp_ne_u16_sdwa s5, v30, v14 src0_sel:BYTE_0 src1_sel:DWORD
	v_mov_b32_e32 v70, 0
	v_mov_b32_e32 v75, 0
	s_and_saveexec_b32 s20, s5
	s_cbranch_execz .LBB355_890
; %bb.883:                              ;   in Loop: Header=BB355_15 Depth=1
	v_cmp_ne_u16_sdwa s5, v30, v7 src0_sel:BYTE_0 src1_sel:DWORD
	v_bfrev_b32_e32 v75, 1
	s_and_saveexec_b32 s21, s5
	s_cbranch_execz .LBB355_889
; %bb.884:                              ;   in Loop: Header=BB355_15 Depth=1
	v_and_b32_e32 v1, 0x7f, v30
	v_mov_b32_e32 v75, 0x7f800001
	s_mov_b32 s22, exec_lo
	v_cmpx_ne_u32_e32 0x7f, v1
	s_cbranch_execz .LBB355_888
; %bb.885:                              ;   in Loop: Header=BB355_15 Depth=1
	v_mov_b32_e32 v32, v14
	v_lshrrev_b32_e32 v0, 3, v1
	v_mov_b32_e32 v31, v13
	s_mov_b32 s23, exec_lo
	v_cmpx_gt_u32_e32 8, v1
; %bb.886:                              ;   in Loop: Header=BB355_15 Depth=1
	v_and_b32_e32 v0, 7, v30
	v_ffbh_u32_e32 v0, v0
	v_min_u32_e32 v0, 32, v0
	v_subrev_nc_u32_e32 v1, 28, v0
	v_sub_nc_u32_e32 v0, 29, v0
	v_lshlrev_b64 v[31:32], v1, v[13:14]
; %bb.887:                              ;   in Loop: Header=BB355_15 Depth=1
	s_or_b32 exec_lo, exec_lo, s23
	v_lshlrev_b32_e32 v1, 20, v31
	v_lshlrev_b32_e32 v6, 24, v13
	v_lshl_add_u32 v0, v0, 23, 0x3c000000
	v_and_b32_e32 v1, 0x700000, v1
	v_and_b32_e32 v6, 0x80000000, v6
	v_or3_b32 v75, v1, v6, v0
.LBB355_888:                            ;   in Loop: Header=BB355_15 Depth=1
	s_or_b32 exec_lo, exec_lo, s22
.LBB355_889:                            ;   in Loop: Header=BB355_15 Depth=1
	s_or_b32 exec_lo, exec_lo, s21
.LBB355_890:                            ;   in Loop: Header=BB355_15 Depth=1
	s_or_b32 exec_lo, exec_lo, s20
	v_cmp_ne_u16_sdwa s5, v13, v14 src0_sel:BYTE_1 src1_sel:DWORD
	s_and_saveexec_b32 s20, s5
	s_cbranch_execz .LBB355_898
; %bb.891:                              ;   in Loop: Header=BB355_15 Depth=1
	v_cmp_ne_u16_sdwa s5, v13, v7 src0_sel:BYTE_1 src1_sel:DWORD
	v_bfrev_b32_e32 v70, 1
	s_and_saveexec_b32 s21, s5
	s_cbranch_execz .LBB355_897
; %bb.892:                              ;   in Loop: Header=BB355_15 Depth=1
	v_mov_b32_e32 v0, 0xffff
	v_mov_b32_e32 v70, 0x7f800001
	s_mov_b32 s22, exec_lo
	v_and_b32_sdwa v0, v0, v13 dst_sel:DWORD dst_unused:UNUSED_PAD src0_sel:DWORD src1_sel:BYTE_1
	v_and_b32_e32 v1, 0x7f, v0
	v_cmpx_ne_u32_e32 0x7f, v1
	s_cbranch_execz .LBB355_896
; %bb.893:                              ;   in Loop: Header=BB355_15 Depth=1
	v_and_b32_e32 v31, 7, v0
	v_mov_b32_e32 v32, v14
	v_lshrrev_b32_e32 v0, 3, v1
	s_mov_b32 s23, exec_lo
	v_cmpx_gt_u32_e32 8, v1
; %bb.894:                              ;   in Loop: Header=BB355_15 Depth=1
	v_ffbh_u32_e32 v0, v31
	v_min_u32_e32 v0, 32, v0
	v_subrev_nc_u32_e32 v1, 28, v0
	v_sub_nc_u32_e32 v0, 29, v0
	v_lshlrev_b64 v[10:11], v1, v[31:32]
	v_and_b32_e32 v31, 7, v10
; %bb.895:                              ;   in Loop: Header=BB355_15 Depth=1
	s_or_b32 exec_lo, exec_lo, s23
	v_lshlrev_b32_e32 v1, 16, v13
	v_lshlrev_b32_e32 v6, 20, v31
	v_lshl_add_u32 v0, v0, 23, 0x3c000000
	v_and_b32_e32 v1, 0x80000000, v1
	v_or3_b32 v70, v6, v1, v0
.LBB355_896:                            ;   in Loop: Header=BB355_15 Depth=1
	s_or_b32 exec_lo, exec_lo, s22
.LBB355_897:                            ;   in Loop: Header=BB355_15 Depth=1
	s_or_b32 exec_lo, exec_lo, s21
.LBB355_898:                            ;   in Loop: Header=BB355_15 Depth=1
	s_or_b32 exec_lo, exec_lo, s20
	v_mov_b32_e32 v0, 0xff
	v_mov_b32_e32 v64, 0
	;; [unrolled: 1-line block ×3, first 2 shown]
	s_mov_b32 s20, exec_lo
	v_and_b32_sdwa v0, v30, v0 dst_sel:DWORD dst_unused:UNUSED_PAD src0_sel:WORD_1 src1_sel:DWORD
	v_cmpx_ne_u16_e32 0, v0
	s_cbranch_execz .LBB355_906
; %bb.899:                              ;   in Loop: Header=BB355_15 Depth=1
	v_bfrev_b32_e32 v103, 1
	s_mov_b32 s21, exec_lo
	v_cmpx_ne_u16_e32 0x80, v0
	s_cbranch_execz .LBB355_905
; %bb.900:                              ;   in Loop: Header=BB355_15 Depth=1
	v_bfe_u32 v1, v30, 16, 7
	v_mov_b32_e32 v103, 0x7f800001
	s_mov_b32 s22, exec_lo
	v_cmpx_ne_u32_e32 0x7f, v1
	s_cbranch_execz .LBB355_904
; %bb.901:                              ;   in Loop: Header=BB355_15 Depth=1
	v_mov_b32_e32 v0, 7
	s_mov_b32 s23, exec_lo
	v_and_b32_sdwa v13, v30, v0 dst_sel:DWORD dst_unused:UNUSED_PAD src0_sel:WORD_1 src1_sel:DWORD
	v_mov_b32_e32 v32, v14
	v_lshrrev_b32_e32 v0, 3, v1
	v_mov_b32_e32 v31, v13
	v_cmpx_gt_u32_e32 8, v1
; %bb.902:                              ;   in Loop: Header=BB355_15 Depth=1
	v_ffbh_u32_e32 v0, v13
	v_min_u32_e32 v0, 32, v0
	v_subrev_nc_u32_e32 v1, 28, v0
	v_sub_nc_u32_e32 v0, 29, v0
	v_lshlrev_b64 v[10:11], v1, v[13:14]
	v_and_b32_e32 v31, 7, v10
; %bb.903:                              ;   in Loop: Header=BB355_15 Depth=1
	s_or_b32 exec_lo, exec_lo, s23
	v_mov_b32_e32 v1, 24
	v_lshlrev_b32_e32 v6, 20, v31
	v_lshl_add_u32 v0, v0, 23, 0x3c000000
	v_lshlrev_b32_sdwa v1, v1, v30 dst_sel:DWORD dst_unused:UNUSED_PAD src0_sel:DWORD src1_sel:WORD_1
	v_and_b32_e32 v1, 0x80000000, v1
	v_or3_b32 v103, v6, v1, v0
.LBB355_904:                            ;   in Loop: Header=BB355_15 Depth=1
	s_or_b32 exec_lo, exec_lo, s22
.LBB355_905:                            ;   in Loop: Header=BB355_15 Depth=1
	s_or_b32 exec_lo, exec_lo, s21
.LBB355_906:                            ;   in Loop: Header=BB355_15 Depth=1
	s_or_b32 exec_lo, exec_lo, s20
	s_mov_b32 s20, exec_lo
	v_cmpx_lt_u64_e64 s[12:13], v[29:30]
	s_cbranch_execz .LBB355_914
; %bb.907:                              ;   in Loop: Header=BB355_15 Depth=1
	v_cmp_ne_u32_sdwa s5, v30, v7 src0_sel:BYTE_3 src1_sel:DWORD
	v_bfrev_b32_e32 v64, 1
	s_and_saveexec_b32 s21, s5
	s_cbranch_execz .LBB355_913
; %bb.908:                              ;   in Loop: Header=BB355_15 Depth=1
	v_bfe_u32 v1, v30, 24, 7
	v_mov_b32_e32 v64, 0x7f800001
	s_mov_b32 s22, exec_lo
	v_cmpx_ne_u32_e32 0x7f, v1
	s_cbranch_execz .LBB355_912
; %bb.909:                              ;   in Loop: Header=BB355_15 Depth=1
	v_mov_b32_e32 v0, 7
	s_mov_b32 s23, exec_lo
	v_and_b32_sdwa v13, v30, v0 dst_sel:DWORD dst_unused:UNUSED_PAD src0_sel:BYTE_3 src1_sel:DWORD
	v_mov_b32_e32 v32, v14
	v_lshrrev_b32_e32 v0, 3, v1
	v_mov_b32_e32 v31, v13
	v_cmpx_gt_u32_e32 8, v1
; %bb.910:                              ;   in Loop: Header=BB355_15 Depth=1
	v_ffbh_u32_e32 v0, v13
	v_min_u32_e32 v0, 32, v0
	v_subrev_nc_u32_e32 v1, 28, v0
	v_sub_nc_u32_e32 v0, 29, v0
	v_lshlrev_b64 v[10:11], v1, v[13:14]
	v_and_b32_e32 v31, 7, v10
; %bb.911:                              ;   in Loop: Header=BB355_15 Depth=1
	s_or_b32 exec_lo, exec_lo, s23
	v_mov_b32_e32 v1, 24
	v_lshlrev_b32_e32 v6, 20, v31
	v_lshl_add_u32 v0, v0, 23, 0x3c000000
	v_lshlrev_b32_sdwa v1, v1, v30 dst_sel:DWORD dst_unused:UNUSED_PAD src0_sel:DWORD src1_sel:BYTE_3
	v_and_b32_e32 v1, 0x80000000, v1
	v_or3_b32 v64, v6, v1, v0
.LBB355_912:                            ;   in Loop: Header=BB355_15 Depth=1
	s_or_b32 exec_lo, exec_lo, s22
.LBB355_913:                            ;   in Loop: Header=BB355_15 Depth=1
	s_or_b32 exec_lo, exec_lo, s21
.LBB355_914:                            ;   in Loop: Header=BB355_15 Depth=1
	s_or_b32 exec_lo, exec_lo, s20
	flat_load_dwordx2 v[29:30], v[27:28] offset:1536
	v_mov_b32_e32 v55, 0
	v_mov_b32_e32 v73, 0
	s_waitcnt vmcnt(0) lgkmcnt(0)
	v_cmp_ne_u16_sdwa s5, v29, v14 src0_sel:BYTE_0 src1_sel:DWORD
	s_and_saveexec_b32 s20, s5
	s_cbranch_execz .LBB355_922
; %bb.915:                              ;   in Loop: Header=BB355_15 Depth=1
	v_cmp_ne_u16_sdwa s5, v29, v7 src0_sel:BYTE_0 src1_sel:DWORD
	v_bfrev_b32_e32 v73, 1
	s_and_saveexec_b32 s21, s5
	s_cbranch_execz .LBB355_921
; %bb.916:                              ;   in Loop: Header=BB355_15 Depth=1
	v_and_b32_e32 v1, 0x7f, v29
	v_mov_b32_e32 v73, 0x7f800001
	s_mov_b32 s22, exec_lo
	v_cmpx_ne_u32_e32 0x7f, v1
	s_cbranch_execz .LBB355_920
; %bb.917:                              ;   in Loop: Header=BB355_15 Depth=1
	v_mov_b32_e32 v32, v30
	v_lshrrev_b32_e32 v0, 3, v1
	v_mov_b32_e32 v31, v29
	s_mov_b32 s23, exec_lo
	v_cmpx_gt_u32_e32 8, v1
; %bb.918:                              ;   in Loop: Header=BB355_15 Depth=1
	v_and_b32_e32 v0, 7, v29
	v_ffbh_u32_e32 v0, v0
	v_min_u32_e32 v0, 32, v0
	v_subrev_nc_u32_e32 v1, 28, v0
	v_sub_nc_u32_e32 v0, 29, v0
	v_lshlrev_b64 v[31:32], v1, v[29:30]
; %bb.919:                              ;   in Loop: Header=BB355_15 Depth=1
	s_or_b32 exec_lo, exec_lo, s23
	v_lshlrev_b32_e32 v1, 20, v31
	v_lshlrev_b32_e32 v6, 24, v29
	v_lshl_add_u32 v0, v0, 23, 0x3c000000
	v_and_b32_e32 v1, 0x700000, v1
	v_and_b32_e32 v6, 0x80000000, v6
	v_or3_b32 v73, v1, v6, v0
.LBB355_920:                            ;   in Loop: Header=BB355_15 Depth=1
	s_or_b32 exec_lo, exec_lo, s22
.LBB355_921:                            ;   in Loop: Header=BB355_15 Depth=1
	s_or_b32 exec_lo, exec_lo, s21
.LBB355_922:                            ;   in Loop: Header=BB355_15 Depth=1
	s_or_b32 exec_lo, exec_lo, s20
	v_cmp_ne_u16_sdwa s5, v29, v14 src0_sel:BYTE_1 src1_sel:DWORD
	s_and_saveexec_b32 s20, s5
	s_cbranch_execz .LBB355_930
; %bb.923:                              ;   in Loop: Header=BB355_15 Depth=1
	v_cmp_ne_u16_sdwa s5, v29, v7 src0_sel:BYTE_1 src1_sel:DWORD
	v_bfrev_b32_e32 v55, 1
	s_and_saveexec_b32 s21, s5
	s_cbranch_execz .LBB355_929
; %bb.924:                              ;   in Loop: Header=BB355_15 Depth=1
	v_mov_b32_e32 v0, 0xffff
	v_mov_b32_e32 v55, 0x7f800001
	s_mov_b32 s22, exec_lo
	v_and_b32_sdwa v0, v0, v29 dst_sel:DWORD dst_unused:UNUSED_PAD src0_sel:DWORD src1_sel:BYTE_1
	v_and_b32_e32 v1, 0x7f, v0
	v_cmpx_ne_u32_e32 0x7f, v1
	s_cbranch_execz .LBB355_928
; %bb.925:                              ;   in Loop: Header=BB355_15 Depth=1
	v_and_b32_e32 v13, 7, v0
	v_mov_b32_e32 v32, v14
	v_lshrrev_b32_e32 v0, 3, v1
	s_mov_b32 s23, exec_lo
	v_mov_b32_e32 v31, v13
	v_cmpx_gt_u32_e32 8, v1
; %bb.926:                              ;   in Loop: Header=BB355_15 Depth=1
	v_ffbh_u32_e32 v0, v13
	v_min_u32_e32 v0, 32, v0
	v_subrev_nc_u32_e32 v1, 28, v0
	v_sub_nc_u32_e32 v0, 29, v0
	v_lshlrev_b64 v[10:11], v1, v[13:14]
	v_and_b32_e32 v31, 7, v10
; %bb.927:                              ;   in Loop: Header=BB355_15 Depth=1
	s_or_b32 exec_lo, exec_lo, s23
	v_lshlrev_b32_e32 v1, 16, v29
	v_lshlrev_b32_e32 v6, 20, v31
	v_lshl_add_u32 v0, v0, 23, 0x3c000000
	v_and_b32_e32 v1, 0x80000000, v1
	v_or3_b32 v55, v6, v1, v0
.LBB355_928:                            ;   in Loop: Header=BB355_15 Depth=1
	s_or_b32 exec_lo, exec_lo, s22
.LBB355_929:                            ;   in Loop: Header=BB355_15 Depth=1
	s_or_b32 exec_lo, exec_lo, s21
.LBB355_930:                            ;   in Loop: Header=BB355_15 Depth=1
	s_or_b32 exec_lo, exec_lo, s20
	v_mov_b32_e32 v0, 0xff
	v_mov_b32_e32 v51, 0
	;; [unrolled: 1-line block ×3, first 2 shown]
	s_mov_b32 s20, exec_lo
	v_and_b32_sdwa v0, v29, v0 dst_sel:DWORD dst_unused:UNUSED_PAD src0_sel:WORD_1 src1_sel:DWORD
	v_cmpx_ne_u16_e32 0, v0
	s_cbranch_execz .LBB355_938
; %bb.931:                              ;   in Loop: Header=BB355_15 Depth=1
	v_bfrev_b32_e32 v53, 1
	s_mov_b32 s21, exec_lo
	v_cmpx_ne_u16_e32 0x80, v0
	s_cbranch_execz .LBB355_937
; %bb.932:                              ;   in Loop: Header=BB355_15 Depth=1
	v_bfe_u32 v1, v29, 16, 7
	v_mov_b32_e32 v53, 0x7f800001
	s_mov_b32 s22, exec_lo
	v_cmpx_ne_u32_e32 0x7f, v1
	s_cbranch_execz .LBB355_936
; %bb.933:                              ;   in Loop: Header=BB355_15 Depth=1
	v_mov_b32_e32 v0, 7
	s_mov_b32 s23, exec_lo
	v_and_b32_sdwa v13, v29, v0 dst_sel:DWORD dst_unused:UNUSED_PAD src0_sel:WORD_1 src1_sel:DWORD
	v_mov_b32_e32 v32, v14
	v_lshrrev_b32_e32 v0, 3, v1
	v_mov_b32_e32 v31, v13
	v_cmpx_gt_u32_e32 8, v1
; %bb.934:                              ;   in Loop: Header=BB355_15 Depth=1
	v_ffbh_u32_e32 v0, v13
	v_min_u32_e32 v0, 32, v0
	v_subrev_nc_u32_e32 v1, 28, v0
	v_sub_nc_u32_e32 v0, 29, v0
	v_lshlrev_b64 v[10:11], v1, v[13:14]
	v_and_b32_e32 v31, 7, v10
; %bb.935:                              ;   in Loop: Header=BB355_15 Depth=1
	s_or_b32 exec_lo, exec_lo, s23
	v_mov_b32_e32 v1, 24
	v_lshlrev_b32_e32 v6, 20, v31
	v_lshl_add_u32 v0, v0, 23, 0x3c000000
	v_lshlrev_b32_sdwa v1, v1, v29 dst_sel:DWORD dst_unused:UNUSED_PAD src0_sel:DWORD src1_sel:WORD_1
	v_and_b32_e32 v1, 0x80000000, v1
	v_or3_b32 v53, v6, v1, v0
.LBB355_936:                            ;   in Loop: Header=BB355_15 Depth=1
	s_or_b32 exec_lo, exec_lo, s22
.LBB355_937:                            ;   in Loop: Header=BB355_15 Depth=1
	s_or_b32 exec_lo, exec_lo, s21
.LBB355_938:                            ;   in Loop: Header=BB355_15 Depth=1
	s_or_b32 exec_lo, exec_lo, s20
	s_mov_b32 s20, exec_lo
	v_cmpx_lt_u32_e32 0xffffff, v29
	s_cbranch_execz .LBB355_946
; %bb.939:                              ;   in Loop: Header=BB355_15 Depth=1
	v_cmp_ne_u32_sdwa s5, v29, v7 src0_sel:BYTE_3 src1_sel:DWORD
	v_bfrev_b32_e32 v51, 1
	s_and_saveexec_b32 s21, s5
	s_cbranch_execz .LBB355_945
; %bb.940:                              ;   in Loop: Header=BB355_15 Depth=1
	v_bfe_u32 v1, v29, 24, 7
	v_mov_b32_e32 v51, 0x7f800001
	s_mov_b32 s22, exec_lo
	v_cmpx_ne_u32_e32 0x7f, v1
	s_cbranch_execz .LBB355_944
; %bb.941:                              ;   in Loop: Header=BB355_15 Depth=1
	v_mov_b32_e32 v0, 7
	s_mov_b32 s23, exec_lo
	v_and_b32_sdwa v13, v29, v0 dst_sel:DWORD dst_unused:UNUSED_PAD src0_sel:BYTE_3 src1_sel:DWORD
	v_mov_b32_e32 v32, v14
	v_lshrrev_b32_e32 v0, 3, v1
	v_mov_b32_e32 v31, v13
	v_cmpx_gt_u32_e32 8, v1
; %bb.942:                              ;   in Loop: Header=BB355_15 Depth=1
	v_ffbh_u32_e32 v0, v13
	v_min_u32_e32 v0, 32, v0
	v_subrev_nc_u32_e32 v1, 28, v0
	v_sub_nc_u32_e32 v0, 29, v0
	v_lshlrev_b64 v[10:11], v1, v[13:14]
	v_and_b32_e32 v31, 7, v10
; %bb.943:                              ;   in Loop: Header=BB355_15 Depth=1
	s_or_b32 exec_lo, exec_lo, s23
	v_mov_b32_e32 v1, 24
	v_lshlrev_b32_e32 v6, 20, v31
	v_lshl_add_u32 v0, v0, 23, 0x3c000000
	v_lshlrev_b32_sdwa v1, v1, v29 dst_sel:DWORD dst_unused:UNUSED_PAD src0_sel:DWORD src1_sel:BYTE_3
	v_and_b32_e32 v1, 0x80000000, v1
	v_or3_b32 v51, v6, v1, v0
.LBB355_944:                            ;   in Loop: Header=BB355_15 Depth=1
	s_or_b32 exec_lo, exec_lo, s22
.LBB355_945:                            ;   in Loop: Header=BB355_15 Depth=1
	s_or_b32 exec_lo, exec_lo, s21
.LBB355_946:                            ;   in Loop: Header=BB355_15 Depth=1
	s_or_b32 exec_lo, exec_lo, s20
	v_mov_b32_e32 v13, v30
	v_cmp_ne_u16_sdwa s5, v30, v14 src0_sel:BYTE_0 src1_sel:DWORD
	v_mov_b32_e32 v16, 0
	v_mov_b32_e32 v15, 0
	s_and_saveexec_b32 s20, s5
	s_cbranch_execz .LBB355_954
; %bb.947:                              ;   in Loop: Header=BB355_15 Depth=1
	v_cmp_ne_u16_sdwa s5, v30, v7 src0_sel:BYTE_0 src1_sel:DWORD
	v_bfrev_b32_e32 v15, 1
	s_and_saveexec_b32 s21, s5
	s_cbranch_execz .LBB355_953
; %bb.948:                              ;   in Loop: Header=BB355_15 Depth=1
	v_and_b32_e32 v1, 0x7f, v30
	v_mov_b32_e32 v15, 0x7f800001
	s_mov_b32 s22, exec_lo
	v_cmpx_ne_u32_e32 0x7f, v1
	s_cbranch_execz .LBB355_952
; %bb.949:                              ;   in Loop: Header=BB355_15 Depth=1
	v_mov_b32_e32 v32, v14
	v_lshrrev_b32_e32 v0, 3, v1
	v_mov_b32_e32 v31, v13
	s_mov_b32 s23, exec_lo
	v_cmpx_gt_u32_e32 8, v1
; %bb.950:                              ;   in Loop: Header=BB355_15 Depth=1
	v_and_b32_e32 v0, 7, v30
	v_ffbh_u32_e32 v0, v0
	v_min_u32_e32 v0, 32, v0
	v_subrev_nc_u32_e32 v1, 28, v0
	v_sub_nc_u32_e32 v0, 29, v0
	v_lshlrev_b64 v[31:32], v1, v[13:14]
; %bb.951:                              ;   in Loop: Header=BB355_15 Depth=1
	s_or_b32 exec_lo, exec_lo, s23
	v_lshlrev_b32_e32 v1, 20, v31
	v_lshlrev_b32_e32 v6, 24, v13
	v_lshl_add_u32 v0, v0, 23, 0x3c000000
	v_and_b32_e32 v1, 0x700000, v1
	v_and_b32_e32 v6, 0x80000000, v6
	v_or3_b32 v15, v1, v6, v0
.LBB355_952:                            ;   in Loop: Header=BB355_15 Depth=1
	s_or_b32 exec_lo, exec_lo, s22
.LBB355_953:                            ;   in Loop: Header=BB355_15 Depth=1
	s_or_b32 exec_lo, exec_lo, s21
.LBB355_954:                            ;   in Loop: Header=BB355_15 Depth=1
	s_or_b32 exec_lo, exec_lo, s20
	v_cmp_ne_u16_sdwa s5, v13, v14 src0_sel:BYTE_1 src1_sel:DWORD
	s_and_saveexec_b32 s20, s5
	s_cbranch_execz .LBB355_962
; %bb.955:                              ;   in Loop: Header=BB355_15 Depth=1
	v_cmp_ne_u16_sdwa s5, v13, v7 src0_sel:BYTE_1 src1_sel:DWORD
	v_bfrev_b32_e32 v16, 1
	s_and_saveexec_b32 s21, s5
	s_cbranch_execz .LBB355_961
; %bb.956:                              ;   in Loop: Header=BB355_15 Depth=1
	v_mov_b32_e32 v0, 0xffff
	v_mov_b32_e32 v16, 0x7f800001
	s_mov_b32 s22, exec_lo
	v_and_b32_sdwa v0, v0, v13 dst_sel:DWORD dst_unused:UNUSED_PAD src0_sel:DWORD src1_sel:BYTE_1
	v_and_b32_e32 v1, 0x7f, v0
	v_cmpx_ne_u32_e32 0x7f, v1
	s_cbranch_execz .LBB355_960
; %bb.957:                              ;   in Loop: Header=BB355_15 Depth=1
	v_and_b32_e32 v31, 7, v0
	v_mov_b32_e32 v32, v14
	v_lshrrev_b32_e32 v0, 3, v1
	s_mov_b32 s23, exec_lo
	v_cmpx_gt_u32_e32 8, v1
; %bb.958:                              ;   in Loop: Header=BB355_15 Depth=1
	v_ffbh_u32_e32 v0, v31
	v_min_u32_e32 v0, 32, v0
	v_subrev_nc_u32_e32 v1, 28, v0
	v_sub_nc_u32_e32 v0, 29, v0
	v_lshlrev_b64 v[10:11], v1, v[31:32]
	v_and_b32_e32 v31, 7, v10
; %bb.959:                              ;   in Loop: Header=BB355_15 Depth=1
	s_or_b32 exec_lo, exec_lo, s23
	v_lshlrev_b32_e32 v1, 16, v13
	v_lshlrev_b32_e32 v6, 20, v31
	v_lshl_add_u32 v0, v0, 23, 0x3c000000
	v_and_b32_e32 v1, 0x80000000, v1
	v_or3_b32 v16, v6, v1, v0
.LBB355_960:                            ;   in Loop: Header=BB355_15 Depth=1
	s_or_b32 exec_lo, exec_lo, s22
.LBB355_961:                            ;   in Loop: Header=BB355_15 Depth=1
	s_or_b32 exec_lo, exec_lo, s21
.LBB355_962:                            ;   in Loop: Header=BB355_15 Depth=1
	s_or_b32 exec_lo, exec_lo, s20
	v_mov_b32_e32 v0, 0xff
	v_mov_b32_e32 v50, 0
	;; [unrolled: 1-line block ×3, first 2 shown]
	s_mov_b32 s20, exec_lo
	v_and_b32_sdwa v0, v30, v0 dst_sel:DWORD dst_unused:UNUSED_PAD src0_sel:WORD_1 src1_sel:DWORD
	v_cmpx_ne_u16_e32 0, v0
	s_cbranch_execz .LBB355_970
; %bb.963:                              ;   in Loop: Header=BB355_15 Depth=1
	v_bfrev_b32_e32 v23, 1
	s_mov_b32 s21, exec_lo
	v_cmpx_ne_u16_e32 0x80, v0
	s_cbranch_execz .LBB355_969
; %bb.964:                              ;   in Loop: Header=BB355_15 Depth=1
	v_bfe_u32 v1, v30, 16, 7
	v_mov_b32_e32 v23, 0x7f800001
	s_mov_b32 s22, exec_lo
	v_cmpx_ne_u32_e32 0x7f, v1
	s_cbranch_execz .LBB355_968
; %bb.965:                              ;   in Loop: Header=BB355_15 Depth=1
	v_mov_b32_e32 v0, 7
	s_mov_b32 s23, exec_lo
	v_and_b32_sdwa v13, v30, v0 dst_sel:DWORD dst_unused:UNUSED_PAD src0_sel:WORD_1 src1_sel:DWORD
	v_mov_b32_e32 v32, v14
	v_lshrrev_b32_e32 v0, 3, v1
	v_mov_b32_e32 v31, v13
	v_cmpx_gt_u32_e32 8, v1
; %bb.966:                              ;   in Loop: Header=BB355_15 Depth=1
	v_ffbh_u32_e32 v0, v13
	v_min_u32_e32 v0, 32, v0
	v_subrev_nc_u32_e32 v1, 28, v0
	v_sub_nc_u32_e32 v0, 29, v0
	v_lshlrev_b64 v[10:11], v1, v[13:14]
	v_and_b32_e32 v31, 7, v10
; %bb.967:                              ;   in Loop: Header=BB355_15 Depth=1
	s_or_b32 exec_lo, exec_lo, s23
	v_mov_b32_e32 v1, 24
	v_lshlrev_b32_e32 v6, 20, v31
	v_lshl_add_u32 v0, v0, 23, 0x3c000000
	v_lshlrev_b32_sdwa v1, v1, v30 dst_sel:DWORD dst_unused:UNUSED_PAD src0_sel:DWORD src1_sel:WORD_1
	v_and_b32_e32 v1, 0x80000000, v1
	v_or3_b32 v23, v6, v1, v0
.LBB355_968:                            ;   in Loop: Header=BB355_15 Depth=1
	s_or_b32 exec_lo, exec_lo, s22
.LBB355_969:                            ;   in Loop: Header=BB355_15 Depth=1
	s_or_b32 exec_lo, exec_lo, s21
.LBB355_970:                            ;   in Loop: Header=BB355_15 Depth=1
	s_or_b32 exec_lo, exec_lo, s20
	s_mov_b32 s20, exec_lo
	v_cmpx_lt_u64_e64 s[12:13], v[29:30]
	s_cbranch_execz .LBB355_978
; %bb.971:                              ;   in Loop: Header=BB355_15 Depth=1
	v_cmp_ne_u32_sdwa s5, v30, v7 src0_sel:BYTE_3 src1_sel:DWORD
	v_bfrev_b32_e32 v50, 1
	s_and_saveexec_b32 s21, s5
	s_cbranch_execz .LBB355_977
; %bb.972:                              ;   in Loop: Header=BB355_15 Depth=1
	v_bfe_u32 v1, v30, 24, 7
	v_mov_b32_e32 v50, 0x7f800001
	s_mov_b32 s22, exec_lo
	v_cmpx_ne_u32_e32 0x7f, v1
	s_cbranch_execz .LBB355_976
; %bb.973:                              ;   in Loop: Header=BB355_15 Depth=1
	v_mov_b32_e32 v0, 7
	s_mov_b32 s23, exec_lo
	v_and_b32_sdwa v13, v30, v0 dst_sel:DWORD dst_unused:UNUSED_PAD src0_sel:BYTE_3 src1_sel:DWORD
	v_mov_b32_e32 v32, v14
	v_lshrrev_b32_e32 v0, 3, v1
	v_mov_b32_e32 v31, v13
	v_cmpx_gt_u32_e32 8, v1
; %bb.974:                              ;   in Loop: Header=BB355_15 Depth=1
	v_ffbh_u32_e32 v0, v13
	v_min_u32_e32 v0, 32, v0
	v_subrev_nc_u32_e32 v1, 28, v0
	v_sub_nc_u32_e32 v0, 29, v0
	v_lshlrev_b64 v[10:11], v1, v[13:14]
	v_and_b32_e32 v31, 7, v10
; %bb.975:                              ;   in Loop: Header=BB355_15 Depth=1
	s_or_b32 exec_lo, exec_lo, s23
	v_mov_b32_e32 v1, 24
	v_lshlrev_b32_e32 v6, 20, v31
	v_lshl_add_u32 v0, v0, 23, 0x3c000000
	v_lshlrev_b32_sdwa v1, v1, v30 dst_sel:DWORD dst_unused:UNUSED_PAD src0_sel:DWORD src1_sel:BYTE_3
	v_and_b32_e32 v1, 0x80000000, v1
	v_or3_b32 v50, v6, v1, v0
.LBB355_976:                            ;   in Loop: Header=BB355_15 Depth=1
	s_or_b32 exec_lo, exec_lo, s22
.LBB355_977:                            ;   in Loop: Header=BB355_15 Depth=1
	s_or_b32 exec_lo, exec_lo, s21
.LBB355_978:                            ;   in Loop: Header=BB355_15 Depth=1
	s_or_b32 exec_lo, exec_lo, s20
	flat_load_dwordx2 v[27:28], v[27:28] offset:1544
	v_mov_b32_e32 v72, 0
	v_mov_b32_e32 v74, 0
	s_waitcnt vmcnt(0) lgkmcnt(0)
	v_cmp_ne_u16_sdwa s5, v27, v14 src0_sel:BYTE_0 src1_sel:DWORD
	s_and_saveexec_b32 s20, s5
	s_cbranch_execz .LBB355_986
; %bb.979:                              ;   in Loop: Header=BB355_15 Depth=1
	v_cmp_ne_u16_sdwa s5, v27, v7 src0_sel:BYTE_0 src1_sel:DWORD
	v_bfrev_b32_e32 v74, 1
	s_and_saveexec_b32 s21, s5
	s_cbranch_execz .LBB355_985
; %bb.980:                              ;   in Loop: Header=BB355_15 Depth=1
	v_and_b32_e32 v1, 0x7f, v27
	v_mov_b32_e32 v74, 0x7f800001
	s_mov_b32 s22, exec_lo
	v_cmpx_ne_u32_e32 0x7f, v1
	s_cbranch_execz .LBB355_984
; %bb.981:                              ;   in Loop: Header=BB355_15 Depth=1
	v_mov_b32_e32 v30, v28
	v_lshrrev_b32_e32 v0, 3, v1
	v_mov_b32_e32 v29, v27
	s_mov_b32 s23, exec_lo
	v_cmpx_gt_u32_e32 8, v1
; %bb.982:                              ;   in Loop: Header=BB355_15 Depth=1
	v_and_b32_e32 v0, 7, v27
	v_ffbh_u32_e32 v0, v0
	v_min_u32_e32 v0, 32, v0
	v_subrev_nc_u32_e32 v1, 28, v0
	v_sub_nc_u32_e32 v0, 29, v0
	v_lshlrev_b64 v[29:30], v1, v[27:28]
; %bb.983:                              ;   in Loop: Header=BB355_15 Depth=1
	s_or_b32 exec_lo, exec_lo, s23
	v_lshlrev_b32_e32 v1, 20, v29
	v_lshlrev_b32_e32 v6, 24, v27
	v_lshl_add_u32 v0, v0, 23, 0x3c000000
	v_and_b32_e32 v1, 0x700000, v1
	v_and_b32_e32 v6, 0x80000000, v6
	v_or3_b32 v74, v1, v6, v0
.LBB355_984:                            ;   in Loop: Header=BB355_15 Depth=1
	s_or_b32 exec_lo, exec_lo, s22
.LBB355_985:                            ;   in Loop: Header=BB355_15 Depth=1
	s_or_b32 exec_lo, exec_lo, s21
.LBB355_986:                            ;   in Loop: Header=BB355_15 Depth=1
	s_or_b32 exec_lo, exec_lo, s20
	v_cmp_ne_u16_sdwa s5, v27, v14 src0_sel:BYTE_1 src1_sel:DWORD
	s_and_saveexec_b32 s20, s5
	s_cbranch_execz .LBB355_994
; %bb.987:                              ;   in Loop: Header=BB355_15 Depth=1
	v_cmp_ne_u16_sdwa s5, v27, v7 src0_sel:BYTE_1 src1_sel:DWORD
	v_bfrev_b32_e32 v72, 1
	s_and_saveexec_b32 s21, s5
	s_cbranch_execz .LBB355_993
; %bb.988:                              ;   in Loop: Header=BB355_15 Depth=1
	v_mov_b32_e32 v0, 0xffff
	v_mov_b32_e32 v72, 0x7f800001
	s_mov_b32 s22, exec_lo
	v_and_b32_sdwa v0, v0, v27 dst_sel:DWORD dst_unused:UNUSED_PAD src0_sel:DWORD src1_sel:BYTE_1
	v_and_b32_e32 v1, 0x7f, v0
	v_cmpx_ne_u32_e32 0x7f, v1
	s_cbranch_execz .LBB355_992
; %bb.989:                              ;   in Loop: Header=BB355_15 Depth=1
	v_and_b32_e32 v13, 7, v0
	v_mov_b32_e32 v30, v14
	v_lshrrev_b32_e32 v0, 3, v1
	s_mov_b32 s23, exec_lo
	v_mov_b32_e32 v29, v13
	v_cmpx_gt_u32_e32 8, v1
; %bb.990:                              ;   in Loop: Header=BB355_15 Depth=1
	v_ffbh_u32_e32 v0, v13
	v_min_u32_e32 v0, 32, v0
	v_subrev_nc_u32_e32 v1, 28, v0
	v_sub_nc_u32_e32 v0, 29, v0
	v_lshlrev_b64 v[10:11], v1, v[13:14]
	v_and_b32_e32 v29, 7, v10
; %bb.991:                              ;   in Loop: Header=BB355_15 Depth=1
	s_or_b32 exec_lo, exec_lo, s23
	v_lshlrev_b32_e32 v1, 16, v27
	v_lshlrev_b32_e32 v6, 20, v29
	v_lshl_add_u32 v0, v0, 23, 0x3c000000
	v_and_b32_e32 v1, 0x80000000, v1
	v_or3_b32 v72, v6, v1, v0
.LBB355_992:                            ;   in Loop: Header=BB355_15 Depth=1
	s_or_b32 exec_lo, exec_lo, s22
.LBB355_993:                            ;   in Loop: Header=BB355_15 Depth=1
	s_or_b32 exec_lo, exec_lo, s21
.LBB355_994:                            ;   in Loop: Header=BB355_15 Depth=1
	s_or_b32 exec_lo, exec_lo, s20
	v_mov_b32_e32 v0, 0xff
	v_mov_b32_e32 v67, 0
	;; [unrolled: 1-line block ×3, first 2 shown]
	s_mov_b32 s20, exec_lo
	v_and_b32_sdwa v0, v27, v0 dst_sel:DWORD dst_unused:UNUSED_PAD src0_sel:WORD_1 src1_sel:DWORD
	v_cmpx_ne_u16_e32 0, v0
	s_cbranch_execz .LBB355_1002
; %bb.995:                              ;   in Loop: Header=BB355_15 Depth=1
	v_bfrev_b32_e32 v66, 1
	s_mov_b32 s21, exec_lo
	v_cmpx_ne_u16_e32 0x80, v0
	s_cbranch_execz .LBB355_1001
; %bb.996:                              ;   in Loop: Header=BB355_15 Depth=1
	v_bfe_u32 v1, v27, 16, 7
	v_mov_b32_e32 v66, 0x7f800001
	s_mov_b32 s22, exec_lo
	v_cmpx_ne_u32_e32 0x7f, v1
	s_cbranch_execz .LBB355_1000
; %bb.997:                              ;   in Loop: Header=BB355_15 Depth=1
	v_mov_b32_e32 v0, 7
	s_mov_b32 s23, exec_lo
	v_and_b32_sdwa v13, v27, v0 dst_sel:DWORD dst_unused:UNUSED_PAD src0_sel:WORD_1 src1_sel:DWORD
	v_mov_b32_e32 v30, v14
	v_lshrrev_b32_e32 v0, 3, v1
	v_mov_b32_e32 v29, v13
	v_cmpx_gt_u32_e32 8, v1
; %bb.998:                              ;   in Loop: Header=BB355_15 Depth=1
	v_ffbh_u32_e32 v0, v13
	v_min_u32_e32 v0, 32, v0
	v_subrev_nc_u32_e32 v1, 28, v0
	v_sub_nc_u32_e32 v0, 29, v0
	v_lshlrev_b64 v[10:11], v1, v[13:14]
	v_and_b32_e32 v29, 7, v10
; %bb.999:                              ;   in Loop: Header=BB355_15 Depth=1
	s_or_b32 exec_lo, exec_lo, s23
	v_mov_b32_e32 v1, 24
	v_lshlrev_b32_e32 v6, 20, v29
	v_lshl_add_u32 v0, v0, 23, 0x3c000000
	v_lshlrev_b32_sdwa v1, v1, v27 dst_sel:DWORD dst_unused:UNUSED_PAD src0_sel:DWORD src1_sel:WORD_1
	v_and_b32_e32 v1, 0x80000000, v1
	v_or3_b32 v66, v6, v1, v0
.LBB355_1000:                           ;   in Loop: Header=BB355_15 Depth=1
	s_or_b32 exec_lo, exec_lo, s22
.LBB355_1001:                           ;   in Loop: Header=BB355_15 Depth=1
	s_or_b32 exec_lo, exec_lo, s21
.LBB355_1002:                           ;   in Loop: Header=BB355_15 Depth=1
	s_or_b32 exec_lo, exec_lo, s20
	s_mov_b32 s20, exec_lo
	v_cmpx_lt_u32_e32 0xffffff, v27
	s_cbranch_execz .LBB355_1010
; %bb.1003:                             ;   in Loop: Header=BB355_15 Depth=1
	v_cmp_ne_u32_sdwa s5, v27, v7 src0_sel:BYTE_3 src1_sel:DWORD
	v_bfrev_b32_e32 v67, 1
	s_and_saveexec_b32 s21, s5
	s_cbranch_execz .LBB355_1009
; %bb.1004:                             ;   in Loop: Header=BB355_15 Depth=1
	v_bfe_u32 v1, v27, 24, 7
	v_mov_b32_e32 v67, 0x7f800001
	s_mov_b32 s22, exec_lo
	v_cmpx_ne_u32_e32 0x7f, v1
	s_cbranch_execz .LBB355_1008
; %bb.1005:                             ;   in Loop: Header=BB355_15 Depth=1
	v_mov_b32_e32 v0, 7
	s_mov_b32 s23, exec_lo
	v_and_b32_sdwa v13, v27, v0 dst_sel:DWORD dst_unused:UNUSED_PAD src0_sel:BYTE_3 src1_sel:DWORD
	v_mov_b32_e32 v30, v14
	v_lshrrev_b32_e32 v0, 3, v1
	v_mov_b32_e32 v29, v13
	v_cmpx_gt_u32_e32 8, v1
; %bb.1006:                             ;   in Loop: Header=BB355_15 Depth=1
	v_ffbh_u32_e32 v0, v13
	v_min_u32_e32 v0, 32, v0
	v_subrev_nc_u32_e32 v1, 28, v0
	v_sub_nc_u32_e32 v0, 29, v0
	v_lshlrev_b64 v[10:11], v1, v[13:14]
	v_and_b32_e32 v29, 7, v10
; %bb.1007:                             ;   in Loop: Header=BB355_15 Depth=1
	s_or_b32 exec_lo, exec_lo, s23
	v_mov_b32_e32 v1, 24
	v_lshlrev_b32_e32 v6, 20, v29
	v_lshl_add_u32 v0, v0, 23, 0x3c000000
	v_lshlrev_b32_sdwa v1, v1, v27 dst_sel:DWORD dst_unused:UNUSED_PAD src0_sel:DWORD src1_sel:BYTE_3
	v_and_b32_e32 v1, 0x80000000, v1
	v_or3_b32 v67, v6, v1, v0
.LBB355_1008:                           ;   in Loop: Header=BB355_15 Depth=1
	s_or_b32 exec_lo, exec_lo, s22
.LBB355_1009:                           ;   in Loop: Header=BB355_15 Depth=1
	s_or_b32 exec_lo, exec_lo, s21
.LBB355_1010:                           ;   in Loop: Header=BB355_15 Depth=1
	s_or_b32 exec_lo, exec_lo, s20
	v_mov_b32_e32 v13, v28
	v_cmp_ne_u16_sdwa s5, v28, v14 src0_sel:BYTE_0 src1_sel:DWORD
	v_mov_b32_e32 v59, 0
	v_mov_b32_e32 v68, 0
	s_and_saveexec_b32 s20, s5
	s_cbranch_execz .LBB355_1018
; %bb.1011:                             ;   in Loop: Header=BB355_15 Depth=1
	v_cmp_ne_u16_sdwa s5, v28, v7 src0_sel:BYTE_0 src1_sel:DWORD
	v_bfrev_b32_e32 v68, 1
	s_and_saveexec_b32 s21, s5
	s_cbranch_execz .LBB355_1017
; %bb.1012:                             ;   in Loop: Header=BB355_15 Depth=1
	v_and_b32_e32 v1, 0x7f, v28
	v_mov_b32_e32 v68, 0x7f800001
	s_mov_b32 s22, exec_lo
	v_cmpx_ne_u32_e32 0x7f, v1
	s_cbranch_execz .LBB355_1016
; %bb.1013:                             ;   in Loop: Header=BB355_15 Depth=1
	v_mov_b32_e32 v30, v14
	v_mov_b32_e32 v29, v13
	v_lshrrev_b32_e32 v0, 3, v1
	s_mov_b32 s23, exec_lo
	v_cmpx_gt_u32_e32 8, v1
; %bb.1014:                             ;   in Loop: Header=BB355_15 Depth=1
	v_and_b32_e32 v0, 7, v28
	v_ffbh_u32_e32 v0, v0
	v_min_u32_e32 v0, 32, v0
	v_subrev_nc_u32_e32 v1, 28, v0
	v_sub_nc_u32_e32 v0, 29, v0
	v_lshlrev_b64 v[29:30], v1, v[13:14]
; %bb.1015:                             ;   in Loop: Header=BB355_15 Depth=1
	s_or_b32 exec_lo, exec_lo, s23
	v_lshlrev_b32_e32 v1, 20, v29
	v_lshlrev_b32_e32 v6, 24, v13
	v_lshl_add_u32 v0, v0, 23, 0x3c000000
	v_and_b32_e32 v1, 0x700000, v1
	v_and_b32_e32 v6, 0x80000000, v6
	v_or3_b32 v68, v1, v6, v0
.LBB355_1016:                           ;   in Loop: Header=BB355_15 Depth=1
	s_or_b32 exec_lo, exec_lo, s22
.LBB355_1017:                           ;   in Loop: Header=BB355_15 Depth=1
	s_or_b32 exec_lo, exec_lo, s21
.LBB355_1018:                           ;   in Loop: Header=BB355_15 Depth=1
	s_or_b32 exec_lo, exec_lo, s20
	v_cmp_ne_u16_sdwa s5, v13, v14 src0_sel:BYTE_1 src1_sel:DWORD
	s_and_saveexec_b32 s20, s5
	s_cbranch_execz .LBB355_1026
; %bb.1019:                             ;   in Loop: Header=BB355_15 Depth=1
	v_cmp_ne_u16_sdwa s5, v13, v7 src0_sel:BYTE_1 src1_sel:DWORD
	v_bfrev_b32_e32 v59, 1
	s_and_saveexec_b32 s21, s5
	s_cbranch_execz .LBB355_1025
; %bb.1020:                             ;   in Loop: Header=BB355_15 Depth=1
	v_mov_b32_e32 v0, 0xffff
	v_mov_b32_e32 v59, 0x7f800001
	s_mov_b32 s22, exec_lo
	v_and_b32_sdwa v0, v0, v13 dst_sel:DWORD dst_unused:UNUSED_PAD src0_sel:DWORD src1_sel:BYTE_1
	v_and_b32_e32 v1, 0x7f, v0
	v_cmpx_ne_u32_e32 0x7f, v1
	s_cbranch_execz .LBB355_1024
; %bb.1021:                             ;   in Loop: Header=BB355_15 Depth=1
	v_and_b32_e32 v29, 7, v0
	v_mov_b32_e32 v30, v14
	v_lshrrev_b32_e32 v0, 3, v1
	s_mov_b32 s23, exec_lo
	v_cmpx_gt_u32_e32 8, v1
; %bb.1022:                             ;   in Loop: Header=BB355_15 Depth=1
	v_ffbh_u32_e32 v0, v29
	v_min_u32_e32 v0, 32, v0
	v_subrev_nc_u32_e32 v1, 28, v0
	v_sub_nc_u32_e32 v0, 29, v0
	v_lshlrev_b64 v[10:11], v1, v[29:30]
	v_and_b32_e32 v29, 7, v10
; %bb.1023:                             ;   in Loop: Header=BB355_15 Depth=1
	s_or_b32 exec_lo, exec_lo, s23
	v_lshlrev_b32_e32 v1, 16, v13
	v_lshlrev_b32_e32 v6, 20, v29
	v_lshl_add_u32 v0, v0, 23, 0x3c000000
	v_and_b32_e32 v1, 0x80000000, v1
	v_or3_b32 v59, v6, v1, v0
.LBB355_1024:                           ;   in Loop: Header=BB355_15 Depth=1
	s_or_b32 exec_lo, exec_lo, s22
.LBB355_1025:                           ;   in Loop: Header=BB355_15 Depth=1
	s_or_b32 exec_lo, exec_lo, s21
.LBB355_1026:                           ;   in Loop: Header=BB355_15 Depth=1
	s_or_b32 exec_lo, exec_lo, s20
	v_mov_b32_e32 v0, 0xff
	v_mov_b32_e32 v65, 0
	;; [unrolled: 1-line block ×3, first 2 shown]
	s_mov_b32 s20, exec_lo
	v_and_b32_sdwa v0, v28, v0 dst_sel:DWORD dst_unused:UNUSED_PAD src0_sel:WORD_1 src1_sel:DWORD
	v_cmpx_ne_u16_e32 0, v0
	s_cbranch_execz .LBB355_1034
; %bb.1027:                             ;   in Loop: Header=BB355_15 Depth=1
	v_bfrev_b32_e32 v52, 1
	s_mov_b32 s21, exec_lo
	v_cmpx_ne_u16_e32 0x80, v0
	s_cbranch_execz .LBB355_1033
; %bb.1028:                             ;   in Loop: Header=BB355_15 Depth=1
	v_bfe_u32 v1, v28, 16, 7
	v_mov_b32_e32 v52, 0x7f800001
	s_mov_b32 s22, exec_lo
	v_cmpx_ne_u32_e32 0x7f, v1
	s_cbranch_execz .LBB355_1032
; %bb.1029:                             ;   in Loop: Header=BB355_15 Depth=1
	v_mov_b32_e32 v0, 7
	s_mov_b32 s23, exec_lo
	v_and_b32_sdwa v13, v28, v0 dst_sel:DWORD dst_unused:UNUSED_PAD src0_sel:WORD_1 src1_sel:DWORD
	v_mov_b32_e32 v30, v14
	v_lshrrev_b32_e32 v0, 3, v1
	v_mov_b32_e32 v29, v13
	v_cmpx_gt_u32_e32 8, v1
; %bb.1030:                             ;   in Loop: Header=BB355_15 Depth=1
	v_ffbh_u32_e32 v0, v13
	v_min_u32_e32 v0, 32, v0
	v_subrev_nc_u32_e32 v1, 28, v0
	v_sub_nc_u32_e32 v0, 29, v0
	v_lshlrev_b64 v[10:11], v1, v[13:14]
	v_and_b32_e32 v29, 7, v10
; %bb.1031:                             ;   in Loop: Header=BB355_15 Depth=1
	s_or_b32 exec_lo, exec_lo, s23
	v_mov_b32_e32 v1, 24
	v_lshlrev_b32_e32 v6, 20, v29
	v_lshl_add_u32 v0, v0, 23, 0x3c000000
	v_lshlrev_b32_sdwa v1, v1, v28 dst_sel:DWORD dst_unused:UNUSED_PAD src0_sel:DWORD src1_sel:WORD_1
	v_and_b32_e32 v1, 0x80000000, v1
	v_or3_b32 v52, v6, v1, v0
.LBB355_1032:                           ;   in Loop: Header=BB355_15 Depth=1
	s_or_b32 exec_lo, exec_lo, s22
.LBB355_1033:                           ;   in Loop: Header=BB355_15 Depth=1
	s_or_b32 exec_lo, exec_lo, s21
.LBB355_1034:                           ;   in Loop: Header=BB355_15 Depth=1
	s_or_b32 exec_lo, exec_lo, s20
	s_mov_b32 s20, exec_lo
	v_cmpx_lt_u64_e64 s[12:13], v[27:28]
	s_cbranch_execz .LBB355_1042
; %bb.1035:                             ;   in Loop: Header=BB355_15 Depth=1
	v_cmp_ne_u32_sdwa s5, v28, v7 src0_sel:BYTE_3 src1_sel:DWORD
	v_bfrev_b32_e32 v65, 1
	s_and_saveexec_b32 s21, s5
	s_cbranch_execz .LBB355_1041
; %bb.1036:                             ;   in Loop: Header=BB355_15 Depth=1
	v_bfe_u32 v1, v28, 24, 7
	v_mov_b32_e32 v65, 0x7f800001
	s_mov_b32 s22, exec_lo
	v_cmpx_ne_u32_e32 0x7f, v1
	s_cbranch_execz .LBB355_1040
; %bb.1037:                             ;   in Loop: Header=BB355_15 Depth=1
	v_mov_b32_e32 v0, 7
	s_mov_b32 s23, exec_lo
	v_and_b32_sdwa v13, v28, v0 dst_sel:DWORD dst_unused:UNUSED_PAD src0_sel:BYTE_3 src1_sel:DWORD
	v_mov_b32_e32 v30, v14
	v_lshrrev_b32_e32 v0, 3, v1
	v_mov_b32_e32 v29, v13
	v_cmpx_gt_u32_e32 8, v1
; %bb.1038:                             ;   in Loop: Header=BB355_15 Depth=1
	v_ffbh_u32_e32 v0, v13
	v_min_u32_e32 v0, 32, v0
	v_subrev_nc_u32_e32 v1, 28, v0
	v_sub_nc_u32_e32 v0, 29, v0
	v_lshlrev_b64 v[10:11], v1, v[13:14]
	v_and_b32_e32 v29, 7, v10
; %bb.1039:                             ;   in Loop: Header=BB355_15 Depth=1
	s_or_b32 exec_lo, exec_lo, s23
	v_mov_b32_e32 v1, 24
	v_lshlrev_b32_e32 v6, 20, v29
	v_lshl_add_u32 v0, v0, 23, 0x3c000000
	v_lshlrev_b32_sdwa v1, v1, v28 dst_sel:DWORD dst_unused:UNUSED_PAD src0_sel:DWORD src1_sel:BYTE_3
	v_and_b32_e32 v1, 0x80000000, v1
	v_or3_b32 v65, v6, v1, v0
.LBB355_1040:                           ;   in Loop: Header=BB355_15 Depth=1
	s_or_b32 exec_lo, exec_lo, s22
.LBB355_1041:                           ;   in Loop: Header=BB355_15 Depth=1
	s_or_b32 exec_lo, exec_lo, s21
.LBB355_1042:                           ;   in Loop: Header=BB355_15 Depth=1
	s_or_b32 exec_lo, exec_lo, s20
	v_add_co_u32 v24, s5, 0x1000, v24
	v_add_co_ci_u32_e64 v25, null, 0, v25, s5
	v_mov_b32_e32 v84, 0
	v_mov_b32_e32 v58, 0
	flat_load_dwordx2 v[27:28], v[24:25]
	s_waitcnt vmcnt(0) lgkmcnt(0)
	v_cmp_ne_u16_sdwa s5, v27, v14 src0_sel:BYTE_0 src1_sel:DWORD
	s_and_saveexec_b32 s20, s5
	s_cbranch_execz .LBB355_1050
; %bb.1043:                             ;   in Loop: Header=BB355_15 Depth=1
	v_cmp_ne_u16_sdwa s5, v27, v7 src0_sel:BYTE_0 src1_sel:DWORD
	v_bfrev_b32_e32 v58, 1
	s_and_saveexec_b32 s21, s5
	s_cbranch_execz .LBB355_1049
; %bb.1044:                             ;   in Loop: Header=BB355_15 Depth=1
	v_and_b32_e32 v1, 0x7f, v27
	v_mov_b32_e32 v58, 0x7f800001
	s_mov_b32 s22, exec_lo
	v_cmpx_ne_u32_e32 0x7f, v1
	s_cbranch_execz .LBB355_1048
; %bb.1045:                             ;   in Loop: Header=BB355_15 Depth=1
	v_mov_b32_e32 v30, v28
	v_lshrrev_b32_e32 v0, 3, v1
	v_mov_b32_e32 v29, v27
	s_mov_b32 s23, exec_lo
	v_cmpx_gt_u32_e32 8, v1
; %bb.1046:                             ;   in Loop: Header=BB355_15 Depth=1
	v_and_b32_e32 v0, 7, v27
	v_ffbh_u32_e32 v0, v0
	v_min_u32_e32 v0, 32, v0
	v_subrev_nc_u32_e32 v1, 28, v0
	v_sub_nc_u32_e32 v0, 29, v0
	v_lshlrev_b64 v[29:30], v1, v[27:28]
; %bb.1047:                             ;   in Loop: Header=BB355_15 Depth=1
	s_or_b32 exec_lo, exec_lo, s23
	v_lshlrev_b32_e32 v1, 20, v29
	v_lshlrev_b32_e32 v6, 24, v27
	v_lshl_add_u32 v0, v0, 23, 0x3c000000
	v_and_b32_e32 v1, 0x700000, v1
	v_and_b32_e32 v6, 0x80000000, v6
	v_or3_b32 v58, v1, v6, v0
.LBB355_1048:                           ;   in Loop: Header=BB355_15 Depth=1
	s_or_b32 exec_lo, exec_lo, s22
.LBB355_1049:                           ;   in Loop: Header=BB355_15 Depth=1
	s_or_b32 exec_lo, exec_lo, s21
.LBB355_1050:                           ;   in Loop: Header=BB355_15 Depth=1
	s_or_b32 exec_lo, exec_lo, s20
	v_cmp_ne_u16_sdwa s5, v27, v14 src0_sel:BYTE_1 src1_sel:DWORD
	s_and_saveexec_b32 s20, s5
	s_cbranch_execz .LBB355_1058
; %bb.1051:                             ;   in Loop: Header=BB355_15 Depth=1
	v_cmp_ne_u16_sdwa s5, v27, v7 src0_sel:BYTE_1 src1_sel:DWORD
	v_bfrev_b32_e32 v84, 1
	s_and_saveexec_b32 s21, s5
	s_cbranch_execz .LBB355_1057
; %bb.1052:                             ;   in Loop: Header=BB355_15 Depth=1
	v_mov_b32_e32 v0, 0xffff
	v_mov_b32_e32 v84, 0x7f800001
	s_mov_b32 s22, exec_lo
	v_and_b32_sdwa v0, v0, v27 dst_sel:DWORD dst_unused:UNUSED_PAD src0_sel:DWORD src1_sel:BYTE_1
	v_and_b32_e32 v1, 0x7f, v0
	v_cmpx_ne_u32_e32 0x7f, v1
	s_cbranch_execz .LBB355_1056
; %bb.1053:                             ;   in Loop: Header=BB355_15 Depth=1
	v_and_b32_e32 v13, 7, v0
	v_mov_b32_e32 v30, v14
	v_lshrrev_b32_e32 v0, 3, v1
	s_mov_b32 s23, exec_lo
	v_mov_b32_e32 v29, v13
	v_cmpx_gt_u32_e32 8, v1
; %bb.1054:                             ;   in Loop: Header=BB355_15 Depth=1
	v_ffbh_u32_e32 v0, v13
	v_min_u32_e32 v0, 32, v0
	v_subrev_nc_u32_e32 v1, 28, v0
	v_sub_nc_u32_e32 v0, 29, v0
	v_lshlrev_b64 v[10:11], v1, v[13:14]
	v_and_b32_e32 v29, 7, v10
; %bb.1055:                             ;   in Loop: Header=BB355_15 Depth=1
	s_or_b32 exec_lo, exec_lo, s23
	v_lshlrev_b32_e32 v1, 16, v27
	v_lshlrev_b32_e32 v6, 20, v29
	v_lshl_add_u32 v0, v0, 23, 0x3c000000
	v_and_b32_e32 v1, 0x80000000, v1
	v_or3_b32 v84, v6, v1, v0
.LBB355_1056:                           ;   in Loop: Header=BB355_15 Depth=1
	s_or_b32 exec_lo, exec_lo, s22
.LBB355_1057:                           ;   in Loop: Header=BB355_15 Depth=1
	s_or_b32 exec_lo, exec_lo, s21
.LBB355_1058:                           ;   in Loop: Header=BB355_15 Depth=1
	s_or_b32 exec_lo, exec_lo, s20
	v_mov_b32_e32 v0, 0xff
	v_mov_b32_e32 v82, 0
	;; [unrolled: 1-line block ×3, first 2 shown]
	s_mov_b32 s20, exec_lo
	v_and_b32_sdwa v0, v27, v0 dst_sel:DWORD dst_unused:UNUSED_PAD src0_sel:WORD_1 src1_sel:DWORD
	v_cmpx_ne_u16_e32 0, v0
	s_cbranch_execz .LBB355_1066
; %bb.1059:                             ;   in Loop: Header=BB355_15 Depth=1
	v_bfrev_b32_e32 v57, 1
	s_mov_b32 s21, exec_lo
	v_cmpx_ne_u16_e32 0x80, v0
	s_cbranch_execz .LBB355_1065
; %bb.1060:                             ;   in Loop: Header=BB355_15 Depth=1
	v_bfe_u32 v1, v27, 16, 7
	v_mov_b32_e32 v57, 0x7f800001
	s_mov_b32 s22, exec_lo
	v_cmpx_ne_u32_e32 0x7f, v1
	s_cbranch_execz .LBB355_1064
; %bb.1061:                             ;   in Loop: Header=BB355_15 Depth=1
	v_mov_b32_e32 v0, 7
	s_mov_b32 s23, exec_lo
	v_and_b32_sdwa v13, v27, v0 dst_sel:DWORD dst_unused:UNUSED_PAD src0_sel:WORD_1 src1_sel:DWORD
	v_mov_b32_e32 v30, v14
	v_lshrrev_b32_e32 v0, 3, v1
	v_mov_b32_e32 v29, v13
	v_cmpx_gt_u32_e32 8, v1
; %bb.1062:                             ;   in Loop: Header=BB355_15 Depth=1
	v_ffbh_u32_e32 v0, v13
	v_min_u32_e32 v0, 32, v0
	v_subrev_nc_u32_e32 v1, 28, v0
	v_sub_nc_u32_e32 v0, 29, v0
	v_lshlrev_b64 v[10:11], v1, v[13:14]
	v_and_b32_e32 v29, 7, v10
; %bb.1063:                             ;   in Loop: Header=BB355_15 Depth=1
	s_or_b32 exec_lo, exec_lo, s23
	v_mov_b32_e32 v1, 24
	v_lshlrev_b32_e32 v6, 20, v29
	v_lshl_add_u32 v0, v0, 23, 0x3c000000
	v_lshlrev_b32_sdwa v1, v1, v27 dst_sel:DWORD dst_unused:UNUSED_PAD src0_sel:DWORD src1_sel:WORD_1
	v_and_b32_e32 v1, 0x80000000, v1
	v_or3_b32 v57, v6, v1, v0
.LBB355_1064:                           ;   in Loop: Header=BB355_15 Depth=1
	s_or_b32 exec_lo, exec_lo, s22
.LBB355_1065:                           ;   in Loop: Header=BB355_15 Depth=1
	s_or_b32 exec_lo, exec_lo, s21
.LBB355_1066:                           ;   in Loop: Header=BB355_15 Depth=1
	s_or_b32 exec_lo, exec_lo, s20
	s_mov_b32 s20, exec_lo
	v_cmpx_lt_u32_e32 0xffffff, v27
	s_cbranch_execz .LBB355_1074
; %bb.1067:                             ;   in Loop: Header=BB355_15 Depth=1
	v_cmp_ne_u32_sdwa s5, v27, v7 src0_sel:BYTE_3 src1_sel:DWORD
	v_bfrev_b32_e32 v82, 1
	s_and_saveexec_b32 s21, s5
	s_cbranch_execz .LBB355_1073
; %bb.1068:                             ;   in Loop: Header=BB355_15 Depth=1
	v_bfe_u32 v1, v27, 24, 7
	v_mov_b32_e32 v82, 0x7f800001
	s_mov_b32 s22, exec_lo
	v_cmpx_ne_u32_e32 0x7f, v1
	s_cbranch_execz .LBB355_1072
; %bb.1069:                             ;   in Loop: Header=BB355_15 Depth=1
	v_mov_b32_e32 v0, 7
	s_mov_b32 s23, exec_lo
	v_and_b32_sdwa v13, v27, v0 dst_sel:DWORD dst_unused:UNUSED_PAD src0_sel:BYTE_3 src1_sel:DWORD
	v_mov_b32_e32 v30, v14
	v_lshrrev_b32_e32 v0, 3, v1
	v_mov_b32_e32 v29, v13
	v_cmpx_gt_u32_e32 8, v1
; %bb.1070:                             ;   in Loop: Header=BB355_15 Depth=1
	v_ffbh_u32_e32 v0, v13
	v_min_u32_e32 v0, 32, v0
	v_subrev_nc_u32_e32 v1, 28, v0
	v_sub_nc_u32_e32 v0, 29, v0
	v_lshlrev_b64 v[10:11], v1, v[13:14]
	v_and_b32_e32 v29, 7, v10
; %bb.1071:                             ;   in Loop: Header=BB355_15 Depth=1
	s_or_b32 exec_lo, exec_lo, s23
	v_mov_b32_e32 v1, 24
	v_lshlrev_b32_e32 v6, 20, v29
	v_lshl_add_u32 v0, v0, 23, 0x3c000000
	v_lshlrev_b32_sdwa v1, v1, v27 dst_sel:DWORD dst_unused:UNUSED_PAD src0_sel:DWORD src1_sel:BYTE_3
	v_and_b32_e32 v1, 0x80000000, v1
	v_or3_b32 v82, v6, v1, v0
.LBB355_1072:                           ;   in Loop: Header=BB355_15 Depth=1
	s_or_b32 exec_lo, exec_lo, s22
.LBB355_1073:                           ;   in Loop: Header=BB355_15 Depth=1
	s_or_b32 exec_lo, exec_lo, s21
.LBB355_1074:                           ;   in Loop: Header=BB355_15 Depth=1
	s_or_b32 exec_lo, exec_lo, s20
	v_mov_b32_e32 v13, v28
	v_cmp_ne_u16_sdwa s5, v28, v14 src0_sel:BYTE_0 src1_sel:DWORD
	v_mov_b32_e32 v116, 0
	v_mov_b32_e32 v83, 0
	s_and_saveexec_b32 s20, s5
	s_cbranch_execz .LBB355_1082
; %bb.1075:                             ;   in Loop: Header=BB355_15 Depth=1
	v_cmp_ne_u16_sdwa s5, v28, v7 src0_sel:BYTE_0 src1_sel:DWORD
	v_bfrev_b32_e32 v83, 1
	s_and_saveexec_b32 s21, s5
	s_cbranch_execz .LBB355_1081
; %bb.1076:                             ;   in Loop: Header=BB355_15 Depth=1
	v_and_b32_e32 v1, 0x7f, v28
	v_mov_b32_e32 v83, 0x7f800001
	s_mov_b32 s22, exec_lo
	v_cmpx_ne_u32_e32 0x7f, v1
	s_cbranch_execz .LBB355_1080
; %bb.1077:                             ;   in Loop: Header=BB355_15 Depth=1
	v_mov_b32_e32 v30, v14
	v_mov_b32_e32 v29, v13
	v_lshrrev_b32_e32 v0, 3, v1
	s_mov_b32 s23, exec_lo
	v_cmpx_gt_u32_e32 8, v1
; %bb.1078:                             ;   in Loop: Header=BB355_15 Depth=1
	v_and_b32_e32 v0, 7, v28
	v_ffbh_u32_e32 v0, v0
	v_min_u32_e32 v0, 32, v0
	v_subrev_nc_u32_e32 v1, 28, v0
	v_sub_nc_u32_e32 v0, 29, v0
	v_lshlrev_b64 v[29:30], v1, v[13:14]
; %bb.1079:                             ;   in Loop: Header=BB355_15 Depth=1
	s_or_b32 exec_lo, exec_lo, s23
	v_lshlrev_b32_e32 v1, 20, v29
	v_lshlrev_b32_e32 v6, 24, v13
	v_lshl_add_u32 v0, v0, 23, 0x3c000000
	v_and_b32_e32 v1, 0x700000, v1
	v_and_b32_e32 v6, 0x80000000, v6
	v_or3_b32 v83, v1, v6, v0
.LBB355_1080:                           ;   in Loop: Header=BB355_15 Depth=1
	s_or_b32 exec_lo, exec_lo, s22
.LBB355_1081:                           ;   in Loop: Header=BB355_15 Depth=1
	s_or_b32 exec_lo, exec_lo, s21
.LBB355_1082:                           ;   in Loop: Header=BB355_15 Depth=1
	s_or_b32 exec_lo, exec_lo, s20
	v_cmp_ne_u16_sdwa s5, v13, v14 src0_sel:BYTE_1 src1_sel:DWORD
	s_and_saveexec_b32 s20, s5
	s_cbranch_execz .LBB355_1090
; %bb.1083:                             ;   in Loop: Header=BB355_15 Depth=1
	v_cmp_ne_u16_sdwa s5, v13, v7 src0_sel:BYTE_1 src1_sel:DWORD
	v_bfrev_b32_e32 v116, 1
	s_and_saveexec_b32 s21, s5
	s_cbranch_execz .LBB355_1089
; %bb.1084:                             ;   in Loop: Header=BB355_15 Depth=1
	v_mov_b32_e32 v0, 0xffff
	v_mov_b32_e32 v116, 0x7f800001
	s_mov_b32 s22, exec_lo
	v_and_b32_sdwa v0, v0, v13 dst_sel:DWORD dst_unused:UNUSED_PAD src0_sel:DWORD src1_sel:BYTE_1
	v_and_b32_e32 v1, 0x7f, v0
	v_cmpx_ne_u32_e32 0x7f, v1
	s_cbranch_execz .LBB355_1088
; %bb.1085:                             ;   in Loop: Header=BB355_15 Depth=1
	v_and_b32_e32 v29, 7, v0
	v_mov_b32_e32 v30, v14
	v_lshrrev_b32_e32 v0, 3, v1
	s_mov_b32 s23, exec_lo
	v_cmpx_gt_u32_e32 8, v1
; %bb.1086:                             ;   in Loop: Header=BB355_15 Depth=1
	v_ffbh_u32_e32 v0, v29
	v_min_u32_e32 v0, 32, v0
	v_subrev_nc_u32_e32 v1, 28, v0
	v_sub_nc_u32_e32 v0, 29, v0
	v_lshlrev_b64 v[10:11], v1, v[29:30]
	v_and_b32_e32 v29, 7, v10
; %bb.1087:                             ;   in Loop: Header=BB355_15 Depth=1
	s_or_b32 exec_lo, exec_lo, s23
	v_lshlrev_b32_e32 v1, 16, v13
	v_lshlrev_b32_e32 v6, 20, v29
	v_lshl_add_u32 v0, v0, 23, 0x3c000000
	v_and_b32_e32 v1, 0x80000000, v1
	v_or3_b32 v116, v6, v1, v0
.LBB355_1088:                           ;   in Loop: Header=BB355_15 Depth=1
	s_or_b32 exec_lo, exec_lo, s22
.LBB355_1089:                           ;   in Loop: Header=BB355_15 Depth=1
	s_or_b32 exec_lo, exec_lo, s21
.LBB355_1090:                           ;   in Loop: Header=BB355_15 Depth=1
	s_or_b32 exec_lo, exec_lo, s20
	v_mov_b32_e32 v0, 0xff
	v_mov_b32_e32 v101, 0
	;; [unrolled: 1-line block ×3, first 2 shown]
	s_mov_b32 s20, exec_lo
	v_and_b32_sdwa v0, v28, v0 dst_sel:DWORD dst_unused:UNUSED_PAD src0_sel:WORD_1 src1_sel:DWORD
	v_cmpx_ne_u16_e32 0, v0
	s_cbranch_execz .LBB355_1098
; %bb.1091:                             ;   in Loop: Header=BB355_15 Depth=1
	v_bfrev_b32_e32 v69, 1
	s_mov_b32 s21, exec_lo
	v_cmpx_ne_u16_e32 0x80, v0
	s_cbranch_execz .LBB355_1097
; %bb.1092:                             ;   in Loop: Header=BB355_15 Depth=1
	v_bfe_u32 v1, v28, 16, 7
	v_mov_b32_e32 v69, 0x7f800001
	s_mov_b32 s22, exec_lo
	v_cmpx_ne_u32_e32 0x7f, v1
	s_cbranch_execz .LBB355_1096
; %bb.1093:                             ;   in Loop: Header=BB355_15 Depth=1
	v_mov_b32_e32 v0, 7
	s_mov_b32 s23, exec_lo
	v_and_b32_sdwa v13, v28, v0 dst_sel:DWORD dst_unused:UNUSED_PAD src0_sel:WORD_1 src1_sel:DWORD
	v_mov_b32_e32 v30, v14
	v_lshrrev_b32_e32 v0, 3, v1
	v_mov_b32_e32 v29, v13
	v_cmpx_gt_u32_e32 8, v1
; %bb.1094:                             ;   in Loop: Header=BB355_15 Depth=1
	v_ffbh_u32_e32 v0, v13
	v_min_u32_e32 v0, 32, v0
	v_subrev_nc_u32_e32 v1, 28, v0
	v_sub_nc_u32_e32 v0, 29, v0
	v_lshlrev_b64 v[10:11], v1, v[13:14]
	v_and_b32_e32 v29, 7, v10
; %bb.1095:                             ;   in Loop: Header=BB355_15 Depth=1
	s_or_b32 exec_lo, exec_lo, s23
	v_mov_b32_e32 v1, 24
	v_lshlrev_b32_e32 v6, 20, v29
	v_lshl_add_u32 v0, v0, 23, 0x3c000000
	v_lshlrev_b32_sdwa v1, v1, v28 dst_sel:DWORD dst_unused:UNUSED_PAD src0_sel:DWORD src1_sel:WORD_1
	v_and_b32_e32 v1, 0x80000000, v1
	v_or3_b32 v69, v6, v1, v0
.LBB355_1096:                           ;   in Loop: Header=BB355_15 Depth=1
	s_or_b32 exec_lo, exec_lo, s22
.LBB355_1097:                           ;   in Loop: Header=BB355_15 Depth=1
	s_or_b32 exec_lo, exec_lo, s21
.LBB355_1098:                           ;   in Loop: Header=BB355_15 Depth=1
	s_or_b32 exec_lo, exec_lo, s20
	s_mov_b32 s20, exec_lo
	v_cmpx_lt_u64_e64 s[12:13], v[27:28]
	s_cbranch_execz .LBB355_1106
; %bb.1099:                             ;   in Loop: Header=BB355_15 Depth=1
	v_cmp_ne_u32_sdwa s5, v28, v7 src0_sel:BYTE_3 src1_sel:DWORD
	v_bfrev_b32_e32 v101, 1
	s_and_saveexec_b32 s21, s5
	s_cbranch_execz .LBB355_1105
; %bb.1100:                             ;   in Loop: Header=BB355_15 Depth=1
	v_bfe_u32 v1, v28, 24, 7
	v_mov_b32_e32 v101, 0x7f800001
	s_mov_b32 s22, exec_lo
	v_cmpx_ne_u32_e32 0x7f, v1
	s_cbranch_execz .LBB355_1104
; %bb.1101:                             ;   in Loop: Header=BB355_15 Depth=1
	v_mov_b32_e32 v0, 7
	s_mov_b32 s23, exec_lo
	v_and_b32_sdwa v13, v28, v0 dst_sel:DWORD dst_unused:UNUSED_PAD src0_sel:BYTE_3 src1_sel:DWORD
	v_mov_b32_e32 v30, v14
	v_lshrrev_b32_e32 v0, 3, v1
	v_mov_b32_e32 v29, v13
	v_cmpx_gt_u32_e32 8, v1
; %bb.1102:                             ;   in Loop: Header=BB355_15 Depth=1
	v_ffbh_u32_e32 v0, v13
	v_min_u32_e32 v0, 32, v0
	v_subrev_nc_u32_e32 v1, 28, v0
	v_sub_nc_u32_e32 v0, 29, v0
	v_lshlrev_b64 v[10:11], v1, v[13:14]
	v_and_b32_e32 v29, 7, v10
; %bb.1103:                             ;   in Loop: Header=BB355_15 Depth=1
	s_or_b32 exec_lo, exec_lo, s23
	v_mov_b32_e32 v1, 24
	v_lshlrev_b32_e32 v6, 20, v29
	v_lshl_add_u32 v0, v0, 23, 0x3c000000
	v_lshlrev_b32_sdwa v1, v1, v28 dst_sel:DWORD dst_unused:UNUSED_PAD src0_sel:DWORD src1_sel:BYTE_3
	v_and_b32_e32 v1, 0x80000000, v1
	v_or3_b32 v101, v6, v1, v0
.LBB355_1104:                           ;   in Loop: Header=BB355_15 Depth=1
	s_or_b32 exec_lo, exec_lo, s22
.LBB355_1105:                           ;   in Loop: Header=BB355_15 Depth=1
	s_or_b32 exec_lo, exec_lo, s21
.LBB355_1106:                           ;   in Loop: Header=BB355_15 Depth=1
	s_or_b32 exec_lo, exec_lo, s20
	flat_load_dwordx2 v[27:28], v[24:25] offset:8
	v_mov_b32_e32 v86, 0
	v_mov_b32_e32 v96, 0
	s_waitcnt vmcnt(0) lgkmcnt(0)
	v_cmp_ne_u16_sdwa s5, v27, v14 src0_sel:BYTE_0 src1_sel:DWORD
	s_and_saveexec_b32 s20, s5
	s_cbranch_execz .LBB355_1114
; %bb.1107:                             ;   in Loop: Header=BB355_15 Depth=1
	v_cmp_ne_u16_sdwa s5, v27, v7 src0_sel:BYTE_0 src1_sel:DWORD
	v_bfrev_b32_e32 v96, 1
	s_and_saveexec_b32 s21, s5
	s_cbranch_execz .LBB355_1113
; %bb.1108:                             ;   in Loop: Header=BB355_15 Depth=1
	v_and_b32_e32 v1, 0x7f, v27
	v_mov_b32_e32 v96, 0x7f800001
	s_mov_b32 s22, exec_lo
	v_cmpx_ne_u32_e32 0x7f, v1
	s_cbranch_execz .LBB355_1112
; %bb.1109:                             ;   in Loop: Header=BB355_15 Depth=1
	v_mov_b32_e32 v30, v28
	v_lshrrev_b32_e32 v0, 3, v1
	v_mov_b32_e32 v29, v27
	s_mov_b32 s23, exec_lo
	v_cmpx_gt_u32_e32 8, v1
; %bb.1110:                             ;   in Loop: Header=BB355_15 Depth=1
	v_and_b32_e32 v0, 7, v27
	v_ffbh_u32_e32 v0, v0
	v_min_u32_e32 v0, 32, v0
	v_subrev_nc_u32_e32 v1, 28, v0
	v_sub_nc_u32_e32 v0, 29, v0
	v_lshlrev_b64 v[29:30], v1, v[27:28]
; %bb.1111:                             ;   in Loop: Header=BB355_15 Depth=1
	s_or_b32 exec_lo, exec_lo, s23
	v_lshlrev_b32_e32 v1, 20, v29
	v_lshlrev_b32_e32 v6, 24, v27
	v_lshl_add_u32 v0, v0, 23, 0x3c000000
	v_and_b32_e32 v1, 0x700000, v1
	v_and_b32_e32 v6, 0x80000000, v6
	v_or3_b32 v96, v1, v6, v0
.LBB355_1112:                           ;   in Loop: Header=BB355_15 Depth=1
	s_or_b32 exec_lo, exec_lo, s22
.LBB355_1113:                           ;   in Loop: Header=BB355_15 Depth=1
	s_or_b32 exec_lo, exec_lo, s21
.LBB355_1114:                           ;   in Loop: Header=BB355_15 Depth=1
	s_or_b32 exec_lo, exec_lo, s20
	v_cmp_ne_u16_sdwa s5, v27, v14 src0_sel:BYTE_1 src1_sel:DWORD
	s_and_saveexec_b32 s20, s5
	s_cbranch_execz .LBB355_1122
; %bb.1115:                             ;   in Loop: Header=BB355_15 Depth=1
	v_cmp_ne_u16_sdwa s5, v27, v7 src0_sel:BYTE_1 src1_sel:DWORD
	v_bfrev_b32_e32 v86, 1
	s_and_saveexec_b32 s21, s5
	s_cbranch_execz .LBB355_1121
; %bb.1116:                             ;   in Loop: Header=BB355_15 Depth=1
	v_mov_b32_e32 v0, 0xffff
	v_mov_b32_e32 v86, 0x7f800001
	s_mov_b32 s22, exec_lo
	v_and_b32_sdwa v0, v0, v27 dst_sel:DWORD dst_unused:UNUSED_PAD src0_sel:DWORD src1_sel:BYTE_1
	v_and_b32_e32 v1, 0x7f, v0
	v_cmpx_ne_u32_e32 0x7f, v1
	s_cbranch_execz .LBB355_1120
; %bb.1117:                             ;   in Loop: Header=BB355_15 Depth=1
	v_and_b32_e32 v13, 7, v0
	v_mov_b32_e32 v30, v14
	v_lshrrev_b32_e32 v0, 3, v1
	s_mov_b32 s23, exec_lo
	v_mov_b32_e32 v29, v13
	v_cmpx_gt_u32_e32 8, v1
; %bb.1118:                             ;   in Loop: Header=BB355_15 Depth=1
	v_ffbh_u32_e32 v0, v13
	v_min_u32_e32 v0, 32, v0
	v_subrev_nc_u32_e32 v1, 28, v0
	v_sub_nc_u32_e32 v0, 29, v0
	v_lshlrev_b64 v[10:11], v1, v[13:14]
	v_and_b32_e32 v29, 7, v10
; %bb.1119:                             ;   in Loop: Header=BB355_15 Depth=1
	s_or_b32 exec_lo, exec_lo, s23
	v_lshlrev_b32_e32 v1, 16, v27
	v_lshlrev_b32_e32 v6, 20, v29
	v_lshl_add_u32 v0, v0, 23, 0x3c000000
	v_and_b32_e32 v1, 0x80000000, v1
	v_or3_b32 v86, v6, v1, v0
.LBB355_1120:                           ;   in Loop: Header=BB355_15 Depth=1
	s_or_b32 exec_lo, exec_lo, s22
.LBB355_1121:                           ;   in Loop: Header=BB355_15 Depth=1
	s_or_b32 exec_lo, exec_lo, s21
.LBB355_1122:                           ;   in Loop: Header=BB355_15 Depth=1
	s_or_b32 exec_lo, exec_lo, s20
	v_mov_b32_e32 v0, 0xff
	v_mov_b32_e32 v98, 0
	;; [unrolled: 1-line block ×3, first 2 shown]
	s_mov_b32 s20, exec_lo
	v_and_b32_sdwa v0, v27, v0 dst_sel:DWORD dst_unused:UNUSED_PAD src0_sel:WORD_1 src1_sel:DWORD
	v_cmpx_ne_u16_e32 0, v0
	s_cbranch_execz .LBB355_1130
; %bb.1123:                             ;   in Loop: Header=BB355_15 Depth=1
	v_bfrev_b32_e32 v97, 1
	s_mov_b32 s21, exec_lo
	v_cmpx_ne_u16_e32 0x80, v0
	s_cbranch_execz .LBB355_1129
; %bb.1124:                             ;   in Loop: Header=BB355_15 Depth=1
	v_bfe_u32 v1, v27, 16, 7
	v_mov_b32_e32 v97, 0x7f800001
	s_mov_b32 s22, exec_lo
	v_cmpx_ne_u32_e32 0x7f, v1
	s_cbranch_execz .LBB355_1128
; %bb.1125:                             ;   in Loop: Header=BB355_15 Depth=1
	v_mov_b32_e32 v0, 7
	s_mov_b32 s23, exec_lo
	v_and_b32_sdwa v13, v27, v0 dst_sel:DWORD dst_unused:UNUSED_PAD src0_sel:WORD_1 src1_sel:DWORD
	v_mov_b32_e32 v30, v14
	v_lshrrev_b32_e32 v0, 3, v1
	v_mov_b32_e32 v29, v13
	v_cmpx_gt_u32_e32 8, v1
; %bb.1126:                             ;   in Loop: Header=BB355_15 Depth=1
	v_ffbh_u32_e32 v0, v13
	v_min_u32_e32 v0, 32, v0
	v_subrev_nc_u32_e32 v1, 28, v0
	v_sub_nc_u32_e32 v0, 29, v0
	v_lshlrev_b64 v[10:11], v1, v[13:14]
	v_and_b32_e32 v29, 7, v10
; %bb.1127:                             ;   in Loop: Header=BB355_15 Depth=1
	s_or_b32 exec_lo, exec_lo, s23
	v_mov_b32_e32 v1, 24
	v_lshlrev_b32_e32 v6, 20, v29
	v_lshl_add_u32 v0, v0, 23, 0x3c000000
	v_lshlrev_b32_sdwa v1, v1, v27 dst_sel:DWORD dst_unused:UNUSED_PAD src0_sel:DWORD src1_sel:WORD_1
	v_and_b32_e32 v1, 0x80000000, v1
	v_or3_b32 v97, v6, v1, v0
.LBB355_1128:                           ;   in Loop: Header=BB355_15 Depth=1
	s_or_b32 exec_lo, exec_lo, s22
.LBB355_1129:                           ;   in Loop: Header=BB355_15 Depth=1
	s_or_b32 exec_lo, exec_lo, s21
.LBB355_1130:                           ;   in Loop: Header=BB355_15 Depth=1
	s_or_b32 exec_lo, exec_lo, s20
	s_mov_b32 s20, exec_lo
	v_cmpx_lt_u32_e32 0xffffff, v27
	s_cbranch_execz .LBB355_1138
; %bb.1131:                             ;   in Loop: Header=BB355_15 Depth=1
	v_cmp_ne_u32_sdwa s5, v27, v7 src0_sel:BYTE_3 src1_sel:DWORD
	v_bfrev_b32_e32 v98, 1
	s_and_saveexec_b32 s21, s5
	s_cbranch_execz .LBB355_1137
; %bb.1132:                             ;   in Loop: Header=BB355_15 Depth=1
	v_bfe_u32 v1, v27, 24, 7
	v_mov_b32_e32 v98, 0x7f800001
	s_mov_b32 s22, exec_lo
	v_cmpx_ne_u32_e32 0x7f, v1
	s_cbranch_execz .LBB355_1136
; %bb.1133:                             ;   in Loop: Header=BB355_15 Depth=1
	v_mov_b32_e32 v0, 7
	s_mov_b32 s23, exec_lo
	v_and_b32_sdwa v13, v27, v0 dst_sel:DWORD dst_unused:UNUSED_PAD src0_sel:BYTE_3 src1_sel:DWORD
	v_mov_b32_e32 v30, v14
	v_lshrrev_b32_e32 v0, 3, v1
	v_mov_b32_e32 v29, v13
	v_cmpx_gt_u32_e32 8, v1
; %bb.1134:                             ;   in Loop: Header=BB355_15 Depth=1
	v_ffbh_u32_e32 v0, v13
	v_min_u32_e32 v0, 32, v0
	v_subrev_nc_u32_e32 v1, 28, v0
	v_sub_nc_u32_e32 v0, 29, v0
	v_lshlrev_b64 v[10:11], v1, v[13:14]
	v_and_b32_e32 v29, 7, v10
; %bb.1135:                             ;   in Loop: Header=BB355_15 Depth=1
	s_or_b32 exec_lo, exec_lo, s23
	v_mov_b32_e32 v1, 24
	v_lshlrev_b32_e32 v6, 20, v29
	v_lshl_add_u32 v0, v0, 23, 0x3c000000
	v_lshlrev_b32_sdwa v1, v1, v27 dst_sel:DWORD dst_unused:UNUSED_PAD src0_sel:DWORD src1_sel:BYTE_3
	v_and_b32_e32 v1, 0x80000000, v1
	v_or3_b32 v98, v6, v1, v0
.LBB355_1136:                           ;   in Loop: Header=BB355_15 Depth=1
	s_or_b32 exec_lo, exec_lo, s22
.LBB355_1137:                           ;   in Loop: Header=BB355_15 Depth=1
	s_or_b32 exec_lo, exec_lo, s21
.LBB355_1138:                           ;   in Loop: Header=BB355_15 Depth=1
	s_or_b32 exec_lo, exec_lo, s20
	v_mov_b32_e32 v13, v28
	v_cmp_ne_u16_sdwa s5, v28, v14 src0_sel:BYTE_0 src1_sel:DWORD
	v_mov_b32_e32 v44, 0
	v_mov_b32_e32 v99, 0
	s_and_saveexec_b32 s20, s5
	s_cbranch_execz .LBB355_1146
; %bb.1139:                             ;   in Loop: Header=BB355_15 Depth=1
	v_cmp_ne_u16_sdwa s5, v28, v7 src0_sel:BYTE_0 src1_sel:DWORD
	v_bfrev_b32_e32 v99, 1
	s_and_saveexec_b32 s21, s5
	s_cbranch_execz .LBB355_1145
; %bb.1140:                             ;   in Loop: Header=BB355_15 Depth=1
	v_and_b32_e32 v1, 0x7f, v28
	v_mov_b32_e32 v99, 0x7f800001
	s_mov_b32 s22, exec_lo
	v_cmpx_ne_u32_e32 0x7f, v1
	s_cbranch_execz .LBB355_1144
; %bb.1141:                             ;   in Loop: Header=BB355_15 Depth=1
	v_mov_b32_e32 v30, v14
	v_mov_b32_e32 v29, v13
	v_lshrrev_b32_e32 v0, 3, v1
	s_mov_b32 s23, exec_lo
	v_cmpx_gt_u32_e32 8, v1
; %bb.1142:                             ;   in Loop: Header=BB355_15 Depth=1
	v_and_b32_e32 v0, 7, v28
	v_ffbh_u32_e32 v0, v0
	v_min_u32_e32 v0, 32, v0
	v_subrev_nc_u32_e32 v1, 28, v0
	v_sub_nc_u32_e32 v0, 29, v0
	v_lshlrev_b64 v[29:30], v1, v[13:14]
; %bb.1143:                             ;   in Loop: Header=BB355_15 Depth=1
	s_or_b32 exec_lo, exec_lo, s23
	v_lshlrev_b32_e32 v1, 20, v29
	v_lshlrev_b32_e32 v6, 24, v13
	v_lshl_add_u32 v0, v0, 23, 0x3c000000
	v_and_b32_e32 v1, 0x700000, v1
	v_and_b32_e32 v6, 0x80000000, v6
	v_or3_b32 v99, v1, v6, v0
.LBB355_1144:                           ;   in Loop: Header=BB355_15 Depth=1
	s_or_b32 exec_lo, exec_lo, s22
.LBB355_1145:                           ;   in Loop: Header=BB355_15 Depth=1
	s_or_b32 exec_lo, exec_lo, s21
.LBB355_1146:                           ;   in Loop: Header=BB355_15 Depth=1
	s_or_b32 exec_lo, exec_lo, s20
	v_cmp_ne_u16_sdwa s5, v13, v14 src0_sel:BYTE_1 src1_sel:DWORD
	s_and_saveexec_b32 s20, s5
	s_cbranch_execz .LBB355_1154
; %bb.1147:                             ;   in Loop: Header=BB355_15 Depth=1
	v_cmp_ne_u16_sdwa s5, v13, v7 src0_sel:BYTE_1 src1_sel:DWORD
	v_bfrev_b32_e32 v44, 1
	s_and_saveexec_b32 s21, s5
	s_cbranch_execz .LBB355_1153
; %bb.1148:                             ;   in Loop: Header=BB355_15 Depth=1
	v_mov_b32_e32 v0, 0xffff
	v_mov_b32_e32 v44, 0x7f800001
	s_mov_b32 s22, exec_lo
	v_and_b32_sdwa v0, v0, v13 dst_sel:DWORD dst_unused:UNUSED_PAD src0_sel:DWORD src1_sel:BYTE_1
	v_and_b32_e32 v1, 0x7f, v0
	v_cmpx_ne_u32_e32 0x7f, v1
	s_cbranch_execz .LBB355_1152
; %bb.1149:                             ;   in Loop: Header=BB355_15 Depth=1
	v_and_b32_e32 v29, 7, v0
	v_mov_b32_e32 v30, v14
	v_lshrrev_b32_e32 v0, 3, v1
	s_mov_b32 s23, exec_lo
	v_cmpx_gt_u32_e32 8, v1
; %bb.1150:                             ;   in Loop: Header=BB355_15 Depth=1
	v_ffbh_u32_e32 v0, v29
	v_min_u32_e32 v0, 32, v0
	v_subrev_nc_u32_e32 v1, 28, v0
	v_sub_nc_u32_e32 v0, 29, v0
	v_lshlrev_b64 v[10:11], v1, v[29:30]
	v_and_b32_e32 v29, 7, v10
; %bb.1151:                             ;   in Loop: Header=BB355_15 Depth=1
	s_or_b32 exec_lo, exec_lo, s23
	v_lshlrev_b32_e32 v1, 16, v13
	v_lshlrev_b32_e32 v6, 20, v29
	v_lshl_add_u32 v0, v0, 23, 0x3c000000
	v_and_b32_e32 v1, 0x80000000, v1
	v_or3_b32 v44, v6, v1, v0
.LBB355_1152:                           ;   in Loop: Header=BB355_15 Depth=1
	s_or_b32 exec_lo, exec_lo, s22
.LBB355_1153:                           ;   in Loop: Header=BB355_15 Depth=1
	s_or_b32 exec_lo, exec_lo, s21
.LBB355_1154:                           ;   in Loop: Header=BB355_15 Depth=1
	s_or_b32 exec_lo, exec_lo, s20
	v_mov_b32_e32 v0, 0xff
	v_mov_b32_e32 v47, 0
	;; [unrolled: 1-line block ×3, first 2 shown]
	s_mov_b32 s20, exec_lo
	v_and_b32_sdwa v0, v28, v0 dst_sel:DWORD dst_unused:UNUSED_PAD src0_sel:WORD_1 src1_sel:DWORD
	v_cmpx_ne_u16_e32 0, v0
	s_cbranch_execz .LBB355_1162
; %bb.1155:                             ;   in Loop: Header=BB355_15 Depth=1
	v_bfrev_b32_e32 v71, 1
	s_mov_b32 s21, exec_lo
	v_cmpx_ne_u16_e32 0x80, v0
	s_cbranch_execz .LBB355_1161
; %bb.1156:                             ;   in Loop: Header=BB355_15 Depth=1
	v_bfe_u32 v1, v28, 16, 7
	v_mov_b32_e32 v71, 0x7f800001
	s_mov_b32 s22, exec_lo
	v_cmpx_ne_u32_e32 0x7f, v1
	s_cbranch_execz .LBB355_1160
; %bb.1157:                             ;   in Loop: Header=BB355_15 Depth=1
	v_mov_b32_e32 v0, 7
	s_mov_b32 s23, exec_lo
	v_and_b32_sdwa v13, v28, v0 dst_sel:DWORD dst_unused:UNUSED_PAD src0_sel:WORD_1 src1_sel:DWORD
	v_mov_b32_e32 v30, v14
	v_lshrrev_b32_e32 v0, 3, v1
	v_mov_b32_e32 v29, v13
	v_cmpx_gt_u32_e32 8, v1
; %bb.1158:                             ;   in Loop: Header=BB355_15 Depth=1
	v_ffbh_u32_e32 v0, v13
	v_min_u32_e32 v0, 32, v0
	v_subrev_nc_u32_e32 v1, 28, v0
	v_sub_nc_u32_e32 v0, 29, v0
	v_lshlrev_b64 v[10:11], v1, v[13:14]
	v_and_b32_e32 v29, 7, v10
; %bb.1159:                             ;   in Loop: Header=BB355_15 Depth=1
	s_or_b32 exec_lo, exec_lo, s23
	v_mov_b32_e32 v1, 24
	v_lshlrev_b32_e32 v6, 20, v29
	v_lshl_add_u32 v0, v0, 23, 0x3c000000
	v_lshlrev_b32_sdwa v1, v1, v28 dst_sel:DWORD dst_unused:UNUSED_PAD src0_sel:DWORD src1_sel:WORD_1
	v_and_b32_e32 v1, 0x80000000, v1
	v_or3_b32 v71, v6, v1, v0
.LBB355_1160:                           ;   in Loop: Header=BB355_15 Depth=1
	s_or_b32 exec_lo, exec_lo, s22
.LBB355_1161:                           ;   in Loop: Header=BB355_15 Depth=1
	s_or_b32 exec_lo, exec_lo, s21
.LBB355_1162:                           ;   in Loop: Header=BB355_15 Depth=1
	s_or_b32 exec_lo, exec_lo, s20
	s_mov_b32 s20, exec_lo
	v_cmpx_lt_u64_e64 s[12:13], v[27:28]
	s_cbranch_execz .LBB355_1170
; %bb.1163:                             ;   in Loop: Header=BB355_15 Depth=1
	v_cmp_ne_u32_sdwa s5, v28, v7 src0_sel:BYTE_3 src1_sel:DWORD
	v_bfrev_b32_e32 v47, 1
	s_and_saveexec_b32 s21, s5
	s_cbranch_execz .LBB355_1169
; %bb.1164:                             ;   in Loop: Header=BB355_15 Depth=1
	v_bfe_u32 v1, v28, 24, 7
	v_mov_b32_e32 v47, 0x7f800001
	s_mov_b32 s22, exec_lo
	v_cmpx_ne_u32_e32 0x7f, v1
	s_cbranch_execz .LBB355_1168
; %bb.1165:                             ;   in Loop: Header=BB355_15 Depth=1
	v_mov_b32_e32 v0, 7
	s_mov_b32 s23, exec_lo
	v_and_b32_sdwa v13, v28, v0 dst_sel:DWORD dst_unused:UNUSED_PAD src0_sel:BYTE_3 src1_sel:DWORD
	v_mov_b32_e32 v30, v14
	v_lshrrev_b32_e32 v0, 3, v1
	v_mov_b32_e32 v29, v13
	v_cmpx_gt_u32_e32 8, v1
; %bb.1166:                             ;   in Loop: Header=BB355_15 Depth=1
	v_ffbh_u32_e32 v0, v13
	v_min_u32_e32 v0, 32, v0
	v_subrev_nc_u32_e32 v1, 28, v0
	v_sub_nc_u32_e32 v0, 29, v0
	v_lshlrev_b64 v[10:11], v1, v[13:14]
	v_and_b32_e32 v29, 7, v10
; %bb.1167:                             ;   in Loop: Header=BB355_15 Depth=1
	s_or_b32 exec_lo, exec_lo, s23
	v_mov_b32_e32 v1, 24
	v_lshlrev_b32_e32 v6, 20, v29
	v_lshl_add_u32 v0, v0, 23, 0x3c000000
	v_lshlrev_b32_sdwa v1, v1, v28 dst_sel:DWORD dst_unused:UNUSED_PAD src0_sel:DWORD src1_sel:BYTE_3
	v_and_b32_e32 v1, 0x80000000, v1
	v_or3_b32 v47, v6, v1, v0
.LBB355_1168:                           ;   in Loop: Header=BB355_15 Depth=1
	s_or_b32 exec_lo, exec_lo, s22
.LBB355_1169:                           ;   in Loop: Header=BB355_15 Depth=1
	s_or_b32 exec_lo, exec_lo, s21
.LBB355_1170:                           ;   in Loop: Header=BB355_15 Depth=1
	s_or_b32 exec_lo, exec_lo, s20
	flat_load_dwordx2 v[27:28], v[24:25] offset:512
	v_mov_b32_e32 v46, 0
	v_mov_b32_e32 v48, 0
	s_waitcnt vmcnt(0) lgkmcnt(0)
	v_cmp_ne_u16_sdwa s5, v27, v14 src0_sel:BYTE_0 src1_sel:DWORD
	s_and_saveexec_b32 s20, s5
	s_cbranch_execz .LBB355_1178
; %bb.1171:                             ;   in Loop: Header=BB355_15 Depth=1
	v_cmp_ne_u16_sdwa s5, v27, v7 src0_sel:BYTE_0 src1_sel:DWORD
	v_bfrev_b32_e32 v48, 1
	s_and_saveexec_b32 s21, s5
	s_cbranch_execz .LBB355_1177
; %bb.1172:                             ;   in Loop: Header=BB355_15 Depth=1
	v_and_b32_e32 v1, 0x7f, v27
	v_mov_b32_e32 v48, 0x7f800001
	s_mov_b32 s22, exec_lo
	v_cmpx_ne_u32_e32 0x7f, v1
	s_cbranch_execz .LBB355_1176
; %bb.1173:                             ;   in Loop: Header=BB355_15 Depth=1
	v_mov_b32_e32 v30, v28
	v_lshrrev_b32_e32 v0, 3, v1
	v_mov_b32_e32 v29, v27
	s_mov_b32 s23, exec_lo
	v_cmpx_gt_u32_e32 8, v1
; %bb.1174:                             ;   in Loop: Header=BB355_15 Depth=1
	v_and_b32_e32 v0, 7, v27
	v_ffbh_u32_e32 v0, v0
	v_min_u32_e32 v0, 32, v0
	v_subrev_nc_u32_e32 v1, 28, v0
	v_sub_nc_u32_e32 v0, 29, v0
	v_lshlrev_b64 v[29:30], v1, v[27:28]
; %bb.1175:                             ;   in Loop: Header=BB355_15 Depth=1
	s_or_b32 exec_lo, exec_lo, s23
	v_lshlrev_b32_e32 v1, 20, v29
	v_lshlrev_b32_e32 v6, 24, v27
	v_lshl_add_u32 v0, v0, 23, 0x3c000000
	v_and_b32_e32 v1, 0x700000, v1
	v_and_b32_e32 v6, 0x80000000, v6
	v_or3_b32 v48, v1, v6, v0
.LBB355_1176:                           ;   in Loop: Header=BB355_15 Depth=1
	s_or_b32 exec_lo, exec_lo, s22
.LBB355_1177:                           ;   in Loop: Header=BB355_15 Depth=1
	s_or_b32 exec_lo, exec_lo, s21
.LBB355_1178:                           ;   in Loop: Header=BB355_15 Depth=1
	s_or_b32 exec_lo, exec_lo, s20
	v_cmp_ne_u16_sdwa s5, v27, v14 src0_sel:BYTE_1 src1_sel:DWORD
	s_and_saveexec_b32 s20, s5
	s_cbranch_execz .LBB355_1186
; %bb.1179:                             ;   in Loop: Header=BB355_15 Depth=1
	v_cmp_ne_u16_sdwa s5, v27, v7 src0_sel:BYTE_1 src1_sel:DWORD
	v_bfrev_b32_e32 v46, 1
	s_and_saveexec_b32 s21, s5
	s_cbranch_execz .LBB355_1185
; %bb.1180:                             ;   in Loop: Header=BB355_15 Depth=1
	v_mov_b32_e32 v0, 0xffff
	v_mov_b32_e32 v46, 0x7f800001
	s_mov_b32 s22, exec_lo
	v_and_b32_sdwa v0, v0, v27 dst_sel:DWORD dst_unused:UNUSED_PAD src0_sel:DWORD src1_sel:BYTE_1
	v_and_b32_e32 v1, 0x7f, v0
	v_cmpx_ne_u32_e32 0x7f, v1
	s_cbranch_execz .LBB355_1184
; %bb.1181:                             ;   in Loop: Header=BB355_15 Depth=1
	v_and_b32_e32 v13, 7, v0
	v_mov_b32_e32 v30, v14
	v_lshrrev_b32_e32 v0, 3, v1
	s_mov_b32 s23, exec_lo
	v_mov_b32_e32 v29, v13
	v_cmpx_gt_u32_e32 8, v1
; %bb.1182:                             ;   in Loop: Header=BB355_15 Depth=1
	v_ffbh_u32_e32 v0, v13
	v_min_u32_e32 v0, 32, v0
	v_subrev_nc_u32_e32 v1, 28, v0
	v_sub_nc_u32_e32 v0, 29, v0
	v_lshlrev_b64 v[10:11], v1, v[13:14]
	v_and_b32_e32 v29, 7, v10
; %bb.1183:                             ;   in Loop: Header=BB355_15 Depth=1
	s_or_b32 exec_lo, exec_lo, s23
	v_lshlrev_b32_e32 v1, 16, v27
	v_lshlrev_b32_e32 v6, 20, v29
	v_lshl_add_u32 v0, v0, 23, 0x3c000000
	v_and_b32_e32 v1, 0x80000000, v1
	v_or3_b32 v46, v6, v1, v0
.LBB355_1184:                           ;   in Loop: Header=BB355_15 Depth=1
	s_or_b32 exec_lo, exec_lo, s22
.LBB355_1185:                           ;   in Loop: Header=BB355_15 Depth=1
	s_or_b32 exec_lo, exec_lo, s21
.LBB355_1186:                           ;   in Loop: Header=BB355_15 Depth=1
	s_or_b32 exec_lo, exec_lo, s20
	v_mov_b32_e32 v0, 0xff
	v_mov_b32_e32 v45, 0
	;; [unrolled: 1-line block ×3, first 2 shown]
	s_mov_b32 s20, exec_lo
	v_and_b32_sdwa v0, v27, v0 dst_sel:DWORD dst_unused:UNUSED_PAD src0_sel:WORD_1 src1_sel:DWORD
	v_cmpx_ne_u16_e32 0, v0
	s_cbranch_execz .LBB355_1194
; %bb.1187:                             ;   in Loop: Header=BB355_15 Depth=1
	v_bfrev_b32_e32 v112, 1
	s_mov_b32 s21, exec_lo
	v_cmpx_ne_u16_e32 0x80, v0
	s_cbranch_execz .LBB355_1193
; %bb.1188:                             ;   in Loop: Header=BB355_15 Depth=1
	v_bfe_u32 v1, v27, 16, 7
	v_mov_b32_e32 v112, 0x7f800001
	s_mov_b32 s22, exec_lo
	v_cmpx_ne_u32_e32 0x7f, v1
	s_cbranch_execz .LBB355_1192
; %bb.1189:                             ;   in Loop: Header=BB355_15 Depth=1
	v_mov_b32_e32 v0, 7
	s_mov_b32 s23, exec_lo
	v_and_b32_sdwa v13, v27, v0 dst_sel:DWORD dst_unused:UNUSED_PAD src0_sel:WORD_1 src1_sel:DWORD
	v_mov_b32_e32 v30, v14
	v_lshrrev_b32_e32 v0, 3, v1
	v_mov_b32_e32 v29, v13
	v_cmpx_gt_u32_e32 8, v1
; %bb.1190:                             ;   in Loop: Header=BB355_15 Depth=1
	v_ffbh_u32_e32 v0, v13
	v_min_u32_e32 v0, 32, v0
	v_subrev_nc_u32_e32 v1, 28, v0
	v_sub_nc_u32_e32 v0, 29, v0
	v_lshlrev_b64 v[10:11], v1, v[13:14]
	v_and_b32_e32 v29, 7, v10
; %bb.1191:                             ;   in Loop: Header=BB355_15 Depth=1
	s_or_b32 exec_lo, exec_lo, s23
	v_mov_b32_e32 v1, 24
	v_lshlrev_b32_e32 v6, 20, v29
	v_lshl_add_u32 v0, v0, 23, 0x3c000000
	v_lshlrev_b32_sdwa v1, v1, v27 dst_sel:DWORD dst_unused:UNUSED_PAD src0_sel:DWORD src1_sel:WORD_1
	v_and_b32_e32 v1, 0x80000000, v1
	v_or3_b32 v112, v6, v1, v0
.LBB355_1192:                           ;   in Loop: Header=BB355_15 Depth=1
	s_or_b32 exec_lo, exec_lo, s22
.LBB355_1193:                           ;   in Loop: Header=BB355_15 Depth=1
	s_or_b32 exec_lo, exec_lo, s21
.LBB355_1194:                           ;   in Loop: Header=BB355_15 Depth=1
	s_or_b32 exec_lo, exec_lo, s20
	s_mov_b32 s20, exec_lo
	v_cmpx_lt_u32_e32 0xffffff, v27
	s_cbranch_execz .LBB355_1202
; %bb.1195:                             ;   in Loop: Header=BB355_15 Depth=1
	v_cmp_ne_u32_sdwa s5, v27, v7 src0_sel:BYTE_3 src1_sel:DWORD
	v_bfrev_b32_e32 v45, 1
	s_and_saveexec_b32 s21, s5
	s_cbranch_execz .LBB355_1201
; %bb.1196:                             ;   in Loop: Header=BB355_15 Depth=1
	v_bfe_u32 v1, v27, 24, 7
	v_mov_b32_e32 v45, 0x7f800001
	s_mov_b32 s22, exec_lo
	v_cmpx_ne_u32_e32 0x7f, v1
	s_cbranch_execz .LBB355_1200
; %bb.1197:                             ;   in Loop: Header=BB355_15 Depth=1
	v_mov_b32_e32 v0, 7
	s_mov_b32 s23, exec_lo
	v_and_b32_sdwa v13, v27, v0 dst_sel:DWORD dst_unused:UNUSED_PAD src0_sel:BYTE_3 src1_sel:DWORD
	v_mov_b32_e32 v30, v14
	v_lshrrev_b32_e32 v0, 3, v1
	v_mov_b32_e32 v29, v13
	v_cmpx_gt_u32_e32 8, v1
; %bb.1198:                             ;   in Loop: Header=BB355_15 Depth=1
	v_ffbh_u32_e32 v0, v13
	v_min_u32_e32 v0, 32, v0
	v_subrev_nc_u32_e32 v1, 28, v0
	v_sub_nc_u32_e32 v0, 29, v0
	v_lshlrev_b64 v[10:11], v1, v[13:14]
	v_and_b32_e32 v29, 7, v10
; %bb.1199:                             ;   in Loop: Header=BB355_15 Depth=1
	s_or_b32 exec_lo, exec_lo, s23
	v_mov_b32_e32 v1, 24
	v_lshlrev_b32_e32 v6, 20, v29
	v_lshl_add_u32 v0, v0, 23, 0x3c000000
	v_lshlrev_b32_sdwa v1, v1, v27 dst_sel:DWORD dst_unused:UNUSED_PAD src0_sel:DWORD src1_sel:BYTE_3
	v_and_b32_e32 v1, 0x80000000, v1
	v_or3_b32 v45, v6, v1, v0
.LBB355_1200:                           ;   in Loop: Header=BB355_15 Depth=1
	s_or_b32 exec_lo, exec_lo, s22
.LBB355_1201:                           ;   in Loop: Header=BB355_15 Depth=1
	s_or_b32 exec_lo, exec_lo, s21
.LBB355_1202:                           ;   in Loop: Header=BB355_15 Depth=1
	s_or_b32 exec_lo, exec_lo, s20
	v_mov_b32_e32 v13, v28
	v_cmp_ne_u16_sdwa s5, v28, v14 src0_sel:BYTE_0 src1_sel:DWORD
	v_mov_b32_e32 v42, 0
	v_mov_b32_e32 v114, 0
	s_and_saveexec_b32 s20, s5
	s_cbranch_execz .LBB355_1210
; %bb.1203:                             ;   in Loop: Header=BB355_15 Depth=1
	v_cmp_ne_u16_sdwa s5, v28, v7 src0_sel:BYTE_0 src1_sel:DWORD
	v_bfrev_b32_e32 v114, 1
	s_and_saveexec_b32 s21, s5
	s_cbranch_execz .LBB355_1209
; %bb.1204:                             ;   in Loop: Header=BB355_15 Depth=1
	v_and_b32_e32 v1, 0x7f, v28
	v_mov_b32_e32 v114, 0x7f800001
	s_mov_b32 s22, exec_lo
	v_cmpx_ne_u32_e32 0x7f, v1
	s_cbranch_execz .LBB355_1208
; %bb.1205:                             ;   in Loop: Header=BB355_15 Depth=1
	v_mov_b32_e32 v30, v14
	v_mov_b32_e32 v29, v13
	v_lshrrev_b32_e32 v0, 3, v1
	s_mov_b32 s23, exec_lo
	v_cmpx_gt_u32_e32 8, v1
; %bb.1206:                             ;   in Loop: Header=BB355_15 Depth=1
	v_and_b32_e32 v0, 7, v28
	v_ffbh_u32_e32 v0, v0
	v_min_u32_e32 v0, 32, v0
	v_subrev_nc_u32_e32 v1, 28, v0
	v_sub_nc_u32_e32 v0, 29, v0
	v_lshlrev_b64 v[29:30], v1, v[13:14]
; %bb.1207:                             ;   in Loop: Header=BB355_15 Depth=1
	s_or_b32 exec_lo, exec_lo, s23
	v_lshlrev_b32_e32 v1, 20, v29
	v_lshlrev_b32_e32 v6, 24, v13
	v_lshl_add_u32 v0, v0, 23, 0x3c000000
	v_and_b32_e32 v1, 0x700000, v1
	v_and_b32_e32 v6, 0x80000000, v6
	v_or3_b32 v114, v1, v6, v0
.LBB355_1208:                           ;   in Loop: Header=BB355_15 Depth=1
	s_or_b32 exec_lo, exec_lo, s22
.LBB355_1209:                           ;   in Loop: Header=BB355_15 Depth=1
	s_or_b32 exec_lo, exec_lo, s21
.LBB355_1210:                           ;   in Loop: Header=BB355_15 Depth=1
	s_or_b32 exec_lo, exec_lo, s20
	v_cmp_ne_u16_sdwa s5, v13, v14 src0_sel:BYTE_1 src1_sel:DWORD
	s_and_saveexec_b32 s20, s5
	s_cbranch_execz .LBB355_1218
; %bb.1211:                             ;   in Loop: Header=BB355_15 Depth=1
	v_cmp_ne_u16_sdwa s5, v13, v7 src0_sel:BYTE_1 src1_sel:DWORD
	v_bfrev_b32_e32 v42, 1
	s_and_saveexec_b32 s21, s5
	s_cbranch_execz .LBB355_1217
; %bb.1212:                             ;   in Loop: Header=BB355_15 Depth=1
	v_mov_b32_e32 v0, 0xffff
	v_mov_b32_e32 v42, 0x7f800001
	s_mov_b32 s22, exec_lo
	v_and_b32_sdwa v0, v0, v13 dst_sel:DWORD dst_unused:UNUSED_PAD src0_sel:DWORD src1_sel:BYTE_1
	v_and_b32_e32 v1, 0x7f, v0
	v_cmpx_ne_u32_e32 0x7f, v1
	s_cbranch_execz .LBB355_1216
; %bb.1213:                             ;   in Loop: Header=BB355_15 Depth=1
	v_and_b32_e32 v29, 7, v0
	v_mov_b32_e32 v30, v14
	v_lshrrev_b32_e32 v0, 3, v1
	s_mov_b32 s23, exec_lo
	v_cmpx_gt_u32_e32 8, v1
; %bb.1214:                             ;   in Loop: Header=BB355_15 Depth=1
	v_ffbh_u32_e32 v0, v29
	v_min_u32_e32 v0, 32, v0
	v_subrev_nc_u32_e32 v1, 28, v0
	v_sub_nc_u32_e32 v0, 29, v0
	v_lshlrev_b64 v[10:11], v1, v[29:30]
	v_and_b32_e32 v29, 7, v10
; %bb.1215:                             ;   in Loop: Header=BB355_15 Depth=1
	s_or_b32 exec_lo, exec_lo, s23
	v_lshlrev_b32_e32 v1, 16, v13
	v_lshlrev_b32_e32 v6, 20, v29
	v_lshl_add_u32 v0, v0, 23, 0x3c000000
	v_and_b32_e32 v1, 0x80000000, v1
	v_or3_b32 v42, v6, v1, v0
.LBB355_1216:                           ;   in Loop: Header=BB355_15 Depth=1
	s_or_b32 exec_lo, exec_lo, s22
.LBB355_1217:                           ;   in Loop: Header=BB355_15 Depth=1
	s_or_b32 exec_lo, exec_lo, s21
.LBB355_1218:                           ;   in Loop: Header=BB355_15 Depth=1
	s_or_b32 exec_lo, exec_lo, s20
	v_mov_b32_e32 v0, 0xff
	v_mov_b32_e32 v11, 0
	;; [unrolled: 1-line block ×3, first 2 shown]
	s_mov_b32 s20, exec_lo
	v_and_b32_sdwa v0, v28, v0 dst_sel:DWORD dst_unused:UNUSED_PAD src0_sel:WORD_1 src1_sel:DWORD
	v_cmpx_ne_u16_e32 0, v0
	s_cbranch_execz .LBB355_1226
; %bb.1219:                             ;   in Loop: Header=BB355_15 Depth=1
	v_bfrev_b32_e32 v56, 1
	s_mov_b32 s21, exec_lo
	v_cmpx_ne_u16_e32 0x80, v0
	s_cbranch_execz .LBB355_1225
; %bb.1220:                             ;   in Loop: Header=BB355_15 Depth=1
	v_bfe_u32 v1, v28, 16, 7
	v_mov_b32_e32 v56, 0x7f800001
	s_mov_b32 s22, exec_lo
	v_cmpx_ne_u32_e32 0x7f, v1
	s_cbranch_execz .LBB355_1224
; %bb.1221:                             ;   in Loop: Header=BB355_15 Depth=1
	v_mov_b32_e32 v0, 7
	s_mov_b32 s23, exec_lo
	v_and_b32_sdwa v13, v28, v0 dst_sel:DWORD dst_unused:UNUSED_PAD src0_sel:WORD_1 src1_sel:DWORD
	v_mov_b32_e32 v30, v14
	v_lshrrev_b32_e32 v0, 3, v1
	v_mov_b32_e32 v29, v13
	v_cmpx_gt_u32_e32 8, v1
; %bb.1222:                             ;   in Loop: Header=BB355_15 Depth=1
	v_ffbh_u32_e32 v0, v13
	v_min_u32_e32 v0, 32, v0
	v_subrev_nc_u32_e32 v1, 28, v0
	v_sub_nc_u32_e32 v0, 29, v0
	v_lshlrev_b64 v[29:30], v1, v[13:14]
	v_and_b32_e32 v29, 7, v29
; %bb.1223:                             ;   in Loop: Header=BB355_15 Depth=1
	s_or_b32 exec_lo, exec_lo, s23
	v_mov_b32_e32 v1, 24
	v_lshlrev_b32_e32 v6, 20, v29
	v_lshl_add_u32 v0, v0, 23, 0x3c000000
	v_lshlrev_b32_sdwa v1, v1, v28 dst_sel:DWORD dst_unused:UNUSED_PAD src0_sel:DWORD src1_sel:WORD_1
	v_and_b32_e32 v1, 0x80000000, v1
	v_or3_b32 v56, v6, v1, v0
.LBB355_1224:                           ;   in Loop: Header=BB355_15 Depth=1
	s_or_b32 exec_lo, exec_lo, s22
.LBB355_1225:                           ;   in Loop: Header=BB355_15 Depth=1
	s_or_b32 exec_lo, exec_lo, s21
.LBB355_1226:                           ;   in Loop: Header=BB355_15 Depth=1
	s_or_b32 exec_lo, exec_lo, s20
	s_mov_b32 s20, exec_lo
	v_cmpx_lt_u64_e64 s[12:13], v[27:28]
	s_cbranch_execz .LBB355_1234
; %bb.1227:                             ;   in Loop: Header=BB355_15 Depth=1
	v_cmp_ne_u32_sdwa s5, v28, v7 src0_sel:BYTE_3 src1_sel:DWORD
	v_bfrev_b32_e32 v11, 1
	s_and_saveexec_b32 s21, s5
	s_cbranch_execz .LBB355_1233
; %bb.1228:                             ;   in Loop: Header=BB355_15 Depth=1
	v_bfe_u32 v1, v28, 24, 7
	v_mov_b32_e32 v11, 0x7f800001
	s_mov_b32 s22, exec_lo
	v_cmpx_ne_u32_e32 0x7f, v1
	s_cbranch_execz .LBB355_1232
; %bb.1229:                             ;   in Loop: Header=BB355_15 Depth=1
	v_mov_b32_e32 v0, 7
	s_mov_b32 s23, exec_lo
	v_and_b32_sdwa v13, v28, v0 dst_sel:DWORD dst_unused:UNUSED_PAD src0_sel:BYTE_3 src1_sel:DWORD
	v_mov_b32_e32 v30, v14
	v_lshrrev_b32_e32 v0, 3, v1
	v_mov_b32_e32 v29, v13
	v_cmpx_gt_u32_e32 8, v1
; %bb.1230:                             ;   in Loop: Header=BB355_15 Depth=1
	v_ffbh_u32_e32 v0, v13
	v_min_u32_e32 v0, 32, v0
	v_subrev_nc_u32_e32 v1, 28, v0
	v_sub_nc_u32_e32 v0, 29, v0
	v_lshlrev_b64 v[10:11], v1, v[13:14]
	v_and_b32_e32 v29, 7, v10
; %bb.1231:                             ;   in Loop: Header=BB355_15 Depth=1
	s_or_b32 exec_lo, exec_lo, s23
	v_mov_b32_e32 v1, 24
	v_lshlrev_b32_e32 v6, 20, v29
	v_lshl_add_u32 v0, v0, 23, 0x3c000000
	v_lshlrev_b32_sdwa v1, v1, v28 dst_sel:DWORD dst_unused:UNUSED_PAD src0_sel:DWORD src1_sel:BYTE_3
	v_and_b32_e32 v1, 0x80000000, v1
	v_or3_b32 v11, v6, v1, v0
.LBB355_1232:                           ;   in Loop: Header=BB355_15 Depth=1
	s_or_b32 exec_lo, exec_lo, s22
.LBB355_1233:                           ;   in Loop: Header=BB355_15 Depth=1
	s_or_b32 exec_lo, exec_lo, s21
.LBB355_1234:                           ;   in Loop: Header=BB355_15 Depth=1
	s_or_b32 exec_lo, exec_lo, s20
	flat_load_dwordx2 v[27:28], v[24:25] offset:520
	v_mov_b32_e32 v117, 0
	v_mov_b32_e32 v119, 0
	s_waitcnt vmcnt(0) lgkmcnt(0)
	v_cmp_ne_u16_sdwa s5, v27, v14 src0_sel:BYTE_0 src1_sel:DWORD
	s_and_saveexec_b32 s20, s5
	s_cbranch_execz .LBB355_1242
; %bb.1235:                             ;   in Loop: Header=BB355_15 Depth=1
	v_cmp_ne_u16_sdwa s5, v27, v7 src0_sel:BYTE_0 src1_sel:DWORD
	v_bfrev_b32_e32 v119, 1
	s_and_saveexec_b32 s21, s5
	s_cbranch_execz .LBB355_1241
; %bb.1236:                             ;   in Loop: Header=BB355_15 Depth=1
	v_and_b32_e32 v1, 0x7f, v27
	v_mov_b32_e32 v119, 0x7f800001
	s_mov_b32 s22, exec_lo
	v_cmpx_ne_u32_e32 0x7f, v1
	s_cbranch_execz .LBB355_1240
; %bb.1237:                             ;   in Loop: Header=BB355_15 Depth=1
	v_mov_b32_e32 v30, v28
	v_lshrrev_b32_e32 v0, 3, v1
	v_mov_b32_e32 v29, v27
	s_mov_b32 s23, exec_lo
	v_cmpx_gt_u32_e32 8, v1
; %bb.1238:                             ;   in Loop: Header=BB355_15 Depth=1
	v_and_b32_e32 v0, 7, v27
	v_ffbh_u32_e32 v0, v0
	v_min_u32_e32 v0, 32, v0
	v_subrev_nc_u32_e32 v1, 28, v0
	v_sub_nc_u32_e32 v0, 29, v0
	v_lshlrev_b64 v[29:30], v1, v[27:28]
; %bb.1239:                             ;   in Loop: Header=BB355_15 Depth=1
	s_or_b32 exec_lo, exec_lo, s23
	v_lshlrev_b32_e32 v1, 20, v29
	v_lshlrev_b32_e32 v6, 24, v27
	v_lshl_add_u32 v0, v0, 23, 0x3c000000
	v_and_b32_e32 v1, 0x700000, v1
	v_and_b32_e32 v6, 0x80000000, v6
	v_or3_b32 v119, v1, v6, v0
.LBB355_1240:                           ;   in Loop: Header=BB355_15 Depth=1
	s_or_b32 exec_lo, exec_lo, s22
.LBB355_1241:                           ;   in Loop: Header=BB355_15 Depth=1
	s_or_b32 exec_lo, exec_lo, s21
.LBB355_1242:                           ;   in Loop: Header=BB355_15 Depth=1
	s_or_b32 exec_lo, exec_lo, s20
	v_cmp_ne_u16_sdwa s5, v27, v14 src0_sel:BYTE_1 src1_sel:DWORD
	s_and_saveexec_b32 s20, s5
	s_cbranch_execz .LBB355_1250
; %bb.1243:                             ;   in Loop: Header=BB355_15 Depth=1
	v_cmp_ne_u16_sdwa s5, v27, v7 src0_sel:BYTE_1 src1_sel:DWORD
	v_bfrev_b32_e32 v117, 1
	s_and_saveexec_b32 s21, s5
	s_cbranch_execz .LBB355_1249
; %bb.1244:                             ;   in Loop: Header=BB355_15 Depth=1
	v_mov_b32_e32 v0, 0xffff
	v_mov_b32_e32 v117, 0x7f800001
	s_mov_b32 s22, exec_lo
	v_and_b32_sdwa v0, v0, v27 dst_sel:DWORD dst_unused:UNUSED_PAD src0_sel:DWORD src1_sel:BYTE_1
	v_and_b32_e32 v1, 0x7f, v0
	v_cmpx_ne_u32_e32 0x7f, v1
	s_cbranch_execz .LBB355_1248
; %bb.1245:                             ;   in Loop: Header=BB355_15 Depth=1
	v_and_b32_e32 v13, 7, v0
	v_mov_b32_e32 v30, v14
	v_lshrrev_b32_e32 v0, 3, v1
	s_mov_b32 s23, exec_lo
	v_mov_b32_e32 v29, v13
	v_cmpx_gt_u32_e32 8, v1
; %bb.1246:                             ;   in Loop: Header=BB355_15 Depth=1
	v_ffbh_u32_e32 v0, v13
	v_min_u32_e32 v0, 32, v0
	v_subrev_nc_u32_e32 v1, 28, v0
	v_sub_nc_u32_e32 v0, 29, v0
	v_lshlrev_b64 v[29:30], v1, v[13:14]
	v_and_b32_e32 v29, 7, v29
; %bb.1247:                             ;   in Loop: Header=BB355_15 Depth=1
	s_or_b32 exec_lo, exec_lo, s23
	v_lshlrev_b32_e32 v1, 16, v27
	v_lshlrev_b32_e32 v6, 20, v29
	v_lshl_add_u32 v0, v0, 23, 0x3c000000
	v_and_b32_e32 v1, 0x80000000, v1
	v_or3_b32 v117, v6, v1, v0
.LBB355_1248:                           ;   in Loop: Header=BB355_15 Depth=1
	s_or_b32 exec_lo, exec_lo, s22
.LBB355_1249:                           ;   in Loop: Header=BB355_15 Depth=1
	s_or_b32 exec_lo, exec_lo, s21
.LBB355_1250:                           ;   in Loop: Header=BB355_15 Depth=1
	s_or_b32 exec_lo, exec_lo, s20
	v_mov_b32_e32 v0, 0xff
	v_mov_b32_e32 v41, 0
	;; [unrolled: 1-line block ×3, first 2 shown]
	s_mov_b32 s20, exec_lo
	v_and_b32_sdwa v0, v27, v0 dst_sel:DWORD dst_unused:UNUSED_PAD src0_sel:WORD_1 src1_sel:DWORD
	v_cmpx_ne_u16_e32 0, v0
	s_cbranch_execz .LBB355_1258
; %bb.1251:                             ;   in Loop: Header=BB355_15 Depth=1
	v_bfrev_b32_e32 v40, 1
	s_mov_b32 s21, exec_lo
	v_cmpx_ne_u16_e32 0x80, v0
	s_cbranch_execz .LBB355_1257
; %bb.1252:                             ;   in Loop: Header=BB355_15 Depth=1
	v_bfe_u32 v1, v27, 16, 7
	v_mov_b32_e32 v40, 0x7f800001
	s_mov_b32 s22, exec_lo
	v_cmpx_ne_u32_e32 0x7f, v1
	s_cbranch_execz .LBB355_1256
; %bb.1253:                             ;   in Loop: Header=BB355_15 Depth=1
	v_mov_b32_e32 v0, 7
	s_mov_b32 s23, exec_lo
	v_and_b32_sdwa v13, v27, v0 dst_sel:DWORD dst_unused:UNUSED_PAD src0_sel:WORD_1 src1_sel:DWORD
	v_mov_b32_e32 v30, v14
	v_lshrrev_b32_e32 v0, 3, v1
	v_mov_b32_e32 v29, v13
	v_cmpx_gt_u32_e32 8, v1
; %bb.1254:                             ;   in Loop: Header=BB355_15 Depth=1
	v_ffbh_u32_e32 v0, v13
	v_min_u32_e32 v0, 32, v0
	v_subrev_nc_u32_e32 v1, 28, v0
	v_sub_nc_u32_e32 v0, 29, v0
	v_lshlrev_b64 v[29:30], v1, v[13:14]
	v_and_b32_e32 v29, 7, v29
; %bb.1255:                             ;   in Loop: Header=BB355_15 Depth=1
	s_or_b32 exec_lo, exec_lo, s23
	v_mov_b32_e32 v1, 24
	v_lshlrev_b32_e32 v6, 20, v29
	v_lshl_add_u32 v0, v0, 23, 0x3c000000
	v_lshlrev_b32_sdwa v1, v1, v27 dst_sel:DWORD dst_unused:UNUSED_PAD src0_sel:DWORD src1_sel:WORD_1
	v_and_b32_e32 v1, 0x80000000, v1
	v_or3_b32 v40, v6, v1, v0
.LBB355_1256:                           ;   in Loop: Header=BB355_15 Depth=1
	s_or_b32 exec_lo, exec_lo, s22
.LBB355_1257:                           ;   in Loop: Header=BB355_15 Depth=1
	s_or_b32 exec_lo, exec_lo, s21
.LBB355_1258:                           ;   in Loop: Header=BB355_15 Depth=1
	s_or_b32 exec_lo, exec_lo, s20
	s_mov_b32 s20, exec_lo
	v_cmpx_lt_u32_e32 0xffffff, v27
	s_cbranch_execz .LBB355_1266
; %bb.1259:                             ;   in Loop: Header=BB355_15 Depth=1
	v_cmp_ne_u32_sdwa s5, v27, v7 src0_sel:BYTE_3 src1_sel:DWORD
	v_bfrev_b32_e32 v41, 1
	s_and_saveexec_b32 s21, s5
	s_cbranch_execz .LBB355_1265
; %bb.1260:                             ;   in Loop: Header=BB355_15 Depth=1
	v_bfe_u32 v1, v27, 24, 7
	v_mov_b32_e32 v41, 0x7f800001
	s_mov_b32 s22, exec_lo
	v_cmpx_ne_u32_e32 0x7f, v1
	s_cbranch_execz .LBB355_1264
; %bb.1261:                             ;   in Loop: Header=BB355_15 Depth=1
	v_mov_b32_e32 v0, 7
	s_mov_b32 s23, exec_lo
	v_and_b32_sdwa v13, v27, v0 dst_sel:DWORD dst_unused:UNUSED_PAD src0_sel:BYTE_3 src1_sel:DWORD
	v_mov_b32_e32 v30, v14
	v_lshrrev_b32_e32 v0, 3, v1
	v_mov_b32_e32 v29, v13
	v_cmpx_gt_u32_e32 8, v1
; %bb.1262:                             ;   in Loop: Header=BB355_15 Depth=1
	v_ffbh_u32_e32 v0, v13
	v_min_u32_e32 v0, 32, v0
	v_subrev_nc_u32_e32 v1, 28, v0
	v_sub_nc_u32_e32 v0, 29, v0
	v_lshlrev_b64 v[29:30], v1, v[13:14]
	v_and_b32_e32 v29, 7, v29
; %bb.1263:                             ;   in Loop: Header=BB355_15 Depth=1
	s_or_b32 exec_lo, exec_lo, s23
	v_mov_b32_e32 v1, 24
	v_lshlrev_b32_e32 v6, 20, v29
	v_lshl_add_u32 v0, v0, 23, 0x3c000000
	v_lshlrev_b32_sdwa v1, v1, v27 dst_sel:DWORD dst_unused:UNUSED_PAD src0_sel:DWORD src1_sel:BYTE_3
	v_and_b32_e32 v1, 0x80000000, v1
	v_or3_b32 v41, v6, v1, v0
.LBB355_1264:                           ;   in Loop: Header=BB355_15 Depth=1
	s_or_b32 exec_lo, exec_lo, s22
.LBB355_1265:                           ;   in Loop: Header=BB355_15 Depth=1
	s_or_b32 exec_lo, exec_lo, s21
.LBB355_1266:                           ;   in Loop: Header=BB355_15 Depth=1
	s_or_b32 exec_lo, exec_lo, s20
	v_mov_b32_e32 v13, v28
	v_cmp_ne_u16_sdwa s5, v28, v14 src0_sel:BYTE_0 src1_sel:DWORD
	v_mov_b32_e32 v17, 0
	v_mov_b32_e32 v26, 0
	s_and_saveexec_b32 s20, s5
	s_cbranch_execz .LBB355_1274
; %bb.1267:                             ;   in Loop: Header=BB355_15 Depth=1
	v_cmp_ne_u16_sdwa s5, v28, v7 src0_sel:BYTE_0 src1_sel:DWORD
	v_bfrev_b32_e32 v26, 1
	s_and_saveexec_b32 s21, s5
	s_cbranch_execz .LBB355_1273
; %bb.1268:                             ;   in Loop: Header=BB355_15 Depth=1
	v_and_b32_e32 v1, 0x7f, v28
	v_mov_b32_e32 v26, 0x7f800001
	s_mov_b32 s22, exec_lo
	v_cmpx_ne_u32_e32 0x7f, v1
	s_cbranch_execz .LBB355_1272
; %bb.1269:                             ;   in Loop: Header=BB355_15 Depth=1
	v_mov_b32_e32 v30, v14
	v_mov_b32_e32 v29, v13
	v_lshrrev_b32_e32 v0, 3, v1
	s_mov_b32 s23, exec_lo
	v_cmpx_gt_u32_e32 8, v1
; %bb.1270:                             ;   in Loop: Header=BB355_15 Depth=1
	v_and_b32_e32 v0, 7, v28
	v_ffbh_u32_e32 v0, v0
	v_min_u32_e32 v0, 32, v0
	v_subrev_nc_u32_e32 v1, 28, v0
	v_sub_nc_u32_e32 v0, 29, v0
	v_lshlrev_b64 v[29:30], v1, v[13:14]
; %bb.1271:                             ;   in Loop: Header=BB355_15 Depth=1
	s_or_b32 exec_lo, exec_lo, s23
	v_lshlrev_b32_e32 v1, 20, v29
	v_lshlrev_b32_e32 v6, 24, v13
	v_lshl_add_u32 v0, v0, 23, 0x3c000000
	v_and_b32_e32 v1, 0x700000, v1
	v_and_b32_e32 v6, 0x80000000, v6
	v_or3_b32 v26, v1, v6, v0
.LBB355_1272:                           ;   in Loop: Header=BB355_15 Depth=1
	s_or_b32 exec_lo, exec_lo, s22
.LBB355_1273:                           ;   in Loop: Header=BB355_15 Depth=1
	s_or_b32 exec_lo, exec_lo, s21
.LBB355_1274:                           ;   in Loop: Header=BB355_15 Depth=1
	s_or_b32 exec_lo, exec_lo, s20
	v_cmp_ne_u16_sdwa s5, v13, v14 src0_sel:BYTE_1 src1_sel:DWORD
	s_and_saveexec_b32 s20, s5
	s_cbranch_execz .LBB355_1282
; %bb.1275:                             ;   in Loop: Header=BB355_15 Depth=1
	v_cmp_ne_u16_sdwa s5, v13, v7 src0_sel:BYTE_1 src1_sel:DWORD
	v_bfrev_b32_e32 v17, 1
	s_and_saveexec_b32 s21, s5
	s_cbranch_execz .LBB355_1281
; %bb.1276:                             ;   in Loop: Header=BB355_15 Depth=1
	v_mov_b32_e32 v0, 0xffff
	v_mov_b32_e32 v17, 0x7f800001
	s_mov_b32 s22, exec_lo
	v_and_b32_sdwa v0, v0, v13 dst_sel:DWORD dst_unused:UNUSED_PAD src0_sel:DWORD src1_sel:BYTE_1
	v_and_b32_e32 v1, 0x7f, v0
	v_cmpx_ne_u32_e32 0x7f, v1
	s_cbranch_execz .LBB355_1280
; %bb.1277:                             ;   in Loop: Header=BB355_15 Depth=1
	v_and_b32_e32 v29, 7, v0
	v_mov_b32_e32 v30, v14
	v_lshrrev_b32_e32 v0, 3, v1
	s_mov_b32 s23, exec_lo
	v_cmpx_gt_u32_e32 8, v1
; %bb.1278:                             ;   in Loop: Header=BB355_15 Depth=1
	v_ffbh_u32_e32 v0, v29
	v_min_u32_e32 v0, 32, v0
	v_subrev_nc_u32_e32 v1, 28, v0
	v_sub_nc_u32_e32 v0, 29, v0
	v_lshlrev_b64 v[29:30], v1, v[29:30]
	v_and_b32_e32 v29, 7, v29
; %bb.1279:                             ;   in Loop: Header=BB355_15 Depth=1
	s_or_b32 exec_lo, exec_lo, s23
	v_lshlrev_b32_e32 v1, 16, v13
	v_lshlrev_b32_e32 v6, 20, v29
	v_lshl_add_u32 v0, v0, 23, 0x3c000000
	v_and_b32_e32 v1, 0x80000000, v1
	v_or3_b32 v17, v6, v1, v0
.LBB355_1280:                           ;   in Loop: Header=BB355_15 Depth=1
	s_or_b32 exec_lo, exec_lo, s22
.LBB355_1281:                           ;   in Loop: Header=BB355_15 Depth=1
	s_or_b32 exec_lo, exec_lo, s21
.LBB355_1282:                           ;   in Loop: Header=BB355_15 Depth=1
	s_or_b32 exec_lo, exec_lo, s20
	v_mov_b32_e32 v0, 0xff
	v_mov_b32_e32 v118, 0
	;; [unrolled: 1-line block ×3, first 2 shown]
	s_mov_b32 s20, exec_lo
	v_and_b32_sdwa v0, v28, v0 dst_sel:DWORD dst_unused:UNUSED_PAD src0_sel:WORD_1 src1_sel:DWORD
	v_cmpx_ne_u16_e32 0, v0
	s_cbranch_execz .LBB355_1290
; %bb.1283:                             ;   in Loop: Header=BB355_15 Depth=1
	v_bfrev_b32_e32 v115, 1
	s_mov_b32 s21, exec_lo
	v_cmpx_ne_u16_e32 0x80, v0
	s_cbranch_execz .LBB355_1289
; %bb.1284:                             ;   in Loop: Header=BB355_15 Depth=1
	v_bfe_u32 v1, v28, 16, 7
	v_mov_b32_e32 v115, 0x7f800001
	s_mov_b32 s22, exec_lo
	v_cmpx_ne_u32_e32 0x7f, v1
	s_cbranch_execz .LBB355_1288
; %bb.1285:                             ;   in Loop: Header=BB355_15 Depth=1
	v_mov_b32_e32 v0, 7
	s_mov_b32 s23, exec_lo
	v_and_b32_sdwa v13, v28, v0 dst_sel:DWORD dst_unused:UNUSED_PAD src0_sel:WORD_1 src1_sel:DWORD
	v_mov_b32_e32 v30, v14
	v_lshrrev_b32_e32 v0, 3, v1
	v_mov_b32_e32 v29, v13
	v_cmpx_gt_u32_e32 8, v1
; %bb.1286:                             ;   in Loop: Header=BB355_15 Depth=1
	v_ffbh_u32_e32 v0, v13
	v_min_u32_e32 v0, 32, v0
	v_subrev_nc_u32_e32 v1, 28, v0
	v_sub_nc_u32_e32 v0, 29, v0
	v_lshlrev_b64 v[29:30], v1, v[13:14]
	v_and_b32_e32 v29, 7, v29
; %bb.1287:                             ;   in Loop: Header=BB355_15 Depth=1
	s_or_b32 exec_lo, exec_lo, s23
	v_mov_b32_e32 v1, 24
	v_lshlrev_b32_e32 v6, 20, v29
	v_lshl_add_u32 v0, v0, 23, 0x3c000000
	v_lshlrev_b32_sdwa v1, v1, v28 dst_sel:DWORD dst_unused:UNUSED_PAD src0_sel:DWORD src1_sel:WORD_1
	v_and_b32_e32 v1, 0x80000000, v1
	v_or3_b32 v115, v6, v1, v0
.LBB355_1288:                           ;   in Loop: Header=BB355_15 Depth=1
	s_or_b32 exec_lo, exec_lo, s22
.LBB355_1289:                           ;   in Loop: Header=BB355_15 Depth=1
	s_or_b32 exec_lo, exec_lo, s21
.LBB355_1290:                           ;   in Loop: Header=BB355_15 Depth=1
	s_or_b32 exec_lo, exec_lo, s20
	s_mov_b32 s20, exec_lo
	v_cmpx_lt_u64_e64 s[12:13], v[27:28]
	s_cbranch_execz .LBB355_1298
; %bb.1291:                             ;   in Loop: Header=BB355_15 Depth=1
	v_cmp_ne_u32_sdwa s5, v28, v7 src0_sel:BYTE_3 src1_sel:DWORD
	v_bfrev_b32_e32 v118, 1
	s_and_saveexec_b32 s21, s5
	s_cbranch_execz .LBB355_1297
; %bb.1292:                             ;   in Loop: Header=BB355_15 Depth=1
	v_bfe_u32 v1, v28, 24, 7
	v_mov_b32_e32 v118, 0x7f800001
	s_mov_b32 s22, exec_lo
	v_cmpx_ne_u32_e32 0x7f, v1
	s_cbranch_execz .LBB355_1296
; %bb.1293:                             ;   in Loop: Header=BB355_15 Depth=1
	v_mov_b32_e32 v0, 7
	s_mov_b32 s23, exec_lo
	v_and_b32_sdwa v13, v28, v0 dst_sel:DWORD dst_unused:UNUSED_PAD src0_sel:BYTE_3 src1_sel:DWORD
	v_mov_b32_e32 v30, v14
	v_lshrrev_b32_e32 v0, 3, v1
	v_mov_b32_e32 v29, v13
	v_cmpx_gt_u32_e32 8, v1
; %bb.1294:                             ;   in Loop: Header=BB355_15 Depth=1
	v_ffbh_u32_e32 v0, v13
	v_min_u32_e32 v0, 32, v0
	v_subrev_nc_u32_e32 v1, 28, v0
	v_sub_nc_u32_e32 v0, 29, v0
	v_lshlrev_b64 v[29:30], v1, v[13:14]
	v_and_b32_e32 v29, 7, v29
; %bb.1295:                             ;   in Loop: Header=BB355_15 Depth=1
	s_or_b32 exec_lo, exec_lo, s23
	v_mov_b32_e32 v1, 24
	v_lshlrev_b32_e32 v6, 20, v29
	v_lshl_add_u32 v0, v0, 23, 0x3c000000
	v_lshlrev_b32_sdwa v1, v1, v28 dst_sel:DWORD dst_unused:UNUSED_PAD src0_sel:DWORD src1_sel:BYTE_3
	v_and_b32_e32 v1, 0x80000000, v1
	v_or3_b32 v118, v6, v1, v0
.LBB355_1296:                           ;   in Loop: Header=BB355_15 Depth=1
	s_or_b32 exec_lo, exec_lo, s22
.LBB355_1297:                           ;   in Loop: Header=BB355_15 Depth=1
	s_or_b32 exec_lo, exec_lo, s21
.LBB355_1298:                           ;   in Loop: Header=BB355_15 Depth=1
	s_or_b32 exec_lo, exec_lo, s20
	flat_load_dwordx2 v[27:28], v[24:25] offset:1024
	v_mov_b32_e32 v1, 0
	v_mov_b32_e32 v0, 0
	s_waitcnt vmcnt(0) lgkmcnt(0)
	v_cmp_ne_u16_sdwa s5, v27, v14 src0_sel:BYTE_0 src1_sel:DWORD
	s_and_saveexec_b32 s20, s5
	s_cbranch_execz .LBB355_1306
; %bb.1299:                             ;   in Loop: Header=BB355_15 Depth=1
	v_cmp_ne_u16_sdwa s5, v27, v7 src0_sel:BYTE_0 src1_sel:DWORD
	v_bfrev_b32_e32 v0, 1
	s_and_saveexec_b32 s21, s5
	s_cbranch_execz .LBB355_1305
; %bb.1300:                             ;   in Loop: Header=BB355_15 Depth=1
	v_and_b32_e32 v6, 0x7f, v27
	v_mov_b32_e32 v0, 0x7f800001
	s_mov_b32 s22, exec_lo
	v_cmpx_ne_u32_e32 0x7f, v6
	s_cbranch_execz .LBB355_1304
; %bb.1301:                             ;   in Loop: Header=BB355_15 Depth=1
	v_mov_b32_e32 v30, v28
	v_lshrrev_b32_e32 v0, 3, v6
	v_mov_b32_e32 v29, v27
	s_mov_b32 s23, exec_lo
	v_cmpx_gt_u32_e32 8, v6
; %bb.1302:                             ;   in Loop: Header=BB355_15 Depth=1
	v_and_b32_e32 v0, 7, v27
	v_ffbh_u32_e32 v0, v0
	v_min_u32_e32 v0, 32, v0
	v_subrev_nc_u32_e32 v6, 28, v0
	v_sub_nc_u32_e32 v0, 29, v0
	v_lshlrev_b64 v[29:30], v6, v[27:28]
; %bb.1303:                             ;   in Loop: Header=BB355_15 Depth=1
	s_or_b32 exec_lo, exec_lo, s23
	v_lshlrev_b32_e32 v6, 20, v29
	v_lshlrev_b32_e32 v10, 24, v27
	v_lshl_add_u32 v0, v0, 23, 0x3c000000
	v_and_b32_e32 v6, 0x700000, v6
	v_and_b32_e32 v10, 0x80000000, v10
	v_or3_b32 v0, v6, v10, v0
.LBB355_1304:                           ;   in Loop: Header=BB355_15 Depth=1
	s_or_b32 exec_lo, exec_lo, s22
.LBB355_1305:                           ;   in Loop: Header=BB355_15 Depth=1
	s_or_b32 exec_lo, exec_lo, s21
.LBB355_1306:                           ;   in Loop: Header=BB355_15 Depth=1
	s_or_b32 exec_lo, exec_lo, s20
	v_cmp_ne_u16_sdwa s5, v27, v14 src0_sel:BYTE_1 src1_sel:DWORD
	s_and_saveexec_b32 s20, s5
	s_cbranch_execz .LBB355_1314
; %bb.1307:                             ;   in Loop: Header=BB355_15 Depth=1
	v_cmp_ne_u16_sdwa s5, v27, v7 src0_sel:BYTE_1 src1_sel:DWORD
	v_bfrev_b32_e32 v1, 1
	s_and_saveexec_b32 s21, s5
	s_cbranch_execz .LBB355_1313
; %bb.1308:                             ;   in Loop: Header=BB355_15 Depth=1
	v_mov_b32_e32 v1, 0xffff
	s_mov_b32 s22, exec_lo
	v_and_b32_sdwa v10, v1, v27 dst_sel:DWORD dst_unused:UNUSED_PAD src0_sel:DWORD src1_sel:BYTE_1
	v_mov_b32_e32 v1, 0x7f800001
	v_and_b32_e32 v6, 0x7f, v10
	v_cmpx_ne_u32_e32 0x7f, v6
	s_cbranch_execz .LBB355_1312
; %bb.1309:                             ;   in Loop: Header=BB355_15 Depth=1
	v_and_b32_e32 v13, 7, v10
	v_mov_b32_e32 v30, v14
	v_lshrrev_b32_e32 v1, 3, v6
	s_mov_b32 s23, exec_lo
	v_mov_b32_e32 v29, v13
	v_cmpx_gt_u32_e32 8, v6
; %bb.1310:                             ;   in Loop: Header=BB355_15 Depth=1
	v_ffbh_u32_e32 v1, v13
	v_min_u32_e32 v1, 32, v1
	v_subrev_nc_u32_e32 v6, 28, v1
	v_sub_nc_u32_e32 v1, 29, v1
	v_lshlrev_b64 v[29:30], v6, v[13:14]
	v_and_b32_e32 v29, 7, v29
; %bb.1311:                             ;   in Loop: Header=BB355_15 Depth=1
	s_or_b32 exec_lo, exec_lo, s23
	v_lshlrev_b32_e32 v6, 16, v27
	v_lshlrev_b32_e32 v10, 20, v29
	v_lshl_add_u32 v1, v1, 23, 0x3c000000
	v_and_b32_e32 v6, 0x80000000, v6
	v_or3_b32 v1, v10, v6, v1
.LBB355_1312:                           ;   in Loop: Header=BB355_15 Depth=1
	s_or_b32 exec_lo, exec_lo, s22
.LBB355_1313:                           ;   in Loop: Header=BB355_15 Depth=1
	s_or_b32 exec_lo, exec_lo, s21
.LBB355_1314:                           ;   in Loop: Header=BB355_15 Depth=1
	s_or_b32 exec_lo, exec_lo, s20
	v_mov_b32_e32 v6, 0xff
	v_mov_b32_e32 v43, 0
	;; [unrolled: 1-line block ×3, first 2 shown]
	s_mov_b32 s20, exec_lo
	v_and_b32_sdwa v6, v27, v6 dst_sel:DWORD dst_unused:UNUSED_PAD src0_sel:WORD_1 src1_sel:DWORD
	v_cmpx_ne_u16_e32 0, v6
	s_cbranch_execz .LBB355_1322
; %bb.1315:                             ;   in Loop: Header=BB355_15 Depth=1
	v_bfrev_b32_e32 v113, 1
	s_mov_b32 s21, exec_lo
	v_cmpx_ne_u16_e32 0x80, v6
	s_cbranch_execz .LBB355_1321
; %bb.1316:                             ;   in Loop: Header=BB355_15 Depth=1
	v_bfe_u32 v10, v27, 16, 7
	v_mov_b32_e32 v113, 0x7f800001
	s_mov_b32 s22, exec_lo
	v_cmpx_ne_u32_e32 0x7f, v10
	s_cbranch_execz .LBB355_1320
; %bb.1317:                             ;   in Loop: Header=BB355_15 Depth=1
	v_mov_b32_e32 v6, 7
	s_mov_b32 s23, exec_lo
	v_and_b32_sdwa v13, v27, v6 dst_sel:DWORD dst_unused:UNUSED_PAD src0_sel:WORD_1 src1_sel:DWORD
	v_mov_b32_e32 v30, v14
	v_lshrrev_b32_e32 v6, 3, v10
	v_mov_b32_e32 v29, v13
	v_cmpx_gt_u32_e32 8, v10
; %bb.1318:                             ;   in Loop: Header=BB355_15 Depth=1
	v_ffbh_u32_e32 v6, v13
	v_min_u32_e32 v6, 32, v6
	v_subrev_nc_u32_e32 v10, 28, v6
	v_sub_nc_u32_e32 v6, 29, v6
	v_lshlrev_b64 v[29:30], v10, v[13:14]
	v_and_b32_e32 v29, 7, v29
; %bb.1319:                             ;   in Loop: Header=BB355_15 Depth=1
	s_or_b32 exec_lo, exec_lo, s23
	v_mov_b32_e32 v10, 24
	v_lshlrev_b32_e32 v13, 20, v29
	v_lshl_add_u32 v6, v6, 23, 0x3c000000
	v_lshlrev_b32_sdwa v10, v10, v27 dst_sel:DWORD dst_unused:UNUSED_PAD src0_sel:DWORD src1_sel:WORD_1
	v_and_b32_e32 v10, 0x80000000, v10
	v_or3_b32 v113, v13, v10, v6
.LBB355_1320:                           ;   in Loop: Header=BB355_15 Depth=1
	s_or_b32 exec_lo, exec_lo, s22
.LBB355_1321:                           ;   in Loop: Header=BB355_15 Depth=1
	s_or_b32 exec_lo, exec_lo, s21
.LBB355_1322:                           ;   in Loop: Header=BB355_15 Depth=1
	s_or_b32 exec_lo, exec_lo, s20
	s_mov_b32 s20, exec_lo
	v_cmpx_lt_u32_e32 0xffffff, v27
	s_cbranch_execz .LBB355_1330
; %bb.1323:                             ;   in Loop: Header=BB355_15 Depth=1
	v_cmp_ne_u32_sdwa s5, v27, v7 src0_sel:BYTE_3 src1_sel:DWORD
	v_bfrev_b32_e32 v43, 1
	s_and_saveexec_b32 s21, s5
	s_cbranch_execz .LBB355_1329
; %bb.1324:                             ;   in Loop: Header=BB355_15 Depth=1
	v_bfe_u32 v10, v27, 24, 7
	v_mov_b32_e32 v43, 0x7f800001
	s_mov_b32 s22, exec_lo
	v_cmpx_ne_u32_e32 0x7f, v10
	s_cbranch_execz .LBB355_1328
; %bb.1325:                             ;   in Loop: Header=BB355_15 Depth=1
	v_mov_b32_e32 v6, 7
	s_mov_b32 s23, exec_lo
	v_and_b32_sdwa v13, v27, v6 dst_sel:DWORD dst_unused:UNUSED_PAD src0_sel:BYTE_3 src1_sel:DWORD
	v_mov_b32_e32 v30, v14
	v_lshrrev_b32_e32 v6, 3, v10
	v_mov_b32_e32 v29, v13
	v_cmpx_gt_u32_e32 8, v10
; %bb.1326:                             ;   in Loop: Header=BB355_15 Depth=1
	v_ffbh_u32_e32 v6, v13
	v_min_u32_e32 v6, 32, v6
	v_subrev_nc_u32_e32 v10, 28, v6
	v_sub_nc_u32_e32 v6, 29, v6
	v_lshlrev_b64 v[29:30], v10, v[13:14]
	v_and_b32_e32 v29, 7, v29
; %bb.1327:                             ;   in Loop: Header=BB355_15 Depth=1
	s_or_b32 exec_lo, exec_lo, s23
	v_mov_b32_e32 v10, 24
	v_lshlrev_b32_e32 v13, 20, v29
	v_lshl_add_u32 v6, v6, 23, 0x3c000000
	v_lshlrev_b32_sdwa v10, v10, v27 dst_sel:DWORD dst_unused:UNUSED_PAD src0_sel:DWORD src1_sel:BYTE_3
	v_and_b32_e32 v10, 0x80000000, v10
	v_or3_b32 v43, v13, v10, v6
.LBB355_1328:                           ;   in Loop: Header=BB355_15 Depth=1
	s_or_b32 exec_lo, exec_lo, s22
.LBB355_1329:                           ;   in Loop: Header=BB355_15 Depth=1
	s_or_b32 exec_lo, exec_lo, s21
.LBB355_1330:                           ;   in Loop: Header=BB355_15 Depth=1
	s_or_b32 exec_lo, exec_lo, s20
	v_mov_b32_e32 v13, v28
	v_cmp_ne_u16_sdwa s5, v28, v14 src0_sel:BYTE_0 src1_sel:DWORD
	v_mov_b32_e32 v100, 0
	v_mov_b32_e32 v87, 0
	s_and_saveexec_b32 s20, s5
	s_cbranch_execz .LBB355_1338
; %bb.1331:                             ;   in Loop: Header=BB355_15 Depth=1
	v_cmp_ne_u16_sdwa s5, v28, v7 src0_sel:BYTE_0 src1_sel:DWORD
	v_bfrev_b32_e32 v87, 1
	s_and_saveexec_b32 s21, s5
	s_cbranch_execz .LBB355_1337
; %bb.1332:                             ;   in Loop: Header=BB355_15 Depth=1
	v_and_b32_e32 v10, 0x7f, v28
	v_mov_b32_e32 v87, 0x7f800001
	s_mov_b32 s22, exec_lo
	v_cmpx_ne_u32_e32 0x7f, v10
	s_cbranch_execz .LBB355_1336
; %bb.1333:                             ;   in Loop: Header=BB355_15 Depth=1
	v_mov_b32_e32 v30, v14
	v_mov_b32_e32 v29, v13
	v_lshrrev_b32_e32 v6, 3, v10
	s_mov_b32 s23, exec_lo
	v_cmpx_gt_u32_e32 8, v10
; %bb.1334:                             ;   in Loop: Header=BB355_15 Depth=1
	v_and_b32_e32 v6, 7, v28
	v_ffbh_u32_e32 v6, v6
	v_min_u32_e32 v6, 32, v6
	v_subrev_nc_u32_e32 v10, 28, v6
	v_sub_nc_u32_e32 v6, 29, v6
	v_lshlrev_b64 v[29:30], v10, v[13:14]
; %bb.1335:                             ;   in Loop: Header=BB355_15 Depth=1
	s_or_b32 exec_lo, exec_lo, s23
	v_lshlrev_b32_e32 v10, 20, v29
	v_lshlrev_b32_e32 v29, 24, v13
	v_lshl_add_u32 v6, v6, 23, 0x3c000000
	v_and_b32_e32 v10, 0x700000, v10
	v_and_b32_e32 v29, 0x80000000, v29
	v_or3_b32 v87, v10, v29, v6
.LBB355_1336:                           ;   in Loop: Header=BB355_15 Depth=1
	s_or_b32 exec_lo, exec_lo, s22
.LBB355_1337:                           ;   in Loop: Header=BB355_15 Depth=1
	s_or_b32 exec_lo, exec_lo, s21
.LBB355_1338:                           ;   in Loop: Header=BB355_15 Depth=1
	s_or_b32 exec_lo, exec_lo, s20
	v_cmp_ne_u16_sdwa s5, v13, v14 src0_sel:BYTE_1 src1_sel:DWORD
	s_and_saveexec_b32 s20, s5
	s_cbranch_execz .LBB355_1346
; %bb.1339:                             ;   in Loop: Header=BB355_15 Depth=1
	v_cmp_ne_u16_sdwa s5, v13, v7 src0_sel:BYTE_1 src1_sel:DWORD
	v_bfrev_b32_e32 v100, 1
	s_and_saveexec_b32 s21, s5
	s_cbranch_execz .LBB355_1345
; %bb.1340:                             ;   in Loop: Header=BB355_15 Depth=1
	v_mov_b32_e32 v6, 0xffff
	v_mov_b32_e32 v100, 0x7f800001
	s_mov_b32 s22, exec_lo
	v_and_b32_sdwa v6, v6, v13 dst_sel:DWORD dst_unused:UNUSED_PAD src0_sel:DWORD src1_sel:BYTE_1
	v_and_b32_e32 v10, 0x7f, v6
	v_cmpx_ne_u32_e32 0x7f, v10
	s_cbranch_execz .LBB355_1344
; %bb.1341:                             ;   in Loop: Header=BB355_15 Depth=1
	v_and_b32_e32 v29, 7, v6
	v_mov_b32_e32 v30, v14
	v_lshrrev_b32_e32 v6, 3, v10
	s_mov_b32 s23, exec_lo
	v_cmpx_gt_u32_e32 8, v10
; %bb.1342:                             ;   in Loop: Header=BB355_15 Depth=1
	v_ffbh_u32_e32 v6, v29
	v_min_u32_e32 v6, 32, v6
	v_subrev_nc_u32_e32 v10, 28, v6
	v_sub_nc_u32_e32 v6, 29, v6
	v_lshlrev_b64 v[29:30], v10, v[29:30]
	v_and_b32_e32 v29, 7, v29
; %bb.1343:                             ;   in Loop: Header=BB355_15 Depth=1
	s_or_b32 exec_lo, exec_lo, s23
	v_lshlrev_b32_e32 v10, 16, v13
	v_lshlrev_b32_e32 v13, 20, v29
	v_lshl_add_u32 v6, v6, 23, 0x3c000000
	v_and_b32_e32 v10, 0x80000000, v10
	v_or3_b32 v100, v13, v10, v6
.LBB355_1344:                           ;   in Loop: Header=BB355_15 Depth=1
	s_or_b32 exec_lo, exec_lo, s22
.LBB355_1345:                           ;   in Loop: Header=BB355_15 Depth=1
	s_or_b32 exec_lo, exec_lo, s21
.LBB355_1346:                           ;   in Loop: Header=BB355_15 Depth=1
	s_or_b32 exec_lo, exec_lo, s20
	v_mov_b32_e32 v6, 0xff
	v_mov_b32_e32 v81, 0
	;; [unrolled: 1-line block ×3, first 2 shown]
	s_mov_b32 s20, exec_lo
	v_and_b32_sdwa v6, v28, v6 dst_sel:DWORD dst_unused:UNUSED_PAD src0_sel:WORD_1 src1_sel:DWORD
	v_cmpx_ne_u16_e32 0, v6
	s_cbranch_execz .LBB355_1354
; %bb.1347:                             ;   in Loop: Header=BB355_15 Depth=1
	v_bfrev_b32_e32 v80, 1
	s_mov_b32 s21, exec_lo
	v_cmpx_ne_u16_e32 0x80, v6
	s_cbranch_execz .LBB355_1353
; %bb.1348:                             ;   in Loop: Header=BB355_15 Depth=1
	v_bfe_u32 v10, v28, 16, 7
	v_mov_b32_e32 v80, 0x7f800001
	s_mov_b32 s22, exec_lo
	v_cmpx_ne_u32_e32 0x7f, v10
	s_cbranch_execz .LBB355_1352
; %bb.1349:                             ;   in Loop: Header=BB355_15 Depth=1
	v_mov_b32_e32 v6, 7
	s_mov_b32 s23, exec_lo
	v_and_b32_sdwa v13, v28, v6 dst_sel:DWORD dst_unused:UNUSED_PAD src0_sel:WORD_1 src1_sel:DWORD
	v_mov_b32_e32 v30, v14
	v_lshrrev_b32_e32 v6, 3, v10
	v_mov_b32_e32 v29, v13
	v_cmpx_gt_u32_e32 8, v10
; %bb.1350:                             ;   in Loop: Header=BB355_15 Depth=1
	v_ffbh_u32_e32 v6, v13
	v_min_u32_e32 v6, 32, v6
	v_subrev_nc_u32_e32 v10, 28, v6
	v_sub_nc_u32_e32 v6, 29, v6
	v_lshlrev_b64 v[29:30], v10, v[13:14]
	v_and_b32_e32 v29, 7, v29
; %bb.1351:                             ;   in Loop: Header=BB355_15 Depth=1
	s_or_b32 exec_lo, exec_lo, s23
	v_mov_b32_e32 v10, 24
	v_lshlrev_b32_e32 v13, 20, v29
	v_lshl_add_u32 v6, v6, 23, 0x3c000000
	v_lshlrev_b32_sdwa v10, v10, v28 dst_sel:DWORD dst_unused:UNUSED_PAD src0_sel:DWORD src1_sel:WORD_1
	v_and_b32_e32 v10, 0x80000000, v10
	v_or3_b32 v80, v13, v10, v6
.LBB355_1352:                           ;   in Loop: Header=BB355_15 Depth=1
	s_or_b32 exec_lo, exec_lo, s22
.LBB355_1353:                           ;   in Loop: Header=BB355_15 Depth=1
	s_or_b32 exec_lo, exec_lo, s21
.LBB355_1354:                           ;   in Loop: Header=BB355_15 Depth=1
	s_or_b32 exec_lo, exec_lo, s20
	s_mov_b32 s20, exec_lo
	v_cmpx_lt_u64_e64 s[12:13], v[27:28]
	s_cbranch_execz .LBB355_1362
; %bb.1355:                             ;   in Loop: Header=BB355_15 Depth=1
	v_cmp_ne_u32_sdwa s5, v28, v7 src0_sel:BYTE_3 src1_sel:DWORD
	v_bfrev_b32_e32 v81, 1
	s_and_saveexec_b32 s21, s5
	s_cbranch_execz .LBB355_1361
; %bb.1356:                             ;   in Loop: Header=BB355_15 Depth=1
	v_bfe_u32 v10, v28, 24, 7
	v_mov_b32_e32 v81, 0x7f800001
	s_mov_b32 s22, exec_lo
	v_cmpx_ne_u32_e32 0x7f, v10
	s_cbranch_execz .LBB355_1360
; %bb.1357:                             ;   in Loop: Header=BB355_15 Depth=1
	v_mov_b32_e32 v6, 7
	s_mov_b32 s23, exec_lo
	v_and_b32_sdwa v13, v28, v6 dst_sel:DWORD dst_unused:UNUSED_PAD src0_sel:BYTE_3 src1_sel:DWORD
	v_mov_b32_e32 v30, v14
	v_lshrrev_b32_e32 v6, 3, v10
	v_mov_b32_e32 v29, v13
	v_cmpx_gt_u32_e32 8, v10
; %bb.1358:                             ;   in Loop: Header=BB355_15 Depth=1
	v_ffbh_u32_e32 v6, v13
	v_min_u32_e32 v6, 32, v6
	v_subrev_nc_u32_e32 v10, 28, v6
	v_sub_nc_u32_e32 v6, 29, v6
	v_lshlrev_b64 v[29:30], v10, v[13:14]
	v_and_b32_e32 v29, 7, v29
; %bb.1359:                             ;   in Loop: Header=BB355_15 Depth=1
	s_or_b32 exec_lo, exec_lo, s23
	v_mov_b32_e32 v10, 24
	v_lshlrev_b32_e32 v13, 20, v29
	v_lshl_add_u32 v6, v6, 23, 0x3c000000
	v_lshlrev_b32_sdwa v10, v10, v28 dst_sel:DWORD dst_unused:UNUSED_PAD src0_sel:DWORD src1_sel:BYTE_3
	v_and_b32_e32 v10, 0x80000000, v10
	v_or3_b32 v81, v13, v10, v6
.LBB355_1360:                           ;   in Loop: Header=BB355_15 Depth=1
	s_or_b32 exec_lo, exec_lo, s22
.LBB355_1361:                           ;   in Loop: Header=BB355_15 Depth=1
	s_or_b32 exec_lo, exec_lo, s21
.LBB355_1362:                           ;   in Loop: Header=BB355_15 Depth=1
	s_or_b32 exec_lo, exec_lo, s20
	flat_load_dwordx2 v[27:28], v[24:25] offset:1032
	v_mov_b32_e32 v54, 0
	v_mov_b32_e32 v34, 0
	s_waitcnt vmcnt(0) lgkmcnt(0)
	v_cmp_ne_u16_sdwa s5, v27, v14 src0_sel:BYTE_0 src1_sel:DWORD
	s_and_saveexec_b32 s20, s5
	s_cbranch_execz .LBB355_1370
; %bb.1363:                             ;   in Loop: Header=BB355_15 Depth=1
	v_cmp_ne_u16_sdwa s5, v27, v7 src0_sel:BYTE_0 src1_sel:DWORD
	v_bfrev_b32_e32 v34, 1
	s_and_saveexec_b32 s21, s5
	s_cbranch_execz .LBB355_1369
; %bb.1364:                             ;   in Loop: Header=BB355_15 Depth=1
	v_and_b32_e32 v10, 0x7f, v27
	v_mov_b32_e32 v34, 0x7f800001
	s_mov_b32 s22, exec_lo
	v_cmpx_ne_u32_e32 0x7f, v10
	s_cbranch_execz .LBB355_1368
; %bb.1365:                             ;   in Loop: Header=BB355_15 Depth=1
	v_mov_b32_e32 v30, v28
	v_lshrrev_b32_e32 v6, 3, v10
	v_mov_b32_e32 v29, v27
	s_mov_b32 s23, exec_lo
	v_cmpx_gt_u32_e32 8, v10
; %bb.1366:                             ;   in Loop: Header=BB355_15 Depth=1
	v_and_b32_e32 v6, 7, v27
	v_ffbh_u32_e32 v6, v6
	v_min_u32_e32 v6, 32, v6
	v_subrev_nc_u32_e32 v10, 28, v6
	v_sub_nc_u32_e32 v6, 29, v6
	v_lshlrev_b64 v[29:30], v10, v[27:28]
; %bb.1367:                             ;   in Loop: Header=BB355_15 Depth=1
	s_or_b32 exec_lo, exec_lo, s23
	v_lshlrev_b32_e32 v10, 20, v29
	v_lshlrev_b32_e32 v13, 24, v27
	v_lshl_add_u32 v6, v6, 23, 0x3c000000
	v_and_b32_e32 v10, 0x700000, v10
	v_and_b32_e32 v13, 0x80000000, v13
	v_or3_b32 v34, v10, v13, v6
.LBB355_1368:                           ;   in Loop: Header=BB355_15 Depth=1
	s_or_b32 exec_lo, exec_lo, s22
.LBB355_1369:                           ;   in Loop: Header=BB355_15 Depth=1
	s_or_b32 exec_lo, exec_lo, s21
.LBB355_1370:                           ;   in Loop: Header=BB355_15 Depth=1
	s_or_b32 exec_lo, exec_lo, s20
	v_cmp_ne_u16_sdwa s5, v27, v14 src0_sel:BYTE_1 src1_sel:DWORD
	s_and_saveexec_b32 s20, s5
	s_cbranch_execz .LBB355_1378
; %bb.1371:                             ;   in Loop: Header=BB355_15 Depth=1
	v_cmp_ne_u16_sdwa s5, v27, v7 src0_sel:BYTE_1 src1_sel:DWORD
	v_bfrev_b32_e32 v54, 1
	s_and_saveexec_b32 s21, s5
	s_cbranch_execz .LBB355_1377
; %bb.1372:                             ;   in Loop: Header=BB355_15 Depth=1
	v_mov_b32_e32 v6, 0xffff
	v_mov_b32_e32 v54, 0x7f800001
	s_mov_b32 s22, exec_lo
	v_and_b32_sdwa v6, v6, v27 dst_sel:DWORD dst_unused:UNUSED_PAD src0_sel:DWORD src1_sel:BYTE_1
	v_and_b32_e32 v10, 0x7f, v6
	v_cmpx_ne_u32_e32 0x7f, v10
	s_cbranch_execz .LBB355_1376
; %bb.1373:                             ;   in Loop: Header=BB355_15 Depth=1
	v_and_b32_e32 v13, 7, v6
	v_mov_b32_e32 v30, v14
	v_lshrrev_b32_e32 v6, 3, v10
	s_mov_b32 s23, exec_lo
	v_mov_b32_e32 v29, v13
	v_cmpx_gt_u32_e32 8, v10
; %bb.1374:                             ;   in Loop: Header=BB355_15 Depth=1
	v_ffbh_u32_e32 v6, v13
	v_min_u32_e32 v6, 32, v6
	v_subrev_nc_u32_e32 v10, 28, v6
	v_sub_nc_u32_e32 v6, 29, v6
	v_lshlrev_b64 v[29:30], v10, v[13:14]
	v_and_b32_e32 v29, 7, v29
; %bb.1375:                             ;   in Loop: Header=BB355_15 Depth=1
	s_or_b32 exec_lo, exec_lo, s23
	v_lshlrev_b32_e32 v10, 16, v27
	v_lshlrev_b32_e32 v13, 20, v29
	v_lshl_add_u32 v6, v6, 23, 0x3c000000
	v_and_b32_e32 v10, 0x80000000, v10
	v_or3_b32 v54, v13, v10, v6
.LBB355_1376:                           ;   in Loop: Header=BB355_15 Depth=1
	s_or_b32 exec_lo, exec_lo, s22
.LBB355_1377:                           ;   in Loop: Header=BB355_15 Depth=1
	s_or_b32 exec_lo, exec_lo, s21
.LBB355_1378:                           ;   in Loop: Header=BB355_15 Depth=1
	s_or_b32 exec_lo, exec_lo, s20
	v_mov_b32_e32 v6, 0xff
	v_mov_b32_e32 v85, 0
	;; [unrolled: 1-line block ×3, first 2 shown]
	s_mov_b32 s20, exec_lo
	v_and_b32_sdwa v6, v27, v6 dst_sel:DWORD dst_unused:UNUSED_PAD src0_sel:WORD_1 src1_sel:DWORD
	v_cmpx_ne_u16_e32 0, v6
	s_cbranch_execz .LBB355_1386
; %bb.1379:                             ;   in Loop: Header=BB355_15 Depth=1
	v_bfrev_b32_e32 v33, 1
	s_mov_b32 s21, exec_lo
	v_cmpx_ne_u16_e32 0x80, v6
	s_cbranch_execz .LBB355_1385
; %bb.1380:                             ;   in Loop: Header=BB355_15 Depth=1
	v_bfe_u32 v10, v27, 16, 7
	v_mov_b32_e32 v33, 0x7f800001
	s_mov_b32 s22, exec_lo
	v_cmpx_ne_u32_e32 0x7f, v10
	s_cbranch_execz .LBB355_1384
; %bb.1381:                             ;   in Loop: Header=BB355_15 Depth=1
	v_mov_b32_e32 v6, 7
	s_mov_b32 s23, exec_lo
	v_and_b32_sdwa v13, v27, v6 dst_sel:DWORD dst_unused:UNUSED_PAD src0_sel:WORD_1 src1_sel:DWORD
	v_mov_b32_e32 v30, v14
	v_lshrrev_b32_e32 v6, 3, v10
	v_mov_b32_e32 v29, v13
	v_cmpx_gt_u32_e32 8, v10
; %bb.1382:                             ;   in Loop: Header=BB355_15 Depth=1
	v_ffbh_u32_e32 v6, v13
	v_min_u32_e32 v6, 32, v6
	v_subrev_nc_u32_e32 v10, 28, v6
	v_sub_nc_u32_e32 v6, 29, v6
	v_lshlrev_b64 v[29:30], v10, v[13:14]
	v_and_b32_e32 v29, 7, v29
; %bb.1383:                             ;   in Loop: Header=BB355_15 Depth=1
	s_or_b32 exec_lo, exec_lo, s23
	v_mov_b32_e32 v10, 24
	v_lshlrev_b32_e32 v13, 20, v29
	v_lshl_add_u32 v6, v6, 23, 0x3c000000
	v_lshlrev_b32_sdwa v10, v10, v27 dst_sel:DWORD dst_unused:UNUSED_PAD src0_sel:DWORD src1_sel:WORD_1
	v_and_b32_e32 v10, 0x80000000, v10
	v_or3_b32 v33, v13, v10, v6
.LBB355_1384:                           ;   in Loop: Header=BB355_15 Depth=1
	s_or_b32 exec_lo, exec_lo, s22
.LBB355_1385:                           ;   in Loop: Header=BB355_15 Depth=1
	s_or_b32 exec_lo, exec_lo, s21
.LBB355_1386:                           ;   in Loop: Header=BB355_15 Depth=1
	s_or_b32 exec_lo, exec_lo, s20
	s_mov_b32 s20, exec_lo
	v_cmpx_lt_u32_e32 0xffffff, v27
	s_cbranch_execz .LBB355_1394
; %bb.1387:                             ;   in Loop: Header=BB355_15 Depth=1
	v_cmp_ne_u32_sdwa s5, v27, v7 src0_sel:BYTE_3 src1_sel:DWORD
	v_bfrev_b32_e32 v85, 1
	s_and_saveexec_b32 s21, s5
	s_cbranch_execz .LBB355_1393
; %bb.1388:                             ;   in Loop: Header=BB355_15 Depth=1
	v_bfe_u32 v10, v27, 24, 7
	v_mov_b32_e32 v85, 0x7f800001
	s_mov_b32 s22, exec_lo
	v_cmpx_ne_u32_e32 0x7f, v10
	s_cbranch_execz .LBB355_1392
; %bb.1389:                             ;   in Loop: Header=BB355_15 Depth=1
	v_mov_b32_e32 v6, 7
	s_mov_b32 s23, exec_lo
	v_and_b32_sdwa v13, v27, v6 dst_sel:DWORD dst_unused:UNUSED_PAD src0_sel:BYTE_3 src1_sel:DWORD
	v_mov_b32_e32 v30, v14
	v_lshrrev_b32_e32 v6, 3, v10
	v_mov_b32_e32 v29, v13
	v_cmpx_gt_u32_e32 8, v10
; %bb.1390:                             ;   in Loop: Header=BB355_15 Depth=1
	v_ffbh_u32_e32 v6, v13
	v_min_u32_e32 v6, 32, v6
	v_subrev_nc_u32_e32 v10, 28, v6
	v_sub_nc_u32_e32 v6, 29, v6
	v_lshlrev_b64 v[29:30], v10, v[13:14]
	v_and_b32_e32 v29, 7, v29
; %bb.1391:                             ;   in Loop: Header=BB355_15 Depth=1
	s_or_b32 exec_lo, exec_lo, s23
	v_mov_b32_e32 v10, 24
	v_lshlrev_b32_e32 v13, 20, v29
	v_lshl_add_u32 v6, v6, 23, 0x3c000000
	v_lshlrev_b32_sdwa v10, v10, v27 dst_sel:DWORD dst_unused:UNUSED_PAD src0_sel:DWORD src1_sel:BYTE_3
	v_and_b32_e32 v10, 0x80000000, v10
	v_or3_b32 v85, v13, v10, v6
.LBB355_1392:                           ;   in Loop: Header=BB355_15 Depth=1
	s_or_b32 exec_lo, exec_lo, s22
.LBB355_1393:                           ;   in Loop: Header=BB355_15 Depth=1
	s_or_b32 exec_lo, exec_lo, s21
.LBB355_1394:                           ;   in Loop: Header=BB355_15 Depth=1
	s_or_b32 exec_lo, exec_lo, s20
	v_mov_b32_e32 v13, v28
	v_cmp_ne_u16_sdwa s5, v28, v14 src0_sel:BYTE_0 src1_sel:DWORD
	v_mov_b32_e32 v36, 0
	v_mov_b32_e32 v60, 0
	s_and_saveexec_b32 s20, s5
	s_cbranch_execz .LBB355_1402
; %bb.1395:                             ;   in Loop: Header=BB355_15 Depth=1
	v_cmp_ne_u16_sdwa s5, v28, v7 src0_sel:BYTE_0 src1_sel:DWORD
	v_bfrev_b32_e32 v60, 1
	s_and_saveexec_b32 s21, s5
	s_cbranch_execz .LBB355_1401
; %bb.1396:                             ;   in Loop: Header=BB355_15 Depth=1
	v_and_b32_e32 v10, 0x7f, v28
	v_mov_b32_e32 v60, 0x7f800001
	s_mov_b32 s22, exec_lo
	v_cmpx_ne_u32_e32 0x7f, v10
	s_cbranch_execz .LBB355_1400
; %bb.1397:                             ;   in Loop: Header=BB355_15 Depth=1
	v_mov_b32_e32 v30, v14
	v_mov_b32_e32 v29, v13
	v_lshrrev_b32_e32 v6, 3, v10
	s_mov_b32 s23, exec_lo
	v_cmpx_gt_u32_e32 8, v10
; %bb.1398:                             ;   in Loop: Header=BB355_15 Depth=1
	v_and_b32_e32 v6, 7, v28
	v_ffbh_u32_e32 v6, v6
	v_min_u32_e32 v6, 32, v6
	v_subrev_nc_u32_e32 v10, 28, v6
	v_sub_nc_u32_e32 v6, 29, v6
	v_lshlrev_b64 v[29:30], v10, v[13:14]
; %bb.1399:                             ;   in Loop: Header=BB355_15 Depth=1
	s_or_b32 exec_lo, exec_lo, s23
	v_lshlrev_b32_e32 v10, 20, v29
	v_lshlrev_b32_e32 v29, 24, v13
	v_lshl_add_u32 v6, v6, 23, 0x3c000000
	v_and_b32_e32 v10, 0x700000, v10
	v_and_b32_e32 v29, 0x80000000, v29
	v_or3_b32 v60, v10, v29, v6
.LBB355_1400:                           ;   in Loop: Header=BB355_15 Depth=1
	s_or_b32 exec_lo, exec_lo, s22
.LBB355_1401:                           ;   in Loop: Header=BB355_15 Depth=1
	s_or_b32 exec_lo, exec_lo, s21
.LBB355_1402:                           ;   in Loop: Header=BB355_15 Depth=1
	s_or_b32 exec_lo, exec_lo, s20
	v_cmp_ne_u16_sdwa s5, v13, v14 src0_sel:BYTE_1 src1_sel:DWORD
	s_and_saveexec_b32 s20, s5
	s_cbranch_execz .LBB355_1410
; %bb.1403:                             ;   in Loop: Header=BB355_15 Depth=1
	v_cmp_ne_u16_sdwa s5, v13, v7 src0_sel:BYTE_1 src1_sel:DWORD
	v_bfrev_b32_e32 v36, 1
	s_and_saveexec_b32 s21, s5
	s_cbranch_execz .LBB355_1409
; %bb.1404:                             ;   in Loop: Header=BB355_15 Depth=1
	v_mov_b32_e32 v6, 0xffff
	v_mov_b32_e32 v36, 0x7f800001
	s_mov_b32 s22, exec_lo
	v_and_b32_sdwa v6, v6, v13 dst_sel:DWORD dst_unused:UNUSED_PAD src0_sel:DWORD src1_sel:BYTE_1
	v_and_b32_e32 v10, 0x7f, v6
	v_cmpx_ne_u32_e32 0x7f, v10
	s_cbranch_execz .LBB355_1408
; %bb.1405:                             ;   in Loop: Header=BB355_15 Depth=1
	v_and_b32_e32 v29, 7, v6
	v_mov_b32_e32 v30, v14
	v_lshrrev_b32_e32 v6, 3, v10
	s_mov_b32 s23, exec_lo
	v_cmpx_gt_u32_e32 8, v10
; %bb.1406:                             ;   in Loop: Header=BB355_15 Depth=1
	v_ffbh_u32_e32 v6, v29
	v_min_u32_e32 v6, 32, v6
	v_subrev_nc_u32_e32 v10, 28, v6
	v_sub_nc_u32_e32 v6, 29, v6
	v_lshlrev_b64 v[29:30], v10, v[29:30]
	v_and_b32_e32 v29, 7, v29
; %bb.1407:                             ;   in Loop: Header=BB355_15 Depth=1
	s_or_b32 exec_lo, exec_lo, s23
	v_lshlrev_b32_e32 v10, 16, v13
	v_lshlrev_b32_e32 v13, 20, v29
	v_lshl_add_u32 v6, v6, 23, 0x3c000000
	v_and_b32_e32 v10, 0x80000000, v10
	v_or3_b32 v36, v13, v10, v6
.LBB355_1408:                           ;   in Loop: Header=BB355_15 Depth=1
	s_or_b32 exec_lo, exec_lo, s22
.LBB355_1409:                           ;   in Loop: Header=BB355_15 Depth=1
	s_or_b32 exec_lo, exec_lo, s21
.LBB355_1410:                           ;   in Loop: Header=BB355_15 Depth=1
	s_or_b32 exec_lo, exec_lo, s20
	v_mov_b32_e32 v6, 0xff
	v_mov_b32_e32 v78, 0
	;; [unrolled: 1-line block ×3, first 2 shown]
	s_mov_b32 s20, exec_lo
	v_and_b32_sdwa v6, v28, v6 dst_sel:DWORD dst_unused:UNUSED_PAD src0_sel:WORD_1 src1_sel:DWORD
	v_cmpx_ne_u16_e32 0, v6
	s_cbranch_execz .LBB355_1418
; %bb.1411:                             ;   in Loop: Header=BB355_15 Depth=1
	v_bfrev_b32_e32 v90, 1
	s_mov_b32 s21, exec_lo
	v_cmpx_ne_u16_e32 0x80, v6
	s_cbranch_execz .LBB355_1417
; %bb.1412:                             ;   in Loop: Header=BB355_15 Depth=1
	v_bfe_u32 v10, v28, 16, 7
	v_mov_b32_e32 v90, 0x7f800001
	s_mov_b32 s22, exec_lo
	v_cmpx_ne_u32_e32 0x7f, v10
	s_cbranch_execz .LBB355_1416
; %bb.1413:                             ;   in Loop: Header=BB355_15 Depth=1
	v_mov_b32_e32 v6, 7
	s_mov_b32 s23, exec_lo
	v_and_b32_sdwa v13, v28, v6 dst_sel:DWORD dst_unused:UNUSED_PAD src0_sel:WORD_1 src1_sel:DWORD
	v_mov_b32_e32 v30, v14
	v_lshrrev_b32_e32 v6, 3, v10
	v_mov_b32_e32 v29, v13
	v_cmpx_gt_u32_e32 8, v10
; %bb.1414:                             ;   in Loop: Header=BB355_15 Depth=1
	v_ffbh_u32_e32 v6, v13
	v_min_u32_e32 v6, 32, v6
	v_subrev_nc_u32_e32 v10, 28, v6
	v_sub_nc_u32_e32 v6, 29, v6
	v_lshlrev_b64 v[29:30], v10, v[13:14]
	v_and_b32_e32 v29, 7, v29
; %bb.1415:                             ;   in Loop: Header=BB355_15 Depth=1
	s_or_b32 exec_lo, exec_lo, s23
	v_mov_b32_e32 v10, 24
	v_lshlrev_b32_e32 v13, 20, v29
	v_lshl_add_u32 v6, v6, 23, 0x3c000000
	v_lshlrev_b32_sdwa v10, v10, v28 dst_sel:DWORD dst_unused:UNUSED_PAD src0_sel:DWORD src1_sel:WORD_1
	v_and_b32_e32 v10, 0x80000000, v10
	v_or3_b32 v90, v13, v10, v6
.LBB355_1416:                           ;   in Loop: Header=BB355_15 Depth=1
	s_or_b32 exec_lo, exec_lo, s22
.LBB355_1417:                           ;   in Loop: Header=BB355_15 Depth=1
	s_or_b32 exec_lo, exec_lo, s21
.LBB355_1418:                           ;   in Loop: Header=BB355_15 Depth=1
	s_or_b32 exec_lo, exec_lo, s20
	s_mov_b32 s20, exec_lo
	v_cmpx_lt_u64_e64 s[12:13], v[27:28]
	s_cbranch_execz .LBB355_1426
; %bb.1419:                             ;   in Loop: Header=BB355_15 Depth=1
	v_cmp_ne_u32_sdwa s5, v28, v7 src0_sel:BYTE_3 src1_sel:DWORD
	v_bfrev_b32_e32 v78, 1
	s_and_saveexec_b32 s21, s5
	s_cbranch_execz .LBB355_1425
; %bb.1420:                             ;   in Loop: Header=BB355_15 Depth=1
	v_bfe_u32 v10, v28, 24, 7
	v_mov_b32_e32 v78, 0x7f800001
	s_mov_b32 s22, exec_lo
	v_cmpx_ne_u32_e32 0x7f, v10
	s_cbranch_execz .LBB355_1424
; %bb.1421:                             ;   in Loop: Header=BB355_15 Depth=1
	v_mov_b32_e32 v6, 7
	s_mov_b32 s23, exec_lo
	v_and_b32_sdwa v13, v28, v6 dst_sel:DWORD dst_unused:UNUSED_PAD src0_sel:BYTE_3 src1_sel:DWORD
	v_mov_b32_e32 v30, v14
	v_lshrrev_b32_e32 v6, 3, v10
	v_mov_b32_e32 v29, v13
	v_cmpx_gt_u32_e32 8, v10
; %bb.1422:                             ;   in Loop: Header=BB355_15 Depth=1
	v_ffbh_u32_e32 v6, v13
	v_min_u32_e32 v6, 32, v6
	v_subrev_nc_u32_e32 v10, 28, v6
	v_sub_nc_u32_e32 v6, 29, v6
	v_lshlrev_b64 v[29:30], v10, v[13:14]
	v_and_b32_e32 v29, 7, v29
; %bb.1423:                             ;   in Loop: Header=BB355_15 Depth=1
	s_or_b32 exec_lo, exec_lo, s23
	v_mov_b32_e32 v10, 24
	v_lshlrev_b32_e32 v13, 20, v29
	v_lshl_add_u32 v6, v6, 23, 0x3c000000
	v_lshlrev_b32_sdwa v10, v10, v28 dst_sel:DWORD dst_unused:UNUSED_PAD src0_sel:DWORD src1_sel:BYTE_3
	v_and_b32_e32 v10, 0x80000000, v10
	v_or3_b32 v78, v13, v10, v6
.LBB355_1424:                           ;   in Loop: Header=BB355_15 Depth=1
	s_or_b32 exec_lo, exec_lo, s22
.LBB355_1425:                           ;   in Loop: Header=BB355_15 Depth=1
	s_or_b32 exec_lo, exec_lo, s21
.LBB355_1426:                           ;   in Loop: Header=BB355_15 Depth=1
	s_or_b32 exec_lo, exec_lo, s20
	flat_load_dwordx2 v[27:28], v[24:25] offset:1536
	v_mov_b32_e32 v63, 0
	v_mov_b32_e32 v62, 0
	s_waitcnt vmcnt(0) lgkmcnt(0)
	v_cmp_ne_u16_sdwa s5, v27, v14 src0_sel:BYTE_0 src1_sel:DWORD
	s_and_saveexec_b32 s20, s5
	s_cbranch_execz .LBB355_1434
; %bb.1427:                             ;   in Loop: Header=BB355_15 Depth=1
	v_cmp_ne_u16_sdwa s5, v27, v7 src0_sel:BYTE_0 src1_sel:DWORD
	v_bfrev_b32_e32 v62, 1
	s_and_saveexec_b32 s21, s5
	s_cbranch_execz .LBB355_1433
; %bb.1428:                             ;   in Loop: Header=BB355_15 Depth=1
	v_and_b32_e32 v10, 0x7f, v27
	v_mov_b32_e32 v62, 0x7f800001
	s_mov_b32 s22, exec_lo
	v_cmpx_ne_u32_e32 0x7f, v10
	s_cbranch_execz .LBB355_1432
; %bb.1429:                             ;   in Loop: Header=BB355_15 Depth=1
	v_mov_b32_e32 v30, v28
	v_lshrrev_b32_e32 v6, 3, v10
	v_mov_b32_e32 v29, v27
	s_mov_b32 s23, exec_lo
	v_cmpx_gt_u32_e32 8, v10
; %bb.1430:                             ;   in Loop: Header=BB355_15 Depth=1
	v_and_b32_e32 v6, 7, v27
	v_ffbh_u32_e32 v6, v6
	v_min_u32_e32 v6, 32, v6
	v_subrev_nc_u32_e32 v10, 28, v6
	v_sub_nc_u32_e32 v6, 29, v6
	v_lshlrev_b64 v[29:30], v10, v[27:28]
; %bb.1431:                             ;   in Loop: Header=BB355_15 Depth=1
	s_or_b32 exec_lo, exec_lo, s23
	v_lshlrev_b32_e32 v10, 20, v29
	v_lshlrev_b32_e32 v13, 24, v27
	v_lshl_add_u32 v6, v6, 23, 0x3c000000
	v_and_b32_e32 v10, 0x700000, v10
	v_and_b32_e32 v13, 0x80000000, v13
	v_or3_b32 v62, v10, v13, v6
.LBB355_1432:                           ;   in Loop: Header=BB355_15 Depth=1
	s_or_b32 exec_lo, exec_lo, s22
.LBB355_1433:                           ;   in Loop: Header=BB355_15 Depth=1
	s_or_b32 exec_lo, exec_lo, s21
.LBB355_1434:                           ;   in Loop: Header=BB355_15 Depth=1
	s_or_b32 exec_lo, exec_lo, s20
	v_cmp_ne_u16_sdwa s5, v27, v14 src0_sel:BYTE_1 src1_sel:DWORD
	s_and_saveexec_b32 s20, s5
	s_cbranch_execz .LBB355_1442
; %bb.1435:                             ;   in Loop: Header=BB355_15 Depth=1
	v_cmp_ne_u16_sdwa s5, v27, v7 src0_sel:BYTE_1 src1_sel:DWORD
	v_bfrev_b32_e32 v63, 1
	s_and_saveexec_b32 s21, s5
	s_cbranch_execz .LBB355_1441
; %bb.1436:                             ;   in Loop: Header=BB355_15 Depth=1
	v_mov_b32_e32 v6, 0xffff
	v_mov_b32_e32 v63, 0x7f800001
	s_mov_b32 s22, exec_lo
	v_and_b32_sdwa v6, v6, v27 dst_sel:DWORD dst_unused:UNUSED_PAD src0_sel:DWORD src1_sel:BYTE_1
	v_and_b32_e32 v10, 0x7f, v6
	v_cmpx_ne_u32_e32 0x7f, v10
	s_cbranch_execz .LBB355_1440
; %bb.1437:                             ;   in Loop: Header=BB355_15 Depth=1
	v_and_b32_e32 v13, 7, v6
	v_mov_b32_e32 v30, v14
	v_lshrrev_b32_e32 v6, 3, v10
	s_mov_b32 s23, exec_lo
	v_mov_b32_e32 v29, v13
	v_cmpx_gt_u32_e32 8, v10
; %bb.1438:                             ;   in Loop: Header=BB355_15 Depth=1
	v_ffbh_u32_e32 v6, v13
	v_min_u32_e32 v6, 32, v6
	v_subrev_nc_u32_e32 v10, 28, v6
	v_sub_nc_u32_e32 v6, 29, v6
	v_lshlrev_b64 v[29:30], v10, v[13:14]
	v_and_b32_e32 v29, 7, v29
; %bb.1439:                             ;   in Loop: Header=BB355_15 Depth=1
	s_or_b32 exec_lo, exec_lo, s23
	v_lshlrev_b32_e32 v10, 16, v27
	v_lshlrev_b32_e32 v13, 20, v29
	v_lshl_add_u32 v6, v6, 23, 0x3c000000
	v_and_b32_e32 v10, 0x80000000, v10
	v_or3_b32 v63, v13, v10, v6
.LBB355_1440:                           ;   in Loop: Header=BB355_15 Depth=1
	s_or_b32 exec_lo, exec_lo, s22
.LBB355_1441:                           ;   in Loop: Header=BB355_15 Depth=1
	s_or_b32 exec_lo, exec_lo, s21
.LBB355_1442:                           ;   in Loop: Header=BB355_15 Depth=1
	s_or_b32 exec_lo, exec_lo, s20
	v_mov_b32_e32 v6, 0xff
	v_mov_b32_e32 v125, 0
	v_mov_b32_e32 v79, 0
	s_mov_b32 s20, exec_lo
	v_and_b32_sdwa v6, v27, v6 dst_sel:DWORD dst_unused:UNUSED_PAD src0_sel:WORD_1 src1_sel:DWORD
	v_cmpx_ne_u16_e32 0, v6
	s_cbranch_execz .LBB355_1450
; %bb.1443:                             ;   in Loop: Header=BB355_15 Depth=1
	v_bfrev_b32_e32 v79, 1
	s_mov_b32 s21, exec_lo
	v_cmpx_ne_u16_e32 0x80, v6
	s_cbranch_execz .LBB355_1449
; %bb.1444:                             ;   in Loop: Header=BB355_15 Depth=1
	v_bfe_u32 v10, v27, 16, 7
	v_mov_b32_e32 v79, 0x7f800001
	s_mov_b32 s22, exec_lo
	v_cmpx_ne_u32_e32 0x7f, v10
	s_cbranch_execz .LBB355_1448
; %bb.1445:                             ;   in Loop: Header=BB355_15 Depth=1
	v_mov_b32_e32 v6, 7
	s_mov_b32 s23, exec_lo
	v_and_b32_sdwa v13, v27, v6 dst_sel:DWORD dst_unused:UNUSED_PAD src0_sel:WORD_1 src1_sel:DWORD
	v_mov_b32_e32 v30, v14
	v_lshrrev_b32_e32 v6, 3, v10
	v_mov_b32_e32 v29, v13
	v_cmpx_gt_u32_e32 8, v10
; %bb.1446:                             ;   in Loop: Header=BB355_15 Depth=1
	v_ffbh_u32_e32 v6, v13
	v_min_u32_e32 v6, 32, v6
	v_subrev_nc_u32_e32 v10, 28, v6
	v_sub_nc_u32_e32 v6, 29, v6
	v_lshlrev_b64 v[29:30], v10, v[13:14]
	v_and_b32_e32 v29, 7, v29
; %bb.1447:                             ;   in Loop: Header=BB355_15 Depth=1
	s_or_b32 exec_lo, exec_lo, s23
	v_mov_b32_e32 v10, 24
	v_lshlrev_b32_e32 v13, 20, v29
	v_lshl_add_u32 v6, v6, 23, 0x3c000000
	v_lshlrev_b32_sdwa v10, v10, v27 dst_sel:DWORD dst_unused:UNUSED_PAD src0_sel:DWORD src1_sel:WORD_1
	v_and_b32_e32 v10, 0x80000000, v10
	v_or3_b32 v79, v13, v10, v6
.LBB355_1448:                           ;   in Loop: Header=BB355_15 Depth=1
	s_or_b32 exec_lo, exec_lo, s22
.LBB355_1449:                           ;   in Loop: Header=BB355_15 Depth=1
	s_or_b32 exec_lo, exec_lo, s21
.LBB355_1450:                           ;   in Loop: Header=BB355_15 Depth=1
	s_or_b32 exec_lo, exec_lo, s20
	s_mov_b32 s20, exec_lo
	v_cmpx_lt_u32_e32 0xffffff, v27
	s_cbranch_execz .LBB355_1458
; %bb.1451:                             ;   in Loop: Header=BB355_15 Depth=1
	v_cmp_ne_u32_sdwa s5, v27, v7 src0_sel:BYTE_3 src1_sel:DWORD
	v_bfrev_b32_e32 v125, 1
	s_and_saveexec_b32 s21, s5
	s_cbranch_execz .LBB355_1457
; %bb.1452:                             ;   in Loop: Header=BB355_15 Depth=1
	v_bfe_u32 v10, v27, 24, 7
	v_mov_b32_e32 v125, 0x7f800001
	s_mov_b32 s22, exec_lo
	v_cmpx_ne_u32_e32 0x7f, v10
	s_cbranch_execz .LBB355_1456
; %bb.1453:                             ;   in Loop: Header=BB355_15 Depth=1
	v_mov_b32_e32 v6, 7
	s_mov_b32 s23, exec_lo
	v_and_b32_sdwa v13, v27, v6 dst_sel:DWORD dst_unused:UNUSED_PAD src0_sel:BYTE_3 src1_sel:DWORD
	v_mov_b32_e32 v30, v14
	v_lshrrev_b32_e32 v6, 3, v10
	v_mov_b32_e32 v29, v13
	v_cmpx_gt_u32_e32 8, v10
; %bb.1454:                             ;   in Loop: Header=BB355_15 Depth=1
	v_ffbh_u32_e32 v6, v13
	v_min_u32_e32 v6, 32, v6
	v_subrev_nc_u32_e32 v10, 28, v6
	v_sub_nc_u32_e32 v6, 29, v6
	v_lshlrev_b64 v[29:30], v10, v[13:14]
	v_and_b32_e32 v29, 7, v29
; %bb.1455:                             ;   in Loop: Header=BB355_15 Depth=1
	s_or_b32 exec_lo, exec_lo, s23
	v_mov_b32_e32 v10, 24
	v_lshlrev_b32_e32 v13, 20, v29
	v_lshl_add_u32 v6, v6, 23, 0x3c000000
	v_lshlrev_b32_sdwa v10, v10, v27 dst_sel:DWORD dst_unused:UNUSED_PAD src0_sel:DWORD src1_sel:BYTE_3
	v_and_b32_e32 v10, 0x80000000, v10
	v_or3_b32 v125, v13, v10, v6
.LBB355_1456:                           ;   in Loop: Header=BB355_15 Depth=1
	s_or_b32 exec_lo, exec_lo, s22
.LBB355_1457:                           ;   in Loop: Header=BB355_15 Depth=1
	s_or_b32 exec_lo, exec_lo, s21
.LBB355_1458:                           ;   in Loop: Header=BB355_15 Depth=1
	s_or_b32 exec_lo, exec_lo, s20
	v_mov_b32_e32 v13, v28
	v_cmp_ne_u16_sdwa s5, v28, v14 src0_sel:BYTE_0 src1_sel:DWORD
	v_mov_b32_e32 v6, 0
	v_mov_b32_e32 v95, 0
	s_and_saveexec_b32 s20, s5
	s_cbranch_execz .LBB355_1466
; %bb.1459:                             ;   in Loop: Header=BB355_15 Depth=1
	v_cmp_ne_u16_sdwa s5, v28, v7 src0_sel:BYTE_0 src1_sel:DWORD
	v_bfrev_b32_e32 v95, 1
	s_and_saveexec_b32 s21, s5
	s_cbranch_execz .LBB355_1465
; %bb.1460:                             ;   in Loop: Header=BB355_15 Depth=1
	v_and_b32_e32 v37, 0x7f, v28
	v_mov_b32_e32 v95, 0x7f800001
	s_mov_b32 s22, exec_lo
	v_cmpx_ne_u32_e32 0x7f, v37
	s_cbranch_execz .LBB355_1464
; %bb.1461:                             ;   in Loop: Header=BB355_15 Depth=1
	v_mov_b32_e32 v30, v14
	v_mov_b32_e32 v29, v13
	v_lshrrev_b32_e32 v10, 3, v37
	s_mov_b32 s23, exec_lo
	v_cmpx_gt_u32_e32 8, v37
; %bb.1462:                             ;   in Loop: Header=BB355_15 Depth=1
	v_and_b32_e32 v10, 7, v28
	v_ffbh_u32_e32 v10, v10
	v_min_u32_e32 v10, 32, v10
	v_subrev_nc_u32_e32 v29, 28, v10
	v_sub_nc_u32_e32 v10, 29, v10
	v_lshlrev_b64 v[29:30], v29, v[13:14]
; %bb.1463:                             ;   in Loop: Header=BB355_15 Depth=1
	s_or_b32 exec_lo, exec_lo, s23
	v_lshlrev_b32_e32 v29, 20, v29
	v_lshlrev_b32_e32 v30, 24, v13
	v_lshl_add_u32 v10, v10, 23, 0x3c000000
	v_and_b32_e32 v29, 0x700000, v29
	v_and_b32_e32 v30, 0x80000000, v30
	v_or3_b32 v95, v29, v30, v10
.LBB355_1464:                           ;   in Loop: Header=BB355_15 Depth=1
	s_or_b32 exec_lo, exec_lo, s22
.LBB355_1465:                           ;   in Loop: Header=BB355_15 Depth=1
	s_or_b32 exec_lo, exec_lo, s21
.LBB355_1466:                           ;   in Loop: Header=BB355_15 Depth=1
	s_or_b32 exec_lo, exec_lo, s20
	v_cmp_ne_u16_sdwa s5, v13, v14 src0_sel:BYTE_1 src1_sel:DWORD
	s_and_saveexec_b32 s20, s5
	s_cbranch_execz .LBB355_1474
; %bb.1467:                             ;   in Loop: Header=BB355_15 Depth=1
	v_cmp_ne_u16_sdwa s5, v13, v7 src0_sel:BYTE_1 src1_sel:DWORD
	v_bfrev_b32_e32 v6, 1
	s_and_saveexec_b32 s21, s5
	s_cbranch_execz .LBB355_1473
; %bb.1468:                             ;   in Loop: Header=BB355_15 Depth=1
	v_mov_b32_e32 v6, 0xffff
	s_mov_b32 s22, exec_lo
	v_and_b32_sdwa v29, v6, v13 dst_sel:DWORD dst_unused:UNUSED_PAD src0_sel:DWORD src1_sel:BYTE_1
	v_mov_b32_e32 v6, 0x7f800001
	v_and_b32_e32 v10, 0x7f, v29
	v_cmpx_ne_u32_e32 0x7f, v10
	s_cbranch_execz .LBB355_1472
; %bb.1469:                             ;   in Loop: Header=BB355_15 Depth=1
	v_and_b32_e32 v29, 7, v29
	v_mov_b32_e32 v30, v14
	v_lshrrev_b32_e32 v6, 3, v10
	s_mov_b32 s23, exec_lo
	v_cmpx_gt_u32_e32 8, v10
; %bb.1470:                             ;   in Loop: Header=BB355_15 Depth=1
	v_ffbh_u32_e32 v6, v29
	v_min_u32_e32 v6, 32, v6
	v_subrev_nc_u32_e32 v10, 28, v6
	v_sub_nc_u32_e32 v6, 29, v6
	v_lshlrev_b64 v[29:30], v10, v[29:30]
	v_and_b32_e32 v29, 7, v29
; %bb.1471:                             ;   in Loop: Header=BB355_15 Depth=1
	s_or_b32 exec_lo, exec_lo, s23
	v_lshlrev_b32_e32 v10, 16, v13
	v_lshlrev_b32_e32 v13, 20, v29
	v_lshl_add_u32 v6, v6, 23, 0x3c000000
	v_and_b32_e32 v10, 0x80000000, v10
	v_or3_b32 v6, v13, v10, v6
.LBB355_1472:                           ;   in Loop: Header=BB355_15 Depth=1
	s_or_b32 exec_lo, exec_lo, s22
.LBB355_1473:                           ;   in Loop: Header=BB355_15 Depth=1
	s_or_b32 exec_lo, exec_lo, s21
.LBB355_1474:                           ;   in Loop: Header=BB355_15 Depth=1
	s_or_b32 exec_lo, exec_lo, s20
	v_mov_b32_e32 v10, 0xff
	v_mov_b32_e32 v37, 0
	v_and_b32_sdwa v13, v28, v10 dst_sel:DWORD dst_unused:UNUSED_PAD src0_sel:WORD_1 src1_sel:DWORD
	v_mov_b32_e32 v10, 0
	v_cmp_ne_u16_e64 s5, 0, v13
	s_mov_b32 s20, exec_lo
	s_and_b32 s5, s20, s5
	buffer_store_dword v49, off, s[0:3], s32 offset:548 ; 4-byte Folded Spill
	buffer_store_dword v102, off, s[0:3], s32 offset:552 ; 4-byte Folded Spill
	s_mov_b32 exec_lo, s5
	s_cbranch_execz .LBB355_1482
; %bb.1475:                             ;   in Loop: Header=BB355_15 Depth=1
	v_bfrev_b32_e32 v37, 1
	s_mov_b32 s21, exec_lo
	v_cmpx_ne_u16_e32 0x80, v13
	s_cbranch_execz .LBB355_1481
; %bb.1476:                             ;   in Loop: Header=BB355_15 Depth=1
	v_bfe_u32 v102, v28, 16, 7
	v_mov_b32_e32 v37, 0x7f800001
	s_mov_b32 s22, exec_lo
	v_cmpx_ne_u32_e32 0x7f, v102
	s_cbranch_execz .LBB355_1480
; %bb.1477:                             ;   in Loop: Header=BB355_15 Depth=1
	v_mov_b32_e32 v13, 7
	s_mov_b32 s23, exec_lo
	v_and_b32_sdwa v13, v28, v13 dst_sel:DWORD dst_unused:UNUSED_PAD src0_sel:WORD_1 src1_sel:DWORD
	v_mov_b32_e32 v30, v14
	v_lshrrev_b32_e32 v30, 3, v102
	v_mov_b32_e32 v29, v13
	v_cmpx_gt_u32_e32 8, v102
; %bb.1478:                             ;   in Loop: Header=BB355_15 Depth=1
	v_ffbh_u32_e32 v29, v13
	v_min_u32_e32 v37, 32, v29
	v_subrev_nc_u32_e32 v29, 28, v37
	v_lshlrev_b64 v[29:30], v29, v[13:14]
	v_sub_nc_u32_e32 v30, 29, v37
	v_and_b32_e32 v29, 7, v29
; %bb.1479:                             ;   in Loop: Header=BB355_15 Depth=1
	s_or_b32 exec_lo, exec_lo, s23
	v_mov_b32_e32 v13, 24
	v_lshlrev_b32_e32 v29, 20, v29
	v_lshl_add_u32 v30, v30, 23, 0x3c000000
	v_lshlrev_b32_sdwa v13, v13, v28 dst_sel:DWORD dst_unused:UNUSED_PAD src0_sel:DWORD src1_sel:WORD_1
	v_and_b32_e32 v13, 0x80000000, v13
	v_or3_b32 v37, v29, v13, v30
.LBB355_1480:                           ;   in Loop: Header=BB355_15 Depth=1
	s_or_b32 exec_lo, exec_lo, s22
.LBB355_1481:                           ;   in Loop: Header=BB355_15 Depth=1
	s_or_b32 exec_lo, exec_lo, s21
.LBB355_1482:                           ;   in Loop: Header=BB355_15 Depth=1
	s_or_b32 exec_lo, exec_lo, s20
	s_mov_b32 s20, exec_lo
	v_cmpx_lt_u64_e64 s[12:13], v[27:28]
	s_cbranch_execz .LBB355_1490
; %bb.1483:                             ;   in Loop: Header=BB355_15 Depth=1
	v_cmp_ne_u32_sdwa s5, v28, v7 src0_sel:BYTE_3 src1_sel:DWORD
	v_bfrev_b32_e32 v10, 1
	s_and_saveexec_b32 s21, s5
	s_cbranch_execz .LBB355_1489
; %bb.1484:                             ;   in Loop: Header=BB355_15 Depth=1
	v_bfe_u32 v27, v28, 24, 7
	v_mov_b32_e32 v10, 0x7f800001
	s_mov_b32 s22, exec_lo
	v_cmpx_ne_u32_e32 0x7f, v27
	s_cbranch_execz .LBB355_1488
; %bb.1485:                             ;   in Loop: Header=BB355_15 Depth=1
	v_mov_b32_e32 v10, 7
	s_mov_b32 s23, exec_lo
	v_and_b32_sdwa v13, v28, v10 dst_sel:DWORD dst_unused:UNUSED_PAD src0_sel:BYTE_3 src1_sel:DWORD
	v_mov_b32_e32 v30, v14
	v_lshrrev_b32_e32 v10, 3, v27
	v_mov_b32_e32 v29, v13
	v_cmpx_gt_u32_e32 8, v27
; %bb.1486:                             ;   in Loop: Header=BB355_15 Depth=1
	v_ffbh_u32_e32 v10, v13
	v_min_u32_e32 v10, 32, v10
	v_subrev_nc_u32_e32 v27, 28, v10
	v_sub_nc_u32_e32 v10, 29, v10
	v_lshlrev_b64 v[29:30], v27, v[13:14]
	v_and_b32_e32 v29, 7, v29
; %bb.1487:                             ;   in Loop: Header=BB355_15 Depth=1
	s_or_b32 exec_lo, exec_lo, s23
	v_mov_b32_e32 v13, 24
	v_lshlrev_b32_e32 v27, 20, v29
	v_lshl_add_u32 v10, v10, 23, 0x3c000000
	v_lshlrev_b32_sdwa v13, v13, v28 dst_sel:DWORD dst_unused:UNUSED_PAD src0_sel:DWORD src1_sel:BYTE_3
	v_and_b32_e32 v13, 0x80000000, v13
	v_or3_b32 v10, v27, v13, v10
.LBB355_1488:                           ;   in Loop: Header=BB355_15 Depth=1
	s_or_b32 exec_lo, exec_lo, s22
.LBB355_1489:                           ;   in Loop: Header=BB355_15 Depth=1
	s_or_b32 exec_lo, exec_lo, s21
.LBB355_1490:                           ;   in Loop: Header=BB355_15 Depth=1
	s_or_b32 exec_lo, exec_lo, s20
	flat_load_dwordx2 v[24:25], v[24:25] offset:1544
	v_mov_b32_e32 v31, 0
	v_mov_b32_e32 v22, 0
	s_waitcnt vmcnt(0) lgkmcnt(0)
	v_cmp_ne_u16_sdwa s5, v24, v14 src0_sel:BYTE_0 src1_sel:DWORD
	s_and_saveexec_b32 s20, s5
	s_cbranch_execz .LBB355_1498
; %bb.1491:                             ;   in Loop: Header=BB355_15 Depth=1
	v_cmp_ne_u16_sdwa s5, v24, v7 src0_sel:BYTE_0 src1_sel:DWORD
	v_bfrev_b32_e32 v22, 1
	s_and_saveexec_b32 s21, s5
	s_cbranch_execz .LBB355_1497
; %bb.1492:                             ;   in Loop: Header=BB355_15 Depth=1
	v_and_b32_e32 v27, 0x7f, v24
	v_mov_b32_e32 v22, 0x7f800001
	s_mov_b32 s22, exec_lo
	v_cmpx_ne_u32_e32 0x7f, v27
	s_cbranch_execz .LBB355_1496
; %bb.1493:                             ;   in Loop: Header=BB355_15 Depth=1
	v_lshrrev_b32_e32 v13, 3, v27
	v_cmp_gt_u32_e64 s5, 8, v27
	v_mov_b32_e32 v28, v25
	v_mov_b32_e32 v27, v24
	s_and_saveexec_b32 s23, s5
; %bb.1494:                             ;   in Loop: Header=BB355_15 Depth=1
	v_and_b32_e32 v13, 7, v24
	v_ffbh_u32_e32 v13, v13
	v_min_u32_e32 v13, 32, v13
	v_subrev_nc_u32_e32 v27, 28, v13
	v_sub_nc_u32_e32 v13, 29, v13
	v_lshlrev_b64 v[27:28], v27, v[24:25]
; %bb.1495:                             ;   in Loop: Header=BB355_15 Depth=1
	s_or_b32 exec_lo, exec_lo, s23
	v_lshlrev_b32_e32 v27, 20, v27
	v_lshlrev_b32_e32 v28, 24, v24
	v_lshl_add_u32 v13, v13, 23, 0x3c000000
	v_and_b32_e32 v27, 0x700000, v27
	v_and_b32_e32 v28, 0x80000000, v28
	v_or3_b32 v22, v27, v28, v13
.LBB355_1496:                           ;   in Loop: Header=BB355_15 Depth=1
	s_or_b32 exec_lo, exec_lo, s22
.LBB355_1497:                           ;   in Loop: Header=BB355_15 Depth=1
	s_or_b32 exec_lo, exec_lo, s21
.LBB355_1498:                           ;   in Loop: Header=BB355_15 Depth=1
	s_or_b32 exec_lo, exec_lo, s20
	v_cmp_ne_u16_sdwa s5, v24, v14 src0_sel:BYTE_1 src1_sel:DWORD
	s_and_saveexec_b32 s20, s5
	s_cbranch_execz .LBB355_1506
; %bb.1499:                             ;   in Loop: Header=BB355_15 Depth=1
	v_cmp_ne_u16_sdwa s5, v24, v7 src0_sel:BYTE_1 src1_sel:DWORD
	v_bfrev_b32_e32 v31, 1
	s_and_saveexec_b32 s21, s5
	s_cbranch_execz .LBB355_1505
; %bb.1500:                             ;   in Loop: Header=BB355_15 Depth=1
	v_mov_b32_e32 v13, 0xffff
	v_mov_b32_e32 v31, 0x7f800001
	s_mov_b32 s22, exec_lo
	v_and_b32_sdwa v13, v13, v24 dst_sel:DWORD dst_unused:UNUSED_PAD src0_sel:DWORD src1_sel:BYTE_1
	v_and_b32_e32 v29, 0x7f, v13
	v_cmpx_ne_u32_e32 0x7f, v29
	s_cbranch_execz .LBB355_1504
; %bb.1501:                             ;   in Loop: Header=BB355_15 Depth=1
	v_and_b32_e32 v13, 7, v13
	v_mov_b32_e32 v28, v14
	v_lshrrev_b32_e32 v28, 3, v29
	s_mov_b32 s23, exec_lo
	v_mov_b32_e32 v27, v13
	v_cmpx_gt_u32_e32 8, v29
; %bb.1502:                             ;   in Loop: Header=BB355_15 Depth=1
	v_ffbh_u32_e32 v27, v13
	v_min_u32_e32 v29, 32, v27
	v_subrev_nc_u32_e32 v27, 28, v29
	v_lshlrev_b64 v[27:28], v27, v[13:14]
	v_sub_nc_u32_e32 v28, 29, v29
	v_and_b32_e32 v27, 7, v27
; %bb.1503:                             ;   in Loop: Header=BB355_15 Depth=1
	s_or_b32 exec_lo, exec_lo, s23
	v_lshlrev_b32_e32 v13, 16, v24
	v_lshlrev_b32_e32 v27, 20, v27
	v_lshl_add_u32 v28, v28, 23, 0x3c000000
	v_and_b32_e32 v13, 0x80000000, v13
	v_or3_b32 v31, v27, v13, v28
.LBB355_1504:                           ;   in Loop: Header=BB355_15 Depth=1
	s_or_b32 exec_lo, exec_lo, s22
.LBB355_1505:                           ;   in Loop: Header=BB355_15 Depth=1
	s_or_b32 exec_lo, exec_lo, s21
.LBB355_1506:                           ;   in Loop: Header=BB355_15 Depth=1
	s_or_b32 exec_lo, exec_lo, s20
	v_mov_b32_e32 v13, 0xff
	v_mov_b32_e32 v89, 0
	;; [unrolled: 1-line block ×3, first 2 shown]
	s_mov_b32 s20, exec_lo
	v_and_b32_sdwa v13, v24, v13 dst_sel:DWORD dst_unused:UNUSED_PAD src0_sel:WORD_1 src1_sel:DWORD
	v_cmpx_ne_u16_e32 0, v13
	s_cbranch_execz .LBB355_1514
; %bb.1507:                             ;   in Loop: Header=BB355_15 Depth=1
	v_bfrev_b32_e32 v88, 1
	s_mov_b32 s21, exec_lo
	v_cmpx_ne_u16_e32 0x80, v13
	s_cbranch_execz .LBB355_1513
; %bb.1508:                             ;   in Loop: Header=BB355_15 Depth=1
	v_bfe_u32 v29, v24, 16, 7
	v_mov_b32_e32 v88, 0x7f800001
	s_mov_b32 s22, exec_lo
	v_cmpx_ne_u32_e32 0x7f, v29
	s_cbranch_execz .LBB355_1512
; %bb.1509:                             ;   in Loop: Header=BB355_15 Depth=1
	v_mov_b32_e32 v13, 7
	s_mov_b32 s23, exec_lo
	v_and_b32_sdwa v13, v24, v13 dst_sel:DWORD dst_unused:UNUSED_PAD src0_sel:WORD_1 src1_sel:DWORD
	v_mov_b32_e32 v28, v14
	v_lshrrev_b32_e32 v28, 3, v29
	v_mov_b32_e32 v27, v13
	v_cmpx_gt_u32_e32 8, v29
; %bb.1510:                             ;   in Loop: Header=BB355_15 Depth=1
	v_ffbh_u32_e32 v27, v13
	v_min_u32_e32 v29, 32, v27
	v_subrev_nc_u32_e32 v27, 28, v29
	v_lshlrev_b64 v[27:28], v27, v[13:14]
	v_sub_nc_u32_e32 v28, 29, v29
	v_and_b32_e32 v27, 7, v27
; %bb.1511:                             ;   in Loop: Header=BB355_15 Depth=1
	s_or_b32 exec_lo, exec_lo, s23
	v_mov_b32_e32 v13, 24
	v_lshlrev_b32_e32 v27, 20, v27
	v_lshl_add_u32 v28, v28, 23, 0x3c000000
	v_lshlrev_b32_sdwa v13, v13, v24 dst_sel:DWORD dst_unused:UNUSED_PAD src0_sel:DWORD src1_sel:WORD_1
	v_and_b32_e32 v13, 0x80000000, v13
	v_or3_b32 v88, v27, v13, v28
.LBB355_1512:                           ;   in Loop: Header=BB355_15 Depth=1
	s_or_b32 exec_lo, exec_lo, s22
.LBB355_1513:                           ;   in Loop: Header=BB355_15 Depth=1
	s_or_b32 exec_lo, exec_lo, s21
.LBB355_1514:                           ;   in Loop: Header=BB355_15 Depth=1
	s_or_b32 exec_lo, exec_lo, s20
	s_mov_b32 s20, exec_lo
	v_cmpx_lt_u32_e32 0xffffff, v24
	s_cbranch_execz .LBB355_1522
; %bb.1515:                             ;   in Loop: Header=BB355_15 Depth=1
	v_cmp_ne_u32_sdwa s5, v24, v7 src0_sel:BYTE_3 src1_sel:DWORD
	v_bfrev_b32_e32 v89, 1
	s_and_saveexec_b32 s21, s5
	s_cbranch_execz .LBB355_1521
; %bb.1516:                             ;   in Loop: Header=BB355_15 Depth=1
	v_bfe_u32 v29, v24, 24, 7
	v_mov_b32_e32 v89, 0x7f800001
	s_mov_b32 s22, exec_lo
	v_cmpx_ne_u32_e32 0x7f, v29
	s_cbranch_execz .LBB355_1520
; %bb.1517:                             ;   in Loop: Header=BB355_15 Depth=1
	v_mov_b32_e32 v13, 7
	s_mov_b32 s23, exec_lo
	v_and_b32_sdwa v13, v24, v13 dst_sel:DWORD dst_unused:UNUSED_PAD src0_sel:BYTE_3 src1_sel:DWORD
	v_mov_b32_e32 v28, v14
	v_lshrrev_b32_e32 v28, 3, v29
	v_mov_b32_e32 v27, v13
	v_cmpx_gt_u32_e32 8, v29
; %bb.1518:                             ;   in Loop: Header=BB355_15 Depth=1
	v_ffbh_u32_e32 v27, v13
	v_min_u32_e32 v29, 32, v27
	v_subrev_nc_u32_e32 v27, 28, v29
	v_lshlrev_b64 v[27:28], v27, v[13:14]
	v_sub_nc_u32_e32 v28, 29, v29
	v_and_b32_e32 v27, 7, v27
; %bb.1519:                             ;   in Loop: Header=BB355_15 Depth=1
	s_or_b32 exec_lo, exec_lo, s23
	v_mov_b32_e32 v13, 24
	v_lshlrev_b32_e32 v27, 20, v27
	v_lshl_add_u32 v28, v28, 23, 0x3c000000
	v_lshlrev_b32_sdwa v13, v13, v24 dst_sel:DWORD dst_unused:UNUSED_PAD src0_sel:DWORD src1_sel:BYTE_3
	v_and_b32_e32 v13, 0x80000000, v13
	v_or3_b32 v89, v27, v13, v28
.LBB355_1520:                           ;   in Loop: Header=BB355_15 Depth=1
	s_or_b32 exec_lo, exec_lo, s22
.LBB355_1521:                           ;   in Loop: Header=BB355_15 Depth=1
	s_or_b32 exec_lo, exec_lo, s21
.LBB355_1522:                           ;   in Loop: Header=BB355_15 Depth=1
	s_or_b32 exec_lo, exec_lo, s20
	v_mov_b32_e32 v13, v25
	v_cmp_ne_u16_sdwa s5, v25, v14 src0_sel:BYTE_0 src1_sel:DWORD
	v_mov_b32_e32 v92, 0
	v_mov_b32_e32 v91, 0
	s_and_saveexec_b32 s20, s5
	s_cbranch_execz .LBB355_1530
; %bb.1523:                             ;   in Loop: Header=BB355_15 Depth=1
	v_cmp_ne_u16_sdwa s5, v25, v7 src0_sel:BYTE_0 src1_sel:DWORD
	v_bfrev_b32_e32 v91, 1
	s_and_saveexec_b32 s21, s5
	s_cbranch_execz .LBB355_1529
; %bb.1524:                             ;   in Loop: Header=BB355_15 Depth=1
	v_and_b32_e32 v29, 0x7f, v25
	v_mov_b32_e32 v91, 0x7f800001
	s_mov_b32 s22, exec_lo
	v_cmpx_ne_u32_e32 0x7f, v29
	s_cbranch_execz .LBB355_1528
; %bb.1525:                             ;   in Loop: Header=BB355_15 Depth=1
	v_mov_b32_e32 v28, v14
	v_mov_b32_e32 v27, v13
	v_lshrrev_b32_e32 v28, 3, v29
	s_mov_b32 s23, exec_lo
	v_cmpx_gt_u32_e32 8, v29
; %bb.1526:                             ;   in Loop: Header=BB355_15 Depth=1
	v_and_b32_e32 v27, 7, v25
	v_ffbh_u32_e32 v27, v27
	v_min_u32_e32 v29, 32, v27
	v_subrev_nc_u32_e32 v27, 28, v29
	v_lshlrev_b64 v[27:28], v27, v[13:14]
	v_sub_nc_u32_e32 v28, 29, v29
; %bb.1527:                             ;   in Loop: Header=BB355_15 Depth=1
	s_or_b32 exec_lo, exec_lo, s23
	v_lshlrev_b32_e32 v27, 20, v27
	v_lshlrev_b32_e32 v29, 24, v13
	v_lshl_add_u32 v28, v28, 23, 0x3c000000
	v_and_b32_e32 v27, 0x700000, v27
	v_and_b32_e32 v29, 0x80000000, v29
	v_or3_b32 v91, v27, v29, v28
.LBB355_1528:                           ;   in Loop: Header=BB355_15 Depth=1
	s_or_b32 exec_lo, exec_lo, s22
.LBB355_1529:                           ;   in Loop: Header=BB355_15 Depth=1
	s_or_b32 exec_lo, exec_lo, s21
.LBB355_1530:                           ;   in Loop: Header=BB355_15 Depth=1
	s_or_b32 exec_lo, exec_lo, s20
	v_cmp_ne_u16_sdwa s5, v13, v14 src0_sel:BYTE_1 src1_sel:DWORD
	s_and_saveexec_b32 s20, s5
	s_cbranch_execz .LBB355_1538
; %bb.1531:                             ;   in Loop: Header=BB355_15 Depth=1
	v_cmp_ne_u16_sdwa s5, v13, v7 src0_sel:BYTE_1 src1_sel:DWORD
	v_bfrev_b32_e32 v92, 1
	s_and_saveexec_b32 s21, s5
	s_cbranch_execz .LBB355_1537
; %bb.1532:                             ;   in Loop: Header=BB355_15 Depth=1
	v_mov_b32_e32 v27, 0xffff
	v_mov_b32_e32 v92, 0x7f800001
	s_mov_b32 s22, exec_lo
	v_and_b32_sdwa v27, v27, v13 dst_sel:DWORD dst_unused:UNUSED_PAD src0_sel:DWORD src1_sel:BYTE_1
	v_and_b32_e32 v30, 0x7f, v27
	v_cmpx_ne_u32_e32 0x7f, v30
	s_cbranch_execz .LBB355_1536
; %bb.1533:                             ;   in Loop: Header=BB355_15 Depth=1
	v_and_b32_e32 v27, 7, v27
	v_mov_b32_e32 v28, v14
	v_lshrrev_b32_e32 v29, 3, v30
	s_mov_b32 s23, exec_lo
	v_cmpx_gt_u32_e32 8, v30
; %bb.1534:                             ;   in Loop: Header=BB355_15 Depth=1
	v_ffbh_u32_e32 v29, v27
	v_min_u32_e32 v29, 32, v29
	v_subrev_nc_u32_e32 v30, 28, v29
	v_sub_nc_u32_e32 v29, 29, v29
	v_lshlrev_b64 v[27:28], v30, v[27:28]
	v_and_b32_e32 v27, 7, v27
; %bb.1535:                             ;   in Loop: Header=BB355_15 Depth=1
	s_or_b32 exec_lo, exec_lo, s23
	v_lshlrev_b32_e32 v13, 16, v13
	v_lshlrev_b32_e32 v27, 20, v27
	v_lshl_add_u32 v28, v29, 23, 0x3c000000
	v_and_b32_e32 v13, 0x80000000, v13
	v_or3_b32 v92, v27, v13, v28
.LBB355_1536:                           ;   in Loop: Header=BB355_15 Depth=1
	s_or_b32 exec_lo, exec_lo, s22
.LBB355_1537:                           ;   in Loop: Header=BB355_15 Depth=1
	s_or_b32 exec_lo, exec_lo, s21
.LBB355_1538:                           ;   in Loop: Header=BB355_15 Depth=1
	s_or_b32 exec_lo, exec_lo, s20
	v_mov_b32_e32 v13, 0xff
	v_mov_b32_e32 v49, 0
	;; [unrolled: 1-line block ×3, first 2 shown]
	s_mov_b32 s20, exec_lo
	v_and_b32_sdwa v13, v25, v13 dst_sel:DWORD dst_unused:UNUSED_PAD src0_sel:WORD_1 src1_sel:DWORD
	v_cmpx_ne_u16_e32 0, v13
	s_cbranch_execz .LBB355_1546
; %bb.1539:                             ;   in Loop: Header=BB355_15 Depth=1
	v_bfrev_b32_e32 v32, 1
	s_mov_b32 s21, exec_lo
	v_cmpx_ne_u16_e32 0x80, v13
	s_cbranch_execz .LBB355_1545
; %bb.1540:                             ;   in Loop: Header=BB355_15 Depth=1
	v_bfe_u32 v29, v25, 16, 7
	v_mov_b32_e32 v32, 0x7f800001
	s_mov_b32 s22, exec_lo
	v_cmpx_ne_u32_e32 0x7f, v29
	s_cbranch_execz .LBB355_1544
; %bb.1541:                             ;   in Loop: Header=BB355_15 Depth=1
	v_mov_b32_e32 v13, 7
	s_mov_b32 s23, exec_lo
	v_and_b32_sdwa v13, v25, v13 dst_sel:DWORD dst_unused:UNUSED_PAD src0_sel:WORD_1 src1_sel:DWORD
	v_mov_b32_e32 v28, v14
	v_lshrrev_b32_e32 v28, 3, v29
	v_mov_b32_e32 v27, v13
	v_cmpx_gt_u32_e32 8, v29
; %bb.1542:                             ;   in Loop: Header=BB355_15 Depth=1
	v_ffbh_u32_e32 v27, v13
	v_min_u32_e32 v29, 32, v27
	v_subrev_nc_u32_e32 v27, 28, v29
	v_lshlrev_b64 v[27:28], v27, v[13:14]
	v_sub_nc_u32_e32 v28, 29, v29
	v_and_b32_e32 v27, 7, v27
; %bb.1543:                             ;   in Loop: Header=BB355_15 Depth=1
	s_or_b32 exec_lo, exec_lo, s23
	v_mov_b32_e32 v13, 24
	v_lshlrev_b32_e32 v27, 20, v27
	v_lshl_add_u32 v28, v28, 23, 0x3c000000
	v_lshlrev_b32_sdwa v13, v13, v25 dst_sel:DWORD dst_unused:UNUSED_PAD src0_sel:DWORD src1_sel:WORD_1
	v_and_b32_e32 v13, 0x80000000, v13
	v_or3_b32 v32, v27, v13, v28
.LBB355_1544:                           ;   in Loop: Header=BB355_15 Depth=1
	s_or_b32 exec_lo, exec_lo, s22
.LBB355_1545:                           ;   in Loop: Header=BB355_15 Depth=1
	s_or_b32 exec_lo, exec_lo, s21
.LBB355_1546:                           ;   in Loop: Header=BB355_15 Depth=1
	s_or_b32 exec_lo, exec_lo, s20
	buffer_store_dword v31, off, s[0:3], s32 offset:584 ; 4-byte Folded Spill
	buffer_store_dword v22, off, s[0:3], s32 offset:568 ; 4-byte Folded Spill
	s_clause 0x1
	buffer_load_dword v22, off, s[0:3], s32 offset:352
	buffer_load_dword v31, off, s[0:3], s32 offset:496
	s_mov_b32 s20, exec_lo
	v_cmpx_lt_u64_e64 s[12:13], v[24:25]
	s_cbranch_execz .LBB355_13
; %bb.1547:                             ;   in Loop: Header=BB355_15 Depth=1
	v_cmp_ne_u32_sdwa s5, v25, v7 src0_sel:BYTE_3 src1_sel:DWORD
	v_bfrev_b32_e32 v49, 1
	s_and_saveexec_b32 s21, s5
	s_cbranch_execz .LBB355_12
; %bb.1548:                             ;   in Loop: Header=BB355_15 Depth=1
	v_bfe_u32 v29, v25, 24, 7
	v_mov_b32_e32 v49, 0x7f800001
	s_mov_b32 s22, exec_lo
	v_cmpx_ne_u32_e32 0x7f, v29
	s_cbranch_execz .LBB355_11
; %bb.1549:                             ;   in Loop: Header=BB355_15 Depth=1
	v_mov_b32_e32 v13, 7
	v_lshrrev_b32_e32 v24, 3, v29
	s_mov_b32 s23, exec_lo
	v_and_b32_sdwa v13, v25, v13 dst_sel:DWORD dst_unused:UNUSED_PAD src0_sel:BYTE_3 src1_sel:DWORD
	v_mov_b32_e32 v28, v14
	v_mov_b32_e32 v27, v13
	v_cmpx_gt_u32_e32 8, v29
	s_cbranch_execz .LBB355_10
; %bb.1550:                             ;   in Loop: Header=BB355_15 Depth=1
	v_ffbh_u32_e32 v24, v13
	v_min_u32_e32 v24, 32, v24
	v_subrev_nc_u32_e32 v27, 28, v24
	v_sub_nc_u32_e32 v24, 29, v24
	v_lshlrev_b64 v[27:28], v27, v[13:14]
	v_and_b32_e32 v27, 7, v27
	s_branch .LBB355_10
.LBB355_1551:
	s_or_b32 exec_lo, exec_lo, s18
	buffer_load_dword v19, off, s[0:3], s32 offset:1716 ; 4-byte Folded Reload
.LBB355_1552:
	s_or_b32 exec_lo, exec_lo, s17
	v_mbcnt_lo_u32_b32 v0, -1, 0
	v_max_f32_e32 v4, v12, v12
	s_waitcnt lgkmcnt(0)
	s_lshr_b32 s12, s7, 16
	v_xor_b32_e32 v1, 16, v0
	v_xor_b32_e32 v3, 8, v0
	v_cmp_gt_i32_e32 vcc_lo, 32, v1
	v_cndmask_b32_e32 v1, v0, v1, vcc_lo
	v_cmp_gt_i32_e32 vcc_lo, 32, v3
	v_lshlrev_b32_e32 v1, 2, v1
	v_cndmask_b32_e32 v3, v0, v3, vcc_lo
	ds_bpermute_b32 v2, v1, v12
	s_waitcnt lgkmcnt(0)
	v_max_f32_e32 v5, v2, v2
	v_lshlrev_b32_e32 v2, 2, v3
	v_max_f32_e32 v4, v4, v5
	v_xor_b32_e32 v5, 4, v0
	ds_bpermute_b32 v3, v2, v4
	v_cmp_gt_i32_e32 vcc_lo, 32, v5
	v_cndmask_b32_e32 v5, v0, v5, vcc_lo
	s_waitcnt lgkmcnt(0)
	v_max_f32_e32 v6, v3, v3
	v_lshlrev_b32_e32 v3, 2, v5
	v_max_f32_e32 v4, v4, v6
	v_xor_b32_e32 v6, 2, v0
	ds_bpermute_b32 v5, v3, v4
	v_cmp_gt_i32_e32 vcc_lo, 32, v6
	v_cndmask_b32_e32 v6, v0, v6, vcc_lo
	v_lshlrev_b32_e32 v33, 2, v6
	v_xor_b32_e32 v6, 1, v0
	v_cmp_gt_i32_e32 vcc_lo, 32, v6
	s_waitcnt lgkmcnt(0)
	v_max_f32_e32 v5, v5, v5
	v_cndmask_b32_e32 v6, v0, v6, vcc_lo
	v_max_f32_e32 v4, v4, v5
	v_lshlrev_b32_e32 v54, 2, v6
	ds_bpermute_b32 v5, v33, v4
	s_waitcnt lgkmcnt(0)
	v_max_f32_e32 v5, v5, v5
	v_max_f32_e32 v0, v4, v5
	buffer_load_dword v4, off, s[0:3], s32 offset:852 ; 4-byte Folded Reload
	ds_bpermute_b32 v5, v54, v0
	s_waitcnt vmcnt(0)
	v_cmp_eq_u32_e32 vcc_lo, 0, v4
	buffer_load_dword v4, off, s[0:3], s32 offset:1664 ; 4-byte Folded Reload
	s_waitcnt vmcnt(0)
	v_lshlrev_b32_e32 v4, 2, v4
	s_and_saveexec_b32 s5, vcc_lo
	s_cbranch_execz .LBB355_1554
; %bb.1553:
	s_waitcnt lgkmcnt(0)
	v_max_f32_e32 v5, v5, v5
	v_max_f32_e32 v0, v0, v0
	;; [unrolled: 1-line block ×3, first 2 shown]
	ds_write_b32 v4, v0 offset:384
.LBB355_1554:
	s_or_b32 exec_lo, exec_lo, s5
	buffer_load_dword v0, off, s[0:3], s32 offset:852 ; 4-byte Folded Reload
	s_waitcnt vmcnt(0) lgkmcnt(0)
	s_waitcnt_vscnt null, 0x0
	s_barrier
	buffer_gl0_inv
	v_cmp_gt_u32_e64 s5, 4, v0
	v_mov_b32_e32 v0, 0xff7fffff
	s_and_saveexec_b32 s6, s5
; %bb.1555:
	ds_read_b32 v0, v19 offset:384
; %bb.1556:
	s_or_b32 exec_lo, exec_lo, s6
	s_waitcnt lgkmcnt(0)
	ds_bpermute_b32 v5, v33, v0
	v_max_f32_e32 v0, v0, v0
	buffer_load_dword v7, off, s[0:3], s32 offset:856 ; 4-byte Folded Reload
	s_waitcnt lgkmcnt(0)
	v_max_f32_e32 v5, v5, v5
	v_max_f32_e32 v0, v0, v5
	ds_bpermute_b32 v5, v54, v0
	s_waitcnt lgkmcnt(0)
	v_max_f32_e32 v5, v5, v5
	v_max_f32_e32 v0, v0, v5
	v_mov_b32_e32 v5, 0
	ds_bpermute_b32 v6, v5, v0
	buffer_load_dword v0, off, s[0:3], s32 offset:192 ; 4-byte Folded Reload
	s_waitcnt vmcnt(0)
	v_lshlrev_b32_e32 v0, 5, v0
	v_min_i32_e32 v0, v0, v123
	v_cmp_lt_i32_e64 s6, v7, v0
	s_and_saveexec_b32 s13, s6
	s_cbranch_execz .LBB355_1560
; %bb.1557:
	buffer_load_dword v8, off, s[0:3], s32 offset:856 ; 4-byte Folded Reload
	s_load_dword s7, s[8:9], 0x0
	v_mov_b32_e32 v5, 0
	s_mov_b32 s17, 0
	s_waitcnt vmcnt(0) lgkmcnt(0)
	v_lshl_add_u32 v7, v8, 2, s7
	.p2align	6
.LBB355_1558:                           ; =>This Inner Loop Header: Depth=1
	ds_read_b32 v9, v7
	v_add_nc_u32_e32 v8, 0x80, v8
	v_cmp_ge_i32_e64 s7, v8, v0
	s_or_b32 s17, s7, s17
	s_waitcnt lgkmcnt(0)
	v_sub_f32_e32 v9, v9, v6
	v_mul_f32_e32 v9, 0x3fb8aa3b, v9
	v_exp_f32_e32 v9, v9
	ds_write_b32 v7, v9
	v_add_f32_e32 v5, v5, v9
	v_add_nc_u32_e32 v7, 0x200, v7
	s_andn2_b32 exec_lo, exec_lo, s17
	s_cbranch_execnz .LBB355_1558
; %bb.1559:
	s_or_b32 exec_lo, exec_lo, s17
.LBB355_1560:
	s_or_b32 exec_lo, exec_lo, s13
	ds_bpermute_b32 v1, v1, v5
	s_waitcnt lgkmcnt(0)
	v_add_f32_e32 v1, v5, v1
	ds_bpermute_b32 v2, v2, v1
	s_waitcnt lgkmcnt(0)
	v_add_f32_e32 v1, v1, v2
	;; [unrolled: 3-line block ×5, first 2 shown]
	s_and_saveexec_b32 s7, vcc_lo
; %bb.1561:
	ds_write_b32 v4, v1 offset:400
; %bb.1562:
	s_or_b32 exec_lo, exec_lo, s7
	s_waitcnt lgkmcnt(0)
	s_barrier
	buffer_gl0_inv
	s_and_saveexec_b32 s7, s5
; %bb.1563:
	ds_read_b32 v1, v19 offset:400
; %bb.1564:
	s_or_b32 exec_lo, exec_lo, s7
	s_waitcnt lgkmcnt(0)
	ds_bpermute_b32 v2, v33, v1
	s_waitcnt lgkmcnt(0)
	v_add_f32_e32 v1, v1, v2
	ds_bpermute_b32 v2, v54, v1
	s_waitcnt lgkmcnt(0)
	v_add_f32_e32 v1, v1, v2
	v_mov_b32_e32 v2, 0
	ds_bpermute_b32 v1, v2, v1
	s_and_saveexec_b32 s5, s6
	s_cbranch_execz .LBB355_1567
; %bb.1565:
	s_waitcnt lgkmcnt(0)
	v_add_f32_e32 v2, 0x358637bd, v1
	s_load_dword s6, s[8:9], 0x0
	v_div_scale_f32 v1, null, v2, v2, 1.0
	v_div_scale_f32 v5, vcc_lo, 1.0, v2, 1.0
	v_rcp_f32_e32 v3, v1
	v_fma_f32 v4, -v1, v3, 1.0
	v_fmac_f32_e32 v3, v4, v3
	v_mul_f32_e32 v4, v5, v3
	v_fma_f32 v6, -v1, v4, v5
	v_fmac_f32_e32 v4, v6, v3
	v_fma_f32 v1, -v1, v4, v5
	v_div_fmas_f32 v3, v1, v3, v4
	buffer_load_dword v4, off, s[0:3], s32 offset:856 ; 4-byte Folded Reload
	v_div_fixup_f32 v2, v3, v2, 1.0
	s_waitcnt vmcnt(0) lgkmcnt(0)
	v_lshl_add_u32 v1, v4, 2, s6
	v_mov_b32_e32 v3, v4
	s_mov_b32 s6, 0
.LBB355_1566:                           ; =>This Inner Loop Header: Depth=1
	ds_read_b32 v4, v1
	v_add_nc_u32_e32 v3, 0x80, v3
	v_cmp_ge_i32_e32 vcc_lo, v3, v0
	s_or_b32 s6, vcc_lo, s6
	s_waitcnt lgkmcnt(0)
	v_mul_f32_e32 v4, v2, v4
	ds_write_b32 v1, v4
	v_add_nc_u32_e32 v1, 0x200, v1
	s_andn2_b32 exec_lo, exec_lo, s6
	s_cbranch_execnz .LBB355_1566
.LBB355_1567:
	s_or_b32 exec_lo, exec_lo, s5
	v_mov_b32_e32 v19, 0
	v_mov_b32_e32 v17, 0
	;; [unrolled: 1-line block ×24, first 2 shown]
	s_waitcnt lgkmcnt(0)
	s_barrier
	buffer_gl0_inv
	s_and_saveexec_b32 s5, s4
	s_cbranch_execz .LBB355_3157
; %bb.1568:
	buffer_store_dword v33, off, s[0:3], s32 offset:724 ; 4-byte Folded Spill
	buffer_store_dword v54, off, s[0:3], s32 offset:720 ; 4-byte Folded Spill
	s_clause 0x1
	buffer_load_dword v0, off, s[0:3], s32 offset:1668
	buffer_load_dword v1, off, s[0:3], s32 offset:1688
	v_mov_b32_e32 v5, 0
	v_mov_b32_e32 v6, 0
	;; [unrolled: 1-line block ×6, first 2 shown]
	s_mov_b32 s6, -1
	s_mov_b32 s7, 0xffffff
	s_mov_b32 s13, 0
	s_waitcnt vmcnt(0)
	v_max_i32_e32 v86, v0, v1
	s_clause 0x2
	buffer_load_dword v1, off, s[0:3], s32 offset:1676
	buffer_load_dword v2, off, s[0:3], s32 offset:1692
	;; [unrolled: 1-line block ×3, first 2 shown]
	v_cvt_f32_u32_e32 v0, v86
	v_rcp_iflag_f32_e32 v0, v0
	v_mul_f32_e32 v0, 0x4f7ffffe, v0
	v_cvt_u32_f32_e32 v0, v0
	s_waitcnt vmcnt(1)
	v_add_co_u32 v1, vcc_lo, v1, v2
	buffer_store_dword v1, off, s[0:3], s32 offset:700 ; 4-byte Folded Spill
	buffer_load_dword v1, off, s[0:3], s32 offset:1672 ; 4-byte Folded Reload
	s_waitcnt vmcnt(0)
	v_add_co_ci_u32_e64 v1, null, v1, v3, vcc_lo
	buffer_store_dword v1, off, s[0:3], s32 offset:704 ; 4-byte Folded Spill
	s_clause 0x2
	buffer_load_dword v1, off, s[0:3], s32 offset:856
	buffer_load_dword v2, off, s[0:3], s32 offset:1712
	;; [unrolled: 1-line block ×3, first 2 shown]
	s_waitcnt vmcnt(2)
	v_lshlrev_b32_e32 v1, 3, v1
	s_waitcnt vmcnt(0)
	v_add_co_u32 v2, vcc_lo, v2, v3
	s_clause 0x1
	buffer_load_dword v3, off, s[0:3], s32 offset:1708
	buffer_load_dword v4, off, s[0:3], s32 offset:1684
	buffer_store_dword v5, off, s[0:3], s32 offset:620 ; 4-byte Folded Spill
	v_mov_b32_e32 v5, 0
	buffer_store_dword v6, off, s[0:3], s32 offset:660 ; 4-byte Folded Spill
	v_mov_b32_e32 v6, 0
	;; [unrolled: 2-line block ×3, first 2 shown]
	buffer_store_dword v6, off, s[0:3], s32 offset:664 ; 4-byte Folded Spill
	buffer_store_dword v5, off, s[0:3], s32 offset:628 ; 4-byte Folded Spill
	v_mov_b32_e32 v5, 0
	buffer_store_dword v5, off, s[0:3], s32 offset:632 ; 4-byte Folded Spill
	v_mov_b32_e32 v5, 0
	;; [unrolled: 2-line block ×7, first 2 shown]
	buffer_store_dword v5, off, s[0:3], s32 offset:656 ; 4-byte Folded Spill
	v_and_b32_e32 v5, 0xf8, v1
	v_and_b32_e32 v1, 24, v1
	buffer_store_dword v1, off, s[0:3], s32 offset:708 ; 4-byte Folded Spill
	s_waitcnt vmcnt(0)
	v_add_co_ci_u32_e64 v3, null, v3, v4, vcc_lo
	v_mov_b32_e32 v4, 0
	v_add_co_u32 v1, vcc_lo, v2, v5
	v_add_co_ci_u32_e64 v2, null, 0, v3, vcc_lo
	buffer_store_dword v4, off, s[0:3], s32 offset:604 ; 4-byte Folded Spill
	v_mov_b32_e32 v4, 0
	buffer_store_dword v4, off, s[0:3], s32 offset:608 ; 4-byte Folded Spill
	v_mov_b32_e32 v4, 0
	buffer_store_dword v4, off, s[0:3], s32 offset:612 ; 4-byte Folded Spill
	v_mov_b32_e32 v4, 0
	buffer_store_dword v4, off, s[0:3], s32 offset:616 ; 4-byte Folded Spill
	buffer_store_dword v1, off, s[0:3], s32 offset:712 ; 4-byte Folded Spill
	;; [unrolled: 1-line block ×3, first 2 shown]
	buffer_load_dword v15, off, s[0:3], s32 offset:1664 ; 4-byte Folded Reload
	v_sub_nc_u32_e32 v4, 0, v86
	v_mul_lo_u32 v4, v4, v0
	v_mul_hi_u32 v4, v0, v4
	v_add_nc_u32_e32 v0, v0, v4
	buffer_store_dword v0, off, s[0:3], s32 offset:696 ; 4-byte Folded Spill
	v_mov_b32_e32 v0, 0
	buffer_store_dword v0, off, s[0:3], s32 offset:668 ; 4-byte Folded Spill
	v_mov_b32_e32 v0, 0
	;; [unrolled: 2-line block ×7, first 2 shown]
	buffer_store_dword v0, off, s[0:3], s32 offset:692 ; 4-byte Folded Spill
	s_branch .LBB355_1571
.LBB355_1569:                           ;   in Loop: Header=BB355_1571 Depth=1
	s_or_b32 exec_lo, exec_lo, s4
	v_bfe_u32 v35, v6, 16, 1
	v_or_b32_e32 v37, 0x400000, v6
	v_cmp_u_f32_e32 vcc_lo, v6, v6
	v_lshlrev_b32_e32 v29, 16, v29
	v_lshlrev_b32_e32 v30, 16, v30
	v_add3_u32 v35, v35, v6, 0x7fff
	v_lshlrev_b32_e32 v18, 16, v18
	v_lshlrev_b32_e32 v32, 16, v32
	;; [unrolled: 1-line block ×4, first 2 shown]
	v_cndmask_b32_e32 v6, v35, v37, vcc_lo
	v_bfe_u32 v35, v7, 16, 1
	v_or_b32_e32 v37, 0x400000, v7
	v_cmp_u_f32_e32 vcc_lo, v7, v7
	v_lshlrev_b32_e32 v0, 16, v0
	v_lshlrev_b32_e32 v1, 16, v1
	v_add3_u32 v35, v35, v7, 0x7fff
	v_cndmask_b32_e32 v7, v35, v37, vcc_lo
	v_bfe_u32 v35, v8, 16, 1
	v_or_b32_e32 v37, 0x400000, v8
	v_cmp_u_f32_e32 vcc_lo, v8, v8
	v_add3_u32 v35, v35, v8, 0x7fff
	v_bfe_u32 v8, v9, 16, 1
	v_cndmask_b32_e32 v35, v35, v37, vcc_lo
	v_add3_u32 v8, v8, v9, 0x7fff
	v_or_b32_e32 v37, 0x400000, v9
	v_cmp_u_f32_e32 vcc_lo, v9, v9
	v_or_b32_e32 v9, 0x400000, v2
	v_cndmask_b32_e32 v37, v8, v37, vcc_lo
	v_bfe_u32 v8, v2, 16, 1
	v_cmp_u_f32_e32 vcc_lo, v2, v2
	v_add3_u32 v8, v8, v2, 0x7fff
	v_cndmask_b32_e32 v2, v8, v9, vcc_lo
	v_bfe_u32 v8, v3, 16, 1
	v_or_b32_e32 v9, 0x400000, v3
	v_cmp_u_f32_e32 vcc_lo, v3, v3
	v_add3_u32 v8, v8, v3, 0x7fff
	v_cndmask_b32_e32 v3, v8, v9, vcc_lo
	v_bfe_u32 v8, v4, 16, 1
	v_or_b32_e32 v9, 0x400000, v4
	v_cmp_u_f32_e32 vcc_lo, v4, v4
	v_add3_u32 v8, v8, v4, 0x7fff
	v_bfe_u32 v4, v5, 16, 1
	v_cndmask_b32_e32 v112, v8, v9, vcc_lo
	v_add3_u32 v4, v4, v5, 0x7fff
	v_or_b32_e32 v8, 0x400000, v5
	v_cmp_u_f32_e32 vcc_lo, v5, v5
	v_and_b32_e32 v9, 0xffff0000, v6
	v_cndmask_b32_e32 v113, v4, v8, vcc_lo
	v_and_b32_e32 v8, 0xffff0000, v7
	v_lshlrev_b32_e32 v4, 16, v38
	v_mul_f32_e32 v13, v9, v13
	v_mul_f32_e32 v0, v9, v0
	;; [unrolled: 1-line block ×3, first 2 shown]
	v_bfe_u32 v5, v4, 16, 1
	v_or_b32_e32 v7, 0x400000, v4
	v_cmp_u_f32_e32 vcc_lo, v4, v4
	v_add3_u32 v5, v5, v4, 0x7fff
	v_lshlrev_b32_e32 v4, 16, v100
	v_cndmask_b32_e32 v38, v5, v7, vcc_lo
	v_mul_f32_e32 v4, v9, v4
	v_and_b32_e32 v38, 0xffff0000, v38
	v_bfe_u32 v5, v4, 16, 1
	v_or_b32_e32 v6, 0x400000, v4
	v_cmp_u_f32_e32 vcc_lo, v4, v4
	v_add3_u32 v5, v5, v4, 0x7fff
	v_lshlrev_b32_e32 v4, 16, v12
	v_cndmask_b32_e32 v100, v5, v6, vcc_lo
	v_and_b32_e32 v6, 0xffff0000, v37
	v_mul_f32_e32 v4, v6, v4
	v_mul_f32_e32 v29, v6, v29
	v_bfe_u32 v5, v4, 16, 1
	v_or_b32_e32 v7, 0x400000, v4
	v_cmp_u_f32_e32 vcc_lo, v4, v4
	v_add3_u32 v5, v5, v4, 0x7fff
	v_lshlrev_b32_e32 v4, 16, v49
	v_cndmask_b32_e32 v12, v5, v7, vcc_lo
	v_and_b32_e32 v7, 0xffff0000, v35
	v_and_b32_e32 v12, 0xffff0000, v12
	v_mul_f32_e32 v4, v7, v4
	v_mul_f32_e32 v30, v7, v30
	v_bfe_u32 v5, v4, 16, 1
	v_or_b32_e32 v35, 0x400000, v4
	v_cmp_u_f32_e32 vcc_lo, v4, v4
	v_add3_u32 v5, v5, v4, 0x7fff
	v_and_b32_e32 v4, 0xffff0000, v3
	v_lshlrev_b32_e32 v3, 16, v84
	v_cndmask_b32_e32 v35, v5, v35, vcc_lo
	v_mul_f32_e32 v3, v4, v3
	v_and_b32_e32 v35, 0xffff0000, v35
	v_bfe_u32 v5, v3, 16, 1
	v_or_b32_e32 v37, 0x400000, v3
	v_cmp_u_f32_e32 vcc_lo, v3, v3
	v_add_f32_e32 v12, v35, v12
	v_add3_u32 v5, v5, v3, 0x7fff
	v_cndmask_b32_e32 v37, v5, v37, vcc_lo
	v_and_b32_e32 v5, 0xffff0000, v2
	v_lshlrev_b32_e32 v2, 16, v85
	v_and_b32_e32 v37, 0xffff0000, v37
	v_mul_f32_e32 v18, v5, v18
	v_mul_f32_e32 v2, v5, v2
	v_bfe_u32 v3, v2, 16, 1
	v_or_b32_e32 v49, 0x400000, v2
	v_cmp_u_f32_e32 vcc_lo, v2, v2
	v_add3_u32 v3, v3, v2, 0x7fff
	v_and_b32_e32 v2, 0xffff0000, v113
	v_cndmask_b32_e32 v49, v3, v49, vcc_lo
	v_lshlrev_b32_e32 v3, 16, v101
	v_mul_f32_e32 v14, v2, v14
	v_and_b32_e32 v35, 0xffff0000, v49
	v_mul_f32_e32 v3, v2, v3
	v_add_f32_e32 v35, v35, v37
	v_bfe_u32 v84, v3, 16, 1
	v_or_b32_e32 v85, 0x400000, v3
	v_cmp_u_f32_e32 vcc_lo, v3, v3
	v_add3_u32 v84, v84, v3, 0x7fff
	v_and_b32_e32 v3, 0xffff0000, v112
	v_cndmask_b32_e32 v84, v84, v85, vcc_lo
	v_lshlrev_b32_e32 v85, 16, v98
	v_mul_f32_e32 v32, v3, v32
	v_mul_f32_e32 v1, v3, v1
	v_and_b32_e32 v37, 0xffff0000, v84
	v_mul_f32_e32 v85, v3, v85
	v_bfe_u32 v98, v85, 16, 1
	v_or_b32_e32 v101, 0x400000, v85
	v_cmp_u_f32_e32 vcc_lo, v85, v85
	v_add3_u32 v98, v98, v85, 0x7fff
	v_cndmask_b32_e32 v85, v98, v101, vcc_lo
	v_and_b32_e32 v98, 0xffff0000, v100
	v_add_f32_e32 v38, v98, v38
	v_add_f32_e32 v12, v38, v12
	;; [unrolled: 1-line block ×3, first 2 shown]
	v_and_b32_e32 v35, 0xffff0000, v85
	v_add_f32_e32 v35, v35, v37
	v_add_f32_e32 v12, v12, v35
	buffer_load_dword v35, off, s[0:3], s32 offset:604 ; 4-byte Folded Reload
	s_waitcnt vmcnt(0)
	v_add_f32_e32 v35, v35, v12
	v_lshlrev_b32_e32 v12, 16, v80
	buffer_store_dword v35, off, s[0:3], s32 offset:604 ; 4-byte Folded Spill
	v_mul_f32_e32 v12, v8, v12
	v_bfe_u32 v35, v12, 16, 1
	v_or_b32_e32 v37, 0x400000, v12
	v_cmp_u_f32_e32 vcc_lo, v12, v12
	v_add3_u32 v35, v35, v12, 0x7fff
	v_cndmask_b32_e32 v12, v35, v37, vcc_lo
	v_lshlrev_b32_e32 v35, 16, v82
	v_and_b32_e32 v12, 0xffff0000, v12
	v_mul_f32_e32 v35, v9, v35
	v_bfe_u32 v37, v35, 16, 1
	v_or_b32_e32 v38, 0x400000, v35
	v_cmp_u_f32_e32 vcc_lo, v35, v35
	v_add3_u32 v37, v37, v35, 0x7fff
	v_cndmask_b32_e32 v35, v37, v38, vcc_lo
	v_lshlrev_b32_e32 v37, 16, v52
	v_and_b32_e32 v35, 0xffff0000, v35
	v_mul_f32_e32 v37, v6, v37
	v_add_f32_e32 v12, v35, v12
	v_bfe_u32 v38, v37, 16, 1
	v_or_b32_e32 v49, 0x400000, v37
	v_cmp_u_f32_e32 vcc_lo, v37, v37
	v_add3_u32 v38, v38, v37, 0x7fff
	v_cndmask_b32_e32 v37, v38, v49, vcc_lo
	v_lshlrev_b32_e32 v38, 16, v71
	v_and_b32_e32 v37, 0xffff0000, v37
	v_mul_f32_e32 v38, v7, v38
	v_bfe_u32 v49, v38, 16, 1
	v_or_b32_e32 v52, 0x400000, v38
	v_cmp_u_f32_e32 vcc_lo, v38, v38
	v_add3_u32 v49, v49, v38, 0x7fff
	v_cndmask_b32_e32 v38, v49, v52, vcc_lo
	v_lshlrev_b32_e32 v49, 16, v68
	v_and_b32_e32 v35, 0xffff0000, v38
	v_mul_f32_e32 v49, v4, v49
	v_add_f32_e32 v35, v35, v37
	v_bfe_u32 v52, v49, 16, 1
	v_or_b32_e32 v68, 0x400000, v49
	v_cmp_u_f32_e32 vcc_lo, v49, v49
	v_add_f32_e32 v12, v12, v35
	v_add3_u32 v52, v52, v49, 0x7fff
	v_cndmask_b32_e32 v49, v52, v68, vcc_lo
	v_lshlrev_b32_e32 v52, 16, v69
	v_and_b32_e32 v37, 0xffff0000, v49
	v_mul_f32_e32 v52, v5, v52
	v_bfe_u32 v68, v52, 16, 1
	v_or_b32_e32 v69, 0x400000, v52
	v_cmp_u_f32_e32 vcc_lo, v52, v52
	v_add3_u32 v68, v68, v52, 0x7fff
	v_cndmask_b32_e32 v52, v68, v69, vcc_lo
	v_lshlrev_b32_e32 v68, 16, v83
	v_and_b32_e32 v35, 0xffff0000, v52
	v_mul_f32_e32 v68, v2, v68
	v_add_f32_e32 v35, v35, v37
	v_bfe_u32 v69, v68, 16, 1
	v_or_b32_e32 v71, 0x400000, v68
	v_cmp_u_f32_e32 vcc_lo, v68, v68
	v_add_f32_e32 v12, v12, v35
	v_add3_u32 v69, v69, v68, 0x7fff
	v_cndmask_b32_e32 v68, v69, v71, vcc_lo
	v_lshlrev_b32_e32 v69, 16, v81
	v_and_b32_e32 v37, 0xffff0000, v68
	v_mul_f32_e32 v69, v3, v69
	v_bfe_u32 v71, v69, 16, 1
	v_or_b32_e32 v80, 0x400000, v69
	v_cmp_u_f32_e32 vcc_lo, v69, v69
	v_add3_u32 v71, v71, v69, 0x7fff
	v_cndmask_b32_e32 v69, v71, v80, vcc_lo
	v_and_b32_e32 v35, 0xffff0000, v69
	v_add_f32_e32 v35, v35, v37
	v_add_f32_e32 v12, v12, v35
	buffer_load_dword v35, off, s[0:3], s32 offset:608 ; 4-byte Folded Reload
	s_waitcnt vmcnt(0)
	v_add_f32_e32 v35, v35, v12
	v_lshlrev_b32_e32 v12, 16, v23
	buffer_store_dword v35, off, s[0:3], s32 offset:608 ; 4-byte Folded Spill
	v_mul_f32_e32 v12, v8, v12
	v_bfe_u32 v23, v12, 16, 1
	v_or_b32_e32 v35, 0x400000, v12
	v_cmp_u_f32_e32 vcc_lo, v12, v12
	v_add3_u32 v23, v23, v12, 0x7fff
	v_cndmask_b32_e32 v12, v23, v35, vcc_lo
	v_lshlrev_b32_e32 v23, 16, v66
	v_and_b32_e32 v12, 0xffff0000, v12
	v_mul_f32_e32 v23, v9, v23
	v_bfe_u32 v35, v23, 16, 1
	v_or_b32_e32 v37, 0x400000, v23
	v_cmp_u_f32_e32 vcc_lo, v23, v23
	v_add3_u32 v35, v35, v23, 0x7fff
	v_cndmask_b32_e32 v23, v35, v37, vcc_lo
	v_lshlrev_b32_e32 v35, 16, v54
	v_and_b32_e32 v23, 0xffff0000, v23
	v_mul_f32_e32 v35, v6, v35
	v_add_f32_e32 v12, v23, v12
	v_bfe_u32 v37, v35, 16, 1
	v_or_b32_e32 v38, 0x400000, v35
	v_cmp_u_f32_e32 vcc_lo, v35, v35
	v_add3_u32 v37, v37, v35, 0x7fff
	v_cndmask_b32_e32 v35, v37, v38, vcc_lo
	v_lshlrev_b32_e32 v37, 16, v55
	v_and_b32_e32 v35, 0xffff0000, v35
	v_mul_f32_e32 v37, v7, v37
	v_bfe_u32 v38, v37, 16, 1
	v_or_b32_e32 v49, 0x400000, v37
	v_cmp_u_f32_e32 vcc_lo, v37, v37
	v_add3_u32 v38, v38, v37, 0x7fff
	v_cndmask_b32_e32 v37, v38, v49, vcc_lo
	v_lshlrev_b32_e32 v38, 16, v50
	v_and_b32_e32 v23, 0xffff0000, v37
	v_mul_f32_e32 v38, v4, v38
	v_add_f32_e32 v23, v23, v35
	v_bfe_u32 v49, v38, 16, 1
	v_or_b32_e32 v50, 0x400000, v38
	v_cmp_u_f32_e32 vcc_lo, v38, v38
	v_add_f32_e32 v12, v12, v23
	v_add3_u32 v49, v49, v38, 0x7fff
	v_cndmask_b32_e32 v38, v49, v50, vcc_lo
	v_lshlrev_b32_e32 v49, 16, v53
	v_and_b32_e32 v35, 0xffff0000, v38
	v_mul_f32_e32 v49, v5, v49
	v_bfe_u32 v50, v49, 16, 1
	v_or_b32_e32 v52, 0x400000, v49
	v_cmp_u_f32_e32 vcc_lo, v49, v49
	v_add3_u32 v50, v50, v49, 0x7fff
	v_cndmask_b32_e32 v49, v50, v52, vcc_lo
	v_lshlrev_b32_e32 v50, 16, v67
	v_and_b32_e32 v23, 0xffff0000, v49
	v_mul_f32_e32 v50, v2, v50
	v_add_f32_e32 v23, v23, v35
	v_bfe_u32 v52, v50, 16, 1
	v_or_b32_e32 v53, 0x400000, v50
	v_cmp_u_f32_e32 vcc_lo, v50, v50
	v_add_f32_e32 v12, v12, v23
	v_add3_u32 v52, v52, v50, 0x7fff
	v_cndmask_b32_e32 v50, v52, v53, vcc_lo
	v_lshlrev_b32_e32 v52, 16, v65
	v_and_b32_e32 v35, 0xffff0000, v50
	v_mul_f32_e32 v52, v3, v52
	v_bfe_u32 v53, v52, 16, 1
	v_or_b32_e32 v54, 0x400000, v52
	v_cmp_u_f32_e32 vcc_lo, v52, v52
	v_add3_u32 v53, v53, v52, 0x7fff
	v_cndmask_b32_e32 v52, v53, v54, vcc_lo
	v_and_b32_e32 v23, 0xffff0000, v52
	v_add_f32_e32 v23, v23, v35
	v_add_f32_e32 v12, v12, v23
	buffer_load_dword v23, off, s[0:3], s32 offset:612 ; 4-byte Folded Reload
	s_waitcnt vmcnt(0)
	v_add_f32_e32 v23, v23, v12
	v_lshlrev_b32_e32 v12, 16, v31
	buffer_store_dword v23, off, s[0:3], s32 offset:612 ; 4-byte Folded Spill
	v_mul_f32_e32 v12, v8, v12
	v_bfe_u32 v23, v12, 16, 1
	v_or_b32_e32 v31, 0x400000, v12
	v_cmp_u_f32_e32 vcc_lo, v12, v12
	v_add3_u32 v23, v23, v12, 0x7fff
	v_cndmask_b32_e32 v12, v23, v31, vcc_lo
	v_lshlrev_b32_e32 v23, 16, v77
	v_and_b32_e32 v12, 0xffff0000, v12
	v_mul_f32_e32 v23, v9, v23
	v_bfe_u32 v31, v23, 16, 1
	v_or_b32_e32 v35, 0x400000, v23
	v_cmp_u_f32_e32 vcc_lo, v23, v23
	v_add3_u32 v31, v31, v23, 0x7fff
	v_cndmask_b32_e32 v23, v31, v35, vcc_lo
	v_bfe_u32 v31, v29, 16, 1
	v_or_b32_e32 v35, 0x400000, v29
	v_cmp_u_f32_e32 vcc_lo, v29, v29
	v_and_b32_e32 v23, 0xffff0000, v23
	v_add3_u32 v31, v31, v29, 0x7fff
	v_add_f32_e32 v12, v23, v12
	v_cndmask_b32_e32 v29, v31, v35, vcc_lo
	v_bfe_u32 v31, v30, 16, 1
	v_or_b32_e32 v35, 0x400000, v30
	v_cmp_u_f32_e32 vcc_lo, v30, v30
	v_and_b32_e32 v29, 0xffff0000, v29
	v_add3_u32 v31, v31, v30, 0x7fff
	v_cndmask_b32_e32 v30, v31, v35, vcc_lo
	v_lshlrev_b32_e32 v31, 16, v103
	v_and_b32_e32 v23, 0xffff0000, v30
	v_mul_f32_e32 v31, v4, v31
	v_add_f32_e32 v23, v23, v29
	v_bfe_u32 v35, v31, 16, 1
	v_or_b32_e32 v37, 0x400000, v31
	v_cmp_u_f32_e32 vcc_lo, v31, v31
	v_add_f32_e32 v12, v12, v23
	v_add3_u32 v35, v35, v31, 0x7fff
	v_cndmask_b32_e32 v31, v35, v37, vcc_lo
	v_bfe_u32 v35, v18, 16, 1
	v_or_b32_e32 v37, 0x400000, v18
	v_cmp_u_f32_e32 vcc_lo, v18, v18
	v_and_b32_e32 v23, 0xffff0000, v31
	v_add3_u32 v35, v35, v18, 0x7fff
	v_cndmask_b32_e32 v18, v35, v37, vcc_lo
	v_lshlrev_b32_e32 v35, 16, v51
	v_and_b32_e32 v18, 0xffff0000, v18
	v_mul_f32_e32 v35, v2, v35
	v_add_f32_e32 v18, v18, v23
	v_bfe_u32 v37, v35, 16, 1
	v_or_b32_e32 v38, 0x400000, v35
	v_cmp_u_f32_e32 vcc_lo, v35, v35
	v_add_f32_e32 v12, v12, v18
	v_add3_u32 v37, v37, v35, 0x7fff
	v_cndmask_b32_e32 v35, v37, v38, vcc_lo
	v_bfe_u32 v37, v32, 16, 1
	v_or_b32_e32 v38, 0x400000, v32
	v_cmp_u_f32_e32 vcc_lo, v32, v32
	v_and_b32_e32 v23, 0xffff0000, v35
	v_add3_u32 v37, v37, v32, 0x7fff
	v_cndmask_b32_e32 v32, v37, v38, vcc_lo
	v_and_b32_e32 v18, 0xffff0000, v32
	v_add_f32_e32 v18, v18, v23
	v_add_f32_e32 v12, v12, v18
	buffer_load_dword v18, off, s[0:3], s32 offset:616 ; 4-byte Folded Reload
	s_waitcnt vmcnt(0)
	v_add_f32_e32 v18, v18, v12
	v_lshlrev_b32_e32 v12, 16, v102
	buffer_store_dword v18, off, s[0:3], s32 offset:616 ; 4-byte Folded Spill
	v_mul_f32_e32 v12, v8, v12
	v_bfe_u32 v18, v12, 16, 1
	v_or_b32_e32 v23, 0x400000, v12
	v_cmp_u_f32_e32 vcc_lo, v12, v12
	v_add3_u32 v18, v18, v12, 0x7fff
	v_cndmask_b32_e32 v12, v18, v23, vcc_lo
	v_bfe_u32 v18, v13, 16, 1
	v_or_b32_e32 v23, 0x400000, v13
	v_cmp_u_f32_e32 vcc_lo, v13, v13
	v_and_b32_e32 v12, 0xffff0000, v12
	v_add3_u32 v18, v18, v13, 0x7fff
	v_cndmask_b32_e32 v13, v18, v23, vcc_lo
	v_lshlrev_b32_e32 v18, 16, v22
	v_and_b32_e32 v13, 0xffff0000, v13
	v_mul_f32_e32 v18, v6, v18
	v_add_f32_e32 v12, v13, v12
	v_bfe_u32 v22, v18, 16, 1
	v_or_b32_e32 v23, 0x400000, v18
	v_cmp_u_f32_e32 vcc_lo, v18, v18
	v_add3_u32 v22, v22, v18, 0x7fff
	v_cndmask_b32_e32 v18, v22, v23, vcc_lo
	v_lshlrev_b32_e32 v22, 16, v96
	v_and_b32_e32 v18, 0xffff0000, v18
	v_mul_f32_e32 v22, v7, v22
	v_bfe_u32 v23, v22, 16, 1
	v_or_b32_e32 v29, 0x400000, v22
	v_cmp_u_f32_e32 vcc_lo, v22, v22
	v_add3_u32 v23, v23, v22, 0x7fff
	v_cndmask_b32_e32 v22, v23, v29, vcc_lo
	v_lshlrev_b32_e32 v23, 16, v87
	v_and_b32_e32 v13, 0xffff0000, v22
	v_mul_f32_e32 v23, v4, v23
	v_add_f32_e32 v13, v13, v18
	v_bfe_u32 v29, v23, 16, 1
	v_or_b32_e32 v30, 0x400000, v23
	v_cmp_u_f32_e32 vcc_lo, v23, v23
	v_add_f32_e32 v12, v12, v13
	v_add3_u32 v29, v29, v23, 0x7fff
	v_cndmask_b32_e32 v23, v29, v30, vcc_lo
	v_lshlrev_b32_e32 v29, 16, v70
	v_and_b32_e32 v18, 0xffff0000, v23
	v_mul_f32_e32 v29, v5, v29
	v_bfe_u32 v30, v29, 16, 1
	v_or_b32_e32 v31, 0x400000, v29
	v_cmp_u_f32_e32 vcc_lo, v29, v29
	v_add3_u32 v30, v30, v29, 0x7fff
	v_cndmask_b32_e32 v29, v30, v31, vcc_lo
	v_bfe_u32 v30, v14, 16, 1
	v_or_b32_e32 v31, 0x400000, v14
	v_cmp_u_f32_e32 vcc_lo, v14, v14
	v_and_b32_e32 v13, 0xffff0000, v29
	v_add3_u32 v30, v30, v14, 0x7fff
	v_add_f32_e32 v13, v13, v18
	v_cndmask_b32_e32 v14, v30, v31, vcc_lo
	v_lshlrev_b32_e32 v30, 16, v64
	v_add_f32_e32 v12, v12, v13
	v_and_b32_e32 v14, 0xffff0000, v14
	v_mul_f32_e32 v30, v3, v30
	v_bfe_u32 v31, v30, 16, 1
	v_or_b32_e32 v32, 0x400000, v30
	v_cmp_u_f32_e32 vcc_lo, v30, v30
	v_add3_u32 v31, v31, v30, 0x7fff
	v_cndmask_b32_e32 v30, v31, v32, vcc_lo
	v_and_b32_e32 v13, 0xffff0000, v30
	v_add_f32_e32 v13, v13, v14
	v_add_f32_e32 v12, v12, v13
	buffer_load_dword v13, off, s[0:3], s32 offset:620 ; 4-byte Folded Reload
	s_waitcnt vmcnt(0)
	v_add_f32_e32 v13, v13, v12
	v_lshlrev_b32_e32 v12, 16, v121
	buffer_store_dword v13, off, s[0:3], s32 offset:620 ; 4-byte Folded Spill
	v_mul_f32_e32 v12, v8, v12
	v_bfe_u32 v13, v12, 16, 1
	v_or_b32_e32 v14, 0x400000, v12
	v_cmp_u_f32_e32 vcc_lo, v12, v12
	v_add3_u32 v13, v13, v12, 0x7fff
	v_cndmask_b32_e32 v12, v13, v14, vcc_lo
	v_bfe_u32 v13, v0, 16, 1
	v_or_b32_e32 v14, 0x400000, v0
	v_cmp_u_f32_e32 vcc_lo, v0, v0
	v_and_b32_e32 v12, 0xffff0000, v12
	v_add3_u32 v13, v13, v0, 0x7fff
	v_cndmask_b32_e32 v0, v13, v14, vcc_lo
	v_lshlrev_b32_e32 v13, 16, v110
	v_and_b32_e32 v0, 0xffff0000, v0
	v_mul_f32_e32 v13, v6, v13
	v_add_f32_e32 v0, v0, v12
	v_bfe_u32 v14, v13, 16, 1
	v_or_b32_e32 v18, 0x400000, v13
	v_cmp_u_f32_e32 vcc_lo, v13, v13
	v_add3_u32 v14, v14, v13, 0x7fff
	v_cndmask_b32_e32 v13, v14, v18, vcc_lo
	v_lshlrev_b32_e32 v14, 16, v120
	v_and_b32_e32 v13, 0xffff0000, v13
	v_mul_f32_e32 v14, v7, v14
	v_bfe_u32 v18, v14, 16, 1
	v_or_b32_e32 v22, 0x400000, v14
	v_cmp_u_f32_e32 vcc_lo, v14, v14
	v_add3_u32 v18, v18, v14, 0x7fff
	v_cndmask_b32_e32 v14, v18, v22, vcc_lo
	v_lshlrev_b32_e32 v18, 16, v107
	v_and_b32_e32 v12, 0xffff0000, v14
	v_mul_f32_e32 v18, v4, v18
	v_add_f32_e32 v12, v12, v13
	v_bfe_u32 v22, v18, 16, 1
	v_or_b32_e32 v23, 0x400000, v18
	v_cmp_u_f32_e32 vcc_lo, v18, v18
	v_add_f32_e32 v0, v0, v12
	v_add3_u32 v22, v22, v18, 0x7fff
	v_cndmask_b32_e32 v18, v22, v23, vcc_lo
	v_lshlrev_b32_e32 v22, 16, v108
	v_and_b32_e32 v13, 0xffff0000, v18
	v_mul_f32_e32 v22, v5, v22
	v_bfe_u32 v23, v22, 16, 1
	v_or_b32_e32 v29, 0x400000, v22
	v_cmp_u_f32_e32 vcc_lo, v22, v22
	v_add3_u32 v23, v23, v22, 0x7fff
	v_cndmask_b32_e32 v22, v23, v29, vcc_lo
	v_lshlrev_b32_e32 v23, 16, v73
	v_and_b32_e32 v12, 0xffff0000, v22
	v_mul_f32_e32 v23, v2, v23
	v_add_f32_e32 v12, v12, v13
	v_bfe_u32 v29, v23, 16, 1
	v_or_b32_e32 v30, 0x400000, v23
	v_cmp_u_f32_e32 vcc_lo, v23, v23
	v_add_f32_e32 v0, v0, v12
	v_add3_u32 v29, v29, v23, 0x7fff
	v_cndmask_b32_e32 v23, v29, v30, vcc_lo
	v_bfe_u32 v29, v1, 16, 1
	v_or_b32_e32 v30, 0x400000, v1
	v_cmp_u_f32_e32 vcc_lo, v1, v1
	v_and_b32_e32 v12, 0xffff0000, v23
	v_add3_u32 v29, v29, v1, 0x7fff
	v_cndmask_b32_e32 v1, v29, v30, vcc_lo
	v_and_b32_e32 v1, 0xffff0000, v1
	v_add_f32_e32 v1, v1, v12
	v_add_f32_e32 v0, v0, v1
	buffer_load_dword v1, off, s[0:3], s32 offset:624 ; 4-byte Folded Reload
	s_waitcnt vmcnt(0)
	v_add_f32_e32 v1, v1, v0
	v_lshlrev_b32_e32 v0, 16, v95
	buffer_store_dword v1, off, s[0:3], s32 offset:624 ; 4-byte Folded Spill
	v_mul_f32_e32 v0, v8, v0
	v_bfe_u32 v1, v0, 16, 1
	v_or_b32_e32 v12, 0x400000, v0
	v_cmp_u_f32_e32 vcc_lo, v0, v0
	v_add3_u32 v1, v1, v0, 0x7fff
	v_cndmask_b32_e32 v0, v1, v12, vcc_lo
	v_lshlrev_b32_e32 v1, 16, v105
	v_and_b32_e32 v0, 0xffff0000, v0
	v_mul_f32_e32 v1, v9, v1
	v_bfe_u32 v12, v1, 16, 1
	v_or_b32_e32 v13, 0x400000, v1
	v_cmp_u_f32_e32 vcc_lo, v1, v1
	v_add3_u32 v12, v12, v1, 0x7fff
	v_cndmask_b32_e32 v1, v12, v13, vcc_lo
	v_lshlrev_b32_e32 v12, 16, v93
	v_and_b32_e32 v1, 0xffff0000, v1
	v_mul_f32_e32 v12, v6, v12
	v_add_f32_e32 v0, v1, v0
	v_bfe_u32 v13, v12, 16, 1
	v_or_b32_e32 v14, 0x400000, v12
	v_cmp_u_f32_e32 vcc_lo, v12, v12
	v_add3_u32 v13, v13, v12, 0x7fff
	v_cndmask_b32_e32 v12, v13, v14, vcc_lo
	v_lshlrev_b32_e32 v13, 16, v94
	v_and_b32_e32 v12, 0xffff0000, v12
	v_mul_f32_e32 v13, v7, v13
	v_bfe_u32 v14, v13, 16, 1
	v_or_b32_e32 v18, 0x400000, v13
	v_cmp_u_f32_e32 vcc_lo, v13, v13
	v_add3_u32 v14, v14, v13, 0x7fff
	v_cndmask_b32_e32 v13, v14, v18, vcc_lo
	v_lshlrev_b32_e32 v14, 16, v91
	v_and_b32_e32 v1, 0xffff0000, v13
	v_mul_f32_e32 v14, v4, v14
	v_add_f32_e32 v1, v1, v12
	v_bfe_u32 v18, v14, 16, 1
	v_or_b32_e32 v22, 0x400000, v14
	v_cmp_u_f32_e32 vcc_lo, v14, v14
	v_add_f32_e32 v0, v0, v1
	v_add3_u32 v18, v18, v14, 0x7fff
	v_cndmask_b32_e32 v14, v18, v22, vcc_lo
	v_lshlrev_b32_e32 v18, 16, v92
	v_and_b32_e32 v12, 0xffff0000, v14
	v_mul_f32_e32 v18, v5, v18
	v_bfe_u32 v22, v18, 16, 1
	v_or_b32_e32 v23, 0x400000, v18
	v_cmp_u_f32_e32 vcc_lo, v18, v18
	v_add3_u32 v22, v22, v18, 0x7fff
	v_cndmask_b32_e32 v18, v22, v23, vcc_lo
	v_lshlrev_b32_e32 v22, 16, v106
	v_and_b32_e32 v1, 0xffff0000, v18
	v_mul_f32_e32 v22, v2, v22
	v_add_f32_e32 v1, v1, v12
	v_bfe_u32 v23, v22, 16, 1
	v_or_b32_e32 v29, 0x400000, v22
	v_cmp_u_f32_e32 vcc_lo, v22, v22
	v_add_f32_e32 v0, v0, v1
	v_add3_u32 v23, v23, v22, 0x7fff
	v_cndmask_b32_e32 v22, v23, v29, vcc_lo
	v_lshlrev_b32_e32 v23, 16, v104
	v_and_b32_e32 v12, 0xffff0000, v22
	v_mul_f32_e32 v23, v3, v23
	v_bfe_u32 v29, v23, 16, 1
	v_or_b32_e32 v30, 0x400000, v23
	v_cmp_u_f32_e32 vcc_lo, v23, v23
	v_add3_u32 v29, v29, v23, 0x7fff
	v_cndmask_b32_e32 v23, v29, v30, vcc_lo
	v_and_b32_e32 v1, 0xffff0000, v23
	v_add_f32_e32 v1, v1, v12
	v_add_f32_e32 v0, v0, v1
	buffer_load_dword v1, off, s[0:3], s32 offset:628 ; 4-byte Folded Reload
	s_waitcnt vmcnt(0)
	v_add_f32_e32 v1, v1, v0
	v_lshlrev_b32_e32 v0, 16, v79
	buffer_store_dword v1, off, s[0:3], s32 offset:628 ; 4-byte Folded Spill
	v_mul_f32_e32 v0, v8, v0
	v_bfe_u32 v1, v0, 16, 1
	v_or_b32_e32 v12, 0x400000, v0
	v_cmp_u_f32_e32 vcc_lo, v0, v0
	v_add3_u32 v1, v1, v0, 0x7fff
	v_cndmask_b32_e32 v0, v1, v12, vcc_lo
	v_lshlrev_b32_e32 v1, 16, v89
	v_and_b32_e32 v0, 0xffff0000, v0
	v_mul_f32_e32 v1, v9, v1
	v_bfe_u32 v12, v1, 16, 1
	v_or_b32_e32 v13, 0x400000, v1
	v_cmp_u_f32_e32 vcc_lo, v1, v1
	v_add3_u32 v12, v12, v1, 0x7fff
	v_cndmask_b32_e32 v1, v12, v13, vcc_lo
	v_lshlrev_b32_e32 v12, 16, v75
	v_and_b32_e32 v1, 0xffff0000, v1
	v_mul_f32_e32 v12, v6, v12
	v_add_f32_e32 v0, v1, v0
	v_bfe_u32 v13, v12, 16, 1
	v_or_b32_e32 v14, 0x400000, v12
	v_cmp_u_f32_e32 vcc_lo, v12, v12
	v_add3_u32 v13, v13, v12, 0x7fff
	v_cndmask_b32_e32 v12, v13, v14, vcc_lo
	v_lshlrev_b32_e32 v13, 16, v78
	v_and_b32_e32 v12, 0xffff0000, v12
	v_mul_f32_e32 v13, v7, v13
	v_bfe_u32 v14, v13, 16, 1
	v_or_b32_e32 v18, 0x400000, v13
	v_cmp_u_f32_e32 vcc_lo, v13, v13
	v_add3_u32 v14, v14, v13, 0x7fff
	v_cndmask_b32_e32 v13, v14, v18, vcc_lo
	v_lshlrev_b32_e32 v14, 16, v34
	v_and_b32_e32 v1, 0xffff0000, v13
	v_mul_f32_e32 v14, v4, v14
	v_add_f32_e32 v1, v1, v12
	v_bfe_u32 v18, v14, 16, 1
	v_or_b32_e32 v22, 0x400000, v14
	v_cmp_u_f32_e32 vcc_lo, v14, v14
	v_add_f32_e32 v0, v0, v1
	v_add3_u32 v18, v18, v14, 0x7fff
	v_cndmask_b32_e32 v14, v18, v22, vcc_lo
	v_lshlrev_b32_e32 v18, 16, v33
	v_and_b32_e32 v12, 0xffff0000, v14
	v_mul_f32_e32 v18, v5, v18
	v_bfe_u32 v22, v18, 16, 1
	v_or_b32_e32 v23, 0x400000, v18
	v_cmp_u_f32_e32 vcc_lo, v18, v18
	v_add3_u32 v22, v22, v18, 0x7fff
	v_cndmask_b32_e32 v18, v22, v23, vcc_lo
	v_lshlrev_b32_e32 v22, 16, v90
	v_and_b32_e32 v1, 0xffff0000, v18
	v_mul_f32_e32 v22, v2, v22
	v_add_f32_e32 v1, v1, v12
	v_bfe_u32 v23, v22, 16, 1
	v_or_b32_e32 v29, 0x400000, v22
	v_cmp_u_f32_e32 vcc_lo, v22, v22
	v_add_f32_e32 v0, v0, v1
	v_add3_u32 v23, v23, v22, 0x7fff
	v_cndmask_b32_e32 v22, v23, v29, vcc_lo
	v_lshlrev_b32_e32 v23, 16, v88
	v_and_b32_e32 v12, 0xffff0000, v22
	v_mul_f32_e32 v23, v3, v23
	v_bfe_u32 v29, v23, 16, 1
	v_or_b32_e32 v30, 0x400000, v23
	v_cmp_u_f32_e32 vcc_lo, v23, v23
	v_add3_u32 v29, v29, v23, 0x7fff
	v_cndmask_b32_e32 v23, v29, v30, vcc_lo
	v_and_b32_e32 v1, 0xffff0000, v23
	v_add_f32_e32 v1, v1, v12
	v_add_f32_e32 v0, v0, v1
	buffer_load_dword v1, off, s[0:3], s32 offset:632 ; 4-byte Folded Reload
	s_waitcnt vmcnt(0)
	v_add_f32_e32 v1, v1, v0
	v_lshlrev_b32_e32 v0, 16, v28
	buffer_store_dword v1, off, s[0:3], s32 offset:632 ; 4-byte Folded Spill
	v_mul_f32_e32 v0, v8, v0
	v_bfe_u32 v1, v0, 16, 1
	v_or_b32_e32 v12, 0x400000, v0
	v_cmp_u_f32_e32 vcc_lo, v0, v0
	v_add3_u32 v1, v1, v0, 0x7fff
	v_cndmask_b32_e32 v0, v1, v12, vcc_lo
	v_lshlrev_b32_e32 v1, 16, v127
	v_and_b32_e32 v0, 0xffff0000, v0
	v_mul_f32_e32 v1, v9, v1
	v_bfe_u32 v12, v1, 16, 1
	v_or_b32_e32 v13, 0x400000, v1
	v_cmp_u_f32_e32 vcc_lo, v1, v1
	v_add3_u32 v12, v12, v1, 0x7fff
	v_cndmask_b32_e32 v1, v12, v13, vcc_lo
	v_lshlrev_b32_e32 v12, 16, v63
	v_and_b32_e32 v1, 0xffff0000, v1
	v_mul_f32_e32 v12, v6, v12
	v_add_f32_e32 v0, v1, v0
	v_bfe_u32 v13, v12, 16, 1
	v_or_b32_e32 v14, 0x400000, v12
	v_cmp_u_f32_e32 vcc_lo, v12, v12
	v_add3_u32 v13, v13, v12, 0x7fff
	v_cndmask_b32_e32 v12, v13, v14, vcc_lo
	v_lshlrev_b32_e32 v13, 16, v21
	v_and_b32_e32 v12, 0xffff0000, v12
	v_mul_f32_e32 v13, v7, v13
	v_bfe_u32 v14, v13, 16, 1
	v_or_b32_e32 v18, 0x400000, v13
	v_cmp_u_f32_e32 vcc_lo, v13, v13
	v_add3_u32 v14, v14, v13, 0x7fff
	v_cndmask_b32_e32 v13, v14, v18, vcc_lo
	v_lshlrev_b32_e32 v14, 16, v26
	v_and_b32_e32 v1, 0xffff0000, v13
	v_mul_f32_e32 v14, v4, v14
	v_add_f32_e32 v1, v1, v12
	v_bfe_u32 v18, v14, 16, 1
	v_or_b32_e32 v21, 0x400000, v14
	v_cmp_u_f32_e32 vcc_lo, v14, v14
	v_add_f32_e32 v0, v0, v1
	v_add3_u32 v18, v18, v14, 0x7fff
	v_cndmask_b32_e32 v14, v18, v21, vcc_lo
	v_lshlrev_b32_e32 v18, 16, v27
	v_and_b32_e32 v12, 0xffff0000, v14
	v_mul_f32_e32 v18, v5, v18
	v_bfe_u32 v21, v18, 16, 1
	v_or_b32_e32 v22, 0x400000, v18
	v_cmp_u_f32_e32 vcc_lo, v18, v18
	v_add3_u32 v21, v21, v18, 0x7fff
	v_cndmask_b32_e32 v18, v21, v22, vcc_lo
	v_lshlrev_b32_e32 v21, 16, v76
	v_and_b32_e32 v1, 0xffff0000, v18
	v_mul_f32_e32 v21, v2, v21
	v_add_f32_e32 v1, v1, v12
	v_bfe_u32 v22, v21, 16, 1
	v_or_b32_e32 v23, 0x400000, v21
	v_cmp_u_f32_e32 vcc_lo, v21, v21
	v_add_f32_e32 v0, v0, v1
	v_add3_u32 v22, v22, v21, 0x7fff
	v_cndmask_b32_e32 v21, v22, v23, vcc_lo
	v_lshlrev_b32_e32 v22, 16, v39
	v_and_b32_e32 v12, 0xffff0000, v21
	v_mul_f32_e32 v22, v3, v22
	v_bfe_u32 v23, v22, 16, 1
	v_or_b32_e32 v26, 0x400000, v22
	v_cmp_u_f32_e32 vcc_lo, v22, v22
	v_add3_u32 v23, v23, v22, 0x7fff
	v_cndmask_b32_e32 v22, v23, v26, vcc_lo
	v_and_b32_e32 v1, 0xffff0000, v22
	v_add_f32_e32 v1, v1, v12
	v_add_f32_e32 v0, v0, v1
	buffer_load_dword v1, off, s[0:3], s32 offset:636 ; 4-byte Folded Reload
	s_waitcnt vmcnt(0)
	v_add_f32_e32 v1, v1, v0
	v_lshlrev_b32_e32 v0, 16, v59
	buffer_store_dword v1, off, s[0:3], s32 offset:636 ; 4-byte Folded Spill
	v_mul_f32_e32 v0, v8, v0
	v_bfe_u32 v1, v0, 16, 1
	v_or_b32_e32 v12, 0x400000, v0
	v_cmp_u_f32_e32 vcc_lo, v0, v0
	v_add3_u32 v1, v1, v0, 0x7fff
	v_cndmask_b32_e32 v0, v1, v12, vcc_lo
	v_lshlrev_b32_e32 v1, 16, v61
	v_and_b32_e32 v0, 0xffff0000, v0
	v_mul_f32_e32 v1, v9, v1
	v_bfe_u32 v12, v1, 16, 1
	v_or_b32_e32 v13, 0x400000, v1
	v_cmp_u_f32_e32 vcc_lo, v1, v1
	v_add3_u32 v12, v12, v1, 0x7fff
	v_cndmask_b32_e32 v1, v12, v13, vcc_lo
	v_lshlrev_b32_e32 v12, 16, v57
	v_and_b32_e32 v1, 0xffff0000, v1
	v_mul_f32_e32 v12, v6, v12
	v_add_f32_e32 v0, v1, v0
	v_bfe_u32 v13, v12, 16, 1
	v_or_b32_e32 v14, 0x400000, v12
	v_cmp_u_f32_e32 vcc_lo, v12, v12
	v_add3_u32 v13, v13, v12, 0x7fff
	v_cndmask_b32_e32 v12, v13, v14, vcc_lo
	v_lshlrev_b32_e32 v13, 16, v58
	v_and_b32_e32 v12, 0xffff0000, v12
	v_mul_f32_e32 v13, v7, v13
	v_bfe_u32 v14, v13, 16, 1
	v_or_b32_e32 v18, 0x400000, v13
	v_cmp_u_f32_e32 vcc_lo, v13, v13
	v_add3_u32 v14, v14, v13, 0x7fff
	v_cndmask_b32_e32 v13, v14, v18, vcc_lo
	v_lshlrev_b32_e32 v14, 16, v48
	v_and_b32_e32 v1, 0xffff0000, v13
	v_mul_f32_e32 v14, v4, v14
	v_add_f32_e32 v1, v1, v12
	v_bfe_u32 v18, v14, 16, 1
	v_or_b32_e32 v21, 0x400000, v14
	v_cmp_u_f32_e32 vcc_lo, v14, v14
	v_add_f32_e32 v0, v0, v1
	v_add3_u32 v18, v18, v14, 0x7fff
	v_cndmask_b32_e32 v14, v18, v21, vcc_lo
	v_lshlrev_b32_e32 v18, 16, v56
	v_and_b32_e32 v12, 0xffff0000, v14
	v_mul_f32_e32 v18, v5, v18
	v_bfe_u32 v21, v18, 16, 1
	v_or_b32_e32 v22, 0x400000, v18
	v_cmp_u_f32_e32 vcc_lo, v18, v18
	v_add3_u32 v21, v21, v18, 0x7fff
	v_cndmask_b32_e32 v18, v21, v22, vcc_lo
	v_lshlrev_b32_e32 v21, 16, v62
	v_and_b32_e32 v1, 0xffff0000, v18
	v_mul_f32_e32 v21, v2, v21
	v_add_f32_e32 v1, v1, v12
	v_bfe_u32 v22, v21, 16, 1
	v_or_b32_e32 v23, 0x400000, v21
	v_cmp_u_f32_e32 vcc_lo, v21, v21
	v_add_f32_e32 v0, v0, v1
	v_add3_u32 v22, v22, v21, 0x7fff
	v_cndmask_b32_e32 v21, v22, v23, vcc_lo
	v_lshlrev_b32_e32 v22, 16, v60
	v_and_b32_e32 v12, 0xffff0000, v21
	v_mul_f32_e32 v22, v3, v22
	v_bfe_u32 v23, v22, 16, 1
	v_or_b32_e32 v26, 0x400000, v22
	v_cmp_u_f32_e32 vcc_lo, v22, v22
	v_add3_u32 v23, v23, v22, 0x7fff
	v_cndmask_b32_e32 v22, v23, v26, vcc_lo
	v_and_b32_e32 v1, 0xffff0000, v22
	v_add_f32_e32 v1, v1, v12
	v_add_f32_e32 v0, v0, v1
	buffer_load_dword v1, off, s[0:3], s32 offset:640 ; 4-byte Folded Reload
	s_waitcnt vmcnt(0)
	v_add_f32_e32 v1, v1, v0
	v_lshlrev_b32_e32 v0, 16, v44
	buffer_store_dword v1, off, s[0:3], s32 offset:640 ; 4-byte Folded Spill
	v_mul_f32_e32 v0, v8, v0
	v_bfe_u32 v1, v0, 16, 1
	v_or_b32_e32 v12, 0x400000, v0
	v_cmp_u_f32_e32 vcc_lo, v0, v0
	v_add3_u32 v1, v1, v0, 0x7fff
	v_cndmask_b32_e32 v0, v1, v12, vcc_lo
	v_lshlrev_b32_e32 v1, 16, v46
	v_and_b32_e32 v0, 0xffff0000, v0
	v_mul_f32_e32 v1, v9, v1
	v_bfe_u32 v12, v1, 16, 1
	v_or_b32_e32 v13, 0x400000, v1
	v_cmp_u_f32_e32 vcc_lo, v1, v1
	v_add3_u32 v12, v12, v1, 0x7fff
	v_cndmask_b32_e32 v1, v12, v13, vcc_lo
	v_lshlrev_b32_e32 v12, 16, v42
	v_and_b32_e32 v1, 0xffff0000, v1
	v_mul_f32_e32 v12, v6, v12
	v_add_f32_e32 v0, v1, v0
	v_bfe_u32 v13, v12, 16, 1
	v_or_b32_e32 v14, 0x400000, v12
	v_cmp_u_f32_e32 vcc_lo, v12, v12
	v_add3_u32 v13, v13, v12, 0x7fff
	v_cndmask_b32_e32 v12, v13, v14, vcc_lo
	v_lshlrev_b32_e32 v13, 16, v43
	v_and_b32_e32 v12, 0xffff0000, v12
	v_mul_f32_e32 v13, v7, v13
	v_bfe_u32 v14, v13, 16, 1
	v_or_b32_e32 v18, 0x400000, v13
	v_cmp_u_f32_e32 vcc_lo, v13, v13
	v_add3_u32 v14, v14, v13, 0x7fff
	v_cndmask_b32_e32 v13, v14, v18, vcc_lo
	v_lshlrev_b32_e32 v14, 16, v40
	v_and_b32_e32 v1, 0xffff0000, v13
	v_mul_f32_e32 v14, v4, v14
	v_add_f32_e32 v1, v1, v12
	v_bfe_u32 v18, v14, 16, 1
	v_or_b32_e32 v21, 0x400000, v14
	v_cmp_u_f32_e32 vcc_lo, v14, v14
	v_add_f32_e32 v0, v0, v1
	v_add3_u32 v18, v18, v14, 0x7fff
	v_cndmask_b32_e32 v14, v18, v21, vcc_lo
	v_lshlrev_b32_e32 v18, 16, v41
	v_and_b32_e32 v12, 0xffff0000, v14
	v_mul_f32_e32 v18, v5, v18
	v_bfe_u32 v21, v18, 16, 1
	v_or_b32_e32 v22, 0x400000, v18
	v_cmp_u_f32_e32 vcc_lo, v18, v18
	v_add3_u32 v21, v21, v18, 0x7fff
	v_cndmask_b32_e32 v18, v21, v22, vcc_lo
	v_lshlrev_b32_e32 v21, 16, v47
	v_and_b32_e32 v1, 0xffff0000, v18
	v_mul_f32_e32 v21, v2, v21
	v_add_f32_e32 v1, v1, v12
	v_bfe_u32 v22, v21, 16, 1
	v_or_b32_e32 v23, 0x400000, v21
	v_cmp_u_f32_e32 vcc_lo, v21, v21
	v_add_f32_e32 v0, v0, v1
	v_add3_u32 v22, v22, v21, 0x7fff
	v_cndmask_b32_e32 v21, v22, v23, vcc_lo
	v_lshlrev_b32_e32 v22, 16, v45
	v_and_b32_e32 v12, 0xffff0000, v21
	v_mul_f32_e32 v22, v3, v22
	v_bfe_u32 v23, v22, 16, 1
	v_or_b32_e32 v26, 0x400000, v22
	v_cmp_u_f32_e32 vcc_lo, v22, v22
	v_add3_u32 v23, v23, v22, 0x7fff
	v_cndmask_b32_e32 v22, v23, v26, vcc_lo
	v_and_b32_e32 v1, 0xffff0000, v22
	v_add_f32_e32 v1, v1, v12
	v_add_f32_e32 v0, v0, v1
	buffer_load_dword v1, off, s[0:3], s32 offset:644 ; 4-byte Folded Reload
	s_waitcnt vmcnt(0)
	v_add_f32_e32 v1, v1, v0
	buffer_load_dword v0, off, s[0:3], s32 offset:592 ; 4-byte Folded Reload
	buffer_store_dword v1, off, s[0:3], s32 offset:644 ; 4-byte Folded Spill
	s_waitcnt vmcnt(0)
	v_lshlrev_b32_e32 v0, 16, v0
	v_mul_f32_e32 v0, v8, v0
	v_bfe_u32 v1, v0, 16, 1
	v_or_b32_e32 v12, 0x400000, v0
	v_cmp_u_f32_e32 vcc_lo, v0, v0
	v_add3_u32 v1, v1, v0, 0x7fff
	v_cndmask_b32_e32 v0, v1, v12, vcc_lo
	v_lshlrev_b32_e32 v1, 16, v118
	v_and_b32_e32 v0, 0xffff0000, v0
	v_mul_f32_e32 v1, v9, v1
	v_bfe_u32 v12, v1, 16, 1
	v_or_b32_e32 v13, 0x400000, v1
	v_cmp_u_f32_e32 vcc_lo, v1, v1
	v_add3_u32 v12, v12, v1, 0x7fff
	v_cndmask_b32_e32 v1, v12, v13, vcc_lo
	buffer_load_dword v12, off, s[0:3], s32 offset:584 ; 4-byte Folded Reload
	v_and_b32_e32 v1, 0xffff0000, v1
	v_add_f32_e32 v0, v1, v0
	s_waitcnt vmcnt(0)
	v_lshlrev_b32_e32 v12, 16, v12
	v_mul_f32_e32 v12, v6, v12
	v_bfe_u32 v13, v12, 16, 1
	v_or_b32_e32 v14, 0x400000, v12
	v_cmp_u_f32_e32 vcc_lo, v12, v12
	v_add3_u32 v13, v13, v12, 0x7fff
	v_cndmask_b32_e32 v12, v13, v14, vcc_lo
	buffer_load_dword v13, off, s[0:3], s32 offset:588 ; 4-byte Folded Reload
	v_and_b32_e32 v12, 0xffff0000, v12
	s_waitcnt vmcnt(0)
	v_lshlrev_b32_e32 v13, 16, v13
	v_mul_f32_e32 v13, v7, v13
	v_bfe_u32 v14, v13, 16, 1
	v_or_b32_e32 v18, 0x400000, v13
	v_cmp_u_f32_e32 vcc_lo, v13, v13
	v_add3_u32 v14, v14, v13, 0x7fff
	v_cndmask_b32_e32 v13, v14, v18, vcc_lo
	buffer_load_dword v14, off, s[0:3], s32 offset:576 ; 4-byte Folded Reload
	v_and_b32_e32 v1, 0xffff0000, v13
	v_add_f32_e32 v1, v1, v12
	v_add_f32_e32 v0, v0, v1
	s_waitcnt vmcnt(0)
	v_lshlrev_b32_e32 v14, 16, v14
	v_mul_f32_e32 v14, v4, v14
	v_bfe_u32 v18, v14, 16, 1
	v_or_b32_e32 v21, 0x400000, v14
	v_cmp_u_f32_e32 vcc_lo, v14, v14
	v_add3_u32 v18, v18, v14, 0x7fff
	v_cndmask_b32_e32 v14, v18, v21, vcc_lo
	buffer_load_dword v18, off, s[0:3], s32 offset:580 ; 4-byte Folded Reload
	v_and_b32_e32 v12, 0xffff0000, v14
	s_waitcnt vmcnt(0)
	v_lshlrev_b32_e32 v18, 16, v18
	v_mul_f32_e32 v18, v5, v18
	v_bfe_u32 v21, v18, 16, 1
	v_or_b32_e32 v22, 0x400000, v18
	v_cmp_u_f32_e32 vcc_lo, v18, v18
	v_add3_u32 v21, v21, v18, 0x7fff
	v_cndmask_b32_e32 v18, v21, v22, vcc_lo
	v_lshlrev_b32_e32 v21, 16, v119
	v_and_b32_e32 v1, 0xffff0000, v18
	v_mul_f32_e32 v21, v2, v21
	v_add_f32_e32 v1, v1, v12
	v_bfe_u32 v22, v21, 16, 1
	v_or_b32_e32 v23, 0x400000, v21
	v_cmp_u_f32_e32 vcc_lo, v21, v21
	v_add_f32_e32 v0, v0, v1
	v_add3_u32 v22, v22, v21, 0x7fff
	v_cndmask_b32_e32 v21, v22, v23, vcc_lo
	buffer_load_dword v22, off, s[0:3], s32 offset:596 ; 4-byte Folded Reload
	v_and_b32_e32 v12, 0xffff0000, v21
	s_waitcnt vmcnt(0)
	v_lshlrev_b32_e32 v22, 16, v22
	v_mul_f32_e32 v22, v3, v22
	v_bfe_u32 v23, v22, 16, 1
	v_or_b32_e32 v26, 0x400000, v22
	v_cmp_u_f32_e32 vcc_lo, v22, v22
	v_add3_u32 v23, v23, v22, 0x7fff
	v_cndmask_b32_e32 v22, v23, v26, vcc_lo
	v_and_b32_e32 v1, 0xffff0000, v22
	v_add_f32_e32 v1, v1, v12
	v_add_f32_e32 v0, v0, v1
	buffer_load_dword v1, off, s[0:3], s32 offset:648 ; 4-byte Folded Reload
	s_waitcnt vmcnt(0)
	v_add_f32_e32 v1, v1, v0
	buffer_load_dword v0, off, s[0:3], s32 offset:560 ; 4-byte Folded Reload
	buffer_store_dword v1, off, s[0:3], s32 offset:648 ; 4-byte Folded Spill
	s_waitcnt vmcnt(0)
	v_lshlrev_b32_e32 v0, 16, v0
	v_mul_f32_e32 v0, v8, v0
	v_bfe_u32 v1, v0, 16, 1
	v_or_b32_e32 v12, 0x400000, v0
	v_cmp_u_f32_e32 vcc_lo, v0, v0
	v_add3_u32 v1, v1, v0, 0x7fff
	v_cndmask_b32_e32 v0, v1, v12, vcc_lo
	buffer_load_dword v1, off, s[0:3], s32 offset:568 ; 4-byte Folded Reload
	v_and_b32_e32 v0, 0xffff0000, v0
	s_waitcnt vmcnt(0)
	v_lshlrev_b32_e32 v1, 16, v1
	v_mul_f32_e32 v1, v9, v1
	v_bfe_u32 v12, v1, 16, 1
	v_or_b32_e32 v13, 0x400000, v1
	v_cmp_u_f32_e32 vcc_lo, v1, v1
	v_add3_u32 v12, v12, v1, 0x7fff
	v_cndmask_b32_e32 v1, v12, v13, vcc_lo
	buffer_load_dword v12, off, s[0:3], s32 offset:552 ; 4-byte Folded Reload
	v_and_b32_e32 v1, 0xffff0000, v1
	v_add_f32_e32 v0, v1, v0
	s_waitcnt vmcnt(0)
	v_lshlrev_b32_e32 v12, 16, v12
	v_mul_f32_e32 v12, v6, v12
	v_bfe_u32 v13, v12, 16, 1
	v_or_b32_e32 v14, 0x400000, v12
	v_cmp_u_f32_e32 vcc_lo, v12, v12
	v_add3_u32 v13, v13, v12, 0x7fff
	v_cndmask_b32_e32 v12, v13, v14, vcc_lo
	buffer_load_dword v13, off, s[0:3], s32 offset:556 ; 4-byte Folded Reload
	v_and_b32_e32 v12, 0xffff0000, v12
	s_waitcnt vmcnt(0)
	v_lshlrev_b32_e32 v13, 16, v13
	v_mul_f32_e32 v13, v7, v13
	v_bfe_u32 v14, v13, 16, 1
	v_or_b32_e32 v18, 0x400000, v13
	v_cmp_u_f32_e32 vcc_lo, v13, v13
	v_add3_u32 v14, v14, v13, 0x7fff
	v_cndmask_b32_e32 v13, v14, v18, vcc_lo
	buffer_load_dword v14, off, s[0:3], s32 offset:544 ; 4-byte Folded Reload
	v_and_b32_e32 v1, 0xffff0000, v13
	v_add_f32_e32 v1, v1, v12
	v_add_f32_e32 v0, v0, v1
	s_waitcnt vmcnt(0)
	v_lshlrev_b32_e32 v14, 16, v14
	v_mul_f32_e32 v14, v4, v14
	v_bfe_u32 v18, v14, 16, 1
	v_or_b32_e32 v21, 0x400000, v14
	v_cmp_u_f32_e32 vcc_lo, v14, v14
	v_add3_u32 v18, v18, v14, 0x7fff
	v_cndmask_b32_e32 v14, v18, v21, vcc_lo
	buffer_load_dword v18, off, s[0:3], s32 offset:548 ; 4-byte Folded Reload
	v_and_b32_e32 v12, 0xffff0000, v14
	s_waitcnt vmcnt(0)
	v_lshlrev_b32_e32 v18, 16, v18
	v_mul_f32_e32 v18, v5, v18
	v_bfe_u32 v21, v18, 16, 1
	v_or_b32_e32 v22, 0x400000, v18
	v_cmp_u_f32_e32 vcc_lo, v18, v18
	v_add3_u32 v21, v21, v18, 0x7fff
	v_cndmask_b32_e32 v18, v21, v22, vcc_lo
	buffer_load_dword v21, off, s[0:3], s32 offset:572 ; 4-byte Folded Reload
	v_and_b32_e32 v1, 0xffff0000, v18
	v_add_f32_e32 v1, v1, v12
	v_add_f32_e32 v0, v0, v1
	s_waitcnt vmcnt(0)
	v_lshlrev_b32_e32 v21, 16, v21
	v_mul_f32_e32 v21, v2, v21
	v_bfe_u32 v22, v21, 16, 1
	v_or_b32_e32 v23, 0x400000, v21
	v_cmp_u_f32_e32 vcc_lo, v21, v21
	v_add3_u32 v22, v22, v21, 0x7fff
	v_cndmask_b32_e32 v21, v22, v23, vcc_lo
	buffer_load_dword v22, off, s[0:3], s32 offset:564 ; 4-byte Folded Reload
	v_and_b32_e32 v12, 0xffff0000, v21
	s_waitcnt vmcnt(0)
	v_lshlrev_b32_e32 v22, 16, v22
	v_mul_f32_e32 v22, v3, v22
	v_bfe_u32 v23, v22, 16, 1
	v_or_b32_e32 v26, 0x400000, v22
	v_cmp_u_f32_e32 vcc_lo, v22, v22
	v_add3_u32 v23, v23, v22, 0x7fff
	v_cndmask_b32_e32 v22, v23, v26, vcc_lo
	v_and_b32_e32 v1, 0xffff0000, v22
	v_add_f32_e32 v1, v1, v12
	v_add_f32_e32 v0, v0, v1
	buffer_load_dword v1, off, s[0:3], s32 offset:652 ; 4-byte Folded Reload
	s_waitcnt vmcnt(0)
	v_add_f32_e32 v1, v1, v0
	buffer_load_dword v0, off, s[0:3], s32 offset:536 ; 4-byte Folded Reload
	buffer_store_dword v1, off, s[0:3], s32 offset:652 ; 4-byte Folded Spill
	s_waitcnt vmcnt(0)
	v_lshlrev_b32_e32 v0, 16, v0
	v_mul_f32_e32 v0, v8, v0
	v_bfe_u32 v1, v0, 16, 1
	v_or_b32_e32 v12, 0x400000, v0
	v_cmp_u_f32_e32 vcc_lo, v0, v0
	v_add3_u32 v1, v1, v0, 0x7fff
	v_cndmask_b32_e32 v0, v1, v12, vcc_lo
	buffer_load_dword v1, off, s[0:3], s32 offset:540 ; 4-byte Folded Reload
	v_and_b32_e32 v0, 0xffff0000, v0
	s_waitcnt vmcnt(0)
	v_lshlrev_b32_e32 v1, 16, v1
	v_mul_f32_e32 v1, v9, v1
	v_bfe_u32 v12, v1, 16, 1
	v_or_b32_e32 v13, 0x400000, v1
	v_cmp_u_f32_e32 vcc_lo, v1, v1
	v_add3_u32 v12, v12, v1, 0x7fff
	v_cndmask_b32_e32 v1, v12, v13, vcc_lo
	buffer_load_dword v12, off, s[0:3], s32 offset:520 ; 4-byte Folded Reload
	v_and_b32_e32 v1, 0xffff0000, v1
	v_add_f32_e32 v0, v1, v0
	s_waitcnt vmcnt(0)
	v_lshlrev_b32_e32 v12, 16, v12
	v_mul_f32_e32 v12, v6, v12
	v_bfe_u32 v13, v12, 16, 1
	v_or_b32_e32 v14, 0x400000, v12
	v_cmp_u_f32_e32 vcc_lo, v12, v12
	v_add3_u32 v13, v13, v12, 0x7fff
	v_cndmask_b32_e32 v12, v13, v14, vcc_lo
	buffer_load_dword v13, off, s[0:3], s32 offset:528 ; 4-byte Folded Reload
	v_and_b32_e32 v12, 0xffff0000, v12
	s_waitcnt vmcnt(0)
	v_lshlrev_b32_e32 v13, 16, v13
	v_mul_f32_e32 v13, v7, v13
	v_bfe_u32 v14, v13, 16, 1
	v_or_b32_e32 v18, 0x400000, v13
	v_cmp_u_f32_e32 vcc_lo, v13, v13
	v_add3_u32 v14, v14, v13, 0x7fff
	v_cndmask_b32_e32 v13, v14, v18, vcc_lo
	buffer_load_dword v14, off, s[0:3], s32 offset:516 ; 4-byte Folded Reload
	v_and_b32_e32 v1, 0xffff0000, v13
	v_add_f32_e32 v1, v1, v12
	v_add_f32_e32 v0, v0, v1
	s_waitcnt vmcnt(0)
	v_lshlrev_b32_e32 v14, 16, v14
	v_mul_f32_e32 v14, v4, v14
	v_bfe_u32 v18, v14, 16, 1
	v_or_b32_e32 v21, 0x400000, v14
	v_cmp_u_f32_e32 vcc_lo, v14, v14
	v_add3_u32 v18, v18, v14, 0x7fff
	v_cndmask_b32_e32 v14, v18, v21, vcc_lo
	buffer_load_dword v18, off, s[0:3], s32 offset:512 ; 4-byte Folded Reload
	v_and_b32_e32 v12, 0xffff0000, v14
	s_waitcnt vmcnt(0)
	v_lshlrev_b32_e32 v18, 16, v18
	v_mul_f32_e32 v18, v5, v18
	v_bfe_u32 v21, v18, 16, 1
	v_or_b32_e32 v22, 0x400000, v18
	v_cmp_u_f32_e32 vcc_lo, v18, v18
	v_add3_u32 v21, v21, v18, 0x7fff
	v_cndmask_b32_e32 v18, v21, v22, vcc_lo
	buffer_load_dword v21, off, s[0:3], s32 offset:532 ; 4-byte Folded Reload
	v_and_b32_e32 v1, 0xffff0000, v18
	v_add_f32_e32 v1, v1, v12
	v_add_f32_e32 v0, v0, v1
	s_waitcnt vmcnt(0)
	v_lshlrev_b32_e32 v21, 16, v21
	v_mul_f32_e32 v21, v2, v21
	v_bfe_u32 v22, v21, 16, 1
	v_or_b32_e32 v23, 0x400000, v21
	v_cmp_u_f32_e32 vcc_lo, v21, v21
	v_add3_u32 v22, v22, v21, 0x7fff
	v_cndmask_b32_e32 v21, v22, v23, vcc_lo
	buffer_load_dword v22, off, s[0:3], s32 offset:524 ; 4-byte Folded Reload
	v_and_b32_e32 v12, 0xffff0000, v21
	s_waitcnt vmcnt(0)
	v_lshlrev_b32_e32 v22, 16, v22
	v_mul_f32_e32 v22, v3, v22
	v_bfe_u32 v23, v22, 16, 1
	v_or_b32_e32 v26, 0x400000, v22
	v_cmp_u_f32_e32 vcc_lo, v22, v22
	v_add3_u32 v23, v23, v22, 0x7fff
	v_cndmask_b32_e32 v22, v23, v26, vcc_lo
	v_and_b32_e32 v1, 0xffff0000, v22
	v_add_f32_e32 v1, v1, v12
	v_add_f32_e32 v0, v0, v1
	buffer_load_dword v1, off, s[0:3], s32 offset:656 ; 4-byte Folded Reload
	s_waitcnt vmcnt(0)
	v_add_f32_e32 v1, v1, v0
	buffer_load_dword v0, off, s[0:3], s32 offset:508 ; 4-byte Folded Reload
	buffer_store_dword v1, off, s[0:3], s32 offset:656 ; 4-byte Folded Spill
	s_waitcnt vmcnt(0)
	v_lshlrev_b32_e32 v0, 16, v0
	v_mul_f32_e32 v0, v8, v0
	v_bfe_u32 v1, v0, 16, 1
	v_or_b32_e32 v12, 0x400000, v0
	v_cmp_u_f32_e32 vcc_lo, v0, v0
	v_add3_u32 v1, v1, v0, 0x7fff
	v_cndmask_b32_e32 v0, v1, v12, vcc_lo
	buffer_load_dword v1, off, s[0:3], s32 offset:504 ; 4-byte Folded Reload
	v_and_b32_e32 v0, 0xffff0000, v0
	s_waitcnt vmcnt(0)
	v_lshlrev_b32_e32 v1, 16, v1
	v_mul_f32_e32 v1, v9, v1
	v_bfe_u32 v12, v1, 16, 1
	v_or_b32_e32 v13, 0x400000, v1
	v_cmp_u_f32_e32 vcc_lo, v1, v1
	v_add3_u32 v12, v12, v1, 0x7fff
	v_cndmask_b32_e32 v1, v12, v13, vcc_lo
	buffer_load_dword v12, off, s[0:3], s32 offset:488 ; 4-byte Folded Reload
	v_and_b32_e32 v1, 0xffff0000, v1
	v_add_f32_e32 v0, v1, v0
	s_waitcnt vmcnt(0)
	v_lshlrev_b32_e32 v12, 16, v12
	v_mul_f32_e32 v12, v6, v12
	v_bfe_u32 v13, v12, 16, 1
	v_or_b32_e32 v14, 0x400000, v12
	v_cmp_u_f32_e32 vcc_lo, v12, v12
	v_add3_u32 v13, v13, v12, 0x7fff
	v_cndmask_b32_e32 v12, v13, v14, vcc_lo
	buffer_load_dword v13, off, s[0:3], s32 offset:492 ; 4-byte Folded Reload
	v_and_b32_e32 v12, 0xffff0000, v12
	s_waitcnt vmcnt(0)
	v_lshlrev_b32_e32 v13, 16, v13
	v_mul_f32_e32 v13, v7, v13
	v_bfe_u32 v14, v13, 16, 1
	v_or_b32_e32 v18, 0x400000, v13
	v_cmp_u_f32_e32 vcc_lo, v13, v13
	v_add3_u32 v14, v14, v13, 0x7fff
	v_cndmask_b32_e32 v13, v14, v18, vcc_lo
	buffer_load_dword v14, off, s[0:3], s32 offset:484 ; 4-byte Folded Reload
	v_and_b32_e32 v1, 0xffff0000, v13
	v_add_f32_e32 v1, v1, v12
	v_add_f32_e32 v0, v0, v1
	s_waitcnt vmcnt(0)
	v_lshlrev_b32_e32 v14, 16, v14
	v_mul_f32_e32 v14, v4, v14
	v_bfe_u32 v18, v14, 16, 1
	v_or_b32_e32 v21, 0x400000, v14
	v_cmp_u_f32_e32 vcc_lo, v14, v14
	v_add3_u32 v18, v18, v14, 0x7fff
	v_cndmask_b32_e32 v14, v18, v21, vcc_lo
	buffer_load_dword v18, off, s[0:3], s32 offset:480 ; 4-byte Folded Reload
	v_and_b32_e32 v12, 0xffff0000, v14
	s_waitcnt vmcnt(0)
	v_lshlrev_b32_e32 v18, 16, v18
	v_mul_f32_e32 v18, v5, v18
	v_bfe_u32 v21, v18, 16, 1
	v_or_b32_e32 v22, 0x400000, v18
	v_cmp_u_f32_e32 vcc_lo, v18, v18
	v_add3_u32 v21, v21, v18, 0x7fff
	v_cndmask_b32_e32 v18, v21, v22, vcc_lo
	buffer_load_dword v21, off, s[0:3], s32 offset:500 ; 4-byte Folded Reload
	v_and_b32_e32 v1, 0xffff0000, v18
	v_add_f32_e32 v1, v1, v12
	v_add_f32_e32 v0, v0, v1
	s_waitcnt vmcnt(0)
	v_lshlrev_b32_e32 v21, 16, v21
	v_mul_f32_e32 v21, v2, v21
	v_bfe_u32 v22, v21, 16, 1
	v_or_b32_e32 v23, 0x400000, v21
	v_cmp_u_f32_e32 vcc_lo, v21, v21
	v_add3_u32 v22, v22, v21, 0x7fff
	v_cndmask_b32_e32 v21, v22, v23, vcc_lo
	buffer_load_dword v22, off, s[0:3], s32 offset:496 ; 4-byte Folded Reload
	v_and_b32_e32 v12, 0xffff0000, v21
	s_waitcnt vmcnt(0)
	v_lshlrev_b32_e32 v22, 16, v22
	v_mul_f32_e32 v22, v3, v22
	v_bfe_u32 v23, v22, 16, 1
	v_or_b32_e32 v26, 0x400000, v22
	v_cmp_u_f32_e32 vcc_lo, v22, v22
	v_add3_u32 v23, v23, v22, 0x7fff
	v_cndmask_b32_e32 v22, v23, v26, vcc_lo
	v_and_b32_e32 v1, 0xffff0000, v22
	v_add_f32_e32 v1, v1, v12
	v_add_f32_e32 v0, v0, v1
	buffer_load_dword v1, off, s[0:3], s32 offset:660 ; 4-byte Folded Reload
	s_waitcnt vmcnt(0)
	v_add_f32_e32 v1, v1, v0
	buffer_load_dword v0, off, s[0:3], s32 offset:476 ; 4-byte Folded Reload
	buffer_store_dword v1, off, s[0:3], s32 offset:660 ; 4-byte Folded Spill
	s_waitcnt vmcnt(0)
	v_lshlrev_b32_e32 v0, 16, v0
	v_mul_f32_e32 v0, v8, v0
	v_bfe_u32 v1, v0, 16, 1
	v_or_b32_e32 v12, 0x400000, v0
	v_cmp_u_f32_e32 vcc_lo, v0, v0
	v_add3_u32 v1, v1, v0, 0x7fff
	v_cndmask_b32_e32 v0, v1, v12, vcc_lo
	buffer_load_dword v1, off, s[0:3], s32 offset:472 ; 4-byte Folded Reload
	v_and_b32_e32 v0, 0xffff0000, v0
	s_waitcnt vmcnt(0)
	v_lshlrev_b32_e32 v1, 16, v1
	v_mul_f32_e32 v1, v9, v1
	v_bfe_u32 v12, v1, 16, 1
	v_or_b32_e32 v13, 0x400000, v1
	v_cmp_u_f32_e32 vcc_lo, v1, v1
	v_add3_u32 v12, v12, v1, 0x7fff
	v_cndmask_b32_e32 v1, v12, v13, vcc_lo
	buffer_load_dword v12, off, s[0:3], s32 offset:460 ; 4-byte Folded Reload
	v_and_b32_e32 v1, 0xffff0000, v1
	v_add_f32_e32 v0, v1, v0
	s_waitcnt vmcnt(0)
	v_lshlrev_b32_e32 v12, 16, v12
	v_mul_f32_e32 v12, v6, v12
	v_bfe_u32 v13, v12, 16, 1
	v_or_b32_e32 v14, 0x400000, v12
	v_cmp_u_f32_e32 vcc_lo, v12, v12
	v_add3_u32 v13, v13, v12, 0x7fff
	v_cndmask_b32_e32 v12, v13, v14, vcc_lo
	buffer_load_dword v13, off, s[0:3], s32 offset:464 ; 4-byte Folded Reload
	v_and_b32_e32 v12, 0xffff0000, v12
	s_waitcnt vmcnt(0)
	v_lshlrev_b32_e32 v13, 16, v13
	v_mul_f32_e32 v13, v7, v13
	v_bfe_u32 v14, v13, 16, 1
	v_or_b32_e32 v18, 0x400000, v13
	v_cmp_u_f32_e32 vcc_lo, v13, v13
	v_add3_u32 v14, v14, v13, 0x7fff
	v_cndmask_b32_e32 v13, v14, v18, vcc_lo
	buffer_load_dword v14, off, s[0:3], s32 offset:452 ; 4-byte Folded Reload
	v_and_b32_e32 v1, 0xffff0000, v13
	v_add_f32_e32 v1, v1, v12
	v_add_f32_e32 v0, v0, v1
	s_waitcnt vmcnt(0)
	v_lshlrev_b32_e32 v14, 16, v14
	v_mul_f32_e32 v14, v4, v14
	v_bfe_u32 v18, v14, 16, 1
	v_or_b32_e32 v21, 0x400000, v14
	v_cmp_u_f32_e32 vcc_lo, v14, v14
	v_add3_u32 v18, v18, v14, 0x7fff
	v_cndmask_b32_e32 v14, v18, v21, vcc_lo
	buffer_load_dword v18, off, s[0:3], s32 offset:448 ; 4-byte Folded Reload
	v_and_b32_e32 v12, 0xffff0000, v14
	s_waitcnt vmcnt(0)
	v_lshlrev_b32_e32 v18, 16, v18
	v_mul_f32_e32 v18, v5, v18
	v_bfe_u32 v21, v18, 16, 1
	v_or_b32_e32 v22, 0x400000, v18
	v_cmp_u_f32_e32 vcc_lo, v18, v18
	v_add3_u32 v21, v21, v18, 0x7fff
	v_cndmask_b32_e32 v18, v21, v22, vcc_lo
	buffer_load_dword v21, off, s[0:3], s32 offset:468 ; 4-byte Folded Reload
	v_and_b32_e32 v1, 0xffff0000, v18
	v_add_f32_e32 v1, v1, v12
	v_add_f32_e32 v0, v0, v1
	s_waitcnt vmcnt(0)
	v_lshlrev_b32_e32 v21, 16, v21
	v_mul_f32_e32 v21, v2, v21
	v_bfe_u32 v22, v21, 16, 1
	v_or_b32_e32 v23, 0x400000, v21
	v_cmp_u_f32_e32 vcc_lo, v21, v21
	v_add3_u32 v22, v22, v21, 0x7fff
	v_cndmask_b32_e32 v21, v22, v23, vcc_lo
	buffer_load_dword v22, off, s[0:3], s32 offset:456 ; 4-byte Folded Reload
	v_and_b32_e32 v12, 0xffff0000, v21
	s_waitcnt vmcnt(0)
	v_lshlrev_b32_e32 v22, 16, v22
	v_mul_f32_e32 v22, v3, v22
	v_bfe_u32 v23, v22, 16, 1
	v_or_b32_e32 v26, 0x400000, v22
	v_cmp_u_f32_e32 vcc_lo, v22, v22
	v_add3_u32 v23, v23, v22, 0x7fff
	v_cndmask_b32_e32 v22, v23, v26, vcc_lo
	v_and_b32_e32 v1, 0xffff0000, v22
	v_add_f32_e32 v1, v1, v12
	v_add_f32_e32 v0, v0, v1
	buffer_load_dword v1, off, s[0:3], s32 offset:664 ; 4-byte Folded Reload
	s_waitcnt vmcnt(0)
	v_add_f32_e32 v1, v1, v0
	buffer_load_dword v0, off, s[0:3], s32 offset:444 ; 4-byte Folded Reload
	buffer_store_dword v1, off, s[0:3], s32 offset:664 ; 4-byte Folded Spill
	s_waitcnt vmcnt(0)
	v_lshlrev_b32_e32 v0, 16, v0
	v_mul_f32_e32 v0, v8, v0
	v_bfe_u32 v1, v0, 16, 1
	v_or_b32_e32 v12, 0x400000, v0
	v_cmp_u_f32_e32 vcc_lo, v0, v0
	v_add3_u32 v1, v1, v0, 0x7fff
	v_cndmask_b32_e32 v0, v1, v12, vcc_lo
	buffer_load_dword v1, off, s[0:3], s32 offset:440 ; 4-byte Folded Reload
	v_and_b32_e32 v0, 0xffff0000, v0
	s_waitcnt vmcnt(0)
	v_lshlrev_b32_e32 v1, 16, v1
	v_mul_f32_e32 v1, v9, v1
	v_bfe_u32 v12, v1, 16, 1
	v_or_b32_e32 v13, 0x400000, v1
	v_cmp_u_f32_e32 vcc_lo, v1, v1
	v_add3_u32 v12, v12, v1, 0x7fff
	v_cndmask_b32_e32 v1, v12, v13, vcc_lo
	buffer_load_dword v12, off, s[0:3], s32 offset:428 ; 4-byte Folded Reload
	v_and_b32_e32 v1, 0xffff0000, v1
	v_add_f32_e32 v0, v1, v0
	s_waitcnt vmcnt(0)
	v_lshlrev_b32_e32 v12, 16, v12
	v_mul_f32_e32 v12, v6, v12
	v_bfe_u32 v13, v12, 16, 1
	v_or_b32_e32 v14, 0x400000, v12
	v_cmp_u_f32_e32 vcc_lo, v12, v12
	v_add3_u32 v13, v13, v12, 0x7fff
	v_cndmask_b32_e32 v12, v13, v14, vcc_lo
	buffer_load_dword v13, off, s[0:3], s32 offset:432 ; 4-byte Folded Reload
	v_and_b32_e32 v12, 0xffff0000, v12
	s_waitcnt vmcnt(0)
	v_lshlrev_b32_e32 v13, 16, v13
	v_mul_f32_e32 v13, v7, v13
	v_bfe_u32 v14, v13, 16, 1
	v_or_b32_e32 v18, 0x400000, v13
	v_cmp_u_f32_e32 vcc_lo, v13, v13
	v_add3_u32 v14, v14, v13, 0x7fff
	v_cndmask_b32_e32 v13, v14, v18, vcc_lo
	buffer_load_dword v14, off, s[0:3], s32 offset:420 ; 4-byte Folded Reload
	v_and_b32_e32 v1, 0xffff0000, v13
	v_add_f32_e32 v1, v1, v12
	v_add_f32_e32 v0, v0, v1
	s_waitcnt vmcnt(0)
	v_lshlrev_b32_e32 v14, 16, v14
	v_mul_f32_e32 v14, v4, v14
	v_bfe_u32 v18, v14, 16, 1
	v_or_b32_e32 v21, 0x400000, v14
	v_cmp_u_f32_e32 vcc_lo, v14, v14
	v_add3_u32 v18, v18, v14, 0x7fff
	v_cndmask_b32_e32 v14, v18, v21, vcc_lo
	buffer_load_dword v18, off, s[0:3], s32 offset:416 ; 4-byte Folded Reload
	v_and_b32_e32 v12, 0xffff0000, v14
	s_waitcnt vmcnt(0)
	v_lshlrev_b32_e32 v18, 16, v18
	v_mul_f32_e32 v18, v5, v18
	v_bfe_u32 v21, v18, 16, 1
	v_or_b32_e32 v22, 0x400000, v18
	v_cmp_u_f32_e32 vcc_lo, v18, v18
	v_add3_u32 v21, v21, v18, 0x7fff
	v_cndmask_b32_e32 v18, v21, v22, vcc_lo
	buffer_load_dword v21, off, s[0:3], s32 offset:436 ; 4-byte Folded Reload
	v_and_b32_e32 v1, 0xffff0000, v18
	v_add_f32_e32 v1, v1, v12
	v_add_f32_e32 v0, v0, v1
	s_waitcnt vmcnt(0)
	v_lshlrev_b32_e32 v21, 16, v21
	v_mul_f32_e32 v21, v2, v21
	v_bfe_u32 v22, v21, 16, 1
	v_or_b32_e32 v23, 0x400000, v21
	v_cmp_u_f32_e32 vcc_lo, v21, v21
	v_add3_u32 v22, v22, v21, 0x7fff
	v_cndmask_b32_e32 v21, v22, v23, vcc_lo
	buffer_load_dword v22, off, s[0:3], s32 offset:424 ; 4-byte Folded Reload
	v_and_b32_e32 v12, 0xffff0000, v21
	s_waitcnt vmcnt(0)
	v_lshlrev_b32_e32 v22, 16, v22
	v_mul_f32_e32 v22, v3, v22
	v_bfe_u32 v23, v22, 16, 1
	v_or_b32_e32 v26, 0x400000, v22
	v_cmp_u_f32_e32 vcc_lo, v22, v22
	v_add3_u32 v23, v23, v22, 0x7fff
	v_cndmask_b32_e32 v22, v23, v26, vcc_lo
	v_and_b32_e32 v1, 0xffff0000, v22
	v_add_f32_e32 v1, v1, v12
	v_add_f32_e32 v0, v0, v1
	buffer_load_dword v1, off, s[0:3], s32 offset:668 ; 4-byte Folded Reload
	s_waitcnt vmcnt(0)
	v_add_f32_e32 v1, v1, v0
	buffer_load_dword v0, off, s[0:3], s32 offset:412 ; 4-byte Folded Reload
	buffer_store_dword v1, off, s[0:3], s32 offset:668 ; 4-byte Folded Spill
	s_waitcnt vmcnt(0)
	v_lshlrev_b32_e32 v0, 16, v0
	v_mul_f32_e32 v0, v8, v0
	v_bfe_u32 v1, v0, 16, 1
	v_or_b32_e32 v12, 0x400000, v0
	v_cmp_u_f32_e32 vcc_lo, v0, v0
	v_add3_u32 v1, v1, v0, 0x7fff
	v_cndmask_b32_e32 v0, v1, v12, vcc_lo
	buffer_load_dword v1, off, s[0:3], s32 offset:408 ; 4-byte Folded Reload
	v_and_b32_e32 v0, 0xffff0000, v0
	s_waitcnt vmcnt(0)
	v_lshlrev_b32_e32 v1, 16, v1
	v_mul_f32_e32 v1, v9, v1
	v_bfe_u32 v12, v1, 16, 1
	v_or_b32_e32 v13, 0x400000, v1
	v_cmp_u_f32_e32 vcc_lo, v1, v1
	v_add3_u32 v12, v12, v1, 0x7fff
	v_cndmask_b32_e32 v1, v12, v13, vcc_lo
	buffer_load_dword v12, off, s[0:3], s32 offset:400 ; 4-byte Folded Reload
	v_and_b32_e32 v1, 0xffff0000, v1
	v_add_f32_e32 v0, v1, v0
	s_waitcnt vmcnt(0)
	v_lshlrev_b32_e32 v12, 16, v12
	v_mul_f32_e32 v12, v6, v12
	v_bfe_u32 v13, v12, 16, 1
	v_or_b32_e32 v14, 0x400000, v12
	v_cmp_u_f32_e32 vcc_lo, v12, v12
	v_add3_u32 v13, v13, v12, 0x7fff
	v_cndmask_b32_e32 v12, v13, v14, vcc_lo
	buffer_load_dword v13, off, s[0:3], s32 offset:396 ; 4-byte Folded Reload
	v_and_b32_e32 v12, 0xffff0000, v12
	s_waitcnt vmcnt(0)
	v_lshlrev_b32_e32 v13, 16, v13
	v_mul_f32_e32 v13, v7, v13
	v_bfe_u32 v14, v13, 16, 1
	v_or_b32_e32 v18, 0x400000, v13
	v_cmp_u_f32_e32 vcc_lo, v13, v13
	v_add3_u32 v14, v14, v13, 0x7fff
	v_cndmask_b32_e32 v13, v14, v18, vcc_lo
	buffer_load_dword v14, off, s[0:3], s32 offset:388 ; 4-byte Folded Reload
	v_and_b32_e32 v1, 0xffff0000, v13
	v_add_f32_e32 v1, v1, v12
	v_add_f32_e32 v0, v0, v1
	s_waitcnt vmcnt(0)
	v_lshlrev_b32_e32 v14, 16, v14
	v_mul_f32_e32 v14, v4, v14
	v_bfe_u32 v18, v14, 16, 1
	v_or_b32_e32 v21, 0x400000, v14
	v_cmp_u_f32_e32 vcc_lo, v14, v14
	v_add3_u32 v18, v18, v14, 0x7fff
	v_cndmask_b32_e32 v14, v18, v21, vcc_lo
	buffer_load_dword v18, off, s[0:3], s32 offset:384 ; 4-byte Folded Reload
	v_and_b32_e32 v12, 0xffff0000, v14
	s_waitcnt vmcnt(0)
	v_lshlrev_b32_e32 v18, 16, v18
	v_mul_f32_e32 v18, v5, v18
	v_bfe_u32 v21, v18, 16, 1
	v_or_b32_e32 v22, 0x400000, v18
	v_cmp_u_f32_e32 vcc_lo, v18, v18
	v_add3_u32 v21, v21, v18, 0x7fff
	v_cndmask_b32_e32 v18, v21, v22, vcc_lo
	buffer_load_dword v21, off, s[0:3], s32 offset:404 ; 4-byte Folded Reload
	v_and_b32_e32 v1, 0xffff0000, v18
	v_add_f32_e32 v1, v1, v12
	v_add_f32_e32 v0, v0, v1
	s_waitcnt vmcnt(0)
	v_lshlrev_b32_e32 v21, 16, v21
	v_mul_f32_e32 v21, v2, v21
	v_bfe_u32 v22, v21, 16, 1
	v_or_b32_e32 v23, 0x400000, v21
	v_cmp_u_f32_e32 vcc_lo, v21, v21
	v_add3_u32 v22, v22, v21, 0x7fff
	v_cndmask_b32_e32 v21, v22, v23, vcc_lo
	buffer_load_dword v22, off, s[0:3], s32 offset:392 ; 4-byte Folded Reload
	v_and_b32_e32 v12, 0xffff0000, v21
	s_waitcnt vmcnt(0)
	v_lshlrev_b32_e32 v22, 16, v22
	v_mul_f32_e32 v22, v3, v22
	v_bfe_u32 v23, v22, 16, 1
	v_or_b32_e32 v26, 0x400000, v22
	v_cmp_u_f32_e32 vcc_lo, v22, v22
	v_add3_u32 v23, v23, v22, 0x7fff
	v_cndmask_b32_e32 v22, v23, v26, vcc_lo
	v_and_b32_e32 v1, 0xffff0000, v22
	v_add_f32_e32 v1, v1, v12
	v_add_f32_e32 v0, v0, v1
	buffer_load_dword v1, off, s[0:3], s32 offset:672 ; 4-byte Folded Reload
	s_waitcnt vmcnt(0)
	v_add_f32_e32 v1, v1, v0
	buffer_load_dword v0, off, s[0:3], s32 offset:380 ; 4-byte Folded Reload
	buffer_store_dword v1, off, s[0:3], s32 offset:672 ; 4-byte Folded Spill
	s_waitcnt vmcnt(0)
	v_lshlrev_b32_e32 v0, 16, v0
	v_mul_f32_e32 v0, v8, v0
	v_bfe_u32 v1, v0, 16, 1
	v_or_b32_e32 v12, 0x400000, v0
	v_cmp_u_f32_e32 vcc_lo, v0, v0
	v_add3_u32 v1, v1, v0, 0x7fff
	v_cndmask_b32_e32 v0, v1, v12, vcc_lo
	buffer_load_dword v1, off, s[0:3], s32 offset:376 ; 4-byte Folded Reload
	v_and_b32_e32 v0, 0xffff0000, v0
	s_waitcnt vmcnt(0)
	v_lshlrev_b32_e32 v1, 16, v1
	v_mul_f32_e32 v1, v9, v1
	v_bfe_u32 v12, v1, 16, 1
	v_or_b32_e32 v13, 0x400000, v1
	v_cmp_u_f32_e32 vcc_lo, v1, v1
	v_add3_u32 v12, v12, v1, 0x7fff
	v_cndmask_b32_e32 v1, v12, v13, vcc_lo
	buffer_load_dword v12, off, s[0:3], s32 offset:368 ; 4-byte Folded Reload
	v_and_b32_e32 v1, 0xffff0000, v1
	v_add_f32_e32 v0, v1, v0
	s_waitcnt vmcnt(0)
	v_lshlrev_b32_e32 v12, 16, v12
	v_mul_f32_e32 v12, v6, v12
	v_bfe_u32 v13, v12, 16, 1
	v_or_b32_e32 v14, 0x400000, v12
	v_cmp_u_f32_e32 vcc_lo, v12, v12
	v_add3_u32 v13, v13, v12, 0x7fff
	v_cndmask_b32_e32 v12, v13, v14, vcc_lo
	buffer_load_dword v13, off, s[0:3], s32 offset:372 ; 4-byte Folded Reload
	v_and_b32_e32 v12, 0xffff0000, v12
	s_waitcnt vmcnt(0)
	v_lshlrev_b32_e32 v13, 16, v13
	v_mul_f32_e32 v13, v7, v13
	v_bfe_u32 v14, v13, 16, 1
	v_or_b32_e32 v18, 0x400000, v13
	v_cmp_u_f32_e32 vcc_lo, v13, v13
	v_add3_u32 v14, v14, v13, 0x7fff
	v_cndmask_b32_e32 v13, v14, v18, vcc_lo
	buffer_load_dword v14, off, s[0:3], s32 offset:364 ; 4-byte Folded Reload
	v_and_b32_e32 v1, 0xffff0000, v13
	v_add_f32_e32 v1, v1, v12
	v_add_f32_e32 v0, v0, v1
	s_waitcnt vmcnt(0)
	v_lshlrev_b32_e32 v14, 16, v14
	v_mul_f32_e32 v14, v4, v14
	v_bfe_u32 v18, v14, 16, 1
	v_or_b32_e32 v21, 0x400000, v14
	v_cmp_u_f32_e32 vcc_lo, v14, v14
	v_add3_u32 v18, v18, v14, 0x7fff
	v_cndmask_b32_e32 v14, v18, v21, vcc_lo
	buffer_load_dword v18, off, s[0:3], s32 offset:356 ; 4-byte Folded Reload
	v_and_b32_e32 v12, 0xffff0000, v14
	s_waitcnt vmcnt(0)
	v_lshlrev_b32_e32 v18, 16, v18
	v_mul_f32_e32 v18, v5, v18
	v_bfe_u32 v21, v18, 16, 1
	v_or_b32_e32 v22, 0x400000, v18
	v_cmp_u_f32_e32 vcc_lo, v18, v18
	v_add3_u32 v21, v21, v18, 0x7fff
	v_cndmask_b32_e32 v18, v21, v22, vcc_lo
	buffer_load_dword v21, off, s[0:3], s32 offset:360 ; 4-byte Folded Reload
	v_and_b32_e32 v1, 0xffff0000, v18
	v_add_f32_e32 v1, v1, v12
	v_add_f32_e32 v0, v0, v1
	s_waitcnt vmcnt(0)
	v_lshlrev_b32_e32 v21, 16, v21
	v_mul_f32_e32 v21, v2, v21
	v_bfe_u32 v22, v21, 16, 1
	v_or_b32_e32 v23, 0x400000, v21
	v_cmp_u_f32_e32 vcc_lo, v21, v21
	v_add3_u32 v22, v22, v21, 0x7fff
	v_cndmask_b32_e32 v21, v22, v23, vcc_lo
	buffer_load_dword v22, off, s[0:3], s32 offset:352 ; 4-byte Folded Reload
	v_and_b32_e32 v12, 0xffff0000, v21
	s_waitcnt vmcnt(0)
	v_lshlrev_b32_e32 v22, 16, v22
	v_mul_f32_e32 v22, v3, v22
	v_bfe_u32 v23, v22, 16, 1
	v_or_b32_e32 v26, 0x400000, v22
	v_cmp_u_f32_e32 vcc_lo, v22, v22
	v_add3_u32 v23, v23, v22, 0x7fff
	v_cndmask_b32_e32 v22, v23, v26, vcc_lo
	v_and_b32_e32 v1, 0xffff0000, v22
	v_add_f32_e32 v1, v1, v12
	v_add_f32_e32 v0, v0, v1
	buffer_load_dword v1, off, s[0:3], s32 offset:676 ; 4-byte Folded Reload
	s_waitcnt vmcnt(0)
	v_add_f32_e32 v1, v1, v0
	buffer_load_dword v0, off, s[0:3], s32 offset:348 ; 4-byte Folded Reload
	buffer_store_dword v1, off, s[0:3], s32 offset:676 ; 4-byte Folded Spill
	s_waitcnt vmcnt(0)
	v_lshlrev_b32_e32 v0, 16, v0
	v_mul_f32_e32 v0, v8, v0
	v_bfe_u32 v1, v0, 16, 1
	v_or_b32_e32 v12, 0x400000, v0
	v_cmp_u_f32_e32 vcc_lo, v0, v0
	v_add3_u32 v1, v1, v0, 0x7fff
	v_cndmask_b32_e32 v0, v1, v12, vcc_lo
	buffer_load_dword v1, off, s[0:3], s32 offset:344 ; 4-byte Folded Reload
	v_and_b32_e32 v0, 0xffff0000, v0
	s_waitcnt vmcnt(0)
	v_lshlrev_b32_e32 v1, 16, v1
	v_mul_f32_e32 v1, v9, v1
	v_bfe_u32 v12, v1, 16, 1
	v_or_b32_e32 v13, 0x400000, v1
	v_cmp_u_f32_e32 vcc_lo, v1, v1
	v_add3_u32 v12, v12, v1, 0x7fff
	v_cndmask_b32_e32 v1, v12, v13, vcc_lo
	buffer_load_dword v12, off, s[0:3], s32 offset:340 ; 4-byte Folded Reload
	v_and_b32_e32 v1, 0xffff0000, v1
	v_add_f32_e32 v0, v1, v0
	s_waitcnt vmcnt(0)
	v_lshlrev_b32_e32 v12, 16, v12
	v_mul_f32_e32 v12, v6, v12
	v_bfe_u32 v13, v12, 16, 1
	v_or_b32_e32 v14, 0x400000, v12
	v_cmp_u_f32_e32 vcc_lo, v12, v12
	v_add3_u32 v13, v13, v12, 0x7fff
	v_cndmask_b32_e32 v12, v13, v14, vcc_lo
	buffer_load_dword v13, off, s[0:3], s32 offset:336 ; 4-byte Folded Reload
	v_and_b32_e32 v12, 0xffff0000, v12
	s_waitcnt vmcnt(0)
	v_lshlrev_b32_e32 v13, 16, v13
	v_mul_f32_e32 v13, v7, v13
	v_bfe_u32 v14, v13, 16, 1
	v_or_b32_e32 v18, 0x400000, v13
	v_cmp_u_f32_e32 vcc_lo, v13, v13
	v_add3_u32 v14, v14, v13, 0x7fff
	v_cndmask_b32_e32 v13, v14, v18, vcc_lo
	buffer_load_dword v14, off, s[0:3], s32 offset:332 ; 4-byte Folded Reload
	v_and_b32_e32 v1, 0xffff0000, v13
	v_add_f32_e32 v1, v1, v12
	v_add_f32_e32 v0, v0, v1
	s_waitcnt vmcnt(0)
	v_lshlrev_b32_e32 v14, 16, v14
	v_mul_f32_e32 v14, v4, v14
	v_bfe_u32 v18, v14, 16, 1
	v_or_b32_e32 v21, 0x400000, v14
	v_cmp_u_f32_e32 vcc_lo, v14, v14
	v_add3_u32 v18, v18, v14, 0x7fff
	v_cndmask_b32_e32 v14, v18, v21, vcc_lo
	buffer_load_dword v18, off, s[0:3], s32 offset:328 ; 4-byte Folded Reload
	v_and_b32_e32 v12, 0xffff0000, v14
	s_waitcnt vmcnt(0)
	v_lshlrev_b32_e32 v18, 16, v18
	v_mul_f32_e32 v18, v5, v18
	v_bfe_u32 v21, v18, 16, 1
	v_or_b32_e32 v22, 0x400000, v18
	v_cmp_u_f32_e32 vcc_lo, v18, v18
	v_add3_u32 v21, v21, v18, 0x7fff
	v_cndmask_b32_e32 v18, v21, v22, vcc_lo
	buffer_load_dword v21, off, s[0:3], s32 offset:324 ; 4-byte Folded Reload
	v_and_b32_e32 v1, 0xffff0000, v18
	v_add_f32_e32 v1, v1, v12
	v_add_f32_e32 v0, v0, v1
	s_waitcnt vmcnt(0)
	v_lshlrev_b32_e32 v21, 16, v21
	v_mul_f32_e32 v21, v2, v21
	v_bfe_u32 v22, v21, 16, 1
	v_or_b32_e32 v23, 0x400000, v21
	v_cmp_u_f32_e32 vcc_lo, v21, v21
	v_add3_u32 v22, v22, v21, 0x7fff
	v_cndmask_b32_e32 v21, v22, v23, vcc_lo
	buffer_load_dword v22, off, s[0:3], s32 offset:320 ; 4-byte Folded Reload
	v_and_b32_e32 v12, 0xffff0000, v21
	s_waitcnt vmcnt(0)
	v_lshlrev_b32_e32 v22, 16, v22
	v_mul_f32_e32 v22, v3, v22
	v_bfe_u32 v23, v22, 16, 1
	v_or_b32_e32 v26, 0x400000, v22
	v_cmp_u_f32_e32 vcc_lo, v22, v22
	v_add3_u32 v23, v23, v22, 0x7fff
	v_cndmask_b32_e32 v22, v23, v26, vcc_lo
	v_and_b32_e32 v1, 0xffff0000, v22
	v_add_f32_e32 v1, v1, v12
	v_add_f32_e32 v0, v0, v1
	buffer_load_dword v1, off, s[0:3], s32 offset:680 ; 4-byte Folded Reload
	s_waitcnt vmcnt(0)
	v_add_f32_e32 v1, v1, v0
	buffer_load_dword v0, off, s[0:3], s32 offset:316 ; 4-byte Folded Reload
	buffer_store_dword v1, off, s[0:3], s32 offset:680 ; 4-byte Folded Spill
	s_waitcnt vmcnt(0)
	v_lshlrev_b32_e32 v0, 16, v0
	v_mul_f32_e32 v0, v8, v0
	v_bfe_u32 v1, v0, 16, 1
	v_or_b32_e32 v12, 0x400000, v0
	v_cmp_u_f32_e32 vcc_lo, v0, v0
	v_add3_u32 v1, v1, v0, 0x7fff
	v_cndmask_b32_e32 v0, v1, v12, vcc_lo
	buffer_load_dword v1, off, s[0:3], s32 offset:312 ; 4-byte Folded Reload
	v_and_b32_e32 v0, 0xffff0000, v0
	s_waitcnt vmcnt(0)
	v_lshlrev_b32_e32 v1, 16, v1
	v_mul_f32_e32 v1, v9, v1
	v_bfe_u32 v12, v1, 16, 1
	v_or_b32_e32 v13, 0x400000, v1
	v_cmp_u_f32_e32 vcc_lo, v1, v1
	v_add3_u32 v12, v12, v1, 0x7fff
	v_cndmask_b32_e32 v1, v12, v13, vcc_lo
	buffer_load_dword v12, off, s[0:3], s32 offset:308 ; 4-byte Folded Reload
	v_and_b32_e32 v1, 0xffff0000, v1
	v_add_f32_e32 v0, v1, v0
	s_waitcnt vmcnt(0)
	v_lshlrev_b32_e32 v12, 16, v12
	v_mul_f32_e32 v12, v6, v12
	v_bfe_u32 v13, v12, 16, 1
	v_or_b32_e32 v14, 0x400000, v12
	v_cmp_u_f32_e32 vcc_lo, v12, v12
	v_add3_u32 v13, v13, v12, 0x7fff
	v_cndmask_b32_e32 v12, v13, v14, vcc_lo
	buffer_load_dword v13, off, s[0:3], s32 offset:304 ; 4-byte Folded Reload
	v_and_b32_e32 v12, 0xffff0000, v12
	s_waitcnt vmcnt(0)
	v_lshlrev_b32_e32 v13, 16, v13
	v_mul_f32_e32 v13, v7, v13
	v_bfe_u32 v14, v13, 16, 1
	v_or_b32_e32 v18, 0x400000, v13
	v_cmp_u_f32_e32 vcc_lo, v13, v13
	v_add3_u32 v14, v14, v13, 0x7fff
	v_cndmask_b32_e32 v13, v14, v18, vcc_lo
	buffer_load_dword v14, off, s[0:3], s32 offset:300 ; 4-byte Folded Reload
	v_and_b32_e32 v1, 0xffff0000, v13
	v_add_f32_e32 v1, v1, v12
	v_add_f32_e32 v0, v0, v1
	s_waitcnt vmcnt(0)
	v_lshlrev_b32_e32 v14, 16, v14
	v_mul_f32_e32 v14, v4, v14
	v_bfe_u32 v18, v14, 16, 1
	v_or_b32_e32 v21, 0x400000, v14
	v_cmp_u_f32_e32 vcc_lo, v14, v14
	v_add3_u32 v18, v18, v14, 0x7fff
	v_cndmask_b32_e32 v14, v18, v21, vcc_lo
	buffer_load_dword v18, off, s[0:3], s32 offset:296 ; 4-byte Folded Reload
	v_and_b32_e32 v12, 0xffff0000, v14
	s_waitcnt vmcnt(0)
	v_lshlrev_b32_e32 v18, 16, v18
	v_mul_f32_e32 v18, v5, v18
	v_bfe_u32 v21, v18, 16, 1
	v_or_b32_e32 v22, 0x400000, v18
	v_cmp_u_f32_e32 vcc_lo, v18, v18
	v_add3_u32 v21, v21, v18, 0x7fff
	v_cndmask_b32_e32 v18, v21, v22, vcc_lo
	buffer_load_dword v21, off, s[0:3], s32 offset:292 ; 4-byte Folded Reload
	v_and_b32_e32 v1, 0xffff0000, v18
	v_add_f32_e32 v1, v1, v12
	v_add_f32_e32 v0, v0, v1
	s_waitcnt vmcnt(0)
	v_lshlrev_b32_e32 v21, 16, v21
	v_mul_f32_e32 v21, v2, v21
	v_bfe_u32 v22, v21, 16, 1
	v_or_b32_e32 v23, 0x400000, v21
	v_cmp_u_f32_e32 vcc_lo, v21, v21
	v_add3_u32 v22, v22, v21, 0x7fff
	v_cndmask_b32_e32 v21, v22, v23, vcc_lo
	buffer_load_dword v22, off, s[0:3], s32 offset:288 ; 4-byte Folded Reload
	v_and_b32_e32 v12, 0xffff0000, v21
	s_waitcnt vmcnt(0)
	v_lshlrev_b32_e32 v22, 16, v22
	v_mul_f32_e32 v22, v3, v22
	v_bfe_u32 v23, v22, 16, 1
	v_or_b32_e32 v26, 0x400000, v22
	v_cmp_u_f32_e32 vcc_lo, v22, v22
	v_add3_u32 v23, v23, v22, 0x7fff
	v_cndmask_b32_e32 v22, v23, v26, vcc_lo
	v_and_b32_e32 v1, 0xffff0000, v22
	v_add_f32_e32 v1, v1, v12
	v_add_f32_e32 v0, v0, v1
	buffer_load_dword v1, off, s[0:3], s32 offset:684 ; 4-byte Folded Reload
	s_waitcnt vmcnt(0)
	v_add_f32_e32 v1, v1, v0
	buffer_load_dword v0, off, s[0:3], s32 offset:284 ; 4-byte Folded Reload
	buffer_store_dword v1, off, s[0:3], s32 offset:684 ; 4-byte Folded Spill
	s_waitcnt vmcnt(0)
	v_lshlrev_b32_e32 v0, 16, v0
	v_mul_f32_e32 v0, v8, v0
	v_bfe_u32 v1, v0, 16, 1
	v_or_b32_e32 v12, 0x400000, v0
	v_cmp_u_f32_e32 vcc_lo, v0, v0
	v_add3_u32 v1, v1, v0, 0x7fff
	v_cndmask_b32_e32 v0, v1, v12, vcc_lo
	buffer_load_dword v1, off, s[0:3], s32 offset:280 ; 4-byte Folded Reload
	v_and_b32_e32 v0, 0xffff0000, v0
	s_waitcnt vmcnt(0)
	v_lshlrev_b32_e32 v1, 16, v1
	v_mul_f32_e32 v1, v9, v1
	v_bfe_u32 v12, v1, 16, 1
	v_or_b32_e32 v13, 0x400000, v1
	v_cmp_u_f32_e32 vcc_lo, v1, v1
	v_add3_u32 v12, v12, v1, 0x7fff
	v_cndmask_b32_e32 v1, v12, v13, vcc_lo
	buffer_load_dword v12, off, s[0:3], s32 offset:276 ; 4-byte Folded Reload
	v_and_b32_e32 v1, 0xffff0000, v1
	v_add_f32_e32 v0, v1, v0
	s_waitcnt vmcnt(0)
	v_lshlrev_b32_e32 v12, 16, v12
	v_mul_f32_e32 v12, v6, v12
	v_bfe_u32 v13, v12, 16, 1
	v_or_b32_e32 v14, 0x400000, v12
	v_cmp_u_f32_e32 vcc_lo, v12, v12
	v_add3_u32 v13, v13, v12, 0x7fff
	v_cndmask_b32_e32 v12, v13, v14, vcc_lo
	buffer_load_dword v13, off, s[0:3], s32 offset:272 ; 4-byte Folded Reload
	v_and_b32_e32 v12, 0xffff0000, v12
	s_waitcnt vmcnt(0)
	v_lshlrev_b32_e32 v13, 16, v13
	v_mul_f32_e32 v13, v7, v13
	v_bfe_u32 v14, v13, 16, 1
	v_or_b32_e32 v18, 0x400000, v13
	v_cmp_u_f32_e32 vcc_lo, v13, v13
	v_add3_u32 v14, v14, v13, 0x7fff
	v_cndmask_b32_e32 v13, v14, v18, vcc_lo
	buffer_load_dword v14, off, s[0:3], s32 offset:268 ; 4-byte Folded Reload
	v_and_b32_e32 v1, 0xffff0000, v13
	v_add_f32_e32 v1, v1, v12
	v_add_f32_e32 v0, v0, v1
	s_waitcnt vmcnt(0)
	v_lshlrev_b32_e32 v14, 16, v14
	v_mul_f32_e32 v14, v4, v14
	v_bfe_u32 v18, v14, 16, 1
	v_or_b32_e32 v21, 0x400000, v14
	v_cmp_u_f32_e32 vcc_lo, v14, v14
	v_add3_u32 v18, v18, v14, 0x7fff
	v_cndmask_b32_e32 v14, v18, v21, vcc_lo
	buffer_load_dword v18, off, s[0:3], s32 offset:264 ; 4-byte Folded Reload
	v_and_b32_e32 v12, 0xffff0000, v14
	s_waitcnt vmcnt(0)
	v_lshlrev_b32_e32 v18, 16, v18
	v_mul_f32_e32 v18, v5, v18
	v_bfe_u32 v21, v18, 16, 1
	v_or_b32_e32 v22, 0x400000, v18
	v_cmp_u_f32_e32 vcc_lo, v18, v18
	v_add3_u32 v21, v21, v18, 0x7fff
	v_cndmask_b32_e32 v18, v21, v22, vcc_lo
	buffer_load_dword v21, off, s[0:3], s32 offset:260 ; 4-byte Folded Reload
	v_and_b32_e32 v1, 0xffff0000, v18
	v_add_f32_e32 v1, v1, v12
	v_add_f32_e32 v0, v0, v1
	s_waitcnt vmcnt(0)
	v_lshlrev_b32_e32 v21, 16, v21
	v_mul_f32_e32 v21, v2, v21
	v_bfe_u32 v22, v21, 16, 1
	v_or_b32_e32 v23, 0x400000, v21
	v_cmp_u_f32_e32 vcc_lo, v21, v21
	v_add3_u32 v22, v22, v21, 0x7fff
	v_cndmask_b32_e32 v21, v22, v23, vcc_lo
	buffer_load_dword v22, off, s[0:3], s32 offset:256 ; 4-byte Folded Reload
	v_and_b32_e32 v12, 0xffff0000, v21
	s_waitcnt vmcnt(0)
	v_lshlrev_b32_e32 v22, 16, v22
	v_mul_f32_e32 v22, v3, v22
	v_bfe_u32 v23, v22, 16, 1
	v_or_b32_e32 v26, 0x400000, v22
	v_cmp_u_f32_e32 vcc_lo, v22, v22
	v_add3_u32 v23, v23, v22, 0x7fff
	v_cndmask_b32_e32 v22, v23, v26, vcc_lo
	v_and_b32_e32 v1, 0xffff0000, v22
	v_add_f32_e32 v1, v1, v12
	v_add_f32_e32 v0, v0, v1
	buffer_load_dword v1, off, s[0:3], s32 offset:688 ; 4-byte Folded Reload
	s_waitcnt vmcnt(0)
	v_add_f32_e32 v1, v1, v0
	buffer_load_dword v0, off, s[0:3], s32 offset:252 ; 4-byte Folded Reload
	buffer_store_dword v1, off, s[0:3], s32 offset:688 ; 4-byte Folded Spill
	s_waitcnt vmcnt(0)
	v_lshlrev_b32_e32 v0, 16, v0
	v_mul_f32_e32 v0, v8, v0
	v_bfe_u32 v1, v0, 16, 1
	v_or_b32_e32 v12, 0x400000, v0
	v_cmp_u_f32_e32 vcc_lo, v0, v0
	v_add3_u32 v1, v1, v0, 0x7fff
	v_cndmask_b32_e32 v0, v1, v12, vcc_lo
	buffer_load_dword v1, off, s[0:3], s32 offset:248 ; 4-byte Folded Reload
	v_and_b32_e32 v0, 0xffff0000, v0
	s_waitcnt vmcnt(0)
	v_lshlrev_b32_e32 v1, 16, v1
	v_mul_f32_e32 v1, v9, v1
	v_bfe_u32 v12, v1, 16, 1
	v_or_b32_e32 v13, 0x400000, v1
	v_cmp_u_f32_e32 vcc_lo, v1, v1
	v_add3_u32 v12, v12, v1, 0x7fff
	v_cndmask_b32_e32 v1, v12, v13, vcc_lo
	buffer_load_dword v12, off, s[0:3], s32 offset:244 ; 4-byte Folded Reload
	v_and_b32_e32 v1, 0xffff0000, v1
	v_add_f32_e32 v0, v1, v0
	s_waitcnt vmcnt(0)
	v_lshlrev_b32_e32 v12, 16, v12
	v_mul_f32_e32 v12, v6, v12
	v_bfe_u32 v13, v12, 16, 1
	v_or_b32_e32 v14, 0x400000, v12
	v_cmp_u_f32_e32 vcc_lo, v12, v12
	v_add3_u32 v13, v13, v12, 0x7fff
	v_cndmask_b32_e32 v12, v13, v14, vcc_lo
	buffer_load_dword v13, off, s[0:3], s32 offset:240 ; 4-byte Folded Reload
	v_and_b32_e32 v12, 0xffff0000, v12
	s_waitcnt vmcnt(0)
	v_lshlrev_b32_e32 v13, 16, v13
	v_mul_f32_e32 v13, v7, v13
	v_bfe_u32 v14, v13, 16, 1
	v_or_b32_e32 v18, 0x400000, v13
	v_cmp_u_f32_e32 vcc_lo, v13, v13
	v_add3_u32 v14, v14, v13, 0x7fff
	v_cndmask_b32_e32 v13, v14, v18, vcc_lo
	buffer_load_dword v14, off, s[0:3], s32 offset:236 ; 4-byte Folded Reload
	v_and_b32_e32 v1, 0xffff0000, v13
	v_add_f32_e32 v1, v1, v12
	v_add_f32_e32 v0, v0, v1
	s_waitcnt vmcnt(0)
	v_lshlrev_b32_e32 v14, 16, v14
	v_mul_f32_e32 v14, v4, v14
	v_bfe_u32 v18, v14, 16, 1
	v_or_b32_e32 v21, 0x400000, v14
	v_cmp_u_f32_e32 vcc_lo, v14, v14
	v_add3_u32 v18, v18, v14, 0x7fff
	v_cndmask_b32_e32 v14, v18, v21, vcc_lo
	buffer_load_dword v18, off, s[0:3], s32 offset:228 ; 4-byte Folded Reload
	v_and_b32_e32 v12, 0xffff0000, v14
	s_waitcnt vmcnt(0)
	v_lshlrev_b32_e32 v18, 16, v18
	v_mul_f32_e32 v18, v5, v18
	v_bfe_u32 v21, v18, 16, 1
	v_or_b32_e32 v22, 0x400000, v18
	v_cmp_u_f32_e32 vcc_lo, v18, v18
	v_add3_u32 v21, v21, v18, 0x7fff
	v_cndmask_b32_e32 v18, v21, v22, vcc_lo
	buffer_load_dword v21, off, s[0:3], s32 offset:232 ; 4-byte Folded Reload
	v_and_b32_e32 v1, 0xffff0000, v18
	v_add_f32_e32 v1, v1, v12
	v_add_f32_e32 v0, v0, v1
	s_waitcnt vmcnt(0)
	v_lshlrev_b32_e32 v21, 16, v21
	v_mul_f32_e32 v21, v2, v21
	v_bfe_u32 v22, v21, 16, 1
	v_or_b32_e32 v23, 0x400000, v21
	v_cmp_u_f32_e32 vcc_lo, v21, v21
	v_add3_u32 v22, v22, v21, 0x7fff
	v_cndmask_b32_e32 v21, v22, v23, vcc_lo
	buffer_load_dword v22, off, s[0:3], s32 offset:196 ; 4-byte Folded Reload
	v_and_b32_e32 v12, 0xffff0000, v21
	s_waitcnt vmcnt(0)
	v_lshlrev_b32_e32 v22, 16, v22
	v_mul_f32_e32 v22, v3, v22
	v_bfe_u32 v23, v22, 16, 1
	v_or_b32_e32 v26, 0x400000, v22
	v_cmp_u_f32_e32 vcc_lo, v22, v22
	v_add3_u32 v23, v23, v22, 0x7fff
	v_cndmask_b32_e32 v22, v23, v26, vcc_lo
	v_and_b32_e32 v1, 0xffff0000, v22
	v_add_f32_e32 v1, v1, v12
	v_add_f32_e32 v0, v0, v1
	buffer_load_dword v1, off, s[0:3], s32 offset:692 ; 4-byte Folded Reload
	s_waitcnt vmcnt(0)
	v_add_f32_e32 v1, v1, v0
	v_lshlrev_b32_e32 v0, 16, v36
	buffer_store_dword v1, off, s[0:3], s32 offset:692 ; 4-byte Folded Spill
	v_mul_f32_e32 v0, v9, v0
	v_bfe_u32 v1, v0, 16, 1
	v_or_b32_e32 v9, 0x400000, v0
	v_cmp_u_f32_e32 vcc_lo, v0, v0
	v_add3_u32 v1, v1, v0, 0x7fff
	v_cndmask_b32_e32 v0, v1, v9, vcc_lo
	v_lshlrev_b32_e32 v1, 16, v25
	v_and_b32_e32 v0, 0xffff0000, v0
	v_mul_f32_e32 v1, v8, v1
	v_bfe_u32 v8, v1, 16, 1
	v_or_b32_e32 v9, 0x400000, v1
	v_cmp_u_f32_e32 vcc_lo, v1, v1
	v_add3_u32 v8, v8, v1, 0x7fff
	v_cndmask_b32_e32 v1, v8, v9, vcc_lo
	v_lshlrev_b32_e32 v8, 16, v20
	v_and_b32_e32 v1, 0xffff0000, v1
	v_mul_f32_e32 v7, v7, v8
	v_add_f32_e32 v0, v0, v1
	v_bfe_u32 v8, v7, 16, 1
	v_or_b32_e32 v9, 0x400000, v7
	v_cmp_u_f32_e32 vcc_lo, v7, v7
	v_add3_u32 v8, v8, v7, 0x7fff
	v_cndmask_b32_e32 v7, v8, v9, vcc_lo
	v_lshlrev_b32_e32 v8, 16, v17
	v_mul_f32_e32 v6, v6, v8
	v_bfe_u32 v8, v6, 16, 1
	v_or_b32_e32 v9, 0x400000, v6
	v_cmp_u_f32_e32 vcc_lo, v6, v6
	v_add3_u32 v8, v8, v6, 0x7fff
	v_cndmask_b32_e32 v6, v8, v9, vcc_lo
	v_lshlrev_b32_e32 v8, 16, v16
	v_and_b32_e32 v1, 0xffff0000, v6
	v_mul_f32_e32 v5, v5, v8
	v_and_b32_e32 v6, 0xffff0000, v7
	v_bfe_u32 v8, v5, 16, 1
	v_or_b32_e32 v9, 0x400000, v5
	v_cmp_u_f32_e32 vcc_lo, v5, v5
	v_add_f32_e32 v1, v6, v1
	v_add3_u32 v8, v8, v5, 0x7fff
	v_add_f32_e32 v0, v0, v1
	v_cndmask_b32_e32 v5, v8, v9, vcc_lo
	v_lshlrev_b32_e32 v8, 16, v10
	v_mul_f32_e32 v4, v4, v8
	v_bfe_u32 v8, v4, 16, 1
	v_or_b32_e32 v9, 0x400000, v4
	v_cmp_u_f32_e32 vcc_lo, v4, v4
	v_add3_u32 v8, v8, v4, 0x7fff
	v_cndmask_b32_e32 v4, v8, v9, vcc_lo
	v_lshlrev_b32_e32 v8, 16, v19
	v_and_b32_e32 v1, 0xffff0000, v4
	v_mul_f32_e32 v3, v3, v8
	v_and_b32_e32 v4, 0xffff0000, v5
	v_bfe_u32 v8, v3, 16, 1
	v_or_b32_e32 v9, 0x400000, v3
	v_cmp_u_f32_e32 vcc_lo, v3, v3
	v_add_f32_e32 v1, v4, v1
	v_add3_u32 v8, v8, v3, 0x7fff
	v_add_f32_e32 v0, v0, v1
	v_cndmask_b32_e32 v3, v8, v9, vcc_lo
	v_lshlrev_b32_e32 v8, 16, v24
	v_mul_f32_e32 v2, v2, v8
	v_bfe_u32 v8, v2, 16, 1
	v_or_b32_e32 v9, 0x400000, v2
	v_cmp_u_f32_e32 vcc_lo, v2, v2
	v_add3_u32 v8, v8, v2, 0x7fff
	v_cndmask_b32_e32 v2, v8, v9, vcc_lo
	v_and_b32_e32 v1, 0xffff0000, v2
	v_and_b32_e32 v2, 0xffff0000, v3
	v_add_f32_e32 v1, v2, v1
	v_add_f32_e32 v0, v0, v1
	;; [unrolled: 1-line block ×3, first 2 shown]
.LBB355_1570:                           ;   in Loop: Header=BB355_1571 Depth=1
	s_or_b32 exec_lo, exec_lo, s17
	buffer_load_dword v0, off, s[0:3], s32 offset:192 ; 4-byte Folded Reload
	v_add_nc_u32_e32 v15, 4, v15
	s_waitcnt vmcnt(0)
	v_cmp_ge_i32_e32 vcc_lo, v15, v0
	s_or_b32 s13, vcc_lo, s13
	s_andn2_b32 exec_lo, exec_lo, s13
	s_cbranch_execz .LBB355_3156
.LBB355_1571:                           ; =>This Inner Loop Header: Depth=1
	s_clause 0x1
	buffer_load_dword v1, off, s[0:3], s32 offset:220
	buffer_load_dword v5, off, s[0:3], s32 offset:204
	s_waitcnt vmcnt(2)
	v_lshlrev_b32_e32 v0, 5, v15
	s_waitcnt vmcnt(1)
	v_mul_hi_u32 v1, v0, v1
	s_waitcnt vmcnt(0)
	v_mul_lo_u32 v2, v1, v5
	v_add_nc_u32_e32 v3, 1, v1
	v_sub_nc_u32_e32 v2, v0, v2
	v_sub_nc_u32_e32 v4, v2, v5
	v_cmp_ge_u32_e32 vcc_lo, v2, v5
	v_cndmask_b32_e32 v2, v2, v4, vcc_lo
	v_cndmask_b32_e32 v1, v1, v3, vcc_lo
	v_cmp_ge_u32_e32 vcc_lo, v2, v5
	buffer_load_dword v2, off, s[0:3], s32 offset:216 ; 4-byte Folded Reload
	v_add_nc_u32_e32 v3, 1, v1
	v_cndmask_b32_e32 v1, v1, v3, vcc_lo
	s_waitcnt vmcnt(0)
	v_xor_b32_e32 v1, v1, v2
	v_sub_nc_u32_e32 v1, v1, v2
	s_clause 0x2
	buffer_load_dword v2, off, s[0:3], s32 offset:208
	buffer_load_dword v3, off, s[0:3], s32 offset:212
	;; [unrolled: 1-line block ×3, first 2 shown]
	s_waitcnt vmcnt(2)
	v_add_nc_u32_e32 v2, v1, v2
	s_waitcnt vmcnt(1)
	v_sub_nc_u32_e32 v3, 0, v2
	v_max_i32_e32 v3, v2, v3
	v_ashrrev_i32_e32 v2, 31, v2
	s_waitcnt vmcnt(0)
	v_mul_hi_u32 v4, v3, v4
	v_mul_lo_u32 v4, v4, v86
	v_sub_nc_u32_e32 v3, v3, v4
	v_sub_nc_u32_e32 v4, v3, v86
	v_cmp_ge_u32_e32 vcc_lo, v3, v86
	v_cndmask_b32_e32 v3, v3, v4, vcc_lo
	v_sub_nc_u32_e32 v4, v3, v86
	v_cmp_ge_u32_e32 vcc_lo, v3, v86
	v_cndmask_b32_e32 v3, v3, v4, vcc_lo
	v_xor_b32_e32 v3, v3, v2
	v_sub_nc_u32_e32 v2, v3, v2
	v_cmp_eq_u32_e32 vcc_lo, 0, v2
	buffer_load_dword v2, off, s[0:3], s32 offset:224 ; 4-byte Folded Reload
	s_waitcnt vmcnt(0)
	v_cmp_gt_i32_e64 s4, v1, v2
	s_or_b32 s4, vcc_lo, s4
	s_and_saveexec_b32 s17, s4
	s_cbranch_execz .LBB355_1570
; %bb.1572:                             ;   in Loop: Header=BB355_1571 Depth=1
	buffer_load_dword v3, off, s[0:3], s32 offset:700 ; 4-byte Folded Reload
	v_mov_b32_e32 v16, v11
	v_lshlrev_b64 v[1:2], 2, v[15:16]
	s_waitcnt vmcnt(0)
	v_add_co_u32 v1, vcc_lo, v3, v1
	buffer_load_dword v3, off, s[0:3], s32 offset:704 ; 4-byte Folded Reload
	s_waitcnt vmcnt(0)
	v_add_co_ci_u32_e64 v2, null, v3, v2, vcc_lo
	flat_load_dword v1, v[1:2]
	s_clause 0x2
	buffer_load_dword v2, off, s[0:3], s32 offset:600
	buffer_load_dword v3, off, s[0:3], s32 offset:712
	;; [unrolled: 1-line block ×3, first 2 shown]
	s_waitcnt vmcnt(0) lgkmcnt(0)
	v_mad_i64_i32 v[16:17], null, v1, v2, v[3:4]
	flat_load_dwordx2 v[19:20], v[16:17]
	s_clause 0x1
	buffer_load_dword v1, off, s[0:3], s32 offset:864
	buffer_load_dword v2, off, s[0:3], s32 offset:868
	s_load_dword s4, s[8:9], 0x0
	s_waitcnt vmcnt(2) lgkmcnt(0)
	v_cmp_ne_u16_sdwa s18, v19, v11 src0_sel:BYTE_0 src1_sel:DWORD
	s_waitcnt vmcnt(0)
	flat_load_dword v111, v[1:2]
	buffer_load_dword v1, off, s[0:3], s32 offset:708 ; 4-byte Folded Reload
	s_waitcnt vmcnt(0)
	v_or_b32_e32 v109, v0, v1
	v_mov_b32_e32 v1, 0
	v_lshl_add_u32 v0, v109, 2, s4
	ds_read2_b64 v[6:9], v0 offset1:1
	ds_read2_b64 v[2:5], v0 offset0:2 offset1:3
	v_mov_b32_e32 v0, 0
	s_and_saveexec_b32 s4, s18
	s_cbranch_execz .LBB355_1580
; %bb.1573:                             ;   in Loop: Header=BB355_1571 Depth=1
	v_cmp_ne_u16_sdwa s19, v19, v97 src0_sel:BYTE_0 src1_sel:DWORD
	v_bfrev_b32_e32 v0, 1
	s_and_saveexec_b32 s18, s19
	s_cbranch_execz .LBB355_1579
; %bb.1574:                             ;   in Loop: Header=BB355_1571 Depth=1
	v_and_b32_e32 v10, 0x7f, v19
	v_mov_b32_e32 v0, 0x7f800001
	s_mov_b32 s19, exec_lo
	v_cmpx_ne_u32_e32 0x7f, v10
	s_cbranch_execz .LBB355_1578
; %bb.1575:                             ;   in Loop: Header=BB355_1571 Depth=1
	v_mov_b32_e32 v25, v20
	v_lshrrev_b32_e32 v0, 3, v10
	v_mov_b32_e32 v24, v19
	s_mov_b32 s20, exec_lo
	v_cmpx_gt_u32_e32 8, v10
; %bb.1576:                             ;   in Loop: Header=BB355_1571 Depth=1
	v_and_b32_e32 v0, 7, v19
	v_ffbh_u32_e32 v0, v0
	v_min_u32_e32 v0, 32, v0
	v_subrev_nc_u32_e32 v10, 28, v0
	v_sub_nc_u32_e32 v0, 29, v0
	v_lshlrev_b64 v[24:25], v10, v[19:20]
; %bb.1577:                             ;   in Loop: Header=BB355_1571 Depth=1
	s_or_b32 exec_lo, exec_lo, s20
	v_lshlrev_b32_e32 v10, 20, v24
	v_lshlrev_b32_e32 v12, 24, v19
	v_lshl_add_u32 v0, v0, 23, 0x3c000000
	v_and_b32_e32 v10, 0x700000, v10
	v_and_b32_e32 v12, 0x80000000, v12
	v_or3_b32 v0, v10, v12, v0
.LBB355_1578:                           ;   in Loop: Header=BB355_1571 Depth=1
	s_or_b32 exec_lo, exec_lo, s19
.LBB355_1579:                           ;   in Loop: Header=BB355_1571 Depth=1
	s_or_b32 exec_lo, exec_lo, s18
.LBB355_1580:                           ;   in Loop: Header=BB355_1571 Depth=1
	s_or_b32 exec_lo, exec_lo, s4
	v_cmp_ne_u16_sdwa s18, v19, v11 src0_sel:BYTE_1 src1_sel:DWORD
	s_and_saveexec_b32 s4, s18
	s_cbranch_execz .LBB355_1588
; %bb.1581:                             ;   in Loop: Header=BB355_1571 Depth=1
	v_cmp_ne_u16_sdwa s19, v19, v97 src0_sel:BYTE_1 src1_sel:DWORD
	v_bfrev_b32_e32 v1, 1
	s_and_saveexec_b32 s18, s19
	s_cbranch_execz .LBB355_1587
; %bb.1582:                             ;   in Loop: Header=BB355_1571 Depth=1
	v_mov_b32_e32 v1, 0xffff
	s_mov_b32 s19, exec_lo
	v_and_b32_sdwa v10, v1, v19 dst_sel:DWORD dst_unused:UNUSED_PAD src0_sel:DWORD src1_sel:BYTE_1
	v_mov_b32_e32 v1, 0x7f800001
	v_and_b32_e32 v12, 0x7f, v10
	v_cmpx_ne_u32_e32 0x7f, v12
	s_cbranch_execz .LBB355_1586
; %bb.1583:                             ;   in Loop: Header=BB355_1571 Depth=1
	v_and_b32_e32 v10, 7, v10
	v_mov_b32_e32 v25, v11
	v_lshrrev_b32_e32 v1, 3, v12
	s_mov_b32 s20, exec_lo
	v_mov_b32_e32 v24, v10
	v_cmpx_gt_u32_e32 8, v12
; %bb.1584:                             ;   in Loop: Header=BB355_1571 Depth=1
	v_ffbh_u32_e32 v1, v10
	v_min_u32_e32 v1, 32, v1
	v_subrev_nc_u32_e32 v12, 28, v1
	v_sub_nc_u32_e32 v1, 29, v1
	v_lshlrev_b64 v[12:13], v12, v[10:11]
	v_and_b32_e32 v24, 7, v12
; %bb.1585:                             ;   in Loop: Header=BB355_1571 Depth=1
	s_or_b32 exec_lo, exec_lo, s20
	v_lshlrev_b32_e32 v10, 16, v19
	v_lshlrev_b32_e32 v12, 20, v24
	v_lshl_add_u32 v1, v1, 23, 0x3c000000
	v_and_b32_e32 v10, 0x80000000, v10
	v_or3_b32 v1, v12, v10, v1
.LBB355_1586:                           ;   in Loop: Header=BB355_1571 Depth=1
	s_or_b32 exec_lo, exec_lo, s19
.LBB355_1587:                           ;   in Loop: Header=BB355_1571 Depth=1
	s_or_b32 exec_lo, exec_lo, s18
.LBB355_1588:                           ;   in Loop: Header=BB355_1571 Depth=1
	s_or_b32 exec_lo, exec_lo, s4
	v_and_b32_sdwa v10, v19, v99 dst_sel:DWORD dst_unused:UNUSED_PAD src0_sel:WORD_1 src1_sel:DWORD
	v_mov_b32_e32 v13, 0
	v_mov_b32_e32 v12, 0
	s_mov_b32 s4, exec_lo
	v_cmpx_ne_u16_e32 0, v10
	s_cbranch_execz .LBB355_1596
; %bb.1589:                             ;   in Loop: Header=BB355_1571 Depth=1
	v_bfrev_b32_e32 v12, 1
	s_mov_b32 s18, exec_lo
	v_cmpx_ne_u16_e32 0x80, v10
	s_cbranch_execz .LBB355_1595
; %bb.1590:                             ;   in Loop: Header=BB355_1571 Depth=1
	v_bfe_u32 v14, v19, 16, 7
	v_mov_b32_e32 v12, 0x7f800001
	s_mov_b32 s19, exec_lo
	v_cmpx_ne_u32_e32 0x7f, v14
	s_cbranch_execz .LBB355_1594
; %bb.1591:                             ;   in Loop: Header=BB355_1571 Depth=1
	v_mov_b32_e32 v10, 7
	v_lshrrev_b32_e32 v12, 3, v14
	s_mov_b32 s20, exec_lo
	v_and_b32_sdwa v10, v19, v10 dst_sel:DWORD dst_unused:UNUSED_PAD src0_sel:WORD_1 src1_sel:DWORD
	v_mov_b32_e32 v25, v11
	v_mov_b32_e32 v24, v10
	v_cmpx_gt_u32_e32 8, v14
; %bb.1592:                             ;   in Loop: Header=BB355_1571 Depth=1
	v_ffbh_u32_e32 v12, v10
	v_min_u32_e32 v12, 32, v12
	v_subrev_nc_u32_e32 v14, 28, v12
	v_sub_nc_u32_e32 v12, 29, v12
	v_lshlrev_b64 v[21:22], v14, v[10:11]
	v_and_b32_e32 v24, 7, v21
; %bb.1593:                             ;   in Loop: Header=BB355_1571 Depth=1
	s_or_b32 exec_lo, exec_lo, s20
	v_mov_b32_e32 v10, 24
	v_lshlrev_b32_e32 v14, 20, v24
	v_lshl_add_u32 v12, v12, 23, 0x3c000000
	v_lshlrev_b32_sdwa v10, v10, v19 dst_sel:DWORD dst_unused:UNUSED_PAD src0_sel:DWORD src1_sel:WORD_1
	v_and_b32_e32 v10, 0x80000000, v10
	v_or3_b32 v12, v14, v10, v12
.LBB355_1594:                           ;   in Loop: Header=BB355_1571 Depth=1
	s_or_b32 exec_lo, exec_lo, s19
.LBB355_1595:                           ;   in Loop: Header=BB355_1571 Depth=1
	s_or_b32 exec_lo, exec_lo, s18
.LBB355_1596:                           ;   in Loop: Header=BB355_1571 Depth=1
	s_or_b32 exec_lo, exec_lo, s4
	s_mov_b32 s4, exec_lo
	v_cmpx_lt_u32_e32 0xffffff, v19
	s_cbranch_execz .LBB355_1604
; %bb.1597:                             ;   in Loop: Header=BB355_1571 Depth=1
	v_cmp_ne_u32_sdwa s19, v19, v97 src0_sel:BYTE_3 src1_sel:DWORD
	v_bfrev_b32_e32 v13, 1
	s_and_saveexec_b32 s18, s19
	s_cbranch_execz .LBB355_1603
; %bb.1598:                             ;   in Loop: Header=BB355_1571 Depth=1
	v_bfe_u32 v14, v19, 24, 7
	v_mov_b32_e32 v13, 0x7f800001
	s_mov_b32 s19, exec_lo
	v_cmpx_ne_u32_e32 0x7f, v14
	s_cbranch_execz .LBB355_1602
; %bb.1599:                             ;   in Loop: Header=BB355_1571 Depth=1
	v_mov_b32_e32 v10, 7
	v_lshrrev_b32_e32 v13, 3, v14
	s_mov_b32 s20, exec_lo
	v_and_b32_sdwa v10, v19, v10 dst_sel:DWORD dst_unused:UNUSED_PAD src0_sel:BYTE_3 src1_sel:DWORD
	v_mov_b32_e32 v25, v11
	v_mov_b32_e32 v24, v10
	v_cmpx_gt_u32_e32 8, v14
; %bb.1600:                             ;   in Loop: Header=BB355_1571 Depth=1
	v_ffbh_u32_e32 v13, v10
	v_min_u32_e32 v13, 32, v13
	v_subrev_nc_u32_e32 v14, 28, v13
	v_sub_nc_u32_e32 v13, 29, v13
	v_lshlrev_b64 v[21:22], v14, v[10:11]
	v_and_b32_e32 v24, 7, v21
; %bb.1601:                             ;   in Loop: Header=BB355_1571 Depth=1
	s_or_b32 exec_lo, exec_lo, s20
	v_mov_b32_e32 v10, 24
	v_lshlrev_b32_e32 v14, 20, v24
	v_lshl_add_u32 v13, v13, 23, 0x3c000000
	v_lshlrev_b32_sdwa v10, v10, v19 dst_sel:DWORD dst_unused:UNUSED_PAD src0_sel:DWORD src1_sel:BYTE_3
	v_and_b32_e32 v10, 0x80000000, v10
	v_or3_b32 v13, v14, v10, v13
.LBB355_1602:                           ;   in Loop: Header=BB355_1571 Depth=1
	s_or_b32 exec_lo, exec_lo, s19
.LBB355_1603:                           ;   in Loop: Header=BB355_1571 Depth=1
	s_or_b32 exec_lo, exec_lo, s18
.LBB355_1604:                           ;   in Loop: Header=BB355_1571 Depth=1
	s_or_b32 exec_lo, exec_lo, s4
	v_mov_b32_e32 v10, v20
	v_cmp_ne_u16_sdwa s18, v20, v11 src0_sel:BYTE_0 src1_sel:DWORD
	v_mov_b32_e32 v18, 0
	v_mov_b32_e32 v14, 0
	s_and_saveexec_b32 s4, s18
	s_cbranch_execz .LBB355_1612
; %bb.1605:                             ;   in Loop: Header=BB355_1571 Depth=1
	v_cmp_ne_u16_sdwa s19, v20, v97 src0_sel:BYTE_0 src1_sel:DWORD
	v_bfrev_b32_e32 v14, 1
	s_and_saveexec_b32 s18, s19
	s_cbranch_execz .LBB355_1611
; %bb.1606:                             ;   in Loop: Header=BB355_1571 Depth=1
	v_and_b32_e32 v21, 0x7f, v20
	v_mov_b32_e32 v14, 0x7f800001
	s_mov_b32 s19, exec_lo
	v_cmpx_ne_u32_e32 0x7f, v21
	s_cbranch_execz .LBB355_1610
; %bb.1607:                             ;   in Loop: Header=BB355_1571 Depth=1
	v_mov_b32_e32 v25, v11
	v_lshrrev_b32_e32 v14, 3, v21
	v_mov_b32_e32 v24, v10
	s_mov_b32 s20, exec_lo
	v_cmpx_gt_u32_e32 8, v21
; %bb.1608:                             ;   in Loop: Header=BB355_1571 Depth=1
	v_and_b32_e32 v14, 7, v20
	v_ffbh_u32_e32 v14, v14
	v_min_u32_e32 v14, 32, v14
	v_subrev_nc_u32_e32 v21, 28, v14
	v_sub_nc_u32_e32 v14, 29, v14
	v_lshlrev_b64 v[24:25], v21, v[10:11]
; %bb.1609:                             ;   in Loop: Header=BB355_1571 Depth=1
	s_or_b32 exec_lo, exec_lo, s20
	v_lshlrev_b32_e32 v21, 20, v24
	v_lshlrev_b32_e32 v22, 24, v10
	v_lshl_add_u32 v14, v14, 23, 0x3c000000
	v_and_b32_e32 v21, 0x700000, v21
	v_and_b32_e32 v22, 0x80000000, v22
	v_or3_b32 v14, v21, v22, v14
.LBB355_1610:                           ;   in Loop: Header=BB355_1571 Depth=1
	s_or_b32 exec_lo, exec_lo, s19
.LBB355_1611:                           ;   in Loop: Header=BB355_1571 Depth=1
	s_or_b32 exec_lo, exec_lo, s18
.LBB355_1612:                           ;   in Loop: Header=BB355_1571 Depth=1
	s_or_b32 exec_lo, exec_lo, s4
	v_cmp_ne_u16_sdwa s18, v10, v11 src0_sel:BYTE_1 src1_sel:DWORD
	s_and_saveexec_b32 s4, s18
	s_cbranch_execz .LBB355_1620
; %bb.1613:                             ;   in Loop: Header=BB355_1571 Depth=1
	v_cmp_ne_u16_sdwa s19, v10, v97 src0_sel:BYTE_1 src1_sel:DWORD
	v_bfrev_b32_e32 v18, 1
	s_and_saveexec_b32 s18, s19
	s_cbranch_execz .LBB355_1619
; %bb.1614:                             ;   in Loop: Header=BB355_1571 Depth=1
	v_mov_b32_e32 v18, 0xffff
	s_mov_b32 s19, exec_lo
	v_and_b32_sdwa v22, v18, v10 dst_sel:DWORD dst_unused:UNUSED_PAD src0_sel:DWORD src1_sel:BYTE_1
	v_mov_b32_e32 v18, 0x7f800001
	v_and_b32_e32 v21, 0x7f, v22
	v_cmpx_ne_u32_e32 0x7f, v21
	s_cbranch_execz .LBB355_1618
; %bb.1615:                             ;   in Loop: Header=BB355_1571 Depth=1
	v_and_b32_e32 v24, 7, v22
	v_mov_b32_e32 v25, v11
	v_lshrrev_b32_e32 v18, 3, v21
	s_mov_b32 s20, exec_lo
	v_cmpx_gt_u32_e32 8, v21
; %bb.1616:                             ;   in Loop: Header=BB355_1571 Depth=1
	v_ffbh_u32_e32 v18, v24
	v_min_u32_e32 v18, 32, v18
	v_subrev_nc_u32_e32 v21, 28, v18
	v_sub_nc_u32_e32 v18, 29, v18
	v_lshlrev_b64 v[21:22], v21, v[24:25]
	v_and_b32_e32 v24, 7, v21
; %bb.1617:                             ;   in Loop: Header=BB355_1571 Depth=1
	s_or_b32 exec_lo, exec_lo, s20
	v_lshlrev_b32_e32 v10, 16, v10
	v_lshlrev_b32_e32 v21, 20, v24
	v_lshl_add_u32 v18, v18, 23, 0x3c000000
	v_and_b32_e32 v10, 0x80000000, v10
	v_or3_b32 v18, v21, v10, v18
.LBB355_1618:                           ;   in Loop: Header=BB355_1571 Depth=1
	s_or_b32 exec_lo, exec_lo, s19
.LBB355_1619:                           ;   in Loop: Header=BB355_1571 Depth=1
	s_or_b32 exec_lo, exec_lo, s18
.LBB355_1620:                           ;   in Loop: Header=BB355_1571 Depth=1
	s_or_b32 exec_lo, exec_lo, s4
	v_and_b32_sdwa v10, v20, v99 dst_sel:DWORD dst_unused:UNUSED_PAD src0_sel:WORD_1 src1_sel:DWORD
	v_mov_b32_e32 v21, 0
	v_mov_b32_e32 v22, 0
	s_mov_b32 s4, exec_lo
	v_cmpx_ne_u16_e32 0, v10
	s_cbranch_execz .LBB355_1628
; %bb.1621:                             ;   in Loop: Header=BB355_1571 Depth=1
	v_bfrev_b32_e32 v22, 1
	s_mov_b32 s18, exec_lo
	v_cmpx_ne_u16_e32 0x80, v10
	s_cbranch_execz .LBB355_1627
; %bb.1622:                             ;   in Loop: Header=BB355_1571 Depth=1
	v_bfe_u32 v23, v20, 16, 7
	v_mov_b32_e32 v22, 0x7f800001
	s_mov_b32 s19, exec_lo
	v_cmpx_ne_u32_e32 0x7f, v23
	s_cbranch_execz .LBB355_1626
; %bb.1623:                             ;   in Loop: Header=BB355_1571 Depth=1
	v_mov_b32_e32 v10, 7
	v_lshrrev_b32_e32 v22, 3, v23
	s_mov_b32 s20, exec_lo
	v_and_b32_sdwa v10, v20, v10 dst_sel:DWORD dst_unused:UNUSED_PAD src0_sel:WORD_1 src1_sel:DWORD
	v_mov_b32_e32 v25, v11
	v_mov_b32_e32 v24, v10
	v_cmpx_gt_u32_e32 8, v23
; %bb.1624:                             ;   in Loop: Header=BB355_1571 Depth=1
	v_ffbh_u32_e32 v22, v10
	v_min_u32_e32 v22, 32, v22
	v_subrev_nc_u32_e32 v23, 28, v22
	v_sub_nc_u32_e32 v22, 29, v22
	v_lshlrev_b64 v[23:24], v23, v[10:11]
	v_and_b32_e32 v24, 7, v23
; %bb.1625:                             ;   in Loop: Header=BB355_1571 Depth=1
	s_or_b32 exec_lo, exec_lo, s20
	v_mov_b32_e32 v10, 24
	v_lshlrev_b32_e32 v23, 20, v24
	v_lshl_add_u32 v22, v22, 23, 0x3c000000
	v_lshlrev_b32_sdwa v10, v10, v20 dst_sel:DWORD dst_unused:UNUSED_PAD src0_sel:DWORD src1_sel:WORD_1
	v_and_b32_e32 v10, 0x80000000, v10
	v_or3_b32 v22, v23, v10, v22
.LBB355_1626:                           ;   in Loop: Header=BB355_1571 Depth=1
	s_or_b32 exec_lo, exec_lo, s19
.LBB355_1627:                           ;   in Loop: Header=BB355_1571 Depth=1
	s_or_b32 exec_lo, exec_lo, s18
.LBB355_1628:                           ;   in Loop: Header=BB355_1571 Depth=1
	s_or_b32 exec_lo, exec_lo, s4
	s_mov_b32 s4, exec_lo
	v_cmpx_lt_u64_e64 s[6:7], v[19:20]
	s_cbranch_execz .LBB355_1636
; %bb.1629:                             ;   in Loop: Header=BB355_1571 Depth=1
	v_cmp_ne_u32_sdwa s19, v20, v97 src0_sel:BYTE_3 src1_sel:DWORD
	v_bfrev_b32_e32 v21, 1
	s_and_saveexec_b32 s18, s19
	s_cbranch_execz .LBB355_1635
; %bb.1630:                             ;   in Loop: Header=BB355_1571 Depth=1
	v_bfe_u32 v23, v20, 24, 7
	v_mov_b32_e32 v21, 0x7f800001
	s_mov_b32 s19, exec_lo
	v_cmpx_ne_u32_e32 0x7f, v23
	s_cbranch_execz .LBB355_1634
; %bb.1631:                             ;   in Loop: Header=BB355_1571 Depth=1
	v_mov_b32_e32 v10, 7
	v_lshrrev_b32_e32 v19, 3, v23
	s_mov_b32 s20, exec_lo
	v_and_b32_sdwa v10, v20, v10 dst_sel:DWORD dst_unused:UNUSED_PAD src0_sel:BYTE_3 src1_sel:DWORD
	v_mov_b32_e32 v25, v11
	v_mov_b32_e32 v24, v10
	v_cmpx_gt_u32_e32 8, v23
; %bb.1632:                             ;   in Loop: Header=BB355_1571 Depth=1
	v_ffbh_u32_e32 v19, v10
	v_min_u32_e32 v19, 32, v19
	v_subrev_nc_u32_e32 v21, 28, v19
	v_sub_nc_u32_e32 v19, 29, v19
	v_lshlrev_b64 v[23:24], v21, v[10:11]
	v_and_b32_e32 v24, 7, v23
; %bb.1633:                             ;   in Loop: Header=BB355_1571 Depth=1
	s_or_b32 exec_lo, exec_lo, s20
	v_mov_b32_e32 v10, 24
	v_lshl_add_u32 v19, v19, 23, 0x3c000000
	v_lshlrev_b32_sdwa v10, v10, v20 dst_sel:DWORD dst_unused:UNUSED_PAD src0_sel:DWORD src1_sel:BYTE_3
	v_lshlrev_b32_e32 v20, 20, v24
	v_and_b32_e32 v10, 0x80000000, v10
	v_or3_b32 v21, v20, v10, v19
.LBB355_1634:                           ;   in Loop: Header=BB355_1571 Depth=1
	s_or_b32 exec_lo, exec_lo, s19
.LBB355_1635:                           ;   in Loop: Header=BB355_1571 Depth=1
	s_or_b32 exec_lo, exec_lo, s18
.LBB355_1636:                           ;   in Loop: Header=BB355_1571 Depth=1
	s_or_b32 exec_lo, exec_lo, s4
	s_waitcnt lgkmcnt(2)
	v_mul_f32_e32 v10, v111, v18
	buffer_load_dword v18, off, s[0:3], s32 offset:192 ; 4-byte Folded Reload
	v_mul_f32_e32 v14, v111, v14
	v_mul_f32_e32 v13, v111, v13
	v_mul_f32_e32 v12, v111, v12
	v_bfe_u32 v19, v10, 16, 1
	v_cmp_u_f32_e64 s4, v10, v10
	v_bfe_u32 v20, v14, 16, 1
	v_or_b32_e32 v23, 0x400000, v14
	v_bfe_u32 v24, v13, 16, 1
	v_add3_u32 v19, v19, v10, 0x7fff
	v_or_b32_e32 v25, 0x400000, v13
	v_add3_u32 v20, v20, v14, 0x7fff
	v_mul_f32_e32 v1, v111, v1
	v_mul_f32_e32 v0, v111, v0
	v_or_b32_e32 v74, 1, v109
	v_or_b32_e32 v35, 2, v109
	;; [unrolled: 1-line block ×7, first 2 shown]
	s_waitcnt vmcnt(0)
	v_add_nc_u32_e32 v18, -1, v18
	v_cmp_eq_u32_e32 vcc_lo, v15, v18
	v_or_b32_e32 v18, 0x400000, v10
	v_cndmask_b32_e64 v10, v19, v18, s4
	v_cmp_u_f32_e64 s4, v14, v14
	v_add3_u32 v19, v24, v13, 0x7fff
	v_bfe_u32 v18, v12, 16, 1
	v_lshrrev_b32_e32 v10, 16, v10
	v_cndmask_b32_e64 v14, v20, v23, s4
	v_cmp_u_f32_e64 s4, v13, v13
	v_add3_u32 v13, v18, v12, 0x7fff
	v_or_b32_e32 v18, 0x400000, v12
	buffer_store_dword v10, off, s[0:3], s32 offset:236 ; 4-byte Folded Spill
	v_lshrrev_b32_e32 v14, 16, v14
	v_cndmask_b32_e64 v10, v19, v25, s4
	v_cmp_u_f32_e64 s4, v12, v12
	v_bfe_u32 v19, v0, 16, 1
	buffer_store_dword v14, off, s[0:3], s32 offset:228 ; 4-byte Folded Spill
	v_lshrrev_b32_e32 v10, 16, v10
	v_cndmask_b32_e64 v12, v13, v18, s4
	v_mul_f32_e32 v13, v111, v22
	v_or_b32_e32 v14, 0x400000, v1
	v_cmp_u_f32_e64 s4, v1, v1
	buffer_store_dword v10, off, s[0:3], s32 offset:244 ; 4-byte Folded Spill
	v_bfe_u32 v10, v1, 16, 1
	v_mul_f32_e32 v18, v111, v21
	v_bfe_u32 v20, v13, 16, 1
	v_or_b32_e32 v21, 0x400000, v13
	v_lshrrev_b32_e32 v12, 16, v12
	v_add3_u32 v10, v10, v1, 0x7fff
	v_or_b32_e32 v22, 0x400000, v18
	v_add3_u32 v20, v20, v13, 0x7fff
	buffer_store_dword v12, off, s[0:3], s32 offset:240 ; 4-byte Folded Spill
	v_cndmask_b32_e64 v1, v10, v14, s4
	v_add3_u32 v14, v19, v0, 0x7fff
	v_or_b32_e32 v19, 0x400000, v0
	v_cmp_u_f32_e64 s4, v0, v0
	v_bfe_u32 v10, v18, 16, 1
	v_lshrrev_b32_e32 v1, 16, v1
	v_cndmask_b32_e64 v0, v14, v19, s4
	v_cmp_u_f32_e64 s4, v13, v13
	v_add3_u32 v10, v10, v18, 0x7fff
	buffer_store_dword v1, off, s[0:3], s32 offset:252 ; 4-byte Folded Spill
	v_lshrrev_b32_e32 v0, 16, v0
	v_cndmask_b32_e64 v13, v20, v21, s4
	v_cmp_u_f32_e64 s4, v18, v18
	buffer_store_dword v0, off, s[0:3], s32 offset:248 ; 4-byte Folded Spill
	v_lshrrev_b32_e32 v0, 16, v13
	v_cndmask_b32_e64 v10, v10, v22, s4
	buffer_store_dword v0, off, s[0:3], s32 offset:196 ; 4-byte Folded Spill
	v_lshrrev_b32_e32 v0, 16, v10
	buffer_store_dword v0, off, s[0:3], s32 offset:232 ; 4-byte Folded Spill
	s_and_saveexec_b32 s18, vcc_lo
	s_cbranch_execz .LBB355_1638
; %bb.1637:                             ;   in Loop: Header=BB355_1571 Depth=1
	buffer_load_dword v0, off, s[0:3], s32 offset:248 ; 4-byte Folded Reload
	v_cmp_lt_i32_e64 s4, v109, v123
	s_waitcnt vmcnt(0)
	v_cndmask_b32_e64 v0, 0, v0, s4
	v_cmp_lt_i32_e64 s4, v74, v123
	buffer_store_dword v0, off, s[0:3], s32 offset:248 ; 4-byte Folded Spill
	buffer_load_dword v0, off, s[0:3], s32 offset:252 ; 4-byte Folded Reload
	s_waitcnt vmcnt(0)
	v_cndmask_b32_e64 v0, 0, v0, s4
	v_cmp_lt_i32_e64 s4, v35, v123
	buffer_store_dword v0, off, s[0:3], s32 offset:252 ; 4-byte Folded Spill
	buffer_load_dword v0, off, s[0:3], s32 offset:240 ; 4-byte Folded Reload
	;; [unrolled: 5-line block ×7, first 2 shown]
	s_waitcnt vmcnt(0)
	v_cndmask_b32_e64 v0, 0, v0, s4
	buffer_store_dword v0, off, s[0:3], s32 offset:232 ; 4-byte Folded Spill
.LBB355_1638:                           ;   in Loop: Header=BB355_1571 Depth=1
	s_or_b32 exec_lo, exec_lo, s18
	flat_load_dwordx2 v[19:20], v[16:17] offset:256
	v_mov_b32_e32 v1, 0
	v_mov_b32_e32 v0, 0
	s_waitcnt vmcnt(0) lgkmcnt(0)
	v_cmp_ne_u16_sdwa s4, v19, v11 src0_sel:BYTE_0 src1_sel:DWORD
	s_and_saveexec_b32 s18, s4
	s_cbranch_execz .LBB355_1646
; %bb.1639:                             ;   in Loop: Header=BB355_1571 Depth=1
	v_cmp_ne_u16_sdwa s4, v19, v97 src0_sel:BYTE_0 src1_sel:DWORD
	v_bfrev_b32_e32 v0, 1
	s_and_saveexec_b32 s19, s4
	s_cbranch_execz .LBB355_1645
; %bb.1640:                             ;   in Loop: Header=BB355_1571 Depth=1
	v_and_b32_e32 v10, 0x7f, v19
	v_mov_b32_e32 v0, 0x7f800001
	s_mov_b32 s20, exec_lo
	v_cmpx_ne_u32_e32 0x7f, v10
	s_cbranch_execz .LBB355_1644
; %bb.1641:                             ;   in Loop: Header=BB355_1571 Depth=1
	v_mov_b32_e32 v25, v20
	v_lshrrev_b32_e32 v0, 3, v10
	v_mov_b32_e32 v24, v19
	s_mov_b32 s21, exec_lo
	v_cmpx_gt_u32_e32 8, v10
; %bb.1642:                             ;   in Loop: Header=BB355_1571 Depth=1
	v_and_b32_e32 v0, 7, v19
	v_ffbh_u32_e32 v0, v0
	v_min_u32_e32 v0, 32, v0
	v_subrev_nc_u32_e32 v10, 28, v0
	v_sub_nc_u32_e32 v0, 29, v0
	v_lshlrev_b64 v[24:25], v10, v[19:20]
; %bb.1643:                             ;   in Loop: Header=BB355_1571 Depth=1
	s_or_b32 exec_lo, exec_lo, s21
	v_lshlrev_b32_e32 v10, 20, v24
	v_lshlrev_b32_e32 v12, 24, v19
	v_lshl_add_u32 v0, v0, 23, 0x3c000000
	v_and_b32_e32 v10, 0x700000, v10
	v_and_b32_e32 v12, 0x80000000, v12
	v_or3_b32 v0, v10, v12, v0
.LBB355_1644:                           ;   in Loop: Header=BB355_1571 Depth=1
	s_or_b32 exec_lo, exec_lo, s20
.LBB355_1645:                           ;   in Loop: Header=BB355_1571 Depth=1
	s_or_b32 exec_lo, exec_lo, s19
.LBB355_1646:                           ;   in Loop: Header=BB355_1571 Depth=1
	s_or_b32 exec_lo, exec_lo, s18
	v_cmp_ne_u16_sdwa s4, v19, v11 src0_sel:BYTE_1 src1_sel:DWORD
	s_and_saveexec_b32 s18, s4
	s_cbranch_execz .LBB355_1654
; %bb.1647:                             ;   in Loop: Header=BB355_1571 Depth=1
	v_cmp_ne_u16_sdwa s4, v19, v97 src0_sel:BYTE_1 src1_sel:DWORD
	v_bfrev_b32_e32 v1, 1
	s_and_saveexec_b32 s19, s4
	s_cbranch_execz .LBB355_1653
; %bb.1648:                             ;   in Loop: Header=BB355_1571 Depth=1
	v_mov_b32_e32 v1, 0xffff
	s_mov_b32 s20, exec_lo
	v_and_b32_sdwa v10, v1, v19 dst_sel:DWORD dst_unused:UNUSED_PAD src0_sel:DWORD src1_sel:BYTE_1
	v_mov_b32_e32 v1, 0x7f800001
	v_and_b32_e32 v12, 0x7f, v10
	v_cmpx_ne_u32_e32 0x7f, v12
	s_cbranch_execz .LBB355_1652
; %bb.1649:                             ;   in Loop: Header=BB355_1571 Depth=1
	v_and_b32_e32 v10, 7, v10
	v_mov_b32_e32 v25, v11
	v_lshrrev_b32_e32 v1, 3, v12
	s_mov_b32 s21, exec_lo
	v_mov_b32_e32 v24, v10
	v_cmpx_gt_u32_e32 8, v12
; %bb.1650:                             ;   in Loop: Header=BB355_1571 Depth=1
	v_ffbh_u32_e32 v1, v10
	v_min_u32_e32 v1, 32, v1
	v_subrev_nc_u32_e32 v12, 28, v1
	v_sub_nc_u32_e32 v1, 29, v1
	v_lshlrev_b64 v[12:13], v12, v[10:11]
	v_and_b32_e32 v24, 7, v12
; %bb.1651:                             ;   in Loop: Header=BB355_1571 Depth=1
	s_or_b32 exec_lo, exec_lo, s21
	v_lshlrev_b32_e32 v10, 16, v19
	v_lshlrev_b32_e32 v12, 20, v24
	v_lshl_add_u32 v1, v1, 23, 0x3c000000
	v_and_b32_e32 v10, 0x80000000, v10
	v_or3_b32 v1, v12, v10, v1
.LBB355_1652:                           ;   in Loop: Header=BB355_1571 Depth=1
	s_or_b32 exec_lo, exec_lo, s20
.LBB355_1653:                           ;   in Loop: Header=BB355_1571 Depth=1
	s_or_b32 exec_lo, exec_lo, s19
.LBB355_1654:                           ;   in Loop: Header=BB355_1571 Depth=1
	s_or_b32 exec_lo, exec_lo, s18
	v_and_b32_sdwa v10, v19, v99 dst_sel:DWORD dst_unused:UNUSED_PAD src0_sel:WORD_1 src1_sel:DWORD
	v_mov_b32_e32 v13, 0
	v_mov_b32_e32 v12, 0
	s_mov_b32 s18, exec_lo
	v_cmpx_ne_u16_e32 0, v10
	s_cbranch_execz .LBB355_1662
; %bb.1655:                             ;   in Loop: Header=BB355_1571 Depth=1
	v_bfrev_b32_e32 v12, 1
	s_mov_b32 s19, exec_lo
	v_cmpx_ne_u16_e32 0x80, v10
	s_cbranch_execz .LBB355_1661
; %bb.1656:                             ;   in Loop: Header=BB355_1571 Depth=1
	v_bfe_u32 v14, v19, 16, 7
	v_mov_b32_e32 v12, 0x7f800001
	s_mov_b32 s20, exec_lo
	v_cmpx_ne_u32_e32 0x7f, v14
	s_cbranch_execz .LBB355_1660
; %bb.1657:                             ;   in Loop: Header=BB355_1571 Depth=1
	v_mov_b32_e32 v10, 7
	v_lshrrev_b32_e32 v12, 3, v14
	s_mov_b32 s21, exec_lo
	v_and_b32_sdwa v10, v19, v10 dst_sel:DWORD dst_unused:UNUSED_PAD src0_sel:WORD_1 src1_sel:DWORD
	v_mov_b32_e32 v25, v11
	v_mov_b32_e32 v24, v10
	v_cmpx_gt_u32_e32 8, v14
; %bb.1658:                             ;   in Loop: Header=BB355_1571 Depth=1
	v_ffbh_u32_e32 v12, v10
	v_min_u32_e32 v12, 32, v12
	v_subrev_nc_u32_e32 v14, 28, v12
	v_sub_nc_u32_e32 v12, 29, v12
	v_lshlrev_b64 v[21:22], v14, v[10:11]
	v_and_b32_e32 v24, 7, v21
; %bb.1659:                             ;   in Loop: Header=BB355_1571 Depth=1
	s_or_b32 exec_lo, exec_lo, s21
	v_mov_b32_e32 v10, 24
	v_lshlrev_b32_e32 v14, 20, v24
	v_lshl_add_u32 v12, v12, 23, 0x3c000000
	v_lshlrev_b32_sdwa v10, v10, v19 dst_sel:DWORD dst_unused:UNUSED_PAD src0_sel:DWORD src1_sel:WORD_1
	v_and_b32_e32 v10, 0x80000000, v10
	v_or3_b32 v12, v14, v10, v12
.LBB355_1660:                           ;   in Loop: Header=BB355_1571 Depth=1
	s_or_b32 exec_lo, exec_lo, s20
.LBB355_1661:                           ;   in Loop: Header=BB355_1571 Depth=1
	s_or_b32 exec_lo, exec_lo, s19
.LBB355_1662:                           ;   in Loop: Header=BB355_1571 Depth=1
	s_or_b32 exec_lo, exec_lo, s18
	s_mov_b32 s18, exec_lo
	v_cmpx_lt_u32_e32 0xffffff, v19
	s_cbranch_execz .LBB355_1670
; %bb.1663:                             ;   in Loop: Header=BB355_1571 Depth=1
	v_cmp_ne_u32_sdwa s4, v19, v97 src0_sel:BYTE_3 src1_sel:DWORD
	v_bfrev_b32_e32 v13, 1
	s_and_saveexec_b32 s19, s4
	s_cbranch_execz .LBB355_1669
; %bb.1664:                             ;   in Loop: Header=BB355_1571 Depth=1
	v_bfe_u32 v14, v19, 24, 7
	v_mov_b32_e32 v13, 0x7f800001
	s_mov_b32 s20, exec_lo
	v_cmpx_ne_u32_e32 0x7f, v14
	s_cbranch_execz .LBB355_1668
; %bb.1665:                             ;   in Loop: Header=BB355_1571 Depth=1
	v_mov_b32_e32 v10, 7
	v_lshrrev_b32_e32 v13, 3, v14
	s_mov_b32 s21, exec_lo
	v_and_b32_sdwa v10, v19, v10 dst_sel:DWORD dst_unused:UNUSED_PAD src0_sel:BYTE_3 src1_sel:DWORD
	v_mov_b32_e32 v25, v11
	v_mov_b32_e32 v24, v10
	v_cmpx_gt_u32_e32 8, v14
; %bb.1666:                             ;   in Loop: Header=BB355_1571 Depth=1
	v_ffbh_u32_e32 v13, v10
	v_min_u32_e32 v13, 32, v13
	v_subrev_nc_u32_e32 v14, 28, v13
	v_sub_nc_u32_e32 v13, 29, v13
	v_lshlrev_b64 v[21:22], v14, v[10:11]
	v_and_b32_e32 v24, 7, v21
; %bb.1667:                             ;   in Loop: Header=BB355_1571 Depth=1
	s_or_b32 exec_lo, exec_lo, s21
	v_mov_b32_e32 v10, 24
	v_lshlrev_b32_e32 v14, 20, v24
	v_lshl_add_u32 v13, v13, 23, 0x3c000000
	v_lshlrev_b32_sdwa v10, v10, v19 dst_sel:DWORD dst_unused:UNUSED_PAD src0_sel:DWORD src1_sel:BYTE_3
	v_and_b32_e32 v10, 0x80000000, v10
	v_or3_b32 v13, v14, v10, v13
.LBB355_1668:                           ;   in Loop: Header=BB355_1571 Depth=1
	s_or_b32 exec_lo, exec_lo, s20
.LBB355_1669:                           ;   in Loop: Header=BB355_1571 Depth=1
	s_or_b32 exec_lo, exec_lo, s19
.LBB355_1670:                           ;   in Loop: Header=BB355_1571 Depth=1
	s_or_b32 exec_lo, exec_lo, s18
	v_mov_b32_e32 v10, v20
	v_cmp_ne_u16_sdwa s4, v20, v11 src0_sel:BYTE_0 src1_sel:DWORD
	v_mov_b32_e32 v18, 0
	v_mov_b32_e32 v14, 0
	s_and_saveexec_b32 s18, s4
	s_cbranch_execz .LBB355_1678
; %bb.1671:                             ;   in Loop: Header=BB355_1571 Depth=1
	v_cmp_ne_u16_sdwa s4, v20, v97 src0_sel:BYTE_0 src1_sel:DWORD
	v_bfrev_b32_e32 v14, 1
	s_and_saveexec_b32 s19, s4
	s_cbranch_execz .LBB355_1677
; %bb.1672:                             ;   in Loop: Header=BB355_1571 Depth=1
	v_and_b32_e32 v21, 0x7f, v20
	v_mov_b32_e32 v14, 0x7f800001
	s_mov_b32 s20, exec_lo
	v_cmpx_ne_u32_e32 0x7f, v21
	s_cbranch_execz .LBB355_1676
; %bb.1673:                             ;   in Loop: Header=BB355_1571 Depth=1
	v_mov_b32_e32 v25, v11
	v_lshrrev_b32_e32 v14, 3, v21
	v_mov_b32_e32 v24, v10
	s_mov_b32 s21, exec_lo
	v_cmpx_gt_u32_e32 8, v21
; %bb.1674:                             ;   in Loop: Header=BB355_1571 Depth=1
	v_and_b32_e32 v14, 7, v20
	v_ffbh_u32_e32 v14, v14
	v_min_u32_e32 v14, 32, v14
	v_subrev_nc_u32_e32 v21, 28, v14
	v_sub_nc_u32_e32 v14, 29, v14
	v_lshlrev_b64 v[24:25], v21, v[10:11]
; %bb.1675:                             ;   in Loop: Header=BB355_1571 Depth=1
	s_or_b32 exec_lo, exec_lo, s21
	v_lshlrev_b32_e32 v21, 20, v24
	v_lshlrev_b32_e32 v22, 24, v10
	v_lshl_add_u32 v14, v14, 23, 0x3c000000
	v_and_b32_e32 v21, 0x700000, v21
	v_and_b32_e32 v22, 0x80000000, v22
	v_or3_b32 v14, v21, v22, v14
.LBB355_1676:                           ;   in Loop: Header=BB355_1571 Depth=1
	s_or_b32 exec_lo, exec_lo, s20
.LBB355_1677:                           ;   in Loop: Header=BB355_1571 Depth=1
	s_or_b32 exec_lo, exec_lo, s19
.LBB355_1678:                           ;   in Loop: Header=BB355_1571 Depth=1
	s_or_b32 exec_lo, exec_lo, s18
	v_cmp_ne_u16_sdwa s4, v10, v11 src0_sel:BYTE_1 src1_sel:DWORD
	s_and_saveexec_b32 s18, s4
	s_cbranch_execz .LBB355_1686
; %bb.1679:                             ;   in Loop: Header=BB355_1571 Depth=1
	v_cmp_ne_u16_sdwa s4, v10, v97 src0_sel:BYTE_1 src1_sel:DWORD
	v_bfrev_b32_e32 v18, 1
	s_and_saveexec_b32 s19, s4
	s_cbranch_execz .LBB355_1685
; %bb.1680:                             ;   in Loop: Header=BB355_1571 Depth=1
	v_mov_b32_e32 v18, 0xffff
	s_mov_b32 s20, exec_lo
	v_and_b32_sdwa v22, v18, v10 dst_sel:DWORD dst_unused:UNUSED_PAD src0_sel:DWORD src1_sel:BYTE_1
	v_mov_b32_e32 v18, 0x7f800001
	v_and_b32_e32 v21, 0x7f, v22
	v_cmpx_ne_u32_e32 0x7f, v21
	s_cbranch_execz .LBB355_1684
; %bb.1681:                             ;   in Loop: Header=BB355_1571 Depth=1
	v_and_b32_e32 v24, 7, v22
	v_mov_b32_e32 v25, v11
	v_lshrrev_b32_e32 v18, 3, v21
	s_mov_b32 s21, exec_lo
	v_cmpx_gt_u32_e32 8, v21
; %bb.1682:                             ;   in Loop: Header=BB355_1571 Depth=1
	v_ffbh_u32_e32 v18, v24
	v_min_u32_e32 v18, 32, v18
	v_subrev_nc_u32_e32 v21, 28, v18
	v_sub_nc_u32_e32 v18, 29, v18
	v_lshlrev_b64 v[21:22], v21, v[24:25]
	v_and_b32_e32 v24, 7, v21
; %bb.1683:                             ;   in Loop: Header=BB355_1571 Depth=1
	s_or_b32 exec_lo, exec_lo, s21
	v_lshlrev_b32_e32 v10, 16, v10
	v_lshlrev_b32_e32 v21, 20, v24
	v_lshl_add_u32 v18, v18, 23, 0x3c000000
	v_and_b32_e32 v10, 0x80000000, v10
	v_or3_b32 v18, v21, v10, v18
.LBB355_1684:                           ;   in Loop: Header=BB355_1571 Depth=1
	s_or_b32 exec_lo, exec_lo, s20
.LBB355_1685:                           ;   in Loop: Header=BB355_1571 Depth=1
	s_or_b32 exec_lo, exec_lo, s19
.LBB355_1686:                           ;   in Loop: Header=BB355_1571 Depth=1
	s_or_b32 exec_lo, exec_lo, s18
	v_and_b32_sdwa v10, v20, v99 dst_sel:DWORD dst_unused:UNUSED_PAD src0_sel:WORD_1 src1_sel:DWORD
	v_mov_b32_e32 v21, 0
	v_mov_b32_e32 v22, 0
	s_mov_b32 s18, exec_lo
	v_cmpx_ne_u16_e32 0, v10
	s_cbranch_execz .LBB355_1694
; %bb.1687:                             ;   in Loop: Header=BB355_1571 Depth=1
	v_bfrev_b32_e32 v22, 1
	s_mov_b32 s19, exec_lo
	v_cmpx_ne_u16_e32 0x80, v10
	s_cbranch_execz .LBB355_1693
; %bb.1688:                             ;   in Loop: Header=BB355_1571 Depth=1
	v_bfe_u32 v23, v20, 16, 7
	v_mov_b32_e32 v22, 0x7f800001
	s_mov_b32 s20, exec_lo
	v_cmpx_ne_u32_e32 0x7f, v23
	s_cbranch_execz .LBB355_1692
; %bb.1689:                             ;   in Loop: Header=BB355_1571 Depth=1
	v_mov_b32_e32 v10, 7
	v_lshrrev_b32_e32 v22, 3, v23
	s_mov_b32 s21, exec_lo
	v_and_b32_sdwa v10, v20, v10 dst_sel:DWORD dst_unused:UNUSED_PAD src0_sel:WORD_1 src1_sel:DWORD
	v_mov_b32_e32 v25, v11
	v_mov_b32_e32 v24, v10
	v_cmpx_gt_u32_e32 8, v23
; %bb.1690:                             ;   in Loop: Header=BB355_1571 Depth=1
	v_ffbh_u32_e32 v22, v10
	v_min_u32_e32 v22, 32, v22
	v_subrev_nc_u32_e32 v23, 28, v22
	v_sub_nc_u32_e32 v22, 29, v22
	v_lshlrev_b64 v[23:24], v23, v[10:11]
	v_and_b32_e32 v24, 7, v23
; %bb.1691:                             ;   in Loop: Header=BB355_1571 Depth=1
	s_or_b32 exec_lo, exec_lo, s21
	v_mov_b32_e32 v10, 24
	v_lshlrev_b32_e32 v23, 20, v24
	v_lshl_add_u32 v22, v22, 23, 0x3c000000
	v_lshlrev_b32_sdwa v10, v10, v20 dst_sel:DWORD dst_unused:UNUSED_PAD src0_sel:DWORD src1_sel:WORD_1
	v_and_b32_e32 v10, 0x80000000, v10
	v_or3_b32 v22, v23, v10, v22
.LBB355_1692:                           ;   in Loop: Header=BB355_1571 Depth=1
	s_or_b32 exec_lo, exec_lo, s20
.LBB355_1693:                           ;   in Loop: Header=BB355_1571 Depth=1
	s_or_b32 exec_lo, exec_lo, s19
.LBB355_1694:                           ;   in Loop: Header=BB355_1571 Depth=1
	s_or_b32 exec_lo, exec_lo, s18
	s_mov_b32 s18, exec_lo
	v_cmpx_lt_u64_e64 s[6:7], v[19:20]
	s_cbranch_execz .LBB355_1702
; %bb.1695:                             ;   in Loop: Header=BB355_1571 Depth=1
	v_cmp_ne_u32_sdwa s4, v20, v97 src0_sel:BYTE_3 src1_sel:DWORD
	v_bfrev_b32_e32 v21, 1
	s_and_saveexec_b32 s19, s4
	s_cbranch_execz .LBB355_1701
; %bb.1696:                             ;   in Loop: Header=BB355_1571 Depth=1
	v_bfe_u32 v23, v20, 24, 7
	v_mov_b32_e32 v21, 0x7f800001
	s_mov_b32 s20, exec_lo
	v_cmpx_ne_u32_e32 0x7f, v23
	s_cbranch_execz .LBB355_1700
; %bb.1697:                             ;   in Loop: Header=BB355_1571 Depth=1
	v_mov_b32_e32 v10, 7
	v_lshrrev_b32_e32 v19, 3, v23
	s_mov_b32 s21, exec_lo
	v_and_b32_sdwa v10, v20, v10 dst_sel:DWORD dst_unused:UNUSED_PAD src0_sel:BYTE_3 src1_sel:DWORD
	v_mov_b32_e32 v25, v11
	v_mov_b32_e32 v24, v10
	v_cmpx_gt_u32_e32 8, v23
; %bb.1698:                             ;   in Loop: Header=BB355_1571 Depth=1
	v_ffbh_u32_e32 v19, v10
	v_min_u32_e32 v19, 32, v19
	v_subrev_nc_u32_e32 v21, 28, v19
	v_sub_nc_u32_e32 v19, 29, v19
	v_lshlrev_b64 v[23:24], v21, v[10:11]
	v_and_b32_e32 v24, 7, v23
; %bb.1699:                             ;   in Loop: Header=BB355_1571 Depth=1
	s_or_b32 exec_lo, exec_lo, s21
	v_mov_b32_e32 v10, 24
	v_lshl_add_u32 v19, v19, 23, 0x3c000000
	v_lshlrev_b32_sdwa v10, v10, v20 dst_sel:DWORD dst_unused:UNUSED_PAD src0_sel:DWORD src1_sel:BYTE_3
	v_lshlrev_b32_e32 v20, 20, v24
	v_and_b32_e32 v10, 0x80000000, v10
	v_or3_b32 v21, v20, v10, v19
.LBB355_1700:                           ;   in Loop: Header=BB355_1571 Depth=1
	s_or_b32 exec_lo, exec_lo, s20
.LBB355_1701:                           ;   in Loop: Header=BB355_1571 Depth=1
	s_or_b32 exec_lo, exec_lo, s19
.LBB355_1702:                           ;   in Loop: Header=BB355_1571 Depth=1
	s_or_b32 exec_lo, exec_lo, s18
	v_mul_f32_e32 v10, v111, v18
	v_mul_f32_e32 v14, v111, v14
	;; [unrolled: 1-line block ×5, first 2 shown]
	v_bfe_u32 v18, v10, 16, 1
	v_or_b32_e32 v19, 0x400000, v10
	v_bfe_u32 v20, v14, 16, 1
	v_cmp_u_f32_e64 s4, v10, v10
	v_or_b32_e32 v23, 0x400000, v14
	v_add3_u32 v18, v18, v10, 0x7fff
	v_bfe_u32 v24, v13, 16, 1
	v_add3_u32 v20, v20, v14, 0x7fff
	v_or_b32_e32 v25, 0x400000, v13
	v_bfe_u32 v26, v12, 16, 1
	v_cndmask_b32_e64 v10, v18, v19, s4
	v_cmp_u_f32_e64 s4, v14, v14
	v_add3_u32 v24, v24, v13, 0x7fff
	v_or_b32_e32 v18, 0x400000, v12
	v_mul_f32_e32 v0, v111, v0
	v_lshrrev_b32_e32 v10, 16, v10
	v_cndmask_b32_e64 v14, v20, v23, s4
	v_cmp_u_f32_e64 s4, v13, v13
	v_bfe_u32 v19, v0, 16, 1
	buffer_store_dword v10, off, s[0:3], s32 offset:268 ; 4-byte Folded Spill
	v_add3_u32 v10, v26, v12, 0x7fff
	v_cndmask_b32_e64 v13, v24, v25, s4
	v_lshrrev_b32_e32 v14, 16, v14
	v_cmp_u_f32_e64 s4, v12, v12
	v_mul_f32_e32 v12, v111, v22
	v_lshrrev_b32_e32 v13, 16, v13
	buffer_store_dword v14, off, s[0:3], s32 offset:264 ; 4-byte Folded Spill
	v_cndmask_b32_e64 v10, v10, v18, s4
	v_or_b32_e32 v14, 0x400000, v1
	v_cmp_u_f32_e64 s4, v1, v1
	buffer_store_dword v13, off, s[0:3], s32 offset:276 ; 4-byte Folded Spill
	v_bfe_u32 v13, v1, 16, 1
	v_mul_f32_e32 v18, v111, v21
	v_bfe_u32 v20, v12, 16, 1
	v_or_b32_e32 v21, 0x400000, v12
	v_lshrrev_b32_e32 v10, 16, v10
	v_add3_u32 v13, v13, v1, 0x7fff
	v_or_b32_e32 v22, 0x400000, v18
	v_add3_u32 v20, v20, v12, 0x7fff
	buffer_store_dword v10, off, s[0:3], s32 offset:272 ; 4-byte Folded Spill
	v_cndmask_b32_e64 v1, v13, v14, s4
	v_add3_u32 v14, v19, v0, 0x7fff
	v_or_b32_e32 v19, 0x400000, v0
	v_cmp_u_f32_e64 s4, v0, v0
	v_bfe_u32 v13, v18, 16, 1
	v_lshrrev_b32_e32 v1, 16, v1
	v_cndmask_b32_e64 v0, v14, v19, s4
	v_cmp_u_f32_e64 s4, v12, v12
	v_add3_u32 v13, v13, v18, 0x7fff
	buffer_store_dword v1, off, s[0:3], s32 offset:284 ; 4-byte Folded Spill
	v_lshrrev_b32_e32 v0, 16, v0
	v_cndmask_b32_e64 v12, v20, v21, s4
	v_cmp_u_f32_e64 s4, v18, v18
	buffer_store_dword v0, off, s[0:3], s32 offset:280 ; 4-byte Folded Spill
	v_lshrrev_b32_e32 v0, 16, v12
	v_cndmask_b32_e64 v13, v13, v22, s4
	buffer_store_dword v0, off, s[0:3], s32 offset:256 ; 4-byte Folded Spill
	v_lshrrev_b32_e32 v0, 16, v13
	buffer_store_dword v0, off, s[0:3], s32 offset:260 ; 4-byte Folded Spill
	s_and_saveexec_b32 s18, vcc_lo
	s_cbranch_execz .LBB355_1704
; %bb.1703:                             ;   in Loop: Header=BB355_1571 Depth=1
	buffer_load_dword v0, off, s[0:3], s32 offset:280 ; 4-byte Folded Reload
	v_cmp_lt_i32_e64 s4, v109, v123
	s_waitcnt vmcnt(0)
	v_cndmask_b32_e64 v0, 0, v0, s4
	v_cmp_lt_i32_e64 s4, v74, v123
	buffer_store_dword v0, off, s[0:3], s32 offset:280 ; 4-byte Folded Spill
	buffer_load_dword v0, off, s[0:3], s32 offset:284 ; 4-byte Folded Reload
	s_waitcnt vmcnt(0)
	v_cndmask_b32_e64 v0, 0, v0, s4
	v_cmp_lt_i32_e64 s4, v35, v123
	buffer_store_dword v0, off, s[0:3], s32 offset:284 ; 4-byte Folded Spill
	buffer_load_dword v0, off, s[0:3], s32 offset:272 ; 4-byte Folded Reload
	;; [unrolled: 5-line block ×7, first 2 shown]
	s_waitcnt vmcnt(0)
	v_cndmask_b32_e64 v0, 0, v0, s4
	buffer_store_dword v0, off, s[0:3], s32 offset:260 ; 4-byte Folded Spill
.LBB355_1704:                           ;   in Loop: Header=BB355_1571 Depth=1
	s_or_b32 exec_lo, exec_lo, s18
	flat_load_dwordx2 v[19:20], v[16:17] offset:512
	v_mov_b32_e32 v1, 0
	v_mov_b32_e32 v0, 0
	s_waitcnt vmcnt(0) lgkmcnt(0)
	v_cmp_ne_u16_sdwa s4, v19, v11 src0_sel:BYTE_0 src1_sel:DWORD
	s_and_saveexec_b32 s18, s4
	s_cbranch_execz .LBB355_1712
; %bb.1705:                             ;   in Loop: Header=BB355_1571 Depth=1
	v_cmp_ne_u16_sdwa s4, v19, v97 src0_sel:BYTE_0 src1_sel:DWORD
	v_bfrev_b32_e32 v0, 1
	s_and_saveexec_b32 s19, s4
	s_cbranch_execz .LBB355_1711
; %bb.1706:                             ;   in Loop: Header=BB355_1571 Depth=1
	v_and_b32_e32 v10, 0x7f, v19
	v_mov_b32_e32 v0, 0x7f800001
	s_mov_b32 s20, exec_lo
	v_cmpx_ne_u32_e32 0x7f, v10
	s_cbranch_execz .LBB355_1710
; %bb.1707:                             ;   in Loop: Header=BB355_1571 Depth=1
	v_mov_b32_e32 v25, v20
	v_lshrrev_b32_e32 v0, 3, v10
	v_mov_b32_e32 v24, v19
	s_mov_b32 s21, exec_lo
	v_cmpx_gt_u32_e32 8, v10
; %bb.1708:                             ;   in Loop: Header=BB355_1571 Depth=1
	v_and_b32_e32 v0, 7, v19
	v_ffbh_u32_e32 v0, v0
	v_min_u32_e32 v0, 32, v0
	v_subrev_nc_u32_e32 v10, 28, v0
	v_sub_nc_u32_e32 v0, 29, v0
	v_lshlrev_b64 v[24:25], v10, v[19:20]
; %bb.1709:                             ;   in Loop: Header=BB355_1571 Depth=1
	s_or_b32 exec_lo, exec_lo, s21
	v_lshlrev_b32_e32 v10, 20, v24
	v_lshlrev_b32_e32 v12, 24, v19
	v_lshl_add_u32 v0, v0, 23, 0x3c000000
	v_and_b32_e32 v10, 0x700000, v10
	v_and_b32_e32 v12, 0x80000000, v12
	v_or3_b32 v0, v10, v12, v0
.LBB355_1710:                           ;   in Loop: Header=BB355_1571 Depth=1
	s_or_b32 exec_lo, exec_lo, s20
.LBB355_1711:                           ;   in Loop: Header=BB355_1571 Depth=1
	s_or_b32 exec_lo, exec_lo, s19
.LBB355_1712:                           ;   in Loop: Header=BB355_1571 Depth=1
	s_or_b32 exec_lo, exec_lo, s18
	v_cmp_ne_u16_sdwa s4, v19, v11 src0_sel:BYTE_1 src1_sel:DWORD
	s_and_saveexec_b32 s18, s4
	s_cbranch_execz .LBB355_1720
; %bb.1713:                             ;   in Loop: Header=BB355_1571 Depth=1
	v_cmp_ne_u16_sdwa s4, v19, v97 src0_sel:BYTE_1 src1_sel:DWORD
	v_bfrev_b32_e32 v1, 1
	s_and_saveexec_b32 s19, s4
	s_cbranch_execz .LBB355_1719
; %bb.1714:                             ;   in Loop: Header=BB355_1571 Depth=1
	v_mov_b32_e32 v1, 0xffff
	s_mov_b32 s20, exec_lo
	v_and_b32_sdwa v10, v1, v19 dst_sel:DWORD dst_unused:UNUSED_PAD src0_sel:DWORD src1_sel:BYTE_1
	v_mov_b32_e32 v1, 0x7f800001
	v_and_b32_e32 v12, 0x7f, v10
	v_cmpx_ne_u32_e32 0x7f, v12
	s_cbranch_execz .LBB355_1718
; %bb.1715:                             ;   in Loop: Header=BB355_1571 Depth=1
	v_and_b32_e32 v10, 7, v10
	v_mov_b32_e32 v25, v11
	v_lshrrev_b32_e32 v1, 3, v12
	s_mov_b32 s21, exec_lo
	v_mov_b32_e32 v24, v10
	v_cmpx_gt_u32_e32 8, v12
; %bb.1716:                             ;   in Loop: Header=BB355_1571 Depth=1
	v_ffbh_u32_e32 v1, v10
	v_min_u32_e32 v1, 32, v1
	v_subrev_nc_u32_e32 v12, 28, v1
	v_sub_nc_u32_e32 v1, 29, v1
	v_lshlrev_b64 v[12:13], v12, v[10:11]
	v_and_b32_e32 v24, 7, v12
; %bb.1717:                             ;   in Loop: Header=BB355_1571 Depth=1
	s_or_b32 exec_lo, exec_lo, s21
	v_lshlrev_b32_e32 v10, 16, v19
	v_lshlrev_b32_e32 v12, 20, v24
	v_lshl_add_u32 v1, v1, 23, 0x3c000000
	v_and_b32_e32 v10, 0x80000000, v10
	v_or3_b32 v1, v12, v10, v1
.LBB355_1718:                           ;   in Loop: Header=BB355_1571 Depth=1
	s_or_b32 exec_lo, exec_lo, s20
.LBB355_1719:                           ;   in Loop: Header=BB355_1571 Depth=1
	s_or_b32 exec_lo, exec_lo, s19
.LBB355_1720:                           ;   in Loop: Header=BB355_1571 Depth=1
	s_or_b32 exec_lo, exec_lo, s18
	v_and_b32_sdwa v10, v19, v99 dst_sel:DWORD dst_unused:UNUSED_PAD src0_sel:WORD_1 src1_sel:DWORD
	v_mov_b32_e32 v13, 0
	v_mov_b32_e32 v12, 0
	s_mov_b32 s18, exec_lo
	v_cmpx_ne_u16_e32 0, v10
	s_cbranch_execz .LBB355_1728
; %bb.1721:                             ;   in Loop: Header=BB355_1571 Depth=1
	v_bfrev_b32_e32 v12, 1
	s_mov_b32 s19, exec_lo
	v_cmpx_ne_u16_e32 0x80, v10
	s_cbranch_execz .LBB355_1727
; %bb.1722:                             ;   in Loop: Header=BB355_1571 Depth=1
	v_bfe_u32 v14, v19, 16, 7
	v_mov_b32_e32 v12, 0x7f800001
	s_mov_b32 s20, exec_lo
	v_cmpx_ne_u32_e32 0x7f, v14
	s_cbranch_execz .LBB355_1726
; %bb.1723:                             ;   in Loop: Header=BB355_1571 Depth=1
	v_mov_b32_e32 v10, 7
	v_lshrrev_b32_e32 v12, 3, v14
	s_mov_b32 s21, exec_lo
	v_and_b32_sdwa v10, v19, v10 dst_sel:DWORD dst_unused:UNUSED_PAD src0_sel:WORD_1 src1_sel:DWORD
	v_mov_b32_e32 v25, v11
	v_mov_b32_e32 v24, v10
	v_cmpx_gt_u32_e32 8, v14
; %bb.1724:                             ;   in Loop: Header=BB355_1571 Depth=1
	v_ffbh_u32_e32 v12, v10
	v_min_u32_e32 v12, 32, v12
	v_subrev_nc_u32_e32 v14, 28, v12
	v_sub_nc_u32_e32 v12, 29, v12
	v_lshlrev_b64 v[21:22], v14, v[10:11]
	v_and_b32_e32 v24, 7, v21
; %bb.1725:                             ;   in Loop: Header=BB355_1571 Depth=1
	s_or_b32 exec_lo, exec_lo, s21
	v_mov_b32_e32 v10, 24
	v_lshlrev_b32_e32 v14, 20, v24
	v_lshl_add_u32 v12, v12, 23, 0x3c000000
	v_lshlrev_b32_sdwa v10, v10, v19 dst_sel:DWORD dst_unused:UNUSED_PAD src0_sel:DWORD src1_sel:WORD_1
	v_and_b32_e32 v10, 0x80000000, v10
	v_or3_b32 v12, v14, v10, v12
.LBB355_1726:                           ;   in Loop: Header=BB355_1571 Depth=1
	s_or_b32 exec_lo, exec_lo, s20
.LBB355_1727:                           ;   in Loop: Header=BB355_1571 Depth=1
	s_or_b32 exec_lo, exec_lo, s19
.LBB355_1728:                           ;   in Loop: Header=BB355_1571 Depth=1
	s_or_b32 exec_lo, exec_lo, s18
	s_mov_b32 s18, exec_lo
	v_cmpx_lt_u32_e32 0xffffff, v19
	s_cbranch_execz .LBB355_1736
; %bb.1729:                             ;   in Loop: Header=BB355_1571 Depth=1
	v_cmp_ne_u32_sdwa s4, v19, v97 src0_sel:BYTE_3 src1_sel:DWORD
	v_bfrev_b32_e32 v13, 1
	s_and_saveexec_b32 s19, s4
	s_cbranch_execz .LBB355_1735
; %bb.1730:                             ;   in Loop: Header=BB355_1571 Depth=1
	v_bfe_u32 v14, v19, 24, 7
	v_mov_b32_e32 v13, 0x7f800001
	s_mov_b32 s20, exec_lo
	v_cmpx_ne_u32_e32 0x7f, v14
	s_cbranch_execz .LBB355_1734
; %bb.1731:                             ;   in Loop: Header=BB355_1571 Depth=1
	v_mov_b32_e32 v10, 7
	v_lshrrev_b32_e32 v13, 3, v14
	s_mov_b32 s21, exec_lo
	v_and_b32_sdwa v10, v19, v10 dst_sel:DWORD dst_unused:UNUSED_PAD src0_sel:BYTE_3 src1_sel:DWORD
	v_mov_b32_e32 v25, v11
	v_mov_b32_e32 v24, v10
	v_cmpx_gt_u32_e32 8, v14
; %bb.1732:                             ;   in Loop: Header=BB355_1571 Depth=1
	v_ffbh_u32_e32 v13, v10
	v_min_u32_e32 v13, 32, v13
	v_subrev_nc_u32_e32 v14, 28, v13
	v_sub_nc_u32_e32 v13, 29, v13
	v_lshlrev_b64 v[21:22], v14, v[10:11]
	v_and_b32_e32 v24, 7, v21
; %bb.1733:                             ;   in Loop: Header=BB355_1571 Depth=1
	s_or_b32 exec_lo, exec_lo, s21
	v_mov_b32_e32 v10, 24
	v_lshlrev_b32_e32 v14, 20, v24
	v_lshl_add_u32 v13, v13, 23, 0x3c000000
	v_lshlrev_b32_sdwa v10, v10, v19 dst_sel:DWORD dst_unused:UNUSED_PAD src0_sel:DWORD src1_sel:BYTE_3
	v_and_b32_e32 v10, 0x80000000, v10
	v_or3_b32 v13, v14, v10, v13
.LBB355_1734:                           ;   in Loop: Header=BB355_1571 Depth=1
	s_or_b32 exec_lo, exec_lo, s20
.LBB355_1735:                           ;   in Loop: Header=BB355_1571 Depth=1
	s_or_b32 exec_lo, exec_lo, s19
.LBB355_1736:                           ;   in Loop: Header=BB355_1571 Depth=1
	s_or_b32 exec_lo, exec_lo, s18
	v_mov_b32_e32 v10, v20
	v_cmp_ne_u16_sdwa s4, v20, v11 src0_sel:BYTE_0 src1_sel:DWORD
	v_mov_b32_e32 v18, 0
	v_mov_b32_e32 v14, 0
	s_and_saveexec_b32 s18, s4
	s_cbranch_execz .LBB355_1744
; %bb.1737:                             ;   in Loop: Header=BB355_1571 Depth=1
	v_cmp_ne_u16_sdwa s4, v20, v97 src0_sel:BYTE_0 src1_sel:DWORD
	v_bfrev_b32_e32 v14, 1
	s_and_saveexec_b32 s19, s4
	s_cbranch_execz .LBB355_1743
; %bb.1738:                             ;   in Loop: Header=BB355_1571 Depth=1
	v_and_b32_e32 v21, 0x7f, v20
	v_mov_b32_e32 v14, 0x7f800001
	s_mov_b32 s20, exec_lo
	v_cmpx_ne_u32_e32 0x7f, v21
	s_cbranch_execz .LBB355_1742
; %bb.1739:                             ;   in Loop: Header=BB355_1571 Depth=1
	v_mov_b32_e32 v25, v11
	v_lshrrev_b32_e32 v14, 3, v21
	v_mov_b32_e32 v24, v10
	s_mov_b32 s21, exec_lo
	v_cmpx_gt_u32_e32 8, v21
; %bb.1740:                             ;   in Loop: Header=BB355_1571 Depth=1
	v_and_b32_e32 v14, 7, v20
	v_ffbh_u32_e32 v14, v14
	v_min_u32_e32 v14, 32, v14
	v_subrev_nc_u32_e32 v21, 28, v14
	v_sub_nc_u32_e32 v14, 29, v14
	v_lshlrev_b64 v[24:25], v21, v[10:11]
; %bb.1741:                             ;   in Loop: Header=BB355_1571 Depth=1
	s_or_b32 exec_lo, exec_lo, s21
	v_lshlrev_b32_e32 v21, 20, v24
	v_lshlrev_b32_e32 v22, 24, v10
	v_lshl_add_u32 v14, v14, 23, 0x3c000000
	v_and_b32_e32 v21, 0x700000, v21
	v_and_b32_e32 v22, 0x80000000, v22
	v_or3_b32 v14, v21, v22, v14
.LBB355_1742:                           ;   in Loop: Header=BB355_1571 Depth=1
	s_or_b32 exec_lo, exec_lo, s20
.LBB355_1743:                           ;   in Loop: Header=BB355_1571 Depth=1
	s_or_b32 exec_lo, exec_lo, s19
.LBB355_1744:                           ;   in Loop: Header=BB355_1571 Depth=1
	s_or_b32 exec_lo, exec_lo, s18
	v_cmp_ne_u16_sdwa s4, v10, v11 src0_sel:BYTE_1 src1_sel:DWORD
	s_and_saveexec_b32 s18, s4
	s_cbranch_execz .LBB355_1752
; %bb.1745:                             ;   in Loop: Header=BB355_1571 Depth=1
	v_cmp_ne_u16_sdwa s4, v10, v97 src0_sel:BYTE_1 src1_sel:DWORD
	v_bfrev_b32_e32 v18, 1
	s_and_saveexec_b32 s19, s4
	s_cbranch_execz .LBB355_1751
; %bb.1746:                             ;   in Loop: Header=BB355_1571 Depth=1
	v_mov_b32_e32 v18, 0xffff
	s_mov_b32 s20, exec_lo
	v_and_b32_sdwa v22, v18, v10 dst_sel:DWORD dst_unused:UNUSED_PAD src0_sel:DWORD src1_sel:BYTE_1
	v_mov_b32_e32 v18, 0x7f800001
	v_and_b32_e32 v21, 0x7f, v22
	v_cmpx_ne_u32_e32 0x7f, v21
	s_cbranch_execz .LBB355_1750
; %bb.1747:                             ;   in Loop: Header=BB355_1571 Depth=1
	v_and_b32_e32 v24, 7, v22
	v_mov_b32_e32 v25, v11
	v_lshrrev_b32_e32 v18, 3, v21
	s_mov_b32 s21, exec_lo
	v_cmpx_gt_u32_e32 8, v21
; %bb.1748:                             ;   in Loop: Header=BB355_1571 Depth=1
	v_ffbh_u32_e32 v18, v24
	v_min_u32_e32 v18, 32, v18
	v_subrev_nc_u32_e32 v21, 28, v18
	v_sub_nc_u32_e32 v18, 29, v18
	v_lshlrev_b64 v[21:22], v21, v[24:25]
	v_and_b32_e32 v24, 7, v21
; %bb.1749:                             ;   in Loop: Header=BB355_1571 Depth=1
	s_or_b32 exec_lo, exec_lo, s21
	v_lshlrev_b32_e32 v10, 16, v10
	v_lshlrev_b32_e32 v21, 20, v24
	v_lshl_add_u32 v18, v18, 23, 0x3c000000
	v_and_b32_e32 v10, 0x80000000, v10
	v_or3_b32 v18, v21, v10, v18
.LBB355_1750:                           ;   in Loop: Header=BB355_1571 Depth=1
	s_or_b32 exec_lo, exec_lo, s20
.LBB355_1751:                           ;   in Loop: Header=BB355_1571 Depth=1
	s_or_b32 exec_lo, exec_lo, s19
.LBB355_1752:                           ;   in Loop: Header=BB355_1571 Depth=1
	s_or_b32 exec_lo, exec_lo, s18
	v_and_b32_sdwa v10, v20, v99 dst_sel:DWORD dst_unused:UNUSED_PAD src0_sel:WORD_1 src1_sel:DWORD
	v_mov_b32_e32 v21, 0
	v_mov_b32_e32 v22, 0
	s_mov_b32 s18, exec_lo
	v_cmpx_ne_u16_e32 0, v10
	s_cbranch_execz .LBB355_1760
; %bb.1753:                             ;   in Loop: Header=BB355_1571 Depth=1
	v_bfrev_b32_e32 v22, 1
	s_mov_b32 s19, exec_lo
	v_cmpx_ne_u16_e32 0x80, v10
	s_cbranch_execz .LBB355_1759
; %bb.1754:                             ;   in Loop: Header=BB355_1571 Depth=1
	v_bfe_u32 v23, v20, 16, 7
	v_mov_b32_e32 v22, 0x7f800001
	s_mov_b32 s20, exec_lo
	v_cmpx_ne_u32_e32 0x7f, v23
	s_cbranch_execz .LBB355_1758
; %bb.1755:                             ;   in Loop: Header=BB355_1571 Depth=1
	v_mov_b32_e32 v10, 7
	v_lshrrev_b32_e32 v22, 3, v23
	s_mov_b32 s21, exec_lo
	v_and_b32_sdwa v10, v20, v10 dst_sel:DWORD dst_unused:UNUSED_PAD src0_sel:WORD_1 src1_sel:DWORD
	v_mov_b32_e32 v25, v11
	v_mov_b32_e32 v24, v10
	v_cmpx_gt_u32_e32 8, v23
; %bb.1756:                             ;   in Loop: Header=BB355_1571 Depth=1
	v_ffbh_u32_e32 v22, v10
	v_min_u32_e32 v22, 32, v22
	v_subrev_nc_u32_e32 v23, 28, v22
	v_sub_nc_u32_e32 v22, 29, v22
	v_lshlrev_b64 v[23:24], v23, v[10:11]
	v_and_b32_e32 v24, 7, v23
; %bb.1757:                             ;   in Loop: Header=BB355_1571 Depth=1
	s_or_b32 exec_lo, exec_lo, s21
	v_mov_b32_e32 v10, 24
	v_lshlrev_b32_e32 v23, 20, v24
	v_lshl_add_u32 v22, v22, 23, 0x3c000000
	v_lshlrev_b32_sdwa v10, v10, v20 dst_sel:DWORD dst_unused:UNUSED_PAD src0_sel:DWORD src1_sel:WORD_1
	v_and_b32_e32 v10, 0x80000000, v10
	v_or3_b32 v22, v23, v10, v22
.LBB355_1758:                           ;   in Loop: Header=BB355_1571 Depth=1
	s_or_b32 exec_lo, exec_lo, s20
.LBB355_1759:                           ;   in Loop: Header=BB355_1571 Depth=1
	s_or_b32 exec_lo, exec_lo, s19
.LBB355_1760:                           ;   in Loop: Header=BB355_1571 Depth=1
	s_or_b32 exec_lo, exec_lo, s18
	s_mov_b32 s18, exec_lo
	v_cmpx_lt_u64_e64 s[6:7], v[19:20]
	s_cbranch_execz .LBB355_1768
; %bb.1761:                             ;   in Loop: Header=BB355_1571 Depth=1
	v_cmp_ne_u32_sdwa s4, v20, v97 src0_sel:BYTE_3 src1_sel:DWORD
	v_bfrev_b32_e32 v21, 1
	s_and_saveexec_b32 s19, s4
	s_cbranch_execz .LBB355_1767
; %bb.1762:                             ;   in Loop: Header=BB355_1571 Depth=1
	v_bfe_u32 v23, v20, 24, 7
	v_mov_b32_e32 v21, 0x7f800001
	s_mov_b32 s20, exec_lo
	v_cmpx_ne_u32_e32 0x7f, v23
	s_cbranch_execz .LBB355_1766
; %bb.1763:                             ;   in Loop: Header=BB355_1571 Depth=1
	v_mov_b32_e32 v10, 7
	v_lshrrev_b32_e32 v19, 3, v23
	s_mov_b32 s21, exec_lo
	v_and_b32_sdwa v10, v20, v10 dst_sel:DWORD dst_unused:UNUSED_PAD src0_sel:BYTE_3 src1_sel:DWORD
	v_mov_b32_e32 v25, v11
	v_mov_b32_e32 v24, v10
	v_cmpx_gt_u32_e32 8, v23
; %bb.1764:                             ;   in Loop: Header=BB355_1571 Depth=1
	v_ffbh_u32_e32 v19, v10
	v_min_u32_e32 v19, 32, v19
	v_subrev_nc_u32_e32 v21, 28, v19
	v_sub_nc_u32_e32 v19, 29, v19
	v_lshlrev_b64 v[23:24], v21, v[10:11]
	v_and_b32_e32 v24, 7, v23
; %bb.1765:                             ;   in Loop: Header=BB355_1571 Depth=1
	s_or_b32 exec_lo, exec_lo, s21
	v_mov_b32_e32 v10, 24
	v_lshl_add_u32 v19, v19, 23, 0x3c000000
	v_lshlrev_b32_sdwa v10, v10, v20 dst_sel:DWORD dst_unused:UNUSED_PAD src0_sel:DWORD src1_sel:BYTE_3
	v_lshlrev_b32_e32 v20, 20, v24
	v_and_b32_e32 v10, 0x80000000, v10
	v_or3_b32 v21, v20, v10, v19
.LBB355_1766:                           ;   in Loop: Header=BB355_1571 Depth=1
	s_or_b32 exec_lo, exec_lo, s20
.LBB355_1767:                           ;   in Loop: Header=BB355_1571 Depth=1
	s_or_b32 exec_lo, exec_lo, s19
.LBB355_1768:                           ;   in Loop: Header=BB355_1571 Depth=1
	s_or_b32 exec_lo, exec_lo, s18
	v_mul_f32_e32 v10, v111, v18
	v_mul_f32_e32 v14, v111, v14
	;; [unrolled: 1-line block ×5, first 2 shown]
	v_bfe_u32 v18, v10, 16, 1
	v_or_b32_e32 v19, 0x400000, v10
	v_bfe_u32 v20, v14, 16, 1
	v_cmp_u_f32_e64 s4, v10, v10
	v_or_b32_e32 v23, 0x400000, v14
	v_add3_u32 v18, v18, v10, 0x7fff
	v_bfe_u32 v24, v13, 16, 1
	v_add3_u32 v20, v20, v14, 0x7fff
	v_or_b32_e32 v25, 0x400000, v13
	v_bfe_u32 v26, v12, 16, 1
	v_cndmask_b32_e64 v10, v18, v19, s4
	v_cmp_u_f32_e64 s4, v14, v14
	v_add3_u32 v24, v24, v13, 0x7fff
	v_or_b32_e32 v18, 0x400000, v12
	v_mul_f32_e32 v0, v111, v0
	v_lshrrev_b32_e32 v10, 16, v10
	v_cndmask_b32_e64 v14, v20, v23, s4
	v_cmp_u_f32_e64 s4, v13, v13
	v_bfe_u32 v19, v0, 16, 1
	buffer_store_dword v10, off, s[0:3], s32 offset:300 ; 4-byte Folded Spill
	v_add3_u32 v10, v26, v12, 0x7fff
	v_cndmask_b32_e64 v13, v24, v25, s4
	v_lshrrev_b32_e32 v14, 16, v14
	v_cmp_u_f32_e64 s4, v12, v12
	v_mul_f32_e32 v12, v111, v22
	v_lshrrev_b32_e32 v13, 16, v13
	buffer_store_dword v14, off, s[0:3], s32 offset:296 ; 4-byte Folded Spill
	v_cndmask_b32_e64 v10, v10, v18, s4
	v_or_b32_e32 v14, 0x400000, v1
	v_cmp_u_f32_e64 s4, v1, v1
	buffer_store_dword v13, off, s[0:3], s32 offset:308 ; 4-byte Folded Spill
	v_bfe_u32 v13, v1, 16, 1
	v_mul_f32_e32 v18, v111, v21
	v_bfe_u32 v20, v12, 16, 1
	v_or_b32_e32 v21, 0x400000, v12
	v_lshrrev_b32_e32 v10, 16, v10
	v_add3_u32 v13, v13, v1, 0x7fff
	v_or_b32_e32 v22, 0x400000, v18
	v_add3_u32 v20, v20, v12, 0x7fff
	buffer_store_dword v10, off, s[0:3], s32 offset:304 ; 4-byte Folded Spill
	v_cndmask_b32_e64 v1, v13, v14, s4
	v_add3_u32 v14, v19, v0, 0x7fff
	v_or_b32_e32 v19, 0x400000, v0
	v_cmp_u_f32_e64 s4, v0, v0
	v_bfe_u32 v13, v18, 16, 1
	v_lshrrev_b32_e32 v1, 16, v1
	v_cndmask_b32_e64 v0, v14, v19, s4
	v_cmp_u_f32_e64 s4, v12, v12
	v_add3_u32 v13, v13, v18, 0x7fff
	buffer_store_dword v1, off, s[0:3], s32 offset:316 ; 4-byte Folded Spill
	v_lshrrev_b32_e32 v0, 16, v0
	v_cndmask_b32_e64 v12, v20, v21, s4
	v_cmp_u_f32_e64 s4, v18, v18
	buffer_store_dword v0, off, s[0:3], s32 offset:312 ; 4-byte Folded Spill
	v_lshrrev_b32_e32 v0, 16, v12
	v_cndmask_b32_e64 v13, v13, v22, s4
	buffer_store_dword v0, off, s[0:3], s32 offset:288 ; 4-byte Folded Spill
	v_lshrrev_b32_e32 v0, 16, v13
	buffer_store_dword v0, off, s[0:3], s32 offset:292 ; 4-byte Folded Spill
	s_and_saveexec_b32 s18, vcc_lo
	s_cbranch_execz .LBB355_1770
; %bb.1769:                             ;   in Loop: Header=BB355_1571 Depth=1
	buffer_load_dword v0, off, s[0:3], s32 offset:312 ; 4-byte Folded Reload
	v_cmp_lt_i32_e64 s4, v109, v123
	s_waitcnt vmcnt(0)
	v_cndmask_b32_e64 v0, 0, v0, s4
	v_cmp_lt_i32_e64 s4, v74, v123
	buffer_store_dword v0, off, s[0:3], s32 offset:312 ; 4-byte Folded Spill
	buffer_load_dword v0, off, s[0:3], s32 offset:316 ; 4-byte Folded Reload
	s_waitcnt vmcnt(0)
	v_cndmask_b32_e64 v0, 0, v0, s4
	v_cmp_lt_i32_e64 s4, v35, v123
	buffer_store_dword v0, off, s[0:3], s32 offset:316 ; 4-byte Folded Spill
	buffer_load_dword v0, off, s[0:3], s32 offset:304 ; 4-byte Folded Reload
	;; [unrolled: 5-line block ×7, first 2 shown]
	s_waitcnt vmcnt(0)
	v_cndmask_b32_e64 v0, 0, v0, s4
	buffer_store_dword v0, off, s[0:3], s32 offset:292 ; 4-byte Folded Spill
.LBB355_1770:                           ;   in Loop: Header=BB355_1571 Depth=1
	s_or_b32 exec_lo, exec_lo, s18
	flat_load_dwordx2 v[19:20], v[16:17] offset:768
	v_mov_b32_e32 v1, 0
	v_mov_b32_e32 v0, 0
	s_waitcnt vmcnt(0) lgkmcnt(0)
	v_cmp_ne_u16_sdwa s4, v19, v11 src0_sel:BYTE_0 src1_sel:DWORD
	s_and_saveexec_b32 s18, s4
	s_cbranch_execz .LBB355_1778
; %bb.1771:                             ;   in Loop: Header=BB355_1571 Depth=1
	v_cmp_ne_u16_sdwa s4, v19, v97 src0_sel:BYTE_0 src1_sel:DWORD
	v_bfrev_b32_e32 v0, 1
	s_and_saveexec_b32 s19, s4
	s_cbranch_execz .LBB355_1777
; %bb.1772:                             ;   in Loop: Header=BB355_1571 Depth=1
	v_and_b32_e32 v10, 0x7f, v19
	v_mov_b32_e32 v0, 0x7f800001
	s_mov_b32 s20, exec_lo
	v_cmpx_ne_u32_e32 0x7f, v10
	s_cbranch_execz .LBB355_1776
; %bb.1773:                             ;   in Loop: Header=BB355_1571 Depth=1
	v_mov_b32_e32 v25, v20
	v_lshrrev_b32_e32 v0, 3, v10
	v_mov_b32_e32 v24, v19
	s_mov_b32 s21, exec_lo
	v_cmpx_gt_u32_e32 8, v10
; %bb.1774:                             ;   in Loop: Header=BB355_1571 Depth=1
	v_and_b32_e32 v0, 7, v19
	v_ffbh_u32_e32 v0, v0
	v_min_u32_e32 v0, 32, v0
	v_subrev_nc_u32_e32 v10, 28, v0
	v_sub_nc_u32_e32 v0, 29, v0
	v_lshlrev_b64 v[24:25], v10, v[19:20]
; %bb.1775:                             ;   in Loop: Header=BB355_1571 Depth=1
	s_or_b32 exec_lo, exec_lo, s21
	v_lshlrev_b32_e32 v10, 20, v24
	v_lshlrev_b32_e32 v12, 24, v19
	v_lshl_add_u32 v0, v0, 23, 0x3c000000
	v_and_b32_e32 v10, 0x700000, v10
	v_and_b32_e32 v12, 0x80000000, v12
	v_or3_b32 v0, v10, v12, v0
.LBB355_1776:                           ;   in Loop: Header=BB355_1571 Depth=1
	s_or_b32 exec_lo, exec_lo, s20
.LBB355_1777:                           ;   in Loop: Header=BB355_1571 Depth=1
	s_or_b32 exec_lo, exec_lo, s19
.LBB355_1778:                           ;   in Loop: Header=BB355_1571 Depth=1
	s_or_b32 exec_lo, exec_lo, s18
	v_cmp_ne_u16_sdwa s4, v19, v11 src0_sel:BYTE_1 src1_sel:DWORD
	s_and_saveexec_b32 s18, s4
	s_cbranch_execz .LBB355_1786
; %bb.1779:                             ;   in Loop: Header=BB355_1571 Depth=1
	v_cmp_ne_u16_sdwa s4, v19, v97 src0_sel:BYTE_1 src1_sel:DWORD
	v_bfrev_b32_e32 v1, 1
	s_and_saveexec_b32 s19, s4
	s_cbranch_execz .LBB355_1785
; %bb.1780:                             ;   in Loop: Header=BB355_1571 Depth=1
	v_mov_b32_e32 v1, 0xffff
	s_mov_b32 s20, exec_lo
	v_and_b32_sdwa v10, v1, v19 dst_sel:DWORD dst_unused:UNUSED_PAD src0_sel:DWORD src1_sel:BYTE_1
	v_mov_b32_e32 v1, 0x7f800001
	v_and_b32_e32 v12, 0x7f, v10
	v_cmpx_ne_u32_e32 0x7f, v12
	s_cbranch_execz .LBB355_1784
; %bb.1781:                             ;   in Loop: Header=BB355_1571 Depth=1
	v_and_b32_e32 v10, 7, v10
	v_mov_b32_e32 v25, v11
	v_lshrrev_b32_e32 v1, 3, v12
	s_mov_b32 s21, exec_lo
	v_mov_b32_e32 v24, v10
	v_cmpx_gt_u32_e32 8, v12
; %bb.1782:                             ;   in Loop: Header=BB355_1571 Depth=1
	v_ffbh_u32_e32 v1, v10
	v_min_u32_e32 v1, 32, v1
	v_subrev_nc_u32_e32 v12, 28, v1
	v_sub_nc_u32_e32 v1, 29, v1
	v_lshlrev_b64 v[12:13], v12, v[10:11]
	v_and_b32_e32 v24, 7, v12
; %bb.1783:                             ;   in Loop: Header=BB355_1571 Depth=1
	s_or_b32 exec_lo, exec_lo, s21
	v_lshlrev_b32_e32 v10, 16, v19
	v_lshlrev_b32_e32 v12, 20, v24
	v_lshl_add_u32 v1, v1, 23, 0x3c000000
	v_and_b32_e32 v10, 0x80000000, v10
	v_or3_b32 v1, v12, v10, v1
.LBB355_1784:                           ;   in Loop: Header=BB355_1571 Depth=1
	s_or_b32 exec_lo, exec_lo, s20
.LBB355_1785:                           ;   in Loop: Header=BB355_1571 Depth=1
	s_or_b32 exec_lo, exec_lo, s19
.LBB355_1786:                           ;   in Loop: Header=BB355_1571 Depth=1
	s_or_b32 exec_lo, exec_lo, s18
	v_and_b32_sdwa v10, v19, v99 dst_sel:DWORD dst_unused:UNUSED_PAD src0_sel:WORD_1 src1_sel:DWORD
	v_mov_b32_e32 v13, 0
	v_mov_b32_e32 v12, 0
	s_mov_b32 s18, exec_lo
	v_cmpx_ne_u16_e32 0, v10
	s_cbranch_execz .LBB355_1794
; %bb.1787:                             ;   in Loop: Header=BB355_1571 Depth=1
	v_bfrev_b32_e32 v12, 1
	s_mov_b32 s19, exec_lo
	v_cmpx_ne_u16_e32 0x80, v10
	s_cbranch_execz .LBB355_1793
; %bb.1788:                             ;   in Loop: Header=BB355_1571 Depth=1
	v_bfe_u32 v14, v19, 16, 7
	v_mov_b32_e32 v12, 0x7f800001
	s_mov_b32 s20, exec_lo
	v_cmpx_ne_u32_e32 0x7f, v14
	s_cbranch_execz .LBB355_1792
; %bb.1789:                             ;   in Loop: Header=BB355_1571 Depth=1
	v_mov_b32_e32 v10, 7
	v_lshrrev_b32_e32 v12, 3, v14
	s_mov_b32 s21, exec_lo
	v_and_b32_sdwa v10, v19, v10 dst_sel:DWORD dst_unused:UNUSED_PAD src0_sel:WORD_1 src1_sel:DWORD
	v_mov_b32_e32 v25, v11
	v_mov_b32_e32 v24, v10
	v_cmpx_gt_u32_e32 8, v14
; %bb.1790:                             ;   in Loop: Header=BB355_1571 Depth=1
	v_ffbh_u32_e32 v12, v10
	v_min_u32_e32 v12, 32, v12
	v_subrev_nc_u32_e32 v14, 28, v12
	v_sub_nc_u32_e32 v12, 29, v12
	v_lshlrev_b64 v[21:22], v14, v[10:11]
	v_and_b32_e32 v24, 7, v21
; %bb.1791:                             ;   in Loop: Header=BB355_1571 Depth=1
	s_or_b32 exec_lo, exec_lo, s21
	v_mov_b32_e32 v10, 24
	v_lshlrev_b32_e32 v14, 20, v24
	v_lshl_add_u32 v12, v12, 23, 0x3c000000
	v_lshlrev_b32_sdwa v10, v10, v19 dst_sel:DWORD dst_unused:UNUSED_PAD src0_sel:DWORD src1_sel:WORD_1
	v_and_b32_e32 v10, 0x80000000, v10
	v_or3_b32 v12, v14, v10, v12
.LBB355_1792:                           ;   in Loop: Header=BB355_1571 Depth=1
	s_or_b32 exec_lo, exec_lo, s20
.LBB355_1793:                           ;   in Loop: Header=BB355_1571 Depth=1
	s_or_b32 exec_lo, exec_lo, s19
.LBB355_1794:                           ;   in Loop: Header=BB355_1571 Depth=1
	s_or_b32 exec_lo, exec_lo, s18
	s_mov_b32 s18, exec_lo
	v_cmpx_lt_u32_e32 0xffffff, v19
	s_cbranch_execz .LBB355_1802
; %bb.1795:                             ;   in Loop: Header=BB355_1571 Depth=1
	v_cmp_ne_u32_sdwa s4, v19, v97 src0_sel:BYTE_3 src1_sel:DWORD
	v_bfrev_b32_e32 v13, 1
	s_and_saveexec_b32 s19, s4
	s_cbranch_execz .LBB355_1801
; %bb.1796:                             ;   in Loop: Header=BB355_1571 Depth=1
	v_bfe_u32 v14, v19, 24, 7
	v_mov_b32_e32 v13, 0x7f800001
	s_mov_b32 s20, exec_lo
	v_cmpx_ne_u32_e32 0x7f, v14
	s_cbranch_execz .LBB355_1800
; %bb.1797:                             ;   in Loop: Header=BB355_1571 Depth=1
	v_mov_b32_e32 v10, 7
	v_lshrrev_b32_e32 v13, 3, v14
	s_mov_b32 s21, exec_lo
	v_and_b32_sdwa v10, v19, v10 dst_sel:DWORD dst_unused:UNUSED_PAD src0_sel:BYTE_3 src1_sel:DWORD
	v_mov_b32_e32 v25, v11
	v_mov_b32_e32 v24, v10
	v_cmpx_gt_u32_e32 8, v14
; %bb.1798:                             ;   in Loop: Header=BB355_1571 Depth=1
	v_ffbh_u32_e32 v13, v10
	v_min_u32_e32 v13, 32, v13
	v_subrev_nc_u32_e32 v14, 28, v13
	v_sub_nc_u32_e32 v13, 29, v13
	v_lshlrev_b64 v[21:22], v14, v[10:11]
	v_and_b32_e32 v24, 7, v21
; %bb.1799:                             ;   in Loop: Header=BB355_1571 Depth=1
	s_or_b32 exec_lo, exec_lo, s21
	v_mov_b32_e32 v10, 24
	v_lshlrev_b32_e32 v14, 20, v24
	v_lshl_add_u32 v13, v13, 23, 0x3c000000
	v_lshlrev_b32_sdwa v10, v10, v19 dst_sel:DWORD dst_unused:UNUSED_PAD src0_sel:DWORD src1_sel:BYTE_3
	v_and_b32_e32 v10, 0x80000000, v10
	v_or3_b32 v13, v14, v10, v13
.LBB355_1800:                           ;   in Loop: Header=BB355_1571 Depth=1
	s_or_b32 exec_lo, exec_lo, s20
.LBB355_1801:                           ;   in Loop: Header=BB355_1571 Depth=1
	s_or_b32 exec_lo, exec_lo, s19
.LBB355_1802:                           ;   in Loop: Header=BB355_1571 Depth=1
	s_or_b32 exec_lo, exec_lo, s18
	v_mov_b32_e32 v10, v20
	v_cmp_ne_u16_sdwa s4, v20, v11 src0_sel:BYTE_0 src1_sel:DWORD
	v_mov_b32_e32 v18, 0
	v_mov_b32_e32 v14, 0
	s_and_saveexec_b32 s18, s4
	s_cbranch_execz .LBB355_1810
; %bb.1803:                             ;   in Loop: Header=BB355_1571 Depth=1
	v_cmp_ne_u16_sdwa s4, v20, v97 src0_sel:BYTE_0 src1_sel:DWORD
	v_bfrev_b32_e32 v14, 1
	s_and_saveexec_b32 s19, s4
	s_cbranch_execz .LBB355_1809
; %bb.1804:                             ;   in Loop: Header=BB355_1571 Depth=1
	v_and_b32_e32 v21, 0x7f, v20
	v_mov_b32_e32 v14, 0x7f800001
	s_mov_b32 s20, exec_lo
	v_cmpx_ne_u32_e32 0x7f, v21
	s_cbranch_execz .LBB355_1808
; %bb.1805:                             ;   in Loop: Header=BB355_1571 Depth=1
	v_mov_b32_e32 v25, v11
	v_lshrrev_b32_e32 v14, 3, v21
	v_mov_b32_e32 v24, v10
	s_mov_b32 s21, exec_lo
	v_cmpx_gt_u32_e32 8, v21
; %bb.1806:                             ;   in Loop: Header=BB355_1571 Depth=1
	v_and_b32_e32 v14, 7, v20
	v_ffbh_u32_e32 v14, v14
	v_min_u32_e32 v14, 32, v14
	v_subrev_nc_u32_e32 v21, 28, v14
	v_sub_nc_u32_e32 v14, 29, v14
	v_lshlrev_b64 v[24:25], v21, v[10:11]
; %bb.1807:                             ;   in Loop: Header=BB355_1571 Depth=1
	s_or_b32 exec_lo, exec_lo, s21
	v_lshlrev_b32_e32 v21, 20, v24
	v_lshlrev_b32_e32 v22, 24, v10
	v_lshl_add_u32 v14, v14, 23, 0x3c000000
	v_and_b32_e32 v21, 0x700000, v21
	v_and_b32_e32 v22, 0x80000000, v22
	v_or3_b32 v14, v21, v22, v14
.LBB355_1808:                           ;   in Loop: Header=BB355_1571 Depth=1
	s_or_b32 exec_lo, exec_lo, s20
.LBB355_1809:                           ;   in Loop: Header=BB355_1571 Depth=1
	s_or_b32 exec_lo, exec_lo, s19
.LBB355_1810:                           ;   in Loop: Header=BB355_1571 Depth=1
	s_or_b32 exec_lo, exec_lo, s18
	v_cmp_ne_u16_sdwa s4, v10, v11 src0_sel:BYTE_1 src1_sel:DWORD
	s_and_saveexec_b32 s18, s4
	s_cbranch_execz .LBB355_1818
; %bb.1811:                             ;   in Loop: Header=BB355_1571 Depth=1
	v_cmp_ne_u16_sdwa s4, v10, v97 src0_sel:BYTE_1 src1_sel:DWORD
	v_bfrev_b32_e32 v18, 1
	s_and_saveexec_b32 s19, s4
	s_cbranch_execz .LBB355_1817
; %bb.1812:                             ;   in Loop: Header=BB355_1571 Depth=1
	v_mov_b32_e32 v18, 0xffff
	s_mov_b32 s20, exec_lo
	v_and_b32_sdwa v22, v18, v10 dst_sel:DWORD dst_unused:UNUSED_PAD src0_sel:DWORD src1_sel:BYTE_1
	v_mov_b32_e32 v18, 0x7f800001
	v_and_b32_e32 v21, 0x7f, v22
	v_cmpx_ne_u32_e32 0x7f, v21
	s_cbranch_execz .LBB355_1816
; %bb.1813:                             ;   in Loop: Header=BB355_1571 Depth=1
	v_and_b32_e32 v24, 7, v22
	v_mov_b32_e32 v25, v11
	v_lshrrev_b32_e32 v18, 3, v21
	s_mov_b32 s21, exec_lo
	v_cmpx_gt_u32_e32 8, v21
; %bb.1814:                             ;   in Loop: Header=BB355_1571 Depth=1
	v_ffbh_u32_e32 v18, v24
	v_min_u32_e32 v18, 32, v18
	v_subrev_nc_u32_e32 v21, 28, v18
	v_sub_nc_u32_e32 v18, 29, v18
	v_lshlrev_b64 v[21:22], v21, v[24:25]
	v_and_b32_e32 v24, 7, v21
; %bb.1815:                             ;   in Loop: Header=BB355_1571 Depth=1
	s_or_b32 exec_lo, exec_lo, s21
	v_lshlrev_b32_e32 v10, 16, v10
	v_lshlrev_b32_e32 v21, 20, v24
	v_lshl_add_u32 v18, v18, 23, 0x3c000000
	v_and_b32_e32 v10, 0x80000000, v10
	v_or3_b32 v18, v21, v10, v18
.LBB355_1816:                           ;   in Loop: Header=BB355_1571 Depth=1
	s_or_b32 exec_lo, exec_lo, s20
.LBB355_1817:                           ;   in Loop: Header=BB355_1571 Depth=1
	s_or_b32 exec_lo, exec_lo, s19
.LBB355_1818:                           ;   in Loop: Header=BB355_1571 Depth=1
	s_or_b32 exec_lo, exec_lo, s18
	v_and_b32_sdwa v10, v20, v99 dst_sel:DWORD dst_unused:UNUSED_PAD src0_sel:WORD_1 src1_sel:DWORD
	v_mov_b32_e32 v21, 0
	v_mov_b32_e32 v22, 0
	s_mov_b32 s18, exec_lo
	v_cmpx_ne_u16_e32 0, v10
	s_cbranch_execz .LBB355_1826
; %bb.1819:                             ;   in Loop: Header=BB355_1571 Depth=1
	v_bfrev_b32_e32 v22, 1
	s_mov_b32 s19, exec_lo
	v_cmpx_ne_u16_e32 0x80, v10
	s_cbranch_execz .LBB355_1825
; %bb.1820:                             ;   in Loop: Header=BB355_1571 Depth=1
	v_bfe_u32 v23, v20, 16, 7
	v_mov_b32_e32 v22, 0x7f800001
	s_mov_b32 s20, exec_lo
	v_cmpx_ne_u32_e32 0x7f, v23
	s_cbranch_execz .LBB355_1824
; %bb.1821:                             ;   in Loop: Header=BB355_1571 Depth=1
	v_mov_b32_e32 v10, 7
	v_lshrrev_b32_e32 v22, 3, v23
	s_mov_b32 s21, exec_lo
	v_and_b32_sdwa v10, v20, v10 dst_sel:DWORD dst_unused:UNUSED_PAD src0_sel:WORD_1 src1_sel:DWORD
	v_mov_b32_e32 v25, v11
	v_mov_b32_e32 v24, v10
	v_cmpx_gt_u32_e32 8, v23
; %bb.1822:                             ;   in Loop: Header=BB355_1571 Depth=1
	v_ffbh_u32_e32 v22, v10
	v_min_u32_e32 v22, 32, v22
	v_subrev_nc_u32_e32 v23, 28, v22
	v_sub_nc_u32_e32 v22, 29, v22
	v_lshlrev_b64 v[23:24], v23, v[10:11]
	v_and_b32_e32 v24, 7, v23
; %bb.1823:                             ;   in Loop: Header=BB355_1571 Depth=1
	s_or_b32 exec_lo, exec_lo, s21
	v_mov_b32_e32 v10, 24
	v_lshlrev_b32_e32 v23, 20, v24
	v_lshl_add_u32 v22, v22, 23, 0x3c000000
	v_lshlrev_b32_sdwa v10, v10, v20 dst_sel:DWORD dst_unused:UNUSED_PAD src0_sel:DWORD src1_sel:WORD_1
	v_and_b32_e32 v10, 0x80000000, v10
	v_or3_b32 v22, v23, v10, v22
.LBB355_1824:                           ;   in Loop: Header=BB355_1571 Depth=1
	s_or_b32 exec_lo, exec_lo, s20
.LBB355_1825:                           ;   in Loop: Header=BB355_1571 Depth=1
	s_or_b32 exec_lo, exec_lo, s19
.LBB355_1826:                           ;   in Loop: Header=BB355_1571 Depth=1
	s_or_b32 exec_lo, exec_lo, s18
	s_mov_b32 s18, exec_lo
	v_cmpx_lt_u64_e64 s[6:7], v[19:20]
	s_cbranch_execz .LBB355_1834
; %bb.1827:                             ;   in Loop: Header=BB355_1571 Depth=1
	v_cmp_ne_u32_sdwa s4, v20, v97 src0_sel:BYTE_3 src1_sel:DWORD
	v_bfrev_b32_e32 v21, 1
	s_and_saveexec_b32 s19, s4
	s_cbranch_execz .LBB355_1833
; %bb.1828:                             ;   in Loop: Header=BB355_1571 Depth=1
	v_bfe_u32 v23, v20, 24, 7
	v_mov_b32_e32 v21, 0x7f800001
	s_mov_b32 s20, exec_lo
	v_cmpx_ne_u32_e32 0x7f, v23
	s_cbranch_execz .LBB355_1832
; %bb.1829:                             ;   in Loop: Header=BB355_1571 Depth=1
	v_mov_b32_e32 v10, 7
	v_lshrrev_b32_e32 v19, 3, v23
	s_mov_b32 s21, exec_lo
	v_and_b32_sdwa v10, v20, v10 dst_sel:DWORD dst_unused:UNUSED_PAD src0_sel:BYTE_3 src1_sel:DWORD
	v_mov_b32_e32 v25, v11
	v_mov_b32_e32 v24, v10
	v_cmpx_gt_u32_e32 8, v23
; %bb.1830:                             ;   in Loop: Header=BB355_1571 Depth=1
	v_ffbh_u32_e32 v19, v10
	v_min_u32_e32 v19, 32, v19
	v_subrev_nc_u32_e32 v21, 28, v19
	v_sub_nc_u32_e32 v19, 29, v19
	v_lshlrev_b64 v[23:24], v21, v[10:11]
	v_and_b32_e32 v24, 7, v23
; %bb.1831:                             ;   in Loop: Header=BB355_1571 Depth=1
	s_or_b32 exec_lo, exec_lo, s21
	v_mov_b32_e32 v10, 24
	v_lshl_add_u32 v19, v19, 23, 0x3c000000
	v_lshlrev_b32_sdwa v10, v10, v20 dst_sel:DWORD dst_unused:UNUSED_PAD src0_sel:DWORD src1_sel:BYTE_3
	v_lshlrev_b32_e32 v20, 20, v24
	v_and_b32_e32 v10, 0x80000000, v10
	v_or3_b32 v21, v20, v10, v19
.LBB355_1832:                           ;   in Loop: Header=BB355_1571 Depth=1
	s_or_b32 exec_lo, exec_lo, s20
.LBB355_1833:                           ;   in Loop: Header=BB355_1571 Depth=1
	s_or_b32 exec_lo, exec_lo, s19
.LBB355_1834:                           ;   in Loop: Header=BB355_1571 Depth=1
	s_or_b32 exec_lo, exec_lo, s18
	v_mul_f32_e32 v10, v111, v18
	v_mul_f32_e32 v14, v111, v14
	v_mul_f32_e32 v13, v111, v13
	v_mul_f32_e32 v12, v111, v12
	v_mul_f32_e32 v1, v111, v1
	v_bfe_u32 v18, v10, 16, 1
	v_or_b32_e32 v19, 0x400000, v10
	v_bfe_u32 v20, v14, 16, 1
	v_cmp_u_f32_e64 s4, v10, v10
	v_or_b32_e32 v23, 0x400000, v14
	v_add3_u32 v18, v18, v10, 0x7fff
	v_bfe_u32 v24, v13, 16, 1
	v_add3_u32 v20, v20, v14, 0x7fff
	v_or_b32_e32 v25, 0x400000, v13
	v_bfe_u32 v26, v12, 16, 1
	v_cndmask_b32_e64 v10, v18, v19, s4
	v_cmp_u_f32_e64 s4, v14, v14
	v_add3_u32 v24, v24, v13, 0x7fff
	v_or_b32_e32 v18, 0x400000, v12
	v_mul_f32_e32 v0, v111, v0
	v_lshrrev_b32_e32 v10, 16, v10
	v_cndmask_b32_e64 v14, v20, v23, s4
	v_cmp_u_f32_e64 s4, v13, v13
	v_bfe_u32 v19, v0, 16, 1
	buffer_store_dword v10, off, s[0:3], s32 offset:332 ; 4-byte Folded Spill
	v_add3_u32 v10, v26, v12, 0x7fff
	v_cndmask_b32_e64 v13, v24, v25, s4
	v_lshrrev_b32_e32 v14, 16, v14
	v_cmp_u_f32_e64 s4, v12, v12
	v_mul_f32_e32 v12, v111, v22
	v_lshrrev_b32_e32 v13, 16, v13
	buffer_store_dword v14, off, s[0:3], s32 offset:328 ; 4-byte Folded Spill
	v_cndmask_b32_e64 v10, v10, v18, s4
	v_or_b32_e32 v14, 0x400000, v1
	v_cmp_u_f32_e64 s4, v1, v1
	buffer_store_dword v13, off, s[0:3], s32 offset:340 ; 4-byte Folded Spill
	v_bfe_u32 v13, v1, 16, 1
	v_mul_f32_e32 v18, v111, v21
	v_bfe_u32 v20, v12, 16, 1
	v_or_b32_e32 v21, 0x400000, v12
	v_lshrrev_b32_e32 v10, 16, v10
	v_add3_u32 v13, v13, v1, 0x7fff
	v_or_b32_e32 v22, 0x400000, v18
	v_add3_u32 v20, v20, v12, 0x7fff
	buffer_store_dword v10, off, s[0:3], s32 offset:336 ; 4-byte Folded Spill
	v_cndmask_b32_e64 v1, v13, v14, s4
	v_add3_u32 v14, v19, v0, 0x7fff
	v_or_b32_e32 v19, 0x400000, v0
	v_cmp_u_f32_e64 s4, v0, v0
	v_bfe_u32 v13, v18, 16, 1
	v_lshrrev_b32_e32 v1, 16, v1
	v_cndmask_b32_e64 v0, v14, v19, s4
	v_cmp_u_f32_e64 s4, v12, v12
	v_add3_u32 v13, v13, v18, 0x7fff
	buffer_store_dword v1, off, s[0:3], s32 offset:348 ; 4-byte Folded Spill
	v_lshrrev_b32_e32 v0, 16, v0
	v_cndmask_b32_e64 v12, v20, v21, s4
	v_cmp_u_f32_e64 s4, v18, v18
	buffer_store_dword v0, off, s[0:3], s32 offset:344 ; 4-byte Folded Spill
	v_lshrrev_b32_e32 v0, 16, v12
	v_cndmask_b32_e64 v13, v13, v22, s4
	buffer_store_dword v0, off, s[0:3], s32 offset:320 ; 4-byte Folded Spill
	v_lshrrev_b32_e32 v0, 16, v13
	buffer_store_dword v0, off, s[0:3], s32 offset:324 ; 4-byte Folded Spill
	s_and_saveexec_b32 s18, vcc_lo
	s_cbranch_execz .LBB355_1836
; %bb.1835:                             ;   in Loop: Header=BB355_1571 Depth=1
	buffer_load_dword v0, off, s[0:3], s32 offset:344 ; 4-byte Folded Reload
	v_cmp_lt_i32_e64 s4, v109, v123
	s_waitcnt vmcnt(0)
	v_cndmask_b32_e64 v0, 0, v0, s4
	v_cmp_lt_i32_e64 s4, v74, v123
	buffer_store_dword v0, off, s[0:3], s32 offset:344 ; 4-byte Folded Spill
	buffer_load_dword v0, off, s[0:3], s32 offset:348 ; 4-byte Folded Reload
	s_waitcnt vmcnt(0)
	v_cndmask_b32_e64 v0, 0, v0, s4
	v_cmp_lt_i32_e64 s4, v35, v123
	buffer_store_dword v0, off, s[0:3], s32 offset:348 ; 4-byte Folded Spill
	buffer_load_dword v0, off, s[0:3], s32 offset:336 ; 4-byte Folded Reload
	;; [unrolled: 5-line block ×7, first 2 shown]
	s_waitcnt vmcnt(0)
	v_cndmask_b32_e64 v0, 0, v0, s4
	buffer_store_dword v0, off, s[0:3], s32 offset:324 ; 4-byte Folded Spill
.LBB355_1836:                           ;   in Loop: Header=BB355_1571 Depth=1
	s_or_b32 exec_lo, exec_lo, s18
	flat_load_dwordx2 v[19:20], v[16:17] offset:1024
	v_mov_b32_e32 v1, 0
	v_mov_b32_e32 v0, 0
	s_waitcnt vmcnt(0) lgkmcnt(0)
	v_cmp_ne_u16_sdwa s4, v19, v11 src0_sel:BYTE_0 src1_sel:DWORD
	s_and_saveexec_b32 s18, s4
	s_cbranch_execz .LBB355_1844
; %bb.1837:                             ;   in Loop: Header=BB355_1571 Depth=1
	v_cmp_ne_u16_sdwa s4, v19, v97 src0_sel:BYTE_0 src1_sel:DWORD
	v_bfrev_b32_e32 v0, 1
	s_and_saveexec_b32 s19, s4
	s_cbranch_execz .LBB355_1843
; %bb.1838:                             ;   in Loop: Header=BB355_1571 Depth=1
	v_and_b32_e32 v10, 0x7f, v19
	v_mov_b32_e32 v0, 0x7f800001
	s_mov_b32 s20, exec_lo
	v_cmpx_ne_u32_e32 0x7f, v10
	s_cbranch_execz .LBB355_1842
; %bb.1839:                             ;   in Loop: Header=BB355_1571 Depth=1
	v_mov_b32_e32 v25, v20
	v_lshrrev_b32_e32 v0, 3, v10
	v_mov_b32_e32 v24, v19
	s_mov_b32 s21, exec_lo
	v_cmpx_gt_u32_e32 8, v10
; %bb.1840:                             ;   in Loop: Header=BB355_1571 Depth=1
	v_and_b32_e32 v0, 7, v19
	v_ffbh_u32_e32 v0, v0
	v_min_u32_e32 v0, 32, v0
	v_subrev_nc_u32_e32 v10, 28, v0
	v_sub_nc_u32_e32 v0, 29, v0
	v_lshlrev_b64 v[24:25], v10, v[19:20]
; %bb.1841:                             ;   in Loop: Header=BB355_1571 Depth=1
	s_or_b32 exec_lo, exec_lo, s21
	v_lshlrev_b32_e32 v10, 20, v24
	v_lshlrev_b32_e32 v12, 24, v19
	v_lshl_add_u32 v0, v0, 23, 0x3c000000
	v_and_b32_e32 v10, 0x700000, v10
	v_and_b32_e32 v12, 0x80000000, v12
	v_or3_b32 v0, v10, v12, v0
.LBB355_1842:                           ;   in Loop: Header=BB355_1571 Depth=1
	s_or_b32 exec_lo, exec_lo, s20
.LBB355_1843:                           ;   in Loop: Header=BB355_1571 Depth=1
	s_or_b32 exec_lo, exec_lo, s19
.LBB355_1844:                           ;   in Loop: Header=BB355_1571 Depth=1
	s_or_b32 exec_lo, exec_lo, s18
	v_cmp_ne_u16_sdwa s4, v19, v11 src0_sel:BYTE_1 src1_sel:DWORD
	s_and_saveexec_b32 s18, s4
	s_cbranch_execz .LBB355_1852
; %bb.1845:                             ;   in Loop: Header=BB355_1571 Depth=1
	v_cmp_ne_u16_sdwa s4, v19, v97 src0_sel:BYTE_1 src1_sel:DWORD
	v_bfrev_b32_e32 v1, 1
	s_and_saveexec_b32 s19, s4
	s_cbranch_execz .LBB355_1851
; %bb.1846:                             ;   in Loop: Header=BB355_1571 Depth=1
	v_mov_b32_e32 v1, 0xffff
	s_mov_b32 s20, exec_lo
	v_and_b32_sdwa v10, v1, v19 dst_sel:DWORD dst_unused:UNUSED_PAD src0_sel:DWORD src1_sel:BYTE_1
	v_mov_b32_e32 v1, 0x7f800001
	v_and_b32_e32 v12, 0x7f, v10
	v_cmpx_ne_u32_e32 0x7f, v12
	s_cbranch_execz .LBB355_1850
; %bb.1847:                             ;   in Loop: Header=BB355_1571 Depth=1
	v_and_b32_e32 v10, 7, v10
	v_mov_b32_e32 v25, v11
	v_lshrrev_b32_e32 v1, 3, v12
	s_mov_b32 s21, exec_lo
	v_mov_b32_e32 v24, v10
	v_cmpx_gt_u32_e32 8, v12
; %bb.1848:                             ;   in Loop: Header=BB355_1571 Depth=1
	v_ffbh_u32_e32 v1, v10
	v_min_u32_e32 v1, 32, v1
	v_subrev_nc_u32_e32 v12, 28, v1
	v_sub_nc_u32_e32 v1, 29, v1
	v_lshlrev_b64 v[12:13], v12, v[10:11]
	v_and_b32_e32 v24, 7, v12
; %bb.1849:                             ;   in Loop: Header=BB355_1571 Depth=1
	s_or_b32 exec_lo, exec_lo, s21
	v_lshlrev_b32_e32 v10, 16, v19
	v_lshlrev_b32_e32 v12, 20, v24
	v_lshl_add_u32 v1, v1, 23, 0x3c000000
	v_and_b32_e32 v10, 0x80000000, v10
	v_or3_b32 v1, v12, v10, v1
.LBB355_1850:                           ;   in Loop: Header=BB355_1571 Depth=1
	s_or_b32 exec_lo, exec_lo, s20
.LBB355_1851:                           ;   in Loop: Header=BB355_1571 Depth=1
	s_or_b32 exec_lo, exec_lo, s19
.LBB355_1852:                           ;   in Loop: Header=BB355_1571 Depth=1
	s_or_b32 exec_lo, exec_lo, s18
	v_and_b32_sdwa v10, v19, v99 dst_sel:DWORD dst_unused:UNUSED_PAD src0_sel:WORD_1 src1_sel:DWORD
	v_mov_b32_e32 v13, 0
	v_mov_b32_e32 v12, 0
	s_mov_b32 s18, exec_lo
	v_cmpx_ne_u16_e32 0, v10
	s_cbranch_execz .LBB355_1860
; %bb.1853:                             ;   in Loop: Header=BB355_1571 Depth=1
	v_bfrev_b32_e32 v12, 1
	s_mov_b32 s19, exec_lo
	v_cmpx_ne_u16_e32 0x80, v10
	s_cbranch_execz .LBB355_1859
; %bb.1854:                             ;   in Loop: Header=BB355_1571 Depth=1
	v_bfe_u32 v14, v19, 16, 7
	v_mov_b32_e32 v12, 0x7f800001
	s_mov_b32 s20, exec_lo
	v_cmpx_ne_u32_e32 0x7f, v14
	s_cbranch_execz .LBB355_1858
; %bb.1855:                             ;   in Loop: Header=BB355_1571 Depth=1
	v_mov_b32_e32 v10, 7
	v_lshrrev_b32_e32 v12, 3, v14
	s_mov_b32 s21, exec_lo
	v_and_b32_sdwa v10, v19, v10 dst_sel:DWORD dst_unused:UNUSED_PAD src0_sel:WORD_1 src1_sel:DWORD
	v_mov_b32_e32 v25, v11
	v_mov_b32_e32 v24, v10
	v_cmpx_gt_u32_e32 8, v14
; %bb.1856:                             ;   in Loop: Header=BB355_1571 Depth=1
	v_ffbh_u32_e32 v12, v10
	v_min_u32_e32 v12, 32, v12
	v_subrev_nc_u32_e32 v14, 28, v12
	v_sub_nc_u32_e32 v12, 29, v12
	v_lshlrev_b64 v[21:22], v14, v[10:11]
	v_and_b32_e32 v24, 7, v21
; %bb.1857:                             ;   in Loop: Header=BB355_1571 Depth=1
	s_or_b32 exec_lo, exec_lo, s21
	v_mov_b32_e32 v10, 24
	v_lshlrev_b32_e32 v14, 20, v24
	v_lshl_add_u32 v12, v12, 23, 0x3c000000
	v_lshlrev_b32_sdwa v10, v10, v19 dst_sel:DWORD dst_unused:UNUSED_PAD src0_sel:DWORD src1_sel:WORD_1
	v_and_b32_e32 v10, 0x80000000, v10
	v_or3_b32 v12, v14, v10, v12
.LBB355_1858:                           ;   in Loop: Header=BB355_1571 Depth=1
	s_or_b32 exec_lo, exec_lo, s20
.LBB355_1859:                           ;   in Loop: Header=BB355_1571 Depth=1
	s_or_b32 exec_lo, exec_lo, s19
.LBB355_1860:                           ;   in Loop: Header=BB355_1571 Depth=1
	s_or_b32 exec_lo, exec_lo, s18
	s_mov_b32 s18, exec_lo
	v_cmpx_lt_u32_e32 0xffffff, v19
	s_cbranch_execz .LBB355_1868
; %bb.1861:                             ;   in Loop: Header=BB355_1571 Depth=1
	v_cmp_ne_u32_sdwa s4, v19, v97 src0_sel:BYTE_3 src1_sel:DWORD
	v_bfrev_b32_e32 v13, 1
	s_and_saveexec_b32 s19, s4
	s_cbranch_execz .LBB355_1867
; %bb.1862:                             ;   in Loop: Header=BB355_1571 Depth=1
	v_bfe_u32 v14, v19, 24, 7
	v_mov_b32_e32 v13, 0x7f800001
	s_mov_b32 s20, exec_lo
	v_cmpx_ne_u32_e32 0x7f, v14
	s_cbranch_execz .LBB355_1866
; %bb.1863:                             ;   in Loop: Header=BB355_1571 Depth=1
	v_mov_b32_e32 v10, 7
	v_lshrrev_b32_e32 v13, 3, v14
	s_mov_b32 s21, exec_lo
	v_and_b32_sdwa v10, v19, v10 dst_sel:DWORD dst_unused:UNUSED_PAD src0_sel:BYTE_3 src1_sel:DWORD
	v_mov_b32_e32 v25, v11
	v_mov_b32_e32 v24, v10
	v_cmpx_gt_u32_e32 8, v14
; %bb.1864:                             ;   in Loop: Header=BB355_1571 Depth=1
	v_ffbh_u32_e32 v13, v10
	v_min_u32_e32 v13, 32, v13
	v_subrev_nc_u32_e32 v14, 28, v13
	v_sub_nc_u32_e32 v13, 29, v13
	v_lshlrev_b64 v[21:22], v14, v[10:11]
	v_and_b32_e32 v24, 7, v21
; %bb.1865:                             ;   in Loop: Header=BB355_1571 Depth=1
	s_or_b32 exec_lo, exec_lo, s21
	v_mov_b32_e32 v10, 24
	v_lshlrev_b32_e32 v14, 20, v24
	v_lshl_add_u32 v13, v13, 23, 0x3c000000
	v_lshlrev_b32_sdwa v10, v10, v19 dst_sel:DWORD dst_unused:UNUSED_PAD src0_sel:DWORD src1_sel:BYTE_3
	v_and_b32_e32 v10, 0x80000000, v10
	v_or3_b32 v13, v14, v10, v13
.LBB355_1866:                           ;   in Loop: Header=BB355_1571 Depth=1
	s_or_b32 exec_lo, exec_lo, s20
.LBB355_1867:                           ;   in Loop: Header=BB355_1571 Depth=1
	s_or_b32 exec_lo, exec_lo, s19
.LBB355_1868:                           ;   in Loop: Header=BB355_1571 Depth=1
	s_or_b32 exec_lo, exec_lo, s18
	v_mov_b32_e32 v10, v20
	v_cmp_ne_u16_sdwa s4, v20, v11 src0_sel:BYTE_0 src1_sel:DWORD
	v_mov_b32_e32 v18, 0
	v_mov_b32_e32 v14, 0
	s_and_saveexec_b32 s18, s4
	s_cbranch_execz .LBB355_1876
; %bb.1869:                             ;   in Loop: Header=BB355_1571 Depth=1
	v_cmp_ne_u16_sdwa s4, v20, v97 src0_sel:BYTE_0 src1_sel:DWORD
	v_bfrev_b32_e32 v14, 1
	s_and_saveexec_b32 s19, s4
	s_cbranch_execz .LBB355_1875
; %bb.1870:                             ;   in Loop: Header=BB355_1571 Depth=1
	v_and_b32_e32 v21, 0x7f, v20
	v_mov_b32_e32 v14, 0x7f800001
	s_mov_b32 s20, exec_lo
	v_cmpx_ne_u32_e32 0x7f, v21
	s_cbranch_execz .LBB355_1874
; %bb.1871:                             ;   in Loop: Header=BB355_1571 Depth=1
	v_mov_b32_e32 v25, v11
	v_lshrrev_b32_e32 v14, 3, v21
	v_mov_b32_e32 v24, v10
	s_mov_b32 s21, exec_lo
	v_cmpx_gt_u32_e32 8, v21
; %bb.1872:                             ;   in Loop: Header=BB355_1571 Depth=1
	v_and_b32_e32 v14, 7, v20
	v_ffbh_u32_e32 v14, v14
	v_min_u32_e32 v14, 32, v14
	v_subrev_nc_u32_e32 v21, 28, v14
	v_sub_nc_u32_e32 v14, 29, v14
	v_lshlrev_b64 v[24:25], v21, v[10:11]
; %bb.1873:                             ;   in Loop: Header=BB355_1571 Depth=1
	s_or_b32 exec_lo, exec_lo, s21
	v_lshlrev_b32_e32 v21, 20, v24
	v_lshlrev_b32_e32 v22, 24, v10
	v_lshl_add_u32 v14, v14, 23, 0x3c000000
	v_and_b32_e32 v21, 0x700000, v21
	v_and_b32_e32 v22, 0x80000000, v22
	v_or3_b32 v14, v21, v22, v14
.LBB355_1874:                           ;   in Loop: Header=BB355_1571 Depth=1
	s_or_b32 exec_lo, exec_lo, s20
.LBB355_1875:                           ;   in Loop: Header=BB355_1571 Depth=1
	s_or_b32 exec_lo, exec_lo, s19
.LBB355_1876:                           ;   in Loop: Header=BB355_1571 Depth=1
	s_or_b32 exec_lo, exec_lo, s18
	v_cmp_ne_u16_sdwa s4, v10, v11 src0_sel:BYTE_1 src1_sel:DWORD
	s_and_saveexec_b32 s18, s4
	s_cbranch_execz .LBB355_1884
; %bb.1877:                             ;   in Loop: Header=BB355_1571 Depth=1
	v_cmp_ne_u16_sdwa s4, v10, v97 src0_sel:BYTE_1 src1_sel:DWORD
	v_bfrev_b32_e32 v18, 1
	s_and_saveexec_b32 s19, s4
	s_cbranch_execz .LBB355_1883
; %bb.1878:                             ;   in Loop: Header=BB355_1571 Depth=1
	v_mov_b32_e32 v18, 0xffff
	s_mov_b32 s20, exec_lo
	v_and_b32_sdwa v22, v18, v10 dst_sel:DWORD dst_unused:UNUSED_PAD src0_sel:DWORD src1_sel:BYTE_1
	v_mov_b32_e32 v18, 0x7f800001
	v_and_b32_e32 v21, 0x7f, v22
	v_cmpx_ne_u32_e32 0x7f, v21
	s_cbranch_execz .LBB355_1882
; %bb.1879:                             ;   in Loop: Header=BB355_1571 Depth=1
	v_and_b32_e32 v24, 7, v22
	v_mov_b32_e32 v25, v11
	v_lshrrev_b32_e32 v18, 3, v21
	s_mov_b32 s21, exec_lo
	v_cmpx_gt_u32_e32 8, v21
; %bb.1880:                             ;   in Loop: Header=BB355_1571 Depth=1
	v_ffbh_u32_e32 v18, v24
	v_min_u32_e32 v18, 32, v18
	v_subrev_nc_u32_e32 v21, 28, v18
	v_sub_nc_u32_e32 v18, 29, v18
	v_lshlrev_b64 v[21:22], v21, v[24:25]
	v_and_b32_e32 v24, 7, v21
; %bb.1881:                             ;   in Loop: Header=BB355_1571 Depth=1
	s_or_b32 exec_lo, exec_lo, s21
	v_lshlrev_b32_e32 v10, 16, v10
	v_lshlrev_b32_e32 v21, 20, v24
	v_lshl_add_u32 v18, v18, 23, 0x3c000000
	v_and_b32_e32 v10, 0x80000000, v10
	v_or3_b32 v18, v21, v10, v18
.LBB355_1882:                           ;   in Loop: Header=BB355_1571 Depth=1
	s_or_b32 exec_lo, exec_lo, s20
.LBB355_1883:                           ;   in Loop: Header=BB355_1571 Depth=1
	s_or_b32 exec_lo, exec_lo, s19
.LBB355_1884:                           ;   in Loop: Header=BB355_1571 Depth=1
	s_or_b32 exec_lo, exec_lo, s18
	v_and_b32_sdwa v10, v20, v99 dst_sel:DWORD dst_unused:UNUSED_PAD src0_sel:WORD_1 src1_sel:DWORD
	v_mov_b32_e32 v21, 0
	v_mov_b32_e32 v22, 0
	s_mov_b32 s18, exec_lo
	v_cmpx_ne_u16_e32 0, v10
	s_cbranch_execz .LBB355_1892
; %bb.1885:                             ;   in Loop: Header=BB355_1571 Depth=1
	v_bfrev_b32_e32 v22, 1
	s_mov_b32 s19, exec_lo
	v_cmpx_ne_u16_e32 0x80, v10
	s_cbranch_execz .LBB355_1891
; %bb.1886:                             ;   in Loop: Header=BB355_1571 Depth=1
	v_bfe_u32 v23, v20, 16, 7
	v_mov_b32_e32 v22, 0x7f800001
	s_mov_b32 s20, exec_lo
	v_cmpx_ne_u32_e32 0x7f, v23
	s_cbranch_execz .LBB355_1890
; %bb.1887:                             ;   in Loop: Header=BB355_1571 Depth=1
	v_mov_b32_e32 v10, 7
	v_lshrrev_b32_e32 v22, 3, v23
	s_mov_b32 s21, exec_lo
	v_and_b32_sdwa v10, v20, v10 dst_sel:DWORD dst_unused:UNUSED_PAD src0_sel:WORD_1 src1_sel:DWORD
	v_mov_b32_e32 v25, v11
	v_mov_b32_e32 v24, v10
	v_cmpx_gt_u32_e32 8, v23
; %bb.1888:                             ;   in Loop: Header=BB355_1571 Depth=1
	v_ffbh_u32_e32 v22, v10
	v_min_u32_e32 v22, 32, v22
	v_subrev_nc_u32_e32 v23, 28, v22
	v_sub_nc_u32_e32 v22, 29, v22
	v_lshlrev_b64 v[23:24], v23, v[10:11]
	v_and_b32_e32 v24, 7, v23
; %bb.1889:                             ;   in Loop: Header=BB355_1571 Depth=1
	s_or_b32 exec_lo, exec_lo, s21
	v_mov_b32_e32 v10, 24
	v_lshlrev_b32_e32 v23, 20, v24
	v_lshl_add_u32 v22, v22, 23, 0x3c000000
	v_lshlrev_b32_sdwa v10, v10, v20 dst_sel:DWORD dst_unused:UNUSED_PAD src0_sel:DWORD src1_sel:WORD_1
	v_and_b32_e32 v10, 0x80000000, v10
	v_or3_b32 v22, v23, v10, v22
.LBB355_1890:                           ;   in Loop: Header=BB355_1571 Depth=1
	s_or_b32 exec_lo, exec_lo, s20
.LBB355_1891:                           ;   in Loop: Header=BB355_1571 Depth=1
	s_or_b32 exec_lo, exec_lo, s19
.LBB355_1892:                           ;   in Loop: Header=BB355_1571 Depth=1
	s_or_b32 exec_lo, exec_lo, s18
	s_mov_b32 s18, exec_lo
	v_cmpx_lt_u64_e64 s[6:7], v[19:20]
	s_cbranch_execz .LBB355_1900
; %bb.1893:                             ;   in Loop: Header=BB355_1571 Depth=1
	v_cmp_ne_u32_sdwa s4, v20, v97 src0_sel:BYTE_3 src1_sel:DWORD
	v_bfrev_b32_e32 v21, 1
	s_and_saveexec_b32 s19, s4
	s_cbranch_execz .LBB355_1899
; %bb.1894:                             ;   in Loop: Header=BB355_1571 Depth=1
	v_bfe_u32 v23, v20, 24, 7
	v_mov_b32_e32 v21, 0x7f800001
	s_mov_b32 s20, exec_lo
	v_cmpx_ne_u32_e32 0x7f, v23
	s_cbranch_execz .LBB355_1898
; %bb.1895:                             ;   in Loop: Header=BB355_1571 Depth=1
	v_mov_b32_e32 v10, 7
	v_lshrrev_b32_e32 v19, 3, v23
	s_mov_b32 s21, exec_lo
	v_and_b32_sdwa v10, v20, v10 dst_sel:DWORD dst_unused:UNUSED_PAD src0_sel:BYTE_3 src1_sel:DWORD
	v_mov_b32_e32 v25, v11
	v_mov_b32_e32 v24, v10
	v_cmpx_gt_u32_e32 8, v23
; %bb.1896:                             ;   in Loop: Header=BB355_1571 Depth=1
	v_ffbh_u32_e32 v19, v10
	v_min_u32_e32 v19, 32, v19
	v_subrev_nc_u32_e32 v21, 28, v19
	v_sub_nc_u32_e32 v19, 29, v19
	v_lshlrev_b64 v[23:24], v21, v[10:11]
	v_and_b32_e32 v24, 7, v23
; %bb.1897:                             ;   in Loop: Header=BB355_1571 Depth=1
	s_or_b32 exec_lo, exec_lo, s21
	v_mov_b32_e32 v10, 24
	v_lshl_add_u32 v19, v19, 23, 0x3c000000
	v_lshlrev_b32_sdwa v10, v10, v20 dst_sel:DWORD dst_unused:UNUSED_PAD src0_sel:DWORD src1_sel:BYTE_3
	v_lshlrev_b32_e32 v20, 20, v24
	v_and_b32_e32 v10, 0x80000000, v10
	v_or3_b32 v21, v20, v10, v19
.LBB355_1898:                           ;   in Loop: Header=BB355_1571 Depth=1
	s_or_b32 exec_lo, exec_lo, s20
.LBB355_1899:                           ;   in Loop: Header=BB355_1571 Depth=1
	s_or_b32 exec_lo, exec_lo, s19
.LBB355_1900:                           ;   in Loop: Header=BB355_1571 Depth=1
	s_or_b32 exec_lo, exec_lo, s18
	v_mul_f32_e32 v10, v111, v18
	v_mul_f32_e32 v14, v111, v14
	;; [unrolled: 1-line block ×5, first 2 shown]
	v_bfe_u32 v18, v10, 16, 1
	v_or_b32_e32 v19, 0x400000, v10
	v_bfe_u32 v20, v14, 16, 1
	v_cmp_u_f32_e64 s4, v10, v10
	v_or_b32_e32 v23, 0x400000, v14
	v_add3_u32 v18, v18, v10, 0x7fff
	v_bfe_u32 v24, v13, 16, 1
	v_add3_u32 v20, v20, v14, 0x7fff
	v_or_b32_e32 v25, 0x400000, v13
	v_bfe_u32 v26, v12, 16, 1
	v_cndmask_b32_e64 v10, v18, v19, s4
	v_cmp_u_f32_e64 s4, v14, v14
	v_add3_u32 v24, v24, v13, 0x7fff
	v_or_b32_e32 v18, 0x400000, v12
	v_mul_f32_e32 v0, v111, v0
	v_lshrrev_b32_e32 v10, 16, v10
	v_cndmask_b32_e64 v14, v20, v23, s4
	v_cmp_u_f32_e64 s4, v13, v13
	v_bfe_u32 v19, v0, 16, 1
	buffer_store_dword v10, off, s[0:3], s32 offset:364 ; 4-byte Folded Spill
	v_add3_u32 v10, v26, v12, 0x7fff
	v_cndmask_b32_e64 v13, v24, v25, s4
	v_lshrrev_b32_e32 v14, 16, v14
	v_cmp_u_f32_e64 s4, v12, v12
	v_mul_f32_e32 v12, v111, v22
	v_lshrrev_b32_e32 v13, 16, v13
	buffer_store_dword v14, off, s[0:3], s32 offset:356 ; 4-byte Folded Spill
	v_cndmask_b32_e64 v10, v10, v18, s4
	v_or_b32_e32 v14, 0x400000, v1
	v_cmp_u_f32_e64 s4, v1, v1
	buffer_store_dword v13, off, s[0:3], s32 offset:368 ; 4-byte Folded Spill
	v_bfe_u32 v13, v1, 16, 1
	v_mul_f32_e32 v18, v111, v21
	v_bfe_u32 v20, v12, 16, 1
	v_or_b32_e32 v21, 0x400000, v12
	v_lshrrev_b32_e32 v10, 16, v10
	v_add3_u32 v13, v13, v1, 0x7fff
	v_or_b32_e32 v22, 0x400000, v18
	v_add3_u32 v20, v20, v12, 0x7fff
	buffer_store_dword v10, off, s[0:3], s32 offset:372 ; 4-byte Folded Spill
	v_cndmask_b32_e64 v1, v13, v14, s4
	v_add3_u32 v14, v19, v0, 0x7fff
	v_or_b32_e32 v19, 0x400000, v0
	v_cmp_u_f32_e64 s4, v0, v0
	v_bfe_u32 v13, v18, 16, 1
	v_lshrrev_b32_e32 v1, 16, v1
	v_cndmask_b32_e64 v0, v14, v19, s4
	v_cmp_u_f32_e64 s4, v12, v12
	v_add3_u32 v13, v13, v18, 0x7fff
	buffer_store_dword v1, off, s[0:3], s32 offset:380 ; 4-byte Folded Spill
	v_lshrrev_b32_e32 v0, 16, v0
	v_cndmask_b32_e64 v12, v20, v21, s4
	v_cmp_u_f32_e64 s4, v18, v18
	buffer_store_dword v0, off, s[0:3], s32 offset:376 ; 4-byte Folded Spill
	v_lshrrev_b32_e32 v0, 16, v12
	v_cndmask_b32_e64 v13, v13, v22, s4
	buffer_store_dword v0, off, s[0:3], s32 offset:352 ; 4-byte Folded Spill
	v_lshrrev_b32_e32 v0, 16, v13
	buffer_store_dword v0, off, s[0:3], s32 offset:360 ; 4-byte Folded Spill
	s_and_saveexec_b32 s18, vcc_lo
	s_cbranch_execz .LBB355_1902
; %bb.1901:                             ;   in Loop: Header=BB355_1571 Depth=1
	buffer_load_dword v0, off, s[0:3], s32 offset:376 ; 4-byte Folded Reload
	v_cmp_lt_i32_e64 s4, v109, v123
	s_waitcnt vmcnt(0)
	v_cndmask_b32_e64 v0, 0, v0, s4
	v_cmp_lt_i32_e64 s4, v74, v123
	buffer_store_dword v0, off, s[0:3], s32 offset:376 ; 4-byte Folded Spill
	buffer_load_dword v0, off, s[0:3], s32 offset:380 ; 4-byte Folded Reload
	s_waitcnt vmcnt(0)
	v_cndmask_b32_e64 v0, 0, v0, s4
	v_cmp_lt_i32_e64 s4, v35, v123
	buffer_store_dword v0, off, s[0:3], s32 offset:380 ; 4-byte Folded Spill
	buffer_load_dword v0, off, s[0:3], s32 offset:372 ; 4-byte Folded Reload
	;; [unrolled: 5-line block ×7, first 2 shown]
	s_waitcnt vmcnt(0)
	v_cndmask_b32_e64 v0, 0, v0, s4
	buffer_store_dword v0, off, s[0:3], s32 offset:360 ; 4-byte Folded Spill
.LBB355_1902:                           ;   in Loop: Header=BB355_1571 Depth=1
	s_or_b32 exec_lo, exec_lo, s18
	flat_load_dwordx2 v[19:20], v[16:17] offset:1280
	v_mov_b32_e32 v1, 0
	v_mov_b32_e32 v0, 0
	s_waitcnt vmcnt(0) lgkmcnt(0)
	v_cmp_ne_u16_sdwa s4, v19, v11 src0_sel:BYTE_0 src1_sel:DWORD
	s_and_saveexec_b32 s18, s4
	s_cbranch_execz .LBB355_1910
; %bb.1903:                             ;   in Loop: Header=BB355_1571 Depth=1
	v_cmp_ne_u16_sdwa s4, v19, v97 src0_sel:BYTE_0 src1_sel:DWORD
	v_bfrev_b32_e32 v0, 1
	s_and_saveexec_b32 s19, s4
	s_cbranch_execz .LBB355_1909
; %bb.1904:                             ;   in Loop: Header=BB355_1571 Depth=1
	v_and_b32_e32 v10, 0x7f, v19
	v_mov_b32_e32 v0, 0x7f800001
	s_mov_b32 s20, exec_lo
	v_cmpx_ne_u32_e32 0x7f, v10
	s_cbranch_execz .LBB355_1908
; %bb.1905:                             ;   in Loop: Header=BB355_1571 Depth=1
	v_mov_b32_e32 v25, v20
	v_lshrrev_b32_e32 v0, 3, v10
	v_mov_b32_e32 v24, v19
	s_mov_b32 s21, exec_lo
	v_cmpx_gt_u32_e32 8, v10
; %bb.1906:                             ;   in Loop: Header=BB355_1571 Depth=1
	v_and_b32_e32 v0, 7, v19
	v_ffbh_u32_e32 v0, v0
	v_min_u32_e32 v0, 32, v0
	v_subrev_nc_u32_e32 v10, 28, v0
	v_sub_nc_u32_e32 v0, 29, v0
	v_lshlrev_b64 v[24:25], v10, v[19:20]
; %bb.1907:                             ;   in Loop: Header=BB355_1571 Depth=1
	s_or_b32 exec_lo, exec_lo, s21
	v_lshlrev_b32_e32 v10, 20, v24
	v_lshlrev_b32_e32 v12, 24, v19
	v_lshl_add_u32 v0, v0, 23, 0x3c000000
	v_and_b32_e32 v10, 0x700000, v10
	v_and_b32_e32 v12, 0x80000000, v12
	v_or3_b32 v0, v10, v12, v0
.LBB355_1908:                           ;   in Loop: Header=BB355_1571 Depth=1
	s_or_b32 exec_lo, exec_lo, s20
.LBB355_1909:                           ;   in Loop: Header=BB355_1571 Depth=1
	s_or_b32 exec_lo, exec_lo, s19
.LBB355_1910:                           ;   in Loop: Header=BB355_1571 Depth=1
	s_or_b32 exec_lo, exec_lo, s18
	v_cmp_ne_u16_sdwa s4, v19, v11 src0_sel:BYTE_1 src1_sel:DWORD
	s_and_saveexec_b32 s18, s4
	s_cbranch_execz .LBB355_1918
; %bb.1911:                             ;   in Loop: Header=BB355_1571 Depth=1
	v_cmp_ne_u16_sdwa s4, v19, v97 src0_sel:BYTE_1 src1_sel:DWORD
	v_bfrev_b32_e32 v1, 1
	s_and_saveexec_b32 s19, s4
	s_cbranch_execz .LBB355_1917
; %bb.1912:                             ;   in Loop: Header=BB355_1571 Depth=1
	v_mov_b32_e32 v1, 0xffff
	s_mov_b32 s20, exec_lo
	v_and_b32_sdwa v10, v1, v19 dst_sel:DWORD dst_unused:UNUSED_PAD src0_sel:DWORD src1_sel:BYTE_1
	v_mov_b32_e32 v1, 0x7f800001
	v_and_b32_e32 v12, 0x7f, v10
	v_cmpx_ne_u32_e32 0x7f, v12
	s_cbranch_execz .LBB355_1916
; %bb.1913:                             ;   in Loop: Header=BB355_1571 Depth=1
	v_and_b32_e32 v10, 7, v10
	v_mov_b32_e32 v25, v11
	v_lshrrev_b32_e32 v1, 3, v12
	s_mov_b32 s21, exec_lo
	v_mov_b32_e32 v24, v10
	v_cmpx_gt_u32_e32 8, v12
; %bb.1914:                             ;   in Loop: Header=BB355_1571 Depth=1
	v_ffbh_u32_e32 v1, v10
	v_min_u32_e32 v1, 32, v1
	v_subrev_nc_u32_e32 v12, 28, v1
	v_sub_nc_u32_e32 v1, 29, v1
	v_lshlrev_b64 v[12:13], v12, v[10:11]
	v_and_b32_e32 v24, 7, v12
; %bb.1915:                             ;   in Loop: Header=BB355_1571 Depth=1
	s_or_b32 exec_lo, exec_lo, s21
	v_lshlrev_b32_e32 v10, 16, v19
	v_lshlrev_b32_e32 v12, 20, v24
	v_lshl_add_u32 v1, v1, 23, 0x3c000000
	v_and_b32_e32 v10, 0x80000000, v10
	v_or3_b32 v1, v12, v10, v1
.LBB355_1916:                           ;   in Loop: Header=BB355_1571 Depth=1
	s_or_b32 exec_lo, exec_lo, s20
.LBB355_1917:                           ;   in Loop: Header=BB355_1571 Depth=1
	s_or_b32 exec_lo, exec_lo, s19
.LBB355_1918:                           ;   in Loop: Header=BB355_1571 Depth=1
	s_or_b32 exec_lo, exec_lo, s18
	v_and_b32_sdwa v10, v19, v99 dst_sel:DWORD dst_unused:UNUSED_PAD src0_sel:WORD_1 src1_sel:DWORD
	v_mov_b32_e32 v13, 0
	v_mov_b32_e32 v12, 0
	s_mov_b32 s18, exec_lo
	v_cmpx_ne_u16_e32 0, v10
	s_cbranch_execz .LBB355_1926
; %bb.1919:                             ;   in Loop: Header=BB355_1571 Depth=1
	v_bfrev_b32_e32 v12, 1
	s_mov_b32 s19, exec_lo
	v_cmpx_ne_u16_e32 0x80, v10
	s_cbranch_execz .LBB355_1925
; %bb.1920:                             ;   in Loop: Header=BB355_1571 Depth=1
	v_bfe_u32 v14, v19, 16, 7
	v_mov_b32_e32 v12, 0x7f800001
	s_mov_b32 s20, exec_lo
	v_cmpx_ne_u32_e32 0x7f, v14
	s_cbranch_execz .LBB355_1924
; %bb.1921:                             ;   in Loop: Header=BB355_1571 Depth=1
	v_mov_b32_e32 v10, 7
	v_lshrrev_b32_e32 v12, 3, v14
	s_mov_b32 s21, exec_lo
	v_and_b32_sdwa v10, v19, v10 dst_sel:DWORD dst_unused:UNUSED_PAD src0_sel:WORD_1 src1_sel:DWORD
	v_mov_b32_e32 v25, v11
	v_mov_b32_e32 v24, v10
	v_cmpx_gt_u32_e32 8, v14
; %bb.1922:                             ;   in Loop: Header=BB355_1571 Depth=1
	v_ffbh_u32_e32 v12, v10
	v_min_u32_e32 v12, 32, v12
	v_subrev_nc_u32_e32 v14, 28, v12
	v_sub_nc_u32_e32 v12, 29, v12
	v_lshlrev_b64 v[21:22], v14, v[10:11]
	v_and_b32_e32 v24, 7, v21
; %bb.1923:                             ;   in Loop: Header=BB355_1571 Depth=1
	s_or_b32 exec_lo, exec_lo, s21
	v_mov_b32_e32 v10, 24
	v_lshlrev_b32_e32 v14, 20, v24
	v_lshl_add_u32 v12, v12, 23, 0x3c000000
	v_lshlrev_b32_sdwa v10, v10, v19 dst_sel:DWORD dst_unused:UNUSED_PAD src0_sel:DWORD src1_sel:WORD_1
	v_and_b32_e32 v10, 0x80000000, v10
	v_or3_b32 v12, v14, v10, v12
.LBB355_1924:                           ;   in Loop: Header=BB355_1571 Depth=1
	s_or_b32 exec_lo, exec_lo, s20
.LBB355_1925:                           ;   in Loop: Header=BB355_1571 Depth=1
	s_or_b32 exec_lo, exec_lo, s19
.LBB355_1926:                           ;   in Loop: Header=BB355_1571 Depth=1
	s_or_b32 exec_lo, exec_lo, s18
	s_mov_b32 s18, exec_lo
	v_cmpx_lt_u32_e32 0xffffff, v19
	s_cbranch_execz .LBB355_1934
; %bb.1927:                             ;   in Loop: Header=BB355_1571 Depth=1
	v_cmp_ne_u32_sdwa s4, v19, v97 src0_sel:BYTE_3 src1_sel:DWORD
	v_bfrev_b32_e32 v13, 1
	s_and_saveexec_b32 s19, s4
	s_cbranch_execz .LBB355_1933
; %bb.1928:                             ;   in Loop: Header=BB355_1571 Depth=1
	v_bfe_u32 v14, v19, 24, 7
	v_mov_b32_e32 v13, 0x7f800001
	s_mov_b32 s20, exec_lo
	v_cmpx_ne_u32_e32 0x7f, v14
	s_cbranch_execz .LBB355_1932
; %bb.1929:                             ;   in Loop: Header=BB355_1571 Depth=1
	v_mov_b32_e32 v10, 7
	v_lshrrev_b32_e32 v13, 3, v14
	s_mov_b32 s21, exec_lo
	v_and_b32_sdwa v10, v19, v10 dst_sel:DWORD dst_unused:UNUSED_PAD src0_sel:BYTE_3 src1_sel:DWORD
	v_mov_b32_e32 v25, v11
	v_mov_b32_e32 v24, v10
	v_cmpx_gt_u32_e32 8, v14
; %bb.1930:                             ;   in Loop: Header=BB355_1571 Depth=1
	v_ffbh_u32_e32 v13, v10
	v_min_u32_e32 v13, 32, v13
	v_subrev_nc_u32_e32 v14, 28, v13
	v_sub_nc_u32_e32 v13, 29, v13
	v_lshlrev_b64 v[21:22], v14, v[10:11]
	v_and_b32_e32 v24, 7, v21
; %bb.1931:                             ;   in Loop: Header=BB355_1571 Depth=1
	s_or_b32 exec_lo, exec_lo, s21
	v_mov_b32_e32 v10, 24
	v_lshlrev_b32_e32 v14, 20, v24
	v_lshl_add_u32 v13, v13, 23, 0x3c000000
	v_lshlrev_b32_sdwa v10, v10, v19 dst_sel:DWORD dst_unused:UNUSED_PAD src0_sel:DWORD src1_sel:BYTE_3
	v_and_b32_e32 v10, 0x80000000, v10
	v_or3_b32 v13, v14, v10, v13
.LBB355_1932:                           ;   in Loop: Header=BB355_1571 Depth=1
	s_or_b32 exec_lo, exec_lo, s20
.LBB355_1933:                           ;   in Loop: Header=BB355_1571 Depth=1
	s_or_b32 exec_lo, exec_lo, s19
.LBB355_1934:                           ;   in Loop: Header=BB355_1571 Depth=1
	s_or_b32 exec_lo, exec_lo, s18
	v_mov_b32_e32 v10, v20
	v_cmp_ne_u16_sdwa s4, v20, v11 src0_sel:BYTE_0 src1_sel:DWORD
	v_mov_b32_e32 v22, 0
	v_mov_b32_e32 v21, 0
	s_and_saveexec_b32 s18, s4
	s_cbranch_execz .LBB355_1942
; %bb.1935:                             ;   in Loop: Header=BB355_1571 Depth=1
	v_cmp_ne_u16_sdwa s4, v20, v97 src0_sel:BYTE_0 src1_sel:DWORD
	v_bfrev_b32_e32 v21, 1
	s_and_saveexec_b32 s19, s4
	s_cbranch_execz .LBB355_1941
; %bb.1936:                             ;   in Loop: Header=BB355_1571 Depth=1
	v_and_b32_e32 v18, 0x7f, v20
	v_mov_b32_e32 v21, 0x7f800001
	s_mov_b32 s20, exec_lo
	v_cmpx_ne_u32_e32 0x7f, v18
	s_cbranch_execz .LBB355_1940
; %bb.1937:                             ;   in Loop: Header=BB355_1571 Depth=1
	v_mov_b32_e32 v25, v11
	v_lshrrev_b32_e32 v14, 3, v18
	v_mov_b32_e32 v24, v10
	s_mov_b32 s21, exec_lo
	v_cmpx_gt_u32_e32 8, v18
; %bb.1938:                             ;   in Loop: Header=BB355_1571 Depth=1
	v_and_b32_e32 v14, 7, v20
	v_ffbh_u32_e32 v14, v14
	v_min_u32_e32 v14, 32, v14
	v_subrev_nc_u32_e32 v18, 28, v14
	v_sub_nc_u32_e32 v14, 29, v14
	v_lshlrev_b64 v[24:25], v18, v[10:11]
; %bb.1939:                             ;   in Loop: Header=BB355_1571 Depth=1
	s_or_b32 exec_lo, exec_lo, s21
	v_lshlrev_b32_e32 v18, 20, v24
	v_lshlrev_b32_e32 v21, 24, v10
	v_lshl_add_u32 v14, v14, 23, 0x3c000000
	v_and_b32_e32 v18, 0x700000, v18
	v_and_b32_e32 v21, 0x80000000, v21
	v_or3_b32 v21, v18, v21, v14
.LBB355_1940:                           ;   in Loop: Header=BB355_1571 Depth=1
	s_or_b32 exec_lo, exec_lo, s20
.LBB355_1941:                           ;   in Loop: Header=BB355_1571 Depth=1
	s_or_b32 exec_lo, exec_lo, s19
.LBB355_1942:                           ;   in Loop: Header=BB355_1571 Depth=1
	s_or_b32 exec_lo, exec_lo, s18
	v_cmp_ne_u16_sdwa s4, v10, v11 src0_sel:BYTE_1 src1_sel:DWORD
	s_and_saveexec_b32 s18, s4
	s_cbranch_execz .LBB355_1950
; %bb.1943:                             ;   in Loop: Header=BB355_1571 Depth=1
	v_cmp_ne_u16_sdwa s4, v10, v97 src0_sel:BYTE_1 src1_sel:DWORD
	v_bfrev_b32_e32 v22, 1
	s_and_saveexec_b32 s19, s4
	s_cbranch_execz .LBB355_1949
; %bb.1944:                             ;   in Loop: Header=BB355_1571 Depth=1
	v_mov_b32_e32 v14, 0xffff
	v_mov_b32_e32 v22, 0x7f800001
	s_mov_b32 s20, exec_lo
	v_and_b32_sdwa v14, v14, v10 dst_sel:DWORD dst_unused:UNUSED_PAD src0_sel:DWORD src1_sel:BYTE_1
	v_and_b32_e32 v18, 0x7f, v14
	v_cmpx_ne_u32_e32 0x7f, v18
	s_cbranch_execz .LBB355_1948
; %bb.1945:                             ;   in Loop: Header=BB355_1571 Depth=1
	v_and_b32_e32 v24, 7, v14
	v_mov_b32_e32 v25, v11
	v_lshrrev_b32_e32 v14, 3, v18
	s_mov_b32 s21, exec_lo
	v_cmpx_gt_u32_e32 8, v18
; %bb.1946:                             ;   in Loop: Header=BB355_1571 Depth=1
	v_ffbh_u32_e32 v14, v24
	v_min_u32_e32 v14, 32, v14
	v_subrev_nc_u32_e32 v18, 28, v14
	v_sub_nc_u32_e32 v14, 29, v14
	v_lshlrev_b64 v[22:23], v18, v[24:25]
	v_and_b32_e32 v24, 7, v22
; %bb.1947:                             ;   in Loop: Header=BB355_1571 Depth=1
	s_or_b32 exec_lo, exec_lo, s21
	v_lshlrev_b32_e32 v10, 16, v10
	v_lshlrev_b32_e32 v18, 20, v24
	v_lshl_add_u32 v14, v14, 23, 0x3c000000
	v_and_b32_e32 v10, 0x80000000, v10
	v_or3_b32 v22, v18, v10, v14
.LBB355_1948:                           ;   in Loop: Header=BB355_1571 Depth=1
	s_or_b32 exec_lo, exec_lo, s20
.LBB355_1949:                           ;   in Loop: Header=BB355_1571 Depth=1
	s_or_b32 exec_lo, exec_lo, s19
.LBB355_1950:                           ;   in Loop: Header=BB355_1571 Depth=1
	s_or_b32 exec_lo, exec_lo, s18
	v_and_b32_sdwa v10, v20, v99 dst_sel:DWORD dst_unused:UNUSED_PAD src0_sel:WORD_1 src1_sel:DWORD
	v_mov_b32_e32 v14, 0
	v_mov_b32_e32 v18, 0
	s_mov_b32 s18, exec_lo
	v_cmpx_ne_u16_e32 0, v10
	s_cbranch_execz .LBB355_1958
; %bb.1951:                             ;   in Loop: Header=BB355_1571 Depth=1
	v_bfrev_b32_e32 v18, 1
	s_mov_b32 s19, exec_lo
	v_cmpx_ne_u16_e32 0x80, v10
	s_cbranch_execz .LBB355_1957
; %bb.1952:                             ;   in Loop: Header=BB355_1571 Depth=1
	v_bfe_u32 v23, v20, 16, 7
	v_mov_b32_e32 v18, 0x7f800001
	s_mov_b32 s20, exec_lo
	v_cmpx_ne_u32_e32 0x7f, v23
	s_cbranch_execz .LBB355_1956
; %bb.1953:                             ;   in Loop: Header=BB355_1571 Depth=1
	v_mov_b32_e32 v10, 7
	v_lshrrev_b32_e32 v18, 3, v23
	s_mov_b32 s21, exec_lo
	v_and_b32_sdwa v10, v20, v10 dst_sel:DWORD dst_unused:UNUSED_PAD src0_sel:WORD_1 src1_sel:DWORD
	v_mov_b32_e32 v25, v11
	v_mov_b32_e32 v24, v10
	v_cmpx_gt_u32_e32 8, v23
; %bb.1954:                             ;   in Loop: Header=BB355_1571 Depth=1
	v_ffbh_u32_e32 v18, v10
	v_min_u32_e32 v18, 32, v18
	v_subrev_nc_u32_e32 v23, 28, v18
	v_sub_nc_u32_e32 v18, 29, v18
	v_lshlrev_b64 v[23:24], v23, v[10:11]
	v_and_b32_e32 v24, 7, v23
; %bb.1955:                             ;   in Loop: Header=BB355_1571 Depth=1
	s_or_b32 exec_lo, exec_lo, s21
	v_mov_b32_e32 v10, 24
	v_lshlrev_b32_e32 v23, 20, v24
	v_lshl_add_u32 v18, v18, 23, 0x3c000000
	v_lshlrev_b32_sdwa v10, v10, v20 dst_sel:DWORD dst_unused:UNUSED_PAD src0_sel:DWORD src1_sel:WORD_1
	v_and_b32_e32 v10, 0x80000000, v10
	v_or3_b32 v18, v23, v10, v18
.LBB355_1956:                           ;   in Loop: Header=BB355_1571 Depth=1
	s_or_b32 exec_lo, exec_lo, s20
.LBB355_1957:                           ;   in Loop: Header=BB355_1571 Depth=1
	s_or_b32 exec_lo, exec_lo, s19
.LBB355_1958:                           ;   in Loop: Header=BB355_1571 Depth=1
	s_or_b32 exec_lo, exec_lo, s18
	s_mov_b32 s18, exec_lo
	v_cmpx_lt_u64_e64 s[6:7], v[19:20]
	s_cbranch_execz .LBB355_1966
; %bb.1959:                             ;   in Loop: Header=BB355_1571 Depth=1
	v_cmp_ne_u32_sdwa s4, v20, v97 src0_sel:BYTE_3 src1_sel:DWORD
	v_bfrev_b32_e32 v14, 1
	s_and_saveexec_b32 s19, s4
	s_cbranch_execz .LBB355_1965
; %bb.1960:                             ;   in Loop: Header=BB355_1571 Depth=1
	v_bfe_u32 v19, v20, 24, 7
	v_mov_b32_e32 v14, 0x7f800001
	s_mov_b32 s20, exec_lo
	v_cmpx_ne_u32_e32 0x7f, v19
	s_cbranch_execz .LBB355_1964
; %bb.1961:                             ;   in Loop: Header=BB355_1571 Depth=1
	v_mov_b32_e32 v10, 7
	v_lshrrev_b32_e32 v14, 3, v19
	s_mov_b32 s21, exec_lo
	v_and_b32_sdwa v10, v20, v10 dst_sel:DWORD dst_unused:UNUSED_PAD src0_sel:BYTE_3 src1_sel:DWORD
	v_mov_b32_e32 v25, v11
	v_mov_b32_e32 v24, v10
	v_cmpx_gt_u32_e32 8, v19
; %bb.1962:                             ;   in Loop: Header=BB355_1571 Depth=1
	v_ffbh_u32_e32 v14, v10
	v_min_u32_e32 v14, 32, v14
	v_subrev_nc_u32_e32 v19, 28, v14
	v_sub_nc_u32_e32 v14, 29, v14
	v_lshlrev_b64 v[23:24], v19, v[10:11]
	v_and_b32_e32 v24, 7, v23
; %bb.1963:                             ;   in Loop: Header=BB355_1571 Depth=1
	s_or_b32 exec_lo, exec_lo, s21
	v_mov_b32_e32 v10, 24
	v_lshlrev_b32_e32 v19, 20, v24
	v_lshl_add_u32 v14, v14, 23, 0x3c000000
	v_lshlrev_b32_sdwa v10, v10, v20 dst_sel:DWORD dst_unused:UNUSED_PAD src0_sel:DWORD src1_sel:BYTE_3
	v_and_b32_e32 v10, 0x80000000, v10
	v_or3_b32 v14, v19, v10, v14
.LBB355_1964:                           ;   in Loop: Header=BB355_1571 Depth=1
	s_or_b32 exec_lo, exec_lo, s20
.LBB355_1965:                           ;   in Loop: Header=BB355_1571 Depth=1
	s_or_b32 exec_lo, exec_lo, s19
.LBB355_1966:                           ;   in Loop: Header=BB355_1571 Depth=1
	s_or_b32 exec_lo, exec_lo, s18
	v_mul_f32_e32 v10, v111, v22
	v_mul_f32_e32 v1, v111, v1
	;; [unrolled: 1-line block ×3, first 2 shown]
	v_bfe_u32 v19, v10, 16, 1
	v_or_b32_e32 v20, 0x400000, v10
	v_cmp_u_f32_e64 s4, v10, v10
	v_add3_u32 v19, v19, v10, 0x7fff
	v_cndmask_b32_e64 v10, v19, v20, s4
	v_lshrrev_b32_e32 v10, 16, v10
	buffer_store_dword v10, off, s[0:3], s32 offset:388 ; 4-byte Folded Spill
	v_mul_f32_e32 v10, v111, v21
	v_bfe_u32 v19, v10, 16, 1
	v_or_b32_e32 v20, 0x400000, v10
	v_cmp_u_f32_e64 s4, v10, v10
	v_add3_u32 v19, v19, v10, 0x7fff
	v_cndmask_b32_e64 v10, v19, v20, s4
	v_lshrrev_b32_e32 v10, 16, v10
	buffer_store_dword v10, off, s[0:3], s32 offset:384 ; 4-byte Folded Spill
	v_mul_f32_e32 v10, v111, v13
	;; [unrolled: 8-line block ×3, first 2 shown]
	v_bfe_u32 v12, v10, 16, 1
	v_or_b32_e32 v13, 0x400000, v10
	v_cmp_u_f32_e64 s4, v10, v10
	v_add3_u32 v12, v12, v10, 0x7fff
	v_cndmask_b32_e64 v10, v12, v13, s4
	v_or_b32_e32 v12, 0x400000, v1
	v_cmp_u_f32_e64 s4, v1, v1
	v_lshrrev_b32_e32 v10, 16, v10
	buffer_store_dword v10, off, s[0:3], s32 offset:396 ; 4-byte Folded Spill
	v_bfe_u32 v10, v1, 16, 1
	v_add3_u32 v10, v10, v1, 0x7fff
	v_cndmask_b32_e64 v1, v10, v12, s4
	v_or_b32_e32 v10, 0x400000, v0
	v_cmp_u_f32_e64 s4, v0, v0
	v_lshrrev_b32_e32 v1, 16, v1
	buffer_store_dword v1, off, s[0:3], s32 offset:412 ; 4-byte Folded Spill
	v_bfe_u32 v1, v0, 16, 1
	v_add3_u32 v1, v1, v0, 0x7fff
	v_cndmask_b32_e64 v0, v1, v10, s4
	v_lshrrev_b32_e32 v0, 16, v0
	buffer_store_dword v0, off, s[0:3], s32 offset:408 ; 4-byte Folded Spill
	v_mul_f32_e32 v0, v111, v18
	v_bfe_u32 v1, v0, 16, 1
	v_or_b32_e32 v10, 0x400000, v0
	v_cmp_u_f32_e64 s4, v0, v0
	v_add3_u32 v1, v1, v0, 0x7fff
	v_cndmask_b32_e64 v0, v1, v10, s4
	v_lshrrev_b32_e32 v0, 16, v0
	buffer_store_dword v0, off, s[0:3], s32 offset:392 ; 4-byte Folded Spill
	v_mul_f32_e32 v0, v111, v14
	v_bfe_u32 v1, v0, 16, 1
	v_or_b32_e32 v10, 0x400000, v0
	v_cmp_u_f32_e64 s4, v0, v0
	v_add3_u32 v1, v1, v0, 0x7fff
	v_cndmask_b32_e64 v0, v1, v10, s4
	v_lshrrev_b32_e32 v0, 16, v0
	buffer_store_dword v0, off, s[0:3], s32 offset:404 ; 4-byte Folded Spill
	s_and_saveexec_b32 s18, vcc_lo
	s_cbranch_execz .LBB355_1968
; %bb.1967:                             ;   in Loop: Header=BB355_1571 Depth=1
	buffer_load_dword v0, off, s[0:3], s32 offset:408 ; 4-byte Folded Reload
	v_cmp_lt_i32_e64 s4, v109, v123
	s_waitcnt vmcnt(0)
	v_cndmask_b32_e64 v0, 0, v0, s4
	v_cmp_lt_i32_e64 s4, v74, v123
	buffer_store_dword v0, off, s[0:3], s32 offset:408 ; 4-byte Folded Spill
	buffer_load_dword v0, off, s[0:3], s32 offset:412 ; 4-byte Folded Reload
	s_waitcnt vmcnt(0)
	v_cndmask_b32_e64 v0, 0, v0, s4
	v_cmp_lt_i32_e64 s4, v35, v123
	buffer_store_dword v0, off, s[0:3], s32 offset:412 ; 4-byte Folded Spill
	buffer_load_dword v0, off, s[0:3], s32 offset:396 ; 4-byte Folded Reload
	;; [unrolled: 5-line block ×7, first 2 shown]
	s_waitcnt vmcnt(0)
	v_cndmask_b32_e64 v0, 0, v0, s4
	buffer_store_dword v0, off, s[0:3], s32 offset:404 ; 4-byte Folded Spill
.LBB355_1968:                           ;   in Loop: Header=BB355_1571 Depth=1
	s_or_b32 exec_lo, exec_lo, s18
	flat_load_dwordx2 v[19:20], v[16:17] offset:1536
	v_mov_b32_e32 v1, 0
	v_mov_b32_e32 v0, 0
	s_waitcnt vmcnt(0) lgkmcnt(0)
	v_cmp_ne_u16_sdwa s4, v19, v11 src0_sel:BYTE_0 src1_sel:DWORD
	s_and_saveexec_b32 s18, s4
	s_cbranch_execz .LBB355_1976
; %bb.1969:                             ;   in Loop: Header=BB355_1571 Depth=1
	v_cmp_ne_u16_sdwa s4, v19, v97 src0_sel:BYTE_0 src1_sel:DWORD
	v_bfrev_b32_e32 v0, 1
	s_and_saveexec_b32 s19, s4
	s_cbranch_execz .LBB355_1975
; %bb.1970:                             ;   in Loop: Header=BB355_1571 Depth=1
	v_and_b32_e32 v10, 0x7f, v19
	v_mov_b32_e32 v0, 0x7f800001
	s_mov_b32 s20, exec_lo
	v_cmpx_ne_u32_e32 0x7f, v10
	s_cbranch_execz .LBB355_1974
; %bb.1971:                             ;   in Loop: Header=BB355_1571 Depth=1
	v_mov_b32_e32 v25, v20
	v_lshrrev_b32_e32 v0, 3, v10
	v_mov_b32_e32 v24, v19
	s_mov_b32 s21, exec_lo
	v_cmpx_gt_u32_e32 8, v10
; %bb.1972:                             ;   in Loop: Header=BB355_1571 Depth=1
	v_and_b32_e32 v0, 7, v19
	v_ffbh_u32_e32 v0, v0
	v_min_u32_e32 v0, 32, v0
	v_subrev_nc_u32_e32 v10, 28, v0
	v_sub_nc_u32_e32 v0, 29, v0
	v_lshlrev_b64 v[24:25], v10, v[19:20]
; %bb.1973:                             ;   in Loop: Header=BB355_1571 Depth=1
	s_or_b32 exec_lo, exec_lo, s21
	v_lshlrev_b32_e32 v10, 20, v24
	v_lshlrev_b32_e32 v12, 24, v19
	v_lshl_add_u32 v0, v0, 23, 0x3c000000
	v_and_b32_e32 v10, 0x700000, v10
	v_and_b32_e32 v12, 0x80000000, v12
	v_or3_b32 v0, v10, v12, v0
.LBB355_1974:                           ;   in Loop: Header=BB355_1571 Depth=1
	s_or_b32 exec_lo, exec_lo, s20
.LBB355_1975:                           ;   in Loop: Header=BB355_1571 Depth=1
	s_or_b32 exec_lo, exec_lo, s19
.LBB355_1976:                           ;   in Loop: Header=BB355_1571 Depth=1
	s_or_b32 exec_lo, exec_lo, s18
	v_cmp_ne_u16_sdwa s4, v19, v11 src0_sel:BYTE_1 src1_sel:DWORD
	s_and_saveexec_b32 s18, s4
	s_cbranch_execz .LBB355_1984
; %bb.1977:                             ;   in Loop: Header=BB355_1571 Depth=1
	v_cmp_ne_u16_sdwa s4, v19, v97 src0_sel:BYTE_1 src1_sel:DWORD
	v_bfrev_b32_e32 v1, 1
	s_and_saveexec_b32 s19, s4
	s_cbranch_execz .LBB355_1983
; %bb.1978:                             ;   in Loop: Header=BB355_1571 Depth=1
	v_mov_b32_e32 v1, 0xffff
	s_mov_b32 s20, exec_lo
	v_and_b32_sdwa v10, v1, v19 dst_sel:DWORD dst_unused:UNUSED_PAD src0_sel:DWORD src1_sel:BYTE_1
	v_mov_b32_e32 v1, 0x7f800001
	v_and_b32_e32 v12, 0x7f, v10
	v_cmpx_ne_u32_e32 0x7f, v12
	s_cbranch_execz .LBB355_1982
; %bb.1979:                             ;   in Loop: Header=BB355_1571 Depth=1
	v_and_b32_e32 v10, 7, v10
	v_mov_b32_e32 v25, v11
	v_lshrrev_b32_e32 v1, 3, v12
	s_mov_b32 s21, exec_lo
	v_mov_b32_e32 v24, v10
	v_cmpx_gt_u32_e32 8, v12
; %bb.1980:                             ;   in Loop: Header=BB355_1571 Depth=1
	v_ffbh_u32_e32 v1, v10
	v_min_u32_e32 v1, 32, v1
	v_subrev_nc_u32_e32 v12, 28, v1
	v_sub_nc_u32_e32 v1, 29, v1
	v_lshlrev_b64 v[12:13], v12, v[10:11]
	v_and_b32_e32 v24, 7, v12
; %bb.1981:                             ;   in Loop: Header=BB355_1571 Depth=1
	s_or_b32 exec_lo, exec_lo, s21
	v_lshlrev_b32_e32 v10, 16, v19
	v_lshlrev_b32_e32 v12, 20, v24
	v_lshl_add_u32 v1, v1, 23, 0x3c000000
	v_and_b32_e32 v10, 0x80000000, v10
	v_or3_b32 v1, v12, v10, v1
.LBB355_1982:                           ;   in Loop: Header=BB355_1571 Depth=1
	s_or_b32 exec_lo, exec_lo, s20
.LBB355_1983:                           ;   in Loop: Header=BB355_1571 Depth=1
	s_or_b32 exec_lo, exec_lo, s19
.LBB355_1984:                           ;   in Loop: Header=BB355_1571 Depth=1
	s_or_b32 exec_lo, exec_lo, s18
	v_and_b32_sdwa v10, v19, v99 dst_sel:DWORD dst_unused:UNUSED_PAD src0_sel:WORD_1 src1_sel:DWORD
	v_mov_b32_e32 v13, 0
	v_mov_b32_e32 v12, 0
	s_mov_b32 s18, exec_lo
	v_cmpx_ne_u16_e32 0, v10
	s_cbranch_execz .LBB355_1992
; %bb.1985:                             ;   in Loop: Header=BB355_1571 Depth=1
	v_bfrev_b32_e32 v12, 1
	s_mov_b32 s19, exec_lo
	v_cmpx_ne_u16_e32 0x80, v10
	s_cbranch_execz .LBB355_1991
; %bb.1986:                             ;   in Loop: Header=BB355_1571 Depth=1
	v_bfe_u32 v14, v19, 16, 7
	v_mov_b32_e32 v12, 0x7f800001
	s_mov_b32 s20, exec_lo
	v_cmpx_ne_u32_e32 0x7f, v14
	s_cbranch_execz .LBB355_1990
; %bb.1987:                             ;   in Loop: Header=BB355_1571 Depth=1
	v_mov_b32_e32 v10, 7
	v_lshrrev_b32_e32 v12, 3, v14
	s_mov_b32 s21, exec_lo
	v_and_b32_sdwa v10, v19, v10 dst_sel:DWORD dst_unused:UNUSED_PAD src0_sel:WORD_1 src1_sel:DWORD
	v_mov_b32_e32 v25, v11
	v_mov_b32_e32 v24, v10
	v_cmpx_gt_u32_e32 8, v14
; %bb.1988:                             ;   in Loop: Header=BB355_1571 Depth=1
	v_ffbh_u32_e32 v12, v10
	v_min_u32_e32 v12, 32, v12
	v_subrev_nc_u32_e32 v14, 28, v12
	v_sub_nc_u32_e32 v12, 29, v12
	v_lshlrev_b64 v[21:22], v14, v[10:11]
	v_and_b32_e32 v24, 7, v21
; %bb.1989:                             ;   in Loop: Header=BB355_1571 Depth=1
	s_or_b32 exec_lo, exec_lo, s21
	v_mov_b32_e32 v10, 24
	v_lshlrev_b32_e32 v14, 20, v24
	v_lshl_add_u32 v12, v12, 23, 0x3c000000
	v_lshlrev_b32_sdwa v10, v10, v19 dst_sel:DWORD dst_unused:UNUSED_PAD src0_sel:DWORD src1_sel:WORD_1
	v_and_b32_e32 v10, 0x80000000, v10
	v_or3_b32 v12, v14, v10, v12
.LBB355_1990:                           ;   in Loop: Header=BB355_1571 Depth=1
	s_or_b32 exec_lo, exec_lo, s20
.LBB355_1991:                           ;   in Loop: Header=BB355_1571 Depth=1
	s_or_b32 exec_lo, exec_lo, s19
.LBB355_1992:                           ;   in Loop: Header=BB355_1571 Depth=1
	s_or_b32 exec_lo, exec_lo, s18
	s_mov_b32 s18, exec_lo
	v_cmpx_lt_u32_e32 0xffffff, v19
	s_cbranch_execz .LBB355_2000
; %bb.1993:                             ;   in Loop: Header=BB355_1571 Depth=1
	v_cmp_ne_u32_sdwa s4, v19, v97 src0_sel:BYTE_3 src1_sel:DWORD
	v_bfrev_b32_e32 v13, 1
	s_and_saveexec_b32 s19, s4
	s_cbranch_execz .LBB355_1999
; %bb.1994:                             ;   in Loop: Header=BB355_1571 Depth=1
	v_bfe_u32 v14, v19, 24, 7
	v_mov_b32_e32 v13, 0x7f800001
	s_mov_b32 s20, exec_lo
	v_cmpx_ne_u32_e32 0x7f, v14
	s_cbranch_execz .LBB355_1998
; %bb.1995:                             ;   in Loop: Header=BB355_1571 Depth=1
	v_mov_b32_e32 v10, 7
	v_lshrrev_b32_e32 v13, 3, v14
	s_mov_b32 s21, exec_lo
	v_and_b32_sdwa v10, v19, v10 dst_sel:DWORD dst_unused:UNUSED_PAD src0_sel:BYTE_3 src1_sel:DWORD
	v_mov_b32_e32 v25, v11
	v_mov_b32_e32 v24, v10
	v_cmpx_gt_u32_e32 8, v14
; %bb.1996:                             ;   in Loop: Header=BB355_1571 Depth=1
	v_ffbh_u32_e32 v13, v10
	v_min_u32_e32 v13, 32, v13
	v_subrev_nc_u32_e32 v14, 28, v13
	v_sub_nc_u32_e32 v13, 29, v13
	v_lshlrev_b64 v[21:22], v14, v[10:11]
	v_and_b32_e32 v24, 7, v21
; %bb.1997:                             ;   in Loop: Header=BB355_1571 Depth=1
	s_or_b32 exec_lo, exec_lo, s21
	v_mov_b32_e32 v10, 24
	v_lshlrev_b32_e32 v14, 20, v24
	v_lshl_add_u32 v13, v13, 23, 0x3c000000
	v_lshlrev_b32_sdwa v10, v10, v19 dst_sel:DWORD dst_unused:UNUSED_PAD src0_sel:DWORD src1_sel:BYTE_3
	v_and_b32_e32 v10, 0x80000000, v10
	v_or3_b32 v13, v14, v10, v13
.LBB355_1998:                           ;   in Loop: Header=BB355_1571 Depth=1
	s_or_b32 exec_lo, exec_lo, s20
.LBB355_1999:                           ;   in Loop: Header=BB355_1571 Depth=1
	s_or_b32 exec_lo, exec_lo, s19
.LBB355_2000:                           ;   in Loop: Header=BB355_1571 Depth=1
	s_or_b32 exec_lo, exec_lo, s18
	v_mov_b32_e32 v10, v20
	v_cmp_ne_u16_sdwa s4, v20, v11 src0_sel:BYTE_0 src1_sel:DWORD
	v_mov_b32_e32 v22, 0
	v_mov_b32_e32 v21, 0
	s_and_saveexec_b32 s18, s4
	s_cbranch_execz .LBB355_2008
; %bb.2001:                             ;   in Loop: Header=BB355_1571 Depth=1
	v_cmp_ne_u16_sdwa s4, v20, v97 src0_sel:BYTE_0 src1_sel:DWORD
	v_bfrev_b32_e32 v21, 1
	s_and_saveexec_b32 s19, s4
	s_cbranch_execz .LBB355_2007
; %bb.2002:                             ;   in Loop: Header=BB355_1571 Depth=1
	v_and_b32_e32 v18, 0x7f, v20
	v_mov_b32_e32 v21, 0x7f800001
	s_mov_b32 s20, exec_lo
	v_cmpx_ne_u32_e32 0x7f, v18
	s_cbranch_execz .LBB355_2006
; %bb.2003:                             ;   in Loop: Header=BB355_1571 Depth=1
	v_mov_b32_e32 v25, v11
	v_lshrrev_b32_e32 v14, 3, v18
	v_mov_b32_e32 v24, v10
	s_mov_b32 s21, exec_lo
	v_cmpx_gt_u32_e32 8, v18
; %bb.2004:                             ;   in Loop: Header=BB355_1571 Depth=1
	v_and_b32_e32 v14, 7, v20
	v_ffbh_u32_e32 v14, v14
	v_min_u32_e32 v14, 32, v14
	v_subrev_nc_u32_e32 v18, 28, v14
	v_sub_nc_u32_e32 v14, 29, v14
	v_lshlrev_b64 v[24:25], v18, v[10:11]
; %bb.2005:                             ;   in Loop: Header=BB355_1571 Depth=1
	s_or_b32 exec_lo, exec_lo, s21
	v_lshlrev_b32_e32 v18, 20, v24
	v_lshlrev_b32_e32 v21, 24, v10
	v_lshl_add_u32 v14, v14, 23, 0x3c000000
	v_and_b32_e32 v18, 0x700000, v18
	v_and_b32_e32 v21, 0x80000000, v21
	v_or3_b32 v21, v18, v21, v14
.LBB355_2006:                           ;   in Loop: Header=BB355_1571 Depth=1
	s_or_b32 exec_lo, exec_lo, s20
.LBB355_2007:                           ;   in Loop: Header=BB355_1571 Depth=1
	s_or_b32 exec_lo, exec_lo, s19
.LBB355_2008:                           ;   in Loop: Header=BB355_1571 Depth=1
	s_or_b32 exec_lo, exec_lo, s18
	v_cmp_ne_u16_sdwa s4, v10, v11 src0_sel:BYTE_1 src1_sel:DWORD
	s_and_saveexec_b32 s18, s4
	s_cbranch_execz .LBB355_2016
; %bb.2009:                             ;   in Loop: Header=BB355_1571 Depth=1
	v_cmp_ne_u16_sdwa s4, v10, v97 src0_sel:BYTE_1 src1_sel:DWORD
	v_bfrev_b32_e32 v22, 1
	s_and_saveexec_b32 s19, s4
	s_cbranch_execz .LBB355_2015
; %bb.2010:                             ;   in Loop: Header=BB355_1571 Depth=1
	v_mov_b32_e32 v14, 0xffff
	v_mov_b32_e32 v22, 0x7f800001
	s_mov_b32 s20, exec_lo
	v_and_b32_sdwa v14, v14, v10 dst_sel:DWORD dst_unused:UNUSED_PAD src0_sel:DWORD src1_sel:BYTE_1
	v_and_b32_e32 v18, 0x7f, v14
	v_cmpx_ne_u32_e32 0x7f, v18
	s_cbranch_execz .LBB355_2014
; %bb.2011:                             ;   in Loop: Header=BB355_1571 Depth=1
	v_and_b32_e32 v24, 7, v14
	v_mov_b32_e32 v25, v11
	v_lshrrev_b32_e32 v14, 3, v18
	s_mov_b32 s21, exec_lo
	v_cmpx_gt_u32_e32 8, v18
; %bb.2012:                             ;   in Loop: Header=BB355_1571 Depth=1
	v_ffbh_u32_e32 v14, v24
	v_min_u32_e32 v14, 32, v14
	v_subrev_nc_u32_e32 v18, 28, v14
	v_sub_nc_u32_e32 v14, 29, v14
	v_lshlrev_b64 v[22:23], v18, v[24:25]
	v_and_b32_e32 v24, 7, v22
; %bb.2013:                             ;   in Loop: Header=BB355_1571 Depth=1
	s_or_b32 exec_lo, exec_lo, s21
	v_lshlrev_b32_e32 v10, 16, v10
	v_lshlrev_b32_e32 v18, 20, v24
	v_lshl_add_u32 v14, v14, 23, 0x3c000000
	v_and_b32_e32 v10, 0x80000000, v10
	v_or3_b32 v22, v18, v10, v14
.LBB355_2014:                           ;   in Loop: Header=BB355_1571 Depth=1
	s_or_b32 exec_lo, exec_lo, s20
.LBB355_2015:                           ;   in Loop: Header=BB355_1571 Depth=1
	s_or_b32 exec_lo, exec_lo, s19
.LBB355_2016:                           ;   in Loop: Header=BB355_1571 Depth=1
	s_or_b32 exec_lo, exec_lo, s18
	v_and_b32_sdwa v10, v20, v99 dst_sel:DWORD dst_unused:UNUSED_PAD src0_sel:WORD_1 src1_sel:DWORD
	v_mov_b32_e32 v14, 0
	v_mov_b32_e32 v18, 0
	s_mov_b32 s18, exec_lo
	v_cmpx_ne_u16_e32 0, v10
	s_cbranch_execz .LBB355_2024
; %bb.2017:                             ;   in Loop: Header=BB355_1571 Depth=1
	v_bfrev_b32_e32 v18, 1
	s_mov_b32 s19, exec_lo
	v_cmpx_ne_u16_e32 0x80, v10
	s_cbranch_execz .LBB355_2023
; %bb.2018:                             ;   in Loop: Header=BB355_1571 Depth=1
	v_bfe_u32 v23, v20, 16, 7
	v_mov_b32_e32 v18, 0x7f800001
	s_mov_b32 s20, exec_lo
	v_cmpx_ne_u32_e32 0x7f, v23
	s_cbranch_execz .LBB355_2022
; %bb.2019:                             ;   in Loop: Header=BB355_1571 Depth=1
	v_mov_b32_e32 v10, 7
	v_lshrrev_b32_e32 v18, 3, v23
	s_mov_b32 s21, exec_lo
	v_and_b32_sdwa v10, v20, v10 dst_sel:DWORD dst_unused:UNUSED_PAD src0_sel:WORD_1 src1_sel:DWORD
	v_mov_b32_e32 v25, v11
	v_mov_b32_e32 v24, v10
	v_cmpx_gt_u32_e32 8, v23
; %bb.2020:                             ;   in Loop: Header=BB355_1571 Depth=1
	v_ffbh_u32_e32 v18, v10
	v_min_u32_e32 v18, 32, v18
	v_subrev_nc_u32_e32 v23, 28, v18
	v_sub_nc_u32_e32 v18, 29, v18
	v_lshlrev_b64 v[23:24], v23, v[10:11]
	v_and_b32_e32 v24, 7, v23
; %bb.2021:                             ;   in Loop: Header=BB355_1571 Depth=1
	s_or_b32 exec_lo, exec_lo, s21
	v_mov_b32_e32 v10, 24
	v_lshlrev_b32_e32 v23, 20, v24
	v_lshl_add_u32 v18, v18, 23, 0x3c000000
	v_lshlrev_b32_sdwa v10, v10, v20 dst_sel:DWORD dst_unused:UNUSED_PAD src0_sel:DWORD src1_sel:WORD_1
	v_and_b32_e32 v10, 0x80000000, v10
	v_or3_b32 v18, v23, v10, v18
.LBB355_2022:                           ;   in Loop: Header=BB355_1571 Depth=1
	s_or_b32 exec_lo, exec_lo, s20
.LBB355_2023:                           ;   in Loop: Header=BB355_1571 Depth=1
	s_or_b32 exec_lo, exec_lo, s19
.LBB355_2024:                           ;   in Loop: Header=BB355_1571 Depth=1
	s_or_b32 exec_lo, exec_lo, s18
	s_mov_b32 s18, exec_lo
	v_cmpx_lt_u64_e64 s[6:7], v[19:20]
	s_cbranch_execz .LBB355_2032
; %bb.2025:                             ;   in Loop: Header=BB355_1571 Depth=1
	v_cmp_ne_u32_sdwa s4, v20, v97 src0_sel:BYTE_3 src1_sel:DWORD
	v_bfrev_b32_e32 v14, 1
	s_and_saveexec_b32 s19, s4
	s_cbranch_execz .LBB355_2031
; %bb.2026:                             ;   in Loop: Header=BB355_1571 Depth=1
	v_bfe_u32 v19, v20, 24, 7
	v_mov_b32_e32 v14, 0x7f800001
	s_mov_b32 s20, exec_lo
	v_cmpx_ne_u32_e32 0x7f, v19
	s_cbranch_execz .LBB355_2030
; %bb.2027:                             ;   in Loop: Header=BB355_1571 Depth=1
	v_mov_b32_e32 v10, 7
	v_lshrrev_b32_e32 v14, 3, v19
	s_mov_b32 s21, exec_lo
	v_and_b32_sdwa v10, v20, v10 dst_sel:DWORD dst_unused:UNUSED_PAD src0_sel:BYTE_3 src1_sel:DWORD
	v_mov_b32_e32 v25, v11
	v_mov_b32_e32 v24, v10
	v_cmpx_gt_u32_e32 8, v19
; %bb.2028:                             ;   in Loop: Header=BB355_1571 Depth=1
	v_ffbh_u32_e32 v14, v10
	v_min_u32_e32 v14, 32, v14
	v_subrev_nc_u32_e32 v19, 28, v14
	v_sub_nc_u32_e32 v14, 29, v14
	v_lshlrev_b64 v[23:24], v19, v[10:11]
	v_and_b32_e32 v24, 7, v23
; %bb.2029:                             ;   in Loop: Header=BB355_1571 Depth=1
	s_or_b32 exec_lo, exec_lo, s21
	v_mov_b32_e32 v10, 24
	v_lshlrev_b32_e32 v19, 20, v24
	v_lshl_add_u32 v14, v14, 23, 0x3c000000
	v_lshlrev_b32_sdwa v10, v10, v20 dst_sel:DWORD dst_unused:UNUSED_PAD src0_sel:DWORD src1_sel:BYTE_3
	v_and_b32_e32 v10, 0x80000000, v10
	v_or3_b32 v14, v19, v10, v14
.LBB355_2030:                           ;   in Loop: Header=BB355_1571 Depth=1
	s_or_b32 exec_lo, exec_lo, s20
.LBB355_2031:                           ;   in Loop: Header=BB355_1571 Depth=1
	s_or_b32 exec_lo, exec_lo, s19
.LBB355_2032:                           ;   in Loop: Header=BB355_1571 Depth=1
	s_or_b32 exec_lo, exec_lo, s18
	v_mul_f32_e32 v10, v111, v22
	v_mul_f32_e32 v1, v111, v1
	v_mul_f32_e32 v0, v111, v0
	v_bfe_u32 v19, v10, 16, 1
	v_or_b32_e32 v20, 0x400000, v10
	v_cmp_u_f32_e64 s4, v10, v10
	v_add3_u32 v19, v19, v10, 0x7fff
	v_cndmask_b32_e64 v10, v19, v20, s4
	v_lshrrev_b32_e32 v10, 16, v10
	buffer_store_dword v10, off, s[0:3], s32 offset:420 ; 4-byte Folded Spill
	v_mul_f32_e32 v10, v111, v21
	v_bfe_u32 v19, v10, 16, 1
	v_or_b32_e32 v20, 0x400000, v10
	v_cmp_u_f32_e64 s4, v10, v10
	v_add3_u32 v19, v19, v10, 0x7fff
	v_cndmask_b32_e64 v10, v19, v20, s4
	v_lshrrev_b32_e32 v10, 16, v10
	buffer_store_dword v10, off, s[0:3], s32 offset:416 ; 4-byte Folded Spill
	v_mul_f32_e32 v10, v111, v13
	;; [unrolled: 8-line block ×3, first 2 shown]
	v_bfe_u32 v12, v10, 16, 1
	v_or_b32_e32 v13, 0x400000, v10
	v_cmp_u_f32_e64 s4, v10, v10
	v_add3_u32 v12, v12, v10, 0x7fff
	v_cndmask_b32_e64 v10, v12, v13, s4
	v_or_b32_e32 v12, 0x400000, v1
	v_cmp_u_f32_e64 s4, v1, v1
	v_lshrrev_b32_e32 v10, 16, v10
	buffer_store_dword v10, off, s[0:3], s32 offset:432 ; 4-byte Folded Spill
	v_bfe_u32 v10, v1, 16, 1
	v_add3_u32 v10, v10, v1, 0x7fff
	v_cndmask_b32_e64 v1, v10, v12, s4
	v_or_b32_e32 v10, 0x400000, v0
	v_cmp_u_f32_e64 s4, v0, v0
	v_lshrrev_b32_e32 v1, 16, v1
	buffer_store_dword v1, off, s[0:3], s32 offset:444 ; 4-byte Folded Spill
	v_bfe_u32 v1, v0, 16, 1
	v_add3_u32 v1, v1, v0, 0x7fff
	v_cndmask_b32_e64 v0, v1, v10, s4
	v_lshrrev_b32_e32 v0, 16, v0
	buffer_store_dword v0, off, s[0:3], s32 offset:440 ; 4-byte Folded Spill
	v_mul_f32_e32 v0, v111, v18
	v_bfe_u32 v1, v0, 16, 1
	v_or_b32_e32 v10, 0x400000, v0
	v_cmp_u_f32_e64 s4, v0, v0
	v_add3_u32 v1, v1, v0, 0x7fff
	v_cndmask_b32_e64 v0, v1, v10, s4
	v_lshrrev_b32_e32 v0, 16, v0
	buffer_store_dword v0, off, s[0:3], s32 offset:424 ; 4-byte Folded Spill
	v_mul_f32_e32 v0, v111, v14
	v_bfe_u32 v1, v0, 16, 1
	v_or_b32_e32 v10, 0x400000, v0
	v_cmp_u_f32_e64 s4, v0, v0
	v_add3_u32 v1, v1, v0, 0x7fff
	v_cndmask_b32_e64 v0, v1, v10, s4
	v_lshrrev_b32_e32 v0, 16, v0
	buffer_store_dword v0, off, s[0:3], s32 offset:436 ; 4-byte Folded Spill
	s_and_saveexec_b32 s18, vcc_lo
	s_cbranch_execz .LBB355_2034
; %bb.2033:                             ;   in Loop: Header=BB355_1571 Depth=1
	buffer_load_dword v0, off, s[0:3], s32 offset:440 ; 4-byte Folded Reload
	v_cmp_lt_i32_e64 s4, v109, v123
	s_waitcnt vmcnt(0)
	v_cndmask_b32_e64 v0, 0, v0, s4
	v_cmp_lt_i32_e64 s4, v74, v123
	buffer_store_dword v0, off, s[0:3], s32 offset:440 ; 4-byte Folded Spill
	buffer_load_dword v0, off, s[0:3], s32 offset:444 ; 4-byte Folded Reload
	s_waitcnt vmcnt(0)
	v_cndmask_b32_e64 v0, 0, v0, s4
	v_cmp_lt_i32_e64 s4, v35, v123
	buffer_store_dword v0, off, s[0:3], s32 offset:444 ; 4-byte Folded Spill
	buffer_load_dword v0, off, s[0:3], s32 offset:432 ; 4-byte Folded Reload
	;; [unrolled: 5-line block ×7, first 2 shown]
	s_waitcnt vmcnt(0)
	v_cndmask_b32_e64 v0, 0, v0, s4
	buffer_store_dword v0, off, s[0:3], s32 offset:436 ; 4-byte Folded Spill
.LBB355_2034:                           ;   in Loop: Header=BB355_1571 Depth=1
	s_or_b32 exec_lo, exec_lo, s18
	flat_load_dwordx2 v[19:20], v[16:17] offset:1792
	v_mov_b32_e32 v1, 0
	v_mov_b32_e32 v0, 0
	s_waitcnt vmcnt(0) lgkmcnt(0)
	v_cmp_ne_u16_sdwa s4, v19, v11 src0_sel:BYTE_0 src1_sel:DWORD
	s_and_saveexec_b32 s18, s4
	s_cbranch_execz .LBB355_2042
; %bb.2035:                             ;   in Loop: Header=BB355_1571 Depth=1
	v_cmp_ne_u16_sdwa s4, v19, v97 src0_sel:BYTE_0 src1_sel:DWORD
	v_bfrev_b32_e32 v0, 1
	s_and_saveexec_b32 s19, s4
	s_cbranch_execz .LBB355_2041
; %bb.2036:                             ;   in Loop: Header=BB355_1571 Depth=1
	v_and_b32_e32 v10, 0x7f, v19
	v_mov_b32_e32 v0, 0x7f800001
	s_mov_b32 s20, exec_lo
	v_cmpx_ne_u32_e32 0x7f, v10
	s_cbranch_execz .LBB355_2040
; %bb.2037:                             ;   in Loop: Header=BB355_1571 Depth=1
	v_mov_b32_e32 v25, v20
	v_lshrrev_b32_e32 v0, 3, v10
	v_mov_b32_e32 v24, v19
	s_mov_b32 s21, exec_lo
	v_cmpx_gt_u32_e32 8, v10
; %bb.2038:                             ;   in Loop: Header=BB355_1571 Depth=1
	v_and_b32_e32 v0, 7, v19
	v_ffbh_u32_e32 v0, v0
	v_min_u32_e32 v0, 32, v0
	v_subrev_nc_u32_e32 v10, 28, v0
	v_sub_nc_u32_e32 v0, 29, v0
	v_lshlrev_b64 v[24:25], v10, v[19:20]
; %bb.2039:                             ;   in Loop: Header=BB355_1571 Depth=1
	s_or_b32 exec_lo, exec_lo, s21
	v_lshlrev_b32_e32 v10, 20, v24
	v_lshlrev_b32_e32 v12, 24, v19
	v_lshl_add_u32 v0, v0, 23, 0x3c000000
	v_and_b32_e32 v10, 0x700000, v10
	v_and_b32_e32 v12, 0x80000000, v12
	v_or3_b32 v0, v10, v12, v0
.LBB355_2040:                           ;   in Loop: Header=BB355_1571 Depth=1
	s_or_b32 exec_lo, exec_lo, s20
.LBB355_2041:                           ;   in Loop: Header=BB355_1571 Depth=1
	s_or_b32 exec_lo, exec_lo, s19
.LBB355_2042:                           ;   in Loop: Header=BB355_1571 Depth=1
	s_or_b32 exec_lo, exec_lo, s18
	v_cmp_ne_u16_sdwa s4, v19, v11 src0_sel:BYTE_1 src1_sel:DWORD
	s_and_saveexec_b32 s18, s4
	s_cbranch_execz .LBB355_2050
; %bb.2043:                             ;   in Loop: Header=BB355_1571 Depth=1
	v_cmp_ne_u16_sdwa s4, v19, v97 src0_sel:BYTE_1 src1_sel:DWORD
	v_bfrev_b32_e32 v1, 1
	s_and_saveexec_b32 s19, s4
	s_cbranch_execz .LBB355_2049
; %bb.2044:                             ;   in Loop: Header=BB355_1571 Depth=1
	v_mov_b32_e32 v1, 0xffff
	s_mov_b32 s20, exec_lo
	v_and_b32_sdwa v10, v1, v19 dst_sel:DWORD dst_unused:UNUSED_PAD src0_sel:DWORD src1_sel:BYTE_1
	v_mov_b32_e32 v1, 0x7f800001
	v_and_b32_e32 v12, 0x7f, v10
	v_cmpx_ne_u32_e32 0x7f, v12
	s_cbranch_execz .LBB355_2048
; %bb.2045:                             ;   in Loop: Header=BB355_1571 Depth=1
	v_and_b32_e32 v10, 7, v10
	v_mov_b32_e32 v25, v11
	v_lshrrev_b32_e32 v1, 3, v12
	s_mov_b32 s21, exec_lo
	v_mov_b32_e32 v24, v10
	v_cmpx_gt_u32_e32 8, v12
; %bb.2046:                             ;   in Loop: Header=BB355_1571 Depth=1
	v_ffbh_u32_e32 v1, v10
	v_min_u32_e32 v1, 32, v1
	v_subrev_nc_u32_e32 v12, 28, v1
	v_sub_nc_u32_e32 v1, 29, v1
	v_lshlrev_b64 v[12:13], v12, v[10:11]
	v_and_b32_e32 v24, 7, v12
; %bb.2047:                             ;   in Loop: Header=BB355_1571 Depth=1
	s_or_b32 exec_lo, exec_lo, s21
	v_lshlrev_b32_e32 v10, 16, v19
	v_lshlrev_b32_e32 v12, 20, v24
	v_lshl_add_u32 v1, v1, 23, 0x3c000000
	v_and_b32_e32 v10, 0x80000000, v10
	v_or3_b32 v1, v12, v10, v1
.LBB355_2048:                           ;   in Loop: Header=BB355_1571 Depth=1
	s_or_b32 exec_lo, exec_lo, s20
.LBB355_2049:                           ;   in Loop: Header=BB355_1571 Depth=1
	s_or_b32 exec_lo, exec_lo, s19
.LBB355_2050:                           ;   in Loop: Header=BB355_1571 Depth=1
	s_or_b32 exec_lo, exec_lo, s18
	v_and_b32_sdwa v10, v19, v99 dst_sel:DWORD dst_unused:UNUSED_PAD src0_sel:WORD_1 src1_sel:DWORD
	v_mov_b32_e32 v13, 0
	v_mov_b32_e32 v12, 0
	s_mov_b32 s18, exec_lo
	v_cmpx_ne_u16_e32 0, v10
	s_cbranch_execz .LBB355_2058
; %bb.2051:                             ;   in Loop: Header=BB355_1571 Depth=1
	v_bfrev_b32_e32 v12, 1
	s_mov_b32 s19, exec_lo
	v_cmpx_ne_u16_e32 0x80, v10
	s_cbranch_execz .LBB355_2057
; %bb.2052:                             ;   in Loop: Header=BB355_1571 Depth=1
	v_bfe_u32 v14, v19, 16, 7
	v_mov_b32_e32 v12, 0x7f800001
	s_mov_b32 s20, exec_lo
	v_cmpx_ne_u32_e32 0x7f, v14
	s_cbranch_execz .LBB355_2056
; %bb.2053:                             ;   in Loop: Header=BB355_1571 Depth=1
	v_mov_b32_e32 v10, 7
	v_lshrrev_b32_e32 v12, 3, v14
	s_mov_b32 s21, exec_lo
	v_and_b32_sdwa v10, v19, v10 dst_sel:DWORD dst_unused:UNUSED_PAD src0_sel:WORD_1 src1_sel:DWORD
	v_mov_b32_e32 v25, v11
	v_mov_b32_e32 v24, v10
	v_cmpx_gt_u32_e32 8, v14
; %bb.2054:                             ;   in Loop: Header=BB355_1571 Depth=1
	v_ffbh_u32_e32 v12, v10
	v_min_u32_e32 v12, 32, v12
	v_subrev_nc_u32_e32 v14, 28, v12
	v_sub_nc_u32_e32 v12, 29, v12
	v_lshlrev_b64 v[21:22], v14, v[10:11]
	v_and_b32_e32 v24, 7, v21
; %bb.2055:                             ;   in Loop: Header=BB355_1571 Depth=1
	s_or_b32 exec_lo, exec_lo, s21
	v_mov_b32_e32 v10, 24
	v_lshlrev_b32_e32 v14, 20, v24
	v_lshl_add_u32 v12, v12, 23, 0x3c000000
	v_lshlrev_b32_sdwa v10, v10, v19 dst_sel:DWORD dst_unused:UNUSED_PAD src0_sel:DWORD src1_sel:WORD_1
	v_and_b32_e32 v10, 0x80000000, v10
	v_or3_b32 v12, v14, v10, v12
.LBB355_2056:                           ;   in Loop: Header=BB355_1571 Depth=1
	s_or_b32 exec_lo, exec_lo, s20
.LBB355_2057:                           ;   in Loop: Header=BB355_1571 Depth=1
	s_or_b32 exec_lo, exec_lo, s19
.LBB355_2058:                           ;   in Loop: Header=BB355_1571 Depth=1
	s_or_b32 exec_lo, exec_lo, s18
	s_mov_b32 s18, exec_lo
	v_cmpx_lt_u32_e32 0xffffff, v19
	s_cbranch_execz .LBB355_2066
; %bb.2059:                             ;   in Loop: Header=BB355_1571 Depth=1
	v_cmp_ne_u32_sdwa s4, v19, v97 src0_sel:BYTE_3 src1_sel:DWORD
	v_bfrev_b32_e32 v13, 1
	s_and_saveexec_b32 s19, s4
	s_cbranch_execz .LBB355_2065
; %bb.2060:                             ;   in Loop: Header=BB355_1571 Depth=1
	v_bfe_u32 v14, v19, 24, 7
	v_mov_b32_e32 v13, 0x7f800001
	s_mov_b32 s20, exec_lo
	v_cmpx_ne_u32_e32 0x7f, v14
	s_cbranch_execz .LBB355_2064
; %bb.2061:                             ;   in Loop: Header=BB355_1571 Depth=1
	v_mov_b32_e32 v10, 7
	v_lshrrev_b32_e32 v13, 3, v14
	s_mov_b32 s21, exec_lo
	v_and_b32_sdwa v10, v19, v10 dst_sel:DWORD dst_unused:UNUSED_PAD src0_sel:BYTE_3 src1_sel:DWORD
	v_mov_b32_e32 v25, v11
	v_mov_b32_e32 v24, v10
	v_cmpx_gt_u32_e32 8, v14
; %bb.2062:                             ;   in Loop: Header=BB355_1571 Depth=1
	v_ffbh_u32_e32 v13, v10
	v_min_u32_e32 v13, 32, v13
	v_subrev_nc_u32_e32 v14, 28, v13
	v_sub_nc_u32_e32 v13, 29, v13
	v_lshlrev_b64 v[21:22], v14, v[10:11]
	v_and_b32_e32 v24, 7, v21
; %bb.2063:                             ;   in Loop: Header=BB355_1571 Depth=1
	s_or_b32 exec_lo, exec_lo, s21
	v_mov_b32_e32 v10, 24
	v_lshlrev_b32_e32 v14, 20, v24
	v_lshl_add_u32 v13, v13, 23, 0x3c000000
	v_lshlrev_b32_sdwa v10, v10, v19 dst_sel:DWORD dst_unused:UNUSED_PAD src0_sel:DWORD src1_sel:BYTE_3
	v_and_b32_e32 v10, 0x80000000, v10
	v_or3_b32 v13, v14, v10, v13
.LBB355_2064:                           ;   in Loop: Header=BB355_1571 Depth=1
	s_or_b32 exec_lo, exec_lo, s20
.LBB355_2065:                           ;   in Loop: Header=BB355_1571 Depth=1
	s_or_b32 exec_lo, exec_lo, s19
.LBB355_2066:                           ;   in Loop: Header=BB355_1571 Depth=1
	s_or_b32 exec_lo, exec_lo, s18
	v_mov_b32_e32 v10, v20
	v_cmp_ne_u16_sdwa s4, v20, v11 src0_sel:BYTE_0 src1_sel:DWORD
	v_mov_b32_e32 v22, 0
	v_mov_b32_e32 v21, 0
	s_and_saveexec_b32 s18, s4
	s_cbranch_execz .LBB355_2074
; %bb.2067:                             ;   in Loop: Header=BB355_1571 Depth=1
	v_cmp_ne_u16_sdwa s4, v20, v97 src0_sel:BYTE_0 src1_sel:DWORD
	v_bfrev_b32_e32 v21, 1
	s_and_saveexec_b32 s19, s4
	s_cbranch_execz .LBB355_2073
; %bb.2068:                             ;   in Loop: Header=BB355_1571 Depth=1
	v_and_b32_e32 v18, 0x7f, v20
	v_mov_b32_e32 v21, 0x7f800001
	s_mov_b32 s20, exec_lo
	v_cmpx_ne_u32_e32 0x7f, v18
	s_cbranch_execz .LBB355_2072
; %bb.2069:                             ;   in Loop: Header=BB355_1571 Depth=1
	v_mov_b32_e32 v25, v11
	v_lshrrev_b32_e32 v14, 3, v18
	v_mov_b32_e32 v24, v10
	s_mov_b32 s21, exec_lo
	v_cmpx_gt_u32_e32 8, v18
; %bb.2070:                             ;   in Loop: Header=BB355_1571 Depth=1
	v_and_b32_e32 v14, 7, v20
	v_ffbh_u32_e32 v14, v14
	v_min_u32_e32 v14, 32, v14
	v_subrev_nc_u32_e32 v18, 28, v14
	v_sub_nc_u32_e32 v14, 29, v14
	v_lshlrev_b64 v[24:25], v18, v[10:11]
; %bb.2071:                             ;   in Loop: Header=BB355_1571 Depth=1
	s_or_b32 exec_lo, exec_lo, s21
	v_lshlrev_b32_e32 v18, 20, v24
	v_lshlrev_b32_e32 v21, 24, v10
	v_lshl_add_u32 v14, v14, 23, 0x3c000000
	v_and_b32_e32 v18, 0x700000, v18
	v_and_b32_e32 v21, 0x80000000, v21
	v_or3_b32 v21, v18, v21, v14
.LBB355_2072:                           ;   in Loop: Header=BB355_1571 Depth=1
	s_or_b32 exec_lo, exec_lo, s20
.LBB355_2073:                           ;   in Loop: Header=BB355_1571 Depth=1
	s_or_b32 exec_lo, exec_lo, s19
.LBB355_2074:                           ;   in Loop: Header=BB355_1571 Depth=1
	s_or_b32 exec_lo, exec_lo, s18
	v_cmp_ne_u16_sdwa s4, v10, v11 src0_sel:BYTE_1 src1_sel:DWORD
	s_and_saveexec_b32 s18, s4
	s_cbranch_execz .LBB355_2082
; %bb.2075:                             ;   in Loop: Header=BB355_1571 Depth=1
	v_cmp_ne_u16_sdwa s4, v10, v97 src0_sel:BYTE_1 src1_sel:DWORD
	v_bfrev_b32_e32 v22, 1
	s_and_saveexec_b32 s19, s4
	s_cbranch_execz .LBB355_2081
; %bb.2076:                             ;   in Loop: Header=BB355_1571 Depth=1
	v_mov_b32_e32 v14, 0xffff
	v_mov_b32_e32 v22, 0x7f800001
	s_mov_b32 s20, exec_lo
	v_and_b32_sdwa v14, v14, v10 dst_sel:DWORD dst_unused:UNUSED_PAD src0_sel:DWORD src1_sel:BYTE_1
	v_and_b32_e32 v18, 0x7f, v14
	v_cmpx_ne_u32_e32 0x7f, v18
	s_cbranch_execz .LBB355_2080
; %bb.2077:                             ;   in Loop: Header=BB355_1571 Depth=1
	v_and_b32_e32 v24, 7, v14
	v_mov_b32_e32 v25, v11
	v_lshrrev_b32_e32 v14, 3, v18
	s_mov_b32 s21, exec_lo
	v_cmpx_gt_u32_e32 8, v18
; %bb.2078:                             ;   in Loop: Header=BB355_1571 Depth=1
	v_ffbh_u32_e32 v14, v24
	v_min_u32_e32 v14, 32, v14
	v_subrev_nc_u32_e32 v18, 28, v14
	v_sub_nc_u32_e32 v14, 29, v14
	v_lshlrev_b64 v[22:23], v18, v[24:25]
	v_and_b32_e32 v24, 7, v22
; %bb.2079:                             ;   in Loop: Header=BB355_1571 Depth=1
	s_or_b32 exec_lo, exec_lo, s21
	v_lshlrev_b32_e32 v10, 16, v10
	v_lshlrev_b32_e32 v18, 20, v24
	v_lshl_add_u32 v14, v14, 23, 0x3c000000
	v_and_b32_e32 v10, 0x80000000, v10
	v_or3_b32 v22, v18, v10, v14
.LBB355_2080:                           ;   in Loop: Header=BB355_1571 Depth=1
	s_or_b32 exec_lo, exec_lo, s20
.LBB355_2081:                           ;   in Loop: Header=BB355_1571 Depth=1
	s_or_b32 exec_lo, exec_lo, s19
.LBB355_2082:                           ;   in Loop: Header=BB355_1571 Depth=1
	s_or_b32 exec_lo, exec_lo, s18
	v_and_b32_sdwa v10, v20, v99 dst_sel:DWORD dst_unused:UNUSED_PAD src0_sel:WORD_1 src1_sel:DWORD
	v_mov_b32_e32 v14, 0
	v_mov_b32_e32 v18, 0
	s_mov_b32 s18, exec_lo
	v_cmpx_ne_u16_e32 0, v10
	s_cbranch_execz .LBB355_2090
; %bb.2083:                             ;   in Loop: Header=BB355_1571 Depth=1
	v_bfrev_b32_e32 v18, 1
	s_mov_b32 s19, exec_lo
	v_cmpx_ne_u16_e32 0x80, v10
	s_cbranch_execz .LBB355_2089
; %bb.2084:                             ;   in Loop: Header=BB355_1571 Depth=1
	v_bfe_u32 v23, v20, 16, 7
	v_mov_b32_e32 v18, 0x7f800001
	s_mov_b32 s20, exec_lo
	v_cmpx_ne_u32_e32 0x7f, v23
	s_cbranch_execz .LBB355_2088
; %bb.2085:                             ;   in Loop: Header=BB355_1571 Depth=1
	v_mov_b32_e32 v10, 7
	v_lshrrev_b32_e32 v18, 3, v23
	s_mov_b32 s21, exec_lo
	v_and_b32_sdwa v10, v20, v10 dst_sel:DWORD dst_unused:UNUSED_PAD src0_sel:WORD_1 src1_sel:DWORD
	v_mov_b32_e32 v25, v11
	v_mov_b32_e32 v24, v10
	v_cmpx_gt_u32_e32 8, v23
; %bb.2086:                             ;   in Loop: Header=BB355_1571 Depth=1
	v_ffbh_u32_e32 v18, v10
	v_min_u32_e32 v18, 32, v18
	v_subrev_nc_u32_e32 v23, 28, v18
	v_sub_nc_u32_e32 v18, 29, v18
	v_lshlrev_b64 v[23:24], v23, v[10:11]
	v_and_b32_e32 v24, 7, v23
; %bb.2087:                             ;   in Loop: Header=BB355_1571 Depth=1
	s_or_b32 exec_lo, exec_lo, s21
	v_mov_b32_e32 v10, 24
	v_lshlrev_b32_e32 v23, 20, v24
	v_lshl_add_u32 v18, v18, 23, 0x3c000000
	v_lshlrev_b32_sdwa v10, v10, v20 dst_sel:DWORD dst_unused:UNUSED_PAD src0_sel:DWORD src1_sel:WORD_1
	v_and_b32_e32 v10, 0x80000000, v10
	v_or3_b32 v18, v23, v10, v18
.LBB355_2088:                           ;   in Loop: Header=BB355_1571 Depth=1
	s_or_b32 exec_lo, exec_lo, s20
.LBB355_2089:                           ;   in Loop: Header=BB355_1571 Depth=1
	s_or_b32 exec_lo, exec_lo, s19
.LBB355_2090:                           ;   in Loop: Header=BB355_1571 Depth=1
	s_or_b32 exec_lo, exec_lo, s18
	s_mov_b32 s18, exec_lo
	v_cmpx_lt_u64_e64 s[6:7], v[19:20]
	s_cbranch_execz .LBB355_2098
; %bb.2091:                             ;   in Loop: Header=BB355_1571 Depth=1
	v_cmp_ne_u32_sdwa s4, v20, v97 src0_sel:BYTE_3 src1_sel:DWORD
	v_bfrev_b32_e32 v14, 1
	s_and_saveexec_b32 s19, s4
	s_cbranch_execz .LBB355_2097
; %bb.2092:                             ;   in Loop: Header=BB355_1571 Depth=1
	v_bfe_u32 v19, v20, 24, 7
	v_mov_b32_e32 v14, 0x7f800001
	s_mov_b32 s20, exec_lo
	v_cmpx_ne_u32_e32 0x7f, v19
	s_cbranch_execz .LBB355_2096
; %bb.2093:                             ;   in Loop: Header=BB355_1571 Depth=1
	v_mov_b32_e32 v10, 7
	v_lshrrev_b32_e32 v14, 3, v19
	s_mov_b32 s21, exec_lo
	v_and_b32_sdwa v10, v20, v10 dst_sel:DWORD dst_unused:UNUSED_PAD src0_sel:BYTE_3 src1_sel:DWORD
	v_mov_b32_e32 v25, v11
	v_mov_b32_e32 v24, v10
	v_cmpx_gt_u32_e32 8, v19
; %bb.2094:                             ;   in Loop: Header=BB355_1571 Depth=1
	v_ffbh_u32_e32 v14, v10
	v_min_u32_e32 v14, 32, v14
	v_subrev_nc_u32_e32 v19, 28, v14
	v_sub_nc_u32_e32 v14, 29, v14
	v_lshlrev_b64 v[23:24], v19, v[10:11]
	v_and_b32_e32 v24, 7, v23
; %bb.2095:                             ;   in Loop: Header=BB355_1571 Depth=1
	s_or_b32 exec_lo, exec_lo, s21
	v_mov_b32_e32 v10, 24
	v_lshlrev_b32_e32 v19, 20, v24
	v_lshl_add_u32 v14, v14, 23, 0x3c000000
	v_lshlrev_b32_sdwa v10, v10, v20 dst_sel:DWORD dst_unused:UNUSED_PAD src0_sel:DWORD src1_sel:BYTE_3
	v_and_b32_e32 v10, 0x80000000, v10
	v_or3_b32 v14, v19, v10, v14
.LBB355_2096:                           ;   in Loop: Header=BB355_1571 Depth=1
	s_or_b32 exec_lo, exec_lo, s20
.LBB355_2097:                           ;   in Loop: Header=BB355_1571 Depth=1
	s_or_b32 exec_lo, exec_lo, s19
.LBB355_2098:                           ;   in Loop: Header=BB355_1571 Depth=1
	s_or_b32 exec_lo, exec_lo, s18
	v_mul_f32_e32 v10, v111, v22
	v_mul_f32_e32 v1, v111, v1
	;; [unrolled: 1-line block ×3, first 2 shown]
	v_bfe_u32 v19, v10, 16, 1
	v_or_b32_e32 v20, 0x400000, v10
	v_cmp_u_f32_e64 s4, v10, v10
	v_add3_u32 v19, v19, v10, 0x7fff
	v_cndmask_b32_e64 v10, v19, v20, s4
	v_lshrrev_b32_e32 v10, 16, v10
	buffer_store_dword v10, off, s[0:3], s32 offset:452 ; 4-byte Folded Spill
	v_mul_f32_e32 v10, v111, v21
	v_bfe_u32 v19, v10, 16, 1
	v_or_b32_e32 v20, 0x400000, v10
	v_cmp_u_f32_e64 s4, v10, v10
	v_add3_u32 v19, v19, v10, 0x7fff
	v_cndmask_b32_e64 v10, v19, v20, s4
	v_lshrrev_b32_e32 v10, 16, v10
	buffer_store_dword v10, off, s[0:3], s32 offset:448 ; 4-byte Folded Spill
	v_mul_f32_e32 v10, v111, v13
	;; [unrolled: 8-line block ×3, first 2 shown]
	v_bfe_u32 v12, v10, 16, 1
	v_or_b32_e32 v13, 0x400000, v10
	v_cmp_u_f32_e64 s4, v10, v10
	v_add3_u32 v12, v12, v10, 0x7fff
	v_cndmask_b32_e64 v10, v12, v13, s4
	v_or_b32_e32 v12, 0x400000, v1
	v_cmp_u_f32_e64 s4, v1, v1
	v_lshrrev_b32_e32 v10, 16, v10
	buffer_store_dword v10, off, s[0:3], s32 offset:464 ; 4-byte Folded Spill
	v_bfe_u32 v10, v1, 16, 1
	v_add3_u32 v10, v10, v1, 0x7fff
	v_cndmask_b32_e64 v1, v10, v12, s4
	v_or_b32_e32 v10, 0x400000, v0
	v_cmp_u_f32_e64 s4, v0, v0
	v_lshrrev_b32_e32 v1, 16, v1
	buffer_store_dword v1, off, s[0:3], s32 offset:476 ; 4-byte Folded Spill
	v_bfe_u32 v1, v0, 16, 1
	v_add3_u32 v1, v1, v0, 0x7fff
	v_cndmask_b32_e64 v0, v1, v10, s4
	v_lshrrev_b32_e32 v0, 16, v0
	buffer_store_dword v0, off, s[0:3], s32 offset:472 ; 4-byte Folded Spill
	v_mul_f32_e32 v0, v111, v18
	v_bfe_u32 v1, v0, 16, 1
	v_or_b32_e32 v10, 0x400000, v0
	v_cmp_u_f32_e64 s4, v0, v0
	v_add3_u32 v1, v1, v0, 0x7fff
	v_cndmask_b32_e64 v0, v1, v10, s4
	v_lshrrev_b32_e32 v0, 16, v0
	buffer_store_dword v0, off, s[0:3], s32 offset:456 ; 4-byte Folded Spill
	v_mul_f32_e32 v0, v111, v14
	v_bfe_u32 v1, v0, 16, 1
	v_or_b32_e32 v10, 0x400000, v0
	v_cmp_u_f32_e64 s4, v0, v0
	v_add3_u32 v1, v1, v0, 0x7fff
	v_cndmask_b32_e64 v0, v1, v10, s4
	v_lshrrev_b32_e32 v0, 16, v0
	buffer_store_dword v0, off, s[0:3], s32 offset:468 ; 4-byte Folded Spill
	s_and_saveexec_b32 s18, vcc_lo
	s_cbranch_execz .LBB355_2100
; %bb.2099:                             ;   in Loop: Header=BB355_1571 Depth=1
	buffer_load_dword v0, off, s[0:3], s32 offset:472 ; 4-byte Folded Reload
	v_cmp_lt_i32_e64 s4, v109, v123
	s_waitcnt vmcnt(0)
	v_cndmask_b32_e64 v0, 0, v0, s4
	v_cmp_lt_i32_e64 s4, v74, v123
	buffer_store_dword v0, off, s[0:3], s32 offset:472 ; 4-byte Folded Spill
	buffer_load_dword v0, off, s[0:3], s32 offset:476 ; 4-byte Folded Reload
	s_waitcnt vmcnt(0)
	v_cndmask_b32_e64 v0, 0, v0, s4
	v_cmp_lt_i32_e64 s4, v35, v123
	buffer_store_dword v0, off, s[0:3], s32 offset:476 ; 4-byte Folded Spill
	buffer_load_dword v0, off, s[0:3], s32 offset:464 ; 4-byte Folded Reload
	;; [unrolled: 5-line block ×7, first 2 shown]
	s_waitcnt vmcnt(0)
	v_cndmask_b32_e64 v0, 0, v0, s4
	buffer_store_dword v0, off, s[0:3], s32 offset:468 ; 4-byte Folded Spill
.LBB355_2100:                           ;   in Loop: Header=BB355_1571 Depth=1
	s_or_b32 exec_lo, exec_lo, s18
	v_add_co_u32 v19, s4, 0x800, v16
	v_add_co_ci_u32_e64 v20, null, 0, v17, s4
	v_mov_b32_e32 v1, 0
	v_mov_b32_e32 v0, 0
	flat_load_dwordx2 v[24:25], v[19:20]
	s_waitcnt vmcnt(0) lgkmcnt(0)
	v_cmp_ne_u16_sdwa s4, v24, v11 src0_sel:BYTE_0 src1_sel:DWORD
	s_and_saveexec_b32 s18, s4
	s_cbranch_execz .LBB355_2108
; %bb.2101:                             ;   in Loop: Header=BB355_1571 Depth=1
	v_cmp_ne_u16_sdwa s4, v24, v97 src0_sel:BYTE_0 src1_sel:DWORD
	v_bfrev_b32_e32 v0, 1
	s_and_saveexec_b32 s19, s4
	s_cbranch_execz .LBB355_2107
; %bb.2102:                             ;   in Loop: Header=BB355_1571 Depth=1
	v_and_b32_e32 v10, 0x7f, v24
	v_mov_b32_e32 v0, 0x7f800001
	s_mov_b32 s20, exec_lo
	v_cmpx_ne_u32_e32 0x7f, v10
	s_cbranch_execz .LBB355_2106
; %bb.2103:                             ;   in Loop: Header=BB355_1571 Depth=1
	v_mov_b32_e32 v27, v25
	v_lshrrev_b32_e32 v0, 3, v10
	v_mov_b32_e32 v26, v24
	s_mov_b32 s21, exec_lo
	v_cmpx_gt_u32_e32 8, v10
; %bb.2104:                             ;   in Loop: Header=BB355_1571 Depth=1
	v_and_b32_e32 v0, 7, v24
	v_ffbh_u32_e32 v0, v0
	v_min_u32_e32 v0, 32, v0
	v_subrev_nc_u32_e32 v10, 28, v0
	v_sub_nc_u32_e32 v0, 29, v0
	v_lshlrev_b64 v[26:27], v10, v[24:25]
; %bb.2105:                             ;   in Loop: Header=BB355_1571 Depth=1
	s_or_b32 exec_lo, exec_lo, s21
	v_lshlrev_b32_e32 v10, 20, v26
	v_lshlrev_b32_e32 v12, 24, v24
	v_lshl_add_u32 v0, v0, 23, 0x3c000000
	v_and_b32_e32 v10, 0x700000, v10
	v_and_b32_e32 v12, 0x80000000, v12
	v_or3_b32 v0, v10, v12, v0
.LBB355_2106:                           ;   in Loop: Header=BB355_1571 Depth=1
	s_or_b32 exec_lo, exec_lo, s20
.LBB355_2107:                           ;   in Loop: Header=BB355_1571 Depth=1
	s_or_b32 exec_lo, exec_lo, s19
.LBB355_2108:                           ;   in Loop: Header=BB355_1571 Depth=1
	s_or_b32 exec_lo, exec_lo, s18
	v_cmp_ne_u16_sdwa s4, v24, v11 src0_sel:BYTE_1 src1_sel:DWORD
	s_and_saveexec_b32 s18, s4
	s_cbranch_execz .LBB355_2116
; %bb.2109:                             ;   in Loop: Header=BB355_1571 Depth=1
	v_cmp_ne_u16_sdwa s4, v24, v97 src0_sel:BYTE_1 src1_sel:DWORD
	v_bfrev_b32_e32 v1, 1
	s_and_saveexec_b32 s19, s4
	s_cbranch_execz .LBB355_2115
; %bb.2110:                             ;   in Loop: Header=BB355_1571 Depth=1
	v_mov_b32_e32 v1, 0xffff
	s_mov_b32 s20, exec_lo
	v_and_b32_sdwa v10, v1, v24 dst_sel:DWORD dst_unused:UNUSED_PAD src0_sel:DWORD src1_sel:BYTE_1
	v_mov_b32_e32 v1, 0x7f800001
	v_and_b32_e32 v12, 0x7f, v10
	v_cmpx_ne_u32_e32 0x7f, v12
	s_cbranch_execz .LBB355_2114
; %bb.2111:                             ;   in Loop: Header=BB355_1571 Depth=1
	v_and_b32_e32 v10, 7, v10
	v_mov_b32_e32 v27, v11
	v_lshrrev_b32_e32 v1, 3, v12
	s_mov_b32 s21, exec_lo
	v_mov_b32_e32 v26, v10
	v_cmpx_gt_u32_e32 8, v12
; %bb.2112:                             ;   in Loop: Header=BB355_1571 Depth=1
	v_ffbh_u32_e32 v1, v10
	v_min_u32_e32 v1, 32, v1
	v_subrev_nc_u32_e32 v12, 28, v1
	v_sub_nc_u32_e32 v1, 29, v1
	v_lshlrev_b64 v[12:13], v12, v[10:11]
	v_and_b32_e32 v26, 7, v12
; %bb.2113:                             ;   in Loop: Header=BB355_1571 Depth=1
	s_or_b32 exec_lo, exec_lo, s21
	v_lshlrev_b32_e32 v10, 16, v24
	v_lshlrev_b32_e32 v12, 20, v26
	v_lshl_add_u32 v1, v1, 23, 0x3c000000
	v_and_b32_e32 v10, 0x80000000, v10
	v_or3_b32 v1, v12, v10, v1
.LBB355_2114:                           ;   in Loop: Header=BB355_1571 Depth=1
	s_or_b32 exec_lo, exec_lo, s20
.LBB355_2115:                           ;   in Loop: Header=BB355_1571 Depth=1
	s_or_b32 exec_lo, exec_lo, s19
.LBB355_2116:                           ;   in Loop: Header=BB355_1571 Depth=1
	s_or_b32 exec_lo, exec_lo, s18
	v_and_b32_sdwa v10, v24, v99 dst_sel:DWORD dst_unused:UNUSED_PAD src0_sel:WORD_1 src1_sel:DWORD
	v_mov_b32_e32 v13, 0
	v_mov_b32_e32 v12, 0
	s_mov_b32 s18, exec_lo
	v_cmpx_ne_u16_e32 0, v10
	s_cbranch_execz .LBB355_2124
; %bb.2117:                             ;   in Loop: Header=BB355_1571 Depth=1
	v_bfrev_b32_e32 v12, 1
	s_mov_b32 s19, exec_lo
	v_cmpx_ne_u16_e32 0x80, v10
	s_cbranch_execz .LBB355_2123
; %bb.2118:                             ;   in Loop: Header=BB355_1571 Depth=1
	v_bfe_u32 v14, v24, 16, 7
	v_mov_b32_e32 v12, 0x7f800001
	s_mov_b32 s20, exec_lo
	v_cmpx_ne_u32_e32 0x7f, v14
	s_cbranch_execz .LBB355_2122
; %bb.2119:                             ;   in Loop: Header=BB355_1571 Depth=1
	v_mov_b32_e32 v10, 7
	v_lshrrev_b32_e32 v12, 3, v14
	s_mov_b32 s21, exec_lo
	v_and_b32_sdwa v10, v24, v10 dst_sel:DWORD dst_unused:UNUSED_PAD src0_sel:WORD_1 src1_sel:DWORD
	v_mov_b32_e32 v27, v11
	v_mov_b32_e32 v26, v10
	v_cmpx_gt_u32_e32 8, v14
; %bb.2120:                             ;   in Loop: Header=BB355_1571 Depth=1
	v_ffbh_u32_e32 v12, v10
	v_min_u32_e32 v12, 32, v12
	v_subrev_nc_u32_e32 v14, 28, v12
	v_sub_nc_u32_e32 v12, 29, v12
	v_lshlrev_b64 v[21:22], v14, v[10:11]
	v_and_b32_e32 v26, 7, v21
; %bb.2121:                             ;   in Loop: Header=BB355_1571 Depth=1
	s_or_b32 exec_lo, exec_lo, s21
	v_mov_b32_e32 v10, 24
	v_lshlrev_b32_e32 v14, 20, v26
	v_lshl_add_u32 v12, v12, 23, 0x3c000000
	v_lshlrev_b32_sdwa v10, v10, v24 dst_sel:DWORD dst_unused:UNUSED_PAD src0_sel:DWORD src1_sel:WORD_1
	v_and_b32_e32 v10, 0x80000000, v10
	v_or3_b32 v12, v14, v10, v12
.LBB355_2122:                           ;   in Loop: Header=BB355_1571 Depth=1
	s_or_b32 exec_lo, exec_lo, s20
.LBB355_2123:                           ;   in Loop: Header=BB355_1571 Depth=1
	s_or_b32 exec_lo, exec_lo, s19
.LBB355_2124:                           ;   in Loop: Header=BB355_1571 Depth=1
	s_or_b32 exec_lo, exec_lo, s18
	s_mov_b32 s18, exec_lo
	v_cmpx_lt_u32_e32 0xffffff, v24
	s_cbranch_execz .LBB355_2132
; %bb.2125:                             ;   in Loop: Header=BB355_1571 Depth=1
	v_cmp_ne_u32_sdwa s4, v24, v97 src0_sel:BYTE_3 src1_sel:DWORD
	v_bfrev_b32_e32 v13, 1
	s_and_saveexec_b32 s19, s4
	s_cbranch_execz .LBB355_2131
; %bb.2126:                             ;   in Loop: Header=BB355_1571 Depth=1
	v_bfe_u32 v14, v24, 24, 7
	v_mov_b32_e32 v13, 0x7f800001
	s_mov_b32 s20, exec_lo
	v_cmpx_ne_u32_e32 0x7f, v14
	s_cbranch_execz .LBB355_2130
; %bb.2127:                             ;   in Loop: Header=BB355_1571 Depth=1
	v_mov_b32_e32 v10, 7
	v_lshrrev_b32_e32 v13, 3, v14
	s_mov_b32 s21, exec_lo
	v_and_b32_sdwa v10, v24, v10 dst_sel:DWORD dst_unused:UNUSED_PAD src0_sel:BYTE_3 src1_sel:DWORD
	v_mov_b32_e32 v27, v11
	v_mov_b32_e32 v26, v10
	v_cmpx_gt_u32_e32 8, v14
; %bb.2128:                             ;   in Loop: Header=BB355_1571 Depth=1
	v_ffbh_u32_e32 v13, v10
	v_min_u32_e32 v13, 32, v13
	v_subrev_nc_u32_e32 v14, 28, v13
	v_sub_nc_u32_e32 v13, 29, v13
	v_lshlrev_b64 v[21:22], v14, v[10:11]
	v_and_b32_e32 v26, 7, v21
; %bb.2129:                             ;   in Loop: Header=BB355_1571 Depth=1
	s_or_b32 exec_lo, exec_lo, s21
	v_mov_b32_e32 v10, 24
	v_lshlrev_b32_e32 v14, 20, v26
	v_lshl_add_u32 v13, v13, 23, 0x3c000000
	v_lshlrev_b32_sdwa v10, v10, v24 dst_sel:DWORD dst_unused:UNUSED_PAD src0_sel:DWORD src1_sel:BYTE_3
	v_and_b32_e32 v10, 0x80000000, v10
	v_or3_b32 v13, v14, v10, v13
.LBB355_2130:                           ;   in Loop: Header=BB355_1571 Depth=1
	s_or_b32 exec_lo, exec_lo, s20
.LBB355_2131:                           ;   in Loop: Header=BB355_1571 Depth=1
	s_or_b32 exec_lo, exec_lo, s19
.LBB355_2132:                           ;   in Loop: Header=BB355_1571 Depth=1
	s_or_b32 exec_lo, exec_lo, s18
	v_mov_b32_e32 v10, v25
	v_cmp_ne_u16_sdwa s4, v25, v11 src0_sel:BYTE_0 src1_sel:DWORD
	v_mov_b32_e32 v22, 0
	v_mov_b32_e32 v21, 0
	s_and_saveexec_b32 s18, s4
	s_cbranch_execz .LBB355_2140
; %bb.2133:                             ;   in Loop: Header=BB355_1571 Depth=1
	v_cmp_ne_u16_sdwa s4, v25, v97 src0_sel:BYTE_0 src1_sel:DWORD
	v_bfrev_b32_e32 v21, 1
	s_and_saveexec_b32 s19, s4
	s_cbranch_execz .LBB355_2139
; %bb.2134:                             ;   in Loop: Header=BB355_1571 Depth=1
	v_and_b32_e32 v18, 0x7f, v25
	v_mov_b32_e32 v21, 0x7f800001
	s_mov_b32 s20, exec_lo
	v_cmpx_ne_u32_e32 0x7f, v18
	s_cbranch_execz .LBB355_2138
; %bb.2135:                             ;   in Loop: Header=BB355_1571 Depth=1
	v_mov_b32_e32 v27, v11
	v_lshrrev_b32_e32 v14, 3, v18
	v_mov_b32_e32 v26, v10
	s_mov_b32 s21, exec_lo
	v_cmpx_gt_u32_e32 8, v18
; %bb.2136:                             ;   in Loop: Header=BB355_1571 Depth=1
	v_and_b32_e32 v14, 7, v25
	v_ffbh_u32_e32 v14, v14
	v_min_u32_e32 v14, 32, v14
	v_subrev_nc_u32_e32 v18, 28, v14
	v_sub_nc_u32_e32 v14, 29, v14
	v_lshlrev_b64 v[26:27], v18, v[10:11]
; %bb.2137:                             ;   in Loop: Header=BB355_1571 Depth=1
	s_or_b32 exec_lo, exec_lo, s21
	v_lshlrev_b32_e32 v18, 20, v26
	v_lshlrev_b32_e32 v21, 24, v10
	v_lshl_add_u32 v14, v14, 23, 0x3c000000
	v_and_b32_e32 v18, 0x700000, v18
	v_and_b32_e32 v21, 0x80000000, v21
	v_or3_b32 v21, v18, v21, v14
.LBB355_2138:                           ;   in Loop: Header=BB355_1571 Depth=1
	s_or_b32 exec_lo, exec_lo, s20
.LBB355_2139:                           ;   in Loop: Header=BB355_1571 Depth=1
	s_or_b32 exec_lo, exec_lo, s19
.LBB355_2140:                           ;   in Loop: Header=BB355_1571 Depth=1
	s_or_b32 exec_lo, exec_lo, s18
	v_cmp_ne_u16_sdwa s4, v10, v11 src0_sel:BYTE_1 src1_sel:DWORD
	s_and_saveexec_b32 s18, s4
	s_cbranch_execz .LBB355_2148
; %bb.2141:                             ;   in Loop: Header=BB355_1571 Depth=1
	v_cmp_ne_u16_sdwa s4, v10, v97 src0_sel:BYTE_1 src1_sel:DWORD
	v_bfrev_b32_e32 v22, 1
	s_and_saveexec_b32 s19, s4
	s_cbranch_execz .LBB355_2147
; %bb.2142:                             ;   in Loop: Header=BB355_1571 Depth=1
	v_mov_b32_e32 v14, 0xffff
	v_mov_b32_e32 v22, 0x7f800001
	s_mov_b32 s20, exec_lo
	v_and_b32_sdwa v14, v14, v10 dst_sel:DWORD dst_unused:UNUSED_PAD src0_sel:DWORD src1_sel:BYTE_1
	v_and_b32_e32 v18, 0x7f, v14
	v_cmpx_ne_u32_e32 0x7f, v18
	s_cbranch_execz .LBB355_2146
; %bb.2143:                             ;   in Loop: Header=BB355_1571 Depth=1
	v_and_b32_e32 v26, 7, v14
	v_mov_b32_e32 v27, v11
	v_lshrrev_b32_e32 v14, 3, v18
	s_mov_b32 s21, exec_lo
	v_cmpx_gt_u32_e32 8, v18
; %bb.2144:                             ;   in Loop: Header=BB355_1571 Depth=1
	v_ffbh_u32_e32 v14, v26
	v_min_u32_e32 v14, 32, v14
	v_subrev_nc_u32_e32 v18, 28, v14
	v_sub_nc_u32_e32 v14, 29, v14
	v_lshlrev_b64 v[22:23], v18, v[26:27]
	v_and_b32_e32 v26, 7, v22
; %bb.2145:                             ;   in Loop: Header=BB355_1571 Depth=1
	s_or_b32 exec_lo, exec_lo, s21
	v_lshlrev_b32_e32 v10, 16, v10
	v_lshlrev_b32_e32 v18, 20, v26
	v_lshl_add_u32 v14, v14, 23, 0x3c000000
	v_and_b32_e32 v10, 0x80000000, v10
	v_or3_b32 v22, v18, v10, v14
.LBB355_2146:                           ;   in Loop: Header=BB355_1571 Depth=1
	s_or_b32 exec_lo, exec_lo, s20
.LBB355_2147:                           ;   in Loop: Header=BB355_1571 Depth=1
	s_or_b32 exec_lo, exec_lo, s19
.LBB355_2148:                           ;   in Loop: Header=BB355_1571 Depth=1
	s_or_b32 exec_lo, exec_lo, s18
	v_and_b32_sdwa v10, v25, v99 dst_sel:DWORD dst_unused:UNUSED_PAD src0_sel:WORD_1 src1_sel:DWORD
	v_mov_b32_e32 v14, 0
	v_mov_b32_e32 v18, 0
	s_mov_b32 s18, exec_lo
	v_cmpx_ne_u16_e32 0, v10
	s_cbranch_execz .LBB355_2156
; %bb.2149:                             ;   in Loop: Header=BB355_1571 Depth=1
	v_bfrev_b32_e32 v18, 1
	s_mov_b32 s19, exec_lo
	v_cmpx_ne_u16_e32 0x80, v10
	s_cbranch_execz .LBB355_2155
; %bb.2150:                             ;   in Loop: Header=BB355_1571 Depth=1
	v_bfe_u32 v23, v25, 16, 7
	v_mov_b32_e32 v18, 0x7f800001
	s_mov_b32 s20, exec_lo
	v_cmpx_ne_u32_e32 0x7f, v23
	s_cbranch_execz .LBB355_2154
; %bb.2151:                             ;   in Loop: Header=BB355_1571 Depth=1
	v_mov_b32_e32 v10, 7
	v_lshrrev_b32_e32 v18, 3, v23
	s_mov_b32 s21, exec_lo
	v_and_b32_sdwa v10, v25, v10 dst_sel:DWORD dst_unused:UNUSED_PAD src0_sel:WORD_1 src1_sel:DWORD
	v_mov_b32_e32 v27, v11
	v_mov_b32_e32 v26, v10
	v_cmpx_gt_u32_e32 8, v23
; %bb.2152:                             ;   in Loop: Header=BB355_1571 Depth=1
	v_ffbh_u32_e32 v18, v10
	v_min_u32_e32 v18, 32, v18
	v_subrev_nc_u32_e32 v23, 28, v18
	v_sub_nc_u32_e32 v18, 29, v18
	v_lshlrev_b64 v[26:27], v23, v[10:11]
	v_and_b32_e32 v26, 7, v26
; %bb.2153:                             ;   in Loop: Header=BB355_1571 Depth=1
	s_or_b32 exec_lo, exec_lo, s21
	v_mov_b32_e32 v10, 24
	v_lshlrev_b32_e32 v23, 20, v26
	v_lshl_add_u32 v18, v18, 23, 0x3c000000
	v_lshlrev_b32_sdwa v10, v10, v25 dst_sel:DWORD dst_unused:UNUSED_PAD src0_sel:DWORD src1_sel:WORD_1
	v_and_b32_e32 v10, 0x80000000, v10
	v_or3_b32 v18, v23, v10, v18
.LBB355_2154:                           ;   in Loop: Header=BB355_1571 Depth=1
	s_or_b32 exec_lo, exec_lo, s20
.LBB355_2155:                           ;   in Loop: Header=BB355_1571 Depth=1
	s_or_b32 exec_lo, exec_lo, s19
.LBB355_2156:                           ;   in Loop: Header=BB355_1571 Depth=1
	s_or_b32 exec_lo, exec_lo, s18
	s_mov_b32 s18, exec_lo
	v_cmpx_lt_u64_e64 s[6:7], v[24:25]
	s_cbranch_execz .LBB355_2164
; %bb.2157:                             ;   in Loop: Header=BB355_1571 Depth=1
	v_cmp_ne_u32_sdwa s4, v25, v97 src0_sel:BYTE_3 src1_sel:DWORD
	v_bfrev_b32_e32 v14, 1
	s_and_saveexec_b32 s19, s4
	s_cbranch_execz .LBB355_2163
; %bb.2158:                             ;   in Loop: Header=BB355_1571 Depth=1
	v_bfe_u32 v23, v25, 24, 7
	v_mov_b32_e32 v14, 0x7f800001
	s_mov_b32 s20, exec_lo
	v_cmpx_ne_u32_e32 0x7f, v23
	s_cbranch_execz .LBB355_2162
; %bb.2159:                             ;   in Loop: Header=BB355_1571 Depth=1
	v_mov_b32_e32 v10, 7
	v_lshrrev_b32_e32 v14, 3, v23
	s_mov_b32 s21, exec_lo
	v_and_b32_sdwa v10, v25, v10 dst_sel:DWORD dst_unused:UNUSED_PAD src0_sel:BYTE_3 src1_sel:DWORD
	v_mov_b32_e32 v27, v11
	v_mov_b32_e32 v26, v10
	v_cmpx_gt_u32_e32 8, v23
; %bb.2160:                             ;   in Loop: Header=BB355_1571 Depth=1
	v_ffbh_u32_e32 v14, v10
	v_min_u32_e32 v14, 32, v14
	v_subrev_nc_u32_e32 v23, 28, v14
	v_sub_nc_u32_e32 v14, 29, v14
	v_lshlrev_b64 v[23:24], v23, v[10:11]
	v_and_b32_e32 v26, 7, v23
; %bb.2161:                             ;   in Loop: Header=BB355_1571 Depth=1
	s_or_b32 exec_lo, exec_lo, s21
	v_mov_b32_e32 v10, 24
	v_lshlrev_b32_e32 v23, 20, v26
	v_lshl_add_u32 v14, v14, 23, 0x3c000000
	v_lshlrev_b32_sdwa v10, v10, v25 dst_sel:DWORD dst_unused:UNUSED_PAD src0_sel:DWORD src1_sel:BYTE_3
	v_and_b32_e32 v10, 0x80000000, v10
	v_or3_b32 v14, v23, v10, v14
.LBB355_2162:                           ;   in Loop: Header=BB355_1571 Depth=1
	s_or_b32 exec_lo, exec_lo, s20
.LBB355_2163:                           ;   in Loop: Header=BB355_1571 Depth=1
	s_or_b32 exec_lo, exec_lo, s19
.LBB355_2164:                           ;   in Loop: Header=BB355_1571 Depth=1
	s_or_b32 exec_lo, exec_lo, s18
	v_mul_f32_e32 v10, v111, v22
	v_mul_f32_e32 v1, v111, v1
	v_mul_f32_e32 v0, v111, v0
	v_bfe_u32 v22, v10, 16, 1
	v_or_b32_e32 v23, 0x400000, v10
	v_cmp_u_f32_e64 s4, v10, v10
	v_add3_u32 v22, v22, v10, 0x7fff
	v_cndmask_b32_e64 v10, v22, v23, s4
	v_lshrrev_b32_e32 v10, 16, v10
	buffer_store_dword v10, off, s[0:3], s32 offset:484 ; 4-byte Folded Spill
	v_mul_f32_e32 v10, v111, v21
	v_bfe_u32 v21, v10, 16, 1
	v_or_b32_e32 v22, 0x400000, v10
	v_cmp_u_f32_e64 s4, v10, v10
	v_add3_u32 v21, v21, v10, 0x7fff
	v_cndmask_b32_e64 v10, v21, v22, s4
	v_lshrrev_b32_e32 v10, 16, v10
	buffer_store_dword v10, off, s[0:3], s32 offset:480 ; 4-byte Folded Spill
	v_mul_f32_e32 v10, v111, v13
	;; [unrolled: 8-line block ×3, first 2 shown]
	v_bfe_u32 v12, v10, 16, 1
	v_or_b32_e32 v13, 0x400000, v10
	v_cmp_u_f32_e64 s4, v10, v10
	v_add3_u32 v12, v12, v10, 0x7fff
	v_cndmask_b32_e64 v10, v12, v13, s4
	v_or_b32_e32 v12, 0x400000, v1
	v_cmp_u_f32_e64 s4, v1, v1
	v_lshrrev_b32_e32 v10, 16, v10
	buffer_store_dword v10, off, s[0:3], s32 offset:492 ; 4-byte Folded Spill
	v_bfe_u32 v10, v1, 16, 1
	v_add3_u32 v10, v10, v1, 0x7fff
	v_cndmask_b32_e64 v1, v10, v12, s4
	v_or_b32_e32 v10, 0x400000, v0
	v_cmp_u_f32_e64 s4, v0, v0
	v_lshrrev_b32_e32 v1, 16, v1
	buffer_store_dword v1, off, s[0:3], s32 offset:508 ; 4-byte Folded Spill
	v_bfe_u32 v1, v0, 16, 1
	v_add3_u32 v1, v1, v0, 0x7fff
	v_cndmask_b32_e64 v0, v1, v10, s4
	v_lshrrev_b32_e32 v0, 16, v0
	buffer_store_dword v0, off, s[0:3], s32 offset:504 ; 4-byte Folded Spill
	v_mul_f32_e32 v0, v111, v18
	v_bfe_u32 v1, v0, 16, 1
	v_or_b32_e32 v10, 0x400000, v0
	v_cmp_u_f32_e64 s4, v0, v0
	v_add3_u32 v1, v1, v0, 0x7fff
	v_cndmask_b32_e64 v0, v1, v10, s4
	v_lshrrev_b32_e32 v0, 16, v0
	buffer_store_dword v0, off, s[0:3], s32 offset:496 ; 4-byte Folded Spill
	v_mul_f32_e32 v0, v111, v14
	v_bfe_u32 v1, v0, 16, 1
	v_or_b32_e32 v10, 0x400000, v0
	v_cmp_u_f32_e64 s4, v0, v0
	v_add3_u32 v1, v1, v0, 0x7fff
	v_cndmask_b32_e64 v0, v1, v10, s4
	v_lshrrev_b32_e32 v0, 16, v0
	buffer_store_dword v0, off, s[0:3], s32 offset:500 ; 4-byte Folded Spill
	s_and_saveexec_b32 s18, vcc_lo
	s_cbranch_execz .LBB355_2166
; %bb.2165:                             ;   in Loop: Header=BB355_1571 Depth=1
	buffer_load_dword v0, off, s[0:3], s32 offset:504 ; 4-byte Folded Reload
	v_cmp_lt_i32_e64 s4, v109, v123
	s_waitcnt vmcnt(0)
	v_cndmask_b32_e64 v0, 0, v0, s4
	v_cmp_lt_i32_e64 s4, v74, v123
	buffer_store_dword v0, off, s[0:3], s32 offset:504 ; 4-byte Folded Spill
	buffer_load_dword v0, off, s[0:3], s32 offset:508 ; 4-byte Folded Reload
	s_waitcnt vmcnt(0)
	v_cndmask_b32_e64 v0, 0, v0, s4
	v_cmp_lt_i32_e64 s4, v35, v123
	buffer_store_dword v0, off, s[0:3], s32 offset:508 ; 4-byte Folded Spill
	buffer_load_dword v0, off, s[0:3], s32 offset:492 ; 4-byte Folded Reload
	;; [unrolled: 5-line block ×7, first 2 shown]
	s_waitcnt vmcnt(0)
	v_cndmask_b32_e64 v0, 0, v0, s4
	buffer_store_dword v0, off, s[0:3], s32 offset:500 ; 4-byte Folded Spill
.LBB355_2166:                           ;   in Loop: Header=BB355_1571 Depth=1
	s_or_b32 exec_lo, exec_lo, s18
	flat_load_dwordx2 v[24:25], v[19:20] offset:256
	v_mov_b32_e32 v1, 0
	v_mov_b32_e32 v0, 0
	s_waitcnt vmcnt(0) lgkmcnt(0)
	v_cmp_ne_u16_sdwa s4, v24, v11 src0_sel:BYTE_0 src1_sel:DWORD
	s_and_saveexec_b32 s18, s4
	s_cbranch_execz .LBB355_2174
; %bb.2167:                             ;   in Loop: Header=BB355_1571 Depth=1
	v_cmp_ne_u16_sdwa s4, v24, v97 src0_sel:BYTE_0 src1_sel:DWORD
	v_bfrev_b32_e32 v0, 1
	s_and_saveexec_b32 s19, s4
	s_cbranch_execz .LBB355_2173
; %bb.2168:                             ;   in Loop: Header=BB355_1571 Depth=1
	v_and_b32_e32 v10, 0x7f, v24
	v_mov_b32_e32 v0, 0x7f800001
	s_mov_b32 s20, exec_lo
	v_cmpx_ne_u32_e32 0x7f, v10
	s_cbranch_execz .LBB355_2172
; %bb.2169:                             ;   in Loop: Header=BB355_1571 Depth=1
	v_mov_b32_e32 v27, v25
	v_lshrrev_b32_e32 v0, 3, v10
	v_mov_b32_e32 v26, v24
	s_mov_b32 s21, exec_lo
	v_cmpx_gt_u32_e32 8, v10
; %bb.2170:                             ;   in Loop: Header=BB355_1571 Depth=1
	v_and_b32_e32 v0, 7, v24
	v_ffbh_u32_e32 v0, v0
	v_min_u32_e32 v0, 32, v0
	v_subrev_nc_u32_e32 v10, 28, v0
	v_sub_nc_u32_e32 v0, 29, v0
	v_lshlrev_b64 v[26:27], v10, v[24:25]
; %bb.2171:                             ;   in Loop: Header=BB355_1571 Depth=1
	s_or_b32 exec_lo, exec_lo, s21
	v_lshlrev_b32_e32 v10, 20, v26
	v_lshlrev_b32_e32 v12, 24, v24
	v_lshl_add_u32 v0, v0, 23, 0x3c000000
	v_and_b32_e32 v10, 0x700000, v10
	v_and_b32_e32 v12, 0x80000000, v12
	v_or3_b32 v0, v10, v12, v0
.LBB355_2172:                           ;   in Loop: Header=BB355_1571 Depth=1
	s_or_b32 exec_lo, exec_lo, s20
.LBB355_2173:                           ;   in Loop: Header=BB355_1571 Depth=1
	s_or_b32 exec_lo, exec_lo, s19
.LBB355_2174:                           ;   in Loop: Header=BB355_1571 Depth=1
	s_or_b32 exec_lo, exec_lo, s18
	v_cmp_ne_u16_sdwa s4, v24, v11 src0_sel:BYTE_1 src1_sel:DWORD
	s_and_saveexec_b32 s18, s4
	s_cbranch_execz .LBB355_2182
; %bb.2175:                             ;   in Loop: Header=BB355_1571 Depth=1
	v_cmp_ne_u16_sdwa s4, v24, v97 src0_sel:BYTE_1 src1_sel:DWORD
	v_bfrev_b32_e32 v1, 1
	s_and_saveexec_b32 s19, s4
	s_cbranch_execz .LBB355_2181
; %bb.2176:                             ;   in Loop: Header=BB355_1571 Depth=1
	v_mov_b32_e32 v1, 0xffff
	s_mov_b32 s20, exec_lo
	v_and_b32_sdwa v10, v1, v24 dst_sel:DWORD dst_unused:UNUSED_PAD src0_sel:DWORD src1_sel:BYTE_1
	v_mov_b32_e32 v1, 0x7f800001
	v_and_b32_e32 v12, 0x7f, v10
	v_cmpx_ne_u32_e32 0x7f, v12
	s_cbranch_execz .LBB355_2180
; %bb.2177:                             ;   in Loop: Header=BB355_1571 Depth=1
	v_and_b32_e32 v10, 7, v10
	v_mov_b32_e32 v27, v11
	v_lshrrev_b32_e32 v1, 3, v12
	s_mov_b32 s21, exec_lo
	v_mov_b32_e32 v26, v10
	v_cmpx_gt_u32_e32 8, v12
; %bb.2178:                             ;   in Loop: Header=BB355_1571 Depth=1
	v_ffbh_u32_e32 v1, v10
	v_min_u32_e32 v1, 32, v1
	v_subrev_nc_u32_e32 v12, 28, v1
	v_sub_nc_u32_e32 v1, 29, v1
	v_lshlrev_b64 v[12:13], v12, v[10:11]
	v_and_b32_e32 v26, 7, v12
; %bb.2179:                             ;   in Loop: Header=BB355_1571 Depth=1
	s_or_b32 exec_lo, exec_lo, s21
	v_lshlrev_b32_e32 v10, 16, v24
	v_lshlrev_b32_e32 v12, 20, v26
	v_lshl_add_u32 v1, v1, 23, 0x3c000000
	v_and_b32_e32 v10, 0x80000000, v10
	v_or3_b32 v1, v12, v10, v1
.LBB355_2180:                           ;   in Loop: Header=BB355_1571 Depth=1
	s_or_b32 exec_lo, exec_lo, s20
.LBB355_2181:                           ;   in Loop: Header=BB355_1571 Depth=1
	s_or_b32 exec_lo, exec_lo, s19
.LBB355_2182:                           ;   in Loop: Header=BB355_1571 Depth=1
	s_or_b32 exec_lo, exec_lo, s18
	v_and_b32_sdwa v10, v24, v99 dst_sel:DWORD dst_unused:UNUSED_PAD src0_sel:WORD_1 src1_sel:DWORD
	v_mov_b32_e32 v13, 0
	v_mov_b32_e32 v12, 0
	s_mov_b32 s18, exec_lo
	v_cmpx_ne_u16_e32 0, v10
	s_cbranch_execz .LBB355_2190
; %bb.2183:                             ;   in Loop: Header=BB355_1571 Depth=1
	v_bfrev_b32_e32 v12, 1
	s_mov_b32 s19, exec_lo
	v_cmpx_ne_u16_e32 0x80, v10
	s_cbranch_execz .LBB355_2189
; %bb.2184:                             ;   in Loop: Header=BB355_1571 Depth=1
	v_bfe_u32 v14, v24, 16, 7
	v_mov_b32_e32 v12, 0x7f800001
	s_mov_b32 s20, exec_lo
	v_cmpx_ne_u32_e32 0x7f, v14
	s_cbranch_execz .LBB355_2188
; %bb.2185:                             ;   in Loop: Header=BB355_1571 Depth=1
	v_mov_b32_e32 v10, 7
	v_lshrrev_b32_e32 v12, 3, v14
	s_mov_b32 s21, exec_lo
	v_and_b32_sdwa v10, v24, v10 dst_sel:DWORD dst_unused:UNUSED_PAD src0_sel:WORD_1 src1_sel:DWORD
	v_mov_b32_e32 v27, v11
	v_mov_b32_e32 v26, v10
	v_cmpx_gt_u32_e32 8, v14
; %bb.2186:                             ;   in Loop: Header=BB355_1571 Depth=1
	v_ffbh_u32_e32 v12, v10
	v_min_u32_e32 v12, 32, v12
	v_subrev_nc_u32_e32 v14, 28, v12
	v_sub_nc_u32_e32 v12, 29, v12
	v_lshlrev_b64 v[21:22], v14, v[10:11]
	v_and_b32_e32 v26, 7, v21
; %bb.2187:                             ;   in Loop: Header=BB355_1571 Depth=1
	s_or_b32 exec_lo, exec_lo, s21
	v_mov_b32_e32 v10, 24
	v_lshlrev_b32_e32 v14, 20, v26
	v_lshl_add_u32 v12, v12, 23, 0x3c000000
	v_lshlrev_b32_sdwa v10, v10, v24 dst_sel:DWORD dst_unused:UNUSED_PAD src0_sel:DWORD src1_sel:WORD_1
	v_and_b32_e32 v10, 0x80000000, v10
	v_or3_b32 v12, v14, v10, v12
.LBB355_2188:                           ;   in Loop: Header=BB355_1571 Depth=1
	s_or_b32 exec_lo, exec_lo, s20
.LBB355_2189:                           ;   in Loop: Header=BB355_1571 Depth=1
	s_or_b32 exec_lo, exec_lo, s19
.LBB355_2190:                           ;   in Loop: Header=BB355_1571 Depth=1
	s_or_b32 exec_lo, exec_lo, s18
	s_mov_b32 s18, exec_lo
	v_cmpx_lt_u32_e32 0xffffff, v24
	s_cbranch_execz .LBB355_2198
; %bb.2191:                             ;   in Loop: Header=BB355_1571 Depth=1
	v_cmp_ne_u32_sdwa s4, v24, v97 src0_sel:BYTE_3 src1_sel:DWORD
	v_bfrev_b32_e32 v13, 1
	s_and_saveexec_b32 s19, s4
	s_cbranch_execz .LBB355_2197
; %bb.2192:                             ;   in Loop: Header=BB355_1571 Depth=1
	v_bfe_u32 v14, v24, 24, 7
	v_mov_b32_e32 v13, 0x7f800001
	s_mov_b32 s20, exec_lo
	v_cmpx_ne_u32_e32 0x7f, v14
	s_cbranch_execz .LBB355_2196
; %bb.2193:                             ;   in Loop: Header=BB355_1571 Depth=1
	v_mov_b32_e32 v10, 7
	v_lshrrev_b32_e32 v13, 3, v14
	s_mov_b32 s21, exec_lo
	v_and_b32_sdwa v10, v24, v10 dst_sel:DWORD dst_unused:UNUSED_PAD src0_sel:BYTE_3 src1_sel:DWORD
	v_mov_b32_e32 v27, v11
	v_mov_b32_e32 v26, v10
	v_cmpx_gt_u32_e32 8, v14
; %bb.2194:                             ;   in Loop: Header=BB355_1571 Depth=1
	v_ffbh_u32_e32 v13, v10
	v_min_u32_e32 v13, 32, v13
	v_subrev_nc_u32_e32 v14, 28, v13
	v_sub_nc_u32_e32 v13, 29, v13
	v_lshlrev_b64 v[21:22], v14, v[10:11]
	v_and_b32_e32 v26, 7, v21
; %bb.2195:                             ;   in Loop: Header=BB355_1571 Depth=1
	s_or_b32 exec_lo, exec_lo, s21
	v_mov_b32_e32 v10, 24
	v_lshlrev_b32_e32 v14, 20, v26
	v_lshl_add_u32 v13, v13, 23, 0x3c000000
	v_lshlrev_b32_sdwa v10, v10, v24 dst_sel:DWORD dst_unused:UNUSED_PAD src0_sel:DWORD src1_sel:BYTE_3
	v_and_b32_e32 v10, 0x80000000, v10
	v_or3_b32 v13, v14, v10, v13
.LBB355_2196:                           ;   in Loop: Header=BB355_1571 Depth=1
	s_or_b32 exec_lo, exec_lo, s20
.LBB355_2197:                           ;   in Loop: Header=BB355_1571 Depth=1
	s_or_b32 exec_lo, exec_lo, s19
.LBB355_2198:                           ;   in Loop: Header=BB355_1571 Depth=1
	s_or_b32 exec_lo, exec_lo, s18
	v_mov_b32_e32 v10, v25
	v_cmp_ne_u16_sdwa s4, v25, v11 src0_sel:BYTE_0 src1_sel:DWORD
	v_mov_b32_e32 v22, 0
	v_mov_b32_e32 v21, 0
	s_and_saveexec_b32 s18, s4
	s_cbranch_execz .LBB355_2206
; %bb.2199:                             ;   in Loop: Header=BB355_1571 Depth=1
	v_cmp_ne_u16_sdwa s4, v25, v97 src0_sel:BYTE_0 src1_sel:DWORD
	v_bfrev_b32_e32 v21, 1
	s_and_saveexec_b32 s19, s4
	s_cbranch_execz .LBB355_2205
; %bb.2200:                             ;   in Loop: Header=BB355_1571 Depth=1
	v_and_b32_e32 v18, 0x7f, v25
	v_mov_b32_e32 v21, 0x7f800001
	s_mov_b32 s20, exec_lo
	v_cmpx_ne_u32_e32 0x7f, v18
	s_cbranch_execz .LBB355_2204
; %bb.2201:                             ;   in Loop: Header=BB355_1571 Depth=1
	v_mov_b32_e32 v27, v11
	v_lshrrev_b32_e32 v14, 3, v18
	v_mov_b32_e32 v26, v10
	s_mov_b32 s21, exec_lo
	v_cmpx_gt_u32_e32 8, v18
; %bb.2202:                             ;   in Loop: Header=BB355_1571 Depth=1
	v_and_b32_e32 v14, 7, v25
	v_ffbh_u32_e32 v14, v14
	v_min_u32_e32 v14, 32, v14
	v_subrev_nc_u32_e32 v18, 28, v14
	v_sub_nc_u32_e32 v14, 29, v14
	v_lshlrev_b64 v[26:27], v18, v[10:11]
; %bb.2203:                             ;   in Loop: Header=BB355_1571 Depth=1
	s_or_b32 exec_lo, exec_lo, s21
	v_lshlrev_b32_e32 v18, 20, v26
	v_lshlrev_b32_e32 v21, 24, v10
	v_lshl_add_u32 v14, v14, 23, 0x3c000000
	v_and_b32_e32 v18, 0x700000, v18
	v_and_b32_e32 v21, 0x80000000, v21
	v_or3_b32 v21, v18, v21, v14
.LBB355_2204:                           ;   in Loop: Header=BB355_1571 Depth=1
	s_or_b32 exec_lo, exec_lo, s20
.LBB355_2205:                           ;   in Loop: Header=BB355_1571 Depth=1
	s_or_b32 exec_lo, exec_lo, s19
.LBB355_2206:                           ;   in Loop: Header=BB355_1571 Depth=1
	s_or_b32 exec_lo, exec_lo, s18
	v_cmp_ne_u16_sdwa s4, v10, v11 src0_sel:BYTE_1 src1_sel:DWORD
	s_and_saveexec_b32 s18, s4
	s_cbranch_execz .LBB355_2214
; %bb.2207:                             ;   in Loop: Header=BB355_1571 Depth=1
	v_cmp_ne_u16_sdwa s4, v10, v97 src0_sel:BYTE_1 src1_sel:DWORD
	v_bfrev_b32_e32 v22, 1
	s_and_saveexec_b32 s19, s4
	s_cbranch_execz .LBB355_2213
; %bb.2208:                             ;   in Loop: Header=BB355_1571 Depth=1
	v_mov_b32_e32 v14, 0xffff
	v_mov_b32_e32 v22, 0x7f800001
	s_mov_b32 s20, exec_lo
	v_and_b32_sdwa v14, v14, v10 dst_sel:DWORD dst_unused:UNUSED_PAD src0_sel:DWORD src1_sel:BYTE_1
	v_and_b32_e32 v18, 0x7f, v14
	v_cmpx_ne_u32_e32 0x7f, v18
	s_cbranch_execz .LBB355_2212
; %bb.2209:                             ;   in Loop: Header=BB355_1571 Depth=1
	v_and_b32_e32 v26, 7, v14
	v_mov_b32_e32 v27, v11
	v_lshrrev_b32_e32 v14, 3, v18
	s_mov_b32 s21, exec_lo
	v_cmpx_gt_u32_e32 8, v18
; %bb.2210:                             ;   in Loop: Header=BB355_1571 Depth=1
	v_ffbh_u32_e32 v14, v26
	v_min_u32_e32 v14, 32, v14
	v_subrev_nc_u32_e32 v18, 28, v14
	v_sub_nc_u32_e32 v14, 29, v14
	v_lshlrev_b64 v[22:23], v18, v[26:27]
	v_and_b32_e32 v26, 7, v22
; %bb.2211:                             ;   in Loop: Header=BB355_1571 Depth=1
	s_or_b32 exec_lo, exec_lo, s21
	v_lshlrev_b32_e32 v10, 16, v10
	v_lshlrev_b32_e32 v18, 20, v26
	v_lshl_add_u32 v14, v14, 23, 0x3c000000
	v_and_b32_e32 v10, 0x80000000, v10
	v_or3_b32 v22, v18, v10, v14
.LBB355_2212:                           ;   in Loop: Header=BB355_1571 Depth=1
	s_or_b32 exec_lo, exec_lo, s20
.LBB355_2213:                           ;   in Loop: Header=BB355_1571 Depth=1
	s_or_b32 exec_lo, exec_lo, s19
.LBB355_2214:                           ;   in Loop: Header=BB355_1571 Depth=1
	s_or_b32 exec_lo, exec_lo, s18
	v_and_b32_sdwa v10, v25, v99 dst_sel:DWORD dst_unused:UNUSED_PAD src0_sel:WORD_1 src1_sel:DWORD
	v_mov_b32_e32 v14, 0
	v_mov_b32_e32 v18, 0
	s_mov_b32 s18, exec_lo
	v_cmpx_ne_u16_e32 0, v10
	s_cbranch_execz .LBB355_2222
; %bb.2215:                             ;   in Loop: Header=BB355_1571 Depth=1
	v_bfrev_b32_e32 v18, 1
	s_mov_b32 s19, exec_lo
	v_cmpx_ne_u16_e32 0x80, v10
	s_cbranch_execz .LBB355_2221
; %bb.2216:                             ;   in Loop: Header=BB355_1571 Depth=1
	v_bfe_u32 v23, v25, 16, 7
	v_mov_b32_e32 v18, 0x7f800001
	s_mov_b32 s20, exec_lo
	v_cmpx_ne_u32_e32 0x7f, v23
	s_cbranch_execz .LBB355_2220
; %bb.2217:                             ;   in Loop: Header=BB355_1571 Depth=1
	v_mov_b32_e32 v10, 7
	v_lshrrev_b32_e32 v18, 3, v23
	s_mov_b32 s21, exec_lo
	v_and_b32_sdwa v10, v25, v10 dst_sel:DWORD dst_unused:UNUSED_PAD src0_sel:WORD_1 src1_sel:DWORD
	v_mov_b32_e32 v27, v11
	v_mov_b32_e32 v26, v10
	v_cmpx_gt_u32_e32 8, v23
; %bb.2218:                             ;   in Loop: Header=BB355_1571 Depth=1
	v_ffbh_u32_e32 v18, v10
	v_min_u32_e32 v18, 32, v18
	v_subrev_nc_u32_e32 v23, 28, v18
	v_sub_nc_u32_e32 v18, 29, v18
	v_lshlrev_b64 v[26:27], v23, v[10:11]
	v_and_b32_e32 v26, 7, v26
; %bb.2219:                             ;   in Loop: Header=BB355_1571 Depth=1
	s_or_b32 exec_lo, exec_lo, s21
	v_mov_b32_e32 v10, 24
	v_lshlrev_b32_e32 v23, 20, v26
	v_lshl_add_u32 v18, v18, 23, 0x3c000000
	v_lshlrev_b32_sdwa v10, v10, v25 dst_sel:DWORD dst_unused:UNUSED_PAD src0_sel:DWORD src1_sel:WORD_1
	v_and_b32_e32 v10, 0x80000000, v10
	v_or3_b32 v18, v23, v10, v18
.LBB355_2220:                           ;   in Loop: Header=BB355_1571 Depth=1
	s_or_b32 exec_lo, exec_lo, s20
.LBB355_2221:                           ;   in Loop: Header=BB355_1571 Depth=1
	s_or_b32 exec_lo, exec_lo, s19
.LBB355_2222:                           ;   in Loop: Header=BB355_1571 Depth=1
	s_or_b32 exec_lo, exec_lo, s18
	s_mov_b32 s18, exec_lo
	v_cmpx_lt_u64_e64 s[6:7], v[24:25]
	s_cbranch_execz .LBB355_2230
; %bb.2223:                             ;   in Loop: Header=BB355_1571 Depth=1
	v_cmp_ne_u32_sdwa s4, v25, v97 src0_sel:BYTE_3 src1_sel:DWORD
	v_bfrev_b32_e32 v14, 1
	s_and_saveexec_b32 s19, s4
	s_cbranch_execz .LBB355_2229
; %bb.2224:                             ;   in Loop: Header=BB355_1571 Depth=1
	v_bfe_u32 v23, v25, 24, 7
	v_mov_b32_e32 v14, 0x7f800001
	s_mov_b32 s20, exec_lo
	v_cmpx_ne_u32_e32 0x7f, v23
	s_cbranch_execz .LBB355_2228
; %bb.2225:                             ;   in Loop: Header=BB355_1571 Depth=1
	v_mov_b32_e32 v10, 7
	v_lshrrev_b32_e32 v14, 3, v23
	s_mov_b32 s21, exec_lo
	v_and_b32_sdwa v10, v25, v10 dst_sel:DWORD dst_unused:UNUSED_PAD src0_sel:BYTE_3 src1_sel:DWORD
	v_mov_b32_e32 v27, v11
	v_mov_b32_e32 v26, v10
	v_cmpx_gt_u32_e32 8, v23
; %bb.2226:                             ;   in Loop: Header=BB355_1571 Depth=1
	v_ffbh_u32_e32 v14, v10
	v_min_u32_e32 v14, 32, v14
	v_subrev_nc_u32_e32 v23, 28, v14
	v_sub_nc_u32_e32 v14, 29, v14
	v_lshlrev_b64 v[23:24], v23, v[10:11]
	v_and_b32_e32 v26, 7, v23
; %bb.2227:                             ;   in Loop: Header=BB355_1571 Depth=1
	s_or_b32 exec_lo, exec_lo, s21
	v_mov_b32_e32 v10, 24
	v_lshlrev_b32_e32 v23, 20, v26
	v_lshl_add_u32 v14, v14, 23, 0x3c000000
	v_lshlrev_b32_sdwa v10, v10, v25 dst_sel:DWORD dst_unused:UNUSED_PAD src0_sel:DWORD src1_sel:BYTE_3
	v_and_b32_e32 v10, 0x80000000, v10
	v_or3_b32 v14, v23, v10, v14
.LBB355_2228:                           ;   in Loop: Header=BB355_1571 Depth=1
	s_or_b32 exec_lo, exec_lo, s20
.LBB355_2229:                           ;   in Loop: Header=BB355_1571 Depth=1
	s_or_b32 exec_lo, exec_lo, s19
.LBB355_2230:                           ;   in Loop: Header=BB355_1571 Depth=1
	s_or_b32 exec_lo, exec_lo, s18
	v_mul_f32_e32 v10, v111, v22
	v_mul_f32_e32 v1, v111, v1
	;; [unrolled: 1-line block ×3, first 2 shown]
	v_bfe_u32 v22, v10, 16, 1
	v_or_b32_e32 v23, 0x400000, v10
	v_cmp_u_f32_e64 s4, v10, v10
	v_add3_u32 v22, v22, v10, 0x7fff
	v_cndmask_b32_e64 v10, v22, v23, s4
	v_lshrrev_b32_e32 v10, 16, v10
	buffer_store_dword v10, off, s[0:3], s32 offset:516 ; 4-byte Folded Spill
	v_mul_f32_e32 v10, v111, v21
	v_bfe_u32 v21, v10, 16, 1
	v_or_b32_e32 v22, 0x400000, v10
	v_cmp_u_f32_e64 s4, v10, v10
	v_add3_u32 v21, v21, v10, 0x7fff
	v_cndmask_b32_e64 v10, v21, v22, s4
	v_lshrrev_b32_e32 v10, 16, v10
	buffer_store_dword v10, off, s[0:3], s32 offset:512 ; 4-byte Folded Spill
	v_mul_f32_e32 v10, v111, v13
	;; [unrolled: 8-line block ×3, first 2 shown]
	v_bfe_u32 v12, v10, 16, 1
	v_or_b32_e32 v13, 0x400000, v10
	v_cmp_u_f32_e64 s4, v10, v10
	v_add3_u32 v12, v12, v10, 0x7fff
	v_cndmask_b32_e64 v10, v12, v13, s4
	v_or_b32_e32 v12, 0x400000, v1
	v_cmp_u_f32_e64 s4, v1, v1
	v_lshrrev_b32_e32 v10, 16, v10
	buffer_store_dword v10, off, s[0:3], s32 offset:528 ; 4-byte Folded Spill
	v_bfe_u32 v10, v1, 16, 1
	v_add3_u32 v10, v10, v1, 0x7fff
	v_cndmask_b32_e64 v1, v10, v12, s4
	v_or_b32_e32 v10, 0x400000, v0
	v_cmp_u_f32_e64 s4, v0, v0
	v_lshrrev_b32_e32 v1, 16, v1
	buffer_store_dword v1, off, s[0:3], s32 offset:536 ; 4-byte Folded Spill
	v_bfe_u32 v1, v0, 16, 1
	v_add3_u32 v1, v1, v0, 0x7fff
	v_cndmask_b32_e64 v0, v1, v10, s4
	v_lshrrev_b32_e32 v0, 16, v0
	buffer_store_dword v0, off, s[0:3], s32 offset:540 ; 4-byte Folded Spill
	v_mul_f32_e32 v0, v111, v18
	v_bfe_u32 v1, v0, 16, 1
	v_or_b32_e32 v10, 0x400000, v0
	v_cmp_u_f32_e64 s4, v0, v0
	v_add3_u32 v1, v1, v0, 0x7fff
	v_cndmask_b32_e64 v0, v1, v10, s4
	v_lshrrev_b32_e32 v0, 16, v0
	buffer_store_dword v0, off, s[0:3], s32 offset:524 ; 4-byte Folded Spill
	v_mul_f32_e32 v0, v111, v14
	v_bfe_u32 v1, v0, 16, 1
	v_or_b32_e32 v10, 0x400000, v0
	v_cmp_u_f32_e64 s4, v0, v0
	v_add3_u32 v1, v1, v0, 0x7fff
	v_cndmask_b32_e64 v0, v1, v10, s4
	v_lshrrev_b32_e32 v0, 16, v0
	buffer_store_dword v0, off, s[0:3], s32 offset:532 ; 4-byte Folded Spill
	s_and_saveexec_b32 s18, vcc_lo
	s_cbranch_execz .LBB355_2232
; %bb.2231:                             ;   in Loop: Header=BB355_1571 Depth=1
	buffer_load_dword v0, off, s[0:3], s32 offset:540 ; 4-byte Folded Reload
	v_cmp_lt_i32_e64 s4, v109, v123
	s_waitcnt vmcnt(0)
	v_cndmask_b32_e64 v0, 0, v0, s4
	v_cmp_lt_i32_e64 s4, v74, v123
	buffer_store_dword v0, off, s[0:3], s32 offset:540 ; 4-byte Folded Spill
	buffer_load_dword v0, off, s[0:3], s32 offset:536 ; 4-byte Folded Reload
	s_waitcnt vmcnt(0)
	v_cndmask_b32_e64 v0, 0, v0, s4
	v_cmp_lt_i32_e64 s4, v35, v123
	buffer_store_dword v0, off, s[0:3], s32 offset:536 ; 4-byte Folded Spill
	buffer_load_dword v0, off, s[0:3], s32 offset:528 ; 4-byte Folded Reload
	;; [unrolled: 5-line block ×7, first 2 shown]
	s_waitcnt vmcnt(0)
	v_cndmask_b32_e64 v0, 0, v0, s4
	buffer_store_dword v0, off, s[0:3], s32 offset:532 ; 4-byte Folded Spill
.LBB355_2232:                           ;   in Loop: Header=BB355_1571 Depth=1
	s_or_b32 exec_lo, exec_lo, s18
	flat_load_dwordx2 v[24:25], v[19:20] offset:512
	v_mov_b32_e32 v1, 0
	v_mov_b32_e32 v0, 0
	s_waitcnt vmcnt(0) lgkmcnt(0)
	v_cmp_ne_u16_sdwa s4, v24, v11 src0_sel:BYTE_0 src1_sel:DWORD
	s_and_saveexec_b32 s18, s4
	s_cbranch_execz .LBB355_2240
; %bb.2233:                             ;   in Loop: Header=BB355_1571 Depth=1
	v_cmp_ne_u16_sdwa s4, v24, v97 src0_sel:BYTE_0 src1_sel:DWORD
	v_bfrev_b32_e32 v0, 1
	s_and_saveexec_b32 s19, s4
	s_cbranch_execz .LBB355_2239
; %bb.2234:                             ;   in Loop: Header=BB355_1571 Depth=1
	v_and_b32_e32 v10, 0x7f, v24
	v_mov_b32_e32 v0, 0x7f800001
	s_mov_b32 s20, exec_lo
	v_cmpx_ne_u32_e32 0x7f, v10
	s_cbranch_execz .LBB355_2238
; %bb.2235:                             ;   in Loop: Header=BB355_1571 Depth=1
	v_mov_b32_e32 v27, v25
	v_lshrrev_b32_e32 v0, 3, v10
	v_mov_b32_e32 v26, v24
	s_mov_b32 s21, exec_lo
	v_cmpx_gt_u32_e32 8, v10
; %bb.2236:                             ;   in Loop: Header=BB355_1571 Depth=1
	v_and_b32_e32 v0, 7, v24
	v_ffbh_u32_e32 v0, v0
	v_min_u32_e32 v0, 32, v0
	v_subrev_nc_u32_e32 v10, 28, v0
	v_sub_nc_u32_e32 v0, 29, v0
	v_lshlrev_b64 v[26:27], v10, v[24:25]
; %bb.2237:                             ;   in Loop: Header=BB355_1571 Depth=1
	s_or_b32 exec_lo, exec_lo, s21
	v_lshlrev_b32_e32 v10, 20, v26
	v_lshlrev_b32_e32 v12, 24, v24
	v_lshl_add_u32 v0, v0, 23, 0x3c000000
	v_and_b32_e32 v10, 0x700000, v10
	v_and_b32_e32 v12, 0x80000000, v12
	v_or3_b32 v0, v10, v12, v0
.LBB355_2238:                           ;   in Loop: Header=BB355_1571 Depth=1
	s_or_b32 exec_lo, exec_lo, s20
.LBB355_2239:                           ;   in Loop: Header=BB355_1571 Depth=1
	s_or_b32 exec_lo, exec_lo, s19
.LBB355_2240:                           ;   in Loop: Header=BB355_1571 Depth=1
	s_or_b32 exec_lo, exec_lo, s18
	v_cmp_ne_u16_sdwa s4, v24, v11 src0_sel:BYTE_1 src1_sel:DWORD
	s_and_saveexec_b32 s18, s4
	s_cbranch_execz .LBB355_2248
; %bb.2241:                             ;   in Loop: Header=BB355_1571 Depth=1
	v_cmp_ne_u16_sdwa s4, v24, v97 src0_sel:BYTE_1 src1_sel:DWORD
	v_bfrev_b32_e32 v1, 1
	s_and_saveexec_b32 s19, s4
	s_cbranch_execz .LBB355_2247
; %bb.2242:                             ;   in Loop: Header=BB355_1571 Depth=1
	v_mov_b32_e32 v1, 0xffff
	s_mov_b32 s20, exec_lo
	v_and_b32_sdwa v10, v1, v24 dst_sel:DWORD dst_unused:UNUSED_PAD src0_sel:DWORD src1_sel:BYTE_1
	v_mov_b32_e32 v1, 0x7f800001
	v_and_b32_e32 v12, 0x7f, v10
	v_cmpx_ne_u32_e32 0x7f, v12
	s_cbranch_execz .LBB355_2246
; %bb.2243:                             ;   in Loop: Header=BB355_1571 Depth=1
	v_and_b32_e32 v10, 7, v10
	v_mov_b32_e32 v27, v11
	v_lshrrev_b32_e32 v1, 3, v12
	s_mov_b32 s21, exec_lo
	v_mov_b32_e32 v26, v10
	v_cmpx_gt_u32_e32 8, v12
; %bb.2244:                             ;   in Loop: Header=BB355_1571 Depth=1
	v_ffbh_u32_e32 v1, v10
	v_min_u32_e32 v1, 32, v1
	v_subrev_nc_u32_e32 v12, 28, v1
	v_sub_nc_u32_e32 v1, 29, v1
	v_lshlrev_b64 v[12:13], v12, v[10:11]
	v_and_b32_e32 v26, 7, v12
; %bb.2245:                             ;   in Loop: Header=BB355_1571 Depth=1
	s_or_b32 exec_lo, exec_lo, s21
	v_lshlrev_b32_e32 v10, 16, v24
	v_lshlrev_b32_e32 v12, 20, v26
	v_lshl_add_u32 v1, v1, 23, 0x3c000000
	v_and_b32_e32 v10, 0x80000000, v10
	v_or3_b32 v1, v12, v10, v1
.LBB355_2246:                           ;   in Loop: Header=BB355_1571 Depth=1
	s_or_b32 exec_lo, exec_lo, s20
.LBB355_2247:                           ;   in Loop: Header=BB355_1571 Depth=1
	s_or_b32 exec_lo, exec_lo, s19
.LBB355_2248:                           ;   in Loop: Header=BB355_1571 Depth=1
	s_or_b32 exec_lo, exec_lo, s18
	v_and_b32_sdwa v10, v24, v99 dst_sel:DWORD dst_unused:UNUSED_PAD src0_sel:WORD_1 src1_sel:DWORD
	v_mov_b32_e32 v13, 0
	v_mov_b32_e32 v12, 0
	s_mov_b32 s18, exec_lo
	v_cmpx_ne_u16_e32 0, v10
	s_cbranch_execz .LBB355_2256
; %bb.2249:                             ;   in Loop: Header=BB355_1571 Depth=1
	v_bfrev_b32_e32 v12, 1
	s_mov_b32 s19, exec_lo
	v_cmpx_ne_u16_e32 0x80, v10
	s_cbranch_execz .LBB355_2255
; %bb.2250:                             ;   in Loop: Header=BB355_1571 Depth=1
	v_bfe_u32 v14, v24, 16, 7
	v_mov_b32_e32 v12, 0x7f800001
	s_mov_b32 s20, exec_lo
	v_cmpx_ne_u32_e32 0x7f, v14
	s_cbranch_execz .LBB355_2254
; %bb.2251:                             ;   in Loop: Header=BB355_1571 Depth=1
	v_mov_b32_e32 v10, 7
	v_lshrrev_b32_e32 v12, 3, v14
	s_mov_b32 s21, exec_lo
	v_and_b32_sdwa v10, v24, v10 dst_sel:DWORD dst_unused:UNUSED_PAD src0_sel:WORD_1 src1_sel:DWORD
	v_mov_b32_e32 v27, v11
	v_mov_b32_e32 v26, v10
	v_cmpx_gt_u32_e32 8, v14
; %bb.2252:                             ;   in Loop: Header=BB355_1571 Depth=1
	v_ffbh_u32_e32 v12, v10
	v_min_u32_e32 v12, 32, v12
	v_subrev_nc_u32_e32 v14, 28, v12
	v_sub_nc_u32_e32 v12, 29, v12
	v_lshlrev_b64 v[21:22], v14, v[10:11]
	v_and_b32_e32 v26, 7, v21
; %bb.2253:                             ;   in Loop: Header=BB355_1571 Depth=1
	s_or_b32 exec_lo, exec_lo, s21
	v_mov_b32_e32 v10, 24
	v_lshlrev_b32_e32 v14, 20, v26
	v_lshl_add_u32 v12, v12, 23, 0x3c000000
	v_lshlrev_b32_sdwa v10, v10, v24 dst_sel:DWORD dst_unused:UNUSED_PAD src0_sel:DWORD src1_sel:WORD_1
	v_and_b32_e32 v10, 0x80000000, v10
	v_or3_b32 v12, v14, v10, v12
.LBB355_2254:                           ;   in Loop: Header=BB355_1571 Depth=1
	s_or_b32 exec_lo, exec_lo, s20
.LBB355_2255:                           ;   in Loop: Header=BB355_1571 Depth=1
	s_or_b32 exec_lo, exec_lo, s19
.LBB355_2256:                           ;   in Loop: Header=BB355_1571 Depth=1
	s_or_b32 exec_lo, exec_lo, s18
	s_mov_b32 s18, exec_lo
	v_cmpx_lt_u32_e32 0xffffff, v24
	s_cbranch_execz .LBB355_2264
; %bb.2257:                             ;   in Loop: Header=BB355_1571 Depth=1
	v_cmp_ne_u32_sdwa s4, v24, v97 src0_sel:BYTE_3 src1_sel:DWORD
	v_bfrev_b32_e32 v13, 1
	s_and_saveexec_b32 s19, s4
	s_cbranch_execz .LBB355_2263
; %bb.2258:                             ;   in Loop: Header=BB355_1571 Depth=1
	v_bfe_u32 v14, v24, 24, 7
	v_mov_b32_e32 v13, 0x7f800001
	s_mov_b32 s20, exec_lo
	v_cmpx_ne_u32_e32 0x7f, v14
	s_cbranch_execz .LBB355_2262
; %bb.2259:                             ;   in Loop: Header=BB355_1571 Depth=1
	v_mov_b32_e32 v10, 7
	v_lshrrev_b32_e32 v13, 3, v14
	s_mov_b32 s21, exec_lo
	v_and_b32_sdwa v10, v24, v10 dst_sel:DWORD dst_unused:UNUSED_PAD src0_sel:BYTE_3 src1_sel:DWORD
	v_mov_b32_e32 v27, v11
	v_mov_b32_e32 v26, v10
	v_cmpx_gt_u32_e32 8, v14
; %bb.2260:                             ;   in Loop: Header=BB355_1571 Depth=1
	v_ffbh_u32_e32 v13, v10
	v_min_u32_e32 v13, 32, v13
	v_subrev_nc_u32_e32 v14, 28, v13
	v_sub_nc_u32_e32 v13, 29, v13
	v_lshlrev_b64 v[21:22], v14, v[10:11]
	v_and_b32_e32 v26, 7, v21
; %bb.2261:                             ;   in Loop: Header=BB355_1571 Depth=1
	s_or_b32 exec_lo, exec_lo, s21
	v_mov_b32_e32 v10, 24
	v_lshlrev_b32_e32 v14, 20, v26
	v_lshl_add_u32 v13, v13, 23, 0x3c000000
	v_lshlrev_b32_sdwa v10, v10, v24 dst_sel:DWORD dst_unused:UNUSED_PAD src0_sel:DWORD src1_sel:BYTE_3
	v_and_b32_e32 v10, 0x80000000, v10
	v_or3_b32 v13, v14, v10, v13
.LBB355_2262:                           ;   in Loop: Header=BB355_1571 Depth=1
	s_or_b32 exec_lo, exec_lo, s20
.LBB355_2263:                           ;   in Loop: Header=BB355_1571 Depth=1
	s_or_b32 exec_lo, exec_lo, s19
.LBB355_2264:                           ;   in Loop: Header=BB355_1571 Depth=1
	s_or_b32 exec_lo, exec_lo, s18
	v_mov_b32_e32 v10, v25
	v_cmp_ne_u16_sdwa s4, v25, v11 src0_sel:BYTE_0 src1_sel:DWORD
	v_mov_b32_e32 v22, 0
	v_mov_b32_e32 v21, 0
	s_and_saveexec_b32 s18, s4
	s_cbranch_execz .LBB355_2272
; %bb.2265:                             ;   in Loop: Header=BB355_1571 Depth=1
	v_cmp_ne_u16_sdwa s4, v25, v97 src0_sel:BYTE_0 src1_sel:DWORD
	v_bfrev_b32_e32 v21, 1
	s_and_saveexec_b32 s19, s4
	s_cbranch_execz .LBB355_2271
; %bb.2266:                             ;   in Loop: Header=BB355_1571 Depth=1
	v_and_b32_e32 v18, 0x7f, v25
	v_mov_b32_e32 v21, 0x7f800001
	s_mov_b32 s20, exec_lo
	v_cmpx_ne_u32_e32 0x7f, v18
	s_cbranch_execz .LBB355_2270
; %bb.2267:                             ;   in Loop: Header=BB355_1571 Depth=1
	v_mov_b32_e32 v27, v11
	v_lshrrev_b32_e32 v14, 3, v18
	v_mov_b32_e32 v26, v10
	s_mov_b32 s21, exec_lo
	v_cmpx_gt_u32_e32 8, v18
; %bb.2268:                             ;   in Loop: Header=BB355_1571 Depth=1
	v_and_b32_e32 v14, 7, v25
	v_ffbh_u32_e32 v14, v14
	v_min_u32_e32 v14, 32, v14
	v_subrev_nc_u32_e32 v18, 28, v14
	v_sub_nc_u32_e32 v14, 29, v14
	v_lshlrev_b64 v[26:27], v18, v[10:11]
; %bb.2269:                             ;   in Loop: Header=BB355_1571 Depth=1
	s_or_b32 exec_lo, exec_lo, s21
	v_lshlrev_b32_e32 v18, 20, v26
	v_lshlrev_b32_e32 v21, 24, v10
	v_lshl_add_u32 v14, v14, 23, 0x3c000000
	v_and_b32_e32 v18, 0x700000, v18
	v_and_b32_e32 v21, 0x80000000, v21
	v_or3_b32 v21, v18, v21, v14
.LBB355_2270:                           ;   in Loop: Header=BB355_1571 Depth=1
	s_or_b32 exec_lo, exec_lo, s20
.LBB355_2271:                           ;   in Loop: Header=BB355_1571 Depth=1
	s_or_b32 exec_lo, exec_lo, s19
.LBB355_2272:                           ;   in Loop: Header=BB355_1571 Depth=1
	s_or_b32 exec_lo, exec_lo, s18
	v_cmp_ne_u16_sdwa s4, v10, v11 src0_sel:BYTE_1 src1_sel:DWORD
	s_and_saveexec_b32 s18, s4
	s_cbranch_execz .LBB355_2280
; %bb.2273:                             ;   in Loop: Header=BB355_1571 Depth=1
	v_cmp_ne_u16_sdwa s4, v10, v97 src0_sel:BYTE_1 src1_sel:DWORD
	v_bfrev_b32_e32 v22, 1
	s_and_saveexec_b32 s19, s4
	s_cbranch_execz .LBB355_2279
; %bb.2274:                             ;   in Loop: Header=BB355_1571 Depth=1
	v_mov_b32_e32 v14, 0xffff
	v_mov_b32_e32 v22, 0x7f800001
	s_mov_b32 s20, exec_lo
	v_and_b32_sdwa v14, v14, v10 dst_sel:DWORD dst_unused:UNUSED_PAD src0_sel:DWORD src1_sel:BYTE_1
	v_and_b32_e32 v18, 0x7f, v14
	v_cmpx_ne_u32_e32 0x7f, v18
	s_cbranch_execz .LBB355_2278
; %bb.2275:                             ;   in Loop: Header=BB355_1571 Depth=1
	v_and_b32_e32 v26, 7, v14
	v_mov_b32_e32 v27, v11
	v_lshrrev_b32_e32 v14, 3, v18
	s_mov_b32 s21, exec_lo
	v_cmpx_gt_u32_e32 8, v18
; %bb.2276:                             ;   in Loop: Header=BB355_1571 Depth=1
	v_ffbh_u32_e32 v14, v26
	v_min_u32_e32 v14, 32, v14
	v_subrev_nc_u32_e32 v18, 28, v14
	v_sub_nc_u32_e32 v14, 29, v14
	v_lshlrev_b64 v[22:23], v18, v[26:27]
	v_and_b32_e32 v26, 7, v22
; %bb.2277:                             ;   in Loop: Header=BB355_1571 Depth=1
	s_or_b32 exec_lo, exec_lo, s21
	v_lshlrev_b32_e32 v10, 16, v10
	v_lshlrev_b32_e32 v18, 20, v26
	v_lshl_add_u32 v14, v14, 23, 0x3c000000
	v_and_b32_e32 v10, 0x80000000, v10
	v_or3_b32 v22, v18, v10, v14
.LBB355_2278:                           ;   in Loop: Header=BB355_1571 Depth=1
	s_or_b32 exec_lo, exec_lo, s20
.LBB355_2279:                           ;   in Loop: Header=BB355_1571 Depth=1
	s_or_b32 exec_lo, exec_lo, s19
.LBB355_2280:                           ;   in Loop: Header=BB355_1571 Depth=1
	s_or_b32 exec_lo, exec_lo, s18
	v_and_b32_sdwa v10, v25, v99 dst_sel:DWORD dst_unused:UNUSED_PAD src0_sel:WORD_1 src1_sel:DWORD
	v_mov_b32_e32 v14, 0
	v_mov_b32_e32 v18, 0
	s_mov_b32 s18, exec_lo
	v_cmpx_ne_u16_e32 0, v10
	s_cbranch_execz .LBB355_2288
; %bb.2281:                             ;   in Loop: Header=BB355_1571 Depth=1
	v_bfrev_b32_e32 v18, 1
	s_mov_b32 s19, exec_lo
	v_cmpx_ne_u16_e32 0x80, v10
	s_cbranch_execz .LBB355_2287
; %bb.2282:                             ;   in Loop: Header=BB355_1571 Depth=1
	v_bfe_u32 v23, v25, 16, 7
	v_mov_b32_e32 v18, 0x7f800001
	s_mov_b32 s20, exec_lo
	v_cmpx_ne_u32_e32 0x7f, v23
	s_cbranch_execz .LBB355_2286
; %bb.2283:                             ;   in Loop: Header=BB355_1571 Depth=1
	v_mov_b32_e32 v10, 7
	v_lshrrev_b32_e32 v18, 3, v23
	s_mov_b32 s21, exec_lo
	v_and_b32_sdwa v10, v25, v10 dst_sel:DWORD dst_unused:UNUSED_PAD src0_sel:WORD_1 src1_sel:DWORD
	v_mov_b32_e32 v27, v11
	v_mov_b32_e32 v26, v10
	v_cmpx_gt_u32_e32 8, v23
; %bb.2284:                             ;   in Loop: Header=BB355_1571 Depth=1
	v_ffbh_u32_e32 v18, v10
	v_min_u32_e32 v18, 32, v18
	v_subrev_nc_u32_e32 v23, 28, v18
	v_sub_nc_u32_e32 v18, 29, v18
	v_lshlrev_b64 v[26:27], v23, v[10:11]
	v_and_b32_e32 v26, 7, v26
; %bb.2285:                             ;   in Loop: Header=BB355_1571 Depth=1
	s_or_b32 exec_lo, exec_lo, s21
	v_mov_b32_e32 v10, 24
	v_lshlrev_b32_e32 v23, 20, v26
	v_lshl_add_u32 v18, v18, 23, 0x3c000000
	v_lshlrev_b32_sdwa v10, v10, v25 dst_sel:DWORD dst_unused:UNUSED_PAD src0_sel:DWORD src1_sel:WORD_1
	v_and_b32_e32 v10, 0x80000000, v10
	v_or3_b32 v18, v23, v10, v18
.LBB355_2286:                           ;   in Loop: Header=BB355_1571 Depth=1
	s_or_b32 exec_lo, exec_lo, s20
.LBB355_2287:                           ;   in Loop: Header=BB355_1571 Depth=1
	s_or_b32 exec_lo, exec_lo, s19
.LBB355_2288:                           ;   in Loop: Header=BB355_1571 Depth=1
	s_or_b32 exec_lo, exec_lo, s18
	s_mov_b32 s18, exec_lo
	v_cmpx_lt_u64_e64 s[6:7], v[24:25]
	s_cbranch_execz .LBB355_2296
; %bb.2289:                             ;   in Loop: Header=BB355_1571 Depth=1
	v_cmp_ne_u32_sdwa s4, v25, v97 src0_sel:BYTE_3 src1_sel:DWORD
	v_bfrev_b32_e32 v14, 1
	s_and_saveexec_b32 s19, s4
	s_cbranch_execz .LBB355_2295
; %bb.2290:                             ;   in Loop: Header=BB355_1571 Depth=1
	v_bfe_u32 v23, v25, 24, 7
	v_mov_b32_e32 v14, 0x7f800001
	s_mov_b32 s20, exec_lo
	v_cmpx_ne_u32_e32 0x7f, v23
	s_cbranch_execz .LBB355_2294
; %bb.2291:                             ;   in Loop: Header=BB355_1571 Depth=1
	v_mov_b32_e32 v10, 7
	v_lshrrev_b32_e32 v14, 3, v23
	s_mov_b32 s21, exec_lo
	v_and_b32_sdwa v10, v25, v10 dst_sel:DWORD dst_unused:UNUSED_PAD src0_sel:BYTE_3 src1_sel:DWORD
	v_mov_b32_e32 v27, v11
	v_mov_b32_e32 v26, v10
	v_cmpx_gt_u32_e32 8, v23
; %bb.2292:                             ;   in Loop: Header=BB355_1571 Depth=1
	v_ffbh_u32_e32 v14, v10
	v_min_u32_e32 v14, 32, v14
	v_subrev_nc_u32_e32 v23, 28, v14
	v_sub_nc_u32_e32 v14, 29, v14
	v_lshlrev_b64 v[23:24], v23, v[10:11]
	v_and_b32_e32 v26, 7, v23
; %bb.2293:                             ;   in Loop: Header=BB355_1571 Depth=1
	s_or_b32 exec_lo, exec_lo, s21
	v_mov_b32_e32 v10, 24
	v_lshlrev_b32_e32 v23, 20, v26
	v_lshl_add_u32 v14, v14, 23, 0x3c000000
	v_lshlrev_b32_sdwa v10, v10, v25 dst_sel:DWORD dst_unused:UNUSED_PAD src0_sel:DWORD src1_sel:BYTE_3
	v_and_b32_e32 v10, 0x80000000, v10
	v_or3_b32 v14, v23, v10, v14
.LBB355_2294:                           ;   in Loop: Header=BB355_1571 Depth=1
	s_or_b32 exec_lo, exec_lo, s20
.LBB355_2295:                           ;   in Loop: Header=BB355_1571 Depth=1
	s_or_b32 exec_lo, exec_lo, s19
.LBB355_2296:                           ;   in Loop: Header=BB355_1571 Depth=1
	s_or_b32 exec_lo, exec_lo, s18
	v_mul_f32_e32 v10, v111, v22
	v_mul_f32_e32 v1, v111, v1
	;; [unrolled: 1-line block ×3, first 2 shown]
	v_bfe_u32 v22, v10, 16, 1
	v_or_b32_e32 v23, 0x400000, v10
	v_cmp_u_f32_e64 s4, v10, v10
	v_add3_u32 v22, v22, v10, 0x7fff
	v_cndmask_b32_e64 v10, v22, v23, s4
	v_lshrrev_b32_e32 v10, 16, v10
	buffer_store_dword v10, off, s[0:3], s32 offset:544 ; 4-byte Folded Spill
	v_mul_f32_e32 v10, v111, v21
	v_bfe_u32 v21, v10, 16, 1
	v_or_b32_e32 v22, 0x400000, v10
	v_cmp_u_f32_e64 s4, v10, v10
	v_add3_u32 v21, v21, v10, 0x7fff
	v_cndmask_b32_e64 v10, v21, v22, s4
	v_lshrrev_b32_e32 v10, 16, v10
	buffer_store_dword v10, off, s[0:3], s32 offset:548 ; 4-byte Folded Spill
	v_mul_f32_e32 v10, v111, v13
	;; [unrolled: 8-line block ×3, first 2 shown]
	v_bfe_u32 v12, v10, 16, 1
	v_or_b32_e32 v13, 0x400000, v10
	v_cmp_u_f32_e64 s4, v10, v10
	v_add3_u32 v12, v12, v10, 0x7fff
	v_cndmask_b32_e64 v10, v12, v13, s4
	v_or_b32_e32 v12, 0x400000, v1
	v_cmp_u_f32_e64 s4, v1, v1
	v_lshrrev_b32_e32 v10, 16, v10
	buffer_store_dword v10, off, s[0:3], s32 offset:556 ; 4-byte Folded Spill
	v_bfe_u32 v10, v1, 16, 1
	v_add3_u32 v10, v10, v1, 0x7fff
	v_cndmask_b32_e64 v1, v10, v12, s4
	v_or_b32_e32 v10, 0x400000, v0
	v_cmp_u_f32_e64 s4, v0, v0
	v_lshrrev_b32_e32 v1, 16, v1
	buffer_store_dword v1, off, s[0:3], s32 offset:560 ; 4-byte Folded Spill
	v_bfe_u32 v1, v0, 16, 1
	v_add3_u32 v1, v1, v0, 0x7fff
	v_cndmask_b32_e64 v0, v1, v10, s4
	v_lshrrev_b32_e32 v0, 16, v0
	buffer_store_dword v0, off, s[0:3], s32 offset:568 ; 4-byte Folded Spill
	v_mul_f32_e32 v0, v111, v18
	v_bfe_u32 v1, v0, 16, 1
	v_or_b32_e32 v10, 0x400000, v0
	v_cmp_u_f32_e64 s4, v0, v0
	v_add3_u32 v1, v1, v0, 0x7fff
	v_cndmask_b32_e64 v0, v1, v10, s4
	v_lshrrev_b32_e32 v0, 16, v0
	buffer_store_dword v0, off, s[0:3], s32 offset:564 ; 4-byte Folded Spill
	v_mul_f32_e32 v0, v111, v14
	v_bfe_u32 v1, v0, 16, 1
	v_or_b32_e32 v10, 0x400000, v0
	v_cmp_u_f32_e64 s4, v0, v0
	v_add3_u32 v1, v1, v0, 0x7fff
	v_cndmask_b32_e64 v0, v1, v10, s4
	v_lshrrev_b32_e32 v0, 16, v0
	buffer_store_dword v0, off, s[0:3], s32 offset:572 ; 4-byte Folded Spill
	s_and_saveexec_b32 s18, vcc_lo
	s_cbranch_execz .LBB355_2298
; %bb.2297:                             ;   in Loop: Header=BB355_1571 Depth=1
	buffer_load_dword v0, off, s[0:3], s32 offset:568 ; 4-byte Folded Reload
	v_cmp_lt_i32_e64 s4, v109, v123
	s_waitcnt vmcnt(0)
	v_cndmask_b32_e64 v0, 0, v0, s4
	v_cmp_lt_i32_e64 s4, v74, v123
	buffer_store_dword v0, off, s[0:3], s32 offset:568 ; 4-byte Folded Spill
	buffer_load_dword v0, off, s[0:3], s32 offset:560 ; 4-byte Folded Reload
	s_waitcnt vmcnt(0)
	v_cndmask_b32_e64 v0, 0, v0, s4
	v_cmp_lt_i32_e64 s4, v35, v123
	buffer_store_dword v0, off, s[0:3], s32 offset:560 ; 4-byte Folded Spill
	buffer_load_dword v0, off, s[0:3], s32 offset:556 ; 4-byte Folded Reload
	;; [unrolled: 5-line block ×7, first 2 shown]
	s_waitcnt vmcnt(0)
	v_cndmask_b32_e64 v0, 0, v0, s4
	buffer_store_dword v0, off, s[0:3], s32 offset:572 ; 4-byte Folded Spill
.LBB355_2298:                           ;   in Loop: Header=BB355_1571 Depth=1
	s_or_b32 exec_lo, exec_lo, s18
	flat_load_dwordx2 v[24:25], v[19:20] offset:768
	v_mov_b32_e32 v1, 0
	v_mov_b32_e32 v0, 0
	s_waitcnt vmcnt(0) lgkmcnt(0)
	v_cmp_ne_u16_sdwa s4, v24, v11 src0_sel:BYTE_0 src1_sel:DWORD
	s_and_saveexec_b32 s18, s4
	s_cbranch_execz .LBB355_2306
; %bb.2299:                             ;   in Loop: Header=BB355_1571 Depth=1
	v_cmp_ne_u16_sdwa s4, v24, v97 src0_sel:BYTE_0 src1_sel:DWORD
	v_bfrev_b32_e32 v0, 1
	s_and_saveexec_b32 s19, s4
	s_cbranch_execz .LBB355_2305
; %bb.2300:                             ;   in Loop: Header=BB355_1571 Depth=1
	v_and_b32_e32 v10, 0x7f, v24
	v_mov_b32_e32 v0, 0x7f800001
	s_mov_b32 s20, exec_lo
	v_cmpx_ne_u32_e32 0x7f, v10
	s_cbranch_execz .LBB355_2304
; %bb.2301:                             ;   in Loop: Header=BB355_1571 Depth=1
	v_mov_b32_e32 v27, v25
	v_lshrrev_b32_e32 v0, 3, v10
	v_mov_b32_e32 v26, v24
	s_mov_b32 s21, exec_lo
	v_cmpx_gt_u32_e32 8, v10
; %bb.2302:                             ;   in Loop: Header=BB355_1571 Depth=1
	v_and_b32_e32 v0, 7, v24
	v_ffbh_u32_e32 v0, v0
	v_min_u32_e32 v0, 32, v0
	v_subrev_nc_u32_e32 v10, 28, v0
	v_sub_nc_u32_e32 v0, 29, v0
	v_lshlrev_b64 v[26:27], v10, v[24:25]
; %bb.2303:                             ;   in Loop: Header=BB355_1571 Depth=1
	s_or_b32 exec_lo, exec_lo, s21
	v_lshlrev_b32_e32 v10, 20, v26
	v_lshlrev_b32_e32 v12, 24, v24
	v_lshl_add_u32 v0, v0, 23, 0x3c000000
	v_and_b32_e32 v10, 0x700000, v10
	v_and_b32_e32 v12, 0x80000000, v12
	v_or3_b32 v0, v10, v12, v0
.LBB355_2304:                           ;   in Loop: Header=BB355_1571 Depth=1
	s_or_b32 exec_lo, exec_lo, s20
.LBB355_2305:                           ;   in Loop: Header=BB355_1571 Depth=1
	s_or_b32 exec_lo, exec_lo, s19
.LBB355_2306:                           ;   in Loop: Header=BB355_1571 Depth=1
	s_or_b32 exec_lo, exec_lo, s18
	v_cmp_ne_u16_sdwa s4, v24, v11 src0_sel:BYTE_1 src1_sel:DWORD
	s_and_saveexec_b32 s18, s4
	s_cbranch_execz .LBB355_2314
; %bb.2307:                             ;   in Loop: Header=BB355_1571 Depth=1
	v_cmp_ne_u16_sdwa s4, v24, v97 src0_sel:BYTE_1 src1_sel:DWORD
	v_bfrev_b32_e32 v1, 1
	s_and_saveexec_b32 s19, s4
	s_cbranch_execz .LBB355_2313
; %bb.2308:                             ;   in Loop: Header=BB355_1571 Depth=1
	v_mov_b32_e32 v1, 0xffff
	s_mov_b32 s20, exec_lo
	v_and_b32_sdwa v10, v1, v24 dst_sel:DWORD dst_unused:UNUSED_PAD src0_sel:DWORD src1_sel:BYTE_1
	v_mov_b32_e32 v1, 0x7f800001
	v_and_b32_e32 v12, 0x7f, v10
	v_cmpx_ne_u32_e32 0x7f, v12
	s_cbranch_execz .LBB355_2312
; %bb.2309:                             ;   in Loop: Header=BB355_1571 Depth=1
	v_and_b32_e32 v10, 7, v10
	v_mov_b32_e32 v27, v11
	v_lshrrev_b32_e32 v1, 3, v12
	s_mov_b32 s21, exec_lo
	v_mov_b32_e32 v26, v10
	v_cmpx_gt_u32_e32 8, v12
; %bb.2310:                             ;   in Loop: Header=BB355_1571 Depth=1
	v_ffbh_u32_e32 v1, v10
	v_min_u32_e32 v1, 32, v1
	v_subrev_nc_u32_e32 v12, 28, v1
	v_sub_nc_u32_e32 v1, 29, v1
	v_lshlrev_b64 v[12:13], v12, v[10:11]
	v_and_b32_e32 v26, 7, v12
; %bb.2311:                             ;   in Loop: Header=BB355_1571 Depth=1
	s_or_b32 exec_lo, exec_lo, s21
	v_lshlrev_b32_e32 v10, 16, v24
	v_lshlrev_b32_e32 v12, 20, v26
	v_lshl_add_u32 v1, v1, 23, 0x3c000000
	v_and_b32_e32 v10, 0x80000000, v10
	v_or3_b32 v1, v12, v10, v1
.LBB355_2312:                           ;   in Loop: Header=BB355_1571 Depth=1
	s_or_b32 exec_lo, exec_lo, s20
.LBB355_2313:                           ;   in Loop: Header=BB355_1571 Depth=1
	s_or_b32 exec_lo, exec_lo, s19
.LBB355_2314:                           ;   in Loop: Header=BB355_1571 Depth=1
	s_or_b32 exec_lo, exec_lo, s18
	v_and_b32_sdwa v10, v24, v99 dst_sel:DWORD dst_unused:UNUSED_PAD src0_sel:WORD_1 src1_sel:DWORD
	v_mov_b32_e32 v13, 0
	v_mov_b32_e32 v12, 0
	s_mov_b32 s18, exec_lo
	v_cmpx_ne_u16_e32 0, v10
	s_cbranch_execz .LBB355_2322
; %bb.2315:                             ;   in Loop: Header=BB355_1571 Depth=1
	v_bfrev_b32_e32 v12, 1
	s_mov_b32 s19, exec_lo
	v_cmpx_ne_u16_e32 0x80, v10
	s_cbranch_execz .LBB355_2321
; %bb.2316:                             ;   in Loop: Header=BB355_1571 Depth=1
	v_bfe_u32 v14, v24, 16, 7
	v_mov_b32_e32 v12, 0x7f800001
	s_mov_b32 s20, exec_lo
	v_cmpx_ne_u32_e32 0x7f, v14
	s_cbranch_execz .LBB355_2320
; %bb.2317:                             ;   in Loop: Header=BB355_1571 Depth=1
	v_mov_b32_e32 v10, 7
	v_lshrrev_b32_e32 v12, 3, v14
	s_mov_b32 s21, exec_lo
	v_and_b32_sdwa v10, v24, v10 dst_sel:DWORD dst_unused:UNUSED_PAD src0_sel:WORD_1 src1_sel:DWORD
	v_mov_b32_e32 v27, v11
	v_mov_b32_e32 v26, v10
	v_cmpx_gt_u32_e32 8, v14
; %bb.2318:                             ;   in Loop: Header=BB355_1571 Depth=1
	v_ffbh_u32_e32 v12, v10
	v_min_u32_e32 v12, 32, v12
	v_subrev_nc_u32_e32 v14, 28, v12
	v_sub_nc_u32_e32 v12, 29, v12
	v_lshlrev_b64 v[21:22], v14, v[10:11]
	v_and_b32_e32 v26, 7, v21
; %bb.2319:                             ;   in Loop: Header=BB355_1571 Depth=1
	s_or_b32 exec_lo, exec_lo, s21
	v_mov_b32_e32 v10, 24
	v_lshlrev_b32_e32 v14, 20, v26
	v_lshl_add_u32 v12, v12, 23, 0x3c000000
	v_lshlrev_b32_sdwa v10, v10, v24 dst_sel:DWORD dst_unused:UNUSED_PAD src0_sel:DWORD src1_sel:WORD_1
	v_and_b32_e32 v10, 0x80000000, v10
	v_or3_b32 v12, v14, v10, v12
.LBB355_2320:                           ;   in Loop: Header=BB355_1571 Depth=1
	s_or_b32 exec_lo, exec_lo, s20
.LBB355_2321:                           ;   in Loop: Header=BB355_1571 Depth=1
	s_or_b32 exec_lo, exec_lo, s19
.LBB355_2322:                           ;   in Loop: Header=BB355_1571 Depth=1
	s_or_b32 exec_lo, exec_lo, s18
	s_mov_b32 s18, exec_lo
	v_cmpx_lt_u32_e32 0xffffff, v24
	s_cbranch_execz .LBB355_2330
; %bb.2323:                             ;   in Loop: Header=BB355_1571 Depth=1
	v_cmp_ne_u32_sdwa s4, v24, v97 src0_sel:BYTE_3 src1_sel:DWORD
	v_bfrev_b32_e32 v13, 1
	s_and_saveexec_b32 s19, s4
	s_cbranch_execz .LBB355_2329
; %bb.2324:                             ;   in Loop: Header=BB355_1571 Depth=1
	v_bfe_u32 v14, v24, 24, 7
	v_mov_b32_e32 v13, 0x7f800001
	s_mov_b32 s20, exec_lo
	v_cmpx_ne_u32_e32 0x7f, v14
	s_cbranch_execz .LBB355_2328
; %bb.2325:                             ;   in Loop: Header=BB355_1571 Depth=1
	v_mov_b32_e32 v10, 7
	v_lshrrev_b32_e32 v13, 3, v14
	s_mov_b32 s21, exec_lo
	v_and_b32_sdwa v10, v24, v10 dst_sel:DWORD dst_unused:UNUSED_PAD src0_sel:BYTE_3 src1_sel:DWORD
	v_mov_b32_e32 v27, v11
	v_mov_b32_e32 v26, v10
	v_cmpx_gt_u32_e32 8, v14
; %bb.2326:                             ;   in Loop: Header=BB355_1571 Depth=1
	v_ffbh_u32_e32 v13, v10
	v_min_u32_e32 v13, 32, v13
	v_subrev_nc_u32_e32 v14, 28, v13
	v_sub_nc_u32_e32 v13, 29, v13
	v_lshlrev_b64 v[21:22], v14, v[10:11]
	v_and_b32_e32 v26, 7, v21
; %bb.2327:                             ;   in Loop: Header=BB355_1571 Depth=1
	s_or_b32 exec_lo, exec_lo, s21
	v_mov_b32_e32 v10, 24
	v_lshlrev_b32_e32 v14, 20, v26
	v_lshl_add_u32 v13, v13, 23, 0x3c000000
	v_lshlrev_b32_sdwa v10, v10, v24 dst_sel:DWORD dst_unused:UNUSED_PAD src0_sel:DWORD src1_sel:BYTE_3
	v_and_b32_e32 v10, 0x80000000, v10
	v_or3_b32 v13, v14, v10, v13
.LBB355_2328:                           ;   in Loop: Header=BB355_1571 Depth=1
	s_or_b32 exec_lo, exec_lo, s20
.LBB355_2329:                           ;   in Loop: Header=BB355_1571 Depth=1
	s_or_b32 exec_lo, exec_lo, s19
.LBB355_2330:                           ;   in Loop: Header=BB355_1571 Depth=1
	s_or_b32 exec_lo, exec_lo, s18
	v_mov_b32_e32 v10, v25
	v_cmp_ne_u16_sdwa s4, v25, v11 src0_sel:BYTE_0 src1_sel:DWORD
	v_mov_b32_e32 v22, 0
	v_mov_b32_e32 v21, 0
	s_and_saveexec_b32 s18, s4
	s_cbranch_execz .LBB355_2338
; %bb.2331:                             ;   in Loop: Header=BB355_1571 Depth=1
	v_cmp_ne_u16_sdwa s4, v25, v97 src0_sel:BYTE_0 src1_sel:DWORD
	v_bfrev_b32_e32 v21, 1
	s_and_saveexec_b32 s19, s4
	s_cbranch_execz .LBB355_2337
; %bb.2332:                             ;   in Loop: Header=BB355_1571 Depth=1
	v_and_b32_e32 v18, 0x7f, v25
	v_mov_b32_e32 v21, 0x7f800001
	s_mov_b32 s20, exec_lo
	v_cmpx_ne_u32_e32 0x7f, v18
	s_cbranch_execz .LBB355_2336
; %bb.2333:                             ;   in Loop: Header=BB355_1571 Depth=1
	v_mov_b32_e32 v27, v11
	v_lshrrev_b32_e32 v14, 3, v18
	v_mov_b32_e32 v26, v10
	s_mov_b32 s21, exec_lo
	v_cmpx_gt_u32_e32 8, v18
; %bb.2334:                             ;   in Loop: Header=BB355_1571 Depth=1
	v_and_b32_e32 v14, 7, v25
	v_ffbh_u32_e32 v14, v14
	v_min_u32_e32 v14, 32, v14
	v_subrev_nc_u32_e32 v18, 28, v14
	v_sub_nc_u32_e32 v14, 29, v14
	v_lshlrev_b64 v[26:27], v18, v[10:11]
; %bb.2335:                             ;   in Loop: Header=BB355_1571 Depth=1
	s_or_b32 exec_lo, exec_lo, s21
	v_lshlrev_b32_e32 v18, 20, v26
	v_lshlrev_b32_e32 v21, 24, v10
	v_lshl_add_u32 v14, v14, 23, 0x3c000000
	v_and_b32_e32 v18, 0x700000, v18
	v_and_b32_e32 v21, 0x80000000, v21
	v_or3_b32 v21, v18, v21, v14
.LBB355_2336:                           ;   in Loop: Header=BB355_1571 Depth=1
	s_or_b32 exec_lo, exec_lo, s20
.LBB355_2337:                           ;   in Loop: Header=BB355_1571 Depth=1
	s_or_b32 exec_lo, exec_lo, s19
.LBB355_2338:                           ;   in Loop: Header=BB355_1571 Depth=1
	s_or_b32 exec_lo, exec_lo, s18
	v_cmp_ne_u16_sdwa s4, v10, v11 src0_sel:BYTE_1 src1_sel:DWORD
	s_and_saveexec_b32 s18, s4
	s_cbranch_execz .LBB355_2346
; %bb.2339:                             ;   in Loop: Header=BB355_1571 Depth=1
	v_cmp_ne_u16_sdwa s4, v10, v97 src0_sel:BYTE_1 src1_sel:DWORD
	v_bfrev_b32_e32 v22, 1
	s_and_saveexec_b32 s19, s4
	s_cbranch_execz .LBB355_2345
; %bb.2340:                             ;   in Loop: Header=BB355_1571 Depth=1
	v_mov_b32_e32 v14, 0xffff
	v_mov_b32_e32 v22, 0x7f800001
	s_mov_b32 s20, exec_lo
	v_and_b32_sdwa v14, v14, v10 dst_sel:DWORD dst_unused:UNUSED_PAD src0_sel:DWORD src1_sel:BYTE_1
	v_and_b32_e32 v18, 0x7f, v14
	v_cmpx_ne_u32_e32 0x7f, v18
	s_cbranch_execz .LBB355_2344
; %bb.2341:                             ;   in Loop: Header=BB355_1571 Depth=1
	v_and_b32_e32 v26, 7, v14
	v_mov_b32_e32 v27, v11
	v_lshrrev_b32_e32 v14, 3, v18
	s_mov_b32 s21, exec_lo
	v_cmpx_gt_u32_e32 8, v18
; %bb.2342:                             ;   in Loop: Header=BB355_1571 Depth=1
	v_ffbh_u32_e32 v14, v26
	v_min_u32_e32 v14, 32, v14
	v_subrev_nc_u32_e32 v18, 28, v14
	v_sub_nc_u32_e32 v14, 29, v14
	v_lshlrev_b64 v[22:23], v18, v[26:27]
	v_and_b32_e32 v26, 7, v22
; %bb.2343:                             ;   in Loop: Header=BB355_1571 Depth=1
	s_or_b32 exec_lo, exec_lo, s21
	v_lshlrev_b32_e32 v10, 16, v10
	v_lshlrev_b32_e32 v18, 20, v26
	v_lshl_add_u32 v14, v14, 23, 0x3c000000
	v_and_b32_e32 v10, 0x80000000, v10
	v_or3_b32 v22, v18, v10, v14
.LBB355_2344:                           ;   in Loop: Header=BB355_1571 Depth=1
	s_or_b32 exec_lo, exec_lo, s20
.LBB355_2345:                           ;   in Loop: Header=BB355_1571 Depth=1
	s_or_b32 exec_lo, exec_lo, s19
.LBB355_2346:                           ;   in Loop: Header=BB355_1571 Depth=1
	s_or_b32 exec_lo, exec_lo, s18
	v_and_b32_sdwa v10, v25, v99 dst_sel:DWORD dst_unused:UNUSED_PAD src0_sel:WORD_1 src1_sel:DWORD
	v_mov_b32_e32 v14, 0
	v_mov_b32_e32 v18, 0
	s_mov_b32 s18, exec_lo
	v_cmpx_ne_u16_e32 0, v10
	s_cbranch_execz .LBB355_2354
; %bb.2347:                             ;   in Loop: Header=BB355_1571 Depth=1
	v_bfrev_b32_e32 v18, 1
	s_mov_b32 s19, exec_lo
	v_cmpx_ne_u16_e32 0x80, v10
	s_cbranch_execz .LBB355_2353
; %bb.2348:                             ;   in Loop: Header=BB355_1571 Depth=1
	v_bfe_u32 v23, v25, 16, 7
	v_mov_b32_e32 v18, 0x7f800001
	s_mov_b32 s20, exec_lo
	v_cmpx_ne_u32_e32 0x7f, v23
	s_cbranch_execz .LBB355_2352
; %bb.2349:                             ;   in Loop: Header=BB355_1571 Depth=1
	v_mov_b32_e32 v10, 7
	v_lshrrev_b32_e32 v18, 3, v23
	s_mov_b32 s21, exec_lo
	v_and_b32_sdwa v10, v25, v10 dst_sel:DWORD dst_unused:UNUSED_PAD src0_sel:WORD_1 src1_sel:DWORD
	v_mov_b32_e32 v27, v11
	v_mov_b32_e32 v26, v10
	v_cmpx_gt_u32_e32 8, v23
; %bb.2350:                             ;   in Loop: Header=BB355_1571 Depth=1
	v_ffbh_u32_e32 v18, v10
	v_min_u32_e32 v18, 32, v18
	v_subrev_nc_u32_e32 v23, 28, v18
	v_sub_nc_u32_e32 v18, 29, v18
	v_lshlrev_b64 v[26:27], v23, v[10:11]
	v_and_b32_e32 v26, 7, v26
; %bb.2351:                             ;   in Loop: Header=BB355_1571 Depth=1
	s_or_b32 exec_lo, exec_lo, s21
	v_mov_b32_e32 v10, 24
	v_lshlrev_b32_e32 v23, 20, v26
	v_lshl_add_u32 v18, v18, 23, 0x3c000000
	v_lshlrev_b32_sdwa v10, v10, v25 dst_sel:DWORD dst_unused:UNUSED_PAD src0_sel:DWORD src1_sel:WORD_1
	v_and_b32_e32 v10, 0x80000000, v10
	v_or3_b32 v18, v23, v10, v18
.LBB355_2352:                           ;   in Loop: Header=BB355_1571 Depth=1
	s_or_b32 exec_lo, exec_lo, s20
.LBB355_2353:                           ;   in Loop: Header=BB355_1571 Depth=1
	s_or_b32 exec_lo, exec_lo, s19
.LBB355_2354:                           ;   in Loop: Header=BB355_1571 Depth=1
	s_or_b32 exec_lo, exec_lo, s18
	s_mov_b32 s18, exec_lo
	v_cmpx_lt_u64_e64 s[6:7], v[24:25]
	s_cbranch_execz .LBB355_2362
; %bb.2355:                             ;   in Loop: Header=BB355_1571 Depth=1
	v_cmp_ne_u32_sdwa s4, v25, v97 src0_sel:BYTE_3 src1_sel:DWORD
	v_bfrev_b32_e32 v14, 1
	s_and_saveexec_b32 s19, s4
	s_cbranch_execz .LBB355_2361
; %bb.2356:                             ;   in Loop: Header=BB355_1571 Depth=1
	v_bfe_u32 v23, v25, 24, 7
	v_mov_b32_e32 v14, 0x7f800001
	s_mov_b32 s20, exec_lo
	v_cmpx_ne_u32_e32 0x7f, v23
	s_cbranch_execz .LBB355_2360
; %bb.2357:                             ;   in Loop: Header=BB355_1571 Depth=1
	v_mov_b32_e32 v10, 7
	v_lshrrev_b32_e32 v14, 3, v23
	s_mov_b32 s21, exec_lo
	v_and_b32_sdwa v10, v25, v10 dst_sel:DWORD dst_unused:UNUSED_PAD src0_sel:BYTE_3 src1_sel:DWORD
	v_mov_b32_e32 v27, v11
	v_mov_b32_e32 v26, v10
	v_cmpx_gt_u32_e32 8, v23
; %bb.2358:                             ;   in Loop: Header=BB355_1571 Depth=1
	v_ffbh_u32_e32 v14, v10
	v_min_u32_e32 v14, 32, v14
	v_subrev_nc_u32_e32 v23, 28, v14
	v_sub_nc_u32_e32 v14, 29, v14
	v_lshlrev_b64 v[23:24], v23, v[10:11]
	v_and_b32_e32 v26, 7, v23
; %bb.2359:                             ;   in Loop: Header=BB355_1571 Depth=1
	s_or_b32 exec_lo, exec_lo, s21
	v_mov_b32_e32 v10, 24
	v_lshlrev_b32_e32 v23, 20, v26
	v_lshl_add_u32 v14, v14, 23, 0x3c000000
	v_lshlrev_b32_sdwa v10, v10, v25 dst_sel:DWORD dst_unused:UNUSED_PAD src0_sel:DWORD src1_sel:BYTE_3
	v_and_b32_e32 v10, 0x80000000, v10
	v_or3_b32 v14, v23, v10, v14
.LBB355_2360:                           ;   in Loop: Header=BB355_1571 Depth=1
	s_or_b32 exec_lo, exec_lo, s20
.LBB355_2361:                           ;   in Loop: Header=BB355_1571 Depth=1
	s_or_b32 exec_lo, exec_lo, s19
.LBB355_2362:                           ;   in Loop: Header=BB355_1571 Depth=1
	s_or_b32 exec_lo, exec_lo, s18
	v_mul_f32_e32 v10, v111, v22
	v_mul_f32_e32 v1, v111, v1
	;; [unrolled: 1-line block ×3, first 2 shown]
	v_bfe_u32 v22, v10, 16, 1
	v_or_b32_e32 v23, 0x400000, v10
	v_cmp_u_f32_e64 s4, v10, v10
	v_add3_u32 v22, v22, v10, 0x7fff
	v_cndmask_b32_e64 v10, v22, v23, s4
	v_lshrrev_b32_e32 v10, 16, v10
	buffer_store_dword v10, off, s[0:3], s32 offset:576 ; 4-byte Folded Spill
	v_mul_f32_e32 v10, v111, v21
	v_bfe_u32 v21, v10, 16, 1
	v_or_b32_e32 v22, 0x400000, v10
	v_cmp_u_f32_e64 s4, v10, v10
	v_add3_u32 v21, v21, v10, 0x7fff
	v_cndmask_b32_e64 v10, v21, v22, s4
	v_lshrrev_b32_e32 v10, 16, v10
	buffer_store_dword v10, off, s[0:3], s32 offset:580 ; 4-byte Folded Spill
	v_mul_f32_e32 v10, v111, v13
	v_bfe_u32 v13, v10, 16, 1
	v_or_b32_e32 v21, 0x400000, v10
	v_cmp_u_f32_e64 s4, v10, v10
	v_add3_u32 v13, v13, v10, 0x7fff
	v_cndmask_b32_e64 v10, v13, v21, s4
	v_lshrrev_b32_e32 v10, 16, v10
	buffer_store_dword v10, off, s[0:3], s32 offset:584 ; 4-byte Folded Spill
	v_mul_f32_e32 v10, v111, v12
	v_bfe_u32 v12, v10, 16, 1
	v_or_b32_e32 v13, 0x400000, v10
	v_cmp_u_f32_e64 s4, v10, v10
	v_add3_u32 v12, v12, v10, 0x7fff
	v_cndmask_b32_e64 v10, v12, v13, s4
	v_or_b32_e32 v12, 0x400000, v1
	v_cmp_u_f32_e64 s4, v1, v1
	v_lshrrev_b32_e32 v10, 16, v10
	buffer_store_dword v10, off, s[0:3], s32 offset:588 ; 4-byte Folded Spill
	v_bfe_u32 v10, v1, 16, 1
	v_add3_u32 v10, v10, v1, 0x7fff
	v_cndmask_b32_e64 v1, v10, v12, s4
	v_or_b32_e32 v10, 0x400000, v0
	v_cmp_u_f32_e64 s4, v0, v0
	v_lshrrev_b32_e32 v1, 16, v1
	buffer_store_dword v1, off, s[0:3], s32 offset:592 ; 4-byte Folded Spill
	v_bfe_u32 v1, v0, 16, 1
	v_add3_u32 v1, v1, v0, 0x7fff
	v_cndmask_b32_e64 v0, v1, v10, s4
	v_lshrrev_b32_e32 v118, 16, v0
	v_mul_f32_e32 v0, v111, v18
	v_bfe_u32 v1, v0, 16, 1
	v_or_b32_e32 v10, 0x400000, v0
	v_cmp_u_f32_e64 s4, v0, v0
	v_add3_u32 v1, v1, v0, 0x7fff
	v_cndmask_b32_e64 v0, v1, v10, s4
	v_lshrrev_b32_e32 v0, 16, v0
	buffer_store_dword v0, off, s[0:3], s32 offset:596 ; 4-byte Folded Spill
	v_mul_f32_e32 v0, v111, v14
	v_bfe_u32 v1, v0, 16, 1
	v_or_b32_e32 v10, 0x400000, v0
	v_cmp_u_f32_e64 s4, v0, v0
	v_add3_u32 v1, v1, v0, 0x7fff
	v_cndmask_b32_e64 v0, v1, v10, s4
	v_lshrrev_b32_e32 v119, 16, v0
	s_and_saveexec_b32 s18, vcc_lo
	s_cbranch_execz .LBB355_2364
; %bb.2363:                             ;   in Loop: Header=BB355_1571 Depth=1
	buffer_load_dword v0, off, s[0:3], s32 offset:592 ; 4-byte Folded Reload
	v_cmp_lt_i32_e64 s4, v109, v123
	v_cndmask_b32_e64 v118, 0, v118, s4
	v_cmp_lt_i32_e64 s4, v74, v123
	s_waitcnt vmcnt(0)
	v_cndmask_b32_e64 v0, 0, v0, s4
	v_cmp_lt_i32_e64 s4, v35, v123
	buffer_store_dword v0, off, s[0:3], s32 offset:592 ; 4-byte Folded Spill
	buffer_load_dword v0, off, s[0:3], s32 offset:588 ; 4-byte Folded Reload
	s_waitcnt vmcnt(0)
	v_cndmask_b32_e64 v0, 0, v0, s4
	v_cmp_lt_i32_e64 s4, v126, v123
	buffer_store_dword v0, off, s[0:3], s32 offset:588 ; 4-byte Folded Spill
	buffer_load_dword v0, off, s[0:3], s32 offset:584 ; 4-byte Folded Reload
	;; [unrolled: 5-line block ×5, first 2 shown]
	s_waitcnt vmcnt(0)
	v_cndmask_b32_e64 v0, 0, v0, s4
	v_cmp_lt_i32_e64 s4, v122, v123
	buffer_store_dword v0, off, s[0:3], s32 offset:596 ; 4-byte Folded Spill
	v_cndmask_b32_e64 v119, 0, v119, s4
.LBB355_2364:                           ;   in Loop: Header=BB355_1571 Depth=1
	s_or_b32 exec_lo, exec_lo, s18
	flat_load_dwordx2 v[24:25], v[19:20] offset:1024
	v_mov_b32_e32 v1, 0
	v_mov_b32_e32 v0, 0
	s_waitcnt vmcnt(0) lgkmcnt(0)
	v_cmp_ne_u16_sdwa s4, v24, v11 src0_sel:BYTE_0 src1_sel:DWORD
	s_and_saveexec_b32 s18, s4
	s_cbranch_execz .LBB355_2372
; %bb.2365:                             ;   in Loop: Header=BB355_1571 Depth=1
	v_cmp_ne_u16_sdwa s4, v24, v97 src0_sel:BYTE_0 src1_sel:DWORD
	v_bfrev_b32_e32 v0, 1
	s_and_saveexec_b32 s19, s4
	s_cbranch_execz .LBB355_2371
; %bb.2366:                             ;   in Loop: Header=BB355_1571 Depth=1
	v_and_b32_e32 v10, 0x7f, v24
	v_mov_b32_e32 v0, 0x7f800001
	s_mov_b32 s20, exec_lo
	v_cmpx_ne_u32_e32 0x7f, v10
	s_cbranch_execz .LBB355_2370
; %bb.2367:                             ;   in Loop: Header=BB355_1571 Depth=1
	v_mov_b32_e32 v27, v25
	v_lshrrev_b32_e32 v0, 3, v10
	v_mov_b32_e32 v26, v24
	s_mov_b32 s21, exec_lo
	v_cmpx_gt_u32_e32 8, v10
; %bb.2368:                             ;   in Loop: Header=BB355_1571 Depth=1
	v_and_b32_e32 v0, 7, v24
	v_ffbh_u32_e32 v0, v0
	v_min_u32_e32 v0, 32, v0
	v_subrev_nc_u32_e32 v10, 28, v0
	v_sub_nc_u32_e32 v0, 29, v0
	v_lshlrev_b64 v[26:27], v10, v[24:25]
; %bb.2369:                             ;   in Loop: Header=BB355_1571 Depth=1
	s_or_b32 exec_lo, exec_lo, s21
	v_lshlrev_b32_e32 v10, 20, v26
	v_lshlrev_b32_e32 v12, 24, v24
	v_lshl_add_u32 v0, v0, 23, 0x3c000000
	v_and_b32_e32 v10, 0x700000, v10
	v_and_b32_e32 v12, 0x80000000, v12
	v_or3_b32 v0, v10, v12, v0
.LBB355_2370:                           ;   in Loop: Header=BB355_1571 Depth=1
	s_or_b32 exec_lo, exec_lo, s20
.LBB355_2371:                           ;   in Loop: Header=BB355_1571 Depth=1
	s_or_b32 exec_lo, exec_lo, s19
.LBB355_2372:                           ;   in Loop: Header=BB355_1571 Depth=1
	s_or_b32 exec_lo, exec_lo, s18
	v_cmp_ne_u16_sdwa s4, v24, v11 src0_sel:BYTE_1 src1_sel:DWORD
	s_and_saveexec_b32 s18, s4
	s_cbranch_execz .LBB355_2380
; %bb.2373:                             ;   in Loop: Header=BB355_1571 Depth=1
	v_cmp_ne_u16_sdwa s4, v24, v97 src0_sel:BYTE_1 src1_sel:DWORD
	v_bfrev_b32_e32 v1, 1
	s_and_saveexec_b32 s19, s4
	s_cbranch_execz .LBB355_2379
; %bb.2374:                             ;   in Loop: Header=BB355_1571 Depth=1
	v_mov_b32_e32 v1, 0xffff
	s_mov_b32 s20, exec_lo
	v_and_b32_sdwa v10, v1, v24 dst_sel:DWORD dst_unused:UNUSED_PAD src0_sel:DWORD src1_sel:BYTE_1
	v_mov_b32_e32 v1, 0x7f800001
	v_and_b32_e32 v12, 0x7f, v10
	v_cmpx_ne_u32_e32 0x7f, v12
	s_cbranch_execz .LBB355_2378
; %bb.2375:                             ;   in Loop: Header=BB355_1571 Depth=1
	v_and_b32_e32 v10, 7, v10
	v_mov_b32_e32 v27, v11
	v_lshrrev_b32_e32 v1, 3, v12
	s_mov_b32 s21, exec_lo
	v_mov_b32_e32 v26, v10
	v_cmpx_gt_u32_e32 8, v12
; %bb.2376:                             ;   in Loop: Header=BB355_1571 Depth=1
	v_ffbh_u32_e32 v1, v10
	v_min_u32_e32 v1, 32, v1
	v_subrev_nc_u32_e32 v12, 28, v1
	v_sub_nc_u32_e32 v1, 29, v1
	v_lshlrev_b64 v[12:13], v12, v[10:11]
	v_and_b32_e32 v26, 7, v12
; %bb.2377:                             ;   in Loop: Header=BB355_1571 Depth=1
	s_or_b32 exec_lo, exec_lo, s21
	v_lshlrev_b32_e32 v10, 16, v24
	v_lshlrev_b32_e32 v12, 20, v26
	v_lshl_add_u32 v1, v1, 23, 0x3c000000
	v_and_b32_e32 v10, 0x80000000, v10
	v_or3_b32 v1, v12, v10, v1
.LBB355_2378:                           ;   in Loop: Header=BB355_1571 Depth=1
	s_or_b32 exec_lo, exec_lo, s20
.LBB355_2379:                           ;   in Loop: Header=BB355_1571 Depth=1
	s_or_b32 exec_lo, exec_lo, s19
.LBB355_2380:                           ;   in Loop: Header=BB355_1571 Depth=1
	s_or_b32 exec_lo, exec_lo, s18
	v_and_b32_sdwa v10, v24, v99 dst_sel:DWORD dst_unused:UNUSED_PAD src0_sel:WORD_1 src1_sel:DWORD
	v_mov_b32_e32 v13, 0
	v_mov_b32_e32 v12, 0
	s_mov_b32 s18, exec_lo
	v_cmpx_ne_u16_e32 0, v10
	s_cbranch_execz .LBB355_2388
; %bb.2381:                             ;   in Loop: Header=BB355_1571 Depth=1
	v_bfrev_b32_e32 v12, 1
	s_mov_b32 s19, exec_lo
	v_cmpx_ne_u16_e32 0x80, v10
	s_cbranch_execz .LBB355_2387
; %bb.2382:                             ;   in Loop: Header=BB355_1571 Depth=1
	v_bfe_u32 v14, v24, 16, 7
	v_mov_b32_e32 v12, 0x7f800001
	s_mov_b32 s20, exec_lo
	v_cmpx_ne_u32_e32 0x7f, v14
	s_cbranch_execz .LBB355_2386
; %bb.2383:                             ;   in Loop: Header=BB355_1571 Depth=1
	v_mov_b32_e32 v10, 7
	v_lshrrev_b32_e32 v12, 3, v14
	s_mov_b32 s21, exec_lo
	v_and_b32_sdwa v10, v24, v10 dst_sel:DWORD dst_unused:UNUSED_PAD src0_sel:WORD_1 src1_sel:DWORD
	v_mov_b32_e32 v27, v11
	v_mov_b32_e32 v26, v10
	v_cmpx_gt_u32_e32 8, v14
; %bb.2384:                             ;   in Loop: Header=BB355_1571 Depth=1
	v_ffbh_u32_e32 v12, v10
	v_min_u32_e32 v12, 32, v12
	v_subrev_nc_u32_e32 v14, 28, v12
	v_sub_nc_u32_e32 v12, 29, v12
	v_lshlrev_b64 v[21:22], v14, v[10:11]
	v_and_b32_e32 v26, 7, v21
; %bb.2385:                             ;   in Loop: Header=BB355_1571 Depth=1
	s_or_b32 exec_lo, exec_lo, s21
	v_mov_b32_e32 v10, 24
	v_lshlrev_b32_e32 v14, 20, v26
	v_lshl_add_u32 v12, v12, 23, 0x3c000000
	v_lshlrev_b32_sdwa v10, v10, v24 dst_sel:DWORD dst_unused:UNUSED_PAD src0_sel:DWORD src1_sel:WORD_1
	v_and_b32_e32 v10, 0x80000000, v10
	v_or3_b32 v12, v14, v10, v12
.LBB355_2386:                           ;   in Loop: Header=BB355_1571 Depth=1
	s_or_b32 exec_lo, exec_lo, s20
.LBB355_2387:                           ;   in Loop: Header=BB355_1571 Depth=1
	s_or_b32 exec_lo, exec_lo, s19
.LBB355_2388:                           ;   in Loop: Header=BB355_1571 Depth=1
	s_or_b32 exec_lo, exec_lo, s18
	s_mov_b32 s18, exec_lo
	v_cmpx_lt_u32_e32 0xffffff, v24
	s_cbranch_execz .LBB355_2396
; %bb.2389:                             ;   in Loop: Header=BB355_1571 Depth=1
	v_cmp_ne_u32_sdwa s4, v24, v97 src0_sel:BYTE_3 src1_sel:DWORD
	v_bfrev_b32_e32 v13, 1
	s_and_saveexec_b32 s19, s4
	s_cbranch_execz .LBB355_2395
; %bb.2390:                             ;   in Loop: Header=BB355_1571 Depth=1
	v_bfe_u32 v14, v24, 24, 7
	v_mov_b32_e32 v13, 0x7f800001
	s_mov_b32 s20, exec_lo
	v_cmpx_ne_u32_e32 0x7f, v14
	s_cbranch_execz .LBB355_2394
; %bb.2391:                             ;   in Loop: Header=BB355_1571 Depth=1
	v_mov_b32_e32 v10, 7
	v_lshrrev_b32_e32 v13, 3, v14
	s_mov_b32 s21, exec_lo
	v_and_b32_sdwa v10, v24, v10 dst_sel:DWORD dst_unused:UNUSED_PAD src0_sel:BYTE_3 src1_sel:DWORD
	v_mov_b32_e32 v27, v11
	v_mov_b32_e32 v26, v10
	v_cmpx_gt_u32_e32 8, v14
; %bb.2392:                             ;   in Loop: Header=BB355_1571 Depth=1
	v_ffbh_u32_e32 v13, v10
	v_min_u32_e32 v13, 32, v13
	v_subrev_nc_u32_e32 v14, 28, v13
	v_sub_nc_u32_e32 v13, 29, v13
	v_lshlrev_b64 v[21:22], v14, v[10:11]
	v_and_b32_e32 v26, 7, v21
; %bb.2393:                             ;   in Loop: Header=BB355_1571 Depth=1
	s_or_b32 exec_lo, exec_lo, s21
	v_mov_b32_e32 v10, 24
	v_lshlrev_b32_e32 v14, 20, v26
	v_lshl_add_u32 v13, v13, 23, 0x3c000000
	v_lshlrev_b32_sdwa v10, v10, v24 dst_sel:DWORD dst_unused:UNUSED_PAD src0_sel:DWORD src1_sel:BYTE_3
	v_and_b32_e32 v10, 0x80000000, v10
	v_or3_b32 v13, v14, v10, v13
.LBB355_2394:                           ;   in Loop: Header=BB355_1571 Depth=1
	s_or_b32 exec_lo, exec_lo, s20
.LBB355_2395:                           ;   in Loop: Header=BB355_1571 Depth=1
	s_or_b32 exec_lo, exec_lo, s19
.LBB355_2396:                           ;   in Loop: Header=BB355_1571 Depth=1
	s_or_b32 exec_lo, exec_lo, s18
	v_mov_b32_e32 v10, v25
	v_cmp_ne_u16_sdwa s4, v25, v11 src0_sel:BYTE_0 src1_sel:DWORD
	v_mov_b32_e32 v22, 0
	v_mov_b32_e32 v21, 0
	s_and_saveexec_b32 s18, s4
	s_cbranch_execz .LBB355_2404
; %bb.2397:                             ;   in Loop: Header=BB355_1571 Depth=1
	v_cmp_ne_u16_sdwa s4, v25, v97 src0_sel:BYTE_0 src1_sel:DWORD
	v_bfrev_b32_e32 v21, 1
	s_and_saveexec_b32 s19, s4
	s_cbranch_execz .LBB355_2403
; %bb.2398:                             ;   in Loop: Header=BB355_1571 Depth=1
	v_and_b32_e32 v18, 0x7f, v25
	v_mov_b32_e32 v21, 0x7f800001
	s_mov_b32 s20, exec_lo
	v_cmpx_ne_u32_e32 0x7f, v18
	s_cbranch_execz .LBB355_2402
; %bb.2399:                             ;   in Loop: Header=BB355_1571 Depth=1
	v_mov_b32_e32 v27, v11
	v_lshrrev_b32_e32 v14, 3, v18
	v_mov_b32_e32 v26, v10
	s_mov_b32 s21, exec_lo
	v_cmpx_gt_u32_e32 8, v18
; %bb.2400:                             ;   in Loop: Header=BB355_1571 Depth=1
	v_and_b32_e32 v14, 7, v25
	v_ffbh_u32_e32 v14, v14
	v_min_u32_e32 v14, 32, v14
	v_subrev_nc_u32_e32 v18, 28, v14
	v_sub_nc_u32_e32 v14, 29, v14
	v_lshlrev_b64 v[26:27], v18, v[10:11]
; %bb.2401:                             ;   in Loop: Header=BB355_1571 Depth=1
	s_or_b32 exec_lo, exec_lo, s21
	v_lshlrev_b32_e32 v18, 20, v26
	v_lshlrev_b32_e32 v21, 24, v10
	v_lshl_add_u32 v14, v14, 23, 0x3c000000
	v_and_b32_e32 v18, 0x700000, v18
	v_and_b32_e32 v21, 0x80000000, v21
	v_or3_b32 v21, v18, v21, v14
.LBB355_2402:                           ;   in Loop: Header=BB355_1571 Depth=1
	s_or_b32 exec_lo, exec_lo, s20
.LBB355_2403:                           ;   in Loop: Header=BB355_1571 Depth=1
	s_or_b32 exec_lo, exec_lo, s19
.LBB355_2404:                           ;   in Loop: Header=BB355_1571 Depth=1
	s_or_b32 exec_lo, exec_lo, s18
	v_cmp_ne_u16_sdwa s4, v10, v11 src0_sel:BYTE_1 src1_sel:DWORD
	s_and_saveexec_b32 s18, s4
	s_cbranch_execz .LBB355_2412
; %bb.2405:                             ;   in Loop: Header=BB355_1571 Depth=1
	v_cmp_ne_u16_sdwa s4, v10, v97 src0_sel:BYTE_1 src1_sel:DWORD
	v_bfrev_b32_e32 v22, 1
	s_and_saveexec_b32 s19, s4
	s_cbranch_execz .LBB355_2411
; %bb.2406:                             ;   in Loop: Header=BB355_1571 Depth=1
	v_mov_b32_e32 v14, 0xffff
	v_mov_b32_e32 v22, 0x7f800001
	s_mov_b32 s20, exec_lo
	v_and_b32_sdwa v14, v14, v10 dst_sel:DWORD dst_unused:UNUSED_PAD src0_sel:DWORD src1_sel:BYTE_1
	v_and_b32_e32 v18, 0x7f, v14
	v_cmpx_ne_u32_e32 0x7f, v18
	s_cbranch_execz .LBB355_2410
; %bb.2407:                             ;   in Loop: Header=BB355_1571 Depth=1
	v_and_b32_e32 v26, 7, v14
	v_mov_b32_e32 v27, v11
	v_lshrrev_b32_e32 v14, 3, v18
	s_mov_b32 s21, exec_lo
	v_cmpx_gt_u32_e32 8, v18
; %bb.2408:                             ;   in Loop: Header=BB355_1571 Depth=1
	v_ffbh_u32_e32 v14, v26
	v_min_u32_e32 v14, 32, v14
	v_subrev_nc_u32_e32 v18, 28, v14
	v_sub_nc_u32_e32 v14, 29, v14
	v_lshlrev_b64 v[22:23], v18, v[26:27]
	v_and_b32_e32 v26, 7, v22
; %bb.2409:                             ;   in Loop: Header=BB355_1571 Depth=1
	s_or_b32 exec_lo, exec_lo, s21
	v_lshlrev_b32_e32 v10, 16, v10
	v_lshlrev_b32_e32 v18, 20, v26
	v_lshl_add_u32 v14, v14, 23, 0x3c000000
	v_and_b32_e32 v10, 0x80000000, v10
	v_or3_b32 v22, v18, v10, v14
.LBB355_2410:                           ;   in Loop: Header=BB355_1571 Depth=1
	s_or_b32 exec_lo, exec_lo, s20
.LBB355_2411:                           ;   in Loop: Header=BB355_1571 Depth=1
	s_or_b32 exec_lo, exec_lo, s19
.LBB355_2412:                           ;   in Loop: Header=BB355_1571 Depth=1
	s_or_b32 exec_lo, exec_lo, s18
	v_and_b32_sdwa v10, v25, v99 dst_sel:DWORD dst_unused:UNUSED_PAD src0_sel:WORD_1 src1_sel:DWORD
	v_mov_b32_e32 v14, 0
	v_mov_b32_e32 v18, 0
	s_mov_b32 s18, exec_lo
	v_cmpx_ne_u16_e32 0, v10
	s_cbranch_execz .LBB355_2420
; %bb.2413:                             ;   in Loop: Header=BB355_1571 Depth=1
	v_bfrev_b32_e32 v18, 1
	s_mov_b32 s19, exec_lo
	v_cmpx_ne_u16_e32 0x80, v10
	s_cbranch_execz .LBB355_2419
; %bb.2414:                             ;   in Loop: Header=BB355_1571 Depth=1
	v_bfe_u32 v23, v25, 16, 7
	v_mov_b32_e32 v18, 0x7f800001
	s_mov_b32 s20, exec_lo
	v_cmpx_ne_u32_e32 0x7f, v23
	s_cbranch_execz .LBB355_2418
; %bb.2415:                             ;   in Loop: Header=BB355_1571 Depth=1
	v_mov_b32_e32 v10, 7
	v_lshrrev_b32_e32 v18, 3, v23
	s_mov_b32 s21, exec_lo
	v_and_b32_sdwa v10, v25, v10 dst_sel:DWORD dst_unused:UNUSED_PAD src0_sel:WORD_1 src1_sel:DWORD
	v_mov_b32_e32 v27, v11
	v_mov_b32_e32 v26, v10
	v_cmpx_gt_u32_e32 8, v23
; %bb.2416:                             ;   in Loop: Header=BB355_1571 Depth=1
	v_ffbh_u32_e32 v18, v10
	v_min_u32_e32 v18, 32, v18
	v_subrev_nc_u32_e32 v23, 28, v18
	v_sub_nc_u32_e32 v18, 29, v18
	v_lshlrev_b64 v[26:27], v23, v[10:11]
	v_and_b32_e32 v26, 7, v26
; %bb.2417:                             ;   in Loop: Header=BB355_1571 Depth=1
	s_or_b32 exec_lo, exec_lo, s21
	v_mov_b32_e32 v10, 24
	v_lshlrev_b32_e32 v23, 20, v26
	v_lshl_add_u32 v18, v18, 23, 0x3c000000
	v_lshlrev_b32_sdwa v10, v10, v25 dst_sel:DWORD dst_unused:UNUSED_PAD src0_sel:DWORD src1_sel:WORD_1
	v_and_b32_e32 v10, 0x80000000, v10
	v_or3_b32 v18, v23, v10, v18
.LBB355_2418:                           ;   in Loop: Header=BB355_1571 Depth=1
	s_or_b32 exec_lo, exec_lo, s20
.LBB355_2419:                           ;   in Loop: Header=BB355_1571 Depth=1
	s_or_b32 exec_lo, exec_lo, s19
.LBB355_2420:                           ;   in Loop: Header=BB355_1571 Depth=1
	s_or_b32 exec_lo, exec_lo, s18
	s_mov_b32 s18, exec_lo
	v_cmpx_lt_u64_e64 s[6:7], v[24:25]
	s_cbranch_execz .LBB355_2428
; %bb.2421:                             ;   in Loop: Header=BB355_1571 Depth=1
	v_cmp_ne_u32_sdwa s4, v25, v97 src0_sel:BYTE_3 src1_sel:DWORD
	v_bfrev_b32_e32 v14, 1
	s_and_saveexec_b32 s19, s4
	s_cbranch_execz .LBB355_2427
; %bb.2422:                             ;   in Loop: Header=BB355_1571 Depth=1
	v_bfe_u32 v23, v25, 24, 7
	v_mov_b32_e32 v14, 0x7f800001
	s_mov_b32 s20, exec_lo
	v_cmpx_ne_u32_e32 0x7f, v23
	s_cbranch_execz .LBB355_2426
; %bb.2423:                             ;   in Loop: Header=BB355_1571 Depth=1
	v_mov_b32_e32 v10, 7
	v_lshrrev_b32_e32 v14, 3, v23
	s_mov_b32 s21, exec_lo
	v_and_b32_sdwa v10, v25, v10 dst_sel:DWORD dst_unused:UNUSED_PAD src0_sel:BYTE_3 src1_sel:DWORD
	v_mov_b32_e32 v27, v11
	v_mov_b32_e32 v26, v10
	v_cmpx_gt_u32_e32 8, v23
; %bb.2424:                             ;   in Loop: Header=BB355_1571 Depth=1
	v_ffbh_u32_e32 v14, v10
	v_min_u32_e32 v14, 32, v14
	v_subrev_nc_u32_e32 v23, 28, v14
	v_sub_nc_u32_e32 v14, 29, v14
	v_lshlrev_b64 v[23:24], v23, v[10:11]
	v_and_b32_e32 v26, 7, v23
; %bb.2425:                             ;   in Loop: Header=BB355_1571 Depth=1
	s_or_b32 exec_lo, exec_lo, s21
	v_mov_b32_e32 v10, 24
	v_lshlrev_b32_e32 v23, 20, v26
	v_lshl_add_u32 v14, v14, 23, 0x3c000000
	v_lshlrev_b32_sdwa v10, v10, v25 dst_sel:DWORD dst_unused:UNUSED_PAD src0_sel:DWORD src1_sel:BYTE_3
	v_and_b32_e32 v10, 0x80000000, v10
	v_or3_b32 v14, v23, v10, v14
.LBB355_2426:                           ;   in Loop: Header=BB355_1571 Depth=1
	s_or_b32 exec_lo, exec_lo, s20
.LBB355_2427:                           ;   in Loop: Header=BB355_1571 Depth=1
	s_or_b32 exec_lo, exec_lo, s19
.LBB355_2428:                           ;   in Loop: Header=BB355_1571 Depth=1
	s_or_b32 exec_lo, exec_lo, s18
	v_mul_f32_e32 v10, v111, v22
	v_mul_f32_e32 v1, v111, v1
	;; [unrolled: 1-line block ×3, first 2 shown]
	v_bfe_u32 v22, v10, 16, 1
	v_or_b32_e32 v23, 0x400000, v10
	v_cmp_u_f32_e64 s4, v10, v10
	v_add3_u32 v22, v22, v10, 0x7fff
	v_cndmask_b32_e64 v10, v22, v23, s4
	v_lshrrev_b32_e32 v40, 16, v10
	v_mul_f32_e32 v10, v111, v21
	v_bfe_u32 v21, v10, 16, 1
	v_or_b32_e32 v22, 0x400000, v10
	v_cmp_u_f32_e64 s4, v10, v10
	v_add3_u32 v21, v21, v10, 0x7fff
	v_cndmask_b32_e64 v10, v21, v22, s4
	v_lshrrev_b32_e32 v41, 16, v10
	v_mul_f32_e32 v10, v111, v13
	;; [unrolled: 7-line block ×3, first 2 shown]
	v_bfe_u32 v12, v10, 16, 1
	v_or_b32_e32 v13, 0x400000, v10
	v_cmp_u_f32_e64 s4, v10, v10
	v_add3_u32 v12, v12, v10, 0x7fff
	v_cndmask_b32_e64 v10, v12, v13, s4
	v_or_b32_e32 v12, 0x400000, v1
	v_cmp_u_f32_e64 s4, v1, v1
	v_lshrrev_b32_e32 v43, 16, v10
	v_bfe_u32 v10, v1, 16, 1
	v_add3_u32 v10, v10, v1, 0x7fff
	v_cndmask_b32_e64 v1, v10, v12, s4
	v_or_b32_e32 v10, 0x400000, v0
	v_cmp_u_f32_e64 s4, v0, v0
	v_lshrrev_b32_e32 v44, 16, v1
	v_bfe_u32 v1, v0, 16, 1
	v_add3_u32 v1, v1, v0, 0x7fff
	v_cndmask_b32_e64 v0, v1, v10, s4
	v_lshrrev_b32_e32 v46, 16, v0
	v_mul_f32_e32 v0, v111, v18
	v_bfe_u32 v1, v0, 16, 1
	v_or_b32_e32 v10, 0x400000, v0
	v_cmp_u_f32_e64 s4, v0, v0
	v_add3_u32 v1, v1, v0, 0x7fff
	v_cndmask_b32_e64 v0, v1, v10, s4
	v_lshrrev_b32_e32 v45, 16, v0
	v_mul_f32_e32 v0, v111, v14
	v_bfe_u32 v1, v0, 16, 1
	v_or_b32_e32 v10, 0x400000, v0
	v_cmp_u_f32_e64 s4, v0, v0
	v_add3_u32 v1, v1, v0, 0x7fff
	v_cndmask_b32_e64 v0, v1, v10, s4
	v_lshrrev_b32_e32 v47, 16, v0
	s_and_saveexec_b32 s18, vcc_lo
	s_cbranch_execz .LBB355_2430
; %bb.2429:                             ;   in Loop: Header=BB355_1571 Depth=1
	v_cmp_lt_i32_e64 s4, v109, v123
	v_cndmask_b32_e64 v46, 0, v46, s4
	v_cmp_lt_i32_e64 s4, v74, v123
	v_cndmask_b32_e64 v44, 0, v44, s4
	v_cmp_lt_i32_e64 s4, v35, v123
	v_cndmask_b32_e64 v43, 0, v43, s4
	v_cmp_lt_i32_e64 s4, v126, v123
	v_cndmask_b32_e64 v42, 0, v42, s4
	v_cmp_lt_i32_e64 s4, v125, v123
	v_cndmask_b32_e64 v41, 0, v41, s4
	v_cmp_lt_i32_e64 s4, v124, v123
	v_cndmask_b32_e64 v40, 0, v40, s4
	v_cmp_lt_i32_e64 s4, v72, v123
	v_cndmask_b32_e64 v45, 0, v45, s4
	v_cmp_lt_i32_e64 s4, v122, v123
	v_cndmask_b32_e64 v47, 0, v47, s4
.LBB355_2430:                           ;   in Loop: Header=BB355_1571 Depth=1
	s_or_b32 exec_lo, exec_lo, s18
	flat_load_dwordx2 v[24:25], v[19:20] offset:1280
	v_mov_b32_e32 v1, 0
	v_mov_b32_e32 v0, 0
	s_waitcnt vmcnt(0) lgkmcnt(0)
	v_cmp_ne_u16_sdwa s4, v24, v11 src0_sel:BYTE_0 src1_sel:DWORD
	s_and_saveexec_b32 s18, s4
	s_cbranch_execz .LBB355_2438
; %bb.2431:                             ;   in Loop: Header=BB355_1571 Depth=1
	v_cmp_ne_u16_sdwa s4, v24, v97 src0_sel:BYTE_0 src1_sel:DWORD
	v_bfrev_b32_e32 v0, 1
	s_and_saveexec_b32 s19, s4
	s_cbranch_execz .LBB355_2437
; %bb.2432:                             ;   in Loop: Header=BB355_1571 Depth=1
	v_and_b32_e32 v10, 0x7f, v24
	v_mov_b32_e32 v0, 0x7f800001
	s_mov_b32 s20, exec_lo
	v_cmpx_ne_u32_e32 0x7f, v10
	s_cbranch_execz .LBB355_2436
; %bb.2433:                             ;   in Loop: Header=BB355_1571 Depth=1
	v_mov_b32_e32 v27, v25
	v_lshrrev_b32_e32 v0, 3, v10
	v_mov_b32_e32 v26, v24
	s_mov_b32 s21, exec_lo
	v_cmpx_gt_u32_e32 8, v10
; %bb.2434:                             ;   in Loop: Header=BB355_1571 Depth=1
	v_and_b32_e32 v0, 7, v24
	v_ffbh_u32_e32 v0, v0
	v_min_u32_e32 v0, 32, v0
	v_subrev_nc_u32_e32 v10, 28, v0
	v_sub_nc_u32_e32 v0, 29, v0
	v_lshlrev_b64 v[26:27], v10, v[24:25]
; %bb.2435:                             ;   in Loop: Header=BB355_1571 Depth=1
	s_or_b32 exec_lo, exec_lo, s21
	v_lshlrev_b32_e32 v10, 20, v26
	v_lshlrev_b32_e32 v12, 24, v24
	v_lshl_add_u32 v0, v0, 23, 0x3c000000
	v_and_b32_e32 v10, 0x700000, v10
	v_and_b32_e32 v12, 0x80000000, v12
	v_or3_b32 v0, v10, v12, v0
.LBB355_2436:                           ;   in Loop: Header=BB355_1571 Depth=1
	s_or_b32 exec_lo, exec_lo, s20
.LBB355_2437:                           ;   in Loop: Header=BB355_1571 Depth=1
	s_or_b32 exec_lo, exec_lo, s19
.LBB355_2438:                           ;   in Loop: Header=BB355_1571 Depth=1
	s_or_b32 exec_lo, exec_lo, s18
	v_cmp_ne_u16_sdwa s4, v24, v11 src0_sel:BYTE_1 src1_sel:DWORD
	s_and_saveexec_b32 s18, s4
	s_cbranch_execz .LBB355_2446
; %bb.2439:                             ;   in Loop: Header=BB355_1571 Depth=1
	v_cmp_ne_u16_sdwa s4, v24, v97 src0_sel:BYTE_1 src1_sel:DWORD
	v_bfrev_b32_e32 v1, 1
	s_and_saveexec_b32 s19, s4
	s_cbranch_execz .LBB355_2445
; %bb.2440:                             ;   in Loop: Header=BB355_1571 Depth=1
	v_mov_b32_e32 v1, 0xffff
	s_mov_b32 s20, exec_lo
	v_and_b32_sdwa v10, v1, v24 dst_sel:DWORD dst_unused:UNUSED_PAD src0_sel:DWORD src1_sel:BYTE_1
	v_mov_b32_e32 v1, 0x7f800001
	v_and_b32_e32 v12, 0x7f, v10
	v_cmpx_ne_u32_e32 0x7f, v12
	s_cbranch_execz .LBB355_2444
; %bb.2441:                             ;   in Loop: Header=BB355_1571 Depth=1
	v_and_b32_e32 v10, 7, v10
	v_mov_b32_e32 v27, v11
	v_lshrrev_b32_e32 v1, 3, v12
	s_mov_b32 s21, exec_lo
	v_mov_b32_e32 v26, v10
	v_cmpx_gt_u32_e32 8, v12
; %bb.2442:                             ;   in Loop: Header=BB355_1571 Depth=1
	v_ffbh_u32_e32 v1, v10
	v_min_u32_e32 v1, 32, v1
	v_subrev_nc_u32_e32 v12, 28, v1
	v_sub_nc_u32_e32 v1, 29, v1
	v_lshlrev_b64 v[12:13], v12, v[10:11]
	v_and_b32_e32 v26, 7, v12
; %bb.2443:                             ;   in Loop: Header=BB355_1571 Depth=1
	s_or_b32 exec_lo, exec_lo, s21
	v_lshlrev_b32_e32 v10, 16, v24
	v_lshlrev_b32_e32 v12, 20, v26
	v_lshl_add_u32 v1, v1, 23, 0x3c000000
	v_and_b32_e32 v10, 0x80000000, v10
	v_or3_b32 v1, v12, v10, v1
.LBB355_2444:                           ;   in Loop: Header=BB355_1571 Depth=1
	s_or_b32 exec_lo, exec_lo, s20
.LBB355_2445:                           ;   in Loop: Header=BB355_1571 Depth=1
	s_or_b32 exec_lo, exec_lo, s19
.LBB355_2446:                           ;   in Loop: Header=BB355_1571 Depth=1
	s_or_b32 exec_lo, exec_lo, s18
	v_and_b32_sdwa v10, v24, v99 dst_sel:DWORD dst_unused:UNUSED_PAD src0_sel:WORD_1 src1_sel:DWORD
	v_mov_b32_e32 v13, 0
	v_mov_b32_e32 v12, 0
	s_mov_b32 s18, exec_lo
	v_cmpx_ne_u16_e32 0, v10
	s_cbranch_execz .LBB355_2454
; %bb.2447:                             ;   in Loop: Header=BB355_1571 Depth=1
	v_bfrev_b32_e32 v12, 1
	s_mov_b32 s19, exec_lo
	v_cmpx_ne_u16_e32 0x80, v10
	s_cbranch_execz .LBB355_2453
; %bb.2448:                             ;   in Loop: Header=BB355_1571 Depth=1
	v_bfe_u32 v14, v24, 16, 7
	v_mov_b32_e32 v12, 0x7f800001
	s_mov_b32 s20, exec_lo
	v_cmpx_ne_u32_e32 0x7f, v14
	s_cbranch_execz .LBB355_2452
; %bb.2449:                             ;   in Loop: Header=BB355_1571 Depth=1
	v_mov_b32_e32 v10, 7
	v_lshrrev_b32_e32 v12, 3, v14
	s_mov_b32 s21, exec_lo
	v_and_b32_sdwa v10, v24, v10 dst_sel:DWORD dst_unused:UNUSED_PAD src0_sel:WORD_1 src1_sel:DWORD
	v_mov_b32_e32 v27, v11
	v_mov_b32_e32 v26, v10
	v_cmpx_gt_u32_e32 8, v14
; %bb.2450:                             ;   in Loop: Header=BB355_1571 Depth=1
	v_ffbh_u32_e32 v12, v10
	v_min_u32_e32 v12, 32, v12
	v_subrev_nc_u32_e32 v14, 28, v12
	v_sub_nc_u32_e32 v12, 29, v12
	v_lshlrev_b64 v[21:22], v14, v[10:11]
	v_and_b32_e32 v26, 7, v21
; %bb.2451:                             ;   in Loop: Header=BB355_1571 Depth=1
	s_or_b32 exec_lo, exec_lo, s21
	v_mov_b32_e32 v10, 24
	v_lshlrev_b32_e32 v14, 20, v26
	v_lshl_add_u32 v12, v12, 23, 0x3c000000
	v_lshlrev_b32_sdwa v10, v10, v24 dst_sel:DWORD dst_unused:UNUSED_PAD src0_sel:DWORD src1_sel:WORD_1
	v_and_b32_e32 v10, 0x80000000, v10
	v_or3_b32 v12, v14, v10, v12
.LBB355_2452:                           ;   in Loop: Header=BB355_1571 Depth=1
	s_or_b32 exec_lo, exec_lo, s20
.LBB355_2453:                           ;   in Loop: Header=BB355_1571 Depth=1
	s_or_b32 exec_lo, exec_lo, s19
.LBB355_2454:                           ;   in Loop: Header=BB355_1571 Depth=1
	s_or_b32 exec_lo, exec_lo, s18
	s_mov_b32 s18, exec_lo
	v_cmpx_lt_u32_e32 0xffffff, v24
	s_cbranch_execz .LBB355_2462
; %bb.2455:                             ;   in Loop: Header=BB355_1571 Depth=1
	v_cmp_ne_u32_sdwa s4, v24, v97 src0_sel:BYTE_3 src1_sel:DWORD
	v_bfrev_b32_e32 v13, 1
	s_and_saveexec_b32 s19, s4
	s_cbranch_execz .LBB355_2461
; %bb.2456:                             ;   in Loop: Header=BB355_1571 Depth=1
	v_bfe_u32 v14, v24, 24, 7
	v_mov_b32_e32 v13, 0x7f800001
	s_mov_b32 s20, exec_lo
	v_cmpx_ne_u32_e32 0x7f, v14
	s_cbranch_execz .LBB355_2460
; %bb.2457:                             ;   in Loop: Header=BB355_1571 Depth=1
	v_mov_b32_e32 v10, 7
	v_lshrrev_b32_e32 v13, 3, v14
	s_mov_b32 s21, exec_lo
	v_and_b32_sdwa v10, v24, v10 dst_sel:DWORD dst_unused:UNUSED_PAD src0_sel:BYTE_3 src1_sel:DWORD
	v_mov_b32_e32 v27, v11
	v_mov_b32_e32 v26, v10
	v_cmpx_gt_u32_e32 8, v14
; %bb.2458:                             ;   in Loop: Header=BB355_1571 Depth=1
	v_ffbh_u32_e32 v13, v10
	v_min_u32_e32 v13, 32, v13
	v_subrev_nc_u32_e32 v14, 28, v13
	v_sub_nc_u32_e32 v13, 29, v13
	v_lshlrev_b64 v[21:22], v14, v[10:11]
	v_and_b32_e32 v26, 7, v21
; %bb.2459:                             ;   in Loop: Header=BB355_1571 Depth=1
	s_or_b32 exec_lo, exec_lo, s21
	v_mov_b32_e32 v10, 24
	v_lshlrev_b32_e32 v14, 20, v26
	v_lshl_add_u32 v13, v13, 23, 0x3c000000
	v_lshlrev_b32_sdwa v10, v10, v24 dst_sel:DWORD dst_unused:UNUSED_PAD src0_sel:DWORD src1_sel:BYTE_3
	v_and_b32_e32 v10, 0x80000000, v10
	v_or3_b32 v13, v14, v10, v13
.LBB355_2460:                           ;   in Loop: Header=BB355_1571 Depth=1
	s_or_b32 exec_lo, exec_lo, s20
.LBB355_2461:                           ;   in Loop: Header=BB355_1571 Depth=1
	s_or_b32 exec_lo, exec_lo, s19
.LBB355_2462:                           ;   in Loop: Header=BB355_1571 Depth=1
	s_or_b32 exec_lo, exec_lo, s18
	v_mov_b32_e32 v10, v25
	v_cmp_ne_u16_sdwa s4, v25, v11 src0_sel:BYTE_0 src1_sel:DWORD
	v_mov_b32_e32 v22, 0
	v_mov_b32_e32 v21, 0
	s_and_saveexec_b32 s18, s4
	s_cbranch_execz .LBB355_2470
; %bb.2463:                             ;   in Loop: Header=BB355_1571 Depth=1
	v_cmp_ne_u16_sdwa s4, v25, v97 src0_sel:BYTE_0 src1_sel:DWORD
	v_bfrev_b32_e32 v21, 1
	s_and_saveexec_b32 s19, s4
	s_cbranch_execz .LBB355_2469
; %bb.2464:                             ;   in Loop: Header=BB355_1571 Depth=1
	v_and_b32_e32 v18, 0x7f, v25
	v_mov_b32_e32 v21, 0x7f800001
	s_mov_b32 s20, exec_lo
	v_cmpx_ne_u32_e32 0x7f, v18
	s_cbranch_execz .LBB355_2468
; %bb.2465:                             ;   in Loop: Header=BB355_1571 Depth=1
	v_mov_b32_e32 v27, v11
	v_lshrrev_b32_e32 v14, 3, v18
	v_mov_b32_e32 v26, v10
	s_mov_b32 s21, exec_lo
	v_cmpx_gt_u32_e32 8, v18
; %bb.2466:                             ;   in Loop: Header=BB355_1571 Depth=1
	v_and_b32_e32 v14, 7, v25
	v_ffbh_u32_e32 v14, v14
	v_min_u32_e32 v14, 32, v14
	v_subrev_nc_u32_e32 v18, 28, v14
	v_sub_nc_u32_e32 v14, 29, v14
	v_lshlrev_b64 v[26:27], v18, v[10:11]
; %bb.2467:                             ;   in Loop: Header=BB355_1571 Depth=1
	s_or_b32 exec_lo, exec_lo, s21
	v_lshlrev_b32_e32 v18, 20, v26
	v_lshlrev_b32_e32 v21, 24, v10
	v_lshl_add_u32 v14, v14, 23, 0x3c000000
	v_and_b32_e32 v18, 0x700000, v18
	v_and_b32_e32 v21, 0x80000000, v21
	v_or3_b32 v21, v18, v21, v14
.LBB355_2468:                           ;   in Loop: Header=BB355_1571 Depth=1
	s_or_b32 exec_lo, exec_lo, s20
.LBB355_2469:                           ;   in Loop: Header=BB355_1571 Depth=1
	s_or_b32 exec_lo, exec_lo, s19
.LBB355_2470:                           ;   in Loop: Header=BB355_1571 Depth=1
	s_or_b32 exec_lo, exec_lo, s18
	v_cmp_ne_u16_sdwa s4, v10, v11 src0_sel:BYTE_1 src1_sel:DWORD
	s_and_saveexec_b32 s18, s4
	s_cbranch_execz .LBB355_2478
; %bb.2471:                             ;   in Loop: Header=BB355_1571 Depth=1
	v_cmp_ne_u16_sdwa s4, v10, v97 src0_sel:BYTE_1 src1_sel:DWORD
	v_bfrev_b32_e32 v22, 1
	s_and_saveexec_b32 s19, s4
	s_cbranch_execz .LBB355_2477
; %bb.2472:                             ;   in Loop: Header=BB355_1571 Depth=1
	v_mov_b32_e32 v14, 0xffff
	v_mov_b32_e32 v22, 0x7f800001
	s_mov_b32 s20, exec_lo
	v_and_b32_sdwa v14, v14, v10 dst_sel:DWORD dst_unused:UNUSED_PAD src0_sel:DWORD src1_sel:BYTE_1
	v_and_b32_e32 v18, 0x7f, v14
	v_cmpx_ne_u32_e32 0x7f, v18
	s_cbranch_execz .LBB355_2476
; %bb.2473:                             ;   in Loop: Header=BB355_1571 Depth=1
	v_and_b32_e32 v26, 7, v14
	v_mov_b32_e32 v27, v11
	v_lshrrev_b32_e32 v14, 3, v18
	s_mov_b32 s21, exec_lo
	v_cmpx_gt_u32_e32 8, v18
; %bb.2474:                             ;   in Loop: Header=BB355_1571 Depth=1
	v_ffbh_u32_e32 v14, v26
	v_min_u32_e32 v14, 32, v14
	v_subrev_nc_u32_e32 v18, 28, v14
	v_sub_nc_u32_e32 v14, 29, v14
	v_lshlrev_b64 v[22:23], v18, v[26:27]
	v_and_b32_e32 v26, 7, v22
; %bb.2475:                             ;   in Loop: Header=BB355_1571 Depth=1
	s_or_b32 exec_lo, exec_lo, s21
	v_lshlrev_b32_e32 v10, 16, v10
	v_lshlrev_b32_e32 v18, 20, v26
	v_lshl_add_u32 v14, v14, 23, 0x3c000000
	v_and_b32_e32 v10, 0x80000000, v10
	v_or3_b32 v22, v18, v10, v14
.LBB355_2476:                           ;   in Loop: Header=BB355_1571 Depth=1
	s_or_b32 exec_lo, exec_lo, s20
.LBB355_2477:                           ;   in Loop: Header=BB355_1571 Depth=1
	s_or_b32 exec_lo, exec_lo, s19
.LBB355_2478:                           ;   in Loop: Header=BB355_1571 Depth=1
	s_or_b32 exec_lo, exec_lo, s18
	v_and_b32_sdwa v10, v25, v99 dst_sel:DWORD dst_unused:UNUSED_PAD src0_sel:WORD_1 src1_sel:DWORD
	v_mov_b32_e32 v14, 0
	v_mov_b32_e32 v18, 0
	s_mov_b32 s18, exec_lo
	v_cmpx_ne_u16_e32 0, v10
	s_cbranch_execz .LBB355_2486
; %bb.2479:                             ;   in Loop: Header=BB355_1571 Depth=1
	v_bfrev_b32_e32 v18, 1
	s_mov_b32 s19, exec_lo
	v_cmpx_ne_u16_e32 0x80, v10
	s_cbranch_execz .LBB355_2485
; %bb.2480:                             ;   in Loop: Header=BB355_1571 Depth=1
	v_bfe_u32 v23, v25, 16, 7
	v_mov_b32_e32 v18, 0x7f800001
	s_mov_b32 s20, exec_lo
	v_cmpx_ne_u32_e32 0x7f, v23
	s_cbranch_execz .LBB355_2484
; %bb.2481:                             ;   in Loop: Header=BB355_1571 Depth=1
	v_mov_b32_e32 v10, 7
	v_lshrrev_b32_e32 v18, 3, v23
	s_mov_b32 s21, exec_lo
	v_and_b32_sdwa v10, v25, v10 dst_sel:DWORD dst_unused:UNUSED_PAD src0_sel:WORD_1 src1_sel:DWORD
	v_mov_b32_e32 v27, v11
	v_mov_b32_e32 v26, v10
	v_cmpx_gt_u32_e32 8, v23
; %bb.2482:                             ;   in Loop: Header=BB355_1571 Depth=1
	v_ffbh_u32_e32 v18, v10
	v_min_u32_e32 v18, 32, v18
	v_subrev_nc_u32_e32 v23, 28, v18
	v_sub_nc_u32_e32 v18, 29, v18
	v_lshlrev_b64 v[26:27], v23, v[10:11]
	v_and_b32_e32 v26, 7, v26
; %bb.2483:                             ;   in Loop: Header=BB355_1571 Depth=1
	s_or_b32 exec_lo, exec_lo, s21
	v_mov_b32_e32 v10, 24
	v_lshlrev_b32_e32 v23, 20, v26
	v_lshl_add_u32 v18, v18, 23, 0x3c000000
	v_lshlrev_b32_sdwa v10, v10, v25 dst_sel:DWORD dst_unused:UNUSED_PAD src0_sel:DWORD src1_sel:WORD_1
	v_and_b32_e32 v10, 0x80000000, v10
	v_or3_b32 v18, v23, v10, v18
.LBB355_2484:                           ;   in Loop: Header=BB355_1571 Depth=1
	s_or_b32 exec_lo, exec_lo, s20
.LBB355_2485:                           ;   in Loop: Header=BB355_1571 Depth=1
	s_or_b32 exec_lo, exec_lo, s19
.LBB355_2486:                           ;   in Loop: Header=BB355_1571 Depth=1
	s_or_b32 exec_lo, exec_lo, s18
	s_mov_b32 s18, exec_lo
	v_cmpx_lt_u64_e64 s[6:7], v[24:25]
	s_cbranch_execz .LBB355_2494
; %bb.2487:                             ;   in Loop: Header=BB355_1571 Depth=1
	v_cmp_ne_u32_sdwa s4, v25, v97 src0_sel:BYTE_3 src1_sel:DWORD
	v_bfrev_b32_e32 v14, 1
	s_and_saveexec_b32 s19, s4
	s_cbranch_execz .LBB355_2493
; %bb.2488:                             ;   in Loop: Header=BB355_1571 Depth=1
	v_bfe_u32 v23, v25, 24, 7
	v_mov_b32_e32 v14, 0x7f800001
	s_mov_b32 s20, exec_lo
	v_cmpx_ne_u32_e32 0x7f, v23
	s_cbranch_execz .LBB355_2492
; %bb.2489:                             ;   in Loop: Header=BB355_1571 Depth=1
	v_mov_b32_e32 v10, 7
	v_lshrrev_b32_e32 v14, 3, v23
	s_mov_b32 s21, exec_lo
	v_and_b32_sdwa v10, v25, v10 dst_sel:DWORD dst_unused:UNUSED_PAD src0_sel:BYTE_3 src1_sel:DWORD
	v_mov_b32_e32 v27, v11
	v_mov_b32_e32 v26, v10
	v_cmpx_gt_u32_e32 8, v23
; %bb.2490:                             ;   in Loop: Header=BB355_1571 Depth=1
	v_ffbh_u32_e32 v14, v10
	v_min_u32_e32 v14, 32, v14
	v_subrev_nc_u32_e32 v23, 28, v14
	v_sub_nc_u32_e32 v14, 29, v14
	v_lshlrev_b64 v[23:24], v23, v[10:11]
	v_and_b32_e32 v26, 7, v23
; %bb.2491:                             ;   in Loop: Header=BB355_1571 Depth=1
	s_or_b32 exec_lo, exec_lo, s21
	v_mov_b32_e32 v10, 24
	v_lshlrev_b32_e32 v23, 20, v26
	v_lshl_add_u32 v14, v14, 23, 0x3c000000
	v_lshlrev_b32_sdwa v10, v10, v25 dst_sel:DWORD dst_unused:UNUSED_PAD src0_sel:DWORD src1_sel:BYTE_3
	v_and_b32_e32 v10, 0x80000000, v10
	v_or3_b32 v14, v23, v10, v14
.LBB355_2492:                           ;   in Loop: Header=BB355_1571 Depth=1
	s_or_b32 exec_lo, exec_lo, s20
.LBB355_2493:                           ;   in Loop: Header=BB355_1571 Depth=1
	s_or_b32 exec_lo, exec_lo, s19
.LBB355_2494:                           ;   in Loop: Header=BB355_1571 Depth=1
	s_or_b32 exec_lo, exec_lo, s18
	v_mul_f32_e32 v10, v111, v22
	v_mul_f32_e32 v1, v111, v1
	;; [unrolled: 1-line block ×3, first 2 shown]
	v_bfe_u32 v22, v10, 16, 1
	v_or_b32_e32 v23, 0x400000, v10
	v_cmp_u_f32_e64 s4, v10, v10
	v_add3_u32 v22, v22, v10, 0x7fff
	v_cndmask_b32_e64 v10, v22, v23, s4
	v_lshrrev_b32_e32 v48, 16, v10
	v_mul_f32_e32 v10, v111, v21
	v_bfe_u32 v21, v10, 16, 1
	v_or_b32_e32 v22, 0x400000, v10
	v_cmp_u_f32_e64 s4, v10, v10
	v_add3_u32 v21, v21, v10, 0x7fff
	v_cndmask_b32_e64 v10, v21, v22, s4
	v_lshrrev_b32_e32 v56, 16, v10
	v_mul_f32_e32 v10, v111, v13
	;; [unrolled: 7-line block ×3, first 2 shown]
	v_bfe_u32 v12, v10, 16, 1
	v_or_b32_e32 v13, 0x400000, v10
	v_cmp_u_f32_e64 s4, v10, v10
	v_add3_u32 v12, v12, v10, 0x7fff
	v_cndmask_b32_e64 v10, v12, v13, s4
	v_or_b32_e32 v12, 0x400000, v1
	v_cmp_u_f32_e64 s4, v1, v1
	v_lshrrev_b32_e32 v58, 16, v10
	v_bfe_u32 v10, v1, 16, 1
	v_add3_u32 v10, v10, v1, 0x7fff
	v_cndmask_b32_e64 v1, v10, v12, s4
	v_or_b32_e32 v10, 0x400000, v0
	v_cmp_u_f32_e64 s4, v0, v0
	v_lshrrev_b32_e32 v59, 16, v1
	v_bfe_u32 v1, v0, 16, 1
	v_add3_u32 v1, v1, v0, 0x7fff
	v_cndmask_b32_e64 v0, v1, v10, s4
	v_lshrrev_b32_e32 v61, 16, v0
	v_mul_f32_e32 v0, v111, v18
	v_bfe_u32 v1, v0, 16, 1
	v_or_b32_e32 v10, 0x400000, v0
	v_cmp_u_f32_e64 s4, v0, v0
	v_add3_u32 v1, v1, v0, 0x7fff
	v_cndmask_b32_e64 v0, v1, v10, s4
	v_lshrrev_b32_e32 v60, 16, v0
	v_mul_f32_e32 v0, v111, v14
	v_bfe_u32 v1, v0, 16, 1
	v_or_b32_e32 v10, 0x400000, v0
	v_cmp_u_f32_e64 s4, v0, v0
	v_add3_u32 v1, v1, v0, 0x7fff
	v_cndmask_b32_e64 v0, v1, v10, s4
	v_lshrrev_b32_e32 v62, 16, v0
	s_and_saveexec_b32 s18, vcc_lo
	s_cbranch_execz .LBB355_2496
; %bb.2495:                             ;   in Loop: Header=BB355_1571 Depth=1
	v_cmp_lt_i32_e64 s4, v109, v123
	v_cndmask_b32_e64 v61, 0, v61, s4
	v_cmp_lt_i32_e64 s4, v74, v123
	v_cndmask_b32_e64 v59, 0, v59, s4
	;; [unrolled: 2-line block ×8, first 2 shown]
.LBB355_2496:                           ;   in Loop: Header=BB355_1571 Depth=1
	s_or_b32 exec_lo, exec_lo, s18
	flat_load_dwordx2 v[24:25], v[19:20] offset:1536
	v_mov_b32_e32 v1, 0
	v_mov_b32_e32 v0, 0
	s_waitcnt vmcnt(0) lgkmcnt(0)
	v_cmp_ne_u16_sdwa s4, v24, v11 src0_sel:BYTE_0 src1_sel:DWORD
	s_and_saveexec_b32 s18, s4
	s_cbranch_execz .LBB355_2504
; %bb.2497:                             ;   in Loop: Header=BB355_1571 Depth=1
	v_cmp_ne_u16_sdwa s4, v24, v97 src0_sel:BYTE_0 src1_sel:DWORD
	v_bfrev_b32_e32 v0, 1
	s_and_saveexec_b32 s19, s4
	s_cbranch_execz .LBB355_2503
; %bb.2498:                             ;   in Loop: Header=BB355_1571 Depth=1
	v_and_b32_e32 v10, 0x7f, v24
	v_mov_b32_e32 v0, 0x7f800001
	s_mov_b32 s20, exec_lo
	v_cmpx_ne_u32_e32 0x7f, v10
	s_cbranch_execz .LBB355_2502
; %bb.2499:                             ;   in Loop: Header=BB355_1571 Depth=1
	v_mov_b32_e32 v27, v25
	v_lshrrev_b32_e32 v0, 3, v10
	v_mov_b32_e32 v26, v24
	s_mov_b32 s21, exec_lo
	v_cmpx_gt_u32_e32 8, v10
; %bb.2500:                             ;   in Loop: Header=BB355_1571 Depth=1
	v_and_b32_e32 v0, 7, v24
	v_ffbh_u32_e32 v0, v0
	v_min_u32_e32 v0, 32, v0
	v_subrev_nc_u32_e32 v10, 28, v0
	v_sub_nc_u32_e32 v0, 29, v0
	v_lshlrev_b64 v[26:27], v10, v[24:25]
; %bb.2501:                             ;   in Loop: Header=BB355_1571 Depth=1
	s_or_b32 exec_lo, exec_lo, s21
	v_lshlrev_b32_e32 v10, 20, v26
	v_lshlrev_b32_e32 v12, 24, v24
	v_lshl_add_u32 v0, v0, 23, 0x3c000000
	v_and_b32_e32 v10, 0x700000, v10
	v_and_b32_e32 v12, 0x80000000, v12
	v_or3_b32 v0, v10, v12, v0
.LBB355_2502:                           ;   in Loop: Header=BB355_1571 Depth=1
	s_or_b32 exec_lo, exec_lo, s20
.LBB355_2503:                           ;   in Loop: Header=BB355_1571 Depth=1
	s_or_b32 exec_lo, exec_lo, s19
.LBB355_2504:                           ;   in Loop: Header=BB355_1571 Depth=1
	s_or_b32 exec_lo, exec_lo, s18
	v_cmp_ne_u16_sdwa s4, v24, v11 src0_sel:BYTE_1 src1_sel:DWORD
	s_and_saveexec_b32 s18, s4
	s_cbranch_execz .LBB355_2512
; %bb.2505:                             ;   in Loop: Header=BB355_1571 Depth=1
	v_cmp_ne_u16_sdwa s4, v24, v97 src0_sel:BYTE_1 src1_sel:DWORD
	v_bfrev_b32_e32 v1, 1
	s_and_saveexec_b32 s19, s4
	s_cbranch_execz .LBB355_2511
; %bb.2506:                             ;   in Loop: Header=BB355_1571 Depth=1
	v_mov_b32_e32 v1, 0xffff
	s_mov_b32 s20, exec_lo
	v_and_b32_sdwa v10, v1, v24 dst_sel:DWORD dst_unused:UNUSED_PAD src0_sel:DWORD src1_sel:BYTE_1
	v_mov_b32_e32 v1, 0x7f800001
	v_and_b32_e32 v12, 0x7f, v10
	v_cmpx_ne_u32_e32 0x7f, v12
	s_cbranch_execz .LBB355_2510
; %bb.2507:                             ;   in Loop: Header=BB355_1571 Depth=1
	v_and_b32_e32 v10, 7, v10
	v_mov_b32_e32 v27, v11
	v_lshrrev_b32_e32 v1, 3, v12
	s_mov_b32 s21, exec_lo
	v_mov_b32_e32 v26, v10
	v_cmpx_gt_u32_e32 8, v12
; %bb.2508:                             ;   in Loop: Header=BB355_1571 Depth=1
	v_ffbh_u32_e32 v1, v10
	v_min_u32_e32 v1, 32, v1
	v_subrev_nc_u32_e32 v12, 28, v1
	v_sub_nc_u32_e32 v1, 29, v1
	v_lshlrev_b64 v[12:13], v12, v[10:11]
	v_and_b32_e32 v26, 7, v12
; %bb.2509:                             ;   in Loop: Header=BB355_1571 Depth=1
	s_or_b32 exec_lo, exec_lo, s21
	v_lshlrev_b32_e32 v10, 16, v24
	v_lshlrev_b32_e32 v12, 20, v26
	v_lshl_add_u32 v1, v1, 23, 0x3c000000
	v_and_b32_e32 v10, 0x80000000, v10
	v_or3_b32 v1, v12, v10, v1
.LBB355_2510:                           ;   in Loop: Header=BB355_1571 Depth=1
	s_or_b32 exec_lo, exec_lo, s20
.LBB355_2511:                           ;   in Loop: Header=BB355_1571 Depth=1
	s_or_b32 exec_lo, exec_lo, s19
.LBB355_2512:                           ;   in Loop: Header=BB355_1571 Depth=1
	s_or_b32 exec_lo, exec_lo, s18
	v_and_b32_sdwa v10, v24, v99 dst_sel:DWORD dst_unused:UNUSED_PAD src0_sel:WORD_1 src1_sel:DWORD
	v_mov_b32_e32 v13, 0
	v_mov_b32_e32 v12, 0
	s_mov_b32 s18, exec_lo
	v_cmpx_ne_u16_e32 0, v10
	s_cbranch_execz .LBB355_2520
; %bb.2513:                             ;   in Loop: Header=BB355_1571 Depth=1
	v_bfrev_b32_e32 v12, 1
	s_mov_b32 s19, exec_lo
	v_cmpx_ne_u16_e32 0x80, v10
	s_cbranch_execz .LBB355_2519
; %bb.2514:                             ;   in Loop: Header=BB355_1571 Depth=1
	v_bfe_u32 v14, v24, 16, 7
	v_mov_b32_e32 v12, 0x7f800001
	s_mov_b32 s20, exec_lo
	v_cmpx_ne_u32_e32 0x7f, v14
	s_cbranch_execz .LBB355_2518
; %bb.2515:                             ;   in Loop: Header=BB355_1571 Depth=1
	v_mov_b32_e32 v10, 7
	v_lshrrev_b32_e32 v12, 3, v14
	s_mov_b32 s21, exec_lo
	v_and_b32_sdwa v10, v24, v10 dst_sel:DWORD dst_unused:UNUSED_PAD src0_sel:WORD_1 src1_sel:DWORD
	v_mov_b32_e32 v27, v11
	v_mov_b32_e32 v26, v10
	v_cmpx_gt_u32_e32 8, v14
; %bb.2516:                             ;   in Loop: Header=BB355_1571 Depth=1
	v_ffbh_u32_e32 v12, v10
	v_min_u32_e32 v12, 32, v12
	v_subrev_nc_u32_e32 v14, 28, v12
	v_sub_nc_u32_e32 v12, 29, v12
	v_lshlrev_b64 v[21:22], v14, v[10:11]
	v_and_b32_e32 v26, 7, v21
; %bb.2517:                             ;   in Loop: Header=BB355_1571 Depth=1
	s_or_b32 exec_lo, exec_lo, s21
	v_mov_b32_e32 v10, 24
	v_lshlrev_b32_e32 v14, 20, v26
	v_lshl_add_u32 v12, v12, 23, 0x3c000000
	v_lshlrev_b32_sdwa v10, v10, v24 dst_sel:DWORD dst_unused:UNUSED_PAD src0_sel:DWORD src1_sel:WORD_1
	v_and_b32_e32 v10, 0x80000000, v10
	v_or3_b32 v12, v14, v10, v12
.LBB355_2518:                           ;   in Loop: Header=BB355_1571 Depth=1
	s_or_b32 exec_lo, exec_lo, s20
.LBB355_2519:                           ;   in Loop: Header=BB355_1571 Depth=1
	s_or_b32 exec_lo, exec_lo, s19
.LBB355_2520:                           ;   in Loop: Header=BB355_1571 Depth=1
	s_or_b32 exec_lo, exec_lo, s18
	s_mov_b32 s18, exec_lo
	v_cmpx_lt_u32_e32 0xffffff, v24
	s_cbranch_execz .LBB355_2528
; %bb.2521:                             ;   in Loop: Header=BB355_1571 Depth=1
	v_cmp_ne_u32_sdwa s4, v24, v97 src0_sel:BYTE_3 src1_sel:DWORD
	v_bfrev_b32_e32 v13, 1
	s_and_saveexec_b32 s19, s4
	s_cbranch_execz .LBB355_2527
; %bb.2522:                             ;   in Loop: Header=BB355_1571 Depth=1
	v_bfe_u32 v14, v24, 24, 7
	v_mov_b32_e32 v13, 0x7f800001
	s_mov_b32 s20, exec_lo
	v_cmpx_ne_u32_e32 0x7f, v14
	s_cbranch_execz .LBB355_2526
; %bb.2523:                             ;   in Loop: Header=BB355_1571 Depth=1
	v_mov_b32_e32 v10, 7
	v_lshrrev_b32_e32 v13, 3, v14
	s_mov_b32 s21, exec_lo
	v_and_b32_sdwa v10, v24, v10 dst_sel:DWORD dst_unused:UNUSED_PAD src0_sel:BYTE_3 src1_sel:DWORD
	v_mov_b32_e32 v27, v11
	v_mov_b32_e32 v26, v10
	v_cmpx_gt_u32_e32 8, v14
; %bb.2524:                             ;   in Loop: Header=BB355_1571 Depth=1
	v_ffbh_u32_e32 v13, v10
	v_min_u32_e32 v13, 32, v13
	v_subrev_nc_u32_e32 v14, 28, v13
	v_sub_nc_u32_e32 v13, 29, v13
	v_lshlrev_b64 v[21:22], v14, v[10:11]
	v_and_b32_e32 v26, 7, v21
; %bb.2525:                             ;   in Loop: Header=BB355_1571 Depth=1
	s_or_b32 exec_lo, exec_lo, s21
	v_mov_b32_e32 v10, 24
	v_lshlrev_b32_e32 v14, 20, v26
	v_lshl_add_u32 v13, v13, 23, 0x3c000000
	v_lshlrev_b32_sdwa v10, v10, v24 dst_sel:DWORD dst_unused:UNUSED_PAD src0_sel:DWORD src1_sel:BYTE_3
	v_and_b32_e32 v10, 0x80000000, v10
	v_or3_b32 v13, v14, v10, v13
.LBB355_2526:                           ;   in Loop: Header=BB355_1571 Depth=1
	s_or_b32 exec_lo, exec_lo, s20
.LBB355_2527:                           ;   in Loop: Header=BB355_1571 Depth=1
	s_or_b32 exec_lo, exec_lo, s19
.LBB355_2528:                           ;   in Loop: Header=BB355_1571 Depth=1
	s_or_b32 exec_lo, exec_lo, s18
	v_mov_b32_e32 v10, v25
	v_cmp_ne_u16_sdwa s4, v25, v11 src0_sel:BYTE_0 src1_sel:DWORD
	v_mov_b32_e32 v22, 0
	v_mov_b32_e32 v21, 0
	s_and_saveexec_b32 s18, s4
	s_cbranch_execz .LBB355_2536
; %bb.2529:                             ;   in Loop: Header=BB355_1571 Depth=1
	v_cmp_ne_u16_sdwa s4, v25, v97 src0_sel:BYTE_0 src1_sel:DWORD
	v_bfrev_b32_e32 v21, 1
	s_and_saveexec_b32 s19, s4
	s_cbranch_execz .LBB355_2535
; %bb.2530:                             ;   in Loop: Header=BB355_1571 Depth=1
	v_and_b32_e32 v18, 0x7f, v25
	v_mov_b32_e32 v21, 0x7f800001
	s_mov_b32 s20, exec_lo
	v_cmpx_ne_u32_e32 0x7f, v18
	s_cbranch_execz .LBB355_2534
; %bb.2531:                             ;   in Loop: Header=BB355_1571 Depth=1
	v_mov_b32_e32 v27, v11
	v_lshrrev_b32_e32 v14, 3, v18
	v_mov_b32_e32 v26, v10
	s_mov_b32 s21, exec_lo
	v_cmpx_gt_u32_e32 8, v18
; %bb.2532:                             ;   in Loop: Header=BB355_1571 Depth=1
	v_and_b32_e32 v14, 7, v25
	v_ffbh_u32_e32 v14, v14
	v_min_u32_e32 v14, 32, v14
	v_subrev_nc_u32_e32 v18, 28, v14
	v_sub_nc_u32_e32 v14, 29, v14
	v_lshlrev_b64 v[26:27], v18, v[10:11]
; %bb.2533:                             ;   in Loop: Header=BB355_1571 Depth=1
	s_or_b32 exec_lo, exec_lo, s21
	v_lshlrev_b32_e32 v18, 20, v26
	v_lshlrev_b32_e32 v21, 24, v10
	v_lshl_add_u32 v14, v14, 23, 0x3c000000
	v_and_b32_e32 v18, 0x700000, v18
	v_and_b32_e32 v21, 0x80000000, v21
	v_or3_b32 v21, v18, v21, v14
.LBB355_2534:                           ;   in Loop: Header=BB355_1571 Depth=1
	s_or_b32 exec_lo, exec_lo, s20
.LBB355_2535:                           ;   in Loop: Header=BB355_1571 Depth=1
	s_or_b32 exec_lo, exec_lo, s19
.LBB355_2536:                           ;   in Loop: Header=BB355_1571 Depth=1
	s_or_b32 exec_lo, exec_lo, s18
	v_cmp_ne_u16_sdwa s4, v10, v11 src0_sel:BYTE_1 src1_sel:DWORD
	s_and_saveexec_b32 s18, s4
	s_cbranch_execz .LBB355_2544
; %bb.2537:                             ;   in Loop: Header=BB355_1571 Depth=1
	v_cmp_ne_u16_sdwa s4, v10, v97 src0_sel:BYTE_1 src1_sel:DWORD
	v_bfrev_b32_e32 v22, 1
	s_and_saveexec_b32 s19, s4
	s_cbranch_execz .LBB355_2543
; %bb.2538:                             ;   in Loop: Header=BB355_1571 Depth=1
	v_mov_b32_e32 v14, 0xffff
	v_mov_b32_e32 v22, 0x7f800001
	s_mov_b32 s20, exec_lo
	v_and_b32_sdwa v14, v14, v10 dst_sel:DWORD dst_unused:UNUSED_PAD src0_sel:DWORD src1_sel:BYTE_1
	v_and_b32_e32 v18, 0x7f, v14
	v_cmpx_ne_u32_e32 0x7f, v18
	s_cbranch_execz .LBB355_2542
; %bb.2539:                             ;   in Loop: Header=BB355_1571 Depth=1
	v_and_b32_e32 v26, 7, v14
	v_mov_b32_e32 v27, v11
	v_lshrrev_b32_e32 v14, 3, v18
	s_mov_b32 s21, exec_lo
	v_cmpx_gt_u32_e32 8, v18
; %bb.2540:                             ;   in Loop: Header=BB355_1571 Depth=1
	v_ffbh_u32_e32 v14, v26
	v_min_u32_e32 v14, 32, v14
	v_subrev_nc_u32_e32 v18, 28, v14
	v_sub_nc_u32_e32 v14, 29, v14
	v_lshlrev_b64 v[22:23], v18, v[26:27]
	v_and_b32_e32 v26, 7, v22
; %bb.2541:                             ;   in Loop: Header=BB355_1571 Depth=1
	s_or_b32 exec_lo, exec_lo, s21
	v_lshlrev_b32_e32 v10, 16, v10
	v_lshlrev_b32_e32 v18, 20, v26
	v_lshl_add_u32 v14, v14, 23, 0x3c000000
	v_and_b32_e32 v10, 0x80000000, v10
	v_or3_b32 v22, v18, v10, v14
.LBB355_2542:                           ;   in Loop: Header=BB355_1571 Depth=1
	s_or_b32 exec_lo, exec_lo, s20
.LBB355_2543:                           ;   in Loop: Header=BB355_1571 Depth=1
	s_or_b32 exec_lo, exec_lo, s19
.LBB355_2544:                           ;   in Loop: Header=BB355_1571 Depth=1
	s_or_b32 exec_lo, exec_lo, s18
	v_and_b32_sdwa v10, v25, v99 dst_sel:DWORD dst_unused:UNUSED_PAD src0_sel:WORD_1 src1_sel:DWORD
	v_mov_b32_e32 v14, 0
	v_mov_b32_e32 v18, 0
	s_mov_b32 s18, exec_lo
	v_cmpx_ne_u16_e32 0, v10
	s_cbranch_execz .LBB355_2552
; %bb.2545:                             ;   in Loop: Header=BB355_1571 Depth=1
	v_bfrev_b32_e32 v18, 1
	s_mov_b32 s19, exec_lo
	v_cmpx_ne_u16_e32 0x80, v10
	s_cbranch_execz .LBB355_2551
; %bb.2546:                             ;   in Loop: Header=BB355_1571 Depth=1
	v_bfe_u32 v23, v25, 16, 7
	v_mov_b32_e32 v18, 0x7f800001
	s_mov_b32 s20, exec_lo
	v_cmpx_ne_u32_e32 0x7f, v23
	s_cbranch_execz .LBB355_2550
; %bb.2547:                             ;   in Loop: Header=BB355_1571 Depth=1
	v_mov_b32_e32 v10, 7
	v_lshrrev_b32_e32 v18, 3, v23
	s_mov_b32 s21, exec_lo
	v_and_b32_sdwa v10, v25, v10 dst_sel:DWORD dst_unused:UNUSED_PAD src0_sel:WORD_1 src1_sel:DWORD
	v_mov_b32_e32 v27, v11
	v_mov_b32_e32 v26, v10
	v_cmpx_gt_u32_e32 8, v23
; %bb.2548:                             ;   in Loop: Header=BB355_1571 Depth=1
	v_ffbh_u32_e32 v18, v10
	v_min_u32_e32 v18, 32, v18
	v_subrev_nc_u32_e32 v23, 28, v18
	v_sub_nc_u32_e32 v18, 29, v18
	v_lshlrev_b64 v[26:27], v23, v[10:11]
	v_and_b32_e32 v26, 7, v26
; %bb.2549:                             ;   in Loop: Header=BB355_1571 Depth=1
	s_or_b32 exec_lo, exec_lo, s21
	v_mov_b32_e32 v10, 24
	v_lshlrev_b32_e32 v23, 20, v26
	v_lshl_add_u32 v18, v18, 23, 0x3c000000
	v_lshlrev_b32_sdwa v10, v10, v25 dst_sel:DWORD dst_unused:UNUSED_PAD src0_sel:DWORD src1_sel:WORD_1
	v_and_b32_e32 v10, 0x80000000, v10
	v_or3_b32 v18, v23, v10, v18
.LBB355_2550:                           ;   in Loop: Header=BB355_1571 Depth=1
	s_or_b32 exec_lo, exec_lo, s20
.LBB355_2551:                           ;   in Loop: Header=BB355_1571 Depth=1
	s_or_b32 exec_lo, exec_lo, s19
.LBB355_2552:                           ;   in Loop: Header=BB355_1571 Depth=1
	s_or_b32 exec_lo, exec_lo, s18
	s_mov_b32 s18, exec_lo
	v_cmpx_lt_u64_e64 s[6:7], v[24:25]
	s_cbranch_execz .LBB355_2560
; %bb.2553:                             ;   in Loop: Header=BB355_1571 Depth=1
	v_cmp_ne_u32_sdwa s4, v25, v97 src0_sel:BYTE_3 src1_sel:DWORD
	v_bfrev_b32_e32 v14, 1
	s_and_saveexec_b32 s19, s4
	s_cbranch_execz .LBB355_2559
; %bb.2554:                             ;   in Loop: Header=BB355_1571 Depth=1
	v_bfe_u32 v23, v25, 24, 7
	v_mov_b32_e32 v14, 0x7f800001
	s_mov_b32 s20, exec_lo
	v_cmpx_ne_u32_e32 0x7f, v23
	s_cbranch_execz .LBB355_2558
; %bb.2555:                             ;   in Loop: Header=BB355_1571 Depth=1
	v_mov_b32_e32 v10, 7
	v_lshrrev_b32_e32 v14, 3, v23
	s_mov_b32 s21, exec_lo
	v_and_b32_sdwa v10, v25, v10 dst_sel:DWORD dst_unused:UNUSED_PAD src0_sel:BYTE_3 src1_sel:DWORD
	v_mov_b32_e32 v27, v11
	v_mov_b32_e32 v26, v10
	v_cmpx_gt_u32_e32 8, v23
; %bb.2556:                             ;   in Loop: Header=BB355_1571 Depth=1
	v_ffbh_u32_e32 v14, v10
	v_min_u32_e32 v14, 32, v14
	v_subrev_nc_u32_e32 v23, 28, v14
	v_sub_nc_u32_e32 v14, 29, v14
	v_lshlrev_b64 v[23:24], v23, v[10:11]
	v_and_b32_e32 v26, 7, v23
; %bb.2557:                             ;   in Loop: Header=BB355_1571 Depth=1
	s_or_b32 exec_lo, exec_lo, s21
	v_mov_b32_e32 v10, 24
	v_lshlrev_b32_e32 v23, 20, v26
	v_lshl_add_u32 v14, v14, 23, 0x3c000000
	v_lshlrev_b32_sdwa v10, v10, v25 dst_sel:DWORD dst_unused:UNUSED_PAD src0_sel:DWORD src1_sel:BYTE_3
	v_and_b32_e32 v10, 0x80000000, v10
	v_or3_b32 v14, v23, v10, v14
.LBB355_2558:                           ;   in Loop: Header=BB355_1571 Depth=1
	s_or_b32 exec_lo, exec_lo, s20
.LBB355_2559:                           ;   in Loop: Header=BB355_1571 Depth=1
	s_or_b32 exec_lo, exec_lo, s19
.LBB355_2560:                           ;   in Loop: Header=BB355_1571 Depth=1
	s_or_b32 exec_lo, exec_lo, s18
	v_mul_f32_e32 v10, v111, v22
	v_mul_f32_e32 v1, v111, v1
	;; [unrolled: 1-line block ×3, first 2 shown]
	v_bfe_u32 v22, v10, 16, 1
	v_or_b32_e32 v23, 0x400000, v10
	v_cmp_u_f32_e64 s4, v10, v10
	v_add3_u32 v22, v22, v10, 0x7fff
	v_cndmask_b32_e64 v10, v22, v23, s4
	v_lshrrev_b32_e32 v26, 16, v10
	v_mul_f32_e32 v10, v111, v21
	v_bfe_u32 v21, v10, 16, 1
	v_or_b32_e32 v22, 0x400000, v10
	v_cmp_u_f32_e64 s4, v10, v10
	v_add3_u32 v21, v21, v10, 0x7fff
	v_cndmask_b32_e64 v10, v21, v22, s4
	v_lshrrev_b32_e32 v27, 16, v10
	v_mul_f32_e32 v10, v111, v13
	;; [unrolled: 7-line block ×3, first 2 shown]
	v_bfe_u32 v12, v10, 16, 1
	v_or_b32_e32 v13, 0x400000, v10
	v_cmp_u_f32_e64 s4, v10, v10
	v_add3_u32 v12, v12, v10, 0x7fff
	v_cndmask_b32_e64 v10, v12, v13, s4
	v_or_b32_e32 v12, 0x400000, v1
	v_cmp_u_f32_e64 s4, v1, v1
	v_lshrrev_b32_e32 v21, 16, v10
	v_bfe_u32 v10, v1, 16, 1
	v_add3_u32 v10, v10, v1, 0x7fff
	v_cndmask_b32_e64 v1, v10, v12, s4
	v_or_b32_e32 v10, 0x400000, v0
	v_cmp_u_f32_e64 s4, v0, v0
	v_lshrrev_b32_e32 v28, 16, v1
	v_bfe_u32 v1, v0, 16, 1
	v_add3_u32 v1, v1, v0, 0x7fff
	v_cndmask_b32_e64 v0, v1, v10, s4
	v_lshrrev_b32_e32 v127, 16, v0
	v_mul_f32_e32 v0, v111, v18
	v_bfe_u32 v1, v0, 16, 1
	v_or_b32_e32 v10, 0x400000, v0
	v_cmp_u_f32_e64 s4, v0, v0
	v_add3_u32 v1, v1, v0, 0x7fff
	v_cndmask_b32_e64 v0, v1, v10, s4
	v_lshrrev_b32_e32 v39, 16, v0
	v_mul_f32_e32 v0, v111, v14
	v_bfe_u32 v1, v0, 16, 1
	v_or_b32_e32 v10, 0x400000, v0
	v_cmp_u_f32_e64 s4, v0, v0
	v_add3_u32 v1, v1, v0, 0x7fff
	v_cndmask_b32_e64 v0, v1, v10, s4
	v_lshrrev_b32_e32 v76, 16, v0
	s_and_saveexec_b32 s18, vcc_lo
	s_cbranch_execz .LBB355_2562
; %bb.2561:                             ;   in Loop: Header=BB355_1571 Depth=1
	v_cmp_lt_i32_e64 s4, v109, v123
	v_cndmask_b32_e64 v127, 0, v127, s4
	v_cmp_lt_i32_e64 s4, v74, v123
	v_cndmask_b32_e64 v28, 0, v28, s4
	;; [unrolled: 2-line block ×8, first 2 shown]
.LBB355_2562:                           ;   in Loop: Header=BB355_1571 Depth=1
	s_or_b32 exec_lo, exec_lo, s18
	flat_load_dwordx2 v[19:20], v[19:20] offset:1792
	v_mov_b32_e32 v1, 0
	v_mov_b32_e32 v0, 0
	s_waitcnt vmcnt(0) lgkmcnt(0)
	v_cmp_ne_u16_sdwa s4, v19, v11 src0_sel:BYTE_0 src1_sel:DWORD
	s_and_saveexec_b32 s18, s4
	s_cbranch_execz .LBB355_2570
; %bb.2563:                             ;   in Loop: Header=BB355_1571 Depth=1
	v_cmp_ne_u16_sdwa s4, v19, v97 src0_sel:BYTE_0 src1_sel:DWORD
	v_bfrev_b32_e32 v0, 1
	s_and_saveexec_b32 s19, s4
	s_cbranch_execz .LBB355_2569
; %bb.2564:                             ;   in Loop: Header=BB355_1571 Depth=1
	v_and_b32_e32 v10, 0x7f, v19
	v_mov_b32_e32 v0, 0x7f800001
	s_mov_b32 s20, exec_lo
	v_cmpx_ne_u32_e32 0x7f, v10
	s_cbranch_execz .LBB355_2568
; %bb.2565:                             ;   in Loop: Header=BB355_1571 Depth=1
	v_mov_b32_e32 v25, v20
	v_lshrrev_b32_e32 v0, 3, v10
	v_mov_b32_e32 v24, v19
	s_mov_b32 s21, exec_lo
	v_cmpx_gt_u32_e32 8, v10
; %bb.2566:                             ;   in Loop: Header=BB355_1571 Depth=1
	v_and_b32_e32 v0, 7, v19
	v_ffbh_u32_e32 v0, v0
	v_min_u32_e32 v0, 32, v0
	v_subrev_nc_u32_e32 v10, 28, v0
	v_sub_nc_u32_e32 v0, 29, v0
	v_lshlrev_b64 v[24:25], v10, v[19:20]
; %bb.2567:                             ;   in Loop: Header=BB355_1571 Depth=1
	s_or_b32 exec_lo, exec_lo, s21
	v_lshlrev_b32_e32 v10, 20, v24
	v_lshlrev_b32_e32 v12, 24, v19
	v_lshl_add_u32 v0, v0, 23, 0x3c000000
	v_and_b32_e32 v10, 0x700000, v10
	v_and_b32_e32 v12, 0x80000000, v12
	v_or3_b32 v0, v10, v12, v0
.LBB355_2568:                           ;   in Loop: Header=BB355_1571 Depth=1
	s_or_b32 exec_lo, exec_lo, s20
.LBB355_2569:                           ;   in Loop: Header=BB355_1571 Depth=1
	s_or_b32 exec_lo, exec_lo, s19
.LBB355_2570:                           ;   in Loop: Header=BB355_1571 Depth=1
	s_or_b32 exec_lo, exec_lo, s18
	v_cmp_ne_u16_sdwa s4, v19, v11 src0_sel:BYTE_1 src1_sel:DWORD
	s_and_saveexec_b32 s18, s4
	s_cbranch_execz .LBB355_2578
; %bb.2571:                             ;   in Loop: Header=BB355_1571 Depth=1
	v_cmp_ne_u16_sdwa s4, v19, v97 src0_sel:BYTE_1 src1_sel:DWORD
	v_bfrev_b32_e32 v1, 1
	s_and_saveexec_b32 s19, s4
	s_cbranch_execz .LBB355_2577
; %bb.2572:                             ;   in Loop: Header=BB355_1571 Depth=1
	v_mov_b32_e32 v1, 0xffff
	s_mov_b32 s20, exec_lo
	v_and_b32_sdwa v10, v1, v19 dst_sel:DWORD dst_unused:UNUSED_PAD src0_sel:DWORD src1_sel:BYTE_1
	v_mov_b32_e32 v1, 0x7f800001
	v_and_b32_e32 v12, 0x7f, v10
	v_cmpx_ne_u32_e32 0x7f, v12
	s_cbranch_execz .LBB355_2576
; %bb.2573:                             ;   in Loop: Header=BB355_1571 Depth=1
	v_and_b32_e32 v10, 7, v10
	v_mov_b32_e32 v25, v11
	v_lshrrev_b32_e32 v1, 3, v12
	s_mov_b32 s21, exec_lo
	v_mov_b32_e32 v24, v10
	v_cmpx_gt_u32_e32 8, v12
; %bb.2574:                             ;   in Loop: Header=BB355_1571 Depth=1
	v_ffbh_u32_e32 v1, v10
	v_min_u32_e32 v1, 32, v1
	v_subrev_nc_u32_e32 v12, 28, v1
	v_sub_nc_u32_e32 v1, 29, v1
	v_lshlrev_b64 v[12:13], v12, v[10:11]
	v_and_b32_e32 v24, 7, v12
; %bb.2575:                             ;   in Loop: Header=BB355_1571 Depth=1
	s_or_b32 exec_lo, exec_lo, s21
	v_lshlrev_b32_e32 v10, 16, v19
	v_lshlrev_b32_e32 v12, 20, v24
	v_lshl_add_u32 v1, v1, 23, 0x3c000000
	v_and_b32_e32 v10, 0x80000000, v10
	v_or3_b32 v1, v12, v10, v1
.LBB355_2576:                           ;   in Loop: Header=BB355_1571 Depth=1
	s_or_b32 exec_lo, exec_lo, s20
.LBB355_2577:                           ;   in Loop: Header=BB355_1571 Depth=1
	s_or_b32 exec_lo, exec_lo, s19
.LBB355_2578:                           ;   in Loop: Header=BB355_1571 Depth=1
	s_or_b32 exec_lo, exec_lo, s18
	v_and_b32_sdwa v10, v19, v99 dst_sel:DWORD dst_unused:UNUSED_PAD src0_sel:WORD_1 src1_sel:DWORD
	v_mov_b32_e32 v13, 0
	v_mov_b32_e32 v12, 0
	s_mov_b32 s18, exec_lo
	v_cmpx_ne_u16_e32 0, v10
	s_cbranch_execz .LBB355_2586
; %bb.2579:                             ;   in Loop: Header=BB355_1571 Depth=1
	v_bfrev_b32_e32 v12, 1
	s_mov_b32 s19, exec_lo
	v_cmpx_ne_u16_e32 0x80, v10
	s_cbranch_execz .LBB355_2585
; %bb.2580:                             ;   in Loop: Header=BB355_1571 Depth=1
	v_bfe_u32 v14, v19, 16, 7
	v_mov_b32_e32 v12, 0x7f800001
	s_mov_b32 s20, exec_lo
	v_cmpx_ne_u32_e32 0x7f, v14
	s_cbranch_execz .LBB355_2584
; %bb.2581:                             ;   in Loop: Header=BB355_1571 Depth=1
	v_mov_b32_e32 v10, 7
	v_lshrrev_b32_e32 v12, 3, v14
	s_mov_b32 s21, exec_lo
	v_and_b32_sdwa v10, v19, v10 dst_sel:DWORD dst_unused:UNUSED_PAD src0_sel:WORD_1 src1_sel:DWORD
	v_mov_b32_e32 v25, v11
	v_mov_b32_e32 v24, v10
	v_cmpx_gt_u32_e32 8, v14
; %bb.2582:                             ;   in Loop: Header=BB355_1571 Depth=1
	v_ffbh_u32_e32 v12, v10
	v_min_u32_e32 v12, 32, v12
	v_subrev_nc_u32_e32 v14, 28, v12
	v_sub_nc_u32_e32 v12, 29, v12
	v_lshlrev_b64 v[22:23], v14, v[10:11]
	v_and_b32_e32 v24, 7, v22
; %bb.2583:                             ;   in Loop: Header=BB355_1571 Depth=1
	s_or_b32 exec_lo, exec_lo, s21
	v_mov_b32_e32 v10, 24
	v_lshlrev_b32_e32 v14, 20, v24
	v_lshl_add_u32 v12, v12, 23, 0x3c000000
	v_lshlrev_b32_sdwa v10, v10, v19 dst_sel:DWORD dst_unused:UNUSED_PAD src0_sel:DWORD src1_sel:WORD_1
	v_and_b32_e32 v10, 0x80000000, v10
	v_or3_b32 v12, v14, v10, v12
.LBB355_2584:                           ;   in Loop: Header=BB355_1571 Depth=1
	s_or_b32 exec_lo, exec_lo, s20
.LBB355_2585:                           ;   in Loop: Header=BB355_1571 Depth=1
	s_or_b32 exec_lo, exec_lo, s19
.LBB355_2586:                           ;   in Loop: Header=BB355_1571 Depth=1
	s_or_b32 exec_lo, exec_lo, s18
	s_mov_b32 s18, exec_lo
	v_cmpx_lt_u32_e32 0xffffff, v19
	s_cbranch_execz .LBB355_2594
; %bb.2587:                             ;   in Loop: Header=BB355_1571 Depth=1
	v_cmp_ne_u32_sdwa s4, v19, v97 src0_sel:BYTE_3 src1_sel:DWORD
	v_bfrev_b32_e32 v13, 1
	s_and_saveexec_b32 s19, s4
	s_cbranch_execz .LBB355_2593
; %bb.2588:                             ;   in Loop: Header=BB355_1571 Depth=1
	v_bfe_u32 v14, v19, 24, 7
	v_mov_b32_e32 v13, 0x7f800001
	s_mov_b32 s20, exec_lo
	v_cmpx_ne_u32_e32 0x7f, v14
	s_cbranch_execz .LBB355_2592
; %bb.2589:                             ;   in Loop: Header=BB355_1571 Depth=1
	v_mov_b32_e32 v10, 7
	v_lshrrev_b32_e32 v13, 3, v14
	s_mov_b32 s21, exec_lo
	v_and_b32_sdwa v10, v19, v10 dst_sel:DWORD dst_unused:UNUSED_PAD src0_sel:BYTE_3 src1_sel:DWORD
	v_mov_b32_e32 v25, v11
	v_mov_b32_e32 v24, v10
	v_cmpx_gt_u32_e32 8, v14
; %bb.2590:                             ;   in Loop: Header=BB355_1571 Depth=1
	v_ffbh_u32_e32 v13, v10
	v_min_u32_e32 v13, 32, v13
	v_subrev_nc_u32_e32 v14, 28, v13
	v_sub_nc_u32_e32 v13, 29, v13
	v_lshlrev_b64 v[22:23], v14, v[10:11]
	v_and_b32_e32 v24, 7, v22
; %bb.2591:                             ;   in Loop: Header=BB355_1571 Depth=1
	s_or_b32 exec_lo, exec_lo, s21
	v_mov_b32_e32 v10, 24
	v_lshlrev_b32_e32 v14, 20, v24
	v_lshl_add_u32 v13, v13, 23, 0x3c000000
	v_lshlrev_b32_sdwa v10, v10, v19 dst_sel:DWORD dst_unused:UNUSED_PAD src0_sel:DWORD src1_sel:BYTE_3
	v_and_b32_e32 v10, 0x80000000, v10
	v_or3_b32 v13, v14, v10, v13
.LBB355_2592:                           ;   in Loop: Header=BB355_1571 Depth=1
	s_or_b32 exec_lo, exec_lo, s20
.LBB355_2593:                           ;   in Loop: Header=BB355_1571 Depth=1
	s_or_b32 exec_lo, exec_lo, s19
.LBB355_2594:                           ;   in Loop: Header=BB355_1571 Depth=1
	s_or_b32 exec_lo, exec_lo, s18
	v_mov_b32_e32 v10, v20
	v_cmp_ne_u16_sdwa s4, v20, v11 src0_sel:BYTE_0 src1_sel:DWORD
	v_mov_b32_e32 v23, 0
	v_mov_b32_e32 v22, 0
	s_and_saveexec_b32 s18, s4
	s_cbranch_execz .LBB355_2602
; %bb.2595:                             ;   in Loop: Header=BB355_1571 Depth=1
	v_cmp_ne_u16_sdwa s4, v20, v97 src0_sel:BYTE_0 src1_sel:DWORD
	v_bfrev_b32_e32 v22, 1
	s_and_saveexec_b32 s19, s4
	s_cbranch_execz .LBB355_2601
; %bb.2596:                             ;   in Loop: Header=BB355_1571 Depth=1
	v_and_b32_e32 v18, 0x7f, v20
	v_mov_b32_e32 v22, 0x7f800001
	s_mov_b32 s20, exec_lo
	v_cmpx_ne_u32_e32 0x7f, v18
	s_cbranch_execz .LBB355_2600
; %bb.2597:                             ;   in Loop: Header=BB355_1571 Depth=1
	v_mov_b32_e32 v25, v11
	v_mov_b32_e32 v24, v10
	v_lshrrev_b32_e32 v14, 3, v18
	s_mov_b32 s21, exec_lo
	v_cmpx_gt_u32_e32 8, v18
; %bb.2598:                             ;   in Loop: Header=BB355_1571 Depth=1
	v_and_b32_e32 v14, 7, v20
	v_ffbh_u32_e32 v14, v14
	v_min_u32_e32 v14, 32, v14
	v_subrev_nc_u32_e32 v18, 28, v14
	v_sub_nc_u32_e32 v14, 29, v14
	v_lshlrev_b64 v[24:25], v18, v[10:11]
; %bb.2599:                             ;   in Loop: Header=BB355_1571 Depth=1
	s_or_b32 exec_lo, exec_lo, s21
	v_lshlrev_b32_e32 v18, 20, v24
	v_lshlrev_b32_e32 v22, 24, v10
	v_lshl_add_u32 v14, v14, 23, 0x3c000000
	v_and_b32_e32 v18, 0x700000, v18
	v_and_b32_e32 v22, 0x80000000, v22
	v_or3_b32 v22, v18, v22, v14
.LBB355_2600:                           ;   in Loop: Header=BB355_1571 Depth=1
	s_or_b32 exec_lo, exec_lo, s20
.LBB355_2601:                           ;   in Loop: Header=BB355_1571 Depth=1
	s_or_b32 exec_lo, exec_lo, s19
.LBB355_2602:                           ;   in Loop: Header=BB355_1571 Depth=1
	s_or_b32 exec_lo, exec_lo, s18
	v_cmp_ne_u16_sdwa s4, v10, v11 src0_sel:BYTE_1 src1_sel:DWORD
	s_and_saveexec_b32 s18, s4
	s_cbranch_execz .LBB355_2610
; %bb.2603:                             ;   in Loop: Header=BB355_1571 Depth=1
	v_cmp_ne_u16_sdwa s4, v10, v97 src0_sel:BYTE_1 src1_sel:DWORD
	v_bfrev_b32_e32 v23, 1
	s_and_saveexec_b32 s19, s4
	s_cbranch_execz .LBB355_2609
; %bb.2604:                             ;   in Loop: Header=BB355_1571 Depth=1
	v_mov_b32_e32 v14, 0xffff
	v_mov_b32_e32 v23, 0x7f800001
	s_mov_b32 s20, exec_lo
	v_and_b32_sdwa v14, v14, v10 dst_sel:DWORD dst_unused:UNUSED_PAD src0_sel:DWORD src1_sel:BYTE_1
	v_and_b32_e32 v18, 0x7f, v14
	v_cmpx_ne_u32_e32 0x7f, v18
	s_cbranch_execz .LBB355_2608
; %bb.2605:                             ;   in Loop: Header=BB355_1571 Depth=1
	v_and_b32_e32 v24, 7, v14
	v_mov_b32_e32 v25, v11
	v_lshrrev_b32_e32 v14, 3, v18
	s_mov_b32 s21, exec_lo
	v_cmpx_gt_u32_e32 8, v18
; %bb.2606:                             ;   in Loop: Header=BB355_1571 Depth=1
	v_ffbh_u32_e32 v14, v24
	v_min_u32_e32 v14, 32, v14
	v_subrev_nc_u32_e32 v18, 28, v14
	v_sub_nc_u32_e32 v14, 29, v14
	v_lshlrev_b64 v[23:24], v18, v[24:25]
	v_and_b32_e32 v24, 7, v23
; %bb.2607:                             ;   in Loop: Header=BB355_1571 Depth=1
	s_or_b32 exec_lo, exec_lo, s21
	v_lshlrev_b32_e32 v10, 16, v10
	v_lshlrev_b32_e32 v18, 20, v24
	v_lshl_add_u32 v14, v14, 23, 0x3c000000
	v_and_b32_e32 v10, 0x80000000, v10
	v_or3_b32 v23, v18, v10, v14
.LBB355_2608:                           ;   in Loop: Header=BB355_1571 Depth=1
	s_or_b32 exec_lo, exec_lo, s20
.LBB355_2609:                           ;   in Loop: Header=BB355_1571 Depth=1
	s_or_b32 exec_lo, exec_lo, s19
.LBB355_2610:                           ;   in Loop: Header=BB355_1571 Depth=1
	s_or_b32 exec_lo, exec_lo, s18
	v_and_b32_sdwa v10, v20, v99 dst_sel:DWORD dst_unused:UNUSED_PAD src0_sel:WORD_1 src1_sel:DWORD
	v_mov_b32_e32 v14, 0
	v_mov_b32_e32 v18, 0
	s_mov_b32 s18, exec_lo
	v_cmpx_ne_u16_e32 0, v10
	s_cbranch_execz .LBB355_2618
; %bb.2611:                             ;   in Loop: Header=BB355_1571 Depth=1
	v_bfrev_b32_e32 v18, 1
	s_mov_b32 s19, exec_lo
	v_cmpx_ne_u16_e32 0x80, v10
	s_cbranch_execz .LBB355_2617
; %bb.2612:                             ;   in Loop: Header=BB355_1571 Depth=1
	v_bfe_u32 v29, v20, 16, 7
	v_mov_b32_e32 v18, 0x7f800001
	s_mov_b32 s20, exec_lo
	v_cmpx_ne_u32_e32 0x7f, v29
	s_cbranch_execz .LBB355_2616
; %bb.2613:                             ;   in Loop: Header=BB355_1571 Depth=1
	v_mov_b32_e32 v10, 7
	v_lshrrev_b32_e32 v18, 3, v29
	s_mov_b32 s21, exec_lo
	v_and_b32_sdwa v10, v20, v10 dst_sel:DWORD dst_unused:UNUSED_PAD src0_sel:WORD_1 src1_sel:DWORD
	v_mov_b32_e32 v25, v11
	v_mov_b32_e32 v24, v10
	v_cmpx_gt_u32_e32 8, v29
; %bb.2614:                             ;   in Loop: Header=BB355_1571 Depth=1
	v_ffbh_u32_e32 v18, v10
	v_min_u32_e32 v18, 32, v18
	v_subrev_nc_u32_e32 v24, 28, v18
	v_sub_nc_u32_e32 v18, 29, v18
	v_lshlrev_b64 v[24:25], v24, v[10:11]
	v_and_b32_e32 v24, 7, v24
; %bb.2615:                             ;   in Loop: Header=BB355_1571 Depth=1
	s_or_b32 exec_lo, exec_lo, s21
	v_mov_b32_e32 v10, 24
	v_lshlrev_b32_e32 v24, 20, v24
	v_lshl_add_u32 v18, v18, 23, 0x3c000000
	v_lshlrev_b32_sdwa v10, v10, v20 dst_sel:DWORD dst_unused:UNUSED_PAD src0_sel:DWORD src1_sel:WORD_1
	v_and_b32_e32 v10, 0x80000000, v10
	v_or3_b32 v18, v24, v10, v18
.LBB355_2616:                           ;   in Loop: Header=BB355_1571 Depth=1
	s_or_b32 exec_lo, exec_lo, s20
.LBB355_2617:                           ;   in Loop: Header=BB355_1571 Depth=1
	s_or_b32 exec_lo, exec_lo, s19
.LBB355_2618:                           ;   in Loop: Header=BB355_1571 Depth=1
	s_or_b32 exec_lo, exec_lo, s18
	s_mov_b32 s18, exec_lo
	v_cmpx_lt_u64_e64 s[6:7], v[19:20]
	s_cbranch_execz .LBB355_2626
; %bb.2619:                             ;   in Loop: Header=BB355_1571 Depth=1
	v_cmp_ne_u32_sdwa s4, v20, v97 src0_sel:BYTE_3 src1_sel:DWORD
	v_bfrev_b32_e32 v14, 1
	s_and_saveexec_b32 s19, s4
	s_cbranch_execz .LBB355_2625
; %bb.2620:                             ;   in Loop: Header=BB355_1571 Depth=1
	v_bfe_u32 v19, v20, 24, 7
	v_mov_b32_e32 v14, 0x7f800001
	s_mov_b32 s20, exec_lo
	v_cmpx_ne_u32_e32 0x7f, v19
	s_cbranch_execz .LBB355_2624
; %bb.2621:                             ;   in Loop: Header=BB355_1571 Depth=1
	v_mov_b32_e32 v10, 7
	v_lshrrev_b32_e32 v14, 3, v19
	s_mov_b32 s21, exec_lo
	v_and_b32_sdwa v10, v20, v10 dst_sel:DWORD dst_unused:UNUSED_PAD src0_sel:BYTE_3 src1_sel:DWORD
	v_mov_b32_e32 v25, v11
	v_mov_b32_e32 v24, v10
	v_cmpx_gt_u32_e32 8, v19
; %bb.2622:                             ;   in Loop: Header=BB355_1571 Depth=1
	v_ffbh_u32_e32 v14, v10
	v_min_u32_e32 v14, 32, v14
	v_subrev_nc_u32_e32 v19, 28, v14
	v_sub_nc_u32_e32 v14, 29, v14
	v_lshlrev_b64 v[24:25], v19, v[10:11]
	v_and_b32_e32 v24, 7, v24
; %bb.2623:                             ;   in Loop: Header=BB355_1571 Depth=1
	s_or_b32 exec_lo, exec_lo, s21
	v_mov_b32_e32 v10, 24
	v_lshlrev_b32_e32 v19, 20, v24
	v_lshl_add_u32 v14, v14, 23, 0x3c000000
	v_lshlrev_b32_sdwa v10, v10, v20 dst_sel:DWORD dst_unused:UNUSED_PAD src0_sel:DWORD src1_sel:BYTE_3
	v_and_b32_e32 v10, 0x80000000, v10
	v_or3_b32 v14, v19, v10, v14
.LBB355_2624:                           ;   in Loop: Header=BB355_1571 Depth=1
	s_or_b32 exec_lo, exec_lo, s20
.LBB355_2625:                           ;   in Loop: Header=BB355_1571 Depth=1
	s_or_b32 exec_lo, exec_lo, s19
.LBB355_2626:                           ;   in Loop: Header=BB355_1571 Depth=1
	s_or_b32 exec_lo, exec_lo, s18
	v_mul_f32_e32 v10, v111, v23
	v_mul_f32_e32 v1, v111, v1
	;; [unrolled: 1-line block ×3, first 2 shown]
	v_bfe_u32 v19, v10, 16, 1
	v_or_b32_e32 v20, 0x400000, v10
	v_cmp_u_f32_e64 s4, v10, v10
	v_add3_u32 v19, v19, v10, 0x7fff
	v_cndmask_b32_e64 v10, v19, v20, s4
	v_lshrrev_b32_e32 v34, 16, v10
	v_mul_f32_e32 v10, v111, v22
	v_bfe_u32 v19, v10, 16, 1
	v_or_b32_e32 v20, 0x400000, v10
	v_cmp_u_f32_e64 s4, v10, v10
	v_add3_u32 v19, v19, v10, 0x7fff
	v_cndmask_b32_e64 v10, v19, v20, s4
	v_lshrrev_b32_e32 v33, 16, v10
	v_mul_f32_e32 v10, v111, v13
	;; [unrolled: 7-line block ×3, first 2 shown]
	v_bfe_u32 v12, v10, 16, 1
	v_or_b32_e32 v13, 0x400000, v10
	v_cmp_u_f32_e64 s4, v10, v10
	v_add3_u32 v12, v12, v10, 0x7fff
	v_cndmask_b32_e64 v10, v12, v13, s4
	v_or_b32_e32 v12, 0x400000, v1
	v_cmp_u_f32_e64 s4, v1, v1
	v_lshrrev_b32_e32 v78, 16, v10
	v_bfe_u32 v10, v1, 16, 1
	v_add3_u32 v10, v10, v1, 0x7fff
	v_cndmask_b32_e64 v1, v10, v12, s4
	v_or_b32_e32 v10, 0x400000, v0
	v_cmp_u_f32_e64 s4, v0, v0
	v_lshrrev_b32_e32 v79, 16, v1
	v_bfe_u32 v1, v0, 16, 1
	v_add3_u32 v1, v1, v0, 0x7fff
	v_cndmask_b32_e64 v0, v1, v10, s4
	v_lshrrev_b32_e32 v89, 16, v0
	v_mul_f32_e32 v0, v111, v18
	v_bfe_u32 v1, v0, 16, 1
	v_or_b32_e32 v10, 0x400000, v0
	v_cmp_u_f32_e64 s4, v0, v0
	v_add3_u32 v1, v1, v0, 0x7fff
	v_cndmask_b32_e64 v0, v1, v10, s4
	v_lshrrev_b32_e32 v88, 16, v0
	v_mul_f32_e32 v0, v111, v14
	v_bfe_u32 v1, v0, 16, 1
	v_or_b32_e32 v10, 0x400000, v0
	v_cmp_u_f32_e64 s4, v0, v0
	v_add3_u32 v1, v1, v0, 0x7fff
	v_cndmask_b32_e64 v0, v1, v10, s4
	v_lshrrev_b32_e32 v90, 16, v0
	s_and_saveexec_b32 s18, vcc_lo
	s_cbranch_execz .LBB355_2628
; %bb.2627:                             ;   in Loop: Header=BB355_1571 Depth=1
	v_cmp_lt_i32_e64 s4, v109, v123
	v_cndmask_b32_e64 v89, 0, v89, s4
	v_cmp_lt_i32_e64 s4, v74, v123
	v_cndmask_b32_e64 v79, 0, v79, s4
	;; [unrolled: 2-line block ×8, first 2 shown]
.LBB355_2628:                           ;   in Loop: Header=BB355_1571 Depth=1
	s_or_b32 exec_lo, exec_lo, s18
	v_add_co_u32 v16, s4, 0x1000, v16
	v_add_co_ci_u32_e64 v17, null, 0, v17, s4
	v_mov_b32_e32 v1, 0
	v_mov_b32_e32 v0, 0
	flat_load_dwordx2 v[19:20], v[16:17]
	s_waitcnt vmcnt(0) lgkmcnt(0)
	v_cmp_ne_u16_sdwa s4, v19, v11 src0_sel:BYTE_0 src1_sel:DWORD
	s_and_saveexec_b32 s18, s4
	s_cbranch_execz .LBB355_2636
; %bb.2629:                             ;   in Loop: Header=BB355_1571 Depth=1
	v_cmp_ne_u16_sdwa s4, v19, v97 src0_sel:BYTE_0 src1_sel:DWORD
	v_bfrev_b32_e32 v0, 1
	s_and_saveexec_b32 s19, s4
	s_cbranch_execz .LBB355_2635
; %bb.2630:                             ;   in Loop: Header=BB355_1571 Depth=1
	v_and_b32_e32 v10, 0x7f, v19
	v_mov_b32_e32 v0, 0x7f800001
	s_mov_b32 s20, exec_lo
	v_cmpx_ne_u32_e32 0x7f, v10
	s_cbranch_execz .LBB355_2634
; %bb.2631:                             ;   in Loop: Header=BB355_1571 Depth=1
	v_mov_b32_e32 v25, v20
	v_lshrrev_b32_e32 v0, 3, v10
	v_mov_b32_e32 v24, v19
	s_mov_b32 s21, exec_lo
	v_cmpx_gt_u32_e32 8, v10
; %bb.2632:                             ;   in Loop: Header=BB355_1571 Depth=1
	v_and_b32_e32 v0, 7, v19
	v_ffbh_u32_e32 v0, v0
	v_min_u32_e32 v0, 32, v0
	v_subrev_nc_u32_e32 v10, 28, v0
	v_sub_nc_u32_e32 v0, 29, v0
	v_lshlrev_b64 v[24:25], v10, v[19:20]
; %bb.2633:                             ;   in Loop: Header=BB355_1571 Depth=1
	s_or_b32 exec_lo, exec_lo, s21
	v_lshlrev_b32_e32 v10, 20, v24
	v_lshlrev_b32_e32 v12, 24, v19
	v_lshl_add_u32 v0, v0, 23, 0x3c000000
	v_and_b32_e32 v10, 0x700000, v10
	v_and_b32_e32 v12, 0x80000000, v12
	v_or3_b32 v0, v10, v12, v0
.LBB355_2634:                           ;   in Loop: Header=BB355_1571 Depth=1
	s_or_b32 exec_lo, exec_lo, s20
.LBB355_2635:                           ;   in Loop: Header=BB355_1571 Depth=1
	s_or_b32 exec_lo, exec_lo, s19
.LBB355_2636:                           ;   in Loop: Header=BB355_1571 Depth=1
	s_or_b32 exec_lo, exec_lo, s18
	v_cmp_ne_u16_sdwa s4, v19, v11 src0_sel:BYTE_1 src1_sel:DWORD
	s_and_saveexec_b32 s18, s4
	s_cbranch_execz .LBB355_2644
; %bb.2637:                             ;   in Loop: Header=BB355_1571 Depth=1
	v_cmp_ne_u16_sdwa s4, v19, v97 src0_sel:BYTE_1 src1_sel:DWORD
	v_bfrev_b32_e32 v1, 1
	s_and_saveexec_b32 s19, s4
	s_cbranch_execz .LBB355_2643
; %bb.2638:                             ;   in Loop: Header=BB355_1571 Depth=1
	v_mov_b32_e32 v1, 0xffff
	s_mov_b32 s20, exec_lo
	v_and_b32_sdwa v10, v1, v19 dst_sel:DWORD dst_unused:UNUSED_PAD src0_sel:DWORD src1_sel:BYTE_1
	v_mov_b32_e32 v1, 0x7f800001
	v_and_b32_e32 v12, 0x7f, v10
	v_cmpx_ne_u32_e32 0x7f, v12
	s_cbranch_execz .LBB355_2642
; %bb.2639:                             ;   in Loop: Header=BB355_1571 Depth=1
	v_and_b32_e32 v10, 7, v10
	v_mov_b32_e32 v25, v11
	v_lshrrev_b32_e32 v1, 3, v12
	s_mov_b32 s21, exec_lo
	v_mov_b32_e32 v24, v10
	v_cmpx_gt_u32_e32 8, v12
; %bb.2640:                             ;   in Loop: Header=BB355_1571 Depth=1
	v_ffbh_u32_e32 v1, v10
	v_min_u32_e32 v1, 32, v1
	v_subrev_nc_u32_e32 v12, 28, v1
	v_sub_nc_u32_e32 v1, 29, v1
	v_lshlrev_b64 v[12:13], v12, v[10:11]
	v_and_b32_e32 v24, 7, v12
; %bb.2641:                             ;   in Loop: Header=BB355_1571 Depth=1
	s_or_b32 exec_lo, exec_lo, s21
	v_lshlrev_b32_e32 v10, 16, v19
	v_lshlrev_b32_e32 v12, 20, v24
	v_lshl_add_u32 v1, v1, 23, 0x3c000000
	v_and_b32_e32 v10, 0x80000000, v10
	v_or3_b32 v1, v12, v10, v1
.LBB355_2642:                           ;   in Loop: Header=BB355_1571 Depth=1
	s_or_b32 exec_lo, exec_lo, s20
.LBB355_2643:                           ;   in Loop: Header=BB355_1571 Depth=1
	s_or_b32 exec_lo, exec_lo, s19
.LBB355_2644:                           ;   in Loop: Header=BB355_1571 Depth=1
	s_or_b32 exec_lo, exec_lo, s18
	v_and_b32_sdwa v10, v19, v99 dst_sel:DWORD dst_unused:UNUSED_PAD src0_sel:WORD_1 src1_sel:DWORD
	v_mov_b32_e32 v13, 0
	v_mov_b32_e32 v12, 0
	s_mov_b32 s18, exec_lo
	v_cmpx_ne_u16_e32 0, v10
	s_cbranch_execz .LBB355_2652
; %bb.2645:                             ;   in Loop: Header=BB355_1571 Depth=1
	v_bfrev_b32_e32 v12, 1
	s_mov_b32 s19, exec_lo
	v_cmpx_ne_u16_e32 0x80, v10
	s_cbranch_execz .LBB355_2651
; %bb.2646:                             ;   in Loop: Header=BB355_1571 Depth=1
	v_bfe_u32 v14, v19, 16, 7
	v_mov_b32_e32 v12, 0x7f800001
	s_mov_b32 s20, exec_lo
	v_cmpx_ne_u32_e32 0x7f, v14
	s_cbranch_execz .LBB355_2650
; %bb.2647:                             ;   in Loop: Header=BB355_1571 Depth=1
	v_mov_b32_e32 v10, 7
	v_lshrrev_b32_e32 v12, 3, v14
	s_mov_b32 s21, exec_lo
	v_and_b32_sdwa v10, v19, v10 dst_sel:DWORD dst_unused:UNUSED_PAD src0_sel:WORD_1 src1_sel:DWORD
	v_mov_b32_e32 v25, v11
	v_mov_b32_e32 v24, v10
	v_cmpx_gt_u32_e32 8, v14
; %bb.2648:                             ;   in Loop: Header=BB355_1571 Depth=1
	v_ffbh_u32_e32 v12, v10
	v_min_u32_e32 v12, 32, v12
	v_subrev_nc_u32_e32 v14, 28, v12
	v_sub_nc_u32_e32 v12, 29, v12
	v_lshlrev_b64 v[22:23], v14, v[10:11]
	v_and_b32_e32 v24, 7, v22
; %bb.2649:                             ;   in Loop: Header=BB355_1571 Depth=1
	s_or_b32 exec_lo, exec_lo, s21
	v_mov_b32_e32 v10, 24
	v_lshlrev_b32_e32 v14, 20, v24
	v_lshl_add_u32 v12, v12, 23, 0x3c000000
	v_lshlrev_b32_sdwa v10, v10, v19 dst_sel:DWORD dst_unused:UNUSED_PAD src0_sel:DWORD src1_sel:WORD_1
	v_and_b32_e32 v10, 0x80000000, v10
	v_or3_b32 v12, v14, v10, v12
.LBB355_2650:                           ;   in Loop: Header=BB355_1571 Depth=1
	s_or_b32 exec_lo, exec_lo, s20
.LBB355_2651:                           ;   in Loop: Header=BB355_1571 Depth=1
	s_or_b32 exec_lo, exec_lo, s19
.LBB355_2652:                           ;   in Loop: Header=BB355_1571 Depth=1
	s_or_b32 exec_lo, exec_lo, s18
	s_mov_b32 s18, exec_lo
	v_cmpx_lt_u32_e32 0xffffff, v19
	s_cbranch_execz .LBB355_2660
; %bb.2653:                             ;   in Loop: Header=BB355_1571 Depth=1
	v_cmp_ne_u32_sdwa s4, v19, v97 src0_sel:BYTE_3 src1_sel:DWORD
	v_bfrev_b32_e32 v13, 1
	s_and_saveexec_b32 s19, s4
	s_cbranch_execz .LBB355_2659
; %bb.2654:                             ;   in Loop: Header=BB355_1571 Depth=1
	v_bfe_u32 v14, v19, 24, 7
	v_mov_b32_e32 v13, 0x7f800001
	s_mov_b32 s20, exec_lo
	v_cmpx_ne_u32_e32 0x7f, v14
	s_cbranch_execz .LBB355_2658
; %bb.2655:                             ;   in Loop: Header=BB355_1571 Depth=1
	v_mov_b32_e32 v10, 7
	v_lshrrev_b32_e32 v13, 3, v14
	s_mov_b32 s21, exec_lo
	v_and_b32_sdwa v10, v19, v10 dst_sel:DWORD dst_unused:UNUSED_PAD src0_sel:BYTE_3 src1_sel:DWORD
	v_mov_b32_e32 v25, v11
	v_mov_b32_e32 v24, v10
	v_cmpx_gt_u32_e32 8, v14
; %bb.2656:                             ;   in Loop: Header=BB355_1571 Depth=1
	v_ffbh_u32_e32 v13, v10
	v_min_u32_e32 v13, 32, v13
	v_subrev_nc_u32_e32 v14, 28, v13
	v_sub_nc_u32_e32 v13, 29, v13
	v_lshlrev_b64 v[22:23], v14, v[10:11]
	v_and_b32_e32 v24, 7, v22
; %bb.2657:                             ;   in Loop: Header=BB355_1571 Depth=1
	s_or_b32 exec_lo, exec_lo, s21
	v_mov_b32_e32 v10, 24
	v_lshlrev_b32_e32 v14, 20, v24
	v_lshl_add_u32 v13, v13, 23, 0x3c000000
	v_lshlrev_b32_sdwa v10, v10, v19 dst_sel:DWORD dst_unused:UNUSED_PAD src0_sel:DWORD src1_sel:BYTE_3
	v_and_b32_e32 v10, 0x80000000, v10
	v_or3_b32 v13, v14, v10, v13
.LBB355_2658:                           ;   in Loop: Header=BB355_1571 Depth=1
	s_or_b32 exec_lo, exec_lo, s20
.LBB355_2659:                           ;   in Loop: Header=BB355_1571 Depth=1
	s_or_b32 exec_lo, exec_lo, s19
.LBB355_2660:                           ;   in Loop: Header=BB355_1571 Depth=1
	s_or_b32 exec_lo, exec_lo, s18
	v_mov_b32_e32 v10, v20
	v_cmp_ne_u16_sdwa s4, v20, v11 src0_sel:BYTE_0 src1_sel:DWORD
	v_mov_b32_e32 v23, 0
	v_mov_b32_e32 v22, 0
	s_and_saveexec_b32 s18, s4
	s_cbranch_execz .LBB355_2668
; %bb.2661:                             ;   in Loop: Header=BB355_1571 Depth=1
	v_cmp_ne_u16_sdwa s4, v20, v97 src0_sel:BYTE_0 src1_sel:DWORD
	v_bfrev_b32_e32 v22, 1
	s_and_saveexec_b32 s19, s4
	s_cbranch_execz .LBB355_2667
; %bb.2662:                             ;   in Loop: Header=BB355_1571 Depth=1
	v_and_b32_e32 v18, 0x7f, v20
	v_mov_b32_e32 v22, 0x7f800001
	s_mov_b32 s20, exec_lo
	v_cmpx_ne_u32_e32 0x7f, v18
	s_cbranch_execz .LBB355_2666
; %bb.2663:                             ;   in Loop: Header=BB355_1571 Depth=1
	v_mov_b32_e32 v25, v11
	v_mov_b32_e32 v24, v10
	v_lshrrev_b32_e32 v14, 3, v18
	s_mov_b32 s21, exec_lo
	v_cmpx_gt_u32_e32 8, v18
; %bb.2664:                             ;   in Loop: Header=BB355_1571 Depth=1
	v_and_b32_e32 v14, 7, v20
	v_ffbh_u32_e32 v14, v14
	v_min_u32_e32 v14, 32, v14
	v_subrev_nc_u32_e32 v18, 28, v14
	v_sub_nc_u32_e32 v14, 29, v14
	v_lshlrev_b64 v[24:25], v18, v[10:11]
; %bb.2665:                             ;   in Loop: Header=BB355_1571 Depth=1
	s_or_b32 exec_lo, exec_lo, s21
	v_lshlrev_b32_e32 v18, 20, v24
	v_lshlrev_b32_e32 v22, 24, v10
	v_lshl_add_u32 v14, v14, 23, 0x3c000000
	v_and_b32_e32 v18, 0x700000, v18
	v_and_b32_e32 v22, 0x80000000, v22
	v_or3_b32 v22, v18, v22, v14
.LBB355_2666:                           ;   in Loop: Header=BB355_1571 Depth=1
	s_or_b32 exec_lo, exec_lo, s20
.LBB355_2667:                           ;   in Loop: Header=BB355_1571 Depth=1
	s_or_b32 exec_lo, exec_lo, s19
.LBB355_2668:                           ;   in Loop: Header=BB355_1571 Depth=1
	s_or_b32 exec_lo, exec_lo, s18
	v_cmp_ne_u16_sdwa s4, v10, v11 src0_sel:BYTE_1 src1_sel:DWORD
	s_and_saveexec_b32 s18, s4
	s_cbranch_execz .LBB355_2676
; %bb.2669:                             ;   in Loop: Header=BB355_1571 Depth=1
	v_cmp_ne_u16_sdwa s4, v10, v97 src0_sel:BYTE_1 src1_sel:DWORD
	v_bfrev_b32_e32 v23, 1
	s_and_saveexec_b32 s19, s4
	s_cbranch_execz .LBB355_2675
; %bb.2670:                             ;   in Loop: Header=BB355_1571 Depth=1
	v_mov_b32_e32 v14, 0xffff
	v_mov_b32_e32 v23, 0x7f800001
	s_mov_b32 s20, exec_lo
	v_and_b32_sdwa v14, v14, v10 dst_sel:DWORD dst_unused:UNUSED_PAD src0_sel:DWORD src1_sel:BYTE_1
	v_and_b32_e32 v18, 0x7f, v14
	v_cmpx_ne_u32_e32 0x7f, v18
	s_cbranch_execz .LBB355_2674
; %bb.2671:                             ;   in Loop: Header=BB355_1571 Depth=1
	v_and_b32_e32 v24, 7, v14
	v_mov_b32_e32 v25, v11
	v_lshrrev_b32_e32 v14, 3, v18
	s_mov_b32 s21, exec_lo
	v_cmpx_gt_u32_e32 8, v18
; %bb.2672:                             ;   in Loop: Header=BB355_1571 Depth=1
	v_ffbh_u32_e32 v14, v24
	v_min_u32_e32 v14, 32, v14
	v_subrev_nc_u32_e32 v18, 28, v14
	v_sub_nc_u32_e32 v14, 29, v14
	v_lshlrev_b64 v[23:24], v18, v[24:25]
	v_and_b32_e32 v24, 7, v23
; %bb.2673:                             ;   in Loop: Header=BB355_1571 Depth=1
	s_or_b32 exec_lo, exec_lo, s21
	v_lshlrev_b32_e32 v10, 16, v10
	v_lshlrev_b32_e32 v18, 20, v24
	v_lshl_add_u32 v14, v14, 23, 0x3c000000
	v_and_b32_e32 v10, 0x80000000, v10
	v_or3_b32 v23, v18, v10, v14
.LBB355_2674:                           ;   in Loop: Header=BB355_1571 Depth=1
	s_or_b32 exec_lo, exec_lo, s20
.LBB355_2675:                           ;   in Loop: Header=BB355_1571 Depth=1
	s_or_b32 exec_lo, exec_lo, s19
.LBB355_2676:                           ;   in Loop: Header=BB355_1571 Depth=1
	s_or_b32 exec_lo, exec_lo, s18
	v_and_b32_sdwa v10, v20, v99 dst_sel:DWORD dst_unused:UNUSED_PAD src0_sel:WORD_1 src1_sel:DWORD
	v_mov_b32_e32 v14, 0
	v_mov_b32_e32 v18, 0
	s_mov_b32 s18, exec_lo
	v_cmpx_ne_u16_e32 0, v10
	s_cbranch_execz .LBB355_2684
; %bb.2677:                             ;   in Loop: Header=BB355_1571 Depth=1
	v_bfrev_b32_e32 v18, 1
	s_mov_b32 s19, exec_lo
	v_cmpx_ne_u16_e32 0x80, v10
	s_cbranch_execz .LBB355_2683
; %bb.2678:                             ;   in Loop: Header=BB355_1571 Depth=1
	v_bfe_u32 v29, v20, 16, 7
	v_mov_b32_e32 v18, 0x7f800001
	s_mov_b32 s20, exec_lo
	v_cmpx_ne_u32_e32 0x7f, v29
	s_cbranch_execz .LBB355_2682
; %bb.2679:                             ;   in Loop: Header=BB355_1571 Depth=1
	v_mov_b32_e32 v10, 7
	v_lshrrev_b32_e32 v18, 3, v29
	s_mov_b32 s21, exec_lo
	v_and_b32_sdwa v10, v20, v10 dst_sel:DWORD dst_unused:UNUSED_PAD src0_sel:WORD_1 src1_sel:DWORD
	v_mov_b32_e32 v25, v11
	v_mov_b32_e32 v24, v10
	v_cmpx_gt_u32_e32 8, v29
; %bb.2680:                             ;   in Loop: Header=BB355_1571 Depth=1
	v_ffbh_u32_e32 v18, v10
	v_min_u32_e32 v18, 32, v18
	v_subrev_nc_u32_e32 v24, 28, v18
	v_sub_nc_u32_e32 v18, 29, v18
	v_lshlrev_b64 v[24:25], v24, v[10:11]
	v_and_b32_e32 v24, 7, v24
; %bb.2681:                             ;   in Loop: Header=BB355_1571 Depth=1
	s_or_b32 exec_lo, exec_lo, s21
	v_mov_b32_e32 v10, 24
	v_lshlrev_b32_e32 v24, 20, v24
	v_lshl_add_u32 v18, v18, 23, 0x3c000000
	v_lshlrev_b32_sdwa v10, v10, v20 dst_sel:DWORD dst_unused:UNUSED_PAD src0_sel:DWORD src1_sel:WORD_1
	v_and_b32_e32 v10, 0x80000000, v10
	v_or3_b32 v18, v24, v10, v18
.LBB355_2682:                           ;   in Loop: Header=BB355_1571 Depth=1
	s_or_b32 exec_lo, exec_lo, s20
.LBB355_2683:                           ;   in Loop: Header=BB355_1571 Depth=1
	s_or_b32 exec_lo, exec_lo, s19
.LBB355_2684:                           ;   in Loop: Header=BB355_1571 Depth=1
	s_or_b32 exec_lo, exec_lo, s18
	s_mov_b32 s18, exec_lo
	v_cmpx_lt_u64_e64 s[6:7], v[19:20]
	s_cbranch_execz .LBB355_2692
; %bb.2685:                             ;   in Loop: Header=BB355_1571 Depth=1
	v_cmp_ne_u32_sdwa s4, v20, v97 src0_sel:BYTE_3 src1_sel:DWORD
	v_bfrev_b32_e32 v14, 1
	s_and_saveexec_b32 s19, s4
	s_cbranch_execz .LBB355_2691
; %bb.2686:                             ;   in Loop: Header=BB355_1571 Depth=1
	v_bfe_u32 v19, v20, 24, 7
	v_mov_b32_e32 v14, 0x7f800001
	s_mov_b32 s20, exec_lo
	v_cmpx_ne_u32_e32 0x7f, v19
	s_cbranch_execz .LBB355_2690
; %bb.2687:                             ;   in Loop: Header=BB355_1571 Depth=1
	v_mov_b32_e32 v10, 7
	v_lshrrev_b32_e32 v14, 3, v19
	s_mov_b32 s21, exec_lo
	v_and_b32_sdwa v10, v20, v10 dst_sel:DWORD dst_unused:UNUSED_PAD src0_sel:BYTE_3 src1_sel:DWORD
	v_mov_b32_e32 v25, v11
	v_mov_b32_e32 v24, v10
	v_cmpx_gt_u32_e32 8, v19
; %bb.2688:                             ;   in Loop: Header=BB355_1571 Depth=1
	v_ffbh_u32_e32 v14, v10
	v_min_u32_e32 v14, 32, v14
	v_subrev_nc_u32_e32 v19, 28, v14
	v_sub_nc_u32_e32 v14, 29, v14
	v_lshlrev_b64 v[24:25], v19, v[10:11]
	v_and_b32_e32 v24, 7, v24
; %bb.2689:                             ;   in Loop: Header=BB355_1571 Depth=1
	s_or_b32 exec_lo, exec_lo, s21
	v_mov_b32_e32 v10, 24
	v_lshlrev_b32_e32 v19, 20, v24
	v_lshl_add_u32 v14, v14, 23, 0x3c000000
	v_lshlrev_b32_sdwa v10, v10, v20 dst_sel:DWORD dst_unused:UNUSED_PAD src0_sel:DWORD src1_sel:BYTE_3
	v_and_b32_e32 v10, 0x80000000, v10
	v_or3_b32 v14, v19, v10, v14
.LBB355_2690:                           ;   in Loop: Header=BB355_1571 Depth=1
	s_or_b32 exec_lo, exec_lo, s20
.LBB355_2691:                           ;   in Loop: Header=BB355_1571 Depth=1
	s_or_b32 exec_lo, exec_lo, s19
.LBB355_2692:                           ;   in Loop: Header=BB355_1571 Depth=1
	s_or_b32 exec_lo, exec_lo, s18
	v_mul_f32_e32 v10, v111, v23
	v_mul_f32_e32 v1, v111, v1
	;; [unrolled: 1-line block ×3, first 2 shown]
	v_bfe_u32 v19, v10, 16, 1
	v_or_b32_e32 v20, 0x400000, v10
	v_cmp_u_f32_e64 s4, v10, v10
	v_add3_u32 v19, v19, v10, 0x7fff
	v_cndmask_b32_e64 v10, v19, v20, s4
	v_lshrrev_b32_e32 v91, 16, v10
	v_mul_f32_e32 v10, v111, v22
	v_bfe_u32 v19, v10, 16, 1
	v_or_b32_e32 v20, 0x400000, v10
	v_cmp_u_f32_e64 s4, v10, v10
	v_add3_u32 v19, v19, v10, 0x7fff
	v_cndmask_b32_e64 v10, v19, v20, s4
	v_lshrrev_b32_e32 v92, 16, v10
	v_mul_f32_e32 v10, v111, v13
	;; [unrolled: 7-line block ×3, first 2 shown]
	v_bfe_u32 v12, v10, 16, 1
	v_or_b32_e32 v13, 0x400000, v10
	v_cmp_u_f32_e64 s4, v10, v10
	v_add3_u32 v12, v12, v10, 0x7fff
	v_cndmask_b32_e64 v10, v12, v13, s4
	v_or_b32_e32 v12, 0x400000, v1
	v_cmp_u_f32_e64 s4, v1, v1
	v_lshrrev_b32_e32 v94, 16, v10
	v_bfe_u32 v10, v1, 16, 1
	v_add3_u32 v10, v10, v1, 0x7fff
	v_cndmask_b32_e64 v1, v10, v12, s4
	v_or_b32_e32 v10, 0x400000, v0
	v_cmp_u_f32_e64 s4, v0, v0
	v_lshrrev_b32_e32 v95, 16, v1
	v_bfe_u32 v1, v0, 16, 1
	v_add3_u32 v1, v1, v0, 0x7fff
	v_cndmask_b32_e64 v0, v1, v10, s4
	v_lshrrev_b32_e32 v105, 16, v0
	v_mul_f32_e32 v0, v111, v18
	v_bfe_u32 v1, v0, 16, 1
	v_or_b32_e32 v10, 0x400000, v0
	v_cmp_u_f32_e64 s4, v0, v0
	v_add3_u32 v1, v1, v0, 0x7fff
	v_cndmask_b32_e64 v0, v1, v10, s4
	v_lshrrev_b32_e32 v104, 16, v0
	v_mul_f32_e32 v0, v111, v14
	v_bfe_u32 v1, v0, 16, 1
	v_or_b32_e32 v10, 0x400000, v0
	v_cmp_u_f32_e64 s4, v0, v0
	v_add3_u32 v1, v1, v0, 0x7fff
	v_cndmask_b32_e64 v0, v1, v10, s4
	v_lshrrev_b32_e32 v106, 16, v0
	s_and_saveexec_b32 s18, vcc_lo
	s_cbranch_execz .LBB355_2694
; %bb.2693:                             ;   in Loop: Header=BB355_1571 Depth=1
	v_cmp_lt_i32_e64 s4, v109, v123
	v_cndmask_b32_e64 v105, 0, v105, s4
	v_cmp_lt_i32_e64 s4, v74, v123
	v_cndmask_b32_e64 v95, 0, v95, s4
	;; [unrolled: 2-line block ×8, first 2 shown]
.LBB355_2694:                           ;   in Loop: Header=BB355_1571 Depth=1
	s_or_b32 exec_lo, exec_lo, s18
	flat_load_dwordx2 v[19:20], v[16:17] offset:256
	v_mov_b32_e32 v1, 0
	v_mov_b32_e32 v0, 0
	s_waitcnt vmcnt(0) lgkmcnt(0)
	v_cmp_ne_u16_sdwa s4, v19, v11 src0_sel:BYTE_0 src1_sel:DWORD
	s_and_saveexec_b32 s18, s4
	s_cbranch_execz .LBB355_2702
; %bb.2695:                             ;   in Loop: Header=BB355_1571 Depth=1
	v_cmp_ne_u16_sdwa s4, v19, v97 src0_sel:BYTE_0 src1_sel:DWORD
	v_bfrev_b32_e32 v0, 1
	s_and_saveexec_b32 s19, s4
	s_cbranch_execz .LBB355_2701
; %bb.2696:                             ;   in Loop: Header=BB355_1571 Depth=1
	v_and_b32_e32 v10, 0x7f, v19
	v_mov_b32_e32 v0, 0x7f800001
	s_mov_b32 s20, exec_lo
	v_cmpx_ne_u32_e32 0x7f, v10
	s_cbranch_execz .LBB355_2700
; %bb.2697:                             ;   in Loop: Header=BB355_1571 Depth=1
	v_mov_b32_e32 v25, v20
	v_lshrrev_b32_e32 v0, 3, v10
	v_mov_b32_e32 v24, v19
	s_mov_b32 s21, exec_lo
	v_cmpx_gt_u32_e32 8, v10
; %bb.2698:                             ;   in Loop: Header=BB355_1571 Depth=1
	v_and_b32_e32 v0, 7, v19
	v_ffbh_u32_e32 v0, v0
	v_min_u32_e32 v0, 32, v0
	v_subrev_nc_u32_e32 v10, 28, v0
	v_sub_nc_u32_e32 v0, 29, v0
	v_lshlrev_b64 v[24:25], v10, v[19:20]
; %bb.2699:                             ;   in Loop: Header=BB355_1571 Depth=1
	s_or_b32 exec_lo, exec_lo, s21
	v_lshlrev_b32_e32 v10, 20, v24
	v_lshlrev_b32_e32 v12, 24, v19
	v_lshl_add_u32 v0, v0, 23, 0x3c000000
	v_and_b32_e32 v10, 0x700000, v10
	v_and_b32_e32 v12, 0x80000000, v12
	v_or3_b32 v0, v10, v12, v0
.LBB355_2700:                           ;   in Loop: Header=BB355_1571 Depth=1
	s_or_b32 exec_lo, exec_lo, s20
.LBB355_2701:                           ;   in Loop: Header=BB355_1571 Depth=1
	s_or_b32 exec_lo, exec_lo, s19
.LBB355_2702:                           ;   in Loop: Header=BB355_1571 Depth=1
	s_or_b32 exec_lo, exec_lo, s18
	v_cmp_ne_u16_sdwa s4, v19, v11 src0_sel:BYTE_1 src1_sel:DWORD
	s_and_saveexec_b32 s18, s4
	s_cbranch_execz .LBB355_2710
; %bb.2703:                             ;   in Loop: Header=BB355_1571 Depth=1
	v_cmp_ne_u16_sdwa s4, v19, v97 src0_sel:BYTE_1 src1_sel:DWORD
	v_bfrev_b32_e32 v1, 1
	s_and_saveexec_b32 s19, s4
	s_cbranch_execz .LBB355_2709
; %bb.2704:                             ;   in Loop: Header=BB355_1571 Depth=1
	v_mov_b32_e32 v1, 0xffff
	s_mov_b32 s20, exec_lo
	v_and_b32_sdwa v10, v1, v19 dst_sel:DWORD dst_unused:UNUSED_PAD src0_sel:DWORD src1_sel:BYTE_1
	v_mov_b32_e32 v1, 0x7f800001
	v_and_b32_e32 v12, 0x7f, v10
	v_cmpx_ne_u32_e32 0x7f, v12
	s_cbranch_execz .LBB355_2708
; %bb.2705:                             ;   in Loop: Header=BB355_1571 Depth=1
	v_and_b32_e32 v10, 7, v10
	v_mov_b32_e32 v25, v11
	v_lshrrev_b32_e32 v1, 3, v12
	s_mov_b32 s21, exec_lo
	v_mov_b32_e32 v24, v10
	v_cmpx_gt_u32_e32 8, v12
; %bb.2706:                             ;   in Loop: Header=BB355_1571 Depth=1
	v_ffbh_u32_e32 v1, v10
	v_min_u32_e32 v1, 32, v1
	v_subrev_nc_u32_e32 v12, 28, v1
	v_sub_nc_u32_e32 v1, 29, v1
	v_lshlrev_b64 v[12:13], v12, v[10:11]
	v_and_b32_e32 v24, 7, v12
; %bb.2707:                             ;   in Loop: Header=BB355_1571 Depth=1
	s_or_b32 exec_lo, exec_lo, s21
	v_lshlrev_b32_e32 v10, 16, v19
	v_lshlrev_b32_e32 v12, 20, v24
	v_lshl_add_u32 v1, v1, 23, 0x3c000000
	v_and_b32_e32 v10, 0x80000000, v10
	v_or3_b32 v1, v12, v10, v1
.LBB355_2708:                           ;   in Loop: Header=BB355_1571 Depth=1
	s_or_b32 exec_lo, exec_lo, s20
.LBB355_2709:                           ;   in Loop: Header=BB355_1571 Depth=1
	s_or_b32 exec_lo, exec_lo, s19
.LBB355_2710:                           ;   in Loop: Header=BB355_1571 Depth=1
	s_or_b32 exec_lo, exec_lo, s18
	v_and_b32_sdwa v10, v19, v99 dst_sel:DWORD dst_unused:UNUSED_PAD src0_sel:WORD_1 src1_sel:DWORD
	v_mov_b32_e32 v13, 0
	v_mov_b32_e32 v12, 0
	s_mov_b32 s18, exec_lo
	v_cmpx_ne_u16_e32 0, v10
	s_cbranch_execz .LBB355_2718
; %bb.2711:                             ;   in Loop: Header=BB355_1571 Depth=1
	v_bfrev_b32_e32 v12, 1
	s_mov_b32 s19, exec_lo
	v_cmpx_ne_u16_e32 0x80, v10
	s_cbranch_execz .LBB355_2717
; %bb.2712:                             ;   in Loop: Header=BB355_1571 Depth=1
	v_bfe_u32 v14, v19, 16, 7
	v_mov_b32_e32 v12, 0x7f800001
	s_mov_b32 s20, exec_lo
	v_cmpx_ne_u32_e32 0x7f, v14
	s_cbranch_execz .LBB355_2716
; %bb.2713:                             ;   in Loop: Header=BB355_1571 Depth=1
	v_mov_b32_e32 v10, 7
	v_lshrrev_b32_e32 v12, 3, v14
	s_mov_b32 s21, exec_lo
	v_and_b32_sdwa v10, v19, v10 dst_sel:DWORD dst_unused:UNUSED_PAD src0_sel:WORD_1 src1_sel:DWORD
	v_mov_b32_e32 v25, v11
	v_mov_b32_e32 v24, v10
	v_cmpx_gt_u32_e32 8, v14
; %bb.2714:                             ;   in Loop: Header=BB355_1571 Depth=1
	v_ffbh_u32_e32 v12, v10
	v_min_u32_e32 v12, 32, v12
	v_subrev_nc_u32_e32 v14, 28, v12
	v_sub_nc_u32_e32 v12, 29, v12
	v_lshlrev_b64 v[22:23], v14, v[10:11]
	v_and_b32_e32 v24, 7, v22
; %bb.2715:                             ;   in Loop: Header=BB355_1571 Depth=1
	s_or_b32 exec_lo, exec_lo, s21
	v_mov_b32_e32 v10, 24
	v_lshlrev_b32_e32 v14, 20, v24
	v_lshl_add_u32 v12, v12, 23, 0x3c000000
	v_lshlrev_b32_sdwa v10, v10, v19 dst_sel:DWORD dst_unused:UNUSED_PAD src0_sel:DWORD src1_sel:WORD_1
	v_and_b32_e32 v10, 0x80000000, v10
	v_or3_b32 v12, v14, v10, v12
.LBB355_2716:                           ;   in Loop: Header=BB355_1571 Depth=1
	s_or_b32 exec_lo, exec_lo, s20
.LBB355_2717:                           ;   in Loop: Header=BB355_1571 Depth=1
	s_or_b32 exec_lo, exec_lo, s19
.LBB355_2718:                           ;   in Loop: Header=BB355_1571 Depth=1
	s_or_b32 exec_lo, exec_lo, s18
	s_mov_b32 s18, exec_lo
	v_cmpx_lt_u32_e32 0xffffff, v19
	s_cbranch_execz .LBB355_2726
; %bb.2719:                             ;   in Loop: Header=BB355_1571 Depth=1
	v_cmp_ne_u32_sdwa s4, v19, v97 src0_sel:BYTE_3 src1_sel:DWORD
	v_bfrev_b32_e32 v13, 1
	s_and_saveexec_b32 s19, s4
	s_cbranch_execz .LBB355_2725
; %bb.2720:                             ;   in Loop: Header=BB355_1571 Depth=1
	v_bfe_u32 v14, v19, 24, 7
	v_mov_b32_e32 v13, 0x7f800001
	s_mov_b32 s20, exec_lo
	v_cmpx_ne_u32_e32 0x7f, v14
	s_cbranch_execz .LBB355_2724
; %bb.2721:                             ;   in Loop: Header=BB355_1571 Depth=1
	v_mov_b32_e32 v10, 7
	v_lshrrev_b32_e32 v13, 3, v14
	s_mov_b32 s21, exec_lo
	v_and_b32_sdwa v10, v19, v10 dst_sel:DWORD dst_unused:UNUSED_PAD src0_sel:BYTE_3 src1_sel:DWORD
	v_mov_b32_e32 v25, v11
	v_mov_b32_e32 v24, v10
	v_cmpx_gt_u32_e32 8, v14
; %bb.2722:                             ;   in Loop: Header=BB355_1571 Depth=1
	v_ffbh_u32_e32 v13, v10
	v_min_u32_e32 v13, 32, v13
	v_subrev_nc_u32_e32 v14, 28, v13
	v_sub_nc_u32_e32 v13, 29, v13
	v_lshlrev_b64 v[22:23], v14, v[10:11]
	v_and_b32_e32 v24, 7, v22
; %bb.2723:                             ;   in Loop: Header=BB355_1571 Depth=1
	s_or_b32 exec_lo, exec_lo, s21
	v_mov_b32_e32 v10, 24
	v_lshlrev_b32_e32 v14, 20, v24
	v_lshl_add_u32 v13, v13, 23, 0x3c000000
	v_lshlrev_b32_sdwa v10, v10, v19 dst_sel:DWORD dst_unused:UNUSED_PAD src0_sel:DWORD src1_sel:BYTE_3
	v_and_b32_e32 v10, 0x80000000, v10
	v_or3_b32 v13, v14, v10, v13
.LBB355_2724:                           ;   in Loop: Header=BB355_1571 Depth=1
	s_or_b32 exec_lo, exec_lo, s20
.LBB355_2725:                           ;   in Loop: Header=BB355_1571 Depth=1
	s_or_b32 exec_lo, exec_lo, s19
.LBB355_2726:                           ;   in Loop: Header=BB355_1571 Depth=1
	s_or_b32 exec_lo, exec_lo, s18
	v_mov_b32_e32 v10, v20
	v_cmp_ne_u16_sdwa s4, v20, v11 src0_sel:BYTE_0 src1_sel:DWORD
	v_mov_b32_e32 v23, 0
	v_mov_b32_e32 v22, 0
	s_and_saveexec_b32 s18, s4
	s_cbranch_execz .LBB355_2734
; %bb.2727:                             ;   in Loop: Header=BB355_1571 Depth=1
	v_cmp_ne_u16_sdwa s4, v20, v97 src0_sel:BYTE_0 src1_sel:DWORD
	v_bfrev_b32_e32 v22, 1
	s_and_saveexec_b32 s19, s4
	s_cbranch_execz .LBB355_2733
; %bb.2728:                             ;   in Loop: Header=BB355_1571 Depth=1
	v_and_b32_e32 v18, 0x7f, v20
	v_mov_b32_e32 v22, 0x7f800001
	s_mov_b32 s20, exec_lo
	v_cmpx_ne_u32_e32 0x7f, v18
	s_cbranch_execz .LBB355_2732
; %bb.2729:                             ;   in Loop: Header=BB355_1571 Depth=1
	v_mov_b32_e32 v25, v11
	v_mov_b32_e32 v24, v10
	v_lshrrev_b32_e32 v14, 3, v18
	s_mov_b32 s21, exec_lo
	v_cmpx_gt_u32_e32 8, v18
; %bb.2730:                             ;   in Loop: Header=BB355_1571 Depth=1
	v_and_b32_e32 v14, 7, v20
	v_ffbh_u32_e32 v14, v14
	v_min_u32_e32 v14, 32, v14
	v_subrev_nc_u32_e32 v18, 28, v14
	v_sub_nc_u32_e32 v14, 29, v14
	v_lshlrev_b64 v[24:25], v18, v[10:11]
; %bb.2731:                             ;   in Loop: Header=BB355_1571 Depth=1
	s_or_b32 exec_lo, exec_lo, s21
	v_lshlrev_b32_e32 v18, 20, v24
	v_lshlrev_b32_e32 v22, 24, v10
	v_lshl_add_u32 v14, v14, 23, 0x3c000000
	v_and_b32_e32 v18, 0x700000, v18
	v_and_b32_e32 v22, 0x80000000, v22
	v_or3_b32 v22, v18, v22, v14
.LBB355_2732:                           ;   in Loop: Header=BB355_1571 Depth=1
	s_or_b32 exec_lo, exec_lo, s20
.LBB355_2733:                           ;   in Loop: Header=BB355_1571 Depth=1
	s_or_b32 exec_lo, exec_lo, s19
.LBB355_2734:                           ;   in Loop: Header=BB355_1571 Depth=1
	s_or_b32 exec_lo, exec_lo, s18
	v_cmp_ne_u16_sdwa s4, v10, v11 src0_sel:BYTE_1 src1_sel:DWORD
	s_and_saveexec_b32 s18, s4
	s_cbranch_execz .LBB355_2742
; %bb.2735:                             ;   in Loop: Header=BB355_1571 Depth=1
	v_cmp_ne_u16_sdwa s4, v10, v97 src0_sel:BYTE_1 src1_sel:DWORD
	v_bfrev_b32_e32 v23, 1
	s_and_saveexec_b32 s19, s4
	s_cbranch_execz .LBB355_2741
; %bb.2736:                             ;   in Loop: Header=BB355_1571 Depth=1
	v_mov_b32_e32 v14, 0xffff
	v_mov_b32_e32 v23, 0x7f800001
	s_mov_b32 s20, exec_lo
	v_and_b32_sdwa v14, v14, v10 dst_sel:DWORD dst_unused:UNUSED_PAD src0_sel:DWORD src1_sel:BYTE_1
	v_and_b32_e32 v18, 0x7f, v14
	v_cmpx_ne_u32_e32 0x7f, v18
	s_cbranch_execz .LBB355_2740
; %bb.2737:                             ;   in Loop: Header=BB355_1571 Depth=1
	v_and_b32_e32 v24, 7, v14
	v_mov_b32_e32 v25, v11
	v_lshrrev_b32_e32 v14, 3, v18
	s_mov_b32 s21, exec_lo
	v_cmpx_gt_u32_e32 8, v18
; %bb.2738:                             ;   in Loop: Header=BB355_1571 Depth=1
	v_ffbh_u32_e32 v14, v24
	v_min_u32_e32 v14, 32, v14
	v_subrev_nc_u32_e32 v18, 28, v14
	v_sub_nc_u32_e32 v14, 29, v14
	v_lshlrev_b64 v[23:24], v18, v[24:25]
	v_and_b32_e32 v24, 7, v23
; %bb.2739:                             ;   in Loop: Header=BB355_1571 Depth=1
	s_or_b32 exec_lo, exec_lo, s21
	v_lshlrev_b32_e32 v10, 16, v10
	v_lshlrev_b32_e32 v18, 20, v24
	v_lshl_add_u32 v14, v14, 23, 0x3c000000
	v_and_b32_e32 v10, 0x80000000, v10
	v_or3_b32 v23, v18, v10, v14
.LBB355_2740:                           ;   in Loop: Header=BB355_1571 Depth=1
	s_or_b32 exec_lo, exec_lo, s20
.LBB355_2741:                           ;   in Loop: Header=BB355_1571 Depth=1
	s_or_b32 exec_lo, exec_lo, s19
.LBB355_2742:                           ;   in Loop: Header=BB355_1571 Depth=1
	s_or_b32 exec_lo, exec_lo, s18
	v_and_b32_sdwa v10, v20, v99 dst_sel:DWORD dst_unused:UNUSED_PAD src0_sel:WORD_1 src1_sel:DWORD
	v_mov_b32_e32 v14, 0
	v_mov_b32_e32 v18, 0
	s_mov_b32 s18, exec_lo
	v_cmpx_ne_u16_e32 0, v10
	s_cbranch_execz .LBB355_2750
; %bb.2743:                             ;   in Loop: Header=BB355_1571 Depth=1
	v_bfrev_b32_e32 v18, 1
	s_mov_b32 s19, exec_lo
	v_cmpx_ne_u16_e32 0x80, v10
	s_cbranch_execz .LBB355_2749
; %bb.2744:                             ;   in Loop: Header=BB355_1571 Depth=1
	v_bfe_u32 v29, v20, 16, 7
	v_mov_b32_e32 v18, 0x7f800001
	s_mov_b32 s20, exec_lo
	v_cmpx_ne_u32_e32 0x7f, v29
	s_cbranch_execz .LBB355_2748
; %bb.2745:                             ;   in Loop: Header=BB355_1571 Depth=1
	v_mov_b32_e32 v10, 7
	v_lshrrev_b32_e32 v18, 3, v29
	s_mov_b32 s21, exec_lo
	v_and_b32_sdwa v10, v20, v10 dst_sel:DWORD dst_unused:UNUSED_PAD src0_sel:WORD_1 src1_sel:DWORD
	v_mov_b32_e32 v25, v11
	v_mov_b32_e32 v24, v10
	v_cmpx_gt_u32_e32 8, v29
; %bb.2746:                             ;   in Loop: Header=BB355_1571 Depth=1
	v_ffbh_u32_e32 v18, v10
	v_min_u32_e32 v18, 32, v18
	v_subrev_nc_u32_e32 v24, 28, v18
	v_sub_nc_u32_e32 v18, 29, v18
	v_lshlrev_b64 v[24:25], v24, v[10:11]
	v_and_b32_e32 v24, 7, v24
; %bb.2747:                             ;   in Loop: Header=BB355_1571 Depth=1
	s_or_b32 exec_lo, exec_lo, s21
	v_mov_b32_e32 v10, 24
	v_lshlrev_b32_e32 v24, 20, v24
	v_lshl_add_u32 v18, v18, 23, 0x3c000000
	v_lshlrev_b32_sdwa v10, v10, v20 dst_sel:DWORD dst_unused:UNUSED_PAD src0_sel:DWORD src1_sel:WORD_1
	v_and_b32_e32 v10, 0x80000000, v10
	v_or3_b32 v18, v24, v10, v18
.LBB355_2748:                           ;   in Loop: Header=BB355_1571 Depth=1
	s_or_b32 exec_lo, exec_lo, s20
.LBB355_2749:                           ;   in Loop: Header=BB355_1571 Depth=1
	s_or_b32 exec_lo, exec_lo, s19
.LBB355_2750:                           ;   in Loop: Header=BB355_1571 Depth=1
	s_or_b32 exec_lo, exec_lo, s18
	s_mov_b32 s18, exec_lo
	v_cmpx_lt_u64_e64 s[6:7], v[19:20]
	s_cbranch_execz .LBB355_2758
; %bb.2751:                             ;   in Loop: Header=BB355_1571 Depth=1
	v_cmp_ne_u32_sdwa s4, v20, v97 src0_sel:BYTE_3 src1_sel:DWORD
	v_bfrev_b32_e32 v14, 1
	s_and_saveexec_b32 s19, s4
	s_cbranch_execz .LBB355_2757
; %bb.2752:                             ;   in Loop: Header=BB355_1571 Depth=1
	v_bfe_u32 v19, v20, 24, 7
	v_mov_b32_e32 v14, 0x7f800001
	s_mov_b32 s20, exec_lo
	v_cmpx_ne_u32_e32 0x7f, v19
	s_cbranch_execz .LBB355_2756
; %bb.2753:                             ;   in Loop: Header=BB355_1571 Depth=1
	v_mov_b32_e32 v10, 7
	v_lshrrev_b32_e32 v14, 3, v19
	s_mov_b32 s21, exec_lo
	v_and_b32_sdwa v10, v20, v10 dst_sel:DWORD dst_unused:UNUSED_PAD src0_sel:BYTE_3 src1_sel:DWORD
	v_mov_b32_e32 v25, v11
	v_mov_b32_e32 v24, v10
	v_cmpx_gt_u32_e32 8, v19
; %bb.2754:                             ;   in Loop: Header=BB355_1571 Depth=1
	v_ffbh_u32_e32 v14, v10
	v_min_u32_e32 v14, 32, v14
	v_subrev_nc_u32_e32 v19, 28, v14
	v_sub_nc_u32_e32 v14, 29, v14
	v_lshlrev_b64 v[24:25], v19, v[10:11]
	v_and_b32_e32 v24, 7, v24
; %bb.2755:                             ;   in Loop: Header=BB355_1571 Depth=1
	s_or_b32 exec_lo, exec_lo, s21
	v_mov_b32_e32 v10, 24
	v_lshlrev_b32_e32 v19, 20, v24
	v_lshl_add_u32 v14, v14, 23, 0x3c000000
	v_lshlrev_b32_sdwa v10, v10, v20 dst_sel:DWORD dst_unused:UNUSED_PAD src0_sel:DWORD src1_sel:BYTE_3
	v_and_b32_e32 v10, 0x80000000, v10
	v_or3_b32 v14, v19, v10, v14
.LBB355_2756:                           ;   in Loop: Header=BB355_1571 Depth=1
	s_or_b32 exec_lo, exec_lo, s20
.LBB355_2757:                           ;   in Loop: Header=BB355_1571 Depth=1
	s_or_b32 exec_lo, exec_lo, s19
.LBB355_2758:                           ;   in Loop: Header=BB355_1571 Depth=1
	s_or_b32 exec_lo, exec_lo, s18
	v_mul_f32_e32 v10, v111, v23
	v_mul_f32_e32 v1, v111, v1
	;; [unrolled: 1-line block ×3, first 2 shown]
	v_bfe_u32 v19, v10, 16, 1
	v_or_b32_e32 v20, 0x400000, v10
	v_cmp_u_f32_e64 s4, v10, v10
	v_add3_u32 v19, v19, v10, 0x7fff
	v_cndmask_b32_e64 v10, v19, v20, s4
	v_lshrrev_b32_e32 v107, 16, v10
	v_mul_f32_e32 v10, v111, v22
	v_bfe_u32 v19, v10, 16, 1
	v_or_b32_e32 v20, 0x400000, v10
	v_cmp_u_f32_e64 s4, v10, v10
	v_add3_u32 v19, v19, v10, 0x7fff
	v_cndmask_b32_e64 v10, v19, v20, s4
	v_lshrrev_b32_e32 v108, 16, v10
	v_mul_f32_e32 v10, v111, v13
	;; [unrolled: 7-line block ×3, first 2 shown]
	v_bfe_u32 v12, v10, 16, 1
	v_or_b32_e32 v13, 0x400000, v10
	v_cmp_u_f32_e64 s4, v10, v10
	v_add3_u32 v12, v12, v10, 0x7fff
	v_cndmask_b32_e64 v10, v12, v13, s4
	v_or_b32_e32 v12, 0x400000, v1
	v_cmp_u_f32_e64 s4, v1, v1
	v_lshrrev_b32_e32 v120, 16, v10
	v_bfe_u32 v10, v1, 16, 1
	v_add3_u32 v10, v10, v1, 0x7fff
	v_cndmask_b32_e64 v1, v10, v12, s4
	v_or_b32_e32 v10, 0x400000, v0
	v_cmp_u_f32_e64 s4, v0, v0
	v_lshrrev_b32_e32 v121, 16, v1
	v_bfe_u32 v1, v0, 16, 1
	v_add3_u32 v1, v1, v0, 0x7fff
	v_cndmask_b32_e64 v0, v1, v10, s4
	v_mul_f32_e32 v1, v111, v18
	v_lshrrev_b32_e32 v0, 16, v0
	v_bfe_u32 v10, v1, 16, 1
	v_or_b32_e32 v12, 0x400000, v1
	v_cmp_u_f32_e64 s4, v1, v1
	v_add3_u32 v10, v10, v1, 0x7fff
	v_cndmask_b32_e64 v1, v10, v12, s4
	v_mul_f32_e32 v10, v111, v14
	v_lshrrev_b32_e32 v1, 16, v1
	v_bfe_u32 v12, v10, 16, 1
	v_or_b32_e32 v13, 0x400000, v10
	v_cmp_u_f32_e64 s4, v10, v10
	v_add3_u32 v12, v12, v10, 0x7fff
	v_cndmask_b32_e64 v10, v12, v13, s4
	v_lshrrev_b32_e32 v73, 16, v10
	s_and_saveexec_b32 s18, vcc_lo
	s_cbranch_execz .LBB355_2760
; %bb.2759:                             ;   in Loop: Header=BB355_1571 Depth=1
	v_cmp_lt_i32_e64 s4, v109, v123
	v_cndmask_b32_e64 v0, 0, v0, s4
	v_cmp_lt_i32_e64 s4, v74, v123
	v_cndmask_b32_e64 v121, 0, v121, s4
	;; [unrolled: 2-line block ×8, first 2 shown]
.LBB355_2760:                           ;   in Loop: Header=BB355_1571 Depth=1
	s_or_b32 exec_lo, exec_lo, s18
	flat_load_dwordx2 v[19:20], v[16:17] offset:512
	v_mov_b32_e32 v13, 0
	v_mov_b32_e32 v12, 0
	s_waitcnt vmcnt(0) lgkmcnt(0)
	v_cmp_ne_u16_sdwa s4, v19, v11 src0_sel:BYTE_0 src1_sel:DWORD
	s_and_saveexec_b32 s18, s4
	s_cbranch_execz .LBB355_2768
; %bb.2761:                             ;   in Loop: Header=BB355_1571 Depth=1
	v_cmp_ne_u16_sdwa s4, v19, v97 src0_sel:BYTE_0 src1_sel:DWORD
	v_bfrev_b32_e32 v12, 1
	s_and_saveexec_b32 s19, s4
	s_cbranch_execz .LBB355_2767
; %bb.2762:                             ;   in Loop: Header=BB355_1571 Depth=1
	v_and_b32_e32 v14, 0x7f, v19
	v_mov_b32_e32 v12, 0x7f800001
	s_mov_b32 s20, exec_lo
	v_cmpx_ne_u32_e32 0x7f, v14
	s_cbranch_execz .LBB355_2766
; %bb.2763:                             ;   in Loop: Header=BB355_1571 Depth=1
	v_mov_b32_e32 v25, v20
	v_lshrrev_b32_e32 v10, 3, v14
	v_mov_b32_e32 v24, v19
	s_mov_b32 s21, exec_lo
	v_cmpx_gt_u32_e32 8, v14
; %bb.2764:                             ;   in Loop: Header=BB355_1571 Depth=1
	v_and_b32_e32 v10, 7, v19
	v_ffbh_u32_e32 v10, v10
	v_min_u32_e32 v10, 32, v10
	v_subrev_nc_u32_e32 v12, 28, v10
	v_sub_nc_u32_e32 v10, 29, v10
	v_lshlrev_b64 v[24:25], v12, v[19:20]
; %bb.2765:                             ;   in Loop: Header=BB355_1571 Depth=1
	s_or_b32 exec_lo, exec_lo, s21
	v_lshlrev_b32_e32 v12, 20, v24
	v_lshlrev_b32_e32 v14, 24, v19
	v_lshl_add_u32 v10, v10, 23, 0x3c000000
	v_and_b32_e32 v12, 0x700000, v12
	v_and_b32_e32 v14, 0x80000000, v14
	v_or3_b32 v12, v12, v14, v10
.LBB355_2766:                           ;   in Loop: Header=BB355_1571 Depth=1
	s_or_b32 exec_lo, exec_lo, s20
.LBB355_2767:                           ;   in Loop: Header=BB355_1571 Depth=1
	s_or_b32 exec_lo, exec_lo, s19
.LBB355_2768:                           ;   in Loop: Header=BB355_1571 Depth=1
	s_or_b32 exec_lo, exec_lo, s18
	v_cmp_ne_u16_sdwa s4, v19, v11 src0_sel:BYTE_1 src1_sel:DWORD
	s_and_saveexec_b32 s18, s4
	s_cbranch_execz .LBB355_2776
; %bb.2769:                             ;   in Loop: Header=BB355_1571 Depth=1
	v_cmp_ne_u16_sdwa s4, v19, v97 src0_sel:BYTE_1 src1_sel:DWORD
	v_bfrev_b32_e32 v13, 1
	s_and_saveexec_b32 s19, s4
	s_cbranch_execz .LBB355_2775
; %bb.2770:                             ;   in Loop: Header=BB355_1571 Depth=1
	v_mov_b32_e32 v10, 0xffff
	v_mov_b32_e32 v13, 0x7f800001
	s_mov_b32 s20, exec_lo
	v_and_b32_sdwa v10, v10, v19 dst_sel:DWORD dst_unused:UNUSED_PAD src0_sel:DWORD src1_sel:BYTE_1
	v_and_b32_e32 v14, 0x7f, v10
	v_cmpx_ne_u32_e32 0x7f, v14
	s_cbranch_execz .LBB355_2774
; %bb.2771:                             ;   in Loop: Header=BB355_1571 Depth=1
	v_and_b32_e32 v10, 7, v10
	v_mov_b32_e32 v25, v11
	v_lshrrev_b32_e32 v13, 3, v14
	s_mov_b32 s21, exec_lo
	v_mov_b32_e32 v24, v10
	v_cmpx_gt_u32_e32 8, v14
; %bb.2772:                             ;   in Loop: Header=BB355_1571 Depth=1
	v_ffbh_u32_e32 v13, v10
	v_min_u32_e32 v13, 32, v13
	v_subrev_nc_u32_e32 v14, 28, v13
	v_sub_nc_u32_e32 v13, 29, v13
	v_lshlrev_b64 v[22:23], v14, v[10:11]
	v_and_b32_e32 v24, 7, v22
; %bb.2773:                             ;   in Loop: Header=BB355_1571 Depth=1
	s_or_b32 exec_lo, exec_lo, s21
	v_lshlrev_b32_e32 v10, 16, v19
	v_lshlrev_b32_e32 v14, 20, v24
	v_lshl_add_u32 v13, v13, 23, 0x3c000000
	v_and_b32_e32 v10, 0x80000000, v10
	v_or3_b32 v13, v14, v10, v13
.LBB355_2774:                           ;   in Loop: Header=BB355_1571 Depth=1
	s_or_b32 exec_lo, exec_lo, s20
.LBB355_2775:                           ;   in Loop: Header=BB355_1571 Depth=1
	s_or_b32 exec_lo, exec_lo, s19
.LBB355_2776:                           ;   in Loop: Header=BB355_1571 Depth=1
	s_or_b32 exec_lo, exec_lo, s18
	v_and_b32_sdwa v10, v19, v99 dst_sel:DWORD dst_unused:UNUSED_PAD src0_sel:WORD_1 src1_sel:DWORD
	v_mov_b32_e32 v18, 0
	v_mov_b32_e32 v14, 0
	s_mov_b32 s18, exec_lo
	v_cmpx_ne_u16_e32 0, v10
	s_cbranch_execz .LBB355_2784
; %bb.2777:                             ;   in Loop: Header=BB355_1571 Depth=1
	v_bfrev_b32_e32 v14, 1
	s_mov_b32 s19, exec_lo
	v_cmpx_ne_u16_e32 0x80, v10
	s_cbranch_execz .LBB355_2783
; %bb.2778:                             ;   in Loop: Header=BB355_1571 Depth=1
	v_bfe_u32 v22, v19, 16, 7
	v_mov_b32_e32 v14, 0x7f800001
	s_mov_b32 s20, exec_lo
	v_cmpx_ne_u32_e32 0x7f, v22
	s_cbranch_execz .LBB355_2782
; %bb.2779:                             ;   in Loop: Header=BB355_1571 Depth=1
	v_mov_b32_e32 v10, 7
	v_lshrrev_b32_e32 v14, 3, v22
	s_mov_b32 s21, exec_lo
	v_and_b32_sdwa v10, v19, v10 dst_sel:DWORD dst_unused:UNUSED_PAD src0_sel:WORD_1 src1_sel:DWORD
	v_mov_b32_e32 v25, v11
	v_mov_b32_e32 v24, v10
	v_cmpx_gt_u32_e32 8, v22
; %bb.2780:                             ;   in Loop: Header=BB355_1571 Depth=1
	v_ffbh_u32_e32 v14, v10
	v_min_u32_e32 v14, 32, v14
	v_subrev_nc_u32_e32 v22, 28, v14
	v_sub_nc_u32_e32 v14, 29, v14
	v_lshlrev_b64 v[22:23], v22, v[10:11]
	v_and_b32_e32 v24, 7, v22
; %bb.2781:                             ;   in Loop: Header=BB355_1571 Depth=1
	s_or_b32 exec_lo, exec_lo, s21
	v_mov_b32_e32 v10, 24
	v_lshlrev_b32_e32 v22, 20, v24
	v_lshl_add_u32 v14, v14, 23, 0x3c000000
	v_lshlrev_b32_sdwa v10, v10, v19 dst_sel:DWORD dst_unused:UNUSED_PAD src0_sel:DWORD src1_sel:WORD_1
	v_and_b32_e32 v10, 0x80000000, v10
	v_or3_b32 v14, v22, v10, v14
.LBB355_2782:                           ;   in Loop: Header=BB355_1571 Depth=1
	s_or_b32 exec_lo, exec_lo, s20
.LBB355_2783:                           ;   in Loop: Header=BB355_1571 Depth=1
	s_or_b32 exec_lo, exec_lo, s19
.LBB355_2784:                           ;   in Loop: Header=BB355_1571 Depth=1
	s_or_b32 exec_lo, exec_lo, s18
	s_mov_b32 s18, exec_lo
	v_cmpx_lt_u32_e32 0xffffff, v19
	s_cbranch_execz .LBB355_2792
; %bb.2785:                             ;   in Loop: Header=BB355_1571 Depth=1
	v_cmp_ne_u32_sdwa s4, v19, v97 src0_sel:BYTE_3 src1_sel:DWORD
	v_bfrev_b32_e32 v18, 1
	s_and_saveexec_b32 s19, s4
	s_cbranch_execz .LBB355_2791
; %bb.2786:                             ;   in Loop: Header=BB355_1571 Depth=1
	v_bfe_u32 v22, v19, 24, 7
	v_mov_b32_e32 v18, 0x7f800001
	s_mov_b32 s20, exec_lo
	v_cmpx_ne_u32_e32 0x7f, v22
	s_cbranch_execz .LBB355_2790
; %bb.2787:                             ;   in Loop: Header=BB355_1571 Depth=1
	v_mov_b32_e32 v10, 7
	v_lshrrev_b32_e32 v18, 3, v22
	s_mov_b32 s21, exec_lo
	v_and_b32_sdwa v10, v19, v10 dst_sel:DWORD dst_unused:UNUSED_PAD src0_sel:BYTE_3 src1_sel:DWORD
	v_mov_b32_e32 v25, v11
	v_mov_b32_e32 v24, v10
	v_cmpx_gt_u32_e32 8, v22
; %bb.2788:                             ;   in Loop: Header=BB355_1571 Depth=1
	v_ffbh_u32_e32 v18, v10
	v_min_u32_e32 v18, 32, v18
	v_subrev_nc_u32_e32 v22, 28, v18
	v_sub_nc_u32_e32 v18, 29, v18
	v_lshlrev_b64 v[22:23], v22, v[10:11]
	v_and_b32_e32 v24, 7, v22
; %bb.2789:                             ;   in Loop: Header=BB355_1571 Depth=1
	s_or_b32 exec_lo, exec_lo, s21
	v_mov_b32_e32 v10, 24
	v_lshlrev_b32_e32 v22, 20, v24
	v_lshl_add_u32 v18, v18, 23, 0x3c000000
	v_lshlrev_b32_sdwa v10, v10, v19 dst_sel:DWORD dst_unused:UNUSED_PAD src0_sel:DWORD src1_sel:BYTE_3
	v_and_b32_e32 v10, 0x80000000, v10
	v_or3_b32 v18, v22, v10, v18
.LBB355_2790:                           ;   in Loop: Header=BB355_1571 Depth=1
	s_or_b32 exec_lo, exec_lo, s20
.LBB355_2791:                           ;   in Loop: Header=BB355_1571 Depth=1
	s_or_b32 exec_lo, exec_lo, s19
.LBB355_2792:                           ;   in Loop: Header=BB355_1571 Depth=1
	s_or_b32 exec_lo, exec_lo, s18
	v_mov_b32_e32 v10, v20
	v_cmp_ne_u16_sdwa s4, v20, v11 src0_sel:BYTE_0 src1_sel:DWORD
	v_mov_b32_e32 v23, 0
	v_mov_b32_e32 v22, 0
	s_and_saveexec_b32 s18, s4
	s_cbranch_execz .LBB355_2800
; %bb.2793:                             ;   in Loop: Header=BB355_1571 Depth=1
	v_cmp_ne_u16_sdwa s4, v20, v97 src0_sel:BYTE_0 src1_sel:DWORD
	v_bfrev_b32_e32 v22, 1
	s_and_saveexec_b32 s19, s4
	s_cbranch_execz .LBB355_2799
; %bb.2794:                             ;   in Loop: Header=BB355_1571 Depth=1
	v_and_b32_e32 v29, 0x7f, v20
	v_mov_b32_e32 v22, 0x7f800001
	s_mov_b32 s20, exec_lo
	v_cmpx_ne_u32_e32 0x7f, v29
	s_cbranch_execz .LBB355_2798
; %bb.2795:                             ;   in Loop: Header=BB355_1571 Depth=1
	v_mov_b32_e32 v25, v11
	v_mov_b32_e32 v24, v10
	v_lshrrev_b32_e32 v22, 3, v29
	s_mov_b32 s21, exec_lo
	v_cmpx_gt_u32_e32 8, v29
; %bb.2796:                             ;   in Loop: Header=BB355_1571 Depth=1
	v_and_b32_e32 v22, 7, v20
	v_ffbh_u32_e32 v22, v22
	v_min_u32_e32 v22, 32, v22
	v_subrev_nc_u32_e32 v24, 28, v22
	v_sub_nc_u32_e32 v22, 29, v22
	v_lshlrev_b64 v[24:25], v24, v[10:11]
; %bb.2797:                             ;   in Loop: Header=BB355_1571 Depth=1
	s_or_b32 exec_lo, exec_lo, s21
	v_lshlrev_b32_e32 v24, 20, v24
	v_lshlrev_b32_e32 v25, 24, v10
	v_lshl_add_u32 v22, v22, 23, 0x3c000000
	v_and_b32_e32 v24, 0x700000, v24
	v_and_b32_e32 v25, 0x80000000, v25
	v_or3_b32 v22, v24, v25, v22
.LBB355_2798:                           ;   in Loop: Header=BB355_1571 Depth=1
	s_or_b32 exec_lo, exec_lo, s20
.LBB355_2799:                           ;   in Loop: Header=BB355_1571 Depth=1
	s_or_b32 exec_lo, exec_lo, s19
.LBB355_2800:                           ;   in Loop: Header=BB355_1571 Depth=1
	s_or_b32 exec_lo, exec_lo, s18
	v_cmp_ne_u16_sdwa s4, v10, v11 src0_sel:BYTE_1 src1_sel:DWORD
	s_and_saveexec_b32 s18, s4
	s_cbranch_execz .LBB355_2808
; %bb.2801:                             ;   in Loop: Header=BB355_1571 Depth=1
	v_cmp_ne_u16_sdwa s4, v10, v97 src0_sel:BYTE_1 src1_sel:DWORD
	v_bfrev_b32_e32 v23, 1
	s_and_saveexec_b32 s19, s4
	s_cbranch_execz .LBB355_2807
; %bb.2802:                             ;   in Loop: Header=BB355_1571 Depth=1
	v_mov_b32_e32 v23, 0xffff
	s_mov_b32 s20, exec_lo
	v_and_b32_sdwa v24, v23, v10 dst_sel:DWORD dst_unused:UNUSED_PAD src0_sel:DWORD src1_sel:BYTE_1
	v_mov_b32_e32 v23, 0x7f800001
	v_and_b32_e32 v29, 0x7f, v24
	v_cmpx_ne_u32_e32 0x7f, v29
	s_cbranch_execz .LBB355_2806
; %bb.2803:                             ;   in Loop: Header=BB355_1571 Depth=1
	v_and_b32_e32 v24, 7, v24
	v_mov_b32_e32 v25, v11
	v_lshrrev_b32_e32 v23, 3, v29
	s_mov_b32 s21, exec_lo
	v_cmpx_gt_u32_e32 8, v29
; %bb.2804:                             ;   in Loop: Header=BB355_1571 Depth=1
	v_ffbh_u32_e32 v23, v24
	v_min_u32_e32 v23, 32, v23
	v_subrev_nc_u32_e32 v29, 28, v23
	v_sub_nc_u32_e32 v23, 29, v23
	v_lshlrev_b64 v[24:25], v29, v[24:25]
	v_and_b32_e32 v24, 7, v24
; %bb.2805:                             ;   in Loop: Header=BB355_1571 Depth=1
	s_or_b32 exec_lo, exec_lo, s21
	v_lshlrev_b32_e32 v10, 16, v10
	v_lshlrev_b32_e32 v24, 20, v24
	v_lshl_add_u32 v23, v23, 23, 0x3c000000
	v_and_b32_e32 v10, 0x80000000, v10
	v_or3_b32 v23, v24, v10, v23
.LBB355_2806:                           ;   in Loop: Header=BB355_1571 Depth=1
	s_or_b32 exec_lo, exec_lo, s20
.LBB355_2807:                           ;   in Loop: Header=BB355_1571 Depth=1
	s_or_b32 exec_lo, exec_lo, s19
.LBB355_2808:                           ;   in Loop: Header=BB355_1571 Depth=1
	s_or_b32 exec_lo, exec_lo, s18
	v_and_b32_sdwa v10, v20, v99 dst_sel:DWORD dst_unused:UNUSED_PAD src0_sel:WORD_1 src1_sel:DWORD
	v_mov_b32_e32 v29, 0
	v_mov_b32_e32 v30, 0
	s_mov_b32 s18, exec_lo
	v_cmpx_ne_u16_e32 0, v10
	s_cbranch_execz .LBB355_2816
; %bb.2809:                             ;   in Loop: Header=BB355_1571 Depth=1
	v_bfrev_b32_e32 v30, 1
	s_mov_b32 s19, exec_lo
	v_cmpx_ne_u16_e32 0x80, v10
	s_cbranch_execz .LBB355_2815
; %bb.2810:                             ;   in Loop: Header=BB355_1571 Depth=1
	v_bfe_u32 v31, v20, 16, 7
	v_mov_b32_e32 v30, 0x7f800001
	s_mov_b32 s20, exec_lo
	v_cmpx_ne_u32_e32 0x7f, v31
	s_cbranch_execz .LBB355_2814
; %bb.2811:                             ;   in Loop: Header=BB355_1571 Depth=1
	v_mov_b32_e32 v10, 7
	s_mov_b32 s21, exec_lo
	v_and_b32_sdwa v10, v20, v10 dst_sel:DWORD dst_unused:UNUSED_PAD src0_sel:WORD_1 src1_sel:DWORD
	v_mov_b32_e32 v25, v11
	v_lshrrev_b32_e32 v25, 3, v31
	v_mov_b32_e32 v24, v10
	v_cmpx_gt_u32_e32 8, v31
; %bb.2812:                             ;   in Loop: Header=BB355_1571 Depth=1
	v_ffbh_u32_e32 v24, v10
	v_min_u32_e32 v30, 32, v24
	v_subrev_nc_u32_e32 v24, 28, v30
	v_lshlrev_b64 v[24:25], v24, v[10:11]
	v_sub_nc_u32_e32 v25, 29, v30
	v_and_b32_e32 v24, 7, v24
; %bb.2813:                             ;   in Loop: Header=BB355_1571 Depth=1
	s_or_b32 exec_lo, exec_lo, s21
	v_mov_b32_e32 v10, 24
	v_lshlrev_b32_e32 v24, 20, v24
	v_lshl_add_u32 v25, v25, 23, 0x3c000000
	v_lshlrev_b32_sdwa v10, v10, v20 dst_sel:DWORD dst_unused:UNUSED_PAD src0_sel:DWORD src1_sel:WORD_1
	v_and_b32_e32 v10, 0x80000000, v10
	v_or3_b32 v30, v24, v10, v25
.LBB355_2814:                           ;   in Loop: Header=BB355_1571 Depth=1
	s_or_b32 exec_lo, exec_lo, s20
.LBB355_2815:                           ;   in Loop: Header=BB355_1571 Depth=1
	s_or_b32 exec_lo, exec_lo, s19
.LBB355_2816:                           ;   in Loop: Header=BB355_1571 Depth=1
	s_or_b32 exec_lo, exec_lo, s18
	s_mov_b32 s18, exec_lo
	v_cmpx_lt_u64_e64 s[6:7], v[19:20]
	s_cbranch_execz .LBB355_2824
; %bb.2817:                             ;   in Loop: Header=BB355_1571 Depth=1
	v_cmp_ne_u32_sdwa s4, v20, v97 src0_sel:BYTE_3 src1_sel:DWORD
	v_bfrev_b32_e32 v29, 1
	s_and_saveexec_b32 s19, s4
	s_cbranch_execz .LBB355_2823
; %bb.2818:                             ;   in Loop: Header=BB355_1571 Depth=1
	v_bfe_u32 v31, v20, 24, 7
	v_mov_b32_e32 v29, 0x7f800001
	s_mov_b32 s20, exec_lo
	v_cmpx_ne_u32_e32 0x7f, v31
	s_cbranch_execz .LBB355_2822
; %bb.2819:                             ;   in Loop: Header=BB355_1571 Depth=1
	v_mov_b32_e32 v10, 7
	v_lshrrev_b32_e32 v19, 3, v31
	s_mov_b32 s21, exec_lo
	v_and_b32_sdwa v10, v20, v10 dst_sel:DWORD dst_unused:UNUSED_PAD src0_sel:BYTE_3 src1_sel:DWORD
	v_mov_b32_e32 v25, v11
	v_mov_b32_e32 v24, v10
	v_cmpx_gt_u32_e32 8, v31
; %bb.2820:                             ;   in Loop: Header=BB355_1571 Depth=1
	v_ffbh_u32_e32 v19, v10
	v_min_u32_e32 v19, 32, v19
	v_subrev_nc_u32_e32 v24, 28, v19
	v_sub_nc_u32_e32 v19, 29, v19
	v_lshlrev_b64 v[24:25], v24, v[10:11]
	v_and_b32_e32 v24, 7, v24
; %bb.2821:                             ;   in Loop: Header=BB355_1571 Depth=1
	s_or_b32 exec_lo, exec_lo, s21
	v_mov_b32_e32 v10, 24
	v_lshl_add_u32 v19, v19, 23, 0x3c000000
	v_lshlrev_b32_sdwa v10, v10, v20 dst_sel:DWORD dst_unused:UNUSED_PAD src0_sel:DWORD src1_sel:BYTE_3
	v_lshlrev_b32_e32 v20, 20, v24
	v_and_b32_e32 v10, 0x80000000, v10
	v_or3_b32 v29, v20, v10, v19
.LBB355_2822:                           ;   in Loop: Header=BB355_1571 Depth=1
	s_or_b32 exec_lo, exec_lo, s20
.LBB355_2823:                           ;   in Loop: Header=BB355_1571 Depth=1
	s_or_b32 exec_lo, exec_lo, s19
.LBB355_2824:                           ;   in Loop: Header=BB355_1571 Depth=1
	s_or_b32 exec_lo, exec_lo, s18
	v_mul_f32_e32 v10, v111, v23
	v_bfe_u32 v19, v10, 16, 1
	v_or_b32_e32 v20, 0x400000, v10
	v_cmp_u_f32_e64 s4, v10, v10
	v_add3_u32 v19, v19, v10, 0x7fff
	v_cndmask_b32_e64 v10, v19, v20, s4
	v_lshrrev_b32_e32 v87, 16, v10
	v_mul_f32_e32 v10, v111, v22
	v_bfe_u32 v19, v10, 16, 1
	v_or_b32_e32 v20, 0x400000, v10
	v_cmp_u_f32_e64 s4, v10, v10
	v_add3_u32 v19, v19, v10, 0x7fff
	v_cndmask_b32_e64 v10, v19, v20, s4
	v_lshrrev_b32_e32 v70, 16, v10
	;; [unrolled: 7-line block ×8, first 2 shown]
	s_and_saveexec_b32 s18, vcc_lo
	s_cbranch_execz .LBB355_2826
; %bb.2825:                             ;   in Loop: Header=BB355_1571 Depth=1
	v_cmp_lt_i32_e64 s4, v109, v123
	v_cndmask_b32_e64 v13, 0, v13, s4
	v_cmp_lt_i32_e64 s4, v74, v123
	v_cndmask_b32_e64 v102, 0, v102, s4
	;; [unrolled: 2-line block ×8, first 2 shown]
.LBB355_2826:                           ;   in Loop: Header=BB355_1571 Depth=1
	s_or_b32 exec_lo, exec_lo, s18
	flat_load_dwordx2 v[19:20], v[16:17] offset:768
	v_mov_b32_e32 v31, 0
	v_mov_b32_e32 v12, 0
	s_waitcnt vmcnt(0) lgkmcnt(0)
	v_cmp_ne_u16_sdwa s4, v19, v11 src0_sel:BYTE_0 src1_sel:DWORD
	s_and_saveexec_b32 s18, s4
	s_cbranch_execz .LBB355_2834
; %bb.2827:                             ;   in Loop: Header=BB355_1571 Depth=1
	v_cmp_ne_u16_sdwa s4, v19, v97 src0_sel:BYTE_0 src1_sel:DWORD
	v_bfrev_b32_e32 v12, 1
	s_and_saveexec_b32 s19, s4
	s_cbranch_execz .LBB355_2833
; %bb.2828:                             ;   in Loop: Header=BB355_1571 Depth=1
	v_and_b32_e32 v18, 0x7f, v19
	v_mov_b32_e32 v12, 0x7f800001
	s_mov_b32 s20, exec_lo
	v_cmpx_ne_u32_e32 0x7f, v18
	s_cbranch_execz .LBB355_2832
; %bb.2829:                             ;   in Loop: Header=BB355_1571 Depth=1
	v_mov_b32_e32 v25, v20
	v_lshrrev_b32_e32 v10, 3, v18
	v_mov_b32_e32 v24, v19
	s_mov_b32 s21, exec_lo
	v_cmpx_gt_u32_e32 8, v18
; %bb.2830:                             ;   in Loop: Header=BB355_1571 Depth=1
	v_and_b32_e32 v10, 7, v19
	v_ffbh_u32_e32 v10, v10
	v_min_u32_e32 v10, 32, v10
	v_subrev_nc_u32_e32 v12, 28, v10
	v_sub_nc_u32_e32 v10, 29, v10
	v_lshlrev_b64 v[24:25], v12, v[19:20]
; %bb.2831:                             ;   in Loop: Header=BB355_1571 Depth=1
	s_or_b32 exec_lo, exec_lo, s21
	v_lshlrev_b32_e32 v12, 20, v24
	v_lshlrev_b32_e32 v18, 24, v19
	v_lshl_add_u32 v10, v10, 23, 0x3c000000
	v_and_b32_e32 v12, 0x700000, v12
	v_and_b32_e32 v18, 0x80000000, v18
	v_or3_b32 v12, v12, v18, v10
.LBB355_2832:                           ;   in Loop: Header=BB355_1571 Depth=1
	s_or_b32 exec_lo, exec_lo, s20
.LBB355_2833:                           ;   in Loop: Header=BB355_1571 Depth=1
	s_or_b32 exec_lo, exec_lo, s19
.LBB355_2834:                           ;   in Loop: Header=BB355_1571 Depth=1
	s_or_b32 exec_lo, exec_lo, s18
	v_cmp_ne_u16_sdwa s4, v19, v11 src0_sel:BYTE_1 src1_sel:DWORD
	s_and_saveexec_b32 s18, s4
	s_cbranch_execz .LBB355_2842
; %bb.2835:                             ;   in Loop: Header=BB355_1571 Depth=1
	v_cmp_ne_u16_sdwa s4, v19, v97 src0_sel:BYTE_1 src1_sel:DWORD
	v_bfrev_b32_e32 v31, 1
	s_and_saveexec_b32 s19, s4
	s_cbranch_execz .LBB355_2841
; %bb.2836:                             ;   in Loop: Header=BB355_1571 Depth=1
	v_mov_b32_e32 v10, 0xffff
	v_mov_b32_e32 v31, 0x7f800001
	s_mov_b32 s20, exec_lo
	v_and_b32_sdwa v10, v10, v19 dst_sel:DWORD dst_unused:UNUSED_PAD src0_sel:DWORD src1_sel:BYTE_1
	v_and_b32_e32 v23, 0x7f, v10
	v_cmpx_ne_u32_e32 0x7f, v23
	s_cbranch_execz .LBB355_2840
; %bb.2837:                             ;   in Loop: Header=BB355_1571 Depth=1
	v_and_b32_e32 v10, 7, v10
	v_mov_b32_e32 v25, v11
	v_lshrrev_b32_e32 v18, 3, v23
	s_mov_b32 s21, exec_lo
	v_mov_b32_e32 v24, v10
	v_cmpx_gt_u32_e32 8, v23
; %bb.2838:                             ;   in Loop: Header=BB355_1571 Depth=1
	v_ffbh_u32_e32 v18, v10
	v_min_u32_e32 v18, 32, v18
	v_subrev_nc_u32_e32 v23, 28, v18
	v_sub_nc_u32_e32 v18, 29, v18
	v_lshlrev_b64 v[23:24], v23, v[10:11]
	v_and_b32_e32 v24, 7, v23
; %bb.2839:                             ;   in Loop: Header=BB355_1571 Depth=1
	s_or_b32 exec_lo, exec_lo, s21
	v_lshlrev_b32_e32 v10, 16, v19
	v_lshlrev_b32_e32 v23, 20, v24
	v_lshl_add_u32 v18, v18, 23, 0x3c000000
	v_and_b32_e32 v10, 0x80000000, v10
	v_or3_b32 v31, v23, v10, v18
.LBB355_2840:                           ;   in Loop: Header=BB355_1571 Depth=1
	s_or_b32 exec_lo, exec_lo, s20
.LBB355_2841:                           ;   in Loop: Header=BB355_1571 Depth=1
	s_or_b32 exec_lo, exec_lo, s19
.LBB355_2842:                           ;   in Loop: Header=BB355_1571 Depth=1
	s_or_b32 exec_lo, exec_lo, s18
	v_and_b32_sdwa v10, v19, v99 dst_sel:DWORD dst_unused:UNUSED_PAD src0_sel:WORD_1 src1_sel:DWORD
	v_mov_b32_e32 v29, 0
	v_mov_b32_e32 v30, 0
	s_mov_b32 s18, exec_lo
	v_cmpx_ne_u16_e32 0, v10
	s_cbranch_execz .LBB355_2850
; %bb.2843:                             ;   in Loop: Header=BB355_1571 Depth=1
	v_bfrev_b32_e32 v30, 1
	s_mov_b32 s19, exec_lo
	v_cmpx_ne_u16_e32 0x80, v10
	s_cbranch_execz .LBB355_2849
; %bb.2844:                             ;   in Loop: Header=BB355_1571 Depth=1
	v_bfe_u32 v23, v19, 16, 7
	v_mov_b32_e32 v30, 0x7f800001
	s_mov_b32 s20, exec_lo
	v_cmpx_ne_u32_e32 0x7f, v23
	s_cbranch_execz .LBB355_2848
; %bb.2845:                             ;   in Loop: Header=BB355_1571 Depth=1
	v_mov_b32_e32 v10, 7
	v_lshrrev_b32_e32 v18, 3, v23
	s_mov_b32 s21, exec_lo
	v_and_b32_sdwa v10, v19, v10 dst_sel:DWORD dst_unused:UNUSED_PAD src0_sel:WORD_1 src1_sel:DWORD
	v_mov_b32_e32 v25, v11
	v_mov_b32_e32 v24, v10
	v_cmpx_gt_u32_e32 8, v23
; %bb.2846:                             ;   in Loop: Header=BB355_1571 Depth=1
	v_ffbh_u32_e32 v18, v10
	v_min_u32_e32 v18, 32, v18
	v_subrev_nc_u32_e32 v23, 28, v18
	v_sub_nc_u32_e32 v18, 29, v18
	v_lshlrev_b64 v[23:24], v23, v[10:11]
	v_and_b32_e32 v24, 7, v23
; %bb.2847:                             ;   in Loop: Header=BB355_1571 Depth=1
	s_or_b32 exec_lo, exec_lo, s21
	v_mov_b32_e32 v10, 24
	v_lshlrev_b32_e32 v23, 20, v24
	v_lshl_add_u32 v18, v18, 23, 0x3c000000
	v_lshlrev_b32_sdwa v10, v10, v19 dst_sel:DWORD dst_unused:UNUSED_PAD src0_sel:DWORD src1_sel:WORD_1
	v_and_b32_e32 v10, 0x80000000, v10
	v_or3_b32 v30, v23, v10, v18
.LBB355_2848:                           ;   in Loop: Header=BB355_1571 Depth=1
	s_or_b32 exec_lo, exec_lo, s20
.LBB355_2849:                           ;   in Loop: Header=BB355_1571 Depth=1
	s_or_b32 exec_lo, exec_lo, s19
.LBB355_2850:                           ;   in Loop: Header=BB355_1571 Depth=1
	s_or_b32 exec_lo, exec_lo, s18
	s_mov_b32 s18, exec_lo
	v_cmpx_lt_u32_e32 0xffffff, v19
	s_cbranch_execz .LBB355_2858
; %bb.2851:                             ;   in Loop: Header=BB355_1571 Depth=1
	v_cmp_ne_u32_sdwa s4, v19, v97 src0_sel:BYTE_3 src1_sel:DWORD
	v_bfrev_b32_e32 v29, 1
	s_and_saveexec_b32 s19, s4
	s_cbranch_execz .LBB355_2857
; %bb.2852:                             ;   in Loop: Header=BB355_1571 Depth=1
	v_bfe_u32 v23, v19, 24, 7
	v_mov_b32_e32 v29, 0x7f800001
	s_mov_b32 s20, exec_lo
	v_cmpx_ne_u32_e32 0x7f, v23
	s_cbranch_execz .LBB355_2856
; %bb.2853:                             ;   in Loop: Header=BB355_1571 Depth=1
	v_mov_b32_e32 v10, 7
	v_lshrrev_b32_e32 v18, 3, v23
	s_mov_b32 s21, exec_lo
	v_and_b32_sdwa v10, v19, v10 dst_sel:DWORD dst_unused:UNUSED_PAD src0_sel:BYTE_3 src1_sel:DWORD
	v_mov_b32_e32 v25, v11
	v_mov_b32_e32 v24, v10
	v_cmpx_gt_u32_e32 8, v23
; %bb.2854:                             ;   in Loop: Header=BB355_1571 Depth=1
	v_ffbh_u32_e32 v18, v10
	v_min_u32_e32 v18, 32, v18
	v_subrev_nc_u32_e32 v23, 28, v18
	v_sub_nc_u32_e32 v18, 29, v18
	v_lshlrev_b64 v[23:24], v23, v[10:11]
	v_and_b32_e32 v24, 7, v23
; %bb.2855:                             ;   in Loop: Header=BB355_1571 Depth=1
	s_or_b32 exec_lo, exec_lo, s21
	v_mov_b32_e32 v10, 24
	v_lshlrev_b32_e32 v23, 20, v24
	v_lshl_add_u32 v18, v18, 23, 0x3c000000
	v_lshlrev_b32_sdwa v10, v10, v19 dst_sel:DWORD dst_unused:UNUSED_PAD src0_sel:DWORD src1_sel:BYTE_3
	v_and_b32_e32 v10, 0x80000000, v10
	v_or3_b32 v29, v23, v10, v18
.LBB355_2856:                           ;   in Loop: Header=BB355_1571 Depth=1
	s_or_b32 exec_lo, exec_lo, s20
.LBB355_2857:                           ;   in Loop: Header=BB355_1571 Depth=1
	s_or_b32 exec_lo, exec_lo, s19
.LBB355_2858:                           ;   in Loop: Header=BB355_1571 Depth=1
	s_or_b32 exec_lo, exec_lo, s18
	v_mov_b32_e32 v10, v20
	v_cmp_ne_u16_sdwa s4, v20, v11 src0_sel:BYTE_0 src1_sel:DWORD
	v_mov_b32_e32 v23, 0
	v_mov_b32_e32 v18, 0
	s_and_saveexec_b32 s18, s4
	s_cbranch_execz .LBB355_2866
; %bb.2859:                             ;   in Loop: Header=BB355_1571 Depth=1
	v_cmp_ne_u16_sdwa s4, v20, v97 src0_sel:BYTE_0 src1_sel:DWORD
	v_bfrev_b32_e32 v18, 1
	s_and_saveexec_b32 s19, s4
	s_cbranch_execz .LBB355_2865
; %bb.2860:                             ;   in Loop: Header=BB355_1571 Depth=1
	v_and_b32_e32 v32, 0x7f, v20
	v_mov_b32_e32 v18, 0x7f800001
	s_mov_b32 s20, exec_lo
	v_cmpx_ne_u32_e32 0x7f, v32
	s_cbranch_execz .LBB355_2864
; %bb.2861:                             ;   in Loop: Header=BB355_1571 Depth=1
	v_mov_b32_e32 v25, v11
	v_mov_b32_e32 v24, v10
	v_lshrrev_b32_e32 v18, 3, v32
	s_mov_b32 s21, exec_lo
	v_cmpx_gt_u32_e32 8, v32
; %bb.2862:                             ;   in Loop: Header=BB355_1571 Depth=1
	v_and_b32_e32 v18, 7, v20
	v_ffbh_u32_e32 v18, v18
	v_min_u32_e32 v18, 32, v18
	v_subrev_nc_u32_e32 v24, 28, v18
	v_sub_nc_u32_e32 v18, 29, v18
	v_lshlrev_b64 v[24:25], v24, v[10:11]
; %bb.2863:                             ;   in Loop: Header=BB355_1571 Depth=1
	s_or_b32 exec_lo, exec_lo, s21
	v_lshlrev_b32_e32 v24, 20, v24
	v_lshlrev_b32_e32 v25, 24, v10
	v_lshl_add_u32 v18, v18, 23, 0x3c000000
	v_and_b32_e32 v24, 0x700000, v24
	v_and_b32_e32 v25, 0x80000000, v25
	v_or3_b32 v18, v24, v25, v18
.LBB355_2864:                           ;   in Loop: Header=BB355_1571 Depth=1
	s_or_b32 exec_lo, exec_lo, s20
.LBB355_2865:                           ;   in Loop: Header=BB355_1571 Depth=1
	s_or_b32 exec_lo, exec_lo, s19
.LBB355_2866:                           ;   in Loop: Header=BB355_1571 Depth=1
	s_or_b32 exec_lo, exec_lo, s18
	v_cmp_ne_u16_sdwa s4, v10, v11 src0_sel:BYTE_1 src1_sel:DWORD
	s_and_saveexec_b32 s18, s4
	s_cbranch_execz .LBB355_2874
; %bb.2867:                             ;   in Loop: Header=BB355_1571 Depth=1
	v_cmp_ne_u16_sdwa s4, v10, v97 src0_sel:BYTE_1 src1_sel:DWORD
	v_bfrev_b32_e32 v23, 1
	s_and_saveexec_b32 s19, s4
	s_cbranch_execz .LBB355_2873
; %bb.2868:                             ;   in Loop: Header=BB355_1571 Depth=1
	v_mov_b32_e32 v23, 0xffff
	s_mov_b32 s20, exec_lo
	v_and_b32_sdwa v24, v23, v10 dst_sel:DWORD dst_unused:UNUSED_PAD src0_sel:DWORD src1_sel:BYTE_1
	v_mov_b32_e32 v23, 0x7f800001
	v_and_b32_e32 v32, 0x7f, v24
	v_cmpx_ne_u32_e32 0x7f, v32
	s_cbranch_execz .LBB355_2872
; %bb.2869:                             ;   in Loop: Header=BB355_1571 Depth=1
	v_and_b32_e32 v24, 7, v24
	v_mov_b32_e32 v25, v11
	v_lshrrev_b32_e32 v23, 3, v32
	s_mov_b32 s21, exec_lo
	v_cmpx_gt_u32_e32 8, v32
; %bb.2870:                             ;   in Loop: Header=BB355_1571 Depth=1
	v_ffbh_u32_e32 v23, v24
	v_min_u32_e32 v23, 32, v23
	v_subrev_nc_u32_e32 v32, 28, v23
	v_sub_nc_u32_e32 v23, 29, v23
	v_lshlrev_b64 v[24:25], v32, v[24:25]
	v_and_b32_e32 v24, 7, v24
; %bb.2871:                             ;   in Loop: Header=BB355_1571 Depth=1
	s_or_b32 exec_lo, exec_lo, s21
	v_lshlrev_b32_e32 v10, 16, v10
	v_lshlrev_b32_e32 v24, 20, v24
	v_lshl_add_u32 v23, v23, 23, 0x3c000000
	v_and_b32_e32 v10, 0x80000000, v10
	v_or3_b32 v23, v24, v10, v23
.LBB355_2872:                           ;   in Loop: Header=BB355_1571 Depth=1
	s_or_b32 exec_lo, exec_lo, s20
.LBB355_2873:                           ;   in Loop: Header=BB355_1571 Depth=1
	s_or_b32 exec_lo, exec_lo, s19
.LBB355_2874:                           ;   in Loop: Header=BB355_1571 Depth=1
	s_or_b32 exec_lo, exec_lo, s18
	v_and_b32_sdwa v10, v20, v99 dst_sel:DWORD dst_unused:UNUSED_PAD src0_sel:WORD_1 src1_sel:DWORD
	v_mov_b32_e32 v36, 0
	v_mov_b32_e32 v32, 0
	s_mov_b32 s18, exec_lo
	v_cmpx_ne_u16_e32 0, v10
	s_cbranch_execz .LBB355_2882
; %bb.2875:                             ;   in Loop: Header=BB355_1571 Depth=1
	v_bfrev_b32_e32 v32, 1
	s_mov_b32 s19, exec_lo
	v_cmpx_ne_u16_e32 0x80, v10
	s_cbranch_execz .LBB355_2881
; %bb.2876:                             ;   in Loop: Header=BB355_1571 Depth=1
	v_bfe_u32 v37, v20, 16, 7
	v_mov_b32_e32 v32, 0x7f800001
	s_mov_b32 s20, exec_lo
	v_cmpx_ne_u32_e32 0x7f, v37
	s_cbranch_execz .LBB355_2880
; %bb.2877:                             ;   in Loop: Header=BB355_1571 Depth=1
	v_mov_b32_e32 v10, 7
	s_mov_b32 s21, exec_lo
	v_and_b32_sdwa v10, v20, v10 dst_sel:DWORD dst_unused:UNUSED_PAD src0_sel:WORD_1 src1_sel:DWORD
	v_mov_b32_e32 v25, v11
	v_lshrrev_b32_e32 v25, 3, v37
	v_mov_b32_e32 v24, v10
	v_cmpx_gt_u32_e32 8, v37
; %bb.2878:                             ;   in Loop: Header=BB355_1571 Depth=1
	v_ffbh_u32_e32 v24, v10
	v_min_u32_e32 v32, 32, v24
	v_subrev_nc_u32_e32 v24, 28, v32
	v_lshlrev_b64 v[24:25], v24, v[10:11]
	v_sub_nc_u32_e32 v25, 29, v32
	v_and_b32_e32 v24, 7, v24
; %bb.2879:                             ;   in Loop: Header=BB355_1571 Depth=1
	s_or_b32 exec_lo, exec_lo, s21
	v_mov_b32_e32 v10, 24
	v_lshlrev_b32_e32 v24, 20, v24
	v_lshl_add_u32 v25, v25, 23, 0x3c000000
	v_lshlrev_b32_sdwa v10, v10, v20 dst_sel:DWORD dst_unused:UNUSED_PAD src0_sel:DWORD src1_sel:WORD_1
	v_and_b32_e32 v10, 0x80000000, v10
	v_or3_b32 v32, v24, v10, v25
.LBB355_2880:                           ;   in Loop: Header=BB355_1571 Depth=1
	s_or_b32 exec_lo, exec_lo, s20
.LBB355_2881:                           ;   in Loop: Header=BB355_1571 Depth=1
	s_or_b32 exec_lo, exec_lo, s19
.LBB355_2882:                           ;   in Loop: Header=BB355_1571 Depth=1
	s_or_b32 exec_lo, exec_lo, s18
	s_mov_b32 s18, exec_lo
	v_cmpx_lt_u64_e64 s[6:7], v[19:20]
	s_cbranch_execz .LBB355_2890
; %bb.2883:                             ;   in Loop: Header=BB355_1571 Depth=1
	v_cmp_ne_u32_sdwa s4, v20, v97 src0_sel:BYTE_3 src1_sel:DWORD
	v_bfrev_b32_e32 v36, 1
	s_and_saveexec_b32 s19, s4
	s_cbranch_execz .LBB355_2889
; %bb.2884:                             ;   in Loop: Header=BB355_1571 Depth=1
	v_bfe_u32 v37, v20, 24, 7
	v_mov_b32_e32 v36, 0x7f800001
	s_mov_b32 s20, exec_lo
	v_cmpx_ne_u32_e32 0x7f, v37
	s_cbranch_execz .LBB355_2888
; %bb.2885:                             ;   in Loop: Header=BB355_1571 Depth=1
	v_mov_b32_e32 v10, 7
	v_lshrrev_b32_e32 v19, 3, v37
	s_mov_b32 s21, exec_lo
	v_and_b32_sdwa v10, v20, v10 dst_sel:DWORD dst_unused:UNUSED_PAD src0_sel:BYTE_3 src1_sel:DWORD
	v_mov_b32_e32 v25, v11
	v_mov_b32_e32 v24, v10
	v_cmpx_gt_u32_e32 8, v37
; %bb.2886:                             ;   in Loop: Header=BB355_1571 Depth=1
	v_ffbh_u32_e32 v19, v10
	v_min_u32_e32 v19, 32, v19
	v_subrev_nc_u32_e32 v24, 28, v19
	v_sub_nc_u32_e32 v19, 29, v19
	v_lshlrev_b64 v[24:25], v24, v[10:11]
	v_and_b32_e32 v24, 7, v24
; %bb.2887:                             ;   in Loop: Header=BB355_1571 Depth=1
	s_or_b32 exec_lo, exec_lo, s21
	v_mov_b32_e32 v10, 24
	v_lshl_add_u32 v19, v19, 23, 0x3c000000
	v_lshlrev_b32_sdwa v10, v10, v20 dst_sel:DWORD dst_unused:UNUSED_PAD src0_sel:DWORD src1_sel:BYTE_3
	v_lshlrev_b32_e32 v20, 20, v24
	v_and_b32_e32 v10, 0x80000000, v10
	v_or3_b32 v36, v20, v10, v19
.LBB355_2888:                           ;   in Loop: Header=BB355_1571 Depth=1
	s_or_b32 exec_lo, exec_lo, s20
.LBB355_2889:                           ;   in Loop: Header=BB355_1571 Depth=1
	s_or_b32 exec_lo, exec_lo, s19
.LBB355_2890:                           ;   in Loop: Header=BB355_1571 Depth=1
	s_or_b32 exec_lo, exec_lo, s18
	v_mul_f32_e32 v10, v111, v23
	v_bfe_u32 v19, v10, 16, 1
	v_or_b32_e32 v20, 0x400000, v10
	v_cmp_u_f32_e64 s4, v10, v10
	v_add3_u32 v19, v19, v10, 0x7fff
	v_cndmask_b32_e64 v10, v19, v20, s4
	v_lshrrev_b32_e32 v103, 16, v10
	v_mul_f32_e32 v10, v111, v18
	v_bfe_u32 v18, v10, 16, 1
	v_or_b32_e32 v19, 0x400000, v10
	v_cmp_u_f32_e64 s4, v10, v10
	v_add3_u32 v18, v18, v10, 0x7fff
	v_cndmask_b32_e64 v10, v18, v19, s4
	v_lshrrev_b32_e32 v18, 16, v10
	;; [unrolled: 7-line block ×8, first 2 shown]
	s_and_saveexec_b32 s18, vcc_lo
	s_cbranch_execz .LBB355_2892
; %bb.2891:                             ;   in Loop: Header=BB355_1571 Depth=1
	v_cmp_lt_i32_e64 s4, v109, v123
	v_cndmask_b32_e64 v77, 0, v77, s4
	v_cmp_lt_i32_e64 s4, v74, v123
	v_cndmask_b32_e64 v31, 0, v31, s4
	;; [unrolled: 2-line block ×8, first 2 shown]
.LBB355_2892:                           ;   in Loop: Header=BB355_1571 Depth=1
	s_or_b32 exec_lo, exec_lo, s18
	flat_load_dwordx2 v[19:20], v[16:17] offset:1024
	v_mov_b32_e32 v36, 0
	v_mov_b32_e32 v12, 0
	s_waitcnt vmcnt(0) lgkmcnt(0)
	v_cmp_ne_u16_sdwa s4, v19, v11 src0_sel:BYTE_0 src1_sel:DWORD
	s_and_saveexec_b32 s18, s4
	s_cbranch_execz .LBB355_2900
; %bb.2893:                             ;   in Loop: Header=BB355_1571 Depth=1
	v_cmp_ne_u16_sdwa s4, v19, v97 src0_sel:BYTE_0 src1_sel:DWORD
	v_bfrev_b32_e32 v12, 1
	s_and_saveexec_b32 s19, s4
	s_cbranch_execz .LBB355_2899
; %bb.2894:                             ;   in Loop: Header=BB355_1571 Depth=1
	v_and_b32_e32 v23, 0x7f, v19
	v_mov_b32_e32 v12, 0x7f800001
	s_mov_b32 s20, exec_lo
	v_cmpx_ne_u32_e32 0x7f, v23
	s_cbranch_execz .LBB355_2898
; %bb.2895:                             ;   in Loop: Header=BB355_1571 Depth=1
	v_mov_b32_e32 v25, v20
	v_lshrrev_b32_e32 v10, 3, v23
	v_mov_b32_e32 v24, v19
	s_mov_b32 s21, exec_lo
	v_cmpx_gt_u32_e32 8, v23
; %bb.2896:                             ;   in Loop: Header=BB355_1571 Depth=1
	v_and_b32_e32 v10, 7, v19
	v_ffbh_u32_e32 v10, v10
	v_min_u32_e32 v10, 32, v10
	v_subrev_nc_u32_e32 v12, 28, v10
	v_sub_nc_u32_e32 v10, 29, v10
	v_lshlrev_b64 v[24:25], v12, v[19:20]
; %bb.2897:                             ;   in Loop: Header=BB355_1571 Depth=1
	s_or_b32 exec_lo, exec_lo, s21
	v_lshlrev_b32_e32 v12, 20, v24
	v_lshlrev_b32_e32 v23, 24, v19
	v_lshl_add_u32 v10, v10, 23, 0x3c000000
	v_and_b32_e32 v12, 0x700000, v12
	v_and_b32_e32 v23, 0x80000000, v23
	v_or3_b32 v12, v12, v23, v10
.LBB355_2898:                           ;   in Loop: Header=BB355_1571 Depth=1
	s_or_b32 exec_lo, exec_lo, s20
.LBB355_2899:                           ;   in Loop: Header=BB355_1571 Depth=1
	s_or_b32 exec_lo, exec_lo, s19
.LBB355_2900:                           ;   in Loop: Header=BB355_1571 Depth=1
	s_or_b32 exec_lo, exec_lo, s18
	v_cmp_ne_u16_sdwa s4, v19, v11 src0_sel:BYTE_1 src1_sel:DWORD
	s_and_saveexec_b32 s18, s4
	s_cbranch_execz .LBB355_2908
; %bb.2901:                             ;   in Loop: Header=BB355_1571 Depth=1
	v_cmp_ne_u16_sdwa s4, v19, v97 src0_sel:BYTE_1 src1_sel:DWORD
	v_bfrev_b32_e32 v36, 1
	s_and_saveexec_b32 s19, s4
	s_cbranch_execz .LBB355_2907
; %bb.2902:                             ;   in Loop: Header=BB355_1571 Depth=1
	v_mov_b32_e32 v10, 0xffff
	v_mov_b32_e32 v36, 0x7f800001
	s_mov_b32 s20, exec_lo
	v_and_b32_sdwa v10, v10, v19 dst_sel:DWORD dst_unused:UNUSED_PAD src0_sel:DWORD src1_sel:BYTE_1
	v_and_b32_e32 v37, 0x7f, v10
	v_cmpx_ne_u32_e32 0x7f, v37
	s_cbranch_execz .LBB355_2906
; %bb.2903:                             ;   in Loop: Header=BB355_1571 Depth=1
	v_and_b32_e32 v10, 7, v10
	v_mov_b32_e32 v25, v11
	v_lshrrev_b32_e32 v23, 3, v37
	s_mov_b32 s21, exec_lo
	v_mov_b32_e32 v24, v10
	v_cmpx_gt_u32_e32 8, v37
; %bb.2904:                             ;   in Loop: Header=BB355_1571 Depth=1
	v_ffbh_u32_e32 v23, v10
	v_min_u32_e32 v23, 32, v23
	v_subrev_nc_u32_e32 v24, 28, v23
	v_sub_nc_u32_e32 v23, 29, v23
	v_lshlrev_b64 v[24:25], v24, v[10:11]
	v_and_b32_e32 v24, 7, v24
; %bb.2905:                             ;   in Loop: Header=BB355_1571 Depth=1
	s_or_b32 exec_lo, exec_lo, s21
	v_lshlrev_b32_e32 v10, 16, v19
	v_lshlrev_b32_e32 v24, 20, v24
	v_lshl_add_u32 v23, v23, 23, 0x3c000000
	v_and_b32_e32 v10, 0x80000000, v10
	v_or3_b32 v36, v24, v10, v23
.LBB355_2906:                           ;   in Loop: Header=BB355_1571 Depth=1
	s_or_b32 exec_lo, exec_lo, s20
.LBB355_2907:                           ;   in Loop: Header=BB355_1571 Depth=1
	s_or_b32 exec_lo, exec_lo, s19
.LBB355_2908:                           ;   in Loop: Header=BB355_1571 Depth=1
	s_or_b32 exec_lo, exec_lo, s18
	v_and_b32_sdwa v10, v19, v99 dst_sel:DWORD dst_unused:UNUSED_PAD src0_sel:WORD_1 src1_sel:DWORD
	v_mov_b32_e32 v38, 0
	v_mov_b32_e32 v37, 0
	s_mov_b32 s18, exec_lo
	v_cmpx_ne_u16_e32 0, v10
	s_cbranch_execz .LBB355_2916
; %bb.2909:                             ;   in Loop: Header=BB355_1571 Depth=1
	v_bfrev_b32_e32 v37, 1
	s_mov_b32 s19, exec_lo
	v_cmpx_ne_u16_e32 0x80, v10
	s_cbranch_execz .LBB355_2915
; %bb.2910:                             ;   in Loop: Header=BB355_1571 Depth=1
	v_bfe_u32 v49, v19, 16, 7
	v_mov_b32_e32 v37, 0x7f800001
	s_mov_b32 s20, exec_lo
	v_cmpx_ne_u32_e32 0x7f, v49
	s_cbranch_execz .LBB355_2914
; %bb.2911:                             ;   in Loop: Header=BB355_1571 Depth=1
	v_mov_b32_e32 v10, 7
	v_lshrrev_b32_e32 v23, 3, v49
	s_mov_b32 s21, exec_lo
	v_and_b32_sdwa v10, v19, v10 dst_sel:DWORD dst_unused:UNUSED_PAD src0_sel:WORD_1 src1_sel:DWORD
	v_mov_b32_e32 v25, v11
	v_mov_b32_e32 v24, v10
	v_cmpx_gt_u32_e32 8, v49
; %bb.2912:                             ;   in Loop: Header=BB355_1571 Depth=1
	v_ffbh_u32_e32 v23, v10
	v_min_u32_e32 v23, 32, v23
	v_subrev_nc_u32_e32 v24, 28, v23
	v_sub_nc_u32_e32 v23, 29, v23
	v_lshlrev_b64 v[24:25], v24, v[10:11]
	v_and_b32_e32 v24, 7, v24
; %bb.2913:                             ;   in Loop: Header=BB355_1571 Depth=1
	s_or_b32 exec_lo, exec_lo, s21
	v_mov_b32_e32 v10, 24
	v_lshlrev_b32_e32 v24, 20, v24
	v_lshl_add_u32 v23, v23, 23, 0x3c000000
	v_lshlrev_b32_sdwa v10, v10, v19 dst_sel:DWORD dst_unused:UNUSED_PAD src0_sel:DWORD src1_sel:WORD_1
	v_and_b32_e32 v10, 0x80000000, v10
	v_or3_b32 v37, v24, v10, v23
.LBB355_2914:                           ;   in Loop: Header=BB355_1571 Depth=1
	s_or_b32 exec_lo, exec_lo, s20
.LBB355_2915:                           ;   in Loop: Header=BB355_1571 Depth=1
	s_or_b32 exec_lo, exec_lo, s19
.LBB355_2916:                           ;   in Loop: Header=BB355_1571 Depth=1
	s_or_b32 exec_lo, exec_lo, s18
	s_mov_b32 s18, exec_lo
	v_cmpx_lt_u32_e32 0xffffff, v19
	s_cbranch_execz .LBB355_2924
; %bb.2917:                             ;   in Loop: Header=BB355_1571 Depth=1
	v_cmp_ne_u32_sdwa s4, v19, v97 src0_sel:BYTE_3 src1_sel:DWORD
	v_bfrev_b32_e32 v38, 1
	s_and_saveexec_b32 s19, s4
	s_cbranch_execz .LBB355_2923
; %bb.2918:                             ;   in Loop: Header=BB355_1571 Depth=1
	v_bfe_u32 v49, v19, 24, 7
	v_mov_b32_e32 v38, 0x7f800001
	s_mov_b32 s20, exec_lo
	v_cmpx_ne_u32_e32 0x7f, v49
	s_cbranch_execz .LBB355_2922
; %bb.2919:                             ;   in Loop: Header=BB355_1571 Depth=1
	v_mov_b32_e32 v10, 7
	v_lshrrev_b32_e32 v23, 3, v49
	s_mov_b32 s21, exec_lo
	v_and_b32_sdwa v10, v19, v10 dst_sel:DWORD dst_unused:UNUSED_PAD src0_sel:BYTE_3 src1_sel:DWORD
	v_mov_b32_e32 v25, v11
	v_mov_b32_e32 v24, v10
	v_cmpx_gt_u32_e32 8, v49
; %bb.2920:                             ;   in Loop: Header=BB355_1571 Depth=1
	v_ffbh_u32_e32 v23, v10
	v_min_u32_e32 v23, 32, v23
	v_subrev_nc_u32_e32 v24, 28, v23
	v_sub_nc_u32_e32 v23, 29, v23
	v_lshlrev_b64 v[24:25], v24, v[10:11]
	v_and_b32_e32 v24, 7, v24
; %bb.2921:                             ;   in Loop: Header=BB355_1571 Depth=1
	s_or_b32 exec_lo, exec_lo, s21
	v_mov_b32_e32 v10, 24
	v_lshlrev_b32_e32 v24, 20, v24
	v_lshl_add_u32 v23, v23, 23, 0x3c000000
	v_lshlrev_b32_sdwa v10, v10, v19 dst_sel:DWORD dst_unused:UNUSED_PAD src0_sel:DWORD src1_sel:BYTE_3
	v_and_b32_e32 v10, 0x80000000, v10
	v_or3_b32 v38, v24, v10, v23
.LBB355_2922:                           ;   in Loop: Header=BB355_1571 Depth=1
	s_or_b32 exec_lo, exec_lo, s20
.LBB355_2923:                           ;   in Loop: Header=BB355_1571 Depth=1
	s_or_b32 exec_lo, exec_lo, s19
.LBB355_2924:                           ;   in Loop: Header=BB355_1571 Depth=1
	s_or_b32 exec_lo, exec_lo, s18
	v_mov_b32_e32 v10, v20
	v_cmp_ne_u16_sdwa s4, v20, v11 src0_sel:BYTE_0 src1_sel:DWORD
	v_mov_b32_e32 v23, 0
	v_mov_b32_e32 v53, 0
	s_and_saveexec_b32 s18, s4
	s_cbranch_execz .LBB355_2932
; %bb.2925:                             ;   in Loop: Header=BB355_1571 Depth=1
	v_cmp_ne_u16_sdwa s4, v20, v97 src0_sel:BYTE_0 src1_sel:DWORD
	v_bfrev_b32_e32 v53, 1
	s_and_saveexec_b32 s19, s4
	s_cbranch_execz .LBB355_2931
; %bb.2926:                             ;   in Loop: Header=BB355_1571 Depth=1
	v_and_b32_e32 v49, 0x7f, v20
	v_mov_b32_e32 v53, 0x7f800001
	s_mov_b32 s20, exec_lo
	v_cmpx_ne_u32_e32 0x7f, v49
	s_cbranch_execz .LBB355_2930
; %bb.2927:                             ;   in Loop: Header=BB355_1571 Depth=1
	v_mov_b32_e32 v25, v11
	v_mov_b32_e32 v24, v10
	v_lshrrev_b32_e32 v25, 3, v49
	s_mov_b32 s21, exec_lo
	v_cmpx_gt_u32_e32 8, v49
; %bb.2928:                             ;   in Loop: Header=BB355_1571 Depth=1
	v_and_b32_e32 v24, 7, v20
	v_ffbh_u32_e32 v24, v24
	v_min_u32_e32 v49, 32, v24
	v_subrev_nc_u32_e32 v24, 28, v49
	v_lshlrev_b64 v[24:25], v24, v[10:11]
	v_sub_nc_u32_e32 v25, 29, v49
; %bb.2929:                             ;   in Loop: Header=BB355_1571 Depth=1
	s_or_b32 exec_lo, exec_lo, s21
	v_lshlrev_b32_e32 v24, 20, v24
	v_lshlrev_b32_e32 v49, 24, v10
	v_lshl_add_u32 v25, v25, 23, 0x3c000000
	v_and_b32_e32 v24, 0x700000, v24
	v_and_b32_e32 v49, 0x80000000, v49
	v_or3_b32 v53, v24, v49, v25
.LBB355_2930:                           ;   in Loop: Header=BB355_1571 Depth=1
	s_or_b32 exec_lo, exec_lo, s20
.LBB355_2931:                           ;   in Loop: Header=BB355_1571 Depth=1
	s_or_b32 exec_lo, exec_lo, s19
.LBB355_2932:                           ;   in Loop: Header=BB355_1571 Depth=1
	s_or_b32 exec_lo, exec_lo, s18
	v_cmp_ne_u16_sdwa s4, v10, v11 src0_sel:BYTE_1 src1_sel:DWORD
	s_and_saveexec_b32 s18, s4
	s_cbranch_execz .LBB355_2940
; %bb.2933:                             ;   in Loop: Header=BB355_1571 Depth=1
	v_cmp_ne_u16_sdwa s4, v10, v97 src0_sel:BYTE_1 src1_sel:DWORD
	v_bfrev_b32_e32 v23, 1
	s_and_saveexec_b32 s19, s4
	s_cbranch_execz .LBB355_2939
; %bb.2934:                             ;   in Loop: Header=BB355_1571 Depth=1
	v_mov_b32_e32 v23, 0xffff
	s_mov_b32 s20, exec_lo
	v_and_b32_sdwa v24, v23, v10 dst_sel:DWORD dst_unused:UNUSED_PAD src0_sel:DWORD src1_sel:BYTE_1
	v_mov_b32_e32 v23, 0x7f800001
	v_and_b32_e32 v49, 0x7f, v24
	v_cmpx_ne_u32_e32 0x7f, v49
	s_cbranch_execz .LBB355_2938
; %bb.2935:                             ;   in Loop: Header=BB355_1571 Depth=1
	v_and_b32_e32 v24, 7, v24
	v_mov_b32_e32 v25, v11
	v_lshrrev_b32_e32 v23, 3, v49
	s_mov_b32 s21, exec_lo
	v_cmpx_gt_u32_e32 8, v49
; %bb.2936:                             ;   in Loop: Header=BB355_1571 Depth=1
	v_ffbh_u32_e32 v23, v24
	v_min_u32_e32 v23, 32, v23
	v_subrev_nc_u32_e32 v49, 28, v23
	v_sub_nc_u32_e32 v23, 29, v23
	v_lshlrev_b64 v[24:25], v49, v[24:25]
	v_and_b32_e32 v24, 7, v24
; %bb.2937:                             ;   in Loop: Header=BB355_1571 Depth=1
	s_or_b32 exec_lo, exec_lo, s21
	v_lshlrev_b32_e32 v10, 16, v10
	v_lshlrev_b32_e32 v24, 20, v24
	v_lshl_add_u32 v23, v23, 23, 0x3c000000
	v_and_b32_e32 v10, 0x80000000, v10
	v_or3_b32 v23, v24, v10, v23
.LBB355_2938:                           ;   in Loop: Header=BB355_1571 Depth=1
	s_or_b32 exec_lo, exec_lo, s20
.LBB355_2939:                           ;   in Loop: Header=BB355_1571 Depth=1
	s_or_b32 exec_lo, exec_lo, s19
.LBB355_2940:                           ;   in Loop: Header=BB355_1571 Depth=1
	s_or_b32 exec_lo, exec_lo, s18
	v_and_b32_sdwa v10, v20, v99 dst_sel:DWORD dst_unused:UNUSED_PAD src0_sel:WORD_1 src1_sel:DWORD
	v_mov_b32_e32 v49, 0
	v_mov_b32_e32 v65, 0
	s_mov_b32 s18, exec_lo
	v_cmpx_ne_u16_e32 0, v10
	s_cbranch_execz .LBB355_2948
; %bb.2941:                             ;   in Loop: Header=BB355_1571 Depth=1
	v_bfrev_b32_e32 v65, 1
	s_mov_b32 s19, exec_lo
	v_cmpx_ne_u16_e32 0x80, v10
	s_cbranch_execz .LBB355_2947
; %bb.2942:                             ;   in Loop: Header=BB355_1571 Depth=1
	v_bfe_u32 v50, v20, 16, 7
	v_mov_b32_e32 v65, 0x7f800001
	s_mov_b32 s20, exec_lo
	v_cmpx_ne_u32_e32 0x7f, v50
	s_cbranch_execz .LBB355_2946
; %bb.2943:                             ;   in Loop: Header=BB355_1571 Depth=1
	v_mov_b32_e32 v10, 7
	s_mov_b32 s21, exec_lo
	v_and_b32_sdwa v10, v20, v10 dst_sel:DWORD dst_unused:UNUSED_PAD src0_sel:WORD_1 src1_sel:DWORD
	v_mov_b32_e32 v25, v11
	v_lshrrev_b32_e32 v25, 3, v50
	v_mov_b32_e32 v24, v10
	v_cmpx_gt_u32_e32 8, v50
; %bb.2944:                             ;   in Loop: Header=BB355_1571 Depth=1
	v_ffbh_u32_e32 v24, v10
	v_min_u32_e32 v50, 32, v24
	v_subrev_nc_u32_e32 v24, 28, v50
	v_lshlrev_b64 v[24:25], v24, v[10:11]
	v_sub_nc_u32_e32 v25, 29, v50
	v_and_b32_e32 v24, 7, v24
; %bb.2945:                             ;   in Loop: Header=BB355_1571 Depth=1
	s_or_b32 exec_lo, exec_lo, s21
	v_mov_b32_e32 v10, 24
	v_lshlrev_b32_e32 v24, 20, v24
	v_lshl_add_u32 v25, v25, 23, 0x3c000000
	v_lshlrev_b32_sdwa v10, v10, v20 dst_sel:DWORD dst_unused:UNUSED_PAD src0_sel:DWORD src1_sel:WORD_1
	v_and_b32_e32 v10, 0x80000000, v10
	v_or3_b32 v65, v24, v10, v25
.LBB355_2946:                           ;   in Loop: Header=BB355_1571 Depth=1
	s_or_b32 exec_lo, exec_lo, s20
.LBB355_2947:                           ;   in Loop: Header=BB355_1571 Depth=1
	s_or_b32 exec_lo, exec_lo, s19
.LBB355_2948:                           ;   in Loop: Header=BB355_1571 Depth=1
	s_or_b32 exec_lo, exec_lo, s18
	s_mov_b32 s18, exec_lo
	v_cmpx_lt_u64_e64 s[6:7], v[19:20]
	s_cbranch_execz .LBB355_2956
; %bb.2949:                             ;   in Loop: Header=BB355_1571 Depth=1
	v_cmp_ne_u32_sdwa s4, v20, v97 src0_sel:BYTE_3 src1_sel:DWORD
	v_bfrev_b32_e32 v49, 1
	s_and_saveexec_b32 s19, s4
	s_cbranch_execz .LBB355_2955
; %bb.2950:                             ;   in Loop: Header=BB355_1571 Depth=1
	v_bfe_u32 v50, v20, 24, 7
	v_mov_b32_e32 v49, 0x7f800001
	s_mov_b32 s20, exec_lo
	v_cmpx_ne_u32_e32 0x7f, v50
	s_cbranch_execz .LBB355_2954
; %bb.2951:                             ;   in Loop: Header=BB355_1571 Depth=1
	v_mov_b32_e32 v10, 7
	v_lshrrev_b32_e32 v19, 3, v50
	s_mov_b32 s21, exec_lo
	v_and_b32_sdwa v10, v20, v10 dst_sel:DWORD dst_unused:UNUSED_PAD src0_sel:BYTE_3 src1_sel:DWORD
	v_mov_b32_e32 v25, v11
	v_mov_b32_e32 v24, v10
	v_cmpx_gt_u32_e32 8, v50
; %bb.2952:                             ;   in Loop: Header=BB355_1571 Depth=1
	v_ffbh_u32_e32 v19, v10
	v_min_u32_e32 v19, 32, v19
	v_subrev_nc_u32_e32 v24, 28, v19
	v_sub_nc_u32_e32 v19, 29, v19
	v_lshlrev_b64 v[24:25], v24, v[10:11]
	v_and_b32_e32 v24, 7, v24
; %bb.2953:                             ;   in Loop: Header=BB355_1571 Depth=1
	s_or_b32 exec_lo, exec_lo, s21
	v_mov_b32_e32 v10, 24
	v_lshl_add_u32 v19, v19, 23, 0x3c000000
	v_lshlrev_b32_sdwa v10, v10, v20 dst_sel:DWORD dst_unused:UNUSED_PAD src0_sel:DWORD src1_sel:BYTE_3
	v_lshlrev_b32_e32 v20, 20, v24
	v_and_b32_e32 v10, 0x80000000, v10
	v_or3_b32 v49, v20, v10, v19
.LBB355_2954:                           ;   in Loop: Header=BB355_1571 Depth=1
	s_or_b32 exec_lo, exec_lo, s20
.LBB355_2955:                           ;   in Loop: Header=BB355_1571 Depth=1
	s_or_b32 exec_lo, exec_lo, s19
.LBB355_2956:                           ;   in Loop: Header=BB355_1571 Depth=1
	s_or_b32 exec_lo, exec_lo, s18
	v_mul_f32_e32 v10, v111, v23
	v_bfe_u32 v19, v10, 16, 1
	v_or_b32_e32 v20, 0x400000, v10
	v_cmp_u_f32_e64 s4, v10, v10
	v_add3_u32 v19, v19, v10, 0x7fff
	v_cndmask_b32_e64 v10, v19, v20, s4
	v_lshrrev_b32_e32 v50, 16, v10
	v_mul_f32_e32 v10, v111, v53
	v_bfe_u32 v19, v10, 16, 1
	v_or_b32_e32 v20, 0x400000, v10
	v_cmp_u_f32_e64 s4, v10, v10
	v_add3_u32 v19, v19, v10, 0x7fff
	v_cndmask_b32_e64 v10, v19, v20, s4
	v_lshrrev_b32_e32 v53, 16, v10
	;; [unrolled: 7-line block ×8, first 2 shown]
	s_and_saveexec_b32 s18, vcc_lo
	s_cbranch_execz .LBB355_2958
; %bb.2957:                             ;   in Loop: Header=BB355_1571 Depth=1
	v_cmp_lt_i32_e64 s4, v109, v123
	v_cndmask_b32_e64 v66, 0, v66, s4
	v_cmp_lt_i32_e64 s4, v74, v123
	v_cndmask_b32_e64 v23, 0, v23, s4
	;; [unrolled: 2-line block ×8, first 2 shown]
.LBB355_2958:                           ;   in Loop: Header=BB355_1571 Depth=1
	s_or_b32 exec_lo, exec_lo, s18
	flat_load_dwordx2 v[19:20], v[16:17] offset:1280
	v_mov_b32_e32 v36, 0
	v_mov_b32_e32 v12, 0
	s_waitcnt vmcnt(0) lgkmcnt(0)
	v_cmp_ne_u16_sdwa s4, v19, v11 src0_sel:BYTE_0 src1_sel:DWORD
	s_and_saveexec_b32 s18, s4
	s_cbranch_execz .LBB355_2966
; %bb.2959:                             ;   in Loop: Header=BB355_1571 Depth=1
	v_cmp_ne_u16_sdwa s4, v19, v97 src0_sel:BYTE_0 src1_sel:DWORD
	v_bfrev_b32_e32 v12, 1
	s_and_saveexec_b32 s19, s4
	s_cbranch_execz .LBB355_2965
; %bb.2960:                             ;   in Loop: Header=BB355_1571 Depth=1
	v_and_b32_e32 v24, 0x7f, v19
	v_mov_b32_e32 v12, 0x7f800001
	s_mov_b32 s20, exec_lo
	v_cmpx_ne_u32_e32 0x7f, v24
	s_cbranch_execz .LBB355_2964
; %bb.2961:                             ;   in Loop: Header=BB355_1571 Depth=1
	v_lshrrev_b32_e32 v10, 3, v24
	v_cmp_gt_u32_e64 s4, 8, v24
	v_mov_b32_e32 v25, v20
	v_mov_b32_e32 v24, v19
	s_and_saveexec_b32 s21, s4
; %bb.2962:                             ;   in Loop: Header=BB355_1571 Depth=1
	v_and_b32_e32 v10, 7, v19
	v_ffbh_u32_e32 v10, v10
	v_min_u32_e32 v10, 32, v10
	v_subrev_nc_u32_e32 v12, 28, v10
	v_sub_nc_u32_e32 v10, 29, v10
	v_lshlrev_b64 v[24:25], v12, v[19:20]
; %bb.2963:                             ;   in Loop: Header=BB355_1571 Depth=1
	s_or_b32 exec_lo, exec_lo, s21
	v_lshlrev_b32_e32 v12, 20, v24
	v_lshlrev_b32_e32 v24, 24, v19
	v_lshl_add_u32 v10, v10, 23, 0x3c000000
	v_and_b32_e32 v12, 0x700000, v12
	v_and_b32_e32 v24, 0x80000000, v24
	v_or3_b32 v12, v12, v24, v10
.LBB355_2964:                           ;   in Loop: Header=BB355_1571 Depth=1
	s_or_b32 exec_lo, exec_lo, s20
.LBB355_2965:                           ;   in Loop: Header=BB355_1571 Depth=1
	s_or_b32 exec_lo, exec_lo, s19
.LBB355_2966:                           ;   in Loop: Header=BB355_1571 Depth=1
	s_or_b32 exec_lo, exec_lo, s18
	v_cmp_ne_u16_sdwa s4, v19, v11 src0_sel:BYTE_1 src1_sel:DWORD
	s_and_saveexec_b32 s18, s4
	s_cbranch_execz .LBB355_2974
; %bb.2967:                             ;   in Loop: Header=BB355_1571 Depth=1
	v_cmp_ne_u16_sdwa s4, v19, v97 src0_sel:BYTE_1 src1_sel:DWORD
	v_bfrev_b32_e32 v36, 1
	s_and_saveexec_b32 s19, s4
	s_cbranch_execz .LBB355_2973
; %bb.2968:                             ;   in Loop: Header=BB355_1571 Depth=1
	v_mov_b32_e32 v10, 0xffff
	v_mov_b32_e32 v36, 0x7f800001
	s_mov_b32 s20, exec_lo
	v_and_b32_sdwa v10, v10, v19 dst_sel:DWORD dst_unused:UNUSED_PAD src0_sel:DWORD src1_sel:BYTE_1
	v_and_b32_e32 v37, 0x7f, v10
	v_cmpx_ne_u32_e32 0x7f, v37
	s_cbranch_execz .LBB355_2972
; %bb.2969:                             ;   in Loop: Header=BB355_1571 Depth=1
	v_and_b32_e32 v10, 7, v10
	v_mov_b32_e32 v25, v11
	v_lshrrev_b32_e32 v25, 3, v37
	s_mov_b32 s21, exec_lo
	v_mov_b32_e32 v24, v10
	v_cmpx_gt_u32_e32 8, v37
; %bb.2970:                             ;   in Loop: Header=BB355_1571 Depth=1
	v_ffbh_u32_e32 v24, v10
	v_min_u32_e32 v36, 32, v24
	v_subrev_nc_u32_e32 v24, 28, v36
	v_lshlrev_b64 v[24:25], v24, v[10:11]
	v_sub_nc_u32_e32 v25, 29, v36
	v_and_b32_e32 v24, 7, v24
; %bb.2971:                             ;   in Loop: Header=BB355_1571 Depth=1
	s_or_b32 exec_lo, exec_lo, s21
	v_lshlrev_b32_e32 v10, 16, v19
	v_lshlrev_b32_e32 v24, 20, v24
	v_lshl_add_u32 v25, v25, 23, 0x3c000000
	v_and_b32_e32 v10, 0x80000000, v10
	v_or3_b32 v36, v24, v10, v25
.LBB355_2972:                           ;   in Loop: Header=BB355_1571 Depth=1
	s_or_b32 exec_lo, exec_lo, s20
.LBB355_2973:                           ;   in Loop: Header=BB355_1571 Depth=1
	s_or_b32 exec_lo, exec_lo, s19
.LBB355_2974:                           ;   in Loop: Header=BB355_1571 Depth=1
	s_or_b32 exec_lo, exec_lo, s18
	v_and_b32_sdwa v10, v19, v99 dst_sel:DWORD dst_unused:UNUSED_PAD src0_sel:WORD_1 src1_sel:DWORD
	v_mov_b32_e32 v38, 0
	v_mov_b32_e32 v37, 0
	s_mov_b32 s18, exec_lo
	v_cmpx_ne_u16_e32 0, v10
	s_cbranch_execz .LBB355_2982
; %bb.2975:                             ;   in Loop: Header=BB355_1571 Depth=1
	v_bfrev_b32_e32 v37, 1
	s_mov_b32 s19, exec_lo
	v_cmpx_ne_u16_e32 0x80, v10
	s_cbranch_execz .LBB355_2981
; %bb.2976:                             ;   in Loop: Header=BB355_1571 Depth=1
	v_bfe_u32 v49, v19, 16, 7
	v_mov_b32_e32 v37, 0x7f800001
	s_mov_b32 s20, exec_lo
	v_cmpx_ne_u32_e32 0x7f, v49
	s_cbranch_execz .LBB355_2980
; %bb.2977:                             ;   in Loop: Header=BB355_1571 Depth=1
	v_mov_b32_e32 v10, 7
	s_mov_b32 s21, exec_lo
	v_and_b32_sdwa v10, v19, v10 dst_sel:DWORD dst_unused:UNUSED_PAD src0_sel:WORD_1 src1_sel:DWORD
	v_mov_b32_e32 v25, v11
	v_lshrrev_b32_e32 v25, 3, v49
	v_mov_b32_e32 v24, v10
	v_cmpx_gt_u32_e32 8, v49
; %bb.2978:                             ;   in Loop: Header=BB355_1571 Depth=1
	v_ffbh_u32_e32 v24, v10
	v_min_u32_e32 v37, 32, v24
	v_subrev_nc_u32_e32 v24, 28, v37
	v_lshlrev_b64 v[24:25], v24, v[10:11]
	v_sub_nc_u32_e32 v25, 29, v37
	v_and_b32_e32 v24, 7, v24
; %bb.2979:                             ;   in Loop: Header=BB355_1571 Depth=1
	s_or_b32 exec_lo, exec_lo, s21
	v_mov_b32_e32 v10, 24
	v_lshlrev_b32_e32 v24, 20, v24
	v_lshl_add_u32 v25, v25, 23, 0x3c000000
	v_lshlrev_b32_sdwa v10, v10, v19 dst_sel:DWORD dst_unused:UNUSED_PAD src0_sel:DWORD src1_sel:WORD_1
	v_and_b32_e32 v10, 0x80000000, v10
	v_or3_b32 v37, v24, v10, v25
.LBB355_2980:                           ;   in Loop: Header=BB355_1571 Depth=1
	s_or_b32 exec_lo, exec_lo, s20
.LBB355_2981:                           ;   in Loop: Header=BB355_1571 Depth=1
	s_or_b32 exec_lo, exec_lo, s19
.LBB355_2982:                           ;   in Loop: Header=BB355_1571 Depth=1
	s_or_b32 exec_lo, exec_lo, s18
	s_mov_b32 s18, exec_lo
	v_cmpx_lt_u32_e32 0xffffff, v19
	s_cbranch_execz .LBB355_2990
; %bb.2983:                             ;   in Loop: Header=BB355_1571 Depth=1
	v_cmp_ne_u32_sdwa s4, v19, v97 src0_sel:BYTE_3 src1_sel:DWORD
	v_bfrev_b32_e32 v38, 1
	s_and_saveexec_b32 s19, s4
	s_cbranch_execz .LBB355_2989
; %bb.2984:                             ;   in Loop: Header=BB355_1571 Depth=1
	v_bfe_u32 v49, v19, 24, 7
	v_mov_b32_e32 v38, 0x7f800001
	s_mov_b32 s20, exec_lo
	v_cmpx_ne_u32_e32 0x7f, v49
	s_cbranch_execz .LBB355_2988
; %bb.2985:                             ;   in Loop: Header=BB355_1571 Depth=1
	v_mov_b32_e32 v10, 7
	s_mov_b32 s21, exec_lo
	v_and_b32_sdwa v10, v19, v10 dst_sel:DWORD dst_unused:UNUSED_PAD src0_sel:BYTE_3 src1_sel:DWORD
	v_mov_b32_e32 v25, v11
	v_lshrrev_b32_e32 v25, 3, v49
	v_mov_b32_e32 v24, v10
	v_cmpx_gt_u32_e32 8, v49
; %bb.2986:                             ;   in Loop: Header=BB355_1571 Depth=1
	v_ffbh_u32_e32 v24, v10
	v_min_u32_e32 v38, 32, v24
	v_subrev_nc_u32_e32 v24, 28, v38
	v_lshlrev_b64 v[24:25], v24, v[10:11]
	v_sub_nc_u32_e32 v25, 29, v38
	v_and_b32_e32 v24, 7, v24
; %bb.2987:                             ;   in Loop: Header=BB355_1571 Depth=1
	s_or_b32 exec_lo, exec_lo, s21
	v_mov_b32_e32 v10, 24
	v_lshlrev_b32_e32 v24, 20, v24
	v_lshl_add_u32 v25, v25, 23, 0x3c000000
	v_lshlrev_b32_sdwa v10, v10, v19 dst_sel:DWORD dst_unused:UNUSED_PAD src0_sel:DWORD src1_sel:BYTE_3
	v_and_b32_e32 v10, 0x80000000, v10
	v_or3_b32 v38, v24, v10, v25
.LBB355_2988:                           ;   in Loop: Header=BB355_1571 Depth=1
	s_or_b32 exec_lo, exec_lo, s20
.LBB355_2989:                           ;   in Loop: Header=BB355_1571 Depth=1
	s_or_b32 exec_lo, exec_lo, s19
.LBB355_2990:                           ;   in Loop: Header=BB355_1571 Depth=1
	s_or_b32 exec_lo, exec_lo, s18
	v_mov_b32_e32 v10, v20
	v_cmp_ne_u16_sdwa s4, v20, v11 src0_sel:BYTE_0 src1_sel:DWORD
	v_mov_b32_e32 v52, 0
	v_mov_b32_e32 v69, 0
	s_and_saveexec_b32 s18, s4
	s_cbranch_execz .LBB355_2998
; %bb.2991:                             ;   in Loop: Header=BB355_1571 Depth=1
	v_cmp_ne_u16_sdwa s4, v20, v97 src0_sel:BYTE_0 src1_sel:DWORD
	v_bfrev_b32_e32 v69, 1
	s_and_saveexec_b32 s19, s4
	s_cbranch_execz .LBB355_2997
; %bb.2992:                             ;   in Loop: Header=BB355_1571 Depth=1
	v_and_b32_e32 v49, 0x7f, v20
	v_mov_b32_e32 v69, 0x7f800001
	s_mov_b32 s20, exec_lo
	v_cmpx_ne_u32_e32 0x7f, v49
	s_cbranch_execz .LBB355_2996
; %bb.2993:                             ;   in Loop: Header=BB355_1571 Depth=1
	v_mov_b32_e32 v25, v11
	v_mov_b32_e32 v24, v10
	v_lshrrev_b32_e32 v25, 3, v49
	s_mov_b32 s21, exec_lo
	v_cmpx_gt_u32_e32 8, v49
; %bb.2994:                             ;   in Loop: Header=BB355_1571 Depth=1
	v_and_b32_e32 v24, 7, v20
	v_ffbh_u32_e32 v24, v24
	v_min_u32_e32 v49, 32, v24
	v_subrev_nc_u32_e32 v24, 28, v49
	v_lshlrev_b64 v[24:25], v24, v[10:11]
	v_sub_nc_u32_e32 v25, 29, v49
; %bb.2995:                             ;   in Loop: Header=BB355_1571 Depth=1
	s_or_b32 exec_lo, exec_lo, s21
	v_lshlrev_b32_e32 v24, 20, v24
	v_lshlrev_b32_e32 v49, 24, v10
	v_lshl_add_u32 v25, v25, 23, 0x3c000000
	v_and_b32_e32 v24, 0x700000, v24
	v_and_b32_e32 v49, 0x80000000, v49
	v_or3_b32 v69, v24, v49, v25
.LBB355_2996:                           ;   in Loop: Header=BB355_1571 Depth=1
	s_or_b32 exec_lo, exec_lo, s20
.LBB355_2997:                           ;   in Loop: Header=BB355_1571 Depth=1
	s_or_b32 exec_lo, exec_lo, s19
.LBB355_2998:                           ;   in Loop: Header=BB355_1571 Depth=1
	s_or_b32 exec_lo, exec_lo, s18
	v_cmp_ne_u16_sdwa s4, v10, v11 src0_sel:BYTE_1 src1_sel:DWORD
	s_and_saveexec_b32 s18, s4
	s_cbranch_execz .LBB355_3006
; %bb.2999:                             ;   in Loop: Header=BB355_1571 Depth=1
	v_cmp_ne_u16_sdwa s4, v10, v97 src0_sel:BYTE_1 src1_sel:DWORD
	v_bfrev_b32_e32 v52, 1
	s_and_saveexec_b32 s19, s4
	s_cbranch_execz .LBB355_3005
; %bb.3000:                             ;   in Loop: Header=BB355_1571 Depth=1
	v_mov_b32_e32 v24, 0xffff
	v_mov_b32_e32 v52, 0x7f800001
	s_mov_b32 s20, exec_lo
	v_and_b32_sdwa v24, v24, v10 dst_sel:DWORD dst_unused:UNUSED_PAD src0_sel:DWORD src1_sel:BYTE_1
	v_and_b32_e32 v68, 0x7f, v24
	v_cmpx_ne_u32_e32 0x7f, v68
	s_cbranch_execz .LBB355_3004
; %bb.3001:                             ;   in Loop: Header=BB355_1571 Depth=1
	v_and_b32_e32 v24, 7, v24
	v_mov_b32_e32 v25, v11
	v_lshrrev_b32_e32 v49, 3, v68
	s_mov_b32 s21, exec_lo
	v_cmpx_gt_u32_e32 8, v68
; %bb.3002:                             ;   in Loop: Header=BB355_1571 Depth=1
	v_ffbh_u32_e32 v49, v24
	v_min_u32_e32 v49, 32, v49
	v_subrev_nc_u32_e32 v52, 28, v49
	v_sub_nc_u32_e32 v49, 29, v49
	v_lshlrev_b64 v[24:25], v52, v[24:25]
	v_and_b32_e32 v24, 7, v24
; %bb.3003:                             ;   in Loop: Header=BB355_1571 Depth=1
	s_or_b32 exec_lo, exec_lo, s21
	v_lshlrev_b32_e32 v10, 16, v10
	v_lshlrev_b32_e32 v24, 20, v24
	v_lshl_add_u32 v25, v49, 23, 0x3c000000
	v_and_b32_e32 v10, 0x80000000, v10
	v_or3_b32 v52, v24, v10, v25
.LBB355_3004:                           ;   in Loop: Header=BB355_1571 Depth=1
	s_or_b32 exec_lo, exec_lo, s20
.LBB355_3005:                           ;   in Loop: Header=BB355_1571 Depth=1
	s_or_b32 exec_lo, exec_lo, s19
.LBB355_3006:                           ;   in Loop: Header=BB355_1571 Depth=1
	s_or_b32 exec_lo, exec_lo, s18
	v_and_b32_sdwa v10, v20, v99 dst_sel:DWORD dst_unused:UNUSED_PAD src0_sel:WORD_1 src1_sel:DWORD
	v_mov_b32_e32 v49, 0
	v_mov_b32_e32 v81, 0
	s_mov_b32 s18, exec_lo
	v_cmpx_ne_u16_e32 0, v10
	s_cbranch_execz .LBB355_3014
; %bb.3007:                             ;   in Loop: Header=BB355_1571 Depth=1
	v_bfrev_b32_e32 v81, 1
	s_mov_b32 s19, exec_lo
	v_cmpx_ne_u16_e32 0x80, v10
	s_cbranch_execz .LBB355_3013
; %bb.3008:                             ;   in Loop: Header=BB355_1571 Depth=1
	v_bfe_u32 v68, v20, 16, 7
	v_mov_b32_e32 v81, 0x7f800001
	s_mov_b32 s20, exec_lo
	v_cmpx_ne_u32_e32 0x7f, v68
	s_cbranch_execz .LBB355_3012
; %bb.3009:                             ;   in Loop: Header=BB355_1571 Depth=1
	v_mov_b32_e32 v10, 7
	s_mov_b32 s21, exec_lo
	v_and_b32_sdwa v10, v20, v10 dst_sel:DWORD dst_unused:UNUSED_PAD src0_sel:WORD_1 src1_sel:DWORD
	v_mov_b32_e32 v25, v11
	v_lshrrev_b32_e32 v25, 3, v68
	v_mov_b32_e32 v24, v10
	v_cmpx_gt_u32_e32 8, v68
; %bb.3010:                             ;   in Loop: Header=BB355_1571 Depth=1
	v_ffbh_u32_e32 v24, v10
	v_min_u32_e32 v68, 32, v24
	v_subrev_nc_u32_e32 v24, 28, v68
	v_lshlrev_b64 v[24:25], v24, v[10:11]
	v_sub_nc_u32_e32 v25, 29, v68
	v_and_b32_e32 v24, 7, v24
; %bb.3011:                             ;   in Loop: Header=BB355_1571 Depth=1
	s_or_b32 exec_lo, exec_lo, s21
	v_mov_b32_e32 v10, 24
	v_lshlrev_b32_e32 v24, 20, v24
	v_lshl_add_u32 v25, v25, 23, 0x3c000000
	v_lshlrev_b32_sdwa v10, v10, v20 dst_sel:DWORD dst_unused:UNUSED_PAD src0_sel:DWORD src1_sel:WORD_1
	v_and_b32_e32 v10, 0x80000000, v10
	v_or3_b32 v81, v24, v10, v25
.LBB355_3012:                           ;   in Loop: Header=BB355_1571 Depth=1
	s_or_b32 exec_lo, exec_lo, s20
.LBB355_3013:                           ;   in Loop: Header=BB355_1571 Depth=1
	s_or_b32 exec_lo, exec_lo, s19
.LBB355_3014:                           ;   in Loop: Header=BB355_1571 Depth=1
	s_or_b32 exec_lo, exec_lo, s18
	s_mov_b32 s18, exec_lo
	v_cmpx_lt_u64_e64 s[6:7], v[19:20]
	s_cbranch_execz .LBB355_3022
; %bb.3015:                             ;   in Loop: Header=BB355_1571 Depth=1
	v_cmp_ne_u32_sdwa s4, v20, v97 src0_sel:BYTE_3 src1_sel:DWORD
	v_bfrev_b32_e32 v49, 1
	s_and_saveexec_b32 s19, s4
	s_cbranch_execz .LBB355_3021
; %bb.3016:                             ;   in Loop: Header=BB355_1571 Depth=1
	v_bfe_u32 v68, v20, 24, 7
	v_mov_b32_e32 v49, 0x7f800001
	s_mov_b32 s20, exec_lo
	v_cmpx_ne_u32_e32 0x7f, v68
	s_cbranch_execz .LBB355_3020
; %bb.3017:                             ;   in Loop: Header=BB355_1571 Depth=1
	v_mov_b32_e32 v10, 7
	v_lshrrev_b32_e32 v19, 3, v68
	s_mov_b32 s21, exec_lo
	v_and_b32_sdwa v10, v20, v10 dst_sel:DWORD dst_unused:UNUSED_PAD src0_sel:BYTE_3 src1_sel:DWORD
	v_mov_b32_e32 v25, v11
	v_mov_b32_e32 v24, v10
	v_cmpx_gt_u32_e32 8, v68
; %bb.3018:                             ;   in Loop: Header=BB355_1571 Depth=1
	v_ffbh_u32_e32 v19, v10
	v_min_u32_e32 v19, 32, v19
	v_subrev_nc_u32_e32 v24, 28, v19
	v_sub_nc_u32_e32 v19, 29, v19
	v_lshlrev_b64 v[24:25], v24, v[10:11]
	v_and_b32_e32 v24, 7, v24
; %bb.3019:                             ;   in Loop: Header=BB355_1571 Depth=1
	s_or_b32 exec_lo, exec_lo, s21
	v_mov_b32_e32 v10, 24
	v_lshl_add_u32 v19, v19, 23, 0x3c000000
	v_lshlrev_b32_sdwa v10, v10, v20 dst_sel:DWORD dst_unused:UNUSED_PAD src0_sel:DWORD src1_sel:BYTE_3
	v_lshlrev_b32_e32 v20, 20, v24
	v_and_b32_e32 v10, 0x80000000, v10
	v_or3_b32 v49, v20, v10, v19
.LBB355_3020:                           ;   in Loop: Header=BB355_1571 Depth=1
	s_or_b32 exec_lo, exec_lo, s20
.LBB355_3021:                           ;   in Loop: Header=BB355_1571 Depth=1
	s_or_b32 exec_lo, exec_lo, s19
.LBB355_3022:                           ;   in Loop: Header=BB355_1571 Depth=1
	s_or_b32 exec_lo, exec_lo, s18
	v_mul_f32_e32 v10, v111, v52
	v_bfe_u32 v19, v10, 16, 1
	v_or_b32_e32 v20, 0x400000, v10
	v_cmp_u_f32_e64 s4, v10, v10
	v_add3_u32 v19, v19, v10, 0x7fff
	v_cndmask_b32_e64 v10, v19, v20, s4
	v_lshrrev_b32_e32 v68, 16, v10
	v_mul_f32_e32 v10, v111, v69
	v_bfe_u32 v19, v10, 16, 1
	v_or_b32_e32 v20, 0x400000, v10
	v_cmp_u_f32_e64 s4, v10, v10
	v_add3_u32 v19, v19, v10, 0x7fff
	v_cndmask_b32_e64 v10, v19, v20, s4
	v_lshrrev_b32_e32 v69, 16, v10
	;; [unrolled: 7-line block ×8, first 2 shown]
	s_and_saveexec_b32 s18, vcc_lo
	s_cbranch_execz .LBB355_3024
; %bb.3023:                             ;   in Loop: Header=BB355_1571 Depth=1
	v_cmp_lt_i32_e64 s4, v109, v123
	v_cndmask_b32_e64 v82, 0, v82, s4
	v_cmp_lt_i32_e64 s4, v74, v123
	v_cndmask_b32_e64 v80, 0, v80, s4
	v_cmp_lt_i32_e64 s4, v35, v123
	v_cndmask_b32_e64 v71, 0, v71, s4
	v_cmp_lt_i32_e64 s4, v126, v123
	v_cndmask_b32_e64 v52, 0, v52, s4
	v_cmp_lt_i32_e64 s4, v125, v123
	v_cndmask_b32_e64 v69, 0, v69, s4
	v_cmp_lt_i32_e64 s4, v124, v123
	v_cndmask_b32_e64 v68, 0, v68, s4
	v_cmp_lt_i32_e64 s4, v72, v123
	v_cndmask_b32_e64 v81, 0, v81, s4
	v_cmp_lt_i32_e64 s4, v122, v123
	v_cndmask_b32_e64 v83, 0, v83, s4
.LBB355_3024:                           ;   in Loop: Header=BB355_1571 Depth=1
	s_or_b32 exec_lo, exec_lo, s18
	flat_load_dwordx2 v[19:20], v[16:17] offset:1536
	v_mov_b32_e32 v37, 0
	v_mov_b32_e32 v36, 0
	s_waitcnt vmcnt(0) lgkmcnt(0)
	v_cmp_ne_u16_sdwa s4, v19, v11 src0_sel:BYTE_0 src1_sel:DWORD
	s_and_saveexec_b32 s18, s4
	s_cbranch_execz .LBB355_3032
; %bb.3025:                             ;   in Loop: Header=BB355_1571 Depth=1
	v_cmp_ne_u16_sdwa s4, v19, v97 src0_sel:BYTE_0 src1_sel:DWORD
	v_bfrev_b32_e32 v36, 1
	s_and_saveexec_b32 s19, s4
	s_cbranch_execz .LBB355_3031
; %bb.3026:                             ;   in Loop: Header=BB355_1571 Depth=1
	v_and_b32_e32 v12, 0x7f, v19
	v_mov_b32_e32 v36, 0x7f800001
	s_mov_b32 s20, exec_lo
	v_cmpx_ne_u32_e32 0x7f, v12
	s_cbranch_execz .LBB355_3030
; %bb.3027:                             ;   in Loop: Header=BB355_1571 Depth=1
	v_mov_b32_e32 v25, v20
	v_lshrrev_b32_e32 v10, 3, v12
	v_mov_b32_e32 v24, v19
	s_mov_b32 s21, exec_lo
	v_cmpx_gt_u32_e32 8, v12
; %bb.3028:                             ;   in Loop: Header=BB355_1571 Depth=1
	v_and_b32_e32 v10, 7, v19
	v_ffbh_u32_e32 v10, v10
	v_min_u32_e32 v10, 32, v10
	v_subrev_nc_u32_e32 v12, 28, v10
	v_sub_nc_u32_e32 v10, 29, v10
	v_lshlrev_b64 v[24:25], v12, v[19:20]
; %bb.3029:                             ;   in Loop: Header=BB355_1571 Depth=1
	s_or_b32 exec_lo, exec_lo, s21
	v_lshlrev_b32_e32 v12, 20, v24
	v_lshlrev_b32_e32 v24, 24, v19
	v_lshl_add_u32 v10, v10, 23, 0x3c000000
	v_and_b32_e32 v12, 0x700000, v12
	v_and_b32_e32 v24, 0x80000000, v24
	v_or3_b32 v36, v12, v24, v10
.LBB355_3030:                           ;   in Loop: Header=BB355_1571 Depth=1
	s_or_b32 exec_lo, exec_lo, s20
.LBB355_3031:                           ;   in Loop: Header=BB355_1571 Depth=1
	s_or_b32 exec_lo, exec_lo, s19
.LBB355_3032:                           ;   in Loop: Header=BB355_1571 Depth=1
	s_or_b32 exec_lo, exec_lo, s18
	v_cmp_ne_u16_sdwa s4, v19, v11 src0_sel:BYTE_1 src1_sel:DWORD
	s_and_saveexec_b32 s18, s4
	s_cbranch_execz .LBB355_3040
; %bb.3033:                             ;   in Loop: Header=BB355_1571 Depth=1
	v_cmp_ne_u16_sdwa s4, v19, v97 src0_sel:BYTE_1 src1_sel:DWORD
	v_bfrev_b32_e32 v37, 1
	s_and_saveexec_b32 s19, s4
	s_cbranch_execz .LBB355_3039
; %bb.3034:                             ;   in Loop: Header=BB355_1571 Depth=1
	v_mov_b32_e32 v10, 0xffff
	v_mov_b32_e32 v37, 0x7f800001
	s_mov_b32 s20, exec_lo
	v_and_b32_sdwa v10, v10, v19 dst_sel:DWORD dst_unused:UNUSED_PAD src0_sel:DWORD src1_sel:BYTE_1
	v_and_b32_e32 v38, 0x7f, v10
	v_cmpx_ne_u32_e32 0x7f, v38
	s_cbranch_execz .LBB355_3038
; %bb.3035:                             ;   in Loop: Header=BB355_1571 Depth=1
	v_and_b32_e32 v10, 7, v10
	v_mov_b32_e32 v25, v11
	v_lshrrev_b32_e32 v12, 3, v38
	s_mov_b32 s21, exec_lo
	v_mov_b32_e32 v24, v10
	v_cmpx_gt_u32_e32 8, v38
; %bb.3036:                             ;   in Loop: Header=BB355_1571 Depth=1
	v_ffbh_u32_e32 v12, v10
	v_min_u32_e32 v12, 32, v12
	v_subrev_nc_u32_e32 v24, 28, v12
	v_sub_nc_u32_e32 v12, 29, v12
	v_lshlrev_b64 v[24:25], v24, v[10:11]
	v_and_b32_e32 v24, 7, v24
; %bb.3037:                             ;   in Loop: Header=BB355_1571 Depth=1
	s_or_b32 exec_lo, exec_lo, s21
	v_lshlrev_b32_e32 v10, 16, v19
	v_lshlrev_b32_e32 v24, 20, v24
	v_lshl_add_u32 v12, v12, 23, 0x3c000000
	v_and_b32_e32 v10, 0x80000000, v10
	v_or3_b32 v37, v24, v10, v12
.LBB355_3038:                           ;   in Loop: Header=BB355_1571 Depth=1
	s_or_b32 exec_lo, exec_lo, s20
.LBB355_3039:                           ;   in Loop: Header=BB355_1571 Depth=1
	s_or_b32 exec_lo, exec_lo, s19
.LBB355_3040:                           ;   in Loop: Header=BB355_1571 Depth=1
	s_or_b32 exec_lo, exec_lo, s18
	v_and_b32_sdwa v10, v19, v99 dst_sel:DWORD dst_unused:UNUSED_PAD src0_sel:WORD_1 src1_sel:DWORD
	v_mov_b32_e32 v12, 0
	v_mov_b32_e32 v38, 0
	s_mov_b32 s18, exec_lo
	v_cmpx_ne_u16_e32 0, v10
	s_cbranch_execz .LBB355_3048
; %bb.3041:                             ;   in Loop: Header=BB355_1571 Depth=1
	v_bfrev_b32_e32 v38, 1
	s_mov_b32 s19, exec_lo
	v_cmpx_ne_u16_e32 0x80, v10
	s_cbranch_execz .LBB355_3047
; %bb.3042:                             ;   in Loop: Header=BB355_1571 Depth=1
	v_bfe_u32 v49, v19, 16, 7
	v_mov_b32_e32 v38, 0x7f800001
	s_mov_b32 s20, exec_lo
	v_cmpx_ne_u32_e32 0x7f, v49
	s_cbranch_execz .LBB355_3046
; %bb.3043:                             ;   in Loop: Header=BB355_1571 Depth=1
	v_mov_b32_e32 v10, 7
	s_mov_b32 s21, exec_lo
	v_and_b32_sdwa v10, v19, v10 dst_sel:DWORD dst_unused:UNUSED_PAD src0_sel:WORD_1 src1_sel:DWORD
	v_mov_b32_e32 v25, v11
	v_lshrrev_b32_e32 v25, 3, v49
	v_mov_b32_e32 v24, v10
	v_cmpx_gt_u32_e32 8, v49
; %bb.3044:                             ;   in Loop: Header=BB355_1571 Depth=1
	v_ffbh_u32_e32 v24, v10
	v_min_u32_e32 v38, 32, v24
	v_subrev_nc_u32_e32 v24, 28, v38
	v_lshlrev_b64 v[24:25], v24, v[10:11]
	v_sub_nc_u32_e32 v25, 29, v38
	v_and_b32_e32 v24, 7, v24
; %bb.3045:                             ;   in Loop: Header=BB355_1571 Depth=1
	s_or_b32 exec_lo, exec_lo, s21
	v_mov_b32_e32 v10, 24
	v_lshlrev_b32_e32 v24, 20, v24
	v_lshl_add_u32 v25, v25, 23, 0x3c000000
	v_lshlrev_b32_sdwa v10, v10, v19 dst_sel:DWORD dst_unused:UNUSED_PAD src0_sel:DWORD src1_sel:WORD_1
	v_and_b32_e32 v10, 0x80000000, v10
	v_or3_b32 v38, v24, v10, v25
.LBB355_3046:                           ;   in Loop: Header=BB355_1571 Depth=1
	s_or_b32 exec_lo, exec_lo, s20
.LBB355_3047:                           ;   in Loop: Header=BB355_1571 Depth=1
	s_or_b32 exec_lo, exec_lo, s19
.LBB355_3048:                           ;   in Loop: Header=BB355_1571 Depth=1
	s_or_b32 exec_lo, exec_lo, s18
	s_mov_b32 s18, exec_lo
	v_cmpx_lt_u32_e32 0xffffff, v19
	s_cbranch_execz .LBB355_3056
; %bb.3049:                             ;   in Loop: Header=BB355_1571 Depth=1
	v_cmp_ne_u32_sdwa s4, v19, v97 src0_sel:BYTE_3 src1_sel:DWORD
	v_bfrev_b32_e32 v12, 1
	s_and_saveexec_b32 s19, s4
	s_cbranch_execz .LBB355_3055
; %bb.3050:                             ;   in Loop: Header=BB355_1571 Depth=1
	v_bfe_u32 v49, v19, 24, 7
	v_mov_b32_e32 v12, 0x7f800001
	s_mov_b32 s20, exec_lo
	v_cmpx_ne_u32_e32 0x7f, v49
	s_cbranch_execz .LBB355_3054
; %bb.3051:                             ;   in Loop: Header=BB355_1571 Depth=1
	v_mov_b32_e32 v10, 7
	v_lshrrev_b32_e32 v12, 3, v49
	s_mov_b32 s21, exec_lo
	v_and_b32_sdwa v10, v19, v10 dst_sel:DWORD dst_unused:UNUSED_PAD src0_sel:BYTE_3 src1_sel:DWORD
	v_mov_b32_e32 v25, v11
	v_mov_b32_e32 v24, v10
	v_cmpx_gt_u32_e32 8, v49
; %bb.3052:                             ;   in Loop: Header=BB355_1571 Depth=1
	v_ffbh_u32_e32 v12, v10
	v_min_u32_e32 v12, 32, v12
	v_subrev_nc_u32_e32 v24, 28, v12
	v_sub_nc_u32_e32 v12, 29, v12
	v_lshlrev_b64 v[24:25], v24, v[10:11]
	v_and_b32_e32 v24, 7, v24
; %bb.3053:                             ;   in Loop: Header=BB355_1571 Depth=1
	s_or_b32 exec_lo, exec_lo, s21
	v_mov_b32_e32 v10, 24
	v_lshlrev_b32_e32 v24, 20, v24
	v_lshl_add_u32 v12, v12, 23, 0x3c000000
	v_lshlrev_b32_sdwa v10, v10, v19 dst_sel:DWORD dst_unused:UNUSED_PAD src0_sel:DWORD src1_sel:BYTE_3
	v_and_b32_e32 v10, 0x80000000, v10
	v_or3_b32 v12, v24, v10, v12
.LBB355_3054:                           ;   in Loop: Header=BB355_1571 Depth=1
	s_or_b32 exec_lo, exec_lo, s20
.LBB355_3055:                           ;   in Loop: Header=BB355_1571 Depth=1
	s_or_b32 exec_lo, exec_lo, s19
.LBB355_3056:                           ;   in Loop: Header=BB355_1571 Depth=1
	s_or_b32 exec_lo, exec_lo, s18
	v_mov_b32_e32 v10, v20
	v_cmp_ne_u16_sdwa s4, v20, v11 src0_sel:BYTE_0 src1_sel:DWORD
	v_mov_b32_e32 v84, 0
	v_mov_b32_e32 v49, 0
	s_and_saveexec_b32 s18, s4
	s_cbranch_execz .LBB355_3064
; %bb.3057:                             ;   in Loop: Header=BB355_1571 Depth=1
	v_cmp_ne_u16_sdwa s4, v20, v97 src0_sel:BYTE_0 src1_sel:DWORD
	v_bfrev_b32_e32 v49, 1
	s_and_saveexec_b32 s19, s4
	s_cbranch_execz .LBB355_3063
; %bb.3058:                             ;   in Loop: Header=BB355_1571 Depth=1
	v_and_b32_e32 v85, 0x7f, v20
	v_mov_b32_e32 v49, 0x7f800001
	s_mov_b32 s20, exec_lo
	v_cmpx_ne_u32_e32 0x7f, v85
	s_cbranch_execz .LBB355_3062
; %bb.3059:                             ;   in Loop: Header=BB355_1571 Depth=1
	v_mov_b32_e32 v25, v11
	v_mov_b32_e32 v24, v10
	v_lshrrev_b32_e32 v25, 3, v85
	s_mov_b32 s21, exec_lo
	v_cmpx_gt_u32_e32 8, v85
; %bb.3060:                             ;   in Loop: Header=BB355_1571 Depth=1
	v_and_b32_e32 v24, 7, v20
	v_ffbh_u32_e32 v24, v24
	v_min_u32_e32 v49, 32, v24
	v_subrev_nc_u32_e32 v24, 28, v49
	v_lshlrev_b64 v[24:25], v24, v[10:11]
	v_sub_nc_u32_e32 v25, 29, v49
; %bb.3061:                             ;   in Loop: Header=BB355_1571 Depth=1
	s_or_b32 exec_lo, exec_lo, s21
	v_lshlrev_b32_e32 v24, 20, v24
	v_lshlrev_b32_e32 v49, 24, v10
	v_lshl_add_u32 v25, v25, 23, 0x3c000000
	v_and_b32_e32 v24, 0x700000, v24
	v_and_b32_e32 v49, 0x80000000, v49
	v_or3_b32 v49, v24, v49, v25
.LBB355_3062:                           ;   in Loop: Header=BB355_1571 Depth=1
	s_or_b32 exec_lo, exec_lo, s20
.LBB355_3063:                           ;   in Loop: Header=BB355_1571 Depth=1
	s_or_b32 exec_lo, exec_lo, s19
.LBB355_3064:                           ;   in Loop: Header=BB355_1571 Depth=1
	s_or_b32 exec_lo, exec_lo, s18
	v_cmp_ne_u16_sdwa s4, v10, v11 src0_sel:BYTE_1 src1_sel:DWORD
	s_and_saveexec_b32 s18, s4
	s_cbranch_execz .LBB355_3072
; %bb.3065:                             ;   in Loop: Header=BB355_1571 Depth=1
	v_cmp_ne_u16_sdwa s4, v10, v97 src0_sel:BYTE_1 src1_sel:DWORD
	v_bfrev_b32_e32 v84, 1
	s_and_saveexec_b32 s19, s4
	s_cbranch_execz .LBB355_3071
; %bb.3066:                             ;   in Loop: Header=BB355_1571 Depth=1
	v_mov_b32_e32 v24, 0xffff
	v_mov_b32_e32 v84, 0x7f800001
	s_mov_b32 s20, exec_lo
	v_and_b32_sdwa v24, v24, v10 dst_sel:DWORD dst_unused:UNUSED_PAD src0_sel:DWORD src1_sel:BYTE_1
	v_and_b32_e32 v85, 0x7f, v24
	v_cmpx_ne_u32_e32 0x7f, v85
	s_cbranch_execz .LBB355_3070
; %bb.3067:                             ;   in Loop: Header=BB355_1571 Depth=1
	v_and_b32_e32 v24, 7, v24
	v_mov_b32_e32 v25, v11
	v_lshrrev_b32_e32 v84, 3, v85
	s_mov_b32 s21, exec_lo
	v_cmpx_gt_u32_e32 8, v85
; %bb.3068:                             ;   in Loop: Header=BB355_1571 Depth=1
	v_ffbh_u32_e32 v84, v24
	v_min_u32_e32 v84, 32, v84
	v_subrev_nc_u32_e32 v85, 28, v84
	v_sub_nc_u32_e32 v84, 29, v84
	v_lshlrev_b64 v[24:25], v85, v[24:25]
	v_and_b32_e32 v24, 7, v24
; %bb.3069:                             ;   in Loop: Header=BB355_1571 Depth=1
	s_or_b32 exec_lo, exec_lo, s21
	v_lshlrev_b32_e32 v10, 16, v10
	v_lshlrev_b32_e32 v24, 20, v24
	v_lshl_add_u32 v25, v84, 23, 0x3c000000
	v_and_b32_e32 v10, 0x80000000, v10
	v_or3_b32 v84, v24, v10, v25
.LBB355_3070:                           ;   in Loop: Header=BB355_1571 Depth=1
	s_or_b32 exec_lo, exec_lo, s20
.LBB355_3071:                           ;   in Loop: Header=BB355_1571 Depth=1
	s_or_b32 exec_lo, exec_lo, s19
.LBB355_3072:                           ;   in Loop: Header=BB355_1571 Depth=1
	s_or_b32 exec_lo, exec_lo, s18
	v_and_b32_sdwa v10, v20, v99 dst_sel:DWORD dst_unused:UNUSED_PAD src0_sel:WORD_1 src1_sel:DWORD
	v_mov_b32_e32 v101, 0
	v_mov_b32_e32 v98, 0
	s_mov_b32 s18, exec_lo
	v_cmpx_ne_u16_e32 0, v10
	s_cbranch_execz .LBB355_3080
; %bb.3073:                             ;   in Loop: Header=BB355_1571 Depth=1
	v_bfrev_b32_e32 v98, 1
	s_mov_b32 s19, exec_lo
	v_cmpx_ne_u16_e32 0x80, v10
	s_cbranch_execz .LBB355_3079
; %bb.3074:                             ;   in Loop: Header=BB355_1571 Depth=1
	v_bfe_u32 v85, v20, 16, 7
	v_mov_b32_e32 v98, 0x7f800001
	s_mov_b32 s20, exec_lo
	v_cmpx_ne_u32_e32 0x7f, v85
	s_cbranch_execz .LBB355_3078
; %bb.3075:                             ;   in Loop: Header=BB355_1571 Depth=1
	v_mov_b32_e32 v10, 7
	s_mov_b32 s21, exec_lo
	v_and_b32_sdwa v10, v20, v10 dst_sel:DWORD dst_unused:UNUSED_PAD src0_sel:WORD_1 src1_sel:DWORD
	v_mov_b32_e32 v25, v11
	v_lshrrev_b32_e32 v25, 3, v85
	v_mov_b32_e32 v24, v10
	v_cmpx_gt_u32_e32 8, v85
; %bb.3076:                             ;   in Loop: Header=BB355_1571 Depth=1
	v_ffbh_u32_e32 v24, v10
	v_min_u32_e32 v85, 32, v24
	v_subrev_nc_u32_e32 v24, 28, v85
	v_lshlrev_b64 v[24:25], v24, v[10:11]
	v_sub_nc_u32_e32 v25, 29, v85
	v_and_b32_e32 v24, 7, v24
; %bb.3077:                             ;   in Loop: Header=BB355_1571 Depth=1
	s_or_b32 exec_lo, exec_lo, s21
	v_mov_b32_e32 v10, 24
	v_lshlrev_b32_e32 v24, 20, v24
	v_lshl_add_u32 v25, v25, 23, 0x3c000000
	v_lshlrev_b32_sdwa v10, v10, v20 dst_sel:DWORD dst_unused:UNUSED_PAD src0_sel:DWORD src1_sel:WORD_1
	v_and_b32_e32 v10, 0x80000000, v10
	v_or3_b32 v98, v24, v10, v25
.LBB355_3078:                           ;   in Loop: Header=BB355_1571 Depth=1
	s_or_b32 exec_lo, exec_lo, s20
.LBB355_3079:                           ;   in Loop: Header=BB355_1571 Depth=1
	s_or_b32 exec_lo, exec_lo, s19
.LBB355_3080:                           ;   in Loop: Header=BB355_1571 Depth=1
	s_or_b32 exec_lo, exec_lo, s18
	s_mov_b32 s18, exec_lo
	v_cmpx_lt_u64_e64 s[6:7], v[19:20]
	s_cbranch_execz .LBB355_3088
; %bb.3081:                             ;   in Loop: Header=BB355_1571 Depth=1
	v_cmp_ne_u32_sdwa s4, v20, v97 src0_sel:BYTE_3 src1_sel:DWORD
	v_bfrev_b32_e32 v101, 1
	s_and_saveexec_b32 s19, s4
	s_cbranch_execz .LBB355_3087
; %bb.3082:                             ;   in Loop: Header=BB355_1571 Depth=1
	v_bfe_u32 v85, v20, 24, 7
	v_mov_b32_e32 v101, 0x7f800001
	s_mov_b32 s20, exec_lo
	v_cmpx_ne_u32_e32 0x7f, v85
	s_cbranch_execz .LBB355_3086
; %bb.3083:                             ;   in Loop: Header=BB355_1571 Depth=1
	v_mov_b32_e32 v10, 7
	v_lshrrev_b32_e32 v19, 3, v85
	s_mov_b32 s21, exec_lo
	v_and_b32_sdwa v10, v20, v10 dst_sel:DWORD dst_unused:UNUSED_PAD src0_sel:BYTE_3 src1_sel:DWORD
	v_mov_b32_e32 v25, v11
	v_mov_b32_e32 v24, v10
	v_cmpx_gt_u32_e32 8, v85
; %bb.3084:                             ;   in Loop: Header=BB355_1571 Depth=1
	v_ffbh_u32_e32 v19, v10
	v_min_u32_e32 v19, 32, v19
	v_subrev_nc_u32_e32 v24, 28, v19
	v_sub_nc_u32_e32 v19, 29, v19
	v_lshlrev_b64 v[24:25], v24, v[10:11]
	v_and_b32_e32 v24, 7, v24
; %bb.3085:                             ;   in Loop: Header=BB355_1571 Depth=1
	s_or_b32 exec_lo, exec_lo, s21
	v_mov_b32_e32 v10, 24
	v_lshl_add_u32 v19, v19, 23, 0x3c000000
	v_lshlrev_b32_sdwa v10, v10, v20 dst_sel:DWORD dst_unused:UNUSED_PAD src0_sel:DWORD src1_sel:BYTE_3
	v_lshlrev_b32_e32 v20, 20, v24
	v_and_b32_e32 v10, 0x80000000, v10
	v_or3_b32 v101, v20, v10, v19
.LBB355_3086:                           ;   in Loop: Header=BB355_1571 Depth=1
	s_or_b32 exec_lo, exec_lo, s20
.LBB355_3087:                           ;   in Loop: Header=BB355_1571 Depth=1
	s_or_b32 exec_lo, exec_lo, s19
.LBB355_3088:                           ;   in Loop: Header=BB355_1571 Depth=1
	s_or_b32 exec_lo, exec_lo, s18
	v_mul_f32_e32 v10, v111, v84
	v_bfe_u32 v19, v10, 16, 1
	v_or_b32_e32 v20, 0x400000, v10
	v_cmp_u_f32_e64 s4, v10, v10
	v_add3_u32 v19, v19, v10, 0x7fff
	v_cndmask_b32_e64 v10, v19, v20, s4
	v_lshrrev_b32_e32 v84, 16, v10
	v_mul_f32_e32 v10, v111, v49
	v_bfe_u32 v19, v10, 16, 1
	v_or_b32_e32 v20, 0x400000, v10
	v_cmp_u_f32_e64 s4, v10, v10
	v_add3_u32 v19, v19, v10, 0x7fff
	v_cndmask_b32_e64 v10, v19, v20, s4
	v_lshrrev_b32_e32 v85, 16, v10
	;; [unrolled: 7-line block ×8, first 2 shown]
	s_and_saveexec_b32 s18, vcc_lo
	s_cbranch_execz .LBB355_3090
; %bb.3089:                             ;   in Loop: Header=BB355_1571 Depth=1
	v_cmp_lt_i32_e64 s4, v109, v123
	v_cndmask_b32_e64 v100, 0, v100, s4
	v_cmp_lt_i32_e64 s4, v74, v123
	v_cndmask_b32_e64 v38, 0, v38, s4
	;; [unrolled: 2-line block ×8, first 2 shown]
.LBB355_3090:                           ;   in Loop: Header=BB355_1571 Depth=1
	s_or_b32 exec_lo, exec_lo, s18
	flat_load_dwordx2 v[16:17], v[16:17] offset:1792
	v_mov_b32_e32 v25, 0
	v_mov_b32_e32 v24, 0
	s_waitcnt vmcnt(0) lgkmcnt(0)
	v_cmp_ne_u16_sdwa s4, v16, v11 src0_sel:BYTE_0 src1_sel:DWORD
	s_and_saveexec_b32 s18, s4
	s_cbranch_execz .LBB355_3098
; %bb.3091:                             ;   in Loop: Header=BB355_1571 Depth=1
	v_cmp_ne_u16_sdwa s4, v16, v97 src0_sel:BYTE_0 src1_sel:DWORD
	v_bfrev_b32_e32 v24, 1
	s_and_saveexec_b32 s19, s4
	s_cbranch_execz .LBB355_3097
; %bb.3092:                             ;   in Loop: Header=BB355_1571 Depth=1
	v_and_b32_e32 v19, 0x7f, v16
	v_mov_b32_e32 v24, 0x7f800001
	s_mov_b32 s20, exec_lo
	v_cmpx_ne_u32_e32 0x7f, v19
	s_cbranch_execz .LBB355_3096
; %bb.3093:                             ;   in Loop: Header=BB355_1571 Depth=1
	v_lshrrev_b32_e32 v10, 3, v19
	v_cmp_gt_u32_e64 s4, 8, v19
	v_mov_b32_e32 v20, v17
	v_mov_b32_e32 v19, v16
	s_and_saveexec_b32 s21, s4
; %bb.3094:                             ;   in Loop: Header=BB355_1571 Depth=1
	v_and_b32_e32 v10, 7, v16
	v_ffbh_u32_e32 v10, v10
	v_min_u32_e32 v10, 32, v10
	v_subrev_nc_u32_e32 v19, 28, v10
	v_sub_nc_u32_e32 v10, 29, v10
	v_lshlrev_b64 v[19:20], v19, v[16:17]
; %bb.3095:                             ;   in Loop: Header=BB355_1571 Depth=1
	s_or_b32 exec_lo, exec_lo, s21
	v_lshlrev_b32_e32 v19, 20, v19
	v_lshlrev_b32_e32 v20, 24, v16
	v_lshl_add_u32 v10, v10, 23, 0x3c000000
	v_and_b32_e32 v19, 0x700000, v19
	v_and_b32_e32 v20, 0x80000000, v20
	v_or3_b32 v24, v19, v20, v10
.LBB355_3096:                           ;   in Loop: Header=BB355_1571 Depth=1
	s_or_b32 exec_lo, exec_lo, s20
.LBB355_3097:                           ;   in Loop: Header=BB355_1571 Depth=1
	s_or_b32 exec_lo, exec_lo, s19
.LBB355_3098:                           ;   in Loop: Header=BB355_1571 Depth=1
	s_or_b32 exec_lo, exec_lo, s18
	v_cmp_ne_u16_sdwa s4, v16, v11 src0_sel:BYTE_1 src1_sel:DWORD
	s_and_saveexec_b32 s18, s4
	s_cbranch_execz .LBB355_3106
; %bb.3099:                             ;   in Loop: Header=BB355_1571 Depth=1
	v_cmp_ne_u16_sdwa s4, v16, v97 src0_sel:BYTE_1 src1_sel:DWORD
	v_bfrev_b32_e32 v25, 1
	s_and_saveexec_b32 s19, s4
	s_cbranch_execz .LBB355_3105
; %bb.3100:                             ;   in Loop: Header=BB355_1571 Depth=1
	v_mov_b32_e32 v10, 0xffff
	v_mov_b32_e32 v25, 0x7f800001
	s_mov_b32 s20, exec_lo
	v_and_b32_sdwa v10, v10, v16 dst_sel:DWORD dst_unused:UNUSED_PAD src0_sel:DWORD src1_sel:BYTE_1
	v_and_b32_e32 v36, 0x7f, v10
	v_cmpx_ne_u32_e32 0x7f, v36
	s_cbranch_execz .LBB355_3104
; %bb.3101:                             ;   in Loop: Header=BB355_1571 Depth=1
	v_and_b32_e32 v10, 7, v10
	v_mov_b32_e32 v20, v11
	v_lshrrev_b32_e32 v20, 3, v36
	s_mov_b32 s21, exec_lo
	v_mov_b32_e32 v19, v10
	v_cmpx_gt_u32_e32 8, v36
; %bb.3102:                             ;   in Loop: Header=BB355_1571 Depth=1
	v_ffbh_u32_e32 v19, v10
	v_min_u32_e32 v25, 32, v19
	v_subrev_nc_u32_e32 v19, 28, v25
	v_lshlrev_b64 v[19:20], v19, v[10:11]
	v_sub_nc_u32_e32 v20, 29, v25
	v_and_b32_e32 v19, 7, v19
; %bb.3103:                             ;   in Loop: Header=BB355_1571 Depth=1
	s_or_b32 exec_lo, exec_lo, s21
	v_lshlrev_b32_e32 v10, 16, v16
	v_lshlrev_b32_e32 v19, 20, v19
	v_lshl_add_u32 v20, v20, 23, 0x3c000000
	v_and_b32_e32 v10, 0x80000000, v10
	v_or3_b32 v25, v19, v10, v20
.LBB355_3104:                           ;   in Loop: Header=BB355_1571 Depth=1
	s_or_b32 exec_lo, exec_lo, s20
.LBB355_3105:                           ;   in Loop: Header=BB355_1571 Depth=1
	s_or_b32 exec_lo, exec_lo, s19
.LBB355_3106:                           ;   in Loop: Header=BB355_1571 Depth=1
	s_or_b32 exec_lo, exec_lo, s18
	v_and_b32_sdwa v10, v16, v99 dst_sel:DWORD dst_unused:UNUSED_PAD src0_sel:WORD_1 src1_sel:DWORD
	v_mov_b32_e32 v37, 0
	v_mov_b32_e32 v36, 0
	s_mov_b32 s18, exec_lo
	v_cmpx_ne_u16_e32 0, v10
	s_cbranch_execz .LBB355_3114
; %bb.3107:                             ;   in Loop: Header=BB355_1571 Depth=1
	v_bfrev_b32_e32 v36, 1
	s_mov_b32 s19, exec_lo
	v_cmpx_ne_u16_e32 0x80, v10
	s_cbranch_execz .LBB355_3113
; %bb.3108:                             ;   in Loop: Header=BB355_1571 Depth=1
	v_bfe_u32 v112, v16, 16, 7
	v_mov_b32_e32 v36, 0x7f800001
	s_mov_b32 s20, exec_lo
	v_cmpx_ne_u32_e32 0x7f, v112
	s_cbranch_execz .LBB355_3112
; %bb.3109:                             ;   in Loop: Header=BB355_1571 Depth=1
	v_mov_b32_e32 v10, 7
	s_mov_b32 s21, exec_lo
	v_and_b32_sdwa v10, v16, v10 dst_sel:DWORD dst_unused:UNUSED_PAD src0_sel:WORD_1 src1_sel:DWORD
	v_mov_b32_e32 v20, v11
	v_lshrrev_b32_e32 v20, 3, v112
	v_mov_b32_e32 v19, v10
	v_cmpx_gt_u32_e32 8, v112
; %bb.3110:                             ;   in Loop: Header=BB355_1571 Depth=1
	v_ffbh_u32_e32 v19, v10
	v_min_u32_e32 v36, 32, v19
	v_subrev_nc_u32_e32 v19, 28, v36
	v_lshlrev_b64 v[19:20], v19, v[10:11]
	v_sub_nc_u32_e32 v20, 29, v36
	v_and_b32_e32 v19, 7, v19
; %bb.3111:                             ;   in Loop: Header=BB355_1571 Depth=1
	s_or_b32 exec_lo, exec_lo, s21
	v_mov_b32_e32 v10, 24
	v_lshlrev_b32_e32 v19, 20, v19
	v_lshl_add_u32 v20, v20, 23, 0x3c000000
	v_lshlrev_b32_sdwa v10, v10, v16 dst_sel:DWORD dst_unused:UNUSED_PAD src0_sel:DWORD src1_sel:WORD_1
	v_and_b32_e32 v10, 0x80000000, v10
	v_or3_b32 v36, v19, v10, v20
.LBB355_3112:                           ;   in Loop: Header=BB355_1571 Depth=1
	s_or_b32 exec_lo, exec_lo, s20
.LBB355_3113:                           ;   in Loop: Header=BB355_1571 Depth=1
	s_or_b32 exec_lo, exec_lo, s19
.LBB355_3114:                           ;   in Loop: Header=BB355_1571 Depth=1
	s_or_b32 exec_lo, exec_lo, s18
	s_mov_b32 s18, exec_lo
	v_cmpx_lt_u32_e32 0xffffff, v16
	s_cbranch_execz .LBB355_3122
; %bb.3115:                             ;   in Loop: Header=BB355_1571 Depth=1
	v_cmp_ne_u32_sdwa s4, v16, v97 src0_sel:BYTE_3 src1_sel:DWORD
	v_bfrev_b32_e32 v37, 1
	s_and_saveexec_b32 s19, s4
	s_cbranch_execz .LBB355_3121
; %bb.3116:                             ;   in Loop: Header=BB355_1571 Depth=1
	v_bfe_u32 v112, v16, 24, 7
	v_mov_b32_e32 v37, 0x7f800001
	s_mov_b32 s20, exec_lo
	v_cmpx_ne_u32_e32 0x7f, v112
	s_cbranch_execz .LBB355_3120
; %bb.3117:                             ;   in Loop: Header=BB355_1571 Depth=1
	v_mov_b32_e32 v10, 7
	s_mov_b32 s21, exec_lo
	v_and_b32_sdwa v10, v16, v10 dst_sel:DWORD dst_unused:UNUSED_PAD src0_sel:BYTE_3 src1_sel:DWORD
	v_mov_b32_e32 v20, v11
	v_lshrrev_b32_e32 v20, 3, v112
	v_mov_b32_e32 v19, v10
	v_cmpx_gt_u32_e32 8, v112
; %bb.3118:                             ;   in Loop: Header=BB355_1571 Depth=1
	v_ffbh_u32_e32 v19, v10
	v_min_u32_e32 v37, 32, v19
	v_subrev_nc_u32_e32 v19, 28, v37
	v_lshlrev_b64 v[19:20], v19, v[10:11]
	v_sub_nc_u32_e32 v20, 29, v37
	v_and_b32_e32 v19, 7, v19
; %bb.3119:                             ;   in Loop: Header=BB355_1571 Depth=1
	s_or_b32 exec_lo, exec_lo, s21
	v_mov_b32_e32 v10, 24
	v_lshlrev_b32_e32 v19, 20, v19
	v_lshl_add_u32 v20, v20, 23, 0x3c000000
	v_lshlrev_b32_sdwa v10, v10, v16 dst_sel:DWORD dst_unused:UNUSED_PAD src0_sel:DWORD src1_sel:BYTE_3
	v_and_b32_e32 v10, 0x80000000, v10
	v_or3_b32 v37, v19, v10, v20
.LBB355_3120:                           ;   in Loop: Header=BB355_1571 Depth=1
	s_or_b32 exec_lo, exec_lo, s20
.LBB355_3121:                           ;   in Loop: Header=BB355_1571 Depth=1
	s_or_b32 exec_lo, exec_lo, s19
.LBB355_3122:                           ;   in Loop: Header=BB355_1571 Depth=1
	s_or_b32 exec_lo, exec_lo, s18
	v_mov_b32_e32 v10, v17
	v_cmp_ne_u16_sdwa s4, v17, v11 src0_sel:BYTE_0 src1_sel:DWORD
	v_mov_b32_e32 v115, 0
	v_mov_b32_e32 v114, 0
	s_and_saveexec_b32 s18, s4
	s_cbranch_execz .LBB355_3130
; %bb.3123:                             ;   in Loop: Header=BB355_1571 Depth=1
	v_cmp_ne_u16_sdwa s4, v17, v97 src0_sel:BYTE_0 src1_sel:DWORD
	v_bfrev_b32_e32 v114, 1
	s_and_saveexec_b32 s19, s4
	s_cbranch_execz .LBB355_3129
; %bb.3124:                             ;   in Loop: Header=BB355_1571 Depth=1
	v_and_b32_e32 v112, 0x7f, v17
	v_mov_b32_e32 v114, 0x7f800001
	s_mov_b32 s20, exec_lo
	v_cmpx_ne_u32_e32 0x7f, v112
	s_cbranch_execz .LBB355_3128
; %bb.3125:                             ;   in Loop: Header=BB355_1571 Depth=1
	v_mov_b32_e32 v20, v11
	v_mov_b32_e32 v19, v10
	v_lshrrev_b32_e32 v20, 3, v112
	s_mov_b32 s21, exec_lo
	v_cmpx_gt_u32_e32 8, v112
; %bb.3126:                             ;   in Loop: Header=BB355_1571 Depth=1
	v_and_b32_e32 v19, 7, v17
	v_ffbh_u32_e32 v19, v19
	v_min_u32_e32 v112, 32, v19
	v_subrev_nc_u32_e32 v19, 28, v112
	v_lshlrev_b64 v[19:20], v19, v[10:11]
	v_sub_nc_u32_e32 v20, 29, v112
; %bb.3127:                             ;   in Loop: Header=BB355_1571 Depth=1
	s_or_b32 exec_lo, exec_lo, s21
	v_lshlrev_b32_e32 v19, 20, v19
	v_lshlrev_b32_e32 v112, 24, v10
	v_lshl_add_u32 v20, v20, 23, 0x3c000000
	v_and_b32_e32 v19, 0x700000, v19
	v_and_b32_e32 v112, 0x80000000, v112
	v_or3_b32 v114, v19, v112, v20
.LBB355_3128:                           ;   in Loop: Header=BB355_1571 Depth=1
	s_or_b32 exec_lo, exec_lo, s20
.LBB355_3129:                           ;   in Loop: Header=BB355_1571 Depth=1
	s_or_b32 exec_lo, exec_lo, s19
.LBB355_3130:                           ;   in Loop: Header=BB355_1571 Depth=1
	s_or_b32 exec_lo, exec_lo, s18
	v_cmp_ne_u16_sdwa s4, v10, v11 src0_sel:BYTE_1 src1_sel:DWORD
	s_and_saveexec_b32 s18, s4
	s_cbranch_execz .LBB355_3138
; %bb.3131:                             ;   in Loop: Header=BB355_1571 Depth=1
	v_cmp_ne_u16_sdwa s4, v10, v97 src0_sel:BYTE_1 src1_sel:DWORD
	v_bfrev_b32_e32 v115, 1
	s_and_saveexec_b32 s19, s4
	s_cbranch_execz .LBB355_3137
; %bb.3132:                             ;   in Loop: Header=BB355_1571 Depth=1
	v_mov_b32_e32 v19, 0xffff
	v_mov_b32_e32 v115, 0x7f800001
	s_mov_b32 s20, exec_lo
	v_and_b32_sdwa v19, v19, v10 dst_sel:DWORD dst_unused:UNUSED_PAD src0_sel:DWORD src1_sel:BYTE_1
	v_and_b32_e32 v113, 0x7f, v19
	v_cmpx_ne_u32_e32 0x7f, v113
	s_cbranch_execz .LBB355_3136
; %bb.3133:                             ;   in Loop: Header=BB355_1571 Depth=1
	v_and_b32_e32 v19, 7, v19
	v_mov_b32_e32 v20, v11
	v_lshrrev_b32_e32 v112, 3, v113
	s_mov_b32 s21, exec_lo
	v_cmpx_gt_u32_e32 8, v113
; %bb.3134:                             ;   in Loop: Header=BB355_1571 Depth=1
	v_ffbh_u32_e32 v112, v19
	v_min_u32_e32 v112, 32, v112
	v_subrev_nc_u32_e32 v113, 28, v112
	v_sub_nc_u32_e32 v112, 29, v112
	v_lshlrev_b64 v[19:20], v113, v[19:20]
	v_and_b32_e32 v19, 7, v19
; %bb.3135:                             ;   in Loop: Header=BB355_1571 Depth=1
	s_or_b32 exec_lo, exec_lo, s21
	v_lshlrev_b32_e32 v10, 16, v10
	v_lshlrev_b32_e32 v19, 20, v19
	v_lshl_add_u32 v20, v112, 23, 0x3c000000
	v_and_b32_e32 v10, 0x80000000, v10
	v_or3_b32 v115, v19, v10, v20
.LBB355_3136:                           ;   in Loop: Header=BB355_1571 Depth=1
	s_or_b32 exec_lo, exec_lo, s20
.LBB355_3137:                           ;   in Loop: Header=BB355_1571 Depth=1
	s_or_b32 exec_lo, exec_lo, s19
.LBB355_3138:                           ;   in Loop: Header=BB355_1571 Depth=1
	s_or_b32 exec_lo, exec_lo, s18
	v_and_b32_sdwa v10, v17, v99 dst_sel:DWORD dst_unused:UNUSED_PAD src0_sel:WORD_1 src1_sel:DWORD
	v_mov_b32_e32 v112, 0
	v_mov_b32_e32 v113, 0
	s_mov_b32 s18, exec_lo
	v_cmpx_ne_u16_e32 0, v10
	s_cbranch_execz .LBB355_3146
; %bb.3139:                             ;   in Loop: Header=BB355_1571 Depth=1
	v_bfrev_b32_e32 v113, 1
	s_mov_b32 s19, exec_lo
	v_cmpx_ne_u16_e32 0x80, v10
	s_cbranch_execz .LBB355_3145
; %bb.3140:                             ;   in Loop: Header=BB355_1571 Depth=1
	v_bfe_u32 v116, v17, 16, 7
	v_mov_b32_e32 v113, 0x7f800001
	s_mov_b32 s20, exec_lo
	v_cmpx_ne_u32_e32 0x7f, v116
	s_cbranch_execz .LBB355_3144
; %bb.3141:                             ;   in Loop: Header=BB355_1571 Depth=1
	v_mov_b32_e32 v10, 7
	s_mov_b32 s21, exec_lo
	v_and_b32_sdwa v10, v17, v10 dst_sel:DWORD dst_unused:UNUSED_PAD src0_sel:WORD_1 src1_sel:DWORD
	v_mov_b32_e32 v20, v11
	v_lshrrev_b32_e32 v20, 3, v116
	v_mov_b32_e32 v19, v10
	v_cmpx_gt_u32_e32 8, v116
; %bb.3142:                             ;   in Loop: Header=BB355_1571 Depth=1
	v_ffbh_u32_e32 v19, v10
	v_min_u32_e32 v113, 32, v19
	v_subrev_nc_u32_e32 v19, 28, v113
	v_lshlrev_b64 v[19:20], v19, v[10:11]
	v_sub_nc_u32_e32 v20, 29, v113
	v_and_b32_e32 v19, 7, v19
; %bb.3143:                             ;   in Loop: Header=BB355_1571 Depth=1
	s_or_b32 exec_lo, exec_lo, s21
	v_mov_b32_e32 v10, 24
	v_lshlrev_b32_e32 v19, 20, v19
	v_lshl_add_u32 v20, v20, 23, 0x3c000000
	v_lshlrev_b32_sdwa v10, v10, v17 dst_sel:DWORD dst_unused:UNUSED_PAD src0_sel:DWORD src1_sel:WORD_1
	v_and_b32_e32 v10, 0x80000000, v10
	v_or3_b32 v113, v19, v10, v20
.LBB355_3144:                           ;   in Loop: Header=BB355_1571 Depth=1
	s_or_b32 exec_lo, exec_lo, s20
.LBB355_3145:                           ;   in Loop: Header=BB355_1571 Depth=1
	s_or_b32 exec_lo, exec_lo, s19
.LBB355_3146:                           ;   in Loop: Header=BB355_1571 Depth=1
	s_or_b32 exec_lo, exec_lo, s18
	s_mov_b32 s18, exec_lo
	v_cmpx_lt_u64_e64 s[6:7], v[16:17]
	s_cbranch_execz .LBB355_3154
; %bb.3147:                             ;   in Loop: Header=BB355_1571 Depth=1
	v_cmp_ne_u32_sdwa s4, v17, v97 src0_sel:BYTE_3 src1_sel:DWORD
	v_bfrev_b32_e32 v112, 1
	s_and_saveexec_b32 s19, s4
	s_cbranch_execz .LBB355_3153
; %bb.3148:                             ;   in Loop: Header=BB355_1571 Depth=1
	v_bfe_u32 v116, v17, 24, 7
	v_mov_b32_e32 v112, 0x7f800001
	s_mov_b32 s20, exec_lo
	v_cmpx_ne_u32_e32 0x7f, v116
	s_cbranch_execz .LBB355_3152
; %bb.3149:                             ;   in Loop: Header=BB355_1571 Depth=1
	v_mov_b32_e32 v10, 7
	v_lshrrev_b32_e32 v16, 3, v116
	s_mov_b32 s21, exec_lo
	v_and_b32_sdwa v10, v17, v10 dst_sel:DWORD dst_unused:UNUSED_PAD src0_sel:BYTE_3 src1_sel:DWORD
	v_mov_b32_e32 v20, v11
	v_mov_b32_e32 v19, v10
	v_cmpx_gt_u32_e32 8, v116
; %bb.3150:                             ;   in Loop: Header=BB355_1571 Depth=1
	v_ffbh_u32_e32 v16, v10
	v_min_u32_e32 v16, 32, v16
	v_subrev_nc_u32_e32 v19, 28, v16
	v_sub_nc_u32_e32 v16, 29, v16
	v_lshlrev_b64 v[19:20], v19, v[10:11]
	v_and_b32_e32 v19, 7, v19
; %bb.3151:                             ;   in Loop: Header=BB355_1571 Depth=1
	s_or_b32 exec_lo, exec_lo, s21
	v_mov_b32_e32 v10, 24
	v_lshl_add_u32 v16, v16, 23, 0x3c000000
	v_lshlrev_b32_sdwa v10, v10, v17 dst_sel:DWORD dst_unused:UNUSED_PAD src0_sel:DWORD src1_sel:BYTE_3
	v_lshlrev_b32_e32 v17, 20, v19
	v_and_b32_e32 v10, 0x80000000, v10
	v_or3_b32 v112, v17, v10, v16
.LBB355_3152:                           ;   in Loop: Header=BB355_1571 Depth=1
	s_or_b32 exec_lo, exec_lo, s20
.LBB355_3153:                           ;   in Loop: Header=BB355_1571 Depth=1
	s_or_b32 exec_lo, exec_lo, s19
.LBB355_3154:                           ;   in Loop: Header=BB355_1571 Depth=1
	s_or_b32 exec_lo, exec_lo, s18
	v_mul_f32_e32 v10, v111, v115
	v_bfe_u32 v16, v10, 16, 1
	v_or_b32_e32 v17, 0x400000, v10
	v_cmp_u_f32_e64 s4, v10, v10
	v_add3_u32 v16, v16, v10, 0x7fff
	v_cndmask_b32_e64 v10, v16, v17, s4
	v_mul_f32_e32 v16, v111, v114
	v_lshrrev_b32_e32 v10, 16, v10
	v_bfe_u32 v17, v16, 16, 1
	v_or_b32_e32 v19, 0x400000, v16
	v_cmp_u_f32_e64 s4, v16, v16
	v_add3_u32 v17, v17, v16, 0x7fff
	v_cndmask_b32_e64 v16, v17, v19, s4
	v_mul_f32_e32 v17, v111, v37
	v_lshrrev_b32_e32 v16, 16, v16
	;; [unrolled: 7-line block ×3, first 2 shown]
	v_bfe_u32 v20, v19, 16, 1
	v_or_b32_e32 v36, 0x400000, v19
	v_cmp_u_f32_e64 s4, v19, v19
	v_add3_u32 v20, v20, v19, 0x7fff
	v_cndmask_b32_e64 v19, v20, v36, s4
	v_lshrrev_b32_e32 v20, 16, v19
	v_mul_f32_e32 v19, v111, v25
	v_bfe_u32 v25, v19, 16, 1
	v_or_b32_e32 v36, 0x400000, v19
	v_cmp_u_f32_e64 s4, v19, v19
	v_add3_u32 v25, v25, v19, 0x7fff
	v_cndmask_b32_e64 v19, v25, v36, s4
	v_lshrrev_b32_e32 v25, 16, v19
	v_mul_f32_e32 v19, v111, v24
	;; [unrolled: 7-line block ×3, first 2 shown]
	v_bfe_u32 v24, v19, 16, 1
	v_or_b32_e32 v37, 0x400000, v19
	v_cmp_u_f32_e64 s4, v19, v19
	v_add3_u32 v24, v24, v19, 0x7fff
	v_cndmask_b32_e64 v19, v24, v37, s4
	v_mul_f32_e32 v24, v111, v112
	v_lshrrev_b32_e32 v19, 16, v19
	v_bfe_u32 v37, v24, 16, 1
	v_or_b32_e32 v112, 0x400000, v24
	v_cmp_u_f32_e64 s4, v24, v24
	v_add3_u32 v37, v37, v24, 0x7fff
	v_cndmask_b32_e64 v24, v37, v112, s4
	v_lshrrev_b32_e32 v24, 16, v24
	s_and_saveexec_b32 s4, vcc_lo
	s_cbranch_execz .LBB355_1569
; %bb.3155:                             ;   in Loop: Header=BB355_1571 Depth=1
	v_cmp_lt_i32_e32 vcc_lo, v109, v123
	v_cndmask_b32_e32 v36, 0, v36, vcc_lo
	v_cmp_lt_i32_e32 vcc_lo, v74, v123
	v_cndmask_b32_e32 v25, 0, v25, vcc_lo
	;; [unrolled: 2-line block ×8, first 2 shown]
	s_branch .LBB355_1569
.LBB355_3156:
	s_or_b32 exec_lo, exec_lo, s13
	s_clause 0x18
	buffer_load_dword v54, off, s[0:3], s32 offset:720
	buffer_load_dword v33, off, s[0:3], s32 offset:724
	;; [unrolled: 1-line block ×25, first 2 shown]
.LBB355_3157:
	s_or_b32 exec_lo, exec_lo, s5
	s_waitcnt vmcnt(0)
	ds_bpermute_b32 v0, v33, v19
	ds_bpermute_b32 v1, v33, v17
	ds_bpermute_b32 v2, v33, v15
	ds_bpermute_b32 v3, v33, v14
	ds_bpermute_b32 v4, v33, v13
	ds_bpermute_b32 v5, v33, v12
	ds_bpermute_b32 v6, v33, v11
	ds_bpermute_b32 v7, v33, v10
	ds_bpermute_b32 v21, v33, v55
	ds_bpermute_b32 v24, v33, v53
	ds_bpermute_b32 v8, v33, v18
	ds_bpermute_b32 v9, v33, v16
	ds_bpermute_b32 v25, v33, v52
	ds_bpermute_b32 v26, v33, v51
	s_waitcnt lgkmcnt(0)
	s_waitcnt_vscnt null, 0x0
	s_barrier
	buffer_gl0_inv
	ds_bpermute_b32 v27, v33, v50
	ds_bpermute_b32 v28, v33, v37
	;; [unrolled: 1-line block ×3, first 2 shown]
	v_add_f32_e32 v0, v19, v0
	v_add_f32_e32 v1, v17, v1
	;; [unrolled: 1-line block ×8, first 2 shown]
	ds_bpermute_b32 v10, v54, v0
	ds_bpermute_b32 v11, v54, v1
	;; [unrolled: 1-line block ×7, first 2 shown]
	v_add_f32_e32 v8, v18, v8
	v_add_f32_e32 v9, v16, v9
	ds_bpermute_b32 v19, v54, v7
	ds_bpermute_b32 v30, v33, v35
	;; [unrolled: 1-line block ×3, first 2 shown]
	s_waitcnt lgkmcnt(12)
	v_add_f32_e32 v27, v50, v27
	s_waitcnt lgkmcnt(11)
	v_add_f32_e32 v28, v37, v28
	s_waitcnt lgkmcnt(10)
	v_add_f32_e32 v29, v36, v29
	ds_bpermute_b32 v32, v54, v8
	s_load_dword s4, s[8:9], 0x0
	s_mov_b32 s5, exec_lo
	s_waitcnt lgkmcnt(0)
	v_add_f32_e32 v23, v0, v10
	v_add_f32_e32 v22, v1, v11
	;; [unrolled: 1-line block ×10, first 2 shown]
	ds_bpermute_b32 v15, v54, v0
	ds_bpermute_b32 v24, v54, v1
	;; [unrolled: 1-line block ×7, first 2 shown]
	v_add_f32_e32 v12, v6, v17
	v_add_f32_e32 v10, v7, v19
	ds_bpermute_b32 v5, v33, v38
	ds_bpermute_b32 v6, v33, v39
	;; [unrolled: 1-line block ×3, first 2 shown]
	v_add_f32_e32 v30, v35, v30
	v_add_f32_e32 v31, v34, v31
	ds_bpermute_b32 v33, v54, v27
	ds_bpermute_b32 v34, v54, v28
	ds_bpermute_b32 v35, v54, v29
	ds_bpermute_b32 v36, v54, v30
	ds_bpermute_b32 v37, v54, v31
	v_add_f32_e32 v21, v8, v32
	s_waitcnt lgkmcnt(14)
	v_add_f32_e32 v17, v0, v15
	s_waitcnt lgkmcnt(13)
	v_add_f32_e32 v15, v1, v24
	buffer_load_dword v24, off, s[0:3], s32 offset:852 ; 4-byte Folded Reload
	s_waitcnt lgkmcnt(12)
	v_add_f32_e32 v4, v49, v4
	s_waitcnt lgkmcnt(11)
	v_add_f32_e32 v49, v117, v11
	;; [unrolled: 2-line block ×5, first 2 shown]
	s_clause 0x1
	buffer_load_dword v2, off, s[0:3], s32 offset:856
	buffer_load_dword v26, off, s[0:3], s32 offset:1664
	s_waitcnt lgkmcnt(7)
	v_add_f32_e32 v38, v38, v5
	s_waitcnt lgkmcnt(6)
	v_add_f32_e32 v39, v39, v6
	s_waitcnt lgkmcnt(5)
	v_add_f32_e32 v48, v48, v7
	ds_bpermute_b32 v50, v54, v4
	s_waitcnt lgkmcnt(5)
	v_add_f32_e32 v9, v27, v33
	ds_bpermute_b32 v51, v54, v38
	ds_bpermute_b32 v52, v54, v39
	;; [unrolled: 1-line block ×4, first 2 shown]
	s_waitcnt lgkmcnt(8)
	v_add_f32_e32 v8, v28, v34
	s_waitcnt lgkmcnt(7)
	v_add_f32_e32 v7, v29, v35
	s_waitcnt lgkmcnt(6)
	v_add_f32_e32 v6, v30, v36
	s_waitcnt lgkmcnt(5)
	v_add_f32_e32 v5, v31, v37
	s_waitcnt lgkmcnt(4)
	v_add_f32_e32 v4, v4, v50
	s_waitcnt lgkmcnt(3)
	v_add_f32_e32 v3, v38, v51
	s_waitcnt lgkmcnt(2)
	v_add_f32_e32 v0, v39, v52
	s_waitcnt lgkmcnt(1)
	v_add_f32_e32 v1, v48, v53
	s_waitcnt vmcnt(2)
	v_and_b32_e32 v25, 28, v24
	v_lshrrev_b32_e32 v24, 2, v24
	v_add_nc_u32_e32 v25, s4, v25
	s_waitcnt vmcnt(1)
	v_and_b32_e32 v27, 0x3c3, v2
	s_waitcnt lgkmcnt(0)
	v_add_f32_e32 v2, v49, v54
	s_waitcnt vmcnt(0)
	v_mul_u32_u24_e32 v26, 0x300, v26
	v_cmpx_eq_u32_e32 64, v27
	s_cbranch_execz .LBB355_3159
; %bb.3158:
	v_add_nc_u32_e32 v27, v25, v26
	v_add_nc_u32_e32 v28, 0xfffffa00, v27
	;; [unrolled: 1-line block ×7, first 2 shown]
	ds_write_b32 v28, v23
	ds_write_b32 v29, v22
	;; [unrolled: 1-line block ×4, first 2 shown]
	v_add_nc_u32_e32 v28, 0xfffffac0, v27
	v_add_nc_u32_e32 v29, 0xfffffae0, v27
	v_add_nc_u32_e32 v30, 0xfffffb00, v27
	ds_write_b32 v32, v16
	ds_write_b32 v33, v14
	ds_write_b32 v28, v12
	ds_write_b32 v29, v10
	ds_write_b32 v30, v21
	v_add_nc_u32_e32 v28, 0xfffffb20, v27
	v_add_nc_u32_e32 v29, 0xfffffb40, v27
	v_add_nc_u32_e32 v30, 0xfffffb60, v27
	v_add_nc_u32_e32 v31, 0xfffffb80, v27
	v_add_nc_u32_e32 v32, 0xfffffba0, v27
	ds_write_b32 v28, v19
	ds_write_b32 v29, v17
	ds_write_b32 v30, v15
	ds_write_b32 v31, v13
	ds_write_b32 v32, v11
	v_add_nc_u32_e32 v28, 0xfffffbc0, v27
	v_add_nc_u32_e32 v29, 0xfffffbe0, v27
	;; [unrolled: 10-line block ×3, first 2 shown]
	v_add_nc_u32_e32 v30, 0xfffffca0, v27
	v_add_nc_u32_e32 v31, 0xfffffcc0, v27
	;; [unrolled: 1-line block ×3, first 2 shown]
	ds_write_b32 v28, v4
	ds_write_b32 v29, v3
	;; [unrolled: 1-line block ×5, first 2 shown]
.LBB355_3159:
	s_or_b32 exec_lo, exec_lo, s5
	buffer_load_dword v28, off, s[0:3], s32 offset:856 ; 4-byte Folded Reload
	v_lshlrev_b32_e32 v24, 2, v24
	s_mov_b32 s5, exec_lo
	s_waitcnt vmcnt(0) lgkmcnt(0)
	s_barrier
	buffer_gl0_inv
	v_add3_u32 v24, s4, v26, v24
	v_and_b32_e32 v27, 3, v28
	v_cmp_eq_u32_e32 vcc_lo, 0, v27
	v_cmpx_gt_u32_e32 64, v28
	s_cbranch_execz .LBB355_3186
; %bb.3160:
	s_and_saveexec_b32 s4, vcc_lo
	s_cbranch_execnz .LBB355_3218
; %bb.3161:
	s_or_b32 exec_lo, exec_lo, s4
	s_and_saveexec_b32 s4, vcc_lo
	s_cbranch_execnz .LBB355_3219
.LBB355_3162:
	s_or_b32 exec_lo, exec_lo, s4
	s_and_saveexec_b32 s4, vcc_lo
	s_cbranch_execnz .LBB355_3220
.LBB355_3163:
	s_or_b32 exec_lo, exec_lo, s4
	s_and_saveexec_b32 s4, vcc_lo
	s_cbranch_execnz .LBB355_3221
.LBB355_3164:
	s_or_b32 exec_lo, exec_lo, s4
	s_and_saveexec_b32 s4, vcc_lo
	s_cbranch_execnz .LBB355_3222
.LBB355_3165:
	s_or_b32 exec_lo, exec_lo, s4
	s_and_saveexec_b32 s4, vcc_lo
	s_cbranch_execnz .LBB355_3223
.LBB355_3166:
	s_or_b32 exec_lo, exec_lo, s4
	s_and_saveexec_b32 s4, vcc_lo
	s_cbranch_execnz .LBB355_3224
.LBB355_3167:
	s_or_b32 exec_lo, exec_lo, s4
	s_and_saveexec_b32 s4, vcc_lo
	s_cbranch_execnz .LBB355_3225
.LBB355_3168:
	s_or_b32 exec_lo, exec_lo, s4
	s_and_saveexec_b32 s4, vcc_lo
	s_cbranch_execnz .LBB355_3226
.LBB355_3169:
	s_or_b32 exec_lo, exec_lo, s4
	s_and_saveexec_b32 s4, vcc_lo
	s_cbranch_execnz .LBB355_3227
.LBB355_3170:
	s_or_b32 exec_lo, exec_lo, s4
	s_and_saveexec_b32 s4, vcc_lo
	s_cbranch_execnz .LBB355_3228
.LBB355_3171:
	s_or_b32 exec_lo, exec_lo, s4
	s_and_saveexec_b32 s4, vcc_lo
	s_cbranch_execnz .LBB355_3229
.LBB355_3172:
	s_or_b32 exec_lo, exec_lo, s4
	s_and_saveexec_b32 s4, vcc_lo
	s_cbranch_execnz .LBB355_3230
.LBB355_3173:
	s_or_b32 exec_lo, exec_lo, s4
	s_and_saveexec_b32 s4, vcc_lo
	s_cbranch_execnz .LBB355_3231
.LBB355_3174:
	s_or_b32 exec_lo, exec_lo, s4
	s_and_saveexec_b32 s4, vcc_lo
	s_cbranch_execnz .LBB355_3232
.LBB355_3175:
	s_or_b32 exec_lo, exec_lo, s4
	s_and_saveexec_b32 s4, vcc_lo
	s_cbranch_execnz .LBB355_3233
.LBB355_3176:
	s_or_b32 exec_lo, exec_lo, s4
	s_and_saveexec_b32 s4, vcc_lo
	s_cbranch_execnz .LBB355_3234
.LBB355_3177:
	s_or_b32 exec_lo, exec_lo, s4
	s_and_saveexec_b32 s4, vcc_lo
	s_cbranch_execnz .LBB355_3235
.LBB355_3178:
	s_or_b32 exec_lo, exec_lo, s4
	s_and_saveexec_b32 s4, vcc_lo
	s_cbranch_execnz .LBB355_3236
.LBB355_3179:
	s_or_b32 exec_lo, exec_lo, s4
	s_and_saveexec_b32 s4, vcc_lo
	s_cbranch_execnz .LBB355_3237
.LBB355_3180:
	s_or_b32 exec_lo, exec_lo, s4
	s_and_saveexec_b32 s4, vcc_lo
	s_cbranch_execnz .LBB355_3238
.LBB355_3181:
	s_or_b32 exec_lo, exec_lo, s4
	s_and_saveexec_b32 s4, vcc_lo
	s_cbranch_execnz .LBB355_3239
.LBB355_3182:
	s_or_b32 exec_lo, exec_lo, s4
	s_and_saveexec_b32 s4, vcc_lo
	s_cbranch_execnz .LBB355_3240
.LBB355_3183:
	s_or_b32 exec_lo, exec_lo, s4
	s_and_saveexec_b32 s4, vcc_lo
	s_cbranch_execz .LBB355_3185
.LBB355_3184:
	ds_read_b32 v26, v24 offset:736
	s_waitcnt lgkmcnt(0)
	v_add_f32_e32 v2, v26, v2
.LBB355_3185:
	s_or_b32 exec_lo, exec_lo, s4
.LBB355_3186:
	s_or_b32 exec_lo, exec_lo, s5
	buffer_load_dword v26, off, s[0:3], s32 offset:856 ; 4-byte Folded Reload
	s_mov_b32 s5, exec_lo
	s_waitcnt vmcnt(0)
	s_barrier
	buffer_gl0_inv
	v_and_b32_e32 v26, 0x3e3, v26
	v_cmpx_eq_u32_e32 32, v26
	s_cbranch_execz .LBB355_3188
; %bb.3187:
	ds_write2_b32 v25, v23, v22 offset1:8
	ds_write2_b32 v25, v20, v18 offset0:16 offset1:24
	ds_write2_b32 v25, v16, v14 offset0:32 offset1:40
	;; [unrolled: 1-line block ×11, first 2 shown]
.LBB355_3188:
	s_or_b32 exec_lo, exec_lo, s5
	buffer_load_dword v25, off, s[0:3], s32 offset:856 ; 4-byte Folded Reload
	s_mov_b32 s5, exec_lo
	s_waitcnt vmcnt(0) lgkmcnt(0)
	s_barrier
	buffer_gl0_inv
	v_cmpx_gt_u32_e32 32, v25
	s_cbranch_execz .LBB355_3215
; %bb.3189:
	s_and_saveexec_b32 s4, vcc_lo
	s_cbranch_execnz .LBB355_3241
; %bb.3190:
	s_or_b32 exec_lo, exec_lo, s4
	s_and_saveexec_b32 s4, vcc_lo
	s_cbranch_execnz .LBB355_3242
.LBB355_3191:
	s_or_b32 exec_lo, exec_lo, s4
	s_and_saveexec_b32 s4, vcc_lo
	s_cbranch_execnz .LBB355_3243
.LBB355_3192:
	s_or_b32 exec_lo, exec_lo, s4
	s_and_saveexec_b32 s4, vcc_lo
	s_cbranch_execnz .LBB355_3244
.LBB355_3193:
	s_or_b32 exec_lo, exec_lo, s4
	s_and_saveexec_b32 s4, vcc_lo
	s_cbranch_execnz .LBB355_3245
.LBB355_3194:
	s_or_b32 exec_lo, exec_lo, s4
	s_and_saveexec_b32 s4, vcc_lo
	s_cbranch_execnz .LBB355_3246
.LBB355_3195:
	s_or_b32 exec_lo, exec_lo, s4
	s_and_saveexec_b32 s4, vcc_lo
	s_cbranch_execnz .LBB355_3247
.LBB355_3196:
	s_or_b32 exec_lo, exec_lo, s4
	s_and_saveexec_b32 s4, vcc_lo
	s_cbranch_execnz .LBB355_3248
.LBB355_3197:
	s_or_b32 exec_lo, exec_lo, s4
	s_and_saveexec_b32 s4, vcc_lo
	s_cbranch_execnz .LBB355_3249
.LBB355_3198:
	s_or_b32 exec_lo, exec_lo, s4
	s_and_saveexec_b32 s4, vcc_lo
	s_cbranch_execnz .LBB355_3250
.LBB355_3199:
	s_or_b32 exec_lo, exec_lo, s4
	s_and_saveexec_b32 s4, vcc_lo
	s_cbranch_execnz .LBB355_3251
.LBB355_3200:
	s_or_b32 exec_lo, exec_lo, s4
	s_and_saveexec_b32 s4, vcc_lo
	s_cbranch_execnz .LBB355_3252
.LBB355_3201:
	s_or_b32 exec_lo, exec_lo, s4
	s_and_saveexec_b32 s4, vcc_lo
	s_cbranch_execnz .LBB355_3253
.LBB355_3202:
	s_or_b32 exec_lo, exec_lo, s4
	s_and_saveexec_b32 s4, vcc_lo
	s_cbranch_execnz .LBB355_3254
.LBB355_3203:
	s_or_b32 exec_lo, exec_lo, s4
	s_and_saveexec_b32 s4, vcc_lo
	s_cbranch_execnz .LBB355_3255
.LBB355_3204:
	s_or_b32 exec_lo, exec_lo, s4
	s_and_saveexec_b32 s4, vcc_lo
	s_cbranch_execnz .LBB355_3256
.LBB355_3205:
	s_or_b32 exec_lo, exec_lo, s4
	s_and_saveexec_b32 s4, vcc_lo
	s_cbranch_execnz .LBB355_3257
.LBB355_3206:
	s_or_b32 exec_lo, exec_lo, s4
	s_and_saveexec_b32 s4, vcc_lo
	s_cbranch_execnz .LBB355_3258
.LBB355_3207:
	s_or_b32 exec_lo, exec_lo, s4
	s_and_saveexec_b32 s4, vcc_lo
	s_cbranch_execnz .LBB355_3259
.LBB355_3208:
	s_or_b32 exec_lo, exec_lo, s4
	s_and_saveexec_b32 s4, vcc_lo
	s_cbranch_execnz .LBB355_3260
.LBB355_3209:
	s_or_b32 exec_lo, exec_lo, s4
	s_and_saveexec_b32 s4, vcc_lo
	s_cbranch_execnz .LBB355_3261
.LBB355_3210:
	s_or_b32 exec_lo, exec_lo, s4
	s_and_saveexec_b32 s4, vcc_lo
	s_cbranch_execnz .LBB355_3262
.LBB355_3211:
	s_or_b32 exec_lo, exec_lo, s4
	s_and_saveexec_b32 s4, vcc_lo
	s_cbranch_execnz .LBB355_3263
.LBB355_3212:
	s_or_b32 exec_lo, exec_lo, s4
	s_and_saveexec_b32 s4, vcc_lo
	s_cbranch_execz .LBB355_3214
.LBB355_3213:
	ds_read_b32 v24, v24 offset:736
	s_waitcnt lgkmcnt(0)
	v_add_f32_e32 v2, v24, v2
.LBB355_3214:
	s_or_b32 exec_lo, exec_lo, s4
.LBB355_3215:
	s_or_b32 exec_lo, exec_lo, s5
	s_mov_b32 s4, exec_lo
	s_barrier
	buffer_gl0_inv
	v_cmpx_eq_u32_e32 0, v26
	s_cbranch_execz .LBB355_3217
; %bb.3216:
	s_clause 0x2
	buffer_load_dword v27, off, s[0:3], s32 offset:1704
	buffer_load_dword v24, off, s[0:3], s32 offset:856
	;; [unrolled: 1-line block ×3, first 2 shown]
	s_and_b32 s5, 0xffff, s12
	s_mul_i32 s6, s14, 0xc0
	s_cmp_lg_u32 s5, 0
	v_bfe_u32 v25, v23, 16, 1
	s_cselect_b32 s5, -1, 0
	v_or_b32_e32 v26, 0x400000, v23
	s_cmp_lg_u32 s5, 0
	s_addc_u32 s5, s15, 0
	v_add3_u32 v29, v25, v23, 0x7fff
	s_mul_i32 s7, s5, s10
	s_mul_i32 s10, s16, s5
	;; [unrolled: 1-line block ×3, first 2 shown]
	s_ashr_i32 s11, s10, 31
	s_mulk_i32 s8, 0xc0
	s_ashr_i32 s7, s6, 31
	s_ashr_i32 s9, s8, 31
	s_lshl_b64 s[6:7], s[6:7], 1
	s_lshl_b64 s[8:9], s[8:9], 1
	s_waitcnt vmcnt(2)
	v_add_co_u32 v27, vcc_lo, v27, s8
	s_waitcnt vmcnt(0)
	v_add_co_ci_u32_e64 v28, null, s9, v28, vcc_lo
	s_lshl_b64 s[8:9], s[10:11], 1
	v_lshrrev_b32_e32 v24, 1, v24
	v_add_co_u32 v27, vcc_lo, v27, s8
	v_add_co_ci_u32_e64 v28, null, s9, v28, vcc_lo
	v_add_co_u32 v27, vcc_lo, v27, s6
	v_add_co_ci_u32_e64 v28, null, s7, v28, vcc_lo
	;; [unrolled: 2-line block ×3, first 2 shown]
	v_bfe_u32 v27, v22, 16, 1
	v_cmp_u_f32_e32 vcc_lo, v23, v23
	v_or_b32_e32 v28, 0x400000, v22
	v_add3_u32 v27, v27, v22, 0x7fff
	v_cndmask_b32_e32 v23, v29, v26, vcc_lo
	v_bfe_u32 v26, v20, 16, 1
	v_cmp_u_f32_e32 vcc_lo, v22, v22
	flat_store_short_d16_hi v[24:25], v23
	v_add3_u32 v23, v26, v20, 0x7fff
	v_or_b32_e32 v26, 0x400000, v20
	v_cndmask_b32_e32 v22, v27, v28, vcc_lo
	v_bfe_u32 v27, v18, 16, 1
	v_cmp_u_f32_e32 vcc_lo, v20, v20
	flat_store_short_d16_hi v[24:25], v22 offset:16
	v_add3_u32 v22, v27, v18, 0x7fff
	v_cndmask_b32_e32 v20, v23, v26, vcc_lo
	v_bfe_u32 v23, v16, 16, 1
	v_or_b32_e32 v26, 0x400000, v18
	v_cmp_u_f32_e32 vcc_lo, v18, v18
	flat_store_short_d16_hi v[24:25], v20 offset:32
	v_add3_u32 v20, v23, v16, 0x7fff
	v_or_b32_e32 v23, 0x400000, v16
	v_cndmask_b32_e32 v18, v22, v26, vcc_lo
	v_bfe_u32 v22, v14, 16, 1
	v_cmp_u_f32_e32 vcc_lo, v16, v16
	flat_store_short_d16_hi v[24:25], v18 offset:48
	v_add3_u32 v18, v22, v14, 0x7fff
	v_cndmask_b32_e32 v16, v20, v23, vcc_lo
	v_bfe_u32 v20, v12, 16, 1
	v_or_b32_e32 v22, 0x400000, v14
	v_cmp_u_f32_e32 vcc_lo, v14, v14
	flat_store_short_d16_hi v[24:25], v16 offset:64
	;; [unrolled: 12-line block ×5, first 2 shown]
	v_add3_u32 v12, v16, v13, 0x7fff
	v_or_b32_e32 v16, 0x400000, v13
	v_cndmask_b32_e32 v10, v10, v14, vcc_lo
	v_bfe_u32 v14, v11, 16, 1
	v_cmp_u_f32_e32 vcc_lo, v13, v13
	v_bfe_u32 v13, v9, 16, 1
	flat_store_short_d16_hi v[24:25], v10 offset:176
	v_add3_u32 v10, v14, v11, 0x7fff
	v_cndmask_b32_e32 v12, v12, v16, vcc_lo
	v_or_b32_e32 v14, 0x400000, v11
	v_cmp_u_f32_e32 vcc_lo, v11, v11
	v_bfe_u32 v11, v8, 16, 1
	flat_store_short_d16_hi v[24:25], v12 offset:192
	v_add3_u32 v12, v13, v9, 0x7fff
	v_or_b32_e32 v13, 0x400000, v9
	v_cndmask_b32_e32 v10, v10, v14, vcc_lo
	v_cmp_u_f32_e32 vcc_lo, v9, v9
	flat_store_short_d16_hi v[24:25], v10 offset:208
	v_cndmask_b32_e32 v9, v12, v13, vcc_lo
	v_bfe_u32 v12, v7, 16, 1
	v_add3_u32 v10, v11, v8, 0x7fff
	v_or_b32_e32 v11, 0x400000, v8
	v_cmp_u_f32_e32 vcc_lo, v8, v8
	flat_store_short_d16_hi v[24:25], v9 offset:224
	v_add3_u32 v9, v12, v7, 0x7fff
	v_or_b32_e32 v12, 0x400000, v7
	v_cndmask_b32_e32 v8, v10, v11, vcc_lo
	v_bfe_u32 v10, v6, 16, 1
	v_cmp_u_f32_e32 vcc_lo, v7, v7
	flat_store_short_d16_hi v[24:25], v8 offset:240
	v_add3_u32 v8, v10, v6, 0x7fff
	v_cndmask_b32_e32 v7, v9, v12, vcc_lo
	v_bfe_u32 v9, v5, 16, 1
	v_or_b32_e32 v10, 0x400000, v6
	v_cmp_u_f32_e32 vcc_lo, v6, v6
	flat_store_short_d16_hi v[24:25], v7 offset:256
	v_add3_u32 v7, v9, v5, 0x7fff
	v_or_b32_e32 v9, 0x400000, v5
	v_cndmask_b32_e32 v6, v8, v10, vcc_lo
	v_bfe_u32 v8, v4, 16, 1
	v_cmp_u_f32_e32 vcc_lo, v5, v5
	v_or_b32_e32 v10, 0x400000, v2
	flat_store_short_d16_hi v[24:25], v6 offset:272
	v_add3_u32 v6, v8, v4, 0x7fff
	v_cndmask_b32_e32 v5, v7, v9, vcc_lo
	v_bfe_u32 v7, v3, 16, 1
	v_or_b32_e32 v8, 0x400000, v4
	v_cmp_u_f32_e32 vcc_lo, v4, v4
	v_or_b32_e32 v9, 0x400000, v1
	flat_store_short_d16_hi v[24:25], v5 offset:288
	v_add3_u32 v5, v7, v3, 0x7fff
	v_or_b32_e32 v7, 0x400000, v3
	v_cndmask_b32_e32 v4, v6, v8, vcc_lo
	v_bfe_u32 v6, v0, 16, 1
	v_cmp_u_f32_e32 vcc_lo, v3, v3
	v_bfe_u32 v8, v1, 16, 1
	v_add3_u32 v6, v6, v0, 0x7fff
	v_cndmask_b32_e32 v3, v5, v7, vcc_lo
	v_or_b32_e32 v7, 0x400000, v0
	v_cmp_u_f32_e32 vcc_lo, v0, v0
	v_bfe_u32 v5, v2, 16, 1
	v_add3_u32 v8, v8, v1, 0x7fff
	v_cndmask_b32_e32 v0, v6, v7, vcc_lo
	v_cmp_u_f32_e32 vcc_lo, v1, v1
	v_add3_u32 v5, v5, v2, 0x7fff
	v_cndmask_b32_e32 v1, v8, v9, vcc_lo
	v_cmp_u_f32_e32 vcc_lo, v2, v2
	v_cndmask_b32_e32 v2, v5, v10, vcc_lo
	flat_store_short_d16_hi v[24:25], v4 offset:304
	flat_store_short_d16_hi v[24:25], v3 offset:320
	;; [unrolled: 1-line block ×5, first 2 shown]
.LBB355_3217:
	s_or_b32 exec_lo, exec_lo, s4
	s_clause 0x2f
	buffer_load_dword v127, off, s[0:3], s32
	buffer_load_dword v126, off, s[0:3], s32 offset:4
	buffer_load_dword v125, off, s[0:3], s32 offset:8
	;; [unrolled: 1-line block ×47, first 2 shown]
	s_waitcnt vmcnt(0) lgkmcnt(0)
	s_setpc_b64 s[30:31]
.LBB355_3218:
	ds_read_b32 v26, v24
	s_waitcnt lgkmcnt(0)
	v_add_f32_e32 v23, v26, v23
	s_or_b32 exec_lo, exec_lo, s4
	s_and_saveexec_b32 s4, vcc_lo
	s_cbranch_execz .LBB355_3162
.LBB355_3219:
	ds_read_b32 v26, v24 offset:32
	s_waitcnt lgkmcnt(0)
	v_add_f32_e32 v22, v26, v22
	s_or_b32 exec_lo, exec_lo, s4
	s_and_saveexec_b32 s4, vcc_lo
	s_cbranch_execz .LBB355_3163
.LBB355_3220:
	ds_read_b32 v26, v24 offset:64
	s_waitcnt lgkmcnt(0)
	v_add_f32_e32 v20, v26, v20
	s_or_b32 exec_lo, exec_lo, s4
	s_and_saveexec_b32 s4, vcc_lo
	s_cbranch_execz .LBB355_3164
.LBB355_3221:
	ds_read_b32 v26, v24 offset:96
	s_waitcnt lgkmcnt(0)
	v_add_f32_e32 v18, v26, v18
	s_or_b32 exec_lo, exec_lo, s4
	s_and_saveexec_b32 s4, vcc_lo
	s_cbranch_execz .LBB355_3165
.LBB355_3222:
	ds_read_b32 v26, v24 offset:128
	s_waitcnt lgkmcnt(0)
	v_add_f32_e32 v16, v26, v16
	s_or_b32 exec_lo, exec_lo, s4
	s_and_saveexec_b32 s4, vcc_lo
	s_cbranch_execz .LBB355_3166
.LBB355_3223:
	ds_read_b32 v26, v24 offset:160
	s_waitcnt lgkmcnt(0)
	v_add_f32_e32 v14, v26, v14
	s_or_b32 exec_lo, exec_lo, s4
	s_and_saveexec_b32 s4, vcc_lo
	s_cbranch_execz .LBB355_3167
.LBB355_3224:
	ds_read_b32 v26, v24 offset:192
	s_waitcnt lgkmcnt(0)
	v_add_f32_e32 v12, v26, v12
	s_or_b32 exec_lo, exec_lo, s4
	s_and_saveexec_b32 s4, vcc_lo
	s_cbranch_execz .LBB355_3168
.LBB355_3225:
	ds_read_b32 v26, v24 offset:224
	s_waitcnt lgkmcnt(0)
	v_add_f32_e32 v10, v26, v10
	s_or_b32 exec_lo, exec_lo, s4
	s_and_saveexec_b32 s4, vcc_lo
	s_cbranch_execz .LBB355_3169
.LBB355_3226:
	ds_read_b32 v26, v24 offset:256
	s_waitcnt lgkmcnt(0)
	v_add_f32_e32 v21, v26, v21
	s_or_b32 exec_lo, exec_lo, s4
	s_and_saveexec_b32 s4, vcc_lo
	s_cbranch_execz .LBB355_3170
.LBB355_3227:
	ds_read_b32 v26, v24 offset:288
	s_waitcnt lgkmcnt(0)
	v_add_f32_e32 v19, v26, v19
	s_or_b32 exec_lo, exec_lo, s4
	s_and_saveexec_b32 s4, vcc_lo
	s_cbranch_execz .LBB355_3171
.LBB355_3228:
	ds_read_b32 v26, v24 offset:320
	s_waitcnt lgkmcnt(0)
	v_add_f32_e32 v17, v26, v17
	s_or_b32 exec_lo, exec_lo, s4
	s_and_saveexec_b32 s4, vcc_lo
	s_cbranch_execz .LBB355_3172
.LBB355_3229:
	ds_read_b32 v26, v24 offset:352
	s_waitcnt lgkmcnt(0)
	v_add_f32_e32 v15, v26, v15
	s_or_b32 exec_lo, exec_lo, s4
	s_and_saveexec_b32 s4, vcc_lo
	s_cbranch_execz .LBB355_3173
.LBB355_3230:
	ds_read_b32 v26, v24 offset:384
	s_waitcnt lgkmcnt(0)
	v_add_f32_e32 v13, v26, v13
	s_or_b32 exec_lo, exec_lo, s4
	s_and_saveexec_b32 s4, vcc_lo
	s_cbranch_execz .LBB355_3174
.LBB355_3231:
	ds_read_b32 v26, v24 offset:416
	s_waitcnt lgkmcnt(0)
	v_add_f32_e32 v11, v26, v11
	s_or_b32 exec_lo, exec_lo, s4
	s_and_saveexec_b32 s4, vcc_lo
	s_cbranch_execz .LBB355_3175
.LBB355_3232:
	ds_read_b32 v26, v24 offset:448
	s_waitcnt lgkmcnt(0)
	v_add_f32_e32 v9, v26, v9
	s_or_b32 exec_lo, exec_lo, s4
	s_and_saveexec_b32 s4, vcc_lo
	s_cbranch_execz .LBB355_3176
.LBB355_3233:
	ds_read_b32 v26, v24 offset:480
	s_waitcnt lgkmcnt(0)
	v_add_f32_e32 v8, v26, v8
	s_or_b32 exec_lo, exec_lo, s4
	s_and_saveexec_b32 s4, vcc_lo
	s_cbranch_execz .LBB355_3177
.LBB355_3234:
	ds_read_b32 v26, v24 offset:512
	s_waitcnt lgkmcnt(0)
	v_add_f32_e32 v7, v26, v7
	s_or_b32 exec_lo, exec_lo, s4
	s_and_saveexec_b32 s4, vcc_lo
	s_cbranch_execz .LBB355_3178
.LBB355_3235:
	ds_read_b32 v26, v24 offset:544
	s_waitcnt lgkmcnt(0)
	v_add_f32_e32 v6, v26, v6
	s_or_b32 exec_lo, exec_lo, s4
	s_and_saveexec_b32 s4, vcc_lo
	s_cbranch_execz .LBB355_3179
.LBB355_3236:
	ds_read_b32 v26, v24 offset:576
	s_waitcnt lgkmcnt(0)
	v_add_f32_e32 v5, v26, v5
	s_or_b32 exec_lo, exec_lo, s4
	s_and_saveexec_b32 s4, vcc_lo
	s_cbranch_execz .LBB355_3180
.LBB355_3237:
	ds_read_b32 v26, v24 offset:608
	s_waitcnt lgkmcnt(0)
	v_add_f32_e32 v4, v26, v4
	s_or_b32 exec_lo, exec_lo, s4
	s_and_saveexec_b32 s4, vcc_lo
	s_cbranch_execz .LBB355_3181
.LBB355_3238:
	ds_read_b32 v26, v24 offset:640
	s_waitcnt lgkmcnt(0)
	v_add_f32_e32 v3, v26, v3
	s_or_b32 exec_lo, exec_lo, s4
	s_and_saveexec_b32 s4, vcc_lo
	s_cbranch_execz .LBB355_3182
.LBB355_3239:
	ds_read_b32 v26, v24 offset:672
	s_waitcnt lgkmcnt(0)
	v_add_f32_e32 v0, v26, v0
	s_or_b32 exec_lo, exec_lo, s4
	s_and_saveexec_b32 s4, vcc_lo
	s_cbranch_execz .LBB355_3183
.LBB355_3240:
	ds_read_b32 v26, v24 offset:704
	s_waitcnt lgkmcnt(0)
	v_add_f32_e32 v1, v26, v1
	s_or_b32 exec_lo, exec_lo, s4
	s_and_saveexec_b32 s4, vcc_lo
	s_cbranch_execnz .LBB355_3184
	s_branch .LBB355_3185
.LBB355_3241:
	ds_read_b32 v25, v24
	s_waitcnt lgkmcnt(0)
	v_add_f32_e32 v23, v25, v23
	s_or_b32 exec_lo, exec_lo, s4
	s_and_saveexec_b32 s4, vcc_lo
	s_cbranch_execz .LBB355_3191
.LBB355_3242:
	ds_read_b32 v25, v24 offset:32
	s_waitcnt lgkmcnt(0)
	v_add_f32_e32 v22, v25, v22
	s_or_b32 exec_lo, exec_lo, s4
	s_and_saveexec_b32 s4, vcc_lo
	s_cbranch_execz .LBB355_3192
.LBB355_3243:
	ds_read_b32 v25, v24 offset:64
	s_waitcnt lgkmcnt(0)
	v_add_f32_e32 v20, v25, v20
	s_or_b32 exec_lo, exec_lo, s4
	s_and_saveexec_b32 s4, vcc_lo
	s_cbranch_execz .LBB355_3193
.LBB355_3244:
	ds_read_b32 v25, v24 offset:96
	s_waitcnt lgkmcnt(0)
	v_add_f32_e32 v18, v25, v18
	s_or_b32 exec_lo, exec_lo, s4
	s_and_saveexec_b32 s4, vcc_lo
	s_cbranch_execz .LBB355_3194
.LBB355_3245:
	ds_read_b32 v25, v24 offset:128
	s_waitcnt lgkmcnt(0)
	v_add_f32_e32 v16, v25, v16
	s_or_b32 exec_lo, exec_lo, s4
	s_and_saveexec_b32 s4, vcc_lo
	s_cbranch_execz .LBB355_3195
.LBB355_3246:
	ds_read_b32 v25, v24 offset:160
	s_waitcnt lgkmcnt(0)
	v_add_f32_e32 v14, v25, v14
	s_or_b32 exec_lo, exec_lo, s4
	s_and_saveexec_b32 s4, vcc_lo
	s_cbranch_execz .LBB355_3196
.LBB355_3247:
	ds_read_b32 v25, v24 offset:192
	s_waitcnt lgkmcnt(0)
	v_add_f32_e32 v12, v25, v12
	s_or_b32 exec_lo, exec_lo, s4
	s_and_saveexec_b32 s4, vcc_lo
	s_cbranch_execz .LBB355_3197
.LBB355_3248:
	ds_read_b32 v25, v24 offset:224
	s_waitcnt lgkmcnt(0)
	v_add_f32_e32 v10, v25, v10
	s_or_b32 exec_lo, exec_lo, s4
	s_and_saveexec_b32 s4, vcc_lo
	s_cbranch_execz .LBB355_3198
.LBB355_3249:
	ds_read_b32 v25, v24 offset:256
	s_waitcnt lgkmcnt(0)
	v_add_f32_e32 v21, v25, v21
	s_or_b32 exec_lo, exec_lo, s4
	s_and_saveexec_b32 s4, vcc_lo
	s_cbranch_execz .LBB355_3199
.LBB355_3250:
	ds_read_b32 v25, v24 offset:288
	s_waitcnt lgkmcnt(0)
	v_add_f32_e32 v19, v25, v19
	s_or_b32 exec_lo, exec_lo, s4
	s_and_saveexec_b32 s4, vcc_lo
	s_cbranch_execz .LBB355_3200
.LBB355_3251:
	ds_read_b32 v25, v24 offset:320
	s_waitcnt lgkmcnt(0)
	v_add_f32_e32 v17, v25, v17
	s_or_b32 exec_lo, exec_lo, s4
	s_and_saveexec_b32 s4, vcc_lo
	s_cbranch_execz .LBB355_3201
.LBB355_3252:
	ds_read_b32 v25, v24 offset:352
	s_waitcnt lgkmcnt(0)
	v_add_f32_e32 v15, v25, v15
	s_or_b32 exec_lo, exec_lo, s4
	s_and_saveexec_b32 s4, vcc_lo
	s_cbranch_execz .LBB355_3202
.LBB355_3253:
	ds_read_b32 v25, v24 offset:384
	s_waitcnt lgkmcnt(0)
	v_add_f32_e32 v13, v25, v13
	s_or_b32 exec_lo, exec_lo, s4
	s_and_saveexec_b32 s4, vcc_lo
	s_cbranch_execz .LBB355_3203
.LBB355_3254:
	ds_read_b32 v25, v24 offset:416
	s_waitcnt lgkmcnt(0)
	v_add_f32_e32 v11, v25, v11
	s_or_b32 exec_lo, exec_lo, s4
	s_and_saveexec_b32 s4, vcc_lo
	s_cbranch_execz .LBB355_3204
.LBB355_3255:
	ds_read_b32 v25, v24 offset:448
	s_waitcnt lgkmcnt(0)
	v_add_f32_e32 v9, v25, v9
	s_or_b32 exec_lo, exec_lo, s4
	s_and_saveexec_b32 s4, vcc_lo
	s_cbranch_execz .LBB355_3205
.LBB355_3256:
	ds_read_b32 v25, v24 offset:480
	s_waitcnt lgkmcnt(0)
	v_add_f32_e32 v8, v25, v8
	s_or_b32 exec_lo, exec_lo, s4
	s_and_saveexec_b32 s4, vcc_lo
	s_cbranch_execz .LBB355_3206
.LBB355_3257:
	ds_read_b32 v25, v24 offset:512
	s_waitcnt lgkmcnt(0)
	v_add_f32_e32 v7, v25, v7
	s_or_b32 exec_lo, exec_lo, s4
	s_and_saveexec_b32 s4, vcc_lo
	s_cbranch_execz .LBB355_3207
.LBB355_3258:
	ds_read_b32 v25, v24 offset:544
	s_waitcnt lgkmcnt(0)
	v_add_f32_e32 v6, v25, v6
	s_or_b32 exec_lo, exec_lo, s4
	s_and_saveexec_b32 s4, vcc_lo
	s_cbranch_execz .LBB355_3208
.LBB355_3259:
	ds_read_b32 v25, v24 offset:576
	s_waitcnt lgkmcnt(0)
	v_add_f32_e32 v5, v25, v5
	s_or_b32 exec_lo, exec_lo, s4
	s_and_saveexec_b32 s4, vcc_lo
	s_cbranch_execz .LBB355_3209
.LBB355_3260:
	ds_read_b32 v25, v24 offset:608
	s_waitcnt lgkmcnt(0)
	v_add_f32_e32 v4, v25, v4
	s_or_b32 exec_lo, exec_lo, s4
	s_and_saveexec_b32 s4, vcc_lo
	s_cbranch_execz .LBB355_3210
.LBB355_3261:
	ds_read_b32 v25, v24 offset:640
	s_waitcnt lgkmcnt(0)
	v_add_f32_e32 v3, v25, v3
	s_or_b32 exec_lo, exec_lo, s4
	s_and_saveexec_b32 s4, vcc_lo
	s_cbranch_execz .LBB355_3211
.LBB355_3262:
	ds_read_b32 v25, v24 offset:672
	s_waitcnt lgkmcnt(0)
	v_add_f32_e32 v0, v25, v0
	s_or_b32 exec_lo, exec_lo, s4
	s_and_saveexec_b32 s4, vcc_lo
	s_cbranch_execz .LBB355_3212
.LBB355_3263:
	ds_read_b32 v25, v24 offset:704
	s_waitcnt lgkmcnt(0)
	v_add_f32_e32 v1, v25, v1
	s_or_b32 exec_lo, exec_lo, s4
	s_and_saveexec_b32 s4, vcc_lo
	s_cbranch_execnz .LBB355_3213
	s_branch .LBB355_3214
.Lfunc_end355:
	.size	_ZN4vllm22paged_attention_kernelI14__hip_bfloat16hLi192ELi32ELi128ELNS_18Fp8KVCacheDataTypeE1ELb1ELi0EEEvPfS3_PT_PKS4_PKT0_SA_ifPKiSC_iPKfiiiSE_SE_iiiii, .Lfunc_end355-_ZN4vllm22paged_attention_kernelI14__hip_bfloat16hLi192ELi32ELi128ELNS_18Fp8KVCacheDataTypeE1ELb1ELi0EEEvPfS3_PT_PKS4_PKT0_SA_ifPKiSC_iPKfiiiSE_SE_iiiii
                                        ; -- End function
	.set .L_ZN4vllm22paged_attention_kernelI14__hip_bfloat16hLi192ELi32ELi128ELNS_18Fp8KVCacheDataTypeE1ELb1ELi0EEEvPfS3_PT_PKS4_PKT0_SA_ifPKiSC_iPKfiiiSE_SE_iiiii.num_vgpr, 128
	.set .L_ZN4vllm22paged_attention_kernelI14__hip_bfloat16hLi192ELi32ELi128ELNS_18Fp8KVCacheDataTypeE1ELb1ELi0EEEvPfS3_PT_PKS4_PKT0_SA_ifPKiSC_iPKfiiiSE_SE_iiiii.num_agpr, 0
	.set .L_ZN4vllm22paged_attention_kernelI14__hip_bfloat16hLi192ELi32ELi128ELNS_18Fp8KVCacheDataTypeE1ELb1ELi0EEEvPfS3_PT_PKS4_PKT0_SA_ifPKiSC_iPKfiiiSE_SE_iiiii.numbered_sgpr, 33
	.set .L_ZN4vllm22paged_attention_kernelI14__hip_bfloat16hLi192ELi32ELi128ELNS_18Fp8KVCacheDataTypeE1ELb1ELi0EEEvPfS3_PT_PKS4_PKT0_SA_ifPKiSC_iPKfiiiSE_SE_iiiii.num_named_barrier, 0
	.set .L_ZN4vllm22paged_attention_kernelI14__hip_bfloat16hLi192ELi32ELi128ELNS_18Fp8KVCacheDataTypeE1ELb1ELi0EEEvPfS3_PT_PKS4_PKT0_SA_ifPKiSC_iPKfiiiSE_SE_iiiii.private_seg_size, 1724
	.set .L_ZN4vllm22paged_attention_kernelI14__hip_bfloat16hLi192ELi32ELi128ELNS_18Fp8KVCacheDataTypeE1ELb1ELi0EEEvPfS3_PT_PKS4_PKT0_SA_ifPKiSC_iPKfiiiSE_SE_iiiii.uses_vcc, 1
	.set .L_ZN4vllm22paged_attention_kernelI14__hip_bfloat16hLi192ELi32ELi128ELNS_18Fp8KVCacheDataTypeE1ELb1ELi0EEEvPfS3_PT_PKS4_PKT0_SA_ifPKiSC_iPKfiiiSE_SE_iiiii.uses_flat_scratch, 0
	.set .L_ZN4vllm22paged_attention_kernelI14__hip_bfloat16hLi192ELi32ELi128ELNS_18Fp8KVCacheDataTypeE1ELb1ELi0EEEvPfS3_PT_PKS4_PKT0_SA_ifPKiSC_iPKfiiiSE_SE_iiiii.has_dyn_sized_stack, 0
	.set .L_ZN4vllm22paged_attention_kernelI14__hip_bfloat16hLi192ELi32ELi128ELNS_18Fp8KVCacheDataTypeE1ELb1ELi0EEEvPfS3_PT_PKS4_PKT0_SA_ifPKiSC_iPKfiiiSE_SE_iiiii.has_recursion, 0
	.set .L_ZN4vllm22paged_attention_kernelI14__hip_bfloat16hLi192ELi32ELi128ELNS_18Fp8KVCacheDataTypeE1ELb1ELi0EEEvPfS3_PT_PKS4_PKT0_SA_ifPKiSC_iPKfiiiSE_SE_iiiii.has_indirect_call, 0
	.section	.AMDGPU.csdata,"",@progbits
; Function info:
; codeLenInByte = 134480
; TotalNumSgprs: 35
; NumVgprs: 128
; ScratchSize: 1724
; MemoryBound: 0
	.section	.text._ZN4vllm25paged_attention_v1_kernelI14__hip_bfloat16hLi192ELi32ELi128ELNS_18Fp8KVCacheDataTypeE1ELb1EEEvPT_PKS3_PKT0_S9_ifPKiSB_iPKfiiiSD_SD_iiiii,"axG",@progbits,_ZN4vllm25paged_attention_v1_kernelI14__hip_bfloat16hLi192ELi32ELi128ELNS_18Fp8KVCacheDataTypeE1ELb1EEEvPT_PKS3_PKT0_S9_ifPKiSB_iPKfiiiSD_SD_iiiii,comdat
	.protected	_ZN4vllm25paged_attention_v1_kernelI14__hip_bfloat16hLi192ELi32ELi128ELNS_18Fp8KVCacheDataTypeE1ELb1EEEvPT_PKS3_PKT0_S9_ifPKiSB_iPKfiiiSD_SD_iiiii ; -- Begin function _ZN4vllm25paged_attention_v1_kernelI14__hip_bfloat16hLi192ELi32ELi128ELNS_18Fp8KVCacheDataTypeE1ELb1EEEvPT_PKS3_PKT0_S9_ifPKiSB_iPKfiiiSD_SD_iiiii
	.globl	_ZN4vllm25paged_attention_v1_kernelI14__hip_bfloat16hLi192ELi32ELi128ELNS_18Fp8KVCacheDataTypeE1ELb1EEEvPT_PKS3_PKT0_S9_ifPKiSB_iPKfiiiSD_SD_iiiii
	.p2align	8
	.type	_ZN4vllm25paged_attention_v1_kernelI14__hip_bfloat16hLi192ELi32ELi128ELNS_18Fp8KVCacheDataTypeE1ELb1EEEvPT_PKS3_PKT0_S9_ifPKiSB_iPKfiiiSD_SD_iiiii,@function
_ZN4vllm25paged_attention_v1_kernelI14__hip_bfloat16hLi192ELi32ELi128ELNS_18Fp8KVCacheDataTypeE1ELb1EEEvPT_PKS3_PKT0_S9_ifPKiSB_iPKfiiiSD_SD_iiiii: ; @_ZN4vllm25paged_attention_v1_kernelI14__hip_bfloat16hLi192ELi32ELi128ELNS_18Fp8KVCacheDataTypeE1ELb1EEEvPT_PKS3_PKT0_S9_ifPKiSB_iPKfiiiSD_SD_iiiii
; %bb.0:
	s_clause 0x7
	s_load_dwordx8 s[16:23], s[4:5], 0x0
	s_load_dwordx4 s[36:39], s[4:5], 0x20
	s_load_dwordx2 s[10:11], s[4:5], 0x30
	s_load_dword s13, s[4:5], 0x38
	s_load_dwordx2 s[34:35], s[4:5], 0x40
	s_load_dwordx8 s[24:31], s[4:5], 0x48
	s_load_dword s15, s[4:5], 0x78
	s_load_dwordx4 s[40:43], s[4:5], 0x68
	s_add_u32 s0, s0, s9
	s_addc_u32 s1, s1, 0
	v_mov_b32_e32 v31, v0
	s_mov_b32 s14, s8
	s_add_u32 s8, s4, 0x80
	s_addc_u32 s9, s5, 0
	s_getpc_b64 s[4:5]
	s_add_u32 s4, s4, _ZN4vllm22paged_attention_kernelI14__hip_bfloat16hLi192ELi32ELi128ELNS_18Fp8KVCacheDataTypeE1ELb1ELi0EEEvPfS3_PT_PKS4_PKT0_SA_ifPKiSC_iPKfiiiSE_SE_iiiii@rel32@lo+4
	s_addc_u32 s5, s5, _ZN4vllm22paged_attention_kernelI14__hip_bfloat16hLi192ELi32ELi128ELNS_18Fp8KVCacheDataTypeE1ELb1ELi0EEEvPfS3_PT_PKS4_PKT0_SA_ifPKiSC_iPKfiiiSE_SE_iiiii@rel32@hi+12
	s_mov_b32 s12, s6
	s_mov_b32 s32, 0
	s_waitcnt lgkmcnt(0)
	v_mov_b32_e32 v0, s16
	v_mov_b32_e32 v1, s17
	;; [unrolled: 1-line block ×29, first 2 shown]
	s_mov_b32 s13, s7
	s_mov_b32 s15, 9
	s_swappc_b64 s[30:31], s[4:5]
	s_endpgm
	.section	.rodata,"a",@progbits
	.p2align	6, 0x0
	.amdhsa_kernel _ZN4vllm25paged_attention_v1_kernelI14__hip_bfloat16hLi192ELi32ELi128ELNS_18Fp8KVCacheDataTypeE1ELb1EEEvPT_PKS3_PKT0_S9_ifPKiSB_iPKfiiiSD_SD_iiiii
		.amdhsa_group_segment_fixed_size 416
		.amdhsa_private_segment_fixed_size 1724
		.amdhsa_kernarg_size 384
		.amdhsa_user_sgpr_count 6
		.amdhsa_user_sgpr_private_segment_buffer 1
		.amdhsa_user_sgpr_dispatch_ptr 0
		.amdhsa_user_sgpr_queue_ptr 0
		.amdhsa_user_sgpr_kernarg_segment_ptr 1
		.amdhsa_user_sgpr_dispatch_id 0
		.amdhsa_user_sgpr_flat_scratch_init 0
		.amdhsa_user_sgpr_private_segment_size 0
		.amdhsa_wavefront_size32 1
		.amdhsa_uses_dynamic_stack 0
		.amdhsa_system_sgpr_private_segment_wavefront_offset 1
		.amdhsa_system_sgpr_workgroup_id_x 1
		.amdhsa_system_sgpr_workgroup_id_y 1
		.amdhsa_system_sgpr_workgroup_id_z 1
		.amdhsa_system_sgpr_workgroup_info 0
		.amdhsa_system_vgpr_workitem_id 0
		.amdhsa_next_free_vgpr 128
		.amdhsa_next_free_sgpr 44
		.amdhsa_reserve_vcc 1
		.amdhsa_reserve_flat_scratch 0
		.amdhsa_float_round_mode_32 0
		.amdhsa_float_round_mode_16_64 0
		.amdhsa_float_denorm_mode_32 3
		.amdhsa_float_denorm_mode_16_64 3
		.amdhsa_dx10_clamp 1
		.amdhsa_ieee_mode 1
		.amdhsa_fp16_overflow 0
		.amdhsa_workgroup_processor_mode 1
		.amdhsa_memory_ordered 1
		.amdhsa_forward_progress 1
		.amdhsa_shared_vgpr_count 0
		.amdhsa_exception_fp_ieee_invalid_op 0
		.amdhsa_exception_fp_denorm_src 0
		.amdhsa_exception_fp_ieee_div_zero 0
		.amdhsa_exception_fp_ieee_overflow 0
		.amdhsa_exception_fp_ieee_underflow 0
		.amdhsa_exception_fp_ieee_inexact 0
		.amdhsa_exception_int_div_zero 0
	.end_amdhsa_kernel
	.section	.text._ZN4vllm25paged_attention_v1_kernelI14__hip_bfloat16hLi192ELi32ELi128ELNS_18Fp8KVCacheDataTypeE1ELb1EEEvPT_PKS3_PKT0_S9_ifPKiSB_iPKfiiiSD_SD_iiiii,"axG",@progbits,_ZN4vllm25paged_attention_v1_kernelI14__hip_bfloat16hLi192ELi32ELi128ELNS_18Fp8KVCacheDataTypeE1ELb1EEEvPT_PKS3_PKT0_S9_ifPKiSB_iPKfiiiSD_SD_iiiii,comdat
.Lfunc_end356:
	.size	_ZN4vllm25paged_attention_v1_kernelI14__hip_bfloat16hLi192ELi32ELi128ELNS_18Fp8KVCacheDataTypeE1ELb1EEEvPT_PKS3_PKT0_S9_ifPKiSB_iPKfiiiSD_SD_iiiii, .Lfunc_end356-_ZN4vllm25paged_attention_v1_kernelI14__hip_bfloat16hLi192ELi32ELi128ELNS_18Fp8KVCacheDataTypeE1ELb1EEEvPT_PKS3_PKT0_S9_ifPKiSB_iPKfiiiSD_SD_iiiii
                                        ; -- End function
	.set _ZN4vllm25paged_attention_v1_kernelI14__hip_bfloat16hLi192ELi32ELi128ELNS_18Fp8KVCacheDataTypeE1ELb1EEEvPT_PKS3_PKT0_S9_ifPKiSB_iPKfiiiSD_SD_iiiii.num_vgpr, max(32, .L_ZN4vllm22paged_attention_kernelI14__hip_bfloat16hLi192ELi32ELi128ELNS_18Fp8KVCacheDataTypeE1ELb1ELi0EEEvPfS3_PT_PKS4_PKT0_SA_ifPKiSC_iPKfiiiSE_SE_iiiii.num_vgpr)
	.set _ZN4vllm25paged_attention_v1_kernelI14__hip_bfloat16hLi192ELi32ELi128ELNS_18Fp8KVCacheDataTypeE1ELb1EEEvPT_PKS3_PKT0_S9_ifPKiSB_iPKfiiiSD_SD_iiiii.num_agpr, max(0, .L_ZN4vllm22paged_attention_kernelI14__hip_bfloat16hLi192ELi32ELi128ELNS_18Fp8KVCacheDataTypeE1ELb1ELi0EEEvPfS3_PT_PKS4_PKT0_SA_ifPKiSC_iPKfiiiSE_SE_iiiii.num_agpr)
	.set _ZN4vllm25paged_attention_v1_kernelI14__hip_bfloat16hLi192ELi32ELi128ELNS_18Fp8KVCacheDataTypeE1ELb1EEEvPT_PKS3_PKT0_S9_ifPKiSB_iPKfiiiSD_SD_iiiii.numbered_sgpr, max(44, .L_ZN4vllm22paged_attention_kernelI14__hip_bfloat16hLi192ELi32ELi128ELNS_18Fp8KVCacheDataTypeE1ELb1ELi0EEEvPfS3_PT_PKS4_PKT0_SA_ifPKiSC_iPKfiiiSE_SE_iiiii.numbered_sgpr)
	.set _ZN4vllm25paged_attention_v1_kernelI14__hip_bfloat16hLi192ELi32ELi128ELNS_18Fp8KVCacheDataTypeE1ELb1EEEvPT_PKS3_PKT0_S9_ifPKiSB_iPKfiiiSD_SD_iiiii.num_named_barrier, max(0, .L_ZN4vllm22paged_attention_kernelI14__hip_bfloat16hLi192ELi32ELi128ELNS_18Fp8KVCacheDataTypeE1ELb1ELi0EEEvPfS3_PT_PKS4_PKT0_SA_ifPKiSC_iPKfiiiSE_SE_iiiii.num_named_barrier)
	.set _ZN4vllm25paged_attention_v1_kernelI14__hip_bfloat16hLi192ELi32ELi128ELNS_18Fp8KVCacheDataTypeE1ELb1EEEvPT_PKS3_PKT0_S9_ifPKiSB_iPKfiiiSD_SD_iiiii.private_seg_size, 0+max(.L_ZN4vllm22paged_attention_kernelI14__hip_bfloat16hLi192ELi32ELi128ELNS_18Fp8KVCacheDataTypeE1ELb1ELi0EEEvPfS3_PT_PKS4_PKT0_SA_ifPKiSC_iPKfiiiSE_SE_iiiii.private_seg_size)
	.set _ZN4vllm25paged_attention_v1_kernelI14__hip_bfloat16hLi192ELi32ELi128ELNS_18Fp8KVCacheDataTypeE1ELb1EEEvPT_PKS3_PKT0_S9_ifPKiSB_iPKfiiiSD_SD_iiiii.uses_vcc, or(1, .L_ZN4vllm22paged_attention_kernelI14__hip_bfloat16hLi192ELi32ELi128ELNS_18Fp8KVCacheDataTypeE1ELb1ELi0EEEvPfS3_PT_PKS4_PKT0_SA_ifPKiSC_iPKfiiiSE_SE_iiiii.uses_vcc)
	.set _ZN4vllm25paged_attention_v1_kernelI14__hip_bfloat16hLi192ELi32ELi128ELNS_18Fp8KVCacheDataTypeE1ELb1EEEvPT_PKS3_PKT0_S9_ifPKiSB_iPKfiiiSD_SD_iiiii.uses_flat_scratch, or(0, .L_ZN4vllm22paged_attention_kernelI14__hip_bfloat16hLi192ELi32ELi128ELNS_18Fp8KVCacheDataTypeE1ELb1ELi0EEEvPfS3_PT_PKS4_PKT0_SA_ifPKiSC_iPKfiiiSE_SE_iiiii.uses_flat_scratch)
	.set _ZN4vllm25paged_attention_v1_kernelI14__hip_bfloat16hLi192ELi32ELi128ELNS_18Fp8KVCacheDataTypeE1ELb1EEEvPT_PKS3_PKT0_S9_ifPKiSB_iPKfiiiSD_SD_iiiii.has_dyn_sized_stack, or(0, .L_ZN4vllm22paged_attention_kernelI14__hip_bfloat16hLi192ELi32ELi128ELNS_18Fp8KVCacheDataTypeE1ELb1ELi0EEEvPfS3_PT_PKS4_PKT0_SA_ifPKiSC_iPKfiiiSE_SE_iiiii.has_dyn_sized_stack)
	.set _ZN4vllm25paged_attention_v1_kernelI14__hip_bfloat16hLi192ELi32ELi128ELNS_18Fp8KVCacheDataTypeE1ELb1EEEvPT_PKS3_PKT0_S9_ifPKiSB_iPKfiiiSD_SD_iiiii.has_recursion, or(0, .L_ZN4vllm22paged_attention_kernelI14__hip_bfloat16hLi192ELi32ELi128ELNS_18Fp8KVCacheDataTypeE1ELb1ELi0EEEvPfS3_PT_PKS4_PKT0_SA_ifPKiSC_iPKfiiiSE_SE_iiiii.has_recursion)
	.set _ZN4vllm25paged_attention_v1_kernelI14__hip_bfloat16hLi192ELi32ELi128ELNS_18Fp8KVCacheDataTypeE1ELb1EEEvPT_PKS3_PKT0_S9_ifPKiSB_iPKfiiiSD_SD_iiiii.has_indirect_call, or(0, .L_ZN4vllm22paged_attention_kernelI14__hip_bfloat16hLi192ELi32ELi128ELNS_18Fp8KVCacheDataTypeE1ELb1ELi0EEEvPfS3_PT_PKS4_PKT0_SA_ifPKiSC_iPKfiiiSE_SE_iiiii.has_indirect_call)
	.section	.AMDGPU.csdata,"",@progbits
; Kernel info:
; codeLenInByte = 260
; TotalNumSgprs: 46
; NumVgprs: 128
; ScratchSize: 1724
; MemoryBound: 0
; FloatMode: 240
; IeeeMode: 1
; LDSByteSize: 416 bytes/workgroup (compile time only)
; SGPRBlocks: 0
; VGPRBlocks: 15
; NumSGPRsForWavesPerEU: 46
; NumVGPRsForWavesPerEU: 128
; Occupancy: 8
; WaveLimiterHint : 1
; COMPUTE_PGM_RSRC2:SCRATCH_EN: 1
; COMPUTE_PGM_RSRC2:USER_SGPR: 6
; COMPUTE_PGM_RSRC2:TRAP_HANDLER: 0
; COMPUTE_PGM_RSRC2:TGID_X_EN: 1
; COMPUTE_PGM_RSRC2:TGID_Y_EN: 1
; COMPUTE_PGM_RSRC2:TGID_Z_EN: 1
; COMPUTE_PGM_RSRC2:TIDIG_COMP_CNT: 0
	.text
	.p2align	2                               ; -- Begin function _ZN4vllm22paged_attention_kernelI14__hip_bfloat16hLi256ELi32ELi128ELNS_18Fp8KVCacheDataTypeE1ELb1ELi0EEEvPfS3_PT_PKS4_PKT0_SA_ifPKiSC_iPKfiiiSE_SE_iiiii
	.type	_ZN4vllm22paged_attention_kernelI14__hip_bfloat16hLi256ELi32ELi128ELNS_18Fp8KVCacheDataTypeE1ELb1ELi0EEEvPfS3_PT_PKS4_PKT0_SA_ifPKiSC_iPKfiiiSE_SE_iiiii,@function
_ZN4vllm22paged_attention_kernelI14__hip_bfloat16hLi256ELi32ELi128ELNS_18Fp8KVCacheDataTypeE1ELb1ELi0EEEvPfS3_PT_PKS4_PKT0_SA_ifPKiSC_iPKfiiiSE_SE_iiiii: ; @_ZN4vllm22paged_attention_kernelI14__hip_bfloat16hLi256ELi32ELi128ELNS_18Fp8KVCacheDataTypeE1ELb1ELi0EEEvPfS3_PT_PKS4_PKT0_SA_ifPKiSC_iPKfiiiSE_SE_iiiii
; %bb.0:
	s_waitcnt vmcnt(0) expcnt(0) lgkmcnt(0)
	buffer_store_dword v40, off, s[0:3], s32 offset:188 ; 4-byte Folded Spill
	buffer_store_dword v41, off, s[0:3], s32 offset:184 ; 4-byte Folded Spill
	;; [unrolled: 1-line block ×47, first 2 shown]
	buffer_store_dword v127, off, s[0:3], s32 ; 4-byte Folded Spill
	s_mov_b32 s10, s13
	s_ashr_i32 s11, s13, 31
	buffer_store_dword v22, off, s[0:3], s32 offset:1268 ; 4-byte Folded Spill
	buffer_store_dword v23, off, s[0:3], s32 offset:1272 ; 4-byte Folded Spill
	;; [unrolled: 1-line block ×6, first 2 shown]
	s_lshl_b64 s[6:7], s[10:11], 2
	buffer_store_dword v1, off, s[0:3], s32 offset:2328 ; 4-byte Folded Spill
	buffer_store_dword v0, off, s[0:3], s32 offset:2332 ; 4-byte Folded Spill
	v_add_co_u32 v0, vcc_lo, v12, s6
	v_add_co_ci_u32_e64 v1, null, s7, v13, vcc_lo
	s_clause 0x1
	s_load_dword s5, s[8:9], 0x10
	s_load_dword s6, s[8:9], 0x0
	v_mov_b32_e32 v34, v6
	flat_load_dword v49, v[0:1]
	v_sub_nc_u32_e32 v0, 0, v8
	v_mov_b32_e32 v33, v7
	s_mov_b32 s4, s15
	v_max_i32_e32 v0, v8, v0
	v_cvt_f32_u32_e32 v1, v0
	v_sub_nc_u32_e32 v6, 0, v0
	v_rcp_iflag_f32_e32 v1, v1
	s_waitcnt lgkmcnt(0)
	s_lshr_b32 s5, s5, 16
	s_cmp_lg_u32 s5, 0
	s_cselect_b32 s5, -1, 0
	s_cmp_lg_u32 s5, 0
	s_addc_u32 s11, s6, 0
	v_mul_f32_e32 v1, 0x4f7ffffe, v1
	s_abs_i32 s5, s11
	s_mov_b32 s6, exec_lo
	v_cvt_u32_f32_e32 v1, v1
	v_mul_lo_u32 v6, v6, v1
	v_mul_hi_u32 v6, v1, v6
	v_add_nc_u32_e32 v1, v1, v6
	v_mul_hi_u32 v1, s5, v1
	v_mul_lo_u32 v6, v1, v0
	v_add_nc_u32_e32 v7, 1, v1
	v_sub_nc_u32_e32 v6, s5, v6
	s_abs_i32 s5, s12
	v_sub_nc_u32_e32 v9, v6, v0
	v_cmp_ge_u32_e32 vcc_lo, v6, v0
	v_cndmask_b32_e32 v1, v1, v7, vcc_lo
	v_cndmask_b32_e32 v6, v6, v9, vcc_lo
	v_xor_b32_e32 v7, s11, v8
	v_add_nc_u32_e32 v9, 1, v1
	v_cmp_ge_u32_e32 vcc_lo, v6, v0
	v_ashrrev_i32_e32 v7, 31, v7
	v_cndmask_b32_e32 v0, v1, v9, vcc_lo
	v_xor_b32_e32 v0, v0, v7
	v_sub_nc_u32_e32 v1, v0, v7
	v_sub_nc_u32_e32 v0, 0, v1
	v_max_i32_e32 v0, v1, v0
	v_cvt_f32_u32_e32 v6, v0
	v_sub_nc_u32_e32 v7, 0, v0
	v_rcp_iflag_f32_e32 v6, v6
	v_mul_f32_e32 v6, 0x4f7ffffe, v6
	v_cvt_u32_f32_e32 v6, v6
	v_mul_lo_u32 v7, v7, v6
	v_mul_hi_u32 v7, v6, v7
	v_add_nc_u32_e32 v6, v6, v7
	v_mad_u64_u32 v[12:13], null, s5, v6, 0
	v_mov_b32_e32 v6, 0
	buffer_store_dword v6, off, s[0:3], s32 offset:1264 ; 4-byte Folded Spill
	v_cmpx_ne_u64_e32 0, v[15:16]
	s_cbranch_execz .LBB357_2
; %bb.1:
	s_ashr_i32 s13, s12, 31
	s_lshl_b64 s[16:17], s[12:13], 2
	v_add_co_u32 v6, vcc_lo, v15, s16
	v_add_co_ci_u32_e64 v7, null, s17, v16, vcc_lo
	flat_load_dword v6, v[6:7]
	s_waitcnt vmcnt(0) lgkmcnt(0)
	buffer_store_dword v6, off, s[0:3], s32 offset:1264 ; 4-byte Folded Spill
.LBB357_2:
	s_or_b32 exec_lo, exec_lo, s6
	v_and_b32_e32 v6, 0x3ff, v31
	v_ashrrev_i32_e32 v1, 31, v1
	s_ashr_i32 s6, s12, 31
	s_lshl_b32 s16, s12, 8
	s_mov_b32 s7, exec_lo
	buffer_store_dword v6, off, s[0:3], s32 offset:1260 ; 4-byte Folded Spill
	v_cmpx_gt_u32_e32 32, v6
	s_cbranch_execz .LBB357_4
; %bb.3:
	buffer_load_dword v9, off, s[0:3], s32 offset:1260 ; 4-byte Folded Reload
	v_mul_lo_u32 v6, v17, s10
	s_ashr_i32 s17, s16, 31
	s_lshl_b64 s[18:19], s[16:17], 1
	v_ashrrev_i32_e32 v7, 31, v6
	v_lshlrev_b64 v[6:7], 1, v[6:7]
	v_add_co_u32 v2, vcc_lo, v2, v6
	v_add_co_ci_u32_e64 v3, null, v3, v7, vcc_lo
	v_add_co_u32 v2, vcc_lo, v2, s18
	v_add_co_ci_u32_e64 v3, null, s19, v3, vcc_lo
	s_waitcnt vmcnt(0)
	v_lshlrev_b32_e32 v15, 4, v9
	v_add_co_u32 v2, vcc_lo, v2, v15
	v_add_co_ci_u32_e64 v3, null, 0, v3, vcc_lo
	flat_load_dwordx4 v[20:23], v[2:3]
	s_waitcnt vmcnt(0) lgkmcnt(0)
	ds_write_b128 v15, v[20:23]
.LBB357_4:
	s_or_b32 exec_lo, exec_lo, s7
	v_sub_nc_u32_e32 v2, 0, v27
	v_mul_lo_u32 v3, v13, v0
	v_add_nc_u32_e32 v7, 1, v13
	v_xor_b32_e32 v1, s6, v1
	v_max_i32_e32 v6, v27, v2
	v_sub_nc_u32_e32 v3, s5, v3
	v_cvt_f32_u32_e32 v2, v6
	buffer_store_dword v6, off, s[0:3], s32 offset:204 ; 4-byte Folded Spill
	v_sub_nc_u32_e32 v6, 0, v6
	s_mov_b32 s5, exec_lo
	v_sub_nc_u32_e32 v9, v3, v0
	v_rcp_iflag_f32_e32 v2, v2
	v_cmp_ge_u32_e32 vcc_lo, v3, v0
	v_cndmask_b32_e32 v7, v13, v7, vcc_lo
	v_cndmask_b32_e32 v3, v3, v9, vcc_lo
	v_mul_f32_e32 v2, 0x4f7ffffe, v2
	v_add_nc_u32_e32 v9, 1, v7
	v_cmp_ge_u32_e32 vcc_lo, v3, v0
	v_cvt_u32_f32_e32 v2, v2
	v_cndmask_b32_e32 v3, v7, v9, vcc_lo
	v_mul_lo_u32 v12, v6, v2
	s_waitcnt vmcnt(0)
	v_add_nc_u32_e32 v6, -1, v49
	v_xor_b32_e32 v7, v3, v1
	v_mul_hi_u32 v13, v2, v12
	v_sub_nc_u32_e32 v12, 0, v6
	v_max_i32_e32 v0, v6, v12
	v_add_nc_u32_e32 v2, v2, v13
	buffer_store_dword v2, off, s[0:3], s32 offset:220 ; 4-byte Folded Spill
	v_mad_u64_u32 v[2:3], null, v0, v2, 0
	v_sub_nc_u32_e32 v2, v7, v1
                                        ; implicit-def: $vgpr1
	s_waitcnt lgkmcnt(0)
	s_waitcnt_vscnt null, 0x0
	s_barrier
	buffer_gl0_inv
	buffer_store_dword v1, off, s[0:3], s32 offset:208 ; 4-byte Folded Spill
	buffer_store_dword v2, off, s[0:3], s32 offset:212 ; 4-byte Folded Spill
	v_cmpx_gt_i32_e32 0, v28
	s_xor_b32 s5, exec_lo, s5
	s_cbranch_execz .LBB357_6
; %bb.5:
	v_mad_u64_u32 v[7:8], null, v24, v8, v[2:3]
                                        ; implicit-def: $vgpr24
	v_mul_lo_u32 v1, v7, v28
                                        ; implicit-def: $vgpr28
	v_sub_nc_u32_e32 v1, 1, v1
	buffer_store_dword v1, off, s[0:3], s32 offset:208 ; 4-byte Folded Spill
	buffer_store_dword v2, off, s[0:3], s32 offset:212 ; 4-byte Folded Spill
.LBB357_6:
	s_or_saveexec_b32 s5, s5
	v_ashrrev_i32_e32 v1, 31, v6
	v_ashrrev_i32_e32 v6, 31, v27
	buffer_store_dword v6, off, s[0:3], s32 offset:216 ; 4-byte Folded Spill
	s_xor_b32 exec_lo, exec_lo, s5
	s_cbranch_execz .LBB357_8
; %bb.7:
	v_mad_u64_u32 v[6:7], null, s11, v24, s[12:13]
	v_mad_u64_u32 v[6:7], null, v6, v28, 1
	buffer_store_dword v6, off, s[0:3], s32 offset:208 ; 4-byte Folded Spill
	buffer_store_dword v7, off, s[0:3], s32 offset:212 ; 4-byte Folded Spill
.LBB357_8:
	s_or_b32 exec_lo, exec_lo, s5
	buffer_load_dword v12, off, s[0:3], s32 offset:204 ; 4-byte Folded Reload
	s_clause 0x1
	s_load_dword s7, s[8:9], 0x14
	s_load_dword s15, s[8:9], 0x8
	buffer_load_dword v9, off, s[0:3], s32 offset:216 ; 4-byte Folded Reload
	v_add_nc_u32_e32 v7, 31, v49
	s_ashr_i32 s5, s4, 31
	s_getpc_b64 s[8:9]
	s_add_u32 s8, s8, llvm.amdgcn.dynlds.offset.table@rel32@lo+4
	s_addc_u32 s9, s9, llvm.amdgcn.dynlds.offset.table@rel32@hi+12
	v_sub_nc_u32_e32 v36, 0, v26
	s_lshl_b64 s[12:13], s[4:5], 2
	s_add_u32 s8, s8, s12
	s_addc_u32 s9, s9, s13
	s_waitcnt vmcnt(1)
	v_mul_lo_u32 v6, v3, v12
	v_sub_nc_u32_e32 v6, v0, v6
	v_add_nc_u32_e32 v0, 1, v3
	v_cmp_ge_u32_e32 vcc_lo, v6, v12
	v_sub_nc_u32_e32 v8, v6, v12
	v_cndmask_b32_e32 v3, v3, v0, vcc_lo
	v_mul_lo_u32 v0, v14, s10
	buffer_load_dword v14, off, s[0:3], s32 offset:1260 ; 4-byte Folded Reload
	v_cndmask_b32_e32 v6, v6, v8, vcc_lo
	s_waitcnt vmcnt(1)
	v_xor_b32_e32 v9, v1, v9
	v_ashrrev_i32_e32 v1, 31, v7
	v_add_nc_u32_e32 v8, 1, v3
	v_cmp_ge_u32_e32 vcc_lo, v6, v12
	v_mul_lo_u32 v12, v2, v19
	v_lshrrev_b32_e32 v1, 27, v1
	v_cndmask_b32_e32 v3, v3, v8, vcc_lo
	v_add_nc_u32_e32 v2, v7, v1
	v_ashrrev_i32_e32 v1, 31, v0
	v_mov_b32_e32 v7, 0xff7fffff
	v_xor_b32_e32 v3, v3, v9
	v_ashrrev_i32_e32 v35, 31, v12
	v_ashrrev_i32_e32 v6, 5, v2
	v_lshlrev_b64 v[37:38], 2, v[0:1]
	v_sub_nc_u32_e32 v2, v3, v9
	v_sub_nc_u32_e32 v0, v2, v25
	s_waitcnt vmcnt(0)
	v_lshrrev_b32_e32 v13, 5, v14
	v_and_b32_e32 v14, 31, v14
	buffer_store_dword v13, off, s[0:3], s32 offset:2324 ; 4-byte Folded Spill
	buffer_store_dword v6, off, s[0:3], s32 offset:192 ; 4-byte Folded Spill
	v_cmp_lt_i32_e64 s4, v13, v6
	v_lshlrev_b32_e32 v13, 2, v14
	buffer_store_dword v0, off, s[0:3], s32 offset:224 ; 4-byte Folded Spill
	buffer_store_dword v14, off, s[0:3], s32 offset:1256 ; 4-byte Folded Spill
	s_and_saveexec_b32 s17, s4
	s_cbranch_execz .LBB357_2064
; %bb.9:
	v_mov_b32_e32 v14, 0
	buffer_store_dword v34, off, s[0:3], s32 offset:2348 ; 4-byte Folded Spill
	buffer_store_dword v33, off, s[0:3], s32 offset:2340 ; 4-byte Folded Spill
	v_mov_b32_e32 v43, 0x80
	s_mov_b32 s12, -1
	s_mov_b32 s18, 0
	ds_read_b128 v[0:3], v14
	ds_read_b128 v[6:9], v14 offset:16
	ds_read_b128 v[19:22], v14 offset:32
	ds_read_b128 v[15:18], v14 offset:48
	s_mov_b32 s13, 0xffffff
	s_waitcnt lgkmcnt(0)
	v_lshlrev_b32_e32 v23, 16, v0
	v_and_b32_e32 v0, 0xffff0000, v0
	buffer_store_dword v23, off, s[0:3], s32 offset:1288 ; 4-byte Folded Spill
	buffer_store_dword v0, off, s[0:3], s32 offset:1292 ; 4-byte Folded Spill
	v_lshlrev_b32_e32 v0, 16, v1
	buffer_store_dword v0, off, s[0:3], s32 offset:1296 ; 4-byte Folded Spill
	v_and_b32_e32 v0, 0xffff0000, v1
	buffer_store_dword v0, off, s[0:3], s32 offset:1300 ; 4-byte Folded Spill
	v_lshlrev_b32_e32 v0, 16, v2
	buffer_store_dword v0, off, s[0:3], s32 offset:1304 ; 4-byte Folded Spill
	v_and_b32_e32 v0, 0xffff0000, v2
	;; [unrolled: 4-line block ×4, first 2 shown]
	v_and_b32_e32 v6, 0xffff0000, v15
	buffer_store_dword v0, off, s[0:3], s32 offset:1324 ; 4-byte Folded Spill
	v_lshlrev_b32_e32 v0, 16, v7
	buffer_store_dword v6, off, s[0:3], s32 offset:1388 ; 4-byte Folded Spill
	v_lshlrev_b32_e32 v6, 16, v16
	buffer_store_dword v0, off, s[0:3], s32 offset:1328 ; 4-byte Folded Spill
	v_and_b32_e32 v0, 0xffff0000, v7
	buffer_store_dword v6, off, s[0:3], s32 offset:1392 ; 4-byte Folded Spill
	v_and_b32_e32 v6, 0xffff0000, v16
	buffer_store_dword v0, off, s[0:3], s32 offset:1332 ; 4-byte Folded Spill
	v_lshlrev_b32_e32 v0, 16, v8
	buffer_store_dword v6, off, s[0:3], s32 offset:1396 ; 4-byte Folded Spill
	v_lshlrev_b32_e32 v6, 16, v17
	buffer_store_dword v0, off, s[0:3], s32 offset:1336 ; 4-byte Folded Spill
	v_and_b32_e32 v0, 0xffff0000, v8
	buffer_store_dword v6, off, s[0:3], s32 offset:1400 ; 4-byte Folded Spill
	;; [unrolled: 8-line block ×3, first 2 shown]
	v_and_b32_e32 v6, 0xffff0000, v18
	buffer_store_dword v0, off, s[0:3], s32 offset:1348 ; 4-byte Folded Spill
	v_lshlrev_b32_e32 v0, 16, v19
	buffer_store_dword v6, off, s[0:3], s32 offset:1412 ; 4-byte Folded Spill
	ds_read_b128 v[6:9], v14 offset:80
	buffer_store_dword v0, off, s[0:3], s32 offset:1352 ; 4-byte Folded Spill
	v_and_b32_e32 v0, 0xffff0000, v19
	buffer_store_dword v0, off, s[0:3], s32 offset:1356 ; 4-byte Folded Spill
	v_lshlrev_b32_e32 v0, 16, v20
	buffer_store_dword v0, off, s[0:3], s32 offset:1360 ; 4-byte Folded Spill
	v_and_b32_e32 v0, 0xffff0000, v20
	buffer_store_dword v0, off, s[0:3], s32 offset:1364 ; 4-byte Folded Spill
	v_lshlrev_b32_e32 v0, 16, v21
	buffer_store_dword v0, off, s[0:3], s32 offset:1368 ; 4-byte Folded Spill
	v_and_b32_e32 v0, 0xffff0000, v21
	buffer_store_dword v0, off, s[0:3], s32 offset:1372 ; 4-byte Folded Spill
	v_lshlrev_b32_e32 v0, 16, v22
	buffer_store_dword v0, off, s[0:3], s32 offset:1376 ; 4-byte Folded Spill
	v_and_b32_e32 v0, 0xffff0000, v22
	buffer_store_dword v0, off, s[0:3], s32 offset:1380 ; 4-byte Folded Spill
	v_lshlrev_b32_e32 v0, 16, v15
	buffer_store_dword v0, off, s[0:3], s32 offset:1384 ; 4-byte Folded Spill
	ds_read_b128 v[0:3], v14 offset:64
	s_waitcnt lgkmcnt(0)
	v_lshlrev_b32_e32 v15, 16, v0
	v_and_b32_e32 v0, 0xffff0000, v0
	buffer_store_dword v15, off, s[0:3], s32 offset:1416 ; 4-byte Folded Spill
	buffer_store_dword v0, off, s[0:3], s32 offset:1420 ; 4-byte Folded Spill
	v_lshlrev_b32_e32 v0, 16, v1
	buffer_store_dword v0, off, s[0:3], s32 offset:1424 ; 4-byte Folded Spill
	v_and_b32_e32 v0, 0xffff0000, v1
	buffer_store_dword v0, off, s[0:3], s32 offset:1428 ; 4-byte Folded Spill
	v_lshlrev_b32_e32 v0, 16, v2
	buffer_store_dword v0, off, s[0:3], s32 offset:1432 ; 4-byte Folded Spill
	v_and_b32_e32 v0, 0xffff0000, v2
	;; [unrolled: 4-line block ×7, first 2 shown]
	buffer_store_dword v0, off, s[0:3], s32 offset:1476 ; 4-byte Folded Spill
	ds_read_b128 v[0:3], v14 offset:96
	ds_read_b128 v[6:9], v14 offset:112
	s_waitcnt lgkmcnt(1)
	v_lshlrev_b32_e32 v15, 16, v0
	v_and_b32_e32 v0, 0xffff0000, v0
	buffer_store_dword v15, off, s[0:3], s32 offset:1480 ; 4-byte Folded Spill
	buffer_store_dword v0, off, s[0:3], s32 offset:1484 ; 4-byte Folded Spill
	v_lshlrev_b32_e32 v0, 16, v1
	buffer_store_dword v0, off, s[0:3], s32 offset:1488 ; 4-byte Folded Spill
	v_and_b32_e32 v0, 0xffff0000, v1
	buffer_store_dword v0, off, s[0:3], s32 offset:1492 ; 4-byte Folded Spill
	v_lshlrev_b32_e32 v0, 16, v2
	buffer_store_dword v0, off, s[0:3], s32 offset:1496 ; 4-byte Folded Spill
	v_and_b32_e32 v0, 0xffff0000, v2
	buffer_store_dword v0, off, s[0:3], s32 offset:1500 ; 4-byte Folded Spill
	v_lshlrev_b32_e32 v0, 16, v3
	buffer_store_dword v0, off, s[0:3], s32 offset:1504 ; 4-byte Folded Spill
	v_and_b32_e32 v0, 0xffff0000, v3
	buffer_store_dword v0, off, s[0:3], s32 offset:1508 ; 4-byte Folded Spill
	s_waitcnt lgkmcnt(0)
	v_lshlrev_b32_e32 v0, 16, v6
	buffer_store_dword v0, off, s[0:3], s32 offset:1512 ; 4-byte Folded Spill
	v_and_b32_e32 v0, 0xffff0000, v6
	buffer_store_dword v0, off, s[0:3], s32 offset:1516 ; 4-byte Folded Spill
	v_lshlrev_b32_e32 v0, 16, v7
	buffer_store_dword v0, off, s[0:3], s32 offset:1520 ; 4-byte Folded Spill
	v_and_b32_e32 v0, 0xffff0000, v7
	buffer_store_dword v0, off, s[0:3], s32 offset:1524 ; 4-byte Folded Spill
	v_lshlrev_b32_e32 v0, 16, v8
	buffer_store_dword v0, off, s[0:3], s32 offset:1528 ; 4-byte Folded Spill
	v_and_b32_e32 v0, 0xffff0000, v8
	buffer_store_dword v0, off, s[0:3], s32 offset:1532 ; 4-byte Folded Spill
	v_lshlrev_b32_e32 v0, 16, v9
	buffer_store_dword v0, off, s[0:3], s32 offset:1536 ; 4-byte Folded Spill
	v_and_b32_e32 v0, 0xffff0000, v9
	buffer_store_dword v0, off, s[0:3], s32 offset:1540 ; 4-byte Folded Spill
	ds_read_b128 v[0:3], v14 offset:128
	ds_read_b128 v[6:9], v14 offset:144
	s_waitcnt lgkmcnt(1)
	v_lshlrev_b32_e32 v15, 16, v0
	v_and_b32_e32 v0, 0xffff0000, v0
	buffer_store_dword v15, off, s[0:3], s32 offset:1544 ; 4-byte Folded Spill
	buffer_store_dword v0, off, s[0:3], s32 offset:1548 ; 4-byte Folded Spill
	v_lshlrev_b32_e32 v0, 16, v1
	buffer_store_dword v0, off, s[0:3], s32 offset:1552 ; 4-byte Folded Spill
	v_and_b32_e32 v0, 0xffff0000, v1
	buffer_store_dword v0, off, s[0:3], s32 offset:1556 ; 4-byte Folded Spill
	v_lshlrev_b32_e32 v0, 16, v2
	buffer_store_dword v0, off, s[0:3], s32 offset:1560 ; 4-byte Folded Spill
	v_and_b32_e32 v0, 0xffff0000, v2
	buffer_store_dword v0, off, s[0:3], s32 offset:1564 ; 4-byte Folded Spill
	v_lshlrev_b32_e32 v0, 16, v3
	buffer_store_dword v0, off, s[0:3], s32 offset:1568 ; 4-byte Folded Spill
	v_and_b32_e32 v0, 0xffff0000, v3
	buffer_store_dword v0, off, s[0:3], s32 offset:1572 ; 4-byte Folded Spill
	s_waitcnt lgkmcnt(0)
	v_lshlrev_b32_e32 v0, 16, v6
	buffer_store_dword v0, off, s[0:3], s32 offset:1576 ; 4-byte Folded Spill
	v_and_b32_e32 v0, 0xffff0000, v6
	buffer_store_dword v0, off, s[0:3], s32 offset:1580 ; 4-byte Folded Spill
	v_lshlrev_b32_e32 v0, 16, v7
	buffer_store_dword v0, off, s[0:3], s32 offset:1584 ; 4-byte Folded Spill
	v_and_b32_e32 v0, 0xffff0000, v7
	buffer_store_dword v0, off, s[0:3], s32 offset:1588 ; 4-byte Folded Spill
	v_lshlrev_b32_e32 v0, 16, v8
	buffer_store_dword v0, off, s[0:3], s32 offset:1592 ; 4-byte Folded Spill
	v_and_b32_e32 v0, 0xffff0000, v8
	buffer_store_dword v0, off, s[0:3], s32 offset:1596 ; 4-byte Folded Spill
	v_lshlrev_b32_e32 v0, 16, v9
	buffer_store_dword v0, off, s[0:3], s32 offset:1600 ; 4-byte Folded Spill
	v_and_b32_e32 v0, 0xffff0000, v9
	;; [unrolled: 36-line block ×12, first 2 shown]
	buffer_store_dword v0, off, s[0:3], s32 offset:2244 ; 4-byte Folded Spill
	ds_read_b128 v[0:3], v14 offset:480
	ds_read_b128 v[6:9], v14 offset:496
	s_waitcnt lgkmcnt(1)
	v_lshlrev_b32_e32 v15, 16, v0
	v_and_b32_e32 v0, 0xffff0000, v0
	buffer_store_dword v15, off, s[0:3], s32 offset:2248 ; 4-byte Folded Spill
	buffer_store_dword v0, off, s[0:3], s32 offset:2252 ; 4-byte Folded Spill
	v_lshlrev_b32_e32 v0, 16, v1
	buffer_store_dword v0, off, s[0:3], s32 offset:2256 ; 4-byte Folded Spill
	v_and_b32_e32 v0, 0xffff0000, v1
	buffer_store_dword v0, off, s[0:3], s32 offset:2260 ; 4-byte Folded Spill
	v_lshlrev_b32_e32 v0, 16, v2
	buffer_store_dword v0, off, s[0:3], s32 offset:2264 ; 4-byte Folded Spill
	v_and_b32_e32 v0, 0xffff0000, v2
	;; [unrolled: 4-line block ×3, first 2 shown]
	buffer_store_dword v0, off, s[0:3], s32 offset:2276 ; 4-byte Folded Spill
	s_waitcnt lgkmcnt(0)
	v_lshlrev_b32_e32 v0, 16, v6
	buffer_store_dword v0, off, s[0:3], s32 offset:2280 ; 4-byte Folded Spill
	v_and_b32_e32 v0, 0xffff0000, v6
	buffer_store_dword v0, off, s[0:3], s32 offset:2284 ; 4-byte Folded Spill
	v_lshlrev_b32_e32 v0, 16, v7
	buffer_store_dword v0, off, s[0:3], s32 offset:2288 ; 4-byte Folded Spill
	v_and_b32_e32 v0, 0xffff0000, v7
	v_mov_b32_e32 v7, 0xff7fffff
	buffer_store_dword v0, off, s[0:3], s32 offset:2292 ; 4-byte Folded Spill
	v_lshlrev_b32_e32 v0, 16, v8
	buffer_store_dword v0, off, s[0:3], s32 offset:2296 ; 4-byte Folded Spill
	v_and_b32_e32 v0, 0xffff0000, v8
	buffer_store_dword v0, off, s[0:3], s32 offset:2300 ; 4-byte Folded Spill
	v_lshlrev_b32_e32 v0, 16, v9
	buffer_store_dword v0, off, s[0:3], s32 offset:2304 ; 4-byte Folded Spill
	v_and_b32_e32 v0, 0xffff0000, v9
	buffer_store_dword v0, off, s[0:3], s32 offset:2308 ; 4-byte Folded Spill
	buffer_store_dword v12, off, s[0:3], s32 offset:2356 ; 4-byte Folded Spill
	;; [unrolled: 1-line block ×5, first 2 shown]
	v_add_co_u32 v0, vcc_lo, v4, v12
	buffer_load_dword v4, off, s[0:3], s32 offset:1256 ; 4-byte Folded Reload
	v_add_co_ci_u32_e64 v1, null, v5, v35, vcc_lo
	v_max_i32_e32 v5, v26, v36
	v_sub_nc_u32_e32 v2, 0, v5
	s_waitcnt vmcnt(0)
	v_lshlrev_b32_e32 v3, 4, v4
	v_add_co_u32 v0, vcc_lo, v0, v3
	v_add_co_ci_u32_e64 v1, null, 0, v1, vcc_lo
	buffer_store_dword v0, off, s[0:3], s32 offset:2312 ; 4-byte Folded Spill
	buffer_store_dword v1, off, s[0:3], s32 offset:2316 ; 4-byte Folded Spill
	;; [unrolled: 1-line block ×3, first 2 shown]
	v_cvt_f32_u32_e32 v0, v5
	v_rcp_iflag_f32_e32 v0, v0
	v_mul_f32_e32 v0, 0x4f7ffffe, v0
	v_cvt_u32_f32_e32 v0, v0
	v_mul_lo_u32 v1, v2, v0
	v_mul_hi_u32 v1, v0, v1
	v_add_nc_u32_e32 v0, v0, v1
	buffer_store_dword v0, off, s[0:3], s32 offset:788 ; 4-byte Folded Spill
	buffer_load_dword v0, off, s[0:3], s32 offset:1260 ; 4-byte Folded Reload
	s_waitcnt vmcnt(0)
	v_lshrrev_b32_e32 v0, 3, v0
	v_and_b32_e32 v0, 0x7c, v0
	v_add_co_u32 v0, vcc_lo, v0, v37
	buffer_store_dword v37, off, s[0:3], s32 offset:2368 ; 4-byte Folded Spill
	buffer_store_dword v38, off, s[0:3], s32 offset:2372 ; 4-byte Folded Spill
	buffer_store_dword v10, off, s[0:3], s32 offset:2352 ; 4-byte Folded Spill
	buffer_store_dword v11, off, s[0:3], s32 offset:2344 ; 4-byte Folded Spill
	v_add_co_ci_u32_e64 v1, null, 0, v38, vcc_lo
	v_add_co_u32 v0, vcc_lo, v10, v0
	v_add_co_ci_u32_e64 v1, null, v11, v1, vcc_lo
	buffer_store_dword v0, off, s[0:3], s32 offset:196 ; 4-byte Folded Spill
	buffer_store_dword v1, off, s[0:3], s32 offset:200 ; 4-byte Folded Spill
	buffer_load_dword v0, off, s[0:3], s32 offset:1264 ; 4-byte Folded Reload
	s_load_dword s19, s[8:9], 0x0
	buffer_store_dword v13, off, s[0:3], s32 offset:2376 ; 4-byte Folded Spill
	s_waitcnt vmcnt(0)
	v_cmp_neq_f32_e32 vcc_lo, 0, v0
	v_sub_nc_u32_e32 v0, v4, v49
	v_add_nc_u32_e32 v0, 1, v0
	buffer_store_dword v0, off, s[0:3], s32 offset:2320 ; 4-byte Folded Spill
	buffer_load_dword v0, off, s[0:3], s32 offset:2324 ; 4-byte Folded Reload
	s_waitcnt vmcnt(0)
	v_lshlrev_b32_e32 v5, 5, v0
	v_lshl_or_b32 v6, v0, 7, v13
	v_mov_b32_e32 v2, v0
	s_branch .LBB357_15
.LBB357_10:                             ;   in Loop: Header=BB357_15 Depth=1
	s_or_b32 exec_lo, exec_lo, s23
	v_mov_b32_e32 v13, 24
	v_lshl_add_u32 v24, v24, 23, 0x3c000000
	v_lshlrev_b32_sdwa v13, v13, v25 dst_sel:DWORD dst_unused:UNUSED_PAD src0_sel:DWORD src1_sel:BYTE_3
	v_lshlrev_b32_e32 v25, 20, v27
	v_and_b32_e32 v13, 0x80000000, v13
	v_or3_b32 v93, v25, v13, v24
.LBB357_11:                             ;   in Loop: Header=BB357_15 Depth=1
	s_or_b32 exec_lo, exec_lo, s22
.LBB357_12:                             ;   in Loop: Header=BB357_15 Depth=1
	s_or_b32 exec_lo, exec_lo, s21
.LBB357_13:                             ;   in Loop: Header=BB357_15 Depth=1
	s_or_b32 exec_lo, exec_lo, s20
	v_mul_f32_e32 v13, v48, v89
	v_mul_f32_e32 v8, v48, v8
	;; [unrolled: 1-line block ×4, first 2 shown]
	v_bfe_u32 v24, v13, 16, 1
	v_or_b32_e32 v25, 0x400000, v13
	v_cmp_u_f32_e64 s5, v13, v13
	v_add3_u32 v24, v24, v13, 0x7fff
	v_cndmask_b32_e64 v13, v24, v25, s5
	buffer_store_dword v13, off, s[0:3], s32 offset:808 ; 4-byte Folded Spill
	v_mul_f32_e32 v13, v48, v63
	v_bfe_u32 v24, v13, 16, 1
	v_or_b32_e32 v25, 0x400000, v13
	v_cmp_u_f32_e64 s5, v13, v13
	v_add3_u32 v24, v24, v13, 0x7fff
	v_cndmask_b32_e64 v13, v24, v25, s5
	buffer_store_dword v13, off, s[0:3], s32 offset:812 ; 4-byte Folded Spill
	v_mul_f32_e32 v13, v48, v88
	;; [unrolled: 7-line block ×8, first 2 shown]
	v_bfe_u32 v24, v13, 16, 1
	v_or_b32_e32 v25, 0x400000, v13
	v_cmp_u_f32_e64 s5, v13, v13
	v_add3_u32 v24, v24, v13, 0x7fff
	v_cndmask_b32_e64 v13, v24, v25, s5
	v_or_b32_e32 v24, 0x400000, v8
	v_cmp_u_f32_e64 s5, v8, v8
	buffer_store_dword v13, off, s[0:3], s32 offset:840 ; 4-byte Folded Spill
	v_bfe_u32 v13, v8, 16, 1
	v_add3_u32 v13, v13, v8, 0x7fff
	v_cndmask_b32_e64 v8, v13, v24, s5
	buffer_store_dword v8, off, s[0:3], s32 offset:844 ; 4-byte Folded Spill
	v_mul_f32_e32 v8, v48, v91
	v_bfe_u32 v13, v8, 16, 1
	v_or_b32_e32 v24, 0x400000, v8
	v_cmp_u_f32_e64 s5, v8, v8
	v_add3_u32 v13, v13, v8, 0x7fff
	v_cndmask_b32_e64 v8, v13, v24, s5
	buffer_store_dword v8, off, s[0:3], s32 offset:848 ; 4-byte Folded Spill
	v_mul_f32_e32 v8, v48, v99
	v_bfe_u32 v13, v8, 16, 1
	v_or_b32_e32 v24, 0x400000, v8
	v_cmp_u_f32_e64 s5, v8, v8
	;; [unrolled: 7-line block ×9, first 2 shown]
	v_add3_u32 v13, v13, v8, 0x7fff
	v_cndmask_b32_e64 v8, v13, v24, s5
	v_or_b32_e32 v13, 0x400000, v1
	v_cmp_u_f32_e64 s5, v1, v1
	buffer_store_dword v8, off, s[0:3], s32 offset:884 ; 4-byte Folded Spill
	v_bfe_u32 v8, v1, 16, 1
	v_add3_u32 v8, v8, v1, 0x7fff
	v_cndmask_b32_e64 v1, v8, v13, s5
	buffer_store_dword v1, off, s[0:3], s32 offset:888 ; 4-byte Folded Spill
	v_mul_f32_e32 v1, v48, v23
	v_bfe_u32 v8, v1, 16, 1
	v_or_b32_e32 v13, 0x400000, v1
	v_cmp_u_f32_e64 s5, v1, v1
	v_add3_u32 v8, v8, v1, 0x7fff
	v_cndmask_b32_e64 v1, v8, v13, s5
	buffer_store_dword v1, off, s[0:3], s32 offset:896 ; 4-byte Folded Spill
	v_mul_f32_e32 v1, v48, v16
	v_bfe_u32 v8, v1, 16, 1
	v_or_b32_e32 v13, 0x400000, v1
	v_cmp_u_f32_e64 s5, v1, v1
	;; [unrolled: 7-line block ×83, first 2 shown]
	v_add3_u32 v2, v2, v1, 0x7fff
	v_cndmask_b32_e64 v1, v2, v3, s5
	v_or_b32_e32 v2, 0x400000, v0
	v_cmp_u_f32_e64 s5, v0, v0
	buffer_store_dword v1, off, s[0:3], s32 offset:1224 ; 4-byte Folded Spill
	v_bfe_u32 v1, v0, 16, 1
	v_add3_u32 v1, v1, v0, 0x7fff
	v_cndmask_b32_e64 v0, v1, v2, s5
	buffer_store_dword v0, off, s[0:3], s32 offset:1232 ; 4-byte Folded Spill
	buffer_load_dword v0, off, s[0:3], s32 offset:640 ; 4-byte Folded Reload
	s_waitcnt vmcnt(0)
	v_mul_f32_e32 v0, v48, v0
	v_bfe_u32 v1, v0, 16, 1
	v_or_b32_e32 v2, 0x400000, v0
	v_cmp_u_f32_e64 s5, v0, v0
	v_add3_u32 v1, v1, v0, 0x7fff
	v_cndmask_b32_e64 v0, v1, v2, s5
	buffer_store_dword v0, off, s[0:3], s32 offset:640 ; 4-byte Folded Spill
	buffer_load_dword v0, off, s[0:3], s32 offset:636 ; 4-byte Folded Reload
	s_waitcnt vmcnt(0)
	v_mul_f32_e32 v0, v48, v0
	v_bfe_u32 v1, v0, 16, 1
	v_or_b32_e32 v2, 0x400000, v0
	v_cmp_u_f32_e64 s5, v0, v0
	;; [unrolled: 9-line block ×3, first 2 shown]
	v_add3_u32 v1, v1, v0, 0x7fff
	v_cndmask_b32_e64 v0, v1, v2, s5
	buffer_store_dword v0, off, s[0:3], s32 offset:632 ; 4-byte Folded Spill
	v_mul_f32_e32 v0, v48, v110
	v_bfe_u32 v1, v0, 16, 1
	v_or_b32_e32 v2, 0x400000, v0
	v_cmp_u_f32_e64 s5, v0, v0
	v_add3_u32 v1, v1, v0, 0x7fff
	v_cndmask_b32_e64 v0, v1, v2, s5
	buffer_store_dword v0, off, s[0:3], s32 offset:1240 ; 4-byte Folded Spill
	buffer_load_dword v0, off, s[0:3], s32 offset:628 ; 4-byte Folded Reload
	s_waitcnt vmcnt(0)
	v_mul_f32_e32 v0, v48, v0
	v_bfe_u32 v1, v0, 16, 1
	v_or_b32_e32 v2, 0x400000, v0
	v_cmp_u_f32_e64 s5, v0, v0
	v_add3_u32 v1, v1, v0, 0x7fff
	v_cndmask_b32_e64 v0, v1, v2, s5
	buffer_store_dword v0, off, s[0:3], s32 offset:628 ; 4-byte Folded Spill
	buffer_load_dword v0, off, s[0:3], s32 offset:624 ; 4-byte Folded Reload
	s_waitcnt vmcnt(0)
	v_mul_f32_e32 v0, v48, v0
	v_bfe_u32 v1, v0, 16, 1
	v_or_b32_e32 v2, 0x400000, v0
	v_cmp_u_f32_e64 s5, v0, v0
	v_add3_u32 v1, v1, v0, 0x7fff
	v_cndmask_b32_e64 v0, v1, v2, s5
	buffer_store_dword v0, off, s[0:3], s32 offset:1244 ; 4-byte Folded Spill
	v_mul_f32_e32 v0, v48, v111
	v_bfe_u32 v1, v0, 16, 1
	v_or_b32_e32 v2, 0x400000, v0
	v_cmp_u_f32_e64 s5, v0, v0
	v_add3_u32 v1, v1, v0, 0x7fff
	v_cndmask_b32_e64 v0, v1, v2, s5
	buffer_store_dword v0, off, s[0:3], s32 offset:624 ; 4-byte Folded Spill
	buffer_load_dword v0, off, s[0:3], s32 offset:644 ; 4-byte Folded Reload
	s_waitcnt vmcnt(0)
	v_mul_f32_e32 v0, v48, v0
	v_bfe_u32 v1, v0, 16, 1
	v_or_b32_e32 v2, 0x400000, v0
	v_cmp_u_f32_e64 s5, v0, v0
	v_add3_u32 v1, v1, v0, 0x7fff
	v_cndmask_b32_e64 v0, v1, v2, s5
	buffer_store_dword v0, off, s[0:3], s32 offset:644 ; 4-byte Folded Spill
	buffer_load_dword v0, off, s[0:3], s32 offset:616 ; 4-byte Folded Reload
	s_waitcnt vmcnt(0)
	;; [unrolled: 9-line block ×7, first 2 shown]
	v_mul_f32_e32 v0, v48, v0
	v_bfe_u32 v1, v0, 16, 1
	v_or_b32_e32 v2, 0x400000, v0
	v_cmp_u_f32_e64 s5, v0, v0
	v_add3_u32 v1, v1, v0, 0x7fff
	v_cndmask_b32_e64 v0, v1, v2, s5
	buffer_store_dword v0, off, s[0:3], s32 offset:1248 ; 4-byte Folded Spill
	v_mul_f32_e32 v0, v48, v127
	v_bfe_u32 v1, v0, 16, 1
	v_or_b32_e32 v2, 0x400000, v0
	v_cmp_u_f32_e64 s5, v0, v0
	v_add3_u32 v1, v1, v0, 0x7fff
	v_cndmask_b32_e64 v0, v1, v2, s5
	buffer_store_dword v0, off, s[0:3], s32 offset:600 ; 4-byte Folded Spill
	buffer_load_dword v0, off, s[0:3], s32 offset:620 ; 4-byte Folded Reload
	s_waitcnt vmcnt(0)
	v_mul_f32_e32 v0, v48, v0
	v_bfe_u32 v1, v0, 16, 1
	v_or_b32_e32 v2, 0x400000, v0
	v_cmp_u_f32_e64 s5, v0, v0
	v_add3_u32 v1, v1, v0, 0x7fff
	v_cndmask_b32_e64 v0, v1, v2, s5
	buffer_store_dword v0, off, s[0:3], s32 offset:620 ; 4-byte Folded Spill
	buffer_load_dword v0, off, s[0:3], s32 offset:592 ; 4-byte Folded Reload
	s_waitcnt vmcnt(0)
	;; [unrolled: 9-line block ×15, first 2 shown]
	v_mul_f32_e32 v0, v48, v0
	v_bfe_u32 v1, v0, 16, 1
	v_or_b32_e32 v2, 0x400000, v0
	v_cmp_u_f32_e64 s5, v0, v0
	v_add3_u32 v1, v1, v0, 0x7fff
	buffer_load_dword v0, off, s[0:3], s32 offset:768 ; 4-byte Folded Reload
	v_cndmask_b32_e64 v88, v1, v2, s5
	s_waitcnt vmcnt(0)
	v_mul_f32_e32 v0, v48, v0
	v_bfe_u32 v1, v0, 16, 1
	v_or_b32_e32 v2, 0x400000, v0
	v_cmp_u_f32_e64 s5, v0, v0
	v_add3_u32 v1, v1, v0, 0x7fff
	v_cndmask_b32_e64 v0, v1, v2, s5
	buffer_store_dword v0, off, s[0:3], s32 offset:552 ; 4-byte Folded Spill
	buffer_load_dword v0, off, s[0:3], s32 offset:572 ; 4-byte Folded Reload
	s_waitcnt vmcnt(0)
	v_mul_f32_e32 v0, v48, v0
	v_bfe_u32 v1, v0, 16, 1
	v_or_b32_e32 v2, 0x400000, v0
	v_cmp_u_f32_e64 s5, v0, v0
	v_add3_u32 v1, v1, v0, 0x7fff
	buffer_load_dword v0, off, s[0:3], s32 offset:544 ; 4-byte Folded Reload
	v_cndmask_b32_e64 v89, v1, v2, s5
	s_waitcnt vmcnt(0)
	v_mul_f32_e32 v0, v48, v0
	v_bfe_u32 v1, v0, 16, 1
	v_or_b32_e32 v2, 0x400000, v0
	v_cmp_u_f32_e64 s5, v0, v0
	v_add3_u32 v1, v1, v0, 0x7fff
	buffer_load_dword v0, off, s[0:3], s32 offset:540 ; 4-byte Folded Reload
	v_cndmask_b32_e64 v78, v1, v2, s5
	;; [unrolled: 8-line block ×60, first 2 shown]
	v_and_b32_e32 v1, 0xffff0000, v1
	s_waitcnt vmcnt(0)
	v_mul_f32_e32 v0, v48, v0
	v_bfe_u32 v4, v0, 16, 1
	v_or_b32_e32 v12, 0x400000, v0
	v_cmp_u_f32_e64 s5, v0, v0
	v_add3_u32 v4, v4, v0, 0x7fff
	buffer_load_dword v0, off, s[0:3], s32 offset:360 ; 4-byte Folded Reload
	v_cndmask_b32_e64 v119, v4, v12, s5
	s_waitcnt vmcnt(0)
	v_mul_f32_e32 v0, v48, v0
	v_bfe_u32 v4, v0, 16, 1
	v_or_b32_e32 v12, 0x400000, v0
	v_cmp_u_f32_e64 s5, v0, v0
	v_add3_u32 v4, v4, v0, 0x7fff
	buffer_load_dword v0, off, s[0:3], s32 offset:356 ; 4-byte Folded Reload
	v_cndmask_b32_e64 v17, v4, v12, s5
	;; [unrolled: 8-line block ×23, first 2 shown]
	v_and_b32_e32 v4, 0xffff0000, v4
	s_waitcnt vmcnt(0)
	v_mul_f32_e32 v0, v48, v0
	v_bfe_u32 v12, v0, 16, 1
	v_or_b32_e32 v16, 0x400000, v0
	v_cmp_u_f32_e64 s5, v0, v0
	v_add3_u32 v12, v12, v0, 0x7fff
	buffer_load_dword v0, off, s[0:3], s32 offset:672 ; 4-byte Folded Reload
	v_cndmask_b32_e64 v61, v12, v16, s5
	s_waitcnt vmcnt(0)
	v_mul_f32_e32 v0, v48, v0
	v_bfe_u32 v12, v0, 16, 1
	v_or_b32_e32 v16, 0x400000, v0
	v_cmp_u_f32_e64 s5, v0, v0
	v_add3_u32 v12, v12, v0, 0x7fff
	buffer_load_dword v0, off, s[0:3], s32 offset:288 ; 4-byte Folded Reload
	v_cndmask_b32_e64 v39, v12, v16, s5
	;; [unrolled: 8-line block ×3, first 2 shown]
	v_and_b32_e32 v20, 0xffff0000, v20
	s_waitcnt vmcnt(0)
	v_mul_f32_e32 v0, v48, v0
	v_bfe_u32 v12, v0, 16, 1
	v_or_b32_e32 v16, 0x400000, v0
	v_cmp_u_f32_e64 s5, v0, v0
	v_add3_u32 v12, v12, v0, 0x7fff
	buffer_load_dword v0, off, s[0:3], s32 offset:676 ; 4-byte Folded Reload
	v_cndmask_b32_e64 v36, v12, v16, s5
	v_and_b32_e32 v36, 0xffff0000, v36
	s_waitcnt vmcnt(0)
	v_mul_f32_e32 v0, v48, v0
	v_bfe_u32 v12, v0, 16, 1
	v_or_b32_e32 v16, 0x400000, v0
	v_cmp_u_f32_e64 s5, v0, v0
	v_add3_u32 v12, v12, v0, 0x7fff
	buffer_load_dword v0, off, s[0:3], s32 offset:304 ; 4-byte Folded Reload
	v_cndmask_b32_e64 v62, v12, v16, s5
	s_waitcnt vmcnt(0)
	v_mul_f32_e32 v0, v48, v0
	v_bfe_u32 v12, v0, 16, 1
	v_or_b32_e32 v16, 0x400000, v0
	v_cmp_u_f32_e64 s5, v0, v0
	v_add3_u32 v12, v12, v0, 0x7fff
	buffer_load_dword v0, off, s[0:3], s32 offset:276 ; 4-byte Folded Reload
	v_cndmask_b32_e64 v112, v12, v16, s5
	;; [unrolled: 8-line block ×11, first 2 shown]
	v_and_b32_e32 v12, 0xffff0000, v12
	s_waitcnt vmcnt(0)
	v_mul_f32_e32 v0, v48, v0
	v_bfe_u32 v16, v0, 16, 1
	v_or_b32_e32 v23, 0x400000, v0
	v_cmp_u_f32_e64 s5, v0, v0
	v_add3_u32 v16, v16, v0, 0x7fff
	buffer_load_dword v0, off, s[0:3], s32 offset:244 ; 4-byte Folded Reload
	v_cndmask_b32_e64 v16, v16, v23, s5
	v_and_b32_e32 v16, 0xffff0000, v16
	s_waitcnt vmcnt(0)
	v_mul_f32_e32 v0, v48, v0
	v_bfe_u32 v23, v0, 16, 1
	v_or_b32_e32 v38, 0x400000, v0
	v_cmp_u_f32_e64 s5, v0, v0
	v_add3_u32 v23, v23, v0, 0x7fff
	buffer_load_dword v0, off, s[0:3], s32 offset:656 ; 4-byte Folded Reload
	v_cndmask_b32_e64 v23, v23, v38, s5
	;; [unrolled: 9-line block ×5, first 2 shown]
	s_waitcnt vmcnt(0)
	v_mul_f32_e32 v0, v48, v0
	v_bfe_u32 v31, v0, 16, 1
	v_or_b32_e32 v120, 0x400000, v0
	v_cmp_u_f32_e64 s5, v0, v0
	v_add3_u32 v31, v31, v0, 0x7fff
	buffer_load_dword v0, off, s[0:3], s32 offset:256 ; 4-byte Folded Reload
	v_cndmask_b32_e64 v98, v31, v120, s5
	s_waitcnt vmcnt(0)
	v_mul_f32_e32 v0, v48, v0
	v_bfe_u32 v31, v0, 16, 1
	v_or_b32_e32 v120, 0x400000, v0
	v_cmp_u_f32_e64 s5, v0, v0
	v_add3_u32 v31, v31, v0, 0x7fff
	v_mul_f32_e32 v0, v48, v90
	v_cndmask_b32_e64 v114, v31, v120, s5
	v_bfe_u32 v31, v0, 16, 1
	v_or_b32_e32 v120, 0x400000, v0
	v_cmp_u_f32_e64 s5, v0, v0
	v_add3_u32 v31, v31, v0, 0x7fff
	v_mul_f32_e32 v0, v48, v76
	v_cndmask_b32_e64 v83, v31, v120, s5
	v_bfe_u32 v31, v0, 16, 1
	v_or_b32_e32 v120, 0x400000, v0
	v_cmp_u_f32_e64 s5, v0, v0
	v_and_b32_e32 v83, 0xffff0000, v83
	v_add3_u32 v31, v31, v0, 0x7fff
	v_mul_f32_e32 v0, v48, v77
	v_cndmask_b32_e64 v74, v31, v120, s5
	v_bfe_u32 v31, v0, 16, 1
	v_or_b32_e32 v120, 0x400000, v0
	v_cmp_u_f32_e64 s5, v0, v0
	v_add3_u32 v31, v31, v0, 0x7fff
	v_mul_f32_e32 v0, v48, v35
	v_cndmask_b32_e64 v75, v31, v120, s5
	v_bfe_u32 v31, v0, 16, 1
	v_or_b32_e32 v120, 0x400000, v0
	v_cmp_u_f32_e64 s5, v0, v0
	;; [unrolled: 6-line block ×3, first 2 shown]
	v_add3_u32 v31, v31, v0, 0x7fff
	buffer_load_dword v0, off, s[0:3], s32 offset:232 ; 4-byte Folded Reload
	v_cndmask_b32_e64 v35, v31, v120, s5
	s_waitcnt vmcnt(0)
	v_mul_f32_e32 v0, v48, v0
	v_bfe_u32 v31, v0, 16, 1
	v_or_b32_e32 v120, 0x400000, v0
	v_cmp_u_f32_e64 s5, v0, v0
	v_add3_u32 v31, v31, v0, 0x7fff
	buffer_load_dword v0, off, s[0:3], s32 offset:652 ; 4-byte Folded Reload
	v_cndmask_b32_e64 v91, v31, v120, s5
	s_waitcnt vmcnt(0)
	v_mul_f32_e32 v0, v48, v0
	v_bfe_u32 v31, v0, 16, 1
	v_or_b32_e32 v120, 0x400000, v0
	v_cmp_u_f32_e64 s5, v0, v0
	;; [unrolled: 8-line block ×3, first 2 shown]
	v_add3_u32 v31, v31, v0, 0x7fff
	v_mul_f32_e32 v0, v48, v125
	v_cndmask_b32_e64 v76, v31, v120, s5
	v_bfe_u32 v31, v0, 16, 1
	v_or_b32_e32 v120, 0x400000, v0
	v_cmp_u_f32_e64 s5, v0, v0
	v_add3_u32 v31, v31, v0, 0x7fff
	v_mul_f32_e32 v0, v48, v124
	v_cndmask_b32_e64 v125, v31, v120, s5
	v_bfe_u32 v31, v0, 16, 1
	v_or_b32_e32 v120, 0x400000, v0
	v_cmp_u_f32_e64 s5, v0, v0
	v_add3_u32 v31, v31, v0, 0x7fff
	v_mul_f32_e32 v0, v48, v122
	v_cndmask_b32_e64 v124, v31, v120, s5
	v_bfe_u32 v31, v0, 16, 1
	v_or_b32_e32 v120, 0x400000, v0
	v_cmp_u_f32_e64 s5, v0, v0
	v_add3_u32 v31, v31, v0, 0x7fff
	v_mul_f32_e32 v0, v48, v121
	v_cndmask_b32_e64 v122, v31, v120, s5
	v_bfe_u32 v31, v0, 16, 1
	v_or_b32_e32 v120, 0x400000, v0
	v_cmp_u_f32_e64 s5, v0, v0
	v_add3_u32 v31, v31, v0, 0x7fff
	buffer_load_dword v0, off, s[0:3], s32 offset:648 ; 4-byte Folded Reload
	v_cndmask_b32_e64 v121, v31, v120, s5
	s_waitcnt vmcnt(0)
	v_mul_f32_e32 v0, v48, v0
	v_bfe_u32 v31, v0, 16, 1
	v_or_b32_e32 v120, 0x400000, v0
	v_cmp_u_f32_e64 s5, v0, v0
	v_add3_u32 v31, v31, v0, 0x7fff
	buffer_load_dword v0, off, s[0:3], s32 offset:912 ; 4-byte Folded Reload
	v_cndmask_b32_e64 v120, v31, v120, s5
	s_waitcnt vmcnt(0)
	v_mul_f32_e32 v0, v48, v0
	v_bfe_u32 v31, v0, 16, 1
	v_or_b32_e32 v30, 0x400000, v0
	v_cmp_u_f32_e64 s5, v0, v0
	v_add3_u32 v31, v31, v0, 0x7fff
	v_cndmask_b32_e64 v0, v31, v30, s5
	buffer_load_dword v30, off, s[0:3], s32 offset:1088 ; 4-byte Folded Reload
	v_and_b32_e32 v0, 0xffff0000, v0
	s_waitcnt vmcnt(0)
	v_mul_f32_e32 v30, v48, v30
	v_mul_f32_e32 v48, v48, v93
	v_bfe_u32 v31, v30, 16, 1
	v_or_b32_e32 v77, 0x400000, v30
	v_cmp_u_f32_e64 s5, v30, v30
	v_add3_u32 v31, v31, v30, 0x7fff
	v_bfe_u32 v30, v48, 16, 1
	v_cndmask_b32_e64 v31, v31, v77, s5
	v_add3_u32 v30, v30, v48, 0x7fff
	v_or_b32_e32 v77, 0x400000, v48
	v_cmp_u_f32_e64 s5, v48, v48
	v_and_b32_e32 v48, 0xffff0000, v106
	v_cndmask_b32_e64 v30, v30, v77, s5
	v_and_b32_e32 v77, 0xffff0000, v91
	buffer_load_dword v91, off, s[0:3], s32 offset:1320 ; 4-byte Folded Reload
	s_waitcnt vmcnt(0)
	v_mul_f32_e32 v48, v91, v48
	buffer_load_dword v91, off, s[0:3], s32 offset:1288 ; 4-byte Folded Reload
	s_waitcnt vmcnt(0)
	v_fmac_f32_e32 v48, v91, v77
	v_and_b32_e32 v77, 0xffff0000, v35
	buffer_load_dword v35, off, s[0:3], s32 offset:1324 ; 4-byte Folded Reload
	s_waitcnt vmcnt(0)
	v_mul_f32_e32 v35, v35, v50
	buffer_load_dword v50, off, s[0:3], s32 offset:1292 ; 4-byte Folded Reload
	s_waitcnt vmcnt(0)
	v_fmac_f32_e32 v35, v50, v77
	;; [unrolled: 7-line block ×3, first 2 shown]
	buffer_load_dword v50, off, s[0:3], s32 offset:1332 ; 4-byte Folded Reload
	v_and_b32_e32 v99, 0xffff0000, v75
	s_waitcnt vmcnt(0)
	v_mul_f32_e32 v50, v50, v23
	buffer_load_dword v23, off, s[0:3], s32 offset:1300 ; 4-byte Folded Reload
	s_waitcnt vmcnt(0)
	v_fmac_f32_e32 v50, v23, v99
	buffer_load_dword v99, off, s[0:3], s32 offset:1336 ; 4-byte Folded Reload
	v_and_b32_e32 v23, 0xffff0000, v74
	s_waitcnt vmcnt(0)
	v_mul_f32_e32 v16, v99, v16
	buffer_load_dword v99, off, s[0:3], s32 offset:1304 ; 4-byte Folded Reload
	s_waitcnt vmcnt(0)
	v_fmac_f32_e32 v16, v99, v23
	buffer_load_dword v23, off, s[0:3], s32 offset:1340 ; 4-byte Folded Reload
	s_waitcnt vmcnt(0)
	v_mul_f32_e32 v23, v23, v12
	buffer_load_dword v12, off, s[0:3], s32 offset:1308 ; 4-byte Folded Reload
	s_waitcnt vmcnt(0)
	v_fmac_f32_e32 v23, v12, v83
	v_and_b32_e32 v12, 0xffff0000, v98
	buffer_load_dword v98, off, s[0:3], s32 offset:1344 ; 4-byte Folded Reload
	v_and_b32_e32 v83, 0xffff0000, v90
	s_waitcnt vmcnt(0)
	v_mul_f32_e32 v106, v98, v12
	s_clause 0x1
	buffer_load_dword v12, off, s[0:3], s32 offset:1312
	buffer_load_dword v98, off, s[0:3], s32 offset:1348
	s_waitcnt vmcnt(1)
	v_fmac_f32_e32 v106, v12, v83
	v_and_b32_e32 v12, 0xffff0000, v114
	v_and_b32_e32 v83, 0xffff0000, v76
	s_waitcnt vmcnt(0)
	v_mul_f32_e32 v12, v98, v12
	buffer_load_dword v98, off, s[0:3], s32 offset:1316 ; 4-byte Folded Reload
	s_waitcnt vmcnt(0)
	v_fmac_f32_e32 v12, v98, v83
	buffer_load_dword v98, off, s[0:3], s32 offset:1352 ; 4-byte Folded Reload
	v_and_b32_e32 v83, 0xffff0000, v73
	s_waitcnt vmcnt(0)
	v_fmac_f32_e32 v48, v98, v83
	buffer_load_dword v98, off, s[0:3], s32 offset:1356 ; 4-byte Folded Reload
	v_and_b32_e32 v83, 0xffff0000, v72
	s_waitcnt vmcnt(0)
	v_fmac_f32_e32 v35, v98, v83
	v_and_b32_e32 v83, 0xffff0000, v97
	buffer_load_dword v97, off, s[0:3], s32 offset:1360 ; 4-byte Folded Reload
	s_waitcnt vmcnt(0)
	v_fmac_f32_e32 v38, v97, v83
	buffer_load_dword v97, off, s[0:3], s32 offset:1364 ; 4-byte Folded Reload
	v_and_b32_e32 v83, 0xffff0000, v113
	s_waitcnt vmcnt(0)
	v_fmac_f32_e32 v50, v97, v83
	buffer_load_dword v97, off, s[0:3], s32 offset:1368 ; 4-byte Folded Reload
	v_and_b32_e32 v83, 0xffff0000, v102
	;; [unrolled: 4-line block ×5, first 2 shown]
	s_waitcnt vmcnt(0)
	v_fmac_f32_e32 v12, v97, v83
	buffer_load_dword v83, off, s[0:3], s32 offset:1384 ; 4-byte Folded Reload
	s_waitcnt vmcnt(0)
	v_fmac_f32_e32 v48, v83, v36
	buffer_load_dword v36, off, s[0:3], s32 offset:1388 ; 4-byte Folded Reload
	;; [unrolled: 3-line block ×3, first 2 shown]
	v_and_b32_e32 v20, 0xffff0000, v39
	s_waitcnt vmcnt(0)
	v_fmac_f32_e32 v38, v36, v20
	buffer_load_dword v36, off, s[0:3], s32 offset:1396 ; 4-byte Folded Reload
	v_and_b32_e32 v20, 0xffff0000, v61
	s_waitcnt vmcnt(0)
	v_fmac_f32_e32 v50, v36, v20
	buffer_load_dword v20, off, s[0:3], s32 offset:1400 ; 4-byte Folded Reload
	s_waitcnt vmcnt(0)
	v_fmac_f32_e32 v16, v20, v4
	buffer_load_dword v20, off, s[0:3], s32 offset:1404 ; 4-byte Folded Reload
	v_and_b32_e32 v4, 0xffff0000, v117
	s_waitcnt vmcnt(0)
	v_fmac_f32_e32 v23, v20, v4
	buffer_load_dword v20, off, s[0:3], s32 offset:1408 ; 4-byte Folded Reload
	v_and_b32_e32 v4, 0xffff0000, v62
	s_waitcnt vmcnt(0)
	v_fmac_f32_e32 v106, v20, v4
	buffer_load_dword v20, off, s[0:3], s32 offset:1412 ; 4-byte Folded Reload
	v_and_b32_e32 v4, 0xffff0000, v112
	s_waitcnt vmcnt(0)
	v_fmac_f32_e32 v12, v20, v4
	buffer_load_dword v20, off, s[0:3], s32 offset:1416 ; 4-byte Folded Reload
	v_and_b32_e32 v4, 0xffff0000, v60
	s_waitcnt vmcnt(0)
	v_fmac_f32_e32 v48, v20, v4
	buffer_load_dword v20, off, s[0:3], s32 offset:1420 ; 4-byte Folded Reload
	v_and_b32_e32 v4, 0xffff0000, v59
	s_waitcnt vmcnt(0)
	v_fmac_f32_e32 v35, v20, v4
	buffer_load_dword v20, off, s[0:3], s32 offset:1424 ; 4-byte Folded Reload
	v_and_b32_e32 v4, 0xffff0000, v123
	s_waitcnt vmcnt(0)
	v_fmac_f32_e32 v38, v20, v4
	buffer_load_dword v20, off, s[0:3], s32 offset:1428 ; 4-byte Folded Reload
	v_and_b32_e32 v4, 0xffff0000, v109
	s_waitcnt vmcnt(0)
	v_fmac_f32_e32 v50, v20, v4
	buffer_load_dword v20, off, s[0:3], s32 offset:1432 ; 4-byte Folded Reload
	v_and_b32_e32 v4, 0xffff0000, v110
	s_waitcnt vmcnt(0)
	v_fmac_f32_e32 v16, v20, v4
	buffer_load_dword v20, off, s[0:3], s32 offset:1436 ; 4-byte Folded Reload
	v_and_b32_e32 v4, 0xffff0000, v108
	s_waitcnt vmcnt(0)
	v_fmac_f32_e32 v23, v20, v4
	v_and_b32_e32 v4, 0xffff0000, v15
	buffer_load_dword v15, off, s[0:3], s32 offset:1440 ; 4-byte Folded Reload
	s_waitcnt vmcnt(0)
	v_fmac_f32_e32 v106, v15, v4
	buffer_load_dword v15, off, s[0:3], s32 offset:1444 ; 4-byte Folded Reload
	v_and_b32_e32 v4, 0xffff0000, v57
	s_waitcnt vmcnt(0)
	v_fmac_f32_e32 v12, v15, v4
	buffer_load_dword v15, off, s[0:3], s32 offset:1448 ; 4-byte Folded Reload
	v_and_b32_e32 v4, 0xffff0000, v95
	;; [unrolled: 4-line block ×12, first 2 shown]
	s_waitcnt vmcnt(0)
	v_fmac_f32_e32 v38, v15, v4
	buffer_load_dword v4, off, s[0:3], s32 offset:1492 ; 4-byte Folded Reload
	s_waitcnt vmcnt(0)
	v_fmac_f32_e32 v50, v4, v1
	buffer_load_dword v4, off, s[0:3], s32 offset:1496 ; 4-byte Folded Reload
	v_and_b32_e32 v1, 0xffff0000, v34
	s_waitcnt vmcnt(0)
	v_fmac_f32_e32 v16, v4, v1
	v_and_b32_e32 v1, 0xffff0000, v3
	buffer_load_dword v3, off, s[0:3], s32 offset:1500 ; 4-byte Folded Reload
	s_waitcnt vmcnt(0)
	v_fmac_f32_e32 v23, v3, v1
	buffer_load_dword v3, off, s[0:3], s32 offset:1504 ; 4-byte Folded Reload
	v_and_b32_e32 v1, 0xffff0000, v107
	s_waitcnt vmcnt(0)
	v_fmac_f32_e32 v106, v3, v1
	buffer_load_dword v3, off, s[0:3], s32 offset:1508 ; 4-byte Folded Reload
	v_and_b32_e32 v1, 0xffff0000, v26
	;; [unrolled: 4-line block ×30, first 2 shown]
	s_waitcnt vmcnt(0)
	v_fmac_f32_e32 v50, v3, v1
	v_and_b32_e32 v1, 0xffff0000, v2
	buffer_load_dword v2, off, s[0:3], s32 offset:1624 ; 4-byte Folded Reload
	s_waitcnt vmcnt(0)
	v_fmac_f32_e32 v16, v2, v1
	buffer_load_dword v2, off, s[0:3], s32 offset:1628 ; 4-byte Folded Reload
	v_and_b32_e32 v1, 0xffff0000, v18
	s_waitcnt vmcnt(0)
	v_fmac_f32_e32 v23, v2, v1
	buffer_load_dword v2, off, s[0:3], s32 offset:1632 ; 4-byte Folded Reload
	v_and_b32_e32 v1, 0xffff0000, v55
	;; [unrolled: 4-line block ×28, first 2 shown]
	s_waitcnt vmcnt(0)
	v_fmac_f32_e32 v48, v2, v1
	s_clause 0x1
	buffer_load_dword v1, off, s[0:3], s32 offset:556
	buffer_load_dword v2, off, s[0:3], s32 offset:1740
	s_waitcnt vmcnt(1)
	v_and_b32_e32 v1, 0xffff0000, v1
	s_waitcnt vmcnt(0)
	v_fmac_f32_e32 v35, v2, v1
	s_clause 0x1
	buffer_load_dword v1, off, s[0:3], s32 offset:764
	buffer_load_dword v2, off, s[0:3], s32 offset:1744
	s_waitcnt vmcnt(1)
	v_and_b32_e32 v1, 0xffff0000, v1
	;; [unrolled: 7-line block ×6, first 2 shown]
	s_waitcnt vmcnt(0)
	v_fmac_f32_e32 v106, v2, v1
	buffer_load_dword v2, off, s[0:3], s32 offset:1764 ; 4-byte Folded Reload
	v_and_b32_e32 v1, 0xffff0000, v89
	s_waitcnt vmcnt(0)
	v_fmac_f32_e32 v12, v2, v1
	s_clause 0x1
	buffer_load_dword v1, off, s[0:3], s32 offset:1252
	buffer_load_dword v2, off, s[0:3], s32 offset:1768
	s_waitcnt vmcnt(1)
	v_and_b32_e32 v1, 0xffff0000, v1
	s_waitcnt vmcnt(0)
	v_fmac_f32_e32 v48, v2, v1
	s_clause 0x1
	buffer_load_dword v1, off, s[0:3], s32 offset:580
	buffer_load_dword v2, off, s[0:3], s32 offset:1772
	s_waitcnt vmcnt(1)
	;; [unrolled: 7-line block ×129, first 2 shown]
	v_fmac_f32_e32 v48, v1, v0
	buffer_load_dword v1, off, s[0:3], s32 offset:2284 ; 4-byte Folded Reload
	v_and_b32_e32 v0, 0xffff0000, v120
	s_waitcnt vmcnt(0)
	v_fmac_f32_e32 v35, v1, v0
	buffer_load_dword v1, off, s[0:3], s32 offset:2288 ; 4-byte Folded Reload
	v_and_b32_e32 v0, 0xffff0000, v121
	s_waitcnt vmcnt(0)
	v_fmac_f32_e32 v38, v1, v0
	v_and_b32_e32 v1, 0xffff0000, v122
	v_add_f32_e32 v0, v48, v35
	v_fmac_f32_e32 v50, v2, v1
	buffer_load_dword v2, off, s[0:3], s32 offset:2296 ; 4-byte Folded Reload
	v_and_b32_e32 v1, 0xffff0000, v124
	v_add_f32_e32 v0, v0, v38
	v_add_f32_e32 v0, v50, v0
	s_waitcnt vmcnt(0)
	v_fmac_f32_e32 v16, v2, v1
	buffer_load_dword v2, off, s[0:3], s32 offset:2300 ; 4-byte Folded Reload
	v_and_b32_e32 v1, 0xffff0000, v125
	v_add_f32_e32 v0, v16, v0
	s_waitcnt vmcnt(0)
	v_fmac_f32_e32 v23, v2, v1
	buffer_load_dword v2, off, s[0:3], s32 offset:2304 ; 4-byte Folded Reload
	v_and_b32_e32 v1, 0xffff0000, v31
	;; [unrolled: 5-line block ×3, first 2 shown]
	v_add_f32_e32 v0, v106, v0
	s_waitcnt vmcnt(0)
	v_fmac_f32_e32 v12, v2, v1
	s_clause 0x4
	buffer_load_dword v1, off, s[0:3], s32 offset:2320
	buffer_load_dword v5, off, s[0:3], s32 offset:796
	;; [unrolled: 1-line block ×5, first 2 shown]
	v_add_f32_e32 v0, v12, v0
	s_load_dword s20, s[8:9], 0x0
	s_waitcnt vmcnt(3)
	v_add_nc_u32_e32 v1, v1, v5
	v_cvt_f32_i32_e32 v1, v1
	s_waitcnt vmcnt(2)
	v_mul_f32_e32 v1, v2, v1
	buffer_load_dword v2, off, s[0:3], s32 offset:1284 ; 4-byte Folded Reload
	v_cndmask_b32_e32 v1, 0, v1, vcc_lo
	s_waitcnt vmcnt(0)
	v_fmac_f32_e32 v1, v2, v0
	buffer_load_dword v0, off, s[0:3], s32 offset:1256 ; 4-byte Folded Reload
	s_waitcnt vmcnt(0)
	v_add_nc_u32_e32 v0, v0, v5
	v_cmp_lt_i32_e64 s5, v0, v49
	s_waitcnt lgkmcnt(0)
	v_add_nc_u32_e32 v0, s20, v6
	v_cndmask_b32_e64 v2, 0, v1, s5
	ds_write_b32 v0, v2
	v_max_f32_e32 v0, v7, v7
	v_max_f32_e32 v0, v0, v1
	v_cndmask_b32_e64 v7, v7, v0, s5
.LBB357_14:                             ;   in Loop: Header=BB357_15 Depth=1
	s_or_b32 exec_lo, exec_lo, s6
	s_clause 0x2
	buffer_load_dword v2, off, s[0:3], s32 offset:228
	buffer_load_dword v0, off, s[0:3], s32 offset:196
	;; [unrolled: 1-line block ×3, first 2 shown]
	v_add_nc_u32_e32 v5, 0x80, v5
	v_add_nc_u32_e32 v6, 0x200, v6
	s_waitcnt vmcnt(1)
	v_add_co_u32 v0, s5, v0, 16
	s_waitcnt vmcnt(0)
	v_add_co_ci_u32_e64 v1, null, 0, v1, s5
	v_add_nc_u32_e32 v2, 4, v2
	buffer_store_dword v0, off, s[0:3], s32 offset:196 ; 4-byte Folded Spill
	buffer_store_dword v1, off, s[0:3], s32 offset:200 ; 4-byte Folded Spill
	buffer_load_dword v0, off, s[0:3], s32 offset:192 ; 4-byte Folded Reload
	s_waitcnt vmcnt(0)
	v_cmp_ge_i32_e64 s5, v2, v0
	s_or_b32 s18, s5, s18
	s_andn2_b32 exec_lo, exec_lo, s18
	s_cbranch_execz .LBB357_2063
.LBB357_15:                             ; =>This Inner Loop Header: Depth=1
	s_clause 0x1
	buffer_load_dword v0, off, s[0:3], s32 offset:220
	buffer_load_dword v4, off, s[0:3], s32 offset:204
	buffer_store_dword v2, off, s[0:3], s32 offset:228 ; 4-byte Folded Spill
	s_waitcnt vmcnt(1)
	v_mul_hi_u32 v0, v5, v0
	s_waitcnt vmcnt(0)
	v_mul_lo_u32 v1, v0, v4
	v_add_nc_u32_e32 v2, 1, v0
	v_sub_nc_u32_e32 v1, v5, v1
	v_sub_nc_u32_e32 v3, v1, v4
	v_cmp_ge_u32_e64 s5, v1, v4
	v_cndmask_b32_e64 v1, v1, v3, s5
	v_cndmask_b32_e64 v0, v0, v2, s5
	v_cmp_ge_u32_e64 s5, v1, v4
	buffer_load_dword v1, off, s[0:3], s32 offset:216 ; 4-byte Folded Reload
	v_add_nc_u32_e32 v2, 1, v0
	v_cndmask_b32_e64 v0, v0, v2, s5
	s_waitcnt vmcnt(0)
	v_xor_b32_e32 v0, v0, v1
	v_sub_nc_u32_e32 v0, v0, v1
	s_clause 0x3
	buffer_load_dword v1, off, s[0:3], s32 offset:208
	buffer_load_dword v2, off, s[0:3], s32 offset:212
	;; [unrolled: 1-line block ×4, first 2 shown]
	s_waitcnt vmcnt(3)
	v_add_nc_u32_e32 v1, v0, v1
	s_waitcnt vmcnt(2)
	v_sub_nc_u32_e32 v2, 0, v1
	v_max_i32_e32 v2, v1, v2
	v_ashrrev_i32_e32 v1, 31, v1
	s_waitcnt vmcnt(1)
	v_mul_hi_u32 v3, v2, v3
	s_waitcnt vmcnt(0)
	v_mul_lo_u32 v3, v3, v4
	v_sub_nc_u32_e32 v2, v2, v3
	v_sub_nc_u32_e32 v3, v2, v4
	v_cmp_ge_u32_e64 s5, v2, v4
	v_cndmask_b32_e64 v2, v2, v3, s5
	v_sub_nc_u32_e32 v3, v2, v4
	v_cmp_ge_u32_e64 s5, v2, v4
	v_cndmask_b32_e64 v2, v2, v3, s5
	v_xor_b32_e32 v2, v2, v1
	v_sub_nc_u32_e32 v1, v2, v1
	v_cmp_ne_u32_e64 s5, 0, v1
	buffer_load_dword v1, off, s[0:3], s32 offset:224 ; 4-byte Folded Reload
	s_waitcnt vmcnt(0)
	v_cmp_le_i32_e64 s6, v0, v1
	s_and_b32 s5, s5, s6
	s_and_saveexec_b32 s6, s5
	s_xor_b32 s5, exec_lo, s6
	s_cbranch_execz .LBB357_17
; %bb.16:                               ;   in Loop: Header=BB357_15 Depth=1
	s_waitcnt lgkmcnt(0)
	v_add_nc_u32_e32 v0, s19, v6
	v_mov_b32_e32 v1, 0xff7fffff
	ds_write_b32 v0, v1
.LBB357_17:                             ;   in Loop: Header=BB357_15 Depth=1
	s_andn2_saveexec_b32 s6, s5
	s_cbranch_execz .LBB357_14
; %bb.18:                               ;   in Loop: Header=BB357_15 Depth=1
	buffer_store_dword v6, off, s[0:3], s32 offset:800 ; 4-byte Folded Spill
	buffer_store_dword v5, off, s[0:3], s32 offset:796 ; 4-byte Folded Spill
	;; [unrolled: 1-line block ×3, first 2 shown]
	s_clause 0x1
	buffer_load_dword v0, off, s[0:3], s32 offset:196
	buffer_load_dword v1, off, s[0:3], s32 offset:200
	v_mov_b32_e32 v35, 0
	s_waitcnt vmcnt(0)
	flat_load_dword v0, v[0:1]
	s_clause 0x2
	buffer_load_dword v1, off, s[0:3], s32 offset:856
	buffer_load_dword v2, off, s[0:3], s32 offset:2312
	;; [unrolled: 1-line block ×3, first 2 shown]
	s_waitcnt vmcnt(0) lgkmcnt(0)
	v_mad_i64_i32 v[24:25], null, v0, v1, v[2:3]
	flat_load_dwordx2 v[27:28], v[24:25]
	s_clause 0x1
	buffer_load_dword v0, off, s[0:3], s32 offset:1276
	buffer_load_dword v1, off, s[0:3], s32 offset:1280
	s_waitcnt vmcnt(2) lgkmcnt(0)
	v_cmp_ne_u16_sdwa s5, v27, v14 src0_sel:BYTE_0 src1_sel:DWORD
	s_waitcnt vmcnt(0)
	flat_load_dword v48, v[0:1]
	v_mov_b32_e32 v0, 0
	buffer_store_dword v0, off, s[0:3], s32 offset:232 ; 4-byte Folded Spill
	s_mov_b32 s20, exec_lo
	v_mov_b32_e32 v3, 0xff
	s_and_b32 s5, s20, s5
	s_mov_b32 exec_lo, s5
	s_cbranch_execz .LBB357_26
; %bb.19:                               ;   in Loop: Header=BB357_15 Depth=1
	v_cmp_ne_u16_sdwa s5, v27, v43 src0_sel:BYTE_0 src1_sel:DWORD
	v_bfrev_b32_e32 v0, 1
	buffer_store_dword v0, off, s[0:3], s32 offset:232 ; 4-byte Folded Spill
	s_and_saveexec_b32 s21, s5
	s_cbranch_execz .LBB357_25
; %bb.20:                               ;   in Loop: Header=BB357_15 Depth=1
	v_and_b32_e32 v1, 0x7f, v27
	v_mov_b32_e32 v0, 0x7f800001
	s_mov_b32 s22, exec_lo
	buffer_store_dword v0, off, s[0:3], s32 offset:232 ; 4-byte Folded Spill
	v_cmpx_ne_u32_e32 0x7f, v1
	s_cbranch_execz .LBB357_24
; %bb.21:                               ;   in Loop: Header=BB357_15 Depth=1
	v_mov_b32_e32 v30, v28
	v_lshrrev_b32_e32 v0, 3, v1
	v_mov_b32_e32 v29, v27
	s_mov_b32 s23, exec_lo
	v_cmpx_gt_u32_e32 8, v1
; %bb.22:                               ;   in Loop: Header=BB357_15 Depth=1
	v_and_b32_e32 v0, 7, v27
	v_ffbh_u32_e32 v0, v0
	v_min_u32_e32 v0, 32, v0
	v_subrev_nc_u32_e32 v1, 28, v0
	v_sub_nc_u32_e32 v0, 29, v0
	v_lshlrev_b64 v[29:30], v1, v[27:28]
; %bb.23:                               ;   in Loop: Header=BB357_15 Depth=1
	s_or_b32 exec_lo, exec_lo, s23
	v_lshlrev_b32_e32 v1, 20, v29
	v_lshlrev_b32_e32 v2, 24, v27
	v_lshl_add_u32 v0, v0, 23, 0x3c000000
	v_and_b32_e32 v1, 0x700000, v1
	v_and_b32_e32 v2, 0x80000000, v2
	v_or3_b32 v0, v1, v2, v0
	buffer_store_dword v0, off, s[0:3], s32 offset:232 ; 4-byte Folded Spill
.LBB357_24:                             ;   in Loop: Header=BB357_15 Depth=1
	s_or_b32 exec_lo, exec_lo, s22
.LBB357_25:                             ;   in Loop: Header=BB357_15 Depth=1
	s_or_b32 exec_lo, exec_lo, s21
.LBB357_26:                             ;   in Loop: Header=BB357_15 Depth=1
	s_or_b32 exec_lo, exec_lo, s20
	v_cmp_ne_u16_sdwa s5, v27, v14 src0_sel:BYTE_1 src1_sel:DWORD
	s_and_saveexec_b32 s20, s5
	s_cbranch_execz .LBB357_34
; %bb.27:                               ;   in Loop: Header=BB357_15 Depth=1
	v_cmp_ne_u16_sdwa s5, v27, v43 src0_sel:BYTE_1 src1_sel:DWORD
	v_bfrev_b32_e32 v35, 1
	s_and_saveexec_b32 s21, s5
	s_cbranch_execz .LBB357_33
; %bb.28:                               ;   in Loop: Header=BB357_15 Depth=1
	v_mov_b32_e32 v0, 0xffff
	v_mov_b32_e32 v35, 0x7f800001
	s_mov_b32 s22, exec_lo
	v_and_b32_sdwa v0, v0, v27 dst_sel:DWORD dst_unused:UNUSED_PAD src0_sel:DWORD src1_sel:BYTE_1
	v_and_b32_e32 v1, 0x7f, v0
	v_cmpx_ne_u32_e32 0x7f, v1
	s_cbranch_execz .LBB357_32
; %bb.29:                               ;   in Loop: Header=BB357_15 Depth=1
	v_and_b32_e32 v13, 7, v0
	v_mov_b32_e32 v30, v14
	v_lshrrev_b32_e32 v0, 3, v1
	s_mov_b32 s23, exec_lo
	v_mov_b32_e32 v29, v13
	v_cmpx_gt_u32_e32 8, v1
; %bb.30:                               ;   in Loop: Header=BB357_15 Depth=1
	v_ffbh_u32_e32 v0, v13
	v_min_u32_e32 v0, 32, v0
	v_subrev_nc_u32_e32 v1, 28, v0
	v_sub_nc_u32_e32 v0, 29, v0
	v_lshlrev_b64 v[1:2], v1, v[13:14]
	v_and_b32_e32 v29, 7, v1
; %bb.31:                               ;   in Loop: Header=BB357_15 Depth=1
	s_or_b32 exec_lo, exec_lo, s23
	v_lshlrev_b32_e32 v1, 16, v27
	v_lshlrev_b32_e32 v2, 20, v29
	v_lshl_add_u32 v0, v0, 23, 0x3c000000
	v_and_b32_e32 v1, 0x80000000, v1
	v_or3_b32 v35, v2, v1, v0
.LBB357_32:                             ;   in Loop: Header=BB357_15 Depth=1
	s_or_b32 exec_lo, exec_lo, s22
.LBB357_33:                             ;   in Loop: Header=BB357_15 Depth=1
	s_or_b32 exec_lo, exec_lo, s21
.LBB357_34:                             ;   in Loop: Header=BB357_15 Depth=1
	s_or_b32 exec_lo, exec_lo, s20
	v_mov_b32_e32 v1, 0
	v_and_b32_sdwa v0, v27, v3 dst_sel:DWORD dst_unused:UNUSED_PAD src0_sel:WORD_1 src1_sel:DWORD
	s_mov_b32 s20, exec_lo
	buffer_store_dword v1, off, s[0:3], s32 offset:460 ; 4-byte Folded Spill
	v_mov_b32_e32 v1, 0
	buffer_store_dword v1, off, s[0:3], s32 offset:716 ; 4-byte Folded Spill
	v_cmpx_ne_u16_e32 0, v0
	s_cbranch_execz .LBB357_42
; %bb.35:                               ;   in Loop: Header=BB357_15 Depth=1
	v_cmp_ne_u16_e64 s5, 0x80, v0
	v_bfrev_b32_e32 v0, 1
	s_and_saveexec_b32 s21, s5
	s_cbranch_execz .LBB357_41
; %bb.36:                               ;   in Loop: Header=BB357_15 Depth=1
	v_bfe_u32 v1, v27, 16, 7
	v_mov_b32_e32 v0, 0x7f800001
	s_mov_b32 s22, exec_lo
	v_cmpx_ne_u32_e32 0x7f, v1
	s_cbranch_execz .LBB357_40
; %bb.37:                               ;   in Loop: Header=BB357_15 Depth=1
	v_mov_b32_e32 v0, 7
	s_mov_b32 s23, exec_lo
	v_and_b32_sdwa v13, v27, v0 dst_sel:DWORD dst_unused:UNUSED_PAD src0_sel:WORD_1 src1_sel:DWORD
	v_mov_b32_e32 v30, v14
	v_lshrrev_b32_e32 v0, 3, v1
	v_mov_b32_e32 v29, v13
	v_cmpx_gt_u32_e32 8, v1
; %bb.38:                               ;   in Loop: Header=BB357_15 Depth=1
	v_ffbh_u32_e32 v0, v13
	v_min_u32_e32 v0, 32, v0
	v_subrev_nc_u32_e32 v1, 28, v0
	v_sub_nc_u32_e32 v0, 29, v0
	v_lshlrev_b64 v[1:2], v1, v[13:14]
	v_and_b32_e32 v29, 7, v1
; %bb.39:                               ;   in Loop: Header=BB357_15 Depth=1
	s_or_b32 exec_lo, exec_lo, s23
	v_mov_b32_e32 v1, 24
	v_lshlrev_b32_e32 v2, 20, v29
	v_lshl_add_u32 v0, v0, 23, 0x3c000000
	v_lshlrev_b32_sdwa v1, v1, v27 dst_sel:DWORD dst_unused:UNUSED_PAD src0_sel:DWORD src1_sel:WORD_1
	v_and_b32_e32 v1, 0x80000000, v1
	v_or3_b32 v0, v2, v1, v0
.LBB357_40:                             ;   in Loop: Header=BB357_15 Depth=1
	s_or_b32 exec_lo, exec_lo, s22
.LBB357_41:                             ;   in Loop: Header=BB357_15 Depth=1
	s_or_b32 exec_lo, exec_lo, s21
	buffer_store_dword v0, off, s[0:3], s32 offset:716 ; 4-byte Folded Spill
.LBB357_42:                             ;   in Loop: Header=BB357_15 Depth=1
	s_or_b32 exec_lo, exec_lo, s20
	s_mov_b32 s20, exec_lo
	v_cmpx_lt_u32_e32 0xffffff, v27
	s_cbranch_execz .LBB357_50
; %bb.43:                               ;   in Loop: Header=BB357_15 Depth=1
	v_cmp_ne_u32_sdwa s5, v27, v43 src0_sel:BYTE_3 src1_sel:DWORD
	v_bfrev_b32_e32 v0, 1
	buffer_store_dword v0, off, s[0:3], s32 offset:460 ; 4-byte Folded Spill
	s_and_saveexec_b32 s21, s5
	s_cbranch_execz .LBB357_49
; %bb.44:                               ;   in Loop: Header=BB357_15 Depth=1
	v_bfe_u32 v1, v27, 24, 7
	v_mov_b32_e32 v0, 0x7f800001
	s_mov_b32 s22, exec_lo
	buffer_store_dword v0, off, s[0:3], s32 offset:460 ; 4-byte Folded Spill
	v_cmpx_ne_u32_e32 0x7f, v1
	s_cbranch_execz .LBB357_48
; %bb.45:                               ;   in Loop: Header=BB357_15 Depth=1
	v_mov_b32_e32 v0, 7
	s_mov_b32 s23, exec_lo
	v_and_b32_sdwa v13, v27, v0 dst_sel:DWORD dst_unused:UNUSED_PAD src0_sel:BYTE_3 src1_sel:DWORD
	v_mov_b32_e32 v30, v14
	v_lshrrev_b32_e32 v0, 3, v1
	v_mov_b32_e32 v29, v13
	v_cmpx_gt_u32_e32 8, v1
; %bb.46:                               ;   in Loop: Header=BB357_15 Depth=1
	v_ffbh_u32_e32 v0, v13
	v_min_u32_e32 v0, 32, v0
	v_subrev_nc_u32_e32 v1, 28, v0
	v_sub_nc_u32_e32 v0, 29, v0
	v_lshlrev_b64 v[1:2], v1, v[13:14]
	v_and_b32_e32 v29, 7, v1
; %bb.47:                               ;   in Loop: Header=BB357_15 Depth=1
	s_or_b32 exec_lo, exec_lo, s23
	v_mov_b32_e32 v1, 24
	v_lshlrev_b32_e32 v2, 20, v29
	v_lshl_add_u32 v0, v0, 23, 0x3c000000
	v_lshlrev_b32_sdwa v1, v1, v27 dst_sel:DWORD dst_unused:UNUSED_PAD src0_sel:DWORD src1_sel:BYTE_3
	v_and_b32_e32 v1, 0x80000000, v1
	v_or3_b32 v0, v2, v1, v0
	buffer_store_dword v0, off, s[0:3], s32 offset:460 ; 4-byte Folded Spill
.LBB357_48:                             ;   in Loop: Header=BB357_15 Depth=1
	s_or_b32 exec_lo, exec_lo, s22
.LBB357_49:                             ;   in Loop: Header=BB357_15 Depth=1
	s_or_b32 exec_lo, exec_lo, s21
.LBB357_50:                             ;   in Loop: Header=BB357_15 Depth=1
	s_or_b32 exec_lo, exec_lo, s20
	v_mov_b32_e32 v13, v28
	v_cmp_ne_u16_sdwa s5, v28, v14 src0_sel:BYTE_0 src1_sel:DWORD
	v_mov_b32_e32 v90, 0
	v_mov_b32_e32 v76, 0
	s_and_saveexec_b32 s20, s5
	s_cbranch_execz .LBB357_58
; %bb.51:                               ;   in Loop: Header=BB357_15 Depth=1
	v_cmp_ne_u16_sdwa s5, v28, v43 src0_sel:BYTE_0 src1_sel:DWORD
	v_bfrev_b32_e32 v76, 1
	s_and_saveexec_b32 s21, s5
	s_cbranch_execz .LBB357_57
; %bb.52:                               ;   in Loop: Header=BB357_15 Depth=1
	v_and_b32_e32 v1, 0x7f, v28
	v_mov_b32_e32 v76, 0x7f800001
	s_mov_b32 s22, exec_lo
	v_cmpx_ne_u32_e32 0x7f, v1
	s_cbranch_execz .LBB357_56
; %bb.53:                               ;   in Loop: Header=BB357_15 Depth=1
	v_mov_b32_e32 v30, v14
	v_lshrrev_b32_e32 v0, 3, v1
	v_mov_b32_e32 v29, v13
	s_mov_b32 s23, exec_lo
	v_cmpx_gt_u32_e32 8, v1
; %bb.54:                               ;   in Loop: Header=BB357_15 Depth=1
	v_and_b32_e32 v0, 7, v28
	v_ffbh_u32_e32 v0, v0
	v_min_u32_e32 v0, 32, v0
	v_subrev_nc_u32_e32 v1, 28, v0
	v_sub_nc_u32_e32 v0, 29, v0
	v_lshlrev_b64 v[29:30], v1, v[13:14]
; %bb.55:                               ;   in Loop: Header=BB357_15 Depth=1
	s_or_b32 exec_lo, exec_lo, s23
	v_lshlrev_b32_e32 v1, 20, v29
	v_lshlrev_b32_e32 v2, 24, v13
	v_lshl_add_u32 v0, v0, 23, 0x3c000000
	v_and_b32_e32 v1, 0x700000, v1
	v_and_b32_e32 v2, 0x80000000, v2
	v_or3_b32 v76, v1, v2, v0
.LBB357_56:                             ;   in Loop: Header=BB357_15 Depth=1
	s_or_b32 exec_lo, exec_lo, s22
.LBB357_57:                             ;   in Loop: Header=BB357_15 Depth=1
	s_or_b32 exec_lo, exec_lo, s21
.LBB357_58:                             ;   in Loop: Header=BB357_15 Depth=1
	s_or_b32 exec_lo, exec_lo, s20
	v_cmp_ne_u16_sdwa s5, v13, v14 src0_sel:BYTE_1 src1_sel:DWORD
	s_and_saveexec_b32 s20, s5
	s_cbranch_execz .LBB357_66
; %bb.59:                               ;   in Loop: Header=BB357_15 Depth=1
	v_cmp_ne_u16_sdwa s5, v13, v43 src0_sel:BYTE_1 src1_sel:DWORD
	v_bfrev_b32_e32 v90, 1
	s_and_saveexec_b32 s21, s5
	s_cbranch_execz .LBB357_65
; %bb.60:                               ;   in Loop: Header=BB357_15 Depth=1
	v_mov_b32_e32 v0, 0xffff
	v_mov_b32_e32 v90, 0x7f800001
	s_mov_b32 s22, exec_lo
	v_and_b32_sdwa v0, v0, v13 dst_sel:DWORD dst_unused:UNUSED_PAD src0_sel:DWORD src1_sel:BYTE_1
	v_and_b32_e32 v1, 0x7f, v0
	v_cmpx_ne_u32_e32 0x7f, v1
	s_cbranch_execz .LBB357_64
; %bb.61:                               ;   in Loop: Header=BB357_15 Depth=1
	v_and_b32_e32 v29, 7, v0
	v_mov_b32_e32 v30, v14
	v_lshrrev_b32_e32 v0, 3, v1
	s_mov_b32 s23, exec_lo
	v_cmpx_gt_u32_e32 8, v1
; %bb.62:                               ;   in Loop: Header=BB357_15 Depth=1
	v_ffbh_u32_e32 v0, v29
	v_min_u32_e32 v0, 32, v0
	v_subrev_nc_u32_e32 v1, 28, v0
	v_sub_nc_u32_e32 v0, 29, v0
	v_lshlrev_b64 v[1:2], v1, v[29:30]
	v_and_b32_e32 v29, 7, v1
; %bb.63:                               ;   in Loop: Header=BB357_15 Depth=1
	s_or_b32 exec_lo, exec_lo, s23
	v_lshlrev_b32_e32 v1, 16, v13
	v_lshlrev_b32_e32 v2, 20, v29
	v_lshl_add_u32 v0, v0, 23, 0x3c000000
	v_and_b32_e32 v1, 0x80000000, v1
	v_or3_b32 v90, v2, v1, v0
.LBB357_64:                             ;   in Loop: Header=BB357_15 Depth=1
	s_or_b32 exec_lo, exec_lo, s22
.LBB357_65:                             ;   in Loop: Header=BB357_15 Depth=1
	s_or_b32 exec_lo, exec_lo, s21
.LBB357_66:                             ;   in Loop: Header=BB357_15 Depth=1
	s_or_b32 exec_lo, exec_lo, s20
	v_and_b32_sdwa v0, v28, v3 dst_sel:DWORD dst_unused:UNUSED_PAD src0_sel:WORD_1 src1_sel:DWORD
	v_mov_b32_e32 v77, 0
	v_mov_b32_e32 v1, 0
	s_mov_b32 s20, exec_lo
	buffer_store_dword v1, off, s[0:3], s32 offset:652 ; 4-byte Folded Spill
	v_cmpx_ne_u16_e32 0, v0
	s_cbranch_execz .LBB357_74
; %bb.67:                               ;   in Loop: Header=BB357_15 Depth=1
	v_cmp_ne_u16_e64 s5, 0x80, v0
	v_bfrev_b32_e32 v0, 1
	s_and_saveexec_b32 s21, s5
	s_cbranch_execz .LBB357_73
; %bb.68:                               ;   in Loop: Header=BB357_15 Depth=1
	v_bfe_u32 v1, v28, 16, 7
	v_mov_b32_e32 v0, 0x7f800001
	s_mov_b32 s22, exec_lo
	v_cmpx_ne_u32_e32 0x7f, v1
	s_cbranch_execz .LBB357_72
; %bb.69:                               ;   in Loop: Header=BB357_15 Depth=1
	v_mov_b32_e32 v0, 7
	s_mov_b32 s23, exec_lo
	v_and_b32_sdwa v13, v28, v0 dst_sel:DWORD dst_unused:UNUSED_PAD src0_sel:WORD_1 src1_sel:DWORD
	v_mov_b32_e32 v30, v14
	v_lshrrev_b32_e32 v0, 3, v1
	v_mov_b32_e32 v29, v13
	v_cmpx_gt_u32_e32 8, v1
; %bb.70:                               ;   in Loop: Header=BB357_15 Depth=1
	v_ffbh_u32_e32 v0, v13
	v_min_u32_e32 v0, 32, v0
	v_subrev_nc_u32_e32 v1, 28, v0
	v_sub_nc_u32_e32 v0, 29, v0
	v_lshlrev_b64 v[1:2], v1, v[13:14]
	v_and_b32_e32 v29, 7, v1
; %bb.71:                               ;   in Loop: Header=BB357_15 Depth=1
	s_or_b32 exec_lo, exec_lo, s23
	v_mov_b32_e32 v1, 24
	v_lshlrev_b32_e32 v2, 20, v29
	v_lshl_add_u32 v0, v0, 23, 0x3c000000
	v_lshlrev_b32_sdwa v1, v1, v28 dst_sel:DWORD dst_unused:UNUSED_PAD src0_sel:DWORD src1_sel:WORD_1
	v_and_b32_e32 v1, 0x80000000, v1
	v_or3_b32 v0, v2, v1, v0
.LBB357_72:                             ;   in Loop: Header=BB357_15 Depth=1
	s_or_b32 exec_lo, exec_lo, s22
.LBB357_73:                             ;   in Loop: Header=BB357_15 Depth=1
	s_or_b32 exec_lo, exec_lo, s21
	buffer_store_dword v0, off, s[0:3], s32 offset:652 ; 4-byte Folded Spill
.LBB357_74:                             ;   in Loop: Header=BB357_15 Depth=1
	s_or_b32 exec_lo, exec_lo, s20
	s_mov_b32 s20, exec_lo
	v_cmpx_lt_u64_e64 s[12:13], v[27:28]
	s_cbranch_execz .LBB357_82
; %bb.75:                               ;   in Loop: Header=BB357_15 Depth=1
	v_cmp_ne_u32_sdwa s5, v28, v43 src0_sel:BYTE_3 src1_sel:DWORD
	v_bfrev_b32_e32 v77, 1
	s_and_saveexec_b32 s21, s5
	s_cbranch_execz .LBB357_81
; %bb.76:                               ;   in Loop: Header=BB357_15 Depth=1
	v_bfe_u32 v1, v28, 24, 7
	v_mov_b32_e32 v77, 0x7f800001
	s_mov_b32 s22, exec_lo
	v_cmpx_ne_u32_e32 0x7f, v1
	s_cbranch_execz .LBB357_80
; %bb.77:                               ;   in Loop: Header=BB357_15 Depth=1
	v_mov_b32_e32 v0, 7
	s_mov_b32 s23, exec_lo
	v_and_b32_sdwa v13, v28, v0 dst_sel:DWORD dst_unused:UNUSED_PAD src0_sel:BYTE_3 src1_sel:DWORD
	v_mov_b32_e32 v30, v14
	v_lshrrev_b32_e32 v0, 3, v1
	v_mov_b32_e32 v29, v13
	v_cmpx_gt_u32_e32 8, v1
; %bb.78:                               ;   in Loop: Header=BB357_15 Depth=1
	v_ffbh_u32_e32 v0, v13
	v_min_u32_e32 v0, 32, v0
	v_subrev_nc_u32_e32 v1, 28, v0
	v_sub_nc_u32_e32 v0, 29, v0
	v_lshlrev_b64 v[1:2], v1, v[13:14]
	v_and_b32_e32 v29, 7, v1
; %bb.79:                               ;   in Loop: Header=BB357_15 Depth=1
	s_or_b32 exec_lo, exec_lo, s23
	v_mov_b32_e32 v1, 24
	v_lshlrev_b32_e32 v2, 20, v29
	v_lshl_add_u32 v0, v0, 23, 0x3c000000
	v_lshlrev_b32_sdwa v1, v1, v28 dst_sel:DWORD dst_unused:UNUSED_PAD src0_sel:DWORD src1_sel:BYTE_3
	v_and_b32_e32 v1, 0x80000000, v1
	v_or3_b32 v77, v2, v1, v0
.LBB357_80:                             ;   in Loop: Header=BB357_15 Depth=1
	s_or_b32 exec_lo, exec_lo, s22
.LBB357_81:                             ;   in Loop: Header=BB357_15 Depth=1
	s_or_b32 exec_lo, exec_lo, s21
.LBB357_82:                             ;   in Loop: Header=BB357_15 Depth=1
	s_or_b32 exec_lo, exec_lo, s20
	flat_load_dwordx2 v[27:28], v[24:25] offset:8
	v_mov_b32_e32 v0, 0
	buffer_store_dword v0, off, s[0:3], s32 offset:240 ; 4-byte Folded Spill
	v_mov_b32_e32 v0, 0
	buffer_store_dword v0, off, s[0:3], s32 offset:236 ; 4-byte Folded Spill
	s_waitcnt vmcnt(0) lgkmcnt(0)
	v_cmp_ne_u16_sdwa s5, v27, v14 src0_sel:BYTE_0 src1_sel:DWORD
	s_and_saveexec_b32 s20, s5
	s_cbranch_execz .LBB357_90
; %bb.83:                               ;   in Loop: Header=BB357_15 Depth=1
	v_cmp_ne_u16_sdwa s5, v27, v43 src0_sel:BYTE_0 src1_sel:DWORD
	v_bfrev_b32_e32 v0, 1
	buffer_store_dword v0, off, s[0:3], s32 offset:236 ; 4-byte Folded Spill
	s_and_saveexec_b32 s21, s5
	s_cbranch_execz .LBB357_89
; %bb.84:                               ;   in Loop: Header=BB357_15 Depth=1
	v_and_b32_e32 v1, 0x7f, v27
	v_mov_b32_e32 v0, 0x7f800001
	s_mov_b32 s22, exec_lo
	buffer_store_dword v0, off, s[0:3], s32 offset:236 ; 4-byte Folded Spill
	v_cmpx_ne_u32_e32 0x7f, v1
	s_cbranch_execz .LBB357_88
; %bb.85:                               ;   in Loop: Header=BB357_15 Depth=1
	v_mov_b32_e32 v30, v28
	v_lshrrev_b32_e32 v0, 3, v1
	v_mov_b32_e32 v29, v27
	s_mov_b32 s23, exec_lo
	v_cmpx_gt_u32_e32 8, v1
; %bb.86:                               ;   in Loop: Header=BB357_15 Depth=1
	v_and_b32_e32 v0, 7, v27
	v_ffbh_u32_e32 v0, v0
	v_min_u32_e32 v0, 32, v0
	v_subrev_nc_u32_e32 v1, 28, v0
	v_sub_nc_u32_e32 v0, 29, v0
	v_lshlrev_b64 v[29:30], v1, v[27:28]
; %bb.87:                               ;   in Loop: Header=BB357_15 Depth=1
	s_or_b32 exec_lo, exec_lo, s23
	v_lshlrev_b32_e32 v1, 20, v29
	v_lshlrev_b32_e32 v2, 24, v27
	v_lshl_add_u32 v0, v0, 23, 0x3c000000
	v_and_b32_e32 v1, 0x700000, v1
	v_and_b32_e32 v2, 0x80000000, v2
	v_or3_b32 v0, v1, v2, v0
	buffer_store_dword v0, off, s[0:3], s32 offset:236 ; 4-byte Folded Spill
.LBB357_88:                             ;   in Loop: Header=BB357_15 Depth=1
	s_or_b32 exec_lo, exec_lo, s22
.LBB357_89:                             ;   in Loop: Header=BB357_15 Depth=1
	s_or_b32 exec_lo, exec_lo, s21
.LBB357_90:                             ;   in Loop: Header=BB357_15 Depth=1
	s_or_b32 exec_lo, exec_lo, s20
	v_cmp_ne_u16_sdwa s5, v27, v14 src0_sel:BYTE_1 src1_sel:DWORD
	s_and_saveexec_b32 s20, s5
	s_cbranch_execz .LBB357_98
; %bb.91:                               ;   in Loop: Header=BB357_15 Depth=1
	v_cmp_ne_u16_sdwa s5, v27, v43 src0_sel:BYTE_1 src1_sel:DWORD
	v_bfrev_b32_e32 v0, 1
	buffer_store_dword v0, off, s[0:3], s32 offset:240 ; 4-byte Folded Spill
	s_and_saveexec_b32 s21, s5
	s_cbranch_execz .LBB357_97
; %bb.92:                               ;   in Loop: Header=BB357_15 Depth=1
	v_mov_b32_e32 v0, 0xffff
	v_mov_b32_e32 v2, 0x7f800001
	s_mov_b32 s22, exec_lo
	v_and_b32_sdwa v0, v0, v27 dst_sel:DWORD dst_unused:UNUSED_PAD src0_sel:DWORD src1_sel:BYTE_1
	buffer_store_dword v2, off, s[0:3], s32 offset:240 ; 4-byte Folded Spill
	v_and_b32_e32 v1, 0x7f, v0
	v_cmpx_ne_u32_e32 0x7f, v1
	s_cbranch_execz .LBB357_96
; %bb.93:                               ;   in Loop: Header=BB357_15 Depth=1
	v_and_b32_e32 v13, 7, v0
	v_mov_b32_e32 v30, v14
	v_lshrrev_b32_e32 v0, 3, v1
	s_mov_b32 s23, exec_lo
	v_mov_b32_e32 v29, v13
	v_cmpx_gt_u32_e32 8, v1
; %bb.94:                               ;   in Loop: Header=BB357_15 Depth=1
	v_ffbh_u32_e32 v0, v13
	v_min_u32_e32 v0, 32, v0
	v_subrev_nc_u32_e32 v1, 28, v0
	v_sub_nc_u32_e32 v0, 29, v0
	v_lshlrev_b64 v[1:2], v1, v[13:14]
	v_and_b32_e32 v29, 7, v1
; %bb.95:                               ;   in Loop: Header=BB357_15 Depth=1
	s_or_b32 exec_lo, exec_lo, s23
	v_lshlrev_b32_e32 v1, 16, v27
	v_lshlrev_b32_e32 v2, 20, v29
	v_lshl_add_u32 v0, v0, 23, 0x3c000000
	v_and_b32_e32 v1, 0x80000000, v1
	v_or3_b32 v0, v2, v1, v0
	buffer_store_dword v0, off, s[0:3], s32 offset:240 ; 4-byte Folded Spill
.LBB357_96:                             ;   in Loop: Header=BB357_15 Depth=1
	s_or_b32 exec_lo, exec_lo, s22
.LBB357_97:                             ;   in Loop: Header=BB357_15 Depth=1
	s_or_b32 exec_lo, exec_lo, s21
.LBB357_98:                             ;   in Loop: Header=BB357_15 Depth=1
	s_or_b32 exec_lo, exec_lo, s20
	v_mov_b32_e32 v1, 0
	v_and_b32_sdwa v0, v27, v3 dst_sel:DWORD dst_unused:UNUSED_PAD src0_sel:WORD_1 src1_sel:DWORD
	s_mov_b32 s20, exec_lo
	buffer_store_dword v1, off, s[0:3], s32 offset:244 ; 4-byte Folded Spill
	v_mov_b32_e32 v1, 0
	buffer_store_dword v1, off, s[0:3], s32 offset:656 ; 4-byte Folded Spill
	v_cmpx_ne_u16_e32 0, v0
	s_cbranch_execz .LBB357_106
; %bb.99:                               ;   in Loop: Header=BB357_15 Depth=1
	v_cmp_ne_u16_e64 s5, 0x80, v0
	v_bfrev_b32_e32 v0, 1
	s_and_saveexec_b32 s21, s5
	s_cbranch_execz .LBB357_105
; %bb.100:                              ;   in Loop: Header=BB357_15 Depth=1
	v_bfe_u32 v1, v27, 16, 7
	v_mov_b32_e32 v0, 0x7f800001
	s_mov_b32 s22, exec_lo
	v_cmpx_ne_u32_e32 0x7f, v1
	s_cbranch_execz .LBB357_104
; %bb.101:                              ;   in Loop: Header=BB357_15 Depth=1
	v_mov_b32_e32 v0, 7
	s_mov_b32 s23, exec_lo
	v_and_b32_sdwa v13, v27, v0 dst_sel:DWORD dst_unused:UNUSED_PAD src0_sel:WORD_1 src1_sel:DWORD
	v_mov_b32_e32 v30, v14
	v_lshrrev_b32_e32 v0, 3, v1
	v_mov_b32_e32 v29, v13
	v_cmpx_gt_u32_e32 8, v1
; %bb.102:                              ;   in Loop: Header=BB357_15 Depth=1
	v_ffbh_u32_e32 v0, v13
	v_min_u32_e32 v0, 32, v0
	v_subrev_nc_u32_e32 v1, 28, v0
	v_sub_nc_u32_e32 v0, 29, v0
	v_lshlrev_b64 v[1:2], v1, v[13:14]
	v_and_b32_e32 v29, 7, v1
; %bb.103:                              ;   in Loop: Header=BB357_15 Depth=1
	s_or_b32 exec_lo, exec_lo, s23
	v_mov_b32_e32 v1, 24
	v_lshlrev_b32_e32 v2, 20, v29
	v_lshl_add_u32 v0, v0, 23, 0x3c000000
	v_lshlrev_b32_sdwa v1, v1, v27 dst_sel:DWORD dst_unused:UNUSED_PAD src0_sel:DWORD src1_sel:WORD_1
	v_and_b32_e32 v1, 0x80000000, v1
	v_or3_b32 v0, v2, v1, v0
.LBB357_104:                            ;   in Loop: Header=BB357_15 Depth=1
	s_or_b32 exec_lo, exec_lo, s22
.LBB357_105:                            ;   in Loop: Header=BB357_15 Depth=1
	s_or_b32 exec_lo, exec_lo, s21
	buffer_store_dword v0, off, s[0:3], s32 offset:656 ; 4-byte Folded Spill
.LBB357_106:                            ;   in Loop: Header=BB357_15 Depth=1
	s_or_b32 exec_lo, exec_lo, s20
	s_mov_b32 s20, exec_lo
	v_cmpx_lt_u32_e32 0xffffff, v27
	s_cbranch_execz .LBB357_114
; %bb.107:                              ;   in Loop: Header=BB357_15 Depth=1
	v_cmp_ne_u32_sdwa s5, v27, v43 src0_sel:BYTE_3 src1_sel:DWORD
	v_bfrev_b32_e32 v0, 1
	buffer_store_dword v0, off, s[0:3], s32 offset:244 ; 4-byte Folded Spill
	s_and_saveexec_b32 s21, s5
	s_cbranch_execz .LBB357_113
; %bb.108:                              ;   in Loop: Header=BB357_15 Depth=1
	v_bfe_u32 v1, v27, 24, 7
	v_mov_b32_e32 v0, 0x7f800001
	s_mov_b32 s22, exec_lo
	buffer_store_dword v0, off, s[0:3], s32 offset:244 ; 4-byte Folded Spill
	v_cmpx_ne_u32_e32 0x7f, v1
	s_cbranch_execz .LBB357_112
; %bb.109:                              ;   in Loop: Header=BB357_15 Depth=1
	v_mov_b32_e32 v0, 7
	s_mov_b32 s23, exec_lo
	v_and_b32_sdwa v13, v27, v0 dst_sel:DWORD dst_unused:UNUSED_PAD src0_sel:BYTE_3 src1_sel:DWORD
	v_mov_b32_e32 v30, v14
	v_lshrrev_b32_e32 v0, 3, v1
	v_mov_b32_e32 v29, v13
	v_cmpx_gt_u32_e32 8, v1
; %bb.110:                              ;   in Loop: Header=BB357_15 Depth=1
	v_ffbh_u32_e32 v0, v13
	v_min_u32_e32 v0, 32, v0
	v_subrev_nc_u32_e32 v1, 28, v0
	v_sub_nc_u32_e32 v0, 29, v0
	v_lshlrev_b64 v[1:2], v1, v[13:14]
	v_and_b32_e32 v29, 7, v1
; %bb.111:                              ;   in Loop: Header=BB357_15 Depth=1
	s_or_b32 exec_lo, exec_lo, s23
	v_mov_b32_e32 v1, 24
	v_lshlrev_b32_e32 v2, 20, v29
	v_lshl_add_u32 v0, v0, 23, 0x3c000000
	v_lshlrev_b32_sdwa v1, v1, v27 dst_sel:DWORD dst_unused:UNUSED_PAD src0_sel:DWORD src1_sel:BYTE_3
	v_and_b32_e32 v1, 0x80000000, v1
	v_or3_b32 v0, v2, v1, v0
	buffer_store_dword v0, off, s[0:3], s32 offset:244 ; 4-byte Folded Spill
.LBB357_112:                            ;   in Loop: Header=BB357_15 Depth=1
	s_or_b32 exec_lo, exec_lo, s22
.LBB357_113:                            ;   in Loop: Header=BB357_15 Depth=1
	s_or_b32 exec_lo, exec_lo, s21
.LBB357_114:                            ;   in Loop: Header=BB357_15 Depth=1
	s_or_b32 exec_lo, exec_lo, s20
	v_mov_b32_e32 v0, 0
	v_mov_b32_e32 v13, v28
	v_cmp_ne_u16_sdwa s5, v28, v14 src0_sel:BYTE_0 src1_sel:DWORD
	buffer_store_dword v0, off, s[0:3], s32 offset:252 ; 4-byte Folded Spill
	v_mov_b32_e32 v0, 0
	buffer_store_dword v0, off, s[0:3], s32 offset:248 ; 4-byte Folded Spill
	s_and_saveexec_b32 s20, s5
	s_cbranch_execz .LBB357_122
; %bb.115:                              ;   in Loop: Header=BB357_15 Depth=1
	v_cmp_ne_u16_sdwa s5, v28, v43 src0_sel:BYTE_0 src1_sel:DWORD
	v_bfrev_b32_e32 v0, 1
	buffer_store_dword v0, off, s[0:3], s32 offset:248 ; 4-byte Folded Spill
	s_and_saveexec_b32 s21, s5
	s_cbranch_execz .LBB357_121
; %bb.116:                              ;   in Loop: Header=BB357_15 Depth=1
	v_and_b32_e32 v1, 0x7f, v28
	v_mov_b32_e32 v0, 0x7f800001
	s_mov_b32 s22, exec_lo
	buffer_store_dword v0, off, s[0:3], s32 offset:248 ; 4-byte Folded Spill
	v_cmpx_ne_u32_e32 0x7f, v1
	s_cbranch_execz .LBB357_120
; %bb.117:                              ;   in Loop: Header=BB357_15 Depth=1
	v_mov_b32_e32 v30, v14
	v_lshrrev_b32_e32 v0, 3, v1
	v_mov_b32_e32 v29, v13
	s_mov_b32 s23, exec_lo
	v_cmpx_gt_u32_e32 8, v1
; %bb.118:                              ;   in Loop: Header=BB357_15 Depth=1
	v_and_b32_e32 v0, 7, v28
	v_ffbh_u32_e32 v0, v0
	v_min_u32_e32 v0, 32, v0
	v_subrev_nc_u32_e32 v1, 28, v0
	v_sub_nc_u32_e32 v0, 29, v0
	v_lshlrev_b64 v[29:30], v1, v[13:14]
; %bb.119:                              ;   in Loop: Header=BB357_15 Depth=1
	s_or_b32 exec_lo, exec_lo, s23
	v_lshlrev_b32_e32 v1, 20, v29
	v_lshlrev_b32_e32 v2, 24, v13
	v_lshl_add_u32 v0, v0, 23, 0x3c000000
	v_and_b32_e32 v1, 0x700000, v1
	v_and_b32_e32 v2, 0x80000000, v2
	v_or3_b32 v0, v1, v2, v0
	buffer_store_dword v0, off, s[0:3], s32 offset:248 ; 4-byte Folded Spill
.LBB357_120:                            ;   in Loop: Header=BB357_15 Depth=1
	s_or_b32 exec_lo, exec_lo, s22
.LBB357_121:                            ;   in Loop: Header=BB357_15 Depth=1
	s_or_b32 exec_lo, exec_lo, s21
.LBB357_122:                            ;   in Loop: Header=BB357_15 Depth=1
	s_or_b32 exec_lo, exec_lo, s20
	v_cmp_ne_u16_sdwa s5, v13, v14 src0_sel:BYTE_1 src1_sel:DWORD
	s_and_saveexec_b32 s20, s5
	s_cbranch_execz .LBB357_130
; %bb.123:                              ;   in Loop: Header=BB357_15 Depth=1
	v_cmp_ne_u16_sdwa s5, v13, v43 src0_sel:BYTE_1 src1_sel:DWORD
	v_bfrev_b32_e32 v0, 1
	buffer_store_dword v0, off, s[0:3], s32 offset:252 ; 4-byte Folded Spill
	s_and_saveexec_b32 s21, s5
	s_cbranch_execz .LBB357_129
; %bb.124:                              ;   in Loop: Header=BB357_15 Depth=1
	v_mov_b32_e32 v0, 0xffff
	v_mov_b32_e32 v2, 0x7f800001
	s_mov_b32 s22, exec_lo
	v_and_b32_sdwa v0, v0, v13 dst_sel:DWORD dst_unused:UNUSED_PAD src0_sel:DWORD src1_sel:BYTE_1
	buffer_store_dword v2, off, s[0:3], s32 offset:252 ; 4-byte Folded Spill
	v_and_b32_e32 v1, 0x7f, v0
	v_cmpx_ne_u32_e32 0x7f, v1
	s_cbranch_execz .LBB357_128
; %bb.125:                              ;   in Loop: Header=BB357_15 Depth=1
	v_and_b32_e32 v29, 7, v0
	v_mov_b32_e32 v30, v14
	v_lshrrev_b32_e32 v0, 3, v1
	s_mov_b32 s23, exec_lo
	v_cmpx_gt_u32_e32 8, v1
; %bb.126:                              ;   in Loop: Header=BB357_15 Depth=1
	v_ffbh_u32_e32 v0, v29
	v_min_u32_e32 v0, 32, v0
	v_subrev_nc_u32_e32 v1, 28, v0
	v_sub_nc_u32_e32 v0, 29, v0
	v_lshlrev_b64 v[1:2], v1, v[29:30]
	v_and_b32_e32 v29, 7, v1
; %bb.127:                              ;   in Loop: Header=BB357_15 Depth=1
	s_or_b32 exec_lo, exec_lo, s23
	v_lshlrev_b32_e32 v1, 16, v13
	v_lshlrev_b32_e32 v2, 20, v29
	v_lshl_add_u32 v0, v0, 23, 0x3c000000
	v_and_b32_e32 v1, 0x80000000, v1
	v_or3_b32 v0, v2, v1, v0
	buffer_store_dword v0, off, s[0:3], s32 offset:252 ; 4-byte Folded Spill
.LBB357_128:                            ;   in Loop: Header=BB357_15 Depth=1
	s_or_b32 exec_lo, exec_lo, s22
.LBB357_129:                            ;   in Loop: Header=BB357_15 Depth=1
	s_or_b32 exec_lo, exec_lo, s21
.LBB357_130:                            ;   in Loop: Header=BB357_15 Depth=1
	s_or_b32 exec_lo, exec_lo, s20
	v_mov_b32_e32 v1, 0
	v_and_b32_sdwa v0, v28, v3 dst_sel:DWORD dst_unused:UNUSED_PAD src0_sel:WORD_1 src1_sel:DWORD
	s_mov_b32 s20, exec_lo
	buffer_store_dword v1, off, s[0:3], s32 offset:256 ; 4-byte Folded Spill
	v_mov_b32_e32 v1, 0
	buffer_store_dword v1, off, s[0:3], s32 offset:660 ; 4-byte Folded Spill
	v_cmpx_ne_u16_e32 0, v0
	s_cbranch_execz .LBB357_138
; %bb.131:                              ;   in Loop: Header=BB357_15 Depth=1
	v_cmp_ne_u16_e64 s5, 0x80, v0
	v_bfrev_b32_e32 v0, 1
	s_and_saveexec_b32 s21, s5
	s_cbranch_execz .LBB357_137
; %bb.132:                              ;   in Loop: Header=BB357_15 Depth=1
	v_bfe_u32 v1, v28, 16, 7
	v_mov_b32_e32 v0, 0x7f800001
	s_mov_b32 s22, exec_lo
	v_cmpx_ne_u32_e32 0x7f, v1
	s_cbranch_execz .LBB357_136
; %bb.133:                              ;   in Loop: Header=BB357_15 Depth=1
	v_mov_b32_e32 v0, 7
	s_mov_b32 s23, exec_lo
	v_and_b32_sdwa v13, v28, v0 dst_sel:DWORD dst_unused:UNUSED_PAD src0_sel:WORD_1 src1_sel:DWORD
	v_mov_b32_e32 v30, v14
	v_lshrrev_b32_e32 v0, 3, v1
	v_mov_b32_e32 v29, v13
	v_cmpx_gt_u32_e32 8, v1
; %bb.134:                              ;   in Loop: Header=BB357_15 Depth=1
	v_ffbh_u32_e32 v0, v13
	v_min_u32_e32 v0, 32, v0
	v_subrev_nc_u32_e32 v1, 28, v0
	v_sub_nc_u32_e32 v0, 29, v0
	v_lshlrev_b64 v[1:2], v1, v[13:14]
	v_and_b32_e32 v29, 7, v1
; %bb.135:                              ;   in Loop: Header=BB357_15 Depth=1
	s_or_b32 exec_lo, exec_lo, s23
	v_mov_b32_e32 v1, 24
	v_lshlrev_b32_e32 v2, 20, v29
	v_lshl_add_u32 v0, v0, 23, 0x3c000000
	v_lshlrev_b32_sdwa v1, v1, v28 dst_sel:DWORD dst_unused:UNUSED_PAD src0_sel:DWORD src1_sel:WORD_1
	v_and_b32_e32 v1, 0x80000000, v1
	v_or3_b32 v0, v2, v1, v0
.LBB357_136:                            ;   in Loop: Header=BB357_15 Depth=1
	s_or_b32 exec_lo, exec_lo, s22
.LBB357_137:                            ;   in Loop: Header=BB357_15 Depth=1
	s_or_b32 exec_lo, exec_lo, s21
	buffer_store_dword v0, off, s[0:3], s32 offset:660 ; 4-byte Folded Spill
.LBB357_138:                            ;   in Loop: Header=BB357_15 Depth=1
	s_or_b32 exec_lo, exec_lo, s20
	s_mov_b32 s20, exec_lo
	v_cmpx_lt_u64_e64 s[12:13], v[27:28]
	s_cbranch_execz .LBB357_146
; %bb.139:                              ;   in Loop: Header=BB357_15 Depth=1
	v_cmp_ne_u32_sdwa s5, v28, v43 src0_sel:BYTE_3 src1_sel:DWORD
	v_bfrev_b32_e32 v0, 1
	buffer_store_dword v0, off, s[0:3], s32 offset:256 ; 4-byte Folded Spill
	s_and_saveexec_b32 s21, s5
	s_cbranch_execz .LBB357_145
; %bb.140:                              ;   in Loop: Header=BB357_15 Depth=1
	v_bfe_u32 v1, v28, 24, 7
	v_mov_b32_e32 v0, 0x7f800001
	s_mov_b32 s22, exec_lo
	buffer_store_dword v0, off, s[0:3], s32 offset:256 ; 4-byte Folded Spill
	v_cmpx_ne_u32_e32 0x7f, v1
	s_cbranch_execz .LBB357_144
; %bb.141:                              ;   in Loop: Header=BB357_15 Depth=1
	v_mov_b32_e32 v0, 7
	s_mov_b32 s23, exec_lo
	v_and_b32_sdwa v13, v28, v0 dst_sel:DWORD dst_unused:UNUSED_PAD src0_sel:BYTE_3 src1_sel:DWORD
	v_mov_b32_e32 v30, v14
	v_lshrrev_b32_e32 v0, 3, v1
	v_mov_b32_e32 v29, v13
	v_cmpx_gt_u32_e32 8, v1
; %bb.142:                              ;   in Loop: Header=BB357_15 Depth=1
	v_ffbh_u32_e32 v0, v13
	v_min_u32_e32 v0, 32, v0
	v_subrev_nc_u32_e32 v1, 28, v0
	v_sub_nc_u32_e32 v0, 29, v0
	v_lshlrev_b64 v[1:2], v1, v[13:14]
	v_and_b32_e32 v29, 7, v1
; %bb.143:                              ;   in Loop: Header=BB357_15 Depth=1
	s_or_b32 exec_lo, exec_lo, s23
	v_mov_b32_e32 v1, 24
	v_lshlrev_b32_e32 v2, 20, v29
	v_lshl_add_u32 v0, v0, 23, 0x3c000000
	v_lshlrev_b32_sdwa v1, v1, v28 dst_sel:DWORD dst_unused:UNUSED_PAD src0_sel:DWORD src1_sel:BYTE_3
	v_and_b32_e32 v1, 0x80000000, v1
	v_or3_b32 v0, v2, v1, v0
	buffer_store_dword v0, off, s[0:3], s32 offset:256 ; 4-byte Folded Spill
.LBB357_144:                            ;   in Loop: Header=BB357_15 Depth=1
	s_or_b32 exec_lo, exec_lo, s22
.LBB357_145:                            ;   in Loop: Header=BB357_15 Depth=1
	s_or_b32 exec_lo, exec_lo, s21
.LBB357_146:                            ;   in Loop: Header=BB357_15 Depth=1
	s_or_b32 exec_lo, exec_lo, s20
	flat_load_dwordx2 v[27:28], v[24:25] offset:512
	v_mov_b32_e32 v0, 0
	buffer_store_dword v0, off, s[0:3], s32 offset:264 ; 4-byte Folded Spill
	v_mov_b32_e32 v0, 0
	buffer_store_dword v0, off, s[0:3], s32 offset:260 ; 4-byte Folded Spill
	s_waitcnt vmcnt(0) lgkmcnt(0)
	v_cmp_ne_u16_sdwa s5, v27, v14 src0_sel:BYTE_0 src1_sel:DWORD
	s_and_saveexec_b32 s20, s5
	s_cbranch_execz .LBB357_154
; %bb.147:                              ;   in Loop: Header=BB357_15 Depth=1
	v_cmp_ne_u16_sdwa s5, v27, v43 src0_sel:BYTE_0 src1_sel:DWORD
	v_bfrev_b32_e32 v0, 1
	buffer_store_dword v0, off, s[0:3], s32 offset:260 ; 4-byte Folded Spill
	s_and_saveexec_b32 s21, s5
	s_cbranch_execz .LBB357_153
; %bb.148:                              ;   in Loop: Header=BB357_15 Depth=1
	v_and_b32_e32 v1, 0x7f, v27
	v_mov_b32_e32 v0, 0x7f800001
	s_mov_b32 s22, exec_lo
	buffer_store_dword v0, off, s[0:3], s32 offset:260 ; 4-byte Folded Spill
	v_cmpx_ne_u32_e32 0x7f, v1
	s_cbranch_execz .LBB357_152
; %bb.149:                              ;   in Loop: Header=BB357_15 Depth=1
	v_mov_b32_e32 v30, v28
	v_lshrrev_b32_e32 v0, 3, v1
	v_mov_b32_e32 v29, v27
	s_mov_b32 s23, exec_lo
	v_cmpx_gt_u32_e32 8, v1
; %bb.150:                              ;   in Loop: Header=BB357_15 Depth=1
	v_and_b32_e32 v0, 7, v27
	v_ffbh_u32_e32 v0, v0
	v_min_u32_e32 v0, 32, v0
	v_subrev_nc_u32_e32 v1, 28, v0
	v_sub_nc_u32_e32 v0, 29, v0
	v_lshlrev_b64 v[29:30], v1, v[27:28]
; %bb.151:                              ;   in Loop: Header=BB357_15 Depth=1
	s_or_b32 exec_lo, exec_lo, s23
	v_lshlrev_b32_e32 v1, 20, v29
	v_lshlrev_b32_e32 v2, 24, v27
	v_lshl_add_u32 v0, v0, 23, 0x3c000000
	v_and_b32_e32 v1, 0x700000, v1
	v_and_b32_e32 v2, 0x80000000, v2
	v_or3_b32 v0, v1, v2, v0
	buffer_store_dword v0, off, s[0:3], s32 offset:260 ; 4-byte Folded Spill
.LBB357_152:                            ;   in Loop: Header=BB357_15 Depth=1
	s_or_b32 exec_lo, exec_lo, s22
.LBB357_153:                            ;   in Loop: Header=BB357_15 Depth=1
	s_or_b32 exec_lo, exec_lo, s21
.LBB357_154:                            ;   in Loop: Header=BB357_15 Depth=1
	s_or_b32 exec_lo, exec_lo, s20
	v_cmp_ne_u16_sdwa s5, v27, v14 src0_sel:BYTE_1 src1_sel:DWORD
	s_and_saveexec_b32 s20, s5
	s_cbranch_execz .LBB357_162
; %bb.155:                              ;   in Loop: Header=BB357_15 Depth=1
	v_cmp_ne_u16_sdwa s5, v27, v43 src0_sel:BYTE_1 src1_sel:DWORD
	v_bfrev_b32_e32 v0, 1
	buffer_store_dword v0, off, s[0:3], s32 offset:264 ; 4-byte Folded Spill
	s_and_saveexec_b32 s21, s5
	s_cbranch_execz .LBB357_161
; %bb.156:                              ;   in Loop: Header=BB357_15 Depth=1
	v_mov_b32_e32 v0, 0xffff
	v_mov_b32_e32 v2, 0x7f800001
	s_mov_b32 s22, exec_lo
	v_and_b32_sdwa v0, v0, v27 dst_sel:DWORD dst_unused:UNUSED_PAD src0_sel:DWORD src1_sel:BYTE_1
	buffer_store_dword v2, off, s[0:3], s32 offset:264 ; 4-byte Folded Spill
	v_and_b32_e32 v1, 0x7f, v0
	v_cmpx_ne_u32_e32 0x7f, v1
	s_cbranch_execz .LBB357_160
; %bb.157:                              ;   in Loop: Header=BB357_15 Depth=1
	v_and_b32_e32 v13, 7, v0
	v_mov_b32_e32 v30, v14
	v_lshrrev_b32_e32 v0, 3, v1
	s_mov_b32 s23, exec_lo
	v_mov_b32_e32 v29, v13
	v_cmpx_gt_u32_e32 8, v1
; %bb.158:                              ;   in Loop: Header=BB357_15 Depth=1
	v_ffbh_u32_e32 v0, v13
	v_min_u32_e32 v0, 32, v0
	v_subrev_nc_u32_e32 v1, 28, v0
	v_sub_nc_u32_e32 v0, 29, v0
	v_lshlrev_b64 v[1:2], v1, v[13:14]
	v_and_b32_e32 v29, 7, v1
; %bb.159:                              ;   in Loop: Header=BB357_15 Depth=1
	s_or_b32 exec_lo, exec_lo, s23
	v_lshlrev_b32_e32 v1, 16, v27
	v_lshlrev_b32_e32 v2, 20, v29
	v_lshl_add_u32 v0, v0, 23, 0x3c000000
	v_and_b32_e32 v1, 0x80000000, v1
	v_or3_b32 v0, v2, v1, v0
	buffer_store_dword v0, off, s[0:3], s32 offset:264 ; 4-byte Folded Spill
.LBB357_160:                            ;   in Loop: Header=BB357_15 Depth=1
	s_or_b32 exec_lo, exec_lo, s22
.LBB357_161:                            ;   in Loop: Header=BB357_15 Depth=1
	s_or_b32 exec_lo, exec_lo, s21
.LBB357_162:                            ;   in Loop: Header=BB357_15 Depth=1
	s_or_b32 exec_lo, exec_lo, s20
	v_mov_b32_e32 v1, 0
	v_and_b32_sdwa v0, v27, v3 dst_sel:DWORD dst_unused:UNUSED_PAD src0_sel:WORD_1 src1_sel:DWORD
	s_mov_b32 s20, exec_lo
	buffer_store_dword v1, off, s[0:3], s32 offset:268 ; 4-byte Folded Spill
	v_mov_b32_e32 v1, 0
	buffer_store_dword v1, off, s[0:3], s32 offset:664 ; 4-byte Folded Spill
	v_cmpx_ne_u16_e32 0, v0
	s_cbranch_execz .LBB357_170
; %bb.163:                              ;   in Loop: Header=BB357_15 Depth=1
	v_cmp_ne_u16_e64 s5, 0x80, v0
	v_bfrev_b32_e32 v0, 1
	s_and_saveexec_b32 s21, s5
	s_cbranch_execz .LBB357_169
; %bb.164:                              ;   in Loop: Header=BB357_15 Depth=1
	v_bfe_u32 v1, v27, 16, 7
	v_mov_b32_e32 v0, 0x7f800001
	s_mov_b32 s22, exec_lo
	v_cmpx_ne_u32_e32 0x7f, v1
	s_cbranch_execz .LBB357_168
; %bb.165:                              ;   in Loop: Header=BB357_15 Depth=1
	v_mov_b32_e32 v0, 7
	s_mov_b32 s23, exec_lo
	v_and_b32_sdwa v13, v27, v0 dst_sel:DWORD dst_unused:UNUSED_PAD src0_sel:WORD_1 src1_sel:DWORD
	v_mov_b32_e32 v30, v14
	v_lshrrev_b32_e32 v0, 3, v1
	v_mov_b32_e32 v29, v13
	v_cmpx_gt_u32_e32 8, v1
; %bb.166:                              ;   in Loop: Header=BB357_15 Depth=1
	v_ffbh_u32_e32 v0, v13
	v_min_u32_e32 v0, 32, v0
	v_subrev_nc_u32_e32 v1, 28, v0
	v_sub_nc_u32_e32 v0, 29, v0
	v_lshlrev_b64 v[1:2], v1, v[13:14]
	v_and_b32_e32 v29, 7, v1
; %bb.167:                              ;   in Loop: Header=BB357_15 Depth=1
	s_or_b32 exec_lo, exec_lo, s23
	v_mov_b32_e32 v1, 24
	v_lshlrev_b32_e32 v2, 20, v29
	v_lshl_add_u32 v0, v0, 23, 0x3c000000
	v_lshlrev_b32_sdwa v1, v1, v27 dst_sel:DWORD dst_unused:UNUSED_PAD src0_sel:DWORD src1_sel:WORD_1
	v_and_b32_e32 v1, 0x80000000, v1
	v_or3_b32 v0, v2, v1, v0
.LBB357_168:                            ;   in Loop: Header=BB357_15 Depth=1
	s_or_b32 exec_lo, exec_lo, s22
.LBB357_169:                            ;   in Loop: Header=BB357_15 Depth=1
	s_or_b32 exec_lo, exec_lo, s21
	buffer_store_dword v0, off, s[0:3], s32 offset:664 ; 4-byte Folded Spill
.LBB357_170:                            ;   in Loop: Header=BB357_15 Depth=1
	s_or_b32 exec_lo, exec_lo, s20
	s_mov_b32 s20, exec_lo
	v_cmpx_lt_u32_e32 0xffffff, v27
	s_cbranch_execz .LBB357_178
; %bb.171:                              ;   in Loop: Header=BB357_15 Depth=1
	v_cmp_ne_u32_sdwa s5, v27, v43 src0_sel:BYTE_3 src1_sel:DWORD
	v_bfrev_b32_e32 v0, 1
	buffer_store_dword v0, off, s[0:3], s32 offset:268 ; 4-byte Folded Spill
	s_and_saveexec_b32 s21, s5
	s_cbranch_execz .LBB357_177
; %bb.172:                              ;   in Loop: Header=BB357_15 Depth=1
	v_bfe_u32 v1, v27, 24, 7
	v_mov_b32_e32 v0, 0x7f800001
	s_mov_b32 s22, exec_lo
	buffer_store_dword v0, off, s[0:3], s32 offset:268 ; 4-byte Folded Spill
	v_cmpx_ne_u32_e32 0x7f, v1
	s_cbranch_execz .LBB357_176
; %bb.173:                              ;   in Loop: Header=BB357_15 Depth=1
	v_mov_b32_e32 v0, 7
	s_mov_b32 s23, exec_lo
	v_and_b32_sdwa v13, v27, v0 dst_sel:DWORD dst_unused:UNUSED_PAD src0_sel:BYTE_3 src1_sel:DWORD
	v_mov_b32_e32 v30, v14
	v_lshrrev_b32_e32 v0, 3, v1
	v_mov_b32_e32 v29, v13
	v_cmpx_gt_u32_e32 8, v1
; %bb.174:                              ;   in Loop: Header=BB357_15 Depth=1
	v_ffbh_u32_e32 v0, v13
	v_min_u32_e32 v0, 32, v0
	v_subrev_nc_u32_e32 v1, 28, v0
	v_sub_nc_u32_e32 v0, 29, v0
	v_lshlrev_b64 v[1:2], v1, v[13:14]
	v_and_b32_e32 v29, 7, v1
; %bb.175:                              ;   in Loop: Header=BB357_15 Depth=1
	s_or_b32 exec_lo, exec_lo, s23
	v_mov_b32_e32 v1, 24
	v_lshlrev_b32_e32 v2, 20, v29
	v_lshl_add_u32 v0, v0, 23, 0x3c000000
	v_lshlrev_b32_sdwa v1, v1, v27 dst_sel:DWORD dst_unused:UNUSED_PAD src0_sel:DWORD src1_sel:BYTE_3
	v_and_b32_e32 v1, 0x80000000, v1
	v_or3_b32 v0, v2, v1, v0
	buffer_store_dword v0, off, s[0:3], s32 offset:268 ; 4-byte Folded Spill
.LBB357_176:                            ;   in Loop: Header=BB357_15 Depth=1
	s_or_b32 exec_lo, exec_lo, s22
.LBB357_177:                            ;   in Loop: Header=BB357_15 Depth=1
	s_or_b32 exec_lo, exec_lo, s21
.LBB357_178:                            ;   in Loop: Header=BB357_15 Depth=1
	s_or_b32 exec_lo, exec_lo, s20
	v_mov_b32_e32 v0, 0
	v_mov_b32_e32 v13, v28
	v_cmp_ne_u16_sdwa s5, v28, v14 src0_sel:BYTE_0 src1_sel:DWORD
	buffer_store_dword v0, off, s[0:3], s32 offset:276 ; 4-byte Folded Spill
	v_mov_b32_e32 v0, 0
	buffer_store_dword v0, off, s[0:3], s32 offset:272 ; 4-byte Folded Spill
	s_and_saveexec_b32 s20, s5
	s_cbranch_execz .LBB357_186
; %bb.179:                              ;   in Loop: Header=BB357_15 Depth=1
	v_cmp_ne_u16_sdwa s5, v28, v43 src0_sel:BYTE_0 src1_sel:DWORD
	v_bfrev_b32_e32 v0, 1
	buffer_store_dword v0, off, s[0:3], s32 offset:272 ; 4-byte Folded Spill
	s_and_saveexec_b32 s21, s5
	s_cbranch_execz .LBB357_185
; %bb.180:                              ;   in Loop: Header=BB357_15 Depth=1
	v_and_b32_e32 v1, 0x7f, v28
	v_mov_b32_e32 v0, 0x7f800001
	s_mov_b32 s22, exec_lo
	buffer_store_dword v0, off, s[0:3], s32 offset:272 ; 4-byte Folded Spill
	v_cmpx_ne_u32_e32 0x7f, v1
	s_cbranch_execz .LBB357_184
; %bb.181:                              ;   in Loop: Header=BB357_15 Depth=1
	v_mov_b32_e32 v30, v14
	v_lshrrev_b32_e32 v0, 3, v1
	v_mov_b32_e32 v29, v13
	s_mov_b32 s23, exec_lo
	v_cmpx_gt_u32_e32 8, v1
; %bb.182:                              ;   in Loop: Header=BB357_15 Depth=1
	v_and_b32_e32 v0, 7, v28
	v_ffbh_u32_e32 v0, v0
	v_min_u32_e32 v0, 32, v0
	v_subrev_nc_u32_e32 v1, 28, v0
	v_sub_nc_u32_e32 v0, 29, v0
	v_lshlrev_b64 v[29:30], v1, v[13:14]
; %bb.183:                              ;   in Loop: Header=BB357_15 Depth=1
	s_or_b32 exec_lo, exec_lo, s23
	v_lshlrev_b32_e32 v1, 20, v29
	v_lshlrev_b32_e32 v2, 24, v13
	v_lshl_add_u32 v0, v0, 23, 0x3c000000
	v_and_b32_e32 v1, 0x700000, v1
	v_and_b32_e32 v2, 0x80000000, v2
	v_or3_b32 v0, v1, v2, v0
	buffer_store_dword v0, off, s[0:3], s32 offset:272 ; 4-byte Folded Spill
.LBB357_184:                            ;   in Loop: Header=BB357_15 Depth=1
	s_or_b32 exec_lo, exec_lo, s22
.LBB357_185:                            ;   in Loop: Header=BB357_15 Depth=1
	s_or_b32 exec_lo, exec_lo, s21
.LBB357_186:                            ;   in Loop: Header=BB357_15 Depth=1
	s_or_b32 exec_lo, exec_lo, s20
	v_cmp_ne_u16_sdwa s5, v13, v14 src0_sel:BYTE_1 src1_sel:DWORD
	s_and_saveexec_b32 s20, s5
	s_cbranch_execz .LBB357_194
; %bb.187:                              ;   in Loop: Header=BB357_15 Depth=1
	v_cmp_ne_u16_sdwa s5, v13, v43 src0_sel:BYTE_1 src1_sel:DWORD
	v_bfrev_b32_e32 v0, 1
	buffer_store_dword v0, off, s[0:3], s32 offset:276 ; 4-byte Folded Spill
	s_and_saveexec_b32 s21, s5
	s_cbranch_execz .LBB357_193
; %bb.188:                              ;   in Loop: Header=BB357_15 Depth=1
	v_mov_b32_e32 v0, 0xffff
	v_mov_b32_e32 v2, 0x7f800001
	s_mov_b32 s22, exec_lo
	v_and_b32_sdwa v0, v0, v13 dst_sel:DWORD dst_unused:UNUSED_PAD src0_sel:DWORD src1_sel:BYTE_1
	buffer_store_dword v2, off, s[0:3], s32 offset:276 ; 4-byte Folded Spill
	v_and_b32_e32 v1, 0x7f, v0
	v_cmpx_ne_u32_e32 0x7f, v1
	s_cbranch_execz .LBB357_192
; %bb.189:                              ;   in Loop: Header=BB357_15 Depth=1
	v_and_b32_e32 v29, 7, v0
	v_mov_b32_e32 v30, v14
	v_lshrrev_b32_e32 v0, 3, v1
	s_mov_b32 s23, exec_lo
	v_cmpx_gt_u32_e32 8, v1
; %bb.190:                              ;   in Loop: Header=BB357_15 Depth=1
	v_ffbh_u32_e32 v0, v29
	v_min_u32_e32 v0, 32, v0
	v_subrev_nc_u32_e32 v1, 28, v0
	v_sub_nc_u32_e32 v0, 29, v0
	v_lshlrev_b64 v[1:2], v1, v[29:30]
	v_and_b32_e32 v29, 7, v1
; %bb.191:                              ;   in Loop: Header=BB357_15 Depth=1
	s_or_b32 exec_lo, exec_lo, s23
	v_lshlrev_b32_e32 v1, 16, v13
	v_lshlrev_b32_e32 v2, 20, v29
	v_lshl_add_u32 v0, v0, 23, 0x3c000000
	v_and_b32_e32 v1, 0x80000000, v1
	v_or3_b32 v0, v2, v1, v0
	buffer_store_dword v0, off, s[0:3], s32 offset:276 ; 4-byte Folded Spill
.LBB357_192:                            ;   in Loop: Header=BB357_15 Depth=1
	s_or_b32 exec_lo, exec_lo, s22
.LBB357_193:                            ;   in Loop: Header=BB357_15 Depth=1
	s_or_b32 exec_lo, exec_lo, s21
.LBB357_194:                            ;   in Loop: Header=BB357_15 Depth=1
	s_or_b32 exec_lo, exec_lo, s20
	v_mov_b32_e32 v1, 0
	v_and_b32_sdwa v0, v28, v3 dst_sel:DWORD dst_unused:UNUSED_PAD src0_sel:WORD_1 src1_sel:DWORD
	s_mov_b32 s20, exec_lo
	buffer_store_dword v1, off, s[0:3], s32 offset:280 ; 4-byte Folded Spill
	v_mov_b32_e32 v1, 0
	buffer_store_dword v1, off, s[0:3], s32 offset:668 ; 4-byte Folded Spill
	v_cmpx_ne_u16_e32 0, v0
	s_cbranch_execz .LBB357_202
; %bb.195:                              ;   in Loop: Header=BB357_15 Depth=1
	v_cmp_ne_u16_e64 s5, 0x80, v0
	v_bfrev_b32_e32 v0, 1
	s_and_saveexec_b32 s21, s5
	s_cbranch_execz .LBB357_201
; %bb.196:                              ;   in Loop: Header=BB357_15 Depth=1
	v_bfe_u32 v1, v28, 16, 7
	v_mov_b32_e32 v0, 0x7f800001
	s_mov_b32 s22, exec_lo
	v_cmpx_ne_u32_e32 0x7f, v1
	s_cbranch_execz .LBB357_200
; %bb.197:                              ;   in Loop: Header=BB357_15 Depth=1
	v_mov_b32_e32 v0, 7
	s_mov_b32 s23, exec_lo
	v_and_b32_sdwa v13, v28, v0 dst_sel:DWORD dst_unused:UNUSED_PAD src0_sel:WORD_1 src1_sel:DWORD
	v_mov_b32_e32 v30, v14
	v_lshrrev_b32_e32 v0, 3, v1
	v_mov_b32_e32 v29, v13
	v_cmpx_gt_u32_e32 8, v1
; %bb.198:                              ;   in Loop: Header=BB357_15 Depth=1
	v_ffbh_u32_e32 v0, v13
	v_min_u32_e32 v0, 32, v0
	v_subrev_nc_u32_e32 v1, 28, v0
	v_sub_nc_u32_e32 v0, 29, v0
	v_lshlrev_b64 v[1:2], v1, v[13:14]
	v_and_b32_e32 v29, 7, v1
; %bb.199:                              ;   in Loop: Header=BB357_15 Depth=1
	s_or_b32 exec_lo, exec_lo, s23
	v_mov_b32_e32 v1, 24
	v_lshlrev_b32_e32 v2, 20, v29
	v_lshl_add_u32 v0, v0, 23, 0x3c000000
	v_lshlrev_b32_sdwa v1, v1, v28 dst_sel:DWORD dst_unused:UNUSED_PAD src0_sel:DWORD src1_sel:WORD_1
	v_and_b32_e32 v1, 0x80000000, v1
	v_or3_b32 v0, v2, v1, v0
.LBB357_200:                            ;   in Loop: Header=BB357_15 Depth=1
	s_or_b32 exec_lo, exec_lo, s22
.LBB357_201:                            ;   in Loop: Header=BB357_15 Depth=1
	s_or_b32 exec_lo, exec_lo, s21
	buffer_store_dword v0, off, s[0:3], s32 offset:668 ; 4-byte Folded Spill
.LBB357_202:                            ;   in Loop: Header=BB357_15 Depth=1
	s_or_b32 exec_lo, exec_lo, s20
	s_mov_b32 s20, exec_lo
	v_cmpx_lt_u64_e64 s[12:13], v[27:28]
	s_cbranch_execz .LBB357_210
; %bb.203:                              ;   in Loop: Header=BB357_15 Depth=1
	v_cmp_ne_u32_sdwa s5, v28, v43 src0_sel:BYTE_3 src1_sel:DWORD
	v_bfrev_b32_e32 v0, 1
	buffer_store_dword v0, off, s[0:3], s32 offset:280 ; 4-byte Folded Spill
	s_and_saveexec_b32 s21, s5
	s_cbranch_execz .LBB357_209
; %bb.204:                              ;   in Loop: Header=BB357_15 Depth=1
	v_bfe_u32 v1, v28, 24, 7
	v_mov_b32_e32 v0, 0x7f800001
	s_mov_b32 s22, exec_lo
	buffer_store_dword v0, off, s[0:3], s32 offset:280 ; 4-byte Folded Spill
	v_cmpx_ne_u32_e32 0x7f, v1
	s_cbranch_execz .LBB357_208
; %bb.205:                              ;   in Loop: Header=BB357_15 Depth=1
	v_mov_b32_e32 v0, 7
	s_mov_b32 s23, exec_lo
	v_and_b32_sdwa v13, v28, v0 dst_sel:DWORD dst_unused:UNUSED_PAD src0_sel:BYTE_3 src1_sel:DWORD
	v_mov_b32_e32 v30, v14
	v_lshrrev_b32_e32 v0, 3, v1
	v_mov_b32_e32 v29, v13
	v_cmpx_gt_u32_e32 8, v1
; %bb.206:                              ;   in Loop: Header=BB357_15 Depth=1
	v_ffbh_u32_e32 v0, v13
	v_min_u32_e32 v0, 32, v0
	v_subrev_nc_u32_e32 v1, 28, v0
	v_sub_nc_u32_e32 v0, 29, v0
	v_lshlrev_b64 v[1:2], v1, v[13:14]
	v_and_b32_e32 v29, 7, v1
; %bb.207:                              ;   in Loop: Header=BB357_15 Depth=1
	s_or_b32 exec_lo, exec_lo, s23
	v_mov_b32_e32 v1, 24
	v_lshlrev_b32_e32 v2, 20, v29
	v_lshl_add_u32 v0, v0, 23, 0x3c000000
	v_lshlrev_b32_sdwa v1, v1, v28 dst_sel:DWORD dst_unused:UNUSED_PAD src0_sel:DWORD src1_sel:BYTE_3
	v_and_b32_e32 v1, 0x80000000, v1
	v_or3_b32 v0, v2, v1, v0
	buffer_store_dword v0, off, s[0:3], s32 offset:280 ; 4-byte Folded Spill
.LBB357_208:                            ;   in Loop: Header=BB357_15 Depth=1
	s_or_b32 exec_lo, exec_lo, s22
.LBB357_209:                            ;   in Loop: Header=BB357_15 Depth=1
	s_or_b32 exec_lo, exec_lo, s21
.LBB357_210:                            ;   in Loop: Header=BB357_15 Depth=1
	s_or_b32 exec_lo, exec_lo, s20
	flat_load_dwordx2 v[27:28], v[24:25] offset:520
	v_mov_b32_e32 v0, 0
	buffer_store_dword v0, off, s[0:3], s32 offset:288 ; 4-byte Folded Spill
	v_mov_b32_e32 v0, 0
	buffer_store_dword v0, off, s[0:3], s32 offset:284 ; 4-byte Folded Spill
	s_waitcnt vmcnt(0) lgkmcnt(0)
	v_cmp_ne_u16_sdwa s5, v27, v14 src0_sel:BYTE_0 src1_sel:DWORD
	s_and_saveexec_b32 s20, s5
	s_cbranch_execz .LBB357_218
; %bb.211:                              ;   in Loop: Header=BB357_15 Depth=1
	v_cmp_ne_u16_sdwa s5, v27, v43 src0_sel:BYTE_0 src1_sel:DWORD
	v_bfrev_b32_e32 v0, 1
	buffer_store_dword v0, off, s[0:3], s32 offset:284 ; 4-byte Folded Spill
	s_and_saveexec_b32 s21, s5
	s_cbranch_execz .LBB357_217
; %bb.212:                              ;   in Loop: Header=BB357_15 Depth=1
	v_and_b32_e32 v1, 0x7f, v27
	v_mov_b32_e32 v0, 0x7f800001
	s_mov_b32 s22, exec_lo
	buffer_store_dword v0, off, s[0:3], s32 offset:284 ; 4-byte Folded Spill
	v_cmpx_ne_u32_e32 0x7f, v1
	s_cbranch_execz .LBB357_216
; %bb.213:                              ;   in Loop: Header=BB357_15 Depth=1
	v_mov_b32_e32 v30, v28
	v_lshrrev_b32_e32 v0, 3, v1
	v_mov_b32_e32 v29, v27
	s_mov_b32 s23, exec_lo
	v_cmpx_gt_u32_e32 8, v1
; %bb.214:                              ;   in Loop: Header=BB357_15 Depth=1
	v_and_b32_e32 v0, 7, v27
	v_ffbh_u32_e32 v0, v0
	v_min_u32_e32 v0, 32, v0
	v_subrev_nc_u32_e32 v1, 28, v0
	v_sub_nc_u32_e32 v0, 29, v0
	v_lshlrev_b64 v[29:30], v1, v[27:28]
; %bb.215:                              ;   in Loop: Header=BB357_15 Depth=1
	s_or_b32 exec_lo, exec_lo, s23
	v_lshlrev_b32_e32 v1, 20, v29
	v_lshlrev_b32_e32 v2, 24, v27
	v_lshl_add_u32 v0, v0, 23, 0x3c000000
	v_and_b32_e32 v1, 0x700000, v1
	v_and_b32_e32 v2, 0x80000000, v2
	v_or3_b32 v0, v1, v2, v0
	buffer_store_dword v0, off, s[0:3], s32 offset:284 ; 4-byte Folded Spill
.LBB357_216:                            ;   in Loop: Header=BB357_15 Depth=1
	s_or_b32 exec_lo, exec_lo, s22
.LBB357_217:                            ;   in Loop: Header=BB357_15 Depth=1
	s_or_b32 exec_lo, exec_lo, s21
.LBB357_218:                            ;   in Loop: Header=BB357_15 Depth=1
	s_or_b32 exec_lo, exec_lo, s20
	v_cmp_ne_u16_sdwa s5, v27, v14 src0_sel:BYTE_1 src1_sel:DWORD
	s_and_saveexec_b32 s20, s5
	s_cbranch_execz .LBB357_226
; %bb.219:                              ;   in Loop: Header=BB357_15 Depth=1
	v_cmp_ne_u16_sdwa s5, v27, v43 src0_sel:BYTE_1 src1_sel:DWORD
	v_bfrev_b32_e32 v0, 1
	buffer_store_dword v0, off, s[0:3], s32 offset:288 ; 4-byte Folded Spill
	s_and_saveexec_b32 s21, s5
	s_cbranch_execz .LBB357_225
; %bb.220:                              ;   in Loop: Header=BB357_15 Depth=1
	v_mov_b32_e32 v0, 0xffff
	v_mov_b32_e32 v2, 0x7f800001
	s_mov_b32 s22, exec_lo
	v_and_b32_sdwa v0, v0, v27 dst_sel:DWORD dst_unused:UNUSED_PAD src0_sel:DWORD src1_sel:BYTE_1
	buffer_store_dword v2, off, s[0:3], s32 offset:288 ; 4-byte Folded Spill
	v_and_b32_e32 v1, 0x7f, v0
	v_cmpx_ne_u32_e32 0x7f, v1
	s_cbranch_execz .LBB357_224
; %bb.221:                              ;   in Loop: Header=BB357_15 Depth=1
	v_and_b32_e32 v13, 7, v0
	v_mov_b32_e32 v30, v14
	v_lshrrev_b32_e32 v0, 3, v1
	s_mov_b32 s23, exec_lo
	v_mov_b32_e32 v29, v13
	v_cmpx_gt_u32_e32 8, v1
; %bb.222:                              ;   in Loop: Header=BB357_15 Depth=1
	v_ffbh_u32_e32 v0, v13
	v_min_u32_e32 v0, 32, v0
	v_subrev_nc_u32_e32 v1, 28, v0
	v_sub_nc_u32_e32 v0, 29, v0
	v_lshlrev_b64 v[1:2], v1, v[13:14]
	v_and_b32_e32 v29, 7, v1
; %bb.223:                              ;   in Loop: Header=BB357_15 Depth=1
	s_or_b32 exec_lo, exec_lo, s23
	v_lshlrev_b32_e32 v1, 16, v27
	v_lshlrev_b32_e32 v2, 20, v29
	v_lshl_add_u32 v0, v0, 23, 0x3c000000
	v_and_b32_e32 v1, 0x80000000, v1
	v_or3_b32 v0, v2, v1, v0
	buffer_store_dword v0, off, s[0:3], s32 offset:288 ; 4-byte Folded Spill
.LBB357_224:                            ;   in Loop: Header=BB357_15 Depth=1
	s_or_b32 exec_lo, exec_lo, s22
.LBB357_225:                            ;   in Loop: Header=BB357_15 Depth=1
	s_or_b32 exec_lo, exec_lo, s21
.LBB357_226:                            ;   in Loop: Header=BB357_15 Depth=1
	s_or_b32 exec_lo, exec_lo, s20
	v_mov_b32_e32 v1, 0
	v_and_b32_sdwa v0, v27, v3 dst_sel:DWORD dst_unused:UNUSED_PAD src0_sel:WORD_1 src1_sel:DWORD
	s_mov_b32 s20, exec_lo
	buffer_store_dword v1, off, s[0:3], s32 offset:292 ; 4-byte Folded Spill
	v_mov_b32_e32 v1, 0
	buffer_store_dword v1, off, s[0:3], s32 offset:672 ; 4-byte Folded Spill
	v_cmpx_ne_u16_e32 0, v0
	s_cbranch_execz .LBB357_234
; %bb.227:                              ;   in Loop: Header=BB357_15 Depth=1
	v_cmp_ne_u16_e64 s5, 0x80, v0
	v_bfrev_b32_e32 v0, 1
	s_and_saveexec_b32 s21, s5
	s_cbranch_execz .LBB357_233
; %bb.228:                              ;   in Loop: Header=BB357_15 Depth=1
	v_bfe_u32 v1, v27, 16, 7
	v_mov_b32_e32 v0, 0x7f800001
	s_mov_b32 s22, exec_lo
	v_cmpx_ne_u32_e32 0x7f, v1
	s_cbranch_execz .LBB357_232
; %bb.229:                              ;   in Loop: Header=BB357_15 Depth=1
	v_mov_b32_e32 v0, 7
	s_mov_b32 s23, exec_lo
	v_and_b32_sdwa v13, v27, v0 dst_sel:DWORD dst_unused:UNUSED_PAD src0_sel:WORD_1 src1_sel:DWORD
	v_mov_b32_e32 v30, v14
	v_lshrrev_b32_e32 v0, 3, v1
	v_mov_b32_e32 v29, v13
	v_cmpx_gt_u32_e32 8, v1
; %bb.230:                              ;   in Loop: Header=BB357_15 Depth=1
	v_ffbh_u32_e32 v0, v13
	v_min_u32_e32 v0, 32, v0
	v_subrev_nc_u32_e32 v1, 28, v0
	v_sub_nc_u32_e32 v0, 29, v0
	v_lshlrev_b64 v[1:2], v1, v[13:14]
	v_and_b32_e32 v29, 7, v1
; %bb.231:                              ;   in Loop: Header=BB357_15 Depth=1
	s_or_b32 exec_lo, exec_lo, s23
	v_mov_b32_e32 v1, 24
	v_lshlrev_b32_e32 v2, 20, v29
	v_lshl_add_u32 v0, v0, 23, 0x3c000000
	v_lshlrev_b32_sdwa v1, v1, v27 dst_sel:DWORD dst_unused:UNUSED_PAD src0_sel:DWORD src1_sel:WORD_1
	v_and_b32_e32 v1, 0x80000000, v1
	v_or3_b32 v0, v2, v1, v0
.LBB357_232:                            ;   in Loop: Header=BB357_15 Depth=1
	s_or_b32 exec_lo, exec_lo, s22
.LBB357_233:                            ;   in Loop: Header=BB357_15 Depth=1
	s_or_b32 exec_lo, exec_lo, s21
	buffer_store_dword v0, off, s[0:3], s32 offset:672 ; 4-byte Folded Spill
.LBB357_234:                            ;   in Loop: Header=BB357_15 Depth=1
	s_or_b32 exec_lo, exec_lo, s20
	s_mov_b32 s20, exec_lo
	v_cmpx_lt_u32_e32 0xffffff, v27
	s_cbranch_execz .LBB357_242
; %bb.235:                              ;   in Loop: Header=BB357_15 Depth=1
	v_cmp_ne_u32_sdwa s5, v27, v43 src0_sel:BYTE_3 src1_sel:DWORD
	v_bfrev_b32_e32 v0, 1
	buffer_store_dword v0, off, s[0:3], s32 offset:292 ; 4-byte Folded Spill
	s_and_saveexec_b32 s21, s5
	s_cbranch_execz .LBB357_241
; %bb.236:                              ;   in Loop: Header=BB357_15 Depth=1
	v_bfe_u32 v1, v27, 24, 7
	v_mov_b32_e32 v0, 0x7f800001
	s_mov_b32 s22, exec_lo
	buffer_store_dword v0, off, s[0:3], s32 offset:292 ; 4-byte Folded Spill
	v_cmpx_ne_u32_e32 0x7f, v1
	s_cbranch_execz .LBB357_240
; %bb.237:                              ;   in Loop: Header=BB357_15 Depth=1
	v_mov_b32_e32 v0, 7
	s_mov_b32 s23, exec_lo
	v_and_b32_sdwa v13, v27, v0 dst_sel:DWORD dst_unused:UNUSED_PAD src0_sel:BYTE_3 src1_sel:DWORD
	v_mov_b32_e32 v30, v14
	v_lshrrev_b32_e32 v0, 3, v1
	v_mov_b32_e32 v29, v13
	v_cmpx_gt_u32_e32 8, v1
; %bb.238:                              ;   in Loop: Header=BB357_15 Depth=1
	v_ffbh_u32_e32 v0, v13
	v_min_u32_e32 v0, 32, v0
	v_subrev_nc_u32_e32 v1, 28, v0
	v_sub_nc_u32_e32 v0, 29, v0
	v_lshlrev_b64 v[1:2], v1, v[13:14]
	v_and_b32_e32 v29, 7, v1
; %bb.239:                              ;   in Loop: Header=BB357_15 Depth=1
	s_or_b32 exec_lo, exec_lo, s23
	v_mov_b32_e32 v1, 24
	v_lshlrev_b32_e32 v2, 20, v29
	v_lshl_add_u32 v0, v0, 23, 0x3c000000
	v_lshlrev_b32_sdwa v1, v1, v27 dst_sel:DWORD dst_unused:UNUSED_PAD src0_sel:DWORD src1_sel:BYTE_3
	v_and_b32_e32 v1, 0x80000000, v1
	v_or3_b32 v0, v2, v1, v0
	buffer_store_dword v0, off, s[0:3], s32 offset:292 ; 4-byte Folded Spill
.LBB357_240:                            ;   in Loop: Header=BB357_15 Depth=1
	s_or_b32 exec_lo, exec_lo, s22
.LBB357_241:                            ;   in Loop: Header=BB357_15 Depth=1
	s_or_b32 exec_lo, exec_lo, s21
.LBB357_242:                            ;   in Loop: Header=BB357_15 Depth=1
	s_or_b32 exec_lo, exec_lo, s20
	v_mov_b32_e32 v0, 0
	v_mov_b32_e32 v13, v28
	v_cmp_ne_u16_sdwa s5, v28, v14 src0_sel:BYTE_0 src1_sel:DWORD
	buffer_store_dword v0, off, s[0:3], s32 offset:300 ; 4-byte Folded Spill
	v_mov_b32_e32 v0, 0
	buffer_store_dword v0, off, s[0:3], s32 offset:296 ; 4-byte Folded Spill
	s_and_saveexec_b32 s20, s5
	s_cbranch_execz .LBB357_250
; %bb.243:                              ;   in Loop: Header=BB357_15 Depth=1
	v_cmp_ne_u16_sdwa s5, v28, v43 src0_sel:BYTE_0 src1_sel:DWORD
	v_bfrev_b32_e32 v0, 1
	buffer_store_dword v0, off, s[0:3], s32 offset:296 ; 4-byte Folded Spill
	s_and_saveexec_b32 s21, s5
	s_cbranch_execz .LBB357_249
; %bb.244:                              ;   in Loop: Header=BB357_15 Depth=1
	v_and_b32_e32 v1, 0x7f, v28
	v_mov_b32_e32 v0, 0x7f800001
	s_mov_b32 s22, exec_lo
	buffer_store_dword v0, off, s[0:3], s32 offset:296 ; 4-byte Folded Spill
	v_cmpx_ne_u32_e32 0x7f, v1
	s_cbranch_execz .LBB357_248
; %bb.245:                              ;   in Loop: Header=BB357_15 Depth=1
	v_mov_b32_e32 v30, v14
	v_lshrrev_b32_e32 v0, 3, v1
	v_mov_b32_e32 v29, v13
	s_mov_b32 s23, exec_lo
	v_cmpx_gt_u32_e32 8, v1
; %bb.246:                              ;   in Loop: Header=BB357_15 Depth=1
	v_and_b32_e32 v0, 7, v28
	v_ffbh_u32_e32 v0, v0
	v_min_u32_e32 v0, 32, v0
	v_subrev_nc_u32_e32 v1, 28, v0
	v_sub_nc_u32_e32 v0, 29, v0
	v_lshlrev_b64 v[29:30], v1, v[13:14]
; %bb.247:                              ;   in Loop: Header=BB357_15 Depth=1
	s_or_b32 exec_lo, exec_lo, s23
	v_lshlrev_b32_e32 v1, 20, v29
	v_lshlrev_b32_e32 v2, 24, v13
	v_lshl_add_u32 v0, v0, 23, 0x3c000000
	v_and_b32_e32 v1, 0x700000, v1
	v_and_b32_e32 v2, 0x80000000, v2
	v_or3_b32 v0, v1, v2, v0
	buffer_store_dword v0, off, s[0:3], s32 offset:296 ; 4-byte Folded Spill
.LBB357_248:                            ;   in Loop: Header=BB357_15 Depth=1
	s_or_b32 exec_lo, exec_lo, s22
.LBB357_249:                            ;   in Loop: Header=BB357_15 Depth=1
	s_or_b32 exec_lo, exec_lo, s21
.LBB357_250:                            ;   in Loop: Header=BB357_15 Depth=1
	s_or_b32 exec_lo, exec_lo, s20
	v_cmp_ne_u16_sdwa s5, v13, v14 src0_sel:BYTE_1 src1_sel:DWORD
	s_and_saveexec_b32 s20, s5
	s_cbranch_execz .LBB357_258
; %bb.251:                              ;   in Loop: Header=BB357_15 Depth=1
	v_cmp_ne_u16_sdwa s5, v13, v43 src0_sel:BYTE_1 src1_sel:DWORD
	v_bfrev_b32_e32 v0, 1
	buffer_store_dword v0, off, s[0:3], s32 offset:300 ; 4-byte Folded Spill
	s_and_saveexec_b32 s21, s5
	s_cbranch_execz .LBB357_257
; %bb.252:                              ;   in Loop: Header=BB357_15 Depth=1
	v_mov_b32_e32 v0, 0xffff
	v_mov_b32_e32 v2, 0x7f800001
	s_mov_b32 s22, exec_lo
	v_and_b32_sdwa v0, v0, v13 dst_sel:DWORD dst_unused:UNUSED_PAD src0_sel:DWORD src1_sel:BYTE_1
	buffer_store_dword v2, off, s[0:3], s32 offset:300 ; 4-byte Folded Spill
	v_and_b32_e32 v1, 0x7f, v0
	v_cmpx_ne_u32_e32 0x7f, v1
	s_cbranch_execz .LBB357_256
; %bb.253:                              ;   in Loop: Header=BB357_15 Depth=1
	v_and_b32_e32 v29, 7, v0
	v_mov_b32_e32 v30, v14
	v_lshrrev_b32_e32 v0, 3, v1
	s_mov_b32 s23, exec_lo
	v_cmpx_gt_u32_e32 8, v1
; %bb.254:                              ;   in Loop: Header=BB357_15 Depth=1
	v_ffbh_u32_e32 v0, v29
	v_min_u32_e32 v0, 32, v0
	v_subrev_nc_u32_e32 v1, 28, v0
	v_sub_nc_u32_e32 v0, 29, v0
	v_lshlrev_b64 v[1:2], v1, v[29:30]
	v_and_b32_e32 v29, 7, v1
; %bb.255:                              ;   in Loop: Header=BB357_15 Depth=1
	s_or_b32 exec_lo, exec_lo, s23
	v_lshlrev_b32_e32 v1, 16, v13
	v_lshlrev_b32_e32 v2, 20, v29
	v_lshl_add_u32 v0, v0, 23, 0x3c000000
	v_and_b32_e32 v1, 0x80000000, v1
	v_or3_b32 v0, v2, v1, v0
	buffer_store_dword v0, off, s[0:3], s32 offset:300 ; 4-byte Folded Spill
.LBB357_256:                            ;   in Loop: Header=BB357_15 Depth=1
	s_or_b32 exec_lo, exec_lo, s22
.LBB357_257:                            ;   in Loop: Header=BB357_15 Depth=1
	s_or_b32 exec_lo, exec_lo, s21
.LBB357_258:                            ;   in Loop: Header=BB357_15 Depth=1
	s_or_b32 exec_lo, exec_lo, s20
	v_mov_b32_e32 v1, 0
	v_and_b32_sdwa v0, v28, v3 dst_sel:DWORD dst_unused:UNUSED_PAD src0_sel:WORD_1 src1_sel:DWORD
	s_mov_b32 s20, exec_lo
	buffer_store_dword v1, off, s[0:3], s32 offset:304 ; 4-byte Folded Spill
	v_mov_b32_e32 v1, 0
	buffer_store_dword v1, off, s[0:3], s32 offset:676 ; 4-byte Folded Spill
	v_cmpx_ne_u16_e32 0, v0
	s_cbranch_execz .LBB357_266
; %bb.259:                              ;   in Loop: Header=BB357_15 Depth=1
	v_cmp_ne_u16_e64 s5, 0x80, v0
	v_bfrev_b32_e32 v0, 1
	s_and_saveexec_b32 s21, s5
	s_cbranch_execz .LBB357_265
; %bb.260:                              ;   in Loop: Header=BB357_15 Depth=1
	v_bfe_u32 v1, v28, 16, 7
	v_mov_b32_e32 v0, 0x7f800001
	s_mov_b32 s22, exec_lo
	v_cmpx_ne_u32_e32 0x7f, v1
	s_cbranch_execz .LBB357_264
; %bb.261:                              ;   in Loop: Header=BB357_15 Depth=1
	v_mov_b32_e32 v0, 7
	s_mov_b32 s23, exec_lo
	v_and_b32_sdwa v13, v28, v0 dst_sel:DWORD dst_unused:UNUSED_PAD src0_sel:WORD_1 src1_sel:DWORD
	v_mov_b32_e32 v30, v14
	v_lshrrev_b32_e32 v0, 3, v1
	v_mov_b32_e32 v29, v13
	v_cmpx_gt_u32_e32 8, v1
; %bb.262:                              ;   in Loop: Header=BB357_15 Depth=1
	v_ffbh_u32_e32 v0, v13
	v_min_u32_e32 v0, 32, v0
	v_subrev_nc_u32_e32 v1, 28, v0
	v_sub_nc_u32_e32 v0, 29, v0
	v_lshlrev_b64 v[1:2], v1, v[13:14]
	v_and_b32_e32 v29, 7, v1
; %bb.263:                              ;   in Loop: Header=BB357_15 Depth=1
	s_or_b32 exec_lo, exec_lo, s23
	v_mov_b32_e32 v1, 24
	v_lshlrev_b32_e32 v2, 20, v29
	v_lshl_add_u32 v0, v0, 23, 0x3c000000
	v_lshlrev_b32_sdwa v1, v1, v28 dst_sel:DWORD dst_unused:UNUSED_PAD src0_sel:DWORD src1_sel:WORD_1
	v_and_b32_e32 v1, 0x80000000, v1
	v_or3_b32 v0, v2, v1, v0
.LBB357_264:                            ;   in Loop: Header=BB357_15 Depth=1
	s_or_b32 exec_lo, exec_lo, s22
.LBB357_265:                            ;   in Loop: Header=BB357_15 Depth=1
	s_or_b32 exec_lo, exec_lo, s21
	buffer_store_dword v0, off, s[0:3], s32 offset:676 ; 4-byte Folded Spill
.LBB357_266:                            ;   in Loop: Header=BB357_15 Depth=1
	s_or_b32 exec_lo, exec_lo, s20
	s_mov_b32 s20, exec_lo
	v_cmpx_lt_u64_e64 s[12:13], v[27:28]
	s_cbranch_execz .LBB357_274
; %bb.267:                              ;   in Loop: Header=BB357_15 Depth=1
	v_cmp_ne_u32_sdwa s5, v28, v43 src0_sel:BYTE_3 src1_sel:DWORD
	v_bfrev_b32_e32 v0, 1
	buffer_store_dword v0, off, s[0:3], s32 offset:304 ; 4-byte Folded Spill
	s_and_saveexec_b32 s21, s5
	s_cbranch_execz .LBB357_273
; %bb.268:                              ;   in Loop: Header=BB357_15 Depth=1
	v_bfe_u32 v1, v28, 24, 7
	v_mov_b32_e32 v0, 0x7f800001
	s_mov_b32 s22, exec_lo
	buffer_store_dword v0, off, s[0:3], s32 offset:304 ; 4-byte Folded Spill
	v_cmpx_ne_u32_e32 0x7f, v1
	s_cbranch_execz .LBB357_272
; %bb.269:                              ;   in Loop: Header=BB357_15 Depth=1
	v_mov_b32_e32 v0, 7
	s_mov_b32 s23, exec_lo
	v_and_b32_sdwa v13, v28, v0 dst_sel:DWORD dst_unused:UNUSED_PAD src0_sel:BYTE_3 src1_sel:DWORD
	v_mov_b32_e32 v30, v14
	v_lshrrev_b32_e32 v0, 3, v1
	v_mov_b32_e32 v29, v13
	v_cmpx_gt_u32_e32 8, v1
; %bb.270:                              ;   in Loop: Header=BB357_15 Depth=1
	v_ffbh_u32_e32 v0, v13
	v_min_u32_e32 v0, 32, v0
	v_subrev_nc_u32_e32 v1, 28, v0
	v_sub_nc_u32_e32 v0, 29, v0
	v_lshlrev_b64 v[1:2], v1, v[13:14]
	v_and_b32_e32 v29, 7, v1
; %bb.271:                              ;   in Loop: Header=BB357_15 Depth=1
	s_or_b32 exec_lo, exec_lo, s23
	v_mov_b32_e32 v1, 24
	v_lshlrev_b32_e32 v2, 20, v29
	v_lshl_add_u32 v0, v0, 23, 0x3c000000
	v_lshlrev_b32_sdwa v1, v1, v28 dst_sel:DWORD dst_unused:UNUSED_PAD src0_sel:DWORD src1_sel:BYTE_3
	v_and_b32_e32 v1, 0x80000000, v1
	v_or3_b32 v0, v2, v1, v0
	buffer_store_dword v0, off, s[0:3], s32 offset:304 ; 4-byte Folded Spill
.LBB357_272:                            ;   in Loop: Header=BB357_15 Depth=1
	s_or_b32 exec_lo, exec_lo, s22
.LBB357_273:                            ;   in Loop: Header=BB357_15 Depth=1
	s_or_b32 exec_lo, exec_lo, s21
.LBB357_274:                            ;   in Loop: Header=BB357_15 Depth=1
	s_or_b32 exec_lo, exec_lo, s20
	flat_load_dwordx2 v[27:28], v[24:25] offset:1024
	v_mov_b32_e32 v0, 0
	buffer_store_dword v0, off, s[0:3], s32 offset:312 ; 4-byte Folded Spill
	v_mov_b32_e32 v0, 0
	buffer_store_dword v0, off, s[0:3], s32 offset:308 ; 4-byte Folded Spill
	s_waitcnt vmcnt(0) lgkmcnt(0)
	v_cmp_ne_u16_sdwa s5, v27, v14 src0_sel:BYTE_0 src1_sel:DWORD
	s_and_saveexec_b32 s20, s5
	s_cbranch_execz .LBB357_282
; %bb.275:                              ;   in Loop: Header=BB357_15 Depth=1
	v_cmp_ne_u16_sdwa s5, v27, v43 src0_sel:BYTE_0 src1_sel:DWORD
	v_bfrev_b32_e32 v0, 1
	buffer_store_dword v0, off, s[0:3], s32 offset:308 ; 4-byte Folded Spill
	s_and_saveexec_b32 s21, s5
	s_cbranch_execz .LBB357_281
; %bb.276:                              ;   in Loop: Header=BB357_15 Depth=1
	v_and_b32_e32 v1, 0x7f, v27
	v_mov_b32_e32 v0, 0x7f800001
	s_mov_b32 s22, exec_lo
	buffer_store_dword v0, off, s[0:3], s32 offset:308 ; 4-byte Folded Spill
	v_cmpx_ne_u32_e32 0x7f, v1
	s_cbranch_execz .LBB357_280
; %bb.277:                              ;   in Loop: Header=BB357_15 Depth=1
	v_mov_b32_e32 v30, v28
	v_lshrrev_b32_e32 v0, 3, v1
	v_mov_b32_e32 v29, v27
	s_mov_b32 s23, exec_lo
	v_cmpx_gt_u32_e32 8, v1
; %bb.278:                              ;   in Loop: Header=BB357_15 Depth=1
	v_and_b32_e32 v0, 7, v27
	v_ffbh_u32_e32 v0, v0
	v_min_u32_e32 v0, 32, v0
	v_subrev_nc_u32_e32 v1, 28, v0
	v_sub_nc_u32_e32 v0, 29, v0
	v_lshlrev_b64 v[29:30], v1, v[27:28]
; %bb.279:                              ;   in Loop: Header=BB357_15 Depth=1
	s_or_b32 exec_lo, exec_lo, s23
	v_lshlrev_b32_e32 v1, 20, v29
	v_lshlrev_b32_e32 v2, 24, v27
	v_lshl_add_u32 v0, v0, 23, 0x3c000000
	v_and_b32_e32 v1, 0x700000, v1
	v_and_b32_e32 v2, 0x80000000, v2
	v_or3_b32 v0, v1, v2, v0
	buffer_store_dword v0, off, s[0:3], s32 offset:308 ; 4-byte Folded Spill
.LBB357_280:                            ;   in Loop: Header=BB357_15 Depth=1
	s_or_b32 exec_lo, exec_lo, s22
.LBB357_281:                            ;   in Loop: Header=BB357_15 Depth=1
	s_or_b32 exec_lo, exec_lo, s21
.LBB357_282:                            ;   in Loop: Header=BB357_15 Depth=1
	s_or_b32 exec_lo, exec_lo, s20
	v_cmp_ne_u16_sdwa s5, v27, v14 src0_sel:BYTE_1 src1_sel:DWORD
	s_and_saveexec_b32 s20, s5
	s_cbranch_execz .LBB357_290
; %bb.283:                              ;   in Loop: Header=BB357_15 Depth=1
	v_cmp_ne_u16_sdwa s5, v27, v43 src0_sel:BYTE_1 src1_sel:DWORD
	v_bfrev_b32_e32 v0, 1
	buffer_store_dword v0, off, s[0:3], s32 offset:312 ; 4-byte Folded Spill
	s_and_saveexec_b32 s21, s5
	s_cbranch_execz .LBB357_289
; %bb.284:                              ;   in Loop: Header=BB357_15 Depth=1
	v_mov_b32_e32 v0, 0xffff
	v_mov_b32_e32 v2, 0x7f800001
	s_mov_b32 s22, exec_lo
	v_and_b32_sdwa v0, v0, v27 dst_sel:DWORD dst_unused:UNUSED_PAD src0_sel:DWORD src1_sel:BYTE_1
	buffer_store_dword v2, off, s[0:3], s32 offset:312 ; 4-byte Folded Spill
	v_and_b32_e32 v1, 0x7f, v0
	v_cmpx_ne_u32_e32 0x7f, v1
	s_cbranch_execz .LBB357_288
; %bb.285:                              ;   in Loop: Header=BB357_15 Depth=1
	v_and_b32_e32 v13, 7, v0
	v_mov_b32_e32 v30, v14
	v_lshrrev_b32_e32 v0, 3, v1
	s_mov_b32 s23, exec_lo
	v_mov_b32_e32 v29, v13
	v_cmpx_gt_u32_e32 8, v1
; %bb.286:                              ;   in Loop: Header=BB357_15 Depth=1
	v_ffbh_u32_e32 v0, v13
	v_min_u32_e32 v0, 32, v0
	v_subrev_nc_u32_e32 v1, 28, v0
	v_sub_nc_u32_e32 v0, 29, v0
	v_lshlrev_b64 v[1:2], v1, v[13:14]
	v_and_b32_e32 v29, 7, v1
; %bb.287:                              ;   in Loop: Header=BB357_15 Depth=1
	s_or_b32 exec_lo, exec_lo, s23
	v_lshlrev_b32_e32 v1, 16, v27
	v_lshlrev_b32_e32 v2, 20, v29
	v_lshl_add_u32 v0, v0, 23, 0x3c000000
	v_and_b32_e32 v1, 0x80000000, v1
	v_or3_b32 v0, v2, v1, v0
	buffer_store_dword v0, off, s[0:3], s32 offset:312 ; 4-byte Folded Spill
.LBB357_288:                            ;   in Loop: Header=BB357_15 Depth=1
	s_or_b32 exec_lo, exec_lo, s22
.LBB357_289:                            ;   in Loop: Header=BB357_15 Depth=1
	s_or_b32 exec_lo, exec_lo, s21
.LBB357_290:                            ;   in Loop: Header=BB357_15 Depth=1
	s_or_b32 exec_lo, exec_lo, s20
	v_mov_b32_e32 v1, 0
	v_and_b32_sdwa v0, v27, v3 dst_sel:DWORD dst_unused:UNUSED_PAD src0_sel:WORD_1 src1_sel:DWORD
	s_mov_b32 s20, exec_lo
	buffer_store_dword v1, off, s[0:3], s32 offset:316 ; 4-byte Folded Spill
	v_mov_b32_e32 v1, 0
	buffer_store_dword v1, off, s[0:3], s32 offset:680 ; 4-byte Folded Spill
	v_cmpx_ne_u16_e32 0, v0
	s_cbranch_execz .LBB357_298
; %bb.291:                              ;   in Loop: Header=BB357_15 Depth=1
	v_cmp_ne_u16_e64 s5, 0x80, v0
	v_bfrev_b32_e32 v0, 1
	s_and_saveexec_b32 s21, s5
	s_cbranch_execz .LBB357_297
; %bb.292:                              ;   in Loop: Header=BB357_15 Depth=1
	v_bfe_u32 v1, v27, 16, 7
	v_mov_b32_e32 v0, 0x7f800001
	s_mov_b32 s22, exec_lo
	v_cmpx_ne_u32_e32 0x7f, v1
	s_cbranch_execz .LBB357_296
; %bb.293:                              ;   in Loop: Header=BB357_15 Depth=1
	v_mov_b32_e32 v0, 7
	s_mov_b32 s23, exec_lo
	v_and_b32_sdwa v13, v27, v0 dst_sel:DWORD dst_unused:UNUSED_PAD src0_sel:WORD_1 src1_sel:DWORD
	v_mov_b32_e32 v30, v14
	v_lshrrev_b32_e32 v0, 3, v1
	v_mov_b32_e32 v29, v13
	v_cmpx_gt_u32_e32 8, v1
; %bb.294:                              ;   in Loop: Header=BB357_15 Depth=1
	v_ffbh_u32_e32 v0, v13
	v_min_u32_e32 v0, 32, v0
	v_subrev_nc_u32_e32 v1, 28, v0
	v_sub_nc_u32_e32 v0, 29, v0
	v_lshlrev_b64 v[1:2], v1, v[13:14]
	v_and_b32_e32 v29, 7, v1
; %bb.295:                              ;   in Loop: Header=BB357_15 Depth=1
	s_or_b32 exec_lo, exec_lo, s23
	v_mov_b32_e32 v1, 24
	v_lshlrev_b32_e32 v2, 20, v29
	v_lshl_add_u32 v0, v0, 23, 0x3c000000
	v_lshlrev_b32_sdwa v1, v1, v27 dst_sel:DWORD dst_unused:UNUSED_PAD src0_sel:DWORD src1_sel:WORD_1
	v_and_b32_e32 v1, 0x80000000, v1
	v_or3_b32 v0, v2, v1, v0
.LBB357_296:                            ;   in Loop: Header=BB357_15 Depth=1
	s_or_b32 exec_lo, exec_lo, s22
.LBB357_297:                            ;   in Loop: Header=BB357_15 Depth=1
	s_or_b32 exec_lo, exec_lo, s21
	buffer_store_dword v0, off, s[0:3], s32 offset:680 ; 4-byte Folded Spill
.LBB357_298:                            ;   in Loop: Header=BB357_15 Depth=1
	s_or_b32 exec_lo, exec_lo, s20
	s_mov_b32 s20, exec_lo
	v_cmpx_lt_u32_e32 0xffffff, v27
	s_cbranch_execz .LBB357_306
; %bb.299:                              ;   in Loop: Header=BB357_15 Depth=1
	v_cmp_ne_u32_sdwa s5, v27, v43 src0_sel:BYTE_3 src1_sel:DWORD
	v_bfrev_b32_e32 v0, 1
	buffer_store_dword v0, off, s[0:3], s32 offset:316 ; 4-byte Folded Spill
	s_and_saveexec_b32 s21, s5
	s_cbranch_execz .LBB357_305
; %bb.300:                              ;   in Loop: Header=BB357_15 Depth=1
	v_bfe_u32 v1, v27, 24, 7
	v_mov_b32_e32 v0, 0x7f800001
	s_mov_b32 s22, exec_lo
	buffer_store_dword v0, off, s[0:3], s32 offset:316 ; 4-byte Folded Spill
	v_cmpx_ne_u32_e32 0x7f, v1
	s_cbranch_execz .LBB357_304
; %bb.301:                              ;   in Loop: Header=BB357_15 Depth=1
	v_mov_b32_e32 v0, 7
	s_mov_b32 s23, exec_lo
	v_and_b32_sdwa v13, v27, v0 dst_sel:DWORD dst_unused:UNUSED_PAD src0_sel:BYTE_3 src1_sel:DWORD
	v_mov_b32_e32 v30, v14
	v_lshrrev_b32_e32 v0, 3, v1
	v_mov_b32_e32 v29, v13
	v_cmpx_gt_u32_e32 8, v1
; %bb.302:                              ;   in Loop: Header=BB357_15 Depth=1
	v_ffbh_u32_e32 v0, v13
	v_min_u32_e32 v0, 32, v0
	v_subrev_nc_u32_e32 v1, 28, v0
	v_sub_nc_u32_e32 v0, 29, v0
	v_lshlrev_b64 v[1:2], v1, v[13:14]
	v_and_b32_e32 v29, 7, v1
; %bb.303:                              ;   in Loop: Header=BB357_15 Depth=1
	s_or_b32 exec_lo, exec_lo, s23
	v_mov_b32_e32 v1, 24
	v_lshlrev_b32_e32 v2, 20, v29
	v_lshl_add_u32 v0, v0, 23, 0x3c000000
	v_lshlrev_b32_sdwa v1, v1, v27 dst_sel:DWORD dst_unused:UNUSED_PAD src0_sel:DWORD src1_sel:BYTE_3
	v_and_b32_e32 v1, 0x80000000, v1
	v_or3_b32 v0, v2, v1, v0
	buffer_store_dword v0, off, s[0:3], s32 offset:316 ; 4-byte Folded Spill
.LBB357_304:                            ;   in Loop: Header=BB357_15 Depth=1
	s_or_b32 exec_lo, exec_lo, s22
.LBB357_305:                            ;   in Loop: Header=BB357_15 Depth=1
	s_or_b32 exec_lo, exec_lo, s21
.LBB357_306:                            ;   in Loop: Header=BB357_15 Depth=1
	s_or_b32 exec_lo, exec_lo, s20
	v_mov_b32_e32 v0, 0
	v_mov_b32_e32 v13, v28
	v_cmp_ne_u16_sdwa s5, v28, v14 src0_sel:BYTE_0 src1_sel:DWORD
	buffer_store_dword v0, off, s[0:3], s32 offset:324 ; 4-byte Folded Spill
	v_mov_b32_e32 v0, 0
	buffer_store_dword v0, off, s[0:3], s32 offset:320 ; 4-byte Folded Spill
	s_and_saveexec_b32 s20, s5
	s_cbranch_execz .LBB357_314
; %bb.307:                              ;   in Loop: Header=BB357_15 Depth=1
	v_cmp_ne_u16_sdwa s5, v28, v43 src0_sel:BYTE_0 src1_sel:DWORD
	v_bfrev_b32_e32 v0, 1
	buffer_store_dword v0, off, s[0:3], s32 offset:320 ; 4-byte Folded Spill
	s_and_saveexec_b32 s21, s5
	s_cbranch_execz .LBB357_313
; %bb.308:                              ;   in Loop: Header=BB357_15 Depth=1
	v_and_b32_e32 v1, 0x7f, v28
	v_mov_b32_e32 v0, 0x7f800001
	s_mov_b32 s22, exec_lo
	buffer_store_dword v0, off, s[0:3], s32 offset:320 ; 4-byte Folded Spill
	v_cmpx_ne_u32_e32 0x7f, v1
	s_cbranch_execz .LBB357_312
; %bb.309:                              ;   in Loop: Header=BB357_15 Depth=1
	v_mov_b32_e32 v30, v14
	v_lshrrev_b32_e32 v0, 3, v1
	v_mov_b32_e32 v29, v13
	s_mov_b32 s23, exec_lo
	v_cmpx_gt_u32_e32 8, v1
; %bb.310:                              ;   in Loop: Header=BB357_15 Depth=1
	v_and_b32_e32 v0, 7, v28
	v_ffbh_u32_e32 v0, v0
	v_min_u32_e32 v0, 32, v0
	v_subrev_nc_u32_e32 v1, 28, v0
	v_sub_nc_u32_e32 v0, 29, v0
	v_lshlrev_b64 v[29:30], v1, v[13:14]
; %bb.311:                              ;   in Loop: Header=BB357_15 Depth=1
	s_or_b32 exec_lo, exec_lo, s23
	v_lshlrev_b32_e32 v1, 20, v29
	v_lshlrev_b32_e32 v2, 24, v13
	v_lshl_add_u32 v0, v0, 23, 0x3c000000
	v_and_b32_e32 v1, 0x700000, v1
	v_and_b32_e32 v2, 0x80000000, v2
	v_or3_b32 v0, v1, v2, v0
	buffer_store_dword v0, off, s[0:3], s32 offset:320 ; 4-byte Folded Spill
.LBB357_312:                            ;   in Loop: Header=BB357_15 Depth=1
	s_or_b32 exec_lo, exec_lo, s22
.LBB357_313:                            ;   in Loop: Header=BB357_15 Depth=1
	s_or_b32 exec_lo, exec_lo, s21
.LBB357_314:                            ;   in Loop: Header=BB357_15 Depth=1
	s_or_b32 exec_lo, exec_lo, s20
	v_cmp_ne_u16_sdwa s5, v13, v14 src0_sel:BYTE_1 src1_sel:DWORD
	s_and_saveexec_b32 s20, s5
	s_cbranch_execz .LBB357_322
; %bb.315:                              ;   in Loop: Header=BB357_15 Depth=1
	v_cmp_ne_u16_sdwa s5, v13, v43 src0_sel:BYTE_1 src1_sel:DWORD
	v_bfrev_b32_e32 v0, 1
	buffer_store_dword v0, off, s[0:3], s32 offset:324 ; 4-byte Folded Spill
	s_and_saveexec_b32 s21, s5
	s_cbranch_execz .LBB357_321
; %bb.316:                              ;   in Loop: Header=BB357_15 Depth=1
	v_mov_b32_e32 v0, 0xffff
	v_mov_b32_e32 v2, 0x7f800001
	s_mov_b32 s22, exec_lo
	v_and_b32_sdwa v0, v0, v13 dst_sel:DWORD dst_unused:UNUSED_PAD src0_sel:DWORD src1_sel:BYTE_1
	buffer_store_dword v2, off, s[0:3], s32 offset:324 ; 4-byte Folded Spill
	v_and_b32_e32 v1, 0x7f, v0
	v_cmpx_ne_u32_e32 0x7f, v1
	s_cbranch_execz .LBB357_320
; %bb.317:                              ;   in Loop: Header=BB357_15 Depth=1
	v_and_b32_e32 v29, 7, v0
	v_mov_b32_e32 v30, v14
	v_lshrrev_b32_e32 v0, 3, v1
	s_mov_b32 s23, exec_lo
	v_cmpx_gt_u32_e32 8, v1
; %bb.318:                              ;   in Loop: Header=BB357_15 Depth=1
	v_ffbh_u32_e32 v0, v29
	v_min_u32_e32 v0, 32, v0
	v_subrev_nc_u32_e32 v1, 28, v0
	v_sub_nc_u32_e32 v0, 29, v0
	v_lshlrev_b64 v[1:2], v1, v[29:30]
	v_and_b32_e32 v29, 7, v1
; %bb.319:                              ;   in Loop: Header=BB357_15 Depth=1
	s_or_b32 exec_lo, exec_lo, s23
	v_lshlrev_b32_e32 v1, 16, v13
	v_lshlrev_b32_e32 v2, 20, v29
	v_lshl_add_u32 v0, v0, 23, 0x3c000000
	v_and_b32_e32 v1, 0x80000000, v1
	v_or3_b32 v0, v2, v1, v0
	buffer_store_dword v0, off, s[0:3], s32 offset:324 ; 4-byte Folded Spill
.LBB357_320:                            ;   in Loop: Header=BB357_15 Depth=1
	s_or_b32 exec_lo, exec_lo, s22
.LBB357_321:                            ;   in Loop: Header=BB357_15 Depth=1
	s_or_b32 exec_lo, exec_lo, s21
.LBB357_322:                            ;   in Loop: Header=BB357_15 Depth=1
	s_or_b32 exec_lo, exec_lo, s20
	v_mov_b32_e32 v1, 0
	v_and_b32_sdwa v0, v28, v3 dst_sel:DWORD dst_unused:UNUSED_PAD src0_sel:WORD_1 src1_sel:DWORD
	s_mov_b32 s20, exec_lo
	buffer_store_dword v1, off, s[0:3], s32 offset:328 ; 4-byte Folded Spill
	v_mov_b32_e32 v1, 0
	buffer_store_dword v1, off, s[0:3], s32 offset:684 ; 4-byte Folded Spill
	v_cmpx_ne_u16_e32 0, v0
	s_cbranch_execz .LBB357_330
; %bb.323:                              ;   in Loop: Header=BB357_15 Depth=1
	v_cmp_ne_u16_e64 s5, 0x80, v0
	v_bfrev_b32_e32 v0, 1
	s_and_saveexec_b32 s21, s5
	s_cbranch_execz .LBB357_329
; %bb.324:                              ;   in Loop: Header=BB357_15 Depth=1
	v_bfe_u32 v1, v28, 16, 7
	v_mov_b32_e32 v0, 0x7f800001
	s_mov_b32 s22, exec_lo
	v_cmpx_ne_u32_e32 0x7f, v1
	s_cbranch_execz .LBB357_328
; %bb.325:                              ;   in Loop: Header=BB357_15 Depth=1
	v_mov_b32_e32 v0, 7
	s_mov_b32 s23, exec_lo
	v_and_b32_sdwa v13, v28, v0 dst_sel:DWORD dst_unused:UNUSED_PAD src0_sel:WORD_1 src1_sel:DWORD
	v_mov_b32_e32 v30, v14
	v_lshrrev_b32_e32 v0, 3, v1
	v_mov_b32_e32 v29, v13
	v_cmpx_gt_u32_e32 8, v1
; %bb.326:                              ;   in Loop: Header=BB357_15 Depth=1
	v_ffbh_u32_e32 v0, v13
	v_min_u32_e32 v0, 32, v0
	v_subrev_nc_u32_e32 v1, 28, v0
	v_sub_nc_u32_e32 v0, 29, v0
	v_lshlrev_b64 v[1:2], v1, v[13:14]
	v_and_b32_e32 v29, 7, v1
; %bb.327:                              ;   in Loop: Header=BB357_15 Depth=1
	s_or_b32 exec_lo, exec_lo, s23
	v_mov_b32_e32 v1, 24
	v_lshlrev_b32_e32 v2, 20, v29
	v_lshl_add_u32 v0, v0, 23, 0x3c000000
	v_lshlrev_b32_sdwa v1, v1, v28 dst_sel:DWORD dst_unused:UNUSED_PAD src0_sel:DWORD src1_sel:WORD_1
	v_and_b32_e32 v1, 0x80000000, v1
	v_or3_b32 v0, v2, v1, v0
.LBB357_328:                            ;   in Loop: Header=BB357_15 Depth=1
	s_or_b32 exec_lo, exec_lo, s22
.LBB357_329:                            ;   in Loop: Header=BB357_15 Depth=1
	s_or_b32 exec_lo, exec_lo, s21
	buffer_store_dword v0, off, s[0:3], s32 offset:684 ; 4-byte Folded Spill
.LBB357_330:                            ;   in Loop: Header=BB357_15 Depth=1
	s_or_b32 exec_lo, exec_lo, s20
	s_mov_b32 s20, exec_lo
	v_cmpx_lt_u64_e64 s[12:13], v[27:28]
	s_cbranch_execz .LBB357_338
; %bb.331:                              ;   in Loop: Header=BB357_15 Depth=1
	v_cmp_ne_u32_sdwa s5, v28, v43 src0_sel:BYTE_3 src1_sel:DWORD
	v_bfrev_b32_e32 v0, 1
	buffer_store_dword v0, off, s[0:3], s32 offset:328 ; 4-byte Folded Spill
	s_and_saveexec_b32 s21, s5
	s_cbranch_execz .LBB357_337
; %bb.332:                              ;   in Loop: Header=BB357_15 Depth=1
	v_bfe_u32 v1, v28, 24, 7
	v_mov_b32_e32 v0, 0x7f800001
	s_mov_b32 s22, exec_lo
	buffer_store_dword v0, off, s[0:3], s32 offset:328 ; 4-byte Folded Spill
	v_cmpx_ne_u32_e32 0x7f, v1
	s_cbranch_execz .LBB357_336
; %bb.333:                              ;   in Loop: Header=BB357_15 Depth=1
	v_mov_b32_e32 v0, 7
	s_mov_b32 s23, exec_lo
	v_and_b32_sdwa v13, v28, v0 dst_sel:DWORD dst_unused:UNUSED_PAD src0_sel:BYTE_3 src1_sel:DWORD
	v_mov_b32_e32 v30, v14
	v_lshrrev_b32_e32 v0, 3, v1
	v_mov_b32_e32 v29, v13
	v_cmpx_gt_u32_e32 8, v1
; %bb.334:                              ;   in Loop: Header=BB357_15 Depth=1
	v_ffbh_u32_e32 v0, v13
	v_min_u32_e32 v0, 32, v0
	v_subrev_nc_u32_e32 v1, 28, v0
	v_sub_nc_u32_e32 v0, 29, v0
	v_lshlrev_b64 v[1:2], v1, v[13:14]
	v_and_b32_e32 v29, 7, v1
; %bb.335:                              ;   in Loop: Header=BB357_15 Depth=1
	s_or_b32 exec_lo, exec_lo, s23
	v_mov_b32_e32 v1, 24
	v_lshlrev_b32_e32 v2, 20, v29
	v_lshl_add_u32 v0, v0, 23, 0x3c000000
	v_lshlrev_b32_sdwa v1, v1, v28 dst_sel:DWORD dst_unused:UNUSED_PAD src0_sel:DWORD src1_sel:BYTE_3
	v_and_b32_e32 v1, 0x80000000, v1
	v_or3_b32 v0, v2, v1, v0
	buffer_store_dword v0, off, s[0:3], s32 offset:328 ; 4-byte Folded Spill
.LBB357_336:                            ;   in Loop: Header=BB357_15 Depth=1
	s_or_b32 exec_lo, exec_lo, s22
.LBB357_337:                            ;   in Loop: Header=BB357_15 Depth=1
	s_or_b32 exec_lo, exec_lo, s21
.LBB357_338:                            ;   in Loop: Header=BB357_15 Depth=1
	s_or_b32 exec_lo, exec_lo, s20
	flat_load_dwordx2 v[27:28], v[24:25] offset:1032
	v_mov_b32_e32 v0, 0
	buffer_store_dword v0, off, s[0:3], s32 offset:336 ; 4-byte Folded Spill
	v_mov_b32_e32 v0, 0
	buffer_store_dword v0, off, s[0:3], s32 offset:332 ; 4-byte Folded Spill
	s_waitcnt vmcnt(0) lgkmcnt(0)
	v_cmp_ne_u16_sdwa s5, v27, v14 src0_sel:BYTE_0 src1_sel:DWORD
	s_and_saveexec_b32 s20, s5
	s_cbranch_execz .LBB357_346
; %bb.339:                              ;   in Loop: Header=BB357_15 Depth=1
	v_cmp_ne_u16_sdwa s5, v27, v43 src0_sel:BYTE_0 src1_sel:DWORD
	v_bfrev_b32_e32 v0, 1
	buffer_store_dword v0, off, s[0:3], s32 offset:332 ; 4-byte Folded Spill
	s_and_saveexec_b32 s21, s5
	s_cbranch_execz .LBB357_345
; %bb.340:                              ;   in Loop: Header=BB357_15 Depth=1
	v_and_b32_e32 v1, 0x7f, v27
	v_mov_b32_e32 v0, 0x7f800001
	s_mov_b32 s22, exec_lo
	buffer_store_dword v0, off, s[0:3], s32 offset:332 ; 4-byte Folded Spill
	v_cmpx_ne_u32_e32 0x7f, v1
	s_cbranch_execz .LBB357_344
; %bb.341:                              ;   in Loop: Header=BB357_15 Depth=1
	v_mov_b32_e32 v30, v28
	v_lshrrev_b32_e32 v0, 3, v1
	v_mov_b32_e32 v29, v27
	s_mov_b32 s23, exec_lo
	v_cmpx_gt_u32_e32 8, v1
; %bb.342:                              ;   in Loop: Header=BB357_15 Depth=1
	v_and_b32_e32 v0, 7, v27
	v_ffbh_u32_e32 v0, v0
	v_min_u32_e32 v0, 32, v0
	v_subrev_nc_u32_e32 v1, 28, v0
	v_sub_nc_u32_e32 v0, 29, v0
	v_lshlrev_b64 v[29:30], v1, v[27:28]
; %bb.343:                              ;   in Loop: Header=BB357_15 Depth=1
	s_or_b32 exec_lo, exec_lo, s23
	v_lshlrev_b32_e32 v1, 20, v29
	v_lshlrev_b32_e32 v2, 24, v27
	v_lshl_add_u32 v0, v0, 23, 0x3c000000
	v_and_b32_e32 v1, 0x700000, v1
	v_and_b32_e32 v2, 0x80000000, v2
	v_or3_b32 v0, v1, v2, v0
	buffer_store_dword v0, off, s[0:3], s32 offset:332 ; 4-byte Folded Spill
.LBB357_344:                            ;   in Loop: Header=BB357_15 Depth=1
	s_or_b32 exec_lo, exec_lo, s22
.LBB357_345:                            ;   in Loop: Header=BB357_15 Depth=1
	s_or_b32 exec_lo, exec_lo, s21
.LBB357_346:                            ;   in Loop: Header=BB357_15 Depth=1
	s_or_b32 exec_lo, exec_lo, s20
	v_cmp_ne_u16_sdwa s5, v27, v14 src0_sel:BYTE_1 src1_sel:DWORD
	s_and_saveexec_b32 s20, s5
	s_cbranch_execz .LBB357_354
; %bb.347:                              ;   in Loop: Header=BB357_15 Depth=1
	v_cmp_ne_u16_sdwa s5, v27, v43 src0_sel:BYTE_1 src1_sel:DWORD
	v_bfrev_b32_e32 v0, 1
	buffer_store_dword v0, off, s[0:3], s32 offset:336 ; 4-byte Folded Spill
	s_and_saveexec_b32 s21, s5
	s_cbranch_execz .LBB357_353
; %bb.348:                              ;   in Loop: Header=BB357_15 Depth=1
	v_mov_b32_e32 v0, 0xffff
	v_mov_b32_e32 v2, 0x7f800001
	s_mov_b32 s22, exec_lo
	v_and_b32_sdwa v0, v0, v27 dst_sel:DWORD dst_unused:UNUSED_PAD src0_sel:DWORD src1_sel:BYTE_1
	buffer_store_dword v2, off, s[0:3], s32 offset:336 ; 4-byte Folded Spill
	v_and_b32_e32 v1, 0x7f, v0
	v_cmpx_ne_u32_e32 0x7f, v1
	s_cbranch_execz .LBB357_352
; %bb.349:                              ;   in Loop: Header=BB357_15 Depth=1
	v_and_b32_e32 v13, 7, v0
	v_mov_b32_e32 v30, v14
	v_lshrrev_b32_e32 v0, 3, v1
	s_mov_b32 s23, exec_lo
	v_mov_b32_e32 v29, v13
	v_cmpx_gt_u32_e32 8, v1
; %bb.350:                              ;   in Loop: Header=BB357_15 Depth=1
	v_ffbh_u32_e32 v0, v13
	v_min_u32_e32 v0, 32, v0
	v_subrev_nc_u32_e32 v1, 28, v0
	v_sub_nc_u32_e32 v0, 29, v0
	v_lshlrev_b64 v[1:2], v1, v[13:14]
	v_and_b32_e32 v29, 7, v1
; %bb.351:                              ;   in Loop: Header=BB357_15 Depth=1
	s_or_b32 exec_lo, exec_lo, s23
	v_lshlrev_b32_e32 v1, 16, v27
	v_lshlrev_b32_e32 v2, 20, v29
	v_lshl_add_u32 v0, v0, 23, 0x3c000000
	v_and_b32_e32 v1, 0x80000000, v1
	v_or3_b32 v0, v2, v1, v0
	buffer_store_dword v0, off, s[0:3], s32 offset:336 ; 4-byte Folded Spill
.LBB357_352:                            ;   in Loop: Header=BB357_15 Depth=1
	s_or_b32 exec_lo, exec_lo, s22
.LBB357_353:                            ;   in Loop: Header=BB357_15 Depth=1
	s_or_b32 exec_lo, exec_lo, s21
.LBB357_354:                            ;   in Loop: Header=BB357_15 Depth=1
	s_or_b32 exec_lo, exec_lo, s20
	v_mov_b32_e32 v1, 0
	v_and_b32_sdwa v0, v27, v3 dst_sel:DWORD dst_unused:UNUSED_PAD src0_sel:WORD_1 src1_sel:DWORD
	s_mov_b32 s20, exec_lo
	buffer_store_dword v1, off, s[0:3], s32 offset:340 ; 4-byte Folded Spill
	v_mov_b32_e32 v1, 0
	buffer_store_dword v1, off, s[0:3], s32 offset:688 ; 4-byte Folded Spill
	v_cmpx_ne_u16_e32 0, v0
	s_cbranch_execz .LBB357_362
; %bb.355:                              ;   in Loop: Header=BB357_15 Depth=1
	v_cmp_ne_u16_e64 s5, 0x80, v0
	v_bfrev_b32_e32 v0, 1
	s_and_saveexec_b32 s21, s5
	s_cbranch_execz .LBB357_361
; %bb.356:                              ;   in Loop: Header=BB357_15 Depth=1
	v_bfe_u32 v1, v27, 16, 7
	v_mov_b32_e32 v0, 0x7f800001
	s_mov_b32 s22, exec_lo
	v_cmpx_ne_u32_e32 0x7f, v1
	s_cbranch_execz .LBB357_360
; %bb.357:                              ;   in Loop: Header=BB357_15 Depth=1
	v_mov_b32_e32 v0, 7
	s_mov_b32 s23, exec_lo
	v_and_b32_sdwa v13, v27, v0 dst_sel:DWORD dst_unused:UNUSED_PAD src0_sel:WORD_1 src1_sel:DWORD
	v_mov_b32_e32 v30, v14
	v_lshrrev_b32_e32 v0, 3, v1
	v_mov_b32_e32 v29, v13
	v_cmpx_gt_u32_e32 8, v1
; %bb.358:                              ;   in Loop: Header=BB357_15 Depth=1
	v_ffbh_u32_e32 v0, v13
	v_min_u32_e32 v0, 32, v0
	v_subrev_nc_u32_e32 v1, 28, v0
	v_sub_nc_u32_e32 v0, 29, v0
	v_lshlrev_b64 v[1:2], v1, v[13:14]
	v_and_b32_e32 v29, 7, v1
; %bb.359:                              ;   in Loop: Header=BB357_15 Depth=1
	s_or_b32 exec_lo, exec_lo, s23
	v_mov_b32_e32 v1, 24
	v_lshlrev_b32_e32 v2, 20, v29
	v_lshl_add_u32 v0, v0, 23, 0x3c000000
	v_lshlrev_b32_sdwa v1, v1, v27 dst_sel:DWORD dst_unused:UNUSED_PAD src0_sel:DWORD src1_sel:WORD_1
	v_and_b32_e32 v1, 0x80000000, v1
	v_or3_b32 v0, v2, v1, v0
.LBB357_360:                            ;   in Loop: Header=BB357_15 Depth=1
	s_or_b32 exec_lo, exec_lo, s22
.LBB357_361:                            ;   in Loop: Header=BB357_15 Depth=1
	s_or_b32 exec_lo, exec_lo, s21
	buffer_store_dword v0, off, s[0:3], s32 offset:688 ; 4-byte Folded Spill
.LBB357_362:                            ;   in Loop: Header=BB357_15 Depth=1
	s_or_b32 exec_lo, exec_lo, s20
	s_mov_b32 s20, exec_lo
	v_cmpx_lt_u32_e32 0xffffff, v27
	s_cbranch_execz .LBB357_370
; %bb.363:                              ;   in Loop: Header=BB357_15 Depth=1
	v_cmp_ne_u32_sdwa s5, v27, v43 src0_sel:BYTE_3 src1_sel:DWORD
	v_bfrev_b32_e32 v0, 1
	buffer_store_dword v0, off, s[0:3], s32 offset:340 ; 4-byte Folded Spill
	s_and_saveexec_b32 s21, s5
	s_cbranch_execz .LBB357_369
; %bb.364:                              ;   in Loop: Header=BB357_15 Depth=1
	v_bfe_u32 v1, v27, 24, 7
	v_mov_b32_e32 v0, 0x7f800001
	s_mov_b32 s22, exec_lo
	buffer_store_dword v0, off, s[0:3], s32 offset:340 ; 4-byte Folded Spill
	v_cmpx_ne_u32_e32 0x7f, v1
	s_cbranch_execz .LBB357_368
; %bb.365:                              ;   in Loop: Header=BB357_15 Depth=1
	v_mov_b32_e32 v0, 7
	s_mov_b32 s23, exec_lo
	v_and_b32_sdwa v13, v27, v0 dst_sel:DWORD dst_unused:UNUSED_PAD src0_sel:BYTE_3 src1_sel:DWORD
	v_mov_b32_e32 v30, v14
	v_lshrrev_b32_e32 v0, 3, v1
	v_mov_b32_e32 v29, v13
	v_cmpx_gt_u32_e32 8, v1
; %bb.366:                              ;   in Loop: Header=BB357_15 Depth=1
	v_ffbh_u32_e32 v0, v13
	v_min_u32_e32 v0, 32, v0
	v_subrev_nc_u32_e32 v1, 28, v0
	v_sub_nc_u32_e32 v0, 29, v0
	v_lshlrev_b64 v[1:2], v1, v[13:14]
	v_and_b32_e32 v29, 7, v1
; %bb.367:                              ;   in Loop: Header=BB357_15 Depth=1
	s_or_b32 exec_lo, exec_lo, s23
	v_mov_b32_e32 v1, 24
	v_lshlrev_b32_e32 v2, 20, v29
	v_lshl_add_u32 v0, v0, 23, 0x3c000000
	v_lshlrev_b32_sdwa v1, v1, v27 dst_sel:DWORD dst_unused:UNUSED_PAD src0_sel:DWORD src1_sel:BYTE_3
	v_and_b32_e32 v1, 0x80000000, v1
	v_or3_b32 v0, v2, v1, v0
	buffer_store_dword v0, off, s[0:3], s32 offset:340 ; 4-byte Folded Spill
.LBB357_368:                            ;   in Loop: Header=BB357_15 Depth=1
	s_or_b32 exec_lo, exec_lo, s22
.LBB357_369:                            ;   in Loop: Header=BB357_15 Depth=1
	s_or_b32 exec_lo, exec_lo, s21
.LBB357_370:                            ;   in Loop: Header=BB357_15 Depth=1
	s_or_b32 exec_lo, exec_lo, s20
	v_mov_b32_e32 v0, 0
	v_mov_b32_e32 v13, v28
	v_cmp_ne_u16_sdwa s5, v28, v14 src0_sel:BYTE_0 src1_sel:DWORD
	buffer_store_dword v0, off, s[0:3], s32 offset:348 ; 4-byte Folded Spill
	v_mov_b32_e32 v0, 0
	buffer_store_dword v0, off, s[0:3], s32 offset:344 ; 4-byte Folded Spill
	s_and_saveexec_b32 s20, s5
	s_cbranch_execz .LBB357_378
; %bb.371:                              ;   in Loop: Header=BB357_15 Depth=1
	v_cmp_ne_u16_sdwa s5, v28, v43 src0_sel:BYTE_0 src1_sel:DWORD
	v_bfrev_b32_e32 v0, 1
	buffer_store_dword v0, off, s[0:3], s32 offset:344 ; 4-byte Folded Spill
	s_and_saveexec_b32 s21, s5
	s_cbranch_execz .LBB357_377
; %bb.372:                              ;   in Loop: Header=BB357_15 Depth=1
	v_and_b32_e32 v1, 0x7f, v28
	v_mov_b32_e32 v0, 0x7f800001
	s_mov_b32 s22, exec_lo
	buffer_store_dword v0, off, s[0:3], s32 offset:344 ; 4-byte Folded Spill
	v_cmpx_ne_u32_e32 0x7f, v1
	s_cbranch_execz .LBB357_376
; %bb.373:                              ;   in Loop: Header=BB357_15 Depth=1
	v_mov_b32_e32 v30, v14
	v_lshrrev_b32_e32 v0, 3, v1
	v_mov_b32_e32 v29, v13
	s_mov_b32 s23, exec_lo
	v_cmpx_gt_u32_e32 8, v1
; %bb.374:                              ;   in Loop: Header=BB357_15 Depth=1
	v_and_b32_e32 v0, 7, v28
	v_ffbh_u32_e32 v0, v0
	v_min_u32_e32 v0, 32, v0
	v_subrev_nc_u32_e32 v1, 28, v0
	v_sub_nc_u32_e32 v0, 29, v0
	v_lshlrev_b64 v[29:30], v1, v[13:14]
; %bb.375:                              ;   in Loop: Header=BB357_15 Depth=1
	s_or_b32 exec_lo, exec_lo, s23
	v_lshlrev_b32_e32 v1, 20, v29
	v_lshlrev_b32_e32 v2, 24, v13
	v_lshl_add_u32 v0, v0, 23, 0x3c000000
	v_and_b32_e32 v1, 0x700000, v1
	v_and_b32_e32 v2, 0x80000000, v2
	v_or3_b32 v0, v1, v2, v0
	buffer_store_dword v0, off, s[0:3], s32 offset:344 ; 4-byte Folded Spill
.LBB357_376:                            ;   in Loop: Header=BB357_15 Depth=1
	s_or_b32 exec_lo, exec_lo, s22
.LBB357_377:                            ;   in Loop: Header=BB357_15 Depth=1
	s_or_b32 exec_lo, exec_lo, s21
.LBB357_378:                            ;   in Loop: Header=BB357_15 Depth=1
	s_or_b32 exec_lo, exec_lo, s20
	v_cmp_ne_u16_sdwa s5, v13, v14 src0_sel:BYTE_1 src1_sel:DWORD
	s_and_saveexec_b32 s20, s5
	s_cbranch_execz .LBB357_386
; %bb.379:                              ;   in Loop: Header=BB357_15 Depth=1
	v_cmp_ne_u16_sdwa s5, v13, v43 src0_sel:BYTE_1 src1_sel:DWORD
	v_bfrev_b32_e32 v0, 1
	buffer_store_dword v0, off, s[0:3], s32 offset:348 ; 4-byte Folded Spill
	s_and_saveexec_b32 s21, s5
	s_cbranch_execz .LBB357_385
; %bb.380:                              ;   in Loop: Header=BB357_15 Depth=1
	v_mov_b32_e32 v0, 0xffff
	v_mov_b32_e32 v2, 0x7f800001
	s_mov_b32 s22, exec_lo
	v_and_b32_sdwa v0, v0, v13 dst_sel:DWORD dst_unused:UNUSED_PAD src0_sel:DWORD src1_sel:BYTE_1
	buffer_store_dword v2, off, s[0:3], s32 offset:348 ; 4-byte Folded Spill
	v_and_b32_e32 v1, 0x7f, v0
	v_cmpx_ne_u32_e32 0x7f, v1
	s_cbranch_execz .LBB357_384
; %bb.381:                              ;   in Loop: Header=BB357_15 Depth=1
	v_and_b32_e32 v29, 7, v0
	v_mov_b32_e32 v30, v14
	v_lshrrev_b32_e32 v0, 3, v1
	s_mov_b32 s23, exec_lo
	v_cmpx_gt_u32_e32 8, v1
; %bb.382:                              ;   in Loop: Header=BB357_15 Depth=1
	v_ffbh_u32_e32 v0, v29
	v_min_u32_e32 v0, 32, v0
	v_subrev_nc_u32_e32 v1, 28, v0
	v_sub_nc_u32_e32 v0, 29, v0
	v_lshlrev_b64 v[1:2], v1, v[29:30]
	v_and_b32_e32 v29, 7, v1
; %bb.383:                              ;   in Loop: Header=BB357_15 Depth=1
	s_or_b32 exec_lo, exec_lo, s23
	v_lshlrev_b32_e32 v1, 16, v13
	v_lshlrev_b32_e32 v2, 20, v29
	v_lshl_add_u32 v0, v0, 23, 0x3c000000
	v_and_b32_e32 v1, 0x80000000, v1
	v_or3_b32 v0, v2, v1, v0
	buffer_store_dword v0, off, s[0:3], s32 offset:348 ; 4-byte Folded Spill
.LBB357_384:                            ;   in Loop: Header=BB357_15 Depth=1
	s_or_b32 exec_lo, exec_lo, s22
.LBB357_385:                            ;   in Loop: Header=BB357_15 Depth=1
	s_or_b32 exec_lo, exec_lo, s21
.LBB357_386:                            ;   in Loop: Header=BB357_15 Depth=1
	s_or_b32 exec_lo, exec_lo, s20
	v_mov_b32_e32 v1, 0
	v_and_b32_sdwa v0, v28, v3 dst_sel:DWORD dst_unused:UNUSED_PAD src0_sel:WORD_1 src1_sel:DWORD
	s_mov_b32 s20, exec_lo
	buffer_store_dword v1, off, s[0:3], s32 offset:352 ; 4-byte Folded Spill
	v_mov_b32_e32 v1, 0
	buffer_store_dword v1, off, s[0:3], s32 offset:692 ; 4-byte Folded Spill
	v_cmpx_ne_u16_e32 0, v0
	s_cbranch_execz .LBB357_394
; %bb.387:                              ;   in Loop: Header=BB357_15 Depth=1
	v_cmp_ne_u16_e64 s5, 0x80, v0
	v_bfrev_b32_e32 v0, 1
	s_and_saveexec_b32 s21, s5
	s_cbranch_execz .LBB357_393
; %bb.388:                              ;   in Loop: Header=BB357_15 Depth=1
	v_bfe_u32 v1, v28, 16, 7
	v_mov_b32_e32 v0, 0x7f800001
	s_mov_b32 s22, exec_lo
	v_cmpx_ne_u32_e32 0x7f, v1
	s_cbranch_execz .LBB357_392
; %bb.389:                              ;   in Loop: Header=BB357_15 Depth=1
	v_mov_b32_e32 v0, 7
	s_mov_b32 s23, exec_lo
	v_and_b32_sdwa v13, v28, v0 dst_sel:DWORD dst_unused:UNUSED_PAD src0_sel:WORD_1 src1_sel:DWORD
	v_mov_b32_e32 v30, v14
	v_lshrrev_b32_e32 v0, 3, v1
	v_mov_b32_e32 v29, v13
	v_cmpx_gt_u32_e32 8, v1
; %bb.390:                              ;   in Loop: Header=BB357_15 Depth=1
	v_ffbh_u32_e32 v0, v13
	v_min_u32_e32 v0, 32, v0
	v_subrev_nc_u32_e32 v1, 28, v0
	v_sub_nc_u32_e32 v0, 29, v0
	v_lshlrev_b64 v[1:2], v1, v[13:14]
	v_and_b32_e32 v29, 7, v1
; %bb.391:                              ;   in Loop: Header=BB357_15 Depth=1
	s_or_b32 exec_lo, exec_lo, s23
	v_mov_b32_e32 v1, 24
	v_lshlrev_b32_e32 v2, 20, v29
	v_lshl_add_u32 v0, v0, 23, 0x3c000000
	v_lshlrev_b32_sdwa v1, v1, v28 dst_sel:DWORD dst_unused:UNUSED_PAD src0_sel:DWORD src1_sel:WORD_1
	v_and_b32_e32 v1, 0x80000000, v1
	v_or3_b32 v0, v2, v1, v0
.LBB357_392:                            ;   in Loop: Header=BB357_15 Depth=1
	s_or_b32 exec_lo, exec_lo, s22
.LBB357_393:                            ;   in Loop: Header=BB357_15 Depth=1
	s_or_b32 exec_lo, exec_lo, s21
	buffer_store_dword v0, off, s[0:3], s32 offset:692 ; 4-byte Folded Spill
.LBB357_394:                            ;   in Loop: Header=BB357_15 Depth=1
	s_or_b32 exec_lo, exec_lo, s20
	s_mov_b32 s20, exec_lo
	v_cmpx_lt_u64_e64 s[12:13], v[27:28]
	s_cbranch_execz .LBB357_402
; %bb.395:                              ;   in Loop: Header=BB357_15 Depth=1
	v_cmp_ne_u32_sdwa s5, v28, v43 src0_sel:BYTE_3 src1_sel:DWORD
	v_bfrev_b32_e32 v0, 1
	buffer_store_dword v0, off, s[0:3], s32 offset:352 ; 4-byte Folded Spill
	s_and_saveexec_b32 s21, s5
	s_cbranch_execz .LBB357_401
; %bb.396:                              ;   in Loop: Header=BB357_15 Depth=1
	v_bfe_u32 v1, v28, 24, 7
	v_mov_b32_e32 v0, 0x7f800001
	s_mov_b32 s22, exec_lo
	buffer_store_dword v0, off, s[0:3], s32 offset:352 ; 4-byte Folded Spill
	v_cmpx_ne_u32_e32 0x7f, v1
	s_cbranch_execz .LBB357_400
; %bb.397:                              ;   in Loop: Header=BB357_15 Depth=1
	v_mov_b32_e32 v0, 7
	s_mov_b32 s23, exec_lo
	v_and_b32_sdwa v13, v28, v0 dst_sel:DWORD dst_unused:UNUSED_PAD src0_sel:BYTE_3 src1_sel:DWORD
	v_mov_b32_e32 v30, v14
	v_lshrrev_b32_e32 v0, 3, v1
	v_mov_b32_e32 v29, v13
	v_cmpx_gt_u32_e32 8, v1
; %bb.398:                              ;   in Loop: Header=BB357_15 Depth=1
	v_ffbh_u32_e32 v0, v13
	v_min_u32_e32 v0, 32, v0
	v_subrev_nc_u32_e32 v1, 28, v0
	v_sub_nc_u32_e32 v0, 29, v0
	v_lshlrev_b64 v[1:2], v1, v[13:14]
	v_and_b32_e32 v29, 7, v1
; %bb.399:                              ;   in Loop: Header=BB357_15 Depth=1
	s_or_b32 exec_lo, exec_lo, s23
	v_mov_b32_e32 v1, 24
	v_lshlrev_b32_e32 v2, 20, v29
	v_lshl_add_u32 v0, v0, 23, 0x3c000000
	v_lshlrev_b32_sdwa v1, v1, v28 dst_sel:DWORD dst_unused:UNUSED_PAD src0_sel:DWORD src1_sel:BYTE_3
	v_and_b32_e32 v1, 0x80000000, v1
	v_or3_b32 v0, v2, v1, v0
	buffer_store_dword v0, off, s[0:3], s32 offset:352 ; 4-byte Folded Spill
.LBB357_400:                            ;   in Loop: Header=BB357_15 Depth=1
	s_or_b32 exec_lo, exec_lo, s22
.LBB357_401:                            ;   in Loop: Header=BB357_15 Depth=1
	s_or_b32 exec_lo, exec_lo, s21
.LBB357_402:                            ;   in Loop: Header=BB357_15 Depth=1
	s_or_b32 exec_lo, exec_lo, s20
	flat_load_dwordx2 v[27:28], v[24:25] offset:1536
	v_mov_b32_e32 v0, 0
	buffer_store_dword v0, off, s[0:3], s32 offset:360 ; 4-byte Folded Spill
	v_mov_b32_e32 v0, 0
	buffer_store_dword v0, off, s[0:3], s32 offset:356 ; 4-byte Folded Spill
	s_waitcnt vmcnt(0) lgkmcnt(0)
	v_cmp_ne_u16_sdwa s5, v27, v14 src0_sel:BYTE_0 src1_sel:DWORD
	s_and_saveexec_b32 s20, s5
	s_cbranch_execz .LBB357_410
; %bb.403:                              ;   in Loop: Header=BB357_15 Depth=1
	v_cmp_ne_u16_sdwa s5, v27, v43 src0_sel:BYTE_0 src1_sel:DWORD
	v_bfrev_b32_e32 v0, 1
	buffer_store_dword v0, off, s[0:3], s32 offset:356 ; 4-byte Folded Spill
	s_and_saveexec_b32 s21, s5
	s_cbranch_execz .LBB357_409
; %bb.404:                              ;   in Loop: Header=BB357_15 Depth=1
	v_and_b32_e32 v1, 0x7f, v27
	v_mov_b32_e32 v0, 0x7f800001
	s_mov_b32 s22, exec_lo
	buffer_store_dword v0, off, s[0:3], s32 offset:356 ; 4-byte Folded Spill
	v_cmpx_ne_u32_e32 0x7f, v1
	s_cbranch_execz .LBB357_408
; %bb.405:                              ;   in Loop: Header=BB357_15 Depth=1
	v_mov_b32_e32 v30, v28
	v_lshrrev_b32_e32 v0, 3, v1
	v_mov_b32_e32 v29, v27
	s_mov_b32 s23, exec_lo
	v_cmpx_gt_u32_e32 8, v1
; %bb.406:                              ;   in Loop: Header=BB357_15 Depth=1
	v_and_b32_e32 v0, 7, v27
	v_ffbh_u32_e32 v0, v0
	v_min_u32_e32 v0, 32, v0
	v_subrev_nc_u32_e32 v1, 28, v0
	v_sub_nc_u32_e32 v0, 29, v0
	v_lshlrev_b64 v[29:30], v1, v[27:28]
; %bb.407:                              ;   in Loop: Header=BB357_15 Depth=1
	s_or_b32 exec_lo, exec_lo, s23
	v_lshlrev_b32_e32 v1, 20, v29
	v_lshlrev_b32_e32 v2, 24, v27
	v_lshl_add_u32 v0, v0, 23, 0x3c000000
	v_and_b32_e32 v1, 0x700000, v1
	v_and_b32_e32 v2, 0x80000000, v2
	v_or3_b32 v0, v1, v2, v0
	buffer_store_dword v0, off, s[0:3], s32 offset:356 ; 4-byte Folded Spill
.LBB357_408:                            ;   in Loop: Header=BB357_15 Depth=1
	s_or_b32 exec_lo, exec_lo, s22
.LBB357_409:                            ;   in Loop: Header=BB357_15 Depth=1
	s_or_b32 exec_lo, exec_lo, s21
.LBB357_410:                            ;   in Loop: Header=BB357_15 Depth=1
	s_or_b32 exec_lo, exec_lo, s20
	v_cmp_ne_u16_sdwa s5, v27, v14 src0_sel:BYTE_1 src1_sel:DWORD
	s_and_saveexec_b32 s20, s5
	s_cbranch_execz .LBB357_418
; %bb.411:                              ;   in Loop: Header=BB357_15 Depth=1
	v_cmp_ne_u16_sdwa s5, v27, v43 src0_sel:BYTE_1 src1_sel:DWORD
	v_bfrev_b32_e32 v0, 1
	buffer_store_dword v0, off, s[0:3], s32 offset:360 ; 4-byte Folded Spill
	s_and_saveexec_b32 s21, s5
	s_cbranch_execz .LBB357_417
; %bb.412:                              ;   in Loop: Header=BB357_15 Depth=1
	v_mov_b32_e32 v0, 0xffff
	v_mov_b32_e32 v2, 0x7f800001
	s_mov_b32 s22, exec_lo
	v_and_b32_sdwa v0, v0, v27 dst_sel:DWORD dst_unused:UNUSED_PAD src0_sel:DWORD src1_sel:BYTE_1
	buffer_store_dword v2, off, s[0:3], s32 offset:360 ; 4-byte Folded Spill
	v_and_b32_e32 v1, 0x7f, v0
	v_cmpx_ne_u32_e32 0x7f, v1
	s_cbranch_execz .LBB357_416
; %bb.413:                              ;   in Loop: Header=BB357_15 Depth=1
	v_and_b32_e32 v13, 7, v0
	v_mov_b32_e32 v30, v14
	v_lshrrev_b32_e32 v0, 3, v1
	s_mov_b32 s23, exec_lo
	v_mov_b32_e32 v29, v13
	v_cmpx_gt_u32_e32 8, v1
; %bb.414:                              ;   in Loop: Header=BB357_15 Depth=1
	v_ffbh_u32_e32 v0, v13
	v_min_u32_e32 v0, 32, v0
	v_subrev_nc_u32_e32 v1, 28, v0
	v_sub_nc_u32_e32 v0, 29, v0
	v_lshlrev_b64 v[1:2], v1, v[13:14]
	v_and_b32_e32 v29, 7, v1
; %bb.415:                              ;   in Loop: Header=BB357_15 Depth=1
	s_or_b32 exec_lo, exec_lo, s23
	v_lshlrev_b32_e32 v1, 16, v27
	v_lshlrev_b32_e32 v2, 20, v29
	v_lshl_add_u32 v0, v0, 23, 0x3c000000
	v_and_b32_e32 v1, 0x80000000, v1
	v_or3_b32 v0, v2, v1, v0
	buffer_store_dword v0, off, s[0:3], s32 offset:360 ; 4-byte Folded Spill
.LBB357_416:                            ;   in Loop: Header=BB357_15 Depth=1
	s_or_b32 exec_lo, exec_lo, s22
.LBB357_417:                            ;   in Loop: Header=BB357_15 Depth=1
	s_or_b32 exec_lo, exec_lo, s21
.LBB357_418:                            ;   in Loop: Header=BB357_15 Depth=1
	s_or_b32 exec_lo, exec_lo, s20
	v_mov_b32_e32 v1, 0
	v_and_b32_sdwa v0, v27, v3 dst_sel:DWORD dst_unused:UNUSED_PAD src0_sel:WORD_1 src1_sel:DWORD
	s_mov_b32 s20, exec_lo
	buffer_store_dword v1, off, s[0:3], s32 offset:364 ; 4-byte Folded Spill
	v_mov_b32_e32 v1, 0
	buffer_store_dword v1, off, s[0:3], s32 offset:696 ; 4-byte Folded Spill
	v_cmpx_ne_u16_e32 0, v0
	s_cbranch_execz .LBB357_426
; %bb.419:                              ;   in Loop: Header=BB357_15 Depth=1
	v_cmp_ne_u16_e64 s5, 0x80, v0
	v_bfrev_b32_e32 v0, 1
	s_and_saveexec_b32 s21, s5
	s_cbranch_execz .LBB357_425
; %bb.420:                              ;   in Loop: Header=BB357_15 Depth=1
	v_bfe_u32 v1, v27, 16, 7
	v_mov_b32_e32 v0, 0x7f800001
	s_mov_b32 s22, exec_lo
	v_cmpx_ne_u32_e32 0x7f, v1
	s_cbranch_execz .LBB357_424
; %bb.421:                              ;   in Loop: Header=BB357_15 Depth=1
	v_mov_b32_e32 v0, 7
	s_mov_b32 s23, exec_lo
	v_and_b32_sdwa v13, v27, v0 dst_sel:DWORD dst_unused:UNUSED_PAD src0_sel:WORD_1 src1_sel:DWORD
	v_mov_b32_e32 v30, v14
	v_lshrrev_b32_e32 v0, 3, v1
	v_mov_b32_e32 v29, v13
	v_cmpx_gt_u32_e32 8, v1
; %bb.422:                              ;   in Loop: Header=BB357_15 Depth=1
	v_ffbh_u32_e32 v0, v13
	v_min_u32_e32 v0, 32, v0
	v_subrev_nc_u32_e32 v1, 28, v0
	v_sub_nc_u32_e32 v0, 29, v0
	v_lshlrev_b64 v[1:2], v1, v[13:14]
	v_and_b32_e32 v29, 7, v1
; %bb.423:                              ;   in Loop: Header=BB357_15 Depth=1
	s_or_b32 exec_lo, exec_lo, s23
	v_mov_b32_e32 v1, 24
	v_lshlrev_b32_e32 v2, 20, v29
	v_lshl_add_u32 v0, v0, 23, 0x3c000000
	v_lshlrev_b32_sdwa v1, v1, v27 dst_sel:DWORD dst_unused:UNUSED_PAD src0_sel:DWORD src1_sel:WORD_1
	v_and_b32_e32 v1, 0x80000000, v1
	v_or3_b32 v0, v2, v1, v0
.LBB357_424:                            ;   in Loop: Header=BB357_15 Depth=1
	s_or_b32 exec_lo, exec_lo, s22
.LBB357_425:                            ;   in Loop: Header=BB357_15 Depth=1
	s_or_b32 exec_lo, exec_lo, s21
	buffer_store_dword v0, off, s[0:3], s32 offset:696 ; 4-byte Folded Spill
.LBB357_426:                            ;   in Loop: Header=BB357_15 Depth=1
	s_or_b32 exec_lo, exec_lo, s20
	s_mov_b32 s20, exec_lo
	v_cmpx_lt_u32_e32 0xffffff, v27
	s_cbranch_execz .LBB357_434
; %bb.427:                              ;   in Loop: Header=BB357_15 Depth=1
	v_cmp_ne_u32_sdwa s5, v27, v43 src0_sel:BYTE_3 src1_sel:DWORD
	v_bfrev_b32_e32 v0, 1
	buffer_store_dword v0, off, s[0:3], s32 offset:364 ; 4-byte Folded Spill
	s_and_saveexec_b32 s21, s5
	s_cbranch_execz .LBB357_433
; %bb.428:                              ;   in Loop: Header=BB357_15 Depth=1
	v_bfe_u32 v1, v27, 24, 7
	v_mov_b32_e32 v0, 0x7f800001
	s_mov_b32 s22, exec_lo
	buffer_store_dword v0, off, s[0:3], s32 offset:364 ; 4-byte Folded Spill
	v_cmpx_ne_u32_e32 0x7f, v1
	s_cbranch_execz .LBB357_432
; %bb.429:                              ;   in Loop: Header=BB357_15 Depth=1
	v_mov_b32_e32 v0, 7
	s_mov_b32 s23, exec_lo
	v_and_b32_sdwa v13, v27, v0 dst_sel:DWORD dst_unused:UNUSED_PAD src0_sel:BYTE_3 src1_sel:DWORD
	v_mov_b32_e32 v30, v14
	v_lshrrev_b32_e32 v0, 3, v1
	v_mov_b32_e32 v29, v13
	v_cmpx_gt_u32_e32 8, v1
; %bb.430:                              ;   in Loop: Header=BB357_15 Depth=1
	v_ffbh_u32_e32 v0, v13
	v_min_u32_e32 v0, 32, v0
	v_subrev_nc_u32_e32 v1, 28, v0
	v_sub_nc_u32_e32 v0, 29, v0
	v_lshlrev_b64 v[1:2], v1, v[13:14]
	v_and_b32_e32 v29, 7, v1
; %bb.431:                              ;   in Loop: Header=BB357_15 Depth=1
	s_or_b32 exec_lo, exec_lo, s23
	v_mov_b32_e32 v1, 24
	v_lshlrev_b32_e32 v2, 20, v29
	v_lshl_add_u32 v0, v0, 23, 0x3c000000
	v_lshlrev_b32_sdwa v1, v1, v27 dst_sel:DWORD dst_unused:UNUSED_PAD src0_sel:DWORD src1_sel:BYTE_3
	v_and_b32_e32 v1, 0x80000000, v1
	v_or3_b32 v0, v2, v1, v0
	buffer_store_dword v0, off, s[0:3], s32 offset:364 ; 4-byte Folded Spill
.LBB357_432:                            ;   in Loop: Header=BB357_15 Depth=1
	s_or_b32 exec_lo, exec_lo, s22
.LBB357_433:                            ;   in Loop: Header=BB357_15 Depth=1
	s_or_b32 exec_lo, exec_lo, s21
.LBB357_434:                            ;   in Loop: Header=BB357_15 Depth=1
	s_or_b32 exec_lo, exec_lo, s20
	v_mov_b32_e32 v0, 0
	v_mov_b32_e32 v13, v28
	v_cmp_ne_u16_sdwa s5, v28, v14 src0_sel:BYTE_0 src1_sel:DWORD
	buffer_store_dword v0, off, s[0:3], s32 offset:372 ; 4-byte Folded Spill
	v_mov_b32_e32 v0, 0
	buffer_store_dword v0, off, s[0:3], s32 offset:368 ; 4-byte Folded Spill
	s_and_saveexec_b32 s20, s5
	s_cbranch_execz .LBB357_442
; %bb.435:                              ;   in Loop: Header=BB357_15 Depth=1
	v_cmp_ne_u16_sdwa s5, v28, v43 src0_sel:BYTE_0 src1_sel:DWORD
	v_bfrev_b32_e32 v0, 1
	buffer_store_dword v0, off, s[0:3], s32 offset:368 ; 4-byte Folded Spill
	s_and_saveexec_b32 s21, s5
	s_cbranch_execz .LBB357_441
; %bb.436:                              ;   in Loop: Header=BB357_15 Depth=1
	v_and_b32_e32 v1, 0x7f, v28
	v_mov_b32_e32 v0, 0x7f800001
	s_mov_b32 s22, exec_lo
	buffer_store_dword v0, off, s[0:3], s32 offset:368 ; 4-byte Folded Spill
	v_cmpx_ne_u32_e32 0x7f, v1
	s_cbranch_execz .LBB357_440
; %bb.437:                              ;   in Loop: Header=BB357_15 Depth=1
	v_mov_b32_e32 v30, v14
	v_lshrrev_b32_e32 v0, 3, v1
	v_mov_b32_e32 v29, v13
	s_mov_b32 s23, exec_lo
	v_cmpx_gt_u32_e32 8, v1
; %bb.438:                              ;   in Loop: Header=BB357_15 Depth=1
	v_and_b32_e32 v0, 7, v28
	v_ffbh_u32_e32 v0, v0
	v_min_u32_e32 v0, 32, v0
	v_subrev_nc_u32_e32 v1, 28, v0
	v_sub_nc_u32_e32 v0, 29, v0
	v_lshlrev_b64 v[29:30], v1, v[13:14]
; %bb.439:                              ;   in Loop: Header=BB357_15 Depth=1
	s_or_b32 exec_lo, exec_lo, s23
	v_lshlrev_b32_e32 v1, 20, v29
	v_lshlrev_b32_e32 v2, 24, v13
	v_lshl_add_u32 v0, v0, 23, 0x3c000000
	v_and_b32_e32 v1, 0x700000, v1
	v_and_b32_e32 v2, 0x80000000, v2
	v_or3_b32 v0, v1, v2, v0
	buffer_store_dword v0, off, s[0:3], s32 offset:368 ; 4-byte Folded Spill
.LBB357_440:                            ;   in Loop: Header=BB357_15 Depth=1
	s_or_b32 exec_lo, exec_lo, s22
.LBB357_441:                            ;   in Loop: Header=BB357_15 Depth=1
	s_or_b32 exec_lo, exec_lo, s21
.LBB357_442:                            ;   in Loop: Header=BB357_15 Depth=1
	s_or_b32 exec_lo, exec_lo, s20
	v_cmp_ne_u16_sdwa s5, v13, v14 src0_sel:BYTE_1 src1_sel:DWORD
	s_and_saveexec_b32 s20, s5
	s_cbranch_execz .LBB357_450
; %bb.443:                              ;   in Loop: Header=BB357_15 Depth=1
	v_cmp_ne_u16_sdwa s5, v13, v43 src0_sel:BYTE_1 src1_sel:DWORD
	v_bfrev_b32_e32 v0, 1
	buffer_store_dword v0, off, s[0:3], s32 offset:372 ; 4-byte Folded Spill
	s_and_saveexec_b32 s21, s5
	s_cbranch_execz .LBB357_449
; %bb.444:                              ;   in Loop: Header=BB357_15 Depth=1
	v_mov_b32_e32 v0, 0xffff
	v_mov_b32_e32 v2, 0x7f800001
	s_mov_b32 s22, exec_lo
	v_and_b32_sdwa v0, v0, v13 dst_sel:DWORD dst_unused:UNUSED_PAD src0_sel:DWORD src1_sel:BYTE_1
	buffer_store_dword v2, off, s[0:3], s32 offset:372 ; 4-byte Folded Spill
	v_and_b32_e32 v1, 0x7f, v0
	v_cmpx_ne_u32_e32 0x7f, v1
	s_cbranch_execz .LBB357_448
; %bb.445:                              ;   in Loop: Header=BB357_15 Depth=1
	v_and_b32_e32 v29, 7, v0
	v_mov_b32_e32 v30, v14
	v_lshrrev_b32_e32 v0, 3, v1
	s_mov_b32 s23, exec_lo
	v_cmpx_gt_u32_e32 8, v1
; %bb.446:                              ;   in Loop: Header=BB357_15 Depth=1
	v_ffbh_u32_e32 v0, v29
	v_min_u32_e32 v0, 32, v0
	v_subrev_nc_u32_e32 v1, 28, v0
	v_sub_nc_u32_e32 v0, 29, v0
	v_lshlrev_b64 v[1:2], v1, v[29:30]
	v_and_b32_e32 v29, 7, v1
; %bb.447:                              ;   in Loop: Header=BB357_15 Depth=1
	s_or_b32 exec_lo, exec_lo, s23
	v_lshlrev_b32_e32 v1, 16, v13
	v_lshlrev_b32_e32 v2, 20, v29
	v_lshl_add_u32 v0, v0, 23, 0x3c000000
	v_and_b32_e32 v1, 0x80000000, v1
	v_or3_b32 v0, v2, v1, v0
	buffer_store_dword v0, off, s[0:3], s32 offset:372 ; 4-byte Folded Spill
.LBB357_448:                            ;   in Loop: Header=BB357_15 Depth=1
	s_or_b32 exec_lo, exec_lo, s22
.LBB357_449:                            ;   in Loop: Header=BB357_15 Depth=1
	s_or_b32 exec_lo, exec_lo, s21
.LBB357_450:                            ;   in Loop: Header=BB357_15 Depth=1
	s_or_b32 exec_lo, exec_lo, s20
	v_mov_b32_e32 v1, 0
	v_and_b32_sdwa v0, v28, v3 dst_sel:DWORD dst_unused:UNUSED_PAD src0_sel:WORD_1 src1_sel:DWORD
	s_mov_b32 s20, exec_lo
	buffer_store_dword v1, off, s[0:3], s32 offset:376 ; 4-byte Folded Spill
	v_mov_b32_e32 v1, 0
	buffer_store_dword v1, off, s[0:3], s32 offset:700 ; 4-byte Folded Spill
	v_cmpx_ne_u16_e32 0, v0
	s_cbranch_execz .LBB357_458
; %bb.451:                              ;   in Loop: Header=BB357_15 Depth=1
	v_cmp_ne_u16_e64 s5, 0x80, v0
	v_bfrev_b32_e32 v0, 1
	s_and_saveexec_b32 s21, s5
	s_cbranch_execz .LBB357_457
; %bb.452:                              ;   in Loop: Header=BB357_15 Depth=1
	v_bfe_u32 v1, v28, 16, 7
	v_mov_b32_e32 v0, 0x7f800001
	s_mov_b32 s22, exec_lo
	v_cmpx_ne_u32_e32 0x7f, v1
	s_cbranch_execz .LBB357_456
; %bb.453:                              ;   in Loop: Header=BB357_15 Depth=1
	v_mov_b32_e32 v0, 7
	s_mov_b32 s23, exec_lo
	v_and_b32_sdwa v13, v28, v0 dst_sel:DWORD dst_unused:UNUSED_PAD src0_sel:WORD_1 src1_sel:DWORD
	v_mov_b32_e32 v30, v14
	v_lshrrev_b32_e32 v0, 3, v1
	v_mov_b32_e32 v29, v13
	v_cmpx_gt_u32_e32 8, v1
; %bb.454:                              ;   in Loop: Header=BB357_15 Depth=1
	v_ffbh_u32_e32 v0, v13
	v_min_u32_e32 v0, 32, v0
	v_subrev_nc_u32_e32 v1, 28, v0
	v_sub_nc_u32_e32 v0, 29, v0
	v_lshlrev_b64 v[1:2], v1, v[13:14]
	v_and_b32_e32 v29, 7, v1
; %bb.455:                              ;   in Loop: Header=BB357_15 Depth=1
	s_or_b32 exec_lo, exec_lo, s23
	v_mov_b32_e32 v1, 24
	v_lshlrev_b32_e32 v2, 20, v29
	v_lshl_add_u32 v0, v0, 23, 0x3c000000
	v_lshlrev_b32_sdwa v1, v1, v28 dst_sel:DWORD dst_unused:UNUSED_PAD src0_sel:DWORD src1_sel:WORD_1
	v_and_b32_e32 v1, 0x80000000, v1
	v_or3_b32 v0, v2, v1, v0
.LBB357_456:                            ;   in Loop: Header=BB357_15 Depth=1
	s_or_b32 exec_lo, exec_lo, s22
.LBB357_457:                            ;   in Loop: Header=BB357_15 Depth=1
	s_or_b32 exec_lo, exec_lo, s21
	buffer_store_dword v0, off, s[0:3], s32 offset:700 ; 4-byte Folded Spill
.LBB357_458:                            ;   in Loop: Header=BB357_15 Depth=1
	s_or_b32 exec_lo, exec_lo, s20
	s_mov_b32 s20, exec_lo
	v_cmpx_lt_u64_e64 s[12:13], v[27:28]
	s_cbranch_execz .LBB357_466
; %bb.459:                              ;   in Loop: Header=BB357_15 Depth=1
	v_cmp_ne_u32_sdwa s5, v28, v43 src0_sel:BYTE_3 src1_sel:DWORD
	v_bfrev_b32_e32 v0, 1
	buffer_store_dword v0, off, s[0:3], s32 offset:376 ; 4-byte Folded Spill
	s_and_saveexec_b32 s21, s5
	s_cbranch_execz .LBB357_465
; %bb.460:                              ;   in Loop: Header=BB357_15 Depth=1
	v_bfe_u32 v1, v28, 24, 7
	v_mov_b32_e32 v0, 0x7f800001
	s_mov_b32 s22, exec_lo
	buffer_store_dword v0, off, s[0:3], s32 offset:376 ; 4-byte Folded Spill
	v_cmpx_ne_u32_e32 0x7f, v1
	s_cbranch_execz .LBB357_464
; %bb.461:                              ;   in Loop: Header=BB357_15 Depth=1
	v_mov_b32_e32 v0, 7
	s_mov_b32 s23, exec_lo
	v_and_b32_sdwa v13, v28, v0 dst_sel:DWORD dst_unused:UNUSED_PAD src0_sel:BYTE_3 src1_sel:DWORD
	v_mov_b32_e32 v30, v14
	v_lshrrev_b32_e32 v0, 3, v1
	v_mov_b32_e32 v29, v13
	v_cmpx_gt_u32_e32 8, v1
; %bb.462:                              ;   in Loop: Header=BB357_15 Depth=1
	v_ffbh_u32_e32 v0, v13
	v_min_u32_e32 v0, 32, v0
	v_subrev_nc_u32_e32 v1, 28, v0
	v_sub_nc_u32_e32 v0, 29, v0
	v_lshlrev_b64 v[1:2], v1, v[13:14]
	v_and_b32_e32 v29, 7, v1
; %bb.463:                              ;   in Loop: Header=BB357_15 Depth=1
	s_or_b32 exec_lo, exec_lo, s23
	v_mov_b32_e32 v1, 24
	v_lshlrev_b32_e32 v2, 20, v29
	v_lshl_add_u32 v0, v0, 23, 0x3c000000
	v_lshlrev_b32_sdwa v1, v1, v28 dst_sel:DWORD dst_unused:UNUSED_PAD src0_sel:DWORD src1_sel:BYTE_3
	v_and_b32_e32 v1, 0x80000000, v1
	v_or3_b32 v0, v2, v1, v0
	buffer_store_dword v0, off, s[0:3], s32 offset:376 ; 4-byte Folded Spill
.LBB357_464:                            ;   in Loop: Header=BB357_15 Depth=1
	s_or_b32 exec_lo, exec_lo, s22
.LBB357_465:                            ;   in Loop: Header=BB357_15 Depth=1
	s_or_b32 exec_lo, exec_lo, s21
.LBB357_466:                            ;   in Loop: Header=BB357_15 Depth=1
	s_or_b32 exec_lo, exec_lo, s20
	flat_load_dwordx2 v[27:28], v[24:25] offset:1544
	v_mov_b32_e32 v0, 0
	buffer_store_dword v0, off, s[0:3], s32 offset:384 ; 4-byte Folded Spill
	v_mov_b32_e32 v0, 0
	buffer_store_dword v0, off, s[0:3], s32 offset:380 ; 4-byte Folded Spill
	s_waitcnt vmcnt(0) lgkmcnt(0)
	v_cmp_ne_u16_sdwa s5, v27, v14 src0_sel:BYTE_0 src1_sel:DWORD
	s_and_saveexec_b32 s20, s5
	s_cbranch_execz .LBB357_474
; %bb.467:                              ;   in Loop: Header=BB357_15 Depth=1
	v_cmp_ne_u16_sdwa s5, v27, v43 src0_sel:BYTE_0 src1_sel:DWORD
	v_bfrev_b32_e32 v0, 1
	buffer_store_dword v0, off, s[0:3], s32 offset:380 ; 4-byte Folded Spill
	s_and_saveexec_b32 s21, s5
	s_cbranch_execz .LBB357_473
; %bb.468:                              ;   in Loop: Header=BB357_15 Depth=1
	v_and_b32_e32 v1, 0x7f, v27
	v_mov_b32_e32 v0, 0x7f800001
	s_mov_b32 s22, exec_lo
	buffer_store_dword v0, off, s[0:3], s32 offset:380 ; 4-byte Folded Spill
	v_cmpx_ne_u32_e32 0x7f, v1
	s_cbranch_execz .LBB357_472
; %bb.469:                              ;   in Loop: Header=BB357_15 Depth=1
	v_mov_b32_e32 v30, v28
	v_lshrrev_b32_e32 v0, 3, v1
	v_mov_b32_e32 v29, v27
	s_mov_b32 s23, exec_lo
	v_cmpx_gt_u32_e32 8, v1
; %bb.470:                              ;   in Loop: Header=BB357_15 Depth=1
	v_and_b32_e32 v0, 7, v27
	v_ffbh_u32_e32 v0, v0
	v_min_u32_e32 v0, 32, v0
	v_subrev_nc_u32_e32 v1, 28, v0
	v_sub_nc_u32_e32 v0, 29, v0
	v_lshlrev_b64 v[29:30], v1, v[27:28]
; %bb.471:                              ;   in Loop: Header=BB357_15 Depth=1
	s_or_b32 exec_lo, exec_lo, s23
	v_lshlrev_b32_e32 v1, 20, v29
	v_lshlrev_b32_e32 v2, 24, v27
	v_lshl_add_u32 v0, v0, 23, 0x3c000000
	v_and_b32_e32 v1, 0x700000, v1
	v_and_b32_e32 v2, 0x80000000, v2
	v_or3_b32 v0, v1, v2, v0
	buffer_store_dword v0, off, s[0:3], s32 offset:380 ; 4-byte Folded Spill
.LBB357_472:                            ;   in Loop: Header=BB357_15 Depth=1
	s_or_b32 exec_lo, exec_lo, s22
.LBB357_473:                            ;   in Loop: Header=BB357_15 Depth=1
	s_or_b32 exec_lo, exec_lo, s21
.LBB357_474:                            ;   in Loop: Header=BB357_15 Depth=1
	s_or_b32 exec_lo, exec_lo, s20
	v_cmp_ne_u16_sdwa s5, v27, v14 src0_sel:BYTE_1 src1_sel:DWORD
	s_and_saveexec_b32 s20, s5
	s_cbranch_execz .LBB357_482
; %bb.475:                              ;   in Loop: Header=BB357_15 Depth=1
	v_cmp_ne_u16_sdwa s5, v27, v43 src0_sel:BYTE_1 src1_sel:DWORD
	v_bfrev_b32_e32 v0, 1
	buffer_store_dword v0, off, s[0:3], s32 offset:384 ; 4-byte Folded Spill
	s_and_saveexec_b32 s21, s5
	s_cbranch_execz .LBB357_481
; %bb.476:                              ;   in Loop: Header=BB357_15 Depth=1
	v_mov_b32_e32 v0, 0xffff
	v_mov_b32_e32 v2, 0x7f800001
	s_mov_b32 s22, exec_lo
	v_and_b32_sdwa v0, v0, v27 dst_sel:DWORD dst_unused:UNUSED_PAD src0_sel:DWORD src1_sel:BYTE_1
	buffer_store_dword v2, off, s[0:3], s32 offset:384 ; 4-byte Folded Spill
	v_and_b32_e32 v1, 0x7f, v0
	v_cmpx_ne_u32_e32 0x7f, v1
	s_cbranch_execz .LBB357_480
; %bb.477:                              ;   in Loop: Header=BB357_15 Depth=1
	v_and_b32_e32 v13, 7, v0
	v_mov_b32_e32 v30, v14
	v_lshrrev_b32_e32 v0, 3, v1
	s_mov_b32 s23, exec_lo
	v_mov_b32_e32 v29, v13
	v_cmpx_gt_u32_e32 8, v1
; %bb.478:                              ;   in Loop: Header=BB357_15 Depth=1
	v_ffbh_u32_e32 v0, v13
	v_min_u32_e32 v0, 32, v0
	v_subrev_nc_u32_e32 v1, 28, v0
	v_sub_nc_u32_e32 v0, 29, v0
	v_lshlrev_b64 v[1:2], v1, v[13:14]
	v_and_b32_e32 v29, 7, v1
; %bb.479:                              ;   in Loop: Header=BB357_15 Depth=1
	s_or_b32 exec_lo, exec_lo, s23
	v_lshlrev_b32_e32 v1, 16, v27
	v_lshlrev_b32_e32 v2, 20, v29
	v_lshl_add_u32 v0, v0, 23, 0x3c000000
	v_and_b32_e32 v1, 0x80000000, v1
	v_or3_b32 v0, v2, v1, v0
	buffer_store_dword v0, off, s[0:3], s32 offset:384 ; 4-byte Folded Spill
.LBB357_480:                            ;   in Loop: Header=BB357_15 Depth=1
	s_or_b32 exec_lo, exec_lo, s22
.LBB357_481:                            ;   in Loop: Header=BB357_15 Depth=1
	s_or_b32 exec_lo, exec_lo, s21
.LBB357_482:                            ;   in Loop: Header=BB357_15 Depth=1
	s_or_b32 exec_lo, exec_lo, s20
	v_mov_b32_e32 v1, 0
	v_and_b32_sdwa v0, v27, v3 dst_sel:DWORD dst_unused:UNUSED_PAD src0_sel:WORD_1 src1_sel:DWORD
	s_mov_b32 s20, exec_lo
	buffer_store_dword v1, off, s[0:3], s32 offset:388 ; 4-byte Folded Spill
	v_mov_b32_e32 v1, 0
	buffer_store_dword v1, off, s[0:3], s32 offset:704 ; 4-byte Folded Spill
	v_cmpx_ne_u16_e32 0, v0
	s_cbranch_execz .LBB357_490
; %bb.483:                              ;   in Loop: Header=BB357_15 Depth=1
	v_cmp_ne_u16_e64 s5, 0x80, v0
	v_bfrev_b32_e32 v0, 1
	s_and_saveexec_b32 s21, s5
	s_cbranch_execz .LBB357_489
; %bb.484:                              ;   in Loop: Header=BB357_15 Depth=1
	v_bfe_u32 v1, v27, 16, 7
	v_mov_b32_e32 v0, 0x7f800001
	s_mov_b32 s22, exec_lo
	v_cmpx_ne_u32_e32 0x7f, v1
	s_cbranch_execz .LBB357_488
; %bb.485:                              ;   in Loop: Header=BB357_15 Depth=1
	v_mov_b32_e32 v0, 7
	s_mov_b32 s23, exec_lo
	v_and_b32_sdwa v13, v27, v0 dst_sel:DWORD dst_unused:UNUSED_PAD src0_sel:WORD_1 src1_sel:DWORD
	v_mov_b32_e32 v30, v14
	v_lshrrev_b32_e32 v0, 3, v1
	v_mov_b32_e32 v29, v13
	v_cmpx_gt_u32_e32 8, v1
; %bb.486:                              ;   in Loop: Header=BB357_15 Depth=1
	v_ffbh_u32_e32 v0, v13
	v_min_u32_e32 v0, 32, v0
	v_subrev_nc_u32_e32 v1, 28, v0
	v_sub_nc_u32_e32 v0, 29, v0
	v_lshlrev_b64 v[1:2], v1, v[13:14]
	v_and_b32_e32 v29, 7, v1
; %bb.487:                              ;   in Loop: Header=BB357_15 Depth=1
	s_or_b32 exec_lo, exec_lo, s23
	v_mov_b32_e32 v1, 24
	v_lshlrev_b32_e32 v2, 20, v29
	v_lshl_add_u32 v0, v0, 23, 0x3c000000
	v_lshlrev_b32_sdwa v1, v1, v27 dst_sel:DWORD dst_unused:UNUSED_PAD src0_sel:DWORD src1_sel:WORD_1
	v_and_b32_e32 v1, 0x80000000, v1
	v_or3_b32 v0, v2, v1, v0
.LBB357_488:                            ;   in Loop: Header=BB357_15 Depth=1
	s_or_b32 exec_lo, exec_lo, s22
.LBB357_489:                            ;   in Loop: Header=BB357_15 Depth=1
	s_or_b32 exec_lo, exec_lo, s21
	buffer_store_dword v0, off, s[0:3], s32 offset:704 ; 4-byte Folded Spill
.LBB357_490:                            ;   in Loop: Header=BB357_15 Depth=1
	s_or_b32 exec_lo, exec_lo, s20
	s_mov_b32 s20, exec_lo
	v_cmpx_lt_u32_e32 0xffffff, v27
	s_cbranch_execz .LBB357_498
; %bb.491:                              ;   in Loop: Header=BB357_15 Depth=1
	v_cmp_ne_u32_sdwa s5, v27, v43 src0_sel:BYTE_3 src1_sel:DWORD
	v_bfrev_b32_e32 v0, 1
	buffer_store_dword v0, off, s[0:3], s32 offset:388 ; 4-byte Folded Spill
	s_and_saveexec_b32 s21, s5
	s_cbranch_execz .LBB357_497
; %bb.492:                              ;   in Loop: Header=BB357_15 Depth=1
	v_bfe_u32 v1, v27, 24, 7
	v_mov_b32_e32 v0, 0x7f800001
	s_mov_b32 s22, exec_lo
	buffer_store_dword v0, off, s[0:3], s32 offset:388 ; 4-byte Folded Spill
	v_cmpx_ne_u32_e32 0x7f, v1
	s_cbranch_execz .LBB357_496
; %bb.493:                              ;   in Loop: Header=BB357_15 Depth=1
	v_mov_b32_e32 v0, 7
	s_mov_b32 s23, exec_lo
	v_and_b32_sdwa v13, v27, v0 dst_sel:DWORD dst_unused:UNUSED_PAD src0_sel:BYTE_3 src1_sel:DWORD
	v_mov_b32_e32 v30, v14
	v_lshrrev_b32_e32 v0, 3, v1
	v_mov_b32_e32 v29, v13
	v_cmpx_gt_u32_e32 8, v1
; %bb.494:                              ;   in Loop: Header=BB357_15 Depth=1
	v_ffbh_u32_e32 v0, v13
	v_min_u32_e32 v0, 32, v0
	v_subrev_nc_u32_e32 v1, 28, v0
	v_sub_nc_u32_e32 v0, 29, v0
	v_lshlrev_b64 v[1:2], v1, v[13:14]
	v_and_b32_e32 v29, 7, v1
; %bb.495:                              ;   in Loop: Header=BB357_15 Depth=1
	s_or_b32 exec_lo, exec_lo, s23
	v_mov_b32_e32 v1, 24
	v_lshlrev_b32_e32 v2, 20, v29
	v_lshl_add_u32 v0, v0, 23, 0x3c000000
	v_lshlrev_b32_sdwa v1, v1, v27 dst_sel:DWORD dst_unused:UNUSED_PAD src0_sel:DWORD src1_sel:BYTE_3
	v_and_b32_e32 v1, 0x80000000, v1
	v_or3_b32 v0, v2, v1, v0
	buffer_store_dword v0, off, s[0:3], s32 offset:388 ; 4-byte Folded Spill
.LBB357_496:                            ;   in Loop: Header=BB357_15 Depth=1
	s_or_b32 exec_lo, exec_lo, s22
.LBB357_497:                            ;   in Loop: Header=BB357_15 Depth=1
	s_or_b32 exec_lo, exec_lo, s21
.LBB357_498:                            ;   in Loop: Header=BB357_15 Depth=1
	s_or_b32 exec_lo, exec_lo, s20
	v_mov_b32_e32 v0, 0
	v_mov_b32_e32 v13, v28
	v_cmp_ne_u16_sdwa s5, v28, v14 src0_sel:BYTE_0 src1_sel:DWORD
	buffer_store_dword v0, off, s[0:3], s32 offset:396 ; 4-byte Folded Spill
	v_mov_b32_e32 v0, 0
	buffer_store_dword v0, off, s[0:3], s32 offset:392 ; 4-byte Folded Spill
	s_and_saveexec_b32 s20, s5
	s_cbranch_execz .LBB357_506
; %bb.499:                              ;   in Loop: Header=BB357_15 Depth=1
	v_cmp_ne_u16_sdwa s5, v28, v43 src0_sel:BYTE_0 src1_sel:DWORD
	v_bfrev_b32_e32 v0, 1
	buffer_store_dword v0, off, s[0:3], s32 offset:392 ; 4-byte Folded Spill
	s_and_saveexec_b32 s21, s5
	s_cbranch_execz .LBB357_505
; %bb.500:                              ;   in Loop: Header=BB357_15 Depth=1
	v_and_b32_e32 v1, 0x7f, v28
	v_mov_b32_e32 v0, 0x7f800001
	s_mov_b32 s22, exec_lo
	buffer_store_dword v0, off, s[0:3], s32 offset:392 ; 4-byte Folded Spill
	v_cmpx_ne_u32_e32 0x7f, v1
	s_cbranch_execz .LBB357_504
; %bb.501:                              ;   in Loop: Header=BB357_15 Depth=1
	v_mov_b32_e32 v30, v14
	v_lshrrev_b32_e32 v0, 3, v1
	v_mov_b32_e32 v29, v13
	s_mov_b32 s23, exec_lo
	v_cmpx_gt_u32_e32 8, v1
; %bb.502:                              ;   in Loop: Header=BB357_15 Depth=1
	v_and_b32_e32 v0, 7, v28
	v_ffbh_u32_e32 v0, v0
	v_min_u32_e32 v0, 32, v0
	v_subrev_nc_u32_e32 v1, 28, v0
	v_sub_nc_u32_e32 v0, 29, v0
	v_lshlrev_b64 v[29:30], v1, v[13:14]
; %bb.503:                              ;   in Loop: Header=BB357_15 Depth=1
	s_or_b32 exec_lo, exec_lo, s23
	v_lshlrev_b32_e32 v1, 20, v29
	v_lshlrev_b32_e32 v2, 24, v13
	v_lshl_add_u32 v0, v0, 23, 0x3c000000
	v_and_b32_e32 v1, 0x700000, v1
	v_and_b32_e32 v2, 0x80000000, v2
	v_or3_b32 v0, v1, v2, v0
	buffer_store_dword v0, off, s[0:3], s32 offset:392 ; 4-byte Folded Spill
.LBB357_504:                            ;   in Loop: Header=BB357_15 Depth=1
	s_or_b32 exec_lo, exec_lo, s22
.LBB357_505:                            ;   in Loop: Header=BB357_15 Depth=1
	s_or_b32 exec_lo, exec_lo, s21
.LBB357_506:                            ;   in Loop: Header=BB357_15 Depth=1
	s_or_b32 exec_lo, exec_lo, s20
	v_cmp_ne_u16_sdwa s5, v13, v14 src0_sel:BYTE_1 src1_sel:DWORD
	s_and_saveexec_b32 s20, s5
	s_cbranch_execz .LBB357_514
; %bb.507:                              ;   in Loop: Header=BB357_15 Depth=1
	v_cmp_ne_u16_sdwa s5, v13, v43 src0_sel:BYTE_1 src1_sel:DWORD
	v_bfrev_b32_e32 v0, 1
	buffer_store_dword v0, off, s[0:3], s32 offset:396 ; 4-byte Folded Spill
	s_and_saveexec_b32 s21, s5
	s_cbranch_execz .LBB357_513
; %bb.508:                              ;   in Loop: Header=BB357_15 Depth=1
	v_mov_b32_e32 v0, 0xffff
	v_mov_b32_e32 v2, 0x7f800001
	s_mov_b32 s22, exec_lo
	v_and_b32_sdwa v0, v0, v13 dst_sel:DWORD dst_unused:UNUSED_PAD src0_sel:DWORD src1_sel:BYTE_1
	buffer_store_dword v2, off, s[0:3], s32 offset:396 ; 4-byte Folded Spill
	v_and_b32_e32 v1, 0x7f, v0
	v_cmpx_ne_u32_e32 0x7f, v1
	s_cbranch_execz .LBB357_512
; %bb.509:                              ;   in Loop: Header=BB357_15 Depth=1
	v_and_b32_e32 v29, 7, v0
	v_mov_b32_e32 v30, v14
	v_lshrrev_b32_e32 v0, 3, v1
	s_mov_b32 s23, exec_lo
	v_cmpx_gt_u32_e32 8, v1
; %bb.510:                              ;   in Loop: Header=BB357_15 Depth=1
	v_ffbh_u32_e32 v0, v29
	v_min_u32_e32 v0, 32, v0
	v_subrev_nc_u32_e32 v1, 28, v0
	v_sub_nc_u32_e32 v0, 29, v0
	v_lshlrev_b64 v[1:2], v1, v[29:30]
	v_and_b32_e32 v29, 7, v1
; %bb.511:                              ;   in Loop: Header=BB357_15 Depth=1
	s_or_b32 exec_lo, exec_lo, s23
	v_lshlrev_b32_e32 v1, 16, v13
	v_lshlrev_b32_e32 v2, 20, v29
	v_lshl_add_u32 v0, v0, 23, 0x3c000000
	v_and_b32_e32 v1, 0x80000000, v1
	v_or3_b32 v0, v2, v1, v0
	buffer_store_dword v0, off, s[0:3], s32 offset:396 ; 4-byte Folded Spill
.LBB357_512:                            ;   in Loop: Header=BB357_15 Depth=1
	s_or_b32 exec_lo, exec_lo, s22
.LBB357_513:                            ;   in Loop: Header=BB357_15 Depth=1
	s_or_b32 exec_lo, exec_lo, s21
.LBB357_514:                            ;   in Loop: Header=BB357_15 Depth=1
	s_or_b32 exec_lo, exec_lo, s20
	v_mov_b32_e32 v1, 0
	v_and_b32_sdwa v0, v28, v3 dst_sel:DWORD dst_unused:UNUSED_PAD src0_sel:WORD_1 src1_sel:DWORD
	s_mov_b32 s20, exec_lo
	buffer_store_dword v1, off, s[0:3], s32 offset:400 ; 4-byte Folded Spill
	v_mov_b32_e32 v1, 0
	buffer_store_dword v1, off, s[0:3], s32 offset:708 ; 4-byte Folded Spill
	v_cmpx_ne_u16_e32 0, v0
	s_cbranch_execz .LBB357_522
; %bb.515:                              ;   in Loop: Header=BB357_15 Depth=1
	v_cmp_ne_u16_e64 s5, 0x80, v0
	v_bfrev_b32_e32 v0, 1
	s_and_saveexec_b32 s21, s5
	s_cbranch_execz .LBB357_521
; %bb.516:                              ;   in Loop: Header=BB357_15 Depth=1
	v_bfe_u32 v1, v28, 16, 7
	v_mov_b32_e32 v0, 0x7f800001
	s_mov_b32 s22, exec_lo
	v_cmpx_ne_u32_e32 0x7f, v1
	s_cbranch_execz .LBB357_520
; %bb.517:                              ;   in Loop: Header=BB357_15 Depth=1
	v_mov_b32_e32 v0, 7
	s_mov_b32 s23, exec_lo
	v_and_b32_sdwa v13, v28, v0 dst_sel:DWORD dst_unused:UNUSED_PAD src0_sel:WORD_1 src1_sel:DWORD
	v_mov_b32_e32 v30, v14
	v_lshrrev_b32_e32 v0, 3, v1
	v_mov_b32_e32 v29, v13
	v_cmpx_gt_u32_e32 8, v1
; %bb.518:                              ;   in Loop: Header=BB357_15 Depth=1
	v_ffbh_u32_e32 v0, v13
	v_min_u32_e32 v0, 32, v0
	v_subrev_nc_u32_e32 v1, 28, v0
	v_sub_nc_u32_e32 v0, 29, v0
	v_lshlrev_b64 v[1:2], v1, v[13:14]
	v_and_b32_e32 v29, 7, v1
; %bb.519:                              ;   in Loop: Header=BB357_15 Depth=1
	s_or_b32 exec_lo, exec_lo, s23
	v_mov_b32_e32 v1, 24
	v_lshlrev_b32_e32 v2, 20, v29
	v_lshl_add_u32 v0, v0, 23, 0x3c000000
	v_lshlrev_b32_sdwa v1, v1, v28 dst_sel:DWORD dst_unused:UNUSED_PAD src0_sel:DWORD src1_sel:WORD_1
	v_and_b32_e32 v1, 0x80000000, v1
	v_or3_b32 v0, v2, v1, v0
.LBB357_520:                            ;   in Loop: Header=BB357_15 Depth=1
	s_or_b32 exec_lo, exec_lo, s22
.LBB357_521:                            ;   in Loop: Header=BB357_15 Depth=1
	s_or_b32 exec_lo, exec_lo, s21
	buffer_store_dword v0, off, s[0:3], s32 offset:708 ; 4-byte Folded Spill
.LBB357_522:                            ;   in Loop: Header=BB357_15 Depth=1
	s_or_b32 exec_lo, exec_lo, s20
	s_mov_b32 s20, exec_lo
	v_cmpx_lt_u64_e64 s[12:13], v[27:28]
	s_cbranch_execz .LBB357_530
; %bb.523:                              ;   in Loop: Header=BB357_15 Depth=1
	v_cmp_ne_u32_sdwa s5, v28, v43 src0_sel:BYTE_3 src1_sel:DWORD
	v_bfrev_b32_e32 v0, 1
	buffer_store_dword v0, off, s[0:3], s32 offset:400 ; 4-byte Folded Spill
	s_and_saveexec_b32 s21, s5
	s_cbranch_execz .LBB357_529
; %bb.524:                              ;   in Loop: Header=BB357_15 Depth=1
	v_bfe_u32 v1, v28, 24, 7
	v_mov_b32_e32 v0, 0x7f800001
	s_mov_b32 s22, exec_lo
	buffer_store_dword v0, off, s[0:3], s32 offset:400 ; 4-byte Folded Spill
	v_cmpx_ne_u32_e32 0x7f, v1
	s_cbranch_execz .LBB357_528
; %bb.525:                              ;   in Loop: Header=BB357_15 Depth=1
	v_mov_b32_e32 v0, 7
	s_mov_b32 s23, exec_lo
	v_and_b32_sdwa v13, v28, v0 dst_sel:DWORD dst_unused:UNUSED_PAD src0_sel:BYTE_3 src1_sel:DWORD
	v_mov_b32_e32 v30, v14
	v_lshrrev_b32_e32 v0, 3, v1
	v_mov_b32_e32 v29, v13
	v_cmpx_gt_u32_e32 8, v1
; %bb.526:                              ;   in Loop: Header=BB357_15 Depth=1
	v_ffbh_u32_e32 v0, v13
	v_min_u32_e32 v0, 32, v0
	v_subrev_nc_u32_e32 v1, 28, v0
	v_sub_nc_u32_e32 v0, 29, v0
	v_lshlrev_b64 v[1:2], v1, v[13:14]
	v_and_b32_e32 v29, 7, v1
; %bb.527:                              ;   in Loop: Header=BB357_15 Depth=1
	s_or_b32 exec_lo, exec_lo, s23
	v_mov_b32_e32 v1, 24
	v_lshlrev_b32_e32 v2, 20, v29
	v_lshl_add_u32 v0, v0, 23, 0x3c000000
	v_lshlrev_b32_sdwa v1, v1, v28 dst_sel:DWORD dst_unused:UNUSED_PAD src0_sel:DWORD src1_sel:BYTE_3
	v_and_b32_e32 v1, 0x80000000, v1
	v_or3_b32 v0, v2, v1, v0
	buffer_store_dword v0, off, s[0:3], s32 offset:400 ; 4-byte Folded Spill
.LBB357_528:                            ;   in Loop: Header=BB357_15 Depth=1
	s_or_b32 exec_lo, exec_lo, s22
.LBB357_529:                            ;   in Loop: Header=BB357_15 Depth=1
	s_or_b32 exec_lo, exec_lo, s21
.LBB357_530:                            ;   in Loop: Header=BB357_15 Depth=1
	s_or_b32 exec_lo, exec_lo, s20
	v_add_co_u32 v27, s5, 0x800, v24
	v_add_co_ci_u32_e64 v28, null, 0, v25, s5
	v_mov_b32_e32 v0, 0
	flat_load_dwordx2 v[29:30], v[27:28]
	buffer_store_dword v0, off, s[0:3], s32 offset:408 ; 4-byte Folded Spill
	v_mov_b32_e32 v0, 0
	buffer_store_dword v0, off, s[0:3], s32 offset:404 ; 4-byte Folded Spill
	s_waitcnt vmcnt(0) lgkmcnt(0)
	v_cmp_ne_u16_sdwa s5, v29, v14 src0_sel:BYTE_0 src1_sel:DWORD
	s_and_saveexec_b32 s20, s5
	s_cbranch_execz .LBB357_538
; %bb.531:                              ;   in Loop: Header=BB357_15 Depth=1
	v_cmp_ne_u16_sdwa s5, v29, v43 src0_sel:BYTE_0 src1_sel:DWORD
	v_bfrev_b32_e32 v0, 1
	buffer_store_dword v0, off, s[0:3], s32 offset:404 ; 4-byte Folded Spill
	s_and_saveexec_b32 s21, s5
	s_cbranch_execz .LBB357_537
; %bb.532:                              ;   in Loop: Header=BB357_15 Depth=1
	v_and_b32_e32 v1, 0x7f, v29
	v_mov_b32_e32 v0, 0x7f800001
	s_mov_b32 s22, exec_lo
	buffer_store_dword v0, off, s[0:3], s32 offset:404 ; 4-byte Folded Spill
	v_cmpx_ne_u32_e32 0x7f, v1
	s_cbranch_execz .LBB357_536
; %bb.533:                              ;   in Loop: Header=BB357_15 Depth=1
	v_mov_b32_e32 v32, v30
	v_lshrrev_b32_e32 v0, 3, v1
	v_mov_b32_e32 v31, v29
	s_mov_b32 s23, exec_lo
	v_cmpx_gt_u32_e32 8, v1
; %bb.534:                              ;   in Loop: Header=BB357_15 Depth=1
	v_and_b32_e32 v0, 7, v29
	v_ffbh_u32_e32 v0, v0
	v_min_u32_e32 v0, 32, v0
	v_subrev_nc_u32_e32 v1, 28, v0
	v_sub_nc_u32_e32 v0, 29, v0
	v_lshlrev_b64 v[31:32], v1, v[29:30]
; %bb.535:                              ;   in Loop: Header=BB357_15 Depth=1
	s_or_b32 exec_lo, exec_lo, s23
	v_lshlrev_b32_e32 v1, 20, v31
	v_lshlrev_b32_e32 v2, 24, v29
	v_lshl_add_u32 v0, v0, 23, 0x3c000000
	v_and_b32_e32 v1, 0x700000, v1
	v_and_b32_e32 v2, 0x80000000, v2
	v_or3_b32 v0, v1, v2, v0
	buffer_store_dword v0, off, s[0:3], s32 offset:404 ; 4-byte Folded Spill
.LBB357_536:                            ;   in Loop: Header=BB357_15 Depth=1
	s_or_b32 exec_lo, exec_lo, s22
.LBB357_537:                            ;   in Loop: Header=BB357_15 Depth=1
	s_or_b32 exec_lo, exec_lo, s21
.LBB357_538:                            ;   in Loop: Header=BB357_15 Depth=1
	s_or_b32 exec_lo, exec_lo, s20
	v_cmp_ne_u16_sdwa s5, v29, v14 src0_sel:BYTE_1 src1_sel:DWORD
	s_and_saveexec_b32 s20, s5
	s_cbranch_execz .LBB357_546
; %bb.539:                              ;   in Loop: Header=BB357_15 Depth=1
	v_cmp_ne_u16_sdwa s5, v29, v43 src0_sel:BYTE_1 src1_sel:DWORD
	v_bfrev_b32_e32 v0, 1
	buffer_store_dword v0, off, s[0:3], s32 offset:408 ; 4-byte Folded Spill
	s_and_saveexec_b32 s21, s5
	s_cbranch_execz .LBB357_545
; %bb.540:                              ;   in Loop: Header=BB357_15 Depth=1
	v_mov_b32_e32 v0, 0xffff
	v_mov_b32_e32 v2, 0x7f800001
	s_mov_b32 s22, exec_lo
	v_and_b32_sdwa v0, v0, v29 dst_sel:DWORD dst_unused:UNUSED_PAD src0_sel:DWORD src1_sel:BYTE_1
	buffer_store_dword v2, off, s[0:3], s32 offset:408 ; 4-byte Folded Spill
	v_and_b32_e32 v1, 0x7f, v0
	v_cmpx_ne_u32_e32 0x7f, v1
	s_cbranch_execz .LBB357_544
; %bb.541:                              ;   in Loop: Header=BB357_15 Depth=1
	v_and_b32_e32 v13, 7, v0
	v_mov_b32_e32 v32, v14
	v_lshrrev_b32_e32 v0, 3, v1
	s_mov_b32 s23, exec_lo
	v_mov_b32_e32 v31, v13
	v_cmpx_gt_u32_e32 8, v1
; %bb.542:                              ;   in Loop: Header=BB357_15 Depth=1
	v_ffbh_u32_e32 v0, v13
	v_min_u32_e32 v0, 32, v0
	v_subrev_nc_u32_e32 v1, 28, v0
	v_sub_nc_u32_e32 v0, 29, v0
	v_lshlrev_b64 v[1:2], v1, v[13:14]
	v_and_b32_e32 v31, 7, v1
; %bb.543:                              ;   in Loop: Header=BB357_15 Depth=1
	s_or_b32 exec_lo, exec_lo, s23
	v_lshlrev_b32_e32 v1, 16, v29
	v_lshlrev_b32_e32 v2, 20, v31
	v_lshl_add_u32 v0, v0, 23, 0x3c000000
	v_and_b32_e32 v1, 0x80000000, v1
	v_or3_b32 v0, v2, v1, v0
	buffer_store_dword v0, off, s[0:3], s32 offset:408 ; 4-byte Folded Spill
.LBB357_544:                            ;   in Loop: Header=BB357_15 Depth=1
	s_or_b32 exec_lo, exec_lo, s22
.LBB357_545:                            ;   in Loop: Header=BB357_15 Depth=1
	s_or_b32 exec_lo, exec_lo, s21
.LBB357_546:                            ;   in Loop: Header=BB357_15 Depth=1
	s_or_b32 exec_lo, exec_lo, s20
	v_mov_b32_e32 v1, 0
	v_and_b32_sdwa v0, v29, v3 dst_sel:DWORD dst_unused:UNUSED_PAD src0_sel:WORD_1 src1_sel:DWORD
	s_mov_b32 s20, exec_lo
	buffer_store_dword v1, off, s[0:3], s32 offset:412 ; 4-byte Folded Spill
	v_mov_b32_e32 v1, 0
	buffer_store_dword v1, off, s[0:3], s32 offset:712 ; 4-byte Folded Spill
	v_cmpx_ne_u16_e32 0, v0
	s_cbranch_execz .LBB357_554
; %bb.547:                              ;   in Loop: Header=BB357_15 Depth=1
	v_cmp_ne_u16_e64 s5, 0x80, v0
	v_bfrev_b32_e32 v0, 1
	s_and_saveexec_b32 s21, s5
	s_cbranch_execz .LBB357_553
; %bb.548:                              ;   in Loop: Header=BB357_15 Depth=1
	v_bfe_u32 v1, v29, 16, 7
	v_mov_b32_e32 v0, 0x7f800001
	s_mov_b32 s22, exec_lo
	v_cmpx_ne_u32_e32 0x7f, v1
	s_cbranch_execz .LBB357_552
; %bb.549:                              ;   in Loop: Header=BB357_15 Depth=1
	v_mov_b32_e32 v0, 7
	s_mov_b32 s23, exec_lo
	v_and_b32_sdwa v13, v29, v0 dst_sel:DWORD dst_unused:UNUSED_PAD src0_sel:WORD_1 src1_sel:DWORD
	v_mov_b32_e32 v32, v14
	v_lshrrev_b32_e32 v0, 3, v1
	v_mov_b32_e32 v31, v13
	v_cmpx_gt_u32_e32 8, v1
; %bb.550:                              ;   in Loop: Header=BB357_15 Depth=1
	v_ffbh_u32_e32 v0, v13
	v_min_u32_e32 v0, 32, v0
	v_subrev_nc_u32_e32 v1, 28, v0
	v_sub_nc_u32_e32 v0, 29, v0
	v_lshlrev_b64 v[1:2], v1, v[13:14]
	v_and_b32_e32 v31, 7, v1
; %bb.551:                              ;   in Loop: Header=BB357_15 Depth=1
	s_or_b32 exec_lo, exec_lo, s23
	v_mov_b32_e32 v1, 24
	v_lshlrev_b32_e32 v2, 20, v31
	v_lshl_add_u32 v0, v0, 23, 0x3c000000
	v_lshlrev_b32_sdwa v1, v1, v29 dst_sel:DWORD dst_unused:UNUSED_PAD src0_sel:DWORD src1_sel:WORD_1
	v_and_b32_e32 v1, 0x80000000, v1
	v_or3_b32 v0, v2, v1, v0
.LBB357_552:                            ;   in Loop: Header=BB357_15 Depth=1
	s_or_b32 exec_lo, exec_lo, s22
.LBB357_553:                            ;   in Loop: Header=BB357_15 Depth=1
	s_or_b32 exec_lo, exec_lo, s21
	buffer_store_dword v0, off, s[0:3], s32 offset:712 ; 4-byte Folded Spill
.LBB357_554:                            ;   in Loop: Header=BB357_15 Depth=1
	s_or_b32 exec_lo, exec_lo, s20
	s_mov_b32 s20, exec_lo
	v_cmpx_lt_u32_e32 0xffffff, v29
	s_cbranch_execz .LBB357_562
; %bb.555:                              ;   in Loop: Header=BB357_15 Depth=1
	v_cmp_ne_u32_sdwa s5, v29, v43 src0_sel:BYTE_3 src1_sel:DWORD
	v_bfrev_b32_e32 v0, 1
	buffer_store_dword v0, off, s[0:3], s32 offset:412 ; 4-byte Folded Spill
	s_and_saveexec_b32 s21, s5
	s_cbranch_execz .LBB357_561
; %bb.556:                              ;   in Loop: Header=BB357_15 Depth=1
	v_bfe_u32 v1, v29, 24, 7
	v_mov_b32_e32 v0, 0x7f800001
	s_mov_b32 s22, exec_lo
	buffer_store_dword v0, off, s[0:3], s32 offset:412 ; 4-byte Folded Spill
	v_cmpx_ne_u32_e32 0x7f, v1
	s_cbranch_execz .LBB357_560
; %bb.557:                              ;   in Loop: Header=BB357_15 Depth=1
	v_mov_b32_e32 v0, 7
	s_mov_b32 s23, exec_lo
	v_and_b32_sdwa v13, v29, v0 dst_sel:DWORD dst_unused:UNUSED_PAD src0_sel:BYTE_3 src1_sel:DWORD
	v_mov_b32_e32 v32, v14
	v_lshrrev_b32_e32 v0, 3, v1
	v_mov_b32_e32 v31, v13
	v_cmpx_gt_u32_e32 8, v1
; %bb.558:                              ;   in Loop: Header=BB357_15 Depth=1
	v_ffbh_u32_e32 v0, v13
	v_min_u32_e32 v0, 32, v0
	v_subrev_nc_u32_e32 v1, 28, v0
	v_sub_nc_u32_e32 v0, 29, v0
	v_lshlrev_b64 v[1:2], v1, v[13:14]
	v_and_b32_e32 v31, 7, v1
; %bb.559:                              ;   in Loop: Header=BB357_15 Depth=1
	s_or_b32 exec_lo, exec_lo, s23
	v_mov_b32_e32 v1, 24
	v_lshlrev_b32_e32 v2, 20, v31
	v_lshl_add_u32 v0, v0, 23, 0x3c000000
	v_lshlrev_b32_sdwa v1, v1, v29 dst_sel:DWORD dst_unused:UNUSED_PAD src0_sel:DWORD src1_sel:BYTE_3
	v_and_b32_e32 v1, 0x80000000, v1
	v_or3_b32 v0, v2, v1, v0
	buffer_store_dword v0, off, s[0:3], s32 offset:412 ; 4-byte Folded Spill
.LBB357_560:                            ;   in Loop: Header=BB357_15 Depth=1
	s_or_b32 exec_lo, exec_lo, s22
.LBB357_561:                            ;   in Loop: Header=BB357_15 Depth=1
	s_or_b32 exec_lo, exec_lo, s21
.LBB357_562:                            ;   in Loop: Header=BB357_15 Depth=1
	s_or_b32 exec_lo, exec_lo, s20
	v_mov_b32_e32 v0, 0
	v_mov_b32_e32 v13, v30
	v_cmp_ne_u16_sdwa s5, v30, v14 src0_sel:BYTE_0 src1_sel:DWORD
	buffer_store_dword v0, off, s[0:3], s32 offset:420 ; 4-byte Folded Spill
	v_mov_b32_e32 v0, 0
	buffer_store_dword v0, off, s[0:3], s32 offset:416 ; 4-byte Folded Spill
	s_and_saveexec_b32 s20, s5
	s_cbranch_execz .LBB357_570
; %bb.563:                              ;   in Loop: Header=BB357_15 Depth=1
	v_cmp_ne_u16_sdwa s5, v30, v43 src0_sel:BYTE_0 src1_sel:DWORD
	v_bfrev_b32_e32 v0, 1
	buffer_store_dword v0, off, s[0:3], s32 offset:416 ; 4-byte Folded Spill
	s_and_saveexec_b32 s21, s5
	s_cbranch_execz .LBB357_569
; %bb.564:                              ;   in Loop: Header=BB357_15 Depth=1
	v_and_b32_e32 v1, 0x7f, v30
	v_mov_b32_e32 v0, 0x7f800001
	s_mov_b32 s22, exec_lo
	buffer_store_dword v0, off, s[0:3], s32 offset:416 ; 4-byte Folded Spill
	v_cmpx_ne_u32_e32 0x7f, v1
	s_cbranch_execz .LBB357_568
; %bb.565:                              ;   in Loop: Header=BB357_15 Depth=1
	v_mov_b32_e32 v32, v14
	v_lshrrev_b32_e32 v0, 3, v1
	v_mov_b32_e32 v31, v13
	s_mov_b32 s23, exec_lo
	v_cmpx_gt_u32_e32 8, v1
; %bb.566:                              ;   in Loop: Header=BB357_15 Depth=1
	v_and_b32_e32 v0, 7, v30
	v_ffbh_u32_e32 v0, v0
	v_min_u32_e32 v0, 32, v0
	v_subrev_nc_u32_e32 v1, 28, v0
	v_sub_nc_u32_e32 v0, 29, v0
	v_lshlrev_b64 v[31:32], v1, v[13:14]
; %bb.567:                              ;   in Loop: Header=BB357_15 Depth=1
	s_or_b32 exec_lo, exec_lo, s23
	v_lshlrev_b32_e32 v1, 20, v31
	v_lshlrev_b32_e32 v2, 24, v13
	v_lshl_add_u32 v0, v0, 23, 0x3c000000
	v_and_b32_e32 v1, 0x700000, v1
	v_and_b32_e32 v2, 0x80000000, v2
	v_or3_b32 v0, v1, v2, v0
	buffer_store_dword v0, off, s[0:3], s32 offset:416 ; 4-byte Folded Spill
.LBB357_568:                            ;   in Loop: Header=BB357_15 Depth=1
	s_or_b32 exec_lo, exec_lo, s22
.LBB357_569:                            ;   in Loop: Header=BB357_15 Depth=1
	s_or_b32 exec_lo, exec_lo, s21
.LBB357_570:                            ;   in Loop: Header=BB357_15 Depth=1
	s_or_b32 exec_lo, exec_lo, s20
	v_cmp_ne_u16_sdwa s5, v13, v14 src0_sel:BYTE_1 src1_sel:DWORD
	s_and_saveexec_b32 s20, s5
	s_cbranch_execz .LBB357_578
; %bb.571:                              ;   in Loop: Header=BB357_15 Depth=1
	v_cmp_ne_u16_sdwa s5, v13, v43 src0_sel:BYTE_1 src1_sel:DWORD
	v_bfrev_b32_e32 v0, 1
	buffer_store_dword v0, off, s[0:3], s32 offset:420 ; 4-byte Folded Spill
	s_and_saveexec_b32 s21, s5
	s_cbranch_execz .LBB357_577
; %bb.572:                              ;   in Loop: Header=BB357_15 Depth=1
	v_mov_b32_e32 v0, 0xffff
	v_mov_b32_e32 v2, 0x7f800001
	s_mov_b32 s22, exec_lo
	v_and_b32_sdwa v0, v0, v13 dst_sel:DWORD dst_unused:UNUSED_PAD src0_sel:DWORD src1_sel:BYTE_1
	buffer_store_dword v2, off, s[0:3], s32 offset:420 ; 4-byte Folded Spill
	v_and_b32_e32 v1, 0x7f, v0
	v_cmpx_ne_u32_e32 0x7f, v1
	s_cbranch_execz .LBB357_576
; %bb.573:                              ;   in Loop: Header=BB357_15 Depth=1
	v_and_b32_e32 v31, 7, v0
	v_mov_b32_e32 v32, v14
	v_lshrrev_b32_e32 v0, 3, v1
	s_mov_b32 s23, exec_lo
	v_cmpx_gt_u32_e32 8, v1
; %bb.574:                              ;   in Loop: Header=BB357_15 Depth=1
	v_ffbh_u32_e32 v0, v31
	v_min_u32_e32 v0, 32, v0
	v_subrev_nc_u32_e32 v1, 28, v0
	v_sub_nc_u32_e32 v0, 29, v0
	v_lshlrev_b64 v[1:2], v1, v[31:32]
	v_and_b32_e32 v31, 7, v1
; %bb.575:                              ;   in Loop: Header=BB357_15 Depth=1
	s_or_b32 exec_lo, exec_lo, s23
	v_lshlrev_b32_e32 v1, 16, v13
	v_lshlrev_b32_e32 v2, 20, v31
	v_lshl_add_u32 v0, v0, 23, 0x3c000000
	v_and_b32_e32 v1, 0x80000000, v1
	v_or3_b32 v0, v2, v1, v0
	buffer_store_dword v0, off, s[0:3], s32 offset:420 ; 4-byte Folded Spill
.LBB357_576:                            ;   in Loop: Header=BB357_15 Depth=1
	s_or_b32 exec_lo, exec_lo, s22
.LBB357_577:                            ;   in Loop: Header=BB357_15 Depth=1
	s_or_b32 exec_lo, exec_lo, s21
.LBB357_578:                            ;   in Loop: Header=BB357_15 Depth=1
	s_or_b32 exec_lo, exec_lo, s20
	v_mov_b32_e32 v1, 0
	v_and_b32_sdwa v0, v30, v3 dst_sel:DWORD dst_unused:UNUSED_PAD src0_sel:WORD_1 src1_sel:DWORD
	s_mov_b32 s20, exec_lo
	buffer_store_dword v1, off, s[0:3], s32 offset:424 ; 4-byte Folded Spill
	v_mov_b32_e32 v1, 0
	buffer_store_dword v1, off, s[0:3], s32 offset:720 ; 4-byte Folded Spill
	v_cmpx_ne_u16_e32 0, v0
	s_cbranch_execz .LBB357_586
; %bb.579:                              ;   in Loop: Header=BB357_15 Depth=1
	v_cmp_ne_u16_e64 s5, 0x80, v0
	v_bfrev_b32_e32 v0, 1
	s_and_saveexec_b32 s21, s5
	s_cbranch_execz .LBB357_585
; %bb.580:                              ;   in Loop: Header=BB357_15 Depth=1
	v_bfe_u32 v1, v30, 16, 7
	v_mov_b32_e32 v0, 0x7f800001
	s_mov_b32 s22, exec_lo
	v_cmpx_ne_u32_e32 0x7f, v1
	s_cbranch_execz .LBB357_584
; %bb.581:                              ;   in Loop: Header=BB357_15 Depth=1
	v_mov_b32_e32 v0, 7
	s_mov_b32 s23, exec_lo
	v_and_b32_sdwa v13, v30, v0 dst_sel:DWORD dst_unused:UNUSED_PAD src0_sel:WORD_1 src1_sel:DWORD
	v_mov_b32_e32 v32, v14
	v_lshrrev_b32_e32 v0, 3, v1
	v_mov_b32_e32 v31, v13
	v_cmpx_gt_u32_e32 8, v1
; %bb.582:                              ;   in Loop: Header=BB357_15 Depth=1
	v_ffbh_u32_e32 v0, v13
	v_min_u32_e32 v0, 32, v0
	v_subrev_nc_u32_e32 v1, 28, v0
	v_sub_nc_u32_e32 v0, 29, v0
	v_lshlrev_b64 v[1:2], v1, v[13:14]
	v_and_b32_e32 v31, 7, v1
; %bb.583:                              ;   in Loop: Header=BB357_15 Depth=1
	s_or_b32 exec_lo, exec_lo, s23
	v_mov_b32_e32 v1, 24
	v_lshlrev_b32_e32 v2, 20, v31
	v_lshl_add_u32 v0, v0, 23, 0x3c000000
	v_lshlrev_b32_sdwa v1, v1, v30 dst_sel:DWORD dst_unused:UNUSED_PAD src0_sel:DWORD src1_sel:WORD_1
	v_and_b32_e32 v1, 0x80000000, v1
	v_or3_b32 v0, v2, v1, v0
.LBB357_584:                            ;   in Loop: Header=BB357_15 Depth=1
	s_or_b32 exec_lo, exec_lo, s22
.LBB357_585:                            ;   in Loop: Header=BB357_15 Depth=1
	s_or_b32 exec_lo, exec_lo, s21
	buffer_store_dword v0, off, s[0:3], s32 offset:720 ; 4-byte Folded Spill
.LBB357_586:                            ;   in Loop: Header=BB357_15 Depth=1
	s_or_b32 exec_lo, exec_lo, s20
	s_mov_b32 s20, exec_lo
	v_cmpx_lt_u64_e64 s[12:13], v[29:30]
	s_cbranch_execz .LBB357_594
; %bb.587:                              ;   in Loop: Header=BB357_15 Depth=1
	v_cmp_ne_u32_sdwa s5, v30, v43 src0_sel:BYTE_3 src1_sel:DWORD
	v_bfrev_b32_e32 v0, 1
	buffer_store_dword v0, off, s[0:3], s32 offset:424 ; 4-byte Folded Spill
	s_and_saveexec_b32 s21, s5
	s_cbranch_execz .LBB357_593
; %bb.588:                              ;   in Loop: Header=BB357_15 Depth=1
	v_bfe_u32 v1, v30, 24, 7
	v_mov_b32_e32 v0, 0x7f800001
	s_mov_b32 s22, exec_lo
	buffer_store_dword v0, off, s[0:3], s32 offset:424 ; 4-byte Folded Spill
	v_cmpx_ne_u32_e32 0x7f, v1
	s_cbranch_execz .LBB357_592
; %bb.589:                              ;   in Loop: Header=BB357_15 Depth=1
	v_mov_b32_e32 v0, 7
	s_mov_b32 s23, exec_lo
	v_and_b32_sdwa v13, v30, v0 dst_sel:DWORD dst_unused:UNUSED_PAD src0_sel:BYTE_3 src1_sel:DWORD
	v_mov_b32_e32 v32, v14
	v_lshrrev_b32_e32 v0, 3, v1
	v_mov_b32_e32 v31, v13
	v_cmpx_gt_u32_e32 8, v1
; %bb.590:                              ;   in Loop: Header=BB357_15 Depth=1
	v_ffbh_u32_e32 v0, v13
	v_min_u32_e32 v0, 32, v0
	v_subrev_nc_u32_e32 v1, 28, v0
	v_sub_nc_u32_e32 v0, 29, v0
	v_lshlrev_b64 v[1:2], v1, v[13:14]
	v_and_b32_e32 v31, 7, v1
; %bb.591:                              ;   in Loop: Header=BB357_15 Depth=1
	s_or_b32 exec_lo, exec_lo, s23
	v_mov_b32_e32 v1, 24
	v_lshlrev_b32_e32 v2, 20, v31
	v_lshl_add_u32 v0, v0, 23, 0x3c000000
	v_lshlrev_b32_sdwa v1, v1, v30 dst_sel:DWORD dst_unused:UNUSED_PAD src0_sel:DWORD src1_sel:BYTE_3
	v_and_b32_e32 v1, 0x80000000, v1
	v_or3_b32 v0, v2, v1, v0
	buffer_store_dword v0, off, s[0:3], s32 offset:424 ; 4-byte Folded Spill
.LBB357_592:                            ;   in Loop: Header=BB357_15 Depth=1
	s_or_b32 exec_lo, exec_lo, s22
.LBB357_593:                            ;   in Loop: Header=BB357_15 Depth=1
	s_or_b32 exec_lo, exec_lo, s21
.LBB357_594:                            ;   in Loop: Header=BB357_15 Depth=1
	s_or_b32 exec_lo, exec_lo, s20
	flat_load_dwordx2 v[29:30], v[27:28] offset:8
	v_mov_b32_e32 v0, 0
	buffer_store_dword v0, off, s[0:3], s32 offset:432 ; 4-byte Folded Spill
	v_mov_b32_e32 v0, 0
	buffer_store_dword v0, off, s[0:3], s32 offset:428 ; 4-byte Folded Spill
	s_waitcnt vmcnt(0) lgkmcnt(0)
	v_cmp_ne_u16_sdwa s5, v29, v14 src0_sel:BYTE_0 src1_sel:DWORD
	s_and_saveexec_b32 s20, s5
	s_cbranch_execz .LBB357_602
; %bb.595:                              ;   in Loop: Header=BB357_15 Depth=1
	v_cmp_ne_u16_sdwa s5, v29, v43 src0_sel:BYTE_0 src1_sel:DWORD
	v_bfrev_b32_e32 v0, 1
	buffer_store_dword v0, off, s[0:3], s32 offset:428 ; 4-byte Folded Spill
	s_and_saveexec_b32 s21, s5
	s_cbranch_execz .LBB357_601
; %bb.596:                              ;   in Loop: Header=BB357_15 Depth=1
	v_and_b32_e32 v1, 0x7f, v29
	v_mov_b32_e32 v0, 0x7f800001
	s_mov_b32 s22, exec_lo
	buffer_store_dword v0, off, s[0:3], s32 offset:428 ; 4-byte Folded Spill
	v_cmpx_ne_u32_e32 0x7f, v1
	s_cbranch_execz .LBB357_600
; %bb.597:                              ;   in Loop: Header=BB357_15 Depth=1
	v_mov_b32_e32 v32, v30
	v_lshrrev_b32_e32 v0, 3, v1
	v_mov_b32_e32 v31, v29
	s_mov_b32 s23, exec_lo
	v_cmpx_gt_u32_e32 8, v1
; %bb.598:                              ;   in Loop: Header=BB357_15 Depth=1
	v_and_b32_e32 v0, 7, v29
	v_ffbh_u32_e32 v0, v0
	v_min_u32_e32 v0, 32, v0
	v_subrev_nc_u32_e32 v1, 28, v0
	v_sub_nc_u32_e32 v0, 29, v0
	v_lshlrev_b64 v[31:32], v1, v[29:30]
; %bb.599:                              ;   in Loop: Header=BB357_15 Depth=1
	s_or_b32 exec_lo, exec_lo, s23
	v_lshlrev_b32_e32 v1, 20, v31
	v_lshlrev_b32_e32 v2, 24, v29
	v_lshl_add_u32 v0, v0, 23, 0x3c000000
	v_and_b32_e32 v1, 0x700000, v1
	v_and_b32_e32 v2, 0x80000000, v2
	v_or3_b32 v0, v1, v2, v0
	buffer_store_dword v0, off, s[0:3], s32 offset:428 ; 4-byte Folded Spill
.LBB357_600:                            ;   in Loop: Header=BB357_15 Depth=1
	s_or_b32 exec_lo, exec_lo, s22
.LBB357_601:                            ;   in Loop: Header=BB357_15 Depth=1
	s_or_b32 exec_lo, exec_lo, s21
.LBB357_602:                            ;   in Loop: Header=BB357_15 Depth=1
	s_or_b32 exec_lo, exec_lo, s20
	v_cmp_ne_u16_sdwa s5, v29, v14 src0_sel:BYTE_1 src1_sel:DWORD
	s_and_saveexec_b32 s20, s5
	s_cbranch_execz .LBB357_610
; %bb.603:                              ;   in Loop: Header=BB357_15 Depth=1
	v_cmp_ne_u16_sdwa s5, v29, v43 src0_sel:BYTE_1 src1_sel:DWORD
	v_bfrev_b32_e32 v0, 1
	buffer_store_dword v0, off, s[0:3], s32 offset:432 ; 4-byte Folded Spill
	s_and_saveexec_b32 s21, s5
	s_cbranch_execz .LBB357_609
; %bb.604:                              ;   in Loop: Header=BB357_15 Depth=1
	v_mov_b32_e32 v0, 0xffff
	v_mov_b32_e32 v2, 0x7f800001
	s_mov_b32 s22, exec_lo
	v_and_b32_sdwa v0, v0, v29 dst_sel:DWORD dst_unused:UNUSED_PAD src0_sel:DWORD src1_sel:BYTE_1
	buffer_store_dword v2, off, s[0:3], s32 offset:432 ; 4-byte Folded Spill
	v_and_b32_e32 v1, 0x7f, v0
	v_cmpx_ne_u32_e32 0x7f, v1
	s_cbranch_execz .LBB357_608
; %bb.605:                              ;   in Loop: Header=BB357_15 Depth=1
	v_and_b32_e32 v13, 7, v0
	v_mov_b32_e32 v32, v14
	v_lshrrev_b32_e32 v0, 3, v1
	s_mov_b32 s23, exec_lo
	v_mov_b32_e32 v31, v13
	v_cmpx_gt_u32_e32 8, v1
; %bb.606:                              ;   in Loop: Header=BB357_15 Depth=1
	v_ffbh_u32_e32 v0, v13
	v_min_u32_e32 v0, 32, v0
	v_subrev_nc_u32_e32 v1, 28, v0
	v_sub_nc_u32_e32 v0, 29, v0
	v_lshlrev_b64 v[1:2], v1, v[13:14]
	v_and_b32_e32 v31, 7, v1
; %bb.607:                              ;   in Loop: Header=BB357_15 Depth=1
	s_or_b32 exec_lo, exec_lo, s23
	v_lshlrev_b32_e32 v1, 16, v29
	v_lshlrev_b32_e32 v2, 20, v31
	v_lshl_add_u32 v0, v0, 23, 0x3c000000
	v_and_b32_e32 v1, 0x80000000, v1
	v_or3_b32 v0, v2, v1, v0
	buffer_store_dword v0, off, s[0:3], s32 offset:432 ; 4-byte Folded Spill
.LBB357_608:                            ;   in Loop: Header=BB357_15 Depth=1
	s_or_b32 exec_lo, exec_lo, s22
.LBB357_609:                            ;   in Loop: Header=BB357_15 Depth=1
	s_or_b32 exec_lo, exec_lo, s21
.LBB357_610:                            ;   in Loop: Header=BB357_15 Depth=1
	s_or_b32 exec_lo, exec_lo, s20
	v_mov_b32_e32 v1, 0
	v_and_b32_sdwa v0, v29, v3 dst_sel:DWORD dst_unused:UNUSED_PAD src0_sel:WORD_1 src1_sel:DWORD
	s_mov_b32 s20, exec_lo
	buffer_store_dword v1, off, s[0:3], s32 offset:436 ; 4-byte Folded Spill
	v_mov_b32_e32 v1, 0
	buffer_store_dword v1, off, s[0:3], s32 offset:724 ; 4-byte Folded Spill
	v_cmpx_ne_u16_e32 0, v0
	s_cbranch_execz .LBB357_618
; %bb.611:                              ;   in Loop: Header=BB357_15 Depth=1
	v_cmp_ne_u16_e64 s5, 0x80, v0
	v_bfrev_b32_e32 v0, 1
	s_and_saveexec_b32 s21, s5
	s_cbranch_execz .LBB357_617
; %bb.612:                              ;   in Loop: Header=BB357_15 Depth=1
	v_bfe_u32 v1, v29, 16, 7
	v_mov_b32_e32 v0, 0x7f800001
	s_mov_b32 s22, exec_lo
	v_cmpx_ne_u32_e32 0x7f, v1
	s_cbranch_execz .LBB357_616
; %bb.613:                              ;   in Loop: Header=BB357_15 Depth=1
	v_mov_b32_e32 v0, 7
	s_mov_b32 s23, exec_lo
	v_and_b32_sdwa v13, v29, v0 dst_sel:DWORD dst_unused:UNUSED_PAD src0_sel:WORD_1 src1_sel:DWORD
	v_mov_b32_e32 v32, v14
	v_lshrrev_b32_e32 v0, 3, v1
	v_mov_b32_e32 v31, v13
	v_cmpx_gt_u32_e32 8, v1
; %bb.614:                              ;   in Loop: Header=BB357_15 Depth=1
	v_ffbh_u32_e32 v0, v13
	v_min_u32_e32 v0, 32, v0
	v_subrev_nc_u32_e32 v1, 28, v0
	v_sub_nc_u32_e32 v0, 29, v0
	v_lshlrev_b64 v[1:2], v1, v[13:14]
	v_and_b32_e32 v31, 7, v1
; %bb.615:                              ;   in Loop: Header=BB357_15 Depth=1
	s_or_b32 exec_lo, exec_lo, s23
	v_mov_b32_e32 v1, 24
	v_lshlrev_b32_e32 v2, 20, v31
	v_lshl_add_u32 v0, v0, 23, 0x3c000000
	v_lshlrev_b32_sdwa v1, v1, v29 dst_sel:DWORD dst_unused:UNUSED_PAD src0_sel:DWORD src1_sel:WORD_1
	v_and_b32_e32 v1, 0x80000000, v1
	v_or3_b32 v0, v2, v1, v0
.LBB357_616:                            ;   in Loop: Header=BB357_15 Depth=1
	s_or_b32 exec_lo, exec_lo, s22
.LBB357_617:                            ;   in Loop: Header=BB357_15 Depth=1
	s_or_b32 exec_lo, exec_lo, s21
	buffer_store_dword v0, off, s[0:3], s32 offset:724 ; 4-byte Folded Spill
.LBB357_618:                            ;   in Loop: Header=BB357_15 Depth=1
	s_or_b32 exec_lo, exec_lo, s20
	s_mov_b32 s20, exec_lo
	v_cmpx_lt_u32_e32 0xffffff, v29
	s_cbranch_execz .LBB357_626
; %bb.619:                              ;   in Loop: Header=BB357_15 Depth=1
	v_cmp_ne_u32_sdwa s5, v29, v43 src0_sel:BYTE_3 src1_sel:DWORD
	v_bfrev_b32_e32 v0, 1
	buffer_store_dword v0, off, s[0:3], s32 offset:436 ; 4-byte Folded Spill
	s_and_saveexec_b32 s21, s5
	s_cbranch_execz .LBB357_625
; %bb.620:                              ;   in Loop: Header=BB357_15 Depth=1
	v_bfe_u32 v1, v29, 24, 7
	v_mov_b32_e32 v0, 0x7f800001
	s_mov_b32 s22, exec_lo
	buffer_store_dword v0, off, s[0:3], s32 offset:436 ; 4-byte Folded Spill
	v_cmpx_ne_u32_e32 0x7f, v1
	s_cbranch_execz .LBB357_624
; %bb.621:                              ;   in Loop: Header=BB357_15 Depth=1
	v_mov_b32_e32 v0, 7
	s_mov_b32 s23, exec_lo
	v_and_b32_sdwa v13, v29, v0 dst_sel:DWORD dst_unused:UNUSED_PAD src0_sel:BYTE_3 src1_sel:DWORD
	v_mov_b32_e32 v32, v14
	v_lshrrev_b32_e32 v0, 3, v1
	v_mov_b32_e32 v31, v13
	v_cmpx_gt_u32_e32 8, v1
; %bb.622:                              ;   in Loop: Header=BB357_15 Depth=1
	v_ffbh_u32_e32 v0, v13
	v_min_u32_e32 v0, 32, v0
	v_subrev_nc_u32_e32 v1, 28, v0
	v_sub_nc_u32_e32 v0, 29, v0
	v_lshlrev_b64 v[1:2], v1, v[13:14]
	v_and_b32_e32 v31, 7, v1
; %bb.623:                              ;   in Loop: Header=BB357_15 Depth=1
	s_or_b32 exec_lo, exec_lo, s23
	v_mov_b32_e32 v1, 24
	v_lshlrev_b32_e32 v2, 20, v31
	v_lshl_add_u32 v0, v0, 23, 0x3c000000
	v_lshlrev_b32_sdwa v1, v1, v29 dst_sel:DWORD dst_unused:UNUSED_PAD src0_sel:DWORD src1_sel:BYTE_3
	v_and_b32_e32 v1, 0x80000000, v1
	v_or3_b32 v0, v2, v1, v0
	buffer_store_dword v0, off, s[0:3], s32 offset:436 ; 4-byte Folded Spill
.LBB357_624:                            ;   in Loop: Header=BB357_15 Depth=1
	s_or_b32 exec_lo, exec_lo, s22
.LBB357_625:                            ;   in Loop: Header=BB357_15 Depth=1
	s_or_b32 exec_lo, exec_lo, s21
.LBB357_626:                            ;   in Loop: Header=BB357_15 Depth=1
	s_or_b32 exec_lo, exec_lo, s20
	v_mov_b32_e32 v0, 0
	v_mov_b32_e32 v13, v30
	v_cmp_ne_u16_sdwa s5, v30, v14 src0_sel:BYTE_0 src1_sel:DWORD
	buffer_store_dword v0, off, s[0:3], s32 offset:444 ; 4-byte Folded Spill
	v_mov_b32_e32 v0, 0
	buffer_store_dword v0, off, s[0:3], s32 offset:440 ; 4-byte Folded Spill
	s_and_saveexec_b32 s20, s5
	s_cbranch_execz .LBB357_634
; %bb.627:                              ;   in Loop: Header=BB357_15 Depth=1
	v_cmp_ne_u16_sdwa s5, v30, v43 src0_sel:BYTE_0 src1_sel:DWORD
	v_bfrev_b32_e32 v0, 1
	buffer_store_dword v0, off, s[0:3], s32 offset:440 ; 4-byte Folded Spill
	s_and_saveexec_b32 s21, s5
	s_cbranch_execz .LBB357_633
; %bb.628:                              ;   in Loop: Header=BB357_15 Depth=1
	v_and_b32_e32 v1, 0x7f, v30
	v_mov_b32_e32 v0, 0x7f800001
	s_mov_b32 s22, exec_lo
	buffer_store_dword v0, off, s[0:3], s32 offset:440 ; 4-byte Folded Spill
	v_cmpx_ne_u32_e32 0x7f, v1
	s_cbranch_execz .LBB357_632
; %bb.629:                              ;   in Loop: Header=BB357_15 Depth=1
	v_mov_b32_e32 v32, v14
	v_lshrrev_b32_e32 v0, 3, v1
	v_mov_b32_e32 v31, v13
	s_mov_b32 s23, exec_lo
	v_cmpx_gt_u32_e32 8, v1
; %bb.630:                              ;   in Loop: Header=BB357_15 Depth=1
	v_and_b32_e32 v0, 7, v30
	v_ffbh_u32_e32 v0, v0
	v_min_u32_e32 v0, 32, v0
	v_subrev_nc_u32_e32 v1, 28, v0
	v_sub_nc_u32_e32 v0, 29, v0
	v_lshlrev_b64 v[31:32], v1, v[13:14]
; %bb.631:                              ;   in Loop: Header=BB357_15 Depth=1
	s_or_b32 exec_lo, exec_lo, s23
	v_lshlrev_b32_e32 v1, 20, v31
	v_lshlrev_b32_e32 v2, 24, v13
	v_lshl_add_u32 v0, v0, 23, 0x3c000000
	v_and_b32_e32 v1, 0x700000, v1
	v_and_b32_e32 v2, 0x80000000, v2
	v_or3_b32 v0, v1, v2, v0
	buffer_store_dword v0, off, s[0:3], s32 offset:440 ; 4-byte Folded Spill
.LBB357_632:                            ;   in Loop: Header=BB357_15 Depth=1
	s_or_b32 exec_lo, exec_lo, s22
.LBB357_633:                            ;   in Loop: Header=BB357_15 Depth=1
	s_or_b32 exec_lo, exec_lo, s21
.LBB357_634:                            ;   in Loop: Header=BB357_15 Depth=1
	s_or_b32 exec_lo, exec_lo, s20
	v_cmp_ne_u16_sdwa s5, v13, v14 src0_sel:BYTE_1 src1_sel:DWORD
	s_and_saveexec_b32 s20, s5
	s_cbranch_execz .LBB357_642
; %bb.635:                              ;   in Loop: Header=BB357_15 Depth=1
	v_cmp_ne_u16_sdwa s5, v13, v43 src0_sel:BYTE_1 src1_sel:DWORD
	v_bfrev_b32_e32 v0, 1
	buffer_store_dword v0, off, s[0:3], s32 offset:444 ; 4-byte Folded Spill
	s_and_saveexec_b32 s21, s5
	s_cbranch_execz .LBB357_641
; %bb.636:                              ;   in Loop: Header=BB357_15 Depth=1
	v_mov_b32_e32 v0, 0xffff
	v_mov_b32_e32 v2, 0x7f800001
	s_mov_b32 s22, exec_lo
	v_and_b32_sdwa v0, v0, v13 dst_sel:DWORD dst_unused:UNUSED_PAD src0_sel:DWORD src1_sel:BYTE_1
	buffer_store_dword v2, off, s[0:3], s32 offset:444 ; 4-byte Folded Spill
	v_and_b32_e32 v1, 0x7f, v0
	v_cmpx_ne_u32_e32 0x7f, v1
	s_cbranch_execz .LBB357_640
; %bb.637:                              ;   in Loop: Header=BB357_15 Depth=1
	v_and_b32_e32 v31, 7, v0
	v_mov_b32_e32 v32, v14
	v_lshrrev_b32_e32 v0, 3, v1
	s_mov_b32 s23, exec_lo
	v_cmpx_gt_u32_e32 8, v1
; %bb.638:                              ;   in Loop: Header=BB357_15 Depth=1
	v_ffbh_u32_e32 v0, v31
	v_min_u32_e32 v0, 32, v0
	v_subrev_nc_u32_e32 v1, 28, v0
	v_sub_nc_u32_e32 v0, 29, v0
	v_lshlrev_b64 v[1:2], v1, v[31:32]
	v_and_b32_e32 v31, 7, v1
; %bb.639:                              ;   in Loop: Header=BB357_15 Depth=1
	s_or_b32 exec_lo, exec_lo, s23
	v_lshlrev_b32_e32 v1, 16, v13
	v_lshlrev_b32_e32 v2, 20, v31
	v_lshl_add_u32 v0, v0, 23, 0x3c000000
	v_and_b32_e32 v1, 0x80000000, v1
	v_or3_b32 v0, v2, v1, v0
	buffer_store_dword v0, off, s[0:3], s32 offset:444 ; 4-byte Folded Spill
.LBB357_640:                            ;   in Loop: Header=BB357_15 Depth=1
	s_or_b32 exec_lo, exec_lo, s22
.LBB357_641:                            ;   in Loop: Header=BB357_15 Depth=1
	s_or_b32 exec_lo, exec_lo, s21
.LBB357_642:                            ;   in Loop: Header=BB357_15 Depth=1
	s_or_b32 exec_lo, exec_lo, s20
	v_mov_b32_e32 v1, 0
	v_and_b32_sdwa v0, v30, v3 dst_sel:DWORD dst_unused:UNUSED_PAD src0_sel:WORD_1 src1_sel:DWORD
	s_mov_b32 s20, exec_lo
	buffer_store_dword v1, off, s[0:3], s32 offset:448 ; 4-byte Folded Spill
	v_mov_b32_e32 v1, 0
	buffer_store_dword v1, off, s[0:3], s32 offset:728 ; 4-byte Folded Spill
	v_cmpx_ne_u16_e32 0, v0
	s_cbranch_execz .LBB357_650
; %bb.643:                              ;   in Loop: Header=BB357_15 Depth=1
	v_cmp_ne_u16_e64 s5, 0x80, v0
	v_bfrev_b32_e32 v0, 1
	s_and_saveexec_b32 s21, s5
	s_cbranch_execz .LBB357_649
; %bb.644:                              ;   in Loop: Header=BB357_15 Depth=1
	v_bfe_u32 v1, v30, 16, 7
	v_mov_b32_e32 v0, 0x7f800001
	s_mov_b32 s22, exec_lo
	v_cmpx_ne_u32_e32 0x7f, v1
	s_cbranch_execz .LBB357_648
; %bb.645:                              ;   in Loop: Header=BB357_15 Depth=1
	v_mov_b32_e32 v0, 7
	s_mov_b32 s23, exec_lo
	v_and_b32_sdwa v13, v30, v0 dst_sel:DWORD dst_unused:UNUSED_PAD src0_sel:WORD_1 src1_sel:DWORD
	v_mov_b32_e32 v32, v14
	v_lshrrev_b32_e32 v0, 3, v1
	v_mov_b32_e32 v31, v13
	v_cmpx_gt_u32_e32 8, v1
; %bb.646:                              ;   in Loop: Header=BB357_15 Depth=1
	v_ffbh_u32_e32 v0, v13
	v_min_u32_e32 v0, 32, v0
	v_subrev_nc_u32_e32 v1, 28, v0
	v_sub_nc_u32_e32 v0, 29, v0
	v_lshlrev_b64 v[1:2], v1, v[13:14]
	v_and_b32_e32 v31, 7, v1
; %bb.647:                              ;   in Loop: Header=BB357_15 Depth=1
	s_or_b32 exec_lo, exec_lo, s23
	v_mov_b32_e32 v1, 24
	v_lshlrev_b32_e32 v2, 20, v31
	v_lshl_add_u32 v0, v0, 23, 0x3c000000
	v_lshlrev_b32_sdwa v1, v1, v30 dst_sel:DWORD dst_unused:UNUSED_PAD src0_sel:DWORD src1_sel:WORD_1
	v_and_b32_e32 v1, 0x80000000, v1
	v_or3_b32 v0, v2, v1, v0
.LBB357_648:                            ;   in Loop: Header=BB357_15 Depth=1
	s_or_b32 exec_lo, exec_lo, s22
.LBB357_649:                            ;   in Loop: Header=BB357_15 Depth=1
	s_or_b32 exec_lo, exec_lo, s21
	buffer_store_dword v0, off, s[0:3], s32 offset:728 ; 4-byte Folded Spill
.LBB357_650:                            ;   in Loop: Header=BB357_15 Depth=1
	s_or_b32 exec_lo, exec_lo, s20
	s_mov_b32 s20, exec_lo
	v_cmpx_lt_u64_e64 s[12:13], v[29:30]
	s_cbranch_execz .LBB357_658
; %bb.651:                              ;   in Loop: Header=BB357_15 Depth=1
	v_cmp_ne_u32_sdwa s5, v30, v43 src0_sel:BYTE_3 src1_sel:DWORD
	v_bfrev_b32_e32 v0, 1
	buffer_store_dword v0, off, s[0:3], s32 offset:448 ; 4-byte Folded Spill
	s_and_saveexec_b32 s21, s5
	s_cbranch_execz .LBB357_657
; %bb.652:                              ;   in Loop: Header=BB357_15 Depth=1
	v_bfe_u32 v1, v30, 24, 7
	v_mov_b32_e32 v0, 0x7f800001
	s_mov_b32 s22, exec_lo
	buffer_store_dword v0, off, s[0:3], s32 offset:448 ; 4-byte Folded Spill
	v_cmpx_ne_u32_e32 0x7f, v1
	s_cbranch_execz .LBB357_656
; %bb.653:                              ;   in Loop: Header=BB357_15 Depth=1
	v_mov_b32_e32 v0, 7
	s_mov_b32 s23, exec_lo
	v_and_b32_sdwa v13, v30, v0 dst_sel:DWORD dst_unused:UNUSED_PAD src0_sel:BYTE_3 src1_sel:DWORD
	v_mov_b32_e32 v32, v14
	v_lshrrev_b32_e32 v0, 3, v1
	v_mov_b32_e32 v31, v13
	v_cmpx_gt_u32_e32 8, v1
; %bb.654:                              ;   in Loop: Header=BB357_15 Depth=1
	v_ffbh_u32_e32 v0, v13
	v_min_u32_e32 v0, 32, v0
	v_subrev_nc_u32_e32 v1, 28, v0
	v_sub_nc_u32_e32 v0, 29, v0
	v_lshlrev_b64 v[1:2], v1, v[13:14]
	v_and_b32_e32 v31, 7, v1
; %bb.655:                              ;   in Loop: Header=BB357_15 Depth=1
	s_or_b32 exec_lo, exec_lo, s23
	v_mov_b32_e32 v1, 24
	v_lshlrev_b32_e32 v2, 20, v31
	v_lshl_add_u32 v0, v0, 23, 0x3c000000
	v_lshlrev_b32_sdwa v1, v1, v30 dst_sel:DWORD dst_unused:UNUSED_PAD src0_sel:DWORD src1_sel:BYTE_3
	v_and_b32_e32 v1, 0x80000000, v1
	v_or3_b32 v0, v2, v1, v0
	buffer_store_dword v0, off, s[0:3], s32 offset:448 ; 4-byte Folded Spill
.LBB357_656:                            ;   in Loop: Header=BB357_15 Depth=1
	s_or_b32 exec_lo, exec_lo, s22
.LBB357_657:                            ;   in Loop: Header=BB357_15 Depth=1
	s_or_b32 exec_lo, exec_lo, s21
.LBB357_658:                            ;   in Loop: Header=BB357_15 Depth=1
	s_or_b32 exec_lo, exec_lo, s20
	flat_load_dwordx2 v[29:30], v[27:28] offset:512
	v_mov_b32_e32 v0, 0
	buffer_store_dword v0, off, s[0:3], s32 offset:456 ; 4-byte Folded Spill
	v_mov_b32_e32 v0, 0
	buffer_store_dword v0, off, s[0:3], s32 offset:452 ; 4-byte Folded Spill
	s_waitcnt vmcnt(0) lgkmcnt(0)
	v_cmp_ne_u16_sdwa s5, v29, v14 src0_sel:BYTE_0 src1_sel:DWORD
	s_and_saveexec_b32 s20, s5
	s_cbranch_execz .LBB357_666
; %bb.659:                              ;   in Loop: Header=BB357_15 Depth=1
	v_cmp_ne_u16_sdwa s5, v29, v43 src0_sel:BYTE_0 src1_sel:DWORD
	v_bfrev_b32_e32 v0, 1
	buffer_store_dword v0, off, s[0:3], s32 offset:452 ; 4-byte Folded Spill
	s_and_saveexec_b32 s21, s5
	s_cbranch_execz .LBB357_665
; %bb.660:                              ;   in Loop: Header=BB357_15 Depth=1
	v_and_b32_e32 v1, 0x7f, v29
	v_mov_b32_e32 v0, 0x7f800001
	s_mov_b32 s22, exec_lo
	buffer_store_dword v0, off, s[0:3], s32 offset:452 ; 4-byte Folded Spill
	v_cmpx_ne_u32_e32 0x7f, v1
	s_cbranch_execz .LBB357_664
; %bb.661:                              ;   in Loop: Header=BB357_15 Depth=1
	v_mov_b32_e32 v32, v30
	v_lshrrev_b32_e32 v0, 3, v1
	v_mov_b32_e32 v31, v29
	s_mov_b32 s23, exec_lo
	v_cmpx_gt_u32_e32 8, v1
; %bb.662:                              ;   in Loop: Header=BB357_15 Depth=1
	v_and_b32_e32 v0, 7, v29
	v_ffbh_u32_e32 v0, v0
	v_min_u32_e32 v0, 32, v0
	v_subrev_nc_u32_e32 v1, 28, v0
	v_sub_nc_u32_e32 v0, 29, v0
	v_lshlrev_b64 v[31:32], v1, v[29:30]
; %bb.663:                              ;   in Loop: Header=BB357_15 Depth=1
	s_or_b32 exec_lo, exec_lo, s23
	v_lshlrev_b32_e32 v1, 20, v31
	v_lshlrev_b32_e32 v2, 24, v29
	v_lshl_add_u32 v0, v0, 23, 0x3c000000
	v_and_b32_e32 v1, 0x700000, v1
	v_and_b32_e32 v2, 0x80000000, v2
	v_or3_b32 v0, v1, v2, v0
	buffer_store_dword v0, off, s[0:3], s32 offset:452 ; 4-byte Folded Spill
.LBB357_664:                            ;   in Loop: Header=BB357_15 Depth=1
	s_or_b32 exec_lo, exec_lo, s22
.LBB357_665:                            ;   in Loop: Header=BB357_15 Depth=1
	s_or_b32 exec_lo, exec_lo, s21
.LBB357_666:                            ;   in Loop: Header=BB357_15 Depth=1
	s_or_b32 exec_lo, exec_lo, s20
	v_cmp_ne_u16_sdwa s5, v29, v14 src0_sel:BYTE_1 src1_sel:DWORD
	s_and_saveexec_b32 s20, s5
	s_cbranch_execz .LBB357_674
; %bb.667:                              ;   in Loop: Header=BB357_15 Depth=1
	v_cmp_ne_u16_sdwa s5, v29, v43 src0_sel:BYTE_1 src1_sel:DWORD
	v_bfrev_b32_e32 v0, 1
	buffer_store_dword v0, off, s[0:3], s32 offset:456 ; 4-byte Folded Spill
	s_and_saveexec_b32 s21, s5
	s_cbranch_execz .LBB357_673
; %bb.668:                              ;   in Loop: Header=BB357_15 Depth=1
	v_mov_b32_e32 v0, 0xffff
	v_mov_b32_e32 v2, 0x7f800001
	s_mov_b32 s22, exec_lo
	v_and_b32_sdwa v0, v0, v29 dst_sel:DWORD dst_unused:UNUSED_PAD src0_sel:DWORD src1_sel:BYTE_1
	buffer_store_dword v2, off, s[0:3], s32 offset:456 ; 4-byte Folded Spill
	v_and_b32_e32 v1, 0x7f, v0
	v_cmpx_ne_u32_e32 0x7f, v1
	s_cbranch_execz .LBB357_672
; %bb.669:                              ;   in Loop: Header=BB357_15 Depth=1
	v_and_b32_e32 v13, 7, v0
	v_mov_b32_e32 v32, v14
	v_lshrrev_b32_e32 v0, 3, v1
	s_mov_b32 s23, exec_lo
	v_mov_b32_e32 v31, v13
	v_cmpx_gt_u32_e32 8, v1
; %bb.670:                              ;   in Loop: Header=BB357_15 Depth=1
	v_ffbh_u32_e32 v0, v13
	v_min_u32_e32 v0, 32, v0
	v_subrev_nc_u32_e32 v1, 28, v0
	v_sub_nc_u32_e32 v0, 29, v0
	v_lshlrev_b64 v[1:2], v1, v[13:14]
	v_and_b32_e32 v31, 7, v1
; %bb.671:                              ;   in Loop: Header=BB357_15 Depth=1
	s_or_b32 exec_lo, exec_lo, s23
	v_lshlrev_b32_e32 v1, 16, v29
	v_lshlrev_b32_e32 v2, 20, v31
	v_lshl_add_u32 v0, v0, 23, 0x3c000000
	v_and_b32_e32 v1, 0x80000000, v1
	v_or3_b32 v0, v2, v1, v0
	buffer_store_dword v0, off, s[0:3], s32 offset:456 ; 4-byte Folded Spill
.LBB357_672:                            ;   in Loop: Header=BB357_15 Depth=1
	s_or_b32 exec_lo, exec_lo, s22
.LBB357_673:                            ;   in Loop: Header=BB357_15 Depth=1
	s_or_b32 exec_lo, exec_lo, s21
.LBB357_674:                            ;   in Loop: Header=BB357_15 Depth=1
	s_or_b32 exec_lo, exec_lo, s20
	v_mov_b32_e32 v1, 0
	v_and_b32_sdwa v0, v29, v3 dst_sel:DWORD dst_unused:UNUSED_PAD src0_sel:WORD_1 src1_sel:DWORD
	s_mov_b32 s20, exec_lo
	buffer_store_dword v1, off, s[0:3], s32 offset:464 ; 4-byte Folded Spill
	v_mov_b32_e32 v1, 0
	buffer_store_dword v1, off, s[0:3], s32 offset:732 ; 4-byte Folded Spill
	v_cmpx_ne_u16_e32 0, v0
	s_cbranch_execz .LBB357_682
; %bb.675:                              ;   in Loop: Header=BB357_15 Depth=1
	v_cmp_ne_u16_e64 s5, 0x80, v0
	v_bfrev_b32_e32 v0, 1
	s_and_saveexec_b32 s21, s5
	s_cbranch_execz .LBB357_681
; %bb.676:                              ;   in Loop: Header=BB357_15 Depth=1
	v_bfe_u32 v1, v29, 16, 7
	v_mov_b32_e32 v0, 0x7f800001
	s_mov_b32 s22, exec_lo
	v_cmpx_ne_u32_e32 0x7f, v1
	s_cbranch_execz .LBB357_680
; %bb.677:                              ;   in Loop: Header=BB357_15 Depth=1
	v_mov_b32_e32 v0, 7
	s_mov_b32 s23, exec_lo
	v_and_b32_sdwa v13, v29, v0 dst_sel:DWORD dst_unused:UNUSED_PAD src0_sel:WORD_1 src1_sel:DWORD
	v_mov_b32_e32 v32, v14
	v_lshrrev_b32_e32 v0, 3, v1
	v_mov_b32_e32 v31, v13
	v_cmpx_gt_u32_e32 8, v1
; %bb.678:                              ;   in Loop: Header=BB357_15 Depth=1
	v_ffbh_u32_e32 v0, v13
	v_min_u32_e32 v0, 32, v0
	v_subrev_nc_u32_e32 v1, 28, v0
	v_sub_nc_u32_e32 v0, 29, v0
	v_lshlrev_b64 v[1:2], v1, v[13:14]
	v_and_b32_e32 v31, 7, v1
; %bb.679:                              ;   in Loop: Header=BB357_15 Depth=1
	s_or_b32 exec_lo, exec_lo, s23
	v_mov_b32_e32 v1, 24
	v_lshlrev_b32_e32 v2, 20, v31
	v_lshl_add_u32 v0, v0, 23, 0x3c000000
	v_lshlrev_b32_sdwa v1, v1, v29 dst_sel:DWORD dst_unused:UNUSED_PAD src0_sel:DWORD src1_sel:WORD_1
	v_and_b32_e32 v1, 0x80000000, v1
	v_or3_b32 v0, v2, v1, v0
.LBB357_680:                            ;   in Loop: Header=BB357_15 Depth=1
	s_or_b32 exec_lo, exec_lo, s22
.LBB357_681:                            ;   in Loop: Header=BB357_15 Depth=1
	s_or_b32 exec_lo, exec_lo, s21
	buffer_store_dword v0, off, s[0:3], s32 offset:732 ; 4-byte Folded Spill
.LBB357_682:                            ;   in Loop: Header=BB357_15 Depth=1
	s_or_b32 exec_lo, exec_lo, s20
	s_mov_b32 s20, exec_lo
	v_cmpx_lt_u32_e32 0xffffff, v29
	s_cbranch_execz .LBB357_690
; %bb.683:                              ;   in Loop: Header=BB357_15 Depth=1
	v_cmp_ne_u32_sdwa s5, v29, v43 src0_sel:BYTE_3 src1_sel:DWORD
	v_bfrev_b32_e32 v0, 1
	buffer_store_dword v0, off, s[0:3], s32 offset:464 ; 4-byte Folded Spill
	s_and_saveexec_b32 s21, s5
	s_cbranch_execz .LBB357_689
; %bb.684:                              ;   in Loop: Header=BB357_15 Depth=1
	v_bfe_u32 v1, v29, 24, 7
	v_mov_b32_e32 v0, 0x7f800001
	s_mov_b32 s22, exec_lo
	buffer_store_dword v0, off, s[0:3], s32 offset:464 ; 4-byte Folded Spill
	v_cmpx_ne_u32_e32 0x7f, v1
	s_cbranch_execz .LBB357_688
; %bb.685:                              ;   in Loop: Header=BB357_15 Depth=1
	v_mov_b32_e32 v0, 7
	s_mov_b32 s23, exec_lo
	v_and_b32_sdwa v13, v29, v0 dst_sel:DWORD dst_unused:UNUSED_PAD src0_sel:BYTE_3 src1_sel:DWORD
	v_mov_b32_e32 v32, v14
	v_lshrrev_b32_e32 v0, 3, v1
	v_mov_b32_e32 v31, v13
	v_cmpx_gt_u32_e32 8, v1
; %bb.686:                              ;   in Loop: Header=BB357_15 Depth=1
	v_ffbh_u32_e32 v0, v13
	v_min_u32_e32 v0, 32, v0
	v_subrev_nc_u32_e32 v1, 28, v0
	v_sub_nc_u32_e32 v0, 29, v0
	v_lshlrev_b64 v[1:2], v1, v[13:14]
	v_and_b32_e32 v31, 7, v1
; %bb.687:                              ;   in Loop: Header=BB357_15 Depth=1
	s_or_b32 exec_lo, exec_lo, s23
	v_mov_b32_e32 v1, 24
	v_lshlrev_b32_e32 v2, 20, v31
	v_lshl_add_u32 v0, v0, 23, 0x3c000000
	v_lshlrev_b32_sdwa v1, v1, v29 dst_sel:DWORD dst_unused:UNUSED_PAD src0_sel:DWORD src1_sel:BYTE_3
	v_and_b32_e32 v1, 0x80000000, v1
	v_or3_b32 v0, v2, v1, v0
	buffer_store_dword v0, off, s[0:3], s32 offset:464 ; 4-byte Folded Spill
.LBB357_688:                            ;   in Loop: Header=BB357_15 Depth=1
	s_or_b32 exec_lo, exec_lo, s22
.LBB357_689:                            ;   in Loop: Header=BB357_15 Depth=1
	s_or_b32 exec_lo, exec_lo, s21
.LBB357_690:                            ;   in Loop: Header=BB357_15 Depth=1
	s_or_b32 exec_lo, exec_lo, s20
	v_mov_b32_e32 v0, 0
	v_mov_b32_e32 v13, v30
	v_cmp_ne_u16_sdwa s5, v30, v14 src0_sel:BYTE_0 src1_sel:DWORD
	buffer_store_dword v0, off, s[0:3], s32 offset:472 ; 4-byte Folded Spill
	v_mov_b32_e32 v0, 0
	buffer_store_dword v0, off, s[0:3], s32 offset:468 ; 4-byte Folded Spill
	s_and_saveexec_b32 s20, s5
	s_cbranch_execz .LBB357_698
; %bb.691:                              ;   in Loop: Header=BB357_15 Depth=1
	v_cmp_ne_u16_sdwa s5, v30, v43 src0_sel:BYTE_0 src1_sel:DWORD
	v_bfrev_b32_e32 v0, 1
	buffer_store_dword v0, off, s[0:3], s32 offset:468 ; 4-byte Folded Spill
	s_and_saveexec_b32 s21, s5
	s_cbranch_execz .LBB357_697
; %bb.692:                              ;   in Loop: Header=BB357_15 Depth=1
	v_and_b32_e32 v1, 0x7f, v30
	v_mov_b32_e32 v0, 0x7f800001
	s_mov_b32 s22, exec_lo
	buffer_store_dword v0, off, s[0:3], s32 offset:468 ; 4-byte Folded Spill
	v_cmpx_ne_u32_e32 0x7f, v1
	s_cbranch_execz .LBB357_696
; %bb.693:                              ;   in Loop: Header=BB357_15 Depth=1
	v_mov_b32_e32 v32, v14
	v_lshrrev_b32_e32 v0, 3, v1
	v_mov_b32_e32 v31, v13
	s_mov_b32 s23, exec_lo
	v_cmpx_gt_u32_e32 8, v1
; %bb.694:                              ;   in Loop: Header=BB357_15 Depth=1
	v_and_b32_e32 v0, 7, v30
	v_ffbh_u32_e32 v0, v0
	v_min_u32_e32 v0, 32, v0
	v_subrev_nc_u32_e32 v1, 28, v0
	v_sub_nc_u32_e32 v0, 29, v0
	v_lshlrev_b64 v[31:32], v1, v[13:14]
; %bb.695:                              ;   in Loop: Header=BB357_15 Depth=1
	s_or_b32 exec_lo, exec_lo, s23
	v_lshlrev_b32_e32 v1, 20, v31
	v_lshlrev_b32_e32 v2, 24, v13
	v_lshl_add_u32 v0, v0, 23, 0x3c000000
	v_and_b32_e32 v1, 0x700000, v1
	v_and_b32_e32 v2, 0x80000000, v2
	v_or3_b32 v0, v1, v2, v0
	buffer_store_dword v0, off, s[0:3], s32 offset:468 ; 4-byte Folded Spill
.LBB357_696:                            ;   in Loop: Header=BB357_15 Depth=1
	s_or_b32 exec_lo, exec_lo, s22
.LBB357_697:                            ;   in Loop: Header=BB357_15 Depth=1
	s_or_b32 exec_lo, exec_lo, s21
.LBB357_698:                            ;   in Loop: Header=BB357_15 Depth=1
	s_or_b32 exec_lo, exec_lo, s20
	v_cmp_ne_u16_sdwa s5, v13, v14 src0_sel:BYTE_1 src1_sel:DWORD
	s_and_saveexec_b32 s20, s5
	s_cbranch_execz .LBB357_706
; %bb.699:                              ;   in Loop: Header=BB357_15 Depth=1
	v_cmp_ne_u16_sdwa s5, v13, v43 src0_sel:BYTE_1 src1_sel:DWORD
	v_bfrev_b32_e32 v0, 1
	buffer_store_dword v0, off, s[0:3], s32 offset:472 ; 4-byte Folded Spill
	s_and_saveexec_b32 s21, s5
	s_cbranch_execz .LBB357_705
; %bb.700:                              ;   in Loop: Header=BB357_15 Depth=1
	v_mov_b32_e32 v0, 0xffff
	v_mov_b32_e32 v2, 0x7f800001
	s_mov_b32 s22, exec_lo
	v_and_b32_sdwa v0, v0, v13 dst_sel:DWORD dst_unused:UNUSED_PAD src0_sel:DWORD src1_sel:BYTE_1
	buffer_store_dword v2, off, s[0:3], s32 offset:472 ; 4-byte Folded Spill
	v_and_b32_e32 v1, 0x7f, v0
	v_cmpx_ne_u32_e32 0x7f, v1
	s_cbranch_execz .LBB357_704
; %bb.701:                              ;   in Loop: Header=BB357_15 Depth=1
	v_and_b32_e32 v31, 7, v0
	v_mov_b32_e32 v32, v14
	v_lshrrev_b32_e32 v0, 3, v1
	s_mov_b32 s23, exec_lo
	v_cmpx_gt_u32_e32 8, v1
; %bb.702:                              ;   in Loop: Header=BB357_15 Depth=1
	v_ffbh_u32_e32 v0, v31
	v_min_u32_e32 v0, 32, v0
	v_subrev_nc_u32_e32 v1, 28, v0
	v_sub_nc_u32_e32 v0, 29, v0
	v_lshlrev_b64 v[1:2], v1, v[31:32]
	v_and_b32_e32 v31, 7, v1
; %bb.703:                              ;   in Loop: Header=BB357_15 Depth=1
	s_or_b32 exec_lo, exec_lo, s23
	v_lshlrev_b32_e32 v1, 16, v13
	v_lshlrev_b32_e32 v2, 20, v31
	v_lshl_add_u32 v0, v0, 23, 0x3c000000
	v_and_b32_e32 v1, 0x80000000, v1
	v_or3_b32 v0, v2, v1, v0
	buffer_store_dword v0, off, s[0:3], s32 offset:472 ; 4-byte Folded Spill
.LBB357_704:                            ;   in Loop: Header=BB357_15 Depth=1
	s_or_b32 exec_lo, exec_lo, s22
.LBB357_705:                            ;   in Loop: Header=BB357_15 Depth=1
	s_or_b32 exec_lo, exec_lo, s21
.LBB357_706:                            ;   in Loop: Header=BB357_15 Depth=1
	s_or_b32 exec_lo, exec_lo, s20
	v_mov_b32_e32 v1, 0
	v_and_b32_sdwa v0, v30, v3 dst_sel:DWORD dst_unused:UNUSED_PAD src0_sel:WORD_1 src1_sel:DWORD
	s_mov_b32 s20, exec_lo
	buffer_store_dword v1, off, s[0:3], s32 offset:476 ; 4-byte Folded Spill
	v_mov_b32_e32 v1, 0
	buffer_store_dword v1, off, s[0:3], s32 offset:736 ; 4-byte Folded Spill
	v_cmpx_ne_u16_e32 0, v0
	s_cbranch_execz .LBB357_714
; %bb.707:                              ;   in Loop: Header=BB357_15 Depth=1
	v_cmp_ne_u16_e64 s5, 0x80, v0
	v_bfrev_b32_e32 v0, 1
	s_and_saveexec_b32 s21, s5
	s_cbranch_execz .LBB357_713
; %bb.708:                              ;   in Loop: Header=BB357_15 Depth=1
	v_bfe_u32 v1, v30, 16, 7
	v_mov_b32_e32 v0, 0x7f800001
	s_mov_b32 s22, exec_lo
	v_cmpx_ne_u32_e32 0x7f, v1
	s_cbranch_execz .LBB357_712
; %bb.709:                              ;   in Loop: Header=BB357_15 Depth=1
	v_mov_b32_e32 v0, 7
	s_mov_b32 s23, exec_lo
	v_and_b32_sdwa v13, v30, v0 dst_sel:DWORD dst_unused:UNUSED_PAD src0_sel:WORD_1 src1_sel:DWORD
	v_mov_b32_e32 v32, v14
	v_lshrrev_b32_e32 v0, 3, v1
	v_mov_b32_e32 v31, v13
	v_cmpx_gt_u32_e32 8, v1
; %bb.710:                              ;   in Loop: Header=BB357_15 Depth=1
	v_ffbh_u32_e32 v0, v13
	v_min_u32_e32 v0, 32, v0
	v_subrev_nc_u32_e32 v1, 28, v0
	v_sub_nc_u32_e32 v0, 29, v0
	v_lshlrev_b64 v[1:2], v1, v[13:14]
	v_and_b32_e32 v31, 7, v1
; %bb.711:                              ;   in Loop: Header=BB357_15 Depth=1
	s_or_b32 exec_lo, exec_lo, s23
	v_mov_b32_e32 v1, 24
	v_lshlrev_b32_e32 v2, 20, v31
	v_lshl_add_u32 v0, v0, 23, 0x3c000000
	v_lshlrev_b32_sdwa v1, v1, v30 dst_sel:DWORD dst_unused:UNUSED_PAD src0_sel:DWORD src1_sel:WORD_1
	v_and_b32_e32 v1, 0x80000000, v1
	v_or3_b32 v0, v2, v1, v0
.LBB357_712:                            ;   in Loop: Header=BB357_15 Depth=1
	s_or_b32 exec_lo, exec_lo, s22
.LBB357_713:                            ;   in Loop: Header=BB357_15 Depth=1
	s_or_b32 exec_lo, exec_lo, s21
	buffer_store_dword v0, off, s[0:3], s32 offset:736 ; 4-byte Folded Spill
.LBB357_714:                            ;   in Loop: Header=BB357_15 Depth=1
	s_or_b32 exec_lo, exec_lo, s20
	s_mov_b32 s20, exec_lo
	v_cmpx_lt_u64_e64 s[12:13], v[29:30]
	s_cbranch_execz .LBB357_722
; %bb.715:                              ;   in Loop: Header=BB357_15 Depth=1
	v_cmp_ne_u32_sdwa s5, v30, v43 src0_sel:BYTE_3 src1_sel:DWORD
	v_bfrev_b32_e32 v0, 1
	buffer_store_dword v0, off, s[0:3], s32 offset:476 ; 4-byte Folded Spill
	s_and_saveexec_b32 s21, s5
	s_cbranch_execz .LBB357_721
; %bb.716:                              ;   in Loop: Header=BB357_15 Depth=1
	v_bfe_u32 v1, v30, 24, 7
	v_mov_b32_e32 v0, 0x7f800001
	s_mov_b32 s22, exec_lo
	buffer_store_dword v0, off, s[0:3], s32 offset:476 ; 4-byte Folded Spill
	v_cmpx_ne_u32_e32 0x7f, v1
	s_cbranch_execz .LBB357_720
; %bb.717:                              ;   in Loop: Header=BB357_15 Depth=1
	v_mov_b32_e32 v0, 7
	s_mov_b32 s23, exec_lo
	v_and_b32_sdwa v13, v30, v0 dst_sel:DWORD dst_unused:UNUSED_PAD src0_sel:BYTE_3 src1_sel:DWORD
	v_mov_b32_e32 v32, v14
	v_lshrrev_b32_e32 v0, 3, v1
	v_mov_b32_e32 v31, v13
	v_cmpx_gt_u32_e32 8, v1
; %bb.718:                              ;   in Loop: Header=BB357_15 Depth=1
	v_ffbh_u32_e32 v0, v13
	v_min_u32_e32 v0, 32, v0
	v_subrev_nc_u32_e32 v1, 28, v0
	v_sub_nc_u32_e32 v0, 29, v0
	v_lshlrev_b64 v[1:2], v1, v[13:14]
	v_and_b32_e32 v31, 7, v1
; %bb.719:                              ;   in Loop: Header=BB357_15 Depth=1
	s_or_b32 exec_lo, exec_lo, s23
	v_mov_b32_e32 v1, 24
	v_lshlrev_b32_e32 v2, 20, v31
	v_lshl_add_u32 v0, v0, 23, 0x3c000000
	v_lshlrev_b32_sdwa v1, v1, v30 dst_sel:DWORD dst_unused:UNUSED_PAD src0_sel:DWORD src1_sel:BYTE_3
	v_and_b32_e32 v1, 0x80000000, v1
	v_or3_b32 v0, v2, v1, v0
	buffer_store_dword v0, off, s[0:3], s32 offset:476 ; 4-byte Folded Spill
.LBB357_720:                            ;   in Loop: Header=BB357_15 Depth=1
	s_or_b32 exec_lo, exec_lo, s22
.LBB357_721:                            ;   in Loop: Header=BB357_15 Depth=1
	s_or_b32 exec_lo, exec_lo, s21
.LBB357_722:                            ;   in Loop: Header=BB357_15 Depth=1
	s_or_b32 exec_lo, exec_lo, s20
	flat_load_dwordx2 v[29:30], v[27:28] offset:520
	v_mov_b32_e32 v0, 0
	buffer_store_dword v0, off, s[0:3], s32 offset:484 ; 4-byte Folded Spill
	v_mov_b32_e32 v0, 0
	buffer_store_dword v0, off, s[0:3], s32 offset:480 ; 4-byte Folded Spill
	s_waitcnt vmcnt(0) lgkmcnt(0)
	v_cmp_ne_u16_sdwa s5, v29, v14 src0_sel:BYTE_0 src1_sel:DWORD
	s_and_saveexec_b32 s20, s5
	s_cbranch_execz .LBB357_730
; %bb.723:                              ;   in Loop: Header=BB357_15 Depth=1
	v_cmp_ne_u16_sdwa s5, v29, v43 src0_sel:BYTE_0 src1_sel:DWORD
	v_bfrev_b32_e32 v0, 1
	buffer_store_dword v0, off, s[0:3], s32 offset:480 ; 4-byte Folded Spill
	s_and_saveexec_b32 s21, s5
	s_cbranch_execz .LBB357_729
; %bb.724:                              ;   in Loop: Header=BB357_15 Depth=1
	v_and_b32_e32 v1, 0x7f, v29
	v_mov_b32_e32 v0, 0x7f800001
	s_mov_b32 s22, exec_lo
	buffer_store_dword v0, off, s[0:3], s32 offset:480 ; 4-byte Folded Spill
	v_cmpx_ne_u32_e32 0x7f, v1
	s_cbranch_execz .LBB357_728
; %bb.725:                              ;   in Loop: Header=BB357_15 Depth=1
	v_mov_b32_e32 v32, v30
	v_lshrrev_b32_e32 v0, 3, v1
	v_mov_b32_e32 v31, v29
	s_mov_b32 s23, exec_lo
	v_cmpx_gt_u32_e32 8, v1
; %bb.726:                              ;   in Loop: Header=BB357_15 Depth=1
	v_and_b32_e32 v0, 7, v29
	v_ffbh_u32_e32 v0, v0
	v_min_u32_e32 v0, 32, v0
	v_subrev_nc_u32_e32 v1, 28, v0
	v_sub_nc_u32_e32 v0, 29, v0
	v_lshlrev_b64 v[31:32], v1, v[29:30]
; %bb.727:                              ;   in Loop: Header=BB357_15 Depth=1
	s_or_b32 exec_lo, exec_lo, s23
	v_lshlrev_b32_e32 v1, 20, v31
	v_lshlrev_b32_e32 v2, 24, v29
	v_lshl_add_u32 v0, v0, 23, 0x3c000000
	v_and_b32_e32 v1, 0x700000, v1
	v_and_b32_e32 v2, 0x80000000, v2
	v_or3_b32 v0, v1, v2, v0
	buffer_store_dword v0, off, s[0:3], s32 offset:480 ; 4-byte Folded Spill
.LBB357_728:                            ;   in Loop: Header=BB357_15 Depth=1
	s_or_b32 exec_lo, exec_lo, s22
.LBB357_729:                            ;   in Loop: Header=BB357_15 Depth=1
	s_or_b32 exec_lo, exec_lo, s21
.LBB357_730:                            ;   in Loop: Header=BB357_15 Depth=1
	s_or_b32 exec_lo, exec_lo, s20
	v_cmp_ne_u16_sdwa s5, v29, v14 src0_sel:BYTE_1 src1_sel:DWORD
	s_and_saveexec_b32 s20, s5
	s_cbranch_execz .LBB357_738
; %bb.731:                              ;   in Loop: Header=BB357_15 Depth=1
	v_cmp_ne_u16_sdwa s5, v29, v43 src0_sel:BYTE_1 src1_sel:DWORD
	v_bfrev_b32_e32 v0, 1
	buffer_store_dword v0, off, s[0:3], s32 offset:484 ; 4-byte Folded Spill
	s_and_saveexec_b32 s21, s5
	s_cbranch_execz .LBB357_737
; %bb.732:                              ;   in Loop: Header=BB357_15 Depth=1
	v_mov_b32_e32 v0, 0xffff
	v_mov_b32_e32 v2, 0x7f800001
	s_mov_b32 s22, exec_lo
	v_and_b32_sdwa v0, v0, v29 dst_sel:DWORD dst_unused:UNUSED_PAD src0_sel:DWORD src1_sel:BYTE_1
	buffer_store_dword v2, off, s[0:3], s32 offset:484 ; 4-byte Folded Spill
	v_and_b32_e32 v1, 0x7f, v0
	v_cmpx_ne_u32_e32 0x7f, v1
	s_cbranch_execz .LBB357_736
; %bb.733:                              ;   in Loop: Header=BB357_15 Depth=1
	v_and_b32_e32 v13, 7, v0
	v_mov_b32_e32 v32, v14
	v_lshrrev_b32_e32 v0, 3, v1
	s_mov_b32 s23, exec_lo
	v_mov_b32_e32 v31, v13
	v_cmpx_gt_u32_e32 8, v1
; %bb.734:                              ;   in Loop: Header=BB357_15 Depth=1
	v_ffbh_u32_e32 v0, v13
	v_min_u32_e32 v0, 32, v0
	v_subrev_nc_u32_e32 v1, 28, v0
	v_sub_nc_u32_e32 v0, 29, v0
	v_lshlrev_b64 v[1:2], v1, v[13:14]
	v_and_b32_e32 v31, 7, v1
; %bb.735:                              ;   in Loop: Header=BB357_15 Depth=1
	s_or_b32 exec_lo, exec_lo, s23
	v_lshlrev_b32_e32 v1, 16, v29
	v_lshlrev_b32_e32 v2, 20, v31
	v_lshl_add_u32 v0, v0, 23, 0x3c000000
	v_and_b32_e32 v1, 0x80000000, v1
	v_or3_b32 v0, v2, v1, v0
	buffer_store_dword v0, off, s[0:3], s32 offset:484 ; 4-byte Folded Spill
.LBB357_736:                            ;   in Loop: Header=BB357_15 Depth=1
	s_or_b32 exec_lo, exec_lo, s22
.LBB357_737:                            ;   in Loop: Header=BB357_15 Depth=1
	s_or_b32 exec_lo, exec_lo, s21
.LBB357_738:                            ;   in Loop: Header=BB357_15 Depth=1
	s_or_b32 exec_lo, exec_lo, s20
	v_mov_b32_e32 v1, 0
	v_and_b32_sdwa v0, v29, v3 dst_sel:DWORD dst_unused:UNUSED_PAD src0_sel:WORD_1 src1_sel:DWORD
	s_mov_b32 s20, exec_lo
	buffer_store_dword v1, off, s[0:3], s32 offset:488 ; 4-byte Folded Spill
	v_mov_b32_e32 v1, 0
	buffer_store_dword v1, off, s[0:3], s32 offset:740 ; 4-byte Folded Spill
	v_cmpx_ne_u16_e32 0, v0
	s_cbranch_execz .LBB357_746
; %bb.739:                              ;   in Loop: Header=BB357_15 Depth=1
	v_cmp_ne_u16_e64 s5, 0x80, v0
	v_bfrev_b32_e32 v0, 1
	s_and_saveexec_b32 s21, s5
	s_cbranch_execz .LBB357_745
; %bb.740:                              ;   in Loop: Header=BB357_15 Depth=1
	v_bfe_u32 v1, v29, 16, 7
	v_mov_b32_e32 v0, 0x7f800001
	s_mov_b32 s22, exec_lo
	v_cmpx_ne_u32_e32 0x7f, v1
	s_cbranch_execz .LBB357_744
; %bb.741:                              ;   in Loop: Header=BB357_15 Depth=1
	v_mov_b32_e32 v0, 7
	s_mov_b32 s23, exec_lo
	v_and_b32_sdwa v13, v29, v0 dst_sel:DWORD dst_unused:UNUSED_PAD src0_sel:WORD_1 src1_sel:DWORD
	v_mov_b32_e32 v32, v14
	v_lshrrev_b32_e32 v0, 3, v1
	v_mov_b32_e32 v31, v13
	v_cmpx_gt_u32_e32 8, v1
; %bb.742:                              ;   in Loop: Header=BB357_15 Depth=1
	v_ffbh_u32_e32 v0, v13
	v_min_u32_e32 v0, 32, v0
	v_subrev_nc_u32_e32 v1, 28, v0
	v_sub_nc_u32_e32 v0, 29, v0
	v_lshlrev_b64 v[1:2], v1, v[13:14]
	v_and_b32_e32 v31, 7, v1
; %bb.743:                              ;   in Loop: Header=BB357_15 Depth=1
	s_or_b32 exec_lo, exec_lo, s23
	v_mov_b32_e32 v1, 24
	v_lshlrev_b32_e32 v2, 20, v31
	v_lshl_add_u32 v0, v0, 23, 0x3c000000
	v_lshlrev_b32_sdwa v1, v1, v29 dst_sel:DWORD dst_unused:UNUSED_PAD src0_sel:DWORD src1_sel:WORD_1
	v_and_b32_e32 v1, 0x80000000, v1
	v_or3_b32 v0, v2, v1, v0
.LBB357_744:                            ;   in Loop: Header=BB357_15 Depth=1
	s_or_b32 exec_lo, exec_lo, s22
.LBB357_745:                            ;   in Loop: Header=BB357_15 Depth=1
	s_or_b32 exec_lo, exec_lo, s21
	buffer_store_dword v0, off, s[0:3], s32 offset:740 ; 4-byte Folded Spill
.LBB357_746:                            ;   in Loop: Header=BB357_15 Depth=1
	s_or_b32 exec_lo, exec_lo, s20
	s_mov_b32 s20, exec_lo
	v_cmpx_lt_u32_e32 0xffffff, v29
	s_cbranch_execz .LBB357_754
; %bb.747:                              ;   in Loop: Header=BB357_15 Depth=1
	v_cmp_ne_u32_sdwa s5, v29, v43 src0_sel:BYTE_3 src1_sel:DWORD
	v_bfrev_b32_e32 v0, 1
	buffer_store_dword v0, off, s[0:3], s32 offset:488 ; 4-byte Folded Spill
	s_and_saveexec_b32 s21, s5
	s_cbranch_execz .LBB357_753
; %bb.748:                              ;   in Loop: Header=BB357_15 Depth=1
	v_bfe_u32 v1, v29, 24, 7
	v_mov_b32_e32 v0, 0x7f800001
	s_mov_b32 s22, exec_lo
	buffer_store_dword v0, off, s[0:3], s32 offset:488 ; 4-byte Folded Spill
	v_cmpx_ne_u32_e32 0x7f, v1
	s_cbranch_execz .LBB357_752
; %bb.749:                              ;   in Loop: Header=BB357_15 Depth=1
	v_mov_b32_e32 v0, 7
	s_mov_b32 s23, exec_lo
	v_and_b32_sdwa v13, v29, v0 dst_sel:DWORD dst_unused:UNUSED_PAD src0_sel:BYTE_3 src1_sel:DWORD
	v_mov_b32_e32 v32, v14
	v_lshrrev_b32_e32 v0, 3, v1
	v_mov_b32_e32 v31, v13
	v_cmpx_gt_u32_e32 8, v1
; %bb.750:                              ;   in Loop: Header=BB357_15 Depth=1
	v_ffbh_u32_e32 v0, v13
	v_min_u32_e32 v0, 32, v0
	v_subrev_nc_u32_e32 v1, 28, v0
	v_sub_nc_u32_e32 v0, 29, v0
	v_lshlrev_b64 v[1:2], v1, v[13:14]
	v_and_b32_e32 v31, 7, v1
; %bb.751:                              ;   in Loop: Header=BB357_15 Depth=1
	s_or_b32 exec_lo, exec_lo, s23
	v_mov_b32_e32 v1, 24
	v_lshlrev_b32_e32 v2, 20, v31
	v_lshl_add_u32 v0, v0, 23, 0x3c000000
	v_lshlrev_b32_sdwa v1, v1, v29 dst_sel:DWORD dst_unused:UNUSED_PAD src0_sel:DWORD src1_sel:BYTE_3
	v_and_b32_e32 v1, 0x80000000, v1
	v_or3_b32 v0, v2, v1, v0
	buffer_store_dword v0, off, s[0:3], s32 offset:488 ; 4-byte Folded Spill
.LBB357_752:                            ;   in Loop: Header=BB357_15 Depth=1
	s_or_b32 exec_lo, exec_lo, s22
.LBB357_753:                            ;   in Loop: Header=BB357_15 Depth=1
	s_or_b32 exec_lo, exec_lo, s21
.LBB357_754:                            ;   in Loop: Header=BB357_15 Depth=1
	s_or_b32 exec_lo, exec_lo, s20
	v_mov_b32_e32 v0, 0
	v_mov_b32_e32 v13, v30
	v_cmp_ne_u16_sdwa s5, v30, v14 src0_sel:BYTE_0 src1_sel:DWORD
	buffer_store_dword v0, off, s[0:3], s32 offset:496 ; 4-byte Folded Spill
	v_mov_b32_e32 v0, 0
	buffer_store_dword v0, off, s[0:3], s32 offset:492 ; 4-byte Folded Spill
	s_and_saveexec_b32 s20, s5
	s_cbranch_execz .LBB357_762
; %bb.755:                              ;   in Loop: Header=BB357_15 Depth=1
	v_cmp_ne_u16_sdwa s5, v30, v43 src0_sel:BYTE_0 src1_sel:DWORD
	v_bfrev_b32_e32 v0, 1
	buffer_store_dword v0, off, s[0:3], s32 offset:492 ; 4-byte Folded Spill
	s_and_saveexec_b32 s21, s5
	s_cbranch_execz .LBB357_761
; %bb.756:                              ;   in Loop: Header=BB357_15 Depth=1
	v_and_b32_e32 v1, 0x7f, v30
	v_mov_b32_e32 v0, 0x7f800001
	s_mov_b32 s22, exec_lo
	buffer_store_dword v0, off, s[0:3], s32 offset:492 ; 4-byte Folded Spill
	v_cmpx_ne_u32_e32 0x7f, v1
	s_cbranch_execz .LBB357_760
; %bb.757:                              ;   in Loop: Header=BB357_15 Depth=1
	v_mov_b32_e32 v32, v14
	v_lshrrev_b32_e32 v0, 3, v1
	v_mov_b32_e32 v31, v13
	s_mov_b32 s23, exec_lo
	v_cmpx_gt_u32_e32 8, v1
; %bb.758:                              ;   in Loop: Header=BB357_15 Depth=1
	v_and_b32_e32 v0, 7, v30
	v_ffbh_u32_e32 v0, v0
	v_min_u32_e32 v0, 32, v0
	v_subrev_nc_u32_e32 v1, 28, v0
	v_sub_nc_u32_e32 v0, 29, v0
	v_lshlrev_b64 v[31:32], v1, v[13:14]
; %bb.759:                              ;   in Loop: Header=BB357_15 Depth=1
	s_or_b32 exec_lo, exec_lo, s23
	v_lshlrev_b32_e32 v1, 20, v31
	v_lshlrev_b32_e32 v2, 24, v13
	v_lshl_add_u32 v0, v0, 23, 0x3c000000
	v_and_b32_e32 v1, 0x700000, v1
	v_and_b32_e32 v2, 0x80000000, v2
	v_or3_b32 v0, v1, v2, v0
	buffer_store_dword v0, off, s[0:3], s32 offset:492 ; 4-byte Folded Spill
.LBB357_760:                            ;   in Loop: Header=BB357_15 Depth=1
	s_or_b32 exec_lo, exec_lo, s22
.LBB357_761:                            ;   in Loop: Header=BB357_15 Depth=1
	s_or_b32 exec_lo, exec_lo, s21
.LBB357_762:                            ;   in Loop: Header=BB357_15 Depth=1
	s_or_b32 exec_lo, exec_lo, s20
	v_cmp_ne_u16_sdwa s5, v13, v14 src0_sel:BYTE_1 src1_sel:DWORD
	s_and_saveexec_b32 s20, s5
	s_cbranch_execz .LBB357_770
; %bb.763:                              ;   in Loop: Header=BB357_15 Depth=1
	v_cmp_ne_u16_sdwa s5, v13, v43 src0_sel:BYTE_1 src1_sel:DWORD
	v_bfrev_b32_e32 v0, 1
	buffer_store_dword v0, off, s[0:3], s32 offset:496 ; 4-byte Folded Spill
	s_and_saveexec_b32 s21, s5
	s_cbranch_execz .LBB357_769
; %bb.764:                              ;   in Loop: Header=BB357_15 Depth=1
	v_mov_b32_e32 v0, 0xffff
	v_mov_b32_e32 v2, 0x7f800001
	s_mov_b32 s22, exec_lo
	v_and_b32_sdwa v0, v0, v13 dst_sel:DWORD dst_unused:UNUSED_PAD src0_sel:DWORD src1_sel:BYTE_1
	buffer_store_dword v2, off, s[0:3], s32 offset:496 ; 4-byte Folded Spill
	v_and_b32_e32 v1, 0x7f, v0
	v_cmpx_ne_u32_e32 0x7f, v1
	s_cbranch_execz .LBB357_768
; %bb.765:                              ;   in Loop: Header=BB357_15 Depth=1
	v_and_b32_e32 v31, 7, v0
	v_mov_b32_e32 v32, v14
	v_lshrrev_b32_e32 v0, 3, v1
	s_mov_b32 s23, exec_lo
	v_cmpx_gt_u32_e32 8, v1
; %bb.766:                              ;   in Loop: Header=BB357_15 Depth=1
	v_ffbh_u32_e32 v0, v31
	v_min_u32_e32 v0, 32, v0
	v_subrev_nc_u32_e32 v1, 28, v0
	v_sub_nc_u32_e32 v0, 29, v0
	v_lshlrev_b64 v[1:2], v1, v[31:32]
	v_and_b32_e32 v31, 7, v1
; %bb.767:                              ;   in Loop: Header=BB357_15 Depth=1
	s_or_b32 exec_lo, exec_lo, s23
	v_lshlrev_b32_e32 v1, 16, v13
	v_lshlrev_b32_e32 v2, 20, v31
	v_lshl_add_u32 v0, v0, 23, 0x3c000000
	v_and_b32_e32 v1, 0x80000000, v1
	v_or3_b32 v0, v2, v1, v0
	buffer_store_dword v0, off, s[0:3], s32 offset:496 ; 4-byte Folded Spill
.LBB357_768:                            ;   in Loop: Header=BB357_15 Depth=1
	s_or_b32 exec_lo, exec_lo, s22
.LBB357_769:                            ;   in Loop: Header=BB357_15 Depth=1
	s_or_b32 exec_lo, exec_lo, s21
.LBB357_770:                            ;   in Loop: Header=BB357_15 Depth=1
	s_or_b32 exec_lo, exec_lo, s20
	v_mov_b32_e32 v1, 0
	v_and_b32_sdwa v0, v30, v3 dst_sel:DWORD dst_unused:UNUSED_PAD src0_sel:WORD_1 src1_sel:DWORD
	s_mov_b32 s20, exec_lo
	buffer_store_dword v1, off, s[0:3], s32 offset:500 ; 4-byte Folded Spill
	v_mov_b32_e32 v1, 0
	buffer_store_dword v1, off, s[0:3], s32 offset:744 ; 4-byte Folded Spill
	v_cmpx_ne_u16_e32 0, v0
	s_cbranch_execz .LBB357_778
; %bb.771:                              ;   in Loop: Header=BB357_15 Depth=1
	v_cmp_ne_u16_e64 s5, 0x80, v0
	v_bfrev_b32_e32 v0, 1
	s_and_saveexec_b32 s21, s5
	s_cbranch_execz .LBB357_777
; %bb.772:                              ;   in Loop: Header=BB357_15 Depth=1
	v_bfe_u32 v1, v30, 16, 7
	v_mov_b32_e32 v0, 0x7f800001
	s_mov_b32 s22, exec_lo
	v_cmpx_ne_u32_e32 0x7f, v1
	s_cbranch_execz .LBB357_776
; %bb.773:                              ;   in Loop: Header=BB357_15 Depth=1
	v_mov_b32_e32 v0, 7
	s_mov_b32 s23, exec_lo
	v_and_b32_sdwa v13, v30, v0 dst_sel:DWORD dst_unused:UNUSED_PAD src0_sel:WORD_1 src1_sel:DWORD
	v_mov_b32_e32 v32, v14
	v_lshrrev_b32_e32 v0, 3, v1
	v_mov_b32_e32 v31, v13
	v_cmpx_gt_u32_e32 8, v1
; %bb.774:                              ;   in Loop: Header=BB357_15 Depth=1
	v_ffbh_u32_e32 v0, v13
	v_min_u32_e32 v0, 32, v0
	v_subrev_nc_u32_e32 v1, 28, v0
	v_sub_nc_u32_e32 v0, 29, v0
	v_lshlrev_b64 v[1:2], v1, v[13:14]
	v_and_b32_e32 v31, 7, v1
; %bb.775:                              ;   in Loop: Header=BB357_15 Depth=1
	s_or_b32 exec_lo, exec_lo, s23
	v_mov_b32_e32 v1, 24
	v_lshlrev_b32_e32 v2, 20, v31
	v_lshl_add_u32 v0, v0, 23, 0x3c000000
	v_lshlrev_b32_sdwa v1, v1, v30 dst_sel:DWORD dst_unused:UNUSED_PAD src0_sel:DWORD src1_sel:WORD_1
	v_and_b32_e32 v1, 0x80000000, v1
	v_or3_b32 v0, v2, v1, v0
.LBB357_776:                            ;   in Loop: Header=BB357_15 Depth=1
	s_or_b32 exec_lo, exec_lo, s22
.LBB357_777:                            ;   in Loop: Header=BB357_15 Depth=1
	s_or_b32 exec_lo, exec_lo, s21
	buffer_store_dword v0, off, s[0:3], s32 offset:744 ; 4-byte Folded Spill
.LBB357_778:                            ;   in Loop: Header=BB357_15 Depth=1
	s_or_b32 exec_lo, exec_lo, s20
	s_mov_b32 s20, exec_lo
	v_cmpx_lt_u64_e64 s[12:13], v[29:30]
	s_cbranch_execz .LBB357_786
; %bb.779:                              ;   in Loop: Header=BB357_15 Depth=1
	v_cmp_ne_u32_sdwa s5, v30, v43 src0_sel:BYTE_3 src1_sel:DWORD
	v_bfrev_b32_e32 v0, 1
	buffer_store_dword v0, off, s[0:3], s32 offset:500 ; 4-byte Folded Spill
	s_and_saveexec_b32 s21, s5
	s_cbranch_execz .LBB357_785
; %bb.780:                              ;   in Loop: Header=BB357_15 Depth=1
	v_bfe_u32 v1, v30, 24, 7
	v_mov_b32_e32 v0, 0x7f800001
	s_mov_b32 s22, exec_lo
	buffer_store_dword v0, off, s[0:3], s32 offset:500 ; 4-byte Folded Spill
	v_cmpx_ne_u32_e32 0x7f, v1
	s_cbranch_execz .LBB357_784
; %bb.781:                              ;   in Loop: Header=BB357_15 Depth=1
	v_mov_b32_e32 v0, 7
	s_mov_b32 s23, exec_lo
	v_and_b32_sdwa v13, v30, v0 dst_sel:DWORD dst_unused:UNUSED_PAD src0_sel:BYTE_3 src1_sel:DWORD
	v_mov_b32_e32 v32, v14
	v_lshrrev_b32_e32 v0, 3, v1
	v_mov_b32_e32 v31, v13
	v_cmpx_gt_u32_e32 8, v1
; %bb.782:                              ;   in Loop: Header=BB357_15 Depth=1
	v_ffbh_u32_e32 v0, v13
	v_min_u32_e32 v0, 32, v0
	v_subrev_nc_u32_e32 v1, 28, v0
	v_sub_nc_u32_e32 v0, 29, v0
	v_lshlrev_b64 v[1:2], v1, v[13:14]
	v_and_b32_e32 v31, 7, v1
; %bb.783:                              ;   in Loop: Header=BB357_15 Depth=1
	s_or_b32 exec_lo, exec_lo, s23
	v_mov_b32_e32 v1, 24
	v_lshlrev_b32_e32 v2, 20, v31
	v_lshl_add_u32 v0, v0, 23, 0x3c000000
	v_lshlrev_b32_sdwa v1, v1, v30 dst_sel:DWORD dst_unused:UNUSED_PAD src0_sel:DWORD src1_sel:BYTE_3
	v_and_b32_e32 v1, 0x80000000, v1
	v_or3_b32 v0, v2, v1, v0
	buffer_store_dword v0, off, s[0:3], s32 offset:500 ; 4-byte Folded Spill
.LBB357_784:                            ;   in Loop: Header=BB357_15 Depth=1
	s_or_b32 exec_lo, exec_lo, s22
.LBB357_785:                            ;   in Loop: Header=BB357_15 Depth=1
	s_or_b32 exec_lo, exec_lo, s21
.LBB357_786:                            ;   in Loop: Header=BB357_15 Depth=1
	s_or_b32 exec_lo, exec_lo, s20
	flat_load_dwordx2 v[29:30], v[27:28] offset:1024
	v_mov_b32_e32 v0, 0
	buffer_store_dword v0, off, s[0:3], s32 offset:508 ; 4-byte Folded Spill
	v_mov_b32_e32 v0, 0
	buffer_store_dword v0, off, s[0:3], s32 offset:504 ; 4-byte Folded Spill
	s_waitcnt vmcnt(0) lgkmcnt(0)
	v_cmp_ne_u16_sdwa s5, v29, v14 src0_sel:BYTE_0 src1_sel:DWORD
	s_and_saveexec_b32 s20, s5
	s_cbranch_execz .LBB357_794
; %bb.787:                              ;   in Loop: Header=BB357_15 Depth=1
	v_cmp_ne_u16_sdwa s5, v29, v43 src0_sel:BYTE_0 src1_sel:DWORD
	v_bfrev_b32_e32 v0, 1
	buffer_store_dword v0, off, s[0:3], s32 offset:504 ; 4-byte Folded Spill
	s_and_saveexec_b32 s21, s5
	s_cbranch_execz .LBB357_793
; %bb.788:                              ;   in Loop: Header=BB357_15 Depth=1
	v_and_b32_e32 v1, 0x7f, v29
	v_mov_b32_e32 v0, 0x7f800001
	s_mov_b32 s22, exec_lo
	buffer_store_dword v0, off, s[0:3], s32 offset:504 ; 4-byte Folded Spill
	v_cmpx_ne_u32_e32 0x7f, v1
	s_cbranch_execz .LBB357_792
; %bb.789:                              ;   in Loop: Header=BB357_15 Depth=1
	v_mov_b32_e32 v32, v30
	v_lshrrev_b32_e32 v0, 3, v1
	v_mov_b32_e32 v31, v29
	s_mov_b32 s23, exec_lo
	v_cmpx_gt_u32_e32 8, v1
; %bb.790:                              ;   in Loop: Header=BB357_15 Depth=1
	v_and_b32_e32 v0, 7, v29
	v_ffbh_u32_e32 v0, v0
	v_min_u32_e32 v0, 32, v0
	v_subrev_nc_u32_e32 v1, 28, v0
	v_sub_nc_u32_e32 v0, 29, v0
	v_lshlrev_b64 v[31:32], v1, v[29:30]
; %bb.791:                              ;   in Loop: Header=BB357_15 Depth=1
	s_or_b32 exec_lo, exec_lo, s23
	v_lshlrev_b32_e32 v1, 20, v31
	v_lshlrev_b32_e32 v2, 24, v29
	v_lshl_add_u32 v0, v0, 23, 0x3c000000
	v_and_b32_e32 v1, 0x700000, v1
	v_and_b32_e32 v2, 0x80000000, v2
	v_or3_b32 v0, v1, v2, v0
	buffer_store_dword v0, off, s[0:3], s32 offset:504 ; 4-byte Folded Spill
.LBB357_792:                            ;   in Loop: Header=BB357_15 Depth=1
	s_or_b32 exec_lo, exec_lo, s22
.LBB357_793:                            ;   in Loop: Header=BB357_15 Depth=1
	s_or_b32 exec_lo, exec_lo, s21
.LBB357_794:                            ;   in Loop: Header=BB357_15 Depth=1
	s_or_b32 exec_lo, exec_lo, s20
	v_cmp_ne_u16_sdwa s5, v29, v14 src0_sel:BYTE_1 src1_sel:DWORD
	s_and_saveexec_b32 s20, s5
	s_cbranch_execz .LBB357_802
; %bb.795:                              ;   in Loop: Header=BB357_15 Depth=1
	v_cmp_ne_u16_sdwa s5, v29, v43 src0_sel:BYTE_1 src1_sel:DWORD
	v_bfrev_b32_e32 v0, 1
	buffer_store_dword v0, off, s[0:3], s32 offset:508 ; 4-byte Folded Spill
	s_and_saveexec_b32 s21, s5
	s_cbranch_execz .LBB357_801
; %bb.796:                              ;   in Loop: Header=BB357_15 Depth=1
	v_mov_b32_e32 v0, 0xffff
	v_mov_b32_e32 v2, 0x7f800001
	s_mov_b32 s22, exec_lo
	v_and_b32_sdwa v0, v0, v29 dst_sel:DWORD dst_unused:UNUSED_PAD src0_sel:DWORD src1_sel:BYTE_1
	buffer_store_dword v2, off, s[0:3], s32 offset:508 ; 4-byte Folded Spill
	v_and_b32_e32 v1, 0x7f, v0
	v_cmpx_ne_u32_e32 0x7f, v1
	s_cbranch_execz .LBB357_800
; %bb.797:                              ;   in Loop: Header=BB357_15 Depth=1
	v_and_b32_e32 v13, 7, v0
	v_mov_b32_e32 v32, v14
	v_lshrrev_b32_e32 v0, 3, v1
	s_mov_b32 s23, exec_lo
	v_mov_b32_e32 v31, v13
	v_cmpx_gt_u32_e32 8, v1
; %bb.798:                              ;   in Loop: Header=BB357_15 Depth=1
	v_ffbh_u32_e32 v0, v13
	v_min_u32_e32 v0, 32, v0
	v_subrev_nc_u32_e32 v1, 28, v0
	v_sub_nc_u32_e32 v0, 29, v0
	v_lshlrev_b64 v[1:2], v1, v[13:14]
	v_and_b32_e32 v31, 7, v1
; %bb.799:                              ;   in Loop: Header=BB357_15 Depth=1
	s_or_b32 exec_lo, exec_lo, s23
	v_lshlrev_b32_e32 v1, 16, v29
	v_lshlrev_b32_e32 v2, 20, v31
	v_lshl_add_u32 v0, v0, 23, 0x3c000000
	v_and_b32_e32 v1, 0x80000000, v1
	v_or3_b32 v0, v2, v1, v0
	buffer_store_dword v0, off, s[0:3], s32 offset:508 ; 4-byte Folded Spill
.LBB357_800:                            ;   in Loop: Header=BB357_15 Depth=1
	s_or_b32 exec_lo, exec_lo, s22
.LBB357_801:                            ;   in Loop: Header=BB357_15 Depth=1
	s_or_b32 exec_lo, exec_lo, s21
.LBB357_802:                            ;   in Loop: Header=BB357_15 Depth=1
	s_or_b32 exec_lo, exec_lo, s20
	v_mov_b32_e32 v1, 0
	v_and_b32_sdwa v0, v29, v3 dst_sel:DWORD dst_unused:UNUSED_PAD src0_sel:WORD_1 src1_sel:DWORD
	s_mov_b32 s20, exec_lo
	buffer_store_dword v1, off, s[0:3], s32 offset:512 ; 4-byte Folded Spill
	v_mov_b32_e32 v1, 0
	buffer_store_dword v1, off, s[0:3], s32 offset:748 ; 4-byte Folded Spill
	v_cmpx_ne_u16_e32 0, v0
	s_cbranch_execz .LBB357_810
; %bb.803:                              ;   in Loop: Header=BB357_15 Depth=1
	v_cmp_ne_u16_e64 s5, 0x80, v0
	v_bfrev_b32_e32 v0, 1
	s_and_saveexec_b32 s21, s5
	s_cbranch_execz .LBB357_809
; %bb.804:                              ;   in Loop: Header=BB357_15 Depth=1
	v_bfe_u32 v1, v29, 16, 7
	v_mov_b32_e32 v0, 0x7f800001
	s_mov_b32 s22, exec_lo
	v_cmpx_ne_u32_e32 0x7f, v1
	s_cbranch_execz .LBB357_808
; %bb.805:                              ;   in Loop: Header=BB357_15 Depth=1
	v_mov_b32_e32 v0, 7
	s_mov_b32 s23, exec_lo
	v_and_b32_sdwa v13, v29, v0 dst_sel:DWORD dst_unused:UNUSED_PAD src0_sel:WORD_1 src1_sel:DWORD
	v_mov_b32_e32 v32, v14
	v_lshrrev_b32_e32 v0, 3, v1
	v_mov_b32_e32 v31, v13
	v_cmpx_gt_u32_e32 8, v1
; %bb.806:                              ;   in Loop: Header=BB357_15 Depth=1
	v_ffbh_u32_e32 v0, v13
	v_min_u32_e32 v0, 32, v0
	v_subrev_nc_u32_e32 v1, 28, v0
	v_sub_nc_u32_e32 v0, 29, v0
	v_lshlrev_b64 v[1:2], v1, v[13:14]
	v_and_b32_e32 v31, 7, v1
; %bb.807:                              ;   in Loop: Header=BB357_15 Depth=1
	s_or_b32 exec_lo, exec_lo, s23
	v_mov_b32_e32 v1, 24
	v_lshlrev_b32_e32 v2, 20, v31
	v_lshl_add_u32 v0, v0, 23, 0x3c000000
	v_lshlrev_b32_sdwa v1, v1, v29 dst_sel:DWORD dst_unused:UNUSED_PAD src0_sel:DWORD src1_sel:WORD_1
	v_and_b32_e32 v1, 0x80000000, v1
	v_or3_b32 v0, v2, v1, v0
.LBB357_808:                            ;   in Loop: Header=BB357_15 Depth=1
	s_or_b32 exec_lo, exec_lo, s22
.LBB357_809:                            ;   in Loop: Header=BB357_15 Depth=1
	s_or_b32 exec_lo, exec_lo, s21
	buffer_store_dword v0, off, s[0:3], s32 offset:748 ; 4-byte Folded Spill
.LBB357_810:                            ;   in Loop: Header=BB357_15 Depth=1
	s_or_b32 exec_lo, exec_lo, s20
	s_mov_b32 s20, exec_lo
	v_cmpx_lt_u32_e32 0xffffff, v29
	s_cbranch_execz .LBB357_818
; %bb.811:                              ;   in Loop: Header=BB357_15 Depth=1
	v_cmp_ne_u32_sdwa s5, v29, v43 src0_sel:BYTE_3 src1_sel:DWORD
	v_bfrev_b32_e32 v0, 1
	buffer_store_dword v0, off, s[0:3], s32 offset:512 ; 4-byte Folded Spill
	s_and_saveexec_b32 s21, s5
	s_cbranch_execz .LBB357_817
; %bb.812:                              ;   in Loop: Header=BB357_15 Depth=1
	v_bfe_u32 v1, v29, 24, 7
	v_mov_b32_e32 v0, 0x7f800001
	s_mov_b32 s22, exec_lo
	buffer_store_dword v0, off, s[0:3], s32 offset:512 ; 4-byte Folded Spill
	v_cmpx_ne_u32_e32 0x7f, v1
	s_cbranch_execz .LBB357_816
; %bb.813:                              ;   in Loop: Header=BB357_15 Depth=1
	v_mov_b32_e32 v0, 7
	s_mov_b32 s23, exec_lo
	v_and_b32_sdwa v13, v29, v0 dst_sel:DWORD dst_unused:UNUSED_PAD src0_sel:BYTE_3 src1_sel:DWORD
	v_mov_b32_e32 v32, v14
	v_lshrrev_b32_e32 v0, 3, v1
	v_mov_b32_e32 v31, v13
	v_cmpx_gt_u32_e32 8, v1
; %bb.814:                              ;   in Loop: Header=BB357_15 Depth=1
	v_ffbh_u32_e32 v0, v13
	v_min_u32_e32 v0, 32, v0
	v_subrev_nc_u32_e32 v1, 28, v0
	v_sub_nc_u32_e32 v0, 29, v0
	v_lshlrev_b64 v[1:2], v1, v[13:14]
	v_and_b32_e32 v31, 7, v1
; %bb.815:                              ;   in Loop: Header=BB357_15 Depth=1
	s_or_b32 exec_lo, exec_lo, s23
	v_mov_b32_e32 v1, 24
	v_lshlrev_b32_e32 v2, 20, v31
	v_lshl_add_u32 v0, v0, 23, 0x3c000000
	v_lshlrev_b32_sdwa v1, v1, v29 dst_sel:DWORD dst_unused:UNUSED_PAD src0_sel:DWORD src1_sel:BYTE_3
	v_and_b32_e32 v1, 0x80000000, v1
	v_or3_b32 v0, v2, v1, v0
	buffer_store_dword v0, off, s[0:3], s32 offset:512 ; 4-byte Folded Spill
.LBB357_816:                            ;   in Loop: Header=BB357_15 Depth=1
	s_or_b32 exec_lo, exec_lo, s22
.LBB357_817:                            ;   in Loop: Header=BB357_15 Depth=1
	s_or_b32 exec_lo, exec_lo, s21
.LBB357_818:                            ;   in Loop: Header=BB357_15 Depth=1
	s_or_b32 exec_lo, exec_lo, s20
	v_mov_b32_e32 v0, 0
	v_mov_b32_e32 v13, v30
	v_cmp_ne_u16_sdwa s5, v30, v14 src0_sel:BYTE_0 src1_sel:DWORD
	buffer_store_dword v0, off, s[0:3], s32 offset:520 ; 4-byte Folded Spill
	v_mov_b32_e32 v0, 0
	buffer_store_dword v0, off, s[0:3], s32 offset:516 ; 4-byte Folded Spill
	s_and_saveexec_b32 s20, s5
	s_cbranch_execz .LBB357_826
; %bb.819:                              ;   in Loop: Header=BB357_15 Depth=1
	v_cmp_ne_u16_sdwa s5, v30, v43 src0_sel:BYTE_0 src1_sel:DWORD
	v_bfrev_b32_e32 v0, 1
	buffer_store_dword v0, off, s[0:3], s32 offset:516 ; 4-byte Folded Spill
	s_and_saveexec_b32 s21, s5
	s_cbranch_execz .LBB357_825
; %bb.820:                              ;   in Loop: Header=BB357_15 Depth=1
	v_and_b32_e32 v1, 0x7f, v30
	v_mov_b32_e32 v0, 0x7f800001
	s_mov_b32 s22, exec_lo
	buffer_store_dword v0, off, s[0:3], s32 offset:516 ; 4-byte Folded Spill
	v_cmpx_ne_u32_e32 0x7f, v1
	s_cbranch_execz .LBB357_824
; %bb.821:                              ;   in Loop: Header=BB357_15 Depth=1
	v_mov_b32_e32 v32, v14
	v_lshrrev_b32_e32 v0, 3, v1
	v_mov_b32_e32 v31, v13
	s_mov_b32 s23, exec_lo
	v_cmpx_gt_u32_e32 8, v1
; %bb.822:                              ;   in Loop: Header=BB357_15 Depth=1
	v_and_b32_e32 v0, 7, v30
	v_ffbh_u32_e32 v0, v0
	v_min_u32_e32 v0, 32, v0
	v_subrev_nc_u32_e32 v1, 28, v0
	v_sub_nc_u32_e32 v0, 29, v0
	v_lshlrev_b64 v[31:32], v1, v[13:14]
; %bb.823:                              ;   in Loop: Header=BB357_15 Depth=1
	s_or_b32 exec_lo, exec_lo, s23
	v_lshlrev_b32_e32 v1, 20, v31
	v_lshlrev_b32_e32 v2, 24, v13
	v_lshl_add_u32 v0, v0, 23, 0x3c000000
	v_and_b32_e32 v1, 0x700000, v1
	v_and_b32_e32 v2, 0x80000000, v2
	v_or3_b32 v0, v1, v2, v0
	buffer_store_dword v0, off, s[0:3], s32 offset:516 ; 4-byte Folded Spill
.LBB357_824:                            ;   in Loop: Header=BB357_15 Depth=1
	s_or_b32 exec_lo, exec_lo, s22
.LBB357_825:                            ;   in Loop: Header=BB357_15 Depth=1
	s_or_b32 exec_lo, exec_lo, s21
.LBB357_826:                            ;   in Loop: Header=BB357_15 Depth=1
	s_or_b32 exec_lo, exec_lo, s20
	v_cmp_ne_u16_sdwa s5, v13, v14 src0_sel:BYTE_1 src1_sel:DWORD
	s_and_saveexec_b32 s20, s5
	s_cbranch_execz .LBB357_834
; %bb.827:                              ;   in Loop: Header=BB357_15 Depth=1
	v_cmp_ne_u16_sdwa s5, v13, v43 src0_sel:BYTE_1 src1_sel:DWORD
	v_bfrev_b32_e32 v0, 1
	buffer_store_dword v0, off, s[0:3], s32 offset:520 ; 4-byte Folded Spill
	s_and_saveexec_b32 s21, s5
	s_cbranch_execz .LBB357_833
; %bb.828:                              ;   in Loop: Header=BB357_15 Depth=1
	v_mov_b32_e32 v0, 0xffff
	v_mov_b32_e32 v2, 0x7f800001
	s_mov_b32 s22, exec_lo
	v_and_b32_sdwa v0, v0, v13 dst_sel:DWORD dst_unused:UNUSED_PAD src0_sel:DWORD src1_sel:BYTE_1
	buffer_store_dword v2, off, s[0:3], s32 offset:520 ; 4-byte Folded Spill
	v_and_b32_e32 v1, 0x7f, v0
	v_cmpx_ne_u32_e32 0x7f, v1
	s_cbranch_execz .LBB357_832
; %bb.829:                              ;   in Loop: Header=BB357_15 Depth=1
	v_and_b32_e32 v31, 7, v0
	v_mov_b32_e32 v32, v14
	v_lshrrev_b32_e32 v0, 3, v1
	s_mov_b32 s23, exec_lo
	v_cmpx_gt_u32_e32 8, v1
; %bb.830:                              ;   in Loop: Header=BB357_15 Depth=1
	v_ffbh_u32_e32 v0, v31
	v_min_u32_e32 v0, 32, v0
	v_subrev_nc_u32_e32 v1, 28, v0
	v_sub_nc_u32_e32 v0, 29, v0
	v_lshlrev_b64 v[1:2], v1, v[31:32]
	v_and_b32_e32 v31, 7, v1
; %bb.831:                              ;   in Loop: Header=BB357_15 Depth=1
	s_or_b32 exec_lo, exec_lo, s23
	v_lshlrev_b32_e32 v1, 16, v13
	v_lshlrev_b32_e32 v2, 20, v31
	v_lshl_add_u32 v0, v0, 23, 0x3c000000
	v_and_b32_e32 v1, 0x80000000, v1
	v_or3_b32 v0, v2, v1, v0
	buffer_store_dword v0, off, s[0:3], s32 offset:520 ; 4-byte Folded Spill
.LBB357_832:                            ;   in Loop: Header=BB357_15 Depth=1
	s_or_b32 exec_lo, exec_lo, s22
.LBB357_833:                            ;   in Loop: Header=BB357_15 Depth=1
	s_or_b32 exec_lo, exec_lo, s21
.LBB357_834:                            ;   in Loop: Header=BB357_15 Depth=1
	s_or_b32 exec_lo, exec_lo, s20
	v_mov_b32_e32 v1, 0
	v_and_b32_sdwa v0, v30, v3 dst_sel:DWORD dst_unused:UNUSED_PAD src0_sel:WORD_1 src1_sel:DWORD
	s_mov_b32 s20, exec_lo
	buffer_store_dword v1, off, s[0:3], s32 offset:524 ; 4-byte Folded Spill
	v_mov_b32_e32 v1, 0
	buffer_store_dword v1, off, s[0:3], s32 offset:752 ; 4-byte Folded Spill
	v_cmpx_ne_u16_e32 0, v0
	s_cbranch_execz .LBB357_842
; %bb.835:                              ;   in Loop: Header=BB357_15 Depth=1
	v_cmp_ne_u16_e64 s5, 0x80, v0
	v_bfrev_b32_e32 v0, 1
	s_and_saveexec_b32 s21, s5
	s_cbranch_execz .LBB357_841
; %bb.836:                              ;   in Loop: Header=BB357_15 Depth=1
	v_bfe_u32 v1, v30, 16, 7
	v_mov_b32_e32 v0, 0x7f800001
	s_mov_b32 s22, exec_lo
	v_cmpx_ne_u32_e32 0x7f, v1
	s_cbranch_execz .LBB357_840
; %bb.837:                              ;   in Loop: Header=BB357_15 Depth=1
	v_mov_b32_e32 v0, 7
	s_mov_b32 s23, exec_lo
	v_and_b32_sdwa v13, v30, v0 dst_sel:DWORD dst_unused:UNUSED_PAD src0_sel:WORD_1 src1_sel:DWORD
	v_mov_b32_e32 v32, v14
	v_lshrrev_b32_e32 v0, 3, v1
	v_mov_b32_e32 v31, v13
	v_cmpx_gt_u32_e32 8, v1
; %bb.838:                              ;   in Loop: Header=BB357_15 Depth=1
	v_ffbh_u32_e32 v0, v13
	v_min_u32_e32 v0, 32, v0
	v_subrev_nc_u32_e32 v1, 28, v0
	v_sub_nc_u32_e32 v0, 29, v0
	v_lshlrev_b64 v[1:2], v1, v[13:14]
	v_and_b32_e32 v31, 7, v1
; %bb.839:                              ;   in Loop: Header=BB357_15 Depth=1
	s_or_b32 exec_lo, exec_lo, s23
	v_mov_b32_e32 v1, 24
	v_lshlrev_b32_e32 v2, 20, v31
	v_lshl_add_u32 v0, v0, 23, 0x3c000000
	v_lshlrev_b32_sdwa v1, v1, v30 dst_sel:DWORD dst_unused:UNUSED_PAD src0_sel:DWORD src1_sel:WORD_1
	v_and_b32_e32 v1, 0x80000000, v1
	v_or3_b32 v0, v2, v1, v0
.LBB357_840:                            ;   in Loop: Header=BB357_15 Depth=1
	s_or_b32 exec_lo, exec_lo, s22
.LBB357_841:                            ;   in Loop: Header=BB357_15 Depth=1
	s_or_b32 exec_lo, exec_lo, s21
	buffer_store_dword v0, off, s[0:3], s32 offset:752 ; 4-byte Folded Spill
.LBB357_842:                            ;   in Loop: Header=BB357_15 Depth=1
	s_or_b32 exec_lo, exec_lo, s20
	s_mov_b32 s20, exec_lo
	v_cmpx_lt_u64_e64 s[12:13], v[29:30]
	s_cbranch_execz .LBB357_850
; %bb.843:                              ;   in Loop: Header=BB357_15 Depth=1
	v_cmp_ne_u32_sdwa s5, v30, v43 src0_sel:BYTE_3 src1_sel:DWORD
	v_bfrev_b32_e32 v0, 1
	buffer_store_dword v0, off, s[0:3], s32 offset:524 ; 4-byte Folded Spill
	s_and_saveexec_b32 s21, s5
	s_cbranch_execz .LBB357_849
; %bb.844:                              ;   in Loop: Header=BB357_15 Depth=1
	v_bfe_u32 v1, v30, 24, 7
	v_mov_b32_e32 v0, 0x7f800001
	s_mov_b32 s22, exec_lo
	buffer_store_dword v0, off, s[0:3], s32 offset:524 ; 4-byte Folded Spill
	v_cmpx_ne_u32_e32 0x7f, v1
	s_cbranch_execz .LBB357_848
; %bb.845:                              ;   in Loop: Header=BB357_15 Depth=1
	v_mov_b32_e32 v0, 7
	s_mov_b32 s23, exec_lo
	v_and_b32_sdwa v13, v30, v0 dst_sel:DWORD dst_unused:UNUSED_PAD src0_sel:BYTE_3 src1_sel:DWORD
	v_mov_b32_e32 v32, v14
	v_lshrrev_b32_e32 v0, 3, v1
	v_mov_b32_e32 v31, v13
	v_cmpx_gt_u32_e32 8, v1
; %bb.846:                              ;   in Loop: Header=BB357_15 Depth=1
	v_ffbh_u32_e32 v0, v13
	v_min_u32_e32 v0, 32, v0
	v_subrev_nc_u32_e32 v1, 28, v0
	v_sub_nc_u32_e32 v0, 29, v0
	v_lshlrev_b64 v[1:2], v1, v[13:14]
	v_and_b32_e32 v31, 7, v1
; %bb.847:                              ;   in Loop: Header=BB357_15 Depth=1
	s_or_b32 exec_lo, exec_lo, s23
	v_mov_b32_e32 v1, 24
	v_lshlrev_b32_e32 v2, 20, v31
	v_lshl_add_u32 v0, v0, 23, 0x3c000000
	v_lshlrev_b32_sdwa v1, v1, v30 dst_sel:DWORD dst_unused:UNUSED_PAD src0_sel:DWORD src1_sel:BYTE_3
	v_and_b32_e32 v1, 0x80000000, v1
	v_or3_b32 v0, v2, v1, v0
	buffer_store_dword v0, off, s[0:3], s32 offset:524 ; 4-byte Folded Spill
.LBB357_848:                            ;   in Loop: Header=BB357_15 Depth=1
	s_or_b32 exec_lo, exec_lo, s22
.LBB357_849:                            ;   in Loop: Header=BB357_15 Depth=1
	s_or_b32 exec_lo, exec_lo, s21
.LBB357_850:                            ;   in Loop: Header=BB357_15 Depth=1
	s_or_b32 exec_lo, exec_lo, s20
	flat_load_dwordx2 v[29:30], v[27:28] offset:1032
	v_mov_b32_e32 v0, 0
	buffer_store_dword v0, off, s[0:3], s32 offset:532 ; 4-byte Folded Spill
	v_mov_b32_e32 v0, 0
	buffer_store_dword v0, off, s[0:3], s32 offset:528 ; 4-byte Folded Spill
	s_waitcnt vmcnt(0) lgkmcnt(0)
	v_cmp_ne_u16_sdwa s5, v29, v14 src0_sel:BYTE_0 src1_sel:DWORD
	s_and_saveexec_b32 s20, s5
	s_cbranch_execz .LBB357_858
; %bb.851:                              ;   in Loop: Header=BB357_15 Depth=1
	v_cmp_ne_u16_sdwa s5, v29, v43 src0_sel:BYTE_0 src1_sel:DWORD
	v_bfrev_b32_e32 v0, 1
	buffer_store_dword v0, off, s[0:3], s32 offset:528 ; 4-byte Folded Spill
	s_and_saveexec_b32 s21, s5
	s_cbranch_execz .LBB357_857
; %bb.852:                              ;   in Loop: Header=BB357_15 Depth=1
	v_and_b32_e32 v1, 0x7f, v29
	v_mov_b32_e32 v0, 0x7f800001
	s_mov_b32 s22, exec_lo
	buffer_store_dword v0, off, s[0:3], s32 offset:528 ; 4-byte Folded Spill
	v_cmpx_ne_u32_e32 0x7f, v1
	s_cbranch_execz .LBB357_856
; %bb.853:                              ;   in Loop: Header=BB357_15 Depth=1
	v_mov_b32_e32 v32, v30
	v_lshrrev_b32_e32 v0, 3, v1
	v_mov_b32_e32 v31, v29
	s_mov_b32 s23, exec_lo
	v_cmpx_gt_u32_e32 8, v1
; %bb.854:                              ;   in Loop: Header=BB357_15 Depth=1
	v_and_b32_e32 v0, 7, v29
	v_ffbh_u32_e32 v0, v0
	v_min_u32_e32 v0, 32, v0
	v_subrev_nc_u32_e32 v1, 28, v0
	v_sub_nc_u32_e32 v0, 29, v0
	v_lshlrev_b64 v[31:32], v1, v[29:30]
; %bb.855:                              ;   in Loop: Header=BB357_15 Depth=1
	s_or_b32 exec_lo, exec_lo, s23
	v_lshlrev_b32_e32 v1, 20, v31
	v_lshlrev_b32_e32 v2, 24, v29
	v_lshl_add_u32 v0, v0, 23, 0x3c000000
	v_and_b32_e32 v1, 0x700000, v1
	v_and_b32_e32 v2, 0x80000000, v2
	v_or3_b32 v0, v1, v2, v0
	buffer_store_dword v0, off, s[0:3], s32 offset:528 ; 4-byte Folded Spill
.LBB357_856:                            ;   in Loop: Header=BB357_15 Depth=1
	s_or_b32 exec_lo, exec_lo, s22
.LBB357_857:                            ;   in Loop: Header=BB357_15 Depth=1
	s_or_b32 exec_lo, exec_lo, s21
.LBB357_858:                            ;   in Loop: Header=BB357_15 Depth=1
	s_or_b32 exec_lo, exec_lo, s20
	v_cmp_ne_u16_sdwa s5, v29, v14 src0_sel:BYTE_1 src1_sel:DWORD
	s_and_saveexec_b32 s20, s5
	s_cbranch_execz .LBB357_866
; %bb.859:                              ;   in Loop: Header=BB357_15 Depth=1
	v_cmp_ne_u16_sdwa s5, v29, v43 src0_sel:BYTE_1 src1_sel:DWORD
	v_bfrev_b32_e32 v0, 1
	buffer_store_dword v0, off, s[0:3], s32 offset:532 ; 4-byte Folded Spill
	s_and_saveexec_b32 s21, s5
	s_cbranch_execz .LBB357_865
; %bb.860:                              ;   in Loop: Header=BB357_15 Depth=1
	v_mov_b32_e32 v0, 0xffff
	v_mov_b32_e32 v2, 0x7f800001
	s_mov_b32 s22, exec_lo
	v_and_b32_sdwa v0, v0, v29 dst_sel:DWORD dst_unused:UNUSED_PAD src0_sel:DWORD src1_sel:BYTE_1
	buffer_store_dword v2, off, s[0:3], s32 offset:532 ; 4-byte Folded Spill
	v_and_b32_e32 v1, 0x7f, v0
	v_cmpx_ne_u32_e32 0x7f, v1
	s_cbranch_execz .LBB357_864
; %bb.861:                              ;   in Loop: Header=BB357_15 Depth=1
	v_and_b32_e32 v13, 7, v0
	v_mov_b32_e32 v32, v14
	v_lshrrev_b32_e32 v0, 3, v1
	s_mov_b32 s23, exec_lo
	v_mov_b32_e32 v31, v13
	v_cmpx_gt_u32_e32 8, v1
; %bb.862:                              ;   in Loop: Header=BB357_15 Depth=1
	v_ffbh_u32_e32 v0, v13
	v_min_u32_e32 v0, 32, v0
	v_subrev_nc_u32_e32 v1, 28, v0
	v_sub_nc_u32_e32 v0, 29, v0
	v_lshlrev_b64 v[1:2], v1, v[13:14]
	v_and_b32_e32 v31, 7, v1
; %bb.863:                              ;   in Loop: Header=BB357_15 Depth=1
	s_or_b32 exec_lo, exec_lo, s23
	v_lshlrev_b32_e32 v1, 16, v29
	v_lshlrev_b32_e32 v2, 20, v31
	v_lshl_add_u32 v0, v0, 23, 0x3c000000
	v_and_b32_e32 v1, 0x80000000, v1
	v_or3_b32 v0, v2, v1, v0
	buffer_store_dword v0, off, s[0:3], s32 offset:532 ; 4-byte Folded Spill
.LBB357_864:                            ;   in Loop: Header=BB357_15 Depth=1
	s_or_b32 exec_lo, exec_lo, s22
.LBB357_865:                            ;   in Loop: Header=BB357_15 Depth=1
	s_or_b32 exec_lo, exec_lo, s21
.LBB357_866:                            ;   in Loop: Header=BB357_15 Depth=1
	s_or_b32 exec_lo, exec_lo, s20
	v_mov_b32_e32 v1, 0
	v_and_b32_sdwa v0, v29, v3 dst_sel:DWORD dst_unused:UNUSED_PAD src0_sel:WORD_1 src1_sel:DWORD
	s_mov_b32 s20, exec_lo
	buffer_store_dword v1, off, s[0:3], s32 offset:536 ; 4-byte Folded Spill
	v_mov_b32_e32 v1, 0
	buffer_store_dword v1, off, s[0:3], s32 offset:756 ; 4-byte Folded Spill
	v_cmpx_ne_u16_e32 0, v0
	s_cbranch_execz .LBB357_874
; %bb.867:                              ;   in Loop: Header=BB357_15 Depth=1
	v_cmp_ne_u16_e64 s5, 0x80, v0
	v_bfrev_b32_e32 v0, 1
	s_and_saveexec_b32 s21, s5
	s_cbranch_execz .LBB357_873
; %bb.868:                              ;   in Loop: Header=BB357_15 Depth=1
	v_bfe_u32 v1, v29, 16, 7
	v_mov_b32_e32 v0, 0x7f800001
	s_mov_b32 s22, exec_lo
	v_cmpx_ne_u32_e32 0x7f, v1
	s_cbranch_execz .LBB357_872
; %bb.869:                              ;   in Loop: Header=BB357_15 Depth=1
	v_mov_b32_e32 v0, 7
	s_mov_b32 s23, exec_lo
	v_and_b32_sdwa v13, v29, v0 dst_sel:DWORD dst_unused:UNUSED_PAD src0_sel:WORD_1 src1_sel:DWORD
	v_mov_b32_e32 v32, v14
	v_lshrrev_b32_e32 v0, 3, v1
	v_mov_b32_e32 v31, v13
	v_cmpx_gt_u32_e32 8, v1
; %bb.870:                              ;   in Loop: Header=BB357_15 Depth=1
	v_ffbh_u32_e32 v0, v13
	v_min_u32_e32 v0, 32, v0
	v_subrev_nc_u32_e32 v1, 28, v0
	v_sub_nc_u32_e32 v0, 29, v0
	v_lshlrev_b64 v[1:2], v1, v[13:14]
	v_and_b32_e32 v31, 7, v1
; %bb.871:                              ;   in Loop: Header=BB357_15 Depth=1
	s_or_b32 exec_lo, exec_lo, s23
	v_mov_b32_e32 v1, 24
	v_lshlrev_b32_e32 v2, 20, v31
	v_lshl_add_u32 v0, v0, 23, 0x3c000000
	v_lshlrev_b32_sdwa v1, v1, v29 dst_sel:DWORD dst_unused:UNUSED_PAD src0_sel:DWORD src1_sel:WORD_1
	v_and_b32_e32 v1, 0x80000000, v1
	v_or3_b32 v0, v2, v1, v0
.LBB357_872:                            ;   in Loop: Header=BB357_15 Depth=1
	s_or_b32 exec_lo, exec_lo, s22
.LBB357_873:                            ;   in Loop: Header=BB357_15 Depth=1
	s_or_b32 exec_lo, exec_lo, s21
	buffer_store_dword v0, off, s[0:3], s32 offset:756 ; 4-byte Folded Spill
.LBB357_874:                            ;   in Loop: Header=BB357_15 Depth=1
	s_or_b32 exec_lo, exec_lo, s20
	s_mov_b32 s20, exec_lo
	v_cmpx_lt_u32_e32 0xffffff, v29
	s_cbranch_execz .LBB357_882
; %bb.875:                              ;   in Loop: Header=BB357_15 Depth=1
	v_cmp_ne_u32_sdwa s5, v29, v43 src0_sel:BYTE_3 src1_sel:DWORD
	v_bfrev_b32_e32 v0, 1
	buffer_store_dword v0, off, s[0:3], s32 offset:536 ; 4-byte Folded Spill
	s_and_saveexec_b32 s21, s5
	s_cbranch_execz .LBB357_881
; %bb.876:                              ;   in Loop: Header=BB357_15 Depth=1
	v_bfe_u32 v1, v29, 24, 7
	v_mov_b32_e32 v0, 0x7f800001
	s_mov_b32 s22, exec_lo
	buffer_store_dword v0, off, s[0:3], s32 offset:536 ; 4-byte Folded Spill
	v_cmpx_ne_u32_e32 0x7f, v1
	s_cbranch_execz .LBB357_880
; %bb.877:                              ;   in Loop: Header=BB357_15 Depth=1
	v_mov_b32_e32 v0, 7
	s_mov_b32 s23, exec_lo
	v_and_b32_sdwa v13, v29, v0 dst_sel:DWORD dst_unused:UNUSED_PAD src0_sel:BYTE_3 src1_sel:DWORD
	v_mov_b32_e32 v32, v14
	v_lshrrev_b32_e32 v0, 3, v1
	v_mov_b32_e32 v31, v13
	v_cmpx_gt_u32_e32 8, v1
; %bb.878:                              ;   in Loop: Header=BB357_15 Depth=1
	v_ffbh_u32_e32 v0, v13
	v_min_u32_e32 v0, 32, v0
	v_subrev_nc_u32_e32 v1, 28, v0
	v_sub_nc_u32_e32 v0, 29, v0
	v_lshlrev_b64 v[1:2], v1, v[13:14]
	v_and_b32_e32 v31, 7, v1
; %bb.879:                              ;   in Loop: Header=BB357_15 Depth=1
	s_or_b32 exec_lo, exec_lo, s23
	v_mov_b32_e32 v1, 24
	v_lshlrev_b32_e32 v2, 20, v31
	v_lshl_add_u32 v0, v0, 23, 0x3c000000
	v_lshlrev_b32_sdwa v1, v1, v29 dst_sel:DWORD dst_unused:UNUSED_PAD src0_sel:DWORD src1_sel:BYTE_3
	v_and_b32_e32 v1, 0x80000000, v1
	v_or3_b32 v0, v2, v1, v0
	buffer_store_dword v0, off, s[0:3], s32 offset:536 ; 4-byte Folded Spill
.LBB357_880:                            ;   in Loop: Header=BB357_15 Depth=1
	s_or_b32 exec_lo, exec_lo, s22
.LBB357_881:                            ;   in Loop: Header=BB357_15 Depth=1
	s_or_b32 exec_lo, exec_lo, s21
.LBB357_882:                            ;   in Loop: Header=BB357_15 Depth=1
	s_or_b32 exec_lo, exec_lo, s20
	v_mov_b32_e32 v0, 0
	v_mov_b32_e32 v13, v30
	v_cmp_ne_u16_sdwa s5, v30, v14 src0_sel:BYTE_0 src1_sel:DWORD
	buffer_store_dword v0, off, s[0:3], s32 offset:544 ; 4-byte Folded Spill
	v_mov_b32_e32 v0, 0
	buffer_store_dword v0, off, s[0:3], s32 offset:540 ; 4-byte Folded Spill
	s_and_saveexec_b32 s20, s5
	s_cbranch_execz .LBB357_890
; %bb.883:                              ;   in Loop: Header=BB357_15 Depth=1
	v_cmp_ne_u16_sdwa s5, v30, v43 src0_sel:BYTE_0 src1_sel:DWORD
	v_bfrev_b32_e32 v0, 1
	buffer_store_dword v0, off, s[0:3], s32 offset:540 ; 4-byte Folded Spill
	s_and_saveexec_b32 s21, s5
	s_cbranch_execz .LBB357_889
; %bb.884:                              ;   in Loop: Header=BB357_15 Depth=1
	v_and_b32_e32 v1, 0x7f, v30
	v_mov_b32_e32 v0, 0x7f800001
	s_mov_b32 s22, exec_lo
	buffer_store_dword v0, off, s[0:3], s32 offset:540 ; 4-byte Folded Spill
	v_cmpx_ne_u32_e32 0x7f, v1
	s_cbranch_execz .LBB357_888
; %bb.885:                              ;   in Loop: Header=BB357_15 Depth=1
	v_mov_b32_e32 v32, v14
	v_lshrrev_b32_e32 v0, 3, v1
	v_mov_b32_e32 v31, v13
	s_mov_b32 s23, exec_lo
	v_cmpx_gt_u32_e32 8, v1
; %bb.886:                              ;   in Loop: Header=BB357_15 Depth=1
	v_and_b32_e32 v0, 7, v30
	v_ffbh_u32_e32 v0, v0
	v_min_u32_e32 v0, 32, v0
	v_subrev_nc_u32_e32 v1, 28, v0
	v_sub_nc_u32_e32 v0, 29, v0
	v_lshlrev_b64 v[31:32], v1, v[13:14]
; %bb.887:                              ;   in Loop: Header=BB357_15 Depth=1
	s_or_b32 exec_lo, exec_lo, s23
	v_lshlrev_b32_e32 v1, 20, v31
	v_lshlrev_b32_e32 v2, 24, v13
	v_lshl_add_u32 v0, v0, 23, 0x3c000000
	v_and_b32_e32 v1, 0x700000, v1
	v_and_b32_e32 v2, 0x80000000, v2
	v_or3_b32 v0, v1, v2, v0
	buffer_store_dword v0, off, s[0:3], s32 offset:540 ; 4-byte Folded Spill
.LBB357_888:                            ;   in Loop: Header=BB357_15 Depth=1
	s_or_b32 exec_lo, exec_lo, s22
.LBB357_889:                            ;   in Loop: Header=BB357_15 Depth=1
	s_or_b32 exec_lo, exec_lo, s21
.LBB357_890:                            ;   in Loop: Header=BB357_15 Depth=1
	s_or_b32 exec_lo, exec_lo, s20
	v_cmp_ne_u16_sdwa s5, v13, v14 src0_sel:BYTE_1 src1_sel:DWORD
	s_and_saveexec_b32 s20, s5
	s_cbranch_execz .LBB357_898
; %bb.891:                              ;   in Loop: Header=BB357_15 Depth=1
	v_cmp_ne_u16_sdwa s5, v13, v43 src0_sel:BYTE_1 src1_sel:DWORD
	v_bfrev_b32_e32 v0, 1
	buffer_store_dword v0, off, s[0:3], s32 offset:544 ; 4-byte Folded Spill
	s_and_saveexec_b32 s21, s5
	s_cbranch_execz .LBB357_897
; %bb.892:                              ;   in Loop: Header=BB357_15 Depth=1
	v_mov_b32_e32 v0, 0xffff
	v_mov_b32_e32 v2, 0x7f800001
	s_mov_b32 s22, exec_lo
	v_and_b32_sdwa v0, v0, v13 dst_sel:DWORD dst_unused:UNUSED_PAD src0_sel:DWORD src1_sel:BYTE_1
	buffer_store_dword v2, off, s[0:3], s32 offset:544 ; 4-byte Folded Spill
	v_and_b32_e32 v1, 0x7f, v0
	v_cmpx_ne_u32_e32 0x7f, v1
	s_cbranch_execz .LBB357_896
; %bb.893:                              ;   in Loop: Header=BB357_15 Depth=1
	v_and_b32_e32 v31, 7, v0
	v_mov_b32_e32 v32, v14
	v_lshrrev_b32_e32 v0, 3, v1
	s_mov_b32 s23, exec_lo
	v_cmpx_gt_u32_e32 8, v1
; %bb.894:                              ;   in Loop: Header=BB357_15 Depth=1
	v_ffbh_u32_e32 v0, v31
	v_min_u32_e32 v0, 32, v0
	v_subrev_nc_u32_e32 v1, 28, v0
	v_sub_nc_u32_e32 v0, 29, v0
	v_lshlrev_b64 v[1:2], v1, v[31:32]
	v_and_b32_e32 v31, 7, v1
; %bb.895:                              ;   in Loop: Header=BB357_15 Depth=1
	s_or_b32 exec_lo, exec_lo, s23
	v_lshlrev_b32_e32 v1, 16, v13
	v_lshlrev_b32_e32 v2, 20, v31
	v_lshl_add_u32 v0, v0, 23, 0x3c000000
	v_and_b32_e32 v1, 0x80000000, v1
	v_or3_b32 v0, v2, v1, v0
	buffer_store_dword v0, off, s[0:3], s32 offset:544 ; 4-byte Folded Spill
.LBB357_896:                            ;   in Loop: Header=BB357_15 Depth=1
	s_or_b32 exec_lo, exec_lo, s22
.LBB357_897:                            ;   in Loop: Header=BB357_15 Depth=1
	s_or_b32 exec_lo, exec_lo, s21
.LBB357_898:                            ;   in Loop: Header=BB357_15 Depth=1
	s_or_b32 exec_lo, exec_lo, s20
	v_mov_b32_e32 v1, 0
	v_and_b32_sdwa v0, v30, v3 dst_sel:DWORD dst_unused:UNUSED_PAD src0_sel:WORD_1 src1_sel:DWORD
	s_mov_b32 s20, exec_lo
	buffer_store_dword v1, off, s[0:3], s32 offset:548 ; 4-byte Folded Spill
	v_mov_b32_e32 v1, 0
	buffer_store_dword v1, off, s[0:3], s32 offset:760 ; 4-byte Folded Spill
	v_cmpx_ne_u16_e32 0, v0
	s_cbranch_execz .LBB357_906
; %bb.899:                              ;   in Loop: Header=BB357_15 Depth=1
	v_cmp_ne_u16_e64 s5, 0x80, v0
	v_bfrev_b32_e32 v0, 1
	s_and_saveexec_b32 s21, s5
	s_cbranch_execz .LBB357_905
; %bb.900:                              ;   in Loop: Header=BB357_15 Depth=1
	v_bfe_u32 v1, v30, 16, 7
	v_mov_b32_e32 v0, 0x7f800001
	s_mov_b32 s22, exec_lo
	v_cmpx_ne_u32_e32 0x7f, v1
	s_cbranch_execz .LBB357_904
; %bb.901:                              ;   in Loop: Header=BB357_15 Depth=1
	v_mov_b32_e32 v0, 7
	s_mov_b32 s23, exec_lo
	v_and_b32_sdwa v13, v30, v0 dst_sel:DWORD dst_unused:UNUSED_PAD src0_sel:WORD_1 src1_sel:DWORD
	v_mov_b32_e32 v32, v14
	v_lshrrev_b32_e32 v0, 3, v1
	v_mov_b32_e32 v31, v13
	v_cmpx_gt_u32_e32 8, v1
; %bb.902:                              ;   in Loop: Header=BB357_15 Depth=1
	v_ffbh_u32_e32 v0, v13
	v_min_u32_e32 v0, 32, v0
	v_subrev_nc_u32_e32 v1, 28, v0
	v_sub_nc_u32_e32 v0, 29, v0
	v_lshlrev_b64 v[1:2], v1, v[13:14]
	v_and_b32_e32 v31, 7, v1
; %bb.903:                              ;   in Loop: Header=BB357_15 Depth=1
	s_or_b32 exec_lo, exec_lo, s23
	v_mov_b32_e32 v1, 24
	v_lshlrev_b32_e32 v2, 20, v31
	v_lshl_add_u32 v0, v0, 23, 0x3c000000
	v_lshlrev_b32_sdwa v1, v1, v30 dst_sel:DWORD dst_unused:UNUSED_PAD src0_sel:DWORD src1_sel:WORD_1
	v_and_b32_e32 v1, 0x80000000, v1
	v_or3_b32 v0, v2, v1, v0
.LBB357_904:                            ;   in Loop: Header=BB357_15 Depth=1
	s_or_b32 exec_lo, exec_lo, s22
.LBB357_905:                            ;   in Loop: Header=BB357_15 Depth=1
	s_or_b32 exec_lo, exec_lo, s21
	buffer_store_dword v0, off, s[0:3], s32 offset:760 ; 4-byte Folded Spill
.LBB357_906:                            ;   in Loop: Header=BB357_15 Depth=1
	s_or_b32 exec_lo, exec_lo, s20
	s_mov_b32 s20, exec_lo
	v_cmpx_lt_u64_e64 s[12:13], v[29:30]
	s_cbranch_execz .LBB357_914
; %bb.907:                              ;   in Loop: Header=BB357_15 Depth=1
	v_cmp_ne_u32_sdwa s5, v30, v43 src0_sel:BYTE_3 src1_sel:DWORD
	v_bfrev_b32_e32 v0, 1
	buffer_store_dword v0, off, s[0:3], s32 offset:548 ; 4-byte Folded Spill
	s_and_saveexec_b32 s21, s5
	s_cbranch_execz .LBB357_913
; %bb.908:                              ;   in Loop: Header=BB357_15 Depth=1
	v_bfe_u32 v1, v30, 24, 7
	v_mov_b32_e32 v0, 0x7f800001
	s_mov_b32 s22, exec_lo
	buffer_store_dword v0, off, s[0:3], s32 offset:548 ; 4-byte Folded Spill
	v_cmpx_ne_u32_e32 0x7f, v1
	s_cbranch_execz .LBB357_912
; %bb.909:                              ;   in Loop: Header=BB357_15 Depth=1
	v_mov_b32_e32 v0, 7
	s_mov_b32 s23, exec_lo
	v_and_b32_sdwa v13, v30, v0 dst_sel:DWORD dst_unused:UNUSED_PAD src0_sel:BYTE_3 src1_sel:DWORD
	v_mov_b32_e32 v32, v14
	v_lshrrev_b32_e32 v0, 3, v1
	v_mov_b32_e32 v31, v13
	v_cmpx_gt_u32_e32 8, v1
; %bb.910:                              ;   in Loop: Header=BB357_15 Depth=1
	v_ffbh_u32_e32 v0, v13
	v_min_u32_e32 v0, 32, v0
	v_subrev_nc_u32_e32 v1, 28, v0
	v_sub_nc_u32_e32 v0, 29, v0
	v_lshlrev_b64 v[1:2], v1, v[13:14]
	v_and_b32_e32 v31, 7, v1
; %bb.911:                              ;   in Loop: Header=BB357_15 Depth=1
	s_or_b32 exec_lo, exec_lo, s23
	v_mov_b32_e32 v1, 24
	v_lshlrev_b32_e32 v2, 20, v31
	v_lshl_add_u32 v0, v0, 23, 0x3c000000
	v_lshlrev_b32_sdwa v1, v1, v30 dst_sel:DWORD dst_unused:UNUSED_PAD src0_sel:DWORD src1_sel:BYTE_3
	v_and_b32_e32 v1, 0x80000000, v1
	v_or3_b32 v0, v2, v1, v0
	buffer_store_dword v0, off, s[0:3], s32 offset:548 ; 4-byte Folded Spill
.LBB357_912:                            ;   in Loop: Header=BB357_15 Depth=1
	s_or_b32 exec_lo, exec_lo, s22
.LBB357_913:                            ;   in Loop: Header=BB357_15 Depth=1
	s_or_b32 exec_lo, exec_lo, s21
.LBB357_914:                            ;   in Loop: Header=BB357_15 Depth=1
	s_or_b32 exec_lo, exec_lo, s20
	flat_load_dwordx2 v[29:30], v[27:28] offset:1536
	v_mov_b32_e32 v0, 0
	buffer_store_dword v0, off, s[0:3], s32 offset:556 ; 4-byte Folded Spill
	v_mov_b32_e32 v0, 0
	buffer_store_dword v0, off, s[0:3], s32 offset:552 ; 4-byte Folded Spill
	s_waitcnt vmcnt(0) lgkmcnt(0)
	v_cmp_ne_u16_sdwa s5, v29, v14 src0_sel:BYTE_0 src1_sel:DWORD
	s_and_saveexec_b32 s20, s5
	s_cbranch_execz .LBB357_922
; %bb.915:                              ;   in Loop: Header=BB357_15 Depth=1
	v_cmp_ne_u16_sdwa s5, v29, v43 src0_sel:BYTE_0 src1_sel:DWORD
	v_bfrev_b32_e32 v0, 1
	buffer_store_dword v0, off, s[0:3], s32 offset:552 ; 4-byte Folded Spill
	s_and_saveexec_b32 s21, s5
	s_cbranch_execz .LBB357_921
; %bb.916:                              ;   in Loop: Header=BB357_15 Depth=1
	v_and_b32_e32 v1, 0x7f, v29
	v_mov_b32_e32 v0, 0x7f800001
	s_mov_b32 s22, exec_lo
	buffer_store_dword v0, off, s[0:3], s32 offset:552 ; 4-byte Folded Spill
	v_cmpx_ne_u32_e32 0x7f, v1
	s_cbranch_execz .LBB357_920
; %bb.917:                              ;   in Loop: Header=BB357_15 Depth=1
	v_mov_b32_e32 v32, v30
	v_lshrrev_b32_e32 v0, 3, v1
	v_mov_b32_e32 v31, v29
	s_mov_b32 s23, exec_lo
	v_cmpx_gt_u32_e32 8, v1
; %bb.918:                              ;   in Loop: Header=BB357_15 Depth=1
	v_and_b32_e32 v0, 7, v29
	v_ffbh_u32_e32 v0, v0
	v_min_u32_e32 v0, 32, v0
	v_subrev_nc_u32_e32 v1, 28, v0
	v_sub_nc_u32_e32 v0, 29, v0
	v_lshlrev_b64 v[31:32], v1, v[29:30]
; %bb.919:                              ;   in Loop: Header=BB357_15 Depth=1
	s_or_b32 exec_lo, exec_lo, s23
	v_lshlrev_b32_e32 v1, 20, v31
	v_lshlrev_b32_e32 v2, 24, v29
	v_lshl_add_u32 v0, v0, 23, 0x3c000000
	v_and_b32_e32 v1, 0x700000, v1
	v_and_b32_e32 v2, 0x80000000, v2
	v_or3_b32 v0, v1, v2, v0
	buffer_store_dword v0, off, s[0:3], s32 offset:552 ; 4-byte Folded Spill
.LBB357_920:                            ;   in Loop: Header=BB357_15 Depth=1
	s_or_b32 exec_lo, exec_lo, s22
.LBB357_921:                            ;   in Loop: Header=BB357_15 Depth=1
	s_or_b32 exec_lo, exec_lo, s21
.LBB357_922:                            ;   in Loop: Header=BB357_15 Depth=1
	s_or_b32 exec_lo, exec_lo, s20
	v_cmp_ne_u16_sdwa s5, v29, v14 src0_sel:BYTE_1 src1_sel:DWORD
	s_and_saveexec_b32 s20, s5
	s_cbranch_execz .LBB357_930
; %bb.923:                              ;   in Loop: Header=BB357_15 Depth=1
	v_cmp_ne_u16_sdwa s5, v29, v43 src0_sel:BYTE_1 src1_sel:DWORD
	v_bfrev_b32_e32 v0, 1
	buffer_store_dword v0, off, s[0:3], s32 offset:556 ; 4-byte Folded Spill
	s_and_saveexec_b32 s21, s5
	s_cbranch_execz .LBB357_929
; %bb.924:                              ;   in Loop: Header=BB357_15 Depth=1
	v_mov_b32_e32 v0, 0xffff
	v_mov_b32_e32 v2, 0x7f800001
	s_mov_b32 s22, exec_lo
	v_and_b32_sdwa v0, v0, v29 dst_sel:DWORD dst_unused:UNUSED_PAD src0_sel:DWORD src1_sel:BYTE_1
	buffer_store_dword v2, off, s[0:3], s32 offset:556 ; 4-byte Folded Spill
	v_and_b32_e32 v1, 0x7f, v0
	v_cmpx_ne_u32_e32 0x7f, v1
	s_cbranch_execz .LBB357_928
; %bb.925:                              ;   in Loop: Header=BB357_15 Depth=1
	v_and_b32_e32 v13, 7, v0
	v_mov_b32_e32 v32, v14
	v_lshrrev_b32_e32 v0, 3, v1
	s_mov_b32 s23, exec_lo
	v_mov_b32_e32 v31, v13
	v_cmpx_gt_u32_e32 8, v1
; %bb.926:                              ;   in Loop: Header=BB357_15 Depth=1
	v_ffbh_u32_e32 v0, v13
	v_min_u32_e32 v0, 32, v0
	v_subrev_nc_u32_e32 v1, 28, v0
	v_sub_nc_u32_e32 v0, 29, v0
	v_lshlrev_b64 v[1:2], v1, v[13:14]
	v_and_b32_e32 v31, 7, v1
; %bb.927:                              ;   in Loop: Header=BB357_15 Depth=1
	s_or_b32 exec_lo, exec_lo, s23
	v_lshlrev_b32_e32 v1, 16, v29
	v_lshlrev_b32_e32 v2, 20, v31
	v_lshl_add_u32 v0, v0, 23, 0x3c000000
	v_and_b32_e32 v1, 0x80000000, v1
	v_or3_b32 v0, v2, v1, v0
	buffer_store_dword v0, off, s[0:3], s32 offset:556 ; 4-byte Folded Spill
.LBB357_928:                            ;   in Loop: Header=BB357_15 Depth=1
	s_or_b32 exec_lo, exec_lo, s22
.LBB357_929:                            ;   in Loop: Header=BB357_15 Depth=1
	s_or_b32 exec_lo, exec_lo, s21
.LBB357_930:                            ;   in Loop: Header=BB357_15 Depth=1
	s_or_b32 exec_lo, exec_lo, s20
	v_mov_b32_e32 v1, 0
	v_and_b32_sdwa v0, v29, v3 dst_sel:DWORD dst_unused:UNUSED_PAD src0_sel:WORD_1 src1_sel:DWORD
	s_mov_b32 s20, exec_lo
	buffer_store_dword v1, off, s[0:3], s32 offset:560 ; 4-byte Folded Spill
	v_mov_b32_e32 v1, 0
	buffer_store_dword v1, off, s[0:3], s32 offset:764 ; 4-byte Folded Spill
	v_cmpx_ne_u16_e32 0, v0
	s_cbranch_execz .LBB357_938
; %bb.931:                              ;   in Loop: Header=BB357_15 Depth=1
	v_cmp_ne_u16_e64 s5, 0x80, v0
	v_bfrev_b32_e32 v0, 1
	s_and_saveexec_b32 s21, s5
	s_cbranch_execz .LBB357_937
; %bb.932:                              ;   in Loop: Header=BB357_15 Depth=1
	v_bfe_u32 v1, v29, 16, 7
	v_mov_b32_e32 v0, 0x7f800001
	s_mov_b32 s22, exec_lo
	v_cmpx_ne_u32_e32 0x7f, v1
	s_cbranch_execz .LBB357_936
; %bb.933:                              ;   in Loop: Header=BB357_15 Depth=1
	v_mov_b32_e32 v0, 7
	s_mov_b32 s23, exec_lo
	v_and_b32_sdwa v13, v29, v0 dst_sel:DWORD dst_unused:UNUSED_PAD src0_sel:WORD_1 src1_sel:DWORD
	v_mov_b32_e32 v32, v14
	v_lshrrev_b32_e32 v0, 3, v1
	v_mov_b32_e32 v31, v13
	v_cmpx_gt_u32_e32 8, v1
; %bb.934:                              ;   in Loop: Header=BB357_15 Depth=1
	v_ffbh_u32_e32 v0, v13
	v_min_u32_e32 v0, 32, v0
	v_subrev_nc_u32_e32 v1, 28, v0
	v_sub_nc_u32_e32 v0, 29, v0
	v_lshlrev_b64 v[1:2], v1, v[13:14]
	v_and_b32_e32 v31, 7, v1
; %bb.935:                              ;   in Loop: Header=BB357_15 Depth=1
	s_or_b32 exec_lo, exec_lo, s23
	v_mov_b32_e32 v1, 24
	v_lshlrev_b32_e32 v2, 20, v31
	v_lshl_add_u32 v0, v0, 23, 0x3c000000
	v_lshlrev_b32_sdwa v1, v1, v29 dst_sel:DWORD dst_unused:UNUSED_PAD src0_sel:DWORD src1_sel:WORD_1
	v_and_b32_e32 v1, 0x80000000, v1
	v_or3_b32 v0, v2, v1, v0
.LBB357_936:                            ;   in Loop: Header=BB357_15 Depth=1
	s_or_b32 exec_lo, exec_lo, s22
.LBB357_937:                            ;   in Loop: Header=BB357_15 Depth=1
	s_or_b32 exec_lo, exec_lo, s21
	buffer_store_dword v0, off, s[0:3], s32 offset:764 ; 4-byte Folded Spill
.LBB357_938:                            ;   in Loop: Header=BB357_15 Depth=1
	s_or_b32 exec_lo, exec_lo, s20
	s_mov_b32 s20, exec_lo
	v_cmpx_lt_u32_e32 0xffffff, v29
	s_cbranch_execz .LBB357_946
; %bb.939:                              ;   in Loop: Header=BB357_15 Depth=1
	v_cmp_ne_u32_sdwa s5, v29, v43 src0_sel:BYTE_3 src1_sel:DWORD
	v_bfrev_b32_e32 v0, 1
	buffer_store_dword v0, off, s[0:3], s32 offset:560 ; 4-byte Folded Spill
	s_and_saveexec_b32 s21, s5
	s_cbranch_execz .LBB357_945
; %bb.940:                              ;   in Loop: Header=BB357_15 Depth=1
	v_bfe_u32 v1, v29, 24, 7
	v_mov_b32_e32 v0, 0x7f800001
	s_mov_b32 s22, exec_lo
	buffer_store_dword v0, off, s[0:3], s32 offset:560 ; 4-byte Folded Spill
	v_cmpx_ne_u32_e32 0x7f, v1
	s_cbranch_execz .LBB357_944
; %bb.941:                              ;   in Loop: Header=BB357_15 Depth=1
	v_mov_b32_e32 v0, 7
	s_mov_b32 s23, exec_lo
	v_and_b32_sdwa v13, v29, v0 dst_sel:DWORD dst_unused:UNUSED_PAD src0_sel:BYTE_3 src1_sel:DWORD
	v_mov_b32_e32 v32, v14
	v_lshrrev_b32_e32 v0, 3, v1
	v_mov_b32_e32 v31, v13
	v_cmpx_gt_u32_e32 8, v1
; %bb.942:                              ;   in Loop: Header=BB357_15 Depth=1
	v_ffbh_u32_e32 v0, v13
	v_min_u32_e32 v0, 32, v0
	v_subrev_nc_u32_e32 v1, 28, v0
	v_sub_nc_u32_e32 v0, 29, v0
	v_lshlrev_b64 v[1:2], v1, v[13:14]
	v_and_b32_e32 v31, 7, v1
; %bb.943:                              ;   in Loop: Header=BB357_15 Depth=1
	s_or_b32 exec_lo, exec_lo, s23
	v_mov_b32_e32 v1, 24
	v_lshlrev_b32_e32 v2, 20, v31
	v_lshl_add_u32 v0, v0, 23, 0x3c000000
	v_lshlrev_b32_sdwa v1, v1, v29 dst_sel:DWORD dst_unused:UNUSED_PAD src0_sel:DWORD src1_sel:BYTE_3
	v_and_b32_e32 v1, 0x80000000, v1
	v_or3_b32 v0, v2, v1, v0
	buffer_store_dword v0, off, s[0:3], s32 offset:560 ; 4-byte Folded Spill
.LBB357_944:                            ;   in Loop: Header=BB357_15 Depth=1
	s_or_b32 exec_lo, exec_lo, s22
.LBB357_945:                            ;   in Loop: Header=BB357_15 Depth=1
	s_or_b32 exec_lo, exec_lo, s21
.LBB357_946:                            ;   in Loop: Header=BB357_15 Depth=1
	s_or_b32 exec_lo, exec_lo, s20
	v_mov_b32_e32 v0, 0
	v_mov_b32_e32 v13, v30
	v_cmp_ne_u16_sdwa s5, v30, v14 src0_sel:BYTE_0 src1_sel:DWORD
	buffer_store_dword v0, off, s[0:3], s32 offset:568 ; 4-byte Folded Spill
	v_mov_b32_e32 v0, 0
	buffer_store_dword v0, off, s[0:3], s32 offset:564 ; 4-byte Folded Spill
	s_and_saveexec_b32 s20, s5
	s_cbranch_execz .LBB357_954
; %bb.947:                              ;   in Loop: Header=BB357_15 Depth=1
	v_cmp_ne_u16_sdwa s5, v30, v43 src0_sel:BYTE_0 src1_sel:DWORD
	v_bfrev_b32_e32 v0, 1
	buffer_store_dword v0, off, s[0:3], s32 offset:564 ; 4-byte Folded Spill
	s_and_saveexec_b32 s21, s5
	s_cbranch_execz .LBB357_953
; %bb.948:                              ;   in Loop: Header=BB357_15 Depth=1
	v_and_b32_e32 v1, 0x7f, v30
	v_mov_b32_e32 v0, 0x7f800001
	s_mov_b32 s22, exec_lo
	buffer_store_dword v0, off, s[0:3], s32 offset:564 ; 4-byte Folded Spill
	v_cmpx_ne_u32_e32 0x7f, v1
	s_cbranch_execz .LBB357_952
; %bb.949:                              ;   in Loop: Header=BB357_15 Depth=1
	v_mov_b32_e32 v32, v14
	v_lshrrev_b32_e32 v0, 3, v1
	v_mov_b32_e32 v31, v13
	s_mov_b32 s23, exec_lo
	v_cmpx_gt_u32_e32 8, v1
; %bb.950:                              ;   in Loop: Header=BB357_15 Depth=1
	v_and_b32_e32 v0, 7, v30
	v_ffbh_u32_e32 v0, v0
	v_min_u32_e32 v0, 32, v0
	v_subrev_nc_u32_e32 v1, 28, v0
	v_sub_nc_u32_e32 v0, 29, v0
	v_lshlrev_b64 v[31:32], v1, v[13:14]
; %bb.951:                              ;   in Loop: Header=BB357_15 Depth=1
	s_or_b32 exec_lo, exec_lo, s23
	v_lshlrev_b32_e32 v1, 20, v31
	v_lshlrev_b32_e32 v2, 24, v13
	v_lshl_add_u32 v0, v0, 23, 0x3c000000
	v_and_b32_e32 v1, 0x700000, v1
	v_and_b32_e32 v2, 0x80000000, v2
	v_or3_b32 v0, v1, v2, v0
	buffer_store_dword v0, off, s[0:3], s32 offset:564 ; 4-byte Folded Spill
.LBB357_952:                            ;   in Loop: Header=BB357_15 Depth=1
	s_or_b32 exec_lo, exec_lo, s22
.LBB357_953:                            ;   in Loop: Header=BB357_15 Depth=1
	s_or_b32 exec_lo, exec_lo, s21
.LBB357_954:                            ;   in Loop: Header=BB357_15 Depth=1
	s_or_b32 exec_lo, exec_lo, s20
	v_cmp_ne_u16_sdwa s5, v13, v14 src0_sel:BYTE_1 src1_sel:DWORD
	s_and_saveexec_b32 s20, s5
	s_cbranch_execz .LBB357_962
; %bb.955:                              ;   in Loop: Header=BB357_15 Depth=1
	v_cmp_ne_u16_sdwa s5, v13, v43 src0_sel:BYTE_1 src1_sel:DWORD
	v_bfrev_b32_e32 v0, 1
	buffer_store_dword v0, off, s[0:3], s32 offset:568 ; 4-byte Folded Spill
	s_and_saveexec_b32 s21, s5
	s_cbranch_execz .LBB357_961
; %bb.956:                              ;   in Loop: Header=BB357_15 Depth=1
	v_mov_b32_e32 v0, 0xffff
	v_mov_b32_e32 v2, 0x7f800001
	s_mov_b32 s22, exec_lo
	v_and_b32_sdwa v0, v0, v13 dst_sel:DWORD dst_unused:UNUSED_PAD src0_sel:DWORD src1_sel:BYTE_1
	buffer_store_dword v2, off, s[0:3], s32 offset:568 ; 4-byte Folded Spill
	v_and_b32_e32 v1, 0x7f, v0
	v_cmpx_ne_u32_e32 0x7f, v1
	s_cbranch_execz .LBB357_960
; %bb.957:                              ;   in Loop: Header=BB357_15 Depth=1
	v_and_b32_e32 v31, 7, v0
	v_mov_b32_e32 v32, v14
	v_lshrrev_b32_e32 v0, 3, v1
	s_mov_b32 s23, exec_lo
	v_cmpx_gt_u32_e32 8, v1
; %bb.958:                              ;   in Loop: Header=BB357_15 Depth=1
	v_ffbh_u32_e32 v0, v31
	v_min_u32_e32 v0, 32, v0
	v_subrev_nc_u32_e32 v1, 28, v0
	v_sub_nc_u32_e32 v0, 29, v0
	v_lshlrev_b64 v[1:2], v1, v[31:32]
	v_and_b32_e32 v31, 7, v1
; %bb.959:                              ;   in Loop: Header=BB357_15 Depth=1
	s_or_b32 exec_lo, exec_lo, s23
	v_lshlrev_b32_e32 v1, 16, v13
	v_lshlrev_b32_e32 v2, 20, v31
	v_lshl_add_u32 v0, v0, 23, 0x3c000000
	v_and_b32_e32 v1, 0x80000000, v1
	v_or3_b32 v0, v2, v1, v0
	buffer_store_dword v0, off, s[0:3], s32 offset:568 ; 4-byte Folded Spill
.LBB357_960:                            ;   in Loop: Header=BB357_15 Depth=1
	s_or_b32 exec_lo, exec_lo, s22
.LBB357_961:                            ;   in Loop: Header=BB357_15 Depth=1
	s_or_b32 exec_lo, exec_lo, s21
.LBB357_962:                            ;   in Loop: Header=BB357_15 Depth=1
	s_or_b32 exec_lo, exec_lo, s20
	v_mov_b32_e32 v1, 0
	v_and_b32_sdwa v0, v30, v3 dst_sel:DWORD dst_unused:UNUSED_PAD src0_sel:WORD_1 src1_sel:DWORD
	s_mov_b32 s20, exec_lo
	buffer_store_dword v1, off, s[0:3], s32 offset:572 ; 4-byte Folded Spill
	v_mov_b32_e32 v1, 0
	buffer_store_dword v1, off, s[0:3], s32 offset:768 ; 4-byte Folded Spill
	v_cmpx_ne_u16_e32 0, v0
	s_cbranch_execz .LBB357_970
; %bb.963:                              ;   in Loop: Header=BB357_15 Depth=1
	v_cmp_ne_u16_e64 s5, 0x80, v0
	v_bfrev_b32_e32 v0, 1
	s_and_saveexec_b32 s21, s5
	s_cbranch_execz .LBB357_969
; %bb.964:                              ;   in Loop: Header=BB357_15 Depth=1
	v_bfe_u32 v1, v30, 16, 7
	v_mov_b32_e32 v0, 0x7f800001
	s_mov_b32 s22, exec_lo
	v_cmpx_ne_u32_e32 0x7f, v1
	s_cbranch_execz .LBB357_968
; %bb.965:                              ;   in Loop: Header=BB357_15 Depth=1
	v_mov_b32_e32 v0, 7
	s_mov_b32 s23, exec_lo
	v_and_b32_sdwa v13, v30, v0 dst_sel:DWORD dst_unused:UNUSED_PAD src0_sel:WORD_1 src1_sel:DWORD
	v_mov_b32_e32 v32, v14
	v_lshrrev_b32_e32 v0, 3, v1
	v_mov_b32_e32 v31, v13
	v_cmpx_gt_u32_e32 8, v1
; %bb.966:                              ;   in Loop: Header=BB357_15 Depth=1
	v_ffbh_u32_e32 v0, v13
	v_min_u32_e32 v0, 32, v0
	v_subrev_nc_u32_e32 v1, 28, v0
	v_sub_nc_u32_e32 v0, 29, v0
	v_lshlrev_b64 v[1:2], v1, v[13:14]
	v_and_b32_e32 v31, 7, v1
; %bb.967:                              ;   in Loop: Header=BB357_15 Depth=1
	s_or_b32 exec_lo, exec_lo, s23
	v_mov_b32_e32 v1, 24
	v_lshlrev_b32_e32 v2, 20, v31
	v_lshl_add_u32 v0, v0, 23, 0x3c000000
	v_lshlrev_b32_sdwa v1, v1, v30 dst_sel:DWORD dst_unused:UNUSED_PAD src0_sel:DWORD src1_sel:WORD_1
	v_and_b32_e32 v1, 0x80000000, v1
	v_or3_b32 v0, v2, v1, v0
.LBB357_968:                            ;   in Loop: Header=BB357_15 Depth=1
	s_or_b32 exec_lo, exec_lo, s22
.LBB357_969:                            ;   in Loop: Header=BB357_15 Depth=1
	s_or_b32 exec_lo, exec_lo, s21
	buffer_store_dword v0, off, s[0:3], s32 offset:768 ; 4-byte Folded Spill
.LBB357_970:                            ;   in Loop: Header=BB357_15 Depth=1
	s_or_b32 exec_lo, exec_lo, s20
	s_mov_b32 s20, exec_lo
	v_cmpx_lt_u64_e64 s[12:13], v[29:30]
	s_cbranch_execz .LBB357_978
; %bb.971:                              ;   in Loop: Header=BB357_15 Depth=1
	v_cmp_ne_u32_sdwa s5, v30, v43 src0_sel:BYTE_3 src1_sel:DWORD
	v_bfrev_b32_e32 v0, 1
	buffer_store_dword v0, off, s[0:3], s32 offset:572 ; 4-byte Folded Spill
	s_and_saveexec_b32 s21, s5
	s_cbranch_execz .LBB357_977
; %bb.972:                              ;   in Loop: Header=BB357_15 Depth=1
	v_bfe_u32 v1, v30, 24, 7
	v_mov_b32_e32 v0, 0x7f800001
	s_mov_b32 s22, exec_lo
	buffer_store_dword v0, off, s[0:3], s32 offset:572 ; 4-byte Folded Spill
	v_cmpx_ne_u32_e32 0x7f, v1
	s_cbranch_execz .LBB357_976
; %bb.973:                              ;   in Loop: Header=BB357_15 Depth=1
	v_mov_b32_e32 v0, 7
	s_mov_b32 s23, exec_lo
	v_and_b32_sdwa v13, v30, v0 dst_sel:DWORD dst_unused:UNUSED_PAD src0_sel:BYTE_3 src1_sel:DWORD
	v_mov_b32_e32 v32, v14
	v_lshrrev_b32_e32 v0, 3, v1
	v_mov_b32_e32 v31, v13
	v_cmpx_gt_u32_e32 8, v1
; %bb.974:                              ;   in Loop: Header=BB357_15 Depth=1
	v_ffbh_u32_e32 v0, v13
	v_min_u32_e32 v0, 32, v0
	v_subrev_nc_u32_e32 v1, 28, v0
	v_sub_nc_u32_e32 v0, 29, v0
	v_lshlrev_b64 v[1:2], v1, v[13:14]
	v_and_b32_e32 v31, 7, v1
; %bb.975:                              ;   in Loop: Header=BB357_15 Depth=1
	s_or_b32 exec_lo, exec_lo, s23
	v_mov_b32_e32 v1, 24
	v_lshlrev_b32_e32 v2, 20, v31
	v_lshl_add_u32 v0, v0, 23, 0x3c000000
	v_lshlrev_b32_sdwa v1, v1, v30 dst_sel:DWORD dst_unused:UNUSED_PAD src0_sel:DWORD src1_sel:BYTE_3
	v_and_b32_e32 v1, 0x80000000, v1
	v_or3_b32 v0, v2, v1, v0
	buffer_store_dword v0, off, s[0:3], s32 offset:572 ; 4-byte Folded Spill
.LBB357_976:                            ;   in Loop: Header=BB357_15 Depth=1
	s_or_b32 exec_lo, exec_lo, s22
.LBB357_977:                            ;   in Loop: Header=BB357_15 Depth=1
	s_or_b32 exec_lo, exec_lo, s21
.LBB357_978:                            ;   in Loop: Header=BB357_15 Depth=1
	s_or_b32 exec_lo, exec_lo, s20
	flat_load_dwordx2 v[27:28], v[27:28] offset:1544
	v_mov_b32_e32 v0, 0
	buffer_store_dword v0, off, s[0:3], s32 offset:580 ; 4-byte Folded Spill
	v_mov_b32_e32 v0, 0
	buffer_store_dword v0, off, s[0:3], s32 offset:576 ; 4-byte Folded Spill
	s_waitcnt vmcnt(0) lgkmcnt(0)
	v_cmp_ne_u16_sdwa s5, v27, v14 src0_sel:BYTE_0 src1_sel:DWORD
	s_and_saveexec_b32 s20, s5
	s_cbranch_execz .LBB357_986
; %bb.979:                              ;   in Loop: Header=BB357_15 Depth=1
	v_cmp_ne_u16_sdwa s5, v27, v43 src0_sel:BYTE_0 src1_sel:DWORD
	v_bfrev_b32_e32 v0, 1
	buffer_store_dword v0, off, s[0:3], s32 offset:576 ; 4-byte Folded Spill
	s_and_saveexec_b32 s21, s5
	s_cbranch_execz .LBB357_985
; %bb.980:                              ;   in Loop: Header=BB357_15 Depth=1
	v_and_b32_e32 v1, 0x7f, v27
	v_mov_b32_e32 v0, 0x7f800001
	s_mov_b32 s22, exec_lo
	buffer_store_dword v0, off, s[0:3], s32 offset:576 ; 4-byte Folded Spill
	v_cmpx_ne_u32_e32 0x7f, v1
	s_cbranch_execz .LBB357_984
; %bb.981:                              ;   in Loop: Header=BB357_15 Depth=1
	v_mov_b32_e32 v30, v28
	v_lshrrev_b32_e32 v0, 3, v1
	v_mov_b32_e32 v29, v27
	s_mov_b32 s23, exec_lo
	v_cmpx_gt_u32_e32 8, v1
; %bb.982:                              ;   in Loop: Header=BB357_15 Depth=1
	v_and_b32_e32 v0, 7, v27
	v_ffbh_u32_e32 v0, v0
	v_min_u32_e32 v0, 32, v0
	v_subrev_nc_u32_e32 v1, 28, v0
	v_sub_nc_u32_e32 v0, 29, v0
	v_lshlrev_b64 v[29:30], v1, v[27:28]
; %bb.983:                              ;   in Loop: Header=BB357_15 Depth=1
	s_or_b32 exec_lo, exec_lo, s23
	v_lshlrev_b32_e32 v1, 20, v29
	v_lshlrev_b32_e32 v2, 24, v27
	v_lshl_add_u32 v0, v0, 23, 0x3c000000
	v_and_b32_e32 v1, 0x700000, v1
	v_and_b32_e32 v2, 0x80000000, v2
	v_or3_b32 v0, v1, v2, v0
	buffer_store_dword v0, off, s[0:3], s32 offset:576 ; 4-byte Folded Spill
.LBB357_984:                            ;   in Loop: Header=BB357_15 Depth=1
	s_or_b32 exec_lo, exec_lo, s22
.LBB357_985:                            ;   in Loop: Header=BB357_15 Depth=1
	s_or_b32 exec_lo, exec_lo, s21
.LBB357_986:                            ;   in Loop: Header=BB357_15 Depth=1
	s_or_b32 exec_lo, exec_lo, s20
	v_cmp_ne_u16_sdwa s5, v27, v14 src0_sel:BYTE_1 src1_sel:DWORD
	s_and_saveexec_b32 s20, s5
	s_cbranch_execz .LBB357_994
; %bb.987:                              ;   in Loop: Header=BB357_15 Depth=1
	v_cmp_ne_u16_sdwa s5, v27, v43 src0_sel:BYTE_1 src1_sel:DWORD
	v_bfrev_b32_e32 v0, 1
	buffer_store_dword v0, off, s[0:3], s32 offset:580 ; 4-byte Folded Spill
	s_and_saveexec_b32 s21, s5
	s_cbranch_execz .LBB357_993
; %bb.988:                              ;   in Loop: Header=BB357_15 Depth=1
	v_mov_b32_e32 v0, 0xffff
	v_mov_b32_e32 v2, 0x7f800001
	s_mov_b32 s22, exec_lo
	v_and_b32_sdwa v0, v0, v27 dst_sel:DWORD dst_unused:UNUSED_PAD src0_sel:DWORD src1_sel:BYTE_1
	buffer_store_dword v2, off, s[0:3], s32 offset:580 ; 4-byte Folded Spill
	v_and_b32_e32 v1, 0x7f, v0
	v_cmpx_ne_u32_e32 0x7f, v1
	s_cbranch_execz .LBB357_992
; %bb.989:                              ;   in Loop: Header=BB357_15 Depth=1
	v_and_b32_e32 v13, 7, v0
	v_mov_b32_e32 v30, v14
	v_lshrrev_b32_e32 v0, 3, v1
	s_mov_b32 s23, exec_lo
	v_mov_b32_e32 v29, v13
	v_cmpx_gt_u32_e32 8, v1
; %bb.990:                              ;   in Loop: Header=BB357_15 Depth=1
	v_ffbh_u32_e32 v0, v13
	v_min_u32_e32 v0, 32, v0
	v_subrev_nc_u32_e32 v1, 28, v0
	v_sub_nc_u32_e32 v0, 29, v0
	v_lshlrev_b64 v[1:2], v1, v[13:14]
	v_and_b32_e32 v29, 7, v1
; %bb.991:                              ;   in Loop: Header=BB357_15 Depth=1
	s_or_b32 exec_lo, exec_lo, s23
	v_lshlrev_b32_e32 v1, 16, v27
	v_lshlrev_b32_e32 v2, 20, v29
	v_lshl_add_u32 v0, v0, 23, 0x3c000000
	v_and_b32_e32 v1, 0x80000000, v1
	v_or3_b32 v0, v2, v1, v0
	buffer_store_dword v0, off, s[0:3], s32 offset:580 ; 4-byte Folded Spill
.LBB357_992:                            ;   in Loop: Header=BB357_15 Depth=1
	s_or_b32 exec_lo, exec_lo, s22
.LBB357_993:                            ;   in Loop: Header=BB357_15 Depth=1
	s_or_b32 exec_lo, exec_lo, s21
.LBB357_994:                            ;   in Loop: Header=BB357_15 Depth=1
	s_or_b32 exec_lo, exec_lo, s20
	v_mov_b32_e32 v1, 0
	v_and_b32_sdwa v0, v27, v3 dst_sel:DWORD dst_unused:UNUSED_PAD src0_sel:WORD_1 src1_sel:DWORD
	s_mov_b32 s20, exec_lo
	buffer_store_dword v1, off, s[0:3], s32 offset:584 ; 4-byte Folded Spill
	v_mov_b32_e32 v1, 0
	buffer_store_dword v1, off, s[0:3], s32 offset:772 ; 4-byte Folded Spill
	v_cmpx_ne_u16_e32 0, v0
	s_cbranch_execz .LBB357_1002
; %bb.995:                              ;   in Loop: Header=BB357_15 Depth=1
	v_cmp_ne_u16_e64 s5, 0x80, v0
	v_bfrev_b32_e32 v0, 1
	s_and_saveexec_b32 s21, s5
	s_cbranch_execz .LBB357_1001
; %bb.996:                              ;   in Loop: Header=BB357_15 Depth=1
	v_bfe_u32 v1, v27, 16, 7
	v_mov_b32_e32 v0, 0x7f800001
	s_mov_b32 s22, exec_lo
	v_cmpx_ne_u32_e32 0x7f, v1
	s_cbranch_execz .LBB357_1000
; %bb.997:                              ;   in Loop: Header=BB357_15 Depth=1
	v_mov_b32_e32 v0, 7
	s_mov_b32 s23, exec_lo
	v_and_b32_sdwa v13, v27, v0 dst_sel:DWORD dst_unused:UNUSED_PAD src0_sel:WORD_1 src1_sel:DWORD
	v_mov_b32_e32 v30, v14
	v_lshrrev_b32_e32 v0, 3, v1
	v_mov_b32_e32 v29, v13
	v_cmpx_gt_u32_e32 8, v1
; %bb.998:                              ;   in Loop: Header=BB357_15 Depth=1
	v_ffbh_u32_e32 v0, v13
	v_min_u32_e32 v0, 32, v0
	v_subrev_nc_u32_e32 v1, 28, v0
	v_sub_nc_u32_e32 v0, 29, v0
	v_lshlrev_b64 v[1:2], v1, v[13:14]
	v_and_b32_e32 v29, 7, v1
; %bb.999:                              ;   in Loop: Header=BB357_15 Depth=1
	s_or_b32 exec_lo, exec_lo, s23
	v_mov_b32_e32 v1, 24
	v_lshlrev_b32_e32 v2, 20, v29
	v_lshl_add_u32 v0, v0, 23, 0x3c000000
	v_lshlrev_b32_sdwa v1, v1, v27 dst_sel:DWORD dst_unused:UNUSED_PAD src0_sel:DWORD src1_sel:WORD_1
	v_and_b32_e32 v1, 0x80000000, v1
	v_or3_b32 v0, v2, v1, v0
.LBB357_1000:                           ;   in Loop: Header=BB357_15 Depth=1
	s_or_b32 exec_lo, exec_lo, s22
.LBB357_1001:                           ;   in Loop: Header=BB357_15 Depth=1
	s_or_b32 exec_lo, exec_lo, s21
	buffer_store_dword v0, off, s[0:3], s32 offset:772 ; 4-byte Folded Spill
.LBB357_1002:                           ;   in Loop: Header=BB357_15 Depth=1
	s_or_b32 exec_lo, exec_lo, s20
	s_mov_b32 s20, exec_lo
	v_cmpx_lt_u32_e32 0xffffff, v27
	s_cbranch_execz .LBB357_1010
; %bb.1003:                             ;   in Loop: Header=BB357_15 Depth=1
	v_cmp_ne_u32_sdwa s5, v27, v43 src0_sel:BYTE_3 src1_sel:DWORD
	v_bfrev_b32_e32 v0, 1
	buffer_store_dword v0, off, s[0:3], s32 offset:584 ; 4-byte Folded Spill
	s_and_saveexec_b32 s21, s5
	s_cbranch_execz .LBB357_1009
; %bb.1004:                             ;   in Loop: Header=BB357_15 Depth=1
	v_bfe_u32 v1, v27, 24, 7
	v_mov_b32_e32 v0, 0x7f800001
	s_mov_b32 s22, exec_lo
	buffer_store_dword v0, off, s[0:3], s32 offset:584 ; 4-byte Folded Spill
	v_cmpx_ne_u32_e32 0x7f, v1
	s_cbranch_execz .LBB357_1008
; %bb.1005:                             ;   in Loop: Header=BB357_15 Depth=1
	v_mov_b32_e32 v0, 7
	s_mov_b32 s23, exec_lo
	v_and_b32_sdwa v13, v27, v0 dst_sel:DWORD dst_unused:UNUSED_PAD src0_sel:BYTE_3 src1_sel:DWORD
	v_mov_b32_e32 v30, v14
	v_lshrrev_b32_e32 v0, 3, v1
	v_mov_b32_e32 v29, v13
	v_cmpx_gt_u32_e32 8, v1
; %bb.1006:                             ;   in Loop: Header=BB357_15 Depth=1
	v_ffbh_u32_e32 v0, v13
	v_min_u32_e32 v0, 32, v0
	v_subrev_nc_u32_e32 v1, 28, v0
	v_sub_nc_u32_e32 v0, 29, v0
	v_lshlrev_b64 v[1:2], v1, v[13:14]
	v_and_b32_e32 v29, 7, v1
; %bb.1007:                             ;   in Loop: Header=BB357_15 Depth=1
	s_or_b32 exec_lo, exec_lo, s23
	v_mov_b32_e32 v1, 24
	v_lshlrev_b32_e32 v2, 20, v29
	v_lshl_add_u32 v0, v0, 23, 0x3c000000
	v_lshlrev_b32_sdwa v1, v1, v27 dst_sel:DWORD dst_unused:UNUSED_PAD src0_sel:DWORD src1_sel:BYTE_3
	v_and_b32_e32 v1, 0x80000000, v1
	v_or3_b32 v0, v2, v1, v0
	buffer_store_dword v0, off, s[0:3], s32 offset:584 ; 4-byte Folded Spill
.LBB357_1008:                           ;   in Loop: Header=BB357_15 Depth=1
	s_or_b32 exec_lo, exec_lo, s22
.LBB357_1009:                           ;   in Loop: Header=BB357_15 Depth=1
	s_or_b32 exec_lo, exec_lo, s21
.LBB357_1010:                           ;   in Loop: Header=BB357_15 Depth=1
	s_or_b32 exec_lo, exec_lo, s20
	v_mov_b32_e32 v0, 0
	v_mov_b32_e32 v13, v28
	v_cmp_ne_u16_sdwa s5, v28, v14 src0_sel:BYTE_0 src1_sel:DWORD
	buffer_store_dword v0, off, s[0:3], s32 offset:592 ; 4-byte Folded Spill
	v_mov_b32_e32 v0, 0
	buffer_store_dword v0, off, s[0:3], s32 offset:588 ; 4-byte Folded Spill
	s_and_saveexec_b32 s20, s5
	s_cbranch_execz .LBB357_1018
; %bb.1011:                             ;   in Loop: Header=BB357_15 Depth=1
	v_cmp_ne_u16_sdwa s5, v28, v43 src0_sel:BYTE_0 src1_sel:DWORD
	v_bfrev_b32_e32 v0, 1
	buffer_store_dword v0, off, s[0:3], s32 offset:588 ; 4-byte Folded Spill
	s_and_saveexec_b32 s21, s5
	s_cbranch_execz .LBB357_1017
; %bb.1012:                             ;   in Loop: Header=BB357_15 Depth=1
	v_and_b32_e32 v1, 0x7f, v28
	v_mov_b32_e32 v0, 0x7f800001
	s_mov_b32 s22, exec_lo
	buffer_store_dword v0, off, s[0:3], s32 offset:588 ; 4-byte Folded Spill
	v_cmpx_ne_u32_e32 0x7f, v1
	s_cbranch_execz .LBB357_1016
; %bb.1013:                             ;   in Loop: Header=BB357_15 Depth=1
	v_mov_b32_e32 v30, v14
	v_mov_b32_e32 v29, v13
	v_lshrrev_b32_e32 v0, 3, v1
	s_mov_b32 s23, exec_lo
	v_cmpx_gt_u32_e32 8, v1
; %bb.1014:                             ;   in Loop: Header=BB357_15 Depth=1
	v_and_b32_e32 v0, 7, v28
	v_ffbh_u32_e32 v0, v0
	v_min_u32_e32 v0, 32, v0
	v_subrev_nc_u32_e32 v1, 28, v0
	v_sub_nc_u32_e32 v0, 29, v0
	v_lshlrev_b64 v[29:30], v1, v[13:14]
; %bb.1015:                             ;   in Loop: Header=BB357_15 Depth=1
	s_or_b32 exec_lo, exec_lo, s23
	v_lshlrev_b32_e32 v1, 20, v29
	v_lshlrev_b32_e32 v2, 24, v13
	v_lshl_add_u32 v0, v0, 23, 0x3c000000
	v_and_b32_e32 v1, 0x700000, v1
	v_and_b32_e32 v2, 0x80000000, v2
	v_or3_b32 v0, v1, v2, v0
	buffer_store_dword v0, off, s[0:3], s32 offset:588 ; 4-byte Folded Spill
.LBB357_1016:                           ;   in Loop: Header=BB357_15 Depth=1
	s_or_b32 exec_lo, exec_lo, s22
.LBB357_1017:                           ;   in Loop: Header=BB357_15 Depth=1
	s_or_b32 exec_lo, exec_lo, s21
.LBB357_1018:                           ;   in Loop: Header=BB357_15 Depth=1
	s_or_b32 exec_lo, exec_lo, s20
	v_cmp_ne_u16_sdwa s5, v13, v14 src0_sel:BYTE_1 src1_sel:DWORD
	s_and_saveexec_b32 s20, s5
	s_cbranch_execz .LBB357_1026
; %bb.1019:                             ;   in Loop: Header=BB357_15 Depth=1
	v_cmp_ne_u16_sdwa s5, v13, v43 src0_sel:BYTE_1 src1_sel:DWORD
	v_bfrev_b32_e32 v0, 1
	buffer_store_dword v0, off, s[0:3], s32 offset:592 ; 4-byte Folded Spill
	s_and_saveexec_b32 s21, s5
	s_cbranch_execz .LBB357_1025
; %bb.1020:                             ;   in Loop: Header=BB357_15 Depth=1
	v_mov_b32_e32 v0, 0xffff
	v_mov_b32_e32 v2, 0x7f800001
	s_mov_b32 s22, exec_lo
	v_and_b32_sdwa v0, v0, v13 dst_sel:DWORD dst_unused:UNUSED_PAD src0_sel:DWORD src1_sel:BYTE_1
	buffer_store_dword v2, off, s[0:3], s32 offset:592 ; 4-byte Folded Spill
	v_and_b32_e32 v1, 0x7f, v0
	v_cmpx_ne_u32_e32 0x7f, v1
	s_cbranch_execz .LBB357_1024
; %bb.1021:                             ;   in Loop: Header=BB357_15 Depth=1
	v_and_b32_e32 v29, 7, v0
	v_mov_b32_e32 v30, v14
	v_lshrrev_b32_e32 v0, 3, v1
	s_mov_b32 s23, exec_lo
	v_cmpx_gt_u32_e32 8, v1
; %bb.1022:                             ;   in Loop: Header=BB357_15 Depth=1
	v_ffbh_u32_e32 v0, v29
	v_min_u32_e32 v0, 32, v0
	v_subrev_nc_u32_e32 v1, 28, v0
	v_sub_nc_u32_e32 v0, 29, v0
	v_lshlrev_b64 v[1:2], v1, v[29:30]
	v_and_b32_e32 v29, 7, v1
; %bb.1023:                             ;   in Loop: Header=BB357_15 Depth=1
	s_or_b32 exec_lo, exec_lo, s23
	v_lshlrev_b32_e32 v1, 16, v13
	v_lshlrev_b32_e32 v2, 20, v29
	v_lshl_add_u32 v0, v0, 23, 0x3c000000
	v_and_b32_e32 v1, 0x80000000, v1
	v_or3_b32 v0, v2, v1, v0
	buffer_store_dword v0, off, s[0:3], s32 offset:592 ; 4-byte Folded Spill
.LBB357_1024:                           ;   in Loop: Header=BB357_15 Depth=1
	s_or_b32 exec_lo, exec_lo, s22
.LBB357_1025:                           ;   in Loop: Header=BB357_15 Depth=1
	s_or_b32 exec_lo, exec_lo, s21
.LBB357_1026:                           ;   in Loop: Header=BB357_15 Depth=1
	s_or_b32 exec_lo, exec_lo, s20
	v_mov_b32_e32 v1, 0
	v_and_b32_sdwa v0, v28, v3 dst_sel:DWORD dst_unused:UNUSED_PAD src0_sel:WORD_1 src1_sel:DWORD
	s_mov_b32 s20, exec_lo
	buffer_store_dword v1, off, s[0:3], s32 offset:596 ; 4-byte Folded Spill
	v_mov_b32_e32 v1, 0
	buffer_store_dword v1, off, s[0:3], s32 offset:776 ; 4-byte Folded Spill
	v_cmpx_ne_u16_e32 0, v0
	s_cbranch_execz .LBB357_1034
; %bb.1027:                             ;   in Loop: Header=BB357_15 Depth=1
	v_cmp_ne_u16_e64 s5, 0x80, v0
	v_bfrev_b32_e32 v0, 1
	s_and_saveexec_b32 s21, s5
	s_cbranch_execz .LBB357_1033
; %bb.1028:                             ;   in Loop: Header=BB357_15 Depth=1
	v_bfe_u32 v1, v28, 16, 7
	v_mov_b32_e32 v0, 0x7f800001
	s_mov_b32 s22, exec_lo
	v_cmpx_ne_u32_e32 0x7f, v1
	s_cbranch_execz .LBB357_1032
; %bb.1029:                             ;   in Loop: Header=BB357_15 Depth=1
	v_mov_b32_e32 v0, 7
	s_mov_b32 s23, exec_lo
	v_and_b32_sdwa v13, v28, v0 dst_sel:DWORD dst_unused:UNUSED_PAD src0_sel:WORD_1 src1_sel:DWORD
	v_mov_b32_e32 v30, v14
	v_lshrrev_b32_e32 v0, 3, v1
	v_mov_b32_e32 v29, v13
	v_cmpx_gt_u32_e32 8, v1
; %bb.1030:                             ;   in Loop: Header=BB357_15 Depth=1
	v_ffbh_u32_e32 v0, v13
	v_min_u32_e32 v0, 32, v0
	v_subrev_nc_u32_e32 v1, 28, v0
	v_sub_nc_u32_e32 v0, 29, v0
	v_lshlrev_b64 v[1:2], v1, v[13:14]
	v_and_b32_e32 v29, 7, v1
; %bb.1031:                             ;   in Loop: Header=BB357_15 Depth=1
	s_or_b32 exec_lo, exec_lo, s23
	v_mov_b32_e32 v1, 24
	v_lshlrev_b32_e32 v2, 20, v29
	v_lshl_add_u32 v0, v0, 23, 0x3c000000
	v_lshlrev_b32_sdwa v1, v1, v28 dst_sel:DWORD dst_unused:UNUSED_PAD src0_sel:DWORD src1_sel:WORD_1
	v_and_b32_e32 v1, 0x80000000, v1
	v_or3_b32 v0, v2, v1, v0
.LBB357_1032:                           ;   in Loop: Header=BB357_15 Depth=1
	s_or_b32 exec_lo, exec_lo, s22
.LBB357_1033:                           ;   in Loop: Header=BB357_15 Depth=1
	s_or_b32 exec_lo, exec_lo, s21
	buffer_store_dword v0, off, s[0:3], s32 offset:776 ; 4-byte Folded Spill
.LBB357_1034:                           ;   in Loop: Header=BB357_15 Depth=1
	s_or_b32 exec_lo, exec_lo, s20
	s_mov_b32 s20, exec_lo
	v_cmpx_lt_u64_e64 s[12:13], v[27:28]
	s_cbranch_execz .LBB357_1042
; %bb.1035:                             ;   in Loop: Header=BB357_15 Depth=1
	v_cmp_ne_u32_sdwa s5, v28, v43 src0_sel:BYTE_3 src1_sel:DWORD
	v_bfrev_b32_e32 v0, 1
	buffer_store_dword v0, off, s[0:3], s32 offset:596 ; 4-byte Folded Spill
	s_and_saveexec_b32 s21, s5
	s_cbranch_execz .LBB357_1041
; %bb.1036:                             ;   in Loop: Header=BB357_15 Depth=1
	v_bfe_u32 v1, v28, 24, 7
	v_mov_b32_e32 v0, 0x7f800001
	s_mov_b32 s22, exec_lo
	buffer_store_dword v0, off, s[0:3], s32 offset:596 ; 4-byte Folded Spill
	v_cmpx_ne_u32_e32 0x7f, v1
	s_cbranch_execz .LBB357_1040
; %bb.1037:                             ;   in Loop: Header=BB357_15 Depth=1
	v_mov_b32_e32 v0, 7
	s_mov_b32 s23, exec_lo
	v_and_b32_sdwa v13, v28, v0 dst_sel:DWORD dst_unused:UNUSED_PAD src0_sel:BYTE_3 src1_sel:DWORD
	v_mov_b32_e32 v30, v14
	v_lshrrev_b32_e32 v0, 3, v1
	v_mov_b32_e32 v29, v13
	v_cmpx_gt_u32_e32 8, v1
; %bb.1038:                             ;   in Loop: Header=BB357_15 Depth=1
	v_ffbh_u32_e32 v0, v13
	v_min_u32_e32 v0, 32, v0
	v_subrev_nc_u32_e32 v1, 28, v0
	v_sub_nc_u32_e32 v0, 29, v0
	v_lshlrev_b64 v[1:2], v1, v[13:14]
	v_and_b32_e32 v29, 7, v1
; %bb.1039:                             ;   in Loop: Header=BB357_15 Depth=1
	s_or_b32 exec_lo, exec_lo, s23
	v_mov_b32_e32 v1, 24
	v_lshlrev_b32_e32 v2, 20, v29
	v_lshl_add_u32 v0, v0, 23, 0x3c000000
	v_lshlrev_b32_sdwa v1, v1, v28 dst_sel:DWORD dst_unused:UNUSED_PAD src0_sel:DWORD src1_sel:BYTE_3
	v_and_b32_e32 v1, 0x80000000, v1
	v_or3_b32 v0, v2, v1, v0
	buffer_store_dword v0, off, s[0:3], s32 offset:596 ; 4-byte Folded Spill
.LBB357_1040:                           ;   in Loop: Header=BB357_15 Depth=1
	s_or_b32 exec_lo, exec_lo, s22
.LBB357_1041:                           ;   in Loop: Header=BB357_15 Depth=1
	s_or_b32 exec_lo, exec_lo, s21
.LBB357_1042:                           ;   in Loop: Header=BB357_15 Depth=1
	s_or_b32 exec_lo, exec_lo, s20
	v_add_co_u32 v27, s5, 0x1000, v24
	v_add_co_ci_u32_e64 v28, null, 0, v25, s5
	v_mov_b32_e32 v0, 0
	flat_load_dwordx2 v[29:30], v[27:28]
	buffer_store_dword v0, off, s[0:3], s32 offset:604 ; 4-byte Folded Spill
	v_mov_b32_e32 v0, 0
	buffer_store_dword v0, off, s[0:3], s32 offset:600 ; 4-byte Folded Spill
	s_waitcnt vmcnt(0) lgkmcnt(0)
	v_cmp_ne_u16_sdwa s5, v29, v14 src0_sel:BYTE_0 src1_sel:DWORD
	s_and_saveexec_b32 s20, s5
	s_cbranch_execz .LBB357_1050
; %bb.1043:                             ;   in Loop: Header=BB357_15 Depth=1
	v_cmp_ne_u16_sdwa s5, v29, v43 src0_sel:BYTE_0 src1_sel:DWORD
	v_bfrev_b32_e32 v0, 1
	buffer_store_dword v0, off, s[0:3], s32 offset:600 ; 4-byte Folded Spill
	s_and_saveexec_b32 s21, s5
	s_cbranch_execz .LBB357_1049
; %bb.1044:                             ;   in Loop: Header=BB357_15 Depth=1
	v_and_b32_e32 v1, 0x7f, v29
	v_mov_b32_e32 v0, 0x7f800001
	s_mov_b32 s22, exec_lo
	buffer_store_dword v0, off, s[0:3], s32 offset:600 ; 4-byte Folded Spill
	v_cmpx_ne_u32_e32 0x7f, v1
	s_cbranch_execz .LBB357_1048
; %bb.1045:                             ;   in Loop: Header=BB357_15 Depth=1
	v_mov_b32_e32 v32, v30
	v_lshrrev_b32_e32 v0, 3, v1
	v_mov_b32_e32 v31, v29
	s_mov_b32 s23, exec_lo
	v_cmpx_gt_u32_e32 8, v1
; %bb.1046:                             ;   in Loop: Header=BB357_15 Depth=1
	v_and_b32_e32 v0, 7, v29
	v_ffbh_u32_e32 v0, v0
	v_min_u32_e32 v0, 32, v0
	v_subrev_nc_u32_e32 v1, 28, v0
	v_sub_nc_u32_e32 v0, 29, v0
	v_lshlrev_b64 v[31:32], v1, v[29:30]
; %bb.1047:                             ;   in Loop: Header=BB357_15 Depth=1
	s_or_b32 exec_lo, exec_lo, s23
	v_lshlrev_b32_e32 v1, 20, v31
	v_lshlrev_b32_e32 v2, 24, v29
	v_lshl_add_u32 v0, v0, 23, 0x3c000000
	v_and_b32_e32 v1, 0x700000, v1
	v_and_b32_e32 v2, 0x80000000, v2
	v_or3_b32 v0, v1, v2, v0
	buffer_store_dword v0, off, s[0:3], s32 offset:600 ; 4-byte Folded Spill
.LBB357_1048:                           ;   in Loop: Header=BB357_15 Depth=1
	s_or_b32 exec_lo, exec_lo, s22
.LBB357_1049:                           ;   in Loop: Header=BB357_15 Depth=1
	s_or_b32 exec_lo, exec_lo, s21
.LBB357_1050:                           ;   in Loop: Header=BB357_15 Depth=1
	s_or_b32 exec_lo, exec_lo, s20
	v_cmp_ne_u16_sdwa s5, v29, v14 src0_sel:BYTE_1 src1_sel:DWORD
	s_and_saveexec_b32 s20, s5
	s_cbranch_execz .LBB357_1058
; %bb.1051:                             ;   in Loop: Header=BB357_15 Depth=1
	v_cmp_ne_u16_sdwa s5, v29, v43 src0_sel:BYTE_1 src1_sel:DWORD
	v_bfrev_b32_e32 v0, 1
	buffer_store_dword v0, off, s[0:3], s32 offset:604 ; 4-byte Folded Spill
	s_and_saveexec_b32 s21, s5
	s_cbranch_execz .LBB357_1057
; %bb.1052:                             ;   in Loop: Header=BB357_15 Depth=1
	v_mov_b32_e32 v0, 0xffff
	v_mov_b32_e32 v2, 0x7f800001
	s_mov_b32 s22, exec_lo
	v_and_b32_sdwa v0, v0, v29 dst_sel:DWORD dst_unused:UNUSED_PAD src0_sel:DWORD src1_sel:BYTE_1
	buffer_store_dword v2, off, s[0:3], s32 offset:604 ; 4-byte Folded Spill
	v_and_b32_e32 v1, 0x7f, v0
	v_cmpx_ne_u32_e32 0x7f, v1
	s_cbranch_execz .LBB357_1056
; %bb.1053:                             ;   in Loop: Header=BB357_15 Depth=1
	v_and_b32_e32 v13, 7, v0
	v_mov_b32_e32 v32, v14
	v_lshrrev_b32_e32 v0, 3, v1
	s_mov_b32 s23, exec_lo
	v_mov_b32_e32 v31, v13
	v_cmpx_gt_u32_e32 8, v1
; %bb.1054:                             ;   in Loop: Header=BB357_15 Depth=1
	v_ffbh_u32_e32 v0, v13
	v_min_u32_e32 v0, 32, v0
	v_subrev_nc_u32_e32 v1, 28, v0
	v_sub_nc_u32_e32 v0, 29, v0
	v_lshlrev_b64 v[1:2], v1, v[13:14]
	v_and_b32_e32 v31, 7, v1
; %bb.1055:                             ;   in Loop: Header=BB357_15 Depth=1
	s_or_b32 exec_lo, exec_lo, s23
	v_lshlrev_b32_e32 v1, 16, v29
	v_lshlrev_b32_e32 v2, 20, v31
	v_lshl_add_u32 v0, v0, 23, 0x3c000000
	v_and_b32_e32 v1, 0x80000000, v1
	v_or3_b32 v0, v2, v1, v0
	buffer_store_dword v0, off, s[0:3], s32 offset:604 ; 4-byte Folded Spill
.LBB357_1056:                           ;   in Loop: Header=BB357_15 Depth=1
	s_or_b32 exec_lo, exec_lo, s22
.LBB357_1057:                           ;   in Loop: Header=BB357_15 Depth=1
	s_or_b32 exec_lo, exec_lo, s21
.LBB357_1058:                           ;   in Loop: Header=BB357_15 Depth=1
	s_or_b32 exec_lo, exec_lo, s20
	v_mov_b32_e32 v1, 0
	v_and_b32_sdwa v0, v29, v3 dst_sel:DWORD dst_unused:UNUSED_PAD src0_sel:WORD_1 src1_sel:DWORD
	s_mov_b32 s20, exec_lo
	buffer_store_dword v1, off, s[0:3], s32 offset:608 ; 4-byte Folded Spill
	v_mov_b32_e32 v1, 0
	buffer_store_dword v1, off, s[0:3], s32 offset:780 ; 4-byte Folded Spill
	v_cmpx_ne_u16_e32 0, v0
	s_cbranch_execz .LBB357_1066
; %bb.1059:                             ;   in Loop: Header=BB357_15 Depth=1
	v_cmp_ne_u16_e64 s5, 0x80, v0
	v_bfrev_b32_e32 v0, 1
	s_and_saveexec_b32 s21, s5
	s_cbranch_execz .LBB357_1065
; %bb.1060:                             ;   in Loop: Header=BB357_15 Depth=1
	v_bfe_u32 v1, v29, 16, 7
	v_mov_b32_e32 v0, 0x7f800001
	s_mov_b32 s22, exec_lo
	v_cmpx_ne_u32_e32 0x7f, v1
	s_cbranch_execz .LBB357_1064
; %bb.1061:                             ;   in Loop: Header=BB357_15 Depth=1
	v_mov_b32_e32 v0, 7
	s_mov_b32 s23, exec_lo
	v_and_b32_sdwa v13, v29, v0 dst_sel:DWORD dst_unused:UNUSED_PAD src0_sel:WORD_1 src1_sel:DWORD
	v_mov_b32_e32 v32, v14
	v_lshrrev_b32_e32 v0, 3, v1
	v_mov_b32_e32 v31, v13
	v_cmpx_gt_u32_e32 8, v1
; %bb.1062:                             ;   in Loop: Header=BB357_15 Depth=1
	v_ffbh_u32_e32 v0, v13
	v_min_u32_e32 v0, 32, v0
	v_subrev_nc_u32_e32 v1, 28, v0
	v_sub_nc_u32_e32 v0, 29, v0
	v_lshlrev_b64 v[1:2], v1, v[13:14]
	v_and_b32_e32 v31, 7, v1
; %bb.1063:                             ;   in Loop: Header=BB357_15 Depth=1
	s_or_b32 exec_lo, exec_lo, s23
	v_mov_b32_e32 v1, 24
	v_lshlrev_b32_e32 v2, 20, v31
	v_lshl_add_u32 v0, v0, 23, 0x3c000000
	v_lshlrev_b32_sdwa v1, v1, v29 dst_sel:DWORD dst_unused:UNUSED_PAD src0_sel:DWORD src1_sel:WORD_1
	v_and_b32_e32 v1, 0x80000000, v1
	v_or3_b32 v0, v2, v1, v0
.LBB357_1064:                           ;   in Loop: Header=BB357_15 Depth=1
	s_or_b32 exec_lo, exec_lo, s22
.LBB357_1065:                           ;   in Loop: Header=BB357_15 Depth=1
	s_or_b32 exec_lo, exec_lo, s21
	buffer_store_dword v0, off, s[0:3], s32 offset:780 ; 4-byte Folded Spill
.LBB357_1066:                           ;   in Loop: Header=BB357_15 Depth=1
	s_or_b32 exec_lo, exec_lo, s20
	s_mov_b32 s20, exec_lo
	v_cmpx_lt_u32_e32 0xffffff, v29
	s_cbranch_execz .LBB357_1074
; %bb.1067:                             ;   in Loop: Header=BB357_15 Depth=1
	v_cmp_ne_u32_sdwa s5, v29, v43 src0_sel:BYTE_3 src1_sel:DWORD
	v_bfrev_b32_e32 v0, 1
	buffer_store_dword v0, off, s[0:3], s32 offset:608 ; 4-byte Folded Spill
	s_and_saveexec_b32 s21, s5
	s_cbranch_execz .LBB357_1073
; %bb.1068:                             ;   in Loop: Header=BB357_15 Depth=1
	v_bfe_u32 v1, v29, 24, 7
	v_mov_b32_e32 v0, 0x7f800001
	s_mov_b32 s22, exec_lo
	buffer_store_dword v0, off, s[0:3], s32 offset:608 ; 4-byte Folded Spill
	v_cmpx_ne_u32_e32 0x7f, v1
	s_cbranch_execz .LBB357_1072
; %bb.1069:                             ;   in Loop: Header=BB357_15 Depth=1
	v_mov_b32_e32 v0, 7
	s_mov_b32 s23, exec_lo
	v_and_b32_sdwa v13, v29, v0 dst_sel:DWORD dst_unused:UNUSED_PAD src0_sel:BYTE_3 src1_sel:DWORD
	v_mov_b32_e32 v32, v14
	v_lshrrev_b32_e32 v0, 3, v1
	v_mov_b32_e32 v31, v13
	v_cmpx_gt_u32_e32 8, v1
; %bb.1070:                             ;   in Loop: Header=BB357_15 Depth=1
	v_ffbh_u32_e32 v0, v13
	v_min_u32_e32 v0, 32, v0
	v_subrev_nc_u32_e32 v1, 28, v0
	v_sub_nc_u32_e32 v0, 29, v0
	v_lshlrev_b64 v[1:2], v1, v[13:14]
	v_and_b32_e32 v31, 7, v1
; %bb.1071:                             ;   in Loop: Header=BB357_15 Depth=1
	s_or_b32 exec_lo, exec_lo, s23
	v_mov_b32_e32 v1, 24
	v_lshlrev_b32_e32 v2, 20, v31
	v_lshl_add_u32 v0, v0, 23, 0x3c000000
	v_lshlrev_b32_sdwa v1, v1, v29 dst_sel:DWORD dst_unused:UNUSED_PAD src0_sel:DWORD src1_sel:BYTE_3
	v_and_b32_e32 v1, 0x80000000, v1
	v_or3_b32 v0, v2, v1, v0
	buffer_store_dword v0, off, s[0:3], s32 offset:608 ; 4-byte Folded Spill
.LBB357_1072:                           ;   in Loop: Header=BB357_15 Depth=1
	s_or_b32 exec_lo, exec_lo, s22
.LBB357_1073:                           ;   in Loop: Header=BB357_15 Depth=1
	s_or_b32 exec_lo, exec_lo, s21
.LBB357_1074:                           ;   in Loop: Header=BB357_15 Depth=1
	s_or_b32 exec_lo, exec_lo, s20
	v_mov_b32_e32 v0, 0
	v_mov_b32_e32 v13, v30
	v_cmp_ne_u16_sdwa s5, v30, v14 src0_sel:BYTE_0 src1_sel:DWORD
	buffer_store_dword v0, off, s[0:3], s32 offset:616 ; 4-byte Folded Spill
	v_mov_b32_e32 v0, 0
	buffer_store_dword v0, off, s[0:3], s32 offset:612 ; 4-byte Folded Spill
	s_and_saveexec_b32 s20, s5
	s_cbranch_execz .LBB357_1082
; %bb.1075:                             ;   in Loop: Header=BB357_15 Depth=1
	v_cmp_ne_u16_sdwa s5, v30, v43 src0_sel:BYTE_0 src1_sel:DWORD
	v_bfrev_b32_e32 v0, 1
	buffer_store_dword v0, off, s[0:3], s32 offset:612 ; 4-byte Folded Spill
	s_and_saveexec_b32 s21, s5
	s_cbranch_execz .LBB357_1081
; %bb.1076:                             ;   in Loop: Header=BB357_15 Depth=1
	v_and_b32_e32 v1, 0x7f, v30
	v_mov_b32_e32 v0, 0x7f800001
	s_mov_b32 s22, exec_lo
	buffer_store_dword v0, off, s[0:3], s32 offset:612 ; 4-byte Folded Spill
	v_cmpx_ne_u32_e32 0x7f, v1
	s_cbranch_execz .LBB357_1080
; %bb.1077:                             ;   in Loop: Header=BB357_15 Depth=1
	v_mov_b32_e32 v32, v14
	v_mov_b32_e32 v31, v13
	v_lshrrev_b32_e32 v0, 3, v1
	s_mov_b32 s23, exec_lo
	v_cmpx_gt_u32_e32 8, v1
; %bb.1078:                             ;   in Loop: Header=BB357_15 Depth=1
	v_and_b32_e32 v0, 7, v30
	v_ffbh_u32_e32 v0, v0
	v_min_u32_e32 v0, 32, v0
	v_subrev_nc_u32_e32 v1, 28, v0
	v_sub_nc_u32_e32 v0, 29, v0
	v_lshlrev_b64 v[31:32], v1, v[13:14]
; %bb.1079:                             ;   in Loop: Header=BB357_15 Depth=1
	s_or_b32 exec_lo, exec_lo, s23
	v_lshlrev_b32_e32 v1, 20, v31
	v_lshlrev_b32_e32 v2, 24, v13
	v_lshl_add_u32 v0, v0, 23, 0x3c000000
	v_and_b32_e32 v1, 0x700000, v1
	v_and_b32_e32 v2, 0x80000000, v2
	v_or3_b32 v0, v1, v2, v0
	buffer_store_dword v0, off, s[0:3], s32 offset:612 ; 4-byte Folded Spill
.LBB357_1080:                           ;   in Loop: Header=BB357_15 Depth=1
	s_or_b32 exec_lo, exec_lo, s22
.LBB357_1081:                           ;   in Loop: Header=BB357_15 Depth=1
	s_or_b32 exec_lo, exec_lo, s21
.LBB357_1082:                           ;   in Loop: Header=BB357_15 Depth=1
	s_or_b32 exec_lo, exec_lo, s20
	v_cmp_ne_u16_sdwa s5, v13, v14 src0_sel:BYTE_1 src1_sel:DWORD
	s_and_saveexec_b32 s20, s5
	s_cbranch_execz .LBB357_1090
; %bb.1083:                             ;   in Loop: Header=BB357_15 Depth=1
	v_cmp_ne_u16_sdwa s5, v13, v43 src0_sel:BYTE_1 src1_sel:DWORD
	v_bfrev_b32_e32 v0, 1
	buffer_store_dword v0, off, s[0:3], s32 offset:616 ; 4-byte Folded Spill
	s_and_saveexec_b32 s21, s5
	s_cbranch_execz .LBB357_1089
; %bb.1084:                             ;   in Loop: Header=BB357_15 Depth=1
	v_mov_b32_e32 v0, 0xffff
	v_mov_b32_e32 v2, 0x7f800001
	s_mov_b32 s22, exec_lo
	v_and_b32_sdwa v0, v0, v13 dst_sel:DWORD dst_unused:UNUSED_PAD src0_sel:DWORD src1_sel:BYTE_1
	buffer_store_dword v2, off, s[0:3], s32 offset:616 ; 4-byte Folded Spill
	v_and_b32_e32 v1, 0x7f, v0
	v_cmpx_ne_u32_e32 0x7f, v1
	s_cbranch_execz .LBB357_1088
; %bb.1085:                             ;   in Loop: Header=BB357_15 Depth=1
	v_and_b32_e32 v31, 7, v0
	v_mov_b32_e32 v32, v14
	v_lshrrev_b32_e32 v0, 3, v1
	s_mov_b32 s23, exec_lo
	v_cmpx_gt_u32_e32 8, v1
; %bb.1086:                             ;   in Loop: Header=BB357_15 Depth=1
	v_ffbh_u32_e32 v0, v31
	v_min_u32_e32 v0, 32, v0
	v_subrev_nc_u32_e32 v1, 28, v0
	v_sub_nc_u32_e32 v0, 29, v0
	v_lshlrev_b64 v[1:2], v1, v[31:32]
	v_and_b32_e32 v31, 7, v1
; %bb.1087:                             ;   in Loop: Header=BB357_15 Depth=1
	s_or_b32 exec_lo, exec_lo, s23
	v_lshlrev_b32_e32 v1, 16, v13
	v_lshlrev_b32_e32 v2, 20, v31
	v_lshl_add_u32 v0, v0, 23, 0x3c000000
	v_and_b32_e32 v1, 0x80000000, v1
	v_or3_b32 v0, v2, v1, v0
	buffer_store_dword v0, off, s[0:3], s32 offset:616 ; 4-byte Folded Spill
.LBB357_1088:                           ;   in Loop: Header=BB357_15 Depth=1
	s_or_b32 exec_lo, exec_lo, s22
.LBB357_1089:                           ;   in Loop: Header=BB357_15 Depth=1
	s_or_b32 exec_lo, exec_lo, s21
.LBB357_1090:                           ;   in Loop: Header=BB357_15 Depth=1
	s_or_b32 exec_lo, exec_lo, s20
	v_and_b32_sdwa v0, v30, v3 dst_sel:DWORD dst_unused:UNUSED_PAD src0_sel:WORD_1 src1_sel:DWORD
	v_mov_b32_e32 v1, 0
	v_mov_b32_e32 v127, 0
	s_mov_b32 s20, exec_lo
	buffer_store_dword v1, off, s[0:3], s32 offset:620 ; 4-byte Folded Spill
	v_cmpx_ne_u16_e32 0, v0
	s_cbranch_execz .LBB357_1098
; %bb.1091:                             ;   in Loop: Header=BB357_15 Depth=1
	v_bfrev_b32_e32 v127, 1
	s_mov_b32 s21, exec_lo
	v_cmpx_ne_u16_e32 0x80, v0
	s_cbranch_execz .LBB357_1097
; %bb.1092:                             ;   in Loop: Header=BB357_15 Depth=1
	v_bfe_u32 v1, v30, 16, 7
	v_mov_b32_e32 v127, 0x7f800001
	s_mov_b32 s22, exec_lo
	v_cmpx_ne_u32_e32 0x7f, v1
	s_cbranch_execz .LBB357_1096
; %bb.1093:                             ;   in Loop: Header=BB357_15 Depth=1
	v_mov_b32_e32 v0, 7
	s_mov_b32 s23, exec_lo
	v_and_b32_sdwa v13, v30, v0 dst_sel:DWORD dst_unused:UNUSED_PAD src0_sel:WORD_1 src1_sel:DWORD
	v_mov_b32_e32 v32, v14
	v_lshrrev_b32_e32 v0, 3, v1
	v_mov_b32_e32 v31, v13
	v_cmpx_gt_u32_e32 8, v1
; %bb.1094:                             ;   in Loop: Header=BB357_15 Depth=1
	v_ffbh_u32_e32 v0, v13
	v_min_u32_e32 v0, 32, v0
	v_subrev_nc_u32_e32 v1, 28, v0
	v_sub_nc_u32_e32 v0, 29, v0
	v_lshlrev_b64 v[1:2], v1, v[13:14]
	v_and_b32_e32 v31, 7, v1
; %bb.1095:                             ;   in Loop: Header=BB357_15 Depth=1
	s_or_b32 exec_lo, exec_lo, s23
	v_mov_b32_e32 v1, 24
	v_lshlrev_b32_e32 v2, 20, v31
	v_lshl_add_u32 v0, v0, 23, 0x3c000000
	v_lshlrev_b32_sdwa v1, v1, v30 dst_sel:DWORD dst_unused:UNUSED_PAD src0_sel:DWORD src1_sel:WORD_1
	v_and_b32_e32 v1, 0x80000000, v1
	v_or3_b32 v127, v2, v1, v0
.LBB357_1096:                           ;   in Loop: Header=BB357_15 Depth=1
	s_or_b32 exec_lo, exec_lo, s22
.LBB357_1097:                           ;   in Loop: Header=BB357_15 Depth=1
	s_or_b32 exec_lo, exec_lo, s21
.LBB357_1098:                           ;   in Loop: Header=BB357_15 Depth=1
	s_or_b32 exec_lo, exec_lo, s20
	s_mov_b32 s20, exec_lo
	v_cmpx_lt_u64_e64 s[12:13], v[29:30]
	s_cbranch_execz .LBB357_1106
; %bb.1099:                             ;   in Loop: Header=BB357_15 Depth=1
	v_cmp_ne_u32_sdwa s5, v30, v43 src0_sel:BYTE_3 src1_sel:DWORD
	v_bfrev_b32_e32 v0, 1
	buffer_store_dword v0, off, s[0:3], s32 offset:620 ; 4-byte Folded Spill
	s_and_saveexec_b32 s21, s5
	s_cbranch_execz .LBB357_1105
; %bb.1100:                             ;   in Loop: Header=BB357_15 Depth=1
	v_bfe_u32 v1, v30, 24, 7
	v_mov_b32_e32 v0, 0x7f800001
	s_mov_b32 s22, exec_lo
	buffer_store_dword v0, off, s[0:3], s32 offset:620 ; 4-byte Folded Spill
	v_cmpx_ne_u32_e32 0x7f, v1
	s_cbranch_execz .LBB357_1104
; %bb.1101:                             ;   in Loop: Header=BB357_15 Depth=1
	v_mov_b32_e32 v0, 7
	s_mov_b32 s23, exec_lo
	v_and_b32_sdwa v13, v30, v0 dst_sel:DWORD dst_unused:UNUSED_PAD src0_sel:BYTE_3 src1_sel:DWORD
	v_mov_b32_e32 v32, v14
	v_lshrrev_b32_e32 v0, 3, v1
	v_mov_b32_e32 v31, v13
	v_cmpx_gt_u32_e32 8, v1
; %bb.1102:                             ;   in Loop: Header=BB357_15 Depth=1
	v_ffbh_u32_e32 v0, v13
	v_min_u32_e32 v0, 32, v0
	v_subrev_nc_u32_e32 v1, 28, v0
	v_sub_nc_u32_e32 v0, 29, v0
	v_lshlrev_b64 v[1:2], v1, v[13:14]
	v_and_b32_e32 v31, 7, v1
; %bb.1103:                             ;   in Loop: Header=BB357_15 Depth=1
	s_or_b32 exec_lo, exec_lo, s23
	v_mov_b32_e32 v1, 24
	v_lshlrev_b32_e32 v2, 20, v31
	v_lshl_add_u32 v0, v0, 23, 0x3c000000
	v_lshlrev_b32_sdwa v1, v1, v30 dst_sel:DWORD dst_unused:UNUSED_PAD src0_sel:DWORD src1_sel:BYTE_3
	v_and_b32_e32 v1, 0x80000000, v1
	v_or3_b32 v0, v2, v1, v0
	buffer_store_dword v0, off, s[0:3], s32 offset:620 ; 4-byte Folded Spill
.LBB357_1104:                           ;   in Loop: Header=BB357_15 Depth=1
	s_or_b32 exec_lo, exec_lo, s22
.LBB357_1105:                           ;   in Loop: Header=BB357_15 Depth=1
	s_or_b32 exec_lo, exec_lo, s21
.LBB357_1106:                           ;   in Loop: Header=BB357_15 Depth=1
	s_or_b32 exec_lo, exec_lo, s20
	flat_load_dwordx2 v[29:30], v[27:28] offset:8
	v_mov_b32_e32 v0, 0
	buffer_store_dword v0, off, s[0:3], s32 offset:628 ; 4-byte Folded Spill
	v_mov_b32_e32 v0, 0
	buffer_store_dword v0, off, s[0:3], s32 offset:624 ; 4-byte Folded Spill
	s_waitcnt vmcnt(0) lgkmcnt(0)
	v_cmp_ne_u16_sdwa s5, v29, v14 src0_sel:BYTE_0 src1_sel:DWORD
	s_and_saveexec_b32 s20, s5
	s_cbranch_execz .LBB357_1114
; %bb.1107:                             ;   in Loop: Header=BB357_15 Depth=1
	v_cmp_ne_u16_sdwa s5, v29, v43 src0_sel:BYTE_0 src1_sel:DWORD
	v_bfrev_b32_e32 v0, 1
	buffer_store_dword v0, off, s[0:3], s32 offset:624 ; 4-byte Folded Spill
	s_and_saveexec_b32 s21, s5
	s_cbranch_execz .LBB357_1113
; %bb.1108:                             ;   in Loop: Header=BB357_15 Depth=1
	v_and_b32_e32 v1, 0x7f, v29
	v_mov_b32_e32 v0, 0x7f800001
	s_mov_b32 s22, exec_lo
	buffer_store_dword v0, off, s[0:3], s32 offset:624 ; 4-byte Folded Spill
	v_cmpx_ne_u32_e32 0x7f, v1
	s_cbranch_execz .LBB357_1112
; %bb.1109:                             ;   in Loop: Header=BB357_15 Depth=1
	v_mov_b32_e32 v32, v30
	v_lshrrev_b32_e32 v0, 3, v1
	v_mov_b32_e32 v31, v29
	s_mov_b32 s23, exec_lo
	v_cmpx_gt_u32_e32 8, v1
; %bb.1110:                             ;   in Loop: Header=BB357_15 Depth=1
	v_and_b32_e32 v0, 7, v29
	v_ffbh_u32_e32 v0, v0
	v_min_u32_e32 v0, 32, v0
	v_subrev_nc_u32_e32 v1, 28, v0
	v_sub_nc_u32_e32 v0, 29, v0
	v_lshlrev_b64 v[31:32], v1, v[29:30]
; %bb.1111:                             ;   in Loop: Header=BB357_15 Depth=1
	s_or_b32 exec_lo, exec_lo, s23
	v_lshlrev_b32_e32 v1, 20, v31
	v_lshlrev_b32_e32 v2, 24, v29
	v_lshl_add_u32 v0, v0, 23, 0x3c000000
	v_and_b32_e32 v1, 0x700000, v1
	v_and_b32_e32 v2, 0x80000000, v2
	v_or3_b32 v0, v1, v2, v0
	buffer_store_dword v0, off, s[0:3], s32 offset:624 ; 4-byte Folded Spill
.LBB357_1112:                           ;   in Loop: Header=BB357_15 Depth=1
	s_or_b32 exec_lo, exec_lo, s22
.LBB357_1113:                           ;   in Loop: Header=BB357_15 Depth=1
	s_or_b32 exec_lo, exec_lo, s21
.LBB357_1114:                           ;   in Loop: Header=BB357_15 Depth=1
	s_or_b32 exec_lo, exec_lo, s20
	v_cmp_ne_u16_sdwa s5, v29, v14 src0_sel:BYTE_1 src1_sel:DWORD
	s_and_saveexec_b32 s20, s5
	s_cbranch_execz .LBB357_1122
; %bb.1115:                             ;   in Loop: Header=BB357_15 Depth=1
	v_cmp_ne_u16_sdwa s5, v29, v43 src0_sel:BYTE_1 src1_sel:DWORD
	v_bfrev_b32_e32 v0, 1
	buffer_store_dword v0, off, s[0:3], s32 offset:628 ; 4-byte Folded Spill
	s_and_saveexec_b32 s21, s5
	s_cbranch_execz .LBB357_1121
; %bb.1116:                             ;   in Loop: Header=BB357_15 Depth=1
	v_mov_b32_e32 v0, 0xffff
	v_mov_b32_e32 v2, 0x7f800001
	s_mov_b32 s22, exec_lo
	v_and_b32_sdwa v0, v0, v29 dst_sel:DWORD dst_unused:UNUSED_PAD src0_sel:DWORD src1_sel:BYTE_1
	buffer_store_dword v2, off, s[0:3], s32 offset:628 ; 4-byte Folded Spill
	v_and_b32_e32 v1, 0x7f, v0
	v_cmpx_ne_u32_e32 0x7f, v1
	s_cbranch_execz .LBB357_1120
; %bb.1117:                             ;   in Loop: Header=BB357_15 Depth=1
	v_and_b32_e32 v13, 7, v0
	v_mov_b32_e32 v32, v14
	v_lshrrev_b32_e32 v0, 3, v1
	s_mov_b32 s23, exec_lo
	v_mov_b32_e32 v31, v13
	v_cmpx_gt_u32_e32 8, v1
; %bb.1118:                             ;   in Loop: Header=BB357_15 Depth=1
	v_ffbh_u32_e32 v0, v13
	v_min_u32_e32 v0, 32, v0
	v_subrev_nc_u32_e32 v1, 28, v0
	v_sub_nc_u32_e32 v0, 29, v0
	v_lshlrev_b64 v[1:2], v1, v[13:14]
	v_and_b32_e32 v31, 7, v1
; %bb.1119:                             ;   in Loop: Header=BB357_15 Depth=1
	s_or_b32 exec_lo, exec_lo, s23
	v_lshlrev_b32_e32 v1, 16, v29
	v_lshlrev_b32_e32 v2, 20, v31
	v_lshl_add_u32 v0, v0, 23, 0x3c000000
	v_and_b32_e32 v1, 0x80000000, v1
	v_or3_b32 v0, v2, v1, v0
	buffer_store_dword v0, off, s[0:3], s32 offset:628 ; 4-byte Folded Spill
.LBB357_1120:                           ;   in Loop: Header=BB357_15 Depth=1
	s_or_b32 exec_lo, exec_lo, s22
.LBB357_1121:                           ;   in Loop: Header=BB357_15 Depth=1
	s_or_b32 exec_lo, exec_lo, s21
.LBB357_1122:                           ;   in Loop: Header=BB357_15 Depth=1
	s_or_b32 exec_lo, exec_lo, s20
	v_and_b32_sdwa v0, v29, v3 dst_sel:DWORD dst_unused:UNUSED_PAD src0_sel:WORD_1 src1_sel:DWORD
	v_mov_b32_e32 v1, 0
	v_mov_b32_e32 v110, 0
	s_mov_b32 s20, exec_lo
	buffer_store_dword v1, off, s[0:3], s32 offset:632 ; 4-byte Folded Spill
	v_cmpx_ne_u16_e32 0, v0
	s_cbranch_execz .LBB357_1130
; %bb.1123:                             ;   in Loop: Header=BB357_15 Depth=1
	v_bfrev_b32_e32 v110, 1
	s_mov_b32 s21, exec_lo
	v_cmpx_ne_u16_e32 0x80, v0
	s_cbranch_execz .LBB357_1129
; %bb.1124:                             ;   in Loop: Header=BB357_15 Depth=1
	v_bfe_u32 v1, v29, 16, 7
	v_mov_b32_e32 v110, 0x7f800001
	s_mov_b32 s22, exec_lo
	v_cmpx_ne_u32_e32 0x7f, v1
	s_cbranch_execz .LBB357_1128
; %bb.1125:                             ;   in Loop: Header=BB357_15 Depth=1
	v_mov_b32_e32 v0, 7
	s_mov_b32 s23, exec_lo
	v_and_b32_sdwa v13, v29, v0 dst_sel:DWORD dst_unused:UNUSED_PAD src0_sel:WORD_1 src1_sel:DWORD
	v_mov_b32_e32 v32, v14
	v_lshrrev_b32_e32 v0, 3, v1
	v_mov_b32_e32 v31, v13
	v_cmpx_gt_u32_e32 8, v1
; %bb.1126:                             ;   in Loop: Header=BB357_15 Depth=1
	v_ffbh_u32_e32 v0, v13
	v_min_u32_e32 v0, 32, v0
	v_subrev_nc_u32_e32 v1, 28, v0
	v_sub_nc_u32_e32 v0, 29, v0
	v_lshlrev_b64 v[1:2], v1, v[13:14]
	v_and_b32_e32 v31, 7, v1
; %bb.1127:                             ;   in Loop: Header=BB357_15 Depth=1
	s_or_b32 exec_lo, exec_lo, s23
	v_mov_b32_e32 v1, 24
	v_lshlrev_b32_e32 v2, 20, v31
	v_lshl_add_u32 v0, v0, 23, 0x3c000000
	v_lshlrev_b32_sdwa v1, v1, v29 dst_sel:DWORD dst_unused:UNUSED_PAD src0_sel:DWORD src1_sel:WORD_1
	v_and_b32_e32 v1, 0x80000000, v1
	v_or3_b32 v110, v2, v1, v0
.LBB357_1128:                           ;   in Loop: Header=BB357_15 Depth=1
	s_or_b32 exec_lo, exec_lo, s22
.LBB357_1129:                           ;   in Loop: Header=BB357_15 Depth=1
	s_or_b32 exec_lo, exec_lo, s21
.LBB357_1130:                           ;   in Loop: Header=BB357_15 Depth=1
	s_or_b32 exec_lo, exec_lo, s20
	s_mov_b32 s20, exec_lo
	v_cmpx_lt_u32_e32 0xffffff, v29
	s_cbranch_execz .LBB357_1138
; %bb.1131:                             ;   in Loop: Header=BB357_15 Depth=1
	v_cmp_ne_u32_sdwa s5, v29, v43 src0_sel:BYTE_3 src1_sel:DWORD
	v_bfrev_b32_e32 v0, 1
	buffer_store_dword v0, off, s[0:3], s32 offset:632 ; 4-byte Folded Spill
	s_and_saveexec_b32 s21, s5
	s_cbranch_execz .LBB357_1137
; %bb.1132:                             ;   in Loop: Header=BB357_15 Depth=1
	v_bfe_u32 v1, v29, 24, 7
	v_mov_b32_e32 v0, 0x7f800001
	s_mov_b32 s22, exec_lo
	buffer_store_dword v0, off, s[0:3], s32 offset:632 ; 4-byte Folded Spill
	v_cmpx_ne_u32_e32 0x7f, v1
	s_cbranch_execz .LBB357_1136
; %bb.1133:                             ;   in Loop: Header=BB357_15 Depth=1
	v_mov_b32_e32 v0, 7
	s_mov_b32 s23, exec_lo
	v_and_b32_sdwa v13, v29, v0 dst_sel:DWORD dst_unused:UNUSED_PAD src0_sel:BYTE_3 src1_sel:DWORD
	v_mov_b32_e32 v32, v14
	v_lshrrev_b32_e32 v0, 3, v1
	v_mov_b32_e32 v31, v13
	v_cmpx_gt_u32_e32 8, v1
; %bb.1134:                             ;   in Loop: Header=BB357_15 Depth=1
	v_ffbh_u32_e32 v0, v13
	v_min_u32_e32 v0, 32, v0
	v_subrev_nc_u32_e32 v1, 28, v0
	v_sub_nc_u32_e32 v0, 29, v0
	v_lshlrev_b64 v[1:2], v1, v[13:14]
	v_and_b32_e32 v31, 7, v1
; %bb.1135:                             ;   in Loop: Header=BB357_15 Depth=1
	s_or_b32 exec_lo, exec_lo, s23
	v_mov_b32_e32 v1, 24
	v_lshlrev_b32_e32 v2, 20, v31
	v_lshl_add_u32 v0, v0, 23, 0x3c000000
	v_lshlrev_b32_sdwa v1, v1, v29 dst_sel:DWORD dst_unused:UNUSED_PAD src0_sel:DWORD src1_sel:BYTE_3
	v_and_b32_e32 v1, 0x80000000, v1
	v_or3_b32 v0, v2, v1, v0
	buffer_store_dword v0, off, s[0:3], s32 offset:632 ; 4-byte Folded Spill
.LBB357_1136:                           ;   in Loop: Header=BB357_15 Depth=1
	s_or_b32 exec_lo, exec_lo, s22
.LBB357_1137:                           ;   in Loop: Header=BB357_15 Depth=1
	s_or_b32 exec_lo, exec_lo, s21
.LBB357_1138:                           ;   in Loop: Header=BB357_15 Depth=1
	s_or_b32 exec_lo, exec_lo, s20
	v_mov_b32_e32 v0, 0
	v_mov_b32_e32 v13, v30
	v_cmp_ne_u16_sdwa s5, v30, v14 src0_sel:BYTE_0 src1_sel:DWORD
	buffer_store_dword v0, off, s[0:3], s32 offset:640 ; 4-byte Folded Spill
	v_mov_b32_e32 v0, 0
	buffer_store_dword v0, off, s[0:3], s32 offset:636 ; 4-byte Folded Spill
	s_and_saveexec_b32 s20, s5
	s_cbranch_execz .LBB357_1146
; %bb.1139:                             ;   in Loop: Header=BB357_15 Depth=1
	v_cmp_ne_u16_sdwa s5, v30, v43 src0_sel:BYTE_0 src1_sel:DWORD
	v_bfrev_b32_e32 v0, 1
	buffer_store_dword v0, off, s[0:3], s32 offset:636 ; 4-byte Folded Spill
	s_and_saveexec_b32 s21, s5
	s_cbranch_execz .LBB357_1145
; %bb.1140:                             ;   in Loop: Header=BB357_15 Depth=1
	v_and_b32_e32 v1, 0x7f, v30
	v_mov_b32_e32 v0, 0x7f800001
	s_mov_b32 s22, exec_lo
	buffer_store_dword v0, off, s[0:3], s32 offset:636 ; 4-byte Folded Spill
	v_cmpx_ne_u32_e32 0x7f, v1
	s_cbranch_execz .LBB357_1144
; %bb.1141:                             ;   in Loop: Header=BB357_15 Depth=1
	v_mov_b32_e32 v32, v14
	v_mov_b32_e32 v31, v13
	v_lshrrev_b32_e32 v0, 3, v1
	s_mov_b32 s23, exec_lo
	v_cmpx_gt_u32_e32 8, v1
; %bb.1142:                             ;   in Loop: Header=BB357_15 Depth=1
	v_and_b32_e32 v0, 7, v30
	v_ffbh_u32_e32 v0, v0
	v_min_u32_e32 v0, 32, v0
	v_subrev_nc_u32_e32 v1, 28, v0
	v_sub_nc_u32_e32 v0, 29, v0
	v_lshlrev_b64 v[31:32], v1, v[13:14]
; %bb.1143:                             ;   in Loop: Header=BB357_15 Depth=1
	s_or_b32 exec_lo, exec_lo, s23
	v_lshlrev_b32_e32 v1, 20, v31
	v_lshlrev_b32_e32 v2, 24, v13
	v_lshl_add_u32 v0, v0, 23, 0x3c000000
	v_and_b32_e32 v1, 0x700000, v1
	v_and_b32_e32 v2, 0x80000000, v2
	v_or3_b32 v0, v1, v2, v0
	buffer_store_dword v0, off, s[0:3], s32 offset:636 ; 4-byte Folded Spill
.LBB357_1144:                           ;   in Loop: Header=BB357_15 Depth=1
	s_or_b32 exec_lo, exec_lo, s22
.LBB357_1145:                           ;   in Loop: Header=BB357_15 Depth=1
	s_or_b32 exec_lo, exec_lo, s21
.LBB357_1146:                           ;   in Loop: Header=BB357_15 Depth=1
	s_or_b32 exec_lo, exec_lo, s20
	v_cmp_ne_u16_sdwa s5, v13, v14 src0_sel:BYTE_1 src1_sel:DWORD
	s_and_saveexec_b32 s20, s5
	s_cbranch_execz .LBB357_1154
; %bb.1147:                             ;   in Loop: Header=BB357_15 Depth=1
	v_cmp_ne_u16_sdwa s5, v13, v43 src0_sel:BYTE_1 src1_sel:DWORD
	v_bfrev_b32_e32 v0, 1
	buffer_store_dword v0, off, s[0:3], s32 offset:640 ; 4-byte Folded Spill
	s_and_saveexec_b32 s21, s5
	s_cbranch_execz .LBB357_1153
; %bb.1148:                             ;   in Loop: Header=BB357_15 Depth=1
	v_mov_b32_e32 v0, 0xffff
	v_mov_b32_e32 v2, 0x7f800001
	s_mov_b32 s22, exec_lo
	v_and_b32_sdwa v0, v0, v13 dst_sel:DWORD dst_unused:UNUSED_PAD src0_sel:DWORD src1_sel:BYTE_1
	buffer_store_dword v2, off, s[0:3], s32 offset:640 ; 4-byte Folded Spill
	v_and_b32_e32 v1, 0x7f, v0
	v_cmpx_ne_u32_e32 0x7f, v1
	s_cbranch_execz .LBB357_1152
; %bb.1149:                             ;   in Loop: Header=BB357_15 Depth=1
	v_and_b32_e32 v31, 7, v0
	v_mov_b32_e32 v32, v14
	v_lshrrev_b32_e32 v0, 3, v1
	s_mov_b32 s23, exec_lo
	v_cmpx_gt_u32_e32 8, v1
; %bb.1150:                             ;   in Loop: Header=BB357_15 Depth=1
	v_ffbh_u32_e32 v0, v31
	v_min_u32_e32 v0, 32, v0
	v_subrev_nc_u32_e32 v1, 28, v0
	v_sub_nc_u32_e32 v0, 29, v0
	v_lshlrev_b64 v[1:2], v1, v[31:32]
	v_and_b32_e32 v31, 7, v1
; %bb.1151:                             ;   in Loop: Header=BB357_15 Depth=1
	s_or_b32 exec_lo, exec_lo, s23
	v_lshlrev_b32_e32 v1, 16, v13
	v_lshlrev_b32_e32 v2, 20, v31
	v_lshl_add_u32 v0, v0, 23, 0x3c000000
	v_and_b32_e32 v1, 0x80000000, v1
	v_or3_b32 v0, v2, v1, v0
	buffer_store_dword v0, off, s[0:3], s32 offset:640 ; 4-byte Folded Spill
.LBB357_1152:                           ;   in Loop: Header=BB357_15 Depth=1
	s_or_b32 exec_lo, exec_lo, s22
.LBB357_1153:                           ;   in Loop: Header=BB357_15 Depth=1
	s_or_b32 exec_lo, exec_lo, s21
.LBB357_1154:                           ;   in Loop: Header=BB357_15 Depth=1
	s_or_b32 exec_lo, exec_lo, s20
	v_and_b32_sdwa v0, v30, v3 dst_sel:DWORD dst_unused:UNUSED_PAD src0_sel:WORD_1 src1_sel:DWORD
	v_mov_b32_e32 v1, 0
	v_mov_b32_e32 v111, 0
	s_mov_b32 s20, exec_lo
	buffer_store_dword v1, off, s[0:3], s32 offset:644 ; 4-byte Folded Spill
	v_cmpx_ne_u16_e32 0, v0
	s_cbranch_execz .LBB357_1162
; %bb.1155:                             ;   in Loop: Header=BB357_15 Depth=1
	v_bfrev_b32_e32 v111, 1
	s_mov_b32 s21, exec_lo
	v_cmpx_ne_u16_e32 0x80, v0
	s_cbranch_execz .LBB357_1161
; %bb.1156:                             ;   in Loop: Header=BB357_15 Depth=1
	v_bfe_u32 v1, v30, 16, 7
	v_mov_b32_e32 v111, 0x7f800001
	s_mov_b32 s22, exec_lo
	v_cmpx_ne_u32_e32 0x7f, v1
	s_cbranch_execz .LBB357_1160
; %bb.1157:                             ;   in Loop: Header=BB357_15 Depth=1
	v_mov_b32_e32 v0, 7
	s_mov_b32 s23, exec_lo
	v_and_b32_sdwa v13, v30, v0 dst_sel:DWORD dst_unused:UNUSED_PAD src0_sel:WORD_1 src1_sel:DWORD
	v_mov_b32_e32 v32, v14
	v_lshrrev_b32_e32 v0, 3, v1
	v_mov_b32_e32 v31, v13
	v_cmpx_gt_u32_e32 8, v1
; %bb.1158:                             ;   in Loop: Header=BB357_15 Depth=1
	v_ffbh_u32_e32 v0, v13
	v_min_u32_e32 v0, 32, v0
	v_subrev_nc_u32_e32 v1, 28, v0
	v_sub_nc_u32_e32 v0, 29, v0
	v_lshlrev_b64 v[1:2], v1, v[13:14]
	v_and_b32_e32 v31, 7, v1
; %bb.1159:                             ;   in Loop: Header=BB357_15 Depth=1
	s_or_b32 exec_lo, exec_lo, s23
	v_mov_b32_e32 v1, 24
	v_lshlrev_b32_e32 v2, 20, v31
	v_lshl_add_u32 v0, v0, 23, 0x3c000000
	v_lshlrev_b32_sdwa v1, v1, v30 dst_sel:DWORD dst_unused:UNUSED_PAD src0_sel:DWORD src1_sel:WORD_1
	v_and_b32_e32 v1, 0x80000000, v1
	v_or3_b32 v111, v2, v1, v0
.LBB357_1160:                           ;   in Loop: Header=BB357_15 Depth=1
	s_or_b32 exec_lo, exec_lo, s22
.LBB357_1161:                           ;   in Loop: Header=BB357_15 Depth=1
	s_or_b32 exec_lo, exec_lo, s21
.LBB357_1162:                           ;   in Loop: Header=BB357_15 Depth=1
	s_or_b32 exec_lo, exec_lo, s20
	s_mov_b32 s20, exec_lo
	v_cmpx_lt_u64_e64 s[12:13], v[29:30]
	s_cbranch_execz .LBB357_1170
; %bb.1163:                             ;   in Loop: Header=BB357_15 Depth=1
	v_cmp_ne_u32_sdwa s5, v30, v43 src0_sel:BYTE_3 src1_sel:DWORD
	v_bfrev_b32_e32 v0, 1
	buffer_store_dword v0, off, s[0:3], s32 offset:644 ; 4-byte Folded Spill
	s_and_saveexec_b32 s21, s5
	s_cbranch_execz .LBB357_1169
; %bb.1164:                             ;   in Loop: Header=BB357_15 Depth=1
	v_bfe_u32 v1, v30, 24, 7
	v_mov_b32_e32 v0, 0x7f800001
	s_mov_b32 s22, exec_lo
	buffer_store_dword v0, off, s[0:3], s32 offset:644 ; 4-byte Folded Spill
	v_cmpx_ne_u32_e32 0x7f, v1
	s_cbranch_execz .LBB357_1168
; %bb.1165:                             ;   in Loop: Header=BB357_15 Depth=1
	v_mov_b32_e32 v0, 7
	s_mov_b32 s23, exec_lo
	v_and_b32_sdwa v13, v30, v0 dst_sel:DWORD dst_unused:UNUSED_PAD src0_sel:BYTE_3 src1_sel:DWORD
	v_mov_b32_e32 v32, v14
	v_lshrrev_b32_e32 v0, 3, v1
	v_mov_b32_e32 v31, v13
	v_cmpx_gt_u32_e32 8, v1
; %bb.1166:                             ;   in Loop: Header=BB357_15 Depth=1
	v_ffbh_u32_e32 v0, v13
	v_min_u32_e32 v0, 32, v0
	v_subrev_nc_u32_e32 v1, 28, v0
	v_sub_nc_u32_e32 v0, 29, v0
	v_lshlrev_b64 v[1:2], v1, v[13:14]
	v_and_b32_e32 v31, 7, v1
; %bb.1167:                             ;   in Loop: Header=BB357_15 Depth=1
	s_or_b32 exec_lo, exec_lo, s23
	v_mov_b32_e32 v1, 24
	v_lshlrev_b32_e32 v2, 20, v31
	v_lshl_add_u32 v0, v0, 23, 0x3c000000
	v_lshlrev_b32_sdwa v1, v1, v30 dst_sel:DWORD dst_unused:UNUSED_PAD src0_sel:DWORD src1_sel:BYTE_3
	v_and_b32_e32 v1, 0x80000000, v1
	v_or3_b32 v0, v2, v1, v0
	buffer_store_dword v0, off, s[0:3], s32 offset:644 ; 4-byte Folded Spill
.LBB357_1168:                           ;   in Loop: Header=BB357_15 Depth=1
	s_or_b32 exec_lo, exec_lo, s22
.LBB357_1169:                           ;   in Loop: Header=BB357_15 Depth=1
	s_or_b32 exec_lo, exec_lo, s21
.LBB357_1170:                           ;   in Loop: Header=BB357_15 Depth=1
	s_or_b32 exec_lo, exec_lo, s20
	flat_load_dwordx2 v[29:30], v[27:28] offset:512
	v_mov_b32_e32 v34, 0
	v_mov_b32_e32 v107, 0
	s_waitcnt vmcnt(0) lgkmcnt(0)
	v_cmp_ne_u16_sdwa s5, v29, v14 src0_sel:BYTE_0 src1_sel:DWORD
	s_and_saveexec_b32 s20, s5
	s_cbranch_execz .LBB357_1178
; %bb.1171:                             ;   in Loop: Header=BB357_15 Depth=1
	v_cmp_ne_u16_sdwa s5, v29, v43 src0_sel:BYTE_0 src1_sel:DWORD
	v_bfrev_b32_e32 v107, 1
	s_and_saveexec_b32 s21, s5
	s_cbranch_execz .LBB357_1177
; %bb.1172:                             ;   in Loop: Header=BB357_15 Depth=1
	v_and_b32_e32 v1, 0x7f, v29
	v_mov_b32_e32 v107, 0x7f800001
	s_mov_b32 s22, exec_lo
	v_cmpx_ne_u32_e32 0x7f, v1
	s_cbranch_execz .LBB357_1176
; %bb.1173:                             ;   in Loop: Header=BB357_15 Depth=1
	v_mov_b32_e32 v32, v30
	v_lshrrev_b32_e32 v0, 3, v1
	v_mov_b32_e32 v31, v29
	s_mov_b32 s23, exec_lo
	v_cmpx_gt_u32_e32 8, v1
; %bb.1174:                             ;   in Loop: Header=BB357_15 Depth=1
	v_and_b32_e32 v0, 7, v29
	v_ffbh_u32_e32 v0, v0
	v_min_u32_e32 v0, 32, v0
	v_subrev_nc_u32_e32 v1, 28, v0
	v_sub_nc_u32_e32 v0, 29, v0
	v_lshlrev_b64 v[31:32], v1, v[29:30]
; %bb.1175:                             ;   in Loop: Header=BB357_15 Depth=1
	s_or_b32 exec_lo, exec_lo, s23
	v_lshlrev_b32_e32 v1, 20, v31
	v_lshlrev_b32_e32 v2, 24, v29
	v_lshl_add_u32 v0, v0, 23, 0x3c000000
	v_and_b32_e32 v1, 0x700000, v1
	v_and_b32_e32 v2, 0x80000000, v2
	v_or3_b32 v107, v1, v2, v0
.LBB357_1176:                           ;   in Loop: Header=BB357_15 Depth=1
	s_or_b32 exec_lo, exec_lo, s22
.LBB357_1177:                           ;   in Loop: Header=BB357_15 Depth=1
	s_or_b32 exec_lo, exec_lo, s21
.LBB357_1178:                           ;   in Loop: Header=BB357_15 Depth=1
	s_or_b32 exec_lo, exec_lo, s20
	v_cmp_ne_u16_sdwa s5, v29, v14 src0_sel:BYTE_1 src1_sel:DWORD
	s_and_saveexec_b32 s20, s5
	s_cbranch_execz .LBB357_1186
; %bb.1179:                             ;   in Loop: Header=BB357_15 Depth=1
	v_cmp_ne_u16_sdwa s5, v29, v43 src0_sel:BYTE_1 src1_sel:DWORD
	v_bfrev_b32_e32 v34, 1
	s_and_saveexec_b32 s21, s5
	s_cbranch_execz .LBB357_1185
; %bb.1180:                             ;   in Loop: Header=BB357_15 Depth=1
	v_mov_b32_e32 v0, 0xffff
	v_mov_b32_e32 v34, 0x7f800001
	s_mov_b32 s22, exec_lo
	v_and_b32_sdwa v0, v0, v29 dst_sel:DWORD dst_unused:UNUSED_PAD src0_sel:DWORD src1_sel:BYTE_1
	v_and_b32_e32 v1, 0x7f, v0
	v_cmpx_ne_u32_e32 0x7f, v1
	s_cbranch_execz .LBB357_1184
; %bb.1181:                             ;   in Loop: Header=BB357_15 Depth=1
	v_and_b32_e32 v13, 7, v0
	v_mov_b32_e32 v32, v14
	v_lshrrev_b32_e32 v0, 3, v1
	s_mov_b32 s23, exec_lo
	v_mov_b32_e32 v31, v13
	v_cmpx_gt_u32_e32 8, v1
; %bb.1182:                             ;   in Loop: Header=BB357_15 Depth=1
	v_ffbh_u32_e32 v0, v13
	v_min_u32_e32 v0, 32, v0
	v_subrev_nc_u32_e32 v1, 28, v0
	v_sub_nc_u32_e32 v0, 29, v0
	v_lshlrev_b64 v[1:2], v1, v[13:14]
	v_and_b32_e32 v31, 7, v1
; %bb.1183:                             ;   in Loop: Header=BB357_15 Depth=1
	s_or_b32 exec_lo, exec_lo, s23
	v_lshlrev_b32_e32 v1, 16, v29
	v_lshlrev_b32_e32 v2, 20, v31
	v_lshl_add_u32 v0, v0, 23, 0x3c000000
	v_and_b32_e32 v1, 0x80000000, v1
	v_or3_b32 v34, v2, v1, v0
.LBB357_1184:                           ;   in Loop: Header=BB357_15 Depth=1
	s_or_b32 exec_lo, exec_lo, s22
.LBB357_1185:                           ;   in Loop: Header=BB357_15 Depth=1
	s_or_b32 exec_lo, exec_lo, s21
.LBB357_1186:                           ;   in Loop: Header=BB357_15 Depth=1
	s_or_b32 exec_lo, exec_lo, s20
	v_mov_b32_e32 v93, 0xff
	v_and_b32_sdwa v0, v29, v3 dst_sel:DWORD dst_unused:UNUSED_PAD src0_sel:WORD_1 src1_sel:DWORD
	v_mov_b32_e32 v11, 0
	v_mov_b32_e32 v6, 0
	s_mov_b32 s20, exec_lo
	v_cmpx_ne_u16_e32 0, v0
	s_cbranch_execz .LBB357_1194
; %bb.1187:                             ;   in Loop: Header=BB357_15 Depth=1
	v_bfrev_b32_e32 v6, 1
	s_mov_b32 s21, exec_lo
	v_cmpx_ne_u16_e32 0x80, v0
	s_cbranch_execz .LBB357_1193
; %bb.1188:                             ;   in Loop: Header=BB357_15 Depth=1
	v_bfe_u32 v1, v29, 16, 7
	v_mov_b32_e32 v6, 0x7f800001
	s_mov_b32 s22, exec_lo
	v_cmpx_ne_u32_e32 0x7f, v1
	s_cbranch_execz .LBB357_1192
; %bb.1189:                             ;   in Loop: Header=BB357_15 Depth=1
	v_mov_b32_e32 v0, 7
	s_mov_b32 s23, exec_lo
	v_and_b32_sdwa v13, v29, v0 dst_sel:DWORD dst_unused:UNUSED_PAD src0_sel:WORD_1 src1_sel:DWORD
	v_mov_b32_e32 v32, v14
	v_lshrrev_b32_e32 v0, 3, v1
	v_mov_b32_e32 v31, v13
	v_cmpx_gt_u32_e32 8, v1
; %bb.1190:                             ;   in Loop: Header=BB357_15 Depth=1
	v_ffbh_u32_e32 v0, v13
	v_min_u32_e32 v0, 32, v0
	v_subrev_nc_u32_e32 v1, 28, v0
	v_sub_nc_u32_e32 v0, 29, v0
	v_lshlrev_b64 v[1:2], v1, v[13:14]
	v_and_b32_e32 v31, 7, v1
; %bb.1191:                             ;   in Loop: Header=BB357_15 Depth=1
	s_or_b32 exec_lo, exec_lo, s23
	v_mov_b32_e32 v1, 24
	v_lshlrev_b32_e32 v2, 20, v31
	v_lshl_add_u32 v0, v0, 23, 0x3c000000
	v_lshlrev_b32_sdwa v1, v1, v29 dst_sel:DWORD dst_unused:UNUSED_PAD src0_sel:DWORD src1_sel:WORD_1
	v_and_b32_e32 v1, 0x80000000, v1
	v_or3_b32 v6, v2, v1, v0
.LBB357_1192:                           ;   in Loop: Header=BB357_15 Depth=1
	s_or_b32 exec_lo, exec_lo, s22
.LBB357_1193:                           ;   in Loop: Header=BB357_15 Depth=1
	s_or_b32 exec_lo, exec_lo, s21
.LBB357_1194:                           ;   in Loop: Header=BB357_15 Depth=1
	s_or_b32 exec_lo, exec_lo, s20
	s_mov_b32 s20, exec_lo
	v_cmpx_lt_u32_e32 0xffffff, v29
	s_cbranch_execz .LBB357_1202
; %bb.1195:                             ;   in Loop: Header=BB357_15 Depth=1
	v_cmp_ne_u32_sdwa s5, v29, v43 src0_sel:BYTE_3 src1_sel:DWORD
	v_bfrev_b32_e32 v11, 1
	s_and_saveexec_b32 s21, s5
	s_cbranch_execz .LBB357_1201
; %bb.1196:                             ;   in Loop: Header=BB357_15 Depth=1
	v_bfe_u32 v1, v29, 24, 7
	v_mov_b32_e32 v11, 0x7f800001
	s_mov_b32 s22, exec_lo
	v_cmpx_ne_u32_e32 0x7f, v1
	s_cbranch_execz .LBB357_1200
; %bb.1197:                             ;   in Loop: Header=BB357_15 Depth=1
	v_mov_b32_e32 v0, 7
	s_mov_b32 s23, exec_lo
	v_and_b32_sdwa v13, v29, v0 dst_sel:DWORD dst_unused:UNUSED_PAD src0_sel:BYTE_3 src1_sel:DWORD
	v_mov_b32_e32 v32, v14
	v_lshrrev_b32_e32 v0, 3, v1
	v_mov_b32_e32 v31, v13
	v_cmpx_gt_u32_e32 8, v1
; %bb.1198:                             ;   in Loop: Header=BB357_15 Depth=1
	v_ffbh_u32_e32 v0, v13
	v_min_u32_e32 v0, 32, v0
	v_subrev_nc_u32_e32 v1, 28, v0
	v_sub_nc_u32_e32 v0, 29, v0
	v_lshlrev_b64 v[1:2], v1, v[13:14]
	v_and_b32_e32 v31, 7, v1
; %bb.1199:                             ;   in Loop: Header=BB357_15 Depth=1
	s_or_b32 exec_lo, exec_lo, s23
	v_mov_b32_e32 v1, 24
	v_lshlrev_b32_e32 v2, 20, v31
	v_lshl_add_u32 v0, v0, 23, 0x3c000000
	v_lshlrev_b32_sdwa v1, v1, v29 dst_sel:DWORD dst_unused:UNUSED_PAD src0_sel:DWORD src1_sel:BYTE_3
	v_and_b32_e32 v1, 0x80000000, v1
	v_or3_b32 v11, v2, v1, v0
.LBB357_1200:                           ;   in Loop: Header=BB357_15 Depth=1
	s_or_b32 exec_lo, exec_lo, s22
.LBB357_1201:                           ;   in Loop: Header=BB357_15 Depth=1
	s_or_b32 exec_lo, exec_lo, s21
.LBB357_1202:                           ;   in Loop: Header=BB357_15 Depth=1
	s_or_b32 exec_lo, exec_lo, s20
	v_mov_b32_e32 v13, v30
	v_cmp_ne_u16_sdwa s5, v30, v14 src0_sel:BYTE_0 src1_sel:DWORD
	v_mov_b32_e32 v5, 0
	v_mov_b32_e32 v10, 0
	s_and_saveexec_b32 s20, s5
	s_cbranch_execz .LBB357_1210
; %bb.1203:                             ;   in Loop: Header=BB357_15 Depth=1
	v_cmp_ne_u16_sdwa s5, v30, v43 src0_sel:BYTE_0 src1_sel:DWORD
	v_bfrev_b32_e32 v10, 1
	s_and_saveexec_b32 s21, s5
	s_cbranch_execz .LBB357_1209
; %bb.1204:                             ;   in Loop: Header=BB357_15 Depth=1
	v_and_b32_e32 v1, 0x7f, v30
	v_mov_b32_e32 v10, 0x7f800001
	s_mov_b32 s22, exec_lo
	v_cmpx_ne_u32_e32 0x7f, v1
	s_cbranch_execz .LBB357_1208
; %bb.1205:                             ;   in Loop: Header=BB357_15 Depth=1
	v_mov_b32_e32 v32, v14
	v_mov_b32_e32 v31, v13
	v_lshrrev_b32_e32 v0, 3, v1
	s_mov_b32 s23, exec_lo
	v_cmpx_gt_u32_e32 8, v1
; %bb.1206:                             ;   in Loop: Header=BB357_15 Depth=1
	v_and_b32_e32 v0, 7, v30
	v_ffbh_u32_e32 v0, v0
	v_min_u32_e32 v0, 32, v0
	v_subrev_nc_u32_e32 v1, 28, v0
	v_sub_nc_u32_e32 v0, 29, v0
	v_lshlrev_b64 v[31:32], v1, v[13:14]
; %bb.1207:                             ;   in Loop: Header=BB357_15 Depth=1
	s_or_b32 exec_lo, exec_lo, s23
	v_lshlrev_b32_e32 v1, 20, v31
	v_lshlrev_b32_e32 v2, 24, v13
	v_lshl_add_u32 v0, v0, 23, 0x3c000000
	v_and_b32_e32 v1, 0x700000, v1
	v_and_b32_e32 v2, 0x80000000, v2
	v_or3_b32 v10, v1, v2, v0
.LBB357_1208:                           ;   in Loop: Header=BB357_15 Depth=1
	s_or_b32 exec_lo, exec_lo, s22
.LBB357_1209:                           ;   in Loop: Header=BB357_15 Depth=1
	s_or_b32 exec_lo, exec_lo, s21
.LBB357_1210:                           ;   in Loop: Header=BB357_15 Depth=1
	s_or_b32 exec_lo, exec_lo, s20
	v_cmp_ne_u16_sdwa s5, v13, v14 src0_sel:BYTE_1 src1_sel:DWORD
	s_and_saveexec_b32 s20, s5
	s_cbranch_execz .LBB357_1218
; %bb.1211:                             ;   in Loop: Header=BB357_15 Depth=1
	v_cmp_ne_u16_sdwa s5, v13, v43 src0_sel:BYTE_1 src1_sel:DWORD
	v_bfrev_b32_e32 v5, 1
	s_and_saveexec_b32 s21, s5
	s_cbranch_execz .LBB357_1217
; %bb.1212:                             ;   in Loop: Header=BB357_15 Depth=1
	v_mov_b32_e32 v0, 0xffff
	v_mov_b32_e32 v5, 0x7f800001
	s_mov_b32 s22, exec_lo
	v_and_b32_sdwa v0, v0, v13 dst_sel:DWORD dst_unused:UNUSED_PAD src0_sel:DWORD src1_sel:BYTE_1
	v_and_b32_e32 v1, 0x7f, v0
	v_cmpx_ne_u32_e32 0x7f, v1
	s_cbranch_execz .LBB357_1216
; %bb.1213:                             ;   in Loop: Header=BB357_15 Depth=1
	v_and_b32_e32 v31, 7, v0
	v_mov_b32_e32 v32, v14
	v_lshrrev_b32_e32 v0, 3, v1
	s_mov_b32 s23, exec_lo
	v_cmpx_gt_u32_e32 8, v1
; %bb.1214:                             ;   in Loop: Header=BB357_15 Depth=1
	v_ffbh_u32_e32 v0, v31
	v_min_u32_e32 v0, 32, v0
	v_subrev_nc_u32_e32 v1, 28, v0
	v_sub_nc_u32_e32 v0, 29, v0
	v_lshlrev_b64 v[1:2], v1, v[31:32]
	v_and_b32_e32 v31, 7, v1
; %bb.1215:                             ;   in Loop: Header=BB357_15 Depth=1
	s_or_b32 exec_lo, exec_lo, s23
	v_lshlrev_b32_e32 v1, 16, v13
	v_lshlrev_b32_e32 v2, 20, v31
	v_lshl_add_u32 v0, v0, 23, 0x3c000000
	v_and_b32_e32 v1, 0x80000000, v1
	v_or3_b32 v5, v2, v1, v0
.LBB357_1216:                           ;   in Loop: Header=BB357_15 Depth=1
	s_or_b32 exec_lo, exec_lo, s22
.LBB357_1217:                           ;   in Loop: Header=BB357_15 Depth=1
	s_or_b32 exec_lo, exec_lo, s21
.LBB357_1218:                           ;   in Loop: Header=BB357_15 Depth=1
	s_or_b32 exec_lo, exec_lo, s20
	v_and_b32_sdwa v1, v30, v93 dst_sel:DWORD dst_unused:UNUSED_PAD src0_sel:WORD_1 src1_sel:DWORD
	v_mov_b32_e32 v0, 0
	v_mov_b32_e32 v17, 0
	s_mov_b32 s20, exec_lo
	v_cmpx_ne_u16_e32 0, v1
	s_cbranch_execz .LBB357_1226
; %bb.1219:                             ;   in Loop: Header=BB357_15 Depth=1
	v_bfrev_b32_e32 v17, 1
	s_mov_b32 s21, exec_lo
	v_cmpx_ne_u16_e32 0x80, v1
	s_cbranch_execz .LBB357_1225
; %bb.1220:                             ;   in Loop: Header=BB357_15 Depth=1
	v_bfe_u32 v2, v30, 16, 7
	v_mov_b32_e32 v17, 0x7f800001
	s_mov_b32 s22, exec_lo
	v_cmpx_ne_u32_e32 0x7f, v2
	s_cbranch_execz .LBB357_1224
; %bb.1221:                             ;   in Loop: Header=BB357_15 Depth=1
	v_mov_b32_e32 v1, 7
	s_mov_b32 s23, exec_lo
	v_and_b32_sdwa v13, v30, v1 dst_sel:DWORD dst_unused:UNUSED_PAD src0_sel:WORD_1 src1_sel:DWORD
	v_mov_b32_e32 v32, v14
	v_lshrrev_b32_e32 v1, 3, v2
	v_mov_b32_e32 v31, v13
	v_cmpx_gt_u32_e32 8, v2
; %bb.1222:                             ;   in Loop: Header=BB357_15 Depth=1
	v_ffbh_u32_e32 v1, v13
	v_min_u32_e32 v1, 32, v1
	v_subrev_nc_u32_e32 v2, 28, v1
	v_sub_nc_u32_e32 v1, 29, v1
	v_lshlrev_b64 v[2:3], v2, v[13:14]
	v_and_b32_e32 v31, 7, v2
; %bb.1223:                             ;   in Loop: Header=BB357_15 Depth=1
	s_or_b32 exec_lo, exec_lo, s23
	v_mov_b32_e32 v2, 24
	v_lshlrev_b32_e32 v3, 20, v31
	v_lshl_add_u32 v1, v1, 23, 0x3c000000
	v_lshlrev_b32_sdwa v2, v2, v30 dst_sel:DWORD dst_unused:UNUSED_PAD src0_sel:DWORD src1_sel:WORD_1
	v_and_b32_e32 v2, 0x80000000, v2
	v_or3_b32 v17, v3, v2, v1
.LBB357_1224:                           ;   in Loop: Header=BB357_15 Depth=1
	s_or_b32 exec_lo, exec_lo, s22
.LBB357_1225:                           ;   in Loop: Header=BB357_15 Depth=1
	s_or_b32 exec_lo, exec_lo, s21
.LBB357_1226:                           ;   in Loop: Header=BB357_15 Depth=1
	s_or_b32 exec_lo, exec_lo, s20
	s_mov_b32 s20, exec_lo
	v_cmpx_lt_u64_e64 s[12:13], v[29:30]
	s_cbranch_execz .LBB357_1234
; %bb.1227:                             ;   in Loop: Header=BB357_15 Depth=1
	v_cmp_ne_u32_sdwa s5, v30, v43 src0_sel:BYTE_3 src1_sel:DWORD
	v_bfrev_b32_e32 v0, 1
	s_and_saveexec_b32 s21, s5
	s_cbranch_execz .LBB357_1233
; %bb.1228:                             ;   in Loop: Header=BB357_15 Depth=1
	v_bfe_u32 v1, v30, 24, 7
	v_mov_b32_e32 v0, 0x7f800001
	s_mov_b32 s22, exec_lo
	v_cmpx_ne_u32_e32 0x7f, v1
	s_cbranch_execz .LBB357_1232
; %bb.1229:                             ;   in Loop: Header=BB357_15 Depth=1
	v_mov_b32_e32 v0, 7
	s_mov_b32 s23, exec_lo
	v_and_b32_sdwa v13, v30, v0 dst_sel:DWORD dst_unused:UNUSED_PAD src0_sel:BYTE_3 src1_sel:DWORD
	v_mov_b32_e32 v32, v14
	v_lshrrev_b32_e32 v0, 3, v1
	v_mov_b32_e32 v31, v13
	v_cmpx_gt_u32_e32 8, v1
; %bb.1230:                             ;   in Loop: Header=BB357_15 Depth=1
	v_ffbh_u32_e32 v0, v13
	v_min_u32_e32 v0, 32, v0
	v_subrev_nc_u32_e32 v1, 28, v0
	v_sub_nc_u32_e32 v0, 29, v0
	v_lshlrev_b64 v[1:2], v1, v[13:14]
	v_and_b32_e32 v31, 7, v1
; %bb.1231:                             ;   in Loop: Header=BB357_15 Depth=1
	s_or_b32 exec_lo, exec_lo, s23
	v_mov_b32_e32 v1, 24
	v_lshlrev_b32_e32 v2, 20, v31
	v_lshl_add_u32 v0, v0, 23, 0x3c000000
	v_lshlrev_b32_sdwa v1, v1, v30 dst_sel:DWORD dst_unused:UNUSED_PAD src0_sel:DWORD src1_sel:BYTE_3
	v_and_b32_e32 v1, 0x80000000, v1
	v_or3_b32 v0, v2, v1, v0
.LBB357_1232:                           ;   in Loop: Header=BB357_15 Depth=1
	s_or_b32 exec_lo, exec_lo, s22
.LBB357_1233:                           ;   in Loop: Header=BB357_15 Depth=1
	s_or_b32 exec_lo, exec_lo, s21
.LBB357_1234:                           ;   in Loop: Header=BB357_15 Depth=1
	s_or_b32 exec_lo, exec_lo, s20
	flat_load_dwordx2 v[29:30], v[27:28] offset:520
	v_mov_b32_e32 v12, 0
	v_mov_b32_e32 v18, 0
	s_waitcnt vmcnt(0) lgkmcnt(0)
	v_cmp_ne_u16_sdwa s5, v29, v14 src0_sel:BYTE_0 src1_sel:DWORD
	s_and_saveexec_b32 s20, s5
	s_cbranch_execz .LBB357_1242
; %bb.1235:                             ;   in Loop: Header=BB357_15 Depth=1
	v_cmp_ne_u16_sdwa s5, v29, v43 src0_sel:BYTE_0 src1_sel:DWORD
	v_bfrev_b32_e32 v18, 1
	s_and_saveexec_b32 s21, s5
	s_cbranch_execz .LBB357_1241
; %bb.1236:                             ;   in Loop: Header=BB357_15 Depth=1
	v_and_b32_e32 v2, 0x7f, v29
	v_mov_b32_e32 v18, 0x7f800001
	s_mov_b32 s22, exec_lo
	v_cmpx_ne_u32_e32 0x7f, v2
	s_cbranch_execz .LBB357_1240
; %bb.1237:                             ;   in Loop: Header=BB357_15 Depth=1
	v_mov_b32_e32 v32, v30
	v_lshrrev_b32_e32 v1, 3, v2
	v_mov_b32_e32 v31, v29
	s_mov_b32 s23, exec_lo
	v_cmpx_gt_u32_e32 8, v2
; %bb.1238:                             ;   in Loop: Header=BB357_15 Depth=1
	v_and_b32_e32 v1, 7, v29
	v_ffbh_u32_e32 v1, v1
	v_min_u32_e32 v1, 32, v1
	v_subrev_nc_u32_e32 v2, 28, v1
	v_sub_nc_u32_e32 v1, 29, v1
	v_lshlrev_b64 v[31:32], v2, v[29:30]
; %bb.1239:                             ;   in Loop: Header=BB357_15 Depth=1
	s_or_b32 exec_lo, exec_lo, s23
	v_lshlrev_b32_e32 v2, 20, v31
	v_lshlrev_b32_e32 v3, 24, v29
	v_lshl_add_u32 v1, v1, 23, 0x3c000000
	v_and_b32_e32 v2, 0x700000, v2
	v_and_b32_e32 v3, 0x80000000, v3
	v_or3_b32 v18, v2, v3, v1
.LBB357_1240:                           ;   in Loop: Header=BB357_15 Depth=1
	s_or_b32 exec_lo, exec_lo, s22
.LBB357_1241:                           ;   in Loop: Header=BB357_15 Depth=1
	s_or_b32 exec_lo, exec_lo, s21
.LBB357_1242:                           ;   in Loop: Header=BB357_15 Depth=1
	s_or_b32 exec_lo, exec_lo, s20
	v_cmp_ne_u16_sdwa s5, v29, v14 src0_sel:BYTE_1 src1_sel:DWORD
	s_and_saveexec_b32 s20, s5
	s_cbranch_execz .LBB357_1250
; %bb.1243:                             ;   in Loop: Header=BB357_15 Depth=1
	v_cmp_ne_u16_sdwa s5, v29, v43 src0_sel:BYTE_1 src1_sel:DWORD
	v_bfrev_b32_e32 v12, 1
	s_and_saveexec_b32 s21, s5
	s_cbranch_execz .LBB357_1249
; %bb.1244:                             ;   in Loop: Header=BB357_15 Depth=1
	v_mov_b32_e32 v1, 0xffff
	v_mov_b32_e32 v12, 0x7f800001
	s_mov_b32 s22, exec_lo
	v_and_b32_sdwa v1, v1, v29 dst_sel:DWORD dst_unused:UNUSED_PAD src0_sel:DWORD src1_sel:BYTE_1
	v_and_b32_e32 v2, 0x7f, v1
	v_cmpx_ne_u32_e32 0x7f, v2
	s_cbranch_execz .LBB357_1248
; %bb.1245:                             ;   in Loop: Header=BB357_15 Depth=1
	v_and_b32_e32 v13, 7, v1
	v_mov_b32_e32 v32, v14
	v_lshrrev_b32_e32 v1, 3, v2
	s_mov_b32 s23, exec_lo
	v_mov_b32_e32 v31, v13
	v_cmpx_gt_u32_e32 8, v2
; %bb.1246:                             ;   in Loop: Header=BB357_15 Depth=1
	v_ffbh_u32_e32 v1, v13
	v_min_u32_e32 v1, 32, v1
	v_subrev_nc_u32_e32 v2, 28, v1
	v_sub_nc_u32_e32 v1, 29, v1
	v_lshlrev_b64 v[2:3], v2, v[13:14]
	v_and_b32_e32 v31, 7, v2
; %bb.1247:                             ;   in Loop: Header=BB357_15 Depth=1
	s_or_b32 exec_lo, exec_lo, s23
	v_lshlrev_b32_e32 v2, 16, v29
	v_lshlrev_b32_e32 v3, 20, v31
	v_lshl_add_u32 v1, v1, 23, 0x3c000000
	v_and_b32_e32 v2, 0x80000000, v2
	v_or3_b32 v12, v3, v2, v1
.LBB357_1248:                           ;   in Loop: Header=BB357_15 Depth=1
	s_or_b32 exec_lo, exec_lo, s22
.LBB357_1249:                           ;   in Loop: Header=BB357_15 Depth=1
	s_or_b32 exec_lo, exec_lo, s21
.LBB357_1250:                           ;   in Loop: Header=BB357_15 Depth=1
	s_or_b32 exec_lo, exec_lo, s20
	v_and_b32_sdwa v1, v29, v93 dst_sel:DWORD dst_unused:UNUSED_PAD src0_sel:WORD_1 src1_sel:DWORD
	v_mov_b32_e32 v105, 0
	v_mov_b32_e32 v103, 0
	s_mov_b32 s20, exec_lo
	v_cmpx_ne_u16_e32 0, v1
	s_cbranch_execz .LBB357_1258
; %bb.1251:                             ;   in Loop: Header=BB357_15 Depth=1
	v_bfrev_b32_e32 v103, 1
	s_mov_b32 s21, exec_lo
	v_cmpx_ne_u16_e32 0x80, v1
	s_cbranch_execz .LBB357_1257
; %bb.1252:                             ;   in Loop: Header=BB357_15 Depth=1
	v_bfe_u32 v2, v29, 16, 7
	v_mov_b32_e32 v103, 0x7f800001
	s_mov_b32 s22, exec_lo
	v_cmpx_ne_u32_e32 0x7f, v2
	s_cbranch_execz .LBB357_1256
; %bb.1253:                             ;   in Loop: Header=BB357_15 Depth=1
	v_mov_b32_e32 v1, 7
	s_mov_b32 s23, exec_lo
	v_and_b32_sdwa v13, v29, v1 dst_sel:DWORD dst_unused:UNUSED_PAD src0_sel:WORD_1 src1_sel:DWORD
	v_mov_b32_e32 v32, v14
	v_lshrrev_b32_e32 v1, 3, v2
	v_mov_b32_e32 v31, v13
	v_cmpx_gt_u32_e32 8, v2
; %bb.1254:                             ;   in Loop: Header=BB357_15 Depth=1
	v_ffbh_u32_e32 v1, v13
	v_min_u32_e32 v1, 32, v1
	v_subrev_nc_u32_e32 v2, 28, v1
	v_sub_nc_u32_e32 v1, 29, v1
	v_lshlrev_b64 v[2:3], v2, v[13:14]
	v_and_b32_e32 v31, 7, v2
; %bb.1255:                             ;   in Loop: Header=BB357_15 Depth=1
	s_or_b32 exec_lo, exec_lo, s23
	v_mov_b32_e32 v2, 24
	v_lshlrev_b32_e32 v3, 20, v31
	v_lshl_add_u32 v1, v1, 23, 0x3c000000
	v_lshlrev_b32_sdwa v2, v2, v29 dst_sel:DWORD dst_unused:UNUSED_PAD src0_sel:DWORD src1_sel:WORD_1
	v_and_b32_e32 v2, 0x80000000, v2
	v_or3_b32 v103, v3, v2, v1
.LBB357_1256:                           ;   in Loop: Header=BB357_15 Depth=1
	s_or_b32 exec_lo, exec_lo, s22
.LBB357_1257:                           ;   in Loop: Header=BB357_15 Depth=1
	s_or_b32 exec_lo, exec_lo, s21
.LBB357_1258:                           ;   in Loop: Header=BB357_15 Depth=1
	s_or_b32 exec_lo, exec_lo, s20
	s_mov_b32 s20, exec_lo
	v_cmpx_lt_u32_e32 0xffffff, v29
	s_cbranch_execz .LBB357_1266
; %bb.1259:                             ;   in Loop: Header=BB357_15 Depth=1
	v_cmp_ne_u32_sdwa s5, v29, v43 src0_sel:BYTE_3 src1_sel:DWORD
	v_bfrev_b32_e32 v105, 1
	s_and_saveexec_b32 s21, s5
	s_cbranch_execz .LBB357_1265
; %bb.1260:                             ;   in Loop: Header=BB357_15 Depth=1
	v_bfe_u32 v2, v29, 24, 7
	v_mov_b32_e32 v105, 0x7f800001
	s_mov_b32 s22, exec_lo
	v_cmpx_ne_u32_e32 0x7f, v2
	s_cbranch_execz .LBB357_1264
; %bb.1261:                             ;   in Loop: Header=BB357_15 Depth=1
	v_mov_b32_e32 v1, 7
	s_mov_b32 s23, exec_lo
	v_and_b32_sdwa v13, v29, v1 dst_sel:DWORD dst_unused:UNUSED_PAD src0_sel:BYTE_3 src1_sel:DWORD
	v_mov_b32_e32 v32, v14
	v_lshrrev_b32_e32 v1, 3, v2
	v_mov_b32_e32 v31, v13
	v_cmpx_gt_u32_e32 8, v2
; %bb.1262:                             ;   in Loop: Header=BB357_15 Depth=1
	v_ffbh_u32_e32 v1, v13
	v_min_u32_e32 v1, 32, v1
	v_subrev_nc_u32_e32 v2, 28, v1
	v_sub_nc_u32_e32 v1, 29, v1
	v_lshlrev_b64 v[2:3], v2, v[13:14]
	v_and_b32_e32 v31, 7, v2
; %bb.1263:                             ;   in Loop: Header=BB357_15 Depth=1
	s_or_b32 exec_lo, exec_lo, s23
	v_mov_b32_e32 v2, 24
	v_lshlrev_b32_e32 v3, 20, v31
	v_lshl_add_u32 v1, v1, 23, 0x3c000000
	v_lshlrev_b32_sdwa v2, v2, v29 dst_sel:DWORD dst_unused:UNUSED_PAD src0_sel:DWORD src1_sel:BYTE_3
	v_and_b32_e32 v2, 0x80000000, v2
	v_or3_b32 v105, v3, v2, v1
.LBB357_1264:                           ;   in Loop: Header=BB357_15 Depth=1
	s_or_b32 exec_lo, exec_lo, s22
.LBB357_1265:                           ;   in Loop: Header=BB357_15 Depth=1
	s_or_b32 exec_lo, exec_lo, s21
.LBB357_1266:                           ;   in Loop: Header=BB357_15 Depth=1
	s_or_b32 exec_lo, exec_lo, s20
	v_mov_b32_e32 v13, v30
	v_cmp_ne_u16_sdwa s5, v30, v14 src0_sel:BYTE_0 src1_sel:DWORD
	v_mov_b32_e32 v21, 0
	v_mov_b32_e32 v70, 0
	s_and_saveexec_b32 s20, s5
	s_cbranch_execz .LBB357_1274
; %bb.1267:                             ;   in Loop: Header=BB357_15 Depth=1
	v_cmp_ne_u16_sdwa s5, v30, v43 src0_sel:BYTE_0 src1_sel:DWORD
	v_bfrev_b32_e32 v70, 1
	s_and_saveexec_b32 s21, s5
	s_cbranch_execz .LBB357_1273
; %bb.1268:                             ;   in Loop: Header=BB357_15 Depth=1
	v_and_b32_e32 v2, 0x7f, v30
	v_mov_b32_e32 v70, 0x7f800001
	s_mov_b32 s22, exec_lo
	v_cmpx_ne_u32_e32 0x7f, v2
	s_cbranch_execz .LBB357_1272
; %bb.1269:                             ;   in Loop: Header=BB357_15 Depth=1
	v_mov_b32_e32 v32, v14
	v_mov_b32_e32 v31, v13
	v_lshrrev_b32_e32 v1, 3, v2
	s_mov_b32 s23, exec_lo
	v_cmpx_gt_u32_e32 8, v2
; %bb.1270:                             ;   in Loop: Header=BB357_15 Depth=1
	v_and_b32_e32 v1, 7, v30
	v_ffbh_u32_e32 v1, v1
	v_min_u32_e32 v1, 32, v1
	v_subrev_nc_u32_e32 v2, 28, v1
	v_sub_nc_u32_e32 v1, 29, v1
	v_lshlrev_b64 v[31:32], v2, v[13:14]
; %bb.1271:                             ;   in Loop: Header=BB357_15 Depth=1
	s_or_b32 exec_lo, exec_lo, s23
	v_lshlrev_b32_e32 v2, 20, v31
	v_lshlrev_b32_e32 v3, 24, v13
	v_lshl_add_u32 v1, v1, 23, 0x3c000000
	v_and_b32_e32 v2, 0x700000, v2
	v_and_b32_e32 v3, 0x80000000, v3
	v_or3_b32 v70, v2, v3, v1
.LBB357_1272:                           ;   in Loop: Header=BB357_15 Depth=1
	s_or_b32 exec_lo, exec_lo, s22
.LBB357_1273:                           ;   in Loop: Header=BB357_15 Depth=1
	s_or_b32 exec_lo, exec_lo, s21
.LBB357_1274:                           ;   in Loop: Header=BB357_15 Depth=1
	s_or_b32 exec_lo, exec_lo, s20
	v_cmp_ne_u16_sdwa s5, v13, v14 src0_sel:BYTE_1 src1_sel:DWORD
	s_and_saveexec_b32 s20, s5
	s_cbranch_execz .LBB357_1282
; %bb.1275:                             ;   in Loop: Header=BB357_15 Depth=1
	v_cmp_ne_u16_sdwa s5, v13, v43 src0_sel:BYTE_1 src1_sel:DWORD
	v_bfrev_b32_e32 v21, 1
	s_and_saveexec_b32 s21, s5
	s_cbranch_execz .LBB357_1281
; %bb.1276:                             ;   in Loop: Header=BB357_15 Depth=1
	v_mov_b32_e32 v1, 0xffff
	v_mov_b32_e32 v21, 0x7f800001
	s_mov_b32 s22, exec_lo
	v_and_b32_sdwa v1, v1, v13 dst_sel:DWORD dst_unused:UNUSED_PAD src0_sel:DWORD src1_sel:BYTE_1
	v_and_b32_e32 v2, 0x7f, v1
	v_cmpx_ne_u32_e32 0x7f, v2
	s_cbranch_execz .LBB357_1280
; %bb.1277:                             ;   in Loop: Header=BB357_15 Depth=1
	v_and_b32_e32 v31, 7, v1
	v_mov_b32_e32 v32, v14
	v_lshrrev_b32_e32 v1, 3, v2
	s_mov_b32 s23, exec_lo
	v_cmpx_gt_u32_e32 8, v2
; %bb.1278:                             ;   in Loop: Header=BB357_15 Depth=1
	v_ffbh_u32_e32 v1, v31
	v_min_u32_e32 v1, 32, v1
	v_subrev_nc_u32_e32 v2, 28, v1
	v_sub_nc_u32_e32 v1, 29, v1
	v_lshlrev_b64 v[2:3], v2, v[31:32]
	v_and_b32_e32 v31, 7, v2
; %bb.1279:                             ;   in Loop: Header=BB357_15 Depth=1
	s_or_b32 exec_lo, exec_lo, s23
	v_lshlrev_b32_e32 v2, 16, v13
	v_lshlrev_b32_e32 v3, 20, v31
	v_lshl_add_u32 v1, v1, 23, 0x3c000000
	v_and_b32_e32 v2, 0x80000000, v2
	v_or3_b32 v21, v3, v2, v1
.LBB357_1280:                           ;   in Loop: Header=BB357_15 Depth=1
	s_or_b32 exec_lo, exec_lo, s22
.LBB357_1281:                           ;   in Loop: Header=BB357_15 Depth=1
	s_or_b32 exec_lo, exec_lo, s21
.LBB357_1282:                           ;   in Loop: Header=BB357_15 Depth=1
	s_or_b32 exec_lo, exec_lo, s20
	v_and_b32_sdwa v1, v30, v93 dst_sel:DWORD dst_unused:UNUSED_PAD src0_sel:WORD_1 src1_sel:DWORD
	v_mov_b32_e32 v9, 0
	v_mov_b32_e32 v3, 0
	s_mov_b32 s20, exec_lo
	v_cmpx_ne_u16_e32 0, v1
	s_cbranch_execz .LBB357_1290
; %bb.1283:                             ;   in Loop: Header=BB357_15 Depth=1
	v_bfrev_b32_e32 v3, 1
	s_mov_b32 s21, exec_lo
	v_cmpx_ne_u16_e32 0x80, v1
	s_cbranch_execz .LBB357_1289
; %bb.1284:                             ;   in Loop: Header=BB357_15 Depth=1
	v_bfe_u32 v2, v30, 16, 7
	v_mov_b32_e32 v3, 0x7f800001
	s_mov_b32 s22, exec_lo
	v_cmpx_ne_u32_e32 0x7f, v2
	s_cbranch_execz .LBB357_1288
; %bb.1285:                             ;   in Loop: Header=BB357_15 Depth=1
	v_mov_b32_e32 v1, 7
	s_mov_b32 s23, exec_lo
	v_and_b32_sdwa v13, v30, v1 dst_sel:DWORD dst_unused:UNUSED_PAD src0_sel:WORD_1 src1_sel:DWORD
	v_mov_b32_e32 v32, v14
	v_lshrrev_b32_e32 v1, 3, v2
	v_mov_b32_e32 v31, v13
	v_cmpx_gt_u32_e32 8, v2
; %bb.1286:                             ;   in Loop: Header=BB357_15 Depth=1
	v_ffbh_u32_e32 v1, v13
	v_min_u32_e32 v1, 32, v1
	v_subrev_nc_u32_e32 v2, 28, v1
	v_sub_nc_u32_e32 v1, 29, v1
	v_lshlrev_b64 v[2:3], v2, v[13:14]
	v_and_b32_e32 v31, 7, v2
; %bb.1287:                             ;   in Loop: Header=BB357_15 Depth=1
	s_or_b32 exec_lo, exec_lo, s23
	v_mov_b32_e32 v2, 24
	v_lshlrev_b32_e32 v3, 20, v31
	v_lshl_add_u32 v1, v1, 23, 0x3c000000
	v_lshlrev_b32_sdwa v2, v2, v30 dst_sel:DWORD dst_unused:UNUSED_PAD src0_sel:DWORD src1_sel:WORD_1
	v_and_b32_e32 v2, 0x80000000, v2
	v_or3_b32 v3, v3, v2, v1
.LBB357_1288:                           ;   in Loop: Header=BB357_15 Depth=1
	s_or_b32 exec_lo, exec_lo, s22
.LBB357_1289:                           ;   in Loop: Header=BB357_15 Depth=1
	s_or_b32 exec_lo, exec_lo, s21
.LBB357_1290:                           ;   in Loop: Header=BB357_15 Depth=1
	s_or_b32 exec_lo, exec_lo, s20
	s_mov_b32 s20, exec_lo
	v_cmpx_lt_u64_e64 s[12:13], v[29:30]
	s_cbranch_execz .LBB357_1298
; %bb.1291:                             ;   in Loop: Header=BB357_15 Depth=1
	v_cmp_ne_u32_sdwa s5, v30, v43 src0_sel:BYTE_3 src1_sel:DWORD
	v_bfrev_b32_e32 v9, 1
	s_and_saveexec_b32 s21, s5
	s_cbranch_execz .LBB357_1297
; %bb.1292:                             ;   in Loop: Header=BB357_15 Depth=1
	v_bfe_u32 v2, v30, 24, 7
	v_mov_b32_e32 v9, 0x7f800001
	s_mov_b32 s22, exec_lo
	v_cmpx_ne_u32_e32 0x7f, v2
	s_cbranch_execz .LBB357_1296
; %bb.1293:                             ;   in Loop: Header=BB357_15 Depth=1
	v_mov_b32_e32 v1, 7
	s_mov_b32 s23, exec_lo
	v_and_b32_sdwa v13, v30, v1 dst_sel:DWORD dst_unused:UNUSED_PAD src0_sel:BYTE_3 src1_sel:DWORD
	v_mov_b32_e32 v32, v14
	v_lshrrev_b32_e32 v1, 3, v2
	v_mov_b32_e32 v31, v13
	v_cmpx_gt_u32_e32 8, v2
; %bb.1294:                             ;   in Loop: Header=BB357_15 Depth=1
	v_ffbh_u32_e32 v1, v13
	v_min_u32_e32 v1, 32, v1
	v_subrev_nc_u32_e32 v2, 28, v1
	v_sub_nc_u32_e32 v1, 29, v1
	v_lshlrev_b64 v[7:8], v2, v[13:14]
	v_and_b32_e32 v31, 7, v7
; %bb.1295:                             ;   in Loop: Header=BB357_15 Depth=1
	s_or_b32 exec_lo, exec_lo, s23
	v_mov_b32_e32 v2, 24
	v_lshlrev_b32_e32 v4, 20, v31
	v_lshl_add_u32 v1, v1, 23, 0x3c000000
	v_lshlrev_b32_sdwa v2, v2, v30 dst_sel:DWORD dst_unused:UNUSED_PAD src0_sel:DWORD src1_sel:BYTE_3
	v_and_b32_e32 v2, 0x80000000, v2
	v_or3_b32 v9, v4, v2, v1
.LBB357_1296:                           ;   in Loop: Header=BB357_15 Depth=1
	s_or_b32 exec_lo, exec_lo, s22
.LBB357_1297:                           ;   in Loop: Header=BB357_15 Depth=1
	s_or_b32 exec_lo, exec_lo, s21
.LBB357_1298:                           ;   in Loop: Header=BB357_15 Depth=1
	s_or_b32 exec_lo, exec_lo, s20
	flat_load_dwordx2 v[29:30], v[27:28] offset:1024
	v_mov_b32_e32 v45, 0
	v_mov_b32_e32 v87, 0
	s_waitcnt vmcnt(0) lgkmcnt(0)
	v_cmp_ne_u16_sdwa s5, v29, v14 src0_sel:BYTE_0 src1_sel:DWORD
	s_and_saveexec_b32 s20, s5
	s_cbranch_execz .LBB357_1306
; %bb.1299:                             ;   in Loop: Header=BB357_15 Depth=1
	v_cmp_ne_u16_sdwa s5, v29, v43 src0_sel:BYTE_0 src1_sel:DWORD
	v_bfrev_b32_e32 v87, 1
	s_and_saveexec_b32 s21, s5
	s_cbranch_execz .LBB357_1305
; %bb.1300:                             ;   in Loop: Header=BB357_15 Depth=1
	v_and_b32_e32 v2, 0x7f, v29
	v_mov_b32_e32 v87, 0x7f800001
	s_mov_b32 s22, exec_lo
	v_cmpx_ne_u32_e32 0x7f, v2
	s_cbranch_execz .LBB357_1304
; %bb.1301:                             ;   in Loop: Header=BB357_15 Depth=1
	v_mov_b32_e32 v32, v30
	v_lshrrev_b32_e32 v1, 3, v2
	v_mov_b32_e32 v31, v29
	s_mov_b32 s23, exec_lo
	v_cmpx_gt_u32_e32 8, v2
; %bb.1302:                             ;   in Loop: Header=BB357_15 Depth=1
	v_and_b32_e32 v1, 7, v29
	v_ffbh_u32_e32 v1, v1
	v_min_u32_e32 v1, 32, v1
	v_subrev_nc_u32_e32 v2, 28, v1
	v_sub_nc_u32_e32 v1, 29, v1
	v_lshlrev_b64 v[31:32], v2, v[29:30]
; %bb.1303:                             ;   in Loop: Header=BB357_15 Depth=1
	s_or_b32 exec_lo, exec_lo, s23
	v_lshlrev_b32_e32 v2, 20, v31
	v_lshlrev_b32_e32 v4, 24, v29
	v_lshl_add_u32 v1, v1, 23, 0x3c000000
	v_and_b32_e32 v2, 0x700000, v2
	v_and_b32_e32 v4, 0x80000000, v4
	v_or3_b32 v87, v2, v4, v1
.LBB357_1304:                           ;   in Loop: Header=BB357_15 Depth=1
	s_or_b32 exec_lo, exec_lo, s22
.LBB357_1305:                           ;   in Loop: Header=BB357_15 Depth=1
	s_or_b32 exec_lo, exec_lo, s21
.LBB357_1306:                           ;   in Loop: Header=BB357_15 Depth=1
	s_or_b32 exec_lo, exec_lo, s20
	v_cmp_ne_u16_sdwa s5, v29, v14 src0_sel:BYTE_1 src1_sel:DWORD
	s_and_saveexec_b32 s20, s5
	s_cbranch_execz .LBB357_1314
; %bb.1307:                             ;   in Loop: Header=BB357_15 Depth=1
	v_cmp_ne_u16_sdwa s5, v29, v43 src0_sel:BYTE_1 src1_sel:DWORD
	v_bfrev_b32_e32 v45, 1
	s_and_saveexec_b32 s21, s5
	s_cbranch_execz .LBB357_1313
; %bb.1308:                             ;   in Loop: Header=BB357_15 Depth=1
	v_mov_b32_e32 v1, 0xffff
	v_mov_b32_e32 v45, 0x7f800001
	s_mov_b32 s22, exec_lo
	v_and_b32_sdwa v1, v1, v29 dst_sel:DWORD dst_unused:UNUSED_PAD src0_sel:DWORD src1_sel:BYTE_1
	v_and_b32_e32 v2, 0x7f, v1
	v_cmpx_ne_u32_e32 0x7f, v2
	s_cbranch_execz .LBB357_1312
; %bb.1309:                             ;   in Loop: Header=BB357_15 Depth=1
	v_and_b32_e32 v13, 7, v1
	v_mov_b32_e32 v32, v14
	v_lshrrev_b32_e32 v1, 3, v2
	s_mov_b32 s23, exec_lo
	v_mov_b32_e32 v31, v13
	v_cmpx_gt_u32_e32 8, v2
; %bb.1310:                             ;   in Loop: Header=BB357_15 Depth=1
	v_ffbh_u32_e32 v1, v13
	v_min_u32_e32 v1, 32, v1
	v_subrev_nc_u32_e32 v2, 28, v1
	v_sub_nc_u32_e32 v1, 29, v1
	v_lshlrev_b64 v[7:8], v2, v[13:14]
	v_and_b32_e32 v31, 7, v7
; %bb.1311:                             ;   in Loop: Header=BB357_15 Depth=1
	s_or_b32 exec_lo, exec_lo, s23
	v_lshlrev_b32_e32 v2, 16, v29
	v_lshlrev_b32_e32 v4, 20, v31
	v_lshl_add_u32 v1, v1, 23, 0x3c000000
	v_and_b32_e32 v2, 0x80000000, v2
	v_or3_b32 v45, v4, v2, v1
.LBB357_1312:                           ;   in Loop: Header=BB357_15 Depth=1
	s_or_b32 exec_lo, exec_lo, s22
.LBB357_1313:                           ;   in Loop: Header=BB357_15 Depth=1
	s_or_b32 exec_lo, exec_lo, s21
.LBB357_1314:                           ;   in Loop: Header=BB357_15 Depth=1
	s_or_b32 exec_lo, exec_lo, s20
	v_and_b32_sdwa v1, v29, v93 dst_sel:DWORD dst_unused:UNUSED_PAD src0_sel:WORD_1 src1_sel:DWORD
	v_mov_b32_e32 v86, 0
	v_mov_b32_e32 v51, 0
	s_mov_b32 s20, exec_lo
	v_cmpx_ne_u16_e32 0, v1
	s_cbranch_execz .LBB357_1322
; %bb.1315:                             ;   in Loop: Header=BB357_15 Depth=1
	v_bfrev_b32_e32 v51, 1
	s_mov_b32 s21, exec_lo
	v_cmpx_ne_u16_e32 0x80, v1
	s_cbranch_execz .LBB357_1321
; %bb.1316:                             ;   in Loop: Header=BB357_15 Depth=1
	v_bfe_u32 v2, v29, 16, 7
	v_mov_b32_e32 v51, 0x7f800001
	s_mov_b32 s22, exec_lo
	v_cmpx_ne_u32_e32 0x7f, v2
	s_cbranch_execz .LBB357_1320
; %bb.1317:                             ;   in Loop: Header=BB357_15 Depth=1
	v_mov_b32_e32 v1, 7
	s_mov_b32 s23, exec_lo
	v_and_b32_sdwa v13, v29, v1 dst_sel:DWORD dst_unused:UNUSED_PAD src0_sel:WORD_1 src1_sel:DWORD
	v_mov_b32_e32 v32, v14
	v_lshrrev_b32_e32 v1, 3, v2
	v_mov_b32_e32 v31, v13
	v_cmpx_gt_u32_e32 8, v2
; %bb.1318:                             ;   in Loop: Header=BB357_15 Depth=1
	v_ffbh_u32_e32 v1, v13
	v_min_u32_e32 v1, 32, v1
	v_subrev_nc_u32_e32 v2, 28, v1
	v_sub_nc_u32_e32 v1, 29, v1
	v_lshlrev_b64 v[7:8], v2, v[13:14]
	v_and_b32_e32 v31, 7, v7
; %bb.1319:                             ;   in Loop: Header=BB357_15 Depth=1
	s_or_b32 exec_lo, exec_lo, s23
	v_mov_b32_e32 v2, 24
	v_lshlrev_b32_e32 v4, 20, v31
	v_lshl_add_u32 v1, v1, 23, 0x3c000000
	v_lshlrev_b32_sdwa v2, v2, v29 dst_sel:DWORD dst_unused:UNUSED_PAD src0_sel:DWORD src1_sel:WORD_1
	v_and_b32_e32 v2, 0x80000000, v2
	v_or3_b32 v51, v4, v2, v1
.LBB357_1320:                           ;   in Loop: Header=BB357_15 Depth=1
	s_or_b32 exec_lo, exec_lo, s22
.LBB357_1321:                           ;   in Loop: Header=BB357_15 Depth=1
	s_or_b32 exec_lo, exec_lo, s21
.LBB357_1322:                           ;   in Loop: Header=BB357_15 Depth=1
	s_or_b32 exec_lo, exec_lo, s20
	s_mov_b32 s20, exec_lo
	v_cmpx_lt_u32_e32 0xffffff, v29
	s_cbranch_execz .LBB357_1330
; %bb.1323:                             ;   in Loop: Header=BB357_15 Depth=1
	v_cmp_ne_u32_sdwa s5, v29, v43 src0_sel:BYTE_3 src1_sel:DWORD
	v_bfrev_b32_e32 v86, 1
	s_and_saveexec_b32 s21, s5
	s_cbranch_execz .LBB357_1329
; %bb.1324:                             ;   in Loop: Header=BB357_15 Depth=1
	v_bfe_u32 v2, v29, 24, 7
	v_mov_b32_e32 v86, 0x7f800001
	s_mov_b32 s22, exec_lo
	v_cmpx_ne_u32_e32 0x7f, v2
	s_cbranch_execz .LBB357_1328
; %bb.1325:                             ;   in Loop: Header=BB357_15 Depth=1
	v_mov_b32_e32 v1, 7
	s_mov_b32 s23, exec_lo
	v_and_b32_sdwa v13, v29, v1 dst_sel:DWORD dst_unused:UNUSED_PAD src0_sel:BYTE_3 src1_sel:DWORD
	v_mov_b32_e32 v32, v14
	v_lshrrev_b32_e32 v1, 3, v2
	v_mov_b32_e32 v31, v13
	v_cmpx_gt_u32_e32 8, v2
; %bb.1326:                             ;   in Loop: Header=BB357_15 Depth=1
	v_ffbh_u32_e32 v1, v13
	v_min_u32_e32 v1, 32, v1
	v_subrev_nc_u32_e32 v2, 28, v1
	v_sub_nc_u32_e32 v1, 29, v1
	v_lshlrev_b64 v[7:8], v2, v[13:14]
	v_and_b32_e32 v31, 7, v7
; %bb.1327:                             ;   in Loop: Header=BB357_15 Depth=1
	s_or_b32 exec_lo, exec_lo, s23
	v_mov_b32_e32 v2, 24
	v_lshlrev_b32_e32 v4, 20, v31
	v_lshl_add_u32 v1, v1, 23, 0x3c000000
	v_lshlrev_b32_sdwa v2, v2, v29 dst_sel:DWORD dst_unused:UNUSED_PAD src0_sel:DWORD src1_sel:BYTE_3
	v_and_b32_e32 v2, 0x80000000, v2
	v_or3_b32 v86, v4, v2, v1
.LBB357_1328:                           ;   in Loop: Header=BB357_15 Depth=1
	s_or_b32 exec_lo, exec_lo, s22
.LBB357_1329:                           ;   in Loop: Header=BB357_15 Depth=1
	s_or_b32 exec_lo, exec_lo, s21
.LBB357_1330:                           ;   in Loop: Header=BB357_15 Depth=1
	s_or_b32 exec_lo, exec_lo, s20
	v_mov_b32_e32 v13, v30
	v_cmp_ne_u16_sdwa s5, v30, v14 src0_sel:BYTE_0 src1_sel:DWORD
	v_mov_b32_e32 v71, 0
	v_mov_b32_e32 v120, 0
	s_and_saveexec_b32 s20, s5
	s_cbranch_execz .LBB357_1338
; %bb.1331:                             ;   in Loop: Header=BB357_15 Depth=1
	v_cmp_ne_u16_sdwa s5, v30, v43 src0_sel:BYTE_0 src1_sel:DWORD
	v_bfrev_b32_e32 v120, 1
	s_and_saveexec_b32 s21, s5
	s_cbranch_execz .LBB357_1337
; %bb.1332:                             ;   in Loop: Header=BB357_15 Depth=1
	v_and_b32_e32 v2, 0x7f, v30
	v_mov_b32_e32 v120, 0x7f800001
	s_mov_b32 s22, exec_lo
	v_cmpx_ne_u32_e32 0x7f, v2
	s_cbranch_execz .LBB357_1336
; %bb.1333:                             ;   in Loop: Header=BB357_15 Depth=1
	v_mov_b32_e32 v32, v14
	v_mov_b32_e32 v31, v13
	v_lshrrev_b32_e32 v1, 3, v2
	s_mov_b32 s23, exec_lo
	v_cmpx_gt_u32_e32 8, v2
; %bb.1334:                             ;   in Loop: Header=BB357_15 Depth=1
	v_and_b32_e32 v1, 7, v30
	v_ffbh_u32_e32 v1, v1
	v_min_u32_e32 v1, 32, v1
	v_subrev_nc_u32_e32 v2, 28, v1
	v_sub_nc_u32_e32 v1, 29, v1
	v_lshlrev_b64 v[31:32], v2, v[13:14]
; %bb.1335:                             ;   in Loop: Header=BB357_15 Depth=1
	s_or_b32 exec_lo, exec_lo, s23
	v_lshlrev_b32_e32 v2, 20, v31
	v_lshlrev_b32_e32 v4, 24, v13
	v_lshl_add_u32 v1, v1, 23, 0x3c000000
	v_and_b32_e32 v2, 0x700000, v2
	v_and_b32_e32 v4, 0x80000000, v4
	v_or3_b32 v120, v2, v4, v1
.LBB357_1336:                           ;   in Loop: Header=BB357_15 Depth=1
	s_or_b32 exec_lo, exec_lo, s22
.LBB357_1337:                           ;   in Loop: Header=BB357_15 Depth=1
	s_or_b32 exec_lo, exec_lo, s21
.LBB357_1338:                           ;   in Loop: Header=BB357_15 Depth=1
	s_or_b32 exec_lo, exec_lo, s20
	v_cmp_ne_u16_sdwa s5, v13, v14 src0_sel:BYTE_1 src1_sel:DWORD
	s_and_saveexec_b32 s20, s5
	s_cbranch_execz .LBB357_1346
; %bb.1339:                             ;   in Loop: Header=BB357_15 Depth=1
	v_cmp_ne_u16_sdwa s5, v13, v43 src0_sel:BYTE_1 src1_sel:DWORD
	v_bfrev_b32_e32 v71, 1
	s_and_saveexec_b32 s21, s5
	s_cbranch_execz .LBB357_1345
; %bb.1340:                             ;   in Loop: Header=BB357_15 Depth=1
	v_mov_b32_e32 v1, 0xffff
	v_mov_b32_e32 v71, 0x7f800001
	s_mov_b32 s22, exec_lo
	v_and_b32_sdwa v1, v1, v13 dst_sel:DWORD dst_unused:UNUSED_PAD src0_sel:DWORD src1_sel:BYTE_1
	v_and_b32_e32 v2, 0x7f, v1
	v_cmpx_ne_u32_e32 0x7f, v2
	s_cbranch_execz .LBB357_1344
; %bb.1341:                             ;   in Loop: Header=BB357_15 Depth=1
	v_and_b32_e32 v31, 7, v1
	v_mov_b32_e32 v32, v14
	v_lshrrev_b32_e32 v1, 3, v2
	s_mov_b32 s23, exec_lo
	v_cmpx_gt_u32_e32 8, v2
; %bb.1342:                             ;   in Loop: Header=BB357_15 Depth=1
	v_ffbh_u32_e32 v1, v31
	v_min_u32_e32 v1, 32, v1
	v_subrev_nc_u32_e32 v2, 28, v1
	v_sub_nc_u32_e32 v1, 29, v1
	v_lshlrev_b64 v[7:8], v2, v[31:32]
	v_and_b32_e32 v31, 7, v7
; %bb.1343:                             ;   in Loop: Header=BB357_15 Depth=1
	s_or_b32 exec_lo, exec_lo, s23
	v_lshlrev_b32_e32 v2, 16, v13
	v_lshlrev_b32_e32 v4, 20, v31
	v_lshl_add_u32 v1, v1, 23, 0x3c000000
	v_and_b32_e32 v2, 0x80000000, v2
	v_or3_b32 v71, v4, v2, v1
.LBB357_1344:                           ;   in Loop: Header=BB357_15 Depth=1
	s_or_b32 exec_lo, exec_lo, s22
.LBB357_1345:                           ;   in Loop: Header=BB357_15 Depth=1
	s_or_b32 exec_lo, exec_lo, s21
.LBB357_1346:                           ;   in Loop: Header=BB357_15 Depth=1
	s_or_b32 exec_lo, exec_lo, s20
	v_and_b32_sdwa v1, v30, v93 dst_sel:DWORD dst_unused:UNUSED_PAD src0_sel:WORD_1 src1_sel:DWORD
	v_mov_b32_e32 v38, 0
	v_mov_b32_e32 v2, 0
	s_mov_b32 s20, exec_lo
	v_cmpx_ne_u16_e32 0, v1
	s_cbranch_execz .LBB357_1354
; %bb.1347:                             ;   in Loop: Header=BB357_15 Depth=1
	v_bfrev_b32_e32 v2, 1
	s_mov_b32 s21, exec_lo
	v_cmpx_ne_u16_e32 0x80, v1
	s_cbranch_execz .LBB357_1353
; %bb.1348:                             ;   in Loop: Header=BB357_15 Depth=1
	v_bfe_u32 v4, v30, 16, 7
	v_mov_b32_e32 v2, 0x7f800001
	s_mov_b32 s22, exec_lo
	v_cmpx_ne_u32_e32 0x7f, v4
	s_cbranch_execz .LBB357_1352
; %bb.1349:                             ;   in Loop: Header=BB357_15 Depth=1
	v_mov_b32_e32 v1, 7
	s_mov_b32 s23, exec_lo
	v_and_b32_sdwa v13, v30, v1 dst_sel:DWORD dst_unused:UNUSED_PAD src0_sel:WORD_1 src1_sel:DWORD
	v_mov_b32_e32 v32, v14
	v_lshrrev_b32_e32 v1, 3, v4
	v_mov_b32_e32 v31, v13
	v_cmpx_gt_u32_e32 8, v4
; %bb.1350:                             ;   in Loop: Header=BB357_15 Depth=1
	v_ffbh_u32_e32 v1, v13
	v_min_u32_e32 v1, 32, v1
	v_subrev_nc_u32_e32 v2, 28, v1
	v_sub_nc_u32_e32 v1, 29, v1
	v_lshlrev_b64 v[7:8], v2, v[13:14]
	v_and_b32_e32 v31, 7, v7
; %bb.1351:                             ;   in Loop: Header=BB357_15 Depth=1
	s_or_b32 exec_lo, exec_lo, s23
	v_mov_b32_e32 v2, 24
	v_lshlrev_b32_e32 v4, 20, v31
	v_lshl_add_u32 v1, v1, 23, 0x3c000000
	v_lshlrev_b32_sdwa v2, v2, v30 dst_sel:DWORD dst_unused:UNUSED_PAD src0_sel:DWORD src1_sel:WORD_1
	v_and_b32_e32 v2, 0x80000000, v2
	v_or3_b32 v2, v4, v2, v1
.LBB357_1352:                           ;   in Loop: Header=BB357_15 Depth=1
	s_or_b32 exec_lo, exec_lo, s22
.LBB357_1353:                           ;   in Loop: Header=BB357_15 Depth=1
	s_or_b32 exec_lo, exec_lo, s21
.LBB357_1354:                           ;   in Loop: Header=BB357_15 Depth=1
	s_or_b32 exec_lo, exec_lo, s20
	s_mov_b32 s20, exec_lo
	v_cmpx_lt_u64_e64 s[12:13], v[29:30]
	s_cbranch_execz .LBB357_1362
; %bb.1355:                             ;   in Loop: Header=BB357_15 Depth=1
	v_cmp_ne_u32_sdwa s5, v30, v43 src0_sel:BYTE_3 src1_sel:DWORD
	v_bfrev_b32_e32 v38, 1
	s_and_saveexec_b32 s21, s5
	s_cbranch_execz .LBB357_1361
; %bb.1356:                             ;   in Loop: Header=BB357_15 Depth=1
	v_bfe_u32 v4, v30, 24, 7
	v_mov_b32_e32 v38, 0x7f800001
	s_mov_b32 s22, exec_lo
	v_cmpx_ne_u32_e32 0x7f, v4
	s_cbranch_execz .LBB357_1360
; %bb.1357:                             ;   in Loop: Header=BB357_15 Depth=1
	v_mov_b32_e32 v1, 7
	s_mov_b32 s23, exec_lo
	v_and_b32_sdwa v13, v30, v1 dst_sel:DWORD dst_unused:UNUSED_PAD src0_sel:BYTE_3 src1_sel:DWORD
	v_mov_b32_e32 v32, v14
	v_lshrrev_b32_e32 v1, 3, v4
	v_mov_b32_e32 v31, v13
	v_cmpx_gt_u32_e32 8, v4
; %bb.1358:                             ;   in Loop: Header=BB357_15 Depth=1
	v_ffbh_u32_e32 v1, v13
	v_min_u32_e32 v1, 32, v1
	v_subrev_nc_u32_e32 v4, 28, v1
	v_sub_nc_u32_e32 v1, 29, v1
	v_lshlrev_b64 v[7:8], v4, v[13:14]
	v_and_b32_e32 v31, 7, v7
; %bb.1359:                             ;   in Loop: Header=BB357_15 Depth=1
	s_or_b32 exec_lo, exec_lo, s23
	v_mov_b32_e32 v4, 24
	v_lshlrev_b32_e32 v7, 20, v31
	v_lshl_add_u32 v1, v1, 23, 0x3c000000
	v_lshlrev_b32_sdwa v4, v4, v30 dst_sel:DWORD dst_unused:UNUSED_PAD src0_sel:DWORD src1_sel:BYTE_3
	v_and_b32_e32 v4, 0x80000000, v4
	v_or3_b32 v38, v7, v4, v1
.LBB357_1360:                           ;   in Loop: Header=BB357_15 Depth=1
	s_or_b32 exec_lo, exec_lo, s22
.LBB357_1361:                           ;   in Loop: Header=BB357_15 Depth=1
	s_or_b32 exec_lo, exec_lo, s21
.LBB357_1362:                           ;   in Loop: Header=BB357_15 Depth=1
	s_or_b32 exec_lo, exec_lo, s20
	flat_load_dwordx2 v[29:30], v[27:28] offset:1032
	v_mov_b32_e32 v123, 0
	v_mov_b32_e32 v53, 0
	s_waitcnt vmcnt(0) lgkmcnt(0)
	v_cmp_ne_u16_sdwa s5, v29, v14 src0_sel:BYTE_0 src1_sel:DWORD
	s_and_saveexec_b32 s20, s5
	s_cbranch_execz .LBB357_1370
; %bb.1363:                             ;   in Loop: Header=BB357_15 Depth=1
	v_cmp_ne_u16_sdwa s5, v29, v43 src0_sel:BYTE_0 src1_sel:DWORD
	v_bfrev_b32_e32 v53, 1
	s_and_saveexec_b32 s21, s5
	s_cbranch_execz .LBB357_1369
; %bb.1364:                             ;   in Loop: Header=BB357_15 Depth=1
	v_and_b32_e32 v4, 0x7f, v29
	v_mov_b32_e32 v53, 0x7f800001
	s_mov_b32 s22, exec_lo
	v_cmpx_ne_u32_e32 0x7f, v4
	s_cbranch_execz .LBB357_1368
; %bb.1365:                             ;   in Loop: Header=BB357_15 Depth=1
	v_mov_b32_e32 v32, v30
	v_lshrrev_b32_e32 v1, 3, v4
	v_mov_b32_e32 v31, v29
	s_mov_b32 s23, exec_lo
	v_cmpx_gt_u32_e32 8, v4
; %bb.1366:                             ;   in Loop: Header=BB357_15 Depth=1
	v_and_b32_e32 v1, 7, v29
	v_ffbh_u32_e32 v1, v1
	v_min_u32_e32 v1, 32, v1
	v_subrev_nc_u32_e32 v4, 28, v1
	v_sub_nc_u32_e32 v1, 29, v1
	v_lshlrev_b64 v[31:32], v4, v[29:30]
; %bb.1367:                             ;   in Loop: Header=BB357_15 Depth=1
	s_or_b32 exec_lo, exec_lo, s23
	v_lshlrev_b32_e32 v4, 20, v31
	v_lshlrev_b32_e32 v7, 24, v29
	v_lshl_add_u32 v1, v1, 23, 0x3c000000
	v_and_b32_e32 v4, 0x700000, v4
	v_and_b32_e32 v7, 0x80000000, v7
	v_or3_b32 v53, v4, v7, v1
.LBB357_1368:                           ;   in Loop: Header=BB357_15 Depth=1
	s_or_b32 exec_lo, exec_lo, s22
.LBB357_1369:                           ;   in Loop: Header=BB357_15 Depth=1
	s_or_b32 exec_lo, exec_lo, s21
.LBB357_1370:                           ;   in Loop: Header=BB357_15 Depth=1
	s_or_b32 exec_lo, exec_lo, s20
	v_cmp_ne_u16_sdwa s5, v29, v14 src0_sel:BYTE_1 src1_sel:DWORD
	s_and_saveexec_b32 s20, s5
	s_cbranch_execz .LBB357_1378
; %bb.1371:                             ;   in Loop: Header=BB357_15 Depth=1
	v_cmp_ne_u16_sdwa s5, v29, v43 src0_sel:BYTE_1 src1_sel:DWORD
	v_bfrev_b32_e32 v123, 1
	s_and_saveexec_b32 s21, s5
	s_cbranch_execz .LBB357_1377
; %bb.1372:                             ;   in Loop: Header=BB357_15 Depth=1
	v_mov_b32_e32 v1, 0xffff
	v_mov_b32_e32 v123, 0x7f800001
	s_mov_b32 s22, exec_lo
	v_and_b32_sdwa v1, v1, v29 dst_sel:DWORD dst_unused:UNUSED_PAD src0_sel:DWORD src1_sel:BYTE_1
	v_and_b32_e32 v4, 0x7f, v1
	v_cmpx_ne_u32_e32 0x7f, v4
	s_cbranch_execz .LBB357_1376
; %bb.1373:                             ;   in Loop: Header=BB357_15 Depth=1
	v_and_b32_e32 v13, 7, v1
	v_mov_b32_e32 v32, v14
	v_lshrrev_b32_e32 v1, 3, v4
	s_mov_b32 s23, exec_lo
	v_mov_b32_e32 v31, v13
	v_cmpx_gt_u32_e32 8, v4
; %bb.1374:                             ;   in Loop: Header=BB357_15 Depth=1
	v_ffbh_u32_e32 v1, v13
	v_min_u32_e32 v1, 32, v1
	v_subrev_nc_u32_e32 v4, 28, v1
	v_sub_nc_u32_e32 v1, 29, v1
	v_lshlrev_b64 v[7:8], v4, v[13:14]
	v_and_b32_e32 v31, 7, v7
; %bb.1375:                             ;   in Loop: Header=BB357_15 Depth=1
	s_or_b32 exec_lo, exec_lo, s23
	v_lshlrev_b32_e32 v4, 16, v29
	v_lshlrev_b32_e32 v7, 20, v31
	v_lshl_add_u32 v1, v1, 23, 0x3c000000
	v_and_b32_e32 v4, 0x80000000, v4
	v_or3_b32 v123, v7, v4, v1
.LBB357_1376:                           ;   in Loop: Header=BB357_15 Depth=1
	s_or_b32 exec_lo, exec_lo, s22
.LBB357_1377:                           ;   in Loop: Header=BB357_15 Depth=1
	s_or_b32 exec_lo, exec_lo, s21
.LBB357_1378:                           ;   in Loop: Header=BB357_15 Depth=1
	s_or_b32 exec_lo, exec_lo, s20
	v_and_b32_sdwa v1, v29, v93 dst_sel:DWORD dst_unused:UNUSED_PAD src0_sel:WORD_1 src1_sel:DWORD
	v_mov_b32_e32 v65, 0
	v_mov_b32_e32 v126, 0
	s_mov_b32 s20, exec_lo
	v_cmpx_ne_u16_e32 0, v1
	s_cbranch_execz .LBB357_1386
; %bb.1379:                             ;   in Loop: Header=BB357_15 Depth=1
	v_bfrev_b32_e32 v126, 1
	s_mov_b32 s21, exec_lo
	v_cmpx_ne_u16_e32 0x80, v1
	s_cbranch_execz .LBB357_1385
; %bb.1380:                             ;   in Loop: Header=BB357_15 Depth=1
	v_bfe_u32 v4, v29, 16, 7
	v_mov_b32_e32 v126, 0x7f800001
	s_mov_b32 s22, exec_lo
	v_cmpx_ne_u32_e32 0x7f, v4
	s_cbranch_execz .LBB357_1384
; %bb.1381:                             ;   in Loop: Header=BB357_15 Depth=1
	v_mov_b32_e32 v1, 7
	s_mov_b32 s23, exec_lo
	v_and_b32_sdwa v13, v29, v1 dst_sel:DWORD dst_unused:UNUSED_PAD src0_sel:WORD_1 src1_sel:DWORD
	v_mov_b32_e32 v32, v14
	v_lshrrev_b32_e32 v1, 3, v4
	v_mov_b32_e32 v31, v13
	v_cmpx_gt_u32_e32 8, v4
; %bb.1382:                             ;   in Loop: Header=BB357_15 Depth=1
	v_ffbh_u32_e32 v1, v13
	v_min_u32_e32 v1, 32, v1
	v_subrev_nc_u32_e32 v4, 28, v1
	v_sub_nc_u32_e32 v1, 29, v1
	v_lshlrev_b64 v[7:8], v4, v[13:14]
	v_and_b32_e32 v31, 7, v7
; %bb.1383:                             ;   in Loop: Header=BB357_15 Depth=1
	s_or_b32 exec_lo, exec_lo, s23
	v_mov_b32_e32 v4, 24
	v_lshlrev_b32_e32 v7, 20, v31
	v_lshl_add_u32 v1, v1, 23, 0x3c000000
	v_lshlrev_b32_sdwa v4, v4, v29 dst_sel:DWORD dst_unused:UNUSED_PAD src0_sel:DWORD src1_sel:WORD_1
	v_and_b32_e32 v4, 0x80000000, v4
	v_or3_b32 v126, v7, v4, v1
.LBB357_1384:                           ;   in Loop: Header=BB357_15 Depth=1
	s_or_b32 exec_lo, exec_lo, s22
.LBB357_1385:                           ;   in Loop: Header=BB357_15 Depth=1
	s_or_b32 exec_lo, exec_lo, s21
.LBB357_1386:                           ;   in Loop: Header=BB357_15 Depth=1
	s_or_b32 exec_lo, exec_lo, s20
	s_mov_b32 s20, exec_lo
	v_cmpx_lt_u32_e32 0xffffff, v29
	s_cbranch_execz .LBB357_1394
; %bb.1387:                             ;   in Loop: Header=BB357_15 Depth=1
	v_cmp_ne_u32_sdwa s5, v29, v43 src0_sel:BYTE_3 src1_sel:DWORD
	v_bfrev_b32_e32 v65, 1
	s_and_saveexec_b32 s21, s5
	s_cbranch_execz .LBB357_1393
; %bb.1388:                             ;   in Loop: Header=BB357_15 Depth=1
	v_bfe_u32 v4, v29, 24, 7
	v_mov_b32_e32 v65, 0x7f800001
	s_mov_b32 s22, exec_lo
	v_cmpx_ne_u32_e32 0x7f, v4
	s_cbranch_execz .LBB357_1392
; %bb.1389:                             ;   in Loop: Header=BB357_15 Depth=1
	v_mov_b32_e32 v1, 7
	s_mov_b32 s23, exec_lo
	v_and_b32_sdwa v13, v29, v1 dst_sel:DWORD dst_unused:UNUSED_PAD src0_sel:BYTE_3 src1_sel:DWORD
	v_mov_b32_e32 v32, v14
	v_lshrrev_b32_e32 v1, 3, v4
	v_mov_b32_e32 v31, v13
	v_cmpx_gt_u32_e32 8, v4
; %bb.1390:                             ;   in Loop: Header=BB357_15 Depth=1
	v_ffbh_u32_e32 v1, v13
	v_min_u32_e32 v1, 32, v1
	v_subrev_nc_u32_e32 v4, 28, v1
	v_sub_nc_u32_e32 v1, 29, v1
	v_lshlrev_b64 v[7:8], v4, v[13:14]
	v_and_b32_e32 v31, 7, v7
; %bb.1391:                             ;   in Loop: Header=BB357_15 Depth=1
	s_or_b32 exec_lo, exec_lo, s23
	v_mov_b32_e32 v4, 24
	v_lshlrev_b32_e32 v7, 20, v31
	v_lshl_add_u32 v1, v1, 23, 0x3c000000
	v_lshlrev_b32_sdwa v4, v4, v29 dst_sel:DWORD dst_unused:UNUSED_PAD src0_sel:DWORD src1_sel:BYTE_3
	v_and_b32_e32 v4, 0x80000000, v4
	v_or3_b32 v65, v7, v4, v1
.LBB357_1392:                           ;   in Loop: Header=BB357_15 Depth=1
	s_or_b32 exec_lo, exec_lo, s22
.LBB357_1393:                           ;   in Loop: Header=BB357_15 Depth=1
	s_or_b32 exec_lo, exec_lo, s21
.LBB357_1394:                           ;   in Loop: Header=BB357_15 Depth=1
	s_or_b32 exec_lo, exec_lo, s20
	v_mov_b32_e32 v13, v30
	v_cmp_ne_u16_sdwa s5, v30, v14 src0_sel:BYTE_0 src1_sel:DWORD
	v_mov_b32_e32 v82, 0
	v_mov_b32_e32 v75, 0
	s_and_saveexec_b32 s20, s5
	s_cbranch_execz .LBB357_1402
; %bb.1395:                             ;   in Loop: Header=BB357_15 Depth=1
	v_cmp_ne_u16_sdwa s5, v30, v43 src0_sel:BYTE_0 src1_sel:DWORD
	v_bfrev_b32_e32 v75, 1
	s_and_saveexec_b32 s21, s5
	s_cbranch_execz .LBB357_1401
; %bb.1396:                             ;   in Loop: Header=BB357_15 Depth=1
	v_and_b32_e32 v4, 0x7f, v30
	v_mov_b32_e32 v75, 0x7f800001
	s_mov_b32 s22, exec_lo
	v_cmpx_ne_u32_e32 0x7f, v4
	s_cbranch_execz .LBB357_1400
; %bb.1397:                             ;   in Loop: Header=BB357_15 Depth=1
	v_mov_b32_e32 v32, v14
	v_mov_b32_e32 v31, v13
	v_lshrrev_b32_e32 v1, 3, v4
	s_mov_b32 s23, exec_lo
	v_cmpx_gt_u32_e32 8, v4
; %bb.1398:                             ;   in Loop: Header=BB357_15 Depth=1
	v_and_b32_e32 v1, 7, v30
	v_ffbh_u32_e32 v1, v1
	v_min_u32_e32 v1, 32, v1
	v_subrev_nc_u32_e32 v4, 28, v1
	v_sub_nc_u32_e32 v1, 29, v1
	v_lshlrev_b64 v[31:32], v4, v[13:14]
; %bb.1399:                             ;   in Loop: Header=BB357_15 Depth=1
	s_or_b32 exec_lo, exec_lo, s23
	v_lshlrev_b32_e32 v4, 20, v31
	v_lshlrev_b32_e32 v7, 24, v13
	v_lshl_add_u32 v1, v1, 23, 0x3c000000
	v_and_b32_e32 v4, 0x700000, v4
	v_and_b32_e32 v7, 0x80000000, v7
	v_or3_b32 v75, v4, v7, v1
.LBB357_1400:                           ;   in Loop: Header=BB357_15 Depth=1
	s_or_b32 exec_lo, exec_lo, s22
.LBB357_1401:                           ;   in Loop: Header=BB357_15 Depth=1
	s_or_b32 exec_lo, exec_lo, s21
.LBB357_1402:                           ;   in Loop: Header=BB357_15 Depth=1
	s_or_b32 exec_lo, exec_lo, s20
	v_cmp_ne_u16_sdwa s5, v13, v14 src0_sel:BYTE_1 src1_sel:DWORD
	s_and_saveexec_b32 s20, s5
	s_cbranch_execz .LBB357_1410
; %bb.1403:                             ;   in Loop: Header=BB357_15 Depth=1
	v_cmp_ne_u16_sdwa s5, v13, v43 src0_sel:BYTE_1 src1_sel:DWORD
	v_bfrev_b32_e32 v82, 1
	s_and_saveexec_b32 s21, s5
	s_cbranch_execz .LBB357_1409
; %bb.1404:                             ;   in Loop: Header=BB357_15 Depth=1
	v_mov_b32_e32 v1, 0xffff
	v_mov_b32_e32 v82, 0x7f800001
	s_mov_b32 s22, exec_lo
	v_and_b32_sdwa v1, v1, v13 dst_sel:DWORD dst_unused:UNUSED_PAD src0_sel:DWORD src1_sel:BYTE_1
	v_and_b32_e32 v4, 0x7f, v1
	v_cmpx_ne_u32_e32 0x7f, v4
	s_cbranch_execz .LBB357_1408
; %bb.1405:                             ;   in Loop: Header=BB357_15 Depth=1
	v_and_b32_e32 v31, 7, v1
	v_mov_b32_e32 v32, v14
	v_lshrrev_b32_e32 v1, 3, v4
	s_mov_b32 s23, exec_lo
	v_cmpx_gt_u32_e32 8, v4
; %bb.1406:                             ;   in Loop: Header=BB357_15 Depth=1
	v_ffbh_u32_e32 v1, v31
	v_min_u32_e32 v1, 32, v1
	v_subrev_nc_u32_e32 v4, 28, v1
	v_sub_nc_u32_e32 v1, 29, v1
	v_lshlrev_b64 v[7:8], v4, v[31:32]
	v_and_b32_e32 v31, 7, v7
; %bb.1407:                             ;   in Loop: Header=BB357_15 Depth=1
	s_or_b32 exec_lo, exec_lo, s23
	v_lshlrev_b32_e32 v4, 16, v13
	v_lshlrev_b32_e32 v7, 20, v31
	v_lshl_add_u32 v1, v1, 23, 0x3c000000
	v_and_b32_e32 v4, 0x80000000, v4
	v_or3_b32 v82, v7, v4, v1
.LBB357_1408:                           ;   in Loop: Header=BB357_15 Depth=1
	s_or_b32 exec_lo, exec_lo, s22
.LBB357_1409:                           ;   in Loop: Header=BB357_15 Depth=1
	s_or_b32 exec_lo, exec_lo, s21
.LBB357_1410:                           ;   in Loop: Header=BB357_15 Depth=1
	s_or_b32 exec_lo, exec_lo, s20
	v_and_b32_sdwa v1, v30, v93 dst_sel:DWORD dst_unused:UNUSED_PAD src0_sel:WORD_1 src1_sel:DWORD
	v_mov_b32_e32 v64, 0
	v_mov_b32_e32 v52, 0
	s_mov_b32 s20, exec_lo
	v_cmpx_ne_u16_e32 0, v1
	s_cbranch_execz .LBB357_1418
; %bb.1411:                             ;   in Loop: Header=BB357_15 Depth=1
	v_bfrev_b32_e32 v52, 1
	s_mov_b32 s21, exec_lo
	v_cmpx_ne_u16_e32 0x80, v1
	s_cbranch_execz .LBB357_1417
; %bb.1412:                             ;   in Loop: Header=BB357_15 Depth=1
	v_bfe_u32 v4, v30, 16, 7
	v_mov_b32_e32 v52, 0x7f800001
	s_mov_b32 s22, exec_lo
	v_cmpx_ne_u32_e32 0x7f, v4
	s_cbranch_execz .LBB357_1416
; %bb.1413:                             ;   in Loop: Header=BB357_15 Depth=1
	v_mov_b32_e32 v1, 7
	s_mov_b32 s23, exec_lo
	v_and_b32_sdwa v13, v30, v1 dst_sel:DWORD dst_unused:UNUSED_PAD src0_sel:WORD_1 src1_sel:DWORD
	v_mov_b32_e32 v32, v14
	v_lshrrev_b32_e32 v1, 3, v4
	v_mov_b32_e32 v31, v13
	v_cmpx_gt_u32_e32 8, v4
; %bb.1414:                             ;   in Loop: Header=BB357_15 Depth=1
	v_ffbh_u32_e32 v1, v13
	v_min_u32_e32 v1, 32, v1
	v_subrev_nc_u32_e32 v4, 28, v1
	v_sub_nc_u32_e32 v1, 29, v1
	v_lshlrev_b64 v[7:8], v4, v[13:14]
	v_and_b32_e32 v31, 7, v7
; %bb.1415:                             ;   in Loop: Header=BB357_15 Depth=1
	s_or_b32 exec_lo, exec_lo, s23
	v_mov_b32_e32 v4, 24
	v_lshlrev_b32_e32 v7, 20, v31
	v_lshl_add_u32 v1, v1, 23, 0x3c000000
	v_lshlrev_b32_sdwa v4, v4, v30 dst_sel:DWORD dst_unused:UNUSED_PAD src0_sel:DWORD src1_sel:WORD_1
	v_and_b32_e32 v4, 0x80000000, v4
	v_or3_b32 v52, v7, v4, v1
.LBB357_1416:                           ;   in Loop: Header=BB357_15 Depth=1
	s_or_b32 exec_lo, exec_lo, s22
.LBB357_1417:                           ;   in Loop: Header=BB357_15 Depth=1
	s_or_b32 exec_lo, exec_lo, s21
.LBB357_1418:                           ;   in Loop: Header=BB357_15 Depth=1
	s_or_b32 exec_lo, exec_lo, s20
	s_mov_b32 s20, exec_lo
	v_cmpx_lt_u64_e64 s[12:13], v[29:30]
	s_cbranch_execz .LBB357_1426
; %bb.1419:                             ;   in Loop: Header=BB357_15 Depth=1
	v_cmp_ne_u32_sdwa s5, v30, v43 src0_sel:BYTE_3 src1_sel:DWORD
	v_bfrev_b32_e32 v64, 1
	s_and_saveexec_b32 s21, s5
	s_cbranch_execz .LBB357_1425
; %bb.1420:                             ;   in Loop: Header=BB357_15 Depth=1
	v_bfe_u32 v4, v30, 24, 7
	v_mov_b32_e32 v64, 0x7f800001
	s_mov_b32 s22, exec_lo
	v_cmpx_ne_u32_e32 0x7f, v4
	s_cbranch_execz .LBB357_1424
; %bb.1421:                             ;   in Loop: Header=BB357_15 Depth=1
	v_mov_b32_e32 v1, 7
	s_mov_b32 s23, exec_lo
	v_and_b32_sdwa v13, v30, v1 dst_sel:DWORD dst_unused:UNUSED_PAD src0_sel:BYTE_3 src1_sel:DWORD
	v_mov_b32_e32 v32, v14
	v_lshrrev_b32_e32 v1, 3, v4
	v_mov_b32_e32 v31, v13
	v_cmpx_gt_u32_e32 8, v4
; %bb.1422:                             ;   in Loop: Header=BB357_15 Depth=1
	v_ffbh_u32_e32 v1, v13
	v_min_u32_e32 v1, 32, v1
	v_subrev_nc_u32_e32 v4, 28, v1
	v_sub_nc_u32_e32 v1, 29, v1
	v_lshlrev_b64 v[7:8], v4, v[13:14]
	v_and_b32_e32 v31, 7, v7
; %bb.1423:                             ;   in Loop: Header=BB357_15 Depth=1
	s_or_b32 exec_lo, exec_lo, s23
	v_mov_b32_e32 v4, 24
	v_lshlrev_b32_e32 v7, 20, v31
	v_lshl_add_u32 v1, v1, 23, 0x3c000000
	v_lshlrev_b32_sdwa v4, v4, v30 dst_sel:DWORD dst_unused:UNUSED_PAD src0_sel:DWORD src1_sel:BYTE_3
	v_and_b32_e32 v4, 0x80000000, v4
	v_or3_b32 v64, v7, v4, v1
.LBB357_1424:                           ;   in Loop: Header=BB357_15 Depth=1
	s_or_b32 exec_lo, exec_lo, s22
.LBB357_1425:                           ;   in Loop: Header=BB357_15 Depth=1
	s_or_b32 exec_lo, exec_lo, s21
.LBB357_1426:                           ;   in Loop: Header=BB357_15 Depth=1
	s_or_b32 exec_lo, exec_lo, s20
	flat_load_dwordx2 v[29:30], v[27:28] offset:1536
	v_mov_b32_e32 v96, 0
	v_mov_b32_e32 v69, 0
	s_waitcnt vmcnt(0) lgkmcnt(0)
	v_cmp_ne_u16_sdwa s5, v29, v14 src0_sel:BYTE_0 src1_sel:DWORD
	s_and_saveexec_b32 s20, s5
	s_cbranch_execz .LBB357_1434
; %bb.1427:                             ;   in Loop: Header=BB357_15 Depth=1
	v_cmp_ne_u16_sdwa s5, v29, v43 src0_sel:BYTE_0 src1_sel:DWORD
	v_bfrev_b32_e32 v69, 1
	s_and_saveexec_b32 s21, s5
	s_cbranch_execz .LBB357_1433
; %bb.1428:                             ;   in Loop: Header=BB357_15 Depth=1
	v_and_b32_e32 v4, 0x7f, v29
	v_mov_b32_e32 v69, 0x7f800001
	s_mov_b32 s22, exec_lo
	v_cmpx_ne_u32_e32 0x7f, v4
	s_cbranch_execz .LBB357_1432
; %bb.1429:                             ;   in Loop: Header=BB357_15 Depth=1
	v_mov_b32_e32 v32, v30
	v_lshrrev_b32_e32 v1, 3, v4
	v_mov_b32_e32 v31, v29
	s_mov_b32 s23, exec_lo
	v_cmpx_gt_u32_e32 8, v4
; %bb.1430:                             ;   in Loop: Header=BB357_15 Depth=1
	v_and_b32_e32 v1, 7, v29
	v_ffbh_u32_e32 v1, v1
	v_min_u32_e32 v1, 32, v1
	v_subrev_nc_u32_e32 v4, 28, v1
	v_sub_nc_u32_e32 v1, 29, v1
	v_lshlrev_b64 v[31:32], v4, v[29:30]
; %bb.1431:                             ;   in Loop: Header=BB357_15 Depth=1
	s_or_b32 exec_lo, exec_lo, s23
	v_lshlrev_b32_e32 v4, 20, v31
	v_lshlrev_b32_e32 v7, 24, v29
	v_lshl_add_u32 v1, v1, 23, 0x3c000000
	v_and_b32_e32 v4, 0x700000, v4
	v_and_b32_e32 v7, 0x80000000, v7
	v_or3_b32 v69, v4, v7, v1
.LBB357_1432:                           ;   in Loop: Header=BB357_15 Depth=1
	s_or_b32 exec_lo, exec_lo, s22
.LBB357_1433:                           ;   in Loop: Header=BB357_15 Depth=1
	s_or_b32 exec_lo, exec_lo, s21
.LBB357_1434:                           ;   in Loop: Header=BB357_15 Depth=1
	s_or_b32 exec_lo, exec_lo, s20
	v_cmp_ne_u16_sdwa s5, v29, v14 src0_sel:BYTE_1 src1_sel:DWORD
	s_and_saveexec_b32 s20, s5
	s_cbranch_execz .LBB357_1442
; %bb.1435:                             ;   in Loop: Header=BB357_15 Depth=1
	v_cmp_ne_u16_sdwa s5, v29, v43 src0_sel:BYTE_1 src1_sel:DWORD
	v_bfrev_b32_e32 v96, 1
	s_and_saveexec_b32 s21, s5
	s_cbranch_execz .LBB357_1441
; %bb.1436:                             ;   in Loop: Header=BB357_15 Depth=1
	v_mov_b32_e32 v1, 0xffff
	v_mov_b32_e32 v96, 0x7f800001
	s_mov_b32 s22, exec_lo
	v_and_b32_sdwa v1, v1, v29 dst_sel:DWORD dst_unused:UNUSED_PAD src0_sel:DWORD src1_sel:BYTE_1
	v_and_b32_e32 v4, 0x7f, v1
	v_cmpx_ne_u32_e32 0x7f, v4
	s_cbranch_execz .LBB357_1440
; %bb.1437:                             ;   in Loop: Header=BB357_15 Depth=1
	v_and_b32_e32 v13, 7, v1
	v_mov_b32_e32 v32, v14
	v_lshrrev_b32_e32 v1, 3, v4
	s_mov_b32 s23, exec_lo
	v_mov_b32_e32 v31, v13
	v_cmpx_gt_u32_e32 8, v4
; %bb.1438:                             ;   in Loop: Header=BB357_15 Depth=1
	v_ffbh_u32_e32 v1, v13
	v_min_u32_e32 v1, 32, v1
	v_subrev_nc_u32_e32 v4, 28, v1
	v_sub_nc_u32_e32 v1, 29, v1
	v_lshlrev_b64 v[7:8], v4, v[13:14]
	v_and_b32_e32 v31, 7, v7
; %bb.1439:                             ;   in Loop: Header=BB357_15 Depth=1
	s_or_b32 exec_lo, exec_lo, s23
	v_lshlrev_b32_e32 v4, 16, v29
	v_lshlrev_b32_e32 v7, 20, v31
	v_lshl_add_u32 v1, v1, 23, 0x3c000000
	v_and_b32_e32 v4, 0x80000000, v4
	v_or3_b32 v96, v7, v4, v1
.LBB357_1440:                           ;   in Loop: Header=BB357_15 Depth=1
	s_or_b32 exec_lo, exec_lo, s22
.LBB357_1441:                           ;   in Loop: Header=BB357_15 Depth=1
	s_or_b32 exec_lo, exec_lo, s21
.LBB357_1442:                           ;   in Loop: Header=BB357_15 Depth=1
	s_or_b32 exec_lo, exec_lo, s20
	v_and_b32_sdwa v1, v29, v93 dst_sel:DWORD dst_unused:UNUSED_PAD src0_sel:WORD_1 src1_sel:DWORD
	v_mov_b32_e32 v113, 0
	v_mov_b32_e32 v114, 0
	s_mov_b32 s20, exec_lo
	v_cmpx_ne_u16_e32 0, v1
	s_cbranch_execz .LBB357_1450
; %bb.1443:                             ;   in Loop: Header=BB357_15 Depth=1
	v_bfrev_b32_e32 v114, 1
	s_mov_b32 s21, exec_lo
	v_cmpx_ne_u16_e32 0x80, v1
	s_cbranch_execz .LBB357_1449
; %bb.1444:                             ;   in Loop: Header=BB357_15 Depth=1
	v_bfe_u32 v4, v29, 16, 7
	v_mov_b32_e32 v114, 0x7f800001
	s_mov_b32 s22, exec_lo
	v_cmpx_ne_u32_e32 0x7f, v4
	s_cbranch_execz .LBB357_1448
; %bb.1445:                             ;   in Loop: Header=BB357_15 Depth=1
	v_mov_b32_e32 v1, 7
	s_mov_b32 s23, exec_lo
	v_and_b32_sdwa v13, v29, v1 dst_sel:DWORD dst_unused:UNUSED_PAD src0_sel:WORD_1 src1_sel:DWORD
	v_mov_b32_e32 v32, v14
	v_lshrrev_b32_e32 v1, 3, v4
	v_mov_b32_e32 v31, v13
	v_cmpx_gt_u32_e32 8, v4
; %bb.1446:                             ;   in Loop: Header=BB357_15 Depth=1
	v_ffbh_u32_e32 v1, v13
	v_min_u32_e32 v1, 32, v1
	v_subrev_nc_u32_e32 v4, 28, v1
	v_sub_nc_u32_e32 v1, 29, v1
	v_lshlrev_b64 v[7:8], v4, v[13:14]
	v_and_b32_e32 v31, 7, v7
; %bb.1447:                             ;   in Loop: Header=BB357_15 Depth=1
	s_or_b32 exec_lo, exec_lo, s23
	v_mov_b32_e32 v4, 24
	v_lshlrev_b32_e32 v7, 20, v31
	v_lshl_add_u32 v1, v1, 23, 0x3c000000
	v_lshlrev_b32_sdwa v4, v4, v29 dst_sel:DWORD dst_unused:UNUSED_PAD src0_sel:DWORD src1_sel:WORD_1
	v_and_b32_e32 v4, 0x80000000, v4
	v_or3_b32 v114, v7, v4, v1
.LBB357_1448:                           ;   in Loop: Header=BB357_15 Depth=1
	s_or_b32 exec_lo, exec_lo, s22
.LBB357_1449:                           ;   in Loop: Header=BB357_15 Depth=1
	s_or_b32 exec_lo, exec_lo, s21
.LBB357_1450:                           ;   in Loop: Header=BB357_15 Depth=1
	s_or_b32 exec_lo, exec_lo, s20
	s_mov_b32 s20, exec_lo
	v_cmpx_lt_u32_e32 0xffffff, v29
	s_cbranch_execz .LBB357_1458
; %bb.1451:                             ;   in Loop: Header=BB357_15 Depth=1
	v_cmp_ne_u32_sdwa s5, v29, v43 src0_sel:BYTE_3 src1_sel:DWORD
	v_bfrev_b32_e32 v113, 1
	s_and_saveexec_b32 s21, s5
	s_cbranch_execz .LBB357_1457
; %bb.1452:                             ;   in Loop: Header=BB357_15 Depth=1
	v_bfe_u32 v4, v29, 24, 7
	v_mov_b32_e32 v113, 0x7f800001
	s_mov_b32 s22, exec_lo
	v_cmpx_ne_u32_e32 0x7f, v4
	s_cbranch_execz .LBB357_1456
; %bb.1453:                             ;   in Loop: Header=BB357_15 Depth=1
	v_mov_b32_e32 v1, 7
	s_mov_b32 s23, exec_lo
	v_and_b32_sdwa v13, v29, v1 dst_sel:DWORD dst_unused:UNUSED_PAD src0_sel:BYTE_3 src1_sel:DWORD
	v_mov_b32_e32 v32, v14
	v_lshrrev_b32_e32 v1, 3, v4
	v_mov_b32_e32 v31, v13
	v_cmpx_gt_u32_e32 8, v4
; %bb.1454:                             ;   in Loop: Header=BB357_15 Depth=1
	v_ffbh_u32_e32 v1, v13
	v_min_u32_e32 v1, 32, v1
	v_subrev_nc_u32_e32 v4, 28, v1
	v_sub_nc_u32_e32 v1, 29, v1
	v_lshlrev_b64 v[7:8], v4, v[13:14]
	v_and_b32_e32 v31, 7, v7
; %bb.1455:                             ;   in Loop: Header=BB357_15 Depth=1
	s_or_b32 exec_lo, exec_lo, s23
	v_mov_b32_e32 v4, 24
	v_lshlrev_b32_e32 v7, 20, v31
	v_lshl_add_u32 v1, v1, 23, 0x3c000000
	v_lshlrev_b32_sdwa v4, v4, v29 dst_sel:DWORD dst_unused:UNUSED_PAD src0_sel:DWORD src1_sel:BYTE_3
	v_and_b32_e32 v4, 0x80000000, v4
	v_or3_b32 v113, v7, v4, v1
.LBB357_1456:                           ;   in Loop: Header=BB357_15 Depth=1
	s_or_b32 exec_lo, exec_lo, s22
.LBB357_1457:                           ;   in Loop: Header=BB357_15 Depth=1
	s_or_b32 exec_lo, exec_lo, s21
.LBB357_1458:                           ;   in Loop: Header=BB357_15 Depth=1
	s_or_b32 exec_lo, exec_lo, s20
	v_mov_b32_e32 v13, v30
	v_cmp_ne_u16_sdwa s5, v30, v14 src0_sel:BYTE_0 src1_sel:DWORD
	v_mov_b32_e32 v118, 0
	v_mov_b32_e32 v98, 0
	s_and_saveexec_b32 s20, s5
	s_cbranch_execz .LBB357_1466
; %bb.1459:                             ;   in Loop: Header=BB357_15 Depth=1
	v_cmp_ne_u16_sdwa s5, v30, v43 src0_sel:BYTE_0 src1_sel:DWORD
	v_bfrev_b32_e32 v98, 1
	s_and_saveexec_b32 s21, s5
	s_cbranch_execz .LBB357_1465
; %bb.1460:                             ;   in Loop: Header=BB357_15 Depth=1
	v_and_b32_e32 v4, 0x7f, v30
	v_mov_b32_e32 v98, 0x7f800001
	s_mov_b32 s22, exec_lo
	v_cmpx_ne_u32_e32 0x7f, v4
	s_cbranch_execz .LBB357_1464
; %bb.1461:                             ;   in Loop: Header=BB357_15 Depth=1
	v_mov_b32_e32 v32, v14
	v_mov_b32_e32 v31, v13
	v_lshrrev_b32_e32 v1, 3, v4
	s_mov_b32 s23, exec_lo
	v_cmpx_gt_u32_e32 8, v4
; %bb.1462:                             ;   in Loop: Header=BB357_15 Depth=1
	v_and_b32_e32 v1, 7, v30
	v_ffbh_u32_e32 v1, v1
	v_min_u32_e32 v1, 32, v1
	v_subrev_nc_u32_e32 v4, 28, v1
	v_sub_nc_u32_e32 v1, 29, v1
	v_lshlrev_b64 v[31:32], v4, v[13:14]
; %bb.1463:                             ;   in Loop: Header=BB357_15 Depth=1
	s_or_b32 exec_lo, exec_lo, s23
	v_lshlrev_b32_e32 v4, 20, v31
	v_lshlrev_b32_e32 v7, 24, v13
	v_lshl_add_u32 v1, v1, 23, 0x3c000000
	v_and_b32_e32 v4, 0x700000, v4
	v_and_b32_e32 v7, 0x80000000, v7
	v_or3_b32 v98, v4, v7, v1
.LBB357_1464:                           ;   in Loop: Header=BB357_15 Depth=1
	s_or_b32 exec_lo, exec_lo, s22
.LBB357_1465:                           ;   in Loop: Header=BB357_15 Depth=1
	s_or_b32 exec_lo, exec_lo, s21
.LBB357_1466:                           ;   in Loop: Header=BB357_15 Depth=1
	s_or_b32 exec_lo, exec_lo, s20
	v_cmp_ne_u16_sdwa s5, v13, v14 src0_sel:BYTE_1 src1_sel:DWORD
	s_and_saveexec_b32 s20, s5
	s_cbranch_execz .LBB357_1474
; %bb.1467:                             ;   in Loop: Header=BB357_15 Depth=1
	v_cmp_ne_u16_sdwa s5, v13, v43 src0_sel:BYTE_1 src1_sel:DWORD
	v_bfrev_b32_e32 v118, 1
	s_and_saveexec_b32 s21, s5
	s_cbranch_execz .LBB357_1473
; %bb.1468:                             ;   in Loop: Header=BB357_15 Depth=1
	v_mov_b32_e32 v1, 0xffff
	v_mov_b32_e32 v118, 0x7f800001
	s_mov_b32 s22, exec_lo
	v_and_b32_sdwa v1, v1, v13 dst_sel:DWORD dst_unused:UNUSED_PAD src0_sel:DWORD src1_sel:BYTE_1
	v_and_b32_e32 v4, 0x7f, v1
	v_cmpx_ne_u32_e32 0x7f, v4
	s_cbranch_execz .LBB357_1472
; %bb.1469:                             ;   in Loop: Header=BB357_15 Depth=1
	v_and_b32_e32 v31, 7, v1
	v_mov_b32_e32 v32, v14
	v_lshrrev_b32_e32 v1, 3, v4
	s_mov_b32 s23, exec_lo
	v_cmpx_gt_u32_e32 8, v4
; %bb.1470:                             ;   in Loop: Header=BB357_15 Depth=1
	v_ffbh_u32_e32 v1, v31
	v_min_u32_e32 v1, 32, v1
	v_subrev_nc_u32_e32 v4, 28, v1
	v_sub_nc_u32_e32 v1, 29, v1
	v_lshlrev_b64 v[7:8], v4, v[31:32]
	v_and_b32_e32 v31, 7, v7
; %bb.1471:                             ;   in Loop: Header=BB357_15 Depth=1
	s_or_b32 exec_lo, exec_lo, s23
	v_lshlrev_b32_e32 v4, 16, v13
	v_lshlrev_b32_e32 v7, 20, v31
	v_lshl_add_u32 v1, v1, 23, 0x3c000000
	v_and_b32_e32 v4, 0x80000000, v4
	v_or3_b32 v118, v7, v4, v1
.LBB357_1472:                           ;   in Loop: Header=BB357_15 Depth=1
	s_or_b32 exec_lo, exec_lo, s22
.LBB357_1473:                           ;   in Loop: Header=BB357_15 Depth=1
	s_or_b32 exec_lo, exec_lo, s21
.LBB357_1474:                           ;   in Loop: Header=BB357_15 Depth=1
	s_or_b32 exec_lo, exec_lo, s20
	v_and_b32_sdwa v1, v30, v93 dst_sel:DWORD dst_unused:UNUSED_PAD src0_sel:WORD_1 src1_sel:DWORD
	v_mov_b32_e32 v92, 0
	v_mov_b32_e32 v68, 0
	s_mov_b32 s20, exec_lo
	v_cmpx_ne_u16_e32 0, v1
	s_cbranch_execz .LBB357_1482
; %bb.1475:                             ;   in Loop: Header=BB357_15 Depth=1
	v_bfrev_b32_e32 v68, 1
	s_mov_b32 s21, exec_lo
	v_cmpx_ne_u16_e32 0x80, v1
	s_cbranch_execz .LBB357_1481
; %bb.1476:                             ;   in Loop: Header=BB357_15 Depth=1
	v_bfe_u32 v4, v30, 16, 7
	v_mov_b32_e32 v68, 0x7f800001
	s_mov_b32 s22, exec_lo
	v_cmpx_ne_u32_e32 0x7f, v4
	s_cbranch_execz .LBB357_1480
; %bb.1477:                             ;   in Loop: Header=BB357_15 Depth=1
	v_mov_b32_e32 v1, 7
	s_mov_b32 s23, exec_lo
	v_and_b32_sdwa v13, v30, v1 dst_sel:DWORD dst_unused:UNUSED_PAD src0_sel:WORD_1 src1_sel:DWORD
	v_mov_b32_e32 v32, v14
	v_lshrrev_b32_e32 v1, 3, v4
	v_mov_b32_e32 v31, v13
	v_cmpx_gt_u32_e32 8, v4
; %bb.1478:                             ;   in Loop: Header=BB357_15 Depth=1
	v_ffbh_u32_e32 v1, v13
	v_min_u32_e32 v1, 32, v1
	v_subrev_nc_u32_e32 v4, 28, v1
	v_sub_nc_u32_e32 v1, 29, v1
	v_lshlrev_b64 v[7:8], v4, v[13:14]
	v_and_b32_e32 v31, 7, v7
; %bb.1479:                             ;   in Loop: Header=BB357_15 Depth=1
	s_or_b32 exec_lo, exec_lo, s23
	v_mov_b32_e32 v4, 24
	v_lshlrev_b32_e32 v7, 20, v31
	v_lshl_add_u32 v1, v1, 23, 0x3c000000
	v_lshlrev_b32_sdwa v4, v4, v30 dst_sel:DWORD dst_unused:UNUSED_PAD src0_sel:DWORD src1_sel:WORD_1
	v_and_b32_e32 v4, 0x80000000, v4
	v_or3_b32 v68, v7, v4, v1
.LBB357_1480:                           ;   in Loop: Header=BB357_15 Depth=1
	s_or_b32 exec_lo, exec_lo, s22
.LBB357_1481:                           ;   in Loop: Header=BB357_15 Depth=1
	s_or_b32 exec_lo, exec_lo, s21
.LBB357_1482:                           ;   in Loop: Header=BB357_15 Depth=1
	s_or_b32 exec_lo, exec_lo, s20
	s_mov_b32 s20, exec_lo
	v_cmpx_lt_u64_e64 s[12:13], v[29:30]
	s_cbranch_execz .LBB357_1490
; %bb.1483:                             ;   in Loop: Header=BB357_15 Depth=1
	v_cmp_ne_u32_sdwa s5, v30, v43 src0_sel:BYTE_3 src1_sel:DWORD
	v_bfrev_b32_e32 v92, 1
	s_and_saveexec_b32 s21, s5
	s_cbranch_execz .LBB357_1489
; %bb.1484:                             ;   in Loop: Header=BB357_15 Depth=1
	v_bfe_u32 v4, v30, 24, 7
	v_mov_b32_e32 v92, 0x7f800001
	s_mov_b32 s22, exec_lo
	v_cmpx_ne_u32_e32 0x7f, v4
	s_cbranch_execz .LBB357_1488
; %bb.1485:                             ;   in Loop: Header=BB357_15 Depth=1
	v_mov_b32_e32 v1, 7
	s_mov_b32 s23, exec_lo
	v_and_b32_sdwa v13, v30, v1 dst_sel:DWORD dst_unused:UNUSED_PAD src0_sel:BYTE_3 src1_sel:DWORD
	v_mov_b32_e32 v32, v14
	v_lshrrev_b32_e32 v1, 3, v4
	v_mov_b32_e32 v31, v13
	v_cmpx_gt_u32_e32 8, v4
; %bb.1486:                             ;   in Loop: Header=BB357_15 Depth=1
	v_ffbh_u32_e32 v1, v13
	v_min_u32_e32 v1, 32, v1
	v_subrev_nc_u32_e32 v4, 28, v1
	v_sub_nc_u32_e32 v1, 29, v1
	v_lshlrev_b64 v[7:8], v4, v[13:14]
	v_and_b32_e32 v31, 7, v7
; %bb.1487:                             ;   in Loop: Header=BB357_15 Depth=1
	s_or_b32 exec_lo, exec_lo, s23
	v_mov_b32_e32 v4, 24
	v_lshlrev_b32_e32 v7, 20, v31
	v_lshl_add_u32 v1, v1, 23, 0x3c000000
	v_lshlrev_b32_sdwa v4, v4, v30 dst_sel:DWORD dst_unused:UNUSED_PAD src0_sel:DWORD src1_sel:BYTE_3
	v_and_b32_e32 v4, 0x80000000, v4
	v_or3_b32 v92, v7, v4, v1
.LBB357_1488:                           ;   in Loop: Header=BB357_15 Depth=1
	s_or_b32 exec_lo, exec_lo, s22
.LBB357_1489:                           ;   in Loop: Header=BB357_15 Depth=1
	s_or_b32 exec_lo, exec_lo, s21
.LBB357_1490:                           ;   in Loop: Header=BB357_15 Depth=1
	s_or_b32 exec_lo, exec_lo, s20
	flat_load_dwordx2 v[27:28], v[27:28] offset:1544
	v_mov_b32_e32 v100, 0
	v_mov_b32_e32 v32, 0
	s_waitcnt vmcnt(0) lgkmcnt(0)
	v_cmp_ne_u16_sdwa s5, v27, v14 src0_sel:BYTE_0 src1_sel:DWORD
	s_and_saveexec_b32 s20, s5
	s_cbranch_execz .LBB357_1498
; %bb.1491:                             ;   in Loop: Header=BB357_15 Depth=1
	v_cmp_ne_u16_sdwa s5, v27, v43 src0_sel:BYTE_0 src1_sel:DWORD
	v_bfrev_b32_e32 v32, 1
	s_and_saveexec_b32 s21, s5
	s_cbranch_execz .LBB357_1497
; %bb.1492:                             ;   in Loop: Header=BB357_15 Depth=1
	v_and_b32_e32 v4, 0x7f, v27
	v_mov_b32_e32 v32, 0x7f800001
	s_mov_b32 s22, exec_lo
	v_cmpx_ne_u32_e32 0x7f, v4
	s_cbranch_execz .LBB357_1496
; %bb.1493:                             ;   in Loop: Header=BB357_15 Depth=1
	v_mov_b32_e32 v30, v28
	v_lshrrev_b32_e32 v1, 3, v4
	v_mov_b32_e32 v29, v27
	s_mov_b32 s23, exec_lo
	v_cmpx_gt_u32_e32 8, v4
; %bb.1494:                             ;   in Loop: Header=BB357_15 Depth=1
	v_and_b32_e32 v1, 7, v27
	v_ffbh_u32_e32 v1, v1
	v_min_u32_e32 v1, 32, v1
	v_subrev_nc_u32_e32 v4, 28, v1
	v_sub_nc_u32_e32 v1, 29, v1
	v_lshlrev_b64 v[29:30], v4, v[27:28]
; %bb.1495:                             ;   in Loop: Header=BB357_15 Depth=1
	s_or_b32 exec_lo, exec_lo, s23
	v_lshlrev_b32_e32 v4, 20, v29
	v_lshlrev_b32_e32 v7, 24, v27
	v_lshl_add_u32 v1, v1, 23, 0x3c000000
	v_and_b32_e32 v4, 0x700000, v4
	v_and_b32_e32 v7, 0x80000000, v7
	v_or3_b32 v32, v4, v7, v1
.LBB357_1496:                           ;   in Loop: Header=BB357_15 Depth=1
	s_or_b32 exec_lo, exec_lo, s22
.LBB357_1497:                           ;   in Loop: Header=BB357_15 Depth=1
	s_or_b32 exec_lo, exec_lo, s21
.LBB357_1498:                           ;   in Loop: Header=BB357_15 Depth=1
	s_or_b32 exec_lo, exec_lo, s20
	v_cmp_ne_u16_sdwa s5, v27, v14 src0_sel:BYTE_1 src1_sel:DWORD
	s_and_saveexec_b32 s20, s5
	s_cbranch_execz .LBB357_1506
; %bb.1499:                             ;   in Loop: Header=BB357_15 Depth=1
	v_cmp_ne_u16_sdwa s5, v27, v43 src0_sel:BYTE_1 src1_sel:DWORD
	v_bfrev_b32_e32 v100, 1
	s_and_saveexec_b32 s21, s5
	s_cbranch_execz .LBB357_1505
; %bb.1500:                             ;   in Loop: Header=BB357_15 Depth=1
	v_mov_b32_e32 v1, 0xffff
	v_mov_b32_e32 v100, 0x7f800001
	s_mov_b32 s22, exec_lo
	v_and_b32_sdwa v1, v1, v27 dst_sel:DWORD dst_unused:UNUSED_PAD src0_sel:DWORD src1_sel:BYTE_1
	v_and_b32_e32 v4, 0x7f, v1
	v_cmpx_ne_u32_e32 0x7f, v4
	s_cbranch_execz .LBB357_1504
; %bb.1501:                             ;   in Loop: Header=BB357_15 Depth=1
	v_and_b32_e32 v13, 7, v1
	v_mov_b32_e32 v30, v14
	v_lshrrev_b32_e32 v1, 3, v4
	s_mov_b32 s23, exec_lo
	v_mov_b32_e32 v29, v13
	v_cmpx_gt_u32_e32 8, v4
; %bb.1502:                             ;   in Loop: Header=BB357_15 Depth=1
	v_ffbh_u32_e32 v1, v13
	v_min_u32_e32 v1, 32, v1
	v_subrev_nc_u32_e32 v4, 28, v1
	v_sub_nc_u32_e32 v1, 29, v1
	v_lshlrev_b64 v[7:8], v4, v[13:14]
	v_and_b32_e32 v29, 7, v7
; %bb.1503:                             ;   in Loop: Header=BB357_15 Depth=1
	s_or_b32 exec_lo, exec_lo, s23
	v_lshlrev_b32_e32 v4, 16, v27
	v_lshlrev_b32_e32 v7, 20, v29
	v_lshl_add_u32 v1, v1, 23, 0x3c000000
	v_and_b32_e32 v4, 0x80000000, v4
	v_or3_b32 v100, v7, v4, v1
.LBB357_1504:                           ;   in Loop: Header=BB357_15 Depth=1
	s_or_b32 exec_lo, exec_lo, s22
.LBB357_1505:                           ;   in Loop: Header=BB357_15 Depth=1
	s_or_b32 exec_lo, exec_lo, s21
.LBB357_1506:                           ;   in Loop: Header=BB357_15 Depth=1
	s_or_b32 exec_lo, exec_lo, s20
	v_and_b32_sdwa v1, v27, v93 dst_sel:DWORD dst_unused:UNUSED_PAD src0_sel:WORD_1 src1_sel:DWORD
	v_mov_b32_e32 v115, 0
	v_mov_b32_e32 v7, 0
	s_mov_b32 s20, exec_lo
	v_cmpx_ne_u16_e32 0, v1
	s_cbranch_execz .LBB357_1514
; %bb.1507:                             ;   in Loop: Header=BB357_15 Depth=1
	v_bfrev_b32_e32 v7, 1
	s_mov_b32 s21, exec_lo
	v_cmpx_ne_u16_e32 0x80, v1
	s_cbranch_execz .LBB357_1513
; %bb.1508:                             ;   in Loop: Header=BB357_15 Depth=1
	v_bfe_u32 v4, v27, 16, 7
	v_mov_b32_e32 v7, 0x7f800001
	s_mov_b32 s22, exec_lo
	v_cmpx_ne_u32_e32 0x7f, v4
	s_cbranch_execz .LBB357_1512
; %bb.1509:                             ;   in Loop: Header=BB357_15 Depth=1
	v_mov_b32_e32 v1, 7
	s_mov_b32 s23, exec_lo
	v_and_b32_sdwa v13, v27, v1 dst_sel:DWORD dst_unused:UNUSED_PAD src0_sel:WORD_1 src1_sel:DWORD
	v_mov_b32_e32 v30, v14
	v_lshrrev_b32_e32 v1, 3, v4
	v_mov_b32_e32 v29, v13
	v_cmpx_gt_u32_e32 8, v4
; %bb.1510:                             ;   in Loop: Header=BB357_15 Depth=1
	v_ffbh_u32_e32 v1, v13
	v_min_u32_e32 v1, 32, v1
	v_subrev_nc_u32_e32 v4, 28, v1
	v_sub_nc_u32_e32 v1, 29, v1
	v_lshlrev_b64 v[7:8], v4, v[13:14]
	v_and_b32_e32 v29, 7, v7
; %bb.1511:                             ;   in Loop: Header=BB357_15 Depth=1
	s_or_b32 exec_lo, exec_lo, s23
	v_mov_b32_e32 v4, 24
	v_lshlrev_b32_e32 v7, 20, v29
	v_lshl_add_u32 v1, v1, 23, 0x3c000000
	v_lshlrev_b32_sdwa v4, v4, v27 dst_sel:DWORD dst_unused:UNUSED_PAD src0_sel:DWORD src1_sel:WORD_1
	v_and_b32_e32 v4, 0x80000000, v4
	v_or3_b32 v7, v7, v4, v1
.LBB357_1512:                           ;   in Loop: Header=BB357_15 Depth=1
	s_or_b32 exec_lo, exec_lo, s22
.LBB357_1513:                           ;   in Loop: Header=BB357_15 Depth=1
	s_or_b32 exec_lo, exec_lo, s21
.LBB357_1514:                           ;   in Loop: Header=BB357_15 Depth=1
	s_or_b32 exec_lo, exec_lo, s20
	s_mov_b32 s20, exec_lo
	v_cmpx_lt_u32_e32 0xffffff, v27
	s_cbranch_execz .LBB357_1522
; %bb.1515:                             ;   in Loop: Header=BB357_15 Depth=1
	v_cmp_ne_u32_sdwa s5, v27, v43 src0_sel:BYTE_3 src1_sel:DWORD
	v_bfrev_b32_e32 v115, 1
	s_and_saveexec_b32 s21, s5
	s_cbranch_execz .LBB357_1521
; %bb.1516:                             ;   in Loop: Header=BB357_15 Depth=1
	v_bfe_u32 v4, v27, 24, 7
	v_mov_b32_e32 v115, 0x7f800001
	s_mov_b32 s22, exec_lo
	v_cmpx_ne_u32_e32 0x7f, v4
	s_cbranch_execz .LBB357_1520
; %bb.1517:                             ;   in Loop: Header=BB357_15 Depth=1
	v_mov_b32_e32 v1, 7
	s_mov_b32 s23, exec_lo
	v_and_b32_sdwa v13, v27, v1 dst_sel:DWORD dst_unused:UNUSED_PAD src0_sel:BYTE_3 src1_sel:DWORD
	v_mov_b32_e32 v30, v14
	v_lshrrev_b32_e32 v1, 3, v4
	v_mov_b32_e32 v29, v13
	v_cmpx_gt_u32_e32 8, v4
; %bb.1518:                             ;   in Loop: Header=BB357_15 Depth=1
	v_ffbh_u32_e32 v1, v13
	v_min_u32_e32 v1, 32, v1
	v_subrev_nc_u32_e32 v4, 28, v1
	v_sub_nc_u32_e32 v1, 29, v1
	v_lshlrev_b64 v[15:16], v4, v[13:14]
	v_and_b32_e32 v29, 7, v15
; %bb.1519:                             ;   in Loop: Header=BB357_15 Depth=1
	s_or_b32 exec_lo, exec_lo, s23
	v_mov_b32_e32 v4, 24
	v_lshlrev_b32_e32 v8, 20, v29
	v_lshl_add_u32 v1, v1, 23, 0x3c000000
	v_lshlrev_b32_sdwa v4, v4, v27 dst_sel:DWORD dst_unused:UNUSED_PAD src0_sel:DWORD src1_sel:BYTE_3
	v_and_b32_e32 v4, 0x80000000, v4
	v_or3_b32 v115, v8, v4, v1
.LBB357_1520:                           ;   in Loop: Header=BB357_15 Depth=1
	s_or_b32 exec_lo, exec_lo, s22
.LBB357_1521:                           ;   in Loop: Header=BB357_15 Depth=1
	s_or_b32 exec_lo, exec_lo, s21
.LBB357_1522:                           ;   in Loop: Header=BB357_15 Depth=1
	s_or_b32 exec_lo, exec_lo, s20
	v_mov_b32_e32 v13, v28
	v_cmp_ne_u16_sdwa s5, v28, v14 src0_sel:BYTE_0 src1_sel:DWORD
	v_mov_b32_e32 v73, 0
	v_mov_b32_e32 v102, 0
	s_and_saveexec_b32 s20, s5
	s_cbranch_execz .LBB357_1530
; %bb.1523:                             ;   in Loop: Header=BB357_15 Depth=1
	v_cmp_ne_u16_sdwa s5, v28, v43 src0_sel:BYTE_0 src1_sel:DWORD
	v_bfrev_b32_e32 v102, 1
	s_and_saveexec_b32 s21, s5
	s_cbranch_execz .LBB357_1529
; %bb.1524:                             ;   in Loop: Header=BB357_15 Depth=1
	v_and_b32_e32 v4, 0x7f, v28
	v_mov_b32_e32 v102, 0x7f800001
	s_mov_b32 s22, exec_lo
	v_cmpx_ne_u32_e32 0x7f, v4
	s_cbranch_execz .LBB357_1528
; %bb.1525:                             ;   in Loop: Header=BB357_15 Depth=1
	v_mov_b32_e32 v30, v14
	v_mov_b32_e32 v29, v13
	v_lshrrev_b32_e32 v1, 3, v4
	s_mov_b32 s23, exec_lo
	v_cmpx_gt_u32_e32 8, v4
; %bb.1526:                             ;   in Loop: Header=BB357_15 Depth=1
	v_and_b32_e32 v1, 7, v28
	v_ffbh_u32_e32 v1, v1
	v_min_u32_e32 v1, 32, v1
	v_subrev_nc_u32_e32 v4, 28, v1
	v_sub_nc_u32_e32 v1, 29, v1
	v_lshlrev_b64 v[29:30], v4, v[13:14]
; %bb.1527:                             ;   in Loop: Header=BB357_15 Depth=1
	s_or_b32 exec_lo, exec_lo, s23
	v_lshlrev_b32_e32 v4, 20, v29
	v_lshlrev_b32_e32 v8, 24, v13
	v_lshl_add_u32 v1, v1, 23, 0x3c000000
	v_and_b32_e32 v4, 0x700000, v4
	v_and_b32_e32 v8, 0x80000000, v8
	v_or3_b32 v102, v4, v8, v1
.LBB357_1528:                           ;   in Loop: Header=BB357_15 Depth=1
	s_or_b32 exec_lo, exec_lo, s22
.LBB357_1529:                           ;   in Loop: Header=BB357_15 Depth=1
	s_or_b32 exec_lo, exec_lo, s21
.LBB357_1530:                           ;   in Loop: Header=BB357_15 Depth=1
	s_or_b32 exec_lo, exec_lo, s20
	v_cmp_ne_u16_sdwa s5, v13, v14 src0_sel:BYTE_1 src1_sel:DWORD
	s_and_saveexec_b32 s20, s5
	s_cbranch_execz .LBB357_1538
; %bb.1531:                             ;   in Loop: Header=BB357_15 Depth=1
	v_cmp_ne_u16_sdwa s5, v13, v43 src0_sel:BYTE_1 src1_sel:DWORD
	v_bfrev_b32_e32 v73, 1
	s_and_saveexec_b32 s21, s5
	s_cbranch_execz .LBB357_1537
; %bb.1532:                             ;   in Loop: Header=BB357_15 Depth=1
	v_mov_b32_e32 v1, 0xffff
	v_mov_b32_e32 v73, 0x7f800001
	s_mov_b32 s22, exec_lo
	v_and_b32_sdwa v1, v1, v13 dst_sel:DWORD dst_unused:UNUSED_PAD src0_sel:DWORD src1_sel:BYTE_1
	v_and_b32_e32 v4, 0x7f, v1
	v_cmpx_ne_u32_e32 0x7f, v4
	s_cbranch_execz .LBB357_1536
; %bb.1533:                             ;   in Loop: Header=BB357_15 Depth=1
	v_and_b32_e32 v29, 7, v1
	v_mov_b32_e32 v30, v14
	v_lshrrev_b32_e32 v1, 3, v4
	s_mov_b32 s23, exec_lo
	v_cmpx_gt_u32_e32 8, v4
; %bb.1534:                             ;   in Loop: Header=BB357_15 Depth=1
	v_ffbh_u32_e32 v1, v29
	v_min_u32_e32 v1, 32, v1
	v_subrev_nc_u32_e32 v4, 28, v1
	v_sub_nc_u32_e32 v1, 29, v1
	v_lshlrev_b64 v[15:16], v4, v[29:30]
	v_and_b32_e32 v29, 7, v15
; %bb.1535:                             ;   in Loop: Header=BB357_15 Depth=1
	s_or_b32 exec_lo, exec_lo, s23
	v_lshlrev_b32_e32 v4, 16, v13
	v_lshlrev_b32_e32 v8, 20, v29
	v_lshl_add_u32 v1, v1, 23, 0x3c000000
	v_and_b32_e32 v4, 0x80000000, v4
	v_or3_b32 v73, v8, v4, v1
.LBB357_1536:                           ;   in Loop: Header=BB357_15 Depth=1
	s_or_b32 exec_lo, exec_lo, s22
.LBB357_1537:                           ;   in Loop: Header=BB357_15 Depth=1
	s_or_b32 exec_lo, exec_lo, s21
.LBB357_1538:                           ;   in Loop: Header=BB357_15 Depth=1
	s_or_b32 exec_lo, exec_lo, s20
	v_and_b32_sdwa v1, v28, v93 dst_sel:DWORD dst_unused:UNUSED_PAD src0_sel:WORD_1 src1_sel:DWORD
	v_mov_b32_e32 v39, 0
	v_mov_b32_e32 v83, 0
	s_mov_b32 s20, exec_lo
	v_cmpx_ne_u16_e32 0, v1
	s_cbranch_execz .LBB357_1546
; %bb.1539:                             ;   in Loop: Header=BB357_15 Depth=1
	v_bfrev_b32_e32 v83, 1
	s_mov_b32 s21, exec_lo
	v_cmpx_ne_u16_e32 0x80, v1
	s_cbranch_execz .LBB357_1545
; %bb.1540:                             ;   in Loop: Header=BB357_15 Depth=1
	v_bfe_u32 v4, v28, 16, 7
	v_mov_b32_e32 v83, 0x7f800001
	s_mov_b32 s22, exec_lo
	v_cmpx_ne_u32_e32 0x7f, v4
	s_cbranch_execz .LBB357_1544
; %bb.1541:                             ;   in Loop: Header=BB357_15 Depth=1
	v_mov_b32_e32 v1, 7
	s_mov_b32 s23, exec_lo
	v_and_b32_sdwa v13, v28, v1 dst_sel:DWORD dst_unused:UNUSED_PAD src0_sel:WORD_1 src1_sel:DWORD
	v_mov_b32_e32 v30, v14
	v_lshrrev_b32_e32 v1, 3, v4
	v_mov_b32_e32 v29, v13
	v_cmpx_gt_u32_e32 8, v4
; %bb.1542:                             ;   in Loop: Header=BB357_15 Depth=1
	v_ffbh_u32_e32 v1, v13
	v_min_u32_e32 v1, 32, v1
	v_subrev_nc_u32_e32 v4, 28, v1
	v_sub_nc_u32_e32 v1, 29, v1
	v_lshlrev_b64 v[15:16], v4, v[13:14]
	v_and_b32_e32 v29, 7, v15
; %bb.1543:                             ;   in Loop: Header=BB357_15 Depth=1
	s_or_b32 exec_lo, exec_lo, s23
	v_mov_b32_e32 v4, 24
	v_lshlrev_b32_e32 v8, 20, v29
	v_lshl_add_u32 v1, v1, 23, 0x3c000000
	v_lshlrev_b32_sdwa v4, v4, v28 dst_sel:DWORD dst_unused:UNUSED_PAD src0_sel:DWORD src1_sel:WORD_1
	v_and_b32_e32 v4, 0x80000000, v4
	v_or3_b32 v83, v8, v4, v1
.LBB357_1544:                           ;   in Loop: Header=BB357_15 Depth=1
	s_or_b32 exec_lo, exec_lo, s22
.LBB357_1545:                           ;   in Loop: Header=BB357_15 Depth=1
	s_or_b32 exec_lo, exec_lo, s21
.LBB357_1546:                           ;   in Loop: Header=BB357_15 Depth=1
	s_or_b32 exec_lo, exec_lo, s20
	s_mov_b32 s20, exec_lo
	v_cmpx_lt_u64_e64 s[12:13], v[27:28]
	s_cbranch_execz .LBB357_1554
; %bb.1547:                             ;   in Loop: Header=BB357_15 Depth=1
	v_cmp_ne_u32_sdwa s5, v28, v43 src0_sel:BYTE_3 src1_sel:DWORD
	v_bfrev_b32_e32 v39, 1
	s_and_saveexec_b32 s21, s5
	s_cbranch_execz .LBB357_1553
; %bb.1548:                             ;   in Loop: Header=BB357_15 Depth=1
	v_bfe_u32 v4, v28, 24, 7
	v_mov_b32_e32 v39, 0x7f800001
	s_mov_b32 s22, exec_lo
	v_cmpx_ne_u32_e32 0x7f, v4
	s_cbranch_execz .LBB357_1552
; %bb.1549:                             ;   in Loop: Header=BB357_15 Depth=1
	v_mov_b32_e32 v1, 7
	s_mov_b32 s23, exec_lo
	v_and_b32_sdwa v13, v28, v1 dst_sel:DWORD dst_unused:UNUSED_PAD src0_sel:BYTE_3 src1_sel:DWORD
	v_mov_b32_e32 v30, v14
	v_lshrrev_b32_e32 v1, 3, v4
	v_mov_b32_e32 v29, v13
	v_cmpx_gt_u32_e32 8, v4
; %bb.1550:                             ;   in Loop: Header=BB357_15 Depth=1
	v_ffbh_u32_e32 v1, v13
	v_min_u32_e32 v1, 32, v1
	v_subrev_nc_u32_e32 v4, 28, v1
	v_sub_nc_u32_e32 v1, 29, v1
	v_lshlrev_b64 v[15:16], v4, v[13:14]
	v_and_b32_e32 v29, 7, v15
; %bb.1551:                             ;   in Loop: Header=BB357_15 Depth=1
	s_or_b32 exec_lo, exec_lo, s23
	v_mov_b32_e32 v4, 24
	v_lshlrev_b32_e32 v8, 20, v29
	v_lshl_add_u32 v1, v1, 23, 0x3c000000
	v_lshlrev_b32_sdwa v4, v4, v28 dst_sel:DWORD dst_unused:UNUSED_PAD src0_sel:DWORD src1_sel:BYTE_3
	v_and_b32_e32 v4, 0x80000000, v4
	v_or3_b32 v39, v8, v4, v1
.LBB357_1552:                           ;   in Loop: Header=BB357_15 Depth=1
	s_or_b32 exec_lo, exec_lo, s22
.LBB357_1553:                           ;   in Loop: Header=BB357_15 Depth=1
	s_or_b32 exec_lo, exec_lo, s21
.LBB357_1554:                           ;   in Loop: Header=BB357_15 Depth=1
	s_or_b32 exec_lo, exec_lo, s20
	v_add_co_u32 v24, s5, 0x1800, v24
	v_add_co_ci_u32_e64 v25, null, 0, v25, s5
	v_mov_b32_e32 v101, 0
	v_mov_b32_e32 v20, 0
	flat_load_dwordx2 v[27:28], v[24:25]
	s_waitcnt vmcnt(0) lgkmcnt(0)
	v_cmp_ne_u16_sdwa s5, v27, v14 src0_sel:BYTE_0 src1_sel:DWORD
	s_and_saveexec_b32 s20, s5
	s_cbranch_execz .LBB357_1562
; %bb.1555:                             ;   in Loop: Header=BB357_15 Depth=1
	v_cmp_ne_u16_sdwa s5, v27, v43 src0_sel:BYTE_0 src1_sel:DWORD
	v_bfrev_b32_e32 v20, 1
	s_and_saveexec_b32 s21, s5
	s_cbranch_execz .LBB357_1561
; %bb.1556:                             ;   in Loop: Header=BB357_15 Depth=1
	v_and_b32_e32 v4, 0x7f, v27
	v_mov_b32_e32 v20, 0x7f800001
	s_mov_b32 s22, exec_lo
	v_cmpx_ne_u32_e32 0x7f, v4
	s_cbranch_execz .LBB357_1560
; %bb.1557:                             ;   in Loop: Header=BB357_15 Depth=1
	v_mov_b32_e32 v30, v28
	v_lshrrev_b32_e32 v1, 3, v4
	v_mov_b32_e32 v29, v27
	s_mov_b32 s23, exec_lo
	v_cmpx_gt_u32_e32 8, v4
; %bb.1558:                             ;   in Loop: Header=BB357_15 Depth=1
	v_and_b32_e32 v1, 7, v27
	v_ffbh_u32_e32 v1, v1
	v_min_u32_e32 v1, 32, v1
	v_subrev_nc_u32_e32 v4, 28, v1
	v_sub_nc_u32_e32 v1, 29, v1
	v_lshlrev_b64 v[29:30], v4, v[27:28]
; %bb.1559:                             ;   in Loop: Header=BB357_15 Depth=1
	s_or_b32 exec_lo, exec_lo, s23
	v_lshlrev_b32_e32 v4, 20, v29
	v_lshlrev_b32_e32 v8, 24, v27
	v_lshl_add_u32 v1, v1, 23, 0x3c000000
	v_and_b32_e32 v4, 0x700000, v4
	v_and_b32_e32 v8, 0x80000000, v8
	v_or3_b32 v20, v4, v8, v1
.LBB357_1560:                           ;   in Loop: Header=BB357_15 Depth=1
	s_or_b32 exec_lo, exec_lo, s22
.LBB357_1561:                           ;   in Loop: Header=BB357_15 Depth=1
	s_or_b32 exec_lo, exec_lo, s21
.LBB357_1562:                           ;   in Loop: Header=BB357_15 Depth=1
	s_or_b32 exec_lo, exec_lo, s20
	v_cmp_ne_u16_sdwa s5, v27, v14 src0_sel:BYTE_1 src1_sel:DWORD
	s_and_saveexec_b32 s20, s5
	s_cbranch_execz .LBB357_1570
; %bb.1563:                             ;   in Loop: Header=BB357_15 Depth=1
	v_cmp_ne_u16_sdwa s5, v27, v43 src0_sel:BYTE_1 src1_sel:DWORD
	v_bfrev_b32_e32 v101, 1
	s_and_saveexec_b32 s21, s5
	s_cbranch_execz .LBB357_1569
; %bb.1564:                             ;   in Loop: Header=BB357_15 Depth=1
	v_mov_b32_e32 v1, 0xffff
	v_mov_b32_e32 v101, 0x7f800001
	s_mov_b32 s22, exec_lo
	v_and_b32_sdwa v1, v1, v27 dst_sel:DWORD dst_unused:UNUSED_PAD src0_sel:DWORD src1_sel:BYTE_1
	v_and_b32_e32 v4, 0x7f, v1
	v_cmpx_ne_u32_e32 0x7f, v4
	s_cbranch_execz .LBB357_1568
; %bb.1565:                             ;   in Loop: Header=BB357_15 Depth=1
	v_and_b32_e32 v13, 7, v1
	v_mov_b32_e32 v30, v14
	v_lshrrev_b32_e32 v1, 3, v4
	s_mov_b32 s23, exec_lo
	v_mov_b32_e32 v29, v13
	v_cmpx_gt_u32_e32 8, v4
; %bb.1566:                             ;   in Loop: Header=BB357_15 Depth=1
	v_ffbh_u32_e32 v1, v13
	v_min_u32_e32 v1, 32, v1
	v_subrev_nc_u32_e32 v4, 28, v1
	v_sub_nc_u32_e32 v1, 29, v1
	v_lshlrev_b64 v[15:16], v4, v[13:14]
	v_and_b32_e32 v29, 7, v15
; %bb.1567:                             ;   in Loop: Header=BB357_15 Depth=1
	s_or_b32 exec_lo, exec_lo, s23
	v_lshlrev_b32_e32 v4, 16, v27
	v_lshlrev_b32_e32 v8, 20, v29
	v_lshl_add_u32 v1, v1, 23, 0x3c000000
	v_and_b32_e32 v4, 0x80000000, v4
	v_or3_b32 v101, v8, v4, v1
.LBB357_1568:                           ;   in Loop: Header=BB357_15 Depth=1
	s_or_b32 exec_lo, exec_lo, s22
.LBB357_1569:                           ;   in Loop: Header=BB357_15 Depth=1
	s_or_b32 exec_lo, exec_lo, s21
.LBB357_1570:                           ;   in Loop: Header=BB357_15 Depth=1
	s_or_b32 exec_lo, exec_lo, s20
	v_and_b32_sdwa v1, v27, v93 dst_sel:DWORD dst_unused:UNUSED_PAD src0_sel:WORD_1 src1_sel:DWORD
	v_mov_b32_e32 v62, 0
	v_mov_b32_e32 v36, 0
	s_mov_b32 s20, exec_lo
	v_cmpx_ne_u16_e32 0, v1
	s_cbranch_execz .LBB357_1578
; %bb.1571:                             ;   in Loop: Header=BB357_15 Depth=1
	v_bfrev_b32_e32 v36, 1
	s_mov_b32 s21, exec_lo
	v_cmpx_ne_u16_e32 0x80, v1
	s_cbranch_execz .LBB357_1577
; %bb.1572:                             ;   in Loop: Header=BB357_15 Depth=1
	v_bfe_u32 v4, v27, 16, 7
	v_mov_b32_e32 v36, 0x7f800001
	s_mov_b32 s22, exec_lo
	v_cmpx_ne_u32_e32 0x7f, v4
	s_cbranch_execz .LBB357_1576
; %bb.1573:                             ;   in Loop: Header=BB357_15 Depth=1
	v_mov_b32_e32 v1, 7
	s_mov_b32 s23, exec_lo
	v_and_b32_sdwa v13, v27, v1 dst_sel:DWORD dst_unused:UNUSED_PAD src0_sel:WORD_1 src1_sel:DWORD
	v_mov_b32_e32 v30, v14
	v_lshrrev_b32_e32 v1, 3, v4
	v_mov_b32_e32 v29, v13
	v_cmpx_gt_u32_e32 8, v4
; %bb.1574:                             ;   in Loop: Header=BB357_15 Depth=1
	v_ffbh_u32_e32 v1, v13
	v_min_u32_e32 v1, 32, v1
	v_subrev_nc_u32_e32 v4, 28, v1
	v_sub_nc_u32_e32 v1, 29, v1
	v_lshlrev_b64 v[15:16], v4, v[13:14]
	v_and_b32_e32 v29, 7, v15
; %bb.1575:                             ;   in Loop: Header=BB357_15 Depth=1
	s_or_b32 exec_lo, exec_lo, s23
	v_mov_b32_e32 v4, 24
	v_lshlrev_b32_e32 v8, 20, v29
	v_lshl_add_u32 v1, v1, 23, 0x3c000000
	v_lshlrev_b32_sdwa v4, v4, v27 dst_sel:DWORD dst_unused:UNUSED_PAD src0_sel:DWORD src1_sel:WORD_1
	v_and_b32_e32 v4, 0x80000000, v4
	v_or3_b32 v36, v8, v4, v1
.LBB357_1576:                           ;   in Loop: Header=BB357_15 Depth=1
	s_or_b32 exec_lo, exec_lo, s22
.LBB357_1577:                           ;   in Loop: Header=BB357_15 Depth=1
	s_or_b32 exec_lo, exec_lo, s21
.LBB357_1578:                           ;   in Loop: Header=BB357_15 Depth=1
	s_or_b32 exec_lo, exec_lo, s20
	s_mov_b32 s20, exec_lo
	v_cmpx_lt_u32_e32 0xffffff, v27
	s_cbranch_execz .LBB357_1586
; %bb.1579:                             ;   in Loop: Header=BB357_15 Depth=1
	v_cmp_ne_u32_sdwa s5, v27, v43 src0_sel:BYTE_3 src1_sel:DWORD
	v_bfrev_b32_e32 v62, 1
	s_and_saveexec_b32 s21, s5
	s_cbranch_execz .LBB357_1585
; %bb.1580:                             ;   in Loop: Header=BB357_15 Depth=1
	v_bfe_u32 v4, v27, 24, 7
	v_mov_b32_e32 v62, 0x7f800001
	s_mov_b32 s22, exec_lo
	v_cmpx_ne_u32_e32 0x7f, v4
	s_cbranch_execz .LBB357_1584
; %bb.1581:                             ;   in Loop: Header=BB357_15 Depth=1
	v_mov_b32_e32 v1, 7
	s_mov_b32 s23, exec_lo
	v_and_b32_sdwa v13, v27, v1 dst_sel:DWORD dst_unused:UNUSED_PAD src0_sel:BYTE_3 src1_sel:DWORD
	v_mov_b32_e32 v30, v14
	v_lshrrev_b32_e32 v1, 3, v4
	v_mov_b32_e32 v29, v13
	v_cmpx_gt_u32_e32 8, v4
; %bb.1582:                             ;   in Loop: Header=BB357_15 Depth=1
	v_ffbh_u32_e32 v1, v13
	v_min_u32_e32 v1, 32, v1
	v_subrev_nc_u32_e32 v4, 28, v1
	v_sub_nc_u32_e32 v1, 29, v1
	v_lshlrev_b64 v[15:16], v4, v[13:14]
	v_and_b32_e32 v29, 7, v15
; %bb.1583:                             ;   in Loop: Header=BB357_15 Depth=1
	s_or_b32 exec_lo, exec_lo, s23
	v_mov_b32_e32 v4, 24
	v_lshlrev_b32_e32 v8, 20, v29
	v_lshl_add_u32 v1, v1, 23, 0x3c000000
	v_lshlrev_b32_sdwa v4, v4, v27 dst_sel:DWORD dst_unused:UNUSED_PAD src0_sel:DWORD src1_sel:BYTE_3
	v_and_b32_e32 v4, 0x80000000, v4
	v_or3_b32 v62, v8, v4, v1
.LBB357_1584:                           ;   in Loop: Header=BB357_15 Depth=1
	s_or_b32 exec_lo, exec_lo, s22
.LBB357_1585:                           ;   in Loop: Header=BB357_15 Depth=1
	s_or_b32 exec_lo, exec_lo, s21
.LBB357_1586:                           ;   in Loop: Header=BB357_15 Depth=1
	s_or_b32 exec_lo, exec_lo, s20
	v_mov_b32_e32 v13, v28
	v_cmp_ne_u16_sdwa s5, v28, v14 src0_sel:BYTE_0 src1_sel:DWORD
	v_mov_b32_e32 v22, 0
	v_mov_b32_e32 v66, 0
	s_and_saveexec_b32 s20, s5
	s_cbranch_execz .LBB357_1594
; %bb.1587:                             ;   in Loop: Header=BB357_15 Depth=1
	v_cmp_ne_u16_sdwa s5, v28, v43 src0_sel:BYTE_0 src1_sel:DWORD
	v_bfrev_b32_e32 v66, 1
	s_and_saveexec_b32 s21, s5
	s_cbranch_execz .LBB357_1593
; %bb.1588:                             ;   in Loop: Header=BB357_15 Depth=1
	v_and_b32_e32 v4, 0x7f, v28
	v_mov_b32_e32 v66, 0x7f800001
	s_mov_b32 s22, exec_lo
	v_cmpx_ne_u32_e32 0x7f, v4
	s_cbranch_execz .LBB357_1592
; %bb.1589:                             ;   in Loop: Header=BB357_15 Depth=1
	v_mov_b32_e32 v30, v14
	v_mov_b32_e32 v29, v13
	v_lshrrev_b32_e32 v1, 3, v4
	s_mov_b32 s23, exec_lo
	v_cmpx_gt_u32_e32 8, v4
; %bb.1590:                             ;   in Loop: Header=BB357_15 Depth=1
	v_and_b32_e32 v1, 7, v28
	v_ffbh_u32_e32 v1, v1
	v_min_u32_e32 v1, 32, v1
	v_subrev_nc_u32_e32 v4, 28, v1
	v_sub_nc_u32_e32 v1, 29, v1
	v_lshlrev_b64 v[29:30], v4, v[13:14]
; %bb.1591:                             ;   in Loop: Header=BB357_15 Depth=1
	s_or_b32 exec_lo, exec_lo, s23
	v_lshlrev_b32_e32 v4, 20, v29
	v_lshlrev_b32_e32 v8, 24, v13
	v_lshl_add_u32 v1, v1, 23, 0x3c000000
	v_and_b32_e32 v4, 0x700000, v4
	v_and_b32_e32 v8, 0x80000000, v8
	v_or3_b32 v66, v4, v8, v1
.LBB357_1592:                           ;   in Loop: Header=BB357_15 Depth=1
	s_or_b32 exec_lo, exec_lo, s22
.LBB357_1593:                           ;   in Loop: Header=BB357_15 Depth=1
	s_or_b32 exec_lo, exec_lo, s21
.LBB357_1594:                           ;   in Loop: Header=BB357_15 Depth=1
	s_or_b32 exec_lo, exec_lo, s20
	v_cmp_ne_u16_sdwa s5, v13, v14 src0_sel:BYTE_1 src1_sel:DWORD
	s_and_saveexec_b32 s20, s5
	s_cbranch_execz .LBB357_1602
; %bb.1595:                             ;   in Loop: Header=BB357_15 Depth=1
	v_cmp_ne_u16_sdwa s5, v13, v43 src0_sel:BYTE_1 src1_sel:DWORD
	v_bfrev_b32_e32 v22, 1
	s_and_saveexec_b32 s21, s5
	s_cbranch_execz .LBB357_1601
; %bb.1596:                             ;   in Loop: Header=BB357_15 Depth=1
	v_mov_b32_e32 v1, 0xffff
	v_mov_b32_e32 v22, 0x7f800001
	s_mov_b32 s22, exec_lo
	v_and_b32_sdwa v1, v1, v13 dst_sel:DWORD dst_unused:UNUSED_PAD src0_sel:DWORD src1_sel:BYTE_1
	v_and_b32_e32 v4, 0x7f, v1
	v_cmpx_ne_u32_e32 0x7f, v4
	s_cbranch_execz .LBB357_1600
; %bb.1597:                             ;   in Loop: Header=BB357_15 Depth=1
	v_and_b32_e32 v29, 7, v1
	v_mov_b32_e32 v30, v14
	v_lshrrev_b32_e32 v1, 3, v4
	s_mov_b32 s23, exec_lo
	v_cmpx_gt_u32_e32 8, v4
; %bb.1598:                             ;   in Loop: Header=BB357_15 Depth=1
	v_ffbh_u32_e32 v1, v29
	v_min_u32_e32 v1, 32, v1
	v_subrev_nc_u32_e32 v4, 28, v1
	v_sub_nc_u32_e32 v1, 29, v1
	v_lshlrev_b64 v[15:16], v4, v[29:30]
	v_and_b32_e32 v29, 7, v15
; %bb.1599:                             ;   in Loop: Header=BB357_15 Depth=1
	s_or_b32 exec_lo, exec_lo, s23
	v_lshlrev_b32_e32 v4, 16, v13
	v_lshlrev_b32_e32 v8, 20, v29
	v_lshl_add_u32 v1, v1, 23, 0x3c000000
	v_and_b32_e32 v4, 0x80000000, v4
	v_or3_b32 v22, v8, v4, v1
.LBB357_1600:                           ;   in Loop: Header=BB357_15 Depth=1
	s_or_b32 exec_lo, exec_lo, s22
.LBB357_1601:                           ;   in Loop: Header=BB357_15 Depth=1
	s_or_b32 exec_lo, exec_lo, s21
.LBB357_1602:                           ;   in Loop: Header=BB357_15 Depth=1
	s_or_b32 exec_lo, exec_lo, s20
	v_and_b32_sdwa v1, v28, v93 dst_sel:DWORD dst_unused:UNUSED_PAD src0_sel:WORD_1 src1_sel:DWORD
	v_mov_b32_e32 v74, 0
	v_mov_b32_e32 v26, 0
	s_mov_b32 s20, exec_lo
	v_cmpx_ne_u16_e32 0, v1
	s_cbranch_execz .LBB357_1610
; %bb.1603:                             ;   in Loop: Header=BB357_15 Depth=1
	v_bfrev_b32_e32 v26, 1
	s_mov_b32 s21, exec_lo
	v_cmpx_ne_u16_e32 0x80, v1
	s_cbranch_execz .LBB357_1609
; %bb.1604:                             ;   in Loop: Header=BB357_15 Depth=1
	v_bfe_u32 v4, v28, 16, 7
	v_mov_b32_e32 v26, 0x7f800001
	s_mov_b32 s22, exec_lo
	v_cmpx_ne_u32_e32 0x7f, v4
	s_cbranch_execz .LBB357_1608
; %bb.1605:                             ;   in Loop: Header=BB357_15 Depth=1
	v_mov_b32_e32 v1, 7
	s_mov_b32 s23, exec_lo
	v_and_b32_sdwa v13, v28, v1 dst_sel:DWORD dst_unused:UNUSED_PAD src0_sel:WORD_1 src1_sel:DWORD
	v_mov_b32_e32 v30, v14
	v_lshrrev_b32_e32 v1, 3, v4
	v_mov_b32_e32 v29, v13
	v_cmpx_gt_u32_e32 8, v4
; %bb.1606:                             ;   in Loop: Header=BB357_15 Depth=1
	v_ffbh_u32_e32 v1, v13
	v_min_u32_e32 v1, 32, v1
	v_subrev_nc_u32_e32 v4, 28, v1
	v_sub_nc_u32_e32 v1, 29, v1
	v_lshlrev_b64 v[15:16], v4, v[13:14]
	v_and_b32_e32 v29, 7, v15
; %bb.1607:                             ;   in Loop: Header=BB357_15 Depth=1
	s_or_b32 exec_lo, exec_lo, s23
	v_mov_b32_e32 v4, 24
	v_lshlrev_b32_e32 v8, 20, v29
	v_lshl_add_u32 v1, v1, 23, 0x3c000000
	v_lshlrev_b32_sdwa v4, v4, v28 dst_sel:DWORD dst_unused:UNUSED_PAD src0_sel:DWORD src1_sel:WORD_1
	v_and_b32_e32 v4, 0x80000000, v4
	v_or3_b32 v26, v8, v4, v1
.LBB357_1608:                           ;   in Loop: Header=BB357_15 Depth=1
	s_or_b32 exec_lo, exec_lo, s22
.LBB357_1609:                           ;   in Loop: Header=BB357_15 Depth=1
	s_or_b32 exec_lo, exec_lo, s21
.LBB357_1610:                           ;   in Loop: Header=BB357_15 Depth=1
	s_or_b32 exec_lo, exec_lo, s20
	s_mov_b32 s20, exec_lo
	v_cmpx_lt_u64_e64 s[12:13], v[27:28]
	s_cbranch_execz .LBB357_1618
; %bb.1611:                             ;   in Loop: Header=BB357_15 Depth=1
	v_cmp_ne_u32_sdwa s5, v28, v43 src0_sel:BYTE_3 src1_sel:DWORD
	v_bfrev_b32_e32 v74, 1
	s_and_saveexec_b32 s21, s5
	s_cbranch_execz .LBB357_1617
; %bb.1612:                             ;   in Loop: Header=BB357_15 Depth=1
	v_bfe_u32 v4, v28, 24, 7
	v_mov_b32_e32 v74, 0x7f800001
	s_mov_b32 s22, exec_lo
	v_cmpx_ne_u32_e32 0x7f, v4
	s_cbranch_execz .LBB357_1616
; %bb.1613:                             ;   in Loop: Header=BB357_15 Depth=1
	v_mov_b32_e32 v1, 7
	s_mov_b32 s23, exec_lo
	v_and_b32_sdwa v13, v28, v1 dst_sel:DWORD dst_unused:UNUSED_PAD src0_sel:BYTE_3 src1_sel:DWORD
	v_mov_b32_e32 v30, v14
	v_lshrrev_b32_e32 v1, 3, v4
	v_mov_b32_e32 v29, v13
	v_cmpx_gt_u32_e32 8, v4
; %bb.1614:                             ;   in Loop: Header=BB357_15 Depth=1
	v_ffbh_u32_e32 v1, v13
	v_min_u32_e32 v1, 32, v1
	v_subrev_nc_u32_e32 v4, 28, v1
	v_sub_nc_u32_e32 v1, 29, v1
	v_lshlrev_b64 v[15:16], v4, v[13:14]
	v_and_b32_e32 v29, 7, v15
; %bb.1615:                             ;   in Loop: Header=BB357_15 Depth=1
	s_or_b32 exec_lo, exec_lo, s23
	v_mov_b32_e32 v4, 24
	v_lshlrev_b32_e32 v8, 20, v29
	v_lshl_add_u32 v1, v1, 23, 0x3c000000
	v_lshlrev_b32_sdwa v4, v4, v28 dst_sel:DWORD dst_unused:UNUSED_PAD src0_sel:DWORD src1_sel:BYTE_3
	v_and_b32_e32 v4, 0x80000000, v4
	v_or3_b32 v74, v8, v4, v1
.LBB357_1616:                           ;   in Loop: Header=BB357_15 Depth=1
	s_or_b32 exec_lo, exec_lo, s22
.LBB357_1617:                           ;   in Loop: Header=BB357_15 Depth=1
	s_or_b32 exec_lo, exec_lo, s21
.LBB357_1618:                           ;   in Loop: Header=BB357_15 Depth=1
	s_or_b32 exec_lo, exec_lo, s20
	flat_load_dwordx2 v[27:28], v[24:25] offset:8
	v_mov_b32_e32 v60, 0
	v_mov_b32_e32 v15, 0
	s_waitcnt vmcnt(0) lgkmcnt(0)
	v_cmp_ne_u16_sdwa s5, v27, v14 src0_sel:BYTE_0 src1_sel:DWORD
	s_and_saveexec_b32 s20, s5
	s_cbranch_execz .LBB357_1626
; %bb.1619:                             ;   in Loop: Header=BB357_15 Depth=1
	v_cmp_ne_u16_sdwa s5, v27, v43 src0_sel:BYTE_0 src1_sel:DWORD
	v_bfrev_b32_e32 v15, 1
	s_and_saveexec_b32 s21, s5
	s_cbranch_execz .LBB357_1625
; %bb.1620:                             ;   in Loop: Header=BB357_15 Depth=1
	v_and_b32_e32 v4, 0x7f, v27
	v_mov_b32_e32 v15, 0x7f800001
	s_mov_b32 s22, exec_lo
	v_cmpx_ne_u32_e32 0x7f, v4
	s_cbranch_execz .LBB357_1624
; %bb.1621:                             ;   in Loop: Header=BB357_15 Depth=1
	v_mov_b32_e32 v30, v28
	v_lshrrev_b32_e32 v1, 3, v4
	v_mov_b32_e32 v29, v27
	s_mov_b32 s23, exec_lo
	v_cmpx_gt_u32_e32 8, v4
; %bb.1622:                             ;   in Loop: Header=BB357_15 Depth=1
	v_and_b32_e32 v1, 7, v27
	v_ffbh_u32_e32 v1, v1
	v_min_u32_e32 v1, 32, v1
	v_subrev_nc_u32_e32 v4, 28, v1
	v_sub_nc_u32_e32 v1, 29, v1
	v_lshlrev_b64 v[29:30], v4, v[27:28]
; %bb.1623:                             ;   in Loop: Header=BB357_15 Depth=1
	s_or_b32 exec_lo, exec_lo, s23
	v_lshlrev_b32_e32 v4, 20, v29
	v_lshlrev_b32_e32 v8, 24, v27
	v_lshl_add_u32 v1, v1, 23, 0x3c000000
	v_and_b32_e32 v4, 0x700000, v4
	v_and_b32_e32 v8, 0x80000000, v8
	v_or3_b32 v15, v4, v8, v1
.LBB357_1624:                           ;   in Loop: Header=BB357_15 Depth=1
	s_or_b32 exec_lo, exec_lo, s22
.LBB357_1625:                           ;   in Loop: Header=BB357_15 Depth=1
	s_or_b32 exec_lo, exec_lo, s21
.LBB357_1626:                           ;   in Loop: Header=BB357_15 Depth=1
	s_or_b32 exec_lo, exec_lo, s20
	v_cmp_ne_u16_sdwa s5, v27, v14 src0_sel:BYTE_1 src1_sel:DWORD
	s_and_saveexec_b32 s20, s5
	s_cbranch_execz .LBB357_1634
; %bb.1627:                             ;   in Loop: Header=BB357_15 Depth=1
	v_cmp_ne_u16_sdwa s5, v27, v43 src0_sel:BYTE_1 src1_sel:DWORD
	v_bfrev_b32_e32 v60, 1
	s_and_saveexec_b32 s21, s5
	s_cbranch_execz .LBB357_1633
; %bb.1628:                             ;   in Loop: Header=BB357_15 Depth=1
	v_mov_b32_e32 v1, 0xffff
	v_mov_b32_e32 v60, 0x7f800001
	s_mov_b32 s22, exec_lo
	v_and_b32_sdwa v1, v1, v27 dst_sel:DWORD dst_unused:UNUSED_PAD src0_sel:DWORD src1_sel:BYTE_1
	v_and_b32_e32 v4, 0x7f, v1
	v_cmpx_ne_u32_e32 0x7f, v4
	s_cbranch_execz .LBB357_1632
; %bb.1629:                             ;   in Loop: Header=BB357_15 Depth=1
	v_and_b32_e32 v13, 7, v1
	v_mov_b32_e32 v30, v14
	v_lshrrev_b32_e32 v1, 3, v4
	s_mov_b32 s23, exec_lo
	v_mov_b32_e32 v29, v13
	v_cmpx_gt_u32_e32 8, v4
; %bb.1630:                             ;   in Loop: Header=BB357_15 Depth=1
	v_ffbh_u32_e32 v1, v13
	v_min_u32_e32 v1, 32, v1
	v_subrev_nc_u32_e32 v4, 28, v1
	v_sub_nc_u32_e32 v1, 29, v1
	v_lshlrev_b64 v[29:30], v4, v[13:14]
	v_and_b32_e32 v29, 7, v29
; %bb.1631:                             ;   in Loop: Header=BB357_15 Depth=1
	s_or_b32 exec_lo, exec_lo, s23
	v_lshlrev_b32_e32 v4, 16, v27
	v_lshlrev_b32_e32 v8, 20, v29
	v_lshl_add_u32 v1, v1, 23, 0x3c000000
	v_and_b32_e32 v4, 0x80000000, v4
	v_or3_b32 v60, v8, v4, v1
.LBB357_1632:                           ;   in Loop: Header=BB357_15 Depth=1
	s_or_b32 exec_lo, exec_lo, s22
.LBB357_1633:                           ;   in Loop: Header=BB357_15 Depth=1
	s_or_b32 exec_lo, exec_lo, s21
.LBB357_1634:                           ;   in Loop: Header=BB357_15 Depth=1
	s_or_b32 exec_lo, exec_lo, s20
	v_and_b32_sdwa v1, v27, v93 dst_sel:DWORD dst_unused:UNUSED_PAD src0_sel:WORD_1 src1_sel:DWORD
	v_mov_b32_e32 v94, 0
	v_mov_b32_e32 v40, 0
	s_mov_b32 s20, exec_lo
	v_cmpx_ne_u16_e32 0, v1
	s_cbranch_execz .LBB357_1642
; %bb.1635:                             ;   in Loop: Header=BB357_15 Depth=1
	v_bfrev_b32_e32 v40, 1
	s_mov_b32 s21, exec_lo
	v_cmpx_ne_u16_e32 0x80, v1
	s_cbranch_execz .LBB357_1641
; %bb.1636:                             ;   in Loop: Header=BB357_15 Depth=1
	v_bfe_u32 v4, v27, 16, 7
	v_mov_b32_e32 v40, 0x7f800001
	s_mov_b32 s22, exec_lo
	v_cmpx_ne_u32_e32 0x7f, v4
	s_cbranch_execz .LBB357_1640
; %bb.1637:                             ;   in Loop: Header=BB357_15 Depth=1
	v_mov_b32_e32 v1, 7
	s_mov_b32 s23, exec_lo
	v_and_b32_sdwa v13, v27, v1 dst_sel:DWORD dst_unused:UNUSED_PAD src0_sel:WORD_1 src1_sel:DWORD
	v_mov_b32_e32 v30, v14
	v_lshrrev_b32_e32 v1, 3, v4
	v_mov_b32_e32 v29, v13
	v_cmpx_gt_u32_e32 8, v4
; %bb.1638:                             ;   in Loop: Header=BB357_15 Depth=1
	v_ffbh_u32_e32 v1, v13
	v_min_u32_e32 v1, 32, v1
	v_subrev_nc_u32_e32 v4, 28, v1
	v_sub_nc_u32_e32 v1, 29, v1
	v_lshlrev_b64 v[29:30], v4, v[13:14]
	v_and_b32_e32 v29, 7, v29
; %bb.1639:                             ;   in Loop: Header=BB357_15 Depth=1
	s_or_b32 exec_lo, exec_lo, s23
	v_mov_b32_e32 v4, 24
	v_lshlrev_b32_e32 v8, 20, v29
	v_lshl_add_u32 v1, v1, 23, 0x3c000000
	v_lshlrev_b32_sdwa v4, v4, v27 dst_sel:DWORD dst_unused:UNUSED_PAD src0_sel:DWORD src1_sel:WORD_1
	v_and_b32_e32 v4, 0x80000000, v4
	v_or3_b32 v40, v8, v4, v1
.LBB357_1640:                           ;   in Loop: Header=BB357_15 Depth=1
	s_or_b32 exec_lo, exec_lo, s22
.LBB357_1641:                           ;   in Loop: Header=BB357_15 Depth=1
	s_or_b32 exec_lo, exec_lo, s21
.LBB357_1642:                           ;   in Loop: Header=BB357_15 Depth=1
	s_or_b32 exec_lo, exec_lo, s20
	s_mov_b32 s20, exec_lo
	v_cmpx_lt_u32_e32 0xffffff, v27
	s_cbranch_execz .LBB357_1650
; %bb.1643:                             ;   in Loop: Header=BB357_15 Depth=1
	v_cmp_ne_u32_sdwa s5, v27, v43 src0_sel:BYTE_3 src1_sel:DWORD
	v_bfrev_b32_e32 v94, 1
	s_and_saveexec_b32 s21, s5
	s_cbranch_execz .LBB357_1649
; %bb.1644:                             ;   in Loop: Header=BB357_15 Depth=1
	v_bfe_u32 v4, v27, 24, 7
	v_mov_b32_e32 v94, 0x7f800001
	s_mov_b32 s22, exec_lo
	v_cmpx_ne_u32_e32 0x7f, v4
	s_cbranch_execz .LBB357_1648
; %bb.1645:                             ;   in Loop: Header=BB357_15 Depth=1
	v_mov_b32_e32 v1, 7
	s_mov_b32 s23, exec_lo
	v_and_b32_sdwa v13, v27, v1 dst_sel:DWORD dst_unused:UNUSED_PAD src0_sel:BYTE_3 src1_sel:DWORD
	v_mov_b32_e32 v30, v14
	v_lshrrev_b32_e32 v1, 3, v4
	v_mov_b32_e32 v29, v13
	v_cmpx_gt_u32_e32 8, v4
; %bb.1646:                             ;   in Loop: Header=BB357_15 Depth=1
	v_ffbh_u32_e32 v1, v13
	v_min_u32_e32 v1, 32, v1
	v_subrev_nc_u32_e32 v4, 28, v1
	v_sub_nc_u32_e32 v1, 29, v1
	v_lshlrev_b64 v[29:30], v4, v[13:14]
	v_and_b32_e32 v29, 7, v29
; %bb.1647:                             ;   in Loop: Header=BB357_15 Depth=1
	s_or_b32 exec_lo, exec_lo, s23
	v_mov_b32_e32 v4, 24
	v_lshlrev_b32_e32 v8, 20, v29
	v_lshl_add_u32 v1, v1, 23, 0x3c000000
	v_lshlrev_b32_sdwa v4, v4, v27 dst_sel:DWORD dst_unused:UNUSED_PAD src0_sel:DWORD src1_sel:BYTE_3
	v_and_b32_e32 v4, 0x80000000, v4
	v_or3_b32 v94, v8, v4, v1
.LBB357_1648:                           ;   in Loop: Header=BB357_15 Depth=1
	s_or_b32 exec_lo, exec_lo, s22
.LBB357_1649:                           ;   in Loop: Header=BB357_15 Depth=1
	s_or_b32 exec_lo, exec_lo, s21
.LBB357_1650:                           ;   in Loop: Header=BB357_15 Depth=1
	s_or_b32 exec_lo, exec_lo, s20
	v_mov_b32_e32 v13, v28
	v_cmp_ne_u16_sdwa s5, v28, v14 src0_sel:BYTE_0 src1_sel:DWORD
	v_mov_b32_e32 v59, 0
	v_mov_b32_e32 v19, 0
	s_and_saveexec_b32 s20, s5
	s_cbranch_execz .LBB357_1658
; %bb.1651:                             ;   in Loop: Header=BB357_15 Depth=1
	v_cmp_ne_u16_sdwa s5, v28, v43 src0_sel:BYTE_0 src1_sel:DWORD
	v_bfrev_b32_e32 v19, 1
	s_and_saveexec_b32 s21, s5
	s_cbranch_execz .LBB357_1657
; %bb.1652:                             ;   in Loop: Header=BB357_15 Depth=1
	v_and_b32_e32 v4, 0x7f, v28
	v_mov_b32_e32 v19, 0x7f800001
	s_mov_b32 s22, exec_lo
	v_cmpx_ne_u32_e32 0x7f, v4
	s_cbranch_execz .LBB357_1656
; %bb.1653:                             ;   in Loop: Header=BB357_15 Depth=1
	v_mov_b32_e32 v30, v14
	v_mov_b32_e32 v29, v13
	v_lshrrev_b32_e32 v1, 3, v4
	s_mov_b32 s23, exec_lo
	v_cmpx_gt_u32_e32 8, v4
; %bb.1654:                             ;   in Loop: Header=BB357_15 Depth=1
	v_and_b32_e32 v1, 7, v28
	v_ffbh_u32_e32 v1, v1
	v_min_u32_e32 v1, 32, v1
	v_subrev_nc_u32_e32 v4, 28, v1
	v_sub_nc_u32_e32 v1, 29, v1
	v_lshlrev_b64 v[29:30], v4, v[13:14]
; %bb.1655:                             ;   in Loop: Header=BB357_15 Depth=1
	s_or_b32 exec_lo, exec_lo, s23
	v_lshlrev_b32_e32 v4, 20, v29
	v_lshlrev_b32_e32 v8, 24, v13
	v_lshl_add_u32 v1, v1, 23, 0x3c000000
	v_and_b32_e32 v4, 0x700000, v4
	v_and_b32_e32 v8, 0x80000000, v8
	v_or3_b32 v19, v4, v8, v1
.LBB357_1656:                           ;   in Loop: Header=BB357_15 Depth=1
	s_or_b32 exec_lo, exec_lo, s22
.LBB357_1657:                           ;   in Loop: Header=BB357_15 Depth=1
	s_or_b32 exec_lo, exec_lo, s21
.LBB357_1658:                           ;   in Loop: Header=BB357_15 Depth=1
	s_or_b32 exec_lo, exec_lo, s20
	v_cmp_ne_u16_sdwa s5, v13, v14 src0_sel:BYTE_1 src1_sel:DWORD
	s_and_saveexec_b32 s20, s5
	s_cbranch_execz .LBB357_1666
; %bb.1659:                             ;   in Loop: Header=BB357_15 Depth=1
	v_cmp_ne_u16_sdwa s5, v13, v43 src0_sel:BYTE_1 src1_sel:DWORD
	v_bfrev_b32_e32 v59, 1
	s_and_saveexec_b32 s21, s5
	s_cbranch_execz .LBB357_1665
; %bb.1660:                             ;   in Loop: Header=BB357_15 Depth=1
	v_mov_b32_e32 v1, 0xffff
	v_mov_b32_e32 v59, 0x7f800001
	s_mov_b32 s22, exec_lo
	v_and_b32_sdwa v1, v1, v13 dst_sel:DWORD dst_unused:UNUSED_PAD src0_sel:DWORD src1_sel:BYTE_1
	v_and_b32_e32 v4, 0x7f, v1
	v_cmpx_ne_u32_e32 0x7f, v4
	s_cbranch_execz .LBB357_1664
; %bb.1661:                             ;   in Loop: Header=BB357_15 Depth=1
	v_and_b32_e32 v29, 7, v1
	v_mov_b32_e32 v30, v14
	v_lshrrev_b32_e32 v1, 3, v4
	s_mov_b32 s23, exec_lo
	v_cmpx_gt_u32_e32 8, v4
; %bb.1662:                             ;   in Loop: Header=BB357_15 Depth=1
	v_ffbh_u32_e32 v1, v29
	v_min_u32_e32 v1, 32, v1
	v_subrev_nc_u32_e32 v4, 28, v1
	v_sub_nc_u32_e32 v1, 29, v1
	v_lshlrev_b64 v[29:30], v4, v[29:30]
	v_and_b32_e32 v29, 7, v29
; %bb.1663:                             ;   in Loop: Header=BB357_15 Depth=1
	s_or_b32 exec_lo, exec_lo, s23
	v_lshlrev_b32_e32 v4, 16, v13
	v_lshlrev_b32_e32 v8, 20, v29
	v_lshl_add_u32 v1, v1, 23, 0x3c000000
	v_and_b32_e32 v4, 0x80000000, v4
	v_or3_b32 v59, v8, v4, v1
.LBB357_1664:                           ;   in Loop: Header=BB357_15 Depth=1
	s_or_b32 exec_lo, exec_lo, s22
.LBB357_1665:                           ;   in Loop: Header=BB357_15 Depth=1
	s_or_b32 exec_lo, exec_lo, s21
.LBB357_1666:                           ;   in Loop: Header=BB357_15 Depth=1
	s_or_b32 exec_lo, exec_lo, s20
	v_and_b32_sdwa v1, v28, v93 dst_sel:DWORD dst_unused:UNUSED_PAD src0_sel:WORD_1 src1_sel:DWORD
	v_mov_b32_e32 v61, 0
	v_mov_b32_e32 v4, 0
	s_mov_b32 s20, exec_lo
	v_cmpx_ne_u16_e32 0, v1
	s_cbranch_execz .LBB357_1674
; %bb.1667:                             ;   in Loop: Header=BB357_15 Depth=1
	v_bfrev_b32_e32 v4, 1
	s_mov_b32 s21, exec_lo
	v_cmpx_ne_u16_e32 0x80, v1
	s_cbranch_execz .LBB357_1673
; %bb.1668:                             ;   in Loop: Header=BB357_15 Depth=1
	v_bfe_u32 v8, v28, 16, 7
	v_mov_b32_e32 v4, 0x7f800001
	s_mov_b32 s22, exec_lo
	v_cmpx_ne_u32_e32 0x7f, v8
	s_cbranch_execz .LBB357_1672
; %bb.1669:                             ;   in Loop: Header=BB357_15 Depth=1
	v_mov_b32_e32 v1, 7
	s_mov_b32 s23, exec_lo
	v_and_b32_sdwa v13, v28, v1 dst_sel:DWORD dst_unused:UNUSED_PAD src0_sel:WORD_1 src1_sel:DWORD
	v_mov_b32_e32 v30, v14
	v_lshrrev_b32_e32 v1, 3, v8
	v_mov_b32_e32 v29, v13
	v_cmpx_gt_u32_e32 8, v8
; %bb.1670:                             ;   in Loop: Header=BB357_15 Depth=1
	v_ffbh_u32_e32 v1, v13
	v_min_u32_e32 v1, 32, v1
	v_subrev_nc_u32_e32 v4, 28, v1
	v_sub_nc_u32_e32 v1, 29, v1
	v_lshlrev_b64 v[29:30], v4, v[13:14]
	v_and_b32_e32 v29, 7, v29
; %bb.1671:                             ;   in Loop: Header=BB357_15 Depth=1
	s_or_b32 exec_lo, exec_lo, s23
	v_mov_b32_e32 v4, 24
	v_lshlrev_b32_e32 v8, 20, v29
	v_lshl_add_u32 v1, v1, 23, 0x3c000000
	v_lshlrev_b32_sdwa v4, v4, v28 dst_sel:DWORD dst_unused:UNUSED_PAD src0_sel:DWORD src1_sel:WORD_1
	v_and_b32_e32 v4, 0x80000000, v4
	v_or3_b32 v4, v8, v4, v1
.LBB357_1672:                           ;   in Loop: Header=BB357_15 Depth=1
	s_or_b32 exec_lo, exec_lo, s22
.LBB357_1673:                           ;   in Loop: Header=BB357_15 Depth=1
	s_or_b32 exec_lo, exec_lo, s21
.LBB357_1674:                           ;   in Loop: Header=BB357_15 Depth=1
	s_or_b32 exec_lo, exec_lo, s20
	s_mov_b32 s20, exec_lo
	v_cmpx_lt_u64_e64 s[12:13], v[27:28]
	s_cbranch_execz .LBB357_1682
; %bb.1675:                             ;   in Loop: Header=BB357_15 Depth=1
	v_cmp_ne_u32_sdwa s5, v28, v43 src0_sel:BYTE_3 src1_sel:DWORD
	v_bfrev_b32_e32 v61, 1
	s_and_saveexec_b32 s21, s5
	s_cbranch_execz .LBB357_1681
; %bb.1676:                             ;   in Loop: Header=BB357_15 Depth=1
	v_bfe_u32 v8, v28, 24, 7
	v_mov_b32_e32 v61, 0x7f800001
	s_mov_b32 s22, exec_lo
	v_cmpx_ne_u32_e32 0x7f, v8
	s_cbranch_execz .LBB357_1680
; %bb.1677:                             ;   in Loop: Header=BB357_15 Depth=1
	v_mov_b32_e32 v1, 7
	s_mov_b32 s23, exec_lo
	v_and_b32_sdwa v13, v28, v1 dst_sel:DWORD dst_unused:UNUSED_PAD src0_sel:BYTE_3 src1_sel:DWORD
	v_mov_b32_e32 v30, v14
	v_lshrrev_b32_e32 v1, 3, v8
	v_mov_b32_e32 v29, v13
	v_cmpx_gt_u32_e32 8, v8
; %bb.1678:                             ;   in Loop: Header=BB357_15 Depth=1
	v_ffbh_u32_e32 v1, v13
	v_min_u32_e32 v1, 32, v1
	v_subrev_nc_u32_e32 v8, 28, v1
	v_sub_nc_u32_e32 v1, 29, v1
	v_lshlrev_b64 v[29:30], v8, v[13:14]
	v_and_b32_e32 v29, 7, v29
; %bb.1679:                             ;   in Loop: Header=BB357_15 Depth=1
	s_or_b32 exec_lo, exec_lo, s23
	v_mov_b32_e32 v8, 24
	v_lshlrev_b32_e32 v13, 20, v29
	v_lshl_add_u32 v1, v1, 23, 0x3c000000
	v_lshlrev_b32_sdwa v8, v8, v28 dst_sel:DWORD dst_unused:UNUSED_PAD src0_sel:DWORD src1_sel:BYTE_3
	v_and_b32_e32 v8, 0x80000000, v8
	v_or3_b32 v61, v13, v8, v1
.LBB357_1680:                           ;   in Loop: Header=BB357_15 Depth=1
	s_or_b32 exec_lo, exec_lo, s22
.LBB357_1681:                           ;   in Loop: Header=BB357_15 Depth=1
	s_or_b32 exec_lo, exec_lo, s21
.LBB357_1682:                           ;   in Loop: Header=BB357_15 Depth=1
	s_or_b32 exec_lo, exec_lo, s20
	flat_load_dwordx2 v[27:28], v[24:25] offset:512
	v_mov_b32_e32 v116, 0
	v_mov_b32_e32 v57, 0
	s_waitcnt vmcnt(0) lgkmcnt(0)
	v_cmp_ne_u16_sdwa s5, v27, v14 src0_sel:BYTE_0 src1_sel:DWORD
	s_and_saveexec_b32 s20, s5
	s_cbranch_execz .LBB357_1690
; %bb.1683:                             ;   in Loop: Header=BB357_15 Depth=1
	v_cmp_ne_u16_sdwa s5, v27, v43 src0_sel:BYTE_0 src1_sel:DWORD
	v_bfrev_b32_e32 v57, 1
	s_and_saveexec_b32 s21, s5
	s_cbranch_execz .LBB357_1689
; %bb.1684:                             ;   in Loop: Header=BB357_15 Depth=1
	v_and_b32_e32 v8, 0x7f, v27
	v_mov_b32_e32 v57, 0x7f800001
	s_mov_b32 s22, exec_lo
	v_cmpx_ne_u32_e32 0x7f, v8
	s_cbranch_execz .LBB357_1688
; %bb.1685:                             ;   in Loop: Header=BB357_15 Depth=1
	v_mov_b32_e32 v30, v28
	v_lshrrev_b32_e32 v1, 3, v8
	v_mov_b32_e32 v29, v27
	s_mov_b32 s23, exec_lo
	v_cmpx_gt_u32_e32 8, v8
; %bb.1686:                             ;   in Loop: Header=BB357_15 Depth=1
	v_and_b32_e32 v1, 7, v27
	v_ffbh_u32_e32 v1, v1
	v_min_u32_e32 v1, 32, v1
	v_subrev_nc_u32_e32 v8, 28, v1
	v_sub_nc_u32_e32 v1, 29, v1
	v_lshlrev_b64 v[29:30], v8, v[27:28]
; %bb.1687:                             ;   in Loop: Header=BB357_15 Depth=1
	s_or_b32 exec_lo, exec_lo, s23
	v_lshlrev_b32_e32 v8, 20, v29
	v_lshlrev_b32_e32 v13, 24, v27
	v_lshl_add_u32 v1, v1, 23, 0x3c000000
	v_and_b32_e32 v8, 0x700000, v8
	v_and_b32_e32 v13, 0x80000000, v13
	v_or3_b32 v57, v8, v13, v1
.LBB357_1688:                           ;   in Loop: Header=BB357_15 Depth=1
	s_or_b32 exec_lo, exec_lo, s22
.LBB357_1689:                           ;   in Loop: Header=BB357_15 Depth=1
	s_or_b32 exec_lo, exec_lo, s21
.LBB357_1690:                           ;   in Loop: Header=BB357_15 Depth=1
	s_or_b32 exec_lo, exec_lo, s20
	v_cmp_ne_u16_sdwa s5, v27, v14 src0_sel:BYTE_1 src1_sel:DWORD
	s_and_saveexec_b32 s20, s5
	s_cbranch_execz .LBB357_1698
; %bb.1691:                             ;   in Loop: Header=BB357_15 Depth=1
	v_cmp_ne_u16_sdwa s5, v27, v43 src0_sel:BYTE_1 src1_sel:DWORD
	v_bfrev_b32_e32 v116, 1
	s_and_saveexec_b32 s21, s5
	s_cbranch_execz .LBB357_1697
; %bb.1692:                             ;   in Loop: Header=BB357_15 Depth=1
	v_mov_b32_e32 v1, 0xffff
	v_mov_b32_e32 v116, 0x7f800001
	s_mov_b32 s22, exec_lo
	v_and_b32_sdwa v1, v1, v27 dst_sel:DWORD dst_unused:UNUSED_PAD src0_sel:DWORD src1_sel:BYTE_1
	v_and_b32_e32 v8, 0x7f, v1
	v_cmpx_ne_u32_e32 0x7f, v8
	s_cbranch_execz .LBB357_1696
; %bb.1693:                             ;   in Loop: Header=BB357_15 Depth=1
	v_and_b32_e32 v13, 7, v1
	v_mov_b32_e32 v30, v14
	v_lshrrev_b32_e32 v1, 3, v8
	s_mov_b32 s23, exec_lo
	v_mov_b32_e32 v29, v13
	v_cmpx_gt_u32_e32 8, v8
; %bb.1694:                             ;   in Loop: Header=BB357_15 Depth=1
	v_ffbh_u32_e32 v1, v13
	v_min_u32_e32 v1, 32, v1
	v_subrev_nc_u32_e32 v8, 28, v1
	v_sub_nc_u32_e32 v1, 29, v1
	v_lshlrev_b64 v[29:30], v8, v[13:14]
	v_and_b32_e32 v29, 7, v29
; %bb.1695:                             ;   in Loop: Header=BB357_15 Depth=1
	s_or_b32 exec_lo, exec_lo, s23
	v_lshlrev_b32_e32 v8, 16, v27
	v_lshlrev_b32_e32 v13, 20, v29
	v_lshl_add_u32 v1, v1, 23, 0x3c000000
	v_and_b32_e32 v8, 0x80000000, v8
	v_or3_b32 v116, v13, v8, v1
.LBB357_1696:                           ;   in Loop: Header=BB357_15 Depth=1
	s_or_b32 exec_lo, exec_lo, s22
.LBB357_1697:                           ;   in Loop: Header=BB357_15 Depth=1
	s_or_b32 exec_lo, exec_lo, s21
.LBB357_1698:                           ;   in Loop: Header=BB357_15 Depth=1
	s_or_b32 exec_lo, exec_lo, s20
	v_and_b32_sdwa v1, v27, v93 dst_sel:DWORD dst_unused:UNUSED_PAD src0_sel:WORD_1 src1_sel:DWORD
	v_mov_b32_e32 v109, 0
	v_mov_b32_e32 v46, 0
	s_mov_b32 s20, exec_lo
	v_cmpx_ne_u16_e32 0, v1
	s_cbranch_execz .LBB357_1706
; %bb.1699:                             ;   in Loop: Header=BB357_15 Depth=1
	v_bfrev_b32_e32 v46, 1
	s_mov_b32 s21, exec_lo
	v_cmpx_ne_u16_e32 0x80, v1
	s_cbranch_execz .LBB357_1705
; %bb.1700:                             ;   in Loop: Header=BB357_15 Depth=1
	v_bfe_u32 v8, v27, 16, 7
	v_mov_b32_e32 v46, 0x7f800001
	s_mov_b32 s22, exec_lo
	v_cmpx_ne_u32_e32 0x7f, v8
	s_cbranch_execz .LBB357_1704
; %bb.1701:                             ;   in Loop: Header=BB357_15 Depth=1
	v_mov_b32_e32 v1, 7
	s_mov_b32 s23, exec_lo
	v_and_b32_sdwa v13, v27, v1 dst_sel:DWORD dst_unused:UNUSED_PAD src0_sel:WORD_1 src1_sel:DWORD
	v_mov_b32_e32 v30, v14
	v_lshrrev_b32_e32 v1, 3, v8
	v_mov_b32_e32 v29, v13
	v_cmpx_gt_u32_e32 8, v8
; %bb.1702:                             ;   in Loop: Header=BB357_15 Depth=1
	v_ffbh_u32_e32 v1, v13
	v_min_u32_e32 v1, 32, v1
	v_subrev_nc_u32_e32 v8, 28, v1
	v_sub_nc_u32_e32 v1, 29, v1
	v_lshlrev_b64 v[29:30], v8, v[13:14]
	v_and_b32_e32 v29, 7, v29
; %bb.1703:                             ;   in Loop: Header=BB357_15 Depth=1
	s_or_b32 exec_lo, exec_lo, s23
	v_mov_b32_e32 v8, 24
	v_lshlrev_b32_e32 v13, 20, v29
	v_lshl_add_u32 v1, v1, 23, 0x3c000000
	v_lshlrev_b32_sdwa v8, v8, v27 dst_sel:DWORD dst_unused:UNUSED_PAD src0_sel:DWORD src1_sel:WORD_1
	v_and_b32_e32 v8, 0x80000000, v8
	v_or3_b32 v46, v13, v8, v1
.LBB357_1704:                           ;   in Loop: Header=BB357_15 Depth=1
	s_or_b32 exec_lo, exec_lo, s22
.LBB357_1705:                           ;   in Loop: Header=BB357_15 Depth=1
	s_or_b32 exec_lo, exec_lo, s21
.LBB357_1706:                           ;   in Loop: Header=BB357_15 Depth=1
	s_or_b32 exec_lo, exec_lo, s20
	s_mov_b32 s20, exec_lo
	v_cmpx_lt_u32_e32 0xffffff, v27
	s_cbranch_execz .LBB357_1714
; %bb.1707:                             ;   in Loop: Header=BB357_15 Depth=1
	v_cmp_ne_u32_sdwa s5, v27, v43 src0_sel:BYTE_3 src1_sel:DWORD
	v_bfrev_b32_e32 v109, 1
	s_and_saveexec_b32 s21, s5
	s_cbranch_execz .LBB357_1713
; %bb.1708:                             ;   in Loop: Header=BB357_15 Depth=1
	v_bfe_u32 v8, v27, 24, 7
	v_mov_b32_e32 v109, 0x7f800001
	s_mov_b32 s22, exec_lo
	v_cmpx_ne_u32_e32 0x7f, v8
	s_cbranch_execz .LBB357_1712
; %bb.1709:                             ;   in Loop: Header=BB357_15 Depth=1
	v_mov_b32_e32 v1, 7
	s_mov_b32 s23, exec_lo
	v_and_b32_sdwa v13, v27, v1 dst_sel:DWORD dst_unused:UNUSED_PAD src0_sel:BYTE_3 src1_sel:DWORD
	v_mov_b32_e32 v30, v14
	v_lshrrev_b32_e32 v1, 3, v8
	v_mov_b32_e32 v29, v13
	v_cmpx_gt_u32_e32 8, v8
; %bb.1710:                             ;   in Loop: Header=BB357_15 Depth=1
	v_ffbh_u32_e32 v1, v13
	v_min_u32_e32 v1, 32, v1
	v_subrev_nc_u32_e32 v8, 28, v1
	v_sub_nc_u32_e32 v1, 29, v1
	v_lshlrev_b64 v[29:30], v8, v[13:14]
	v_and_b32_e32 v29, 7, v29
; %bb.1711:                             ;   in Loop: Header=BB357_15 Depth=1
	s_or_b32 exec_lo, exec_lo, s23
	v_mov_b32_e32 v8, 24
	v_lshlrev_b32_e32 v13, 20, v29
	v_lshl_add_u32 v1, v1, 23, 0x3c000000
	v_lshlrev_b32_sdwa v8, v8, v27 dst_sel:DWORD dst_unused:UNUSED_PAD src0_sel:DWORD src1_sel:BYTE_3
	v_and_b32_e32 v8, 0x80000000, v8
	v_or3_b32 v109, v13, v8, v1
.LBB357_1712:                           ;   in Loop: Header=BB357_15 Depth=1
	s_or_b32 exec_lo, exec_lo, s22
.LBB357_1713:                           ;   in Loop: Header=BB357_15 Depth=1
	s_or_b32 exec_lo, exec_lo, s21
.LBB357_1714:                           ;   in Loop: Header=BB357_15 Depth=1
	s_or_b32 exec_lo, exec_lo, s20
	v_mov_b32_e32 v13, v28
	v_cmp_ne_u16_sdwa s5, v28, v14 src0_sel:BYTE_0 src1_sel:DWORD
	v_mov_b32_e32 v55, 0
	v_mov_b32_e32 v50, 0
	s_and_saveexec_b32 s20, s5
	s_cbranch_execz .LBB357_1722
; %bb.1715:                             ;   in Loop: Header=BB357_15 Depth=1
	v_cmp_ne_u16_sdwa s5, v28, v43 src0_sel:BYTE_0 src1_sel:DWORD
	v_bfrev_b32_e32 v50, 1
	s_and_saveexec_b32 s21, s5
	s_cbranch_execz .LBB357_1721
; %bb.1716:                             ;   in Loop: Header=BB357_15 Depth=1
	v_and_b32_e32 v8, 0x7f, v28
	v_mov_b32_e32 v50, 0x7f800001
	s_mov_b32 s22, exec_lo
	v_cmpx_ne_u32_e32 0x7f, v8
	s_cbranch_execz .LBB357_1720
; %bb.1717:                             ;   in Loop: Header=BB357_15 Depth=1
	v_mov_b32_e32 v30, v14
	v_mov_b32_e32 v29, v13
	v_lshrrev_b32_e32 v1, 3, v8
	s_mov_b32 s23, exec_lo
	v_cmpx_gt_u32_e32 8, v8
; %bb.1718:                             ;   in Loop: Header=BB357_15 Depth=1
	v_and_b32_e32 v1, 7, v28
	v_ffbh_u32_e32 v1, v1
	v_min_u32_e32 v1, 32, v1
	v_subrev_nc_u32_e32 v8, 28, v1
	v_sub_nc_u32_e32 v1, 29, v1
	v_lshlrev_b64 v[29:30], v8, v[13:14]
; %bb.1719:                             ;   in Loop: Header=BB357_15 Depth=1
	s_or_b32 exec_lo, exec_lo, s23
	v_lshlrev_b32_e32 v8, 20, v29
	v_lshlrev_b32_e32 v16, 24, v13
	v_lshl_add_u32 v1, v1, 23, 0x3c000000
	v_and_b32_e32 v8, 0x700000, v8
	v_and_b32_e32 v16, 0x80000000, v16
	v_or3_b32 v50, v8, v16, v1
.LBB357_1720:                           ;   in Loop: Header=BB357_15 Depth=1
	s_or_b32 exec_lo, exec_lo, s22
.LBB357_1721:                           ;   in Loop: Header=BB357_15 Depth=1
	s_or_b32 exec_lo, exec_lo, s21
.LBB357_1722:                           ;   in Loop: Header=BB357_15 Depth=1
	s_or_b32 exec_lo, exec_lo, s20
	v_cmp_ne_u16_sdwa s5, v13, v14 src0_sel:BYTE_1 src1_sel:DWORD
	s_and_saveexec_b32 s20, s5
	s_cbranch_execz .LBB357_1730
; %bb.1723:                             ;   in Loop: Header=BB357_15 Depth=1
	v_cmp_ne_u16_sdwa s5, v13, v43 src0_sel:BYTE_1 src1_sel:DWORD
	v_bfrev_b32_e32 v55, 1
	s_and_saveexec_b32 s21, s5
	s_cbranch_execz .LBB357_1729
; %bb.1724:                             ;   in Loop: Header=BB357_15 Depth=1
	v_mov_b32_e32 v1, 0xffff
	v_mov_b32_e32 v55, 0x7f800001
	s_mov_b32 s22, exec_lo
	v_and_b32_sdwa v1, v1, v13 dst_sel:DWORD dst_unused:UNUSED_PAD src0_sel:DWORD src1_sel:BYTE_1
	v_and_b32_e32 v8, 0x7f, v1
	v_cmpx_ne_u32_e32 0x7f, v8
	s_cbranch_execz .LBB357_1728
; %bb.1725:                             ;   in Loop: Header=BB357_15 Depth=1
	v_and_b32_e32 v29, 7, v1
	v_mov_b32_e32 v30, v14
	v_lshrrev_b32_e32 v1, 3, v8
	s_mov_b32 s23, exec_lo
	v_cmpx_gt_u32_e32 8, v8
; %bb.1726:                             ;   in Loop: Header=BB357_15 Depth=1
	v_ffbh_u32_e32 v1, v29
	v_min_u32_e32 v1, 32, v1
	v_subrev_nc_u32_e32 v8, 28, v1
	v_sub_nc_u32_e32 v1, 29, v1
	v_lshlrev_b64 v[29:30], v8, v[29:30]
	v_and_b32_e32 v29, 7, v29
; %bb.1727:                             ;   in Loop: Header=BB357_15 Depth=1
	s_or_b32 exec_lo, exec_lo, s23
	v_lshlrev_b32_e32 v8, 16, v13
	v_lshlrev_b32_e32 v13, 20, v29
	v_lshl_add_u32 v1, v1, 23, 0x3c000000
	v_and_b32_e32 v8, 0x80000000, v8
	v_or3_b32 v55, v13, v8, v1
.LBB357_1728:                           ;   in Loop: Header=BB357_15 Depth=1
	s_or_b32 exec_lo, exec_lo, s22
.LBB357_1729:                           ;   in Loop: Header=BB357_15 Depth=1
	s_or_b32 exec_lo, exec_lo, s21
.LBB357_1730:                           ;   in Loop: Header=BB357_15 Depth=1
	s_or_b32 exec_lo, exec_lo, s20
	v_and_b32_sdwa v1, v28, v93 dst_sel:DWORD dst_unused:UNUSED_PAD src0_sel:WORD_1 src1_sel:DWORD
	v_mov_b32_e32 v47, 0
	v_mov_b32_e32 v117, 0
	s_mov_b32 s20, exec_lo
	v_cmpx_ne_u16_e32 0, v1
	s_cbranch_execz .LBB357_1738
; %bb.1731:                             ;   in Loop: Header=BB357_15 Depth=1
	v_bfrev_b32_e32 v117, 1
	s_mov_b32 s21, exec_lo
	v_cmpx_ne_u16_e32 0x80, v1
	s_cbranch_execz .LBB357_1737
; %bb.1732:                             ;   in Loop: Header=BB357_15 Depth=1
	v_bfe_u32 v8, v28, 16, 7
	v_mov_b32_e32 v117, 0x7f800001
	s_mov_b32 s22, exec_lo
	v_cmpx_ne_u32_e32 0x7f, v8
	s_cbranch_execz .LBB357_1736
; %bb.1733:                             ;   in Loop: Header=BB357_15 Depth=1
	v_mov_b32_e32 v1, 7
	s_mov_b32 s23, exec_lo
	v_and_b32_sdwa v13, v28, v1 dst_sel:DWORD dst_unused:UNUSED_PAD src0_sel:WORD_1 src1_sel:DWORD
	v_mov_b32_e32 v30, v14
	v_lshrrev_b32_e32 v1, 3, v8
	v_mov_b32_e32 v29, v13
	v_cmpx_gt_u32_e32 8, v8
; %bb.1734:                             ;   in Loop: Header=BB357_15 Depth=1
	v_ffbh_u32_e32 v1, v13
	v_min_u32_e32 v1, 32, v1
	v_subrev_nc_u32_e32 v8, 28, v1
	v_sub_nc_u32_e32 v1, 29, v1
	v_lshlrev_b64 v[29:30], v8, v[13:14]
	v_and_b32_e32 v29, 7, v29
; %bb.1735:                             ;   in Loop: Header=BB357_15 Depth=1
	s_or_b32 exec_lo, exec_lo, s23
	v_mov_b32_e32 v8, 24
	v_lshlrev_b32_e32 v13, 20, v29
	v_lshl_add_u32 v1, v1, 23, 0x3c000000
	v_lshlrev_b32_sdwa v8, v8, v28 dst_sel:DWORD dst_unused:UNUSED_PAD src0_sel:DWORD src1_sel:WORD_1
	v_and_b32_e32 v8, 0x80000000, v8
	v_or3_b32 v117, v13, v8, v1
.LBB357_1736:                           ;   in Loop: Header=BB357_15 Depth=1
	s_or_b32 exec_lo, exec_lo, s22
.LBB357_1737:                           ;   in Loop: Header=BB357_15 Depth=1
	s_or_b32 exec_lo, exec_lo, s21
.LBB357_1738:                           ;   in Loop: Header=BB357_15 Depth=1
	s_or_b32 exec_lo, exec_lo, s20
	s_mov_b32 s20, exec_lo
	v_cmpx_lt_u64_e64 s[12:13], v[27:28]
	s_cbranch_execz .LBB357_1746
; %bb.1739:                             ;   in Loop: Header=BB357_15 Depth=1
	v_cmp_ne_u32_sdwa s5, v28, v43 src0_sel:BYTE_3 src1_sel:DWORD
	v_bfrev_b32_e32 v47, 1
	s_and_saveexec_b32 s21, s5
	s_cbranch_execz .LBB357_1745
; %bb.1740:                             ;   in Loop: Header=BB357_15 Depth=1
	v_bfe_u32 v8, v28, 24, 7
	v_mov_b32_e32 v47, 0x7f800001
	s_mov_b32 s22, exec_lo
	v_cmpx_ne_u32_e32 0x7f, v8
	s_cbranch_execz .LBB357_1744
; %bb.1741:                             ;   in Loop: Header=BB357_15 Depth=1
	v_mov_b32_e32 v1, 7
	s_mov_b32 s23, exec_lo
	v_and_b32_sdwa v13, v28, v1 dst_sel:DWORD dst_unused:UNUSED_PAD src0_sel:BYTE_3 src1_sel:DWORD
	v_mov_b32_e32 v30, v14
	v_lshrrev_b32_e32 v1, 3, v8
	v_mov_b32_e32 v29, v13
	v_cmpx_gt_u32_e32 8, v8
; %bb.1742:                             ;   in Loop: Header=BB357_15 Depth=1
	v_ffbh_u32_e32 v1, v13
	v_min_u32_e32 v1, 32, v1
	v_subrev_nc_u32_e32 v8, 28, v1
	v_sub_nc_u32_e32 v1, 29, v1
	v_lshlrev_b64 v[29:30], v8, v[13:14]
	v_and_b32_e32 v29, 7, v29
; %bb.1743:                             ;   in Loop: Header=BB357_15 Depth=1
	s_or_b32 exec_lo, exec_lo, s23
	v_mov_b32_e32 v8, 24
	v_lshlrev_b32_e32 v13, 20, v29
	v_lshl_add_u32 v1, v1, 23, 0x3c000000
	v_lshlrev_b32_sdwa v8, v8, v28 dst_sel:DWORD dst_unused:UNUSED_PAD src0_sel:DWORD src1_sel:BYTE_3
	v_and_b32_e32 v8, 0x80000000, v8
	v_or3_b32 v47, v13, v8, v1
.LBB357_1744:                           ;   in Loop: Header=BB357_15 Depth=1
	s_or_b32 exec_lo, exec_lo, s22
.LBB357_1745:                           ;   in Loop: Header=BB357_15 Depth=1
	s_or_b32 exec_lo, exec_lo, s21
.LBB357_1746:                           ;   in Loop: Header=BB357_15 Depth=1
	s_or_b32 exec_lo, exec_lo, s20
	flat_load_dwordx2 v[27:28], v[24:25] offset:520
	v_mov_b32_e32 v112, 0
	v_mov_b32_e32 v33, 0
	s_waitcnt vmcnt(0) lgkmcnt(0)
	v_cmp_ne_u16_sdwa s5, v27, v14 src0_sel:BYTE_0 src1_sel:DWORD
	s_and_saveexec_b32 s20, s5
	s_cbranch_execz .LBB357_1754
; %bb.1747:                             ;   in Loop: Header=BB357_15 Depth=1
	v_cmp_ne_u16_sdwa s5, v27, v43 src0_sel:BYTE_0 src1_sel:DWORD
	v_bfrev_b32_e32 v33, 1
	s_and_saveexec_b32 s21, s5
	s_cbranch_execz .LBB357_1753
; %bb.1748:                             ;   in Loop: Header=BB357_15 Depth=1
	v_and_b32_e32 v8, 0x7f, v27
	v_mov_b32_e32 v33, 0x7f800001
	s_mov_b32 s22, exec_lo
	v_cmpx_ne_u32_e32 0x7f, v8
	s_cbranch_execz .LBB357_1752
; %bb.1749:                             ;   in Loop: Header=BB357_15 Depth=1
	v_mov_b32_e32 v30, v28
	v_lshrrev_b32_e32 v1, 3, v8
	v_mov_b32_e32 v29, v27
	s_mov_b32 s23, exec_lo
	v_cmpx_gt_u32_e32 8, v8
; %bb.1750:                             ;   in Loop: Header=BB357_15 Depth=1
	v_and_b32_e32 v1, 7, v27
	v_ffbh_u32_e32 v1, v1
	v_min_u32_e32 v1, 32, v1
	v_subrev_nc_u32_e32 v8, 28, v1
	v_sub_nc_u32_e32 v1, 29, v1
	v_lshlrev_b64 v[29:30], v8, v[27:28]
; %bb.1751:                             ;   in Loop: Header=BB357_15 Depth=1
	s_or_b32 exec_lo, exec_lo, s23
	v_lshlrev_b32_e32 v8, 20, v29
	v_lshlrev_b32_e32 v13, 24, v27
	v_lshl_add_u32 v1, v1, 23, 0x3c000000
	v_and_b32_e32 v8, 0x700000, v8
	v_and_b32_e32 v13, 0x80000000, v13
	v_or3_b32 v33, v8, v13, v1
.LBB357_1752:                           ;   in Loop: Header=BB357_15 Depth=1
	s_or_b32 exec_lo, exec_lo, s22
.LBB357_1753:                           ;   in Loop: Header=BB357_15 Depth=1
	s_or_b32 exec_lo, exec_lo, s21
.LBB357_1754:                           ;   in Loop: Header=BB357_15 Depth=1
	s_or_b32 exec_lo, exec_lo, s20
	v_cmp_ne_u16_sdwa s5, v27, v14 src0_sel:BYTE_1 src1_sel:DWORD
	s_and_saveexec_b32 s20, s5
	s_cbranch_execz .LBB357_1762
; %bb.1755:                             ;   in Loop: Header=BB357_15 Depth=1
	v_cmp_ne_u16_sdwa s5, v27, v43 src0_sel:BYTE_1 src1_sel:DWORD
	v_bfrev_b32_e32 v112, 1
	s_and_saveexec_b32 s21, s5
	s_cbranch_execz .LBB357_1761
; %bb.1756:                             ;   in Loop: Header=BB357_15 Depth=1
	v_mov_b32_e32 v1, 0xffff
	v_mov_b32_e32 v112, 0x7f800001
	s_mov_b32 s22, exec_lo
	v_and_b32_sdwa v1, v1, v27 dst_sel:DWORD dst_unused:UNUSED_PAD src0_sel:DWORD src1_sel:BYTE_1
	v_and_b32_e32 v8, 0x7f, v1
	v_cmpx_ne_u32_e32 0x7f, v8
	s_cbranch_execz .LBB357_1760
; %bb.1757:                             ;   in Loop: Header=BB357_15 Depth=1
	v_and_b32_e32 v13, 7, v1
	v_mov_b32_e32 v30, v14
	v_lshrrev_b32_e32 v1, 3, v8
	s_mov_b32 s23, exec_lo
	v_mov_b32_e32 v29, v13
	v_cmpx_gt_u32_e32 8, v8
; %bb.1758:                             ;   in Loop: Header=BB357_15 Depth=1
	v_ffbh_u32_e32 v1, v13
	v_min_u32_e32 v1, 32, v1
	v_subrev_nc_u32_e32 v8, 28, v1
	v_sub_nc_u32_e32 v1, 29, v1
	v_lshlrev_b64 v[29:30], v8, v[13:14]
	v_and_b32_e32 v29, 7, v29
; %bb.1759:                             ;   in Loop: Header=BB357_15 Depth=1
	s_or_b32 exec_lo, exec_lo, s23
	v_lshlrev_b32_e32 v8, 16, v27
	v_lshlrev_b32_e32 v13, 20, v29
	v_lshl_add_u32 v1, v1, 23, 0x3c000000
	v_and_b32_e32 v8, 0x80000000, v8
	v_or3_b32 v112, v13, v8, v1
.LBB357_1760:                           ;   in Loop: Header=BB357_15 Depth=1
	s_or_b32 exec_lo, exec_lo, s22
.LBB357_1761:                           ;   in Loop: Header=BB357_15 Depth=1
	s_or_b32 exec_lo, exec_lo, s21
.LBB357_1762:                           ;   in Loop: Header=BB357_15 Depth=1
	s_or_b32 exec_lo, exec_lo, s20
	v_and_b32_sdwa v1, v27, v93 dst_sel:DWORD dst_unused:UNUSED_PAD src0_sel:WORD_1 src1_sel:DWORD
	v_mov_b32_e32 v58, 0
	v_mov_b32_e32 v54, 0
	s_mov_b32 s20, exec_lo
	v_cmpx_ne_u16_e32 0, v1
	s_cbranch_execz .LBB357_1770
; %bb.1763:                             ;   in Loop: Header=BB357_15 Depth=1
	v_bfrev_b32_e32 v54, 1
	s_mov_b32 s21, exec_lo
	v_cmpx_ne_u16_e32 0x80, v1
	s_cbranch_execz .LBB357_1769
; %bb.1764:                             ;   in Loop: Header=BB357_15 Depth=1
	v_bfe_u32 v8, v27, 16, 7
	v_mov_b32_e32 v54, 0x7f800001
	s_mov_b32 s22, exec_lo
	v_cmpx_ne_u32_e32 0x7f, v8
	s_cbranch_execz .LBB357_1768
; %bb.1765:                             ;   in Loop: Header=BB357_15 Depth=1
	v_mov_b32_e32 v1, 7
	s_mov_b32 s23, exec_lo
	v_and_b32_sdwa v13, v27, v1 dst_sel:DWORD dst_unused:UNUSED_PAD src0_sel:WORD_1 src1_sel:DWORD
	v_mov_b32_e32 v30, v14
	v_lshrrev_b32_e32 v1, 3, v8
	v_mov_b32_e32 v29, v13
	v_cmpx_gt_u32_e32 8, v8
; %bb.1766:                             ;   in Loop: Header=BB357_15 Depth=1
	v_ffbh_u32_e32 v1, v13
	v_min_u32_e32 v1, 32, v1
	v_subrev_nc_u32_e32 v8, 28, v1
	v_sub_nc_u32_e32 v1, 29, v1
	v_lshlrev_b64 v[29:30], v8, v[13:14]
	v_and_b32_e32 v29, 7, v29
; %bb.1767:                             ;   in Loop: Header=BB357_15 Depth=1
	s_or_b32 exec_lo, exec_lo, s23
	v_mov_b32_e32 v8, 24
	v_lshlrev_b32_e32 v13, 20, v29
	v_lshl_add_u32 v1, v1, 23, 0x3c000000
	v_lshlrev_b32_sdwa v8, v8, v27 dst_sel:DWORD dst_unused:UNUSED_PAD src0_sel:DWORD src1_sel:WORD_1
	v_and_b32_e32 v8, 0x80000000, v8
	v_or3_b32 v54, v13, v8, v1
.LBB357_1768:                           ;   in Loop: Header=BB357_15 Depth=1
	s_or_b32 exec_lo, exec_lo, s22
.LBB357_1769:                           ;   in Loop: Header=BB357_15 Depth=1
	s_or_b32 exec_lo, exec_lo, s21
.LBB357_1770:                           ;   in Loop: Header=BB357_15 Depth=1
	s_or_b32 exec_lo, exec_lo, s20
	s_mov_b32 s20, exec_lo
	v_cmpx_lt_u32_e32 0xffffff, v27
	s_cbranch_execz .LBB357_1778
; %bb.1771:                             ;   in Loop: Header=BB357_15 Depth=1
	v_cmp_ne_u32_sdwa s5, v27, v43 src0_sel:BYTE_3 src1_sel:DWORD
	v_bfrev_b32_e32 v58, 1
	s_and_saveexec_b32 s21, s5
	s_cbranch_execz .LBB357_1777
; %bb.1772:                             ;   in Loop: Header=BB357_15 Depth=1
	v_bfe_u32 v8, v27, 24, 7
	v_mov_b32_e32 v58, 0x7f800001
	s_mov_b32 s22, exec_lo
	v_cmpx_ne_u32_e32 0x7f, v8
	s_cbranch_execz .LBB357_1776
; %bb.1773:                             ;   in Loop: Header=BB357_15 Depth=1
	v_mov_b32_e32 v1, 7
	s_mov_b32 s23, exec_lo
	v_and_b32_sdwa v13, v27, v1 dst_sel:DWORD dst_unused:UNUSED_PAD src0_sel:BYTE_3 src1_sel:DWORD
	v_mov_b32_e32 v30, v14
	v_lshrrev_b32_e32 v1, 3, v8
	v_mov_b32_e32 v29, v13
	v_cmpx_gt_u32_e32 8, v8
; %bb.1774:                             ;   in Loop: Header=BB357_15 Depth=1
	v_ffbh_u32_e32 v1, v13
	v_min_u32_e32 v1, 32, v1
	v_subrev_nc_u32_e32 v8, 28, v1
	v_sub_nc_u32_e32 v1, 29, v1
	v_lshlrev_b64 v[29:30], v8, v[13:14]
	v_and_b32_e32 v29, 7, v29
; %bb.1775:                             ;   in Loop: Header=BB357_15 Depth=1
	s_or_b32 exec_lo, exec_lo, s23
	v_mov_b32_e32 v8, 24
	v_lshlrev_b32_e32 v13, 20, v29
	v_lshl_add_u32 v1, v1, 23, 0x3c000000
	v_lshlrev_b32_sdwa v8, v8, v27 dst_sel:DWORD dst_unused:UNUSED_PAD src0_sel:DWORD src1_sel:BYTE_3
	v_and_b32_e32 v8, 0x80000000, v8
	v_or3_b32 v58, v13, v8, v1
.LBB357_1776:                           ;   in Loop: Header=BB357_15 Depth=1
	s_or_b32 exec_lo, exec_lo, s22
.LBB357_1777:                           ;   in Loop: Header=BB357_15 Depth=1
	s_or_b32 exec_lo, exec_lo, s21
.LBB357_1778:                           ;   in Loop: Header=BB357_15 Depth=1
	s_or_b32 exec_lo, exec_lo, s20
	v_mov_b32_e32 v13, v28
	v_cmp_ne_u16_sdwa s5, v28, v14 src0_sel:BYTE_0 src1_sel:DWORD
	v_mov_b32_e32 v80, 0
	v_mov_b32_e32 v81, 0
	s_and_saveexec_b32 s20, s5
	s_cbranch_execz .LBB357_1786
; %bb.1779:                             ;   in Loop: Header=BB357_15 Depth=1
	v_cmp_ne_u16_sdwa s5, v28, v43 src0_sel:BYTE_0 src1_sel:DWORD
	v_bfrev_b32_e32 v81, 1
	s_and_saveexec_b32 s21, s5
	s_cbranch_execz .LBB357_1785
; %bb.1780:                             ;   in Loop: Header=BB357_15 Depth=1
	v_and_b32_e32 v8, 0x7f, v28
	v_mov_b32_e32 v81, 0x7f800001
	s_mov_b32 s22, exec_lo
	v_cmpx_ne_u32_e32 0x7f, v8
	s_cbranch_execz .LBB357_1784
; %bb.1781:                             ;   in Loop: Header=BB357_15 Depth=1
	v_mov_b32_e32 v30, v14
	v_mov_b32_e32 v29, v13
	v_lshrrev_b32_e32 v1, 3, v8
	s_mov_b32 s23, exec_lo
	v_cmpx_gt_u32_e32 8, v8
; %bb.1782:                             ;   in Loop: Header=BB357_15 Depth=1
	v_and_b32_e32 v1, 7, v28
	v_ffbh_u32_e32 v1, v1
	v_min_u32_e32 v1, 32, v1
	v_subrev_nc_u32_e32 v8, 28, v1
	v_sub_nc_u32_e32 v1, 29, v1
	v_lshlrev_b64 v[29:30], v8, v[13:14]
; %bb.1783:                             ;   in Loop: Header=BB357_15 Depth=1
	s_or_b32 exec_lo, exec_lo, s23
	v_lshlrev_b32_e32 v8, 20, v29
	v_lshlrev_b32_e32 v16, 24, v13
	v_lshl_add_u32 v1, v1, 23, 0x3c000000
	v_and_b32_e32 v8, 0x700000, v8
	v_and_b32_e32 v16, 0x80000000, v16
	v_or3_b32 v81, v8, v16, v1
.LBB357_1784:                           ;   in Loop: Header=BB357_15 Depth=1
	s_or_b32 exec_lo, exec_lo, s22
.LBB357_1785:                           ;   in Loop: Header=BB357_15 Depth=1
	s_or_b32 exec_lo, exec_lo, s21
.LBB357_1786:                           ;   in Loop: Header=BB357_15 Depth=1
	s_or_b32 exec_lo, exec_lo, s20
	v_cmp_ne_u16_sdwa s5, v13, v14 src0_sel:BYTE_1 src1_sel:DWORD
	s_and_saveexec_b32 s20, s5
	s_cbranch_execz .LBB357_1794
; %bb.1787:                             ;   in Loop: Header=BB357_15 Depth=1
	v_cmp_ne_u16_sdwa s5, v13, v43 src0_sel:BYTE_1 src1_sel:DWORD
	v_bfrev_b32_e32 v80, 1
	s_and_saveexec_b32 s21, s5
	s_cbranch_execz .LBB357_1793
; %bb.1788:                             ;   in Loop: Header=BB357_15 Depth=1
	v_mov_b32_e32 v1, 0xffff
	v_mov_b32_e32 v80, 0x7f800001
	s_mov_b32 s22, exec_lo
	v_and_b32_sdwa v1, v1, v13 dst_sel:DWORD dst_unused:UNUSED_PAD src0_sel:DWORD src1_sel:BYTE_1
	v_and_b32_e32 v8, 0x7f, v1
	v_cmpx_ne_u32_e32 0x7f, v8
	s_cbranch_execz .LBB357_1792
; %bb.1789:                             ;   in Loop: Header=BB357_15 Depth=1
	v_and_b32_e32 v29, 7, v1
	v_mov_b32_e32 v30, v14
	v_lshrrev_b32_e32 v1, 3, v8
	s_mov_b32 s23, exec_lo
	v_cmpx_gt_u32_e32 8, v8
; %bb.1790:                             ;   in Loop: Header=BB357_15 Depth=1
	v_ffbh_u32_e32 v1, v29
	v_min_u32_e32 v1, 32, v1
	v_subrev_nc_u32_e32 v8, 28, v1
	v_sub_nc_u32_e32 v1, 29, v1
	v_lshlrev_b64 v[29:30], v8, v[29:30]
	v_and_b32_e32 v29, 7, v29
; %bb.1791:                             ;   in Loop: Header=BB357_15 Depth=1
	s_or_b32 exec_lo, exec_lo, s23
	v_lshlrev_b32_e32 v8, 16, v13
	v_lshlrev_b32_e32 v13, 20, v29
	v_lshl_add_u32 v1, v1, 23, 0x3c000000
	v_and_b32_e32 v8, 0x80000000, v8
	v_or3_b32 v80, v13, v8, v1
.LBB357_1792:                           ;   in Loop: Header=BB357_15 Depth=1
	s_or_b32 exec_lo, exec_lo, s22
.LBB357_1793:                           ;   in Loop: Header=BB357_15 Depth=1
	s_or_b32 exec_lo, exec_lo, s21
.LBB357_1794:                           ;   in Loop: Header=BB357_15 Depth=1
	s_or_b32 exec_lo, exec_lo, s20
	v_and_b32_sdwa v1, v28, v93 dst_sel:DWORD dst_unused:UNUSED_PAD src0_sel:WORD_1 src1_sel:DWORD
	v_mov_b32_e32 v67, 0
	v_mov_b32_e32 v79, 0
	s_mov_b32 s20, exec_lo
	v_cmpx_ne_u16_e32 0, v1
	s_cbranch_execz .LBB357_1802
; %bb.1795:                             ;   in Loop: Header=BB357_15 Depth=1
	v_bfrev_b32_e32 v79, 1
	s_mov_b32 s21, exec_lo
	v_cmpx_ne_u16_e32 0x80, v1
	s_cbranch_execz .LBB357_1801
; %bb.1796:                             ;   in Loop: Header=BB357_15 Depth=1
	v_bfe_u32 v8, v28, 16, 7
	v_mov_b32_e32 v79, 0x7f800001
	s_mov_b32 s22, exec_lo
	v_cmpx_ne_u32_e32 0x7f, v8
	s_cbranch_execz .LBB357_1800
; %bb.1797:                             ;   in Loop: Header=BB357_15 Depth=1
	v_mov_b32_e32 v1, 7
	s_mov_b32 s23, exec_lo
	v_and_b32_sdwa v13, v28, v1 dst_sel:DWORD dst_unused:UNUSED_PAD src0_sel:WORD_1 src1_sel:DWORD
	v_mov_b32_e32 v30, v14
	v_lshrrev_b32_e32 v1, 3, v8
	v_mov_b32_e32 v29, v13
	v_cmpx_gt_u32_e32 8, v8
; %bb.1798:                             ;   in Loop: Header=BB357_15 Depth=1
	v_ffbh_u32_e32 v1, v13
	v_min_u32_e32 v1, 32, v1
	v_subrev_nc_u32_e32 v8, 28, v1
	v_sub_nc_u32_e32 v1, 29, v1
	v_lshlrev_b64 v[29:30], v8, v[13:14]
	v_and_b32_e32 v29, 7, v29
; %bb.1799:                             ;   in Loop: Header=BB357_15 Depth=1
	s_or_b32 exec_lo, exec_lo, s23
	v_mov_b32_e32 v8, 24
	v_lshlrev_b32_e32 v13, 20, v29
	v_lshl_add_u32 v1, v1, 23, 0x3c000000
	v_lshlrev_b32_sdwa v8, v8, v28 dst_sel:DWORD dst_unused:UNUSED_PAD src0_sel:DWORD src1_sel:WORD_1
	v_and_b32_e32 v8, 0x80000000, v8
	v_or3_b32 v79, v13, v8, v1
.LBB357_1800:                           ;   in Loop: Header=BB357_15 Depth=1
	s_or_b32 exec_lo, exec_lo, s22
.LBB357_1801:                           ;   in Loop: Header=BB357_15 Depth=1
	s_or_b32 exec_lo, exec_lo, s21
.LBB357_1802:                           ;   in Loop: Header=BB357_15 Depth=1
	s_or_b32 exec_lo, exec_lo, s20
	s_mov_b32 s20, exec_lo
	v_cmpx_lt_u64_e64 s[12:13], v[27:28]
	s_cbranch_execz .LBB357_1810
; %bb.1803:                             ;   in Loop: Header=BB357_15 Depth=1
	v_cmp_ne_u32_sdwa s5, v28, v43 src0_sel:BYTE_3 src1_sel:DWORD
	v_bfrev_b32_e32 v67, 1
	s_and_saveexec_b32 s21, s5
	s_cbranch_execz .LBB357_1809
; %bb.1804:                             ;   in Loop: Header=BB357_15 Depth=1
	v_bfe_u32 v8, v28, 24, 7
	v_mov_b32_e32 v67, 0x7f800001
	s_mov_b32 s22, exec_lo
	v_cmpx_ne_u32_e32 0x7f, v8
	s_cbranch_execz .LBB357_1808
; %bb.1805:                             ;   in Loop: Header=BB357_15 Depth=1
	v_mov_b32_e32 v1, 7
	s_mov_b32 s23, exec_lo
	v_and_b32_sdwa v13, v28, v1 dst_sel:DWORD dst_unused:UNUSED_PAD src0_sel:BYTE_3 src1_sel:DWORD
	v_mov_b32_e32 v30, v14
	v_lshrrev_b32_e32 v1, 3, v8
	v_mov_b32_e32 v29, v13
	v_cmpx_gt_u32_e32 8, v8
; %bb.1806:                             ;   in Loop: Header=BB357_15 Depth=1
	v_ffbh_u32_e32 v1, v13
	v_min_u32_e32 v1, 32, v1
	v_subrev_nc_u32_e32 v8, 28, v1
	v_sub_nc_u32_e32 v1, 29, v1
	v_lshlrev_b64 v[29:30], v8, v[13:14]
	v_and_b32_e32 v29, 7, v29
; %bb.1807:                             ;   in Loop: Header=BB357_15 Depth=1
	s_or_b32 exec_lo, exec_lo, s23
	v_mov_b32_e32 v8, 24
	v_lshlrev_b32_e32 v13, 20, v29
	v_lshl_add_u32 v1, v1, 23, 0x3c000000
	v_lshlrev_b32_sdwa v8, v8, v28 dst_sel:DWORD dst_unused:UNUSED_PAD src0_sel:DWORD src1_sel:BYTE_3
	v_and_b32_e32 v8, 0x80000000, v8
	v_or3_b32 v67, v13, v8, v1
.LBB357_1808:                           ;   in Loop: Header=BB357_15 Depth=1
	s_or_b32 exec_lo, exec_lo, s22
.LBB357_1809:                           ;   in Loop: Header=BB357_15 Depth=1
	s_or_b32 exec_lo, exec_lo, s21
.LBB357_1810:                           ;   in Loop: Header=BB357_15 Depth=1
	s_or_b32 exec_lo, exec_lo, s20
	flat_load_dwordx2 v[27:28], v[24:25] offset:1024
	v_mov_b32_e32 v23, 0
	v_mov_b32_e32 v16, 0
	s_waitcnt vmcnt(0) lgkmcnt(0)
	v_cmp_ne_u16_sdwa s5, v27, v14 src0_sel:BYTE_0 src1_sel:DWORD
	s_and_saveexec_b32 s20, s5
	s_cbranch_execz .LBB357_1818
; %bb.1811:                             ;   in Loop: Header=BB357_15 Depth=1
	v_cmp_ne_u16_sdwa s5, v27, v43 src0_sel:BYTE_0 src1_sel:DWORD
	v_bfrev_b32_e32 v16, 1
	s_and_saveexec_b32 s21, s5
	s_cbranch_execz .LBB357_1817
; %bb.1812:                             ;   in Loop: Header=BB357_15 Depth=1
	v_and_b32_e32 v8, 0x7f, v27
	v_mov_b32_e32 v16, 0x7f800001
	s_mov_b32 s22, exec_lo
	v_cmpx_ne_u32_e32 0x7f, v8
	s_cbranch_execz .LBB357_1816
; %bb.1813:                             ;   in Loop: Header=BB357_15 Depth=1
	v_mov_b32_e32 v30, v28
	v_lshrrev_b32_e32 v1, 3, v8
	v_mov_b32_e32 v29, v27
	s_mov_b32 s23, exec_lo
	v_cmpx_gt_u32_e32 8, v8
; %bb.1814:                             ;   in Loop: Header=BB357_15 Depth=1
	v_and_b32_e32 v1, 7, v27
	v_ffbh_u32_e32 v1, v1
	v_min_u32_e32 v1, 32, v1
	v_subrev_nc_u32_e32 v8, 28, v1
	v_sub_nc_u32_e32 v1, 29, v1
	v_lshlrev_b64 v[29:30], v8, v[27:28]
; %bb.1815:                             ;   in Loop: Header=BB357_15 Depth=1
	s_or_b32 exec_lo, exec_lo, s23
	v_lshlrev_b32_e32 v8, 20, v29
	v_lshlrev_b32_e32 v13, 24, v27
	v_lshl_add_u32 v1, v1, 23, 0x3c000000
	v_and_b32_e32 v8, 0x700000, v8
	v_and_b32_e32 v13, 0x80000000, v13
	v_or3_b32 v16, v8, v13, v1
.LBB357_1816:                           ;   in Loop: Header=BB357_15 Depth=1
	s_or_b32 exec_lo, exec_lo, s22
.LBB357_1817:                           ;   in Loop: Header=BB357_15 Depth=1
	s_or_b32 exec_lo, exec_lo, s21
.LBB357_1818:                           ;   in Loop: Header=BB357_15 Depth=1
	s_or_b32 exec_lo, exec_lo, s20
	v_cmp_ne_u16_sdwa s5, v27, v14 src0_sel:BYTE_1 src1_sel:DWORD
	s_and_saveexec_b32 s20, s5
	s_cbranch_execz .LBB357_1826
; %bb.1819:                             ;   in Loop: Header=BB357_15 Depth=1
	v_cmp_ne_u16_sdwa s5, v27, v43 src0_sel:BYTE_1 src1_sel:DWORD
	v_bfrev_b32_e32 v23, 1
	s_and_saveexec_b32 s21, s5
	s_cbranch_execz .LBB357_1825
; %bb.1820:                             ;   in Loop: Header=BB357_15 Depth=1
	v_mov_b32_e32 v1, 0xffff
	v_mov_b32_e32 v23, 0x7f800001
	s_mov_b32 s22, exec_lo
	v_and_b32_sdwa v1, v1, v27 dst_sel:DWORD dst_unused:UNUSED_PAD src0_sel:DWORD src1_sel:BYTE_1
	v_and_b32_e32 v8, 0x7f, v1
	v_cmpx_ne_u32_e32 0x7f, v8
	s_cbranch_execz .LBB357_1824
; %bb.1821:                             ;   in Loop: Header=BB357_15 Depth=1
	v_and_b32_e32 v13, 7, v1
	v_mov_b32_e32 v30, v14
	v_lshrrev_b32_e32 v1, 3, v8
	s_mov_b32 s23, exec_lo
	v_mov_b32_e32 v29, v13
	v_cmpx_gt_u32_e32 8, v8
; %bb.1822:                             ;   in Loop: Header=BB357_15 Depth=1
	v_ffbh_u32_e32 v1, v13
	v_min_u32_e32 v1, 32, v1
	v_subrev_nc_u32_e32 v8, 28, v1
	v_sub_nc_u32_e32 v1, 29, v1
	v_lshlrev_b64 v[29:30], v8, v[13:14]
	v_and_b32_e32 v29, 7, v29
; %bb.1823:                             ;   in Loop: Header=BB357_15 Depth=1
	s_or_b32 exec_lo, exec_lo, s23
	v_lshlrev_b32_e32 v8, 16, v27
	v_lshlrev_b32_e32 v13, 20, v29
	v_lshl_add_u32 v1, v1, 23, 0x3c000000
	v_and_b32_e32 v8, 0x80000000, v8
	v_or3_b32 v23, v13, v8, v1
.LBB357_1824:                           ;   in Loop: Header=BB357_15 Depth=1
	s_or_b32 exec_lo, exec_lo, s22
.LBB357_1825:                           ;   in Loop: Header=BB357_15 Depth=1
	s_or_b32 exec_lo, exec_lo, s21
.LBB357_1826:                           ;   in Loop: Header=BB357_15 Depth=1
	s_or_b32 exec_lo, exec_lo, s20
	v_and_b32_sdwa v8, v27, v93 dst_sel:DWORD dst_unused:UNUSED_PAD src0_sel:WORD_1 src1_sel:DWORD
	v_mov_b32_e32 v119, 0
	v_mov_b32_e32 v1, 0
	s_mov_b32 s20, exec_lo
	v_cmpx_ne_u16_e32 0, v8
	s_cbranch_execz .LBB357_1834
; %bb.1827:                             ;   in Loop: Header=BB357_15 Depth=1
	v_bfrev_b32_e32 v1, 1
	s_mov_b32 s21, exec_lo
	v_cmpx_ne_u16_e32 0x80, v8
	s_cbranch_execz .LBB357_1833
; %bb.1828:                             ;   in Loop: Header=BB357_15 Depth=1
	v_bfe_u32 v8, v27, 16, 7
	v_mov_b32_e32 v1, 0x7f800001
	s_mov_b32 s22, exec_lo
	v_cmpx_ne_u32_e32 0x7f, v8
	s_cbranch_execz .LBB357_1832
; %bb.1829:                             ;   in Loop: Header=BB357_15 Depth=1
	v_mov_b32_e32 v1, 7
	s_mov_b32 s23, exec_lo
	v_and_b32_sdwa v13, v27, v1 dst_sel:DWORD dst_unused:UNUSED_PAD src0_sel:WORD_1 src1_sel:DWORD
	v_mov_b32_e32 v30, v14
	v_lshrrev_b32_e32 v1, 3, v8
	v_mov_b32_e32 v29, v13
	v_cmpx_gt_u32_e32 8, v8
; %bb.1830:                             ;   in Loop: Header=BB357_15 Depth=1
	v_ffbh_u32_e32 v1, v13
	v_min_u32_e32 v1, 32, v1
	v_subrev_nc_u32_e32 v8, 28, v1
	v_sub_nc_u32_e32 v1, 29, v1
	v_lshlrev_b64 v[29:30], v8, v[13:14]
	v_and_b32_e32 v29, 7, v29
; %bb.1831:                             ;   in Loop: Header=BB357_15 Depth=1
	s_or_b32 exec_lo, exec_lo, s23
	v_mov_b32_e32 v8, 24
	v_lshlrev_b32_e32 v13, 20, v29
	v_lshl_add_u32 v1, v1, 23, 0x3c000000
	v_lshlrev_b32_sdwa v8, v8, v27 dst_sel:DWORD dst_unused:UNUSED_PAD src0_sel:DWORD src1_sel:WORD_1
	v_and_b32_e32 v8, 0x80000000, v8
	v_or3_b32 v1, v13, v8, v1
.LBB357_1832:                           ;   in Loop: Header=BB357_15 Depth=1
	s_or_b32 exec_lo, exec_lo, s22
.LBB357_1833:                           ;   in Loop: Header=BB357_15 Depth=1
	s_or_b32 exec_lo, exec_lo, s21
.LBB357_1834:                           ;   in Loop: Header=BB357_15 Depth=1
	s_or_b32 exec_lo, exec_lo, s20
	s_mov_b32 s20, exec_lo
	v_cmpx_lt_u32_e32 0xffffff, v27
	s_cbranch_execz .LBB357_1842
; %bb.1835:                             ;   in Loop: Header=BB357_15 Depth=1
	v_cmp_ne_u32_sdwa s5, v27, v43 src0_sel:BYTE_3 src1_sel:DWORD
	v_bfrev_b32_e32 v119, 1
	s_and_saveexec_b32 s21, s5
	s_cbranch_execz .LBB357_1841
; %bb.1836:                             ;   in Loop: Header=BB357_15 Depth=1
	v_bfe_u32 v31, v27, 24, 7
	v_mov_b32_e32 v119, 0x7f800001
	s_mov_b32 s22, exec_lo
	v_cmpx_ne_u32_e32 0x7f, v31
	s_cbranch_execz .LBB357_1840
; %bb.1837:                             ;   in Loop: Header=BB357_15 Depth=1
	v_mov_b32_e32 v8, 7
	s_mov_b32 s23, exec_lo
	v_and_b32_sdwa v13, v27, v8 dst_sel:DWORD dst_unused:UNUSED_PAD src0_sel:BYTE_3 src1_sel:DWORD
	v_mov_b32_e32 v30, v14
	v_lshrrev_b32_e32 v8, 3, v31
	v_mov_b32_e32 v29, v13
	v_cmpx_gt_u32_e32 8, v31
; %bb.1838:                             ;   in Loop: Header=BB357_15 Depth=1
	v_ffbh_u32_e32 v8, v13
	v_min_u32_e32 v8, 32, v8
	v_subrev_nc_u32_e32 v29, 28, v8
	v_sub_nc_u32_e32 v8, 29, v8
	v_lshlrev_b64 v[29:30], v29, v[13:14]
	v_and_b32_e32 v29, 7, v29
; %bb.1839:                             ;   in Loop: Header=BB357_15 Depth=1
	s_or_b32 exec_lo, exec_lo, s23
	v_mov_b32_e32 v13, 24
	v_lshlrev_b32_e32 v29, 20, v29
	v_lshl_add_u32 v8, v8, 23, 0x3c000000
	v_lshlrev_b32_sdwa v13, v13, v27 dst_sel:DWORD dst_unused:UNUSED_PAD src0_sel:DWORD src1_sel:BYTE_3
	v_and_b32_e32 v13, 0x80000000, v13
	v_or3_b32 v119, v29, v13, v8
.LBB357_1840:                           ;   in Loop: Header=BB357_15 Depth=1
	s_or_b32 exec_lo, exec_lo, s22
.LBB357_1841:                           ;   in Loop: Header=BB357_15 Depth=1
	s_or_b32 exec_lo, exec_lo, s21
.LBB357_1842:                           ;   in Loop: Header=BB357_15 Depth=1
	s_or_b32 exec_lo, exec_lo, s20
	v_mov_b32_e32 v13, v28
	v_cmp_ne_u16_sdwa s5, v28, v14 src0_sel:BYTE_0 src1_sel:DWORD
	v_mov_b32_e32 v37, 0
	v_mov_b32_e32 v56, 0
	s_and_saveexec_b32 s20, s5
	s_cbranch_execz .LBB357_1850
; %bb.1843:                             ;   in Loop: Header=BB357_15 Depth=1
	v_cmp_ne_u16_sdwa s5, v28, v43 src0_sel:BYTE_0 src1_sel:DWORD
	v_bfrev_b32_e32 v56, 1
	s_and_saveexec_b32 s21, s5
	s_cbranch_execz .LBB357_1849
; %bb.1844:                             ;   in Loop: Header=BB357_15 Depth=1
	v_and_b32_e32 v31, 0x7f, v28
	v_mov_b32_e32 v56, 0x7f800001
	s_mov_b32 s22, exec_lo
	v_cmpx_ne_u32_e32 0x7f, v31
	s_cbranch_execz .LBB357_1848
; %bb.1845:                             ;   in Loop: Header=BB357_15 Depth=1
	v_mov_b32_e32 v30, v14
	v_mov_b32_e32 v29, v13
	v_lshrrev_b32_e32 v8, 3, v31
	s_mov_b32 s23, exec_lo
	v_cmpx_gt_u32_e32 8, v31
; %bb.1846:                             ;   in Loop: Header=BB357_15 Depth=1
	v_and_b32_e32 v8, 7, v28
	v_ffbh_u32_e32 v8, v8
	v_min_u32_e32 v8, 32, v8
	v_subrev_nc_u32_e32 v29, 28, v8
	v_sub_nc_u32_e32 v8, 29, v8
	v_lshlrev_b64 v[29:30], v29, v[13:14]
; %bb.1847:                             ;   in Loop: Header=BB357_15 Depth=1
	s_or_b32 exec_lo, exec_lo, s23
	v_lshlrev_b32_e32 v29, 20, v29
	v_lshlrev_b32_e32 v30, 24, v13
	v_lshl_add_u32 v8, v8, 23, 0x3c000000
	v_and_b32_e32 v29, 0x700000, v29
	v_and_b32_e32 v30, 0x80000000, v30
	v_or3_b32 v56, v29, v30, v8
.LBB357_1848:                           ;   in Loop: Header=BB357_15 Depth=1
	s_or_b32 exec_lo, exec_lo, s22
.LBB357_1849:                           ;   in Loop: Header=BB357_15 Depth=1
	s_or_b32 exec_lo, exec_lo, s21
.LBB357_1850:                           ;   in Loop: Header=BB357_15 Depth=1
	s_or_b32 exec_lo, exec_lo, s20
	v_cmp_ne_u16_sdwa s5, v13, v14 src0_sel:BYTE_1 src1_sel:DWORD
	s_and_saveexec_b32 s20, s5
	s_cbranch_execz .LBB357_1858
; %bb.1851:                             ;   in Loop: Header=BB357_15 Depth=1
	v_cmp_ne_u16_sdwa s5, v13, v43 src0_sel:BYTE_1 src1_sel:DWORD
	v_bfrev_b32_e32 v37, 1
	s_and_saveexec_b32 s21, s5
	s_cbranch_execz .LBB357_1857
; %bb.1852:                             ;   in Loop: Header=BB357_15 Depth=1
	v_mov_b32_e32 v8, 0xffff
	v_mov_b32_e32 v37, 0x7f800001
	s_mov_b32 s22, exec_lo
	v_and_b32_sdwa v8, v8, v13 dst_sel:DWORD dst_unused:UNUSED_PAD src0_sel:DWORD src1_sel:BYTE_1
	v_and_b32_e32 v31, 0x7f, v8
	v_cmpx_ne_u32_e32 0x7f, v31
	s_cbranch_execz .LBB357_1856
; %bb.1853:                             ;   in Loop: Header=BB357_15 Depth=1
	v_and_b32_e32 v29, 7, v8
	v_mov_b32_e32 v30, v14
	v_lshrrev_b32_e32 v8, 3, v31
	s_mov_b32 s23, exec_lo
	v_cmpx_gt_u32_e32 8, v31
; %bb.1854:                             ;   in Loop: Header=BB357_15 Depth=1
	v_ffbh_u32_e32 v8, v29
	v_min_u32_e32 v8, 32, v8
	v_subrev_nc_u32_e32 v31, 28, v8
	v_sub_nc_u32_e32 v8, 29, v8
	v_lshlrev_b64 v[29:30], v31, v[29:30]
	v_and_b32_e32 v29, 7, v29
; %bb.1855:                             ;   in Loop: Header=BB357_15 Depth=1
	s_or_b32 exec_lo, exec_lo, s23
	v_lshlrev_b32_e32 v13, 16, v13
	v_lshlrev_b32_e32 v29, 20, v29
	v_lshl_add_u32 v8, v8, 23, 0x3c000000
	v_and_b32_e32 v13, 0x80000000, v13
	v_or3_b32 v37, v29, v13, v8
.LBB357_1856:                           ;   in Loop: Header=BB357_15 Depth=1
	s_or_b32 exec_lo, exec_lo, s22
.LBB357_1857:                           ;   in Loop: Header=BB357_15 Depth=1
	s_or_b32 exec_lo, exec_lo, s21
.LBB357_1858:                           ;   in Loop: Header=BB357_15 Depth=1
	s_or_b32 exec_lo, exec_lo, s20
	v_and_b32_sdwa v8, v28, v93 dst_sel:DWORD dst_unused:UNUSED_PAD src0_sel:WORD_1 src1_sel:DWORD
	v_mov_b32_e32 v95, 0
	v_mov_b32_e32 v108, 0
	s_mov_b32 s20, exec_lo
	v_cmpx_ne_u16_e32 0, v8
	s_cbranch_execz .LBB357_1866
; %bb.1859:                             ;   in Loop: Header=BB357_15 Depth=1
	v_bfrev_b32_e32 v108, 1
	s_mov_b32 s21, exec_lo
	v_cmpx_ne_u16_e32 0x80, v8
	s_cbranch_execz .LBB357_1865
; %bb.1860:                             ;   in Loop: Header=BB357_15 Depth=1
	v_bfe_u32 v31, v28, 16, 7
	v_mov_b32_e32 v108, 0x7f800001
	s_mov_b32 s22, exec_lo
	v_cmpx_ne_u32_e32 0x7f, v31
	s_cbranch_execz .LBB357_1864
; %bb.1861:                             ;   in Loop: Header=BB357_15 Depth=1
	v_mov_b32_e32 v8, 7
	s_mov_b32 s23, exec_lo
	v_and_b32_sdwa v13, v28, v8 dst_sel:DWORD dst_unused:UNUSED_PAD src0_sel:WORD_1 src1_sel:DWORD
	v_mov_b32_e32 v30, v14
	v_lshrrev_b32_e32 v8, 3, v31
	v_mov_b32_e32 v29, v13
	v_cmpx_gt_u32_e32 8, v31
; %bb.1862:                             ;   in Loop: Header=BB357_15 Depth=1
	v_ffbh_u32_e32 v8, v13
	v_min_u32_e32 v8, 32, v8
	v_subrev_nc_u32_e32 v29, 28, v8
	v_sub_nc_u32_e32 v8, 29, v8
	v_lshlrev_b64 v[29:30], v29, v[13:14]
	v_and_b32_e32 v29, 7, v29
; %bb.1863:                             ;   in Loop: Header=BB357_15 Depth=1
	s_or_b32 exec_lo, exec_lo, s23
	v_mov_b32_e32 v13, 24
	v_lshlrev_b32_e32 v29, 20, v29
	v_lshl_add_u32 v8, v8, 23, 0x3c000000
	v_lshlrev_b32_sdwa v13, v13, v28 dst_sel:DWORD dst_unused:UNUSED_PAD src0_sel:DWORD src1_sel:WORD_1
	v_and_b32_e32 v13, 0x80000000, v13
	v_or3_b32 v108, v29, v13, v8
.LBB357_1864:                           ;   in Loop: Header=BB357_15 Depth=1
	s_or_b32 exec_lo, exec_lo, s22
.LBB357_1865:                           ;   in Loop: Header=BB357_15 Depth=1
	s_or_b32 exec_lo, exec_lo, s21
.LBB357_1866:                           ;   in Loop: Header=BB357_15 Depth=1
	s_or_b32 exec_lo, exec_lo, s20
	s_mov_b32 s20, exec_lo
	v_cmpx_lt_u64_e64 s[12:13], v[27:28]
	s_cbranch_execz .LBB357_1874
; %bb.1867:                             ;   in Loop: Header=BB357_15 Depth=1
	v_cmp_ne_u32_sdwa s5, v28, v43 src0_sel:BYTE_3 src1_sel:DWORD
	v_bfrev_b32_e32 v95, 1
	s_and_saveexec_b32 s21, s5
	s_cbranch_execz .LBB357_1873
; %bb.1868:                             ;   in Loop: Header=BB357_15 Depth=1
	v_bfe_u32 v27, v28, 24, 7
	v_mov_b32_e32 v95, 0x7f800001
	s_mov_b32 s22, exec_lo
	v_cmpx_ne_u32_e32 0x7f, v27
	s_cbranch_execz .LBB357_1872
; %bb.1869:                             ;   in Loop: Header=BB357_15 Depth=1
	v_mov_b32_e32 v8, 7
	s_mov_b32 s23, exec_lo
	v_and_b32_sdwa v13, v28, v8 dst_sel:DWORD dst_unused:UNUSED_PAD src0_sel:BYTE_3 src1_sel:DWORD
	v_mov_b32_e32 v30, v14
	v_lshrrev_b32_e32 v8, 3, v27
	v_mov_b32_e32 v29, v13
	v_cmpx_gt_u32_e32 8, v27
; %bb.1870:                             ;   in Loop: Header=BB357_15 Depth=1
	v_ffbh_u32_e32 v8, v13
	v_min_u32_e32 v8, 32, v8
	v_subrev_nc_u32_e32 v27, 28, v8
	v_sub_nc_u32_e32 v8, 29, v8
	v_lshlrev_b64 v[29:30], v27, v[13:14]
	v_and_b32_e32 v29, 7, v29
; %bb.1871:                             ;   in Loop: Header=BB357_15 Depth=1
	s_or_b32 exec_lo, exec_lo, s23
	v_mov_b32_e32 v13, 24
	v_lshlrev_b32_e32 v27, 20, v29
	v_lshl_add_u32 v8, v8, 23, 0x3c000000
	v_lshlrev_b32_sdwa v13, v13, v28 dst_sel:DWORD dst_unused:UNUSED_PAD src0_sel:DWORD src1_sel:BYTE_3
	v_and_b32_e32 v13, 0x80000000, v13
	v_or3_b32 v95, v27, v13, v8
.LBB357_1872:                           ;   in Loop: Header=BB357_15 Depth=1
	s_or_b32 exec_lo, exec_lo, s22
.LBB357_1873:                           ;   in Loop: Header=BB357_15 Depth=1
	s_or_b32 exec_lo, exec_lo, s21
.LBB357_1874:                           ;   in Loop: Header=BB357_15 Depth=1
	s_or_b32 exec_lo, exec_lo, s20
	flat_load_dwordx2 v[27:28], v[24:25] offset:1032
	v_mov_b32_e32 v72, 0
	v_mov_b32_e32 v97, 0
	s_waitcnt vmcnt(0) lgkmcnt(0)
	v_cmp_ne_u16_sdwa s5, v27, v14 src0_sel:BYTE_0 src1_sel:DWORD
	s_and_saveexec_b32 s20, s5
	s_cbranch_execz .LBB357_1882
; %bb.1875:                             ;   in Loop: Header=BB357_15 Depth=1
	v_cmp_ne_u16_sdwa s5, v27, v43 src0_sel:BYTE_0 src1_sel:DWORD
	v_bfrev_b32_e32 v97, 1
	s_and_saveexec_b32 s21, s5
	s_cbranch_execz .LBB357_1881
; %bb.1876:                             ;   in Loop: Header=BB357_15 Depth=1
	v_and_b32_e32 v13, 0x7f, v27
	v_mov_b32_e32 v97, 0x7f800001
	s_mov_b32 s22, exec_lo
	v_cmpx_ne_u32_e32 0x7f, v13
	s_cbranch_execz .LBB357_1880
; %bb.1877:                             ;   in Loop: Header=BB357_15 Depth=1
	v_mov_b32_e32 v30, v28
	v_lshrrev_b32_e32 v8, 3, v13
	v_mov_b32_e32 v29, v27
	s_mov_b32 s23, exec_lo
	v_cmpx_gt_u32_e32 8, v13
; %bb.1878:                             ;   in Loop: Header=BB357_15 Depth=1
	v_and_b32_e32 v8, 7, v27
	v_ffbh_u32_e32 v8, v8
	v_min_u32_e32 v8, 32, v8
	v_subrev_nc_u32_e32 v13, 28, v8
	v_sub_nc_u32_e32 v8, 29, v8
	v_lshlrev_b64 v[29:30], v13, v[27:28]
; %bb.1879:                             ;   in Loop: Header=BB357_15 Depth=1
	s_or_b32 exec_lo, exec_lo, s23
	v_lshlrev_b32_e32 v13, 20, v29
	v_lshlrev_b32_e32 v29, 24, v27
	v_lshl_add_u32 v8, v8, 23, 0x3c000000
	v_and_b32_e32 v13, 0x700000, v13
	v_and_b32_e32 v29, 0x80000000, v29
	v_or3_b32 v97, v13, v29, v8
.LBB357_1880:                           ;   in Loop: Header=BB357_15 Depth=1
	s_or_b32 exec_lo, exec_lo, s22
.LBB357_1881:                           ;   in Loop: Header=BB357_15 Depth=1
	s_or_b32 exec_lo, exec_lo, s21
.LBB357_1882:                           ;   in Loop: Header=BB357_15 Depth=1
	s_or_b32 exec_lo, exec_lo, s20
	v_cmp_ne_u16_sdwa s5, v27, v14 src0_sel:BYTE_1 src1_sel:DWORD
	s_and_saveexec_b32 s20, s5
	s_cbranch_execz .LBB357_1890
; %bb.1883:                             ;   in Loop: Header=BB357_15 Depth=1
	v_cmp_ne_u16_sdwa s5, v27, v43 src0_sel:BYTE_1 src1_sel:DWORD
	v_bfrev_b32_e32 v72, 1
	s_and_saveexec_b32 s21, s5
	s_cbranch_execz .LBB357_1889
; %bb.1884:                             ;   in Loop: Header=BB357_15 Depth=1
	v_mov_b32_e32 v8, 0xffff
	v_mov_b32_e32 v72, 0x7f800001
	s_mov_b32 s22, exec_lo
	v_and_b32_sdwa v8, v8, v27 dst_sel:DWORD dst_unused:UNUSED_PAD src0_sel:DWORD src1_sel:BYTE_1
	v_and_b32_e32 v31, 0x7f, v8
	v_cmpx_ne_u32_e32 0x7f, v31
	s_cbranch_execz .LBB357_1888
; %bb.1885:                             ;   in Loop: Header=BB357_15 Depth=1
	v_and_b32_e32 v13, 7, v8
	v_mov_b32_e32 v30, v14
	v_lshrrev_b32_e32 v8, 3, v31
	s_mov_b32 s23, exec_lo
	v_mov_b32_e32 v29, v13
	v_cmpx_gt_u32_e32 8, v31
; %bb.1886:                             ;   in Loop: Header=BB357_15 Depth=1
	v_ffbh_u32_e32 v8, v13
	v_min_u32_e32 v8, 32, v8
	v_subrev_nc_u32_e32 v29, 28, v8
	v_sub_nc_u32_e32 v8, 29, v8
	v_lshlrev_b64 v[29:30], v29, v[13:14]
	v_and_b32_e32 v29, 7, v29
; %bb.1887:                             ;   in Loop: Header=BB357_15 Depth=1
	s_or_b32 exec_lo, exec_lo, s23
	v_lshlrev_b32_e32 v13, 16, v27
	v_lshlrev_b32_e32 v29, 20, v29
	v_lshl_add_u32 v8, v8, 23, 0x3c000000
	v_and_b32_e32 v13, 0x80000000, v13
	v_or3_b32 v72, v29, v13, v8
.LBB357_1888:                           ;   in Loop: Header=BB357_15 Depth=1
	s_or_b32 exec_lo, exec_lo, s22
.LBB357_1889:                           ;   in Loop: Header=BB357_15 Depth=1
	s_or_b32 exec_lo, exec_lo, s21
.LBB357_1890:                           ;   in Loop: Header=BB357_15 Depth=1
	s_or_b32 exec_lo, exec_lo, s20
	v_and_b32_sdwa v8, v27, v93 dst_sel:DWORD dst_unused:UNUSED_PAD src0_sel:WORD_1 src1_sel:DWORD
	v_mov_b32_e32 v91, 0
	v_mov_b32_e32 v99, 0
	s_mov_b32 s20, exec_lo
	v_cmpx_ne_u16_e32 0, v8
	s_cbranch_execz .LBB357_1898
; %bb.1891:                             ;   in Loop: Header=BB357_15 Depth=1
	v_bfrev_b32_e32 v99, 1
	s_mov_b32 s21, exec_lo
	v_cmpx_ne_u16_e32 0x80, v8
	s_cbranch_execz .LBB357_1897
; %bb.1892:                             ;   in Loop: Header=BB357_15 Depth=1
	v_bfe_u32 v31, v27, 16, 7
	v_mov_b32_e32 v99, 0x7f800001
	s_mov_b32 s22, exec_lo
	v_cmpx_ne_u32_e32 0x7f, v31
	s_cbranch_execz .LBB357_1896
; %bb.1893:                             ;   in Loop: Header=BB357_15 Depth=1
	v_mov_b32_e32 v8, 7
	s_mov_b32 s23, exec_lo
	v_and_b32_sdwa v13, v27, v8 dst_sel:DWORD dst_unused:UNUSED_PAD src0_sel:WORD_1 src1_sel:DWORD
	v_mov_b32_e32 v30, v14
	v_lshrrev_b32_e32 v8, 3, v31
	v_mov_b32_e32 v29, v13
	v_cmpx_gt_u32_e32 8, v31
; %bb.1894:                             ;   in Loop: Header=BB357_15 Depth=1
	v_ffbh_u32_e32 v8, v13
	v_min_u32_e32 v8, 32, v8
	v_subrev_nc_u32_e32 v29, 28, v8
	v_sub_nc_u32_e32 v8, 29, v8
	v_lshlrev_b64 v[29:30], v29, v[13:14]
	v_and_b32_e32 v29, 7, v29
; %bb.1895:                             ;   in Loop: Header=BB357_15 Depth=1
	s_or_b32 exec_lo, exec_lo, s23
	v_mov_b32_e32 v13, 24
	v_lshlrev_b32_e32 v29, 20, v29
	v_lshl_add_u32 v8, v8, 23, 0x3c000000
	v_lshlrev_b32_sdwa v13, v13, v27 dst_sel:DWORD dst_unused:UNUSED_PAD src0_sel:DWORD src1_sel:WORD_1
	v_and_b32_e32 v13, 0x80000000, v13
	v_or3_b32 v99, v29, v13, v8
.LBB357_1896:                           ;   in Loop: Header=BB357_15 Depth=1
	s_or_b32 exec_lo, exec_lo, s22
.LBB357_1897:                           ;   in Loop: Header=BB357_15 Depth=1
	s_or_b32 exec_lo, exec_lo, s21
.LBB357_1898:                           ;   in Loop: Header=BB357_15 Depth=1
	s_or_b32 exec_lo, exec_lo, s20
	s_mov_b32 s20, exec_lo
	v_cmpx_lt_u32_e32 0xffffff, v27
	s_cbranch_execz .LBB357_1906
; %bb.1899:                             ;   in Loop: Header=BB357_15 Depth=1
	v_cmp_ne_u32_sdwa s5, v27, v43 src0_sel:BYTE_3 src1_sel:DWORD
	v_bfrev_b32_e32 v91, 1
	s_and_saveexec_b32 s21, s5
	s_cbranch_execz .LBB357_1905
; %bb.1900:                             ;   in Loop: Header=BB357_15 Depth=1
	v_bfe_u32 v31, v27, 24, 7
	v_mov_b32_e32 v91, 0x7f800001
	s_mov_b32 s22, exec_lo
	v_cmpx_ne_u32_e32 0x7f, v31
	s_cbranch_execz .LBB357_1904
; %bb.1901:                             ;   in Loop: Header=BB357_15 Depth=1
	v_mov_b32_e32 v8, 7
	s_mov_b32 s23, exec_lo
	v_and_b32_sdwa v13, v27, v8 dst_sel:DWORD dst_unused:UNUSED_PAD src0_sel:BYTE_3 src1_sel:DWORD
	v_mov_b32_e32 v30, v14
	v_lshrrev_b32_e32 v8, 3, v31
	v_mov_b32_e32 v29, v13
	v_cmpx_gt_u32_e32 8, v31
; %bb.1902:                             ;   in Loop: Header=BB357_15 Depth=1
	v_ffbh_u32_e32 v8, v13
	v_min_u32_e32 v8, 32, v8
	v_subrev_nc_u32_e32 v29, 28, v8
	v_sub_nc_u32_e32 v8, 29, v8
	v_lshlrev_b64 v[29:30], v29, v[13:14]
	v_and_b32_e32 v29, 7, v29
; %bb.1903:                             ;   in Loop: Header=BB357_15 Depth=1
	s_or_b32 exec_lo, exec_lo, s23
	v_mov_b32_e32 v13, 24
	v_lshlrev_b32_e32 v29, 20, v29
	v_lshl_add_u32 v8, v8, 23, 0x3c000000
	v_lshlrev_b32_sdwa v13, v13, v27 dst_sel:DWORD dst_unused:UNUSED_PAD src0_sel:DWORD src1_sel:BYTE_3
	v_and_b32_e32 v13, 0x80000000, v13
	v_or3_b32 v91, v29, v13, v8
.LBB357_1904:                           ;   in Loop: Header=BB357_15 Depth=1
	s_or_b32 exec_lo, exec_lo, s22
.LBB357_1905:                           ;   in Loop: Header=BB357_15 Depth=1
	s_or_b32 exec_lo, exec_lo, s21
.LBB357_1906:                           ;   in Loop: Header=BB357_15 Depth=1
	s_or_b32 exec_lo, exec_lo, s20
	v_mov_b32_e32 v13, v28
	v_cmp_ne_u16_sdwa s5, v28, v14 src0_sel:BYTE_0 src1_sel:DWORD
	v_mov_b32_e32 v42, 0
	v_mov_b32_e32 v8, 0
	s_and_saveexec_b32 s20, s5
	s_cbranch_execz .LBB357_1914
; %bb.1907:                             ;   in Loop: Header=BB357_15 Depth=1
	v_cmp_ne_u16_sdwa s5, v28, v43 src0_sel:BYTE_0 src1_sel:DWORD
	v_bfrev_b32_e32 v8, 1
	s_and_saveexec_b32 s21, s5
	s_cbranch_execz .LBB357_1913
; %bb.1908:                             ;   in Loop: Header=BB357_15 Depth=1
	v_and_b32_e32 v31, 0x7f, v28
	v_mov_b32_e32 v8, 0x7f800001
	s_mov_b32 s22, exec_lo
	v_cmpx_ne_u32_e32 0x7f, v31
	s_cbranch_execz .LBB357_1912
; %bb.1909:                             ;   in Loop: Header=BB357_15 Depth=1
	v_mov_b32_e32 v30, v14
	v_mov_b32_e32 v29, v13
	v_lshrrev_b32_e32 v8, 3, v31
	s_mov_b32 s23, exec_lo
	v_cmpx_gt_u32_e32 8, v31
; %bb.1910:                             ;   in Loop: Header=BB357_15 Depth=1
	v_and_b32_e32 v8, 7, v28
	v_ffbh_u32_e32 v8, v8
	v_min_u32_e32 v8, 32, v8
	v_subrev_nc_u32_e32 v29, 28, v8
	v_sub_nc_u32_e32 v8, 29, v8
	v_lshlrev_b64 v[29:30], v29, v[13:14]
; %bb.1911:                             ;   in Loop: Header=BB357_15 Depth=1
	s_or_b32 exec_lo, exec_lo, s23
	v_lshlrev_b32_e32 v29, 20, v29
	v_lshlrev_b32_e32 v30, 24, v13
	v_lshl_add_u32 v8, v8, 23, 0x3c000000
	v_and_b32_e32 v29, 0x700000, v29
	v_and_b32_e32 v30, 0x80000000, v30
	v_or3_b32 v8, v29, v30, v8
.LBB357_1912:                           ;   in Loop: Header=BB357_15 Depth=1
	s_or_b32 exec_lo, exec_lo, s22
.LBB357_1913:                           ;   in Loop: Header=BB357_15 Depth=1
	s_or_b32 exec_lo, exec_lo, s21
.LBB357_1914:                           ;   in Loop: Header=BB357_15 Depth=1
	s_or_b32 exec_lo, exec_lo, s20
	v_cmp_ne_u16_sdwa s5, v13, v14 src0_sel:BYTE_1 src1_sel:DWORD
	s_and_saveexec_b32 s20, s5
	s_cbranch_execz .LBB357_1922
; %bb.1915:                             ;   in Loop: Header=BB357_15 Depth=1
	v_cmp_ne_u16_sdwa s5, v13, v43 src0_sel:BYTE_1 src1_sel:DWORD
	v_bfrev_b32_e32 v42, 1
	s_and_saveexec_b32 s21, s5
	s_cbranch_execz .LBB357_1921
; %bb.1916:                             ;   in Loop: Header=BB357_15 Depth=1
	v_mov_b32_e32 v29, 0xffff
	v_mov_b32_e32 v84, v35
	v_mov_b32_e32 v42, 0x7f800001
	s_mov_b32 s22, exec_lo
	v_and_b32_sdwa v29, v29, v13 dst_sel:DWORD dst_unused:UNUSED_PAD src0_sel:DWORD src1_sel:BYTE_1
	v_and_b32_e32 v35, 0x7f, v29
	v_cmpx_ne_u32_e32 0x7f, v35
	s_cbranch_execz .LBB357_1920
; %bb.1917:                             ;   in Loop: Header=BB357_15 Depth=1
	v_and_b32_e32 v29, 7, v29
	v_mov_b32_e32 v30, v14
	v_lshrrev_b32_e32 v31, 3, v35
	s_mov_b32 s23, exec_lo
	v_cmpx_gt_u32_e32 8, v35
; %bb.1918:                             ;   in Loop: Header=BB357_15 Depth=1
	v_ffbh_u32_e32 v31, v29
	v_min_u32_e32 v31, 32, v31
	v_subrev_nc_u32_e32 v35, 28, v31
	v_sub_nc_u32_e32 v31, 29, v31
	v_lshlrev_b64 v[29:30], v35, v[29:30]
	v_and_b32_e32 v29, 7, v29
; %bb.1919:                             ;   in Loop: Header=BB357_15 Depth=1
	s_or_b32 exec_lo, exec_lo, s23
	v_lshlrev_b32_e32 v13, 16, v13
	v_lshlrev_b32_e32 v29, 20, v29
	v_lshl_add_u32 v30, v31, 23, 0x3c000000
	v_and_b32_e32 v13, 0x80000000, v13
	v_or3_b32 v42, v29, v13, v30
.LBB357_1920:                           ;   in Loop: Header=BB357_15 Depth=1
	s_or_b32 exec_lo, exec_lo, s22
	v_mov_b32_e32 v35, v84
.LBB357_1921:                           ;   in Loop: Header=BB357_15 Depth=1
	s_or_b32 exec_lo, exec_lo, s21
.LBB357_1922:                           ;   in Loop: Header=BB357_15 Depth=1
	s_or_b32 exec_lo, exec_lo, s20
	v_and_b32_sdwa v13, v28, v93 dst_sel:DWORD dst_unused:UNUSED_PAD src0_sel:WORD_1 src1_sel:DWORD
	v_mov_b32_e32 v41, 0
	v_mov_b32_e32 v44, 0
	s_mov_b32 s20, exec_lo
	v_cmpx_ne_u16_e32 0, v13
	s_cbranch_execz .LBB357_1930
; %bb.1923:                             ;   in Loop: Header=BB357_15 Depth=1
	v_bfrev_b32_e32 v44, 1
	s_mov_b32 s21, exec_lo
	v_cmpx_ne_u16_e32 0x80, v13
	s_cbranch_execz .LBB357_1929
; %bb.1924:                             ;   in Loop: Header=BB357_15 Depth=1
	v_bfe_u32 v31, v28, 16, 7
	v_mov_b32_e32 v44, 0x7f800001
	s_mov_b32 s22, exec_lo
	v_cmpx_ne_u32_e32 0x7f, v31
	s_cbranch_execz .LBB357_1928
; %bb.1925:                             ;   in Loop: Header=BB357_15 Depth=1
	v_mov_b32_e32 v13, 7
	s_mov_b32 s23, exec_lo
	v_and_b32_sdwa v13, v28, v13 dst_sel:DWORD dst_unused:UNUSED_PAD src0_sel:WORD_1 src1_sel:DWORD
	v_mov_b32_e32 v30, v14
	v_lshrrev_b32_e32 v30, 3, v31
	v_mov_b32_e32 v29, v13
	v_cmpx_gt_u32_e32 8, v31
; %bb.1926:                             ;   in Loop: Header=BB357_15 Depth=1
	v_ffbh_u32_e32 v29, v13
	v_min_u32_e32 v31, 32, v29
	v_subrev_nc_u32_e32 v29, 28, v31
	v_lshlrev_b64 v[29:30], v29, v[13:14]
	v_sub_nc_u32_e32 v30, 29, v31
	v_and_b32_e32 v29, 7, v29
; %bb.1927:                             ;   in Loop: Header=BB357_15 Depth=1
	s_or_b32 exec_lo, exec_lo, s23
	v_mov_b32_e32 v13, 24
	v_lshlrev_b32_e32 v29, 20, v29
	v_lshl_add_u32 v30, v30, 23, 0x3c000000
	v_lshlrev_b32_sdwa v13, v13, v28 dst_sel:DWORD dst_unused:UNUSED_PAD src0_sel:DWORD src1_sel:WORD_1
	v_and_b32_e32 v13, 0x80000000, v13
	v_or3_b32 v44, v29, v13, v30
.LBB357_1928:                           ;   in Loop: Header=BB357_15 Depth=1
	s_or_b32 exec_lo, exec_lo, s22
.LBB357_1929:                           ;   in Loop: Header=BB357_15 Depth=1
	s_or_b32 exec_lo, exec_lo, s21
.LBB357_1930:                           ;   in Loop: Header=BB357_15 Depth=1
	s_or_b32 exec_lo, exec_lo, s20
	s_mov_b32 s20, exec_lo
	v_cmpx_lt_u64_e64 s[12:13], v[27:28]
	s_cbranch_execz .LBB357_1938
; %bb.1931:                             ;   in Loop: Header=BB357_15 Depth=1
	v_cmp_ne_u32_sdwa s5, v28, v43 src0_sel:BYTE_3 src1_sel:DWORD
	v_bfrev_b32_e32 v41, 1
	s_and_saveexec_b32 s21, s5
	s_cbranch_execz .LBB357_1937
; %bb.1932:                             ;   in Loop: Header=BB357_15 Depth=1
	v_bfe_u32 v31, v28, 24, 7
	v_mov_b32_e32 v41, 0x7f800001
	s_mov_b32 s22, exec_lo
	v_cmpx_ne_u32_e32 0x7f, v31
	s_cbranch_execz .LBB357_1936
; %bb.1933:                             ;   in Loop: Header=BB357_15 Depth=1
	v_mov_b32_e32 v13, 7
	v_lshrrev_b32_e32 v27, 3, v31
	s_mov_b32 s23, exec_lo
	v_and_b32_sdwa v13, v28, v13 dst_sel:DWORD dst_unused:UNUSED_PAD src0_sel:BYTE_3 src1_sel:DWORD
	v_mov_b32_e32 v30, v14
	v_mov_b32_e32 v29, v13
	v_cmpx_gt_u32_e32 8, v31
; %bb.1934:                             ;   in Loop: Header=BB357_15 Depth=1
	v_ffbh_u32_e32 v27, v13
	v_min_u32_e32 v27, 32, v27
	v_subrev_nc_u32_e32 v29, 28, v27
	v_sub_nc_u32_e32 v27, 29, v27
	v_lshlrev_b64 v[29:30], v29, v[13:14]
	v_and_b32_e32 v29, 7, v29
; %bb.1935:                             ;   in Loop: Header=BB357_15 Depth=1
	s_or_b32 exec_lo, exec_lo, s23
	v_mov_b32_e32 v13, 24
	v_lshl_add_u32 v27, v27, 23, 0x3c000000
	v_lshlrev_b32_sdwa v13, v13, v28 dst_sel:DWORD dst_unused:UNUSED_PAD src0_sel:DWORD src1_sel:BYTE_3
	v_lshlrev_b32_e32 v28, 20, v29
	v_and_b32_e32 v13, 0x80000000, v13
	v_or3_b32 v41, v28, v13, v27
.LBB357_1936:                           ;   in Loop: Header=BB357_15 Depth=1
	s_or_b32 exec_lo, exec_lo, s22
.LBB357_1937:                           ;   in Loop: Header=BB357_15 Depth=1
	s_or_b32 exec_lo, exec_lo, s21
.LBB357_1938:                           ;   in Loop: Header=BB357_15 Depth=1
	s_or_b32 exec_lo, exec_lo, s20
	flat_load_dwordx2 v[27:28], v[24:25] offset:1536
	v_mov_b32_e32 v85, 0
	v_mov_b32_e32 v84, 0
	s_waitcnt vmcnt(0) lgkmcnt(0)
	v_cmp_ne_u16_sdwa s5, v27, v14 src0_sel:BYTE_0 src1_sel:DWORD
	s_and_saveexec_b32 s20, s5
	s_cbranch_execz .LBB357_1946
; %bb.1939:                             ;   in Loop: Header=BB357_15 Depth=1
	v_cmp_ne_u16_sdwa s5, v27, v43 src0_sel:BYTE_0 src1_sel:DWORD
	v_bfrev_b32_e32 v84, 1
	s_and_saveexec_b32 s21, s5
	s_cbranch_execz .LBB357_1945
; %bb.1940:                             ;   in Loop: Header=BB357_15 Depth=1
	v_and_b32_e32 v29, 0x7f, v27
	v_mov_b32_e32 v84, 0x7f800001
	s_mov_b32 s22, exec_lo
	v_cmpx_ne_u32_e32 0x7f, v29
	s_cbranch_execz .LBB357_1944
; %bb.1941:                             ;   in Loop: Header=BB357_15 Depth=1
	v_lshrrev_b32_e32 v13, 3, v29
	v_cmp_gt_u32_e64 s5, 8, v29
	v_mov_b32_e32 v30, v28
	v_mov_b32_e32 v29, v27
	s_and_saveexec_b32 s23, s5
; %bb.1942:                             ;   in Loop: Header=BB357_15 Depth=1
	v_and_b32_e32 v13, 7, v27
	v_ffbh_u32_e32 v13, v13
	v_min_u32_e32 v13, 32, v13
	v_subrev_nc_u32_e32 v29, 28, v13
	v_sub_nc_u32_e32 v13, 29, v13
	v_lshlrev_b64 v[29:30], v29, v[27:28]
; %bb.1943:                             ;   in Loop: Header=BB357_15 Depth=1
	s_or_b32 exec_lo, exec_lo, s23
	v_lshlrev_b32_e32 v29, 20, v29
	v_lshlrev_b32_e32 v30, 24, v27
	v_lshl_add_u32 v13, v13, 23, 0x3c000000
	v_and_b32_e32 v29, 0x700000, v29
	v_and_b32_e32 v30, 0x80000000, v30
	v_or3_b32 v84, v29, v30, v13
.LBB357_1944:                           ;   in Loop: Header=BB357_15 Depth=1
	s_or_b32 exec_lo, exec_lo, s22
.LBB357_1945:                           ;   in Loop: Header=BB357_15 Depth=1
	s_or_b32 exec_lo, exec_lo, s21
.LBB357_1946:                           ;   in Loop: Header=BB357_15 Depth=1
	s_or_b32 exec_lo, exec_lo, s20
	v_cmp_ne_u16_sdwa s5, v27, v14 src0_sel:BYTE_1 src1_sel:DWORD
	s_and_saveexec_b32 s20, s5
	s_cbranch_execz .LBB357_1954
; %bb.1947:                             ;   in Loop: Header=BB357_15 Depth=1
	v_cmp_ne_u16_sdwa s5, v27, v43 src0_sel:BYTE_1 src1_sel:DWORD
	v_bfrev_b32_e32 v85, 1
	s_and_saveexec_b32 s21, s5
	s_cbranch_execz .LBB357_1953
; %bb.1948:                             ;   in Loop: Header=BB357_15 Depth=1
	v_mov_b32_e32 v13, 0xffff
	v_mov_b32_e32 v85, 0x7f800001
	s_mov_b32 s22, exec_lo
	v_and_b32_sdwa v13, v13, v27 dst_sel:DWORD dst_unused:UNUSED_PAD src0_sel:DWORD src1_sel:BYTE_1
	v_and_b32_e32 v31, 0x7f, v13
	v_cmpx_ne_u32_e32 0x7f, v31
	s_cbranch_execz .LBB357_1952
; %bb.1949:                             ;   in Loop: Header=BB357_15 Depth=1
	v_and_b32_e32 v13, 7, v13
	v_mov_b32_e32 v30, v14
	v_lshrrev_b32_e32 v30, 3, v31
	s_mov_b32 s23, exec_lo
	v_mov_b32_e32 v29, v13
	v_cmpx_gt_u32_e32 8, v31
; %bb.1950:                             ;   in Loop: Header=BB357_15 Depth=1
	v_ffbh_u32_e32 v29, v13
	v_min_u32_e32 v31, 32, v29
	v_subrev_nc_u32_e32 v29, 28, v31
	v_lshlrev_b64 v[29:30], v29, v[13:14]
	v_sub_nc_u32_e32 v30, 29, v31
	v_and_b32_e32 v29, 7, v29
; %bb.1951:                             ;   in Loop: Header=BB357_15 Depth=1
	s_or_b32 exec_lo, exec_lo, s23
	v_lshlrev_b32_e32 v13, 16, v27
	v_lshlrev_b32_e32 v29, 20, v29
	v_lshl_add_u32 v30, v30, 23, 0x3c000000
	v_and_b32_e32 v13, 0x80000000, v13
	v_or3_b32 v85, v29, v13, v30
.LBB357_1952:                           ;   in Loop: Header=BB357_15 Depth=1
	s_or_b32 exec_lo, exec_lo, s22
.LBB357_1953:                           ;   in Loop: Header=BB357_15 Depth=1
	s_or_b32 exec_lo, exec_lo, s21
.LBB357_1954:                           ;   in Loop: Header=BB357_15 Depth=1
	s_or_b32 exec_lo, exec_lo, s20
	v_and_b32_sdwa v13, v27, v93 dst_sel:DWORD dst_unused:UNUSED_PAD src0_sel:WORD_1 src1_sel:DWORD
	v_mov_b32_e32 v88, 0
	v_mov_b32_e32 v78, 0
	s_mov_b32 s20, exec_lo
	v_cmpx_ne_u16_e32 0, v13
	s_cbranch_execz .LBB357_1962
; %bb.1955:                             ;   in Loop: Header=BB357_15 Depth=1
	v_bfrev_b32_e32 v78, 1
	s_mov_b32 s21, exec_lo
	v_cmpx_ne_u16_e32 0x80, v13
	s_cbranch_execz .LBB357_1961
; %bb.1956:                             ;   in Loop: Header=BB357_15 Depth=1
	v_bfe_u32 v31, v27, 16, 7
	v_mov_b32_e32 v78, 0x7f800001
	s_mov_b32 s22, exec_lo
	v_cmpx_ne_u32_e32 0x7f, v31
	s_cbranch_execz .LBB357_1960
; %bb.1957:                             ;   in Loop: Header=BB357_15 Depth=1
	v_mov_b32_e32 v13, 7
	s_mov_b32 s23, exec_lo
	v_and_b32_sdwa v13, v27, v13 dst_sel:DWORD dst_unused:UNUSED_PAD src0_sel:WORD_1 src1_sel:DWORD
	v_mov_b32_e32 v30, v14
	v_lshrrev_b32_e32 v30, 3, v31
	v_mov_b32_e32 v29, v13
	v_cmpx_gt_u32_e32 8, v31
; %bb.1958:                             ;   in Loop: Header=BB357_15 Depth=1
	v_ffbh_u32_e32 v29, v13
	v_min_u32_e32 v31, 32, v29
	v_subrev_nc_u32_e32 v29, 28, v31
	v_lshlrev_b64 v[29:30], v29, v[13:14]
	v_sub_nc_u32_e32 v30, 29, v31
	v_and_b32_e32 v29, 7, v29
; %bb.1959:                             ;   in Loop: Header=BB357_15 Depth=1
	s_or_b32 exec_lo, exec_lo, s23
	v_mov_b32_e32 v13, 24
	v_lshlrev_b32_e32 v29, 20, v29
	v_lshl_add_u32 v30, v30, 23, 0x3c000000
	v_lshlrev_b32_sdwa v13, v13, v27 dst_sel:DWORD dst_unused:UNUSED_PAD src0_sel:DWORD src1_sel:WORD_1
	v_and_b32_e32 v13, 0x80000000, v13
	v_or3_b32 v78, v29, v13, v30
.LBB357_1960:                           ;   in Loop: Header=BB357_15 Depth=1
	s_or_b32 exec_lo, exec_lo, s22
.LBB357_1961:                           ;   in Loop: Header=BB357_15 Depth=1
	s_or_b32 exec_lo, exec_lo, s21
.LBB357_1962:                           ;   in Loop: Header=BB357_15 Depth=1
	s_or_b32 exec_lo, exec_lo, s20
	s_mov_b32 s20, exec_lo
	v_cmpx_lt_u32_e32 0xffffff, v27
	s_cbranch_execz .LBB357_1970
; %bb.1963:                             ;   in Loop: Header=BB357_15 Depth=1
	v_cmp_ne_u32_sdwa s5, v27, v43 src0_sel:BYTE_3 src1_sel:DWORD
	v_bfrev_b32_e32 v88, 1
	s_and_saveexec_b32 s21, s5
	s_cbranch_execz .LBB357_1969
; %bb.1964:                             ;   in Loop: Header=BB357_15 Depth=1
	v_bfe_u32 v31, v27, 24, 7
	v_mov_b32_e32 v88, 0x7f800001
	s_mov_b32 s22, exec_lo
	v_cmpx_ne_u32_e32 0x7f, v31
	s_cbranch_execz .LBB357_1968
; %bb.1965:                             ;   in Loop: Header=BB357_15 Depth=1
	v_mov_b32_e32 v13, 7
	s_mov_b32 s23, exec_lo
	v_and_b32_sdwa v13, v27, v13 dst_sel:DWORD dst_unused:UNUSED_PAD src0_sel:BYTE_3 src1_sel:DWORD
	v_mov_b32_e32 v30, v14
	v_lshrrev_b32_e32 v30, 3, v31
	v_mov_b32_e32 v29, v13
	v_cmpx_gt_u32_e32 8, v31
; %bb.1966:                             ;   in Loop: Header=BB357_15 Depth=1
	v_ffbh_u32_e32 v29, v13
	v_min_u32_e32 v31, 32, v29
	v_subrev_nc_u32_e32 v29, 28, v31
	v_lshlrev_b64 v[29:30], v29, v[13:14]
	v_sub_nc_u32_e32 v30, 29, v31
	v_and_b32_e32 v29, 7, v29
; %bb.1967:                             ;   in Loop: Header=BB357_15 Depth=1
	s_or_b32 exec_lo, exec_lo, s23
	v_mov_b32_e32 v13, 24
	v_lshlrev_b32_e32 v29, 20, v29
	v_lshl_add_u32 v30, v30, 23, 0x3c000000
	v_lshlrev_b32_sdwa v13, v13, v27 dst_sel:DWORD dst_unused:UNUSED_PAD src0_sel:DWORD src1_sel:BYTE_3
	v_and_b32_e32 v13, 0x80000000, v13
	v_or3_b32 v88, v29, v13, v30
.LBB357_1968:                           ;   in Loop: Header=BB357_15 Depth=1
	s_or_b32 exec_lo, exec_lo, s22
.LBB357_1969:                           ;   in Loop: Header=BB357_15 Depth=1
	s_or_b32 exec_lo, exec_lo, s21
.LBB357_1970:                           ;   in Loop: Header=BB357_15 Depth=1
	s_or_b32 exec_lo, exec_lo, s20
	v_mov_b32_e32 v13, v28
	v_cmp_ne_u16_sdwa s5, v28, v14 src0_sel:BYTE_0 src1_sel:DWORD
	v_mov_b32_e32 v89, 0
	v_mov_b32_e32 v63, 0
	s_and_saveexec_b32 s20, s5
	s_cbranch_execz .LBB357_1978
; %bb.1971:                             ;   in Loop: Header=BB357_15 Depth=1
	v_cmp_ne_u16_sdwa s5, v28, v43 src0_sel:BYTE_0 src1_sel:DWORD
	v_bfrev_b32_e32 v63, 1
	s_and_saveexec_b32 s21, s5
	s_cbranch_execz .LBB357_1977
; %bb.1972:                             ;   in Loop: Header=BB357_15 Depth=1
	v_and_b32_e32 v31, 0x7f, v28
	v_mov_b32_e32 v63, 0x7f800001
	s_mov_b32 s22, exec_lo
	v_cmpx_ne_u32_e32 0x7f, v31
	s_cbranch_execz .LBB357_1976
; %bb.1973:                             ;   in Loop: Header=BB357_15 Depth=1
	v_mov_b32_e32 v30, v14
	v_mov_b32_e32 v29, v13
	v_lshrrev_b32_e32 v30, 3, v31
	s_mov_b32 s23, exec_lo
	v_cmpx_gt_u32_e32 8, v31
; %bb.1974:                             ;   in Loop: Header=BB357_15 Depth=1
	v_and_b32_e32 v29, 7, v28
	v_ffbh_u32_e32 v29, v29
	v_min_u32_e32 v31, 32, v29
	v_subrev_nc_u32_e32 v29, 28, v31
	v_lshlrev_b64 v[29:30], v29, v[13:14]
	v_sub_nc_u32_e32 v30, 29, v31
; %bb.1975:                             ;   in Loop: Header=BB357_15 Depth=1
	s_or_b32 exec_lo, exec_lo, s23
	v_lshlrev_b32_e32 v29, 20, v29
	v_lshlrev_b32_e32 v31, 24, v13
	v_lshl_add_u32 v30, v30, 23, 0x3c000000
	v_and_b32_e32 v29, 0x700000, v29
	v_and_b32_e32 v31, 0x80000000, v31
	v_or3_b32 v63, v29, v31, v30
.LBB357_1976:                           ;   in Loop: Header=BB357_15 Depth=1
	s_or_b32 exec_lo, exec_lo, s22
.LBB357_1977:                           ;   in Loop: Header=BB357_15 Depth=1
	s_or_b32 exec_lo, exec_lo, s21
.LBB357_1978:                           ;   in Loop: Header=BB357_15 Depth=1
	s_or_b32 exec_lo, exec_lo, s20
	v_cmp_ne_u16_sdwa s5, v13, v14 src0_sel:BYTE_1 src1_sel:DWORD
	s_and_saveexec_b32 s20, s5
	s_cbranch_execz .LBB357_1986
; %bb.1979:                             ;   in Loop: Header=BB357_15 Depth=1
	v_cmp_ne_u16_sdwa s5, v13, v43 src0_sel:BYTE_1 src1_sel:DWORD
	v_bfrev_b32_e32 v89, 1
	s_and_saveexec_b32 s21, s5
	s_cbranch_execz .LBB357_1985
; %bb.1980:                             ;   in Loop: Header=BB357_15 Depth=1
	v_mov_b32_e32 v29, 0xffff
	v_mov_b32_e32 v104, v35
	;; [unrolled: 1-line block ×3, first 2 shown]
	s_mov_b32 s22, exec_lo
	v_and_b32_sdwa v29, v29, v13 dst_sel:DWORD dst_unused:UNUSED_PAD src0_sel:DWORD src1_sel:BYTE_1
	v_and_b32_e32 v35, 0x7f, v29
	v_cmpx_ne_u32_e32 0x7f, v35
	s_cbranch_execz .LBB357_1984
; %bb.1981:                             ;   in Loop: Header=BB357_15 Depth=1
	v_and_b32_e32 v29, 7, v29
	v_mov_b32_e32 v30, v14
	v_lshrrev_b32_e32 v31, 3, v35
	s_mov_b32 s23, exec_lo
	v_cmpx_gt_u32_e32 8, v35
; %bb.1982:                             ;   in Loop: Header=BB357_15 Depth=1
	v_ffbh_u32_e32 v31, v29
	v_min_u32_e32 v31, 32, v31
	v_subrev_nc_u32_e32 v35, 28, v31
	v_sub_nc_u32_e32 v31, 29, v31
	v_lshlrev_b64 v[29:30], v35, v[29:30]
	v_and_b32_e32 v29, 7, v29
; %bb.1983:                             ;   in Loop: Header=BB357_15 Depth=1
	s_or_b32 exec_lo, exec_lo, s23
	v_lshlrev_b32_e32 v13, 16, v13
	v_lshlrev_b32_e32 v29, 20, v29
	v_lshl_add_u32 v30, v31, 23, 0x3c000000
	v_and_b32_e32 v13, 0x80000000, v13
	v_or3_b32 v89, v29, v13, v30
.LBB357_1984:                           ;   in Loop: Header=BB357_15 Depth=1
	s_or_b32 exec_lo, exec_lo, s22
	v_mov_b32_e32 v35, v104
.LBB357_1985:                           ;   in Loop: Header=BB357_15 Depth=1
	s_or_b32 exec_lo, exec_lo, s21
.LBB357_1986:                           ;   in Loop: Header=BB357_15 Depth=1
	s_or_b32 exec_lo, exec_lo, s20
	v_and_b32_sdwa v13, v28, v93 dst_sel:DWORD dst_unused:UNUSED_PAD src0_sel:WORD_1 src1_sel:DWORD
	v_mov_b32_e32 v104, 0
	v_mov_b32_e32 v106, 0
	s_mov_b32 s20, exec_lo
	v_cmpx_ne_u16_e32 0, v13
	s_cbranch_execz .LBB357_1994
; %bb.1987:                             ;   in Loop: Header=BB357_15 Depth=1
	v_bfrev_b32_e32 v106, 1
	s_mov_b32 s21, exec_lo
	v_cmpx_ne_u16_e32 0x80, v13
	s_cbranch_execz .LBB357_1993
; %bb.1988:                             ;   in Loop: Header=BB357_15 Depth=1
	v_bfe_u32 v31, v28, 16, 7
	v_mov_b32_e32 v106, 0x7f800001
	s_mov_b32 s22, exec_lo
	v_cmpx_ne_u32_e32 0x7f, v31
	s_cbranch_execz .LBB357_1992
; %bb.1989:                             ;   in Loop: Header=BB357_15 Depth=1
	v_mov_b32_e32 v13, 7
	s_mov_b32 s23, exec_lo
	v_and_b32_sdwa v13, v28, v13 dst_sel:DWORD dst_unused:UNUSED_PAD src0_sel:WORD_1 src1_sel:DWORD
	v_mov_b32_e32 v30, v14
	v_lshrrev_b32_e32 v30, 3, v31
	v_mov_b32_e32 v29, v13
	v_cmpx_gt_u32_e32 8, v31
; %bb.1990:                             ;   in Loop: Header=BB357_15 Depth=1
	v_ffbh_u32_e32 v29, v13
	v_min_u32_e32 v31, 32, v29
	v_subrev_nc_u32_e32 v29, 28, v31
	v_lshlrev_b64 v[29:30], v29, v[13:14]
	v_sub_nc_u32_e32 v30, 29, v31
	v_and_b32_e32 v29, 7, v29
; %bb.1991:                             ;   in Loop: Header=BB357_15 Depth=1
	s_or_b32 exec_lo, exec_lo, s23
	v_mov_b32_e32 v13, 24
	v_lshlrev_b32_e32 v29, 20, v29
	v_lshl_add_u32 v30, v30, 23, 0x3c000000
	v_lshlrev_b32_sdwa v13, v13, v28 dst_sel:DWORD dst_unused:UNUSED_PAD src0_sel:DWORD src1_sel:WORD_1
	v_and_b32_e32 v13, 0x80000000, v13
	v_or3_b32 v106, v29, v13, v30
.LBB357_1992:                           ;   in Loop: Header=BB357_15 Depth=1
	s_or_b32 exec_lo, exec_lo, s22
.LBB357_1993:                           ;   in Loop: Header=BB357_15 Depth=1
	s_or_b32 exec_lo, exec_lo, s21
.LBB357_1994:                           ;   in Loop: Header=BB357_15 Depth=1
	s_or_b32 exec_lo, exec_lo, s20
	s_mov_b32 s20, exec_lo
	v_cmpx_lt_u64_e64 s[12:13], v[27:28]
	s_cbranch_execz .LBB357_2002
; %bb.1995:                             ;   in Loop: Header=BB357_15 Depth=1
	v_cmp_ne_u32_sdwa s5, v28, v43 src0_sel:BYTE_3 src1_sel:DWORD
	v_bfrev_b32_e32 v104, 1
	s_and_saveexec_b32 s21, s5
	s_cbranch_execz .LBB357_2001
; %bb.1996:                             ;   in Loop: Header=BB357_15 Depth=1
	v_bfe_u32 v31, v28, 24, 7
	v_mov_b32_e32 v104, 0x7f800001
	s_mov_b32 s22, exec_lo
	v_cmpx_ne_u32_e32 0x7f, v31
	s_cbranch_execz .LBB357_2000
; %bb.1997:                             ;   in Loop: Header=BB357_15 Depth=1
	v_mov_b32_e32 v13, 7
	v_lshrrev_b32_e32 v27, 3, v31
	s_mov_b32 s23, exec_lo
	v_and_b32_sdwa v13, v28, v13 dst_sel:DWORD dst_unused:UNUSED_PAD src0_sel:BYTE_3 src1_sel:DWORD
	v_mov_b32_e32 v30, v14
	v_mov_b32_e32 v29, v13
	v_cmpx_gt_u32_e32 8, v31
; %bb.1998:                             ;   in Loop: Header=BB357_15 Depth=1
	v_ffbh_u32_e32 v27, v13
	v_min_u32_e32 v27, 32, v27
	v_subrev_nc_u32_e32 v29, 28, v27
	v_sub_nc_u32_e32 v27, 29, v27
	v_lshlrev_b64 v[29:30], v29, v[13:14]
	v_and_b32_e32 v29, 7, v29
; %bb.1999:                             ;   in Loop: Header=BB357_15 Depth=1
	s_or_b32 exec_lo, exec_lo, s23
	v_mov_b32_e32 v13, 24
	v_lshl_add_u32 v27, v27, 23, 0x3c000000
	v_lshlrev_b32_sdwa v13, v13, v28 dst_sel:DWORD dst_unused:UNUSED_PAD src0_sel:DWORD src1_sel:BYTE_3
	v_lshlrev_b32_e32 v28, 20, v29
	v_and_b32_e32 v13, 0x80000000, v13
	v_or3_b32 v104, v28, v13, v27
.LBB357_2000:                           ;   in Loop: Header=BB357_15 Depth=1
	s_or_b32 exec_lo, exec_lo, s22
.LBB357_2001:                           ;   in Loop: Header=BB357_15 Depth=1
	s_or_b32 exec_lo, exec_lo, s21
.LBB357_2002:                           ;   in Loop: Header=BB357_15 Depth=1
	s_or_b32 exec_lo, exec_lo, s20
	flat_load_dwordx2 v[24:25], v[24:25] offset:1544
	v_mov_b32_e32 v13, 0
	v_mov_b32_e32 v31, 0
	buffer_store_dword v13, off, s[0:3], s32 offset:648 ; 4-byte Folded Spill
	s_waitcnt vmcnt(0) lgkmcnt(0)
	v_cmp_ne_u16_sdwa s5, v24, v14 src0_sel:BYTE_0 src1_sel:DWORD
	s_and_saveexec_b32 s20, s5
	s_cbranch_execz .LBB357_2010
; %bb.2003:                             ;   in Loop: Header=BB357_15 Depth=1
	v_cmp_ne_u16_sdwa s5, v24, v43 src0_sel:BYTE_0 src1_sel:DWORD
	v_bfrev_b32_e32 v31, 1
	s_and_saveexec_b32 s21, s5
	s_cbranch_execz .LBB357_2009
; %bb.2004:                             ;   in Loop: Header=BB357_15 Depth=1
	v_and_b32_e32 v27, 0x7f, v24
	v_mov_b32_e32 v31, 0x7f800001
	s_mov_b32 s22, exec_lo
	v_cmpx_ne_u32_e32 0x7f, v27
	s_cbranch_execz .LBB357_2008
; %bb.2005:                             ;   in Loop: Header=BB357_15 Depth=1
	v_lshrrev_b32_e32 v13, 3, v27
	v_cmp_gt_u32_e64 s5, 8, v27
	v_mov_b32_e32 v28, v25
	v_mov_b32_e32 v27, v24
	s_and_saveexec_b32 s23, s5
; %bb.2006:                             ;   in Loop: Header=BB357_15 Depth=1
	v_and_b32_e32 v13, 7, v24
	v_ffbh_u32_e32 v13, v13
	v_min_u32_e32 v13, 32, v13
	v_subrev_nc_u32_e32 v27, 28, v13
	v_sub_nc_u32_e32 v13, 29, v13
	v_lshlrev_b64 v[27:28], v27, v[24:25]
; %bb.2007:                             ;   in Loop: Header=BB357_15 Depth=1
	s_or_b32 exec_lo, exec_lo, s23
	v_lshlrev_b32_e32 v27, 20, v27
	v_lshlrev_b32_e32 v28, 24, v24
	v_lshl_add_u32 v13, v13, 23, 0x3c000000
	v_and_b32_e32 v27, 0x700000, v27
	v_and_b32_e32 v28, 0x80000000, v28
	v_or3_b32 v31, v27, v28, v13
.LBB357_2008:                           ;   in Loop: Header=BB357_15 Depth=1
	s_or_b32 exec_lo, exec_lo, s22
.LBB357_2009:                           ;   in Loop: Header=BB357_15 Depth=1
	s_or_b32 exec_lo, exec_lo, s21
.LBB357_2010:                           ;   in Loop: Header=BB357_15 Depth=1
	s_or_b32 exec_lo, exec_lo, s20
	v_cmp_ne_u16_sdwa s5, v24, v14 src0_sel:BYTE_1 src1_sel:DWORD
	s_and_saveexec_b32 s20, s5
	s_cbranch_execz .LBB357_2018
; %bb.2011:                             ;   in Loop: Header=BB357_15 Depth=1
	v_cmp_ne_u16_sdwa s5, v24, v43 src0_sel:BYTE_1 src1_sel:DWORD
	v_bfrev_b32_e32 v13, 1
	buffer_store_dword v13, off, s[0:3], s32 offset:648 ; 4-byte Folded Spill
	s_and_saveexec_b32 s21, s5
	s_cbranch_execz .LBB357_2017
; %bb.2012:                             ;   in Loop: Header=BB357_15 Depth=1
	v_mov_b32_e32 v13, 0xffff
	v_mov_b32_e32 v27, 0x7f800001
	s_mov_b32 s22, exec_lo
	v_and_b32_sdwa v13, v13, v24 dst_sel:DWORD dst_unused:UNUSED_PAD src0_sel:DWORD src1_sel:BYTE_1
	buffer_store_dword v27, off, s[0:3], s32 offset:648 ; 4-byte Folded Spill
	v_and_b32_e32 v29, 0x7f, v13
	v_cmpx_ne_u32_e32 0x7f, v29
	s_cbranch_execz .LBB357_2016
; %bb.2013:                             ;   in Loop: Header=BB357_15 Depth=1
	v_and_b32_e32 v13, 7, v13
	v_mov_b32_e32 v28, v14
	v_lshrrev_b32_e32 v28, 3, v29
	s_mov_b32 s23, exec_lo
	v_mov_b32_e32 v27, v13
	v_cmpx_gt_u32_e32 8, v29
; %bb.2014:                             ;   in Loop: Header=BB357_15 Depth=1
	v_ffbh_u32_e32 v27, v13
	v_min_u32_e32 v29, 32, v27
	v_subrev_nc_u32_e32 v27, 28, v29
	v_lshlrev_b64 v[27:28], v27, v[13:14]
	v_sub_nc_u32_e32 v28, 29, v29
	v_and_b32_e32 v27, 7, v27
; %bb.2015:                             ;   in Loop: Header=BB357_15 Depth=1
	s_or_b32 exec_lo, exec_lo, s23
	v_lshlrev_b32_e32 v13, 16, v24
	v_lshlrev_b32_e32 v27, 20, v27
	v_lshl_add_u32 v28, v28, 23, 0x3c000000
	v_and_b32_e32 v13, 0x80000000, v13
	v_or3_b32 v13, v27, v13, v28
	buffer_store_dword v13, off, s[0:3], s32 offset:648 ; 4-byte Folded Spill
.LBB357_2016:                           ;   in Loop: Header=BB357_15 Depth=1
	s_or_b32 exec_lo, exec_lo, s22
.LBB357_2017:                           ;   in Loop: Header=BB357_15 Depth=1
	s_or_b32 exec_lo, exec_lo, s21
.LBB357_2018:                           ;   in Loop: Header=BB357_15 Depth=1
	s_or_b32 exec_lo, exec_lo, s20
	v_and_b32_sdwa v13, v24, v93 dst_sel:DWORD dst_unused:UNUSED_PAD src0_sel:WORD_1 src1_sel:DWORD
	v_mov_b32_e32 v122, 0
	v_mov_b32_e32 v121, 0
	s_mov_b32 s20, exec_lo
	v_cmpx_ne_u16_e32 0, v13
	s_cbranch_execz .LBB357_2026
; %bb.2019:                             ;   in Loop: Header=BB357_15 Depth=1
	v_bfrev_b32_e32 v121, 1
	s_mov_b32 s21, exec_lo
	v_cmpx_ne_u16_e32 0x80, v13
	s_cbranch_execz .LBB357_2025
; %bb.2020:                             ;   in Loop: Header=BB357_15 Depth=1
	v_bfe_u32 v29, v24, 16, 7
	v_mov_b32_e32 v121, 0x7f800001
	s_mov_b32 s22, exec_lo
	v_cmpx_ne_u32_e32 0x7f, v29
	s_cbranch_execz .LBB357_2024
; %bb.2021:                             ;   in Loop: Header=BB357_15 Depth=1
	v_mov_b32_e32 v13, 7
	s_mov_b32 s23, exec_lo
	v_and_b32_sdwa v13, v24, v13 dst_sel:DWORD dst_unused:UNUSED_PAD src0_sel:WORD_1 src1_sel:DWORD
	v_mov_b32_e32 v28, v14
	v_lshrrev_b32_e32 v28, 3, v29
	v_mov_b32_e32 v27, v13
	v_cmpx_gt_u32_e32 8, v29
; %bb.2022:                             ;   in Loop: Header=BB357_15 Depth=1
	v_ffbh_u32_e32 v27, v13
	v_min_u32_e32 v29, 32, v27
	v_subrev_nc_u32_e32 v27, 28, v29
	v_lshlrev_b64 v[27:28], v27, v[13:14]
	v_sub_nc_u32_e32 v28, 29, v29
	v_and_b32_e32 v27, 7, v27
; %bb.2023:                             ;   in Loop: Header=BB357_15 Depth=1
	s_or_b32 exec_lo, exec_lo, s23
	v_mov_b32_e32 v13, 24
	v_lshlrev_b32_e32 v27, 20, v27
	v_lshl_add_u32 v28, v28, 23, 0x3c000000
	v_lshlrev_b32_sdwa v13, v13, v24 dst_sel:DWORD dst_unused:UNUSED_PAD src0_sel:DWORD src1_sel:WORD_1
	v_and_b32_e32 v13, 0x80000000, v13
	v_or3_b32 v121, v27, v13, v28
.LBB357_2024:                           ;   in Loop: Header=BB357_15 Depth=1
	s_or_b32 exec_lo, exec_lo, s22
.LBB357_2025:                           ;   in Loop: Header=BB357_15 Depth=1
	s_or_b32 exec_lo, exec_lo, s21
.LBB357_2026:                           ;   in Loop: Header=BB357_15 Depth=1
	s_or_b32 exec_lo, exec_lo, s20
	s_mov_b32 s20, exec_lo
	v_cmpx_lt_u32_e32 0xffffff, v24
	s_cbranch_execz .LBB357_2034
; %bb.2027:                             ;   in Loop: Header=BB357_15 Depth=1
	v_cmp_ne_u32_sdwa s5, v24, v43 src0_sel:BYTE_3 src1_sel:DWORD
	v_bfrev_b32_e32 v122, 1
	s_and_saveexec_b32 s21, s5
	s_cbranch_execz .LBB357_2033
; %bb.2028:                             ;   in Loop: Header=BB357_15 Depth=1
	v_bfe_u32 v29, v24, 24, 7
	v_mov_b32_e32 v122, 0x7f800001
	s_mov_b32 s22, exec_lo
	v_cmpx_ne_u32_e32 0x7f, v29
	s_cbranch_execz .LBB357_2032
; %bb.2029:                             ;   in Loop: Header=BB357_15 Depth=1
	v_mov_b32_e32 v13, 7
	s_mov_b32 s23, exec_lo
	v_and_b32_sdwa v13, v24, v13 dst_sel:DWORD dst_unused:UNUSED_PAD src0_sel:BYTE_3 src1_sel:DWORD
	v_mov_b32_e32 v28, v14
	v_lshrrev_b32_e32 v28, 3, v29
	v_mov_b32_e32 v27, v13
	v_cmpx_gt_u32_e32 8, v29
; %bb.2030:                             ;   in Loop: Header=BB357_15 Depth=1
	v_ffbh_u32_e32 v27, v13
	v_min_u32_e32 v29, 32, v27
	v_subrev_nc_u32_e32 v27, 28, v29
	v_lshlrev_b64 v[27:28], v27, v[13:14]
	v_sub_nc_u32_e32 v28, 29, v29
	v_and_b32_e32 v27, 7, v27
; %bb.2031:                             ;   in Loop: Header=BB357_15 Depth=1
	s_or_b32 exec_lo, exec_lo, s23
	v_mov_b32_e32 v13, 24
	v_lshlrev_b32_e32 v27, 20, v27
	v_lshl_add_u32 v28, v28, 23, 0x3c000000
	v_lshlrev_b32_sdwa v13, v13, v24 dst_sel:DWORD dst_unused:UNUSED_PAD src0_sel:DWORD src1_sel:BYTE_3
	v_and_b32_e32 v13, 0x80000000, v13
	v_or3_b32 v122, v27, v13, v28
.LBB357_2032:                           ;   in Loop: Header=BB357_15 Depth=1
	s_or_b32 exec_lo, exec_lo, s22
.LBB357_2033:                           ;   in Loop: Header=BB357_15 Depth=1
	s_or_b32 exec_lo, exec_lo, s21
.LBB357_2034:                           ;   in Loop: Header=BB357_15 Depth=1
	s_or_b32 exec_lo, exec_lo, s20
	v_mov_b32_e32 v13, v25
	v_cmp_ne_u16_sdwa s5, v25, v14 src0_sel:BYTE_0 src1_sel:DWORD
	v_mov_b32_e32 v125, 0
	v_mov_b32_e32 v124, 0
	s_and_saveexec_b32 s20, s5
	s_cbranch_execz .LBB357_2042
; %bb.2035:                             ;   in Loop: Header=BB357_15 Depth=1
	v_cmp_ne_u16_sdwa s5, v25, v43 src0_sel:BYTE_0 src1_sel:DWORD
	v_bfrev_b32_e32 v124, 1
	s_and_saveexec_b32 s21, s5
	s_cbranch_execz .LBB357_2041
; %bb.2036:                             ;   in Loop: Header=BB357_15 Depth=1
	v_and_b32_e32 v29, 0x7f, v25
	v_mov_b32_e32 v124, 0x7f800001
	s_mov_b32 s22, exec_lo
	v_cmpx_ne_u32_e32 0x7f, v29
	s_cbranch_execz .LBB357_2040
; %bb.2037:                             ;   in Loop: Header=BB357_15 Depth=1
	v_mov_b32_e32 v28, v14
	v_mov_b32_e32 v27, v13
	v_lshrrev_b32_e32 v28, 3, v29
	s_mov_b32 s23, exec_lo
	v_cmpx_gt_u32_e32 8, v29
; %bb.2038:                             ;   in Loop: Header=BB357_15 Depth=1
	v_and_b32_e32 v27, 7, v25
	v_ffbh_u32_e32 v27, v27
	v_min_u32_e32 v29, 32, v27
	v_subrev_nc_u32_e32 v27, 28, v29
	v_lshlrev_b64 v[27:28], v27, v[13:14]
	v_sub_nc_u32_e32 v28, 29, v29
; %bb.2039:                             ;   in Loop: Header=BB357_15 Depth=1
	s_or_b32 exec_lo, exec_lo, s23
	v_lshlrev_b32_e32 v27, 20, v27
	v_lshlrev_b32_e32 v29, 24, v13
	v_lshl_add_u32 v28, v28, 23, 0x3c000000
	v_and_b32_e32 v27, 0x700000, v27
	v_and_b32_e32 v29, 0x80000000, v29
	v_or3_b32 v124, v27, v29, v28
.LBB357_2040:                           ;   in Loop: Header=BB357_15 Depth=1
	s_or_b32 exec_lo, exec_lo, s22
.LBB357_2041:                           ;   in Loop: Header=BB357_15 Depth=1
	s_or_b32 exec_lo, exec_lo, s21
.LBB357_2042:                           ;   in Loop: Header=BB357_15 Depth=1
	s_or_b32 exec_lo, exec_lo, s20
	v_cmp_ne_u16_sdwa s5, v13, v14 src0_sel:BYTE_1 src1_sel:DWORD
	s_and_saveexec_b32 s20, s5
	s_cbranch_execz .LBB357_2050
; %bb.2043:                             ;   in Loop: Header=BB357_15 Depth=1
	v_cmp_ne_u16_sdwa s5, v13, v43 src0_sel:BYTE_1 src1_sel:DWORD
	v_bfrev_b32_e32 v125, 1
	s_and_saveexec_b32 s21, s5
	s_cbranch_execz .LBB357_2049
; %bb.2044:                             ;   in Loop: Header=BB357_15 Depth=1
	v_mov_b32_e32 v27, 0xffff
	v_mov_b32_e32 v125, 0x7f800001
	s_mov_b32 s22, exec_lo
	v_and_b32_sdwa v27, v27, v13 dst_sel:DWORD dst_unused:UNUSED_PAD src0_sel:DWORD src1_sel:BYTE_1
	v_and_b32_e32 v30, 0x7f, v27
	v_cmpx_ne_u32_e32 0x7f, v30
	s_cbranch_execz .LBB357_2048
; %bb.2045:                             ;   in Loop: Header=BB357_15 Depth=1
	v_and_b32_e32 v27, 7, v27
	v_mov_b32_e32 v28, v14
	v_lshrrev_b32_e32 v29, 3, v30
	s_mov_b32 s23, exec_lo
	v_cmpx_gt_u32_e32 8, v30
; %bb.2046:                             ;   in Loop: Header=BB357_15 Depth=1
	v_ffbh_u32_e32 v29, v27
	v_min_u32_e32 v29, 32, v29
	v_subrev_nc_u32_e32 v30, 28, v29
	v_sub_nc_u32_e32 v29, 29, v29
	v_lshlrev_b64 v[27:28], v30, v[27:28]
	v_and_b32_e32 v27, 7, v27
; %bb.2047:                             ;   in Loop: Header=BB357_15 Depth=1
	s_or_b32 exec_lo, exec_lo, s23
	v_lshlrev_b32_e32 v13, 16, v13
	v_lshlrev_b32_e32 v27, 20, v27
	v_lshl_add_u32 v28, v29, 23, 0x3c000000
	v_and_b32_e32 v13, 0x80000000, v13
	v_or3_b32 v125, v27, v13, v28
.LBB357_2048:                           ;   in Loop: Header=BB357_15 Depth=1
	s_or_b32 exec_lo, exec_lo, s22
.LBB357_2049:                           ;   in Loop: Header=BB357_15 Depth=1
	s_or_b32 exec_lo, exec_lo, s21
.LBB357_2050:                           ;   in Loop: Header=BB357_15 Depth=1
	s_or_b32 exec_lo, exec_lo, s20
	v_and_b32_sdwa v13, v25, v93 dst_sel:DWORD dst_unused:UNUSED_PAD src0_sel:WORD_1 src1_sel:DWORD
	v_mov_b32_e32 v93, 0
	v_mov_b32_e32 v27, 0
	s_mov_b32 s20, exec_lo
	v_cmpx_ne_u16_e32 0, v13
	s_cbranch_execz .LBB357_2058
; %bb.2051:                             ;   in Loop: Header=BB357_15 Depth=1
	v_bfrev_b32_e32 v27, 1
	s_mov_b32 s21, exec_lo
	v_cmpx_ne_u16_e32 0x80, v13
	s_cbranch_execz .LBB357_2057
; %bb.2052:                             ;   in Loop: Header=BB357_15 Depth=1
	v_bfe_u32 v29, v25, 16, 7
	v_mov_b32_e32 v27, 0x7f800001
	s_mov_b32 s22, exec_lo
	v_cmpx_ne_u32_e32 0x7f, v29
	s_cbranch_execz .LBB357_2056
; %bb.2053:                             ;   in Loop: Header=BB357_15 Depth=1
	v_mov_b32_e32 v13, 7
	s_mov_b32 s23, exec_lo
	v_and_b32_sdwa v13, v25, v13 dst_sel:DWORD dst_unused:UNUSED_PAD src0_sel:WORD_1 src1_sel:DWORD
	v_mov_b32_e32 v28, v14
	v_lshrrev_b32_e32 v28, 3, v29
	v_mov_b32_e32 v27, v13
	v_cmpx_gt_u32_e32 8, v29
; %bb.2054:                             ;   in Loop: Header=BB357_15 Depth=1
	v_ffbh_u32_e32 v27, v13
	v_min_u32_e32 v29, 32, v27
	v_subrev_nc_u32_e32 v27, 28, v29
	v_lshlrev_b64 v[27:28], v27, v[13:14]
	v_sub_nc_u32_e32 v28, 29, v29
	v_and_b32_e32 v27, 7, v27
; %bb.2055:                             ;   in Loop: Header=BB357_15 Depth=1
	s_or_b32 exec_lo, exec_lo, s23
	v_mov_b32_e32 v13, 24
	v_lshlrev_b32_e32 v27, 20, v27
	v_lshl_add_u32 v28, v28, 23, 0x3c000000
	v_lshlrev_b32_sdwa v13, v13, v25 dst_sel:DWORD dst_unused:UNUSED_PAD src0_sel:DWORD src1_sel:WORD_1
	v_and_b32_e32 v13, 0x80000000, v13
	v_or3_b32 v27, v27, v13, v28
.LBB357_2056:                           ;   in Loop: Header=BB357_15 Depth=1
	s_or_b32 exec_lo, exec_lo, s22
.LBB357_2057:                           ;   in Loop: Header=BB357_15 Depth=1
	s_or_b32 exec_lo, exec_lo, s21
.LBB357_2058:                           ;   in Loop: Header=BB357_15 Depth=1
	s_or_b32 exec_lo, exec_lo, s20
	buffer_store_dword v27, off, s[0:3], s32 offset:1088 ; 4-byte Folded Spill
	buffer_store_dword v31, off, s[0:3], s32 offset:912 ; 4-byte Folded Spill
	;; [unrolled: 1-line block ×3, first 2 shown]
	buffer_load_dword v77, off, s[0:3], s32 offset:460 ; 4-byte Folded Reload
	v_mov_b32_e32 v30, v35
	buffer_load_dword v35, off, s[0:3], s32 offset:716 ; 4-byte Folded Reload
	s_mov_b32 s20, exec_lo
	v_cmpx_lt_u64_e64 s[12:13], v[24:25]
	s_cbranch_execz .LBB357_13
; %bb.2059:                             ;   in Loop: Header=BB357_15 Depth=1
	v_cmp_ne_u32_sdwa s5, v25, v43 src0_sel:BYTE_3 src1_sel:DWORD
	v_bfrev_b32_e32 v93, 1
	s_and_saveexec_b32 s21, s5
	s_cbranch_execz .LBB357_12
; %bb.2060:                             ;   in Loop: Header=BB357_15 Depth=1
	v_bfe_u32 v29, v25, 24, 7
	v_mov_b32_e32 v93, 0x7f800001
	s_mov_b32 s22, exec_lo
	v_cmpx_ne_u32_e32 0x7f, v29
	s_cbranch_execz .LBB357_11
; %bb.2061:                             ;   in Loop: Header=BB357_15 Depth=1
	v_mov_b32_e32 v13, 7
	v_lshrrev_b32_e32 v24, 3, v29
	s_mov_b32 s23, exec_lo
	v_and_b32_sdwa v13, v25, v13 dst_sel:DWORD dst_unused:UNUSED_PAD src0_sel:BYTE_3 src1_sel:DWORD
	v_mov_b32_e32 v28, v14
	v_mov_b32_e32 v27, v13
	v_cmpx_gt_u32_e32 8, v29
	s_cbranch_execz .LBB357_10
; %bb.2062:                             ;   in Loop: Header=BB357_15 Depth=1
	v_ffbh_u32_e32 v24, v13
	v_min_u32_e32 v24, 32, v24
	v_subrev_nc_u32_e32 v27, 28, v24
	v_sub_nc_u32_e32 v24, 29, v24
	v_lshlrev_b64 v[27:28], v27, v[13:14]
	v_and_b32_e32 v27, 7, v27
	s_branch .LBB357_10
.LBB357_2063:
	s_or_b32 exec_lo, exec_lo, s18
	s_clause 0xa
	buffer_load_dword v26, off, s[0:3], s32 offset:2336
	buffer_load_dword v33, off, s[0:3], s32 offset:2340
	;; [unrolled: 1-line block ×11, first 2 shown]
.LBB357_2064:
	s_or_b32 exec_lo, exec_lo, s17
	v_mbcnt_lo_u32_b32 v0, -1, 0
	v_max_f32_e32 v4, v7, v7
	s_waitcnt lgkmcnt(0)
	s_lshr_b32 s12, s7, 16
	v_xor_b32_e32 v1, 16, v0
	v_xor_b32_e32 v3, 8, v0
	v_cmp_gt_i32_e32 vcc_lo, 32, v1
	v_cndmask_b32_e32 v1, v0, v1, vcc_lo
	v_cmp_gt_i32_e32 vcc_lo, 32, v3
	v_lshlrev_b32_e32 v1, 2, v1
	v_cndmask_b32_e32 v3, v0, v3, vcc_lo
	ds_bpermute_b32 v2, v1, v7
	s_waitcnt lgkmcnt(0)
	v_max_f32_e32 v5, v2, v2
	v_lshlrev_b32_e32 v2, 2, v3
	v_max_f32_e32 v4, v4, v5
	v_xor_b32_e32 v5, 4, v0
	ds_bpermute_b32 v3, v2, v4
	v_cmp_gt_i32_e32 vcc_lo, 32, v5
	v_cndmask_b32_e32 v5, v0, v5, vcc_lo
	s_waitcnt lgkmcnt(0)
	v_max_f32_e32 v6, v3, v3
	v_lshlrev_b32_e32 v3, 2, v5
	v_max_f32_e32 v4, v4, v6
	v_xor_b32_e32 v6, 2, v0
	ds_bpermute_b32 v5, v3, v4
	v_cmp_gt_i32_e32 vcc_lo, 32, v6
	v_cndmask_b32_e32 v6, v0, v6, vcc_lo
	v_lshlrev_b32_e32 v39, 2, v6
	v_xor_b32_e32 v6, 1, v0
	v_cmp_gt_i32_e32 vcc_lo, 32, v6
	s_waitcnt lgkmcnt(0)
	v_max_f32_e32 v5, v5, v5
	v_cndmask_b32_e32 v6, v0, v6, vcc_lo
	v_max_f32_e32 v4, v4, v5
	v_lshlrev_b32_e32 v70, 2, v6
	ds_bpermute_b32 v5, v39, v4
	s_waitcnt lgkmcnt(0)
	v_max_f32_e32 v5, v5, v5
	v_max_f32_e32 v0, v4, v5
	buffer_load_dword v4, off, s[0:3], s32 offset:1256 ; 4-byte Folded Reload
	ds_bpermute_b32 v5, v70, v0
	s_waitcnt vmcnt(0)
	v_cmp_eq_u32_e32 vcc_lo, 0, v4
	buffer_load_dword v4, off, s[0:3], s32 offset:2324 ; 4-byte Folded Reload
	s_waitcnt vmcnt(0)
	v_lshlrev_b32_e32 v4, 2, v4
	s_and_saveexec_b32 s5, vcc_lo
	s_cbranch_execz .LBB357_2066
; %bb.2065:
	s_waitcnt lgkmcnt(0)
	v_max_f32_e32 v5, v5, v5
	v_max_f32_e32 v0, v0, v0
	;; [unrolled: 1-line block ×3, first 2 shown]
	ds_write_b32 v4, v0 offset:512
.LBB357_2066:
	s_or_b32 exec_lo, exec_lo, s5
	buffer_load_dword v0, off, s[0:3], s32 offset:1256 ; 4-byte Folded Reload
	s_waitcnt vmcnt(0) lgkmcnt(0)
	s_waitcnt_vscnt null, 0x0
	s_barrier
	buffer_gl0_inv
	v_cmp_gt_u32_e64 s5, 4, v0
	v_mov_b32_e32 v0, 0xff7fffff
	s_and_saveexec_b32 s6, s5
; %bb.2067:
	ds_read_b32 v0, v13 offset:512
; %bb.2068:
	s_or_b32 exec_lo, exec_lo, s6
	s_waitcnt lgkmcnt(0)
	ds_bpermute_b32 v5, v39, v0
	v_max_f32_e32 v0, v0, v0
	buffer_load_dword v7, off, s[0:3], s32 offset:1260 ; 4-byte Folded Reload
	s_waitcnt lgkmcnt(0)
	v_max_f32_e32 v5, v5, v5
	v_max_f32_e32 v0, v0, v5
	ds_bpermute_b32 v5, v70, v0
	s_waitcnt lgkmcnt(0)
	v_max_f32_e32 v5, v5, v5
	v_max_f32_e32 v0, v0, v5
	v_mov_b32_e32 v5, 0
	ds_bpermute_b32 v6, v5, v0
	buffer_load_dword v0, off, s[0:3], s32 offset:192 ; 4-byte Folded Reload
	s_waitcnt vmcnt(0)
	v_lshlrev_b32_e32 v0, 5, v0
	v_min_i32_e32 v0, v0, v49
	v_cmp_lt_i32_e64 s6, v7, v0
	s_and_saveexec_b32 s13, s6
	s_cbranch_execz .LBB357_2072
; %bb.2069:
	buffer_load_dword v8, off, s[0:3], s32 offset:1260 ; 4-byte Folded Reload
	s_load_dword s7, s[8:9], 0x0
	v_mov_b32_e32 v5, 0
	s_mov_b32 s17, 0
	s_waitcnt vmcnt(0) lgkmcnt(0)
	v_lshl_add_u32 v7, v8, 2, s7
	.p2align	6
.LBB357_2070:                           ; =>This Inner Loop Header: Depth=1
	ds_read_b32 v9, v7
	v_add_nc_u32_e32 v8, 0x80, v8
	v_cmp_ge_i32_e64 s7, v8, v0
	s_or_b32 s17, s7, s17
	s_waitcnt lgkmcnt(0)
	v_sub_f32_e32 v9, v9, v6
	v_mul_f32_e32 v9, 0x3fb8aa3b, v9
	v_exp_f32_e32 v9, v9
	ds_write_b32 v7, v9
	v_add_f32_e32 v5, v5, v9
	v_add_nc_u32_e32 v7, 0x200, v7
	s_andn2_b32 exec_lo, exec_lo, s17
	s_cbranch_execnz .LBB357_2070
; %bb.2071:
	s_or_b32 exec_lo, exec_lo, s17
.LBB357_2072:
	s_or_b32 exec_lo, exec_lo, s13
	ds_bpermute_b32 v1, v1, v5
	s_waitcnt lgkmcnt(0)
	v_add_f32_e32 v1, v5, v1
	ds_bpermute_b32 v2, v2, v1
	s_waitcnt lgkmcnt(0)
	v_add_f32_e32 v1, v1, v2
	;; [unrolled: 3-line block ×5, first 2 shown]
	s_and_saveexec_b32 s7, vcc_lo
; %bb.2073:
	ds_write_b32 v4, v1 offset:528
; %bb.2074:
	s_or_b32 exec_lo, exec_lo, s7
	s_waitcnt lgkmcnt(0)
	s_barrier
	buffer_gl0_inv
	s_and_saveexec_b32 s7, s5
; %bb.2075:
	ds_read_b32 v1, v13 offset:528
; %bb.2076:
	s_or_b32 exec_lo, exec_lo, s7
	s_waitcnt lgkmcnt(0)
	ds_bpermute_b32 v2, v39, v1
	s_waitcnt lgkmcnt(0)
	v_add_f32_e32 v1, v1, v2
	ds_bpermute_b32 v2, v70, v1
	s_waitcnt lgkmcnt(0)
	v_add_f32_e32 v1, v1, v2
	v_mov_b32_e32 v2, 0
	ds_bpermute_b32 v1, v2, v1
	s_and_saveexec_b32 s5, s6
	s_cbranch_execz .LBB357_2079
; %bb.2077:
	s_waitcnt lgkmcnt(0)
	v_add_f32_e32 v2, 0x358637bd, v1
	s_load_dword s6, s[8:9], 0x0
	v_div_scale_f32 v1, null, v2, v2, 1.0
	v_div_scale_f32 v5, vcc_lo, 1.0, v2, 1.0
	v_rcp_f32_e32 v3, v1
	v_fma_f32 v4, -v1, v3, 1.0
	v_fmac_f32_e32 v3, v4, v3
	v_mul_f32_e32 v4, v5, v3
	v_fma_f32 v6, -v1, v4, v5
	v_fmac_f32_e32 v4, v6, v3
	v_fma_f32 v1, -v1, v4, v5
	v_div_fmas_f32 v3, v1, v3, v4
	buffer_load_dword v4, off, s[0:3], s32 offset:1260 ; 4-byte Folded Reload
	v_div_fixup_f32 v2, v3, v2, 1.0
	s_waitcnt vmcnt(0) lgkmcnt(0)
	v_lshl_add_u32 v1, v4, 2, s6
	v_mov_b32_e32 v3, v4
	s_mov_b32 s6, 0
.LBB357_2078:                           ; =>This Inner Loop Header: Depth=1
	ds_read_b32 v4, v1
	v_add_nc_u32_e32 v3, 0x80, v3
	v_cmp_ge_i32_e32 vcc_lo, v3, v0
	s_or_b32 s6, vcc_lo, s6
	s_waitcnt lgkmcnt(0)
	v_mul_f32_e32 v4, v2, v4
	ds_write_b32 v1, v4
	v_add_nc_u32_e32 v1, 0x200, v1
	s_andn2_b32 exec_lo, exec_lo, s6
	s_cbranch_execnz .LBB357_2078
.LBB357_2079:
	s_or_b32 exec_lo, exec_lo, s5
	v_mov_b32_e32 v31, 0
	v_mov_b32_e32 v30, 0
	;; [unrolled: 1-line block ×32, first 2 shown]
	s_waitcnt lgkmcnt(0)
	s_barrier
	buffer_gl0_inv
	s_and_saveexec_b32 s5, s4
	s_cbranch_execz .LBB357_4197
; %bb.2080:
	v_add_co_u32 v1, vcc_lo, v10, v37
	buffer_store_dword v39, off, s[0:3], s32 offset:1020 ; 4-byte Folded Spill
	buffer_store_dword v70, off, s[0:3], s32 offset:1016 ; 4-byte Folded Spill
	v_max_i32_e32 v112, v26, v36
	v_mov_b32_e32 v14, 0
	buffer_store_dword v1, off, s[0:3], s32 offset:988 ; 4-byte Folded Spill
	v_add_co_ci_u32_e64 v1, null, v11, v38, vcc_lo
	v_add_co_u32 v2, vcc_lo, v34, v12
	v_add_co_ci_u32_e64 v3, null, v33, v35, vcc_lo
	buffer_store_dword v1, off, s[0:3], s32 offset:992 ; 4-byte Folded Spill
	buffer_load_dword v1, off, s[0:3], s32 offset:1260 ; 4-byte Folded Reload
	buffer_store_dword v2, off, s[0:3], s32 offset:996 ; 4-byte Folded Spill
	buffer_store_dword v3, off, s[0:3], s32 offset:1000 ; 4-byte Folded Spill
	buffer_load_dword v15, off, s[0:3], s32 offset:2324 ; 4-byte Folded Reload
	v_cvt_f32_u32_e32 v0, v112
	v_mov_b32_e32 v2, 0
	v_mov_b32_e32 v3, 0
	;; [unrolled: 1-line block ×4, first 2 shown]
	v_rcp_iflag_f32_e32 v0, v0
	buffer_store_dword v2, off, s[0:3], s32 offset:860 ; 4-byte Folded Spill
	v_mov_b32_e32 v2, 0
	buffer_store_dword v3, off, s[0:3], s32 offset:876 ; 4-byte Folded Spill
	v_mov_b32_e32 v3, 0
	v_mov_b32_e32 v114, 0
	s_mov_b32 s6, -1
	buffer_store_dword v2, off, s[0:3], s32 offset:864 ; 4-byte Folded Spill
	v_mov_b32_e32 v2, 0
	buffer_store_dword v3, off, s[0:3], s32 offset:880 ; 4-byte Folded Spill
	v_mul_f32_e32 v0, 0x4f7ffffe, v0
	v_mov_b32_e32 v3, 0
	s_mov_b32 s7, 0xffffff
	buffer_store_dword v2, off, s[0:3], s32 offset:868 ; 4-byte Folded Spill
	v_mov_b32_e32 v2, 0
	v_cvt_u32_f32_e32 v0, v0
	buffer_store_dword v3, off, s[0:3], s32 offset:884 ; 4-byte Folded Spill
	v_mov_b32_e32 v3, 0
	s_mov_b32 s13, 0
	buffer_store_dword v2, off, s[0:3], s32 offset:872 ; 4-byte Folded Spill
	v_sub_nc_u32_e32 v2, 0, v112
	buffer_store_dword v3, off, s[0:3], s32 offset:888 ; 4-byte Folded Spill
	v_mov_b32_e32 v3, 0
	v_mul_lo_u32 v2, v2, v0
	buffer_store_dword v3, off, s[0:3], s32 offset:892 ; 4-byte Folded Spill
	v_mov_b32_e32 v3, 0
	v_mul_hi_u32 v2, v0, v2
	buffer_store_dword v3, off, s[0:3], s32 offset:896 ; 4-byte Folded Spill
	v_mov_b32_e32 v3, 0
	buffer_store_dword v3, off, s[0:3], s32 offset:900 ; 4-byte Folded Spill
	v_add_nc_u32_e32 v0, v0, v2
	v_mov_b32_e32 v3, 0
	buffer_store_dword v0, off, s[0:3], s32 offset:984 ; 4-byte Folded Spill
	v_mov_b32_e32 v0, 0
	buffer_store_dword v3, off, s[0:3], s32 offset:904 ; 4-byte Folded Spill
	;; [unrolled: 2-line block ×16, first 2 shown]
	buffer_store_dword v0, off, s[0:3], s32 offset:964 ; 4-byte Folded Spill
	v_mov_b32_e32 v0, 0
	buffer_store_dword v0, off, s[0:3], s32 offset:968 ; 4-byte Folded Spill
	v_mov_b32_e32 v0, 0
	;; [unrolled: 2-line block ×4, first 2 shown]
	buffer_store_dword v0, off, s[0:3], s32 offset:980 ; 4-byte Folded Spill
	s_waitcnt vmcnt(1)
	v_lshlrev_b32_e32 v1, 3, v1
	v_and_b32_e32 v3, 24, v1
	buffer_store_dword v3, off, s[0:3], s32 offset:1004 ; 4-byte Folded Spill
	v_and_b32_e32 v3, 0xf8, v1
	v_or_b32_e32 v1, 0x1f00, v1
	buffer_store_dword v3, off, s[0:3], s32 offset:1008 ; 4-byte Folded Spill
	buffer_store_dword v1, off, s[0:3], s32 offset:1012 ; 4-byte Folded Spill
	s_branch .LBB357_2083
.LBB357_2081:                           ;   in Loop: Header=BB357_2083 Depth=1
	s_or_b32 exec_lo, exec_lo, s4
	v_bfe_u32 v18, v6, 16, 1
	v_or_b32_e32 v31, 0x400000, v6
	v_cmp_u_f32_e32 vcc_lo, v6, v6
	v_lshlrev_b32_e32 v11, 16, v11
	v_lshlrev_b32_e32 v10, 16, v10
	v_add3_u32 v18, v18, v6, 0x7fff
	v_lshlrev_b32_e32 v26, 16, v26
	v_lshlrev_b32_e32 v27, 16, v27
	;; [unrolled: 1-line block ×4, first 2 shown]
	v_cndmask_b32_e32 v6, v18, v31, vcc_lo
	v_bfe_u32 v18, v7, 16, 1
	v_or_b32_e32 v31, 0x400000, v7
	v_cmp_u_f32_e32 vcc_lo, v7, v7
	v_lshlrev_b32_e32 v0, 16, v0
	v_lshlrev_b32_e32 v12, 16, v12
	v_add3_u32 v18, v18, v7, 0x7fff
	v_lshlrev_b32_e32 v21, 16, v21
	v_cndmask_b32_e32 v7, v18, v31, vcc_lo
	v_bfe_u32 v18, v8, 16, 1
	v_or_b32_e32 v31, 0x400000, v8
	v_cmp_u_f32_e32 vcc_lo, v8, v8
	v_add3_u32 v18, v18, v8, 0x7fff
	v_bfe_u32 v8, v9, 16, 1
	v_cndmask_b32_e32 v18, v18, v31, vcc_lo
	v_add3_u32 v8, v8, v9, 0x7fff
	v_or_b32_e32 v31, 0x400000, v9
	v_cmp_u_f32_e32 vcc_lo, v9, v9
	v_or_b32_e32 v9, 0x400000, v2
	v_cndmask_b32_e32 v31, v8, v31, vcc_lo
	v_bfe_u32 v8, v2, 16, 1
	v_cmp_u_f32_e32 vcc_lo, v2, v2
	v_add3_u32 v8, v8, v2, 0x7fff
	v_cndmask_b32_e32 v2, v8, v9, vcc_lo
	v_bfe_u32 v8, v3, 16, 1
	v_or_b32_e32 v9, 0x400000, v3
	v_cmp_u_f32_e32 vcc_lo, v3, v3
	v_add3_u32 v8, v8, v3, 0x7fff
	v_cndmask_b32_e32 v3, v8, v9, vcc_lo
	v_bfe_u32 v8, v4, 16, 1
	v_or_b32_e32 v9, 0x400000, v4
	v_cmp_u_f32_e32 vcc_lo, v4, v4
	v_add3_u32 v8, v8, v4, 0x7fff
	v_bfe_u32 v4, v5, 16, 1
	v_cndmask_b32_e32 v32, v8, v9, vcc_lo
	v_add3_u32 v4, v4, v5, 0x7fff
	v_or_b32_e32 v8, 0x400000, v5
	v_cmp_u_f32_e32 vcc_lo, v5, v5
	v_and_b32_e32 v9, 0xffff0000, v6
	v_cndmask_b32_e32 v50, v4, v8, vcc_lo
	v_and_b32_e32 v8, 0xffff0000, v7
	v_lshlrev_b32_e32 v4, 16, v67
	v_mul_f32_e32 v11, v8, v11
	v_mul_f32_e32 v4, v8, v4
	v_bfe_u32 v5, v4, 16, 1
	v_or_b32_e32 v7, 0x400000, v4
	v_cmp_u_f32_e32 vcc_lo, v4, v4
	v_add3_u32 v5, v5, v4, 0x7fff
	v_lshlrev_b32_e32 v4, 16, v69
	v_cndmask_b32_e32 v51, v5, v7, vcc_lo
	v_mul_f32_e32 v4, v9, v4
	v_and_b32_e32 v51, 0xffff0000, v51
	v_bfe_u32 v5, v4, 16, 1
	v_or_b32_e32 v6, 0x400000, v4
	v_cmp_u_f32_e32 vcc_lo, v4, v4
	v_add3_u32 v5, v5, v4, 0x7fff
	v_lshlrev_b32_e32 v4, 16, v65
	v_cndmask_b32_e32 v52, v5, v6, vcc_lo
	v_and_b32_e32 v6, 0xffff0000, v31
	v_and_b32_e32 v52, 0xffff0000, v52
	v_mul_f32_e32 v4, v6, v4
	v_add_f32_e32 v51, v52, v51
	v_bfe_u32 v5, v4, 16, 1
	v_or_b32_e32 v7, 0x400000, v4
	v_cmp_u_f32_e32 vcc_lo, v4, v4
	v_add3_u32 v5, v5, v4, 0x7fff
	v_lshlrev_b32_e32 v4, 16, v66
	v_cndmask_b32_e32 v31, v5, v7, vcc_lo
	v_and_b32_e32 v7, 0xffff0000, v18
	v_and_b32_e32 v31, 0xffff0000, v31
	v_mul_f32_e32 v4, v7, v4
	v_mul_f32_e32 v10, v7, v10
	;; [unrolled: 1-line block ×3, first 2 shown]
	v_bfe_u32 v5, v4, 16, 1
	v_or_b32_e32 v18, 0x400000, v4
	v_cmp_u_f32_e32 vcc_lo, v4, v4
	v_add3_u32 v5, v5, v4, 0x7fff
	v_and_b32_e32 v4, 0xffff0000, v3
	v_lshlrev_b32_e32 v3, 16, v37
	v_cndmask_b32_e32 v18, v5, v18, vcc_lo
	v_mul_f32_e32 v26, v4, v26
	v_mul_f32_e32 v3, v4, v3
	;; [unrolled: 1-line block ×3, first 2 shown]
	v_and_b32_e32 v18, 0xffff0000, v18
	v_bfe_u32 v5, v3, 16, 1
	v_or_b32_e32 v37, 0x400000, v3
	v_cmp_u_f32_e32 vcc_lo, v3, v3
	v_add_f32_e32 v18, v18, v31
	v_add3_u32 v5, v5, v3, 0x7fff
	v_add_f32_e32 v18, v51, v18
	v_cndmask_b32_e32 v37, v5, v37, vcc_lo
	v_and_b32_e32 v5, 0xffff0000, v2
	v_lshlrev_b32_e32 v2, 16, v64
	v_and_b32_e32 v37, 0xffff0000, v37
	v_mul_f32_e32 v27, v5, v27
	v_mul_f32_e32 v2, v5, v2
	;; [unrolled: 1-line block ×3, first 2 shown]
	v_bfe_u32 v3, v2, 16, 1
	v_or_b32_e32 v64, 0x400000, v2
	v_cmp_u_f32_e32 vcc_lo, v2, v2
	v_add3_u32 v3, v3, v2, 0x7fff
	v_and_b32_e32 v2, 0xffff0000, v50
	v_cndmask_b32_e32 v64, v3, v64, vcc_lo
	v_lshlrev_b32_e32 v3, 16, v70
	v_mul_f32_e32 v21, v2, v21
	v_and_b32_e32 v31, 0xffff0000, v64
	v_mul_f32_e32 v3, v2, v3
	v_add_f32_e32 v31, v31, v37
	v_bfe_u32 v50, v3, 16, 1
	v_or_b32_e32 v65, 0x400000, v3
	v_cmp_u_f32_e32 vcc_lo, v3, v3
	v_add_f32_e32 v18, v18, v31
	v_add3_u32 v50, v50, v3, 0x7fff
	v_and_b32_e32 v3, 0xffff0000, v32
	v_lshlrev_b32_e32 v32, 16, v68
	v_cndmask_b32_e32 v50, v50, v65, vcc_lo
	v_mul_f32_e32 v12, v3, v12
	v_mul_f32_e32 v32, v3, v32
	v_bfe_u32 v65, v32, 16, 1
	v_or_b32_e32 v66, 0x400000, v32
	v_cmp_u_f32_e32 vcc_lo, v32, v32
	v_add3_u32 v65, v65, v32, 0x7fff
	v_cndmask_b32_e32 v32, v65, v66, vcc_lo
	v_cmp_u_f32_e32 vcc_lo, v11, v11
	v_and_b32_e32 v31, 0xffff0000, v32
	v_and_b32_e32 v32, 0xffff0000, v50
	v_add_f32_e32 v31, v31, v32
	v_add_f32_e32 v18, v18, v31
	buffer_load_dword v31, off, s[0:3], s32 offset:860 ; 4-byte Folded Reload
	s_waitcnt vmcnt(0)
	v_add_f32_e32 v31, v31, v18
	v_bfe_u32 v18, v11, 16, 1
	buffer_store_dword v31, off, s[0:3], s32 offset:860 ; 4-byte Folded Spill
	v_add3_u32 v18, v18, v11, 0x7fff
	v_or_b32_e32 v31, 0x400000, v11
	v_cndmask_b32_e32 v11, v18, v31, vcc_lo
	v_lshlrev_b32_e32 v18, 16, v54
	v_and_b32_e32 v11, 0xffff0000, v11
	v_mul_f32_e32 v18, v9, v18
	v_bfe_u32 v31, v18, 16, 1
	v_or_b32_e32 v32, 0x400000, v18
	v_cmp_u_f32_e32 vcc_lo, v18, v18
	v_add3_u32 v31, v31, v18, 0x7fff
	v_cndmask_b32_e32 v18, v31, v32, vcc_lo
	v_lshlrev_b32_e32 v31, 16, v33
	v_and_b32_e32 v18, 0xffff0000, v18
	v_mul_f32_e32 v31, v6, v31
	v_add_f32_e32 v11, v18, v11
	v_bfe_u32 v32, v31, 16, 1
	v_or_b32_e32 v33, 0x400000, v31
	v_cmp_u_f32_e32 vcc_lo, v31, v31
	v_add3_u32 v32, v32, v31, 0x7fff
	v_cndmask_b32_e32 v31, v32, v33, vcc_lo
	v_bfe_u32 v32, v10, 16, 1
	v_or_b32_e32 v33, 0x400000, v10
	v_cmp_u_f32_e32 vcc_lo, v10, v10
	v_and_b32_e32 v18, 0xffff0000, v31
	v_add3_u32 v32, v32, v10, 0x7fff
	v_cndmask_b32_e32 v10, v32, v33, vcc_lo
	v_bfe_u32 v32, v26, 16, 1
	v_or_b32_e32 v33, 0x400000, v26
	v_cmp_u_f32_e32 vcc_lo, v26, v26
	v_and_b32_e32 v10, 0xffff0000, v10
	v_add3_u32 v32, v32, v26, 0x7fff
	v_add_f32_e32 v10, v10, v18
	v_cndmask_b32_e32 v26, v32, v33, vcc_lo
	v_bfe_u32 v32, v27, 16, 1
	v_or_b32_e32 v33, 0x400000, v27
	v_cmp_u_f32_e32 vcc_lo, v27, v27
	v_add_f32_e32 v10, v11, v10
	v_and_b32_e32 v18, 0xffff0000, v26
	v_add3_u32 v32, v32, v27, 0x7fff
	v_cndmask_b32_e32 v27, v32, v33, vcc_lo
	v_lshlrev_b32_e32 v32, 16, v55
	v_and_b32_e32 v11, 0xffff0000, v27
	v_mul_f32_e32 v32, v2, v32
	v_add_f32_e32 v11, v11, v18
	v_bfe_u32 v33, v32, 16, 1
	v_or_b32_e32 v37, 0x400000, v32
	v_cmp_u_f32_e32 vcc_lo, v32, v32
	v_add_f32_e32 v10, v10, v11
	v_add3_u32 v33, v33, v32, 0x7fff
	v_cndmask_b32_e32 v32, v33, v37, vcc_lo
	v_lshlrev_b32_e32 v33, 16, v53
	v_and_b32_e32 v18, 0xffff0000, v32
	v_mul_f32_e32 v33, v3, v33
	v_bfe_u32 v37, v33, 16, 1
	v_or_b32_e32 v50, 0x400000, v33
	v_cmp_u_f32_e32 vcc_lo, v33, v33
	v_add3_u32 v37, v37, v33, 0x7fff
	v_cndmask_b32_e32 v33, v37, v50, vcc_lo
	v_and_b32_e32 v11, 0xffff0000, v33
	v_add_f32_e32 v11, v11, v18
	v_add_f32_e32 v10, v10, v11
	buffer_load_dword v11, off, s[0:3], s32 offset:864 ; 4-byte Folded Reload
	s_waitcnt vmcnt(0)
	v_add_f32_e32 v11, v11, v10
	v_lshlrev_b32_e32 v10, 16, v98
	buffer_store_dword v11, off, s[0:3], s32 offset:864 ; 4-byte Folded Spill
	v_mul_f32_e32 v10, v8, v10
	v_bfe_u32 v11, v10, 16, 1
	v_or_b32_e32 v18, 0x400000, v10
	v_cmp_u_f32_e32 vcc_lo, v10, v10
	v_add3_u32 v11, v11, v10, 0x7fff
	v_cndmask_b32_e32 v10, v11, v18, vcc_lo
	v_lshlrev_b32_e32 v11, 16, v41
	v_and_b32_e32 v10, 0xffff0000, v10
	v_mul_f32_e32 v11, v9, v11
	v_bfe_u32 v18, v11, 16, 1
	v_or_b32_e32 v26, 0x400000, v11
	v_cmp_u_f32_e32 vcc_lo, v11, v11
	v_add3_u32 v18, v18, v11, 0x7fff
	v_cndmask_b32_e32 v11, v18, v26, vcc_lo
	v_lshlrev_b32_e32 v18, 16, v35
	v_and_b32_e32 v11, 0xffff0000, v11
	v_mul_f32_e32 v18, v6, v18
	v_add_f32_e32 v10, v11, v10
	v_bfe_u32 v26, v18, 16, 1
	v_or_b32_e32 v27, 0x400000, v18
	v_cmp_u_f32_e32 vcc_lo, v18, v18
	v_add3_u32 v26, v26, v18, 0x7fff
	v_cndmask_b32_e32 v18, v26, v27, vcc_lo
	v_bfe_u32 v26, v22, 16, 1
	v_or_b32_e32 v27, 0x400000, v22
	v_cmp_u_f32_e32 vcc_lo, v22, v22
	v_and_b32_e32 v18, 0xffff0000, v18
	v_add3_u32 v26, v26, v22, 0x7fff
	v_cndmask_b32_e32 v22, v26, v27, vcc_lo
	v_bfe_u32 v26, v1, 16, 1
	v_or_b32_e32 v27, 0x400000, v1
	v_cmp_u_f32_e32 vcc_lo, v1, v1
	v_and_b32_e32 v11, 0xffff0000, v22
	v_add3_u32 v26, v26, v1, 0x7fff
	v_add_f32_e32 v11, v11, v18
	v_cndmask_b32_e32 v1, v26, v27, vcc_lo
	v_bfe_u32 v26, v0, 16, 1
	v_or_b32_e32 v27, 0x400000, v0
	v_cmp_u_f32_e32 vcc_lo, v0, v0
	v_add_f32_e32 v10, v10, v11
	v_and_b32_e32 v1, 0xffff0000, v1
	v_add3_u32 v26, v26, v0, 0x7fff
	v_cndmask_b32_e32 v0, v26, v27, vcc_lo
	v_lshlrev_b32_e32 v26, 16, v42
	v_and_b32_e32 v0, 0xffff0000, v0
	v_mul_f32_e32 v26, v2, v26
	v_add_f32_e32 v0, v0, v1
	v_bfe_u32 v27, v26, 16, 1
	v_or_b32_e32 v31, 0x400000, v26
	v_cmp_u_f32_e32 vcc_lo, v26, v26
	v_add_f32_e32 v0, v10, v0
	v_add3_u32 v27, v27, v26, 0x7fff
	v_cndmask_b32_e32 v26, v27, v31, vcc_lo
	v_lshlrev_b32_e32 v27, 16, v40
	v_and_b32_e32 v10, 0xffff0000, v26
	v_mul_f32_e32 v27, v3, v27
	v_bfe_u32 v31, v27, 16, 1
	v_or_b32_e32 v32, 0x400000, v27
	v_cmp_u_f32_e32 vcc_lo, v27, v27
	v_add3_u32 v31, v31, v27, 0x7fff
	v_cndmask_b32_e32 v27, v31, v32, vcc_lo
	v_and_b32_e32 v1, 0xffff0000, v27
	v_add_f32_e32 v1, v1, v10
	v_add_f32_e32 v0, v0, v1
	buffer_load_dword v1, off, s[0:3], s32 offset:868 ; 4-byte Folded Reload
	s_waitcnt vmcnt(0)
	v_add_f32_e32 v1, v1, v0
	v_lshlrev_b32_e32 v0, 16, v125
	buffer_store_dword v1, off, s[0:3], s32 offset:868 ; 4-byte Folded Spill
	v_mul_f32_e32 v0, v8, v0
	v_bfe_u32 v1, v0, 16, 1
	v_or_b32_e32 v10, 0x400000, v0
	v_cmp_u_f32_e32 vcc_lo, v0, v0
	v_add3_u32 v1, v1, v0, 0x7fff
	v_cndmask_b32_e32 v0, v1, v10, vcc_lo
	v_lshlrev_b32_e32 v1, 16, v127
	v_and_b32_e32 v0, 0xffff0000, v0
	v_mul_f32_e32 v1, v9, v1
	v_bfe_u32 v10, v1, 16, 1
	v_or_b32_e32 v11, 0x400000, v1
	v_cmp_u_f32_e32 vcc_lo, v1, v1
	v_add3_u32 v10, v10, v1, 0x7fff
	v_cndmask_b32_e32 v1, v10, v11, vcc_lo
	v_lshlrev_b32_e32 v10, 16, v123
	v_and_b32_e32 v1, 0xffff0000, v1
	v_mul_f32_e32 v10, v6, v10
	v_add_f32_e32 v0, v1, v0
	v_bfe_u32 v11, v10, 16, 1
	v_or_b32_e32 v18, 0x400000, v10
	v_cmp_u_f32_e32 vcc_lo, v10, v10
	v_add3_u32 v11, v11, v10, 0x7fff
	v_cndmask_b32_e32 v10, v11, v18, vcc_lo
	v_lshlrev_b32_e32 v11, 16, v124
	v_and_b32_e32 v10, 0xffff0000, v10
	v_mul_f32_e32 v11, v7, v11
	v_bfe_u32 v18, v11, 16, 1
	v_or_b32_e32 v22, 0x400000, v11
	v_cmp_u_f32_e32 vcc_lo, v11, v11
	v_add3_u32 v18, v18, v11, 0x7fff
	v_cndmask_b32_e32 v11, v18, v22, vcc_lo
	v_lshlrev_b32_e32 v18, 16, v121
	v_and_b32_e32 v1, 0xffff0000, v11
	v_mul_f32_e32 v18, v4, v18
	v_add_f32_e32 v1, v1, v10
	v_bfe_u32 v22, v18, 16, 1
	v_or_b32_e32 v26, 0x400000, v18
	v_cmp_u_f32_e32 vcc_lo, v18, v18
	v_add_f32_e32 v0, v0, v1
	v_add3_u32 v22, v22, v18, 0x7fff
	v_cndmask_b32_e32 v18, v22, v26, vcc_lo
	v_lshlrev_b32_e32 v22, 16, v122
	v_and_b32_e32 v10, 0xffff0000, v18
	v_mul_f32_e32 v22, v5, v22
	v_bfe_u32 v26, v22, 16, 1
	v_or_b32_e32 v27, 0x400000, v22
	v_cmp_u_f32_e32 vcc_lo, v22, v22
	v_add3_u32 v26, v26, v22, 0x7fff
	v_cndmask_b32_e32 v22, v26, v27, vcc_lo
	v_lshlrev_b32_e32 v26, 16, v34
	v_and_b32_e32 v1, 0xffff0000, v22
	v_mul_f32_e32 v26, v2, v26
	v_add_f32_e32 v1, v1, v10
	v_bfe_u32 v27, v26, 16, 1
	v_or_b32_e32 v31, 0x400000, v26
	v_cmp_u_f32_e32 vcc_lo, v26, v26
	v_add_f32_e32 v0, v0, v1
	v_add3_u32 v27, v27, v26, 0x7fff
	v_cndmask_b32_e32 v26, v27, v31, vcc_lo
	v_lshlrev_b32_e32 v27, 16, v126
	v_and_b32_e32 v10, 0xffff0000, v26
	v_mul_f32_e32 v27, v3, v27
	v_bfe_u32 v31, v27, 16, 1
	v_or_b32_e32 v32, 0x400000, v27
	v_cmp_u_f32_e32 vcc_lo, v27, v27
	v_add3_u32 v31, v31, v27, 0x7fff
	v_cndmask_b32_e32 v27, v31, v32, vcc_lo
	v_and_b32_e32 v1, 0xffff0000, v27
	v_add_f32_e32 v1, v1, v10
	v_add_f32_e32 v0, v0, v1
	buffer_load_dword v1, off, s[0:3], s32 offset:872 ; 4-byte Folded Reload
	s_waitcnt vmcnt(0)
	v_add_f32_e32 v1, v1, v0
	v_lshlrev_b32_e32 v0, 16, v109
	buffer_store_dword v1, off, s[0:3], s32 offset:872 ; 4-byte Folded Spill
	v_mul_f32_e32 v0, v8, v0
	v_bfe_u32 v1, v0, 16, 1
	v_or_b32_e32 v10, 0x400000, v0
	v_cmp_u_f32_e32 vcc_lo, v0, v0
	v_add3_u32 v1, v1, v0, 0x7fff
	v_cndmask_b32_e32 v0, v1, v10, vcc_lo
	v_lshlrev_b32_e32 v1, 16, v111
	v_and_b32_e32 v0, 0xffff0000, v0
	v_mul_f32_e32 v1, v9, v1
	v_bfe_u32 v10, v1, 16, 1
	v_or_b32_e32 v11, 0x400000, v1
	v_cmp_u_f32_e32 vcc_lo, v1, v1
	v_add3_u32 v10, v10, v1, 0x7fff
	v_cndmask_b32_e32 v1, v10, v11, vcc_lo
	v_lshlrev_b32_e32 v10, 16, v107
	v_and_b32_e32 v1, 0xffff0000, v1
	v_mul_f32_e32 v10, v6, v10
	v_add_f32_e32 v0, v1, v0
	v_bfe_u32 v11, v10, 16, 1
	v_or_b32_e32 v18, 0x400000, v10
	v_cmp_u_f32_e32 vcc_lo, v10, v10
	v_add3_u32 v11, v11, v10, 0x7fff
	v_cndmask_b32_e32 v10, v11, v18, vcc_lo
	v_lshlrev_b32_e32 v11, 16, v108
	v_and_b32_e32 v10, 0xffff0000, v10
	v_mul_f32_e32 v11, v7, v11
	v_bfe_u32 v18, v11, 16, 1
	v_or_b32_e32 v22, 0x400000, v11
	v_cmp_u_f32_e32 vcc_lo, v11, v11
	v_add3_u32 v18, v18, v11, 0x7fff
	v_cndmask_b32_e32 v11, v18, v22, vcc_lo
	v_lshlrev_b32_e32 v18, 16, v105
	v_and_b32_e32 v1, 0xffff0000, v11
	v_mul_f32_e32 v18, v4, v18
	v_add_f32_e32 v1, v1, v10
	v_bfe_u32 v22, v18, 16, 1
	v_or_b32_e32 v26, 0x400000, v18
	v_cmp_u_f32_e32 vcc_lo, v18, v18
	v_add_f32_e32 v0, v0, v1
	v_add3_u32 v22, v22, v18, 0x7fff
	v_cndmask_b32_e32 v18, v22, v26, vcc_lo
	v_lshlrev_b32_e32 v22, 16, v106
	v_and_b32_e32 v10, 0xffff0000, v18
	v_mul_f32_e32 v22, v5, v22
	v_bfe_u32 v26, v22, 16, 1
	v_or_b32_e32 v27, 0x400000, v22
	v_cmp_u_f32_e32 vcc_lo, v22, v22
	v_add3_u32 v26, v26, v22, 0x7fff
	v_cndmask_b32_e32 v22, v26, v27, vcc_lo
	v_lshlrev_b32_e32 v26, 16, v120
	v_and_b32_e32 v1, 0xffff0000, v22
	v_mul_f32_e32 v26, v2, v26
	v_add_f32_e32 v1, v1, v10
	v_bfe_u32 v27, v26, 16, 1
	v_or_b32_e32 v31, 0x400000, v26
	v_cmp_u_f32_e32 vcc_lo, v26, v26
	v_add_f32_e32 v0, v0, v1
	v_add3_u32 v27, v27, v26, 0x7fff
	v_cndmask_b32_e32 v26, v27, v31, vcc_lo
	v_lshlrev_b32_e32 v27, 16, v110
	v_and_b32_e32 v10, 0xffff0000, v26
	v_mul_f32_e32 v27, v3, v27
	v_bfe_u32 v31, v27, 16, 1
	v_or_b32_e32 v32, 0x400000, v27
	v_cmp_u_f32_e32 vcc_lo, v27, v27
	v_add3_u32 v31, v31, v27, 0x7fff
	v_cndmask_b32_e32 v27, v31, v32, vcc_lo
	v_and_b32_e32 v1, 0xffff0000, v27
	v_add_f32_e32 v1, v1, v10
	v_add_f32_e32 v0, v0, v1
	buffer_load_dword v1, off, s[0:3], s32 offset:876 ; 4-byte Folded Reload
	s_waitcnt vmcnt(0)
	v_add_f32_e32 v1, v1, v0
	v_lshlrev_b32_e32 v0, 16, v72
	buffer_store_dword v1, off, s[0:3], s32 offset:876 ; 4-byte Folded Spill
	v_mul_f32_e32 v0, v8, v0
	v_bfe_u32 v1, v0, 16, 1
	v_or_b32_e32 v10, 0x400000, v0
	v_cmp_u_f32_e32 vcc_lo, v0, v0
	v_add3_u32 v1, v1, v0, 0x7fff
	v_cndmask_b32_e32 v0, v1, v10, vcc_lo
	v_lshlrev_b32_e32 v1, 16, v95
	v_and_b32_e32 v0, 0xffff0000, v0
	v_mul_f32_e32 v1, v9, v1
	v_bfe_u32 v10, v1, 16, 1
	v_or_b32_e32 v11, 0x400000, v1
	v_cmp_u_f32_e32 vcc_lo, v1, v1
	v_add3_u32 v10, v10, v1, 0x7fff
	v_cndmask_b32_e32 v1, v10, v11, vcc_lo
	v_lshlrev_b32_e32 v10, 16, v48
	v_and_b32_e32 v1, 0xffff0000, v1
	v_mul_f32_e32 v10, v6, v10
	v_add_f32_e32 v0, v1, v0
	v_bfe_u32 v11, v10, 16, 1
	v_or_b32_e32 v18, 0x400000, v10
	v_cmp_u_f32_e32 vcc_lo, v10, v10
	v_add3_u32 v11, v11, v10, 0x7fff
	v_cndmask_b32_e32 v10, v11, v18, vcc_lo
	v_lshlrev_b32_e32 v11, 16, v97
	v_and_b32_e32 v10, 0xffff0000, v10
	v_mul_f32_e32 v11, v7, v11
	v_bfe_u32 v18, v11, 16, 1
	v_or_b32_e32 v22, 0x400000, v11
	v_cmp_u_f32_e32 vcc_lo, v11, v11
	v_add3_u32 v18, v18, v11, 0x7fff
	v_cndmask_b32_e32 v11, v18, v22, vcc_lo
	v_lshlrev_b32_e32 v18, 16, v91
	v_and_b32_e32 v1, 0xffff0000, v11
	v_mul_f32_e32 v18, v4, v18
	v_add_f32_e32 v1, v1, v10
	v_bfe_u32 v22, v18, 16, 1
	v_or_b32_e32 v26, 0x400000, v18
	v_cmp_u_f32_e32 vcc_lo, v18, v18
	v_add_f32_e32 v0, v0, v1
	v_add3_u32 v22, v22, v18, 0x7fff
	v_cndmask_b32_e32 v18, v22, v26, vcc_lo
	v_lshlrev_b32_e32 v22, 16, v99
	v_and_b32_e32 v10, 0xffff0000, v18
	v_mul_f32_e32 v22, v5, v22
	v_bfe_u32 v26, v22, 16, 1
	v_or_b32_e32 v27, 0x400000, v22
	v_cmp_u_f32_e32 vcc_lo, v22, v22
	v_add3_u32 v26, v26, v22, 0x7fff
	v_cndmask_b32_e32 v22, v26, v27, vcc_lo
	v_lshlrev_b32_e32 v26, 16, v104
	v_and_b32_e32 v1, 0xffff0000, v22
	v_mul_f32_e32 v26, v2, v26
	v_add_f32_e32 v1, v1, v10
	v_bfe_u32 v27, v26, 16, 1
	v_or_b32_e32 v31, 0x400000, v26
	v_cmp_u_f32_e32 vcc_lo, v26, v26
	v_add_f32_e32 v0, v0, v1
	v_add3_u32 v27, v27, v26, 0x7fff
	v_cndmask_b32_e32 v26, v27, v31, vcc_lo
	v_lshlrev_b32_e32 v27, 16, v94
	v_and_b32_e32 v10, 0xffff0000, v26
	v_mul_f32_e32 v27, v3, v27
	v_bfe_u32 v31, v27, 16, 1
	v_or_b32_e32 v32, 0x400000, v27
	v_cmp_u_f32_e32 vcc_lo, v27, v27
	v_add3_u32 v31, v31, v27, 0x7fff
	v_cndmask_b32_e32 v27, v31, v32, vcc_lo
	v_and_b32_e32 v1, 0xffff0000, v27
	v_add_f32_e32 v1, v1, v10
	v_add_f32_e32 v0, v0, v1
	buffer_load_dword v1, off, s[0:3], s32 offset:880 ; 4-byte Folded Reload
	s_waitcnt vmcnt(0)
	v_add_f32_e32 v1, v1, v0
	v_lshlrev_b32_e32 v0, 16, v78
	buffer_store_dword v1, off, s[0:3], s32 offset:880 ; 4-byte Folded Spill
	v_mul_f32_e32 v0, v8, v0
	v_bfe_u32 v1, v0, 16, 1
	v_or_b32_e32 v10, 0x400000, v0
	v_cmp_u_f32_e32 vcc_lo, v0, v0
	v_add3_u32 v1, v1, v0, 0x7fff
	v_cndmask_b32_e32 v0, v1, v10, vcc_lo
	v_lshlrev_b32_e32 v1, 16, v88
	v_and_b32_e32 v0, 0xffff0000, v0
	v_mul_f32_e32 v1, v9, v1
	v_bfe_u32 v10, v1, 16, 1
	v_or_b32_e32 v11, 0x400000, v1
	v_cmp_u_f32_e32 vcc_lo, v1, v1
	v_add3_u32 v10, v10, v1, 0x7fff
	v_cndmask_b32_e32 v1, v10, v11, vcc_lo
	v_lshlrev_b32_e32 v10, 16, v90
	v_and_b32_e32 v1, 0xffff0000, v1
	v_mul_f32_e32 v10, v6, v10
	v_add_f32_e32 v0, v1, v0
	v_bfe_u32 v11, v10, 16, 1
	v_or_b32_e32 v18, 0x400000, v10
	v_cmp_u_f32_e32 vcc_lo, v10, v10
	v_add3_u32 v11, v11, v10, 0x7fff
	v_cndmask_b32_e32 v10, v11, v18, vcc_lo
	v_lshlrev_b32_e32 v11, 16, v76
	v_and_b32_e32 v10, 0xffff0000, v10
	v_mul_f32_e32 v11, v7, v11
	v_bfe_u32 v18, v11, 16, 1
	v_or_b32_e32 v22, 0x400000, v11
	v_cmp_u_f32_e32 vcc_lo, v11, v11
	v_add3_u32 v18, v18, v11, 0x7fff
	v_cndmask_b32_e32 v11, v18, v22, vcc_lo
	v_lshlrev_b32_e32 v18, 16, v83
	v_and_b32_e32 v1, 0xffff0000, v11
	v_mul_f32_e32 v18, v4, v18
	v_add_f32_e32 v1, v1, v10
	v_bfe_u32 v22, v18, 16, 1
	v_or_b32_e32 v26, 0x400000, v18
	v_cmp_u_f32_e32 vcc_lo, v18, v18
	v_add_f32_e32 v0, v0, v1
	v_add3_u32 v22, v22, v18, 0x7fff
	v_cndmask_b32_e32 v18, v22, v26, vcc_lo
	v_lshlrev_b32_e32 v22, 16, v74
	v_and_b32_e32 v10, 0xffff0000, v18
	v_mul_f32_e32 v22, v5, v22
	v_bfe_u32 v26, v22, 16, 1
	v_or_b32_e32 v27, 0x400000, v22
	v_cmp_u_f32_e32 vcc_lo, v22, v22
	v_add3_u32 v26, v26, v22, 0x7fff
	v_cndmask_b32_e32 v22, v26, v27, vcc_lo
	v_lshlrev_b32_e32 v26, 16, v89
	v_and_b32_e32 v1, 0xffff0000, v22
	v_mul_f32_e32 v26, v2, v26
	v_add_f32_e32 v1, v1, v10
	v_bfe_u32 v27, v26, 16, 1
	v_or_b32_e32 v31, 0x400000, v26
	v_cmp_u_f32_e32 vcc_lo, v26, v26
	v_add_f32_e32 v0, v0, v1
	v_add3_u32 v27, v27, v26, 0x7fff
	v_cndmask_b32_e32 v26, v27, v31, vcc_lo
	v_lshlrev_b32_e32 v27, 16, v79
	v_and_b32_e32 v10, 0xffff0000, v26
	v_mul_f32_e32 v27, v3, v27
	v_bfe_u32 v31, v27, 16, 1
	v_or_b32_e32 v32, 0x400000, v27
	v_cmp_u_f32_e32 vcc_lo, v27, v27
	v_add3_u32 v31, v31, v27, 0x7fff
	v_cndmask_b32_e32 v27, v31, v32, vcc_lo
	v_and_b32_e32 v1, 0xffff0000, v27
	v_add_f32_e32 v1, v1, v10
	v_add_f32_e32 v0, v0, v1
	buffer_load_dword v1, off, s[0:3], s32 offset:884 ; 4-byte Folded Reload
	s_waitcnt vmcnt(0)
	v_add_f32_e32 v1, v1, v0
	v_lshlrev_b32_e32 v0, 16, v62
	buffer_store_dword v1, off, s[0:3], s32 offset:884 ; 4-byte Folded Spill
	v_mul_f32_e32 v0, v8, v0
	v_bfe_u32 v1, v0, 16, 1
	v_or_b32_e32 v10, 0x400000, v0
	v_cmp_u_f32_e32 vcc_lo, v0, v0
	v_add3_u32 v1, v1, v0, 0x7fff
	v_cndmask_b32_e32 v0, v1, v10, vcc_lo
	v_lshlrev_b32_e32 v1, 16, v92
	v_and_b32_e32 v0, 0xffff0000, v0
	v_mul_f32_e32 v1, v9, v1
	v_bfe_u32 v10, v1, 16, 1
	v_or_b32_e32 v11, 0x400000, v1
	v_cmp_u_f32_e32 vcc_lo, v1, v1
	v_add3_u32 v10, v10, v1, 0x7fff
	v_cndmask_b32_e32 v1, v10, v11, vcc_lo
	v_lshlrev_b32_e32 v10, 16, v60
	v_and_b32_e32 v1, 0xffff0000, v1
	v_mul_f32_e32 v10, v6, v10
	v_add_f32_e32 v0, v1, v0
	v_bfe_u32 v11, v10, 16, 1
	v_or_b32_e32 v18, 0x400000, v10
	v_cmp_u_f32_e32 vcc_lo, v10, v10
	v_add3_u32 v11, v11, v10, 0x7fff
	v_cndmask_b32_e32 v10, v11, v18, vcc_lo
	v_lshlrev_b32_e32 v11, 16, v61
	v_and_b32_e32 v10, 0xffff0000, v10
	v_mul_f32_e32 v11, v7, v11
	v_bfe_u32 v18, v11, 16, 1
	v_or_b32_e32 v22, 0x400000, v11
	v_cmp_u_f32_e32 vcc_lo, v11, v11
	v_add3_u32 v18, v18, v11, 0x7fff
	v_cndmask_b32_e32 v11, v18, v22, vcc_lo
	v_lshlrev_b32_e32 v18, 16, v58
	v_and_b32_e32 v1, 0xffff0000, v11
	v_mul_f32_e32 v18, v4, v18
	v_add_f32_e32 v1, v1, v10
	v_bfe_u32 v22, v18, 16, 1
	v_or_b32_e32 v26, 0x400000, v18
	v_cmp_u_f32_e32 vcc_lo, v18, v18
	v_add_f32_e32 v0, v0, v1
	v_add3_u32 v22, v22, v18, 0x7fff
	v_cndmask_b32_e32 v18, v22, v26, vcc_lo
	v_lshlrev_b32_e32 v22, 16, v59
	v_and_b32_e32 v10, 0xffff0000, v18
	v_mul_f32_e32 v22, v5, v22
	v_bfe_u32 v26, v22, 16, 1
	v_or_b32_e32 v27, 0x400000, v22
	v_cmp_u_f32_e32 vcc_lo, v22, v22
	v_add3_u32 v26, v26, v22, 0x7fff
	v_cndmask_b32_e32 v22, v26, v27, vcc_lo
	v_lshlrev_b32_e32 v26, 16, v93
	v_and_b32_e32 v1, 0xffff0000, v22
	v_mul_f32_e32 v26, v2, v26
	v_add_f32_e32 v1, v1, v10
	v_bfe_u32 v27, v26, 16, 1
	v_or_b32_e32 v31, 0x400000, v26
	v_cmp_u_f32_e32 vcc_lo, v26, v26
	v_add_f32_e32 v0, v0, v1
	v_add3_u32 v27, v27, v26, 0x7fff
	v_cndmask_b32_e32 v26, v27, v31, vcc_lo
	v_lshlrev_b32_e32 v27, 16, v63
	v_and_b32_e32 v10, 0xffff0000, v26
	v_mul_f32_e32 v27, v3, v27
	v_bfe_u32 v31, v27, 16, 1
	v_or_b32_e32 v32, 0x400000, v27
	v_cmp_u_f32_e32 vcc_lo, v27, v27
	v_add3_u32 v31, v31, v27, 0x7fff
	v_cndmask_b32_e32 v27, v31, v32, vcc_lo
	v_and_b32_e32 v1, 0xffff0000, v27
	v_add_f32_e32 v1, v1, v10
	v_add_f32_e32 v0, v0, v1
	buffer_load_dword v1, off, s[0:3], s32 offset:888 ; 4-byte Folded Reload
	s_waitcnt vmcnt(0)
	v_add_f32_e32 v1, v1, v0
	v_lshlrev_b32_e32 v0, 16, v46
	buffer_store_dword v1, off, s[0:3], s32 offset:888 ; 4-byte Folded Spill
	v_mul_f32_e32 v0, v8, v0
	v_bfe_u32 v1, v0, 16, 1
	v_or_b32_e32 v10, 0x400000, v0
	v_cmp_u_f32_e32 vcc_lo, v0, v0
	v_add3_u32 v1, v1, v0, 0x7fff
	v_cndmask_b32_e32 v0, v1, v10, vcc_lo
	v_lshlrev_b32_e32 v1, 16, v56
	v_and_b32_e32 v0, 0xffff0000, v0
	v_mul_f32_e32 v1, v9, v1
	v_bfe_u32 v10, v1, 16, 1
	v_or_b32_e32 v11, 0x400000, v1
	v_cmp_u_f32_e32 vcc_lo, v1, v1
	v_add3_u32 v10, v10, v1, 0x7fff
	v_cndmask_b32_e32 v1, v10, v11, vcc_lo
	v_lshlrev_b32_e32 v10, 16, v44
	v_and_b32_e32 v1, 0xffff0000, v1
	v_mul_f32_e32 v10, v6, v10
	v_add_f32_e32 v0, v1, v0
	v_bfe_u32 v11, v10, 16, 1
	v_or_b32_e32 v18, 0x400000, v10
	v_cmp_u_f32_e32 vcc_lo, v10, v10
	v_add3_u32 v11, v11, v10, 0x7fff
	v_cndmask_b32_e32 v10, v11, v18, vcc_lo
	v_lshlrev_b32_e32 v11, 16, v45
	v_and_b32_e32 v10, 0xffff0000, v10
	v_mul_f32_e32 v11, v7, v11
	v_bfe_u32 v18, v11, 16, 1
	v_or_b32_e32 v22, 0x400000, v11
	v_cmp_u_f32_e32 vcc_lo, v11, v11
	v_add3_u32 v18, v18, v11, 0x7fff
	v_cndmask_b32_e32 v11, v18, v22, vcc_lo
	v_lshlrev_b32_e32 v18, 16, v28
	v_and_b32_e32 v1, 0xffff0000, v11
	v_mul_f32_e32 v18, v4, v18
	v_add_f32_e32 v1, v1, v10
	v_bfe_u32 v22, v18, 16, 1
	v_or_b32_e32 v26, 0x400000, v18
	v_cmp_u_f32_e32 vcc_lo, v18, v18
	v_add_f32_e32 v0, v0, v1
	v_add3_u32 v22, v22, v18, 0x7fff
	v_cndmask_b32_e32 v18, v22, v26, vcc_lo
	v_lshlrev_b32_e32 v22, 16, v29
	v_and_b32_e32 v10, 0xffff0000, v18
	v_mul_f32_e32 v22, v5, v22
	v_bfe_u32 v26, v22, 16, 1
	v_or_b32_e32 v27, 0x400000, v22
	v_cmp_u_f32_e32 vcc_lo, v22, v22
	v_add3_u32 v26, v26, v22, 0x7fff
	v_cndmask_b32_e32 v22, v26, v27, vcc_lo
	v_lshlrev_b32_e32 v26, 16, v57
	v_and_b32_e32 v1, 0xffff0000, v22
	v_mul_f32_e32 v26, v2, v26
	v_add_f32_e32 v1, v1, v10
	v_bfe_u32 v27, v26, 16, 1
	v_or_b32_e32 v28, 0x400000, v26
	v_cmp_u_f32_e32 vcc_lo, v26, v26
	v_add_f32_e32 v0, v0, v1
	v_add3_u32 v27, v27, v26, 0x7fff
	v_cndmask_b32_e32 v26, v27, v28, vcc_lo
	v_lshlrev_b32_e32 v27, 16, v47
	v_and_b32_e32 v10, 0xffff0000, v26
	v_mul_f32_e32 v27, v3, v27
	v_bfe_u32 v28, v27, 16, 1
	v_or_b32_e32 v29, 0x400000, v27
	v_cmp_u_f32_e32 vcc_lo, v27, v27
	v_add3_u32 v28, v28, v27, 0x7fff
	v_cndmask_b32_e32 v27, v28, v29, vcc_lo
	v_and_b32_e32 v1, 0xffff0000, v27
	v_add_f32_e32 v1, v1, v10
	v_add_f32_e32 v0, v0, v1
	buffer_load_dword v1, off, s[0:3], s32 offset:892 ; 4-byte Folded Reload
	s_waitcnt vmcnt(0)
	v_add_f32_e32 v1, v1, v0
	v_lshlrev_b32_e32 v0, 16, v103
	buffer_store_dword v1, off, s[0:3], s32 offset:892 ; 4-byte Folded Spill
	v_mul_f32_e32 v0, v8, v0
	v_bfe_u32 v1, v0, 16, 1
	v_or_b32_e32 v10, 0x400000, v0
	v_cmp_u_f32_e32 vcc_lo, v0, v0
	v_add3_u32 v1, v1, v0, 0x7fff
	v_cndmask_b32_e32 v0, v1, v10, vcc_lo
	v_lshlrev_b32_e32 v1, 16, v86
	v_and_b32_e32 v0, 0xffff0000, v0
	v_mul_f32_e32 v1, v9, v1
	v_bfe_u32 v10, v1, 16, 1
	v_or_b32_e32 v11, 0x400000, v1
	v_cmp_u_f32_e32 vcc_lo, v1, v1
	v_add3_u32 v10, v10, v1, 0x7fff
	v_cndmask_b32_e32 v1, v10, v11, vcc_lo
	v_lshlrev_b32_e32 v10, 16, v36
	v_and_b32_e32 v1, 0xffff0000, v1
	v_mul_f32_e32 v10, v6, v10
	v_add_f32_e32 v0, v1, v0
	v_bfe_u32 v11, v10, 16, 1
	v_or_b32_e32 v18, 0x400000, v10
	v_cmp_u_f32_e32 vcc_lo, v10, v10
	v_add3_u32 v11, v11, v10, 0x7fff
	v_cndmask_b32_e32 v10, v11, v18, vcc_lo
	v_lshlrev_b32_e32 v11, 16, v101
	v_and_b32_e32 v10, 0xffff0000, v10
	v_mul_f32_e32 v11, v7, v11
	v_bfe_u32 v18, v11, 16, 1
	v_or_b32_e32 v22, 0x400000, v11
	v_cmp_u_f32_e32 vcc_lo, v11, v11
	v_add3_u32 v18, v18, v11, 0x7fff
	v_cndmask_b32_e32 v11, v18, v22, vcc_lo
	v_lshlrev_b32_e32 v18, 16, v39
	v_and_b32_e32 v1, 0xffff0000, v11
	v_mul_f32_e32 v18, v4, v18
	v_add_f32_e32 v1, v1, v10
	v_bfe_u32 v22, v18, 16, 1
	v_or_b32_e32 v26, 0x400000, v18
	v_cmp_u_f32_e32 vcc_lo, v18, v18
	v_add_f32_e32 v0, v0, v1
	v_add3_u32 v22, v22, v18, 0x7fff
	v_cndmask_b32_e32 v18, v22, v26, vcc_lo
	v_lshlrev_b32_e32 v22, 16, v30
	v_and_b32_e32 v10, 0xffff0000, v18
	v_mul_f32_e32 v22, v5, v22
	v_bfe_u32 v26, v22, 16, 1
	v_or_b32_e32 v27, 0x400000, v22
	v_cmp_u_f32_e32 vcc_lo, v22, v22
	v_add3_u32 v26, v26, v22, 0x7fff
	v_cndmask_b32_e32 v22, v26, v27, vcc_lo
	v_lshlrev_b32_e32 v26, 16, v38
	v_and_b32_e32 v1, 0xffff0000, v22
	v_mul_f32_e32 v26, v2, v26
	v_add_f32_e32 v1, v1, v10
	v_bfe_u32 v27, v26, 16, 1
	v_or_b32_e32 v28, 0x400000, v26
	v_cmp_u_f32_e32 vcc_lo, v26, v26
	v_add_f32_e32 v0, v0, v1
	v_add3_u32 v27, v27, v26, 0x7fff
	v_cndmask_b32_e32 v26, v27, v28, vcc_lo
	v_bfe_u32 v27, v12, 16, 1
	v_or_b32_e32 v28, 0x400000, v12
	v_cmp_u_f32_e32 vcc_lo, v12, v12
	v_and_b32_e32 v10, 0xffff0000, v26
	v_add3_u32 v27, v27, v12, 0x7fff
	v_cndmask_b32_e32 v12, v27, v28, vcc_lo
	v_and_b32_e32 v1, 0xffff0000, v12
	v_add_f32_e32 v1, v1, v10
	v_add_f32_e32 v0, v0, v1
	buffer_load_dword v1, off, s[0:3], s32 offset:896 ; 4-byte Folded Reload
	s_waitcnt vmcnt(0)
	v_add_f32_e32 v1, v1, v0
	v_lshlrev_b32_e32 v0, 16, v73
	buffer_store_dword v1, off, s[0:3], s32 offset:896 ; 4-byte Folded Spill
	v_mul_f32_e32 v0, v8, v0
	v_bfe_u32 v1, v0, 16, 1
	v_or_b32_e32 v10, 0x400000, v0
	v_cmp_u_f32_e32 vcc_lo, v0, v0
	v_add3_u32 v1, v1, v0, 0x7fff
	v_cndmask_b32_e32 v0, v1, v10, vcc_lo
	v_lshlrev_b32_e32 v1, 16, v100
	v_and_b32_e32 v0, 0xffff0000, v0
	v_mul_f32_e32 v1, v9, v1
	v_bfe_u32 v10, v1, 16, 1
	v_or_b32_e32 v11, 0x400000, v1
	v_cmp_u_f32_e32 vcc_lo, v1, v1
	v_add3_u32 v10, v10, v1, 0x7fff
	v_cndmask_b32_e32 v1, v10, v11, vcc_lo
	v_lshlrev_b32_e32 v10, 16, v96
	v_and_b32_e32 v1, 0xffff0000, v1
	v_mul_f32_e32 v10, v6, v10
	v_add_f32_e32 v0, v1, v0
	v_bfe_u32 v11, v10, 16, 1
	v_or_b32_e32 v12, 0x400000, v10
	v_cmp_u_f32_e32 vcc_lo, v10, v10
	v_add3_u32 v11, v11, v10, 0x7fff
	v_cndmask_b32_e32 v10, v11, v12, vcc_lo
	v_lshlrev_b32_e32 v11, 16, v113
	v_and_b32_e32 v10, 0xffff0000, v10
	v_mul_f32_e32 v11, v7, v11
	v_bfe_u32 v12, v11, 16, 1
	v_or_b32_e32 v18, 0x400000, v11
	v_cmp_u_f32_e32 vcc_lo, v11, v11
	v_add3_u32 v12, v12, v11, 0x7fff
	v_cndmask_b32_e32 v11, v12, v18, vcc_lo
	v_lshlrev_b32_e32 v12, 16, v77
	v_and_b32_e32 v1, 0xffff0000, v11
	v_mul_f32_e32 v12, v4, v12
	v_add_f32_e32 v1, v1, v10
	v_bfe_u32 v18, v12, 16, 1
	v_or_b32_e32 v22, 0x400000, v12
	v_cmp_u_f32_e32 vcc_lo, v12, v12
	v_add_f32_e32 v0, v0, v1
	v_add3_u32 v18, v18, v12, 0x7fff
	v_cndmask_b32_e32 v12, v18, v22, vcc_lo
	v_lshlrev_b32_e32 v18, 16, v87
	v_and_b32_e32 v10, 0xffff0000, v12
	v_mul_f32_e32 v18, v5, v18
	v_bfe_u32 v22, v18, 16, 1
	v_or_b32_e32 v26, 0x400000, v18
	v_cmp_u_f32_e32 vcc_lo, v18, v18
	v_add3_u32 v22, v22, v18, 0x7fff
	v_cndmask_b32_e32 v18, v22, v26, vcc_lo
	v_bfe_u32 v22, v21, 16, 1
	v_or_b32_e32 v26, 0x400000, v21
	v_cmp_u_f32_e32 vcc_lo, v21, v21
	v_and_b32_e32 v1, 0xffff0000, v18
	v_add3_u32 v22, v22, v21, 0x7fff
	v_add_f32_e32 v1, v1, v10
	v_cndmask_b32_e32 v21, v22, v26, vcc_lo
	v_lshlrev_b32_e32 v22, 16, v75
	v_add_f32_e32 v0, v0, v1
	v_and_b32_e32 v10, 0xffff0000, v21
	v_mul_f32_e32 v22, v3, v22
	v_bfe_u32 v26, v22, 16, 1
	v_or_b32_e32 v27, 0x400000, v22
	v_cmp_u_f32_e32 vcc_lo, v22, v22
	v_add3_u32 v26, v26, v22, 0x7fff
	v_cndmask_b32_e32 v22, v26, v27, vcc_lo
	v_and_b32_e32 v1, 0xffff0000, v22
	v_add_f32_e32 v1, v1, v10
	v_add_f32_e32 v0, v0, v1
	buffer_load_dword v1, off, s[0:3], s32 offset:900 ; 4-byte Folded Reload
	s_waitcnt vmcnt(0)
	v_add_f32_e32 v1, v1, v0
	buffer_load_dword v0, off, s[0:3], s32 offset:848 ; 4-byte Folded Reload
	buffer_store_dword v1, off, s[0:3], s32 offset:900 ; 4-byte Folded Spill
	s_waitcnt vmcnt(0)
	v_lshlrev_b32_e32 v0, 16, v0
	v_mul_f32_e32 v0, v8, v0
	v_bfe_u32 v1, v0, 16, 1
	v_or_b32_e32 v10, 0x400000, v0
	v_cmp_u_f32_e32 vcc_lo, v0, v0
	v_add3_u32 v1, v1, v0, 0x7fff
	v_cndmask_b32_e32 v0, v1, v10, vcc_lo
	v_lshlrev_b32_e32 v1, 16, v84
	v_and_b32_e32 v0, 0xffff0000, v0
	v_mul_f32_e32 v1, v9, v1
	v_bfe_u32 v10, v1, 16, 1
	v_or_b32_e32 v11, 0x400000, v1
	v_cmp_u_f32_e32 vcc_lo, v1, v1
	v_add3_u32 v10, v10, v1, 0x7fff
	v_cndmask_b32_e32 v1, v10, v11, vcc_lo
	buffer_load_dword v10, off, s[0:3], s32 offset:840 ; 4-byte Folded Reload
	v_and_b32_e32 v1, 0xffff0000, v1
	v_add_f32_e32 v0, v1, v0
	s_waitcnt vmcnt(0)
	v_lshlrev_b32_e32 v10, 16, v10
	v_mul_f32_e32 v10, v6, v10
	v_bfe_u32 v11, v10, 16, 1
	v_or_b32_e32 v12, 0x400000, v10
	v_cmp_u_f32_e32 vcc_lo, v10, v10
	v_add3_u32 v11, v11, v10, 0x7fff
	v_cndmask_b32_e32 v10, v11, v12, vcc_lo
	buffer_load_dword v11, off, s[0:3], s32 offset:844 ; 4-byte Folded Reload
	v_and_b32_e32 v10, 0xffff0000, v10
	s_waitcnt vmcnt(0)
	v_lshlrev_b32_e32 v11, 16, v11
	v_mul_f32_e32 v11, v7, v11
	v_bfe_u32 v12, v11, 16, 1
	v_or_b32_e32 v18, 0x400000, v11
	v_cmp_u_f32_e32 vcc_lo, v11, v11
	v_add3_u32 v12, v12, v11, 0x7fff
	v_cndmask_b32_e32 v11, v12, v18, vcc_lo
	buffer_load_dword v12, off, s[0:3], s32 offset:832 ; 4-byte Folded Reload
	v_and_b32_e32 v1, 0xffff0000, v11
	v_add_f32_e32 v1, v1, v10
	v_add_f32_e32 v0, v0, v1
	s_waitcnt vmcnt(0)
	v_lshlrev_b32_e32 v12, 16, v12
	v_mul_f32_e32 v12, v4, v12
	v_bfe_u32 v18, v12, 16, 1
	v_or_b32_e32 v21, 0x400000, v12
	v_cmp_u_f32_e32 vcc_lo, v12, v12
	v_add3_u32 v18, v18, v12, 0x7fff
	v_cndmask_b32_e32 v12, v18, v21, vcc_lo
	buffer_load_dword v18, off, s[0:3], s32 offset:836 ; 4-byte Folded Reload
	v_and_b32_e32 v10, 0xffff0000, v12
	s_waitcnt vmcnt(0)
	v_lshlrev_b32_e32 v18, 16, v18
	v_mul_f32_e32 v18, v5, v18
	v_bfe_u32 v21, v18, 16, 1
	v_or_b32_e32 v22, 0x400000, v18
	v_cmp_u_f32_e32 vcc_lo, v18, v18
	v_add3_u32 v21, v21, v18, 0x7fff
	v_cndmask_b32_e32 v18, v21, v22, vcc_lo
	v_lshlrev_b32_e32 v21, 16, v85
	v_and_b32_e32 v1, 0xffff0000, v18
	v_mul_f32_e32 v21, v2, v21
	v_add_f32_e32 v1, v1, v10
	v_bfe_u32 v22, v21, 16, 1
	v_or_b32_e32 v26, 0x400000, v21
	v_cmp_u_f32_e32 vcc_lo, v21, v21
	v_add_f32_e32 v0, v0, v1
	v_add3_u32 v22, v22, v21, 0x7fff
	v_cndmask_b32_e32 v21, v22, v26, vcc_lo
	buffer_load_dword v22, off, s[0:3], s32 offset:852 ; 4-byte Folded Reload
	v_and_b32_e32 v10, 0xffff0000, v21
	s_waitcnt vmcnt(0)
	v_lshlrev_b32_e32 v22, 16, v22
	v_mul_f32_e32 v22, v3, v22
	v_bfe_u32 v26, v22, 16, 1
	v_or_b32_e32 v27, 0x400000, v22
	v_cmp_u_f32_e32 vcc_lo, v22, v22
	v_add3_u32 v26, v26, v22, 0x7fff
	v_cndmask_b32_e32 v22, v26, v27, vcc_lo
	v_and_b32_e32 v1, 0xffff0000, v22
	v_add_f32_e32 v1, v1, v10
	v_add_f32_e32 v0, v0, v1
	buffer_load_dword v1, off, s[0:3], s32 offset:904 ; 4-byte Folded Reload
	s_waitcnt vmcnt(0)
	v_add_f32_e32 v1, v1, v0
	buffer_load_dword v0, off, s[0:3], s32 offset:816 ; 4-byte Folded Reload
	buffer_store_dword v1, off, s[0:3], s32 offset:904 ; 4-byte Folded Spill
	s_waitcnt vmcnt(0)
	v_lshlrev_b32_e32 v0, 16, v0
	v_mul_f32_e32 v0, v8, v0
	v_bfe_u32 v1, v0, 16, 1
	v_or_b32_e32 v10, 0x400000, v0
	v_cmp_u_f32_e32 vcc_lo, v0, v0
	v_add3_u32 v1, v1, v0, 0x7fff
	v_cndmask_b32_e32 v0, v1, v10, vcc_lo
	buffer_load_dword v1, off, s[0:3], s32 offset:824 ; 4-byte Folded Reload
	v_and_b32_e32 v0, 0xffff0000, v0
	s_waitcnt vmcnt(0)
	v_lshlrev_b32_e32 v1, 16, v1
	v_mul_f32_e32 v1, v9, v1
	v_bfe_u32 v10, v1, 16, 1
	v_or_b32_e32 v11, 0x400000, v1
	v_cmp_u_f32_e32 vcc_lo, v1, v1
	v_add3_u32 v10, v10, v1, 0x7fff
	v_cndmask_b32_e32 v1, v10, v11, vcc_lo
	buffer_load_dword v10, off, s[0:3], s32 offset:808 ; 4-byte Folded Reload
	v_and_b32_e32 v1, 0xffff0000, v1
	v_add_f32_e32 v0, v1, v0
	s_waitcnt vmcnt(0)
	v_lshlrev_b32_e32 v10, 16, v10
	v_mul_f32_e32 v10, v6, v10
	v_bfe_u32 v11, v10, 16, 1
	v_or_b32_e32 v12, 0x400000, v10
	v_cmp_u_f32_e32 vcc_lo, v10, v10
	v_add3_u32 v11, v11, v10, 0x7fff
	v_cndmask_b32_e32 v10, v11, v12, vcc_lo
	buffer_load_dword v11, off, s[0:3], s32 offset:812 ; 4-byte Folded Reload
	v_and_b32_e32 v10, 0xffff0000, v10
	s_waitcnt vmcnt(0)
	v_lshlrev_b32_e32 v11, 16, v11
	v_mul_f32_e32 v11, v7, v11
	v_bfe_u32 v12, v11, 16, 1
	v_or_b32_e32 v18, 0x400000, v11
	v_cmp_u_f32_e32 vcc_lo, v11, v11
	v_add3_u32 v12, v12, v11, 0x7fff
	v_cndmask_b32_e32 v11, v12, v18, vcc_lo
	buffer_load_dword v12, off, s[0:3], s32 offset:800 ; 4-byte Folded Reload
	v_and_b32_e32 v1, 0xffff0000, v11
	v_add_f32_e32 v1, v1, v10
	v_add_f32_e32 v0, v0, v1
	s_waitcnt vmcnt(0)
	v_lshlrev_b32_e32 v12, 16, v12
	v_mul_f32_e32 v12, v4, v12
	v_bfe_u32 v18, v12, 16, 1
	v_or_b32_e32 v21, 0x400000, v12
	v_cmp_u_f32_e32 vcc_lo, v12, v12
	v_add3_u32 v18, v18, v12, 0x7fff
	v_cndmask_b32_e32 v12, v18, v21, vcc_lo
	buffer_load_dword v18, off, s[0:3], s32 offset:804 ; 4-byte Folded Reload
	v_and_b32_e32 v10, 0xffff0000, v12
	s_waitcnt vmcnt(0)
	v_lshlrev_b32_e32 v18, 16, v18
	v_mul_f32_e32 v18, v5, v18
	v_bfe_u32 v21, v18, 16, 1
	v_or_b32_e32 v22, 0x400000, v18
	v_cmp_u_f32_e32 vcc_lo, v18, v18
	v_add3_u32 v21, v21, v18, 0x7fff
	v_cndmask_b32_e32 v18, v21, v22, vcc_lo
	buffer_load_dword v21, off, s[0:3], s32 offset:828 ; 4-byte Folded Reload
	v_and_b32_e32 v1, 0xffff0000, v18
	v_add_f32_e32 v1, v1, v10
	v_add_f32_e32 v0, v0, v1
	s_waitcnt vmcnt(0)
	v_lshlrev_b32_e32 v21, 16, v21
	v_mul_f32_e32 v21, v2, v21
	v_bfe_u32 v22, v21, 16, 1
	v_or_b32_e32 v26, 0x400000, v21
	v_cmp_u_f32_e32 vcc_lo, v21, v21
	v_add3_u32 v22, v22, v21, 0x7fff
	v_cndmask_b32_e32 v21, v22, v26, vcc_lo
	buffer_load_dword v22, off, s[0:3], s32 offset:820 ; 4-byte Folded Reload
	v_and_b32_e32 v10, 0xffff0000, v21
	s_waitcnt vmcnt(0)
	v_lshlrev_b32_e32 v22, 16, v22
	v_mul_f32_e32 v22, v3, v22
	v_bfe_u32 v26, v22, 16, 1
	v_or_b32_e32 v27, 0x400000, v22
	v_cmp_u_f32_e32 vcc_lo, v22, v22
	v_add3_u32 v26, v26, v22, 0x7fff
	v_cndmask_b32_e32 v22, v26, v27, vcc_lo
	v_and_b32_e32 v1, 0xffff0000, v22
	v_add_f32_e32 v1, v1, v10
	v_add_f32_e32 v0, v0, v1
	buffer_load_dword v1, off, s[0:3], s32 offset:908 ; 4-byte Folded Reload
	s_waitcnt vmcnt(0)
	v_add_f32_e32 v1, v1, v0
	buffer_load_dword v0, off, s[0:3], s32 offset:784 ; 4-byte Folded Reload
	buffer_store_dword v1, off, s[0:3], s32 offset:908 ; 4-byte Folded Spill
	s_waitcnt vmcnt(0)
	v_lshlrev_b32_e32 v0, 16, v0
	v_mul_f32_e32 v0, v8, v0
	v_bfe_u32 v1, v0, 16, 1
	v_or_b32_e32 v10, 0x400000, v0
	v_cmp_u_f32_e32 vcc_lo, v0, v0
	v_add3_u32 v1, v1, v0, 0x7fff
	v_cndmask_b32_e32 v0, v1, v10, vcc_lo
	buffer_load_dword v1, off, s[0:3], s32 offset:792 ; 4-byte Folded Reload
	v_and_b32_e32 v0, 0xffff0000, v0
	s_waitcnt vmcnt(0)
	v_lshlrev_b32_e32 v1, 16, v1
	v_mul_f32_e32 v1, v9, v1
	v_bfe_u32 v10, v1, 16, 1
	v_or_b32_e32 v11, 0x400000, v1
	v_cmp_u_f32_e32 vcc_lo, v1, v1
	v_add3_u32 v10, v10, v1, 0x7fff
	v_cndmask_b32_e32 v1, v10, v11, vcc_lo
	buffer_load_dword v10, off, s[0:3], s32 offset:776 ; 4-byte Folded Reload
	v_and_b32_e32 v1, 0xffff0000, v1
	v_add_f32_e32 v0, v1, v0
	s_waitcnt vmcnt(0)
	v_lshlrev_b32_e32 v10, 16, v10
	v_mul_f32_e32 v10, v6, v10
	v_bfe_u32 v11, v10, 16, 1
	v_or_b32_e32 v12, 0x400000, v10
	v_cmp_u_f32_e32 vcc_lo, v10, v10
	v_add3_u32 v11, v11, v10, 0x7fff
	v_cndmask_b32_e32 v10, v11, v12, vcc_lo
	buffer_load_dword v11, off, s[0:3], s32 offset:780 ; 4-byte Folded Reload
	v_and_b32_e32 v10, 0xffff0000, v10
	s_waitcnt vmcnt(0)
	v_lshlrev_b32_e32 v11, 16, v11
	v_mul_f32_e32 v11, v7, v11
	v_bfe_u32 v12, v11, 16, 1
	v_or_b32_e32 v18, 0x400000, v11
	v_cmp_u_f32_e32 vcc_lo, v11, v11
	v_add3_u32 v12, v12, v11, 0x7fff
	v_cndmask_b32_e32 v11, v12, v18, vcc_lo
	buffer_load_dword v12, off, s[0:3], s32 offset:768 ; 4-byte Folded Reload
	v_and_b32_e32 v1, 0xffff0000, v11
	v_add_f32_e32 v1, v1, v10
	v_add_f32_e32 v0, v0, v1
	s_waitcnt vmcnt(0)
	v_lshlrev_b32_e32 v12, 16, v12
	v_mul_f32_e32 v12, v4, v12
	v_bfe_u32 v18, v12, 16, 1
	v_or_b32_e32 v21, 0x400000, v12
	v_cmp_u_f32_e32 vcc_lo, v12, v12
	v_add3_u32 v18, v18, v12, 0x7fff
	v_cndmask_b32_e32 v12, v18, v21, vcc_lo
	buffer_load_dword v18, off, s[0:3], s32 offset:772 ; 4-byte Folded Reload
	v_and_b32_e32 v10, 0xffff0000, v12
	s_waitcnt vmcnt(0)
	v_lshlrev_b32_e32 v18, 16, v18
	v_mul_f32_e32 v18, v5, v18
	v_bfe_u32 v21, v18, 16, 1
	v_or_b32_e32 v22, 0x400000, v18
	v_cmp_u_f32_e32 vcc_lo, v18, v18
	v_add3_u32 v21, v21, v18, 0x7fff
	v_cndmask_b32_e32 v18, v21, v22, vcc_lo
	buffer_load_dword v21, off, s[0:3], s32 offset:796 ; 4-byte Folded Reload
	v_and_b32_e32 v1, 0xffff0000, v18
	v_add_f32_e32 v1, v1, v10
	v_add_f32_e32 v0, v0, v1
	s_waitcnt vmcnt(0)
	v_lshlrev_b32_e32 v21, 16, v21
	v_mul_f32_e32 v21, v2, v21
	v_bfe_u32 v22, v21, 16, 1
	v_or_b32_e32 v26, 0x400000, v21
	v_cmp_u_f32_e32 vcc_lo, v21, v21
	v_add3_u32 v22, v22, v21, 0x7fff
	v_cndmask_b32_e32 v21, v22, v26, vcc_lo
	buffer_load_dword v22, off, s[0:3], s32 offset:788 ; 4-byte Folded Reload
	v_and_b32_e32 v10, 0xffff0000, v21
	s_waitcnt vmcnt(0)
	v_lshlrev_b32_e32 v22, 16, v22
	v_mul_f32_e32 v22, v3, v22
	v_bfe_u32 v26, v22, 16, 1
	v_or_b32_e32 v27, 0x400000, v22
	v_cmp_u_f32_e32 vcc_lo, v22, v22
	v_add3_u32 v26, v26, v22, 0x7fff
	v_cndmask_b32_e32 v22, v26, v27, vcc_lo
	v_and_b32_e32 v1, 0xffff0000, v22
	v_add_f32_e32 v1, v1, v10
	v_add_f32_e32 v0, v0, v1
	buffer_load_dword v1, off, s[0:3], s32 offset:912 ; 4-byte Folded Reload
	s_waitcnt vmcnt(0)
	v_add_f32_e32 v1, v1, v0
	buffer_load_dword v0, off, s[0:3], s32 offset:752 ; 4-byte Folded Reload
	buffer_store_dword v1, off, s[0:3], s32 offset:912 ; 4-byte Folded Spill
	s_waitcnt vmcnt(0)
	v_lshlrev_b32_e32 v0, 16, v0
	v_mul_f32_e32 v0, v8, v0
	v_bfe_u32 v1, v0, 16, 1
	v_or_b32_e32 v10, 0x400000, v0
	v_cmp_u_f32_e32 vcc_lo, v0, v0
	v_add3_u32 v1, v1, v0, 0x7fff
	v_cndmask_b32_e32 v0, v1, v10, vcc_lo
	buffer_load_dword v1, off, s[0:3], s32 offset:760 ; 4-byte Folded Reload
	v_and_b32_e32 v0, 0xffff0000, v0
	s_waitcnt vmcnt(0)
	v_lshlrev_b32_e32 v1, 16, v1
	v_mul_f32_e32 v1, v9, v1
	v_bfe_u32 v10, v1, 16, 1
	v_or_b32_e32 v11, 0x400000, v1
	v_cmp_u_f32_e32 vcc_lo, v1, v1
	v_add3_u32 v10, v10, v1, 0x7fff
	v_cndmask_b32_e32 v1, v10, v11, vcc_lo
	buffer_load_dword v10, off, s[0:3], s32 offset:744 ; 4-byte Folded Reload
	v_and_b32_e32 v1, 0xffff0000, v1
	v_add_f32_e32 v0, v1, v0
	s_waitcnt vmcnt(0)
	v_lshlrev_b32_e32 v10, 16, v10
	v_mul_f32_e32 v10, v6, v10
	v_bfe_u32 v11, v10, 16, 1
	v_or_b32_e32 v12, 0x400000, v10
	v_cmp_u_f32_e32 vcc_lo, v10, v10
	v_add3_u32 v11, v11, v10, 0x7fff
	v_cndmask_b32_e32 v10, v11, v12, vcc_lo
	buffer_load_dword v11, off, s[0:3], s32 offset:748 ; 4-byte Folded Reload
	v_and_b32_e32 v10, 0xffff0000, v10
	s_waitcnt vmcnt(0)
	v_lshlrev_b32_e32 v11, 16, v11
	v_mul_f32_e32 v11, v7, v11
	v_bfe_u32 v12, v11, 16, 1
	v_or_b32_e32 v18, 0x400000, v11
	v_cmp_u_f32_e32 vcc_lo, v11, v11
	v_add3_u32 v12, v12, v11, 0x7fff
	v_cndmask_b32_e32 v11, v12, v18, vcc_lo
	buffer_load_dword v12, off, s[0:3], s32 offset:736 ; 4-byte Folded Reload
	v_and_b32_e32 v1, 0xffff0000, v11
	v_add_f32_e32 v1, v1, v10
	v_add_f32_e32 v0, v0, v1
	s_waitcnt vmcnt(0)
	v_lshlrev_b32_e32 v12, 16, v12
	v_mul_f32_e32 v12, v4, v12
	v_bfe_u32 v18, v12, 16, 1
	v_or_b32_e32 v21, 0x400000, v12
	v_cmp_u_f32_e32 vcc_lo, v12, v12
	v_add3_u32 v18, v18, v12, 0x7fff
	v_cndmask_b32_e32 v12, v18, v21, vcc_lo
	buffer_load_dword v18, off, s[0:3], s32 offset:740 ; 4-byte Folded Reload
	v_and_b32_e32 v10, 0xffff0000, v12
	s_waitcnt vmcnt(0)
	v_lshlrev_b32_e32 v18, 16, v18
	v_mul_f32_e32 v18, v5, v18
	v_bfe_u32 v21, v18, 16, 1
	v_or_b32_e32 v22, 0x400000, v18
	v_cmp_u_f32_e32 vcc_lo, v18, v18
	v_add3_u32 v21, v21, v18, 0x7fff
	v_cndmask_b32_e32 v18, v21, v22, vcc_lo
	buffer_load_dword v21, off, s[0:3], s32 offset:764 ; 4-byte Folded Reload
	v_and_b32_e32 v1, 0xffff0000, v18
	v_add_f32_e32 v1, v1, v10
	v_add_f32_e32 v0, v0, v1
	s_waitcnt vmcnt(0)
	v_lshlrev_b32_e32 v21, 16, v21
	v_mul_f32_e32 v21, v2, v21
	v_bfe_u32 v22, v21, 16, 1
	v_or_b32_e32 v26, 0x400000, v21
	v_cmp_u_f32_e32 vcc_lo, v21, v21
	v_add3_u32 v22, v22, v21, 0x7fff
	v_cndmask_b32_e32 v21, v22, v26, vcc_lo
	buffer_load_dword v22, off, s[0:3], s32 offset:756 ; 4-byte Folded Reload
	v_and_b32_e32 v10, 0xffff0000, v21
	s_waitcnt vmcnt(0)
	v_lshlrev_b32_e32 v22, 16, v22
	v_mul_f32_e32 v22, v3, v22
	v_bfe_u32 v26, v22, 16, 1
	v_or_b32_e32 v27, 0x400000, v22
	v_cmp_u_f32_e32 vcc_lo, v22, v22
	v_add3_u32 v26, v26, v22, 0x7fff
	v_cndmask_b32_e32 v22, v26, v27, vcc_lo
	v_and_b32_e32 v1, 0xffff0000, v22
	v_add_f32_e32 v1, v1, v10
	v_add_f32_e32 v0, v0, v1
	buffer_load_dword v1, off, s[0:3], s32 offset:916 ; 4-byte Folded Reload
	s_waitcnt vmcnt(0)
	v_add_f32_e32 v1, v1, v0
	buffer_load_dword v0, off, s[0:3], s32 offset:720 ; 4-byte Folded Reload
	buffer_store_dword v1, off, s[0:3], s32 offset:916 ; 4-byte Folded Spill
	s_waitcnt vmcnt(0)
	v_lshlrev_b32_e32 v0, 16, v0
	v_mul_f32_e32 v0, v8, v0
	v_bfe_u32 v1, v0, 16, 1
	v_or_b32_e32 v10, 0x400000, v0
	v_cmp_u_f32_e32 vcc_lo, v0, v0
	v_add3_u32 v1, v1, v0, 0x7fff
	v_cndmask_b32_e32 v0, v1, v10, vcc_lo
	buffer_load_dword v1, off, s[0:3], s32 offset:728 ; 4-byte Folded Reload
	v_and_b32_e32 v0, 0xffff0000, v0
	s_waitcnt vmcnt(0)
	v_lshlrev_b32_e32 v1, 16, v1
	v_mul_f32_e32 v1, v9, v1
	v_bfe_u32 v10, v1, 16, 1
	v_or_b32_e32 v11, 0x400000, v1
	v_cmp_u_f32_e32 vcc_lo, v1, v1
	v_add3_u32 v10, v10, v1, 0x7fff
	v_cndmask_b32_e32 v1, v10, v11, vcc_lo
	buffer_load_dword v10, off, s[0:3], s32 offset:712 ; 4-byte Folded Reload
	v_and_b32_e32 v1, 0xffff0000, v1
	v_add_f32_e32 v0, v1, v0
	s_waitcnt vmcnt(0)
	v_lshlrev_b32_e32 v10, 16, v10
	v_mul_f32_e32 v10, v6, v10
	v_bfe_u32 v11, v10, 16, 1
	v_or_b32_e32 v12, 0x400000, v10
	v_cmp_u_f32_e32 vcc_lo, v10, v10
	v_add3_u32 v11, v11, v10, 0x7fff
	v_cndmask_b32_e32 v10, v11, v12, vcc_lo
	buffer_load_dword v11, off, s[0:3], s32 offset:716 ; 4-byte Folded Reload
	v_and_b32_e32 v10, 0xffff0000, v10
	s_waitcnt vmcnt(0)
	v_lshlrev_b32_e32 v11, 16, v11
	v_mul_f32_e32 v11, v7, v11
	v_bfe_u32 v12, v11, 16, 1
	v_or_b32_e32 v18, 0x400000, v11
	v_cmp_u_f32_e32 vcc_lo, v11, v11
	v_add3_u32 v12, v12, v11, 0x7fff
	v_cndmask_b32_e32 v11, v12, v18, vcc_lo
	buffer_load_dword v12, off, s[0:3], s32 offset:704 ; 4-byte Folded Reload
	v_and_b32_e32 v1, 0xffff0000, v11
	v_add_f32_e32 v1, v1, v10
	v_add_f32_e32 v0, v0, v1
	s_waitcnt vmcnt(0)
	v_lshlrev_b32_e32 v12, 16, v12
	v_mul_f32_e32 v12, v4, v12
	v_bfe_u32 v18, v12, 16, 1
	v_or_b32_e32 v21, 0x400000, v12
	v_cmp_u_f32_e32 vcc_lo, v12, v12
	v_add3_u32 v18, v18, v12, 0x7fff
	v_cndmask_b32_e32 v12, v18, v21, vcc_lo
	buffer_load_dword v18, off, s[0:3], s32 offset:708 ; 4-byte Folded Reload
	v_and_b32_e32 v10, 0xffff0000, v12
	s_waitcnt vmcnt(0)
	v_lshlrev_b32_e32 v18, 16, v18
	v_mul_f32_e32 v18, v5, v18
	v_bfe_u32 v21, v18, 16, 1
	v_or_b32_e32 v22, 0x400000, v18
	v_cmp_u_f32_e32 vcc_lo, v18, v18
	v_add3_u32 v21, v21, v18, 0x7fff
	v_cndmask_b32_e32 v18, v21, v22, vcc_lo
	buffer_load_dword v21, off, s[0:3], s32 offset:732 ; 4-byte Folded Reload
	v_and_b32_e32 v1, 0xffff0000, v18
	v_add_f32_e32 v1, v1, v10
	v_add_f32_e32 v0, v0, v1
	s_waitcnt vmcnt(0)
	v_lshlrev_b32_e32 v21, 16, v21
	v_mul_f32_e32 v21, v2, v21
	v_bfe_u32 v22, v21, 16, 1
	v_or_b32_e32 v26, 0x400000, v21
	v_cmp_u_f32_e32 vcc_lo, v21, v21
	v_add3_u32 v22, v22, v21, 0x7fff
	v_cndmask_b32_e32 v21, v22, v26, vcc_lo
	buffer_load_dword v22, off, s[0:3], s32 offset:724 ; 4-byte Folded Reload
	v_and_b32_e32 v10, 0xffff0000, v21
	s_waitcnt vmcnt(0)
	v_lshlrev_b32_e32 v22, 16, v22
	v_mul_f32_e32 v22, v3, v22
	v_bfe_u32 v26, v22, 16, 1
	v_or_b32_e32 v27, 0x400000, v22
	v_cmp_u_f32_e32 vcc_lo, v22, v22
	v_add3_u32 v26, v26, v22, 0x7fff
	v_cndmask_b32_e32 v22, v26, v27, vcc_lo
	v_and_b32_e32 v1, 0xffff0000, v22
	v_add_f32_e32 v1, v1, v10
	v_add_f32_e32 v0, v0, v1
	buffer_load_dword v1, off, s[0:3], s32 offset:920 ; 4-byte Folded Reload
	s_waitcnt vmcnt(0)
	v_add_f32_e32 v1, v1, v0
	buffer_load_dword v0, off, s[0:3], s32 offset:688 ; 4-byte Folded Reload
	buffer_store_dword v1, off, s[0:3], s32 offset:920 ; 4-byte Folded Spill
	s_waitcnt vmcnt(0)
	v_lshlrev_b32_e32 v0, 16, v0
	v_mul_f32_e32 v0, v8, v0
	v_bfe_u32 v1, v0, 16, 1
	v_or_b32_e32 v10, 0x400000, v0
	v_cmp_u_f32_e32 vcc_lo, v0, v0
	v_add3_u32 v1, v1, v0, 0x7fff
	v_cndmask_b32_e32 v0, v1, v10, vcc_lo
	buffer_load_dword v1, off, s[0:3], s32 offset:696 ; 4-byte Folded Reload
	v_and_b32_e32 v0, 0xffff0000, v0
	s_waitcnt vmcnt(0)
	v_lshlrev_b32_e32 v1, 16, v1
	v_mul_f32_e32 v1, v9, v1
	v_bfe_u32 v10, v1, 16, 1
	v_or_b32_e32 v11, 0x400000, v1
	v_cmp_u_f32_e32 vcc_lo, v1, v1
	v_add3_u32 v10, v10, v1, 0x7fff
	v_cndmask_b32_e32 v1, v10, v11, vcc_lo
	buffer_load_dword v10, off, s[0:3], s32 offset:680 ; 4-byte Folded Reload
	v_and_b32_e32 v1, 0xffff0000, v1
	v_add_f32_e32 v0, v1, v0
	s_waitcnt vmcnt(0)
	v_lshlrev_b32_e32 v10, 16, v10
	v_mul_f32_e32 v10, v6, v10
	v_bfe_u32 v11, v10, 16, 1
	v_or_b32_e32 v12, 0x400000, v10
	v_cmp_u_f32_e32 vcc_lo, v10, v10
	v_add3_u32 v11, v11, v10, 0x7fff
	v_cndmask_b32_e32 v10, v11, v12, vcc_lo
	buffer_load_dword v11, off, s[0:3], s32 offset:684 ; 4-byte Folded Reload
	v_and_b32_e32 v10, 0xffff0000, v10
	s_waitcnt vmcnt(0)
	v_lshlrev_b32_e32 v11, 16, v11
	v_mul_f32_e32 v11, v7, v11
	v_bfe_u32 v12, v11, 16, 1
	v_or_b32_e32 v18, 0x400000, v11
	v_cmp_u_f32_e32 vcc_lo, v11, v11
	v_add3_u32 v12, v12, v11, 0x7fff
	v_cndmask_b32_e32 v11, v12, v18, vcc_lo
	buffer_load_dword v12, off, s[0:3], s32 offset:672 ; 4-byte Folded Reload
	v_and_b32_e32 v1, 0xffff0000, v11
	v_add_f32_e32 v1, v1, v10
	v_add_f32_e32 v0, v0, v1
	s_waitcnt vmcnt(0)
	v_lshlrev_b32_e32 v12, 16, v12
	v_mul_f32_e32 v12, v4, v12
	v_bfe_u32 v18, v12, 16, 1
	v_or_b32_e32 v21, 0x400000, v12
	v_cmp_u_f32_e32 vcc_lo, v12, v12
	v_add3_u32 v18, v18, v12, 0x7fff
	v_cndmask_b32_e32 v12, v18, v21, vcc_lo
	buffer_load_dword v18, off, s[0:3], s32 offset:676 ; 4-byte Folded Reload
	v_and_b32_e32 v10, 0xffff0000, v12
	s_waitcnt vmcnt(0)
	v_lshlrev_b32_e32 v18, 16, v18
	v_mul_f32_e32 v18, v5, v18
	v_bfe_u32 v21, v18, 16, 1
	v_or_b32_e32 v22, 0x400000, v18
	v_cmp_u_f32_e32 vcc_lo, v18, v18
	v_add3_u32 v21, v21, v18, 0x7fff
	v_cndmask_b32_e32 v18, v21, v22, vcc_lo
	buffer_load_dword v21, off, s[0:3], s32 offset:700 ; 4-byte Folded Reload
	v_and_b32_e32 v1, 0xffff0000, v18
	v_add_f32_e32 v1, v1, v10
	v_add_f32_e32 v0, v0, v1
	s_waitcnt vmcnt(0)
	v_lshlrev_b32_e32 v21, 16, v21
	v_mul_f32_e32 v21, v2, v21
	v_bfe_u32 v22, v21, 16, 1
	v_or_b32_e32 v26, 0x400000, v21
	v_cmp_u_f32_e32 vcc_lo, v21, v21
	v_add3_u32 v22, v22, v21, 0x7fff
	v_cndmask_b32_e32 v21, v22, v26, vcc_lo
	buffer_load_dword v22, off, s[0:3], s32 offset:692 ; 4-byte Folded Reload
	v_and_b32_e32 v10, 0xffff0000, v21
	s_waitcnt vmcnt(0)
	v_lshlrev_b32_e32 v22, 16, v22
	v_mul_f32_e32 v22, v3, v22
	v_bfe_u32 v26, v22, 16, 1
	v_or_b32_e32 v27, 0x400000, v22
	v_cmp_u_f32_e32 vcc_lo, v22, v22
	v_add3_u32 v26, v26, v22, 0x7fff
	v_cndmask_b32_e32 v22, v26, v27, vcc_lo
	v_and_b32_e32 v1, 0xffff0000, v22
	v_add_f32_e32 v1, v1, v10
	v_add_f32_e32 v0, v0, v1
	buffer_load_dword v1, off, s[0:3], s32 offset:924 ; 4-byte Folded Reload
	s_waitcnt vmcnt(0)
	v_add_f32_e32 v1, v1, v0
	buffer_load_dword v0, off, s[0:3], s32 offset:656 ; 4-byte Folded Reload
	buffer_store_dword v1, off, s[0:3], s32 offset:924 ; 4-byte Folded Spill
	s_waitcnt vmcnt(0)
	v_lshlrev_b32_e32 v0, 16, v0
	v_mul_f32_e32 v0, v8, v0
	v_bfe_u32 v1, v0, 16, 1
	v_or_b32_e32 v10, 0x400000, v0
	v_cmp_u_f32_e32 vcc_lo, v0, v0
	v_add3_u32 v1, v1, v0, 0x7fff
	v_cndmask_b32_e32 v0, v1, v10, vcc_lo
	buffer_load_dword v1, off, s[0:3], s32 offset:664 ; 4-byte Folded Reload
	v_and_b32_e32 v0, 0xffff0000, v0
	s_waitcnt vmcnt(0)
	v_lshlrev_b32_e32 v1, 16, v1
	v_mul_f32_e32 v1, v9, v1
	v_bfe_u32 v10, v1, 16, 1
	v_or_b32_e32 v11, 0x400000, v1
	v_cmp_u_f32_e32 vcc_lo, v1, v1
	v_add3_u32 v10, v10, v1, 0x7fff
	v_cndmask_b32_e32 v1, v10, v11, vcc_lo
	buffer_load_dword v10, off, s[0:3], s32 offset:648 ; 4-byte Folded Reload
	v_and_b32_e32 v1, 0xffff0000, v1
	v_add_f32_e32 v0, v1, v0
	s_waitcnt vmcnt(0)
	v_lshlrev_b32_e32 v10, 16, v10
	v_mul_f32_e32 v10, v6, v10
	v_bfe_u32 v11, v10, 16, 1
	v_or_b32_e32 v12, 0x400000, v10
	v_cmp_u_f32_e32 vcc_lo, v10, v10
	v_add3_u32 v11, v11, v10, 0x7fff
	v_cndmask_b32_e32 v10, v11, v12, vcc_lo
	buffer_load_dword v11, off, s[0:3], s32 offset:652 ; 4-byte Folded Reload
	v_and_b32_e32 v10, 0xffff0000, v10
	s_waitcnt vmcnt(0)
	v_lshlrev_b32_e32 v11, 16, v11
	v_mul_f32_e32 v11, v7, v11
	v_bfe_u32 v12, v11, 16, 1
	v_or_b32_e32 v18, 0x400000, v11
	v_cmp_u_f32_e32 vcc_lo, v11, v11
	v_add3_u32 v12, v12, v11, 0x7fff
	v_cndmask_b32_e32 v11, v12, v18, vcc_lo
	buffer_load_dword v12, off, s[0:3], s32 offset:640 ; 4-byte Folded Reload
	v_and_b32_e32 v1, 0xffff0000, v11
	v_add_f32_e32 v1, v1, v10
	v_add_f32_e32 v0, v0, v1
	s_waitcnt vmcnt(0)
	v_lshlrev_b32_e32 v12, 16, v12
	v_mul_f32_e32 v12, v4, v12
	v_bfe_u32 v18, v12, 16, 1
	v_or_b32_e32 v21, 0x400000, v12
	v_cmp_u_f32_e32 vcc_lo, v12, v12
	v_add3_u32 v18, v18, v12, 0x7fff
	v_cndmask_b32_e32 v12, v18, v21, vcc_lo
	buffer_load_dword v18, off, s[0:3], s32 offset:644 ; 4-byte Folded Reload
	v_and_b32_e32 v10, 0xffff0000, v12
	s_waitcnt vmcnt(0)
	v_lshlrev_b32_e32 v18, 16, v18
	v_mul_f32_e32 v18, v5, v18
	v_bfe_u32 v21, v18, 16, 1
	v_or_b32_e32 v22, 0x400000, v18
	v_cmp_u_f32_e32 vcc_lo, v18, v18
	v_add3_u32 v21, v21, v18, 0x7fff
	v_cndmask_b32_e32 v18, v21, v22, vcc_lo
	buffer_load_dword v21, off, s[0:3], s32 offset:668 ; 4-byte Folded Reload
	v_and_b32_e32 v1, 0xffff0000, v18
	v_add_f32_e32 v1, v1, v10
	v_add_f32_e32 v0, v0, v1
	s_waitcnt vmcnt(0)
	v_lshlrev_b32_e32 v21, 16, v21
	v_mul_f32_e32 v21, v2, v21
	v_bfe_u32 v22, v21, 16, 1
	v_or_b32_e32 v26, 0x400000, v21
	v_cmp_u_f32_e32 vcc_lo, v21, v21
	v_add3_u32 v22, v22, v21, 0x7fff
	v_cndmask_b32_e32 v21, v22, v26, vcc_lo
	buffer_load_dword v22, off, s[0:3], s32 offset:660 ; 4-byte Folded Reload
	v_and_b32_e32 v10, 0xffff0000, v21
	s_waitcnt vmcnt(0)
	v_lshlrev_b32_e32 v22, 16, v22
	v_mul_f32_e32 v22, v3, v22
	v_bfe_u32 v26, v22, 16, 1
	v_or_b32_e32 v27, 0x400000, v22
	v_cmp_u_f32_e32 vcc_lo, v22, v22
	v_add3_u32 v26, v26, v22, 0x7fff
	v_cndmask_b32_e32 v22, v26, v27, vcc_lo
	v_and_b32_e32 v1, 0xffff0000, v22
	v_add_f32_e32 v1, v1, v10
	v_add_f32_e32 v0, v0, v1
	buffer_load_dword v1, off, s[0:3], s32 offset:928 ; 4-byte Folded Reload
	s_waitcnt vmcnt(0)
	v_add_f32_e32 v1, v1, v0
	buffer_load_dword v0, off, s[0:3], s32 offset:624 ; 4-byte Folded Reload
	buffer_store_dword v1, off, s[0:3], s32 offset:928 ; 4-byte Folded Spill
	s_waitcnt vmcnt(0)
	v_lshlrev_b32_e32 v0, 16, v0
	v_mul_f32_e32 v0, v8, v0
	v_bfe_u32 v1, v0, 16, 1
	v_or_b32_e32 v10, 0x400000, v0
	v_cmp_u_f32_e32 vcc_lo, v0, v0
	v_add3_u32 v1, v1, v0, 0x7fff
	v_cndmask_b32_e32 v0, v1, v10, vcc_lo
	buffer_load_dword v1, off, s[0:3], s32 offset:632 ; 4-byte Folded Reload
	v_and_b32_e32 v0, 0xffff0000, v0
	s_waitcnt vmcnt(0)
	v_lshlrev_b32_e32 v1, 16, v1
	v_mul_f32_e32 v1, v9, v1
	v_bfe_u32 v10, v1, 16, 1
	v_or_b32_e32 v11, 0x400000, v1
	v_cmp_u_f32_e32 vcc_lo, v1, v1
	v_add3_u32 v10, v10, v1, 0x7fff
	v_cndmask_b32_e32 v1, v10, v11, vcc_lo
	buffer_load_dword v10, off, s[0:3], s32 offset:616 ; 4-byte Folded Reload
	v_and_b32_e32 v1, 0xffff0000, v1
	v_add_f32_e32 v0, v1, v0
	s_waitcnt vmcnt(0)
	v_lshlrev_b32_e32 v10, 16, v10
	v_mul_f32_e32 v10, v6, v10
	v_bfe_u32 v11, v10, 16, 1
	v_or_b32_e32 v12, 0x400000, v10
	v_cmp_u_f32_e32 vcc_lo, v10, v10
	v_add3_u32 v11, v11, v10, 0x7fff
	v_cndmask_b32_e32 v10, v11, v12, vcc_lo
	buffer_load_dword v11, off, s[0:3], s32 offset:620 ; 4-byte Folded Reload
	v_and_b32_e32 v10, 0xffff0000, v10
	s_waitcnt vmcnt(0)
	v_lshlrev_b32_e32 v11, 16, v11
	v_mul_f32_e32 v11, v7, v11
	v_bfe_u32 v12, v11, 16, 1
	v_or_b32_e32 v18, 0x400000, v11
	v_cmp_u_f32_e32 vcc_lo, v11, v11
	v_add3_u32 v12, v12, v11, 0x7fff
	v_cndmask_b32_e32 v11, v12, v18, vcc_lo
	buffer_load_dword v12, off, s[0:3], s32 offset:608 ; 4-byte Folded Reload
	v_and_b32_e32 v1, 0xffff0000, v11
	v_add_f32_e32 v1, v1, v10
	v_add_f32_e32 v0, v0, v1
	s_waitcnt vmcnt(0)
	v_lshlrev_b32_e32 v12, 16, v12
	v_mul_f32_e32 v12, v4, v12
	v_bfe_u32 v18, v12, 16, 1
	v_or_b32_e32 v21, 0x400000, v12
	v_cmp_u_f32_e32 vcc_lo, v12, v12
	v_add3_u32 v18, v18, v12, 0x7fff
	v_cndmask_b32_e32 v12, v18, v21, vcc_lo
	buffer_load_dword v18, off, s[0:3], s32 offset:612 ; 4-byte Folded Reload
	v_and_b32_e32 v10, 0xffff0000, v12
	s_waitcnt vmcnt(0)
	v_lshlrev_b32_e32 v18, 16, v18
	v_mul_f32_e32 v18, v5, v18
	v_bfe_u32 v21, v18, 16, 1
	v_or_b32_e32 v22, 0x400000, v18
	v_cmp_u_f32_e32 vcc_lo, v18, v18
	v_add3_u32 v21, v21, v18, 0x7fff
	v_cndmask_b32_e32 v18, v21, v22, vcc_lo
	buffer_load_dword v21, off, s[0:3], s32 offset:636 ; 4-byte Folded Reload
	v_and_b32_e32 v1, 0xffff0000, v18
	v_add_f32_e32 v1, v1, v10
	v_add_f32_e32 v0, v0, v1
	s_waitcnt vmcnt(0)
	v_lshlrev_b32_e32 v21, 16, v21
	v_mul_f32_e32 v21, v2, v21
	v_bfe_u32 v22, v21, 16, 1
	v_or_b32_e32 v26, 0x400000, v21
	v_cmp_u_f32_e32 vcc_lo, v21, v21
	v_add3_u32 v22, v22, v21, 0x7fff
	v_cndmask_b32_e32 v21, v22, v26, vcc_lo
	buffer_load_dword v22, off, s[0:3], s32 offset:628 ; 4-byte Folded Reload
	v_and_b32_e32 v10, 0xffff0000, v21
	s_waitcnt vmcnt(0)
	v_lshlrev_b32_e32 v22, 16, v22
	v_mul_f32_e32 v22, v3, v22
	v_bfe_u32 v26, v22, 16, 1
	v_or_b32_e32 v27, 0x400000, v22
	v_cmp_u_f32_e32 vcc_lo, v22, v22
	v_add3_u32 v26, v26, v22, 0x7fff
	v_cndmask_b32_e32 v22, v26, v27, vcc_lo
	v_and_b32_e32 v1, 0xffff0000, v22
	v_add_f32_e32 v1, v1, v10
	v_add_f32_e32 v0, v0, v1
	buffer_load_dword v1, off, s[0:3], s32 offset:932 ; 4-byte Folded Reload
	s_waitcnt vmcnt(0)
	v_add_f32_e32 v1, v1, v0
	buffer_load_dword v0, off, s[0:3], s32 offset:592 ; 4-byte Folded Reload
	buffer_store_dword v1, off, s[0:3], s32 offset:932 ; 4-byte Folded Spill
	s_waitcnt vmcnt(0)
	v_lshlrev_b32_e32 v0, 16, v0
	v_mul_f32_e32 v0, v8, v0
	v_bfe_u32 v1, v0, 16, 1
	v_or_b32_e32 v10, 0x400000, v0
	v_cmp_u_f32_e32 vcc_lo, v0, v0
	v_add3_u32 v1, v1, v0, 0x7fff
	v_cndmask_b32_e32 v0, v1, v10, vcc_lo
	buffer_load_dword v1, off, s[0:3], s32 offset:600 ; 4-byte Folded Reload
	v_and_b32_e32 v0, 0xffff0000, v0
	s_waitcnt vmcnt(0)
	v_lshlrev_b32_e32 v1, 16, v1
	v_mul_f32_e32 v1, v9, v1
	v_bfe_u32 v10, v1, 16, 1
	v_or_b32_e32 v11, 0x400000, v1
	v_cmp_u_f32_e32 vcc_lo, v1, v1
	v_add3_u32 v10, v10, v1, 0x7fff
	v_cndmask_b32_e32 v1, v10, v11, vcc_lo
	buffer_load_dword v10, off, s[0:3], s32 offset:584 ; 4-byte Folded Reload
	v_and_b32_e32 v1, 0xffff0000, v1
	v_add_f32_e32 v0, v1, v0
	s_waitcnt vmcnt(0)
	v_lshlrev_b32_e32 v10, 16, v10
	v_mul_f32_e32 v10, v6, v10
	v_bfe_u32 v11, v10, 16, 1
	v_or_b32_e32 v12, 0x400000, v10
	v_cmp_u_f32_e32 vcc_lo, v10, v10
	v_add3_u32 v11, v11, v10, 0x7fff
	v_cndmask_b32_e32 v10, v11, v12, vcc_lo
	buffer_load_dword v11, off, s[0:3], s32 offset:588 ; 4-byte Folded Reload
	v_and_b32_e32 v10, 0xffff0000, v10
	s_waitcnt vmcnt(0)
	v_lshlrev_b32_e32 v11, 16, v11
	v_mul_f32_e32 v11, v7, v11
	v_bfe_u32 v12, v11, 16, 1
	v_or_b32_e32 v18, 0x400000, v11
	v_cmp_u_f32_e32 vcc_lo, v11, v11
	v_add3_u32 v12, v12, v11, 0x7fff
	v_cndmask_b32_e32 v11, v12, v18, vcc_lo
	buffer_load_dword v12, off, s[0:3], s32 offset:576 ; 4-byte Folded Reload
	v_and_b32_e32 v1, 0xffff0000, v11
	v_add_f32_e32 v1, v1, v10
	v_add_f32_e32 v0, v0, v1
	s_waitcnt vmcnt(0)
	v_lshlrev_b32_e32 v12, 16, v12
	v_mul_f32_e32 v12, v4, v12
	v_bfe_u32 v18, v12, 16, 1
	v_or_b32_e32 v21, 0x400000, v12
	v_cmp_u_f32_e32 vcc_lo, v12, v12
	v_add3_u32 v18, v18, v12, 0x7fff
	v_cndmask_b32_e32 v12, v18, v21, vcc_lo
	buffer_load_dword v18, off, s[0:3], s32 offset:580 ; 4-byte Folded Reload
	v_and_b32_e32 v10, 0xffff0000, v12
	s_waitcnt vmcnt(0)
	v_lshlrev_b32_e32 v18, 16, v18
	v_mul_f32_e32 v18, v5, v18
	v_bfe_u32 v21, v18, 16, 1
	v_or_b32_e32 v22, 0x400000, v18
	v_cmp_u_f32_e32 vcc_lo, v18, v18
	v_add3_u32 v21, v21, v18, 0x7fff
	v_cndmask_b32_e32 v18, v21, v22, vcc_lo
	buffer_load_dword v21, off, s[0:3], s32 offset:604 ; 4-byte Folded Reload
	v_and_b32_e32 v1, 0xffff0000, v18
	v_add_f32_e32 v1, v1, v10
	v_add_f32_e32 v0, v0, v1
	s_waitcnt vmcnt(0)
	v_lshlrev_b32_e32 v21, 16, v21
	v_mul_f32_e32 v21, v2, v21
	v_bfe_u32 v22, v21, 16, 1
	v_or_b32_e32 v26, 0x400000, v21
	v_cmp_u_f32_e32 vcc_lo, v21, v21
	v_add3_u32 v22, v22, v21, 0x7fff
	v_cndmask_b32_e32 v21, v22, v26, vcc_lo
	buffer_load_dword v22, off, s[0:3], s32 offset:596 ; 4-byte Folded Reload
	v_and_b32_e32 v10, 0xffff0000, v21
	s_waitcnt vmcnt(0)
	v_lshlrev_b32_e32 v22, 16, v22
	v_mul_f32_e32 v22, v3, v22
	v_bfe_u32 v26, v22, 16, 1
	v_or_b32_e32 v27, 0x400000, v22
	v_cmp_u_f32_e32 vcc_lo, v22, v22
	v_add3_u32 v26, v26, v22, 0x7fff
	v_cndmask_b32_e32 v22, v26, v27, vcc_lo
	v_and_b32_e32 v1, 0xffff0000, v22
	v_add_f32_e32 v1, v1, v10
	v_add_f32_e32 v0, v0, v1
	buffer_load_dword v1, off, s[0:3], s32 offset:936 ; 4-byte Folded Reload
	s_waitcnt vmcnt(0)
	v_add_f32_e32 v1, v1, v0
	buffer_load_dword v0, off, s[0:3], s32 offset:560 ; 4-byte Folded Reload
	buffer_store_dword v1, off, s[0:3], s32 offset:936 ; 4-byte Folded Spill
	s_waitcnt vmcnt(0)
	v_lshlrev_b32_e32 v0, 16, v0
	v_mul_f32_e32 v0, v8, v0
	v_bfe_u32 v1, v0, 16, 1
	v_or_b32_e32 v10, 0x400000, v0
	v_cmp_u_f32_e32 vcc_lo, v0, v0
	v_add3_u32 v1, v1, v0, 0x7fff
	v_cndmask_b32_e32 v0, v1, v10, vcc_lo
	buffer_load_dword v1, off, s[0:3], s32 offset:568 ; 4-byte Folded Reload
	v_and_b32_e32 v0, 0xffff0000, v0
	s_waitcnt vmcnt(0)
	v_lshlrev_b32_e32 v1, 16, v1
	v_mul_f32_e32 v1, v9, v1
	v_bfe_u32 v10, v1, 16, 1
	v_or_b32_e32 v11, 0x400000, v1
	v_cmp_u_f32_e32 vcc_lo, v1, v1
	v_add3_u32 v10, v10, v1, 0x7fff
	v_cndmask_b32_e32 v1, v10, v11, vcc_lo
	buffer_load_dword v10, off, s[0:3], s32 offset:552 ; 4-byte Folded Reload
	v_and_b32_e32 v1, 0xffff0000, v1
	v_add_f32_e32 v0, v1, v0
	s_waitcnt vmcnt(0)
	v_lshlrev_b32_e32 v10, 16, v10
	v_mul_f32_e32 v10, v6, v10
	v_bfe_u32 v11, v10, 16, 1
	v_or_b32_e32 v12, 0x400000, v10
	v_cmp_u_f32_e32 vcc_lo, v10, v10
	v_add3_u32 v11, v11, v10, 0x7fff
	v_cndmask_b32_e32 v10, v11, v12, vcc_lo
	buffer_load_dword v11, off, s[0:3], s32 offset:556 ; 4-byte Folded Reload
	v_and_b32_e32 v10, 0xffff0000, v10
	s_waitcnt vmcnt(0)
	v_lshlrev_b32_e32 v11, 16, v11
	v_mul_f32_e32 v11, v7, v11
	v_bfe_u32 v12, v11, 16, 1
	v_or_b32_e32 v18, 0x400000, v11
	v_cmp_u_f32_e32 vcc_lo, v11, v11
	v_add3_u32 v12, v12, v11, 0x7fff
	v_cndmask_b32_e32 v11, v12, v18, vcc_lo
	buffer_load_dword v12, off, s[0:3], s32 offset:544 ; 4-byte Folded Reload
	v_and_b32_e32 v1, 0xffff0000, v11
	v_add_f32_e32 v1, v1, v10
	v_add_f32_e32 v0, v0, v1
	s_waitcnt vmcnt(0)
	v_lshlrev_b32_e32 v12, 16, v12
	v_mul_f32_e32 v12, v4, v12
	v_bfe_u32 v18, v12, 16, 1
	v_or_b32_e32 v21, 0x400000, v12
	v_cmp_u_f32_e32 vcc_lo, v12, v12
	v_add3_u32 v18, v18, v12, 0x7fff
	v_cndmask_b32_e32 v12, v18, v21, vcc_lo
	buffer_load_dword v18, off, s[0:3], s32 offset:548 ; 4-byte Folded Reload
	v_and_b32_e32 v10, 0xffff0000, v12
	s_waitcnt vmcnt(0)
	v_lshlrev_b32_e32 v18, 16, v18
	v_mul_f32_e32 v18, v5, v18
	v_bfe_u32 v21, v18, 16, 1
	v_or_b32_e32 v22, 0x400000, v18
	v_cmp_u_f32_e32 vcc_lo, v18, v18
	v_add3_u32 v21, v21, v18, 0x7fff
	v_cndmask_b32_e32 v18, v21, v22, vcc_lo
	buffer_load_dword v21, off, s[0:3], s32 offset:572 ; 4-byte Folded Reload
	v_and_b32_e32 v1, 0xffff0000, v18
	v_add_f32_e32 v1, v1, v10
	v_add_f32_e32 v0, v0, v1
	s_waitcnt vmcnt(0)
	v_lshlrev_b32_e32 v21, 16, v21
	v_mul_f32_e32 v21, v2, v21
	v_bfe_u32 v22, v21, 16, 1
	v_or_b32_e32 v26, 0x400000, v21
	v_cmp_u_f32_e32 vcc_lo, v21, v21
	v_add3_u32 v22, v22, v21, 0x7fff
	v_cndmask_b32_e32 v21, v22, v26, vcc_lo
	buffer_load_dword v22, off, s[0:3], s32 offset:564 ; 4-byte Folded Reload
	v_and_b32_e32 v10, 0xffff0000, v21
	s_waitcnt vmcnt(0)
	v_lshlrev_b32_e32 v22, 16, v22
	v_mul_f32_e32 v22, v3, v22
	v_bfe_u32 v26, v22, 16, 1
	v_or_b32_e32 v27, 0x400000, v22
	v_cmp_u_f32_e32 vcc_lo, v22, v22
	v_add3_u32 v26, v26, v22, 0x7fff
	v_cndmask_b32_e32 v22, v26, v27, vcc_lo
	v_and_b32_e32 v1, 0xffff0000, v22
	v_add_f32_e32 v1, v1, v10
	v_add_f32_e32 v0, v0, v1
	buffer_load_dword v1, off, s[0:3], s32 offset:940 ; 4-byte Folded Reload
	s_waitcnt vmcnt(0)
	v_add_f32_e32 v1, v1, v0
	buffer_load_dword v0, off, s[0:3], s32 offset:528 ; 4-byte Folded Reload
	buffer_store_dword v1, off, s[0:3], s32 offset:940 ; 4-byte Folded Spill
	s_waitcnt vmcnt(0)
	v_lshlrev_b32_e32 v0, 16, v0
	v_mul_f32_e32 v0, v8, v0
	v_bfe_u32 v1, v0, 16, 1
	v_or_b32_e32 v10, 0x400000, v0
	v_cmp_u_f32_e32 vcc_lo, v0, v0
	v_add3_u32 v1, v1, v0, 0x7fff
	v_cndmask_b32_e32 v0, v1, v10, vcc_lo
	buffer_load_dword v1, off, s[0:3], s32 offset:536 ; 4-byte Folded Reload
	v_and_b32_e32 v0, 0xffff0000, v0
	s_waitcnt vmcnt(0)
	v_lshlrev_b32_e32 v1, 16, v1
	v_mul_f32_e32 v1, v9, v1
	v_bfe_u32 v10, v1, 16, 1
	v_or_b32_e32 v11, 0x400000, v1
	v_cmp_u_f32_e32 vcc_lo, v1, v1
	v_add3_u32 v10, v10, v1, 0x7fff
	v_cndmask_b32_e32 v1, v10, v11, vcc_lo
	buffer_load_dword v10, off, s[0:3], s32 offset:520 ; 4-byte Folded Reload
	v_and_b32_e32 v1, 0xffff0000, v1
	v_add_f32_e32 v0, v1, v0
	s_waitcnt vmcnt(0)
	v_lshlrev_b32_e32 v10, 16, v10
	v_mul_f32_e32 v10, v6, v10
	v_bfe_u32 v11, v10, 16, 1
	v_or_b32_e32 v12, 0x400000, v10
	v_cmp_u_f32_e32 vcc_lo, v10, v10
	v_add3_u32 v11, v11, v10, 0x7fff
	v_cndmask_b32_e32 v10, v11, v12, vcc_lo
	buffer_load_dword v11, off, s[0:3], s32 offset:524 ; 4-byte Folded Reload
	v_and_b32_e32 v10, 0xffff0000, v10
	s_waitcnt vmcnt(0)
	v_lshlrev_b32_e32 v11, 16, v11
	v_mul_f32_e32 v11, v7, v11
	v_bfe_u32 v12, v11, 16, 1
	v_or_b32_e32 v18, 0x400000, v11
	v_cmp_u_f32_e32 vcc_lo, v11, v11
	v_add3_u32 v12, v12, v11, 0x7fff
	v_cndmask_b32_e32 v11, v12, v18, vcc_lo
	buffer_load_dword v12, off, s[0:3], s32 offset:512 ; 4-byte Folded Reload
	v_and_b32_e32 v1, 0xffff0000, v11
	v_add_f32_e32 v1, v1, v10
	v_add_f32_e32 v0, v0, v1
	s_waitcnt vmcnt(0)
	v_lshlrev_b32_e32 v12, 16, v12
	v_mul_f32_e32 v12, v4, v12
	v_bfe_u32 v18, v12, 16, 1
	v_or_b32_e32 v21, 0x400000, v12
	v_cmp_u_f32_e32 vcc_lo, v12, v12
	v_add3_u32 v18, v18, v12, 0x7fff
	v_cndmask_b32_e32 v12, v18, v21, vcc_lo
	buffer_load_dword v18, off, s[0:3], s32 offset:516 ; 4-byte Folded Reload
	v_and_b32_e32 v10, 0xffff0000, v12
	s_waitcnt vmcnt(0)
	v_lshlrev_b32_e32 v18, 16, v18
	v_mul_f32_e32 v18, v5, v18
	v_bfe_u32 v21, v18, 16, 1
	v_or_b32_e32 v22, 0x400000, v18
	v_cmp_u_f32_e32 vcc_lo, v18, v18
	v_add3_u32 v21, v21, v18, 0x7fff
	v_cndmask_b32_e32 v18, v21, v22, vcc_lo
	buffer_load_dword v21, off, s[0:3], s32 offset:540 ; 4-byte Folded Reload
	v_and_b32_e32 v1, 0xffff0000, v18
	v_add_f32_e32 v1, v1, v10
	v_add_f32_e32 v0, v0, v1
	s_waitcnt vmcnt(0)
	v_lshlrev_b32_e32 v21, 16, v21
	v_mul_f32_e32 v21, v2, v21
	v_bfe_u32 v22, v21, 16, 1
	v_or_b32_e32 v26, 0x400000, v21
	v_cmp_u_f32_e32 vcc_lo, v21, v21
	v_add3_u32 v22, v22, v21, 0x7fff
	v_cndmask_b32_e32 v21, v22, v26, vcc_lo
	buffer_load_dword v22, off, s[0:3], s32 offset:532 ; 4-byte Folded Reload
	v_and_b32_e32 v10, 0xffff0000, v21
	s_waitcnt vmcnt(0)
	v_lshlrev_b32_e32 v22, 16, v22
	v_mul_f32_e32 v22, v3, v22
	v_bfe_u32 v26, v22, 16, 1
	v_or_b32_e32 v27, 0x400000, v22
	v_cmp_u_f32_e32 vcc_lo, v22, v22
	v_add3_u32 v26, v26, v22, 0x7fff
	v_cndmask_b32_e32 v22, v26, v27, vcc_lo
	v_and_b32_e32 v1, 0xffff0000, v22
	v_add_f32_e32 v1, v1, v10
	v_add_f32_e32 v0, v0, v1
	buffer_load_dword v1, off, s[0:3], s32 offset:944 ; 4-byte Folded Reload
	s_waitcnt vmcnt(0)
	v_add_f32_e32 v1, v1, v0
	buffer_load_dword v0, off, s[0:3], s32 offset:500 ; 4-byte Folded Reload
	buffer_store_dword v1, off, s[0:3], s32 offset:944 ; 4-byte Folded Spill
	s_waitcnt vmcnt(0)
	v_lshlrev_b32_e32 v0, 16, v0
	v_mul_f32_e32 v0, v8, v0
	v_bfe_u32 v1, v0, 16, 1
	v_or_b32_e32 v10, 0x400000, v0
	v_cmp_u_f32_e32 vcc_lo, v0, v0
	v_add3_u32 v1, v1, v0, 0x7fff
	v_cndmask_b32_e32 v0, v1, v10, vcc_lo
	buffer_load_dword v1, off, s[0:3], s32 offset:504 ; 4-byte Folded Reload
	v_and_b32_e32 v0, 0xffff0000, v0
	s_waitcnt vmcnt(0)
	v_lshlrev_b32_e32 v1, 16, v1
	v_mul_f32_e32 v1, v9, v1
	v_bfe_u32 v10, v1, 16, 1
	v_or_b32_e32 v11, 0x400000, v1
	v_cmp_u_f32_e32 vcc_lo, v1, v1
	v_add3_u32 v10, v10, v1, 0x7fff
	v_cndmask_b32_e32 v1, v10, v11, vcc_lo
	buffer_load_dword v10, off, s[0:3], s32 offset:488 ; 4-byte Folded Reload
	v_and_b32_e32 v1, 0xffff0000, v1
	v_add_f32_e32 v0, v1, v0
	s_waitcnt vmcnt(0)
	v_lshlrev_b32_e32 v10, 16, v10
	v_mul_f32_e32 v10, v6, v10
	v_bfe_u32 v11, v10, 16, 1
	v_or_b32_e32 v12, 0x400000, v10
	v_cmp_u_f32_e32 vcc_lo, v10, v10
	v_add3_u32 v11, v11, v10, 0x7fff
	v_cndmask_b32_e32 v10, v11, v12, vcc_lo
	buffer_load_dword v11, off, s[0:3], s32 offset:492 ; 4-byte Folded Reload
	v_and_b32_e32 v10, 0xffff0000, v10
	s_waitcnt vmcnt(0)
	v_lshlrev_b32_e32 v11, 16, v11
	v_mul_f32_e32 v11, v7, v11
	v_bfe_u32 v12, v11, 16, 1
	v_or_b32_e32 v18, 0x400000, v11
	v_cmp_u_f32_e32 vcc_lo, v11, v11
	v_add3_u32 v12, v12, v11, 0x7fff
	v_cndmask_b32_e32 v11, v12, v18, vcc_lo
	buffer_load_dword v12, off, s[0:3], s32 offset:480 ; 4-byte Folded Reload
	v_and_b32_e32 v1, 0xffff0000, v11
	v_add_f32_e32 v1, v1, v10
	v_add_f32_e32 v0, v0, v1
	s_waitcnt vmcnt(0)
	v_lshlrev_b32_e32 v12, 16, v12
	v_mul_f32_e32 v12, v4, v12
	v_bfe_u32 v18, v12, 16, 1
	v_or_b32_e32 v21, 0x400000, v12
	v_cmp_u_f32_e32 vcc_lo, v12, v12
	v_add3_u32 v18, v18, v12, 0x7fff
	v_cndmask_b32_e32 v12, v18, v21, vcc_lo
	buffer_load_dword v18, off, s[0:3], s32 offset:484 ; 4-byte Folded Reload
	v_and_b32_e32 v10, 0xffff0000, v12
	s_waitcnt vmcnt(0)
	v_lshlrev_b32_e32 v18, 16, v18
	v_mul_f32_e32 v18, v5, v18
	v_bfe_u32 v21, v18, 16, 1
	v_or_b32_e32 v22, 0x400000, v18
	v_cmp_u_f32_e32 vcc_lo, v18, v18
	v_add3_u32 v21, v21, v18, 0x7fff
	v_cndmask_b32_e32 v18, v21, v22, vcc_lo
	buffer_load_dword v21, off, s[0:3], s32 offset:508 ; 4-byte Folded Reload
	v_and_b32_e32 v1, 0xffff0000, v18
	v_add_f32_e32 v1, v1, v10
	v_add_f32_e32 v0, v0, v1
	s_waitcnt vmcnt(0)
	v_lshlrev_b32_e32 v21, 16, v21
	v_mul_f32_e32 v21, v2, v21
	v_bfe_u32 v22, v21, 16, 1
	v_or_b32_e32 v26, 0x400000, v21
	v_cmp_u_f32_e32 vcc_lo, v21, v21
	v_add3_u32 v22, v22, v21, 0x7fff
	v_cndmask_b32_e32 v21, v22, v26, vcc_lo
	buffer_load_dword v22, off, s[0:3], s32 offset:496 ; 4-byte Folded Reload
	v_and_b32_e32 v10, 0xffff0000, v21
	s_waitcnt vmcnt(0)
	v_lshlrev_b32_e32 v22, 16, v22
	v_mul_f32_e32 v22, v3, v22
	v_bfe_u32 v26, v22, 16, 1
	v_or_b32_e32 v27, 0x400000, v22
	v_cmp_u_f32_e32 vcc_lo, v22, v22
	v_add3_u32 v26, v26, v22, 0x7fff
	v_cndmask_b32_e32 v22, v26, v27, vcc_lo
	v_and_b32_e32 v1, 0xffff0000, v22
	v_add_f32_e32 v1, v1, v10
	v_add_f32_e32 v0, v0, v1
	buffer_load_dword v1, off, s[0:3], s32 offset:948 ; 4-byte Folded Reload
	s_waitcnt vmcnt(0)
	v_add_f32_e32 v1, v1, v0
	buffer_load_dword v0, off, s[0:3], s32 offset:476 ; 4-byte Folded Reload
	buffer_store_dword v1, off, s[0:3], s32 offset:948 ; 4-byte Folded Spill
	s_waitcnt vmcnt(0)
	v_lshlrev_b32_e32 v0, 16, v0
	v_mul_f32_e32 v0, v8, v0
	v_bfe_u32 v1, v0, 16, 1
	v_or_b32_e32 v10, 0x400000, v0
	v_cmp_u_f32_e32 vcc_lo, v0, v0
	v_add3_u32 v1, v1, v0, 0x7fff
	v_cndmask_b32_e32 v0, v1, v10, vcc_lo
	buffer_load_dword v1, off, s[0:3], s32 offset:472 ; 4-byte Folded Reload
	v_and_b32_e32 v0, 0xffff0000, v0
	s_waitcnt vmcnt(0)
	v_lshlrev_b32_e32 v1, 16, v1
	v_mul_f32_e32 v1, v9, v1
	v_bfe_u32 v10, v1, 16, 1
	v_or_b32_e32 v11, 0x400000, v1
	v_cmp_u_f32_e32 vcc_lo, v1, v1
	v_add3_u32 v10, v10, v1, 0x7fff
	v_cndmask_b32_e32 v1, v10, v11, vcc_lo
	buffer_load_dword v10, off, s[0:3], s32 offset:460 ; 4-byte Folded Reload
	v_and_b32_e32 v1, 0xffff0000, v1
	v_add_f32_e32 v0, v1, v0
	s_waitcnt vmcnt(0)
	v_lshlrev_b32_e32 v10, 16, v10
	v_mul_f32_e32 v10, v6, v10
	v_bfe_u32 v11, v10, 16, 1
	v_or_b32_e32 v12, 0x400000, v10
	v_cmp_u_f32_e32 vcc_lo, v10, v10
	v_add3_u32 v11, v11, v10, 0x7fff
	v_cndmask_b32_e32 v10, v11, v12, vcc_lo
	buffer_load_dword v11, off, s[0:3], s32 offset:464 ; 4-byte Folded Reload
	v_and_b32_e32 v10, 0xffff0000, v10
	s_waitcnt vmcnt(0)
	v_lshlrev_b32_e32 v11, 16, v11
	v_mul_f32_e32 v11, v7, v11
	v_bfe_u32 v12, v11, 16, 1
	v_or_b32_e32 v18, 0x400000, v11
	v_cmp_u_f32_e32 vcc_lo, v11, v11
	v_add3_u32 v12, v12, v11, 0x7fff
	v_cndmask_b32_e32 v11, v12, v18, vcc_lo
	buffer_load_dword v12, off, s[0:3], s32 offset:452 ; 4-byte Folded Reload
	v_and_b32_e32 v1, 0xffff0000, v11
	v_add_f32_e32 v1, v1, v10
	v_add_f32_e32 v0, v0, v1
	s_waitcnt vmcnt(0)
	v_lshlrev_b32_e32 v12, 16, v12
	v_mul_f32_e32 v12, v4, v12
	v_bfe_u32 v18, v12, 16, 1
	v_or_b32_e32 v21, 0x400000, v12
	v_cmp_u_f32_e32 vcc_lo, v12, v12
	v_add3_u32 v18, v18, v12, 0x7fff
	v_cndmask_b32_e32 v12, v18, v21, vcc_lo
	buffer_load_dword v18, off, s[0:3], s32 offset:448 ; 4-byte Folded Reload
	v_and_b32_e32 v10, 0xffff0000, v12
	s_waitcnt vmcnt(0)
	v_lshlrev_b32_e32 v18, 16, v18
	v_mul_f32_e32 v18, v5, v18
	v_bfe_u32 v21, v18, 16, 1
	v_or_b32_e32 v22, 0x400000, v18
	v_cmp_u_f32_e32 vcc_lo, v18, v18
	v_add3_u32 v21, v21, v18, 0x7fff
	v_cndmask_b32_e32 v18, v21, v22, vcc_lo
	buffer_load_dword v21, off, s[0:3], s32 offset:468 ; 4-byte Folded Reload
	v_and_b32_e32 v1, 0xffff0000, v18
	v_add_f32_e32 v1, v1, v10
	v_add_f32_e32 v0, v0, v1
	s_waitcnt vmcnt(0)
	v_lshlrev_b32_e32 v21, 16, v21
	v_mul_f32_e32 v21, v2, v21
	v_bfe_u32 v22, v21, 16, 1
	v_or_b32_e32 v26, 0x400000, v21
	v_cmp_u_f32_e32 vcc_lo, v21, v21
	v_add3_u32 v22, v22, v21, 0x7fff
	v_cndmask_b32_e32 v21, v22, v26, vcc_lo
	buffer_load_dword v22, off, s[0:3], s32 offset:456 ; 4-byte Folded Reload
	v_and_b32_e32 v10, 0xffff0000, v21
	s_waitcnt vmcnt(0)
	v_lshlrev_b32_e32 v22, 16, v22
	v_mul_f32_e32 v22, v3, v22
	v_bfe_u32 v26, v22, 16, 1
	v_or_b32_e32 v27, 0x400000, v22
	v_cmp_u_f32_e32 vcc_lo, v22, v22
	v_add3_u32 v26, v26, v22, 0x7fff
	v_cndmask_b32_e32 v22, v26, v27, vcc_lo
	v_and_b32_e32 v1, 0xffff0000, v22
	v_add_f32_e32 v1, v1, v10
	v_add_f32_e32 v0, v0, v1
	buffer_load_dword v1, off, s[0:3], s32 offset:952 ; 4-byte Folded Reload
	s_waitcnt vmcnt(0)
	v_add_f32_e32 v1, v1, v0
	buffer_load_dword v0, off, s[0:3], s32 offset:444 ; 4-byte Folded Reload
	buffer_store_dword v1, off, s[0:3], s32 offset:952 ; 4-byte Folded Spill
	s_waitcnt vmcnt(0)
	v_lshlrev_b32_e32 v0, 16, v0
	v_mul_f32_e32 v0, v8, v0
	v_bfe_u32 v1, v0, 16, 1
	v_or_b32_e32 v10, 0x400000, v0
	v_cmp_u_f32_e32 vcc_lo, v0, v0
	v_add3_u32 v1, v1, v0, 0x7fff
	v_cndmask_b32_e32 v0, v1, v10, vcc_lo
	buffer_load_dword v1, off, s[0:3], s32 offset:440 ; 4-byte Folded Reload
	v_and_b32_e32 v0, 0xffff0000, v0
	s_waitcnt vmcnt(0)
	v_lshlrev_b32_e32 v1, 16, v1
	v_mul_f32_e32 v1, v9, v1
	v_bfe_u32 v10, v1, 16, 1
	v_or_b32_e32 v11, 0x400000, v1
	v_cmp_u_f32_e32 vcc_lo, v1, v1
	v_add3_u32 v10, v10, v1, 0x7fff
	v_cndmask_b32_e32 v1, v10, v11, vcc_lo
	buffer_load_dword v10, off, s[0:3], s32 offset:428 ; 4-byte Folded Reload
	v_and_b32_e32 v1, 0xffff0000, v1
	v_add_f32_e32 v0, v1, v0
	s_waitcnt vmcnt(0)
	v_lshlrev_b32_e32 v10, 16, v10
	v_mul_f32_e32 v10, v6, v10
	v_bfe_u32 v11, v10, 16, 1
	v_or_b32_e32 v12, 0x400000, v10
	v_cmp_u_f32_e32 vcc_lo, v10, v10
	v_add3_u32 v11, v11, v10, 0x7fff
	v_cndmask_b32_e32 v10, v11, v12, vcc_lo
	buffer_load_dword v11, off, s[0:3], s32 offset:432 ; 4-byte Folded Reload
	v_and_b32_e32 v10, 0xffff0000, v10
	s_waitcnt vmcnt(0)
	v_lshlrev_b32_e32 v11, 16, v11
	v_mul_f32_e32 v11, v7, v11
	v_bfe_u32 v12, v11, 16, 1
	v_or_b32_e32 v18, 0x400000, v11
	v_cmp_u_f32_e32 vcc_lo, v11, v11
	v_add3_u32 v12, v12, v11, 0x7fff
	v_cndmask_b32_e32 v11, v12, v18, vcc_lo
	buffer_load_dword v12, off, s[0:3], s32 offset:420 ; 4-byte Folded Reload
	v_and_b32_e32 v1, 0xffff0000, v11
	v_add_f32_e32 v1, v1, v10
	v_add_f32_e32 v0, v0, v1
	s_waitcnt vmcnt(0)
	v_lshlrev_b32_e32 v12, 16, v12
	v_mul_f32_e32 v12, v4, v12
	v_bfe_u32 v18, v12, 16, 1
	v_or_b32_e32 v21, 0x400000, v12
	v_cmp_u_f32_e32 vcc_lo, v12, v12
	v_add3_u32 v18, v18, v12, 0x7fff
	v_cndmask_b32_e32 v12, v18, v21, vcc_lo
	buffer_load_dword v18, off, s[0:3], s32 offset:416 ; 4-byte Folded Reload
	v_and_b32_e32 v10, 0xffff0000, v12
	s_waitcnt vmcnt(0)
	v_lshlrev_b32_e32 v18, 16, v18
	v_mul_f32_e32 v18, v5, v18
	v_bfe_u32 v21, v18, 16, 1
	v_or_b32_e32 v22, 0x400000, v18
	v_cmp_u_f32_e32 vcc_lo, v18, v18
	v_add3_u32 v21, v21, v18, 0x7fff
	v_cndmask_b32_e32 v18, v21, v22, vcc_lo
	buffer_load_dword v21, off, s[0:3], s32 offset:436 ; 4-byte Folded Reload
	v_and_b32_e32 v1, 0xffff0000, v18
	v_add_f32_e32 v1, v1, v10
	v_add_f32_e32 v0, v0, v1
	s_waitcnt vmcnt(0)
	v_lshlrev_b32_e32 v21, 16, v21
	v_mul_f32_e32 v21, v2, v21
	v_bfe_u32 v22, v21, 16, 1
	v_or_b32_e32 v26, 0x400000, v21
	v_cmp_u_f32_e32 vcc_lo, v21, v21
	v_add3_u32 v22, v22, v21, 0x7fff
	v_cndmask_b32_e32 v21, v22, v26, vcc_lo
	buffer_load_dword v22, off, s[0:3], s32 offset:424 ; 4-byte Folded Reload
	v_and_b32_e32 v10, 0xffff0000, v21
	s_waitcnt vmcnt(0)
	v_lshlrev_b32_e32 v22, 16, v22
	v_mul_f32_e32 v22, v3, v22
	v_bfe_u32 v26, v22, 16, 1
	v_or_b32_e32 v27, 0x400000, v22
	v_cmp_u_f32_e32 vcc_lo, v22, v22
	v_add3_u32 v26, v26, v22, 0x7fff
	v_cndmask_b32_e32 v22, v26, v27, vcc_lo
	v_and_b32_e32 v1, 0xffff0000, v22
	v_add_f32_e32 v1, v1, v10
	v_add_f32_e32 v0, v0, v1
	buffer_load_dword v1, off, s[0:3], s32 offset:956 ; 4-byte Folded Reload
	s_waitcnt vmcnt(0)
	v_add_f32_e32 v1, v1, v0
	buffer_load_dword v0, off, s[0:3], s32 offset:412 ; 4-byte Folded Reload
	buffer_store_dword v1, off, s[0:3], s32 offset:956 ; 4-byte Folded Spill
	s_waitcnt vmcnt(0)
	v_lshlrev_b32_e32 v0, 16, v0
	v_mul_f32_e32 v0, v8, v0
	v_bfe_u32 v1, v0, 16, 1
	v_or_b32_e32 v10, 0x400000, v0
	v_cmp_u_f32_e32 vcc_lo, v0, v0
	v_add3_u32 v1, v1, v0, 0x7fff
	v_cndmask_b32_e32 v0, v1, v10, vcc_lo
	buffer_load_dword v1, off, s[0:3], s32 offset:408 ; 4-byte Folded Reload
	v_and_b32_e32 v0, 0xffff0000, v0
	s_waitcnt vmcnt(0)
	v_lshlrev_b32_e32 v1, 16, v1
	v_mul_f32_e32 v1, v9, v1
	v_bfe_u32 v10, v1, 16, 1
	v_or_b32_e32 v11, 0x400000, v1
	v_cmp_u_f32_e32 vcc_lo, v1, v1
	v_add3_u32 v10, v10, v1, 0x7fff
	v_cndmask_b32_e32 v1, v10, v11, vcc_lo
	buffer_load_dword v10, off, s[0:3], s32 offset:400 ; 4-byte Folded Reload
	v_and_b32_e32 v1, 0xffff0000, v1
	v_add_f32_e32 v0, v1, v0
	s_waitcnt vmcnt(0)
	v_lshlrev_b32_e32 v10, 16, v10
	v_mul_f32_e32 v10, v6, v10
	v_bfe_u32 v11, v10, 16, 1
	v_or_b32_e32 v12, 0x400000, v10
	v_cmp_u_f32_e32 vcc_lo, v10, v10
	v_add3_u32 v11, v11, v10, 0x7fff
	v_cndmask_b32_e32 v10, v11, v12, vcc_lo
	buffer_load_dword v11, off, s[0:3], s32 offset:396 ; 4-byte Folded Reload
	v_and_b32_e32 v10, 0xffff0000, v10
	s_waitcnt vmcnt(0)
	v_lshlrev_b32_e32 v11, 16, v11
	v_mul_f32_e32 v11, v7, v11
	v_bfe_u32 v12, v11, 16, 1
	v_or_b32_e32 v18, 0x400000, v11
	v_cmp_u_f32_e32 vcc_lo, v11, v11
	v_add3_u32 v12, v12, v11, 0x7fff
	v_cndmask_b32_e32 v11, v12, v18, vcc_lo
	buffer_load_dword v12, off, s[0:3], s32 offset:388 ; 4-byte Folded Reload
	v_and_b32_e32 v1, 0xffff0000, v11
	v_add_f32_e32 v1, v1, v10
	v_add_f32_e32 v0, v0, v1
	s_waitcnt vmcnt(0)
	v_lshlrev_b32_e32 v12, 16, v12
	v_mul_f32_e32 v12, v4, v12
	v_bfe_u32 v18, v12, 16, 1
	v_or_b32_e32 v21, 0x400000, v12
	v_cmp_u_f32_e32 vcc_lo, v12, v12
	v_add3_u32 v18, v18, v12, 0x7fff
	v_cndmask_b32_e32 v12, v18, v21, vcc_lo
	buffer_load_dword v18, off, s[0:3], s32 offset:384 ; 4-byte Folded Reload
	v_and_b32_e32 v10, 0xffff0000, v12
	s_waitcnt vmcnt(0)
	v_lshlrev_b32_e32 v18, 16, v18
	v_mul_f32_e32 v18, v5, v18
	v_bfe_u32 v21, v18, 16, 1
	v_or_b32_e32 v22, 0x400000, v18
	v_cmp_u_f32_e32 vcc_lo, v18, v18
	v_add3_u32 v21, v21, v18, 0x7fff
	v_cndmask_b32_e32 v18, v21, v22, vcc_lo
	buffer_load_dword v21, off, s[0:3], s32 offset:404 ; 4-byte Folded Reload
	v_and_b32_e32 v1, 0xffff0000, v18
	v_add_f32_e32 v1, v1, v10
	v_add_f32_e32 v0, v0, v1
	s_waitcnt vmcnt(0)
	v_lshlrev_b32_e32 v21, 16, v21
	v_mul_f32_e32 v21, v2, v21
	v_bfe_u32 v22, v21, 16, 1
	v_or_b32_e32 v26, 0x400000, v21
	v_cmp_u_f32_e32 vcc_lo, v21, v21
	v_add3_u32 v22, v22, v21, 0x7fff
	v_cndmask_b32_e32 v21, v22, v26, vcc_lo
	buffer_load_dword v22, off, s[0:3], s32 offset:392 ; 4-byte Folded Reload
	v_and_b32_e32 v10, 0xffff0000, v21
	s_waitcnt vmcnt(0)
	v_lshlrev_b32_e32 v22, 16, v22
	v_mul_f32_e32 v22, v3, v22
	v_bfe_u32 v26, v22, 16, 1
	v_or_b32_e32 v27, 0x400000, v22
	v_cmp_u_f32_e32 vcc_lo, v22, v22
	v_add3_u32 v26, v26, v22, 0x7fff
	v_cndmask_b32_e32 v22, v26, v27, vcc_lo
	v_and_b32_e32 v1, 0xffff0000, v22
	v_add_f32_e32 v1, v1, v10
	v_add_f32_e32 v0, v0, v1
	buffer_load_dword v1, off, s[0:3], s32 offset:960 ; 4-byte Folded Reload
	s_waitcnt vmcnt(0)
	v_add_f32_e32 v1, v1, v0
	buffer_load_dword v0, off, s[0:3], s32 offset:380 ; 4-byte Folded Reload
	buffer_store_dword v1, off, s[0:3], s32 offset:960 ; 4-byte Folded Spill
	s_waitcnt vmcnt(0)
	v_lshlrev_b32_e32 v0, 16, v0
	v_mul_f32_e32 v0, v8, v0
	v_bfe_u32 v1, v0, 16, 1
	v_or_b32_e32 v10, 0x400000, v0
	v_cmp_u_f32_e32 vcc_lo, v0, v0
	v_add3_u32 v1, v1, v0, 0x7fff
	v_cndmask_b32_e32 v0, v1, v10, vcc_lo
	buffer_load_dword v1, off, s[0:3], s32 offset:376 ; 4-byte Folded Reload
	v_and_b32_e32 v0, 0xffff0000, v0
	s_waitcnt vmcnt(0)
	v_lshlrev_b32_e32 v1, 16, v1
	v_mul_f32_e32 v1, v9, v1
	v_bfe_u32 v10, v1, 16, 1
	v_or_b32_e32 v11, 0x400000, v1
	v_cmp_u_f32_e32 vcc_lo, v1, v1
	v_add3_u32 v10, v10, v1, 0x7fff
	v_cndmask_b32_e32 v1, v10, v11, vcc_lo
	buffer_load_dword v10, off, s[0:3], s32 offset:364 ; 4-byte Folded Reload
	v_and_b32_e32 v1, 0xffff0000, v1
	v_add_f32_e32 v0, v1, v0
	s_waitcnt vmcnt(0)
	v_lshlrev_b32_e32 v10, 16, v10
	v_mul_f32_e32 v10, v6, v10
	v_bfe_u32 v11, v10, 16, 1
	v_or_b32_e32 v12, 0x400000, v10
	v_cmp_u_f32_e32 vcc_lo, v10, v10
	v_add3_u32 v11, v11, v10, 0x7fff
	v_cndmask_b32_e32 v10, v11, v12, vcc_lo
	buffer_load_dword v11, off, s[0:3], s32 offset:368 ; 4-byte Folded Reload
	v_and_b32_e32 v10, 0xffff0000, v10
	s_waitcnt vmcnt(0)
	v_lshlrev_b32_e32 v11, 16, v11
	v_mul_f32_e32 v11, v7, v11
	v_bfe_u32 v12, v11, 16, 1
	v_or_b32_e32 v18, 0x400000, v11
	v_cmp_u_f32_e32 vcc_lo, v11, v11
	v_add3_u32 v12, v12, v11, 0x7fff
	v_cndmask_b32_e32 v11, v12, v18, vcc_lo
	buffer_load_dword v12, off, s[0:3], s32 offset:356 ; 4-byte Folded Reload
	v_and_b32_e32 v1, 0xffff0000, v11
	v_add_f32_e32 v1, v1, v10
	v_add_f32_e32 v0, v0, v1
	s_waitcnt vmcnt(0)
	v_lshlrev_b32_e32 v12, 16, v12
	v_mul_f32_e32 v12, v4, v12
	v_bfe_u32 v18, v12, 16, 1
	v_or_b32_e32 v21, 0x400000, v12
	v_cmp_u_f32_e32 vcc_lo, v12, v12
	v_add3_u32 v18, v18, v12, 0x7fff
	v_cndmask_b32_e32 v12, v18, v21, vcc_lo
	buffer_load_dword v18, off, s[0:3], s32 offset:352 ; 4-byte Folded Reload
	v_and_b32_e32 v10, 0xffff0000, v12
	s_waitcnt vmcnt(0)
	v_lshlrev_b32_e32 v18, 16, v18
	v_mul_f32_e32 v18, v5, v18
	v_bfe_u32 v21, v18, 16, 1
	v_or_b32_e32 v22, 0x400000, v18
	v_cmp_u_f32_e32 vcc_lo, v18, v18
	v_add3_u32 v21, v21, v18, 0x7fff
	v_cndmask_b32_e32 v18, v21, v22, vcc_lo
	buffer_load_dword v21, off, s[0:3], s32 offset:372 ; 4-byte Folded Reload
	v_and_b32_e32 v1, 0xffff0000, v18
	v_add_f32_e32 v1, v1, v10
	v_add_f32_e32 v0, v0, v1
	s_waitcnt vmcnt(0)
	v_lshlrev_b32_e32 v21, 16, v21
	v_mul_f32_e32 v21, v2, v21
	v_bfe_u32 v22, v21, 16, 1
	v_or_b32_e32 v26, 0x400000, v21
	v_cmp_u_f32_e32 vcc_lo, v21, v21
	v_add3_u32 v22, v22, v21, 0x7fff
	v_cndmask_b32_e32 v21, v22, v26, vcc_lo
	buffer_load_dword v22, off, s[0:3], s32 offset:360 ; 4-byte Folded Reload
	v_and_b32_e32 v10, 0xffff0000, v21
	s_waitcnt vmcnt(0)
	v_lshlrev_b32_e32 v22, 16, v22
	v_mul_f32_e32 v22, v3, v22
	v_bfe_u32 v26, v22, 16, 1
	v_or_b32_e32 v27, 0x400000, v22
	v_cmp_u_f32_e32 vcc_lo, v22, v22
	v_add3_u32 v26, v26, v22, 0x7fff
	v_cndmask_b32_e32 v22, v26, v27, vcc_lo
	v_and_b32_e32 v1, 0xffff0000, v22
	v_add_f32_e32 v1, v1, v10
	v_add_f32_e32 v0, v0, v1
	buffer_load_dword v1, off, s[0:3], s32 offset:964 ; 4-byte Folded Reload
	s_waitcnt vmcnt(0)
	v_add_f32_e32 v1, v1, v0
	buffer_load_dword v0, off, s[0:3], s32 offset:348 ; 4-byte Folded Reload
	buffer_store_dword v1, off, s[0:3], s32 offset:964 ; 4-byte Folded Spill
	s_waitcnt vmcnt(0)
	v_lshlrev_b32_e32 v0, 16, v0
	v_mul_f32_e32 v0, v8, v0
	v_bfe_u32 v1, v0, 16, 1
	v_or_b32_e32 v10, 0x400000, v0
	v_cmp_u_f32_e32 vcc_lo, v0, v0
	v_add3_u32 v1, v1, v0, 0x7fff
	v_cndmask_b32_e32 v0, v1, v10, vcc_lo
	buffer_load_dword v1, off, s[0:3], s32 offset:344 ; 4-byte Folded Reload
	v_and_b32_e32 v0, 0xffff0000, v0
	s_waitcnt vmcnt(0)
	v_lshlrev_b32_e32 v1, 16, v1
	v_mul_f32_e32 v1, v9, v1
	v_bfe_u32 v10, v1, 16, 1
	v_or_b32_e32 v11, 0x400000, v1
	v_cmp_u_f32_e32 vcc_lo, v1, v1
	v_add3_u32 v10, v10, v1, 0x7fff
	v_cndmask_b32_e32 v1, v10, v11, vcc_lo
	buffer_load_dword v10, off, s[0:3], s32 offset:340 ; 4-byte Folded Reload
	v_and_b32_e32 v1, 0xffff0000, v1
	v_add_f32_e32 v0, v1, v0
	s_waitcnt vmcnt(0)
	v_lshlrev_b32_e32 v10, 16, v10
	v_mul_f32_e32 v10, v6, v10
	v_bfe_u32 v11, v10, 16, 1
	v_or_b32_e32 v12, 0x400000, v10
	v_cmp_u_f32_e32 vcc_lo, v10, v10
	v_add3_u32 v11, v11, v10, 0x7fff
	v_cndmask_b32_e32 v10, v11, v12, vcc_lo
	buffer_load_dword v11, off, s[0:3], s32 offset:336 ; 4-byte Folded Reload
	v_and_b32_e32 v10, 0xffff0000, v10
	s_waitcnt vmcnt(0)
	v_lshlrev_b32_e32 v11, 16, v11
	v_mul_f32_e32 v11, v7, v11
	v_bfe_u32 v12, v11, 16, 1
	v_or_b32_e32 v18, 0x400000, v11
	v_cmp_u_f32_e32 vcc_lo, v11, v11
	v_add3_u32 v12, v12, v11, 0x7fff
	v_cndmask_b32_e32 v11, v12, v18, vcc_lo
	buffer_load_dword v12, off, s[0:3], s32 offset:332 ; 4-byte Folded Reload
	v_and_b32_e32 v1, 0xffff0000, v11
	v_add_f32_e32 v1, v1, v10
	v_add_f32_e32 v0, v0, v1
	s_waitcnt vmcnt(0)
	v_lshlrev_b32_e32 v12, 16, v12
	v_mul_f32_e32 v12, v4, v12
	v_bfe_u32 v18, v12, 16, 1
	v_or_b32_e32 v21, 0x400000, v12
	v_cmp_u_f32_e32 vcc_lo, v12, v12
	v_add3_u32 v18, v18, v12, 0x7fff
	v_cndmask_b32_e32 v12, v18, v21, vcc_lo
	buffer_load_dword v18, off, s[0:3], s32 offset:328 ; 4-byte Folded Reload
	v_and_b32_e32 v10, 0xffff0000, v12
	s_waitcnt vmcnt(0)
	v_lshlrev_b32_e32 v18, 16, v18
	v_mul_f32_e32 v18, v5, v18
	v_bfe_u32 v21, v18, 16, 1
	v_or_b32_e32 v22, 0x400000, v18
	v_cmp_u_f32_e32 vcc_lo, v18, v18
	v_add3_u32 v21, v21, v18, 0x7fff
	v_cndmask_b32_e32 v18, v21, v22, vcc_lo
	buffer_load_dword v21, off, s[0:3], s32 offset:324 ; 4-byte Folded Reload
	v_and_b32_e32 v1, 0xffff0000, v18
	v_add_f32_e32 v1, v1, v10
	v_add_f32_e32 v0, v0, v1
	s_waitcnt vmcnt(0)
	v_lshlrev_b32_e32 v21, 16, v21
	v_mul_f32_e32 v21, v2, v21
	v_bfe_u32 v22, v21, 16, 1
	v_or_b32_e32 v26, 0x400000, v21
	v_cmp_u_f32_e32 vcc_lo, v21, v21
	v_add3_u32 v22, v22, v21, 0x7fff
	v_cndmask_b32_e32 v21, v22, v26, vcc_lo
	buffer_load_dword v22, off, s[0:3], s32 offset:320 ; 4-byte Folded Reload
	v_and_b32_e32 v10, 0xffff0000, v21
	s_waitcnt vmcnt(0)
	v_lshlrev_b32_e32 v22, 16, v22
	v_mul_f32_e32 v22, v3, v22
	v_bfe_u32 v26, v22, 16, 1
	v_or_b32_e32 v27, 0x400000, v22
	v_cmp_u_f32_e32 vcc_lo, v22, v22
	v_add3_u32 v26, v26, v22, 0x7fff
	v_cndmask_b32_e32 v22, v26, v27, vcc_lo
	v_and_b32_e32 v1, 0xffff0000, v22
	v_add_f32_e32 v1, v1, v10
	v_add_f32_e32 v0, v0, v1
	buffer_load_dword v1, off, s[0:3], s32 offset:968 ; 4-byte Folded Reload
	s_waitcnt vmcnt(0)
	v_add_f32_e32 v1, v1, v0
	buffer_load_dword v0, off, s[0:3], s32 offset:316 ; 4-byte Folded Reload
	buffer_store_dword v1, off, s[0:3], s32 offset:968 ; 4-byte Folded Spill
	s_waitcnt vmcnt(0)
	v_lshlrev_b32_e32 v0, 16, v0
	v_mul_f32_e32 v0, v8, v0
	v_bfe_u32 v1, v0, 16, 1
	v_or_b32_e32 v10, 0x400000, v0
	v_cmp_u_f32_e32 vcc_lo, v0, v0
	v_add3_u32 v1, v1, v0, 0x7fff
	v_cndmask_b32_e32 v0, v1, v10, vcc_lo
	buffer_load_dword v1, off, s[0:3], s32 offset:312 ; 4-byte Folded Reload
	v_and_b32_e32 v0, 0xffff0000, v0
	s_waitcnt vmcnt(0)
	v_lshlrev_b32_e32 v1, 16, v1
	v_mul_f32_e32 v1, v9, v1
	v_bfe_u32 v10, v1, 16, 1
	v_or_b32_e32 v11, 0x400000, v1
	v_cmp_u_f32_e32 vcc_lo, v1, v1
	v_add3_u32 v10, v10, v1, 0x7fff
	v_cndmask_b32_e32 v1, v10, v11, vcc_lo
	buffer_load_dword v10, off, s[0:3], s32 offset:308 ; 4-byte Folded Reload
	v_and_b32_e32 v1, 0xffff0000, v1
	v_add_f32_e32 v0, v1, v0
	s_waitcnt vmcnt(0)
	v_lshlrev_b32_e32 v10, 16, v10
	v_mul_f32_e32 v10, v6, v10
	v_bfe_u32 v11, v10, 16, 1
	v_or_b32_e32 v12, 0x400000, v10
	v_cmp_u_f32_e32 vcc_lo, v10, v10
	v_add3_u32 v11, v11, v10, 0x7fff
	v_cndmask_b32_e32 v10, v11, v12, vcc_lo
	buffer_load_dword v11, off, s[0:3], s32 offset:304 ; 4-byte Folded Reload
	v_and_b32_e32 v10, 0xffff0000, v10
	s_waitcnt vmcnt(0)
	v_lshlrev_b32_e32 v11, 16, v11
	v_mul_f32_e32 v11, v7, v11
	v_bfe_u32 v12, v11, 16, 1
	v_or_b32_e32 v18, 0x400000, v11
	v_cmp_u_f32_e32 vcc_lo, v11, v11
	v_add3_u32 v12, v12, v11, 0x7fff
	v_cndmask_b32_e32 v11, v12, v18, vcc_lo
	buffer_load_dword v12, off, s[0:3], s32 offset:300 ; 4-byte Folded Reload
	v_and_b32_e32 v1, 0xffff0000, v11
	v_add_f32_e32 v1, v1, v10
	v_add_f32_e32 v0, v0, v1
	s_waitcnt vmcnt(0)
	v_lshlrev_b32_e32 v12, 16, v12
	v_mul_f32_e32 v12, v4, v12
	v_bfe_u32 v18, v12, 16, 1
	v_or_b32_e32 v21, 0x400000, v12
	v_cmp_u_f32_e32 vcc_lo, v12, v12
	v_add3_u32 v18, v18, v12, 0x7fff
	v_cndmask_b32_e32 v12, v18, v21, vcc_lo
	buffer_load_dword v18, off, s[0:3], s32 offset:296 ; 4-byte Folded Reload
	v_and_b32_e32 v10, 0xffff0000, v12
	s_waitcnt vmcnt(0)
	v_lshlrev_b32_e32 v18, 16, v18
	v_mul_f32_e32 v18, v5, v18
	v_bfe_u32 v21, v18, 16, 1
	v_or_b32_e32 v22, 0x400000, v18
	v_cmp_u_f32_e32 vcc_lo, v18, v18
	v_add3_u32 v21, v21, v18, 0x7fff
	v_cndmask_b32_e32 v18, v21, v22, vcc_lo
	buffer_load_dword v21, off, s[0:3], s32 offset:292 ; 4-byte Folded Reload
	v_and_b32_e32 v1, 0xffff0000, v18
	v_add_f32_e32 v1, v1, v10
	v_add_f32_e32 v0, v0, v1
	s_waitcnt vmcnt(0)
	v_lshlrev_b32_e32 v21, 16, v21
	v_mul_f32_e32 v21, v2, v21
	v_bfe_u32 v22, v21, 16, 1
	v_or_b32_e32 v26, 0x400000, v21
	v_cmp_u_f32_e32 vcc_lo, v21, v21
	v_add3_u32 v22, v22, v21, 0x7fff
	v_cndmask_b32_e32 v21, v22, v26, vcc_lo
	buffer_load_dword v22, off, s[0:3], s32 offset:288 ; 4-byte Folded Reload
	v_and_b32_e32 v10, 0xffff0000, v21
	s_waitcnt vmcnt(0)
	v_lshlrev_b32_e32 v22, 16, v22
	v_mul_f32_e32 v22, v3, v22
	v_bfe_u32 v26, v22, 16, 1
	v_or_b32_e32 v27, 0x400000, v22
	v_cmp_u_f32_e32 vcc_lo, v22, v22
	v_add3_u32 v26, v26, v22, 0x7fff
	v_cndmask_b32_e32 v22, v26, v27, vcc_lo
	v_and_b32_e32 v1, 0xffff0000, v22
	v_add_f32_e32 v1, v1, v10
	v_add_f32_e32 v0, v0, v1
	buffer_load_dword v1, off, s[0:3], s32 offset:972 ; 4-byte Folded Reload
	s_waitcnt vmcnt(0)
	v_add_f32_e32 v1, v1, v0
	buffer_load_dword v0, off, s[0:3], s32 offset:284 ; 4-byte Folded Reload
	buffer_store_dword v1, off, s[0:3], s32 offset:972 ; 4-byte Folded Spill
	s_waitcnt vmcnt(0)
	v_lshlrev_b32_e32 v0, 16, v0
	v_mul_f32_e32 v0, v8, v0
	v_bfe_u32 v1, v0, 16, 1
	v_or_b32_e32 v10, 0x400000, v0
	v_cmp_u_f32_e32 vcc_lo, v0, v0
	v_add3_u32 v1, v1, v0, 0x7fff
	v_cndmask_b32_e32 v0, v1, v10, vcc_lo
	buffer_load_dword v1, off, s[0:3], s32 offset:280 ; 4-byte Folded Reload
	v_and_b32_e32 v0, 0xffff0000, v0
	s_waitcnt vmcnt(0)
	v_lshlrev_b32_e32 v1, 16, v1
	v_mul_f32_e32 v1, v9, v1
	v_bfe_u32 v10, v1, 16, 1
	v_or_b32_e32 v11, 0x400000, v1
	v_cmp_u_f32_e32 vcc_lo, v1, v1
	v_add3_u32 v10, v10, v1, 0x7fff
	v_cndmask_b32_e32 v1, v10, v11, vcc_lo
	buffer_load_dword v10, off, s[0:3], s32 offset:276 ; 4-byte Folded Reload
	v_and_b32_e32 v1, 0xffff0000, v1
	v_add_f32_e32 v0, v1, v0
	s_waitcnt vmcnt(0)
	v_lshlrev_b32_e32 v10, 16, v10
	v_mul_f32_e32 v10, v6, v10
	v_bfe_u32 v11, v10, 16, 1
	v_or_b32_e32 v12, 0x400000, v10
	v_cmp_u_f32_e32 vcc_lo, v10, v10
	v_add3_u32 v11, v11, v10, 0x7fff
	v_cndmask_b32_e32 v10, v11, v12, vcc_lo
	buffer_load_dword v11, off, s[0:3], s32 offset:272 ; 4-byte Folded Reload
	v_and_b32_e32 v10, 0xffff0000, v10
	s_waitcnt vmcnt(0)
	v_lshlrev_b32_e32 v11, 16, v11
	v_mul_f32_e32 v11, v7, v11
	v_bfe_u32 v12, v11, 16, 1
	v_or_b32_e32 v18, 0x400000, v11
	v_cmp_u_f32_e32 vcc_lo, v11, v11
	v_add3_u32 v12, v12, v11, 0x7fff
	v_cndmask_b32_e32 v11, v12, v18, vcc_lo
	buffer_load_dword v12, off, s[0:3], s32 offset:268 ; 4-byte Folded Reload
	v_and_b32_e32 v1, 0xffff0000, v11
	v_add_f32_e32 v1, v1, v10
	v_add_f32_e32 v0, v0, v1
	s_waitcnt vmcnt(0)
	v_lshlrev_b32_e32 v12, 16, v12
	v_mul_f32_e32 v12, v4, v12
	v_bfe_u32 v18, v12, 16, 1
	v_or_b32_e32 v21, 0x400000, v12
	v_cmp_u_f32_e32 vcc_lo, v12, v12
	v_add3_u32 v18, v18, v12, 0x7fff
	v_cndmask_b32_e32 v12, v18, v21, vcc_lo
	buffer_load_dword v18, off, s[0:3], s32 offset:264 ; 4-byte Folded Reload
	v_and_b32_e32 v10, 0xffff0000, v12
	s_waitcnt vmcnt(0)
	v_lshlrev_b32_e32 v18, 16, v18
	v_mul_f32_e32 v18, v5, v18
	v_bfe_u32 v21, v18, 16, 1
	v_or_b32_e32 v22, 0x400000, v18
	v_cmp_u_f32_e32 vcc_lo, v18, v18
	v_add3_u32 v21, v21, v18, 0x7fff
	v_cndmask_b32_e32 v18, v21, v22, vcc_lo
	buffer_load_dword v21, off, s[0:3], s32 offset:260 ; 4-byte Folded Reload
	v_and_b32_e32 v1, 0xffff0000, v18
	v_add_f32_e32 v1, v1, v10
	v_add_f32_e32 v0, v0, v1
	s_waitcnt vmcnt(0)
	v_lshlrev_b32_e32 v21, 16, v21
	v_mul_f32_e32 v21, v2, v21
	v_bfe_u32 v22, v21, 16, 1
	v_or_b32_e32 v26, 0x400000, v21
	v_cmp_u_f32_e32 vcc_lo, v21, v21
	v_add3_u32 v22, v22, v21, 0x7fff
	v_cndmask_b32_e32 v21, v22, v26, vcc_lo
	buffer_load_dword v22, off, s[0:3], s32 offset:256 ; 4-byte Folded Reload
	v_and_b32_e32 v10, 0xffff0000, v21
	s_waitcnt vmcnt(0)
	v_lshlrev_b32_e32 v22, 16, v22
	v_mul_f32_e32 v22, v3, v22
	v_bfe_u32 v26, v22, 16, 1
	v_or_b32_e32 v27, 0x400000, v22
	v_cmp_u_f32_e32 vcc_lo, v22, v22
	v_add3_u32 v26, v26, v22, 0x7fff
	v_cndmask_b32_e32 v22, v26, v27, vcc_lo
	v_and_b32_e32 v1, 0xffff0000, v22
	v_add_f32_e32 v1, v1, v10
	v_add_f32_e32 v0, v0, v1
	buffer_load_dword v1, off, s[0:3], s32 offset:976 ; 4-byte Folded Reload
	s_waitcnt vmcnt(0)
	v_add_f32_e32 v1, v1, v0
	buffer_load_dword v0, off, s[0:3], s32 offset:252 ; 4-byte Folded Reload
	buffer_store_dword v1, off, s[0:3], s32 offset:976 ; 4-byte Folded Spill
	s_waitcnt vmcnt(0)
	v_lshlrev_b32_e32 v0, 16, v0
	v_mul_f32_e32 v0, v8, v0
	v_bfe_u32 v1, v0, 16, 1
	v_or_b32_e32 v10, 0x400000, v0
	v_cmp_u_f32_e32 vcc_lo, v0, v0
	v_add3_u32 v1, v1, v0, 0x7fff
	v_cndmask_b32_e32 v0, v1, v10, vcc_lo
	buffer_load_dword v1, off, s[0:3], s32 offset:248 ; 4-byte Folded Reload
	v_and_b32_e32 v0, 0xffff0000, v0
	s_waitcnt vmcnt(0)
	v_lshlrev_b32_e32 v1, 16, v1
	v_mul_f32_e32 v1, v9, v1
	v_bfe_u32 v10, v1, 16, 1
	v_or_b32_e32 v11, 0x400000, v1
	v_cmp_u_f32_e32 vcc_lo, v1, v1
	v_add3_u32 v10, v10, v1, 0x7fff
	v_cndmask_b32_e32 v1, v10, v11, vcc_lo
	buffer_load_dword v10, off, s[0:3], s32 offset:244 ; 4-byte Folded Reload
	v_and_b32_e32 v1, 0xffff0000, v1
	v_add_f32_e32 v0, v1, v0
	s_waitcnt vmcnt(0)
	v_lshlrev_b32_e32 v10, 16, v10
	v_mul_f32_e32 v10, v6, v10
	v_bfe_u32 v11, v10, 16, 1
	v_or_b32_e32 v12, 0x400000, v10
	v_cmp_u_f32_e32 vcc_lo, v10, v10
	v_add3_u32 v11, v11, v10, 0x7fff
	v_cndmask_b32_e32 v10, v11, v12, vcc_lo
	buffer_load_dword v11, off, s[0:3], s32 offset:240 ; 4-byte Folded Reload
	v_and_b32_e32 v10, 0xffff0000, v10
	s_waitcnt vmcnt(0)
	v_lshlrev_b32_e32 v11, 16, v11
	v_mul_f32_e32 v11, v7, v11
	v_bfe_u32 v12, v11, 16, 1
	v_or_b32_e32 v18, 0x400000, v11
	v_cmp_u_f32_e32 vcc_lo, v11, v11
	v_add3_u32 v12, v12, v11, 0x7fff
	v_cndmask_b32_e32 v11, v12, v18, vcc_lo
	buffer_load_dword v12, off, s[0:3], s32 offset:236 ; 4-byte Folded Reload
	v_and_b32_e32 v1, 0xffff0000, v11
	v_add_f32_e32 v1, v1, v10
	v_add_f32_e32 v0, v0, v1
	s_waitcnt vmcnt(0)
	v_lshlrev_b32_e32 v12, 16, v12
	v_mul_f32_e32 v12, v4, v12
	v_bfe_u32 v18, v12, 16, 1
	v_or_b32_e32 v21, 0x400000, v12
	v_cmp_u_f32_e32 vcc_lo, v12, v12
	v_add3_u32 v18, v18, v12, 0x7fff
	v_cndmask_b32_e32 v12, v18, v21, vcc_lo
	buffer_load_dword v18, off, s[0:3], s32 offset:228 ; 4-byte Folded Reload
	v_and_b32_e32 v10, 0xffff0000, v12
	s_waitcnt vmcnt(0)
	v_lshlrev_b32_e32 v18, 16, v18
	v_mul_f32_e32 v18, v5, v18
	v_bfe_u32 v21, v18, 16, 1
	v_or_b32_e32 v22, 0x400000, v18
	v_cmp_u_f32_e32 vcc_lo, v18, v18
	v_add3_u32 v21, v21, v18, 0x7fff
	v_cndmask_b32_e32 v18, v21, v22, vcc_lo
	buffer_load_dword v21, off, s[0:3], s32 offset:232 ; 4-byte Folded Reload
	v_and_b32_e32 v1, 0xffff0000, v18
	v_add_f32_e32 v1, v1, v10
	v_add_f32_e32 v0, v0, v1
	s_waitcnt vmcnt(0)
	v_lshlrev_b32_e32 v21, 16, v21
	v_mul_f32_e32 v21, v2, v21
	v_bfe_u32 v22, v21, 16, 1
	v_or_b32_e32 v26, 0x400000, v21
	v_cmp_u_f32_e32 vcc_lo, v21, v21
	v_add3_u32 v22, v22, v21, 0x7fff
	v_cndmask_b32_e32 v21, v22, v26, vcc_lo
	buffer_load_dword v22, off, s[0:3], s32 offset:196 ; 4-byte Folded Reload
	v_and_b32_e32 v10, 0xffff0000, v21
	s_waitcnt vmcnt(0)
	v_lshlrev_b32_e32 v22, 16, v22
	v_mul_f32_e32 v22, v3, v22
	v_bfe_u32 v26, v22, 16, 1
	v_or_b32_e32 v27, 0x400000, v22
	v_cmp_u_f32_e32 vcc_lo, v22, v22
	v_add3_u32 v26, v26, v22, 0x7fff
	v_cndmask_b32_e32 v22, v26, v27, vcc_lo
	v_and_b32_e32 v1, 0xffff0000, v22
	v_add_f32_e32 v1, v1, v10
	v_add_f32_e32 v0, v0, v1
	buffer_load_dword v1, off, s[0:3], s32 offset:980 ; 4-byte Folded Reload
	s_waitcnt vmcnt(0)
	v_add_f32_e32 v1, v1, v0
	v_lshlrev_b32_e32 v0, 16, v25
	buffer_store_dword v1, off, s[0:3], s32 offset:980 ; 4-byte Folded Spill
	v_mul_f32_e32 v0, v9, v0
	v_bfe_u32 v1, v0, 16, 1
	v_or_b32_e32 v9, 0x400000, v0
	v_cmp_u_f32_e32 vcc_lo, v0, v0
	v_add3_u32 v1, v1, v0, 0x7fff
	v_cndmask_b32_e32 v0, v1, v9, vcc_lo
	v_lshlrev_b32_e32 v1, 16, v24
	v_and_b32_e32 v0, 0xffff0000, v0
	v_mul_f32_e32 v1, v8, v1
	v_bfe_u32 v8, v1, 16, 1
	v_or_b32_e32 v9, 0x400000, v1
	v_cmp_u_f32_e32 vcc_lo, v1, v1
	v_add3_u32 v8, v8, v1, 0x7fff
	v_cndmask_b32_e32 v1, v8, v9, vcc_lo
	v_lshlrev_b32_e32 v8, 16, v20
	v_and_b32_e32 v1, 0xffff0000, v1
	v_mul_f32_e32 v7, v7, v8
	v_add_f32_e32 v0, v0, v1
	v_bfe_u32 v8, v7, 16, 1
	v_or_b32_e32 v9, 0x400000, v7
	v_cmp_u_f32_e32 vcc_lo, v7, v7
	v_add3_u32 v8, v8, v7, 0x7fff
	v_cndmask_b32_e32 v7, v8, v9, vcc_lo
	v_lshlrev_b32_e32 v8, 16, v17
	v_mul_f32_e32 v6, v6, v8
	v_bfe_u32 v8, v6, 16, 1
	v_or_b32_e32 v9, 0x400000, v6
	v_cmp_u_f32_e32 vcc_lo, v6, v6
	v_add3_u32 v8, v8, v6, 0x7fff
	v_cndmask_b32_e32 v6, v8, v9, vcc_lo
	v_lshlrev_b32_e32 v8, 16, v16
	v_and_b32_e32 v1, 0xffff0000, v6
	v_mul_f32_e32 v5, v5, v8
	v_and_b32_e32 v6, 0xffff0000, v7
	v_bfe_u32 v8, v5, 16, 1
	v_or_b32_e32 v9, 0x400000, v5
	v_cmp_u_f32_e32 vcc_lo, v5, v5
	v_add_f32_e32 v1, v6, v1
	v_add3_u32 v8, v8, v5, 0x7fff
	v_add_f32_e32 v0, v0, v1
	v_cndmask_b32_e32 v5, v8, v9, vcc_lo
	v_lshlrev_b32_e32 v8, 16, v13
	v_mul_f32_e32 v4, v4, v8
	v_bfe_u32 v8, v4, 16, 1
	v_or_b32_e32 v9, 0x400000, v4
	v_cmp_u_f32_e32 vcc_lo, v4, v4
	v_add3_u32 v8, v8, v4, 0x7fff
	v_cndmask_b32_e32 v4, v8, v9, vcc_lo
	v_lshlrev_b32_e32 v8, 16, v19
	v_and_b32_e32 v1, 0xffff0000, v4
	v_mul_f32_e32 v3, v3, v8
	v_and_b32_e32 v4, 0xffff0000, v5
	v_bfe_u32 v8, v3, 16, 1
	v_or_b32_e32 v9, 0x400000, v3
	v_cmp_u_f32_e32 vcc_lo, v3, v3
	v_add_f32_e32 v1, v4, v1
	v_add3_u32 v8, v8, v3, 0x7fff
	v_add_f32_e32 v0, v0, v1
	v_cndmask_b32_e32 v3, v8, v9, vcc_lo
	v_lshlrev_b32_e32 v8, 16, v23
	v_mul_f32_e32 v2, v2, v8
	v_bfe_u32 v8, v2, 16, 1
	v_or_b32_e32 v9, 0x400000, v2
	v_cmp_u_f32_e32 vcc_lo, v2, v2
	v_add3_u32 v8, v8, v2, 0x7fff
	v_cndmask_b32_e32 v2, v8, v9, vcc_lo
	v_and_b32_e32 v1, 0xffff0000, v2
	v_and_b32_e32 v2, 0xffff0000, v3
	v_add_f32_e32 v1, v2, v1
	v_add_f32_e32 v0, v0, v1
	;; [unrolled: 1-line block ×3, first 2 shown]
.LBB357_2082:                           ;   in Loop: Header=BB357_2083 Depth=1
	s_or_b32 exec_lo, exec_lo, s17
	buffer_load_dword v0, off, s[0:3], s32 offset:192 ; 4-byte Folded Reload
	v_add_nc_u32_e32 v15, 4, v15
	s_waitcnt vmcnt(0)
	v_cmp_ge_i32_e32 vcc_lo, v15, v0
	s_or_b32 s13, vcc_lo, s13
	s_andn2_b32 exec_lo, exec_lo, s13
	s_cbranch_execz .LBB357_4196
.LBB357_2083:                           ; =>This Inner Loop Header: Depth=1
	s_clause 0x1
	buffer_load_dword v1, off, s[0:3], s32 offset:220
	buffer_load_dword v5, off, s[0:3], s32 offset:204
	s_waitcnt vmcnt(2)
	v_lshlrev_b32_e32 v0, 5, v15
	s_waitcnt vmcnt(1)
	v_mul_hi_u32 v1, v0, v1
	s_waitcnt vmcnt(0)
	v_mul_lo_u32 v2, v1, v5
	v_add_nc_u32_e32 v3, 1, v1
	v_sub_nc_u32_e32 v2, v0, v2
	v_sub_nc_u32_e32 v4, v2, v5
	v_cmp_ge_u32_e32 vcc_lo, v2, v5
	v_cndmask_b32_e32 v2, v2, v4, vcc_lo
	v_cndmask_b32_e32 v1, v1, v3, vcc_lo
	v_cmp_ge_u32_e32 vcc_lo, v2, v5
	buffer_load_dword v2, off, s[0:3], s32 offset:216 ; 4-byte Folded Reload
	v_add_nc_u32_e32 v3, 1, v1
	v_cndmask_b32_e32 v1, v1, v3, vcc_lo
	s_waitcnt vmcnt(0)
	v_xor_b32_e32 v1, v1, v2
	v_sub_nc_u32_e32 v1, v1, v2
	s_clause 0x2
	buffer_load_dword v2, off, s[0:3], s32 offset:208
	buffer_load_dword v3, off, s[0:3], s32 offset:212
	;; [unrolled: 1-line block ×3, first 2 shown]
	s_waitcnt vmcnt(2)
	v_add_nc_u32_e32 v2, v1, v2
	s_waitcnt vmcnt(1)
	v_sub_nc_u32_e32 v3, 0, v2
	v_max_i32_e32 v3, v2, v3
	v_ashrrev_i32_e32 v2, 31, v2
	s_waitcnt vmcnt(0)
	v_mul_hi_u32 v4, v3, v4
	v_mul_lo_u32 v4, v4, v112
	v_sub_nc_u32_e32 v3, v3, v4
	v_sub_nc_u32_e32 v4, v3, v112
	v_cmp_ge_u32_e32 vcc_lo, v3, v112
	v_cndmask_b32_e32 v3, v3, v4, vcc_lo
	v_sub_nc_u32_e32 v4, v3, v112
	v_cmp_ge_u32_e32 vcc_lo, v3, v112
	v_cndmask_b32_e32 v3, v3, v4, vcc_lo
	v_xor_b32_e32 v3, v3, v2
	v_sub_nc_u32_e32 v2, v3, v2
	v_cmp_eq_u32_e32 vcc_lo, 0, v2
	buffer_load_dword v2, off, s[0:3], s32 offset:224 ; 4-byte Folded Reload
	s_waitcnt vmcnt(0)
	v_cmp_gt_i32_e64 s4, v1, v2
	s_or_b32 s4, vcc_lo, s4
	s_and_saveexec_b32 s17, s4
	s_cbranch_execz .LBB357_2082
; %bb.2084:                             ;   in Loop: Header=BB357_2083 Depth=1
	buffer_load_dword v3, off, s[0:3], s32 offset:988 ; 4-byte Folded Reload
	v_mov_b32_e32 v16, v14
	v_lshlrev_b64 v[1:2], 2, v[15:16]
	s_waitcnt vmcnt(0)
	v_add_co_u32 v1, vcc_lo, v3, v1
	buffer_load_dword v3, off, s[0:3], s32 offset:992 ; 4-byte Folded Reload
	s_waitcnt vmcnt(0)
	v_add_co_ci_u32_e64 v2, null, v3, v2, vcc_lo
	flat_load_dword v1, v[1:2]
	s_clause 0x2
	buffer_load_dword v2, off, s[0:3], s32 offset:856
	buffer_load_dword v3, off, s[0:3], s32 offset:996
	;; [unrolled: 1-line block ×3, first 2 shown]
	s_waitcnt vmcnt(0) lgkmcnt(0)
	v_mad_i64_i32 v[16:17], null, v1, v2, v[3:4]
	buffer_load_dword v1, off, s[0:3], s32 offset:1008 ; 4-byte Folded Reload
	s_waitcnt vmcnt(0)
	v_add_co_u32 v19, vcc_lo, v16, v1
	v_add_co_ci_u32_e64 v20, null, 0, v17, vcc_lo
	flat_load_dwordx2 v[24:25], v[19:20]
	s_clause 0x1
	buffer_load_dword v1, off, s[0:3], s32 offset:1268
	buffer_load_dword v2, off, s[0:3], s32 offset:1272
	s_load_dword s4, s[8:9], 0x0
	s_waitcnt vmcnt(2) lgkmcnt(0)
	v_cmp_ne_u16_sdwa s18, v24, v14 src0_sel:BYTE_0 src1_sel:DWORD
	s_waitcnt vmcnt(0)
	flat_load_dword v23, v[1:2]
	buffer_load_dword v1, off, s[0:3], s32 offset:1004 ; 4-byte Folded Reload
	s_waitcnt vmcnt(0)
	v_or_b32_e32 v102, v0, v1
	v_mov_b32_e32 v1, 0
	v_lshl_add_u32 v0, v102, 2, s4
	ds_read2_b64 v[6:9], v0 offset1:1
	ds_read2_b64 v[2:5], v0 offset0:2 offset1:3
	v_mov_b32_e32 v0, 0
	s_and_saveexec_b32 s4, s18
	s_cbranch_execz .LBB357_2092
; %bb.2085:                             ;   in Loop: Header=BB357_2083 Depth=1
	v_cmp_ne_u16_sdwa s19, v24, v115 src0_sel:BYTE_0 src1_sel:DWORD
	v_bfrev_b32_e32 v0, 1
	s_and_saveexec_b32 s18, s19
	s_cbranch_execz .LBB357_2091
; %bb.2086:                             ;   in Loop: Header=BB357_2083 Depth=1
	v_and_b32_e32 v10, 0x7f, v24
	v_mov_b32_e32 v0, 0x7f800001
	s_mov_b32 s19, exec_lo
	v_cmpx_ne_u32_e32 0x7f, v10
	s_cbranch_execz .LBB357_2090
; %bb.2087:                             ;   in Loop: Header=BB357_2083 Depth=1
	v_mov_b32_e32 v27, v25
	v_lshrrev_b32_e32 v0, 3, v10
	v_mov_b32_e32 v26, v24
	s_mov_b32 s20, exec_lo
	v_cmpx_gt_u32_e32 8, v10
; %bb.2088:                             ;   in Loop: Header=BB357_2083 Depth=1
	v_and_b32_e32 v0, 7, v24
	v_ffbh_u32_e32 v0, v0
	v_min_u32_e32 v0, 32, v0
	v_subrev_nc_u32_e32 v10, 28, v0
	v_sub_nc_u32_e32 v0, 29, v0
	v_lshlrev_b64 v[26:27], v10, v[24:25]
; %bb.2089:                             ;   in Loop: Header=BB357_2083 Depth=1
	s_or_b32 exec_lo, exec_lo, s20
	v_lshlrev_b32_e32 v10, 20, v26
	v_lshlrev_b32_e32 v11, 24, v24
	v_lshl_add_u32 v0, v0, 23, 0x3c000000
	v_and_b32_e32 v10, 0x700000, v10
	v_and_b32_e32 v11, 0x80000000, v11
	v_or3_b32 v0, v10, v11, v0
.LBB357_2090:                           ;   in Loop: Header=BB357_2083 Depth=1
	s_or_b32 exec_lo, exec_lo, s19
.LBB357_2091:                           ;   in Loop: Header=BB357_2083 Depth=1
	s_or_b32 exec_lo, exec_lo, s18
.LBB357_2092:                           ;   in Loop: Header=BB357_2083 Depth=1
	s_or_b32 exec_lo, exec_lo, s4
	v_cmp_ne_u16_sdwa s18, v24, v14 src0_sel:BYTE_1 src1_sel:DWORD
	s_and_saveexec_b32 s4, s18
	s_cbranch_execz .LBB357_2100
; %bb.2093:                             ;   in Loop: Header=BB357_2083 Depth=1
	v_cmp_ne_u16_sdwa s19, v24, v115 src0_sel:BYTE_1 src1_sel:DWORD
	v_bfrev_b32_e32 v1, 1
	s_and_saveexec_b32 s18, s19
	s_cbranch_execz .LBB357_2099
; %bb.2094:                             ;   in Loop: Header=BB357_2083 Depth=1
	v_mov_b32_e32 v1, 0xffff
	s_mov_b32 s19, exec_lo
	v_and_b32_sdwa v11, v1, v24 dst_sel:DWORD dst_unused:UNUSED_PAD src0_sel:DWORD src1_sel:BYTE_1
	v_mov_b32_e32 v1, 0x7f800001
	v_and_b32_e32 v10, 0x7f, v11
	v_cmpx_ne_u32_e32 0x7f, v10
	s_cbranch_execz .LBB357_2098
; %bb.2095:                             ;   in Loop: Header=BB357_2083 Depth=1
	v_and_b32_e32 v13, 7, v11
	v_mov_b32_e32 v27, v14
	v_lshrrev_b32_e32 v1, 3, v10
	s_mov_b32 s20, exec_lo
	v_mov_b32_e32 v26, v13
	v_cmpx_gt_u32_e32 8, v10
; %bb.2096:                             ;   in Loop: Header=BB357_2083 Depth=1
	v_ffbh_u32_e32 v1, v13
	v_min_u32_e32 v1, 32, v1
	v_subrev_nc_u32_e32 v10, 28, v1
	v_sub_nc_u32_e32 v1, 29, v1
	v_lshlrev_b64 v[10:11], v10, v[13:14]
	v_and_b32_e32 v26, 7, v10
; %bb.2097:                             ;   in Loop: Header=BB357_2083 Depth=1
	s_or_b32 exec_lo, exec_lo, s20
	v_lshlrev_b32_e32 v10, 16, v24
	v_lshlrev_b32_e32 v11, 20, v26
	v_lshl_add_u32 v1, v1, 23, 0x3c000000
	v_and_b32_e32 v10, 0x80000000, v10
	v_or3_b32 v1, v11, v10, v1
.LBB357_2098:                           ;   in Loop: Header=BB357_2083 Depth=1
	s_or_b32 exec_lo, exec_lo, s19
.LBB357_2099:                           ;   in Loop: Header=BB357_2083 Depth=1
	s_or_b32 exec_lo, exec_lo, s18
.LBB357_2100:                           ;   in Loop: Header=BB357_2083 Depth=1
	s_or_b32 exec_lo, exec_lo, s4
	v_and_b32_sdwa v12, v24, v117 dst_sel:DWORD dst_unused:UNUSED_PAD src0_sel:WORD_1 src1_sel:DWORD
	v_mov_b32_e32 v11, 0
	v_mov_b32_e32 v10, 0
	s_mov_b32 s4, exec_lo
	v_cmpx_ne_u16_e32 0, v12
	s_cbranch_execz .LBB357_2108
; %bb.2101:                             ;   in Loop: Header=BB357_2083 Depth=1
	v_bfrev_b32_e32 v10, 1
	s_mov_b32 s18, exec_lo
	v_cmpx_ne_u16_e32 0x80, v12
	s_cbranch_execz .LBB357_2107
; %bb.2102:                             ;   in Loop: Header=BB357_2083 Depth=1
	v_bfe_u32 v12, v24, 16, 7
	v_mov_b32_e32 v10, 0x7f800001
	s_mov_b32 s19, exec_lo
	v_cmpx_ne_u32_e32 0x7f, v12
	s_cbranch_execz .LBB357_2106
; %bb.2103:                             ;   in Loop: Header=BB357_2083 Depth=1
	v_mov_b32_e32 v10, 7
	s_mov_b32 s20, exec_lo
	v_and_b32_sdwa v13, v24, v10 dst_sel:DWORD dst_unused:UNUSED_PAD src0_sel:WORD_1 src1_sel:DWORD
	v_mov_b32_e32 v27, v14
	v_lshrrev_b32_e32 v10, 3, v12
	v_mov_b32_e32 v26, v13
	v_cmpx_gt_u32_e32 8, v12
; %bb.2104:                             ;   in Loop: Header=BB357_2083 Depth=1
	v_ffbh_u32_e32 v10, v13
	v_min_u32_e32 v10, 32, v10
	v_subrev_nc_u32_e32 v12, 28, v10
	v_sub_nc_u32_e32 v10, 29, v10
	v_lshlrev_b64 v[12:13], v12, v[13:14]
	v_and_b32_e32 v26, 7, v12
; %bb.2105:                             ;   in Loop: Header=BB357_2083 Depth=1
	s_or_b32 exec_lo, exec_lo, s20
	v_mov_b32_e32 v12, 24
	v_lshlrev_b32_e32 v13, 20, v26
	v_lshl_add_u32 v10, v10, 23, 0x3c000000
	v_lshlrev_b32_sdwa v12, v12, v24 dst_sel:DWORD dst_unused:UNUSED_PAD src0_sel:DWORD src1_sel:WORD_1
	v_and_b32_e32 v12, 0x80000000, v12
	v_or3_b32 v10, v13, v12, v10
.LBB357_2106:                           ;   in Loop: Header=BB357_2083 Depth=1
	s_or_b32 exec_lo, exec_lo, s19
.LBB357_2107:                           ;   in Loop: Header=BB357_2083 Depth=1
	s_or_b32 exec_lo, exec_lo, s18
.LBB357_2108:                           ;   in Loop: Header=BB357_2083 Depth=1
	s_or_b32 exec_lo, exec_lo, s4
	s_mov_b32 s4, exec_lo
	v_cmpx_lt_u32_e32 0xffffff, v24
	s_cbranch_execz .LBB357_2116
; %bb.2109:                             ;   in Loop: Header=BB357_2083 Depth=1
	v_cmp_ne_u32_sdwa s19, v24, v115 src0_sel:BYTE_3 src1_sel:DWORD
	v_bfrev_b32_e32 v11, 1
	s_and_saveexec_b32 s18, s19
	s_cbranch_execz .LBB357_2115
; %bb.2110:                             ;   in Loop: Header=BB357_2083 Depth=1
	v_bfe_u32 v12, v24, 24, 7
	v_mov_b32_e32 v11, 0x7f800001
	s_mov_b32 s19, exec_lo
	v_cmpx_ne_u32_e32 0x7f, v12
	s_cbranch_execz .LBB357_2114
; %bb.2111:                             ;   in Loop: Header=BB357_2083 Depth=1
	v_mov_b32_e32 v11, 7
	s_mov_b32 s20, exec_lo
	v_and_b32_sdwa v13, v24, v11 dst_sel:DWORD dst_unused:UNUSED_PAD src0_sel:BYTE_3 src1_sel:DWORD
	v_mov_b32_e32 v27, v14
	v_lshrrev_b32_e32 v11, 3, v12
	v_mov_b32_e32 v26, v13
	v_cmpx_gt_u32_e32 8, v12
; %bb.2112:                             ;   in Loop: Header=BB357_2083 Depth=1
	v_ffbh_u32_e32 v11, v13
	v_min_u32_e32 v11, 32, v11
	v_subrev_nc_u32_e32 v12, 28, v11
	v_sub_nc_u32_e32 v11, 29, v11
	v_lshlrev_b64 v[12:13], v12, v[13:14]
	v_and_b32_e32 v26, 7, v12
; %bb.2113:                             ;   in Loop: Header=BB357_2083 Depth=1
	s_or_b32 exec_lo, exec_lo, s20
	v_mov_b32_e32 v12, 24
	v_lshlrev_b32_e32 v13, 20, v26
	v_lshl_add_u32 v11, v11, 23, 0x3c000000
	v_lshlrev_b32_sdwa v12, v12, v24 dst_sel:DWORD dst_unused:UNUSED_PAD src0_sel:DWORD src1_sel:BYTE_3
	v_and_b32_e32 v12, 0x80000000, v12
	v_or3_b32 v11, v13, v12, v11
.LBB357_2114:                           ;   in Loop: Header=BB357_2083 Depth=1
	s_or_b32 exec_lo, exec_lo, s19
.LBB357_2115:                           ;   in Loop: Header=BB357_2083 Depth=1
	s_or_b32 exec_lo, exec_lo, s18
.LBB357_2116:                           ;   in Loop: Header=BB357_2083 Depth=1
	s_or_b32 exec_lo, exec_lo, s4
	v_mov_b32_e32 v13, v25
	v_cmp_ne_u16_sdwa s18, v25, v14 src0_sel:BYTE_0 src1_sel:DWORD
	v_mov_b32_e32 v18, 0
	v_mov_b32_e32 v12, 0
	s_and_saveexec_b32 s4, s18
	s_cbranch_execz .LBB357_2124
; %bb.2117:                             ;   in Loop: Header=BB357_2083 Depth=1
	v_cmp_ne_u16_sdwa s19, v25, v115 src0_sel:BYTE_0 src1_sel:DWORD
	v_bfrev_b32_e32 v12, 1
	s_and_saveexec_b32 s18, s19
	s_cbranch_execz .LBB357_2123
; %bb.2118:                             ;   in Loop: Header=BB357_2083 Depth=1
	v_and_b32_e32 v21, 0x7f, v25
	v_mov_b32_e32 v12, 0x7f800001
	s_mov_b32 s19, exec_lo
	v_cmpx_ne_u32_e32 0x7f, v21
	s_cbranch_execz .LBB357_2122
; %bb.2119:                             ;   in Loop: Header=BB357_2083 Depth=1
	v_mov_b32_e32 v27, v14
	v_lshrrev_b32_e32 v12, 3, v21
	v_mov_b32_e32 v26, v13
	s_mov_b32 s20, exec_lo
	v_cmpx_gt_u32_e32 8, v21
; %bb.2120:                             ;   in Loop: Header=BB357_2083 Depth=1
	v_and_b32_e32 v12, 7, v25
	v_ffbh_u32_e32 v12, v12
	v_min_u32_e32 v12, 32, v12
	v_subrev_nc_u32_e32 v21, 28, v12
	v_sub_nc_u32_e32 v12, 29, v12
	v_lshlrev_b64 v[26:27], v21, v[13:14]
; %bb.2121:                             ;   in Loop: Header=BB357_2083 Depth=1
	s_or_b32 exec_lo, exec_lo, s20
	v_lshlrev_b32_e32 v21, 20, v26
	v_lshlrev_b32_e32 v22, 24, v13
	v_lshl_add_u32 v12, v12, 23, 0x3c000000
	v_and_b32_e32 v21, 0x700000, v21
	v_and_b32_e32 v22, 0x80000000, v22
	v_or3_b32 v12, v21, v22, v12
.LBB357_2122:                           ;   in Loop: Header=BB357_2083 Depth=1
	s_or_b32 exec_lo, exec_lo, s19
.LBB357_2123:                           ;   in Loop: Header=BB357_2083 Depth=1
	s_or_b32 exec_lo, exec_lo, s18
.LBB357_2124:                           ;   in Loop: Header=BB357_2083 Depth=1
	s_or_b32 exec_lo, exec_lo, s4
	v_cmp_ne_u16_sdwa s18, v13, v14 src0_sel:BYTE_1 src1_sel:DWORD
	s_and_saveexec_b32 s4, s18
	s_cbranch_execz .LBB357_2132
; %bb.2125:                             ;   in Loop: Header=BB357_2083 Depth=1
	v_cmp_ne_u16_sdwa s19, v13, v115 src0_sel:BYTE_1 src1_sel:DWORD
	v_bfrev_b32_e32 v18, 1
	s_and_saveexec_b32 s18, s19
	s_cbranch_execz .LBB357_2131
; %bb.2126:                             ;   in Loop: Header=BB357_2083 Depth=1
	v_mov_b32_e32 v18, 0xffff
	s_mov_b32 s19, exec_lo
	v_and_b32_sdwa v22, v18, v13 dst_sel:DWORD dst_unused:UNUSED_PAD src0_sel:DWORD src1_sel:BYTE_1
	v_mov_b32_e32 v18, 0x7f800001
	v_and_b32_e32 v21, 0x7f, v22
	v_cmpx_ne_u32_e32 0x7f, v21
	s_cbranch_execz .LBB357_2130
; %bb.2127:                             ;   in Loop: Header=BB357_2083 Depth=1
	v_and_b32_e32 v26, 7, v22
	v_mov_b32_e32 v27, v14
	v_lshrrev_b32_e32 v18, 3, v21
	s_mov_b32 s20, exec_lo
	v_cmpx_gt_u32_e32 8, v21
; %bb.2128:                             ;   in Loop: Header=BB357_2083 Depth=1
	v_ffbh_u32_e32 v18, v26
	v_min_u32_e32 v18, 32, v18
	v_subrev_nc_u32_e32 v21, 28, v18
	v_sub_nc_u32_e32 v18, 29, v18
	v_lshlrev_b64 v[21:22], v21, v[26:27]
	v_and_b32_e32 v26, 7, v21
; %bb.2129:                             ;   in Loop: Header=BB357_2083 Depth=1
	s_or_b32 exec_lo, exec_lo, s20
	v_lshlrev_b32_e32 v13, 16, v13
	v_lshlrev_b32_e32 v21, 20, v26
	v_lshl_add_u32 v18, v18, 23, 0x3c000000
	v_and_b32_e32 v13, 0x80000000, v13
	v_or3_b32 v18, v21, v13, v18
.LBB357_2130:                           ;   in Loop: Header=BB357_2083 Depth=1
	s_or_b32 exec_lo, exec_lo, s19
.LBB357_2131:                           ;   in Loop: Header=BB357_2083 Depth=1
	s_or_b32 exec_lo, exec_lo, s18
.LBB357_2132:                           ;   in Loop: Header=BB357_2083 Depth=1
	s_or_b32 exec_lo, exec_lo, s4
	v_and_b32_sdwa v13, v25, v117 dst_sel:DWORD dst_unused:UNUSED_PAD src0_sel:WORD_1 src1_sel:DWORD
	v_mov_b32_e32 v21, 0
	v_mov_b32_e32 v22, 0
	s_mov_b32 s4, exec_lo
	v_cmpx_ne_u16_e32 0, v13
	s_cbranch_execz .LBB357_2140
; %bb.2133:                             ;   in Loop: Header=BB357_2083 Depth=1
	v_bfrev_b32_e32 v22, 1
	s_mov_b32 s18, exec_lo
	v_cmpx_ne_u16_e32 0x80, v13
	s_cbranch_execz .LBB357_2139
; %bb.2134:                             ;   in Loop: Header=BB357_2083 Depth=1
	v_bfe_u32 v26, v25, 16, 7
	v_mov_b32_e32 v22, 0x7f800001
	s_mov_b32 s19, exec_lo
	v_cmpx_ne_u32_e32 0x7f, v26
	s_cbranch_execz .LBB357_2138
; %bb.2135:                             ;   in Loop: Header=BB357_2083 Depth=1
	v_mov_b32_e32 v13, 7
	v_lshrrev_b32_e32 v22, 3, v26
	v_cmp_gt_u32_e32 vcc_lo, 8, v26
	v_and_b32_sdwa v13, v25, v13 dst_sel:DWORD dst_unused:UNUSED_PAD src0_sel:WORD_1 src1_sel:DWORD
	v_mov_b32_e32 v27, v14
	v_mov_b32_e32 v26, v13
	s_and_saveexec_b32 s20, vcc_lo
; %bb.2136:                             ;   in Loop: Header=BB357_2083 Depth=1
	v_ffbh_u32_e32 v22, v13
	v_min_u32_e32 v22, 32, v22
	v_subrev_nc_u32_e32 v26, 28, v22
	v_sub_nc_u32_e32 v22, 29, v22
	v_lshlrev_b64 v[26:27], v26, v[13:14]
	v_and_b32_e32 v26, 7, v26
; %bb.2137:                             ;   in Loop: Header=BB357_2083 Depth=1
	s_or_b32 exec_lo, exec_lo, s20
	v_mov_b32_e32 v13, 24
	v_lshlrev_b32_e32 v26, 20, v26
	v_lshl_add_u32 v22, v22, 23, 0x3c000000
	v_lshlrev_b32_sdwa v13, v13, v25 dst_sel:DWORD dst_unused:UNUSED_PAD src0_sel:DWORD src1_sel:WORD_1
	v_and_b32_e32 v13, 0x80000000, v13
	v_or3_b32 v22, v26, v13, v22
.LBB357_2138:                           ;   in Loop: Header=BB357_2083 Depth=1
	s_or_b32 exec_lo, exec_lo, s19
.LBB357_2139:                           ;   in Loop: Header=BB357_2083 Depth=1
	s_or_b32 exec_lo, exec_lo, s18
.LBB357_2140:                           ;   in Loop: Header=BB357_2083 Depth=1
	s_or_b32 exec_lo, exec_lo, s4
	s_mov_b32 s4, exec_lo
	v_cmpx_lt_u64_e64 s[6:7], v[24:25]
	s_cbranch_execz .LBB357_2148
; %bb.2141:                             ;   in Loop: Header=BB357_2083 Depth=1
	v_cmp_ne_u32_sdwa s19, v25, v115 src0_sel:BYTE_3 src1_sel:DWORD
	v_bfrev_b32_e32 v21, 1
	s_and_saveexec_b32 s18, s19
	s_cbranch_execz .LBB357_2147
; %bb.2142:                             ;   in Loop: Header=BB357_2083 Depth=1
	v_bfe_u32 v24, v25, 24, 7
	v_mov_b32_e32 v21, 0x7f800001
	s_mov_b32 s19, exec_lo
	v_cmpx_ne_u32_e32 0x7f, v24
	s_cbranch_execz .LBB357_2146
; %bb.2143:                             ;   in Loop: Header=BB357_2083 Depth=1
	v_mov_b32_e32 v13, 7
	v_lshrrev_b32_e32 v21, 3, v24
	s_mov_b32 s20, exec_lo
	v_and_b32_sdwa v13, v25, v13 dst_sel:DWORD dst_unused:UNUSED_PAD src0_sel:BYTE_3 src1_sel:DWORD
	v_mov_b32_e32 v27, v14
	v_mov_b32_e32 v26, v13
	v_cmpx_gt_u32_e32 8, v24
; %bb.2144:                             ;   in Loop: Header=BB357_2083 Depth=1
	v_ffbh_u32_e32 v21, v13
	v_min_u32_e32 v21, 32, v21
	v_subrev_nc_u32_e32 v24, 28, v21
	v_sub_nc_u32_e32 v21, 29, v21
	v_lshlrev_b64 v[26:27], v24, v[13:14]
	v_and_b32_e32 v26, 7, v26
; %bb.2145:                             ;   in Loop: Header=BB357_2083 Depth=1
	s_or_b32 exec_lo, exec_lo, s20
	v_mov_b32_e32 v13, 24
	v_lshlrev_b32_e32 v24, 20, v26
	v_lshl_add_u32 v21, v21, 23, 0x3c000000
	v_lshlrev_b32_sdwa v13, v13, v25 dst_sel:DWORD dst_unused:UNUSED_PAD src0_sel:DWORD src1_sel:BYTE_3
	v_and_b32_e32 v13, 0x80000000, v13
	v_or3_b32 v21, v24, v13, v21
.LBB357_2146:                           ;   in Loop: Header=BB357_2083 Depth=1
	s_or_b32 exec_lo, exec_lo, s19
.LBB357_2147:                           ;   in Loop: Header=BB357_2083 Depth=1
	s_or_b32 exec_lo, exec_lo, s18
.LBB357_2148:                           ;   in Loop: Header=BB357_2083 Depth=1
	s_or_b32 exec_lo, exec_lo, s4
	s_waitcnt lgkmcnt(2)
	v_mul_f32_e32 v13, v23, v18
	buffer_load_dword v18, off, s[0:3], s32 offset:192 ; 4-byte Folded Reload
	v_mul_f32_e32 v12, v23, v12
	v_mul_f32_e32 v11, v23, v11
	;; [unrolled: 1-line block ×3, first 2 shown]
	v_bfe_u32 v24, v13, 16, 1
	v_cmp_u_f32_e64 s4, v13, v13
	v_bfe_u32 v25, v12, 16, 1
	v_or_b32_e32 v26, 0x400000, v12
	v_bfe_u32 v27, v11, 16, 1
	v_add3_u32 v24, v24, v13, 0x7fff
	v_or_b32_e32 v28, 0x400000, v11
	v_add3_u32 v25, v25, v12, 0x7fff
	v_mul_f32_e32 v1, v23, v1
	v_mul_f32_e32 v0, v23, v0
	v_or_b32_e32 v52, 1, v102
	v_or_b32_e32 v51, 2, v102
	;; [unrolled: 1-line block ×6, first 2 shown]
	s_waitcnt vmcnt(0)
	v_add_nc_u32_e32 v18, -1, v18
	v_cmp_eq_u32_e32 vcc_lo, v15, v18
	v_or_b32_e32 v18, 0x400000, v13
	v_cndmask_b32_e64 v13, v24, v18, s4
	v_cmp_u_f32_e64 s4, v12, v12
	v_add3_u32 v24, v27, v11, 0x7fff
	v_bfe_u32 v18, v10, 16, 1
	v_lshrrev_b32_e32 v13, 16, v13
	v_cndmask_b32_e64 v12, v25, v26, s4
	v_cmp_u_f32_e64 s4, v11, v11
	buffer_store_dword v13, off, s[0:3], s32 offset:236 ; 4-byte Folded Spill
	v_add3_u32 v13, v18, v10, 0x7fff
	v_cndmask_b32_e64 v11, v24, v28, s4
	v_or_b32_e32 v18, 0x400000, v10
	v_lshrrev_b32_e32 v12, 16, v12
	v_cmp_u_f32_e64 s4, v10, v10
	v_lshrrev_b32_e32 v11, 16, v11
	buffer_store_dword v12, off, s[0:3], s32 offset:228 ; 4-byte Folded Spill
	v_cndmask_b32_e64 v10, v13, v18, s4
	v_mul_f32_e32 v12, v23, v22
	buffer_store_dword v11, off, s[0:3], s32 offset:244 ; 4-byte Folded Spill
	v_bfe_u32 v11, v1, 16, 1
	v_or_b32_e32 v13, 0x400000, v1
	v_mul_f32_e32 v18, v23, v21
	v_bfe_u32 v21, v0, 16, 1
	v_cmp_u_f32_e64 s4, v1, v1
	v_add3_u32 v11, v11, v1, 0x7fff
	v_bfe_u32 v22, v12, 16, 1
	v_or_b32_e32 v24, 0x400000, v12
	v_or_b32_e32 v25, 0x400000, v18
	v_lshrrev_b32_e32 v10, 16, v10
	v_cndmask_b32_e64 v1, v11, v13, s4
	v_add3_u32 v13, v21, v0, 0x7fff
	v_or_b32_e32 v21, 0x400000, v0
	v_cmp_u_f32_e64 s4, v0, v0
	v_bfe_u32 v11, v18, 16, 1
	v_add3_u32 v22, v22, v12, 0x7fff
	v_lshrrev_b32_e32 v1, 16, v1
	buffer_store_dword v10, off, s[0:3], s32 offset:240 ; 4-byte Folded Spill
	v_cndmask_b32_e64 v0, v13, v21, s4
	v_cmp_u_f32_e64 s4, v12, v12
	v_add3_u32 v11, v11, v18, 0x7fff
	buffer_store_dword v1, off, s[0:3], s32 offset:252 ; 4-byte Folded Spill
	v_lshrrev_b32_e32 v0, 16, v0
	v_cndmask_b32_e64 v12, v22, v24, s4
	v_cmp_u_f32_e64 s4, v18, v18
	v_or_b32_e32 v18, 6, v102
	buffer_store_dword v0, off, s[0:3], s32 offset:248 ; 4-byte Folded Spill
	v_lshrrev_b32_e32 v0, 16, v12
	v_cndmask_b32_e64 v11, v11, v25, s4
	buffer_store_dword v0, off, s[0:3], s32 offset:196 ; 4-byte Folded Spill
	v_lshrrev_b32_e32 v0, 16, v11
	buffer_store_dword v0, off, s[0:3], s32 offset:232 ; 4-byte Folded Spill
	s_and_saveexec_b32 s18, vcc_lo
	s_cbranch_execz .LBB357_2150
; %bb.2149:                             ;   in Loop: Header=BB357_2083 Depth=1
	buffer_load_dword v0, off, s[0:3], s32 offset:248 ; 4-byte Folded Reload
	v_cmp_lt_i32_e64 s4, v102, v49
	s_waitcnt vmcnt(0)
	v_cndmask_b32_e64 v0, 0, v0, s4
	v_cmp_lt_i32_e64 s4, v52, v49
	buffer_store_dword v0, off, s[0:3], s32 offset:248 ; 4-byte Folded Spill
	buffer_load_dword v0, off, s[0:3], s32 offset:252 ; 4-byte Folded Reload
	s_waitcnt vmcnt(0)
	v_cndmask_b32_e64 v0, 0, v0, s4
	v_cmp_lt_i32_e64 s4, v51, v49
	buffer_store_dword v0, off, s[0:3], s32 offset:252 ; 4-byte Folded Spill
	buffer_load_dword v0, off, s[0:3], s32 offset:240 ; 4-byte Folded Reload
	;; [unrolled: 5-line block ×7, first 2 shown]
	s_waitcnt vmcnt(0)
	v_cndmask_b32_e64 v0, 0, v0, s4
	buffer_store_dword v0, off, s[0:3], s32 offset:232 ; 4-byte Folded Spill
.LBB357_2150:                           ;   in Loop: Header=BB357_2083 Depth=1
	s_or_b32 exec_lo, exec_lo, s18
	flat_load_dwordx2 v[24:25], v[19:20] offset:256
	v_mov_b32_e32 v1, 0
	v_mov_b32_e32 v0, 0
	s_waitcnt vmcnt(0) lgkmcnt(0)
	v_cmp_ne_u16_sdwa s4, v24, v14 src0_sel:BYTE_0 src1_sel:DWORD
	s_and_saveexec_b32 s18, s4
	s_cbranch_execz .LBB357_2158
; %bb.2151:                             ;   in Loop: Header=BB357_2083 Depth=1
	v_cmp_ne_u16_sdwa s4, v24, v115 src0_sel:BYTE_0 src1_sel:DWORD
	v_bfrev_b32_e32 v0, 1
	s_and_saveexec_b32 s19, s4
	s_cbranch_execz .LBB357_2157
; %bb.2152:                             ;   in Loop: Header=BB357_2083 Depth=1
	v_and_b32_e32 v10, 0x7f, v24
	v_mov_b32_e32 v0, 0x7f800001
	s_mov_b32 s20, exec_lo
	v_cmpx_ne_u32_e32 0x7f, v10
	s_cbranch_execz .LBB357_2156
; %bb.2153:                             ;   in Loop: Header=BB357_2083 Depth=1
	v_mov_b32_e32 v27, v25
	v_lshrrev_b32_e32 v0, 3, v10
	v_mov_b32_e32 v26, v24
	s_mov_b32 s21, exec_lo
	v_cmpx_gt_u32_e32 8, v10
; %bb.2154:                             ;   in Loop: Header=BB357_2083 Depth=1
	v_and_b32_e32 v0, 7, v24
	v_ffbh_u32_e32 v0, v0
	v_min_u32_e32 v0, 32, v0
	v_subrev_nc_u32_e32 v10, 28, v0
	v_sub_nc_u32_e32 v0, 29, v0
	v_lshlrev_b64 v[26:27], v10, v[24:25]
; %bb.2155:                             ;   in Loop: Header=BB357_2083 Depth=1
	s_or_b32 exec_lo, exec_lo, s21
	v_lshlrev_b32_e32 v10, 20, v26
	v_lshlrev_b32_e32 v11, 24, v24
	v_lshl_add_u32 v0, v0, 23, 0x3c000000
	v_and_b32_e32 v10, 0x700000, v10
	v_and_b32_e32 v11, 0x80000000, v11
	v_or3_b32 v0, v10, v11, v0
.LBB357_2156:                           ;   in Loop: Header=BB357_2083 Depth=1
	s_or_b32 exec_lo, exec_lo, s20
.LBB357_2157:                           ;   in Loop: Header=BB357_2083 Depth=1
	s_or_b32 exec_lo, exec_lo, s19
.LBB357_2158:                           ;   in Loop: Header=BB357_2083 Depth=1
	s_or_b32 exec_lo, exec_lo, s18
	v_cmp_ne_u16_sdwa s4, v24, v14 src0_sel:BYTE_1 src1_sel:DWORD
	s_and_saveexec_b32 s18, s4
	s_cbranch_execz .LBB357_2166
; %bb.2159:                             ;   in Loop: Header=BB357_2083 Depth=1
	v_cmp_ne_u16_sdwa s4, v24, v115 src0_sel:BYTE_1 src1_sel:DWORD
	v_bfrev_b32_e32 v1, 1
	s_and_saveexec_b32 s19, s4
	s_cbranch_execz .LBB357_2165
; %bb.2160:                             ;   in Loop: Header=BB357_2083 Depth=1
	v_mov_b32_e32 v1, 0xffff
	s_mov_b32 s20, exec_lo
	v_and_b32_sdwa v11, v1, v24 dst_sel:DWORD dst_unused:UNUSED_PAD src0_sel:DWORD src1_sel:BYTE_1
	v_mov_b32_e32 v1, 0x7f800001
	v_and_b32_e32 v10, 0x7f, v11
	v_cmpx_ne_u32_e32 0x7f, v10
	s_cbranch_execz .LBB357_2164
; %bb.2161:                             ;   in Loop: Header=BB357_2083 Depth=1
	v_and_b32_e32 v13, 7, v11
	v_mov_b32_e32 v27, v14
	v_lshrrev_b32_e32 v1, 3, v10
	s_mov_b32 s21, exec_lo
	v_mov_b32_e32 v26, v13
	v_cmpx_gt_u32_e32 8, v10
; %bb.2162:                             ;   in Loop: Header=BB357_2083 Depth=1
	v_ffbh_u32_e32 v1, v13
	v_min_u32_e32 v1, 32, v1
	v_subrev_nc_u32_e32 v10, 28, v1
	v_sub_nc_u32_e32 v1, 29, v1
	v_lshlrev_b64 v[10:11], v10, v[13:14]
	v_and_b32_e32 v26, 7, v10
; %bb.2163:                             ;   in Loop: Header=BB357_2083 Depth=1
	s_or_b32 exec_lo, exec_lo, s21
	v_lshlrev_b32_e32 v10, 16, v24
	v_lshlrev_b32_e32 v11, 20, v26
	v_lshl_add_u32 v1, v1, 23, 0x3c000000
	v_and_b32_e32 v10, 0x80000000, v10
	v_or3_b32 v1, v11, v10, v1
.LBB357_2164:                           ;   in Loop: Header=BB357_2083 Depth=1
	s_or_b32 exec_lo, exec_lo, s20
.LBB357_2165:                           ;   in Loop: Header=BB357_2083 Depth=1
	s_or_b32 exec_lo, exec_lo, s19
.LBB357_2166:                           ;   in Loop: Header=BB357_2083 Depth=1
	s_or_b32 exec_lo, exec_lo, s18
	v_and_b32_sdwa v12, v24, v117 dst_sel:DWORD dst_unused:UNUSED_PAD src0_sel:WORD_1 src1_sel:DWORD
	v_mov_b32_e32 v11, 0
	v_mov_b32_e32 v10, 0
	s_mov_b32 s18, exec_lo
	v_cmpx_ne_u16_e32 0, v12
	s_cbranch_execz .LBB357_2174
; %bb.2167:                             ;   in Loop: Header=BB357_2083 Depth=1
	v_bfrev_b32_e32 v10, 1
	s_mov_b32 s19, exec_lo
	v_cmpx_ne_u16_e32 0x80, v12
	s_cbranch_execz .LBB357_2173
; %bb.2168:                             ;   in Loop: Header=BB357_2083 Depth=1
	v_bfe_u32 v12, v24, 16, 7
	v_mov_b32_e32 v10, 0x7f800001
	s_mov_b32 s20, exec_lo
	v_cmpx_ne_u32_e32 0x7f, v12
	s_cbranch_execz .LBB357_2172
; %bb.2169:                             ;   in Loop: Header=BB357_2083 Depth=1
	v_mov_b32_e32 v10, 7
	s_mov_b32 s21, exec_lo
	v_and_b32_sdwa v13, v24, v10 dst_sel:DWORD dst_unused:UNUSED_PAD src0_sel:WORD_1 src1_sel:DWORD
	v_mov_b32_e32 v27, v14
	v_lshrrev_b32_e32 v10, 3, v12
	v_mov_b32_e32 v26, v13
	v_cmpx_gt_u32_e32 8, v12
; %bb.2170:                             ;   in Loop: Header=BB357_2083 Depth=1
	v_ffbh_u32_e32 v10, v13
	v_min_u32_e32 v10, 32, v10
	v_subrev_nc_u32_e32 v12, 28, v10
	v_sub_nc_u32_e32 v10, 29, v10
	v_lshlrev_b64 v[12:13], v12, v[13:14]
	v_and_b32_e32 v26, 7, v12
; %bb.2171:                             ;   in Loop: Header=BB357_2083 Depth=1
	s_or_b32 exec_lo, exec_lo, s21
	v_mov_b32_e32 v12, 24
	v_lshlrev_b32_e32 v13, 20, v26
	v_lshl_add_u32 v10, v10, 23, 0x3c000000
	v_lshlrev_b32_sdwa v12, v12, v24 dst_sel:DWORD dst_unused:UNUSED_PAD src0_sel:DWORD src1_sel:WORD_1
	v_and_b32_e32 v12, 0x80000000, v12
	v_or3_b32 v10, v13, v12, v10
.LBB357_2172:                           ;   in Loop: Header=BB357_2083 Depth=1
	s_or_b32 exec_lo, exec_lo, s20
.LBB357_2173:                           ;   in Loop: Header=BB357_2083 Depth=1
	s_or_b32 exec_lo, exec_lo, s19
.LBB357_2174:                           ;   in Loop: Header=BB357_2083 Depth=1
	s_or_b32 exec_lo, exec_lo, s18
	s_mov_b32 s18, exec_lo
	v_cmpx_lt_u32_e32 0xffffff, v24
	s_cbranch_execz .LBB357_2182
; %bb.2175:                             ;   in Loop: Header=BB357_2083 Depth=1
	v_cmp_ne_u32_sdwa s4, v24, v115 src0_sel:BYTE_3 src1_sel:DWORD
	v_bfrev_b32_e32 v11, 1
	s_and_saveexec_b32 s19, s4
	s_cbranch_execz .LBB357_2181
; %bb.2176:                             ;   in Loop: Header=BB357_2083 Depth=1
	v_bfe_u32 v12, v24, 24, 7
	v_mov_b32_e32 v11, 0x7f800001
	s_mov_b32 s20, exec_lo
	v_cmpx_ne_u32_e32 0x7f, v12
	s_cbranch_execz .LBB357_2180
; %bb.2177:                             ;   in Loop: Header=BB357_2083 Depth=1
	v_mov_b32_e32 v11, 7
	s_mov_b32 s21, exec_lo
	v_and_b32_sdwa v13, v24, v11 dst_sel:DWORD dst_unused:UNUSED_PAD src0_sel:BYTE_3 src1_sel:DWORD
	v_mov_b32_e32 v27, v14
	v_lshrrev_b32_e32 v11, 3, v12
	v_mov_b32_e32 v26, v13
	v_cmpx_gt_u32_e32 8, v12
; %bb.2178:                             ;   in Loop: Header=BB357_2083 Depth=1
	v_ffbh_u32_e32 v11, v13
	v_min_u32_e32 v11, 32, v11
	v_subrev_nc_u32_e32 v12, 28, v11
	v_sub_nc_u32_e32 v11, 29, v11
	v_lshlrev_b64 v[12:13], v12, v[13:14]
	v_and_b32_e32 v26, 7, v12
; %bb.2179:                             ;   in Loop: Header=BB357_2083 Depth=1
	s_or_b32 exec_lo, exec_lo, s21
	v_mov_b32_e32 v12, 24
	v_lshlrev_b32_e32 v13, 20, v26
	v_lshl_add_u32 v11, v11, 23, 0x3c000000
	v_lshlrev_b32_sdwa v12, v12, v24 dst_sel:DWORD dst_unused:UNUSED_PAD src0_sel:DWORD src1_sel:BYTE_3
	v_and_b32_e32 v12, 0x80000000, v12
	v_or3_b32 v11, v13, v12, v11
.LBB357_2180:                           ;   in Loop: Header=BB357_2083 Depth=1
	s_or_b32 exec_lo, exec_lo, s20
.LBB357_2181:                           ;   in Loop: Header=BB357_2083 Depth=1
	s_or_b32 exec_lo, exec_lo, s19
.LBB357_2182:                           ;   in Loop: Header=BB357_2083 Depth=1
	s_or_b32 exec_lo, exec_lo, s18
	v_mov_b32_e32 v13, v25
	v_cmp_ne_u16_sdwa s4, v25, v14 src0_sel:BYTE_0 src1_sel:DWORD
	v_mov_b32_e32 v21, 0
	v_mov_b32_e32 v12, 0
	s_and_saveexec_b32 s18, s4
	s_cbranch_execz .LBB357_2190
; %bb.2183:                             ;   in Loop: Header=BB357_2083 Depth=1
	v_cmp_ne_u16_sdwa s4, v25, v115 src0_sel:BYTE_0 src1_sel:DWORD
	v_bfrev_b32_e32 v12, 1
	s_and_saveexec_b32 s19, s4
	s_cbranch_execz .LBB357_2189
; %bb.2184:                             ;   in Loop: Header=BB357_2083 Depth=1
	v_and_b32_e32 v22, 0x7f, v25
	v_mov_b32_e32 v12, 0x7f800001
	s_mov_b32 s20, exec_lo
	v_cmpx_ne_u32_e32 0x7f, v22
	s_cbranch_execz .LBB357_2188
; %bb.2185:                             ;   in Loop: Header=BB357_2083 Depth=1
	v_mov_b32_e32 v27, v14
	v_lshrrev_b32_e32 v12, 3, v22
	v_mov_b32_e32 v26, v13
	s_mov_b32 s21, exec_lo
	v_cmpx_gt_u32_e32 8, v22
; %bb.2186:                             ;   in Loop: Header=BB357_2083 Depth=1
	v_and_b32_e32 v12, 7, v25
	v_ffbh_u32_e32 v12, v12
	v_min_u32_e32 v12, 32, v12
	v_subrev_nc_u32_e32 v22, 28, v12
	v_sub_nc_u32_e32 v12, 29, v12
	v_lshlrev_b64 v[26:27], v22, v[13:14]
; %bb.2187:                             ;   in Loop: Header=BB357_2083 Depth=1
	s_or_b32 exec_lo, exec_lo, s21
	v_lshlrev_b32_e32 v22, 20, v26
	v_lshlrev_b32_e32 v26, 24, v13
	v_lshl_add_u32 v12, v12, 23, 0x3c000000
	v_and_b32_e32 v22, 0x700000, v22
	v_and_b32_e32 v26, 0x80000000, v26
	v_or3_b32 v12, v22, v26, v12
.LBB357_2188:                           ;   in Loop: Header=BB357_2083 Depth=1
	s_or_b32 exec_lo, exec_lo, s20
.LBB357_2189:                           ;   in Loop: Header=BB357_2083 Depth=1
	s_or_b32 exec_lo, exec_lo, s19
.LBB357_2190:                           ;   in Loop: Header=BB357_2083 Depth=1
	s_or_b32 exec_lo, exec_lo, s18
	v_cmp_ne_u16_sdwa s4, v13, v14 src0_sel:BYTE_1 src1_sel:DWORD
	s_and_saveexec_b32 s18, s4
	s_cbranch_execz .LBB357_2198
; %bb.2191:                             ;   in Loop: Header=BB357_2083 Depth=1
	v_cmp_ne_u16_sdwa s4, v13, v115 src0_sel:BYTE_1 src1_sel:DWORD
	v_bfrev_b32_e32 v21, 1
	s_and_saveexec_b32 s19, s4
	s_cbranch_execz .LBB357_2197
; %bb.2192:                             ;   in Loop: Header=BB357_2083 Depth=1
	v_mov_b32_e32 v21, 0xffff
	s_mov_b32 s20, exec_lo
	v_and_b32_sdwa v26, v21, v13 dst_sel:DWORD dst_unused:UNUSED_PAD src0_sel:DWORD src1_sel:BYTE_1
	v_mov_b32_e32 v21, 0x7f800001
	v_and_b32_e32 v22, 0x7f, v26
	v_cmpx_ne_u32_e32 0x7f, v22
	s_cbranch_execz .LBB357_2196
; %bb.2193:                             ;   in Loop: Header=BB357_2083 Depth=1
	v_and_b32_e32 v26, 7, v26
	v_mov_b32_e32 v27, v14
	v_lshrrev_b32_e32 v21, 3, v22
	s_mov_b32 s21, exec_lo
	v_cmpx_gt_u32_e32 8, v22
; %bb.2194:                             ;   in Loop: Header=BB357_2083 Depth=1
	v_ffbh_u32_e32 v21, v26
	v_min_u32_e32 v21, 32, v21
	v_subrev_nc_u32_e32 v22, 28, v21
	v_sub_nc_u32_e32 v21, 29, v21
	v_lshlrev_b64 v[26:27], v22, v[26:27]
	v_and_b32_e32 v26, 7, v26
; %bb.2195:                             ;   in Loop: Header=BB357_2083 Depth=1
	s_or_b32 exec_lo, exec_lo, s21
	v_lshlrev_b32_e32 v13, 16, v13
	v_lshlrev_b32_e32 v22, 20, v26
	v_lshl_add_u32 v21, v21, 23, 0x3c000000
	v_and_b32_e32 v13, 0x80000000, v13
	v_or3_b32 v21, v22, v13, v21
.LBB357_2196:                           ;   in Loop: Header=BB357_2083 Depth=1
	s_or_b32 exec_lo, exec_lo, s20
.LBB357_2197:                           ;   in Loop: Header=BB357_2083 Depth=1
	s_or_b32 exec_lo, exec_lo, s19
.LBB357_2198:                           ;   in Loop: Header=BB357_2083 Depth=1
	s_or_b32 exec_lo, exec_lo, s18
	v_and_b32_sdwa v13, v25, v117 dst_sel:DWORD dst_unused:UNUSED_PAD src0_sel:WORD_1 src1_sel:DWORD
	v_mov_b32_e32 v22, 0
	v_mov_b32_e32 v28, 0
	s_mov_b32 s18, exec_lo
	v_cmpx_ne_u16_e32 0, v13
	s_cbranch_execz .LBB357_2206
; %bb.2199:                             ;   in Loop: Header=BB357_2083 Depth=1
	v_bfrev_b32_e32 v28, 1
	s_mov_b32 s19, exec_lo
	v_cmpx_ne_u16_e32 0x80, v13
	s_cbranch_execz .LBB357_2205
; %bb.2200:                             ;   in Loop: Header=BB357_2083 Depth=1
	v_bfe_u32 v26, v25, 16, 7
	v_mov_b32_e32 v28, 0x7f800001
	s_mov_b32 s20, exec_lo
	v_cmpx_ne_u32_e32 0x7f, v26
	s_cbranch_execz .LBB357_2204
; %bb.2201:                             ;   in Loop: Header=BB357_2083 Depth=1
	v_mov_b32_e32 v13, 7
	v_lshrrev_b32_e32 v28, 3, v26
	v_cmp_gt_u32_e64 s4, 8, v26
	v_and_b32_sdwa v13, v25, v13 dst_sel:DWORD dst_unused:UNUSED_PAD src0_sel:WORD_1 src1_sel:DWORD
	v_mov_b32_e32 v27, v14
	v_mov_b32_e32 v26, v13
	s_and_saveexec_b32 s21, s4
; %bb.2202:                             ;   in Loop: Header=BB357_2083 Depth=1
	v_ffbh_u32_e32 v26, v13
	v_min_u32_e32 v28, 32, v26
	v_subrev_nc_u32_e32 v26, 28, v28
	v_sub_nc_u32_e32 v28, 29, v28
	v_lshlrev_b64 v[26:27], v26, v[13:14]
	v_and_b32_e32 v26, 7, v26
; %bb.2203:                             ;   in Loop: Header=BB357_2083 Depth=1
	s_or_b32 exec_lo, exec_lo, s21
	v_mov_b32_e32 v13, 24
	v_lshlrev_b32_e32 v26, 20, v26
	v_lshl_add_u32 v27, v28, 23, 0x3c000000
	v_lshlrev_b32_sdwa v13, v13, v25 dst_sel:DWORD dst_unused:UNUSED_PAD src0_sel:DWORD src1_sel:WORD_1
	v_and_b32_e32 v13, 0x80000000, v13
	v_or3_b32 v28, v26, v13, v27
.LBB357_2204:                           ;   in Loop: Header=BB357_2083 Depth=1
	s_or_b32 exec_lo, exec_lo, s20
.LBB357_2205:                           ;   in Loop: Header=BB357_2083 Depth=1
	s_or_b32 exec_lo, exec_lo, s19
.LBB357_2206:                           ;   in Loop: Header=BB357_2083 Depth=1
	s_or_b32 exec_lo, exec_lo, s18
	s_mov_b32 s18, exec_lo
	v_cmpx_lt_u64_e64 s[6:7], v[24:25]
	s_cbranch_execz .LBB357_2214
; %bb.2207:                             ;   in Loop: Header=BB357_2083 Depth=1
	v_cmp_ne_u32_sdwa s4, v25, v115 src0_sel:BYTE_3 src1_sel:DWORD
	v_bfrev_b32_e32 v22, 1
	s_and_saveexec_b32 s19, s4
	s_cbranch_execz .LBB357_2213
; %bb.2208:                             ;   in Loop: Header=BB357_2083 Depth=1
	v_bfe_u32 v24, v25, 24, 7
	v_mov_b32_e32 v22, 0x7f800001
	s_mov_b32 s20, exec_lo
	v_cmpx_ne_u32_e32 0x7f, v24
	s_cbranch_execz .LBB357_2212
; %bb.2209:                             ;   in Loop: Header=BB357_2083 Depth=1
	v_mov_b32_e32 v13, 7
	v_lshrrev_b32_e32 v22, 3, v24
	s_mov_b32 s21, exec_lo
	v_and_b32_sdwa v13, v25, v13 dst_sel:DWORD dst_unused:UNUSED_PAD src0_sel:BYTE_3 src1_sel:DWORD
	v_mov_b32_e32 v27, v14
	v_mov_b32_e32 v26, v13
	v_cmpx_gt_u32_e32 8, v24
; %bb.2210:                             ;   in Loop: Header=BB357_2083 Depth=1
	v_ffbh_u32_e32 v22, v13
	v_min_u32_e32 v22, 32, v22
	v_subrev_nc_u32_e32 v24, 28, v22
	v_sub_nc_u32_e32 v22, 29, v22
	v_lshlrev_b64 v[26:27], v24, v[13:14]
	v_and_b32_e32 v26, 7, v26
; %bb.2211:                             ;   in Loop: Header=BB357_2083 Depth=1
	s_or_b32 exec_lo, exec_lo, s21
	v_mov_b32_e32 v13, 24
	v_lshlrev_b32_e32 v24, 20, v26
	v_lshl_add_u32 v22, v22, 23, 0x3c000000
	v_lshlrev_b32_sdwa v13, v13, v25 dst_sel:DWORD dst_unused:UNUSED_PAD src0_sel:DWORD src1_sel:BYTE_3
	v_and_b32_e32 v13, 0x80000000, v13
	v_or3_b32 v22, v24, v13, v22
.LBB357_2212:                           ;   in Loop: Header=BB357_2083 Depth=1
	s_or_b32 exec_lo, exec_lo, s20
.LBB357_2213:                           ;   in Loop: Header=BB357_2083 Depth=1
	s_or_b32 exec_lo, exec_lo, s19
.LBB357_2214:                           ;   in Loop: Header=BB357_2083 Depth=1
	s_or_b32 exec_lo, exec_lo, s18
	v_mul_f32_e32 v13, v23, v21
	v_mul_f32_e32 v12, v23, v12
	;; [unrolled: 1-line block ×5, first 2 shown]
	v_bfe_u32 v21, v13, 16, 1
	v_or_b32_e32 v24, 0x400000, v13
	v_bfe_u32 v25, v12, 16, 1
	v_cmp_u_f32_e64 s4, v13, v13
	v_or_b32_e32 v26, 0x400000, v12
	v_add3_u32 v21, v21, v13, 0x7fff
	v_bfe_u32 v27, v11, 16, 1
	v_add3_u32 v25, v25, v12, 0x7fff
	v_or_b32_e32 v29, 0x400000, v11
	v_bfe_u32 v30, v10, 16, 1
	v_cndmask_b32_e64 v13, v21, v24, s4
	v_cmp_u_f32_e64 s4, v12, v12
	v_add3_u32 v27, v27, v11, 0x7fff
	v_or_b32_e32 v21, 0x400000, v10
	v_mul_f32_e32 v0, v23, v0
	v_lshrrev_b32_e32 v13, 16, v13
	v_cndmask_b32_e64 v12, v25, v26, s4
	v_cmp_u_f32_e64 s4, v11, v11
	buffer_store_dword v13, off, s[0:3], s32 offset:268 ; 4-byte Folded Spill
	v_add3_u32 v13, v30, v10, 0x7fff
	v_cndmask_b32_e64 v11, v27, v29, s4
	v_lshrrev_b32_e32 v12, 16, v12
	v_cmp_u_f32_e64 s4, v10, v10
	v_lshrrev_b32_e32 v11, 16, v11
	buffer_store_dword v12, off, s[0:3], s32 offset:264 ; 4-byte Folded Spill
	v_cndmask_b32_e64 v10, v13, v21, s4
	v_mul_f32_e32 v12, v23, v28
	v_or_b32_e32 v13, 0x400000, v1
	buffer_store_dword v11, off, s[0:3], s32 offset:276 ; 4-byte Folded Spill
	v_bfe_u32 v11, v1, 16, 1
	v_mul_f32_e32 v21, v23, v22
	v_bfe_u32 v22, v0, 16, 1
	v_cmp_u_f32_e64 s4, v1, v1
	v_bfe_u32 v24, v12, 16, 1
	v_add3_u32 v11, v11, v1, 0x7fff
	v_or_b32_e32 v25, 0x400000, v12
	v_or_b32_e32 v26, 0x400000, v21
	v_lshrrev_b32_e32 v10, 16, v10
	v_add3_u32 v24, v24, v12, 0x7fff
	v_cndmask_b32_e64 v1, v11, v13, s4
	v_add3_u32 v13, v22, v0, 0x7fff
	v_or_b32_e32 v22, 0x400000, v0
	v_cmp_u_f32_e64 s4, v0, v0
	v_bfe_u32 v11, v21, 16, 1
	v_lshrrev_b32_e32 v1, 16, v1
	buffer_store_dword v10, off, s[0:3], s32 offset:272 ; 4-byte Folded Spill
	v_cndmask_b32_e64 v0, v13, v22, s4
	v_cmp_u_f32_e64 s4, v12, v12
	v_add3_u32 v11, v11, v21, 0x7fff
	buffer_store_dword v1, off, s[0:3], s32 offset:284 ; 4-byte Folded Spill
	v_lshrrev_b32_e32 v0, 16, v0
	v_cndmask_b32_e64 v12, v24, v25, s4
	v_cmp_u_f32_e64 s4, v21, v21
	buffer_store_dword v0, off, s[0:3], s32 offset:280 ; 4-byte Folded Spill
	v_lshrrev_b32_e32 v0, 16, v12
	v_cndmask_b32_e64 v11, v11, v26, s4
	buffer_store_dword v0, off, s[0:3], s32 offset:256 ; 4-byte Folded Spill
	v_lshrrev_b32_e32 v0, 16, v11
	buffer_store_dword v0, off, s[0:3], s32 offset:260 ; 4-byte Folded Spill
	s_and_saveexec_b32 s18, vcc_lo
	s_cbranch_execz .LBB357_2216
; %bb.2215:                             ;   in Loop: Header=BB357_2083 Depth=1
	buffer_load_dword v0, off, s[0:3], s32 offset:280 ; 4-byte Folded Reload
	v_cmp_lt_i32_e64 s4, v102, v49
	s_waitcnt vmcnt(0)
	v_cndmask_b32_e64 v0, 0, v0, s4
	v_cmp_lt_i32_e64 s4, v52, v49
	buffer_store_dword v0, off, s[0:3], s32 offset:280 ; 4-byte Folded Spill
	buffer_load_dword v0, off, s[0:3], s32 offset:284 ; 4-byte Folded Reload
	s_waitcnt vmcnt(0)
	v_cndmask_b32_e64 v0, 0, v0, s4
	v_cmp_lt_i32_e64 s4, v51, v49
	buffer_store_dword v0, off, s[0:3], s32 offset:284 ; 4-byte Folded Spill
	buffer_load_dword v0, off, s[0:3], s32 offset:272 ; 4-byte Folded Reload
	;; [unrolled: 5-line block ×7, first 2 shown]
	s_waitcnt vmcnt(0)
	v_cndmask_b32_e64 v0, 0, v0, s4
	buffer_store_dword v0, off, s[0:3], s32 offset:260 ; 4-byte Folded Spill
.LBB357_2216:                           ;   in Loop: Header=BB357_2083 Depth=1
	s_or_b32 exec_lo, exec_lo, s18
	flat_load_dwordx2 v[24:25], v[19:20] offset:512
	v_mov_b32_e32 v1, 0
	v_mov_b32_e32 v0, 0
	s_waitcnt vmcnt(0) lgkmcnt(0)
	v_cmp_ne_u16_sdwa s4, v24, v14 src0_sel:BYTE_0 src1_sel:DWORD
	s_and_saveexec_b32 s18, s4
	s_cbranch_execz .LBB357_2224
; %bb.2217:                             ;   in Loop: Header=BB357_2083 Depth=1
	v_cmp_ne_u16_sdwa s4, v24, v115 src0_sel:BYTE_0 src1_sel:DWORD
	v_bfrev_b32_e32 v0, 1
	s_and_saveexec_b32 s19, s4
	s_cbranch_execz .LBB357_2223
; %bb.2218:                             ;   in Loop: Header=BB357_2083 Depth=1
	v_and_b32_e32 v10, 0x7f, v24
	v_mov_b32_e32 v0, 0x7f800001
	s_mov_b32 s20, exec_lo
	v_cmpx_ne_u32_e32 0x7f, v10
	s_cbranch_execz .LBB357_2222
; %bb.2219:                             ;   in Loop: Header=BB357_2083 Depth=1
	v_mov_b32_e32 v27, v25
	v_lshrrev_b32_e32 v0, 3, v10
	v_mov_b32_e32 v26, v24
	s_mov_b32 s21, exec_lo
	v_cmpx_gt_u32_e32 8, v10
; %bb.2220:                             ;   in Loop: Header=BB357_2083 Depth=1
	v_and_b32_e32 v0, 7, v24
	v_ffbh_u32_e32 v0, v0
	v_min_u32_e32 v0, 32, v0
	v_subrev_nc_u32_e32 v10, 28, v0
	v_sub_nc_u32_e32 v0, 29, v0
	v_lshlrev_b64 v[26:27], v10, v[24:25]
; %bb.2221:                             ;   in Loop: Header=BB357_2083 Depth=1
	s_or_b32 exec_lo, exec_lo, s21
	v_lshlrev_b32_e32 v10, 20, v26
	v_lshlrev_b32_e32 v11, 24, v24
	v_lshl_add_u32 v0, v0, 23, 0x3c000000
	v_and_b32_e32 v10, 0x700000, v10
	v_and_b32_e32 v11, 0x80000000, v11
	v_or3_b32 v0, v10, v11, v0
.LBB357_2222:                           ;   in Loop: Header=BB357_2083 Depth=1
	s_or_b32 exec_lo, exec_lo, s20
.LBB357_2223:                           ;   in Loop: Header=BB357_2083 Depth=1
	s_or_b32 exec_lo, exec_lo, s19
.LBB357_2224:                           ;   in Loop: Header=BB357_2083 Depth=1
	s_or_b32 exec_lo, exec_lo, s18
	v_cmp_ne_u16_sdwa s4, v24, v14 src0_sel:BYTE_1 src1_sel:DWORD
	s_and_saveexec_b32 s18, s4
	s_cbranch_execz .LBB357_2232
; %bb.2225:                             ;   in Loop: Header=BB357_2083 Depth=1
	v_cmp_ne_u16_sdwa s4, v24, v115 src0_sel:BYTE_1 src1_sel:DWORD
	v_bfrev_b32_e32 v1, 1
	s_and_saveexec_b32 s19, s4
	s_cbranch_execz .LBB357_2231
; %bb.2226:                             ;   in Loop: Header=BB357_2083 Depth=1
	v_mov_b32_e32 v1, 0xffff
	s_mov_b32 s20, exec_lo
	v_and_b32_sdwa v11, v1, v24 dst_sel:DWORD dst_unused:UNUSED_PAD src0_sel:DWORD src1_sel:BYTE_1
	v_mov_b32_e32 v1, 0x7f800001
	v_and_b32_e32 v10, 0x7f, v11
	v_cmpx_ne_u32_e32 0x7f, v10
	s_cbranch_execz .LBB357_2230
; %bb.2227:                             ;   in Loop: Header=BB357_2083 Depth=1
	v_and_b32_e32 v13, 7, v11
	v_mov_b32_e32 v27, v14
	v_lshrrev_b32_e32 v1, 3, v10
	s_mov_b32 s21, exec_lo
	v_mov_b32_e32 v26, v13
	v_cmpx_gt_u32_e32 8, v10
; %bb.2228:                             ;   in Loop: Header=BB357_2083 Depth=1
	v_ffbh_u32_e32 v1, v13
	v_min_u32_e32 v1, 32, v1
	v_subrev_nc_u32_e32 v10, 28, v1
	v_sub_nc_u32_e32 v1, 29, v1
	v_lshlrev_b64 v[10:11], v10, v[13:14]
	v_and_b32_e32 v26, 7, v10
; %bb.2229:                             ;   in Loop: Header=BB357_2083 Depth=1
	s_or_b32 exec_lo, exec_lo, s21
	v_lshlrev_b32_e32 v10, 16, v24
	v_lshlrev_b32_e32 v11, 20, v26
	v_lshl_add_u32 v1, v1, 23, 0x3c000000
	v_and_b32_e32 v10, 0x80000000, v10
	v_or3_b32 v1, v11, v10, v1
.LBB357_2230:                           ;   in Loop: Header=BB357_2083 Depth=1
	s_or_b32 exec_lo, exec_lo, s20
.LBB357_2231:                           ;   in Loop: Header=BB357_2083 Depth=1
	s_or_b32 exec_lo, exec_lo, s19
.LBB357_2232:                           ;   in Loop: Header=BB357_2083 Depth=1
	s_or_b32 exec_lo, exec_lo, s18
	v_and_b32_sdwa v12, v24, v117 dst_sel:DWORD dst_unused:UNUSED_PAD src0_sel:WORD_1 src1_sel:DWORD
	v_mov_b32_e32 v11, 0
	v_mov_b32_e32 v10, 0
	s_mov_b32 s18, exec_lo
	v_cmpx_ne_u16_e32 0, v12
	s_cbranch_execz .LBB357_2240
; %bb.2233:                             ;   in Loop: Header=BB357_2083 Depth=1
	v_bfrev_b32_e32 v10, 1
	s_mov_b32 s19, exec_lo
	v_cmpx_ne_u16_e32 0x80, v12
	s_cbranch_execz .LBB357_2239
; %bb.2234:                             ;   in Loop: Header=BB357_2083 Depth=1
	v_bfe_u32 v12, v24, 16, 7
	v_mov_b32_e32 v10, 0x7f800001
	s_mov_b32 s20, exec_lo
	v_cmpx_ne_u32_e32 0x7f, v12
	s_cbranch_execz .LBB357_2238
; %bb.2235:                             ;   in Loop: Header=BB357_2083 Depth=1
	v_mov_b32_e32 v10, 7
	s_mov_b32 s21, exec_lo
	v_and_b32_sdwa v13, v24, v10 dst_sel:DWORD dst_unused:UNUSED_PAD src0_sel:WORD_1 src1_sel:DWORD
	v_mov_b32_e32 v27, v14
	v_lshrrev_b32_e32 v10, 3, v12
	v_mov_b32_e32 v26, v13
	v_cmpx_gt_u32_e32 8, v12
; %bb.2236:                             ;   in Loop: Header=BB357_2083 Depth=1
	v_ffbh_u32_e32 v10, v13
	v_min_u32_e32 v10, 32, v10
	v_subrev_nc_u32_e32 v12, 28, v10
	v_sub_nc_u32_e32 v10, 29, v10
	v_lshlrev_b64 v[12:13], v12, v[13:14]
	v_and_b32_e32 v26, 7, v12
; %bb.2237:                             ;   in Loop: Header=BB357_2083 Depth=1
	s_or_b32 exec_lo, exec_lo, s21
	v_mov_b32_e32 v12, 24
	v_lshlrev_b32_e32 v13, 20, v26
	v_lshl_add_u32 v10, v10, 23, 0x3c000000
	v_lshlrev_b32_sdwa v12, v12, v24 dst_sel:DWORD dst_unused:UNUSED_PAD src0_sel:DWORD src1_sel:WORD_1
	v_and_b32_e32 v12, 0x80000000, v12
	v_or3_b32 v10, v13, v12, v10
.LBB357_2238:                           ;   in Loop: Header=BB357_2083 Depth=1
	s_or_b32 exec_lo, exec_lo, s20
.LBB357_2239:                           ;   in Loop: Header=BB357_2083 Depth=1
	s_or_b32 exec_lo, exec_lo, s19
.LBB357_2240:                           ;   in Loop: Header=BB357_2083 Depth=1
	s_or_b32 exec_lo, exec_lo, s18
	s_mov_b32 s18, exec_lo
	v_cmpx_lt_u32_e32 0xffffff, v24
	s_cbranch_execz .LBB357_2248
; %bb.2241:                             ;   in Loop: Header=BB357_2083 Depth=1
	v_cmp_ne_u32_sdwa s4, v24, v115 src0_sel:BYTE_3 src1_sel:DWORD
	v_bfrev_b32_e32 v11, 1
	s_and_saveexec_b32 s19, s4
	s_cbranch_execz .LBB357_2247
; %bb.2242:                             ;   in Loop: Header=BB357_2083 Depth=1
	v_bfe_u32 v12, v24, 24, 7
	v_mov_b32_e32 v11, 0x7f800001
	s_mov_b32 s20, exec_lo
	v_cmpx_ne_u32_e32 0x7f, v12
	s_cbranch_execz .LBB357_2246
; %bb.2243:                             ;   in Loop: Header=BB357_2083 Depth=1
	v_mov_b32_e32 v11, 7
	s_mov_b32 s21, exec_lo
	v_and_b32_sdwa v13, v24, v11 dst_sel:DWORD dst_unused:UNUSED_PAD src0_sel:BYTE_3 src1_sel:DWORD
	v_mov_b32_e32 v27, v14
	v_lshrrev_b32_e32 v11, 3, v12
	v_mov_b32_e32 v26, v13
	v_cmpx_gt_u32_e32 8, v12
; %bb.2244:                             ;   in Loop: Header=BB357_2083 Depth=1
	v_ffbh_u32_e32 v11, v13
	v_min_u32_e32 v11, 32, v11
	v_subrev_nc_u32_e32 v12, 28, v11
	v_sub_nc_u32_e32 v11, 29, v11
	v_lshlrev_b64 v[12:13], v12, v[13:14]
	v_and_b32_e32 v26, 7, v12
; %bb.2245:                             ;   in Loop: Header=BB357_2083 Depth=1
	s_or_b32 exec_lo, exec_lo, s21
	v_mov_b32_e32 v12, 24
	v_lshlrev_b32_e32 v13, 20, v26
	v_lshl_add_u32 v11, v11, 23, 0x3c000000
	v_lshlrev_b32_sdwa v12, v12, v24 dst_sel:DWORD dst_unused:UNUSED_PAD src0_sel:DWORD src1_sel:BYTE_3
	v_and_b32_e32 v12, 0x80000000, v12
	v_or3_b32 v11, v13, v12, v11
.LBB357_2246:                           ;   in Loop: Header=BB357_2083 Depth=1
	s_or_b32 exec_lo, exec_lo, s20
.LBB357_2247:                           ;   in Loop: Header=BB357_2083 Depth=1
	s_or_b32 exec_lo, exec_lo, s19
.LBB357_2248:                           ;   in Loop: Header=BB357_2083 Depth=1
	s_or_b32 exec_lo, exec_lo, s18
	v_mov_b32_e32 v13, v25
	v_cmp_ne_u16_sdwa s4, v25, v14 src0_sel:BYTE_0 src1_sel:DWORD
	v_mov_b32_e32 v21, 0
	v_mov_b32_e32 v12, 0
	s_and_saveexec_b32 s18, s4
	s_cbranch_execz .LBB357_2256
; %bb.2249:                             ;   in Loop: Header=BB357_2083 Depth=1
	v_cmp_ne_u16_sdwa s4, v25, v115 src0_sel:BYTE_0 src1_sel:DWORD
	v_bfrev_b32_e32 v12, 1
	s_and_saveexec_b32 s19, s4
	s_cbranch_execz .LBB357_2255
; %bb.2250:                             ;   in Loop: Header=BB357_2083 Depth=1
	v_and_b32_e32 v22, 0x7f, v25
	v_mov_b32_e32 v12, 0x7f800001
	s_mov_b32 s20, exec_lo
	v_cmpx_ne_u32_e32 0x7f, v22
	s_cbranch_execz .LBB357_2254
; %bb.2251:                             ;   in Loop: Header=BB357_2083 Depth=1
	v_mov_b32_e32 v27, v14
	v_lshrrev_b32_e32 v12, 3, v22
	v_mov_b32_e32 v26, v13
	s_mov_b32 s21, exec_lo
	v_cmpx_gt_u32_e32 8, v22
; %bb.2252:                             ;   in Loop: Header=BB357_2083 Depth=1
	v_and_b32_e32 v12, 7, v25
	v_ffbh_u32_e32 v12, v12
	v_min_u32_e32 v12, 32, v12
	v_subrev_nc_u32_e32 v22, 28, v12
	v_sub_nc_u32_e32 v12, 29, v12
	v_lshlrev_b64 v[26:27], v22, v[13:14]
; %bb.2253:                             ;   in Loop: Header=BB357_2083 Depth=1
	s_or_b32 exec_lo, exec_lo, s21
	v_lshlrev_b32_e32 v22, 20, v26
	v_lshlrev_b32_e32 v26, 24, v13
	v_lshl_add_u32 v12, v12, 23, 0x3c000000
	v_and_b32_e32 v22, 0x700000, v22
	v_and_b32_e32 v26, 0x80000000, v26
	v_or3_b32 v12, v22, v26, v12
.LBB357_2254:                           ;   in Loop: Header=BB357_2083 Depth=1
	s_or_b32 exec_lo, exec_lo, s20
.LBB357_2255:                           ;   in Loop: Header=BB357_2083 Depth=1
	s_or_b32 exec_lo, exec_lo, s19
.LBB357_2256:                           ;   in Loop: Header=BB357_2083 Depth=1
	s_or_b32 exec_lo, exec_lo, s18
	v_cmp_ne_u16_sdwa s4, v13, v14 src0_sel:BYTE_1 src1_sel:DWORD
	s_and_saveexec_b32 s18, s4
	s_cbranch_execz .LBB357_2264
; %bb.2257:                             ;   in Loop: Header=BB357_2083 Depth=1
	v_cmp_ne_u16_sdwa s4, v13, v115 src0_sel:BYTE_1 src1_sel:DWORD
	v_bfrev_b32_e32 v21, 1
	s_and_saveexec_b32 s19, s4
	s_cbranch_execz .LBB357_2263
; %bb.2258:                             ;   in Loop: Header=BB357_2083 Depth=1
	v_mov_b32_e32 v21, 0xffff
	s_mov_b32 s20, exec_lo
	v_and_b32_sdwa v26, v21, v13 dst_sel:DWORD dst_unused:UNUSED_PAD src0_sel:DWORD src1_sel:BYTE_1
	v_mov_b32_e32 v21, 0x7f800001
	v_and_b32_e32 v22, 0x7f, v26
	v_cmpx_ne_u32_e32 0x7f, v22
	s_cbranch_execz .LBB357_2262
; %bb.2259:                             ;   in Loop: Header=BB357_2083 Depth=1
	v_and_b32_e32 v26, 7, v26
	v_mov_b32_e32 v27, v14
	v_lshrrev_b32_e32 v21, 3, v22
	s_mov_b32 s21, exec_lo
	v_cmpx_gt_u32_e32 8, v22
; %bb.2260:                             ;   in Loop: Header=BB357_2083 Depth=1
	v_ffbh_u32_e32 v21, v26
	v_min_u32_e32 v21, 32, v21
	v_subrev_nc_u32_e32 v22, 28, v21
	v_sub_nc_u32_e32 v21, 29, v21
	v_lshlrev_b64 v[26:27], v22, v[26:27]
	v_and_b32_e32 v26, 7, v26
; %bb.2261:                             ;   in Loop: Header=BB357_2083 Depth=1
	s_or_b32 exec_lo, exec_lo, s21
	v_lshlrev_b32_e32 v13, 16, v13
	v_lshlrev_b32_e32 v22, 20, v26
	v_lshl_add_u32 v21, v21, 23, 0x3c000000
	v_and_b32_e32 v13, 0x80000000, v13
	v_or3_b32 v21, v22, v13, v21
.LBB357_2262:                           ;   in Loop: Header=BB357_2083 Depth=1
	s_or_b32 exec_lo, exec_lo, s20
.LBB357_2263:                           ;   in Loop: Header=BB357_2083 Depth=1
	s_or_b32 exec_lo, exec_lo, s19
.LBB357_2264:                           ;   in Loop: Header=BB357_2083 Depth=1
	s_or_b32 exec_lo, exec_lo, s18
	v_and_b32_sdwa v13, v25, v117 dst_sel:DWORD dst_unused:UNUSED_PAD src0_sel:WORD_1 src1_sel:DWORD
	v_mov_b32_e32 v22, 0
	v_mov_b32_e32 v28, 0
	s_mov_b32 s18, exec_lo
	v_cmpx_ne_u16_e32 0, v13
	s_cbranch_execz .LBB357_2272
; %bb.2265:                             ;   in Loop: Header=BB357_2083 Depth=1
	v_bfrev_b32_e32 v28, 1
	s_mov_b32 s19, exec_lo
	v_cmpx_ne_u16_e32 0x80, v13
	s_cbranch_execz .LBB357_2271
; %bb.2266:                             ;   in Loop: Header=BB357_2083 Depth=1
	v_bfe_u32 v26, v25, 16, 7
	v_mov_b32_e32 v28, 0x7f800001
	s_mov_b32 s20, exec_lo
	v_cmpx_ne_u32_e32 0x7f, v26
	s_cbranch_execz .LBB357_2270
; %bb.2267:                             ;   in Loop: Header=BB357_2083 Depth=1
	v_mov_b32_e32 v13, 7
	v_lshrrev_b32_e32 v28, 3, v26
	v_cmp_gt_u32_e64 s4, 8, v26
	v_and_b32_sdwa v13, v25, v13 dst_sel:DWORD dst_unused:UNUSED_PAD src0_sel:WORD_1 src1_sel:DWORD
	v_mov_b32_e32 v27, v14
	v_mov_b32_e32 v26, v13
	s_and_saveexec_b32 s21, s4
; %bb.2268:                             ;   in Loop: Header=BB357_2083 Depth=1
	v_ffbh_u32_e32 v26, v13
	v_min_u32_e32 v28, 32, v26
	v_subrev_nc_u32_e32 v26, 28, v28
	v_sub_nc_u32_e32 v28, 29, v28
	v_lshlrev_b64 v[26:27], v26, v[13:14]
	v_and_b32_e32 v26, 7, v26
; %bb.2269:                             ;   in Loop: Header=BB357_2083 Depth=1
	s_or_b32 exec_lo, exec_lo, s21
	v_mov_b32_e32 v13, 24
	v_lshlrev_b32_e32 v26, 20, v26
	v_lshl_add_u32 v27, v28, 23, 0x3c000000
	v_lshlrev_b32_sdwa v13, v13, v25 dst_sel:DWORD dst_unused:UNUSED_PAD src0_sel:DWORD src1_sel:WORD_1
	v_and_b32_e32 v13, 0x80000000, v13
	v_or3_b32 v28, v26, v13, v27
.LBB357_2270:                           ;   in Loop: Header=BB357_2083 Depth=1
	s_or_b32 exec_lo, exec_lo, s20
.LBB357_2271:                           ;   in Loop: Header=BB357_2083 Depth=1
	s_or_b32 exec_lo, exec_lo, s19
.LBB357_2272:                           ;   in Loop: Header=BB357_2083 Depth=1
	s_or_b32 exec_lo, exec_lo, s18
	s_mov_b32 s18, exec_lo
	v_cmpx_lt_u64_e64 s[6:7], v[24:25]
	s_cbranch_execz .LBB357_2280
; %bb.2273:                             ;   in Loop: Header=BB357_2083 Depth=1
	v_cmp_ne_u32_sdwa s4, v25, v115 src0_sel:BYTE_3 src1_sel:DWORD
	v_bfrev_b32_e32 v22, 1
	s_and_saveexec_b32 s19, s4
	s_cbranch_execz .LBB357_2279
; %bb.2274:                             ;   in Loop: Header=BB357_2083 Depth=1
	v_bfe_u32 v24, v25, 24, 7
	v_mov_b32_e32 v22, 0x7f800001
	s_mov_b32 s20, exec_lo
	v_cmpx_ne_u32_e32 0x7f, v24
	s_cbranch_execz .LBB357_2278
; %bb.2275:                             ;   in Loop: Header=BB357_2083 Depth=1
	v_mov_b32_e32 v13, 7
	v_lshrrev_b32_e32 v22, 3, v24
	s_mov_b32 s21, exec_lo
	v_and_b32_sdwa v13, v25, v13 dst_sel:DWORD dst_unused:UNUSED_PAD src0_sel:BYTE_3 src1_sel:DWORD
	v_mov_b32_e32 v27, v14
	v_mov_b32_e32 v26, v13
	v_cmpx_gt_u32_e32 8, v24
; %bb.2276:                             ;   in Loop: Header=BB357_2083 Depth=1
	v_ffbh_u32_e32 v22, v13
	v_min_u32_e32 v22, 32, v22
	v_subrev_nc_u32_e32 v24, 28, v22
	v_sub_nc_u32_e32 v22, 29, v22
	v_lshlrev_b64 v[26:27], v24, v[13:14]
	v_and_b32_e32 v26, 7, v26
; %bb.2277:                             ;   in Loop: Header=BB357_2083 Depth=1
	s_or_b32 exec_lo, exec_lo, s21
	v_mov_b32_e32 v13, 24
	v_lshlrev_b32_e32 v24, 20, v26
	v_lshl_add_u32 v22, v22, 23, 0x3c000000
	v_lshlrev_b32_sdwa v13, v13, v25 dst_sel:DWORD dst_unused:UNUSED_PAD src0_sel:DWORD src1_sel:BYTE_3
	v_and_b32_e32 v13, 0x80000000, v13
	v_or3_b32 v22, v24, v13, v22
.LBB357_2278:                           ;   in Loop: Header=BB357_2083 Depth=1
	s_or_b32 exec_lo, exec_lo, s20
.LBB357_2279:                           ;   in Loop: Header=BB357_2083 Depth=1
	s_or_b32 exec_lo, exec_lo, s19
.LBB357_2280:                           ;   in Loop: Header=BB357_2083 Depth=1
	s_or_b32 exec_lo, exec_lo, s18
	v_mul_f32_e32 v13, v23, v21
	v_mul_f32_e32 v12, v23, v12
	;; [unrolled: 1-line block ×5, first 2 shown]
	v_bfe_u32 v21, v13, 16, 1
	v_or_b32_e32 v24, 0x400000, v13
	v_bfe_u32 v25, v12, 16, 1
	v_cmp_u_f32_e64 s4, v13, v13
	v_or_b32_e32 v26, 0x400000, v12
	v_add3_u32 v21, v21, v13, 0x7fff
	v_bfe_u32 v27, v11, 16, 1
	v_add3_u32 v25, v25, v12, 0x7fff
	v_or_b32_e32 v29, 0x400000, v11
	v_bfe_u32 v30, v10, 16, 1
	v_cndmask_b32_e64 v13, v21, v24, s4
	v_cmp_u_f32_e64 s4, v12, v12
	v_add3_u32 v27, v27, v11, 0x7fff
	v_or_b32_e32 v21, 0x400000, v10
	v_mul_f32_e32 v0, v23, v0
	v_lshrrev_b32_e32 v13, 16, v13
	v_cndmask_b32_e64 v12, v25, v26, s4
	v_cmp_u_f32_e64 s4, v11, v11
	buffer_store_dword v13, off, s[0:3], s32 offset:300 ; 4-byte Folded Spill
	v_add3_u32 v13, v30, v10, 0x7fff
	v_cndmask_b32_e64 v11, v27, v29, s4
	v_lshrrev_b32_e32 v12, 16, v12
	v_cmp_u_f32_e64 s4, v10, v10
	v_lshrrev_b32_e32 v11, 16, v11
	buffer_store_dword v12, off, s[0:3], s32 offset:296 ; 4-byte Folded Spill
	v_cndmask_b32_e64 v10, v13, v21, s4
	v_mul_f32_e32 v12, v23, v28
	v_or_b32_e32 v13, 0x400000, v1
	buffer_store_dword v11, off, s[0:3], s32 offset:308 ; 4-byte Folded Spill
	v_bfe_u32 v11, v1, 16, 1
	v_mul_f32_e32 v21, v23, v22
	v_bfe_u32 v22, v0, 16, 1
	v_cmp_u_f32_e64 s4, v1, v1
	v_bfe_u32 v24, v12, 16, 1
	v_add3_u32 v11, v11, v1, 0x7fff
	v_or_b32_e32 v25, 0x400000, v12
	v_or_b32_e32 v26, 0x400000, v21
	v_lshrrev_b32_e32 v10, 16, v10
	v_add3_u32 v24, v24, v12, 0x7fff
	v_cndmask_b32_e64 v1, v11, v13, s4
	v_add3_u32 v13, v22, v0, 0x7fff
	v_or_b32_e32 v22, 0x400000, v0
	v_cmp_u_f32_e64 s4, v0, v0
	v_bfe_u32 v11, v21, 16, 1
	v_lshrrev_b32_e32 v1, 16, v1
	buffer_store_dword v10, off, s[0:3], s32 offset:304 ; 4-byte Folded Spill
	v_cndmask_b32_e64 v0, v13, v22, s4
	v_cmp_u_f32_e64 s4, v12, v12
	v_add3_u32 v11, v11, v21, 0x7fff
	buffer_store_dword v1, off, s[0:3], s32 offset:316 ; 4-byte Folded Spill
	v_lshrrev_b32_e32 v0, 16, v0
	v_cndmask_b32_e64 v12, v24, v25, s4
	v_cmp_u_f32_e64 s4, v21, v21
	buffer_store_dword v0, off, s[0:3], s32 offset:312 ; 4-byte Folded Spill
	v_lshrrev_b32_e32 v0, 16, v12
	v_cndmask_b32_e64 v11, v11, v26, s4
	buffer_store_dword v0, off, s[0:3], s32 offset:288 ; 4-byte Folded Spill
	v_lshrrev_b32_e32 v0, 16, v11
	buffer_store_dword v0, off, s[0:3], s32 offset:292 ; 4-byte Folded Spill
	s_and_saveexec_b32 s18, vcc_lo
	s_cbranch_execz .LBB357_2282
; %bb.2281:                             ;   in Loop: Header=BB357_2083 Depth=1
	buffer_load_dword v0, off, s[0:3], s32 offset:312 ; 4-byte Folded Reload
	v_cmp_lt_i32_e64 s4, v102, v49
	s_waitcnt vmcnt(0)
	v_cndmask_b32_e64 v0, 0, v0, s4
	v_cmp_lt_i32_e64 s4, v52, v49
	buffer_store_dword v0, off, s[0:3], s32 offset:312 ; 4-byte Folded Spill
	buffer_load_dword v0, off, s[0:3], s32 offset:316 ; 4-byte Folded Reload
	s_waitcnt vmcnt(0)
	v_cndmask_b32_e64 v0, 0, v0, s4
	v_cmp_lt_i32_e64 s4, v51, v49
	buffer_store_dword v0, off, s[0:3], s32 offset:316 ; 4-byte Folded Spill
	buffer_load_dword v0, off, s[0:3], s32 offset:304 ; 4-byte Folded Reload
	;; [unrolled: 5-line block ×7, first 2 shown]
	s_waitcnt vmcnt(0)
	v_cndmask_b32_e64 v0, 0, v0, s4
	buffer_store_dword v0, off, s[0:3], s32 offset:292 ; 4-byte Folded Spill
.LBB357_2282:                           ;   in Loop: Header=BB357_2083 Depth=1
	s_or_b32 exec_lo, exec_lo, s18
	flat_load_dwordx2 v[24:25], v[19:20] offset:768
	v_mov_b32_e32 v1, 0
	v_mov_b32_e32 v0, 0
	s_waitcnt vmcnt(0) lgkmcnt(0)
	v_cmp_ne_u16_sdwa s4, v24, v14 src0_sel:BYTE_0 src1_sel:DWORD
	s_and_saveexec_b32 s18, s4
	s_cbranch_execz .LBB357_2290
; %bb.2283:                             ;   in Loop: Header=BB357_2083 Depth=1
	v_cmp_ne_u16_sdwa s4, v24, v115 src0_sel:BYTE_0 src1_sel:DWORD
	v_bfrev_b32_e32 v0, 1
	s_and_saveexec_b32 s19, s4
	s_cbranch_execz .LBB357_2289
; %bb.2284:                             ;   in Loop: Header=BB357_2083 Depth=1
	v_and_b32_e32 v10, 0x7f, v24
	v_mov_b32_e32 v0, 0x7f800001
	s_mov_b32 s20, exec_lo
	v_cmpx_ne_u32_e32 0x7f, v10
	s_cbranch_execz .LBB357_2288
; %bb.2285:                             ;   in Loop: Header=BB357_2083 Depth=1
	v_mov_b32_e32 v27, v25
	v_lshrrev_b32_e32 v0, 3, v10
	v_mov_b32_e32 v26, v24
	s_mov_b32 s21, exec_lo
	v_cmpx_gt_u32_e32 8, v10
; %bb.2286:                             ;   in Loop: Header=BB357_2083 Depth=1
	v_and_b32_e32 v0, 7, v24
	v_ffbh_u32_e32 v0, v0
	v_min_u32_e32 v0, 32, v0
	v_subrev_nc_u32_e32 v10, 28, v0
	v_sub_nc_u32_e32 v0, 29, v0
	v_lshlrev_b64 v[26:27], v10, v[24:25]
; %bb.2287:                             ;   in Loop: Header=BB357_2083 Depth=1
	s_or_b32 exec_lo, exec_lo, s21
	v_lshlrev_b32_e32 v10, 20, v26
	v_lshlrev_b32_e32 v11, 24, v24
	v_lshl_add_u32 v0, v0, 23, 0x3c000000
	v_and_b32_e32 v10, 0x700000, v10
	v_and_b32_e32 v11, 0x80000000, v11
	v_or3_b32 v0, v10, v11, v0
.LBB357_2288:                           ;   in Loop: Header=BB357_2083 Depth=1
	s_or_b32 exec_lo, exec_lo, s20
.LBB357_2289:                           ;   in Loop: Header=BB357_2083 Depth=1
	s_or_b32 exec_lo, exec_lo, s19
.LBB357_2290:                           ;   in Loop: Header=BB357_2083 Depth=1
	s_or_b32 exec_lo, exec_lo, s18
	v_cmp_ne_u16_sdwa s4, v24, v14 src0_sel:BYTE_1 src1_sel:DWORD
	s_and_saveexec_b32 s18, s4
	s_cbranch_execz .LBB357_2298
; %bb.2291:                             ;   in Loop: Header=BB357_2083 Depth=1
	v_cmp_ne_u16_sdwa s4, v24, v115 src0_sel:BYTE_1 src1_sel:DWORD
	v_bfrev_b32_e32 v1, 1
	s_and_saveexec_b32 s19, s4
	s_cbranch_execz .LBB357_2297
; %bb.2292:                             ;   in Loop: Header=BB357_2083 Depth=1
	v_mov_b32_e32 v1, 0xffff
	s_mov_b32 s20, exec_lo
	v_and_b32_sdwa v11, v1, v24 dst_sel:DWORD dst_unused:UNUSED_PAD src0_sel:DWORD src1_sel:BYTE_1
	v_mov_b32_e32 v1, 0x7f800001
	v_and_b32_e32 v10, 0x7f, v11
	v_cmpx_ne_u32_e32 0x7f, v10
	s_cbranch_execz .LBB357_2296
; %bb.2293:                             ;   in Loop: Header=BB357_2083 Depth=1
	v_and_b32_e32 v13, 7, v11
	v_mov_b32_e32 v27, v14
	v_lshrrev_b32_e32 v1, 3, v10
	s_mov_b32 s21, exec_lo
	v_mov_b32_e32 v26, v13
	v_cmpx_gt_u32_e32 8, v10
; %bb.2294:                             ;   in Loop: Header=BB357_2083 Depth=1
	v_ffbh_u32_e32 v1, v13
	v_min_u32_e32 v1, 32, v1
	v_subrev_nc_u32_e32 v10, 28, v1
	v_sub_nc_u32_e32 v1, 29, v1
	v_lshlrev_b64 v[10:11], v10, v[13:14]
	v_and_b32_e32 v26, 7, v10
; %bb.2295:                             ;   in Loop: Header=BB357_2083 Depth=1
	s_or_b32 exec_lo, exec_lo, s21
	v_lshlrev_b32_e32 v10, 16, v24
	v_lshlrev_b32_e32 v11, 20, v26
	v_lshl_add_u32 v1, v1, 23, 0x3c000000
	v_and_b32_e32 v10, 0x80000000, v10
	v_or3_b32 v1, v11, v10, v1
.LBB357_2296:                           ;   in Loop: Header=BB357_2083 Depth=1
	s_or_b32 exec_lo, exec_lo, s20
.LBB357_2297:                           ;   in Loop: Header=BB357_2083 Depth=1
	s_or_b32 exec_lo, exec_lo, s19
.LBB357_2298:                           ;   in Loop: Header=BB357_2083 Depth=1
	s_or_b32 exec_lo, exec_lo, s18
	v_and_b32_sdwa v12, v24, v117 dst_sel:DWORD dst_unused:UNUSED_PAD src0_sel:WORD_1 src1_sel:DWORD
	v_mov_b32_e32 v11, 0
	v_mov_b32_e32 v10, 0
	s_mov_b32 s18, exec_lo
	v_cmpx_ne_u16_e32 0, v12
	s_cbranch_execz .LBB357_2306
; %bb.2299:                             ;   in Loop: Header=BB357_2083 Depth=1
	v_bfrev_b32_e32 v10, 1
	s_mov_b32 s19, exec_lo
	v_cmpx_ne_u16_e32 0x80, v12
	s_cbranch_execz .LBB357_2305
; %bb.2300:                             ;   in Loop: Header=BB357_2083 Depth=1
	v_bfe_u32 v12, v24, 16, 7
	v_mov_b32_e32 v10, 0x7f800001
	s_mov_b32 s20, exec_lo
	v_cmpx_ne_u32_e32 0x7f, v12
	s_cbranch_execz .LBB357_2304
; %bb.2301:                             ;   in Loop: Header=BB357_2083 Depth=1
	v_mov_b32_e32 v10, 7
	s_mov_b32 s21, exec_lo
	v_and_b32_sdwa v13, v24, v10 dst_sel:DWORD dst_unused:UNUSED_PAD src0_sel:WORD_1 src1_sel:DWORD
	v_mov_b32_e32 v27, v14
	v_lshrrev_b32_e32 v10, 3, v12
	v_mov_b32_e32 v26, v13
	v_cmpx_gt_u32_e32 8, v12
; %bb.2302:                             ;   in Loop: Header=BB357_2083 Depth=1
	v_ffbh_u32_e32 v10, v13
	v_min_u32_e32 v10, 32, v10
	v_subrev_nc_u32_e32 v12, 28, v10
	v_sub_nc_u32_e32 v10, 29, v10
	v_lshlrev_b64 v[12:13], v12, v[13:14]
	v_and_b32_e32 v26, 7, v12
; %bb.2303:                             ;   in Loop: Header=BB357_2083 Depth=1
	s_or_b32 exec_lo, exec_lo, s21
	v_mov_b32_e32 v12, 24
	v_lshlrev_b32_e32 v13, 20, v26
	v_lshl_add_u32 v10, v10, 23, 0x3c000000
	v_lshlrev_b32_sdwa v12, v12, v24 dst_sel:DWORD dst_unused:UNUSED_PAD src0_sel:DWORD src1_sel:WORD_1
	v_and_b32_e32 v12, 0x80000000, v12
	v_or3_b32 v10, v13, v12, v10
.LBB357_2304:                           ;   in Loop: Header=BB357_2083 Depth=1
	s_or_b32 exec_lo, exec_lo, s20
.LBB357_2305:                           ;   in Loop: Header=BB357_2083 Depth=1
	s_or_b32 exec_lo, exec_lo, s19
.LBB357_2306:                           ;   in Loop: Header=BB357_2083 Depth=1
	s_or_b32 exec_lo, exec_lo, s18
	s_mov_b32 s18, exec_lo
	v_cmpx_lt_u32_e32 0xffffff, v24
	s_cbranch_execz .LBB357_2314
; %bb.2307:                             ;   in Loop: Header=BB357_2083 Depth=1
	v_cmp_ne_u32_sdwa s4, v24, v115 src0_sel:BYTE_3 src1_sel:DWORD
	v_bfrev_b32_e32 v11, 1
	s_and_saveexec_b32 s19, s4
	s_cbranch_execz .LBB357_2313
; %bb.2308:                             ;   in Loop: Header=BB357_2083 Depth=1
	v_bfe_u32 v12, v24, 24, 7
	v_mov_b32_e32 v11, 0x7f800001
	s_mov_b32 s20, exec_lo
	v_cmpx_ne_u32_e32 0x7f, v12
	s_cbranch_execz .LBB357_2312
; %bb.2309:                             ;   in Loop: Header=BB357_2083 Depth=1
	v_mov_b32_e32 v11, 7
	s_mov_b32 s21, exec_lo
	v_and_b32_sdwa v13, v24, v11 dst_sel:DWORD dst_unused:UNUSED_PAD src0_sel:BYTE_3 src1_sel:DWORD
	v_mov_b32_e32 v27, v14
	v_lshrrev_b32_e32 v11, 3, v12
	v_mov_b32_e32 v26, v13
	v_cmpx_gt_u32_e32 8, v12
; %bb.2310:                             ;   in Loop: Header=BB357_2083 Depth=1
	v_ffbh_u32_e32 v11, v13
	v_min_u32_e32 v11, 32, v11
	v_subrev_nc_u32_e32 v12, 28, v11
	v_sub_nc_u32_e32 v11, 29, v11
	v_lshlrev_b64 v[12:13], v12, v[13:14]
	v_and_b32_e32 v26, 7, v12
; %bb.2311:                             ;   in Loop: Header=BB357_2083 Depth=1
	s_or_b32 exec_lo, exec_lo, s21
	v_mov_b32_e32 v12, 24
	v_lshlrev_b32_e32 v13, 20, v26
	v_lshl_add_u32 v11, v11, 23, 0x3c000000
	v_lshlrev_b32_sdwa v12, v12, v24 dst_sel:DWORD dst_unused:UNUSED_PAD src0_sel:DWORD src1_sel:BYTE_3
	v_and_b32_e32 v12, 0x80000000, v12
	v_or3_b32 v11, v13, v12, v11
.LBB357_2312:                           ;   in Loop: Header=BB357_2083 Depth=1
	s_or_b32 exec_lo, exec_lo, s20
.LBB357_2313:                           ;   in Loop: Header=BB357_2083 Depth=1
	s_or_b32 exec_lo, exec_lo, s19
.LBB357_2314:                           ;   in Loop: Header=BB357_2083 Depth=1
	s_or_b32 exec_lo, exec_lo, s18
	v_mov_b32_e32 v13, v25
	v_cmp_ne_u16_sdwa s4, v25, v14 src0_sel:BYTE_0 src1_sel:DWORD
	v_mov_b32_e32 v21, 0
	v_mov_b32_e32 v12, 0
	s_and_saveexec_b32 s18, s4
	s_cbranch_execz .LBB357_2322
; %bb.2315:                             ;   in Loop: Header=BB357_2083 Depth=1
	v_cmp_ne_u16_sdwa s4, v25, v115 src0_sel:BYTE_0 src1_sel:DWORD
	v_bfrev_b32_e32 v12, 1
	s_and_saveexec_b32 s19, s4
	s_cbranch_execz .LBB357_2321
; %bb.2316:                             ;   in Loop: Header=BB357_2083 Depth=1
	v_and_b32_e32 v22, 0x7f, v25
	v_mov_b32_e32 v12, 0x7f800001
	s_mov_b32 s20, exec_lo
	v_cmpx_ne_u32_e32 0x7f, v22
	s_cbranch_execz .LBB357_2320
; %bb.2317:                             ;   in Loop: Header=BB357_2083 Depth=1
	v_mov_b32_e32 v27, v14
	v_lshrrev_b32_e32 v12, 3, v22
	v_mov_b32_e32 v26, v13
	s_mov_b32 s21, exec_lo
	v_cmpx_gt_u32_e32 8, v22
; %bb.2318:                             ;   in Loop: Header=BB357_2083 Depth=1
	v_and_b32_e32 v12, 7, v25
	v_ffbh_u32_e32 v12, v12
	v_min_u32_e32 v12, 32, v12
	v_subrev_nc_u32_e32 v22, 28, v12
	v_sub_nc_u32_e32 v12, 29, v12
	v_lshlrev_b64 v[26:27], v22, v[13:14]
; %bb.2319:                             ;   in Loop: Header=BB357_2083 Depth=1
	s_or_b32 exec_lo, exec_lo, s21
	v_lshlrev_b32_e32 v22, 20, v26
	v_lshlrev_b32_e32 v26, 24, v13
	v_lshl_add_u32 v12, v12, 23, 0x3c000000
	v_and_b32_e32 v22, 0x700000, v22
	v_and_b32_e32 v26, 0x80000000, v26
	v_or3_b32 v12, v22, v26, v12
.LBB357_2320:                           ;   in Loop: Header=BB357_2083 Depth=1
	s_or_b32 exec_lo, exec_lo, s20
.LBB357_2321:                           ;   in Loop: Header=BB357_2083 Depth=1
	s_or_b32 exec_lo, exec_lo, s19
.LBB357_2322:                           ;   in Loop: Header=BB357_2083 Depth=1
	s_or_b32 exec_lo, exec_lo, s18
	v_cmp_ne_u16_sdwa s4, v13, v14 src0_sel:BYTE_1 src1_sel:DWORD
	s_and_saveexec_b32 s18, s4
	s_cbranch_execz .LBB357_2330
; %bb.2323:                             ;   in Loop: Header=BB357_2083 Depth=1
	v_cmp_ne_u16_sdwa s4, v13, v115 src0_sel:BYTE_1 src1_sel:DWORD
	v_bfrev_b32_e32 v21, 1
	s_and_saveexec_b32 s19, s4
	s_cbranch_execz .LBB357_2329
; %bb.2324:                             ;   in Loop: Header=BB357_2083 Depth=1
	v_mov_b32_e32 v21, 0xffff
	s_mov_b32 s20, exec_lo
	v_and_b32_sdwa v26, v21, v13 dst_sel:DWORD dst_unused:UNUSED_PAD src0_sel:DWORD src1_sel:BYTE_1
	v_mov_b32_e32 v21, 0x7f800001
	v_and_b32_e32 v22, 0x7f, v26
	v_cmpx_ne_u32_e32 0x7f, v22
	s_cbranch_execz .LBB357_2328
; %bb.2325:                             ;   in Loop: Header=BB357_2083 Depth=1
	v_and_b32_e32 v26, 7, v26
	v_mov_b32_e32 v27, v14
	v_lshrrev_b32_e32 v21, 3, v22
	s_mov_b32 s21, exec_lo
	v_cmpx_gt_u32_e32 8, v22
; %bb.2326:                             ;   in Loop: Header=BB357_2083 Depth=1
	v_ffbh_u32_e32 v21, v26
	v_min_u32_e32 v21, 32, v21
	v_subrev_nc_u32_e32 v22, 28, v21
	v_sub_nc_u32_e32 v21, 29, v21
	v_lshlrev_b64 v[26:27], v22, v[26:27]
	v_and_b32_e32 v26, 7, v26
; %bb.2327:                             ;   in Loop: Header=BB357_2083 Depth=1
	s_or_b32 exec_lo, exec_lo, s21
	v_lshlrev_b32_e32 v13, 16, v13
	v_lshlrev_b32_e32 v22, 20, v26
	v_lshl_add_u32 v21, v21, 23, 0x3c000000
	v_and_b32_e32 v13, 0x80000000, v13
	v_or3_b32 v21, v22, v13, v21
.LBB357_2328:                           ;   in Loop: Header=BB357_2083 Depth=1
	s_or_b32 exec_lo, exec_lo, s20
.LBB357_2329:                           ;   in Loop: Header=BB357_2083 Depth=1
	s_or_b32 exec_lo, exec_lo, s19
.LBB357_2330:                           ;   in Loop: Header=BB357_2083 Depth=1
	s_or_b32 exec_lo, exec_lo, s18
	v_and_b32_sdwa v13, v25, v117 dst_sel:DWORD dst_unused:UNUSED_PAD src0_sel:WORD_1 src1_sel:DWORD
	v_mov_b32_e32 v22, 0
	v_mov_b32_e32 v28, 0
	s_mov_b32 s18, exec_lo
	v_cmpx_ne_u16_e32 0, v13
	s_cbranch_execz .LBB357_2338
; %bb.2331:                             ;   in Loop: Header=BB357_2083 Depth=1
	v_bfrev_b32_e32 v28, 1
	s_mov_b32 s19, exec_lo
	v_cmpx_ne_u16_e32 0x80, v13
	s_cbranch_execz .LBB357_2337
; %bb.2332:                             ;   in Loop: Header=BB357_2083 Depth=1
	v_bfe_u32 v26, v25, 16, 7
	v_mov_b32_e32 v28, 0x7f800001
	s_mov_b32 s20, exec_lo
	v_cmpx_ne_u32_e32 0x7f, v26
	s_cbranch_execz .LBB357_2336
; %bb.2333:                             ;   in Loop: Header=BB357_2083 Depth=1
	v_mov_b32_e32 v13, 7
	v_lshrrev_b32_e32 v28, 3, v26
	v_cmp_gt_u32_e64 s4, 8, v26
	v_and_b32_sdwa v13, v25, v13 dst_sel:DWORD dst_unused:UNUSED_PAD src0_sel:WORD_1 src1_sel:DWORD
	v_mov_b32_e32 v27, v14
	v_mov_b32_e32 v26, v13
	s_and_saveexec_b32 s21, s4
; %bb.2334:                             ;   in Loop: Header=BB357_2083 Depth=1
	v_ffbh_u32_e32 v26, v13
	v_min_u32_e32 v28, 32, v26
	v_subrev_nc_u32_e32 v26, 28, v28
	v_sub_nc_u32_e32 v28, 29, v28
	v_lshlrev_b64 v[26:27], v26, v[13:14]
	v_and_b32_e32 v26, 7, v26
; %bb.2335:                             ;   in Loop: Header=BB357_2083 Depth=1
	s_or_b32 exec_lo, exec_lo, s21
	v_mov_b32_e32 v13, 24
	v_lshlrev_b32_e32 v26, 20, v26
	v_lshl_add_u32 v27, v28, 23, 0x3c000000
	v_lshlrev_b32_sdwa v13, v13, v25 dst_sel:DWORD dst_unused:UNUSED_PAD src0_sel:DWORD src1_sel:WORD_1
	v_and_b32_e32 v13, 0x80000000, v13
	v_or3_b32 v28, v26, v13, v27
.LBB357_2336:                           ;   in Loop: Header=BB357_2083 Depth=1
	s_or_b32 exec_lo, exec_lo, s20
.LBB357_2337:                           ;   in Loop: Header=BB357_2083 Depth=1
	s_or_b32 exec_lo, exec_lo, s19
.LBB357_2338:                           ;   in Loop: Header=BB357_2083 Depth=1
	s_or_b32 exec_lo, exec_lo, s18
	s_mov_b32 s18, exec_lo
	v_cmpx_lt_u64_e64 s[6:7], v[24:25]
	s_cbranch_execz .LBB357_2346
; %bb.2339:                             ;   in Loop: Header=BB357_2083 Depth=1
	v_cmp_ne_u32_sdwa s4, v25, v115 src0_sel:BYTE_3 src1_sel:DWORD
	v_bfrev_b32_e32 v22, 1
	s_and_saveexec_b32 s19, s4
	s_cbranch_execz .LBB357_2345
; %bb.2340:                             ;   in Loop: Header=BB357_2083 Depth=1
	v_bfe_u32 v24, v25, 24, 7
	v_mov_b32_e32 v22, 0x7f800001
	s_mov_b32 s20, exec_lo
	v_cmpx_ne_u32_e32 0x7f, v24
	s_cbranch_execz .LBB357_2344
; %bb.2341:                             ;   in Loop: Header=BB357_2083 Depth=1
	v_mov_b32_e32 v13, 7
	v_lshrrev_b32_e32 v22, 3, v24
	s_mov_b32 s21, exec_lo
	v_and_b32_sdwa v13, v25, v13 dst_sel:DWORD dst_unused:UNUSED_PAD src0_sel:BYTE_3 src1_sel:DWORD
	v_mov_b32_e32 v27, v14
	v_mov_b32_e32 v26, v13
	v_cmpx_gt_u32_e32 8, v24
; %bb.2342:                             ;   in Loop: Header=BB357_2083 Depth=1
	v_ffbh_u32_e32 v22, v13
	v_min_u32_e32 v22, 32, v22
	v_subrev_nc_u32_e32 v24, 28, v22
	v_sub_nc_u32_e32 v22, 29, v22
	v_lshlrev_b64 v[26:27], v24, v[13:14]
	v_and_b32_e32 v26, 7, v26
; %bb.2343:                             ;   in Loop: Header=BB357_2083 Depth=1
	s_or_b32 exec_lo, exec_lo, s21
	v_mov_b32_e32 v13, 24
	v_lshlrev_b32_e32 v24, 20, v26
	v_lshl_add_u32 v22, v22, 23, 0x3c000000
	v_lshlrev_b32_sdwa v13, v13, v25 dst_sel:DWORD dst_unused:UNUSED_PAD src0_sel:DWORD src1_sel:BYTE_3
	v_and_b32_e32 v13, 0x80000000, v13
	v_or3_b32 v22, v24, v13, v22
.LBB357_2344:                           ;   in Loop: Header=BB357_2083 Depth=1
	s_or_b32 exec_lo, exec_lo, s20
.LBB357_2345:                           ;   in Loop: Header=BB357_2083 Depth=1
	s_or_b32 exec_lo, exec_lo, s19
.LBB357_2346:                           ;   in Loop: Header=BB357_2083 Depth=1
	s_or_b32 exec_lo, exec_lo, s18
	v_mul_f32_e32 v13, v23, v21
	v_mul_f32_e32 v12, v23, v12
	;; [unrolled: 1-line block ×5, first 2 shown]
	v_bfe_u32 v21, v13, 16, 1
	v_or_b32_e32 v24, 0x400000, v13
	v_bfe_u32 v25, v12, 16, 1
	v_cmp_u_f32_e64 s4, v13, v13
	v_or_b32_e32 v26, 0x400000, v12
	v_add3_u32 v21, v21, v13, 0x7fff
	v_bfe_u32 v27, v11, 16, 1
	v_add3_u32 v25, v25, v12, 0x7fff
	v_or_b32_e32 v29, 0x400000, v11
	v_bfe_u32 v30, v10, 16, 1
	v_cndmask_b32_e64 v13, v21, v24, s4
	v_cmp_u_f32_e64 s4, v12, v12
	v_add3_u32 v27, v27, v11, 0x7fff
	v_or_b32_e32 v21, 0x400000, v10
	v_mul_f32_e32 v0, v23, v0
	v_lshrrev_b32_e32 v13, 16, v13
	v_cndmask_b32_e64 v12, v25, v26, s4
	v_cmp_u_f32_e64 s4, v11, v11
	buffer_store_dword v13, off, s[0:3], s32 offset:332 ; 4-byte Folded Spill
	v_add3_u32 v13, v30, v10, 0x7fff
	v_cndmask_b32_e64 v11, v27, v29, s4
	v_lshrrev_b32_e32 v12, 16, v12
	v_cmp_u_f32_e64 s4, v10, v10
	v_lshrrev_b32_e32 v11, 16, v11
	buffer_store_dword v12, off, s[0:3], s32 offset:328 ; 4-byte Folded Spill
	v_cndmask_b32_e64 v10, v13, v21, s4
	v_mul_f32_e32 v12, v23, v28
	v_or_b32_e32 v13, 0x400000, v1
	buffer_store_dword v11, off, s[0:3], s32 offset:340 ; 4-byte Folded Spill
	v_bfe_u32 v11, v1, 16, 1
	v_mul_f32_e32 v21, v23, v22
	v_bfe_u32 v22, v0, 16, 1
	v_cmp_u_f32_e64 s4, v1, v1
	v_bfe_u32 v24, v12, 16, 1
	v_add3_u32 v11, v11, v1, 0x7fff
	v_or_b32_e32 v25, 0x400000, v12
	v_or_b32_e32 v26, 0x400000, v21
	v_lshrrev_b32_e32 v10, 16, v10
	v_add3_u32 v24, v24, v12, 0x7fff
	v_cndmask_b32_e64 v1, v11, v13, s4
	v_add3_u32 v13, v22, v0, 0x7fff
	v_or_b32_e32 v22, 0x400000, v0
	v_cmp_u_f32_e64 s4, v0, v0
	v_bfe_u32 v11, v21, 16, 1
	v_lshrrev_b32_e32 v1, 16, v1
	buffer_store_dword v10, off, s[0:3], s32 offset:336 ; 4-byte Folded Spill
	v_cndmask_b32_e64 v0, v13, v22, s4
	v_cmp_u_f32_e64 s4, v12, v12
	v_add3_u32 v11, v11, v21, 0x7fff
	buffer_store_dword v1, off, s[0:3], s32 offset:348 ; 4-byte Folded Spill
	v_lshrrev_b32_e32 v0, 16, v0
	v_cndmask_b32_e64 v12, v24, v25, s4
	v_cmp_u_f32_e64 s4, v21, v21
	buffer_store_dword v0, off, s[0:3], s32 offset:344 ; 4-byte Folded Spill
	v_lshrrev_b32_e32 v0, 16, v12
	v_cndmask_b32_e64 v11, v11, v26, s4
	buffer_store_dword v0, off, s[0:3], s32 offset:320 ; 4-byte Folded Spill
	v_lshrrev_b32_e32 v0, 16, v11
	buffer_store_dword v0, off, s[0:3], s32 offset:324 ; 4-byte Folded Spill
	s_and_saveexec_b32 s18, vcc_lo
	s_cbranch_execz .LBB357_2348
; %bb.2347:                             ;   in Loop: Header=BB357_2083 Depth=1
	buffer_load_dword v0, off, s[0:3], s32 offset:344 ; 4-byte Folded Reload
	v_cmp_lt_i32_e64 s4, v102, v49
	s_waitcnt vmcnt(0)
	v_cndmask_b32_e64 v0, 0, v0, s4
	v_cmp_lt_i32_e64 s4, v52, v49
	buffer_store_dword v0, off, s[0:3], s32 offset:344 ; 4-byte Folded Spill
	buffer_load_dword v0, off, s[0:3], s32 offset:348 ; 4-byte Folded Reload
	s_waitcnt vmcnt(0)
	v_cndmask_b32_e64 v0, 0, v0, s4
	v_cmp_lt_i32_e64 s4, v51, v49
	buffer_store_dword v0, off, s[0:3], s32 offset:348 ; 4-byte Folded Spill
	buffer_load_dword v0, off, s[0:3], s32 offset:336 ; 4-byte Folded Reload
	;; [unrolled: 5-line block ×7, first 2 shown]
	s_waitcnt vmcnt(0)
	v_cndmask_b32_e64 v0, 0, v0, s4
	buffer_store_dword v0, off, s[0:3], s32 offset:324 ; 4-byte Folded Spill
.LBB357_2348:                           ;   in Loop: Header=BB357_2083 Depth=1
	s_or_b32 exec_lo, exec_lo, s18
	flat_load_dwordx2 v[24:25], v[19:20] offset:1024
	v_mov_b32_e32 v1, 0
	v_mov_b32_e32 v0, 0
	s_waitcnt vmcnt(0) lgkmcnt(0)
	v_cmp_ne_u16_sdwa s4, v24, v14 src0_sel:BYTE_0 src1_sel:DWORD
	s_and_saveexec_b32 s18, s4
	s_cbranch_execz .LBB357_2356
; %bb.2349:                             ;   in Loop: Header=BB357_2083 Depth=1
	v_cmp_ne_u16_sdwa s4, v24, v115 src0_sel:BYTE_0 src1_sel:DWORD
	v_bfrev_b32_e32 v0, 1
	s_and_saveexec_b32 s19, s4
	s_cbranch_execz .LBB357_2355
; %bb.2350:                             ;   in Loop: Header=BB357_2083 Depth=1
	v_and_b32_e32 v10, 0x7f, v24
	v_mov_b32_e32 v0, 0x7f800001
	s_mov_b32 s20, exec_lo
	v_cmpx_ne_u32_e32 0x7f, v10
	s_cbranch_execz .LBB357_2354
; %bb.2351:                             ;   in Loop: Header=BB357_2083 Depth=1
	v_mov_b32_e32 v27, v25
	v_lshrrev_b32_e32 v0, 3, v10
	v_mov_b32_e32 v26, v24
	s_mov_b32 s21, exec_lo
	v_cmpx_gt_u32_e32 8, v10
; %bb.2352:                             ;   in Loop: Header=BB357_2083 Depth=1
	v_and_b32_e32 v0, 7, v24
	v_ffbh_u32_e32 v0, v0
	v_min_u32_e32 v0, 32, v0
	v_subrev_nc_u32_e32 v10, 28, v0
	v_sub_nc_u32_e32 v0, 29, v0
	v_lshlrev_b64 v[26:27], v10, v[24:25]
; %bb.2353:                             ;   in Loop: Header=BB357_2083 Depth=1
	s_or_b32 exec_lo, exec_lo, s21
	v_lshlrev_b32_e32 v10, 20, v26
	v_lshlrev_b32_e32 v11, 24, v24
	v_lshl_add_u32 v0, v0, 23, 0x3c000000
	v_and_b32_e32 v10, 0x700000, v10
	v_and_b32_e32 v11, 0x80000000, v11
	v_or3_b32 v0, v10, v11, v0
.LBB357_2354:                           ;   in Loop: Header=BB357_2083 Depth=1
	s_or_b32 exec_lo, exec_lo, s20
.LBB357_2355:                           ;   in Loop: Header=BB357_2083 Depth=1
	s_or_b32 exec_lo, exec_lo, s19
.LBB357_2356:                           ;   in Loop: Header=BB357_2083 Depth=1
	s_or_b32 exec_lo, exec_lo, s18
	v_cmp_ne_u16_sdwa s4, v24, v14 src0_sel:BYTE_1 src1_sel:DWORD
	s_and_saveexec_b32 s18, s4
	s_cbranch_execz .LBB357_2364
; %bb.2357:                             ;   in Loop: Header=BB357_2083 Depth=1
	v_cmp_ne_u16_sdwa s4, v24, v115 src0_sel:BYTE_1 src1_sel:DWORD
	v_bfrev_b32_e32 v1, 1
	s_and_saveexec_b32 s19, s4
	s_cbranch_execz .LBB357_2363
; %bb.2358:                             ;   in Loop: Header=BB357_2083 Depth=1
	v_mov_b32_e32 v1, 0xffff
	s_mov_b32 s20, exec_lo
	v_and_b32_sdwa v11, v1, v24 dst_sel:DWORD dst_unused:UNUSED_PAD src0_sel:DWORD src1_sel:BYTE_1
	v_mov_b32_e32 v1, 0x7f800001
	v_and_b32_e32 v10, 0x7f, v11
	v_cmpx_ne_u32_e32 0x7f, v10
	s_cbranch_execz .LBB357_2362
; %bb.2359:                             ;   in Loop: Header=BB357_2083 Depth=1
	v_and_b32_e32 v13, 7, v11
	v_mov_b32_e32 v27, v14
	v_lshrrev_b32_e32 v1, 3, v10
	s_mov_b32 s21, exec_lo
	v_mov_b32_e32 v26, v13
	v_cmpx_gt_u32_e32 8, v10
; %bb.2360:                             ;   in Loop: Header=BB357_2083 Depth=1
	v_ffbh_u32_e32 v1, v13
	v_min_u32_e32 v1, 32, v1
	v_subrev_nc_u32_e32 v10, 28, v1
	v_sub_nc_u32_e32 v1, 29, v1
	v_lshlrev_b64 v[10:11], v10, v[13:14]
	v_and_b32_e32 v26, 7, v10
; %bb.2361:                             ;   in Loop: Header=BB357_2083 Depth=1
	s_or_b32 exec_lo, exec_lo, s21
	v_lshlrev_b32_e32 v10, 16, v24
	v_lshlrev_b32_e32 v11, 20, v26
	v_lshl_add_u32 v1, v1, 23, 0x3c000000
	v_and_b32_e32 v10, 0x80000000, v10
	v_or3_b32 v1, v11, v10, v1
.LBB357_2362:                           ;   in Loop: Header=BB357_2083 Depth=1
	s_or_b32 exec_lo, exec_lo, s20
.LBB357_2363:                           ;   in Loop: Header=BB357_2083 Depth=1
	s_or_b32 exec_lo, exec_lo, s19
.LBB357_2364:                           ;   in Loop: Header=BB357_2083 Depth=1
	s_or_b32 exec_lo, exec_lo, s18
	v_and_b32_sdwa v12, v24, v117 dst_sel:DWORD dst_unused:UNUSED_PAD src0_sel:WORD_1 src1_sel:DWORD
	v_mov_b32_e32 v11, 0
	v_mov_b32_e32 v10, 0
	s_mov_b32 s18, exec_lo
	v_cmpx_ne_u16_e32 0, v12
	s_cbranch_execz .LBB357_2372
; %bb.2365:                             ;   in Loop: Header=BB357_2083 Depth=1
	v_bfrev_b32_e32 v10, 1
	s_mov_b32 s19, exec_lo
	v_cmpx_ne_u16_e32 0x80, v12
	s_cbranch_execz .LBB357_2371
; %bb.2366:                             ;   in Loop: Header=BB357_2083 Depth=1
	v_bfe_u32 v12, v24, 16, 7
	v_mov_b32_e32 v10, 0x7f800001
	s_mov_b32 s20, exec_lo
	v_cmpx_ne_u32_e32 0x7f, v12
	s_cbranch_execz .LBB357_2370
; %bb.2367:                             ;   in Loop: Header=BB357_2083 Depth=1
	v_mov_b32_e32 v10, 7
	s_mov_b32 s21, exec_lo
	v_and_b32_sdwa v13, v24, v10 dst_sel:DWORD dst_unused:UNUSED_PAD src0_sel:WORD_1 src1_sel:DWORD
	v_mov_b32_e32 v27, v14
	v_lshrrev_b32_e32 v10, 3, v12
	v_mov_b32_e32 v26, v13
	v_cmpx_gt_u32_e32 8, v12
; %bb.2368:                             ;   in Loop: Header=BB357_2083 Depth=1
	v_ffbh_u32_e32 v10, v13
	v_min_u32_e32 v10, 32, v10
	v_subrev_nc_u32_e32 v12, 28, v10
	v_sub_nc_u32_e32 v10, 29, v10
	v_lshlrev_b64 v[12:13], v12, v[13:14]
	v_and_b32_e32 v26, 7, v12
; %bb.2369:                             ;   in Loop: Header=BB357_2083 Depth=1
	s_or_b32 exec_lo, exec_lo, s21
	v_mov_b32_e32 v12, 24
	v_lshlrev_b32_e32 v13, 20, v26
	v_lshl_add_u32 v10, v10, 23, 0x3c000000
	v_lshlrev_b32_sdwa v12, v12, v24 dst_sel:DWORD dst_unused:UNUSED_PAD src0_sel:DWORD src1_sel:WORD_1
	v_and_b32_e32 v12, 0x80000000, v12
	v_or3_b32 v10, v13, v12, v10
.LBB357_2370:                           ;   in Loop: Header=BB357_2083 Depth=1
	s_or_b32 exec_lo, exec_lo, s20
.LBB357_2371:                           ;   in Loop: Header=BB357_2083 Depth=1
	s_or_b32 exec_lo, exec_lo, s19
.LBB357_2372:                           ;   in Loop: Header=BB357_2083 Depth=1
	s_or_b32 exec_lo, exec_lo, s18
	s_mov_b32 s18, exec_lo
	v_cmpx_lt_u32_e32 0xffffff, v24
	s_cbranch_execz .LBB357_2380
; %bb.2373:                             ;   in Loop: Header=BB357_2083 Depth=1
	v_cmp_ne_u32_sdwa s4, v24, v115 src0_sel:BYTE_3 src1_sel:DWORD
	v_bfrev_b32_e32 v11, 1
	s_and_saveexec_b32 s19, s4
	s_cbranch_execz .LBB357_2379
; %bb.2374:                             ;   in Loop: Header=BB357_2083 Depth=1
	v_bfe_u32 v12, v24, 24, 7
	v_mov_b32_e32 v11, 0x7f800001
	s_mov_b32 s20, exec_lo
	v_cmpx_ne_u32_e32 0x7f, v12
	s_cbranch_execz .LBB357_2378
; %bb.2375:                             ;   in Loop: Header=BB357_2083 Depth=1
	v_mov_b32_e32 v11, 7
	s_mov_b32 s21, exec_lo
	v_and_b32_sdwa v13, v24, v11 dst_sel:DWORD dst_unused:UNUSED_PAD src0_sel:BYTE_3 src1_sel:DWORD
	v_mov_b32_e32 v27, v14
	v_lshrrev_b32_e32 v11, 3, v12
	v_mov_b32_e32 v26, v13
	v_cmpx_gt_u32_e32 8, v12
; %bb.2376:                             ;   in Loop: Header=BB357_2083 Depth=1
	v_ffbh_u32_e32 v11, v13
	v_min_u32_e32 v11, 32, v11
	v_subrev_nc_u32_e32 v12, 28, v11
	v_sub_nc_u32_e32 v11, 29, v11
	v_lshlrev_b64 v[12:13], v12, v[13:14]
	v_and_b32_e32 v26, 7, v12
; %bb.2377:                             ;   in Loop: Header=BB357_2083 Depth=1
	s_or_b32 exec_lo, exec_lo, s21
	v_mov_b32_e32 v12, 24
	v_lshlrev_b32_e32 v13, 20, v26
	v_lshl_add_u32 v11, v11, 23, 0x3c000000
	v_lshlrev_b32_sdwa v12, v12, v24 dst_sel:DWORD dst_unused:UNUSED_PAD src0_sel:DWORD src1_sel:BYTE_3
	v_and_b32_e32 v12, 0x80000000, v12
	v_or3_b32 v11, v13, v12, v11
.LBB357_2378:                           ;   in Loop: Header=BB357_2083 Depth=1
	s_or_b32 exec_lo, exec_lo, s20
.LBB357_2379:                           ;   in Loop: Header=BB357_2083 Depth=1
	s_or_b32 exec_lo, exec_lo, s19
.LBB357_2380:                           ;   in Loop: Header=BB357_2083 Depth=1
	s_or_b32 exec_lo, exec_lo, s18
	v_mov_b32_e32 v13, v25
	v_cmp_ne_u16_sdwa s4, v25, v14 src0_sel:BYTE_0 src1_sel:DWORD
	v_mov_b32_e32 v28, 0
	v_mov_b32_e32 v22, 0
	s_and_saveexec_b32 s18, s4
	s_cbranch_execz .LBB357_2388
; %bb.2381:                             ;   in Loop: Header=BB357_2083 Depth=1
	v_cmp_ne_u16_sdwa s4, v25, v115 src0_sel:BYTE_0 src1_sel:DWORD
	v_bfrev_b32_e32 v22, 1
	s_and_saveexec_b32 s19, s4
	s_cbranch_execz .LBB357_2387
; %bb.2382:                             ;   in Loop: Header=BB357_2083 Depth=1
	v_and_b32_e32 v21, 0x7f, v25
	v_mov_b32_e32 v22, 0x7f800001
	s_mov_b32 s20, exec_lo
	v_cmpx_ne_u32_e32 0x7f, v21
	s_cbranch_execz .LBB357_2386
; %bb.2383:                             ;   in Loop: Header=BB357_2083 Depth=1
	v_mov_b32_e32 v27, v14
	v_lshrrev_b32_e32 v12, 3, v21
	v_mov_b32_e32 v26, v13
	s_mov_b32 s21, exec_lo
	v_cmpx_gt_u32_e32 8, v21
; %bb.2384:                             ;   in Loop: Header=BB357_2083 Depth=1
	v_and_b32_e32 v12, 7, v25
	v_ffbh_u32_e32 v12, v12
	v_min_u32_e32 v12, 32, v12
	v_subrev_nc_u32_e32 v21, 28, v12
	v_sub_nc_u32_e32 v12, 29, v12
	v_lshlrev_b64 v[26:27], v21, v[13:14]
; %bb.2385:                             ;   in Loop: Header=BB357_2083 Depth=1
	s_or_b32 exec_lo, exec_lo, s21
	v_lshlrev_b32_e32 v21, 20, v26
	v_lshlrev_b32_e32 v22, 24, v13
	v_lshl_add_u32 v12, v12, 23, 0x3c000000
	v_and_b32_e32 v21, 0x700000, v21
	v_and_b32_e32 v22, 0x80000000, v22
	v_or3_b32 v22, v21, v22, v12
.LBB357_2386:                           ;   in Loop: Header=BB357_2083 Depth=1
	s_or_b32 exec_lo, exec_lo, s20
.LBB357_2387:                           ;   in Loop: Header=BB357_2083 Depth=1
	s_or_b32 exec_lo, exec_lo, s19
.LBB357_2388:                           ;   in Loop: Header=BB357_2083 Depth=1
	s_or_b32 exec_lo, exec_lo, s18
	v_cmp_ne_u16_sdwa s4, v13, v14 src0_sel:BYTE_1 src1_sel:DWORD
	s_and_saveexec_b32 s18, s4
	s_cbranch_execz .LBB357_2396
; %bb.2389:                             ;   in Loop: Header=BB357_2083 Depth=1
	v_cmp_ne_u16_sdwa s4, v13, v115 src0_sel:BYTE_1 src1_sel:DWORD
	v_bfrev_b32_e32 v28, 1
	s_and_saveexec_b32 s19, s4
	s_cbranch_execz .LBB357_2395
; %bb.2390:                             ;   in Loop: Header=BB357_2083 Depth=1
	v_mov_b32_e32 v12, 0xffff
	v_mov_b32_e32 v28, 0x7f800001
	s_mov_b32 s20, exec_lo
	v_and_b32_sdwa v12, v12, v13 dst_sel:DWORD dst_unused:UNUSED_PAD src0_sel:DWORD src1_sel:BYTE_1
	v_and_b32_e32 v21, 0x7f, v12
	v_cmpx_ne_u32_e32 0x7f, v21
	s_cbranch_execz .LBB357_2394
; %bb.2391:                             ;   in Loop: Header=BB357_2083 Depth=1
	v_and_b32_e32 v26, 7, v12
	v_mov_b32_e32 v27, v14
	v_lshrrev_b32_e32 v12, 3, v21
	s_mov_b32 s21, exec_lo
	v_cmpx_gt_u32_e32 8, v21
; %bb.2392:                             ;   in Loop: Header=BB357_2083 Depth=1
	v_ffbh_u32_e32 v12, v26
	v_min_u32_e32 v12, 32, v12
	v_subrev_nc_u32_e32 v21, 28, v12
	v_sub_nc_u32_e32 v12, 29, v12
	v_lshlrev_b64 v[26:27], v21, v[26:27]
	v_and_b32_e32 v26, 7, v26
; %bb.2393:                             ;   in Loop: Header=BB357_2083 Depth=1
	s_or_b32 exec_lo, exec_lo, s21
	v_lshlrev_b32_e32 v13, 16, v13
	v_lshlrev_b32_e32 v21, 20, v26
	v_lshl_add_u32 v12, v12, 23, 0x3c000000
	v_and_b32_e32 v13, 0x80000000, v13
	v_or3_b32 v28, v21, v13, v12
.LBB357_2394:                           ;   in Loop: Header=BB357_2083 Depth=1
	s_or_b32 exec_lo, exec_lo, s20
.LBB357_2395:                           ;   in Loop: Header=BB357_2083 Depth=1
	s_or_b32 exec_lo, exec_lo, s19
.LBB357_2396:                           ;   in Loop: Header=BB357_2083 Depth=1
	s_or_b32 exec_lo, exec_lo, s18
	v_and_b32_sdwa v13, v25, v117 dst_sel:DWORD dst_unused:UNUSED_PAD src0_sel:WORD_1 src1_sel:DWORD
	v_mov_b32_e32 v12, 0
	v_mov_b32_e32 v21, 0
	s_mov_b32 s18, exec_lo
	v_cmpx_ne_u16_e32 0, v13
	s_cbranch_execz .LBB357_2404
; %bb.2397:                             ;   in Loop: Header=BB357_2083 Depth=1
	v_bfrev_b32_e32 v21, 1
	s_mov_b32 s19, exec_lo
	v_cmpx_ne_u16_e32 0x80, v13
	s_cbranch_execz .LBB357_2403
; %bb.2398:                             ;   in Loop: Header=BB357_2083 Depth=1
	v_bfe_u32 v26, v25, 16, 7
	v_mov_b32_e32 v21, 0x7f800001
	s_mov_b32 s20, exec_lo
	v_cmpx_ne_u32_e32 0x7f, v26
	s_cbranch_execz .LBB357_2402
; %bb.2399:                             ;   in Loop: Header=BB357_2083 Depth=1
	v_mov_b32_e32 v13, 7
	v_lshrrev_b32_e32 v21, 3, v26
	v_cmp_gt_u32_e64 s4, 8, v26
	v_and_b32_sdwa v13, v25, v13 dst_sel:DWORD dst_unused:UNUSED_PAD src0_sel:WORD_1 src1_sel:DWORD
	v_mov_b32_e32 v27, v14
	v_mov_b32_e32 v26, v13
	s_and_saveexec_b32 s21, s4
; %bb.2400:                             ;   in Loop: Header=BB357_2083 Depth=1
	v_ffbh_u32_e32 v21, v13
	v_min_u32_e32 v21, 32, v21
	v_subrev_nc_u32_e32 v26, 28, v21
	v_sub_nc_u32_e32 v21, 29, v21
	v_lshlrev_b64 v[26:27], v26, v[13:14]
	v_and_b32_e32 v26, 7, v26
; %bb.2401:                             ;   in Loop: Header=BB357_2083 Depth=1
	s_or_b32 exec_lo, exec_lo, s21
	v_mov_b32_e32 v13, 24
	v_lshlrev_b32_e32 v26, 20, v26
	v_lshl_add_u32 v21, v21, 23, 0x3c000000
	v_lshlrev_b32_sdwa v13, v13, v25 dst_sel:DWORD dst_unused:UNUSED_PAD src0_sel:DWORD src1_sel:WORD_1
	v_and_b32_e32 v13, 0x80000000, v13
	v_or3_b32 v21, v26, v13, v21
.LBB357_2402:                           ;   in Loop: Header=BB357_2083 Depth=1
	s_or_b32 exec_lo, exec_lo, s20
.LBB357_2403:                           ;   in Loop: Header=BB357_2083 Depth=1
	s_or_b32 exec_lo, exec_lo, s19
.LBB357_2404:                           ;   in Loop: Header=BB357_2083 Depth=1
	s_or_b32 exec_lo, exec_lo, s18
	s_mov_b32 s18, exec_lo
	v_cmpx_lt_u64_e64 s[6:7], v[24:25]
	s_cbranch_execz .LBB357_2412
; %bb.2405:                             ;   in Loop: Header=BB357_2083 Depth=1
	v_cmp_ne_u32_sdwa s4, v25, v115 src0_sel:BYTE_3 src1_sel:DWORD
	v_bfrev_b32_e32 v12, 1
	s_and_saveexec_b32 s19, s4
	s_cbranch_execz .LBB357_2411
; %bb.2406:                             ;   in Loop: Header=BB357_2083 Depth=1
	v_bfe_u32 v24, v25, 24, 7
	v_mov_b32_e32 v12, 0x7f800001
	s_mov_b32 s20, exec_lo
	v_cmpx_ne_u32_e32 0x7f, v24
	s_cbranch_execz .LBB357_2410
; %bb.2407:                             ;   in Loop: Header=BB357_2083 Depth=1
	v_mov_b32_e32 v12, 7
	s_mov_b32 s21, exec_lo
	v_and_b32_sdwa v13, v25, v12 dst_sel:DWORD dst_unused:UNUSED_PAD src0_sel:BYTE_3 src1_sel:DWORD
	v_mov_b32_e32 v27, v14
	v_lshrrev_b32_e32 v12, 3, v24
	v_mov_b32_e32 v26, v13
	v_cmpx_gt_u32_e32 8, v24
; %bb.2408:                             ;   in Loop: Header=BB357_2083 Depth=1
	v_ffbh_u32_e32 v12, v13
	v_min_u32_e32 v12, 32, v12
	v_subrev_nc_u32_e32 v24, 28, v12
	v_sub_nc_u32_e32 v12, 29, v12
	v_lshlrev_b64 v[26:27], v24, v[13:14]
	v_and_b32_e32 v26, 7, v26
; %bb.2409:                             ;   in Loop: Header=BB357_2083 Depth=1
	s_or_b32 exec_lo, exec_lo, s21
	v_mov_b32_e32 v13, 24
	v_lshlrev_b32_e32 v24, 20, v26
	v_lshl_add_u32 v12, v12, 23, 0x3c000000
	v_lshlrev_b32_sdwa v13, v13, v25 dst_sel:DWORD dst_unused:UNUSED_PAD src0_sel:DWORD src1_sel:BYTE_3
	v_and_b32_e32 v13, 0x80000000, v13
	v_or3_b32 v12, v24, v13, v12
.LBB357_2410:                           ;   in Loop: Header=BB357_2083 Depth=1
	s_or_b32 exec_lo, exec_lo, s20
.LBB357_2411:                           ;   in Loop: Header=BB357_2083 Depth=1
	s_or_b32 exec_lo, exec_lo, s19
.LBB357_2412:                           ;   in Loop: Header=BB357_2083 Depth=1
	s_or_b32 exec_lo, exec_lo, s18
	v_mul_f32_e32 v13, v23, v28
	v_mul_f32_e32 v11, v23, v11
	v_mul_f32_e32 v10, v23, v10
	v_mul_f32_e32 v1, v23, v1
	v_mul_f32_e32 v0, v23, v0
	v_bfe_u32 v24, v13, 16, 1
	v_or_b32_e32 v25, 0x400000, v13
	v_cmp_u_f32_e64 s4, v13, v13
	v_add3_u32 v24, v24, v13, 0x7fff
	v_cndmask_b32_e64 v13, v24, v25, s4
	v_lshrrev_b32_e32 v13, 16, v13
	buffer_store_dword v13, off, s[0:3], s32 offset:356 ; 4-byte Folded Spill
	v_mul_f32_e32 v13, v23, v22
	v_bfe_u32 v22, v13, 16, 1
	v_or_b32_e32 v24, 0x400000, v13
	v_cmp_u_f32_e64 s4, v13, v13
	v_add3_u32 v22, v22, v13, 0x7fff
	v_cndmask_b32_e64 v13, v22, v24, s4
	v_or_b32_e32 v22, 0x400000, v11
	v_cmp_u_f32_e64 s4, v11, v11
	v_lshrrev_b32_e32 v13, 16, v13
	buffer_store_dword v13, off, s[0:3], s32 offset:352 ; 4-byte Folded Spill
	v_bfe_u32 v13, v11, 16, 1
	v_add3_u32 v13, v13, v11, 0x7fff
	v_cndmask_b32_e64 v11, v13, v22, s4
	v_or_b32_e32 v13, 0x400000, v10
	v_cmp_u_f32_e64 s4, v10, v10
	v_lshrrev_b32_e32 v11, 16, v11
	buffer_store_dword v11, off, s[0:3], s32 offset:364 ; 4-byte Folded Spill
	v_bfe_u32 v11, v10, 16, 1
	;; [unrolled: 7-line block ×4, first 2 shown]
	v_add3_u32 v1, v1, v0, 0x7fff
	v_cndmask_b32_e64 v0, v1, v10, s4
	v_lshrrev_b32_e32 v0, 16, v0
	buffer_store_dword v0, off, s[0:3], s32 offset:376 ; 4-byte Folded Spill
	v_mul_f32_e32 v0, v23, v21
	v_bfe_u32 v1, v0, 16, 1
	v_or_b32_e32 v10, 0x400000, v0
	v_cmp_u_f32_e64 s4, v0, v0
	v_add3_u32 v1, v1, v0, 0x7fff
	v_cndmask_b32_e64 v0, v1, v10, s4
	v_lshrrev_b32_e32 v0, 16, v0
	buffer_store_dword v0, off, s[0:3], s32 offset:360 ; 4-byte Folded Spill
	v_mul_f32_e32 v0, v23, v12
	v_bfe_u32 v1, v0, 16, 1
	v_or_b32_e32 v10, 0x400000, v0
	v_cmp_u_f32_e64 s4, v0, v0
	v_add3_u32 v1, v1, v0, 0x7fff
	v_cndmask_b32_e64 v0, v1, v10, s4
	v_lshrrev_b32_e32 v0, 16, v0
	buffer_store_dword v0, off, s[0:3], s32 offset:372 ; 4-byte Folded Spill
	s_and_saveexec_b32 s18, vcc_lo
	s_cbranch_execz .LBB357_2414
; %bb.2413:                             ;   in Loop: Header=BB357_2083 Depth=1
	buffer_load_dword v0, off, s[0:3], s32 offset:376 ; 4-byte Folded Reload
	v_cmp_lt_i32_e64 s4, v102, v49
	s_waitcnt vmcnt(0)
	v_cndmask_b32_e64 v0, 0, v0, s4
	v_cmp_lt_i32_e64 s4, v52, v49
	buffer_store_dword v0, off, s[0:3], s32 offset:376 ; 4-byte Folded Spill
	buffer_load_dword v0, off, s[0:3], s32 offset:380 ; 4-byte Folded Reload
	s_waitcnt vmcnt(0)
	v_cndmask_b32_e64 v0, 0, v0, s4
	v_cmp_lt_i32_e64 s4, v51, v49
	buffer_store_dword v0, off, s[0:3], s32 offset:380 ; 4-byte Folded Spill
	buffer_load_dword v0, off, s[0:3], s32 offset:368 ; 4-byte Folded Reload
	;; [unrolled: 5-line block ×7, first 2 shown]
	s_waitcnt vmcnt(0)
	v_cndmask_b32_e64 v0, 0, v0, s4
	buffer_store_dword v0, off, s[0:3], s32 offset:372 ; 4-byte Folded Spill
.LBB357_2414:                           ;   in Loop: Header=BB357_2083 Depth=1
	s_or_b32 exec_lo, exec_lo, s18
	flat_load_dwordx2 v[24:25], v[19:20] offset:1280
	v_mov_b32_e32 v1, 0
	v_mov_b32_e32 v0, 0
	s_waitcnt vmcnt(0) lgkmcnt(0)
	v_cmp_ne_u16_sdwa s4, v24, v14 src0_sel:BYTE_0 src1_sel:DWORD
	s_and_saveexec_b32 s18, s4
	s_cbranch_execz .LBB357_2422
; %bb.2415:                             ;   in Loop: Header=BB357_2083 Depth=1
	v_cmp_ne_u16_sdwa s4, v24, v115 src0_sel:BYTE_0 src1_sel:DWORD
	v_bfrev_b32_e32 v0, 1
	s_and_saveexec_b32 s19, s4
	s_cbranch_execz .LBB357_2421
; %bb.2416:                             ;   in Loop: Header=BB357_2083 Depth=1
	v_and_b32_e32 v10, 0x7f, v24
	v_mov_b32_e32 v0, 0x7f800001
	s_mov_b32 s20, exec_lo
	v_cmpx_ne_u32_e32 0x7f, v10
	s_cbranch_execz .LBB357_2420
; %bb.2417:                             ;   in Loop: Header=BB357_2083 Depth=1
	v_mov_b32_e32 v27, v25
	v_lshrrev_b32_e32 v0, 3, v10
	v_mov_b32_e32 v26, v24
	s_mov_b32 s21, exec_lo
	v_cmpx_gt_u32_e32 8, v10
; %bb.2418:                             ;   in Loop: Header=BB357_2083 Depth=1
	v_and_b32_e32 v0, 7, v24
	v_ffbh_u32_e32 v0, v0
	v_min_u32_e32 v0, 32, v0
	v_subrev_nc_u32_e32 v10, 28, v0
	v_sub_nc_u32_e32 v0, 29, v0
	v_lshlrev_b64 v[26:27], v10, v[24:25]
; %bb.2419:                             ;   in Loop: Header=BB357_2083 Depth=1
	s_or_b32 exec_lo, exec_lo, s21
	v_lshlrev_b32_e32 v10, 20, v26
	v_lshlrev_b32_e32 v11, 24, v24
	v_lshl_add_u32 v0, v0, 23, 0x3c000000
	v_and_b32_e32 v10, 0x700000, v10
	v_and_b32_e32 v11, 0x80000000, v11
	v_or3_b32 v0, v10, v11, v0
.LBB357_2420:                           ;   in Loop: Header=BB357_2083 Depth=1
	s_or_b32 exec_lo, exec_lo, s20
.LBB357_2421:                           ;   in Loop: Header=BB357_2083 Depth=1
	s_or_b32 exec_lo, exec_lo, s19
.LBB357_2422:                           ;   in Loop: Header=BB357_2083 Depth=1
	s_or_b32 exec_lo, exec_lo, s18
	v_cmp_ne_u16_sdwa s4, v24, v14 src0_sel:BYTE_1 src1_sel:DWORD
	s_and_saveexec_b32 s18, s4
	s_cbranch_execz .LBB357_2430
; %bb.2423:                             ;   in Loop: Header=BB357_2083 Depth=1
	v_cmp_ne_u16_sdwa s4, v24, v115 src0_sel:BYTE_1 src1_sel:DWORD
	v_bfrev_b32_e32 v1, 1
	s_and_saveexec_b32 s19, s4
	s_cbranch_execz .LBB357_2429
; %bb.2424:                             ;   in Loop: Header=BB357_2083 Depth=1
	v_mov_b32_e32 v1, 0xffff
	s_mov_b32 s20, exec_lo
	v_and_b32_sdwa v11, v1, v24 dst_sel:DWORD dst_unused:UNUSED_PAD src0_sel:DWORD src1_sel:BYTE_1
	v_mov_b32_e32 v1, 0x7f800001
	v_and_b32_e32 v10, 0x7f, v11
	v_cmpx_ne_u32_e32 0x7f, v10
	s_cbranch_execz .LBB357_2428
; %bb.2425:                             ;   in Loop: Header=BB357_2083 Depth=1
	v_and_b32_e32 v13, 7, v11
	v_mov_b32_e32 v27, v14
	v_lshrrev_b32_e32 v1, 3, v10
	s_mov_b32 s21, exec_lo
	v_mov_b32_e32 v26, v13
	v_cmpx_gt_u32_e32 8, v10
; %bb.2426:                             ;   in Loop: Header=BB357_2083 Depth=1
	v_ffbh_u32_e32 v1, v13
	v_min_u32_e32 v1, 32, v1
	v_subrev_nc_u32_e32 v10, 28, v1
	v_sub_nc_u32_e32 v1, 29, v1
	v_lshlrev_b64 v[10:11], v10, v[13:14]
	v_and_b32_e32 v26, 7, v10
; %bb.2427:                             ;   in Loop: Header=BB357_2083 Depth=1
	s_or_b32 exec_lo, exec_lo, s21
	v_lshlrev_b32_e32 v10, 16, v24
	v_lshlrev_b32_e32 v11, 20, v26
	v_lshl_add_u32 v1, v1, 23, 0x3c000000
	v_and_b32_e32 v10, 0x80000000, v10
	v_or3_b32 v1, v11, v10, v1
.LBB357_2428:                           ;   in Loop: Header=BB357_2083 Depth=1
	s_or_b32 exec_lo, exec_lo, s20
.LBB357_2429:                           ;   in Loop: Header=BB357_2083 Depth=1
	s_or_b32 exec_lo, exec_lo, s19
.LBB357_2430:                           ;   in Loop: Header=BB357_2083 Depth=1
	s_or_b32 exec_lo, exec_lo, s18
	v_and_b32_sdwa v12, v24, v117 dst_sel:DWORD dst_unused:UNUSED_PAD src0_sel:WORD_1 src1_sel:DWORD
	v_mov_b32_e32 v11, 0
	v_mov_b32_e32 v10, 0
	s_mov_b32 s18, exec_lo
	v_cmpx_ne_u16_e32 0, v12
	s_cbranch_execz .LBB357_2438
; %bb.2431:                             ;   in Loop: Header=BB357_2083 Depth=1
	v_bfrev_b32_e32 v10, 1
	s_mov_b32 s19, exec_lo
	v_cmpx_ne_u16_e32 0x80, v12
	s_cbranch_execz .LBB357_2437
; %bb.2432:                             ;   in Loop: Header=BB357_2083 Depth=1
	v_bfe_u32 v12, v24, 16, 7
	v_mov_b32_e32 v10, 0x7f800001
	s_mov_b32 s20, exec_lo
	v_cmpx_ne_u32_e32 0x7f, v12
	s_cbranch_execz .LBB357_2436
; %bb.2433:                             ;   in Loop: Header=BB357_2083 Depth=1
	v_mov_b32_e32 v10, 7
	s_mov_b32 s21, exec_lo
	v_and_b32_sdwa v13, v24, v10 dst_sel:DWORD dst_unused:UNUSED_PAD src0_sel:WORD_1 src1_sel:DWORD
	v_mov_b32_e32 v27, v14
	v_lshrrev_b32_e32 v10, 3, v12
	v_mov_b32_e32 v26, v13
	v_cmpx_gt_u32_e32 8, v12
; %bb.2434:                             ;   in Loop: Header=BB357_2083 Depth=1
	v_ffbh_u32_e32 v10, v13
	v_min_u32_e32 v10, 32, v10
	v_subrev_nc_u32_e32 v12, 28, v10
	v_sub_nc_u32_e32 v10, 29, v10
	v_lshlrev_b64 v[12:13], v12, v[13:14]
	v_and_b32_e32 v26, 7, v12
; %bb.2435:                             ;   in Loop: Header=BB357_2083 Depth=1
	s_or_b32 exec_lo, exec_lo, s21
	v_mov_b32_e32 v12, 24
	v_lshlrev_b32_e32 v13, 20, v26
	v_lshl_add_u32 v10, v10, 23, 0x3c000000
	v_lshlrev_b32_sdwa v12, v12, v24 dst_sel:DWORD dst_unused:UNUSED_PAD src0_sel:DWORD src1_sel:WORD_1
	v_and_b32_e32 v12, 0x80000000, v12
	v_or3_b32 v10, v13, v12, v10
.LBB357_2436:                           ;   in Loop: Header=BB357_2083 Depth=1
	s_or_b32 exec_lo, exec_lo, s20
.LBB357_2437:                           ;   in Loop: Header=BB357_2083 Depth=1
	s_or_b32 exec_lo, exec_lo, s19
.LBB357_2438:                           ;   in Loop: Header=BB357_2083 Depth=1
	s_or_b32 exec_lo, exec_lo, s18
	s_mov_b32 s18, exec_lo
	v_cmpx_lt_u32_e32 0xffffff, v24
	s_cbranch_execz .LBB357_2446
; %bb.2439:                             ;   in Loop: Header=BB357_2083 Depth=1
	v_cmp_ne_u32_sdwa s4, v24, v115 src0_sel:BYTE_3 src1_sel:DWORD
	v_bfrev_b32_e32 v11, 1
	s_and_saveexec_b32 s19, s4
	s_cbranch_execz .LBB357_2445
; %bb.2440:                             ;   in Loop: Header=BB357_2083 Depth=1
	v_bfe_u32 v12, v24, 24, 7
	v_mov_b32_e32 v11, 0x7f800001
	s_mov_b32 s20, exec_lo
	v_cmpx_ne_u32_e32 0x7f, v12
	s_cbranch_execz .LBB357_2444
; %bb.2441:                             ;   in Loop: Header=BB357_2083 Depth=1
	v_mov_b32_e32 v11, 7
	s_mov_b32 s21, exec_lo
	v_and_b32_sdwa v13, v24, v11 dst_sel:DWORD dst_unused:UNUSED_PAD src0_sel:BYTE_3 src1_sel:DWORD
	v_mov_b32_e32 v27, v14
	v_lshrrev_b32_e32 v11, 3, v12
	v_mov_b32_e32 v26, v13
	v_cmpx_gt_u32_e32 8, v12
; %bb.2442:                             ;   in Loop: Header=BB357_2083 Depth=1
	v_ffbh_u32_e32 v11, v13
	v_min_u32_e32 v11, 32, v11
	v_subrev_nc_u32_e32 v12, 28, v11
	v_sub_nc_u32_e32 v11, 29, v11
	v_lshlrev_b64 v[12:13], v12, v[13:14]
	v_and_b32_e32 v26, 7, v12
; %bb.2443:                             ;   in Loop: Header=BB357_2083 Depth=1
	s_or_b32 exec_lo, exec_lo, s21
	v_mov_b32_e32 v12, 24
	v_lshlrev_b32_e32 v13, 20, v26
	v_lshl_add_u32 v11, v11, 23, 0x3c000000
	v_lshlrev_b32_sdwa v12, v12, v24 dst_sel:DWORD dst_unused:UNUSED_PAD src0_sel:DWORD src1_sel:BYTE_3
	v_and_b32_e32 v12, 0x80000000, v12
	v_or3_b32 v11, v13, v12, v11
.LBB357_2444:                           ;   in Loop: Header=BB357_2083 Depth=1
	s_or_b32 exec_lo, exec_lo, s20
.LBB357_2445:                           ;   in Loop: Header=BB357_2083 Depth=1
	s_or_b32 exec_lo, exec_lo, s19
.LBB357_2446:                           ;   in Loop: Header=BB357_2083 Depth=1
	s_or_b32 exec_lo, exec_lo, s18
	v_mov_b32_e32 v13, v25
	v_cmp_ne_u16_sdwa s4, v25, v14 src0_sel:BYTE_0 src1_sel:DWORD
	v_mov_b32_e32 v28, 0
	v_mov_b32_e32 v22, 0
	s_and_saveexec_b32 s18, s4
	s_cbranch_execz .LBB357_2454
; %bb.2447:                             ;   in Loop: Header=BB357_2083 Depth=1
	v_cmp_ne_u16_sdwa s4, v25, v115 src0_sel:BYTE_0 src1_sel:DWORD
	v_bfrev_b32_e32 v22, 1
	s_and_saveexec_b32 s19, s4
	s_cbranch_execz .LBB357_2453
; %bb.2448:                             ;   in Loop: Header=BB357_2083 Depth=1
	v_and_b32_e32 v21, 0x7f, v25
	v_mov_b32_e32 v22, 0x7f800001
	s_mov_b32 s20, exec_lo
	v_cmpx_ne_u32_e32 0x7f, v21
	s_cbranch_execz .LBB357_2452
; %bb.2449:                             ;   in Loop: Header=BB357_2083 Depth=1
	v_mov_b32_e32 v27, v14
	v_lshrrev_b32_e32 v12, 3, v21
	v_mov_b32_e32 v26, v13
	s_mov_b32 s21, exec_lo
	v_cmpx_gt_u32_e32 8, v21
; %bb.2450:                             ;   in Loop: Header=BB357_2083 Depth=1
	v_and_b32_e32 v12, 7, v25
	v_ffbh_u32_e32 v12, v12
	v_min_u32_e32 v12, 32, v12
	v_subrev_nc_u32_e32 v21, 28, v12
	v_sub_nc_u32_e32 v12, 29, v12
	v_lshlrev_b64 v[26:27], v21, v[13:14]
; %bb.2451:                             ;   in Loop: Header=BB357_2083 Depth=1
	s_or_b32 exec_lo, exec_lo, s21
	v_lshlrev_b32_e32 v21, 20, v26
	v_lshlrev_b32_e32 v22, 24, v13
	v_lshl_add_u32 v12, v12, 23, 0x3c000000
	v_and_b32_e32 v21, 0x700000, v21
	v_and_b32_e32 v22, 0x80000000, v22
	v_or3_b32 v22, v21, v22, v12
.LBB357_2452:                           ;   in Loop: Header=BB357_2083 Depth=1
	s_or_b32 exec_lo, exec_lo, s20
.LBB357_2453:                           ;   in Loop: Header=BB357_2083 Depth=1
	s_or_b32 exec_lo, exec_lo, s19
.LBB357_2454:                           ;   in Loop: Header=BB357_2083 Depth=1
	s_or_b32 exec_lo, exec_lo, s18
	v_cmp_ne_u16_sdwa s4, v13, v14 src0_sel:BYTE_1 src1_sel:DWORD
	s_and_saveexec_b32 s18, s4
	s_cbranch_execz .LBB357_2462
; %bb.2455:                             ;   in Loop: Header=BB357_2083 Depth=1
	v_cmp_ne_u16_sdwa s4, v13, v115 src0_sel:BYTE_1 src1_sel:DWORD
	v_bfrev_b32_e32 v28, 1
	s_and_saveexec_b32 s19, s4
	s_cbranch_execz .LBB357_2461
; %bb.2456:                             ;   in Loop: Header=BB357_2083 Depth=1
	v_mov_b32_e32 v12, 0xffff
	v_mov_b32_e32 v28, 0x7f800001
	s_mov_b32 s20, exec_lo
	v_and_b32_sdwa v12, v12, v13 dst_sel:DWORD dst_unused:UNUSED_PAD src0_sel:DWORD src1_sel:BYTE_1
	v_and_b32_e32 v21, 0x7f, v12
	v_cmpx_ne_u32_e32 0x7f, v21
	s_cbranch_execz .LBB357_2460
; %bb.2457:                             ;   in Loop: Header=BB357_2083 Depth=1
	v_and_b32_e32 v26, 7, v12
	v_mov_b32_e32 v27, v14
	v_lshrrev_b32_e32 v12, 3, v21
	s_mov_b32 s21, exec_lo
	v_cmpx_gt_u32_e32 8, v21
; %bb.2458:                             ;   in Loop: Header=BB357_2083 Depth=1
	v_ffbh_u32_e32 v12, v26
	v_min_u32_e32 v12, 32, v12
	v_subrev_nc_u32_e32 v21, 28, v12
	v_sub_nc_u32_e32 v12, 29, v12
	v_lshlrev_b64 v[26:27], v21, v[26:27]
	v_and_b32_e32 v26, 7, v26
; %bb.2459:                             ;   in Loop: Header=BB357_2083 Depth=1
	s_or_b32 exec_lo, exec_lo, s21
	v_lshlrev_b32_e32 v13, 16, v13
	v_lshlrev_b32_e32 v21, 20, v26
	v_lshl_add_u32 v12, v12, 23, 0x3c000000
	v_and_b32_e32 v13, 0x80000000, v13
	v_or3_b32 v28, v21, v13, v12
.LBB357_2460:                           ;   in Loop: Header=BB357_2083 Depth=1
	s_or_b32 exec_lo, exec_lo, s20
.LBB357_2461:                           ;   in Loop: Header=BB357_2083 Depth=1
	s_or_b32 exec_lo, exec_lo, s19
.LBB357_2462:                           ;   in Loop: Header=BB357_2083 Depth=1
	s_or_b32 exec_lo, exec_lo, s18
	v_and_b32_sdwa v13, v25, v117 dst_sel:DWORD dst_unused:UNUSED_PAD src0_sel:WORD_1 src1_sel:DWORD
	v_mov_b32_e32 v12, 0
	v_mov_b32_e32 v21, 0
	s_mov_b32 s18, exec_lo
	v_cmpx_ne_u16_e32 0, v13
	s_cbranch_execz .LBB357_2470
; %bb.2463:                             ;   in Loop: Header=BB357_2083 Depth=1
	v_bfrev_b32_e32 v21, 1
	s_mov_b32 s19, exec_lo
	v_cmpx_ne_u16_e32 0x80, v13
	s_cbranch_execz .LBB357_2469
; %bb.2464:                             ;   in Loop: Header=BB357_2083 Depth=1
	v_bfe_u32 v26, v25, 16, 7
	v_mov_b32_e32 v21, 0x7f800001
	s_mov_b32 s20, exec_lo
	v_cmpx_ne_u32_e32 0x7f, v26
	s_cbranch_execz .LBB357_2468
; %bb.2465:                             ;   in Loop: Header=BB357_2083 Depth=1
	v_mov_b32_e32 v13, 7
	v_lshrrev_b32_e32 v21, 3, v26
	v_cmp_gt_u32_e64 s4, 8, v26
	v_and_b32_sdwa v13, v25, v13 dst_sel:DWORD dst_unused:UNUSED_PAD src0_sel:WORD_1 src1_sel:DWORD
	v_mov_b32_e32 v27, v14
	v_mov_b32_e32 v26, v13
	s_and_saveexec_b32 s21, s4
; %bb.2466:                             ;   in Loop: Header=BB357_2083 Depth=1
	v_ffbh_u32_e32 v21, v13
	v_min_u32_e32 v21, 32, v21
	v_subrev_nc_u32_e32 v26, 28, v21
	v_sub_nc_u32_e32 v21, 29, v21
	v_lshlrev_b64 v[26:27], v26, v[13:14]
	v_and_b32_e32 v26, 7, v26
; %bb.2467:                             ;   in Loop: Header=BB357_2083 Depth=1
	s_or_b32 exec_lo, exec_lo, s21
	v_mov_b32_e32 v13, 24
	v_lshlrev_b32_e32 v26, 20, v26
	v_lshl_add_u32 v21, v21, 23, 0x3c000000
	v_lshlrev_b32_sdwa v13, v13, v25 dst_sel:DWORD dst_unused:UNUSED_PAD src0_sel:DWORD src1_sel:WORD_1
	v_and_b32_e32 v13, 0x80000000, v13
	v_or3_b32 v21, v26, v13, v21
.LBB357_2468:                           ;   in Loop: Header=BB357_2083 Depth=1
	s_or_b32 exec_lo, exec_lo, s20
.LBB357_2469:                           ;   in Loop: Header=BB357_2083 Depth=1
	s_or_b32 exec_lo, exec_lo, s19
.LBB357_2470:                           ;   in Loop: Header=BB357_2083 Depth=1
	s_or_b32 exec_lo, exec_lo, s18
	s_mov_b32 s18, exec_lo
	v_cmpx_lt_u64_e64 s[6:7], v[24:25]
	s_cbranch_execz .LBB357_2478
; %bb.2471:                             ;   in Loop: Header=BB357_2083 Depth=1
	v_cmp_ne_u32_sdwa s4, v25, v115 src0_sel:BYTE_3 src1_sel:DWORD
	v_bfrev_b32_e32 v12, 1
	s_and_saveexec_b32 s19, s4
	s_cbranch_execz .LBB357_2477
; %bb.2472:                             ;   in Loop: Header=BB357_2083 Depth=1
	v_bfe_u32 v24, v25, 24, 7
	v_mov_b32_e32 v12, 0x7f800001
	s_mov_b32 s20, exec_lo
	v_cmpx_ne_u32_e32 0x7f, v24
	s_cbranch_execz .LBB357_2476
; %bb.2473:                             ;   in Loop: Header=BB357_2083 Depth=1
	v_mov_b32_e32 v12, 7
	s_mov_b32 s21, exec_lo
	v_and_b32_sdwa v13, v25, v12 dst_sel:DWORD dst_unused:UNUSED_PAD src0_sel:BYTE_3 src1_sel:DWORD
	v_mov_b32_e32 v27, v14
	v_lshrrev_b32_e32 v12, 3, v24
	v_mov_b32_e32 v26, v13
	v_cmpx_gt_u32_e32 8, v24
; %bb.2474:                             ;   in Loop: Header=BB357_2083 Depth=1
	v_ffbh_u32_e32 v12, v13
	v_min_u32_e32 v12, 32, v12
	v_subrev_nc_u32_e32 v24, 28, v12
	v_sub_nc_u32_e32 v12, 29, v12
	v_lshlrev_b64 v[26:27], v24, v[13:14]
	v_and_b32_e32 v26, 7, v26
; %bb.2475:                             ;   in Loop: Header=BB357_2083 Depth=1
	s_or_b32 exec_lo, exec_lo, s21
	v_mov_b32_e32 v13, 24
	v_lshlrev_b32_e32 v24, 20, v26
	v_lshl_add_u32 v12, v12, 23, 0x3c000000
	v_lshlrev_b32_sdwa v13, v13, v25 dst_sel:DWORD dst_unused:UNUSED_PAD src0_sel:DWORD src1_sel:BYTE_3
	v_and_b32_e32 v13, 0x80000000, v13
	v_or3_b32 v12, v24, v13, v12
.LBB357_2476:                           ;   in Loop: Header=BB357_2083 Depth=1
	s_or_b32 exec_lo, exec_lo, s20
.LBB357_2477:                           ;   in Loop: Header=BB357_2083 Depth=1
	s_or_b32 exec_lo, exec_lo, s19
.LBB357_2478:                           ;   in Loop: Header=BB357_2083 Depth=1
	s_or_b32 exec_lo, exec_lo, s18
	v_mul_f32_e32 v13, v23, v28
	v_mul_f32_e32 v11, v23, v11
	;; [unrolled: 1-line block ×5, first 2 shown]
	v_bfe_u32 v24, v13, 16, 1
	v_or_b32_e32 v25, 0x400000, v13
	v_cmp_u_f32_e64 s4, v13, v13
	v_add3_u32 v24, v24, v13, 0x7fff
	v_cndmask_b32_e64 v13, v24, v25, s4
	v_lshrrev_b32_e32 v13, 16, v13
	buffer_store_dword v13, off, s[0:3], s32 offset:388 ; 4-byte Folded Spill
	v_mul_f32_e32 v13, v23, v22
	v_bfe_u32 v22, v13, 16, 1
	v_or_b32_e32 v24, 0x400000, v13
	v_cmp_u_f32_e64 s4, v13, v13
	v_add3_u32 v22, v22, v13, 0x7fff
	v_cndmask_b32_e64 v13, v22, v24, s4
	v_or_b32_e32 v22, 0x400000, v11
	v_cmp_u_f32_e64 s4, v11, v11
	v_lshrrev_b32_e32 v13, 16, v13
	buffer_store_dword v13, off, s[0:3], s32 offset:384 ; 4-byte Folded Spill
	v_bfe_u32 v13, v11, 16, 1
	v_add3_u32 v13, v13, v11, 0x7fff
	v_cndmask_b32_e64 v11, v13, v22, s4
	v_or_b32_e32 v13, 0x400000, v10
	v_cmp_u_f32_e64 s4, v10, v10
	v_lshrrev_b32_e32 v11, 16, v11
	buffer_store_dword v11, off, s[0:3], s32 offset:400 ; 4-byte Folded Spill
	v_bfe_u32 v11, v10, 16, 1
	;; [unrolled: 7-line block ×4, first 2 shown]
	v_add3_u32 v1, v1, v0, 0x7fff
	v_cndmask_b32_e64 v0, v1, v10, s4
	v_lshrrev_b32_e32 v0, 16, v0
	buffer_store_dword v0, off, s[0:3], s32 offset:408 ; 4-byte Folded Spill
	v_mul_f32_e32 v0, v23, v21
	v_bfe_u32 v1, v0, 16, 1
	v_or_b32_e32 v10, 0x400000, v0
	v_cmp_u_f32_e64 s4, v0, v0
	v_add3_u32 v1, v1, v0, 0x7fff
	v_cndmask_b32_e64 v0, v1, v10, s4
	v_lshrrev_b32_e32 v0, 16, v0
	buffer_store_dword v0, off, s[0:3], s32 offset:392 ; 4-byte Folded Spill
	v_mul_f32_e32 v0, v23, v12
	v_bfe_u32 v1, v0, 16, 1
	v_or_b32_e32 v10, 0x400000, v0
	v_cmp_u_f32_e64 s4, v0, v0
	v_add3_u32 v1, v1, v0, 0x7fff
	v_cndmask_b32_e64 v0, v1, v10, s4
	v_lshrrev_b32_e32 v0, 16, v0
	buffer_store_dword v0, off, s[0:3], s32 offset:404 ; 4-byte Folded Spill
	s_and_saveexec_b32 s18, vcc_lo
	s_cbranch_execz .LBB357_2480
; %bb.2479:                             ;   in Loop: Header=BB357_2083 Depth=1
	buffer_load_dword v0, off, s[0:3], s32 offset:408 ; 4-byte Folded Reload
	v_cmp_lt_i32_e64 s4, v102, v49
	s_waitcnt vmcnt(0)
	v_cndmask_b32_e64 v0, 0, v0, s4
	v_cmp_lt_i32_e64 s4, v52, v49
	buffer_store_dword v0, off, s[0:3], s32 offset:408 ; 4-byte Folded Spill
	buffer_load_dword v0, off, s[0:3], s32 offset:412 ; 4-byte Folded Reload
	s_waitcnt vmcnt(0)
	v_cndmask_b32_e64 v0, 0, v0, s4
	v_cmp_lt_i32_e64 s4, v51, v49
	buffer_store_dword v0, off, s[0:3], s32 offset:412 ; 4-byte Folded Spill
	buffer_load_dword v0, off, s[0:3], s32 offset:396 ; 4-byte Folded Reload
	;; [unrolled: 5-line block ×7, first 2 shown]
	s_waitcnt vmcnt(0)
	v_cndmask_b32_e64 v0, 0, v0, s4
	buffer_store_dword v0, off, s[0:3], s32 offset:404 ; 4-byte Folded Spill
.LBB357_2480:                           ;   in Loop: Header=BB357_2083 Depth=1
	s_or_b32 exec_lo, exec_lo, s18
	flat_load_dwordx2 v[24:25], v[19:20] offset:1536
	v_mov_b32_e32 v1, 0
	v_mov_b32_e32 v0, 0
	s_waitcnt vmcnt(0) lgkmcnt(0)
	v_cmp_ne_u16_sdwa s4, v24, v14 src0_sel:BYTE_0 src1_sel:DWORD
	s_and_saveexec_b32 s18, s4
	s_cbranch_execz .LBB357_2488
; %bb.2481:                             ;   in Loop: Header=BB357_2083 Depth=1
	v_cmp_ne_u16_sdwa s4, v24, v115 src0_sel:BYTE_0 src1_sel:DWORD
	v_bfrev_b32_e32 v0, 1
	s_and_saveexec_b32 s19, s4
	s_cbranch_execz .LBB357_2487
; %bb.2482:                             ;   in Loop: Header=BB357_2083 Depth=1
	v_and_b32_e32 v10, 0x7f, v24
	v_mov_b32_e32 v0, 0x7f800001
	s_mov_b32 s20, exec_lo
	v_cmpx_ne_u32_e32 0x7f, v10
	s_cbranch_execz .LBB357_2486
; %bb.2483:                             ;   in Loop: Header=BB357_2083 Depth=1
	v_mov_b32_e32 v27, v25
	v_lshrrev_b32_e32 v0, 3, v10
	v_mov_b32_e32 v26, v24
	s_mov_b32 s21, exec_lo
	v_cmpx_gt_u32_e32 8, v10
; %bb.2484:                             ;   in Loop: Header=BB357_2083 Depth=1
	v_and_b32_e32 v0, 7, v24
	v_ffbh_u32_e32 v0, v0
	v_min_u32_e32 v0, 32, v0
	v_subrev_nc_u32_e32 v10, 28, v0
	v_sub_nc_u32_e32 v0, 29, v0
	v_lshlrev_b64 v[26:27], v10, v[24:25]
; %bb.2485:                             ;   in Loop: Header=BB357_2083 Depth=1
	s_or_b32 exec_lo, exec_lo, s21
	v_lshlrev_b32_e32 v10, 20, v26
	v_lshlrev_b32_e32 v11, 24, v24
	v_lshl_add_u32 v0, v0, 23, 0x3c000000
	v_and_b32_e32 v10, 0x700000, v10
	v_and_b32_e32 v11, 0x80000000, v11
	v_or3_b32 v0, v10, v11, v0
.LBB357_2486:                           ;   in Loop: Header=BB357_2083 Depth=1
	s_or_b32 exec_lo, exec_lo, s20
.LBB357_2487:                           ;   in Loop: Header=BB357_2083 Depth=1
	s_or_b32 exec_lo, exec_lo, s19
.LBB357_2488:                           ;   in Loop: Header=BB357_2083 Depth=1
	s_or_b32 exec_lo, exec_lo, s18
	v_cmp_ne_u16_sdwa s4, v24, v14 src0_sel:BYTE_1 src1_sel:DWORD
	s_and_saveexec_b32 s18, s4
	s_cbranch_execz .LBB357_2496
; %bb.2489:                             ;   in Loop: Header=BB357_2083 Depth=1
	v_cmp_ne_u16_sdwa s4, v24, v115 src0_sel:BYTE_1 src1_sel:DWORD
	v_bfrev_b32_e32 v1, 1
	s_and_saveexec_b32 s19, s4
	s_cbranch_execz .LBB357_2495
; %bb.2490:                             ;   in Loop: Header=BB357_2083 Depth=1
	v_mov_b32_e32 v1, 0xffff
	s_mov_b32 s20, exec_lo
	v_and_b32_sdwa v11, v1, v24 dst_sel:DWORD dst_unused:UNUSED_PAD src0_sel:DWORD src1_sel:BYTE_1
	v_mov_b32_e32 v1, 0x7f800001
	v_and_b32_e32 v10, 0x7f, v11
	v_cmpx_ne_u32_e32 0x7f, v10
	s_cbranch_execz .LBB357_2494
; %bb.2491:                             ;   in Loop: Header=BB357_2083 Depth=1
	v_and_b32_e32 v13, 7, v11
	v_mov_b32_e32 v27, v14
	v_lshrrev_b32_e32 v1, 3, v10
	s_mov_b32 s21, exec_lo
	v_mov_b32_e32 v26, v13
	v_cmpx_gt_u32_e32 8, v10
; %bb.2492:                             ;   in Loop: Header=BB357_2083 Depth=1
	v_ffbh_u32_e32 v1, v13
	v_min_u32_e32 v1, 32, v1
	v_subrev_nc_u32_e32 v10, 28, v1
	v_sub_nc_u32_e32 v1, 29, v1
	v_lshlrev_b64 v[10:11], v10, v[13:14]
	v_and_b32_e32 v26, 7, v10
; %bb.2493:                             ;   in Loop: Header=BB357_2083 Depth=1
	s_or_b32 exec_lo, exec_lo, s21
	v_lshlrev_b32_e32 v10, 16, v24
	v_lshlrev_b32_e32 v11, 20, v26
	v_lshl_add_u32 v1, v1, 23, 0x3c000000
	v_and_b32_e32 v10, 0x80000000, v10
	v_or3_b32 v1, v11, v10, v1
.LBB357_2494:                           ;   in Loop: Header=BB357_2083 Depth=1
	s_or_b32 exec_lo, exec_lo, s20
.LBB357_2495:                           ;   in Loop: Header=BB357_2083 Depth=1
	s_or_b32 exec_lo, exec_lo, s19
.LBB357_2496:                           ;   in Loop: Header=BB357_2083 Depth=1
	s_or_b32 exec_lo, exec_lo, s18
	v_and_b32_sdwa v12, v24, v117 dst_sel:DWORD dst_unused:UNUSED_PAD src0_sel:WORD_1 src1_sel:DWORD
	v_mov_b32_e32 v11, 0
	v_mov_b32_e32 v10, 0
	s_mov_b32 s18, exec_lo
	v_cmpx_ne_u16_e32 0, v12
	s_cbranch_execz .LBB357_2504
; %bb.2497:                             ;   in Loop: Header=BB357_2083 Depth=1
	v_bfrev_b32_e32 v10, 1
	s_mov_b32 s19, exec_lo
	v_cmpx_ne_u16_e32 0x80, v12
	s_cbranch_execz .LBB357_2503
; %bb.2498:                             ;   in Loop: Header=BB357_2083 Depth=1
	v_bfe_u32 v12, v24, 16, 7
	v_mov_b32_e32 v10, 0x7f800001
	s_mov_b32 s20, exec_lo
	v_cmpx_ne_u32_e32 0x7f, v12
	s_cbranch_execz .LBB357_2502
; %bb.2499:                             ;   in Loop: Header=BB357_2083 Depth=1
	v_mov_b32_e32 v10, 7
	s_mov_b32 s21, exec_lo
	v_and_b32_sdwa v13, v24, v10 dst_sel:DWORD dst_unused:UNUSED_PAD src0_sel:WORD_1 src1_sel:DWORD
	v_mov_b32_e32 v27, v14
	v_lshrrev_b32_e32 v10, 3, v12
	v_mov_b32_e32 v26, v13
	v_cmpx_gt_u32_e32 8, v12
; %bb.2500:                             ;   in Loop: Header=BB357_2083 Depth=1
	v_ffbh_u32_e32 v10, v13
	v_min_u32_e32 v10, 32, v10
	v_subrev_nc_u32_e32 v12, 28, v10
	v_sub_nc_u32_e32 v10, 29, v10
	v_lshlrev_b64 v[12:13], v12, v[13:14]
	v_and_b32_e32 v26, 7, v12
; %bb.2501:                             ;   in Loop: Header=BB357_2083 Depth=1
	s_or_b32 exec_lo, exec_lo, s21
	v_mov_b32_e32 v12, 24
	v_lshlrev_b32_e32 v13, 20, v26
	v_lshl_add_u32 v10, v10, 23, 0x3c000000
	v_lshlrev_b32_sdwa v12, v12, v24 dst_sel:DWORD dst_unused:UNUSED_PAD src0_sel:DWORD src1_sel:WORD_1
	v_and_b32_e32 v12, 0x80000000, v12
	v_or3_b32 v10, v13, v12, v10
.LBB357_2502:                           ;   in Loop: Header=BB357_2083 Depth=1
	s_or_b32 exec_lo, exec_lo, s20
.LBB357_2503:                           ;   in Loop: Header=BB357_2083 Depth=1
	s_or_b32 exec_lo, exec_lo, s19
.LBB357_2504:                           ;   in Loop: Header=BB357_2083 Depth=1
	s_or_b32 exec_lo, exec_lo, s18
	s_mov_b32 s18, exec_lo
	v_cmpx_lt_u32_e32 0xffffff, v24
	s_cbranch_execz .LBB357_2512
; %bb.2505:                             ;   in Loop: Header=BB357_2083 Depth=1
	v_cmp_ne_u32_sdwa s4, v24, v115 src0_sel:BYTE_3 src1_sel:DWORD
	v_bfrev_b32_e32 v11, 1
	s_and_saveexec_b32 s19, s4
	s_cbranch_execz .LBB357_2511
; %bb.2506:                             ;   in Loop: Header=BB357_2083 Depth=1
	v_bfe_u32 v12, v24, 24, 7
	v_mov_b32_e32 v11, 0x7f800001
	s_mov_b32 s20, exec_lo
	v_cmpx_ne_u32_e32 0x7f, v12
	s_cbranch_execz .LBB357_2510
; %bb.2507:                             ;   in Loop: Header=BB357_2083 Depth=1
	v_mov_b32_e32 v11, 7
	s_mov_b32 s21, exec_lo
	v_and_b32_sdwa v13, v24, v11 dst_sel:DWORD dst_unused:UNUSED_PAD src0_sel:BYTE_3 src1_sel:DWORD
	v_mov_b32_e32 v27, v14
	v_lshrrev_b32_e32 v11, 3, v12
	v_mov_b32_e32 v26, v13
	v_cmpx_gt_u32_e32 8, v12
; %bb.2508:                             ;   in Loop: Header=BB357_2083 Depth=1
	v_ffbh_u32_e32 v11, v13
	v_min_u32_e32 v11, 32, v11
	v_subrev_nc_u32_e32 v12, 28, v11
	v_sub_nc_u32_e32 v11, 29, v11
	v_lshlrev_b64 v[12:13], v12, v[13:14]
	v_and_b32_e32 v26, 7, v12
; %bb.2509:                             ;   in Loop: Header=BB357_2083 Depth=1
	s_or_b32 exec_lo, exec_lo, s21
	v_mov_b32_e32 v12, 24
	v_lshlrev_b32_e32 v13, 20, v26
	v_lshl_add_u32 v11, v11, 23, 0x3c000000
	v_lshlrev_b32_sdwa v12, v12, v24 dst_sel:DWORD dst_unused:UNUSED_PAD src0_sel:DWORD src1_sel:BYTE_3
	v_and_b32_e32 v12, 0x80000000, v12
	v_or3_b32 v11, v13, v12, v11
.LBB357_2510:                           ;   in Loop: Header=BB357_2083 Depth=1
	s_or_b32 exec_lo, exec_lo, s20
.LBB357_2511:                           ;   in Loop: Header=BB357_2083 Depth=1
	s_or_b32 exec_lo, exec_lo, s19
.LBB357_2512:                           ;   in Loop: Header=BB357_2083 Depth=1
	s_or_b32 exec_lo, exec_lo, s18
	v_mov_b32_e32 v13, v25
	v_cmp_ne_u16_sdwa s4, v25, v14 src0_sel:BYTE_0 src1_sel:DWORD
	v_mov_b32_e32 v28, 0
	v_mov_b32_e32 v22, 0
	s_and_saveexec_b32 s18, s4
	s_cbranch_execz .LBB357_2520
; %bb.2513:                             ;   in Loop: Header=BB357_2083 Depth=1
	v_cmp_ne_u16_sdwa s4, v25, v115 src0_sel:BYTE_0 src1_sel:DWORD
	v_bfrev_b32_e32 v22, 1
	s_and_saveexec_b32 s19, s4
	s_cbranch_execz .LBB357_2519
; %bb.2514:                             ;   in Loop: Header=BB357_2083 Depth=1
	v_and_b32_e32 v21, 0x7f, v25
	v_mov_b32_e32 v22, 0x7f800001
	s_mov_b32 s20, exec_lo
	v_cmpx_ne_u32_e32 0x7f, v21
	s_cbranch_execz .LBB357_2518
; %bb.2515:                             ;   in Loop: Header=BB357_2083 Depth=1
	v_mov_b32_e32 v27, v14
	v_lshrrev_b32_e32 v12, 3, v21
	v_mov_b32_e32 v26, v13
	s_mov_b32 s21, exec_lo
	v_cmpx_gt_u32_e32 8, v21
; %bb.2516:                             ;   in Loop: Header=BB357_2083 Depth=1
	v_and_b32_e32 v12, 7, v25
	v_ffbh_u32_e32 v12, v12
	v_min_u32_e32 v12, 32, v12
	v_subrev_nc_u32_e32 v21, 28, v12
	v_sub_nc_u32_e32 v12, 29, v12
	v_lshlrev_b64 v[26:27], v21, v[13:14]
; %bb.2517:                             ;   in Loop: Header=BB357_2083 Depth=1
	s_or_b32 exec_lo, exec_lo, s21
	v_lshlrev_b32_e32 v21, 20, v26
	v_lshlrev_b32_e32 v22, 24, v13
	v_lshl_add_u32 v12, v12, 23, 0x3c000000
	v_and_b32_e32 v21, 0x700000, v21
	v_and_b32_e32 v22, 0x80000000, v22
	v_or3_b32 v22, v21, v22, v12
.LBB357_2518:                           ;   in Loop: Header=BB357_2083 Depth=1
	s_or_b32 exec_lo, exec_lo, s20
.LBB357_2519:                           ;   in Loop: Header=BB357_2083 Depth=1
	s_or_b32 exec_lo, exec_lo, s19
.LBB357_2520:                           ;   in Loop: Header=BB357_2083 Depth=1
	s_or_b32 exec_lo, exec_lo, s18
	v_cmp_ne_u16_sdwa s4, v13, v14 src0_sel:BYTE_1 src1_sel:DWORD
	s_and_saveexec_b32 s18, s4
	s_cbranch_execz .LBB357_2528
; %bb.2521:                             ;   in Loop: Header=BB357_2083 Depth=1
	v_cmp_ne_u16_sdwa s4, v13, v115 src0_sel:BYTE_1 src1_sel:DWORD
	v_bfrev_b32_e32 v28, 1
	s_and_saveexec_b32 s19, s4
	s_cbranch_execz .LBB357_2527
; %bb.2522:                             ;   in Loop: Header=BB357_2083 Depth=1
	v_mov_b32_e32 v12, 0xffff
	v_mov_b32_e32 v28, 0x7f800001
	s_mov_b32 s20, exec_lo
	v_and_b32_sdwa v12, v12, v13 dst_sel:DWORD dst_unused:UNUSED_PAD src0_sel:DWORD src1_sel:BYTE_1
	v_and_b32_e32 v21, 0x7f, v12
	v_cmpx_ne_u32_e32 0x7f, v21
	s_cbranch_execz .LBB357_2526
; %bb.2523:                             ;   in Loop: Header=BB357_2083 Depth=1
	v_and_b32_e32 v26, 7, v12
	v_mov_b32_e32 v27, v14
	v_lshrrev_b32_e32 v12, 3, v21
	s_mov_b32 s21, exec_lo
	v_cmpx_gt_u32_e32 8, v21
; %bb.2524:                             ;   in Loop: Header=BB357_2083 Depth=1
	v_ffbh_u32_e32 v12, v26
	v_min_u32_e32 v12, 32, v12
	v_subrev_nc_u32_e32 v21, 28, v12
	v_sub_nc_u32_e32 v12, 29, v12
	v_lshlrev_b64 v[26:27], v21, v[26:27]
	v_and_b32_e32 v26, 7, v26
; %bb.2525:                             ;   in Loop: Header=BB357_2083 Depth=1
	s_or_b32 exec_lo, exec_lo, s21
	v_lshlrev_b32_e32 v13, 16, v13
	v_lshlrev_b32_e32 v21, 20, v26
	v_lshl_add_u32 v12, v12, 23, 0x3c000000
	v_and_b32_e32 v13, 0x80000000, v13
	v_or3_b32 v28, v21, v13, v12
.LBB357_2526:                           ;   in Loop: Header=BB357_2083 Depth=1
	s_or_b32 exec_lo, exec_lo, s20
.LBB357_2527:                           ;   in Loop: Header=BB357_2083 Depth=1
	s_or_b32 exec_lo, exec_lo, s19
.LBB357_2528:                           ;   in Loop: Header=BB357_2083 Depth=1
	s_or_b32 exec_lo, exec_lo, s18
	v_and_b32_sdwa v13, v25, v117 dst_sel:DWORD dst_unused:UNUSED_PAD src0_sel:WORD_1 src1_sel:DWORD
	v_mov_b32_e32 v12, 0
	v_mov_b32_e32 v21, 0
	s_mov_b32 s18, exec_lo
	v_cmpx_ne_u16_e32 0, v13
	s_cbranch_execz .LBB357_2536
; %bb.2529:                             ;   in Loop: Header=BB357_2083 Depth=1
	v_bfrev_b32_e32 v21, 1
	s_mov_b32 s19, exec_lo
	v_cmpx_ne_u16_e32 0x80, v13
	s_cbranch_execz .LBB357_2535
; %bb.2530:                             ;   in Loop: Header=BB357_2083 Depth=1
	v_bfe_u32 v26, v25, 16, 7
	v_mov_b32_e32 v21, 0x7f800001
	s_mov_b32 s20, exec_lo
	v_cmpx_ne_u32_e32 0x7f, v26
	s_cbranch_execz .LBB357_2534
; %bb.2531:                             ;   in Loop: Header=BB357_2083 Depth=1
	v_mov_b32_e32 v13, 7
	v_lshrrev_b32_e32 v21, 3, v26
	v_cmp_gt_u32_e64 s4, 8, v26
	v_and_b32_sdwa v13, v25, v13 dst_sel:DWORD dst_unused:UNUSED_PAD src0_sel:WORD_1 src1_sel:DWORD
	v_mov_b32_e32 v27, v14
	v_mov_b32_e32 v26, v13
	s_and_saveexec_b32 s21, s4
; %bb.2532:                             ;   in Loop: Header=BB357_2083 Depth=1
	v_ffbh_u32_e32 v21, v13
	v_min_u32_e32 v21, 32, v21
	v_subrev_nc_u32_e32 v26, 28, v21
	v_sub_nc_u32_e32 v21, 29, v21
	v_lshlrev_b64 v[26:27], v26, v[13:14]
	v_and_b32_e32 v26, 7, v26
; %bb.2533:                             ;   in Loop: Header=BB357_2083 Depth=1
	s_or_b32 exec_lo, exec_lo, s21
	v_mov_b32_e32 v13, 24
	v_lshlrev_b32_e32 v26, 20, v26
	v_lshl_add_u32 v21, v21, 23, 0x3c000000
	v_lshlrev_b32_sdwa v13, v13, v25 dst_sel:DWORD dst_unused:UNUSED_PAD src0_sel:DWORD src1_sel:WORD_1
	v_and_b32_e32 v13, 0x80000000, v13
	v_or3_b32 v21, v26, v13, v21
.LBB357_2534:                           ;   in Loop: Header=BB357_2083 Depth=1
	s_or_b32 exec_lo, exec_lo, s20
.LBB357_2535:                           ;   in Loop: Header=BB357_2083 Depth=1
	s_or_b32 exec_lo, exec_lo, s19
.LBB357_2536:                           ;   in Loop: Header=BB357_2083 Depth=1
	s_or_b32 exec_lo, exec_lo, s18
	s_mov_b32 s18, exec_lo
	v_cmpx_lt_u64_e64 s[6:7], v[24:25]
	s_cbranch_execz .LBB357_2544
; %bb.2537:                             ;   in Loop: Header=BB357_2083 Depth=1
	v_cmp_ne_u32_sdwa s4, v25, v115 src0_sel:BYTE_3 src1_sel:DWORD
	v_bfrev_b32_e32 v12, 1
	s_and_saveexec_b32 s19, s4
	s_cbranch_execz .LBB357_2543
; %bb.2538:                             ;   in Loop: Header=BB357_2083 Depth=1
	v_bfe_u32 v24, v25, 24, 7
	v_mov_b32_e32 v12, 0x7f800001
	s_mov_b32 s20, exec_lo
	v_cmpx_ne_u32_e32 0x7f, v24
	s_cbranch_execz .LBB357_2542
; %bb.2539:                             ;   in Loop: Header=BB357_2083 Depth=1
	v_mov_b32_e32 v12, 7
	s_mov_b32 s21, exec_lo
	v_and_b32_sdwa v13, v25, v12 dst_sel:DWORD dst_unused:UNUSED_PAD src0_sel:BYTE_3 src1_sel:DWORD
	v_mov_b32_e32 v27, v14
	v_lshrrev_b32_e32 v12, 3, v24
	v_mov_b32_e32 v26, v13
	v_cmpx_gt_u32_e32 8, v24
; %bb.2540:                             ;   in Loop: Header=BB357_2083 Depth=1
	v_ffbh_u32_e32 v12, v13
	v_min_u32_e32 v12, 32, v12
	v_subrev_nc_u32_e32 v24, 28, v12
	v_sub_nc_u32_e32 v12, 29, v12
	v_lshlrev_b64 v[26:27], v24, v[13:14]
	v_and_b32_e32 v26, 7, v26
; %bb.2541:                             ;   in Loop: Header=BB357_2083 Depth=1
	s_or_b32 exec_lo, exec_lo, s21
	v_mov_b32_e32 v13, 24
	v_lshlrev_b32_e32 v24, 20, v26
	v_lshl_add_u32 v12, v12, 23, 0x3c000000
	v_lshlrev_b32_sdwa v13, v13, v25 dst_sel:DWORD dst_unused:UNUSED_PAD src0_sel:DWORD src1_sel:BYTE_3
	v_and_b32_e32 v13, 0x80000000, v13
	v_or3_b32 v12, v24, v13, v12
.LBB357_2542:                           ;   in Loop: Header=BB357_2083 Depth=1
	s_or_b32 exec_lo, exec_lo, s20
.LBB357_2543:                           ;   in Loop: Header=BB357_2083 Depth=1
	s_or_b32 exec_lo, exec_lo, s19
.LBB357_2544:                           ;   in Loop: Header=BB357_2083 Depth=1
	s_or_b32 exec_lo, exec_lo, s18
	v_mul_f32_e32 v13, v23, v28
	v_mul_f32_e32 v11, v23, v11
	;; [unrolled: 1-line block ×5, first 2 shown]
	v_bfe_u32 v24, v13, 16, 1
	v_or_b32_e32 v25, 0x400000, v13
	v_cmp_u_f32_e64 s4, v13, v13
	v_add3_u32 v24, v24, v13, 0x7fff
	v_cndmask_b32_e64 v13, v24, v25, s4
	v_lshrrev_b32_e32 v13, 16, v13
	buffer_store_dword v13, off, s[0:3], s32 offset:420 ; 4-byte Folded Spill
	v_mul_f32_e32 v13, v23, v22
	v_bfe_u32 v22, v13, 16, 1
	v_or_b32_e32 v24, 0x400000, v13
	v_cmp_u_f32_e64 s4, v13, v13
	v_add3_u32 v22, v22, v13, 0x7fff
	v_cndmask_b32_e64 v13, v22, v24, s4
	v_or_b32_e32 v22, 0x400000, v11
	v_cmp_u_f32_e64 s4, v11, v11
	v_lshrrev_b32_e32 v13, 16, v13
	buffer_store_dword v13, off, s[0:3], s32 offset:416 ; 4-byte Folded Spill
	v_bfe_u32 v13, v11, 16, 1
	v_add3_u32 v13, v13, v11, 0x7fff
	v_cndmask_b32_e64 v11, v13, v22, s4
	v_or_b32_e32 v13, 0x400000, v10
	v_cmp_u_f32_e64 s4, v10, v10
	v_lshrrev_b32_e32 v11, 16, v11
	buffer_store_dword v11, off, s[0:3], s32 offset:428 ; 4-byte Folded Spill
	v_bfe_u32 v11, v10, 16, 1
	;; [unrolled: 7-line block ×4, first 2 shown]
	v_add3_u32 v1, v1, v0, 0x7fff
	v_cndmask_b32_e64 v0, v1, v10, s4
	v_lshrrev_b32_e32 v0, 16, v0
	buffer_store_dword v0, off, s[0:3], s32 offset:440 ; 4-byte Folded Spill
	v_mul_f32_e32 v0, v23, v21
	v_bfe_u32 v1, v0, 16, 1
	v_or_b32_e32 v10, 0x400000, v0
	v_cmp_u_f32_e64 s4, v0, v0
	v_add3_u32 v1, v1, v0, 0x7fff
	v_cndmask_b32_e64 v0, v1, v10, s4
	v_lshrrev_b32_e32 v0, 16, v0
	buffer_store_dword v0, off, s[0:3], s32 offset:424 ; 4-byte Folded Spill
	v_mul_f32_e32 v0, v23, v12
	v_bfe_u32 v1, v0, 16, 1
	v_or_b32_e32 v10, 0x400000, v0
	v_cmp_u_f32_e64 s4, v0, v0
	v_add3_u32 v1, v1, v0, 0x7fff
	v_cndmask_b32_e64 v0, v1, v10, s4
	v_lshrrev_b32_e32 v0, 16, v0
	buffer_store_dword v0, off, s[0:3], s32 offset:436 ; 4-byte Folded Spill
	s_and_saveexec_b32 s18, vcc_lo
	s_cbranch_execz .LBB357_2546
; %bb.2545:                             ;   in Loop: Header=BB357_2083 Depth=1
	buffer_load_dword v0, off, s[0:3], s32 offset:440 ; 4-byte Folded Reload
	v_cmp_lt_i32_e64 s4, v102, v49
	s_waitcnt vmcnt(0)
	v_cndmask_b32_e64 v0, 0, v0, s4
	v_cmp_lt_i32_e64 s4, v52, v49
	buffer_store_dword v0, off, s[0:3], s32 offset:440 ; 4-byte Folded Spill
	buffer_load_dword v0, off, s[0:3], s32 offset:444 ; 4-byte Folded Reload
	s_waitcnt vmcnt(0)
	v_cndmask_b32_e64 v0, 0, v0, s4
	v_cmp_lt_i32_e64 s4, v51, v49
	buffer_store_dword v0, off, s[0:3], s32 offset:444 ; 4-byte Folded Spill
	buffer_load_dword v0, off, s[0:3], s32 offset:432 ; 4-byte Folded Reload
	;; [unrolled: 5-line block ×7, first 2 shown]
	s_waitcnt vmcnt(0)
	v_cndmask_b32_e64 v0, 0, v0, s4
	buffer_store_dword v0, off, s[0:3], s32 offset:436 ; 4-byte Folded Spill
.LBB357_2546:                           ;   in Loop: Header=BB357_2083 Depth=1
	s_or_b32 exec_lo, exec_lo, s18
	flat_load_dwordx2 v[24:25], v[19:20] offset:1792
	v_mov_b32_e32 v1, 0
	v_mov_b32_e32 v0, 0
	s_waitcnt vmcnt(0) lgkmcnt(0)
	v_cmp_ne_u16_sdwa s4, v24, v14 src0_sel:BYTE_0 src1_sel:DWORD
	s_and_saveexec_b32 s18, s4
	s_cbranch_execz .LBB357_2554
; %bb.2547:                             ;   in Loop: Header=BB357_2083 Depth=1
	v_cmp_ne_u16_sdwa s4, v24, v115 src0_sel:BYTE_0 src1_sel:DWORD
	v_bfrev_b32_e32 v0, 1
	s_and_saveexec_b32 s19, s4
	s_cbranch_execz .LBB357_2553
; %bb.2548:                             ;   in Loop: Header=BB357_2083 Depth=1
	v_and_b32_e32 v10, 0x7f, v24
	v_mov_b32_e32 v0, 0x7f800001
	s_mov_b32 s20, exec_lo
	v_cmpx_ne_u32_e32 0x7f, v10
	s_cbranch_execz .LBB357_2552
; %bb.2549:                             ;   in Loop: Header=BB357_2083 Depth=1
	v_mov_b32_e32 v27, v25
	v_lshrrev_b32_e32 v0, 3, v10
	v_mov_b32_e32 v26, v24
	s_mov_b32 s21, exec_lo
	v_cmpx_gt_u32_e32 8, v10
; %bb.2550:                             ;   in Loop: Header=BB357_2083 Depth=1
	v_and_b32_e32 v0, 7, v24
	v_ffbh_u32_e32 v0, v0
	v_min_u32_e32 v0, 32, v0
	v_subrev_nc_u32_e32 v10, 28, v0
	v_sub_nc_u32_e32 v0, 29, v0
	v_lshlrev_b64 v[26:27], v10, v[24:25]
; %bb.2551:                             ;   in Loop: Header=BB357_2083 Depth=1
	s_or_b32 exec_lo, exec_lo, s21
	v_lshlrev_b32_e32 v10, 20, v26
	v_lshlrev_b32_e32 v11, 24, v24
	v_lshl_add_u32 v0, v0, 23, 0x3c000000
	v_and_b32_e32 v10, 0x700000, v10
	v_and_b32_e32 v11, 0x80000000, v11
	v_or3_b32 v0, v10, v11, v0
.LBB357_2552:                           ;   in Loop: Header=BB357_2083 Depth=1
	s_or_b32 exec_lo, exec_lo, s20
.LBB357_2553:                           ;   in Loop: Header=BB357_2083 Depth=1
	s_or_b32 exec_lo, exec_lo, s19
.LBB357_2554:                           ;   in Loop: Header=BB357_2083 Depth=1
	s_or_b32 exec_lo, exec_lo, s18
	v_cmp_ne_u16_sdwa s4, v24, v14 src0_sel:BYTE_1 src1_sel:DWORD
	s_and_saveexec_b32 s18, s4
	s_cbranch_execz .LBB357_2562
; %bb.2555:                             ;   in Loop: Header=BB357_2083 Depth=1
	v_cmp_ne_u16_sdwa s4, v24, v115 src0_sel:BYTE_1 src1_sel:DWORD
	v_bfrev_b32_e32 v1, 1
	s_and_saveexec_b32 s19, s4
	s_cbranch_execz .LBB357_2561
; %bb.2556:                             ;   in Loop: Header=BB357_2083 Depth=1
	v_mov_b32_e32 v1, 0xffff
	s_mov_b32 s20, exec_lo
	v_and_b32_sdwa v11, v1, v24 dst_sel:DWORD dst_unused:UNUSED_PAD src0_sel:DWORD src1_sel:BYTE_1
	v_mov_b32_e32 v1, 0x7f800001
	v_and_b32_e32 v10, 0x7f, v11
	v_cmpx_ne_u32_e32 0x7f, v10
	s_cbranch_execz .LBB357_2560
; %bb.2557:                             ;   in Loop: Header=BB357_2083 Depth=1
	v_and_b32_e32 v13, 7, v11
	v_mov_b32_e32 v27, v14
	v_lshrrev_b32_e32 v1, 3, v10
	s_mov_b32 s21, exec_lo
	v_mov_b32_e32 v26, v13
	v_cmpx_gt_u32_e32 8, v10
; %bb.2558:                             ;   in Loop: Header=BB357_2083 Depth=1
	v_ffbh_u32_e32 v1, v13
	v_min_u32_e32 v1, 32, v1
	v_subrev_nc_u32_e32 v10, 28, v1
	v_sub_nc_u32_e32 v1, 29, v1
	v_lshlrev_b64 v[10:11], v10, v[13:14]
	v_and_b32_e32 v26, 7, v10
; %bb.2559:                             ;   in Loop: Header=BB357_2083 Depth=1
	s_or_b32 exec_lo, exec_lo, s21
	v_lshlrev_b32_e32 v10, 16, v24
	v_lshlrev_b32_e32 v11, 20, v26
	v_lshl_add_u32 v1, v1, 23, 0x3c000000
	v_and_b32_e32 v10, 0x80000000, v10
	v_or3_b32 v1, v11, v10, v1
.LBB357_2560:                           ;   in Loop: Header=BB357_2083 Depth=1
	s_or_b32 exec_lo, exec_lo, s20
.LBB357_2561:                           ;   in Loop: Header=BB357_2083 Depth=1
	s_or_b32 exec_lo, exec_lo, s19
.LBB357_2562:                           ;   in Loop: Header=BB357_2083 Depth=1
	s_or_b32 exec_lo, exec_lo, s18
	v_and_b32_sdwa v12, v24, v117 dst_sel:DWORD dst_unused:UNUSED_PAD src0_sel:WORD_1 src1_sel:DWORD
	v_mov_b32_e32 v11, 0
	v_mov_b32_e32 v10, 0
	s_mov_b32 s18, exec_lo
	v_cmpx_ne_u16_e32 0, v12
	s_cbranch_execz .LBB357_2570
; %bb.2563:                             ;   in Loop: Header=BB357_2083 Depth=1
	v_bfrev_b32_e32 v10, 1
	s_mov_b32 s19, exec_lo
	v_cmpx_ne_u16_e32 0x80, v12
	s_cbranch_execz .LBB357_2569
; %bb.2564:                             ;   in Loop: Header=BB357_2083 Depth=1
	v_bfe_u32 v12, v24, 16, 7
	v_mov_b32_e32 v10, 0x7f800001
	s_mov_b32 s20, exec_lo
	v_cmpx_ne_u32_e32 0x7f, v12
	s_cbranch_execz .LBB357_2568
; %bb.2565:                             ;   in Loop: Header=BB357_2083 Depth=1
	v_mov_b32_e32 v10, 7
	s_mov_b32 s21, exec_lo
	v_and_b32_sdwa v13, v24, v10 dst_sel:DWORD dst_unused:UNUSED_PAD src0_sel:WORD_1 src1_sel:DWORD
	v_mov_b32_e32 v27, v14
	v_lshrrev_b32_e32 v10, 3, v12
	v_mov_b32_e32 v26, v13
	v_cmpx_gt_u32_e32 8, v12
; %bb.2566:                             ;   in Loop: Header=BB357_2083 Depth=1
	v_ffbh_u32_e32 v10, v13
	v_min_u32_e32 v10, 32, v10
	v_subrev_nc_u32_e32 v12, 28, v10
	v_sub_nc_u32_e32 v10, 29, v10
	v_lshlrev_b64 v[12:13], v12, v[13:14]
	v_and_b32_e32 v26, 7, v12
; %bb.2567:                             ;   in Loop: Header=BB357_2083 Depth=1
	s_or_b32 exec_lo, exec_lo, s21
	v_mov_b32_e32 v12, 24
	v_lshlrev_b32_e32 v13, 20, v26
	v_lshl_add_u32 v10, v10, 23, 0x3c000000
	v_lshlrev_b32_sdwa v12, v12, v24 dst_sel:DWORD dst_unused:UNUSED_PAD src0_sel:DWORD src1_sel:WORD_1
	v_and_b32_e32 v12, 0x80000000, v12
	v_or3_b32 v10, v13, v12, v10
.LBB357_2568:                           ;   in Loop: Header=BB357_2083 Depth=1
	s_or_b32 exec_lo, exec_lo, s20
.LBB357_2569:                           ;   in Loop: Header=BB357_2083 Depth=1
	s_or_b32 exec_lo, exec_lo, s19
.LBB357_2570:                           ;   in Loop: Header=BB357_2083 Depth=1
	s_or_b32 exec_lo, exec_lo, s18
	s_mov_b32 s18, exec_lo
	v_cmpx_lt_u32_e32 0xffffff, v24
	s_cbranch_execz .LBB357_2578
; %bb.2571:                             ;   in Loop: Header=BB357_2083 Depth=1
	v_cmp_ne_u32_sdwa s4, v24, v115 src0_sel:BYTE_3 src1_sel:DWORD
	v_bfrev_b32_e32 v11, 1
	s_and_saveexec_b32 s19, s4
	s_cbranch_execz .LBB357_2577
; %bb.2572:                             ;   in Loop: Header=BB357_2083 Depth=1
	v_bfe_u32 v12, v24, 24, 7
	v_mov_b32_e32 v11, 0x7f800001
	s_mov_b32 s20, exec_lo
	v_cmpx_ne_u32_e32 0x7f, v12
	s_cbranch_execz .LBB357_2576
; %bb.2573:                             ;   in Loop: Header=BB357_2083 Depth=1
	v_mov_b32_e32 v11, 7
	s_mov_b32 s21, exec_lo
	v_and_b32_sdwa v13, v24, v11 dst_sel:DWORD dst_unused:UNUSED_PAD src0_sel:BYTE_3 src1_sel:DWORD
	v_mov_b32_e32 v27, v14
	v_lshrrev_b32_e32 v11, 3, v12
	v_mov_b32_e32 v26, v13
	v_cmpx_gt_u32_e32 8, v12
; %bb.2574:                             ;   in Loop: Header=BB357_2083 Depth=1
	v_ffbh_u32_e32 v11, v13
	v_min_u32_e32 v11, 32, v11
	v_subrev_nc_u32_e32 v12, 28, v11
	v_sub_nc_u32_e32 v11, 29, v11
	v_lshlrev_b64 v[12:13], v12, v[13:14]
	v_and_b32_e32 v26, 7, v12
; %bb.2575:                             ;   in Loop: Header=BB357_2083 Depth=1
	s_or_b32 exec_lo, exec_lo, s21
	v_mov_b32_e32 v12, 24
	v_lshlrev_b32_e32 v13, 20, v26
	v_lshl_add_u32 v11, v11, 23, 0x3c000000
	v_lshlrev_b32_sdwa v12, v12, v24 dst_sel:DWORD dst_unused:UNUSED_PAD src0_sel:DWORD src1_sel:BYTE_3
	v_and_b32_e32 v12, 0x80000000, v12
	v_or3_b32 v11, v13, v12, v11
.LBB357_2576:                           ;   in Loop: Header=BB357_2083 Depth=1
	s_or_b32 exec_lo, exec_lo, s20
.LBB357_2577:                           ;   in Loop: Header=BB357_2083 Depth=1
	s_or_b32 exec_lo, exec_lo, s19
.LBB357_2578:                           ;   in Loop: Header=BB357_2083 Depth=1
	s_or_b32 exec_lo, exec_lo, s18
	v_mov_b32_e32 v13, v25
	v_cmp_ne_u16_sdwa s4, v25, v14 src0_sel:BYTE_0 src1_sel:DWORD
	v_mov_b32_e32 v28, 0
	v_mov_b32_e32 v22, 0
	s_and_saveexec_b32 s18, s4
	s_cbranch_execz .LBB357_2586
; %bb.2579:                             ;   in Loop: Header=BB357_2083 Depth=1
	v_cmp_ne_u16_sdwa s4, v25, v115 src0_sel:BYTE_0 src1_sel:DWORD
	v_bfrev_b32_e32 v22, 1
	s_and_saveexec_b32 s19, s4
	s_cbranch_execz .LBB357_2585
; %bb.2580:                             ;   in Loop: Header=BB357_2083 Depth=1
	v_and_b32_e32 v21, 0x7f, v25
	v_mov_b32_e32 v22, 0x7f800001
	s_mov_b32 s20, exec_lo
	v_cmpx_ne_u32_e32 0x7f, v21
	s_cbranch_execz .LBB357_2584
; %bb.2581:                             ;   in Loop: Header=BB357_2083 Depth=1
	v_mov_b32_e32 v27, v14
	v_lshrrev_b32_e32 v12, 3, v21
	v_mov_b32_e32 v26, v13
	s_mov_b32 s21, exec_lo
	v_cmpx_gt_u32_e32 8, v21
; %bb.2582:                             ;   in Loop: Header=BB357_2083 Depth=1
	v_and_b32_e32 v12, 7, v25
	v_ffbh_u32_e32 v12, v12
	v_min_u32_e32 v12, 32, v12
	v_subrev_nc_u32_e32 v21, 28, v12
	v_sub_nc_u32_e32 v12, 29, v12
	v_lshlrev_b64 v[26:27], v21, v[13:14]
; %bb.2583:                             ;   in Loop: Header=BB357_2083 Depth=1
	s_or_b32 exec_lo, exec_lo, s21
	v_lshlrev_b32_e32 v21, 20, v26
	v_lshlrev_b32_e32 v22, 24, v13
	v_lshl_add_u32 v12, v12, 23, 0x3c000000
	v_and_b32_e32 v21, 0x700000, v21
	v_and_b32_e32 v22, 0x80000000, v22
	v_or3_b32 v22, v21, v22, v12
.LBB357_2584:                           ;   in Loop: Header=BB357_2083 Depth=1
	s_or_b32 exec_lo, exec_lo, s20
.LBB357_2585:                           ;   in Loop: Header=BB357_2083 Depth=1
	s_or_b32 exec_lo, exec_lo, s19
.LBB357_2586:                           ;   in Loop: Header=BB357_2083 Depth=1
	s_or_b32 exec_lo, exec_lo, s18
	v_cmp_ne_u16_sdwa s4, v13, v14 src0_sel:BYTE_1 src1_sel:DWORD
	s_and_saveexec_b32 s18, s4
	s_cbranch_execz .LBB357_2594
; %bb.2587:                             ;   in Loop: Header=BB357_2083 Depth=1
	v_cmp_ne_u16_sdwa s4, v13, v115 src0_sel:BYTE_1 src1_sel:DWORD
	v_bfrev_b32_e32 v28, 1
	s_and_saveexec_b32 s19, s4
	s_cbranch_execz .LBB357_2593
; %bb.2588:                             ;   in Loop: Header=BB357_2083 Depth=1
	v_mov_b32_e32 v12, 0xffff
	v_mov_b32_e32 v28, 0x7f800001
	s_mov_b32 s20, exec_lo
	v_and_b32_sdwa v12, v12, v13 dst_sel:DWORD dst_unused:UNUSED_PAD src0_sel:DWORD src1_sel:BYTE_1
	v_and_b32_e32 v21, 0x7f, v12
	v_cmpx_ne_u32_e32 0x7f, v21
	s_cbranch_execz .LBB357_2592
; %bb.2589:                             ;   in Loop: Header=BB357_2083 Depth=1
	v_and_b32_e32 v26, 7, v12
	v_mov_b32_e32 v27, v14
	v_lshrrev_b32_e32 v12, 3, v21
	s_mov_b32 s21, exec_lo
	v_cmpx_gt_u32_e32 8, v21
; %bb.2590:                             ;   in Loop: Header=BB357_2083 Depth=1
	v_ffbh_u32_e32 v12, v26
	v_min_u32_e32 v12, 32, v12
	v_subrev_nc_u32_e32 v21, 28, v12
	v_sub_nc_u32_e32 v12, 29, v12
	v_lshlrev_b64 v[26:27], v21, v[26:27]
	v_and_b32_e32 v26, 7, v26
; %bb.2591:                             ;   in Loop: Header=BB357_2083 Depth=1
	s_or_b32 exec_lo, exec_lo, s21
	v_lshlrev_b32_e32 v13, 16, v13
	v_lshlrev_b32_e32 v21, 20, v26
	v_lshl_add_u32 v12, v12, 23, 0x3c000000
	v_and_b32_e32 v13, 0x80000000, v13
	v_or3_b32 v28, v21, v13, v12
.LBB357_2592:                           ;   in Loop: Header=BB357_2083 Depth=1
	s_or_b32 exec_lo, exec_lo, s20
.LBB357_2593:                           ;   in Loop: Header=BB357_2083 Depth=1
	s_or_b32 exec_lo, exec_lo, s19
.LBB357_2594:                           ;   in Loop: Header=BB357_2083 Depth=1
	s_or_b32 exec_lo, exec_lo, s18
	v_and_b32_sdwa v13, v25, v117 dst_sel:DWORD dst_unused:UNUSED_PAD src0_sel:WORD_1 src1_sel:DWORD
	v_mov_b32_e32 v12, 0
	v_mov_b32_e32 v21, 0
	s_mov_b32 s18, exec_lo
	v_cmpx_ne_u16_e32 0, v13
	s_cbranch_execz .LBB357_2602
; %bb.2595:                             ;   in Loop: Header=BB357_2083 Depth=1
	v_bfrev_b32_e32 v21, 1
	s_mov_b32 s19, exec_lo
	v_cmpx_ne_u16_e32 0x80, v13
	s_cbranch_execz .LBB357_2601
; %bb.2596:                             ;   in Loop: Header=BB357_2083 Depth=1
	v_bfe_u32 v26, v25, 16, 7
	v_mov_b32_e32 v21, 0x7f800001
	s_mov_b32 s20, exec_lo
	v_cmpx_ne_u32_e32 0x7f, v26
	s_cbranch_execz .LBB357_2600
; %bb.2597:                             ;   in Loop: Header=BB357_2083 Depth=1
	v_mov_b32_e32 v13, 7
	v_lshrrev_b32_e32 v21, 3, v26
	v_cmp_gt_u32_e64 s4, 8, v26
	v_and_b32_sdwa v13, v25, v13 dst_sel:DWORD dst_unused:UNUSED_PAD src0_sel:WORD_1 src1_sel:DWORD
	v_mov_b32_e32 v27, v14
	v_mov_b32_e32 v26, v13
	s_and_saveexec_b32 s21, s4
; %bb.2598:                             ;   in Loop: Header=BB357_2083 Depth=1
	v_ffbh_u32_e32 v21, v13
	v_min_u32_e32 v21, 32, v21
	v_subrev_nc_u32_e32 v26, 28, v21
	v_sub_nc_u32_e32 v21, 29, v21
	v_lshlrev_b64 v[26:27], v26, v[13:14]
	v_and_b32_e32 v26, 7, v26
; %bb.2599:                             ;   in Loop: Header=BB357_2083 Depth=1
	s_or_b32 exec_lo, exec_lo, s21
	v_mov_b32_e32 v13, 24
	v_lshlrev_b32_e32 v26, 20, v26
	v_lshl_add_u32 v21, v21, 23, 0x3c000000
	v_lshlrev_b32_sdwa v13, v13, v25 dst_sel:DWORD dst_unused:UNUSED_PAD src0_sel:DWORD src1_sel:WORD_1
	v_and_b32_e32 v13, 0x80000000, v13
	v_or3_b32 v21, v26, v13, v21
.LBB357_2600:                           ;   in Loop: Header=BB357_2083 Depth=1
	s_or_b32 exec_lo, exec_lo, s20
.LBB357_2601:                           ;   in Loop: Header=BB357_2083 Depth=1
	s_or_b32 exec_lo, exec_lo, s19
.LBB357_2602:                           ;   in Loop: Header=BB357_2083 Depth=1
	s_or_b32 exec_lo, exec_lo, s18
	s_mov_b32 s18, exec_lo
	v_cmpx_lt_u64_e64 s[6:7], v[24:25]
	s_cbranch_execz .LBB357_2610
; %bb.2603:                             ;   in Loop: Header=BB357_2083 Depth=1
	v_cmp_ne_u32_sdwa s4, v25, v115 src0_sel:BYTE_3 src1_sel:DWORD
	v_bfrev_b32_e32 v12, 1
	s_and_saveexec_b32 s19, s4
	s_cbranch_execz .LBB357_2609
; %bb.2604:                             ;   in Loop: Header=BB357_2083 Depth=1
	v_bfe_u32 v24, v25, 24, 7
	v_mov_b32_e32 v12, 0x7f800001
	s_mov_b32 s20, exec_lo
	v_cmpx_ne_u32_e32 0x7f, v24
	s_cbranch_execz .LBB357_2608
; %bb.2605:                             ;   in Loop: Header=BB357_2083 Depth=1
	v_mov_b32_e32 v12, 7
	s_mov_b32 s21, exec_lo
	v_and_b32_sdwa v13, v25, v12 dst_sel:DWORD dst_unused:UNUSED_PAD src0_sel:BYTE_3 src1_sel:DWORD
	v_mov_b32_e32 v27, v14
	v_lshrrev_b32_e32 v12, 3, v24
	v_mov_b32_e32 v26, v13
	v_cmpx_gt_u32_e32 8, v24
; %bb.2606:                             ;   in Loop: Header=BB357_2083 Depth=1
	v_ffbh_u32_e32 v12, v13
	v_min_u32_e32 v12, 32, v12
	v_subrev_nc_u32_e32 v24, 28, v12
	v_sub_nc_u32_e32 v12, 29, v12
	v_lshlrev_b64 v[26:27], v24, v[13:14]
	v_and_b32_e32 v26, 7, v26
; %bb.2607:                             ;   in Loop: Header=BB357_2083 Depth=1
	s_or_b32 exec_lo, exec_lo, s21
	v_mov_b32_e32 v13, 24
	v_lshlrev_b32_e32 v24, 20, v26
	v_lshl_add_u32 v12, v12, 23, 0x3c000000
	v_lshlrev_b32_sdwa v13, v13, v25 dst_sel:DWORD dst_unused:UNUSED_PAD src0_sel:DWORD src1_sel:BYTE_3
	v_and_b32_e32 v13, 0x80000000, v13
	v_or3_b32 v12, v24, v13, v12
.LBB357_2608:                           ;   in Loop: Header=BB357_2083 Depth=1
	s_or_b32 exec_lo, exec_lo, s20
.LBB357_2609:                           ;   in Loop: Header=BB357_2083 Depth=1
	s_or_b32 exec_lo, exec_lo, s19
.LBB357_2610:                           ;   in Loop: Header=BB357_2083 Depth=1
	s_or_b32 exec_lo, exec_lo, s18
	v_mul_f32_e32 v13, v23, v28
	v_mul_f32_e32 v11, v23, v11
	;; [unrolled: 1-line block ×5, first 2 shown]
	v_bfe_u32 v24, v13, 16, 1
	v_or_b32_e32 v25, 0x400000, v13
	v_cmp_u_f32_e64 s4, v13, v13
	v_add3_u32 v24, v24, v13, 0x7fff
	v_cndmask_b32_e64 v13, v24, v25, s4
	v_lshrrev_b32_e32 v13, 16, v13
	buffer_store_dword v13, off, s[0:3], s32 offset:452 ; 4-byte Folded Spill
	v_mul_f32_e32 v13, v23, v22
	v_bfe_u32 v22, v13, 16, 1
	v_or_b32_e32 v24, 0x400000, v13
	v_cmp_u_f32_e64 s4, v13, v13
	v_add3_u32 v22, v22, v13, 0x7fff
	v_cndmask_b32_e64 v13, v22, v24, s4
	v_or_b32_e32 v22, 0x400000, v11
	v_cmp_u_f32_e64 s4, v11, v11
	v_lshrrev_b32_e32 v13, 16, v13
	buffer_store_dword v13, off, s[0:3], s32 offset:448 ; 4-byte Folded Spill
	v_bfe_u32 v13, v11, 16, 1
	v_add3_u32 v13, v13, v11, 0x7fff
	v_cndmask_b32_e64 v11, v13, v22, s4
	v_or_b32_e32 v13, 0x400000, v10
	v_cmp_u_f32_e64 s4, v10, v10
	v_lshrrev_b32_e32 v11, 16, v11
	buffer_store_dword v11, off, s[0:3], s32 offset:460 ; 4-byte Folded Spill
	v_bfe_u32 v11, v10, 16, 1
	;; [unrolled: 7-line block ×4, first 2 shown]
	v_add3_u32 v1, v1, v0, 0x7fff
	v_cndmask_b32_e64 v0, v1, v10, s4
	v_lshrrev_b32_e32 v0, 16, v0
	buffer_store_dword v0, off, s[0:3], s32 offset:472 ; 4-byte Folded Spill
	v_mul_f32_e32 v0, v23, v21
	v_bfe_u32 v1, v0, 16, 1
	v_or_b32_e32 v10, 0x400000, v0
	v_cmp_u_f32_e64 s4, v0, v0
	v_add3_u32 v1, v1, v0, 0x7fff
	v_cndmask_b32_e64 v0, v1, v10, s4
	v_lshrrev_b32_e32 v0, 16, v0
	buffer_store_dword v0, off, s[0:3], s32 offset:456 ; 4-byte Folded Spill
	v_mul_f32_e32 v0, v23, v12
	v_bfe_u32 v1, v0, 16, 1
	v_or_b32_e32 v10, 0x400000, v0
	v_cmp_u_f32_e64 s4, v0, v0
	v_add3_u32 v1, v1, v0, 0x7fff
	v_cndmask_b32_e64 v0, v1, v10, s4
	v_lshrrev_b32_e32 v0, 16, v0
	buffer_store_dword v0, off, s[0:3], s32 offset:468 ; 4-byte Folded Spill
	s_and_saveexec_b32 s18, vcc_lo
	s_cbranch_execz .LBB357_2612
; %bb.2611:                             ;   in Loop: Header=BB357_2083 Depth=1
	buffer_load_dword v0, off, s[0:3], s32 offset:472 ; 4-byte Folded Reload
	v_cmp_lt_i32_e64 s4, v102, v49
	s_waitcnt vmcnt(0)
	v_cndmask_b32_e64 v0, 0, v0, s4
	v_cmp_lt_i32_e64 s4, v52, v49
	buffer_store_dword v0, off, s[0:3], s32 offset:472 ; 4-byte Folded Spill
	buffer_load_dword v0, off, s[0:3], s32 offset:476 ; 4-byte Folded Reload
	s_waitcnt vmcnt(0)
	v_cndmask_b32_e64 v0, 0, v0, s4
	v_cmp_lt_i32_e64 s4, v51, v49
	buffer_store_dword v0, off, s[0:3], s32 offset:476 ; 4-byte Folded Spill
	buffer_load_dword v0, off, s[0:3], s32 offset:464 ; 4-byte Folded Reload
	;; [unrolled: 5-line block ×7, first 2 shown]
	s_waitcnt vmcnt(0)
	v_cndmask_b32_e64 v0, 0, v0, s4
	buffer_store_dword v0, off, s[0:3], s32 offset:468 ; 4-byte Folded Spill
.LBB357_2612:                           ;   in Loop: Header=BB357_2083 Depth=1
	s_or_b32 exec_lo, exec_lo, s18
	v_add_co_u32 v24, s4, 0x800, v19
	v_add_co_ci_u32_e64 v25, null, 0, v20, s4
	v_mov_b32_e32 v1, 0
	v_mov_b32_e32 v0, 0
	flat_load_dwordx2 v[26:27], v[24:25]
	s_waitcnt vmcnt(0) lgkmcnt(0)
	v_cmp_ne_u16_sdwa s4, v26, v14 src0_sel:BYTE_0 src1_sel:DWORD
	s_and_saveexec_b32 s18, s4
	s_cbranch_execz .LBB357_2620
; %bb.2613:                             ;   in Loop: Header=BB357_2083 Depth=1
	v_cmp_ne_u16_sdwa s4, v26, v115 src0_sel:BYTE_0 src1_sel:DWORD
	v_bfrev_b32_e32 v0, 1
	s_and_saveexec_b32 s19, s4
	s_cbranch_execz .LBB357_2619
; %bb.2614:                             ;   in Loop: Header=BB357_2083 Depth=1
	v_and_b32_e32 v10, 0x7f, v26
	v_mov_b32_e32 v0, 0x7f800001
	s_mov_b32 s20, exec_lo
	v_cmpx_ne_u32_e32 0x7f, v10
	s_cbranch_execz .LBB357_2618
; %bb.2615:                             ;   in Loop: Header=BB357_2083 Depth=1
	v_mov_b32_e32 v29, v27
	v_lshrrev_b32_e32 v0, 3, v10
	v_mov_b32_e32 v28, v26
	s_mov_b32 s21, exec_lo
	v_cmpx_gt_u32_e32 8, v10
; %bb.2616:                             ;   in Loop: Header=BB357_2083 Depth=1
	v_and_b32_e32 v0, 7, v26
	v_ffbh_u32_e32 v0, v0
	v_min_u32_e32 v0, 32, v0
	v_subrev_nc_u32_e32 v10, 28, v0
	v_sub_nc_u32_e32 v0, 29, v0
	v_lshlrev_b64 v[28:29], v10, v[26:27]
; %bb.2617:                             ;   in Loop: Header=BB357_2083 Depth=1
	s_or_b32 exec_lo, exec_lo, s21
	v_lshlrev_b32_e32 v10, 20, v28
	v_lshlrev_b32_e32 v11, 24, v26
	v_lshl_add_u32 v0, v0, 23, 0x3c000000
	v_and_b32_e32 v10, 0x700000, v10
	v_and_b32_e32 v11, 0x80000000, v11
	v_or3_b32 v0, v10, v11, v0
.LBB357_2618:                           ;   in Loop: Header=BB357_2083 Depth=1
	s_or_b32 exec_lo, exec_lo, s20
.LBB357_2619:                           ;   in Loop: Header=BB357_2083 Depth=1
	s_or_b32 exec_lo, exec_lo, s19
.LBB357_2620:                           ;   in Loop: Header=BB357_2083 Depth=1
	s_or_b32 exec_lo, exec_lo, s18
	v_cmp_ne_u16_sdwa s4, v26, v14 src0_sel:BYTE_1 src1_sel:DWORD
	s_and_saveexec_b32 s18, s4
	s_cbranch_execz .LBB357_2628
; %bb.2621:                             ;   in Loop: Header=BB357_2083 Depth=1
	v_cmp_ne_u16_sdwa s4, v26, v115 src0_sel:BYTE_1 src1_sel:DWORD
	v_bfrev_b32_e32 v1, 1
	s_and_saveexec_b32 s19, s4
	s_cbranch_execz .LBB357_2627
; %bb.2622:                             ;   in Loop: Header=BB357_2083 Depth=1
	v_mov_b32_e32 v1, 0xffff
	s_mov_b32 s20, exec_lo
	v_and_b32_sdwa v11, v1, v26 dst_sel:DWORD dst_unused:UNUSED_PAD src0_sel:DWORD src1_sel:BYTE_1
	v_mov_b32_e32 v1, 0x7f800001
	v_and_b32_e32 v10, 0x7f, v11
	v_cmpx_ne_u32_e32 0x7f, v10
	s_cbranch_execz .LBB357_2626
; %bb.2623:                             ;   in Loop: Header=BB357_2083 Depth=1
	v_and_b32_e32 v13, 7, v11
	v_mov_b32_e32 v29, v14
	v_lshrrev_b32_e32 v1, 3, v10
	s_mov_b32 s21, exec_lo
	v_mov_b32_e32 v28, v13
	v_cmpx_gt_u32_e32 8, v10
; %bb.2624:                             ;   in Loop: Header=BB357_2083 Depth=1
	v_ffbh_u32_e32 v1, v13
	v_min_u32_e32 v1, 32, v1
	v_subrev_nc_u32_e32 v10, 28, v1
	v_sub_nc_u32_e32 v1, 29, v1
	v_lshlrev_b64 v[10:11], v10, v[13:14]
	v_and_b32_e32 v28, 7, v10
; %bb.2625:                             ;   in Loop: Header=BB357_2083 Depth=1
	s_or_b32 exec_lo, exec_lo, s21
	v_lshlrev_b32_e32 v10, 16, v26
	v_lshlrev_b32_e32 v11, 20, v28
	v_lshl_add_u32 v1, v1, 23, 0x3c000000
	v_and_b32_e32 v10, 0x80000000, v10
	v_or3_b32 v1, v11, v10, v1
.LBB357_2626:                           ;   in Loop: Header=BB357_2083 Depth=1
	s_or_b32 exec_lo, exec_lo, s20
.LBB357_2627:                           ;   in Loop: Header=BB357_2083 Depth=1
	s_or_b32 exec_lo, exec_lo, s19
.LBB357_2628:                           ;   in Loop: Header=BB357_2083 Depth=1
	s_or_b32 exec_lo, exec_lo, s18
	v_and_b32_sdwa v12, v26, v117 dst_sel:DWORD dst_unused:UNUSED_PAD src0_sel:WORD_1 src1_sel:DWORD
	v_mov_b32_e32 v11, 0
	v_mov_b32_e32 v10, 0
	s_mov_b32 s18, exec_lo
	v_cmpx_ne_u16_e32 0, v12
	s_cbranch_execz .LBB357_2636
; %bb.2629:                             ;   in Loop: Header=BB357_2083 Depth=1
	v_bfrev_b32_e32 v10, 1
	s_mov_b32 s19, exec_lo
	v_cmpx_ne_u16_e32 0x80, v12
	s_cbranch_execz .LBB357_2635
; %bb.2630:                             ;   in Loop: Header=BB357_2083 Depth=1
	v_bfe_u32 v12, v26, 16, 7
	v_mov_b32_e32 v10, 0x7f800001
	s_mov_b32 s20, exec_lo
	v_cmpx_ne_u32_e32 0x7f, v12
	s_cbranch_execz .LBB357_2634
; %bb.2631:                             ;   in Loop: Header=BB357_2083 Depth=1
	v_mov_b32_e32 v10, 7
	s_mov_b32 s21, exec_lo
	v_and_b32_sdwa v13, v26, v10 dst_sel:DWORD dst_unused:UNUSED_PAD src0_sel:WORD_1 src1_sel:DWORD
	v_mov_b32_e32 v29, v14
	v_lshrrev_b32_e32 v10, 3, v12
	v_mov_b32_e32 v28, v13
	v_cmpx_gt_u32_e32 8, v12
; %bb.2632:                             ;   in Loop: Header=BB357_2083 Depth=1
	v_ffbh_u32_e32 v10, v13
	v_min_u32_e32 v10, 32, v10
	v_subrev_nc_u32_e32 v12, 28, v10
	v_sub_nc_u32_e32 v10, 29, v10
	v_lshlrev_b64 v[12:13], v12, v[13:14]
	v_and_b32_e32 v28, 7, v12
; %bb.2633:                             ;   in Loop: Header=BB357_2083 Depth=1
	s_or_b32 exec_lo, exec_lo, s21
	v_mov_b32_e32 v12, 24
	v_lshlrev_b32_e32 v13, 20, v28
	v_lshl_add_u32 v10, v10, 23, 0x3c000000
	v_lshlrev_b32_sdwa v12, v12, v26 dst_sel:DWORD dst_unused:UNUSED_PAD src0_sel:DWORD src1_sel:WORD_1
	v_and_b32_e32 v12, 0x80000000, v12
	v_or3_b32 v10, v13, v12, v10
.LBB357_2634:                           ;   in Loop: Header=BB357_2083 Depth=1
	s_or_b32 exec_lo, exec_lo, s20
.LBB357_2635:                           ;   in Loop: Header=BB357_2083 Depth=1
	s_or_b32 exec_lo, exec_lo, s19
.LBB357_2636:                           ;   in Loop: Header=BB357_2083 Depth=1
	s_or_b32 exec_lo, exec_lo, s18
	s_mov_b32 s18, exec_lo
	v_cmpx_lt_u32_e32 0xffffff, v26
	s_cbranch_execz .LBB357_2644
; %bb.2637:                             ;   in Loop: Header=BB357_2083 Depth=1
	v_cmp_ne_u32_sdwa s4, v26, v115 src0_sel:BYTE_3 src1_sel:DWORD
	v_bfrev_b32_e32 v11, 1
	s_and_saveexec_b32 s19, s4
	s_cbranch_execz .LBB357_2643
; %bb.2638:                             ;   in Loop: Header=BB357_2083 Depth=1
	v_bfe_u32 v12, v26, 24, 7
	v_mov_b32_e32 v11, 0x7f800001
	s_mov_b32 s20, exec_lo
	v_cmpx_ne_u32_e32 0x7f, v12
	s_cbranch_execz .LBB357_2642
; %bb.2639:                             ;   in Loop: Header=BB357_2083 Depth=1
	v_mov_b32_e32 v11, 7
	s_mov_b32 s21, exec_lo
	v_and_b32_sdwa v13, v26, v11 dst_sel:DWORD dst_unused:UNUSED_PAD src0_sel:BYTE_3 src1_sel:DWORD
	v_mov_b32_e32 v29, v14
	v_lshrrev_b32_e32 v11, 3, v12
	v_mov_b32_e32 v28, v13
	v_cmpx_gt_u32_e32 8, v12
; %bb.2640:                             ;   in Loop: Header=BB357_2083 Depth=1
	v_ffbh_u32_e32 v11, v13
	v_min_u32_e32 v11, 32, v11
	v_subrev_nc_u32_e32 v12, 28, v11
	v_sub_nc_u32_e32 v11, 29, v11
	v_lshlrev_b64 v[12:13], v12, v[13:14]
	v_and_b32_e32 v28, 7, v12
; %bb.2641:                             ;   in Loop: Header=BB357_2083 Depth=1
	s_or_b32 exec_lo, exec_lo, s21
	v_mov_b32_e32 v12, 24
	v_lshlrev_b32_e32 v13, 20, v28
	v_lshl_add_u32 v11, v11, 23, 0x3c000000
	v_lshlrev_b32_sdwa v12, v12, v26 dst_sel:DWORD dst_unused:UNUSED_PAD src0_sel:DWORD src1_sel:BYTE_3
	v_and_b32_e32 v12, 0x80000000, v12
	v_or3_b32 v11, v13, v12, v11
.LBB357_2642:                           ;   in Loop: Header=BB357_2083 Depth=1
	s_or_b32 exec_lo, exec_lo, s20
.LBB357_2643:                           ;   in Loop: Header=BB357_2083 Depth=1
	s_or_b32 exec_lo, exec_lo, s19
.LBB357_2644:                           ;   in Loop: Header=BB357_2083 Depth=1
	s_or_b32 exec_lo, exec_lo, s18
	v_mov_b32_e32 v13, v27
	v_cmp_ne_u16_sdwa s4, v27, v14 src0_sel:BYTE_0 src1_sel:DWORD
	v_mov_b32_e32 v30, 0
	v_mov_b32_e32 v22, 0
	s_and_saveexec_b32 s18, s4
	s_cbranch_execz .LBB357_2652
; %bb.2645:                             ;   in Loop: Header=BB357_2083 Depth=1
	v_cmp_ne_u16_sdwa s4, v27, v115 src0_sel:BYTE_0 src1_sel:DWORD
	v_bfrev_b32_e32 v22, 1
	s_and_saveexec_b32 s19, s4
	s_cbranch_execz .LBB357_2651
; %bb.2646:                             ;   in Loop: Header=BB357_2083 Depth=1
	v_and_b32_e32 v21, 0x7f, v27
	v_mov_b32_e32 v22, 0x7f800001
	s_mov_b32 s20, exec_lo
	v_cmpx_ne_u32_e32 0x7f, v21
	s_cbranch_execz .LBB357_2650
; %bb.2647:                             ;   in Loop: Header=BB357_2083 Depth=1
	v_mov_b32_e32 v29, v14
	v_lshrrev_b32_e32 v12, 3, v21
	v_mov_b32_e32 v28, v13
	s_mov_b32 s21, exec_lo
	v_cmpx_gt_u32_e32 8, v21
; %bb.2648:                             ;   in Loop: Header=BB357_2083 Depth=1
	v_and_b32_e32 v12, 7, v27
	v_ffbh_u32_e32 v12, v12
	v_min_u32_e32 v12, 32, v12
	v_subrev_nc_u32_e32 v21, 28, v12
	v_sub_nc_u32_e32 v12, 29, v12
	v_lshlrev_b64 v[28:29], v21, v[13:14]
; %bb.2649:                             ;   in Loop: Header=BB357_2083 Depth=1
	s_or_b32 exec_lo, exec_lo, s21
	v_lshlrev_b32_e32 v21, 20, v28
	v_lshlrev_b32_e32 v22, 24, v13
	v_lshl_add_u32 v12, v12, 23, 0x3c000000
	v_and_b32_e32 v21, 0x700000, v21
	v_and_b32_e32 v22, 0x80000000, v22
	v_or3_b32 v22, v21, v22, v12
.LBB357_2650:                           ;   in Loop: Header=BB357_2083 Depth=1
	s_or_b32 exec_lo, exec_lo, s20
.LBB357_2651:                           ;   in Loop: Header=BB357_2083 Depth=1
	s_or_b32 exec_lo, exec_lo, s19
.LBB357_2652:                           ;   in Loop: Header=BB357_2083 Depth=1
	s_or_b32 exec_lo, exec_lo, s18
	v_cmp_ne_u16_sdwa s4, v13, v14 src0_sel:BYTE_1 src1_sel:DWORD
	s_and_saveexec_b32 s18, s4
	s_cbranch_execz .LBB357_2660
; %bb.2653:                             ;   in Loop: Header=BB357_2083 Depth=1
	v_cmp_ne_u16_sdwa s4, v13, v115 src0_sel:BYTE_1 src1_sel:DWORD
	v_bfrev_b32_e32 v30, 1
	s_and_saveexec_b32 s19, s4
	s_cbranch_execz .LBB357_2659
; %bb.2654:                             ;   in Loop: Header=BB357_2083 Depth=1
	v_mov_b32_e32 v12, 0xffff
	v_mov_b32_e32 v30, 0x7f800001
	s_mov_b32 s20, exec_lo
	v_and_b32_sdwa v12, v12, v13 dst_sel:DWORD dst_unused:UNUSED_PAD src0_sel:DWORD src1_sel:BYTE_1
	v_and_b32_e32 v21, 0x7f, v12
	v_cmpx_ne_u32_e32 0x7f, v21
	s_cbranch_execz .LBB357_2658
; %bb.2655:                             ;   in Loop: Header=BB357_2083 Depth=1
	v_and_b32_e32 v28, 7, v12
	v_mov_b32_e32 v29, v14
	v_lshrrev_b32_e32 v12, 3, v21
	s_mov_b32 s21, exec_lo
	v_cmpx_gt_u32_e32 8, v21
; %bb.2656:                             ;   in Loop: Header=BB357_2083 Depth=1
	v_ffbh_u32_e32 v12, v28
	v_min_u32_e32 v12, 32, v12
	v_subrev_nc_u32_e32 v21, 28, v12
	v_sub_nc_u32_e32 v12, 29, v12
	v_lshlrev_b64 v[28:29], v21, v[28:29]
	v_and_b32_e32 v28, 7, v28
; %bb.2657:                             ;   in Loop: Header=BB357_2083 Depth=1
	s_or_b32 exec_lo, exec_lo, s21
	v_lshlrev_b32_e32 v13, 16, v13
	v_lshlrev_b32_e32 v21, 20, v28
	v_lshl_add_u32 v12, v12, 23, 0x3c000000
	v_and_b32_e32 v13, 0x80000000, v13
	v_or3_b32 v30, v21, v13, v12
.LBB357_2658:                           ;   in Loop: Header=BB357_2083 Depth=1
	s_or_b32 exec_lo, exec_lo, s20
.LBB357_2659:                           ;   in Loop: Header=BB357_2083 Depth=1
	s_or_b32 exec_lo, exec_lo, s19
.LBB357_2660:                           ;   in Loop: Header=BB357_2083 Depth=1
	s_or_b32 exec_lo, exec_lo, s18
	v_and_b32_sdwa v13, v27, v117 dst_sel:DWORD dst_unused:UNUSED_PAD src0_sel:WORD_1 src1_sel:DWORD
	v_mov_b32_e32 v12, 0
	v_mov_b32_e32 v21, 0
	s_mov_b32 s18, exec_lo
	v_cmpx_ne_u16_e32 0, v13
	s_cbranch_execz .LBB357_2668
; %bb.2661:                             ;   in Loop: Header=BB357_2083 Depth=1
	v_bfrev_b32_e32 v21, 1
	s_mov_b32 s19, exec_lo
	v_cmpx_ne_u16_e32 0x80, v13
	s_cbranch_execz .LBB357_2667
; %bb.2662:                             ;   in Loop: Header=BB357_2083 Depth=1
	v_bfe_u32 v28, v27, 16, 7
	v_mov_b32_e32 v21, 0x7f800001
	s_mov_b32 s20, exec_lo
	v_cmpx_ne_u32_e32 0x7f, v28
	s_cbranch_execz .LBB357_2666
; %bb.2663:                             ;   in Loop: Header=BB357_2083 Depth=1
	v_mov_b32_e32 v13, 7
	v_lshrrev_b32_e32 v21, 3, v28
	v_cmp_gt_u32_e64 s4, 8, v28
	v_and_b32_sdwa v13, v27, v13 dst_sel:DWORD dst_unused:UNUSED_PAD src0_sel:WORD_1 src1_sel:DWORD
	v_mov_b32_e32 v29, v14
	v_mov_b32_e32 v28, v13
	s_and_saveexec_b32 s21, s4
; %bb.2664:                             ;   in Loop: Header=BB357_2083 Depth=1
	v_ffbh_u32_e32 v21, v13
	v_min_u32_e32 v21, 32, v21
	v_subrev_nc_u32_e32 v28, 28, v21
	v_sub_nc_u32_e32 v21, 29, v21
	v_lshlrev_b64 v[28:29], v28, v[13:14]
	v_and_b32_e32 v28, 7, v28
; %bb.2665:                             ;   in Loop: Header=BB357_2083 Depth=1
	s_or_b32 exec_lo, exec_lo, s21
	v_mov_b32_e32 v13, 24
	v_lshlrev_b32_e32 v28, 20, v28
	v_lshl_add_u32 v21, v21, 23, 0x3c000000
	v_lshlrev_b32_sdwa v13, v13, v27 dst_sel:DWORD dst_unused:UNUSED_PAD src0_sel:DWORD src1_sel:WORD_1
	v_and_b32_e32 v13, 0x80000000, v13
	v_or3_b32 v21, v28, v13, v21
.LBB357_2666:                           ;   in Loop: Header=BB357_2083 Depth=1
	s_or_b32 exec_lo, exec_lo, s20
.LBB357_2667:                           ;   in Loop: Header=BB357_2083 Depth=1
	s_or_b32 exec_lo, exec_lo, s19
.LBB357_2668:                           ;   in Loop: Header=BB357_2083 Depth=1
	s_or_b32 exec_lo, exec_lo, s18
	s_mov_b32 s18, exec_lo
	v_cmpx_lt_u64_e64 s[6:7], v[26:27]
	s_cbranch_execz .LBB357_2676
; %bb.2669:                             ;   in Loop: Header=BB357_2083 Depth=1
	v_cmp_ne_u32_sdwa s4, v27, v115 src0_sel:BYTE_3 src1_sel:DWORD
	v_bfrev_b32_e32 v12, 1
	s_and_saveexec_b32 s19, s4
	s_cbranch_execz .LBB357_2675
; %bb.2670:                             ;   in Loop: Header=BB357_2083 Depth=1
	v_bfe_u32 v26, v27, 24, 7
	v_mov_b32_e32 v12, 0x7f800001
	s_mov_b32 s20, exec_lo
	v_cmpx_ne_u32_e32 0x7f, v26
	s_cbranch_execz .LBB357_2674
; %bb.2671:                             ;   in Loop: Header=BB357_2083 Depth=1
	v_mov_b32_e32 v12, 7
	s_mov_b32 s21, exec_lo
	v_and_b32_sdwa v13, v27, v12 dst_sel:DWORD dst_unused:UNUSED_PAD src0_sel:BYTE_3 src1_sel:DWORD
	v_mov_b32_e32 v29, v14
	v_lshrrev_b32_e32 v12, 3, v26
	v_mov_b32_e32 v28, v13
	v_cmpx_gt_u32_e32 8, v26
; %bb.2672:                             ;   in Loop: Header=BB357_2083 Depth=1
	v_ffbh_u32_e32 v12, v13
	v_min_u32_e32 v12, 32, v12
	v_subrev_nc_u32_e32 v26, 28, v12
	v_sub_nc_u32_e32 v12, 29, v12
	v_lshlrev_b64 v[28:29], v26, v[13:14]
	v_and_b32_e32 v28, 7, v28
; %bb.2673:                             ;   in Loop: Header=BB357_2083 Depth=1
	s_or_b32 exec_lo, exec_lo, s21
	v_mov_b32_e32 v13, 24
	v_lshlrev_b32_e32 v26, 20, v28
	v_lshl_add_u32 v12, v12, 23, 0x3c000000
	v_lshlrev_b32_sdwa v13, v13, v27 dst_sel:DWORD dst_unused:UNUSED_PAD src0_sel:DWORD src1_sel:BYTE_3
	v_and_b32_e32 v13, 0x80000000, v13
	v_or3_b32 v12, v26, v13, v12
.LBB357_2674:                           ;   in Loop: Header=BB357_2083 Depth=1
	s_or_b32 exec_lo, exec_lo, s20
.LBB357_2675:                           ;   in Loop: Header=BB357_2083 Depth=1
	s_or_b32 exec_lo, exec_lo, s19
.LBB357_2676:                           ;   in Loop: Header=BB357_2083 Depth=1
	s_or_b32 exec_lo, exec_lo, s18
	v_mul_f32_e32 v13, v23, v30
	v_mul_f32_e32 v11, v23, v11
	;; [unrolled: 1-line block ×5, first 2 shown]
	v_bfe_u32 v26, v13, 16, 1
	v_or_b32_e32 v27, 0x400000, v13
	v_cmp_u_f32_e64 s4, v13, v13
	v_add3_u32 v26, v26, v13, 0x7fff
	v_cndmask_b32_e64 v13, v26, v27, s4
	v_lshrrev_b32_e32 v13, 16, v13
	buffer_store_dword v13, off, s[0:3], s32 offset:480 ; 4-byte Folded Spill
	v_mul_f32_e32 v13, v23, v22
	v_bfe_u32 v22, v13, 16, 1
	v_or_b32_e32 v26, 0x400000, v13
	v_cmp_u_f32_e64 s4, v13, v13
	v_add3_u32 v22, v22, v13, 0x7fff
	v_cndmask_b32_e64 v13, v22, v26, s4
	v_or_b32_e32 v22, 0x400000, v11
	v_cmp_u_f32_e64 s4, v11, v11
	v_lshrrev_b32_e32 v13, 16, v13
	buffer_store_dword v13, off, s[0:3], s32 offset:484 ; 4-byte Folded Spill
	v_bfe_u32 v13, v11, 16, 1
	v_add3_u32 v13, v13, v11, 0x7fff
	v_cndmask_b32_e64 v11, v13, v22, s4
	v_or_b32_e32 v13, 0x400000, v10
	v_cmp_u_f32_e64 s4, v10, v10
	v_lshrrev_b32_e32 v11, 16, v11
	buffer_store_dword v11, off, s[0:3], s32 offset:488 ; 4-byte Folded Spill
	v_bfe_u32 v11, v10, 16, 1
	v_add3_u32 v11, v11, v10, 0x7fff
	v_cndmask_b32_e64 v10, v11, v13, s4
	v_or_b32_e32 v11, 0x400000, v1
	v_cmp_u_f32_e64 s4, v1, v1
	v_lshrrev_b32_e32 v10, 16, v10
	buffer_store_dword v10, off, s[0:3], s32 offset:492 ; 4-byte Folded Spill
	v_bfe_u32 v10, v1, 16, 1
	v_add3_u32 v10, v10, v1, 0x7fff
	v_cndmask_b32_e64 v1, v10, v11, s4
	v_or_b32_e32 v10, 0x400000, v0
	v_cmp_u_f32_e64 s4, v0, v0
	v_lshrrev_b32_e32 v1, 16, v1
	buffer_store_dword v1, off, s[0:3], s32 offset:500 ; 4-byte Folded Spill
	v_bfe_u32 v1, v0, 16, 1
	v_add3_u32 v1, v1, v0, 0x7fff
	v_cndmask_b32_e64 v0, v1, v10, s4
	v_lshrrev_b32_e32 v0, 16, v0
	buffer_store_dword v0, off, s[0:3], s32 offset:504 ; 4-byte Folded Spill
	v_mul_f32_e32 v0, v23, v21
	v_bfe_u32 v1, v0, 16, 1
	v_or_b32_e32 v10, 0x400000, v0
	v_cmp_u_f32_e64 s4, v0, v0
	v_add3_u32 v1, v1, v0, 0x7fff
	v_cndmask_b32_e64 v0, v1, v10, s4
	v_lshrrev_b32_e32 v0, 16, v0
	buffer_store_dword v0, off, s[0:3], s32 offset:496 ; 4-byte Folded Spill
	v_mul_f32_e32 v0, v23, v12
	v_bfe_u32 v1, v0, 16, 1
	v_or_b32_e32 v10, 0x400000, v0
	v_cmp_u_f32_e64 s4, v0, v0
	v_add3_u32 v1, v1, v0, 0x7fff
	v_cndmask_b32_e64 v0, v1, v10, s4
	v_lshrrev_b32_e32 v0, 16, v0
	buffer_store_dword v0, off, s[0:3], s32 offset:508 ; 4-byte Folded Spill
	s_and_saveexec_b32 s18, vcc_lo
	s_cbranch_execz .LBB357_2678
; %bb.2677:                             ;   in Loop: Header=BB357_2083 Depth=1
	buffer_load_dword v0, off, s[0:3], s32 offset:504 ; 4-byte Folded Reload
	v_cmp_lt_i32_e64 s4, v102, v49
	s_waitcnt vmcnt(0)
	v_cndmask_b32_e64 v0, 0, v0, s4
	v_cmp_lt_i32_e64 s4, v52, v49
	buffer_store_dword v0, off, s[0:3], s32 offset:504 ; 4-byte Folded Spill
	buffer_load_dword v0, off, s[0:3], s32 offset:500 ; 4-byte Folded Reload
	s_waitcnt vmcnt(0)
	v_cndmask_b32_e64 v0, 0, v0, s4
	v_cmp_lt_i32_e64 s4, v51, v49
	buffer_store_dword v0, off, s[0:3], s32 offset:500 ; 4-byte Folded Spill
	buffer_load_dword v0, off, s[0:3], s32 offset:492 ; 4-byte Folded Reload
	;; [unrolled: 5-line block ×7, first 2 shown]
	s_waitcnt vmcnt(0)
	v_cndmask_b32_e64 v0, 0, v0, s4
	buffer_store_dword v0, off, s[0:3], s32 offset:508 ; 4-byte Folded Spill
.LBB357_2678:                           ;   in Loop: Header=BB357_2083 Depth=1
	s_or_b32 exec_lo, exec_lo, s18
	flat_load_dwordx2 v[26:27], v[24:25] offset:256
	v_mov_b32_e32 v1, 0
	v_mov_b32_e32 v0, 0
	s_waitcnt vmcnt(0) lgkmcnt(0)
	v_cmp_ne_u16_sdwa s4, v26, v14 src0_sel:BYTE_0 src1_sel:DWORD
	s_and_saveexec_b32 s18, s4
	s_cbranch_execz .LBB357_2686
; %bb.2679:                             ;   in Loop: Header=BB357_2083 Depth=1
	v_cmp_ne_u16_sdwa s4, v26, v115 src0_sel:BYTE_0 src1_sel:DWORD
	v_bfrev_b32_e32 v0, 1
	s_and_saveexec_b32 s19, s4
	s_cbranch_execz .LBB357_2685
; %bb.2680:                             ;   in Loop: Header=BB357_2083 Depth=1
	v_and_b32_e32 v10, 0x7f, v26
	v_mov_b32_e32 v0, 0x7f800001
	s_mov_b32 s20, exec_lo
	v_cmpx_ne_u32_e32 0x7f, v10
	s_cbranch_execz .LBB357_2684
; %bb.2681:                             ;   in Loop: Header=BB357_2083 Depth=1
	v_mov_b32_e32 v29, v27
	v_lshrrev_b32_e32 v0, 3, v10
	v_mov_b32_e32 v28, v26
	s_mov_b32 s21, exec_lo
	v_cmpx_gt_u32_e32 8, v10
; %bb.2682:                             ;   in Loop: Header=BB357_2083 Depth=1
	v_and_b32_e32 v0, 7, v26
	v_ffbh_u32_e32 v0, v0
	v_min_u32_e32 v0, 32, v0
	v_subrev_nc_u32_e32 v10, 28, v0
	v_sub_nc_u32_e32 v0, 29, v0
	v_lshlrev_b64 v[28:29], v10, v[26:27]
; %bb.2683:                             ;   in Loop: Header=BB357_2083 Depth=1
	s_or_b32 exec_lo, exec_lo, s21
	v_lshlrev_b32_e32 v10, 20, v28
	v_lshlrev_b32_e32 v11, 24, v26
	v_lshl_add_u32 v0, v0, 23, 0x3c000000
	v_and_b32_e32 v10, 0x700000, v10
	v_and_b32_e32 v11, 0x80000000, v11
	v_or3_b32 v0, v10, v11, v0
.LBB357_2684:                           ;   in Loop: Header=BB357_2083 Depth=1
	s_or_b32 exec_lo, exec_lo, s20
.LBB357_2685:                           ;   in Loop: Header=BB357_2083 Depth=1
	s_or_b32 exec_lo, exec_lo, s19
.LBB357_2686:                           ;   in Loop: Header=BB357_2083 Depth=1
	s_or_b32 exec_lo, exec_lo, s18
	v_cmp_ne_u16_sdwa s4, v26, v14 src0_sel:BYTE_1 src1_sel:DWORD
	s_and_saveexec_b32 s18, s4
	s_cbranch_execz .LBB357_2694
; %bb.2687:                             ;   in Loop: Header=BB357_2083 Depth=1
	v_cmp_ne_u16_sdwa s4, v26, v115 src0_sel:BYTE_1 src1_sel:DWORD
	v_bfrev_b32_e32 v1, 1
	s_and_saveexec_b32 s19, s4
	s_cbranch_execz .LBB357_2693
; %bb.2688:                             ;   in Loop: Header=BB357_2083 Depth=1
	v_mov_b32_e32 v1, 0xffff
	s_mov_b32 s20, exec_lo
	v_and_b32_sdwa v11, v1, v26 dst_sel:DWORD dst_unused:UNUSED_PAD src0_sel:DWORD src1_sel:BYTE_1
	v_mov_b32_e32 v1, 0x7f800001
	v_and_b32_e32 v10, 0x7f, v11
	v_cmpx_ne_u32_e32 0x7f, v10
	s_cbranch_execz .LBB357_2692
; %bb.2689:                             ;   in Loop: Header=BB357_2083 Depth=1
	v_and_b32_e32 v13, 7, v11
	v_mov_b32_e32 v29, v14
	v_lshrrev_b32_e32 v1, 3, v10
	s_mov_b32 s21, exec_lo
	v_mov_b32_e32 v28, v13
	v_cmpx_gt_u32_e32 8, v10
; %bb.2690:                             ;   in Loop: Header=BB357_2083 Depth=1
	v_ffbh_u32_e32 v1, v13
	v_min_u32_e32 v1, 32, v1
	v_subrev_nc_u32_e32 v10, 28, v1
	v_sub_nc_u32_e32 v1, 29, v1
	v_lshlrev_b64 v[10:11], v10, v[13:14]
	v_and_b32_e32 v28, 7, v10
; %bb.2691:                             ;   in Loop: Header=BB357_2083 Depth=1
	s_or_b32 exec_lo, exec_lo, s21
	v_lshlrev_b32_e32 v10, 16, v26
	v_lshlrev_b32_e32 v11, 20, v28
	v_lshl_add_u32 v1, v1, 23, 0x3c000000
	v_and_b32_e32 v10, 0x80000000, v10
	v_or3_b32 v1, v11, v10, v1
.LBB357_2692:                           ;   in Loop: Header=BB357_2083 Depth=1
	s_or_b32 exec_lo, exec_lo, s20
.LBB357_2693:                           ;   in Loop: Header=BB357_2083 Depth=1
	s_or_b32 exec_lo, exec_lo, s19
.LBB357_2694:                           ;   in Loop: Header=BB357_2083 Depth=1
	s_or_b32 exec_lo, exec_lo, s18
	v_and_b32_sdwa v12, v26, v117 dst_sel:DWORD dst_unused:UNUSED_PAD src0_sel:WORD_1 src1_sel:DWORD
	v_mov_b32_e32 v11, 0
	v_mov_b32_e32 v10, 0
	s_mov_b32 s18, exec_lo
	v_cmpx_ne_u16_e32 0, v12
	s_cbranch_execz .LBB357_2702
; %bb.2695:                             ;   in Loop: Header=BB357_2083 Depth=1
	v_bfrev_b32_e32 v10, 1
	s_mov_b32 s19, exec_lo
	v_cmpx_ne_u16_e32 0x80, v12
	s_cbranch_execz .LBB357_2701
; %bb.2696:                             ;   in Loop: Header=BB357_2083 Depth=1
	v_bfe_u32 v12, v26, 16, 7
	v_mov_b32_e32 v10, 0x7f800001
	s_mov_b32 s20, exec_lo
	v_cmpx_ne_u32_e32 0x7f, v12
	s_cbranch_execz .LBB357_2700
; %bb.2697:                             ;   in Loop: Header=BB357_2083 Depth=1
	v_mov_b32_e32 v10, 7
	s_mov_b32 s21, exec_lo
	v_and_b32_sdwa v13, v26, v10 dst_sel:DWORD dst_unused:UNUSED_PAD src0_sel:WORD_1 src1_sel:DWORD
	v_mov_b32_e32 v29, v14
	v_lshrrev_b32_e32 v10, 3, v12
	v_mov_b32_e32 v28, v13
	v_cmpx_gt_u32_e32 8, v12
; %bb.2698:                             ;   in Loop: Header=BB357_2083 Depth=1
	v_ffbh_u32_e32 v10, v13
	v_min_u32_e32 v10, 32, v10
	v_subrev_nc_u32_e32 v12, 28, v10
	v_sub_nc_u32_e32 v10, 29, v10
	v_lshlrev_b64 v[12:13], v12, v[13:14]
	v_and_b32_e32 v28, 7, v12
; %bb.2699:                             ;   in Loop: Header=BB357_2083 Depth=1
	s_or_b32 exec_lo, exec_lo, s21
	v_mov_b32_e32 v12, 24
	v_lshlrev_b32_e32 v13, 20, v28
	v_lshl_add_u32 v10, v10, 23, 0x3c000000
	v_lshlrev_b32_sdwa v12, v12, v26 dst_sel:DWORD dst_unused:UNUSED_PAD src0_sel:DWORD src1_sel:WORD_1
	v_and_b32_e32 v12, 0x80000000, v12
	v_or3_b32 v10, v13, v12, v10
.LBB357_2700:                           ;   in Loop: Header=BB357_2083 Depth=1
	s_or_b32 exec_lo, exec_lo, s20
.LBB357_2701:                           ;   in Loop: Header=BB357_2083 Depth=1
	s_or_b32 exec_lo, exec_lo, s19
.LBB357_2702:                           ;   in Loop: Header=BB357_2083 Depth=1
	s_or_b32 exec_lo, exec_lo, s18
	s_mov_b32 s18, exec_lo
	v_cmpx_lt_u32_e32 0xffffff, v26
	s_cbranch_execz .LBB357_2710
; %bb.2703:                             ;   in Loop: Header=BB357_2083 Depth=1
	v_cmp_ne_u32_sdwa s4, v26, v115 src0_sel:BYTE_3 src1_sel:DWORD
	v_bfrev_b32_e32 v11, 1
	s_and_saveexec_b32 s19, s4
	s_cbranch_execz .LBB357_2709
; %bb.2704:                             ;   in Loop: Header=BB357_2083 Depth=1
	v_bfe_u32 v12, v26, 24, 7
	v_mov_b32_e32 v11, 0x7f800001
	s_mov_b32 s20, exec_lo
	v_cmpx_ne_u32_e32 0x7f, v12
	s_cbranch_execz .LBB357_2708
; %bb.2705:                             ;   in Loop: Header=BB357_2083 Depth=1
	v_mov_b32_e32 v11, 7
	s_mov_b32 s21, exec_lo
	v_and_b32_sdwa v13, v26, v11 dst_sel:DWORD dst_unused:UNUSED_PAD src0_sel:BYTE_3 src1_sel:DWORD
	v_mov_b32_e32 v29, v14
	v_lshrrev_b32_e32 v11, 3, v12
	v_mov_b32_e32 v28, v13
	v_cmpx_gt_u32_e32 8, v12
; %bb.2706:                             ;   in Loop: Header=BB357_2083 Depth=1
	v_ffbh_u32_e32 v11, v13
	v_min_u32_e32 v11, 32, v11
	v_subrev_nc_u32_e32 v12, 28, v11
	v_sub_nc_u32_e32 v11, 29, v11
	v_lshlrev_b64 v[12:13], v12, v[13:14]
	v_and_b32_e32 v28, 7, v12
; %bb.2707:                             ;   in Loop: Header=BB357_2083 Depth=1
	s_or_b32 exec_lo, exec_lo, s21
	v_mov_b32_e32 v12, 24
	v_lshlrev_b32_e32 v13, 20, v28
	v_lshl_add_u32 v11, v11, 23, 0x3c000000
	v_lshlrev_b32_sdwa v12, v12, v26 dst_sel:DWORD dst_unused:UNUSED_PAD src0_sel:DWORD src1_sel:BYTE_3
	v_and_b32_e32 v12, 0x80000000, v12
	v_or3_b32 v11, v13, v12, v11
.LBB357_2708:                           ;   in Loop: Header=BB357_2083 Depth=1
	s_or_b32 exec_lo, exec_lo, s20
.LBB357_2709:                           ;   in Loop: Header=BB357_2083 Depth=1
	s_or_b32 exec_lo, exec_lo, s19
.LBB357_2710:                           ;   in Loop: Header=BB357_2083 Depth=1
	s_or_b32 exec_lo, exec_lo, s18
	v_mov_b32_e32 v13, v27
	v_cmp_ne_u16_sdwa s4, v27, v14 src0_sel:BYTE_0 src1_sel:DWORD
	v_mov_b32_e32 v30, 0
	v_mov_b32_e32 v22, 0
	s_and_saveexec_b32 s18, s4
	s_cbranch_execz .LBB357_2718
; %bb.2711:                             ;   in Loop: Header=BB357_2083 Depth=1
	v_cmp_ne_u16_sdwa s4, v27, v115 src0_sel:BYTE_0 src1_sel:DWORD
	v_bfrev_b32_e32 v22, 1
	s_and_saveexec_b32 s19, s4
	s_cbranch_execz .LBB357_2717
; %bb.2712:                             ;   in Loop: Header=BB357_2083 Depth=1
	v_and_b32_e32 v21, 0x7f, v27
	v_mov_b32_e32 v22, 0x7f800001
	s_mov_b32 s20, exec_lo
	v_cmpx_ne_u32_e32 0x7f, v21
	s_cbranch_execz .LBB357_2716
; %bb.2713:                             ;   in Loop: Header=BB357_2083 Depth=1
	v_mov_b32_e32 v29, v14
	v_lshrrev_b32_e32 v12, 3, v21
	v_mov_b32_e32 v28, v13
	s_mov_b32 s21, exec_lo
	v_cmpx_gt_u32_e32 8, v21
; %bb.2714:                             ;   in Loop: Header=BB357_2083 Depth=1
	v_and_b32_e32 v12, 7, v27
	v_ffbh_u32_e32 v12, v12
	v_min_u32_e32 v12, 32, v12
	v_subrev_nc_u32_e32 v21, 28, v12
	v_sub_nc_u32_e32 v12, 29, v12
	v_lshlrev_b64 v[28:29], v21, v[13:14]
; %bb.2715:                             ;   in Loop: Header=BB357_2083 Depth=1
	s_or_b32 exec_lo, exec_lo, s21
	v_lshlrev_b32_e32 v21, 20, v28
	v_lshlrev_b32_e32 v22, 24, v13
	v_lshl_add_u32 v12, v12, 23, 0x3c000000
	v_and_b32_e32 v21, 0x700000, v21
	v_and_b32_e32 v22, 0x80000000, v22
	v_or3_b32 v22, v21, v22, v12
.LBB357_2716:                           ;   in Loop: Header=BB357_2083 Depth=1
	s_or_b32 exec_lo, exec_lo, s20
.LBB357_2717:                           ;   in Loop: Header=BB357_2083 Depth=1
	s_or_b32 exec_lo, exec_lo, s19
.LBB357_2718:                           ;   in Loop: Header=BB357_2083 Depth=1
	s_or_b32 exec_lo, exec_lo, s18
	v_cmp_ne_u16_sdwa s4, v13, v14 src0_sel:BYTE_1 src1_sel:DWORD
	s_and_saveexec_b32 s18, s4
	s_cbranch_execz .LBB357_2726
; %bb.2719:                             ;   in Loop: Header=BB357_2083 Depth=1
	v_cmp_ne_u16_sdwa s4, v13, v115 src0_sel:BYTE_1 src1_sel:DWORD
	v_bfrev_b32_e32 v30, 1
	s_and_saveexec_b32 s19, s4
	s_cbranch_execz .LBB357_2725
; %bb.2720:                             ;   in Loop: Header=BB357_2083 Depth=1
	v_mov_b32_e32 v12, 0xffff
	v_mov_b32_e32 v30, 0x7f800001
	s_mov_b32 s20, exec_lo
	v_and_b32_sdwa v12, v12, v13 dst_sel:DWORD dst_unused:UNUSED_PAD src0_sel:DWORD src1_sel:BYTE_1
	v_and_b32_e32 v21, 0x7f, v12
	v_cmpx_ne_u32_e32 0x7f, v21
	s_cbranch_execz .LBB357_2724
; %bb.2721:                             ;   in Loop: Header=BB357_2083 Depth=1
	v_and_b32_e32 v28, 7, v12
	v_mov_b32_e32 v29, v14
	v_lshrrev_b32_e32 v12, 3, v21
	s_mov_b32 s21, exec_lo
	v_cmpx_gt_u32_e32 8, v21
; %bb.2722:                             ;   in Loop: Header=BB357_2083 Depth=1
	v_ffbh_u32_e32 v12, v28
	v_min_u32_e32 v12, 32, v12
	v_subrev_nc_u32_e32 v21, 28, v12
	v_sub_nc_u32_e32 v12, 29, v12
	v_lshlrev_b64 v[28:29], v21, v[28:29]
	v_and_b32_e32 v28, 7, v28
; %bb.2723:                             ;   in Loop: Header=BB357_2083 Depth=1
	s_or_b32 exec_lo, exec_lo, s21
	v_lshlrev_b32_e32 v13, 16, v13
	v_lshlrev_b32_e32 v21, 20, v28
	v_lshl_add_u32 v12, v12, 23, 0x3c000000
	v_and_b32_e32 v13, 0x80000000, v13
	v_or3_b32 v30, v21, v13, v12
.LBB357_2724:                           ;   in Loop: Header=BB357_2083 Depth=1
	s_or_b32 exec_lo, exec_lo, s20
.LBB357_2725:                           ;   in Loop: Header=BB357_2083 Depth=1
	s_or_b32 exec_lo, exec_lo, s19
.LBB357_2726:                           ;   in Loop: Header=BB357_2083 Depth=1
	s_or_b32 exec_lo, exec_lo, s18
	v_and_b32_sdwa v13, v27, v117 dst_sel:DWORD dst_unused:UNUSED_PAD src0_sel:WORD_1 src1_sel:DWORD
	v_mov_b32_e32 v12, 0
	v_mov_b32_e32 v21, 0
	s_mov_b32 s18, exec_lo
	v_cmpx_ne_u16_e32 0, v13
	s_cbranch_execz .LBB357_2734
; %bb.2727:                             ;   in Loop: Header=BB357_2083 Depth=1
	v_bfrev_b32_e32 v21, 1
	s_mov_b32 s19, exec_lo
	v_cmpx_ne_u16_e32 0x80, v13
	s_cbranch_execz .LBB357_2733
; %bb.2728:                             ;   in Loop: Header=BB357_2083 Depth=1
	v_bfe_u32 v28, v27, 16, 7
	v_mov_b32_e32 v21, 0x7f800001
	s_mov_b32 s20, exec_lo
	v_cmpx_ne_u32_e32 0x7f, v28
	s_cbranch_execz .LBB357_2732
; %bb.2729:                             ;   in Loop: Header=BB357_2083 Depth=1
	v_mov_b32_e32 v13, 7
	v_lshrrev_b32_e32 v21, 3, v28
	v_cmp_gt_u32_e64 s4, 8, v28
	v_and_b32_sdwa v13, v27, v13 dst_sel:DWORD dst_unused:UNUSED_PAD src0_sel:WORD_1 src1_sel:DWORD
	v_mov_b32_e32 v29, v14
	v_mov_b32_e32 v28, v13
	s_and_saveexec_b32 s21, s4
; %bb.2730:                             ;   in Loop: Header=BB357_2083 Depth=1
	v_ffbh_u32_e32 v21, v13
	v_min_u32_e32 v21, 32, v21
	v_subrev_nc_u32_e32 v28, 28, v21
	v_sub_nc_u32_e32 v21, 29, v21
	v_lshlrev_b64 v[28:29], v28, v[13:14]
	v_and_b32_e32 v28, 7, v28
; %bb.2731:                             ;   in Loop: Header=BB357_2083 Depth=1
	s_or_b32 exec_lo, exec_lo, s21
	v_mov_b32_e32 v13, 24
	v_lshlrev_b32_e32 v28, 20, v28
	v_lshl_add_u32 v21, v21, 23, 0x3c000000
	v_lshlrev_b32_sdwa v13, v13, v27 dst_sel:DWORD dst_unused:UNUSED_PAD src0_sel:DWORD src1_sel:WORD_1
	v_and_b32_e32 v13, 0x80000000, v13
	v_or3_b32 v21, v28, v13, v21
.LBB357_2732:                           ;   in Loop: Header=BB357_2083 Depth=1
	s_or_b32 exec_lo, exec_lo, s20
.LBB357_2733:                           ;   in Loop: Header=BB357_2083 Depth=1
	s_or_b32 exec_lo, exec_lo, s19
.LBB357_2734:                           ;   in Loop: Header=BB357_2083 Depth=1
	s_or_b32 exec_lo, exec_lo, s18
	s_mov_b32 s18, exec_lo
	v_cmpx_lt_u64_e64 s[6:7], v[26:27]
	s_cbranch_execz .LBB357_2742
; %bb.2735:                             ;   in Loop: Header=BB357_2083 Depth=1
	v_cmp_ne_u32_sdwa s4, v27, v115 src0_sel:BYTE_3 src1_sel:DWORD
	v_bfrev_b32_e32 v12, 1
	s_and_saveexec_b32 s19, s4
	s_cbranch_execz .LBB357_2741
; %bb.2736:                             ;   in Loop: Header=BB357_2083 Depth=1
	v_bfe_u32 v26, v27, 24, 7
	v_mov_b32_e32 v12, 0x7f800001
	s_mov_b32 s20, exec_lo
	v_cmpx_ne_u32_e32 0x7f, v26
	s_cbranch_execz .LBB357_2740
; %bb.2737:                             ;   in Loop: Header=BB357_2083 Depth=1
	v_mov_b32_e32 v12, 7
	s_mov_b32 s21, exec_lo
	v_and_b32_sdwa v13, v27, v12 dst_sel:DWORD dst_unused:UNUSED_PAD src0_sel:BYTE_3 src1_sel:DWORD
	v_mov_b32_e32 v29, v14
	v_lshrrev_b32_e32 v12, 3, v26
	v_mov_b32_e32 v28, v13
	v_cmpx_gt_u32_e32 8, v26
; %bb.2738:                             ;   in Loop: Header=BB357_2083 Depth=1
	v_ffbh_u32_e32 v12, v13
	v_min_u32_e32 v12, 32, v12
	v_subrev_nc_u32_e32 v26, 28, v12
	v_sub_nc_u32_e32 v12, 29, v12
	v_lshlrev_b64 v[28:29], v26, v[13:14]
	v_and_b32_e32 v28, 7, v28
; %bb.2739:                             ;   in Loop: Header=BB357_2083 Depth=1
	s_or_b32 exec_lo, exec_lo, s21
	v_mov_b32_e32 v13, 24
	v_lshlrev_b32_e32 v26, 20, v28
	v_lshl_add_u32 v12, v12, 23, 0x3c000000
	v_lshlrev_b32_sdwa v13, v13, v27 dst_sel:DWORD dst_unused:UNUSED_PAD src0_sel:DWORD src1_sel:BYTE_3
	v_and_b32_e32 v13, 0x80000000, v13
	v_or3_b32 v12, v26, v13, v12
.LBB357_2740:                           ;   in Loop: Header=BB357_2083 Depth=1
	s_or_b32 exec_lo, exec_lo, s20
.LBB357_2741:                           ;   in Loop: Header=BB357_2083 Depth=1
	s_or_b32 exec_lo, exec_lo, s19
.LBB357_2742:                           ;   in Loop: Header=BB357_2083 Depth=1
	s_or_b32 exec_lo, exec_lo, s18
	v_mul_f32_e32 v13, v23, v30
	v_mul_f32_e32 v11, v23, v11
	;; [unrolled: 1-line block ×5, first 2 shown]
	v_bfe_u32 v26, v13, 16, 1
	v_or_b32_e32 v27, 0x400000, v13
	v_cmp_u_f32_e64 s4, v13, v13
	v_add3_u32 v26, v26, v13, 0x7fff
	v_cndmask_b32_e64 v13, v26, v27, s4
	v_lshrrev_b32_e32 v13, 16, v13
	buffer_store_dword v13, off, s[0:3], s32 offset:512 ; 4-byte Folded Spill
	v_mul_f32_e32 v13, v23, v22
	v_bfe_u32 v22, v13, 16, 1
	v_or_b32_e32 v26, 0x400000, v13
	v_cmp_u_f32_e64 s4, v13, v13
	v_add3_u32 v22, v22, v13, 0x7fff
	v_cndmask_b32_e64 v13, v22, v26, s4
	v_or_b32_e32 v22, 0x400000, v11
	v_cmp_u_f32_e64 s4, v11, v11
	v_lshrrev_b32_e32 v13, 16, v13
	buffer_store_dword v13, off, s[0:3], s32 offset:516 ; 4-byte Folded Spill
	v_bfe_u32 v13, v11, 16, 1
	v_add3_u32 v13, v13, v11, 0x7fff
	v_cndmask_b32_e64 v11, v13, v22, s4
	v_or_b32_e32 v13, 0x400000, v10
	v_cmp_u_f32_e64 s4, v10, v10
	v_lshrrev_b32_e32 v11, 16, v11
	buffer_store_dword v11, off, s[0:3], s32 offset:520 ; 4-byte Folded Spill
	v_bfe_u32 v11, v10, 16, 1
	;; [unrolled: 7-line block ×4, first 2 shown]
	v_add3_u32 v1, v1, v0, 0x7fff
	v_cndmask_b32_e64 v0, v1, v10, s4
	v_lshrrev_b32_e32 v0, 16, v0
	buffer_store_dword v0, off, s[0:3], s32 offset:536 ; 4-byte Folded Spill
	v_mul_f32_e32 v0, v23, v21
	v_bfe_u32 v1, v0, 16, 1
	v_or_b32_e32 v10, 0x400000, v0
	v_cmp_u_f32_e64 s4, v0, v0
	v_add3_u32 v1, v1, v0, 0x7fff
	v_cndmask_b32_e64 v0, v1, v10, s4
	v_lshrrev_b32_e32 v0, 16, v0
	buffer_store_dword v0, off, s[0:3], s32 offset:532 ; 4-byte Folded Spill
	v_mul_f32_e32 v0, v23, v12
	v_bfe_u32 v1, v0, 16, 1
	v_or_b32_e32 v10, 0x400000, v0
	v_cmp_u_f32_e64 s4, v0, v0
	v_add3_u32 v1, v1, v0, 0x7fff
	v_cndmask_b32_e64 v0, v1, v10, s4
	v_lshrrev_b32_e32 v0, 16, v0
	buffer_store_dword v0, off, s[0:3], s32 offset:540 ; 4-byte Folded Spill
	s_and_saveexec_b32 s18, vcc_lo
	s_cbranch_execz .LBB357_2744
; %bb.2743:                             ;   in Loop: Header=BB357_2083 Depth=1
	buffer_load_dword v0, off, s[0:3], s32 offset:536 ; 4-byte Folded Reload
	v_cmp_lt_i32_e64 s4, v102, v49
	s_waitcnt vmcnt(0)
	v_cndmask_b32_e64 v0, 0, v0, s4
	v_cmp_lt_i32_e64 s4, v52, v49
	buffer_store_dword v0, off, s[0:3], s32 offset:536 ; 4-byte Folded Spill
	buffer_load_dword v0, off, s[0:3], s32 offset:528 ; 4-byte Folded Reload
	s_waitcnt vmcnt(0)
	v_cndmask_b32_e64 v0, 0, v0, s4
	v_cmp_lt_i32_e64 s4, v51, v49
	buffer_store_dword v0, off, s[0:3], s32 offset:528 ; 4-byte Folded Spill
	buffer_load_dword v0, off, s[0:3], s32 offset:524 ; 4-byte Folded Reload
	;; [unrolled: 5-line block ×7, first 2 shown]
	s_waitcnt vmcnt(0)
	v_cndmask_b32_e64 v0, 0, v0, s4
	buffer_store_dword v0, off, s[0:3], s32 offset:540 ; 4-byte Folded Spill
.LBB357_2744:                           ;   in Loop: Header=BB357_2083 Depth=1
	s_or_b32 exec_lo, exec_lo, s18
	flat_load_dwordx2 v[26:27], v[24:25] offset:512
	v_mov_b32_e32 v1, 0
	v_mov_b32_e32 v0, 0
	s_waitcnt vmcnt(0) lgkmcnt(0)
	v_cmp_ne_u16_sdwa s4, v26, v14 src0_sel:BYTE_0 src1_sel:DWORD
	s_and_saveexec_b32 s18, s4
	s_cbranch_execz .LBB357_2752
; %bb.2745:                             ;   in Loop: Header=BB357_2083 Depth=1
	v_cmp_ne_u16_sdwa s4, v26, v115 src0_sel:BYTE_0 src1_sel:DWORD
	v_bfrev_b32_e32 v0, 1
	s_and_saveexec_b32 s19, s4
	s_cbranch_execz .LBB357_2751
; %bb.2746:                             ;   in Loop: Header=BB357_2083 Depth=1
	v_and_b32_e32 v10, 0x7f, v26
	v_mov_b32_e32 v0, 0x7f800001
	s_mov_b32 s20, exec_lo
	v_cmpx_ne_u32_e32 0x7f, v10
	s_cbranch_execz .LBB357_2750
; %bb.2747:                             ;   in Loop: Header=BB357_2083 Depth=1
	v_mov_b32_e32 v29, v27
	v_lshrrev_b32_e32 v0, 3, v10
	v_mov_b32_e32 v28, v26
	s_mov_b32 s21, exec_lo
	v_cmpx_gt_u32_e32 8, v10
; %bb.2748:                             ;   in Loop: Header=BB357_2083 Depth=1
	v_and_b32_e32 v0, 7, v26
	v_ffbh_u32_e32 v0, v0
	v_min_u32_e32 v0, 32, v0
	v_subrev_nc_u32_e32 v10, 28, v0
	v_sub_nc_u32_e32 v0, 29, v0
	v_lshlrev_b64 v[28:29], v10, v[26:27]
; %bb.2749:                             ;   in Loop: Header=BB357_2083 Depth=1
	s_or_b32 exec_lo, exec_lo, s21
	v_lshlrev_b32_e32 v10, 20, v28
	v_lshlrev_b32_e32 v11, 24, v26
	v_lshl_add_u32 v0, v0, 23, 0x3c000000
	v_and_b32_e32 v10, 0x700000, v10
	v_and_b32_e32 v11, 0x80000000, v11
	v_or3_b32 v0, v10, v11, v0
.LBB357_2750:                           ;   in Loop: Header=BB357_2083 Depth=1
	s_or_b32 exec_lo, exec_lo, s20
.LBB357_2751:                           ;   in Loop: Header=BB357_2083 Depth=1
	s_or_b32 exec_lo, exec_lo, s19
.LBB357_2752:                           ;   in Loop: Header=BB357_2083 Depth=1
	s_or_b32 exec_lo, exec_lo, s18
	v_cmp_ne_u16_sdwa s4, v26, v14 src0_sel:BYTE_1 src1_sel:DWORD
	s_and_saveexec_b32 s18, s4
	s_cbranch_execz .LBB357_2760
; %bb.2753:                             ;   in Loop: Header=BB357_2083 Depth=1
	v_cmp_ne_u16_sdwa s4, v26, v115 src0_sel:BYTE_1 src1_sel:DWORD
	v_bfrev_b32_e32 v1, 1
	s_and_saveexec_b32 s19, s4
	s_cbranch_execz .LBB357_2759
; %bb.2754:                             ;   in Loop: Header=BB357_2083 Depth=1
	v_mov_b32_e32 v1, 0xffff
	s_mov_b32 s20, exec_lo
	v_and_b32_sdwa v11, v1, v26 dst_sel:DWORD dst_unused:UNUSED_PAD src0_sel:DWORD src1_sel:BYTE_1
	v_mov_b32_e32 v1, 0x7f800001
	v_and_b32_e32 v10, 0x7f, v11
	v_cmpx_ne_u32_e32 0x7f, v10
	s_cbranch_execz .LBB357_2758
; %bb.2755:                             ;   in Loop: Header=BB357_2083 Depth=1
	v_and_b32_e32 v13, 7, v11
	v_mov_b32_e32 v29, v14
	v_lshrrev_b32_e32 v1, 3, v10
	s_mov_b32 s21, exec_lo
	v_mov_b32_e32 v28, v13
	v_cmpx_gt_u32_e32 8, v10
; %bb.2756:                             ;   in Loop: Header=BB357_2083 Depth=1
	v_ffbh_u32_e32 v1, v13
	v_min_u32_e32 v1, 32, v1
	v_subrev_nc_u32_e32 v10, 28, v1
	v_sub_nc_u32_e32 v1, 29, v1
	v_lshlrev_b64 v[10:11], v10, v[13:14]
	v_and_b32_e32 v28, 7, v10
; %bb.2757:                             ;   in Loop: Header=BB357_2083 Depth=1
	s_or_b32 exec_lo, exec_lo, s21
	v_lshlrev_b32_e32 v10, 16, v26
	v_lshlrev_b32_e32 v11, 20, v28
	v_lshl_add_u32 v1, v1, 23, 0x3c000000
	v_and_b32_e32 v10, 0x80000000, v10
	v_or3_b32 v1, v11, v10, v1
.LBB357_2758:                           ;   in Loop: Header=BB357_2083 Depth=1
	s_or_b32 exec_lo, exec_lo, s20
.LBB357_2759:                           ;   in Loop: Header=BB357_2083 Depth=1
	s_or_b32 exec_lo, exec_lo, s19
.LBB357_2760:                           ;   in Loop: Header=BB357_2083 Depth=1
	s_or_b32 exec_lo, exec_lo, s18
	v_and_b32_sdwa v12, v26, v117 dst_sel:DWORD dst_unused:UNUSED_PAD src0_sel:WORD_1 src1_sel:DWORD
	v_mov_b32_e32 v11, 0
	v_mov_b32_e32 v10, 0
	s_mov_b32 s18, exec_lo
	v_cmpx_ne_u16_e32 0, v12
	s_cbranch_execz .LBB357_2768
; %bb.2761:                             ;   in Loop: Header=BB357_2083 Depth=1
	v_bfrev_b32_e32 v10, 1
	s_mov_b32 s19, exec_lo
	v_cmpx_ne_u16_e32 0x80, v12
	s_cbranch_execz .LBB357_2767
; %bb.2762:                             ;   in Loop: Header=BB357_2083 Depth=1
	v_bfe_u32 v12, v26, 16, 7
	v_mov_b32_e32 v10, 0x7f800001
	s_mov_b32 s20, exec_lo
	v_cmpx_ne_u32_e32 0x7f, v12
	s_cbranch_execz .LBB357_2766
; %bb.2763:                             ;   in Loop: Header=BB357_2083 Depth=1
	v_mov_b32_e32 v10, 7
	s_mov_b32 s21, exec_lo
	v_and_b32_sdwa v13, v26, v10 dst_sel:DWORD dst_unused:UNUSED_PAD src0_sel:WORD_1 src1_sel:DWORD
	v_mov_b32_e32 v29, v14
	v_lshrrev_b32_e32 v10, 3, v12
	v_mov_b32_e32 v28, v13
	v_cmpx_gt_u32_e32 8, v12
; %bb.2764:                             ;   in Loop: Header=BB357_2083 Depth=1
	v_ffbh_u32_e32 v10, v13
	v_min_u32_e32 v10, 32, v10
	v_subrev_nc_u32_e32 v12, 28, v10
	v_sub_nc_u32_e32 v10, 29, v10
	v_lshlrev_b64 v[12:13], v12, v[13:14]
	v_and_b32_e32 v28, 7, v12
; %bb.2765:                             ;   in Loop: Header=BB357_2083 Depth=1
	s_or_b32 exec_lo, exec_lo, s21
	v_mov_b32_e32 v12, 24
	v_lshlrev_b32_e32 v13, 20, v28
	v_lshl_add_u32 v10, v10, 23, 0x3c000000
	v_lshlrev_b32_sdwa v12, v12, v26 dst_sel:DWORD dst_unused:UNUSED_PAD src0_sel:DWORD src1_sel:WORD_1
	v_and_b32_e32 v12, 0x80000000, v12
	v_or3_b32 v10, v13, v12, v10
.LBB357_2766:                           ;   in Loop: Header=BB357_2083 Depth=1
	s_or_b32 exec_lo, exec_lo, s20
.LBB357_2767:                           ;   in Loop: Header=BB357_2083 Depth=1
	s_or_b32 exec_lo, exec_lo, s19
.LBB357_2768:                           ;   in Loop: Header=BB357_2083 Depth=1
	s_or_b32 exec_lo, exec_lo, s18
	s_mov_b32 s18, exec_lo
	v_cmpx_lt_u32_e32 0xffffff, v26
	s_cbranch_execz .LBB357_2776
; %bb.2769:                             ;   in Loop: Header=BB357_2083 Depth=1
	v_cmp_ne_u32_sdwa s4, v26, v115 src0_sel:BYTE_3 src1_sel:DWORD
	v_bfrev_b32_e32 v11, 1
	s_and_saveexec_b32 s19, s4
	s_cbranch_execz .LBB357_2775
; %bb.2770:                             ;   in Loop: Header=BB357_2083 Depth=1
	v_bfe_u32 v12, v26, 24, 7
	v_mov_b32_e32 v11, 0x7f800001
	s_mov_b32 s20, exec_lo
	v_cmpx_ne_u32_e32 0x7f, v12
	s_cbranch_execz .LBB357_2774
; %bb.2771:                             ;   in Loop: Header=BB357_2083 Depth=1
	v_mov_b32_e32 v11, 7
	s_mov_b32 s21, exec_lo
	v_and_b32_sdwa v13, v26, v11 dst_sel:DWORD dst_unused:UNUSED_PAD src0_sel:BYTE_3 src1_sel:DWORD
	v_mov_b32_e32 v29, v14
	v_lshrrev_b32_e32 v11, 3, v12
	v_mov_b32_e32 v28, v13
	v_cmpx_gt_u32_e32 8, v12
; %bb.2772:                             ;   in Loop: Header=BB357_2083 Depth=1
	v_ffbh_u32_e32 v11, v13
	v_min_u32_e32 v11, 32, v11
	v_subrev_nc_u32_e32 v12, 28, v11
	v_sub_nc_u32_e32 v11, 29, v11
	v_lshlrev_b64 v[12:13], v12, v[13:14]
	v_and_b32_e32 v28, 7, v12
; %bb.2773:                             ;   in Loop: Header=BB357_2083 Depth=1
	s_or_b32 exec_lo, exec_lo, s21
	v_mov_b32_e32 v12, 24
	v_lshlrev_b32_e32 v13, 20, v28
	v_lshl_add_u32 v11, v11, 23, 0x3c000000
	v_lshlrev_b32_sdwa v12, v12, v26 dst_sel:DWORD dst_unused:UNUSED_PAD src0_sel:DWORD src1_sel:BYTE_3
	v_and_b32_e32 v12, 0x80000000, v12
	v_or3_b32 v11, v13, v12, v11
.LBB357_2774:                           ;   in Loop: Header=BB357_2083 Depth=1
	s_or_b32 exec_lo, exec_lo, s20
.LBB357_2775:                           ;   in Loop: Header=BB357_2083 Depth=1
	s_or_b32 exec_lo, exec_lo, s19
.LBB357_2776:                           ;   in Loop: Header=BB357_2083 Depth=1
	s_or_b32 exec_lo, exec_lo, s18
	v_mov_b32_e32 v13, v27
	v_cmp_ne_u16_sdwa s4, v27, v14 src0_sel:BYTE_0 src1_sel:DWORD
	v_mov_b32_e32 v30, 0
	v_mov_b32_e32 v22, 0
	s_and_saveexec_b32 s18, s4
	s_cbranch_execz .LBB357_2784
; %bb.2777:                             ;   in Loop: Header=BB357_2083 Depth=1
	v_cmp_ne_u16_sdwa s4, v27, v115 src0_sel:BYTE_0 src1_sel:DWORD
	v_bfrev_b32_e32 v22, 1
	s_and_saveexec_b32 s19, s4
	s_cbranch_execz .LBB357_2783
; %bb.2778:                             ;   in Loop: Header=BB357_2083 Depth=1
	v_and_b32_e32 v21, 0x7f, v27
	v_mov_b32_e32 v22, 0x7f800001
	s_mov_b32 s20, exec_lo
	v_cmpx_ne_u32_e32 0x7f, v21
	s_cbranch_execz .LBB357_2782
; %bb.2779:                             ;   in Loop: Header=BB357_2083 Depth=1
	v_mov_b32_e32 v29, v14
	v_lshrrev_b32_e32 v12, 3, v21
	v_mov_b32_e32 v28, v13
	s_mov_b32 s21, exec_lo
	v_cmpx_gt_u32_e32 8, v21
; %bb.2780:                             ;   in Loop: Header=BB357_2083 Depth=1
	v_and_b32_e32 v12, 7, v27
	v_ffbh_u32_e32 v12, v12
	v_min_u32_e32 v12, 32, v12
	v_subrev_nc_u32_e32 v21, 28, v12
	v_sub_nc_u32_e32 v12, 29, v12
	v_lshlrev_b64 v[28:29], v21, v[13:14]
; %bb.2781:                             ;   in Loop: Header=BB357_2083 Depth=1
	s_or_b32 exec_lo, exec_lo, s21
	v_lshlrev_b32_e32 v21, 20, v28
	v_lshlrev_b32_e32 v22, 24, v13
	v_lshl_add_u32 v12, v12, 23, 0x3c000000
	v_and_b32_e32 v21, 0x700000, v21
	v_and_b32_e32 v22, 0x80000000, v22
	v_or3_b32 v22, v21, v22, v12
.LBB357_2782:                           ;   in Loop: Header=BB357_2083 Depth=1
	s_or_b32 exec_lo, exec_lo, s20
.LBB357_2783:                           ;   in Loop: Header=BB357_2083 Depth=1
	s_or_b32 exec_lo, exec_lo, s19
.LBB357_2784:                           ;   in Loop: Header=BB357_2083 Depth=1
	s_or_b32 exec_lo, exec_lo, s18
	v_cmp_ne_u16_sdwa s4, v13, v14 src0_sel:BYTE_1 src1_sel:DWORD
	s_and_saveexec_b32 s18, s4
	s_cbranch_execz .LBB357_2792
; %bb.2785:                             ;   in Loop: Header=BB357_2083 Depth=1
	v_cmp_ne_u16_sdwa s4, v13, v115 src0_sel:BYTE_1 src1_sel:DWORD
	v_bfrev_b32_e32 v30, 1
	s_and_saveexec_b32 s19, s4
	s_cbranch_execz .LBB357_2791
; %bb.2786:                             ;   in Loop: Header=BB357_2083 Depth=1
	v_mov_b32_e32 v12, 0xffff
	v_mov_b32_e32 v30, 0x7f800001
	s_mov_b32 s20, exec_lo
	v_and_b32_sdwa v12, v12, v13 dst_sel:DWORD dst_unused:UNUSED_PAD src0_sel:DWORD src1_sel:BYTE_1
	v_and_b32_e32 v21, 0x7f, v12
	v_cmpx_ne_u32_e32 0x7f, v21
	s_cbranch_execz .LBB357_2790
; %bb.2787:                             ;   in Loop: Header=BB357_2083 Depth=1
	v_and_b32_e32 v28, 7, v12
	v_mov_b32_e32 v29, v14
	v_lshrrev_b32_e32 v12, 3, v21
	s_mov_b32 s21, exec_lo
	v_cmpx_gt_u32_e32 8, v21
; %bb.2788:                             ;   in Loop: Header=BB357_2083 Depth=1
	v_ffbh_u32_e32 v12, v28
	v_min_u32_e32 v12, 32, v12
	v_subrev_nc_u32_e32 v21, 28, v12
	v_sub_nc_u32_e32 v12, 29, v12
	v_lshlrev_b64 v[28:29], v21, v[28:29]
	v_and_b32_e32 v28, 7, v28
; %bb.2789:                             ;   in Loop: Header=BB357_2083 Depth=1
	s_or_b32 exec_lo, exec_lo, s21
	v_lshlrev_b32_e32 v13, 16, v13
	v_lshlrev_b32_e32 v21, 20, v28
	v_lshl_add_u32 v12, v12, 23, 0x3c000000
	v_and_b32_e32 v13, 0x80000000, v13
	v_or3_b32 v30, v21, v13, v12
.LBB357_2790:                           ;   in Loop: Header=BB357_2083 Depth=1
	s_or_b32 exec_lo, exec_lo, s20
.LBB357_2791:                           ;   in Loop: Header=BB357_2083 Depth=1
	s_or_b32 exec_lo, exec_lo, s19
.LBB357_2792:                           ;   in Loop: Header=BB357_2083 Depth=1
	s_or_b32 exec_lo, exec_lo, s18
	v_and_b32_sdwa v13, v27, v117 dst_sel:DWORD dst_unused:UNUSED_PAD src0_sel:WORD_1 src1_sel:DWORD
	v_mov_b32_e32 v12, 0
	v_mov_b32_e32 v21, 0
	s_mov_b32 s18, exec_lo
	v_cmpx_ne_u16_e32 0, v13
	s_cbranch_execz .LBB357_2800
; %bb.2793:                             ;   in Loop: Header=BB357_2083 Depth=1
	v_bfrev_b32_e32 v21, 1
	s_mov_b32 s19, exec_lo
	v_cmpx_ne_u16_e32 0x80, v13
	s_cbranch_execz .LBB357_2799
; %bb.2794:                             ;   in Loop: Header=BB357_2083 Depth=1
	v_bfe_u32 v28, v27, 16, 7
	v_mov_b32_e32 v21, 0x7f800001
	s_mov_b32 s20, exec_lo
	v_cmpx_ne_u32_e32 0x7f, v28
	s_cbranch_execz .LBB357_2798
; %bb.2795:                             ;   in Loop: Header=BB357_2083 Depth=1
	v_mov_b32_e32 v13, 7
	v_lshrrev_b32_e32 v21, 3, v28
	v_cmp_gt_u32_e64 s4, 8, v28
	v_and_b32_sdwa v13, v27, v13 dst_sel:DWORD dst_unused:UNUSED_PAD src0_sel:WORD_1 src1_sel:DWORD
	v_mov_b32_e32 v29, v14
	v_mov_b32_e32 v28, v13
	s_and_saveexec_b32 s21, s4
; %bb.2796:                             ;   in Loop: Header=BB357_2083 Depth=1
	v_ffbh_u32_e32 v21, v13
	v_min_u32_e32 v21, 32, v21
	v_subrev_nc_u32_e32 v28, 28, v21
	v_sub_nc_u32_e32 v21, 29, v21
	v_lshlrev_b64 v[28:29], v28, v[13:14]
	v_and_b32_e32 v28, 7, v28
; %bb.2797:                             ;   in Loop: Header=BB357_2083 Depth=1
	s_or_b32 exec_lo, exec_lo, s21
	v_mov_b32_e32 v13, 24
	v_lshlrev_b32_e32 v28, 20, v28
	v_lshl_add_u32 v21, v21, 23, 0x3c000000
	v_lshlrev_b32_sdwa v13, v13, v27 dst_sel:DWORD dst_unused:UNUSED_PAD src0_sel:DWORD src1_sel:WORD_1
	v_and_b32_e32 v13, 0x80000000, v13
	v_or3_b32 v21, v28, v13, v21
.LBB357_2798:                           ;   in Loop: Header=BB357_2083 Depth=1
	s_or_b32 exec_lo, exec_lo, s20
.LBB357_2799:                           ;   in Loop: Header=BB357_2083 Depth=1
	s_or_b32 exec_lo, exec_lo, s19
.LBB357_2800:                           ;   in Loop: Header=BB357_2083 Depth=1
	s_or_b32 exec_lo, exec_lo, s18
	s_mov_b32 s18, exec_lo
	v_cmpx_lt_u64_e64 s[6:7], v[26:27]
	s_cbranch_execz .LBB357_2808
; %bb.2801:                             ;   in Loop: Header=BB357_2083 Depth=1
	v_cmp_ne_u32_sdwa s4, v27, v115 src0_sel:BYTE_3 src1_sel:DWORD
	v_bfrev_b32_e32 v12, 1
	s_and_saveexec_b32 s19, s4
	s_cbranch_execz .LBB357_2807
; %bb.2802:                             ;   in Loop: Header=BB357_2083 Depth=1
	v_bfe_u32 v26, v27, 24, 7
	v_mov_b32_e32 v12, 0x7f800001
	s_mov_b32 s20, exec_lo
	v_cmpx_ne_u32_e32 0x7f, v26
	s_cbranch_execz .LBB357_2806
; %bb.2803:                             ;   in Loop: Header=BB357_2083 Depth=1
	v_mov_b32_e32 v12, 7
	s_mov_b32 s21, exec_lo
	v_and_b32_sdwa v13, v27, v12 dst_sel:DWORD dst_unused:UNUSED_PAD src0_sel:BYTE_3 src1_sel:DWORD
	v_mov_b32_e32 v29, v14
	v_lshrrev_b32_e32 v12, 3, v26
	v_mov_b32_e32 v28, v13
	v_cmpx_gt_u32_e32 8, v26
; %bb.2804:                             ;   in Loop: Header=BB357_2083 Depth=1
	v_ffbh_u32_e32 v12, v13
	v_min_u32_e32 v12, 32, v12
	v_subrev_nc_u32_e32 v26, 28, v12
	v_sub_nc_u32_e32 v12, 29, v12
	v_lshlrev_b64 v[28:29], v26, v[13:14]
	v_and_b32_e32 v28, 7, v28
; %bb.2805:                             ;   in Loop: Header=BB357_2083 Depth=1
	s_or_b32 exec_lo, exec_lo, s21
	v_mov_b32_e32 v13, 24
	v_lshlrev_b32_e32 v26, 20, v28
	v_lshl_add_u32 v12, v12, 23, 0x3c000000
	v_lshlrev_b32_sdwa v13, v13, v27 dst_sel:DWORD dst_unused:UNUSED_PAD src0_sel:DWORD src1_sel:BYTE_3
	v_and_b32_e32 v13, 0x80000000, v13
	v_or3_b32 v12, v26, v13, v12
.LBB357_2806:                           ;   in Loop: Header=BB357_2083 Depth=1
	s_or_b32 exec_lo, exec_lo, s20
.LBB357_2807:                           ;   in Loop: Header=BB357_2083 Depth=1
	s_or_b32 exec_lo, exec_lo, s19
.LBB357_2808:                           ;   in Loop: Header=BB357_2083 Depth=1
	s_or_b32 exec_lo, exec_lo, s18
	v_mul_f32_e32 v13, v23, v30
	v_mul_f32_e32 v11, v23, v11
	;; [unrolled: 1-line block ×5, first 2 shown]
	v_bfe_u32 v26, v13, 16, 1
	v_or_b32_e32 v27, 0x400000, v13
	v_cmp_u_f32_e64 s4, v13, v13
	v_add3_u32 v26, v26, v13, 0x7fff
	v_cndmask_b32_e64 v13, v26, v27, s4
	v_lshrrev_b32_e32 v13, 16, v13
	buffer_store_dword v13, off, s[0:3], s32 offset:544 ; 4-byte Folded Spill
	v_mul_f32_e32 v13, v23, v22
	v_bfe_u32 v22, v13, 16, 1
	v_or_b32_e32 v26, 0x400000, v13
	v_cmp_u_f32_e64 s4, v13, v13
	v_add3_u32 v22, v22, v13, 0x7fff
	v_cndmask_b32_e64 v13, v22, v26, s4
	v_or_b32_e32 v22, 0x400000, v11
	v_cmp_u_f32_e64 s4, v11, v11
	v_lshrrev_b32_e32 v13, 16, v13
	buffer_store_dword v13, off, s[0:3], s32 offset:548 ; 4-byte Folded Spill
	v_bfe_u32 v13, v11, 16, 1
	v_add3_u32 v13, v13, v11, 0x7fff
	v_cndmask_b32_e64 v11, v13, v22, s4
	v_or_b32_e32 v13, 0x400000, v10
	v_cmp_u_f32_e64 s4, v10, v10
	v_lshrrev_b32_e32 v11, 16, v11
	buffer_store_dword v11, off, s[0:3], s32 offset:552 ; 4-byte Folded Spill
	v_bfe_u32 v11, v10, 16, 1
	v_add3_u32 v11, v11, v10, 0x7fff
	v_cndmask_b32_e64 v10, v11, v13, s4
	v_or_b32_e32 v11, 0x400000, v1
	v_cmp_u_f32_e64 s4, v1, v1
	v_lshrrev_b32_e32 v10, 16, v10
	buffer_store_dword v10, off, s[0:3], s32 offset:556 ; 4-byte Folded Spill
	v_bfe_u32 v10, v1, 16, 1
	v_add3_u32 v10, v10, v1, 0x7fff
	v_cndmask_b32_e64 v1, v10, v11, s4
	v_or_b32_e32 v10, 0x400000, v0
	v_cmp_u_f32_e64 s4, v0, v0
	v_lshrrev_b32_e32 v1, 16, v1
	buffer_store_dword v1, off, s[0:3], s32 offset:560 ; 4-byte Folded Spill
	v_bfe_u32 v1, v0, 16, 1
	v_add3_u32 v1, v1, v0, 0x7fff
	v_cndmask_b32_e64 v0, v1, v10, s4
	v_lshrrev_b32_e32 v0, 16, v0
	buffer_store_dword v0, off, s[0:3], s32 offset:568 ; 4-byte Folded Spill
	v_mul_f32_e32 v0, v23, v21
	v_bfe_u32 v1, v0, 16, 1
	v_or_b32_e32 v10, 0x400000, v0
	v_cmp_u_f32_e64 s4, v0, v0
	v_add3_u32 v1, v1, v0, 0x7fff
	v_cndmask_b32_e64 v0, v1, v10, s4
	v_lshrrev_b32_e32 v0, 16, v0
	buffer_store_dword v0, off, s[0:3], s32 offset:564 ; 4-byte Folded Spill
	v_mul_f32_e32 v0, v23, v12
	v_bfe_u32 v1, v0, 16, 1
	v_or_b32_e32 v10, 0x400000, v0
	v_cmp_u_f32_e64 s4, v0, v0
	v_add3_u32 v1, v1, v0, 0x7fff
	v_cndmask_b32_e64 v0, v1, v10, s4
	v_lshrrev_b32_e32 v0, 16, v0
	buffer_store_dword v0, off, s[0:3], s32 offset:572 ; 4-byte Folded Spill
	s_and_saveexec_b32 s18, vcc_lo
	s_cbranch_execz .LBB357_2810
; %bb.2809:                             ;   in Loop: Header=BB357_2083 Depth=1
	buffer_load_dword v0, off, s[0:3], s32 offset:568 ; 4-byte Folded Reload
	v_cmp_lt_i32_e64 s4, v102, v49
	s_waitcnt vmcnt(0)
	v_cndmask_b32_e64 v0, 0, v0, s4
	v_cmp_lt_i32_e64 s4, v52, v49
	buffer_store_dword v0, off, s[0:3], s32 offset:568 ; 4-byte Folded Spill
	buffer_load_dword v0, off, s[0:3], s32 offset:560 ; 4-byte Folded Reload
	s_waitcnt vmcnt(0)
	v_cndmask_b32_e64 v0, 0, v0, s4
	v_cmp_lt_i32_e64 s4, v51, v49
	buffer_store_dword v0, off, s[0:3], s32 offset:560 ; 4-byte Folded Spill
	buffer_load_dword v0, off, s[0:3], s32 offset:556 ; 4-byte Folded Reload
	;; [unrolled: 5-line block ×7, first 2 shown]
	s_waitcnt vmcnt(0)
	v_cndmask_b32_e64 v0, 0, v0, s4
	buffer_store_dword v0, off, s[0:3], s32 offset:572 ; 4-byte Folded Spill
.LBB357_2810:                           ;   in Loop: Header=BB357_2083 Depth=1
	s_or_b32 exec_lo, exec_lo, s18
	flat_load_dwordx2 v[26:27], v[24:25] offset:768
	v_mov_b32_e32 v1, 0
	v_mov_b32_e32 v0, 0
	s_waitcnt vmcnt(0) lgkmcnt(0)
	v_cmp_ne_u16_sdwa s4, v26, v14 src0_sel:BYTE_0 src1_sel:DWORD
	s_and_saveexec_b32 s18, s4
	s_cbranch_execz .LBB357_2818
; %bb.2811:                             ;   in Loop: Header=BB357_2083 Depth=1
	v_cmp_ne_u16_sdwa s4, v26, v115 src0_sel:BYTE_0 src1_sel:DWORD
	v_bfrev_b32_e32 v0, 1
	s_and_saveexec_b32 s19, s4
	s_cbranch_execz .LBB357_2817
; %bb.2812:                             ;   in Loop: Header=BB357_2083 Depth=1
	v_and_b32_e32 v10, 0x7f, v26
	v_mov_b32_e32 v0, 0x7f800001
	s_mov_b32 s20, exec_lo
	v_cmpx_ne_u32_e32 0x7f, v10
	s_cbranch_execz .LBB357_2816
; %bb.2813:                             ;   in Loop: Header=BB357_2083 Depth=1
	v_mov_b32_e32 v29, v27
	v_lshrrev_b32_e32 v0, 3, v10
	v_mov_b32_e32 v28, v26
	s_mov_b32 s21, exec_lo
	v_cmpx_gt_u32_e32 8, v10
; %bb.2814:                             ;   in Loop: Header=BB357_2083 Depth=1
	v_and_b32_e32 v0, 7, v26
	v_ffbh_u32_e32 v0, v0
	v_min_u32_e32 v0, 32, v0
	v_subrev_nc_u32_e32 v10, 28, v0
	v_sub_nc_u32_e32 v0, 29, v0
	v_lshlrev_b64 v[28:29], v10, v[26:27]
; %bb.2815:                             ;   in Loop: Header=BB357_2083 Depth=1
	s_or_b32 exec_lo, exec_lo, s21
	v_lshlrev_b32_e32 v10, 20, v28
	v_lshlrev_b32_e32 v11, 24, v26
	v_lshl_add_u32 v0, v0, 23, 0x3c000000
	v_and_b32_e32 v10, 0x700000, v10
	v_and_b32_e32 v11, 0x80000000, v11
	v_or3_b32 v0, v10, v11, v0
.LBB357_2816:                           ;   in Loop: Header=BB357_2083 Depth=1
	s_or_b32 exec_lo, exec_lo, s20
.LBB357_2817:                           ;   in Loop: Header=BB357_2083 Depth=1
	s_or_b32 exec_lo, exec_lo, s19
.LBB357_2818:                           ;   in Loop: Header=BB357_2083 Depth=1
	s_or_b32 exec_lo, exec_lo, s18
	v_cmp_ne_u16_sdwa s4, v26, v14 src0_sel:BYTE_1 src1_sel:DWORD
	s_and_saveexec_b32 s18, s4
	s_cbranch_execz .LBB357_2826
; %bb.2819:                             ;   in Loop: Header=BB357_2083 Depth=1
	v_cmp_ne_u16_sdwa s4, v26, v115 src0_sel:BYTE_1 src1_sel:DWORD
	v_bfrev_b32_e32 v1, 1
	s_and_saveexec_b32 s19, s4
	s_cbranch_execz .LBB357_2825
; %bb.2820:                             ;   in Loop: Header=BB357_2083 Depth=1
	v_mov_b32_e32 v1, 0xffff
	s_mov_b32 s20, exec_lo
	v_and_b32_sdwa v11, v1, v26 dst_sel:DWORD dst_unused:UNUSED_PAD src0_sel:DWORD src1_sel:BYTE_1
	v_mov_b32_e32 v1, 0x7f800001
	v_and_b32_e32 v10, 0x7f, v11
	v_cmpx_ne_u32_e32 0x7f, v10
	s_cbranch_execz .LBB357_2824
; %bb.2821:                             ;   in Loop: Header=BB357_2083 Depth=1
	v_and_b32_e32 v13, 7, v11
	v_mov_b32_e32 v29, v14
	v_lshrrev_b32_e32 v1, 3, v10
	s_mov_b32 s21, exec_lo
	v_mov_b32_e32 v28, v13
	v_cmpx_gt_u32_e32 8, v10
; %bb.2822:                             ;   in Loop: Header=BB357_2083 Depth=1
	v_ffbh_u32_e32 v1, v13
	v_min_u32_e32 v1, 32, v1
	v_subrev_nc_u32_e32 v10, 28, v1
	v_sub_nc_u32_e32 v1, 29, v1
	v_lshlrev_b64 v[10:11], v10, v[13:14]
	v_and_b32_e32 v28, 7, v10
; %bb.2823:                             ;   in Loop: Header=BB357_2083 Depth=1
	s_or_b32 exec_lo, exec_lo, s21
	v_lshlrev_b32_e32 v10, 16, v26
	v_lshlrev_b32_e32 v11, 20, v28
	v_lshl_add_u32 v1, v1, 23, 0x3c000000
	v_and_b32_e32 v10, 0x80000000, v10
	v_or3_b32 v1, v11, v10, v1
.LBB357_2824:                           ;   in Loop: Header=BB357_2083 Depth=1
	s_or_b32 exec_lo, exec_lo, s20
.LBB357_2825:                           ;   in Loop: Header=BB357_2083 Depth=1
	s_or_b32 exec_lo, exec_lo, s19
.LBB357_2826:                           ;   in Loop: Header=BB357_2083 Depth=1
	s_or_b32 exec_lo, exec_lo, s18
	v_and_b32_sdwa v12, v26, v117 dst_sel:DWORD dst_unused:UNUSED_PAD src0_sel:WORD_1 src1_sel:DWORD
	v_mov_b32_e32 v11, 0
	v_mov_b32_e32 v10, 0
	s_mov_b32 s18, exec_lo
	v_cmpx_ne_u16_e32 0, v12
	s_cbranch_execz .LBB357_2834
; %bb.2827:                             ;   in Loop: Header=BB357_2083 Depth=1
	v_bfrev_b32_e32 v10, 1
	s_mov_b32 s19, exec_lo
	v_cmpx_ne_u16_e32 0x80, v12
	s_cbranch_execz .LBB357_2833
; %bb.2828:                             ;   in Loop: Header=BB357_2083 Depth=1
	v_bfe_u32 v12, v26, 16, 7
	v_mov_b32_e32 v10, 0x7f800001
	s_mov_b32 s20, exec_lo
	v_cmpx_ne_u32_e32 0x7f, v12
	s_cbranch_execz .LBB357_2832
; %bb.2829:                             ;   in Loop: Header=BB357_2083 Depth=1
	v_mov_b32_e32 v10, 7
	s_mov_b32 s21, exec_lo
	v_and_b32_sdwa v13, v26, v10 dst_sel:DWORD dst_unused:UNUSED_PAD src0_sel:WORD_1 src1_sel:DWORD
	v_mov_b32_e32 v29, v14
	v_lshrrev_b32_e32 v10, 3, v12
	v_mov_b32_e32 v28, v13
	v_cmpx_gt_u32_e32 8, v12
; %bb.2830:                             ;   in Loop: Header=BB357_2083 Depth=1
	v_ffbh_u32_e32 v10, v13
	v_min_u32_e32 v10, 32, v10
	v_subrev_nc_u32_e32 v12, 28, v10
	v_sub_nc_u32_e32 v10, 29, v10
	v_lshlrev_b64 v[12:13], v12, v[13:14]
	v_and_b32_e32 v28, 7, v12
; %bb.2831:                             ;   in Loop: Header=BB357_2083 Depth=1
	s_or_b32 exec_lo, exec_lo, s21
	v_mov_b32_e32 v12, 24
	v_lshlrev_b32_e32 v13, 20, v28
	v_lshl_add_u32 v10, v10, 23, 0x3c000000
	v_lshlrev_b32_sdwa v12, v12, v26 dst_sel:DWORD dst_unused:UNUSED_PAD src0_sel:DWORD src1_sel:WORD_1
	v_and_b32_e32 v12, 0x80000000, v12
	v_or3_b32 v10, v13, v12, v10
.LBB357_2832:                           ;   in Loop: Header=BB357_2083 Depth=1
	s_or_b32 exec_lo, exec_lo, s20
.LBB357_2833:                           ;   in Loop: Header=BB357_2083 Depth=1
	s_or_b32 exec_lo, exec_lo, s19
.LBB357_2834:                           ;   in Loop: Header=BB357_2083 Depth=1
	s_or_b32 exec_lo, exec_lo, s18
	s_mov_b32 s18, exec_lo
	v_cmpx_lt_u32_e32 0xffffff, v26
	s_cbranch_execz .LBB357_2842
; %bb.2835:                             ;   in Loop: Header=BB357_2083 Depth=1
	v_cmp_ne_u32_sdwa s4, v26, v115 src0_sel:BYTE_3 src1_sel:DWORD
	v_bfrev_b32_e32 v11, 1
	s_and_saveexec_b32 s19, s4
	s_cbranch_execz .LBB357_2841
; %bb.2836:                             ;   in Loop: Header=BB357_2083 Depth=1
	v_bfe_u32 v12, v26, 24, 7
	v_mov_b32_e32 v11, 0x7f800001
	s_mov_b32 s20, exec_lo
	v_cmpx_ne_u32_e32 0x7f, v12
	s_cbranch_execz .LBB357_2840
; %bb.2837:                             ;   in Loop: Header=BB357_2083 Depth=1
	v_mov_b32_e32 v11, 7
	s_mov_b32 s21, exec_lo
	v_and_b32_sdwa v13, v26, v11 dst_sel:DWORD dst_unused:UNUSED_PAD src0_sel:BYTE_3 src1_sel:DWORD
	v_mov_b32_e32 v29, v14
	v_lshrrev_b32_e32 v11, 3, v12
	v_mov_b32_e32 v28, v13
	v_cmpx_gt_u32_e32 8, v12
; %bb.2838:                             ;   in Loop: Header=BB357_2083 Depth=1
	v_ffbh_u32_e32 v11, v13
	v_min_u32_e32 v11, 32, v11
	v_subrev_nc_u32_e32 v12, 28, v11
	v_sub_nc_u32_e32 v11, 29, v11
	v_lshlrev_b64 v[12:13], v12, v[13:14]
	v_and_b32_e32 v28, 7, v12
; %bb.2839:                             ;   in Loop: Header=BB357_2083 Depth=1
	s_or_b32 exec_lo, exec_lo, s21
	v_mov_b32_e32 v12, 24
	v_lshlrev_b32_e32 v13, 20, v28
	v_lshl_add_u32 v11, v11, 23, 0x3c000000
	v_lshlrev_b32_sdwa v12, v12, v26 dst_sel:DWORD dst_unused:UNUSED_PAD src0_sel:DWORD src1_sel:BYTE_3
	v_and_b32_e32 v12, 0x80000000, v12
	v_or3_b32 v11, v13, v12, v11
.LBB357_2840:                           ;   in Loop: Header=BB357_2083 Depth=1
	s_or_b32 exec_lo, exec_lo, s20
.LBB357_2841:                           ;   in Loop: Header=BB357_2083 Depth=1
	s_or_b32 exec_lo, exec_lo, s19
.LBB357_2842:                           ;   in Loop: Header=BB357_2083 Depth=1
	s_or_b32 exec_lo, exec_lo, s18
	v_mov_b32_e32 v13, v27
	v_cmp_ne_u16_sdwa s4, v27, v14 src0_sel:BYTE_0 src1_sel:DWORD
	v_mov_b32_e32 v30, 0
	v_mov_b32_e32 v22, 0
	s_and_saveexec_b32 s18, s4
	s_cbranch_execz .LBB357_2850
; %bb.2843:                             ;   in Loop: Header=BB357_2083 Depth=1
	v_cmp_ne_u16_sdwa s4, v27, v115 src0_sel:BYTE_0 src1_sel:DWORD
	v_bfrev_b32_e32 v22, 1
	s_and_saveexec_b32 s19, s4
	s_cbranch_execz .LBB357_2849
; %bb.2844:                             ;   in Loop: Header=BB357_2083 Depth=1
	v_and_b32_e32 v21, 0x7f, v27
	v_mov_b32_e32 v22, 0x7f800001
	s_mov_b32 s20, exec_lo
	v_cmpx_ne_u32_e32 0x7f, v21
	s_cbranch_execz .LBB357_2848
; %bb.2845:                             ;   in Loop: Header=BB357_2083 Depth=1
	v_mov_b32_e32 v29, v14
	v_lshrrev_b32_e32 v12, 3, v21
	v_mov_b32_e32 v28, v13
	s_mov_b32 s21, exec_lo
	v_cmpx_gt_u32_e32 8, v21
; %bb.2846:                             ;   in Loop: Header=BB357_2083 Depth=1
	v_and_b32_e32 v12, 7, v27
	v_ffbh_u32_e32 v12, v12
	v_min_u32_e32 v12, 32, v12
	v_subrev_nc_u32_e32 v21, 28, v12
	v_sub_nc_u32_e32 v12, 29, v12
	v_lshlrev_b64 v[28:29], v21, v[13:14]
; %bb.2847:                             ;   in Loop: Header=BB357_2083 Depth=1
	s_or_b32 exec_lo, exec_lo, s21
	v_lshlrev_b32_e32 v21, 20, v28
	v_lshlrev_b32_e32 v22, 24, v13
	v_lshl_add_u32 v12, v12, 23, 0x3c000000
	v_and_b32_e32 v21, 0x700000, v21
	v_and_b32_e32 v22, 0x80000000, v22
	v_or3_b32 v22, v21, v22, v12
.LBB357_2848:                           ;   in Loop: Header=BB357_2083 Depth=1
	s_or_b32 exec_lo, exec_lo, s20
.LBB357_2849:                           ;   in Loop: Header=BB357_2083 Depth=1
	s_or_b32 exec_lo, exec_lo, s19
.LBB357_2850:                           ;   in Loop: Header=BB357_2083 Depth=1
	s_or_b32 exec_lo, exec_lo, s18
	v_cmp_ne_u16_sdwa s4, v13, v14 src0_sel:BYTE_1 src1_sel:DWORD
	s_and_saveexec_b32 s18, s4
	s_cbranch_execz .LBB357_2858
; %bb.2851:                             ;   in Loop: Header=BB357_2083 Depth=1
	v_cmp_ne_u16_sdwa s4, v13, v115 src0_sel:BYTE_1 src1_sel:DWORD
	v_bfrev_b32_e32 v30, 1
	s_and_saveexec_b32 s19, s4
	s_cbranch_execz .LBB357_2857
; %bb.2852:                             ;   in Loop: Header=BB357_2083 Depth=1
	v_mov_b32_e32 v12, 0xffff
	v_mov_b32_e32 v30, 0x7f800001
	s_mov_b32 s20, exec_lo
	v_and_b32_sdwa v12, v12, v13 dst_sel:DWORD dst_unused:UNUSED_PAD src0_sel:DWORD src1_sel:BYTE_1
	v_and_b32_e32 v21, 0x7f, v12
	v_cmpx_ne_u32_e32 0x7f, v21
	s_cbranch_execz .LBB357_2856
; %bb.2853:                             ;   in Loop: Header=BB357_2083 Depth=1
	v_and_b32_e32 v28, 7, v12
	v_mov_b32_e32 v29, v14
	v_lshrrev_b32_e32 v12, 3, v21
	s_mov_b32 s21, exec_lo
	v_cmpx_gt_u32_e32 8, v21
; %bb.2854:                             ;   in Loop: Header=BB357_2083 Depth=1
	v_ffbh_u32_e32 v12, v28
	v_min_u32_e32 v12, 32, v12
	v_subrev_nc_u32_e32 v21, 28, v12
	v_sub_nc_u32_e32 v12, 29, v12
	v_lshlrev_b64 v[28:29], v21, v[28:29]
	v_and_b32_e32 v28, 7, v28
; %bb.2855:                             ;   in Loop: Header=BB357_2083 Depth=1
	s_or_b32 exec_lo, exec_lo, s21
	v_lshlrev_b32_e32 v13, 16, v13
	v_lshlrev_b32_e32 v21, 20, v28
	v_lshl_add_u32 v12, v12, 23, 0x3c000000
	v_and_b32_e32 v13, 0x80000000, v13
	v_or3_b32 v30, v21, v13, v12
.LBB357_2856:                           ;   in Loop: Header=BB357_2083 Depth=1
	s_or_b32 exec_lo, exec_lo, s20
.LBB357_2857:                           ;   in Loop: Header=BB357_2083 Depth=1
	s_or_b32 exec_lo, exec_lo, s19
.LBB357_2858:                           ;   in Loop: Header=BB357_2083 Depth=1
	s_or_b32 exec_lo, exec_lo, s18
	v_and_b32_sdwa v13, v27, v117 dst_sel:DWORD dst_unused:UNUSED_PAD src0_sel:WORD_1 src1_sel:DWORD
	v_mov_b32_e32 v12, 0
	v_mov_b32_e32 v21, 0
	s_mov_b32 s18, exec_lo
	v_cmpx_ne_u16_e32 0, v13
	s_cbranch_execz .LBB357_2866
; %bb.2859:                             ;   in Loop: Header=BB357_2083 Depth=1
	v_bfrev_b32_e32 v21, 1
	s_mov_b32 s19, exec_lo
	v_cmpx_ne_u16_e32 0x80, v13
	s_cbranch_execz .LBB357_2865
; %bb.2860:                             ;   in Loop: Header=BB357_2083 Depth=1
	v_bfe_u32 v28, v27, 16, 7
	v_mov_b32_e32 v21, 0x7f800001
	s_mov_b32 s20, exec_lo
	v_cmpx_ne_u32_e32 0x7f, v28
	s_cbranch_execz .LBB357_2864
; %bb.2861:                             ;   in Loop: Header=BB357_2083 Depth=1
	v_mov_b32_e32 v13, 7
	v_lshrrev_b32_e32 v21, 3, v28
	v_cmp_gt_u32_e64 s4, 8, v28
	v_and_b32_sdwa v13, v27, v13 dst_sel:DWORD dst_unused:UNUSED_PAD src0_sel:WORD_1 src1_sel:DWORD
	v_mov_b32_e32 v29, v14
	v_mov_b32_e32 v28, v13
	s_and_saveexec_b32 s21, s4
; %bb.2862:                             ;   in Loop: Header=BB357_2083 Depth=1
	v_ffbh_u32_e32 v21, v13
	v_min_u32_e32 v21, 32, v21
	v_subrev_nc_u32_e32 v28, 28, v21
	v_sub_nc_u32_e32 v21, 29, v21
	v_lshlrev_b64 v[28:29], v28, v[13:14]
	v_and_b32_e32 v28, 7, v28
; %bb.2863:                             ;   in Loop: Header=BB357_2083 Depth=1
	s_or_b32 exec_lo, exec_lo, s21
	v_mov_b32_e32 v13, 24
	v_lshlrev_b32_e32 v28, 20, v28
	v_lshl_add_u32 v21, v21, 23, 0x3c000000
	v_lshlrev_b32_sdwa v13, v13, v27 dst_sel:DWORD dst_unused:UNUSED_PAD src0_sel:DWORD src1_sel:WORD_1
	v_and_b32_e32 v13, 0x80000000, v13
	v_or3_b32 v21, v28, v13, v21
.LBB357_2864:                           ;   in Loop: Header=BB357_2083 Depth=1
	s_or_b32 exec_lo, exec_lo, s20
.LBB357_2865:                           ;   in Loop: Header=BB357_2083 Depth=1
	s_or_b32 exec_lo, exec_lo, s19
.LBB357_2866:                           ;   in Loop: Header=BB357_2083 Depth=1
	s_or_b32 exec_lo, exec_lo, s18
	s_mov_b32 s18, exec_lo
	v_cmpx_lt_u64_e64 s[6:7], v[26:27]
	s_cbranch_execz .LBB357_2874
; %bb.2867:                             ;   in Loop: Header=BB357_2083 Depth=1
	v_cmp_ne_u32_sdwa s4, v27, v115 src0_sel:BYTE_3 src1_sel:DWORD
	v_bfrev_b32_e32 v12, 1
	s_and_saveexec_b32 s19, s4
	s_cbranch_execz .LBB357_2873
; %bb.2868:                             ;   in Loop: Header=BB357_2083 Depth=1
	v_bfe_u32 v26, v27, 24, 7
	v_mov_b32_e32 v12, 0x7f800001
	s_mov_b32 s20, exec_lo
	v_cmpx_ne_u32_e32 0x7f, v26
	s_cbranch_execz .LBB357_2872
; %bb.2869:                             ;   in Loop: Header=BB357_2083 Depth=1
	v_mov_b32_e32 v12, 7
	s_mov_b32 s21, exec_lo
	v_and_b32_sdwa v13, v27, v12 dst_sel:DWORD dst_unused:UNUSED_PAD src0_sel:BYTE_3 src1_sel:DWORD
	v_mov_b32_e32 v29, v14
	v_lshrrev_b32_e32 v12, 3, v26
	v_mov_b32_e32 v28, v13
	v_cmpx_gt_u32_e32 8, v26
; %bb.2870:                             ;   in Loop: Header=BB357_2083 Depth=1
	v_ffbh_u32_e32 v12, v13
	v_min_u32_e32 v12, 32, v12
	v_subrev_nc_u32_e32 v26, 28, v12
	v_sub_nc_u32_e32 v12, 29, v12
	v_lshlrev_b64 v[28:29], v26, v[13:14]
	v_and_b32_e32 v28, 7, v28
; %bb.2871:                             ;   in Loop: Header=BB357_2083 Depth=1
	s_or_b32 exec_lo, exec_lo, s21
	v_mov_b32_e32 v13, 24
	v_lshlrev_b32_e32 v26, 20, v28
	v_lshl_add_u32 v12, v12, 23, 0x3c000000
	v_lshlrev_b32_sdwa v13, v13, v27 dst_sel:DWORD dst_unused:UNUSED_PAD src0_sel:DWORD src1_sel:BYTE_3
	v_and_b32_e32 v13, 0x80000000, v13
	v_or3_b32 v12, v26, v13, v12
.LBB357_2872:                           ;   in Loop: Header=BB357_2083 Depth=1
	s_or_b32 exec_lo, exec_lo, s20
.LBB357_2873:                           ;   in Loop: Header=BB357_2083 Depth=1
	s_or_b32 exec_lo, exec_lo, s19
.LBB357_2874:                           ;   in Loop: Header=BB357_2083 Depth=1
	s_or_b32 exec_lo, exec_lo, s18
	v_mul_f32_e32 v13, v23, v30
	v_mul_f32_e32 v11, v23, v11
	;; [unrolled: 1-line block ×5, first 2 shown]
	v_bfe_u32 v26, v13, 16, 1
	v_or_b32_e32 v27, 0x400000, v13
	v_cmp_u_f32_e64 s4, v13, v13
	v_add3_u32 v26, v26, v13, 0x7fff
	v_cndmask_b32_e64 v13, v26, v27, s4
	v_lshrrev_b32_e32 v13, 16, v13
	buffer_store_dword v13, off, s[0:3], s32 offset:576 ; 4-byte Folded Spill
	v_mul_f32_e32 v13, v23, v22
	v_bfe_u32 v22, v13, 16, 1
	v_or_b32_e32 v26, 0x400000, v13
	v_cmp_u_f32_e64 s4, v13, v13
	v_add3_u32 v22, v22, v13, 0x7fff
	v_cndmask_b32_e64 v13, v22, v26, s4
	v_or_b32_e32 v22, 0x400000, v11
	v_cmp_u_f32_e64 s4, v11, v11
	v_lshrrev_b32_e32 v13, 16, v13
	buffer_store_dword v13, off, s[0:3], s32 offset:580 ; 4-byte Folded Spill
	v_bfe_u32 v13, v11, 16, 1
	v_add3_u32 v13, v13, v11, 0x7fff
	v_cndmask_b32_e64 v11, v13, v22, s4
	v_or_b32_e32 v13, 0x400000, v10
	v_cmp_u_f32_e64 s4, v10, v10
	v_lshrrev_b32_e32 v11, 16, v11
	buffer_store_dword v11, off, s[0:3], s32 offset:584 ; 4-byte Folded Spill
	v_bfe_u32 v11, v10, 16, 1
	;; [unrolled: 7-line block ×4, first 2 shown]
	v_add3_u32 v1, v1, v0, 0x7fff
	v_cndmask_b32_e64 v0, v1, v10, s4
	v_lshrrev_b32_e32 v0, 16, v0
	buffer_store_dword v0, off, s[0:3], s32 offset:600 ; 4-byte Folded Spill
	v_mul_f32_e32 v0, v23, v21
	v_bfe_u32 v1, v0, 16, 1
	v_or_b32_e32 v10, 0x400000, v0
	v_cmp_u_f32_e64 s4, v0, v0
	v_add3_u32 v1, v1, v0, 0x7fff
	v_cndmask_b32_e64 v0, v1, v10, s4
	v_lshrrev_b32_e32 v0, 16, v0
	buffer_store_dword v0, off, s[0:3], s32 offset:596 ; 4-byte Folded Spill
	v_mul_f32_e32 v0, v23, v12
	v_bfe_u32 v1, v0, 16, 1
	v_or_b32_e32 v10, 0x400000, v0
	v_cmp_u_f32_e64 s4, v0, v0
	v_add3_u32 v1, v1, v0, 0x7fff
	v_cndmask_b32_e64 v0, v1, v10, s4
	v_lshrrev_b32_e32 v0, 16, v0
	buffer_store_dword v0, off, s[0:3], s32 offset:604 ; 4-byte Folded Spill
	s_and_saveexec_b32 s18, vcc_lo
	s_cbranch_execz .LBB357_2876
; %bb.2875:                             ;   in Loop: Header=BB357_2083 Depth=1
	buffer_load_dword v0, off, s[0:3], s32 offset:600 ; 4-byte Folded Reload
	v_cmp_lt_i32_e64 s4, v102, v49
	s_waitcnt vmcnt(0)
	v_cndmask_b32_e64 v0, 0, v0, s4
	v_cmp_lt_i32_e64 s4, v52, v49
	buffer_store_dword v0, off, s[0:3], s32 offset:600 ; 4-byte Folded Spill
	buffer_load_dword v0, off, s[0:3], s32 offset:592 ; 4-byte Folded Reload
	s_waitcnt vmcnt(0)
	v_cndmask_b32_e64 v0, 0, v0, s4
	v_cmp_lt_i32_e64 s4, v51, v49
	buffer_store_dword v0, off, s[0:3], s32 offset:592 ; 4-byte Folded Spill
	buffer_load_dword v0, off, s[0:3], s32 offset:588 ; 4-byte Folded Reload
	;; [unrolled: 5-line block ×7, first 2 shown]
	s_waitcnt vmcnt(0)
	v_cndmask_b32_e64 v0, 0, v0, s4
	buffer_store_dword v0, off, s[0:3], s32 offset:604 ; 4-byte Folded Spill
.LBB357_2876:                           ;   in Loop: Header=BB357_2083 Depth=1
	s_or_b32 exec_lo, exec_lo, s18
	flat_load_dwordx2 v[26:27], v[24:25] offset:1024
	v_mov_b32_e32 v1, 0
	v_mov_b32_e32 v0, 0
	s_waitcnt vmcnt(0) lgkmcnt(0)
	v_cmp_ne_u16_sdwa s4, v26, v14 src0_sel:BYTE_0 src1_sel:DWORD
	s_and_saveexec_b32 s18, s4
	s_cbranch_execz .LBB357_2884
; %bb.2877:                             ;   in Loop: Header=BB357_2083 Depth=1
	v_cmp_ne_u16_sdwa s4, v26, v115 src0_sel:BYTE_0 src1_sel:DWORD
	v_bfrev_b32_e32 v0, 1
	s_and_saveexec_b32 s19, s4
	s_cbranch_execz .LBB357_2883
; %bb.2878:                             ;   in Loop: Header=BB357_2083 Depth=1
	v_and_b32_e32 v10, 0x7f, v26
	v_mov_b32_e32 v0, 0x7f800001
	s_mov_b32 s20, exec_lo
	v_cmpx_ne_u32_e32 0x7f, v10
	s_cbranch_execz .LBB357_2882
; %bb.2879:                             ;   in Loop: Header=BB357_2083 Depth=1
	v_mov_b32_e32 v29, v27
	v_lshrrev_b32_e32 v0, 3, v10
	v_mov_b32_e32 v28, v26
	s_mov_b32 s21, exec_lo
	v_cmpx_gt_u32_e32 8, v10
; %bb.2880:                             ;   in Loop: Header=BB357_2083 Depth=1
	v_and_b32_e32 v0, 7, v26
	v_ffbh_u32_e32 v0, v0
	v_min_u32_e32 v0, 32, v0
	v_subrev_nc_u32_e32 v10, 28, v0
	v_sub_nc_u32_e32 v0, 29, v0
	v_lshlrev_b64 v[28:29], v10, v[26:27]
; %bb.2881:                             ;   in Loop: Header=BB357_2083 Depth=1
	s_or_b32 exec_lo, exec_lo, s21
	v_lshlrev_b32_e32 v10, 20, v28
	v_lshlrev_b32_e32 v11, 24, v26
	v_lshl_add_u32 v0, v0, 23, 0x3c000000
	v_and_b32_e32 v10, 0x700000, v10
	v_and_b32_e32 v11, 0x80000000, v11
	v_or3_b32 v0, v10, v11, v0
.LBB357_2882:                           ;   in Loop: Header=BB357_2083 Depth=1
	s_or_b32 exec_lo, exec_lo, s20
.LBB357_2883:                           ;   in Loop: Header=BB357_2083 Depth=1
	s_or_b32 exec_lo, exec_lo, s19
.LBB357_2884:                           ;   in Loop: Header=BB357_2083 Depth=1
	s_or_b32 exec_lo, exec_lo, s18
	v_cmp_ne_u16_sdwa s4, v26, v14 src0_sel:BYTE_1 src1_sel:DWORD
	s_and_saveexec_b32 s18, s4
	s_cbranch_execz .LBB357_2892
; %bb.2885:                             ;   in Loop: Header=BB357_2083 Depth=1
	v_cmp_ne_u16_sdwa s4, v26, v115 src0_sel:BYTE_1 src1_sel:DWORD
	v_bfrev_b32_e32 v1, 1
	s_and_saveexec_b32 s19, s4
	s_cbranch_execz .LBB357_2891
; %bb.2886:                             ;   in Loop: Header=BB357_2083 Depth=1
	v_mov_b32_e32 v1, 0xffff
	s_mov_b32 s20, exec_lo
	v_and_b32_sdwa v11, v1, v26 dst_sel:DWORD dst_unused:UNUSED_PAD src0_sel:DWORD src1_sel:BYTE_1
	v_mov_b32_e32 v1, 0x7f800001
	v_and_b32_e32 v10, 0x7f, v11
	v_cmpx_ne_u32_e32 0x7f, v10
	s_cbranch_execz .LBB357_2890
; %bb.2887:                             ;   in Loop: Header=BB357_2083 Depth=1
	v_and_b32_e32 v13, 7, v11
	v_mov_b32_e32 v29, v14
	v_lshrrev_b32_e32 v1, 3, v10
	s_mov_b32 s21, exec_lo
	v_mov_b32_e32 v28, v13
	v_cmpx_gt_u32_e32 8, v10
; %bb.2888:                             ;   in Loop: Header=BB357_2083 Depth=1
	v_ffbh_u32_e32 v1, v13
	v_min_u32_e32 v1, 32, v1
	v_subrev_nc_u32_e32 v10, 28, v1
	v_sub_nc_u32_e32 v1, 29, v1
	v_lshlrev_b64 v[10:11], v10, v[13:14]
	v_and_b32_e32 v28, 7, v10
; %bb.2889:                             ;   in Loop: Header=BB357_2083 Depth=1
	s_or_b32 exec_lo, exec_lo, s21
	v_lshlrev_b32_e32 v10, 16, v26
	v_lshlrev_b32_e32 v11, 20, v28
	v_lshl_add_u32 v1, v1, 23, 0x3c000000
	v_and_b32_e32 v10, 0x80000000, v10
	v_or3_b32 v1, v11, v10, v1
.LBB357_2890:                           ;   in Loop: Header=BB357_2083 Depth=1
	s_or_b32 exec_lo, exec_lo, s20
.LBB357_2891:                           ;   in Loop: Header=BB357_2083 Depth=1
	s_or_b32 exec_lo, exec_lo, s19
.LBB357_2892:                           ;   in Loop: Header=BB357_2083 Depth=1
	s_or_b32 exec_lo, exec_lo, s18
	v_and_b32_sdwa v12, v26, v117 dst_sel:DWORD dst_unused:UNUSED_PAD src0_sel:WORD_1 src1_sel:DWORD
	v_mov_b32_e32 v11, 0
	v_mov_b32_e32 v10, 0
	s_mov_b32 s18, exec_lo
	v_cmpx_ne_u16_e32 0, v12
	s_cbranch_execz .LBB357_2900
; %bb.2893:                             ;   in Loop: Header=BB357_2083 Depth=1
	v_bfrev_b32_e32 v10, 1
	s_mov_b32 s19, exec_lo
	v_cmpx_ne_u16_e32 0x80, v12
	s_cbranch_execz .LBB357_2899
; %bb.2894:                             ;   in Loop: Header=BB357_2083 Depth=1
	v_bfe_u32 v12, v26, 16, 7
	v_mov_b32_e32 v10, 0x7f800001
	s_mov_b32 s20, exec_lo
	v_cmpx_ne_u32_e32 0x7f, v12
	s_cbranch_execz .LBB357_2898
; %bb.2895:                             ;   in Loop: Header=BB357_2083 Depth=1
	v_mov_b32_e32 v10, 7
	s_mov_b32 s21, exec_lo
	v_and_b32_sdwa v13, v26, v10 dst_sel:DWORD dst_unused:UNUSED_PAD src0_sel:WORD_1 src1_sel:DWORD
	v_mov_b32_e32 v29, v14
	v_lshrrev_b32_e32 v10, 3, v12
	v_mov_b32_e32 v28, v13
	v_cmpx_gt_u32_e32 8, v12
; %bb.2896:                             ;   in Loop: Header=BB357_2083 Depth=1
	v_ffbh_u32_e32 v10, v13
	v_min_u32_e32 v10, 32, v10
	v_subrev_nc_u32_e32 v12, 28, v10
	v_sub_nc_u32_e32 v10, 29, v10
	v_lshlrev_b64 v[12:13], v12, v[13:14]
	v_and_b32_e32 v28, 7, v12
; %bb.2897:                             ;   in Loop: Header=BB357_2083 Depth=1
	s_or_b32 exec_lo, exec_lo, s21
	v_mov_b32_e32 v12, 24
	v_lshlrev_b32_e32 v13, 20, v28
	v_lshl_add_u32 v10, v10, 23, 0x3c000000
	v_lshlrev_b32_sdwa v12, v12, v26 dst_sel:DWORD dst_unused:UNUSED_PAD src0_sel:DWORD src1_sel:WORD_1
	v_and_b32_e32 v12, 0x80000000, v12
	v_or3_b32 v10, v13, v12, v10
.LBB357_2898:                           ;   in Loop: Header=BB357_2083 Depth=1
	s_or_b32 exec_lo, exec_lo, s20
.LBB357_2899:                           ;   in Loop: Header=BB357_2083 Depth=1
	s_or_b32 exec_lo, exec_lo, s19
.LBB357_2900:                           ;   in Loop: Header=BB357_2083 Depth=1
	s_or_b32 exec_lo, exec_lo, s18
	s_mov_b32 s18, exec_lo
	v_cmpx_lt_u32_e32 0xffffff, v26
	s_cbranch_execz .LBB357_2908
; %bb.2901:                             ;   in Loop: Header=BB357_2083 Depth=1
	v_cmp_ne_u32_sdwa s4, v26, v115 src0_sel:BYTE_3 src1_sel:DWORD
	v_bfrev_b32_e32 v11, 1
	s_and_saveexec_b32 s19, s4
	s_cbranch_execz .LBB357_2907
; %bb.2902:                             ;   in Loop: Header=BB357_2083 Depth=1
	v_bfe_u32 v12, v26, 24, 7
	v_mov_b32_e32 v11, 0x7f800001
	s_mov_b32 s20, exec_lo
	v_cmpx_ne_u32_e32 0x7f, v12
	s_cbranch_execz .LBB357_2906
; %bb.2903:                             ;   in Loop: Header=BB357_2083 Depth=1
	v_mov_b32_e32 v11, 7
	s_mov_b32 s21, exec_lo
	v_and_b32_sdwa v13, v26, v11 dst_sel:DWORD dst_unused:UNUSED_PAD src0_sel:BYTE_3 src1_sel:DWORD
	v_mov_b32_e32 v29, v14
	v_lshrrev_b32_e32 v11, 3, v12
	v_mov_b32_e32 v28, v13
	v_cmpx_gt_u32_e32 8, v12
; %bb.2904:                             ;   in Loop: Header=BB357_2083 Depth=1
	v_ffbh_u32_e32 v11, v13
	v_min_u32_e32 v11, 32, v11
	v_subrev_nc_u32_e32 v12, 28, v11
	v_sub_nc_u32_e32 v11, 29, v11
	v_lshlrev_b64 v[12:13], v12, v[13:14]
	v_and_b32_e32 v28, 7, v12
; %bb.2905:                             ;   in Loop: Header=BB357_2083 Depth=1
	s_or_b32 exec_lo, exec_lo, s21
	v_mov_b32_e32 v12, 24
	v_lshlrev_b32_e32 v13, 20, v28
	v_lshl_add_u32 v11, v11, 23, 0x3c000000
	v_lshlrev_b32_sdwa v12, v12, v26 dst_sel:DWORD dst_unused:UNUSED_PAD src0_sel:DWORD src1_sel:BYTE_3
	v_and_b32_e32 v12, 0x80000000, v12
	v_or3_b32 v11, v13, v12, v11
.LBB357_2906:                           ;   in Loop: Header=BB357_2083 Depth=1
	s_or_b32 exec_lo, exec_lo, s20
.LBB357_2907:                           ;   in Loop: Header=BB357_2083 Depth=1
	s_or_b32 exec_lo, exec_lo, s19
.LBB357_2908:                           ;   in Loop: Header=BB357_2083 Depth=1
	s_or_b32 exec_lo, exec_lo, s18
	v_mov_b32_e32 v13, v27
	v_cmp_ne_u16_sdwa s4, v27, v14 src0_sel:BYTE_0 src1_sel:DWORD
	v_mov_b32_e32 v30, 0
	v_mov_b32_e32 v22, 0
	s_and_saveexec_b32 s18, s4
	s_cbranch_execz .LBB357_2916
; %bb.2909:                             ;   in Loop: Header=BB357_2083 Depth=1
	v_cmp_ne_u16_sdwa s4, v27, v115 src0_sel:BYTE_0 src1_sel:DWORD
	v_bfrev_b32_e32 v22, 1
	s_and_saveexec_b32 s19, s4
	s_cbranch_execz .LBB357_2915
; %bb.2910:                             ;   in Loop: Header=BB357_2083 Depth=1
	v_and_b32_e32 v21, 0x7f, v27
	v_mov_b32_e32 v22, 0x7f800001
	s_mov_b32 s20, exec_lo
	v_cmpx_ne_u32_e32 0x7f, v21
	s_cbranch_execz .LBB357_2914
; %bb.2911:                             ;   in Loop: Header=BB357_2083 Depth=1
	v_mov_b32_e32 v29, v14
	v_lshrrev_b32_e32 v12, 3, v21
	v_mov_b32_e32 v28, v13
	s_mov_b32 s21, exec_lo
	v_cmpx_gt_u32_e32 8, v21
; %bb.2912:                             ;   in Loop: Header=BB357_2083 Depth=1
	v_and_b32_e32 v12, 7, v27
	v_ffbh_u32_e32 v12, v12
	v_min_u32_e32 v12, 32, v12
	v_subrev_nc_u32_e32 v21, 28, v12
	v_sub_nc_u32_e32 v12, 29, v12
	v_lshlrev_b64 v[28:29], v21, v[13:14]
; %bb.2913:                             ;   in Loop: Header=BB357_2083 Depth=1
	s_or_b32 exec_lo, exec_lo, s21
	v_lshlrev_b32_e32 v21, 20, v28
	v_lshlrev_b32_e32 v22, 24, v13
	v_lshl_add_u32 v12, v12, 23, 0x3c000000
	v_and_b32_e32 v21, 0x700000, v21
	v_and_b32_e32 v22, 0x80000000, v22
	v_or3_b32 v22, v21, v22, v12
.LBB357_2914:                           ;   in Loop: Header=BB357_2083 Depth=1
	s_or_b32 exec_lo, exec_lo, s20
.LBB357_2915:                           ;   in Loop: Header=BB357_2083 Depth=1
	s_or_b32 exec_lo, exec_lo, s19
.LBB357_2916:                           ;   in Loop: Header=BB357_2083 Depth=1
	s_or_b32 exec_lo, exec_lo, s18
	v_cmp_ne_u16_sdwa s4, v13, v14 src0_sel:BYTE_1 src1_sel:DWORD
	s_and_saveexec_b32 s18, s4
	s_cbranch_execz .LBB357_2924
; %bb.2917:                             ;   in Loop: Header=BB357_2083 Depth=1
	v_cmp_ne_u16_sdwa s4, v13, v115 src0_sel:BYTE_1 src1_sel:DWORD
	v_bfrev_b32_e32 v30, 1
	s_and_saveexec_b32 s19, s4
	s_cbranch_execz .LBB357_2923
; %bb.2918:                             ;   in Loop: Header=BB357_2083 Depth=1
	v_mov_b32_e32 v12, 0xffff
	v_mov_b32_e32 v30, 0x7f800001
	s_mov_b32 s20, exec_lo
	v_and_b32_sdwa v12, v12, v13 dst_sel:DWORD dst_unused:UNUSED_PAD src0_sel:DWORD src1_sel:BYTE_1
	v_and_b32_e32 v21, 0x7f, v12
	v_cmpx_ne_u32_e32 0x7f, v21
	s_cbranch_execz .LBB357_2922
; %bb.2919:                             ;   in Loop: Header=BB357_2083 Depth=1
	v_and_b32_e32 v28, 7, v12
	v_mov_b32_e32 v29, v14
	v_lshrrev_b32_e32 v12, 3, v21
	s_mov_b32 s21, exec_lo
	v_cmpx_gt_u32_e32 8, v21
; %bb.2920:                             ;   in Loop: Header=BB357_2083 Depth=1
	v_ffbh_u32_e32 v12, v28
	v_min_u32_e32 v12, 32, v12
	v_subrev_nc_u32_e32 v21, 28, v12
	v_sub_nc_u32_e32 v12, 29, v12
	v_lshlrev_b64 v[28:29], v21, v[28:29]
	v_and_b32_e32 v28, 7, v28
; %bb.2921:                             ;   in Loop: Header=BB357_2083 Depth=1
	s_or_b32 exec_lo, exec_lo, s21
	v_lshlrev_b32_e32 v13, 16, v13
	v_lshlrev_b32_e32 v21, 20, v28
	v_lshl_add_u32 v12, v12, 23, 0x3c000000
	v_and_b32_e32 v13, 0x80000000, v13
	v_or3_b32 v30, v21, v13, v12
.LBB357_2922:                           ;   in Loop: Header=BB357_2083 Depth=1
	s_or_b32 exec_lo, exec_lo, s20
.LBB357_2923:                           ;   in Loop: Header=BB357_2083 Depth=1
	s_or_b32 exec_lo, exec_lo, s19
.LBB357_2924:                           ;   in Loop: Header=BB357_2083 Depth=1
	s_or_b32 exec_lo, exec_lo, s18
	v_and_b32_sdwa v13, v27, v117 dst_sel:DWORD dst_unused:UNUSED_PAD src0_sel:WORD_1 src1_sel:DWORD
	v_mov_b32_e32 v12, 0
	v_mov_b32_e32 v21, 0
	s_mov_b32 s18, exec_lo
	v_cmpx_ne_u16_e32 0, v13
	s_cbranch_execz .LBB357_2932
; %bb.2925:                             ;   in Loop: Header=BB357_2083 Depth=1
	v_bfrev_b32_e32 v21, 1
	s_mov_b32 s19, exec_lo
	v_cmpx_ne_u16_e32 0x80, v13
	s_cbranch_execz .LBB357_2931
; %bb.2926:                             ;   in Loop: Header=BB357_2083 Depth=1
	v_bfe_u32 v28, v27, 16, 7
	v_mov_b32_e32 v21, 0x7f800001
	s_mov_b32 s20, exec_lo
	v_cmpx_ne_u32_e32 0x7f, v28
	s_cbranch_execz .LBB357_2930
; %bb.2927:                             ;   in Loop: Header=BB357_2083 Depth=1
	v_mov_b32_e32 v13, 7
	v_lshrrev_b32_e32 v21, 3, v28
	v_cmp_gt_u32_e64 s4, 8, v28
	v_and_b32_sdwa v13, v27, v13 dst_sel:DWORD dst_unused:UNUSED_PAD src0_sel:WORD_1 src1_sel:DWORD
	v_mov_b32_e32 v29, v14
	v_mov_b32_e32 v28, v13
	s_and_saveexec_b32 s21, s4
; %bb.2928:                             ;   in Loop: Header=BB357_2083 Depth=1
	v_ffbh_u32_e32 v21, v13
	v_min_u32_e32 v21, 32, v21
	v_subrev_nc_u32_e32 v28, 28, v21
	v_sub_nc_u32_e32 v21, 29, v21
	v_lshlrev_b64 v[28:29], v28, v[13:14]
	v_and_b32_e32 v28, 7, v28
; %bb.2929:                             ;   in Loop: Header=BB357_2083 Depth=1
	s_or_b32 exec_lo, exec_lo, s21
	v_mov_b32_e32 v13, 24
	v_lshlrev_b32_e32 v28, 20, v28
	v_lshl_add_u32 v21, v21, 23, 0x3c000000
	v_lshlrev_b32_sdwa v13, v13, v27 dst_sel:DWORD dst_unused:UNUSED_PAD src0_sel:DWORD src1_sel:WORD_1
	v_and_b32_e32 v13, 0x80000000, v13
	v_or3_b32 v21, v28, v13, v21
.LBB357_2930:                           ;   in Loop: Header=BB357_2083 Depth=1
	s_or_b32 exec_lo, exec_lo, s20
.LBB357_2931:                           ;   in Loop: Header=BB357_2083 Depth=1
	s_or_b32 exec_lo, exec_lo, s19
.LBB357_2932:                           ;   in Loop: Header=BB357_2083 Depth=1
	s_or_b32 exec_lo, exec_lo, s18
	s_mov_b32 s18, exec_lo
	v_cmpx_lt_u64_e64 s[6:7], v[26:27]
	s_cbranch_execz .LBB357_2940
; %bb.2933:                             ;   in Loop: Header=BB357_2083 Depth=1
	v_cmp_ne_u32_sdwa s4, v27, v115 src0_sel:BYTE_3 src1_sel:DWORD
	v_bfrev_b32_e32 v12, 1
	s_and_saveexec_b32 s19, s4
	s_cbranch_execz .LBB357_2939
; %bb.2934:                             ;   in Loop: Header=BB357_2083 Depth=1
	v_bfe_u32 v26, v27, 24, 7
	v_mov_b32_e32 v12, 0x7f800001
	s_mov_b32 s20, exec_lo
	v_cmpx_ne_u32_e32 0x7f, v26
	s_cbranch_execz .LBB357_2938
; %bb.2935:                             ;   in Loop: Header=BB357_2083 Depth=1
	v_mov_b32_e32 v12, 7
	s_mov_b32 s21, exec_lo
	v_and_b32_sdwa v13, v27, v12 dst_sel:DWORD dst_unused:UNUSED_PAD src0_sel:BYTE_3 src1_sel:DWORD
	v_mov_b32_e32 v29, v14
	v_lshrrev_b32_e32 v12, 3, v26
	v_mov_b32_e32 v28, v13
	v_cmpx_gt_u32_e32 8, v26
; %bb.2936:                             ;   in Loop: Header=BB357_2083 Depth=1
	v_ffbh_u32_e32 v12, v13
	v_min_u32_e32 v12, 32, v12
	v_subrev_nc_u32_e32 v26, 28, v12
	v_sub_nc_u32_e32 v12, 29, v12
	v_lshlrev_b64 v[28:29], v26, v[13:14]
	v_and_b32_e32 v28, 7, v28
; %bb.2937:                             ;   in Loop: Header=BB357_2083 Depth=1
	s_or_b32 exec_lo, exec_lo, s21
	v_mov_b32_e32 v13, 24
	v_lshlrev_b32_e32 v26, 20, v28
	v_lshl_add_u32 v12, v12, 23, 0x3c000000
	v_lshlrev_b32_sdwa v13, v13, v27 dst_sel:DWORD dst_unused:UNUSED_PAD src0_sel:DWORD src1_sel:BYTE_3
	v_and_b32_e32 v13, 0x80000000, v13
	v_or3_b32 v12, v26, v13, v12
.LBB357_2938:                           ;   in Loop: Header=BB357_2083 Depth=1
	s_or_b32 exec_lo, exec_lo, s20
.LBB357_2939:                           ;   in Loop: Header=BB357_2083 Depth=1
	s_or_b32 exec_lo, exec_lo, s19
.LBB357_2940:                           ;   in Loop: Header=BB357_2083 Depth=1
	s_or_b32 exec_lo, exec_lo, s18
	v_mul_f32_e32 v13, v23, v30
	v_mul_f32_e32 v11, v23, v11
	;; [unrolled: 1-line block ×5, first 2 shown]
	v_bfe_u32 v26, v13, 16, 1
	v_or_b32_e32 v27, 0x400000, v13
	v_cmp_u_f32_e64 s4, v13, v13
	v_add3_u32 v26, v26, v13, 0x7fff
	v_cndmask_b32_e64 v13, v26, v27, s4
	v_lshrrev_b32_e32 v13, 16, v13
	buffer_store_dword v13, off, s[0:3], s32 offset:608 ; 4-byte Folded Spill
	v_mul_f32_e32 v13, v23, v22
	v_bfe_u32 v22, v13, 16, 1
	v_or_b32_e32 v26, 0x400000, v13
	v_cmp_u_f32_e64 s4, v13, v13
	v_add3_u32 v22, v22, v13, 0x7fff
	v_cndmask_b32_e64 v13, v22, v26, s4
	v_or_b32_e32 v22, 0x400000, v11
	v_cmp_u_f32_e64 s4, v11, v11
	v_lshrrev_b32_e32 v13, 16, v13
	buffer_store_dword v13, off, s[0:3], s32 offset:612 ; 4-byte Folded Spill
	v_bfe_u32 v13, v11, 16, 1
	v_add3_u32 v13, v13, v11, 0x7fff
	v_cndmask_b32_e64 v11, v13, v22, s4
	v_or_b32_e32 v13, 0x400000, v10
	v_cmp_u_f32_e64 s4, v10, v10
	v_lshrrev_b32_e32 v11, 16, v11
	buffer_store_dword v11, off, s[0:3], s32 offset:616 ; 4-byte Folded Spill
	v_bfe_u32 v11, v10, 16, 1
	;; [unrolled: 7-line block ×4, first 2 shown]
	v_add3_u32 v1, v1, v0, 0x7fff
	v_cndmask_b32_e64 v0, v1, v10, s4
	v_lshrrev_b32_e32 v0, 16, v0
	buffer_store_dword v0, off, s[0:3], s32 offset:632 ; 4-byte Folded Spill
	v_mul_f32_e32 v0, v23, v21
	v_bfe_u32 v1, v0, 16, 1
	v_or_b32_e32 v10, 0x400000, v0
	v_cmp_u_f32_e64 s4, v0, v0
	v_add3_u32 v1, v1, v0, 0x7fff
	v_cndmask_b32_e64 v0, v1, v10, s4
	v_lshrrev_b32_e32 v0, 16, v0
	buffer_store_dword v0, off, s[0:3], s32 offset:628 ; 4-byte Folded Spill
	v_mul_f32_e32 v0, v23, v12
	v_bfe_u32 v1, v0, 16, 1
	v_or_b32_e32 v10, 0x400000, v0
	v_cmp_u_f32_e64 s4, v0, v0
	v_add3_u32 v1, v1, v0, 0x7fff
	v_cndmask_b32_e64 v0, v1, v10, s4
	v_lshrrev_b32_e32 v0, 16, v0
	buffer_store_dword v0, off, s[0:3], s32 offset:636 ; 4-byte Folded Spill
	s_and_saveexec_b32 s18, vcc_lo
	s_cbranch_execz .LBB357_2942
; %bb.2941:                             ;   in Loop: Header=BB357_2083 Depth=1
	buffer_load_dword v0, off, s[0:3], s32 offset:632 ; 4-byte Folded Reload
	v_cmp_lt_i32_e64 s4, v102, v49
	s_waitcnt vmcnt(0)
	v_cndmask_b32_e64 v0, 0, v0, s4
	v_cmp_lt_i32_e64 s4, v52, v49
	buffer_store_dword v0, off, s[0:3], s32 offset:632 ; 4-byte Folded Spill
	buffer_load_dword v0, off, s[0:3], s32 offset:624 ; 4-byte Folded Reload
	s_waitcnt vmcnt(0)
	v_cndmask_b32_e64 v0, 0, v0, s4
	v_cmp_lt_i32_e64 s4, v51, v49
	buffer_store_dword v0, off, s[0:3], s32 offset:624 ; 4-byte Folded Spill
	buffer_load_dword v0, off, s[0:3], s32 offset:620 ; 4-byte Folded Reload
	;; [unrolled: 5-line block ×7, first 2 shown]
	s_waitcnt vmcnt(0)
	v_cndmask_b32_e64 v0, 0, v0, s4
	buffer_store_dword v0, off, s[0:3], s32 offset:636 ; 4-byte Folded Spill
.LBB357_2942:                           ;   in Loop: Header=BB357_2083 Depth=1
	s_or_b32 exec_lo, exec_lo, s18
	flat_load_dwordx2 v[26:27], v[24:25] offset:1280
	v_mov_b32_e32 v1, 0
	v_mov_b32_e32 v0, 0
	s_waitcnt vmcnt(0) lgkmcnt(0)
	v_cmp_ne_u16_sdwa s4, v26, v14 src0_sel:BYTE_0 src1_sel:DWORD
	s_and_saveexec_b32 s18, s4
	s_cbranch_execz .LBB357_2950
; %bb.2943:                             ;   in Loop: Header=BB357_2083 Depth=1
	v_cmp_ne_u16_sdwa s4, v26, v115 src0_sel:BYTE_0 src1_sel:DWORD
	v_bfrev_b32_e32 v0, 1
	s_and_saveexec_b32 s19, s4
	s_cbranch_execz .LBB357_2949
; %bb.2944:                             ;   in Loop: Header=BB357_2083 Depth=1
	v_and_b32_e32 v10, 0x7f, v26
	v_mov_b32_e32 v0, 0x7f800001
	s_mov_b32 s20, exec_lo
	v_cmpx_ne_u32_e32 0x7f, v10
	s_cbranch_execz .LBB357_2948
; %bb.2945:                             ;   in Loop: Header=BB357_2083 Depth=1
	v_mov_b32_e32 v29, v27
	v_lshrrev_b32_e32 v0, 3, v10
	v_mov_b32_e32 v28, v26
	s_mov_b32 s21, exec_lo
	v_cmpx_gt_u32_e32 8, v10
; %bb.2946:                             ;   in Loop: Header=BB357_2083 Depth=1
	v_and_b32_e32 v0, 7, v26
	v_ffbh_u32_e32 v0, v0
	v_min_u32_e32 v0, 32, v0
	v_subrev_nc_u32_e32 v10, 28, v0
	v_sub_nc_u32_e32 v0, 29, v0
	v_lshlrev_b64 v[28:29], v10, v[26:27]
; %bb.2947:                             ;   in Loop: Header=BB357_2083 Depth=1
	s_or_b32 exec_lo, exec_lo, s21
	v_lshlrev_b32_e32 v10, 20, v28
	v_lshlrev_b32_e32 v11, 24, v26
	v_lshl_add_u32 v0, v0, 23, 0x3c000000
	v_and_b32_e32 v10, 0x700000, v10
	v_and_b32_e32 v11, 0x80000000, v11
	v_or3_b32 v0, v10, v11, v0
.LBB357_2948:                           ;   in Loop: Header=BB357_2083 Depth=1
	s_or_b32 exec_lo, exec_lo, s20
.LBB357_2949:                           ;   in Loop: Header=BB357_2083 Depth=1
	s_or_b32 exec_lo, exec_lo, s19
.LBB357_2950:                           ;   in Loop: Header=BB357_2083 Depth=1
	s_or_b32 exec_lo, exec_lo, s18
	v_cmp_ne_u16_sdwa s4, v26, v14 src0_sel:BYTE_1 src1_sel:DWORD
	s_and_saveexec_b32 s18, s4
	s_cbranch_execz .LBB357_2958
; %bb.2951:                             ;   in Loop: Header=BB357_2083 Depth=1
	v_cmp_ne_u16_sdwa s4, v26, v115 src0_sel:BYTE_1 src1_sel:DWORD
	v_bfrev_b32_e32 v1, 1
	s_and_saveexec_b32 s19, s4
	s_cbranch_execz .LBB357_2957
; %bb.2952:                             ;   in Loop: Header=BB357_2083 Depth=1
	v_mov_b32_e32 v1, 0xffff
	s_mov_b32 s20, exec_lo
	v_and_b32_sdwa v11, v1, v26 dst_sel:DWORD dst_unused:UNUSED_PAD src0_sel:DWORD src1_sel:BYTE_1
	v_mov_b32_e32 v1, 0x7f800001
	v_and_b32_e32 v10, 0x7f, v11
	v_cmpx_ne_u32_e32 0x7f, v10
	s_cbranch_execz .LBB357_2956
; %bb.2953:                             ;   in Loop: Header=BB357_2083 Depth=1
	v_and_b32_e32 v13, 7, v11
	v_mov_b32_e32 v29, v14
	v_lshrrev_b32_e32 v1, 3, v10
	s_mov_b32 s21, exec_lo
	v_mov_b32_e32 v28, v13
	v_cmpx_gt_u32_e32 8, v10
; %bb.2954:                             ;   in Loop: Header=BB357_2083 Depth=1
	v_ffbh_u32_e32 v1, v13
	v_min_u32_e32 v1, 32, v1
	v_subrev_nc_u32_e32 v10, 28, v1
	v_sub_nc_u32_e32 v1, 29, v1
	v_lshlrev_b64 v[10:11], v10, v[13:14]
	v_and_b32_e32 v28, 7, v10
; %bb.2955:                             ;   in Loop: Header=BB357_2083 Depth=1
	s_or_b32 exec_lo, exec_lo, s21
	v_lshlrev_b32_e32 v10, 16, v26
	v_lshlrev_b32_e32 v11, 20, v28
	v_lshl_add_u32 v1, v1, 23, 0x3c000000
	v_and_b32_e32 v10, 0x80000000, v10
	v_or3_b32 v1, v11, v10, v1
.LBB357_2956:                           ;   in Loop: Header=BB357_2083 Depth=1
	s_or_b32 exec_lo, exec_lo, s20
.LBB357_2957:                           ;   in Loop: Header=BB357_2083 Depth=1
	s_or_b32 exec_lo, exec_lo, s19
.LBB357_2958:                           ;   in Loop: Header=BB357_2083 Depth=1
	s_or_b32 exec_lo, exec_lo, s18
	v_and_b32_sdwa v12, v26, v117 dst_sel:DWORD dst_unused:UNUSED_PAD src0_sel:WORD_1 src1_sel:DWORD
	v_mov_b32_e32 v11, 0
	v_mov_b32_e32 v10, 0
	s_mov_b32 s18, exec_lo
	v_cmpx_ne_u16_e32 0, v12
	s_cbranch_execz .LBB357_2966
; %bb.2959:                             ;   in Loop: Header=BB357_2083 Depth=1
	v_bfrev_b32_e32 v10, 1
	s_mov_b32 s19, exec_lo
	v_cmpx_ne_u16_e32 0x80, v12
	s_cbranch_execz .LBB357_2965
; %bb.2960:                             ;   in Loop: Header=BB357_2083 Depth=1
	v_bfe_u32 v12, v26, 16, 7
	v_mov_b32_e32 v10, 0x7f800001
	s_mov_b32 s20, exec_lo
	v_cmpx_ne_u32_e32 0x7f, v12
	s_cbranch_execz .LBB357_2964
; %bb.2961:                             ;   in Loop: Header=BB357_2083 Depth=1
	v_mov_b32_e32 v10, 7
	s_mov_b32 s21, exec_lo
	v_and_b32_sdwa v13, v26, v10 dst_sel:DWORD dst_unused:UNUSED_PAD src0_sel:WORD_1 src1_sel:DWORD
	v_mov_b32_e32 v29, v14
	v_lshrrev_b32_e32 v10, 3, v12
	v_mov_b32_e32 v28, v13
	v_cmpx_gt_u32_e32 8, v12
; %bb.2962:                             ;   in Loop: Header=BB357_2083 Depth=1
	v_ffbh_u32_e32 v10, v13
	v_min_u32_e32 v10, 32, v10
	v_subrev_nc_u32_e32 v12, 28, v10
	v_sub_nc_u32_e32 v10, 29, v10
	v_lshlrev_b64 v[12:13], v12, v[13:14]
	v_and_b32_e32 v28, 7, v12
; %bb.2963:                             ;   in Loop: Header=BB357_2083 Depth=1
	s_or_b32 exec_lo, exec_lo, s21
	v_mov_b32_e32 v12, 24
	v_lshlrev_b32_e32 v13, 20, v28
	v_lshl_add_u32 v10, v10, 23, 0x3c000000
	v_lshlrev_b32_sdwa v12, v12, v26 dst_sel:DWORD dst_unused:UNUSED_PAD src0_sel:DWORD src1_sel:WORD_1
	v_and_b32_e32 v12, 0x80000000, v12
	v_or3_b32 v10, v13, v12, v10
.LBB357_2964:                           ;   in Loop: Header=BB357_2083 Depth=1
	s_or_b32 exec_lo, exec_lo, s20
.LBB357_2965:                           ;   in Loop: Header=BB357_2083 Depth=1
	s_or_b32 exec_lo, exec_lo, s19
.LBB357_2966:                           ;   in Loop: Header=BB357_2083 Depth=1
	s_or_b32 exec_lo, exec_lo, s18
	s_mov_b32 s18, exec_lo
	v_cmpx_lt_u32_e32 0xffffff, v26
	s_cbranch_execz .LBB357_2974
; %bb.2967:                             ;   in Loop: Header=BB357_2083 Depth=1
	v_cmp_ne_u32_sdwa s4, v26, v115 src0_sel:BYTE_3 src1_sel:DWORD
	v_bfrev_b32_e32 v11, 1
	s_and_saveexec_b32 s19, s4
	s_cbranch_execz .LBB357_2973
; %bb.2968:                             ;   in Loop: Header=BB357_2083 Depth=1
	v_bfe_u32 v12, v26, 24, 7
	v_mov_b32_e32 v11, 0x7f800001
	s_mov_b32 s20, exec_lo
	v_cmpx_ne_u32_e32 0x7f, v12
	s_cbranch_execz .LBB357_2972
; %bb.2969:                             ;   in Loop: Header=BB357_2083 Depth=1
	v_mov_b32_e32 v11, 7
	s_mov_b32 s21, exec_lo
	v_and_b32_sdwa v13, v26, v11 dst_sel:DWORD dst_unused:UNUSED_PAD src0_sel:BYTE_3 src1_sel:DWORD
	v_mov_b32_e32 v29, v14
	v_lshrrev_b32_e32 v11, 3, v12
	v_mov_b32_e32 v28, v13
	v_cmpx_gt_u32_e32 8, v12
; %bb.2970:                             ;   in Loop: Header=BB357_2083 Depth=1
	v_ffbh_u32_e32 v11, v13
	v_min_u32_e32 v11, 32, v11
	v_subrev_nc_u32_e32 v12, 28, v11
	v_sub_nc_u32_e32 v11, 29, v11
	v_lshlrev_b64 v[12:13], v12, v[13:14]
	v_and_b32_e32 v28, 7, v12
; %bb.2971:                             ;   in Loop: Header=BB357_2083 Depth=1
	s_or_b32 exec_lo, exec_lo, s21
	v_mov_b32_e32 v12, 24
	v_lshlrev_b32_e32 v13, 20, v28
	v_lshl_add_u32 v11, v11, 23, 0x3c000000
	v_lshlrev_b32_sdwa v12, v12, v26 dst_sel:DWORD dst_unused:UNUSED_PAD src0_sel:DWORD src1_sel:BYTE_3
	v_and_b32_e32 v12, 0x80000000, v12
	v_or3_b32 v11, v13, v12, v11
.LBB357_2972:                           ;   in Loop: Header=BB357_2083 Depth=1
	s_or_b32 exec_lo, exec_lo, s20
.LBB357_2973:                           ;   in Loop: Header=BB357_2083 Depth=1
	s_or_b32 exec_lo, exec_lo, s19
.LBB357_2974:                           ;   in Loop: Header=BB357_2083 Depth=1
	s_or_b32 exec_lo, exec_lo, s18
	v_mov_b32_e32 v13, v27
	v_cmp_ne_u16_sdwa s4, v27, v14 src0_sel:BYTE_0 src1_sel:DWORD
	v_mov_b32_e32 v30, 0
	v_mov_b32_e32 v22, 0
	s_and_saveexec_b32 s18, s4
	s_cbranch_execz .LBB357_2982
; %bb.2975:                             ;   in Loop: Header=BB357_2083 Depth=1
	v_cmp_ne_u16_sdwa s4, v27, v115 src0_sel:BYTE_0 src1_sel:DWORD
	v_bfrev_b32_e32 v22, 1
	s_and_saveexec_b32 s19, s4
	s_cbranch_execz .LBB357_2981
; %bb.2976:                             ;   in Loop: Header=BB357_2083 Depth=1
	v_and_b32_e32 v21, 0x7f, v27
	v_mov_b32_e32 v22, 0x7f800001
	s_mov_b32 s20, exec_lo
	v_cmpx_ne_u32_e32 0x7f, v21
	s_cbranch_execz .LBB357_2980
; %bb.2977:                             ;   in Loop: Header=BB357_2083 Depth=1
	v_mov_b32_e32 v29, v14
	v_lshrrev_b32_e32 v12, 3, v21
	v_mov_b32_e32 v28, v13
	s_mov_b32 s21, exec_lo
	v_cmpx_gt_u32_e32 8, v21
; %bb.2978:                             ;   in Loop: Header=BB357_2083 Depth=1
	v_and_b32_e32 v12, 7, v27
	v_ffbh_u32_e32 v12, v12
	v_min_u32_e32 v12, 32, v12
	v_subrev_nc_u32_e32 v21, 28, v12
	v_sub_nc_u32_e32 v12, 29, v12
	v_lshlrev_b64 v[28:29], v21, v[13:14]
; %bb.2979:                             ;   in Loop: Header=BB357_2083 Depth=1
	s_or_b32 exec_lo, exec_lo, s21
	v_lshlrev_b32_e32 v21, 20, v28
	v_lshlrev_b32_e32 v22, 24, v13
	v_lshl_add_u32 v12, v12, 23, 0x3c000000
	v_and_b32_e32 v21, 0x700000, v21
	v_and_b32_e32 v22, 0x80000000, v22
	v_or3_b32 v22, v21, v22, v12
.LBB357_2980:                           ;   in Loop: Header=BB357_2083 Depth=1
	s_or_b32 exec_lo, exec_lo, s20
.LBB357_2981:                           ;   in Loop: Header=BB357_2083 Depth=1
	s_or_b32 exec_lo, exec_lo, s19
.LBB357_2982:                           ;   in Loop: Header=BB357_2083 Depth=1
	s_or_b32 exec_lo, exec_lo, s18
	v_cmp_ne_u16_sdwa s4, v13, v14 src0_sel:BYTE_1 src1_sel:DWORD
	s_and_saveexec_b32 s18, s4
	s_cbranch_execz .LBB357_2990
; %bb.2983:                             ;   in Loop: Header=BB357_2083 Depth=1
	v_cmp_ne_u16_sdwa s4, v13, v115 src0_sel:BYTE_1 src1_sel:DWORD
	v_bfrev_b32_e32 v30, 1
	s_and_saveexec_b32 s19, s4
	s_cbranch_execz .LBB357_2989
; %bb.2984:                             ;   in Loop: Header=BB357_2083 Depth=1
	v_mov_b32_e32 v12, 0xffff
	v_mov_b32_e32 v30, 0x7f800001
	s_mov_b32 s20, exec_lo
	v_and_b32_sdwa v12, v12, v13 dst_sel:DWORD dst_unused:UNUSED_PAD src0_sel:DWORD src1_sel:BYTE_1
	v_and_b32_e32 v21, 0x7f, v12
	v_cmpx_ne_u32_e32 0x7f, v21
	s_cbranch_execz .LBB357_2988
; %bb.2985:                             ;   in Loop: Header=BB357_2083 Depth=1
	v_and_b32_e32 v28, 7, v12
	v_mov_b32_e32 v29, v14
	v_lshrrev_b32_e32 v12, 3, v21
	s_mov_b32 s21, exec_lo
	v_cmpx_gt_u32_e32 8, v21
; %bb.2986:                             ;   in Loop: Header=BB357_2083 Depth=1
	v_ffbh_u32_e32 v12, v28
	v_min_u32_e32 v12, 32, v12
	v_subrev_nc_u32_e32 v21, 28, v12
	v_sub_nc_u32_e32 v12, 29, v12
	v_lshlrev_b64 v[28:29], v21, v[28:29]
	v_and_b32_e32 v28, 7, v28
; %bb.2987:                             ;   in Loop: Header=BB357_2083 Depth=1
	s_or_b32 exec_lo, exec_lo, s21
	v_lshlrev_b32_e32 v13, 16, v13
	v_lshlrev_b32_e32 v21, 20, v28
	v_lshl_add_u32 v12, v12, 23, 0x3c000000
	v_and_b32_e32 v13, 0x80000000, v13
	v_or3_b32 v30, v21, v13, v12
.LBB357_2988:                           ;   in Loop: Header=BB357_2083 Depth=1
	s_or_b32 exec_lo, exec_lo, s20
.LBB357_2989:                           ;   in Loop: Header=BB357_2083 Depth=1
	s_or_b32 exec_lo, exec_lo, s19
.LBB357_2990:                           ;   in Loop: Header=BB357_2083 Depth=1
	s_or_b32 exec_lo, exec_lo, s18
	v_and_b32_sdwa v13, v27, v117 dst_sel:DWORD dst_unused:UNUSED_PAD src0_sel:WORD_1 src1_sel:DWORD
	v_mov_b32_e32 v12, 0
	v_mov_b32_e32 v21, 0
	s_mov_b32 s18, exec_lo
	v_cmpx_ne_u16_e32 0, v13
	s_cbranch_execz .LBB357_2998
; %bb.2991:                             ;   in Loop: Header=BB357_2083 Depth=1
	v_bfrev_b32_e32 v21, 1
	s_mov_b32 s19, exec_lo
	v_cmpx_ne_u16_e32 0x80, v13
	s_cbranch_execz .LBB357_2997
; %bb.2992:                             ;   in Loop: Header=BB357_2083 Depth=1
	v_bfe_u32 v28, v27, 16, 7
	v_mov_b32_e32 v21, 0x7f800001
	s_mov_b32 s20, exec_lo
	v_cmpx_ne_u32_e32 0x7f, v28
	s_cbranch_execz .LBB357_2996
; %bb.2993:                             ;   in Loop: Header=BB357_2083 Depth=1
	v_mov_b32_e32 v13, 7
	v_lshrrev_b32_e32 v21, 3, v28
	v_cmp_gt_u32_e64 s4, 8, v28
	v_and_b32_sdwa v13, v27, v13 dst_sel:DWORD dst_unused:UNUSED_PAD src0_sel:WORD_1 src1_sel:DWORD
	v_mov_b32_e32 v29, v14
	v_mov_b32_e32 v28, v13
	s_and_saveexec_b32 s21, s4
; %bb.2994:                             ;   in Loop: Header=BB357_2083 Depth=1
	v_ffbh_u32_e32 v21, v13
	v_min_u32_e32 v21, 32, v21
	v_subrev_nc_u32_e32 v28, 28, v21
	v_sub_nc_u32_e32 v21, 29, v21
	v_lshlrev_b64 v[28:29], v28, v[13:14]
	v_and_b32_e32 v28, 7, v28
; %bb.2995:                             ;   in Loop: Header=BB357_2083 Depth=1
	s_or_b32 exec_lo, exec_lo, s21
	v_mov_b32_e32 v13, 24
	v_lshlrev_b32_e32 v28, 20, v28
	v_lshl_add_u32 v21, v21, 23, 0x3c000000
	v_lshlrev_b32_sdwa v13, v13, v27 dst_sel:DWORD dst_unused:UNUSED_PAD src0_sel:DWORD src1_sel:WORD_1
	v_and_b32_e32 v13, 0x80000000, v13
	v_or3_b32 v21, v28, v13, v21
.LBB357_2996:                           ;   in Loop: Header=BB357_2083 Depth=1
	s_or_b32 exec_lo, exec_lo, s20
.LBB357_2997:                           ;   in Loop: Header=BB357_2083 Depth=1
	s_or_b32 exec_lo, exec_lo, s19
.LBB357_2998:                           ;   in Loop: Header=BB357_2083 Depth=1
	s_or_b32 exec_lo, exec_lo, s18
	s_mov_b32 s18, exec_lo
	v_cmpx_lt_u64_e64 s[6:7], v[26:27]
	s_cbranch_execz .LBB357_3006
; %bb.2999:                             ;   in Loop: Header=BB357_2083 Depth=1
	v_cmp_ne_u32_sdwa s4, v27, v115 src0_sel:BYTE_3 src1_sel:DWORD
	v_bfrev_b32_e32 v12, 1
	s_and_saveexec_b32 s19, s4
	s_cbranch_execz .LBB357_3005
; %bb.3000:                             ;   in Loop: Header=BB357_2083 Depth=1
	v_bfe_u32 v26, v27, 24, 7
	v_mov_b32_e32 v12, 0x7f800001
	s_mov_b32 s20, exec_lo
	v_cmpx_ne_u32_e32 0x7f, v26
	s_cbranch_execz .LBB357_3004
; %bb.3001:                             ;   in Loop: Header=BB357_2083 Depth=1
	v_mov_b32_e32 v12, 7
	s_mov_b32 s21, exec_lo
	v_and_b32_sdwa v13, v27, v12 dst_sel:DWORD dst_unused:UNUSED_PAD src0_sel:BYTE_3 src1_sel:DWORD
	v_mov_b32_e32 v29, v14
	v_lshrrev_b32_e32 v12, 3, v26
	v_mov_b32_e32 v28, v13
	v_cmpx_gt_u32_e32 8, v26
; %bb.3002:                             ;   in Loop: Header=BB357_2083 Depth=1
	v_ffbh_u32_e32 v12, v13
	v_min_u32_e32 v12, 32, v12
	v_subrev_nc_u32_e32 v26, 28, v12
	v_sub_nc_u32_e32 v12, 29, v12
	v_lshlrev_b64 v[28:29], v26, v[13:14]
	v_and_b32_e32 v28, 7, v28
; %bb.3003:                             ;   in Loop: Header=BB357_2083 Depth=1
	s_or_b32 exec_lo, exec_lo, s21
	v_mov_b32_e32 v13, 24
	v_lshlrev_b32_e32 v26, 20, v28
	v_lshl_add_u32 v12, v12, 23, 0x3c000000
	v_lshlrev_b32_sdwa v13, v13, v27 dst_sel:DWORD dst_unused:UNUSED_PAD src0_sel:DWORD src1_sel:BYTE_3
	v_and_b32_e32 v13, 0x80000000, v13
	v_or3_b32 v12, v26, v13, v12
.LBB357_3004:                           ;   in Loop: Header=BB357_2083 Depth=1
	s_or_b32 exec_lo, exec_lo, s20
.LBB357_3005:                           ;   in Loop: Header=BB357_2083 Depth=1
	s_or_b32 exec_lo, exec_lo, s19
.LBB357_3006:                           ;   in Loop: Header=BB357_2083 Depth=1
	s_or_b32 exec_lo, exec_lo, s18
	v_mul_f32_e32 v13, v23, v30
	v_mul_f32_e32 v11, v23, v11
	v_mul_f32_e32 v10, v23, v10
	v_mul_f32_e32 v1, v23, v1
	v_mul_f32_e32 v0, v23, v0
	v_bfe_u32 v26, v13, 16, 1
	v_or_b32_e32 v27, 0x400000, v13
	v_cmp_u_f32_e64 s4, v13, v13
	v_add3_u32 v26, v26, v13, 0x7fff
	v_cndmask_b32_e64 v13, v26, v27, s4
	v_lshrrev_b32_e32 v13, 16, v13
	buffer_store_dword v13, off, s[0:3], s32 offset:640 ; 4-byte Folded Spill
	v_mul_f32_e32 v13, v23, v22
	v_bfe_u32 v22, v13, 16, 1
	v_or_b32_e32 v26, 0x400000, v13
	v_cmp_u_f32_e64 s4, v13, v13
	v_add3_u32 v22, v22, v13, 0x7fff
	v_cndmask_b32_e64 v13, v22, v26, s4
	v_or_b32_e32 v22, 0x400000, v11
	v_cmp_u_f32_e64 s4, v11, v11
	v_lshrrev_b32_e32 v13, 16, v13
	buffer_store_dword v13, off, s[0:3], s32 offset:644 ; 4-byte Folded Spill
	v_bfe_u32 v13, v11, 16, 1
	v_add3_u32 v13, v13, v11, 0x7fff
	v_cndmask_b32_e64 v11, v13, v22, s4
	v_or_b32_e32 v13, 0x400000, v10
	v_cmp_u_f32_e64 s4, v10, v10
	v_lshrrev_b32_e32 v11, 16, v11
	buffer_store_dword v11, off, s[0:3], s32 offset:648 ; 4-byte Folded Spill
	v_bfe_u32 v11, v10, 16, 1
	;; [unrolled: 7-line block ×4, first 2 shown]
	v_add3_u32 v1, v1, v0, 0x7fff
	v_cndmask_b32_e64 v0, v1, v10, s4
	v_lshrrev_b32_e32 v0, 16, v0
	buffer_store_dword v0, off, s[0:3], s32 offset:664 ; 4-byte Folded Spill
	v_mul_f32_e32 v0, v23, v21
	v_bfe_u32 v1, v0, 16, 1
	v_or_b32_e32 v10, 0x400000, v0
	v_cmp_u_f32_e64 s4, v0, v0
	v_add3_u32 v1, v1, v0, 0x7fff
	v_cndmask_b32_e64 v0, v1, v10, s4
	v_lshrrev_b32_e32 v0, 16, v0
	buffer_store_dword v0, off, s[0:3], s32 offset:660 ; 4-byte Folded Spill
	v_mul_f32_e32 v0, v23, v12
	v_bfe_u32 v1, v0, 16, 1
	v_or_b32_e32 v10, 0x400000, v0
	v_cmp_u_f32_e64 s4, v0, v0
	v_add3_u32 v1, v1, v0, 0x7fff
	v_cndmask_b32_e64 v0, v1, v10, s4
	v_lshrrev_b32_e32 v0, 16, v0
	buffer_store_dword v0, off, s[0:3], s32 offset:668 ; 4-byte Folded Spill
	s_and_saveexec_b32 s18, vcc_lo
	s_cbranch_execz .LBB357_3008
; %bb.3007:                             ;   in Loop: Header=BB357_2083 Depth=1
	buffer_load_dword v0, off, s[0:3], s32 offset:664 ; 4-byte Folded Reload
	v_cmp_lt_i32_e64 s4, v102, v49
	s_waitcnt vmcnt(0)
	v_cndmask_b32_e64 v0, 0, v0, s4
	v_cmp_lt_i32_e64 s4, v52, v49
	buffer_store_dword v0, off, s[0:3], s32 offset:664 ; 4-byte Folded Spill
	buffer_load_dword v0, off, s[0:3], s32 offset:656 ; 4-byte Folded Reload
	s_waitcnt vmcnt(0)
	v_cndmask_b32_e64 v0, 0, v0, s4
	v_cmp_lt_i32_e64 s4, v51, v49
	buffer_store_dword v0, off, s[0:3], s32 offset:656 ; 4-byte Folded Spill
	buffer_load_dword v0, off, s[0:3], s32 offset:652 ; 4-byte Folded Reload
	;; [unrolled: 5-line block ×7, first 2 shown]
	s_waitcnt vmcnt(0)
	v_cndmask_b32_e64 v0, 0, v0, s4
	buffer_store_dword v0, off, s[0:3], s32 offset:668 ; 4-byte Folded Spill
.LBB357_3008:                           ;   in Loop: Header=BB357_2083 Depth=1
	s_or_b32 exec_lo, exec_lo, s18
	flat_load_dwordx2 v[26:27], v[24:25] offset:1536
	v_mov_b32_e32 v1, 0
	v_mov_b32_e32 v0, 0
	s_waitcnt vmcnt(0) lgkmcnt(0)
	v_cmp_ne_u16_sdwa s4, v26, v14 src0_sel:BYTE_0 src1_sel:DWORD
	s_and_saveexec_b32 s18, s4
	s_cbranch_execz .LBB357_3016
; %bb.3009:                             ;   in Loop: Header=BB357_2083 Depth=1
	v_cmp_ne_u16_sdwa s4, v26, v115 src0_sel:BYTE_0 src1_sel:DWORD
	v_bfrev_b32_e32 v0, 1
	s_and_saveexec_b32 s19, s4
	s_cbranch_execz .LBB357_3015
; %bb.3010:                             ;   in Loop: Header=BB357_2083 Depth=1
	v_and_b32_e32 v10, 0x7f, v26
	v_mov_b32_e32 v0, 0x7f800001
	s_mov_b32 s20, exec_lo
	v_cmpx_ne_u32_e32 0x7f, v10
	s_cbranch_execz .LBB357_3014
; %bb.3011:                             ;   in Loop: Header=BB357_2083 Depth=1
	v_mov_b32_e32 v29, v27
	v_lshrrev_b32_e32 v0, 3, v10
	v_mov_b32_e32 v28, v26
	s_mov_b32 s21, exec_lo
	v_cmpx_gt_u32_e32 8, v10
; %bb.3012:                             ;   in Loop: Header=BB357_2083 Depth=1
	v_and_b32_e32 v0, 7, v26
	v_ffbh_u32_e32 v0, v0
	v_min_u32_e32 v0, 32, v0
	v_subrev_nc_u32_e32 v10, 28, v0
	v_sub_nc_u32_e32 v0, 29, v0
	v_lshlrev_b64 v[28:29], v10, v[26:27]
; %bb.3013:                             ;   in Loop: Header=BB357_2083 Depth=1
	s_or_b32 exec_lo, exec_lo, s21
	v_lshlrev_b32_e32 v10, 20, v28
	v_lshlrev_b32_e32 v11, 24, v26
	v_lshl_add_u32 v0, v0, 23, 0x3c000000
	v_and_b32_e32 v10, 0x700000, v10
	v_and_b32_e32 v11, 0x80000000, v11
	v_or3_b32 v0, v10, v11, v0
.LBB357_3014:                           ;   in Loop: Header=BB357_2083 Depth=1
	s_or_b32 exec_lo, exec_lo, s20
.LBB357_3015:                           ;   in Loop: Header=BB357_2083 Depth=1
	s_or_b32 exec_lo, exec_lo, s19
.LBB357_3016:                           ;   in Loop: Header=BB357_2083 Depth=1
	s_or_b32 exec_lo, exec_lo, s18
	v_cmp_ne_u16_sdwa s4, v26, v14 src0_sel:BYTE_1 src1_sel:DWORD
	s_and_saveexec_b32 s18, s4
	s_cbranch_execz .LBB357_3024
; %bb.3017:                             ;   in Loop: Header=BB357_2083 Depth=1
	v_cmp_ne_u16_sdwa s4, v26, v115 src0_sel:BYTE_1 src1_sel:DWORD
	v_bfrev_b32_e32 v1, 1
	s_and_saveexec_b32 s19, s4
	s_cbranch_execz .LBB357_3023
; %bb.3018:                             ;   in Loop: Header=BB357_2083 Depth=1
	v_mov_b32_e32 v1, 0xffff
	s_mov_b32 s20, exec_lo
	v_and_b32_sdwa v11, v1, v26 dst_sel:DWORD dst_unused:UNUSED_PAD src0_sel:DWORD src1_sel:BYTE_1
	v_mov_b32_e32 v1, 0x7f800001
	v_and_b32_e32 v10, 0x7f, v11
	v_cmpx_ne_u32_e32 0x7f, v10
	s_cbranch_execz .LBB357_3022
; %bb.3019:                             ;   in Loop: Header=BB357_2083 Depth=1
	v_and_b32_e32 v13, 7, v11
	v_mov_b32_e32 v29, v14
	v_lshrrev_b32_e32 v1, 3, v10
	s_mov_b32 s21, exec_lo
	v_mov_b32_e32 v28, v13
	v_cmpx_gt_u32_e32 8, v10
; %bb.3020:                             ;   in Loop: Header=BB357_2083 Depth=1
	v_ffbh_u32_e32 v1, v13
	v_min_u32_e32 v1, 32, v1
	v_subrev_nc_u32_e32 v10, 28, v1
	v_sub_nc_u32_e32 v1, 29, v1
	v_lshlrev_b64 v[10:11], v10, v[13:14]
	v_and_b32_e32 v28, 7, v10
; %bb.3021:                             ;   in Loop: Header=BB357_2083 Depth=1
	s_or_b32 exec_lo, exec_lo, s21
	v_lshlrev_b32_e32 v10, 16, v26
	v_lshlrev_b32_e32 v11, 20, v28
	v_lshl_add_u32 v1, v1, 23, 0x3c000000
	v_and_b32_e32 v10, 0x80000000, v10
	v_or3_b32 v1, v11, v10, v1
.LBB357_3022:                           ;   in Loop: Header=BB357_2083 Depth=1
	s_or_b32 exec_lo, exec_lo, s20
.LBB357_3023:                           ;   in Loop: Header=BB357_2083 Depth=1
	s_or_b32 exec_lo, exec_lo, s19
.LBB357_3024:                           ;   in Loop: Header=BB357_2083 Depth=1
	s_or_b32 exec_lo, exec_lo, s18
	v_and_b32_sdwa v12, v26, v117 dst_sel:DWORD dst_unused:UNUSED_PAD src0_sel:WORD_1 src1_sel:DWORD
	v_mov_b32_e32 v11, 0
	v_mov_b32_e32 v10, 0
	s_mov_b32 s18, exec_lo
	v_cmpx_ne_u16_e32 0, v12
	s_cbranch_execz .LBB357_3032
; %bb.3025:                             ;   in Loop: Header=BB357_2083 Depth=1
	v_bfrev_b32_e32 v10, 1
	s_mov_b32 s19, exec_lo
	v_cmpx_ne_u16_e32 0x80, v12
	s_cbranch_execz .LBB357_3031
; %bb.3026:                             ;   in Loop: Header=BB357_2083 Depth=1
	v_bfe_u32 v12, v26, 16, 7
	v_mov_b32_e32 v10, 0x7f800001
	s_mov_b32 s20, exec_lo
	v_cmpx_ne_u32_e32 0x7f, v12
	s_cbranch_execz .LBB357_3030
; %bb.3027:                             ;   in Loop: Header=BB357_2083 Depth=1
	v_mov_b32_e32 v10, 7
	s_mov_b32 s21, exec_lo
	v_and_b32_sdwa v13, v26, v10 dst_sel:DWORD dst_unused:UNUSED_PAD src0_sel:WORD_1 src1_sel:DWORD
	v_mov_b32_e32 v29, v14
	v_lshrrev_b32_e32 v10, 3, v12
	v_mov_b32_e32 v28, v13
	v_cmpx_gt_u32_e32 8, v12
; %bb.3028:                             ;   in Loop: Header=BB357_2083 Depth=1
	v_ffbh_u32_e32 v10, v13
	v_min_u32_e32 v10, 32, v10
	v_subrev_nc_u32_e32 v12, 28, v10
	v_sub_nc_u32_e32 v10, 29, v10
	v_lshlrev_b64 v[12:13], v12, v[13:14]
	v_and_b32_e32 v28, 7, v12
; %bb.3029:                             ;   in Loop: Header=BB357_2083 Depth=1
	s_or_b32 exec_lo, exec_lo, s21
	v_mov_b32_e32 v12, 24
	v_lshlrev_b32_e32 v13, 20, v28
	v_lshl_add_u32 v10, v10, 23, 0x3c000000
	v_lshlrev_b32_sdwa v12, v12, v26 dst_sel:DWORD dst_unused:UNUSED_PAD src0_sel:DWORD src1_sel:WORD_1
	v_and_b32_e32 v12, 0x80000000, v12
	v_or3_b32 v10, v13, v12, v10
.LBB357_3030:                           ;   in Loop: Header=BB357_2083 Depth=1
	s_or_b32 exec_lo, exec_lo, s20
.LBB357_3031:                           ;   in Loop: Header=BB357_2083 Depth=1
	s_or_b32 exec_lo, exec_lo, s19
.LBB357_3032:                           ;   in Loop: Header=BB357_2083 Depth=1
	s_or_b32 exec_lo, exec_lo, s18
	s_mov_b32 s18, exec_lo
	v_cmpx_lt_u32_e32 0xffffff, v26
	s_cbranch_execz .LBB357_3040
; %bb.3033:                             ;   in Loop: Header=BB357_2083 Depth=1
	v_cmp_ne_u32_sdwa s4, v26, v115 src0_sel:BYTE_3 src1_sel:DWORD
	v_bfrev_b32_e32 v11, 1
	s_and_saveexec_b32 s19, s4
	s_cbranch_execz .LBB357_3039
; %bb.3034:                             ;   in Loop: Header=BB357_2083 Depth=1
	v_bfe_u32 v12, v26, 24, 7
	v_mov_b32_e32 v11, 0x7f800001
	s_mov_b32 s20, exec_lo
	v_cmpx_ne_u32_e32 0x7f, v12
	s_cbranch_execz .LBB357_3038
; %bb.3035:                             ;   in Loop: Header=BB357_2083 Depth=1
	v_mov_b32_e32 v11, 7
	s_mov_b32 s21, exec_lo
	v_and_b32_sdwa v13, v26, v11 dst_sel:DWORD dst_unused:UNUSED_PAD src0_sel:BYTE_3 src1_sel:DWORD
	v_mov_b32_e32 v29, v14
	v_lshrrev_b32_e32 v11, 3, v12
	v_mov_b32_e32 v28, v13
	v_cmpx_gt_u32_e32 8, v12
; %bb.3036:                             ;   in Loop: Header=BB357_2083 Depth=1
	v_ffbh_u32_e32 v11, v13
	v_min_u32_e32 v11, 32, v11
	v_subrev_nc_u32_e32 v12, 28, v11
	v_sub_nc_u32_e32 v11, 29, v11
	v_lshlrev_b64 v[12:13], v12, v[13:14]
	v_and_b32_e32 v28, 7, v12
; %bb.3037:                             ;   in Loop: Header=BB357_2083 Depth=1
	s_or_b32 exec_lo, exec_lo, s21
	v_mov_b32_e32 v12, 24
	v_lshlrev_b32_e32 v13, 20, v28
	v_lshl_add_u32 v11, v11, 23, 0x3c000000
	v_lshlrev_b32_sdwa v12, v12, v26 dst_sel:DWORD dst_unused:UNUSED_PAD src0_sel:DWORD src1_sel:BYTE_3
	v_and_b32_e32 v12, 0x80000000, v12
	v_or3_b32 v11, v13, v12, v11
.LBB357_3038:                           ;   in Loop: Header=BB357_2083 Depth=1
	s_or_b32 exec_lo, exec_lo, s20
.LBB357_3039:                           ;   in Loop: Header=BB357_2083 Depth=1
	s_or_b32 exec_lo, exec_lo, s19
.LBB357_3040:                           ;   in Loop: Header=BB357_2083 Depth=1
	s_or_b32 exec_lo, exec_lo, s18
	v_mov_b32_e32 v13, v27
	v_cmp_ne_u16_sdwa s4, v27, v14 src0_sel:BYTE_0 src1_sel:DWORD
	v_mov_b32_e32 v30, 0
	v_mov_b32_e32 v22, 0
	s_and_saveexec_b32 s18, s4
	s_cbranch_execz .LBB357_3048
; %bb.3041:                             ;   in Loop: Header=BB357_2083 Depth=1
	v_cmp_ne_u16_sdwa s4, v27, v115 src0_sel:BYTE_0 src1_sel:DWORD
	v_bfrev_b32_e32 v22, 1
	s_and_saveexec_b32 s19, s4
	s_cbranch_execz .LBB357_3047
; %bb.3042:                             ;   in Loop: Header=BB357_2083 Depth=1
	v_and_b32_e32 v21, 0x7f, v27
	v_mov_b32_e32 v22, 0x7f800001
	s_mov_b32 s20, exec_lo
	v_cmpx_ne_u32_e32 0x7f, v21
	s_cbranch_execz .LBB357_3046
; %bb.3043:                             ;   in Loop: Header=BB357_2083 Depth=1
	v_mov_b32_e32 v29, v14
	v_lshrrev_b32_e32 v12, 3, v21
	v_mov_b32_e32 v28, v13
	s_mov_b32 s21, exec_lo
	v_cmpx_gt_u32_e32 8, v21
; %bb.3044:                             ;   in Loop: Header=BB357_2083 Depth=1
	v_and_b32_e32 v12, 7, v27
	v_ffbh_u32_e32 v12, v12
	v_min_u32_e32 v12, 32, v12
	v_subrev_nc_u32_e32 v21, 28, v12
	v_sub_nc_u32_e32 v12, 29, v12
	v_lshlrev_b64 v[28:29], v21, v[13:14]
; %bb.3045:                             ;   in Loop: Header=BB357_2083 Depth=1
	s_or_b32 exec_lo, exec_lo, s21
	v_lshlrev_b32_e32 v21, 20, v28
	v_lshlrev_b32_e32 v22, 24, v13
	v_lshl_add_u32 v12, v12, 23, 0x3c000000
	v_and_b32_e32 v21, 0x700000, v21
	v_and_b32_e32 v22, 0x80000000, v22
	v_or3_b32 v22, v21, v22, v12
.LBB357_3046:                           ;   in Loop: Header=BB357_2083 Depth=1
	s_or_b32 exec_lo, exec_lo, s20
.LBB357_3047:                           ;   in Loop: Header=BB357_2083 Depth=1
	s_or_b32 exec_lo, exec_lo, s19
.LBB357_3048:                           ;   in Loop: Header=BB357_2083 Depth=1
	s_or_b32 exec_lo, exec_lo, s18
	v_cmp_ne_u16_sdwa s4, v13, v14 src0_sel:BYTE_1 src1_sel:DWORD
	s_and_saveexec_b32 s18, s4
	s_cbranch_execz .LBB357_3056
; %bb.3049:                             ;   in Loop: Header=BB357_2083 Depth=1
	v_cmp_ne_u16_sdwa s4, v13, v115 src0_sel:BYTE_1 src1_sel:DWORD
	v_bfrev_b32_e32 v30, 1
	s_and_saveexec_b32 s19, s4
	s_cbranch_execz .LBB357_3055
; %bb.3050:                             ;   in Loop: Header=BB357_2083 Depth=1
	v_mov_b32_e32 v12, 0xffff
	v_mov_b32_e32 v30, 0x7f800001
	s_mov_b32 s20, exec_lo
	v_and_b32_sdwa v12, v12, v13 dst_sel:DWORD dst_unused:UNUSED_PAD src0_sel:DWORD src1_sel:BYTE_1
	v_and_b32_e32 v21, 0x7f, v12
	v_cmpx_ne_u32_e32 0x7f, v21
	s_cbranch_execz .LBB357_3054
; %bb.3051:                             ;   in Loop: Header=BB357_2083 Depth=1
	v_and_b32_e32 v28, 7, v12
	v_mov_b32_e32 v29, v14
	v_lshrrev_b32_e32 v12, 3, v21
	s_mov_b32 s21, exec_lo
	v_cmpx_gt_u32_e32 8, v21
; %bb.3052:                             ;   in Loop: Header=BB357_2083 Depth=1
	v_ffbh_u32_e32 v12, v28
	v_min_u32_e32 v12, 32, v12
	v_subrev_nc_u32_e32 v21, 28, v12
	v_sub_nc_u32_e32 v12, 29, v12
	v_lshlrev_b64 v[28:29], v21, v[28:29]
	v_and_b32_e32 v28, 7, v28
; %bb.3053:                             ;   in Loop: Header=BB357_2083 Depth=1
	s_or_b32 exec_lo, exec_lo, s21
	v_lshlrev_b32_e32 v13, 16, v13
	v_lshlrev_b32_e32 v21, 20, v28
	v_lshl_add_u32 v12, v12, 23, 0x3c000000
	v_and_b32_e32 v13, 0x80000000, v13
	v_or3_b32 v30, v21, v13, v12
.LBB357_3054:                           ;   in Loop: Header=BB357_2083 Depth=1
	s_or_b32 exec_lo, exec_lo, s20
.LBB357_3055:                           ;   in Loop: Header=BB357_2083 Depth=1
	s_or_b32 exec_lo, exec_lo, s19
.LBB357_3056:                           ;   in Loop: Header=BB357_2083 Depth=1
	s_or_b32 exec_lo, exec_lo, s18
	v_and_b32_sdwa v13, v27, v117 dst_sel:DWORD dst_unused:UNUSED_PAD src0_sel:WORD_1 src1_sel:DWORD
	v_mov_b32_e32 v12, 0
	v_mov_b32_e32 v21, 0
	s_mov_b32 s18, exec_lo
	v_cmpx_ne_u16_e32 0, v13
	s_cbranch_execz .LBB357_3064
; %bb.3057:                             ;   in Loop: Header=BB357_2083 Depth=1
	v_bfrev_b32_e32 v21, 1
	s_mov_b32 s19, exec_lo
	v_cmpx_ne_u16_e32 0x80, v13
	s_cbranch_execz .LBB357_3063
; %bb.3058:                             ;   in Loop: Header=BB357_2083 Depth=1
	v_bfe_u32 v28, v27, 16, 7
	v_mov_b32_e32 v21, 0x7f800001
	s_mov_b32 s20, exec_lo
	v_cmpx_ne_u32_e32 0x7f, v28
	s_cbranch_execz .LBB357_3062
; %bb.3059:                             ;   in Loop: Header=BB357_2083 Depth=1
	v_mov_b32_e32 v13, 7
	v_lshrrev_b32_e32 v21, 3, v28
	v_cmp_gt_u32_e64 s4, 8, v28
	v_and_b32_sdwa v13, v27, v13 dst_sel:DWORD dst_unused:UNUSED_PAD src0_sel:WORD_1 src1_sel:DWORD
	v_mov_b32_e32 v29, v14
	v_mov_b32_e32 v28, v13
	s_and_saveexec_b32 s21, s4
; %bb.3060:                             ;   in Loop: Header=BB357_2083 Depth=1
	v_ffbh_u32_e32 v21, v13
	v_min_u32_e32 v21, 32, v21
	v_subrev_nc_u32_e32 v28, 28, v21
	v_sub_nc_u32_e32 v21, 29, v21
	v_lshlrev_b64 v[28:29], v28, v[13:14]
	v_and_b32_e32 v28, 7, v28
; %bb.3061:                             ;   in Loop: Header=BB357_2083 Depth=1
	s_or_b32 exec_lo, exec_lo, s21
	v_mov_b32_e32 v13, 24
	v_lshlrev_b32_e32 v28, 20, v28
	v_lshl_add_u32 v21, v21, 23, 0x3c000000
	v_lshlrev_b32_sdwa v13, v13, v27 dst_sel:DWORD dst_unused:UNUSED_PAD src0_sel:DWORD src1_sel:WORD_1
	v_and_b32_e32 v13, 0x80000000, v13
	v_or3_b32 v21, v28, v13, v21
.LBB357_3062:                           ;   in Loop: Header=BB357_2083 Depth=1
	s_or_b32 exec_lo, exec_lo, s20
.LBB357_3063:                           ;   in Loop: Header=BB357_2083 Depth=1
	s_or_b32 exec_lo, exec_lo, s19
.LBB357_3064:                           ;   in Loop: Header=BB357_2083 Depth=1
	s_or_b32 exec_lo, exec_lo, s18
	s_mov_b32 s18, exec_lo
	v_cmpx_lt_u64_e64 s[6:7], v[26:27]
	s_cbranch_execz .LBB357_3072
; %bb.3065:                             ;   in Loop: Header=BB357_2083 Depth=1
	v_cmp_ne_u32_sdwa s4, v27, v115 src0_sel:BYTE_3 src1_sel:DWORD
	v_bfrev_b32_e32 v12, 1
	s_and_saveexec_b32 s19, s4
	s_cbranch_execz .LBB357_3071
; %bb.3066:                             ;   in Loop: Header=BB357_2083 Depth=1
	v_bfe_u32 v26, v27, 24, 7
	v_mov_b32_e32 v12, 0x7f800001
	s_mov_b32 s20, exec_lo
	v_cmpx_ne_u32_e32 0x7f, v26
	s_cbranch_execz .LBB357_3070
; %bb.3067:                             ;   in Loop: Header=BB357_2083 Depth=1
	v_mov_b32_e32 v12, 7
	s_mov_b32 s21, exec_lo
	v_and_b32_sdwa v13, v27, v12 dst_sel:DWORD dst_unused:UNUSED_PAD src0_sel:BYTE_3 src1_sel:DWORD
	v_mov_b32_e32 v29, v14
	v_lshrrev_b32_e32 v12, 3, v26
	v_mov_b32_e32 v28, v13
	v_cmpx_gt_u32_e32 8, v26
; %bb.3068:                             ;   in Loop: Header=BB357_2083 Depth=1
	v_ffbh_u32_e32 v12, v13
	v_min_u32_e32 v12, 32, v12
	v_subrev_nc_u32_e32 v26, 28, v12
	v_sub_nc_u32_e32 v12, 29, v12
	v_lshlrev_b64 v[28:29], v26, v[13:14]
	v_and_b32_e32 v28, 7, v28
; %bb.3069:                             ;   in Loop: Header=BB357_2083 Depth=1
	s_or_b32 exec_lo, exec_lo, s21
	v_mov_b32_e32 v13, 24
	v_lshlrev_b32_e32 v26, 20, v28
	v_lshl_add_u32 v12, v12, 23, 0x3c000000
	v_lshlrev_b32_sdwa v13, v13, v27 dst_sel:DWORD dst_unused:UNUSED_PAD src0_sel:DWORD src1_sel:BYTE_3
	v_and_b32_e32 v13, 0x80000000, v13
	v_or3_b32 v12, v26, v13, v12
.LBB357_3070:                           ;   in Loop: Header=BB357_2083 Depth=1
	s_or_b32 exec_lo, exec_lo, s20
.LBB357_3071:                           ;   in Loop: Header=BB357_2083 Depth=1
	s_or_b32 exec_lo, exec_lo, s19
.LBB357_3072:                           ;   in Loop: Header=BB357_2083 Depth=1
	s_or_b32 exec_lo, exec_lo, s18
	v_mul_f32_e32 v13, v23, v30
	v_mul_f32_e32 v11, v23, v11
	;; [unrolled: 1-line block ×5, first 2 shown]
	v_bfe_u32 v26, v13, 16, 1
	v_or_b32_e32 v27, 0x400000, v13
	v_cmp_u_f32_e64 s4, v13, v13
	v_add3_u32 v26, v26, v13, 0x7fff
	v_cndmask_b32_e64 v13, v26, v27, s4
	v_lshrrev_b32_e32 v13, 16, v13
	buffer_store_dword v13, off, s[0:3], s32 offset:672 ; 4-byte Folded Spill
	v_mul_f32_e32 v13, v23, v22
	v_bfe_u32 v22, v13, 16, 1
	v_or_b32_e32 v26, 0x400000, v13
	v_cmp_u_f32_e64 s4, v13, v13
	v_add3_u32 v22, v22, v13, 0x7fff
	v_cndmask_b32_e64 v13, v22, v26, s4
	v_or_b32_e32 v22, 0x400000, v11
	v_cmp_u_f32_e64 s4, v11, v11
	v_lshrrev_b32_e32 v13, 16, v13
	buffer_store_dword v13, off, s[0:3], s32 offset:676 ; 4-byte Folded Spill
	v_bfe_u32 v13, v11, 16, 1
	v_add3_u32 v13, v13, v11, 0x7fff
	v_cndmask_b32_e64 v11, v13, v22, s4
	v_or_b32_e32 v13, 0x400000, v10
	v_cmp_u_f32_e64 s4, v10, v10
	v_lshrrev_b32_e32 v11, 16, v11
	buffer_store_dword v11, off, s[0:3], s32 offset:680 ; 4-byte Folded Spill
	v_bfe_u32 v11, v10, 16, 1
	;; [unrolled: 7-line block ×4, first 2 shown]
	v_add3_u32 v1, v1, v0, 0x7fff
	v_cndmask_b32_e64 v0, v1, v10, s4
	v_lshrrev_b32_e32 v0, 16, v0
	buffer_store_dword v0, off, s[0:3], s32 offset:696 ; 4-byte Folded Spill
	v_mul_f32_e32 v0, v23, v21
	v_bfe_u32 v1, v0, 16, 1
	v_or_b32_e32 v10, 0x400000, v0
	v_cmp_u_f32_e64 s4, v0, v0
	v_add3_u32 v1, v1, v0, 0x7fff
	v_cndmask_b32_e64 v0, v1, v10, s4
	v_lshrrev_b32_e32 v0, 16, v0
	buffer_store_dword v0, off, s[0:3], s32 offset:692 ; 4-byte Folded Spill
	v_mul_f32_e32 v0, v23, v12
	v_bfe_u32 v1, v0, 16, 1
	v_or_b32_e32 v10, 0x400000, v0
	v_cmp_u_f32_e64 s4, v0, v0
	v_add3_u32 v1, v1, v0, 0x7fff
	v_cndmask_b32_e64 v0, v1, v10, s4
	v_lshrrev_b32_e32 v0, 16, v0
	buffer_store_dword v0, off, s[0:3], s32 offset:700 ; 4-byte Folded Spill
	s_and_saveexec_b32 s18, vcc_lo
	s_cbranch_execz .LBB357_3074
; %bb.3073:                             ;   in Loop: Header=BB357_2083 Depth=1
	buffer_load_dword v0, off, s[0:3], s32 offset:696 ; 4-byte Folded Reload
	v_cmp_lt_i32_e64 s4, v102, v49
	s_waitcnt vmcnt(0)
	v_cndmask_b32_e64 v0, 0, v0, s4
	v_cmp_lt_i32_e64 s4, v52, v49
	buffer_store_dword v0, off, s[0:3], s32 offset:696 ; 4-byte Folded Spill
	buffer_load_dword v0, off, s[0:3], s32 offset:688 ; 4-byte Folded Reload
	s_waitcnt vmcnt(0)
	v_cndmask_b32_e64 v0, 0, v0, s4
	v_cmp_lt_i32_e64 s4, v51, v49
	buffer_store_dword v0, off, s[0:3], s32 offset:688 ; 4-byte Folded Spill
	buffer_load_dword v0, off, s[0:3], s32 offset:684 ; 4-byte Folded Reload
	;; [unrolled: 5-line block ×7, first 2 shown]
	s_waitcnt vmcnt(0)
	v_cndmask_b32_e64 v0, 0, v0, s4
	buffer_store_dword v0, off, s[0:3], s32 offset:700 ; 4-byte Folded Spill
.LBB357_3074:                           ;   in Loop: Header=BB357_2083 Depth=1
	s_or_b32 exec_lo, exec_lo, s18
	flat_load_dwordx2 v[24:25], v[24:25] offset:1792
	v_mov_b32_e32 v1, 0
	v_mov_b32_e32 v0, 0
	s_waitcnt vmcnt(0) lgkmcnt(0)
	v_cmp_ne_u16_sdwa s4, v24, v14 src0_sel:BYTE_0 src1_sel:DWORD
	s_and_saveexec_b32 s18, s4
	s_cbranch_execz .LBB357_3082
; %bb.3075:                             ;   in Loop: Header=BB357_2083 Depth=1
	v_cmp_ne_u16_sdwa s4, v24, v115 src0_sel:BYTE_0 src1_sel:DWORD
	v_bfrev_b32_e32 v0, 1
	s_and_saveexec_b32 s19, s4
	s_cbranch_execz .LBB357_3081
; %bb.3076:                             ;   in Loop: Header=BB357_2083 Depth=1
	v_and_b32_e32 v10, 0x7f, v24
	v_mov_b32_e32 v0, 0x7f800001
	s_mov_b32 s20, exec_lo
	v_cmpx_ne_u32_e32 0x7f, v10
	s_cbranch_execz .LBB357_3080
; %bb.3077:                             ;   in Loop: Header=BB357_2083 Depth=1
	v_mov_b32_e32 v27, v25
	v_lshrrev_b32_e32 v0, 3, v10
	v_mov_b32_e32 v26, v24
	s_mov_b32 s21, exec_lo
	v_cmpx_gt_u32_e32 8, v10
; %bb.3078:                             ;   in Loop: Header=BB357_2083 Depth=1
	v_and_b32_e32 v0, 7, v24
	v_ffbh_u32_e32 v0, v0
	v_min_u32_e32 v0, 32, v0
	v_subrev_nc_u32_e32 v10, 28, v0
	v_sub_nc_u32_e32 v0, 29, v0
	v_lshlrev_b64 v[26:27], v10, v[24:25]
; %bb.3079:                             ;   in Loop: Header=BB357_2083 Depth=1
	s_or_b32 exec_lo, exec_lo, s21
	v_lshlrev_b32_e32 v10, 20, v26
	v_lshlrev_b32_e32 v11, 24, v24
	v_lshl_add_u32 v0, v0, 23, 0x3c000000
	v_and_b32_e32 v10, 0x700000, v10
	v_and_b32_e32 v11, 0x80000000, v11
	v_or3_b32 v0, v10, v11, v0
.LBB357_3080:                           ;   in Loop: Header=BB357_2083 Depth=1
	s_or_b32 exec_lo, exec_lo, s20
.LBB357_3081:                           ;   in Loop: Header=BB357_2083 Depth=1
	s_or_b32 exec_lo, exec_lo, s19
.LBB357_3082:                           ;   in Loop: Header=BB357_2083 Depth=1
	s_or_b32 exec_lo, exec_lo, s18
	v_cmp_ne_u16_sdwa s4, v24, v14 src0_sel:BYTE_1 src1_sel:DWORD
	s_and_saveexec_b32 s18, s4
	s_cbranch_execz .LBB357_3090
; %bb.3083:                             ;   in Loop: Header=BB357_2083 Depth=1
	v_cmp_ne_u16_sdwa s4, v24, v115 src0_sel:BYTE_1 src1_sel:DWORD
	v_bfrev_b32_e32 v1, 1
	s_and_saveexec_b32 s19, s4
	s_cbranch_execz .LBB357_3089
; %bb.3084:                             ;   in Loop: Header=BB357_2083 Depth=1
	v_mov_b32_e32 v1, 0xffff
	s_mov_b32 s20, exec_lo
	v_and_b32_sdwa v11, v1, v24 dst_sel:DWORD dst_unused:UNUSED_PAD src0_sel:DWORD src1_sel:BYTE_1
	v_mov_b32_e32 v1, 0x7f800001
	v_and_b32_e32 v10, 0x7f, v11
	v_cmpx_ne_u32_e32 0x7f, v10
	s_cbranch_execz .LBB357_3088
; %bb.3085:                             ;   in Loop: Header=BB357_2083 Depth=1
	v_and_b32_e32 v13, 7, v11
	v_mov_b32_e32 v27, v14
	v_lshrrev_b32_e32 v1, 3, v10
	s_mov_b32 s21, exec_lo
	v_mov_b32_e32 v26, v13
	v_cmpx_gt_u32_e32 8, v10
; %bb.3086:                             ;   in Loop: Header=BB357_2083 Depth=1
	v_ffbh_u32_e32 v1, v13
	v_min_u32_e32 v1, 32, v1
	v_subrev_nc_u32_e32 v10, 28, v1
	v_sub_nc_u32_e32 v1, 29, v1
	v_lshlrev_b64 v[10:11], v10, v[13:14]
	v_and_b32_e32 v26, 7, v10
; %bb.3087:                             ;   in Loop: Header=BB357_2083 Depth=1
	s_or_b32 exec_lo, exec_lo, s21
	v_lshlrev_b32_e32 v10, 16, v24
	v_lshlrev_b32_e32 v11, 20, v26
	v_lshl_add_u32 v1, v1, 23, 0x3c000000
	v_and_b32_e32 v10, 0x80000000, v10
	v_or3_b32 v1, v11, v10, v1
.LBB357_3088:                           ;   in Loop: Header=BB357_2083 Depth=1
	s_or_b32 exec_lo, exec_lo, s20
.LBB357_3089:                           ;   in Loop: Header=BB357_2083 Depth=1
	s_or_b32 exec_lo, exec_lo, s19
.LBB357_3090:                           ;   in Loop: Header=BB357_2083 Depth=1
	s_or_b32 exec_lo, exec_lo, s18
	v_and_b32_sdwa v12, v24, v117 dst_sel:DWORD dst_unused:UNUSED_PAD src0_sel:WORD_1 src1_sel:DWORD
	v_mov_b32_e32 v11, 0
	v_mov_b32_e32 v10, 0
	s_mov_b32 s18, exec_lo
	v_cmpx_ne_u16_e32 0, v12
	s_cbranch_execz .LBB357_3098
; %bb.3091:                             ;   in Loop: Header=BB357_2083 Depth=1
	v_bfrev_b32_e32 v10, 1
	s_mov_b32 s19, exec_lo
	v_cmpx_ne_u16_e32 0x80, v12
	s_cbranch_execz .LBB357_3097
; %bb.3092:                             ;   in Loop: Header=BB357_2083 Depth=1
	v_bfe_u32 v12, v24, 16, 7
	v_mov_b32_e32 v10, 0x7f800001
	s_mov_b32 s20, exec_lo
	v_cmpx_ne_u32_e32 0x7f, v12
	s_cbranch_execz .LBB357_3096
; %bb.3093:                             ;   in Loop: Header=BB357_2083 Depth=1
	v_mov_b32_e32 v10, 7
	s_mov_b32 s21, exec_lo
	v_and_b32_sdwa v13, v24, v10 dst_sel:DWORD dst_unused:UNUSED_PAD src0_sel:WORD_1 src1_sel:DWORD
	v_mov_b32_e32 v27, v14
	v_lshrrev_b32_e32 v10, 3, v12
	v_mov_b32_e32 v26, v13
	v_cmpx_gt_u32_e32 8, v12
; %bb.3094:                             ;   in Loop: Header=BB357_2083 Depth=1
	v_ffbh_u32_e32 v10, v13
	v_min_u32_e32 v10, 32, v10
	v_subrev_nc_u32_e32 v12, 28, v10
	v_sub_nc_u32_e32 v10, 29, v10
	v_lshlrev_b64 v[12:13], v12, v[13:14]
	v_and_b32_e32 v26, 7, v12
; %bb.3095:                             ;   in Loop: Header=BB357_2083 Depth=1
	s_or_b32 exec_lo, exec_lo, s21
	v_mov_b32_e32 v12, 24
	v_lshlrev_b32_e32 v13, 20, v26
	v_lshl_add_u32 v10, v10, 23, 0x3c000000
	v_lshlrev_b32_sdwa v12, v12, v24 dst_sel:DWORD dst_unused:UNUSED_PAD src0_sel:DWORD src1_sel:WORD_1
	v_and_b32_e32 v12, 0x80000000, v12
	v_or3_b32 v10, v13, v12, v10
.LBB357_3096:                           ;   in Loop: Header=BB357_2083 Depth=1
	s_or_b32 exec_lo, exec_lo, s20
.LBB357_3097:                           ;   in Loop: Header=BB357_2083 Depth=1
	s_or_b32 exec_lo, exec_lo, s19
.LBB357_3098:                           ;   in Loop: Header=BB357_2083 Depth=1
	s_or_b32 exec_lo, exec_lo, s18
	s_mov_b32 s18, exec_lo
	v_cmpx_lt_u32_e32 0xffffff, v24
	s_cbranch_execz .LBB357_3106
; %bb.3099:                             ;   in Loop: Header=BB357_2083 Depth=1
	v_cmp_ne_u32_sdwa s4, v24, v115 src0_sel:BYTE_3 src1_sel:DWORD
	v_bfrev_b32_e32 v11, 1
	s_and_saveexec_b32 s19, s4
	s_cbranch_execz .LBB357_3105
; %bb.3100:                             ;   in Loop: Header=BB357_2083 Depth=1
	v_bfe_u32 v12, v24, 24, 7
	v_mov_b32_e32 v11, 0x7f800001
	s_mov_b32 s20, exec_lo
	v_cmpx_ne_u32_e32 0x7f, v12
	s_cbranch_execz .LBB357_3104
; %bb.3101:                             ;   in Loop: Header=BB357_2083 Depth=1
	v_mov_b32_e32 v11, 7
	s_mov_b32 s21, exec_lo
	v_and_b32_sdwa v13, v24, v11 dst_sel:DWORD dst_unused:UNUSED_PAD src0_sel:BYTE_3 src1_sel:DWORD
	v_mov_b32_e32 v27, v14
	v_lshrrev_b32_e32 v11, 3, v12
	v_mov_b32_e32 v26, v13
	v_cmpx_gt_u32_e32 8, v12
; %bb.3102:                             ;   in Loop: Header=BB357_2083 Depth=1
	v_ffbh_u32_e32 v11, v13
	v_min_u32_e32 v11, 32, v11
	v_subrev_nc_u32_e32 v12, 28, v11
	v_sub_nc_u32_e32 v11, 29, v11
	v_lshlrev_b64 v[12:13], v12, v[13:14]
	v_and_b32_e32 v26, 7, v12
; %bb.3103:                             ;   in Loop: Header=BB357_2083 Depth=1
	s_or_b32 exec_lo, exec_lo, s21
	v_mov_b32_e32 v12, 24
	v_lshlrev_b32_e32 v13, 20, v26
	v_lshl_add_u32 v11, v11, 23, 0x3c000000
	v_lshlrev_b32_sdwa v12, v12, v24 dst_sel:DWORD dst_unused:UNUSED_PAD src0_sel:DWORD src1_sel:BYTE_3
	v_and_b32_e32 v12, 0x80000000, v12
	v_or3_b32 v11, v13, v12, v11
.LBB357_3104:                           ;   in Loop: Header=BB357_2083 Depth=1
	s_or_b32 exec_lo, exec_lo, s20
.LBB357_3105:                           ;   in Loop: Header=BB357_2083 Depth=1
	s_or_b32 exec_lo, exec_lo, s19
.LBB357_3106:                           ;   in Loop: Header=BB357_2083 Depth=1
	s_or_b32 exec_lo, exec_lo, s18
	v_mov_b32_e32 v13, v25
	v_cmp_ne_u16_sdwa s4, v25, v14 src0_sel:BYTE_0 src1_sel:DWORD
	v_mov_b32_e32 v28, 0
	v_mov_b32_e32 v22, 0
	s_and_saveexec_b32 s18, s4
	s_cbranch_execz .LBB357_3114
; %bb.3107:                             ;   in Loop: Header=BB357_2083 Depth=1
	v_cmp_ne_u16_sdwa s4, v25, v115 src0_sel:BYTE_0 src1_sel:DWORD
	v_bfrev_b32_e32 v22, 1
	s_and_saveexec_b32 s19, s4
	s_cbranch_execz .LBB357_3113
; %bb.3108:                             ;   in Loop: Header=BB357_2083 Depth=1
	v_and_b32_e32 v21, 0x7f, v25
	v_mov_b32_e32 v22, 0x7f800001
	s_mov_b32 s20, exec_lo
	v_cmpx_ne_u32_e32 0x7f, v21
	s_cbranch_execz .LBB357_3112
; %bb.3109:                             ;   in Loop: Header=BB357_2083 Depth=1
	v_mov_b32_e32 v27, v14
	v_mov_b32_e32 v26, v13
	v_lshrrev_b32_e32 v12, 3, v21
	s_mov_b32 s21, exec_lo
	v_cmpx_gt_u32_e32 8, v21
; %bb.3110:                             ;   in Loop: Header=BB357_2083 Depth=1
	v_and_b32_e32 v12, 7, v25
	v_ffbh_u32_e32 v12, v12
	v_min_u32_e32 v12, 32, v12
	v_subrev_nc_u32_e32 v21, 28, v12
	v_sub_nc_u32_e32 v12, 29, v12
	v_lshlrev_b64 v[26:27], v21, v[13:14]
; %bb.3111:                             ;   in Loop: Header=BB357_2083 Depth=1
	s_or_b32 exec_lo, exec_lo, s21
	v_lshlrev_b32_e32 v21, 20, v26
	v_lshlrev_b32_e32 v22, 24, v13
	v_lshl_add_u32 v12, v12, 23, 0x3c000000
	v_and_b32_e32 v21, 0x700000, v21
	v_and_b32_e32 v22, 0x80000000, v22
	v_or3_b32 v22, v21, v22, v12
.LBB357_3112:                           ;   in Loop: Header=BB357_2083 Depth=1
	s_or_b32 exec_lo, exec_lo, s20
.LBB357_3113:                           ;   in Loop: Header=BB357_2083 Depth=1
	s_or_b32 exec_lo, exec_lo, s19
.LBB357_3114:                           ;   in Loop: Header=BB357_2083 Depth=1
	s_or_b32 exec_lo, exec_lo, s18
	v_cmp_ne_u16_sdwa s4, v13, v14 src0_sel:BYTE_1 src1_sel:DWORD
	s_and_saveexec_b32 s18, s4
	s_cbranch_execz .LBB357_3122
; %bb.3115:                             ;   in Loop: Header=BB357_2083 Depth=1
	v_cmp_ne_u16_sdwa s4, v13, v115 src0_sel:BYTE_1 src1_sel:DWORD
	v_bfrev_b32_e32 v28, 1
	s_and_saveexec_b32 s19, s4
	s_cbranch_execz .LBB357_3121
; %bb.3116:                             ;   in Loop: Header=BB357_2083 Depth=1
	v_mov_b32_e32 v12, 0xffff
	v_mov_b32_e32 v28, 0x7f800001
	s_mov_b32 s20, exec_lo
	v_and_b32_sdwa v12, v12, v13 dst_sel:DWORD dst_unused:UNUSED_PAD src0_sel:DWORD src1_sel:BYTE_1
	v_and_b32_e32 v21, 0x7f, v12
	v_cmpx_ne_u32_e32 0x7f, v21
	s_cbranch_execz .LBB357_3120
; %bb.3117:                             ;   in Loop: Header=BB357_2083 Depth=1
	v_and_b32_e32 v26, 7, v12
	v_mov_b32_e32 v27, v14
	v_lshrrev_b32_e32 v12, 3, v21
	s_mov_b32 s21, exec_lo
	v_cmpx_gt_u32_e32 8, v21
; %bb.3118:                             ;   in Loop: Header=BB357_2083 Depth=1
	v_ffbh_u32_e32 v12, v26
	v_min_u32_e32 v12, 32, v12
	v_subrev_nc_u32_e32 v21, 28, v12
	v_sub_nc_u32_e32 v12, 29, v12
	v_lshlrev_b64 v[26:27], v21, v[26:27]
	v_and_b32_e32 v26, 7, v26
; %bb.3119:                             ;   in Loop: Header=BB357_2083 Depth=1
	s_or_b32 exec_lo, exec_lo, s21
	v_lshlrev_b32_e32 v13, 16, v13
	v_lshlrev_b32_e32 v21, 20, v26
	v_lshl_add_u32 v12, v12, 23, 0x3c000000
	v_and_b32_e32 v13, 0x80000000, v13
	v_or3_b32 v28, v21, v13, v12
.LBB357_3120:                           ;   in Loop: Header=BB357_2083 Depth=1
	s_or_b32 exec_lo, exec_lo, s20
.LBB357_3121:                           ;   in Loop: Header=BB357_2083 Depth=1
	s_or_b32 exec_lo, exec_lo, s19
.LBB357_3122:                           ;   in Loop: Header=BB357_2083 Depth=1
	s_or_b32 exec_lo, exec_lo, s18
	v_and_b32_sdwa v13, v25, v117 dst_sel:DWORD dst_unused:UNUSED_PAD src0_sel:WORD_1 src1_sel:DWORD
	v_mov_b32_e32 v12, 0
	v_mov_b32_e32 v21, 0
	s_mov_b32 s18, exec_lo
	v_cmpx_ne_u16_e32 0, v13
	s_cbranch_execz .LBB357_3130
; %bb.3123:                             ;   in Loop: Header=BB357_2083 Depth=1
	v_bfrev_b32_e32 v21, 1
	s_mov_b32 s19, exec_lo
	v_cmpx_ne_u16_e32 0x80, v13
	s_cbranch_execz .LBB357_3129
; %bb.3124:                             ;   in Loop: Header=BB357_2083 Depth=1
	v_bfe_u32 v29, v25, 16, 7
	v_mov_b32_e32 v21, 0x7f800001
	s_mov_b32 s20, exec_lo
	v_cmpx_ne_u32_e32 0x7f, v29
	s_cbranch_execz .LBB357_3128
; %bb.3125:                             ;   in Loop: Header=BB357_2083 Depth=1
	v_mov_b32_e32 v13, 7
	v_lshrrev_b32_e32 v21, 3, v29
	s_mov_b32 s21, exec_lo
	v_and_b32_sdwa v13, v25, v13 dst_sel:DWORD dst_unused:UNUSED_PAD src0_sel:WORD_1 src1_sel:DWORD
	v_mov_b32_e32 v27, v14
	v_mov_b32_e32 v26, v13
	v_cmpx_gt_u32_e32 8, v29
; %bb.3126:                             ;   in Loop: Header=BB357_2083 Depth=1
	v_ffbh_u32_e32 v21, v13
	v_min_u32_e32 v21, 32, v21
	v_subrev_nc_u32_e32 v26, 28, v21
	v_sub_nc_u32_e32 v21, 29, v21
	v_lshlrev_b64 v[26:27], v26, v[13:14]
	v_and_b32_e32 v26, 7, v26
; %bb.3127:                             ;   in Loop: Header=BB357_2083 Depth=1
	s_or_b32 exec_lo, exec_lo, s21
	v_mov_b32_e32 v13, 24
	v_lshlrev_b32_e32 v26, 20, v26
	v_lshl_add_u32 v21, v21, 23, 0x3c000000
	v_lshlrev_b32_sdwa v13, v13, v25 dst_sel:DWORD dst_unused:UNUSED_PAD src0_sel:DWORD src1_sel:WORD_1
	v_and_b32_e32 v13, 0x80000000, v13
	v_or3_b32 v21, v26, v13, v21
.LBB357_3128:                           ;   in Loop: Header=BB357_2083 Depth=1
	s_or_b32 exec_lo, exec_lo, s20
.LBB357_3129:                           ;   in Loop: Header=BB357_2083 Depth=1
	s_or_b32 exec_lo, exec_lo, s19
.LBB357_3130:                           ;   in Loop: Header=BB357_2083 Depth=1
	s_or_b32 exec_lo, exec_lo, s18
	s_mov_b32 s18, exec_lo
	v_cmpx_lt_u64_e64 s[6:7], v[24:25]
	s_cbranch_execz .LBB357_3138
; %bb.3131:                             ;   in Loop: Header=BB357_2083 Depth=1
	v_cmp_ne_u32_sdwa s4, v25, v115 src0_sel:BYTE_3 src1_sel:DWORD
	v_bfrev_b32_e32 v12, 1
	s_and_saveexec_b32 s19, s4
	s_cbranch_execz .LBB357_3137
; %bb.3132:                             ;   in Loop: Header=BB357_2083 Depth=1
	v_bfe_u32 v24, v25, 24, 7
	v_mov_b32_e32 v12, 0x7f800001
	s_mov_b32 s20, exec_lo
	v_cmpx_ne_u32_e32 0x7f, v24
	s_cbranch_execz .LBB357_3136
; %bb.3133:                             ;   in Loop: Header=BB357_2083 Depth=1
	v_mov_b32_e32 v12, 7
	s_mov_b32 s21, exec_lo
	v_and_b32_sdwa v13, v25, v12 dst_sel:DWORD dst_unused:UNUSED_PAD src0_sel:BYTE_3 src1_sel:DWORD
	v_mov_b32_e32 v27, v14
	v_lshrrev_b32_e32 v12, 3, v24
	v_mov_b32_e32 v26, v13
	v_cmpx_gt_u32_e32 8, v24
; %bb.3134:                             ;   in Loop: Header=BB357_2083 Depth=1
	v_ffbh_u32_e32 v12, v13
	v_min_u32_e32 v12, 32, v12
	v_subrev_nc_u32_e32 v24, 28, v12
	v_sub_nc_u32_e32 v12, 29, v12
	v_lshlrev_b64 v[26:27], v24, v[13:14]
	v_and_b32_e32 v26, 7, v26
; %bb.3135:                             ;   in Loop: Header=BB357_2083 Depth=1
	s_or_b32 exec_lo, exec_lo, s21
	v_mov_b32_e32 v13, 24
	v_lshlrev_b32_e32 v24, 20, v26
	v_lshl_add_u32 v12, v12, 23, 0x3c000000
	v_lshlrev_b32_sdwa v13, v13, v25 dst_sel:DWORD dst_unused:UNUSED_PAD src0_sel:DWORD src1_sel:BYTE_3
	v_and_b32_e32 v13, 0x80000000, v13
	v_or3_b32 v12, v24, v13, v12
.LBB357_3136:                           ;   in Loop: Header=BB357_2083 Depth=1
	s_or_b32 exec_lo, exec_lo, s20
.LBB357_3137:                           ;   in Loop: Header=BB357_2083 Depth=1
	s_or_b32 exec_lo, exec_lo, s19
.LBB357_3138:                           ;   in Loop: Header=BB357_2083 Depth=1
	s_or_b32 exec_lo, exec_lo, s18
	v_mul_f32_e32 v13, v23, v28
	v_mul_f32_e32 v11, v23, v11
	;; [unrolled: 1-line block ×5, first 2 shown]
	v_bfe_u32 v24, v13, 16, 1
	v_or_b32_e32 v25, 0x400000, v13
	v_cmp_u_f32_e64 s4, v13, v13
	v_add3_u32 v24, v24, v13, 0x7fff
	v_cndmask_b32_e64 v13, v24, v25, s4
	v_lshrrev_b32_e32 v13, 16, v13
	buffer_store_dword v13, off, s[0:3], s32 offset:704 ; 4-byte Folded Spill
	v_mul_f32_e32 v13, v23, v22
	v_bfe_u32 v22, v13, 16, 1
	v_or_b32_e32 v24, 0x400000, v13
	v_cmp_u_f32_e64 s4, v13, v13
	v_add3_u32 v22, v22, v13, 0x7fff
	v_cndmask_b32_e64 v13, v22, v24, s4
	v_or_b32_e32 v22, 0x400000, v11
	v_cmp_u_f32_e64 s4, v11, v11
	v_lshrrev_b32_e32 v13, 16, v13
	buffer_store_dword v13, off, s[0:3], s32 offset:708 ; 4-byte Folded Spill
	v_bfe_u32 v13, v11, 16, 1
	v_add3_u32 v13, v13, v11, 0x7fff
	v_cndmask_b32_e64 v11, v13, v22, s4
	v_or_b32_e32 v13, 0x400000, v10
	v_cmp_u_f32_e64 s4, v10, v10
	v_lshrrev_b32_e32 v11, 16, v11
	buffer_store_dword v11, off, s[0:3], s32 offset:712 ; 4-byte Folded Spill
	v_bfe_u32 v11, v10, 16, 1
	;; [unrolled: 7-line block ×4, first 2 shown]
	v_add3_u32 v1, v1, v0, 0x7fff
	v_cndmask_b32_e64 v0, v1, v10, s4
	v_lshrrev_b32_e32 v0, 16, v0
	buffer_store_dword v0, off, s[0:3], s32 offset:728 ; 4-byte Folded Spill
	v_mul_f32_e32 v0, v23, v21
	v_bfe_u32 v1, v0, 16, 1
	v_or_b32_e32 v10, 0x400000, v0
	v_cmp_u_f32_e64 s4, v0, v0
	v_add3_u32 v1, v1, v0, 0x7fff
	v_cndmask_b32_e64 v0, v1, v10, s4
	v_lshrrev_b32_e32 v0, 16, v0
	buffer_store_dword v0, off, s[0:3], s32 offset:724 ; 4-byte Folded Spill
	v_mul_f32_e32 v0, v23, v12
	v_bfe_u32 v1, v0, 16, 1
	v_or_b32_e32 v10, 0x400000, v0
	v_cmp_u_f32_e64 s4, v0, v0
	v_add3_u32 v1, v1, v0, 0x7fff
	v_cndmask_b32_e64 v0, v1, v10, s4
	v_lshrrev_b32_e32 v0, 16, v0
	buffer_store_dword v0, off, s[0:3], s32 offset:732 ; 4-byte Folded Spill
	s_and_saveexec_b32 s18, vcc_lo
	s_cbranch_execz .LBB357_3140
; %bb.3139:                             ;   in Loop: Header=BB357_2083 Depth=1
	buffer_load_dword v0, off, s[0:3], s32 offset:728 ; 4-byte Folded Reload
	v_cmp_lt_i32_e64 s4, v102, v49
	s_waitcnt vmcnt(0)
	v_cndmask_b32_e64 v0, 0, v0, s4
	v_cmp_lt_i32_e64 s4, v52, v49
	buffer_store_dword v0, off, s[0:3], s32 offset:728 ; 4-byte Folded Spill
	buffer_load_dword v0, off, s[0:3], s32 offset:720 ; 4-byte Folded Reload
	s_waitcnt vmcnt(0)
	v_cndmask_b32_e64 v0, 0, v0, s4
	v_cmp_lt_i32_e64 s4, v51, v49
	buffer_store_dword v0, off, s[0:3], s32 offset:720 ; 4-byte Folded Spill
	buffer_load_dword v0, off, s[0:3], s32 offset:716 ; 4-byte Folded Reload
	;; [unrolled: 5-line block ×7, first 2 shown]
	s_waitcnt vmcnt(0)
	v_cndmask_b32_e64 v0, 0, v0, s4
	buffer_store_dword v0, off, s[0:3], s32 offset:732 ; 4-byte Folded Spill
.LBB357_3140:                           ;   in Loop: Header=BB357_2083 Depth=1
	s_or_b32 exec_lo, exec_lo, s18
	v_add_co_u32 v24, s4, 0x1000, v19
	v_add_co_ci_u32_e64 v25, null, 0, v20, s4
	v_mov_b32_e32 v1, 0
	v_mov_b32_e32 v0, 0
	flat_load_dwordx2 v[26:27], v[24:25]
	s_waitcnt vmcnt(0) lgkmcnt(0)
	v_cmp_ne_u16_sdwa s4, v26, v14 src0_sel:BYTE_0 src1_sel:DWORD
	s_and_saveexec_b32 s18, s4
	s_cbranch_execz .LBB357_3148
; %bb.3141:                             ;   in Loop: Header=BB357_2083 Depth=1
	v_cmp_ne_u16_sdwa s4, v26, v115 src0_sel:BYTE_0 src1_sel:DWORD
	v_bfrev_b32_e32 v0, 1
	s_and_saveexec_b32 s19, s4
	s_cbranch_execz .LBB357_3147
; %bb.3142:                             ;   in Loop: Header=BB357_2083 Depth=1
	v_and_b32_e32 v10, 0x7f, v26
	v_mov_b32_e32 v0, 0x7f800001
	s_mov_b32 s20, exec_lo
	v_cmpx_ne_u32_e32 0x7f, v10
	s_cbranch_execz .LBB357_3146
; %bb.3143:                             ;   in Loop: Header=BB357_2083 Depth=1
	v_mov_b32_e32 v29, v27
	v_lshrrev_b32_e32 v0, 3, v10
	v_mov_b32_e32 v28, v26
	s_mov_b32 s21, exec_lo
	v_cmpx_gt_u32_e32 8, v10
; %bb.3144:                             ;   in Loop: Header=BB357_2083 Depth=1
	v_and_b32_e32 v0, 7, v26
	v_ffbh_u32_e32 v0, v0
	v_min_u32_e32 v0, 32, v0
	v_subrev_nc_u32_e32 v10, 28, v0
	v_sub_nc_u32_e32 v0, 29, v0
	v_lshlrev_b64 v[28:29], v10, v[26:27]
; %bb.3145:                             ;   in Loop: Header=BB357_2083 Depth=1
	s_or_b32 exec_lo, exec_lo, s21
	v_lshlrev_b32_e32 v10, 20, v28
	v_lshlrev_b32_e32 v11, 24, v26
	v_lshl_add_u32 v0, v0, 23, 0x3c000000
	v_and_b32_e32 v10, 0x700000, v10
	v_and_b32_e32 v11, 0x80000000, v11
	v_or3_b32 v0, v10, v11, v0
.LBB357_3146:                           ;   in Loop: Header=BB357_2083 Depth=1
	s_or_b32 exec_lo, exec_lo, s20
.LBB357_3147:                           ;   in Loop: Header=BB357_2083 Depth=1
	s_or_b32 exec_lo, exec_lo, s19
.LBB357_3148:                           ;   in Loop: Header=BB357_2083 Depth=1
	s_or_b32 exec_lo, exec_lo, s18
	v_cmp_ne_u16_sdwa s4, v26, v14 src0_sel:BYTE_1 src1_sel:DWORD
	s_and_saveexec_b32 s18, s4
	s_cbranch_execz .LBB357_3156
; %bb.3149:                             ;   in Loop: Header=BB357_2083 Depth=1
	v_cmp_ne_u16_sdwa s4, v26, v115 src0_sel:BYTE_1 src1_sel:DWORD
	v_bfrev_b32_e32 v1, 1
	s_and_saveexec_b32 s19, s4
	s_cbranch_execz .LBB357_3155
; %bb.3150:                             ;   in Loop: Header=BB357_2083 Depth=1
	v_mov_b32_e32 v1, 0xffff
	s_mov_b32 s20, exec_lo
	v_and_b32_sdwa v11, v1, v26 dst_sel:DWORD dst_unused:UNUSED_PAD src0_sel:DWORD src1_sel:BYTE_1
	v_mov_b32_e32 v1, 0x7f800001
	v_and_b32_e32 v10, 0x7f, v11
	v_cmpx_ne_u32_e32 0x7f, v10
	s_cbranch_execz .LBB357_3154
; %bb.3151:                             ;   in Loop: Header=BB357_2083 Depth=1
	v_and_b32_e32 v13, 7, v11
	v_mov_b32_e32 v29, v14
	v_lshrrev_b32_e32 v1, 3, v10
	s_mov_b32 s21, exec_lo
	v_mov_b32_e32 v28, v13
	v_cmpx_gt_u32_e32 8, v10
; %bb.3152:                             ;   in Loop: Header=BB357_2083 Depth=1
	v_ffbh_u32_e32 v1, v13
	v_min_u32_e32 v1, 32, v1
	v_subrev_nc_u32_e32 v10, 28, v1
	v_sub_nc_u32_e32 v1, 29, v1
	v_lshlrev_b64 v[10:11], v10, v[13:14]
	v_and_b32_e32 v28, 7, v10
; %bb.3153:                             ;   in Loop: Header=BB357_2083 Depth=1
	s_or_b32 exec_lo, exec_lo, s21
	v_lshlrev_b32_e32 v10, 16, v26
	v_lshlrev_b32_e32 v11, 20, v28
	v_lshl_add_u32 v1, v1, 23, 0x3c000000
	v_and_b32_e32 v10, 0x80000000, v10
	v_or3_b32 v1, v11, v10, v1
.LBB357_3154:                           ;   in Loop: Header=BB357_2083 Depth=1
	s_or_b32 exec_lo, exec_lo, s20
.LBB357_3155:                           ;   in Loop: Header=BB357_2083 Depth=1
	s_or_b32 exec_lo, exec_lo, s19
.LBB357_3156:                           ;   in Loop: Header=BB357_2083 Depth=1
	s_or_b32 exec_lo, exec_lo, s18
	v_and_b32_sdwa v12, v26, v117 dst_sel:DWORD dst_unused:UNUSED_PAD src0_sel:WORD_1 src1_sel:DWORD
	v_mov_b32_e32 v11, 0
	v_mov_b32_e32 v10, 0
	s_mov_b32 s18, exec_lo
	v_cmpx_ne_u16_e32 0, v12
	s_cbranch_execz .LBB357_3164
; %bb.3157:                             ;   in Loop: Header=BB357_2083 Depth=1
	v_bfrev_b32_e32 v10, 1
	s_mov_b32 s19, exec_lo
	v_cmpx_ne_u16_e32 0x80, v12
	s_cbranch_execz .LBB357_3163
; %bb.3158:                             ;   in Loop: Header=BB357_2083 Depth=1
	v_bfe_u32 v12, v26, 16, 7
	v_mov_b32_e32 v10, 0x7f800001
	s_mov_b32 s20, exec_lo
	v_cmpx_ne_u32_e32 0x7f, v12
	s_cbranch_execz .LBB357_3162
; %bb.3159:                             ;   in Loop: Header=BB357_2083 Depth=1
	v_mov_b32_e32 v10, 7
	s_mov_b32 s21, exec_lo
	v_and_b32_sdwa v13, v26, v10 dst_sel:DWORD dst_unused:UNUSED_PAD src0_sel:WORD_1 src1_sel:DWORD
	v_mov_b32_e32 v29, v14
	v_lshrrev_b32_e32 v10, 3, v12
	v_mov_b32_e32 v28, v13
	v_cmpx_gt_u32_e32 8, v12
; %bb.3160:                             ;   in Loop: Header=BB357_2083 Depth=1
	v_ffbh_u32_e32 v10, v13
	v_min_u32_e32 v10, 32, v10
	v_subrev_nc_u32_e32 v12, 28, v10
	v_sub_nc_u32_e32 v10, 29, v10
	v_lshlrev_b64 v[12:13], v12, v[13:14]
	v_and_b32_e32 v28, 7, v12
; %bb.3161:                             ;   in Loop: Header=BB357_2083 Depth=1
	s_or_b32 exec_lo, exec_lo, s21
	v_mov_b32_e32 v12, 24
	v_lshlrev_b32_e32 v13, 20, v28
	v_lshl_add_u32 v10, v10, 23, 0x3c000000
	v_lshlrev_b32_sdwa v12, v12, v26 dst_sel:DWORD dst_unused:UNUSED_PAD src0_sel:DWORD src1_sel:WORD_1
	v_and_b32_e32 v12, 0x80000000, v12
	v_or3_b32 v10, v13, v12, v10
.LBB357_3162:                           ;   in Loop: Header=BB357_2083 Depth=1
	s_or_b32 exec_lo, exec_lo, s20
.LBB357_3163:                           ;   in Loop: Header=BB357_2083 Depth=1
	s_or_b32 exec_lo, exec_lo, s19
.LBB357_3164:                           ;   in Loop: Header=BB357_2083 Depth=1
	s_or_b32 exec_lo, exec_lo, s18
	s_mov_b32 s18, exec_lo
	v_cmpx_lt_u32_e32 0xffffff, v26
	s_cbranch_execz .LBB357_3172
; %bb.3165:                             ;   in Loop: Header=BB357_2083 Depth=1
	v_cmp_ne_u32_sdwa s4, v26, v115 src0_sel:BYTE_3 src1_sel:DWORD
	v_bfrev_b32_e32 v11, 1
	s_and_saveexec_b32 s19, s4
	s_cbranch_execz .LBB357_3171
; %bb.3166:                             ;   in Loop: Header=BB357_2083 Depth=1
	v_bfe_u32 v12, v26, 24, 7
	v_mov_b32_e32 v11, 0x7f800001
	s_mov_b32 s20, exec_lo
	v_cmpx_ne_u32_e32 0x7f, v12
	s_cbranch_execz .LBB357_3170
; %bb.3167:                             ;   in Loop: Header=BB357_2083 Depth=1
	v_mov_b32_e32 v11, 7
	s_mov_b32 s21, exec_lo
	v_and_b32_sdwa v13, v26, v11 dst_sel:DWORD dst_unused:UNUSED_PAD src0_sel:BYTE_3 src1_sel:DWORD
	v_mov_b32_e32 v29, v14
	v_lshrrev_b32_e32 v11, 3, v12
	v_mov_b32_e32 v28, v13
	v_cmpx_gt_u32_e32 8, v12
; %bb.3168:                             ;   in Loop: Header=BB357_2083 Depth=1
	v_ffbh_u32_e32 v11, v13
	v_min_u32_e32 v11, 32, v11
	v_subrev_nc_u32_e32 v12, 28, v11
	v_sub_nc_u32_e32 v11, 29, v11
	v_lshlrev_b64 v[12:13], v12, v[13:14]
	v_and_b32_e32 v28, 7, v12
; %bb.3169:                             ;   in Loop: Header=BB357_2083 Depth=1
	s_or_b32 exec_lo, exec_lo, s21
	v_mov_b32_e32 v12, 24
	v_lshlrev_b32_e32 v13, 20, v28
	v_lshl_add_u32 v11, v11, 23, 0x3c000000
	v_lshlrev_b32_sdwa v12, v12, v26 dst_sel:DWORD dst_unused:UNUSED_PAD src0_sel:DWORD src1_sel:BYTE_3
	v_and_b32_e32 v12, 0x80000000, v12
	v_or3_b32 v11, v13, v12, v11
.LBB357_3170:                           ;   in Loop: Header=BB357_2083 Depth=1
	s_or_b32 exec_lo, exec_lo, s20
.LBB357_3171:                           ;   in Loop: Header=BB357_2083 Depth=1
	s_or_b32 exec_lo, exec_lo, s19
.LBB357_3172:                           ;   in Loop: Header=BB357_2083 Depth=1
	s_or_b32 exec_lo, exec_lo, s18
	v_mov_b32_e32 v13, v27
	v_cmp_ne_u16_sdwa s4, v27, v14 src0_sel:BYTE_0 src1_sel:DWORD
	v_mov_b32_e32 v30, 0
	v_mov_b32_e32 v22, 0
	s_and_saveexec_b32 s18, s4
	s_cbranch_execz .LBB357_3180
; %bb.3173:                             ;   in Loop: Header=BB357_2083 Depth=1
	v_cmp_ne_u16_sdwa s4, v27, v115 src0_sel:BYTE_0 src1_sel:DWORD
	v_bfrev_b32_e32 v22, 1
	s_and_saveexec_b32 s19, s4
	s_cbranch_execz .LBB357_3179
; %bb.3174:                             ;   in Loop: Header=BB357_2083 Depth=1
	v_and_b32_e32 v21, 0x7f, v27
	v_mov_b32_e32 v22, 0x7f800001
	s_mov_b32 s20, exec_lo
	v_cmpx_ne_u32_e32 0x7f, v21
	s_cbranch_execz .LBB357_3178
; %bb.3175:                             ;   in Loop: Header=BB357_2083 Depth=1
	v_mov_b32_e32 v29, v14
	v_mov_b32_e32 v28, v13
	v_lshrrev_b32_e32 v12, 3, v21
	s_mov_b32 s21, exec_lo
	v_cmpx_gt_u32_e32 8, v21
; %bb.3176:                             ;   in Loop: Header=BB357_2083 Depth=1
	v_and_b32_e32 v12, 7, v27
	v_ffbh_u32_e32 v12, v12
	v_min_u32_e32 v12, 32, v12
	v_subrev_nc_u32_e32 v21, 28, v12
	v_sub_nc_u32_e32 v12, 29, v12
	v_lshlrev_b64 v[28:29], v21, v[13:14]
; %bb.3177:                             ;   in Loop: Header=BB357_2083 Depth=1
	s_or_b32 exec_lo, exec_lo, s21
	v_lshlrev_b32_e32 v21, 20, v28
	v_lshlrev_b32_e32 v22, 24, v13
	v_lshl_add_u32 v12, v12, 23, 0x3c000000
	v_and_b32_e32 v21, 0x700000, v21
	v_and_b32_e32 v22, 0x80000000, v22
	v_or3_b32 v22, v21, v22, v12
.LBB357_3178:                           ;   in Loop: Header=BB357_2083 Depth=1
	s_or_b32 exec_lo, exec_lo, s20
.LBB357_3179:                           ;   in Loop: Header=BB357_2083 Depth=1
	s_or_b32 exec_lo, exec_lo, s19
.LBB357_3180:                           ;   in Loop: Header=BB357_2083 Depth=1
	s_or_b32 exec_lo, exec_lo, s18
	v_cmp_ne_u16_sdwa s4, v13, v14 src0_sel:BYTE_1 src1_sel:DWORD
	s_and_saveexec_b32 s18, s4
	s_cbranch_execz .LBB357_3188
; %bb.3181:                             ;   in Loop: Header=BB357_2083 Depth=1
	v_cmp_ne_u16_sdwa s4, v13, v115 src0_sel:BYTE_1 src1_sel:DWORD
	v_bfrev_b32_e32 v30, 1
	s_and_saveexec_b32 s19, s4
	s_cbranch_execz .LBB357_3187
; %bb.3182:                             ;   in Loop: Header=BB357_2083 Depth=1
	v_mov_b32_e32 v12, 0xffff
	v_mov_b32_e32 v30, 0x7f800001
	s_mov_b32 s20, exec_lo
	v_and_b32_sdwa v12, v12, v13 dst_sel:DWORD dst_unused:UNUSED_PAD src0_sel:DWORD src1_sel:BYTE_1
	v_and_b32_e32 v21, 0x7f, v12
	v_cmpx_ne_u32_e32 0x7f, v21
	s_cbranch_execz .LBB357_3186
; %bb.3183:                             ;   in Loop: Header=BB357_2083 Depth=1
	v_and_b32_e32 v28, 7, v12
	v_mov_b32_e32 v29, v14
	v_lshrrev_b32_e32 v12, 3, v21
	s_mov_b32 s21, exec_lo
	v_cmpx_gt_u32_e32 8, v21
; %bb.3184:                             ;   in Loop: Header=BB357_2083 Depth=1
	v_ffbh_u32_e32 v12, v28
	v_min_u32_e32 v12, 32, v12
	v_subrev_nc_u32_e32 v21, 28, v12
	v_sub_nc_u32_e32 v12, 29, v12
	v_lshlrev_b64 v[28:29], v21, v[28:29]
	v_and_b32_e32 v28, 7, v28
; %bb.3185:                             ;   in Loop: Header=BB357_2083 Depth=1
	s_or_b32 exec_lo, exec_lo, s21
	v_lshlrev_b32_e32 v13, 16, v13
	v_lshlrev_b32_e32 v21, 20, v28
	v_lshl_add_u32 v12, v12, 23, 0x3c000000
	v_and_b32_e32 v13, 0x80000000, v13
	v_or3_b32 v30, v21, v13, v12
.LBB357_3186:                           ;   in Loop: Header=BB357_2083 Depth=1
	s_or_b32 exec_lo, exec_lo, s20
.LBB357_3187:                           ;   in Loop: Header=BB357_2083 Depth=1
	s_or_b32 exec_lo, exec_lo, s19
.LBB357_3188:                           ;   in Loop: Header=BB357_2083 Depth=1
	s_or_b32 exec_lo, exec_lo, s18
	v_and_b32_sdwa v13, v27, v117 dst_sel:DWORD dst_unused:UNUSED_PAD src0_sel:WORD_1 src1_sel:DWORD
	v_mov_b32_e32 v12, 0
	v_mov_b32_e32 v21, 0
	s_mov_b32 s18, exec_lo
	v_cmpx_ne_u16_e32 0, v13
	s_cbranch_execz .LBB357_3196
; %bb.3189:                             ;   in Loop: Header=BB357_2083 Depth=1
	v_bfrev_b32_e32 v21, 1
	s_mov_b32 s19, exec_lo
	v_cmpx_ne_u16_e32 0x80, v13
	s_cbranch_execz .LBB357_3195
; %bb.3190:                             ;   in Loop: Header=BB357_2083 Depth=1
	v_bfe_u32 v33, v27, 16, 7
	v_mov_b32_e32 v21, 0x7f800001
	s_mov_b32 s20, exec_lo
	v_cmpx_ne_u32_e32 0x7f, v33
	s_cbranch_execz .LBB357_3194
; %bb.3191:                             ;   in Loop: Header=BB357_2083 Depth=1
	v_mov_b32_e32 v13, 7
	v_lshrrev_b32_e32 v21, 3, v33
	s_mov_b32 s21, exec_lo
	v_and_b32_sdwa v13, v27, v13 dst_sel:DWORD dst_unused:UNUSED_PAD src0_sel:WORD_1 src1_sel:DWORD
	v_mov_b32_e32 v29, v14
	v_mov_b32_e32 v28, v13
	v_cmpx_gt_u32_e32 8, v33
; %bb.3192:                             ;   in Loop: Header=BB357_2083 Depth=1
	v_ffbh_u32_e32 v21, v13
	v_min_u32_e32 v21, 32, v21
	v_subrev_nc_u32_e32 v28, 28, v21
	v_sub_nc_u32_e32 v21, 29, v21
	v_lshlrev_b64 v[28:29], v28, v[13:14]
	v_and_b32_e32 v28, 7, v28
; %bb.3193:                             ;   in Loop: Header=BB357_2083 Depth=1
	s_or_b32 exec_lo, exec_lo, s21
	v_mov_b32_e32 v13, 24
	v_lshlrev_b32_e32 v28, 20, v28
	v_lshl_add_u32 v21, v21, 23, 0x3c000000
	v_lshlrev_b32_sdwa v13, v13, v27 dst_sel:DWORD dst_unused:UNUSED_PAD src0_sel:DWORD src1_sel:WORD_1
	v_and_b32_e32 v13, 0x80000000, v13
	v_or3_b32 v21, v28, v13, v21
.LBB357_3194:                           ;   in Loop: Header=BB357_2083 Depth=1
	s_or_b32 exec_lo, exec_lo, s20
.LBB357_3195:                           ;   in Loop: Header=BB357_2083 Depth=1
	s_or_b32 exec_lo, exec_lo, s19
.LBB357_3196:                           ;   in Loop: Header=BB357_2083 Depth=1
	s_or_b32 exec_lo, exec_lo, s18
	s_mov_b32 s18, exec_lo
	v_cmpx_lt_u64_e64 s[6:7], v[26:27]
	s_cbranch_execz .LBB357_3204
; %bb.3197:                             ;   in Loop: Header=BB357_2083 Depth=1
	v_cmp_ne_u32_sdwa s4, v27, v115 src0_sel:BYTE_3 src1_sel:DWORD
	v_bfrev_b32_e32 v12, 1
	s_and_saveexec_b32 s19, s4
	s_cbranch_execz .LBB357_3203
; %bb.3198:                             ;   in Loop: Header=BB357_2083 Depth=1
	v_bfe_u32 v26, v27, 24, 7
	v_mov_b32_e32 v12, 0x7f800001
	s_mov_b32 s20, exec_lo
	v_cmpx_ne_u32_e32 0x7f, v26
	s_cbranch_execz .LBB357_3202
; %bb.3199:                             ;   in Loop: Header=BB357_2083 Depth=1
	v_mov_b32_e32 v12, 7
	s_mov_b32 s21, exec_lo
	v_and_b32_sdwa v13, v27, v12 dst_sel:DWORD dst_unused:UNUSED_PAD src0_sel:BYTE_3 src1_sel:DWORD
	v_mov_b32_e32 v29, v14
	v_lshrrev_b32_e32 v12, 3, v26
	v_mov_b32_e32 v28, v13
	v_cmpx_gt_u32_e32 8, v26
; %bb.3200:                             ;   in Loop: Header=BB357_2083 Depth=1
	v_ffbh_u32_e32 v12, v13
	v_min_u32_e32 v12, 32, v12
	v_subrev_nc_u32_e32 v26, 28, v12
	v_sub_nc_u32_e32 v12, 29, v12
	v_lshlrev_b64 v[28:29], v26, v[13:14]
	v_and_b32_e32 v28, 7, v28
; %bb.3201:                             ;   in Loop: Header=BB357_2083 Depth=1
	s_or_b32 exec_lo, exec_lo, s21
	v_mov_b32_e32 v13, 24
	v_lshlrev_b32_e32 v26, 20, v28
	v_lshl_add_u32 v12, v12, 23, 0x3c000000
	v_lshlrev_b32_sdwa v13, v13, v27 dst_sel:DWORD dst_unused:UNUSED_PAD src0_sel:DWORD src1_sel:BYTE_3
	v_and_b32_e32 v13, 0x80000000, v13
	v_or3_b32 v12, v26, v13, v12
.LBB357_3202:                           ;   in Loop: Header=BB357_2083 Depth=1
	s_or_b32 exec_lo, exec_lo, s20
.LBB357_3203:                           ;   in Loop: Header=BB357_2083 Depth=1
	s_or_b32 exec_lo, exec_lo, s19
.LBB357_3204:                           ;   in Loop: Header=BB357_2083 Depth=1
	s_or_b32 exec_lo, exec_lo, s18
	v_mul_f32_e32 v13, v23, v30
	v_mul_f32_e32 v11, v23, v11
	;; [unrolled: 1-line block ×5, first 2 shown]
	v_bfe_u32 v26, v13, 16, 1
	v_or_b32_e32 v27, 0x400000, v13
	v_cmp_u_f32_e64 s4, v13, v13
	v_add3_u32 v26, v26, v13, 0x7fff
	v_cndmask_b32_e64 v13, v26, v27, s4
	v_lshrrev_b32_e32 v13, 16, v13
	buffer_store_dword v13, off, s[0:3], s32 offset:736 ; 4-byte Folded Spill
	v_mul_f32_e32 v13, v23, v22
	v_bfe_u32 v22, v13, 16, 1
	v_or_b32_e32 v26, 0x400000, v13
	v_cmp_u_f32_e64 s4, v13, v13
	v_add3_u32 v22, v22, v13, 0x7fff
	v_cndmask_b32_e64 v13, v22, v26, s4
	v_or_b32_e32 v22, 0x400000, v11
	v_cmp_u_f32_e64 s4, v11, v11
	v_lshrrev_b32_e32 v13, 16, v13
	buffer_store_dword v13, off, s[0:3], s32 offset:740 ; 4-byte Folded Spill
	v_bfe_u32 v13, v11, 16, 1
	v_add3_u32 v13, v13, v11, 0x7fff
	v_cndmask_b32_e64 v11, v13, v22, s4
	v_or_b32_e32 v13, 0x400000, v10
	v_cmp_u_f32_e64 s4, v10, v10
	v_lshrrev_b32_e32 v11, 16, v11
	buffer_store_dword v11, off, s[0:3], s32 offset:744 ; 4-byte Folded Spill
	v_bfe_u32 v11, v10, 16, 1
	;; [unrolled: 7-line block ×4, first 2 shown]
	v_add3_u32 v1, v1, v0, 0x7fff
	v_cndmask_b32_e64 v0, v1, v10, s4
	v_lshrrev_b32_e32 v0, 16, v0
	buffer_store_dword v0, off, s[0:3], s32 offset:760 ; 4-byte Folded Spill
	v_mul_f32_e32 v0, v23, v21
	v_bfe_u32 v1, v0, 16, 1
	v_or_b32_e32 v10, 0x400000, v0
	v_cmp_u_f32_e64 s4, v0, v0
	v_add3_u32 v1, v1, v0, 0x7fff
	v_cndmask_b32_e64 v0, v1, v10, s4
	v_lshrrev_b32_e32 v0, 16, v0
	buffer_store_dword v0, off, s[0:3], s32 offset:756 ; 4-byte Folded Spill
	v_mul_f32_e32 v0, v23, v12
	v_bfe_u32 v1, v0, 16, 1
	v_or_b32_e32 v10, 0x400000, v0
	v_cmp_u_f32_e64 s4, v0, v0
	v_add3_u32 v1, v1, v0, 0x7fff
	v_cndmask_b32_e64 v0, v1, v10, s4
	v_lshrrev_b32_e32 v0, 16, v0
	buffer_store_dword v0, off, s[0:3], s32 offset:764 ; 4-byte Folded Spill
	s_and_saveexec_b32 s18, vcc_lo
	s_cbranch_execz .LBB357_3206
; %bb.3205:                             ;   in Loop: Header=BB357_2083 Depth=1
	buffer_load_dword v0, off, s[0:3], s32 offset:760 ; 4-byte Folded Reload
	v_cmp_lt_i32_e64 s4, v102, v49
	s_waitcnt vmcnt(0)
	v_cndmask_b32_e64 v0, 0, v0, s4
	v_cmp_lt_i32_e64 s4, v52, v49
	buffer_store_dword v0, off, s[0:3], s32 offset:760 ; 4-byte Folded Spill
	buffer_load_dword v0, off, s[0:3], s32 offset:752 ; 4-byte Folded Reload
	s_waitcnt vmcnt(0)
	v_cndmask_b32_e64 v0, 0, v0, s4
	v_cmp_lt_i32_e64 s4, v51, v49
	buffer_store_dword v0, off, s[0:3], s32 offset:752 ; 4-byte Folded Spill
	buffer_load_dword v0, off, s[0:3], s32 offset:748 ; 4-byte Folded Reload
	;; [unrolled: 5-line block ×7, first 2 shown]
	s_waitcnt vmcnt(0)
	v_cndmask_b32_e64 v0, 0, v0, s4
	buffer_store_dword v0, off, s[0:3], s32 offset:764 ; 4-byte Folded Spill
.LBB357_3206:                           ;   in Loop: Header=BB357_2083 Depth=1
	s_or_b32 exec_lo, exec_lo, s18
	flat_load_dwordx2 v[26:27], v[24:25] offset:256
	v_mov_b32_e32 v1, 0
	v_mov_b32_e32 v0, 0
	s_waitcnt vmcnt(0) lgkmcnt(0)
	v_cmp_ne_u16_sdwa s4, v26, v14 src0_sel:BYTE_0 src1_sel:DWORD
	s_and_saveexec_b32 s18, s4
	s_cbranch_execz .LBB357_3214
; %bb.3207:                             ;   in Loop: Header=BB357_2083 Depth=1
	v_cmp_ne_u16_sdwa s4, v26, v115 src0_sel:BYTE_0 src1_sel:DWORD
	v_bfrev_b32_e32 v0, 1
	s_and_saveexec_b32 s19, s4
	s_cbranch_execz .LBB357_3213
; %bb.3208:                             ;   in Loop: Header=BB357_2083 Depth=1
	v_and_b32_e32 v10, 0x7f, v26
	v_mov_b32_e32 v0, 0x7f800001
	s_mov_b32 s20, exec_lo
	v_cmpx_ne_u32_e32 0x7f, v10
	s_cbranch_execz .LBB357_3212
; %bb.3209:                             ;   in Loop: Header=BB357_2083 Depth=1
	v_mov_b32_e32 v29, v27
	v_lshrrev_b32_e32 v0, 3, v10
	v_mov_b32_e32 v28, v26
	s_mov_b32 s21, exec_lo
	v_cmpx_gt_u32_e32 8, v10
; %bb.3210:                             ;   in Loop: Header=BB357_2083 Depth=1
	v_and_b32_e32 v0, 7, v26
	v_ffbh_u32_e32 v0, v0
	v_min_u32_e32 v0, 32, v0
	v_subrev_nc_u32_e32 v10, 28, v0
	v_sub_nc_u32_e32 v0, 29, v0
	v_lshlrev_b64 v[28:29], v10, v[26:27]
; %bb.3211:                             ;   in Loop: Header=BB357_2083 Depth=1
	s_or_b32 exec_lo, exec_lo, s21
	v_lshlrev_b32_e32 v10, 20, v28
	v_lshlrev_b32_e32 v11, 24, v26
	v_lshl_add_u32 v0, v0, 23, 0x3c000000
	v_and_b32_e32 v10, 0x700000, v10
	v_and_b32_e32 v11, 0x80000000, v11
	v_or3_b32 v0, v10, v11, v0
.LBB357_3212:                           ;   in Loop: Header=BB357_2083 Depth=1
	s_or_b32 exec_lo, exec_lo, s20
.LBB357_3213:                           ;   in Loop: Header=BB357_2083 Depth=1
	s_or_b32 exec_lo, exec_lo, s19
.LBB357_3214:                           ;   in Loop: Header=BB357_2083 Depth=1
	s_or_b32 exec_lo, exec_lo, s18
	v_cmp_ne_u16_sdwa s4, v26, v14 src0_sel:BYTE_1 src1_sel:DWORD
	s_and_saveexec_b32 s18, s4
	s_cbranch_execz .LBB357_3222
; %bb.3215:                             ;   in Loop: Header=BB357_2083 Depth=1
	v_cmp_ne_u16_sdwa s4, v26, v115 src0_sel:BYTE_1 src1_sel:DWORD
	v_bfrev_b32_e32 v1, 1
	s_and_saveexec_b32 s19, s4
	s_cbranch_execz .LBB357_3221
; %bb.3216:                             ;   in Loop: Header=BB357_2083 Depth=1
	v_mov_b32_e32 v1, 0xffff
	s_mov_b32 s20, exec_lo
	v_and_b32_sdwa v11, v1, v26 dst_sel:DWORD dst_unused:UNUSED_PAD src0_sel:DWORD src1_sel:BYTE_1
	v_mov_b32_e32 v1, 0x7f800001
	v_and_b32_e32 v10, 0x7f, v11
	v_cmpx_ne_u32_e32 0x7f, v10
	s_cbranch_execz .LBB357_3220
; %bb.3217:                             ;   in Loop: Header=BB357_2083 Depth=1
	v_and_b32_e32 v13, 7, v11
	v_mov_b32_e32 v29, v14
	v_lshrrev_b32_e32 v1, 3, v10
	s_mov_b32 s21, exec_lo
	v_mov_b32_e32 v28, v13
	v_cmpx_gt_u32_e32 8, v10
; %bb.3218:                             ;   in Loop: Header=BB357_2083 Depth=1
	v_ffbh_u32_e32 v1, v13
	v_min_u32_e32 v1, 32, v1
	v_subrev_nc_u32_e32 v10, 28, v1
	v_sub_nc_u32_e32 v1, 29, v1
	v_lshlrev_b64 v[10:11], v10, v[13:14]
	v_and_b32_e32 v28, 7, v10
; %bb.3219:                             ;   in Loop: Header=BB357_2083 Depth=1
	s_or_b32 exec_lo, exec_lo, s21
	v_lshlrev_b32_e32 v10, 16, v26
	v_lshlrev_b32_e32 v11, 20, v28
	v_lshl_add_u32 v1, v1, 23, 0x3c000000
	v_and_b32_e32 v10, 0x80000000, v10
	v_or3_b32 v1, v11, v10, v1
.LBB357_3220:                           ;   in Loop: Header=BB357_2083 Depth=1
	s_or_b32 exec_lo, exec_lo, s20
.LBB357_3221:                           ;   in Loop: Header=BB357_2083 Depth=1
	s_or_b32 exec_lo, exec_lo, s19
.LBB357_3222:                           ;   in Loop: Header=BB357_2083 Depth=1
	s_or_b32 exec_lo, exec_lo, s18
	v_and_b32_sdwa v12, v26, v117 dst_sel:DWORD dst_unused:UNUSED_PAD src0_sel:WORD_1 src1_sel:DWORD
	v_mov_b32_e32 v11, 0
	v_mov_b32_e32 v10, 0
	s_mov_b32 s18, exec_lo
	v_cmpx_ne_u16_e32 0, v12
	s_cbranch_execz .LBB357_3230
; %bb.3223:                             ;   in Loop: Header=BB357_2083 Depth=1
	v_bfrev_b32_e32 v10, 1
	s_mov_b32 s19, exec_lo
	v_cmpx_ne_u16_e32 0x80, v12
	s_cbranch_execz .LBB357_3229
; %bb.3224:                             ;   in Loop: Header=BB357_2083 Depth=1
	v_bfe_u32 v12, v26, 16, 7
	v_mov_b32_e32 v10, 0x7f800001
	s_mov_b32 s20, exec_lo
	v_cmpx_ne_u32_e32 0x7f, v12
	s_cbranch_execz .LBB357_3228
; %bb.3225:                             ;   in Loop: Header=BB357_2083 Depth=1
	v_mov_b32_e32 v10, 7
	s_mov_b32 s21, exec_lo
	v_and_b32_sdwa v13, v26, v10 dst_sel:DWORD dst_unused:UNUSED_PAD src0_sel:WORD_1 src1_sel:DWORD
	v_mov_b32_e32 v29, v14
	v_lshrrev_b32_e32 v10, 3, v12
	v_mov_b32_e32 v28, v13
	v_cmpx_gt_u32_e32 8, v12
; %bb.3226:                             ;   in Loop: Header=BB357_2083 Depth=1
	v_ffbh_u32_e32 v10, v13
	v_min_u32_e32 v10, 32, v10
	v_subrev_nc_u32_e32 v12, 28, v10
	v_sub_nc_u32_e32 v10, 29, v10
	v_lshlrev_b64 v[12:13], v12, v[13:14]
	v_and_b32_e32 v28, 7, v12
; %bb.3227:                             ;   in Loop: Header=BB357_2083 Depth=1
	s_or_b32 exec_lo, exec_lo, s21
	v_mov_b32_e32 v12, 24
	v_lshlrev_b32_e32 v13, 20, v28
	v_lshl_add_u32 v10, v10, 23, 0x3c000000
	v_lshlrev_b32_sdwa v12, v12, v26 dst_sel:DWORD dst_unused:UNUSED_PAD src0_sel:DWORD src1_sel:WORD_1
	v_and_b32_e32 v12, 0x80000000, v12
	v_or3_b32 v10, v13, v12, v10
.LBB357_3228:                           ;   in Loop: Header=BB357_2083 Depth=1
	s_or_b32 exec_lo, exec_lo, s20
.LBB357_3229:                           ;   in Loop: Header=BB357_2083 Depth=1
	s_or_b32 exec_lo, exec_lo, s19
.LBB357_3230:                           ;   in Loop: Header=BB357_2083 Depth=1
	s_or_b32 exec_lo, exec_lo, s18
	s_mov_b32 s18, exec_lo
	v_cmpx_lt_u32_e32 0xffffff, v26
	s_cbranch_execz .LBB357_3238
; %bb.3231:                             ;   in Loop: Header=BB357_2083 Depth=1
	v_cmp_ne_u32_sdwa s4, v26, v115 src0_sel:BYTE_3 src1_sel:DWORD
	v_bfrev_b32_e32 v11, 1
	s_and_saveexec_b32 s19, s4
	s_cbranch_execz .LBB357_3237
; %bb.3232:                             ;   in Loop: Header=BB357_2083 Depth=1
	v_bfe_u32 v12, v26, 24, 7
	v_mov_b32_e32 v11, 0x7f800001
	s_mov_b32 s20, exec_lo
	v_cmpx_ne_u32_e32 0x7f, v12
	s_cbranch_execz .LBB357_3236
; %bb.3233:                             ;   in Loop: Header=BB357_2083 Depth=1
	v_mov_b32_e32 v11, 7
	s_mov_b32 s21, exec_lo
	v_and_b32_sdwa v13, v26, v11 dst_sel:DWORD dst_unused:UNUSED_PAD src0_sel:BYTE_3 src1_sel:DWORD
	v_mov_b32_e32 v29, v14
	v_lshrrev_b32_e32 v11, 3, v12
	v_mov_b32_e32 v28, v13
	v_cmpx_gt_u32_e32 8, v12
; %bb.3234:                             ;   in Loop: Header=BB357_2083 Depth=1
	v_ffbh_u32_e32 v11, v13
	v_min_u32_e32 v11, 32, v11
	v_subrev_nc_u32_e32 v12, 28, v11
	v_sub_nc_u32_e32 v11, 29, v11
	v_lshlrev_b64 v[12:13], v12, v[13:14]
	v_and_b32_e32 v28, 7, v12
; %bb.3235:                             ;   in Loop: Header=BB357_2083 Depth=1
	s_or_b32 exec_lo, exec_lo, s21
	v_mov_b32_e32 v12, 24
	v_lshlrev_b32_e32 v13, 20, v28
	v_lshl_add_u32 v11, v11, 23, 0x3c000000
	v_lshlrev_b32_sdwa v12, v12, v26 dst_sel:DWORD dst_unused:UNUSED_PAD src0_sel:DWORD src1_sel:BYTE_3
	v_and_b32_e32 v12, 0x80000000, v12
	v_or3_b32 v11, v13, v12, v11
.LBB357_3236:                           ;   in Loop: Header=BB357_2083 Depth=1
	s_or_b32 exec_lo, exec_lo, s20
.LBB357_3237:                           ;   in Loop: Header=BB357_2083 Depth=1
	s_or_b32 exec_lo, exec_lo, s19
.LBB357_3238:                           ;   in Loop: Header=BB357_2083 Depth=1
	s_or_b32 exec_lo, exec_lo, s18
	v_mov_b32_e32 v13, v27
	v_cmp_ne_u16_sdwa s4, v27, v14 src0_sel:BYTE_0 src1_sel:DWORD
	v_mov_b32_e32 v30, 0
	v_mov_b32_e32 v22, 0
	s_and_saveexec_b32 s18, s4
	s_cbranch_execz .LBB357_3246
; %bb.3239:                             ;   in Loop: Header=BB357_2083 Depth=1
	v_cmp_ne_u16_sdwa s4, v27, v115 src0_sel:BYTE_0 src1_sel:DWORD
	v_bfrev_b32_e32 v22, 1
	s_and_saveexec_b32 s19, s4
	s_cbranch_execz .LBB357_3245
; %bb.3240:                             ;   in Loop: Header=BB357_2083 Depth=1
	v_and_b32_e32 v21, 0x7f, v27
	v_mov_b32_e32 v22, 0x7f800001
	s_mov_b32 s20, exec_lo
	v_cmpx_ne_u32_e32 0x7f, v21
	s_cbranch_execz .LBB357_3244
; %bb.3241:                             ;   in Loop: Header=BB357_2083 Depth=1
	v_mov_b32_e32 v29, v14
	v_mov_b32_e32 v28, v13
	v_lshrrev_b32_e32 v12, 3, v21
	s_mov_b32 s21, exec_lo
	v_cmpx_gt_u32_e32 8, v21
; %bb.3242:                             ;   in Loop: Header=BB357_2083 Depth=1
	v_and_b32_e32 v12, 7, v27
	v_ffbh_u32_e32 v12, v12
	v_min_u32_e32 v12, 32, v12
	v_subrev_nc_u32_e32 v21, 28, v12
	v_sub_nc_u32_e32 v12, 29, v12
	v_lshlrev_b64 v[28:29], v21, v[13:14]
; %bb.3243:                             ;   in Loop: Header=BB357_2083 Depth=1
	s_or_b32 exec_lo, exec_lo, s21
	v_lshlrev_b32_e32 v21, 20, v28
	v_lshlrev_b32_e32 v22, 24, v13
	v_lshl_add_u32 v12, v12, 23, 0x3c000000
	v_and_b32_e32 v21, 0x700000, v21
	v_and_b32_e32 v22, 0x80000000, v22
	v_or3_b32 v22, v21, v22, v12
.LBB357_3244:                           ;   in Loop: Header=BB357_2083 Depth=1
	s_or_b32 exec_lo, exec_lo, s20
.LBB357_3245:                           ;   in Loop: Header=BB357_2083 Depth=1
	s_or_b32 exec_lo, exec_lo, s19
.LBB357_3246:                           ;   in Loop: Header=BB357_2083 Depth=1
	s_or_b32 exec_lo, exec_lo, s18
	v_cmp_ne_u16_sdwa s4, v13, v14 src0_sel:BYTE_1 src1_sel:DWORD
	s_and_saveexec_b32 s18, s4
	s_cbranch_execz .LBB357_3254
; %bb.3247:                             ;   in Loop: Header=BB357_2083 Depth=1
	v_cmp_ne_u16_sdwa s4, v13, v115 src0_sel:BYTE_1 src1_sel:DWORD
	v_bfrev_b32_e32 v30, 1
	s_and_saveexec_b32 s19, s4
	s_cbranch_execz .LBB357_3253
; %bb.3248:                             ;   in Loop: Header=BB357_2083 Depth=1
	v_mov_b32_e32 v12, 0xffff
	v_mov_b32_e32 v30, 0x7f800001
	s_mov_b32 s20, exec_lo
	v_and_b32_sdwa v12, v12, v13 dst_sel:DWORD dst_unused:UNUSED_PAD src0_sel:DWORD src1_sel:BYTE_1
	v_and_b32_e32 v21, 0x7f, v12
	v_cmpx_ne_u32_e32 0x7f, v21
	s_cbranch_execz .LBB357_3252
; %bb.3249:                             ;   in Loop: Header=BB357_2083 Depth=1
	v_and_b32_e32 v28, 7, v12
	v_mov_b32_e32 v29, v14
	v_lshrrev_b32_e32 v12, 3, v21
	s_mov_b32 s21, exec_lo
	v_cmpx_gt_u32_e32 8, v21
; %bb.3250:                             ;   in Loop: Header=BB357_2083 Depth=1
	v_ffbh_u32_e32 v12, v28
	v_min_u32_e32 v12, 32, v12
	v_subrev_nc_u32_e32 v21, 28, v12
	v_sub_nc_u32_e32 v12, 29, v12
	v_lshlrev_b64 v[28:29], v21, v[28:29]
	v_and_b32_e32 v28, 7, v28
; %bb.3251:                             ;   in Loop: Header=BB357_2083 Depth=1
	s_or_b32 exec_lo, exec_lo, s21
	v_lshlrev_b32_e32 v13, 16, v13
	v_lshlrev_b32_e32 v21, 20, v28
	v_lshl_add_u32 v12, v12, 23, 0x3c000000
	v_and_b32_e32 v13, 0x80000000, v13
	v_or3_b32 v30, v21, v13, v12
.LBB357_3252:                           ;   in Loop: Header=BB357_2083 Depth=1
	s_or_b32 exec_lo, exec_lo, s20
.LBB357_3253:                           ;   in Loop: Header=BB357_2083 Depth=1
	s_or_b32 exec_lo, exec_lo, s19
.LBB357_3254:                           ;   in Loop: Header=BB357_2083 Depth=1
	s_or_b32 exec_lo, exec_lo, s18
	v_and_b32_sdwa v13, v27, v117 dst_sel:DWORD dst_unused:UNUSED_PAD src0_sel:WORD_1 src1_sel:DWORD
	v_mov_b32_e32 v12, 0
	v_mov_b32_e32 v21, 0
	s_mov_b32 s18, exec_lo
	v_cmpx_ne_u16_e32 0, v13
	s_cbranch_execz .LBB357_3262
; %bb.3255:                             ;   in Loop: Header=BB357_2083 Depth=1
	v_bfrev_b32_e32 v21, 1
	s_mov_b32 s19, exec_lo
	v_cmpx_ne_u16_e32 0x80, v13
	s_cbranch_execz .LBB357_3261
; %bb.3256:                             ;   in Loop: Header=BB357_2083 Depth=1
	v_bfe_u32 v33, v27, 16, 7
	v_mov_b32_e32 v21, 0x7f800001
	s_mov_b32 s20, exec_lo
	v_cmpx_ne_u32_e32 0x7f, v33
	s_cbranch_execz .LBB357_3260
; %bb.3257:                             ;   in Loop: Header=BB357_2083 Depth=1
	v_mov_b32_e32 v13, 7
	v_lshrrev_b32_e32 v21, 3, v33
	s_mov_b32 s21, exec_lo
	v_and_b32_sdwa v13, v27, v13 dst_sel:DWORD dst_unused:UNUSED_PAD src0_sel:WORD_1 src1_sel:DWORD
	v_mov_b32_e32 v29, v14
	v_mov_b32_e32 v28, v13
	v_cmpx_gt_u32_e32 8, v33
; %bb.3258:                             ;   in Loop: Header=BB357_2083 Depth=1
	v_ffbh_u32_e32 v21, v13
	v_min_u32_e32 v21, 32, v21
	v_subrev_nc_u32_e32 v28, 28, v21
	v_sub_nc_u32_e32 v21, 29, v21
	v_lshlrev_b64 v[28:29], v28, v[13:14]
	v_and_b32_e32 v28, 7, v28
; %bb.3259:                             ;   in Loop: Header=BB357_2083 Depth=1
	s_or_b32 exec_lo, exec_lo, s21
	v_mov_b32_e32 v13, 24
	v_lshlrev_b32_e32 v28, 20, v28
	v_lshl_add_u32 v21, v21, 23, 0x3c000000
	v_lshlrev_b32_sdwa v13, v13, v27 dst_sel:DWORD dst_unused:UNUSED_PAD src0_sel:DWORD src1_sel:WORD_1
	v_and_b32_e32 v13, 0x80000000, v13
	v_or3_b32 v21, v28, v13, v21
.LBB357_3260:                           ;   in Loop: Header=BB357_2083 Depth=1
	s_or_b32 exec_lo, exec_lo, s20
.LBB357_3261:                           ;   in Loop: Header=BB357_2083 Depth=1
	s_or_b32 exec_lo, exec_lo, s19
.LBB357_3262:                           ;   in Loop: Header=BB357_2083 Depth=1
	s_or_b32 exec_lo, exec_lo, s18
	s_mov_b32 s18, exec_lo
	v_cmpx_lt_u64_e64 s[6:7], v[26:27]
	s_cbranch_execz .LBB357_3270
; %bb.3263:                             ;   in Loop: Header=BB357_2083 Depth=1
	v_cmp_ne_u32_sdwa s4, v27, v115 src0_sel:BYTE_3 src1_sel:DWORD
	v_bfrev_b32_e32 v12, 1
	s_and_saveexec_b32 s19, s4
	s_cbranch_execz .LBB357_3269
; %bb.3264:                             ;   in Loop: Header=BB357_2083 Depth=1
	v_bfe_u32 v26, v27, 24, 7
	v_mov_b32_e32 v12, 0x7f800001
	s_mov_b32 s20, exec_lo
	v_cmpx_ne_u32_e32 0x7f, v26
	s_cbranch_execz .LBB357_3268
; %bb.3265:                             ;   in Loop: Header=BB357_2083 Depth=1
	v_mov_b32_e32 v12, 7
	s_mov_b32 s21, exec_lo
	v_and_b32_sdwa v13, v27, v12 dst_sel:DWORD dst_unused:UNUSED_PAD src0_sel:BYTE_3 src1_sel:DWORD
	v_mov_b32_e32 v29, v14
	v_lshrrev_b32_e32 v12, 3, v26
	v_mov_b32_e32 v28, v13
	v_cmpx_gt_u32_e32 8, v26
; %bb.3266:                             ;   in Loop: Header=BB357_2083 Depth=1
	v_ffbh_u32_e32 v12, v13
	v_min_u32_e32 v12, 32, v12
	v_subrev_nc_u32_e32 v26, 28, v12
	v_sub_nc_u32_e32 v12, 29, v12
	v_lshlrev_b64 v[28:29], v26, v[13:14]
	v_and_b32_e32 v28, 7, v28
; %bb.3267:                             ;   in Loop: Header=BB357_2083 Depth=1
	s_or_b32 exec_lo, exec_lo, s21
	v_mov_b32_e32 v13, 24
	v_lshlrev_b32_e32 v26, 20, v28
	v_lshl_add_u32 v12, v12, 23, 0x3c000000
	v_lshlrev_b32_sdwa v13, v13, v27 dst_sel:DWORD dst_unused:UNUSED_PAD src0_sel:DWORD src1_sel:BYTE_3
	v_and_b32_e32 v13, 0x80000000, v13
	v_or3_b32 v12, v26, v13, v12
.LBB357_3268:                           ;   in Loop: Header=BB357_2083 Depth=1
	s_or_b32 exec_lo, exec_lo, s20
.LBB357_3269:                           ;   in Loop: Header=BB357_2083 Depth=1
	s_or_b32 exec_lo, exec_lo, s19
.LBB357_3270:                           ;   in Loop: Header=BB357_2083 Depth=1
	s_or_b32 exec_lo, exec_lo, s18
	v_mul_f32_e32 v13, v23, v30
	v_mul_f32_e32 v11, v23, v11
	;; [unrolled: 1-line block ×5, first 2 shown]
	v_bfe_u32 v26, v13, 16, 1
	v_or_b32_e32 v27, 0x400000, v13
	v_cmp_u_f32_e64 s4, v13, v13
	v_add3_u32 v26, v26, v13, 0x7fff
	v_cndmask_b32_e64 v13, v26, v27, s4
	v_lshrrev_b32_e32 v13, 16, v13
	buffer_store_dword v13, off, s[0:3], s32 offset:768 ; 4-byte Folded Spill
	v_mul_f32_e32 v13, v23, v22
	v_bfe_u32 v22, v13, 16, 1
	v_or_b32_e32 v26, 0x400000, v13
	v_cmp_u_f32_e64 s4, v13, v13
	v_add3_u32 v22, v22, v13, 0x7fff
	v_cndmask_b32_e64 v13, v22, v26, s4
	v_or_b32_e32 v22, 0x400000, v11
	v_cmp_u_f32_e64 s4, v11, v11
	v_lshrrev_b32_e32 v13, 16, v13
	buffer_store_dword v13, off, s[0:3], s32 offset:772 ; 4-byte Folded Spill
	v_bfe_u32 v13, v11, 16, 1
	v_add3_u32 v13, v13, v11, 0x7fff
	v_cndmask_b32_e64 v11, v13, v22, s4
	v_or_b32_e32 v13, 0x400000, v10
	v_cmp_u_f32_e64 s4, v10, v10
	v_lshrrev_b32_e32 v11, 16, v11
	buffer_store_dword v11, off, s[0:3], s32 offset:776 ; 4-byte Folded Spill
	v_bfe_u32 v11, v10, 16, 1
	v_add3_u32 v11, v11, v10, 0x7fff
	v_cndmask_b32_e64 v10, v11, v13, s4
	v_or_b32_e32 v11, 0x400000, v1
	v_cmp_u_f32_e64 s4, v1, v1
	v_lshrrev_b32_e32 v10, 16, v10
	buffer_store_dword v10, off, s[0:3], s32 offset:780 ; 4-byte Folded Spill
	v_bfe_u32 v10, v1, 16, 1
	v_add3_u32 v10, v10, v1, 0x7fff
	v_cndmask_b32_e64 v1, v10, v11, s4
	v_or_b32_e32 v10, 0x400000, v0
	v_cmp_u_f32_e64 s4, v0, v0
	v_lshrrev_b32_e32 v1, 16, v1
	buffer_store_dword v1, off, s[0:3], s32 offset:784 ; 4-byte Folded Spill
	v_bfe_u32 v1, v0, 16, 1
	v_add3_u32 v1, v1, v0, 0x7fff
	v_cndmask_b32_e64 v0, v1, v10, s4
	v_lshrrev_b32_e32 v0, 16, v0
	buffer_store_dword v0, off, s[0:3], s32 offset:792 ; 4-byte Folded Spill
	v_mul_f32_e32 v0, v23, v21
	v_bfe_u32 v1, v0, 16, 1
	v_or_b32_e32 v10, 0x400000, v0
	v_cmp_u_f32_e64 s4, v0, v0
	v_add3_u32 v1, v1, v0, 0x7fff
	v_cndmask_b32_e64 v0, v1, v10, s4
	v_lshrrev_b32_e32 v0, 16, v0
	buffer_store_dword v0, off, s[0:3], s32 offset:788 ; 4-byte Folded Spill
	v_mul_f32_e32 v0, v23, v12
	v_bfe_u32 v1, v0, 16, 1
	v_or_b32_e32 v10, 0x400000, v0
	v_cmp_u_f32_e64 s4, v0, v0
	v_add3_u32 v1, v1, v0, 0x7fff
	v_cndmask_b32_e64 v0, v1, v10, s4
	v_lshrrev_b32_e32 v0, 16, v0
	buffer_store_dword v0, off, s[0:3], s32 offset:796 ; 4-byte Folded Spill
	s_and_saveexec_b32 s18, vcc_lo
	s_cbranch_execz .LBB357_3272
; %bb.3271:                             ;   in Loop: Header=BB357_2083 Depth=1
	buffer_load_dword v0, off, s[0:3], s32 offset:792 ; 4-byte Folded Reload
	v_cmp_lt_i32_e64 s4, v102, v49
	s_waitcnt vmcnt(0)
	v_cndmask_b32_e64 v0, 0, v0, s4
	v_cmp_lt_i32_e64 s4, v52, v49
	buffer_store_dword v0, off, s[0:3], s32 offset:792 ; 4-byte Folded Spill
	buffer_load_dword v0, off, s[0:3], s32 offset:784 ; 4-byte Folded Reload
	s_waitcnt vmcnt(0)
	v_cndmask_b32_e64 v0, 0, v0, s4
	v_cmp_lt_i32_e64 s4, v51, v49
	buffer_store_dword v0, off, s[0:3], s32 offset:784 ; 4-byte Folded Spill
	buffer_load_dword v0, off, s[0:3], s32 offset:780 ; 4-byte Folded Reload
	;; [unrolled: 5-line block ×7, first 2 shown]
	s_waitcnt vmcnt(0)
	v_cndmask_b32_e64 v0, 0, v0, s4
	buffer_store_dword v0, off, s[0:3], s32 offset:796 ; 4-byte Folded Spill
.LBB357_3272:                           ;   in Loop: Header=BB357_2083 Depth=1
	s_or_b32 exec_lo, exec_lo, s18
	flat_load_dwordx2 v[26:27], v[24:25] offset:512
	v_mov_b32_e32 v1, 0
	v_mov_b32_e32 v0, 0
	s_waitcnt vmcnt(0) lgkmcnt(0)
	v_cmp_ne_u16_sdwa s4, v26, v14 src0_sel:BYTE_0 src1_sel:DWORD
	s_and_saveexec_b32 s18, s4
	s_cbranch_execz .LBB357_3280
; %bb.3273:                             ;   in Loop: Header=BB357_2083 Depth=1
	v_cmp_ne_u16_sdwa s4, v26, v115 src0_sel:BYTE_0 src1_sel:DWORD
	v_bfrev_b32_e32 v0, 1
	s_and_saveexec_b32 s19, s4
	s_cbranch_execz .LBB357_3279
; %bb.3274:                             ;   in Loop: Header=BB357_2083 Depth=1
	v_and_b32_e32 v10, 0x7f, v26
	v_mov_b32_e32 v0, 0x7f800001
	s_mov_b32 s20, exec_lo
	v_cmpx_ne_u32_e32 0x7f, v10
	s_cbranch_execz .LBB357_3278
; %bb.3275:                             ;   in Loop: Header=BB357_2083 Depth=1
	v_mov_b32_e32 v29, v27
	v_lshrrev_b32_e32 v0, 3, v10
	v_mov_b32_e32 v28, v26
	s_mov_b32 s21, exec_lo
	v_cmpx_gt_u32_e32 8, v10
; %bb.3276:                             ;   in Loop: Header=BB357_2083 Depth=1
	v_and_b32_e32 v0, 7, v26
	v_ffbh_u32_e32 v0, v0
	v_min_u32_e32 v0, 32, v0
	v_subrev_nc_u32_e32 v10, 28, v0
	v_sub_nc_u32_e32 v0, 29, v0
	v_lshlrev_b64 v[28:29], v10, v[26:27]
; %bb.3277:                             ;   in Loop: Header=BB357_2083 Depth=1
	s_or_b32 exec_lo, exec_lo, s21
	v_lshlrev_b32_e32 v10, 20, v28
	v_lshlrev_b32_e32 v11, 24, v26
	v_lshl_add_u32 v0, v0, 23, 0x3c000000
	v_and_b32_e32 v10, 0x700000, v10
	v_and_b32_e32 v11, 0x80000000, v11
	v_or3_b32 v0, v10, v11, v0
.LBB357_3278:                           ;   in Loop: Header=BB357_2083 Depth=1
	s_or_b32 exec_lo, exec_lo, s20
.LBB357_3279:                           ;   in Loop: Header=BB357_2083 Depth=1
	s_or_b32 exec_lo, exec_lo, s19
.LBB357_3280:                           ;   in Loop: Header=BB357_2083 Depth=1
	s_or_b32 exec_lo, exec_lo, s18
	v_cmp_ne_u16_sdwa s4, v26, v14 src0_sel:BYTE_1 src1_sel:DWORD
	s_and_saveexec_b32 s18, s4
	s_cbranch_execz .LBB357_3288
; %bb.3281:                             ;   in Loop: Header=BB357_2083 Depth=1
	v_cmp_ne_u16_sdwa s4, v26, v115 src0_sel:BYTE_1 src1_sel:DWORD
	v_bfrev_b32_e32 v1, 1
	s_and_saveexec_b32 s19, s4
	s_cbranch_execz .LBB357_3287
; %bb.3282:                             ;   in Loop: Header=BB357_2083 Depth=1
	v_mov_b32_e32 v1, 0xffff
	s_mov_b32 s20, exec_lo
	v_and_b32_sdwa v11, v1, v26 dst_sel:DWORD dst_unused:UNUSED_PAD src0_sel:DWORD src1_sel:BYTE_1
	v_mov_b32_e32 v1, 0x7f800001
	v_and_b32_e32 v10, 0x7f, v11
	v_cmpx_ne_u32_e32 0x7f, v10
	s_cbranch_execz .LBB357_3286
; %bb.3283:                             ;   in Loop: Header=BB357_2083 Depth=1
	v_and_b32_e32 v13, 7, v11
	v_mov_b32_e32 v29, v14
	v_lshrrev_b32_e32 v1, 3, v10
	s_mov_b32 s21, exec_lo
	v_mov_b32_e32 v28, v13
	v_cmpx_gt_u32_e32 8, v10
; %bb.3284:                             ;   in Loop: Header=BB357_2083 Depth=1
	v_ffbh_u32_e32 v1, v13
	v_min_u32_e32 v1, 32, v1
	v_subrev_nc_u32_e32 v10, 28, v1
	v_sub_nc_u32_e32 v1, 29, v1
	v_lshlrev_b64 v[10:11], v10, v[13:14]
	v_and_b32_e32 v28, 7, v10
; %bb.3285:                             ;   in Loop: Header=BB357_2083 Depth=1
	s_or_b32 exec_lo, exec_lo, s21
	v_lshlrev_b32_e32 v10, 16, v26
	v_lshlrev_b32_e32 v11, 20, v28
	v_lshl_add_u32 v1, v1, 23, 0x3c000000
	v_and_b32_e32 v10, 0x80000000, v10
	v_or3_b32 v1, v11, v10, v1
.LBB357_3286:                           ;   in Loop: Header=BB357_2083 Depth=1
	s_or_b32 exec_lo, exec_lo, s20
.LBB357_3287:                           ;   in Loop: Header=BB357_2083 Depth=1
	s_or_b32 exec_lo, exec_lo, s19
.LBB357_3288:                           ;   in Loop: Header=BB357_2083 Depth=1
	s_or_b32 exec_lo, exec_lo, s18
	v_and_b32_sdwa v12, v26, v117 dst_sel:DWORD dst_unused:UNUSED_PAD src0_sel:WORD_1 src1_sel:DWORD
	v_mov_b32_e32 v11, 0
	v_mov_b32_e32 v10, 0
	s_mov_b32 s18, exec_lo
	v_cmpx_ne_u16_e32 0, v12
	s_cbranch_execz .LBB357_3296
; %bb.3289:                             ;   in Loop: Header=BB357_2083 Depth=1
	v_bfrev_b32_e32 v10, 1
	s_mov_b32 s19, exec_lo
	v_cmpx_ne_u16_e32 0x80, v12
	s_cbranch_execz .LBB357_3295
; %bb.3290:                             ;   in Loop: Header=BB357_2083 Depth=1
	v_bfe_u32 v12, v26, 16, 7
	v_mov_b32_e32 v10, 0x7f800001
	s_mov_b32 s20, exec_lo
	v_cmpx_ne_u32_e32 0x7f, v12
	s_cbranch_execz .LBB357_3294
; %bb.3291:                             ;   in Loop: Header=BB357_2083 Depth=1
	v_mov_b32_e32 v10, 7
	s_mov_b32 s21, exec_lo
	v_and_b32_sdwa v13, v26, v10 dst_sel:DWORD dst_unused:UNUSED_PAD src0_sel:WORD_1 src1_sel:DWORD
	v_mov_b32_e32 v29, v14
	v_lshrrev_b32_e32 v10, 3, v12
	v_mov_b32_e32 v28, v13
	v_cmpx_gt_u32_e32 8, v12
; %bb.3292:                             ;   in Loop: Header=BB357_2083 Depth=1
	v_ffbh_u32_e32 v10, v13
	v_min_u32_e32 v10, 32, v10
	v_subrev_nc_u32_e32 v12, 28, v10
	v_sub_nc_u32_e32 v10, 29, v10
	v_lshlrev_b64 v[12:13], v12, v[13:14]
	v_and_b32_e32 v28, 7, v12
; %bb.3293:                             ;   in Loop: Header=BB357_2083 Depth=1
	s_or_b32 exec_lo, exec_lo, s21
	v_mov_b32_e32 v12, 24
	v_lshlrev_b32_e32 v13, 20, v28
	v_lshl_add_u32 v10, v10, 23, 0x3c000000
	v_lshlrev_b32_sdwa v12, v12, v26 dst_sel:DWORD dst_unused:UNUSED_PAD src0_sel:DWORD src1_sel:WORD_1
	v_and_b32_e32 v12, 0x80000000, v12
	v_or3_b32 v10, v13, v12, v10
.LBB357_3294:                           ;   in Loop: Header=BB357_2083 Depth=1
	s_or_b32 exec_lo, exec_lo, s20
.LBB357_3295:                           ;   in Loop: Header=BB357_2083 Depth=1
	s_or_b32 exec_lo, exec_lo, s19
.LBB357_3296:                           ;   in Loop: Header=BB357_2083 Depth=1
	s_or_b32 exec_lo, exec_lo, s18
	s_mov_b32 s18, exec_lo
	v_cmpx_lt_u32_e32 0xffffff, v26
	s_cbranch_execz .LBB357_3304
; %bb.3297:                             ;   in Loop: Header=BB357_2083 Depth=1
	v_cmp_ne_u32_sdwa s4, v26, v115 src0_sel:BYTE_3 src1_sel:DWORD
	v_bfrev_b32_e32 v11, 1
	s_and_saveexec_b32 s19, s4
	s_cbranch_execz .LBB357_3303
; %bb.3298:                             ;   in Loop: Header=BB357_2083 Depth=1
	v_bfe_u32 v12, v26, 24, 7
	v_mov_b32_e32 v11, 0x7f800001
	s_mov_b32 s20, exec_lo
	v_cmpx_ne_u32_e32 0x7f, v12
	s_cbranch_execz .LBB357_3302
; %bb.3299:                             ;   in Loop: Header=BB357_2083 Depth=1
	v_mov_b32_e32 v11, 7
	s_mov_b32 s21, exec_lo
	v_and_b32_sdwa v13, v26, v11 dst_sel:DWORD dst_unused:UNUSED_PAD src0_sel:BYTE_3 src1_sel:DWORD
	v_mov_b32_e32 v29, v14
	v_lshrrev_b32_e32 v11, 3, v12
	v_mov_b32_e32 v28, v13
	v_cmpx_gt_u32_e32 8, v12
; %bb.3300:                             ;   in Loop: Header=BB357_2083 Depth=1
	v_ffbh_u32_e32 v11, v13
	v_min_u32_e32 v11, 32, v11
	v_subrev_nc_u32_e32 v12, 28, v11
	v_sub_nc_u32_e32 v11, 29, v11
	v_lshlrev_b64 v[12:13], v12, v[13:14]
	v_and_b32_e32 v28, 7, v12
; %bb.3301:                             ;   in Loop: Header=BB357_2083 Depth=1
	s_or_b32 exec_lo, exec_lo, s21
	v_mov_b32_e32 v12, 24
	v_lshlrev_b32_e32 v13, 20, v28
	v_lshl_add_u32 v11, v11, 23, 0x3c000000
	v_lshlrev_b32_sdwa v12, v12, v26 dst_sel:DWORD dst_unused:UNUSED_PAD src0_sel:DWORD src1_sel:BYTE_3
	v_and_b32_e32 v12, 0x80000000, v12
	v_or3_b32 v11, v13, v12, v11
.LBB357_3302:                           ;   in Loop: Header=BB357_2083 Depth=1
	s_or_b32 exec_lo, exec_lo, s20
.LBB357_3303:                           ;   in Loop: Header=BB357_2083 Depth=1
	s_or_b32 exec_lo, exec_lo, s19
.LBB357_3304:                           ;   in Loop: Header=BB357_2083 Depth=1
	s_or_b32 exec_lo, exec_lo, s18
	v_mov_b32_e32 v13, v27
	v_cmp_ne_u16_sdwa s4, v27, v14 src0_sel:BYTE_0 src1_sel:DWORD
	v_mov_b32_e32 v30, 0
	v_mov_b32_e32 v22, 0
	s_and_saveexec_b32 s18, s4
	s_cbranch_execz .LBB357_3312
; %bb.3305:                             ;   in Loop: Header=BB357_2083 Depth=1
	v_cmp_ne_u16_sdwa s4, v27, v115 src0_sel:BYTE_0 src1_sel:DWORD
	v_bfrev_b32_e32 v22, 1
	s_and_saveexec_b32 s19, s4
	s_cbranch_execz .LBB357_3311
; %bb.3306:                             ;   in Loop: Header=BB357_2083 Depth=1
	v_and_b32_e32 v21, 0x7f, v27
	v_mov_b32_e32 v22, 0x7f800001
	s_mov_b32 s20, exec_lo
	v_cmpx_ne_u32_e32 0x7f, v21
	s_cbranch_execz .LBB357_3310
; %bb.3307:                             ;   in Loop: Header=BB357_2083 Depth=1
	v_mov_b32_e32 v29, v14
	v_mov_b32_e32 v28, v13
	v_lshrrev_b32_e32 v12, 3, v21
	s_mov_b32 s21, exec_lo
	v_cmpx_gt_u32_e32 8, v21
; %bb.3308:                             ;   in Loop: Header=BB357_2083 Depth=1
	v_and_b32_e32 v12, 7, v27
	v_ffbh_u32_e32 v12, v12
	v_min_u32_e32 v12, 32, v12
	v_subrev_nc_u32_e32 v21, 28, v12
	v_sub_nc_u32_e32 v12, 29, v12
	v_lshlrev_b64 v[28:29], v21, v[13:14]
; %bb.3309:                             ;   in Loop: Header=BB357_2083 Depth=1
	s_or_b32 exec_lo, exec_lo, s21
	v_lshlrev_b32_e32 v21, 20, v28
	v_lshlrev_b32_e32 v22, 24, v13
	v_lshl_add_u32 v12, v12, 23, 0x3c000000
	v_and_b32_e32 v21, 0x700000, v21
	v_and_b32_e32 v22, 0x80000000, v22
	v_or3_b32 v22, v21, v22, v12
.LBB357_3310:                           ;   in Loop: Header=BB357_2083 Depth=1
	s_or_b32 exec_lo, exec_lo, s20
.LBB357_3311:                           ;   in Loop: Header=BB357_2083 Depth=1
	s_or_b32 exec_lo, exec_lo, s19
.LBB357_3312:                           ;   in Loop: Header=BB357_2083 Depth=1
	s_or_b32 exec_lo, exec_lo, s18
	v_cmp_ne_u16_sdwa s4, v13, v14 src0_sel:BYTE_1 src1_sel:DWORD
	s_and_saveexec_b32 s18, s4
	s_cbranch_execz .LBB357_3320
; %bb.3313:                             ;   in Loop: Header=BB357_2083 Depth=1
	v_cmp_ne_u16_sdwa s4, v13, v115 src0_sel:BYTE_1 src1_sel:DWORD
	v_bfrev_b32_e32 v30, 1
	s_and_saveexec_b32 s19, s4
	s_cbranch_execz .LBB357_3319
; %bb.3314:                             ;   in Loop: Header=BB357_2083 Depth=1
	v_mov_b32_e32 v12, 0xffff
	v_mov_b32_e32 v30, 0x7f800001
	s_mov_b32 s20, exec_lo
	v_and_b32_sdwa v12, v12, v13 dst_sel:DWORD dst_unused:UNUSED_PAD src0_sel:DWORD src1_sel:BYTE_1
	v_and_b32_e32 v21, 0x7f, v12
	v_cmpx_ne_u32_e32 0x7f, v21
	s_cbranch_execz .LBB357_3318
; %bb.3315:                             ;   in Loop: Header=BB357_2083 Depth=1
	v_and_b32_e32 v28, 7, v12
	v_mov_b32_e32 v29, v14
	v_lshrrev_b32_e32 v12, 3, v21
	s_mov_b32 s21, exec_lo
	v_cmpx_gt_u32_e32 8, v21
; %bb.3316:                             ;   in Loop: Header=BB357_2083 Depth=1
	v_ffbh_u32_e32 v12, v28
	v_min_u32_e32 v12, 32, v12
	v_subrev_nc_u32_e32 v21, 28, v12
	v_sub_nc_u32_e32 v12, 29, v12
	v_lshlrev_b64 v[28:29], v21, v[28:29]
	v_and_b32_e32 v28, 7, v28
; %bb.3317:                             ;   in Loop: Header=BB357_2083 Depth=1
	s_or_b32 exec_lo, exec_lo, s21
	v_lshlrev_b32_e32 v13, 16, v13
	v_lshlrev_b32_e32 v21, 20, v28
	v_lshl_add_u32 v12, v12, 23, 0x3c000000
	v_and_b32_e32 v13, 0x80000000, v13
	v_or3_b32 v30, v21, v13, v12
.LBB357_3318:                           ;   in Loop: Header=BB357_2083 Depth=1
	s_or_b32 exec_lo, exec_lo, s20
.LBB357_3319:                           ;   in Loop: Header=BB357_2083 Depth=1
	s_or_b32 exec_lo, exec_lo, s19
.LBB357_3320:                           ;   in Loop: Header=BB357_2083 Depth=1
	s_or_b32 exec_lo, exec_lo, s18
	v_and_b32_sdwa v13, v27, v117 dst_sel:DWORD dst_unused:UNUSED_PAD src0_sel:WORD_1 src1_sel:DWORD
	v_mov_b32_e32 v12, 0
	v_mov_b32_e32 v21, 0
	s_mov_b32 s18, exec_lo
	v_cmpx_ne_u16_e32 0, v13
	s_cbranch_execz .LBB357_3328
; %bb.3321:                             ;   in Loop: Header=BB357_2083 Depth=1
	v_bfrev_b32_e32 v21, 1
	s_mov_b32 s19, exec_lo
	v_cmpx_ne_u16_e32 0x80, v13
	s_cbranch_execz .LBB357_3327
; %bb.3322:                             ;   in Loop: Header=BB357_2083 Depth=1
	v_bfe_u32 v33, v27, 16, 7
	v_mov_b32_e32 v21, 0x7f800001
	s_mov_b32 s20, exec_lo
	v_cmpx_ne_u32_e32 0x7f, v33
	s_cbranch_execz .LBB357_3326
; %bb.3323:                             ;   in Loop: Header=BB357_2083 Depth=1
	v_mov_b32_e32 v13, 7
	v_lshrrev_b32_e32 v21, 3, v33
	s_mov_b32 s21, exec_lo
	v_and_b32_sdwa v13, v27, v13 dst_sel:DWORD dst_unused:UNUSED_PAD src0_sel:WORD_1 src1_sel:DWORD
	v_mov_b32_e32 v29, v14
	v_mov_b32_e32 v28, v13
	v_cmpx_gt_u32_e32 8, v33
; %bb.3324:                             ;   in Loop: Header=BB357_2083 Depth=1
	v_ffbh_u32_e32 v21, v13
	v_min_u32_e32 v21, 32, v21
	v_subrev_nc_u32_e32 v28, 28, v21
	v_sub_nc_u32_e32 v21, 29, v21
	v_lshlrev_b64 v[28:29], v28, v[13:14]
	v_and_b32_e32 v28, 7, v28
; %bb.3325:                             ;   in Loop: Header=BB357_2083 Depth=1
	s_or_b32 exec_lo, exec_lo, s21
	v_mov_b32_e32 v13, 24
	v_lshlrev_b32_e32 v28, 20, v28
	v_lshl_add_u32 v21, v21, 23, 0x3c000000
	v_lshlrev_b32_sdwa v13, v13, v27 dst_sel:DWORD dst_unused:UNUSED_PAD src0_sel:DWORD src1_sel:WORD_1
	v_and_b32_e32 v13, 0x80000000, v13
	v_or3_b32 v21, v28, v13, v21
.LBB357_3326:                           ;   in Loop: Header=BB357_2083 Depth=1
	s_or_b32 exec_lo, exec_lo, s20
.LBB357_3327:                           ;   in Loop: Header=BB357_2083 Depth=1
	s_or_b32 exec_lo, exec_lo, s19
.LBB357_3328:                           ;   in Loop: Header=BB357_2083 Depth=1
	s_or_b32 exec_lo, exec_lo, s18
	s_mov_b32 s18, exec_lo
	v_cmpx_lt_u64_e64 s[6:7], v[26:27]
	s_cbranch_execz .LBB357_3336
; %bb.3329:                             ;   in Loop: Header=BB357_2083 Depth=1
	v_cmp_ne_u32_sdwa s4, v27, v115 src0_sel:BYTE_3 src1_sel:DWORD
	v_bfrev_b32_e32 v12, 1
	s_and_saveexec_b32 s19, s4
	s_cbranch_execz .LBB357_3335
; %bb.3330:                             ;   in Loop: Header=BB357_2083 Depth=1
	v_bfe_u32 v26, v27, 24, 7
	v_mov_b32_e32 v12, 0x7f800001
	s_mov_b32 s20, exec_lo
	v_cmpx_ne_u32_e32 0x7f, v26
	s_cbranch_execz .LBB357_3334
; %bb.3331:                             ;   in Loop: Header=BB357_2083 Depth=1
	v_mov_b32_e32 v12, 7
	s_mov_b32 s21, exec_lo
	v_and_b32_sdwa v13, v27, v12 dst_sel:DWORD dst_unused:UNUSED_PAD src0_sel:BYTE_3 src1_sel:DWORD
	v_mov_b32_e32 v29, v14
	v_lshrrev_b32_e32 v12, 3, v26
	v_mov_b32_e32 v28, v13
	v_cmpx_gt_u32_e32 8, v26
; %bb.3332:                             ;   in Loop: Header=BB357_2083 Depth=1
	v_ffbh_u32_e32 v12, v13
	v_min_u32_e32 v12, 32, v12
	v_subrev_nc_u32_e32 v26, 28, v12
	v_sub_nc_u32_e32 v12, 29, v12
	v_lshlrev_b64 v[28:29], v26, v[13:14]
	v_and_b32_e32 v28, 7, v28
; %bb.3333:                             ;   in Loop: Header=BB357_2083 Depth=1
	s_or_b32 exec_lo, exec_lo, s21
	v_mov_b32_e32 v13, 24
	v_lshlrev_b32_e32 v26, 20, v28
	v_lshl_add_u32 v12, v12, 23, 0x3c000000
	v_lshlrev_b32_sdwa v13, v13, v27 dst_sel:DWORD dst_unused:UNUSED_PAD src0_sel:DWORD src1_sel:BYTE_3
	v_and_b32_e32 v13, 0x80000000, v13
	v_or3_b32 v12, v26, v13, v12
.LBB357_3334:                           ;   in Loop: Header=BB357_2083 Depth=1
	s_or_b32 exec_lo, exec_lo, s20
.LBB357_3335:                           ;   in Loop: Header=BB357_2083 Depth=1
	s_or_b32 exec_lo, exec_lo, s19
.LBB357_3336:                           ;   in Loop: Header=BB357_2083 Depth=1
	s_or_b32 exec_lo, exec_lo, s18
	v_mul_f32_e32 v13, v23, v30
	v_mul_f32_e32 v11, v23, v11
	;; [unrolled: 1-line block ×5, first 2 shown]
	v_bfe_u32 v26, v13, 16, 1
	v_or_b32_e32 v27, 0x400000, v13
	v_cmp_u_f32_e64 s4, v13, v13
	v_add3_u32 v26, v26, v13, 0x7fff
	v_cndmask_b32_e64 v13, v26, v27, s4
	v_lshrrev_b32_e32 v13, 16, v13
	buffer_store_dword v13, off, s[0:3], s32 offset:800 ; 4-byte Folded Spill
	v_mul_f32_e32 v13, v23, v22
	v_bfe_u32 v22, v13, 16, 1
	v_or_b32_e32 v26, 0x400000, v13
	v_cmp_u_f32_e64 s4, v13, v13
	v_add3_u32 v22, v22, v13, 0x7fff
	v_cndmask_b32_e64 v13, v22, v26, s4
	v_or_b32_e32 v22, 0x400000, v11
	v_cmp_u_f32_e64 s4, v11, v11
	v_lshrrev_b32_e32 v13, 16, v13
	buffer_store_dword v13, off, s[0:3], s32 offset:804 ; 4-byte Folded Spill
	v_bfe_u32 v13, v11, 16, 1
	v_add3_u32 v13, v13, v11, 0x7fff
	v_cndmask_b32_e64 v11, v13, v22, s4
	v_or_b32_e32 v13, 0x400000, v10
	v_cmp_u_f32_e64 s4, v10, v10
	v_lshrrev_b32_e32 v11, 16, v11
	buffer_store_dword v11, off, s[0:3], s32 offset:808 ; 4-byte Folded Spill
	v_bfe_u32 v11, v10, 16, 1
	;; [unrolled: 7-line block ×4, first 2 shown]
	v_add3_u32 v1, v1, v0, 0x7fff
	v_cndmask_b32_e64 v0, v1, v10, s4
	v_lshrrev_b32_e32 v0, 16, v0
	buffer_store_dword v0, off, s[0:3], s32 offset:824 ; 4-byte Folded Spill
	v_mul_f32_e32 v0, v23, v21
	v_bfe_u32 v1, v0, 16, 1
	v_or_b32_e32 v10, 0x400000, v0
	v_cmp_u_f32_e64 s4, v0, v0
	v_add3_u32 v1, v1, v0, 0x7fff
	v_cndmask_b32_e64 v0, v1, v10, s4
	v_lshrrev_b32_e32 v0, 16, v0
	buffer_store_dword v0, off, s[0:3], s32 offset:820 ; 4-byte Folded Spill
	v_mul_f32_e32 v0, v23, v12
	v_bfe_u32 v1, v0, 16, 1
	v_or_b32_e32 v10, 0x400000, v0
	v_cmp_u_f32_e64 s4, v0, v0
	v_add3_u32 v1, v1, v0, 0x7fff
	v_cndmask_b32_e64 v0, v1, v10, s4
	v_lshrrev_b32_e32 v0, 16, v0
	buffer_store_dword v0, off, s[0:3], s32 offset:828 ; 4-byte Folded Spill
	s_and_saveexec_b32 s18, vcc_lo
	s_cbranch_execz .LBB357_3338
; %bb.3337:                             ;   in Loop: Header=BB357_2083 Depth=1
	buffer_load_dword v0, off, s[0:3], s32 offset:824 ; 4-byte Folded Reload
	v_cmp_lt_i32_e64 s4, v102, v49
	s_waitcnt vmcnt(0)
	v_cndmask_b32_e64 v0, 0, v0, s4
	v_cmp_lt_i32_e64 s4, v52, v49
	buffer_store_dword v0, off, s[0:3], s32 offset:824 ; 4-byte Folded Spill
	buffer_load_dword v0, off, s[0:3], s32 offset:816 ; 4-byte Folded Reload
	s_waitcnt vmcnt(0)
	v_cndmask_b32_e64 v0, 0, v0, s4
	v_cmp_lt_i32_e64 s4, v51, v49
	buffer_store_dword v0, off, s[0:3], s32 offset:816 ; 4-byte Folded Spill
	buffer_load_dword v0, off, s[0:3], s32 offset:812 ; 4-byte Folded Reload
	;; [unrolled: 5-line block ×7, first 2 shown]
	s_waitcnt vmcnt(0)
	v_cndmask_b32_e64 v0, 0, v0, s4
	buffer_store_dword v0, off, s[0:3], s32 offset:828 ; 4-byte Folded Spill
.LBB357_3338:                           ;   in Loop: Header=BB357_2083 Depth=1
	s_or_b32 exec_lo, exec_lo, s18
	flat_load_dwordx2 v[26:27], v[24:25] offset:768
	v_mov_b32_e32 v1, 0
	v_mov_b32_e32 v0, 0
	s_waitcnt vmcnt(0) lgkmcnt(0)
	v_cmp_ne_u16_sdwa s4, v26, v14 src0_sel:BYTE_0 src1_sel:DWORD
	s_and_saveexec_b32 s18, s4
	s_cbranch_execz .LBB357_3346
; %bb.3339:                             ;   in Loop: Header=BB357_2083 Depth=1
	v_cmp_ne_u16_sdwa s4, v26, v115 src0_sel:BYTE_0 src1_sel:DWORD
	v_bfrev_b32_e32 v0, 1
	s_and_saveexec_b32 s19, s4
	s_cbranch_execz .LBB357_3345
; %bb.3340:                             ;   in Loop: Header=BB357_2083 Depth=1
	v_and_b32_e32 v10, 0x7f, v26
	v_mov_b32_e32 v0, 0x7f800001
	s_mov_b32 s20, exec_lo
	v_cmpx_ne_u32_e32 0x7f, v10
	s_cbranch_execz .LBB357_3344
; %bb.3341:                             ;   in Loop: Header=BB357_2083 Depth=1
	v_mov_b32_e32 v29, v27
	v_lshrrev_b32_e32 v0, 3, v10
	v_mov_b32_e32 v28, v26
	s_mov_b32 s21, exec_lo
	v_cmpx_gt_u32_e32 8, v10
; %bb.3342:                             ;   in Loop: Header=BB357_2083 Depth=1
	v_and_b32_e32 v0, 7, v26
	v_ffbh_u32_e32 v0, v0
	v_min_u32_e32 v0, 32, v0
	v_subrev_nc_u32_e32 v10, 28, v0
	v_sub_nc_u32_e32 v0, 29, v0
	v_lshlrev_b64 v[28:29], v10, v[26:27]
; %bb.3343:                             ;   in Loop: Header=BB357_2083 Depth=1
	s_or_b32 exec_lo, exec_lo, s21
	v_lshlrev_b32_e32 v10, 20, v28
	v_lshlrev_b32_e32 v11, 24, v26
	v_lshl_add_u32 v0, v0, 23, 0x3c000000
	v_and_b32_e32 v10, 0x700000, v10
	v_and_b32_e32 v11, 0x80000000, v11
	v_or3_b32 v0, v10, v11, v0
.LBB357_3344:                           ;   in Loop: Header=BB357_2083 Depth=1
	s_or_b32 exec_lo, exec_lo, s20
.LBB357_3345:                           ;   in Loop: Header=BB357_2083 Depth=1
	s_or_b32 exec_lo, exec_lo, s19
.LBB357_3346:                           ;   in Loop: Header=BB357_2083 Depth=1
	s_or_b32 exec_lo, exec_lo, s18
	v_cmp_ne_u16_sdwa s4, v26, v14 src0_sel:BYTE_1 src1_sel:DWORD
	s_and_saveexec_b32 s18, s4
	s_cbranch_execz .LBB357_3354
; %bb.3347:                             ;   in Loop: Header=BB357_2083 Depth=1
	v_cmp_ne_u16_sdwa s4, v26, v115 src0_sel:BYTE_1 src1_sel:DWORD
	v_bfrev_b32_e32 v1, 1
	s_and_saveexec_b32 s19, s4
	s_cbranch_execz .LBB357_3353
; %bb.3348:                             ;   in Loop: Header=BB357_2083 Depth=1
	v_mov_b32_e32 v1, 0xffff
	s_mov_b32 s20, exec_lo
	v_and_b32_sdwa v11, v1, v26 dst_sel:DWORD dst_unused:UNUSED_PAD src0_sel:DWORD src1_sel:BYTE_1
	v_mov_b32_e32 v1, 0x7f800001
	v_and_b32_e32 v10, 0x7f, v11
	v_cmpx_ne_u32_e32 0x7f, v10
	s_cbranch_execz .LBB357_3352
; %bb.3349:                             ;   in Loop: Header=BB357_2083 Depth=1
	v_and_b32_e32 v13, 7, v11
	v_mov_b32_e32 v29, v14
	v_lshrrev_b32_e32 v1, 3, v10
	s_mov_b32 s21, exec_lo
	v_mov_b32_e32 v28, v13
	v_cmpx_gt_u32_e32 8, v10
; %bb.3350:                             ;   in Loop: Header=BB357_2083 Depth=1
	v_ffbh_u32_e32 v1, v13
	v_min_u32_e32 v1, 32, v1
	v_subrev_nc_u32_e32 v10, 28, v1
	v_sub_nc_u32_e32 v1, 29, v1
	v_lshlrev_b64 v[10:11], v10, v[13:14]
	v_and_b32_e32 v28, 7, v10
; %bb.3351:                             ;   in Loop: Header=BB357_2083 Depth=1
	s_or_b32 exec_lo, exec_lo, s21
	v_lshlrev_b32_e32 v10, 16, v26
	v_lshlrev_b32_e32 v11, 20, v28
	v_lshl_add_u32 v1, v1, 23, 0x3c000000
	v_and_b32_e32 v10, 0x80000000, v10
	v_or3_b32 v1, v11, v10, v1
.LBB357_3352:                           ;   in Loop: Header=BB357_2083 Depth=1
	s_or_b32 exec_lo, exec_lo, s20
.LBB357_3353:                           ;   in Loop: Header=BB357_2083 Depth=1
	s_or_b32 exec_lo, exec_lo, s19
.LBB357_3354:                           ;   in Loop: Header=BB357_2083 Depth=1
	s_or_b32 exec_lo, exec_lo, s18
	v_and_b32_sdwa v12, v26, v117 dst_sel:DWORD dst_unused:UNUSED_PAD src0_sel:WORD_1 src1_sel:DWORD
	v_mov_b32_e32 v11, 0
	v_mov_b32_e32 v10, 0
	s_mov_b32 s18, exec_lo
	v_cmpx_ne_u16_e32 0, v12
	s_cbranch_execz .LBB357_3362
; %bb.3355:                             ;   in Loop: Header=BB357_2083 Depth=1
	v_bfrev_b32_e32 v10, 1
	s_mov_b32 s19, exec_lo
	v_cmpx_ne_u16_e32 0x80, v12
	s_cbranch_execz .LBB357_3361
; %bb.3356:                             ;   in Loop: Header=BB357_2083 Depth=1
	v_bfe_u32 v12, v26, 16, 7
	v_mov_b32_e32 v10, 0x7f800001
	s_mov_b32 s20, exec_lo
	v_cmpx_ne_u32_e32 0x7f, v12
	s_cbranch_execz .LBB357_3360
; %bb.3357:                             ;   in Loop: Header=BB357_2083 Depth=1
	v_mov_b32_e32 v10, 7
	s_mov_b32 s21, exec_lo
	v_and_b32_sdwa v13, v26, v10 dst_sel:DWORD dst_unused:UNUSED_PAD src0_sel:WORD_1 src1_sel:DWORD
	v_mov_b32_e32 v29, v14
	v_lshrrev_b32_e32 v10, 3, v12
	v_mov_b32_e32 v28, v13
	v_cmpx_gt_u32_e32 8, v12
; %bb.3358:                             ;   in Loop: Header=BB357_2083 Depth=1
	v_ffbh_u32_e32 v10, v13
	v_min_u32_e32 v10, 32, v10
	v_subrev_nc_u32_e32 v12, 28, v10
	v_sub_nc_u32_e32 v10, 29, v10
	v_lshlrev_b64 v[12:13], v12, v[13:14]
	v_and_b32_e32 v28, 7, v12
; %bb.3359:                             ;   in Loop: Header=BB357_2083 Depth=1
	s_or_b32 exec_lo, exec_lo, s21
	v_mov_b32_e32 v12, 24
	v_lshlrev_b32_e32 v13, 20, v28
	v_lshl_add_u32 v10, v10, 23, 0x3c000000
	v_lshlrev_b32_sdwa v12, v12, v26 dst_sel:DWORD dst_unused:UNUSED_PAD src0_sel:DWORD src1_sel:WORD_1
	v_and_b32_e32 v12, 0x80000000, v12
	v_or3_b32 v10, v13, v12, v10
.LBB357_3360:                           ;   in Loop: Header=BB357_2083 Depth=1
	s_or_b32 exec_lo, exec_lo, s20
.LBB357_3361:                           ;   in Loop: Header=BB357_2083 Depth=1
	s_or_b32 exec_lo, exec_lo, s19
.LBB357_3362:                           ;   in Loop: Header=BB357_2083 Depth=1
	s_or_b32 exec_lo, exec_lo, s18
	s_mov_b32 s18, exec_lo
	v_cmpx_lt_u32_e32 0xffffff, v26
	s_cbranch_execz .LBB357_3370
; %bb.3363:                             ;   in Loop: Header=BB357_2083 Depth=1
	v_cmp_ne_u32_sdwa s4, v26, v115 src0_sel:BYTE_3 src1_sel:DWORD
	v_bfrev_b32_e32 v11, 1
	s_and_saveexec_b32 s19, s4
	s_cbranch_execz .LBB357_3369
; %bb.3364:                             ;   in Loop: Header=BB357_2083 Depth=1
	v_bfe_u32 v12, v26, 24, 7
	v_mov_b32_e32 v11, 0x7f800001
	s_mov_b32 s20, exec_lo
	v_cmpx_ne_u32_e32 0x7f, v12
	s_cbranch_execz .LBB357_3368
; %bb.3365:                             ;   in Loop: Header=BB357_2083 Depth=1
	v_mov_b32_e32 v11, 7
	s_mov_b32 s21, exec_lo
	v_and_b32_sdwa v13, v26, v11 dst_sel:DWORD dst_unused:UNUSED_PAD src0_sel:BYTE_3 src1_sel:DWORD
	v_mov_b32_e32 v29, v14
	v_lshrrev_b32_e32 v11, 3, v12
	v_mov_b32_e32 v28, v13
	v_cmpx_gt_u32_e32 8, v12
; %bb.3366:                             ;   in Loop: Header=BB357_2083 Depth=1
	v_ffbh_u32_e32 v11, v13
	v_min_u32_e32 v11, 32, v11
	v_subrev_nc_u32_e32 v12, 28, v11
	v_sub_nc_u32_e32 v11, 29, v11
	v_lshlrev_b64 v[12:13], v12, v[13:14]
	v_and_b32_e32 v28, 7, v12
; %bb.3367:                             ;   in Loop: Header=BB357_2083 Depth=1
	s_or_b32 exec_lo, exec_lo, s21
	v_mov_b32_e32 v12, 24
	v_lshlrev_b32_e32 v13, 20, v28
	v_lshl_add_u32 v11, v11, 23, 0x3c000000
	v_lshlrev_b32_sdwa v12, v12, v26 dst_sel:DWORD dst_unused:UNUSED_PAD src0_sel:DWORD src1_sel:BYTE_3
	v_and_b32_e32 v12, 0x80000000, v12
	v_or3_b32 v11, v13, v12, v11
.LBB357_3368:                           ;   in Loop: Header=BB357_2083 Depth=1
	s_or_b32 exec_lo, exec_lo, s20
.LBB357_3369:                           ;   in Loop: Header=BB357_2083 Depth=1
	s_or_b32 exec_lo, exec_lo, s19
.LBB357_3370:                           ;   in Loop: Header=BB357_2083 Depth=1
	s_or_b32 exec_lo, exec_lo, s18
	v_mov_b32_e32 v13, v27
	v_cmp_ne_u16_sdwa s4, v27, v14 src0_sel:BYTE_0 src1_sel:DWORD
	v_mov_b32_e32 v30, 0
	v_mov_b32_e32 v22, 0
	s_and_saveexec_b32 s18, s4
	s_cbranch_execz .LBB357_3378
; %bb.3371:                             ;   in Loop: Header=BB357_2083 Depth=1
	v_cmp_ne_u16_sdwa s4, v27, v115 src0_sel:BYTE_0 src1_sel:DWORD
	v_bfrev_b32_e32 v22, 1
	s_and_saveexec_b32 s19, s4
	s_cbranch_execz .LBB357_3377
; %bb.3372:                             ;   in Loop: Header=BB357_2083 Depth=1
	v_and_b32_e32 v21, 0x7f, v27
	v_mov_b32_e32 v22, 0x7f800001
	s_mov_b32 s20, exec_lo
	v_cmpx_ne_u32_e32 0x7f, v21
	s_cbranch_execz .LBB357_3376
; %bb.3373:                             ;   in Loop: Header=BB357_2083 Depth=1
	v_mov_b32_e32 v29, v14
	v_mov_b32_e32 v28, v13
	v_lshrrev_b32_e32 v12, 3, v21
	s_mov_b32 s21, exec_lo
	v_cmpx_gt_u32_e32 8, v21
; %bb.3374:                             ;   in Loop: Header=BB357_2083 Depth=1
	v_and_b32_e32 v12, 7, v27
	v_ffbh_u32_e32 v12, v12
	v_min_u32_e32 v12, 32, v12
	v_subrev_nc_u32_e32 v21, 28, v12
	v_sub_nc_u32_e32 v12, 29, v12
	v_lshlrev_b64 v[28:29], v21, v[13:14]
; %bb.3375:                             ;   in Loop: Header=BB357_2083 Depth=1
	s_or_b32 exec_lo, exec_lo, s21
	v_lshlrev_b32_e32 v21, 20, v28
	v_lshlrev_b32_e32 v22, 24, v13
	v_lshl_add_u32 v12, v12, 23, 0x3c000000
	v_and_b32_e32 v21, 0x700000, v21
	v_and_b32_e32 v22, 0x80000000, v22
	v_or3_b32 v22, v21, v22, v12
.LBB357_3376:                           ;   in Loop: Header=BB357_2083 Depth=1
	s_or_b32 exec_lo, exec_lo, s20
.LBB357_3377:                           ;   in Loop: Header=BB357_2083 Depth=1
	s_or_b32 exec_lo, exec_lo, s19
.LBB357_3378:                           ;   in Loop: Header=BB357_2083 Depth=1
	s_or_b32 exec_lo, exec_lo, s18
	v_cmp_ne_u16_sdwa s4, v13, v14 src0_sel:BYTE_1 src1_sel:DWORD
	s_and_saveexec_b32 s18, s4
	s_cbranch_execz .LBB357_3386
; %bb.3379:                             ;   in Loop: Header=BB357_2083 Depth=1
	v_cmp_ne_u16_sdwa s4, v13, v115 src0_sel:BYTE_1 src1_sel:DWORD
	v_bfrev_b32_e32 v30, 1
	s_and_saveexec_b32 s19, s4
	s_cbranch_execz .LBB357_3385
; %bb.3380:                             ;   in Loop: Header=BB357_2083 Depth=1
	v_mov_b32_e32 v12, 0xffff
	v_mov_b32_e32 v30, 0x7f800001
	s_mov_b32 s20, exec_lo
	v_and_b32_sdwa v12, v12, v13 dst_sel:DWORD dst_unused:UNUSED_PAD src0_sel:DWORD src1_sel:BYTE_1
	v_and_b32_e32 v21, 0x7f, v12
	v_cmpx_ne_u32_e32 0x7f, v21
	s_cbranch_execz .LBB357_3384
; %bb.3381:                             ;   in Loop: Header=BB357_2083 Depth=1
	v_and_b32_e32 v28, 7, v12
	v_mov_b32_e32 v29, v14
	v_lshrrev_b32_e32 v12, 3, v21
	s_mov_b32 s21, exec_lo
	v_cmpx_gt_u32_e32 8, v21
; %bb.3382:                             ;   in Loop: Header=BB357_2083 Depth=1
	v_ffbh_u32_e32 v12, v28
	v_min_u32_e32 v12, 32, v12
	v_subrev_nc_u32_e32 v21, 28, v12
	v_sub_nc_u32_e32 v12, 29, v12
	v_lshlrev_b64 v[28:29], v21, v[28:29]
	v_and_b32_e32 v28, 7, v28
; %bb.3383:                             ;   in Loop: Header=BB357_2083 Depth=1
	s_or_b32 exec_lo, exec_lo, s21
	v_lshlrev_b32_e32 v13, 16, v13
	v_lshlrev_b32_e32 v21, 20, v28
	v_lshl_add_u32 v12, v12, 23, 0x3c000000
	v_and_b32_e32 v13, 0x80000000, v13
	v_or3_b32 v30, v21, v13, v12
.LBB357_3384:                           ;   in Loop: Header=BB357_2083 Depth=1
	s_or_b32 exec_lo, exec_lo, s20
.LBB357_3385:                           ;   in Loop: Header=BB357_2083 Depth=1
	s_or_b32 exec_lo, exec_lo, s19
.LBB357_3386:                           ;   in Loop: Header=BB357_2083 Depth=1
	s_or_b32 exec_lo, exec_lo, s18
	v_and_b32_sdwa v13, v27, v117 dst_sel:DWORD dst_unused:UNUSED_PAD src0_sel:WORD_1 src1_sel:DWORD
	v_mov_b32_e32 v12, 0
	v_mov_b32_e32 v21, 0
	s_mov_b32 s18, exec_lo
	v_cmpx_ne_u16_e32 0, v13
	s_cbranch_execz .LBB357_3394
; %bb.3387:                             ;   in Loop: Header=BB357_2083 Depth=1
	v_bfrev_b32_e32 v21, 1
	s_mov_b32 s19, exec_lo
	v_cmpx_ne_u16_e32 0x80, v13
	s_cbranch_execz .LBB357_3393
; %bb.3388:                             ;   in Loop: Header=BB357_2083 Depth=1
	v_bfe_u32 v33, v27, 16, 7
	v_mov_b32_e32 v21, 0x7f800001
	s_mov_b32 s20, exec_lo
	v_cmpx_ne_u32_e32 0x7f, v33
	s_cbranch_execz .LBB357_3392
; %bb.3389:                             ;   in Loop: Header=BB357_2083 Depth=1
	v_mov_b32_e32 v13, 7
	v_lshrrev_b32_e32 v21, 3, v33
	s_mov_b32 s21, exec_lo
	v_and_b32_sdwa v13, v27, v13 dst_sel:DWORD dst_unused:UNUSED_PAD src0_sel:WORD_1 src1_sel:DWORD
	v_mov_b32_e32 v29, v14
	v_mov_b32_e32 v28, v13
	v_cmpx_gt_u32_e32 8, v33
; %bb.3390:                             ;   in Loop: Header=BB357_2083 Depth=1
	v_ffbh_u32_e32 v21, v13
	v_min_u32_e32 v21, 32, v21
	v_subrev_nc_u32_e32 v28, 28, v21
	v_sub_nc_u32_e32 v21, 29, v21
	v_lshlrev_b64 v[28:29], v28, v[13:14]
	v_and_b32_e32 v28, 7, v28
; %bb.3391:                             ;   in Loop: Header=BB357_2083 Depth=1
	s_or_b32 exec_lo, exec_lo, s21
	v_mov_b32_e32 v13, 24
	v_lshlrev_b32_e32 v28, 20, v28
	v_lshl_add_u32 v21, v21, 23, 0x3c000000
	v_lshlrev_b32_sdwa v13, v13, v27 dst_sel:DWORD dst_unused:UNUSED_PAD src0_sel:DWORD src1_sel:WORD_1
	v_and_b32_e32 v13, 0x80000000, v13
	v_or3_b32 v21, v28, v13, v21
.LBB357_3392:                           ;   in Loop: Header=BB357_2083 Depth=1
	s_or_b32 exec_lo, exec_lo, s20
.LBB357_3393:                           ;   in Loop: Header=BB357_2083 Depth=1
	s_or_b32 exec_lo, exec_lo, s19
.LBB357_3394:                           ;   in Loop: Header=BB357_2083 Depth=1
	s_or_b32 exec_lo, exec_lo, s18
	s_mov_b32 s18, exec_lo
	v_cmpx_lt_u64_e64 s[6:7], v[26:27]
	s_cbranch_execz .LBB357_3402
; %bb.3395:                             ;   in Loop: Header=BB357_2083 Depth=1
	v_cmp_ne_u32_sdwa s4, v27, v115 src0_sel:BYTE_3 src1_sel:DWORD
	v_bfrev_b32_e32 v12, 1
	s_and_saveexec_b32 s19, s4
	s_cbranch_execz .LBB357_3401
; %bb.3396:                             ;   in Loop: Header=BB357_2083 Depth=1
	v_bfe_u32 v26, v27, 24, 7
	v_mov_b32_e32 v12, 0x7f800001
	s_mov_b32 s20, exec_lo
	v_cmpx_ne_u32_e32 0x7f, v26
	s_cbranch_execz .LBB357_3400
; %bb.3397:                             ;   in Loop: Header=BB357_2083 Depth=1
	v_mov_b32_e32 v12, 7
	s_mov_b32 s21, exec_lo
	v_and_b32_sdwa v13, v27, v12 dst_sel:DWORD dst_unused:UNUSED_PAD src0_sel:BYTE_3 src1_sel:DWORD
	v_mov_b32_e32 v29, v14
	v_lshrrev_b32_e32 v12, 3, v26
	v_mov_b32_e32 v28, v13
	v_cmpx_gt_u32_e32 8, v26
; %bb.3398:                             ;   in Loop: Header=BB357_2083 Depth=1
	v_ffbh_u32_e32 v12, v13
	v_min_u32_e32 v12, 32, v12
	v_subrev_nc_u32_e32 v26, 28, v12
	v_sub_nc_u32_e32 v12, 29, v12
	v_lshlrev_b64 v[28:29], v26, v[13:14]
	v_and_b32_e32 v28, 7, v28
; %bb.3399:                             ;   in Loop: Header=BB357_2083 Depth=1
	s_or_b32 exec_lo, exec_lo, s21
	v_mov_b32_e32 v13, 24
	v_lshlrev_b32_e32 v26, 20, v28
	v_lshl_add_u32 v12, v12, 23, 0x3c000000
	v_lshlrev_b32_sdwa v13, v13, v27 dst_sel:DWORD dst_unused:UNUSED_PAD src0_sel:DWORD src1_sel:BYTE_3
	v_and_b32_e32 v13, 0x80000000, v13
	v_or3_b32 v12, v26, v13, v12
.LBB357_3400:                           ;   in Loop: Header=BB357_2083 Depth=1
	s_or_b32 exec_lo, exec_lo, s20
.LBB357_3401:                           ;   in Loop: Header=BB357_2083 Depth=1
	s_or_b32 exec_lo, exec_lo, s19
.LBB357_3402:                           ;   in Loop: Header=BB357_2083 Depth=1
	s_or_b32 exec_lo, exec_lo, s18
	v_mul_f32_e32 v13, v23, v30
	v_mul_f32_e32 v11, v23, v11
	;; [unrolled: 1-line block ×5, first 2 shown]
	v_bfe_u32 v26, v13, 16, 1
	v_or_b32_e32 v27, 0x400000, v13
	v_cmp_u_f32_e64 s4, v13, v13
	v_add3_u32 v26, v26, v13, 0x7fff
	v_cndmask_b32_e64 v13, v26, v27, s4
	v_lshrrev_b32_e32 v13, 16, v13
	buffer_store_dword v13, off, s[0:3], s32 offset:832 ; 4-byte Folded Spill
	v_mul_f32_e32 v13, v23, v22
	v_bfe_u32 v22, v13, 16, 1
	v_or_b32_e32 v26, 0x400000, v13
	v_cmp_u_f32_e64 s4, v13, v13
	v_add3_u32 v22, v22, v13, 0x7fff
	v_cndmask_b32_e64 v13, v22, v26, s4
	v_or_b32_e32 v22, 0x400000, v11
	v_cmp_u_f32_e64 s4, v11, v11
	v_lshrrev_b32_e32 v13, 16, v13
	buffer_store_dword v13, off, s[0:3], s32 offset:836 ; 4-byte Folded Spill
	v_bfe_u32 v13, v11, 16, 1
	v_add3_u32 v13, v13, v11, 0x7fff
	v_cndmask_b32_e64 v11, v13, v22, s4
	v_or_b32_e32 v13, 0x400000, v10
	v_cmp_u_f32_e64 s4, v10, v10
	v_lshrrev_b32_e32 v11, 16, v11
	buffer_store_dword v11, off, s[0:3], s32 offset:840 ; 4-byte Folded Spill
	v_bfe_u32 v11, v10, 16, 1
	;; [unrolled: 7-line block ×4, first 2 shown]
	v_add3_u32 v1, v1, v0, 0x7fff
	v_cndmask_b32_e64 v0, v1, v10, s4
	v_lshrrev_b32_e32 v84, 16, v0
	v_mul_f32_e32 v0, v23, v21
	v_bfe_u32 v1, v0, 16, 1
	v_or_b32_e32 v10, 0x400000, v0
	v_cmp_u_f32_e64 s4, v0, v0
	v_add3_u32 v1, v1, v0, 0x7fff
	v_cndmask_b32_e64 v0, v1, v10, s4
	v_lshrrev_b32_e32 v0, 16, v0
	buffer_store_dword v0, off, s[0:3], s32 offset:852 ; 4-byte Folded Spill
	v_mul_f32_e32 v0, v23, v12
	v_bfe_u32 v1, v0, 16, 1
	v_or_b32_e32 v10, 0x400000, v0
	v_cmp_u_f32_e64 s4, v0, v0
	v_add3_u32 v1, v1, v0, 0x7fff
	v_cndmask_b32_e64 v0, v1, v10, s4
	v_lshrrev_b32_e32 v85, 16, v0
	s_and_saveexec_b32 s18, vcc_lo
	s_cbranch_execz .LBB357_3404
; %bb.3403:                             ;   in Loop: Header=BB357_2083 Depth=1
	buffer_load_dword v0, off, s[0:3], s32 offset:848 ; 4-byte Folded Reload
	v_cmp_lt_i32_e64 s4, v102, v49
	v_cndmask_b32_e64 v84, 0, v84, s4
	v_cmp_lt_i32_e64 s4, v52, v49
	s_waitcnt vmcnt(0)
	v_cndmask_b32_e64 v0, 0, v0, s4
	v_cmp_lt_i32_e64 s4, v51, v49
	buffer_store_dword v0, off, s[0:3], s32 offset:848 ; 4-byte Folded Spill
	buffer_load_dword v0, off, s[0:3], s32 offset:844 ; 4-byte Folded Reload
	s_waitcnt vmcnt(0)
	v_cndmask_b32_e64 v0, 0, v0, s4
	v_cmp_lt_i32_e64 s4, v50, v49
	buffer_store_dword v0, off, s[0:3], s32 offset:844 ; 4-byte Folded Spill
	buffer_load_dword v0, off, s[0:3], s32 offset:840 ; 4-byte Folded Reload
	;; [unrolled: 5-line block ×5, first 2 shown]
	s_waitcnt vmcnt(0)
	v_cndmask_b32_e64 v0, 0, v0, s4
	v_cmp_lt_i32_e64 s4, v43, v49
	buffer_store_dword v0, off, s[0:3], s32 offset:852 ; 4-byte Folded Spill
	v_cndmask_b32_e64 v85, 0, v85, s4
.LBB357_3404:                           ;   in Loop: Header=BB357_2083 Depth=1
	s_or_b32 exec_lo, exec_lo, s18
	flat_load_dwordx2 v[26:27], v[24:25] offset:1024
	v_mov_b32_e32 v1, 0
	v_mov_b32_e32 v0, 0
	s_waitcnt vmcnt(0) lgkmcnt(0)
	v_cmp_ne_u16_sdwa s4, v26, v14 src0_sel:BYTE_0 src1_sel:DWORD
	s_and_saveexec_b32 s18, s4
	s_cbranch_execz .LBB357_3412
; %bb.3405:                             ;   in Loop: Header=BB357_2083 Depth=1
	v_cmp_ne_u16_sdwa s4, v26, v115 src0_sel:BYTE_0 src1_sel:DWORD
	v_bfrev_b32_e32 v0, 1
	s_and_saveexec_b32 s19, s4
	s_cbranch_execz .LBB357_3411
; %bb.3406:                             ;   in Loop: Header=BB357_2083 Depth=1
	v_and_b32_e32 v10, 0x7f, v26
	v_mov_b32_e32 v0, 0x7f800001
	s_mov_b32 s20, exec_lo
	v_cmpx_ne_u32_e32 0x7f, v10
	s_cbranch_execz .LBB357_3410
; %bb.3407:                             ;   in Loop: Header=BB357_2083 Depth=1
	v_mov_b32_e32 v29, v27
	v_lshrrev_b32_e32 v0, 3, v10
	v_mov_b32_e32 v28, v26
	s_mov_b32 s21, exec_lo
	v_cmpx_gt_u32_e32 8, v10
; %bb.3408:                             ;   in Loop: Header=BB357_2083 Depth=1
	v_and_b32_e32 v0, 7, v26
	v_ffbh_u32_e32 v0, v0
	v_min_u32_e32 v0, 32, v0
	v_subrev_nc_u32_e32 v10, 28, v0
	v_sub_nc_u32_e32 v0, 29, v0
	v_lshlrev_b64 v[28:29], v10, v[26:27]
; %bb.3409:                             ;   in Loop: Header=BB357_2083 Depth=1
	s_or_b32 exec_lo, exec_lo, s21
	v_lshlrev_b32_e32 v10, 20, v28
	v_lshlrev_b32_e32 v11, 24, v26
	v_lshl_add_u32 v0, v0, 23, 0x3c000000
	v_and_b32_e32 v10, 0x700000, v10
	v_and_b32_e32 v11, 0x80000000, v11
	v_or3_b32 v0, v10, v11, v0
.LBB357_3410:                           ;   in Loop: Header=BB357_2083 Depth=1
	s_or_b32 exec_lo, exec_lo, s20
.LBB357_3411:                           ;   in Loop: Header=BB357_2083 Depth=1
	s_or_b32 exec_lo, exec_lo, s19
.LBB357_3412:                           ;   in Loop: Header=BB357_2083 Depth=1
	s_or_b32 exec_lo, exec_lo, s18
	v_cmp_ne_u16_sdwa s4, v26, v14 src0_sel:BYTE_1 src1_sel:DWORD
	s_and_saveexec_b32 s18, s4
	s_cbranch_execz .LBB357_3420
; %bb.3413:                             ;   in Loop: Header=BB357_2083 Depth=1
	v_cmp_ne_u16_sdwa s4, v26, v115 src0_sel:BYTE_1 src1_sel:DWORD
	v_bfrev_b32_e32 v1, 1
	s_and_saveexec_b32 s19, s4
	s_cbranch_execz .LBB357_3419
; %bb.3414:                             ;   in Loop: Header=BB357_2083 Depth=1
	v_mov_b32_e32 v1, 0xffff
	s_mov_b32 s20, exec_lo
	v_and_b32_sdwa v11, v1, v26 dst_sel:DWORD dst_unused:UNUSED_PAD src0_sel:DWORD src1_sel:BYTE_1
	v_mov_b32_e32 v1, 0x7f800001
	v_and_b32_e32 v10, 0x7f, v11
	v_cmpx_ne_u32_e32 0x7f, v10
	s_cbranch_execz .LBB357_3418
; %bb.3415:                             ;   in Loop: Header=BB357_2083 Depth=1
	v_and_b32_e32 v13, 7, v11
	v_mov_b32_e32 v29, v14
	v_lshrrev_b32_e32 v1, 3, v10
	s_mov_b32 s21, exec_lo
	v_mov_b32_e32 v28, v13
	v_cmpx_gt_u32_e32 8, v10
; %bb.3416:                             ;   in Loop: Header=BB357_2083 Depth=1
	v_ffbh_u32_e32 v1, v13
	v_min_u32_e32 v1, 32, v1
	v_subrev_nc_u32_e32 v10, 28, v1
	v_sub_nc_u32_e32 v1, 29, v1
	v_lshlrev_b64 v[10:11], v10, v[13:14]
	v_and_b32_e32 v28, 7, v10
; %bb.3417:                             ;   in Loop: Header=BB357_2083 Depth=1
	s_or_b32 exec_lo, exec_lo, s21
	v_lshlrev_b32_e32 v10, 16, v26
	v_lshlrev_b32_e32 v11, 20, v28
	v_lshl_add_u32 v1, v1, 23, 0x3c000000
	v_and_b32_e32 v10, 0x80000000, v10
	v_or3_b32 v1, v11, v10, v1
.LBB357_3418:                           ;   in Loop: Header=BB357_2083 Depth=1
	s_or_b32 exec_lo, exec_lo, s20
.LBB357_3419:                           ;   in Loop: Header=BB357_2083 Depth=1
	s_or_b32 exec_lo, exec_lo, s19
.LBB357_3420:                           ;   in Loop: Header=BB357_2083 Depth=1
	s_or_b32 exec_lo, exec_lo, s18
	v_and_b32_sdwa v12, v26, v117 dst_sel:DWORD dst_unused:UNUSED_PAD src0_sel:WORD_1 src1_sel:DWORD
	v_mov_b32_e32 v11, 0
	v_mov_b32_e32 v10, 0
	s_mov_b32 s18, exec_lo
	v_cmpx_ne_u16_e32 0, v12
	s_cbranch_execz .LBB357_3428
; %bb.3421:                             ;   in Loop: Header=BB357_2083 Depth=1
	v_bfrev_b32_e32 v10, 1
	s_mov_b32 s19, exec_lo
	v_cmpx_ne_u16_e32 0x80, v12
	s_cbranch_execz .LBB357_3427
; %bb.3422:                             ;   in Loop: Header=BB357_2083 Depth=1
	v_bfe_u32 v12, v26, 16, 7
	v_mov_b32_e32 v10, 0x7f800001
	s_mov_b32 s20, exec_lo
	v_cmpx_ne_u32_e32 0x7f, v12
	s_cbranch_execz .LBB357_3426
; %bb.3423:                             ;   in Loop: Header=BB357_2083 Depth=1
	v_mov_b32_e32 v10, 7
	s_mov_b32 s21, exec_lo
	v_and_b32_sdwa v13, v26, v10 dst_sel:DWORD dst_unused:UNUSED_PAD src0_sel:WORD_1 src1_sel:DWORD
	v_mov_b32_e32 v29, v14
	v_lshrrev_b32_e32 v10, 3, v12
	v_mov_b32_e32 v28, v13
	v_cmpx_gt_u32_e32 8, v12
; %bb.3424:                             ;   in Loop: Header=BB357_2083 Depth=1
	v_ffbh_u32_e32 v10, v13
	v_min_u32_e32 v10, 32, v10
	v_subrev_nc_u32_e32 v12, 28, v10
	v_sub_nc_u32_e32 v10, 29, v10
	v_lshlrev_b64 v[12:13], v12, v[13:14]
	v_and_b32_e32 v28, 7, v12
; %bb.3425:                             ;   in Loop: Header=BB357_2083 Depth=1
	s_or_b32 exec_lo, exec_lo, s21
	v_mov_b32_e32 v12, 24
	v_lshlrev_b32_e32 v13, 20, v28
	v_lshl_add_u32 v10, v10, 23, 0x3c000000
	v_lshlrev_b32_sdwa v12, v12, v26 dst_sel:DWORD dst_unused:UNUSED_PAD src0_sel:DWORD src1_sel:WORD_1
	v_and_b32_e32 v12, 0x80000000, v12
	v_or3_b32 v10, v13, v12, v10
.LBB357_3426:                           ;   in Loop: Header=BB357_2083 Depth=1
	s_or_b32 exec_lo, exec_lo, s20
.LBB357_3427:                           ;   in Loop: Header=BB357_2083 Depth=1
	s_or_b32 exec_lo, exec_lo, s19
.LBB357_3428:                           ;   in Loop: Header=BB357_2083 Depth=1
	s_or_b32 exec_lo, exec_lo, s18
	s_mov_b32 s18, exec_lo
	v_cmpx_lt_u32_e32 0xffffff, v26
	s_cbranch_execz .LBB357_3436
; %bb.3429:                             ;   in Loop: Header=BB357_2083 Depth=1
	v_cmp_ne_u32_sdwa s4, v26, v115 src0_sel:BYTE_3 src1_sel:DWORD
	v_bfrev_b32_e32 v11, 1
	s_and_saveexec_b32 s19, s4
	s_cbranch_execz .LBB357_3435
; %bb.3430:                             ;   in Loop: Header=BB357_2083 Depth=1
	v_bfe_u32 v12, v26, 24, 7
	v_mov_b32_e32 v11, 0x7f800001
	s_mov_b32 s20, exec_lo
	v_cmpx_ne_u32_e32 0x7f, v12
	s_cbranch_execz .LBB357_3434
; %bb.3431:                             ;   in Loop: Header=BB357_2083 Depth=1
	v_mov_b32_e32 v11, 7
	s_mov_b32 s21, exec_lo
	v_and_b32_sdwa v13, v26, v11 dst_sel:DWORD dst_unused:UNUSED_PAD src0_sel:BYTE_3 src1_sel:DWORD
	v_mov_b32_e32 v29, v14
	v_lshrrev_b32_e32 v11, 3, v12
	v_mov_b32_e32 v28, v13
	v_cmpx_gt_u32_e32 8, v12
; %bb.3432:                             ;   in Loop: Header=BB357_2083 Depth=1
	v_ffbh_u32_e32 v11, v13
	v_min_u32_e32 v11, 32, v11
	v_subrev_nc_u32_e32 v12, 28, v11
	v_sub_nc_u32_e32 v11, 29, v11
	v_lshlrev_b64 v[12:13], v12, v[13:14]
	v_and_b32_e32 v28, 7, v12
; %bb.3433:                             ;   in Loop: Header=BB357_2083 Depth=1
	s_or_b32 exec_lo, exec_lo, s21
	v_mov_b32_e32 v12, 24
	v_lshlrev_b32_e32 v13, 20, v28
	v_lshl_add_u32 v11, v11, 23, 0x3c000000
	v_lshlrev_b32_sdwa v12, v12, v26 dst_sel:DWORD dst_unused:UNUSED_PAD src0_sel:DWORD src1_sel:BYTE_3
	v_and_b32_e32 v12, 0x80000000, v12
	v_or3_b32 v11, v13, v12, v11
.LBB357_3434:                           ;   in Loop: Header=BB357_2083 Depth=1
	s_or_b32 exec_lo, exec_lo, s20
.LBB357_3435:                           ;   in Loop: Header=BB357_2083 Depth=1
	s_or_b32 exec_lo, exec_lo, s19
.LBB357_3436:                           ;   in Loop: Header=BB357_2083 Depth=1
	s_or_b32 exec_lo, exec_lo, s18
	v_mov_b32_e32 v13, v27
	v_cmp_ne_u16_sdwa s4, v27, v14 src0_sel:BYTE_0 src1_sel:DWORD
	v_mov_b32_e32 v30, 0
	v_mov_b32_e32 v22, 0
	s_and_saveexec_b32 s18, s4
	s_cbranch_execz .LBB357_3444
; %bb.3437:                             ;   in Loop: Header=BB357_2083 Depth=1
	v_cmp_ne_u16_sdwa s4, v27, v115 src0_sel:BYTE_0 src1_sel:DWORD
	v_bfrev_b32_e32 v22, 1
	s_and_saveexec_b32 s19, s4
	s_cbranch_execz .LBB357_3443
; %bb.3438:                             ;   in Loop: Header=BB357_2083 Depth=1
	v_and_b32_e32 v21, 0x7f, v27
	v_mov_b32_e32 v22, 0x7f800001
	s_mov_b32 s20, exec_lo
	v_cmpx_ne_u32_e32 0x7f, v21
	s_cbranch_execz .LBB357_3442
; %bb.3439:                             ;   in Loop: Header=BB357_2083 Depth=1
	v_mov_b32_e32 v29, v14
	v_mov_b32_e32 v28, v13
	v_lshrrev_b32_e32 v12, 3, v21
	s_mov_b32 s21, exec_lo
	v_cmpx_gt_u32_e32 8, v21
; %bb.3440:                             ;   in Loop: Header=BB357_2083 Depth=1
	v_and_b32_e32 v12, 7, v27
	v_ffbh_u32_e32 v12, v12
	v_min_u32_e32 v12, 32, v12
	v_subrev_nc_u32_e32 v21, 28, v12
	v_sub_nc_u32_e32 v12, 29, v12
	v_lshlrev_b64 v[28:29], v21, v[13:14]
; %bb.3441:                             ;   in Loop: Header=BB357_2083 Depth=1
	s_or_b32 exec_lo, exec_lo, s21
	v_lshlrev_b32_e32 v21, 20, v28
	v_lshlrev_b32_e32 v22, 24, v13
	v_lshl_add_u32 v12, v12, 23, 0x3c000000
	v_and_b32_e32 v21, 0x700000, v21
	v_and_b32_e32 v22, 0x80000000, v22
	v_or3_b32 v22, v21, v22, v12
.LBB357_3442:                           ;   in Loop: Header=BB357_2083 Depth=1
	s_or_b32 exec_lo, exec_lo, s20
.LBB357_3443:                           ;   in Loop: Header=BB357_2083 Depth=1
	s_or_b32 exec_lo, exec_lo, s19
.LBB357_3444:                           ;   in Loop: Header=BB357_2083 Depth=1
	s_or_b32 exec_lo, exec_lo, s18
	v_cmp_ne_u16_sdwa s4, v13, v14 src0_sel:BYTE_1 src1_sel:DWORD
	s_and_saveexec_b32 s18, s4
	s_cbranch_execz .LBB357_3452
; %bb.3445:                             ;   in Loop: Header=BB357_2083 Depth=1
	v_cmp_ne_u16_sdwa s4, v13, v115 src0_sel:BYTE_1 src1_sel:DWORD
	v_bfrev_b32_e32 v30, 1
	s_and_saveexec_b32 s19, s4
	s_cbranch_execz .LBB357_3451
; %bb.3446:                             ;   in Loop: Header=BB357_2083 Depth=1
	v_mov_b32_e32 v12, 0xffff
	v_mov_b32_e32 v30, 0x7f800001
	s_mov_b32 s20, exec_lo
	v_and_b32_sdwa v12, v12, v13 dst_sel:DWORD dst_unused:UNUSED_PAD src0_sel:DWORD src1_sel:BYTE_1
	v_and_b32_e32 v21, 0x7f, v12
	v_cmpx_ne_u32_e32 0x7f, v21
	s_cbranch_execz .LBB357_3450
; %bb.3447:                             ;   in Loop: Header=BB357_2083 Depth=1
	v_and_b32_e32 v28, 7, v12
	v_mov_b32_e32 v29, v14
	v_lshrrev_b32_e32 v12, 3, v21
	s_mov_b32 s21, exec_lo
	v_cmpx_gt_u32_e32 8, v21
; %bb.3448:                             ;   in Loop: Header=BB357_2083 Depth=1
	v_ffbh_u32_e32 v12, v28
	v_min_u32_e32 v12, 32, v12
	v_subrev_nc_u32_e32 v21, 28, v12
	v_sub_nc_u32_e32 v12, 29, v12
	v_lshlrev_b64 v[28:29], v21, v[28:29]
	v_and_b32_e32 v28, 7, v28
; %bb.3449:                             ;   in Loop: Header=BB357_2083 Depth=1
	s_or_b32 exec_lo, exec_lo, s21
	v_lshlrev_b32_e32 v13, 16, v13
	v_lshlrev_b32_e32 v21, 20, v28
	v_lshl_add_u32 v12, v12, 23, 0x3c000000
	v_and_b32_e32 v13, 0x80000000, v13
	v_or3_b32 v30, v21, v13, v12
.LBB357_3450:                           ;   in Loop: Header=BB357_2083 Depth=1
	s_or_b32 exec_lo, exec_lo, s20
.LBB357_3451:                           ;   in Loop: Header=BB357_2083 Depth=1
	s_or_b32 exec_lo, exec_lo, s19
.LBB357_3452:                           ;   in Loop: Header=BB357_2083 Depth=1
	s_or_b32 exec_lo, exec_lo, s18
	v_and_b32_sdwa v13, v27, v117 dst_sel:DWORD dst_unused:UNUSED_PAD src0_sel:WORD_1 src1_sel:DWORD
	v_mov_b32_e32 v12, 0
	v_mov_b32_e32 v21, 0
	s_mov_b32 s18, exec_lo
	v_cmpx_ne_u16_e32 0, v13
	s_cbranch_execz .LBB357_3460
; %bb.3453:                             ;   in Loop: Header=BB357_2083 Depth=1
	v_bfrev_b32_e32 v21, 1
	s_mov_b32 s19, exec_lo
	v_cmpx_ne_u16_e32 0x80, v13
	s_cbranch_execz .LBB357_3459
; %bb.3454:                             ;   in Loop: Header=BB357_2083 Depth=1
	v_bfe_u32 v33, v27, 16, 7
	v_mov_b32_e32 v21, 0x7f800001
	s_mov_b32 s20, exec_lo
	v_cmpx_ne_u32_e32 0x7f, v33
	s_cbranch_execz .LBB357_3458
; %bb.3455:                             ;   in Loop: Header=BB357_2083 Depth=1
	v_mov_b32_e32 v13, 7
	v_lshrrev_b32_e32 v21, 3, v33
	s_mov_b32 s21, exec_lo
	v_and_b32_sdwa v13, v27, v13 dst_sel:DWORD dst_unused:UNUSED_PAD src0_sel:WORD_1 src1_sel:DWORD
	v_mov_b32_e32 v29, v14
	v_mov_b32_e32 v28, v13
	v_cmpx_gt_u32_e32 8, v33
; %bb.3456:                             ;   in Loop: Header=BB357_2083 Depth=1
	v_ffbh_u32_e32 v21, v13
	v_min_u32_e32 v21, 32, v21
	v_subrev_nc_u32_e32 v28, 28, v21
	v_sub_nc_u32_e32 v21, 29, v21
	v_lshlrev_b64 v[28:29], v28, v[13:14]
	v_and_b32_e32 v28, 7, v28
; %bb.3457:                             ;   in Loop: Header=BB357_2083 Depth=1
	s_or_b32 exec_lo, exec_lo, s21
	v_mov_b32_e32 v13, 24
	v_lshlrev_b32_e32 v28, 20, v28
	v_lshl_add_u32 v21, v21, 23, 0x3c000000
	v_lshlrev_b32_sdwa v13, v13, v27 dst_sel:DWORD dst_unused:UNUSED_PAD src0_sel:DWORD src1_sel:WORD_1
	v_and_b32_e32 v13, 0x80000000, v13
	v_or3_b32 v21, v28, v13, v21
.LBB357_3458:                           ;   in Loop: Header=BB357_2083 Depth=1
	s_or_b32 exec_lo, exec_lo, s20
.LBB357_3459:                           ;   in Loop: Header=BB357_2083 Depth=1
	s_or_b32 exec_lo, exec_lo, s19
.LBB357_3460:                           ;   in Loop: Header=BB357_2083 Depth=1
	s_or_b32 exec_lo, exec_lo, s18
	s_mov_b32 s18, exec_lo
	v_cmpx_lt_u64_e64 s[6:7], v[26:27]
	s_cbranch_execz .LBB357_3468
; %bb.3461:                             ;   in Loop: Header=BB357_2083 Depth=1
	v_cmp_ne_u32_sdwa s4, v27, v115 src0_sel:BYTE_3 src1_sel:DWORD
	v_bfrev_b32_e32 v12, 1
	s_and_saveexec_b32 s19, s4
	s_cbranch_execz .LBB357_3467
; %bb.3462:                             ;   in Loop: Header=BB357_2083 Depth=1
	v_bfe_u32 v26, v27, 24, 7
	v_mov_b32_e32 v12, 0x7f800001
	s_mov_b32 s20, exec_lo
	v_cmpx_ne_u32_e32 0x7f, v26
	s_cbranch_execz .LBB357_3466
; %bb.3463:                             ;   in Loop: Header=BB357_2083 Depth=1
	v_mov_b32_e32 v12, 7
	s_mov_b32 s21, exec_lo
	v_and_b32_sdwa v13, v27, v12 dst_sel:DWORD dst_unused:UNUSED_PAD src0_sel:BYTE_3 src1_sel:DWORD
	v_mov_b32_e32 v29, v14
	v_lshrrev_b32_e32 v12, 3, v26
	v_mov_b32_e32 v28, v13
	v_cmpx_gt_u32_e32 8, v26
; %bb.3464:                             ;   in Loop: Header=BB357_2083 Depth=1
	v_ffbh_u32_e32 v12, v13
	v_min_u32_e32 v12, 32, v12
	v_subrev_nc_u32_e32 v26, 28, v12
	v_sub_nc_u32_e32 v12, 29, v12
	v_lshlrev_b64 v[28:29], v26, v[13:14]
	v_and_b32_e32 v28, 7, v28
; %bb.3465:                             ;   in Loop: Header=BB357_2083 Depth=1
	s_or_b32 exec_lo, exec_lo, s21
	v_mov_b32_e32 v13, 24
	v_lshlrev_b32_e32 v26, 20, v28
	v_lshl_add_u32 v12, v12, 23, 0x3c000000
	v_lshlrev_b32_sdwa v13, v13, v27 dst_sel:DWORD dst_unused:UNUSED_PAD src0_sel:DWORD src1_sel:BYTE_3
	v_and_b32_e32 v13, 0x80000000, v13
	v_or3_b32 v12, v26, v13, v12
.LBB357_3466:                           ;   in Loop: Header=BB357_2083 Depth=1
	s_or_b32 exec_lo, exec_lo, s20
.LBB357_3467:                           ;   in Loop: Header=BB357_2083 Depth=1
	s_or_b32 exec_lo, exec_lo, s19
.LBB357_3468:                           ;   in Loop: Header=BB357_2083 Depth=1
	s_or_b32 exec_lo, exec_lo, s18
	v_mul_f32_e32 v13, v23, v30
	v_mul_f32_e32 v11, v23, v11
	;; [unrolled: 1-line block ×5, first 2 shown]
	v_bfe_u32 v26, v13, 16, 1
	v_or_b32_e32 v27, 0x400000, v13
	v_cmp_u_f32_e64 s4, v13, v13
	v_add3_u32 v26, v26, v13, 0x7fff
	v_cndmask_b32_e64 v13, v26, v27, s4
	v_lshrrev_b32_e32 v77, 16, v13
	v_mul_f32_e32 v13, v23, v22
	v_bfe_u32 v22, v13, 16, 1
	v_or_b32_e32 v26, 0x400000, v13
	v_cmp_u_f32_e64 s4, v13, v13
	v_add3_u32 v22, v22, v13, 0x7fff
	v_cndmask_b32_e64 v13, v22, v26, s4
	v_or_b32_e32 v22, 0x400000, v11
	v_cmp_u_f32_e64 s4, v11, v11
	v_lshrrev_b32_e32 v87, 16, v13
	v_bfe_u32 v13, v11, 16, 1
	v_add3_u32 v13, v13, v11, 0x7fff
	v_cndmask_b32_e64 v11, v13, v22, s4
	v_or_b32_e32 v13, 0x400000, v10
	v_cmp_u_f32_e64 s4, v10, v10
	v_lshrrev_b32_e32 v96, 16, v11
	v_bfe_u32 v11, v10, 16, 1
	;; [unrolled: 6-line block ×4, first 2 shown]
	v_add3_u32 v1, v1, v0, 0x7fff
	v_cndmask_b32_e64 v0, v1, v10, s4
	v_lshrrev_b32_e32 v100, 16, v0
	v_mul_f32_e32 v0, v23, v21
	v_bfe_u32 v1, v0, 16, 1
	v_or_b32_e32 v10, 0x400000, v0
	v_cmp_u_f32_e64 s4, v0, v0
	v_add3_u32 v1, v1, v0, 0x7fff
	v_cndmask_b32_e64 v0, v1, v10, s4
	v_lshrrev_b32_e32 v75, 16, v0
	v_mul_f32_e32 v0, v23, v12
	v_bfe_u32 v1, v0, 16, 1
	v_or_b32_e32 v10, 0x400000, v0
	v_cmp_u_f32_e64 s4, v0, v0
	v_add3_u32 v1, v1, v0, 0x7fff
	v_cndmask_b32_e64 v0, v1, v10, s4
	v_lshrrev_b32_e32 v21, 16, v0
	s_and_saveexec_b32 s18, vcc_lo
	s_cbranch_execz .LBB357_3470
; %bb.3469:                             ;   in Loop: Header=BB357_2083 Depth=1
	v_cmp_lt_i32_e64 s4, v102, v49
	v_cndmask_b32_e64 v100, 0, v100, s4
	v_cmp_lt_i32_e64 s4, v52, v49
	v_cndmask_b32_e64 v73, 0, v73, s4
	v_cmp_lt_i32_e64 s4, v51, v49
	v_cndmask_b32_e64 v113, 0, v113, s4
	v_cmp_lt_i32_e64 s4, v50, v49
	v_cndmask_b32_e64 v96, 0, v96, s4
	v_cmp_lt_i32_e64 s4, v32, v49
	v_cndmask_b32_e64 v87, 0, v87, s4
	v_cmp_lt_i32_e64 s4, v31, v49
	v_cndmask_b32_e64 v77, 0, v77, s4
	v_cmp_lt_i32_e64 s4, v18, v49
	v_cndmask_b32_e64 v75, 0, v75, s4
	v_cmp_lt_i32_e64 s4, v43, v49
	v_cndmask_b32_e64 v21, 0, v21, s4
.LBB357_3470:                           ;   in Loop: Header=BB357_2083 Depth=1
	s_or_b32 exec_lo, exec_lo, s18
	flat_load_dwordx2 v[26:27], v[24:25] offset:1280
	v_mov_b32_e32 v1, 0
	v_mov_b32_e32 v0, 0
	s_waitcnt vmcnt(0) lgkmcnt(0)
	v_cmp_ne_u16_sdwa s4, v26, v14 src0_sel:BYTE_0 src1_sel:DWORD
	s_and_saveexec_b32 s18, s4
	s_cbranch_execz .LBB357_3478
; %bb.3471:                             ;   in Loop: Header=BB357_2083 Depth=1
	v_cmp_ne_u16_sdwa s4, v26, v115 src0_sel:BYTE_0 src1_sel:DWORD
	v_bfrev_b32_e32 v0, 1
	s_and_saveexec_b32 s19, s4
	s_cbranch_execz .LBB357_3477
; %bb.3472:                             ;   in Loop: Header=BB357_2083 Depth=1
	v_and_b32_e32 v10, 0x7f, v26
	v_mov_b32_e32 v0, 0x7f800001
	s_mov_b32 s20, exec_lo
	v_cmpx_ne_u32_e32 0x7f, v10
	s_cbranch_execz .LBB357_3476
; %bb.3473:                             ;   in Loop: Header=BB357_2083 Depth=1
	v_mov_b32_e32 v29, v27
	v_lshrrev_b32_e32 v0, 3, v10
	v_mov_b32_e32 v28, v26
	s_mov_b32 s21, exec_lo
	v_cmpx_gt_u32_e32 8, v10
; %bb.3474:                             ;   in Loop: Header=BB357_2083 Depth=1
	v_and_b32_e32 v0, 7, v26
	v_ffbh_u32_e32 v0, v0
	v_min_u32_e32 v0, 32, v0
	v_subrev_nc_u32_e32 v10, 28, v0
	v_sub_nc_u32_e32 v0, 29, v0
	v_lshlrev_b64 v[28:29], v10, v[26:27]
; %bb.3475:                             ;   in Loop: Header=BB357_2083 Depth=1
	s_or_b32 exec_lo, exec_lo, s21
	v_lshlrev_b32_e32 v10, 20, v28
	v_lshlrev_b32_e32 v11, 24, v26
	v_lshl_add_u32 v0, v0, 23, 0x3c000000
	v_and_b32_e32 v10, 0x700000, v10
	v_and_b32_e32 v11, 0x80000000, v11
	v_or3_b32 v0, v10, v11, v0
.LBB357_3476:                           ;   in Loop: Header=BB357_2083 Depth=1
	s_or_b32 exec_lo, exec_lo, s20
.LBB357_3477:                           ;   in Loop: Header=BB357_2083 Depth=1
	s_or_b32 exec_lo, exec_lo, s19
.LBB357_3478:                           ;   in Loop: Header=BB357_2083 Depth=1
	s_or_b32 exec_lo, exec_lo, s18
	v_cmp_ne_u16_sdwa s4, v26, v14 src0_sel:BYTE_1 src1_sel:DWORD
	s_and_saveexec_b32 s18, s4
	s_cbranch_execz .LBB357_3486
; %bb.3479:                             ;   in Loop: Header=BB357_2083 Depth=1
	v_cmp_ne_u16_sdwa s4, v26, v115 src0_sel:BYTE_1 src1_sel:DWORD
	v_bfrev_b32_e32 v1, 1
	s_and_saveexec_b32 s19, s4
	s_cbranch_execz .LBB357_3485
; %bb.3480:                             ;   in Loop: Header=BB357_2083 Depth=1
	v_mov_b32_e32 v1, 0xffff
	s_mov_b32 s20, exec_lo
	v_and_b32_sdwa v11, v1, v26 dst_sel:DWORD dst_unused:UNUSED_PAD src0_sel:DWORD src1_sel:BYTE_1
	v_mov_b32_e32 v1, 0x7f800001
	v_and_b32_e32 v10, 0x7f, v11
	v_cmpx_ne_u32_e32 0x7f, v10
	s_cbranch_execz .LBB357_3484
; %bb.3481:                             ;   in Loop: Header=BB357_2083 Depth=1
	v_and_b32_e32 v13, 7, v11
	v_mov_b32_e32 v29, v14
	v_lshrrev_b32_e32 v1, 3, v10
	s_mov_b32 s21, exec_lo
	v_mov_b32_e32 v28, v13
	v_cmpx_gt_u32_e32 8, v10
; %bb.3482:                             ;   in Loop: Header=BB357_2083 Depth=1
	v_ffbh_u32_e32 v1, v13
	v_min_u32_e32 v1, 32, v1
	v_subrev_nc_u32_e32 v10, 28, v1
	v_sub_nc_u32_e32 v1, 29, v1
	v_lshlrev_b64 v[10:11], v10, v[13:14]
	v_and_b32_e32 v28, 7, v10
; %bb.3483:                             ;   in Loop: Header=BB357_2083 Depth=1
	s_or_b32 exec_lo, exec_lo, s21
	v_lshlrev_b32_e32 v10, 16, v26
	v_lshlrev_b32_e32 v11, 20, v28
	v_lshl_add_u32 v1, v1, 23, 0x3c000000
	v_and_b32_e32 v10, 0x80000000, v10
	v_or3_b32 v1, v11, v10, v1
.LBB357_3484:                           ;   in Loop: Header=BB357_2083 Depth=1
	s_or_b32 exec_lo, exec_lo, s20
.LBB357_3485:                           ;   in Loop: Header=BB357_2083 Depth=1
	s_or_b32 exec_lo, exec_lo, s19
.LBB357_3486:                           ;   in Loop: Header=BB357_2083 Depth=1
	s_or_b32 exec_lo, exec_lo, s18
	v_and_b32_sdwa v12, v26, v117 dst_sel:DWORD dst_unused:UNUSED_PAD src0_sel:WORD_1 src1_sel:DWORD
	v_mov_b32_e32 v11, 0
	v_mov_b32_e32 v10, 0
	s_mov_b32 s18, exec_lo
	v_cmpx_ne_u16_e32 0, v12
	s_cbranch_execz .LBB357_3494
; %bb.3487:                             ;   in Loop: Header=BB357_2083 Depth=1
	v_bfrev_b32_e32 v10, 1
	s_mov_b32 s19, exec_lo
	v_cmpx_ne_u16_e32 0x80, v12
	s_cbranch_execz .LBB357_3493
; %bb.3488:                             ;   in Loop: Header=BB357_2083 Depth=1
	v_bfe_u32 v12, v26, 16, 7
	v_mov_b32_e32 v10, 0x7f800001
	s_mov_b32 s20, exec_lo
	v_cmpx_ne_u32_e32 0x7f, v12
	s_cbranch_execz .LBB357_3492
; %bb.3489:                             ;   in Loop: Header=BB357_2083 Depth=1
	v_mov_b32_e32 v10, 7
	s_mov_b32 s21, exec_lo
	v_and_b32_sdwa v13, v26, v10 dst_sel:DWORD dst_unused:UNUSED_PAD src0_sel:WORD_1 src1_sel:DWORD
	v_mov_b32_e32 v29, v14
	v_lshrrev_b32_e32 v10, 3, v12
	v_mov_b32_e32 v28, v13
	v_cmpx_gt_u32_e32 8, v12
; %bb.3490:                             ;   in Loop: Header=BB357_2083 Depth=1
	v_ffbh_u32_e32 v10, v13
	v_min_u32_e32 v10, 32, v10
	v_subrev_nc_u32_e32 v12, 28, v10
	v_sub_nc_u32_e32 v10, 29, v10
	v_lshlrev_b64 v[12:13], v12, v[13:14]
	v_and_b32_e32 v28, 7, v12
; %bb.3491:                             ;   in Loop: Header=BB357_2083 Depth=1
	s_or_b32 exec_lo, exec_lo, s21
	v_mov_b32_e32 v12, 24
	v_lshlrev_b32_e32 v13, 20, v28
	v_lshl_add_u32 v10, v10, 23, 0x3c000000
	v_lshlrev_b32_sdwa v12, v12, v26 dst_sel:DWORD dst_unused:UNUSED_PAD src0_sel:DWORD src1_sel:WORD_1
	v_and_b32_e32 v12, 0x80000000, v12
	v_or3_b32 v10, v13, v12, v10
.LBB357_3492:                           ;   in Loop: Header=BB357_2083 Depth=1
	s_or_b32 exec_lo, exec_lo, s20
.LBB357_3493:                           ;   in Loop: Header=BB357_2083 Depth=1
	s_or_b32 exec_lo, exec_lo, s19
.LBB357_3494:                           ;   in Loop: Header=BB357_2083 Depth=1
	s_or_b32 exec_lo, exec_lo, s18
	s_mov_b32 s18, exec_lo
	v_cmpx_lt_u32_e32 0xffffff, v26
	s_cbranch_execz .LBB357_3502
; %bb.3495:                             ;   in Loop: Header=BB357_2083 Depth=1
	v_cmp_ne_u32_sdwa s4, v26, v115 src0_sel:BYTE_3 src1_sel:DWORD
	v_bfrev_b32_e32 v11, 1
	s_and_saveexec_b32 s19, s4
	s_cbranch_execz .LBB357_3501
; %bb.3496:                             ;   in Loop: Header=BB357_2083 Depth=1
	v_bfe_u32 v12, v26, 24, 7
	v_mov_b32_e32 v11, 0x7f800001
	s_mov_b32 s20, exec_lo
	v_cmpx_ne_u32_e32 0x7f, v12
	s_cbranch_execz .LBB357_3500
; %bb.3497:                             ;   in Loop: Header=BB357_2083 Depth=1
	v_mov_b32_e32 v11, 7
	s_mov_b32 s21, exec_lo
	v_and_b32_sdwa v13, v26, v11 dst_sel:DWORD dst_unused:UNUSED_PAD src0_sel:BYTE_3 src1_sel:DWORD
	v_mov_b32_e32 v29, v14
	v_lshrrev_b32_e32 v11, 3, v12
	v_mov_b32_e32 v28, v13
	v_cmpx_gt_u32_e32 8, v12
; %bb.3498:                             ;   in Loop: Header=BB357_2083 Depth=1
	v_ffbh_u32_e32 v11, v13
	v_min_u32_e32 v11, 32, v11
	v_subrev_nc_u32_e32 v12, 28, v11
	v_sub_nc_u32_e32 v11, 29, v11
	v_lshlrev_b64 v[12:13], v12, v[13:14]
	v_and_b32_e32 v28, 7, v12
; %bb.3499:                             ;   in Loop: Header=BB357_2083 Depth=1
	s_or_b32 exec_lo, exec_lo, s21
	v_mov_b32_e32 v12, 24
	v_lshlrev_b32_e32 v13, 20, v28
	v_lshl_add_u32 v11, v11, 23, 0x3c000000
	v_lshlrev_b32_sdwa v12, v12, v26 dst_sel:DWORD dst_unused:UNUSED_PAD src0_sel:DWORD src1_sel:BYTE_3
	v_and_b32_e32 v12, 0x80000000, v12
	v_or3_b32 v11, v13, v12, v11
.LBB357_3500:                           ;   in Loop: Header=BB357_2083 Depth=1
	s_or_b32 exec_lo, exec_lo, s20
.LBB357_3501:                           ;   in Loop: Header=BB357_2083 Depth=1
	s_or_b32 exec_lo, exec_lo, s19
.LBB357_3502:                           ;   in Loop: Header=BB357_2083 Depth=1
	s_or_b32 exec_lo, exec_lo, s18
	v_mov_b32_e32 v13, v27
	v_cmp_ne_u16_sdwa s4, v27, v14 src0_sel:BYTE_0 src1_sel:DWORD
	v_mov_b32_e32 v33, 0
	v_mov_b32_e32 v30, 0
	s_and_saveexec_b32 s18, s4
	s_cbranch_execz .LBB357_3510
; %bb.3503:                             ;   in Loop: Header=BB357_2083 Depth=1
	v_cmp_ne_u16_sdwa s4, v27, v115 src0_sel:BYTE_0 src1_sel:DWORD
	v_bfrev_b32_e32 v30, 1
	s_and_saveexec_b32 s19, s4
	s_cbranch_execz .LBB357_3509
; %bb.3504:                             ;   in Loop: Header=BB357_2083 Depth=1
	v_and_b32_e32 v22, 0x7f, v27
	v_mov_b32_e32 v30, 0x7f800001
	s_mov_b32 s20, exec_lo
	v_cmpx_ne_u32_e32 0x7f, v22
	s_cbranch_execz .LBB357_3508
; %bb.3505:                             ;   in Loop: Header=BB357_2083 Depth=1
	v_mov_b32_e32 v29, v14
	v_mov_b32_e32 v28, v13
	v_lshrrev_b32_e32 v12, 3, v22
	s_mov_b32 s21, exec_lo
	v_cmpx_gt_u32_e32 8, v22
; %bb.3506:                             ;   in Loop: Header=BB357_2083 Depth=1
	v_and_b32_e32 v12, 7, v27
	v_ffbh_u32_e32 v12, v12
	v_min_u32_e32 v12, 32, v12
	v_subrev_nc_u32_e32 v22, 28, v12
	v_sub_nc_u32_e32 v12, 29, v12
	v_lshlrev_b64 v[28:29], v22, v[13:14]
; %bb.3507:                             ;   in Loop: Header=BB357_2083 Depth=1
	s_or_b32 exec_lo, exec_lo, s21
	v_lshlrev_b32_e32 v22, 20, v28
	v_lshlrev_b32_e32 v28, 24, v13
	v_lshl_add_u32 v12, v12, 23, 0x3c000000
	v_and_b32_e32 v22, 0x700000, v22
	v_and_b32_e32 v28, 0x80000000, v28
	v_or3_b32 v30, v22, v28, v12
.LBB357_3508:                           ;   in Loop: Header=BB357_2083 Depth=1
	s_or_b32 exec_lo, exec_lo, s20
.LBB357_3509:                           ;   in Loop: Header=BB357_2083 Depth=1
	s_or_b32 exec_lo, exec_lo, s19
.LBB357_3510:                           ;   in Loop: Header=BB357_2083 Depth=1
	s_or_b32 exec_lo, exec_lo, s18
	v_cmp_ne_u16_sdwa s4, v13, v14 src0_sel:BYTE_1 src1_sel:DWORD
	s_and_saveexec_b32 s18, s4
	s_cbranch_execz .LBB357_3518
; %bb.3511:                             ;   in Loop: Header=BB357_2083 Depth=1
	v_cmp_ne_u16_sdwa s4, v13, v115 src0_sel:BYTE_1 src1_sel:DWORD
	v_bfrev_b32_e32 v33, 1
	s_and_saveexec_b32 s19, s4
	s_cbranch_execz .LBB357_3517
; %bb.3512:                             ;   in Loop: Header=BB357_2083 Depth=1
	v_mov_b32_e32 v12, 0xffff
	v_mov_b32_e32 v33, 0x7f800001
	s_mov_b32 s20, exec_lo
	v_and_b32_sdwa v12, v12, v13 dst_sel:DWORD dst_unused:UNUSED_PAD src0_sel:DWORD src1_sel:BYTE_1
	v_and_b32_e32 v22, 0x7f, v12
	v_cmpx_ne_u32_e32 0x7f, v22
	s_cbranch_execz .LBB357_3516
; %bb.3513:                             ;   in Loop: Header=BB357_2083 Depth=1
	v_and_b32_e32 v28, 7, v12
	v_mov_b32_e32 v29, v14
	v_lshrrev_b32_e32 v12, 3, v22
	s_mov_b32 s21, exec_lo
	v_cmpx_gt_u32_e32 8, v22
; %bb.3514:                             ;   in Loop: Header=BB357_2083 Depth=1
	v_ffbh_u32_e32 v12, v28
	v_min_u32_e32 v12, 32, v12
	v_subrev_nc_u32_e32 v22, 28, v12
	v_sub_nc_u32_e32 v12, 29, v12
	v_lshlrev_b64 v[28:29], v22, v[28:29]
	v_and_b32_e32 v28, 7, v28
; %bb.3515:                             ;   in Loop: Header=BB357_2083 Depth=1
	s_or_b32 exec_lo, exec_lo, s21
	v_lshlrev_b32_e32 v13, 16, v13
	v_lshlrev_b32_e32 v22, 20, v28
	v_lshl_add_u32 v12, v12, 23, 0x3c000000
	v_and_b32_e32 v13, 0x80000000, v13
	v_or3_b32 v33, v22, v13, v12
.LBB357_3516:                           ;   in Loop: Header=BB357_2083 Depth=1
	s_or_b32 exec_lo, exec_lo, s20
.LBB357_3517:                           ;   in Loop: Header=BB357_2083 Depth=1
	s_or_b32 exec_lo, exec_lo, s19
.LBB357_3518:                           ;   in Loop: Header=BB357_2083 Depth=1
	s_or_b32 exec_lo, exec_lo, s18
	v_and_b32_sdwa v13, v27, v117 dst_sel:DWORD dst_unused:UNUSED_PAD src0_sel:WORD_1 src1_sel:DWORD
	v_mov_b32_e32 v22, 0
	v_mov_b32_e32 v12, 0
	s_mov_b32 s18, exec_lo
	v_cmpx_ne_u16_e32 0, v13
	s_cbranch_execz .LBB357_3526
; %bb.3519:                             ;   in Loop: Header=BB357_2083 Depth=1
	v_bfrev_b32_e32 v12, 1
	s_mov_b32 s19, exec_lo
	v_cmpx_ne_u16_e32 0x80, v13
	s_cbranch_execz .LBB357_3525
; %bb.3520:                             ;   in Loop: Header=BB357_2083 Depth=1
	v_bfe_u32 v34, v27, 16, 7
	v_mov_b32_e32 v12, 0x7f800001
	s_mov_b32 s20, exec_lo
	v_cmpx_ne_u32_e32 0x7f, v34
	s_cbranch_execz .LBB357_3524
; %bb.3521:                             ;   in Loop: Header=BB357_2083 Depth=1
	v_mov_b32_e32 v12, 7
	s_mov_b32 s21, exec_lo
	v_and_b32_sdwa v13, v27, v12 dst_sel:DWORD dst_unused:UNUSED_PAD src0_sel:WORD_1 src1_sel:DWORD
	v_mov_b32_e32 v29, v14
	v_lshrrev_b32_e32 v12, 3, v34
	v_mov_b32_e32 v28, v13
	v_cmpx_gt_u32_e32 8, v34
; %bb.3522:                             ;   in Loop: Header=BB357_2083 Depth=1
	v_ffbh_u32_e32 v12, v13
	v_min_u32_e32 v12, 32, v12
	v_subrev_nc_u32_e32 v28, 28, v12
	v_sub_nc_u32_e32 v12, 29, v12
	v_lshlrev_b64 v[28:29], v28, v[13:14]
	v_and_b32_e32 v28, 7, v28
; %bb.3523:                             ;   in Loop: Header=BB357_2083 Depth=1
	s_or_b32 exec_lo, exec_lo, s21
	v_mov_b32_e32 v13, 24
	v_lshlrev_b32_e32 v28, 20, v28
	v_lshl_add_u32 v12, v12, 23, 0x3c000000
	v_lshlrev_b32_sdwa v13, v13, v27 dst_sel:DWORD dst_unused:UNUSED_PAD src0_sel:DWORD src1_sel:WORD_1
	v_and_b32_e32 v13, 0x80000000, v13
	v_or3_b32 v12, v28, v13, v12
.LBB357_3524:                           ;   in Loop: Header=BB357_2083 Depth=1
	s_or_b32 exec_lo, exec_lo, s20
.LBB357_3525:                           ;   in Loop: Header=BB357_2083 Depth=1
	s_or_b32 exec_lo, exec_lo, s19
.LBB357_3526:                           ;   in Loop: Header=BB357_2083 Depth=1
	s_or_b32 exec_lo, exec_lo, s18
	s_mov_b32 s18, exec_lo
	v_cmpx_lt_u64_e64 s[6:7], v[26:27]
	s_cbranch_execz .LBB357_3534
; %bb.3527:                             ;   in Loop: Header=BB357_2083 Depth=1
	v_cmp_ne_u32_sdwa s4, v27, v115 src0_sel:BYTE_3 src1_sel:DWORD
	v_bfrev_b32_e32 v22, 1
	s_and_saveexec_b32 s19, s4
	s_cbranch_execz .LBB357_3533
; %bb.3528:                             ;   in Loop: Header=BB357_2083 Depth=1
	v_bfe_u32 v26, v27, 24, 7
	v_mov_b32_e32 v22, 0x7f800001
	s_mov_b32 s20, exec_lo
	v_cmpx_ne_u32_e32 0x7f, v26
	s_cbranch_execz .LBB357_3532
; %bb.3529:                             ;   in Loop: Header=BB357_2083 Depth=1
	v_mov_b32_e32 v13, 7
	v_lshrrev_b32_e32 v22, 3, v26
	s_mov_b32 s21, exec_lo
	v_and_b32_sdwa v13, v27, v13 dst_sel:DWORD dst_unused:UNUSED_PAD src0_sel:BYTE_3 src1_sel:DWORD
	v_mov_b32_e32 v29, v14
	v_mov_b32_e32 v28, v13
	v_cmpx_gt_u32_e32 8, v26
; %bb.3530:                             ;   in Loop: Header=BB357_2083 Depth=1
	v_ffbh_u32_e32 v22, v13
	v_min_u32_e32 v22, 32, v22
	v_subrev_nc_u32_e32 v26, 28, v22
	v_sub_nc_u32_e32 v22, 29, v22
	v_lshlrev_b64 v[28:29], v26, v[13:14]
	v_and_b32_e32 v28, 7, v28
; %bb.3531:                             ;   in Loop: Header=BB357_2083 Depth=1
	s_or_b32 exec_lo, exec_lo, s21
	v_mov_b32_e32 v13, 24
	v_lshlrev_b32_e32 v26, 20, v28
	v_lshl_add_u32 v22, v22, 23, 0x3c000000
	v_lshlrev_b32_sdwa v13, v13, v27 dst_sel:DWORD dst_unused:UNUSED_PAD src0_sel:DWORD src1_sel:BYTE_3
	v_and_b32_e32 v13, 0x80000000, v13
	v_or3_b32 v22, v26, v13, v22
.LBB357_3532:                           ;   in Loop: Header=BB357_2083 Depth=1
	s_or_b32 exec_lo, exec_lo, s20
.LBB357_3533:                           ;   in Loop: Header=BB357_2083 Depth=1
	s_or_b32 exec_lo, exec_lo, s19
.LBB357_3534:                           ;   in Loop: Header=BB357_2083 Depth=1
	s_or_b32 exec_lo, exec_lo, s18
	v_mul_f32_e32 v13, v23, v33
	v_mul_f32_e32 v11, v23, v11
	;; [unrolled: 1-line block ×5, first 2 shown]
	v_bfe_u32 v26, v13, 16, 1
	v_or_b32_e32 v27, 0x400000, v13
	v_cmp_u_f32_e64 s4, v13, v13
	v_add3_u32 v26, v26, v13, 0x7fff
	v_cndmask_b32_e64 v13, v26, v27, s4
	v_lshrrev_b32_e32 v39, 16, v13
	v_mul_f32_e32 v13, v23, v30
	v_bfe_u32 v26, v13, 16, 1
	v_or_b32_e32 v27, 0x400000, v13
	v_cmp_u_f32_e64 s4, v13, v13
	v_add3_u32 v26, v26, v13, 0x7fff
	v_cndmask_b32_e64 v13, v26, v27, s4
	v_or_b32_e32 v26, 0x400000, v11
	v_cmp_u_f32_e64 s4, v11, v11
	v_lshrrev_b32_e32 v30, 16, v13
	v_bfe_u32 v13, v11, 16, 1
	v_add3_u32 v13, v13, v11, 0x7fff
	v_cndmask_b32_e64 v11, v13, v26, s4
	v_or_b32_e32 v13, 0x400000, v10
	v_cmp_u_f32_e64 s4, v10, v10
	v_lshrrev_b32_e32 v36, 16, v11
	v_bfe_u32 v11, v10, 16, 1
	;; [unrolled: 6-line block ×4, first 2 shown]
	v_add3_u32 v1, v1, v0, 0x7fff
	v_cndmask_b32_e64 v0, v1, v10, s4
	v_lshrrev_b32_e32 v86, 16, v0
	v_mul_f32_e32 v0, v23, v12
	v_bfe_u32 v1, v0, 16, 1
	v_or_b32_e32 v10, 0x400000, v0
	v_cmp_u_f32_e64 s4, v0, v0
	v_add3_u32 v1, v1, v0, 0x7fff
	v_cndmask_b32_e64 v0, v1, v10, s4
	v_lshrrev_b32_e32 v12, 16, v0
	v_mul_f32_e32 v0, v23, v22
	v_bfe_u32 v1, v0, 16, 1
	v_or_b32_e32 v10, 0x400000, v0
	v_cmp_u_f32_e64 s4, v0, v0
	v_add3_u32 v1, v1, v0, 0x7fff
	v_cndmask_b32_e64 v0, v1, v10, s4
	v_lshrrev_b32_e32 v38, 16, v0
	s_and_saveexec_b32 s18, vcc_lo
	s_cbranch_execz .LBB357_3536
; %bb.3535:                             ;   in Loop: Header=BB357_2083 Depth=1
	v_cmp_lt_i32_e64 s4, v102, v49
	v_cndmask_b32_e64 v86, 0, v86, s4
	v_cmp_lt_i32_e64 s4, v52, v49
	v_cndmask_b32_e64 v103, 0, v103, s4
	;; [unrolled: 2-line block ×8, first 2 shown]
.LBB357_3536:                           ;   in Loop: Header=BB357_2083 Depth=1
	s_or_b32 exec_lo, exec_lo, s18
	flat_load_dwordx2 v[26:27], v[24:25] offset:1536
	v_mov_b32_e32 v1, 0
	v_mov_b32_e32 v0, 0
	s_waitcnt vmcnt(0) lgkmcnt(0)
	v_cmp_ne_u16_sdwa s4, v26, v14 src0_sel:BYTE_0 src1_sel:DWORD
	s_and_saveexec_b32 s18, s4
	s_cbranch_execz .LBB357_3544
; %bb.3537:                             ;   in Loop: Header=BB357_2083 Depth=1
	v_cmp_ne_u16_sdwa s4, v26, v115 src0_sel:BYTE_0 src1_sel:DWORD
	v_bfrev_b32_e32 v0, 1
	s_and_saveexec_b32 s19, s4
	s_cbranch_execz .LBB357_3543
; %bb.3538:                             ;   in Loop: Header=BB357_2083 Depth=1
	v_and_b32_e32 v10, 0x7f, v26
	v_mov_b32_e32 v0, 0x7f800001
	s_mov_b32 s20, exec_lo
	v_cmpx_ne_u32_e32 0x7f, v10
	s_cbranch_execz .LBB357_3542
; %bb.3539:                             ;   in Loop: Header=BB357_2083 Depth=1
	v_mov_b32_e32 v29, v27
	v_lshrrev_b32_e32 v0, 3, v10
	v_mov_b32_e32 v28, v26
	s_mov_b32 s21, exec_lo
	v_cmpx_gt_u32_e32 8, v10
; %bb.3540:                             ;   in Loop: Header=BB357_2083 Depth=1
	v_and_b32_e32 v0, 7, v26
	v_ffbh_u32_e32 v0, v0
	v_min_u32_e32 v0, 32, v0
	v_subrev_nc_u32_e32 v10, 28, v0
	v_sub_nc_u32_e32 v0, 29, v0
	v_lshlrev_b64 v[28:29], v10, v[26:27]
; %bb.3541:                             ;   in Loop: Header=BB357_2083 Depth=1
	s_or_b32 exec_lo, exec_lo, s21
	v_lshlrev_b32_e32 v10, 20, v28
	v_lshlrev_b32_e32 v11, 24, v26
	v_lshl_add_u32 v0, v0, 23, 0x3c000000
	v_and_b32_e32 v10, 0x700000, v10
	v_and_b32_e32 v11, 0x80000000, v11
	v_or3_b32 v0, v10, v11, v0
.LBB357_3542:                           ;   in Loop: Header=BB357_2083 Depth=1
	s_or_b32 exec_lo, exec_lo, s20
.LBB357_3543:                           ;   in Loop: Header=BB357_2083 Depth=1
	s_or_b32 exec_lo, exec_lo, s19
.LBB357_3544:                           ;   in Loop: Header=BB357_2083 Depth=1
	s_or_b32 exec_lo, exec_lo, s18
	v_cmp_ne_u16_sdwa s4, v26, v14 src0_sel:BYTE_1 src1_sel:DWORD
	s_and_saveexec_b32 s18, s4
	s_cbranch_execz .LBB357_3552
; %bb.3545:                             ;   in Loop: Header=BB357_2083 Depth=1
	v_cmp_ne_u16_sdwa s4, v26, v115 src0_sel:BYTE_1 src1_sel:DWORD
	v_bfrev_b32_e32 v1, 1
	s_and_saveexec_b32 s19, s4
	s_cbranch_execz .LBB357_3551
; %bb.3546:                             ;   in Loop: Header=BB357_2083 Depth=1
	v_mov_b32_e32 v1, 0xffff
	s_mov_b32 s20, exec_lo
	v_and_b32_sdwa v11, v1, v26 dst_sel:DWORD dst_unused:UNUSED_PAD src0_sel:DWORD src1_sel:BYTE_1
	v_mov_b32_e32 v1, 0x7f800001
	v_and_b32_e32 v10, 0x7f, v11
	v_cmpx_ne_u32_e32 0x7f, v10
	s_cbranch_execz .LBB357_3550
; %bb.3547:                             ;   in Loop: Header=BB357_2083 Depth=1
	v_and_b32_e32 v13, 7, v11
	v_mov_b32_e32 v29, v14
	v_lshrrev_b32_e32 v1, 3, v10
	s_mov_b32 s21, exec_lo
	v_mov_b32_e32 v28, v13
	v_cmpx_gt_u32_e32 8, v10
; %bb.3548:                             ;   in Loop: Header=BB357_2083 Depth=1
	v_ffbh_u32_e32 v1, v13
	v_min_u32_e32 v1, 32, v1
	v_subrev_nc_u32_e32 v10, 28, v1
	v_sub_nc_u32_e32 v1, 29, v1
	v_lshlrev_b64 v[10:11], v10, v[13:14]
	v_and_b32_e32 v28, 7, v10
; %bb.3549:                             ;   in Loop: Header=BB357_2083 Depth=1
	s_or_b32 exec_lo, exec_lo, s21
	v_lshlrev_b32_e32 v10, 16, v26
	v_lshlrev_b32_e32 v11, 20, v28
	v_lshl_add_u32 v1, v1, 23, 0x3c000000
	v_and_b32_e32 v10, 0x80000000, v10
	v_or3_b32 v1, v11, v10, v1
.LBB357_3550:                           ;   in Loop: Header=BB357_2083 Depth=1
	s_or_b32 exec_lo, exec_lo, s20
.LBB357_3551:                           ;   in Loop: Header=BB357_2083 Depth=1
	s_or_b32 exec_lo, exec_lo, s19
.LBB357_3552:                           ;   in Loop: Header=BB357_2083 Depth=1
	s_or_b32 exec_lo, exec_lo, s18
	v_and_b32_sdwa v13, v26, v117 dst_sel:DWORD dst_unused:UNUSED_PAD src0_sel:WORD_1 src1_sel:DWORD
	v_mov_b32_e32 v11, 0
	v_mov_b32_e32 v10, 0
	s_mov_b32 s18, exec_lo
	v_cmpx_ne_u16_e32 0, v13
	s_cbranch_execz .LBB357_3560
; %bb.3553:                             ;   in Loop: Header=BB357_2083 Depth=1
	v_bfrev_b32_e32 v10, 1
	s_mov_b32 s19, exec_lo
	v_cmpx_ne_u16_e32 0x80, v13
	s_cbranch_execz .LBB357_3559
; %bb.3554:                             ;   in Loop: Header=BB357_2083 Depth=1
	v_bfe_u32 v22, v26, 16, 7
	v_mov_b32_e32 v10, 0x7f800001
	s_mov_b32 s20, exec_lo
	v_cmpx_ne_u32_e32 0x7f, v22
	s_cbranch_execz .LBB357_3558
; %bb.3555:                             ;   in Loop: Header=BB357_2083 Depth=1
	v_mov_b32_e32 v10, 7
	s_mov_b32 s21, exec_lo
	v_and_b32_sdwa v13, v26, v10 dst_sel:DWORD dst_unused:UNUSED_PAD src0_sel:WORD_1 src1_sel:DWORD
	v_mov_b32_e32 v29, v14
	v_lshrrev_b32_e32 v10, 3, v22
	v_mov_b32_e32 v28, v13
	v_cmpx_gt_u32_e32 8, v22
; %bb.3556:                             ;   in Loop: Header=BB357_2083 Depth=1
	v_ffbh_u32_e32 v10, v13
	v_min_u32_e32 v10, 32, v10
	v_subrev_nc_u32_e32 v22, 28, v10
	v_sub_nc_u32_e32 v10, 29, v10
	v_lshlrev_b64 v[28:29], v22, v[13:14]
	v_and_b32_e32 v28, 7, v28
; %bb.3557:                             ;   in Loop: Header=BB357_2083 Depth=1
	s_or_b32 exec_lo, exec_lo, s21
	v_mov_b32_e32 v13, 24
	v_lshlrev_b32_e32 v22, 20, v28
	v_lshl_add_u32 v10, v10, 23, 0x3c000000
	v_lshlrev_b32_sdwa v13, v13, v26 dst_sel:DWORD dst_unused:UNUSED_PAD src0_sel:DWORD src1_sel:WORD_1
	v_and_b32_e32 v13, 0x80000000, v13
	v_or3_b32 v10, v22, v13, v10
.LBB357_3558:                           ;   in Loop: Header=BB357_2083 Depth=1
	s_or_b32 exec_lo, exec_lo, s20
.LBB357_3559:                           ;   in Loop: Header=BB357_2083 Depth=1
	s_or_b32 exec_lo, exec_lo, s19
.LBB357_3560:                           ;   in Loop: Header=BB357_2083 Depth=1
	s_or_b32 exec_lo, exec_lo, s18
	s_mov_b32 s18, exec_lo
	v_cmpx_lt_u32_e32 0xffffff, v26
	s_cbranch_execz .LBB357_3568
; %bb.3561:                             ;   in Loop: Header=BB357_2083 Depth=1
	v_cmp_ne_u32_sdwa s4, v26, v115 src0_sel:BYTE_3 src1_sel:DWORD
	v_bfrev_b32_e32 v11, 1
	s_and_saveexec_b32 s19, s4
	s_cbranch_execz .LBB357_3567
; %bb.3562:                             ;   in Loop: Header=BB357_2083 Depth=1
	v_bfe_u32 v22, v26, 24, 7
	v_mov_b32_e32 v11, 0x7f800001
	s_mov_b32 s20, exec_lo
	v_cmpx_ne_u32_e32 0x7f, v22
	s_cbranch_execz .LBB357_3566
; %bb.3563:                             ;   in Loop: Header=BB357_2083 Depth=1
	v_mov_b32_e32 v11, 7
	s_mov_b32 s21, exec_lo
	v_and_b32_sdwa v13, v26, v11 dst_sel:DWORD dst_unused:UNUSED_PAD src0_sel:BYTE_3 src1_sel:DWORD
	v_mov_b32_e32 v29, v14
	v_lshrrev_b32_e32 v11, 3, v22
	v_mov_b32_e32 v28, v13
	v_cmpx_gt_u32_e32 8, v22
; %bb.3564:                             ;   in Loop: Header=BB357_2083 Depth=1
	v_ffbh_u32_e32 v11, v13
	v_min_u32_e32 v11, 32, v11
	v_subrev_nc_u32_e32 v22, 28, v11
	v_sub_nc_u32_e32 v11, 29, v11
	v_lshlrev_b64 v[28:29], v22, v[13:14]
	v_and_b32_e32 v28, 7, v28
; %bb.3565:                             ;   in Loop: Header=BB357_2083 Depth=1
	s_or_b32 exec_lo, exec_lo, s21
	v_mov_b32_e32 v13, 24
	v_lshlrev_b32_e32 v22, 20, v28
	v_lshl_add_u32 v11, v11, 23, 0x3c000000
	v_lshlrev_b32_sdwa v13, v13, v26 dst_sel:DWORD dst_unused:UNUSED_PAD src0_sel:DWORD src1_sel:BYTE_3
	v_and_b32_e32 v13, 0x80000000, v13
	v_or3_b32 v11, v22, v13, v11
.LBB357_3566:                           ;   in Loop: Header=BB357_2083 Depth=1
	s_or_b32 exec_lo, exec_lo, s20
.LBB357_3567:                           ;   in Loop: Header=BB357_2083 Depth=1
	s_or_b32 exec_lo, exec_lo, s19
.LBB357_3568:                           ;   in Loop: Header=BB357_2083 Depth=1
	s_or_b32 exec_lo, exec_lo, s18
	v_mov_b32_e32 v13, v27
	v_cmp_ne_u16_sdwa s4, v27, v14 src0_sel:BYTE_0 src1_sel:DWORD
	v_mov_b32_e32 v35, 0
	v_mov_b32_e32 v34, 0
	s_and_saveexec_b32 s18, s4
	s_cbranch_execz .LBB357_3576
; %bb.3569:                             ;   in Loop: Header=BB357_2083 Depth=1
	v_cmp_ne_u16_sdwa s4, v27, v115 src0_sel:BYTE_0 src1_sel:DWORD
	v_bfrev_b32_e32 v34, 1
	s_and_saveexec_b32 s19, s4
	s_cbranch_execz .LBB357_3575
; %bb.3570:                             ;   in Loop: Header=BB357_2083 Depth=1
	v_and_b32_e32 v33, 0x7f, v27
	v_mov_b32_e32 v34, 0x7f800001
	s_mov_b32 s20, exec_lo
	v_cmpx_ne_u32_e32 0x7f, v33
	s_cbranch_execz .LBB357_3574
; %bb.3571:                             ;   in Loop: Header=BB357_2083 Depth=1
	v_mov_b32_e32 v29, v14
	v_mov_b32_e32 v28, v13
	v_lshrrev_b32_e32 v22, 3, v33
	s_mov_b32 s21, exec_lo
	v_cmpx_gt_u32_e32 8, v33
; %bb.3572:                             ;   in Loop: Header=BB357_2083 Depth=1
	v_and_b32_e32 v22, 7, v27
	v_ffbh_u32_e32 v22, v22
	v_min_u32_e32 v22, 32, v22
	v_subrev_nc_u32_e32 v28, 28, v22
	v_sub_nc_u32_e32 v22, 29, v22
	v_lshlrev_b64 v[28:29], v28, v[13:14]
; %bb.3573:                             ;   in Loop: Header=BB357_2083 Depth=1
	s_or_b32 exec_lo, exec_lo, s21
	v_lshlrev_b32_e32 v28, 20, v28
	v_lshlrev_b32_e32 v29, 24, v13
	v_lshl_add_u32 v22, v22, 23, 0x3c000000
	v_and_b32_e32 v28, 0x700000, v28
	v_and_b32_e32 v29, 0x80000000, v29
	v_or3_b32 v34, v28, v29, v22
.LBB357_3574:                           ;   in Loop: Header=BB357_2083 Depth=1
	s_or_b32 exec_lo, exec_lo, s20
.LBB357_3575:                           ;   in Loop: Header=BB357_2083 Depth=1
	s_or_b32 exec_lo, exec_lo, s19
.LBB357_3576:                           ;   in Loop: Header=BB357_2083 Depth=1
	s_or_b32 exec_lo, exec_lo, s18
	v_cmp_ne_u16_sdwa s4, v13, v14 src0_sel:BYTE_1 src1_sel:DWORD
	s_and_saveexec_b32 s18, s4
	s_cbranch_execz .LBB357_3584
; %bb.3577:                             ;   in Loop: Header=BB357_2083 Depth=1
	v_cmp_ne_u16_sdwa s4, v13, v115 src0_sel:BYTE_1 src1_sel:DWORD
	v_bfrev_b32_e32 v35, 1
	s_and_saveexec_b32 s19, s4
	s_cbranch_execz .LBB357_3583
; %bb.3578:                             ;   in Loop: Header=BB357_2083 Depth=1
	v_mov_b32_e32 v22, 0xffff
	v_mov_b32_e32 v35, 0x7f800001
	s_mov_b32 s20, exec_lo
	v_and_b32_sdwa v22, v22, v13 dst_sel:DWORD dst_unused:UNUSED_PAD src0_sel:DWORD src1_sel:BYTE_1
	v_and_b32_e32 v33, 0x7f, v22
	v_cmpx_ne_u32_e32 0x7f, v33
	s_cbranch_execz .LBB357_3582
; %bb.3579:                             ;   in Loop: Header=BB357_2083 Depth=1
	v_and_b32_e32 v28, 7, v22
	v_mov_b32_e32 v29, v14
	v_lshrrev_b32_e32 v22, 3, v33
	s_mov_b32 s21, exec_lo
	v_cmpx_gt_u32_e32 8, v33
; %bb.3580:                             ;   in Loop: Header=BB357_2083 Depth=1
	v_ffbh_u32_e32 v22, v28
	v_min_u32_e32 v22, 32, v22
	v_subrev_nc_u32_e32 v33, 28, v22
	v_sub_nc_u32_e32 v22, 29, v22
	v_lshlrev_b64 v[28:29], v33, v[28:29]
	v_and_b32_e32 v28, 7, v28
; %bb.3581:                             ;   in Loop: Header=BB357_2083 Depth=1
	s_or_b32 exec_lo, exec_lo, s21
	v_lshlrev_b32_e32 v13, 16, v13
	v_lshlrev_b32_e32 v28, 20, v28
	v_lshl_add_u32 v22, v22, 23, 0x3c000000
	v_and_b32_e32 v13, 0x80000000, v13
	v_or3_b32 v35, v28, v13, v22
.LBB357_3582:                           ;   in Loop: Header=BB357_2083 Depth=1
	s_or_b32 exec_lo, exec_lo, s20
.LBB357_3583:                           ;   in Loop: Header=BB357_2083 Depth=1
	s_or_b32 exec_lo, exec_lo, s19
.LBB357_3584:                           ;   in Loop: Header=BB357_2083 Depth=1
	s_or_b32 exec_lo, exec_lo, s18
	v_and_b32_sdwa v13, v27, v117 dst_sel:DWORD dst_unused:UNUSED_PAD src0_sel:WORD_1 src1_sel:DWORD
	v_mov_b32_e32 v22, 0
	v_mov_b32_e32 v33, 0
	s_mov_b32 s18, exec_lo
	v_cmpx_ne_u16_e32 0, v13
	s_cbranch_execz .LBB357_3592
; %bb.3585:                             ;   in Loop: Header=BB357_2083 Depth=1
	v_bfrev_b32_e32 v33, 1
	s_mov_b32 s19, exec_lo
	v_cmpx_ne_u16_e32 0x80, v13
	s_cbranch_execz .LBB357_3591
; %bb.3586:                             ;   in Loop: Header=BB357_2083 Depth=1
	v_bfe_u32 v37, v27, 16, 7
	v_mov_b32_e32 v33, 0x7f800001
	s_mov_b32 s20, exec_lo
	v_cmpx_ne_u32_e32 0x7f, v37
	s_cbranch_execz .LBB357_3590
; %bb.3587:                             ;   in Loop: Header=BB357_2083 Depth=1
	v_mov_b32_e32 v13, 7
	s_mov_b32 s21, exec_lo
	v_and_b32_sdwa v13, v27, v13 dst_sel:DWORD dst_unused:UNUSED_PAD src0_sel:WORD_1 src1_sel:DWORD
	v_mov_b32_e32 v29, v14
	v_lshrrev_b32_e32 v29, 3, v37
	v_mov_b32_e32 v28, v13
	v_cmpx_gt_u32_e32 8, v37
; %bb.3588:                             ;   in Loop: Header=BB357_2083 Depth=1
	v_ffbh_u32_e32 v28, v13
	v_min_u32_e32 v33, 32, v28
	v_subrev_nc_u32_e32 v28, 28, v33
	v_lshlrev_b64 v[28:29], v28, v[13:14]
	v_sub_nc_u32_e32 v29, 29, v33
	v_and_b32_e32 v28, 7, v28
; %bb.3589:                             ;   in Loop: Header=BB357_2083 Depth=1
	s_or_b32 exec_lo, exec_lo, s21
	v_mov_b32_e32 v13, 24
	v_lshlrev_b32_e32 v28, 20, v28
	v_lshl_add_u32 v29, v29, 23, 0x3c000000
	v_lshlrev_b32_sdwa v13, v13, v27 dst_sel:DWORD dst_unused:UNUSED_PAD src0_sel:DWORD src1_sel:WORD_1
	v_and_b32_e32 v13, 0x80000000, v13
	v_or3_b32 v33, v28, v13, v29
.LBB357_3590:                           ;   in Loop: Header=BB357_2083 Depth=1
	s_or_b32 exec_lo, exec_lo, s20
.LBB357_3591:                           ;   in Loop: Header=BB357_2083 Depth=1
	s_or_b32 exec_lo, exec_lo, s19
.LBB357_3592:                           ;   in Loop: Header=BB357_2083 Depth=1
	s_or_b32 exec_lo, exec_lo, s18
	s_mov_b32 s18, exec_lo
	v_cmpx_lt_u64_e64 s[6:7], v[26:27]
	s_cbranch_execz .LBB357_3600
; %bb.3593:                             ;   in Loop: Header=BB357_2083 Depth=1
	v_cmp_ne_u32_sdwa s4, v27, v115 src0_sel:BYTE_3 src1_sel:DWORD
	v_bfrev_b32_e32 v22, 1
	s_and_saveexec_b32 s19, s4
	s_cbranch_execz .LBB357_3599
; %bb.3594:                             ;   in Loop: Header=BB357_2083 Depth=1
	v_bfe_u32 v26, v27, 24, 7
	v_mov_b32_e32 v22, 0x7f800001
	s_mov_b32 s20, exec_lo
	v_cmpx_ne_u32_e32 0x7f, v26
	s_cbranch_execz .LBB357_3598
; %bb.3595:                             ;   in Loop: Header=BB357_2083 Depth=1
	v_mov_b32_e32 v13, 7
	v_lshrrev_b32_e32 v22, 3, v26
	s_mov_b32 s21, exec_lo
	v_and_b32_sdwa v13, v27, v13 dst_sel:DWORD dst_unused:UNUSED_PAD src0_sel:BYTE_3 src1_sel:DWORD
	v_mov_b32_e32 v29, v14
	v_mov_b32_e32 v28, v13
	v_cmpx_gt_u32_e32 8, v26
; %bb.3596:                             ;   in Loop: Header=BB357_2083 Depth=1
	v_ffbh_u32_e32 v22, v13
	v_min_u32_e32 v22, 32, v22
	v_subrev_nc_u32_e32 v26, 28, v22
	v_sub_nc_u32_e32 v22, 29, v22
	v_lshlrev_b64 v[28:29], v26, v[13:14]
	v_and_b32_e32 v28, 7, v28
; %bb.3597:                             ;   in Loop: Header=BB357_2083 Depth=1
	s_or_b32 exec_lo, exec_lo, s21
	v_mov_b32_e32 v13, 24
	v_lshlrev_b32_e32 v26, 20, v28
	v_lshl_add_u32 v22, v22, 23, 0x3c000000
	v_lshlrev_b32_sdwa v13, v13, v27 dst_sel:DWORD dst_unused:UNUSED_PAD src0_sel:DWORD src1_sel:BYTE_3
	v_and_b32_e32 v13, 0x80000000, v13
	v_or3_b32 v22, v26, v13, v22
.LBB357_3598:                           ;   in Loop: Header=BB357_2083 Depth=1
	s_or_b32 exec_lo, exec_lo, s20
.LBB357_3599:                           ;   in Loop: Header=BB357_2083 Depth=1
	s_or_b32 exec_lo, exec_lo, s19
.LBB357_3600:                           ;   in Loop: Header=BB357_2083 Depth=1
	s_or_b32 exec_lo, exec_lo, s18
	v_mul_f32_e32 v13, v23, v35
	v_mul_f32_e32 v11, v23, v11
	;; [unrolled: 1-line block ×5, first 2 shown]
	v_bfe_u32 v26, v13, 16, 1
	v_or_b32_e32 v27, 0x400000, v13
	v_cmp_u_f32_e64 s4, v13, v13
	v_add3_u32 v26, v26, v13, 0x7fff
	v_cndmask_b32_e64 v13, v26, v27, s4
	v_lshrrev_b32_e32 v28, 16, v13
	v_mul_f32_e32 v13, v23, v34
	v_bfe_u32 v26, v13, 16, 1
	v_or_b32_e32 v27, 0x400000, v13
	v_cmp_u_f32_e64 s4, v13, v13
	v_add3_u32 v26, v26, v13, 0x7fff
	v_cndmask_b32_e64 v13, v26, v27, s4
	v_or_b32_e32 v26, 0x400000, v11
	v_cmp_u_f32_e64 s4, v11, v11
	v_lshrrev_b32_e32 v29, 16, v13
	v_bfe_u32 v13, v11, 16, 1
	v_add3_u32 v13, v13, v11, 0x7fff
	v_cndmask_b32_e64 v11, v13, v26, s4
	v_or_b32_e32 v13, 0x400000, v10
	v_cmp_u_f32_e64 s4, v10, v10
	v_lshrrev_b32_e32 v44, 16, v11
	v_bfe_u32 v11, v10, 16, 1
	;; [unrolled: 6-line block ×4, first 2 shown]
	v_add3_u32 v1, v1, v0, 0x7fff
	v_cndmask_b32_e64 v0, v1, v10, s4
	v_lshrrev_b32_e32 v56, 16, v0
	v_mul_f32_e32 v0, v23, v33
	v_bfe_u32 v1, v0, 16, 1
	v_or_b32_e32 v10, 0x400000, v0
	v_cmp_u_f32_e64 s4, v0, v0
	v_add3_u32 v1, v1, v0, 0x7fff
	v_cndmask_b32_e64 v0, v1, v10, s4
	v_lshrrev_b32_e32 v47, 16, v0
	v_mul_f32_e32 v0, v23, v22
	v_bfe_u32 v1, v0, 16, 1
	v_or_b32_e32 v10, 0x400000, v0
	v_cmp_u_f32_e64 s4, v0, v0
	v_add3_u32 v1, v1, v0, 0x7fff
	v_cndmask_b32_e64 v0, v1, v10, s4
	v_lshrrev_b32_e32 v57, 16, v0
	s_and_saveexec_b32 s18, vcc_lo
	s_cbranch_execz .LBB357_3602
; %bb.3601:                             ;   in Loop: Header=BB357_2083 Depth=1
	v_cmp_lt_i32_e64 s4, v102, v49
	v_cndmask_b32_e64 v56, 0, v56, s4
	v_cmp_lt_i32_e64 s4, v52, v49
	v_cndmask_b32_e64 v46, 0, v46, s4
	;; [unrolled: 2-line block ×8, first 2 shown]
.LBB357_3602:                           ;   in Loop: Header=BB357_2083 Depth=1
	s_or_b32 exec_lo, exec_lo, s18
	flat_load_dwordx2 v[24:25], v[24:25] offset:1792
	v_mov_b32_e32 v1, 0
	v_mov_b32_e32 v0, 0
	s_waitcnt vmcnt(0) lgkmcnt(0)
	v_cmp_ne_u16_sdwa s4, v24, v14 src0_sel:BYTE_0 src1_sel:DWORD
	s_and_saveexec_b32 s18, s4
	s_cbranch_execz .LBB357_3610
; %bb.3603:                             ;   in Loop: Header=BB357_2083 Depth=1
	v_cmp_ne_u16_sdwa s4, v24, v115 src0_sel:BYTE_0 src1_sel:DWORD
	v_bfrev_b32_e32 v0, 1
	s_and_saveexec_b32 s19, s4
	s_cbranch_execz .LBB357_3609
; %bb.3604:                             ;   in Loop: Header=BB357_2083 Depth=1
	v_and_b32_e32 v10, 0x7f, v24
	v_mov_b32_e32 v0, 0x7f800001
	s_mov_b32 s20, exec_lo
	v_cmpx_ne_u32_e32 0x7f, v10
	s_cbranch_execz .LBB357_3608
; %bb.3605:                             ;   in Loop: Header=BB357_2083 Depth=1
	v_mov_b32_e32 v27, v25
	v_lshrrev_b32_e32 v0, 3, v10
	v_mov_b32_e32 v26, v24
	s_mov_b32 s21, exec_lo
	v_cmpx_gt_u32_e32 8, v10
; %bb.3606:                             ;   in Loop: Header=BB357_2083 Depth=1
	v_and_b32_e32 v0, 7, v24
	v_ffbh_u32_e32 v0, v0
	v_min_u32_e32 v0, 32, v0
	v_subrev_nc_u32_e32 v10, 28, v0
	v_sub_nc_u32_e32 v0, 29, v0
	v_lshlrev_b64 v[26:27], v10, v[24:25]
; %bb.3607:                             ;   in Loop: Header=BB357_2083 Depth=1
	s_or_b32 exec_lo, exec_lo, s21
	v_lshlrev_b32_e32 v10, 20, v26
	v_lshlrev_b32_e32 v11, 24, v24
	v_lshl_add_u32 v0, v0, 23, 0x3c000000
	v_and_b32_e32 v10, 0x700000, v10
	v_and_b32_e32 v11, 0x80000000, v11
	v_or3_b32 v0, v10, v11, v0
.LBB357_3608:                           ;   in Loop: Header=BB357_2083 Depth=1
	s_or_b32 exec_lo, exec_lo, s20
.LBB357_3609:                           ;   in Loop: Header=BB357_2083 Depth=1
	s_or_b32 exec_lo, exec_lo, s19
.LBB357_3610:                           ;   in Loop: Header=BB357_2083 Depth=1
	s_or_b32 exec_lo, exec_lo, s18
	v_cmp_ne_u16_sdwa s4, v24, v14 src0_sel:BYTE_1 src1_sel:DWORD
	s_and_saveexec_b32 s18, s4
	s_cbranch_execz .LBB357_3618
; %bb.3611:                             ;   in Loop: Header=BB357_2083 Depth=1
	v_cmp_ne_u16_sdwa s4, v24, v115 src0_sel:BYTE_1 src1_sel:DWORD
	v_bfrev_b32_e32 v1, 1
	s_and_saveexec_b32 s19, s4
	s_cbranch_execz .LBB357_3617
; %bb.3612:                             ;   in Loop: Header=BB357_2083 Depth=1
	v_mov_b32_e32 v1, 0xffff
	s_mov_b32 s20, exec_lo
	v_and_b32_sdwa v11, v1, v24 dst_sel:DWORD dst_unused:UNUSED_PAD src0_sel:DWORD src1_sel:BYTE_1
	v_mov_b32_e32 v1, 0x7f800001
	v_and_b32_e32 v10, 0x7f, v11
	v_cmpx_ne_u32_e32 0x7f, v10
	s_cbranch_execz .LBB357_3616
; %bb.3613:                             ;   in Loop: Header=BB357_2083 Depth=1
	v_and_b32_e32 v13, 7, v11
	v_mov_b32_e32 v27, v14
	v_lshrrev_b32_e32 v1, 3, v10
	s_mov_b32 s21, exec_lo
	v_mov_b32_e32 v26, v13
	v_cmpx_gt_u32_e32 8, v10
; %bb.3614:                             ;   in Loop: Header=BB357_2083 Depth=1
	v_ffbh_u32_e32 v1, v13
	v_min_u32_e32 v1, 32, v1
	v_subrev_nc_u32_e32 v10, 28, v1
	v_sub_nc_u32_e32 v1, 29, v1
	v_lshlrev_b64 v[10:11], v10, v[13:14]
	v_and_b32_e32 v26, 7, v10
; %bb.3615:                             ;   in Loop: Header=BB357_2083 Depth=1
	s_or_b32 exec_lo, exec_lo, s21
	v_lshlrev_b32_e32 v10, 16, v24
	v_lshlrev_b32_e32 v11, 20, v26
	v_lshl_add_u32 v1, v1, 23, 0x3c000000
	v_and_b32_e32 v10, 0x80000000, v10
	v_or3_b32 v1, v11, v10, v1
.LBB357_3616:                           ;   in Loop: Header=BB357_2083 Depth=1
	s_or_b32 exec_lo, exec_lo, s20
.LBB357_3617:                           ;   in Loop: Header=BB357_2083 Depth=1
	s_or_b32 exec_lo, exec_lo, s19
.LBB357_3618:                           ;   in Loop: Header=BB357_2083 Depth=1
	s_or_b32 exec_lo, exec_lo, s18
	v_and_b32_sdwa v13, v24, v117 dst_sel:DWORD dst_unused:UNUSED_PAD src0_sel:WORD_1 src1_sel:DWORD
	v_mov_b32_e32 v11, 0
	v_mov_b32_e32 v10, 0
	s_mov_b32 s18, exec_lo
	v_cmpx_ne_u16_e32 0, v13
	s_cbranch_execz .LBB357_3626
; %bb.3619:                             ;   in Loop: Header=BB357_2083 Depth=1
	v_bfrev_b32_e32 v10, 1
	s_mov_b32 s19, exec_lo
	v_cmpx_ne_u16_e32 0x80, v13
	s_cbranch_execz .LBB357_3625
; %bb.3620:                             ;   in Loop: Header=BB357_2083 Depth=1
	v_bfe_u32 v22, v24, 16, 7
	v_mov_b32_e32 v10, 0x7f800001
	s_mov_b32 s20, exec_lo
	v_cmpx_ne_u32_e32 0x7f, v22
	s_cbranch_execz .LBB357_3624
; %bb.3621:                             ;   in Loop: Header=BB357_2083 Depth=1
	v_mov_b32_e32 v10, 7
	s_mov_b32 s21, exec_lo
	v_and_b32_sdwa v13, v24, v10 dst_sel:DWORD dst_unused:UNUSED_PAD src0_sel:WORD_1 src1_sel:DWORD
	v_mov_b32_e32 v27, v14
	v_lshrrev_b32_e32 v10, 3, v22
	v_mov_b32_e32 v26, v13
	v_cmpx_gt_u32_e32 8, v22
; %bb.3622:                             ;   in Loop: Header=BB357_2083 Depth=1
	v_ffbh_u32_e32 v10, v13
	v_min_u32_e32 v10, 32, v10
	v_subrev_nc_u32_e32 v22, 28, v10
	v_sub_nc_u32_e32 v10, 29, v10
	v_lshlrev_b64 v[26:27], v22, v[13:14]
	v_and_b32_e32 v26, 7, v26
; %bb.3623:                             ;   in Loop: Header=BB357_2083 Depth=1
	s_or_b32 exec_lo, exec_lo, s21
	v_mov_b32_e32 v13, 24
	v_lshlrev_b32_e32 v22, 20, v26
	v_lshl_add_u32 v10, v10, 23, 0x3c000000
	v_lshlrev_b32_sdwa v13, v13, v24 dst_sel:DWORD dst_unused:UNUSED_PAD src0_sel:DWORD src1_sel:WORD_1
	v_and_b32_e32 v13, 0x80000000, v13
	v_or3_b32 v10, v22, v13, v10
.LBB357_3624:                           ;   in Loop: Header=BB357_2083 Depth=1
	s_or_b32 exec_lo, exec_lo, s20
.LBB357_3625:                           ;   in Loop: Header=BB357_2083 Depth=1
	s_or_b32 exec_lo, exec_lo, s19
.LBB357_3626:                           ;   in Loop: Header=BB357_2083 Depth=1
	s_or_b32 exec_lo, exec_lo, s18
	s_mov_b32 s18, exec_lo
	v_cmpx_lt_u32_e32 0xffffff, v24
	s_cbranch_execz .LBB357_3634
; %bb.3627:                             ;   in Loop: Header=BB357_2083 Depth=1
	v_cmp_ne_u32_sdwa s4, v24, v115 src0_sel:BYTE_3 src1_sel:DWORD
	v_bfrev_b32_e32 v11, 1
	s_and_saveexec_b32 s19, s4
	s_cbranch_execz .LBB357_3633
; %bb.3628:                             ;   in Loop: Header=BB357_2083 Depth=1
	v_bfe_u32 v22, v24, 24, 7
	v_mov_b32_e32 v11, 0x7f800001
	s_mov_b32 s20, exec_lo
	v_cmpx_ne_u32_e32 0x7f, v22
	s_cbranch_execz .LBB357_3632
; %bb.3629:                             ;   in Loop: Header=BB357_2083 Depth=1
	v_mov_b32_e32 v11, 7
	s_mov_b32 s21, exec_lo
	v_and_b32_sdwa v13, v24, v11 dst_sel:DWORD dst_unused:UNUSED_PAD src0_sel:BYTE_3 src1_sel:DWORD
	v_mov_b32_e32 v27, v14
	v_lshrrev_b32_e32 v11, 3, v22
	v_mov_b32_e32 v26, v13
	v_cmpx_gt_u32_e32 8, v22
; %bb.3630:                             ;   in Loop: Header=BB357_2083 Depth=1
	v_ffbh_u32_e32 v11, v13
	v_min_u32_e32 v11, 32, v11
	v_subrev_nc_u32_e32 v22, 28, v11
	v_sub_nc_u32_e32 v11, 29, v11
	v_lshlrev_b64 v[26:27], v22, v[13:14]
	v_and_b32_e32 v26, 7, v26
; %bb.3631:                             ;   in Loop: Header=BB357_2083 Depth=1
	s_or_b32 exec_lo, exec_lo, s21
	v_mov_b32_e32 v13, 24
	v_lshlrev_b32_e32 v22, 20, v26
	v_lshl_add_u32 v11, v11, 23, 0x3c000000
	v_lshlrev_b32_sdwa v13, v13, v24 dst_sel:DWORD dst_unused:UNUSED_PAD src0_sel:DWORD src1_sel:BYTE_3
	v_and_b32_e32 v13, 0x80000000, v13
	v_or3_b32 v11, v22, v13, v11
.LBB357_3632:                           ;   in Loop: Header=BB357_2083 Depth=1
	s_or_b32 exec_lo, exec_lo, s20
.LBB357_3633:                           ;   in Loop: Header=BB357_2083 Depth=1
	s_or_b32 exec_lo, exec_lo, s19
.LBB357_3634:                           ;   in Loop: Header=BB357_2083 Depth=1
	s_or_b32 exec_lo, exec_lo, s18
	v_mov_b32_e32 v13, v25
	v_cmp_ne_u16_sdwa s4, v25, v14 src0_sel:BYTE_0 src1_sel:DWORD
	v_mov_b32_e32 v35, 0
	v_mov_b32_e32 v34, 0
	s_and_saveexec_b32 s18, s4
	s_cbranch_execz .LBB357_3642
; %bb.3635:                             ;   in Loop: Header=BB357_2083 Depth=1
	v_cmp_ne_u16_sdwa s4, v25, v115 src0_sel:BYTE_0 src1_sel:DWORD
	v_bfrev_b32_e32 v34, 1
	s_and_saveexec_b32 s19, s4
	s_cbranch_execz .LBB357_3641
; %bb.3636:                             ;   in Loop: Header=BB357_2083 Depth=1
	v_and_b32_e32 v33, 0x7f, v25
	v_mov_b32_e32 v34, 0x7f800001
	s_mov_b32 s20, exec_lo
	v_cmpx_ne_u32_e32 0x7f, v33
	s_cbranch_execz .LBB357_3640
; %bb.3637:                             ;   in Loop: Header=BB357_2083 Depth=1
	v_mov_b32_e32 v27, v14
	v_mov_b32_e32 v26, v13
	v_lshrrev_b32_e32 v22, 3, v33
	s_mov_b32 s21, exec_lo
	v_cmpx_gt_u32_e32 8, v33
; %bb.3638:                             ;   in Loop: Header=BB357_2083 Depth=1
	v_and_b32_e32 v22, 7, v25
	v_ffbh_u32_e32 v22, v22
	v_min_u32_e32 v22, 32, v22
	v_subrev_nc_u32_e32 v26, 28, v22
	v_sub_nc_u32_e32 v22, 29, v22
	v_lshlrev_b64 v[26:27], v26, v[13:14]
; %bb.3639:                             ;   in Loop: Header=BB357_2083 Depth=1
	s_or_b32 exec_lo, exec_lo, s21
	v_lshlrev_b32_e32 v26, 20, v26
	v_lshlrev_b32_e32 v27, 24, v13
	v_lshl_add_u32 v22, v22, 23, 0x3c000000
	v_and_b32_e32 v26, 0x700000, v26
	v_and_b32_e32 v27, 0x80000000, v27
	v_or3_b32 v34, v26, v27, v22
.LBB357_3640:                           ;   in Loop: Header=BB357_2083 Depth=1
	s_or_b32 exec_lo, exec_lo, s20
.LBB357_3641:                           ;   in Loop: Header=BB357_2083 Depth=1
	s_or_b32 exec_lo, exec_lo, s19
.LBB357_3642:                           ;   in Loop: Header=BB357_2083 Depth=1
	s_or_b32 exec_lo, exec_lo, s18
	v_cmp_ne_u16_sdwa s4, v13, v14 src0_sel:BYTE_1 src1_sel:DWORD
	s_and_saveexec_b32 s18, s4
	s_cbranch_execz .LBB357_3650
; %bb.3643:                             ;   in Loop: Header=BB357_2083 Depth=1
	v_cmp_ne_u16_sdwa s4, v13, v115 src0_sel:BYTE_1 src1_sel:DWORD
	v_bfrev_b32_e32 v35, 1
	s_and_saveexec_b32 s19, s4
	s_cbranch_execz .LBB357_3649
; %bb.3644:                             ;   in Loop: Header=BB357_2083 Depth=1
	v_mov_b32_e32 v22, 0xffff
	v_mov_b32_e32 v35, 0x7f800001
	s_mov_b32 s20, exec_lo
	v_and_b32_sdwa v22, v22, v13 dst_sel:DWORD dst_unused:UNUSED_PAD src0_sel:DWORD src1_sel:BYTE_1
	v_and_b32_e32 v33, 0x7f, v22
	v_cmpx_ne_u32_e32 0x7f, v33
	s_cbranch_execz .LBB357_3648
; %bb.3645:                             ;   in Loop: Header=BB357_2083 Depth=1
	v_and_b32_e32 v26, 7, v22
	v_mov_b32_e32 v27, v14
	v_lshrrev_b32_e32 v22, 3, v33
	s_mov_b32 s21, exec_lo
	v_cmpx_gt_u32_e32 8, v33
; %bb.3646:                             ;   in Loop: Header=BB357_2083 Depth=1
	v_ffbh_u32_e32 v22, v26
	v_min_u32_e32 v22, 32, v22
	v_subrev_nc_u32_e32 v33, 28, v22
	v_sub_nc_u32_e32 v22, 29, v22
	v_lshlrev_b64 v[26:27], v33, v[26:27]
	v_and_b32_e32 v26, 7, v26
; %bb.3647:                             ;   in Loop: Header=BB357_2083 Depth=1
	s_or_b32 exec_lo, exec_lo, s21
	v_lshlrev_b32_e32 v13, 16, v13
	v_lshlrev_b32_e32 v26, 20, v26
	v_lshl_add_u32 v22, v22, 23, 0x3c000000
	v_and_b32_e32 v13, 0x80000000, v13
	v_or3_b32 v35, v26, v13, v22
.LBB357_3648:                           ;   in Loop: Header=BB357_2083 Depth=1
	s_or_b32 exec_lo, exec_lo, s20
.LBB357_3649:                           ;   in Loop: Header=BB357_2083 Depth=1
	s_or_b32 exec_lo, exec_lo, s19
.LBB357_3650:                           ;   in Loop: Header=BB357_2083 Depth=1
	s_or_b32 exec_lo, exec_lo, s18
	v_and_b32_sdwa v13, v25, v117 dst_sel:DWORD dst_unused:UNUSED_PAD src0_sel:WORD_1 src1_sel:DWORD
	v_mov_b32_e32 v22, 0
	v_mov_b32_e32 v33, 0
	s_mov_b32 s18, exec_lo
	v_cmpx_ne_u16_e32 0, v13
	s_cbranch_execz .LBB357_3658
; %bb.3651:                             ;   in Loop: Header=BB357_2083 Depth=1
	v_bfrev_b32_e32 v33, 1
	s_mov_b32 s19, exec_lo
	v_cmpx_ne_u16_e32 0x80, v13
	s_cbranch_execz .LBB357_3657
; %bb.3652:                             ;   in Loop: Header=BB357_2083 Depth=1
	v_bfe_u32 v37, v25, 16, 7
	v_mov_b32_e32 v33, 0x7f800001
	s_mov_b32 s20, exec_lo
	v_cmpx_ne_u32_e32 0x7f, v37
	s_cbranch_execz .LBB357_3656
; %bb.3653:                             ;   in Loop: Header=BB357_2083 Depth=1
	v_mov_b32_e32 v13, 7
	s_mov_b32 s21, exec_lo
	v_and_b32_sdwa v13, v25, v13 dst_sel:DWORD dst_unused:UNUSED_PAD src0_sel:WORD_1 src1_sel:DWORD
	v_mov_b32_e32 v27, v14
	v_lshrrev_b32_e32 v27, 3, v37
	v_mov_b32_e32 v26, v13
	v_cmpx_gt_u32_e32 8, v37
; %bb.3654:                             ;   in Loop: Header=BB357_2083 Depth=1
	v_ffbh_u32_e32 v26, v13
	v_min_u32_e32 v33, 32, v26
	v_subrev_nc_u32_e32 v26, 28, v33
	v_lshlrev_b64 v[26:27], v26, v[13:14]
	v_sub_nc_u32_e32 v27, 29, v33
	v_and_b32_e32 v26, 7, v26
; %bb.3655:                             ;   in Loop: Header=BB357_2083 Depth=1
	s_or_b32 exec_lo, exec_lo, s21
	v_mov_b32_e32 v13, 24
	v_lshlrev_b32_e32 v26, 20, v26
	v_lshl_add_u32 v27, v27, 23, 0x3c000000
	v_lshlrev_b32_sdwa v13, v13, v25 dst_sel:DWORD dst_unused:UNUSED_PAD src0_sel:DWORD src1_sel:WORD_1
	v_and_b32_e32 v13, 0x80000000, v13
	v_or3_b32 v33, v26, v13, v27
.LBB357_3656:                           ;   in Loop: Header=BB357_2083 Depth=1
	s_or_b32 exec_lo, exec_lo, s20
.LBB357_3657:                           ;   in Loop: Header=BB357_2083 Depth=1
	s_or_b32 exec_lo, exec_lo, s19
.LBB357_3658:                           ;   in Loop: Header=BB357_2083 Depth=1
	s_or_b32 exec_lo, exec_lo, s18
	s_mov_b32 s18, exec_lo
	v_cmpx_lt_u64_e64 s[6:7], v[24:25]
	s_cbranch_execz .LBB357_3666
; %bb.3659:                             ;   in Loop: Header=BB357_2083 Depth=1
	v_cmp_ne_u32_sdwa s4, v25, v115 src0_sel:BYTE_3 src1_sel:DWORD
	v_bfrev_b32_e32 v22, 1
	s_and_saveexec_b32 s19, s4
	s_cbranch_execz .LBB357_3665
; %bb.3660:                             ;   in Loop: Header=BB357_2083 Depth=1
	v_bfe_u32 v24, v25, 24, 7
	v_mov_b32_e32 v22, 0x7f800001
	s_mov_b32 s20, exec_lo
	v_cmpx_ne_u32_e32 0x7f, v24
	s_cbranch_execz .LBB357_3664
; %bb.3661:                             ;   in Loop: Header=BB357_2083 Depth=1
	v_mov_b32_e32 v13, 7
	v_lshrrev_b32_e32 v22, 3, v24
	s_mov_b32 s21, exec_lo
	v_and_b32_sdwa v13, v25, v13 dst_sel:DWORD dst_unused:UNUSED_PAD src0_sel:BYTE_3 src1_sel:DWORD
	v_mov_b32_e32 v27, v14
	v_mov_b32_e32 v26, v13
	v_cmpx_gt_u32_e32 8, v24
; %bb.3662:                             ;   in Loop: Header=BB357_2083 Depth=1
	v_ffbh_u32_e32 v22, v13
	v_min_u32_e32 v22, 32, v22
	v_subrev_nc_u32_e32 v24, 28, v22
	v_sub_nc_u32_e32 v22, 29, v22
	v_lshlrev_b64 v[26:27], v24, v[13:14]
	v_and_b32_e32 v26, 7, v26
; %bb.3663:                             ;   in Loop: Header=BB357_2083 Depth=1
	s_or_b32 exec_lo, exec_lo, s21
	v_mov_b32_e32 v13, 24
	v_lshlrev_b32_e32 v24, 20, v26
	v_lshl_add_u32 v22, v22, 23, 0x3c000000
	v_lshlrev_b32_sdwa v13, v13, v25 dst_sel:DWORD dst_unused:UNUSED_PAD src0_sel:DWORD src1_sel:BYTE_3
	v_and_b32_e32 v13, 0x80000000, v13
	v_or3_b32 v22, v24, v13, v22
.LBB357_3664:                           ;   in Loop: Header=BB357_2083 Depth=1
	s_or_b32 exec_lo, exec_lo, s20
.LBB357_3665:                           ;   in Loop: Header=BB357_2083 Depth=1
	s_or_b32 exec_lo, exec_lo, s19
.LBB357_3666:                           ;   in Loop: Header=BB357_2083 Depth=1
	s_or_b32 exec_lo, exec_lo, s18
	v_mul_f32_e32 v13, v23, v35
	v_mul_f32_e32 v11, v23, v11
	;; [unrolled: 1-line block ×5, first 2 shown]
	v_bfe_u32 v24, v13, 16, 1
	v_or_b32_e32 v25, 0x400000, v13
	v_cmp_u_f32_e64 s4, v13, v13
	v_add3_u32 v24, v24, v13, 0x7fff
	v_cndmask_b32_e64 v13, v24, v25, s4
	v_lshrrev_b32_e32 v58, 16, v13
	v_mul_f32_e32 v13, v23, v34
	v_bfe_u32 v24, v13, 16, 1
	v_or_b32_e32 v25, 0x400000, v13
	v_cmp_u_f32_e64 s4, v13, v13
	v_add3_u32 v24, v24, v13, 0x7fff
	v_cndmask_b32_e64 v13, v24, v25, s4
	v_or_b32_e32 v24, 0x400000, v11
	v_cmp_u_f32_e64 s4, v11, v11
	v_lshrrev_b32_e32 v59, 16, v13
	v_bfe_u32 v13, v11, 16, 1
	v_add3_u32 v13, v13, v11, 0x7fff
	v_cndmask_b32_e64 v11, v13, v24, s4
	v_or_b32_e32 v13, 0x400000, v10
	v_cmp_u_f32_e64 s4, v10, v10
	v_lshrrev_b32_e32 v60, 16, v11
	v_bfe_u32 v11, v10, 16, 1
	;; [unrolled: 6-line block ×4, first 2 shown]
	v_add3_u32 v1, v1, v0, 0x7fff
	v_cndmask_b32_e64 v0, v1, v10, s4
	v_lshrrev_b32_e32 v92, 16, v0
	v_mul_f32_e32 v0, v23, v33
	v_bfe_u32 v1, v0, 16, 1
	v_or_b32_e32 v10, 0x400000, v0
	v_cmp_u_f32_e64 s4, v0, v0
	v_add3_u32 v1, v1, v0, 0x7fff
	v_cndmask_b32_e64 v0, v1, v10, s4
	v_lshrrev_b32_e32 v63, 16, v0
	v_mul_f32_e32 v0, v23, v22
	v_bfe_u32 v1, v0, 16, 1
	v_or_b32_e32 v10, 0x400000, v0
	v_cmp_u_f32_e64 s4, v0, v0
	v_add3_u32 v1, v1, v0, 0x7fff
	v_cndmask_b32_e64 v0, v1, v10, s4
	v_lshrrev_b32_e32 v93, 16, v0
	s_and_saveexec_b32 s18, vcc_lo
	s_cbranch_execz .LBB357_3668
; %bb.3667:                             ;   in Loop: Header=BB357_2083 Depth=1
	v_cmp_lt_i32_e64 s4, v102, v49
	v_cndmask_b32_e64 v92, 0, v92, s4
	v_cmp_lt_i32_e64 s4, v52, v49
	v_cndmask_b32_e64 v62, 0, v62, s4
	;; [unrolled: 2-line block ×8, first 2 shown]
.LBB357_3668:                           ;   in Loop: Header=BB357_2083 Depth=1
	s_or_b32 exec_lo, exec_lo, s18
	v_add_co_u32 v19, s4, 0x1800, v19
	v_add_co_ci_u32_e64 v20, null, 0, v20, s4
	v_mov_b32_e32 v1, 0
	v_mov_b32_e32 v0, 0
	flat_load_dwordx2 v[24:25], v[19:20]
	s_waitcnt vmcnt(0) lgkmcnt(0)
	v_cmp_ne_u16_sdwa s4, v24, v14 src0_sel:BYTE_0 src1_sel:DWORD
	s_and_saveexec_b32 s18, s4
	s_cbranch_execz .LBB357_3676
; %bb.3669:                             ;   in Loop: Header=BB357_2083 Depth=1
	v_cmp_ne_u16_sdwa s4, v24, v115 src0_sel:BYTE_0 src1_sel:DWORD
	v_bfrev_b32_e32 v0, 1
	s_and_saveexec_b32 s19, s4
	s_cbranch_execz .LBB357_3675
; %bb.3670:                             ;   in Loop: Header=BB357_2083 Depth=1
	v_and_b32_e32 v10, 0x7f, v24
	v_mov_b32_e32 v0, 0x7f800001
	s_mov_b32 s20, exec_lo
	v_cmpx_ne_u32_e32 0x7f, v10
	s_cbranch_execz .LBB357_3674
; %bb.3671:                             ;   in Loop: Header=BB357_2083 Depth=1
	v_mov_b32_e32 v27, v25
	v_lshrrev_b32_e32 v0, 3, v10
	v_mov_b32_e32 v26, v24
	s_mov_b32 s21, exec_lo
	v_cmpx_gt_u32_e32 8, v10
; %bb.3672:                             ;   in Loop: Header=BB357_2083 Depth=1
	v_and_b32_e32 v0, 7, v24
	v_ffbh_u32_e32 v0, v0
	v_min_u32_e32 v0, 32, v0
	v_subrev_nc_u32_e32 v10, 28, v0
	v_sub_nc_u32_e32 v0, 29, v0
	v_lshlrev_b64 v[26:27], v10, v[24:25]
; %bb.3673:                             ;   in Loop: Header=BB357_2083 Depth=1
	s_or_b32 exec_lo, exec_lo, s21
	v_lshlrev_b32_e32 v10, 20, v26
	v_lshlrev_b32_e32 v11, 24, v24
	v_lshl_add_u32 v0, v0, 23, 0x3c000000
	v_and_b32_e32 v10, 0x700000, v10
	v_and_b32_e32 v11, 0x80000000, v11
	v_or3_b32 v0, v10, v11, v0
.LBB357_3674:                           ;   in Loop: Header=BB357_2083 Depth=1
	s_or_b32 exec_lo, exec_lo, s20
.LBB357_3675:                           ;   in Loop: Header=BB357_2083 Depth=1
	s_or_b32 exec_lo, exec_lo, s19
.LBB357_3676:                           ;   in Loop: Header=BB357_2083 Depth=1
	s_or_b32 exec_lo, exec_lo, s18
	v_cmp_ne_u16_sdwa s4, v24, v14 src0_sel:BYTE_1 src1_sel:DWORD
	s_and_saveexec_b32 s18, s4
	s_cbranch_execz .LBB357_3684
; %bb.3677:                             ;   in Loop: Header=BB357_2083 Depth=1
	v_cmp_ne_u16_sdwa s4, v24, v115 src0_sel:BYTE_1 src1_sel:DWORD
	v_bfrev_b32_e32 v1, 1
	s_and_saveexec_b32 s19, s4
	s_cbranch_execz .LBB357_3683
; %bb.3678:                             ;   in Loop: Header=BB357_2083 Depth=1
	v_mov_b32_e32 v1, 0xffff
	s_mov_b32 s20, exec_lo
	v_and_b32_sdwa v11, v1, v24 dst_sel:DWORD dst_unused:UNUSED_PAD src0_sel:DWORD src1_sel:BYTE_1
	v_mov_b32_e32 v1, 0x7f800001
	v_and_b32_e32 v10, 0x7f, v11
	v_cmpx_ne_u32_e32 0x7f, v10
	s_cbranch_execz .LBB357_3682
; %bb.3679:                             ;   in Loop: Header=BB357_2083 Depth=1
	v_and_b32_e32 v13, 7, v11
	v_mov_b32_e32 v27, v14
	v_lshrrev_b32_e32 v1, 3, v10
	s_mov_b32 s21, exec_lo
	v_mov_b32_e32 v26, v13
	v_cmpx_gt_u32_e32 8, v10
; %bb.3680:                             ;   in Loop: Header=BB357_2083 Depth=1
	v_ffbh_u32_e32 v1, v13
	v_min_u32_e32 v1, 32, v1
	v_subrev_nc_u32_e32 v10, 28, v1
	v_sub_nc_u32_e32 v1, 29, v1
	v_lshlrev_b64 v[10:11], v10, v[13:14]
	v_and_b32_e32 v26, 7, v10
; %bb.3681:                             ;   in Loop: Header=BB357_2083 Depth=1
	s_or_b32 exec_lo, exec_lo, s21
	v_lshlrev_b32_e32 v10, 16, v24
	v_lshlrev_b32_e32 v11, 20, v26
	v_lshl_add_u32 v1, v1, 23, 0x3c000000
	v_and_b32_e32 v10, 0x80000000, v10
	v_or3_b32 v1, v11, v10, v1
.LBB357_3682:                           ;   in Loop: Header=BB357_2083 Depth=1
	s_or_b32 exec_lo, exec_lo, s20
.LBB357_3683:                           ;   in Loop: Header=BB357_2083 Depth=1
	s_or_b32 exec_lo, exec_lo, s19
.LBB357_3684:                           ;   in Loop: Header=BB357_2083 Depth=1
	s_or_b32 exec_lo, exec_lo, s18
	v_and_b32_sdwa v13, v24, v117 dst_sel:DWORD dst_unused:UNUSED_PAD src0_sel:WORD_1 src1_sel:DWORD
	v_mov_b32_e32 v11, 0
	v_mov_b32_e32 v10, 0
	s_mov_b32 s18, exec_lo
	v_cmpx_ne_u16_e32 0, v13
	s_cbranch_execz .LBB357_3692
; %bb.3685:                             ;   in Loop: Header=BB357_2083 Depth=1
	v_bfrev_b32_e32 v10, 1
	s_mov_b32 s19, exec_lo
	v_cmpx_ne_u16_e32 0x80, v13
	s_cbranch_execz .LBB357_3691
; %bb.3686:                             ;   in Loop: Header=BB357_2083 Depth=1
	v_bfe_u32 v22, v24, 16, 7
	v_mov_b32_e32 v10, 0x7f800001
	s_mov_b32 s20, exec_lo
	v_cmpx_ne_u32_e32 0x7f, v22
	s_cbranch_execz .LBB357_3690
; %bb.3687:                             ;   in Loop: Header=BB357_2083 Depth=1
	v_mov_b32_e32 v10, 7
	s_mov_b32 s21, exec_lo
	v_and_b32_sdwa v13, v24, v10 dst_sel:DWORD dst_unused:UNUSED_PAD src0_sel:WORD_1 src1_sel:DWORD
	v_mov_b32_e32 v27, v14
	v_lshrrev_b32_e32 v10, 3, v22
	v_mov_b32_e32 v26, v13
	v_cmpx_gt_u32_e32 8, v22
; %bb.3688:                             ;   in Loop: Header=BB357_2083 Depth=1
	v_ffbh_u32_e32 v10, v13
	v_min_u32_e32 v10, 32, v10
	v_subrev_nc_u32_e32 v22, 28, v10
	v_sub_nc_u32_e32 v10, 29, v10
	v_lshlrev_b64 v[26:27], v22, v[13:14]
	v_and_b32_e32 v26, 7, v26
; %bb.3689:                             ;   in Loop: Header=BB357_2083 Depth=1
	s_or_b32 exec_lo, exec_lo, s21
	v_mov_b32_e32 v13, 24
	v_lshlrev_b32_e32 v22, 20, v26
	v_lshl_add_u32 v10, v10, 23, 0x3c000000
	v_lshlrev_b32_sdwa v13, v13, v24 dst_sel:DWORD dst_unused:UNUSED_PAD src0_sel:DWORD src1_sel:WORD_1
	v_and_b32_e32 v13, 0x80000000, v13
	v_or3_b32 v10, v22, v13, v10
.LBB357_3690:                           ;   in Loop: Header=BB357_2083 Depth=1
	s_or_b32 exec_lo, exec_lo, s20
.LBB357_3691:                           ;   in Loop: Header=BB357_2083 Depth=1
	s_or_b32 exec_lo, exec_lo, s19
.LBB357_3692:                           ;   in Loop: Header=BB357_2083 Depth=1
	s_or_b32 exec_lo, exec_lo, s18
	s_mov_b32 s18, exec_lo
	v_cmpx_lt_u32_e32 0xffffff, v24
	s_cbranch_execz .LBB357_3700
; %bb.3693:                             ;   in Loop: Header=BB357_2083 Depth=1
	v_cmp_ne_u32_sdwa s4, v24, v115 src0_sel:BYTE_3 src1_sel:DWORD
	v_bfrev_b32_e32 v11, 1
	s_and_saveexec_b32 s19, s4
	s_cbranch_execz .LBB357_3699
; %bb.3694:                             ;   in Loop: Header=BB357_2083 Depth=1
	v_bfe_u32 v22, v24, 24, 7
	v_mov_b32_e32 v11, 0x7f800001
	s_mov_b32 s20, exec_lo
	v_cmpx_ne_u32_e32 0x7f, v22
	s_cbranch_execz .LBB357_3698
; %bb.3695:                             ;   in Loop: Header=BB357_2083 Depth=1
	v_mov_b32_e32 v11, 7
	s_mov_b32 s21, exec_lo
	v_and_b32_sdwa v13, v24, v11 dst_sel:DWORD dst_unused:UNUSED_PAD src0_sel:BYTE_3 src1_sel:DWORD
	v_mov_b32_e32 v27, v14
	v_lshrrev_b32_e32 v11, 3, v22
	v_mov_b32_e32 v26, v13
	v_cmpx_gt_u32_e32 8, v22
; %bb.3696:                             ;   in Loop: Header=BB357_2083 Depth=1
	v_ffbh_u32_e32 v11, v13
	v_min_u32_e32 v11, 32, v11
	v_subrev_nc_u32_e32 v22, 28, v11
	v_sub_nc_u32_e32 v11, 29, v11
	v_lshlrev_b64 v[26:27], v22, v[13:14]
	v_and_b32_e32 v26, 7, v26
; %bb.3697:                             ;   in Loop: Header=BB357_2083 Depth=1
	s_or_b32 exec_lo, exec_lo, s21
	v_mov_b32_e32 v13, 24
	v_lshlrev_b32_e32 v22, 20, v26
	v_lshl_add_u32 v11, v11, 23, 0x3c000000
	v_lshlrev_b32_sdwa v13, v13, v24 dst_sel:DWORD dst_unused:UNUSED_PAD src0_sel:DWORD src1_sel:BYTE_3
	v_and_b32_e32 v13, 0x80000000, v13
	v_or3_b32 v11, v22, v13, v11
.LBB357_3698:                           ;   in Loop: Header=BB357_2083 Depth=1
	s_or_b32 exec_lo, exec_lo, s20
.LBB357_3699:                           ;   in Loop: Header=BB357_2083 Depth=1
	s_or_b32 exec_lo, exec_lo, s19
.LBB357_3700:                           ;   in Loop: Header=BB357_2083 Depth=1
	s_or_b32 exec_lo, exec_lo, s18
	v_mov_b32_e32 v13, v25
	v_cmp_ne_u16_sdwa s4, v25, v14 src0_sel:BYTE_0 src1_sel:DWORD
	v_mov_b32_e32 v35, 0
	v_mov_b32_e32 v34, 0
	s_and_saveexec_b32 s18, s4
	s_cbranch_execz .LBB357_3708
; %bb.3701:                             ;   in Loop: Header=BB357_2083 Depth=1
	v_cmp_ne_u16_sdwa s4, v25, v115 src0_sel:BYTE_0 src1_sel:DWORD
	v_bfrev_b32_e32 v34, 1
	s_and_saveexec_b32 s19, s4
	s_cbranch_execz .LBB357_3707
; %bb.3702:                             ;   in Loop: Header=BB357_2083 Depth=1
	v_and_b32_e32 v33, 0x7f, v25
	v_mov_b32_e32 v34, 0x7f800001
	s_mov_b32 s20, exec_lo
	v_cmpx_ne_u32_e32 0x7f, v33
	s_cbranch_execz .LBB357_3706
; %bb.3703:                             ;   in Loop: Header=BB357_2083 Depth=1
	v_mov_b32_e32 v27, v14
	v_mov_b32_e32 v26, v13
	v_lshrrev_b32_e32 v22, 3, v33
	s_mov_b32 s21, exec_lo
	v_cmpx_gt_u32_e32 8, v33
; %bb.3704:                             ;   in Loop: Header=BB357_2083 Depth=1
	v_and_b32_e32 v22, 7, v25
	v_ffbh_u32_e32 v22, v22
	v_min_u32_e32 v22, 32, v22
	v_subrev_nc_u32_e32 v26, 28, v22
	v_sub_nc_u32_e32 v22, 29, v22
	v_lshlrev_b64 v[26:27], v26, v[13:14]
; %bb.3705:                             ;   in Loop: Header=BB357_2083 Depth=1
	s_or_b32 exec_lo, exec_lo, s21
	v_lshlrev_b32_e32 v26, 20, v26
	v_lshlrev_b32_e32 v27, 24, v13
	v_lshl_add_u32 v22, v22, 23, 0x3c000000
	v_and_b32_e32 v26, 0x700000, v26
	v_and_b32_e32 v27, 0x80000000, v27
	v_or3_b32 v34, v26, v27, v22
.LBB357_3706:                           ;   in Loop: Header=BB357_2083 Depth=1
	s_or_b32 exec_lo, exec_lo, s20
.LBB357_3707:                           ;   in Loop: Header=BB357_2083 Depth=1
	s_or_b32 exec_lo, exec_lo, s19
.LBB357_3708:                           ;   in Loop: Header=BB357_2083 Depth=1
	s_or_b32 exec_lo, exec_lo, s18
	v_cmp_ne_u16_sdwa s4, v13, v14 src0_sel:BYTE_1 src1_sel:DWORD
	s_and_saveexec_b32 s18, s4
	s_cbranch_execz .LBB357_3716
; %bb.3709:                             ;   in Loop: Header=BB357_2083 Depth=1
	v_cmp_ne_u16_sdwa s4, v13, v115 src0_sel:BYTE_1 src1_sel:DWORD
	v_bfrev_b32_e32 v35, 1
	s_and_saveexec_b32 s19, s4
	s_cbranch_execz .LBB357_3715
; %bb.3710:                             ;   in Loop: Header=BB357_2083 Depth=1
	v_mov_b32_e32 v22, 0xffff
	v_mov_b32_e32 v35, 0x7f800001
	s_mov_b32 s20, exec_lo
	v_and_b32_sdwa v22, v22, v13 dst_sel:DWORD dst_unused:UNUSED_PAD src0_sel:DWORD src1_sel:BYTE_1
	v_and_b32_e32 v33, 0x7f, v22
	v_cmpx_ne_u32_e32 0x7f, v33
	s_cbranch_execz .LBB357_3714
; %bb.3711:                             ;   in Loop: Header=BB357_2083 Depth=1
	v_and_b32_e32 v26, 7, v22
	v_mov_b32_e32 v27, v14
	v_lshrrev_b32_e32 v22, 3, v33
	s_mov_b32 s21, exec_lo
	v_cmpx_gt_u32_e32 8, v33
; %bb.3712:                             ;   in Loop: Header=BB357_2083 Depth=1
	v_ffbh_u32_e32 v22, v26
	v_min_u32_e32 v22, 32, v22
	v_subrev_nc_u32_e32 v33, 28, v22
	v_sub_nc_u32_e32 v22, 29, v22
	v_lshlrev_b64 v[26:27], v33, v[26:27]
	v_and_b32_e32 v26, 7, v26
; %bb.3713:                             ;   in Loop: Header=BB357_2083 Depth=1
	s_or_b32 exec_lo, exec_lo, s21
	v_lshlrev_b32_e32 v13, 16, v13
	v_lshlrev_b32_e32 v26, 20, v26
	v_lshl_add_u32 v22, v22, 23, 0x3c000000
	v_and_b32_e32 v13, 0x80000000, v13
	v_or3_b32 v35, v26, v13, v22
.LBB357_3714:                           ;   in Loop: Header=BB357_2083 Depth=1
	s_or_b32 exec_lo, exec_lo, s20
.LBB357_3715:                           ;   in Loop: Header=BB357_2083 Depth=1
	s_or_b32 exec_lo, exec_lo, s19
.LBB357_3716:                           ;   in Loop: Header=BB357_2083 Depth=1
	s_or_b32 exec_lo, exec_lo, s18
	v_and_b32_sdwa v13, v25, v117 dst_sel:DWORD dst_unused:UNUSED_PAD src0_sel:WORD_1 src1_sel:DWORD
	v_mov_b32_e32 v22, 0
	v_mov_b32_e32 v33, 0
	s_mov_b32 s18, exec_lo
	v_cmpx_ne_u16_e32 0, v13
	s_cbranch_execz .LBB357_3724
; %bb.3717:                             ;   in Loop: Header=BB357_2083 Depth=1
	v_bfrev_b32_e32 v33, 1
	s_mov_b32 s19, exec_lo
	v_cmpx_ne_u16_e32 0x80, v13
	s_cbranch_execz .LBB357_3723
; %bb.3718:                             ;   in Loop: Header=BB357_2083 Depth=1
	v_bfe_u32 v37, v25, 16, 7
	v_mov_b32_e32 v33, 0x7f800001
	s_mov_b32 s20, exec_lo
	v_cmpx_ne_u32_e32 0x7f, v37
	s_cbranch_execz .LBB357_3722
; %bb.3719:                             ;   in Loop: Header=BB357_2083 Depth=1
	v_mov_b32_e32 v13, 7
	s_mov_b32 s21, exec_lo
	v_and_b32_sdwa v13, v25, v13 dst_sel:DWORD dst_unused:UNUSED_PAD src0_sel:WORD_1 src1_sel:DWORD
	v_mov_b32_e32 v27, v14
	v_lshrrev_b32_e32 v27, 3, v37
	v_mov_b32_e32 v26, v13
	v_cmpx_gt_u32_e32 8, v37
; %bb.3720:                             ;   in Loop: Header=BB357_2083 Depth=1
	v_ffbh_u32_e32 v26, v13
	v_min_u32_e32 v33, 32, v26
	v_subrev_nc_u32_e32 v26, 28, v33
	v_lshlrev_b64 v[26:27], v26, v[13:14]
	v_sub_nc_u32_e32 v27, 29, v33
	v_and_b32_e32 v26, 7, v26
; %bb.3721:                             ;   in Loop: Header=BB357_2083 Depth=1
	s_or_b32 exec_lo, exec_lo, s21
	v_mov_b32_e32 v13, 24
	v_lshlrev_b32_e32 v26, 20, v26
	v_lshl_add_u32 v27, v27, 23, 0x3c000000
	v_lshlrev_b32_sdwa v13, v13, v25 dst_sel:DWORD dst_unused:UNUSED_PAD src0_sel:DWORD src1_sel:WORD_1
	v_and_b32_e32 v13, 0x80000000, v13
	v_or3_b32 v33, v26, v13, v27
.LBB357_3722:                           ;   in Loop: Header=BB357_2083 Depth=1
	s_or_b32 exec_lo, exec_lo, s20
.LBB357_3723:                           ;   in Loop: Header=BB357_2083 Depth=1
	s_or_b32 exec_lo, exec_lo, s19
.LBB357_3724:                           ;   in Loop: Header=BB357_2083 Depth=1
	s_or_b32 exec_lo, exec_lo, s18
	s_mov_b32 s18, exec_lo
	v_cmpx_lt_u64_e64 s[6:7], v[24:25]
	s_cbranch_execz .LBB357_3732
; %bb.3725:                             ;   in Loop: Header=BB357_2083 Depth=1
	v_cmp_ne_u32_sdwa s4, v25, v115 src0_sel:BYTE_3 src1_sel:DWORD
	v_bfrev_b32_e32 v22, 1
	s_and_saveexec_b32 s19, s4
	s_cbranch_execz .LBB357_3731
; %bb.3726:                             ;   in Loop: Header=BB357_2083 Depth=1
	v_bfe_u32 v24, v25, 24, 7
	v_mov_b32_e32 v22, 0x7f800001
	s_mov_b32 s20, exec_lo
	v_cmpx_ne_u32_e32 0x7f, v24
	s_cbranch_execz .LBB357_3730
; %bb.3727:                             ;   in Loop: Header=BB357_2083 Depth=1
	v_mov_b32_e32 v13, 7
	v_lshrrev_b32_e32 v22, 3, v24
	s_mov_b32 s21, exec_lo
	v_and_b32_sdwa v13, v25, v13 dst_sel:DWORD dst_unused:UNUSED_PAD src0_sel:BYTE_3 src1_sel:DWORD
	v_mov_b32_e32 v27, v14
	v_mov_b32_e32 v26, v13
	v_cmpx_gt_u32_e32 8, v24
; %bb.3728:                             ;   in Loop: Header=BB357_2083 Depth=1
	v_ffbh_u32_e32 v22, v13
	v_min_u32_e32 v22, 32, v22
	v_subrev_nc_u32_e32 v24, 28, v22
	v_sub_nc_u32_e32 v22, 29, v22
	v_lshlrev_b64 v[26:27], v24, v[13:14]
	v_and_b32_e32 v26, 7, v26
; %bb.3729:                             ;   in Loop: Header=BB357_2083 Depth=1
	s_or_b32 exec_lo, exec_lo, s21
	v_mov_b32_e32 v13, 24
	v_lshlrev_b32_e32 v24, 20, v26
	v_lshl_add_u32 v22, v22, 23, 0x3c000000
	v_lshlrev_b32_sdwa v13, v13, v25 dst_sel:DWORD dst_unused:UNUSED_PAD src0_sel:DWORD src1_sel:BYTE_3
	v_and_b32_e32 v13, 0x80000000, v13
	v_or3_b32 v22, v24, v13, v22
.LBB357_3730:                           ;   in Loop: Header=BB357_2083 Depth=1
	s_or_b32 exec_lo, exec_lo, s20
.LBB357_3731:                           ;   in Loop: Header=BB357_2083 Depth=1
	s_or_b32 exec_lo, exec_lo, s19
.LBB357_3732:                           ;   in Loop: Header=BB357_2083 Depth=1
	s_or_b32 exec_lo, exec_lo, s18
	v_mul_f32_e32 v13, v23, v35
	v_mul_f32_e32 v11, v23, v11
	v_mul_f32_e32 v10, v23, v10
	v_mul_f32_e32 v1, v23, v1
	v_mul_f32_e32 v0, v23, v0
	v_bfe_u32 v24, v13, 16, 1
	v_or_b32_e32 v25, 0x400000, v13
	v_cmp_u_f32_e64 s4, v13, v13
	v_add3_u32 v24, v24, v13, 0x7fff
	v_cndmask_b32_e64 v13, v24, v25, s4
	v_lshrrev_b32_e32 v83, 16, v13
	v_mul_f32_e32 v13, v23, v34
	v_bfe_u32 v24, v13, 16, 1
	v_or_b32_e32 v25, 0x400000, v13
	v_cmp_u_f32_e64 s4, v13, v13
	v_add3_u32 v24, v24, v13, 0x7fff
	v_cndmask_b32_e64 v13, v24, v25, s4
	v_or_b32_e32 v24, 0x400000, v11
	v_cmp_u_f32_e64 s4, v11, v11
	v_lshrrev_b32_e32 v74, 16, v13
	v_bfe_u32 v13, v11, 16, 1
	v_add3_u32 v13, v13, v11, 0x7fff
	v_cndmask_b32_e64 v11, v13, v24, s4
	v_or_b32_e32 v13, 0x400000, v10
	v_cmp_u_f32_e64 s4, v10, v10
	v_lshrrev_b32_e32 v90, 16, v11
	v_bfe_u32 v11, v10, 16, 1
	;; [unrolled: 6-line block ×4, first 2 shown]
	v_add3_u32 v1, v1, v0, 0x7fff
	v_cndmask_b32_e64 v0, v1, v10, s4
	v_lshrrev_b32_e32 v88, 16, v0
	v_mul_f32_e32 v0, v23, v33
	v_bfe_u32 v1, v0, 16, 1
	v_or_b32_e32 v10, 0x400000, v0
	v_cmp_u_f32_e64 s4, v0, v0
	v_add3_u32 v1, v1, v0, 0x7fff
	v_cndmask_b32_e64 v0, v1, v10, s4
	v_lshrrev_b32_e32 v79, 16, v0
	v_mul_f32_e32 v0, v23, v22
	v_bfe_u32 v1, v0, 16, 1
	v_or_b32_e32 v10, 0x400000, v0
	v_cmp_u_f32_e64 s4, v0, v0
	v_add3_u32 v1, v1, v0, 0x7fff
	v_cndmask_b32_e64 v0, v1, v10, s4
	v_lshrrev_b32_e32 v89, 16, v0
	s_and_saveexec_b32 s18, vcc_lo
	s_cbranch_execz .LBB357_3734
; %bb.3733:                             ;   in Loop: Header=BB357_2083 Depth=1
	v_cmp_lt_i32_e64 s4, v102, v49
	v_cndmask_b32_e64 v88, 0, v88, s4
	v_cmp_lt_i32_e64 s4, v52, v49
	v_cndmask_b32_e64 v78, 0, v78, s4
	;; [unrolled: 2-line block ×8, first 2 shown]
.LBB357_3734:                           ;   in Loop: Header=BB357_2083 Depth=1
	s_or_b32 exec_lo, exec_lo, s18
	flat_load_dwordx2 v[24:25], v[19:20] offset:256
	v_mov_b32_e32 v1, 0
	v_mov_b32_e32 v0, 0
	s_waitcnt vmcnt(0) lgkmcnt(0)
	v_cmp_ne_u16_sdwa s4, v24, v14 src0_sel:BYTE_0 src1_sel:DWORD
	s_and_saveexec_b32 s18, s4
	s_cbranch_execz .LBB357_3742
; %bb.3735:                             ;   in Loop: Header=BB357_2083 Depth=1
	v_cmp_ne_u16_sdwa s4, v24, v115 src0_sel:BYTE_0 src1_sel:DWORD
	v_bfrev_b32_e32 v0, 1
	s_and_saveexec_b32 s19, s4
	s_cbranch_execz .LBB357_3741
; %bb.3736:                             ;   in Loop: Header=BB357_2083 Depth=1
	v_and_b32_e32 v10, 0x7f, v24
	v_mov_b32_e32 v0, 0x7f800001
	s_mov_b32 s20, exec_lo
	v_cmpx_ne_u32_e32 0x7f, v10
	s_cbranch_execz .LBB357_3740
; %bb.3737:                             ;   in Loop: Header=BB357_2083 Depth=1
	v_mov_b32_e32 v27, v25
	v_lshrrev_b32_e32 v0, 3, v10
	v_mov_b32_e32 v26, v24
	s_mov_b32 s21, exec_lo
	v_cmpx_gt_u32_e32 8, v10
; %bb.3738:                             ;   in Loop: Header=BB357_2083 Depth=1
	v_and_b32_e32 v0, 7, v24
	v_ffbh_u32_e32 v0, v0
	v_min_u32_e32 v0, 32, v0
	v_subrev_nc_u32_e32 v10, 28, v0
	v_sub_nc_u32_e32 v0, 29, v0
	v_lshlrev_b64 v[26:27], v10, v[24:25]
; %bb.3739:                             ;   in Loop: Header=BB357_2083 Depth=1
	s_or_b32 exec_lo, exec_lo, s21
	v_lshlrev_b32_e32 v10, 20, v26
	v_lshlrev_b32_e32 v11, 24, v24
	v_lshl_add_u32 v0, v0, 23, 0x3c000000
	v_and_b32_e32 v10, 0x700000, v10
	v_and_b32_e32 v11, 0x80000000, v11
	v_or3_b32 v0, v10, v11, v0
.LBB357_3740:                           ;   in Loop: Header=BB357_2083 Depth=1
	s_or_b32 exec_lo, exec_lo, s20
.LBB357_3741:                           ;   in Loop: Header=BB357_2083 Depth=1
	s_or_b32 exec_lo, exec_lo, s19
.LBB357_3742:                           ;   in Loop: Header=BB357_2083 Depth=1
	s_or_b32 exec_lo, exec_lo, s18
	v_cmp_ne_u16_sdwa s4, v24, v14 src0_sel:BYTE_1 src1_sel:DWORD
	s_and_saveexec_b32 s18, s4
	s_cbranch_execz .LBB357_3750
; %bb.3743:                             ;   in Loop: Header=BB357_2083 Depth=1
	v_cmp_ne_u16_sdwa s4, v24, v115 src0_sel:BYTE_1 src1_sel:DWORD
	v_bfrev_b32_e32 v1, 1
	s_and_saveexec_b32 s19, s4
	s_cbranch_execz .LBB357_3749
; %bb.3744:                             ;   in Loop: Header=BB357_2083 Depth=1
	v_mov_b32_e32 v1, 0xffff
	s_mov_b32 s20, exec_lo
	v_and_b32_sdwa v11, v1, v24 dst_sel:DWORD dst_unused:UNUSED_PAD src0_sel:DWORD src1_sel:BYTE_1
	v_mov_b32_e32 v1, 0x7f800001
	v_and_b32_e32 v10, 0x7f, v11
	v_cmpx_ne_u32_e32 0x7f, v10
	s_cbranch_execz .LBB357_3748
; %bb.3745:                             ;   in Loop: Header=BB357_2083 Depth=1
	v_and_b32_e32 v13, 7, v11
	v_mov_b32_e32 v27, v14
	v_lshrrev_b32_e32 v1, 3, v10
	s_mov_b32 s21, exec_lo
	v_mov_b32_e32 v26, v13
	v_cmpx_gt_u32_e32 8, v10
; %bb.3746:                             ;   in Loop: Header=BB357_2083 Depth=1
	v_ffbh_u32_e32 v1, v13
	v_min_u32_e32 v1, 32, v1
	v_subrev_nc_u32_e32 v10, 28, v1
	v_sub_nc_u32_e32 v1, 29, v1
	v_lshlrev_b64 v[10:11], v10, v[13:14]
	v_and_b32_e32 v26, 7, v10
; %bb.3747:                             ;   in Loop: Header=BB357_2083 Depth=1
	s_or_b32 exec_lo, exec_lo, s21
	v_lshlrev_b32_e32 v10, 16, v24
	v_lshlrev_b32_e32 v11, 20, v26
	v_lshl_add_u32 v1, v1, 23, 0x3c000000
	v_and_b32_e32 v10, 0x80000000, v10
	v_or3_b32 v1, v11, v10, v1
.LBB357_3748:                           ;   in Loop: Header=BB357_2083 Depth=1
	s_or_b32 exec_lo, exec_lo, s20
.LBB357_3749:                           ;   in Loop: Header=BB357_2083 Depth=1
	s_or_b32 exec_lo, exec_lo, s19
.LBB357_3750:                           ;   in Loop: Header=BB357_2083 Depth=1
	s_or_b32 exec_lo, exec_lo, s18
	v_and_b32_sdwa v13, v24, v117 dst_sel:DWORD dst_unused:UNUSED_PAD src0_sel:WORD_1 src1_sel:DWORD
	v_mov_b32_e32 v11, 0
	v_mov_b32_e32 v10, 0
	s_mov_b32 s18, exec_lo
	v_cmpx_ne_u16_e32 0, v13
	s_cbranch_execz .LBB357_3758
; %bb.3751:                             ;   in Loop: Header=BB357_2083 Depth=1
	v_bfrev_b32_e32 v10, 1
	s_mov_b32 s19, exec_lo
	v_cmpx_ne_u16_e32 0x80, v13
	s_cbranch_execz .LBB357_3757
; %bb.3752:                             ;   in Loop: Header=BB357_2083 Depth=1
	v_bfe_u32 v22, v24, 16, 7
	v_mov_b32_e32 v10, 0x7f800001
	s_mov_b32 s20, exec_lo
	v_cmpx_ne_u32_e32 0x7f, v22
	s_cbranch_execz .LBB357_3756
; %bb.3753:                             ;   in Loop: Header=BB357_2083 Depth=1
	v_mov_b32_e32 v10, 7
	s_mov_b32 s21, exec_lo
	v_and_b32_sdwa v13, v24, v10 dst_sel:DWORD dst_unused:UNUSED_PAD src0_sel:WORD_1 src1_sel:DWORD
	v_mov_b32_e32 v27, v14
	v_lshrrev_b32_e32 v10, 3, v22
	v_mov_b32_e32 v26, v13
	v_cmpx_gt_u32_e32 8, v22
; %bb.3754:                             ;   in Loop: Header=BB357_2083 Depth=1
	v_ffbh_u32_e32 v10, v13
	v_min_u32_e32 v10, 32, v10
	v_subrev_nc_u32_e32 v22, 28, v10
	v_sub_nc_u32_e32 v10, 29, v10
	v_lshlrev_b64 v[26:27], v22, v[13:14]
	v_and_b32_e32 v26, 7, v26
; %bb.3755:                             ;   in Loop: Header=BB357_2083 Depth=1
	s_or_b32 exec_lo, exec_lo, s21
	v_mov_b32_e32 v13, 24
	v_lshlrev_b32_e32 v22, 20, v26
	v_lshl_add_u32 v10, v10, 23, 0x3c000000
	v_lshlrev_b32_sdwa v13, v13, v24 dst_sel:DWORD dst_unused:UNUSED_PAD src0_sel:DWORD src1_sel:WORD_1
	v_and_b32_e32 v13, 0x80000000, v13
	v_or3_b32 v10, v22, v13, v10
.LBB357_3756:                           ;   in Loop: Header=BB357_2083 Depth=1
	s_or_b32 exec_lo, exec_lo, s20
.LBB357_3757:                           ;   in Loop: Header=BB357_2083 Depth=1
	s_or_b32 exec_lo, exec_lo, s19
.LBB357_3758:                           ;   in Loop: Header=BB357_2083 Depth=1
	s_or_b32 exec_lo, exec_lo, s18
	s_mov_b32 s18, exec_lo
	v_cmpx_lt_u32_e32 0xffffff, v24
	s_cbranch_execz .LBB357_3766
; %bb.3759:                             ;   in Loop: Header=BB357_2083 Depth=1
	v_cmp_ne_u32_sdwa s4, v24, v115 src0_sel:BYTE_3 src1_sel:DWORD
	v_bfrev_b32_e32 v11, 1
	s_and_saveexec_b32 s19, s4
	s_cbranch_execz .LBB357_3765
; %bb.3760:                             ;   in Loop: Header=BB357_2083 Depth=1
	v_bfe_u32 v22, v24, 24, 7
	v_mov_b32_e32 v11, 0x7f800001
	s_mov_b32 s20, exec_lo
	v_cmpx_ne_u32_e32 0x7f, v22
	s_cbranch_execz .LBB357_3764
; %bb.3761:                             ;   in Loop: Header=BB357_2083 Depth=1
	v_mov_b32_e32 v11, 7
	s_mov_b32 s21, exec_lo
	v_and_b32_sdwa v13, v24, v11 dst_sel:DWORD dst_unused:UNUSED_PAD src0_sel:BYTE_3 src1_sel:DWORD
	v_mov_b32_e32 v27, v14
	v_lshrrev_b32_e32 v11, 3, v22
	v_mov_b32_e32 v26, v13
	v_cmpx_gt_u32_e32 8, v22
; %bb.3762:                             ;   in Loop: Header=BB357_2083 Depth=1
	v_ffbh_u32_e32 v11, v13
	v_min_u32_e32 v11, 32, v11
	v_subrev_nc_u32_e32 v22, 28, v11
	v_sub_nc_u32_e32 v11, 29, v11
	v_lshlrev_b64 v[26:27], v22, v[13:14]
	v_and_b32_e32 v26, 7, v26
; %bb.3763:                             ;   in Loop: Header=BB357_2083 Depth=1
	s_or_b32 exec_lo, exec_lo, s21
	v_mov_b32_e32 v13, 24
	v_lshlrev_b32_e32 v22, 20, v26
	v_lshl_add_u32 v11, v11, 23, 0x3c000000
	v_lshlrev_b32_sdwa v13, v13, v24 dst_sel:DWORD dst_unused:UNUSED_PAD src0_sel:DWORD src1_sel:BYTE_3
	v_and_b32_e32 v13, 0x80000000, v13
	v_or3_b32 v11, v22, v13, v11
.LBB357_3764:                           ;   in Loop: Header=BB357_2083 Depth=1
	s_or_b32 exec_lo, exec_lo, s20
.LBB357_3765:                           ;   in Loop: Header=BB357_2083 Depth=1
	s_or_b32 exec_lo, exec_lo, s19
.LBB357_3766:                           ;   in Loop: Header=BB357_2083 Depth=1
	s_or_b32 exec_lo, exec_lo, s18
	v_mov_b32_e32 v13, v25
	v_cmp_ne_u16_sdwa s4, v25, v14 src0_sel:BYTE_0 src1_sel:DWORD
	v_mov_b32_e32 v35, 0
	v_mov_b32_e32 v34, 0
	s_and_saveexec_b32 s18, s4
	s_cbranch_execz .LBB357_3774
; %bb.3767:                             ;   in Loop: Header=BB357_2083 Depth=1
	v_cmp_ne_u16_sdwa s4, v25, v115 src0_sel:BYTE_0 src1_sel:DWORD
	v_bfrev_b32_e32 v34, 1
	s_and_saveexec_b32 s19, s4
	s_cbranch_execz .LBB357_3773
; %bb.3768:                             ;   in Loop: Header=BB357_2083 Depth=1
	v_and_b32_e32 v33, 0x7f, v25
	v_mov_b32_e32 v34, 0x7f800001
	s_mov_b32 s20, exec_lo
	v_cmpx_ne_u32_e32 0x7f, v33
	s_cbranch_execz .LBB357_3772
; %bb.3769:                             ;   in Loop: Header=BB357_2083 Depth=1
	v_mov_b32_e32 v27, v14
	v_mov_b32_e32 v26, v13
	v_lshrrev_b32_e32 v22, 3, v33
	s_mov_b32 s21, exec_lo
	v_cmpx_gt_u32_e32 8, v33
; %bb.3770:                             ;   in Loop: Header=BB357_2083 Depth=1
	v_and_b32_e32 v22, 7, v25
	v_ffbh_u32_e32 v22, v22
	v_min_u32_e32 v22, 32, v22
	v_subrev_nc_u32_e32 v26, 28, v22
	v_sub_nc_u32_e32 v22, 29, v22
	v_lshlrev_b64 v[26:27], v26, v[13:14]
; %bb.3771:                             ;   in Loop: Header=BB357_2083 Depth=1
	s_or_b32 exec_lo, exec_lo, s21
	v_lshlrev_b32_e32 v26, 20, v26
	v_lshlrev_b32_e32 v27, 24, v13
	v_lshl_add_u32 v22, v22, 23, 0x3c000000
	v_and_b32_e32 v26, 0x700000, v26
	v_and_b32_e32 v27, 0x80000000, v27
	v_or3_b32 v34, v26, v27, v22
.LBB357_3772:                           ;   in Loop: Header=BB357_2083 Depth=1
	s_or_b32 exec_lo, exec_lo, s20
.LBB357_3773:                           ;   in Loop: Header=BB357_2083 Depth=1
	s_or_b32 exec_lo, exec_lo, s19
.LBB357_3774:                           ;   in Loop: Header=BB357_2083 Depth=1
	s_or_b32 exec_lo, exec_lo, s18
	v_cmp_ne_u16_sdwa s4, v13, v14 src0_sel:BYTE_1 src1_sel:DWORD
	s_and_saveexec_b32 s18, s4
	s_cbranch_execz .LBB357_3782
; %bb.3775:                             ;   in Loop: Header=BB357_2083 Depth=1
	v_cmp_ne_u16_sdwa s4, v13, v115 src0_sel:BYTE_1 src1_sel:DWORD
	v_bfrev_b32_e32 v35, 1
	s_and_saveexec_b32 s19, s4
	s_cbranch_execz .LBB357_3781
; %bb.3776:                             ;   in Loop: Header=BB357_2083 Depth=1
	v_mov_b32_e32 v22, 0xffff
	v_mov_b32_e32 v35, 0x7f800001
	s_mov_b32 s20, exec_lo
	v_and_b32_sdwa v22, v22, v13 dst_sel:DWORD dst_unused:UNUSED_PAD src0_sel:DWORD src1_sel:BYTE_1
	v_and_b32_e32 v33, 0x7f, v22
	v_cmpx_ne_u32_e32 0x7f, v33
	s_cbranch_execz .LBB357_3780
; %bb.3777:                             ;   in Loop: Header=BB357_2083 Depth=1
	v_and_b32_e32 v26, 7, v22
	v_mov_b32_e32 v27, v14
	v_lshrrev_b32_e32 v22, 3, v33
	s_mov_b32 s21, exec_lo
	v_cmpx_gt_u32_e32 8, v33
; %bb.3778:                             ;   in Loop: Header=BB357_2083 Depth=1
	v_ffbh_u32_e32 v22, v26
	v_min_u32_e32 v22, 32, v22
	v_subrev_nc_u32_e32 v33, 28, v22
	v_sub_nc_u32_e32 v22, 29, v22
	v_lshlrev_b64 v[26:27], v33, v[26:27]
	v_and_b32_e32 v26, 7, v26
; %bb.3779:                             ;   in Loop: Header=BB357_2083 Depth=1
	s_or_b32 exec_lo, exec_lo, s21
	v_lshlrev_b32_e32 v13, 16, v13
	v_lshlrev_b32_e32 v26, 20, v26
	v_lshl_add_u32 v22, v22, 23, 0x3c000000
	v_and_b32_e32 v13, 0x80000000, v13
	v_or3_b32 v35, v26, v13, v22
.LBB357_3780:                           ;   in Loop: Header=BB357_2083 Depth=1
	s_or_b32 exec_lo, exec_lo, s20
.LBB357_3781:                           ;   in Loop: Header=BB357_2083 Depth=1
	s_or_b32 exec_lo, exec_lo, s19
.LBB357_3782:                           ;   in Loop: Header=BB357_2083 Depth=1
	s_or_b32 exec_lo, exec_lo, s18
	v_and_b32_sdwa v13, v25, v117 dst_sel:DWORD dst_unused:UNUSED_PAD src0_sel:WORD_1 src1_sel:DWORD
	v_mov_b32_e32 v22, 0
	v_mov_b32_e32 v33, 0
	s_mov_b32 s18, exec_lo
	v_cmpx_ne_u16_e32 0, v13
	s_cbranch_execz .LBB357_3790
; %bb.3783:                             ;   in Loop: Header=BB357_2083 Depth=1
	v_bfrev_b32_e32 v33, 1
	s_mov_b32 s19, exec_lo
	v_cmpx_ne_u16_e32 0x80, v13
	s_cbranch_execz .LBB357_3789
; %bb.3784:                             ;   in Loop: Header=BB357_2083 Depth=1
	v_bfe_u32 v37, v25, 16, 7
	v_mov_b32_e32 v33, 0x7f800001
	s_mov_b32 s20, exec_lo
	v_cmpx_ne_u32_e32 0x7f, v37
	s_cbranch_execz .LBB357_3788
; %bb.3785:                             ;   in Loop: Header=BB357_2083 Depth=1
	v_mov_b32_e32 v13, 7
	s_mov_b32 s21, exec_lo
	v_and_b32_sdwa v13, v25, v13 dst_sel:DWORD dst_unused:UNUSED_PAD src0_sel:WORD_1 src1_sel:DWORD
	v_mov_b32_e32 v27, v14
	v_lshrrev_b32_e32 v27, 3, v37
	v_mov_b32_e32 v26, v13
	v_cmpx_gt_u32_e32 8, v37
; %bb.3786:                             ;   in Loop: Header=BB357_2083 Depth=1
	v_ffbh_u32_e32 v26, v13
	v_min_u32_e32 v33, 32, v26
	v_subrev_nc_u32_e32 v26, 28, v33
	v_lshlrev_b64 v[26:27], v26, v[13:14]
	v_sub_nc_u32_e32 v27, 29, v33
	v_and_b32_e32 v26, 7, v26
; %bb.3787:                             ;   in Loop: Header=BB357_2083 Depth=1
	s_or_b32 exec_lo, exec_lo, s21
	v_mov_b32_e32 v13, 24
	v_lshlrev_b32_e32 v26, 20, v26
	v_lshl_add_u32 v27, v27, 23, 0x3c000000
	v_lshlrev_b32_sdwa v13, v13, v25 dst_sel:DWORD dst_unused:UNUSED_PAD src0_sel:DWORD src1_sel:WORD_1
	v_and_b32_e32 v13, 0x80000000, v13
	v_or3_b32 v33, v26, v13, v27
.LBB357_3788:                           ;   in Loop: Header=BB357_2083 Depth=1
	s_or_b32 exec_lo, exec_lo, s20
.LBB357_3789:                           ;   in Loop: Header=BB357_2083 Depth=1
	s_or_b32 exec_lo, exec_lo, s19
.LBB357_3790:                           ;   in Loop: Header=BB357_2083 Depth=1
	s_or_b32 exec_lo, exec_lo, s18
	s_mov_b32 s18, exec_lo
	v_cmpx_lt_u64_e64 s[6:7], v[24:25]
	s_cbranch_execz .LBB357_3798
; %bb.3791:                             ;   in Loop: Header=BB357_2083 Depth=1
	v_cmp_ne_u32_sdwa s4, v25, v115 src0_sel:BYTE_3 src1_sel:DWORD
	v_bfrev_b32_e32 v22, 1
	s_and_saveexec_b32 s19, s4
	s_cbranch_execz .LBB357_3797
; %bb.3792:                             ;   in Loop: Header=BB357_2083 Depth=1
	v_bfe_u32 v24, v25, 24, 7
	v_mov_b32_e32 v22, 0x7f800001
	s_mov_b32 s20, exec_lo
	v_cmpx_ne_u32_e32 0x7f, v24
	s_cbranch_execz .LBB357_3796
; %bb.3793:                             ;   in Loop: Header=BB357_2083 Depth=1
	v_mov_b32_e32 v13, 7
	v_lshrrev_b32_e32 v22, 3, v24
	s_mov_b32 s21, exec_lo
	v_and_b32_sdwa v13, v25, v13 dst_sel:DWORD dst_unused:UNUSED_PAD src0_sel:BYTE_3 src1_sel:DWORD
	v_mov_b32_e32 v27, v14
	v_mov_b32_e32 v26, v13
	v_cmpx_gt_u32_e32 8, v24
; %bb.3794:                             ;   in Loop: Header=BB357_2083 Depth=1
	v_ffbh_u32_e32 v22, v13
	v_min_u32_e32 v22, 32, v22
	v_subrev_nc_u32_e32 v24, 28, v22
	v_sub_nc_u32_e32 v22, 29, v22
	v_lshlrev_b64 v[26:27], v24, v[13:14]
	v_and_b32_e32 v26, 7, v26
; %bb.3795:                             ;   in Loop: Header=BB357_2083 Depth=1
	s_or_b32 exec_lo, exec_lo, s21
	v_mov_b32_e32 v13, 24
	v_lshlrev_b32_e32 v24, 20, v26
	v_lshl_add_u32 v22, v22, 23, 0x3c000000
	v_lshlrev_b32_sdwa v13, v13, v25 dst_sel:DWORD dst_unused:UNUSED_PAD src0_sel:DWORD src1_sel:BYTE_3
	v_and_b32_e32 v13, 0x80000000, v13
	v_or3_b32 v22, v24, v13, v22
.LBB357_3796:                           ;   in Loop: Header=BB357_2083 Depth=1
	s_or_b32 exec_lo, exec_lo, s20
.LBB357_3797:                           ;   in Loop: Header=BB357_2083 Depth=1
	s_or_b32 exec_lo, exec_lo, s19
.LBB357_3798:                           ;   in Loop: Header=BB357_2083 Depth=1
	s_or_b32 exec_lo, exec_lo, s18
	v_mul_f32_e32 v13, v23, v35
	v_mul_f32_e32 v11, v23, v11
	;; [unrolled: 1-line block ×5, first 2 shown]
	v_bfe_u32 v24, v13, 16, 1
	v_or_b32_e32 v25, 0x400000, v13
	v_cmp_u_f32_e64 s4, v13, v13
	v_add3_u32 v24, v24, v13, 0x7fff
	v_cndmask_b32_e64 v13, v24, v25, s4
	v_lshrrev_b32_e32 v91, 16, v13
	v_mul_f32_e32 v13, v23, v34
	v_bfe_u32 v24, v13, 16, 1
	v_or_b32_e32 v25, 0x400000, v13
	v_cmp_u_f32_e64 s4, v13, v13
	v_add3_u32 v24, v24, v13, 0x7fff
	v_cndmask_b32_e64 v13, v24, v25, s4
	v_or_b32_e32 v24, 0x400000, v11
	v_cmp_u_f32_e64 s4, v11, v11
	v_lshrrev_b32_e32 v99, 16, v13
	v_bfe_u32 v13, v11, 16, 1
	v_add3_u32 v13, v13, v11, 0x7fff
	v_cndmask_b32_e64 v11, v13, v24, s4
	v_or_b32_e32 v13, 0x400000, v10
	v_cmp_u_f32_e64 s4, v10, v10
	v_lshrrev_b32_e32 v48, 16, v11
	v_bfe_u32 v11, v10, 16, 1
	;; [unrolled: 6-line block ×4, first 2 shown]
	v_add3_u32 v1, v1, v0, 0x7fff
	v_cndmask_b32_e64 v0, v1, v10, s4
	v_lshrrev_b32_e32 v95, 16, v0
	v_mul_f32_e32 v0, v23, v33
	v_bfe_u32 v1, v0, 16, 1
	v_or_b32_e32 v10, 0x400000, v0
	v_cmp_u_f32_e64 s4, v0, v0
	v_add3_u32 v1, v1, v0, 0x7fff
	v_cndmask_b32_e64 v0, v1, v10, s4
	v_lshrrev_b32_e32 v94, 16, v0
	v_mul_f32_e32 v0, v23, v22
	v_bfe_u32 v1, v0, 16, 1
	v_or_b32_e32 v10, 0x400000, v0
	v_cmp_u_f32_e64 s4, v0, v0
	v_add3_u32 v1, v1, v0, 0x7fff
	v_cndmask_b32_e64 v0, v1, v10, s4
	v_lshrrev_b32_e32 v104, 16, v0
	s_and_saveexec_b32 s18, vcc_lo
	s_cbranch_execz .LBB357_3800
; %bb.3799:                             ;   in Loop: Header=BB357_2083 Depth=1
	v_cmp_lt_i32_e64 s4, v102, v49
	v_cndmask_b32_e64 v95, 0, v95, s4
	v_cmp_lt_i32_e64 s4, v52, v49
	v_cndmask_b32_e64 v72, 0, v72, s4
	;; [unrolled: 2-line block ×8, first 2 shown]
.LBB357_3800:                           ;   in Loop: Header=BB357_2083 Depth=1
	s_or_b32 exec_lo, exec_lo, s18
	flat_load_dwordx2 v[24:25], v[19:20] offset:512
	v_mov_b32_e32 v1, 0
	v_mov_b32_e32 v0, 0
	s_waitcnt vmcnt(0) lgkmcnt(0)
	v_cmp_ne_u16_sdwa s4, v24, v14 src0_sel:BYTE_0 src1_sel:DWORD
	s_and_saveexec_b32 s18, s4
	s_cbranch_execz .LBB357_3808
; %bb.3801:                             ;   in Loop: Header=BB357_2083 Depth=1
	v_cmp_ne_u16_sdwa s4, v24, v115 src0_sel:BYTE_0 src1_sel:DWORD
	v_bfrev_b32_e32 v0, 1
	s_and_saveexec_b32 s19, s4
	s_cbranch_execz .LBB357_3807
; %bb.3802:                             ;   in Loop: Header=BB357_2083 Depth=1
	v_and_b32_e32 v10, 0x7f, v24
	v_mov_b32_e32 v0, 0x7f800001
	s_mov_b32 s20, exec_lo
	v_cmpx_ne_u32_e32 0x7f, v10
	s_cbranch_execz .LBB357_3806
; %bb.3803:                             ;   in Loop: Header=BB357_2083 Depth=1
	v_mov_b32_e32 v27, v25
	v_lshrrev_b32_e32 v0, 3, v10
	v_mov_b32_e32 v26, v24
	s_mov_b32 s21, exec_lo
	v_cmpx_gt_u32_e32 8, v10
; %bb.3804:                             ;   in Loop: Header=BB357_2083 Depth=1
	v_and_b32_e32 v0, 7, v24
	v_ffbh_u32_e32 v0, v0
	v_min_u32_e32 v0, 32, v0
	v_subrev_nc_u32_e32 v10, 28, v0
	v_sub_nc_u32_e32 v0, 29, v0
	v_lshlrev_b64 v[26:27], v10, v[24:25]
; %bb.3805:                             ;   in Loop: Header=BB357_2083 Depth=1
	s_or_b32 exec_lo, exec_lo, s21
	v_lshlrev_b32_e32 v10, 20, v26
	v_lshlrev_b32_e32 v11, 24, v24
	v_lshl_add_u32 v0, v0, 23, 0x3c000000
	v_and_b32_e32 v10, 0x700000, v10
	v_and_b32_e32 v11, 0x80000000, v11
	v_or3_b32 v0, v10, v11, v0
.LBB357_3806:                           ;   in Loop: Header=BB357_2083 Depth=1
	s_or_b32 exec_lo, exec_lo, s20
.LBB357_3807:                           ;   in Loop: Header=BB357_2083 Depth=1
	s_or_b32 exec_lo, exec_lo, s19
.LBB357_3808:                           ;   in Loop: Header=BB357_2083 Depth=1
	s_or_b32 exec_lo, exec_lo, s18
	v_cmp_ne_u16_sdwa s4, v24, v14 src0_sel:BYTE_1 src1_sel:DWORD
	s_and_saveexec_b32 s18, s4
	s_cbranch_execz .LBB357_3816
; %bb.3809:                             ;   in Loop: Header=BB357_2083 Depth=1
	v_cmp_ne_u16_sdwa s4, v24, v115 src0_sel:BYTE_1 src1_sel:DWORD
	v_bfrev_b32_e32 v1, 1
	s_and_saveexec_b32 s19, s4
	s_cbranch_execz .LBB357_3815
; %bb.3810:                             ;   in Loop: Header=BB357_2083 Depth=1
	v_mov_b32_e32 v1, 0xffff
	s_mov_b32 s20, exec_lo
	v_and_b32_sdwa v11, v1, v24 dst_sel:DWORD dst_unused:UNUSED_PAD src0_sel:DWORD src1_sel:BYTE_1
	v_mov_b32_e32 v1, 0x7f800001
	v_and_b32_e32 v10, 0x7f, v11
	v_cmpx_ne_u32_e32 0x7f, v10
	s_cbranch_execz .LBB357_3814
; %bb.3811:                             ;   in Loop: Header=BB357_2083 Depth=1
	v_and_b32_e32 v13, 7, v11
	v_mov_b32_e32 v27, v14
	v_lshrrev_b32_e32 v1, 3, v10
	s_mov_b32 s21, exec_lo
	v_mov_b32_e32 v26, v13
	v_cmpx_gt_u32_e32 8, v10
; %bb.3812:                             ;   in Loop: Header=BB357_2083 Depth=1
	v_ffbh_u32_e32 v1, v13
	v_min_u32_e32 v1, 32, v1
	v_subrev_nc_u32_e32 v10, 28, v1
	v_sub_nc_u32_e32 v1, 29, v1
	v_lshlrev_b64 v[10:11], v10, v[13:14]
	v_and_b32_e32 v26, 7, v10
; %bb.3813:                             ;   in Loop: Header=BB357_2083 Depth=1
	s_or_b32 exec_lo, exec_lo, s21
	v_lshlrev_b32_e32 v10, 16, v24
	v_lshlrev_b32_e32 v11, 20, v26
	v_lshl_add_u32 v1, v1, 23, 0x3c000000
	v_and_b32_e32 v10, 0x80000000, v10
	v_or3_b32 v1, v11, v10, v1
.LBB357_3814:                           ;   in Loop: Header=BB357_2083 Depth=1
	s_or_b32 exec_lo, exec_lo, s20
.LBB357_3815:                           ;   in Loop: Header=BB357_2083 Depth=1
	s_or_b32 exec_lo, exec_lo, s19
.LBB357_3816:                           ;   in Loop: Header=BB357_2083 Depth=1
	s_or_b32 exec_lo, exec_lo, s18
	v_and_b32_sdwa v13, v24, v117 dst_sel:DWORD dst_unused:UNUSED_PAD src0_sel:WORD_1 src1_sel:DWORD
	v_mov_b32_e32 v11, 0
	v_mov_b32_e32 v10, 0
	s_mov_b32 s18, exec_lo
	v_cmpx_ne_u16_e32 0, v13
	s_cbranch_execz .LBB357_3824
; %bb.3817:                             ;   in Loop: Header=BB357_2083 Depth=1
	v_bfrev_b32_e32 v10, 1
	s_mov_b32 s19, exec_lo
	v_cmpx_ne_u16_e32 0x80, v13
	s_cbranch_execz .LBB357_3823
; %bb.3818:                             ;   in Loop: Header=BB357_2083 Depth=1
	v_bfe_u32 v22, v24, 16, 7
	v_mov_b32_e32 v10, 0x7f800001
	s_mov_b32 s20, exec_lo
	v_cmpx_ne_u32_e32 0x7f, v22
	s_cbranch_execz .LBB357_3822
; %bb.3819:                             ;   in Loop: Header=BB357_2083 Depth=1
	v_mov_b32_e32 v10, 7
	s_mov_b32 s21, exec_lo
	v_and_b32_sdwa v13, v24, v10 dst_sel:DWORD dst_unused:UNUSED_PAD src0_sel:WORD_1 src1_sel:DWORD
	v_mov_b32_e32 v27, v14
	v_lshrrev_b32_e32 v10, 3, v22
	v_mov_b32_e32 v26, v13
	v_cmpx_gt_u32_e32 8, v22
; %bb.3820:                             ;   in Loop: Header=BB357_2083 Depth=1
	v_ffbh_u32_e32 v10, v13
	v_min_u32_e32 v10, 32, v10
	v_subrev_nc_u32_e32 v22, 28, v10
	v_sub_nc_u32_e32 v10, 29, v10
	v_lshlrev_b64 v[26:27], v22, v[13:14]
	v_and_b32_e32 v26, 7, v26
; %bb.3821:                             ;   in Loop: Header=BB357_2083 Depth=1
	s_or_b32 exec_lo, exec_lo, s21
	v_mov_b32_e32 v13, 24
	v_lshlrev_b32_e32 v22, 20, v26
	v_lshl_add_u32 v10, v10, 23, 0x3c000000
	v_lshlrev_b32_sdwa v13, v13, v24 dst_sel:DWORD dst_unused:UNUSED_PAD src0_sel:DWORD src1_sel:WORD_1
	v_and_b32_e32 v13, 0x80000000, v13
	v_or3_b32 v10, v22, v13, v10
.LBB357_3822:                           ;   in Loop: Header=BB357_2083 Depth=1
	s_or_b32 exec_lo, exec_lo, s20
.LBB357_3823:                           ;   in Loop: Header=BB357_2083 Depth=1
	s_or_b32 exec_lo, exec_lo, s19
.LBB357_3824:                           ;   in Loop: Header=BB357_2083 Depth=1
	s_or_b32 exec_lo, exec_lo, s18
	s_mov_b32 s18, exec_lo
	v_cmpx_lt_u32_e32 0xffffff, v24
	s_cbranch_execz .LBB357_3832
; %bb.3825:                             ;   in Loop: Header=BB357_2083 Depth=1
	v_cmp_ne_u32_sdwa s4, v24, v115 src0_sel:BYTE_3 src1_sel:DWORD
	v_bfrev_b32_e32 v11, 1
	s_and_saveexec_b32 s19, s4
	s_cbranch_execz .LBB357_3831
; %bb.3826:                             ;   in Loop: Header=BB357_2083 Depth=1
	v_bfe_u32 v22, v24, 24, 7
	v_mov_b32_e32 v11, 0x7f800001
	s_mov_b32 s20, exec_lo
	v_cmpx_ne_u32_e32 0x7f, v22
	s_cbranch_execz .LBB357_3830
; %bb.3827:                             ;   in Loop: Header=BB357_2083 Depth=1
	v_mov_b32_e32 v11, 7
	s_mov_b32 s21, exec_lo
	v_and_b32_sdwa v13, v24, v11 dst_sel:DWORD dst_unused:UNUSED_PAD src0_sel:BYTE_3 src1_sel:DWORD
	v_mov_b32_e32 v27, v14
	v_lshrrev_b32_e32 v11, 3, v22
	v_mov_b32_e32 v26, v13
	v_cmpx_gt_u32_e32 8, v22
; %bb.3828:                             ;   in Loop: Header=BB357_2083 Depth=1
	v_ffbh_u32_e32 v11, v13
	v_min_u32_e32 v11, 32, v11
	v_subrev_nc_u32_e32 v22, 28, v11
	v_sub_nc_u32_e32 v11, 29, v11
	v_lshlrev_b64 v[26:27], v22, v[13:14]
	v_and_b32_e32 v26, 7, v26
; %bb.3829:                             ;   in Loop: Header=BB357_2083 Depth=1
	s_or_b32 exec_lo, exec_lo, s21
	v_mov_b32_e32 v13, 24
	v_lshlrev_b32_e32 v22, 20, v26
	v_lshl_add_u32 v11, v11, 23, 0x3c000000
	v_lshlrev_b32_sdwa v13, v13, v24 dst_sel:DWORD dst_unused:UNUSED_PAD src0_sel:DWORD src1_sel:BYTE_3
	v_and_b32_e32 v13, 0x80000000, v13
	v_or3_b32 v11, v22, v13, v11
.LBB357_3830:                           ;   in Loop: Header=BB357_2083 Depth=1
	s_or_b32 exec_lo, exec_lo, s20
.LBB357_3831:                           ;   in Loop: Header=BB357_2083 Depth=1
	s_or_b32 exec_lo, exec_lo, s19
.LBB357_3832:                           ;   in Loop: Header=BB357_2083 Depth=1
	s_or_b32 exec_lo, exec_lo, s18
	v_mov_b32_e32 v13, v25
	v_cmp_ne_u16_sdwa s4, v25, v14 src0_sel:BYTE_0 src1_sel:DWORD
	v_mov_b32_e32 v35, 0
	v_mov_b32_e32 v34, 0
	s_and_saveexec_b32 s18, s4
	s_cbranch_execz .LBB357_3840
; %bb.3833:                             ;   in Loop: Header=BB357_2083 Depth=1
	v_cmp_ne_u16_sdwa s4, v25, v115 src0_sel:BYTE_0 src1_sel:DWORD
	v_bfrev_b32_e32 v34, 1
	s_and_saveexec_b32 s19, s4
	s_cbranch_execz .LBB357_3839
; %bb.3834:                             ;   in Loop: Header=BB357_2083 Depth=1
	v_and_b32_e32 v33, 0x7f, v25
	v_mov_b32_e32 v34, 0x7f800001
	s_mov_b32 s20, exec_lo
	v_cmpx_ne_u32_e32 0x7f, v33
	s_cbranch_execz .LBB357_3838
; %bb.3835:                             ;   in Loop: Header=BB357_2083 Depth=1
	v_mov_b32_e32 v27, v14
	v_mov_b32_e32 v26, v13
	v_lshrrev_b32_e32 v22, 3, v33
	s_mov_b32 s21, exec_lo
	v_cmpx_gt_u32_e32 8, v33
; %bb.3836:                             ;   in Loop: Header=BB357_2083 Depth=1
	v_and_b32_e32 v22, 7, v25
	v_ffbh_u32_e32 v22, v22
	v_min_u32_e32 v22, 32, v22
	v_subrev_nc_u32_e32 v26, 28, v22
	v_sub_nc_u32_e32 v22, 29, v22
	v_lshlrev_b64 v[26:27], v26, v[13:14]
; %bb.3837:                             ;   in Loop: Header=BB357_2083 Depth=1
	s_or_b32 exec_lo, exec_lo, s21
	v_lshlrev_b32_e32 v26, 20, v26
	v_lshlrev_b32_e32 v27, 24, v13
	v_lshl_add_u32 v22, v22, 23, 0x3c000000
	v_and_b32_e32 v26, 0x700000, v26
	v_and_b32_e32 v27, 0x80000000, v27
	v_or3_b32 v34, v26, v27, v22
.LBB357_3838:                           ;   in Loop: Header=BB357_2083 Depth=1
	s_or_b32 exec_lo, exec_lo, s20
.LBB357_3839:                           ;   in Loop: Header=BB357_2083 Depth=1
	s_or_b32 exec_lo, exec_lo, s19
.LBB357_3840:                           ;   in Loop: Header=BB357_2083 Depth=1
	s_or_b32 exec_lo, exec_lo, s18
	v_cmp_ne_u16_sdwa s4, v13, v14 src0_sel:BYTE_1 src1_sel:DWORD
	s_and_saveexec_b32 s18, s4
	s_cbranch_execz .LBB357_3848
; %bb.3841:                             ;   in Loop: Header=BB357_2083 Depth=1
	v_cmp_ne_u16_sdwa s4, v13, v115 src0_sel:BYTE_1 src1_sel:DWORD
	v_bfrev_b32_e32 v35, 1
	s_and_saveexec_b32 s19, s4
	s_cbranch_execz .LBB357_3847
; %bb.3842:                             ;   in Loop: Header=BB357_2083 Depth=1
	v_mov_b32_e32 v22, 0xffff
	v_mov_b32_e32 v35, 0x7f800001
	s_mov_b32 s20, exec_lo
	v_and_b32_sdwa v22, v22, v13 dst_sel:DWORD dst_unused:UNUSED_PAD src0_sel:DWORD src1_sel:BYTE_1
	v_and_b32_e32 v33, 0x7f, v22
	v_cmpx_ne_u32_e32 0x7f, v33
	s_cbranch_execz .LBB357_3846
; %bb.3843:                             ;   in Loop: Header=BB357_2083 Depth=1
	v_and_b32_e32 v26, 7, v22
	v_mov_b32_e32 v27, v14
	v_lshrrev_b32_e32 v22, 3, v33
	s_mov_b32 s21, exec_lo
	v_cmpx_gt_u32_e32 8, v33
; %bb.3844:                             ;   in Loop: Header=BB357_2083 Depth=1
	v_ffbh_u32_e32 v22, v26
	v_min_u32_e32 v22, 32, v22
	v_subrev_nc_u32_e32 v33, 28, v22
	v_sub_nc_u32_e32 v22, 29, v22
	v_lshlrev_b64 v[26:27], v33, v[26:27]
	v_and_b32_e32 v26, 7, v26
; %bb.3845:                             ;   in Loop: Header=BB357_2083 Depth=1
	s_or_b32 exec_lo, exec_lo, s21
	v_lshlrev_b32_e32 v13, 16, v13
	v_lshlrev_b32_e32 v26, 20, v26
	v_lshl_add_u32 v22, v22, 23, 0x3c000000
	v_and_b32_e32 v13, 0x80000000, v13
	v_or3_b32 v35, v26, v13, v22
.LBB357_3846:                           ;   in Loop: Header=BB357_2083 Depth=1
	s_or_b32 exec_lo, exec_lo, s20
.LBB357_3847:                           ;   in Loop: Header=BB357_2083 Depth=1
	s_or_b32 exec_lo, exec_lo, s19
.LBB357_3848:                           ;   in Loop: Header=BB357_2083 Depth=1
	s_or_b32 exec_lo, exec_lo, s18
	v_and_b32_sdwa v13, v25, v117 dst_sel:DWORD dst_unused:UNUSED_PAD src0_sel:WORD_1 src1_sel:DWORD
	v_mov_b32_e32 v22, 0
	v_mov_b32_e32 v33, 0
	s_mov_b32 s18, exec_lo
	v_cmpx_ne_u16_e32 0, v13
	s_cbranch_execz .LBB357_3856
; %bb.3849:                             ;   in Loop: Header=BB357_2083 Depth=1
	v_bfrev_b32_e32 v33, 1
	s_mov_b32 s19, exec_lo
	v_cmpx_ne_u16_e32 0x80, v13
	s_cbranch_execz .LBB357_3855
; %bb.3850:                             ;   in Loop: Header=BB357_2083 Depth=1
	v_bfe_u32 v37, v25, 16, 7
	v_mov_b32_e32 v33, 0x7f800001
	s_mov_b32 s20, exec_lo
	v_cmpx_ne_u32_e32 0x7f, v37
	s_cbranch_execz .LBB357_3854
; %bb.3851:                             ;   in Loop: Header=BB357_2083 Depth=1
	v_mov_b32_e32 v13, 7
	s_mov_b32 s21, exec_lo
	v_and_b32_sdwa v13, v25, v13 dst_sel:DWORD dst_unused:UNUSED_PAD src0_sel:WORD_1 src1_sel:DWORD
	v_mov_b32_e32 v27, v14
	v_lshrrev_b32_e32 v27, 3, v37
	v_mov_b32_e32 v26, v13
	v_cmpx_gt_u32_e32 8, v37
; %bb.3852:                             ;   in Loop: Header=BB357_2083 Depth=1
	v_ffbh_u32_e32 v26, v13
	v_min_u32_e32 v33, 32, v26
	v_subrev_nc_u32_e32 v26, 28, v33
	v_lshlrev_b64 v[26:27], v26, v[13:14]
	v_sub_nc_u32_e32 v27, 29, v33
	v_and_b32_e32 v26, 7, v26
; %bb.3853:                             ;   in Loop: Header=BB357_2083 Depth=1
	s_or_b32 exec_lo, exec_lo, s21
	v_mov_b32_e32 v13, 24
	v_lshlrev_b32_e32 v26, 20, v26
	v_lshl_add_u32 v27, v27, 23, 0x3c000000
	v_lshlrev_b32_sdwa v13, v13, v25 dst_sel:DWORD dst_unused:UNUSED_PAD src0_sel:DWORD src1_sel:WORD_1
	v_and_b32_e32 v13, 0x80000000, v13
	v_or3_b32 v33, v26, v13, v27
.LBB357_3854:                           ;   in Loop: Header=BB357_2083 Depth=1
	s_or_b32 exec_lo, exec_lo, s20
.LBB357_3855:                           ;   in Loop: Header=BB357_2083 Depth=1
	s_or_b32 exec_lo, exec_lo, s19
.LBB357_3856:                           ;   in Loop: Header=BB357_2083 Depth=1
	s_or_b32 exec_lo, exec_lo, s18
	s_mov_b32 s18, exec_lo
	v_cmpx_lt_u64_e64 s[6:7], v[24:25]
	s_cbranch_execz .LBB357_3864
; %bb.3857:                             ;   in Loop: Header=BB357_2083 Depth=1
	v_cmp_ne_u32_sdwa s4, v25, v115 src0_sel:BYTE_3 src1_sel:DWORD
	v_bfrev_b32_e32 v22, 1
	s_and_saveexec_b32 s19, s4
	s_cbranch_execz .LBB357_3863
; %bb.3858:                             ;   in Loop: Header=BB357_2083 Depth=1
	v_bfe_u32 v24, v25, 24, 7
	v_mov_b32_e32 v22, 0x7f800001
	s_mov_b32 s20, exec_lo
	v_cmpx_ne_u32_e32 0x7f, v24
	s_cbranch_execz .LBB357_3862
; %bb.3859:                             ;   in Loop: Header=BB357_2083 Depth=1
	v_mov_b32_e32 v13, 7
	v_lshrrev_b32_e32 v22, 3, v24
	s_mov_b32 s21, exec_lo
	v_and_b32_sdwa v13, v25, v13 dst_sel:DWORD dst_unused:UNUSED_PAD src0_sel:BYTE_3 src1_sel:DWORD
	v_mov_b32_e32 v27, v14
	v_mov_b32_e32 v26, v13
	v_cmpx_gt_u32_e32 8, v24
; %bb.3860:                             ;   in Loop: Header=BB357_2083 Depth=1
	v_ffbh_u32_e32 v22, v13
	v_min_u32_e32 v22, 32, v22
	v_subrev_nc_u32_e32 v24, 28, v22
	v_sub_nc_u32_e32 v22, 29, v22
	v_lshlrev_b64 v[26:27], v24, v[13:14]
	v_and_b32_e32 v26, 7, v26
; %bb.3861:                             ;   in Loop: Header=BB357_2083 Depth=1
	s_or_b32 exec_lo, exec_lo, s21
	v_mov_b32_e32 v13, 24
	v_lshlrev_b32_e32 v24, 20, v26
	v_lshl_add_u32 v22, v22, 23, 0x3c000000
	v_lshlrev_b32_sdwa v13, v13, v25 dst_sel:DWORD dst_unused:UNUSED_PAD src0_sel:DWORD src1_sel:BYTE_3
	v_and_b32_e32 v13, 0x80000000, v13
	v_or3_b32 v22, v24, v13, v22
.LBB357_3862:                           ;   in Loop: Header=BB357_2083 Depth=1
	s_or_b32 exec_lo, exec_lo, s20
.LBB357_3863:                           ;   in Loop: Header=BB357_2083 Depth=1
	s_or_b32 exec_lo, exec_lo, s19
.LBB357_3864:                           ;   in Loop: Header=BB357_2083 Depth=1
	s_or_b32 exec_lo, exec_lo, s18
	v_mul_f32_e32 v13, v23, v35
	v_mul_f32_e32 v11, v23, v11
	v_mul_f32_e32 v10, v23, v10
	v_mul_f32_e32 v1, v23, v1
	v_mul_f32_e32 v0, v23, v0
	v_bfe_u32 v24, v13, 16, 1
	v_or_b32_e32 v25, 0x400000, v13
	v_cmp_u_f32_e64 s4, v13, v13
	v_add3_u32 v24, v24, v13, 0x7fff
	v_cndmask_b32_e64 v13, v24, v25, s4
	v_lshrrev_b32_e32 v105, 16, v13
	v_mul_f32_e32 v13, v23, v34
	v_bfe_u32 v24, v13, 16, 1
	v_or_b32_e32 v25, 0x400000, v13
	v_cmp_u_f32_e64 s4, v13, v13
	v_add3_u32 v24, v24, v13, 0x7fff
	v_cndmask_b32_e64 v13, v24, v25, s4
	v_or_b32_e32 v24, 0x400000, v11
	v_cmp_u_f32_e64 s4, v11, v11
	v_lshrrev_b32_e32 v106, 16, v13
	v_bfe_u32 v13, v11, 16, 1
	v_add3_u32 v13, v13, v11, 0x7fff
	v_cndmask_b32_e64 v11, v13, v24, s4
	v_or_b32_e32 v13, 0x400000, v10
	v_cmp_u_f32_e64 s4, v10, v10
	v_lshrrev_b32_e32 v107, 16, v11
	v_bfe_u32 v11, v10, 16, 1
	;; [unrolled: 6-line block ×4, first 2 shown]
	v_add3_u32 v1, v1, v0, 0x7fff
	v_cndmask_b32_e64 v0, v1, v10, s4
	v_lshrrev_b32_e32 v111, 16, v0
	v_mul_f32_e32 v0, v23, v33
	v_bfe_u32 v1, v0, 16, 1
	v_or_b32_e32 v10, 0x400000, v0
	v_cmp_u_f32_e64 s4, v0, v0
	v_add3_u32 v1, v1, v0, 0x7fff
	v_cndmask_b32_e64 v0, v1, v10, s4
	v_lshrrev_b32_e32 v110, 16, v0
	v_mul_f32_e32 v0, v23, v22
	v_bfe_u32 v1, v0, 16, 1
	v_or_b32_e32 v10, 0x400000, v0
	v_cmp_u_f32_e64 s4, v0, v0
	v_add3_u32 v1, v1, v0, 0x7fff
	v_cndmask_b32_e64 v0, v1, v10, s4
	v_lshrrev_b32_e32 v120, 16, v0
	s_and_saveexec_b32 s18, vcc_lo
	s_cbranch_execz .LBB357_3866
; %bb.3865:                             ;   in Loop: Header=BB357_2083 Depth=1
	v_cmp_lt_i32_e64 s4, v102, v49
	v_cndmask_b32_e64 v111, 0, v111, s4
	v_cmp_lt_i32_e64 s4, v52, v49
	v_cndmask_b32_e64 v109, 0, v109, s4
	v_cmp_lt_i32_e64 s4, v51, v49
	v_cndmask_b32_e64 v108, 0, v108, s4
	v_cmp_lt_i32_e64 s4, v50, v49
	v_cndmask_b32_e64 v107, 0, v107, s4
	v_cmp_lt_i32_e64 s4, v32, v49
	v_cndmask_b32_e64 v106, 0, v106, s4
	v_cmp_lt_i32_e64 s4, v31, v49
	v_cndmask_b32_e64 v105, 0, v105, s4
	v_cmp_lt_i32_e64 s4, v18, v49
	v_cndmask_b32_e64 v110, 0, v110, s4
	v_cmp_lt_i32_e64 s4, v43, v49
	v_cndmask_b32_e64 v120, 0, v120, s4
.LBB357_3866:                           ;   in Loop: Header=BB357_2083 Depth=1
	s_or_b32 exec_lo, exec_lo, s18
	flat_load_dwordx2 v[24:25], v[19:20] offset:768
	v_mov_b32_e32 v1, 0
	v_mov_b32_e32 v0, 0
	s_waitcnt vmcnt(0) lgkmcnt(0)
	v_cmp_ne_u16_sdwa s4, v24, v14 src0_sel:BYTE_0 src1_sel:DWORD
	s_and_saveexec_b32 s18, s4
	s_cbranch_execz .LBB357_3874
; %bb.3867:                             ;   in Loop: Header=BB357_2083 Depth=1
	v_cmp_ne_u16_sdwa s4, v24, v115 src0_sel:BYTE_0 src1_sel:DWORD
	v_bfrev_b32_e32 v0, 1
	s_and_saveexec_b32 s19, s4
	s_cbranch_execz .LBB357_3873
; %bb.3868:                             ;   in Loop: Header=BB357_2083 Depth=1
	v_and_b32_e32 v10, 0x7f, v24
	v_mov_b32_e32 v0, 0x7f800001
	s_mov_b32 s20, exec_lo
	v_cmpx_ne_u32_e32 0x7f, v10
	s_cbranch_execz .LBB357_3872
; %bb.3869:                             ;   in Loop: Header=BB357_2083 Depth=1
	v_mov_b32_e32 v27, v25
	v_lshrrev_b32_e32 v0, 3, v10
	v_mov_b32_e32 v26, v24
	s_mov_b32 s21, exec_lo
	v_cmpx_gt_u32_e32 8, v10
; %bb.3870:                             ;   in Loop: Header=BB357_2083 Depth=1
	v_and_b32_e32 v0, 7, v24
	v_ffbh_u32_e32 v0, v0
	v_min_u32_e32 v0, 32, v0
	v_subrev_nc_u32_e32 v10, 28, v0
	v_sub_nc_u32_e32 v0, 29, v0
	v_lshlrev_b64 v[26:27], v10, v[24:25]
; %bb.3871:                             ;   in Loop: Header=BB357_2083 Depth=1
	s_or_b32 exec_lo, exec_lo, s21
	v_lshlrev_b32_e32 v10, 20, v26
	v_lshlrev_b32_e32 v11, 24, v24
	v_lshl_add_u32 v0, v0, 23, 0x3c000000
	v_and_b32_e32 v10, 0x700000, v10
	v_and_b32_e32 v11, 0x80000000, v11
	v_or3_b32 v0, v10, v11, v0
.LBB357_3872:                           ;   in Loop: Header=BB357_2083 Depth=1
	s_or_b32 exec_lo, exec_lo, s20
.LBB357_3873:                           ;   in Loop: Header=BB357_2083 Depth=1
	s_or_b32 exec_lo, exec_lo, s19
.LBB357_3874:                           ;   in Loop: Header=BB357_2083 Depth=1
	s_or_b32 exec_lo, exec_lo, s18
	v_cmp_ne_u16_sdwa s4, v24, v14 src0_sel:BYTE_1 src1_sel:DWORD
	s_and_saveexec_b32 s18, s4
	s_cbranch_execz .LBB357_3882
; %bb.3875:                             ;   in Loop: Header=BB357_2083 Depth=1
	v_cmp_ne_u16_sdwa s4, v24, v115 src0_sel:BYTE_1 src1_sel:DWORD
	v_bfrev_b32_e32 v1, 1
	s_and_saveexec_b32 s19, s4
	s_cbranch_execz .LBB357_3881
; %bb.3876:                             ;   in Loop: Header=BB357_2083 Depth=1
	v_mov_b32_e32 v1, 0xffff
	s_mov_b32 s20, exec_lo
	v_and_b32_sdwa v11, v1, v24 dst_sel:DWORD dst_unused:UNUSED_PAD src0_sel:DWORD src1_sel:BYTE_1
	v_mov_b32_e32 v1, 0x7f800001
	v_and_b32_e32 v10, 0x7f, v11
	v_cmpx_ne_u32_e32 0x7f, v10
	s_cbranch_execz .LBB357_3880
; %bb.3877:                             ;   in Loop: Header=BB357_2083 Depth=1
	v_and_b32_e32 v13, 7, v11
	v_mov_b32_e32 v27, v14
	v_lshrrev_b32_e32 v1, 3, v10
	s_mov_b32 s21, exec_lo
	v_mov_b32_e32 v26, v13
	v_cmpx_gt_u32_e32 8, v10
; %bb.3878:                             ;   in Loop: Header=BB357_2083 Depth=1
	v_ffbh_u32_e32 v1, v13
	v_min_u32_e32 v1, 32, v1
	v_subrev_nc_u32_e32 v10, 28, v1
	v_sub_nc_u32_e32 v1, 29, v1
	v_lshlrev_b64 v[10:11], v10, v[13:14]
	v_and_b32_e32 v26, 7, v10
; %bb.3879:                             ;   in Loop: Header=BB357_2083 Depth=1
	s_or_b32 exec_lo, exec_lo, s21
	v_lshlrev_b32_e32 v10, 16, v24
	v_lshlrev_b32_e32 v11, 20, v26
	v_lshl_add_u32 v1, v1, 23, 0x3c000000
	v_and_b32_e32 v10, 0x80000000, v10
	v_or3_b32 v1, v11, v10, v1
.LBB357_3880:                           ;   in Loop: Header=BB357_2083 Depth=1
	s_or_b32 exec_lo, exec_lo, s20
.LBB357_3881:                           ;   in Loop: Header=BB357_2083 Depth=1
	s_or_b32 exec_lo, exec_lo, s19
.LBB357_3882:                           ;   in Loop: Header=BB357_2083 Depth=1
	s_or_b32 exec_lo, exec_lo, s18
	v_and_b32_sdwa v13, v24, v117 dst_sel:DWORD dst_unused:UNUSED_PAD src0_sel:WORD_1 src1_sel:DWORD
	v_mov_b32_e32 v11, 0
	v_mov_b32_e32 v10, 0
	s_mov_b32 s18, exec_lo
	v_cmpx_ne_u16_e32 0, v13
	s_cbranch_execz .LBB357_3890
; %bb.3883:                             ;   in Loop: Header=BB357_2083 Depth=1
	v_bfrev_b32_e32 v10, 1
	s_mov_b32 s19, exec_lo
	v_cmpx_ne_u16_e32 0x80, v13
	s_cbranch_execz .LBB357_3889
; %bb.3884:                             ;   in Loop: Header=BB357_2083 Depth=1
	v_bfe_u32 v22, v24, 16, 7
	v_mov_b32_e32 v10, 0x7f800001
	s_mov_b32 s20, exec_lo
	v_cmpx_ne_u32_e32 0x7f, v22
	s_cbranch_execz .LBB357_3888
; %bb.3885:                             ;   in Loop: Header=BB357_2083 Depth=1
	v_mov_b32_e32 v10, 7
	s_mov_b32 s21, exec_lo
	v_and_b32_sdwa v13, v24, v10 dst_sel:DWORD dst_unused:UNUSED_PAD src0_sel:WORD_1 src1_sel:DWORD
	v_mov_b32_e32 v27, v14
	v_lshrrev_b32_e32 v10, 3, v22
	v_mov_b32_e32 v26, v13
	v_cmpx_gt_u32_e32 8, v22
; %bb.3886:                             ;   in Loop: Header=BB357_2083 Depth=1
	v_ffbh_u32_e32 v10, v13
	v_min_u32_e32 v10, 32, v10
	v_subrev_nc_u32_e32 v22, 28, v10
	v_sub_nc_u32_e32 v10, 29, v10
	v_lshlrev_b64 v[26:27], v22, v[13:14]
	v_and_b32_e32 v26, 7, v26
; %bb.3887:                             ;   in Loop: Header=BB357_2083 Depth=1
	s_or_b32 exec_lo, exec_lo, s21
	v_mov_b32_e32 v13, 24
	v_lshlrev_b32_e32 v22, 20, v26
	v_lshl_add_u32 v10, v10, 23, 0x3c000000
	v_lshlrev_b32_sdwa v13, v13, v24 dst_sel:DWORD dst_unused:UNUSED_PAD src0_sel:DWORD src1_sel:WORD_1
	v_and_b32_e32 v13, 0x80000000, v13
	v_or3_b32 v10, v22, v13, v10
.LBB357_3888:                           ;   in Loop: Header=BB357_2083 Depth=1
	s_or_b32 exec_lo, exec_lo, s20
.LBB357_3889:                           ;   in Loop: Header=BB357_2083 Depth=1
	s_or_b32 exec_lo, exec_lo, s19
.LBB357_3890:                           ;   in Loop: Header=BB357_2083 Depth=1
	s_or_b32 exec_lo, exec_lo, s18
	s_mov_b32 s18, exec_lo
	v_cmpx_lt_u32_e32 0xffffff, v24
	s_cbranch_execz .LBB357_3898
; %bb.3891:                             ;   in Loop: Header=BB357_2083 Depth=1
	v_cmp_ne_u32_sdwa s4, v24, v115 src0_sel:BYTE_3 src1_sel:DWORD
	v_bfrev_b32_e32 v11, 1
	s_and_saveexec_b32 s19, s4
	s_cbranch_execz .LBB357_3897
; %bb.3892:                             ;   in Loop: Header=BB357_2083 Depth=1
	v_bfe_u32 v22, v24, 24, 7
	v_mov_b32_e32 v11, 0x7f800001
	s_mov_b32 s20, exec_lo
	v_cmpx_ne_u32_e32 0x7f, v22
	s_cbranch_execz .LBB357_3896
; %bb.3893:                             ;   in Loop: Header=BB357_2083 Depth=1
	v_mov_b32_e32 v11, 7
	s_mov_b32 s21, exec_lo
	v_and_b32_sdwa v13, v24, v11 dst_sel:DWORD dst_unused:UNUSED_PAD src0_sel:BYTE_3 src1_sel:DWORD
	v_mov_b32_e32 v27, v14
	v_lshrrev_b32_e32 v11, 3, v22
	v_mov_b32_e32 v26, v13
	v_cmpx_gt_u32_e32 8, v22
; %bb.3894:                             ;   in Loop: Header=BB357_2083 Depth=1
	v_ffbh_u32_e32 v11, v13
	v_min_u32_e32 v11, 32, v11
	v_subrev_nc_u32_e32 v22, 28, v11
	v_sub_nc_u32_e32 v11, 29, v11
	v_lshlrev_b64 v[26:27], v22, v[13:14]
	v_and_b32_e32 v26, 7, v26
; %bb.3895:                             ;   in Loop: Header=BB357_2083 Depth=1
	s_or_b32 exec_lo, exec_lo, s21
	v_mov_b32_e32 v13, 24
	v_lshlrev_b32_e32 v22, 20, v26
	v_lshl_add_u32 v11, v11, 23, 0x3c000000
	v_lshlrev_b32_sdwa v13, v13, v24 dst_sel:DWORD dst_unused:UNUSED_PAD src0_sel:DWORD src1_sel:BYTE_3
	v_and_b32_e32 v13, 0x80000000, v13
	v_or3_b32 v11, v22, v13, v11
.LBB357_3896:                           ;   in Loop: Header=BB357_2083 Depth=1
	s_or_b32 exec_lo, exec_lo, s20
.LBB357_3897:                           ;   in Loop: Header=BB357_2083 Depth=1
	s_or_b32 exec_lo, exec_lo, s19
.LBB357_3898:                           ;   in Loop: Header=BB357_2083 Depth=1
	s_or_b32 exec_lo, exec_lo, s18
	v_mov_b32_e32 v13, v25
	v_cmp_ne_u16_sdwa s4, v25, v14 src0_sel:BYTE_0 src1_sel:DWORD
	v_mov_b32_e32 v35, 0
	v_mov_b32_e32 v34, 0
	s_and_saveexec_b32 s18, s4
	s_cbranch_execz .LBB357_3906
; %bb.3899:                             ;   in Loop: Header=BB357_2083 Depth=1
	v_cmp_ne_u16_sdwa s4, v25, v115 src0_sel:BYTE_0 src1_sel:DWORD
	v_bfrev_b32_e32 v34, 1
	s_and_saveexec_b32 s19, s4
	s_cbranch_execz .LBB357_3905
; %bb.3900:                             ;   in Loop: Header=BB357_2083 Depth=1
	v_and_b32_e32 v33, 0x7f, v25
	v_mov_b32_e32 v34, 0x7f800001
	s_mov_b32 s20, exec_lo
	v_cmpx_ne_u32_e32 0x7f, v33
	s_cbranch_execz .LBB357_3904
; %bb.3901:                             ;   in Loop: Header=BB357_2083 Depth=1
	v_mov_b32_e32 v27, v14
	v_mov_b32_e32 v26, v13
	v_lshrrev_b32_e32 v22, 3, v33
	s_mov_b32 s21, exec_lo
	v_cmpx_gt_u32_e32 8, v33
; %bb.3902:                             ;   in Loop: Header=BB357_2083 Depth=1
	v_and_b32_e32 v22, 7, v25
	v_ffbh_u32_e32 v22, v22
	v_min_u32_e32 v22, 32, v22
	v_subrev_nc_u32_e32 v26, 28, v22
	v_sub_nc_u32_e32 v22, 29, v22
	v_lshlrev_b64 v[26:27], v26, v[13:14]
; %bb.3903:                             ;   in Loop: Header=BB357_2083 Depth=1
	s_or_b32 exec_lo, exec_lo, s21
	v_lshlrev_b32_e32 v26, 20, v26
	v_lshlrev_b32_e32 v27, 24, v13
	v_lshl_add_u32 v22, v22, 23, 0x3c000000
	v_and_b32_e32 v26, 0x700000, v26
	v_and_b32_e32 v27, 0x80000000, v27
	v_or3_b32 v34, v26, v27, v22
.LBB357_3904:                           ;   in Loop: Header=BB357_2083 Depth=1
	s_or_b32 exec_lo, exec_lo, s20
.LBB357_3905:                           ;   in Loop: Header=BB357_2083 Depth=1
	s_or_b32 exec_lo, exec_lo, s19
.LBB357_3906:                           ;   in Loop: Header=BB357_2083 Depth=1
	s_or_b32 exec_lo, exec_lo, s18
	v_cmp_ne_u16_sdwa s4, v13, v14 src0_sel:BYTE_1 src1_sel:DWORD
	s_and_saveexec_b32 s18, s4
	s_cbranch_execz .LBB357_3914
; %bb.3907:                             ;   in Loop: Header=BB357_2083 Depth=1
	v_cmp_ne_u16_sdwa s4, v13, v115 src0_sel:BYTE_1 src1_sel:DWORD
	v_bfrev_b32_e32 v35, 1
	s_and_saveexec_b32 s19, s4
	s_cbranch_execz .LBB357_3913
; %bb.3908:                             ;   in Loop: Header=BB357_2083 Depth=1
	v_mov_b32_e32 v22, 0xffff
	v_mov_b32_e32 v35, 0x7f800001
	s_mov_b32 s20, exec_lo
	v_and_b32_sdwa v22, v22, v13 dst_sel:DWORD dst_unused:UNUSED_PAD src0_sel:DWORD src1_sel:BYTE_1
	v_and_b32_e32 v33, 0x7f, v22
	v_cmpx_ne_u32_e32 0x7f, v33
	s_cbranch_execz .LBB357_3912
; %bb.3909:                             ;   in Loop: Header=BB357_2083 Depth=1
	v_and_b32_e32 v26, 7, v22
	v_mov_b32_e32 v27, v14
	v_lshrrev_b32_e32 v22, 3, v33
	s_mov_b32 s21, exec_lo
	v_cmpx_gt_u32_e32 8, v33
; %bb.3910:                             ;   in Loop: Header=BB357_2083 Depth=1
	v_ffbh_u32_e32 v22, v26
	v_min_u32_e32 v22, 32, v22
	v_subrev_nc_u32_e32 v33, 28, v22
	v_sub_nc_u32_e32 v22, 29, v22
	v_lshlrev_b64 v[26:27], v33, v[26:27]
	v_and_b32_e32 v26, 7, v26
; %bb.3911:                             ;   in Loop: Header=BB357_2083 Depth=1
	s_or_b32 exec_lo, exec_lo, s21
	v_lshlrev_b32_e32 v13, 16, v13
	v_lshlrev_b32_e32 v26, 20, v26
	v_lshl_add_u32 v22, v22, 23, 0x3c000000
	v_and_b32_e32 v13, 0x80000000, v13
	v_or3_b32 v35, v26, v13, v22
.LBB357_3912:                           ;   in Loop: Header=BB357_2083 Depth=1
	s_or_b32 exec_lo, exec_lo, s20
.LBB357_3913:                           ;   in Loop: Header=BB357_2083 Depth=1
	s_or_b32 exec_lo, exec_lo, s19
.LBB357_3914:                           ;   in Loop: Header=BB357_2083 Depth=1
	s_or_b32 exec_lo, exec_lo, s18
	v_and_b32_sdwa v13, v25, v117 dst_sel:DWORD dst_unused:UNUSED_PAD src0_sel:WORD_1 src1_sel:DWORD
	v_mov_b32_e32 v22, 0
	v_mov_b32_e32 v33, 0
	s_mov_b32 s18, exec_lo
	v_cmpx_ne_u16_e32 0, v13
	s_cbranch_execz .LBB357_3922
; %bb.3915:                             ;   in Loop: Header=BB357_2083 Depth=1
	v_bfrev_b32_e32 v33, 1
	s_mov_b32 s19, exec_lo
	v_cmpx_ne_u16_e32 0x80, v13
	s_cbranch_execz .LBB357_3921
; %bb.3916:                             ;   in Loop: Header=BB357_2083 Depth=1
	v_bfe_u32 v37, v25, 16, 7
	v_mov_b32_e32 v33, 0x7f800001
	s_mov_b32 s20, exec_lo
	v_cmpx_ne_u32_e32 0x7f, v37
	s_cbranch_execz .LBB357_3920
; %bb.3917:                             ;   in Loop: Header=BB357_2083 Depth=1
	v_mov_b32_e32 v13, 7
	s_mov_b32 s21, exec_lo
	v_and_b32_sdwa v13, v25, v13 dst_sel:DWORD dst_unused:UNUSED_PAD src0_sel:WORD_1 src1_sel:DWORD
	v_mov_b32_e32 v27, v14
	v_lshrrev_b32_e32 v27, 3, v37
	v_mov_b32_e32 v26, v13
	v_cmpx_gt_u32_e32 8, v37
; %bb.3918:                             ;   in Loop: Header=BB357_2083 Depth=1
	v_ffbh_u32_e32 v26, v13
	v_min_u32_e32 v33, 32, v26
	v_subrev_nc_u32_e32 v26, 28, v33
	v_lshlrev_b64 v[26:27], v26, v[13:14]
	v_sub_nc_u32_e32 v27, 29, v33
	v_and_b32_e32 v26, 7, v26
; %bb.3919:                             ;   in Loop: Header=BB357_2083 Depth=1
	s_or_b32 exec_lo, exec_lo, s21
	v_mov_b32_e32 v13, 24
	v_lshlrev_b32_e32 v26, 20, v26
	v_lshl_add_u32 v27, v27, 23, 0x3c000000
	v_lshlrev_b32_sdwa v13, v13, v25 dst_sel:DWORD dst_unused:UNUSED_PAD src0_sel:DWORD src1_sel:WORD_1
	v_and_b32_e32 v13, 0x80000000, v13
	v_or3_b32 v33, v26, v13, v27
.LBB357_3920:                           ;   in Loop: Header=BB357_2083 Depth=1
	s_or_b32 exec_lo, exec_lo, s20
.LBB357_3921:                           ;   in Loop: Header=BB357_2083 Depth=1
	s_or_b32 exec_lo, exec_lo, s19
.LBB357_3922:                           ;   in Loop: Header=BB357_2083 Depth=1
	s_or_b32 exec_lo, exec_lo, s18
	s_mov_b32 s18, exec_lo
	v_cmpx_lt_u64_e64 s[6:7], v[24:25]
	s_cbranch_execz .LBB357_3930
; %bb.3923:                             ;   in Loop: Header=BB357_2083 Depth=1
	v_cmp_ne_u32_sdwa s4, v25, v115 src0_sel:BYTE_3 src1_sel:DWORD
	v_bfrev_b32_e32 v22, 1
	s_and_saveexec_b32 s19, s4
	s_cbranch_execz .LBB357_3929
; %bb.3924:                             ;   in Loop: Header=BB357_2083 Depth=1
	v_bfe_u32 v24, v25, 24, 7
	v_mov_b32_e32 v22, 0x7f800001
	s_mov_b32 s20, exec_lo
	v_cmpx_ne_u32_e32 0x7f, v24
	s_cbranch_execz .LBB357_3928
; %bb.3925:                             ;   in Loop: Header=BB357_2083 Depth=1
	v_mov_b32_e32 v13, 7
	v_lshrrev_b32_e32 v22, 3, v24
	s_mov_b32 s21, exec_lo
	v_and_b32_sdwa v13, v25, v13 dst_sel:DWORD dst_unused:UNUSED_PAD src0_sel:BYTE_3 src1_sel:DWORD
	v_mov_b32_e32 v27, v14
	v_mov_b32_e32 v26, v13
	v_cmpx_gt_u32_e32 8, v24
; %bb.3926:                             ;   in Loop: Header=BB357_2083 Depth=1
	v_ffbh_u32_e32 v22, v13
	v_min_u32_e32 v22, 32, v22
	v_subrev_nc_u32_e32 v24, 28, v22
	v_sub_nc_u32_e32 v22, 29, v22
	v_lshlrev_b64 v[26:27], v24, v[13:14]
	v_and_b32_e32 v26, 7, v26
; %bb.3927:                             ;   in Loop: Header=BB357_2083 Depth=1
	s_or_b32 exec_lo, exec_lo, s21
	v_mov_b32_e32 v13, 24
	v_lshlrev_b32_e32 v24, 20, v26
	v_lshl_add_u32 v22, v22, 23, 0x3c000000
	v_lshlrev_b32_sdwa v13, v13, v25 dst_sel:DWORD dst_unused:UNUSED_PAD src0_sel:DWORD src1_sel:BYTE_3
	v_and_b32_e32 v13, 0x80000000, v13
	v_or3_b32 v22, v24, v13, v22
.LBB357_3928:                           ;   in Loop: Header=BB357_2083 Depth=1
	s_or_b32 exec_lo, exec_lo, s20
.LBB357_3929:                           ;   in Loop: Header=BB357_2083 Depth=1
	s_or_b32 exec_lo, exec_lo, s19
.LBB357_3930:                           ;   in Loop: Header=BB357_2083 Depth=1
	s_or_b32 exec_lo, exec_lo, s18
	v_mul_f32_e32 v13, v23, v35
	v_mul_f32_e32 v11, v23, v11
	;; [unrolled: 1-line block ×5, first 2 shown]
	v_bfe_u32 v24, v13, 16, 1
	v_or_b32_e32 v25, 0x400000, v13
	v_cmp_u_f32_e64 s4, v13, v13
	v_add3_u32 v24, v24, v13, 0x7fff
	v_cndmask_b32_e64 v13, v24, v25, s4
	v_lshrrev_b32_e32 v121, 16, v13
	v_mul_f32_e32 v13, v23, v34
	v_bfe_u32 v24, v13, 16, 1
	v_or_b32_e32 v25, 0x400000, v13
	v_cmp_u_f32_e64 s4, v13, v13
	v_add3_u32 v24, v24, v13, 0x7fff
	v_cndmask_b32_e64 v13, v24, v25, s4
	v_or_b32_e32 v24, 0x400000, v11
	v_cmp_u_f32_e64 s4, v11, v11
	v_lshrrev_b32_e32 v122, 16, v13
	v_bfe_u32 v13, v11, 16, 1
	v_add3_u32 v13, v13, v11, 0x7fff
	v_cndmask_b32_e64 v11, v13, v24, s4
	v_or_b32_e32 v13, 0x400000, v10
	v_cmp_u_f32_e64 s4, v10, v10
	v_lshrrev_b32_e32 v123, 16, v11
	v_bfe_u32 v11, v10, 16, 1
	;; [unrolled: 6-line block ×4, first 2 shown]
	v_add3_u32 v1, v1, v0, 0x7fff
	v_cndmask_b32_e64 v0, v1, v10, s4
	v_lshrrev_b32_e32 v127, 16, v0
	v_mul_f32_e32 v0, v23, v33
	v_bfe_u32 v1, v0, 16, 1
	v_or_b32_e32 v10, 0x400000, v0
	v_cmp_u_f32_e64 s4, v0, v0
	v_add3_u32 v1, v1, v0, 0x7fff
	v_cndmask_b32_e64 v0, v1, v10, s4
	v_lshrrev_b32_e32 v126, 16, v0
	v_mul_f32_e32 v0, v23, v22
	v_bfe_u32 v1, v0, 16, 1
	v_or_b32_e32 v10, 0x400000, v0
	v_cmp_u_f32_e64 s4, v0, v0
	v_add3_u32 v1, v1, v0, 0x7fff
	v_cndmask_b32_e64 v0, v1, v10, s4
	v_lshrrev_b32_e32 v34, 16, v0
	s_and_saveexec_b32 s18, vcc_lo
	s_cbranch_execz .LBB357_3932
; %bb.3931:                             ;   in Loop: Header=BB357_2083 Depth=1
	v_cmp_lt_i32_e64 s4, v102, v49
	v_cndmask_b32_e64 v127, 0, v127, s4
	v_cmp_lt_i32_e64 s4, v52, v49
	v_cndmask_b32_e64 v125, 0, v125, s4
	;; [unrolled: 2-line block ×8, first 2 shown]
.LBB357_3932:                           ;   in Loop: Header=BB357_2083 Depth=1
	s_or_b32 exec_lo, exec_lo, s18
	flat_load_dwordx2 v[24:25], v[19:20] offset:1024
	v_mov_b32_e32 v11, 0
	v_mov_b32_e32 v10, 0
	s_waitcnt vmcnt(0) lgkmcnt(0)
	v_cmp_ne_u16_sdwa s4, v24, v14 src0_sel:BYTE_0 src1_sel:DWORD
	s_and_saveexec_b32 s18, s4
	s_cbranch_execz .LBB357_3940
; %bb.3933:                             ;   in Loop: Header=BB357_2083 Depth=1
	v_cmp_ne_u16_sdwa s4, v24, v115 src0_sel:BYTE_0 src1_sel:DWORD
	v_bfrev_b32_e32 v10, 1
	s_and_saveexec_b32 s19, s4
	s_cbranch_execz .LBB357_3939
; %bb.3934:                             ;   in Loop: Header=BB357_2083 Depth=1
	v_and_b32_e32 v1, 0x7f, v24
	v_mov_b32_e32 v10, 0x7f800001
	s_mov_b32 s20, exec_lo
	v_cmpx_ne_u32_e32 0x7f, v1
	s_cbranch_execz .LBB357_3938
; %bb.3935:                             ;   in Loop: Header=BB357_2083 Depth=1
	v_mov_b32_e32 v27, v25
	v_lshrrev_b32_e32 v0, 3, v1
	v_mov_b32_e32 v26, v24
	s_mov_b32 s21, exec_lo
	v_cmpx_gt_u32_e32 8, v1
; %bb.3936:                             ;   in Loop: Header=BB357_2083 Depth=1
	v_and_b32_e32 v0, 7, v24
	v_ffbh_u32_e32 v0, v0
	v_min_u32_e32 v0, 32, v0
	v_subrev_nc_u32_e32 v1, 28, v0
	v_sub_nc_u32_e32 v0, 29, v0
	v_lshlrev_b64 v[26:27], v1, v[24:25]
; %bb.3937:                             ;   in Loop: Header=BB357_2083 Depth=1
	s_or_b32 exec_lo, exec_lo, s21
	v_lshlrev_b32_e32 v1, 20, v26
	v_lshlrev_b32_e32 v10, 24, v24
	v_lshl_add_u32 v0, v0, 23, 0x3c000000
	v_and_b32_e32 v1, 0x700000, v1
	v_and_b32_e32 v10, 0x80000000, v10
	v_or3_b32 v10, v1, v10, v0
.LBB357_3938:                           ;   in Loop: Header=BB357_2083 Depth=1
	s_or_b32 exec_lo, exec_lo, s20
.LBB357_3939:                           ;   in Loop: Header=BB357_2083 Depth=1
	s_or_b32 exec_lo, exec_lo, s19
.LBB357_3940:                           ;   in Loop: Header=BB357_2083 Depth=1
	s_or_b32 exec_lo, exec_lo, s18
	v_cmp_ne_u16_sdwa s4, v24, v14 src0_sel:BYTE_1 src1_sel:DWORD
	s_and_saveexec_b32 s18, s4
	s_cbranch_execz .LBB357_3948
; %bb.3941:                             ;   in Loop: Header=BB357_2083 Depth=1
	v_cmp_ne_u16_sdwa s4, v24, v115 src0_sel:BYTE_1 src1_sel:DWORD
	v_bfrev_b32_e32 v11, 1
	s_and_saveexec_b32 s19, s4
	s_cbranch_execz .LBB357_3947
; %bb.3942:                             ;   in Loop: Header=BB357_2083 Depth=1
	v_mov_b32_e32 v0, 0xffff
	v_mov_b32_e32 v11, 0x7f800001
	s_mov_b32 s20, exec_lo
	v_and_b32_sdwa v0, v0, v24 dst_sel:DWORD dst_unused:UNUSED_PAD src0_sel:DWORD src1_sel:BYTE_1
	v_and_b32_e32 v1, 0x7f, v0
	v_cmpx_ne_u32_e32 0x7f, v1
	s_cbranch_execz .LBB357_3946
; %bb.3943:                             ;   in Loop: Header=BB357_2083 Depth=1
	v_and_b32_e32 v13, 7, v0
	v_mov_b32_e32 v27, v14
	v_lshrrev_b32_e32 v0, 3, v1
	s_mov_b32 s21, exec_lo
	v_mov_b32_e32 v26, v13
	v_cmpx_gt_u32_e32 8, v1
; %bb.3944:                             ;   in Loop: Header=BB357_2083 Depth=1
	v_ffbh_u32_e32 v0, v13
	v_min_u32_e32 v0, 32, v0
	v_subrev_nc_u32_e32 v1, 28, v0
	v_sub_nc_u32_e32 v0, 29, v0
	v_lshlrev_b64 v[26:27], v1, v[13:14]
	v_and_b32_e32 v26, 7, v26
; %bb.3945:                             ;   in Loop: Header=BB357_2083 Depth=1
	s_or_b32 exec_lo, exec_lo, s21
	v_lshlrev_b32_e32 v1, 16, v24
	v_lshlrev_b32_e32 v11, 20, v26
	v_lshl_add_u32 v0, v0, 23, 0x3c000000
	v_and_b32_e32 v1, 0x80000000, v1
	v_or3_b32 v11, v11, v1, v0
.LBB357_3946:                           ;   in Loop: Header=BB357_2083 Depth=1
	s_or_b32 exec_lo, exec_lo, s20
.LBB357_3947:                           ;   in Loop: Header=BB357_2083 Depth=1
	s_or_b32 exec_lo, exec_lo, s19
.LBB357_3948:                           ;   in Loop: Header=BB357_2083 Depth=1
	s_or_b32 exec_lo, exec_lo, s18
	v_and_b32_sdwa v0, v24, v117 dst_sel:DWORD dst_unused:UNUSED_PAD src0_sel:WORD_1 src1_sel:DWORD
	v_mov_b32_e32 v33, 0
	v_mov_b32_e32 v22, 0
	s_mov_b32 s18, exec_lo
	v_cmpx_ne_u16_e32 0, v0
	s_cbranch_execz .LBB357_3956
; %bb.3949:                             ;   in Loop: Header=BB357_2083 Depth=1
	v_bfrev_b32_e32 v22, 1
	s_mov_b32 s19, exec_lo
	v_cmpx_ne_u16_e32 0x80, v0
	s_cbranch_execz .LBB357_3955
; %bb.3950:                             ;   in Loop: Header=BB357_2083 Depth=1
	v_bfe_u32 v1, v24, 16, 7
	v_mov_b32_e32 v22, 0x7f800001
	s_mov_b32 s20, exec_lo
	v_cmpx_ne_u32_e32 0x7f, v1
	s_cbranch_execz .LBB357_3954
; %bb.3951:                             ;   in Loop: Header=BB357_2083 Depth=1
	v_mov_b32_e32 v0, 7
	s_mov_b32 s21, exec_lo
	v_and_b32_sdwa v13, v24, v0 dst_sel:DWORD dst_unused:UNUSED_PAD src0_sel:WORD_1 src1_sel:DWORD
	v_mov_b32_e32 v27, v14
	v_lshrrev_b32_e32 v0, 3, v1
	v_mov_b32_e32 v26, v13
	v_cmpx_gt_u32_e32 8, v1
; %bb.3952:                             ;   in Loop: Header=BB357_2083 Depth=1
	v_ffbh_u32_e32 v0, v13
	v_min_u32_e32 v0, 32, v0
	v_subrev_nc_u32_e32 v1, 28, v0
	v_sub_nc_u32_e32 v0, 29, v0
	v_lshlrev_b64 v[26:27], v1, v[13:14]
	v_and_b32_e32 v26, 7, v26
; %bb.3953:                             ;   in Loop: Header=BB357_2083 Depth=1
	s_or_b32 exec_lo, exec_lo, s21
	v_mov_b32_e32 v1, 24
	v_lshlrev_b32_e32 v13, 20, v26
	v_lshl_add_u32 v0, v0, 23, 0x3c000000
	v_lshlrev_b32_sdwa v1, v1, v24 dst_sel:DWORD dst_unused:UNUSED_PAD src0_sel:DWORD src1_sel:WORD_1
	v_and_b32_e32 v1, 0x80000000, v1
	v_or3_b32 v22, v13, v1, v0
.LBB357_3954:                           ;   in Loop: Header=BB357_2083 Depth=1
	s_or_b32 exec_lo, exec_lo, s20
.LBB357_3955:                           ;   in Loop: Header=BB357_2083 Depth=1
	s_or_b32 exec_lo, exec_lo, s19
.LBB357_3956:                           ;   in Loop: Header=BB357_2083 Depth=1
	s_or_b32 exec_lo, exec_lo, s18
	s_mov_b32 s18, exec_lo
	v_cmpx_lt_u32_e32 0xffffff, v24
	s_cbranch_execz .LBB357_3964
; %bb.3957:                             ;   in Loop: Header=BB357_2083 Depth=1
	v_cmp_ne_u32_sdwa s4, v24, v115 src0_sel:BYTE_3 src1_sel:DWORD
	v_bfrev_b32_e32 v33, 1
	s_and_saveexec_b32 s19, s4
	s_cbranch_execz .LBB357_3963
; %bb.3958:                             ;   in Loop: Header=BB357_2083 Depth=1
	v_bfe_u32 v1, v24, 24, 7
	v_mov_b32_e32 v33, 0x7f800001
	s_mov_b32 s20, exec_lo
	v_cmpx_ne_u32_e32 0x7f, v1
	s_cbranch_execz .LBB357_3962
; %bb.3959:                             ;   in Loop: Header=BB357_2083 Depth=1
	v_mov_b32_e32 v0, 7
	s_mov_b32 s21, exec_lo
	v_and_b32_sdwa v13, v24, v0 dst_sel:DWORD dst_unused:UNUSED_PAD src0_sel:BYTE_3 src1_sel:DWORD
	v_mov_b32_e32 v27, v14
	v_lshrrev_b32_e32 v0, 3, v1
	v_mov_b32_e32 v26, v13
	v_cmpx_gt_u32_e32 8, v1
; %bb.3960:                             ;   in Loop: Header=BB357_2083 Depth=1
	v_ffbh_u32_e32 v0, v13
	v_min_u32_e32 v0, 32, v0
	v_subrev_nc_u32_e32 v1, 28, v0
	v_sub_nc_u32_e32 v0, 29, v0
	v_lshlrev_b64 v[26:27], v1, v[13:14]
	v_and_b32_e32 v26, 7, v26
; %bb.3961:                             ;   in Loop: Header=BB357_2083 Depth=1
	s_or_b32 exec_lo, exec_lo, s21
	v_mov_b32_e32 v1, 24
	v_lshlrev_b32_e32 v13, 20, v26
	v_lshl_add_u32 v0, v0, 23, 0x3c000000
	v_lshlrev_b32_sdwa v1, v1, v24 dst_sel:DWORD dst_unused:UNUSED_PAD src0_sel:DWORD src1_sel:BYTE_3
	v_and_b32_e32 v1, 0x80000000, v1
	v_or3_b32 v33, v13, v1, v0
.LBB357_3962:                           ;   in Loop: Header=BB357_2083 Depth=1
	s_or_b32 exec_lo, exec_lo, s20
.LBB357_3963:                           ;   in Loop: Header=BB357_2083 Depth=1
	s_or_b32 exec_lo, exec_lo, s19
.LBB357_3964:                           ;   in Loop: Header=BB357_2083 Depth=1
	s_or_b32 exec_lo, exec_lo, s18
	v_mov_b32_e32 v13, v25
	v_cmp_ne_u16_sdwa s4, v25, v14 src0_sel:BYTE_0 src1_sel:DWORD
	v_mov_b32_e32 v1, 0
	v_mov_b32_e32 v0, 0
	s_and_saveexec_b32 s18, s4
	s_cbranch_execz .LBB357_3972
; %bb.3965:                             ;   in Loop: Header=BB357_2083 Depth=1
	v_cmp_ne_u16_sdwa s4, v25, v115 src0_sel:BYTE_0 src1_sel:DWORD
	v_bfrev_b32_e32 v0, 1
	s_and_saveexec_b32 s19, s4
	s_cbranch_execz .LBB357_3971
; %bb.3966:                             ;   in Loop: Header=BB357_2083 Depth=1
	v_and_b32_e32 v35, 0x7f, v25
	v_mov_b32_e32 v0, 0x7f800001
	s_mov_b32 s20, exec_lo
	v_cmpx_ne_u32_e32 0x7f, v35
	s_cbranch_execz .LBB357_3970
; %bb.3967:                             ;   in Loop: Header=BB357_2083 Depth=1
	v_mov_b32_e32 v27, v14
	v_mov_b32_e32 v26, v13
	v_lshrrev_b32_e32 v0, 3, v35
	s_mov_b32 s21, exec_lo
	v_cmpx_gt_u32_e32 8, v35
; %bb.3968:                             ;   in Loop: Header=BB357_2083 Depth=1
	v_and_b32_e32 v0, 7, v25
	v_ffbh_u32_e32 v0, v0
	v_min_u32_e32 v0, 32, v0
	v_subrev_nc_u32_e32 v26, 28, v0
	v_sub_nc_u32_e32 v0, 29, v0
	v_lshlrev_b64 v[26:27], v26, v[13:14]
; %bb.3969:                             ;   in Loop: Header=BB357_2083 Depth=1
	s_or_b32 exec_lo, exec_lo, s21
	v_lshlrev_b32_e32 v26, 20, v26
	v_lshlrev_b32_e32 v27, 24, v13
	v_lshl_add_u32 v0, v0, 23, 0x3c000000
	v_and_b32_e32 v26, 0x700000, v26
	v_and_b32_e32 v27, 0x80000000, v27
	v_or3_b32 v0, v26, v27, v0
.LBB357_3970:                           ;   in Loop: Header=BB357_2083 Depth=1
	s_or_b32 exec_lo, exec_lo, s20
.LBB357_3971:                           ;   in Loop: Header=BB357_2083 Depth=1
	s_or_b32 exec_lo, exec_lo, s19
.LBB357_3972:                           ;   in Loop: Header=BB357_2083 Depth=1
	s_or_b32 exec_lo, exec_lo, s18
	v_cmp_ne_u16_sdwa s4, v13, v14 src0_sel:BYTE_1 src1_sel:DWORD
	s_and_saveexec_b32 s18, s4
	s_cbranch_execz .LBB357_3980
; %bb.3973:                             ;   in Loop: Header=BB357_2083 Depth=1
	v_cmp_ne_u16_sdwa s4, v13, v115 src0_sel:BYTE_1 src1_sel:DWORD
	v_bfrev_b32_e32 v1, 1
	s_and_saveexec_b32 s19, s4
	s_cbranch_execz .LBB357_3979
; %bb.3974:                             ;   in Loop: Header=BB357_2083 Depth=1
	v_mov_b32_e32 v1, 0xffff
	s_mov_b32 s20, exec_lo
	v_and_b32_sdwa v26, v1, v13 dst_sel:DWORD dst_unused:UNUSED_PAD src0_sel:DWORD src1_sel:BYTE_1
	v_mov_b32_e32 v1, 0x7f800001
	v_and_b32_e32 v35, 0x7f, v26
	v_cmpx_ne_u32_e32 0x7f, v35
	s_cbranch_execz .LBB357_3978
; %bb.3975:                             ;   in Loop: Header=BB357_2083 Depth=1
	v_and_b32_e32 v26, 7, v26
	v_mov_b32_e32 v27, v14
	v_lshrrev_b32_e32 v1, 3, v35
	s_mov_b32 s21, exec_lo
	v_cmpx_gt_u32_e32 8, v35
; %bb.3976:                             ;   in Loop: Header=BB357_2083 Depth=1
	v_ffbh_u32_e32 v1, v26
	v_min_u32_e32 v1, 32, v1
	v_subrev_nc_u32_e32 v35, 28, v1
	v_sub_nc_u32_e32 v1, 29, v1
	v_lshlrev_b64 v[26:27], v35, v[26:27]
	v_and_b32_e32 v26, 7, v26
; %bb.3977:                             ;   in Loop: Header=BB357_2083 Depth=1
	s_or_b32 exec_lo, exec_lo, s21
	v_lshlrev_b32_e32 v13, 16, v13
	v_lshlrev_b32_e32 v26, 20, v26
	v_lshl_add_u32 v1, v1, 23, 0x3c000000
	v_and_b32_e32 v13, 0x80000000, v13
	v_or3_b32 v1, v26, v13, v1
.LBB357_3978:                           ;   in Loop: Header=BB357_2083 Depth=1
	s_or_b32 exec_lo, exec_lo, s20
.LBB357_3979:                           ;   in Loop: Header=BB357_2083 Depth=1
	s_or_b32 exec_lo, exec_lo, s19
.LBB357_3980:                           ;   in Loop: Header=BB357_2083 Depth=1
	s_or_b32 exec_lo, exec_lo, s18
	v_and_b32_sdwa v13, v25, v117 dst_sel:DWORD dst_unused:UNUSED_PAD src0_sel:WORD_1 src1_sel:DWORD
	v_mov_b32_e32 v37, 0
	v_mov_b32_e32 v53, 0
	s_mov_b32 s18, exec_lo
	v_cmpx_ne_u16_e32 0, v13
	s_cbranch_execz .LBB357_3988
; %bb.3981:                             ;   in Loop: Header=BB357_2083 Depth=1
	v_bfrev_b32_e32 v53, 1
	s_mov_b32 s19, exec_lo
	v_cmpx_ne_u16_e32 0x80, v13
	s_cbranch_execz .LBB357_3987
; %bb.3982:                             ;   in Loop: Header=BB357_2083 Depth=1
	v_bfe_u32 v35, v25, 16, 7
	v_mov_b32_e32 v53, 0x7f800001
	s_mov_b32 s20, exec_lo
	v_cmpx_ne_u32_e32 0x7f, v35
	s_cbranch_execz .LBB357_3986
; %bb.3983:                             ;   in Loop: Header=BB357_2083 Depth=1
	v_mov_b32_e32 v13, 7
	s_mov_b32 s21, exec_lo
	v_and_b32_sdwa v13, v25, v13 dst_sel:DWORD dst_unused:UNUSED_PAD src0_sel:WORD_1 src1_sel:DWORD
	v_mov_b32_e32 v27, v14
	v_lshrrev_b32_e32 v27, 3, v35
	v_mov_b32_e32 v26, v13
	v_cmpx_gt_u32_e32 8, v35
; %bb.3984:                             ;   in Loop: Header=BB357_2083 Depth=1
	v_ffbh_u32_e32 v26, v13
	v_min_u32_e32 v35, 32, v26
	v_subrev_nc_u32_e32 v26, 28, v35
	v_lshlrev_b64 v[26:27], v26, v[13:14]
	v_sub_nc_u32_e32 v27, 29, v35
	v_and_b32_e32 v26, 7, v26
; %bb.3985:                             ;   in Loop: Header=BB357_2083 Depth=1
	s_or_b32 exec_lo, exec_lo, s21
	v_mov_b32_e32 v13, 24
	v_lshlrev_b32_e32 v26, 20, v26
	v_lshl_add_u32 v27, v27, 23, 0x3c000000
	v_lshlrev_b32_sdwa v13, v13, v25 dst_sel:DWORD dst_unused:UNUSED_PAD src0_sel:DWORD src1_sel:WORD_1
	v_and_b32_e32 v13, 0x80000000, v13
	v_or3_b32 v53, v26, v13, v27
.LBB357_3986:                           ;   in Loop: Header=BB357_2083 Depth=1
	s_or_b32 exec_lo, exec_lo, s20
.LBB357_3987:                           ;   in Loop: Header=BB357_2083 Depth=1
	s_or_b32 exec_lo, exec_lo, s19
.LBB357_3988:                           ;   in Loop: Header=BB357_2083 Depth=1
	s_or_b32 exec_lo, exec_lo, s18
	s_mov_b32 s18, exec_lo
	v_cmpx_lt_u64_e64 s[6:7], v[24:25]
	s_cbranch_execz .LBB357_3996
; %bb.3989:                             ;   in Loop: Header=BB357_2083 Depth=1
	v_cmp_ne_u32_sdwa s4, v25, v115 src0_sel:BYTE_3 src1_sel:DWORD
	v_bfrev_b32_e32 v37, 1
	s_and_saveexec_b32 s19, s4
	s_cbranch_execz .LBB357_3995
; %bb.3990:                             ;   in Loop: Header=BB357_2083 Depth=1
	v_bfe_u32 v35, v25, 24, 7
	v_mov_b32_e32 v37, 0x7f800001
	s_mov_b32 s20, exec_lo
	v_cmpx_ne_u32_e32 0x7f, v35
	s_cbranch_execz .LBB357_3994
; %bb.3991:                             ;   in Loop: Header=BB357_2083 Depth=1
	v_mov_b32_e32 v13, 7
	v_lshrrev_b32_e32 v24, 3, v35
	s_mov_b32 s21, exec_lo
	v_and_b32_sdwa v13, v25, v13 dst_sel:DWORD dst_unused:UNUSED_PAD src0_sel:BYTE_3 src1_sel:DWORD
	v_mov_b32_e32 v27, v14
	v_mov_b32_e32 v26, v13
	v_cmpx_gt_u32_e32 8, v35
; %bb.3992:                             ;   in Loop: Header=BB357_2083 Depth=1
	v_ffbh_u32_e32 v24, v13
	v_min_u32_e32 v24, 32, v24
	v_subrev_nc_u32_e32 v26, 28, v24
	v_sub_nc_u32_e32 v24, 29, v24
	v_lshlrev_b64 v[26:27], v26, v[13:14]
	v_and_b32_e32 v26, 7, v26
; %bb.3993:                             ;   in Loop: Header=BB357_2083 Depth=1
	s_or_b32 exec_lo, exec_lo, s21
	v_mov_b32_e32 v13, 24
	v_lshl_add_u32 v24, v24, 23, 0x3c000000
	v_lshlrev_b32_sdwa v13, v13, v25 dst_sel:DWORD dst_unused:UNUSED_PAD src0_sel:DWORD src1_sel:BYTE_3
	v_lshlrev_b32_e32 v25, 20, v26
	v_and_b32_e32 v13, 0x80000000, v13
	v_or3_b32 v37, v25, v13, v24
.LBB357_3994:                           ;   in Loop: Header=BB357_2083 Depth=1
	s_or_b32 exec_lo, exec_lo, s20
.LBB357_3995:                           ;   in Loop: Header=BB357_2083 Depth=1
	s_or_b32 exec_lo, exec_lo, s19
.LBB357_3996:                           ;   in Loop: Header=BB357_2083 Depth=1
	s_or_b32 exec_lo, exec_lo, s18
	v_mul_f32_e32 v1, v23, v1
	v_mul_f32_e32 v0, v23, v0
	v_mul_f32_e32 v11, v23, v11
	v_mul_f32_e32 v10, v23, v10
	v_bfe_u32 v13, v1, 16, 1
	v_or_b32_e32 v24, 0x400000, v1
	v_cmp_u_f32_e64 s4, v1, v1
	v_add3_u32 v13, v13, v1, 0x7fff
	v_cndmask_b32_e64 v1, v13, v24, s4
	v_bfe_u32 v13, v0, 16, 1
	v_or_b32_e32 v24, 0x400000, v0
	v_cmp_u_f32_e64 s4, v0, v0
	v_lshrrev_b32_e32 v1, 16, v1
	v_add3_u32 v13, v13, v0, 0x7fff
	v_cndmask_b32_e64 v0, v13, v24, s4
	v_mul_f32_e32 v13, v23, v33
	v_lshrrev_b32_e32 v0, 16, v0
	v_bfe_u32 v24, v13, 16, 1
	v_or_b32_e32 v25, 0x400000, v13
	v_cmp_u_f32_e64 s4, v13, v13
	v_add3_u32 v24, v24, v13, 0x7fff
	v_cndmask_b32_e64 v13, v24, v25, s4
	v_lshrrev_b32_e32 v35, 16, v13
	v_mul_f32_e32 v13, v23, v22
	v_bfe_u32 v22, v13, 16, 1
	v_or_b32_e32 v24, 0x400000, v13
	v_cmp_u_f32_e64 s4, v13, v13
	v_add3_u32 v22, v22, v13, 0x7fff
	v_cndmask_b32_e64 v13, v22, v24, s4
	v_or_b32_e32 v24, 0x400000, v11
	v_cmp_u_f32_e64 s4, v11, v11
	v_lshrrev_b32_e32 v22, 16, v13
	v_bfe_u32 v13, v11, 16, 1
	v_add3_u32 v13, v13, v11, 0x7fff
	v_cndmask_b32_e64 v11, v13, v24, s4
	v_or_b32_e32 v13, 0x400000, v10
	v_cmp_u_f32_e64 s4, v10, v10
	v_lshrrev_b32_e32 v98, 16, v11
	v_bfe_u32 v11, v10, 16, 1
	v_add3_u32 v11, v11, v10, 0x7fff
	v_cndmask_b32_e64 v10, v11, v13, s4
	v_lshrrev_b32_e32 v41, 16, v10
	v_mul_f32_e32 v10, v23, v53
	v_bfe_u32 v11, v10, 16, 1
	v_or_b32_e32 v13, 0x400000, v10
	v_cmp_u_f32_e64 s4, v10, v10
	v_add3_u32 v11, v11, v10, 0x7fff
	v_cndmask_b32_e64 v10, v11, v13, s4
	v_lshrrev_b32_e32 v40, 16, v10
	v_mul_f32_e32 v10, v23, v37
	v_bfe_u32 v11, v10, 16, 1
	v_or_b32_e32 v13, 0x400000, v10
	v_cmp_u_f32_e64 s4, v10, v10
	v_add3_u32 v11, v11, v10, 0x7fff
	v_cndmask_b32_e64 v10, v11, v13, s4
	v_lshrrev_b32_e32 v42, 16, v10
	s_and_saveexec_b32 s18, vcc_lo
	s_cbranch_execz .LBB357_3998
; %bb.3997:                             ;   in Loop: Header=BB357_2083 Depth=1
	v_cmp_lt_i32_e64 s4, v102, v49
	v_cndmask_b32_e64 v41, 0, v41, s4
	v_cmp_lt_i32_e64 s4, v52, v49
	v_cndmask_b32_e64 v98, 0, v98, s4
	;; [unrolled: 2-line block ×8, first 2 shown]
.LBB357_3998:                           ;   in Loop: Header=BB357_2083 Depth=1
	s_or_b32 exec_lo, exec_lo, s18
	flat_load_dwordx2 v[24:25], v[19:20] offset:1280
	v_mov_b32_e32 v11, 0
	v_mov_b32_e32 v37, 0
	s_waitcnt vmcnt(0) lgkmcnt(0)
	v_cmp_ne_u16_sdwa s4, v24, v14 src0_sel:BYTE_0 src1_sel:DWORD
	s_and_saveexec_b32 s18, s4
	s_cbranch_execz .LBB357_4006
; %bb.3999:                             ;   in Loop: Header=BB357_2083 Depth=1
	v_cmp_ne_u16_sdwa s4, v24, v115 src0_sel:BYTE_0 src1_sel:DWORD
	v_bfrev_b32_e32 v37, 1
	s_and_saveexec_b32 s19, s4
	s_cbranch_execz .LBB357_4005
; %bb.4000:                             ;   in Loop: Header=BB357_2083 Depth=1
	v_and_b32_e32 v13, 0x7f, v24
	v_mov_b32_e32 v37, 0x7f800001
	s_mov_b32 s20, exec_lo
	v_cmpx_ne_u32_e32 0x7f, v13
	s_cbranch_execz .LBB357_4004
; %bb.4001:                             ;   in Loop: Header=BB357_2083 Depth=1
	v_mov_b32_e32 v27, v25
	v_lshrrev_b32_e32 v10, 3, v13
	v_mov_b32_e32 v26, v24
	s_mov_b32 s21, exec_lo
	v_cmpx_gt_u32_e32 8, v13
; %bb.4002:                             ;   in Loop: Header=BB357_2083 Depth=1
	v_and_b32_e32 v10, 7, v24
	v_ffbh_u32_e32 v10, v10
	v_min_u32_e32 v10, 32, v10
	v_subrev_nc_u32_e32 v13, 28, v10
	v_sub_nc_u32_e32 v10, 29, v10
	v_lshlrev_b64 v[26:27], v13, v[24:25]
; %bb.4003:                             ;   in Loop: Header=BB357_2083 Depth=1
	s_or_b32 exec_lo, exec_lo, s21
	v_lshlrev_b32_e32 v13, 20, v26
	v_lshlrev_b32_e32 v26, 24, v24
	v_lshl_add_u32 v10, v10, 23, 0x3c000000
	v_and_b32_e32 v13, 0x700000, v13
	v_and_b32_e32 v26, 0x80000000, v26
	v_or3_b32 v37, v13, v26, v10
.LBB357_4004:                           ;   in Loop: Header=BB357_2083 Depth=1
	s_or_b32 exec_lo, exec_lo, s20
.LBB357_4005:                           ;   in Loop: Header=BB357_2083 Depth=1
	s_or_b32 exec_lo, exec_lo, s19
.LBB357_4006:                           ;   in Loop: Header=BB357_2083 Depth=1
	s_or_b32 exec_lo, exec_lo, s18
	v_cmp_ne_u16_sdwa s4, v24, v14 src0_sel:BYTE_1 src1_sel:DWORD
	s_and_saveexec_b32 s18, s4
	s_cbranch_execz .LBB357_4014
; %bb.4007:                             ;   in Loop: Header=BB357_2083 Depth=1
	v_cmp_ne_u16_sdwa s4, v24, v115 src0_sel:BYTE_1 src1_sel:DWORD
	v_bfrev_b32_e32 v11, 1
	s_and_saveexec_b32 s19, s4
	s_cbranch_execz .LBB357_4013
; %bb.4008:                             ;   in Loop: Header=BB357_2083 Depth=1
	v_mov_b32_e32 v10, 0xffff
	v_mov_b32_e32 v11, 0x7f800001
	s_mov_b32 s20, exec_lo
	v_and_b32_sdwa v10, v10, v24 dst_sel:DWORD dst_unused:UNUSED_PAD src0_sel:DWORD src1_sel:BYTE_1
	v_and_b32_e32 v33, 0x7f, v10
	v_cmpx_ne_u32_e32 0x7f, v33
	s_cbranch_execz .LBB357_4012
; %bb.4009:                             ;   in Loop: Header=BB357_2083 Depth=1
	v_and_b32_e32 v13, 7, v10
	v_mov_b32_e32 v27, v14
	v_lshrrev_b32_e32 v10, 3, v33
	s_mov_b32 s21, exec_lo
	v_mov_b32_e32 v26, v13
	v_cmpx_gt_u32_e32 8, v33
; %bb.4010:                             ;   in Loop: Header=BB357_2083 Depth=1
	v_ffbh_u32_e32 v10, v13
	v_min_u32_e32 v10, 32, v10
	v_subrev_nc_u32_e32 v11, 28, v10
	v_sub_nc_u32_e32 v10, 29, v10
	v_lshlrev_b64 v[26:27], v11, v[13:14]
	v_and_b32_e32 v26, 7, v26
; %bb.4011:                             ;   in Loop: Header=BB357_2083 Depth=1
	s_or_b32 exec_lo, exec_lo, s21
	v_lshlrev_b32_e32 v11, 16, v24
	v_lshlrev_b32_e32 v13, 20, v26
	v_lshl_add_u32 v10, v10, 23, 0x3c000000
	v_and_b32_e32 v11, 0x80000000, v11
	v_or3_b32 v11, v13, v11, v10
.LBB357_4012:                           ;   in Loop: Header=BB357_2083 Depth=1
	s_or_b32 exec_lo, exec_lo, s20
.LBB357_4013:                           ;   in Loop: Header=BB357_2083 Depth=1
	s_or_b32 exec_lo, exec_lo, s19
.LBB357_4014:                           ;   in Loop: Header=BB357_2083 Depth=1
	s_or_b32 exec_lo, exec_lo, s18
	v_and_b32_sdwa v13, v24, v117 dst_sel:DWORD dst_unused:UNUSED_PAD src0_sel:WORD_1 src1_sel:DWORD
	v_mov_b32_e32 v33, 0
	v_mov_b32_e32 v10, 0
	s_mov_b32 s18, exec_lo
	v_cmpx_ne_u16_e32 0, v13
	s_cbranch_execz .LBB357_4022
; %bb.4015:                             ;   in Loop: Header=BB357_2083 Depth=1
	v_bfrev_b32_e32 v10, 1
	s_mov_b32 s19, exec_lo
	v_cmpx_ne_u16_e32 0x80, v13
	s_cbranch_execz .LBB357_4021
; %bb.4016:                             ;   in Loop: Header=BB357_2083 Depth=1
	v_bfe_u32 v53, v24, 16, 7
	v_mov_b32_e32 v10, 0x7f800001
	s_mov_b32 s20, exec_lo
	v_cmpx_ne_u32_e32 0x7f, v53
	s_cbranch_execz .LBB357_4020
; %bb.4017:                             ;   in Loop: Header=BB357_2083 Depth=1
	v_mov_b32_e32 v10, 7
	s_mov_b32 s21, exec_lo
	v_and_b32_sdwa v13, v24, v10 dst_sel:DWORD dst_unused:UNUSED_PAD src0_sel:WORD_1 src1_sel:DWORD
	v_mov_b32_e32 v27, v14
	v_lshrrev_b32_e32 v10, 3, v53
	v_mov_b32_e32 v26, v13
	v_cmpx_gt_u32_e32 8, v53
; %bb.4018:                             ;   in Loop: Header=BB357_2083 Depth=1
	v_ffbh_u32_e32 v10, v13
	v_min_u32_e32 v10, 32, v10
	v_subrev_nc_u32_e32 v26, 28, v10
	v_sub_nc_u32_e32 v10, 29, v10
	v_lshlrev_b64 v[26:27], v26, v[13:14]
	v_and_b32_e32 v26, 7, v26
; %bb.4019:                             ;   in Loop: Header=BB357_2083 Depth=1
	s_or_b32 exec_lo, exec_lo, s21
	v_mov_b32_e32 v13, 24
	v_lshlrev_b32_e32 v26, 20, v26
	v_lshl_add_u32 v10, v10, 23, 0x3c000000
	v_lshlrev_b32_sdwa v13, v13, v24 dst_sel:DWORD dst_unused:UNUSED_PAD src0_sel:DWORD src1_sel:WORD_1
	v_and_b32_e32 v13, 0x80000000, v13
	v_or3_b32 v10, v26, v13, v10
.LBB357_4020:                           ;   in Loop: Header=BB357_2083 Depth=1
	s_or_b32 exec_lo, exec_lo, s20
.LBB357_4021:                           ;   in Loop: Header=BB357_2083 Depth=1
	s_or_b32 exec_lo, exec_lo, s19
.LBB357_4022:                           ;   in Loop: Header=BB357_2083 Depth=1
	s_or_b32 exec_lo, exec_lo, s18
	s_mov_b32 s18, exec_lo
	v_cmpx_lt_u32_e32 0xffffff, v24
	s_cbranch_execz .LBB357_4030
; %bb.4023:                             ;   in Loop: Header=BB357_2083 Depth=1
	v_cmp_ne_u32_sdwa s4, v24, v115 src0_sel:BYTE_3 src1_sel:DWORD
	v_bfrev_b32_e32 v33, 1
	s_and_saveexec_b32 s19, s4
	s_cbranch_execz .LBB357_4029
; %bb.4024:                             ;   in Loop: Header=BB357_2083 Depth=1
	v_bfe_u32 v53, v24, 24, 7
	v_mov_b32_e32 v33, 0x7f800001
	s_mov_b32 s20, exec_lo
	v_cmpx_ne_u32_e32 0x7f, v53
	s_cbranch_execz .LBB357_4028
; %bb.4025:                             ;   in Loop: Header=BB357_2083 Depth=1
	v_mov_b32_e32 v13, 7
	s_mov_b32 s21, exec_lo
	v_and_b32_sdwa v13, v24, v13 dst_sel:DWORD dst_unused:UNUSED_PAD src0_sel:BYTE_3 src1_sel:DWORD
	v_mov_b32_e32 v27, v14
	v_lshrrev_b32_e32 v27, 3, v53
	v_mov_b32_e32 v26, v13
	v_cmpx_gt_u32_e32 8, v53
; %bb.4026:                             ;   in Loop: Header=BB357_2083 Depth=1
	v_ffbh_u32_e32 v26, v13
	v_min_u32_e32 v33, 32, v26
	v_subrev_nc_u32_e32 v26, 28, v33
	v_lshlrev_b64 v[26:27], v26, v[13:14]
	v_sub_nc_u32_e32 v27, 29, v33
	v_and_b32_e32 v26, 7, v26
; %bb.4027:                             ;   in Loop: Header=BB357_2083 Depth=1
	s_or_b32 exec_lo, exec_lo, s21
	v_mov_b32_e32 v13, 24
	v_lshlrev_b32_e32 v26, 20, v26
	v_lshl_add_u32 v27, v27, 23, 0x3c000000
	v_lshlrev_b32_sdwa v13, v13, v24 dst_sel:DWORD dst_unused:UNUSED_PAD src0_sel:DWORD src1_sel:BYTE_3
	v_and_b32_e32 v13, 0x80000000, v13
	v_or3_b32 v33, v26, v13, v27
.LBB357_4028:                           ;   in Loop: Header=BB357_2083 Depth=1
	s_or_b32 exec_lo, exec_lo, s20
.LBB357_4029:                           ;   in Loop: Header=BB357_2083 Depth=1
	s_or_b32 exec_lo, exec_lo, s19
.LBB357_4030:                           ;   in Loop: Header=BB357_2083 Depth=1
	s_or_b32 exec_lo, exec_lo, s18
	v_mov_b32_e32 v13, v25
	v_cmp_ne_u16_sdwa s4, v25, v14 src0_sel:BYTE_0 src1_sel:DWORD
	v_mov_b32_e32 v64, 0
	v_mov_b32_e32 v54, 0
	s_and_saveexec_b32 s18, s4
	s_cbranch_execz .LBB357_4038
; %bb.4031:                             ;   in Loop: Header=BB357_2083 Depth=1
	v_cmp_ne_u16_sdwa s4, v25, v115 src0_sel:BYTE_0 src1_sel:DWORD
	v_bfrev_b32_e32 v54, 1
	s_and_saveexec_b32 s19, s4
	s_cbranch_execz .LBB357_4037
; %bb.4032:                             ;   in Loop: Header=BB357_2083 Depth=1
	v_and_b32_e32 v53, 0x7f, v25
	v_mov_b32_e32 v54, 0x7f800001
	s_mov_b32 s20, exec_lo
	v_cmpx_ne_u32_e32 0x7f, v53
	s_cbranch_execz .LBB357_4036
; %bb.4033:                             ;   in Loop: Header=BB357_2083 Depth=1
	v_mov_b32_e32 v27, v14
	v_mov_b32_e32 v26, v13
	v_lshrrev_b32_e32 v27, 3, v53
	s_mov_b32 s21, exec_lo
	v_cmpx_gt_u32_e32 8, v53
; %bb.4034:                             ;   in Loop: Header=BB357_2083 Depth=1
	v_and_b32_e32 v26, 7, v25
	v_ffbh_u32_e32 v26, v26
	v_min_u32_e32 v53, 32, v26
	v_subrev_nc_u32_e32 v26, 28, v53
	v_lshlrev_b64 v[26:27], v26, v[13:14]
	v_sub_nc_u32_e32 v27, 29, v53
; %bb.4035:                             ;   in Loop: Header=BB357_2083 Depth=1
	s_or_b32 exec_lo, exec_lo, s21
	v_lshlrev_b32_e32 v26, 20, v26
	v_lshlrev_b32_e32 v53, 24, v13
	v_lshl_add_u32 v27, v27, 23, 0x3c000000
	v_and_b32_e32 v26, 0x700000, v26
	v_and_b32_e32 v53, 0x80000000, v53
	v_or3_b32 v54, v26, v53, v27
.LBB357_4036:                           ;   in Loop: Header=BB357_2083 Depth=1
	s_or_b32 exec_lo, exec_lo, s20
.LBB357_4037:                           ;   in Loop: Header=BB357_2083 Depth=1
	s_or_b32 exec_lo, exec_lo, s19
.LBB357_4038:                           ;   in Loop: Header=BB357_2083 Depth=1
	s_or_b32 exec_lo, exec_lo, s18
	v_cmp_ne_u16_sdwa s4, v13, v14 src0_sel:BYTE_1 src1_sel:DWORD
	s_and_saveexec_b32 s18, s4
	s_cbranch_execz .LBB357_4046
; %bb.4039:                             ;   in Loop: Header=BB357_2083 Depth=1
	v_cmp_ne_u16_sdwa s4, v13, v115 src0_sel:BYTE_1 src1_sel:DWORD
	v_bfrev_b32_e32 v64, 1
	s_and_saveexec_b32 s19, s4
	s_cbranch_execz .LBB357_4045
; %bb.4040:                             ;   in Loop: Header=BB357_2083 Depth=1
	v_mov_b32_e32 v26, 0xffff
	v_mov_b32_e32 v64, 0x7f800001
	s_mov_b32 s20, exec_lo
	v_and_b32_sdwa v26, v26, v13 dst_sel:DWORD dst_unused:UNUSED_PAD src0_sel:DWORD src1_sel:BYTE_1
	v_and_b32_e32 v55, 0x7f, v26
	v_cmpx_ne_u32_e32 0x7f, v55
	s_cbranch_execz .LBB357_4044
; %bb.4041:                             ;   in Loop: Header=BB357_2083 Depth=1
	v_and_b32_e32 v26, 7, v26
	v_mov_b32_e32 v27, v14
	v_lshrrev_b32_e32 v53, 3, v55
	s_mov_b32 s21, exec_lo
	v_cmpx_gt_u32_e32 8, v55
; %bb.4042:                             ;   in Loop: Header=BB357_2083 Depth=1
	v_ffbh_u32_e32 v53, v26
	v_min_u32_e32 v53, 32, v53
	v_subrev_nc_u32_e32 v55, 28, v53
	v_sub_nc_u32_e32 v53, 29, v53
	v_lshlrev_b64 v[26:27], v55, v[26:27]
	v_and_b32_e32 v26, 7, v26
; %bb.4043:                             ;   in Loop: Header=BB357_2083 Depth=1
	s_or_b32 exec_lo, exec_lo, s21
	v_lshlrev_b32_e32 v13, 16, v13
	v_lshlrev_b32_e32 v26, 20, v26
	v_lshl_add_u32 v27, v53, 23, 0x3c000000
	v_and_b32_e32 v13, 0x80000000, v13
	v_or3_b32 v64, v26, v13, v27
.LBB357_4044:                           ;   in Loop: Header=BB357_2083 Depth=1
	s_or_b32 exec_lo, exec_lo, s20
.LBB357_4045:                           ;   in Loop: Header=BB357_2083 Depth=1
	s_or_b32 exec_lo, exec_lo, s19
.LBB357_4046:                           ;   in Loop: Header=BB357_2083 Depth=1
	s_or_b32 exec_lo, exec_lo, s18
	v_and_b32_sdwa v13, v25, v117 dst_sel:DWORD dst_unused:UNUSED_PAD src0_sel:WORD_1 src1_sel:DWORD
	v_mov_b32_e32 v55, 0
	v_mov_b32_e32 v53, 0
	s_mov_b32 s18, exec_lo
	v_cmpx_ne_u16_e32 0, v13
	s_cbranch_execz .LBB357_4054
; %bb.4047:                             ;   in Loop: Header=BB357_2083 Depth=1
	v_bfrev_b32_e32 v53, 1
	s_mov_b32 s19, exec_lo
	v_cmpx_ne_u16_e32 0x80, v13
	s_cbranch_execz .LBB357_4053
; %bb.4048:                             ;   in Loop: Header=BB357_2083 Depth=1
	v_bfe_u32 v65, v25, 16, 7
	v_mov_b32_e32 v53, 0x7f800001
	s_mov_b32 s20, exec_lo
	v_cmpx_ne_u32_e32 0x7f, v65
	s_cbranch_execz .LBB357_4052
; %bb.4049:                             ;   in Loop: Header=BB357_2083 Depth=1
	v_mov_b32_e32 v13, 7
	s_mov_b32 s21, exec_lo
	v_and_b32_sdwa v13, v25, v13 dst_sel:DWORD dst_unused:UNUSED_PAD src0_sel:WORD_1 src1_sel:DWORD
	v_mov_b32_e32 v27, v14
	v_lshrrev_b32_e32 v27, 3, v65
	v_mov_b32_e32 v26, v13
	v_cmpx_gt_u32_e32 8, v65
; %bb.4050:                             ;   in Loop: Header=BB357_2083 Depth=1
	v_ffbh_u32_e32 v26, v13
	v_min_u32_e32 v53, 32, v26
	v_subrev_nc_u32_e32 v26, 28, v53
	v_lshlrev_b64 v[26:27], v26, v[13:14]
	v_sub_nc_u32_e32 v27, 29, v53
	v_and_b32_e32 v26, 7, v26
; %bb.4051:                             ;   in Loop: Header=BB357_2083 Depth=1
	s_or_b32 exec_lo, exec_lo, s21
	v_mov_b32_e32 v13, 24
	v_lshlrev_b32_e32 v26, 20, v26
	v_lshl_add_u32 v27, v27, 23, 0x3c000000
	v_lshlrev_b32_sdwa v13, v13, v25 dst_sel:DWORD dst_unused:UNUSED_PAD src0_sel:DWORD src1_sel:WORD_1
	v_and_b32_e32 v13, 0x80000000, v13
	v_or3_b32 v53, v26, v13, v27
.LBB357_4052:                           ;   in Loop: Header=BB357_2083 Depth=1
	s_or_b32 exec_lo, exec_lo, s20
.LBB357_4053:                           ;   in Loop: Header=BB357_2083 Depth=1
	s_or_b32 exec_lo, exec_lo, s19
.LBB357_4054:                           ;   in Loop: Header=BB357_2083 Depth=1
	s_or_b32 exec_lo, exec_lo, s18
	s_mov_b32 s18, exec_lo
	v_cmpx_lt_u64_e64 s[6:7], v[24:25]
	s_cbranch_execz .LBB357_4062
; %bb.4055:                             ;   in Loop: Header=BB357_2083 Depth=1
	v_cmp_ne_u32_sdwa s4, v25, v115 src0_sel:BYTE_3 src1_sel:DWORD
	v_bfrev_b32_e32 v55, 1
	s_and_saveexec_b32 s19, s4
	s_cbranch_execz .LBB357_4061
; %bb.4056:                             ;   in Loop: Header=BB357_2083 Depth=1
	v_bfe_u32 v65, v25, 24, 7
	v_mov_b32_e32 v55, 0x7f800001
	s_mov_b32 s20, exec_lo
	v_cmpx_ne_u32_e32 0x7f, v65
	s_cbranch_execz .LBB357_4060
; %bb.4057:                             ;   in Loop: Header=BB357_2083 Depth=1
	v_mov_b32_e32 v13, 7
	v_lshrrev_b32_e32 v24, 3, v65
	s_mov_b32 s21, exec_lo
	v_and_b32_sdwa v13, v25, v13 dst_sel:DWORD dst_unused:UNUSED_PAD src0_sel:BYTE_3 src1_sel:DWORD
	v_mov_b32_e32 v27, v14
	v_mov_b32_e32 v26, v13
	v_cmpx_gt_u32_e32 8, v65
; %bb.4058:                             ;   in Loop: Header=BB357_2083 Depth=1
	v_ffbh_u32_e32 v24, v13
	v_min_u32_e32 v24, 32, v24
	v_subrev_nc_u32_e32 v26, 28, v24
	v_sub_nc_u32_e32 v24, 29, v24
	v_lshlrev_b64 v[26:27], v26, v[13:14]
	v_and_b32_e32 v26, 7, v26
; %bb.4059:                             ;   in Loop: Header=BB357_2083 Depth=1
	s_or_b32 exec_lo, exec_lo, s21
	v_mov_b32_e32 v13, 24
	v_lshl_add_u32 v24, v24, 23, 0x3c000000
	v_lshlrev_b32_sdwa v13, v13, v25 dst_sel:DWORD dst_unused:UNUSED_PAD src0_sel:DWORD src1_sel:BYTE_3
	v_lshlrev_b32_e32 v25, 20, v26
	v_and_b32_e32 v13, 0x80000000, v13
	v_or3_b32 v55, v25, v13, v24
.LBB357_4060:                           ;   in Loop: Header=BB357_2083 Depth=1
	s_or_b32 exec_lo, exec_lo, s20
.LBB357_4061:                           ;   in Loop: Header=BB357_2083 Depth=1
	s_or_b32 exec_lo, exec_lo, s19
.LBB357_4062:                           ;   in Loop: Header=BB357_2083 Depth=1
	s_or_b32 exec_lo, exec_lo, s18
	v_mul_f32_e32 v13, v23, v64
	v_mul_f32_e32 v10, v23, v10
	;; [unrolled: 1-line block ×3, first 2 shown]
	v_bfe_u32 v24, v13, 16, 1
	v_or_b32_e32 v25, 0x400000, v13
	v_cmp_u_f32_e64 s4, v13, v13
	v_add3_u32 v24, v24, v13, 0x7fff
	v_cndmask_b32_e64 v13, v24, v25, s4
	v_lshrrev_b32_e32 v26, 16, v13
	v_mul_f32_e32 v13, v23, v54
	v_bfe_u32 v24, v13, 16, 1
	v_or_b32_e32 v25, 0x400000, v13
	v_cmp_u_f32_e64 s4, v13, v13
	v_add3_u32 v24, v24, v13, 0x7fff
	v_cndmask_b32_e64 v13, v24, v25, s4
	v_lshrrev_b32_e32 v27, 16, v13
	v_mul_f32_e32 v13, v23, v33
	v_bfe_u32 v24, v13, 16, 1
	v_or_b32_e32 v25, 0x400000, v13
	v_cmp_u_f32_e64 s4, v13, v13
	v_add3_u32 v24, v24, v13, 0x7fff
	v_cndmask_b32_e64 v13, v24, v25, s4
	v_or_b32_e32 v24, 0x400000, v10
	v_cmp_u_f32_e64 s4, v10, v10
	v_lshrrev_b32_e32 v33, 16, v13
	v_bfe_u32 v13, v10, 16, 1
	v_add3_u32 v13, v13, v10, 0x7fff
	v_cndmask_b32_e64 v10, v13, v24, s4
	v_bfe_u32 v13, v11, 16, 1
	v_or_b32_e32 v24, 0x400000, v11
	v_cmp_u_f32_e64 s4, v11, v11
	v_lshrrev_b32_e32 v10, 16, v10
	v_add3_u32 v13, v13, v11, 0x7fff
	v_cndmask_b32_e64 v11, v13, v24, s4
	v_mul_f32_e32 v13, v23, v37
	v_lshrrev_b32_e32 v11, 16, v11
	v_bfe_u32 v24, v13, 16, 1
	v_or_b32_e32 v25, 0x400000, v13
	v_cmp_u_f32_e64 s4, v13, v13
	v_add3_u32 v24, v24, v13, 0x7fff
	v_cndmask_b32_e64 v13, v24, v25, s4
	v_lshrrev_b32_e32 v54, 16, v13
	v_mul_f32_e32 v13, v23, v53
	v_bfe_u32 v24, v13, 16, 1
	v_or_b32_e32 v25, 0x400000, v13
	v_cmp_u_f32_e64 s4, v13, v13
	v_add3_u32 v24, v24, v13, 0x7fff
	v_cndmask_b32_e64 v13, v24, v25, s4
	v_lshrrev_b32_e32 v53, 16, v13
	v_mul_f32_e32 v13, v23, v55
	v_bfe_u32 v24, v13, 16, 1
	v_or_b32_e32 v25, 0x400000, v13
	v_cmp_u_f32_e64 s4, v13, v13
	v_add3_u32 v24, v24, v13, 0x7fff
	v_cndmask_b32_e64 v13, v24, v25, s4
	v_lshrrev_b32_e32 v55, 16, v13
	s_and_saveexec_b32 s18, vcc_lo
	s_cbranch_execz .LBB357_4064
; %bb.4063:                             ;   in Loop: Header=BB357_2083 Depth=1
	v_cmp_lt_i32_e64 s4, v102, v49
	v_cndmask_b32_e64 v54, 0, v54, s4
	v_cmp_lt_i32_e64 s4, v52, v49
	v_cndmask_b32_e64 v11, 0, v11, s4
	;; [unrolled: 2-line block ×8, first 2 shown]
.LBB357_4064:                           ;   in Loop: Header=BB357_2083 Depth=1
	s_or_b32 exec_lo, exec_lo, s18
	flat_load_dwordx2 v[19:20], v[19:20] offset:1536
	v_mov_b32_e32 v67, 0
	v_mov_b32_e32 v68, 0
	s_waitcnt vmcnt(0) lgkmcnt(0)
	v_cmp_ne_u16_sdwa s4, v19, v14 src0_sel:BYTE_0 src1_sel:DWORD
	s_and_saveexec_b32 s18, s4
	s_cbranch_execz .LBB357_4072
; %bb.4065:                             ;   in Loop: Header=BB357_2083 Depth=1
	v_cmp_ne_u16_sdwa s4, v19, v115 src0_sel:BYTE_0 src1_sel:DWORD
	v_bfrev_b32_e32 v68, 1
	s_and_saveexec_b32 s19, s4
	s_cbranch_execz .LBB357_4071
; %bb.4066:                             ;   in Loop: Header=BB357_2083 Depth=1
	v_and_b32_e32 v24, 0x7f, v19
	v_mov_b32_e32 v68, 0x7f800001
	s_mov_b32 s20, exec_lo
	v_cmpx_ne_u32_e32 0x7f, v24
	s_cbranch_execz .LBB357_4070
; %bb.4067:                             ;   in Loop: Header=BB357_2083 Depth=1
	v_lshrrev_b32_e32 v13, 3, v24
	v_cmp_gt_u32_e64 s4, 8, v24
	v_mov_b32_e32 v25, v20
	v_mov_b32_e32 v24, v19
	s_and_saveexec_b32 s21, s4
; %bb.4068:                             ;   in Loop: Header=BB357_2083 Depth=1
	v_and_b32_e32 v13, 7, v19
	v_ffbh_u32_e32 v13, v13
	v_min_u32_e32 v13, 32, v13
	v_subrev_nc_u32_e32 v24, 28, v13
	v_sub_nc_u32_e32 v13, 29, v13
	v_lshlrev_b64 v[24:25], v24, v[19:20]
; %bb.4069:                             ;   in Loop: Header=BB357_2083 Depth=1
	s_or_b32 exec_lo, exec_lo, s21
	v_lshlrev_b32_e32 v24, 20, v24
	v_lshlrev_b32_e32 v25, 24, v19
	v_lshl_add_u32 v13, v13, 23, 0x3c000000
	v_and_b32_e32 v24, 0x700000, v24
	v_and_b32_e32 v25, 0x80000000, v25
	v_or3_b32 v68, v24, v25, v13
.LBB357_4070:                           ;   in Loop: Header=BB357_2083 Depth=1
	s_or_b32 exec_lo, exec_lo, s20
.LBB357_4071:                           ;   in Loop: Header=BB357_2083 Depth=1
	s_or_b32 exec_lo, exec_lo, s19
.LBB357_4072:                           ;   in Loop: Header=BB357_2083 Depth=1
	s_or_b32 exec_lo, exec_lo, s18
	v_cmp_ne_u16_sdwa s4, v19, v14 src0_sel:BYTE_1 src1_sel:DWORD
	s_and_saveexec_b32 s18, s4
	s_cbranch_execz .LBB357_4080
; %bb.4073:                             ;   in Loop: Header=BB357_2083 Depth=1
	v_cmp_ne_u16_sdwa s4, v19, v115 src0_sel:BYTE_1 src1_sel:DWORD
	v_bfrev_b32_e32 v67, 1
	s_and_saveexec_b32 s19, s4
	s_cbranch_execz .LBB357_4079
; %bb.4074:                             ;   in Loop: Header=BB357_2083 Depth=1
	v_mov_b32_e32 v13, 0xffff
	v_mov_b32_e32 v67, 0x7f800001
	s_mov_b32 s20, exec_lo
	v_and_b32_sdwa v13, v13, v19 dst_sel:DWORD dst_unused:UNUSED_PAD src0_sel:DWORD src1_sel:BYTE_1
	v_and_b32_e32 v37, 0x7f, v13
	v_cmpx_ne_u32_e32 0x7f, v37
	s_cbranch_execz .LBB357_4078
; %bb.4075:                             ;   in Loop: Header=BB357_2083 Depth=1
	v_and_b32_e32 v13, 7, v13
	v_mov_b32_e32 v25, v14
	v_lshrrev_b32_e32 v25, 3, v37
	s_mov_b32 s21, exec_lo
	v_mov_b32_e32 v24, v13
	v_cmpx_gt_u32_e32 8, v37
; %bb.4076:                             ;   in Loop: Header=BB357_2083 Depth=1
	v_ffbh_u32_e32 v24, v13
	v_min_u32_e32 v37, 32, v24
	v_subrev_nc_u32_e32 v24, 28, v37
	v_lshlrev_b64 v[24:25], v24, v[13:14]
	v_sub_nc_u32_e32 v25, 29, v37
	v_and_b32_e32 v24, 7, v24
; %bb.4077:                             ;   in Loop: Header=BB357_2083 Depth=1
	s_or_b32 exec_lo, exec_lo, s21
	v_lshlrev_b32_e32 v13, 16, v19
	v_lshlrev_b32_e32 v24, 20, v24
	v_lshl_add_u32 v25, v25, 23, 0x3c000000
	v_and_b32_e32 v13, 0x80000000, v13
	v_or3_b32 v67, v24, v13, v25
.LBB357_4078:                           ;   in Loop: Header=BB357_2083 Depth=1
	s_or_b32 exec_lo, exec_lo, s20
.LBB357_4079:                           ;   in Loop: Header=BB357_2083 Depth=1
	s_or_b32 exec_lo, exec_lo, s19
.LBB357_4080:                           ;   in Loop: Header=BB357_2083 Depth=1
	s_or_b32 exec_lo, exec_lo, s18
	v_and_b32_sdwa v13, v19, v117 dst_sel:DWORD dst_unused:UNUSED_PAD src0_sel:WORD_1 src1_sel:DWORD
	v_mov_b32_e32 v65, 0
	v_mov_b32_e32 v66, 0
	s_mov_b32 s18, exec_lo
	v_cmpx_ne_u16_e32 0, v13
	s_cbranch_execz .LBB357_4088
; %bb.4081:                             ;   in Loop: Header=BB357_2083 Depth=1
	v_bfrev_b32_e32 v66, 1
	s_mov_b32 s19, exec_lo
	v_cmpx_ne_u16_e32 0x80, v13
	s_cbranch_execz .LBB357_4087
; %bb.4082:                             ;   in Loop: Header=BB357_2083 Depth=1
	v_bfe_u32 v37, v19, 16, 7
	v_mov_b32_e32 v66, 0x7f800001
	s_mov_b32 s20, exec_lo
	v_cmpx_ne_u32_e32 0x7f, v37
	s_cbranch_execz .LBB357_4086
; %bb.4083:                             ;   in Loop: Header=BB357_2083 Depth=1
	v_mov_b32_e32 v13, 7
	s_mov_b32 s21, exec_lo
	v_and_b32_sdwa v13, v19, v13 dst_sel:DWORD dst_unused:UNUSED_PAD src0_sel:WORD_1 src1_sel:DWORD
	v_mov_b32_e32 v25, v14
	v_lshrrev_b32_e32 v25, 3, v37
	v_mov_b32_e32 v24, v13
	v_cmpx_gt_u32_e32 8, v37
; %bb.4084:                             ;   in Loop: Header=BB357_2083 Depth=1
	v_ffbh_u32_e32 v24, v13
	v_min_u32_e32 v37, 32, v24
	v_subrev_nc_u32_e32 v24, 28, v37
	v_lshlrev_b64 v[24:25], v24, v[13:14]
	v_sub_nc_u32_e32 v25, 29, v37
	v_and_b32_e32 v24, 7, v24
; %bb.4085:                             ;   in Loop: Header=BB357_2083 Depth=1
	s_or_b32 exec_lo, exec_lo, s21
	v_mov_b32_e32 v13, 24
	v_lshlrev_b32_e32 v24, 20, v24
	v_lshl_add_u32 v25, v25, 23, 0x3c000000
	v_lshlrev_b32_sdwa v13, v13, v19 dst_sel:DWORD dst_unused:UNUSED_PAD src0_sel:DWORD src1_sel:WORD_1
	v_and_b32_e32 v13, 0x80000000, v13
	v_or3_b32 v66, v24, v13, v25
.LBB357_4086:                           ;   in Loop: Header=BB357_2083 Depth=1
	s_or_b32 exec_lo, exec_lo, s20
.LBB357_4087:                           ;   in Loop: Header=BB357_2083 Depth=1
	s_or_b32 exec_lo, exec_lo, s19
.LBB357_4088:                           ;   in Loop: Header=BB357_2083 Depth=1
	s_or_b32 exec_lo, exec_lo, s18
	s_mov_b32 s18, exec_lo
	v_cmpx_lt_u32_e32 0xffffff, v19
	s_cbranch_execz .LBB357_4096
; %bb.4089:                             ;   in Loop: Header=BB357_2083 Depth=1
	v_cmp_ne_u32_sdwa s4, v19, v115 src0_sel:BYTE_3 src1_sel:DWORD
	v_bfrev_b32_e32 v65, 1
	s_and_saveexec_b32 s19, s4
	s_cbranch_execz .LBB357_4095
; %bb.4090:                             ;   in Loop: Header=BB357_2083 Depth=1
	v_bfe_u32 v37, v19, 24, 7
	v_mov_b32_e32 v65, 0x7f800001
	s_mov_b32 s20, exec_lo
	v_cmpx_ne_u32_e32 0x7f, v37
	s_cbranch_execz .LBB357_4094
; %bb.4091:                             ;   in Loop: Header=BB357_2083 Depth=1
	v_mov_b32_e32 v13, 7
	s_mov_b32 s21, exec_lo
	v_and_b32_sdwa v13, v19, v13 dst_sel:DWORD dst_unused:UNUSED_PAD src0_sel:BYTE_3 src1_sel:DWORD
	v_mov_b32_e32 v25, v14
	v_lshrrev_b32_e32 v25, 3, v37
	v_mov_b32_e32 v24, v13
	v_cmpx_gt_u32_e32 8, v37
; %bb.4092:                             ;   in Loop: Header=BB357_2083 Depth=1
	v_ffbh_u32_e32 v24, v13
	v_min_u32_e32 v37, 32, v24
	v_subrev_nc_u32_e32 v24, 28, v37
	v_lshlrev_b64 v[24:25], v24, v[13:14]
	v_sub_nc_u32_e32 v25, 29, v37
	v_and_b32_e32 v24, 7, v24
; %bb.4093:                             ;   in Loop: Header=BB357_2083 Depth=1
	s_or_b32 exec_lo, exec_lo, s21
	v_mov_b32_e32 v13, 24
	v_lshlrev_b32_e32 v24, 20, v24
	v_lshl_add_u32 v25, v25, 23, 0x3c000000
	v_lshlrev_b32_sdwa v13, v13, v19 dst_sel:DWORD dst_unused:UNUSED_PAD src0_sel:DWORD src1_sel:BYTE_3
	v_and_b32_e32 v13, 0x80000000, v13
	v_or3_b32 v65, v24, v13, v25
.LBB357_4094:                           ;   in Loop: Header=BB357_2083 Depth=1
	s_or_b32 exec_lo, exec_lo, s20
.LBB357_4095:                           ;   in Loop: Header=BB357_2083 Depth=1
	s_or_b32 exec_lo, exec_lo, s19
.LBB357_4096:                           ;   in Loop: Header=BB357_2083 Depth=1
	s_or_b32 exec_lo, exec_lo, s18
	v_mov_b32_e32 v13, v20
	v_cmp_ne_u16_sdwa s4, v20, v14 src0_sel:BYTE_0 src1_sel:DWORD
	v_mov_b32_e32 v37, 0
	v_mov_b32_e32 v64, 0
	s_and_saveexec_b32 s18, s4
	s_cbranch_execz .LBB357_4104
; %bb.4097:                             ;   in Loop: Header=BB357_2083 Depth=1
	v_cmp_ne_u16_sdwa s4, v20, v115 src0_sel:BYTE_0 src1_sel:DWORD
	v_bfrev_b32_e32 v64, 1
	s_and_saveexec_b32 s19, s4
	s_cbranch_execz .LBB357_4103
; %bb.4098:                             ;   in Loop: Header=BB357_2083 Depth=1
	v_and_b32_e32 v69, 0x7f, v20
	v_mov_b32_e32 v64, 0x7f800001
	s_mov_b32 s20, exec_lo
	v_cmpx_ne_u32_e32 0x7f, v69
	s_cbranch_execz .LBB357_4102
; %bb.4099:                             ;   in Loop: Header=BB357_2083 Depth=1
	v_mov_b32_e32 v25, v14
	v_mov_b32_e32 v24, v13
	v_lshrrev_b32_e32 v25, 3, v69
	s_mov_b32 s21, exec_lo
	v_cmpx_gt_u32_e32 8, v69
; %bb.4100:                             ;   in Loop: Header=BB357_2083 Depth=1
	v_and_b32_e32 v24, 7, v20
	v_ffbh_u32_e32 v24, v24
	v_min_u32_e32 v64, 32, v24
	v_subrev_nc_u32_e32 v24, 28, v64
	v_lshlrev_b64 v[24:25], v24, v[13:14]
	v_sub_nc_u32_e32 v25, 29, v64
; %bb.4101:                             ;   in Loop: Header=BB357_2083 Depth=1
	s_or_b32 exec_lo, exec_lo, s21
	v_lshlrev_b32_e32 v24, 20, v24
	v_lshlrev_b32_e32 v64, 24, v13
	v_lshl_add_u32 v25, v25, 23, 0x3c000000
	v_and_b32_e32 v24, 0x700000, v24
	v_and_b32_e32 v64, 0x80000000, v64
	v_or3_b32 v64, v24, v64, v25
.LBB357_4102:                           ;   in Loop: Header=BB357_2083 Depth=1
	s_or_b32 exec_lo, exec_lo, s20
.LBB357_4103:                           ;   in Loop: Header=BB357_2083 Depth=1
	s_or_b32 exec_lo, exec_lo, s19
.LBB357_4104:                           ;   in Loop: Header=BB357_2083 Depth=1
	s_or_b32 exec_lo, exec_lo, s18
	v_cmp_ne_u16_sdwa s4, v13, v14 src0_sel:BYTE_1 src1_sel:DWORD
	s_and_saveexec_b32 s18, s4
	s_cbranch_execz .LBB357_4112
; %bb.4105:                             ;   in Loop: Header=BB357_2083 Depth=1
	v_cmp_ne_u16_sdwa s4, v13, v115 src0_sel:BYTE_1 src1_sel:DWORD
	v_bfrev_b32_e32 v37, 1
	s_and_saveexec_b32 s19, s4
	s_cbranch_execz .LBB357_4111
; %bb.4106:                             ;   in Loop: Header=BB357_2083 Depth=1
	v_mov_b32_e32 v24, 0xffff
	v_mov_b32_e32 v37, 0x7f800001
	s_mov_b32 s20, exec_lo
	v_and_b32_sdwa v24, v24, v13 dst_sel:DWORD dst_unused:UNUSED_PAD src0_sel:DWORD src1_sel:BYTE_1
	v_and_b32_e32 v69, 0x7f, v24
	v_cmpx_ne_u32_e32 0x7f, v69
	s_cbranch_execz .LBB357_4110
; %bb.4107:                             ;   in Loop: Header=BB357_2083 Depth=1
	v_and_b32_e32 v24, 7, v24
	v_mov_b32_e32 v25, v14
	v_lshrrev_b32_e32 v37, 3, v69
	s_mov_b32 s21, exec_lo
	v_cmpx_gt_u32_e32 8, v69
; %bb.4108:                             ;   in Loop: Header=BB357_2083 Depth=1
	v_ffbh_u32_e32 v37, v24
	v_min_u32_e32 v37, 32, v37
	v_subrev_nc_u32_e32 v69, 28, v37
	v_sub_nc_u32_e32 v37, 29, v37
	v_lshlrev_b64 v[24:25], v69, v[24:25]
	v_and_b32_e32 v24, 7, v24
; %bb.4109:                             ;   in Loop: Header=BB357_2083 Depth=1
	s_or_b32 exec_lo, exec_lo, s21
	v_lshlrev_b32_e32 v13, 16, v13
	v_lshlrev_b32_e32 v24, 20, v24
	v_lshl_add_u32 v25, v37, 23, 0x3c000000
	v_and_b32_e32 v13, 0x80000000, v13
	v_or3_b32 v37, v24, v13, v25
.LBB357_4110:                           ;   in Loop: Header=BB357_2083 Depth=1
	s_or_b32 exec_lo, exec_lo, s20
.LBB357_4111:                           ;   in Loop: Header=BB357_2083 Depth=1
	s_or_b32 exec_lo, exec_lo, s19
.LBB357_4112:                           ;   in Loop: Header=BB357_2083 Depth=1
	s_or_b32 exec_lo, exec_lo, s18
	v_and_b32_sdwa v13, v20, v117 dst_sel:DWORD dst_unused:UNUSED_PAD src0_sel:WORD_1 src1_sel:DWORD
	v_mov_b32_e32 v70, 0
	v_mov_b32_e32 v71, 0
	s_mov_b32 s18, exec_lo
	v_cmpx_ne_u16_e32 0, v13
	s_cbranch_execz .LBB357_4120
; %bb.4113:                             ;   in Loop: Header=BB357_2083 Depth=1
	v_bfrev_b32_e32 v71, 1
	s_mov_b32 s19, exec_lo
	v_cmpx_ne_u16_e32 0x80, v13
	s_cbranch_execz .LBB357_4119
; %bb.4114:                             ;   in Loop: Header=BB357_2083 Depth=1
	v_bfe_u32 v69, v20, 16, 7
	v_mov_b32_e32 v71, 0x7f800001
	s_mov_b32 s20, exec_lo
	v_cmpx_ne_u32_e32 0x7f, v69
	s_cbranch_execz .LBB357_4118
; %bb.4115:                             ;   in Loop: Header=BB357_2083 Depth=1
	v_mov_b32_e32 v13, 7
	s_mov_b32 s21, exec_lo
	v_and_b32_sdwa v13, v20, v13 dst_sel:DWORD dst_unused:UNUSED_PAD src0_sel:WORD_1 src1_sel:DWORD
	v_mov_b32_e32 v25, v14
	v_lshrrev_b32_e32 v25, 3, v69
	v_mov_b32_e32 v24, v13
	v_cmpx_gt_u32_e32 8, v69
; %bb.4116:                             ;   in Loop: Header=BB357_2083 Depth=1
	v_ffbh_u32_e32 v24, v13
	v_min_u32_e32 v69, 32, v24
	v_subrev_nc_u32_e32 v24, 28, v69
	v_lshlrev_b64 v[24:25], v24, v[13:14]
	v_sub_nc_u32_e32 v25, 29, v69
	v_and_b32_e32 v24, 7, v24
; %bb.4117:                             ;   in Loop: Header=BB357_2083 Depth=1
	s_or_b32 exec_lo, exec_lo, s21
	v_mov_b32_e32 v13, 24
	v_lshlrev_b32_e32 v24, 20, v24
	v_lshl_add_u32 v25, v25, 23, 0x3c000000
	v_lshlrev_b32_sdwa v13, v13, v20 dst_sel:DWORD dst_unused:UNUSED_PAD src0_sel:DWORD src1_sel:WORD_1
	v_and_b32_e32 v13, 0x80000000, v13
	v_or3_b32 v71, v24, v13, v25
.LBB357_4118:                           ;   in Loop: Header=BB357_2083 Depth=1
	s_or_b32 exec_lo, exec_lo, s20
.LBB357_4119:                           ;   in Loop: Header=BB357_2083 Depth=1
	s_or_b32 exec_lo, exec_lo, s19
.LBB357_4120:                           ;   in Loop: Header=BB357_2083 Depth=1
	s_or_b32 exec_lo, exec_lo, s18
	s_mov_b32 s18, exec_lo
	v_cmpx_lt_u64_e64 s[6:7], v[19:20]
	s_cbranch_execz .LBB357_4128
; %bb.4121:                             ;   in Loop: Header=BB357_2083 Depth=1
	v_cmp_ne_u32_sdwa s4, v20, v115 src0_sel:BYTE_3 src1_sel:DWORD
	v_bfrev_b32_e32 v70, 1
	s_and_saveexec_b32 s19, s4
	s_cbranch_execz .LBB357_4127
; %bb.4122:                             ;   in Loop: Header=BB357_2083 Depth=1
	v_bfe_u32 v69, v20, 24, 7
	v_mov_b32_e32 v70, 0x7f800001
	s_mov_b32 s20, exec_lo
	v_cmpx_ne_u32_e32 0x7f, v69
	s_cbranch_execz .LBB357_4126
; %bb.4123:                             ;   in Loop: Header=BB357_2083 Depth=1
	v_mov_b32_e32 v13, 7
	v_lshrrev_b32_e32 v19, 3, v69
	s_mov_b32 s21, exec_lo
	v_and_b32_sdwa v13, v20, v13 dst_sel:DWORD dst_unused:UNUSED_PAD src0_sel:BYTE_3 src1_sel:DWORD
	v_mov_b32_e32 v25, v14
	v_mov_b32_e32 v24, v13
	v_cmpx_gt_u32_e32 8, v69
; %bb.4124:                             ;   in Loop: Header=BB357_2083 Depth=1
	v_ffbh_u32_e32 v19, v13
	v_min_u32_e32 v19, 32, v19
	v_subrev_nc_u32_e32 v24, 28, v19
	v_sub_nc_u32_e32 v19, 29, v19
	v_lshlrev_b64 v[24:25], v24, v[13:14]
	v_and_b32_e32 v24, 7, v24
; %bb.4125:                             ;   in Loop: Header=BB357_2083 Depth=1
	s_or_b32 exec_lo, exec_lo, s21
	v_mov_b32_e32 v13, 24
	v_lshl_add_u32 v19, v19, 23, 0x3c000000
	v_lshlrev_b32_sdwa v13, v13, v20 dst_sel:DWORD dst_unused:UNUSED_PAD src0_sel:DWORD src1_sel:BYTE_3
	v_lshlrev_b32_e32 v20, 20, v24
	v_and_b32_e32 v13, 0x80000000, v13
	v_or3_b32 v70, v20, v13, v19
.LBB357_4126:                           ;   in Loop: Header=BB357_2083 Depth=1
	s_or_b32 exec_lo, exec_lo, s20
.LBB357_4127:                           ;   in Loop: Header=BB357_2083 Depth=1
	s_or_b32 exec_lo, exec_lo, s19
.LBB357_4128:                           ;   in Loop: Header=BB357_2083 Depth=1
	s_or_b32 exec_lo, exec_lo, s18
	v_mul_f32_e32 v13, v23, v37
	v_bfe_u32 v19, v13, 16, 1
	v_or_b32_e32 v20, 0x400000, v13
	v_cmp_u_f32_e64 s4, v13, v13
	v_add3_u32 v19, v19, v13, 0x7fff
	v_cndmask_b32_e64 v13, v19, v20, s4
	v_lshrrev_b32_e32 v37, 16, v13
	v_mul_f32_e32 v13, v23, v64
	v_bfe_u32 v19, v13, 16, 1
	v_or_b32_e32 v20, 0x400000, v13
	v_cmp_u_f32_e64 s4, v13, v13
	v_add3_u32 v19, v19, v13, 0x7fff
	v_cndmask_b32_e64 v13, v19, v20, s4
	v_lshrrev_b32_e32 v64, 16, v13
	v_mul_f32_e32 v13, v23, v65
	v_bfe_u32 v19, v13, 16, 1
	v_or_b32_e32 v20, 0x400000, v13
	v_cmp_u_f32_e64 s4, v13, v13
	v_add3_u32 v19, v19, v13, 0x7fff
	v_cndmask_b32_e64 v13, v19, v20, s4
	v_lshrrev_b32_e32 v65, 16, v13
	v_mul_f32_e32 v13, v23, v66
	v_bfe_u32 v19, v13, 16, 1
	v_or_b32_e32 v20, 0x400000, v13
	v_cmp_u_f32_e64 s4, v13, v13
	v_add3_u32 v19, v19, v13, 0x7fff
	v_cndmask_b32_e64 v13, v19, v20, s4
	v_lshrrev_b32_e32 v66, 16, v13
	v_mul_f32_e32 v13, v23, v67
	v_bfe_u32 v19, v13, 16, 1
	v_or_b32_e32 v20, 0x400000, v13
	v_cmp_u_f32_e64 s4, v13, v13
	v_add3_u32 v19, v19, v13, 0x7fff
	v_cndmask_b32_e64 v13, v19, v20, s4
	v_lshrrev_b32_e32 v67, 16, v13
	v_mul_f32_e32 v13, v23, v68
	v_bfe_u32 v19, v13, 16, 1
	v_or_b32_e32 v20, 0x400000, v13
	v_cmp_u_f32_e64 s4, v13, v13
	v_add3_u32 v19, v19, v13, 0x7fff
	v_cndmask_b32_e64 v13, v19, v20, s4
	v_lshrrev_b32_e32 v69, 16, v13
	v_mul_f32_e32 v13, v23, v71
	v_bfe_u32 v19, v13, 16, 1
	v_or_b32_e32 v20, 0x400000, v13
	v_cmp_u_f32_e64 s4, v13, v13
	v_add3_u32 v19, v19, v13, 0x7fff
	v_cndmask_b32_e64 v13, v19, v20, s4
	v_lshrrev_b32_e32 v68, 16, v13
	v_mul_f32_e32 v13, v23, v70
	v_bfe_u32 v19, v13, 16, 1
	v_or_b32_e32 v20, 0x400000, v13
	v_cmp_u_f32_e64 s4, v13, v13
	v_add3_u32 v19, v19, v13, 0x7fff
	v_cndmask_b32_e64 v13, v19, v20, s4
	v_lshrrev_b32_e32 v70, 16, v13
	s_and_saveexec_b32 s18, vcc_lo
	s_cbranch_execz .LBB357_4130
; %bb.4129:                             ;   in Loop: Header=BB357_2083 Depth=1
	v_cmp_lt_i32_e64 s4, v102, v49
	v_cndmask_b32_e64 v69, 0, v69, s4
	v_cmp_lt_i32_e64 s4, v52, v49
	v_cndmask_b32_e64 v67, 0, v67, s4
	;; [unrolled: 2-line block ×8, first 2 shown]
.LBB357_4130:                           ;   in Loop: Header=BB357_2083 Depth=1
	s_or_b32 exec_lo, exec_lo, s18
	buffer_load_dword v13, off, s[0:3], s32 offset:1012 ; 4-byte Folded Reload
	v_mov_b32_e32 v24, 0
	v_mov_b32_e32 v25, 0
	s_waitcnt vmcnt(0)
	v_add_co_u32 v16, s4, v16, v13
	v_add_co_ci_u32_e64 v17, null, 0, v17, s4
	flat_load_dwordx2 v[16:17], v[16:17]
	s_waitcnt vmcnt(0) lgkmcnt(0)
	v_cmp_ne_u16_sdwa s4, v16, v14 src0_sel:BYTE_0 src1_sel:DWORD
	s_and_saveexec_b32 s18, s4
	s_cbranch_execz .LBB357_4138
; %bb.4131:                             ;   in Loop: Header=BB357_2083 Depth=1
	v_cmp_ne_u16_sdwa s4, v16, v115 src0_sel:BYTE_0 src1_sel:DWORD
	v_bfrev_b32_e32 v25, 1
	s_and_saveexec_b32 s19, s4
	s_cbranch_execz .LBB357_4137
; %bb.4132:                             ;   in Loop: Header=BB357_2083 Depth=1
	v_and_b32_e32 v19, 0x7f, v16
	v_mov_b32_e32 v25, 0x7f800001
	s_mov_b32 s20, exec_lo
	v_cmpx_ne_u32_e32 0x7f, v19
	s_cbranch_execz .LBB357_4136
; %bb.4133:                             ;   in Loop: Header=BB357_2083 Depth=1
	v_lshrrev_b32_e32 v13, 3, v19
	v_cmp_gt_u32_e64 s4, 8, v19
	v_mov_b32_e32 v20, v17
	v_mov_b32_e32 v19, v16
	s_and_saveexec_b32 s21, s4
; %bb.4134:                             ;   in Loop: Header=BB357_2083 Depth=1
	v_and_b32_e32 v13, 7, v16
	v_ffbh_u32_e32 v13, v13
	v_min_u32_e32 v13, 32, v13
	v_subrev_nc_u32_e32 v19, 28, v13
	v_sub_nc_u32_e32 v13, 29, v13
	v_lshlrev_b64 v[19:20], v19, v[16:17]
; %bb.4135:                             ;   in Loop: Header=BB357_2083 Depth=1
	s_or_b32 exec_lo, exec_lo, s21
	v_lshlrev_b32_e32 v19, 20, v19
	v_lshlrev_b32_e32 v20, 24, v16
	v_lshl_add_u32 v13, v13, 23, 0x3c000000
	v_and_b32_e32 v19, 0x700000, v19
	v_and_b32_e32 v20, 0x80000000, v20
	v_or3_b32 v25, v19, v20, v13
.LBB357_4136:                           ;   in Loop: Header=BB357_2083 Depth=1
	s_or_b32 exec_lo, exec_lo, s20
.LBB357_4137:                           ;   in Loop: Header=BB357_2083 Depth=1
	s_or_b32 exec_lo, exec_lo, s19
.LBB357_4138:                           ;   in Loop: Header=BB357_2083 Depth=1
	s_or_b32 exec_lo, exec_lo, s18
	v_cmp_ne_u16_sdwa s4, v16, v14 src0_sel:BYTE_1 src1_sel:DWORD
	s_and_saveexec_b32 s18, s4
	s_cbranch_execz .LBB357_4146
; %bb.4139:                             ;   in Loop: Header=BB357_2083 Depth=1
	v_cmp_ne_u16_sdwa s4, v16, v115 src0_sel:BYTE_1 src1_sel:DWORD
	v_bfrev_b32_e32 v24, 1
	s_and_saveexec_b32 s19, s4
	s_cbranch_execz .LBB357_4145
; %bb.4140:                             ;   in Loop: Header=BB357_2083 Depth=1
	v_mov_b32_e32 v13, 0xffff
	v_mov_b32_e32 v24, 0x7f800001
	s_mov_b32 s20, exec_lo
	v_and_b32_sdwa v13, v13, v16 dst_sel:DWORD dst_unused:UNUSED_PAD src0_sel:DWORD src1_sel:BYTE_1
	v_and_b32_e32 v71, 0x7f, v13
	v_cmpx_ne_u32_e32 0x7f, v71
	s_cbranch_execz .LBB357_4144
; %bb.4141:                             ;   in Loop: Header=BB357_2083 Depth=1
	v_and_b32_e32 v13, 7, v13
	v_mov_b32_e32 v20, v14
	v_lshrrev_b32_e32 v20, 3, v71
	s_mov_b32 s21, exec_lo
	v_mov_b32_e32 v19, v13
	v_cmpx_gt_u32_e32 8, v71
; %bb.4142:                             ;   in Loop: Header=BB357_2083 Depth=1
	v_ffbh_u32_e32 v19, v13
	v_min_u32_e32 v24, 32, v19
	v_subrev_nc_u32_e32 v19, 28, v24
	v_lshlrev_b64 v[19:20], v19, v[13:14]
	v_sub_nc_u32_e32 v20, 29, v24
	v_and_b32_e32 v19, 7, v19
; %bb.4143:                             ;   in Loop: Header=BB357_2083 Depth=1
	s_or_b32 exec_lo, exec_lo, s21
	v_lshlrev_b32_e32 v13, 16, v16
	v_lshlrev_b32_e32 v19, 20, v19
	v_lshl_add_u32 v20, v20, 23, 0x3c000000
	v_and_b32_e32 v13, 0x80000000, v13
	v_or3_b32 v24, v19, v13, v20
.LBB357_4144:                           ;   in Loop: Header=BB357_2083 Depth=1
	s_or_b32 exec_lo, exec_lo, s20
.LBB357_4145:                           ;   in Loop: Header=BB357_2083 Depth=1
	s_or_b32 exec_lo, exec_lo, s19
.LBB357_4146:                           ;   in Loop: Header=BB357_2083 Depth=1
	s_or_b32 exec_lo, exec_lo, s18
	v_and_b32_sdwa v13, v16, v117 dst_sel:DWORD dst_unused:UNUSED_PAD src0_sel:WORD_1 src1_sel:DWORD
	v_mov_b32_e32 v80, 0
	v_mov_b32_e32 v71, 0
	s_mov_b32 s18, exec_lo
	v_cmpx_ne_u16_e32 0, v13
	s_cbranch_execz .LBB357_4154
; %bb.4147:                             ;   in Loop: Header=BB357_2083 Depth=1
	v_bfrev_b32_e32 v71, 1
	s_mov_b32 s19, exec_lo
	v_cmpx_ne_u16_e32 0x80, v13
	s_cbranch_execz .LBB357_4153
; %bb.4148:                             ;   in Loop: Header=BB357_2083 Depth=1
	v_bfe_u32 v81, v16, 16, 7
	v_mov_b32_e32 v71, 0x7f800001
	s_mov_b32 s20, exec_lo
	v_cmpx_ne_u32_e32 0x7f, v81
	s_cbranch_execz .LBB357_4152
; %bb.4149:                             ;   in Loop: Header=BB357_2083 Depth=1
	v_mov_b32_e32 v13, 7
	s_mov_b32 s21, exec_lo
	v_and_b32_sdwa v13, v16, v13 dst_sel:DWORD dst_unused:UNUSED_PAD src0_sel:WORD_1 src1_sel:DWORD
	v_mov_b32_e32 v20, v14
	v_lshrrev_b32_e32 v20, 3, v81
	v_mov_b32_e32 v19, v13
	v_cmpx_gt_u32_e32 8, v81
; %bb.4150:                             ;   in Loop: Header=BB357_2083 Depth=1
	v_ffbh_u32_e32 v19, v13
	v_min_u32_e32 v71, 32, v19
	v_subrev_nc_u32_e32 v19, 28, v71
	v_lshlrev_b64 v[19:20], v19, v[13:14]
	v_sub_nc_u32_e32 v20, 29, v71
	v_and_b32_e32 v19, 7, v19
; %bb.4151:                             ;   in Loop: Header=BB357_2083 Depth=1
	s_or_b32 exec_lo, exec_lo, s21
	v_mov_b32_e32 v13, 24
	v_lshlrev_b32_e32 v19, 20, v19
	v_lshl_add_u32 v20, v20, 23, 0x3c000000
	v_lshlrev_b32_sdwa v13, v13, v16 dst_sel:DWORD dst_unused:UNUSED_PAD src0_sel:DWORD src1_sel:WORD_1
	v_and_b32_e32 v13, 0x80000000, v13
	v_or3_b32 v71, v19, v13, v20
.LBB357_4152:                           ;   in Loop: Header=BB357_2083 Depth=1
	s_or_b32 exec_lo, exec_lo, s20
.LBB357_4153:                           ;   in Loop: Header=BB357_2083 Depth=1
	s_or_b32 exec_lo, exec_lo, s19
.LBB357_4154:                           ;   in Loop: Header=BB357_2083 Depth=1
	s_or_b32 exec_lo, exec_lo, s18
	s_mov_b32 s18, exec_lo
	v_cmpx_lt_u32_e32 0xffffff, v16
	s_cbranch_execz .LBB357_4162
; %bb.4155:                             ;   in Loop: Header=BB357_2083 Depth=1
	v_cmp_ne_u32_sdwa s4, v16, v115 src0_sel:BYTE_3 src1_sel:DWORD
	v_bfrev_b32_e32 v80, 1
	s_and_saveexec_b32 s19, s4
	s_cbranch_execz .LBB357_4161
; %bb.4156:                             ;   in Loop: Header=BB357_2083 Depth=1
	v_bfe_u32 v81, v16, 24, 7
	v_mov_b32_e32 v80, 0x7f800001
	s_mov_b32 s20, exec_lo
	v_cmpx_ne_u32_e32 0x7f, v81
	s_cbranch_execz .LBB357_4160
; %bb.4157:                             ;   in Loop: Header=BB357_2083 Depth=1
	v_mov_b32_e32 v13, 7
	s_mov_b32 s21, exec_lo
	v_and_b32_sdwa v13, v16, v13 dst_sel:DWORD dst_unused:UNUSED_PAD src0_sel:BYTE_3 src1_sel:DWORD
	v_mov_b32_e32 v20, v14
	v_lshrrev_b32_e32 v20, 3, v81
	v_mov_b32_e32 v19, v13
	v_cmpx_gt_u32_e32 8, v81
; %bb.4158:                             ;   in Loop: Header=BB357_2083 Depth=1
	v_ffbh_u32_e32 v19, v13
	v_min_u32_e32 v80, 32, v19
	v_subrev_nc_u32_e32 v19, 28, v80
	v_lshlrev_b64 v[19:20], v19, v[13:14]
	v_sub_nc_u32_e32 v20, 29, v80
	v_and_b32_e32 v19, 7, v19
; %bb.4159:                             ;   in Loop: Header=BB357_2083 Depth=1
	s_or_b32 exec_lo, exec_lo, s21
	v_mov_b32_e32 v13, 24
	v_lshlrev_b32_e32 v19, 20, v19
	v_lshl_add_u32 v20, v20, 23, 0x3c000000
	v_lshlrev_b32_sdwa v13, v13, v16 dst_sel:DWORD dst_unused:UNUSED_PAD src0_sel:DWORD src1_sel:BYTE_3
	v_and_b32_e32 v13, 0x80000000, v13
	v_or3_b32 v80, v19, v13, v20
.LBB357_4160:                           ;   in Loop: Header=BB357_2083 Depth=1
	s_or_b32 exec_lo, exec_lo, s20
.LBB357_4161:                           ;   in Loop: Header=BB357_2083 Depth=1
	s_or_b32 exec_lo, exec_lo, s19
.LBB357_4162:                           ;   in Loop: Header=BB357_2083 Depth=1
	s_or_b32 exec_lo, exec_lo, s18
	v_mov_b32_e32 v13, v17
	v_cmp_ne_u16_sdwa s4, v17, v14 src0_sel:BYTE_0 src1_sel:DWORD
	v_mov_b32_e32 v119, 0
	v_mov_b32_e32 v118, 0
	s_and_saveexec_b32 s18, s4
	s_cbranch_execz .LBB357_4170
; %bb.4163:                             ;   in Loop: Header=BB357_2083 Depth=1
	v_cmp_ne_u16_sdwa s4, v17, v115 src0_sel:BYTE_0 src1_sel:DWORD
	v_bfrev_b32_e32 v118, 1
	s_and_saveexec_b32 s19, s4
	s_cbranch_execz .LBB357_4169
; %bb.4164:                             ;   in Loop: Header=BB357_2083 Depth=1
	v_and_b32_e32 v81, 0x7f, v17
	v_mov_b32_e32 v118, 0x7f800001
	s_mov_b32 s20, exec_lo
	v_cmpx_ne_u32_e32 0x7f, v81
	s_cbranch_execz .LBB357_4168
; %bb.4165:                             ;   in Loop: Header=BB357_2083 Depth=1
	v_mov_b32_e32 v20, v14
	v_mov_b32_e32 v19, v13
	v_lshrrev_b32_e32 v20, 3, v81
	s_mov_b32 s21, exec_lo
	v_cmpx_gt_u32_e32 8, v81
; %bb.4166:                             ;   in Loop: Header=BB357_2083 Depth=1
	v_and_b32_e32 v19, 7, v17
	v_ffbh_u32_e32 v19, v19
	v_min_u32_e32 v81, 32, v19
	v_subrev_nc_u32_e32 v19, 28, v81
	v_lshlrev_b64 v[19:20], v19, v[13:14]
	v_sub_nc_u32_e32 v20, 29, v81
; %bb.4167:                             ;   in Loop: Header=BB357_2083 Depth=1
	s_or_b32 exec_lo, exec_lo, s21
	v_lshlrev_b32_e32 v19, 20, v19
	v_lshlrev_b32_e32 v81, 24, v13
	v_lshl_add_u32 v20, v20, 23, 0x3c000000
	v_and_b32_e32 v19, 0x700000, v19
	v_and_b32_e32 v81, 0x80000000, v81
	v_or3_b32 v118, v19, v81, v20
.LBB357_4168:                           ;   in Loop: Header=BB357_2083 Depth=1
	s_or_b32 exec_lo, exec_lo, s20
.LBB357_4169:                           ;   in Loop: Header=BB357_2083 Depth=1
	s_or_b32 exec_lo, exec_lo, s19
.LBB357_4170:                           ;   in Loop: Header=BB357_2083 Depth=1
	s_or_b32 exec_lo, exec_lo, s18
	v_cmp_ne_u16_sdwa s4, v13, v14 src0_sel:BYTE_1 src1_sel:DWORD
	s_and_saveexec_b32 s18, s4
	s_cbranch_execz .LBB357_4178
; %bb.4171:                             ;   in Loop: Header=BB357_2083 Depth=1
	v_cmp_ne_u16_sdwa s4, v13, v115 src0_sel:BYTE_1 src1_sel:DWORD
	v_bfrev_b32_e32 v119, 1
	s_and_saveexec_b32 s19, s4
	s_cbranch_execz .LBB357_4177
; %bb.4172:                             ;   in Loop: Header=BB357_2083 Depth=1
	v_mov_b32_e32 v19, 0xffff
	v_mov_b32_e32 v119, 0x7f800001
	s_mov_b32 s20, exec_lo
	v_and_b32_sdwa v19, v19, v13 dst_sel:DWORD dst_unused:UNUSED_PAD src0_sel:DWORD src1_sel:BYTE_1
	v_and_b32_e32 v82, 0x7f, v19
	v_cmpx_ne_u32_e32 0x7f, v82
	s_cbranch_execz .LBB357_4176
; %bb.4173:                             ;   in Loop: Header=BB357_2083 Depth=1
	v_and_b32_e32 v19, 7, v19
	v_mov_b32_e32 v20, v14
	v_lshrrev_b32_e32 v81, 3, v82
	s_mov_b32 s21, exec_lo
	v_cmpx_gt_u32_e32 8, v82
; %bb.4174:                             ;   in Loop: Header=BB357_2083 Depth=1
	v_ffbh_u32_e32 v81, v19
	v_min_u32_e32 v81, 32, v81
	v_subrev_nc_u32_e32 v82, 28, v81
	v_sub_nc_u32_e32 v81, 29, v81
	v_lshlrev_b64 v[19:20], v82, v[19:20]
	v_and_b32_e32 v19, 7, v19
; %bb.4175:                             ;   in Loop: Header=BB357_2083 Depth=1
	s_or_b32 exec_lo, exec_lo, s21
	v_lshlrev_b32_e32 v13, 16, v13
	v_lshlrev_b32_e32 v19, 20, v19
	v_lshl_add_u32 v20, v81, 23, 0x3c000000
	v_and_b32_e32 v13, 0x80000000, v13
	v_or3_b32 v119, v19, v13, v20
.LBB357_4176:                           ;   in Loop: Header=BB357_2083 Depth=1
	s_or_b32 exec_lo, exec_lo, s20
.LBB357_4177:                           ;   in Loop: Header=BB357_2083 Depth=1
	s_or_b32 exec_lo, exec_lo, s19
.LBB357_4178:                           ;   in Loop: Header=BB357_2083 Depth=1
	s_or_b32 exec_lo, exec_lo, s18
	v_and_b32_sdwa v13, v17, v117 dst_sel:DWORD dst_unused:UNUSED_PAD src0_sel:WORD_1 src1_sel:DWORD
	v_mov_b32_e32 v81, 0
	v_mov_b32_e32 v116, 0
	s_mov_b32 s18, exec_lo
	v_cmpx_ne_u16_e32 0, v13
	s_cbranch_execz .LBB357_4186
; %bb.4179:                             ;   in Loop: Header=BB357_2083 Depth=1
	v_bfrev_b32_e32 v116, 1
	s_mov_b32 s19, exec_lo
	v_cmpx_ne_u16_e32 0x80, v13
	s_cbranch_execz .LBB357_4185
; %bb.4180:                             ;   in Loop: Header=BB357_2083 Depth=1
	v_bfe_u32 v82, v17, 16, 7
	v_mov_b32_e32 v116, 0x7f800001
	s_mov_b32 s20, exec_lo
	v_cmpx_ne_u32_e32 0x7f, v82
	s_cbranch_execz .LBB357_4184
; %bb.4181:                             ;   in Loop: Header=BB357_2083 Depth=1
	v_mov_b32_e32 v13, 7
	s_mov_b32 s21, exec_lo
	v_and_b32_sdwa v13, v17, v13 dst_sel:DWORD dst_unused:UNUSED_PAD src0_sel:WORD_1 src1_sel:DWORD
	v_mov_b32_e32 v20, v14
	v_lshrrev_b32_e32 v20, 3, v82
	v_mov_b32_e32 v19, v13
	v_cmpx_gt_u32_e32 8, v82
; %bb.4182:                             ;   in Loop: Header=BB357_2083 Depth=1
	v_ffbh_u32_e32 v19, v13
	v_min_u32_e32 v82, 32, v19
	v_subrev_nc_u32_e32 v19, 28, v82
	v_lshlrev_b64 v[19:20], v19, v[13:14]
	v_sub_nc_u32_e32 v20, 29, v82
	v_and_b32_e32 v19, 7, v19
; %bb.4183:                             ;   in Loop: Header=BB357_2083 Depth=1
	s_or_b32 exec_lo, exec_lo, s21
	v_mov_b32_e32 v13, 24
	v_lshlrev_b32_e32 v19, 20, v19
	v_lshl_add_u32 v20, v20, 23, 0x3c000000
	v_lshlrev_b32_sdwa v13, v13, v17 dst_sel:DWORD dst_unused:UNUSED_PAD src0_sel:DWORD src1_sel:WORD_1
	v_and_b32_e32 v13, 0x80000000, v13
	v_or3_b32 v116, v19, v13, v20
.LBB357_4184:                           ;   in Loop: Header=BB357_2083 Depth=1
	s_or_b32 exec_lo, exec_lo, s20
.LBB357_4185:                           ;   in Loop: Header=BB357_2083 Depth=1
	s_or_b32 exec_lo, exec_lo, s19
.LBB357_4186:                           ;   in Loop: Header=BB357_2083 Depth=1
	s_or_b32 exec_lo, exec_lo, s18
	s_mov_b32 s18, exec_lo
	v_cmpx_lt_u64_e64 s[6:7], v[16:17]
	s_cbranch_execz .LBB357_4194
; %bb.4187:                             ;   in Loop: Header=BB357_2083 Depth=1
	v_cmp_ne_u32_sdwa s4, v17, v115 src0_sel:BYTE_3 src1_sel:DWORD
	v_bfrev_b32_e32 v81, 1
	s_and_saveexec_b32 s19, s4
	s_cbranch_execz .LBB357_4193
; %bb.4188:                             ;   in Loop: Header=BB357_2083 Depth=1
	v_bfe_u32 v82, v17, 24, 7
	v_mov_b32_e32 v81, 0x7f800001
	s_mov_b32 s20, exec_lo
	v_cmpx_ne_u32_e32 0x7f, v82
	s_cbranch_execz .LBB357_4192
; %bb.4189:                             ;   in Loop: Header=BB357_2083 Depth=1
	v_mov_b32_e32 v13, 7
	v_lshrrev_b32_e32 v16, 3, v82
	s_mov_b32 s21, exec_lo
	v_and_b32_sdwa v13, v17, v13 dst_sel:DWORD dst_unused:UNUSED_PAD src0_sel:BYTE_3 src1_sel:DWORD
	v_mov_b32_e32 v20, v14
	v_mov_b32_e32 v19, v13
	v_cmpx_gt_u32_e32 8, v82
; %bb.4190:                             ;   in Loop: Header=BB357_2083 Depth=1
	v_ffbh_u32_e32 v16, v13
	v_min_u32_e32 v16, 32, v16
	v_subrev_nc_u32_e32 v19, 28, v16
	v_sub_nc_u32_e32 v16, 29, v16
	v_lshlrev_b64 v[19:20], v19, v[13:14]
	v_and_b32_e32 v19, 7, v19
; %bb.4191:                             ;   in Loop: Header=BB357_2083 Depth=1
	s_or_b32 exec_lo, exec_lo, s21
	v_mov_b32_e32 v13, 24
	v_lshl_add_u32 v16, v16, 23, 0x3c000000
	v_lshlrev_b32_sdwa v13, v13, v17 dst_sel:DWORD dst_unused:UNUSED_PAD src0_sel:DWORD src1_sel:BYTE_3
	v_lshlrev_b32_e32 v17, 20, v19
	v_and_b32_e32 v13, 0x80000000, v13
	v_or3_b32 v81, v17, v13, v16
.LBB357_4192:                           ;   in Loop: Header=BB357_2083 Depth=1
	s_or_b32 exec_lo, exec_lo, s20
.LBB357_4193:                           ;   in Loop: Header=BB357_2083 Depth=1
	s_or_b32 exec_lo, exec_lo, s19
.LBB357_4194:                           ;   in Loop: Header=BB357_2083 Depth=1
	s_or_b32 exec_lo, exec_lo, s18
	v_mul_f32_e32 v13, v23, v119
	v_bfe_u32 v16, v13, 16, 1
	v_or_b32_e32 v17, 0x400000, v13
	v_cmp_u_f32_e64 s4, v13, v13
	v_add3_u32 v16, v16, v13, 0x7fff
	v_cndmask_b32_e64 v13, v16, v17, s4
	v_mul_f32_e32 v16, v23, v118
	v_lshrrev_b32_e32 v13, 16, v13
	v_bfe_u32 v17, v16, 16, 1
	v_or_b32_e32 v19, 0x400000, v16
	v_cmp_u_f32_e64 s4, v16, v16
	v_add3_u32 v17, v17, v16, 0x7fff
	v_cndmask_b32_e64 v16, v17, v19, s4
	v_mul_f32_e32 v17, v23, v80
	v_lshrrev_b32_e32 v16, 16, v16
	;; [unrolled: 7-line block ×3, first 2 shown]
	v_bfe_u32 v20, v19, 16, 1
	v_or_b32_e32 v71, 0x400000, v19
	v_cmp_u_f32_e64 s4, v19, v19
	v_add3_u32 v20, v20, v19, 0x7fff
	v_cndmask_b32_e64 v19, v20, v71, s4
	v_lshrrev_b32_e32 v20, 16, v19
	v_mul_f32_e32 v19, v23, v24
	v_bfe_u32 v24, v19, 16, 1
	v_or_b32_e32 v71, 0x400000, v19
	v_cmp_u_f32_e64 s4, v19, v19
	v_add3_u32 v24, v24, v19, 0x7fff
	v_cndmask_b32_e64 v19, v24, v71, s4
	v_lshrrev_b32_e32 v24, 16, v19
	v_mul_f32_e32 v19, v23, v25
	;; [unrolled: 7-line block ×3, first 2 shown]
	v_mul_f32_e32 v23, v23, v81
	v_bfe_u32 v71, v19, 16, 1
	v_or_b32_e32 v80, 0x400000, v19
	v_cmp_u_f32_e64 s4, v19, v19
	v_add3_u32 v71, v71, v19, 0x7fff
	v_cndmask_b32_e64 v19, v71, v80, s4
	v_bfe_u32 v71, v23, 16, 1
	v_or_b32_e32 v80, 0x400000, v23
	v_cmp_u_f32_e64 s4, v23, v23
	v_lshrrev_b32_e32 v19, 16, v19
	v_add3_u32 v71, v71, v23, 0x7fff
	v_cndmask_b32_e64 v23, v71, v80, s4
	v_lshrrev_b32_e32 v23, 16, v23
	s_and_saveexec_b32 s4, vcc_lo
	s_cbranch_execz .LBB357_2081
; %bb.4195:                             ;   in Loop: Header=BB357_2083 Depth=1
	v_cmp_lt_i32_e32 vcc_lo, v102, v49
	v_cndmask_b32_e32 v25, 0, v25, vcc_lo
	v_cmp_lt_i32_e32 vcc_lo, v52, v49
	v_cndmask_b32_e32 v24, 0, v24, vcc_lo
	;; [unrolled: 2-line block ×8, first 2 shown]
	s_branch .LBB357_2081
.LBB357_4196:
	s_or_b32 exec_lo, exec_lo, s13
	s_clause 0x20
	buffer_load_dword v70, off, s[0:3], s32 offset:1016
	buffer_load_dword v39, off, s[0:3], s32 offset:1020
	;; [unrolled: 1-line block ×33, first 2 shown]
.LBB357_4197:
	s_or_b32 exec_lo, exec_lo, s5
	s_waitcnt vmcnt(0)
	ds_bpermute_b32 v0, v39, v31
	ds_bpermute_b32 v2, v39, v29
	;; [unrolled: 1-line block ×14, first 2 shown]
	s_waitcnt lgkmcnt(0)
	s_waitcnt_vscnt null, 0x0
	s_barrier
	buffer_gl0_inv
	ds_bpermute_b32 v11, v39, v19
	ds_bpermute_b32 v5, v39, v23
	s_load_dword s4, s[8:9], 0x0
	v_add_f32_e32 v0, v31, v0
	v_add_f32_e32 v2, v29, v2
	;; [unrolled: 1-line block ×5, first 2 shown]
	ds_bpermute_b32 v16, v70, v0
	ds_bpermute_b32 v18, v70, v2
	v_add_f32_e32 v6, v17, v6
	ds_bpermute_b32 v17, v70, v1
	v_add_f32_e32 v4, v27, v4
	v_add_f32_e32 v8, v22, v8
	;; [unrolled: 1-line block ×4, first 2 shown]
	ds_bpermute_b32 v22, v70, v6
	ds_bpermute_b32 v20, v70, v4
	v_add_f32_e32 v15, v24, v15
	ds_bpermute_b32 v24, v70, v8
	ds_bpermute_b32 v34, v70, v10
	v_add_f32_e32 v9, v21, v9
	v_add_f32_e32 v3, v28, v3
	;; [unrolled: 1-line block ×3, first 2 shown]
	s_waitcnt lgkmcnt(0)
	v_add_f32_e32 v11, v19, v11
	v_add_f32_e32 v5, v23, v5
	ds_bpermute_b32 v28, v70, v9
	ds_bpermute_b32 v19, v70, v3
	v_add_f32_e32 v33, v0, v16
	ds_bpermute_b32 v0, v39, v71
	v_add_f32_e32 v32, v2, v18
	;; [unrolled: 2-line block ×3, first 2 shown]
	ds_bpermute_b32 v1, v70, v12
	ds_bpermute_b32 v21, v70, v5
	;; [unrolled: 1-line block ×3, first 2 shown]
	v_add_f32_e32 v25, v6, v22
	v_add_f32_e32 v29, v4, v20
	ds_bpermute_b32 v6, v39, v65
	v_add_f32_e32 v26, v8, v24
	v_add_f32_e32 v20, v10, v34
	ds_bpermute_b32 v24, v39, v114
	ds_bpermute_b32 v35, v70, v11
	;; [unrolled: 1-line block ×5, first 2 shown]
	s_waitcnt lgkmcnt(12)
	v_add_f32_e32 v22, v9, v28
	s_waitcnt lgkmcnt(11)
	v_add_f32_e32 v30, v3, v19
	ds_bpermute_b32 v3, v39, v68
	s_waitcnt lgkmcnt(11)
	v_add_f32_e32 v0, v71, v0
	ds_bpermute_b32 v8, v39, v51
	;; [unrolled: 3-line block ×5, first 2 shown]
	s_waitcnt lgkmcnt(11)
	v_add_f32_e32 v21, v7, v23
	s_waitcnt lgkmcnt(10)
	v_add_f32_e32 v6, v65, v6
	ds_bpermute_b32 v23, v39, v64
	ds_bpermute_b32 v5, v39, v66
	s_waitcnt lgkmcnt(11)
	v_add_f32_e32 v65, v114, v24
	s_waitcnt lgkmcnt(10)
	v_add_f32_e32 v17, v11, v35
	;; [unrolled: 2-line block ×4, first 2 shown]
	ds_bpermute_b32 v7, v39, v52
	ds_bpermute_b32 v11, v39, v80
	;; [unrolled: 1-line block ×3, first 2 shown]
	s_waitcnt lgkmcnt(9)
	v_add_f32_e32 v3, v68, v3
	ds_bpermute_b32 v15, v39, v53
	ds_bpermute_b32 v18, v39, v54
	;; [unrolled: 1-line block ×5, first 2 shown]
	s_waitcnt lgkmcnt(11)
	v_add_f32_e32 v28, v0, v1
	buffer_load_dword v0, off, s[0:3], s32 offset:1260 ; 4-byte Folded Reload
	s_waitcnt lgkmcnt(10)
	v_add_f32_e32 v24, v2, v34
	buffer_load_dword v34, off, s[0:3], s32 offset:1256 ; 4-byte Folded Reload
	v_add_f32_e32 v4, v67, v4
	s_waitcnt lgkmcnt(9)
	v_add_f32_e32 v64, v64, v23
	s_waitcnt lgkmcnt(8)
	v_add_f32_e32 v5, v66, v5
	v_add_f32_e32 v8, v51, v8
	;; [unrolled: 1-line block ×3, first 2 shown]
	ds_bpermute_b32 v38, v70, v6
	ds_bpermute_b32 v69, v70, v64
	s_waitcnt lgkmcnt(9)
	v_add_f32_e32 v7, v52, v7
	s_waitcnt lgkmcnt(8)
	v_add_f32_e32 v39, v80, v11
	;; [unrolled: 2-line block ×3, first 2 shown]
	ds_bpermute_b32 v37, v70, v5
	s_waitcnt lgkmcnt(7)
	v_add_f32_e32 v53, v53, v15
	s_waitcnt lgkmcnt(6)
	v_add_f32_e32 v54, v54, v18
	;; [unrolled: 2-line block ×5, first 2 shown]
	ds_bpermute_b32 v36, v70, v4
	ds_bpermute_b32 v11, v70, v7
	;; [unrolled: 1-line block ×10, first 2 shown]
	s_waitcnt lgkmcnt(12)
	v_add_f32_e32 v15, v6, v38
	s_waitcnt lgkmcnt(11)
	v_add_f32_e32 v3, v64, v69
	s_mov_b32 s5, exec_lo
	s_waitcnt lgkmcnt(10)
	v_add_f32_e32 v18, v5, v37
	s_waitcnt lgkmcnt(9)
	v_add_f32_e32 v19, v4, v36
	;; [unrolled: 2-line block ×11, first 2 shown]
	s_waitcnt vmcnt(1)
	v_and_b32_e32 v35, 0x3c3, v0
	s_waitcnt vmcnt(0)
	v_and_b32_e32 v1, 28, v34
	v_lshrrev_b32_e32 v0, 2, v34
	buffer_load_dword v34, off, s[0:3], s32 offset:2324 ; 4-byte Folded Reload
	v_add_nc_u32_e32 v1, s4, v1
	s_waitcnt vmcnt(0)
	v_lshlrev_b32_e32 v34, 10, v34
	v_cmpx_eq_u32_e32 64, v35
	s_cbranch_execz .LBB357_4199
; %bb.4198:
	v_add_nc_u32_e32 v35, v1, v34
	v_add_nc_u32_e32 v36, 0xfffff800, v35
	;; [unrolled: 1-line block ×8, first 2 shown]
	ds_write_b32 v36, v33
	ds_write_b32 v37, v31
	;; [unrolled: 1-line block ×7, first 2 shown]
	v_add_nc_u32_e32 v36, 0xfffff8e0, v35
	v_add_nc_u32_e32 v37, 0xfffff900, v35
	v_add_nc_u32_e32 v38, 0xfffff920, v35
	v_add_nc_u32_e32 v39, 0xfffff940, v35
	v_add_nc_u32_e32 v48, 0xfffff960, v35
	ds_write_b32 v36, v21
	ds_write_b32 v37, v26
	ds_write_b32 v38, v22
	ds_write_b32 v39, v20
	ds_write_b32 v48, v17
	v_add_nc_u32_e32 v36, 0xfffff980, v35
	v_add_nc_u32_e32 v37, 0xfffff9a0, v35
	v_add_nc_u32_e32 v38, 0xfffff9c0, v35
	v_add_nc_u32_e32 v39, 0xfffff9e0, v35
	v_add_nc_u32_e32 v48, 0xfffffa00, v35
	ds_write_b32 v36, v16
	ds_write_b32 v37, v13
	ds_write_b32 v38, v12
	ds_write_b32 v39, v9
	ds_write_b32 v48, v28
	;; [unrolled: 10-line block ×5, first 2 shown]
.LBB357_4199:
	s_or_b32 exec_lo, exec_lo, s5
	buffer_load_dword v36, off, s[0:3], s32 offset:1260 ; 4-byte Folded Reload
	v_lshlrev_b32_e32 v0, 2, v0
	s_mov_b32 s5, exec_lo
	s_waitcnt vmcnt(0) lgkmcnt(0)
	s_barrier
	buffer_gl0_inv
	v_add3_u32 v0, s4, v34, v0
	v_and_b32_e32 v35, 3, v36
	v_cmp_eq_u32_e32 vcc_lo, 0, v35
	v_cmpx_gt_u32_e32 64, v36
	s_cbranch_execz .LBB357_4234
; %bb.4200:
	s_and_saveexec_b32 s4, vcc_lo
	s_cbranch_execnz .LBB357_4274
; %bb.4201:
	s_or_b32 exec_lo, exec_lo, s4
	s_and_saveexec_b32 s4, vcc_lo
	s_cbranch_execnz .LBB357_4275
.LBB357_4202:
	s_or_b32 exec_lo, exec_lo, s4
	s_and_saveexec_b32 s4, vcc_lo
	s_cbranch_execnz .LBB357_4276
.LBB357_4203:
	s_or_b32 exec_lo, exec_lo, s4
	s_and_saveexec_b32 s4, vcc_lo
	s_cbranch_execnz .LBB357_4277
.LBB357_4204:
	s_or_b32 exec_lo, exec_lo, s4
	s_and_saveexec_b32 s4, vcc_lo
	s_cbranch_execnz .LBB357_4278
.LBB357_4205:
	s_or_b32 exec_lo, exec_lo, s4
	s_and_saveexec_b32 s4, vcc_lo
	s_cbranch_execnz .LBB357_4279
.LBB357_4206:
	s_or_b32 exec_lo, exec_lo, s4
	s_and_saveexec_b32 s4, vcc_lo
	s_cbranch_execnz .LBB357_4280
.LBB357_4207:
	s_or_b32 exec_lo, exec_lo, s4
	s_and_saveexec_b32 s4, vcc_lo
	s_cbranch_execnz .LBB357_4281
.LBB357_4208:
	s_or_b32 exec_lo, exec_lo, s4
	s_and_saveexec_b32 s4, vcc_lo
	s_cbranch_execnz .LBB357_4282
.LBB357_4209:
	s_or_b32 exec_lo, exec_lo, s4
	s_and_saveexec_b32 s4, vcc_lo
	s_cbranch_execnz .LBB357_4283
.LBB357_4210:
	s_or_b32 exec_lo, exec_lo, s4
	s_and_saveexec_b32 s4, vcc_lo
	s_cbranch_execnz .LBB357_4284
.LBB357_4211:
	s_or_b32 exec_lo, exec_lo, s4
	s_and_saveexec_b32 s4, vcc_lo
	s_cbranch_execnz .LBB357_4285
.LBB357_4212:
	s_or_b32 exec_lo, exec_lo, s4
	s_and_saveexec_b32 s4, vcc_lo
	s_cbranch_execnz .LBB357_4286
.LBB357_4213:
	s_or_b32 exec_lo, exec_lo, s4
	s_and_saveexec_b32 s4, vcc_lo
	s_cbranch_execnz .LBB357_4287
.LBB357_4214:
	s_or_b32 exec_lo, exec_lo, s4
	s_and_saveexec_b32 s4, vcc_lo
	s_cbranch_execnz .LBB357_4288
.LBB357_4215:
	s_or_b32 exec_lo, exec_lo, s4
	s_and_saveexec_b32 s4, vcc_lo
	s_cbranch_execnz .LBB357_4289
.LBB357_4216:
	s_or_b32 exec_lo, exec_lo, s4
	s_and_saveexec_b32 s4, vcc_lo
	s_cbranch_execnz .LBB357_4290
.LBB357_4217:
	s_or_b32 exec_lo, exec_lo, s4
	s_and_saveexec_b32 s4, vcc_lo
	s_cbranch_execnz .LBB357_4291
.LBB357_4218:
	s_or_b32 exec_lo, exec_lo, s4
	s_and_saveexec_b32 s4, vcc_lo
	s_cbranch_execnz .LBB357_4292
.LBB357_4219:
	s_or_b32 exec_lo, exec_lo, s4
	s_and_saveexec_b32 s4, vcc_lo
	s_cbranch_execnz .LBB357_4293
.LBB357_4220:
	s_or_b32 exec_lo, exec_lo, s4
	s_and_saveexec_b32 s4, vcc_lo
	s_cbranch_execnz .LBB357_4294
.LBB357_4221:
	s_or_b32 exec_lo, exec_lo, s4
	s_and_saveexec_b32 s4, vcc_lo
	s_cbranch_execnz .LBB357_4295
.LBB357_4222:
	s_or_b32 exec_lo, exec_lo, s4
	s_and_saveexec_b32 s4, vcc_lo
	s_cbranch_execnz .LBB357_4296
.LBB357_4223:
	s_or_b32 exec_lo, exec_lo, s4
	s_and_saveexec_b32 s4, vcc_lo
	s_cbranch_execnz .LBB357_4297
.LBB357_4224:
	s_or_b32 exec_lo, exec_lo, s4
	s_and_saveexec_b32 s4, vcc_lo
	s_cbranch_execnz .LBB357_4298
.LBB357_4225:
	s_or_b32 exec_lo, exec_lo, s4
	s_and_saveexec_b32 s4, vcc_lo
	s_cbranch_execnz .LBB357_4299
.LBB357_4226:
	s_or_b32 exec_lo, exec_lo, s4
	s_and_saveexec_b32 s4, vcc_lo
	s_cbranch_execnz .LBB357_4300
.LBB357_4227:
	s_or_b32 exec_lo, exec_lo, s4
	s_and_saveexec_b32 s4, vcc_lo
	s_cbranch_execnz .LBB357_4301
.LBB357_4228:
	s_or_b32 exec_lo, exec_lo, s4
	s_and_saveexec_b32 s4, vcc_lo
	s_cbranch_execnz .LBB357_4302
.LBB357_4229:
	s_or_b32 exec_lo, exec_lo, s4
	s_and_saveexec_b32 s4, vcc_lo
	s_cbranch_execnz .LBB357_4303
.LBB357_4230:
	s_or_b32 exec_lo, exec_lo, s4
	s_and_saveexec_b32 s4, vcc_lo
	s_cbranch_execnz .LBB357_4304
.LBB357_4231:
	s_or_b32 exec_lo, exec_lo, s4
	s_and_saveexec_b32 s4, vcc_lo
	s_cbranch_execz .LBB357_4233
.LBB357_4232:
	ds_read_b32 v34, v0 offset:992
	s_waitcnt lgkmcnt(0)
	v_add_f32_e32 v4, v34, v4
.LBB357_4233:
	s_or_b32 exec_lo, exec_lo, s4
.LBB357_4234:
	s_or_b32 exec_lo, exec_lo, s5
	buffer_load_dword v34, off, s[0:3], s32 offset:1260 ; 4-byte Folded Reload
	s_mov_b32 s5, exec_lo
	s_waitcnt vmcnt(0)
	s_barrier
	buffer_gl0_inv
	v_and_b32_e32 v34, 0x3e3, v34
	v_cmpx_eq_u32_e32 32, v34
	s_cbranch_execz .LBB357_4236
; %bb.4235:
	ds_write2_b32 v1, v33, v31 offset1:8
	ds_write2_b32 v1, v32, v30 offset0:16 offset1:24
	ds_write2_b32 v1, v29, v27 offset0:32 offset1:40
	;; [unrolled: 1-line block ×15, first 2 shown]
.LBB357_4236:
	s_or_b32 exec_lo, exec_lo, s5
	buffer_load_dword v1, off, s[0:3], s32 offset:1260 ; 4-byte Folded Reload
	s_mov_b32 s5, exec_lo
	s_waitcnt vmcnt(0) lgkmcnt(0)
	s_barrier
	buffer_gl0_inv
	v_cmpx_gt_u32_e32 32, v1
	s_cbranch_execz .LBB357_4271
; %bb.4237:
	s_and_saveexec_b32 s4, vcc_lo
	s_cbranch_execnz .LBB357_4305
; %bb.4238:
	s_or_b32 exec_lo, exec_lo, s4
	s_and_saveexec_b32 s4, vcc_lo
	s_cbranch_execnz .LBB357_4306
.LBB357_4239:
	s_or_b32 exec_lo, exec_lo, s4
	s_and_saveexec_b32 s4, vcc_lo
	s_cbranch_execnz .LBB357_4307
.LBB357_4240:
	s_or_b32 exec_lo, exec_lo, s4
	s_and_saveexec_b32 s4, vcc_lo
	s_cbranch_execnz .LBB357_4308
.LBB357_4241:
	s_or_b32 exec_lo, exec_lo, s4
	s_and_saveexec_b32 s4, vcc_lo
	s_cbranch_execnz .LBB357_4309
.LBB357_4242:
	s_or_b32 exec_lo, exec_lo, s4
	s_and_saveexec_b32 s4, vcc_lo
	s_cbranch_execnz .LBB357_4310
.LBB357_4243:
	s_or_b32 exec_lo, exec_lo, s4
	s_and_saveexec_b32 s4, vcc_lo
	s_cbranch_execnz .LBB357_4311
.LBB357_4244:
	s_or_b32 exec_lo, exec_lo, s4
	s_and_saveexec_b32 s4, vcc_lo
	s_cbranch_execnz .LBB357_4312
.LBB357_4245:
	s_or_b32 exec_lo, exec_lo, s4
	s_and_saveexec_b32 s4, vcc_lo
	s_cbranch_execnz .LBB357_4313
.LBB357_4246:
	s_or_b32 exec_lo, exec_lo, s4
	s_and_saveexec_b32 s4, vcc_lo
	s_cbranch_execnz .LBB357_4314
.LBB357_4247:
	s_or_b32 exec_lo, exec_lo, s4
	s_and_saveexec_b32 s4, vcc_lo
	s_cbranch_execnz .LBB357_4315
.LBB357_4248:
	s_or_b32 exec_lo, exec_lo, s4
	s_and_saveexec_b32 s4, vcc_lo
	s_cbranch_execnz .LBB357_4316
.LBB357_4249:
	s_or_b32 exec_lo, exec_lo, s4
	s_and_saveexec_b32 s4, vcc_lo
	s_cbranch_execnz .LBB357_4317
.LBB357_4250:
	s_or_b32 exec_lo, exec_lo, s4
	s_and_saveexec_b32 s4, vcc_lo
	s_cbranch_execnz .LBB357_4318
.LBB357_4251:
	s_or_b32 exec_lo, exec_lo, s4
	s_and_saveexec_b32 s4, vcc_lo
	s_cbranch_execnz .LBB357_4319
.LBB357_4252:
	s_or_b32 exec_lo, exec_lo, s4
	s_and_saveexec_b32 s4, vcc_lo
	s_cbranch_execnz .LBB357_4320
.LBB357_4253:
	s_or_b32 exec_lo, exec_lo, s4
	s_and_saveexec_b32 s4, vcc_lo
	s_cbranch_execnz .LBB357_4321
.LBB357_4254:
	s_or_b32 exec_lo, exec_lo, s4
	s_and_saveexec_b32 s4, vcc_lo
	s_cbranch_execnz .LBB357_4322
.LBB357_4255:
	s_or_b32 exec_lo, exec_lo, s4
	s_and_saveexec_b32 s4, vcc_lo
	s_cbranch_execnz .LBB357_4323
.LBB357_4256:
	s_or_b32 exec_lo, exec_lo, s4
	s_and_saveexec_b32 s4, vcc_lo
	s_cbranch_execnz .LBB357_4324
.LBB357_4257:
	s_or_b32 exec_lo, exec_lo, s4
	s_and_saveexec_b32 s4, vcc_lo
	s_cbranch_execnz .LBB357_4325
.LBB357_4258:
	s_or_b32 exec_lo, exec_lo, s4
	s_and_saveexec_b32 s4, vcc_lo
	s_cbranch_execnz .LBB357_4326
.LBB357_4259:
	s_or_b32 exec_lo, exec_lo, s4
	s_and_saveexec_b32 s4, vcc_lo
	s_cbranch_execnz .LBB357_4327
.LBB357_4260:
	s_or_b32 exec_lo, exec_lo, s4
	s_and_saveexec_b32 s4, vcc_lo
	s_cbranch_execnz .LBB357_4328
.LBB357_4261:
	s_or_b32 exec_lo, exec_lo, s4
	s_and_saveexec_b32 s4, vcc_lo
	s_cbranch_execnz .LBB357_4329
.LBB357_4262:
	s_or_b32 exec_lo, exec_lo, s4
	s_and_saveexec_b32 s4, vcc_lo
	s_cbranch_execnz .LBB357_4330
.LBB357_4263:
	s_or_b32 exec_lo, exec_lo, s4
	s_and_saveexec_b32 s4, vcc_lo
	s_cbranch_execnz .LBB357_4331
.LBB357_4264:
	s_or_b32 exec_lo, exec_lo, s4
	s_and_saveexec_b32 s4, vcc_lo
	s_cbranch_execnz .LBB357_4332
.LBB357_4265:
	s_or_b32 exec_lo, exec_lo, s4
	s_and_saveexec_b32 s4, vcc_lo
	s_cbranch_execnz .LBB357_4333
.LBB357_4266:
	s_or_b32 exec_lo, exec_lo, s4
	s_and_saveexec_b32 s4, vcc_lo
	s_cbranch_execnz .LBB357_4334
.LBB357_4267:
	s_or_b32 exec_lo, exec_lo, s4
	s_and_saveexec_b32 s4, vcc_lo
	s_cbranch_execnz .LBB357_4335
.LBB357_4268:
	s_or_b32 exec_lo, exec_lo, s4
	s_and_saveexec_b32 s4, vcc_lo
	s_cbranch_execz .LBB357_4270
.LBB357_4269:
	ds_read_b32 v0, v0 offset:992
	s_waitcnt lgkmcnt(0)
	v_add_f32_e32 v4, v0, v4
.LBB357_4270:
	s_or_b32 exec_lo, exec_lo, s4
.LBB357_4271:
	s_or_b32 exec_lo, exec_lo, s5
	s_mov_b32 s4, exec_lo
	s_barrier
	buffer_gl0_inv
	v_cmpx_eq_u32_e32 0, v34
	s_cbranch_execz .LBB357_4273
; %bb.4272:
	s_clause 0x2
	buffer_load_dword v35, off, s[0:3], s32 offset:2332
	buffer_load_dword v0, off, s[0:3], s32 offset:1260
	;; [unrolled: 1-line block ×3, first 2 shown]
	s_and_b32 s5, 0xffff, s12
	v_bfe_u32 v1, v33, 16, 1
	s_cmp_lg_u32 s5, 0
	v_or_b32_e32 v34, 0x400000, v33
	s_cselect_b32 s5, -1, 0
	s_cmp_lg_u32 s5, 0
	v_add3_u32 v37, v1, v33, 0x7fff
	s_addc_u32 s5, s15, 0
	s_lshl_b32 s6, s14, 8
	s_mul_i32 s7, s10, s5
	s_mul_i32 s8, s16, s5
	;; [unrolled: 1-line block ×3, first 2 shown]
	s_ashr_i32 s9, s8, 31
	s_lshl_b32 s10, s7, 8
	s_lshl_b64 s[8:9], s[8:9], 1
	s_ashr_i32 s11, s10, 31
	s_ashr_i32 s7, s6, 31
	s_lshl_b64 s[10:11], s[10:11], 1
	s_lshl_b64 s[6:7], s[6:7], 1
	s_waitcnt vmcnt(2)
	v_add_co_u32 v35, vcc_lo, v35, s10
	s_waitcnt vmcnt(0)
	v_add_co_ci_u32_e64 v36, null, s11, v36, vcc_lo
	v_lshrrev_b32_e32 v0, 1, v0
	v_add_co_u32 v35, vcc_lo, v35, s8
	v_add_co_ci_u32_e64 v36, null, s9, v36, vcc_lo
	v_add_co_u32 v35, vcc_lo, v35, s6
	v_add_co_ci_u32_e64 v36, null, s7, v36, vcc_lo
	;; [unrolled: 2-line block ×3, first 2 shown]
	v_bfe_u32 v35, v31, 16, 1
	v_cmp_u_f32_e32 vcc_lo, v33, v33
	v_or_b32_e32 v36, 0x400000, v31
	v_add3_u32 v35, v35, v31, 0x7fff
	v_cndmask_b32_e32 v33, v37, v34, vcc_lo
	v_bfe_u32 v34, v32, 16, 1
	v_cmp_u_f32_e32 vcc_lo, v31, v31
	flat_store_short_d16_hi v[0:1], v33
	v_add3_u32 v33, v34, v32, 0x7fff
	v_or_b32_e32 v34, 0x400000, v32
	v_cndmask_b32_e32 v31, v35, v36, vcc_lo
	v_bfe_u32 v35, v30, 16, 1
	v_cmp_u_f32_e32 vcc_lo, v32, v32
	flat_store_short_d16_hi v[0:1], v31 offset:16
	v_add3_u32 v31, v35, v30, 0x7fff
	v_cndmask_b32_e32 v32, v33, v34, vcc_lo
	v_bfe_u32 v33, v29, 16, 1
	v_or_b32_e32 v34, 0x400000, v30
	v_cmp_u_f32_e32 vcc_lo, v30, v30
	flat_store_short_d16_hi v[0:1], v32 offset:32
	v_add3_u32 v32, v33, v29, 0x7fff
	v_or_b32_e32 v33, 0x400000, v29
	v_cndmask_b32_e32 v30, v31, v34, vcc_lo
	v_bfe_u32 v31, v27, 16, 1
	v_cmp_u_f32_e32 vcc_lo, v29, v29
	flat_store_short_d16_hi v[0:1], v30 offset:48
	v_add3_u32 v30, v31, v27, 0x7fff
	v_cndmask_b32_e32 v29, v32, v33, vcc_lo
	v_bfe_u32 v32, v25, 16, 1
	v_or_b32_e32 v31, 0x400000, v27
	v_cmp_u_f32_e32 vcc_lo, v27, v27
	flat_store_short_d16_hi v[0:1], v29 offset:64
	;; [unrolled: 12-line block ×3, first 2 shown]
	v_add3_u32 v25, v29, v26, 0x7fff
	v_or_b32_e32 v29, 0x400000, v26
	v_cndmask_b32_e32 v21, v27, v30, vcc_lo
	v_bfe_u32 v27, v22, 16, 1
	v_cmp_u_f32_e32 vcc_lo, v26, v26
	v_bfe_u32 v26, v20, 16, 1
	flat_store_short_d16_hi v[0:1], v21 offset:112
	v_add3_u32 v21, v27, v22, 0x7fff
	v_cndmask_b32_e32 v25, v25, v29, vcc_lo
	v_or_b32_e32 v27, 0x400000, v22
	v_cmp_u_f32_e32 vcc_lo, v22, v22
	v_bfe_u32 v22, v17, 16, 1
	flat_store_short_d16_hi v[0:1], v25 offset:128
	v_add3_u32 v25, v26, v20, 0x7fff
	v_or_b32_e32 v26, 0x400000, v20
	v_cndmask_b32_e32 v21, v21, v27, vcc_lo
	v_cmp_u_f32_e32 vcc_lo, v20, v20
	flat_store_short_d16_hi v[0:1], v21 offset:144
	v_cndmask_b32_e32 v20, v25, v26, vcc_lo
	v_bfe_u32 v25, v16, 16, 1
	v_add3_u32 v21, v22, v17, 0x7fff
	v_or_b32_e32 v22, 0x400000, v17
	v_cmp_u_f32_e32 vcc_lo, v17, v17
	flat_store_short_d16_hi v[0:1], v20 offset:160
	v_add3_u32 v20, v25, v16, 0x7fff
	v_or_b32_e32 v25, 0x400000, v16
	v_cndmask_b32_e32 v17, v21, v22, vcc_lo
	v_bfe_u32 v21, v13, 16, 1
	v_cmp_u_f32_e32 vcc_lo, v16, v16
	flat_store_short_d16_hi v[0:1], v17 offset:176
	v_add3_u32 v17, v21, v13, 0x7fff
	v_cndmask_b32_e32 v16, v20, v25, vcc_lo
	v_bfe_u32 v20, v12, 16, 1
	v_or_b32_e32 v21, 0x400000, v13
	v_cmp_u_f32_e32 vcc_lo, v13, v13
	flat_store_short_d16_hi v[0:1], v16 offset:192
	v_add3_u32 v16, v20, v12, 0x7fff
	v_or_b32_e32 v20, 0x400000, v12
	v_cndmask_b32_e32 v13, v17, v21, vcc_lo
	v_bfe_u32 v17, v9, 16, 1
	v_cmp_u_f32_e32 vcc_lo, v12, v12
	flat_store_short_d16_hi v[0:1], v13 offset:208
	v_add3_u32 v13, v17, v9, 0x7fff
	v_cndmask_b32_e32 v12, v16, v20, vcc_lo
	v_bfe_u32 v16, v28, 16, 1
	;; [unrolled: 12-line block ×5, first 2 shown]
	v_or_b32_e32 v13, 0x400000, v15
	v_cmp_u_f32_e32 vcc_lo, v15, v15
	flat_store_short_d16_hi v[0:1], v12 offset:320
	v_add3_u32 v12, v16, v14, 0x7fff
	v_or_b32_e32 v16, 0x400000, v14
	v_cndmask_b32_e32 v9, v9, v13, vcc_lo
	v_bfe_u32 v13, v11, 16, 1
	v_cmp_u_f32_e32 vcc_lo, v14, v14
	v_bfe_u32 v14, v10, 16, 1
	flat_store_short_d16_hi v[0:1], v9 offset:336
	v_add3_u32 v9, v13, v11, 0x7fff
	v_cndmask_b32_e32 v12, v12, v16, vcc_lo
	v_or_b32_e32 v13, 0x400000, v11
	v_cmp_u_f32_e32 vcc_lo, v11, v11
	v_bfe_u32 v11, v8, 16, 1
	flat_store_short_d16_hi v[0:1], v12 offset:352
	v_add3_u32 v12, v14, v10, 0x7fff
	v_or_b32_e32 v14, 0x400000, v10
	v_cndmask_b32_e32 v9, v9, v13, vcc_lo
	v_cmp_u_f32_e32 vcc_lo, v10, v10
	flat_store_short_d16_hi v[0:1], v9 offset:368
	v_cndmask_b32_e32 v10, v12, v14, vcc_lo
	v_bfe_u32 v12, v7, 16, 1
	v_add3_u32 v9, v11, v8, 0x7fff
	v_or_b32_e32 v11, 0x400000, v8
	v_cmp_u_f32_e32 vcc_lo, v8, v8
	flat_store_short_d16_hi v[0:1], v10 offset:384
	v_add3_u32 v10, v12, v7, 0x7fff
	v_or_b32_e32 v12, 0x400000, v7
	v_cndmask_b32_e32 v8, v9, v11, vcc_lo
	v_bfe_u32 v9, v6, 16, 1
	v_cmp_u_f32_e32 vcc_lo, v7, v7
	v_or_b32_e32 v11, 0x400000, v3
	flat_store_short_d16_hi v[0:1], v8 offset:400
	v_add3_u32 v8, v9, v6, 0x7fff
	v_cndmask_b32_e32 v7, v10, v12, vcc_lo
	v_bfe_u32 v10, v5, 16, 1
	v_or_b32_e32 v9, 0x400000, v6
	v_cmp_u_f32_e32 vcc_lo, v6, v6
	v_or_b32_e32 v12, 0x400000, v4
	flat_store_short_d16_hi v[0:1], v7 offset:416
	v_add3_u32 v7, v10, v5, 0x7fff
	v_or_b32_e32 v10, 0x400000, v5
	v_cndmask_b32_e32 v6, v8, v9, vcc_lo
	v_bfe_u32 v8, v2, 16, 1
	v_cmp_u_f32_e32 vcc_lo, v5, v5
	v_bfe_u32 v9, v3, 16, 1
	v_add3_u32 v8, v8, v2, 0x7fff
	v_cndmask_b32_e32 v5, v7, v10, vcc_lo
	v_or_b32_e32 v10, 0x400000, v2
	v_cmp_u_f32_e32 vcc_lo, v2, v2
	v_bfe_u32 v7, v4, 16, 1
	v_add3_u32 v9, v9, v3, 0x7fff
	v_cndmask_b32_e32 v2, v8, v10, vcc_lo
	v_cmp_u_f32_e32 vcc_lo, v3, v3
	v_add3_u32 v7, v7, v4, 0x7fff
	v_cndmask_b32_e32 v3, v9, v11, vcc_lo
	v_cmp_u_f32_e32 vcc_lo, v4, v4
	v_cndmask_b32_e32 v4, v7, v12, vcc_lo
	flat_store_short_d16_hi v[0:1], v6 offset:432
	flat_store_short_d16_hi v[0:1], v5 offset:448
	;; [unrolled: 1-line block ×5, first 2 shown]
.LBB357_4273:
	s_or_b32 exec_lo, exec_lo, s4
	s_clause 0x2f
	buffer_load_dword v127, off, s[0:3], s32
	buffer_load_dword v126, off, s[0:3], s32 offset:4
	buffer_load_dword v125, off, s[0:3], s32 offset:8
	;; [unrolled: 1-line block ×47, first 2 shown]
	s_waitcnt vmcnt(0) lgkmcnt(0)
	s_setpc_b64 s[30:31]
.LBB357_4274:
	ds_read_b32 v34, v0
	s_waitcnt lgkmcnt(0)
	v_add_f32_e32 v33, v34, v33
	s_or_b32 exec_lo, exec_lo, s4
	s_and_saveexec_b32 s4, vcc_lo
	s_cbranch_execz .LBB357_4202
.LBB357_4275:
	ds_read_b32 v34, v0 offset:32
	s_waitcnt lgkmcnt(0)
	v_add_f32_e32 v31, v34, v31
	s_or_b32 exec_lo, exec_lo, s4
	s_and_saveexec_b32 s4, vcc_lo
	s_cbranch_execz .LBB357_4203
.LBB357_4276:
	ds_read_b32 v34, v0 offset:64
	s_waitcnt lgkmcnt(0)
	v_add_f32_e32 v32, v34, v32
	s_or_b32 exec_lo, exec_lo, s4
	s_and_saveexec_b32 s4, vcc_lo
	s_cbranch_execz .LBB357_4204
.LBB357_4277:
	ds_read_b32 v34, v0 offset:96
	s_waitcnt lgkmcnt(0)
	v_add_f32_e32 v30, v34, v30
	s_or_b32 exec_lo, exec_lo, s4
	s_and_saveexec_b32 s4, vcc_lo
	s_cbranch_execz .LBB357_4205
.LBB357_4278:
	ds_read_b32 v34, v0 offset:128
	s_waitcnt lgkmcnt(0)
	v_add_f32_e32 v29, v34, v29
	s_or_b32 exec_lo, exec_lo, s4
	s_and_saveexec_b32 s4, vcc_lo
	s_cbranch_execz .LBB357_4206
.LBB357_4279:
	ds_read_b32 v34, v0 offset:160
	s_waitcnt lgkmcnt(0)
	v_add_f32_e32 v27, v34, v27
	s_or_b32 exec_lo, exec_lo, s4
	s_and_saveexec_b32 s4, vcc_lo
	s_cbranch_execz .LBB357_4207
.LBB357_4280:
	ds_read_b32 v34, v0 offset:192
	s_waitcnt lgkmcnt(0)
	v_add_f32_e32 v25, v34, v25
	s_or_b32 exec_lo, exec_lo, s4
	s_and_saveexec_b32 s4, vcc_lo
	s_cbranch_execz .LBB357_4208
.LBB357_4281:
	ds_read_b32 v34, v0 offset:224
	s_waitcnt lgkmcnt(0)
	v_add_f32_e32 v21, v34, v21
	s_or_b32 exec_lo, exec_lo, s4
	s_and_saveexec_b32 s4, vcc_lo
	s_cbranch_execz .LBB357_4209
.LBB357_4282:
	ds_read_b32 v34, v0 offset:256
	s_waitcnt lgkmcnt(0)
	v_add_f32_e32 v26, v34, v26
	s_or_b32 exec_lo, exec_lo, s4
	s_and_saveexec_b32 s4, vcc_lo
	s_cbranch_execz .LBB357_4210
.LBB357_4283:
	ds_read_b32 v34, v0 offset:288
	s_waitcnt lgkmcnt(0)
	v_add_f32_e32 v22, v34, v22
	s_or_b32 exec_lo, exec_lo, s4
	s_and_saveexec_b32 s4, vcc_lo
	s_cbranch_execz .LBB357_4211
.LBB357_4284:
	ds_read_b32 v34, v0 offset:320
	s_waitcnt lgkmcnt(0)
	v_add_f32_e32 v20, v34, v20
	s_or_b32 exec_lo, exec_lo, s4
	s_and_saveexec_b32 s4, vcc_lo
	s_cbranch_execz .LBB357_4212
.LBB357_4285:
	ds_read_b32 v34, v0 offset:352
	s_waitcnt lgkmcnt(0)
	v_add_f32_e32 v17, v34, v17
	s_or_b32 exec_lo, exec_lo, s4
	s_and_saveexec_b32 s4, vcc_lo
	s_cbranch_execz .LBB357_4213
.LBB357_4286:
	ds_read_b32 v34, v0 offset:384
	s_waitcnt lgkmcnt(0)
	v_add_f32_e32 v16, v34, v16
	s_or_b32 exec_lo, exec_lo, s4
	s_and_saveexec_b32 s4, vcc_lo
	s_cbranch_execz .LBB357_4214
.LBB357_4287:
	ds_read_b32 v34, v0 offset:416
	s_waitcnt lgkmcnt(0)
	v_add_f32_e32 v13, v34, v13
	s_or_b32 exec_lo, exec_lo, s4
	s_and_saveexec_b32 s4, vcc_lo
	s_cbranch_execz .LBB357_4215
.LBB357_4288:
	ds_read_b32 v34, v0 offset:448
	s_waitcnt lgkmcnt(0)
	v_add_f32_e32 v12, v34, v12
	s_or_b32 exec_lo, exec_lo, s4
	s_and_saveexec_b32 s4, vcc_lo
	s_cbranch_execz .LBB357_4216
.LBB357_4289:
	ds_read_b32 v34, v0 offset:480
	s_waitcnt lgkmcnt(0)
	v_add_f32_e32 v9, v34, v9
	s_or_b32 exec_lo, exec_lo, s4
	s_and_saveexec_b32 s4, vcc_lo
	s_cbranch_execz .LBB357_4217
.LBB357_4290:
	ds_read_b32 v34, v0 offset:512
	s_waitcnt lgkmcnt(0)
	v_add_f32_e32 v28, v34, v28
	s_or_b32 exec_lo, exec_lo, s4
	s_and_saveexec_b32 s4, vcc_lo
	s_cbranch_execz .LBB357_4218
.LBB357_4291:
	ds_read_b32 v34, v0 offset:544
	s_waitcnt lgkmcnt(0)
	v_add_f32_e32 v24, v34, v24
	s_or_b32 exec_lo, exec_lo, s4
	s_and_saveexec_b32 s4, vcc_lo
	s_cbranch_execz .LBB357_4219
.LBB357_4292:
	ds_read_b32 v34, v0 offset:576
	s_waitcnt lgkmcnt(0)
	v_add_f32_e32 v23, v34, v23
	s_or_b32 exec_lo, exec_lo, s4
	s_and_saveexec_b32 s4, vcc_lo
	s_cbranch_execz .LBB357_4220
.LBB357_4293:
	ds_read_b32 v34, v0 offset:608
	s_waitcnt lgkmcnt(0)
	v_add_f32_e32 v19, v34, v19
	s_or_b32 exec_lo, exec_lo, s4
	s_and_saveexec_b32 s4, vcc_lo
	s_cbranch_execz .LBB357_4221
.LBB357_4294:
	ds_read_b32 v34, v0 offset:640
	s_waitcnt lgkmcnt(0)
	v_add_f32_e32 v18, v34, v18
	s_or_b32 exec_lo, exec_lo, s4
	s_and_saveexec_b32 s4, vcc_lo
	s_cbranch_execz .LBB357_4222
.LBB357_4295:
	ds_read_b32 v34, v0 offset:672
	s_waitcnt lgkmcnt(0)
	v_add_f32_e32 v15, v34, v15
	s_or_b32 exec_lo, exec_lo, s4
	s_and_saveexec_b32 s4, vcc_lo
	s_cbranch_execz .LBB357_4223
.LBB357_4296:
	ds_read_b32 v34, v0 offset:704
	s_waitcnt lgkmcnt(0)
	v_add_f32_e32 v14, v34, v14
	s_or_b32 exec_lo, exec_lo, s4
	s_and_saveexec_b32 s4, vcc_lo
	s_cbranch_execz .LBB357_4224
.LBB357_4297:
	ds_read_b32 v34, v0 offset:736
	s_waitcnt lgkmcnt(0)
	v_add_f32_e32 v11, v34, v11
	s_or_b32 exec_lo, exec_lo, s4
	s_and_saveexec_b32 s4, vcc_lo
	s_cbranch_execz .LBB357_4225
.LBB357_4298:
	ds_read_b32 v34, v0 offset:768
	s_waitcnt lgkmcnt(0)
	v_add_f32_e32 v10, v34, v10
	s_or_b32 exec_lo, exec_lo, s4
	s_and_saveexec_b32 s4, vcc_lo
	s_cbranch_execz .LBB357_4226
.LBB357_4299:
	ds_read_b32 v34, v0 offset:800
	s_waitcnt lgkmcnt(0)
	v_add_f32_e32 v8, v34, v8
	s_or_b32 exec_lo, exec_lo, s4
	s_and_saveexec_b32 s4, vcc_lo
	s_cbranch_execz .LBB357_4227
.LBB357_4300:
	ds_read_b32 v34, v0 offset:832
	s_waitcnt lgkmcnt(0)
	v_add_f32_e32 v7, v34, v7
	s_or_b32 exec_lo, exec_lo, s4
	s_and_saveexec_b32 s4, vcc_lo
	s_cbranch_execz .LBB357_4228
.LBB357_4301:
	ds_read_b32 v34, v0 offset:864
	s_waitcnt lgkmcnt(0)
	v_add_f32_e32 v6, v34, v6
	s_or_b32 exec_lo, exec_lo, s4
	s_and_saveexec_b32 s4, vcc_lo
	s_cbranch_execz .LBB357_4229
.LBB357_4302:
	ds_read_b32 v34, v0 offset:896
	s_waitcnt lgkmcnt(0)
	v_add_f32_e32 v5, v34, v5
	s_or_b32 exec_lo, exec_lo, s4
	s_and_saveexec_b32 s4, vcc_lo
	s_cbranch_execz .LBB357_4230
.LBB357_4303:
	ds_read_b32 v34, v0 offset:928
	s_waitcnt lgkmcnt(0)
	v_add_f32_e32 v2, v34, v2
	s_or_b32 exec_lo, exec_lo, s4
	s_and_saveexec_b32 s4, vcc_lo
	s_cbranch_execz .LBB357_4231
.LBB357_4304:
	ds_read_b32 v34, v0 offset:960
	s_waitcnt lgkmcnt(0)
	v_add_f32_e32 v3, v34, v3
	s_or_b32 exec_lo, exec_lo, s4
	s_and_saveexec_b32 s4, vcc_lo
	s_cbranch_execnz .LBB357_4232
	s_branch .LBB357_4233
.LBB357_4305:
	ds_read_b32 v1, v0
	s_waitcnt lgkmcnt(0)
	v_add_f32_e32 v33, v1, v33
	s_or_b32 exec_lo, exec_lo, s4
	s_and_saveexec_b32 s4, vcc_lo
	s_cbranch_execz .LBB357_4239
.LBB357_4306:
	ds_read_b32 v1, v0 offset:32
	s_waitcnt lgkmcnt(0)
	v_add_f32_e32 v31, v1, v31
	s_or_b32 exec_lo, exec_lo, s4
	s_and_saveexec_b32 s4, vcc_lo
	s_cbranch_execz .LBB357_4240
.LBB357_4307:
	ds_read_b32 v1, v0 offset:64
	s_waitcnt lgkmcnt(0)
	v_add_f32_e32 v32, v1, v32
	s_or_b32 exec_lo, exec_lo, s4
	s_and_saveexec_b32 s4, vcc_lo
	s_cbranch_execz .LBB357_4241
.LBB357_4308:
	ds_read_b32 v1, v0 offset:96
	s_waitcnt lgkmcnt(0)
	v_add_f32_e32 v30, v1, v30
	s_or_b32 exec_lo, exec_lo, s4
	s_and_saveexec_b32 s4, vcc_lo
	s_cbranch_execz .LBB357_4242
.LBB357_4309:
	ds_read_b32 v1, v0 offset:128
	s_waitcnt lgkmcnt(0)
	v_add_f32_e32 v29, v1, v29
	s_or_b32 exec_lo, exec_lo, s4
	s_and_saveexec_b32 s4, vcc_lo
	s_cbranch_execz .LBB357_4243
.LBB357_4310:
	ds_read_b32 v1, v0 offset:160
	s_waitcnt lgkmcnt(0)
	v_add_f32_e32 v27, v1, v27
	s_or_b32 exec_lo, exec_lo, s4
	s_and_saveexec_b32 s4, vcc_lo
	s_cbranch_execz .LBB357_4244
.LBB357_4311:
	ds_read_b32 v1, v0 offset:192
	s_waitcnt lgkmcnt(0)
	v_add_f32_e32 v25, v1, v25
	s_or_b32 exec_lo, exec_lo, s4
	s_and_saveexec_b32 s4, vcc_lo
	s_cbranch_execz .LBB357_4245
.LBB357_4312:
	ds_read_b32 v1, v0 offset:224
	s_waitcnt lgkmcnt(0)
	v_add_f32_e32 v21, v1, v21
	s_or_b32 exec_lo, exec_lo, s4
	s_and_saveexec_b32 s4, vcc_lo
	s_cbranch_execz .LBB357_4246
.LBB357_4313:
	ds_read_b32 v1, v0 offset:256
	s_waitcnt lgkmcnt(0)
	v_add_f32_e32 v26, v1, v26
	s_or_b32 exec_lo, exec_lo, s4
	s_and_saveexec_b32 s4, vcc_lo
	s_cbranch_execz .LBB357_4247
.LBB357_4314:
	ds_read_b32 v1, v0 offset:288
	s_waitcnt lgkmcnt(0)
	v_add_f32_e32 v22, v1, v22
	s_or_b32 exec_lo, exec_lo, s4
	s_and_saveexec_b32 s4, vcc_lo
	s_cbranch_execz .LBB357_4248
.LBB357_4315:
	ds_read_b32 v1, v0 offset:320
	s_waitcnt lgkmcnt(0)
	v_add_f32_e32 v20, v1, v20
	s_or_b32 exec_lo, exec_lo, s4
	s_and_saveexec_b32 s4, vcc_lo
	s_cbranch_execz .LBB357_4249
.LBB357_4316:
	ds_read_b32 v1, v0 offset:352
	s_waitcnt lgkmcnt(0)
	v_add_f32_e32 v17, v1, v17
	s_or_b32 exec_lo, exec_lo, s4
	s_and_saveexec_b32 s4, vcc_lo
	s_cbranch_execz .LBB357_4250
.LBB357_4317:
	ds_read_b32 v1, v0 offset:384
	s_waitcnt lgkmcnt(0)
	v_add_f32_e32 v16, v1, v16
	s_or_b32 exec_lo, exec_lo, s4
	s_and_saveexec_b32 s4, vcc_lo
	s_cbranch_execz .LBB357_4251
.LBB357_4318:
	ds_read_b32 v1, v0 offset:416
	s_waitcnt lgkmcnt(0)
	v_add_f32_e32 v13, v1, v13
	s_or_b32 exec_lo, exec_lo, s4
	s_and_saveexec_b32 s4, vcc_lo
	s_cbranch_execz .LBB357_4252
.LBB357_4319:
	ds_read_b32 v1, v0 offset:448
	s_waitcnt lgkmcnt(0)
	v_add_f32_e32 v12, v1, v12
	s_or_b32 exec_lo, exec_lo, s4
	s_and_saveexec_b32 s4, vcc_lo
	s_cbranch_execz .LBB357_4253
.LBB357_4320:
	ds_read_b32 v1, v0 offset:480
	s_waitcnt lgkmcnt(0)
	v_add_f32_e32 v9, v1, v9
	s_or_b32 exec_lo, exec_lo, s4
	s_and_saveexec_b32 s4, vcc_lo
	s_cbranch_execz .LBB357_4254
.LBB357_4321:
	ds_read_b32 v1, v0 offset:512
	s_waitcnt lgkmcnt(0)
	v_add_f32_e32 v28, v1, v28
	s_or_b32 exec_lo, exec_lo, s4
	s_and_saveexec_b32 s4, vcc_lo
	s_cbranch_execz .LBB357_4255
.LBB357_4322:
	ds_read_b32 v1, v0 offset:544
	s_waitcnt lgkmcnt(0)
	v_add_f32_e32 v24, v1, v24
	s_or_b32 exec_lo, exec_lo, s4
	s_and_saveexec_b32 s4, vcc_lo
	s_cbranch_execz .LBB357_4256
.LBB357_4323:
	ds_read_b32 v1, v0 offset:576
	s_waitcnt lgkmcnt(0)
	v_add_f32_e32 v23, v1, v23
	s_or_b32 exec_lo, exec_lo, s4
	s_and_saveexec_b32 s4, vcc_lo
	s_cbranch_execz .LBB357_4257
.LBB357_4324:
	ds_read_b32 v1, v0 offset:608
	s_waitcnt lgkmcnt(0)
	v_add_f32_e32 v19, v1, v19
	s_or_b32 exec_lo, exec_lo, s4
	s_and_saveexec_b32 s4, vcc_lo
	s_cbranch_execz .LBB357_4258
.LBB357_4325:
	ds_read_b32 v1, v0 offset:640
	s_waitcnt lgkmcnt(0)
	v_add_f32_e32 v18, v1, v18
	s_or_b32 exec_lo, exec_lo, s4
	s_and_saveexec_b32 s4, vcc_lo
	s_cbranch_execz .LBB357_4259
.LBB357_4326:
	ds_read_b32 v1, v0 offset:672
	s_waitcnt lgkmcnt(0)
	v_add_f32_e32 v15, v1, v15
	s_or_b32 exec_lo, exec_lo, s4
	s_and_saveexec_b32 s4, vcc_lo
	s_cbranch_execz .LBB357_4260
.LBB357_4327:
	ds_read_b32 v1, v0 offset:704
	s_waitcnt lgkmcnt(0)
	v_add_f32_e32 v14, v1, v14
	s_or_b32 exec_lo, exec_lo, s4
	s_and_saveexec_b32 s4, vcc_lo
	s_cbranch_execz .LBB357_4261
.LBB357_4328:
	ds_read_b32 v1, v0 offset:736
	s_waitcnt lgkmcnt(0)
	v_add_f32_e32 v11, v1, v11
	s_or_b32 exec_lo, exec_lo, s4
	s_and_saveexec_b32 s4, vcc_lo
	s_cbranch_execz .LBB357_4262
.LBB357_4329:
	ds_read_b32 v1, v0 offset:768
	s_waitcnt lgkmcnt(0)
	v_add_f32_e32 v10, v1, v10
	s_or_b32 exec_lo, exec_lo, s4
	s_and_saveexec_b32 s4, vcc_lo
	s_cbranch_execz .LBB357_4263
.LBB357_4330:
	ds_read_b32 v1, v0 offset:800
	s_waitcnt lgkmcnt(0)
	v_add_f32_e32 v8, v1, v8
	s_or_b32 exec_lo, exec_lo, s4
	s_and_saveexec_b32 s4, vcc_lo
	s_cbranch_execz .LBB357_4264
.LBB357_4331:
	ds_read_b32 v1, v0 offset:832
	s_waitcnt lgkmcnt(0)
	v_add_f32_e32 v7, v1, v7
	s_or_b32 exec_lo, exec_lo, s4
	s_and_saveexec_b32 s4, vcc_lo
	s_cbranch_execz .LBB357_4265
.LBB357_4332:
	ds_read_b32 v1, v0 offset:864
	s_waitcnt lgkmcnt(0)
	v_add_f32_e32 v6, v1, v6
	s_or_b32 exec_lo, exec_lo, s4
	s_and_saveexec_b32 s4, vcc_lo
	s_cbranch_execz .LBB357_4266
.LBB357_4333:
	ds_read_b32 v1, v0 offset:896
	s_waitcnt lgkmcnt(0)
	v_add_f32_e32 v5, v1, v5
	s_or_b32 exec_lo, exec_lo, s4
	s_and_saveexec_b32 s4, vcc_lo
	s_cbranch_execz .LBB357_4267
.LBB357_4334:
	ds_read_b32 v1, v0 offset:928
	s_waitcnt lgkmcnt(0)
	v_add_f32_e32 v2, v1, v2
	s_or_b32 exec_lo, exec_lo, s4
	s_and_saveexec_b32 s4, vcc_lo
	s_cbranch_execz .LBB357_4268
.LBB357_4335:
	ds_read_b32 v1, v0 offset:960
	s_waitcnt lgkmcnt(0)
	v_add_f32_e32 v3, v1, v3
	s_or_b32 exec_lo, exec_lo, s4
	s_and_saveexec_b32 s4, vcc_lo
	s_cbranch_execnz .LBB357_4269
	s_branch .LBB357_4270
.Lfunc_end357:
	.size	_ZN4vllm22paged_attention_kernelI14__hip_bfloat16hLi256ELi32ELi128ELNS_18Fp8KVCacheDataTypeE1ELb1ELi0EEEvPfS3_PT_PKS4_PKT0_SA_ifPKiSC_iPKfiiiSE_SE_iiiii, .Lfunc_end357-_ZN4vllm22paged_attention_kernelI14__hip_bfloat16hLi256ELi32ELi128ELNS_18Fp8KVCacheDataTypeE1ELb1ELi0EEEvPfS3_PT_PKS4_PKT0_SA_ifPKiSC_iPKfiiiSE_SE_iiiii
                                        ; -- End function
	.set .L_ZN4vllm22paged_attention_kernelI14__hip_bfloat16hLi256ELi32ELi128ELNS_18Fp8KVCacheDataTypeE1ELb1ELi0EEEvPfS3_PT_PKS4_PKT0_SA_ifPKiSC_iPKfiiiSE_SE_iiiii.num_vgpr, 128
	.set .L_ZN4vllm22paged_attention_kernelI14__hip_bfloat16hLi256ELi32ELi128ELNS_18Fp8KVCacheDataTypeE1ELb1ELi0EEEvPfS3_PT_PKS4_PKT0_SA_ifPKiSC_iPKfiiiSE_SE_iiiii.num_agpr, 0
	.set .L_ZN4vllm22paged_attention_kernelI14__hip_bfloat16hLi256ELi32ELi128ELNS_18Fp8KVCacheDataTypeE1ELb1ELi0EEEvPfS3_PT_PKS4_PKT0_SA_ifPKiSC_iPKfiiiSE_SE_iiiii.numbered_sgpr, 33
	.set .L_ZN4vllm22paged_attention_kernelI14__hip_bfloat16hLi256ELi32ELi128ELNS_18Fp8KVCacheDataTypeE1ELb1ELi0EEEvPfS3_PT_PKS4_PKT0_SA_ifPKiSC_iPKfiiiSE_SE_iiiii.num_named_barrier, 0
	.set .L_ZN4vllm22paged_attention_kernelI14__hip_bfloat16hLi256ELi32ELi128ELNS_18Fp8KVCacheDataTypeE1ELb1ELi0EEEvPfS3_PT_PKS4_PKT0_SA_ifPKiSC_iPKfiiiSE_SE_iiiii.private_seg_size, 2384
	.set .L_ZN4vllm22paged_attention_kernelI14__hip_bfloat16hLi256ELi32ELi128ELNS_18Fp8KVCacheDataTypeE1ELb1ELi0EEEvPfS3_PT_PKS4_PKT0_SA_ifPKiSC_iPKfiiiSE_SE_iiiii.uses_vcc, 1
	.set .L_ZN4vllm22paged_attention_kernelI14__hip_bfloat16hLi256ELi32ELi128ELNS_18Fp8KVCacheDataTypeE1ELb1ELi0EEEvPfS3_PT_PKS4_PKT0_SA_ifPKiSC_iPKfiiiSE_SE_iiiii.uses_flat_scratch, 0
	.set .L_ZN4vllm22paged_attention_kernelI14__hip_bfloat16hLi256ELi32ELi128ELNS_18Fp8KVCacheDataTypeE1ELb1ELi0EEEvPfS3_PT_PKS4_PKT0_SA_ifPKiSC_iPKfiiiSE_SE_iiiii.has_dyn_sized_stack, 0
	.set .L_ZN4vllm22paged_attention_kernelI14__hip_bfloat16hLi256ELi32ELi128ELNS_18Fp8KVCacheDataTypeE1ELb1ELi0EEEvPfS3_PT_PKS4_PKT0_SA_ifPKiSC_iPKfiiiSE_SE_iiiii.has_recursion, 0
	.set .L_ZN4vllm22paged_attention_kernelI14__hip_bfloat16hLi256ELi32ELi128ELNS_18Fp8KVCacheDataTypeE1ELb1ELi0EEEvPfS3_PT_PKS4_PKT0_SA_ifPKiSC_iPKfiiiSE_SE_iiiii.has_indirect_call, 0
	.section	.AMDGPU.csdata,"",@progbits
; Function info:
; codeLenInByte = 180728
; TotalNumSgprs: 35
; NumVgprs: 128
; ScratchSize: 2384
; MemoryBound: 0
	.section	.text._ZN4vllm25paged_attention_v1_kernelI14__hip_bfloat16hLi256ELi32ELi128ELNS_18Fp8KVCacheDataTypeE1ELb1EEEvPT_PKS3_PKT0_S9_ifPKiSB_iPKfiiiSD_SD_iiiii,"axG",@progbits,_ZN4vllm25paged_attention_v1_kernelI14__hip_bfloat16hLi256ELi32ELi128ELNS_18Fp8KVCacheDataTypeE1ELb1EEEvPT_PKS3_PKT0_S9_ifPKiSB_iPKfiiiSD_SD_iiiii,comdat
	.protected	_ZN4vllm25paged_attention_v1_kernelI14__hip_bfloat16hLi256ELi32ELi128ELNS_18Fp8KVCacheDataTypeE1ELb1EEEvPT_PKS3_PKT0_S9_ifPKiSB_iPKfiiiSD_SD_iiiii ; -- Begin function _ZN4vllm25paged_attention_v1_kernelI14__hip_bfloat16hLi256ELi32ELi128ELNS_18Fp8KVCacheDataTypeE1ELb1EEEvPT_PKS3_PKT0_S9_ifPKiSB_iPKfiiiSD_SD_iiiii
	.globl	_ZN4vllm25paged_attention_v1_kernelI14__hip_bfloat16hLi256ELi32ELi128ELNS_18Fp8KVCacheDataTypeE1ELb1EEEvPT_PKS3_PKT0_S9_ifPKiSB_iPKfiiiSD_SD_iiiii
	.p2align	8
	.type	_ZN4vllm25paged_attention_v1_kernelI14__hip_bfloat16hLi256ELi32ELi128ELNS_18Fp8KVCacheDataTypeE1ELb1EEEvPT_PKS3_PKT0_S9_ifPKiSB_iPKfiiiSD_SD_iiiii,@function
_ZN4vllm25paged_attention_v1_kernelI14__hip_bfloat16hLi256ELi32ELi128ELNS_18Fp8KVCacheDataTypeE1ELb1EEEvPT_PKS3_PKT0_S9_ifPKiSB_iPKfiiiSD_SD_iiiii: ; @_ZN4vllm25paged_attention_v1_kernelI14__hip_bfloat16hLi256ELi32ELi128ELNS_18Fp8KVCacheDataTypeE1ELb1EEEvPT_PKS3_PKT0_S9_ifPKiSB_iPKfiiiSD_SD_iiiii
; %bb.0:
	s_clause 0x7
	s_load_dwordx8 s[16:23], s[4:5], 0x0
	s_load_dwordx4 s[36:39], s[4:5], 0x20
	s_load_dwordx2 s[10:11], s[4:5], 0x30
	s_load_dword s13, s[4:5], 0x38
	s_load_dwordx2 s[34:35], s[4:5], 0x40
	s_load_dwordx8 s[24:31], s[4:5], 0x48
	s_load_dword s15, s[4:5], 0x78
	s_load_dwordx4 s[40:43], s[4:5], 0x68
	s_add_u32 s0, s0, s9
	s_addc_u32 s1, s1, 0
	v_mov_b32_e32 v31, v0
	s_mov_b32 s14, s8
	s_add_u32 s8, s4, 0x80
	s_addc_u32 s9, s5, 0
	s_getpc_b64 s[4:5]
	s_add_u32 s4, s4, _ZN4vllm22paged_attention_kernelI14__hip_bfloat16hLi256ELi32ELi128ELNS_18Fp8KVCacheDataTypeE1ELb1ELi0EEEvPfS3_PT_PKS4_PKT0_SA_ifPKiSC_iPKfiiiSE_SE_iiiii@rel32@lo+4
	s_addc_u32 s5, s5, _ZN4vllm22paged_attention_kernelI14__hip_bfloat16hLi256ELi32ELi128ELNS_18Fp8KVCacheDataTypeE1ELb1ELi0EEEvPfS3_PT_PKS4_PKT0_SA_ifPKiSC_iPKfiiiSE_SE_iiiii@rel32@hi+12
	s_mov_b32 s12, s6
	s_mov_b32 s32, 0
	s_waitcnt lgkmcnt(0)
	v_mov_b32_e32 v0, s16
	v_mov_b32_e32 v1, s17
	;; [unrolled: 1-line block ×29, first 2 shown]
	s_mov_b32 s13, s7
	s_mov_b32 s15, 13
	s_swappc_b64 s[30:31], s[4:5]
	s_endpgm
	.section	.rodata,"a",@progbits
	.p2align	6, 0x0
	.amdhsa_kernel _ZN4vllm25paged_attention_v1_kernelI14__hip_bfloat16hLi256ELi32ELi128ELNS_18Fp8KVCacheDataTypeE1ELb1EEEvPT_PKS3_PKT0_S9_ifPKiSB_iPKfiiiSD_SD_iiiii
		.amdhsa_group_segment_fixed_size 544
		.amdhsa_private_segment_fixed_size 2384
		.amdhsa_kernarg_size 384
		.amdhsa_user_sgpr_count 6
		.amdhsa_user_sgpr_private_segment_buffer 1
		.amdhsa_user_sgpr_dispatch_ptr 0
		.amdhsa_user_sgpr_queue_ptr 0
		.amdhsa_user_sgpr_kernarg_segment_ptr 1
		.amdhsa_user_sgpr_dispatch_id 0
		.amdhsa_user_sgpr_flat_scratch_init 0
		.amdhsa_user_sgpr_private_segment_size 0
		.amdhsa_wavefront_size32 1
		.amdhsa_uses_dynamic_stack 0
		.amdhsa_system_sgpr_private_segment_wavefront_offset 1
		.amdhsa_system_sgpr_workgroup_id_x 1
		.amdhsa_system_sgpr_workgroup_id_y 1
		.amdhsa_system_sgpr_workgroup_id_z 1
		.amdhsa_system_sgpr_workgroup_info 0
		.amdhsa_system_vgpr_workitem_id 0
		.amdhsa_next_free_vgpr 128
		.amdhsa_next_free_sgpr 44
		.amdhsa_reserve_vcc 1
		.amdhsa_reserve_flat_scratch 0
		.amdhsa_float_round_mode_32 0
		.amdhsa_float_round_mode_16_64 0
		.amdhsa_float_denorm_mode_32 3
		.amdhsa_float_denorm_mode_16_64 3
		.amdhsa_dx10_clamp 1
		.amdhsa_ieee_mode 1
		.amdhsa_fp16_overflow 0
		.amdhsa_workgroup_processor_mode 1
		.amdhsa_memory_ordered 1
		.amdhsa_forward_progress 1
		.amdhsa_shared_vgpr_count 0
		.amdhsa_exception_fp_ieee_invalid_op 0
		.amdhsa_exception_fp_denorm_src 0
		.amdhsa_exception_fp_ieee_div_zero 0
		.amdhsa_exception_fp_ieee_overflow 0
		.amdhsa_exception_fp_ieee_underflow 0
		.amdhsa_exception_fp_ieee_inexact 0
		.amdhsa_exception_int_div_zero 0
	.end_amdhsa_kernel
	.section	.text._ZN4vllm25paged_attention_v1_kernelI14__hip_bfloat16hLi256ELi32ELi128ELNS_18Fp8KVCacheDataTypeE1ELb1EEEvPT_PKS3_PKT0_S9_ifPKiSB_iPKfiiiSD_SD_iiiii,"axG",@progbits,_ZN4vllm25paged_attention_v1_kernelI14__hip_bfloat16hLi256ELi32ELi128ELNS_18Fp8KVCacheDataTypeE1ELb1EEEvPT_PKS3_PKT0_S9_ifPKiSB_iPKfiiiSD_SD_iiiii,comdat
.Lfunc_end358:
	.size	_ZN4vllm25paged_attention_v1_kernelI14__hip_bfloat16hLi256ELi32ELi128ELNS_18Fp8KVCacheDataTypeE1ELb1EEEvPT_PKS3_PKT0_S9_ifPKiSB_iPKfiiiSD_SD_iiiii, .Lfunc_end358-_ZN4vllm25paged_attention_v1_kernelI14__hip_bfloat16hLi256ELi32ELi128ELNS_18Fp8KVCacheDataTypeE1ELb1EEEvPT_PKS3_PKT0_S9_ifPKiSB_iPKfiiiSD_SD_iiiii
                                        ; -- End function
	.set _ZN4vllm25paged_attention_v1_kernelI14__hip_bfloat16hLi256ELi32ELi128ELNS_18Fp8KVCacheDataTypeE1ELb1EEEvPT_PKS3_PKT0_S9_ifPKiSB_iPKfiiiSD_SD_iiiii.num_vgpr, max(32, .L_ZN4vllm22paged_attention_kernelI14__hip_bfloat16hLi256ELi32ELi128ELNS_18Fp8KVCacheDataTypeE1ELb1ELi0EEEvPfS3_PT_PKS4_PKT0_SA_ifPKiSC_iPKfiiiSE_SE_iiiii.num_vgpr)
	.set _ZN4vllm25paged_attention_v1_kernelI14__hip_bfloat16hLi256ELi32ELi128ELNS_18Fp8KVCacheDataTypeE1ELb1EEEvPT_PKS3_PKT0_S9_ifPKiSB_iPKfiiiSD_SD_iiiii.num_agpr, max(0, .L_ZN4vllm22paged_attention_kernelI14__hip_bfloat16hLi256ELi32ELi128ELNS_18Fp8KVCacheDataTypeE1ELb1ELi0EEEvPfS3_PT_PKS4_PKT0_SA_ifPKiSC_iPKfiiiSE_SE_iiiii.num_agpr)
	.set _ZN4vllm25paged_attention_v1_kernelI14__hip_bfloat16hLi256ELi32ELi128ELNS_18Fp8KVCacheDataTypeE1ELb1EEEvPT_PKS3_PKT0_S9_ifPKiSB_iPKfiiiSD_SD_iiiii.numbered_sgpr, max(44, .L_ZN4vllm22paged_attention_kernelI14__hip_bfloat16hLi256ELi32ELi128ELNS_18Fp8KVCacheDataTypeE1ELb1ELi0EEEvPfS3_PT_PKS4_PKT0_SA_ifPKiSC_iPKfiiiSE_SE_iiiii.numbered_sgpr)
	.set _ZN4vllm25paged_attention_v1_kernelI14__hip_bfloat16hLi256ELi32ELi128ELNS_18Fp8KVCacheDataTypeE1ELb1EEEvPT_PKS3_PKT0_S9_ifPKiSB_iPKfiiiSD_SD_iiiii.num_named_barrier, max(0, .L_ZN4vllm22paged_attention_kernelI14__hip_bfloat16hLi256ELi32ELi128ELNS_18Fp8KVCacheDataTypeE1ELb1ELi0EEEvPfS3_PT_PKS4_PKT0_SA_ifPKiSC_iPKfiiiSE_SE_iiiii.num_named_barrier)
	.set _ZN4vllm25paged_attention_v1_kernelI14__hip_bfloat16hLi256ELi32ELi128ELNS_18Fp8KVCacheDataTypeE1ELb1EEEvPT_PKS3_PKT0_S9_ifPKiSB_iPKfiiiSD_SD_iiiii.private_seg_size, 0+max(.L_ZN4vllm22paged_attention_kernelI14__hip_bfloat16hLi256ELi32ELi128ELNS_18Fp8KVCacheDataTypeE1ELb1ELi0EEEvPfS3_PT_PKS4_PKT0_SA_ifPKiSC_iPKfiiiSE_SE_iiiii.private_seg_size)
	.set _ZN4vllm25paged_attention_v1_kernelI14__hip_bfloat16hLi256ELi32ELi128ELNS_18Fp8KVCacheDataTypeE1ELb1EEEvPT_PKS3_PKT0_S9_ifPKiSB_iPKfiiiSD_SD_iiiii.uses_vcc, or(1, .L_ZN4vllm22paged_attention_kernelI14__hip_bfloat16hLi256ELi32ELi128ELNS_18Fp8KVCacheDataTypeE1ELb1ELi0EEEvPfS3_PT_PKS4_PKT0_SA_ifPKiSC_iPKfiiiSE_SE_iiiii.uses_vcc)
	.set _ZN4vllm25paged_attention_v1_kernelI14__hip_bfloat16hLi256ELi32ELi128ELNS_18Fp8KVCacheDataTypeE1ELb1EEEvPT_PKS3_PKT0_S9_ifPKiSB_iPKfiiiSD_SD_iiiii.uses_flat_scratch, or(0, .L_ZN4vllm22paged_attention_kernelI14__hip_bfloat16hLi256ELi32ELi128ELNS_18Fp8KVCacheDataTypeE1ELb1ELi0EEEvPfS3_PT_PKS4_PKT0_SA_ifPKiSC_iPKfiiiSE_SE_iiiii.uses_flat_scratch)
	.set _ZN4vllm25paged_attention_v1_kernelI14__hip_bfloat16hLi256ELi32ELi128ELNS_18Fp8KVCacheDataTypeE1ELb1EEEvPT_PKS3_PKT0_S9_ifPKiSB_iPKfiiiSD_SD_iiiii.has_dyn_sized_stack, or(0, .L_ZN4vllm22paged_attention_kernelI14__hip_bfloat16hLi256ELi32ELi128ELNS_18Fp8KVCacheDataTypeE1ELb1ELi0EEEvPfS3_PT_PKS4_PKT0_SA_ifPKiSC_iPKfiiiSE_SE_iiiii.has_dyn_sized_stack)
	.set _ZN4vllm25paged_attention_v1_kernelI14__hip_bfloat16hLi256ELi32ELi128ELNS_18Fp8KVCacheDataTypeE1ELb1EEEvPT_PKS3_PKT0_S9_ifPKiSB_iPKfiiiSD_SD_iiiii.has_recursion, or(0, .L_ZN4vllm22paged_attention_kernelI14__hip_bfloat16hLi256ELi32ELi128ELNS_18Fp8KVCacheDataTypeE1ELb1ELi0EEEvPfS3_PT_PKS4_PKT0_SA_ifPKiSC_iPKfiiiSE_SE_iiiii.has_recursion)
	.set _ZN4vllm25paged_attention_v1_kernelI14__hip_bfloat16hLi256ELi32ELi128ELNS_18Fp8KVCacheDataTypeE1ELb1EEEvPT_PKS3_PKT0_S9_ifPKiSB_iPKfiiiSD_SD_iiiii.has_indirect_call, or(0, .L_ZN4vllm22paged_attention_kernelI14__hip_bfloat16hLi256ELi32ELi128ELNS_18Fp8KVCacheDataTypeE1ELb1ELi0EEEvPfS3_PT_PKS4_PKT0_SA_ifPKiSC_iPKfiiiSE_SE_iiiii.has_indirect_call)
	.section	.AMDGPU.csdata,"",@progbits
; Kernel info:
; codeLenInByte = 260
; TotalNumSgprs: 46
; NumVgprs: 128
; ScratchSize: 2384
; MemoryBound: 0
; FloatMode: 240
; IeeeMode: 1
; LDSByteSize: 544 bytes/workgroup (compile time only)
; SGPRBlocks: 0
; VGPRBlocks: 15
; NumSGPRsForWavesPerEU: 46
; NumVGPRsForWavesPerEU: 128
; Occupancy: 8
; WaveLimiterHint : 1
; COMPUTE_PGM_RSRC2:SCRATCH_EN: 1
; COMPUTE_PGM_RSRC2:USER_SGPR: 6
; COMPUTE_PGM_RSRC2:TRAP_HANDLER: 0
; COMPUTE_PGM_RSRC2:TGID_X_EN: 1
; COMPUTE_PGM_RSRC2:TGID_Y_EN: 1
; COMPUTE_PGM_RSRC2:TGID_Z_EN: 1
; COMPUTE_PGM_RSRC2:TIDIG_COMP_CNT: 0
	.section	.text._ZN4vllm25paged_attention_v1_kernelI14__hip_bfloat16hLi32ELi32ELi128ELNS_18Fp8KVCacheDataTypeE1ELb0EEEvPT_PKS3_PKT0_S9_ifPKiSB_iPKfiiiSD_SD_iiiii,"axG",@progbits,_ZN4vllm25paged_attention_v1_kernelI14__hip_bfloat16hLi32ELi32ELi128ELNS_18Fp8KVCacheDataTypeE1ELb0EEEvPT_PKS3_PKT0_S9_ifPKiSB_iPKfiiiSD_SD_iiiii,comdat
	.protected	_ZN4vllm25paged_attention_v1_kernelI14__hip_bfloat16hLi32ELi32ELi128ELNS_18Fp8KVCacheDataTypeE1ELb0EEEvPT_PKS3_PKT0_S9_ifPKiSB_iPKfiiiSD_SD_iiiii ; -- Begin function _ZN4vllm25paged_attention_v1_kernelI14__hip_bfloat16hLi32ELi32ELi128ELNS_18Fp8KVCacheDataTypeE1ELb0EEEvPT_PKS3_PKT0_S9_ifPKiSB_iPKfiiiSD_SD_iiiii
	.globl	_ZN4vllm25paged_attention_v1_kernelI14__hip_bfloat16hLi32ELi32ELi128ELNS_18Fp8KVCacheDataTypeE1ELb0EEEvPT_PKS3_PKT0_S9_ifPKiSB_iPKfiiiSD_SD_iiiii
	.p2align	8
	.type	_ZN4vllm25paged_attention_v1_kernelI14__hip_bfloat16hLi32ELi32ELi128ELNS_18Fp8KVCacheDataTypeE1ELb0EEEvPT_PKS3_PKT0_S9_ifPKiSB_iPKfiiiSD_SD_iiiii,@function
_ZN4vllm25paged_attention_v1_kernelI14__hip_bfloat16hLi32ELi32ELi128ELNS_18Fp8KVCacheDataTypeE1ELb0EEEvPT_PKS3_PKT0_S9_ifPKiSB_iPKfiiiSD_SD_iiiii: ; @_ZN4vllm25paged_attention_v1_kernelI14__hip_bfloat16hLi32ELi32ELi128ELNS_18Fp8KVCacheDataTypeE1ELb0EEEvPT_PKS3_PKT0_S9_ifPKiSB_iPKfiiiSD_SD_iiiii
; %bb.0:
	s_clause 0x2
	s_load_dword s9, s[4:5], 0x80
	s_load_dwordx2 s[0:1], s[4:5], 0x30
	s_load_dwordx2 s[2:3], s[4:5], 0x20
	s_mov_b32 s10, s7
	s_ashr_i32 s11, s7, 31
	s_mov_b32 s28, 0
	s_lshl_b64 s[12:13], s[10:11], 2
	s_waitcnt lgkmcnt(0)
	s_add_u32 s0, s0, s12
	s_addc_u32 s1, s1, s13
	s_abs_i32 s7, s2
	s_abs_i32 s13, s9
	v_cvt_f32_u32_e32 v1, s7
	s_sub_i32 s12, 0, s7
	s_xor_b32 s2, s9, s2
	s_ashr_i32 s2, s2, 31
	v_rcp_iflag_f32_e32 v1, v1
	v_mul_f32_e32 v1, 0x4f7ffffe, v1
	v_cvt_u32_f32_e32 v1, v1
	v_readfirstlane_b32 s11, v1
	s_mul_i32 s12, s12, s11
	s_mul_hi_u32 s12, s11, s12
	s_add_i32 s11, s11, s12
	s_mul_hi_u32 s11, s13, s11
	s_mul_i32 s12, s11, s7
	s_sub_i32 s12, s13, s12
	s_add_i32 s13, s11, 1
	s_sub_i32 s14, s12, s7
	s_cmp_ge_u32 s12, s7
	s_cselect_b32 s11, s13, s11
	s_cselect_b32 s12, s14, s12
	s_add_i32 s13, s11, 1
	s_cmp_ge_u32 s12, s7
	s_cselect_b32 s7, s13, s11
	s_load_dwordx2 s[12:13], s[4:5], 0x40
	s_xor_b32 s7, s7, s2
	s_abs_i32 s16, s6
	s_sub_i32 s17, s7, s2
	s_abs_i32 s2, s17
	v_cvt_f32_u32_e32 v1, s2
	s_sub_i32 s11, 0, s2
	v_rcp_iflag_f32_e32 v1, v1
	v_mul_f32_e32 v1, 0x4f7ffffe, v1
	v_cvt_u32_f32_e32 v1, v1
	v_readfirstlane_b32 s7, v1
	s_mul_i32 s11, s11, s7
	s_mul_hi_u32 s11, s7, s11
	s_add_i32 s7, s7, s11
	s_waitcnt lgkmcnt(0)
	s_cmp_eq_u64 s[12:13], 0
	s_mul_hi_u32 s26, s16, s7
	s_cbranch_scc1 .LBB359_2
; %bb.1:
	s_ashr_i32 s7, s6, 31
	s_lshl_b64 s[14:15], s[6:7], 2
	s_add_u32 s12, s12, s14
	s_addc_u32 s13, s13, s15
	s_load_dword s28, s[12:13], 0x0
.LBB359_2:
	s_load_dword s11, s[0:1], 0x0
	s_clause 0x1
	s_load_dwordx2 s[22:23], s[4:5], 0x28
	s_load_dwordx4 s[12:15], s[4:5], 0x48
	s_ashr_i32 s0, s6, 31
	s_ashr_i32 s1, s17, 31
	s_lshl_b32 s6, s6, 5
	s_waitcnt lgkmcnt(0)
	s_mov_b32 s15, exec_lo
	v_cmpx_gt_u32_e32 4, v0
	s_cbranch_execz .LBB359_4
; %bb.3:
	s_load_dwordx2 s[18:19], s[4:5], 0x8
	s_mul_i32 s20, s12, s10
	v_lshlrev_b32_e32 v5, 4, v0
	s_ashr_i32 s21, s20, 31
	s_lshl_b64 s[20:21], s[20:21], 1
	s_waitcnt lgkmcnt(0)
	s_add_u32 s12, s18, s20
	s_addc_u32 s17, s19, s21
	s_ashr_i32 s7, s6, 31
	s_lshl_b64 s[18:19], s[6:7], 1
	s_add_u32 s18, s12, s18
	s_addc_u32 s19, s17, s19
	global_load_dwordx4 v[1:4], v5, s[18:19]
	s_waitcnt vmcnt(0)
	ds_write_b128 v5, v[1:4]
.LBB359_4:
	s_or_b32 exec_lo, exec_lo, s15
	s_add_i32 s7, s11, 31
	s_clause 0x2
	s_load_dwordx2 s[20:21], s[4:5], 0x0
	s_load_dwordx2 s[24:25], s[4:5], 0x18
	s_load_dword s15, s[4:5], 0x38
	s_ashr_i32 s12, s7, 31
	s_mul_i32 s17, s26, s2
	s_lshr_b32 s12, s12, 27
	s_xor_b32 s0, s0, s1
	s_add_i32 s7, s7, s12
	s_sub_i32 s1, s16, s17
	s_ashr_i32 s12, s7, 5
	s_clause 0x1
	s_load_dword s7, s[4:5], 0x88
	s_load_dwordx4 s[16:19], s[4:5], 0x58
	s_add_i32 s27, s26, 1
	s_sub_i32 s29, s1, s2
	s_cmp_ge_u32 s1, s2
	v_lshrrev_b32_e32 v21, 5, v0
	s_cselect_b32 s26, s27, s26
	s_cselect_b32 s1, s29, s1
	s_add_i32 s27, s26, 1
	s_cmp_ge_u32 s1, s2
	v_and_b32_e32 v22, 31, v0
	s_cselect_b32 s1, s27, s26
	v_mov_b32_e32 v34, 0xff7fffff
	s_xor_b32 s1, s1, s0
	v_lshrrev_b32_e32 v13, 3, v0
	s_sub_i32 s1, s1, s0
	v_cmp_gt_i32_e64 s0, s12, v21
	v_lshlrev_b32_e32 v14, 2, v22
	s_waitcnt lgkmcnt(0)
	s_mul_i32 s26, s15, s10
	s_mul_i32 s14, s1, s14
	s_ashr_i32 s27, s26, 31
	s_barrier
	buffer_gl0_inv
	s_and_saveexec_b32 s15, s0
	s_cbranch_execz .LBB359_248
; %bb.5:
	v_mov_b32_e32 v2, 0
	s_load_dwordx2 s[4:5], s[4:5], 0x10
	v_lshlrev_b32_e32 v1, 4, v22
	s_ashr_i32 s1, s14, 31
	v_cmp_neq_f32_e64 vcc_lo, s28, 0
	ds_read_b128 v[5:8], v2
	ds_read_b128 v[9:12], v2 offset:16
	ds_read_b128 v[38:41], v2 offset:32
	;; [unrolled: 1-line block ×3, first 2 shown]
	s_load_dword s16, s[16:17], 0x0
	v_lshl_or_b32 v50, v21, 5, v22
	v_mov_b32_e32 v34, 0xff7fffff
	v_mov_b32_e32 v52, 0x80
	;; [unrolled: 1-line block ×7, first 2 shown]
	s_mov_b32 s29, s13
	s_mov_b32 s30, 0
	s_waitcnt lgkmcnt(0)
	s_add_u32 s2, s4, s14
	s_addc_u32 s1, s5, s1
	v_add_co_u32 v3, s2, s2, v1
	v_lshlrev_b32_e32 v15, 16, v5
	v_and_b32_e32 v16, 0xffff0000, v5
	v_and_b32_e32 v5, 0x7c, v13
	s_lshl_b64 s[4:5], s[26:27], 2
	v_lshl_or_b32 v1, v21, 7, v14
	s_sub_i32 s17, 1, s11
	v_add_co_ci_u32_e64 v4, null, s1, 0, s2
	s_add_u32 s1, s22, s4
	s_addc_u32 s2, s23, s5
	v_add_co_u32 v5, s1, s1, v5
	v_lshlrev_b32_e32 v17, 16, v6
	v_and_b32_e32 v18, 0xffff0000, v6
	v_lshlrev_b32_e32 v19, 16, v7
	v_and_b32_e32 v20, 0xffff0000, v7
	;; [unrolled: 2-line block ×15, first 2 shown]
	v_add_nc_u32_e32 v51, 0x60, v1
	v_add_co_ci_u32_e64 v6, null, s2, 0, s1
	s_mov_b32 s4, -1
	s_mov_b32 s5, 0xffffff
	s_branch .LBB359_10
.LBB359_6:                              ;   in Loop: Header=BB359_10 Depth=1
	s_or_b32 exec_lo, exec_lo, s34
	v_lshlrev_b32_sdwa v8, v56, v8 dst_sel:DWORD dst_unused:UNUSED_PAD src0_sel:DWORD src1_sel:BYTE_3
	v_lshlrev_b32_e32 v1, 20, v1
	v_lshl_add_u32 v7, v7, 23, 0x3c000000
	v_and_b32_e32 v8, 0x80000000, v8
	v_or3_b32 v86, v1, v8, v7
.LBB359_7:                              ;   in Loop: Header=BB359_10 Depth=1
	s_or_b32 exec_lo, exec_lo, s33
.LBB359_8:                              ;   in Loop: Header=BB359_10 Depth=1
	s_or_b32 exec_lo, exec_lo, s31
.LBB359_9:                              ;   in Loop: Header=BB359_10 Depth=1
	s_or_b32 exec_lo, exec_lo, s2
	v_mul_f32_e32 v1, s16, v80
	v_mul_f32_e32 v7, s16, v77
	;; [unrolled: 1-line block ×5, first 2 shown]
	v_bfe_u32 v10, v1, 16, 1
	v_bfe_u32 v77, v7, 16, 1
	v_or_b32_e32 v78, 0x400000, v1
	v_cmp_u_f32_e64 s1, v1, v1
	v_or_b32_e32 v80, 0x400000, v7
	v_add3_u32 v10, v10, v1, 0x7fff
	v_bfe_u32 v87, v8, 16, 1
	v_add3_u32 v77, v77, v7, 0x7fff
	v_bfe_u32 v88, v76, 16, 1
	v_mul_f32_e32 v72, s16, v72
	v_cndmask_b32_e64 v1, v10, v78, s1
	v_cmp_u_f32_e64 s1, v7, v7
	v_add3_u32 v10, v87, v8, 0x7fff
	v_add3_u32 v78, v88, v76, 0x7fff
	v_bfe_u32 v87, v75, 16, 1
	v_bfe_u32 v88, v72, 16, 1
	v_cndmask_b32_e64 v7, v77, v80, s1
	v_or_b32_e32 v77, 0x400000, v8
	v_cmp_u_f32_e64 s1, v8, v8
	v_mul_f32_e32 v80, s16, v74
	v_or_b32_e32 v74, 0x400000, v76
	v_mul_f32_e32 v70, s16, v70
	v_mul_f32_e32 v67, s16, v67
	v_cndmask_b32_e64 v8, v10, v77, s1
	v_cmp_u_f32_e64 s1, v76, v76
	v_bfe_u32 v10, v80, 16, 1
	v_add3_u32 v76, v87, v75, 0x7fff
	v_mul_f32_e32 v77, s16, v79
	v_mul_f32_e32 v79, s16, v82
	v_cndmask_b32_e64 v74, v78, v74, s1
	v_or_b32_e32 v78, 0x400000, v75
	v_cmp_u_f32_e64 s1, v75, v75
	v_add3_u32 v10, v10, v80, 0x7fff
	v_or_b32_e32 v82, 0x400000, v80
	v_bfe_u32 v87, v77, 16, 1
	v_mul_f32_e32 v66, s16, v66
	v_cndmask_b32_e64 v75, v76, v78, s1
	v_cmp_u_f32_e64 s1, v80, v80
	v_bfe_u32 v78, v79, 16, 1
	v_or_b32_e32 v80, 0x400000, v77
	v_mul_f32_e32 v71, s16, v71
	v_mul_f32_e32 v73, s16, v73
	v_cndmask_b32_e64 v76, v10, v82, s1
	v_add3_u32 v10, v87, v77, 0x7fff
	v_cmp_u_f32_e64 s1, v77, v77
	v_add3_u32 v78, v78, v79, 0x7fff
	v_mul_f32_e32 v82, s16, v69
	v_or_b32_e32 v87, 0x400000, v79
	v_mul_f32_e32 v64, s16, v64
	v_cndmask_b32_e64 v69, v10, v80, s1
	v_cmp_u_f32_e64 s1, v79, v79
	v_bfe_u32 v77, v82, 16, 1
	v_or_b32_e32 v79, 0x400000, v72
	v_mul_f32_e32 v80, s16, v68
	v_mul_f32_e32 v61, s16, v61
	v_cndmask_b32_e64 v10, v78, v87, s1
	v_add3_u32 v78, v88, v72, 0x7fff
	v_cmp_u_f32_e64 s1, v72, v72
	v_add3_u32 v77, v77, v82, 0x7fff
	v_or_b32_e32 v87, 0x400000, v82
	v_bfe_u32 v88, v70, 16, 1
	v_bfe_u32 v72, v80, 16, 1
	v_cndmask_b32_e64 v68, v78, v79, s1
	v_cmp_u_f32_e64 s1, v82, v82
	v_or_b32_e32 v79, 0x400000, v70
	v_add3_u32 v78, v88, v70, 0x7fff
	v_add3_u32 v72, v72, v80, 0x7fff
	v_or_b32_e32 v82, 0x400000, v80
	v_cndmask_b32_e64 v77, v77, v87, s1
	v_cmp_u_f32_e64 s1, v70, v70
	v_bfe_u32 v87, v67, 16, 1
	v_mul_f32_e32 v62, s16, v62
	v_mul_f32_e32 v60, s16, v60
	;; [unrolled: 1-line block ×3, first 2 shown]
	v_cndmask_b32_e64 v70, v78, v79, s1
	v_cmp_u_f32_e64 s1, v80, v80
	v_bfe_u32 v78, v66, 16, 1
	v_add3_u32 v79, v87, v67, 0x7fff
	v_or_b32_e32 v80, 0x400000, v67
	v_bfe_u32 v87, v71, 16, 1
	v_cndmask_b32_e64 v72, v72, v82, s1
	v_cmp_u_f32_e64 s1, v67, v67
	v_add3_u32 v78, v78, v66, 0x7fff
	v_or_b32_e32 v82, 0x400000, v66
	v_mul_f32_e32 v58, s16, v58
	v_mul_f32_e32 v63, s16, v63
	v_cndmask_b32_e64 v67, v79, v80, s1
	v_cmp_u_f32_e64 s1, v66, v66
	v_bfe_u32 v79, v73, 16, 1
	v_or_b32_e32 v80, 0x400000, v71
	v_mul_f32_e32 v65, s16, v65
	v_mul_f32_e32 v9, s16, v9
	v_cndmask_b32_e64 v66, v78, v82, s1
	v_add3_u32 v78, v87, v71, 0x7fff
	v_cmp_u_f32_e64 s1, v71, v71
	v_add3_u32 v79, v79, v73, 0x7fff
	v_or_b32_e32 v82, 0x400000, v73
	v_bfe_u32 v87, v64, 16, 1
	v_mul_f32_e32 v83, s16, v83
	v_cndmask_b32_e64 v71, v78, v80, s1
	v_cmp_u_f32_e64 s1, v73, v73
	v_bfe_u32 v78, v61, 16, 1
	v_or_b32_e32 v80, 0x400000, v64
	v_mul_f32_e32 v81, s16, v81
	v_mul_f32_e32 v12, s16, v12
	v_cndmask_b32_e64 v73, v79, v82, s1
	v_add3_u32 v79, v87, v64, 0x7fff
	v_cmp_u_f32_e64 s1, v64, v64
	v_add3_u32 v78, v78, v61, 0x7fff
	v_or_b32_e32 v82, 0x400000, v61
	v_bfe_u32 v87, v62, 16, 1
	v_and_b32_e32 v67, 0xffff0000, v67
	v_cndmask_b32_e64 v64, v79, v80, s1
	v_cmp_u_f32_e64 s1, v61, v61
	v_bfe_u32 v79, v60, 16, 1
	v_or_b32_e32 v80, 0x400000, v62
	v_and_b32_e32 v72, 0xffff0000, v72
	v_mul_f32_e32 v11, s16, v11
	v_cndmask_b32_e64 v61, v78, v82, s1
	v_add3_u32 v78, v87, v62, 0x7fff
	v_cmp_u_f32_e64 s1, v62, v62
	v_add3_u32 v79, v79, v60, 0x7fff
	v_or_b32_e32 v82, 0x400000, v60
	v_bfe_u32 v87, v59, 16, 1
	v_mul_f32_e32 v67, v26, v67
	v_cndmask_b32_e64 v62, v78, v80, s1
	v_cmp_u_f32_e64 s1, v60, v60
	v_bfe_u32 v78, v58, 16, 1
	v_or_b32_e32 v80, 0x400000, v59
	v_mul_f32_e32 v72, v27, v72
	v_and_b32_e32 v70, 0xffff0000, v70
	v_cndmask_b32_e64 v60, v79, v82, s1
	v_add3_u32 v79, v87, v59, 0x7fff
	v_cmp_u_f32_e64 s1, v59, v59
	v_add3_u32 v78, v78, v58, 0x7fff
	v_or_b32_e32 v82, 0x400000, v58
	v_bfe_u32 v87, v63, 16, 1
	v_and_b32_e32 v60, 0xffff0000, v60
	v_cndmask_b32_e64 v59, v79, v80, s1
	v_cmp_u_f32_e64 s1, v58, v58
	v_bfe_u32 v79, v65, 16, 1
	v_or_b32_e32 v80, 0x400000, v63
	v_and_b32_e32 v62, 0xffff0000, v62
	v_and_b32_e32 v59, 0xffff0000, v59
	v_cndmask_b32_e64 v58, v78, v82, s1
	v_add3_u32 v78, v87, v63, 0x7fff
	v_cmp_u_f32_e64 s1, v63, v63
	v_add3_u32 v79, v79, v65, 0x7fff
	v_or_b32_e32 v82, 0x400000, v65
	v_or_b32_e32 v87, 0x400000, v83
	v_and_b32_e32 v66, 0xffff0000, v66
	v_cndmask_b32_e64 v63, v78, v80, s1
	v_bfe_u32 v78, v9, 16, 1
	v_cmp_u_f32_e64 s1, v65, v65
	v_fmac_f32_e32 v67, v16, v59
	v_fmac_f32_e32 v72, v17, v60
	v_mul_f32_e32 v59, v28, v70
	v_add3_u32 v78, v78, v9, 0x7fff
	v_cndmask_b32_e64 v65, v79, v82, s1
	v_bfe_u32 v79, v83, 16, 1
	v_mul_f32_e32 v82, s16, v84
	v_or_b32_e32 v84, 0x400000, v9
	v_cmp_u_f32_e64 s1, v9, v9
	v_and_b32_e32 v60, 0xffff0000, v68
	v_add3_u32 v79, v79, v83, 0x7fff
	v_bfe_u32 v88, v82, 16, 1
	v_and_b32_e32 v68, 0xffff0000, v71
	v_cndmask_b32_e64 v9, v78, v84, s1
	v_cmp_u_f32_e64 s1, v83, v83
	v_bfe_u32 v78, v81, 16, 1
	v_add3_u32 v83, v88, v82, 0x7fff
	v_or_b32_e32 v84, 0x400000, v82
	v_and_b32_e32 v58, 0xffff0000, v58
	v_cndmask_b32_e64 v79, v79, v87, s1
	v_cmp_u_f32_e64 s1, v82, v82
	v_add3_u32 v78, v78, v81, 0x7fff
	v_or_b32_e32 v87, 0x400000, v81
	v_and_b32_e32 v63, 0xffff0000, v63
	v_mul_f32_e32 v66, v25, v66
	v_cndmask_b32_e64 v82, v83, v84, s1
	v_bfe_u32 v83, v12, 16, 1
	v_cmp_u_f32_e64 s1, v81, v81
	v_mul_f32_e32 v81, s16, v85
	v_or_b32_e32 v84, 0x400000, v12
	v_mul_f32_e32 v85, s16, v86
	v_add3_u32 v83, v83, v12, 0x7fff
	v_cndmask_b32_e64 v78, v78, v87, s1
	v_bfe_u32 v86, v11, 16, 1
	v_cmp_u_f32_e64 s1, v12, v12
	v_fmac_f32_e32 v59, v18, v62
	v_mul_f32_e32 v62, v31, v68
	v_and_b32_e32 v64, 0xffff0000, v64
	v_fmac_f32_e32 v66, v15, v58
	v_cndmask_b32_e64 v12, v83, v84, s1
	v_add3_u32 v84, v86, v11, 0x7fff
	v_or_b32_e32 v86, 0x400000, v11
	v_cmp_u_f32_e64 s1, v11, v11
	v_mul_f32_e32 v60, v30, v60
	v_and_b32_e32 v68, 0xffff0000, v76
	v_fmac_f32_e32 v62, v23, v63
	v_and_b32_e32 v63, 0xffff0000, v75
	v_cndmask_b32_e64 v11, v84, v86, s1
	v_and_b32_e32 v58, 0xffff0000, v77
	v_fmac_f32_e32 v60, v20, v64
	v_fmac_f32_e32 v66, v33, v68
	v_and_b32_e32 v64, 0xffff0000, v74
	v_and_b32_e32 v11, 0xffff0000, v11
	v_fmac_f32_e32 v67, v35, v63
	v_and_b32_e32 v12, 0xffff0000, v12
	v_and_b32_e32 v61, 0xffff0000, v61
	v_mul_f32_e32 v58, v29, v58
	v_and_b32_e32 v8, 0xffff0000, v8
	v_fmac_f32_e32 v72, v36, v64
	v_fmac_f32_e32 v66, v42, v11
	v_and_b32_e32 v11, 0xffff0000, v78
	v_fmac_f32_e32 v67, v43, v12
	v_bfe_u32 v87, v81, 16, 1
	v_fmac_f32_e32 v58, v19, v61
	v_fmac_f32_e32 v59, v37, v8
	v_and_b32_e32 v7, 0xffff0000, v7
	v_and_b32_e32 v8, 0xffff0000, v82
	v_fmac_f32_e32 v72, v44, v11
	v_add_f32_e32 v11, v66, v67
	v_bfe_u32 v83, v85, 16, 1
	v_add3_u32 v87, v87, v81, 0x7fff
	v_or_b32_e32 v88, 0x400000, v81
	v_cmp_u_f32_e64 s1, v81, v81
	v_and_b32_e32 v70, 0xffff0000, v73
	v_and_b32_e32 v1, 0xffff0000, v1
	v_fmac_f32_e32 v58, v38, v7
	v_fmac_f32_e32 v59, v45, v8
	v_and_b32_e32 v7, 0xffff0000, v79
	v_add_f32_e32 v8, v11, v72
	v_add3_u32 v83, v83, v85, 0x7fff
	v_or_b32_e32 v89, 0x400000, v85
	v_cndmask_b32_e64 v81, v87, v88, s1
	v_cmp_u_f32_e64 s1, v85, v85
	v_and_b32_e32 v65, 0xffff0000, v65
	v_mul_f32_e32 v61, v32, v70
	v_fmac_f32_e32 v60, v39, v1
	v_and_b32_e32 v1, 0xffff0000, v69
	v_and_b32_e32 v9, 0xffff0000, v9
	v_fmac_f32_e32 v58, v46, v7
	v_add_f32_e32 v7, v8, v59
	v_add_nc_u32_e32 v80, s17, v50
	v_cndmask_b32_e64 v83, v83, v89, s1
	v_fmac_f32_e32 v61, v24, v65
	v_and_b32_e32 v8, 0xffff0000, v10
	v_fmac_f32_e32 v62, v40, v1
	v_fmac_f32_e32 v60, v47, v9
	v_and_b32_e32 v1, 0xffff0000, v81
	v_add_f32_e32 v7, v7, v58
	v_cvt_f32_i32_e32 v9, v80
	v_fmac_f32_e32 v61, v41, v8
	v_and_b32_e32 v8, 0xffff0000, v83
	v_fmac_f32_e32 v62, v48, v1
	v_add_f32_e32 v1, v7, v60
	v_mul_f32_e32 v7, s28, v9
	v_cmp_gt_i32_e64 s1, s11, v50
	v_fmac_f32_e32 v61, v49, v8
	v_add_nc_u32_e32 v57, 4, v57
	v_add_f32_e32 v1, v1, v62
	v_cndmask_b32_e32 v7, 0, v7, vcc_lo
	v_add_co_u32 v5, s2, v5, 16
	v_add_nc_u32_e32 v50, 0x80, v50
	v_add_f32_e32 v1, v1, v61
	v_add_co_ci_u32_e64 v6, null, 0, v6, s2
	v_fmac_f32_e32 v7, s3, v1
	v_max_f32_e32 v1, v34, v34
	v_cndmask_b32_e64 v8, 0, v7, s1
	v_max_f32_e32 v1, v1, v7
	ds_write_b32 v51, v8
	v_cndmask_b32_e64 v34, v34, v1, s1
	v_cmp_le_i32_e64 s1, s12, v57
	v_add_nc_u32_e32 v51, 0x200, v51
	s_or_b32 s30, s1, s30
	s_andn2_b32 exec_lo, exec_lo, s30
	s_cbranch_execz .LBB359_247
.LBB359_10:                             ; =>This Inner Loop Header: Depth=1
	global_load_dword v1, v[5:6], off
	v_mov_b32_e32 v58, 0
	s_waitcnt vmcnt(0)
	v_mad_i64_i32 v[7:8], null, v1, s29, v[3:4]
	global_load_dwordx2 v[9:10], v[7:8], off
	s_waitcnt vmcnt(0)
	v_cmp_ne_u16_sdwa s1, v9, v2 src0_sel:BYTE_0 src1_sel:DWORD
	s_and_saveexec_b32 s2, s1
	s_cbranch_execz .LBB359_16
; %bb.11:                               ;   in Loop: Header=BB359_10 Depth=1
	v_cmp_ne_u16_sdwa s1, v9, v52 src0_sel:BYTE_0 src1_sel:DWORD
	v_bfrev_b32_e32 v58, 1
	s_and_saveexec_b32 s31, s1
	s_cbranch_execz .LBB359_15
; %bb.12:                               ;   in Loop: Header=BB359_10 Depth=1
	v_and_b32_e32 v1, 0x7f, v9
	v_mov_b32_e32 v58, 0x7f800001
	s_mov_b32 s33, exec_lo
	v_cmpx_ne_u32_e32 0x7f, v1
	s_cbranch_execz .LBB359_14
; %bb.13:                               ;   in Loop: Header=BB359_10 Depth=1
	v_and_b32_e32 v11, 7, v9
	v_lshrrev_b32_e32 v12, 3, v1
	v_cmp_gt_u32_e64 s1, 8, v1
	v_ffbh_u32_e32 v11, v11
	v_min_u32_e32 v11, 32, v11
	v_subrev_nc_u32_e32 v58, 28, v11
	v_sub_nc_u32_e32 v11, 29, v11
	v_cndmask_b32_e64 v1, v12, v11, s1
	v_cndmask_b32_e64 v11, 0, v58, s1
	v_lshl_add_u32 v1, v1, 23, 0x3c000000
	v_lshlrev_b64 v[11:12], v11, v[9:10]
	v_lshlrev_b32_e32 v12, 24, v9
	v_lshlrev_b32_e32 v11, 20, v11
	v_and_b32_e32 v12, 0x80000000, v12
	v_and_b32_e32 v11, 0x700000, v11
	v_or3_b32 v58, v11, v12, v1
.LBB359_14:                             ;   in Loop: Header=BB359_10 Depth=1
	s_or_b32 exec_lo, exec_lo, s33
.LBB359_15:                             ;   in Loop: Header=BB359_10 Depth=1
	s_or_b32 exec_lo, exec_lo, s31
.LBB359_16:                             ;   in Loop: Header=BB359_10 Depth=1
	s_or_b32 exec_lo, exec_lo, s2
	v_cmp_ne_u16_sdwa s1, v9, v2 src0_sel:BYTE_1 src1_sel:DWORD
	v_mov_b32_e32 v60, 0
	v_mov_b32_e32 v59, 0
	s_and_saveexec_b32 s2, s1
	s_cbranch_execz .LBB359_24
; %bb.17:                               ;   in Loop: Header=BB359_10 Depth=1
	v_cmp_ne_u16_sdwa s1, v9, v52 src0_sel:BYTE_1 src1_sel:DWORD
	v_bfrev_b32_e32 v59, 1
	s_and_saveexec_b32 s31, s1
	s_cbranch_execz .LBB359_23
; %bb.18:                               ;   in Loop: Header=BB359_10 Depth=1
	v_and_b32_sdwa v1, v53, v9 dst_sel:DWORD dst_unused:UNUSED_PAD src0_sel:DWORD src1_sel:BYTE_1
	v_mov_b32_e32 v59, 0x7f800001
	s_mov_b32 s33, exec_lo
	v_and_b32_e32 v12, 0x7f, v1
	v_cmpx_ne_u32_e32 0x7f, v12
	s_cbranch_execz .LBB359_22
; %bb.19:                               ;   in Loop: Header=BB359_10 Depth=1
	v_and_b32_e32 v1, 7, v1
	v_lshrrev_b32_e32 v11, 3, v12
	s_mov_b32 s34, exec_lo
	v_cmpx_gt_u32_e32 8, v12
; %bb.20:                               ;   in Loop: Header=BB359_10 Depth=1
	v_ffbh_u32_e32 v11, v1
	v_min_u32_e32 v11, 32, v11
	v_subrev_nc_u32_e32 v12, 28, v11
	v_sub_nc_u32_e32 v11, 29, v11
	v_lshlrev_b64 v[61:62], v12, v[1:2]
	v_and_b32_e32 v1, 7, v61
; %bb.21:                               ;   in Loop: Header=BB359_10 Depth=1
	s_or_b32 exec_lo, exec_lo, s34
	v_lshlrev_b32_e32 v12, 16, v9
	v_lshlrev_b32_e32 v1, 20, v1
	v_lshl_add_u32 v11, v11, 23, 0x3c000000
	v_and_b32_e32 v12, 0x80000000, v12
	v_or3_b32 v59, v1, v12, v11
.LBB359_22:                             ;   in Loop: Header=BB359_10 Depth=1
	s_or_b32 exec_lo, exec_lo, s33
.LBB359_23:                             ;   in Loop: Header=BB359_10 Depth=1
	s_or_b32 exec_lo, exec_lo, s31
.LBB359_24:                             ;   in Loop: Header=BB359_10 Depth=1
	s_or_b32 exec_lo, exec_lo, s2
	v_and_b32_sdwa v1, v9, v54 dst_sel:DWORD dst_unused:UNUSED_PAD src0_sel:WORD_1 src1_sel:DWORD
	s_mov_b32 s2, exec_lo
	v_cmpx_ne_u16_e32 0, v1
	s_cbranch_execz .LBB359_32
; %bb.25:                               ;   in Loop: Header=BB359_10 Depth=1
	v_bfrev_b32_e32 v60, 1
	s_mov_b32 s31, exec_lo
	v_cmpx_ne_u16_e32 0x80, v1
	s_cbranch_execz .LBB359_31
; %bb.26:                               ;   in Loop: Header=BB359_10 Depth=1
	v_bfe_u32 v12, v9, 16, 7
	v_mov_b32_e32 v60, 0x7f800001
	s_mov_b32 s33, exec_lo
	v_cmpx_ne_u32_e32 0x7f, v12
	s_cbranch_execz .LBB359_30
; %bb.27:                               ;   in Loop: Header=BB359_10 Depth=1
	v_and_b32_sdwa v1, v9, v55 dst_sel:DWORD dst_unused:UNUSED_PAD src0_sel:WORD_1 src1_sel:DWORD
	v_lshrrev_b32_e32 v11, 3, v12
	s_mov_b32 s34, exec_lo
	v_cmpx_gt_u32_e32 8, v12
; %bb.28:                               ;   in Loop: Header=BB359_10 Depth=1
	v_ffbh_u32_e32 v11, v1
	v_min_u32_e32 v11, 32, v11
	v_subrev_nc_u32_e32 v12, 28, v11
	v_sub_nc_u32_e32 v11, 29, v11
	v_lshlrev_b64 v[60:61], v12, v[1:2]
	v_and_b32_e32 v1, 7, v60
; %bb.29:                               ;   in Loop: Header=BB359_10 Depth=1
	s_or_b32 exec_lo, exec_lo, s34
	v_lshlrev_b32_sdwa v12, v56, v9 dst_sel:DWORD dst_unused:UNUSED_PAD src0_sel:DWORD src1_sel:WORD_1
	v_lshlrev_b32_e32 v1, 20, v1
	v_lshl_add_u32 v11, v11, 23, 0x3c000000
	v_and_b32_e32 v12, 0x80000000, v12
	v_or3_b32 v60, v1, v12, v11
.LBB359_30:                             ;   in Loop: Header=BB359_10 Depth=1
	s_or_b32 exec_lo, exec_lo, s33
.LBB359_31:                             ;   in Loop: Header=BB359_10 Depth=1
	s_or_b32 exec_lo, exec_lo, s31
.LBB359_32:                             ;   in Loop: Header=BB359_10 Depth=1
	s_or_b32 exec_lo, exec_lo, s2
	v_mov_b32_e32 v61, 0
	v_mov_b32_e32 v62, 0
	s_mov_b32 s2, exec_lo
	v_cmpx_lt_u32_e32 0xffffff, v9
	s_cbranch_execz .LBB359_40
; %bb.33:                               ;   in Loop: Header=BB359_10 Depth=1
	v_cmp_ne_u32_sdwa s1, v9, v52 src0_sel:BYTE_3 src1_sel:DWORD
	v_bfrev_b32_e32 v62, 1
	s_and_saveexec_b32 s31, s1
	s_cbranch_execz .LBB359_39
; %bb.34:                               ;   in Loop: Header=BB359_10 Depth=1
	v_bfe_u32 v12, v9, 24, 7
	v_mov_b32_e32 v62, 0x7f800001
	s_mov_b32 s33, exec_lo
	v_cmpx_ne_u32_e32 0x7f, v12
	s_cbranch_execz .LBB359_38
; %bb.35:                               ;   in Loop: Header=BB359_10 Depth=1
	v_and_b32_sdwa v1, v9, v55 dst_sel:DWORD dst_unused:UNUSED_PAD src0_sel:BYTE_3 src1_sel:DWORD
	v_lshrrev_b32_e32 v11, 3, v12
	s_mov_b32 s34, exec_lo
	v_cmpx_gt_u32_e32 8, v12
; %bb.36:                               ;   in Loop: Header=BB359_10 Depth=1
	v_ffbh_u32_e32 v11, v1
	v_min_u32_e32 v11, 32, v11
	v_subrev_nc_u32_e32 v12, 28, v11
	v_sub_nc_u32_e32 v11, 29, v11
	v_lshlrev_b64 v[62:63], v12, v[1:2]
	v_and_b32_e32 v1, 7, v62
; %bb.37:                               ;   in Loop: Header=BB359_10 Depth=1
	s_or_b32 exec_lo, exec_lo, s34
	v_lshlrev_b32_sdwa v12, v56, v9 dst_sel:DWORD dst_unused:UNUSED_PAD src0_sel:DWORD src1_sel:BYTE_3
	v_lshlrev_b32_e32 v1, 20, v1
	v_lshl_add_u32 v11, v11, 23, 0x3c000000
	v_and_b32_e32 v12, 0x80000000, v12
	v_or3_b32 v62, v1, v12, v11
.LBB359_38:                             ;   in Loop: Header=BB359_10 Depth=1
	s_or_b32 exec_lo, exec_lo, s33
.LBB359_39:                             ;   in Loop: Header=BB359_10 Depth=1
	s_or_b32 exec_lo, exec_lo, s31
.LBB359_40:                             ;   in Loop: Header=BB359_10 Depth=1
	s_or_b32 exec_lo, exec_lo, s2
	v_mov_b32_e32 v1, v10
	v_cmp_ne_u16_sdwa s1, v10, v2 src0_sel:BYTE_0 src1_sel:DWORD
	s_and_saveexec_b32 s2, s1
	s_cbranch_execz .LBB359_46
; %bb.41:                               ;   in Loop: Header=BB359_10 Depth=1
	v_cmp_ne_u16_sdwa s1, v10, v52 src0_sel:BYTE_0 src1_sel:DWORD
	v_bfrev_b32_e32 v61, 1
	s_and_saveexec_b32 s31, s1
	s_cbranch_execz .LBB359_45
; %bb.42:                               ;   in Loop: Header=BB359_10 Depth=1
	v_and_b32_e32 v11, 0x7f, v10
	v_mov_b32_e32 v61, 0x7f800001
	s_mov_b32 s33, exec_lo
	v_cmpx_ne_u32_e32 0x7f, v11
	s_cbranch_execz .LBB359_44
; %bb.43:                               ;   in Loop: Header=BB359_10 Depth=1
	v_and_b32_e32 v12, 7, v10
	v_cmp_gt_u32_e64 s1, 8, v11
	v_lshrrev_b32_e32 v61, 3, v11
	v_ffbh_u32_e32 v12, v12
	v_min_u32_e32 v12, 32, v12
	v_subrev_nc_u32_e32 v63, 28, v12
	v_sub_nc_u32_e32 v12, 29, v12
	v_cndmask_b32_e64 v11, 0, v63, s1
	v_cndmask_b32_e64 v61, v61, v12, s1
	v_lshlrev_b64 v[11:12], v11, v[1:2]
	v_lshlrev_b32_e32 v12, 24, v1
	v_lshl_add_u32 v61, v61, 23, 0x3c000000
	v_lshlrev_b32_e32 v11, 20, v11
	v_and_b32_e32 v12, 0x80000000, v12
	v_and_b32_e32 v11, 0x700000, v11
	v_or3_b32 v61, v11, v12, v61
.LBB359_44:                             ;   in Loop: Header=BB359_10 Depth=1
	s_or_b32 exec_lo, exec_lo, s33
.LBB359_45:                             ;   in Loop: Header=BB359_10 Depth=1
	s_or_b32 exec_lo, exec_lo, s31
.LBB359_46:                             ;   in Loop: Header=BB359_10 Depth=1
	s_or_b32 exec_lo, exec_lo, s2
	v_cmp_ne_u16_sdwa s1, v1, v2 src0_sel:BYTE_1 src1_sel:DWORD
	v_mov_b32_e32 v63, 0
	v_mov_b32_e32 v64, 0
	s_and_saveexec_b32 s2, s1
	s_cbranch_execz .LBB359_54
; %bb.47:                               ;   in Loop: Header=BB359_10 Depth=1
	v_cmp_ne_u16_sdwa s1, v1, v52 src0_sel:BYTE_1 src1_sel:DWORD
	v_bfrev_b32_e32 v64, 1
	s_and_saveexec_b32 s31, s1
	s_cbranch_execz .LBB359_53
; %bb.48:                               ;   in Loop: Header=BB359_10 Depth=1
	v_and_b32_sdwa v11, v53, v1 dst_sel:DWORD dst_unused:UNUSED_PAD src0_sel:DWORD src1_sel:BYTE_1
	v_mov_b32_e32 v64, 0x7f800001
	s_mov_b32 s33, exec_lo
	v_and_b32_e32 v65, 0x7f, v11
	v_cmpx_ne_u32_e32 0x7f, v65
	s_cbranch_execz .LBB359_52
; %bb.49:                               ;   in Loop: Header=BB359_10 Depth=1
	v_and_b32_e32 v11, 7, v11
	v_mov_b32_e32 v12, v2
	v_lshrrev_b32_e32 v64, 3, v65
	s_mov_b32 s34, exec_lo
	v_cmpx_gt_u32_e32 8, v65
; %bb.50:                               ;   in Loop: Header=BB359_10 Depth=1
	v_ffbh_u32_e32 v64, v11
	v_min_u32_e32 v64, 32, v64
	v_subrev_nc_u32_e32 v65, 28, v64
	v_sub_nc_u32_e32 v64, 29, v64
	v_lshlrev_b64 v[11:12], v65, v[11:12]
	v_and_b32_e32 v11, 7, v11
; %bb.51:                               ;   in Loop: Header=BB359_10 Depth=1
	s_or_b32 exec_lo, exec_lo, s34
	v_lshlrev_b32_e32 v1, 16, v1
	v_lshlrev_b32_e32 v11, 20, v11
	v_lshl_add_u32 v12, v64, 23, 0x3c000000
	v_and_b32_e32 v1, 0x80000000, v1
	v_or3_b32 v64, v11, v1, v12
.LBB359_52:                             ;   in Loop: Header=BB359_10 Depth=1
	s_or_b32 exec_lo, exec_lo, s33
.LBB359_53:                             ;   in Loop: Header=BB359_10 Depth=1
	s_or_b32 exec_lo, exec_lo, s31
.LBB359_54:                             ;   in Loop: Header=BB359_10 Depth=1
	s_or_b32 exec_lo, exec_lo, s2
	v_and_b32_sdwa v1, v10, v54 dst_sel:DWORD dst_unused:UNUSED_PAD src0_sel:WORD_1 src1_sel:DWORD
	s_mov_b32 s2, exec_lo
	v_cmpx_ne_u16_e32 0, v1
	s_cbranch_execz .LBB359_62
; %bb.55:                               ;   in Loop: Header=BB359_10 Depth=1
	v_bfrev_b32_e32 v63, 1
	s_mov_b32 s31, exec_lo
	v_cmpx_ne_u16_e32 0x80, v1
	s_cbranch_execz .LBB359_61
; %bb.56:                               ;   in Loop: Header=BB359_10 Depth=1
	v_bfe_u32 v12, v10, 16, 7
	v_mov_b32_e32 v63, 0x7f800001
	s_mov_b32 s33, exec_lo
	v_cmpx_ne_u32_e32 0x7f, v12
	s_cbranch_execz .LBB359_60
; %bb.57:                               ;   in Loop: Header=BB359_10 Depth=1
	v_and_b32_sdwa v1, v10, v55 dst_sel:DWORD dst_unused:UNUSED_PAD src0_sel:WORD_1 src1_sel:DWORD
	v_lshrrev_b32_e32 v11, 3, v12
	s_mov_b32 s34, exec_lo
	v_cmpx_gt_u32_e32 8, v12
; %bb.58:                               ;   in Loop: Header=BB359_10 Depth=1
	v_ffbh_u32_e32 v11, v1
	v_min_u32_e32 v11, 32, v11
	v_subrev_nc_u32_e32 v12, 28, v11
	v_sub_nc_u32_e32 v11, 29, v11
	v_lshlrev_b64 v[65:66], v12, v[1:2]
	v_and_b32_e32 v1, 7, v65
; %bb.59:                               ;   in Loop: Header=BB359_10 Depth=1
	s_or_b32 exec_lo, exec_lo, s34
	v_lshlrev_b32_sdwa v12, v56, v10 dst_sel:DWORD dst_unused:UNUSED_PAD src0_sel:DWORD src1_sel:WORD_1
	v_lshlrev_b32_e32 v1, 20, v1
	v_lshl_add_u32 v11, v11, 23, 0x3c000000
	v_and_b32_e32 v12, 0x80000000, v12
	v_or3_b32 v63, v1, v12, v11
.LBB359_60:                             ;   in Loop: Header=BB359_10 Depth=1
	s_or_b32 exec_lo, exec_lo, s33
.LBB359_61:                             ;   in Loop: Header=BB359_10 Depth=1
	s_or_b32 exec_lo, exec_lo, s31
.LBB359_62:                             ;   in Loop: Header=BB359_10 Depth=1
	s_or_b32 exec_lo, exec_lo, s2
	v_mov_b32_e32 v66, 0
	v_mov_b32_e32 v65, 0
	s_mov_b32 s2, exec_lo
	v_cmpx_lt_u64_e64 s[4:5], v[9:10]
	s_cbranch_execz .LBB359_70
; %bb.63:                               ;   in Loop: Header=BB359_10 Depth=1
	v_cmp_ne_u32_sdwa s1, v10, v52 src0_sel:BYTE_3 src1_sel:DWORD
	v_bfrev_b32_e32 v65, 1
	s_and_saveexec_b32 s31, s1
	s_cbranch_execz .LBB359_69
; %bb.64:                               ;   in Loop: Header=BB359_10 Depth=1
	v_bfe_u32 v11, v10, 24, 7
	v_mov_b32_e32 v65, 0x7f800001
	s_mov_b32 s33, exec_lo
	v_cmpx_ne_u32_e32 0x7f, v11
	s_cbranch_execz .LBB359_68
; %bb.65:                               ;   in Loop: Header=BB359_10 Depth=1
	v_and_b32_sdwa v1, v10, v55 dst_sel:DWORD dst_unused:UNUSED_PAD src0_sel:BYTE_3 src1_sel:DWORD
	v_lshrrev_b32_e32 v9, 3, v11
	s_mov_b32 s34, exec_lo
	v_cmpx_gt_u32_e32 8, v11
; %bb.66:                               ;   in Loop: Header=BB359_10 Depth=1
	v_ffbh_u32_e32 v9, v1
	v_min_u32_e32 v9, 32, v9
	v_subrev_nc_u32_e32 v11, 28, v9
	v_sub_nc_u32_e32 v9, 29, v9
	v_lshlrev_b64 v[11:12], v11, v[1:2]
	v_and_b32_e32 v1, 7, v11
; %bb.67:                               ;   in Loop: Header=BB359_10 Depth=1
	s_or_b32 exec_lo, exec_lo, s34
	v_lshlrev_b32_sdwa v10, v56, v10 dst_sel:DWORD dst_unused:UNUSED_PAD src0_sel:DWORD src1_sel:BYTE_3
	v_lshlrev_b32_e32 v1, 20, v1
	v_lshl_add_u32 v9, v9, 23, 0x3c000000
	v_and_b32_e32 v10, 0x80000000, v10
	v_or3_b32 v65, v1, v10, v9
.LBB359_68:                             ;   in Loop: Header=BB359_10 Depth=1
	s_or_b32 exec_lo, exec_lo, s33
.LBB359_69:                             ;   in Loop: Header=BB359_10 Depth=1
	s_or_b32 exec_lo, exec_lo, s31
.LBB359_70:                             ;   in Loop: Header=BB359_10 Depth=1
	s_or_b32 exec_lo, exec_lo, s2
	global_load_dwordx2 v[9:10], v[7:8], off offset:8
	s_waitcnt vmcnt(0)
	v_cmp_ne_u16_sdwa s1, v9, v2 src0_sel:BYTE_0 src1_sel:DWORD
	s_and_saveexec_b32 s2, s1
	s_cbranch_execz .LBB359_76
; %bb.71:                               ;   in Loop: Header=BB359_10 Depth=1
	v_cmp_ne_u16_sdwa s1, v9, v52 src0_sel:BYTE_0 src1_sel:DWORD
	v_bfrev_b32_e32 v66, 1
	s_and_saveexec_b32 s31, s1
	s_cbranch_execz .LBB359_75
; %bb.72:                               ;   in Loop: Header=BB359_10 Depth=1
	v_and_b32_e32 v1, 0x7f, v9
	v_mov_b32_e32 v66, 0x7f800001
	s_mov_b32 s33, exec_lo
	v_cmpx_ne_u32_e32 0x7f, v1
	s_cbranch_execz .LBB359_74
; %bb.73:                               ;   in Loop: Header=BB359_10 Depth=1
	v_and_b32_e32 v11, 7, v9
	v_lshrrev_b32_e32 v12, 3, v1
	v_cmp_gt_u32_e64 s1, 8, v1
	v_ffbh_u32_e32 v11, v11
	v_min_u32_e32 v11, 32, v11
	v_subrev_nc_u32_e32 v66, 28, v11
	v_sub_nc_u32_e32 v11, 29, v11
	v_cndmask_b32_e64 v1, v12, v11, s1
	v_cndmask_b32_e64 v11, 0, v66, s1
	v_lshl_add_u32 v1, v1, 23, 0x3c000000
	v_lshlrev_b64 v[11:12], v11, v[9:10]
	v_lshlrev_b32_e32 v12, 24, v9
	v_lshlrev_b32_e32 v11, 20, v11
	v_and_b32_e32 v12, 0x80000000, v12
	v_and_b32_e32 v11, 0x700000, v11
	v_or3_b32 v66, v11, v12, v1
.LBB359_74:                             ;   in Loop: Header=BB359_10 Depth=1
	s_or_b32 exec_lo, exec_lo, s33
.LBB359_75:                             ;   in Loop: Header=BB359_10 Depth=1
	s_or_b32 exec_lo, exec_lo, s31
.LBB359_76:                             ;   in Loop: Header=BB359_10 Depth=1
	s_or_b32 exec_lo, exec_lo, s2
	v_cmp_ne_u16_sdwa s1, v9, v2 src0_sel:BYTE_1 src1_sel:DWORD
	v_mov_b32_e32 v68, 0
	v_mov_b32_e32 v67, 0
	s_and_saveexec_b32 s2, s1
	s_cbranch_execz .LBB359_84
; %bb.77:                               ;   in Loop: Header=BB359_10 Depth=1
	v_cmp_ne_u16_sdwa s1, v9, v52 src0_sel:BYTE_1 src1_sel:DWORD
	v_bfrev_b32_e32 v67, 1
	s_and_saveexec_b32 s31, s1
	s_cbranch_execz .LBB359_83
; %bb.78:                               ;   in Loop: Header=BB359_10 Depth=1
	v_and_b32_sdwa v1, v53, v9 dst_sel:DWORD dst_unused:UNUSED_PAD src0_sel:DWORD src1_sel:BYTE_1
	v_mov_b32_e32 v67, 0x7f800001
	s_mov_b32 s33, exec_lo
	v_and_b32_e32 v12, 0x7f, v1
	v_cmpx_ne_u32_e32 0x7f, v12
	s_cbranch_execz .LBB359_82
; %bb.79:                               ;   in Loop: Header=BB359_10 Depth=1
	v_and_b32_e32 v1, 7, v1
	v_lshrrev_b32_e32 v11, 3, v12
	s_mov_b32 s34, exec_lo
	v_cmpx_gt_u32_e32 8, v12
; %bb.80:                               ;   in Loop: Header=BB359_10 Depth=1
	v_ffbh_u32_e32 v11, v1
	v_min_u32_e32 v11, 32, v11
	v_subrev_nc_u32_e32 v12, 28, v11
	v_sub_nc_u32_e32 v11, 29, v11
	v_lshlrev_b64 v[69:70], v12, v[1:2]
	v_and_b32_e32 v1, 7, v69
; %bb.81:                               ;   in Loop: Header=BB359_10 Depth=1
	s_or_b32 exec_lo, exec_lo, s34
	v_lshlrev_b32_e32 v12, 16, v9
	v_lshlrev_b32_e32 v1, 20, v1
	v_lshl_add_u32 v11, v11, 23, 0x3c000000
	v_and_b32_e32 v12, 0x80000000, v12
	v_or3_b32 v67, v1, v12, v11
.LBB359_82:                             ;   in Loop: Header=BB359_10 Depth=1
	s_or_b32 exec_lo, exec_lo, s33
.LBB359_83:                             ;   in Loop: Header=BB359_10 Depth=1
	s_or_b32 exec_lo, exec_lo, s31
.LBB359_84:                             ;   in Loop: Header=BB359_10 Depth=1
	s_or_b32 exec_lo, exec_lo, s2
	v_and_b32_sdwa v1, v9, v54 dst_sel:DWORD dst_unused:UNUSED_PAD src0_sel:WORD_1 src1_sel:DWORD
	s_mov_b32 s2, exec_lo
	v_cmpx_ne_u16_e32 0, v1
	s_cbranch_execz .LBB359_92
; %bb.85:                               ;   in Loop: Header=BB359_10 Depth=1
	v_bfrev_b32_e32 v68, 1
	s_mov_b32 s31, exec_lo
	v_cmpx_ne_u16_e32 0x80, v1
	s_cbranch_execz .LBB359_91
; %bb.86:                               ;   in Loop: Header=BB359_10 Depth=1
	v_bfe_u32 v12, v9, 16, 7
	v_mov_b32_e32 v68, 0x7f800001
	s_mov_b32 s33, exec_lo
	v_cmpx_ne_u32_e32 0x7f, v12
	s_cbranch_execz .LBB359_90
; %bb.87:                               ;   in Loop: Header=BB359_10 Depth=1
	v_and_b32_sdwa v1, v9, v55 dst_sel:DWORD dst_unused:UNUSED_PAD src0_sel:WORD_1 src1_sel:DWORD
	v_lshrrev_b32_e32 v11, 3, v12
	s_mov_b32 s34, exec_lo
	v_cmpx_gt_u32_e32 8, v12
; %bb.88:                               ;   in Loop: Header=BB359_10 Depth=1
	v_ffbh_u32_e32 v11, v1
	v_min_u32_e32 v11, 32, v11
	v_subrev_nc_u32_e32 v12, 28, v11
	v_sub_nc_u32_e32 v11, 29, v11
	v_lshlrev_b64 v[68:69], v12, v[1:2]
	v_and_b32_e32 v1, 7, v68
; %bb.89:                               ;   in Loop: Header=BB359_10 Depth=1
	s_or_b32 exec_lo, exec_lo, s34
	v_lshlrev_b32_sdwa v12, v56, v9 dst_sel:DWORD dst_unused:UNUSED_PAD src0_sel:DWORD src1_sel:WORD_1
	v_lshlrev_b32_e32 v1, 20, v1
	v_lshl_add_u32 v11, v11, 23, 0x3c000000
	v_and_b32_e32 v12, 0x80000000, v12
	v_or3_b32 v68, v1, v12, v11
.LBB359_90:                             ;   in Loop: Header=BB359_10 Depth=1
	s_or_b32 exec_lo, exec_lo, s33
.LBB359_91:                             ;   in Loop: Header=BB359_10 Depth=1
	s_or_b32 exec_lo, exec_lo, s31
.LBB359_92:                             ;   in Loop: Header=BB359_10 Depth=1
	s_or_b32 exec_lo, exec_lo, s2
	v_mov_b32_e32 v69, 0
	v_mov_b32_e32 v70, 0
	s_mov_b32 s2, exec_lo
	v_cmpx_lt_u32_e32 0xffffff, v9
	s_cbranch_execz .LBB359_100
; %bb.93:                               ;   in Loop: Header=BB359_10 Depth=1
	v_cmp_ne_u32_sdwa s1, v9, v52 src0_sel:BYTE_3 src1_sel:DWORD
	v_bfrev_b32_e32 v70, 1
	s_and_saveexec_b32 s31, s1
	s_cbranch_execz .LBB359_99
; %bb.94:                               ;   in Loop: Header=BB359_10 Depth=1
	v_bfe_u32 v12, v9, 24, 7
	v_mov_b32_e32 v70, 0x7f800001
	s_mov_b32 s33, exec_lo
	v_cmpx_ne_u32_e32 0x7f, v12
	s_cbranch_execz .LBB359_98
; %bb.95:                               ;   in Loop: Header=BB359_10 Depth=1
	v_and_b32_sdwa v1, v9, v55 dst_sel:DWORD dst_unused:UNUSED_PAD src0_sel:BYTE_3 src1_sel:DWORD
	v_lshrrev_b32_e32 v11, 3, v12
	s_mov_b32 s34, exec_lo
	v_cmpx_gt_u32_e32 8, v12
; %bb.96:                               ;   in Loop: Header=BB359_10 Depth=1
	v_ffbh_u32_e32 v11, v1
	v_min_u32_e32 v11, 32, v11
	v_subrev_nc_u32_e32 v12, 28, v11
	v_sub_nc_u32_e32 v11, 29, v11
	v_lshlrev_b64 v[70:71], v12, v[1:2]
	v_and_b32_e32 v1, 7, v70
; %bb.97:                               ;   in Loop: Header=BB359_10 Depth=1
	s_or_b32 exec_lo, exec_lo, s34
	v_lshlrev_b32_sdwa v12, v56, v9 dst_sel:DWORD dst_unused:UNUSED_PAD src0_sel:DWORD src1_sel:BYTE_3
	v_lshlrev_b32_e32 v1, 20, v1
	v_lshl_add_u32 v11, v11, 23, 0x3c000000
	v_and_b32_e32 v12, 0x80000000, v12
	v_or3_b32 v70, v1, v12, v11
.LBB359_98:                             ;   in Loop: Header=BB359_10 Depth=1
	s_or_b32 exec_lo, exec_lo, s33
.LBB359_99:                             ;   in Loop: Header=BB359_10 Depth=1
	s_or_b32 exec_lo, exec_lo, s31
.LBB359_100:                            ;   in Loop: Header=BB359_10 Depth=1
	s_or_b32 exec_lo, exec_lo, s2
	v_mov_b32_e32 v1, v10
	v_cmp_ne_u16_sdwa s1, v10, v2 src0_sel:BYTE_0 src1_sel:DWORD
	s_and_saveexec_b32 s2, s1
	s_cbranch_execz .LBB359_106
; %bb.101:                              ;   in Loop: Header=BB359_10 Depth=1
	v_cmp_ne_u16_sdwa s1, v10, v52 src0_sel:BYTE_0 src1_sel:DWORD
	v_bfrev_b32_e32 v69, 1
	s_and_saveexec_b32 s31, s1
	s_cbranch_execz .LBB359_105
; %bb.102:                              ;   in Loop: Header=BB359_10 Depth=1
	v_and_b32_e32 v11, 0x7f, v10
	v_mov_b32_e32 v69, 0x7f800001
	s_mov_b32 s33, exec_lo
	v_cmpx_ne_u32_e32 0x7f, v11
	s_cbranch_execz .LBB359_104
; %bb.103:                              ;   in Loop: Header=BB359_10 Depth=1
	v_and_b32_e32 v12, 7, v10
	v_cmp_gt_u32_e64 s1, 8, v11
	v_lshrrev_b32_e32 v69, 3, v11
	v_ffbh_u32_e32 v12, v12
	v_min_u32_e32 v12, 32, v12
	v_subrev_nc_u32_e32 v71, 28, v12
	v_sub_nc_u32_e32 v12, 29, v12
	v_cndmask_b32_e64 v11, 0, v71, s1
	v_cndmask_b32_e64 v69, v69, v12, s1
	v_lshlrev_b64 v[11:12], v11, v[1:2]
	v_lshlrev_b32_e32 v12, 24, v1
	v_lshl_add_u32 v69, v69, 23, 0x3c000000
	v_lshlrev_b32_e32 v11, 20, v11
	v_and_b32_e32 v12, 0x80000000, v12
	v_and_b32_e32 v11, 0x700000, v11
	v_or3_b32 v69, v11, v12, v69
.LBB359_104:                            ;   in Loop: Header=BB359_10 Depth=1
	s_or_b32 exec_lo, exec_lo, s33
.LBB359_105:                            ;   in Loop: Header=BB359_10 Depth=1
	s_or_b32 exec_lo, exec_lo, s31
.LBB359_106:                            ;   in Loop: Header=BB359_10 Depth=1
	s_or_b32 exec_lo, exec_lo, s2
	v_cmp_ne_u16_sdwa s1, v1, v2 src0_sel:BYTE_1 src1_sel:DWORD
	v_mov_b32_e32 v71, 0
	v_mov_b32_e32 v72, 0
	s_and_saveexec_b32 s2, s1
	s_cbranch_execz .LBB359_114
; %bb.107:                              ;   in Loop: Header=BB359_10 Depth=1
	v_cmp_ne_u16_sdwa s1, v1, v52 src0_sel:BYTE_1 src1_sel:DWORD
	v_bfrev_b32_e32 v72, 1
	s_and_saveexec_b32 s31, s1
	s_cbranch_execz .LBB359_113
; %bb.108:                              ;   in Loop: Header=BB359_10 Depth=1
	v_and_b32_sdwa v11, v53, v1 dst_sel:DWORD dst_unused:UNUSED_PAD src0_sel:DWORD src1_sel:BYTE_1
	v_mov_b32_e32 v72, 0x7f800001
	s_mov_b32 s33, exec_lo
	v_and_b32_e32 v73, 0x7f, v11
	v_cmpx_ne_u32_e32 0x7f, v73
	s_cbranch_execz .LBB359_112
; %bb.109:                              ;   in Loop: Header=BB359_10 Depth=1
	v_and_b32_e32 v11, 7, v11
	v_mov_b32_e32 v12, v2
	v_lshrrev_b32_e32 v72, 3, v73
	s_mov_b32 s34, exec_lo
	v_cmpx_gt_u32_e32 8, v73
; %bb.110:                              ;   in Loop: Header=BB359_10 Depth=1
	v_ffbh_u32_e32 v72, v11
	v_min_u32_e32 v72, 32, v72
	v_subrev_nc_u32_e32 v73, 28, v72
	v_sub_nc_u32_e32 v72, 29, v72
	v_lshlrev_b64 v[11:12], v73, v[11:12]
	v_and_b32_e32 v11, 7, v11
; %bb.111:                              ;   in Loop: Header=BB359_10 Depth=1
	s_or_b32 exec_lo, exec_lo, s34
	v_lshlrev_b32_e32 v1, 16, v1
	v_lshlrev_b32_e32 v11, 20, v11
	v_lshl_add_u32 v12, v72, 23, 0x3c000000
	v_and_b32_e32 v1, 0x80000000, v1
	v_or3_b32 v72, v11, v1, v12
.LBB359_112:                            ;   in Loop: Header=BB359_10 Depth=1
	s_or_b32 exec_lo, exec_lo, s33
.LBB359_113:                            ;   in Loop: Header=BB359_10 Depth=1
	s_or_b32 exec_lo, exec_lo, s31
.LBB359_114:                            ;   in Loop: Header=BB359_10 Depth=1
	s_or_b32 exec_lo, exec_lo, s2
	v_and_b32_sdwa v1, v10, v54 dst_sel:DWORD dst_unused:UNUSED_PAD src0_sel:WORD_1 src1_sel:DWORD
	s_mov_b32 s2, exec_lo
	v_cmpx_ne_u16_e32 0, v1
	s_cbranch_execz .LBB359_122
; %bb.115:                              ;   in Loop: Header=BB359_10 Depth=1
	v_bfrev_b32_e32 v71, 1
	s_mov_b32 s31, exec_lo
	v_cmpx_ne_u16_e32 0x80, v1
	s_cbranch_execz .LBB359_121
; %bb.116:                              ;   in Loop: Header=BB359_10 Depth=1
	v_bfe_u32 v12, v10, 16, 7
	v_mov_b32_e32 v71, 0x7f800001
	s_mov_b32 s33, exec_lo
	v_cmpx_ne_u32_e32 0x7f, v12
	s_cbranch_execz .LBB359_120
; %bb.117:                              ;   in Loop: Header=BB359_10 Depth=1
	v_and_b32_sdwa v1, v10, v55 dst_sel:DWORD dst_unused:UNUSED_PAD src0_sel:WORD_1 src1_sel:DWORD
	v_lshrrev_b32_e32 v11, 3, v12
	s_mov_b32 s34, exec_lo
	v_cmpx_gt_u32_e32 8, v12
; %bb.118:                              ;   in Loop: Header=BB359_10 Depth=1
	v_ffbh_u32_e32 v11, v1
	v_min_u32_e32 v11, 32, v11
	v_subrev_nc_u32_e32 v12, 28, v11
	v_sub_nc_u32_e32 v11, 29, v11
	v_lshlrev_b64 v[73:74], v12, v[1:2]
	v_and_b32_e32 v1, 7, v73
; %bb.119:                              ;   in Loop: Header=BB359_10 Depth=1
	s_or_b32 exec_lo, exec_lo, s34
	v_lshlrev_b32_sdwa v12, v56, v10 dst_sel:DWORD dst_unused:UNUSED_PAD src0_sel:DWORD src1_sel:WORD_1
	v_lshlrev_b32_e32 v1, 20, v1
	v_lshl_add_u32 v11, v11, 23, 0x3c000000
	v_and_b32_e32 v12, 0x80000000, v12
	v_or3_b32 v71, v1, v12, v11
.LBB359_120:                            ;   in Loop: Header=BB359_10 Depth=1
	s_or_b32 exec_lo, exec_lo, s33
.LBB359_121:                            ;   in Loop: Header=BB359_10 Depth=1
	s_or_b32 exec_lo, exec_lo, s31
.LBB359_122:                            ;   in Loop: Header=BB359_10 Depth=1
	s_or_b32 exec_lo, exec_lo, s2
	v_mov_b32_e32 v74, 0
	v_mov_b32_e32 v73, 0
	s_mov_b32 s2, exec_lo
	v_cmpx_lt_u64_e64 s[4:5], v[9:10]
	s_cbranch_execz .LBB359_130
; %bb.123:                              ;   in Loop: Header=BB359_10 Depth=1
	v_cmp_ne_u32_sdwa s1, v10, v52 src0_sel:BYTE_3 src1_sel:DWORD
	v_bfrev_b32_e32 v73, 1
	s_and_saveexec_b32 s31, s1
	s_cbranch_execz .LBB359_129
; %bb.124:                              ;   in Loop: Header=BB359_10 Depth=1
	v_bfe_u32 v11, v10, 24, 7
	v_mov_b32_e32 v73, 0x7f800001
	s_mov_b32 s33, exec_lo
	v_cmpx_ne_u32_e32 0x7f, v11
	s_cbranch_execz .LBB359_128
; %bb.125:                              ;   in Loop: Header=BB359_10 Depth=1
	v_and_b32_sdwa v1, v10, v55 dst_sel:DWORD dst_unused:UNUSED_PAD src0_sel:BYTE_3 src1_sel:DWORD
	v_lshrrev_b32_e32 v9, 3, v11
	s_mov_b32 s34, exec_lo
	v_cmpx_gt_u32_e32 8, v11
; %bb.126:                              ;   in Loop: Header=BB359_10 Depth=1
	v_ffbh_u32_e32 v9, v1
	v_min_u32_e32 v9, 32, v9
	v_subrev_nc_u32_e32 v11, 28, v9
	v_sub_nc_u32_e32 v9, 29, v9
	v_lshlrev_b64 v[11:12], v11, v[1:2]
	v_and_b32_e32 v1, 7, v11
; %bb.127:                              ;   in Loop: Header=BB359_10 Depth=1
	s_or_b32 exec_lo, exec_lo, s34
	v_lshlrev_b32_sdwa v10, v56, v10 dst_sel:DWORD dst_unused:UNUSED_PAD src0_sel:DWORD src1_sel:BYTE_3
	v_lshlrev_b32_e32 v1, 20, v1
	v_lshl_add_u32 v9, v9, 23, 0x3c000000
	v_and_b32_e32 v10, 0x80000000, v10
	v_or3_b32 v73, v1, v10, v9
.LBB359_128:                            ;   in Loop: Header=BB359_10 Depth=1
	s_or_b32 exec_lo, exec_lo, s33
.LBB359_129:                            ;   in Loop: Header=BB359_10 Depth=1
	s_or_b32 exec_lo, exec_lo, s31
.LBB359_130:                            ;   in Loop: Header=BB359_10 Depth=1
	s_or_b32 exec_lo, exec_lo, s2
	global_load_dwordx2 v[9:10], v[7:8], off offset:512
	s_waitcnt vmcnt(0)
	v_cmp_ne_u16_sdwa s1, v9, v2 src0_sel:BYTE_0 src1_sel:DWORD
	s_and_saveexec_b32 s2, s1
	s_cbranch_execz .LBB359_136
; %bb.131:                              ;   in Loop: Header=BB359_10 Depth=1
	v_cmp_ne_u16_sdwa s1, v9, v52 src0_sel:BYTE_0 src1_sel:DWORD
	v_bfrev_b32_e32 v74, 1
	s_and_saveexec_b32 s31, s1
	s_cbranch_execz .LBB359_135
; %bb.132:                              ;   in Loop: Header=BB359_10 Depth=1
	v_and_b32_e32 v1, 0x7f, v9
	v_mov_b32_e32 v74, 0x7f800001
	s_mov_b32 s33, exec_lo
	v_cmpx_ne_u32_e32 0x7f, v1
	s_cbranch_execz .LBB359_134
; %bb.133:                              ;   in Loop: Header=BB359_10 Depth=1
	v_and_b32_e32 v11, 7, v9
	v_lshrrev_b32_e32 v12, 3, v1
	v_cmp_gt_u32_e64 s1, 8, v1
	v_ffbh_u32_e32 v11, v11
	v_min_u32_e32 v11, 32, v11
	v_subrev_nc_u32_e32 v74, 28, v11
	v_sub_nc_u32_e32 v11, 29, v11
	v_cndmask_b32_e64 v1, v12, v11, s1
	v_cndmask_b32_e64 v11, 0, v74, s1
	v_lshl_add_u32 v1, v1, 23, 0x3c000000
	v_lshlrev_b64 v[11:12], v11, v[9:10]
	v_lshlrev_b32_e32 v12, 24, v9
	v_lshlrev_b32_e32 v11, 20, v11
	v_and_b32_e32 v12, 0x80000000, v12
	v_and_b32_e32 v11, 0x700000, v11
	v_or3_b32 v74, v11, v12, v1
.LBB359_134:                            ;   in Loop: Header=BB359_10 Depth=1
	s_or_b32 exec_lo, exec_lo, s33
.LBB359_135:                            ;   in Loop: Header=BB359_10 Depth=1
	s_or_b32 exec_lo, exec_lo, s31
.LBB359_136:                            ;   in Loop: Header=BB359_10 Depth=1
	s_or_b32 exec_lo, exec_lo, s2
	v_cmp_ne_u16_sdwa s1, v9, v2 src0_sel:BYTE_1 src1_sel:DWORD
	v_mov_b32_e32 v76, 0
	v_mov_b32_e32 v75, 0
	s_and_saveexec_b32 s2, s1
	s_cbranch_execz .LBB359_144
; %bb.137:                              ;   in Loop: Header=BB359_10 Depth=1
	v_cmp_ne_u16_sdwa s1, v9, v52 src0_sel:BYTE_1 src1_sel:DWORD
	v_bfrev_b32_e32 v75, 1
	s_and_saveexec_b32 s31, s1
	s_cbranch_execz .LBB359_143
; %bb.138:                              ;   in Loop: Header=BB359_10 Depth=1
	v_and_b32_sdwa v1, v53, v9 dst_sel:DWORD dst_unused:UNUSED_PAD src0_sel:DWORD src1_sel:BYTE_1
	v_mov_b32_e32 v75, 0x7f800001
	s_mov_b32 s33, exec_lo
	v_and_b32_e32 v12, 0x7f, v1
	v_cmpx_ne_u32_e32 0x7f, v12
	s_cbranch_execz .LBB359_142
; %bb.139:                              ;   in Loop: Header=BB359_10 Depth=1
	v_and_b32_e32 v1, 7, v1
	v_lshrrev_b32_e32 v11, 3, v12
	s_mov_b32 s34, exec_lo
	v_cmpx_gt_u32_e32 8, v12
; %bb.140:                              ;   in Loop: Header=BB359_10 Depth=1
	v_ffbh_u32_e32 v11, v1
	v_min_u32_e32 v11, 32, v11
	v_subrev_nc_u32_e32 v12, 28, v11
	v_sub_nc_u32_e32 v11, 29, v11
	v_lshlrev_b64 v[77:78], v12, v[1:2]
	v_and_b32_e32 v1, 7, v77
; %bb.141:                              ;   in Loop: Header=BB359_10 Depth=1
	s_or_b32 exec_lo, exec_lo, s34
	v_lshlrev_b32_e32 v12, 16, v9
	v_lshlrev_b32_e32 v1, 20, v1
	v_lshl_add_u32 v11, v11, 23, 0x3c000000
	v_and_b32_e32 v12, 0x80000000, v12
	v_or3_b32 v75, v1, v12, v11
.LBB359_142:                            ;   in Loop: Header=BB359_10 Depth=1
	s_or_b32 exec_lo, exec_lo, s33
.LBB359_143:                            ;   in Loop: Header=BB359_10 Depth=1
	s_or_b32 exec_lo, exec_lo, s31
.LBB359_144:                            ;   in Loop: Header=BB359_10 Depth=1
	s_or_b32 exec_lo, exec_lo, s2
	v_and_b32_sdwa v1, v9, v54 dst_sel:DWORD dst_unused:UNUSED_PAD src0_sel:WORD_1 src1_sel:DWORD
	s_mov_b32 s2, exec_lo
	v_cmpx_ne_u16_e32 0, v1
	s_cbranch_execz .LBB359_152
; %bb.145:                              ;   in Loop: Header=BB359_10 Depth=1
	v_bfrev_b32_e32 v76, 1
	s_mov_b32 s31, exec_lo
	v_cmpx_ne_u16_e32 0x80, v1
	s_cbranch_execz .LBB359_151
; %bb.146:                              ;   in Loop: Header=BB359_10 Depth=1
	v_bfe_u32 v12, v9, 16, 7
	v_mov_b32_e32 v76, 0x7f800001
	s_mov_b32 s33, exec_lo
	v_cmpx_ne_u32_e32 0x7f, v12
	s_cbranch_execz .LBB359_150
; %bb.147:                              ;   in Loop: Header=BB359_10 Depth=1
	v_and_b32_sdwa v1, v9, v55 dst_sel:DWORD dst_unused:UNUSED_PAD src0_sel:WORD_1 src1_sel:DWORD
	v_lshrrev_b32_e32 v11, 3, v12
	s_mov_b32 s34, exec_lo
	v_cmpx_gt_u32_e32 8, v12
; %bb.148:                              ;   in Loop: Header=BB359_10 Depth=1
	v_ffbh_u32_e32 v11, v1
	v_min_u32_e32 v11, 32, v11
	v_subrev_nc_u32_e32 v12, 28, v11
	v_sub_nc_u32_e32 v11, 29, v11
	v_lshlrev_b64 v[76:77], v12, v[1:2]
	v_and_b32_e32 v1, 7, v76
; %bb.149:                              ;   in Loop: Header=BB359_10 Depth=1
	s_or_b32 exec_lo, exec_lo, s34
	v_lshlrev_b32_sdwa v12, v56, v9 dst_sel:DWORD dst_unused:UNUSED_PAD src0_sel:DWORD src1_sel:WORD_1
	v_lshlrev_b32_e32 v1, 20, v1
	v_lshl_add_u32 v11, v11, 23, 0x3c000000
	v_and_b32_e32 v12, 0x80000000, v12
	v_or3_b32 v76, v1, v12, v11
.LBB359_150:                            ;   in Loop: Header=BB359_10 Depth=1
	s_or_b32 exec_lo, exec_lo, s33
.LBB359_151:                            ;   in Loop: Header=BB359_10 Depth=1
	s_or_b32 exec_lo, exec_lo, s31
.LBB359_152:                            ;   in Loop: Header=BB359_10 Depth=1
	s_or_b32 exec_lo, exec_lo, s2
	v_mov_b32_e32 v77, 0
	v_mov_b32_e32 v78, 0
	s_mov_b32 s2, exec_lo
	v_cmpx_lt_u32_e32 0xffffff, v9
	s_cbranch_execz .LBB359_160
; %bb.153:                              ;   in Loop: Header=BB359_10 Depth=1
	v_cmp_ne_u32_sdwa s1, v9, v52 src0_sel:BYTE_3 src1_sel:DWORD
	v_bfrev_b32_e32 v78, 1
	s_and_saveexec_b32 s31, s1
	s_cbranch_execz .LBB359_159
; %bb.154:                              ;   in Loop: Header=BB359_10 Depth=1
	v_bfe_u32 v12, v9, 24, 7
	v_mov_b32_e32 v78, 0x7f800001
	s_mov_b32 s33, exec_lo
	v_cmpx_ne_u32_e32 0x7f, v12
	s_cbranch_execz .LBB359_158
; %bb.155:                              ;   in Loop: Header=BB359_10 Depth=1
	v_and_b32_sdwa v1, v9, v55 dst_sel:DWORD dst_unused:UNUSED_PAD src0_sel:BYTE_3 src1_sel:DWORD
	v_lshrrev_b32_e32 v11, 3, v12
	s_mov_b32 s34, exec_lo
	v_cmpx_gt_u32_e32 8, v12
; %bb.156:                              ;   in Loop: Header=BB359_10 Depth=1
	v_ffbh_u32_e32 v11, v1
	v_min_u32_e32 v11, 32, v11
	v_subrev_nc_u32_e32 v12, 28, v11
	v_sub_nc_u32_e32 v11, 29, v11
	v_lshlrev_b64 v[78:79], v12, v[1:2]
	v_and_b32_e32 v1, 7, v78
; %bb.157:                              ;   in Loop: Header=BB359_10 Depth=1
	s_or_b32 exec_lo, exec_lo, s34
	v_lshlrev_b32_sdwa v12, v56, v9 dst_sel:DWORD dst_unused:UNUSED_PAD src0_sel:DWORD src1_sel:BYTE_3
	v_lshlrev_b32_e32 v1, 20, v1
	v_lshl_add_u32 v11, v11, 23, 0x3c000000
	v_and_b32_e32 v12, 0x80000000, v12
	v_or3_b32 v78, v1, v12, v11
.LBB359_158:                            ;   in Loop: Header=BB359_10 Depth=1
	s_or_b32 exec_lo, exec_lo, s33
.LBB359_159:                            ;   in Loop: Header=BB359_10 Depth=1
	s_or_b32 exec_lo, exec_lo, s31
.LBB359_160:                            ;   in Loop: Header=BB359_10 Depth=1
	s_or_b32 exec_lo, exec_lo, s2
	v_mov_b32_e32 v1, v10
	v_cmp_ne_u16_sdwa s1, v10, v2 src0_sel:BYTE_0 src1_sel:DWORD
	s_and_saveexec_b32 s2, s1
	s_cbranch_execz .LBB359_166
; %bb.161:                              ;   in Loop: Header=BB359_10 Depth=1
	v_cmp_ne_u16_sdwa s1, v10, v52 src0_sel:BYTE_0 src1_sel:DWORD
	v_bfrev_b32_e32 v77, 1
	s_and_saveexec_b32 s31, s1
	s_cbranch_execz .LBB359_165
; %bb.162:                              ;   in Loop: Header=BB359_10 Depth=1
	v_and_b32_e32 v11, 0x7f, v10
	v_mov_b32_e32 v77, 0x7f800001
	s_mov_b32 s33, exec_lo
	v_cmpx_ne_u32_e32 0x7f, v11
	s_cbranch_execz .LBB359_164
; %bb.163:                              ;   in Loop: Header=BB359_10 Depth=1
	v_and_b32_e32 v12, 7, v10
	v_cmp_gt_u32_e64 s1, 8, v11
	v_lshrrev_b32_e32 v77, 3, v11
	v_ffbh_u32_e32 v12, v12
	v_min_u32_e32 v12, 32, v12
	v_subrev_nc_u32_e32 v79, 28, v12
	v_sub_nc_u32_e32 v12, 29, v12
	v_cndmask_b32_e64 v11, 0, v79, s1
	v_cndmask_b32_e64 v77, v77, v12, s1
	v_lshlrev_b64 v[11:12], v11, v[1:2]
	v_lshlrev_b32_e32 v12, 24, v1
	v_lshl_add_u32 v77, v77, 23, 0x3c000000
	v_lshlrev_b32_e32 v11, 20, v11
	v_and_b32_e32 v12, 0x80000000, v12
	v_and_b32_e32 v11, 0x700000, v11
	v_or3_b32 v77, v11, v12, v77
.LBB359_164:                            ;   in Loop: Header=BB359_10 Depth=1
	s_or_b32 exec_lo, exec_lo, s33
.LBB359_165:                            ;   in Loop: Header=BB359_10 Depth=1
	s_or_b32 exec_lo, exec_lo, s31
.LBB359_166:                            ;   in Loop: Header=BB359_10 Depth=1
	s_or_b32 exec_lo, exec_lo, s2
	v_cmp_ne_u16_sdwa s1, v1, v2 src0_sel:BYTE_1 src1_sel:DWORD
	v_mov_b32_e32 v79, 0
	v_mov_b32_e32 v80, 0
	s_and_saveexec_b32 s2, s1
	s_cbranch_execz .LBB359_174
; %bb.167:                              ;   in Loop: Header=BB359_10 Depth=1
	v_cmp_ne_u16_sdwa s1, v1, v52 src0_sel:BYTE_1 src1_sel:DWORD
	v_bfrev_b32_e32 v80, 1
	s_and_saveexec_b32 s31, s1
	s_cbranch_execz .LBB359_173
; %bb.168:                              ;   in Loop: Header=BB359_10 Depth=1
	v_and_b32_sdwa v11, v53, v1 dst_sel:DWORD dst_unused:UNUSED_PAD src0_sel:DWORD src1_sel:BYTE_1
	v_mov_b32_e32 v80, 0x7f800001
	s_mov_b32 s33, exec_lo
	v_and_b32_e32 v81, 0x7f, v11
	v_cmpx_ne_u32_e32 0x7f, v81
	s_cbranch_execz .LBB359_172
; %bb.169:                              ;   in Loop: Header=BB359_10 Depth=1
	v_and_b32_e32 v11, 7, v11
	v_mov_b32_e32 v12, v2
	v_lshrrev_b32_e32 v80, 3, v81
	s_mov_b32 s34, exec_lo
	v_cmpx_gt_u32_e32 8, v81
; %bb.170:                              ;   in Loop: Header=BB359_10 Depth=1
	v_ffbh_u32_e32 v80, v11
	v_min_u32_e32 v80, 32, v80
	v_subrev_nc_u32_e32 v81, 28, v80
	v_sub_nc_u32_e32 v80, 29, v80
	v_lshlrev_b64 v[11:12], v81, v[11:12]
	v_and_b32_e32 v11, 7, v11
; %bb.171:                              ;   in Loop: Header=BB359_10 Depth=1
	s_or_b32 exec_lo, exec_lo, s34
	v_lshlrev_b32_e32 v1, 16, v1
	v_lshlrev_b32_e32 v11, 20, v11
	v_lshl_add_u32 v12, v80, 23, 0x3c000000
	v_and_b32_e32 v1, 0x80000000, v1
	v_or3_b32 v80, v11, v1, v12
.LBB359_172:                            ;   in Loop: Header=BB359_10 Depth=1
	s_or_b32 exec_lo, exec_lo, s33
.LBB359_173:                            ;   in Loop: Header=BB359_10 Depth=1
	s_or_b32 exec_lo, exec_lo, s31
.LBB359_174:                            ;   in Loop: Header=BB359_10 Depth=1
	s_or_b32 exec_lo, exec_lo, s2
	v_and_b32_sdwa v1, v10, v54 dst_sel:DWORD dst_unused:UNUSED_PAD src0_sel:WORD_1 src1_sel:DWORD
	s_mov_b32 s2, exec_lo
	v_cmpx_ne_u16_e32 0, v1
	s_cbranch_execz .LBB359_182
; %bb.175:                              ;   in Loop: Header=BB359_10 Depth=1
	v_bfrev_b32_e32 v79, 1
	s_mov_b32 s31, exec_lo
	v_cmpx_ne_u16_e32 0x80, v1
	s_cbranch_execz .LBB359_181
; %bb.176:                              ;   in Loop: Header=BB359_10 Depth=1
	v_bfe_u32 v12, v10, 16, 7
	v_mov_b32_e32 v79, 0x7f800001
	s_mov_b32 s33, exec_lo
	v_cmpx_ne_u32_e32 0x7f, v12
	s_cbranch_execz .LBB359_180
; %bb.177:                              ;   in Loop: Header=BB359_10 Depth=1
	v_and_b32_sdwa v1, v10, v55 dst_sel:DWORD dst_unused:UNUSED_PAD src0_sel:WORD_1 src1_sel:DWORD
	v_lshrrev_b32_e32 v11, 3, v12
	s_mov_b32 s34, exec_lo
	v_cmpx_gt_u32_e32 8, v12
; %bb.178:                              ;   in Loop: Header=BB359_10 Depth=1
	v_ffbh_u32_e32 v11, v1
	v_min_u32_e32 v11, 32, v11
	v_subrev_nc_u32_e32 v12, 28, v11
	v_sub_nc_u32_e32 v11, 29, v11
	v_lshlrev_b64 v[81:82], v12, v[1:2]
	v_and_b32_e32 v1, 7, v81
; %bb.179:                              ;   in Loop: Header=BB359_10 Depth=1
	s_or_b32 exec_lo, exec_lo, s34
	v_lshlrev_b32_sdwa v12, v56, v10 dst_sel:DWORD dst_unused:UNUSED_PAD src0_sel:DWORD src1_sel:WORD_1
	v_lshlrev_b32_e32 v1, 20, v1
	v_lshl_add_u32 v11, v11, 23, 0x3c000000
	v_and_b32_e32 v12, 0x80000000, v12
	v_or3_b32 v79, v1, v12, v11
.LBB359_180:                            ;   in Loop: Header=BB359_10 Depth=1
	s_or_b32 exec_lo, exec_lo, s33
.LBB359_181:                            ;   in Loop: Header=BB359_10 Depth=1
	s_or_b32 exec_lo, exec_lo, s31
.LBB359_182:                            ;   in Loop: Header=BB359_10 Depth=1
	s_or_b32 exec_lo, exec_lo, s2
	v_mov_b32_e32 v11, 0
	v_mov_b32_e32 v82, 0
	s_mov_b32 s2, exec_lo
	v_cmpx_lt_u64_e64 s[4:5], v[9:10]
	s_cbranch_execz .LBB359_190
; %bb.183:                              ;   in Loop: Header=BB359_10 Depth=1
	v_cmp_ne_u32_sdwa s1, v10, v52 src0_sel:BYTE_3 src1_sel:DWORD
	v_bfrev_b32_e32 v82, 1
	s_and_saveexec_b32 s31, s1
	s_cbranch_execz .LBB359_189
; %bb.184:                              ;   in Loop: Header=BB359_10 Depth=1
	v_bfe_u32 v12, v10, 24, 7
	v_mov_b32_e32 v82, 0x7f800001
	s_mov_b32 s33, exec_lo
	v_cmpx_ne_u32_e32 0x7f, v12
	s_cbranch_execz .LBB359_188
; %bb.185:                              ;   in Loop: Header=BB359_10 Depth=1
	v_and_b32_sdwa v1, v10, v55 dst_sel:DWORD dst_unused:UNUSED_PAD src0_sel:BYTE_3 src1_sel:DWORD
	v_lshrrev_b32_e32 v9, 3, v12
	s_mov_b32 s34, exec_lo
	v_cmpx_gt_u32_e32 8, v12
; %bb.186:                              ;   in Loop: Header=BB359_10 Depth=1
	v_ffbh_u32_e32 v9, v1
	v_min_u32_e32 v9, 32, v9
	v_subrev_nc_u32_e32 v12, 28, v9
	v_sub_nc_u32_e32 v9, 29, v9
	v_lshlrev_b64 v[81:82], v12, v[1:2]
	v_and_b32_e32 v1, 7, v81
; %bb.187:                              ;   in Loop: Header=BB359_10 Depth=1
	s_or_b32 exec_lo, exec_lo, s34
	v_lshlrev_b32_sdwa v10, v56, v10 dst_sel:DWORD dst_unused:UNUSED_PAD src0_sel:DWORD src1_sel:BYTE_3
	v_lshlrev_b32_e32 v1, 20, v1
	v_lshl_add_u32 v9, v9, 23, 0x3c000000
	v_and_b32_e32 v10, 0x80000000, v10
	v_or3_b32 v82, v1, v10, v9
.LBB359_188:                            ;   in Loop: Header=BB359_10 Depth=1
	s_or_b32 exec_lo, exec_lo, s33
.LBB359_189:                            ;   in Loop: Header=BB359_10 Depth=1
	s_or_b32 exec_lo, exec_lo, s31
.LBB359_190:                            ;   in Loop: Header=BB359_10 Depth=1
	s_or_b32 exec_lo, exec_lo, s2
	global_load_dwordx2 v[7:8], v[7:8], off offset:520
	s_waitcnt vmcnt(0)
	v_cmp_ne_u16_sdwa s1, v7, v2 src0_sel:BYTE_0 src1_sel:DWORD
	s_and_saveexec_b32 s2, s1
	s_cbranch_execz .LBB359_196
; %bb.191:                              ;   in Loop: Header=BB359_10 Depth=1
	v_cmp_ne_u16_sdwa s1, v7, v52 src0_sel:BYTE_0 src1_sel:DWORD
	v_bfrev_b32_e32 v11, 1
	s_and_saveexec_b32 s31, s1
	s_cbranch_execz .LBB359_195
; %bb.192:                              ;   in Loop: Header=BB359_10 Depth=1
	v_and_b32_e32 v1, 0x7f, v7
	v_mov_b32_e32 v11, 0x7f800001
	s_mov_b32 s33, exec_lo
	v_cmpx_ne_u32_e32 0x7f, v1
	s_cbranch_execz .LBB359_194
; %bb.193:                              ;   in Loop: Header=BB359_10 Depth=1
	v_and_b32_e32 v9, 7, v7
	v_lshrrev_b32_e32 v10, 3, v1
	v_cmp_gt_u32_e64 s1, 8, v1
	v_ffbh_u32_e32 v9, v9
	v_min_u32_e32 v9, 32, v9
	v_subrev_nc_u32_e32 v11, 28, v9
	v_sub_nc_u32_e32 v9, 29, v9
	v_cndmask_b32_e64 v1, v10, v9, s1
	v_cndmask_b32_e64 v9, 0, v11, s1
	v_lshl_add_u32 v1, v1, 23, 0x3c000000
	v_lshlrev_b64 v[9:10], v9, v[7:8]
	v_lshlrev_b32_e32 v10, 24, v7
	v_lshlrev_b32_e32 v9, 20, v9
	v_and_b32_e32 v10, 0x80000000, v10
	v_and_b32_e32 v9, 0x700000, v9
	v_or3_b32 v11, v9, v10, v1
.LBB359_194:                            ;   in Loop: Header=BB359_10 Depth=1
	s_or_b32 exec_lo, exec_lo, s33
.LBB359_195:                            ;   in Loop: Header=BB359_10 Depth=1
	s_or_b32 exec_lo, exec_lo, s31
.LBB359_196:                            ;   in Loop: Header=BB359_10 Depth=1
	s_or_b32 exec_lo, exec_lo, s2
	v_cmp_ne_u16_sdwa s1, v7, v2 src0_sel:BYTE_1 src1_sel:DWORD
	v_mov_b32_e32 v81, 0
	v_mov_b32_e32 v12, 0
	s_and_saveexec_b32 s2, s1
	s_cbranch_execz .LBB359_204
; %bb.197:                              ;   in Loop: Header=BB359_10 Depth=1
	v_cmp_ne_u16_sdwa s1, v7, v52 src0_sel:BYTE_1 src1_sel:DWORD
	v_bfrev_b32_e32 v12, 1
	s_and_saveexec_b32 s31, s1
	s_cbranch_execz .LBB359_203
; %bb.198:                              ;   in Loop: Header=BB359_10 Depth=1
	v_and_b32_sdwa v1, v53, v7 dst_sel:DWORD dst_unused:UNUSED_PAD src0_sel:DWORD src1_sel:BYTE_1
	v_mov_b32_e32 v12, 0x7f800001
	s_mov_b32 s33, exec_lo
	v_and_b32_e32 v10, 0x7f, v1
	v_cmpx_ne_u32_e32 0x7f, v10
	s_cbranch_execz .LBB359_202
; %bb.199:                              ;   in Loop: Header=BB359_10 Depth=1
	v_and_b32_e32 v1, 7, v1
	v_lshrrev_b32_e32 v9, 3, v10
	s_mov_b32 s34, exec_lo
	v_cmpx_gt_u32_e32 8, v10
; %bb.200:                              ;   in Loop: Header=BB359_10 Depth=1
	v_ffbh_u32_e32 v9, v1
	v_min_u32_e32 v9, 32, v9
	v_subrev_nc_u32_e32 v10, 28, v9
	v_sub_nc_u32_e32 v9, 29, v9
	v_lshlrev_b64 v[83:84], v10, v[1:2]
	v_and_b32_e32 v1, 7, v83
; %bb.201:                              ;   in Loop: Header=BB359_10 Depth=1
	s_or_b32 exec_lo, exec_lo, s34
	v_lshlrev_b32_e32 v10, 16, v7
	v_lshlrev_b32_e32 v1, 20, v1
	v_lshl_add_u32 v9, v9, 23, 0x3c000000
	v_and_b32_e32 v10, 0x80000000, v10
	v_or3_b32 v12, v1, v10, v9
.LBB359_202:                            ;   in Loop: Header=BB359_10 Depth=1
	s_or_b32 exec_lo, exec_lo, s33
.LBB359_203:                            ;   in Loop: Header=BB359_10 Depth=1
	s_or_b32 exec_lo, exec_lo, s31
.LBB359_204:                            ;   in Loop: Header=BB359_10 Depth=1
	s_or_b32 exec_lo, exec_lo, s2
	v_and_b32_sdwa v1, v7, v54 dst_sel:DWORD dst_unused:UNUSED_PAD src0_sel:WORD_1 src1_sel:DWORD
	s_mov_b32 s2, exec_lo
	v_cmpx_ne_u16_e32 0, v1
	s_cbranch_execz .LBB359_212
; %bb.205:                              ;   in Loop: Header=BB359_10 Depth=1
	v_bfrev_b32_e32 v81, 1
	s_mov_b32 s31, exec_lo
	v_cmpx_ne_u16_e32 0x80, v1
	s_cbranch_execz .LBB359_211
; %bb.206:                              ;   in Loop: Header=BB359_10 Depth=1
	v_bfe_u32 v10, v7, 16, 7
	v_mov_b32_e32 v81, 0x7f800001
	s_mov_b32 s33, exec_lo
	v_cmpx_ne_u32_e32 0x7f, v10
	s_cbranch_execz .LBB359_210
; %bb.207:                              ;   in Loop: Header=BB359_10 Depth=1
	v_and_b32_sdwa v1, v7, v55 dst_sel:DWORD dst_unused:UNUSED_PAD src0_sel:WORD_1 src1_sel:DWORD
	v_lshrrev_b32_e32 v9, 3, v10
	s_mov_b32 s34, exec_lo
	v_cmpx_gt_u32_e32 8, v10
; %bb.208:                              ;   in Loop: Header=BB359_10 Depth=1
	v_ffbh_u32_e32 v9, v1
	v_min_u32_e32 v9, 32, v9
	v_subrev_nc_u32_e32 v10, 28, v9
	v_sub_nc_u32_e32 v9, 29, v9
	v_lshlrev_b64 v[83:84], v10, v[1:2]
	v_and_b32_e32 v1, 7, v83
; %bb.209:                              ;   in Loop: Header=BB359_10 Depth=1
	s_or_b32 exec_lo, exec_lo, s34
	v_lshlrev_b32_sdwa v10, v56, v7 dst_sel:DWORD dst_unused:UNUSED_PAD src0_sel:DWORD src1_sel:WORD_1
	v_lshlrev_b32_e32 v1, 20, v1
	v_lshl_add_u32 v9, v9, 23, 0x3c000000
	v_and_b32_e32 v10, 0x80000000, v10
	v_or3_b32 v81, v1, v10, v9
.LBB359_210:                            ;   in Loop: Header=BB359_10 Depth=1
	s_or_b32 exec_lo, exec_lo, s33
.LBB359_211:                            ;   in Loop: Header=BB359_10 Depth=1
	s_or_b32 exec_lo, exec_lo, s31
.LBB359_212:                            ;   in Loop: Header=BB359_10 Depth=1
	s_or_b32 exec_lo, exec_lo, s2
	v_mov_b32_e32 v83, 0
	v_mov_b32_e32 v84, 0
	s_mov_b32 s2, exec_lo
	v_cmpx_lt_u32_e32 0xffffff, v7
	s_cbranch_execz .LBB359_220
; %bb.213:                              ;   in Loop: Header=BB359_10 Depth=1
	v_cmp_ne_u32_sdwa s1, v7, v52 src0_sel:BYTE_3 src1_sel:DWORD
	v_bfrev_b32_e32 v84, 1
	s_and_saveexec_b32 s31, s1
	s_cbranch_execz .LBB359_219
; %bb.214:                              ;   in Loop: Header=BB359_10 Depth=1
	v_bfe_u32 v10, v7, 24, 7
	v_mov_b32_e32 v84, 0x7f800001
	s_mov_b32 s33, exec_lo
	v_cmpx_ne_u32_e32 0x7f, v10
	s_cbranch_execz .LBB359_218
; %bb.215:                              ;   in Loop: Header=BB359_10 Depth=1
	v_and_b32_sdwa v1, v7, v55 dst_sel:DWORD dst_unused:UNUSED_PAD src0_sel:BYTE_3 src1_sel:DWORD
	v_lshrrev_b32_e32 v9, 3, v10
	s_mov_b32 s34, exec_lo
	v_cmpx_gt_u32_e32 8, v10
; %bb.216:                              ;   in Loop: Header=BB359_10 Depth=1
	v_ffbh_u32_e32 v9, v1
	v_min_u32_e32 v9, 32, v9
	v_subrev_nc_u32_e32 v10, 28, v9
	v_sub_nc_u32_e32 v9, 29, v9
	v_lshlrev_b64 v[84:85], v10, v[1:2]
	v_and_b32_e32 v1, 7, v84
; %bb.217:                              ;   in Loop: Header=BB359_10 Depth=1
	s_or_b32 exec_lo, exec_lo, s34
	v_lshlrev_b32_sdwa v10, v56, v7 dst_sel:DWORD dst_unused:UNUSED_PAD src0_sel:DWORD src1_sel:BYTE_3
	v_lshlrev_b32_e32 v1, 20, v1
	v_lshl_add_u32 v9, v9, 23, 0x3c000000
	v_and_b32_e32 v10, 0x80000000, v10
	v_or3_b32 v84, v1, v10, v9
.LBB359_218:                            ;   in Loop: Header=BB359_10 Depth=1
	s_or_b32 exec_lo, exec_lo, s33
.LBB359_219:                            ;   in Loop: Header=BB359_10 Depth=1
	s_or_b32 exec_lo, exec_lo, s31
.LBB359_220:                            ;   in Loop: Header=BB359_10 Depth=1
	s_or_b32 exec_lo, exec_lo, s2
	v_mov_b32_e32 v1, v8
	v_cmp_ne_u16_sdwa s1, v8, v2 src0_sel:BYTE_0 src1_sel:DWORD
	s_and_saveexec_b32 s2, s1
	s_cbranch_execz .LBB359_226
; %bb.221:                              ;   in Loop: Header=BB359_10 Depth=1
	v_cmp_ne_u16_sdwa s1, v8, v52 src0_sel:BYTE_0 src1_sel:DWORD
	v_bfrev_b32_e32 v83, 1
	s_and_saveexec_b32 s31, s1
	s_cbranch_execz .LBB359_225
; %bb.222:                              ;   in Loop: Header=BB359_10 Depth=1
	v_and_b32_e32 v9, 0x7f, v8
	v_mov_b32_e32 v83, 0x7f800001
	s_mov_b32 s33, exec_lo
	v_cmpx_ne_u32_e32 0x7f, v9
	s_cbranch_execz .LBB359_224
; %bb.223:                              ;   in Loop: Header=BB359_10 Depth=1
	v_and_b32_e32 v10, 7, v8
	v_cmp_gt_u32_e64 s1, 8, v9
	v_lshrrev_b32_e32 v83, 3, v9
	v_ffbh_u32_e32 v10, v10
	v_min_u32_e32 v10, 32, v10
	v_subrev_nc_u32_e32 v85, 28, v10
	v_sub_nc_u32_e32 v10, 29, v10
	v_cndmask_b32_e64 v9, 0, v85, s1
	v_cndmask_b32_e64 v83, v83, v10, s1
	v_lshlrev_b64 v[9:10], v9, v[1:2]
	v_lshlrev_b32_e32 v10, 24, v1
	v_lshl_add_u32 v83, v83, 23, 0x3c000000
	v_lshlrev_b32_e32 v9, 20, v9
	v_and_b32_e32 v10, 0x80000000, v10
	v_and_b32_e32 v9, 0x700000, v9
	v_or3_b32 v83, v9, v10, v83
.LBB359_224:                            ;   in Loop: Header=BB359_10 Depth=1
	s_or_b32 exec_lo, exec_lo, s33
.LBB359_225:                            ;   in Loop: Header=BB359_10 Depth=1
	s_or_b32 exec_lo, exec_lo, s31
.LBB359_226:                            ;   in Loop: Header=BB359_10 Depth=1
	s_or_b32 exec_lo, exec_lo, s2
	v_cmp_ne_u16_sdwa s1, v1, v2 src0_sel:BYTE_1 src1_sel:DWORD
	v_mov_b32_e32 v85, 0
	v_mov_b32_e32 v9, 0
	s_and_saveexec_b32 s2, s1
	s_cbranch_execz .LBB359_234
; %bb.227:                              ;   in Loop: Header=BB359_10 Depth=1
	v_cmp_ne_u16_sdwa s1, v1, v52 src0_sel:BYTE_1 src1_sel:DWORD
	v_bfrev_b32_e32 v9, 1
	s_and_saveexec_b32 s31, s1
	s_cbranch_execz .LBB359_233
; %bb.228:                              ;   in Loop: Header=BB359_10 Depth=1
	v_and_b32_sdwa v10, v53, v1 dst_sel:DWORD dst_unused:UNUSED_PAD src0_sel:DWORD src1_sel:BYTE_1
	v_mov_b32_e32 v9, 0x7f800001
	s_mov_b32 s33, exec_lo
	v_and_b32_e32 v87, 0x7f, v10
	v_cmpx_ne_u32_e32 0x7f, v87
	s_cbranch_execz .LBB359_232
; %bb.229:                              ;   in Loop: Header=BB359_10 Depth=1
	v_and_b32_e32 v9, 7, v10
	v_mov_b32_e32 v10, v2
	v_lshrrev_b32_e32 v86, 3, v87
	s_mov_b32 s34, exec_lo
	v_cmpx_gt_u32_e32 8, v87
; %bb.230:                              ;   in Loop: Header=BB359_10 Depth=1
	v_ffbh_u32_e32 v86, v9
	v_min_u32_e32 v86, 32, v86
	v_subrev_nc_u32_e32 v87, 28, v86
	v_sub_nc_u32_e32 v86, 29, v86
	v_lshlrev_b64 v[9:10], v87, v[9:10]
	v_and_b32_e32 v9, 7, v9
; %bb.231:                              ;   in Loop: Header=BB359_10 Depth=1
	s_or_b32 exec_lo, exec_lo, s34
	v_lshlrev_b32_e32 v1, 16, v1
	v_lshlrev_b32_e32 v9, 20, v9
	v_lshl_add_u32 v10, v86, 23, 0x3c000000
	v_and_b32_e32 v1, 0x80000000, v1
	v_or3_b32 v9, v9, v1, v10
.LBB359_232:                            ;   in Loop: Header=BB359_10 Depth=1
	s_or_b32 exec_lo, exec_lo, s33
.LBB359_233:                            ;   in Loop: Header=BB359_10 Depth=1
	s_or_b32 exec_lo, exec_lo, s31
.LBB359_234:                            ;   in Loop: Header=BB359_10 Depth=1
	s_or_b32 exec_lo, exec_lo, s2
	v_and_b32_sdwa v1, v8, v54 dst_sel:DWORD dst_unused:UNUSED_PAD src0_sel:WORD_1 src1_sel:DWORD
	s_mov_b32 s2, exec_lo
	v_cmpx_ne_u16_e32 0, v1
	s_cbranch_execz .LBB359_242
; %bb.235:                              ;   in Loop: Header=BB359_10 Depth=1
	v_bfrev_b32_e32 v85, 1
	s_mov_b32 s31, exec_lo
	v_cmpx_ne_u16_e32 0x80, v1
	s_cbranch_execz .LBB359_241
; %bb.236:                              ;   in Loop: Header=BB359_10 Depth=1
	v_bfe_u32 v86, v8, 16, 7
	v_mov_b32_e32 v85, 0x7f800001
	s_mov_b32 s33, exec_lo
	v_cmpx_ne_u32_e32 0x7f, v86
	s_cbranch_execz .LBB359_240
; %bb.237:                              ;   in Loop: Header=BB359_10 Depth=1
	v_and_b32_sdwa v1, v8, v55 dst_sel:DWORD dst_unused:UNUSED_PAD src0_sel:WORD_1 src1_sel:DWORD
	v_lshrrev_b32_e32 v10, 3, v86
	s_mov_b32 s34, exec_lo
	v_cmpx_gt_u32_e32 8, v86
; %bb.238:                              ;   in Loop: Header=BB359_10 Depth=1
	v_ffbh_u32_e32 v10, v1
	v_min_u32_e32 v10, 32, v10
	v_subrev_nc_u32_e32 v85, 28, v10
	v_sub_nc_u32_e32 v10, 29, v10
	v_lshlrev_b64 v[85:86], v85, v[1:2]
	v_and_b32_e32 v1, 7, v85
; %bb.239:                              ;   in Loop: Header=BB359_10 Depth=1
	s_or_b32 exec_lo, exec_lo, s34
	v_lshlrev_b32_sdwa v85, v56, v8 dst_sel:DWORD dst_unused:UNUSED_PAD src0_sel:DWORD src1_sel:WORD_1
	v_lshlrev_b32_e32 v1, 20, v1
	v_lshl_add_u32 v10, v10, 23, 0x3c000000
	v_and_b32_e32 v85, 0x80000000, v85
	v_or3_b32 v85, v1, v85, v10
.LBB359_240:                            ;   in Loop: Header=BB359_10 Depth=1
	s_or_b32 exec_lo, exec_lo, s33
.LBB359_241:                            ;   in Loop: Header=BB359_10 Depth=1
	s_or_b32 exec_lo, exec_lo, s31
.LBB359_242:                            ;   in Loop: Header=BB359_10 Depth=1
	s_or_b32 exec_lo, exec_lo, s2
	v_mov_b32_e32 v86, 0
	s_mov_b32 s2, exec_lo
	v_cmpx_lt_u64_e64 s[4:5], v[7:8]
	s_cbranch_execz .LBB359_9
; %bb.243:                              ;   in Loop: Header=BB359_10 Depth=1
	v_cmp_ne_u32_sdwa s1, v8, v52 src0_sel:BYTE_3 src1_sel:DWORD
	v_bfrev_b32_e32 v86, 1
	s_and_saveexec_b32 s31, s1
	s_cbranch_execz .LBB359_8
; %bb.244:                              ;   in Loop: Header=BB359_10 Depth=1
	v_bfe_u32 v10, v8, 24, 7
	v_mov_b32_e32 v86, 0x7f800001
	s_mov_b32 s33, exec_lo
	v_cmpx_ne_u32_e32 0x7f, v10
	s_cbranch_execz .LBB359_7
; %bb.245:                              ;   in Loop: Header=BB359_10 Depth=1
	v_and_b32_sdwa v1, v8, v55 dst_sel:DWORD dst_unused:UNUSED_PAD src0_sel:BYTE_3 src1_sel:DWORD
	v_lshrrev_b32_e32 v7, 3, v10
	s_mov_b32 s34, exec_lo
	v_cmpx_gt_u32_e32 8, v10
	s_cbranch_execz .LBB359_6
; %bb.246:                              ;   in Loop: Header=BB359_10 Depth=1
	v_ffbh_u32_e32 v7, v1
	v_min_u32_e32 v7, 32, v7
	v_subrev_nc_u32_e32 v10, 28, v7
	v_sub_nc_u32_e32 v7, 29, v7
	v_lshlrev_b64 v[86:87], v10, v[1:2]
	v_and_b32_e32 v1, 7, v86
	s_branch .LBB359_6
.LBB359_247:
	s_or_b32 exec_lo, exec_lo, s30
.LBB359_248:
	s_or_b32 exec_lo, exec_lo, s15
	v_mbcnt_lo_u32_b32 v2, -1, 0
	v_max_f32_e32 v5, v34, v34
	v_xor_b32_e32 v1, 16, v2
	v_xor_b32_e32 v4, 8, v2
	v_cmp_gt_i32_e32 vcc_lo, 32, v1
	v_cndmask_b32_e32 v1, v2, v1, vcc_lo
	v_cmp_gt_i32_e32 vcc_lo, 32, v4
	v_lshlrev_b32_e32 v1, 2, v1
	v_cndmask_b32_e32 v4, v2, v4, vcc_lo
	ds_bpermute_b32 v3, v1, v34
	s_waitcnt lgkmcnt(0)
	v_max_f32_e32 v6, v3, v3
	v_lshlrev_b32_e32 v3, 2, v4
	v_max_f32_e32 v5, v5, v6
	v_xor_b32_e32 v6, 4, v2
	ds_bpermute_b32 v4, v3, v5
	v_cmp_gt_i32_e32 vcc_lo, 32, v6
	v_cndmask_b32_e32 v6, v2, v6, vcc_lo
	s_waitcnt lgkmcnt(0)
	v_max_f32_e32 v7, v4, v4
	v_lshlrev_b32_e32 v4, 2, v6
	v_max_f32_e32 v5, v5, v7
	v_xor_b32_e32 v7, 2, v2
	ds_bpermute_b32 v6, v4, v5
	v_cmp_gt_i32_e32 vcc_lo, 32, v7
	v_cndmask_b32_e32 v7, v2, v7, vcc_lo
	v_lshlrev_b32_e32 v23, 2, v7
	v_xor_b32_e32 v7, 1, v2
	v_cmp_gt_i32_e32 vcc_lo, 32, v7
	s_waitcnt lgkmcnt(0)
	v_max_f32_e32 v6, v6, v6
	v_cndmask_b32_e32 v7, v2, v7, vcc_lo
	v_cmp_eq_u32_e32 vcc_lo, 0, v22
	v_max_f32_e32 v5, v5, v6
	v_lshlrev_b32_e32 v24, 2, v7
	ds_bpermute_b32 v6, v23, v5
	s_waitcnt lgkmcnt(0)
	v_max_f32_e32 v6, v6, v6
	v_max_f32_e32 v2, v5, v6
	v_lshlrev_b32_e32 v5, 2, v21
	ds_bpermute_b32 v6, v24, v2
	s_and_saveexec_b32 s1, vcc_lo
	s_cbranch_execz .LBB359_250
; %bb.249:
	s_waitcnt lgkmcnt(0)
	v_max_f32_e32 v6, v6, v6
	v_max_f32_e32 v2, v2, v2
	;; [unrolled: 1-line block ×3, first 2 shown]
	ds_write_b32 v5, v2 offset:64
.LBB359_250:
	s_or_b32 exec_lo, exec_lo, s1
	v_cmp_gt_u32_e64 s1, 4, v22
	v_mov_b32_e32 v2, 0xff7fffff
	s_waitcnt lgkmcnt(0)
	s_barrier
	buffer_gl0_inv
	s_and_saveexec_b32 s2, s1
; %bb.251:
	ds_read_b32 v2, v14 offset:64
; %bb.252:
	s_or_b32 exec_lo, exec_lo, s2
	s_waitcnt lgkmcnt(0)
	ds_bpermute_b32 v6, v23, v2
	v_max_f32_e32 v2, v2, v2
	s_lshl_b32 s2, s12, 5
	s_min_i32 s4, s2, s11
	v_cmp_gt_i32_e64 s2, s4, v0
	s_waitcnt lgkmcnt(0)
	v_max_f32_e32 v6, v6, v6
	v_max_f32_e32 v2, v2, v6
	ds_bpermute_b32 v6, v24, v2
	s_waitcnt lgkmcnt(0)
	v_max_f32_e32 v6, v6, v6
	v_max_f32_e32 v2, v2, v6
	v_mov_b32_e32 v6, 0
	ds_bpermute_b32 v7, v6, v2
	v_lshl_add_u32 v2, v0, 2, 0x60
	s_and_saveexec_b32 s5, s2
	s_cbranch_execz .LBB359_256
; %bb.253:
	v_lshl_add_u32 v8, v0, 2, 0x60
	v_mov_b32_e32 v6, 0
	v_mov_b32_e32 v9, v0
	s_mov_b32 s15, 0
	.p2align	6
.LBB359_254:                            ; =>This Inner Loop Header: Depth=1
	ds_read_b32 v10, v8
	v_add_nc_u32_e32 v9, 0x80, v9
	v_cmp_le_i32_e64 s3, s4, v9
	s_or_b32 s15, s3, s15
	s_waitcnt lgkmcnt(0)
	v_sub_f32_e32 v10, v10, v7
	v_mul_f32_e32 v10, 0x3fb8aa3b, v10
	v_exp_f32_e32 v10, v10
	ds_write_b32 v8, v10
	v_add_f32_e32 v6, v6, v10
	v_add_nc_u32_e32 v8, 0x200, v8
	s_andn2_b32 exec_lo, exec_lo, s15
	s_cbranch_execnz .LBB359_254
; %bb.255:
	s_or_b32 exec_lo, exec_lo, s15
.LBB359_256:
	s_or_b32 exec_lo, exec_lo, s5
	ds_bpermute_b32 v1, v1, v6
	s_waitcnt lgkmcnt(0)
	v_add_f32_e32 v1, v6, v1
	ds_bpermute_b32 v3, v3, v1
	s_waitcnt lgkmcnt(0)
	v_add_f32_e32 v1, v1, v3
	;; [unrolled: 3-line block ×5, first 2 shown]
	s_and_saveexec_b32 s3, vcc_lo
; %bb.257:
	ds_write_b32 v5, v1 offset:80
; %bb.258:
	s_or_b32 exec_lo, exec_lo, s3
	s_waitcnt lgkmcnt(0)
	s_barrier
	buffer_gl0_inv
	s_and_saveexec_b32 s3, s1
; %bb.259:
	ds_read_b32 v1, v14 offset:80
; %bb.260:
	s_or_b32 exec_lo, exec_lo, s3
	s_waitcnt lgkmcnt(0)
	ds_bpermute_b32 v3, v23, v1
	s_waitcnt lgkmcnt(0)
	v_add_f32_e32 v1, v1, v3
	ds_bpermute_b32 v3, v24, v1
	s_waitcnt lgkmcnt(0)
	v_add_f32_e32 v1, v1, v3
	v_mov_b32_e32 v3, 0
	ds_bpermute_b32 v1, v3, v1
	s_and_saveexec_b32 s1, s2
	s_cbranch_execz .LBB359_263
; %bb.261:
	s_waitcnt lgkmcnt(0)
	v_add_f32_e32 v1, 0x358637bd, v1
	s_mov_b32 s2, 0
	v_div_scale_f32 v3, null, v1, v1, 1.0
	v_div_scale_f32 v6, vcc_lo, 1.0, v1, 1.0
	v_rcp_f32_e32 v4, v3
	v_fma_f32 v5, -v3, v4, 1.0
	v_fmac_f32_e32 v4, v5, v4
	v_mul_f32_e32 v5, v6, v4
	v_fma_f32 v7, -v3, v5, v6
	v_fmac_f32_e32 v5, v7, v4
	v_fma_f32 v3, -v3, v5, v6
	v_div_fmas_f32 v3, v3, v4, v5
	v_div_fixup_f32 v1, v3, v1, 1.0
	v_mov_b32_e32 v3, v0
.LBB359_262:                            ; =>This Inner Loop Header: Depth=1
	ds_read_b32 v4, v2
	v_add_nc_u32_e32 v3, 0x80, v3
	v_cmp_le_i32_e32 vcc_lo, s4, v3
	s_or_b32 s2, vcc_lo, s2
	s_waitcnt lgkmcnt(0)
	v_mul_f32_e32 v4, v1, v4
	ds_write_b32 v2, v4
	v_add_nc_u32_e32 v2, 0x200, v2
	s_andn2_b32 exec_lo, exec_lo, s2
	s_cbranch_execnz .LBB359_262
.LBB359_263:
	s_or_b32 exec_lo, exec_lo, s1
	v_mov_b32_e32 v27, 0
	v_and_b32_e32 v25, 3, v0
	v_mov_b32_e32 v29, 0
	v_mov_b32_e32 v28, 0
	;; [unrolled: 1-line block ×3, first 2 shown]
	s_waitcnt lgkmcnt(0)
	s_barrier
	buffer_gl0_inv
	s_and_saveexec_b32 s1, s0
	s_cbranch_execz .LBB359_515
; %bb.264:
	v_lshlrev_b32_e32 v1, 3, v0
	s_load_dword s5, s[18:19], 0x0
	s_ashr_i32 s0, s14, 31
	s_add_u32 s2, s24, s14
	v_lshlrev_b32_e32 v3, 5, v25
	v_and_b32_e32 v2, 24, v1
	v_and_b32_e32 v1, 0xf8, v1
	s_addc_u32 s0, s25, s0
	s_mov_b32 s4, s13
	s_add_i32 s13, s12, -1
	v_lshlrev_b32_e32 v4, 5, v21
	v_add_co_u32 v11, s2, s2, v1
	v_and_b32_e32 v1, 0x7c, v13
	v_add_co_ci_u32_e64 v12, null, s0, 0, s2
	s_lshl_b64 s[2:3], s[26:27], 2
	v_lshl_or_b32 v3, v21, 7, v3
	s_add_u32 s0, s22, s2
	s_addc_u32 s2, s23, s3
	v_add_co_u32 v13, s0, s0, v1
	v_mov_b32_e32 v10, 0
	v_or3_b32 v30, v4, v2, 7
	v_add_nc_u32_e32 v31, 0x60, v3
	v_add_co_ci_u32_e64 v14, null, s2, 0, s0
	v_mov_b32_e32 v32, 0x80
	v_mov_b32_e32 v33, 0xffff
	;; [unrolled: 1-line block ×10, first 2 shown]
	s_mov_b32 s2, -1
	s_mov_b32 s3, 0xffffff
	s_mov_b32 s14, 0
	s_branch .LBB359_266
.LBB359_265:                            ;   in Loop: Header=BB359_266 Depth=1
	s_or_b32 exec_lo, exec_lo, s0
	v_bfe_u32 v46, v5, 16, 1
	v_bfe_u32 v47, v6, 16, 1
	v_or_b32_e32 v48, 0x400000, v5
	v_cmp_u_f32_e32 vcc_lo, v5, v5
	v_or_b32_e32 v49, 0x400000, v6
	v_add3_u32 v46, v46, v5, 0x7fff
	v_bfe_u32 v50, v7, 16, 1
	v_add3_u32 v47, v47, v6, 0x7fff
	v_bfe_u32 v51, v8, 16, 1
	v_lshlrev_b32_e32 v19, 16, v19
	v_cndmask_b32_e32 v5, v46, v48, vcc_lo
	v_cmp_u_f32_e32 vcc_lo, v6, v6
	v_add3_u32 v46, v50, v7, 0x7fff
	v_add3_u32 v48, v51, v8, 0x7fff
	v_bfe_u32 v50, v1, 16, 1
	v_and_b32_e32 v5, 0xffff0000, v5
	v_cndmask_b32_e32 v6, v47, v49, vcc_lo
	v_or_b32_e32 v47, 0x400000, v7
	v_cmp_u_f32_e32 vcc_lo, v7, v7
	v_or_b32_e32 v49, 0x400000, v8
	v_or_b32_e32 v51, 0x400000, v4
	v_lshlrev_b32_e32 v20, 16, v20
	v_lshlrev_b32_e32 v62, 16, v62
	v_cndmask_b32_e32 v7, v46, v47, vcc_lo
	v_cmp_u_f32_e32 vcc_lo, v8, v8
	v_bfe_u32 v46, v2, 16, 1
	v_add3_u32 v47, v50, v1, 0x7fff
	v_bfe_u32 v50, v3, 16, 1
	v_lshlrev_b32_e32 v58, 16, v58
	v_cndmask_b32_e32 v8, v48, v49, vcc_lo
	v_or_b32_e32 v48, 0x400000, v1
	v_cmp_u_f32_e32 vcc_lo, v1, v1
	v_add3_u32 v46, v46, v2, 0x7fff
	v_or_b32_e32 v49, 0x400000, v2
	v_and_b32_e32 v1, 0xffff0000, v6
	v_lshlrev_b32_e32 v6, 16, v66
	v_cndmask_b32_e32 v47, v47, v48, vcc_lo
	v_cmp_u_f32_e32 vcc_lo, v2, v2
	v_add3_u32 v2, v50, v3, 0x7fff
	v_bfe_u32 v48, v4, 16, 1
	v_or_b32_e32 v50, 0x400000, v3
	v_mul_f32_e32 v6, v1, v6
	v_cndmask_b32_e32 v46, v46, v49, vcc_lo
	v_lshlrev_b32_e32 v49, 16, v65
	v_cmp_u_f32_e32 vcc_lo, v3, v3
	v_add3_u32 v48, v48, v4, 0x7fff
	v_bfe_u32 v3, v6, 16, 1
	v_lshlrev_b32_e32 v45, 16, v45
	v_mul_f32_e32 v49, v5, v49
	v_cndmask_b32_e32 v50, v2, v50, vcc_lo
	v_cmp_u_f32_e32 vcc_lo, v4, v4
	v_and_b32_e32 v2, 0xffff0000, v8
	v_lshlrev_b32_e32 v8, 16, v63
	v_add3_u32 v3, v3, v6, 0x7fff
	v_or_b32_e32 v52, 0x400000, v49
	v_cndmask_b32_e32 v4, v48, v51, vcc_lo
	v_bfe_u32 v48, v49, 16, 1
	v_or_b32_e32 v51, 0x400000, v6
	v_mul_f32_e32 v63, v2, v8
	v_and_b32_e32 v8, 0xffff0000, v7
	v_lshlrev_b32_e32 v7, 16, v64
	v_cmp_u_f32_e32 vcc_lo, v6, v6
	v_add3_u32 v48, v48, v49, 0x7fff
	v_and_b32_e32 v6, 0xffff0000, v47
	v_or_b32_e32 v47, 0x400000, v63
	v_mul_f32_e32 v7, v8, v7
	v_cndmask_b32_e32 v51, v3, v51, vcc_lo
	v_cmp_u_f32_e32 vcc_lo, v49, v49
	v_bfe_u32 v49, v63, 16, 1
	v_and_b32_e32 v3, 0xffff0000, v46
	v_mul_f32_e32 v20, v6, v20
	v_and_b32_e32 v4, 0xffff0000, v4
	v_cndmask_b32_e32 v48, v48, v52, vcc_lo
	v_add3_u32 v46, v49, v63, 0x7fff
	v_bfe_u32 v49, v7, 16, 1
	v_mul_f32_e32 v19, v3, v19
	v_cmp_u_f32_e32 vcc_lo, v63, v63
	v_bfe_u32 v63, v20, 16, 1
	v_mul_f32_e32 v62, v4, v62
	v_and_b32_e32 v48, 0xffff0000, v48
	v_bfe_u32 v52, v19, 16, 1
	v_cndmask_b32_e32 v46, v46, v47, vcc_lo
	v_add3_u32 v47, v49, v7, 0x7fff
	v_or_b32_e32 v49, 0x400000, v7
	v_cmp_u_f32_e32 vcc_lo, v7, v7
	v_and_b32_e32 v7, 0xffff0000, v50
	v_lshlrev_b32_e32 v50, 16, v61
	v_add3_u32 v63, v63, v20, 0x7fff
	v_or_b32_e32 v61, 0x400000, v20
	v_cndmask_b32_e32 v47, v47, v49, vcc_lo
	v_add3_u32 v49, v52, v19, 0x7fff
	v_or_b32_e32 v52, 0x400000, v19
	v_cmp_u_f32_e32 vcc_lo, v19, v19
	v_bfe_u32 v64, v62, 16, 1
	v_and_b32_e32 v47, 0xffff0000, v47
	v_and_b32_e32 v46, 0xffff0000, v46
	;; [unrolled: 1-line block ×3, first 2 shown]
	v_cndmask_b32_e32 v19, v49, v52, vcc_lo
	v_mul_f32_e32 v49, v7, v50
	v_cmp_u_f32_e32 vcc_lo, v20, v20
	v_add3_u32 v50, v64, v62, 0x7fff
	v_or_b32_e32 v52, 0x400000, v62
	v_add_f32_e32 v46, v47, v46
	v_lshlrev_b32_e32 v47, 16, v60
	v_cndmask_b32_e32 v20, v63, v61, vcc_lo
	v_bfe_u32 v61, v49, 16, 1
	v_cmp_u_f32_e32 vcc_lo, v62, v62
	v_add_f32_e32 v48, v48, v51
	v_and_b32_e32 v19, 0xffff0000, v19
	v_and_b32_e32 v20, 0xffff0000, v20
	v_lshlrev_b32_e32 v51, 16, v59
	v_cndmask_b32_e32 v50, v50, v52, vcc_lo
	v_add3_u32 v52, v61, v49, 0x7fff
	v_or_b32_e32 v61, 0x400000, v49
	v_cmp_u_f32_e32 vcc_lo, v49, v49
	v_mul_f32_e32 v47, v1, v47
	v_add_f32_e32 v46, v46, v48
	v_add_f32_e32 v19, v20, v19
	v_mul_f32_e32 v48, v5, v51
	v_cndmask_b32_e32 v49, v52, v61, vcc_lo
	v_bfe_u32 v51, v47, 16, 1
	v_cmp_u_f32_e32 vcc_lo, v47, v47
	v_add_f32_e32 v19, v19, v46
	v_bfe_u32 v46, v48, 16, 1
	v_and_b32_e32 v20, 0xffff0000, v49
	v_and_b32_e32 v49, 0xffff0000, v50
	v_lshlrev_b32_e32 v50, 16, v56
	v_or_b32_e32 v52, 0x400000, v48
	v_add3_u32 v46, v46, v48, 0x7fff
	v_mul_f32_e32 v45, v1, v45
	v_add_f32_e32 v20, v20, v49
	v_mul_f32_e32 v49, v2, v50
	v_add3_u32 v50, v51, v47, 0x7fff
	v_or_b32_e32 v51, 0x400000, v47
	v_lshlrev_b32_e32 v44, 16, v44
	v_lshlrev_b32_e32 v41, 16, v41
	v_bfe_u32 v56, v49, 16, 1
	v_lshlrev_b32_e32 v43, 16, v43
	v_cndmask_b32_e32 v47, v50, v51, vcc_lo
	v_cmp_u_f32_e32 vcc_lo, v48, v48
	v_mul_f32_e32 v48, v8, v58
	v_add3_u32 v50, v56, v49, 0x7fff
	v_or_b32_e32 v51, 0x400000, v49
	v_and_b32_e32 v47, 0xffff0000, v47
	v_cndmask_b32_e32 v46, v46, v52, vcc_lo
	v_lshlrev_b32_e32 v52, 16, v53
	v_cmp_u_f32_e32 vcc_lo, v49, v49
	v_lshlrev_b32_e32 v53, 16, v54
	v_bfe_u32 v54, v48, 16, 1
	v_and_b32_e32 v46, 0xffff0000, v46
	v_mul_f32_e32 v44, v5, v44
	v_cndmask_b32_e32 v49, v50, v51, vcc_lo
	v_mul_f32_e32 v50, v3, v52
	v_mul_f32_e32 v51, v6, v53
	v_add3_u32 v52, v54, v48, 0x7fff
	v_or_b32_e32 v53, 0x400000, v48
	v_lshlrev_b32_e32 v54, 16, v57
	v_bfe_u32 v56, v50, 16, 1
	v_cmp_u_f32_e32 vcc_lo, v48, v48
	v_bfe_u32 v57, v51, 16, 1
	v_and_b32_e32 v49, 0xffff0000, v49
	v_add_f32_e32 v46, v46, v47
	v_mul_f32_e32 v41, v2, v41
	v_cndmask_b32_e32 v48, v52, v53, vcc_lo
	v_mul_f32_e32 v52, v4, v54
	v_add3_u32 v53, v56, v50, 0x7fff
	v_or_b32_e32 v54, 0x400000, v50
	v_cmp_u_f32_e32 vcc_lo, v50, v50
	v_add3_u32 v56, v57, v51, 0x7fff
	v_or_b32_e32 v57, 0x400000, v51
	v_bfe_u32 v58, v52, 16, 1
	v_and_b32_e32 v48, 0xffff0000, v48
	v_cndmask_b32_e32 v50, v53, v54, vcc_lo
	v_lshlrev_b32_e32 v53, 16, v55
	v_cmp_u_f32_e32 vcc_lo, v51, v51
	v_add3_u32 v54, v58, v52, 0x7fff
	v_or_b32_e32 v55, 0x400000, v52
	v_add_f32_e32 v47, v48, v49
	v_mul_f32_e32 v53, v7, v53
	v_cndmask_b32_e32 v51, v56, v57, vcc_lo
	v_cmp_u_f32_e32 vcc_lo, v52, v52
	v_and_b32_e32 v49, 0xffff0000, v50
	v_add_f32_e32 v46, v47, v46
	v_lshlrev_b32_e32 v39, 16, v39
	v_and_b32_e32 v48, 0xffff0000, v51
	v_cndmask_b32_e32 v52, v54, v55, vcc_lo
	v_bfe_u32 v54, v53, 16, 1
	v_or_b32_e32 v51, 0x400000, v53
	v_cmp_u_f32_e32 vcc_lo, v53, v53
	v_add_f32_e32 v47, v48, v49
	v_bfe_u32 v49, v45, 16, 1
	v_add3_u32 v50, v54, v53, 0x7fff
	v_mul_f32_e32 v43, v8, v43
	v_mul_f32_e32 v39, v3, v39
	v_add_f32_e32 v46, v47, v46
	v_lshlrev_b32_e32 v38, 16, v38
	v_cndmask_b32_e32 v48, v50, v51, vcc_lo
	v_bfe_u32 v51, v44, 16, 1
	v_cmp_u_f32_e32 vcc_lo, v45, v45
	v_and_b32_e32 v50, 0xffff0000, v52
	v_or_b32_e32 v52, 0x400000, v41
	v_and_b32_e32 v47, 0xffff0000, v48
	v_add3_u32 v48, v49, v45, 0x7fff
	v_or_b32_e32 v49, 0x400000, v45
	v_lshlrev_b32_e32 v42, 16, v42
	v_mul_f32_e32 v38, v6, v38
	v_lshlrev_b32_e32 v40, 16, v40
	v_lshlrev_b32_e32 v16, 16, v16
	v_cndmask_b32_e32 v45, v48, v49, vcc_lo
	v_bfe_u32 v48, v41, 16, 1
	v_add3_u32 v49, v51, v44, 0x7fff
	v_or_b32_e32 v51, 0x400000, v44
	v_cmp_u_f32_e32 vcc_lo, v44, v44
	v_mul_f32_e32 v42, v4, v42
	v_add3_u32 v48, v48, v41, 0x7fff
	v_mul_f32_e32 v40, v7, v40
	v_and_b32_e32 v45, 0xffff0000, v45
	v_cndmask_b32_e32 v44, v49, v51, vcc_lo
	v_bfe_u32 v49, v43, 16, 1
	v_cmp_u_f32_e32 vcc_lo, v41, v41
	v_or_b32_e32 v51, 0x400000, v43
	v_mul_f32_e32 v2, v2, v16
	v_and_b32_e32 v44, 0xffff0000, v44
	v_add3_u32 v49, v49, v43, 0x7fff
	v_cndmask_b32_e32 v41, v48, v52, vcc_lo
	v_bfe_u32 v48, v39, 16, 1
	v_cmp_u_f32_e32 vcc_lo, v43, v43
	v_or_b32_e32 v52, 0x400000, v39
	v_add_f32_e32 v44, v44, v45
	v_and_b32_e32 v41, 0xffff0000, v41
	v_add3_u32 v48, v48, v39, 0x7fff
	v_cndmask_b32_e32 v43, v49, v51, vcc_lo
	v_bfe_u32 v49, v38, 16, 1
	v_cmp_u_f32_e32 vcc_lo, v39, v39
	v_bfe_u32 v51, v42, 16, 1
	v_lshlrev_b32_e32 v15, 16, v15
	v_and_b32_e32 v43, 0xffff0000, v43
	v_lshlrev_b32_e32 v9, 16, v9
	v_cndmask_b32_e32 v39, v48, v52, vcc_lo
	v_add3_u32 v48, v49, v38, 0x7fff
	v_or_b32_e32 v49, 0x400000, v38
	v_cmp_u_f32_e32 vcc_lo, v38, v38
	v_add3_u32 v51, v51, v42, 0x7fff
	v_or_b32_e32 v52, 0x400000, v42
	v_add_f32_e32 v41, v43, v41
	v_and_b32_e32 v39, 0xffff0000, v39
	v_cndmask_b32_e32 v38, v48, v49, vcc_lo
	v_cmp_u_f32_e32 vcc_lo, v42, v42
	v_bfe_u32 v48, v40, 16, 1
	v_lshlrev_b32_e32 v43, 16, v68
	v_or_b32_e32 v49, 0x400000, v40
	v_and_b32_e32 v38, 0xffff0000, v38
	v_cndmask_b32_e32 v42, v51, v52, vcc_lo
	v_lshlrev_b32_e32 v51, 16, v69
	v_add3_u32 v48, v48, v40, 0x7fff
	v_cmp_u_f32_e32 vcc_lo, v40, v40
	v_add_f32_e32 v41, v41, v44
	v_add_f32_e32 v38, v38, v39
	v_mul_f32_e32 v5, v5, v51
	v_mul_f32_e32 v1, v1, v43
	v_lshlrev_b32_e32 v39, 16, v67
	v_cndmask_b32_e32 v40, v48, v49, vcc_lo
	v_mul_f32_e32 v6, v6, v15
	v_bfe_u32 v44, v5, 16, 1
	v_bfe_u32 v45, v1, 16, 1
	v_mul_f32_e32 v8, v8, v39
	v_cmp_u_f32_e32 vcc_lo, v5, v5
	v_mul_f32_e32 v3, v3, v9
	v_add3_u32 v43, v44, v5, 0x7fff
	v_or_b32_e32 v44, 0x400000, v5
	v_add3_u32 v39, v45, v1, 0x7fff
	v_lshlrev_b32_e32 v9, 16, v18
	v_lshlrev_b32_e32 v17, 16, v17
	v_and_b32_e32 v40, 0xffff0000, v40
	v_cndmask_b32_e32 v5, v43, v44, vcc_lo
	v_or_b32_e32 v43, 0x400000, v1
	v_bfe_u32 v44, v8, 16, 1
	v_cmp_u_f32_e32 vcc_lo, v1, v1
	v_mul_f32_e32 v7, v7, v9
	v_mul_f32_e32 v4, v4, v17
	v_or_b32_e32 v9, 0x400000, v6
	v_add3_u32 v16, v44, v8, 0x7fff
	v_cndmask_b32_e32 v1, v39, v43, vcc_lo
	v_or_b32_e32 v39, 0x400000, v8
	v_bfe_u32 v43, v2, 16, 1
	v_cmp_u_f32_e32 vcc_lo, v8, v8
	v_or_b32_e32 v17, 0x400000, v3
	v_bfe_u32 v18, v7, 16, 1
	v_and_b32_e32 v1, 0xffff0000, v1
	v_add3_u32 v15, v43, v2, 0x7fff
	v_cndmask_b32_e32 v8, v16, v39, vcc_lo
	v_or_b32_e32 v16, 0x400000, v2
	v_bfe_u32 v39, v6, 16, 1
	v_cmp_u_f32_e32 vcc_lo, v2, v2
	v_and_b32_e32 v5, 0xffff0000, v5
	v_and_b32_e32 v8, 0xffff0000, v8
	v_add_nc_u32_e32 v37, 4, v37
	v_add_co_u32 v13, s0, v13, 16
	v_cndmask_b32_e32 v2, v15, v16, vcc_lo
	v_bfe_u32 v15, v3, 16, 1
	v_add3_u32 v16, v39, v6, 0x7fff
	v_cmp_u_f32_e32 vcc_lo, v6, v6
	v_bfe_u32 v39, v4, 16, 1
	v_and_b32_e32 v2, 0xffff0000, v2
	v_add3_u32 v15, v15, v3, 0x7fff
	v_add_f32_e32 v1, v5, v1
	v_cndmask_b32_e32 v6, v16, v9, vcc_lo
	v_cmp_u_f32_e32 vcc_lo, v3, v3
	v_or_b32_e32 v16, 0x400000, v4
	v_add3_u32 v9, v18, v7, 0x7fff
	v_add_f32_e32 v2, v8, v2
	v_and_b32_e32 v5, 0xffff0000, v6
	v_cndmask_b32_e32 v3, v15, v17, vcc_lo
	v_add3_u32 v15, v39, v4, 0x7fff
	v_cmp_u_f32_e32 vcc_lo, v4, v4
	v_or_b32_e32 v17, 0x400000, v7
	v_add_f32_e32 v1, v2, v1
	v_and_b32_e32 v3, 0xffff0000, v3
	v_add_nc_u32_e32 v30, 0x80, v30
	v_cndmask_b32_e32 v4, v15, v16, vcc_lo
	v_cmp_u_f32_e32 vcc_lo, v7, v7
	v_and_b32_e32 v7, 0xffff0000, v42
	v_add_f32_e32 v2, v5, v3
	v_add_f32_e32 v5, v47, v50
	v_and_b32_e32 v3, 0xffff0000, v4
	v_cndmask_b32_e32 v6, v9, v17, vcc_lo
	v_add_f32_e32 v7, v40, v7
	v_add_f32_e32 v1, v2, v1
	v_cmp_le_i32_e32 vcc_lo, s12, v37
	v_add_nc_u32_e32 v31, 0x200, v31
	v_and_b32_e32 v4, 0xffff0000, v6
	v_add_f32_e32 v6, v38, v41
	v_add_co_ci_u32_e64 v14, null, 0, v14, s0
	s_or_b32 s14, vcc_lo, s14
	v_add_f32_e32 v2, v4, v3
	v_add_f32_e32 v3, v20, v19
	;; [unrolled: 1-line block ×9, first 2 shown]
	s_andn2_b32 exec_lo, exec_lo, s14
	s_cbranch_execz .LBB359_514
.LBB359_266:                            ; =>This Inner Loop Header: Depth=1
	global_load_dword v1, v[13:14], off
	v_mov_b32_e32 v40, 0
	s_waitcnt vmcnt(0)
	v_mad_i64_i32 v[15:16], null, v1, s4, v[11:12]
	global_load_dwordx2 v[17:18], v[15:16], off
	ds_read2_b64 v[5:8], v31 offset1:1
	ds_read2_b64 v[1:4], v31 offset0:2 offset1:3
	s_waitcnt vmcnt(0)
	v_cmp_ne_u16_sdwa s15, v17, v10 src0_sel:BYTE_0 src1_sel:DWORD
	s_and_saveexec_b32 s0, s15
	s_cbranch_execz .LBB359_272
; %bb.267:                              ;   in Loop: Header=BB359_266 Depth=1
	v_cmp_ne_u16_sdwa s16, v17, v32 src0_sel:BYTE_0 src1_sel:DWORD
	v_bfrev_b32_e32 v40, 1
	s_and_saveexec_b32 s15, s16
	s_cbranch_execz .LBB359_271
; %bb.268:                              ;   in Loop: Header=BB359_266 Depth=1
	v_and_b32_e32 v9, 0x7f, v17
	v_mov_b32_e32 v40, 0x7f800001
	s_mov_b32 s16, exec_lo
	v_cmpx_ne_u32_e32 0x7f, v9
	s_cbranch_execz .LBB359_270
; %bb.269:                              ;   in Loop: Header=BB359_266 Depth=1
	v_and_b32_e32 v19, 7, v17
	v_lshrrev_b32_e32 v20, 3, v9
	v_cmp_gt_u32_e32 vcc_lo, 8, v9
	v_ffbh_u32_e32 v19, v19
	v_min_u32_e32 v19, 32, v19
	v_subrev_nc_u32_e32 v38, 28, v19
	v_sub_nc_u32_e32 v19, 29, v19
	v_cndmask_b32_e32 v9, v20, v19, vcc_lo
	v_cndmask_b32_e32 v19, 0, v38, vcc_lo
	v_lshl_add_u32 v9, v9, 23, 0x3c000000
	v_lshlrev_b64 v[19:20], v19, v[17:18]
	v_lshlrev_b32_e32 v20, 24, v17
	v_lshlrev_b32_e32 v19, 20, v19
	v_and_b32_e32 v20, 0x80000000, v20
	v_and_b32_e32 v19, 0x700000, v19
	v_or3_b32 v40, v19, v20, v9
.LBB359_270:                            ;   in Loop: Header=BB359_266 Depth=1
	s_or_b32 exec_lo, exec_lo, s16
.LBB359_271:                            ;   in Loop: Header=BB359_266 Depth=1
	s_or_b32 exec_lo, exec_lo, s15
.LBB359_272:                            ;   in Loop: Header=BB359_266 Depth=1
	s_or_b32 exec_lo, exec_lo, s0
	v_cmp_ne_u16_sdwa s15, v17, v10 src0_sel:BYTE_1 src1_sel:DWORD
	v_mov_b32_e32 v39, 0
	v_mov_b32_e32 v38, 0
	s_and_saveexec_b32 s0, s15
	s_cbranch_execz .LBB359_280
; %bb.273:                              ;   in Loop: Header=BB359_266 Depth=1
	v_cmp_ne_u16_sdwa s16, v17, v32 src0_sel:BYTE_1 src1_sel:DWORD
	v_bfrev_b32_e32 v38, 1
	s_and_saveexec_b32 s15, s16
	s_cbranch_execz .LBB359_279
; %bb.274:                              ;   in Loop: Header=BB359_266 Depth=1
	v_and_b32_sdwa v9, v33, v17 dst_sel:DWORD dst_unused:UNUSED_PAD src0_sel:DWORD src1_sel:BYTE_1
	v_mov_b32_e32 v38, 0x7f800001
	s_mov_b32 s16, exec_lo
	v_and_b32_e32 v20, 0x7f, v9
	v_cmpx_ne_u32_e32 0x7f, v20
	s_cbranch_execz .LBB359_278
; %bb.275:                              ;   in Loop: Header=BB359_266 Depth=1
	v_and_b32_e32 v9, 7, v9
	v_lshrrev_b32_e32 v19, 3, v20
	s_mov_b32 s17, exec_lo
	v_cmpx_gt_u32_e32 8, v20
; %bb.276:                              ;   in Loop: Header=BB359_266 Depth=1
	v_ffbh_u32_e32 v19, v9
	v_min_u32_e32 v19, 32, v19
	v_subrev_nc_u32_e32 v20, 28, v19
	v_sub_nc_u32_e32 v19, 29, v19
	v_lshlrev_b64 v[41:42], v20, v[9:10]
	v_and_b32_e32 v9, 7, v41
; %bb.277:                              ;   in Loop: Header=BB359_266 Depth=1
	s_or_b32 exec_lo, exec_lo, s17
	v_lshlrev_b32_e32 v20, 16, v17
	v_lshlrev_b32_e32 v9, 20, v9
	v_lshl_add_u32 v19, v19, 23, 0x3c000000
	v_and_b32_e32 v20, 0x80000000, v20
	v_or3_b32 v38, v9, v20, v19
.LBB359_278:                            ;   in Loop: Header=BB359_266 Depth=1
	s_or_b32 exec_lo, exec_lo, s16
.LBB359_279:                            ;   in Loop: Header=BB359_266 Depth=1
	s_or_b32 exec_lo, exec_lo, s15
.LBB359_280:                            ;   in Loop: Header=BB359_266 Depth=1
	s_or_b32 exec_lo, exec_lo, s0
	v_and_b32_sdwa v9, v17, v34 dst_sel:DWORD dst_unused:UNUSED_PAD src0_sel:WORD_1 src1_sel:DWORD
	s_mov_b32 s0, exec_lo
	v_cmpx_ne_u16_e32 0, v9
	s_cbranch_execz .LBB359_288
; %bb.281:                              ;   in Loop: Header=BB359_266 Depth=1
	v_bfrev_b32_e32 v39, 1
	s_mov_b32 s15, exec_lo
	v_cmpx_ne_u16_e32 0x80, v9
	s_cbranch_execz .LBB359_287
; %bb.282:                              ;   in Loop: Header=BB359_266 Depth=1
	v_bfe_u32 v20, v17, 16, 7
	v_mov_b32_e32 v39, 0x7f800001
	s_mov_b32 s16, exec_lo
	v_cmpx_ne_u32_e32 0x7f, v20
	s_cbranch_execz .LBB359_286
; %bb.283:                              ;   in Loop: Header=BB359_266 Depth=1
	v_and_b32_sdwa v9, v17, v35 dst_sel:DWORD dst_unused:UNUSED_PAD src0_sel:WORD_1 src1_sel:DWORD
	v_lshrrev_b32_e32 v19, 3, v20
	s_mov_b32 s17, exec_lo
	v_cmpx_gt_u32_e32 8, v20
; %bb.284:                              ;   in Loop: Header=BB359_266 Depth=1
	v_ffbh_u32_e32 v19, v9
	v_min_u32_e32 v19, 32, v19
	v_subrev_nc_u32_e32 v20, 28, v19
	v_sub_nc_u32_e32 v19, 29, v19
	v_lshlrev_b64 v[41:42], v20, v[9:10]
	v_and_b32_e32 v9, 7, v41
; %bb.285:                              ;   in Loop: Header=BB359_266 Depth=1
	s_or_b32 exec_lo, exec_lo, s17
	v_lshlrev_b32_sdwa v20, v36, v17 dst_sel:DWORD dst_unused:UNUSED_PAD src0_sel:DWORD src1_sel:WORD_1
	v_lshlrev_b32_e32 v9, 20, v9
	v_lshl_add_u32 v19, v19, 23, 0x3c000000
	v_and_b32_e32 v20, 0x80000000, v20
	v_or3_b32 v39, v9, v20, v19
.LBB359_286:                            ;   in Loop: Header=BB359_266 Depth=1
	s_or_b32 exec_lo, exec_lo, s16
.LBB359_287:                            ;   in Loop: Header=BB359_266 Depth=1
	s_or_b32 exec_lo, exec_lo, s15
.LBB359_288:                            ;   in Loop: Header=BB359_266 Depth=1
	s_or_b32 exec_lo, exec_lo, s0
	v_mov_b32_e32 v41, 0
	v_mov_b32_e32 v42, 0
	s_mov_b32 s0, exec_lo
	v_cmpx_lt_u32_e32 0xffffff, v17
	s_cbranch_execz .LBB359_296
; %bb.289:                              ;   in Loop: Header=BB359_266 Depth=1
	v_cmp_ne_u32_sdwa s16, v17, v32 src0_sel:BYTE_3 src1_sel:DWORD
	v_bfrev_b32_e32 v42, 1
	s_and_saveexec_b32 s15, s16
	s_cbranch_execz .LBB359_295
; %bb.290:                              ;   in Loop: Header=BB359_266 Depth=1
	v_bfe_u32 v20, v17, 24, 7
	v_mov_b32_e32 v42, 0x7f800001
	s_mov_b32 s16, exec_lo
	v_cmpx_ne_u32_e32 0x7f, v20
	s_cbranch_execz .LBB359_294
; %bb.291:                              ;   in Loop: Header=BB359_266 Depth=1
	v_and_b32_sdwa v9, v17, v35 dst_sel:DWORD dst_unused:UNUSED_PAD src0_sel:BYTE_3 src1_sel:DWORD
	v_lshrrev_b32_e32 v19, 3, v20
	s_mov_b32 s17, exec_lo
	v_cmpx_gt_u32_e32 8, v20
; %bb.292:                              ;   in Loop: Header=BB359_266 Depth=1
	v_ffbh_u32_e32 v19, v9
	v_min_u32_e32 v19, 32, v19
	v_subrev_nc_u32_e32 v20, 28, v19
	v_sub_nc_u32_e32 v19, 29, v19
	v_lshlrev_b64 v[42:43], v20, v[9:10]
	v_and_b32_e32 v9, 7, v42
; %bb.293:                              ;   in Loop: Header=BB359_266 Depth=1
	s_or_b32 exec_lo, exec_lo, s17
	v_lshlrev_b32_sdwa v20, v36, v17 dst_sel:DWORD dst_unused:UNUSED_PAD src0_sel:DWORD src1_sel:BYTE_3
	v_lshlrev_b32_e32 v9, 20, v9
	v_lshl_add_u32 v19, v19, 23, 0x3c000000
	v_and_b32_e32 v20, 0x80000000, v20
	v_or3_b32 v42, v9, v20, v19
.LBB359_294:                            ;   in Loop: Header=BB359_266 Depth=1
	s_or_b32 exec_lo, exec_lo, s16
.LBB359_295:                            ;   in Loop: Header=BB359_266 Depth=1
	s_or_b32 exec_lo, exec_lo, s15
.LBB359_296:                            ;   in Loop: Header=BB359_266 Depth=1
	s_or_b32 exec_lo, exec_lo, s0
	v_mov_b32_e32 v9, v18
	v_cmp_ne_u16_sdwa s15, v18, v10 src0_sel:BYTE_0 src1_sel:DWORD
	s_and_saveexec_b32 s0, s15
	s_cbranch_execz .LBB359_302
; %bb.297:                              ;   in Loop: Header=BB359_266 Depth=1
	v_cmp_ne_u16_sdwa s16, v18, v32 src0_sel:BYTE_0 src1_sel:DWORD
	v_bfrev_b32_e32 v41, 1
	s_and_saveexec_b32 s15, s16
	s_cbranch_execz .LBB359_301
; %bb.298:                              ;   in Loop: Header=BB359_266 Depth=1
	v_and_b32_e32 v19, 0x7f, v18
	v_mov_b32_e32 v41, 0x7f800001
	s_mov_b32 s16, exec_lo
	v_cmpx_ne_u32_e32 0x7f, v19
	s_cbranch_execz .LBB359_300
; %bb.299:                              ;   in Loop: Header=BB359_266 Depth=1
	v_and_b32_e32 v20, 7, v18
	v_cmp_gt_u32_e32 vcc_lo, 8, v19
	v_lshrrev_b32_e32 v41, 3, v19
	v_ffbh_u32_e32 v20, v20
	v_min_u32_e32 v20, 32, v20
	v_subrev_nc_u32_e32 v43, 28, v20
	v_sub_nc_u32_e32 v20, 29, v20
	v_cndmask_b32_e32 v19, 0, v43, vcc_lo
	v_cndmask_b32_e32 v41, v41, v20, vcc_lo
	v_lshlrev_b64 v[19:20], v19, v[9:10]
	v_lshlrev_b32_e32 v20, 24, v9
	v_lshl_add_u32 v41, v41, 23, 0x3c000000
	v_lshlrev_b32_e32 v19, 20, v19
	v_and_b32_e32 v20, 0x80000000, v20
	v_and_b32_e32 v19, 0x700000, v19
	v_or3_b32 v41, v19, v20, v41
.LBB359_300:                            ;   in Loop: Header=BB359_266 Depth=1
	s_or_b32 exec_lo, exec_lo, s16
.LBB359_301:                            ;   in Loop: Header=BB359_266 Depth=1
	s_or_b32 exec_lo, exec_lo, s15
.LBB359_302:                            ;   in Loop: Header=BB359_266 Depth=1
	s_or_b32 exec_lo, exec_lo, s0
	v_cmp_ne_u16_sdwa s15, v9, v10 src0_sel:BYTE_1 src1_sel:DWORD
	v_mov_b32_e32 v43, 0
	v_mov_b32_e32 v19, 0
	s_and_saveexec_b32 s0, s15
	s_cbranch_execz .LBB359_310
; %bb.303:                              ;   in Loop: Header=BB359_266 Depth=1
	v_cmp_ne_u16_sdwa s16, v9, v32 src0_sel:BYTE_1 src1_sel:DWORD
	v_bfrev_b32_e32 v19, 1
	s_and_saveexec_b32 s15, s16
	s_cbranch_execz .LBB359_309
; %bb.304:                              ;   in Loop: Header=BB359_266 Depth=1
	v_and_b32_sdwa v20, v33, v9 dst_sel:DWORD dst_unused:UNUSED_PAD src0_sel:DWORD src1_sel:BYTE_1
	v_mov_b32_e32 v19, 0x7f800001
	s_mov_b32 s16, exec_lo
	v_and_b32_e32 v45, 0x7f, v20
	v_cmpx_ne_u32_e32 0x7f, v45
	s_cbranch_execz .LBB359_308
; %bb.305:                              ;   in Loop: Header=BB359_266 Depth=1
	v_and_b32_e32 v19, 7, v20
	v_mov_b32_e32 v20, v10
	v_lshrrev_b32_e32 v44, 3, v45
	s_mov_b32 s17, exec_lo
	v_cmpx_gt_u32_e32 8, v45
; %bb.306:                              ;   in Loop: Header=BB359_266 Depth=1
	v_ffbh_u32_e32 v44, v19
	v_min_u32_e32 v44, 32, v44
	v_subrev_nc_u32_e32 v45, 28, v44
	v_sub_nc_u32_e32 v44, 29, v44
	v_lshlrev_b64 v[19:20], v45, v[19:20]
	v_and_b32_e32 v19, 7, v19
; %bb.307:                              ;   in Loop: Header=BB359_266 Depth=1
	s_or_b32 exec_lo, exec_lo, s17
	v_lshlrev_b32_e32 v9, 16, v9
	v_lshlrev_b32_e32 v19, 20, v19
	v_lshl_add_u32 v20, v44, 23, 0x3c000000
	v_and_b32_e32 v9, 0x80000000, v9
	v_or3_b32 v19, v19, v9, v20
.LBB359_308:                            ;   in Loop: Header=BB359_266 Depth=1
	s_or_b32 exec_lo, exec_lo, s16
.LBB359_309:                            ;   in Loop: Header=BB359_266 Depth=1
	s_or_b32 exec_lo, exec_lo, s15
.LBB359_310:                            ;   in Loop: Header=BB359_266 Depth=1
	s_or_b32 exec_lo, exec_lo, s0
	v_and_b32_sdwa v9, v18, v34 dst_sel:DWORD dst_unused:UNUSED_PAD src0_sel:WORD_1 src1_sel:DWORD
	s_mov_b32 s0, exec_lo
	v_cmpx_ne_u16_e32 0, v9
	s_cbranch_execz .LBB359_318
; %bb.311:                              ;   in Loop: Header=BB359_266 Depth=1
	v_bfrev_b32_e32 v43, 1
	s_mov_b32 s15, exec_lo
	v_cmpx_ne_u16_e32 0x80, v9
	s_cbranch_execz .LBB359_317
; %bb.312:                              ;   in Loop: Header=BB359_266 Depth=1
	v_bfe_u32 v44, v18, 16, 7
	v_mov_b32_e32 v43, 0x7f800001
	s_mov_b32 s16, exec_lo
	v_cmpx_ne_u32_e32 0x7f, v44
	s_cbranch_execz .LBB359_316
; %bb.313:                              ;   in Loop: Header=BB359_266 Depth=1
	v_and_b32_sdwa v9, v18, v35 dst_sel:DWORD dst_unused:UNUSED_PAD src0_sel:WORD_1 src1_sel:DWORD
	v_lshrrev_b32_e32 v20, 3, v44
	s_mov_b32 s17, exec_lo
	v_cmpx_gt_u32_e32 8, v44
; %bb.314:                              ;   in Loop: Header=BB359_266 Depth=1
	v_ffbh_u32_e32 v20, v9
	v_min_u32_e32 v20, 32, v20
	v_subrev_nc_u32_e32 v43, 28, v20
	v_sub_nc_u32_e32 v20, 29, v20
	v_lshlrev_b64 v[43:44], v43, v[9:10]
	v_and_b32_e32 v9, 7, v43
; %bb.315:                              ;   in Loop: Header=BB359_266 Depth=1
	s_or_b32 exec_lo, exec_lo, s17
	v_lshlrev_b32_sdwa v43, v36, v18 dst_sel:DWORD dst_unused:UNUSED_PAD src0_sel:DWORD src1_sel:WORD_1
	v_lshlrev_b32_e32 v9, 20, v9
	v_lshl_add_u32 v20, v20, 23, 0x3c000000
	v_and_b32_e32 v43, 0x80000000, v43
	v_or3_b32 v43, v9, v43, v20
.LBB359_316:                            ;   in Loop: Header=BB359_266 Depth=1
	s_or_b32 exec_lo, exec_lo, s16
.LBB359_317:                            ;   in Loop: Header=BB359_266 Depth=1
	s_or_b32 exec_lo, exec_lo, s15
.LBB359_318:                            ;   in Loop: Header=BB359_266 Depth=1
	s_or_b32 exec_lo, exec_lo, s0
	v_mov_b32_e32 v9, 0
	s_mov_b32 s0, exec_lo
	v_cmpx_lt_u64_e64 s[2:3], v[17:18]
	s_cbranch_execz .LBB359_326
; %bb.319:                              ;   in Loop: Header=BB359_266 Depth=1
	v_cmp_ne_u32_sdwa s16, v18, v32 src0_sel:BYTE_3 src1_sel:DWORD
	v_bfrev_b32_e32 v9, 1
	s_and_saveexec_b32 s15, s16
	s_cbranch_execz .LBB359_325
; %bb.320:                              ;   in Loop: Header=BB359_266 Depth=1
	v_bfe_u32 v20, v18, 24, 7
	v_mov_b32_e32 v9, 0x7f800001
	s_mov_b32 s16, exec_lo
	v_cmpx_ne_u32_e32 0x7f, v20
	s_cbranch_execz .LBB359_324
; %bb.321:                              ;   in Loop: Header=BB359_266 Depth=1
	v_and_b32_sdwa v9, v18, v35 dst_sel:DWORD dst_unused:UNUSED_PAD src0_sel:BYTE_3 src1_sel:DWORD
	v_lshrrev_b32_e32 v17, 3, v20
	s_mov_b32 s17, exec_lo
	v_cmpx_gt_u32_e32 8, v20
; %bb.322:                              ;   in Loop: Header=BB359_266 Depth=1
	v_ffbh_u32_e32 v17, v9
	v_min_u32_e32 v17, 32, v17
	v_subrev_nc_u32_e32 v20, 28, v17
	v_sub_nc_u32_e32 v17, 29, v17
	v_lshlrev_b64 v[44:45], v20, v[9:10]
	v_and_b32_e32 v9, 7, v44
; %bb.323:                              ;   in Loop: Header=BB359_266 Depth=1
	s_or_b32 exec_lo, exec_lo, s17
	v_lshlrev_b32_sdwa v18, v36, v18 dst_sel:DWORD dst_unused:UNUSED_PAD src0_sel:DWORD src1_sel:BYTE_3
	v_lshlrev_b32_e32 v9, 20, v9
	v_lshl_add_u32 v17, v17, 23, 0x3c000000
	v_and_b32_e32 v18, 0x80000000, v18
	v_or3_b32 v9, v9, v18, v17
.LBB359_324:                            ;   in Loop: Header=BB359_266 Depth=1
	s_or_b32 exec_lo, exec_lo, s16
.LBB359_325:                            ;   in Loop: Header=BB359_266 Depth=1
	s_or_b32 exec_lo, exec_lo, s15
.LBB359_326:                            ;   in Loop: Header=BB359_266 Depth=1
	s_or_b32 exec_lo, exec_lo, s0
	s_waitcnt lgkmcnt(0)
	v_mul_f32_e32 v17, s5, v19
	v_mul_f32_e32 v18, s5, v41
	v_mul_f32_e32 v19, s5, v42
	v_mul_f32_e32 v42, s5, v39
	v_mul_f32_e32 v9, s5, v9
	v_bfe_u32 v20, v17, 16, 1
	v_or_b32_e32 v39, 0x400000, v17
	v_bfe_u32 v41, v18, 16, 1
	v_cmp_u_f32_e64 s0, v17, v17
	v_or_b32_e32 v44, 0x400000, v18
	v_add3_u32 v20, v20, v17, 0x7fff
	v_bfe_u32 v45, v19, 16, 1
	v_add3_u32 v41, v41, v18, 0x7fff
	v_or_b32_e32 v47, 0x400000, v19
	v_add_nc_u32_e32 v46, -7, v30
	v_cndmask_b32_e64 v17, v20, v39, s0
	v_cmp_u_f32_e64 s0, v18, v18
	v_bfe_u32 v20, v42, 16, 1
	v_add3_u32 v45, v45, v19, 0x7fff
	v_cmp_eq_u32_e32 vcc_lo, s13, v37
	v_lshrrev_b32_e32 v39, 16, v17
	v_cndmask_b32_e64 v18, v41, v44, s0
	v_cmp_u_f32_e64 s0, v19, v19
	v_mul_f32_e32 v19, s5, v38
	v_add3_u32 v20, v20, v42, 0x7fff
	v_or_b32_e32 v44, 0x400000, v42
	v_lshrrev_b32_e32 v38, 16, v18
	v_cndmask_b32_e64 v17, v45, v47, s0
	v_cmp_u_f32_e64 s0, v42, v42
	v_or_b32_e32 v42, 0x400000, v19
	v_or_b32_e32 v47, 0x400000, v9
	v_add_nc_u32_e32 v52, -6, v30
	v_lshrrev_b32_e32 v41, 16, v17
	v_bfe_u32 v17, v19, 16, 1
	v_cndmask_b32_e64 v18, v20, v44, s0
	v_mul_f32_e32 v20, s5, v40
	v_mul_f32_e32 v40, s5, v43
	v_cmp_u_f32_e64 s0, v19, v19
	v_add3_u32 v17, v17, v19, 0x7fff
	v_bfe_u32 v19, v9, 16, 1
	v_bfe_u32 v43, v20, 16, 1
	;; [unrolled: 1-line block ×3, first 2 shown]
	v_or_b32_e32 v45, 0x400000, v40
	v_cndmask_b32_e64 v17, v17, v42, s0
	v_cmp_u_f32_e64 s0, v20, v20
	v_add3_u32 v42, v43, v20, 0x7fff
	v_or_b32_e32 v43, 0x400000, v20
	v_add3_u32 v44, v44, v40, 0x7fff
	v_add3_u32 v19, v19, v9, 0x7fff
	v_add_nc_u32_e32 v51, -5, v30
	v_add_nc_u32_e32 v50, -4, v30
	v_cndmask_b32_e64 v20, v42, v43, s0
	v_cmp_u_f32_e64 s0, v40, v40
	v_lshrrev_b32_e32 v43, 16, v18
	v_add_nc_u32_e32 v49, -3, v30
	v_add_nc_u32_e32 v48, -2, v30
	v_cndmask_b32_e64 v40, v44, v45, s0
	v_cmp_u_f32_e64 s0, v9, v9
	v_lshrrev_b32_e32 v45, 16, v17
	v_lshrrev_b32_e32 v44, 16, v20
	v_lshrrev_b32_e32 v40, 16, v40
	v_cndmask_b32_e64 v9, v19, v47, s0
	v_add_nc_u32_e32 v47, -1, v30
	v_lshrrev_b32_e32 v42, 16, v9
	s_and_saveexec_b32 s15, vcc_lo
	s_cbranch_execz .LBB359_328
; %bb.327:                              ;   in Loop: Header=BB359_266 Depth=1
	v_cmp_gt_i32_e64 s0, s11, v46
	v_cndmask_b32_e64 v44, 0, v44, s0
	v_cmp_gt_i32_e64 s0, s11, v52
	v_cndmask_b32_e64 v45, 0, v45, s0
	;; [unrolled: 2-line block ×8, first 2 shown]
.LBB359_328:                            ;   in Loop: Header=BB359_266 Depth=1
	s_or_b32 exec_lo, exec_lo, s15
	global_load_dwordx2 v[17:18], v[15:16], off offset:256
	v_mov_b32_e32 v54, 0
	v_mov_b32_e32 v55, 0
	s_waitcnt vmcnt(0)
	v_cmp_ne_u16_sdwa s0, v17, v10 src0_sel:BYTE_0 src1_sel:DWORD
	s_and_saveexec_b32 s15, s0
	s_cbranch_execz .LBB359_334
; %bb.329:                              ;   in Loop: Header=BB359_266 Depth=1
	v_cmp_ne_u16_sdwa s0, v17, v32 src0_sel:BYTE_0 src1_sel:DWORD
	v_bfrev_b32_e32 v55, 1
	s_and_saveexec_b32 s16, s0
	s_cbranch_execz .LBB359_333
; %bb.330:                              ;   in Loop: Header=BB359_266 Depth=1
	v_and_b32_e32 v9, 0x7f, v17
	v_mov_b32_e32 v55, 0x7f800001
	s_mov_b32 s17, exec_lo
	v_cmpx_ne_u32_e32 0x7f, v9
	s_cbranch_execz .LBB359_332
; %bb.331:                              ;   in Loop: Header=BB359_266 Depth=1
	v_and_b32_e32 v19, 7, v17
	v_lshrrev_b32_e32 v20, 3, v9
	v_cmp_gt_u32_e64 s0, 8, v9
	v_ffbh_u32_e32 v19, v19
	v_min_u32_e32 v19, 32, v19
	v_subrev_nc_u32_e32 v53, 28, v19
	v_sub_nc_u32_e32 v19, 29, v19
	v_cndmask_b32_e64 v9, v20, v19, s0
	v_cndmask_b32_e64 v19, 0, v53, s0
	v_lshl_add_u32 v9, v9, 23, 0x3c000000
	v_lshlrev_b64 v[19:20], v19, v[17:18]
	v_lshlrev_b32_e32 v20, 24, v17
	v_lshlrev_b32_e32 v19, 20, v19
	v_and_b32_e32 v20, 0x80000000, v20
	v_and_b32_e32 v19, 0x700000, v19
	v_or3_b32 v55, v19, v20, v9
.LBB359_332:                            ;   in Loop: Header=BB359_266 Depth=1
	s_or_b32 exec_lo, exec_lo, s17
.LBB359_333:                            ;   in Loop: Header=BB359_266 Depth=1
	s_or_b32 exec_lo, exec_lo, s16
.LBB359_334:                            ;   in Loop: Header=BB359_266 Depth=1
	s_or_b32 exec_lo, exec_lo, s15
	v_cmp_ne_u16_sdwa s0, v17, v10 src0_sel:BYTE_1 src1_sel:DWORD
	s_and_saveexec_b32 s15, s0
	s_cbranch_execz .LBB359_342
; %bb.335:                              ;   in Loop: Header=BB359_266 Depth=1
	v_cmp_ne_u16_sdwa s0, v17, v32 src0_sel:BYTE_1 src1_sel:DWORD
	v_bfrev_b32_e32 v54, 1
	s_and_saveexec_b32 s16, s0
	s_cbranch_execz .LBB359_341
; %bb.336:                              ;   in Loop: Header=BB359_266 Depth=1
	v_and_b32_sdwa v9, v33, v17 dst_sel:DWORD dst_unused:UNUSED_PAD src0_sel:DWORD src1_sel:BYTE_1
	v_mov_b32_e32 v54, 0x7f800001
	s_mov_b32 s17, exec_lo
	v_and_b32_e32 v20, 0x7f, v9
	v_cmpx_ne_u32_e32 0x7f, v20
	s_cbranch_execz .LBB359_340
; %bb.337:                              ;   in Loop: Header=BB359_266 Depth=1
	v_and_b32_e32 v9, 7, v9
	v_lshrrev_b32_e32 v19, 3, v20
	s_mov_b32 s18, exec_lo
	v_cmpx_gt_u32_e32 8, v20
; %bb.338:                              ;   in Loop: Header=BB359_266 Depth=1
	v_ffbh_u32_e32 v19, v9
	v_min_u32_e32 v19, 32, v19
	v_subrev_nc_u32_e32 v20, 28, v19
	v_sub_nc_u32_e32 v19, 29, v19
	v_lshlrev_b64 v[53:54], v20, v[9:10]
	v_and_b32_e32 v9, 7, v53
; %bb.339:                              ;   in Loop: Header=BB359_266 Depth=1
	s_or_b32 exec_lo, exec_lo, s18
	v_lshlrev_b32_e32 v20, 16, v17
	v_lshlrev_b32_e32 v9, 20, v9
	v_lshl_add_u32 v19, v19, 23, 0x3c000000
	v_and_b32_e32 v20, 0x80000000, v20
	v_or3_b32 v54, v9, v20, v19
.LBB359_340:                            ;   in Loop: Header=BB359_266 Depth=1
	s_or_b32 exec_lo, exec_lo, s17
.LBB359_341:                            ;   in Loop: Header=BB359_266 Depth=1
	s_or_b32 exec_lo, exec_lo, s16
.LBB359_342:                            ;   in Loop: Header=BB359_266 Depth=1
	s_or_b32 exec_lo, exec_lo, s15
	v_and_b32_sdwa v9, v17, v34 dst_sel:DWORD dst_unused:UNUSED_PAD src0_sel:WORD_1 src1_sel:DWORD
	v_mov_b32_e32 v56, 0
	v_mov_b32_e32 v53, 0
	s_mov_b32 s15, exec_lo
	v_cmpx_ne_u16_e32 0, v9
	s_cbranch_execz .LBB359_350
; %bb.343:                              ;   in Loop: Header=BB359_266 Depth=1
	v_bfrev_b32_e32 v53, 1
	s_mov_b32 s16, exec_lo
	v_cmpx_ne_u16_e32 0x80, v9
	s_cbranch_execz .LBB359_349
; %bb.344:                              ;   in Loop: Header=BB359_266 Depth=1
	v_bfe_u32 v20, v17, 16, 7
	v_mov_b32_e32 v53, 0x7f800001
	s_mov_b32 s17, exec_lo
	v_cmpx_ne_u32_e32 0x7f, v20
	s_cbranch_execz .LBB359_348
; %bb.345:                              ;   in Loop: Header=BB359_266 Depth=1
	v_and_b32_sdwa v9, v17, v35 dst_sel:DWORD dst_unused:UNUSED_PAD src0_sel:WORD_1 src1_sel:DWORD
	v_lshrrev_b32_e32 v19, 3, v20
	s_mov_b32 s18, exec_lo
	v_cmpx_gt_u32_e32 8, v20
; %bb.346:                              ;   in Loop: Header=BB359_266 Depth=1
	v_ffbh_u32_e32 v19, v9
	v_min_u32_e32 v19, 32, v19
	v_subrev_nc_u32_e32 v20, 28, v19
	v_sub_nc_u32_e32 v19, 29, v19
	v_lshlrev_b64 v[57:58], v20, v[9:10]
	v_and_b32_e32 v9, 7, v57
; %bb.347:                              ;   in Loop: Header=BB359_266 Depth=1
	s_or_b32 exec_lo, exec_lo, s18
	v_lshlrev_b32_sdwa v20, v36, v17 dst_sel:DWORD dst_unused:UNUSED_PAD src0_sel:DWORD src1_sel:WORD_1
	v_lshlrev_b32_e32 v9, 20, v9
	v_lshl_add_u32 v19, v19, 23, 0x3c000000
	v_and_b32_e32 v20, 0x80000000, v20
	v_or3_b32 v53, v9, v20, v19
.LBB359_348:                            ;   in Loop: Header=BB359_266 Depth=1
	s_or_b32 exec_lo, exec_lo, s17
.LBB359_349:                            ;   in Loop: Header=BB359_266 Depth=1
	s_or_b32 exec_lo, exec_lo, s16
.LBB359_350:                            ;   in Loop: Header=BB359_266 Depth=1
	s_or_b32 exec_lo, exec_lo, s15
	s_mov_b32 s15, exec_lo
	v_cmpx_lt_u32_e32 0xffffff, v17
	s_cbranch_execz .LBB359_358
; %bb.351:                              ;   in Loop: Header=BB359_266 Depth=1
	v_cmp_ne_u32_sdwa s0, v17, v32 src0_sel:BYTE_3 src1_sel:DWORD
	v_bfrev_b32_e32 v56, 1
	s_and_saveexec_b32 s16, s0
	s_cbranch_execz .LBB359_357
; %bb.352:                              ;   in Loop: Header=BB359_266 Depth=1
	v_bfe_u32 v20, v17, 24, 7
	v_mov_b32_e32 v56, 0x7f800001
	s_mov_b32 s17, exec_lo
	v_cmpx_ne_u32_e32 0x7f, v20
	s_cbranch_execz .LBB359_356
; %bb.353:                              ;   in Loop: Header=BB359_266 Depth=1
	v_and_b32_sdwa v9, v17, v35 dst_sel:DWORD dst_unused:UNUSED_PAD src0_sel:BYTE_3 src1_sel:DWORD
	v_lshrrev_b32_e32 v19, 3, v20
	s_mov_b32 s18, exec_lo
	v_cmpx_gt_u32_e32 8, v20
; %bb.354:                              ;   in Loop: Header=BB359_266 Depth=1
	v_ffbh_u32_e32 v19, v9
	v_min_u32_e32 v19, 32, v19
	v_subrev_nc_u32_e32 v20, 28, v19
	v_sub_nc_u32_e32 v19, 29, v19
	v_lshlrev_b64 v[56:57], v20, v[9:10]
	v_and_b32_e32 v9, 7, v56
; %bb.355:                              ;   in Loop: Header=BB359_266 Depth=1
	s_or_b32 exec_lo, exec_lo, s18
	v_lshlrev_b32_sdwa v20, v36, v17 dst_sel:DWORD dst_unused:UNUSED_PAD src0_sel:DWORD src1_sel:BYTE_3
	v_lshlrev_b32_e32 v9, 20, v9
	v_lshl_add_u32 v19, v19, 23, 0x3c000000
	v_and_b32_e32 v20, 0x80000000, v20
	v_or3_b32 v56, v9, v20, v19
.LBB359_356:                            ;   in Loop: Header=BB359_266 Depth=1
	s_or_b32 exec_lo, exec_lo, s17
.LBB359_357:                            ;   in Loop: Header=BB359_266 Depth=1
	s_or_b32 exec_lo, exec_lo, s16
.LBB359_358:                            ;   in Loop: Header=BB359_266 Depth=1
	s_or_b32 exec_lo, exec_lo, s15
	v_mov_b32_e32 v9, v18
	v_cmp_ne_u16_sdwa s0, v18, v10 src0_sel:BYTE_0 src1_sel:DWORD
	v_mov_b32_e32 v19, 0
	v_mov_b32_e32 v57, 0
	s_and_saveexec_b32 s15, s0
	s_cbranch_execz .LBB359_364
; %bb.359:                              ;   in Loop: Header=BB359_266 Depth=1
	v_cmp_ne_u16_sdwa s0, v18, v32 src0_sel:BYTE_0 src1_sel:DWORD
	v_bfrev_b32_e32 v57, 1
	s_and_saveexec_b32 s16, s0
	s_cbranch_execz .LBB359_363
; %bb.360:                              ;   in Loop: Header=BB359_266 Depth=1
	v_and_b32_e32 v20, 0x7f, v18
	v_mov_b32_e32 v57, 0x7f800001
	s_mov_b32 s17, exec_lo
	v_cmpx_ne_u32_e32 0x7f, v20
	s_cbranch_execz .LBB359_362
; %bb.361:                              ;   in Loop: Header=BB359_266 Depth=1
	v_and_b32_e32 v57, 7, v18
	v_lshrrev_b32_e32 v58, 3, v20
	v_cmp_gt_u32_e64 s0, 8, v20
	v_ffbh_u32_e32 v57, v57
	v_min_u32_e32 v57, 32, v57
	v_subrev_nc_u32_e32 v59, 28, v57
	v_sub_nc_u32_e32 v57, 29, v57
	v_cndmask_b32_e64 v20, v58, v57, s0
	v_cndmask_b32_e64 v57, 0, v59, s0
	v_lshl_add_u32 v20, v20, 23, 0x3c000000
	v_lshlrev_b64 v[57:58], v57, v[9:10]
	v_lshlrev_b32_e32 v58, 24, v9
	v_lshlrev_b32_e32 v57, 20, v57
	v_and_b32_e32 v58, 0x80000000, v58
	v_and_b32_e32 v57, 0x700000, v57
	v_or3_b32 v57, v57, v58, v20
.LBB359_362:                            ;   in Loop: Header=BB359_266 Depth=1
	s_or_b32 exec_lo, exec_lo, s17
.LBB359_363:                            ;   in Loop: Header=BB359_266 Depth=1
	s_or_b32 exec_lo, exec_lo, s16
.LBB359_364:                            ;   in Loop: Header=BB359_266 Depth=1
	s_or_b32 exec_lo, exec_lo, s15
	v_cmp_ne_u16_sdwa s0, v9, v10 src0_sel:BYTE_1 src1_sel:DWORD
	s_and_saveexec_b32 s15, s0
	s_cbranch_execz .LBB359_372
; %bb.365:                              ;   in Loop: Header=BB359_266 Depth=1
	v_cmp_ne_u16_sdwa s0, v9, v32 src0_sel:BYTE_1 src1_sel:DWORD
	v_bfrev_b32_e32 v19, 1
	s_and_saveexec_b32 s16, s0
	s_cbranch_execz .LBB359_371
; %bb.366:                              ;   in Loop: Header=BB359_266 Depth=1
	v_and_b32_sdwa v20, v33, v9 dst_sel:DWORD dst_unused:UNUSED_PAD src0_sel:DWORD src1_sel:BYTE_1
	v_mov_b32_e32 v19, 0x7f800001
	s_mov_b32 s17, exec_lo
	v_and_b32_e32 v59, 0x7f, v20
	v_cmpx_ne_u32_e32 0x7f, v59
	s_cbranch_execz .LBB359_370
; %bb.367:                              ;   in Loop: Header=BB359_266 Depth=1
	v_and_b32_e32 v19, 7, v20
	v_mov_b32_e32 v20, v10
	v_lshrrev_b32_e32 v58, 3, v59
	s_mov_b32 s18, exec_lo
	v_cmpx_gt_u32_e32 8, v59
; %bb.368:                              ;   in Loop: Header=BB359_266 Depth=1
	v_ffbh_u32_e32 v58, v19
	v_min_u32_e32 v58, 32, v58
	v_subrev_nc_u32_e32 v59, 28, v58
	v_sub_nc_u32_e32 v58, 29, v58
	v_lshlrev_b64 v[19:20], v59, v[19:20]
	v_and_b32_e32 v19, 7, v19
; %bb.369:                              ;   in Loop: Header=BB359_266 Depth=1
	s_or_b32 exec_lo, exec_lo, s18
	v_lshlrev_b32_e32 v9, 16, v9
	v_lshlrev_b32_e32 v19, 20, v19
	v_lshl_add_u32 v20, v58, 23, 0x3c000000
	v_and_b32_e32 v9, 0x80000000, v9
	v_or3_b32 v19, v19, v9, v20
.LBB359_370:                            ;   in Loop: Header=BB359_266 Depth=1
	s_or_b32 exec_lo, exec_lo, s17
.LBB359_371:                            ;   in Loop: Header=BB359_266 Depth=1
	s_or_b32 exec_lo, exec_lo, s16
.LBB359_372:                            ;   in Loop: Header=BB359_266 Depth=1
	s_or_b32 exec_lo, exec_lo, s15
	v_and_b32_sdwa v9, v18, v34 dst_sel:DWORD dst_unused:UNUSED_PAD src0_sel:WORD_1 src1_sel:DWORD
	v_mov_b32_e32 v20, 0
	v_mov_b32_e32 v58, 0
	s_mov_b32 s15, exec_lo
	v_cmpx_ne_u16_e32 0, v9
	s_cbranch_execz .LBB359_380
; %bb.373:                              ;   in Loop: Header=BB359_266 Depth=1
	v_bfrev_b32_e32 v58, 1
	s_mov_b32 s16, exec_lo
	v_cmpx_ne_u16_e32 0x80, v9
	s_cbranch_execz .LBB359_379
; %bb.374:                              ;   in Loop: Header=BB359_266 Depth=1
	v_bfe_u32 v59, v18, 16, 7
	v_mov_b32_e32 v58, 0x7f800001
	s_mov_b32 s17, exec_lo
	v_cmpx_ne_u32_e32 0x7f, v59
	s_cbranch_execz .LBB359_378
; %bb.375:                              ;   in Loop: Header=BB359_266 Depth=1
	v_and_b32_sdwa v9, v18, v35 dst_sel:DWORD dst_unused:UNUSED_PAD src0_sel:WORD_1 src1_sel:DWORD
	v_lshrrev_b32_e32 v58, 3, v59
	s_mov_b32 s18, exec_lo
	v_cmpx_gt_u32_e32 8, v59
; %bb.376:                              ;   in Loop: Header=BB359_266 Depth=1
	v_ffbh_u32_e32 v58, v9
	v_min_u32_e32 v58, 32, v58
	v_subrev_nc_u32_e32 v59, 28, v58
	v_sub_nc_u32_e32 v58, 29, v58
	v_lshlrev_b64 v[59:60], v59, v[9:10]
	v_and_b32_e32 v9, 7, v59
; %bb.377:                              ;   in Loop: Header=BB359_266 Depth=1
	s_or_b32 exec_lo, exec_lo, s18
	v_lshlrev_b32_sdwa v59, v36, v18 dst_sel:DWORD dst_unused:UNUSED_PAD src0_sel:DWORD src1_sel:WORD_1
	v_lshlrev_b32_e32 v9, 20, v9
	v_lshl_add_u32 v58, v58, 23, 0x3c000000
	v_and_b32_e32 v59, 0x80000000, v59
	v_or3_b32 v58, v9, v59, v58
.LBB359_378:                            ;   in Loop: Header=BB359_266 Depth=1
	s_or_b32 exec_lo, exec_lo, s17
.LBB359_379:                            ;   in Loop: Header=BB359_266 Depth=1
	s_or_b32 exec_lo, exec_lo, s16
.LBB359_380:                            ;   in Loop: Header=BB359_266 Depth=1
	s_or_b32 exec_lo, exec_lo, s15
	s_mov_b32 s15, exec_lo
	v_cmpx_lt_u64_e64 s[2:3], v[17:18]
	s_cbranch_execz .LBB359_388
; %bb.381:                              ;   in Loop: Header=BB359_266 Depth=1
	v_cmp_ne_u32_sdwa s0, v18, v32 src0_sel:BYTE_3 src1_sel:DWORD
	v_bfrev_b32_e32 v20, 1
	s_and_saveexec_b32 s16, s0
	s_cbranch_execz .LBB359_387
; %bb.382:                              ;   in Loop: Header=BB359_266 Depth=1
	v_bfe_u32 v59, v18, 24, 7
	v_mov_b32_e32 v20, 0x7f800001
	s_mov_b32 s17, exec_lo
	v_cmpx_ne_u32_e32 0x7f, v59
	s_cbranch_execz .LBB359_386
; %bb.383:                              ;   in Loop: Header=BB359_266 Depth=1
	v_and_b32_sdwa v9, v18, v35 dst_sel:DWORD dst_unused:UNUSED_PAD src0_sel:BYTE_3 src1_sel:DWORD
	v_lshrrev_b32_e32 v17, 3, v59
	s_mov_b32 s18, exec_lo
	v_cmpx_gt_u32_e32 8, v59
; %bb.384:                              ;   in Loop: Header=BB359_266 Depth=1
	v_ffbh_u32_e32 v17, v9
	v_min_u32_e32 v17, 32, v17
	v_subrev_nc_u32_e32 v20, 28, v17
	v_sub_nc_u32_e32 v17, 29, v17
	v_lshlrev_b64 v[59:60], v20, v[9:10]
	v_and_b32_e32 v9, 7, v59
; %bb.385:                              ;   in Loop: Header=BB359_266 Depth=1
	s_or_b32 exec_lo, exec_lo, s18
	v_lshlrev_b32_sdwa v18, v36, v18 dst_sel:DWORD dst_unused:UNUSED_PAD src0_sel:DWORD src1_sel:BYTE_3
	v_lshlrev_b32_e32 v9, 20, v9
	v_lshl_add_u32 v17, v17, 23, 0x3c000000
	v_and_b32_e32 v18, 0x80000000, v18
	v_or3_b32 v20, v9, v18, v17
.LBB359_386:                            ;   in Loop: Header=BB359_266 Depth=1
	s_or_b32 exec_lo, exec_lo, s17
.LBB359_387:                            ;   in Loop: Header=BB359_266 Depth=1
	s_or_b32 exec_lo, exec_lo, s16
.LBB359_388:                            ;   in Loop: Header=BB359_266 Depth=1
	s_or_b32 exec_lo, exec_lo, s15
	v_mul_f32_e32 v9, s5, v19
	v_mul_f32_e32 v17, s5, v57
	;; [unrolled: 1-line block ×5, first 2 shown]
	v_bfe_u32 v53, v9, 16, 1
	v_or_b32_e32 v56, 0x400000, v9
	v_bfe_u32 v57, v17, 16, 1
	v_cmp_u_f32_e64 s0, v9, v9
	v_or_b32_e32 v59, 0x400000, v17
	v_add3_u32 v53, v53, v9, 0x7fff
	v_bfe_u32 v60, v18, 16, 1
	v_add3_u32 v57, v57, v17, 0x7fff
	v_or_b32_e32 v61, 0x400000, v18
	v_bfe_u32 v62, v19, 16, 1
	v_cndmask_b32_e64 v9, v53, v56, s0
	v_cmp_u_f32_e64 s0, v17, v17
	v_add3_u32 v60, v60, v18, 0x7fff
	v_lshrrev_b32_e32 v53, 16, v9
	v_cndmask_b32_e64 v17, v57, v59, s0
	v_cmp_u_f32_e64 s0, v18, v18
	v_mul_f32_e32 v9, s5, v54
	v_add3_u32 v57, v62, v19, 0x7fff
	v_or_b32_e32 v59, 0x400000, v19
	v_lshrrev_b32_e32 v54, 16, v17
	v_cndmask_b32_e64 v18, v60, v61, s0
	v_bfe_u32 v17, v9, 16, 1
	v_cmp_u_f32_e64 s0, v19, v19
	v_mul_f32_e32 v19, s5, v55
	v_mul_f32_e32 v55, s5, v58
	v_lshrrev_b32_e32 v56, 16, v18
	v_add3_u32 v17, v17, v9, 0x7fff
	v_cndmask_b32_e64 v18, v57, v59, s0
	v_or_b32_e32 v57, 0x400000, v9
	v_bfe_u32 v58, v19, 16, 1
	v_cmp_u_f32_e64 s0, v9, v9
	v_bfe_u32 v59, v55, 16, 1
	v_or_b32_e32 v60, 0x400000, v55
	v_or_b32_e32 v61, 0x400000, v20
	v_cndmask_b32_e64 v9, v17, v57, s0
	v_add3_u32 v57, v58, v19, 0x7fff
	v_or_b32_e32 v58, 0x400000, v19
	v_cmp_u_f32_e64 s0, v19, v19
	v_bfe_u32 v17, v20, 16, 1
	v_add3_u32 v59, v59, v55, 0x7fff
	v_cndmask_b32_e64 v19, v57, v58, s0
	v_cmp_u_f32_e64 s0, v55, v55
	v_add3_u32 v17, v17, v20, 0x7fff
	v_lshrrev_b32_e32 v58, 16, v18
	v_cndmask_b32_e64 v55, v59, v60, s0
	v_cmp_u_f32_e64 s0, v20, v20
	v_lshrrev_b32_e32 v60, 16, v9
	v_lshrrev_b32_e32 v59, 16, v19
	v_lshrrev_b32_e32 v55, 16, v55
	v_cndmask_b32_e64 v17, v17, v61, s0
	v_lshrrev_b32_e32 v57, 16, v17
	s_and_saveexec_b32 s15, vcc_lo
	s_cbranch_execz .LBB359_390
; %bb.389:                              ;   in Loop: Header=BB359_266 Depth=1
	v_cmp_gt_i32_e64 s0, s11, v46
	v_cndmask_b32_e64 v59, 0, v59, s0
	v_cmp_gt_i32_e64 s0, s11, v52
	v_cndmask_b32_e64 v60, 0, v60, s0
	v_cmp_gt_i32_e64 s0, s11, v51
	v_cndmask_b32_e64 v58, 0, v58, s0
	v_cmp_gt_i32_e64 s0, s11, v50
	v_cndmask_b32_e64 v56, 0, v56, s0
	v_cmp_gt_i32_e64 s0, s11, v49
	v_cndmask_b32_e64 v54, 0, v54, s0
	v_cmp_gt_i32_e64 s0, s11, v48
	v_cndmask_b32_e64 v53, 0, v53, s0
	v_cmp_gt_i32_e64 s0, s11, v47
	v_cndmask_b32_e64 v55, 0, v55, s0
	v_cmp_gt_i32_e64 s0, s11, v30
	v_cndmask_b32_e64 v57, 0, v57, s0
.LBB359_390:                            ;   in Loop: Header=BB359_266 Depth=1
	s_or_b32 exec_lo, exec_lo, s15
	global_load_dwordx2 v[17:18], v[15:16], off offset:512
	v_mov_b32_e32 v62, 0
	v_mov_b32_e32 v61, 0
	s_waitcnt vmcnt(0)
	v_cmp_ne_u16_sdwa s0, v17, v10 src0_sel:BYTE_0 src1_sel:DWORD
	s_and_saveexec_b32 s15, s0
	s_cbranch_execz .LBB359_396
; %bb.391:                              ;   in Loop: Header=BB359_266 Depth=1
	v_cmp_ne_u16_sdwa s0, v17, v32 src0_sel:BYTE_0 src1_sel:DWORD
	v_bfrev_b32_e32 v61, 1
	s_and_saveexec_b32 s16, s0
	s_cbranch_execz .LBB359_395
; %bb.392:                              ;   in Loop: Header=BB359_266 Depth=1
	v_and_b32_e32 v9, 0x7f, v17
	v_mov_b32_e32 v61, 0x7f800001
	s_mov_b32 s17, exec_lo
	v_cmpx_ne_u32_e32 0x7f, v9
	s_cbranch_execz .LBB359_394
; %bb.393:                              ;   in Loop: Header=BB359_266 Depth=1
	v_and_b32_e32 v19, 7, v17
	v_lshrrev_b32_e32 v20, 3, v9
	v_cmp_gt_u32_e64 s0, 8, v9
	v_ffbh_u32_e32 v19, v19
	v_min_u32_e32 v19, 32, v19
	v_subrev_nc_u32_e32 v61, 28, v19
	v_sub_nc_u32_e32 v19, 29, v19
	v_cndmask_b32_e64 v9, v20, v19, s0
	v_cndmask_b32_e64 v19, 0, v61, s0
	v_lshl_add_u32 v9, v9, 23, 0x3c000000
	v_lshlrev_b64 v[19:20], v19, v[17:18]
	v_lshlrev_b32_e32 v20, 24, v17
	v_lshlrev_b32_e32 v19, 20, v19
	v_and_b32_e32 v20, 0x80000000, v20
	v_and_b32_e32 v19, 0x700000, v19
	v_or3_b32 v61, v19, v20, v9
.LBB359_394:                            ;   in Loop: Header=BB359_266 Depth=1
	s_or_b32 exec_lo, exec_lo, s17
.LBB359_395:                            ;   in Loop: Header=BB359_266 Depth=1
	s_or_b32 exec_lo, exec_lo, s16
.LBB359_396:                            ;   in Loop: Header=BB359_266 Depth=1
	s_or_b32 exec_lo, exec_lo, s15
	v_cmp_ne_u16_sdwa s0, v17, v10 src0_sel:BYTE_1 src1_sel:DWORD
	s_and_saveexec_b32 s15, s0
	s_cbranch_execz .LBB359_404
; %bb.397:                              ;   in Loop: Header=BB359_266 Depth=1
	v_cmp_ne_u16_sdwa s0, v17, v32 src0_sel:BYTE_1 src1_sel:DWORD
	v_bfrev_b32_e32 v62, 1
	s_and_saveexec_b32 s16, s0
	s_cbranch_execz .LBB359_403
; %bb.398:                              ;   in Loop: Header=BB359_266 Depth=1
	v_and_b32_sdwa v9, v33, v17 dst_sel:DWORD dst_unused:UNUSED_PAD src0_sel:DWORD src1_sel:BYTE_1
	v_mov_b32_e32 v62, 0x7f800001
	s_mov_b32 s17, exec_lo
	v_and_b32_e32 v20, 0x7f, v9
	v_cmpx_ne_u32_e32 0x7f, v20
	s_cbranch_execz .LBB359_402
; %bb.399:                              ;   in Loop: Header=BB359_266 Depth=1
	v_and_b32_e32 v9, 7, v9
	v_lshrrev_b32_e32 v19, 3, v20
	s_mov_b32 s18, exec_lo
	v_cmpx_gt_u32_e32 8, v20
; %bb.400:                              ;   in Loop: Header=BB359_266 Depth=1
	v_ffbh_u32_e32 v19, v9
	v_min_u32_e32 v19, 32, v19
	v_subrev_nc_u32_e32 v20, 28, v19
	v_sub_nc_u32_e32 v19, 29, v19
	v_lshlrev_b64 v[62:63], v20, v[9:10]
	v_and_b32_e32 v9, 7, v62
; %bb.401:                              ;   in Loop: Header=BB359_266 Depth=1
	s_or_b32 exec_lo, exec_lo, s18
	v_lshlrev_b32_e32 v20, 16, v17
	v_lshlrev_b32_e32 v9, 20, v9
	v_lshl_add_u32 v19, v19, 23, 0x3c000000
	v_and_b32_e32 v20, 0x80000000, v20
	v_or3_b32 v62, v9, v20, v19
.LBB359_402:                            ;   in Loop: Header=BB359_266 Depth=1
	s_or_b32 exec_lo, exec_lo, s17
.LBB359_403:                            ;   in Loop: Header=BB359_266 Depth=1
	s_or_b32 exec_lo, exec_lo, s16
.LBB359_404:                            ;   in Loop: Header=BB359_266 Depth=1
	s_or_b32 exec_lo, exec_lo, s15
	v_and_b32_sdwa v9, v17, v34 dst_sel:DWORD dst_unused:UNUSED_PAD src0_sel:WORD_1 src1_sel:DWORD
	v_mov_b32_e32 v64, 0
	v_mov_b32_e32 v63, 0
	s_mov_b32 s15, exec_lo
	v_cmpx_ne_u16_e32 0, v9
	s_cbranch_execz .LBB359_412
; %bb.405:                              ;   in Loop: Header=BB359_266 Depth=1
	v_bfrev_b32_e32 v63, 1
	s_mov_b32 s16, exec_lo
	v_cmpx_ne_u16_e32 0x80, v9
	s_cbranch_execz .LBB359_411
; %bb.406:                              ;   in Loop: Header=BB359_266 Depth=1
	v_bfe_u32 v20, v17, 16, 7
	v_mov_b32_e32 v63, 0x7f800001
	s_mov_b32 s17, exec_lo
	v_cmpx_ne_u32_e32 0x7f, v20
	s_cbranch_execz .LBB359_410
; %bb.407:                              ;   in Loop: Header=BB359_266 Depth=1
	v_and_b32_sdwa v9, v17, v35 dst_sel:DWORD dst_unused:UNUSED_PAD src0_sel:WORD_1 src1_sel:DWORD
	v_lshrrev_b32_e32 v19, 3, v20
	s_mov_b32 s18, exec_lo
	v_cmpx_gt_u32_e32 8, v20
; %bb.408:                              ;   in Loop: Header=BB359_266 Depth=1
	v_ffbh_u32_e32 v19, v9
	v_min_u32_e32 v19, 32, v19
	v_subrev_nc_u32_e32 v20, 28, v19
	v_sub_nc_u32_e32 v19, 29, v19
	v_lshlrev_b64 v[65:66], v20, v[9:10]
	v_and_b32_e32 v9, 7, v65
; %bb.409:                              ;   in Loop: Header=BB359_266 Depth=1
	s_or_b32 exec_lo, exec_lo, s18
	v_lshlrev_b32_sdwa v20, v36, v17 dst_sel:DWORD dst_unused:UNUSED_PAD src0_sel:DWORD src1_sel:WORD_1
	v_lshlrev_b32_e32 v9, 20, v9
	v_lshl_add_u32 v19, v19, 23, 0x3c000000
	v_and_b32_e32 v20, 0x80000000, v20
	v_or3_b32 v63, v9, v20, v19
.LBB359_410:                            ;   in Loop: Header=BB359_266 Depth=1
	s_or_b32 exec_lo, exec_lo, s17
.LBB359_411:                            ;   in Loop: Header=BB359_266 Depth=1
	s_or_b32 exec_lo, exec_lo, s16
.LBB359_412:                            ;   in Loop: Header=BB359_266 Depth=1
	s_or_b32 exec_lo, exec_lo, s15
	s_mov_b32 s15, exec_lo
	v_cmpx_lt_u32_e32 0xffffff, v17
	s_cbranch_execz .LBB359_420
; %bb.413:                              ;   in Loop: Header=BB359_266 Depth=1
	v_cmp_ne_u32_sdwa s0, v17, v32 src0_sel:BYTE_3 src1_sel:DWORD
	v_bfrev_b32_e32 v64, 1
	s_and_saveexec_b32 s16, s0
	s_cbranch_execz .LBB359_419
; %bb.414:                              ;   in Loop: Header=BB359_266 Depth=1
	v_bfe_u32 v20, v17, 24, 7
	v_mov_b32_e32 v64, 0x7f800001
	s_mov_b32 s17, exec_lo
	v_cmpx_ne_u32_e32 0x7f, v20
	s_cbranch_execz .LBB359_418
; %bb.415:                              ;   in Loop: Header=BB359_266 Depth=1
	v_and_b32_sdwa v9, v17, v35 dst_sel:DWORD dst_unused:UNUSED_PAD src0_sel:BYTE_3 src1_sel:DWORD
	v_lshrrev_b32_e32 v19, 3, v20
	s_mov_b32 s18, exec_lo
	v_cmpx_gt_u32_e32 8, v20
; %bb.416:                              ;   in Loop: Header=BB359_266 Depth=1
	v_ffbh_u32_e32 v19, v9
	v_min_u32_e32 v19, 32, v19
	v_subrev_nc_u32_e32 v20, 28, v19
	v_sub_nc_u32_e32 v19, 29, v19
	v_lshlrev_b64 v[64:65], v20, v[9:10]
	v_and_b32_e32 v9, 7, v64
; %bb.417:                              ;   in Loop: Header=BB359_266 Depth=1
	s_or_b32 exec_lo, exec_lo, s18
	v_lshlrev_b32_sdwa v20, v36, v17 dst_sel:DWORD dst_unused:UNUSED_PAD src0_sel:DWORD src1_sel:BYTE_3
	v_lshlrev_b32_e32 v9, 20, v9
	v_lshl_add_u32 v19, v19, 23, 0x3c000000
	v_and_b32_e32 v20, 0x80000000, v20
	v_or3_b32 v64, v9, v20, v19
.LBB359_418:                            ;   in Loop: Header=BB359_266 Depth=1
	s_or_b32 exec_lo, exec_lo, s17
.LBB359_419:                            ;   in Loop: Header=BB359_266 Depth=1
	s_or_b32 exec_lo, exec_lo, s16
.LBB359_420:                            ;   in Loop: Header=BB359_266 Depth=1
	s_or_b32 exec_lo, exec_lo, s15
	v_mov_b32_e32 v9, v18
	v_cmp_ne_u16_sdwa s0, v18, v10 src0_sel:BYTE_0 src1_sel:DWORD
	v_mov_b32_e32 v19, 0
	v_mov_b32_e32 v65, 0
	s_and_saveexec_b32 s15, s0
	s_cbranch_execz .LBB359_426
; %bb.421:                              ;   in Loop: Header=BB359_266 Depth=1
	v_cmp_ne_u16_sdwa s0, v18, v32 src0_sel:BYTE_0 src1_sel:DWORD
	v_bfrev_b32_e32 v65, 1
	s_and_saveexec_b32 s16, s0
	s_cbranch_execz .LBB359_425
; %bb.422:                              ;   in Loop: Header=BB359_266 Depth=1
	v_and_b32_e32 v20, 0x7f, v18
	v_mov_b32_e32 v65, 0x7f800001
	s_mov_b32 s17, exec_lo
	v_cmpx_ne_u32_e32 0x7f, v20
	s_cbranch_execz .LBB359_424
; %bb.423:                              ;   in Loop: Header=BB359_266 Depth=1
	v_and_b32_e32 v65, 7, v18
	v_lshrrev_b32_e32 v66, 3, v20
	v_cmp_gt_u32_e64 s0, 8, v20
	v_ffbh_u32_e32 v65, v65
	v_min_u32_e32 v65, 32, v65
	v_subrev_nc_u32_e32 v67, 28, v65
	v_sub_nc_u32_e32 v65, 29, v65
	v_cndmask_b32_e64 v20, v66, v65, s0
	v_cndmask_b32_e64 v65, 0, v67, s0
	v_lshl_add_u32 v20, v20, 23, 0x3c000000
	v_lshlrev_b64 v[65:66], v65, v[9:10]
	v_lshlrev_b32_e32 v66, 24, v9
	v_lshlrev_b32_e32 v65, 20, v65
	v_and_b32_e32 v66, 0x80000000, v66
	v_and_b32_e32 v65, 0x700000, v65
	v_or3_b32 v65, v65, v66, v20
.LBB359_424:                            ;   in Loop: Header=BB359_266 Depth=1
	s_or_b32 exec_lo, exec_lo, s17
.LBB359_425:                            ;   in Loop: Header=BB359_266 Depth=1
	s_or_b32 exec_lo, exec_lo, s16
.LBB359_426:                            ;   in Loop: Header=BB359_266 Depth=1
	s_or_b32 exec_lo, exec_lo, s15
	v_cmp_ne_u16_sdwa s0, v9, v10 src0_sel:BYTE_1 src1_sel:DWORD
	s_and_saveexec_b32 s15, s0
	s_cbranch_execz .LBB359_434
; %bb.427:                              ;   in Loop: Header=BB359_266 Depth=1
	v_cmp_ne_u16_sdwa s0, v9, v32 src0_sel:BYTE_1 src1_sel:DWORD
	v_bfrev_b32_e32 v19, 1
	s_and_saveexec_b32 s16, s0
	s_cbranch_execz .LBB359_433
; %bb.428:                              ;   in Loop: Header=BB359_266 Depth=1
	v_and_b32_sdwa v20, v33, v9 dst_sel:DWORD dst_unused:UNUSED_PAD src0_sel:DWORD src1_sel:BYTE_1
	v_mov_b32_e32 v19, 0x7f800001
	s_mov_b32 s17, exec_lo
	v_and_b32_e32 v67, 0x7f, v20
	v_cmpx_ne_u32_e32 0x7f, v67
	s_cbranch_execz .LBB359_432
; %bb.429:                              ;   in Loop: Header=BB359_266 Depth=1
	v_and_b32_e32 v19, 7, v20
	v_mov_b32_e32 v20, v10
	v_lshrrev_b32_e32 v66, 3, v67
	s_mov_b32 s18, exec_lo
	v_cmpx_gt_u32_e32 8, v67
; %bb.430:                              ;   in Loop: Header=BB359_266 Depth=1
	v_ffbh_u32_e32 v66, v19
	v_min_u32_e32 v66, 32, v66
	v_subrev_nc_u32_e32 v67, 28, v66
	v_sub_nc_u32_e32 v66, 29, v66
	v_lshlrev_b64 v[19:20], v67, v[19:20]
	v_and_b32_e32 v19, 7, v19
; %bb.431:                              ;   in Loop: Header=BB359_266 Depth=1
	s_or_b32 exec_lo, exec_lo, s18
	v_lshlrev_b32_e32 v9, 16, v9
	v_lshlrev_b32_e32 v19, 20, v19
	v_lshl_add_u32 v20, v66, 23, 0x3c000000
	v_and_b32_e32 v9, 0x80000000, v9
	v_or3_b32 v19, v19, v9, v20
.LBB359_432:                            ;   in Loop: Header=BB359_266 Depth=1
	s_or_b32 exec_lo, exec_lo, s17
.LBB359_433:                            ;   in Loop: Header=BB359_266 Depth=1
	s_or_b32 exec_lo, exec_lo, s16
.LBB359_434:                            ;   in Loop: Header=BB359_266 Depth=1
	s_or_b32 exec_lo, exec_lo, s15
	v_and_b32_sdwa v9, v18, v34 dst_sel:DWORD dst_unused:UNUSED_PAD src0_sel:WORD_1 src1_sel:DWORD
	v_mov_b32_e32 v66, 0
	v_mov_b32_e32 v67, 0
	s_mov_b32 s15, exec_lo
	v_cmpx_ne_u16_e32 0, v9
	s_cbranch_execz .LBB359_442
; %bb.435:                              ;   in Loop: Header=BB359_266 Depth=1
	v_bfrev_b32_e32 v67, 1
	s_mov_b32 s16, exec_lo
	v_cmpx_ne_u16_e32 0x80, v9
	s_cbranch_execz .LBB359_441
; %bb.436:                              ;   in Loop: Header=BB359_266 Depth=1
	v_bfe_u32 v68, v18, 16, 7
	v_mov_b32_e32 v67, 0x7f800001
	s_mov_b32 s17, exec_lo
	v_cmpx_ne_u32_e32 0x7f, v68
	s_cbranch_execz .LBB359_440
; %bb.437:                              ;   in Loop: Header=BB359_266 Depth=1
	v_and_b32_sdwa v9, v18, v35 dst_sel:DWORD dst_unused:UNUSED_PAD src0_sel:WORD_1 src1_sel:DWORD
	v_lshrrev_b32_e32 v20, 3, v68
	s_mov_b32 s18, exec_lo
	v_cmpx_gt_u32_e32 8, v68
; %bb.438:                              ;   in Loop: Header=BB359_266 Depth=1
	v_ffbh_u32_e32 v20, v9
	v_min_u32_e32 v20, 32, v20
	v_subrev_nc_u32_e32 v67, 28, v20
	v_sub_nc_u32_e32 v20, 29, v20
	v_lshlrev_b64 v[67:68], v67, v[9:10]
	v_and_b32_e32 v9, 7, v67
; %bb.439:                              ;   in Loop: Header=BB359_266 Depth=1
	s_or_b32 exec_lo, exec_lo, s18
	v_lshlrev_b32_sdwa v67, v36, v18 dst_sel:DWORD dst_unused:UNUSED_PAD src0_sel:DWORD src1_sel:WORD_1
	v_lshlrev_b32_e32 v9, 20, v9
	v_lshl_add_u32 v20, v20, 23, 0x3c000000
	v_and_b32_e32 v67, 0x80000000, v67
	v_or3_b32 v67, v9, v67, v20
.LBB359_440:                            ;   in Loop: Header=BB359_266 Depth=1
	s_or_b32 exec_lo, exec_lo, s17
.LBB359_441:                            ;   in Loop: Header=BB359_266 Depth=1
	s_or_b32 exec_lo, exec_lo, s16
.LBB359_442:                            ;   in Loop: Header=BB359_266 Depth=1
	s_or_b32 exec_lo, exec_lo, s15
	s_mov_b32 s15, exec_lo
	v_cmpx_lt_u64_e64 s[2:3], v[17:18]
	s_cbranch_execz .LBB359_450
; %bb.443:                              ;   in Loop: Header=BB359_266 Depth=1
	v_cmp_ne_u32_sdwa s0, v18, v32 src0_sel:BYTE_3 src1_sel:DWORD
	v_bfrev_b32_e32 v66, 1
	s_and_saveexec_b32 s16, s0
	s_cbranch_execz .LBB359_449
; %bb.444:                              ;   in Loop: Header=BB359_266 Depth=1
	v_bfe_u32 v20, v18, 24, 7
	v_mov_b32_e32 v66, 0x7f800001
	s_mov_b32 s17, exec_lo
	v_cmpx_ne_u32_e32 0x7f, v20
	s_cbranch_execz .LBB359_448
; %bb.445:                              ;   in Loop: Header=BB359_266 Depth=1
	v_and_b32_sdwa v9, v18, v35 dst_sel:DWORD dst_unused:UNUSED_PAD src0_sel:BYTE_3 src1_sel:DWORD
	v_lshrrev_b32_e32 v17, 3, v20
	s_mov_b32 s18, exec_lo
	v_cmpx_gt_u32_e32 8, v20
; %bb.446:                              ;   in Loop: Header=BB359_266 Depth=1
	v_ffbh_u32_e32 v17, v9
	v_min_u32_e32 v17, 32, v17
	v_subrev_nc_u32_e32 v20, 28, v17
	v_sub_nc_u32_e32 v17, 29, v17
	v_lshlrev_b64 v[68:69], v20, v[9:10]
	v_and_b32_e32 v9, 7, v68
; %bb.447:                              ;   in Loop: Header=BB359_266 Depth=1
	s_or_b32 exec_lo, exec_lo, s18
	v_lshlrev_b32_sdwa v18, v36, v18 dst_sel:DWORD dst_unused:UNUSED_PAD src0_sel:DWORD src1_sel:BYTE_3
	v_lshlrev_b32_e32 v9, 20, v9
	v_lshl_add_u32 v17, v17, 23, 0x3c000000
	v_and_b32_e32 v18, 0x80000000, v18
	v_or3_b32 v66, v9, v18, v17
.LBB359_448:                            ;   in Loop: Header=BB359_266 Depth=1
	s_or_b32 exec_lo, exec_lo, s17
.LBB359_449:                            ;   in Loop: Header=BB359_266 Depth=1
	s_or_b32 exec_lo, exec_lo, s16
.LBB359_450:                            ;   in Loop: Header=BB359_266 Depth=1
	s_or_b32 exec_lo, exec_lo, s15
	v_mul_f32_e32 v9, s5, v19
	v_mul_f32_e32 v17, s5, v65
	v_mul_f32_e32 v18, s5, v64
	v_mul_f32_e32 v64, s5, v63
	v_mul_f32_e32 v61, s5, v61
	v_bfe_u32 v19, v9, 16, 1
	v_or_b32_e32 v20, 0x400000, v9
	v_bfe_u32 v63, v17, 16, 1
	v_cmp_u_f32_e64 s0, v9, v9
	v_or_b32_e32 v65, 0x400000, v17
	v_add3_u32 v19, v19, v9, 0x7fff
	v_bfe_u32 v68, v18, 16, 1
	v_add3_u32 v63, v63, v17, 0x7fff
	v_or_b32_e32 v69, 0x400000, v18
	v_bfe_u32 v70, v64, 16, 1
	v_cndmask_b32_e64 v9, v19, v20, s0
	v_cmp_u_f32_e64 s0, v17, v17
	v_add3_u32 v68, v68, v18, 0x7fff
	v_lshrrev_b32_e32 v19, 16, v9
	v_cndmask_b32_e64 v17, v63, v65, s0
	v_cmp_u_f32_e64 s0, v18, v18
	v_mul_f32_e32 v9, s5, v62
	v_add3_u32 v62, v70, v64, 0x7fff
	v_or_b32_e32 v65, 0x400000, v64
	v_lshrrev_b32_e32 v20, 16, v17
	v_cndmask_b32_e64 v18, v68, v69, s0
	v_bfe_u32 v17, v9, 16, 1
	v_cmp_u_f32_e64 s0, v64, v64
	v_or_b32_e32 v64, 0x400000, v9
	v_lshrrev_b32_e32 v63, 16, v18
	v_add3_u32 v17, v17, v9, 0x7fff
	v_cndmask_b32_e64 v18, v62, v65, s0
	v_mul_f32_e32 v62, s5, v67
	v_mul_f32_e32 v65, s5, v66
	v_bfe_u32 v66, v61, 16, 1
	v_cmp_u_f32_e64 s0, v9, v9
	v_bfe_u32 v67, v62, 16, 1
	v_or_b32_e32 v68, 0x400000, v62
	v_or_b32_e32 v69, 0x400000, v65
	v_cndmask_b32_e64 v9, v17, v64, s0
	v_add3_u32 v64, v66, v61, 0x7fff
	v_or_b32_e32 v66, 0x400000, v61
	v_cmp_u_f32_e64 s0, v61, v61
	v_bfe_u32 v17, v65, 16, 1
	v_add3_u32 v67, v67, v62, 0x7fff
	v_cndmask_b32_e64 v61, v64, v66, s0
	v_cmp_u_f32_e64 s0, v62, v62
	v_add3_u32 v17, v17, v65, 0x7fff
	v_lshrrev_b32_e32 v64, 16, v18
	v_lshrrev_b32_e32 v66, 16, v9
	v_cndmask_b32_e64 v62, v67, v68, s0
	v_cmp_u_f32_e64 s0, v65, v65
	v_lshrrev_b32_e32 v65, 16, v61
	v_lshrrev_b32_e32 v61, 16, v62
	v_cndmask_b32_e64 v17, v17, v69, s0
	v_lshrrev_b32_e32 v62, 16, v17
	s_and_saveexec_b32 s15, vcc_lo
	s_cbranch_execz .LBB359_452
; %bb.451:                              ;   in Loop: Header=BB359_266 Depth=1
	v_cmp_gt_i32_e64 s0, s11, v46
	v_cndmask_b32_e64 v65, 0, v65, s0
	v_cmp_gt_i32_e64 s0, s11, v52
	v_cndmask_b32_e64 v66, 0, v66, s0
	;; [unrolled: 2-line block ×8, first 2 shown]
.LBB359_452:                            ;   in Loop: Header=BB359_266 Depth=1
	s_or_b32 exec_lo, exec_lo, s15
	global_load_dwordx2 v[15:16], v[15:16], off offset:768
	v_mov_b32_e32 v68, 0
	v_mov_b32_e32 v67, 0
	s_waitcnt vmcnt(0)
	v_cmp_ne_u16_sdwa s0, v15, v10 src0_sel:BYTE_0 src1_sel:DWORD
	s_and_saveexec_b32 s15, s0
	s_cbranch_execz .LBB359_458
; %bb.453:                              ;   in Loop: Header=BB359_266 Depth=1
	v_cmp_ne_u16_sdwa s0, v15, v32 src0_sel:BYTE_0 src1_sel:DWORD
	v_bfrev_b32_e32 v67, 1
	s_and_saveexec_b32 s16, s0
	s_cbranch_execz .LBB359_457
; %bb.454:                              ;   in Loop: Header=BB359_266 Depth=1
	v_and_b32_e32 v9, 0x7f, v15
	v_mov_b32_e32 v67, 0x7f800001
	s_mov_b32 s17, exec_lo
	v_cmpx_ne_u32_e32 0x7f, v9
	s_cbranch_execz .LBB359_456
; %bb.455:                              ;   in Loop: Header=BB359_266 Depth=1
	v_and_b32_e32 v17, 7, v15
	v_lshrrev_b32_e32 v18, 3, v9
	v_cmp_gt_u32_e64 s0, 8, v9
	v_ffbh_u32_e32 v17, v17
	v_min_u32_e32 v17, 32, v17
	v_subrev_nc_u32_e32 v67, 28, v17
	v_sub_nc_u32_e32 v17, 29, v17
	v_cndmask_b32_e64 v9, v18, v17, s0
	v_cndmask_b32_e64 v17, 0, v67, s0
	v_lshl_add_u32 v9, v9, 23, 0x3c000000
	v_lshlrev_b64 v[17:18], v17, v[15:16]
	v_lshlrev_b32_e32 v18, 24, v15
	v_lshlrev_b32_e32 v17, 20, v17
	v_and_b32_e32 v18, 0x80000000, v18
	v_and_b32_e32 v17, 0x700000, v17
	v_or3_b32 v67, v17, v18, v9
.LBB359_456:                            ;   in Loop: Header=BB359_266 Depth=1
	s_or_b32 exec_lo, exec_lo, s17
.LBB359_457:                            ;   in Loop: Header=BB359_266 Depth=1
	s_or_b32 exec_lo, exec_lo, s16
.LBB359_458:                            ;   in Loop: Header=BB359_266 Depth=1
	s_or_b32 exec_lo, exec_lo, s15
	v_cmp_ne_u16_sdwa s0, v15, v10 src0_sel:BYTE_1 src1_sel:DWORD
	s_and_saveexec_b32 s15, s0
	s_cbranch_execz .LBB359_466
; %bb.459:                              ;   in Loop: Header=BB359_266 Depth=1
	v_cmp_ne_u16_sdwa s0, v15, v32 src0_sel:BYTE_1 src1_sel:DWORD
	v_bfrev_b32_e32 v68, 1
	s_and_saveexec_b32 s16, s0
	s_cbranch_execz .LBB359_465
; %bb.460:                              ;   in Loop: Header=BB359_266 Depth=1
	v_and_b32_sdwa v9, v33, v15 dst_sel:DWORD dst_unused:UNUSED_PAD src0_sel:DWORD src1_sel:BYTE_1
	v_mov_b32_e32 v68, 0x7f800001
	s_mov_b32 s17, exec_lo
	v_and_b32_e32 v18, 0x7f, v9
	v_cmpx_ne_u32_e32 0x7f, v18
	s_cbranch_execz .LBB359_464
; %bb.461:                              ;   in Loop: Header=BB359_266 Depth=1
	v_and_b32_e32 v9, 7, v9
	v_lshrrev_b32_e32 v17, 3, v18
	s_mov_b32 s18, exec_lo
	v_cmpx_gt_u32_e32 8, v18
; %bb.462:                              ;   in Loop: Header=BB359_266 Depth=1
	v_ffbh_u32_e32 v17, v9
	v_min_u32_e32 v17, 32, v17
	v_subrev_nc_u32_e32 v18, 28, v17
	v_sub_nc_u32_e32 v17, 29, v17
	v_lshlrev_b64 v[68:69], v18, v[9:10]
	v_and_b32_e32 v9, 7, v68
; %bb.463:                              ;   in Loop: Header=BB359_266 Depth=1
	s_or_b32 exec_lo, exec_lo, s18
	v_lshlrev_b32_e32 v18, 16, v15
	v_lshlrev_b32_e32 v9, 20, v9
	v_lshl_add_u32 v17, v17, 23, 0x3c000000
	v_and_b32_e32 v18, 0x80000000, v18
	v_or3_b32 v68, v9, v18, v17
.LBB359_464:                            ;   in Loop: Header=BB359_266 Depth=1
	s_or_b32 exec_lo, exec_lo, s17
.LBB359_465:                            ;   in Loop: Header=BB359_266 Depth=1
	s_or_b32 exec_lo, exec_lo, s16
.LBB359_466:                            ;   in Loop: Header=BB359_266 Depth=1
	s_or_b32 exec_lo, exec_lo, s15
	v_and_b32_sdwa v9, v15, v34 dst_sel:DWORD dst_unused:UNUSED_PAD src0_sel:WORD_1 src1_sel:DWORD
	v_mov_b32_e32 v70, 0
	v_mov_b32_e32 v69, 0
	s_mov_b32 s15, exec_lo
	v_cmpx_ne_u16_e32 0, v9
	s_cbranch_execz .LBB359_474
; %bb.467:                              ;   in Loop: Header=BB359_266 Depth=1
	v_bfrev_b32_e32 v69, 1
	s_mov_b32 s16, exec_lo
	v_cmpx_ne_u16_e32 0x80, v9
	s_cbranch_execz .LBB359_473
; %bb.468:                              ;   in Loop: Header=BB359_266 Depth=1
	v_bfe_u32 v18, v15, 16, 7
	v_mov_b32_e32 v69, 0x7f800001
	s_mov_b32 s17, exec_lo
	v_cmpx_ne_u32_e32 0x7f, v18
	s_cbranch_execz .LBB359_472
; %bb.469:                              ;   in Loop: Header=BB359_266 Depth=1
	v_and_b32_sdwa v9, v15, v35 dst_sel:DWORD dst_unused:UNUSED_PAD src0_sel:WORD_1 src1_sel:DWORD
	v_lshrrev_b32_e32 v17, 3, v18
	s_mov_b32 s18, exec_lo
	v_cmpx_gt_u32_e32 8, v18
; %bb.470:                              ;   in Loop: Header=BB359_266 Depth=1
	v_ffbh_u32_e32 v17, v9
	v_min_u32_e32 v17, 32, v17
	v_subrev_nc_u32_e32 v18, 28, v17
	v_sub_nc_u32_e32 v17, 29, v17
	v_lshlrev_b64 v[71:72], v18, v[9:10]
	v_and_b32_e32 v9, 7, v71
; %bb.471:                              ;   in Loop: Header=BB359_266 Depth=1
	s_or_b32 exec_lo, exec_lo, s18
	v_lshlrev_b32_sdwa v18, v36, v15 dst_sel:DWORD dst_unused:UNUSED_PAD src0_sel:DWORD src1_sel:WORD_1
	v_lshlrev_b32_e32 v9, 20, v9
	v_lshl_add_u32 v17, v17, 23, 0x3c000000
	v_and_b32_e32 v18, 0x80000000, v18
	v_or3_b32 v69, v9, v18, v17
.LBB359_472:                            ;   in Loop: Header=BB359_266 Depth=1
	s_or_b32 exec_lo, exec_lo, s17
.LBB359_473:                            ;   in Loop: Header=BB359_266 Depth=1
	s_or_b32 exec_lo, exec_lo, s16
.LBB359_474:                            ;   in Loop: Header=BB359_266 Depth=1
	s_or_b32 exec_lo, exec_lo, s15
	s_mov_b32 s15, exec_lo
	v_cmpx_lt_u32_e32 0xffffff, v15
	s_cbranch_execz .LBB359_482
; %bb.475:                              ;   in Loop: Header=BB359_266 Depth=1
	v_cmp_ne_u32_sdwa s0, v15, v32 src0_sel:BYTE_3 src1_sel:DWORD
	v_bfrev_b32_e32 v70, 1
	s_and_saveexec_b32 s16, s0
	s_cbranch_execz .LBB359_481
; %bb.476:                              ;   in Loop: Header=BB359_266 Depth=1
	v_bfe_u32 v18, v15, 24, 7
	v_mov_b32_e32 v70, 0x7f800001
	s_mov_b32 s17, exec_lo
	v_cmpx_ne_u32_e32 0x7f, v18
	s_cbranch_execz .LBB359_480
; %bb.477:                              ;   in Loop: Header=BB359_266 Depth=1
	v_and_b32_sdwa v9, v15, v35 dst_sel:DWORD dst_unused:UNUSED_PAD src0_sel:BYTE_3 src1_sel:DWORD
	v_lshrrev_b32_e32 v17, 3, v18
	s_mov_b32 s18, exec_lo
	v_cmpx_gt_u32_e32 8, v18
; %bb.478:                              ;   in Loop: Header=BB359_266 Depth=1
	v_ffbh_u32_e32 v17, v9
	v_min_u32_e32 v17, 32, v17
	v_subrev_nc_u32_e32 v18, 28, v17
	v_sub_nc_u32_e32 v17, 29, v17
	v_lshlrev_b64 v[70:71], v18, v[9:10]
	v_and_b32_e32 v9, 7, v70
; %bb.479:                              ;   in Loop: Header=BB359_266 Depth=1
	s_or_b32 exec_lo, exec_lo, s18
	v_lshlrev_b32_sdwa v18, v36, v15 dst_sel:DWORD dst_unused:UNUSED_PAD src0_sel:DWORD src1_sel:BYTE_3
	v_lshlrev_b32_e32 v9, 20, v9
	v_lshl_add_u32 v17, v17, 23, 0x3c000000
	v_and_b32_e32 v18, 0x80000000, v18
	v_or3_b32 v70, v9, v18, v17
.LBB359_480:                            ;   in Loop: Header=BB359_266 Depth=1
	s_or_b32 exec_lo, exec_lo, s17
.LBB359_481:                            ;   in Loop: Header=BB359_266 Depth=1
	s_or_b32 exec_lo, exec_lo, s16
.LBB359_482:                            ;   in Loop: Header=BB359_266 Depth=1
	s_or_b32 exec_lo, exec_lo, s15
	v_mov_b32_e32 v9, v16
	v_cmp_ne_u16_sdwa s0, v16, v10 src0_sel:BYTE_0 src1_sel:DWORD
	v_mov_b32_e32 v17, 0
	v_mov_b32_e32 v71, 0
	s_and_saveexec_b32 s15, s0
	s_cbranch_execz .LBB359_488
; %bb.483:                              ;   in Loop: Header=BB359_266 Depth=1
	v_cmp_ne_u16_sdwa s0, v16, v32 src0_sel:BYTE_0 src1_sel:DWORD
	v_bfrev_b32_e32 v71, 1
	s_and_saveexec_b32 s16, s0
	s_cbranch_execz .LBB359_487
; %bb.484:                              ;   in Loop: Header=BB359_266 Depth=1
	v_and_b32_e32 v18, 0x7f, v16
	v_mov_b32_e32 v71, 0x7f800001
	s_mov_b32 s17, exec_lo
	v_cmpx_ne_u32_e32 0x7f, v18
	s_cbranch_execz .LBB359_486
; %bb.485:                              ;   in Loop: Header=BB359_266 Depth=1
	v_and_b32_e32 v71, 7, v16
	v_lshrrev_b32_e32 v72, 3, v18
	v_cmp_gt_u32_e64 s0, 8, v18
	v_ffbh_u32_e32 v71, v71
	v_min_u32_e32 v71, 32, v71
	v_subrev_nc_u32_e32 v73, 28, v71
	v_sub_nc_u32_e32 v71, 29, v71
	v_cndmask_b32_e64 v18, v72, v71, s0
	v_cndmask_b32_e64 v71, 0, v73, s0
	v_lshl_add_u32 v18, v18, 23, 0x3c000000
	v_lshlrev_b64 v[71:72], v71, v[9:10]
	v_lshlrev_b32_e32 v72, 24, v9
	v_lshlrev_b32_e32 v71, 20, v71
	v_and_b32_e32 v72, 0x80000000, v72
	v_and_b32_e32 v71, 0x700000, v71
	v_or3_b32 v71, v71, v72, v18
.LBB359_486:                            ;   in Loop: Header=BB359_266 Depth=1
	s_or_b32 exec_lo, exec_lo, s17
.LBB359_487:                            ;   in Loop: Header=BB359_266 Depth=1
	s_or_b32 exec_lo, exec_lo, s16
.LBB359_488:                            ;   in Loop: Header=BB359_266 Depth=1
	s_or_b32 exec_lo, exec_lo, s15
	v_cmp_ne_u16_sdwa s0, v9, v10 src0_sel:BYTE_1 src1_sel:DWORD
	s_and_saveexec_b32 s15, s0
	s_cbranch_execz .LBB359_496
; %bb.489:                              ;   in Loop: Header=BB359_266 Depth=1
	v_cmp_ne_u16_sdwa s0, v9, v32 src0_sel:BYTE_1 src1_sel:DWORD
	v_bfrev_b32_e32 v17, 1
	s_and_saveexec_b32 s16, s0
	s_cbranch_execz .LBB359_495
; %bb.490:                              ;   in Loop: Header=BB359_266 Depth=1
	v_and_b32_sdwa v18, v33, v9 dst_sel:DWORD dst_unused:UNUSED_PAD src0_sel:DWORD src1_sel:BYTE_1
	v_mov_b32_e32 v17, 0x7f800001
	s_mov_b32 s17, exec_lo
	v_and_b32_e32 v73, 0x7f, v18
	v_cmpx_ne_u32_e32 0x7f, v73
	s_cbranch_execz .LBB359_494
; %bb.491:                              ;   in Loop: Header=BB359_266 Depth=1
	v_and_b32_e32 v17, 7, v18
	v_mov_b32_e32 v18, v10
	v_lshrrev_b32_e32 v72, 3, v73
	s_mov_b32 s18, exec_lo
	v_cmpx_gt_u32_e32 8, v73
; %bb.492:                              ;   in Loop: Header=BB359_266 Depth=1
	v_ffbh_u32_e32 v72, v17
	v_min_u32_e32 v72, 32, v72
	v_subrev_nc_u32_e32 v73, 28, v72
	v_sub_nc_u32_e32 v72, 29, v72
	v_lshlrev_b64 v[17:18], v73, v[17:18]
	v_and_b32_e32 v17, 7, v17
; %bb.493:                              ;   in Loop: Header=BB359_266 Depth=1
	s_or_b32 exec_lo, exec_lo, s18
	v_lshlrev_b32_e32 v9, 16, v9
	v_lshlrev_b32_e32 v17, 20, v17
	v_lshl_add_u32 v18, v72, 23, 0x3c000000
	v_and_b32_e32 v9, 0x80000000, v9
	v_or3_b32 v17, v17, v9, v18
.LBB359_494:                            ;   in Loop: Header=BB359_266 Depth=1
	s_or_b32 exec_lo, exec_lo, s17
.LBB359_495:                            ;   in Loop: Header=BB359_266 Depth=1
	s_or_b32 exec_lo, exec_lo, s16
.LBB359_496:                            ;   in Loop: Header=BB359_266 Depth=1
	s_or_b32 exec_lo, exec_lo, s15
	v_and_b32_sdwa v9, v16, v34 dst_sel:DWORD dst_unused:UNUSED_PAD src0_sel:WORD_1 src1_sel:DWORD
	v_mov_b32_e32 v18, 0
	v_mov_b32_e32 v72, 0
	s_mov_b32 s15, exec_lo
	v_cmpx_ne_u16_e32 0, v9
	s_cbranch_execz .LBB359_504
; %bb.497:                              ;   in Loop: Header=BB359_266 Depth=1
	v_bfrev_b32_e32 v72, 1
	s_mov_b32 s16, exec_lo
	v_cmpx_ne_u16_e32 0x80, v9
	s_cbranch_execz .LBB359_503
; %bb.498:                              ;   in Loop: Header=BB359_266 Depth=1
	v_bfe_u32 v73, v16, 16, 7
	v_mov_b32_e32 v72, 0x7f800001
	s_mov_b32 s17, exec_lo
	v_cmpx_ne_u32_e32 0x7f, v73
	s_cbranch_execz .LBB359_502
; %bb.499:                              ;   in Loop: Header=BB359_266 Depth=1
	v_and_b32_sdwa v9, v16, v35 dst_sel:DWORD dst_unused:UNUSED_PAD src0_sel:WORD_1 src1_sel:DWORD
	v_lshrrev_b32_e32 v72, 3, v73
	s_mov_b32 s18, exec_lo
	v_cmpx_gt_u32_e32 8, v73
; %bb.500:                              ;   in Loop: Header=BB359_266 Depth=1
	v_ffbh_u32_e32 v72, v9
	v_min_u32_e32 v72, 32, v72
	v_subrev_nc_u32_e32 v73, 28, v72
	v_sub_nc_u32_e32 v72, 29, v72
	v_lshlrev_b64 v[73:74], v73, v[9:10]
	v_and_b32_e32 v9, 7, v73
; %bb.501:                              ;   in Loop: Header=BB359_266 Depth=1
	s_or_b32 exec_lo, exec_lo, s18
	v_lshlrev_b32_sdwa v73, v36, v16 dst_sel:DWORD dst_unused:UNUSED_PAD src0_sel:DWORD src1_sel:WORD_1
	v_lshlrev_b32_e32 v9, 20, v9
	v_lshl_add_u32 v72, v72, 23, 0x3c000000
	v_and_b32_e32 v73, 0x80000000, v73
	v_or3_b32 v72, v9, v73, v72
.LBB359_502:                            ;   in Loop: Header=BB359_266 Depth=1
	s_or_b32 exec_lo, exec_lo, s17
.LBB359_503:                            ;   in Loop: Header=BB359_266 Depth=1
	s_or_b32 exec_lo, exec_lo, s16
.LBB359_504:                            ;   in Loop: Header=BB359_266 Depth=1
	s_or_b32 exec_lo, exec_lo, s15
	s_mov_b32 s15, exec_lo
	v_cmpx_lt_u64_e64 s[2:3], v[15:16]
	s_cbranch_execz .LBB359_512
; %bb.505:                              ;   in Loop: Header=BB359_266 Depth=1
	v_cmp_ne_u32_sdwa s0, v16, v32 src0_sel:BYTE_3 src1_sel:DWORD
	v_bfrev_b32_e32 v18, 1
	s_and_saveexec_b32 s16, s0
	s_cbranch_execz .LBB359_511
; %bb.506:                              ;   in Loop: Header=BB359_266 Depth=1
	v_bfe_u32 v73, v16, 24, 7
	v_mov_b32_e32 v18, 0x7f800001
	s_mov_b32 s17, exec_lo
	v_cmpx_ne_u32_e32 0x7f, v73
	s_cbranch_execz .LBB359_510
; %bb.507:                              ;   in Loop: Header=BB359_266 Depth=1
	v_and_b32_sdwa v9, v16, v35 dst_sel:DWORD dst_unused:UNUSED_PAD src0_sel:BYTE_3 src1_sel:DWORD
	v_lshrrev_b32_e32 v15, 3, v73
	s_mov_b32 s18, exec_lo
	v_cmpx_gt_u32_e32 8, v73
; %bb.508:                              ;   in Loop: Header=BB359_266 Depth=1
	v_ffbh_u32_e32 v15, v9
	v_min_u32_e32 v15, 32, v15
	v_subrev_nc_u32_e32 v18, 28, v15
	v_sub_nc_u32_e32 v15, 29, v15
	v_lshlrev_b64 v[73:74], v18, v[9:10]
	v_and_b32_e32 v9, 7, v73
; %bb.509:                              ;   in Loop: Header=BB359_266 Depth=1
	s_or_b32 exec_lo, exec_lo, s18
	v_lshlrev_b32_sdwa v16, v36, v16 dst_sel:DWORD dst_unused:UNUSED_PAD src0_sel:DWORD src1_sel:BYTE_3
	v_lshlrev_b32_e32 v9, 20, v9
	v_lshl_add_u32 v15, v15, 23, 0x3c000000
	v_and_b32_e32 v16, 0x80000000, v16
	v_or3_b32 v18, v9, v16, v15
.LBB359_510:                            ;   in Loop: Header=BB359_266 Depth=1
	s_or_b32 exec_lo, exec_lo, s17
.LBB359_511:                            ;   in Loop: Header=BB359_266 Depth=1
	s_or_b32 exec_lo, exec_lo, s16
.LBB359_512:                            ;   in Loop: Header=BB359_266 Depth=1
	s_or_b32 exec_lo, exec_lo, s15
	v_mul_f32_e32 v9, s5, v17
	v_mul_f32_e32 v15, s5, v71
	;; [unrolled: 1-line block ×5, first 2 shown]
	v_bfe_u32 v69, v9, 16, 1
	v_or_b32_e32 v70, 0x400000, v9
	v_bfe_u32 v71, v15, 16, 1
	v_cmp_u_f32_e64 s0, v9, v9
	v_or_b32_e32 v73, 0x400000, v15
	v_add3_u32 v69, v69, v9, 0x7fff
	v_bfe_u32 v74, v16, 16, 1
	v_add3_u32 v71, v71, v15, 0x7fff
	v_or_b32_e32 v75, 0x400000, v16
	v_bfe_u32 v76, v17, 16, 1
	v_cndmask_b32_e64 v9, v69, v70, s0
	v_cmp_u_f32_e64 s0, v15, v15
	v_add3_u32 v74, v74, v16, 0x7fff
	v_or_b32_e32 v70, 0x400000, v17
	v_add3_u32 v69, v76, v17, 0x7fff
	v_mul_f32_e32 v67, s5, v67
	v_cndmask_b32_e64 v15, v71, v73, s0
	v_cmp_u_f32_e64 s0, v16, v16
	v_bfe_u32 v71, v68, 16, 1
	v_mul_f32_e32 v18, s5, v18
	v_lshrrev_b32_e32 v9, 16, v9
	v_lshrrev_b32_e32 v15, 16, v15
	v_cndmask_b32_e64 v16, v74, v75, s0
	v_cmp_u_f32_e64 s0, v17, v17
	v_or_b32_e32 v75, 0x400000, v18
	v_lshrrev_b32_e32 v16, 16, v16
	v_cndmask_b32_e64 v17, v69, v70, s0
	v_mul_f32_e32 v69, s5, v72
	v_add3_u32 v70, v71, v68, 0x7fff
	v_or_b32_e32 v71, 0x400000, v68
	v_bfe_u32 v72, v67, 16, 1
	v_cmp_u_f32_e64 s0, v68, v68
	v_bfe_u32 v73, v69, 16, 1
	v_or_b32_e32 v74, 0x400000, v69
	v_cndmask_b32_e64 v68, v70, v71, s0
	v_add3_u32 v71, v72, v67, 0x7fff
	v_or_b32_e32 v72, 0x400000, v67
	v_cmp_u_f32_e64 s0, v67, v67
	v_bfe_u32 v70, v18, 16, 1
	v_add3_u32 v73, v73, v69, 0x7fff
	v_lshrrev_b32_e32 v67, 16, v17
	v_lshrrev_b32_e32 v68, 16, v68
	v_cndmask_b32_e64 v71, v71, v72, s0
	v_cmp_u_f32_e64 s0, v69, v69
	v_add3_u32 v70, v70, v18, 0x7fff
	v_lshrrev_b32_e32 v69, 16, v71
	v_cndmask_b32_e64 v72, v73, v74, s0
	v_cmp_u_f32_e64 s0, v18, v18
	v_lshrrev_b32_e32 v18, 16, v72
	v_cndmask_b32_e64 v70, v70, v75, s0
	v_lshrrev_b32_e32 v17, 16, v70
	s_and_saveexec_b32 s0, vcc_lo
	s_cbranch_execz .LBB359_265
; %bb.513:                              ;   in Loop: Header=BB359_266 Depth=1
	v_cmp_gt_i32_e32 vcc_lo, s11, v46
	v_cndmask_b32_e32 v69, 0, v69, vcc_lo
	v_cmp_gt_i32_e32 vcc_lo, s11, v52
	v_cndmask_b32_e32 v68, 0, v68, vcc_lo
	;; [unrolled: 2-line block ×8, first 2 shown]
	s_branch .LBB359_265
.LBB359_514:
	s_or_b32 exec_lo, exec_lo, s14
.LBB359_515:
	s_or_b32 exec_lo, exec_lo, s1
	ds_bpermute_b32 v1, v23, v27
	ds_bpermute_b32 v2, v23, v29
	;; [unrolled: 1-line block ×4, first 2 shown]
	v_lshrrev_b32_e32 v5, 2, v22
	v_and_b32_e32 v12, 0x3c3, v0
	s_mov_b32 s0, exec_lo
	s_waitcnt lgkmcnt(0)
	s_barrier
	buffer_gl0_inv
	v_add_f32_e32 v1, v27, v1
	v_add_f32_e32 v2, v29, v2
	;; [unrolled: 1-line block ×4, first 2 shown]
	v_and_b32_e32 v4, 28, v22
	ds_bpermute_b32 v3, v24, v1
	ds_bpermute_b32 v9, v24, v2
	;; [unrolled: 1-line block ×4, first 2 shown]
	v_add_nc_u32_e32 v6, 0x60, v4
	s_waitcnt lgkmcnt(3)
	v_add_f32_e32 v4, v1, v3
	s_waitcnt lgkmcnt(2)
	v_add_f32_e32 v3, v2, v9
	;; [unrolled: 2-line block ×4, first 2 shown]
	v_cmpx_eq_u32_e32 64, v12
	s_cbranch_execz .LBB359_517
; %bb.516:
	v_lshl_add_u32 v7, v21, 7, v6
	v_add_nc_u32_e32 v8, 0xffffff00, v7
	v_add_nc_u32_e32 v9, 0xffffff20, v7
	;; [unrolled: 1-line block ×4, first 2 shown]
	ds_write_b32 v8, v4
	ds_write_b32 v9, v3
	;; [unrolled: 1-line block ×4, first 2 shown]
.LBB359_517:
	s_or_b32 exec_lo, exec_lo, s0
	v_and_b32_e32 v7, 0x3e0, v0
	v_lshlrev_b32_e32 v5, 2, v5
	s_mov_b32 s1, exec_lo
	v_cmp_eq_u32_e32 vcc_lo, 0, v25
	s_waitcnt lgkmcnt(0)
	v_lshlrev_b32_e32 v7, 2, v7
	s_barrier
	buffer_gl0_inv
	v_add3_u32 v5, 0x60, v7, v5
	v_cmpx_gt_u32_e32 64, v0
	s_cbranch_execz .LBB359_524
; %bb.518:
	s_and_saveexec_b32 s0, vcc_lo
	s_cbranch_execnz .LBB359_536
; %bb.519:
	s_or_b32 exec_lo, exec_lo, s0
	s_and_saveexec_b32 s0, vcc_lo
	s_cbranch_execnz .LBB359_537
.LBB359_520:
	s_or_b32 exec_lo, exec_lo, s0
	s_and_saveexec_b32 s0, vcc_lo
	s_cbranch_execnz .LBB359_538
.LBB359_521:
	s_or_b32 exec_lo, exec_lo, s0
	s_and_saveexec_b32 s0, vcc_lo
	s_cbranch_execz .LBB359_523
.LBB359_522:
	ds_read_b32 v7, v5 offset:96
	s_waitcnt lgkmcnt(0)
	v_add_f32_e32 v1, v1, v7
.LBB359_523:
	s_or_b32 exec_lo, exec_lo, s0
.LBB359_524:
	s_or_b32 exec_lo, exec_lo, s1
	v_and_b32_e32 v7, 0x3e3, v0
	s_mov_b32 s1, exec_lo
	s_barrier
	buffer_gl0_inv
	v_cmpx_eq_u32_e32 32, v7
	s_cbranch_execz .LBB359_526
; %bb.525:
	ds_write2_b32 v6, v4, v3 offset1:8
	ds_write2_b32 v6, v2, v1 offset0:16 offset1:24
.LBB359_526:
	s_or_b32 exec_lo, exec_lo, s1
	s_mov_b32 s1, exec_lo
	s_waitcnt lgkmcnt(0)
	s_barrier
	buffer_gl0_inv
	v_cmpx_gt_u32_e32 32, v0
	s_cbranch_execz .LBB359_533
; %bb.527:
	s_and_saveexec_b32 s0, vcc_lo
	s_cbranch_execnz .LBB359_539
; %bb.528:
	s_or_b32 exec_lo, exec_lo, s0
	s_and_saveexec_b32 s0, vcc_lo
	s_cbranch_execnz .LBB359_540
.LBB359_529:
	s_or_b32 exec_lo, exec_lo, s0
	s_and_saveexec_b32 s0, vcc_lo
	s_cbranch_execnz .LBB359_541
.LBB359_530:
	s_or_b32 exec_lo, exec_lo, s0
	s_and_saveexec_b32 s0, vcc_lo
	s_cbranch_execz .LBB359_532
.LBB359_531:
	ds_read_b32 v5, v5 offset:96
	s_waitcnt lgkmcnt(0)
	v_add_f32_e32 v1, v1, v5
.LBB359_532:
	s_or_b32 exec_lo, exec_lo, s0
.LBB359_533:
	s_or_b32 exec_lo, exec_lo, s1
	s_barrier
	buffer_gl0_inv
	s_mov_b32 s0, exec_lo
	v_cmpx_eq_u32_e32 0, v7
	s_cbranch_execz .LBB359_535
; %bb.534:
	v_bfe_u32 v5, v4, 16, 1
	s_mul_i32 s0, s10, s7
	v_or_b32_e32 v6, 0x400000, v4
	s_mul_i32 s0, s0, s9
	v_bfe_u32 v7, v3, 16, 1
	v_add3_u32 v5, v5, v4, 0x7fff
	v_cmp_u_f32_e32 vcc_lo, v4, v4
	s_lshl_b32 s0, s0, 5
	v_bfe_u32 v8, v2, 16, 1
	s_ashr_i32 s1, s0, 31
	s_mul_i32 s2, s7, s6
	s_lshl_b64 s[0:1], s[0:1], 1
	v_cndmask_b32_e32 v4, v5, v6, vcc_lo
	v_add3_u32 v6, v7, v3, 0x7fff
	v_or_b32_e32 v7, 0x400000, v3
	v_cmp_u_f32_e32 vcc_lo, v3, v3
	s_add_u32 s4, s20, s0
	s_addc_u32 s5, s21, s1
	s_ashr_i32 s3, s2, 31
	v_bfe_u32 v5, v1, 16, 1
	s_lshl_b64 s[0:1], s[2:3], 1
	v_add3_u32 v8, v8, v2, 0x7fff
	v_or_b32_e32 v9, 0x400000, v2
	v_cndmask_b32_e32 v3, v6, v7, vcc_lo
	v_cmp_u_f32_e32 vcc_lo, v2, v2
	s_add_u32 s2, s4, s0
	s_addc_u32 s3, s5, s1
	s_lshl_b32 s0, s8, 5
	v_add3_u32 v5, v5, v1, 0x7fff
	s_ashr_i32 s1, s0, 31
	v_or_b32_e32 v10, 0x400000, v1
	v_cndmask_b32_e32 v2, v8, v9, vcc_lo
	v_cmp_u_f32_e32 vcc_lo, v1, v1
	v_lshrrev_b32_e32 v0, 1, v0
	s_lshl_b64 s[0:1], s[0:1], 1
	s_add_u32 s0, s2, s0
	s_addc_u32 s1, s3, s1
	v_cndmask_b32_e32 v1, v5, v10, vcc_lo
	global_store_short_d16_hi v0, v4, s[0:1]
	global_store_short_d16_hi v0, v3, s[0:1] offset:16
	global_store_short_d16_hi v0, v2, s[0:1] offset:32
	;; [unrolled: 1-line block ×3, first 2 shown]
.LBB359_535:
	s_endpgm
.LBB359_536:
	ds_read_b32 v7, v5
	s_waitcnt lgkmcnt(0)
	v_add_f32_e32 v4, v4, v7
	s_or_b32 exec_lo, exec_lo, s0
	s_and_saveexec_b32 s0, vcc_lo
	s_cbranch_execz .LBB359_520
.LBB359_537:
	ds_read_b32 v7, v5 offset:32
	s_waitcnt lgkmcnt(0)
	v_add_f32_e32 v3, v3, v7
	s_or_b32 exec_lo, exec_lo, s0
	s_and_saveexec_b32 s0, vcc_lo
	s_cbranch_execz .LBB359_521
.LBB359_538:
	ds_read_b32 v7, v5 offset:64
	s_waitcnt lgkmcnt(0)
	v_add_f32_e32 v2, v2, v7
	s_or_b32 exec_lo, exec_lo, s0
	s_and_saveexec_b32 s0, vcc_lo
	s_cbranch_execnz .LBB359_522
	s_branch .LBB359_523
.LBB359_539:
	ds_read_b32 v6, v5
	s_waitcnt lgkmcnt(0)
	v_add_f32_e32 v4, v4, v6
	s_or_b32 exec_lo, exec_lo, s0
	s_and_saveexec_b32 s0, vcc_lo
	s_cbranch_execz .LBB359_529
.LBB359_540:
	ds_read_b32 v6, v5 offset:32
	s_waitcnt lgkmcnt(0)
	v_add_f32_e32 v3, v3, v6
	s_or_b32 exec_lo, exec_lo, s0
	s_and_saveexec_b32 s0, vcc_lo
	s_cbranch_execz .LBB359_530
.LBB359_541:
	ds_read_b32 v6, v5 offset:64
	s_waitcnt lgkmcnt(0)
	v_add_f32_e32 v2, v2, v6
	s_or_b32 exec_lo, exec_lo, s0
	s_and_saveexec_b32 s0, vcc_lo
	s_cbranch_execnz .LBB359_531
	s_branch .LBB359_532
	.section	.rodata,"a",@progbits
	.p2align	6, 0x0
	.amdhsa_kernel _ZN4vllm25paged_attention_v1_kernelI14__hip_bfloat16hLi32ELi32ELi128ELNS_18Fp8KVCacheDataTypeE1ELb0EEEvPT_PKS3_PKT0_S9_ifPKiSB_iPKfiiiSD_SD_iiiii
		.amdhsa_group_segment_fixed_size 96
		.amdhsa_private_segment_fixed_size 0
		.amdhsa_kernarg_size 384
		.amdhsa_user_sgpr_count 6
		.amdhsa_user_sgpr_private_segment_buffer 1
		.amdhsa_user_sgpr_dispatch_ptr 0
		.amdhsa_user_sgpr_queue_ptr 0
		.amdhsa_user_sgpr_kernarg_segment_ptr 1
		.amdhsa_user_sgpr_dispatch_id 0
		.amdhsa_user_sgpr_flat_scratch_init 0
		.amdhsa_user_sgpr_private_segment_size 0
		.amdhsa_wavefront_size32 1
		.amdhsa_uses_dynamic_stack 0
		.amdhsa_system_sgpr_private_segment_wavefront_offset 0
		.amdhsa_system_sgpr_workgroup_id_x 1
		.amdhsa_system_sgpr_workgroup_id_y 1
		.amdhsa_system_sgpr_workgroup_id_z 1
		.amdhsa_system_sgpr_workgroup_info 0
		.amdhsa_system_vgpr_workitem_id 0
		.amdhsa_next_free_vgpr 90
		.amdhsa_next_free_sgpr 35
		.amdhsa_reserve_vcc 1
		.amdhsa_reserve_flat_scratch 0
		.amdhsa_float_round_mode_32 0
		.amdhsa_float_round_mode_16_64 0
		.amdhsa_float_denorm_mode_32 3
		.amdhsa_float_denorm_mode_16_64 3
		.amdhsa_dx10_clamp 1
		.amdhsa_ieee_mode 1
		.amdhsa_fp16_overflow 0
		.amdhsa_workgroup_processor_mode 1
		.amdhsa_memory_ordered 1
		.amdhsa_forward_progress 1
		.amdhsa_shared_vgpr_count 0
		.amdhsa_exception_fp_ieee_invalid_op 0
		.amdhsa_exception_fp_denorm_src 0
		.amdhsa_exception_fp_ieee_div_zero 0
		.amdhsa_exception_fp_ieee_overflow 0
		.amdhsa_exception_fp_ieee_underflow 0
		.amdhsa_exception_fp_ieee_inexact 0
		.amdhsa_exception_int_div_zero 0
	.end_amdhsa_kernel
	.section	.text._ZN4vllm25paged_attention_v1_kernelI14__hip_bfloat16hLi32ELi32ELi128ELNS_18Fp8KVCacheDataTypeE1ELb0EEEvPT_PKS3_PKT0_S9_ifPKiSB_iPKfiiiSD_SD_iiiii,"axG",@progbits,_ZN4vllm25paged_attention_v1_kernelI14__hip_bfloat16hLi32ELi32ELi128ELNS_18Fp8KVCacheDataTypeE1ELb0EEEvPT_PKS3_PKT0_S9_ifPKiSB_iPKfiiiSD_SD_iiiii,comdat
.Lfunc_end359:
	.size	_ZN4vllm25paged_attention_v1_kernelI14__hip_bfloat16hLi32ELi32ELi128ELNS_18Fp8KVCacheDataTypeE1ELb0EEEvPT_PKS3_PKT0_S9_ifPKiSB_iPKfiiiSD_SD_iiiii, .Lfunc_end359-_ZN4vllm25paged_attention_v1_kernelI14__hip_bfloat16hLi32ELi32ELi128ELNS_18Fp8KVCacheDataTypeE1ELb0EEEvPT_PKS3_PKT0_S9_ifPKiSB_iPKfiiiSD_SD_iiiii
                                        ; -- End function
	.set _ZN4vllm25paged_attention_v1_kernelI14__hip_bfloat16hLi32ELi32ELi128ELNS_18Fp8KVCacheDataTypeE1ELb0EEEvPT_PKS3_PKT0_S9_ifPKiSB_iPKfiiiSD_SD_iiiii.num_vgpr, 90
	.set _ZN4vllm25paged_attention_v1_kernelI14__hip_bfloat16hLi32ELi32ELi128ELNS_18Fp8KVCacheDataTypeE1ELb0EEEvPT_PKS3_PKT0_S9_ifPKiSB_iPKfiiiSD_SD_iiiii.num_agpr, 0
	.set _ZN4vllm25paged_attention_v1_kernelI14__hip_bfloat16hLi32ELi32ELi128ELNS_18Fp8KVCacheDataTypeE1ELb0EEEvPT_PKS3_PKT0_S9_ifPKiSB_iPKfiiiSD_SD_iiiii.numbered_sgpr, 35
	.set _ZN4vllm25paged_attention_v1_kernelI14__hip_bfloat16hLi32ELi32ELi128ELNS_18Fp8KVCacheDataTypeE1ELb0EEEvPT_PKS3_PKT0_S9_ifPKiSB_iPKfiiiSD_SD_iiiii.num_named_barrier, 0
	.set _ZN4vllm25paged_attention_v1_kernelI14__hip_bfloat16hLi32ELi32ELi128ELNS_18Fp8KVCacheDataTypeE1ELb0EEEvPT_PKS3_PKT0_S9_ifPKiSB_iPKfiiiSD_SD_iiiii.private_seg_size, 0
	.set _ZN4vllm25paged_attention_v1_kernelI14__hip_bfloat16hLi32ELi32ELi128ELNS_18Fp8KVCacheDataTypeE1ELb0EEEvPT_PKS3_PKT0_S9_ifPKiSB_iPKfiiiSD_SD_iiiii.uses_vcc, 1
	.set _ZN4vllm25paged_attention_v1_kernelI14__hip_bfloat16hLi32ELi32ELi128ELNS_18Fp8KVCacheDataTypeE1ELb0EEEvPT_PKS3_PKT0_S9_ifPKiSB_iPKfiiiSD_SD_iiiii.uses_flat_scratch, 0
	.set _ZN4vllm25paged_attention_v1_kernelI14__hip_bfloat16hLi32ELi32ELi128ELNS_18Fp8KVCacheDataTypeE1ELb0EEEvPT_PKS3_PKT0_S9_ifPKiSB_iPKfiiiSD_SD_iiiii.has_dyn_sized_stack, 0
	.set _ZN4vllm25paged_attention_v1_kernelI14__hip_bfloat16hLi32ELi32ELi128ELNS_18Fp8KVCacheDataTypeE1ELb0EEEvPT_PKS3_PKT0_S9_ifPKiSB_iPKfiiiSD_SD_iiiii.has_recursion, 0
	.set _ZN4vllm25paged_attention_v1_kernelI14__hip_bfloat16hLi32ELi32ELi128ELNS_18Fp8KVCacheDataTypeE1ELb0EEEvPT_PKS3_PKT0_S9_ifPKiSB_iPKfiiiSD_SD_iiiii.has_indirect_call, 0
	.section	.AMDGPU.csdata,"",@progbits
; Kernel info:
; codeLenInByte = 21204
; TotalNumSgprs: 37
; NumVgprs: 90
; ScratchSize: 0
; MemoryBound: 0
; FloatMode: 240
; IeeeMode: 1
; LDSByteSize: 96 bytes/workgroup (compile time only)
; SGPRBlocks: 0
; VGPRBlocks: 11
; NumSGPRsForWavesPerEU: 37
; NumVGPRsForWavesPerEU: 90
; Occupancy: 10
; WaveLimiterHint : 1
; COMPUTE_PGM_RSRC2:SCRATCH_EN: 0
; COMPUTE_PGM_RSRC2:USER_SGPR: 6
; COMPUTE_PGM_RSRC2:TRAP_HANDLER: 0
; COMPUTE_PGM_RSRC2:TGID_X_EN: 1
; COMPUTE_PGM_RSRC2:TGID_Y_EN: 1
; COMPUTE_PGM_RSRC2:TGID_Z_EN: 1
; COMPUTE_PGM_RSRC2:TIDIG_COMP_CNT: 0
	.section	.text._ZN4vllm25paged_attention_v1_kernelI14__hip_bfloat16hLi64ELi32ELi128ELNS_18Fp8KVCacheDataTypeE1ELb0EEEvPT_PKS3_PKT0_S9_ifPKiSB_iPKfiiiSD_SD_iiiii,"axG",@progbits,_ZN4vllm25paged_attention_v1_kernelI14__hip_bfloat16hLi64ELi32ELi128ELNS_18Fp8KVCacheDataTypeE1ELb0EEEvPT_PKS3_PKT0_S9_ifPKiSB_iPKfiiiSD_SD_iiiii,comdat
	.protected	_ZN4vllm25paged_attention_v1_kernelI14__hip_bfloat16hLi64ELi32ELi128ELNS_18Fp8KVCacheDataTypeE1ELb0EEEvPT_PKS3_PKT0_S9_ifPKiSB_iPKfiiiSD_SD_iiiii ; -- Begin function _ZN4vllm25paged_attention_v1_kernelI14__hip_bfloat16hLi64ELi32ELi128ELNS_18Fp8KVCacheDataTypeE1ELb0EEEvPT_PKS3_PKT0_S9_ifPKiSB_iPKfiiiSD_SD_iiiii
	.globl	_ZN4vllm25paged_attention_v1_kernelI14__hip_bfloat16hLi64ELi32ELi128ELNS_18Fp8KVCacheDataTypeE1ELb0EEEvPT_PKS3_PKT0_S9_ifPKiSB_iPKfiiiSD_SD_iiiii
	.p2align	8
	.type	_ZN4vllm25paged_attention_v1_kernelI14__hip_bfloat16hLi64ELi32ELi128ELNS_18Fp8KVCacheDataTypeE1ELb0EEEvPT_PKS3_PKT0_S9_ifPKiSB_iPKfiiiSD_SD_iiiii,@function
_ZN4vllm25paged_attention_v1_kernelI14__hip_bfloat16hLi64ELi32ELi128ELNS_18Fp8KVCacheDataTypeE1ELb0EEEvPT_PKS3_PKT0_S9_ifPKiSB_iPKfiiiSD_SD_iiiii: ; @_ZN4vllm25paged_attention_v1_kernelI14__hip_bfloat16hLi64ELi32ELi128ELNS_18Fp8KVCacheDataTypeE1ELb0EEEvPT_PKS3_PKT0_S9_ifPKiSB_iPKfiiiSD_SD_iiiii
; %bb.0:
	s_mov_b64 s[38:39], s[2:3]
	s_mov_b64 s[36:37], s[0:1]
	s_mov_b32 s10, s7
	s_add_u32 s36, s36, s9
	s_clause 0x2
	s_load_dword s9, s[4:5], 0x80
	s_load_dwordx2 s[0:1], s[4:5], 0x30
	s_load_dwordx2 s[2:3], s[4:5], 0x20
	s_addc_u32 s37, s37, 0
	s_ashr_i32 s11, s7, 31
	v_mov_b32_e32 v22, v0
	s_lshl_b64 s[12:13], s[10:11], 2
	s_mov_b32 s28, 0
	s_waitcnt lgkmcnt(0)
	s_add_u32 s0, s0, s12
	s_addc_u32 s1, s1, s13
	s_abs_i32 s7, s2
	s_abs_i32 s13, s9
	v_cvt_f32_u32_e32 v0, s7
	s_sub_i32 s12, 0, s7
	s_xor_b32 s2, s9, s2
	s_ashr_i32 s2, s2, 31
	v_rcp_iflag_f32_e32 v0, v0
	v_mul_f32_e32 v0, 0x4f7ffffe, v0
	v_cvt_u32_f32_e32 v0, v0
	v_readfirstlane_b32 s11, v0
	s_mul_i32 s12, s12, s11
	s_mul_hi_u32 s12, s11, s12
	s_add_i32 s11, s11, s12
	s_mul_hi_u32 s11, s13, s11
	s_mul_i32 s12, s11, s7
	s_sub_i32 s12, s13, s12
	s_add_i32 s13, s11, 1
	s_sub_i32 s14, s12, s7
	s_cmp_ge_u32 s12, s7
	s_cselect_b32 s11, s13, s11
	s_cselect_b32 s12, s14, s12
	s_add_i32 s13, s11, 1
	s_cmp_ge_u32 s12, s7
	s_cselect_b32 s7, s13, s11
	s_load_dwordx2 s[12:13], s[4:5], 0x40
	s_xor_b32 s7, s7, s2
	s_abs_i32 s16, s6
	s_sub_i32 s17, s7, s2
	s_abs_i32 s2, s17
	v_cvt_f32_u32_e32 v0, s2
	s_sub_i32 s11, 0, s2
	v_rcp_iflag_f32_e32 v0, v0
	v_mul_f32_e32 v0, 0x4f7ffffe, v0
	v_cvt_u32_f32_e32 v0, v0
	v_readfirstlane_b32 s7, v0
	s_mul_i32 s11, s11, s7
	s_mul_hi_u32 s11, s7, s11
	s_add_i32 s7, s7, s11
	s_waitcnt lgkmcnt(0)
	s_cmp_eq_u64 s[12:13], 0
	s_mul_hi_u32 s26, s16, s7
	s_cbranch_scc1 .LBB360_2
; %bb.1:
	s_ashr_i32 s7, s6, 31
	s_lshl_b64 s[14:15], s[6:7], 2
	s_add_u32 s12, s12, s14
	s_addc_u32 s13, s13, s15
	s_load_dword s28, s[12:13], 0x0
.LBB360_2:
	s_load_dword s11, s[0:1], 0x0
	s_clause 0x1
	s_load_dwordx2 s[22:23], s[4:5], 0x28
	s_load_dwordx4 s[12:15], s[4:5], 0x48
	s_ashr_i32 s0, s6, 31
	s_ashr_i32 s1, s17, 31
	s_lshl_b32 s6, s6, 6
	s_waitcnt lgkmcnt(0)
	s_mov_b32 s15, exec_lo
	v_cmpx_gt_u32_e32 8, v22
	s_cbranch_execz .LBB360_4
; %bb.3:
	s_load_dwordx2 s[18:19], s[4:5], 0x8
	s_mul_i32 s20, s12, s10
	v_lshlrev_b32_e32 v4, 4, v22
	s_ashr_i32 s21, s20, 31
	s_lshl_b64 s[20:21], s[20:21], 1
	s_waitcnt lgkmcnt(0)
	s_add_u32 s12, s18, s20
	s_addc_u32 s17, s19, s21
	s_ashr_i32 s7, s6, 31
	s_lshl_b64 s[18:19], s[6:7], 1
	s_add_u32 s18, s12, s18
	s_addc_u32 s19, s17, s19
	global_load_dwordx4 v[0:3], v4, s[18:19]
	s_waitcnt vmcnt(0)
	ds_write_b128 v4, v[0:3]
.LBB360_4:
	s_or_b32 exec_lo, exec_lo, s15
	s_add_i32 s7, s11, 31
	s_clause 0x2
	s_load_dwordx2 s[20:21], s[4:5], 0x0
	s_load_dwordx2 s[24:25], s[4:5], 0x18
	s_load_dword s15, s[4:5], 0x38
	s_ashr_i32 s12, s7, 31
	s_mul_i32 s17, s26, s2
	s_lshr_b32 s12, s12, 27
	s_xor_b32 s0, s0, s1
	s_add_i32 s7, s7, s12
	s_sub_i32 s1, s16, s17
	s_ashr_i32 s12, s7, 5
	s_clause 0x1
	s_load_dword s7, s[4:5], 0x88
	s_load_dwordx4 s[16:19], s[4:5], 0x58
	s_add_i32 s27, s26, 1
	s_sub_i32 s29, s1, s2
	s_cmp_ge_u32 s1, s2
	v_lshrrev_b32_e32 v89, 5, v22
	s_cselect_b32 s26, s27, s26
	s_cselect_b32 s1, s29, s1
	s_add_i32 s27, s26, 1
	s_cmp_ge_u32 s1, s2
	v_and_b32_e32 v112, 31, v22
	s_cselect_b32 s1, s27, s26
	v_mov_b32_e32 v81, 0xff7fffff
	s_xor_b32 s1, s1, s0
	v_lshrrev_b32_e32 v35, 3, v22
	s_sub_i32 s1, s1, s0
	v_cmp_gt_i32_e64 s0, s12, v89
	v_lshlrev_b32_e32 v25, 2, v112
	s_waitcnt lgkmcnt(0)
	s_mul_i32 s26, s15, s10
	s_mul_i32 s14, s1, s14
	s_ashr_i32 s27, s26, 31
	s_barrier
	buffer_gl0_inv
	s_and_saveexec_b32 s15, s0
	s_cbranch_execz .LBB360_488
; %bb.5:
	v_mov_b32_e32 v2, 0
	buffer_store_dword v22, off, s[36:39], 0 offset:80 ; 4-byte Folded Spill
	s_load_dwordx2 s[4:5], s[4:5], 0x10
	s_ashr_i32 s1, s14, 31
	v_and_b32_e32 v1, 0x7c, v35
	ds_read_b128 v[3:6], v2
	ds_read_b128 v[7:10], v2 offset:16
	ds_read_b128 v[11:14], v2 offset:32
	;; [unrolled: 1-line block ×4, first 2 shown]
	s_load_dword s16, s[16:17], 0x0
	v_cmp_neq_f32_e64 vcc_lo, s28, 0
	v_lshl_or_b32 v83, v89, 5, v112
	v_mov_b32_e32 v81, 0xff7fffff
	v_mov_b32_e32 v84, 0x80
	;; [unrolled: 1-line block ×6, first 2 shown]
	s_mov_b32 s29, s13
	s_mov_b32 s30, 0
	buffer_store_dword v25, off, s[36:39], 0 offset:96 ; 4-byte Folded Spill
	buffer_store_dword v35, off, s[36:39], 0 offset:92 ; 4-byte Folded Spill
	;; [unrolled: 1-line block ×4, first 2 shown]
	s_waitcnt lgkmcnt(0)
	v_lshlrev_b32_e32 v0, 16, v3
	s_add_u32 s2, s4, s14
	v_lshlrev_b32_e32 v37, 16, v13
	v_and_b32_e32 v38, 0xffff0000, v13
	v_lshlrev_b32_e32 v39, 16, v14
	buffer_store_dword v0, off, s[36:39], 0 ; 4-byte Folded Spill
	v_and_b32_e32 v0, 0xffff0000, v3
	v_and_b32_e32 v40, 0xffff0000, v14
	s_addc_u32 s1, s5, s1
	s_lshl_b64 s[4:5], s[26:27], 2
	s_sub_i32 s17, 1, s11
	buffer_store_dword v0, off, s[36:39], 0 offset:4 ; 4-byte Folded Spill
	v_lshlrev_b32_e32 v0, 16, v4
	v_lshlrev_b32_e32 v41, 16, v15
	v_and_b32_e32 v42, 0xffff0000, v15
	v_lshlrev_b32_e32 v43, 16, v16
	v_and_b32_e32 v44, 0xffff0000, v16
	buffer_store_dword v0, off, s[36:39], 0 offset:8 ; 4-byte Folded Spill
	v_and_b32_e32 v0, 0xffff0000, v4
	v_lshlrev_b32_e32 v45, 16, v17
	v_and_b32_e32 v46, 0xffff0000, v17
	v_lshlrev_b32_e32 v47, 16, v18
	v_and_b32_e32 v48, 0xffff0000, v18
	buffer_store_dword v0, off, s[36:39], 0 offset:12 ; 4-byte Folded Spill
	v_lshlrev_b32_e32 v0, 16, v5
	v_lshlrev_b32_e32 v49, 16, v19
	v_and_b32_e32 v50, 0xffff0000, v19
	v_lshlrev_b32_e32 v51, 16, v20
	v_and_b32_e32 v52, 0xffff0000, v20
	buffer_store_dword v0, off, s[36:39], 0 offset:16 ; 4-byte Folded Spill
	v_and_b32_e32 v0, 0xffff0000, v5
	v_lshlrev_b32_e32 v53, 16, v21
	v_and_b32_e32 v54, 0xffff0000, v21
	v_lshlrev_b32_e32 v55, 16, v22
	v_and_b32_e32 v56, 0xffff0000, v22
	buffer_store_dword v0, off, s[36:39], 0 offset:20 ; 4-byte Folded Spill
	v_lshlrev_b32_e32 v0, 16, v6
	buffer_store_dword v0, off, s[36:39], 0 offset:24 ; 4-byte Folded Spill
	v_and_b32_e32 v0, 0xffff0000, v6
	ds_read_b128 v[3:6], v2 offset:80
	buffer_store_dword v0, off, s[36:39], 0 offset:28 ; 4-byte Folded Spill
	v_lshlrev_b32_e32 v0, 16, v7
	buffer_store_dword v0, off, s[36:39], 0 offset:32 ; 4-byte Folded Spill
	v_and_b32_e32 v0, 0xffff0000, v7
	buffer_store_dword v0, off, s[36:39], 0 offset:36 ; 4-byte Folded Spill
	v_lshlrev_b32_e32 v0, 16, v8
	buffer_store_dword v0, off, s[36:39], 0 offset:40 ; 4-byte Folded Spill
	v_and_b32_e32 v0, 0xffff0000, v8
	;; [unrolled: 4-line block ×4, first 2 shown]
	ds_read_b128 v[7:10], v2 offset:96
	s_waitcnt lgkmcnt(1)
	v_lshlrev_b32_e32 v57, 16, v3
	v_and_b32_e32 v58, 0xffff0000, v3
	v_lshlrev_b32_e32 v59, 16, v4
	buffer_store_dword v0, off, s[36:39], 0 offset:60 ; 4-byte Folded Spill
	v_lshlrev_b32_e32 v0, 16, v11
	v_and_b32_e32 v60, 0xffff0000, v4
	v_lshlrev_b32_e32 v61, 16, v5
	v_and_b32_e32 v62, 0xffff0000, v5
	v_lshlrev_b32_e32 v63, 16, v6
	buffer_store_dword v0, off, s[36:39], 0 offset:64 ; 4-byte Folded Spill
	v_and_b32_e32 v0, 0xffff0000, v11
	v_and_b32_e32 v64, 0xffff0000, v6
	buffer_store_dword v0, off, s[36:39], 0 offset:68 ; 4-byte Folded Spill
	v_lshlrev_b32_e32 v0, 16, v12
	s_waitcnt lgkmcnt(0)
	v_lshlrev_b32_e32 v65, 16, v7
	v_and_b32_e32 v66, 0xffff0000, v7
	buffer_store_dword v0, off, s[36:39], 0 offset:72 ; 4-byte Folded Spill
	v_and_b32_e32 v0, 0xffff0000, v12
	ds_read_b128 v[11:14], v2 offset:112
	v_lshlrev_b32_e32 v67, 16, v8
	v_and_b32_e32 v68, 0xffff0000, v8
	v_lshlrev_b32_e32 v69, 16, v9
	buffer_store_dword v0, off, s[36:39], 0 offset:76 ; 4-byte Folded Spill
	v_lshlrev_b32_e32 v0, 4, v112
	v_and_b32_e32 v70, 0xffff0000, v9
	v_lshlrev_b32_e32 v71, 16, v10
	v_and_b32_e32 v72, 0xffff0000, v10
	v_add_co_u32 v3, s2, s2, v0
	v_lshl_or_b32 v0, v89, 7, v25
	v_add_co_ci_u32_e64 v4, null, s1, 0, s2
	s_add_u32 s1, s22, s4
	s_addc_u32 s2, s23, s5
	v_add_co_u32 v5, s1, s1, v1
	v_add_nc_u32_e32 v82, 0xa0, v0
	s_waitcnt lgkmcnt(0)
	v_lshlrev_b32_e32 v73, 16, v11
	v_and_b32_e32 v74, 0xffff0000, v11
	v_lshlrev_b32_e32 v75, 16, v12
	v_and_b32_e32 v76, 0xffff0000, v12
	;; [unrolled: 2-line block ×4, first 2 shown]
	v_add_co_ci_u32_e64 v6, null, s2, 0, s1
	s_mov_b32 s4, -1
	s_mov_b32 s5, 0xffffff
	s_branch .LBB360_10
.LBB360_6:                              ;   in Loop: Header=BB360_10 Depth=1
	s_or_b32 exec_lo, exec_lo, s34
	v_lshlrev_b32_sdwa v8, v88, v8 dst_sel:DWORD dst_unused:UNUSED_PAD src0_sel:DWORD src1_sel:BYTE_3
	v_lshlrev_b32_e32 v1, 20, v1
	v_lshl_add_u32 v7, v7, 23, 0x3c000000
	v_and_b32_e32 v8, 0x80000000, v8
	v_or3_b32 v35, v1, v8, v7
.LBB360_7:                              ;   in Loop: Header=BB360_10 Depth=1
	s_or_b32 exec_lo, exec_lo, s33
.LBB360_8:                              ;   in Loop: Header=BB360_10 Depth=1
	s_or_b32 exec_lo, exec_lo, s31
.LBB360_9:                              ;   in Loop: Header=BB360_10 Depth=1
	s_or_b32 exec_lo, exec_lo, s2
	v_mul_f32_e32 v1, s16, v30
	v_mul_f32_e32 v18, s16, v18
	;; [unrolled: 1-line block ×5, first 2 shown]
	v_bfe_u32 v7, v1, 16, 1
	v_or_b32_e32 v8, 0x400000, v1
	v_cmp_u_f32_e64 s1, v1, v1
	v_mul_f32_e32 v13, s16, v13
	v_mul_f32_e32 v14, s16, v14
	v_add3_u32 v7, v7, v1, 0x7fff
	v_mul_f32_e32 v101, s16, v101
	v_mul_f32_e32 v102, s16, v102
	;; [unrolled: 1-line block ×4, first 2 shown]
	v_cndmask_b32_e64 v1, v7, v8, s1
	v_mul_f32_e32 v7, s16, v27
	v_mul_f32_e32 v98, s16, v98
	;; [unrolled: 1-line block ×5, first 2 shown]
	v_bfe_u32 v8, v7, 16, 1
	v_or_b32_e32 v9, 0x400000, v7
	v_cmp_u_f32_e64 s1, v7, v7
	v_mul_f32_e32 v92, s16, v92
	v_mul_f32_e32 v91, s16, v91
	v_add3_u32 v8, v8, v7, 0x7fff
	v_mul_f32_e32 v90, s16, v90
	v_mul_f32_e32 v34, s16, v34
	;; [unrolled: 1-line block ×4, first 2 shown]
	v_cndmask_b32_e64 v7, v8, v9, s1
	v_mul_f32_e32 v8, s16, v25
	v_mul_f32_e32 v26, s16, v26
	;; [unrolled: 1-line block ×4, first 2 shown]
	v_and_b32_e32 v7, 0xffff0000, v7
	v_bfe_u32 v9, v8, 16, 1
	v_or_b32_e32 v10, 0x400000, v8
	v_cmp_u_f32_e64 s1, v8, v8
	v_and_b32_e32 v1, 0xffff0000, v1
	v_add_nc_u32_e32 v89, 4, v89
	v_add3_u32 v9, v9, v8, 0x7fff
	v_mul_f32_e32 v8, s16, v24
	v_add_co_u32 v5, s2, v5, 16
	v_add_co_ci_u32_e64 v6, null, 0, v6, s2
	v_cndmask_b32_e64 v10, v9, v10, s1
	v_bfe_u32 v9, v8, 16, 1
	v_or_b32_e32 v24, 0x400000, v8
	v_cmp_u_f32_e64 s1, v8, v8
	v_add3_u32 v9, v9, v8, 0x7fff
	v_mul_f32_e32 v8, s16, v23
	v_cndmask_b32_e64 v24, v9, v24, s1
	v_bfe_u32 v9, v8, 16, 1
	v_or_b32_e32 v23, 0x400000, v8
	v_cmp_u_f32_e64 s1, v8, v8
	v_add3_u32 v9, v9, v8, 0x7fff
	v_mul_f32_e32 v8, s16, v20
	;; [unrolled: 6-line block ×4, first 2 shown]
	v_cndmask_b32_e64 v9, v9, v25, s1
	v_bfe_u32 v25, v8, 16, 1
	v_or_b32_e32 v27, 0x400000, v8
	v_cmp_u_f32_e64 s1, v8, v8
	v_add3_u32 v25, v25, v8, 0x7fff
	v_cndmask_b32_e64 v8, v25, v27, s1
	v_bfe_u32 v25, v18, 16, 1
	v_or_b32_e32 v27, 0x400000, v18
	v_cmp_u_f32_e64 s1, v18, v18
	v_add3_u32 v25, v25, v18, 0x7fff
	;; [unrolled: 5-line block ×4, first 2 shown]
	v_cndmask_b32_e64 v0, v25, v27, s1
	v_bfe_u32 v25, v15, 16, 1
	v_or_b32_e32 v27, 0x400000, v15
	v_cmp_u_f32_e64 s1, v15, v15
	v_and_b32_e32 v0, 0xffff0000, v0
	v_add3_u32 v25, v25, v15, 0x7fff
	v_mul_f32_e32 v15, s16, v21
	v_cndmask_b32_e64 v25, v25, v27, s1
	v_bfe_u32 v21, v15, 16, 1
	v_or_b32_e32 v27, 0x400000, v15
	v_cmp_u_f32_e64 s1, v15, v15
	v_add3_u32 v21, v21, v15, 0x7fff
	v_mul_f32_e32 v15, s16, v22
	v_cndmask_b32_e64 v21, v21, v27, s1
	v_bfe_u32 v22, v15, 16, 1
	v_or_b32_e32 v27, 0x400000, v15
	v_cmp_u_f32_e64 s1, v15, v15
	;; [unrolled: 6-line block ×3, first 2 shown]
	v_add3_u32 v17, v17, v15, 0x7fff
	v_cndmask_b32_e64 v15, v17, v27, s1
	v_mul_f32_e32 v17, s16, v19
	v_bfe_u32 v19, v17, 16, 1
	v_or_b32_e32 v27, 0x400000, v17
	v_cmp_u_f32_e64 s1, v17, v17
	v_add3_u32 v19, v19, v17, 0x7fff
	v_cndmask_b32_e64 v17, v19, v27, s1
	v_bfe_u32 v19, v13, 16, 1
	v_or_b32_e32 v27, 0x400000, v13
	v_cmp_u_f32_e64 s1, v13, v13
	v_add3_u32 v19, v19, v13, 0x7fff
	v_cndmask_b32_e64 v13, v19, v27, s1
	v_mul_f32_e32 v19, s16, v126
	v_and_b32_e32 v13, 0xffff0000, v13
	v_bfe_u32 v27, v19, 16, 1
	v_or_b32_e32 v28, 0x400000, v19
	v_cmp_u_f32_e64 s1, v19, v19
	v_add3_u32 v27, v27, v19, 0x7fff
	v_cndmask_b32_e64 v19, v27, v28, s1
	v_mul_f32_e32 v27, s16, v125
	v_and_b32_e32 v19, 0xffff0000, v19
	;; [unrolled: 7-line block ×3, first 2 shown]
	v_bfe_u32 v30, v28, 16, 1
	v_or_b32_e32 v32, 0x400000, v28
	v_cmp_u_f32_e64 s1, v28, v28
	v_add3_u32 v30, v30, v28, 0x7fff
	v_mul_f32_e32 v28, s16, v123
	v_cndmask_b32_e64 v30, v30, v32, s1
	v_bfe_u32 v32, v28, 16, 1
	v_or_b32_e32 v36, 0x400000, v28
	v_cmp_u_f32_e64 s1, v28, v28
	v_and_b32_e32 v30, 0xffff0000, v30
	v_add3_u32 v32, v32, v28, 0x7fff
	v_mul_f32_e32 v28, s16, v122
	v_cndmask_b32_e64 v32, v32, v36, s1
	v_bfe_u32 v36, v28, 16, 1
	v_or_b32_e32 v122, 0x400000, v28
	v_cmp_u_f32_e64 s1, v28, v28
	v_and_b32_e32 v32, 0xffff0000, v32
	v_add3_u32 v36, v36, v28, 0x7fff
	v_mul_f32_e32 v28, s16, v127
	v_cndmask_b32_e64 v122, v36, v122, s1
	v_bfe_u32 v36, v28, 16, 1
	v_or_b32_e32 v123, 0x400000, v28
	v_cmp_u_f32_e64 s1, v28, v28
	v_add3_u32 v36, v36, v28, 0x7fff
	v_cndmask_b32_e64 v28, v36, v123, s1
	v_bfe_u32 v36, v14, 16, 1
	v_or_b32_e32 v123, 0x400000, v14
	v_cmp_u_f32_e64 s1, v14, v14
	v_add3_u32 v36, v36, v14, 0x7fff
	v_cndmask_b32_e64 v14, v36, v123, s1
	v_mul_f32_e32 v36, s16, v120
	v_bfe_u32 v120, v36, 16, 1
	v_or_b32_e32 v123, 0x400000, v36
	v_cmp_u_f32_e64 s1, v36, v36
	v_add3_u32 v120, v120, v36, 0x7fff
	v_mul_f32_e32 v36, s16, v117
	v_cndmask_b32_e64 v120, v120, v123, s1
	v_bfe_u32 v117, v36, 16, 1
	v_or_b32_e32 v123, 0x400000, v36
	v_cmp_u_f32_e64 s1, v36, v36
	v_add3_u32 v117, v117, v36, 0x7fff
	v_mul_f32_e32 v36, s16, v118
	v_cndmask_b32_e64 v117, v117, v123, s1
	;; [unrolled: 6-line block ×16, first 2 shown]
	v_bfe_u32 v104, v36, 16, 1
	v_or_b32_e32 v111, 0x400000, v36
	v_cmp_u_f32_e64 s1, v36, v36
	v_add3_u32 v104, v104, v36, 0x7fff
	v_cndmask_b32_e64 v36, v104, v111, s1
	v_bfe_u32 v104, v101, 16, 1
	v_or_b32_e32 v111, 0x400000, v101
	v_cmp_u_f32_e64 s1, v101, v101
	v_add3_u32 v104, v104, v101, 0x7fff
	v_cndmask_b32_e64 v101, v104, v111, s1
	;; [unrolled: 5-line block ×7, first 2 shown]
	v_mul_f32_e32 v104, s16, v105
	v_bfe_u32 v105, v104, 16, 1
	v_or_b32_e32 v111, 0x400000, v104
	v_cmp_u_f32_e64 s1, v104, v104
	v_add3_u32 v105, v105, v104, 0x7fff
	v_cndmask_b32_e64 v104, v105, v111, s1
	v_bfe_u32 v105, v96, 16, 1
	v_or_b32_e32 v111, 0x400000, v96
	v_cmp_u_f32_e64 s1, v96, v96
	v_add3_u32 v105, v105, v96, 0x7fff
	v_bfe_u32 v96, v93, 16, 1
	v_cndmask_b32_e64 v105, v105, v111, s1
	v_add3_u32 v96, v96, v93, 0x7fff
	v_or_b32_e32 v111, 0x400000, v93
	v_cmp_u_f32_e64 s1, v93, v93
	v_mul_f32_e32 v93, s16, v94
	v_cndmask_b32_e64 v111, v96, v111, s1
	v_bfe_u32 v94, v93, 16, 1
	v_or_b32_e32 v96, 0x400000, v93
	v_cmp_u_f32_e64 s1, v93, v93
	v_add3_u32 v94, v94, v93, 0x7fff
	v_bfe_u32 v93, v92, 16, 1
	v_cndmask_b32_e64 v113, v94, v96, s1
	v_add3_u32 v93, v93, v92, 0x7fff
	v_or_b32_e32 v94, 0x400000, v92
	v_cmp_u_f32_e64 s1, v92, v92
	v_cndmask_b32_e64 v92, v93, v94, s1
	v_bfe_u32 v93, v91, 16, 1
	v_or_b32_e32 v94, 0x400000, v91
	v_cmp_u_f32_e64 s1, v91, v91
	v_add3_u32 v93, v93, v91, 0x7fff
	v_cndmask_b32_e64 v91, v93, v94, s1
	v_bfe_u32 v93, v90, 16, 1
	v_or_b32_e32 v94, 0x400000, v90
	v_cmp_u_f32_e64 s1, v90, v90
	v_add3_u32 v93, v93, v90, 0x7fff
	v_cndmask_b32_e64 v90, v93, v94, s1
	v_mul_f32_e32 v93, s16, v95
	v_bfe_u32 v94, v93, 16, 1
	v_or_b32_e32 v95, 0x400000, v93
	v_cmp_u_f32_e64 s1, v93, v93
	v_add3_u32 v94, v94, v93, 0x7fff
	v_mul_f32_e32 v93, s16, v97
	v_cndmask_b32_e64 v125, v94, v95, s1
	v_bfe_u32 v94, v93, 16, 1
	v_or_b32_e32 v95, 0x400000, v93
	v_cmp_u_f32_e64 s1, v93, v93
	v_add3_u32 v94, v94, v93, 0x7fff
	v_bfe_u32 v93, v34, 16, 1
	v_cndmask_b32_e64 v126, v94, v95, s1
	v_add3_u32 v93, v93, v34, 0x7fff
	v_or_b32_e32 v94, 0x400000, v34
	v_cmp_u_f32_e64 s1, v34, v34
	v_cndmask_b32_e64 v34, v93, v94, s1
	v_bfe_u32 v93, v31, 16, 1
	v_or_b32_e32 v94, 0x400000, v31
	v_cmp_u_f32_e64 s1, v31, v31
	v_add3_u32 v93, v93, v31, 0x7fff
	v_cndmask_b32_e64 v31, v93, v94, s1
	v_bfe_u32 v93, v29, 16, 1
	v_or_b32_e32 v94, 0x400000, v29
	v_cmp_u_f32_e64 s1, v29, v29
	v_add3_u32 v93, v93, v29, 0x7fff
	;; [unrolled: 5-line block ×4, first 2 shown]
	v_bfe_u32 v12, v11, 16, 1
	v_cndmask_b32_e64 v93, v93, v94, s1
	v_add3_u32 v12, v12, v11, 0x7fff
	v_or_b32_e32 v94, 0x400000, v11
	v_cmp_u_f32_e64 s1, v11, v11
	v_mul_f32_e32 v11, s16, v33
	v_cndmask_b32_e64 v97, v12, v94, s1
	v_bfe_u32 v12, v11, 16, 1
	v_or_b32_e32 v33, 0x400000, v11
	v_cmp_u_f32_e64 s1, v11, v11
	v_add3_u32 v12, v12, v11, 0x7fff
	v_cndmask_b32_e64 v11, v12, v33, s1
	v_mul_f32_e32 v12, s16, v35
	v_bfe_u32 v33, v12, 16, 1
	v_or_b32_e32 v35, 0x400000, v12
	v_cmp_u_f32_e64 s1, v12, v12
	v_add3_u32 v33, v33, v12, 0x7fff
	v_cndmask_b32_e64 v12, v33, v35, s1
	v_and_b32_e32 v35, 0xffff0000, v90
	buffer_load_dword v90, off, s[36:39], 0 offset:32 ; 4-byte Folded Reload
	v_and_b32_e32 v33, 0xffff0000, v98
	v_and_b32_e32 v98, 0xffff0000, v126
	v_cmp_gt_i32_e64 s1, s11, v83
	s_waitcnt vmcnt(0)
	v_mul_f32_e32 v94, v90, v33
	s_clause 0x1
	buffer_load_dword v33, off, s[36:39], 0
	buffer_load_dword v90, off, s[36:39], 0 offset:36
	s_waitcnt vmcnt(1)
	v_fmac_f32_e32 v94, v33, v35
	v_and_b32_e32 v33, 0xffff0000, v99
	v_and_b32_e32 v35, 0xffff0000, v91
	s_waitcnt vmcnt(0)
	v_mul_f32_e32 v96, v90, v33
	s_clause 0x1
	buffer_load_dword v33, off, s[36:39], 0 offset:4
	buffer_load_dword v90, off, s[36:39], 0 offset:40
	s_waitcnt vmcnt(1)
	v_fmac_f32_e32 v96, v33, v35
	v_and_b32_e32 v33, 0xffff0000, v100
	v_and_b32_e32 v35, 0xffff0000, v92
	s_waitcnt vmcnt(0)
	v_mul_f32_e32 v95, v90, v33
	s_clause 0x1
	buffer_load_dword v33, off, s[36:39], 0 offset:8
	;; [unrolled: 9-line block ×4, first 2 shown]
	buffer_load_dword v90, off, s[36:39], 0 offset:56
	s_waitcnt vmcnt(1)
	v_fmac_f32_e32 v91, v33, v35
	v_and_b32_e32 v33, 0xffff0000, v36
	buffer_load_dword v36, off, s[36:39], 0 offset:52 ; 4-byte Folded Reload
	v_and_b32_e32 v35, 0xffff0000, v105
	s_waitcnt vmcnt(0)
	v_mul_f32_e32 v33, v36, v33
	buffer_load_dword v36, off, s[36:39], 0 offset:20 ; 4-byte Folded Reload
	s_waitcnt vmcnt(0)
	v_fmac_f32_e32 v33, v36, v35
	v_and_b32_e32 v35, 0xffff0000, v103
	v_and_b32_e32 v36, 0xffff0000, v125
	v_mul_f32_e32 v35, v90, v35
	buffer_load_dword v90, off, s[36:39], 0 offset:24 ; 4-byte Folded Reload
	s_waitcnt vmcnt(0)
	v_fmac_f32_e32 v35, v90, v36
	buffer_load_dword v90, off, s[36:39], 0 offset:60 ; 4-byte Folded Reload
	v_and_b32_e32 v36, 0xffff0000, v104
	s_waitcnt vmcnt(0)
	v_mul_f32_e32 v90, v90, v36
	buffer_load_dword v36, off, s[36:39], 0 offset:28 ; 4-byte Folded Reload
	s_waitcnt vmcnt(0)
	v_fmac_f32_e32 v90, v36, v98
	buffer_load_dword v98, off, s[36:39], 0 offset:64 ; 4-byte Folded Reload
	v_and_b32_e32 v36, 0xffff0000, v121
	s_waitcnt vmcnt(0)
	v_fmac_f32_e32 v94, v98, v36
	buffer_load_dword v98, off, s[36:39], 0 offset:68 ; 4-byte Folded Reload
	v_and_b32_e32 v36, 0xffff0000, v119
	;; [unrolled: 4-line block ×4, first 2 shown]
	s_waitcnt vmcnt(0)
	v_fmac_f32_e32 v92, v98, v36
	v_and_b32_e32 v36, 0xffff0000, v109
	v_fmac_f32_e32 v91, v37, v36
	v_and_b32_e32 v36, 0xffff0000, v112
	;; [unrolled: 2-line block ×7, first 2 shown]
	v_fmac_f32_e32 v96, v50, v32
	v_fmac_f32_e32 v95, v43, v36
	v_and_b32_e32 v36, 0xffff0000, v118
	v_fmac_f32_e32 v95, v51, v30
	v_fmac_f32_e32 v92, v44, v36
	v_and_b32_e32 v36, 0xffff0000, v117
	;; [unrolled: 3-line block ×3, first 2 shown]
	v_fmac_f32_e32 v92, v60, v0
	v_fmac_f32_e32 v91, v53, v19
	;; [unrolled: 1-line block ×3, first 2 shown]
	v_and_b32_e32 v36, 0xffff0000, v115
	v_and_b32_e32 v0, 0xffff0000, v16
	v_fmac_f32_e32 v33, v54, v13
	v_fmac_f32_e32 v35, v47, v36
	v_and_b32_e32 v36, 0xffff0000, v114
	v_and_b32_e32 v13, 0xffff0000, v28
	v_fmac_f32_e32 v91, v61, v0
	v_and_b32_e32 v0, 0xffff0000, v18
	v_fmac_f32_e32 v90, v48, v36
	;; [unrolled: 2-line block ×5, first 2 shown]
	v_fmac_f32_e32 v91, v69, v7
	v_fmac_f32_e32 v90, v56, v13
	v_and_b32_e32 v13, 0xffff0000, v22
	v_fmac_f32_e32 v35, v63, v0
	v_and_b32_e32 v0, 0xffff0000, v17
	;; [unrolled: 2-line block ×17, first 2 shown]
	v_fmac_f32_e32 v90, v80, v1
	v_add_nc_u32_e32 v1, s17, v83
	v_add_nc_u32_e32 v83, 0x80, v83
	v_fmac_f32_e32 v92, v68, v0
	v_and_b32_e32 v0, 0xffff0000, v26
	v_cvt_f32_i32_e32 v1, v1
	v_fmac_f32_e32 v92, v76, v7
	v_fmac_f32_e32 v95, v75, v0
	v_add_f32_e32 v0, v94, v96
	v_mul_f32_e32 v1, s28, v1
	v_add_f32_e32 v0, v0, v95
	v_cndmask_b32_e32 v1, 0, v1, vcc_lo
	v_add_f32_e32 v0, v0, v92
	v_add_f32_e32 v0, v0, v91
	;; [unrolled: 1-line block ×5, first 2 shown]
	v_fmac_f32_e32 v1, s3, v0
	v_max_f32_e32 v0, v81, v81
	v_max_f32_e32 v0, v0, v1
	v_cndmask_b32_e64 v1, 0, v1, s1
	v_cndmask_b32_e64 v81, v81, v0, s1
	v_cmp_le_i32_e64 s1, s12, v89
	ds_write_b32 v82, v1
	v_add_nc_u32_e32 v82, 0x200, v82
	s_or_b32 s30, s1, s30
	s_andn2_b32 exec_lo, exec_lo, s30
	s_cbranch_execz .LBB360_487
.LBB360_10:                             ; =>This Inner Loop Header: Depth=1
	global_load_dword v0, v[5:6], off
	v_mov_b32_e32 v90, 0
	s_waitcnt vmcnt(0)
	v_mad_i64_i32 v[7:8], null, v0, s29, v[3:4]
	global_load_dwordx2 v[9:10], v[7:8], off
	s_waitcnt vmcnt(0)
	v_cmp_ne_u16_sdwa s1, v9, v2 src0_sel:BYTE_0 src1_sel:DWORD
	s_and_saveexec_b32 s2, s1
	s_cbranch_execz .LBB360_16
; %bb.11:                               ;   in Loop: Header=BB360_10 Depth=1
	v_cmp_ne_u16_sdwa s1, v9, v84 src0_sel:BYTE_0 src1_sel:DWORD
	v_bfrev_b32_e32 v90, 1
	s_and_saveexec_b32 s31, s1
	s_cbranch_execz .LBB360_15
; %bb.12:                               ;   in Loop: Header=BB360_10 Depth=1
	v_and_b32_e32 v0, 0x7f, v9
	v_mov_b32_e32 v90, 0x7f800001
	s_mov_b32 s33, exec_lo
	v_cmpx_ne_u32_e32 0x7f, v0
	s_cbranch_execz .LBB360_14
; %bb.13:                               ;   in Loop: Header=BB360_10 Depth=1
	v_and_b32_e32 v1, 7, v9
	v_cmp_gt_u32_e64 s1, 8, v0
	v_lshrrev_b32_e32 v11, 3, v0
	v_ffbh_u32_e32 v1, v1
	v_min_u32_e32 v1, 32, v1
	v_subrev_nc_u32_e32 v12, 28, v1
	v_sub_nc_u32_e32 v1, 29, v1
	v_cndmask_b32_e64 v0, 0, v12, s1
	v_cndmask_b32_e64 v11, v11, v1, s1
	v_lshlrev_b64 v[0:1], v0, v[9:10]
	v_lshlrev_b32_e32 v1, 24, v9
	v_lshl_add_u32 v11, v11, 23, 0x3c000000
	v_lshlrev_b32_e32 v0, 20, v0
	v_and_b32_e32 v1, 0x80000000, v1
	v_and_b32_e32 v0, 0x700000, v0
	v_or3_b32 v90, v0, v1, v11
.LBB360_14:                             ;   in Loop: Header=BB360_10 Depth=1
	s_or_b32 exec_lo, exec_lo, s33
.LBB360_15:                             ;   in Loop: Header=BB360_10 Depth=1
	s_or_b32 exec_lo, exec_lo, s31
.LBB360_16:                             ;   in Loop: Header=BB360_10 Depth=1
	s_or_b32 exec_lo, exec_lo, s2
	v_cmp_ne_u16_sdwa s1, v9, v2 src0_sel:BYTE_1 src1_sel:DWORD
	v_mov_b32_e32 v92, 0
	v_mov_b32_e32 v91, 0
	s_and_saveexec_b32 s2, s1
	s_cbranch_execz .LBB360_24
; %bb.17:                               ;   in Loop: Header=BB360_10 Depth=1
	v_cmp_ne_u16_sdwa s1, v9, v84 src0_sel:BYTE_1 src1_sel:DWORD
	v_bfrev_b32_e32 v91, 1
	s_and_saveexec_b32 s31, s1
	s_cbranch_execz .LBB360_23
; %bb.18:                               ;   in Loop: Header=BB360_10 Depth=1
	v_and_b32_sdwa v0, v85, v9 dst_sel:DWORD dst_unused:UNUSED_PAD src0_sel:DWORD src1_sel:BYTE_1
	v_mov_b32_e32 v91, 0x7f800001
	s_mov_b32 s33, exec_lo
	v_and_b32_e32 v11, 0x7f, v0
	v_cmpx_ne_u32_e32 0x7f, v11
	s_cbranch_execz .LBB360_22
; %bb.19:                               ;   in Loop: Header=BB360_10 Depth=1
	v_and_b32_e32 v1, 7, v0
	v_lshrrev_b32_e32 v0, 3, v11
	s_mov_b32 s34, exec_lo
	v_cmpx_gt_u32_e32 8, v11
; %bb.20:                               ;   in Loop: Header=BB360_10 Depth=1
	v_ffbh_u32_e32 v0, v1
	v_min_u32_e32 v0, 32, v0
	v_subrev_nc_u32_e32 v11, 28, v0
	v_sub_nc_u32_e32 v0, 29, v0
	v_lshlrev_b64 v[11:12], v11, v[1:2]
	v_and_b32_e32 v1, 7, v11
; %bb.21:                               ;   in Loop: Header=BB360_10 Depth=1
	s_or_b32 exec_lo, exec_lo, s34
	v_lshlrev_b32_e32 v11, 16, v9
	v_lshlrev_b32_e32 v1, 20, v1
	v_lshl_add_u32 v0, v0, 23, 0x3c000000
	v_and_b32_e32 v11, 0x80000000, v11
	v_or3_b32 v91, v1, v11, v0
.LBB360_22:                             ;   in Loop: Header=BB360_10 Depth=1
	s_or_b32 exec_lo, exec_lo, s33
.LBB360_23:                             ;   in Loop: Header=BB360_10 Depth=1
	s_or_b32 exec_lo, exec_lo, s31
.LBB360_24:                             ;   in Loop: Header=BB360_10 Depth=1
	s_or_b32 exec_lo, exec_lo, s2
	v_and_b32_sdwa v0, v9, v86 dst_sel:DWORD dst_unused:UNUSED_PAD src0_sel:WORD_1 src1_sel:DWORD
	s_mov_b32 s2, exec_lo
	v_cmpx_ne_u16_e32 0, v0
	s_cbranch_execz .LBB360_32
; %bb.25:                               ;   in Loop: Header=BB360_10 Depth=1
	v_bfrev_b32_e32 v92, 1
	s_mov_b32 s31, exec_lo
	v_cmpx_ne_u16_e32 0x80, v0
	s_cbranch_execz .LBB360_31
; %bb.26:                               ;   in Loop: Header=BB360_10 Depth=1
	v_bfe_u32 v11, v9, 16, 7
	v_mov_b32_e32 v92, 0x7f800001
	s_mov_b32 s33, exec_lo
	v_cmpx_ne_u32_e32 0x7f, v11
	s_cbranch_execz .LBB360_30
; %bb.27:                               ;   in Loop: Header=BB360_10 Depth=1
	v_and_b32_sdwa v1, v9, v87 dst_sel:DWORD dst_unused:UNUSED_PAD src0_sel:WORD_1 src1_sel:DWORD
	v_lshrrev_b32_e32 v0, 3, v11
	s_mov_b32 s34, exec_lo
	v_cmpx_gt_u32_e32 8, v11
; %bb.28:                               ;   in Loop: Header=BB360_10 Depth=1
	v_ffbh_u32_e32 v0, v1
	v_min_u32_e32 v0, 32, v0
	v_subrev_nc_u32_e32 v11, 28, v0
	v_sub_nc_u32_e32 v0, 29, v0
	v_lshlrev_b64 v[11:12], v11, v[1:2]
	v_and_b32_e32 v1, 7, v11
; %bb.29:                               ;   in Loop: Header=BB360_10 Depth=1
	s_or_b32 exec_lo, exec_lo, s34
	v_lshlrev_b32_sdwa v11, v88, v9 dst_sel:DWORD dst_unused:UNUSED_PAD src0_sel:DWORD src1_sel:WORD_1
	v_lshlrev_b32_e32 v1, 20, v1
	v_lshl_add_u32 v0, v0, 23, 0x3c000000
	v_and_b32_e32 v11, 0x80000000, v11
	v_or3_b32 v92, v1, v11, v0
.LBB360_30:                             ;   in Loop: Header=BB360_10 Depth=1
	s_or_b32 exec_lo, exec_lo, s33
.LBB360_31:                             ;   in Loop: Header=BB360_10 Depth=1
	s_or_b32 exec_lo, exec_lo, s31
.LBB360_32:                             ;   in Loop: Header=BB360_10 Depth=1
	s_or_b32 exec_lo, exec_lo, s2
	v_mov_b32_e32 v93, 0
	v_mov_b32_e32 v94, 0
	s_mov_b32 s2, exec_lo
	v_cmpx_lt_u32_e32 0xffffff, v9
	s_cbranch_execz .LBB360_40
; %bb.33:                               ;   in Loop: Header=BB360_10 Depth=1
	v_cmp_ne_u32_sdwa s1, v9, v84 src0_sel:BYTE_3 src1_sel:DWORD
	v_bfrev_b32_e32 v94, 1
	s_and_saveexec_b32 s31, s1
	s_cbranch_execz .LBB360_39
; %bb.34:                               ;   in Loop: Header=BB360_10 Depth=1
	v_bfe_u32 v11, v9, 24, 7
	v_mov_b32_e32 v94, 0x7f800001
	s_mov_b32 s33, exec_lo
	v_cmpx_ne_u32_e32 0x7f, v11
	s_cbranch_execz .LBB360_38
; %bb.35:                               ;   in Loop: Header=BB360_10 Depth=1
	v_and_b32_sdwa v1, v9, v87 dst_sel:DWORD dst_unused:UNUSED_PAD src0_sel:BYTE_3 src1_sel:DWORD
	v_lshrrev_b32_e32 v0, 3, v11
	s_mov_b32 s34, exec_lo
	v_cmpx_gt_u32_e32 8, v11
; %bb.36:                               ;   in Loop: Header=BB360_10 Depth=1
	v_ffbh_u32_e32 v0, v1
	v_min_u32_e32 v0, 32, v0
	v_subrev_nc_u32_e32 v11, 28, v0
	v_sub_nc_u32_e32 v0, 29, v0
	v_lshlrev_b64 v[11:12], v11, v[1:2]
	v_and_b32_e32 v1, 7, v11
; %bb.37:                               ;   in Loop: Header=BB360_10 Depth=1
	s_or_b32 exec_lo, exec_lo, s34
	v_lshlrev_b32_sdwa v11, v88, v9 dst_sel:DWORD dst_unused:UNUSED_PAD src0_sel:DWORD src1_sel:BYTE_3
	v_lshlrev_b32_e32 v1, 20, v1
	v_lshl_add_u32 v0, v0, 23, 0x3c000000
	v_and_b32_e32 v11, 0x80000000, v11
	v_or3_b32 v94, v1, v11, v0
.LBB360_38:                             ;   in Loop: Header=BB360_10 Depth=1
	s_or_b32 exec_lo, exec_lo, s33
.LBB360_39:                             ;   in Loop: Header=BB360_10 Depth=1
	s_or_b32 exec_lo, exec_lo, s31
.LBB360_40:                             ;   in Loop: Header=BB360_10 Depth=1
	s_or_b32 exec_lo, exec_lo, s2
	v_mov_b32_e32 v1, v10
	v_cmp_ne_u16_sdwa s1, v10, v2 src0_sel:BYTE_0 src1_sel:DWORD
	s_and_saveexec_b32 s2, s1
	s_cbranch_execz .LBB360_46
; %bb.41:                               ;   in Loop: Header=BB360_10 Depth=1
	v_cmp_ne_u16_sdwa s1, v10, v84 src0_sel:BYTE_0 src1_sel:DWORD
	v_bfrev_b32_e32 v93, 1
	s_and_saveexec_b32 s31, s1
	s_cbranch_execz .LBB360_45
; %bb.42:                               ;   in Loop: Header=BB360_10 Depth=1
	v_and_b32_e32 v0, 0x7f, v10
	v_mov_b32_e32 v93, 0x7f800001
	s_mov_b32 s33, exec_lo
	v_cmpx_ne_u32_e32 0x7f, v0
	s_cbranch_execz .LBB360_44
; %bb.43:                               ;   in Loop: Header=BB360_10 Depth=1
	v_and_b32_e32 v11, 7, v10
	v_lshrrev_b32_e32 v12, 3, v0
	v_cmp_gt_u32_e64 s1, 8, v0
	v_ffbh_u32_e32 v11, v11
	v_min_u32_e32 v11, 32, v11
	v_subrev_nc_u32_e32 v13, 28, v11
	v_sub_nc_u32_e32 v11, 29, v11
	v_cndmask_b32_e64 v0, v12, v11, s1
	v_cndmask_b32_e64 v11, 0, v13, s1
	v_lshl_add_u32 v0, v0, 23, 0x3c000000
	v_lshlrev_b64 v[11:12], v11, v[1:2]
	v_lshlrev_b32_e32 v12, 24, v1
	v_lshlrev_b32_e32 v11, 20, v11
	v_and_b32_e32 v12, 0x80000000, v12
	v_and_b32_e32 v11, 0x700000, v11
	v_or3_b32 v93, v11, v12, v0
.LBB360_44:                             ;   in Loop: Header=BB360_10 Depth=1
	s_or_b32 exec_lo, exec_lo, s33
.LBB360_45:                             ;   in Loop: Header=BB360_10 Depth=1
	s_or_b32 exec_lo, exec_lo, s31
.LBB360_46:                             ;   in Loop: Header=BB360_10 Depth=1
	s_or_b32 exec_lo, exec_lo, s2
	v_cmp_ne_u16_sdwa s1, v1, v2 src0_sel:BYTE_1 src1_sel:DWORD
	v_mov_b32_e32 v95, 0
	v_mov_b32_e32 v96, 0
	s_and_saveexec_b32 s2, s1
	s_cbranch_execz .LBB360_54
; %bb.47:                               ;   in Loop: Header=BB360_10 Depth=1
	v_cmp_ne_u16_sdwa s1, v1, v84 src0_sel:BYTE_1 src1_sel:DWORD
	v_bfrev_b32_e32 v96, 1
	s_and_saveexec_b32 s31, s1
	s_cbranch_execz .LBB360_53
; %bb.48:                               ;   in Loop: Header=BB360_10 Depth=1
	v_and_b32_sdwa v0, v85, v1 dst_sel:DWORD dst_unused:UNUSED_PAD src0_sel:DWORD src1_sel:BYTE_1
	v_mov_b32_e32 v96, 0x7f800001
	s_mov_b32 s33, exec_lo
	v_and_b32_e32 v13, 0x7f, v0
	v_cmpx_ne_u32_e32 0x7f, v13
	s_cbranch_execz .LBB360_52
; %bb.49:                               ;   in Loop: Header=BB360_10 Depth=1
	v_and_b32_e32 v11, 7, v0
	v_mov_b32_e32 v12, v2
	v_lshrrev_b32_e32 v0, 3, v13
	s_mov_b32 s34, exec_lo
	v_cmpx_gt_u32_e32 8, v13
; %bb.50:                               ;   in Loop: Header=BB360_10 Depth=1
	v_ffbh_u32_e32 v0, v11
	v_min_u32_e32 v0, 32, v0
	v_subrev_nc_u32_e32 v13, 28, v0
	v_sub_nc_u32_e32 v0, 29, v0
	v_lshlrev_b64 v[11:12], v13, v[11:12]
	v_and_b32_e32 v11, 7, v11
; %bb.51:                               ;   in Loop: Header=BB360_10 Depth=1
	s_or_b32 exec_lo, exec_lo, s34
	v_lshlrev_b32_e32 v1, 16, v1
	v_lshlrev_b32_e32 v11, 20, v11
	v_lshl_add_u32 v0, v0, 23, 0x3c000000
	v_and_b32_e32 v1, 0x80000000, v1
	v_or3_b32 v96, v11, v1, v0
.LBB360_52:                             ;   in Loop: Header=BB360_10 Depth=1
	s_or_b32 exec_lo, exec_lo, s33
.LBB360_53:                             ;   in Loop: Header=BB360_10 Depth=1
	s_or_b32 exec_lo, exec_lo, s31
.LBB360_54:                             ;   in Loop: Header=BB360_10 Depth=1
	s_or_b32 exec_lo, exec_lo, s2
	v_and_b32_sdwa v0, v10, v86 dst_sel:DWORD dst_unused:UNUSED_PAD src0_sel:WORD_1 src1_sel:DWORD
	s_mov_b32 s2, exec_lo
	v_cmpx_ne_u16_e32 0, v0
	s_cbranch_execz .LBB360_62
; %bb.55:                               ;   in Loop: Header=BB360_10 Depth=1
	v_bfrev_b32_e32 v95, 1
	s_mov_b32 s31, exec_lo
	v_cmpx_ne_u16_e32 0x80, v0
	s_cbranch_execz .LBB360_61
; %bb.56:                               ;   in Loop: Header=BB360_10 Depth=1
	v_bfe_u32 v11, v10, 16, 7
	v_mov_b32_e32 v95, 0x7f800001
	s_mov_b32 s33, exec_lo
	v_cmpx_ne_u32_e32 0x7f, v11
	s_cbranch_execz .LBB360_60
; %bb.57:                               ;   in Loop: Header=BB360_10 Depth=1
	v_and_b32_sdwa v1, v10, v87 dst_sel:DWORD dst_unused:UNUSED_PAD src0_sel:WORD_1 src1_sel:DWORD
	v_lshrrev_b32_e32 v0, 3, v11
	s_mov_b32 s34, exec_lo
	v_cmpx_gt_u32_e32 8, v11
; %bb.58:                               ;   in Loop: Header=BB360_10 Depth=1
	v_ffbh_u32_e32 v0, v1
	v_min_u32_e32 v0, 32, v0
	v_subrev_nc_u32_e32 v11, 28, v0
	v_sub_nc_u32_e32 v0, 29, v0
	v_lshlrev_b64 v[11:12], v11, v[1:2]
	v_and_b32_e32 v1, 7, v11
; %bb.59:                               ;   in Loop: Header=BB360_10 Depth=1
	s_or_b32 exec_lo, exec_lo, s34
	v_lshlrev_b32_sdwa v11, v88, v10 dst_sel:DWORD dst_unused:UNUSED_PAD src0_sel:DWORD src1_sel:WORD_1
	v_lshlrev_b32_e32 v1, 20, v1
	v_lshl_add_u32 v0, v0, 23, 0x3c000000
	v_and_b32_e32 v11, 0x80000000, v11
	v_or3_b32 v95, v1, v11, v0
.LBB360_60:                             ;   in Loop: Header=BB360_10 Depth=1
	s_or_b32 exec_lo, exec_lo, s33
.LBB360_61:                             ;   in Loop: Header=BB360_10 Depth=1
	s_or_b32 exec_lo, exec_lo, s31
.LBB360_62:                             ;   in Loop: Header=BB360_10 Depth=1
	s_or_b32 exec_lo, exec_lo, s2
	v_mov_b32_e32 v98, 0
	v_mov_b32_e32 v97, 0
	s_mov_b32 s2, exec_lo
	v_cmpx_lt_u64_e64 s[4:5], v[9:10]
	s_cbranch_execz .LBB360_70
; %bb.63:                               ;   in Loop: Header=BB360_10 Depth=1
	v_cmp_ne_u32_sdwa s1, v10, v84 src0_sel:BYTE_3 src1_sel:DWORD
	v_bfrev_b32_e32 v97, 1
	s_and_saveexec_b32 s31, s1
	s_cbranch_execz .LBB360_69
; %bb.64:                               ;   in Loop: Header=BB360_10 Depth=1
	v_bfe_u32 v9, v10, 24, 7
	v_mov_b32_e32 v97, 0x7f800001
	s_mov_b32 s33, exec_lo
	v_cmpx_ne_u32_e32 0x7f, v9
	s_cbranch_execz .LBB360_68
; %bb.65:                               ;   in Loop: Header=BB360_10 Depth=1
	v_and_b32_sdwa v1, v10, v87 dst_sel:DWORD dst_unused:UNUSED_PAD src0_sel:BYTE_3 src1_sel:DWORD
	v_lshrrev_b32_e32 v0, 3, v9
	s_mov_b32 s34, exec_lo
	v_cmpx_gt_u32_e32 8, v9
; %bb.66:                               ;   in Loop: Header=BB360_10 Depth=1
	v_ffbh_u32_e32 v0, v1
	v_min_u32_e32 v0, 32, v0
	v_subrev_nc_u32_e32 v9, 28, v0
	v_sub_nc_u32_e32 v0, 29, v0
	v_lshlrev_b64 v[11:12], v9, v[1:2]
	v_and_b32_e32 v1, 7, v11
; %bb.67:                               ;   in Loop: Header=BB360_10 Depth=1
	s_or_b32 exec_lo, exec_lo, s34
	v_lshlrev_b32_sdwa v9, v88, v10 dst_sel:DWORD dst_unused:UNUSED_PAD src0_sel:DWORD src1_sel:BYTE_3
	v_lshlrev_b32_e32 v1, 20, v1
	v_lshl_add_u32 v0, v0, 23, 0x3c000000
	v_and_b32_e32 v9, 0x80000000, v9
	v_or3_b32 v97, v1, v9, v0
.LBB360_68:                             ;   in Loop: Header=BB360_10 Depth=1
	s_or_b32 exec_lo, exec_lo, s33
.LBB360_69:                             ;   in Loop: Header=BB360_10 Depth=1
	s_or_b32 exec_lo, exec_lo, s31
.LBB360_70:                             ;   in Loop: Header=BB360_10 Depth=1
	s_or_b32 exec_lo, exec_lo, s2
	global_load_dwordx2 v[9:10], v[7:8], off offset:8
	s_waitcnt vmcnt(0)
	v_cmp_ne_u16_sdwa s1, v9, v2 src0_sel:BYTE_0 src1_sel:DWORD
	s_and_saveexec_b32 s2, s1
	s_cbranch_execz .LBB360_76
; %bb.71:                               ;   in Loop: Header=BB360_10 Depth=1
	v_cmp_ne_u16_sdwa s1, v9, v84 src0_sel:BYTE_0 src1_sel:DWORD
	v_bfrev_b32_e32 v98, 1
	s_and_saveexec_b32 s31, s1
	s_cbranch_execz .LBB360_75
; %bb.72:                               ;   in Loop: Header=BB360_10 Depth=1
	v_and_b32_e32 v0, 0x7f, v9
	v_mov_b32_e32 v98, 0x7f800001
	s_mov_b32 s33, exec_lo
	v_cmpx_ne_u32_e32 0x7f, v0
	s_cbranch_execz .LBB360_74
; %bb.73:                               ;   in Loop: Header=BB360_10 Depth=1
	v_and_b32_e32 v1, 7, v9
	v_cmp_gt_u32_e64 s1, 8, v0
	v_lshrrev_b32_e32 v11, 3, v0
	v_ffbh_u32_e32 v1, v1
	v_min_u32_e32 v1, 32, v1
	v_subrev_nc_u32_e32 v12, 28, v1
	v_sub_nc_u32_e32 v1, 29, v1
	v_cndmask_b32_e64 v0, 0, v12, s1
	v_cndmask_b32_e64 v11, v11, v1, s1
	v_lshlrev_b64 v[0:1], v0, v[9:10]
	v_lshlrev_b32_e32 v1, 24, v9
	v_lshl_add_u32 v11, v11, 23, 0x3c000000
	v_lshlrev_b32_e32 v0, 20, v0
	v_and_b32_e32 v1, 0x80000000, v1
	v_and_b32_e32 v0, 0x700000, v0
	v_or3_b32 v98, v0, v1, v11
.LBB360_74:                             ;   in Loop: Header=BB360_10 Depth=1
	s_or_b32 exec_lo, exec_lo, s33
.LBB360_75:                             ;   in Loop: Header=BB360_10 Depth=1
	s_or_b32 exec_lo, exec_lo, s31
.LBB360_76:                             ;   in Loop: Header=BB360_10 Depth=1
	s_or_b32 exec_lo, exec_lo, s2
	v_cmp_ne_u16_sdwa s1, v9, v2 src0_sel:BYTE_1 src1_sel:DWORD
	v_mov_b32_e32 v100, 0
	v_mov_b32_e32 v99, 0
	s_and_saveexec_b32 s2, s1
	s_cbranch_execz .LBB360_84
; %bb.77:                               ;   in Loop: Header=BB360_10 Depth=1
	v_cmp_ne_u16_sdwa s1, v9, v84 src0_sel:BYTE_1 src1_sel:DWORD
	v_bfrev_b32_e32 v99, 1
	s_and_saveexec_b32 s31, s1
	s_cbranch_execz .LBB360_83
; %bb.78:                               ;   in Loop: Header=BB360_10 Depth=1
	v_and_b32_sdwa v0, v85, v9 dst_sel:DWORD dst_unused:UNUSED_PAD src0_sel:DWORD src1_sel:BYTE_1
	v_mov_b32_e32 v99, 0x7f800001
	s_mov_b32 s33, exec_lo
	v_and_b32_e32 v11, 0x7f, v0
	v_cmpx_ne_u32_e32 0x7f, v11
	s_cbranch_execz .LBB360_82
; %bb.79:                               ;   in Loop: Header=BB360_10 Depth=1
	v_and_b32_e32 v1, 7, v0
	v_lshrrev_b32_e32 v0, 3, v11
	s_mov_b32 s34, exec_lo
	v_cmpx_gt_u32_e32 8, v11
; %bb.80:                               ;   in Loop: Header=BB360_10 Depth=1
	v_ffbh_u32_e32 v0, v1
	v_min_u32_e32 v0, 32, v0
	v_subrev_nc_u32_e32 v11, 28, v0
	v_sub_nc_u32_e32 v0, 29, v0
	v_lshlrev_b64 v[11:12], v11, v[1:2]
	v_and_b32_e32 v1, 7, v11
; %bb.81:                               ;   in Loop: Header=BB360_10 Depth=1
	s_or_b32 exec_lo, exec_lo, s34
	v_lshlrev_b32_e32 v11, 16, v9
	v_lshlrev_b32_e32 v1, 20, v1
	v_lshl_add_u32 v0, v0, 23, 0x3c000000
	v_and_b32_e32 v11, 0x80000000, v11
	v_or3_b32 v99, v1, v11, v0
.LBB360_82:                             ;   in Loop: Header=BB360_10 Depth=1
	s_or_b32 exec_lo, exec_lo, s33
.LBB360_83:                             ;   in Loop: Header=BB360_10 Depth=1
	s_or_b32 exec_lo, exec_lo, s31
.LBB360_84:                             ;   in Loop: Header=BB360_10 Depth=1
	s_or_b32 exec_lo, exec_lo, s2
	v_and_b32_sdwa v0, v9, v86 dst_sel:DWORD dst_unused:UNUSED_PAD src0_sel:WORD_1 src1_sel:DWORD
	s_mov_b32 s2, exec_lo
	v_cmpx_ne_u16_e32 0, v0
	s_cbranch_execz .LBB360_92
; %bb.85:                               ;   in Loop: Header=BB360_10 Depth=1
	v_bfrev_b32_e32 v100, 1
	s_mov_b32 s31, exec_lo
	v_cmpx_ne_u16_e32 0x80, v0
	s_cbranch_execz .LBB360_91
; %bb.86:                               ;   in Loop: Header=BB360_10 Depth=1
	v_bfe_u32 v11, v9, 16, 7
	v_mov_b32_e32 v100, 0x7f800001
	s_mov_b32 s33, exec_lo
	v_cmpx_ne_u32_e32 0x7f, v11
	s_cbranch_execz .LBB360_90
; %bb.87:                               ;   in Loop: Header=BB360_10 Depth=1
	v_and_b32_sdwa v1, v9, v87 dst_sel:DWORD dst_unused:UNUSED_PAD src0_sel:WORD_1 src1_sel:DWORD
	v_lshrrev_b32_e32 v0, 3, v11
	s_mov_b32 s34, exec_lo
	v_cmpx_gt_u32_e32 8, v11
; %bb.88:                               ;   in Loop: Header=BB360_10 Depth=1
	v_ffbh_u32_e32 v0, v1
	v_min_u32_e32 v0, 32, v0
	v_subrev_nc_u32_e32 v11, 28, v0
	v_sub_nc_u32_e32 v0, 29, v0
	v_lshlrev_b64 v[11:12], v11, v[1:2]
	v_and_b32_e32 v1, 7, v11
; %bb.89:                               ;   in Loop: Header=BB360_10 Depth=1
	s_or_b32 exec_lo, exec_lo, s34
	v_lshlrev_b32_sdwa v11, v88, v9 dst_sel:DWORD dst_unused:UNUSED_PAD src0_sel:DWORD src1_sel:WORD_1
	v_lshlrev_b32_e32 v1, 20, v1
	v_lshl_add_u32 v0, v0, 23, 0x3c000000
	v_and_b32_e32 v11, 0x80000000, v11
	v_or3_b32 v100, v1, v11, v0
.LBB360_90:                             ;   in Loop: Header=BB360_10 Depth=1
	s_or_b32 exec_lo, exec_lo, s33
.LBB360_91:                             ;   in Loop: Header=BB360_10 Depth=1
	s_or_b32 exec_lo, exec_lo, s31
.LBB360_92:                             ;   in Loop: Header=BB360_10 Depth=1
	s_or_b32 exec_lo, exec_lo, s2
	v_mov_b32_e32 v101, 0
	v_mov_b32_e32 v102, 0
	s_mov_b32 s2, exec_lo
	v_cmpx_lt_u32_e32 0xffffff, v9
	s_cbranch_execz .LBB360_100
; %bb.93:                               ;   in Loop: Header=BB360_10 Depth=1
	v_cmp_ne_u32_sdwa s1, v9, v84 src0_sel:BYTE_3 src1_sel:DWORD
	v_bfrev_b32_e32 v102, 1
	s_and_saveexec_b32 s31, s1
	s_cbranch_execz .LBB360_99
; %bb.94:                               ;   in Loop: Header=BB360_10 Depth=1
	v_bfe_u32 v11, v9, 24, 7
	v_mov_b32_e32 v102, 0x7f800001
	s_mov_b32 s33, exec_lo
	v_cmpx_ne_u32_e32 0x7f, v11
	s_cbranch_execz .LBB360_98
; %bb.95:                               ;   in Loop: Header=BB360_10 Depth=1
	v_and_b32_sdwa v1, v9, v87 dst_sel:DWORD dst_unused:UNUSED_PAD src0_sel:BYTE_3 src1_sel:DWORD
	v_lshrrev_b32_e32 v0, 3, v11
	s_mov_b32 s34, exec_lo
	v_cmpx_gt_u32_e32 8, v11
; %bb.96:                               ;   in Loop: Header=BB360_10 Depth=1
	v_ffbh_u32_e32 v0, v1
	v_min_u32_e32 v0, 32, v0
	v_subrev_nc_u32_e32 v11, 28, v0
	v_sub_nc_u32_e32 v0, 29, v0
	v_lshlrev_b64 v[11:12], v11, v[1:2]
	v_and_b32_e32 v1, 7, v11
; %bb.97:                               ;   in Loop: Header=BB360_10 Depth=1
	s_or_b32 exec_lo, exec_lo, s34
	v_lshlrev_b32_sdwa v11, v88, v9 dst_sel:DWORD dst_unused:UNUSED_PAD src0_sel:DWORD src1_sel:BYTE_3
	v_lshlrev_b32_e32 v1, 20, v1
	v_lshl_add_u32 v0, v0, 23, 0x3c000000
	v_and_b32_e32 v11, 0x80000000, v11
	v_or3_b32 v102, v1, v11, v0
.LBB360_98:                             ;   in Loop: Header=BB360_10 Depth=1
	s_or_b32 exec_lo, exec_lo, s33
.LBB360_99:                             ;   in Loop: Header=BB360_10 Depth=1
	s_or_b32 exec_lo, exec_lo, s31
.LBB360_100:                            ;   in Loop: Header=BB360_10 Depth=1
	s_or_b32 exec_lo, exec_lo, s2
	v_mov_b32_e32 v1, v10
	v_cmp_ne_u16_sdwa s1, v10, v2 src0_sel:BYTE_0 src1_sel:DWORD
	s_and_saveexec_b32 s2, s1
	s_cbranch_execz .LBB360_106
; %bb.101:                              ;   in Loop: Header=BB360_10 Depth=1
	v_cmp_ne_u16_sdwa s1, v10, v84 src0_sel:BYTE_0 src1_sel:DWORD
	v_bfrev_b32_e32 v101, 1
	s_and_saveexec_b32 s31, s1
	s_cbranch_execz .LBB360_105
; %bb.102:                              ;   in Loop: Header=BB360_10 Depth=1
	v_and_b32_e32 v0, 0x7f, v10
	v_mov_b32_e32 v101, 0x7f800001
	s_mov_b32 s33, exec_lo
	v_cmpx_ne_u32_e32 0x7f, v0
	s_cbranch_execz .LBB360_104
; %bb.103:                              ;   in Loop: Header=BB360_10 Depth=1
	v_and_b32_e32 v11, 7, v10
	v_lshrrev_b32_e32 v12, 3, v0
	v_cmp_gt_u32_e64 s1, 8, v0
	v_ffbh_u32_e32 v11, v11
	v_min_u32_e32 v11, 32, v11
	v_subrev_nc_u32_e32 v13, 28, v11
	v_sub_nc_u32_e32 v11, 29, v11
	v_cndmask_b32_e64 v0, v12, v11, s1
	v_cndmask_b32_e64 v11, 0, v13, s1
	v_lshl_add_u32 v0, v0, 23, 0x3c000000
	v_lshlrev_b64 v[11:12], v11, v[1:2]
	v_lshlrev_b32_e32 v12, 24, v1
	v_lshlrev_b32_e32 v11, 20, v11
	v_and_b32_e32 v12, 0x80000000, v12
	v_and_b32_e32 v11, 0x700000, v11
	v_or3_b32 v101, v11, v12, v0
.LBB360_104:                            ;   in Loop: Header=BB360_10 Depth=1
	s_or_b32 exec_lo, exec_lo, s33
.LBB360_105:                            ;   in Loop: Header=BB360_10 Depth=1
	s_or_b32 exec_lo, exec_lo, s31
.LBB360_106:                            ;   in Loop: Header=BB360_10 Depth=1
	s_or_b32 exec_lo, exec_lo, s2
	v_cmp_ne_u16_sdwa s1, v1, v2 src0_sel:BYTE_1 src1_sel:DWORD
	v_mov_b32_e32 v103, 0
	v_mov_b32_e32 v104, 0
	s_and_saveexec_b32 s2, s1
	s_cbranch_execz .LBB360_114
; %bb.107:                              ;   in Loop: Header=BB360_10 Depth=1
	v_cmp_ne_u16_sdwa s1, v1, v84 src0_sel:BYTE_1 src1_sel:DWORD
	v_bfrev_b32_e32 v104, 1
	s_and_saveexec_b32 s31, s1
	s_cbranch_execz .LBB360_113
; %bb.108:                              ;   in Loop: Header=BB360_10 Depth=1
	v_and_b32_sdwa v0, v85, v1 dst_sel:DWORD dst_unused:UNUSED_PAD src0_sel:DWORD src1_sel:BYTE_1
	v_mov_b32_e32 v104, 0x7f800001
	s_mov_b32 s33, exec_lo
	v_and_b32_e32 v13, 0x7f, v0
	v_cmpx_ne_u32_e32 0x7f, v13
	s_cbranch_execz .LBB360_112
; %bb.109:                              ;   in Loop: Header=BB360_10 Depth=1
	v_and_b32_e32 v11, 7, v0
	v_mov_b32_e32 v12, v2
	v_lshrrev_b32_e32 v0, 3, v13
	s_mov_b32 s34, exec_lo
	v_cmpx_gt_u32_e32 8, v13
; %bb.110:                              ;   in Loop: Header=BB360_10 Depth=1
	v_ffbh_u32_e32 v0, v11
	v_min_u32_e32 v0, 32, v0
	v_subrev_nc_u32_e32 v13, 28, v0
	v_sub_nc_u32_e32 v0, 29, v0
	v_lshlrev_b64 v[11:12], v13, v[11:12]
	v_and_b32_e32 v11, 7, v11
; %bb.111:                              ;   in Loop: Header=BB360_10 Depth=1
	s_or_b32 exec_lo, exec_lo, s34
	v_lshlrev_b32_e32 v1, 16, v1
	v_lshlrev_b32_e32 v11, 20, v11
	v_lshl_add_u32 v0, v0, 23, 0x3c000000
	v_and_b32_e32 v1, 0x80000000, v1
	v_or3_b32 v104, v11, v1, v0
.LBB360_112:                            ;   in Loop: Header=BB360_10 Depth=1
	s_or_b32 exec_lo, exec_lo, s33
.LBB360_113:                            ;   in Loop: Header=BB360_10 Depth=1
	s_or_b32 exec_lo, exec_lo, s31
.LBB360_114:                            ;   in Loop: Header=BB360_10 Depth=1
	s_or_b32 exec_lo, exec_lo, s2
	v_and_b32_sdwa v0, v10, v86 dst_sel:DWORD dst_unused:UNUSED_PAD src0_sel:WORD_1 src1_sel:DWORD
	s_mov_b32 s2, exec_lo
	v_cmpx_ne_u16_e32 0, v0
	s_cbranch_execz .LBB360_122
; %bb.115:                              ;   in Loop: Header=BB360_10 Depth=1
	v_bfrev_b32_e32 v103, 1
	s_mov_b32 s31, exec_lo
	v_cmpx_ne_u16_e32 0x80, v0
	s_cbranch_execz .LBB360_121
; %bb.116:                              ;   in Loop: Header=BB360_10 Depth=1
	v_bfe_u32 v11, v10, 16, 7
	v_mov_b32_e32 v103, 0x7f800001
	s_mov_b32 s33, exec_lo
	v_cmpx_ne_u32_e32 0x7f, v11
	s_cbranch_execz .LBB360_120
; %bb.117:                              ;   in Loop: Header=BB360_10 Depth=1
	v_and_b32_sdwa v1, v10, v87 dst_sel:DWORD dst_unused:UNUSED_PAD src0_sel:WORD_1 src1_sel:DWORD
	v_lshrrev_b32_e32 v0, 3, v11
	s_mov_b32 s34, exec_lo
	v_cmpx_gt_u32_e32 8, v11
; %bb.118:                              ;   in Loop: Header=BB360_10 Depth=1
	v_ffbh_u32_e32 v0, v1
	v_min_u32_e32 v0, 32, v0
	v_subrev_nc_u32_e32 v11, 28, v0
	v_sub_nc_u32_e32 v0, 29, v0
	v_lshlrev_b64 v[11:12], v11, v[1:2]
	v_and_b32_e32 v1, 7, v11
; %bb.119:                              ;   in Loop: Header=BB360_10 Depth=1
	s_or_b32 exec_lo, exec_lo, s34
	v_lshlrev_b32_sdwa v11, v88, v10 dst_sel:DWORD dst_unused:UNUSED_PAD src0_sel:DWORD src1_sel:WORD_1
	v_lshlrev_b32_e32 v1, 20, v1
	v_lshl_add_u32 v0, v0, 23, 0x3c000000
	v_and_b32_e32 v11, 0x80000000, v11
	v_or3_b32 v103, v1, v11, v0
.LBB360_120:                            ;   in Loop: Header=BB360_10 Depth=1
	s_or_b32 exec_lo, exec_lo, s33
.LBB360_121:                            ;   in Loop: Header=BB360_10 Depth=1
	s_or_b32 exec_lo, exec_lo, s31
.LBB360_122:                            ;   in Loop: Header=BB360_10 Depth=1
	s_or_b32 exec_lo, exec_lo, s2
	v_mov_b32_e32 v106, 0
	v_mov_b32_e32 v105, 0
	s_mov_b32 s2, exec_lo
	v_cmpx_lt_u64_e64 s[4:5], v[9:10]
	s_cbranch_execz .LBB360_130
; %bb.123:                              ;   in Loop: Header=BB360_10 Depth=1
	v_cmp_ne_u32_sdwa s1, v10, v84 src0_sel:BYTE_3 src1_sel:DWORD
	v_bfrev_b32_e32 v105, 1
	s_and_saveexec_b32 s31, s1
	s_cbranch_execz .LBB360_129
; %bb.124:                              ;   in Loop: Header=BB360_10 Depth=1
	v_bfe_u32 v9, v10, 24, 7
	v_mov_b32_e32 v105, 0x7f800001
	s_mov_b32 s33, exec_lo
	v_cmpx_ne_u32_e32 0x7f, v9
	s_cbranch_execz .LBB360_128
; %bb.125:                              ;   in Loop: Header=BB360_10 Depth=1
	v_and_b32_sdwa v1, v10, v87 dst_sel:DWORD dst_unused:UNUSED_PAD src0_sel:BYTE_3 src1_sel:DWORD
	v_lshrrev_b32_e32 v0, 3, v9
	s_mov_b32 s34, exec_lo
	v_cmpx_gt_u32_e32 8, v9
; %bb.126:                              ;   in Loop: Header=BB360_10 Depth=1
	v_ffbh_u32_e32 v0, v1
	v_min_u32_e32 v0, 32, v0
	v_subrev_nc_u32_e32 v9, 28, v0
	v_sub_nc_u32_e32 v0, 29, v0
	v_lshlrev_b64 v[11:12], v9, v[1:2]
	v_and_b32_e32 v1, 7, v11
; %bb.127:                              ;   in Loop: Header=BB360_10 Depth=1
	s_or_b32 exec_lo, exec_lo, s34
	v_lshlrev_b32_sdwa v9, v88, v10 dst_sel:DWORD dst_unused:UNUSED_PAD src0_sel:DWORD src1_sel:BYTE_3
	v_lshlrev_b32_e32 v1, 20, v1
	v_lshl_add_u32 v0, v0, 23, 0x3c000000
	v_and_b32_e32 v9, 0x80000000, v9
	v_or3_b32 v105, v1, v9, v0
.LBB360_128:                            ;   in Loop: Header=BB360_10 Depth=1
	s_or_b32 exec_lo, exec_lo, s33
.LBB360_129:                            ;   in Loop: Header=BB360_10 Depth=1
	s_or_b32 exec_lo, exec_lo, s31
.LBB360_130:                            ;   in Loop: Header=BB360_10 Depth=1
	s_or_b32 exec_lo, exec_lo, s2
	global_load_dwordx2 v[9:10], v[7:8], off offset:512
	s_waitcnt vmcnt(0)
	v_cmp_ne_u16_sdwa s1, v9, v2 src0_sel:BYTE_0 src1_sel:DWORD
	s_and_saveexec_b32 s2, s1
	s_cbranch_execz .LBB360_136
; %bb.131:                              ;   in Loop: Header=BB360_10 Depth=1
	v_cmp_ne_u16_sdwa s1, v9, v84 src0_sel:BYTE_0 src1_sel:DWORD
	v_bfrev_b32_e32 v106, 1
	s_and_saveexec_b32 s31, s1
	s_cbranch_execz .LBB360_135
; %bb.132:                              ;   in Loop: Header=BB360_10 Depth=1
	v_and_b32_e32 v0, 0x7f, v9
	v_mov_b32_e32 v106, 0x7f800001
	s_mov_b32 s33, exec_lo
	v_cmpx_ne_u32_e32 0x7f, v0
	s_cbranch_execz .LBB360_134
; %bb.133:                              ;   in Loop: Header=BB360_10 Depth=1
	v_and_b32_e32 v1, 7, v9
	v_cmp_gt_u32_e64 s1, 8, v0
	v_lshrrev_b32_e32 v11, 3, v0
	v_ffbh_u32_e32 v1, v1
	v_min_u32_e32 v1, 32, v1
	v_subrev_nc_u32_e32 v12, 28, v1
	v_sub_nc_u32_e32 v1, 29, v1
	v_cndmask_b32_e64 v0, 0, v12, s1
	v_cndmask_b32_e64 v11, v11, v1, s1
	v_lshlrev_b64 v[0:1], v0, v[9:10]
	v_lshlrev_b32_e32 v1, 24, v9
	v_lshl_add_u32 v11, v11, 23, 0x3c000000
	v_lshlrev_b32_e32 v0, 20, v0
	v_and_b32_e32 v1, 0x80000000, v1
	v_and_b32_e32 v0, 0x700000, v0
	v_or3_b32 v106, v0, v1, v11
.LBB360_134:                            ;   in Loop: Header=BB360_10 Depth=1
	s_or_b32 exec_lo, exec_lo, s33
.LBB360_135:                            ;   in Loop: Header=BB360_10 Depth=1
	s_or_b32 exec_lo, exec_lo, s31
.LBB360_136:                            ;   in Loop: Header=BB360_10 Depth=1
	s_or_b32 exec_lo, exec_lo, s2
	v_cmp_ne_u16_sdwa s1, v9, v2 src0_sel:BYTE_1 src1_sel:DWORD
	v_mov_b32_e32 v108, 0
	v_mov_b32_e32 v107, 0
	s_and_saveexec_b32 s2, s1
	s_cbranch_execz .LBB360_144
; %bb.137:                              ;   in Loop: Header=BB360_10 Depth=1
	v_cmp_ne_u16_sdwa s1, v9, v84 src0_sel:BYTE_1 src1_sel:DWORD
	v_bfrev_b32_e32 v107, 1
	s_and_saveexec_b32 s31, s1
	s_cbranch_execz .LBB360_143
; %bb.138:                              ;   in Loop: Header=BB360_10 Depth=1
	v_and_b32_sdwa v0, v85, v9 dst_sel:DWORD dst_unused:UNUSED_PAD src0_sel:DWORD src1_sel:BYTE_1
	v_mov_b32_e32 v107, 0x7f800001
	s_mov_b32 s33, exec_lo
	v_and_b32_e32 v11, 0x7f, v0
	v_cmpx_ne_u32_e32 0x7f, v11
	s_cbranch_execz .LBB360_142
; %bb.139:                              ;   in Loop: Header=BB360_10 Depth=1
	v_and_b32_e32 v1, 7, v0
	v_lshrrev_b32_e32 v0, 3, v11
	s_mov_b32 s34, exec_lo
	v_cmpx_gt_u32_e32 8, v11
; %bb.140:                              ;   in Loop: Header=BB360_10 Depth=1
	v_ffbh_u32_e32 v0, v1
	v_min_u32_e32 v0, 32, v0
	v_subrev_nc_u32_e32 v11, 28, v0
	v_sub_nc_u32_e32 v0, 29, v0
	v_lshlrev_b64 v[11:12], v11, v[1:2]
	v_and_b32_e32 v1, 7, v11
; %bb.141:                              ;   in Loop: Header=BB360_10 Depth=1
	s_or_b32 exec_lo, exec_lo, s34
	v_lshlrev_b32_e32 v11, 16, v9
	v_lshlrev_b32_e32 v1, 20, v1
	v_lshl_add_u32 v0, v0, 23, 0x3c000000
	v_and_b32_e32 v11, 0x80000000, v11
	v_or3_b32 v107, v1, v11, v0
.LBB360_142:                            ;   in Loop: Header=BB360_10 Depth=1
	s_or_b32 exec_lo, exec_lo, s33
.LBB360_143:                            ;   in Loop: Header=BB360_10 Depth=1
	s_or_b32 exec_lo, exec_lo, s31
.LBB360_144:                            ;   in Loop: Header=BB360_10 Depth=1
	s_or_b32 exec_lo, exec_lo, s2
	v_and_b32_sdwa v0, v9, v86 dst_sel:DWORD dst_unused:UNUSED_PAD src0_sel:WORD_1 src1_sel:DWORD
	s_mov_b32 s2, exec_lo
	v_cmpx_ne_u16_e32 0, v0
	s_cbranch_execz .LBB360_152
; %bb.145:                              ;   in Loop: Header=BB360_10 Depth=1
	v_bfrev_b32_e32 v108, 1
	s_mov_b32 s31, exec_lo
	v_cmpx_ne_u16_e32 0x80, v0
	s_cbranch_execz .LBB360_151
; %bb.146:                              ;   in Loop: Header=BB360_10 Depth=1
	v_bfe_u32 v11, v9, 16, 7
	v_mov_b32_e32 v108, 0x7f800001
	s_mov_b32 s33, exec_lo
	v_cmpx_ne_u32_e32 0x7f, v11
	s_cbranch_execz .LBB360_150
; %bb.147:                              ;   in Loop: Header=BB360_10 Depth=1
	v_and_b32_sdwa v1, v9, v87 dst_sel:DWORD dst_unused:UNUSED_PAD src0_sel:WORD_1 src1_sel:DWORD
	v_lshrrev_b32_e32 v0, 3, v11
	s_mov_b32 s34, exec_lo
	v_cmpx_gt_u32_e32 8, v11
; %bb.148:                              ;   in Loop: Header=BB360_10 Depth=1
	v_ffbh_u32_e32 v0, v1
	v_min_u32_e32 v0, 32, v0
	v_subrev_nc_u32_e32 v11, 28, v0
	v_sub_nc_u32_e32 v0, 29, v0
	v_lshlrev_b64 v[11:12], v11, v[1:2]
	v_and_b32_e32 v1, 7, v11
; %bb.149:                              ;   in Loop: Header=BB360_10 Depth=1
	s_or_b32 exec_lo, exec_lo, s34
	v_lshlrev_b32_sdwa v11, v88, v9 dst_sel:DWORD dst_unused:UNUSED_PAD src0_sel:DWORD src1_sel:WORD_1
	v_lshlrev_b32_e32 v1, 20, v1
	v_lshl_add_u32 v0, v0, 23, 0x3c000000
	v_and_b32_e32 v11, 0x80000000, v11
	v_or3_b32 v108, v1, v11, v0
.LBB360_150:                            ;   in Loop: Header=BB360_10 Depth=1
	s_or_b32 exec_lo, exec_lo, s33
.LBB360_151:                            ;   in Loop: Header=BB360_10 Depth=1
	s_or_b32 exec_lo, exec_lo, s31
.LBB360_152:                            ;   in Loop: Header=BB360_10 Depth=1
	s_or_b32 exec_lo, exec_lo, s2
	v_mov_b32_e32 v109, 0
	v_mov_b32_e32 v110, 0
	s_mov_b32 s2, exec_lo
	v_cmpx_lt_u32_e32 0xffffff, v9
	s_cbranch_execz .LBB360_160
; %bb.153:                              ;   in Loop: Header=BB360_10 Depth=1
	v_cmp_ne_u32_sdwa s1, v9, v84 src0_sel:BYTE_3 src1_sel:DWORD
	v_bfrev_b32_e32 v110, 1
	s_and_saveexec_b32 s31, s1
	s_cbranch_execz .LBB360_159
; %bb.154:                              ;   in Loop: Header=BB360_10 Depth=1
	v_bfe_u32 v11, v9, 24, 7
	v_mov_b32_e32 v110, 0x7f800001
	s_mov_b32 s33, exec_lo
	v_cmpx_ne_u32_e32 0x7f, v11
	s_cbranch_execz .LBB360_158
; %bb.155:                              ;   in Loop: Header=BB360_10 Depth=1
	v_and_b32_sdwa v1, v9, v87 dst_sel:DWORD dst_unused:UNUSED_PAD src0_sel:BYTE_3 src1_sel:DWORD
	v_lshrrev_b32_e32 v0, 3, v11
	s_mov_b32 s34, exec_lo
	v_cmpx_gt_u32_e32 8, v11
; %bb.156:                              ;   in Loop: Header=BB360_10 Depth=1
	v_ffbh_u32_e32 v0, v1
	v_min_u32_e32 v0, 32, v0
	v_subrev_nc_u32_e32 v11, 28, v0
	v_sub_nc_u32_e32 v0, 29, v0
	v_lshlrev_b64 v[11:12], v11, v[1:2]
	v_and_b32_e32 v1, 7, v11
; %bb.157:                              ;   in Loop: Header=BB360_10 Depth=1
	s_or_b32 exec_lo, exec_lo, s34
	v_lshlrev_b32_sdwa v11, v88, v9 dst_sel:DWORD dst_unused:UNUSED_PAD src0_sel:DWORD src1_sel:BYTE_3
	v_lshlrev_b32_e32 v1, 20, v1
	v_lshl_add_u32 v0, v0, 23, 0x3c000000
	v_and_b32_e32 v11, 0x80000000, v11
	v_or3_b32 v110, v1, v11, v0
.LBB360_158:                            ;   in Loop: Header=BB360_10 Depth=1
	s_or_b32 exec_lo, exec_lo, s33
.LBB360_159:                            ;   in Loop: Header=BB360_10 Depth=1
	s_or_b32 exec_lo, exec_lo, s31
.LBB360_160:                            ;   in Loop: Header=BB360_10 Depth=1
	s_or_b32 exec_lo, exec_lo, s2
	v_mov_b32_e32 v1, v10
	v_cmp_ne_u16_sdwa s1, v10, v2 src0_sel:BYTE_0 src1_sel:DWORD
	s_and_saveexec_b32 s2, s1
	s_cbranch_execz .LBB360_166
; %bb.161:                              ;   in Loop: Header=BB360_10 Depth=1
	v_cmp_ne_u16_sdwa s1, v10, v84 src0_sel:BYTE_0 src1_sel:DWORD
	v_bfrev_b32_e32 v109, 1
	s_and_saveexec_b32 s31, s1
	s_cbranch_execz .LBB360_165
; %bb.162:                              ;   in Loop: Header=BB360_10 Depth=1
	v_and_b32_e32 v0, 0x7f, v10
	v_mov_b32_e32 v109, 0x7f800001
	s_mov_b32 s33, exec_lo
	v_cmpx_ne_u32_e32 0x7f, v0
	s_cbranch_execz .LBB360_164
; %bb.163:                              ;   in Loop: Header=BB360_10 Depth=1
	v_and_b32_e32 v11, 7, v10
	v_lshrrev_b32_e32 v12, 3, v0
	v_cmp_gt_u32_e64 s1, 8, v0
	v_ffbh_u32_e32 v11, v11
	v_min_u32_e32 v11, 32, v11
	v_subrev_nc_u32_e32 v13, 28, v11
	v_sub_nc_u32_e32 v11, 29, v11
	v_cndmask_b32_e64 v0, v12, v11, s1
	v_cndmask_b32_e64 v11, 0, v13, s1
	v_lshl_add_u32 v0, v0, 23, 0x3c000000
	v_lshlrev_b64 v[11:12], v11, v[1:2]
	v_lshlrev_b32_e32 v12, 24, v1
	v_lshlrev_b32_e32 v11, 20, v11
	v_and_b32_e32 v12, 0x80000000, v12
	v_and_b32_e32 v11, 0x700000, v11
	v_or3_b32 v109, v11, v12, v0
.LBB360_164:                            ;   in Loop: Header=BB360_10 Depth=1
	s_or_b32 exec_lo, exec_lo, s33
.LBB360_165:                            ;   in Loop: Header=BB360_10 Depth=1
	s_or_b32 exec_lo, exec_lo, s31
.LBB360_166:                            ;   in Loop: Header=BB360_10 Depth=1
	s_or_b32 exec_lo, exec_lo, s2
	v_cmp_ne_u16_sdwa s1, v1, v2 src0_sel:BYTE_1 src1_sel:DWORD
	v_mov_b32_e32 v111, 0
	v_mov_b32_e32 v112, 0
	s_and_saveexec_b32 s2, s1
	s_cbranch_execz .LBB360_174
; %bb.167:                              ;   in Loop: Header=BB360_10 Depth=1
	v_cmp_ne_u16_sdwa s1, v1, v84 src0_sel:BYTE_1 src1_sel:DWORD
	v_bfrev_b32_e32 v112, 1
	s_and_saveexec_b32 s31, s1
	s_cbranch_execz .LBB360_173
; %bb.168:                              ;   in Loop: Header=BB360_10 Depth=1
	v_and_b32_sdwa v0, v85, v1 dst_sel:DWORD dst_unused:UNUSED_PAD src0_sel:DWORD src1_sel:BYTE_1
	v_mov_b32_e32 v112, 0x7f800001
	s_mov_b32 s33, exec_lo
	v_and_b32_e32 v13, 0x7f, v0
	v_cmpx_ne_u32_e32 0x7f, v13
	s_cbranch_execz .LBB360_172
; %bb.169:                              ;   in Loop: Header=BB360_10 Depth=1
	v_and_b32_e32 v11, 7, v0
	v_mov_b32_e32 v12, v2
	v_lshrrev_b32_e32 v0, 3, v13
	s_mov_b32 s34, exec_lo
	v_cmpx_gt_u32_e32 8, v13
; %bb.170:                              ;   in Loop: Header=BB360_10 Depth=1
	v_ffbh_u32_e32 v0, v11
	v_min_u32_e32 v0, 32, v0
	v_subrev_nc_u32_e32 v13, 28, v0
	v_sub_nc_u32_e32 v0, 29, v0
	v_lshlrev_b64 v[11:12], v13, v[11:12]
	v_and_b32_e32 v11, 7, v11
; %bb.171:                              ;   in Loop: Header=BB360_10 Depth=1
	s_or_b32 exec_lo, exec_lo, s34
	v_lshlrev_b32_e32 v1, 16, v1
	v_lshlrev_b32_e32 v11, 20, v11
	v_lshl_add_u32 v0, v0, 23, 0x3c000000
	v_and_b32_e32 v1, 0x80000000, v1
	v_or3_b32 v112, v11, v1, v0
.LBB360_172:                            ;   in Loop: Header=BB360_10 Depth=1
	s_or_b32 exec_lo, exec_lo, s33
.LBB360_173:                            ;   in Loop: Header=BB360_10 Depth=1
	s_or_b32 exec_lo, exec_lo, s31
.LBB360_174:                            ;   in Loop: Header=BB360_10 Depth=1
	s_or_b32 exec_lo, exec_lo, s2
	v_and_b32_sdwa v0, v10, v86 dst_sel:DWORD dst_unused:UNUSED_PAD src0_sel:WORD_1 src1_sel:DWORD
	s_mov_b32 s2, exec_lo
	v_cmpx_ne_u16_e32 0, v0
	s_cbranch_execz .LBB360_182
; %bb.175:                              ;   in Loop: Header=BB360_10 Depth=1
	v_bfrev_b32_e32 v111, 1
	s_mov_b32 s31, exec_lo
	v_cmpx_ne_u16_e32 0x80, v0
	s_cbranch_execz .LBB360_181
; %bb.176:                              ;   in Loop: Header=BB360_10 Depth=1
	v_bfe_u32 v11, v10, 16, 7
	v_mov_b32_e32 v111, 0x7f800001
	s_mov_b32 s33, exec_lo
	v_cmpx_ne_u32_e32 0x7f, v11
	s_cbranch_execz .LBB360_180
; %bb.177:                              ;   in Loop: Header=BB360_10 Depth=1
	v_and_b32_sdwa v1, v10, v87 dst_sel:DWORD dst_unused:UNUSED_PAD src0_sel:WORD_1 src1_sel:DWORD
	v_lshrrev_b32_e32 v0, 3, v11
	s_mov_b32 s34, exec_lo
	v_cmpx_gt_u32_e32 8, v11
; %bb.178:                              ;   in Loop: Header=BB360_10 Depth=1
	v_ffbh_u32_e32 v0, v1
	v_min_u32_e32 v0, 32, v0
	v_subrev_nc_u32_e32 v11, 28, v0
	v_sub_nc_u32_e32 v0, 29, v0
	v_lshlrev_b64 v[11:12], v11, v[1:2]
	v_and_b32_e32 v1, 7, v11
; %bb.179:                              ;   in Loop: Header=BB360_10 Depth=1
	s_or_b32 exec_lo, exec_lo, s34
	v_lshlrev_b32_sdwa v11, v88, v10 dst_sel:DWORD dst_unused:UNUSED_PAD src0_sel:DWORD src1_sel:WORD_1
	v_lshlrev_b32_e32 v1, 20, v1
	v_lshl_add_u32 v0, v0, 23, 0x3c000000
	v_and_b32_e32 v11, 0x80000000, v11
	v_or3_b32 v111, v1, v11, v0
.LBB360_180:                            ;   in Loop: Header=BB360_10 Depth=1
	s_or_b32 exec_lo, exec_lo, s33
.LBB360_181:                            ;   in Loop: Header=BB360_10 Depth=1
	s_or_b32 exec_lo, exec_lo, s31
.LBB360_182:                            ;   in Loop: Header=BB360_10 Depth=1
	s_or_b32 exec_lo, exec_lo, s2
	v_mov_b32_e32 v114, 0
	v_mov_b32_e32 v113, 0
	s_mov_b32 s2, exec_lo
	v_cmpx_lt_u64_e64 s[4:5], v[9:10]
	s_cbranch_execz .LBB360_190
; %bb.183:                              ;   in Loop: Header=BB360_10 Depth=1
	v_cmp_ne_u32_sdwa s1, v10, v84 src0_sel:BYTE_3 src1_sel:DWORD
	v_bfrev_b32_e32 v113, 1
	s_and_saveexec_b32 s31, s1
	s_cbranch_execz .LBB360_189
; %bb.184:                              ;   in Loop: Header=BB360_10 Depth=1
	v_bfe_u32 v9, v10, 24, 7
	v_mov_b32_e32 v113, 0x7f800001
	s_mov_b32 s33, exec_lo
	v_cmpx_ne_u32_e32 0x7f, v9
	s_cbranch_execz .LBB360_188
; %bb.185:                              ;   in Loop: Header=BB360_10 Depth=1
	v_and_b32_sdwa v1, v10, v87 dst_sel:DWORD dst_unused:UNUSED_PAD src0_sel:BYTE_3 src1_sel:DWORD
	v_lshrrev_b32_e32 v0, 3, v9
	s_mov_b32 s34, exec_lo
	v_cmpx_gt_u32_e32 8, v9
; %bb.186:                              ;   in Loop: Header=BB360_10 Depth=1
	v_ffbh_u32_e32 v0, v1
	v_min_u32_e32 v0, 32, v0
	v_subrev_nc_u32_e32 v9, 28, v0
	v_sub_nc_u32_e32 v0, 29, v0
	v_lshlrev_b64 v[11:12], v9, v[1:2]
	v_and_b32_e32 v1, 7, v11
; %bb.187:                              ;   in Loop: Header=BB360_10 Depth=1
	s_or_b32 exec_lo, exec_lo, s34
	v_lshlrev_b32_sdwa v9, v88, v10 dst_sel:DWORD dst_unused:UNUSED_PAD src0_sel:DWORD src1_sel:BYTE_3
	v_lshlrev_b32_e32 v1, 20, v1
	v_lshl_add_u32 v0, v0, 23, 0x3c000000
	v_and_b32_e32 v9, 0x80000000, v9
	v_or3_b32 v113, v1, v9, v0
.LBB360_188:                            ;   in Loop: Header=BB360_10 Depth=1
	s_or_b32 exec_lo, exec_lo, s33
.LBB360_189:                            ;   in Loop: Header=BB360_10 Depth=1
	s_or_b32 exec_lo, exec_lo, s31
.LBB360_190:                            ;   in Loop: Header=BB360_10 Depth=1
	s_or_b32 exec_lo, exec_lo, s2
	global_load_dwordx2 v[9:10], v[7:8], off offset:520
	s_waitcnt vmcnt(0)
	v_cmp_ne_u16_sdwa s1, v9, v2 src0_sel:BYTE_0 src1_sel:DWORD
	s_and_saveexec_b32 s2, s1
	s_cbranch_execz .LBB360_196
; %bb.191:                              ;   in Loop: Header=BB360_10 Depth=1
	v_cmp_ne_u16_sdwa s1, v9, v84 src0_sel:BYTE_0 src1_sel:DWORD
	v_bfrev_b32_e32 v114, 1
	s_and_saveexec_b32 s31, s1
	s_cbranch_execz .LBB360_195
; %bb.192:                              ;   in Loop: Header=BB360_10 Depth=1
	v_and_b32_e32 v0, 0x7f, v9
	v_mov_b32_e32 v114, 0x7f800001
	s_mov_b32 s33, exec_lo
	v_cmpx_ne_u32_e32 0x7f, v0
	s_cbranch_execz .LBB360_194
; %bb.193:                              ;   in Loop: Header=BB360_10 Depth=1
	v_and_b32_e32 v1, 7, v9
	v_cmp_gt_u32_e64 s1, 8, v0
	v_lshrrev_b32_e32 v11, 3, v0
	v_ffbh_u32_e32 v1, v1
	v_min_u32_e32 v1, 32, v1
	v_subrev_nc_u32_e32 v12, 28, v1
	v_sub_nc_u32_e32 v1, 29, v1
	v_cndmask_b32_e64 v0, 0, v12, s1
	v_cndmask_b32_e64 v11, v11, v1, s1
	v_lshlrev_b64 v[0:1], v0, v[9:10]
	v_lshlrev_b32_e32 v1, 24, v9
	v_lshl_add_u32 v11, v11, 23, 0x3c000000
	v_lshlrev_b32_e32 v0, 20, v0
	v_and_b32_e32 v1, 0x80000000, v1
	v_and_b32_e32 v0, 0x700000, v0
	v_or3_b32 v114, v0, v1, v11
.LBB360_194:                            ;   in Loop: Header=BB360_10 Depth=1
	s_or_b32 exec_lo, exec_lo, s33
.LBB360_195:                            ;   in Loop: Header=BB360_10 Depth=1
	s_or_b32 exec_lo, exec_lo, s31
.LBB360_196:                            ;   in Loop: Header=BB360_10 Depth=1
	s_or_b32 exec_lo, exec_lo, s2
	v_cmp_ne_u16_sdwa s1, v9, v2 src0_sel:BYTE_1 src1_sel:DWORD
	v_mov_b32_e32 v116, 0
	v_mov_b32_e32 v115, 0
	s_and_saveexec_b32 s2, s1
	s_cbranch_execz .LBB360_204
; %bb.197:                              ;   in Loop: Header=BB360_10 Depth=1
	v_cmp_ne_u16_sdwa s1, v9, v84 src0_sel:BYTE_1 src1_sel:DWORD
	v_bfrev_b32_e32 v115, 1
	s_and_saveexec_b32 s31, s1
	s_cbranch_execz .LBB360_203
; %bb.198:                              ;   in Loop: Header=BB360_10 Depth=1
	v_and_b32_sdwa v0, v85, v9 dst_sel:DWORD dst_unused:UNUSED_PAD src0_sel:DWORD src1_sel:BYTE_1
	v_mov_b32_e32 v115, 0x7f800001
	s_mov_b32 s33, exec_lo
	v_and_b32_e32 v11, 0x7f, v0
	v_cmpx_ne_u32_e32 0x7f, v11
	s_cbranch_execz .LBB360_202
; %bb.199:                              ;   in Loop: Header=BB360_10 Depth=1
	v_and_b32_e32 v1, 7, v0
	v_lshrrev_b32_e32 v0, 3, v11
	s_mov_b32 s34, exec_lo
	v_cmpx_gt_u32_e32 8, v11
; %bb.200:                              ;   in Loop: Header=BB360_10 Depth=1
	v_ffbh_u32_e32 v0, v1
	v_min_u32_e32 v0, 32, v0
	v_subrev_nc_u32_e32 v11, 28, v0
	v_sub_nc_u32_e32 v0, 29, v0
	v_lshlrev_b64 v[11:12], v11, v[1:2]
	v_and_b32_e32 v1, 7, v11
; %bb.201:                              ;   in Loop: Header=BB360_10 Depth=1
	s_or_b32 exec_lo, exec_lo, s34
	v_lshlrev_b32_e32 v11, 16, v9
	v_lshlrev_b32_e32 v1, 20, v1
	v_lshl_add_u32 v0, v0, 23, 0x3c000000
	v_and_b32_e32 v11, 0x80000000, v11
	v_or3_b32 v115, v1, v11, v0
.LBB360_202:                            ;   in Loop: Header=BB360_10 Depth=1
	s_or_b32 exec_lo, exec_lo, s33
.LBB360_203:                            ;   in Loop: Header=BB360_10 Depth=1
	s_or_b32 exec_lo, exec_lo, s31
.LBB360_204:                            ;   in Loop: Header=BB360_10 Depth=1
	s_or_b32 exec_lo, exec_lo, s2
	v_and_b32_sdwa v0, v9, v86 dst_sel:DWORD dst_unused:UNUSED_PAD src0_sel:WORD_1 src1_sel:DWORD
	s_mov_b32 s2, exec_lo
	v_cmpx_ne_u16_e32 0, v0
	s_cbranch_execz .LBB360_212
; %bb.205:                              ;   in Loop: Header=BB360_10 Depth=1
	v_bfrev_b32_e32 v116, 1
	s_mov_b32 s31, exec_lo
	v_cmpx_ne_u16_e32 0x80, v0
	s_cbranch_execz .LBB360_211
; %bb.206:                              ;   in Loop: Header=BB360_10 Depth=1
	v_bfe_u32 v11, v9, 16, 7
	v_mov_b32_e32 v116, 0x7f800001
	s_mov_b32 s33, exec_lo
	v_cmpx_ne_u32_e32 0x7f, v11
	s_cbranch_execz .LBB360_210
; %bb.207:                              ;   in Loop: Header=BB360_10 Depth=1
	v_and_b32_sdwa v1, v9, v87 dst_sel:DWORD dst_unused:UNUSED_PAD src0_sel:WORD_1 src1_sel:DWORD
	v_lshrrev_b32_e32 v0, 3, v11
	s_mov_b32 s34, exec_lo
	v_cmpx_gt_u32_e32 8, v11
; %bb.208:                              ;   in Loop: Header=BB360_10 Depth=1
	v_ffbh_u32_e32 v0, v1
	v_min_u32_e32 v0, 32, v0
	v_subrev_nc_u32_e32 v11, 28, v0
	v_sub_nc_u32_e32 v0, 29, v0
	v_lshlrev_b64 v[11:12], v11, v[1:2]
	v_and_b32_e32 v1, 7, v11
; %bb.209:                              ;   in Loop: Header=BB360_10 Depth=1
	s_or_b32 exec_lo, exec_lo, s34
	v_lshlrev_b32_sdwa v11, v88, v9 dst_sel:DWORD dst_unused:UNUSED_PAD src0_sel:DWORD src1_sel:WORD_1
	v_lshlrev_b32_e32 v1, 20, v1
	v_lshl_add_u32 v0, v0, 23, 0x3c000000
	v_and_b32_e32 v11, 0x80000000, v11
	v_or3_b32 v116, v1, v11, v0
.LBB360_210:                            ;   in Loop: Header=BB360_10 Depth=1
	s_or_b32 exec_lo, exec_lo, s33
.LBB360_211:                            ;   in Loop: Header=BB360_10 Depth=1
	s_or_b32 exec_lo, exec_lo, s31
.LBB360_212:                            ;   in Loop: Header=BB360_10 Depth=1
	s_or_b32 exec_lo, exec_lo, s2
	v_mov_b32_e32 v117, 0
	v_mov_b32_e32 v118, 0
	s_mov_b32 s2, exec_lo
	v_cmpx_lt_u32_e32 0xffffff, v9
	s_cbranch_execz .LBB360_220
; %bb.213:                              ;   in Loop: Header=BB360_10 Depth=1
	v_cmp_ne_u32_sdwa s1, v9, v84 src0_sel:BYTE_3 src1_sel:DWORD
	v_bfrev_b32_e32 v118, 1
	s_and_saveexec_b32 s31, s1
	s_cbranch_execz .LBB360_219
; %bb.214:                              ;   in Loop: Header=BB360_10 Depth=1
	v_bfe_u32 v11, v9, 24, 7
	v_mov_b32_e32 v118, 0x7f800001
	s_mov_b32 s33, exec_lo
	v_cmpx_ne_u32_e32 0x7f, v11
	s_cbranch_execz .LBB360_218
; %bb.215:                              ;   in Loop: Header=BB360_10 Depth=1
	v_and_b32_sdwa v1, v9, v87 dst_sel:DWORD dst_unused:UNUSED_PAD src0_sel:BYTE_3 src1_sel:DWORD
	v_lshrrev_b32_e32 v0, 3, v11
	s_mov_b32 s34, exec_lo
	v_cmpx_gt_u32_e32 8, v11
; %bb.216:                              ;   in Loop: Header=BB360_10 Depth=1
	v_ffbh_u32_e32 v0, v1
	v_min_u32_e32 v0, 32, v0
	v_subrev_nc_u32_e32 v11, 28, v0
	v_sub_nc_u32_e32 v0, 29, v0
	v_lshlrev_b64 v[11:12], v11, v[1:2]
	v_and_b32_e32 v1, 7, v11
; %bb.217:                              ;   in Loop: Header=BB360_10 Depth=1
	s_or_b32 exec_lo, exec_lo, s34
	v_lshlrev_b32_sdwa v11, v88, v9 dst_sel:DWORD dst_unused:UNUSED_PAD src0_sel:DWORD src1_sel:BYTE_3
	v_lshlrev_b32_e32 v1, 20, v1
	v_lshl_add_u32 v0, v0, 23, 0x3c000000
	v_and_b32_e32 v11, 0x80000000, v11
	v_or3_b32 v118, v1, v11, v0
.LBB360_218:                            ;   in Loop: Header=BB360_10 Depth=1
	s_or_b32 exec_lo, exec_lo, s33
.LBB360_219:                            ;   in Loop: Header=BB360_10 Depth=1
	s_or_b32 exec_lo, exec_lo, s31
.LBB360_220:                            ;   in Loop: Header=BB360_10 Depth=1
	s_or_b32 exec_lo, exec_lo, s2
	v_mov_b32_e32 v1, v10
	v_cmp_ne_u16_sdwa s1, v10, v2 src0_sel:BYTE_0 src1_sel:DWORD
	s_and_saveexec_b32 s2, s1
	s_cbranch_execz .LBB360_226
; %bb.221:                              ;   in Loop: Header=BB360_10 Depth=1
	v_cmp_ne_u16_sdwa s1, v10, v84 src0_sel:BYTE_0 src1_sel:DWORD
	v_bfrev_b32_e32 v117, 1
	s_and_saveexec_b32 s31, s1
	s_cbranch_execz .LBB360_225
; %bb.222:                              ;   in Loop: Header=BB360_10 Depth=1
	v_and_b32_e32 v0, 0x7f, v10
	v_mov_b32_e32 v117, 0x7f800001
	s_mov_b32 s33, exec_lo
	v_cmpx_ne_u32_e32 0x7f, v0
	s_cbranch_execz .LBB360_224
; %bb.223:                              ;   in Loop: Header=BB360_10 Depth=1
	v_and_b32_e32 v11, 7, v10
	v_lshrrev_b32_e32 v12, 3, v0
	v_cmp_gt_u32_e64 s1, 8, v0
	v_ffbh_u32_e32 v11, v11
	v_min_u32_e32 v11, 32, v11
	v_subrev_nc_u32_e32 v13, 28, v11
	v_sub_nc_u32_e32 v11, 29, v11
	v_cndmask_b32_e64 v0, v12, v11, s1
	v_cndmask_b32_e64 v11, 0, v13, s1
	v_lshl_add_u32 v0, v0, 23, 0x3c000000
	v_lshlrev_b64 v[11:12], v11, v[1:2]
	v_lshlrev_b32_e32 v12, 24, v1
	v_lshlrev_b32_e32 v11, 20, v11
	v_and_b32_e32 v12, 0x80000000, v12
	v_and_b32_e32 v11, 0x700000, v11
	v_or3_b32 v117, v11, v12, v0
.LBB360_224:                            ;   in Loop: Header=BB360_10 Depth=1
	s_or_b32 exec_lo, exec_lo, s33
.LBB360_225:                            ;   in Loop: Header=BB360_10 Depth=1
	s_or_b32 exec_lo, exec_lo, s31
.LBB360_226:                            ;   in Loop: Header=BB360_10 Depth=1
	s_or_b32 exec_lo, exec_lo, s2
	v_cmp_ne_u16_sdwa s1, v1, v2 src0_sel:BYTE_1 src1_sel:DWORD
	v_mov_b32_e32 v119, 0
	v_mov_b32_e32 v120, 0
	s_and_saveexec_b32 s2, s1
	s_cbranch_execz .LBB360_234
; %bb.227:                              ;   in Loop: Header=BB360_10 Depth=1
	v_cmp_ne_u16_sdwa s1, v1, v84 src0_sel:BYTE_1 src1_sel:DWORD
	v_bfrev_b32_e32 v120, 1
	s_and_saveexec_b32 s31, s1
	s_cbranch_execz .LBB360_233
; %bb.228:                              ;   in Loop: Header=BB360_10 Depth=1
	v_and_b32_sdwa v0, v85, v1 dst_sel:DWORD dst_unused:UNUSED_PAD src0_sel:DWORD src1_sel:BYTE_1
	v_mov_b32_e32 v120, 0x7f800001
	s_mov_b32 s33, exec_lo
	v_and_b32_e32 v13, 0x7f, v0
	v_cmpx_ne_u32_e32 0x7f, v13
	s_cbranch_execz .LBB360_232
; %bb.229:                              ;   in Loop: Header=BB360_10 Depth=1
	v_and_b32_e32 v11, 7, v0
	v_mov_b32_e32 v12, v2
	v_lshrrev_b32_e32 v0, 3, v13
	s_mov_b32 s34, exec_lo
	v_cmpx_gt_u32_e32 8, v13
; %bb.230:                              ;   in Loop: Header=BB360_10 Depth=1
	v_ffbh_u32_e32 v0, v11
	v_min_u32_e32 v0, 32, v0
	v_subrev_nc_u32_e32 v13, 28, v0
	v_sub_nc_u32_e32 v0, 29, v0
	v_lshlrev_b64 v[11:12], v13, v[11:12]
	v_and_b32_e32 v11, 7, v11
; %bb.231:                              ;   in Loop: Header=BB360_10 Depth=1
	s_or_b32 exec_lo, exec_lo, s34
	v_lshlrev_b32_e32 v1, 16, v1
	v_lshlrev_b32_e32 v11, 20, v11
	v_lshl_add_u32 v0, v0, 23, 0x3c000000
	v_and_b32_e32 v1, 0x80000000, v1
	v_or3_b32 v120, v11, v1, v0
.LBB360_232:                            ;   in Loop: Header=BB360_10 Depth=1
	s_or_b32 exec_lo, exec_lo, s33
.LBB360_233:                            ;   in Loop: Header=BB360_10 Depth=1
	s_or_b32 exec_lo, exec_lo, s31
.LBB360_234:                            ;   in Loop: Header=BB360_10 Depth=1
	s_or_b32 exec_lo, exec_lo, s2
	v_and_b32_sdwa v0, v10, v86 dst_sel:DWORD dst_unused:UNUSED_PAD src0_sel:WORD_1 src1_sel:DWORD
	s_mov_b32 s2, exec_lo
	v_cmpx_ne_u16_e32 0, v0
	s_cbranch_execz .LBB360_242
; %bb.235:                              ;   in Loop: Header=BB360_10 Depth=1
	v_bfrev_b32_e32 v119, 1
	s_mov_b32 s31, exec_lo
	v_cmpx_ne_u16_e32 0x80, v0
	s_cbranch_execz .LBB360_241
; %bb.236:                              ;   in Loop: Header=BB360_10 Depth=1
	v_bfe_u32 v11, v10, 16, 7
	v_mov_b32_e32 v119, 0x7f800001
	s_mov_b32 s33, exec_lo
	v_cmpx_ne_u32_e32 0x7f, v11
	s_cbranch_execz .LBB360_240
; %bb.237:                              ;   in Loop: Header=BB360_10 Depth=1
	v_and_b32_sdwa v1, v10, v87 dst_sel:DWORD dst_unused:UNUSED_PAD src0_sel:WORD_1 src1_sel:DWORD
	v_lshrrev_b32_e32 v0, 3, v11
	s_mov_b32 s34, exec_lo
	v_cmpx_gt_u32_e32 8, v11
; %bb.238:                              ;   in Loop: Header=BB360_10 Depth=1
	v_ffbh_u32_e32 v0, v1
	v_min_u32_e32 v0, 32, v0
	v_subrev_nc_u32_e32 v11, 28, v0
	v_sub_nc_u32_e32 v0, 29, v0
	v_lshlrev_b64 v[11:12], v11, v[1:2]
	v_and_b32_e32 v1, 7, v11
; %bb.239:                              ;   in Loop: Header=BB360_10 Depth=1
	s_or_b32 exec_lo, exec_lo, s34
	v_lshlrev_b32_sdwa v11, v88, v10 dst_sel:DWORD dst_unused:UNUSED_PAD src0_sel:DWORD src1_sel:WORD_1
	v_lshlrev_b32_e32 v1, 20, v1
	v_lshl_add_u32 v0, v0, 23, 0x3c000000
	v_and_b32_e32 v11, 0x80000000, v11
	v_or3_b32 v119, v1, v11, v0
.LBB360_240:                            ;   in Loop: Header=BB360_10 Depth=1
	s_or_b32 exec_lo, exec_lo, s33
.LBB360_241:                            ;   in Loop: Header=BB360_10 Depth=1
	s_or_b32 exec_lo, exec_lo, s31
.LBB360_242:                            ;   in Loop: Header=BB360_10 Depth=1
	s_or_b32 exec_lo, exec_lo, s2
	v_mov_b32_e32 v122, 0
	v_mov_b32_e32 v121, 0
	s_mov_b32 s2, exec_lo
	v_cmpx_lt_u64_e64 s[4:5], v[9:10]
	s_cbranch_execz .LBB360_250
; %bb.243:                              ;   in Loop: Header=BB360_10 Depth=1
	v_cmp_ne_u32_sdwa s1, v10, v84 src0_sel:BYTE_3 src1_sel:DWORD
	v_bfrev_b32_e32 v121, 1
	s_and_saveexec_b32 s31, s1
	s_cbranch_execz .LBB360_249
; %bb.244:                              ;   in Loop: Header=BB360_10 Depth=1
	v_bfe_u32 v9, v10, 24, 7
	v_mov_b32_e32 v121, 0x7f800001
	s_mov_b32 s33, exec_lo
	v_cmpx_ne_u32_e32 0x7f, v9
	s_cbranch_execz .LBB360_248
; %bb.245:                              ;   in Loop: Header=BB360_10 Depth=1
	v_and_b32_sdwa v1, v10, v87 dst_sel:DWORD dst_unused:UNUSED_PAD src0_sel:BYTE_3 src1_sel:DWORD
	v_lshrrev_b32_e32 v0, 3, v9
	s_mov_b32 s34, exec_lo
	v_cmpx_gt_u32_e32 8, v9
; %bb.246:                              ;   in Loop: Header=BB360_10 Depth=1
	v_ffbh_u32_e32 v0, v1
	v_min_u32_e32 v0, 32, v0
	v_subrev_nc_u32_e32 v9, 28, v0
	v_sub_nc_u32_e32 v0, 29, v0
	v_lshlrev_b64 v[11:12], v9, v[1:2]
	v_and_b32_e32 v1, 7, v11
; %bb.247:                              ;   in Loop: Header=BB360_10 Depth=1
	s_or_b32 exec_lo, exec_lo, s34
	v_lshlrev_b32_sdwa v9, v88, v10 dst_sel:DWORD dst_unused:UNUSED_PAD src0_sel:DWORD src1_sel:BYTE_3
	v_lshlrev_b32_e32 v1, 20, v1
	v_lshl_add_u32 v0, v0, 23, 0x3c000000
	v_and_b32_e32 v9, 0x80000000, v9
	v_or3_b32 v121, v1, v9, v0
.LBB360_248:                            ;   in Loop: Header=BB360_10 Depth=1
	s_or_b32 exec_lo, exec_lo, s33
.LBB360_249:                            ;   in Loop: Header=BB360_10 Depth=1
	s_or_b32 exec_lo, exec_lo, s31
.LBB360_250:                            ;   in Loop: Header=BB360_10 Depth=1
	s_or_b32 exec_lo, exec_lo, s2
	global_load_dwordx2 v[9:10], v[7:8], off offset:1024
	s_waitcnt vmcnt(0)
	v_cmp_ne_u16_sdwa s1, v9, v2 src0_sel:BYTE_0 src1_sel:DWORD
	s_and_saveexec_b32 s2, s1
	s_cbranch_execz .LBB360_256
; %bb.251:                              ;   in Loop: Header=BB360_10 Depth=1
	v_cmp_ne_u16_sdwa s1, v9, v84 src0_sel:BYTE_0 src1_sel:DWORD
	v_bfrev_b32_e32 v122, 1
	s_and_saveexec_b32 s31, s1
	s_cbranch_execz .LBB360_255
; %bb.252:                              ;   in Loop: Header=BB360_10 Depth=1
	v_and_b32_e32 v0, 0x7f, v9
	v_mov_b32_e32 v122, 0x7f800001
	s_mov_b32 s33, exec_lo
	v_cmpx_ne_u32_e32 0x7f, v0
	s_cbranch_execz .LBB360_254
; %bb.253:                              ;   in Loop: Header=BB360_10 Depth=1
	v_and_b32_e32 v1, 7, v9
	v_cmp_gt_u32_e64 s1, 8, v0
	v_lshrrev_b32_e32 v11, 3, v0
	v_ffbh_u32_e32 v1, v1
	v_min_u32_e32 v1, 32, v1
	v_subrev_nc_u32_e32 v12, 28, v1
	v_sub_nc_u32_e32 v1, 29, v1
	v_cndmask_b32_e64 v0, 0, v12, s1
	v_cndmask_b32_e64 v11, v11, v1, s1
	v_lshlrev_b64 v[0:1], v0, v[9:10]
	v_lshlrev_b32_e32 v1, 24, v9
	v_lshl_add_u32 v11, v11, 23, 0x3c000000
	v_lshlrev_b32_e32 v0, 20, v0
	v_and_b32_e32 v1, 0x80000000, v1
	v_and_b32_e32 v0, 0x700000, v0
	v_or3_b32 v122, v0, v1, v11
.LBB360_254:                            ;   in Loop: Header=BB360_10 Depth=1
	s_or_b32 exec_lo, exec_lo, s33
.LBB360_255:                            ;   in Loop: Header=BB360_10 Depth=1
	s_or_b32 exec_lo, exec_lo, s31
.LBB360_256:                            ;   in Loop: Header=BB360_10 Depth=1
	s_or_b32 exec_lo, exec_lo, s2
	v_cmp_ne_u16_sdwa s1, v9, v2 src0_sel:BYTE_1 src1_sel:DWORD
	v_mov_b32_e32 v124, 0
	v_mov_b32_e32 v123, 0
	s_and_saveexec_b32 s2, s1
	s_cbranch_execz .LBB360_264
; %bb.257:                              ;   in Loop: Header=BB360_10 Depth=1
	v_cmp_ne_u16_sdwa s1, v9, v84 src0_sel:BYTE_1 src1_sel:DWORD
	v_bfrev_b32_e32 v123, 1
	s_and_saveexec_b32 s31, s1
	s_cbranch_execz .LBB360_263
; %bb.258:                              ;   in Loop: Header=BB360_10 Depth=1
	v_and_b32_sdwa v0, v85, v9 dst_sel:DWORD dst_unused:UNUSED_PAD src0_sel:DWORD src1_sel:BYTE_1
	v_mov_b32_e32 v123, 0x7f800001
	s_mov_b32 s33, exec_lo
	v_and_b32_e32 v11, 0x7f, v0
	v_cmpx_ne_u32_e32 0x7f, v11
	s_cbranch_execz .LBB360_262
; %bb.259:                              ;   in Loop: Header=BB360_10 Depth=1
	v_and_b32_e32 v1, 7, v0
	v_lshrrev_b32_e32 v0, 3, v11
	s_mov_b32 s34, exec_lo
	v_cmpx_gt_u32_e32 8, v11
; %bb.260:                              ;   in Loop: Header=BB360_10 Depth=1
	v_ffbh_u32_e32 v0, v1
	v_min_u32_e32 v0, 32, v0
	v_subrev_nc_u32_e32 v11, 28, v0
	v_sub_nc_u32_e32 v0, 29, v0
	v_lshlrev_b64 v[11:12], v11, v[1:2]
	v_and_b32_e32 v1, 7, v11
; %bb.261:                              ;   in Loop: Header=BB360_10 Depth=1
	s_or_b32 exec_lo, exec_lo, s34
	v_lshlrev_b32_e32 v11, 16, v9
	v_lshlrev_b32_e32 v1, 20, v1
	v_lshl_add_u32 v0, v0, 23, 0x3c000000
	v_and_b32_e32 v11, 0x80000000, v11
	v_or3_b32 v123, v1, v11, v0
.LBB360_262:                            ;   in Loop: Header=BB360_10 Depth=1
	s_or_b32 exec_lo, exec_lo, s33
.LBB360_263:                            ;   in Loop: Header=BB360_10 Depth=1
	s_or_b32 exec_lo, exec_lo, s31
.LBB360_264:                            ;   in Loop: Header=BB360_10 Depth=1
	s_or_b32 exec_lo, exec_lo, s2
	v_and_b32_sdwa v0, v9, v86 dst_sel:DWORD dst_unused:UNUSED_PAD src0_sel:WORD_1 src1_sel:DWORD
	s_mov_b32 s2, exec_lo
	v_cmpx_ne_u16_e32 0, v0
	s_cbranch_execz .LBB360_272
; %bb.265:                              ;   in Loop: Header=BB360_10 Depth=1
	v_bfrev_b32_e32 v124, 1
	s_mov_b32 s31, exec_lo
	v_cmpx_ne_u16_e32 0x80, v0
	s_cbranch_execz .LBB360_271
; %bb.266:                              ;   in Loop: Header=BB360_10 Depth=1
	v_bfe_u32 v11, v9, 16, 7
	v_mov_b32_e32 v124, 0x7f800001
	s_mov_b32 s33, exec_lo
	v_cmpx_ne_u32_e32 0x7f, v11
	s_cbranch_execz .LBB360_270
; %bb.267:                              ;   in Loop: Header=BB360_10 Depth=1
	v_and_b32_sdwa v1, v9, v87 dst_sel:DWORD dst_unused:UNUSED_PAD src0_sel:WORD_1 src1_sel:DWORD
	v_lshrrev_b32_e32 v0, 3, v11
	s_mov_b32 s34, exec_lo
	v_cmpx_gt_u32_e32 8, v11
; %bb.268:                              ;   in Loop: Header=BB360_10 Depth=1
	v_ffbh_u32_e32 v0, v1
	v_min_u32_e32 v0, 32, v0
	v_subrev_nc_u32_e32 v11, 28, v0
	v_sub_nc_u32_e32 v0, 29, v0
	v_lshlrev_b64 v[11:12], v11, v[1:2]
	v_and_b32_e32 v1, 7, v11
; %bb.269:                              ;   in Loop: Header=BB360_10 Depth=1
	s_or_b32 exec_lo, exec_lo, s34
	v_lshlrev_b32_sdwa v11, v88, v9 dst_sel:DWORD dst_unused:UNUSED_PAD src0_sel:DWORD src1_sel:WORD_1
	v_lshlrev_b32_e32 v1, 20, v1
	v_lshl_add_u32 v0, v0, 23, 0x3c000000
	v_and_b32_e32 v11, 0x80000000, v11
	v_or3_b32 v124, v1, v11, v0
.LBB360_270:                            ;   in Loop: Header=BB360_10 Depth=1
	s_or_b32 exec_lo, exec_lo, s33
.LBB360_271:                            ;   in Loop: Header=BB360_10 Depth=1
	s_or_b32 exec_lo, exec_lo, s31
.LBB360_272:                            ;   in Loop: Header=BB360_10 Depth=1
	s_or_b32 exec_lo, exec_lo, s2
	v_mov_b32_e32 v126, 0
	v_mov_b32_e32 v125, 0
	s_mov_b32 s2, exec_lo
	v_cmpx_lt_u32_e32 0xffffff, v9
	s_cbranch_execz .LBB360_280
; %bb.273:                              ;   in Loop: Header=BB360_10 Depth=1
	v_cmp_ne_u32_sdwa s1, v9, v84 src0_sel:BYTE_3 src1_sel:DWORD
	v_bfrev_b32_e32 v125, 1
	s_and_saveexec_b32 s31, s1
	s_cbranch_execz .LBB360_279
; %bb.274:                              ;   in Loop: Header=BB360_10 Depth=1
	v_bfe_u32 v11, v9, 24, 7
	v_mov_b32_e32 v125, 0x7f800001
	s_mov_b32 s33, exec_lo
	v_cmpx_ne_u32_e32 0x7f, v11
	s_cbranch_execz .LBB360_278
; %bb.275:                              ;   in Loop: Header=BB360_10 Depth=1
	v_and_b32_sdwa v1, v9, v87 dst_sel:DWORD dst_unused:UNUSED_PAD src0_sel:BYTE_3 src1_sel:DWORD
	v_lshrrev_b32_e32 v0, 3, v11
	s_mov_b32 s34, exec_lo
	v_cmpx_gt_u32_e32 8, v11
; %bb.276:                              ;   in Loop: Header=BB360_10 Depth=1
	v_ffbh_u32_e32 v0, v1
	v_min_u32_e32 v0, 32, v0
	v_subrev_nc_u32_e32 v11, 28, v0
	v_sub_nc_u32_e32 v0, 29, v0
	v_lshlrev_b64 v[11:12], v11, v[1:2]
	v_and_b32_e32 v1, 7, v11
; %bb.277:                              ;   in Loop: Header=BB360_10 Depth=1
	s_or_b32 exec_lo, exec_lo, s34
	v_lshlrev_b32_sdwa v11, v88, v9 dst_sel:DWORD dst_unused:UNUSED_PAD src0_sel:DWORD src1_sel:BYTE_3
	v_lshlrev_b32_e32 v1, 20, v1
	v_lshl_add_u32 v0, v0, 23, 0x3c000000
	v_and_b32_e32 v11, 0x80000000, v11
	v_or3_b32 v125, v1, v11, v0
.LBB360_278:                            ;   in Loop: Header=BB360_10 Depth=1
	s_or_b32 exec_lo, exec_lo, s33
.LBB360_279:                            ;   in Loop: Header=BB360_10 Depth=1
	s_or_b32 exec_lo, exec_lo, s31
.LBB360_280:                            ;   in Loop: Header=BB360_10 Depth=1
	s_or_b32 exec_lo, exec_lo, s2
	v_mov_b32_e32 v1, v10
	v_cmp_ne_u16_sdwa s1, v10, v2 src0_sel:BYTE_0 src1_sel:DWORD
	s_and_saveexec_b32 s2, s1
	s_cbranch_execz .LBB360_286
; %bb.281:                              ;   in Loop: Header=BB360_10 Depth=1
	v_cmp_ne_u16_sdwa s1, v10, v84 src0_sel:BYTE_0 src1_sel:DWORD
	v_bfrev_b32_e32 v126, 1
	s_and_saveexec_b32 s31, s1
	s_cbranch_execz .LBB360_285
; %bb.282:                              ;   in Loop: Header=BB360_10 Depth=1
	v_and_b32_e32 v0, 0x7f, v10
	v_mov_b32_e32 v126, 0x7f800001
	s_mov_b32 s33, exec_lo
	v_cmpx_ne_u32_e32 0x7f, v0
	s_cbranch_execz .LBB360_284
; %bb.283:                              ;   in Loop: Header=BB360_10 Depth=1
	v_and_b32_e32 v11, 7, v10
	v_lshrrev_b32_e32 v12, 3, v0
	v_cmp_gt_u32_e64 s1, 8, v0
	v_ffbh_u32_e32 v0, v11
	v_min_u32_e32 v0, 32, v0
	v_subrev_nc_u32_e32 v11, 28, v0
	v_sub_nc_u32_e32 v0, 29, v0
	v_cndmask_b32_e64 v11, 0, v11, s1
	v_cndmask_b32_e64 v0, v12, v0, s1
	v_lshlrev_b64 v[11:12], v11, v[1:2]
	v_lshlrev_b32_e32 v12, 24, v1
	v_lshl_add_u32 v0, v0, 23, 0x3c000000
	v_lshlrev_b32_e32 v11, 20, v11
	v_and_b32_e32 v12, 0x80000000, v12
	v_and_b32_e32 v11, 0x700000, v11
	v_or3_b32 v126, v11, v12, v0
.LBB360_284:                            ;   in Loop: Header=BB360_10 Depth=1
	s_or_b32 exec_lo, exec_lo, s33
.LBB360_285:                            ;   in Loop: Header=BB360_10 Depth=1
	s_or_b32 exec_lo, exec_lo, s31
.LBB360_286:                            ;   in Loop: Header=BB360_10 Depth=1
	s_or_b32 exec_lo, exec_lo, s2
	v_cmp_ne_u16_sdwa s1, v1, v2 src0_sel:BYTE_1 src1_sel:DWORD
	v_mov_b32_e32 v127, 0
	v_mov_b32_e32 v13, 0
	s_and_saveexec_b32 s2, s1
	s_cbranch_execz .LBB360_294
; %bb.287:                              ;   in Loop: Header=BB360_10 Depth=1
	v_cmp_ne_u16_sdwa s1, v1, v84 src0_sel:BYTE_1 src1_sel:DWORD
	v_bfrev_b32_e32 v13, 1
	s_and_saveexec_b32 s31, s1
	s_cbranch_execz .LBB360_293
; %bb.288:                              ;   in Loop: Header=BB360_10 Depth=1
	v_and_b32_sdwa v0, v85, v1 dst_sel:DWORD dst_unused:UNUSED_PAD src0_sel:DWORD src1_sel:BYTE_1
	v_mov_b32_e32 v13, 0x7f800001
	s_mov_b32 s33, exec_lo
	v_and_b32_e32 v14, 0x7f, v0
	v_cmpx_ne_u32_e32 0x7f, v14
	s_cbranch_execz .LBB360_292
; %bb.289:                              ;   in Loop: Header=BB360_10 Depth=1
	v_and_b32_e32 v11, 7, v0
	v_mov_b32_e32 v12, v2
	v_lshrrev_b32_e32 v0, 3, v14
	s_mov_b32 s34, exec_lo
	v_cmpx_gt_u32_e32 8, v14
; %bb.290:                              ;   in Loop: Header=BB360_10 Depth=1
	v_ffbh_u32_e32 v0, v11
	v_min_u32_e32 v0, 32, v0
	v_subrev_nc_u32_e32 v13, 28, v0
	v_sub_nc_u32_e32 v0, 29, v0
	v_lshlrev_b64 v[11:12], v13, v[11:12]
	v_and_b32_e32 v11, 7, v11
; %bb.291:                              ;   in Loop: Header=BB360_10 Depth=1
	s_or_b32 exec_lo, exec_lo, s34
	v_lshlrev_b32_e32 v1, 16, v1
	v_lshlrev_b32_e32 v11, 20, v11
	v_lshl_add_u32 v0, v0, 23, 0x3c000000
	v_and_b32_e32 v1, 0x80000000, v1
	v_or3_b32 v13, v11, v1, v0
.LBB360_292:                            ;   in Loop: Header=BB360_10 Depth=1
	s_or_b32 exec_lo, exec_lo, s33
.LBB360_293:                            ;   in Loop: Header=BB360_10 Depth=1
	s_or_b32 exec_lo, exec_lo, s31
.LBB360_294:                            ;   in Loop: Header=BB360_10 Depth=1
	s_or_b32 exec_lo, exec_lo, s2
	v_and_b32_sdwa v0, v10, v86 dst_sel:DWORD dst_unused:UNUSED_PAD src0_sel:WORD_1 src1_sel:DWORD
	s_mov_b32 s2, exec_lo
	v_cmpx_ne_u16_e32 0, v0
	s_cbranch_execz .LBB360_302
; %bb.295:                              ;   in Loop: Header=BB360_10 Depth=1
	v_bfrev_b32_e32 v127, 1
	s_mov_b32 s31, exec_lo
	v_cmpx_ne_u16_e32 0x80, v0
	s_cbranch_execz .LBB360_301
; %bb.296:                              ;   in Loop: Header=BB360_10 Depth=1
	v_bfe_u32 v11, v10, 16, 7
	v_mov_b32_e32 v127, 0x7f800001
	s_mov_b32 s33, exec_lo
	v_cmpx_ne_u32_e32 0x7f, v11
	s_cbranch_execz .LBB360_300
; %bb.297:                              ;   in Loop: Header=BB360_10 Depth=1
	v_and_b32_sdwa v1, v10, v87 dst_sel:DWORD dst_unused:UNUSED_PAD src0_sel:WORD_1 src1_sel:DWORD
	v_lshrrev_b32_e32 v0, 3, v11
	s_mov_b32 s34, exec_lo
	v_cmpx_gt_u32_e32 8, v11
; %bb.298:                              ;   in Loop: Header=BB360_10 Depth=1
	v_ffbh_u32_e32 v0, v1
	v_min_u32_e32 v0, 32, v0
	v_subrev_nc_u32_e32 v11, 28, v0
	v_sub_nc_u32_e32 v0, 29, v0
	v_lshlrev_b64 v[11:12], v11, v[1:2]
	v_and_b32_e32 v1, 7, v11
; %bb.299:                              ;   in Loop: Header=BB360_10 Depth=1
	s_or_b32 exec_lo, exec_lo, s34
	v_lshlrev_b32_sdwa v11, v88, v10 dst_sel:DWORD dst_unused:UNUSED_PAD src0_sel:DWORD src1_sel:WORD_1
	v_lshlrev_b32_e32 v1, 20, v1
	v_lshl_add_u32 v0, v0, 23, 0x3c000000
	v_and_b32_e32 v11, 0x80000000, v11
	v_or3_b32 v127, v1, v11, v0
.LBB360_300:                            ;   in Loop: Header=BB360_10 Depth=1
	s_or_b32 exec_lo, exec_lo, s33
.LBB360_301:                            ;   in Loop: Header=BB360_10 Depth=1
	s_or_b32 exec_lo, exec_lo, s31
.LBB360_302:                            ;   in Loop: Header=BB360_10 Depth=1
	s_or_b32 exec_lo, exec_lo, s2
	v_mov_b32_e32 v22, 0
	v_mov_b32_e32 v14, 0
	s_mov_b32 s2, exec_lo
	v_cmpx_lt_u64_e64 s[4:5], v[9:10]
	s_cbranch_execz .LBB360_310
; %bb.303:                              ;   in Loop: Header=BB360_10 Depth=1
	v_cmp_ne_u32_sdwa s1, v10, v84 src0_sel:BYTE_3 src1_sel:DWORD
	v_bfrev_b32_e32 v14, 1
	s_and_saveexec_b32 s31, s1
	s_cbranch_execz .LBB360_309
; %bb.304:                              ;   in Loop: Header=BB360_10 Depth=1
	v_bfe_u32 v9, v10, 24, 7
	v_mov_b32_e32 v14, 0x7f800001
	s_mov_b32 s33, exec_lo
	v_cmpx_ne_u32_e32 0x7f, v9
	s_cbranch_execz .LBB360_308
; %bb.305:                              ;   in Loop: Header=BB360_10 Depth=1
	v_and_b32_sdwa v1, v10, v87 dst_sel:DWORD dst_unused:UNUSED_PAD src0_sel:BYTE_3 src1_sel:DWORD
	v_lshrrev_b32_e32 v0, 3, v9
	s_mov_b32 s34, exec_lo
	v_cmpx_gt_u32_e32 8, v9
; %bb.306:                              ;   in Loop: Header=BB360_10 Depth=1
	v_ffbh_u32_e32 v0, v1
	v_min_u32_e32 v0, 32, v0
	v_subrev_nc_u32_e32 v9, 28, v0
	v_sub_nc_u32_e32 v0, 29, v0
	v_lshlrev_b64 v[11:12], v9, v[1:2]
	v_and_b32_e32 v1, 7, v11
; %bb.307:                              ;   in Loop: Header=BB360_10 Depth=1
	s_or_b32 exec_lo, exec_lo, s34
	v_lshlrev_b32_sdwa v9, v88, v10 dst_sel:DWORD dst_unused:UNUSED_PAD src0_sel:DWORD src1_sel:BYTE_3
	v_lshlrev_b32_e32 v1, 20, v1
	v_lshl_add_u32 v0, v0, 23, 0x3c000000
	v_and_b32_e32 v9, 0x80000000, v9
	v_or3_b32 v14, v1, v9, v0
.LBB360_308:                            ;   in Loop: Header=BB360_10 Depth=1
	s_or_b32 exec_lo, exec_lo, s33
.LBB360_309:                            ;   in Loop: Header=BB360_10 Depth=1
	s_or_b32 exec_lo, exec_lo, s31
.LBB360_310:                            ;   in Loop: Header=BB360_10 Depth=1
	s_or_b32 exec_lo, exec_lo, s2
	global_load_dwordx2 v[9:10], v[7:8], off offset:1032
	s_waitcnt vmcnt(0)
	v_cmp_ne_u16_sdwa s1, v9, v2 src0_sel:BYTE_0 src1_sel:DWORD
	s_and_saveexec_b32 s2, s1
	s_cbranch_execz .LBB360_316
; %bb.311:                              ;   in Loop: Header=BB360_10 Depth=1
	v_cmp_ne_u16_sdwa s1, v9, v84 src0_sel:BYTE_0 src1_sel:DWORD
	v_bfrev_b32_e32 v22, 1
	s_and_saveexec_b32 s31, s1
	s_cbranch_execz .LBB360_315
; %bb.312:                              ;   in Loop: Header=BB360_10 Depth=1
	v_and_b32_e32 v0, 0x7f, v9
	v_mov_b32_e32 v22, 0x7f800001
	s_mov_b32 s33, exec_lo
	v_cmpx_ne_u32_e32 0x7f, v0
	s_cbranch_execz .LBB360_314
; %bb.313:                              ;   in Loop: Header=BB360_10 Depth=1
	v_and_b32_e32 v1, 7, v9
	v_lshrrev_b32_e32 v11, 3, v0
	v_cmp_gt_u32_e64 s1, 8, v0
	v_ffbh_u32_e32 v0, v1
	v_min_u32_e32 v0, 32, v0
	v_subrev_nc_u32_e32 v1, 28, v0
	v_sub_nc_u32_e32 v0, 29, v0
	v_cndmask_b32_e64 v11, v11, v0, s1
	v_cndmask_b32_e64 v0, 0, v1, s1
	v_lshl_add_u32 v11, v11, 23, 0x3c000000
	v_lshlrev_b64 v[0:1], v0, v[9:10]
	v_lshlrev_b32_e32 v1, 24, v9
	v_lshlrev_b32_e32 v0, 20, v0
	v_and_b32_e32 v1, 0x80000000, v1
	v_and_b32_e32 v0, 0x700000, v0
	v_or3_b32 v22, v0, v1, v11
.LBB360_314:                            ;   in Loop: Header=BB360_10 Depth=1
	s_or_b32 exec_lo, exec_lo, s33
.LBB360_315:                            ;   in Loop: Header=BB360_10 Depth=1
	s_or_b32 exec_lo, exec_lo, s31
.LBB360_316:                            ;   in Loop: Header=BB360_10 Depth=1
	s_or_b32 exec_lo, exec_lo, s2
	v_cmp_ne_u16_sdwa s1, v9, v2 src0_sel:BYTE_1 src1_sel:DWORD
	v_mov_b32_e32 v15, 0
	v_mov_b32_e32 v21, 0
	s_and_saveexec_b32 s2, s1
	s_cbranch_execz .LBB360_324
; %bb.317:                              ;   in Loop: Header=BB360_10 Depth=1
	v_cmp_ne_u16_sdwa s1, v9, v84 src0_sel:BYTE_1 src1_sel:DWORD
	v_bfrev_b32_e32 v21, 1
	s_and_saveexec_b32 s31, s1
	s_cbranch_execz .LBB360_323
; %bb.318:                              ;   in Loop: Header=BB360_10 Depth=1
	v_and_b32_sdwa v0, v85, v9 dst_sel:DWORD dst_unused:UNUSED_PAD src0_sel:DWORD src1_sel:BYTE_1
	v_mov_b32_e32 v21, 0x7f800001
	s_mov_b32 s33, exec_lo
	v_and_b32_e32 v11, 0x7f, v0
	v_cmpx_ne_u32_e32 0x7f, v11
	s_cbranch_execz .LBB360_322
; %bb.319:                              ;   in Loop: Header=BB360_10 Depth=1
	v_and_b32_e32 v1, 7, v0
	v_lshrrev_b32_e32 v0, 3, v11
	s_mov_b32 s34, exec_lo
	v_cmpx_gt_u32_e32 8, v11
; %bb.320:                              ;   in Loop: Header=BB360_10 Depth=1
	v_ffbh_u32_e32 v0, v1
	v_min_u32_e32 v0, 32, v0
	v_subrev_nc_u32_e32 v11, 28, v0
	v_sub_nc_u32_e32 v0, 29, v0
	v_lshlrev_b64 v[11:12], v11, v[1:2]
	v_and_b32_e32 v1, 7, v11
; %bb.321:                              ;   in Loop: Header=BB360_10 Depth=1
	s_or_b32 exec_lo, exec_lo, s34
	v_lshlrev_b32_e32 v11, 16, v9
	v_lshlrev_b32_e32 v1, 20, v1
	v_lshl_add_u32 v0, v0, 23, 0x3c000000
	v_and_b32_e32 v11, 0x80000000, v11
	v_or3_b32 v21, v1, v11, v0
.LBB360_322:                            ;   in Loop: Header=BB360_10 Depth=1
	s_or_b32 exec_lo, exec_lo, s33
.LBB360_323:                            ;   in Loop: Header=BB360_10 Depth=1
	s_or_b32 exec_lo, exec_lo, s31
.LBB360_324:                            ;   in Loop: Header=BB360_10 Depth=1
	s_or_b32 exec_lo, exec_lo, s2
	v_and_b32_sdwa v0, v9, v86 dst_sel:DWORD dst_unused:UNUSED_PAD src0_sel:WORD_1 src1_sel:DWORD
	s_mov_b32 s2, exec_lo
	v_cmpx_ne_u16_e32 0, v0
	s_cbranch_execz .LBB360_332
; %bb.325:                              ;   in Loop: Header=BB360_10 Depth=1
	v_bfrev_b32_e32 v15, 1
	s_mov_b32 s31, exec_lo
	v_cmpx_ne_u16_e32 0x80, v0
	s_cbranch_execz .LBB360_331
; %bb.326:                              ;   in Loop: Header=BB360_10 Depth=1
	v_bfe_u32 v11, v9, 16, 7
	v_mov_b32_e32 v15, 0x7f800001
	s_mov_b32 s33, exec_lo
	v_cmpx_ne_u32_e32 0x7f, v11
	s_cbranch_execz .LBB360_330
; %bb.327:                              ;   in Loop: Header=BB360_10 Depth=1
	v_and_b32_sdwa v1, v9, v87 dst_sel:DWORD dst_unused:UNUSED_PAD src0_sel:WORD_1 src1_sel:DWORD
	v_lshrrev_b32_e32 v0, 3, v11
	s_mov_b32 s34, exec_lo
	v_cmpx_gt_u32_e32 8, v11
; %bb.328:                              ;   in Loop: Header=BB360_10 Depth=1
	v_ffbh_u32_e32 v0, v1
	v_min_u32_e32 v0, 32, v0
	v_subrev_nc_u32_e32 v11, 28, v0
	v_sub_nc_u32_e32 v0, 29, v0
	v_lshlrev_b64 v[11:12], v11, v[1:2]
	v_and_b32_e32 v1, 7, v11
; %bb.329:                              ;   in Loop: Header=BB360_10 Depth=1
	s_or_b32 exec_lo, exec_lo, s34
	v_lshlrev_b32_sdwa v11, v88, v9 dst_sel:DWORD dst_unused:UNUSED_PAD src0_sel:DWORD src1_sel:WORD_1
	v_lshlrev_b32_e32 v1, 20, v1
	v_lshl_add_u32 v0, v0, 23, 0x3c000000
	v_and_b32_e32 v11, 0x80000000, v11
	v_or3_b32 v15, v1, v11, v0
.LBB360_330:                            ;   in Loop: Header=BB360_10 Depth=1
	s_or_b32 exec_lo, exec_lo, s33
.LBB360_331:                            ;   in Loop: Header=BB360_10 Depth=1
	s_or_b32 exec_lo, exec_lo, s31
.LBB360_332:                            ;   in Loop: Header=BB360_10 Depth=1
	s_or_b32 exec_lo, exec_lo, s2
	v_mov_b32_e32 v16, 0
	v_mov_b32_e32 v0, 0
	s_mov_b32 s2, exec_lo
	v_cmpx_lt_u32_e32 0xffffff, v9
	s_cbranch_execz .LBB360_340
; %bb.333:                              ;   in Loop: Header=BB360_10 Depth=1
	v_cmp_ne_u32_sdwa s1, v9, v84 src0_sel:BYTE_3 src1_sel:DWORD
	v_bfrev_b32_e32 v0, 1
	s_and_saveexec_b32 s31, s1
	s_cbranch_execz .LBB360_339
; %bb.334:                              ;   in Loop: Header=BB360_10 Depth=1
	v_bfe_u32 v11, v9, 24, 7
	v_mov_b32_e32 v0, 0x7f800001
	s_mov_b32 s33, exec_lo
	v_cmpx_ne_u32_e32 0x7f, v11
	s_cbranch_execz .LBB360_338
; %bb.335:                              ;   in Loop: Header=BB360_10 Depth=1
	v_and_b32_sdwa v1, v9, v87 dst_sel:DWORD dst_unused:UNUSED_PAD src0_sel:BYTE_3 src1_sel:DWORD
	v_lshrrev_b32_e32 v0, 3, v11
	s_mov_b32 s34, exec_lo
	v_cmpx_gt_u32_e32 8, v11
; %bb.336:                              ;   in Loop: Header=BB360_10 Depth=1
	v_ffbh_u32_e32 v0, v1
	v_min_u32_e32 v0, 32, v0
	v_subrev_nc_u32_e32 v11, 28, v0
	v_sub_nc_u32_e32 v0, 29, v0
	v_lshlrev_b64 v[11:12], v11, v[1:2]
	v_and_b32_e32 v1, 7, v11
; %bb.337:                              ;   in Loop: Header=BB360_10 Depth=1
	s_or_b32 exec_lo, exec_lo, s34
	v_lshlrev_b32_sdwa v11, v88, v9 dst_sel:DWORD dst_unused:UNUSED_PAD src0_sel:DWORD src1_sel:BYTE_3
	v_lshlrev_b32_e32 v1, 20, v1
	v_lshl_add_u32 v0, v0, 23, 0x3c000000
	v_and_b32_e32 v11, 0x80000000, v11
	v_or3_b32 v0, v1, v11, v0
.LBB360_338:                            ;   in Loop: Header=BB360_10 Depth=1
	s_or_b32 exec_lo, exec_lo, s33
.LBB360_339:                            ;   in Loop: Header=BB360_10 Depth=1
	s_or_b32 exec_lo, exec_lo, s31
.LBB360_340:                            ;   in Loop: Header=BB360_10 Depth=1
	s_or_b32 exec_lo, exec_lo, s2
	v_mov_b32_e32 v1, v10
	v_cmp_ne_u16_sdwa s1, v10, v2 src0_sel:BYTE_0 src1_sel:DWORD
	s_and_saveexec_b32 s2, s1
	s_cbranch_execz .LBB360_346
; %bb.341:                              ;   in Loop: Header=BB360_10 Depth=1
	v_cmp_ne_u16_sdwa s1, v10, v84 src0_sel:BYTE_0 src1_sel:DWORD
	v_bfrev_b32_e32 v16, 1
	s_and_saveexec_b32 s31, s1
	s_cbranch_execz .LBB360_345
; %bb.342:                              ;   in Loop: Header=BB360_10 Depth=1
	v_and_b32_e32 v11, 0x7f, v10
	v_mov_b32_e32 v16, 0x7f800001
	s_mov_b32 s33, exec_lo
	v_cmpx_ne_u32_e32 0x7f, v11
	s_cbranch_execz .LBB360_344
; %bb.343:                              ;   in Loop: Header=BB360_10 Depth=1
	v_and_b32_e32 v12, 7, v10
	v_lshrrev_b32_e32 v16, 3, v11
	v_cmp_gt_u32_e64 s1, 8, v11
	v_ffbh_u32_e32 v11, v12
	v_min_u32_e32 v11, 32, v11
	v_subrev_nc_u32_e32 v12, 28, v11
	v_sub_nc_u32_e32 v11, 29, v11
	v_cndmask_b32_e64 v16, v16, v11, s1
	v_cndmask_b32_e64 v11, 0, v12, s1
	v_lshl_add_u32 v16, v16, 23, 0x3c000000
	v_lshlrev_b64 v[11:12], v11, v[1:2]
	v_lshlrev_b32_e32 v12, 24, v1
	v_lshlrev_b32_e32 v11, 20, v11
	v_and_b32_e32 v12, 0x80000000, v12
	v_and_b32_e32 v11, 0x700000, v11
	v_or3_b32 v16, v11, v12, v16
.LBB360_344:                            ;   in Loop: Header=BB360_10 Depth=1
	s_or_b32 exec_lo, exec_lo, s33
.LBB360_345:                            ;   in Loop: Header=BB360_10 Depth=1
	s_or_b32 exec_lo, exec_lo, s31
.LBB360_346:                            ;   in Loop: Header=BB360_10 Depth=1
	s_or_b32 exec_lo, exec_lo, s2
	v_cmp_ne_u16_sdwa s1, v1, v2 src0_sel:BYTE_1 src1_sel:DWORD
	v_mov_b32_e32 v17, 0
	v_mov_b32_e32 v18, 0
	s_and_saveexec_b32 s2, s1
	s_cbranch_execz .LBB360_354
; %bb.347:                              ;   in Loop: Header=BB360_10 Depth=1
	v_cmp_ne_u16_sdwa s1, v1, v84 src0_sel:BYTE_1 src1_sel:DWORD
	v_bfrev_b32_e32 v18, 1
	s_and_saveexec_b32 s31, s1
	s_cbranch_execz .LBB360_353
; %bb.348:                              ;   in Loop: Header=BB360_10 Depth=1
	v_and_b32_sdwa v11, v85, v1 dst_sel:DWORD dst_unused:UNUSED_PAD src0_sel:DWORD src1_sel:BYTE_1
	v_mov_b32_e32 v18, 0x7f800001
	s_mov_b32 s33, exec_lo
	v_and_b32_e32 v19, 0x7f, v11
	v_cmpx_ne_u32_e32 0x7f, v19
	s_cbranch_execz .LBB360_352
; %bb.349:                              ;   in Loop: Header=BB360_10 Depth=1
	v_and_b32_e32 v11, 7, v11
	v_mov_b32_e32 v12, v2
	v_lshrrev_b32_e32 v18, 3, v19
	s_mov_b32 s34, exec_lo
	v_cmpx_gt_u32_e32 8, v19
; %bb.350:                              ;   in Loop: Header=BB360_10 Depth=1
	v_ffbh_u32_e32 v18, v11
	v_min_u32_e32 v18, 32, v18
	v_subrev_nc_u32_e32 v19, 28, v18
	v_sub_nc_u32_e32 v18, 29, v18
	v_lshlrev_b64 v[11:12], v19, v[11:12]
	v_and_b32_e32 v11, 7, v11
; %bb.351:                              ;   in Loop: Header=BB360_10 Depth=1
	s_or_b32 exec_lo, exec_lo, s34
	v_lshlrev_b32_e32 v1, 16, v1
	v_lshlrev_b32_e32 v11, 20, v11
	v_lshl_add_u32 v12, v18, 23, 0x3c000000
	v_and_b32_e32 v1, 0x80000000, v1
	v_or3_b32 v18, v11, v1, v12
.LBB360_352:                            ;   in Loop: Header=BB360_10 Depth=1
	s_or_b32 exec_lo, exec_lo, s33
.LBB360_353:                            ;   in Loop: Header=BB360_10 Depth=1
	s_or_b32 exec_lo, exec_lo, s31
.LBB360_354:                            ;   in Loop: Header=BB360_10 Depth=1
	s_or_b32 exec_lo, exec_lo, s2
	v_and_b32_sdwa v1, v10, v86 dst_sel:DWORD dst_unused:UNUSED_PAD src0_sel:WORD_1 src1_sel:DWORD
	s_mov_b32 s2, exec_lo
	v_cmpx_ne_u16_e32 0, v1
	s_cbranch_execz .LBB360_362
; %bb.355:                              ;   in Loop: Header=BB360_10 Depth=1
	v_bfrev_b32_e32 v17, 1
	s_mov_b32 s31, exec_lo
	v_cmpx_ne_u16_e32 0x80, v1
	s_cbranch_execz .LBB360_361
; %bb.356:                              ;   in Loop: Header=BB360_10 Depth=1
	v_bfe_u32 v12, v10, 16, 7
	v_mov_b32_e32 v17, 0x7f800001
	s_mov_b32 s33, exec_lo
	v_cmpx_ne_u32_e32 0x7f, v12
	s_cbranch_execz .LBB360_360
; %bb.357:                              ;   in Loop: Header=BB360_10 Depth=1
	v_and_b32_sdwa v1, v10, v87 dst_sel:DWORD dst_unused:UNUSED_PAD src0_sel:WORD_1 src1_sel:DWORD
	v_lshrrev_b32_e32 v11, 3, v12
	s_mov_b32 s34, exec_lo
	v_cmpx_gt_u32_e32 8, v12
; %bb.358:                              ;   in Loop: Header=BB360_10 Depth=1
	v_ffbh_u32_e32 v11, v1
	v_min_u32_e32 v11, 32, v11
	v_subrev_nc_u32_e32 v12, 28, v11
	v_sub_nc_u32_e32 v11, 29, v11
	v_lshlrev_b64 v[19:20], v12, v[1:2]
	v_and_b32_e32 v1, 7, v19
; %bb.359:                              ;   in Loop: Header=BB360_10 Depth=1
	s_or_b32 exec_lo, exec_lo, s34
	v_lshlrev_b32_sdwa v12, v88, v10 dst_sel:DWORD dst_unused:UNUSED_PAD src0_sel:DWORD src1_sel:WORD_1
	v_lshlrev_b32_e32 v1, 20, v1
	v_lshl_add_u32 v11, v11, 23, 0x3c000000
	v_and_b32_e32 v12, 0x80000000, v12
	v_or3_b32 v17, v1, v12, v11
.LBB360_360:                            ;   in Loop: Header=BB360_10 Depth=1
	s_or_b32 exec_lo, exec_lo, s33
.LBB360_361:                            ;   in Loop: Header=BB360_10 Depth=1
	s_or_b32 exec_lo, exec_lo, s31
.LBB360_362:                            ;   in Loop: Header=BB360_10 Depth=1
	s_or_b32 exec_lo, exec_lo, s2
	v_mov_b32_e32 v20, 0
	v_mov_b32_e32 v19, 0
	s_mov_b32 s2, exec_lo
	v_cmpx_lt_u64_e64 s[4:5], v[9:10]
	s_cbranch_execz .LBB360_370
; %bb.363:                              ;   in Loop: Header=BB360_10 Depth=1
	v_cmp_ne_u32_sdwa s1, v10, v84 src0_sel:BYTE_3 src1_sel:DWORD
	v_bfrev_b32_e32 v19, 1
	s_and_saveexec_b32 s31, s1
	s_cbranch_execz .LBB360_369
; %bb.364:                              ;   in Loop: Header=BB360_10 Depth=1
	v_bfe_u32 v11, v10, 24, 7
	v_mov_b32_e32 v19, 0x7f800001
	s_mov_b32 s33, exec_lo
	v_cmpx_ne_u32_e32 0x7f, v11
	s_cbranch_execz .LBB360_368
; %bb.365:                              ;   in Loop: Header=BB360_10 Depth=1
	v_and_b32_sdwa v1, v10, v87 dst_sel:DWORD dst_unused:UNUSED_PAD src0_sel:BYTE_3 src1_sel:DWORD
	v_lshrrev_b32_e32 v9, 3, v11
	s_mov_b32 s34, exec_lo
	v_cmpx_gt_u32_e32 8, v11
; %bb.366:                              ;   in Loop: Header=BB360_10 Depth=1
	v_ffbh_u32_e32 v9, v1
	v_min_u32_e32 v9, 32, v9
	v_subrev_nc_u32_e32 v11, 28, v9
	v_sub_nc_u32_e32 v9, 29, v9
	v_lshlrev_b64 v[11:12], v11, v[1:2]
	v_and_b32_e32 v1, 7, v11
; %bb.367:                              ;   in Loop: Header=BB360_10 Depth=1
	s_or_b32 exec_lo, exec_lo, s34
	v_lshlrev_b32_sdwa v10, v88, v10 dst_sel:DWORD dst_unused:UNUSED_PAD src0_sel:DWORD src1_sel:BYTE_3
	v_lshlrev_b32_e32 v1, 20, v1
	v_lshl_add_u32 v9, v9, 23, 0x3c000000
	v_and_b32_e32 v10, 0x80000000, v10
	v_or3_b32 v19, v1, v10, v9
.LBB360_368:                            ;   in Loop: Header=BB360_10 Depth=1
	s_or_b32 exec_lo, exec_lo, s33
.LBB360_369:                            ;   in Loop: Header=BB360_10 Depth=1
	s_or_b32 exec_lo, exec_lo, s31
.LBB360_370:                            ;   in Loop: Header=BB360_10 Depth=1
	s_or_b32 exec_lo, exec_lo, s2
	global_load_dwordx2 v[9:10], v[7:8], off offset:1536
	s_waitcnt vmcnt(0)
	v_cmp_ne_u16_sdwa s1, v9, v2 src0_sel:BYTE_0 src1_sel:DWORD
	s_and_saveexec_b32 s2, s1
	s_cbranch_execz .LBB360_376
; %bb.371:                              ;   in Loop: Header=BB360_10 Depth=1
	v_cmp_ne_u16_sdwa s1, v9, v84 src0_sel:BYTE_0 src1_sel:DWORD
	v_bfrev_b32_e32 v20, 1
	s_and_saveexec_b32 s31, s1
	s_cbranch_execz .LBB360_375
; %bb.372:                              ;   in Loop: Header=BB360_10 Depth=1
	v_and_b32_e32 v1, 0x7f, v9
	v_mov_b32_e32 v20, 0x7f800001
	s_mov_b32 s33, exec_lo
	v_cmpx_ne_u32_e32 0x7f, v1
	s_cbranch_execz .LBB360_374
; %bb.373:                              ;   in Loop: Header=BB360_10 Depth=1
	v_and_b32_e32 v11, 7, v9
	v_lshrrev_b32_e32 v12, 3, v1
	v_cmp_gt_u32_e64 s1, 8, v1
	v_ffbh_u32_e32 v1, v11
	v_min_u32_e32 v1, 32, v1
	v_subrev_nc_u32_e32 v11, 28, v1
	v_sub_nc_u32_e32 v1, 29, v1
	v_cndmask_b32_e64 v11, 0, v11, s1
	v_cndmask_b32_e64 v1, v12, v1, s1
	v_lshlrev_b64 v[11:12], v11, v[9:10]
	v_lshlrev_b32_e32 v12, 24, v9
	v_lshl_add_u32 v1, v1, 23, 0x3c000000
	v_lshlrev_b32_e32 v11, 20, v11
	v_and_b32_e32 v12, 0x80000000, v12
	v_and_b32_e32 v11, 0x700000, v11
	v_or3_b32 v20, v11, v12, v1
.LBB360_374:                            ;   in Loop: Header=BB360_10 Depth=1
	s_or_b32 exec_lo, exec_lo, s33
.LBB360_375:                            ;   in Loop: Header=BB360_10 Depth=1
	s_or_b32 exec_lo, exec_lo, s31
.LBB360_376:                            ;   in Loop: Header=BB360_10 Depth=1
	s_or_b32 exec_lo, exec_lo, s2
	v_cmp_ne_u16_sdwa s1, v9, v2 src0_sel:BYTE_1 src1_sel:DWORD
	v_mov_b32_e32 v24, 0
	v_mov_b32_e32 v23, 0
	s_and_saveexec_b32 s2, s1
	s_cbranch_execz .LBB360_384
; %bb.377:                              ;   in Loop: Header=BB360_10 Depth=1
	v_cmp_ne_u16_sdwa s1, v9, v84 src0_sel:BYTE_1 src1_sel:DWORD
	v_bfrev_b32_e32 v23, 1
	s_and_saveexec_b32 s31, s1
	s_cbranch_execz .LBB360_383
; %bb.378:                              ;   in Loop: Header=BB360_10 Depth=1
	v_and_b32_sdwa v1, v85, v9 dst_sel:DWORD dst_unused:UNUSED_PAD src0_sel:DWORD src1_sel:BYTE_1
	v_mov_b32_e32 v23, 0x7f800001
	s_mov_b32 s33, exec_lo
	v_and_b32_e32 v12, 0x7f, v1
	v_cmpx_ne_u32_e32 0x7f, v12
	s_cbranch_execz .LBB360_382
; %bb.379:                              ;   in Loop: Header=BB360_10 Depth=1
	v_and_b32_e32 v1, 7, v1
	v_lshrrev_b32_e32 v11, 3, v12
	s_mov_b32 s34, exec_lo
	v_cmpx_gt_u32_e32 8, v12
; %bb.380:                              ;   in Loop: Header=BB360_10 Depth=1
	v_ffbh_u32_e32 v11, v1
	v_min_u32_e32 v11, 32, v11
	v_subrev_nc_u32_e32 v12, 28, v11
	v_sub_nc_u32_e32 v11, 29, v11
	v_lshlrev_b64 v[25:26], v12, v[1:2]
	v_and_b32_e32 v1, 7, v25
; %bb.381:                              ;   in Loop: Header=BB360_10 Depth=1
	s_or_b32 exec_lo, exec_lo, s34
	v_lshlrev_b32_e32 v12, 16, v9
	v_lshlrev_b32_e32 v1, 20, v1
	v_lshl_add_u32 v11, v11, 23, 0x3c000000
	v_and_b32_e32 v12, 0x80000000, v12
	v_or3_b32 v23, v1, v12, v11
.LBB360_382:                            ;   in Loop: Header=BB360_10 Depth=1
	s_or_b32 exec_lo, exec_lo, s33
.LBB360_383:                            ;   in Loop: Header=BB360_10 Depth=1
	s_or_b32 exec_lo, exec_lo, s31
.LBB360_384:                            ;   in Loop: Header=BB360_10 Depth=1
	s_or_b32 exec_lo, exec_lo, s2
	v_and_b32_sdwa v1, v9, v86 dst_sel:DWORD dst_unused:UNUSED_PAD src0_sel:WORD_1 src1_sel:DWORD
	s_mov_b32 s2, exec_lo
	v_cmpx_ne_u16_e32 0, v1
	s_cbranch_execz .LBB360_392
; %bb.385:                              ;   in Loop: Header=BB360_10 Depth=1
	v_bfrev_b32_e32 v24, 1
	s_mov_b32 s31, exec_lo
	v_cmpx_ne_u16_e32 0x80, v1
	s_cbranch_execz .LBB360_391
; %bb.386:                              ;   in Loop: Header=BB360_10 Depth=1
	v_bfe_u32 v12, v9, 16, 7
	v_mov_b32_e32 v24, 0x7f800001
	s_mov_b32 s33, exec_lo
	v_cmpx_ne_u32_e32 0x7f, v12
	s_cbranch_execz .LBB360_390
; %bb.387:                              ;   in Loop: Header=BB360_10 Depth=1
	v_and_b32_sdwa v1, v9, v87 dst_sel:DWORD dst_unused:UNUSED_PAD src0_sel:WORD_1 src1_sel:DWORD
	v_lshrrev_b32_e32 v11, 3, v12
	s_mov_b32 s34, exec_lo
	v_cmpx_gt_u32_e32 8, v12
; %bb.388:                              ;   in Loop: Header=BB360_10 Depth=1
	v_ffbh_u32_e32 v11, v1
	v_min_u32_e32 v11, 32, v11
	v_subrev_nc_u32_e32 v12, 28, v11
	v_sub_nc_u32_e32 v11, 29, v11
	v_lshlrev_b64 v[24:25], v12, v[1:2]
	v_and_b32_e32 v1, 7, v24
; %bb.389:                              ;   in Loop: Header=BB360_10 Depth=1
	s_or_b32 exec_lo, exec_lo, s34
	v_lshlrev_b32_sdwa v12, v88, v9 dst_sel:DWORD dst_unused:UNUSED_PAD src0_sel:DWORD src1_sel:WORD_1
	v_lshlrev_b32_e32 v1, 20, v1
	v_lshl_add_u32 v11, v11, 23, 0x3c000000
	v_and_b32_e32 v12, 0x80000000, v12
	v_or3_b32 v24, v1, v12, v11
.LBB360_390:                            ;   in Loop: Header=BB360_10 Depth=1
	s_or_b32 exec_lo, exec_lo, s33
.LBB360_391:                            ;   in Loop: Header=BB360_10 Depth=1
	s_or_b32 exec_lo, exec_lo, s31
.LBB360_392:                            ;   in Loop: Header=BB360_10 Depth=1
	s_or_b32 exec_lo, exec_lo, s2
	v_mov_b32_e32 v27, 0
	v_mov_b32_e32 v25, 0
	s_mov_b32 s2, exec_lo
	v_cmpx_lt_u32_e32 0xffffff, v9
	s_cbranch_execz .LBB360_400
; %bb.393:                              ;   in Loop: Header=BB360_10 Depth=1
	v_cmp_ne_u32_sdwa s1, v9, v84 src0_sel:BYTE_3 src1_sel:DWORD
	v_bfrev_b32_e32 v25, 1
	s_and_saveexec_b32 s31, s1
	s_cbranch_execz .LBB360_399
; %bb.394:                              ;   in Loop: Header=BB360_10 Depth=1
	v_bfe_u32 v12, v9, 24, 7
	v_mov_b32_e32 v25, 0x7f800001
	s_mov_b32 s33, exec_lo
	v_cmpx_ne_u32_e32 0x7f, v12
	s_cbranch_execz .LBB360_398
; %bb.395:                              ;   in Loop: Header=BB360_10 Depth=1
	v_and_b32_sdwa v1, v9, v87 dst_sel:DWORD dst_unused:UNUSED_PAD src0_sel:BYTE_3 src1_sel:DWORD
	v_lshrrev_b32_e32 v11, 3, v12
	s_mov_b32 s34, exec_lo
	v_cmpx_gt_u32_e32 8, v12
; %bb.396:                              ;   in Loop: Header=BB360_10 Depth=1
	v_ffbh_u32_e32 v11, v1
	v_min_u32_e32 v11, 32, v11
	v_subrev_nc_u32_e32 v12, 28, v11
	v_sub_nc_u32_e32 v11, 29, v11
	v_lshlrev_b64 v[25:26], v12, v[1:2]
	v_and_b32_e32 v1, 7, v25
; %bb.397:                              ;   in Loop: Header=BB360_10 Depth=1
	s_or_b32 exec_lo, exec_lo, s34
	v_lshlrev_b32_sdwa v12, v88, v9 dst_sel:DWORD dst_unused:UNUSED_PAD src0_sel:DWORD src1_sel:BYTE_3
	v_lshlrev_b32_e32 v1, 20, v1
	v_lshl_add_u32 v11, v11, 23, 0x3c000000
	v_and_b32_e32 v12, 0x80000000, v12
	v_or3_b32 v25, v1, v12, v11
.LBB360_398:                            ;   in Loop: Header=BB360_10 Depth=1
	s_or_b32 exec_lo, exec_lo, s33
.LBB360_399:                            ;   in Loop: Header=BB360_10 Depth=1
	s_or_b32 exec_lo, exec_lo, s31
.LBB360_400:                            ;   in Loop: Header=BB360_10 Depth=1
	s_or_b32 exec_lo, exec_lo, s2
	v_mov_b32_e32 v1, v10
	v_cmp_ne_u16_sdwa s1, v10, v2 src0_sel:BYTE_0 src1_sel:DWORD
	s_and_saveexec_b32 s2, s1
	s_cbranch_execz .LBB360_406
; %bb.401:                              ;   in Loop: Header=BB360_10 Depth=1
	v_cmp_ne_u16_sdwa s1, v10, v84 src0_sel:BYTE_0 src1_sel:DWORD
	v_bfrev_b32_e32 v27, 1
	s_and_saveexec_b32 s31, s1
	s_cbranch_execz .LBB360_405
; %bb.402:                              ;   in Loop: Header=BB360_10 Depth=1
	v_and_b32_e32 v11, 0x7f, v10
	v_mov_b32_e32 v27, 0x7f800001
	s_mov_b32 s33, exec_lo
	v_cmpx_ne_u32_e32 0x7f, v11
	s_cbranch_execz .LBB360_404
; %bb.403:                              ;   in Loop: Header=BB360_10 Depth=1
	v_and_b32_e32 v12, 7, v10
	v_lshrrev_b32_e32 v26, 3, v11
	v_cmp_gt_u32_e64 s1, 8, v11
	v_ffbh_u32_e32 v11, v12
	v_min_u32_e32 v11, 32, v11
	v_subrev_nc_u32_e32 v12, 28, v11
	v_sub_nc_u32_e32 v11, 29, v11
	v_cndmask_b32_e64 v26, v26, v11, s1
	v_cndmask_b32_e64 v11, 0, v12, s1
	v_lshl_add_u32 v26, v26, 23, 0x3c000000
	v_lshlrev_b64 v[11:12], v11, v[1:2]
	v_lshlrev_b32_e32 v12, 24, v1
	v_lshlrev_b32_e32 v11, 20, v11
	v_and_b32_e32 v12, 0x80000000, v12
	v_and_b32_e32 v11, 0x700000, v11
	v_or3_b32 v27, v11, v12, v26
.LBB360_404:                            ;   in Loop: Header=BB360_10 Depth=1
	s_or_b32 exec_lo, exec_lo, s33
.LBB360_405:                            ;   in Loop: Header=BB360_10 Depth=1
	s_or_b32 exec_lo, exec_lo, s31
.LBB360_406:                            ;   in Loop: Header=BB360_10 Depth=1
	s_or_b32 exec_lo, exec_lo, s2
	v_cmp_ne_u16_sdwa s1, v1, v2 src0_sel:BYTE_1 src1_sel:DWORD
	v_mov_b32_e32 v28, 0
	v_mov_b32_e32 v30, 0
	s_and_saveexec_b32 s2, s1
	s_cbranch_execz .LBB360_414
; %bb.407:                              ;   in Loop: Header=BB360_10 Depth=1
	v_cmp_ne_u16_sdwa s1, v1, v84 src0_sel:BYTE_1 src1_sel:DWORD
	v_bfrev_b32_e32 v30, 1
	s_and_saveexec_b32 s31, s1
	s_cbranch_execz .LBB360_413
; %bb.408:                              ;   in Loop: Header=BB360_10 Depth=1
	v_and_b32_sdwa v11, v85, v1 dst_sel:DWORD dst_unused:UNUSED_PAD src0_sel:DWORD src1_sel:BYTE_1
	v_mov_b32_e32 v30, 0x7f800001
	s_mov_b32 s33, exec_lo
	v_and_b32_e32 v29, 0x7f, v11
	v_cmpx_ne_u32_e32 0x7f, v29
	s_cbranch_execz .LBB360_412
; %bb.409:                              ;   in Loop: Header=BB360_10 Depth=1
	v_and_b32_e32 v11, 7, v11
	v_mov_b32_e32 v12, v2
	v_lshrrev_b32_e32 v26, 3, v29
	s_mov_b32 s34, exec_lo
	v_cmpx_gt_u32_e32 8, v29
; %bb.410:                              ;   in Loop: Header=BB360_10 Depth=1
	v_ffbh_u32_e32 v26, v11
	v_min_u32_e32 v26, 32, v26
	v_subrev_nc_u32_e32 v29, 28, v26
	v_sub_nc_u32_e32 v26, 29, v26
	v_lshlrev_b64 v[11:12], v29, v[11:12]
	v_and_b32_e32 v11, 7, v11
; %bb.411:                              ;   in Loop: Header=BB360_10 Depth=1
	s_or_b32 exec_lo, exec_lo, s34
	v_lshlrev_b32_e32 v1, 16, v1
	v_lshlrev_b32_e32 v11, 20, v11
	v_lshl_add_u32 v12, v26, 23, 0x3c000000
	v_and_b32_e32 v1, 0x80000000, v1
	v_or3_b32 v30, v11, v1, v12
.LBB360_412:                            ;   in Loop: Header=BB360_10 Depth=1
	s_or_b32 exec_lo, exec_lo, s33
.LBB360_413:                            ;   in Loop: Header=BB360_10 Depth=1
	s_or_b32 exec_lo, exec_lo, s31
.LBB360_414:                            ;   in Loop: Header=BB360_10 Depth=1
	s_or_b32 exec_lo, exec_lo, s2
	v_and_b32_sdwa v1, v10, v86 dst_sel:DWORD dst_unused:UNUSED_PAD src0_sel:WORD_1 src1_sel:DWORD
	s_mov_b32 s2, exec_lo
	v_cmpx_ne_u16_e32 0, v1
	s_cbranch_execz .LBB360_422
; %bb.415:                              ;   in Loop: Header=BB360_10 Depth=1
	v_bfrev_b32_e32 v28, 1
	s_mov_b32 s31, exec_lo
	v_cmpx_ne_u16_e32 0x80, v1
	s_cbranch_execz .LBB360_421
; %bb.416:                              ;   in Loop: Header=BB360_10 Depth=1
	v_bfe_u32 v12, v10, 16, 7
	v_mov_b32_e32 v28, 0x7f800001
	s_mov_b32 s33, exec_lo
	v_cmpx_ne_u32_e32 0x7f, v12
	s_cbranch_execz .LBB360_420
; %bb.417:                              ;   in Loop: Header=BB360_10 Depth=1
	v_and_b32_sdwa v1, v10, v87 dst_sel:DWORD dst_unused:UNUSED_PAD src0_sel:WORD_1 src1_sel:DWORD
	v_lshrrev_b32_e32 v11, 3, v12
	s_mov_b32 s34, exec_lo
	v_cmpx_gt_u32_e32 8, v12
; %bb.418:                              ;   in Loop: Header=BB360_10 Depth=1
	v_ffbh_u32_e32 v11, v1
	v_min_u32_e32 v11, 32, v11
	v_subrev_nc_u32_e32 v12, 28, v11
	v_sub_nc_u32_e32 v11, 29, v11
	v_lshlrev_b64 v[28:29], v12, v[1:2]
	v_and_b32_e32 v1, 7, v28
; %bb.419:                              ;   in Loop: Header=BB360_10 Depth=1
	s_or_b32 exec_lo, exec_lo, s34
	v_lshlrev_b32_sdwa v12, v88, v10 dst_sel:DWORD dst_unused:UNUSED_PAD src0_sel:DWORD src1_sel:WORD_1
	v_lshlrev_b32_e32 v1, 20, v1
	v_lshl_add_u32 v11, v11, 23, 0x3c000000
	v_and_b32_e32 v12, 0x80000000, v12
	v_or3_b32 v28, v1, v12, v11
.LBB360_420:                            ;   in Loop: Header=BB360_10 Depth=1
	s_or_b32 exec_lo, exec_lo, s33
.LBB360_421:                            ;   in Loop: Header=BB360_10 Depth=1
	s_or_b32 exec_lo, exec_lo, s31
.LBB360_422:                            ;   in Loop: Header=BB360_10 Depth=1
	s_or_b32 exec_lo, exec_lo, s2
	v_mov_b32_e32 v11, 0
	v_mov_b32_e32 v32, 0
	s_mov_b32 s2, exec_lo
	v_cmpx_lt_u64_e64 s[4:5], v[9:10]
	s_cbranch_execz .LBB360_430
; %bb.423:                              ;   in Loop: Header=BB360_10 Depth=1
	v_cmp_ne_u32_sdwa s1, v10, v84 src0_sel:BYTE_3 src1_sel:DWORD
	v_bfrev_b32_e32 v32, 1
	s_and_saveexec_b32 s31, s1
	s_cbranch_execz .LBB360_429
; %bb.424:                              ;   in Loop: Header=BB360_10 Depth=1
	v_bfe_u32 v12, v10, 24, 7
	v_mov_b32_e32 v32, 0x7f800001
	s_mov_b32 s33, exec_lo
	v_cmpx_ne_u32_e32 0x7f, v12
	s_cbranch_execz .LBB360_428
; %bb.425:                              ;   in Loop: Header=BB360_10 Depth=1
	v_and_b32_sdwa v1, v10, v87 dst_sel:DWORD dst_unused:UNUSED_PAD src0_sel:BYTE_3 src1_sel:DWORD
	v_lshrrev_b32_e32 v9, 3, v12
	s_mov_b32 s34, exec_lo
	v_cmpx_gt_u32_e32 8, v12
; %bb.426:                              ;   in Loop: Header=BB360_10 Depth=1
	v_ffbh_u32_e32 v9, v1
	v_min_u32_e32 v9, 32, v9
	v_subrev_nc_u32_e32 v12, 28, v9
	v_sub_nc_u32_e32 v9, 29, v9
	v_lshlrev_b64 v[31:32], v12, v[1:2]
	v_and_b32_e32 v1, 7, v31
; %bb.427:                              ;   in Loop: Header=BB360_10 Depth=1
	s_or_b32 exec_lo, exec_lo, s34
	v_lshlrev_b32_sdwa v10, v88, v10 dst_sel:DWORD dst_unused:UNUSED_PAD src0_sel:DWORD src1_sel:BYTE_3
	v_lshlrev_b32_e32 v1, 20, v1
	v_lshl_add_u32 v9, v9, 23, 0x3c000000
	v_and_b32_e32 v10, 0x80000000, v10
	v_or3_b32 v32, v1, v10, v9
.LBB360_428:                            ;   in Loop: Header=BB360_10 Depth=1
	s_or_b32 exec_lo, exec_lo, s33
.LBB360_429:                            ;   in Loop: Header=BB360_10 Depth=1
	s_or_b32 exec_lo, exec_lo, s31
.LBB360_430:                            ;   in Loop: Header=BB360_10 Depth=1
	s_or_b32 exec_lo, exec_lo, s2
	global_load_dwordx2 v[7:8], v[7:8], off offset:1544
	s_waitcnt vmcnt(0)
	v_cmp_ne_u16_sdwa s1, v7, v2 src0_sel:BYTE_0 src1_sel:DWORD
	s_and_saveexec_b32 s2, s1
	s_cbranch_execz .LBB360_436
; %bb.431:                              ;   in Loop: Header=BB360_10 Depth=1
	v_cmp_ne_u16_sdwa s1, v7, v84 src0_sel:BYTE_0 src1_sel:DWORD
	v_bfrev_b32_e32 v11, 1
	s_and_saveexec_b32 s31, s1
	s_cbranch_execz .LBB360_435
; %bb.432:                              ;   in Loop: Header=BB360_10 Depth=1
	v_and_b32_e32 v1, 0x7f, v7
	v_mov_b32_e32 v11, 0x7f800001
	s_mov_b32 s33, exec_lo
	v_cmpx_ne_u32_e32 0x7f, v1
	s_cbranch_execz .LBB360_434
; %bb.433:                              ;   in Loop: Header=BB360_10 Depth=1
	v_and_b32_e32 v9, 7, v7
	v_lshrrev_b32_e32 v10, 3, v1
	v_cmp_gt_u32_e64 s1, 8, v1
	v_ffbh_u32_e32 v1, v9
	v_min_u32_e32 v1, 32, v1
	v_subrev_nc_u32_e32 v9, 28, v1
	v_sub_nc_u32_e32 v1, 29, v1
	v_cndmask_b32_e64 v9, 0, v9, s1
	v_cndmask_b32_e64 v1, v10, v1, s1
	v_lshlrev_b64 v[9:10], v9, v[7:8]
	v_lshlrev_b32_e32 v10, 24, v7
	v_lshl_add_u32 v1, v1, 23, 0x3c000000
	v_lshlrev_b32_e32 v9, 20, v9
	v_and_b32_e32 v10, 0x80000000, v10
	v_and_b32_e32 v9, 0x700000, v9
	v_or3_b32 v11, v9, v10, v1
.LBB360_434:                            ;   in Loop: Header=BB360_10 Depth=1
	s_or_b32 exec_lo, exec_lo, s33
.LBB360_435:                            ;   in Loop: Header=BB360_10 Depth=1
	s_or_b32 exec_lo, exec_lo, s31
.LBB360_436:                            ;   in Loop: Header=BB360_10 Depth=1
	s_or_b32 exec_lo, exec_lo, s2
	v_cmp_ne_u16_sdwa s1, v7, v2 src0_sel:BYTE_1 src1_sel:DWORD
	v_mov_b32_e32 v26, 0
	v_mov_b32_e32 v12, 0
	s_and_saveexec_b32 s2, s1
	s_cbranch_execz .LBB360_444
; %bb.437:                              ;   in Loop: Header=BB360_10 Depth=1
	v_cmp_ne_u16_sdwa s1, v7, v84 src0_sel:BYTE_1 src1_sel:DWORD
	v_bfrev_b32_e32 v12, 1
	s_and_saveexec_b32 s31, s1
	s_cbranch_execz .LBB360_443
; %bb.438:                              ;   in Loop: Header=BB360_10 Depth=1
	v_and_b32_sdwa v1, v85, v7 dst_sel:DWORD dst_unused:UNUSED_PAD src0_sel:DWORD src1_sel:BYTE_1
	v_mov_b32_e32 v12, 0x7f800001
	s_mov_b32 s33, exec_lo
	v_and_b32_e32 v10, 0x7f, v1
	v_cmpx_ne_u32_e32 0x7f, v10
	s_cbranch_execz .LBB360_442
; %bb.439:                              ;   in Loop: Header=BB360_10 Depth=1
	v_and_b32_e32 v1, 7, v1
	v_lshrrev_b32_e32 v9, 3, v10
	s_mov_b32 s34, exec_lo
	v_cmpx_gt_u32_e32 8, v10
; %bb.440:                              ;   in Loop: Header=BB360_10 Depth=1
	v_ffbh_u32_e32 v9, v1
	v_min_u32_e32 v9, 32, v9
	v_subrev_nc_u32_e32 v10, 28, v9
	v_sub_nc_u32_e32 v9, 29, v9
	v_lshlrev_b64 v[33:34], v10, v[1:2]
	v_and_b32_e32 v1, 7, v33
; %bb.441:                              ;   in Loop: Header=BB360_10 Depth=1
	s_or_b32 exec_lo, exec_lo, s34
	v_lshlrev_b32_e32 v10, 16, v7
	v_lshlrev_b32_e32 v1, 20, v1
	v_lshl_add_u32 v9, v9, 23, 0x3c000000
	v_and_b32_e32 v10, 0x80000000, v10
	v_or3_b32 v12, v1, v10, v9
.LBB360_442:                            ;   in Loop: Header=BB360_10 Depth=1
	s_or_b32 exec_lo, exec_lo, s33
.LBB360_443:                            ;   in Loop: Header=BB360_10 Depth=1
	s_or_b32 exec_lo, exec_lo, s31
.LBB360_444:                            ;   in Loop: Header=BB360_10 Depth=1
	s_or_b32 exec_lo, exec_lo, s2
	v_and_b32_sdwa v1, v7, v86 dst_sel:DWORD dst_unused:UNUSED_PAD src0_sel:WORD_1 src1_sel:DWORD
	s_mov_b32 s2, exec_lo
	v_cmpx_ne_u16_e32 0, v1
	s_cbranch_execz .LBB360_452
; %bb.445:                              ;   in Loop: Header=BB360_10 Depth=1
	v_bfrev_b32_e32 v26, 1
	s_mov_b32 s31, exec_lo
	v_cmpx_ne_u16_e32 0x80, v1
	s_cbranch_execz .LBB360_451
; %bb.446:                              ;   in Loop: Header=BB360_10 Depth=1
	v_bfe_u32 v10, v7, 16, 7
	v_mov_b32_e32 v26, 0x7f800001
	s_mov_b32 s33, exec_lo
	v_cmpx_ne_u32_e32 0x7f, v10
	s_cbranch_execz .LBB360_450
; %bb.447:                              ;   in Loop: Header=BB360_10 Depth=1
	v_and_b32_sdwa v1, v7, v87 dst_sel:DWORD dst_unused:UNUSED_PAD src0_sel:WORD_1 src1_sel:DWORD
	v_lshrrev_b32_e32 v9, 3, v10
	s_mov_b32 s34, exec_lo
	v_cmpx_gt_u32_e32 8, v10
; %bb.448:                              ;   in Loop: Header=BB360_10 Depth=1
	v_ffbh_u32_e32 v9, v1
	v_min_u32_e32 v9, 32, v9
	v_subrev_nc_u32_e32 v10, 28, v9
	v_sub_nc_u32_e32 v9, 29, v9
	v_lshlrev_b64 v[33:34], v10, v[1:2]
	v_and_b32_e32 v1, 7, v33
; %bb.449:                              ;   in Loop: Header=BB360_10 Depth=1
	s_or_b32 exec_lo, exec_lo, s34
	v_lshlrev_b32_sdwa v10, v88, v7 dst_sel:DWORD dst_unused:UNUSED_PAD src0_sel:DWORD src1_sel:WORD_1
	v_lshlrev_b32_e32 v1, 20, v1
	v_lshl_add_u32 v9, v9, 23, 0x3c000000
	v_and_b32_e32 v10, 0x80000000, v10
	v_or3_b32 v26, v1, v10, v9
.LBB360_450:                            ;   in Loop: Header=BB360_10 Depth=1
	s_or_b32 exec_lo, exec_lo, s33
.LBB360_451:                            ;   in Loop: Header=BB360_10 Depth=1
	s_or_b32 exec_lo, exec_lo, s31
.LBB360_452:                            ;   in Loop: Header=BB360_10 Depth=1
	s_or_b32 exec_lo, exec_lo, s2
	v_mov_b32_e32 v31, 0
	v_mov_b32_e32 v29, 0
	s_mov_b32 s2, exec_lo
	v_cmpx_lt_u32_e32 0xffffff, v7
	s_cbranch_execz .LBB360_460
; %bb.453:                              ;   in Loop: Header=BB360_10 Depth=1
	v_cmp_ne_u32_sdwa s1, v7, v84 src0_sel:BYTE_3 src1_sel:DWORD
	v_bfrev_b32_e32 v29, 1
	s_and_saveexec_b32 s31, s1
	s_cbranch_execz .LBB360_459
; %bb.454:                              ;   in Loop: Header=BB360_10 Depth=1
	v_bfe_u32 v10, v7, 24, 7
	v_mov_b32_e32 v29, 0x7f800001
	s_mov_b32 s33, exec_lo
	v_cmpx_ne_u32_e32 0x7f, v10
	s_cbranch_execz .LBB360_458
; %bb.455:                              ;   in Loop: Header=BB360_10 Depth=1
	v_and_b32_sdwa v1, v7, v87 dst_sel:DWORD dst_unused:UNUSED_PAD src0_sel:BYTE_3 src1_sel:DWORD
	v_lshrrev_b32_e32 v9, 3, v10
	s_mov_b32 s34, exec_lo
	v_cmpx_gt_u32_e32 8, v10
; %bb.456:                              ;   in Loop: Header=BB360_10 Depth=1
	v_ffbh_u32_e32 v9, v1
	v_min_u32_e32 v9, 32, v9
	v_subrev_nc_u32_e32 v10, 28, v9
	v_sub_nc_u32_e32 v9, 29, v9
	v_lshlrev_b64 v[33:34], v10, v[1:2]
	v_and_b32_e32 v1, 7, v33
; %bb.457:                              ;   in Loop: Header=BB360_10 Depth=1
	s_or_b32 exec_lo, exec_lo, s34
	v_lshlrev_b32_sdwa v10, v88, v7 dst_sel:DWORD dst_unused:UNUSED_PAD src0_sel:DWORD src1_sel:BYTE_3
	v_lshlrev_b32_e32 v1, 20, v1
	v_lshl_add_u32 v9, v9, 23, 0x3c000000
	v_and_b32_e32 v10, 0x80000000, v10
	v_or3_b32 v29, v1, v10, v9
.LBB360_458:                            ;   in Loop: Header=BB360_10 Depth=1
	s_or_b32 exec_lo, exec_lo, s33
.LBB360_459:                            ;   in Loop: Header=BB360_10 Depth=1
	s_or_b32 exec_lo, exec_lo, s31
.LBB360_460:                            ;   in Loop: Header=BB360_10 Depth=1
	s_or_b32 exec_lo, exec_lo, s2
	v_mov_b32_e32 v1, v8
	v_cmp_ne_u16_sdwa s1, v8, v2 src0_sel:BYTE_0 src1_sel:DWORD
	s_and_saveexec_b32 s2, s1
	s_cbranch_execz .LBB360_466
; %bb.461:                              ;   in Loop: Header=BB360_10 Depth=1
	v_cmp_ne_u16_sdwa s1, v8, v84 src0_sel:BYTE_0 src1_sel:DWORD
	v_bfrev_b32_e32 v31, 1
	s_and_saveexec_b32 s31, s1
	s_cbranch_execz .LBB360_465
; %bb.462:                              ;   in Loop: Header=BB360_10 Depth=1
	v_and_b32_e32 v9, 0x7f, v8
	v_mov_b32_e32 v31, 0x7f800001
	s_mov_b32 s33, exec_lo
	v_cmpx_ne_u32_e32 0x7f, v9
	s_cbranch_execz .LBB360_464
; %bb.463:                              ;   in Loop: Header=BB360_10 Depth=1
	v_and_b32_e32 v10, 7, v8
	v_lshrrev_b32_e32 v31, 3, v9
	v_cmp_gt_u32_e64 s1, 8, v9
	v_ffbh_u32_e32 v9, v10
	v_min_u32_e32 v9, 32, v9
	v_subrev_nc_u32_e32 v10, 28, v9
	v_sub_nc_u32_e32 v9, 29, v9
	v_cndmask_b32_e64 v31, v31, v9, s1
	v_cndmask_b32_e64 v9, 0, v10, s1
	v_lshl_add_u32 v31, v31, 23, 0x3c000000
	v_lshlrev_b64 v[9:10], v9, v[1:2]
	v_lshlrev_b32_e32 v10, 24, v1
	v_lshlrev_b32_e32 v9, 20, v9
	v_and_b32_e32 v10, 0x80000000, v10
	v_and_b32_e32 v9, 0x700000, v9
	v_or3_b32 v31, v9, v10, v31
.LBB360_464:                            ;   in Loop: Header=BB360_10 Depth=1
	s_or_b32 exec_lo, exec_lo, s33
.LBB360_465:                            ;   in Loop: Header=BB360_10 Depth=1
	s_or_b32 exec_lo, exec_lo, s31
.LBB360_466:                            ;   in Loop: Header=BB360_10 Depth=1
	s_or_b32 exec_lo, exec_lo, s2
	v_cmp_ne_u16_sdwa s1, v1, v2 src0_sel:BYTE_1 src1_sel:DWORD
	v_mov_b32_e32 v33, 0
	v_mov_b32_e32 v34, 0
	s_and_saveexec_b32 s2, s1
	s_cbranch_execz .LBB360_474
; %bb.467:                              ;   in Loop: Header=BB360_10 Depth=1
	v_cmp_ne_u16_sdwa s1, v1, v84 src0_sel:BYTE_1 src1_sel:DWORD
	v_bfrev_b32_e32 v34, 1
	s_and_saveexec_b32 s31, s1
	s_cbranch_execz .LBB360_473
; %bb.468:                              ;   in Loop: Header=BB360_10 Depth=1
	v_and_b32_sdwa v9, v85, v1 dst_sel:DWORD dst_unused:UNUSED_PAD src0_sel:DWORD src1_sel:BYTE_1
	v_mov_b32_e32 v34, 0x7f800001
	s_mov_b32 s33, exec_lo
	v_and_b32_e32 v35, 0x7f, v9
	v_cmpx_ne_u32_e32 0x7f, v35
	s_cbranch_execz .LBB360_472
; %bb.469:                              ;   in Loop: Header=BB360_10 Depth=1
	v_and_b32_e32 v9, 7, v9
	v_mov_b32_e32 v10, v2
	v_lshrrev_b32_e32 v34, 3, v35
	s_mov_b32 s34, exec_lo
	v_cmpx_gt_u32_e32 8, v35
; %bb.470:                              ;   in Loop: Header=BB360_10 Depth=1
	v_ffbh_u32_e32 v34, v9
	v_min_u32_e32 v34, 32, v34
	v_subrev_nc_u32_e32 v35, 28, v34
	v_sub_nc_u32_e32 v34, 29, v34
	v_lshlrev_b64 v[9:10], v35, v[9:10]
	v_and_b32_e32 v9, 7, v9
; %bb.471:                              ;   in Loop: Header=BB360_10 Depth=1
	s_or_b32 exec_lo, exec_lo, s34
	v_lshlrev_b32_e32 v1, 16, v1
	v_lshlrev_b32_e32 v9, 20, v9
	v_lshl_add_u32 v10, v34, 23, 0x3c000000
	v_and_b32_e32 v1, 0x80000000, v1
	v_or3_b32 v34, v9, v1, v10
.LBB360_472:                            ;   in Loop: Header=BB360_10 Depth=1
	s_or_b32 exec_lo, exec_lo, s33
.LBB360_473:                            ;   in Loop: Header=BB360_10 Depth=1
	s_or_b32 exec_lo, exec_lo, s31
.LBB360_474:                            ;   in Loop: Header=BB360_10 Depth=1
	s_or_b32 exec_lo, exec_lo, s2
	v_and_b32_sdwa v1, v8, v86 dst_sel:DWORD dst_unused:UNUSED_PAD src0_sel:WORD_1 src1_sel:DWORD
	s_mov_b32 s2, exec_lo
	v_cmpx_ne_u16_e32 0, v1
	s_cbranch_execz .LBB360_482
; %bb.475:                              ;   in Loop: Header=BB360_10 Depth=1
	v_bfrev_b32_e32 v33, 1
	s_mov_b32 s31, exec_lo
	v_cmpx_ne_u16_e32 0x80, v1
	s_cbranch_execz .LBB360_481
; %bb.476:                              ;   in Loop: Header=BB360_10 Depth=1
	v_bfe_u32 v10, v8, 16, 7
	v_mov_b32_e32 v33, 0x7f800001
	s_mov_b32 s33, exec_lo
	v_cmpx_ne_u32_e32 0x7f, v10
	s_cbranch_execz .LBB360_480
; %bb.477:                              ;   in Loop: Header=BB360_10 Depth=1
	v_and_b32_sdwa v1, v8, v87 dst_sel:DWORD dst_unused:UNUSED_PAD src0_sel:WORD_1 src1_sel:DWORD
	v_lshrrev_b32_e32 v9, 3, v10
	s_mov_b32 s34, exec_lo
	v_cmpx_gt_u32_e32 8, v10
; %bb.478:                              ;   in Loop: Header=BB360_10 Depth=1
	v_ffbh_u32_e32 v9, v1
	v_min_u32_e32 v9, 32, v9
	v_subrev_nc_u32_e32 v10, 28, v9
	v_sub_nc_u32_e32 v9, 29, v9
	v_lshlrev_b64 v[35:36], v10, v[1:2]
	v_and_b32_e32 v1, 7, v35
; %bb.479:                              ;   in Loop: Header=BB360_10 Depth=1
	s_or_b32 exec_lo, exec_lo, s34
	v_lshlrev_b32_sdwa v10, v88, v8 dst_sel:DWORD dst_unused:UNUSED_PAD src0_sel:DWORD src1_sel:WORD_1
	v_lshlrev_b32_e32 v1, 20, v1
	v_lshl_add_u32 v9, v9, 23, 0x3c000000
	v_and_b32_e32 v10, 0x80000000, v10
	v_or3_b32 v33, v1, v10, v9
.LBB360_480:                            ;   in Loop: Header=BB360_10 Depth=1
	s_or_b32 exec_lo, exec_lo, s33
.LBB360_481:                            ;   in Loop: Header=BB360_10 Depth=1
	s_or_b32 exec_lo, exec_lo, s31
.LBB360_482:                            ;   in Loop: Header=BB360_10 Depth=1
	s_or_b32 exec_lo, exec_lo, s2
	v_mov_b32_e32 v35, 0
	s_mov_b32 s2, exec_lo
	v_cmpx_lt_u64_e64 s[4:5], v[7:8]
	s_cbranch_execz .LBB360_9
; %bb.483:                              ;   in Loop: Header=BB360_10 Depth=1
	v_cmp_ne_u32_sdwa s1, v8, v84 src0_sel:BYTE_3 src1_sel:DWORD
	v_bfrev_b32_e32 v35, 1
	s_and_saveexec_b32 s31, s1
	s_cbranch_execz .LBB360_8
; %bb.484:                              ;   in Loop: Header=BB360_10 Depth=1
	v_bfe_u32 v9, v8, 24, 7
	v_mov_b32_e32 v35, 0x7f800001
	s_mov_b32 s33, exec_lo
	v_cmpx_ne_u32_e32 0x7f, v9
	s_cbranch_execz .LBB360_7
; %bb.485:                              ;   in Loop: Header=BB360_10 Depth=1
	v_and_b32_sdwa v1, v8, v87 dst_sel:DWORD dst_unused:UNUSED_PAD src0_sel:BYTE_3 src1_sel:DWORD
	v_lshrrev_b32_e32 v7, 3, v9
	s_mov_b32 s34, exec_lo
	v_cmpx_gt_u32_e32 8, v9
	s_cbranch_execz .LBB360_6
; %bb.486:                              ;   in Loop: Header=BB360_10 Depth=1
	v_ffbh_u32_e32 v7, v1
	v_min_u32_e32 v7, 32, v7
	v_subrev_nc_u32_e32 v9, 28, v7
	v_sub_nc_u32_e32 v7, 29, v7
	v_lshlrev_b64 v[9:10], v9, v[1:2]
	v_and_b32_e32 v1, 7, v9
	s_branch .LBB360_6
.LBB360_487:
	s_or_b32 exec_lo, exec_lo, s30
	s_clause 0x4
	buffer_load_dword v22, off, s[36:39], 0 offset:80
	buffer_load_dword v89, off, s[36:39], 0 offset:84
	;; [unrolled: 1-line block ×5, first 2 shown]
.LBB360_488:
	s_or_b32 exec_lo, exec_lo, s15
	v_mbcnt_lo_u32_b32 v1, -1, 0
	v_max_f32_e32 v4, v81, v81
	v_xor_b32_e32 v0, 16, v1
	v_xor_b32_e32 v3, 8, v1
	v_cmp_gt_i32_e32 vcc_lo, 32, v0
	v_cndmask_b32_e32 v0, v1, v0, vcc_lo
	v_cmp_gt_i32_e32 vcc_lo, 32, v3
	v_lshlrev_b32_e32 v0, 2, v0
	v_cndmask_b32_e32 v3, v1, v3, vcc_lo
	ds_bpermute_b32 v2, v0, v81
	s_waitcnt lgkmcnt(0)
	v_max_f32_e32 v5, v2, v2
	v_lshlrev_b32_e32 v2, 2, v3
	v_max_f32_e32 v4, v4, v5
	v_xor_b32_e32 v5, 4, v1
	ds_bpermute_b32 v3, v2, v4
	v_cmp_gt_i32_e32 vcc_lo, 32, v5
	v_cndmask_b32_e32 v5, v1, v5, vcc_lo
	s_waitcnt lgkmcnt(0)
	v_max_f32_e32 v6, v3, v3
	v_lshlrev_b32_e32 v3, 2, v5
	v_max_f32_e32 v4, v4, v6
	v_xor_b32_e32 v6, 2, v1
	ds_bpermute_b32 v5, v3, v4
	v_cmp_gt_i32_e32 vcc_lo, 32, v6
	v_cndmask_b32_e32 v6, v1, v6, vcc_lo
	v_lshlrev_b32_e32 v24, 2, v6
	v_xor_b32_e32 v6, 1, v1
	v_cmp_gt_i32_e32 vcc_lo, 32, v6
	s_waitcnt lgkmcnt(0)
	v_max_f32_e32 v5, v5, v5
	v_cndmask_b32_e32 v6, v1, v6, vcc_lo
	s_waitcnt vmcnt(2)
	v_cmp_eq_u32_e32 vcc_lo, 0, v112
	v_max_f32_e32 v4, v4, v5
	v_lshlrev_b32_e32 v23, 2, v6
	ds_bpermute_b32 v5, v24, v4
	s_waitcnt lgkmcnt(0)
	v_max_f32_e32 v5, v5, v5
	v_max_f32_e32 v1, v4, v5
	v_lshlrev_b32_e32 v4, 2, v89
	ds_bpermute_b32 v5, v23, v1
	s_and_saveexec_b32 s1, vcc_lo
	s_cbranch_execz .LBB360_490
; %bb.489:
	s_waitcnt lgkmcnt(0)
	v_max_f32_e32 v5, v5, v5
	v_max_f32_e32 v1, v1, v1
	v_max_f32_e32 v1, v1, v5
	ds_write_b32 v4, v1 offset:128
.LBB360_490:
	s_or_b32 exec_lo, exec_lo, s1
	v_cmp_gt_u32_e64 s1, 4, v112
	v_mov_b32_e32 v1, 0xff7fffff
	s_waitcnt vmcnt(0) lgkmcnt(0)
	s_waitcnt_vscnt null, 0x0
	s_barrier
	buffer_gl0_inv
	s_and_saveexec_b32 s2, s1
; %bb.491:
	ds_read_b32 v1, v25 offset:128
; %bb.492:
	s_or_b32 exec_lo, exec_lo, s2
	s_waitcnt lgkmcnt(0)
	ds_bpermute_b32 v5, v24, v1
	v_max_f32_e32 v1, v1, v1
	s_lshl_b32 s2, s12, 5
	s_min_i32 s4, s2, s11
	v_cmp_gt_i32_e64 s2, s4, v22
	s_waitcnt lgkmcnt(0)
	v_max_f32_e32 v5, v5, v5
	v_max_f32_e32 v1, v1, v5
	ds_bpermute_b32 v5, v23, v1
	s_waitcnt lgkmcnt(0)
	v_max_f32_e32 v5, v5, v5
	v_max_f32_e32 v1, v1, v5
	v_mov_b32_e32 v5, 0
	ds_bpermute_b32 v6, v5, v1
	v_lshl_add_u32 v1, v22, 2, 0xa0
	s_and_saveexec_b32 s5, s2
	s_cbranch_execz .LBB360_496
; %bb.493:
	v_lshl_add_u32 v7, v22, 2, 0xa0
	v_mov_b32_e32 v5, 0
	v_mov_b32_e32 v8, v22
	s_mov_b32 s15, 0
	.p2align	6
.LBB360_494:                            ; =>This Inner Loop Header: Depth=1
	ds_read_b32 v9, v7
	v_add_nc_u32_e32 v8, 0x80, v8
	v_cmp_le_i32_e64 s3, s4, v8
	s_or_b32 s15, s3, s15
	s_waitcnt lgkmcnt(0)
	v_sub_f32_e32 v9, v9, v6
	v_mul_f32_e32 v9, 0x3fb8aa3b, v9
	v_exp_f32_e32 v9, v9
	ds_write_b32 v7, v9
	v_add_f32_e32 v5, v5, v9
	v_add_nc_u32_e32 v7, 0x200, v7
	s_andn2_b32 exec_lo, exec_lo, s15
	s_cbranch_execnz .LBB360_494
; %bb.495:
	s_or_b32 exec_lo, exec_lo, s15
.LBB360_496:
	s_or_b32 exec_lo, exec_lo, s5
	ds_bpermute_b32 v0, v0, v5
	s_waitcnt lgkmcnt(0)
	v_add_f32_e32 v0, v5, v0
	ds_bpermute_b32 v2, v2, v0
	s_waitcnt lgkmcnt(0)
	v_add_f32_e32 v0, v0, v2
	;; [unrolled: 3-line block ×5, first 2 shown]
	s_and_saveexec_b32 s3, vcc_lo
; %bb.497:
	ds_write_b32 v4, v0 offset:144
; %bb.498:
	s_or_b32 exec_lo, exec_lo, s3
	s_waitcnt lgkmcnt(0)
	s_barrier
	buffer_gl0_inv
	s_and_saveexec_b32 s3, s1
; %bb.499:
	ds_read_b32 v0, v25 offset:144
; %bb.500:
	s_or_b32 exec_lo, exec_lo, s3
	s_waitcnt lgkmcnt(0)
	ds_bpermute_b32 v2, v24, v0
	s_waitcnt lgkmcnt(0)
	v_add_f32_e32 v0, v0, v2
	ds_bpermute_b32 v2, v23, v0
	s_waitcnt lgkmcnt(0)
	v_add_f32_e32 v0, v0, v2
	v_mov_b32_e32 v2, 0
	ds_bpermute_b32 v0, v2, v0
	s_and_saveexec_b32 s1, s2
	s_cbranch_execz .LBB360_503
; %bb.501:
	s_waitcnt lgkmcnt(0)
	v_add_f32_e32 v0, 0x358637bd, v0
	s_mov_b32 s2, 0
	v_div_scale_f32 v2, null, v0, v0, 1.0
	v_div_scale_f32 v5, vcc_lo, 1.0, v0, 1.0
	v_rcp_f32_e32 v3, v2
	v_fma_f32 v4, -v2, v3, 1.0
	v_fmac_f32_e32 v3, v4, v3
	v_mul_f32_e32 v4, v5, v3
	v_fma_f32 v6, -v2, v4, v5
	v_fmac_f32_e32 v4, v6, v3
	v_fma_f32 v2, -v2, v4, v5
	v_div_fmas_f32 v2, v2, v3, v4
	v_div_fixup_f32 v0, v2, v0, 1.0
	v_mov_b32_e32 v2, v22
.LBB360_502:                            ; =>This Inner Loop Header: Depth=1
	ds_read_b32 v3, v1
	v_add_nc_u32_e32 v2, 0x80, v2
	v_cmp_le_i32_e32 vcc_lo, s4, v2
	s_or_b32 s2, vcc_lo, s2
	s_waitcnt lgkmcnt(0)
	v_mul_f32_e32 v3, v0, v3
	ds_write_b32 v1, v3
	v_add_nc_u32_e32 v1, 0x200, v1
	s_andn2_b32 exec_lo, exec_lo, s2
	s_cbranch_execnz .LBB360_502
.LBB360_503:
	s_or_b32 exec_lo, exec_lo, s1
	v_mov_b32_e32 v31, 0
	v_and_b32_e32 v25, 3, v22
	v_mov_b32_e32 v33, 0
	v_mov_b32_e32 v32, 0
	;; [unrolled: 1-line block ×7, first 2 shown]
	s_waitcnt lgkmcnt(0)
	s_barrier
	buffer_gl0_inv
	s_and_saveexec_b32 s1, s0
	s_cbranch_execz .LBB360_1003
; %bb.504:
	v_lshlrev_b32_e32 v0, 3, v22
	s_load_dword s5, s[18:19], 0x0
	s_ashr_i32 s0, s14, 31
	s_add_u32 s2, s24, s14
	v_lshlrev_b32_e32 v2, 5, v25
	v_and_b32_e32 v1, 24, v0
	v_and_b32_e32 v0, 0xf8, v0
	s_addc_u32 s0, s25, s0
	s_mov_b32 s4, s13
	s_add_i32 s13, s12, -1
	v_lshlrev_b32_e32 v3, 5, v89
	v_add_co_u32 v11, s2, s2, v0
	v_and_b32_e32 v0, 0x7c, v35
	v_add_co_ci_u32_e64 v12, null, s0, 0, s2
	s_lshl_b64 s[2:3], s[26:27], 2
	v_lshl_or_b32 v2, v89, 7, v2
	s_add_u32 s0, s22, s2
	s_addc_u32 s2, s23, s3
	v_add_co_u32 v13, s0, s0, v0
	v_mov_b32_e32 v110, v22
	v_mov_b32_e32 v10, 0
	v_or3_b32 v34, v3, v1, 7
	v_add_nc_u32_e32 v35, 0xa0, v2
	v_add_co_ci_u32_e64 v14, null, s2, 0, s0
	v_mov_b32_e32 v36, 0x80
	v_mov_b32_e32 v37, 0xffff
	;; [unrolled: 1-line block ×15, first 2 shown]
	s_mov_b32 s2, -1
	s_mov_b32 s3, 0xffffff
	s_mov_b32 s14, 0
	s_branch .LBB360_506
.LBB360_505:                            ;   in Loop: Header=BB360_506 Depth=1
	s_or_b32 exec_lo, exec_lo, s0
	v_bfe_u32 v50, v5, 16, 1
	v_bfe_u32 v56, v6, 16, 1
	v_or_b32_e32 v57, 0x400000, v5
	v_cmp_u_f32_e32 vcc_lo, v5, v5
	v_or_b32_e32 v58, 0x400000, v6
	v_add3_u32 v50, v50, v5, 0x7fff
	v_bfe_u32 v59, v7, 16, 1
	v_add3_u32 v56, v56, v6, 0x7fff
	v_bfe_u32 v60, v8, 16, 1
	v_lshlrev_b32_e32 v20, 16, v20
	v_cndmask_b32_e32 v5, v50, v57, vcc_lo
	v_cmp_u_f32_e32 vcc_lo, v6, v6
	v_add3_u32 v50, v59, v7, 0x7fff
	v_bfe_u32 v57, v1, 16, 1
	v_or_b32_e32 v59, 0x400000, v8
	v_and_b32_e32 v5, 0xffff0000, v5
	v_cndmask_b32_e32 v6, v56, v58, vcc_lo
	v_or_b32_e32 v56, 0x400000, v7
	v_cmp_u_f32_e32 vcc_lo, v7, v7
	v_add3_u32 v58, v60, v8, 0x7fff
	v_lshlrev_b32_e32 v91, 16, v91
	v_lshlrev_b32_e32 v21, 16, v21
	v_lshlrev_b32_e32 v0, 16, v0
	v_cndmask_b32_e32 v7, v50, v56, vcc_lo
	v_cmp_u_f32_e32 vcc_lo, v8, v8
	v_add3_u32 v50, v57, v1, 0x7fff
	v_or_b32_e32 v56, 0x400000, v1
	v_bfe_u32 v57, v2, 16, 1
	v_lshlrev_b32_e32 v22, 16, v22
	v_cndmask_b32_e32 v8, v58, v59, vcc_lo
	v_cmp_u_f32_e32 vcc_lo, v1, v1
	v_and_b32_e32 v1, 0xffff0000, v6
	v_lshlrev_b32_e32 v6, 16, v102
	v_add3_u32 v57, v57, v2, 0x7fff
	v_or_b32_e32 v58, 0x400000, v2
	v_cndmask_b32_e32 v50, v50, v56, vcc_lo
	v_bfe_u32 v56, v3, 16, 1
	v_cmp_u_f32_e32 vcc_lo, v2, v2
	v_or_b32_e32 v59, 0x400000, v3
	v_mul_f32_e32 v6, v1, v6
	v_lshlrev_b32_e32 v90, 16, v90
	v_add3_u32 v56, v56, v3, 0x7fff
	v_cndmask_b32_e32 v2, v57, v58, vcc_lo
	v_bfe_u32 v57, v4, 16, 1
	v_cmp_u_f32_e32 vcc_lo, v3, v3
	v_bfe_u32 v3, v6, 16, 1
	v_lshlrev_b32_e32 v58, 16, v101
	v_or_b32_e32 v61, 0x400000, v6
	v_add3_u32 v57, v57, v4, 0x7fff
	v_cndmask_b32_e32 v56, v56, v59, vcc_lo
	v_or_b32_e32 v59, 0x400000, v4
	v_cmp_u_f32_e32 vcc_lo, v4, v4
	v_add3_u32 v60, v3, v6, 0x7fff
	v_mul_f32_e32 v58, v5, v58
	v_and_b32_e32 v3, 0xffff0000, v8
	v_lshlrev_b32_e32 v8, 16, v99
	v_cndmask_b32_e32 v4, v57, v59, vcc_lo
	v_cmp_u_f32_e32 vcc_lo, v6, v6
	v_bfe_u32 v59, v58, 16, 1
	v_and_b32_e32 v6, 0xffff0000, v7
	v_lshlrev_b32_e32 v7, 16, v100
	v_and_b32_e32 v2, 0xffff0000, v2
	v_cndmask_b32_e32 v57, v60, v61, vcc_lo
	v_mul_f32_e32 v60, v3, v8
	v_lshlrev_b32_e32 v8, 16, v95
	v_add3_u32 v59, v59, v58, 0x7fff
	v_or_b32_e32 v61, 0x400000, v58
	v_mul_f32_e32 v7, v6, v7
	v_bfe_u32 v95, v60, 16, 1
	v_cmp_u_f32_e32 vcc_lo, v58, v58
	v_mul_f32_e32 v99, v2, v8
	v_and_b32_e32 v8, 0xffff0000, v50
	v_and_b32_e32 v4, 0xffff0000, v4
	;; [unrolled: 1-line block ×3, first 2 shown]
	v_cndmask_b32_e32 v58, v59, v61, vcc_lo
	v_add3_u32 v59, v95, v60, 0x7fff
	v_or_b32_e32 v61, 0x400000, v60
	v_bfe_u32 v95, v7, 16, 1
	v_cmp_u_f32_e32 vcc_lo, v60, v60
	v_bfe_u32 v100, v99, 16, 1
	v_or_b32_e32 v60, 0x400000, v7
	v_mul_f32_e32 v20, v8, v20
	v_and_b32_e32 v58, 0xffff0000, v58
	v_cndmask_b32_e32 v50, v59, v61, vcc_lo
	v_add3_u32 v59, v95, v7, 0x7fff
	v_cmp_u_f32_e32 vcc_lo, v7, v7
	v_add3_u32 v61, v100, v99, 0x7fff
	v_lshlrev_b32_e32 v95, 16, v98
	v_or_b32_e32 v98, 0x400000, v99
	v_bfe_u32 v100, v20, 16, 1
	v_cndmask_b32_e32 v59, v59, v60, vcc_lo
	v_cmp_u_f32_e32 vcc_lo, v99, v99
	v_mul_f32_e32 v60, v4, v95
	v_and_b32_e32 v7, 0xffff0000, v56
	v_add3_u32 v95, v100, v20, 0x7fff
	v_lshlrev_b32_e32 v56, 16, v97
	v_cndmask_b32_e32 v61, v61, v98, vcc_lo
	v_or_b32_e32 v98, 0x400000, v20
	v_cmp_u_f32_e32 vcc_lo, v20, v20
	v_bfe_u32 v99, v60, 16, 1
	v_and_b32_e32 v59, 0xffff0000, v59
	v_and_b32_e32 v50, 0xffff0000, v50
	v_or_b32_e32 v97, 0x400000, v60
	v_cndmask_b32_e32 v20, v95, v98, vcc_lo
	v_add3_u32 v95, v99, v60, 0x7fff
	v_mul_f32_e32 v56, v7, v56
	v_cmp_u_f32_e32 vcc_lo, v60, v60
	v_add_f32_e32 v57, v58, v57
	v_add_f32_e32 v50, v59, v50
	v_and_b32_e32 v20, 0xffff0000, v20
	v_lshlrev_b32_e32 v58, 16, v93
	v_and_b32_e32 v59, 0xffff0000, v61
	v_cndmask_b32_e32 v60, v95, v97, vcc_lo
	v_bfe_u32 v95, v56, 16, 1
	v_add_f32_e32 v50, v50, v57
	v_mul_f32_e32 v57, v1, v58
	v_add_f32_e32 v20, v20, v59
	v_lshlrev_b32_e32 v58, 16, v92
	v_add3_u32 v61, v95, v56, 0x7fff
	v_or_b32_e32 v93, 0x400000, v56
	v_cmp_u_f32_e32 vcc_lo, v56, v56
	v_bfe_u32 v59, v57, 16, 1
	v_add_f32_e32 v20, v20, v50
	v_mul_f32_e32 v50, v5, v58
	v_lshlrev_b32_e32 v58, 16, v89
	v_cndmask_b32_e32 v56, v61, v93, vcc_lo
	v_add3_u32 v59, v59, v57, 0x7fff
	v_or_b32_e32 v61, 0x400000, v57
	v_bfe_u32 v89, v50, 16, 1
	v_mul_f32_e32 v58, v3, v58
	v_cmp_u_f32_e32 vcc_lo, v57, v57
	v_mul_f32_e32 v91, v6, v91
	v_mul_f32_e32 v21, v2, v21
	;; [unrolled: 1-line block ×4, first 2 shown]
	v_cndmask_b32_e32 v57, v59, v61, vcc_lo
	v_add3_u32 v59, v89, v50, 0x7fff
	v_or_b32_e32 v61, 0x400000, v50
	v_bfe_u32 v89, v58, 16, 1
	v_cmp_u_f32_e32 vcc_lo, v50, v50
	v_mul_f32_e32 v90, v4, v90
	v_or_b32_e32 v92, 0x400000, v0
	v_bfe_u32 v95, v22, 16, 1
	v_and_b32_e32 v57, 0xffff0000, v57
	v_cndmask_b32_e32 v50, v59, v61, vcc_lo
	v_add3_u32 v59, v89, v58, 0x7fff
	v_or_b32_e32 v61, 0x400000, v58
	v_bfe_u32 v89, v91, 16, 1
	v_cmp_u_f32_e32 vcc_lo, v58, v58
	v_bfe_u32 v93, v90, 16, 1
	v_and_b32_e32 v50, 0xffff0000, v50
	v_and_b32_e32 v56, 0xffff0000, v56
	v_lshlrev_b32_e32 v54, 16, v54
	v_cndmask_b32_e32 v58, v59, v61, vcc_lo
	v_add3_u32 v59, v89, v91, 0x7fff
	v_or_b32_e32 v61, 0x400000, v91
	v_bfe_u32 v89, v21, 16, 1
	v_cmp_u_f32_e32 vcc_lo, v91, v91
	v_or_b32_e32 v91, 0x400000, v21
	v_and_b32_e32 v58, 0xffff0000, v58
	v_add_f32_e32 v50, v50, v57
	v_add3_u32 v89, v89, v21, 0x7fff
	v_cndmask_b32_e32 v59, v59, v61, vcc_lo
	v_bfe_u32 v61, v0, 16, 1
	v_cmp_u_f32_e32 vcc_lo, v21, v21
	v_lshlrev_b32_e32 v51, 16, v51
	v_lshlrev_b32_e32 v52, 16, v52
	v_and_b32_e32 v59, 0xffff0000, v59
	v_add3_u32 v61, v61, v0, 0x7fff
	v_cndmask_b32_e32 v21, v89, v91, vcc_lo
	v_cmp_u_f32_e32 vcc_lo, v0, v0
	v_add3_u32 v89, v95, v22, 0x7fff
	v_or_b32_e32 v91, 0x400000, v22
	v_add_f32_e32 v57, v59, v58
	v_and_b32_e32 v21, 0xffff0000, v21
	v_cndmask_b32_e32 v0, v61, v92, vcc_lo
	v_cmp_u_f32_e32 vcc_lo, v22, v22
	v_add3_u32 v61, v93, v90, 0x7fff
	v_or_b32_e32 v92, 0x400000, v90
	v_and_b32_e32 v59, 0xffff0000, v60
	v_and_b32_e32 v0, 0xffff0000, v0
	v_cndmask_b32_e32 v22, v89, v91, vcc_lo
	v_cmp_u_f32_e32 vcc_lo, v90, v90
	v_add_f32_e32 v50, v57, v50
	v_lshlrev_b32_e32 v57, 16, v88
	v_add_f32_e32 v0, v0, v21
	v_and_b32_e32 v21, 0xffff0000, v22
	v_cndmask_b32_e32 v58, v61, v92, vcc_lo
	v_add_f32_e32 v56, v56, v59
	v_lshlrev_b32_e32 v60, 16, v85
	v_add_f32_e32 v0, v0, v50
	v_mul_f32_e32 v51, v2, v51
	v_and_b32_e32 v22, 0xffff0000, v58
	v_lshlrev_b32_e32 v58, 16, v87
	v_add_f32_e32 v20, v56, v20
	v_lshlrev_b32_e32 v56, 16, v84
	v_mul_f32_e32 v52, v8, v52
	v_add_f32_e32 v21, v21, v22
	v_mul_f32_e32 v22, v1, v57
	v_mul_f32_e32 v50, v5, v58
	v_add_f32_e32 v27, v27, v20
	v_mul_f32_e32 v56, v3, v56
	v_add_f32_e32 v0, v21, v0
	v_bfe_u32 v21, v22, 16, 1
	v_bfe_u32 v20, v50, 16, 1
	v_lshlrev_b32_e32 v58, 16, v86
	v_cmp_u_f32_e32 vcc_lo, v22, v22
	v_add_f32_e32 v28, v28, v0
	v_add3_u32 v0, v21, v22, 0x7fff
	v_or_b32_e32 v21, 0x400000, v22
	v_add3_u32 v20, v20, v50, 0x7fff
	v_or_b32_e32 v57, 0x400000, v50
	v_mul_f32_e32 v22, v6, v58
	v_lshlrev_b32_e32 v58, 16, v82
	v_cndmask_b32_e32 v0, v0, v21, vcc_lo
	v_bfe_u32 v21, v56, 16, 1
	v_cmp_u_f32_e32 vcc_lo, v50, v50
	v_lshlrev_b32_e32 v50, 16, v81
	v_bfe_u32 v59, v22, 16, 1
	v_and_b32_e32 v0, 0xffff0000, v0
	v_add3_u32 v21, v21, v56, 0x7fff
	v_cndmask_b32_e32 v20, v20, v57, vcc_lo
	v_or_b32_e32 v57, 0x400000, v56
	v_mul_f32_e32 v50, v2, v50
	v_cmp_u_f32_e32 vcc_lo, v56, v56
	v_mul_f32_e32 v56, v8, v58
	v_or_b32_e32 v58, 0x400000, v22
	v_and_b32_e32 v20, 0xffff0000, v20
	v_lshlrev_b32_e32 v55, 16, v55
	v_cndmask_b32_e32 v21, v21, v57, vcc_lo
	v_add3_u32 v57, v59, v22, 0x7fff
	v_bfe_u32 v59, v50, 16, 1
	v_bfe_u32 v61, v56, 16, 1
	v_cmp_u_f32_e32 vcc_lo, v22, v22
	v_or_b32_e32 v81, 0x400000, v56
	v_and_b32_e32 v21, 0xffff0000, v21
	v_add_f32_e32 v0, v20, v0
	v_mul_f32_e32 v55, v4, v55
	v_cndmask_b32_e32 v22, v57, v58, vcc_lo
	v_add3_u32 v57, v59, v50, 0x7fff
	v_mul_f32_e32 v58, v4, v60
	v_or_b32_e32 v59, 0x400000, v50
	v_add3_u32 v60, v61, v56, 0x7fff
	v_lshlrev_b32_e32 v61, 16, v83
	v_cmp_u_f32_e32 vcc_lo, v50, v50
	v_bfe_u32 v82, v58, 16, 1
	v_and_b32_e32 v22, 0xffff0000, v22
	v_lshlrev_b32_e32 v53, 16, v53
	v_lshlrev_b32_e32 v49, 16, v49
	v_cndmask_b32_e32 v50, v57, v59, vcc_lo
	v_mul_f32_e32 v57, v7, v61
	v_cmp_u_f32_e32 vcc_lo, v56, v56
	v_add3_u32 v59, v82, v58, 0x7fff
	v_add_f32_e32 v20, v22, v21
	v_and_b32_e32 v22, 0xffff0000, v50
	v_bfe_u32 v61, v57, 16, 1
	v_cndmask_b32_e32 v56, v60, v81, vcc_lo
	v_or_b32_e32 v60, 0x400000, v58
	v_cmp_u_f32_e32 vcc_lo, v58, v58
	v_lshlrev_b32_e32 v50, 16, v80
	v_add_f32_e32 v0, v20, v0
	v_and_b32_e32 v21, 0xffff0000, v56
	v_lshlrev_b32_e32 v56, 16, v79
	v_cndmask_b32_e32 v58, v59, v60, vcc_lo
	v_add3_u32 v59, v61, v57, 0x7fff
	v_or_b32_e32 v60, 0x400000, v57
	v_cmp_u_f32_e32 vcc_lo, v57, v57
	v_mul_f32_e32 v20, v1, v50
	v_add_f32_e32 v21, v21, v22
	v_mul_f32_e32 v22, v5, v56
	v_and_b32_e32 v56, 0xffff0000, v58
	v_cndmask_b32_e32 v57, v59, v60, vcc_lo
	v_lshlrev_b32_e32 v58, 16, v76
	v_add_f32_e32 v0, v21, v0
	v_bfe_u32 v21, v22, 16, 1
	v_lshlrev_b32_e32 v60, 16, v78
	v_and_b32_e32 v50, 0xffff0000, v57
	v_bfe_u32 v57, v20, 16, 1
	v_mul_f32_e32 v58, v3, v58
	v_cmp_u_f32_e32 vcc_lo, v20, v20
	v_add3_u32 v21, v21, v22, 0x7fff
	v_add_f32_e32 v50, v50, v56
	v_add3_u32 v56, v57, v20, 0x7fff
	v_or_b32_e32 v57, 0x400000, v20
	v_or_b32_e32 v59, 0x400000, v22
	v_mul_f32_e32 v53, v7, v53
	v_add_f32_e32 v0, v50, v0
	v_mul_f32_e32 v49, v1, v49
	v_cndmask_b32_e32 v20, v56, v57, vcc_lo
	v_bfe_u32 v56, v58, 16, 1
	v_cmp_u_f32_e32 vcc_lo, v22, v22
	v_mul_f32_e32 v22, v6, v60
	v_lshlrev_b32_e32 v57, 16, v73
	v_lshlrev_b32_e32 v60, 16, v74
	v_add3_u32 v56, v56, v58, 0x7fff
	v_cndmask_b32_e32 v21, v21, v59, vcc_lo
	v_or_b32_e32 v59, 0x400000, v58
	v_bfe_u32 v61, v22, 16, 1
	v_mul_f32_e32 v57, v2, v57
	v_cmp_u_f32_e32 vcc_lo, v58, v58
	v_mul_f32_e32 v58, v8, v60
	v_or_b32_e32 v60, 0x400000, v22
	v_lshlrev_b32_e32 v73, 16, v77
	v_and_b32_e32 v21, 0xffff0000, v21
	v_cndmask_b32_e32 v56, v56, v59, vcc_lo
	v_add3_u32 v59, v61, v22, 0x7fff
	v_bfe_u32 v61, v57, 16, 1
	v_bfe_u32 v74, v58, 16, 1
	v_cmp_u_f32_e32 vcc_lo, v22, v22
	v_and_b32_e32 v20, 0xffff0000, v20
	v_and_b32_e32 v56, 0xffff0000, v56
	v_add_f32_e32 v29, v29, v0
	v_lshlrev_b32_e32 v48, 16, v48
	v_cndmask_b32_e32 v22, v59, v60, vcc_lo
	v_add3_u32 v59, v61, v57, 0x7fff
	v_mul_f32_e32 v60, v4, v73
	v_or_b32_e32 v61, 0x400000, v57
	v_add3_u32 v73, v74, v58, 0x7fff
	v_lshlrev_b32_e32 v74, 16, v75
	v_cmp_u_f32_e32 vcc_lo, v57, v57
	v_or_b32_e32 v75, 0x400000, v58
	v_bfe_u32 v76, v60, 16, 1
	v_and_b32_e32 v22, 0xffff0000, v22
	v_add_f32_e32 v20, v21, v20
	v_cndmask_b32_e32 v57, v59, v61, vcc_lo
	v_mul_f32_e32 v59, v7, v74
	v_cmp_u_f32_e32 vcc_lo, v58, v58
	v_add3_u32 v61, v76, v60, 0x7fff
	v_add_f32_e32 v21, v22, v56
	v_and_b32_e32 v56, 0xffff0000, v57
	v_bfe_u32 v74, v59, 16, 1
	v_cndmask_b32_e32 v58, v73, v75, vcc_lo
	v_or_b32_e32 v73, 0x400000, v60
	v_cmp_u_f32_e32 vcc_lo, v60, v60
	v_add_f32_e32 v20, v21, v20
	v_lshlrev_b32_e32 v21, 16, v72
	v_and_b32_e32 v22, 0xffff0000, v58
	v_lshlrev_b32_e32 v45, 16, v45
	v_cndmask_b32_e32 v60, v61, v73, vcc_lo
	v_add3_u32 v61, v74, v59, 0x7fff
	v_or_b32_e32 v73, 0x400000, v59
	v_cmp_u_f32_e32 vcc_lo, v59, v59
	v_add_f32_e32 v22, v22, v56
	v_lshlrev_b32_e32 v56, 16, v71
	v_and_b32_e32 v58, 0xffff0000, v60
	v_mul_f32_e32 v21, v1, v21
	v_cndmask_b32_e32 v57, v61, v73, vcc_lo
	v_add_f32_e32 v20, v22, v20
	v_mul_f32_e32 v50, v5, v56
	v_lshlrev_b32_e32 v59, 16, v70
	v_bfe_u32 v56, v21, 16, 1
	v_and_b32_e32 v57, 0xffff0000, v57
	v_cmp_u_f32_e32 vcc_lo, v21, v21
	v_lshlrev_b32_e32 v61, 16, v69
	v_mul_f32_e32 v48, v5, v48
	v_mul_f32_e32 v45, v3, v45
	v_add_f32_e32 v22, v57, v58
	v_bfe_u32 v57, v50, 16, 1
	v_lshlrev_b32_e32 v58, 16, v68
	v_lshlrev_b32_e32 v47, 16, v47
	;; [unrolled: 1-line block ×3, first 2 shown]
	v_add_f32_e32 v0, v22, v20
	v_add3_u32 v20, v56, v21, 0x7fff
	v_or_b32_e32 v22, 0x400000, v21
	v_add3_u32 v56, v57, v50, 0x7fff
	v_mul_f32_e32 v57, v3, v58
	v_or_b32_e32 v58, 0x400000, v50
	v_mul_f32_e32 v47, v6, v47
	v_cndmask_b32_e32 v20, v20, v22, vcc_lo
	v_cmp_u_f32_e32 vcc_lo, v50, v50
	v_bfe_u32 v21, v57, 16, 1
	v_mul_f32_e32 v50, v6, v59
	v_lshlrev_b32_e32 v59, 16, v66
	v_and_b32_e32 v20, 0xffff0000, v20
	v_cndmask_b32_e32 v22, v56, v58, vcc_lo
	v_lshlrev_b32_e32 v56, 16, v65
	v_add3_u32 v21, v21, v57, 0x7fff
	v_or_b32_e32 v58, 0x400000, v57
	v_bfe_u32 v60, v50, 16, 1
	v_cmp_u_f32_e32 vcc_lo, v57, v57
	v_mul_f32_e32 v56, v2, v56
	v_mul_f32_e32 v57, v8, v59
	v_or_b32_e32 v59, 0x400000, v50
	v_and_b32_e32 v22, 0xffff0000, v22
	v_cndmask_b32_e32 v21, v21, v58, vcc_lo
	v_add3_u32 v58, v60, v50, 0x7fff
	v_bfe_u32 v60, v56, 16, 1
	v_bfe_u32 v65, v57, 16, 1
	v_cmp_u_f32_e32 vcc_lo, v50, v50
	v_or_b32_e32 v66, 0x400000, v57
	v_and_b32_e32 v21, 0xffff0000, v21
	v_add_f32_e32 v20, v22, v20
	v_mul_f32_e32 v43, v2, v43
	v_cndmask_b32_e32 v50, v58, v59, vcc_lo
	v_add3_u32 v58, v60, v56, 0x7fff
	v_mul_f32_e32 v59, v4, v61
	v_or_b32_e32 v60, 0x400000, v56
	v_add3_u32 v61, v65, v57, 0x7fff
	v_lshlrev_b32_e32 v65, 16, v67
	v_cmp_u_f32_e32 vcc_lo, v56, v56
	v_bfe_u32 v67, v59, 16, 1
	v_and_b32_e32 v50, 0xffff0000, v50
	v_lshlrev_b32_e32 v42, 16, v42
	v_lshlrev_b32_e32 v46, 16, v46
	v_cndmask_b32_e32 v56, v58, v60, vcc_lo
	v_mul_f32_e32 v58, v7, v65
	v_cmp_u_f32_e32 vcc_lo, v57, v57
	v_add3_u32 v60, v67, v59, 0x7fff
	v_add_f32_e32 v21, v50, v21
	v_and_b32_e32 v50, 0xffff0000, v56
	v_bfe_u32 v65, v58, 16, 1
	v_cndmask_b32_e32 v57, v61, v66, vcc_lo
	v_or_b32_e32 v61, 0x400000, v59
	v_cmp_u_f32_e32 vcc_lo, v59, v59
	v_lshlrev_b32_e32 v56, 16, v64
	v_add_f32_e32 v20, v21, v20
	v_and_b32_e32 v22, 0xffff0000, v57
	v_mul_f32_e32 v42, v8, v42
	v_cndmask_b32_e32 v59, v60, v61, vcc_lo
	v_add3_u32 v60, v65, v58, 0x7fff
	v_or_b32_e32 v61, 0x400000, v58
	v_cmp_u_f32_e32 vcc_lo, v58, v58
	v_lshlrev_b32_e32 v58, 16, v63
	v_add_f32_e32 v21, v22, v50
	v_mul_f32_e32 v22, v1, v56
	v_mul_f32_e32 v46, v4, v46
	v_cndmask_b32_e32 v57, v60, v61, vcc_lo
	v_mul_f32_e32 v56, v5, v58
	v_add_f32_e32 v20, v21, v20
	v_bfe_u32 v58, v22, 16, 1
	v_lshlrev_b32_e32 v61, 16, v62
	v_and_b32_e32 v50, 0xffff0000, v57
	v_and_b32_e32 v57, 0xffff0000, v59
	v_bfe_u32 v59, v56, 16, 1
	v_cmp_u_f32_e32 vcc_lo, v22, v22
	v_lshlrev_b32_e32 v44, 16, v44
	v_lshlrev_b32_e32 v19, 16, v19
	v_add_f32_e32 v21, v50, v57
	v_mul_f32_e32 v50, v3, v54
	v_add3_u32 v54, v58, v22, 0x7fff
	v_or_b32_e32 v57, 0x400000, v22
	v_add3_u32 v58, v59, v56, 0x7fff
	v_or_b32_e32 v59, 0x400000, v56
	v_bfe_u32 v60, v50, 16, 1
	v_mul_f32_e32 v44, v7, v44
	v_cndmask_b32_e32 v22, v54, v57, vcc_lo
	v_cmp_u_f32_e32 vcc_lo, v56, v56
	v_mul_f32_e32 v56, v6, v61
	v_add3_u32 v57, v60, v50, 0x7fff
	v_bfe_u32 v60, v52, 16, 1
	v_bfe_u32 v61, v55, 16, 1
	v_cndmask_b32_e32 v54, v58, v59, vcc_lo
	v_or_b32_e32 v58, 0x400000, v50
	v_bfe_u32 v59, v56, 16, 1
	v_cmp_u_f32_e32 vcc_lo, v50, v50
	v_and_b32_e32 v22, 0xffff0000, v22
	v_and_b32_e32 v54, 0xffff0000, v54
	v_mul_f32_e32 v6, v6, v19
	v_lshlrev_b32_e32 v16, 16, v16
	v_cndmask_b32_e32 v50, v57, v58, vcc_lo
	v_add3_u32 v57, v59, v56, 0x7fff
	v_or_b32_e32 v58, 0x400000, v56
	v_bfe_u32 v59, v51, 16, 1
	v_cmp_u_f32_e32 vcc_lo, v56, v56
	v_and_b32_e32 v50, 0xffff0000, v50
	v_add_f32_e32 v22, v54, v22
	v_mul_f32_e32 v3, v3, v16
	v_lshlrev_b32_e32 v15, 16, v15
	v_cndmask_b32_e32 v56, v57, v58, vcc_lo
	v_add3_u32 v57, v59, v51, 0x7fff
	v_or_b32_e32 v58, 0x400000, v51
	v_cmp_u_f32_e32 vcc_lo, v51, v51
	v_add3_u32 v59, v60, v52, 0x7fff
	v_or_b32_e32 v60, 0x400000, v52
	v_and_b32_e32 v56, 0xffff0000, v56
	v_mul_f32_e32 v8, v8, v15
	v_cndmask_b32_e32 v51, v57, v58, vcc_lo
	v_cmp_u_f32_e32 vcc_lo, v52, v52
	v_add3_u32 v57, v61, v55, 0x7fff
	v_or_b32_e32 v58, 0x400000, v55
	v_add_f32_e32 v50, v56, v50
	v_and_b32_e32 v51, 0xffff0000, v51
	v_cndmask_b32_e32 v52, v59, v60, vcc_lo
	v_cmp_u_f32_e32 vcc_lo, v55, v55
	v_or_b32_e32 v56, 0x400000, v53
	v_add_f32_e32 v22, v50, v22
	v_lshlrev_b32_e32 v9, 16, v9
	v_and_b32_e32 v52, 0xffff0000, v52
	v_cndmask_b32_e32 v55, v57, v58, vcc_lo
	v_bfe_u32 v57, v53, 16, 1
	v_cmp_u_f32_e32 vcc_lo, v53, v53
	v_mul_f32_e32 v2, v2, v9
	v_add_f32_e32 v50, v52, v51
	v_bfe_u32 v52, v49, 16, 1
	v_add3_u32 v54, v57, v53, 0x7fff
	v_and_b32_e32 v53, 0xffff0000, v55
	v_or_b32_e32 v55, 0x400000, v45
	v_add_f32_e32 v22, v50, v22
	v_lshlrev_b32_e32 v9, 16, v18
	v_cndmask_b32_e32 v51, v54, v56, vcc_lo
	v_bfe_u32 v54, v48, 16, 1
	v_cmp_u_f32_e32 vcc_lo, v49, v49
	v_lshlrev_b32_e32 v17, 16, v17
	v_mul_f32_e32 v7, v7, v9
	v_and_b32_e32 v50, 0xffff0000, v51
	v_add3_u32 v51, v52, v49, 0x7fff
	v_or_b32_e32 v52, 0x400000, v49
	v_mul_f32_e32 v4, v4, v17
	v_or_b32_e32 v9, 0x400000, v8
	v_or_b32_e32 v17, 0x400000, v2
	v_bfe_u32 v18, v7, 16, 1
	v_cndmask_b32_e32 v49, v51, v52, vcc_lo
	v_bfe_u32 v51, v45, 16, 1
	v_add3_u32 v52, v54, v48, 0x7fff
	v_or_b32_e32 v54, 0x400000, v48
	v_cmp_u_f32_e32 vcc_lo, v48, v48
	v_and_b32_e32 v49, 0xffff0000, v49
	v_add3_u32 v51, v51, v45, 0x7fff
	v_add_nc_u32_e32 v41, 4, v41
	v_add_f32_e32 v30, v30, v0
	v_cndmask_b32_e32 v48, v52, v54, vcc_lo
	v_bfe_u32 v52, v47, 16, 1
	v_cmp_u_f32_e32 vcc_lo, v45, v45
	v_or_b32_e32 v54, 0x400000, v47
	v_add_co_u32 v13, s0, v13, 16
	v_add3_u32 v52, v52, v47, 0x7fff
	v_cndmask_b32_e32 v45, v51, v55, vcc_lo
	v_bfe_u32 v51, v43, 16, 1
	v_cmp_u_f32_e32 vcc_lo, v47, v47
	v_or_b32_e32 v55, 0x400000, v43
	v_and_b32_e32 v48, 0xffff0000, v48
	v_and_b32_e32 v45, 0xffff0000, v45
	v_add3_u32 v51, v51, v43, 0x7fff
	v_cndmask_b32_e32 v47, v52, v54, vcc_lo
	v_bfe_u32 v52, v42, 16, 1
	v_cmp_u_f32_e32 vcc_lo, v43, v43
	v_bfe_u32 v54, v46, 16, 1
	v_add_f32_e32 v48, v48, v49
	v_and_b32_e32 v47, 0xffff0000, v47
	v_add_nc_u32_e32 v34, 0x80, v34
	v_cndmask_b32_e32 v43, v51, v55, vcc_lo
	v_add3_u32 v51, v52, v42, 0x7fff
	v_or_b32_e32 v52, 0x400000, v42
	v_cmp_u_f32_e32 vcc_lo, v42, v42
	v_add3_u32 v54, v54, v46, 0x7fff
	v_or_b32_e32 v55, 0x400000, v46
	v_add_f32_e32 v45, v47, v45
	v_lshlrev_b32_e32 v47, 16, v94
	v_cndmask_b32_e32 v42, v51, v52, vcc_lo
	v_cmp_u_f32_e32 vcc_lo, v46, v46
	v_bfe_u32 v51, v44, 16, 1
	v_or_b32_e32 v52, 0x400000, v44
	v_and_b32_e32 v43, 0xffff0000, v43
	v_and_b32_e32 v42, 0xffff0000, v42
	v_cndmask_b32_e32 v46, v54, v55, vcc_lo
	v_lshlrev_b32_e32 v54, 16, v96
	v_add3_u32 v51, v51, v44, 0x7fff
	v_cmp_u_f32_e32 vcc_lo, v44, v44
	v_add_f32_e32 v45, v45, v48
	v_mul_f32_e32 v1, v1, v47
	v_mul_f32_e32 v5, v5, v54
	v_add_f32_e32 v42, v42, v43
	v_cndmask_b32_e32 v44, v51, v52, vcc_lo
	v_add_nc_u32_e32 v35, 0x200, v35
	v_add_co_ci_u32_e64 v14, null, 0, v14, s0
	v_bfe_u32 v48, v5, 16, 1
	v_and_b32_e32 v43, 0xffff0000, v44
	v_or_b32_e32 v47, 0x400000, v5
	v_cmp_u_f32_e32 vcc_lo, v5, v5
	v_add3_u32 v44, v48, v5, 0x7fff
	v_bfe_u32 v48, v1, 16, 1
	v_cndmask_b32_e32 v5, v44, v47, vcc_lo
	v_add3_u32 v19, v48, v1, 0x7fff
	v_or_b32_e32 v44, 0x400000, v1
	v_bfe_u32 v47, v6, 16, 1
	v_cmp_u_f32_e32 vcc_lo, v1, v1
	v_and_b32_e32 v5, 0xffff0000, v5
	v_add3_u32 v16, v47, v6, 0x7fff
	v_cndmask_b32_e32 v1, v19, v44, vcc_lo
	v_or_b32_e32 v19, 0x400000, v6
	v_bfe_u32 v44, v3, 16, 1
	v_cmp_u_f32_e32 vcc_lo, v6, v6
	v_and_b32_e32 v1, 0xffff0000, v1
	v_add3_u32 v15, v44, v3, 0x7fff
	v_cndmask_b32_e32 v6, v16, v19, vcc_lo
	v_or_b32_e32 v16, 0x400000, v3
	v_bfe_u32 v19, v8, 16, 1
	v_cmp_u_f32_e32 vcc_lo, v3, v3
	v_add_f32_e32 v1, v5, v1
	v_and_b32_e32 v6, 0xffff0000, v6
	v_cndmask_b32_e32 v3, v15, v16, vcc_lo
	v_bfe_u32 v15, v2, 16, 1
	v_add3_u32 v16, v19, v8, 0x7fff
	v_cmp_u_f32_e32 vcc_lo, v8, v8
	v_bfe_u32 v19, v4, 16, 1
	v_and_b32_e32 v3, 0xffff0000, v3
	v_add3_u32 v15, v15, v2, 0x7fff
	v_cndmask_b32_e32 v8, v16, v9, vcc_lo
	v_cmp_u_f32_e32 vcc_lo, v2, v2
	v_or_b32_e32 v16, 0x400000, v4
	v_add3_u32 v9, v18, v7, 0x7fff
	v_add_f32_e32 v3, v6, v3
	v_and_b32_e32 v5, 0xffff0000, v8
	v_cndmask_b32_e32 v2, v15, v17, vcc_lo
	v_add3_u32 v15, v19, v4, 0x7fff
	v_cmp_u_f32_e32 vcc_lo, v4, v4
	v_or_b32_e32 v17, 0x400000, v7
	v_add_f32_e32 v1, v3, v1
	v_and_b32_e32 v2, 0xffff0000, v2
	v_cndmask_b32_e32 v4, v15, v16, vcc_lo
	v_cmp_u_f32_e32 vcc_lo, v7, v7
	v_and_b32_e32 v7, 0xffff0000, v46
	v_add_f32_e32 v2, v5, v2
	v_add_f32_e32 v5, v50, v53
	v_and_b32_e32 v3, 0xffff0000, v4
	v_cndmask_b32_e32 v6, v9, v17, vcc_lo
	v_add_f32_e32 v7, v43, v7
	v_add_f32_e32 v1, v2, v1
	v_cmp_le_i32_e32 vcc_lo, s12, v41
	v_and_b32_e32 v4, 0xffff0000, v6
	v_add_f32_e32 v6, v42, v45
	s_or_b32 s14, vcc_lo, s14
	v_add_f32_e32 v2, v4, v3
	v_add_f32_e32 v3, v21, v20
	;; [unrolled: 1-line block ×9, first 2 shown]
	s_andn2_b32 exec_lo, exec_lo, s14
	s_cbranch_execz .LBB360_1002
.LBB360_506:                            ; =>This Inner Loop Header: Depth=1
	global_load_dword v0, v[13:14], off
	s_waitcnt vmcnt(0)
	v_mad_i64_i32 v[15:16], null, v0, s4, v[11:12]
	v_mov_b32_e32 v0, 0
	global_load_dwordx2 v[17:18], v[15:16], off
	ds_read2_b64 v[5:8], v35 offset1:1
	ds_read2_b64 v[1:4], v35 offset0:2 offset1:3
	s_waitcnt vmcnt(0)
	v_cmp_ne_u16_sdwa s15, v17, v10 src0_sel:BYTE_0 src1_sel:DWORD
	s_and_saveexec_b32 s0, s15
	s_cbranch_execz .LBB360_512
; %bb.507:                              ;   in Loop: Header=BB360_506 Depth=1
	v_cmp_ne_u16_sdwa s16, v17, v36 src0_sel:BYTE_0 src1_sel:DWORD
	v_bfrev_b32_e32 v0, 1
	s_and_saveexec_b32 s15, s16
	s_cbranch_execz .LBB360_511
; %bb.508:                              ;   in Loop: Header=BB360_506 Depth=1
	v_and_b32_e32 v9, 0x7f, v17
	v_mov_b32_e32 v0, 0x7f800001
	s_mov_b32 s16, exec_lo
	v_cmpx_ne_u32_e32 0x7f, v9
	s_cbranch_execz .LBB360_510
; %bb.509:                              ;   in Loop: Header=BB360_506 Depth=1
	v_and_b32_e32 v0, 7, v17
	v_cmp_gt_u32_e32 vcc_lo, 8, v9
	v_lshrrev_b32_e32 v19, 3, v9
	v_ffbh_u32_e32 v0, v0
	v_min_u32_e32 v0, 32, v0
	v_subrev_nc_u32_e32 v20, 28, v0
	v_sub_nc_u32_e32 v0, 29, v0
	v_cndmask_b32_e32 v9, 0, v20, vcc_lo
	v_cndmask_b32_e32 v0, v19, v0, vcc_lo
	v_lshlrev_b64 v[19:20], v9, v[17:18]
	v_lshlrev_b32_e32 v9, 24, v17
	v_lshl_add_u32 v0, v0, 23, 0x3c000000
	v_and_b32_e32 v9, 0x80000000, v9
	v_lshlrev_b32_e32 v19, 20, v19
	v_and_b32_e32 v19, 0x700000, v19
	v_or3_b32 v0, v19, v9, v0
.LBB360_510:                            ;   in Loop: Header=BB360_506 Depth=1
	s_or_b32 exec_lo, exec_lo, s16
.LBB360_511:                            ;   in Loop: Header=BB360_506 Depth=1
	s_or_b32 exec_lo, exec_lo, s15
.LBB360_512:                            ;   in Loop: Header=BB360_506 Depth=1
	s_or_b32 exec_lo, exec_lo, s0
	v_cmp_ne_u16_sdwa s15, v17, v10 src0_sel:BYTE_1 src1_sel:DWORD
	v_mov_b32_e32 v22, 0
	v_mov_b32_e32 v21, 0
	s_and_saveexec_b32 s0, s15
	s_cbranch_execz .LBB360_520
; %bb.513:                              ;   in Loop: Header=BB360_506 Depth=1
	v_cmp_ne_u16_sdwa s16, v17, v36 src0_sel:BYTE_1 src1_sel:DWORD
	v_bfrev_b32_e32 v21, 1
	s_and_saveexec_b32 s15, s16
	s_cbranch_execz .LBB360_519
; %bb.514:                              ;   in Loop: Header=BB360_506 Depth=1
	v_and_b32_sdwa v9, v37, v17 dst_sel:DWORD dst_unused:UNUSED_PAD src0_sel:DWORD src1_sel:BYTE_1
	v_mov_b32_e32 v21, 0x7f800001
	s_mov_b32 s16, exec_lo
	v_and_b32_e32 v20, 0x7f, v9
	v_cmpx_ne_u32_e32 0x7f, v20
	s_cbranch_execz .LBB360_518
; %bb.515:                              ;   in Loop: Header=BB360_506 Depth=1
	v_and_b32_e32 v9, 7, v9
	v_lshrrev_b32_e32 v19, 3, v20
	s_mov_b32 s17, exec_lo
	v_cmpx_gt_u32_e32 8, v20
; %bb.516:                              ;   in Loop: Header=BB360_506 Depth=1
	v_ffbh_u32_e32 v19, v9
	v_min_u32_e32 v19, 32, v19
	v_subrev_nc_u32_e32 v20, 28, v19
	v_sub_nc_u32_e32 v19, 29, v19
	v_lshlrev_b64 v[20:21], v20, v[9:10]
	v_and_b32_e32 v9, 7, v20
; %bb.517:                              ;   in Loop: Header=BB360_506 Depth=1
	s_or_b32 exec_lo, exec_lo, s17
	v_lshlrev_b32_e32 v20, 16, v17
	v_lshlrev_b32_e32 v9, 20, v9
	v_lshl_add_u32 v19, v19, 23, 0x3c000000
	v_and_b32_e32 v20, 0x80000000, v20
	v_or3_b32 v21, v9, v20, v19
.LBB360_518:                            ;   in Loop: Header=BB360_506 Depth=1
	s_or_b32 exec_lo, exec_lo, s16
.LBB360_519:                            ;   in Loop: Header=BB360_506 Depth=1
	s_or_b32 exec_lo, exec_lo, s15
.LBB360_520:                            ;   in Loop: Header=BB360_506 Depth=1
	s_or_b32 exec_lo, exec_lo, s0
	v_and_b32_sdwa v9, v17, v38 dst_sel:DWORD dst_unused:UNUSED_PAD src0_sel:WORD_1 src1_sel:DWORD
	s_mov_b32 s0, exec_lo
	v_cmpx_ne_u16_e32 0, v9
	s_cbranch_execz .LBB360_528
; %bb.521:                              ;   in Loop: Header=BB360_506 Depth=1
	v_bfrev_b32_e32 v22, 1
	s_mov_b32 s15, exec_lo
	v_cmpx_ne_u16_e32 0x80, v9
	s_cbranch_execz .LBB360_527
; %bb.522:                              ;   in Loop: Header=BB360_506 Depth=1
	v_bfe_u32 v20, v17, 16, 7
	v_mov_b32_e32 v22, 0x7f800001
	s_mov_b32 s16, exec_lo
	v_cmpx_ne_u32_e32 0x7f, v20
	s_cbranch_execz .LBB360_526
; %bb.523:                              ;   in Loop: Header=BB360_506 Depth=1
	v_and_b32_sdwa v9, v17, v39 dst_sel:DWORD dst_unused:UNUSED_PAD src0_sel:WORD_1 src1_sel:DWORD
	v_lshrrev_b32_e32 v19, 3, v20
	s_mov_b32 s17, exec_lo
	v_cmpx_gt_u32_e32 8, v20
; %bb.524:                              ;   in Loop: Header=BB360_506 Depth=1
	v_ffbh_u32_e32 v19, v9
	v_min_u32_e32 v19, 32, v19
	v_subrev_nc_u32_e32 v20, 28, v19
	v_sub_nc_u32_e32 v19, 29, v19
	v_lshlrev_b64 v[42:43], v20, v[9:10]
	v_and_b32_e32 v9, 7, v42
; %bb.525:                              ;   in Loop: Header=BB360_506 Depth=1
	s_or_b32 exec_lo, exec_lo, s17
	v_lshlrev_b32_sdwa v20, v40, v17 dst_sel:DWORD dst_unused:UNUSED_PAD src0_sel:DWORD src1_sel:WORD_1
	v_lshlrev_b32_e32 v9, 20, v9
	v_lshl_add_u32 v19, v19, 23, 0x3c000000
	v_and_b32_e32 v20, 0x80000000, v20
	v_or3_b32 v22, v9, v20, v19
.LBB360_526:                            ;   in Loop: Header=BB360_506 Depth=1
	s_or_b32 exec_lo, exec_lo, s16
.LBB360_527:                            ;   in Loop: Header=BB360_506 Depth=1
	s_or_b32 exec_lo, exec_lo, s15
.LBB360_528:                            ;   in Loop: Header=BB360_506 Depth=1
	s_or_b32 exec_lo, exec_lo, s0
	v_mov_b32_e32 v42, 0
	v_mov_b32_e32 v43, 0
	s_mov_b32 s0, exec_lo
	v_cmpx_lt_u32_e32 0xffffff, v17
	s_cbranch_execz .LBB360_536
; %bb.529:                              ;   in Loop: Header=BB360_506 Depth=1
	v_cmp_ne_u32_sdwa s16, v17, v36 src0_sel:BYTE_3 src1_sel:DWORD
	v_bfrev_b32_e32 v43, 1
	s_and_saveexec_b32 s15, s16
	s_cbranch_execz .LBB360_535
; %bb.530:                              ;   in Loop: Header=BB360_506 Depth=1
	v_bfe_u32 v20, v17, 24, 7
	v_mov_b32_e32 v43, 0x7f800001
	s_mov_b32 s16, exec_lo
	v_cmpx_ne_u32_e32 0x7f, v20
	s_cbranch_execz .LBB360_534
; %bb.531:                              ;   in Loop: Header=BB360_506 Depth=1
	v_and_b32_sdwa v9, v17, v39 dst_sel:DWORD dst_unused:UNUSED_PAD src0_sel:BYTE_3 src1_sel:DWORD
	v_lshrrev_b32_e32 v19, 3, v20
	s_mov_b32 s17, exec_lo
	v_cmpx_gt_u32_e32 8, v20
; %bb.532:                              ;   in Loop: Header=BB360_506 Depth=1
	v_ffbh_u32_e32 v19, v9
	v_min_u32_e32 v19, 32, v19
	v_subrev_nc_u32_e32 v20, 28, v19
	v_sub_nc_u32_e32 v19, 29, v19
	v_lshlrev_b64 v[43:44], v20, v[9:10]
	v_and_b32_e32 v9, 7, v43
; %bb.533:                              ;   in Loop: Header=BB360_506 Depth=1
	s_or_b32 exec_lo, exec_lo, s17
	v_lshlrev_b32_sdwa v20, v40, v17 dst_sel:DWORD dst_unused:UNUSED_PAD src0_sel:DWORD src1_sel:BYTE_3
	v_lshlrev_b32_e32 v9, 20, v9
	v_lshl_add_u32 v19, v19, 23, 0x3c000000
	v_and_b32_e32 v20, 0x80000000, v20
	v_or3_b32 v43, v9, v20, v19
.LBB360_534:                            ;   in Loop: Header=BB360_506 Depth=1
	s_or_b32 exec_lo, exec_lo, s16
.LBB360_535:                            ;   in Loop: Header=BB360_506 Depth=1
	s_or_b32 exec_lo, exec_lo, s15
.LBB360_536:                            ;   in Loop: Header=BB360_506 Depth=1
	s_or_b32 exec_lo, exec_lo, s0
	v_mov_b32_e32 v9, v18
	v_cmp_ne_u16_sdwa s15, v18, v10 src0_sel:BYTE_0 src1_sel:DWORD
	s_and_saveexec_b32 s0, s15
	s_cbranch_execz .LBB360_542
; %bb.537:                              ;   in Loop: Header=BB360_506 Depth=1
	v_cmp_ne_u16_sdwa s16, v18, v36 src0_sel:BYTE_0 src1_sel:DWORD
	v_bfrev_b32_e32 v42, 1
	s_and_saveexec_b32 s15, s16
	s_cbranch_execz .LBB360_541
; %bb.538:                              ;   in Loop: Header=BB360_506 Depth=1
	v_and_b32_e32 v19, 0x7f, v18
	v_mov_b32_e32 v42, 0x7f800001
	s_mov_b32 s16, exec_lo
	v_cmpx_ne_u32_e32 0x7f, v19
	s_cbranch_execz .LBB360_540
; %bb.539:                              ;   in Loop: Header=BB360_506 Depth=1
	v_and_b32_e32 v20, 7, v18
	v_cmp_gt_u32_e32 vcc_lo, 8, v19
	v_lshrrev_b32_e32 v42, 3, v19
	v_ffbh_u32_e32 v20, v20
	v_min_u32_e32 v20, 32, v20
	v_subrev_nc_u32_e32 v44, 28, v20
	v_sub_nc_u32_e32 v20, 29, v20
	v_cndmask_b32_e32 v19, 0, v44, vcc_lo
	v_cndmask_b32_e32 v42, v42, v20, vcc_lo
	v_lshlrev_b64 v[19:20], v19, v[9:10]
	v_lshlrev_b32_e32 v20, 24, v9
	v_lshl_add_u32 v42, v42, 23, 0x3c000000
	v_lshlrev_b32_e32 v19, 20, v19
	v_and_b32_e32 v20, 0x80000000, v20
	v_and_b32_e32 v19, 0x700000, v19
	v_or3_b32 v42, v19, v20, v42
.LBB360_540:                            ;   in Loop: Header=BB360_506 Depth=1
	s_or_b32 exec_lo, exec_lo, s16
.LBB360_541:                            ;   in Loop: Header=BB360_506 Depth=1
	s_or_b32 exec_lo, exec_lo, s15
.LBB360_542:                            ;   in Loop: Header=BB360_506 Depth=1
	s_or_b32 exec_lo, exec_lo, s0
	v_cmp_ne_u16_sdwa s15, v9, v10 src0_sel:BYTE_1 src1_sel:DWORD
	v_mov_b32_e32 v44, 0
	v_mov_b32_e32 v19, 0
	s_and_saveexec_b32 s0, s15
	s_cbranch_execz .LBB360_550
; %bb.543:                              ;   in Loop: Header=BB360_506 Depth=1
	v_cmp_ne_u16_sdwa s16, v9, v36 src0_sel:BYTE_1 src1_sel:DWORD
	v_bfrev_b32_e32 v19, 1
	s_and_saveexec_b32 s15, s16
	s_cbranch_execz .LBB360_549
; %bb.544:                              ;   in Loop: Header=BB360_506 Depth=1
	v_and_b32_sdwa v20, v37, v9 dst_sel:DWORD dst_unused:UNUSED_PAD src0_sel:DWORD src1_sel:BYTE_1
	v_mov_b32_e32 v19, 0x7f800001
	s_mov_b32 s16, exec_lo
	v_and_b32_e32 v46, 0x7f, v20
	v_cmpx_ne_u32_e32 0x7f, v46
	s_cbranch_execz .LBB360_548
; %bb.545:                              ;   in Loop: Header=BB360_506 Depth=1
	v_and_b32_e32 v19, 7, v20
	v_mov_b32_e32 v20, v10
	v_lshrrev_b32_e32 v45, 3, v46
	s_mov_b32 s17, exec_lo
	v_cmpx_gt_u32_e32 8, v46
; %bb.546:                              ;   in Loop: Header=BB360_506 Depth=1
	v_ffbh_u32_e32 v45, v19
	v_min_u32_e32 v45, 32, v45
	v_subrev_nc_u32_e32 v46, 28, v45
	v_sub_nc_u32_e32 v45, 29, v45
	v_lshlrev_b64 v[19:20], v46, v[19:20]
	v_and_b32_e32 v19, 7, v19
; %bb.547:                              ;   in Loop: Header=BB360_506 Depth=1
	s_or_b32 exec_lo, exec_lo, s17
	v_lshlrev_b32_e32 v9, 16, v9
	v_lshlrev_b32_e32 v19, 20, v19
	v_lshl_add_u32 v20, v45, 23, 0x3c000000
	v_and_b32_e32 v9, 0x80000000, v9
	v_or3_b32 v19, v19, v9, v20
.LBB360_548:                            ;   in Loop: Header=BB360_506 Depth=1
	s_or_b32 exec_lo, exec_lo, s16
.LBB360_549:                            ;   in Loop: Header=BB360_506 Depth=1
	s_or_b32 exec_lo, exec_lo, s15
.LBB360_550:                            ;   in Loop: Header=BB360_506 Depth=1
	s_or_b32 exec_lo, exec_lo, s0
	v_and_b32_sdwa v9, v18, v38 dst_sel:DWORD dst_unused:UNUSED_PAD src0_sel:WORD_1 src1_sel:DWORD
	s_mov_b32 s0, exec_lo
	v_cmpx_ne_u16_e32 0, v9
	s_cbranch_execz .LBB360_558
; %bb.551:                              ;   in Loop: Header=BB360_506 Depth=1
	v_bfrev_b32_e32 v44, 1
	s_mov_b32 s15, exec_lo
	v_cmpx_ne_u16_e32 0x80, v9
	s_cbranch_execz .LBB360_557
; %bb.552:                              ;   in Loop: Header=BB360_506 Depth=1
	v_bfe_u32 v45, v18, 16, 7
	v_mov_b32_e32 v44, 0x7f800001
	s_mov_b32 s16, exec_lo
	v_cmpx_ne_u32_e32 0x7f, v45
	s_cbranch_execz .LBB360_556
; %bb.553:                              ;   in Loop: Header=BB360_506 Depth=1
	v_and_b32_sdwa v9, v18, v39 dst_sel:DWORD dst_unused:UNUSED_PAD src0_sel:WORD_1 src1_sel:DWORD
	v_lshrrev_b32_e32 v20, 3, v45
	s_mov_b32 s17, exec_lo
	v_cmpx_gt_u32_e32 8, v45
; %bb.554:                              ;   in Loop: Header=BB360_506 Depth=1
	v_ffbh_u32_e32 v20, v9
	v_min_u32_e32 v20, 32, v20
	v_subrev_nc_u32_e32 v44, 28, v20
	v_sub_nc_u32_e32 v20, 29, v20
	v_lshlrev_b64 v[44:45], v44, v[9:10]
	v_and_b32_e32 v9, 7, v44
; %bb.555:                              ;   in Loop: Header=BB360_506 Depth=1
	s_or_b32 exec_lo, exec_lo, s17
	v_lshlrev_b32_sdwa v44, v40, v18 dst_sel:DWORD dst_unused:UNUSED_PAD src0_sel:DWORD src1_sel:WORD_1
	v_lshlrev_b32_e32 v9, 20, v9
	v_lshl_add_u32 v20, v20, 23, 0x3c000000
	v_and_b32_e32 v44, 0x80000000, v44
	v_or3_b32 v44, v9, v44, v20
.LBB360_556:                            ;   in Loop: Header=BB360_506 Depth=1
	s_or_b32 exec_lo, exec_lo, s16
.LBB360_557:                            ;   in Loop: Header=BB360_506 Depth=1
	s_or_b32 exec_lo, exec_lo, s15
.LBB360_558:                            ;   in Loop: Header=BB360_506 Depth=1
	s_or_b32 exec_lo, exec_lo, s0
	v_mov_b32_e32 v9, 0
	s_mov_b32 s0, exec_lo
	v_cmpx_lt_u64_e64 s[2:3], v[17:18]
	s_cbranch_execz .LBB360_566
; %bb.559:                              ;   in Loop: Header=BB360_506 Depth=1
	v_cmp_ne_u32_sdwa s16, v18, v36 src0_sel:BYTE_3 src1_sel:DWORD
	v_bfrev_b32_e32 v9, 1
	s_and_saveexec_b32 s15, s16
	s_cbranch_execz .LBB360_565
; %bb.560:                              ;   in Loop: Header=BB360_506 Depth=1
	v_bfe_u32 v20, v18, 24, 7
	v_mov_b32_e32 v9, 0x7f800001
	s_mov_b32 s16, exec_lo
	v_cmpx_ne_u32_e32 0x7f, v20
	s_cbranch_execz .LBB360_564
; %bb.561:                              ;   in Loop: Header=BB360_506 Depth=1
	v_and_b32_sdwa v9, v18, v39 dst_sel:DWORD dst_unused:UNUSED_PAD src0_sel:BYTE_3 src1_sel:DWORD
	v_lshrrev_b32_e32 v17, 3, v20
	s_mov_b32 s17, exec_lo
	v_cmpx_gt_u32_e32 8, v20
; %bb.562:                              ;   in Loop: Header=BB360_506 Depth=1
	v_ffbh_u32_e32 v17, v9
	v_min_u32_e32 v17, 32, v17
	v_subrev_nc_u32_e32 v20, 28, v17
	v_sub_nc_u32_e32 v17, 29, v17
	v_lshlrev_b64 v[45:46], v20, v[9:10]
	v_and_b32_e32 v9, 7, v45
; %bb.563:                              ;   in Loop: Header=BB360_506 Depth=1
	s_or_b32 exec_lo, exec_lo, s17
	v_lshlrev_b32_sdwa v18, v40, v18 dst_sel:DWORD dst_unused:UNUSED_PAD src0_sel:DWORD src1_sel:BYTE_3
	v_lshlrev_b32_e32 v9, 20, v9
	v_lshl_add_u32 v17, v17, 23, 0x3c000000
	v_and_b32_e32 v18, 0x80000000, v18
	v_or3_b32 v9, v9, v18, v17
.LBB360_564:                            ;   in Loop: Header=BB360_506 Depth=1
	s_or_b32 exec_lo, exec_lo, s16
.LBB360_565:                            ;   in Loop: Header=BB360_506 Depth=1
	s_or_b32 exec_lo, exec_lo, s15
.LBB360_566:                            ;   in Loop: Header=BB360_506 Depth=1
	s_or_b32 exec_lo, exec_lo, s0
	s_waitcnt lgkmcnt(0)
	v_mul_f32_e32 v17, s5, v19
	v_mul_f32_e32 v18, s5, v42
	;; [unrolled: 1-line block ×5, first 2 shown]
	v_bfe_u32 v20, v17, 16, 1
	v_or_b32_e32 v42, 0x400000, v17
	v_bfe_u32 v43, v18, 16, 1
	v_cmp_u_f32_e64 s0, v17, v17
	v_or_b32_e32 v45, 0x400000, v18
	v_add3_u32 v20, v20, v17, 0x7fff
	v_bfe_u32 v46, v19, 16, 1
	v_add3_u32 v43, v43, v18, 0x7fff
	v_or_b32_e32 v47, 0x400000, v19
	v_mul_f32_e32 v9, s5, v9
	v_cndmask_b32_e64 v17, v20, v42, s0
	v_cmp_u_f32_e64 s0, v18, v18
	v_add3_u32 v42, v46, v19, 0x7fff
	v_bfe_u32 v20, v22, 16, 1
	v_add_nc_u32_e32 v50, -7, v34
	v_cmp_eq_u32_e32 vcc_lo, s13, v41
	v_cndmask_b32_e64 v18, v43, v45, s0
	v_cmp_u_f32_e64 s0, v19, v19
	v_lshrrev_b32_e32 v43, 16, v17
	v_mul_f32_e32 v19, s5, v21
	v_add3_u32 v20, v20, v22, 0x7fff
	v_or_b32_e32 v21, 0x400000, v22
	v_cndmask_b32_e64 v17, v42, v47, s0
	v_cmp_u_f32_e64 s0, v22, v22
	v_lshrrev_b32_e32 v42, 16, v18
	v_bfe_u32 v22, v0, 16, 1
	v_or_b32_e32 v47, 0x400000, v9
	v_lshrrev_b32_e32 v45, 16, v17
	v_bfe_u32 v17, v19, 16, 1
	v_cndmask_b32_e64 v18, v20, v21, s0
	v_mul_f32_e32 v20, s5, v44
	v_or_b32_e32 v21, 0x400000, v19
	v_cmp_u_f32_e64 s0, v19, v19
	v_add3_u32 v17, v17, v19, 0x7fff
	v_bfe_u32 v19, v9, 16, 1
	v_bfe_u32 v44, v20, 16, 1
	v_or_b32_e32 v46, 0x400000, v20
	v_add_nc_u32_e32 v61, -6, v34
	v_cndmask_b32_e64 v17, v17, v21, s0
	v_add3_u32 v21, v22, v0, 0x7fff
	v_or_b32_e32 v22, 0x400000, v0
	v_cmp_u_f32_e64 s0, v0, v0
	v_add3_u32 v44, v44, v20, 0x7fff
	v_add3_u32 v19, v19, v9, 0x7fff
	v_lshrrev_b32_e32 v49, 16, v17
	v_add_nc_u32_e32 v60, -5, v34
	v_cndmask_b32_e64 v0, v21, v22, s0
	v_cmp_u_f32_e64 s0, v20, v20
	v_add_nc_u32_e32 v59, -4, v34
	v_add_nc_u32_e32 v58, -3, v34
	;; [unrolled: 1-line block ×3, first 2 shown]
	v_lshrrev_b32_e32 v48, 16, v0
	v_cndmask_b32_e64 v20, v44, v46, s0
	v_cmp_u_f32_e64 s0, v9, v9
	v_add_nc_u32_e32 v56, -1, v34
	v_lshrrev_b32_e32 v44, 16, v20
	v_cndmask_b32_e64 v9, v19, v47, s0
	v_lshrrev_b32_e32 v47, 16, v18
	v_lshrrev_b32_e32 v46, 16, v9
	s_and_saveexec_b32 s15, vcc_lo
	s_cbranch_execz .LBB360_568
; %bb.567:                              ;   in Loop: Header=BB360_506 Depth=1
	v_cmp_gt_i32_e64 s0, s11, v50
	v_cndmask_b32_e64 v48, 0, v48, s0
	v_cmp_gt_i32_e64 s0, s11, v61
	v_cndmask_b32_e64 v49, 0, v49, s0
	;; [unrolled: 2-line block ×8, first 2 shown]
.LBB360_568:                            ;   in Loop: Header=BB360_506 Depth=1
	s_or_b32 exec_lo, exec_lo, s15
	global_load_dwordx2 v[17:18], v[15:16], off offset:256
	v_mov_b32_e32 v21, 0
	v_mov_b32_e32 v0, 0
	s_waitcnt vmcnt(0)
	v_cmp_ne_u16_sdwa s0, v17, v10 src0_sel:BYTE_0 src1_sel:DWORD
	s_and_saveexec_b32 s15, s0
	s_cbranch_execz .LBB360_574
; %bb.569:                              ;   in Loop: Header=BB360_506 Depth=1
	v_cmp_ne_u16_sdwa s0, v17, v36 src0_sel:BYTE_0 src1_sel:DWORD
	v_bfrev_b32_e32 v0, 1
	s_and_saveexec_b32 s16, s0
	s_cbranch_execz .LBB360_573
; %bb.570:                              ;   in Loop: Header=BB360_506 Depth=1
	v_and_b32_e32 v9, 0x7f, v17
	v_mov_b32_e32 v0, 0x7f800001
	s_mov_b32 s17, exec_lo
	v_cmpx_ne_u32_e32 0x7f, v9
	s_cbranch_execz .LBB360_572
; %bb.571:                              ;   in Loop: Header=BB360_506 Depth=1
	v_and_b32_e32 v0, 7, v17
	v_cmp_gt_u32_e64 s0, 8, v9
	v_lshrrev_b32_e32 v19, 3, v9
	v_ffbh_u32_e32 v0, v0
	v_min_u32_e32 v0, 32, v0
	v_subrev_nc_u32_e32 v20, 28, v0
	v_sub_nc_u32_e32 v0, 29, v0
	v_cndmask_b32_e64 v9, 0, v20, s0
	v_cndmask_b32_e64 v0, v19, v0, s0
	v_lshlrev_b64 v[19:20], v9, v[17:18]
	v_lshlrev_b32_e32 v9, 24, v17
	v_lshl_add_u32 v0, v0, 23, 0x3c000000
	v_and_b32_e32 v9, 0x80000000, v9
	v_lshlrev_b32_e32 v19, 20, v19
	v_and_b32_e32 v19, 0x700000, v19
	v_or3_b32 v0, v19, v9, v0
.LBB360_572:                            ;   in Loop: Header=BB360_506 Depth=1
	s_or_b32 exec_lo, exec_lo, s17
.LBB360_573:                            ;   in Loop: Header=BB360_506 Depth=1
	s_or_b32 exec_lo, exec_lo, s16
.LBB360_574:                            ;   in Loop: Header=BB360_506 Depth=1
	s_or_b32 exec_lo, exec_lo, s15
	v_cmp_ne_u16_sdwa s0, v17, v10 src0_sel:BYTE_1 src1_sel:DWORD
	s_and_saveexec_b32 s15, s0
	s_cbranch_execz .LBB360_582
; %bb.575:                              ;   in Loop: Header=BB360_506 Depth=1
	v_cmp_ne_u16_sdwa s0, v17, v36 src0_sel:BYTE_1 src1_sel:DWORD
	v_bfrev_b32_e32 v21, 1
	s_and_saveexec_b32 s16, s0
	s_cbranch_execz .LBB360_581
; %bb.576:                              ;   in Loop: Header=BB360_506 Depth=1
	v_and_b32_sdwa v9, v37, v17 dst_sel:DWORD dst_unused:UNUSED_PAD src0_sel:DWORD src1_sel:BYTE_1
	v_mov_b32_e32 v21, 0x7f800001
	s_mov_b32 s17, exec_lo
	v_and_b32_e32 v20, 0x7f, v9
	v_cmpx_ne_u32_e32 0x7f, v20
	s_cbranch_execz .LBB360_580
; %bb.577:                              ;   in Loop: Header=BB360_506 Depth=1
	v_and_b32_e32 v9, 7, v9
	v_lshrrev_b32_e32 v19, 3, v20
	s_mov_b32 s18, exec_lo
	v_cmpx_gt_u32_e32 8, v20
; %bb.578:                              ;   in Loop: Header=BB360_506 Depth=1
	v_ffbh_u32_e32 v19, v9
	v_min_u32_e32 v19, 32, v19
	v_subrev_nc_u32_e32 v20, 28, v19
	v_sub_nc_u32_e32 v19, 29, v19
	v_lshlrev_b64 v[20:21], v20, v[9:10]
	v_and_b32_e32 v9, 7, v20
; %bb.579:                              ;   in Loop: Header=BB360_506 Depth=1
	s_or_b32 exec_lo, exec_lo, s18
	v_lshlrev_b32_e32 v20, 16, v17
	v_lshlrev_b32_e32 v9, 20, v9
	v_lshl_add_u32 v19, v19, 23, 0x3c000000
	v_and_b32_e32 v20, 0x80000000, v20
	v_or3_b32 v21, v9, v20, v19
.LBB360_580:                            ;   in Loop: Header=BB360_506 Depth=1
	s_or_b32 exec_lo, exec_lo, s17
.LBB360_581:                            ;   in Loop: Header=BB360_506 Depth=1
	s_or_b32 exec_lo, exec_lo, s16
.LBB360_582:                            ;   in Loop: Header=BB360_506 Depth=1
	s_or_b32 exec_lo, exec_lo, s15
	v_and_b32_sdwa v9, v17, v38 dst_sel:DWORD dst_unused:UNUSED_PAD src0_sel:WORD_1 src1_sel:DWORD
	v_mov_b32_e32 v51, 0
	v_mov_b32_e32 v22, 0
	s_mov_b32 s15, exec_lo
	v_cmpx_ne_u16_e32 0, v9
	s_cbranch_execz .LBB360_590
; %bb.583:                              ;   in Loop: Header=BB360_506 Depth=1
	v_bfrev_b32_e32 v22, 1
	s_mov_b32 s16, exec_lo
	v_cmpx_ne_u16_e32 0x80, v9
	s_cbranch_execz .LBB360_589
; %bb.584:                              ;   in Loop: Header=BB360_506 Depth=1
	v_bfe_u32 v20, v17, 16, 7
	v_mov_b32_e32 v22, 0x7f800001
	s_mov_b32 s17, exec_lo
	v_cmpx_ne_u32_e32 0x7f, v20
	s_cbranch_execz .LBB360_588
; %bb.585:                              ;   in Loop: Header=BB360_506 Depth=1
	v_and_b32_sdwa v9, v17, v39 dst_sel:DWORD dst_unused:UNUSED_PAD src0_sel:WORD_1 src1_sel:DWORD
	v_lshrrev_b32_e32 v19, 3, v20
	s_mov_b32 s18, exec_lo
	v_cmpx_gt_u32_e32 8, v20
; %bb.586:                              ;   in Loop: Header=BB360_506 Depth=1
	v_ffbh_u32_e32 v19, v9
	v_min_u32_e32 v19, 32, v19
	v_subrev_nc_u32_e32 v20, 28, v19
	v_sub_nc_u32_e32 v19, 29, v19
	v_lshlrev_b64 v[52:53], v20, v[9:10]
	v_and_b32_e32 v9, 7, v52
; %bb.587:                              ;   in Loop: Header=BB360_506 Depth=1
	s_or_b32 exec_lo, exec_lo, s18
	v_lshlrev_b32_sdwa v20, v40, v17 dst_sel:DWORD dst_unused:UNUSED_PAD src0_sel:DWORD src1_sel:WORD_1
	v_lshlrev_b32_e32 v9, 20, v9
	v_lshl_add_u32 v19, v19, 23, 0x3c000000
	v_and_b32_e32 v20, 0x80000000, v20
	v_or3_b32 v22, v9, v20, v19
.LBB360_588:                            ;   in Loop: Header=BB360_506 Depth=1
	s_or_b32 exec_lo, exec_lo, s17
.LBB360_589:                            ;   in Loop: Header=BB360_506 Depth=1
	s_or_b32 exec_lo, exec_lo, s16
.LBB360_590:                            ;   in Loop: Header=BB360_506 Depth=1
	s_or_b32 exec_lo, exec_lo, s15
	s_mov_b32 s15, exec_lo
	v_cmpx_lt_u32_e32 0xffffff, v17
	s_cbranch_execz .LBB360_598
; %bb.591:                              ;   in Loop: Header=BB360_506 Depth=1
	v_cmp_ne_u32_sdwa s0, v17, v36 src0_sel:BYTE_3 src1_sel:DWORD
	v_bfrev_b32_e32 v51, 1
	s_and_saveexec_b32 s16, s0
	s_cbranch_execz .LBB360_597
; %bb.592:                              ;   in Loop: Header=BB360_506 Depth=1
	v_bfe_u32 v20, v17, 24, 7
	v_mov_b32_e32 v51, 0x7f800001
	s_mov_b32 s17, exec_lo
	v_cmpx_ne_u32_e32 0x7f, v20
	s_cbranch_execz .LBB360_596
; %bb.593:                              ;   in Loop: Header=BB360_506 Depth=1
	v_and_b32_sdwa v9, v17, v39 dst_sel:DWORD dst_unused:UNUSED_PAD src0_sel:BYTE_3 src1_sel:DWORD
	v_lshrrev_b32_e32 v19, 3, v20
	s_mov_b32 s18, exec_lo
	v_cmpx_gt_u32_e32 8, v20
; %bb.594:                              ;   in Loop: Header=BB360_506 Depth=1
	v_ffbh_u32_e32 v19, v9
	v_min_u32_e32 v19, 32, v19
	v_subrev_nc_u32_e32 v20, 28, v19
	v_sub_nc_u32_e32 v19, 29, v19
	v_lshlrev_b64 v[51:52], v20, v[9:10]
	v_and_b32_e32 v9, 7, v51
; %bb.595:                              ;   in Loop: Header=BB360_506 Depth=1
	s_or_b32 exec_lo, exec_lo, s18
	v_lshlrev_b32_sdwa v20, v40, v17 dst_sel:DWORD dst_unused:UNUSED_PAD src0_sel:DWORD src1_sel:BYTE_3
	v_lshlrev_b32_e32 v9, 20, v9
	v_lshl_add_u32 v19, v19, 23, 0x3c000000
	v_and_b32_e32 v20, 0x80000000, v20
	v_or3_b32 v51, v9, v20, v19
.LBB360_596:                            ;   in Loop: Header=BB360_506 Depth=1
	s_or_b32 exec_lo, exec_lo, s17
.LBB360_597:                            ;   in Loop: Header=BB360_506 Depth=1
	s_or_b32 exec_lo, exec_lo, s16
.LBB360_598:                            ;   in Loop: Header=BB360_506 Depth=1
	s_or_b32 exec_lo, exec_lo, s15
	v_mov_b32_e32 v9, v18
	v_cmp_ne_u16_sdwa s0, v18, v10 src0_sel:BYTE_0 src1_sel:DWORD
	v_mov_b32_e32 v19, 0
	v_mov_b32_e32 v52, 0
	s_and_saveexec_b32 s15, s0
	s_cbranch_execz .LBB360_604
; %bb.599:                              ;   in Loop: Header=BB360_506 Depth=1
	v_cmp_ne_u16_sdwa s0, v18, v36 src0_sel:BYTE_0 src1_sel:DWORD
	v_bfrev_b32_e32 v52, 1
	s_and_saveexec_b32 s16, s0
	s_cbranch_execz .LBB360_603
; %bb.600:                              ;   in Loop: Header=BB360_506 Depth=1
	v_and_b32_e32 v20, 0x7f, v18
	v_mov_b32_e32 v52, 0x7f800001
	s_mov_b32 s17, exec_lo
	v_cmpx_ne_u32_e32 0x7f, v20
	s_cbranch_execz .LBB360_602
; %bb.601:                              ;   in Loop: Header=BB360_506 Depth=1
	v_and_b32_e32 v52, 7, v18
	v_lshrrev_b32_e32 v53, 3, v20
	v_cmp_gt_u32_e64 s0, 8, v20
	v_ffbh_u32_e32 v52, v52
	v_min_u32_e32 v52, 32, v52
	v_subrev_nc_u32_e32 v54, 28, v52
	v_sub_nc_u32_e32 v52, 29, v52
	v_cndmask_b32_e64 v20, v53, v52, s0
	v_cndmask_b32_e64 v52, 0, v54, s0
	v_lshl_add_u32 v20, v20, 23, 0x3c000000
	v_lshlrev_b64 v[52:53], v52, v[9:10]
	v_lshlrev_b32_e32 v53, 24, v9
	v_lshlrev_b32_e32 v52, 20, v52
	v_and_b32_e32 v53, 0x80000000, v53
	v_and_b32_e32 v52, 0x700000, v52
	v_or3_b32 v52, v52, v53, v20
.LBB360_602:                            ;   in Loop: Header=BB360_506 Depth=1
	s_or_b32 exec_lo, exec_lo, s17
.LBB360_603:                            ;   in Loop: Header=BB360_506 Depth=1
	s_or_b32 exec_lo, exec_lo, s16
.LBB360_604:                            ;   in Loop: Header=BB360_506 Depth=1
	s_or_b32 exec_lo, exec_lo, s15
	v_cmp_ne_u16_sdwa s0, v9, v10 src0_sel:BYTE_1 src1_sel:DWORD
	s_and_saveexec_b32 s15, s0
	s_cbranch_execz .LBB360_612
; %bb.605:                              ;   in Loop: Header=BB360_506 Depth=1
	v_cmp_ne_u16_sdwa s0, v9, v36 src0_sel:BYTE_1 src1_sel:DWORD
	v_bfrev_b32_e32 v19, 1
	s_and_saveexec_b32 s16, s0
	s_cbranch_execz .LBB360_611
; %bb.606:                              ;   in Loop: Header=BB360_506 Depth=1
	v_and_b32_sdwa v20, v37, v9 dst_sel:DWORD dst_unused:UNUSED_PAD src0_sel:DWORD src1_sel:BYTE_1
	v_mov_b32_e32 v19, 0x7f800001
	s_mov_b32 s17, exec_lo
	v_and_b32_e32 v54, 0x7f, v20
	v_cmpx_ne_u32_e32 0x7f, v54
	s_cbranch_execz .LBB360_610
; %bb.607:                              ;   in Loop: Header=BB360_506 Depth=1
	v_and_b32_e32 v19, 7, v20
	v_mov_b32_e32 v20, v10
	v_lshrrev_b32_e32 v53, 3, v54
	s_mov_b32 s18, exec_lo
	v_cmpx_gt_u32_e32 8, v54
; %bb.608:                              ;   in Loop: Header=BB360_506 Depth=1
	v_ffbh_u32_e32 v53, v19
	v_min_u32_e32 v53, 32, v53
	v_subrev_nc_u32_e32 v54, 28, v53
	v_sub_nc_u32_e32 v53, 29, v53
	v_lshlrev_b64 v[19:20], v54, v[19:20]
	v_and_b32_e32 v19, 7, v19
; %bb.609:                              ;   in Loop: Header=BB360_506 Depth=1
	s_or_b32 exec_lo, exec_lo, s18
	v_lshlrev_b32_e32 v9, 16, v9
	v_lshlrev_b32_e32 v19, 20, v19
	v_lshl_add_u32 v20, v53, 23, 0x3c000000
	v_and_b32_e32 v9, 0x80000000, v9
	v_or3_b32 v19, v19, v9, v20
.LBB360_610:                            ;   in Loop: Header=BB360_506 Depth=1
	s_or_b32 exec_lo, exec_lo, s17
.LBB360_611:                            ;   in Loop: Header=BB360_506 Depth=1
	s_or_b32 exec_lo, exec_lo, s16
.LBB360_612:                            ;   in Loop: Header=BB360_506 Depth=1
	s_or_b32 exec_lo, exec_lo, s15
	v_and_b32_sdwa v9, v18, v38 dst_sel:DWORD dst_unused:UNUSED_PAD src0_sel:WORD_1 src1_sel:DWORD
	v_mov_b32_e32 v20, 0
	v_mov_b32_e32 v53, 0
	s_mov_b32 s15, exec_lo
	v_cmpx_ne_u16_e32 0, v9
	s_cbranch_execz .LBB360_620
; %bb.613:                              ;   in Loop: Header=BB360_506 Depth=1
	v_bfrev_b32_e32 v53, 1
	s_mov_b32 s16, exec_lo
	v_cmpx_ne_u16_e32 0x80, v9
	s_cbranch_execz .LBB360_619
; %bb.614:                              ;   in Loop: Header=BB360_506 Depth=1
	v_bfe_u32 v54, v18, 16, 7
	v_mov_b32_e32 v53, 0x7f800001
	s_mov_b32 s17, exec_lo
	v_cmpx_ne_u32_e32 0x7f, v54
	s_cbranch_execz .LBB360_618
; %bb.615:                              ;   in Loop: Header=BB360_506 Depth=1
	v_and_b32_sdwa v9, v18, v39 dst_sel:DWORD dst_unused:UNUSED_PAD src0_sel:WORD_1 src1_sel:DWORD
	v_lshrrev_b32_e32 v53, 3, v54
	s_mov_b32 s18, exec_lo
	v_cmpx_gt_u32_e32 8, v54
; %bb.616:                              ;   in Loop: Header=BB360_506 Depth=1
	v_ffbh_u32_e32 v53, v9
	v_min_u32_e32 v53, 32, v53
	v_subrev_nc_u32_e32 v54, 28, v53
	v_sub_nc_u32_e32 v53, 29, v53
	v_lshlrev_b64 v[54:55], v54, v[9:10]
	v_and_b32_e32 v9, 7, v54
; %bb.617:                              ;   in Loop: Header=BB360_506 Depth=1
	s_or_b32 exec_lo, exec_lo, s18
	v_lshlrev_b32_sdwa v54, v40, v18 dst_sel:DWORD dst_unused:UNUSED_PAD src0_sel:DWORD src1_sel:WORD_1
	v_lshlrev_b32_e32 v9, 20, v9
	v_lshl_add_u32 v53, v53, 23, 0x3c000000
	v_and_b32_e32 v54, 0x80000000, v54
	v_or3_b32 v53, v9, v54, v53
.LBB360_618:                            ;   in Loop: Header=BB360_506 Depth=1
	s_or_b32 exec_lo, exec_lo, s17
.LBB360_619:                            ;   in Loop: Header=BB360_506 Depth=1
	s_or_b32 exec_lo, exec_lo, s16
.LBB360_620:                            ;   in Loop: Header=BB360_506 Depth=1
	s_or_b32 exec_lo, exec_lo, s15
	s_mov_b32 s15, exec_lo
	v_cmpx_lt_u64_e64 s[2:3], v[17:18]
	s_cbranch_execz .LBB360_628
; %bb.621:                              ;   in Loop: Header=BB360_506 Depth=1
	v_cmp_ne_u32_sdwa s0, v18, v36 src0_sel:BYTE_3 src1_sel:DWORD
	v_bfrev_b32_e32 v20, 1
	s_and_saveexec_b32 s16, s0
	s_cbranch_execz .LBB360_627
; %bb.622:                              ;   in Loop: Header=BB360_506 Depth=1
	v_bfe_u32 v54, v18, 24, 7
	v_mov_b32_e32 v20, 0x7f800001
	s_mov_b32 s17, exec_lo
	v_cmpx_ne_u32_e32 0x7f, v54
	s_cbranch_execz .LBB360_626
; %bb.623:                              ;   in Loop: Header=BB360_506 Depth=1
	v_and_b32_sdwa v9, v18, v39 dst_sel:DWORD dst_unused:UNUSED_PAD src0_sel:BYTE_3 src1_sel:DWORD
	v_lshrrev_b32_e32 v17, 3, v54
	s_mov_b32 s18, exec_lo
	v_cmpx_gt_u32_e32 8, v54
; %bb.624:                              ;   in Loop: Header=BB360_506 Depth=1
	v_ffbh_u32_e32 v17, v9
	v_min_u32_e32 v17, 32, v17
	v_subrev_nc_u32_e32 v20, 28, v17
	v_sub_nc_u32_e32 v17, 29, v17
	v_lshlrev_b64 v[54:55], v20, v[9:10]
	v_and_b32_e32 v9, 7, v54
; %bb.625:                              ;   in Loop: Header=BB360_506 Depth=1
	s_or_b32 exec_lo, exec_lo, s18
	v_lshlrev_b32_sdwa v18, v40, v18 dst_sel:DWORD dst_unused:UNUSED_PAD src0_sel:DWORD src1_sel:BYTE_3
	v_lshlrev_b32_e32 v9, 20, v9
	v_lshl_add_u32 v17, v17, 23, 0x3c000000
	v_and_b32_e32 v18, 0x80000000, v18
	v_or3_b32 v20, v9, v18, v17
.LBB360_626:                            ;   in Loop: Header=BB360_506 Depth=1
	s_or_b32 exec_lo, exec_lo, s17
.LBB360_627:                            ;   in Loop: Header=BB360_506 Depth=1
	s_or_b32 exec_lo, exec_lo, s16
.LBB360_628:                            ;   in Loop: Header=BB360_506 Depth=1
	s_or_b32 exec_lo, exec_lo, s15
	v_mul_f32_e32 v9, s5, v19
	v_mul_f32_e32 v17, s5, v52
	;; [unrolled: 1-line block ×5, first 2 shown]
	v_bfe_u32 v22, v9, 16, 1
	v_or_b32_e32 v51, 0x400000, v9
	v_bfe_u32 v52, v17, 16, 1
	v_cmp_u_f32_e64 s0, v9, v9
	v_or_b32_e32 v54, 0x400000, v17
	v_add3_u32 v22, v22, v9, 0x7fff
	v_bfe_u32 v55, v18, 16, 1
	v_add3_u32 v52, v52, v17, 0x7fff
	v_or_b32_e32 v62, 0x400000, v18
	v_bfe_u32 v63, v19, 16, 1
	v_cndmask_b32_e64 v9, v22, v51, s0
	v_cmp_u_f32_e64 s0, v17, v17
	v_add3_u32 v55, v55, v18, 0x7fff
	v_or_b32_e32 v22, 0x400000, v19
	v_mul_f32_e32 v20, s5, v20
	v_lshrrev_b32_e32 v51, 16, v9
	v_cndmask_b32_e64 v17, v52, v54, s0
	v_cmp_u_f32_e64 s0, v18, v18
	v_mul_f32_e32 v9, s5, v21
	v_add3_u32 v21, v63, v19, 0x7fff
	v_lshrrev_b32_e32 v52, 16, v17
	v_cndmask_b32_e64 v18, v55, v62, s0
	v_bfe_u32 v17, v9, 16, 1
	v_cmp_u_f32_e64 s0, v19, v19
	v_mul_f32_e32 v19, s5, v53
	v_or_b32_e32 v62, 0x400000, v20
	v_lshrrev_b32_e32 v54, 16, v18
	v_add3_u32 v17, v17, v9, 0x7fff
	v_cndmask_b32_e64 v18, v21, v22, s0
	v_or_b32_e32 v21, 0x400000, v9
	v_bfe_u32 v22, v0, 16, 1
	v_cmp_u_f32_e64 s0, v9, v9
	v_bfe_u32 v53, v19, 16, 1
	v_or_b32_e32 v55, 0x400000, v19
	v_cndmask_b32_e64 v9, v17, v21, s0
	v_add3_u32 v21, v22, v0, 0x7fff
	v_or_b32_e32 v22, 0x400000, v0
	v_cmp_u_f32_e64 s0, v0, v0
	v_bfe_u32 v17, v20, 16, 1
	v_add3_u32 v53, v53, v19, 0x7fff
	v_lshrrev_b32_e32 v64, 16, v9
	v_cndmask_b32_e64 v0, v21, v22, s0
	v_cmp_u_f32_e64 s0, v19, v19
	v_add3_u32 v17, v17, v20, 0x7fff
	v_lshrrev_b32_e32 v63, 16, v0
	v_cndmask_b32_e64 v19, v53, v55, s0
	v_cmp_u_f32_e64 s0, v20, v20
	v_lshrrev_b32_e32 v53, 16, v19
	v_cndmask_b32_e64 v17, v17, v62, s0
	v_lshrrev_b32_e32 v62, 16, v18
	v_lshrrev_b32_e32 v55, 16, v17
	s_and_saveexec_b32 s15, vcc_lo
	s_cbranch_execz .LBB360_630
; %bb.629:                              ;   in Loop: Header=BB360_506 Depth=1
	v_cmp_gt_i32_e64 s0, s11, v50
	v_cndmask_b32_e64 v63, 0, v63, s0
	v_cmp_gt_i32_e64 s0, s11, v61
	v_cndmask_b32_e64 v64, 0, v64, s0
	;; [unrolled: 2-line block ×8, first 2 shown]
.LBB360_630:                            ;   in Loop: Header=BB360_506 Depth=1
	s_or_b32 exec_lo, exec_lo, s15
	global_load_dwordx2 v[17:18], v[15:16], off offset:512
	v_mov_b32_e32 v21, 0
	v_mov_b32_e32 v0, 0
	s_waitcnt vmcnt(0)
	v_cmp_ne_u16_sdwa s0, v17, v10 src0_sel:BYTE_0 src1_sel:DWORD
	s_and_saveexec_b32 s15, s0
	s_cbranch_execz .LBB360_636
; %bb.631:                              ;   in Loop: Header=BB360_506 Depth=1
	v_cmp_ne_u16_sdwa s0, v17, v36 src0_sel:BYTE_0 src1_sel:DWORD
	v_bfrev_b32_e32 v0, 1
	s_and_saveexec_b32 s16, s0
	s_cbranch_execz .LBB360_635
; %bb.632:                              ;   in Loop: Header=BB360_506 Depth=1
	v_and_b32_e32 v9, 0x7f, v17
	v_mov_b32_e32 v0, 0x7f800001
	s_mov_b32 s17, exec_lo
	v_cmpx_ne_u32_e32 0x7f, v9
	s_cbranch_execz .LBB360_634
; %bb.633:                              ;   in Loop: Header=BB360_506 Depth=1
	v_and_b32_e32 v0, 7, v17
	v_cmp_gt_u32_e64 s0, 8, v9
	v_lshrrev_b32_e32 v19, 3, v9
	v_ffbh_u32_e32 v0, v0
	v_min_u32_e32 v0, 32, v0
	v_subrev_nc_u32_e32 v20, 28, v0
	v_sub_nc_u32_e32 v0, 29, v0
	v_cndmask_b32_e64 v9, 0, v20, s0
	v_cndmask_b32_e64 v0, v19, v0, s0
	v_lshlrev_b64 v[19:20], v9, v[17:18]
	v_lshlrev_b32_e32 v9, 24, v17
	v_lshl_add_u32 v0, v0, 23, 0x3c000000
	v_and_b32_e32 v9, 0x80000000, v9
	v_lshlrev_b32_e32 v19, 20, v19
	v_and_b32_e32 v19, 0x700000, v19
	v_or3_b32 v0, v19, v9, v0
.LBB360_634:                            ;   in Loop: Header=BB360_506 Depth=1
	s_or_b32 exec_lo, exec_lo, s17
.LBB360_635:                            ;   in Loop: Header=BB360_506 Depth=1
	s_or_b32 exec_lo, exec_lo, s16
.LBB360_636:                            ;   in Loop: Header=BB360_506 Depth=1
	s_or_b32 exec_lo, exec_lo, s15
	v_cmp_ne_u16_sdwa s0, v17, v10 src0_sel:BYTE_1 src1_sel:DWORD
	s_and_saveexec_b32 s15, s0
	s_cbranch_execz .LBB360_644
; %bb.637:                              ;   in Loop: Header=BB360_506 Depth=1
	v_cmp_ne_u16_sdwa s0, v17, v36 src0_sel:BYTE_1 src1_sel:DWORD
	v_bfrev_b32_e32 v21, 1
	s_and_saveexec_b32 s16, s0
	s_cbranch_execz .LBB360_643
; %bb.638:                              ;   in Loop: Header=BB360_506 Depth=1
	v_and_b32_sdwa v9, v37, v17 dst_sel:DWORD dst_unused:UNUSED_PAD src0_sel:DWORD src1_sel:BYTE_1
	v_mov_b32_e32 v21, 0x7f800001
	s_mov_b32 s17, exec_lo
	v_and_b32_e32 v20, 0x7f, v9
	v_cmpx_ne_u32_e32 0x7f, v20
	s_cbranch_execz .LBB360_642
; %bb.639:                              ;   in Loop: Header=BB360_506 Depth=1
	v_and_b32_e32 v9, 7, v9
	v_lshrrev_b32_e32 v19, 3, v20
	s_mov_b32 s18, exec_lo
	v_cmpx_gt_u32_e32 8, v20
; %bb.640:                              ;   in Loop: Header=BB360_506 Depth=1
	v_ffbh_u32_e32 v19, v9
	v_min_u32_e32 v19, 32, v19
	v_subrev_nc_u32_e32 v20, 28, v19
	v_sub_nc_u32_e32 v19, 29, v19
	v_lshlrev_b64 v[20:21], v20, v[9:10]
	v_and_b32_e32 v9, 7, v20
; %bb.641:                              ;   in Loop: Header=BB360_506 Depth=1
	s_or_b32 exec_lo, exec_lo, s18
	v_lshlrev_b32_e32 v20, 16, v17
	v_lshlrev_b32_e32 v9, 20, v9
	v_lshl_add_u32 v19, v19, 23, 0x3c000000
	v_and_b32_e32 v20, 0x80000000, v20
	v_or3_b32 v21, v9, v20, v19
.LBB360_642:                            ;   in Loop: Header=BB360_506 Depth=1
	s_or_b32 exec_lo, exec_lo, s17
.LBB360_643:                            ;   in Loop: Header=BB360_506 Depth=1
	s_or_b32 exec_lo, exec_lo, s16
.LBB360_644:                            ;   in Loop: Header=BB360_506 Depth=1
	s_or_b32 exec_lo, exec_lo, s15
	v_and_b32_sdwa v9, v17, v38 dst_sel:DWORD dst_unused:UNUSED_PAD src0_sel:WORD_1 src1_sel:DWORD
	v_mov_b32_e32 v65, 0
	v_mov_b32_e32 v22, 0
	s_mov_b32 s15, exec_lo
	v_cmpx_ne_u16_e32 0, v9
	s_cbranch_execz .LBB360_652
; %bb.645:                              ;   in Loop: Header=BB360_506 Depth=1
	v_bfrev_b32_e32 v22, 1
	s_mov_b32 s16, exec_lo
	v_cmpx_ne_u16_e32 0x80, v9
	s_cbranch_execz .LBB360_651
; %bb.646:                              ;   in Loop: Header=BB360_506 Depth=1
	v_bfe_u32 v20, v17, 16, 7
	v_mov_b32_e32 v22, 0x7f800001
	s_mov_b32 s17, exec_lo
	v_cmpx_ne_u32_e32 0x7f, v20
	s_cbranch_execz .LBB360_650
; %bb.647:                              ;   in Loop: Header=BB360_506 Depth=1
	v_and_b32_sdwa v9, v17, v39 dst_sel:DWORD dst_unused:UNUSED_PAD src0_sel:WORD_1 src1_sel:DWORD
	v_lshrrev_b32_e32 v19, 3, v20
	s_mov_b32 s18, exec_lo
	v_cmpx_gt_u32_e32 8, v20
; %bb.648:                              ;   in Loop: Header=BB360_506 Depth=1
	v_ffbh_u32_e32 v19, v9
	v_min_u32_e32 v19, 32, v19
	v_subrev_nc_u32_e32 v20, 28, v19
	v_sub_nc_u32_e32 v19, 29, v19
	v_lshlrev_b64 v[66:67], v20, v[9:10]
	v_and_b32_e32 v9, 7, v66
; %bb.649:                              ;   in Loop: Header=BB360_506 Depth=1
	s_or_b32 exec_lo, exec_lo, s18
	v_lshlrev_b32_sdwa v20, v40, v17 dst_sel:DWORD dst_unused:UNUSED_PAD src0_sel:DWORD src1_sel:WORD_1
	v_lshlrev_b32_e32 v9, 20, v9
	v_lshl_add_u32 v19, v19, 23, 0x3c000000
	v_and_b32_e32 v20, 0x80000000, v20
	v_or3_b32 v22, v9, v20, v19
.LBB360_650:                            ;   in Loop: Header=BB360_506 Depth=1
	s_or_b32 exec_lo, exec_lo, s17
.LBB360_651:                            ;   in Loop: Header=BB360_506 Depth=1
	s_or_b32 exec_lo, exec_lo, s16
.LBB360_652:                            ;   in Loop: Header=BB360_506 Depth=1
	s_or_b32 exec_lo, exec_lo, s15
	s_mov_b32 s15, exec_lo
	v_cmpx_lt_u32_e32 0xffffff, v17
	s_cbranch_execz .LBB360_660
; %bb.653:                              ;   in Loop: Header=BB360_506 Depth=1
	v_cmp_ne_u32_sdwa s0, v17, v36 src0_sel:BYTE_3 src1_sel:DWORD
	v_bfrev_b32_e32 v65, 1
	s_and_saveexec_b32 s16, s0
	s_cbranch_execz .LBB360_659
; %bb.654:                              ;   in Loop: Header=BB360_506 Depth=1
	v_bfe_u32 v20, v17, 24, 7
	v_mov_b32_e32 v65, 0x7f800001
	s_mov_b32 s17, exec_lo
	v_cmpx_ne_u32_e32 0x7f, v20
	s_cbranch_execz .LBB360_658
; %bb.655:                              ;   in Loop: Header=BB360_506 Depth=1
	v_and_b32_sdwa v9, v17, v39 dst_sel:DWORD dst_unused:UNUSED_PAD src0_sel:BYTE_3 src1_sel:DWORD
	v_lshrrev_b32_e32 v19, 3, v20
	s_mov_b32 s18, exec_lo
	v_cmpx_gt_u32_e32 8, v20
; %bb.656:                              ;   in Loop: Header=BB360_506 Depth=1
	v_ffbh_u32_e32 v19, v9
	v_min_u32_e32 v19, 32, v19
	v_subrev_nc_u32_e32 v20, 28, v19
	v_sub_nc_u32_e32 v19, 29, v19
	v_lshlrev_b64 v[65:66], v20, v[9:10]
	v_and_b32_e32 v9, 7, v65
; %bb.657:                              ;   in Loop: Header=BB360_506 Depth=1
	s_or_b32 exec_lo, exec_lo, s18
	v_lshlrev_b32_sdwa v20, v40, v17 dst_sel:DWORD dst_unused:UNUSED_PAD src0_sel:DWORD src1_sel:BYTE_3
	v_lshlrev_b32_e32 v9, 20, v9
	v_lshl_add_u32 v19, v19, 23, 0x3c000000
	v_and_b32_e32 v20, 0x80000000, v20
	v_or3_b32 v65, v9, v20, v19
.LBB360_658:                            ;   in Loop: Header=BB360_506 Depth=1
	s_or_b32 exec_lo, exec_lo, s17
.LBB360_659:                            ;   in Loop: Header=BB360_506 Depth=1
	s_or_b32 exec_lo, exec_lo, s16
.LBB360_660:                            ;   in Loop: Header=BB360_506 Depth=1
	s_or_b32 exec_lo, exec_lo, s15
	v_mov_b32_e32 v9, v18
	v_cmp_ne_u16_sdwa s0, v18, v10 src0_sel:BYTE_0 src1_sel:DWORD
	v_mov_b32_e32 v19, 0
	v_mov_b32_e32 v66, 0
	s_and_saveexec_b32 s15, s0
	s_cbranch_execz .LBB360_666
; %bb.661:                              ;   in Loop: Header=BB360_506 Depth=1
	v_cmp_ne_u16_sdwa s0, v18, v36 src0_sel:BYTE_0 src1_sel:DWORD
	v_bfrev_b32_e32 v66, 1
	s_and_saveexec_b32 s16, s0
	s_cbranch_execz .LBB360_665
; %bb.662:                              ;   in Loop: Header=BB360_506 Depth=1
	v_and_b32_e32 v20, 0x7f, v18
	v_mov_b32_e32 v66, 0x7f800001
	s_mov_b32 s17, exec_lo
	v_cmpx_ne_u32_e32 0x7f, v20
	s_cbranch_execz .LBB360_664
; %bb.663:                              ;   in Loop: Header=BB360_506 Depth=1
	v_and_b32_e32 v66, 7, v18
	v_lshrrev_b32_e32 v67, 3, v20
	v_cmp_gt_u32_e64 s0, 8, v20
	v_ffbh_u32_e32 v66, v66
	v_min_u32_e32 v66, 32, v66
	v_subrev_nc_u32_e32 v68, 28, v66
	v_sub_nc_u32_e32 v66, 29, v66
	v_cndmask_b32_e64 v20, v67, v66, s0
	v_cndmask_b32_e64 v66, 0, v68, s0
	v_lshl_add_u32 v20, v20, 23, 0x3c000000
	v_lshlrev_b64 v[66:67], v66, v[9:10]
	v_lshlrev_b32_e32 v67, 24, v9
	v_lshlrev_b32_e32 v66, 20, v66
	v_and_b32_e32 v67, 0x80000000, v67
	v_and_b32_e32 v66, 0x700000, v66
	v_or3_b32 v66, v66, v67, v20
.LBB360_664:                            ;   in Loop: Header=BB360_506 Depth=1
	s_or_b32 exec_lo, exec_lo, s17
.LBB360_665:                            ;   in Loop: Header=BB360_506 Depth=1
	s_or_b32 exec_lo, exec_lo, s16
.LBB360_666:                            ;   in Loop: Header=BB360_506 Depth=1
	s_or_b32 exec_lo, exec_lo, s15
	v_cmp_ne_u16_sdwa s0, v9, v10 src0_sel:BYTE_1 src1_sel:DWORD
	s_and_saveexec_b32 s15, s0
	s_cbranch_execz .LBB360_674
; %bb.667:                              ;   in Loop: Header=BB360_506 Depth=1
	v_cmp_ne_u16_sdwa s0, v9, v36 src0_sel:BYTE_1 src1_sel:DWORD
	v_bfrev_b32_e32 v19, 1
	s_and_saveexec_b32 s16, s0
	s_cbranch_execz .LBB360_673
; %bb.668:                              ;   in Loop: Header=BB360_506 Depth=1
	v_and_b32_sdwa v20, v37, v9 dst_sel:DWORD dst_unused:UNUSED_PAD src0_sel:DWORD src1_sel:BYTE_1
	v_mov_b32_e32 v19, 0x7f800001
	s_mov_b32 s17, exec_lo
	v_and_b32_e32 v68, 0x7f, v20
	v_cmpx_ne_u32_e32 0x7f, v68
	s_cbranch_execz .LBB360_672
; %bb.669:                              ;   in Loop: Header=BB360_506 Depth=1
	v_and_b32_e32 v19, 7, v20
	v_mov_b32_e32 v20, v10
	v_lshrrev_b32_e32 v67, 3, v68
	s_mov_b32 s18, exec_lo
	v_cmpx_gt_u32_e32 8, v68
; %bb.670:                              ;   in Loop: Header=BB360_506 Depth=1
	v_ffbh_u32_e32 v67, v19
	v_min_u32_e32 v67, 32, v67
	v_subrev_nc_u32_e32 v68, 28, v67
	v_sub_nc_u32_e32 v67, 29, v67
	v_lshlrev_b64 v[19:20], v68, v[19:20]
	v_and_b32_e32 v19, 7, v19
; %bb.671:                              ;   in Loop: Header=BB360_506 Depth=1
	s_or_b32 exec_lo, exec_lo, s18
	v_lshlrev_b32_e32 v9, 16, v9
	v_lshlrev_b32_e32 v19, 20, v19
	v_lshl_add_u32 v20, v67, 23, 0x3c000000
	v_and_b32_e32 v9, 0x80000000, v9
	v_or3_b32 v19, v19, v9, v20
.LBB360_672:                            ;   in Loop: Header=BB360_506 Depth=1
	s_or_b32 exec_lo, exec_lo, s17
.LBB360_673:                            ;   in Loop: Header=BB360_506 Depth=1
	s_or_b32 exec_lo, exec_lo, s16
.LBB360_674:                            ;   in Loop: Header=BB360_506 Depth=1
	s_or_b32 exec_lo, exec_lo, s15
	v_and_b32_sdwa v9, v18, v38 dst_sel:DWORD dst_unused:UNUSED_PAD src0_sel:WORD_1 src1_sel:DWORD
	v_mov_b32_e32 v20, 0
	v_mov_b32_e32 v67, 0
	s_mov_b32 s15, exec_lo
	v_cmpx_ne_u16_e32 0, v9
	s_cbranch_execz .LBB360_682
; %bb.675:                              ;   in Loop: Header=BB360_506 Depth=1
	v_bfrev_b32_e32 v67, 1
	s_mov_b32 s16, exec_lo
	v_cmpx_ne_u16_e32 0x80, v9
	s_cbranch_execz .LBB360_681
; %bb.676:                              ;   in Loop: Header=BB360_506 Depth=1
	v_bfe_u32 v68, v18, 16, 7
	v_mov_b32_e32 v67, 0x7f800001
	s_mov_b32 s17, exec_lo
	v_cmpx_ne_u32_e32 0x7f, v68
	s_cbranch_execz .LBB360_680
; %bb.677:                              ;   in Loop: Header=BB360_506 Depth=1
	v_and_b32_sdwa v9, v18, v39 dst_sel:DWORD dst_unused:UNUSED_PAD src0_sel:WORD_1 src1_sel:DWORD
	v_lshrrev_b32_e32 v67, 3, v68
	s_mov_b32 s18, exec_lo
	v_cmpx_gt_u32_e32 8, v68
; %bb.678:                              ;   in Loop: Header=BB360_506 Depth=1
	v_ffbh_u32_e32 v67, v9
	v_min_u32_e32 v67, 32, v67
	v_subrev_nc_u32_e32 v68, 28, v67
	v_sub_nc_u32_e32 v67, 29, v67
	v_lshlrev_b64 v[68:69], v68, v[9:10]
	v_and_b32_e32 v9, 7, v68
; %bb.679:                              ;   in Loop: Header=BB360_506 Depth=1
	s_or_b32 exec_lo, exec_lo, s18
	v_lshlrev_b32_sdwa v68, v40, v18 dst_sel:DWORD dst_unused:UNUSED_PAD src0_sel:DWORD src1_sel:WORD_1
	v_lshlrev_b32_e32 v9, 20, v9
	v_lshl_add_u32 v67, v67, 23, 0x3c000000
	v_and_b32_e32 v68, 0x80000000, v68
	v_or3_b32 v67, v9, v68, v67
.LBB360_680:                            ;   in Loop: Header=BB360_506 Depth=1
	s_or_b32 exec_lo, exec_lo, s17
.LBB360_681:                            ;   in Loop: Header=BB360_506 Depth=1
	s_or_b32 exec_lo, exec_lo, s16
.LBB360_682:                            ;   in Loop: Header=BB360_506 Depth=1
	s_or_b32 exec_lo, exec_lo, s15
	s_mov_b32 s15, exec_lo
	v_cmpx_lt_u64_e64 s[2:3], v[17:18]
	s_cbranch_execz .LBB360_690
; %bb.683:                              ;   in Loop: Header=BB360_506 Depth=1
	v_cmp_ne_u32_sdwa s0, v18, v36 src0_sel:BYTE_3 src1_sel:DWORD
	v_bfrev_b32_e32 v20, 1
	s_and_saveexec_b32 s16, s0
	s_cbranch_execz .LBB360_689
; %bb.684:                              ;   in Loop: Header=BB360_506 Depth=1
	v_bfe_u32 v68, v18, 24, 7
	v_mov_b32_e32 v20, 0x7f800001
	s_mov_b32 s17, exec_lo
	v_cmpx_ne_u32_e32 0x7f, v68
	s_cbranch_execz .LBB360_688
; %bb.685:                              ;   in Loop: Header=BB360_506 Depth=1
	v_and_b32_sdwa v9, v18, v39 dst_sel:DWORD dst_unused:UNUSED_PAD src0_sel:BYTE_3 src1_sel:DWORD
	v_lshrrev_b32_e32 v17, 3, v68
	s_mov_b32 s18, exec_lo
	v_cmpx_gt_u32_e32 8, v68
; %bb.686:                              ;   in Loop: Header=BB360_506 Depth=1
	v_ffbh_u32_e32 v17, v9
	v_min_u32_e32 v17, 32, v17
	v_subrev_nc_u32_e32 v20, 28, v17
	v_sub_nc_u32_e32 v17, 29, v17
	v_lshlrev_b64 v[68:69], v20, v[9:10]
	v_and_b32_e32 v9, 7, v68
; %bb.687:                              ;   in Loop: Header=BB360_506 Depth=1
	s_or_b32 exec_lo, exec_lo, s18
	v_lshlrev_b32_sdwa v18, v40, v18 dst_sel:DWORD dst_unused:UNUSED_PAD src0_sel:DWORD src1_sel:BYTE_3
	v_lshlrev_b32_e32 v9, 20, v9
	v_lshl_add_u32 v17, v17, 23, 0x3c000000
	v_and_b32_e32 v18, 0x80000000, v18
	v_or3_b32 v20, v9, v18, v17
.LBB360_688:                            ;   in Loop: Header=BB360_506 Depth=1
	s_or_b32 exec_lo, exec_lo, s17
.LBB360_689:                            ;   in Loop: Header=BB360_506 Depth=1
	s_or_b32 exec_lo, exec_lo, s16
.LBB360_690:                            ;   in Loop: Header=BB360_506 Depth=1
	s_or_b32 exec_lo, exec_lo, s15
	v_mul_f32_e32 v9, s5, v19
	v_mul_f32_e32 v17, s5, v66
	;; [unrolled: 1-line block ×5, first 2 shown]
	v_bfe_u32 v22, v9, 16, 1
	v_or_b32_e32 v65, 0x400000, v9
	v_bfe_u32 v66, v17, 16, 1
	v_cmp_u_f32_e64 s0, v9, v9
	v_or_b32_e32 v68, 0x400000, v17
	v_add3_u32 v22, v22, v9, 0x7fff
	v_bfe_u32 v69, v18, 16, 1
	v_add3_u32 v66, v66, v17, 0x7fff
	v_or_b32_e32 v70, 0x400000, v18
	v_bfe_u32 v71, v19, 16, 1
	v_cndmask_b32_e64 v9, v22, v65, s0
	v_cmp_u_f32_e64 s0, v17, v17
	v_add3_u32 v69, v69, v18, 0x7fff
	v_or_b32_e32 v22, 0x400000, v19
	v_mul_f32_e32 v20, s5, v20
	v_lshrrev_b32_e32 v65, 16, v9
	v_cndmask_b32_e64 v17, v66, v68, s0
	v_cmp_u_f32_e64 s0, v18, v18
	v_mul_f32_e32 v9, s5, v21
	v_add3_u32 v21, v71, v19, 0x7fff
	v_lshrrev_b32_e32 v66, 16, v17
	v_cndmask_b32_e64 v18, v69, v70, s0
	v_bfe_u32 v17, v9, 16, 1
	v_cmp_u_f32_e64 s0, v19, v19
	v_mul_f32_e32 v19, s5, v67
	v_or_b32_e32 v70, 0x400000, v20
	v_lshrrev_b32_e32 v68, 16, v18
	v_add3_u32 v17, v17, v9, 0x7fff
	v_cndmask_b32_e64 v18, v21, v22, s0
	v_or_b32_e32 v21, 0x400000, v9
	v_bfe_u32 v22, v0, 16, 1
	v_cmp_u_f32_e64 s0, v9, v9
	v_bfe_u32 v67, v19, 16, 1
	v_or_b32_e32 v69, 0x400000, v19
	v_cndmask_b32_e64 v9, v17, v21, s0
	v_add3_u32 v21, v22, v0, 0x7fff
	v_or_b32_e32 v22, 0x400000, v0
	v_cmp_u_f32_e64 s0, v0, v0
	v_bfe_u32 v17, v20, 16, 1
	v_add3_u32 v67, v67, v19, 0x7fff
	v_lshrrev_b32_e32 v72, 16, v9
	v_cndmask_b32_e64 v0, v21, v22, s0
	v_cmp_u_f32_e64 s0, v19, v19
	v_add3_u32 v17, v17, v20, 0x7fff
	v_lshrrev_b32_e32 v71, 16, v0
	v_cndmask_b32_e64 v19, v67, v69, s0
	v_cmp_u_f32_e64 s0, v20, v20
	v_lshrrev_b32_e32 v67, 16, v19
	v_cndmask_b32_e64 v17, v17, v70, s0
	v_lshrrev_b32_e32 v70, 16, v18
	v_lshrrev_b32_e32 v69, 16, v17
	s_and_saveexec_b32 s15, vcc_lo
	s_cbranch_execz .LBB360_692
; %bb.691:                              ;   in Loop: Header=BB360_506 Depth=1
	v_cmp_gt_i32_e64 s0, s11, v50
	v_cndmask_b32_e64 v71, 0, v71, s0
	v_cmp_gt_i32_e64 s0, s11, v61
	v_cndmask_b32_e64 v72, 0, v72, s0
	;; [unrolled: 2-line block ×8, first 2 shown]
.LBB360_692:                            ;   in Loop: Header=BB360_506 Depth=1
	s_or_b32 exec_lo, exec_lo, s15
	global_load_dwordx2 v[17:18], v[15:16], off offset:768
	v_mov_b32_e32 v21, 0
	v_mov_b32_e32 v0, 0
	s_waitcnt vmcnt(0)
	v_cmp_ne_u16_sdwa s0, v17, v10 src0_sel:BYTE_0 src1_sel:DWORD
	s_and_saveexec_b32 s15, s0
	s_cbranch_execz .LBB360_698
; %bb.693:                              ;   in Loop: Header=BB360_506 Depth=1
	v_cmp_ne_u16_sdwa s0, v17, v36 src0_sel:BYTE_0 src1_sel:DWORD
	v_bfrev_b32_e32 v0, 1
	s_and_saveexec_b32 s16, s0
	s_cbranch_execz .LBB360_697
; %bb.694:                              ;   in Loop: Header=BB360_506 Depth=1
	v_and_b32_e32 v9, 0x7f, v17
	v_mov_b32_e32 v0, 0x7f800001
	s_mov_b32 s17, exec_lo
	v_cmpx_ne_u32_e32 0x7f, v9
	s_cbranch_execz .LBB360_696
; %bb.695:                              ;   in Loop: Header=BB360_506 Depth=1
	v_and_b32_e32 v0, 7, v17
	v_cmp_gt_u32_e64 s0, 8, v9
	v_lshrrev_b32_e32 v19, 3, v9
	v_ffbh_u32_e32 v0, v0
	v_min_u32_e32 v0, 32, v0
	v_subrev_nc_u32_e32 v20, 28, v0
	v_sub_nc_u32_e32 v0, 29, v0
	v_cndmask_b32_e64 v9, 0, v20, s0
	v_cndmask_b32_e64 v0, v19, v0, s0
	v_lshlrev_b64 v[19:20], v9, v[17:18]
	v_lshlrev_b32_e32 v9, 24, v17
	v_lshl_add_u32 v0, v0, 23, 0x3c000000
	v_and_b32_e32 v9, 0x80000000, v9
	v_lshlrev_b32_e32 v19, 20, v19
	v_and_b32_e32 v19, 0x700000, v19
	v_or3_b32 v0, v19, v9, v0
.LBB360_696:                            ;   in Loop: Header=BB360_506 Depth=1
	s_or_b32 exec_lo, exec_lo, s17
.LBB360_697:                            ;   in Loop: Header=BB360_506 Depth=1
	s_or_b32 exec_lo, exec_lo, s16
.LBB360_698:                            ;   in Loop: Header=BB360_506 Depth=1
	s_or_b32 exec_lo, exec_lo, s15
	v_cmp_ne_u16_sdwa s0, v17, v10 src0_sel:BYTE_1 src1_sel:DWORD
	s_and_saveexec_b32 s15, s0
	s_cbranch_execz .LBB360_706
; %bb.699:                              ;   in Loop: Header=BB360_506 Depth=1
	v_cmp_ne_u16_sdwa s0, v17, v36 src0_sel:BYTE_1 src1_sel:DWORD
	v_bfrev_b32_e32 v21, 1
	s_and_saveexec_b32 s16, s0
	s_cbranch_execz .LBB360_705
; %bb.700:                              ;   in Loop: Header=BB360_506 Depth=1
	v_and_b32_sdwa v9, v37, v17 dst_sel:DWORD dst_unused:UNUSED_PAD src0_sel:DWORD src1_sel:BYTE_1
	v_mov_b32_e32 v21, 0x7f800001
	s_mov_b32 s17, exec_lo
	v_and_b32_e32 v20, 0x7f, v9
	v_cmpx_ne_u32_e32 0x7f, v20
	s_cbranch_execz .LBB360_704
; %bb.701:                              ;   in Loop: Header=BB360_506 Depth=1
	v_and_b32_e32 v9, 7, v9
	v_lshrrev_b32_e32 v19, 3, v20
	s_mov_b32 s18, exec_lo
	v_cmpx_gt_u32_e32 8, v20
; %bb.702:                              ;   in Loop: Header=BB360_506 Depth=1
	v_ffbh_u32_e32 v19, v9
	v_min_u32_e32 v19, 32, v19
	v_subrev_nc_u32_e32 v20, 28, v19
	v_sub_nc_u32_e32 v19, 29, v19
	v_lshlrev_b64 v[20:21], v20, v[9:10]
	v_and_b32_e32 v9, 7, v20
; %bb.703:                              ;   in Loop: Header=BB360_506 Depth=1
	s_or_b32 exec_lo, exec_lo, s18
	v_lshlrev_b32_e32 v20, 16, v17
	v_lshlrev_b32_e32 v9, 20, v9
	v_lshl_add_u32 v19, v19, 23, 0x3c000000
	v_and_b32_e32 v20, 0x80000000, v20
	v_or3_b32 v21, v9, v20, v19
.LBB360_704:                            ;   in Loop: Header=BB360_506 Depth=1
	s_or_b32 exec_lo, exec_lo, s17
.LBB360_705:                            ;   in Loop: Header=BB360_506 Depth=1
	s_or_b32 exec_lo, exec_lo, s16
.LBB360_706:                            ;   in Loop: Header=BB360_506 Depth=1
	s_or_b32 exec_lo, exec_lo, s15
	v_and_b32_sdwa v9, v17, v38 dst_sel:DWORD dst_unused:UNUSED_PAD src0_sel:WORD_1 src1_sel:DWORD
	v_mov_b32_e32 v73, 0
	v_mov_b32_e32 v22, 0
	s_mov_b32 s15, exec_lo
	v_cmpx_ne_u16_e32 0, v9
	s_cbranch_execz .LBB360_714
; %bb.707:                              ;   in Loop: Header=BB360_506 Depth=1
	v_bfrev_b32_e32 v22, 1
	s_mov_b32 s16, exec_lo
	v_cmpx_ne_u16_e32 0x80, v9
	s_cbranch_execz .LBB360_713
; %bb.708:                              ;   in Loop: Header=BB360_506 Depth=1
	v_bfe_u32 v20, v17, 16, 7
	v_mov_b32_e32 v22, 0x7f800001
	s_mov_b32 s17, exec_lo
	v_cmpx_ne_u32_e32 0x7f, v20
	s_cbranch_execz .LBB360_712
; %bb.709:                              ;   in Loop: Header=BB360_506 Depth=1
	v_and_b32_sdwa v9, v17, v39 dst_sel:DWORD dst_unused:UNUSED_PAD src0_sel:WORD_1 src1_sel:DWORD
	v_lshrrev_b32_e32 v19, 3, v20
	s_mov_b32 s18, exec_lo
	v_cmpx_gt_u32_e32 8, v20
; %bb.710:                              ;   in Loop: Header=BB360_506 Depth=1
	v_ffbh_u32_e32 v19, v9
	v_min_u32_e32 v19, 32, v19
	v_subrev_nc_u32_e32 v20, 28, v19
	v_sub_nc_u32_e32 v19, 29, v19
	v_lshlrev_b64 v[74:75], v20, v[9:10]
	v_and_b32_e32 v9, 7, v74
; %bb.711:                              ;   in Loop: Header=BB360_506 Depth=1
	s_or_b32 exec_lo, exec_lo, s18
	v_lshlrev_b32_sdwa v20, v40, v17 dst_sel:DWORD dst_unused:UNUSED_PAD src0_sel:DWORD src1_sel:WORD_1
	v_lshlrev_b32_e32 v9, 20, v9
	v_lshl_add_u32 v19, v19, 23, 0x3c000000
	v_and_b32_e32 v20, 0x80000000, v20
	v_or3_b32 v22, v9, v20, v19
.LBB360_712:                            ;   in Loop: Header=BB360_506 Depth=1
	s_or_b32 exec_lo, exec_lo, s17
.LBB360_713:                            ;   in Loop: Header=BB360_506 Depth=1
	s_or_b32 exec_lo, exec_lo, s16
.LBB360_714:                            ;   in Loop: Header=BB360_506 Depth=1
	s_or_b32 exec_lo, exec_lo, s15
	s_mov_b32 s15, exec_lo
	v_cmpx_lt_u32_e32 0xffffff, v17
	s_cbranch_execz .LBB360_722
; %bb.715:                              ;   in Loop: Header=BB360_506 Depth=1
	v_cmp_ne_u32_sdwa s0, v17, v36 src0_sel:BYTE_3 src1_sel:DWORD
	v_bfrev_b32_e32 v73, 1
	s_and_saveexec_b32 s16, s0
	s_cbranch_execz .LBB360_721
; %bb.716:                              ;   in Loop: Header=BB360_506 Depth=1
	v_bfe_u32 v20, v17, 24, 7
	v_mov_b32_e32 v73, 0x7f800001
	s_mov_b32 s17, exec_lo
	v_cmpx_ne_u32_e32 0x7f, v20
	s_cbranch_execz .LBB360_720
; %bb.717:                              ;   in Loop: Header=BB360_506 Depth=1
	v_and_b32_sdwa v9, v17, v39 dst_sel:DWORD dst_unused:UNUSED_PAD src0_sel:BYTE_3 src1_sel:DWORD
	v_lshrrev_b32_e32 v19, 3, v20
	s_mov_b32 s18, exec_lo
	v_cmpx_gt_u32_e32 8, v20
; %bb.718:                              ;   in Loop: Header=BB360_506 Depth=1
	v_ffbh_u32_e32 v19, v9
	v_min_u32_e32 v19, 32, v19
	v_subrev_nc_u32_e32 v20, 28, v19
	v_sub_nc_u32_e32 v19, 29, v19
	v_lshlrev_b64 v[73:74], v20, v[9:10]
	v_and_b32_e32 v9, 7, v73
; %bb.719:                              ;   in Loop: Header=BB360_506 Depth=1
	s_or_b32 exec_lo, exec_lo, s18
	v_lshlrev_b32_sdwa v20, v40, v17 dst_sel:DWORD dst_unused:UNUSED_PAD src0_sel:DWORD src1_sel:BYTE_3
	v_lshlrev_b32_e32 v9, 20, v9
	v_lshl_add_u32 v19, v19, 23, 0x3c000000
	v_and_b32_e32 v20, 0x80000000, v20
	v_or3_b32 v73, v9, v20, v19
.LBB360_720:                            ;   in Loop: Header=BB360_506 Depth=1
	s_or_b32 exec_lo, exec_lo, s17
.LBB360_721:                            ;   in Loop: Header=BB360_506 Depth=1
	s_or_b32 exec_lo, exec_lo, s16
.LBB360_722:                            ;   in Loop: Header=BB360_506 Depth=1
	s_or_b32 exec_lo, exec_lo, s15
	v_mov_b32_e32 v9, v18
	v_cmp_ne_u16_sdwa s0, v18, v10 src0_sel:BYTE_0 src1_sel:DWORD
	v_mov_b32_e32 v19, 0
	v_mov_b32_e32 v74, 0
	s_and_saveexec_b32 s15, s0
	s_cbranch_execz .LBB360_728
; %bb.723:                              ;   in Loop: Header=BB360_506 Depth=1
	v_cmp_ne_u16_sdwa s0, v18, v36 src0_sel:BYTE_0 src1_sel:DWORD
	v_bfrev_b32_e32 v74, 1
	s_and_saveexec_b32 s16, s0
	s_cbranch_execz .LBB360_727
; %bb.724:                              ;   in Loop: Header=BB360_506 Depth=1
	v_and_b32_e32 v20, 0x7f, v18
	v_mov_b32_e32 v74, 0x7f800001
	s_mov_b32 s17, exec_lo
	v_cmpx_ne_u32_e32 0x7f, v20
	s_cbranch_execz .LBB360_726
; %bb.725:                              ;   in Loop: Header=BB360_506 Depth=1
	v_and_b32_e32 v74, 7, v18
	v_lshrrev_b32_e32 v75, 3, v20
	v_cmp_gt_u32_e64 s0, 8, v20
	v_ffbh_u32_e32 v74, v74
	v_min_u32_e32 v74, 32, v74
	v_subrev_nc_u32_e32 v76, 28, v74
	v_sub_nc_u32_e32 v74, 29, v74
	v_cndmask_b32_e64 v20, v75, v74, s0
	v_cndmask_b32_e64 v74, 0, v76, s0
	v_lshl_add_u32 v20, v20, 23, 0x3c000000
	v_lshlrev_b64 v[74:75], v74, v[9:10]
	v_lshlrev_b32_e32 v75, 24, v9
	v_lshlrev_b32_e32 v74, 20, v74
	v_and_b32_e32 v75, 0x80000000, v75
	v_and_b32_e32 v74, 0x700000, v74
	v_or3_b32 v74, v74, v75, v20
.LBB360_726:                            ;   in Loop: Header=BB360_506 Depth=1
	s_or_b32 exec_lo, exec_lo, s17
.LBB360_727:                            ;   in Loop: Header=BB360_506 Depth=1
	s_or_b32 exec_lo, exec_lo, s16
.LBB360_728:                            ;   in Loop: Header=BB360_506 Depth=1
	s_or_b32 exec_lo, exec_lo, s15
	v_cmp_ne_u16_sdwa s0, v9, v10 src0_sel:BYTE_1 src1_sel:DWORD
	s_and_saveexec_b32 s15, s0
	s_cbranch_execz .LBB360_736
; %bb.729:                              ;   in Loop: Header=BB360_506 Depth=1
	v_cmp_ne_u16_sdwa s0, v9, v36 src0_sel:BYTE_1 src1_sel:DWORD
	v_bfrev_b32_e32 v19, 1
	s_and_saveexec_b32 s16, s0
	s_cbranch_execz .LBB360_735
; %bb.730:                              ;   in Loop: Header=BB360_506 Depth=1
	v_and_b32_sdwa v20, v37, v9 dst_sel:DWORD dst_unused:UNUSED_PAD src0_sel:DWORD src1_sel:BYTE_1
	v_mov_b32_e32 v19, 0x7f800001
	s_mov_b32 s17, exec_lo
	v_and_b32_e32 v76, 0x7f, v20
	v_cmpx_ne_u32_e32 0x7f, v76
	s_cbranch_execz .LBB360_734
; %bb.731:                              ;   in Loop: Header=BB360_506 Depth=1
	v_and_b32_e32 v19, 7, v20
	v_mov_b32_e32 v20, v10
	v_lshrrev_b32_e32 v75, 3, v76
	s_mov_b32 s18, exec_lo
	v_cmpx_gt_u32_e32 8, v76
; %bb.732:                              ;   in Loop: Header=BB360_506 Depth=1
	v_ffbh_u32_e32 v75, v19
	v_min_u32_e32 v75, 32, v75
	v_subrev_nc_u32_e32 v76, 28, v75
	v_sub_nc_u32_e32 v75, 29, v75
	v_lshlrev_b64 v[19:20], v76, v[19:20]
	v_and_b32_e32 v19, 7, v19
; %bb.733:                              ;   in Loop: Header=BB360_506 Depth=1
	s_or_b32 exec_lo, exec_lo, s18
	v_lshlrev_b32_e32 v9, 16, v9
	v_lshlrev_b32_e32 v19, 20, v19
	v_lshl_add_u32 v20, v75, 23, 0x3c000000
	v_and_b32_e32 v9, 0x80000000, v9
	v_or3_b32 v19, v19, v9, v20
.LBB360_734:                            ;   in Loop: Header=BB360_506 Depth=1
	s_or_b32 exec_lo, exec_lo, s17
.LBB360_735:                            ;   in Loop: Header=BB360_506 Depth=1
	s_or_b32 exec_lo, exec_lo, s16
.LBB360_736:                            ;   in Loop: Header=BB360_506 Depth=1
	s_or_b32 exec_lo, exec_lo, s15
	v_and_b32_sdwa v9, v18, v38 dst_sel:DWORD dst_unused:UNUSED_PAD src0_sel:WORD_1 src1_sel:DWORD
	v_mov_b32_e32 v20, 0
	v_mov_b32_e32 v75, 0
	s_mov_b32 s15, exec_lo
	v_cmpx_ne_u16_e32 0, v9
	s_cbranch_execz .LBB360_744
; %bb.737:                              ;   in Loop: Header=BB360_506 Depth=1
	v_bfrev_b32_e32 v75, 1
	s_mov_b32 s16, exec_lo
	v_cmpx_ne_u16_e32 0x80, v9
	s_cbranch_execz .LBB360_743
; %bb.738:                              ;   in Loop: Header=BB360_506 Depth=1
	v_bfe_u32 v76, v18, 16, 7
	v_mov_b32_e32 v75, 0x7f800001
	s_mov_b32 s17, exec_lo
	v_cmpx_ne_u32_e32 0x7f, v76
	s_cbranch_execz .LBB360_742
; %bb.739:                              ;   in Loop: Header=BB360_506 Depth=1
	v_and_b32_sdwa v9, v18, v39 dst_sel:DWORD dst_unused:UNUSED_PAD src0_sel:WORD_1 src1_sel:DWORD
	v_lshrrev_b32_e32 v75, 3, v76
	s_mov_b32 s18, exec_lo
	v_cmpx_gt_u32_e32 8, v76
; %bb.740:                              ;   in Loop: Header=BB360_506 Depth=1
	v_ffbh_u32_e32 v75, v9
	v_min_u32_e32 v75, 32, v75
	v_subrev_nc_u32_e32 v76, 28, v75
	v_sub_nc_u32_e32 v75, 29, v75
	v_lshlrev_b64 v[76:77], v76, v[9:10]
	v_and_b32_e32 v9, 7, v76
; %bb.741:                              ;   in Loop: Header=BB360_506 Depth=1
	s_or_b32 exec_lo, exec_lo, s18
	v_lshlrev_b32_sdwa v76, v40, v18 dst_sel:DWORD dst_unused:UNUSED_PAD src0_sel:DWORD src1_sel:WORD_1
	v_lshlrev_b32_e32 v9, 20, v9
	v_lshl_add_u32 v75, v75, 23, 0x3c000000
	v_and_b32_e32 v76, 0x80000000, v76
	v_or3_b32 v75, v9, v76, v75
.LBB360_742:                            ;   in Loop: Header=BB360_506 Depth=1
	s_or_b32 exec_lo, exec_lo, s17
.LBB360_743:                            ;   in Loop: Header=BB360_506 Depth=1
	s_or_b32 exec_lo, exec_lo, s16
.LBB360_744:                            ;   in Loop: Header=BB360_506 Depth=1
	s_or_b32 exec_lo, exec_lo, s15
	s_mov_b32 s15, exec_lo
	v_cmpx_lt_u64_e64 s[2:3], v[17:18]
	s_cbranch_execz .LBB360_752
; %bb.745:                              ;   in Loop: Header=BB360_506 Depth=1
	v_cmp_ne_u32_sdwa s0, v18, v36 src0_sel:BYTE_3 src1_sel:DWORD
	v_bfrev_b32_e32 v20, 1
	s_and_saveexec_b32 s16, s0
	s_cbranch_execz .LBB360_751
; %bb.746:                              ;   in Loop: Header=BB360_506 Depth=1
	v_bfe_u32 v76, v18, 24, 7
	v_mov_b32_e32 v20, 0x7f800001
	s_mov_b32 s17, exec_lo
	v_cmpx_ne_u32_e32 0x7f, v76
	s_cbranch_execz .LBB360_750
; %bb.747:                              ;   in Loop: Header=BB360_506 Depth=1
	v_and_b32_sdwa v9, v18, v39 dst_sel:DWORD dst_unused:UNUSED_PAD src0_sel:BYTE_3 src1_sel:DWORD
	v_lshrrev_b32_e32 v17, 3, v76
	s_mov_b32 s18, exec_lo
	v_cmpx_gt_u32_e32 8, v76
; %bb.748:                              ;   in Loop: Header=BB360_506 Depth=1
	v_ffbh_u32_e32 v17, v9
	v_min_u32_e32 v17, 32, v17
	v_subrev_nc_u32_e32 v20, 28, v17
	v_sub_nc_u32_e32 v17, 29, v17
	v_lshlrev_b64 v[76:77], v20, v[9:10]
	v_and_b32_e32 v9, 7, v76
; %bb.749:                              ;   in Loop: Header=BB360_506 Depth=1
	s_or_b32 exec_lo, exec_lo, s18
	v_lshlrev_b32_sdwa v18, v40, v18 dst_sel:DWORD dst_unused:UNUSED_PAD src0_sel:DWORD src1_sel:BYTE_3
	v_lshlrev_b32_e32 v9, 20, v9
	v_lshl_add_u32 v17, v17, 23, 0x3c000000
	v_and_b32_e32 v18, 0x80000000, v18
	v_or3_b32 v20, v9, v18, v17
.LBB360_750:                            ;   in Loop: Header=BB360_506 Depth=1
	s_or_b32 exec_lo, exec_lo, s17
.LBB360_751:                            ;   in Loop: Header=BB360_506 Depth=1
	s_or_b32 exec_lo, exec_lo, s16
.LBB360_752:                            ;   in Loop: Header=BB360_506 Depth=1
	s_or_b32 exec_lo, exec_lo, s15
	v_mul_f32_e32 v9, s5, v19
	v_mul_f32_e32 v17, s5, v74
	;; [unrolled: 1-line block ×5, first 2 shown]
	v_bfe_u32 v22, v9, 16, 1
	v_or_b32_e32 v73, 0x400000, v9
	v_bfe_u32 v74, v17, 16, 1
	v_cmp_u_f32_e64 s0, v9, v9
	v_or_b32_e32 v76, 0x400000, v17
	v_add3_u32 v22, v22, v9, 0x7fff
	v_bfe_u32 v77, v18, 16, 1
	v_add3_u32 v74, v74, v17, 0x7fff
	v_or_b32_e32 v78, 0x400000, v18
	v_bfe_u32 v79, v19, 16, 1
	v_cndmask_b32_e64 v9, v22, v73, s0
	v_cmp_u_f32_e64 s0, v17, v17
	v_add3_u32 v77, v77, v18, 0x7fff
	v_or_b32_e32 v22, 0x400000, v19
	v_mul_f32_e32 v20, s5, v20
	v_lshrrev_b32_e32 v73, 16, v9
	v_cndmask_b32_e64 v17, v74, v76, s0
	v_cmp_u_f32_e64 s0, v18, v18
	v_mul_f32_e32 v9, s5, v21
	v_add3_u32 v21, v79, v19, 0x7fff
	v_lshrrev_b32_e32 v74, 16, v17
	v_cndmask_b32_e64 v18, v77, v78, s0
	v_bfe_u32 v17, v9, 16, 1
	v_cmp_u_f32_e64 s0, v19, v19
	v_mul_f32_e32 v19, s5, v75
	v_or_b32_e32 v78, 0x400000, v20
	v_lshrrev_b32_e32 v76, 16, v18
	v_add3_u32 v17, v17, v9, 0x7fff
	v_cndmask_b32_e64 v18, v21, v22, s0
	v_or_b32_e32 v21, 0x400000, v9
	v_bfe_u32 v22, v0, 16, 1
	v_cmp_u_f32_e64 s0, v9, v9
	v_bfe_u32 v75, v19, 16, 1
	v_or_b32_e32 v77, 0x400000, v19
	v_cndmask_b32_e64 v9, v17, v21, s0
	v_add3_u32 v21, v22, v0, 0x7fff
	v_or_b32_e32 v22, 0x400000, v0
	v_cmp_u_f32_e64 s0, v0, v0
	v_bfe_u32 v17, v20, 16, 1
	v_add3_u32 v75, v75, v19, 0x7fff
	v_lshrrev_b32_e32 v80, 16, v9
	v_cndmask_b32_e64 v0, v21, v22, s0
	v_cmp_u_f32_e64 s0, v19, v19
	v_add3_u32 v17, v17, v20, 0x7fff
	v_lshrrev_b32_e32 v79, 16, v0
	v_cndmask_b32_e64 v19, v75, v77, s0
	v_cmp_u_f32_e64 s0, v20, v20
	v_lshrrev_b32_e32 v75, 16, v19
	v_cndmask_b32_e64 v17, v17, v78, s0
	v_lshrrev_b32_e32 v78, 16, v18
	v_lshrrev_b32_e32 v77, 16, v17
	s_and_saveexec_b32 s15, vcc_lo
	s_cbranch_execz .LBB360_754
; %bb.753:                              ;   in Loop: Header=BB360_506 Depth=1
	v_cmp_gt_i32_e64 s0, s11, v50
	v_cndmask_b32_e64 v79, 0, v79, s0
	v_cmp_gt_i32_e64 s0, s11, v61
	v_cndmask_b32_e64 v80, 0, v80, s0
	;; [unrolled: 2-line block ×8, first 2 shown]
.LBB360_754:                            ;   in Loop: Header=BB360_506 Depth=1
	s_or_b32 exec_lo, exec_lo, s15
	global_load_dwordx2 v[17:18], v[15:16], off offset:1024
	v_mov_b32_e32 v21, 0
	v_mov_b32_e32 v0, 0
	s_waitcnt vmcnt(0)
	v_cmp_ne_u16_sdwa s0, v17, v10 src0_sel:BYTE_0 src1_sel:DWORD
	s_and_saveexec_b32 s15, s0
	s_cbranch_execz .LBB360_760
; %bb.755:                              ;   in Loop: Header=BB360_506 Depth=1
	v_cmp_ne_u16_sdwa s0, v17, v36 src0_sel:BYTE_0 src1_sel:DWORD
	v_bfrev_b32_e32 v0, 1
	s_and_saveexec_b32 s16, s0
	s_cbranch_execz .LBB360_759
; %bb.756:                              ;   in Loop: Header=BB360_506 Depth=1
	v_and_b32_e32 v9, 0x7f, v17
	v_mov_b32_e32 v0, 0x7f800001
	s_mov_b32 s17, exec_lo
	v_cmpx_ne_u32_e32 0x7f, v9
	s_cbranch_execz .LBB360_758
; %bb.757:                              ;   in Loop: Header=BB360_506 Depth=1
	v_and_b32_e32 v0, 7, v17
	v_cmp_gt_u32_e64 s0, 8, v9
	v_lshrrev_b32_e32 v19, 3, v9
	v_ffbh_u32_e32 v0, v0
	v_min_u32_e32 v0, 32, v0
	v_subrev_nc_u32_e32 v20, 28, v0
	v_sub_nc_u32_e32 v0, 29, v0
	v_cndmask_b32_e64 v9, 0, v20, s0
	v_cndmask_b32_e64 v0, v19, v0, s0
	v_lshlrev_b64 v[19:20], v9, v[17:18]
	v_lshlrev_b32_e32 v9, 24, v17
	v_lshl_add_u32 v0, v0, 23, 0x3c000000
	v_and_b32_e32 v9, 0x80000000, v9
	v_lshlrev_b32_e32 v19, 20, v19
	v_and_b32_e32 v19, 0x700000, v19
	v_or3_b32 v0, v19, v9, v0
.LBB360_758:                            ;   in Loop: Header=BB360_506 Depth=1
	s_or_b32 exec_lo, exec_lo, s17
.LBB360_759:                            ;   in Loop: Header=BB360_506 Depth=1
	s_or_b32 exec_lo, exec_lo, s16
.LBB360_760:                            ;   in Loop: Header=BB360_506 Depth=1
	s_or_b32 exec_lo, exec_lo, s15
	v_cmp_ne_u16_sdwa s0, v17, v10 src0_sel:BYTE_1 src1_sel:DWORD
	s_and_saveexec_b32 s15, s0
	s_cbranch_execz .LBB360_768
; %bb.761:                              ;   in Loop: Header=BB360_506 Depth=1
	v_cmp_ne_u16_sdwa s0, v17, v36 src0_sel:BYTE_1 src1_sel:DWORD
	v_bfrev_b32_e32 v21, 1
	s_and_saveexec_b32 s16, s0
	s_cbranch_execz .LBB360_767
; %bb.762:                              ;   in Loop: Header=BB360_506 Depth=1
	v_and_b32_sdwa v9, v37, v17 dst_sel:DWORD dst_unused:UNUSED_PAD src0_sel:DWORD src1_sel:BYTE_1
	v_mov_b32_e32 v21, 0x7f800001
	s_mov_b32 s17, exec_lo
	v_and_b32_e32 v20, 0x7f, v9
	v_cmpx_ne_u32_e32 0x7f, v20
	s_cbranch_execz .LBB360_766
; %bb.763:                              ;   in Loop: Header=BB360_506 Depth=1
	v_and_b32_e32 v9, 7, v9
	v_lshrrev_b32_e32 v19, 3, v20
	s_mov_b32 s18, exec_lo
	v_cmpx_gt_u32_e32 8, v20
; %bb.764:                              ;   in Loop: Header=BB360_506 Depth=1
	v_ffbh_u32_e32 v19, v9
	v_min_u32_e32 v19, 32, v19
	v_subrev_nc_u32_e32 v20, 28, v19
	v_sub_nc_u32_e32 v19, 29, v19
	v_lshlrev_b64 v[20:21], v20, v[9:10]
	v_and_b32_e32 v9, 7, v20
; %bb.765:                              ;   in Loop: Header=BB360_506 Depth=1
	s_or_b32 exec_lo, exec_lo, s18
	v_lshlrev_b32_e32 v20, 16, v17
	v_lshlrev_b32_e32 v9, 20, v9
	v_lshl_add_u32 v19, v19, 23, 0x3c000000
	v_and_b32_e32 v20, 0x80000000, v20
	v_or3_b32 v21, v9, v20, v19
.LBB360_766:                            ;   in Loop: Header=BB360_506 Depth=1
	s_or_b32 exec_lo, exec_lo, s17
.LBB360_767:                            ;   in Loop: Header=BB360_506 Depth=1
	s_or_b32 exec_lo, exec_lo, s16
.LBB360_768:                            ;   in Loop: Header=BB360_506 Depth=1
	s_or_b32 exec_lo, exec_lo, s15
	v_and_b32_sdwa v9, v17, v38 dst_sel:DWORD dst_unused:UNUSED_PAD src0_sel:WORD_1 src1_sel:DWORD
	v_mov_b32_e32 v81, 0
	v_mov_b32_e32 v22, 0
	s_mov_b32 s15, exec_lo
	v_cmpx_ne_u16_e32 0, v9
	s_cbranch_execz .LBB360_776
; %bb.769:                              ;   in Loop: Header=BB360_506 Depth=1
	v_bfrev_b32_e32 v22, 1
	s_mov_b32 s16, exec_lo
	v_cmpx_ne_u16_e32 0x80, v9
	s_cbranch_execz .LBB360_775
; %bb.770:                              ;   in Loop: Header=BB360_506 Depth=1
	v_bfe_u32 v20, v17, 16, 7
	v_mov_b32_e32 v22, 0x7f800001
	s_mov_b32 s17, exec_lo
	v_cmpx_ne_u32_e32 0x7f, v20
	s_cbranch_execz .LBB360_774
; %bb.771:                              ;   in Loop: Header=BB360_506 Depth=1
	v_and_b32_sdwa v9, v17, v39 dst_sel:DWORD dst_unused:UNUSED_PAD src0_sel:WORD_1 src1_sel:DWORD
	v_lshrrev_b32_e32 v19, 3, v20
	s_mov_b32 s18, exec_lo
	v_cmpx_gt_u32_e32 8, v20
; %bb.772:                              ;   in Loop: Header=BB360_506 Depth=1
	v_ffbh_u32_e32 v19, v9
	v_min_u32_e32 v19, 32, v19
	v_subrev_nc_u32_e32 v20, 28, v19
	v_sub_nc_u32_e32 v19, 29, v19
	v_lshlrev_b64 v[82:83], v20, v[9:10]
	v_and_b32_e32 v9, 7, v82
; %bb.773:                              ;   in Loop: Header=BB360_506 Depth=1
	s_or_b32 exec_lo, exec_lo, s18
	v_lshlrev_b32_sdwa v20, v40, v17 dst_sel:DWORD dst_unused:UNUSED_PAD src0_sel:DWORD src1_sel:WORD_1
	v_lshlrev_b32_e32 v9, 20, v9
	v_lshl_add_u32 v19, v19, 23, 0x3c000000
	v_and_b32_e32 v20, 0x80000000, v20
	v_or3_b32 v22, v9, v20, v19
.LBB360_774:                            ;   in Loop: Header=BB360_506 Depth=1
	s_or_b32 exec_lo, exec_lo, s17
.LBB360_775:                            ;   in Loop: Header=BB360_506 Depth=1
	s_or_b32 exec_lo, exec_lo, s16
.LBB360_776:                            ;   in Loop: Header=BB360_506 Depth=1
	s_or_b32 exec_lo, exec_lo, s15
	s_mov_b32 s15, exec_lo
	v_cmpx_lt_u32_e32 0xffffff, v17
	s_cbranch_execz .LBB360_784
; %bb.777:                              ;   in Loop: Header=BB360_506 Depth=1
	v_cmp_ne_u32_sdwa s0, v17, v36 src0_sel:BYTE_3 src1_sel:DWORD
	v_bfrev_b32_e32 v81, 1
	s_and_saveexec_b32 s16, s0
	s_cbranch_execz .LBB360_783
; %bb.778:                              ;   in Loop: Header=BB360_506 Depth=1
	v_bfe_u32 v20, v17, 24, 7
	v_mov_b32_e32 v81, 0x7f800001
	s_mov_b32 s17, exec_lo
	v_cmpx_ne_u32_e32 0x7f, v20
	s_cbranch_execz .LBB360_782
; %bb.779:                              ;   in Loop: Header=BB360_506 Depth=1
	v_and_b32_sdwa v9, v17, v39 dst_sel:DWORD dst_unused:UNUSED_PAD src0_sel:BYTE_3 src1_sel:DWORD
	v_lshrrev_b32_e32 v19, 3, v20
	s_mov_b32 s18, exec_lo
	v_cmpx_gt_u32_e32 8, v20
; %bb.780:                              ;   in Loop: Header=BB360_506 Depth=1
	v_ffbh_u32_e32 v19, v9
	v_min_u32_e32 v19, 32, v19
	v_subrev_nc_u32_e32 v20, 28, v19
	v_sub_nc_u32_e32 v19, 29, v19
	v_lshlrev_b64 v[81:82], v20, v[9:10]
	v_and_b32_e32 v9, 7, v81
; %bb.781:                              ;   in Loop: Header=BB360_506 Depth=1
	s_or_b32 exec_lo, exec_lo, s18
	v_lshlrev_b32_sdwa v20, v40, v17 dst_sel:DWORD dst_unused:UNUSED_PAD src0_sel:DWORD src1_sel:BYTE_3
	v_lshlrev_b32_e32 v9, 20, v9
	v_lshl_add_u32 v19, v19, 23, 0x3c000000
	v_and_b32_e32 v20, 0x80000000, v20
	v_or3_b32 v81, v9, v20, v19
.LBB360_782:                            ;   in Loop: Header=BB360_506 Depth=1
	s_or_b32 exec_lo, exec_lo, s17
.LBB360_783:                            ;   in Loop: Header=BB360_506 Depth=1
	s_or_b32 exec_lo, exec_lo, s16
.LBB360_784:                            ;   in Loop: Header=BB360_506 Depth=1
	s_or_b32 exec_lo, exec_lo, s15
	v_mov_b32_e32 v9, v18
	v_cmp_ne_u16_sdwa s0, v18, v10 src0_sel:BYTE_0 src1_sel:DWORD
	v_mov_b32_e32 v19, 0
	v_mov_b32_e32 v82, 0
	s_and_saveexec_b32 s15, s0
	s_cbranch_execz .LBB360_790
; %bb.785:                              ;   in Loop: Header=BB360_506 Depth=1
	v_cmp_ne_u16_sdwa s0, v18, v36 src0_sel:BYTE_0 src1_sel:DWORD
	v_bfrev_b32_e32 v82, 1
	s_and_saveexec_b32 s16, s0
	s_cbranch_execz .LBB360_789
; %bb.786:                              ;   in Loop: Header=BB360_506 Depth=1
	v_and_b32_e32 v20, 0x7f, v18
	v_mov_b32_e32 v82, 0x7f800001
	s_mov_b32 s17, exec_lo
	v_cmpx_ne_u32_e32 0x7f, v20
	s_cbranch_execz .LBB360_788
; %bb.787:                              ;   in Loop: Header=BB360_506 Depth=1
	v_and_b32_e32 v82, 7, v18
	v_lshrrev_b32_e32 v83, 3, v20
	v_cmp_gt_u32_e64 s0, 8, v20
	v_ffbh_u32_e32 v82, v82
	v_min_u32_e32 v82, 32, v82
	v_subrev_nc_u32_e32 v84, 28, v82
	v_sub_nc_u32_e32 v82, 29, v82
	v_cndmask_b32_e64 v20, v83, v82, s0
	v_cndmask_b32_e64 v82, 0, v84, s0
	v_lshl_add_u32 v20, v20, 23, 0x3c000000
	v_lshlrev_b64 v[82:83], v82, v[9:10]
	v_lshlrev_b32_e32 v83, 24, v9
	v_lshlrev_b32_e32 v82, 20, v82
	v_and_b32_e32 v83, 0x80000000, v83
	v_and_b32_e32 v82, 0x700000, v82
	v_or3_b32 v82, v82, v83, v20
.LBB360_788:                            ;   in Loop: Header=BB360_506 Depth=1
	s_or_b32 exec_lo, exec_lo, s17
.LBB360_789:                            ;   in Loop: Header=BB360_506 Depth=1
	s_or_b32 exec_lo, exec_lo, s16
.LBB360_790:                            ;   in Loop: Header=BB360_506 Depth=1
	s_or_b32 exec_lo, exec_lo, s15
	v_cmp_ne_u16_sdwa s0, v9, v10 src0_sel:BYTE_1 src1_sel:DWORD
	s_and_saveexec_b32 s15, s0
	s_cbranch_execz .LBB360_798
; %bb.791:                              ;   in Loop: Header=BB360_506 Depth=1
	v_cmp_ne_u16_sdwa s0, v9, v36 src0_sel:BYTE_1 src1_sel:DWORD
	v_bfrev_b32_e32 v19, 1
	s_and_saveexec_b32 s16, s0
	s_cbranch_execz .LBB360_797
; %bb.792:                              ;   in Loop: Header=BB360_506 Depth=1
	v_and_b32_sdwa v20, v37, v9 dst_sel:DWORD dst_unused:UNUSED_PAD src0_sel:DWORD src1_sel:BYTE_1
	v_mov_b32_e32 v19, 0x7f800001
	s_mov_b32 s17, exec_lo
	v_and_b32_e32 v84, 0x7f, v20
	v_cmpx_ne_u32_e32 0x7f, v84
	s_cbranch_execz .LBB360_796
; %bb.793:                              ;   in Loop: Header=BB360_506 Depth=1
	v_and_b32_e32 v19, 7, v20
	v_mov_b32_e32 v20, v10
	v_lshrrev_b32_e32 v83, 3, v84
	s_mov_b32 s18, exec_lo
	v_cmpx_gt_u32_e32 8, v84
; %bb.794:                              ;   in Loop: Header=BB360_506 Depth=1
	v_ffbh_u32_e32 v83, v19
	v_min_u32_e32 v83, 32, v83
	v_subrev_nc_u32_e32 v84, 28, v83
	v_sub_nc_u32_e32 v83, 29, v83
	v_lshlrev_b64 v[19:20], v84, v[19:20]
	v_and_b32_e32 v19, 7, v19
; %bb.795:                              ;   in Loop: Header=BB360_506 Depth=1
	s_or_b32 exec_lo, exec_lo, s18
	v_lshlrev_b32_e32 v9, 16, v9
	v_lshlrev_b32_e32 v19, 20, v19
	v_lshl_add_u32 v20, v83, 23, 0x3c000000
	v_and_b32_e32 v9, 0x80000000, v9
	v_or3_b32 v19, v19, v9, v20
.LBB360_796:                            ;   in Loop: Header=BB360_506 Depth=1
	s_or_b32 exec_lo, exec_lo, s17
.LBB360_797:                            ;   in Loop: Header=BB360_506 Depth=1
	s_or_b32 exec_lo, exec_lo, s16
.LBB360_798:                            ;   in Loop: Header=BB360_506 Depth=1
	s_or_b32 exec_lo, exec_lo, s15
	v_and_b32_sdwa v9, v18, v38 dst_sel:DWORD dst_unused:UNUSED_PAD src0_sel:WORD_1 src1_sel:DWORD
	v_mov_b32_e32 v20, 0
	v_mov_b32_e32 v83, 0
	s_mov_b32 s15, exec_lo
	v_cmpx_ne_u16_e32 0, v9
	s_cbranch_execz .LBB360_806
; %bb.799:                              ;   in Loop: Header=BB360_506 Depth=1
	v_bfrev_b32_e32 v83, 1
	s_mov_b32 s16, exec_lo
	v_cmpx_ne_u16_e32 0x80, v9
	s_cbranch_execz .LBB360_805
; %bb.800:                              ;   in Loop: Header=BB360_506 Depth=1
	v_bfe_u32 v84, v18, 16, 7
	v_mov_b32_e32 v83, 0x7f800001
	s_mov_b32 s17, exec_lo
	v_cmpx_ne_u32_e32 0x7f, v84
	s_cbranch_execz .LBB360_804
; %bb.801:                              ;   in Loop: Header=BB360_506 Depth=1
	v_and_b32_sdwa v9, v18, v39 dst_sel:DWORD dst_unused:UNUSED_PAD src0_sel:WORD_1 src1_sel:DWORD
	v_lshrrev_b32_e32 v83, 3, v84
	s_mov_b32 s18, exec_lo
	v_cmpx_gt_u32_e32 8, v84
; %bb.802:                              ;   in Loop: Header=BB360_506 Depth=1
	v_ffbh_u32_e32 v83, v9
	v_min_u32_e32 v83, 32, v83
	v_subrev_nc_u32_e32 v84, 28, v83
	v_sub_nc_u32_e32 v83, 29, v83
	v_lshlrev_b64 v[84:85], v84, v[9:10]
	v_and_b32_e32 v9, 7, v84
; %bb.803:                              ;   in Loop: Header=BB360_506 Depth=1
	s_or_b32 exec_lo, exec_lo, s18
	v_lshlrev_b32_sdwa v84, v40, v18 dst_sel:DWORD dst_unused:UNUSED_PAD src0_sel:DWORD src1_sel:WORD_1
	v_lshlrev_b32_e32 v9, 20, v9
	v_lshl_add_u32 v83, v83, 23, 0x3c000000
	v_and_b32_e32 v84, 0x80000000, v84
	v_or3_b32 v83, v9, v84, v83
.LBB360_804:                            ;   in Loop: Header=BB360_506 Depth=1
	s_or_b32 exec_lo, exec_lo, s17
.LBB360_805:                            ;   in Loop: Header=BB360_506 Depth=1
	s_or_b32 exec_lo, exec_lo, s16
.LBB360_806:                            ;   in Loop: Header=BB360_506 Depth=1
	s_or_b32 exec_lo, exec_lo, s15
	s_mov_b32 s15, exec_lo
	v_cmpx_lt_u64_e64 s[2:3], v[17:18]
	s_cbranch_execz .LBB360_814
; %bb.807:                              ;   in Loop: Header=BB360_506 Depth=1
	v_cmp_ne_u32_sdwa s0, v18, v36 src0_sel:BYTE_3 src1_sel:DWORD
	v_bfrev_b32_e32 v20, 1
	s_and_saveexec_b32 s16, s0
	s_cbranch_execz .LBB360_813
; %bb.808:                              ;   in Loop: Header=BB360_506 Depth=1
	v_bfe_u32 v84, v18, 24, 7
	v_mov_b32_e32 v20, 0x7f800001
	s_mov_b32 s17, exec_lo
	v_cmpx_ne_u32_e32 0x7f, v84
	s_cbranch_execz .LBB360_812
; %bb.809:                              ;   in Loop: Header=BB360_506 Depth=1
	v_and_b32_sdwa v9, v18, v39 dst_sel:DWORD dst_unused:UNUSED_PAD src0_sel:BYTE_3 src1_sel:DWORD
	v_lshrrev_b32_e32 v17, 3, v84
	s_mov_b32 s18, exec_lo
	v_cmpx_gt_u32_e32 8, v84
; %bb.810:                              ;   in Loop: Header=BB360_506 Depth=1
	v_ffbh_u32_e32 v17, v9
	v_min_u32_e32 v17, 32, v17
	v_subrev_nc_u32_e32 v20, 28, v17
	v_sub_nc_u32_e32 v17, 29, v17
	v_lshlrev_b64 v[84:85], v20, v[9:10]
	v_and_b32_e32 v9, 7, v84
; %bb.811:                              ;   in Loop: Header=BB360_506 Depth=1
	s_or_b32 exec_lo, exec_lo, s18
	v_lshlrev_b32_sdwa v18, v40, v18 dst_sel:DWORD dst_unused:UNUSED_PAD src0_sel:DWORD src1_sel:BYTE_3
	v_lshlrev_b32_e32 v9, 20, v9
	v_lshl_add_u32 v17, v17, 23, 0x3c000000
	v_and_b32_e32 v18, 0x80000000, v18
	v_or3_b32 v20, v9, v18, v17
.LBB360_812:                            ;   in Loop: Header=BB360_506 Depth=1
	s_or_b32 exec_lo, exec_lo, s17
.LBB360_813:                            ;   in Loop: Header=BB360_506 Depth=1
	s_or_b32 exec_lo, exec_lo, s16
.LBB360_814:                            ;   in Loop: Header=BB360_506 Depth=1
	s_or_b32 exec_lo, exec_lo, s15
	v_mul_f32_e32 v9, s5, v19
	v_mul_f32_e32 v17, s5, v82
	;; [unrolled: 1-line block ×5, first 2 shown]
	v_bfe_u32 v22, v9, 16, 1
	v_or_b32_e32 v81, 0x400000, v9
	v_bfe_u32 v82, v17, 16, 1
	v_cmp_u_f32_e64 s0, v9, v9
	v_or_b32_e32 v84, 0x400000, v17
	v_add3_u32 v22, v22, v9, 0x7fff
	v_bfe_u32 v85, v18, 16, 1
	v_add3_u32 v82, v82, v17, 0x7fff
	v_or_b32_e32 v86, 0x400000, v18
	v_bfe_u32 v87, v19, 16, 1
	v_cndmask_b32_e64 v9, v22, v81, s0
	v_cmp_u_f32_e64 s0, v17, v17
	v_add3_u32 v85, v85, v18, 0x7fff
	v_or_b32_e32 v22, 0x400000, v19
	v_mul_f32_e32 v20, s5, v20
	v_lshrrev_b32_e32 v81, 16, v9
	v_cndmask_b32_e64 v17, v82, v84, s0
	v_cmp_u_f32_e64 s0, v18, v18
	v_mul_f32_e32 v9, s5, v21
	v_add3_u32 v21, v87, v19, 0x7fff
	v_lshrrev_b32_e32 v82, 16, v17
	v_cndmask_b32_e64 v18, v85, v86, s0
	v_bfe_u32 v17, v9, 16, 1
	v_cmp_u_f32_e64 s0, v19, v19
	v_mul_f32_e32 v19, s5, v83
	v_or_b32_e32 v86, 0x400000, v20
	v_lshrrev_b32_e32 v84, 16, v18
	v_add3_u32 v17, v17, v9, 0x7fff
	v_cndmask_b32_e64 v18, v21, v22, s0
	v_or_b32_e32 v21, 0x400000, v9
	v_bfe_u32 v22, v0, 16, 1
	v_cmp_u_f32_e64 s0, v9, v9
	v_bfe_u32 v83, v19, 16, 1
	v_or_b32_e32 v85, 0x400000, v19
	v_cndmask_b32_e64 v9, v17, v21, s0
	v_add3_u32 v21, v22, v0, 0x7fff
	v_or_b32_e32 v22, 0x400000, v0
	v_cmp_u_f32_e64 s0, v0, v0
	v_bfe_u32 v17, v20, 16, 1
	v_add3_u32 v83, v83, v19, 0x7fff
	v_lshrrev_b32_e32 v88, 16, v9
	v_cndmask_b32_e64 v0, v21, v22, s0
	v_cmp_u_f32_e64 s0, v19, v19
	v_add3_u32 v17, v17, v20, 0x7fff
	v_lshrrev_b32_e32 v87, 16, v0
	v_cndmask_b32_e64 v19, v83, v85, s0
	v_cmp_u_f32_e64 s0, v20, v20
	v_lshrrev_b32_e32 v83, 16, v19
	v_cndmask_b32_e64 v17, v17, v86, s0
	v_lshrrev_b32_e32 v86, 16, v18
	v_lshrrev_b32_e32 v85, 16, v17
	s_and_saveexec_b32 s15, vcc_lo
	s_cbranch_execz .LBB360_816
; %bb.815:                              ;   in Loop: Header=BB360_506 Depth=1
	v_cmp_gt_i32_e64 s0, s11, v50
	v_cndmask_b32_e64 v87, 0, v87, s0
	v_cmp_gt_i32_e64 s0, s11, v61
	v_cndmask_b32_e64 v88, 0, v88, s0
	;; [unrolled: 2-line block ×8, first 2 shown]
.LBB360_816:                            ;   in Loop: Header=BB360_506 Depth=1
	s_or_b32 exec_lo, exec_lo, s15
	global_load_dwordx2 v[17:18], v[15:16], off offset:1280
	v_mov_b32_e32 v0, 0
	v_mov_b32_e32 v22, 0
	s_waitcnt vmcnt(0)
	v_cmp_ne_u16_sdwa s0, v17, v10 src0_sel:BYTE_0 src1_sel:DWORD
	s_and_saveexec_b32 s15, s0
	s_cbranch_execz .LBB360_822
; %bb.817:                              ;   in Loop: Header=BB360_506 Depth=1
	v_cmp_ne_u16_sdwa s0, v17, v36 src0_sel:BYTE_0 src1_sel:DWORD
	v_bfrev_b32_e32 v22, 1
	s_and_saveexec_b32 s16, s0
	s_cbranch_execz .LBB360_821
; %bb.818:                              ;   in Loop: Header=BB360_506 Depth=1
	v_and_b32_e32 v9, 0x7f, v17
	v_mov_b32_e32 v22, 0x7f800001
	s_mov_b32 s17, exec_lo
	v_cmpx_ne_u32_e32 0x7f, v9
	s_cbranch_execz .LBB360_820
; %bb.819:                              ;   in Loop: Header=BB360_506 Depth=1
	v_and_b32_e32 v19, 7, v17
	v_lshrrev_b32_e32 v20, 3, v9
	v_cmp_gt_u32_e64 s0, 8, v9
	v_ffbh_u32_e32 v19, v19
	v_min_u32_e32 v19, 32, v19
	v_subrev_nc_u32_e32 v21, 28, v19
	v_sub_nc_u32_e32 v19, 29, v19
	v_cndmask_b32_e64 v9, v20, v19, s0
	v_cndmask_b32_e64 v19, 0, v21, s0
	v_lshl_add_u32 v9, v9, 23, 0x3c000000
	v_lshlrev_b64 v[19:20], v19, v[17:18]
	v_lshlrev_b32_e32 v20, 24, v17
	v_lshlrev_b32_e32 v19, 20, v19
	v_and_b32_e32 v20, 0x80000000, v20
	v_and_b32_e32 v19, 0x700000, v19
	v_or3_b32 v22, v19, v20, v9
.LBB360_820:                            ;   in Loop: Header=BB360_506 Depth=1
	s_or_b32 exec_lo, exec_lo, s17
.LBB360_821:                            ;   in Loop: Header=BB360_506 Depth=1
	s_or_b32 exec_lo, exec_lo, s16
.LBB360_822:                            ;   in Loop: Header=BB360_506 Depth=1
	s_or_b32 exec_lo, exec_lo, s15
	v_cmp_ne_u16_sdwa s0, v17, v10 src0_sel:BYTE_1 src1_sel:DWORD
	s_and_saveexec_b32 s15, s0
	s_cbranch_execz .LBB360_830
; %bb.823:                              ;   in Loop: Header=BB360_506 Depth=1
	v_cmp_ne_u16_sdwa s0, v17, v36 src0_sel:BYTE_1 src1_sel:DWORD
	v_bfrev_b32_e32 v0, 1
	s_and_saveexec_b32 s16, s0
	s_cbranch_execz .LBB360_829
; %bb.824:                              ;   in Loop: Header=BB360_506 Depth=1
	v_and_b32_sdwa v9, v37, v17 dst_sel:DWORD dst_unused:UNUSED_PAD src0_sel:DWORD src1_sel:BYTE_1
	v_mov_b32_e32 v0, 0x7f800001
	s_mov_b32 s17, exec_lo
	v_and_b32_e32 v19, 0x7f, v9
	v_cmpx_ne_u32_e32 0x7f, v19
	s_cbranch_execz .LBB360_828
; %bb.825:                              ;   in Loop: Header=BB360_506 Depth=1
	v_and_b32_e32 v9, 7, v9
	v_lshrrev_b32_e32 v0, 3, v19
	s_mov_b32 s18, exec_lo
	v_cmpx_gt_u32_e32 8, v19
; %bb.826:                              ;   in Loop: Header=BB360_506 Depth=1
	v_ffbh_u32_e32 v0, v9
	v_min_u32_e32 v0, 32, v0
	v_subrev_nc_u32_e32 v19, 28, v0
	v_sub_nc_u32_e32 v0, 29, v0
	v_lshlrev_b64 v[19:20], v19, v[9:10]
	v_and_b32_e32 v9, 7, v19
; %bb.827:                              ;   in Loop: Header=BB360_506 Depth=1
	s_or_b32 exec_lo, exec_lo, s18
	v_lshlrev_b32_e32 v19, 16, v17
	v_lshlrev_b32_e32 v9, 20, v9
	v_lshl_add_u32 v0, v0, 23, 0x3c000000
	v_and_b32_e32 v19, 0x80000000, v19
	v_or3_b32 v0, v9, v19, v0
.LBB360_828:                            ;   in Loop: Header=BB360_506 Depth=1
	s_or_b32 exec_lo, exec_lo, s17
.LBB360_829:                            ;   in Loop: Header=BB360_506 Depth=1
	s_or_b32 exec_lo, exec_lo, s16
.LBB360_830:                            ;   in Loop: Header=BB360_506 Depth=1
	s_or_b32 exec_lo, exec_lo, s15
	v_and_b32_sdwa v9, v17, v38 dst_sel:DWORD dst_unused:UNUSED_PAD src0_sel:WORD_1 src1_sel:DWORD
	v_mov_b32_e32 v89, 0
	v_mov_b32_e32 v21, 0
	s_mov_b32 s15, exec_lo
	v_cmpx_ne_u16_e32 0, v9
	s_cbranch_execz .LBB360_838
; %bb.831:                              ;   in Loop: Header=BB360_506 Depth=1
	v_bfrev_b32_e32 v21, 1
	s_mov_b32 s16, exec_lo
	v_cmpx_ne_u16_e32 0x80, v9
	s_cbranch_execz .LBB360_837
; %bb.832:                              ;   in Loop: Header=BB360_506 Depth=1
	v_bfe_u32 v20, v17, 16, 7
	v_mov_b32_e32 v21, 0x7f800001
	s_mov_b32 s17, exec_lo
	v_cmpx_ne_u32_e32 0x7f, v20
	s_cbranch_execz .LBB360_836
; %bb.833:                              ;   in Loop: Header=BB360_506 Depth=1
	v_and_b32_sdwa v9, v17, v39 dst_sel:DWORD dst_unused:UNUSED_PAD src0_sel:WORD_1 src1_sel:DWORD
	v_lshrrev_b32_e32 v19, 3, v20
	s_mov_b32 s18, exec_lo
	v_cmpx_gt_u32_e32 8, v20
; %bb.834:                              ;   in Loop: Header=BB360_506 Depth=1
	v_ffbh_u32_e32 v19, v9
	v_min_u32_e32 v19, 32, v19
	v_subrev_nc_u32_e32 v20, 28, v19
	v_sub_nc_u32_e32 v19, 29, v19
	v_lshlrev_b64 v[20:21], v20, v[9:10]
	v_and_b32_e32 v9, 7, v20
; %bb.835:                              ;   in Loop: Header=BB360_506 Depth=1
	s_or_b32 exec_lo, exec_lo, s18
	v_lshlrev_b32_sdwa v20, v40, v17 dst_sel:DWORD dst_unused:UNUSED_PAD src0_sel:DWORD src1_sel:WORD_1
	v_lshlrev_b32_e32 v9, 20, v9
	v_lshl_add_u32 v19, v19, 23, 0x3c000000
	v_and_b32_e32 v20, 0x80000000, v20
	v_or3_b32 v21, v9, v20, v19
.LBB360_836:                            ;   in Loop: Header=BB360_506 Depth=1
	s_or_b32 exec_lo, exec_lo, s17
.LBB360_837:                            ;   in Loop: Header=BB360_506 Depth=1
	s_or_b32 exec_lo, exec_lo, s16
.LBB360_838:                            ;   in Loop: Header=BB360_506 Depth=1
	s_or_b32 exec_lo, exec_lo, s15
	s_mov_b32 s15, exec_lo
	v_cmpx_lt_u32_e32 0xffffff, v17
	s_cbranch_execz .LBB360_846
; %bb.839:                              ;   in Loop: Header=BB360_506 Depth=1
	v_cmp_ne_u32_sdwa s0, v17, v36 src0_sel:BYTE_3 src1_sel:DWORD
	v_bfrev_b32_e32 v89, 1
	s_and_saveexec_b32 s16, s0
	s_cbranch_execz .LBB360_845
; %bb.840:                              ;   in Loop: Header=BB360_506 Depth=1
	v_bfe_u32 v20, v17, 24, 7
	v_mov_b32_e32 v89, 0x7f800001
	s_mov_b32 s17, exec_lo
	v_cmpx_ne_u32_e32 0x7f, v20
	s_cbranch_execz .LBB360_844
; %bb.841:                              ;   in Loop: Header=BB360_506 Depth=1
	v_and_b32_sdwa v9, v17, v39 dst_sel:DWORD dst_unused:UNUSED_PAD src0_sel:BYTE_3 src1_sel:DWORD
	v_lshrrev_b32_e32 v19, 3, v20
	s_mov_b32 s18, exec_lo
	v_cmpx_gt_u32_e32 8, v20
; %bb.842:                              ;   in Loop: Header=BB360_506 Depth=1
	v_ffbh_u32_e32 v19, v9
	v_min_u32_e32 v19, 32, v19
	v_subrev_nc_u32_e32 v20, 28, v19
	v_sub_nc_u32_e32 v19, 29, v19
	v_lshlrev_b64 v[89:90], v20, v[9:10]
	v_and_b32_e32 v9, 7, v89
; %bb.843:                              ;   in Loop: Header=BB360_506 Depth=1
	s_or_b32 exec_lo, exec_lo, s18
	v_lshlrev_b32_sdwa v20, v40, v17 dst_sel:DWORD dst_unused:UNUSED_PAD src0_sel:DWORD src1_sel:BYTE_3
	v_lshlrev_b32_e32 v9, 20, v9
	v_lshl_add_u32 v19, v19, 23, 0x3c000000
	v_and_b32_e32 v20, 0x80000000, v20
	v_or3_b32 v89, v9, v20, v19
.LBB360_844:                            ;   in Loop: Header=BB360_506 Depth=1
	s_or_b32 exec_lo, exec_lo, s17
.LBB360_845:                            ;   in Loop: Header=BB360_506 Depth=1
	s_or_b32 exec_lo, exec_lo, s16
.LBB360_846:                            ;   in Loop: Header=BB360_506 Depth=1
	s_or_b32 exec_lo, exec_lo, s15
	v_mov_b32_e32 v9, v18
	v_cmp_ne_u16_sdwa s0, v18, v10 src0_sel:BYTE_0 src1_sel:DWORD
	v_mov_b32_e32 v19, 0
	v_mov_b32_e32 v90, 0
	s_and_saveexec_b32 s15, s0
	s_cbranch_execz .LBB360_852
; %bb.847:                              ;   in Loop: Header=BB360_506 Depth=1
	v_cmp_ne_u16_sdwa s0, v18, v36 src0_sel:BYTE_0 src1_sel:DWORD
	v_bfrev_b32_e32 v90, 1
	s_and_saveexec_b32 s16, s0
	s_cbranch_execz .LBB360_851
; %bb.848:                              ;   in Loop: Header=BB360_506 Depth=1
	v_and_b32_e32 v20, 0x7f, v18
	v_mov_b32_e32 v90, 0x7f800001
	s_mov_b32 s17, exec_lo
	v_cmpx_ne_u32_e32 0x7f, v20
	s_cbranch_execz .LBB360_850
; %bb.849:                              ;   in Loop: Header=BB360_506 Depth=1
	v_and_b32_e32 v90, 7, v18
	v_lshrrev_b32_e32 v91, 3, v20
	v_cmp_gt_u32_e64 s0, 8, v20
	v_ffbh_u32_e32 v90, v90
	v_min_u32_e32 v90, 32, v90
	v_subrev_nc_u32_e32 v92, 28, v90
	v_sub_nc_u32_e32 v90, 29, v90
	v_cndmask_b32_e64 v20, v91, v90, s0
	v_cndmask_b32_e64 v90, 0, v92, s0
	v_lshl_add_u32 v20, v20, 23, 0x3c000000
	v_lshlrev_b64 v[90:91], v90, v[9:10]
	v_lshlrev_b32_e32 v91, 24, v9
	v_lshlrev_b32_e32 v90, 20, v90
	v_and_b32_e32 v91, 0x80000000, v91
	v_and_b32_e32 v90, 0x700000, v90
	v_or3_b32 v90, v90, v91, v20
.LBB360_850:                            ;   in Loop: Header=BB360_506 Depth=1
	s_or_b32 exec_lo, exec_lo, s17
.LBB360_851:                            ;   in Loop: Header=BB360_506 Depth=1
	s_or_b32 exec_lo, exec_lo, s16
.LBB360_852:                            ;   in Loop: Header=BB360_506 Depth=1
	s_or_b32 exec_lo, exec_lo, s15
	v_cmp_ne_u16_sdwa s0, v9, v10 src0_sel:BYTE_1 src1_sel:DWORD
	s_and_saveexec_b32 s15, s0
	s_cbranch_execz .LBB360_860
; %bb.853:                              ;   in Loop: Header=BB360_506 Depth=1
	v_cmp_ne_u16_sdwa s0, v9, v36 src0_sel:BYTE_1 src1_sel:DWORD
	v_bfrev_b32_e32 v19, 1
	s_and_saveexec_b32 s16, s0
	s_cbranch_execz .LBB360_859
; %bb.854:                              ;   in Loop: Header=BB360_506 Depth=1
	v_and_b32_sdwa v20, v37, v9 dst_sel:DWORD dst_unused:UNUSED_PAD src0_sel:DWORD src1_sel:BYTE_1
	v_mov_b32_e32 v19, 0x7f800001
	s_mov_b32 s17, exec_lo
	v_and_b32_e32 v92, 0x7f, v20
	v_cmpx_ne_u32_e32 0x7f, v92
	s_cbranch_execz .LBB360_858
; %bb.855:                              ;   in Loop: Header=BB360_506 Depth=1
	v_and_b32_e32 v19, 7, v20
	v_mov_b32_e32 v20, v10
	v_lshrrev_b32_e32 v91, 3, v92
	s_mov_b32 s18, exec_lo
	v_cmpx_gt_u32_e32 8, v92
; %bb.856:                              ;   in Loop: Header=BB360_506 Depth=1
	v_ffbh_u32_e32 v91, v19
	v_min_u32_e32 v91, 32, v91
	v_subrev_nc_u32_e32 v92, 28, v91
	v_sub_nc_u32_e32 v91, 29, v91
	v_lshlrev_b64 v[19:20], v92, v[19:20]
	v_and_b32_e32 v19, 7, v19
; %bb.857:                              ;   in Loop: Header=BB360_506 Depth=1
	s_or_b32 exec_lo, exec_lo, s18
	v_lshlrev_b32_e32 v9, 16, v9
	v_lshlrev_b32_e32 v19, 20, v19
	v_lshl_add_u32 v20, v91, 23, 0x3c000000
	v_and_b32_e32 v9, 0x80000000, v9
	v_or3_b32 v19, v19, v9, v20
.LBB360_858:                            ;   in Loop: Header=BB360_506 Depth=1
	s_or_b32 exec_lo, exec_lo, s17
.LBB360_859:                            ;   in Loop: Header=BB360_506 Depth=1
	s_or_b32 exec_lo, exec_lo, s16
.LBB360_860:                            ;   in Loop: Header=BB360_506 Depth=1
	s_or_b32 exec_lo, exec_lo, s15
	v_and_b32_sdwa v9, v18, v38 dst_sel:DWORD dst_unused:UNUSED_PAD src0_sel:WORD_1 src1_sel:DWORD
	v_mov_b32_e32 v20, 0
	v_mov_b32_e32 v91, 0
	s_mov_b32 s15, exec_lo
	v_cmpx_ne_u16_e32 0, v9
	s_cbranch_execz .LBB360_868
; %bb.861:                              ;   in Loop: Header=BB360_506 Depth=1
	v_bfrev_b32_e32 v91, 1
	s_mov_b32 s16, exec_lo
	v_cmpx_ne_u16_e32 0x80, v9
	s_cbranch_execz .LBB360_867
; %bb.862:                              ;   in Loop: Header=BB360_506 Depth=1
	v_bfe_u32 v92, v18, 16, 7
	v_mov_b32_e32 v91, 0x7f800001
	s_mov_b32 s17, exec_lo
	v_cmpx_ne_u32_e32 0x7f, v92
	s_cbranch_execz .LBB360_866
; %bb.863:                              ;   in Loop: Header=BB360_506 Depth=1
	v_and_b32_sdwa v9, v18, v39 dst_sel:DWORD dst_unused:UNUSED_PAD src0_sel:WORD_1 src1_sel:DWORD
	v_lshrrev_b32_e32 v91, 3, v92
	s_mov_b32 s18, exec_lo
	v_cmpx_gt_u32_e32 8, v92
; %bb.864:                              ;   in Loop: Header=BB360_506 Depth=1
	v_ffbh_u32_e32 v91, v9
	v_min_u32_e32 v91, 32, v91
	v_subrev_nc_u32_e32 v92, 28, v91
	v_sub_nc_u32_e32 v91, 29, v91
	v_lshlrev_b64 v[92:93], v92, v[9:10]
	v_and_b32_e32 v9, 7, v92
; %bb.865:                              ;   in Loop: Header=BB360_506 Depth=1
	s_or_b32 exec_lo, exec_lo, s18
	v_lshlrev_b32_sdwa v92, v40, v18 dst_sel:DWORD dst_unused:UNUSED_PAD src0_sel:DWORD src1_sel:WORD_1
	v_lshlrev_b32_e32 v9, 20, v9
	v_lshl_add_u32 v91, v91, 23, 0x3c000000
	v_and_b32_e32 v92, 0x80000000, v92
	v_or3_b32 v91, v9, v92, v91
.LBB360_866:                            ;   in Loop: Header=BB360_506 Depth=1
	s_or_b32 exec_lo, exec_lo, s17
.LBB360_867:                            ;   in Loop: Header=BB360_506 Depth=1
	s_or_b32 exec_lo, exec_lo, s16
.LBB360_868:                            ;   in Loop: Header=BB360_506 Depth=1
	s_or_b32 exec_lo, exec_lo, s15
	s_mov_b32 s15, exec_lo
	v_cmpx_lt_u64_e64 s[2:3], v[17:18]
	s_cbranch_execz .LBB360_876
; %bb.869:                              ;   in Loop: Header=BB360_506 Depth=1
	v_cmp_ne_u32_sdwa s0, v18, v36 src0_sel:BYTE_3 src1_sel:DWORD
	v_bfrev_b32_e32 v20, 1
	s_and_saveexec_b32 s16, s0
	s_cbranch_execz .LBB360_875
; %bb.870:                              ;   in Loop: Header=BB360_506 Depth=1
	v_bfe_u32 v92, v18, 24, 7
	v_mov_b32_e32 v20, 0x7f800001
	s_mov_b32 s17, exec_lo
	v_cmpx_ne_u32_e32 0x7f, v92
	s_cbranch_execz .LBB360_874
; %bb.871:                              ;   in Loop: Header=BB360_506 Depth=1
	v_and_b32_sdwa v9, v18, v39 dst_sel:DWORD dst_unused:UNUSED_PAD src0_sel:BYTE_3 src1_sel:DWORD
	v_lshrrev_b32_e32 v17, 3, v92
	s_mov_b32 s18, exec_lo
	v_cmpx_gt_u32_e32 8, v92
; %bb.872:                              ;   in Loop: Header=BB360_506 Depth=1
	v_ffbh_u32_e32 v17, v9
	v_min_u32_e32 v17, 32, v17
	v_subrev_nc_u32_e32 v20, 28, v17
	v_sub_nc_u32_e32 v17, 29, v17
	v_lshlrev_b64 v[92:93], v20, v[9:10]
	v_and_b32_e32 v9, 7, v92
; %bb.873:                              ;   in Loop: Header=BB360_506 Depth=1
	s_or_b32 exec_lo, exec_lo, s18
	v_lshlrev_b32_sdwa v18, v40, v18 dst_sel:DWORD dst_unused:UNUSED_PAD src0_sel:DWORD src1_sel:BYTE_3
	v_lshlrev_b32_e32 v9, 20, v9
	v_lshl_add_u32 v17, v17, 23, 0x3c000000
	v_and_b32_e32 v18, 0x80000000, v18
	v_or3_b32 v20, v9, v18, v17
.LBB360_874:                            ;   in Loop: Header=BB360_506 Depth=1
	s_or_b32 exec_lo, exec_lo, s17
.LBB360_875:                            ;   in Loop: Header=BB360_506 Depth=1
	s_or_b32 exec_lo, exec_lo, s16
.LBB360_876:                            ;   in Loop: Header=BB360_506 Depth=1
	s_or_b32 exec_lo, exec_lo, s15
	v_mul_f32_e32 v9, s5, v19
	v_mul_f32_e32 v17, s5, v90
	;; [unrolled: 1-line block ×5, first 2 shown]
	v_bfe_u32 v21, v9, 16, 1
	v_or_b32_e32 v89, 0x400000, v9
	v_bfe_u32 v90, v17, 16, 1
	v_cmp_u_f32_e64 s0, v9, v9
	v_or_b32_e32 v92, 0x400000, v17
	v_add3_u32 v21, v21, v9, 0x7fff
	v_bfe_u32 v93, v18, 16, 1
	v_add3_u32 v90, v90, v17, 0x7fff
	v_or_b32_e32 v94, 0x400000, v18
	v_bfe_u32 v95, v19, 16, 1
	v_cndmask_b32_e64 v9, v21, v89, s0
	v_cmp_u_f32_e64 s0, v17, v17
	v_add3_u32 v93, v93, v18, 0x7fff
	v_lshrrev_b32_e32 v21, 16, v9
	v_cndmask_b32_e64 v17, v90, v92, s0
	v_cmp_u_f32_e64 s0, v18, v18
	v_mul_f32_e32 v9, s5, v0
	v_add3_u32 v90, v95, v19, 0x7fff
	v_or_b32_e32 v92, 0x400000, v19
	v_lshrrev_b32_e32 v0, 16, v17
	v_cndmask_b32_e64 v18, v93, v94, s0
	v_bfe_u32 v17, v9, 16, 1
	v_cmp_u_f32_e64 s0, v19, v19
	v_mul_f32_e32 v19, s5, v22
	v_mul_f32_e32 v22, s5, v91
	v_lshrrev_b32_e32 v89, 16, v18
	v_add3_u32 v17, v17, v9, 0x7fff
	v_cndmask_b32_e64 v18, v90, v92, s0
	v_or_b32_e32 v90, 0x400000, v9
	v_bfe_u32 v91, v19, 16, 1
	v_cmp_u_f32_e64 s0, v9, v9
	v_bfe_u32 v92, v22, 16, 1
	v_or_b32_e32 v93, 0x400000, v22
	v_or_b32_e32 v94, 0x400000, v20
	v_cndmask_b32_e64 v9, v17, v90, s0
	v_add3_u32 v90, v91, v19, 0x7fff
	v_or_b32_e32 v91, 0x400000, v19
	v_cmp_u_f32_e64 s0, v19, v19
	v_bfe_u32 v17, v20, 16, 1
	v_add3_u32 v92, v92, v22, 0x7fff
	v_cndmask_b32_e64 v19, v90, v91, s0
	v_cmp_u_f32_e64 s0, v22, v22
	v_add3_u32 v17, v17, v20, 0x7fff
	v_lshrrev_b32_e32 v91, 16, v18
	v_cndmask_b32_e64 v22, v92, v93, s0
	v_cmp_u_f32_e64 s0, v20, v20
	v_lshrrev_b32_e32 v93, 16, v9
	v_lshrrev_b32_e32 v92, 16, v19
	;; [unrolled: 1-line block ×3, first 2 shown]
	v_cndmask_b32_e64 v17, v17, v94, s0
	v_lshrrev_b32_e32 v90, 16, v17
	s_and_saveexec_b32 s15, vcc_lo
	s_cbranch_execz .LBB360_878
; %bb.877:                              ;   in Loop: Header=BB360_506 Depth=1
	v_cmp_gt_i32_e64 s0, s11, v50
	v_cndmask_b32_e64 v92, 0, v92, s0
	v_cmp_gt_i32_e64 s0, s11, v61
	v_cndmask_b32_e64 v93, 0, v93, s0
	;; [unrolled: 2-line block ×8, first 2 shown]
.LBB360_878:                            ;   in Loop: Header=BB360_506 Depth=1
	s_or_b32 exec_lo, exec_lo, s15
	global_load_dwordx2 v[17:18], v[15:16], off offset:1536
	v_mov_b32_e32 v96, 0
	v_mov_b32_e32 v94, 0
	s_waitcnt vmcnt(0)
	v_cmp_ne_u16_sdwa s0, v17, v10 src0_sel:BYTE_0 src1_sel:DWORD
	s_and_saveexec_b32 s15, s0
	s_cbranch_execz .LBB360_884
; %bb.879:                              ;   in Loop: Header=BB360_506 Depth=1
	v_cmp_ne_u16_sdwa s0, v17, v36 src0_sel:BYTE_0 src1_sel:DWORD
	v_bfrev_b32_e32 v94, 1
	s_and_saveexec_b32 s16, s0
	s_cbranch_execz .LBB360_883
; %bb.880:                              ;   in Loop: Header=BB360_506 Depth=1
	v_and_b32_e32 v9, 0x7f, v17
	v_mov_b32_e32 v94, 0x7f800001
	s_mov_b32 s17, exec_lo
	v_cmpx_ne_u32_e32 0x7f, v9
	s_cbranch_execz .LBB360_882
; %bb.881:                              ;   in Loop: Header=BB360_506 Depth=1
	v_and_b32_e32 v19, 7, v17
	v_lshrrev_b32_e32 v20, 3, v9
	v_cmp_gt_u32_e64 s0, 8, v9
	v_ffbh_u32_e32 v19, v19
	v_min_u32_e32 v19, 32, v19
	v_subrev_nc_u32_e32 v94, 28, v19
	v_sub_nc_u32_e32 v19, 29, v19
	v_cndmask_b32_e64 v9, v20, v19, s0
	v_cndmask_b32_e64 v19, 0, v94, s0
	v_lshl_add_u32 v9, v9, 23, 0x3c000000
	v_lshlrev_b64 v[19:20], v19, v[17:18]
	v_lshlrev_b32_e32 v20, 24, v17
	v_lshlrev_b32_e32 v19, 20, v19
	v_and_b32_e32 v20, 0x80000000, v20
	v_and_b32_e32 v19, 0x700000, v19
	v_or3_b32 v94, v19, v20, v9
.LBB360_882:                            ;   in Loop: Header=BB360_506 Depth=1
	s_or_b32 exec_lo, exec_lo, s17
.LBB360_883:                            ;   in Loop: Header=BB360_506 Depth=1
	s_or_b32 exec_lo, exec_lo, s16
.LBB360_884:                            ;   in Loop: Header=BB360_506 Depth=1
	s_or_b32 exec_lo, exec_lo, s15
	v_cmp_ne_u16_sdwa s0, v17, v10 src0_sel:BYTE_1 src1_sel:DWORD
	s_and_saveexec_b32 s15, s0
	s_cbranch_execz .LBB360_892
; %bb.885:                              ;   in Loop: Header=BB360_506 Depth=1
	v_cmp_ne_u16_sdwa s0, v17, v36 src0_sel:BYTE_1 src1_sel:DWORD
	v_bfrev_b32_e32 v96, 1
	s_and_saveexec_b32 s16, s0
	s_cbranch_execz .LBB360_891
; %bb.886:                              ;   in Loop: Header=BB360_506 Depth=1
	v_and_b32_sdwa v9, v37, v17 dst_sel:DWORD dst_unused:UNUSED_PAD src0_sel:DWORD src1_sel:BYTE_1
	v_mov_b32_e32 v96, 0x7f800001
	s_mov_b32 s17, exec_lo
	v_and_b32_e32 v20, 0x7f, v9
	v_cmpx_ne_u32_e32 0x7f, v20
	s_cbranch_execz .LBB360_890
; %bb.887:                              ;   in Loop: Header=BB360_506 Depth=1
	v_and_b32_e32 v9, 7, v9
	v_lshrrev_b32_e32 v19, 3, v20
	s_mov_b32 s18, exec_lo
	v_cmpx_gt_u32_e32 8, v20
; %bb.888:                              ;   in Loop: Header=BB360_506 Depth=1
	v_ffbh_u32_e32 v19, v9
	v_min_u32_e32 v19, 32, v19
	v_subrev_nc_u32_e32 v20, 28, v19
	v_sub_nc_u32_e32 v19, 29, v19
	v_lshlrev_b64 v[95:96], v20, v[9:10]
	v_and_b32_e32 v9, 7, v95
; %bb.889:                              ;   in Loop: Header=BB360_506 Depth=1
	s_or_b32 exec_lo, exec_lo, s18
	v_lshlrev_b32_e32 v20, 16, v17
	v_lshlrev_b32_e32 v9, 20, v9
	v_lshl_add_u32 v19, v19, 23, 0x3c000000
	v_and_b32_e32 v20, 0x80000000, v20
	v_or3_b32 v96, v9, v20, v19
.LBB360_890:                            ;   in Loop: Header=BB360_506 Depth=1
	s_or_b32 exec_lo, exec_lo, s17
.LBB360_891:                            ;   in Loop: Header=BB360_506 Depth=1
	s_or_b32 exec_lo, exec_lo, s16
.LBB360_892:                            ;   in Loop: Header=BB360_506 Depth=1
	s_or_b32 exec_lo, exec_lo, s15
	v_and_b32_sdwa v9, v17, v38 dst_sel:DWORD dst_unused:UNUSED_PAD src0_sel:WORD_1 src1_sel:DWORD
	v_mov_b32_e32 v97, 0
	v_mov_b32_e32 v95, 0
	s_mov_b32 s15, exec_lo
	v_cmpx_ne_u16_e32 0, v9
	s_cbranch_execz .LBB360_900
; %bb.893:                              ;   in Loop: Header=BB360_506 Depth=1
	v_bfrev_b32_e32 v95, 1
	s_mov_b32 s16, exec_lo
	v_cmpx_ne_u16_e32 0x80, v9
	s_cbranch_execz .LBB360_899
; %bb.894:                              ;   in Loop: Header=BB360_506 Depth=1
	v_bfe_u32 v20, v17, 16, 7
	v_mov_b32_e32 v95, 0x7f800001
	s_mov_b32 s17, exec_lo
	v_cmpx_ne_u32_e32 0x7f, v20
	s_cbranch_execz .LBB360_898
; %bb.895:                              ;   in Loop: Header=BB360_506 Depth=1
	v_and_b32_sdwa v9, v17, v39 dst_sel:DWORD dst_unused:UNUSED_PAD src0_sel:WORD_1 src1_sel:DWORD
	v_lshrrev_b32_e32 v19, 3, v20
	s_mov_b32 s18, exec_lo
	v_cmpx_gt_u32_e32 8, v20
; %bb.896:                              ;   in Loop: Header=BB360_506 Depth=1
	v_ffbh_u32_e32 v19, v9
	v_min_u32_e32 v19, 32, v19
	v_subrev_nc_u32_e32 v20, 28, v19
	v_sub_nc_u32_e32 v19, 29, v19
	v_lshlrev_b64 v[98:99], v20, v[9:10]
	v_and_b32_e32 v9, 7, v98
; %bb.897:                              ;   in Loop: Header=BB360_506 Depth=1
	s_or_b32 exec_lo, exec_lo, s18
	v_lshlrev_b32_sdwa v20, v40, v17 dst_sel:DWORD dst_unused:UNUSED_PAD src0_sel:DWORD src1_sel:WORD_1
	v_lshlrev_b32_e32 v9, 20, v9
	v_lshl_add_u32 v19, v19, 23, 0x3c000000
	v_and_b32_e32 v20, 0x80000000, v20
	v_or3_b32 v95, v9, v20, v19
.LBB360_898:                            ;   in Loop: Header=BB360_506 Depth=1
	s_or_b32 exec_lo, exec_lo, s17
.LBB360_899:                            ;   in Loop: Header=BB360_506 Depth=1
	s_or_b32 exec_lo, exec_lo, s16
.LBB360_900:                            ;   in Loop: Header=BB360_506 Depth=1
	s_or_b32 exec_lo, exec_lo, s15
	s_mov_b32 s15, exec_lo
	v_cmpx_lt_u32_e32 0xffffff, v17
	s_cbranch_execz .LBB360_908
; %bb.901:                              ;   in Loop: Header=BB360_506 Depth=1
	v_cmp_ne_u32_sdwa s0, v17, v36 src0_sel:BYTE_3 src1_sel:DWORD
	v_bfrev_b32_e32 v97, 1
	s_and_saveexec_b32 s16, s0
	s_cbranch_execz .LBB360_907
; %bb.902:                              ;   in Loop: Header=BB360_506 Depth=1
	v_bfe_u32 v20, v17, 24, 7
	v_mov_b32_e32 v97, 0x7f800001
	s_mov_b32 s17, exec_lo
	v_cmpx_ne_u32_e32 0x7f, v20
	s_cbranch_execz .LBB360_906
; %bb.903:                              ;   in Loop: Header=BB360_506 Depth=1
	v_and_b32_sdwa v9, v17, v39 dst_sel:DWORD dst_unused:UNUSED_PAD src0_sel:BYTE_3 src1_sel:DWORD
	v_lshrrev_b32_e32 v19, 3, v20
	s_mov_b32 s18, exec_lo
	v_cmpx_gt_u32_e32 8, v20
; %bb.904:                              ;   in Loop: Header=BB360_506 Depth=1
	v_ffbh_u32_e32 v19, v9
	v_min_u32_e32 v19, 32, v19
	v_subrev_nc_u32_e32 v20, 28, v19
	v_sub_nc_u32_e32 v19, 29, v19
	v_lshlrev_b64 v[97:98], v20, v[9:10]
	v_and_b32_e32 v9, 7, v97
; %bb.905:                              ;   in Loop: Header=BB360_506 Depth=1
	s_or_b32 exec_lo, exec_lo, s18
	v_lshlrev_b32_sdwa v20, v40, v17 dst_sel:DWORD dst_unused:UNUSED_PAD src0_sel:DWORD src1_sel:BYTE_3
	v_lshlrev_b32_e32 v9, 20, v9
	v_lshl_add_u32 v19, v19, 23, 0x3c000000
	v_and_b32_e32 v20, 0x80000000, v20
	v_or3_b32 v97, v9, v20, v19
.LBB360_906:                            ;   in Loop: Header=BB360_506 Depth=1
	s_or_b32 exec_lo, exec_lo, s17
.LBB360_907:                            ;   in Loop: Header=BB360_506 Depth=1
	s_or_b32 exec_lo, exec_lo, s16
.LBB360_908:                            ;   in Loop: Header=BB360_506 Depth=1
	s_or_b32 exec_lo, exec_lo, s15
	v_mov_b32_e32 v9, v18
	v_cmp_ne_u16_sdwa s0, v18, v10 src0_sel:BYTE_0 src1_sel:DWORD
	v_mov_b32_e32 v19, 0
	v_mov_b32_e32 v98, 0
	s_and_saveexec_b32 s15, s0
	s_cbranch_execz .LBB360_914
; %bb.909:                              ;   in Loop: Header=BB360_506 Depth=1
	v_cmp_ne_u16_sdwa s0, v18, v36 src0_sel:BYTE_0 src1_sel:DWORD
	v_bfrev_b32_e32 v98, 1
	s_and_saveexec_b32 s16, s0
	s_cbranch_execz .LBB360_913
; %bb.910:                              ;   in Loop: Header=BB360_506 Depth=1
	v_and_b32_e32 v20, 0x7f, v18
	v_mov_b32_e32 v98, 0x7f800001
	s_mov_b32 s17, exec_lo
	v_cmpx_ne_u32_e32 0x7f, v20
	s_cbranch_execz .LBB360_912
; %bb.911:                              ;   in Loop: Header=BB360_506 Depth=1
	v_and_b32_e32 v98, 7, v18
	v_lshrrev_b32_e32 v99, 3, v20
	v_cmp_gt_u32_e64 s0, 8, v20
	v_ffbh_u32_e32 v98, v98
	v_min_u32_e32 v98, 32, v98
	v_subrev_nc_u32_e32 v100, 28, v98
	v_sub_nc_u32_e32 v98, 29, v98
	v_cndmask_b32_e64 v20, v99, v98, s0
	v_cndmask_b32_e64 v98, 0, v100, s0
	v_lshl_add_u32 v20, v20, 23, 0x3c000000
	v_lshlrev_b64 v[98:99], v98, v[9:10]
	v_lshlrev_b32_e32 v99, 24, v9
	v_lshlrev_b32_e32 v98, 20, v98
	v_and_b32_e32 v99, 0x80000000, v99
	v_and_b32_e32 v98, 0x700000, v98
	v_or3_b32 v98, v98, v99, v20
.LBB360_912:                            ;   in Loop: Header=BB360_506 Depth=1
	s_or_b32 exec_lo, exec_lo, s17
.LBB360_913:                            ;   in Loop: Header=BB360_506 Depth=1
	s_or_b32 exec_lo, exec_lo, s16
.LBB360_914:                            ;   in Loop: Header=BB360_506 Depth=1
	s_or_b32 exec_lo, exec_lo, s15
	v_cmp_ne_u16_sdwa s0, v9, v10 src0_sel:BYTE_1 src1_sel:DWORD
	s_and_saveexec_b32 s15, s0
	s_cbranch_execz .LBB360_922
; %bb.915:                              ;   in Loop: Header=BB360_506 Depth=1
	v_cmp_ne_u16_sdwa s0, v9, v36 src0_sel:BYTE_1 src1_sel:DWORD
	v_bfrev_b32_e32 v19, 1
	s_and_saveexec_b32 s16, s0
	s_cbranch_execz .LBB360_921
; %bb.916:                              ;   in Loop: Header=BB360_506 Depth=1
	v_and_b32_sdwa v20, v37, v9 dst_sel:DWORD dst_unused:UNUSED_PAD src0_sel:DWORD src1_sel:BYTE_1
	v_mov_b32_e32 v19, 0x7f800001
	s_mov_b32 s17, exec_lo
	v_and_b32_e32 v100, 0x7f, v20
	v_cmpx_ne_u32_e32 0x7f, v100
	s_cbranch_execz .LBB360_920
; %bb.917:                              ;   in Loop: Header=BB360_506 Depth=1
	v_and_b32_e32 v19, 7, v20
	v_mov_b32_e32 v20, v10
	v_lshrrev_b32_e32 v99, 3, v100
	s_mov_b32 s18, exec_lo
	v_cmpx_gt_u32_e32 8, v100
; %bb.918:                              ;   in Loop: Header=BB360_506 Depth=1
	v_ffbh_u32_e32 v99, v19
	v_min_u32_e32 v99, 32, v99
	v_subrev_nc_u32_e32 v100, 28, v99
	v_sub_nc_u32_e32 v99, 29, v99
	v_lshlrev_b64 v[19:20], v100, v[19:20]
	v_and_b32_e32 v19, 7, v19
; %bb.919:                              ;   in Loop: Header=BB360_506 Depth=1
	s_or_b32 exec_lo, exec_lo, s18
	v_lshlrev_b32_e32 v9, 16, v9
	v_lshlrev_b32_e32 v19, 20, v19
	v_lshl_add_u32 v20, v99, 23, 0x3c000000
	v_and_b32_e32 v9, 0x80000000, v9
	v_or3_b32 v19, v19, v9, v20
.LBB360_920:                            ;   in Loop: Header=BB360_506 Depth=1
	s_or_b32 exec_lo, exec_lo, s17
.LBB360_921:                            ;   in Loop: Header=BB360_506 Depth=1
	s_or_b32 exec_lo, exec_lo, s16
.LBB360_922:                            ;   in Loop: Header=BB360_506 Depth=1
	s_or_b32 exec_lo, exec_lo, s15
	v_and_b32_sdwa v9, v18, v38 dst_sel:DWORD dst_unused:UNUSED_PAD src0_sel:WORD_1 src1_sel:DWORD
	v_mov_b32_e32 v100, 0
	v_mov_b32_e32 v101, 0
	s_mov_b32 s15, exec_lo
	v_cmpx_ne_u16_e32 0, v9
	s_cbranch_execz .LBB360_930
; %bb.923:                              ;   in Loop: Header=BB360_506 Depth=1
	v_bfrev_b32_e32 v101, 1
	s_mov_b32 s16, exec_lo
	v_cmpx_ne_u16_e32 0x80, v9
	s_cbranch_execz .LBB360_929
; %bb.924:                              ;   in Loop: Header=BB360_506 Depth=1
	v_bfe_u32 v99, v18, 16, 7
	v_mov_b32_e32 v101, 0x7f800001
	s_mov_b32 s17, exec_lo
	v_cmpx_ne_u32_e32 0x7f, v99
	s_cbranch_execz .LBB360_928
; %bb.925:                              ;   in Loop: Header=BB360_506 Depth=1
	v_and_b32_sdwa v9, v18, v39 dst_sel:DWORD dst_unused:UNUSED_PAD src0_sel:WORD_1 src1_sel:DWORD
	v_lshrrev_b32_e32 v20, 3, v99
	s_mov_b32 s18, exec_lo
	v_cmpx_gt_u32_e32 8, v99
; %bb.926:                              ;   in Loop: Header=BB360_506 Depth=1
	v_ffbh_u32_e32 v20, v9
	v_min_u32_e32 v20, 32, v20
	v_subrev_nc_u32_e32 v99, 28, v20
	v_sub_nc_u32_e32 v20, 29, v20
	v_lshlrev_b64 v[101:102], v99, v[9:10]
	v_and_b32_e32 v9, 7, v101
; %bb.927:                              ;   in Loop: Header=BB360_506 Depth=1
	s_or_b32 exec_lo, exec_lo, s18
	v_lshlrev_b32_sdwa v99, v40, v18 dst_sel:DWORD dst_unused:UNUSED_PAD src0_sel:DWORD src1_sel:WORD_1
	v_lshlrev_b32_e32 v9, 20, v9
	v_lshl_add_u32 v20, v20, 23, 0x3c000000
	v_and_b32_e32 v99, 0x80000000, v99
	v_or3_b32 v101, v9, v99, v20
.LBB360_928:                            ;   in Loop: Header=BB360_506 Depth=1
	s_or_b32 exec_lo, exec_lo, s17
.LBB360_929:                            ;   in Loop: Header=BB360_506 Depth=1
	s_or_b32 exec_lo, exec_lo, s16
.LBB360_930:                            ;   in Loop: Header=BB360_506 Depth=1
	s_or_b32 exec_lo, exec_lo, s15
	s_mov_b32 s15, exec_lo
	v_cmpx_lt_u64_e64 s[2:3], v[17:18]
	s_cbranch_execz .LBB360_938
; %bb.931:                              ;   in Loop: Header=BB360_506 Depth=1
	v_cmp_ne_u32_sdwa s0, v18, v36 src0_sel:BYTE_3 src1_sel:DWORD
	v_bfrev_b32_e32 v100, 1
	s_and_saveexec_b32 s16, s0
	s_cbranch_execz .LBB360_937
; %bb.932:                              ;   in Loop: Header=BB360_506 Depth=1
	v_bfe_u32 v20, v18, 24, 7
	v_mov_b32_e32 v100, 0x7f800001
	s_mov_b32 s17, exec_lo
	v_cmpx_ne_u32_e32 0x7f, v20
	s_cbranch_execz .LBB360_936
; %bb.933:                              ;   in Loop: Header=BB360_506 Depth=1
	v_and_b32_sdwa v9, v18, v39 dst_sel:DWORD dst_unused:UNUSED_PAD src0_sel:BYTE_3 src1_sel:DWORD
	v_lshrrev_b32_e32 v17, 3, v20
	s_mov_b32 s18, exec_lo
	v_cmpx_gt_u32_e32 8, v20
; %bb.934:                              ;   in Loop: Header=BB360_506 Depth=1
	v_ffbh_u32_e32 v17, v9
	v_min_u32_e32 v17, 32, v17
	v_subrev_nc_u32_e32 v20, 28, v17
	v_sub_nc_u32_e32 v17, 29, v17
	v_lshlrev_b64 v[99:100], v20, v[9:10]
	v_and_b32_e32 v9, 7, v99
; %bb.935:                              ;   in Loop: Header=BB360_506 Depth=1
	s_or_b32 exec_lo, exec_lo, s18
	v_lshlrev_b32_sdwa v18, v40, v18 dst_sel:DWORD dst_unused:UNUSED_PAD src0_sel:DWORD src1_sel:BYTE_3
	v_lshlrev_b32_e32 v9, 20, v9
	v_lshl_add_u32 v17, v17, 23, 0x3c000000
	v_and_b32_e32 v18, 0x80000000, v18
	v_or3_b32 v100, v9, v18, v17
.LBB360_936:                            ;   in Loop: Header=BB360_506 Depth=1
	s_or_b32 exec_lo, exec_lo, s17
.LBB360_937:                            ;   in Loop: Header=BB360_506 Depth=1
	s_or_b32 exec_lo, exec_lo, s16
.LBB360_938:                            ;   in Loop: Header=BB360_506 Depth=1
	s_or_b32 exec_lo, exec_lo, s15
	v_mul_f32_e32 v9, s5, v19
	v_mul_f32_e32 v17, s5, v98
	;; [unrolled: 1-line block ×4, first 2 shown]
	v_bfe_u32 v20, v9, 16, 1
	v_or_b32_e32 v95, 0x400000, v9
	v_bfe_u32 v97, v17, 16, 1
	v_cmp_u_f32_e64 s0, v9, v9
	v_or_b32_e32 v98, 0x400000, v17
	v_add3_u32 v20, v20, v9, 0x7fff
	v_bfe_u32 v99, v18, 16, 1
	v_add3_u32 v97, v97, v17, 0x7fff
	v_or_b32_e32 v102, 0x400000, v18
	v_bfe_u32 v103, v19, 16, 1
	v_cndmask_b32_e64 v9, v20, v95, s0
	v_cmp_u_f32_e64 s0, v17, v17
	v_add3_u32 v99, v99, v18, 0x7fff
	v_lshrrev_b32_e32 v95, 16, v9
	v_cndmask_b32_e64 v17, v97, v98, s0
	v_cmp_u_f32_e64 s0, v18, v18
	v_mul_f32_e32 v9, s5, v96
	v_add3_u32 v96, v103, v19, 0x7fff
	v_or_b32_e32 v97, 0x400000, v19
	v_lshrrev_b32_e32 v20, 16, v17
	v_cndmask_b32_e64 v18, v99, v102, s0
	v_bfe_u32 v17, v9, 16, 1
	v_cmp_u_f32_e64 s0, v19, v19
	v_mul_f32_e32 v19, s5, v94
	v_mul_f32_e32 v94, s5, v101
	v_lshrrev_b32_e32 v99, 16, v18
	v_add3_u32 v17, v17, v9, 0x7fff
	v_cndmask_b32_e64 v18, v96, v97, s0
	v_or_b32_e32 v96, 0x400000, v9
	v_bfe_u32 v98, v19, 16, 1
	v_cmp_u_f32_e64 s0, v9, v9
	v_mul_f32_e32 v97, s5, v100
	v_bfe_u32 v100, v94, 16, 1
	v_or_b32_e32 v101, 0x400000, v94
	v_cndmask_b32_e64 v9, v17, v96, s0
	v_add3_u32 v96, v98, v19, 0x7fff
	v_or_b32_e32 v98, 0x400000, v19
	v_cmp_u_f32_e64 s0, v19, v19
	v_bfe_u32 v17, v97, 16, 1
	v_add3_u32 v100, v100, v94, 0x7fff
	v_or_b32_e32 v102, 0x400000, v97
	v_cndmask_b32_e64 v19, v96, v98, s0
	v_cmp_u_f32_e64 s0, v94, v94
	v_add3_u32 v17, v17, v97, 0x7fff
	v_cndmask_b32_e64 v94, v100, v101, s0
	v_cmp_u_f32_e64 s0, v97, v97
	v_lshrrev_b32_e32 v100, 16, v18
	v_lshrrev_b32_e32 v101, 16, v19
	v_lshrrev_b32_e32 v97, 16, v94
	v_cndmask_b32_e64 v17, v17, v102, s0
	v_lshrrev_b32_e32 v102, 16, v9
	v_lshrrev_b32_e32 v98, 16, v17
	s_and_saveexec_b32 s15, vcc_lo
	s_cbranch_execz .LBB360_940
; %bb.939:                              ;   in Loop: Header=BB360_506 Depth=1
	v_cmp_gt_i32_e64 s0, s11, v50
	v_cndmask_b32_e64 v101, 0, v101, s0
	v_cmp_gt_i32_e64 s0, s11, v61
	v_cndmask_b32_e64 v102, 0, v102, s0
	;; [unrolled: 2-line block ×8, first 2 shown]
.LBB360_940:                            ;   in Loop: Header=BB360_506 Depth=1
	s_or_b32 exec_lo, exec_lo, s15
	global_load_dwordx2 v[15:16], v[15:16], off offset:1792
	v_mov_b32_e32 v94, 0
	v_mov_b32_e32 v19, 0
	s_waitcnt vmcnt(0)
	v_cmp_ne_u16_sdwa s0, v15, v10 src0_sel:BYTE_0 src1_sel:DWORD
	s_and_saveexec_b32 s15, s0
	s_cbranch_execz .LBB360_946
; %bb.941:                              ;   in Loop: Header=BB360_506 Depth=1
	v_cmp_ne_u16_sdwa s0, v15, v36 src0_sel:BYTE_0 src1_sel:DWORD
	v_bfrev_b32_e32 v19, 1
	s_and_saveexec_b32 s16, s0
	s_cbranch_execz .LBB360_945
; %bb.942:                              ;   in Loop: Header=BB360_506 Depth=1
	v_and_b32_e32 v9, 0x7f, v15
	v_mov_b32_e32 v19, 0x7f800001
	s_mov_b32 s17, exec_lo
	v_cmpx_ne_u32_e32 0x7f, v9
	s_cbranch_execz .LBB360_944
; %bb.943:                              ;   in Loop: Header=BB360_506 Depth=1
	v_and_b32_e32 v17, 7, v15
	v_lshrrev_b32_e32 v18, 3, v9
	v_cmp_gt_u32_e64 s0, 8, v9
	v_ffbh_u32_e32 v17, v17
	v_min_u32_e32 v17, 32, v17
	v_subrev_nc_u32_e32 v19, 28, v17
	v_sub_nc_u32_e32 v17, 29, v17
	v_cndmask_b32_e64 v9, v18, v17, s0
	v_cndmask_b32_e64 v17, 0, v19, s0
	v_lshl_add_u32 v9, v9, 23, 0x3c000000
	v_lshlrev_b64 v[17:18], v17, v[15:16]
	v_lshlrev_b32_e32 v18, 24, v15
	v_lshlrev_b32_e32 v17, 20, v17
	v_and_b32_e32 v18, 0x80000000, v18
	v_and_b32_e32 v17, 0x700000, v17
	v_or3_b32 v19, v17, v18, v9
.LBB360_944:                            ;   in Loop: Header=BB360_506 Depth=1
	s_or_b32 exec_lo, exec_lo, s17
.LBB360_945:                            ;   in Loop: Header=BB360_506 Depth=1
	s_or_b32 exec_lo, exec_lo, s16
.LBB360_946:                            ;   in Loop: Header=BB360_506 Depth=1
	s_or_b32 exec_lo, exec_lo, s15
	v_cmp_ne_u16_sdwa s0, v15, v10 src0_sel:BYTE_1 src1_sel:DWORD
	s_and_saveexec_b32 s15, s0
	s_cbranch_execz .LBB360_954
; %bb.947:                              ;   in Loop: Header=BB360_506 Depth=1
	v_cmp_ne_u16_sdwa s0, v15, v36 src0_sel:BYTE_1 src1_sel:DWORD
	v_bfrev_b32_e32 v94, 1
	s_and_saveexec_b32 s16, s0
	s_cbranch_execz .LBB360_953
; %bb.948:                              ;   in Loop: Header=BB360_506 Depth=1
	v_and_b32_sdwa v9, v37, v15 dst_sel:DWORD dst_unused:UNUSED_PAD src0_sel:DWORD src1_sel:BYTE_1
	v_mov_b32_e32 v94, 0x7f800001
	s_mov_b32 s17, exec_lo
	v_and_b32_e32 v18, 0x7f, v9
	v_cmpx_ne_u32_e32 0x7f, v18
	s_cbranch_execz .LBB360_952
; %bb.949:                              ;   in Loop: Header=BB360_506 Depth=1
	v_and_b32_e32 v9, 7, v9
	v_lshrrev_b32_e32 v17, 3, v18
	s_mov_b32 s18, exec_lo
	v_cmpx_gt_u32_e32 8, v18
; %bb.950:                              ;   in Loop: Header=BB360_506 Depth=1
	v_ffbh_u32_e32 v17, v9
	v_min_u32_e32 v17, 32, v17
	v_subrev_nc_u32_e32 v18, 28, v17
	v_sub_nc_u32_e32 v17, 29, v17
	v_lshlrev_b64 v[103:104], v18, v[9:10]
	v_and_b32_e32 v9, 7, v103
; %bb.951:                              ;   in Loop: Header=BB360_506 Depth=1
	s_or_b32 exec_lo, exec_lo, s18
	v_lshlrev_b32_e32 v18, 16, v15
	v_lshlrev_b32_e32 v9, 20, v9
	v_lshl_add_u32 v17, v17, 23, 0x3c000000
	v_and_b32_e32 v18, 0x80000000, v18
	v_or3_b32 v94, v9, v18, v17
.LBB360_952:                            ;   in Loop: Header=BB360_506 Depth=1
	s_or_b32 exec_lo, exec_lo, s17
.LBB360_953:                            ;   in Loop: Header=BB360_506 Depth=1
	s_or_b32 exec_lo, exec_lo, s16
.LBB360_954:                            ;   in Loop: Header=BB360_506 Depth=1
	s_or_b32 exec_lo, exec_lo, s15
	v_and_b32_sdwa v9, v15, v38 dst_sel:DWORD dst_unused:UNUSED_PAD src0_sel:WORD_1 src1_sel:DWORD
	v_mov_b32_e32 v103, 0
	v_mov_b32_e32 v96, 0
	s_mov_b32 s15, exec_lo
	v_cmpx_ne_u16_e32 0, v9
	s_cbranch_execz .LBB360_962
; %bb.955:                              ;   in Loop: Header=BB360_506 Depth=1
	v_bfrev_b32_e32 v96, 1
	s_mov_b32 s16, exec_lo
	v_cmpx_ne_u16_e32 0x80, v9
	s_cbranch_execz .LBB360_961
; %bb.956:                              ;   in Loop: Header=BB360_506 Depth=1
	v_bfe_u32 v18, v15, 16, 7
	v_mov_b32_e32 v96, 0x7f800001
	s_mov_b32 s17, exec_lo
	v_cmpx_ne_u32_e32 0x7f, v18
	s_cbranch_execz .LBB360_960
; %bb.957:                              ;   in Loop: Header=BB360_506 Depth=1
	v_and_b32_sdwa v9, v15, v39 dst_sel:DWORD dst_unused:UNUSED_PAD src0_sel:WORD_1 src1_sel:DWORD
	v_lshrrev_b32_e32 v17, 3, v18
	s_mov_b32 s18, exec_lo
	v_cmpx_gt_u32_e32 8, v18
; %bb.958:                              ;   in Loop: Header=BB360_506 Depth=1
	v_ffbh_u32_e32 v17, v9
	v_min_u32_e32 v17, 32, v17
	v_subrev_nc_u32_e32 v18, 28, v17
	v_sub_nc_u32_e32 v17, 29, v17
	v_lshlrev_b64 v[104:105], v18, v[9:10]
	v_and_b32_e32 v9, 7, v104
; %bb.959:                              ;   in Loop: Header=BB360_506 Depth=1
	s_or_b32 exec_lo, exec_lo, s18
	v_lshlrev_b32_sdwa v18, v40, v15 dst_sel:DWORD dst_unused:UNUSED_PAD src0_sel:DWORD src1_sel:WORD_1
	v_lshlrev_b32_e32 v9, 20, v9
	v_lshl_add_u32 v17, v17, 23, 0x3c000000
	v_and_b32_e32 v18, 0x80000000, v18
	v_or3_b32 v96, v9, v18, v17
.LBB360_960:                            ;   in Loop: Header=BB360_506 Depth=1
	s_or_b32 exec_lo, exec_lo, s17
.LBB360_961:                            ;   in Loop: Header=BB360_506 Depth=1
	s_or_b32 exec_lo, exec_lo, s16
.LBB360_962:                            ;   in Loop: Header=BB360_506 Depth=1
	s_or_b32 exec_lo, exec_lo, s15
	s_mov_b32 s15, exec_lo
	v_cmpx_lt_u32_e32 0xffffff, v15
	s_cbranch_execz .LBB360_970
; %bb.963:                              ;   in Loop: Header=BB360_506 Depth=1
	v_cmp_ne_u32_sdwa s0, v15, v36 src0_sel:BYTE_3 src1_sel:DWORD
	v_bfrev_b32_e32 v103, 1
	s_and_saveexec_b32 s16, s0
	s_cbranch_execz .LBB360_969
; %bb.964:                              ;   in Loop: Header=BB360_506 Depth=1
	v_bfe_u32 v18, v15, 24, 7
	v_mov_b32_e32 v103, 0x7f800001
	s_mov_b32 s17, exec_lo
	v_cmpx_ne_u32_e32 0x7f, v18
	s_cbranch_execz .LBB360_968
; %bb.965:                              ;   in Loop: Header=BB360_506 Depth=1
	v_and_b32_sdwa v9, v15, v39 dst_sel:DWORD dst_unused:UNUSED_PAD src0_sel:BYTE_3 src1_sel:DWORD
	v_lshrrev_b32_e32 v17, 3, v18
	s_mov_b32 s18, exec_lo
	v_cmpx_gt_u32_e32 8, v18
; %bb.966:                              ;   in Loop: Header=BB360_506 Depth=1
	v_ffbh_u32_e32 v17, v9
	v_min_u32_e32 v17, 32, v17
	v_subrev_nc_u32_e32 v18, 28, v17
	v_sub_nc_u32_e32 v17, 29, v17
	v_lshlrev_b64 v[103:104], v18, v[9:10]
	v_and_b32_e32 v9, 7, v103
; %bb.967:                              ;   in Loop: Header=BB360_506 Depth=1
	s_or_b32 exec_lo, exec_lo, s18
	v_lshlrev_b32_sdwa v18, v40, v15 dst_sel:DWORD dst_unused:UNUSED_PAD src0_sel:DWORD src1_sel:BYTE_3
	v_lshlrev_b32_e32 v9, 20, v9
	v_lshl_add_u32 v17, v17, 23, 0x3c000000
	v_and_b32_e32 v18, 0x80000000, v18
	v_or3_b32 v103, v9, v18, v17
.LBB360_968:                            ;   in Loop: Header=BB360_506 Depth=1
	s_or_b32 exec_lo, exec_lo, s17
.LBB360_969:                            ;   in Loop: Header=BB360_506 Depth=1
	s_or_b32 exec_lo, exec_lo, s16
.LBB360_970:                            ;   in Loop: Header=BB360_506 Depth=1
	s_or_b32 exec_lo, exec_lo, s15
	v_mov_b32_e32 v9, v16
	v_cmp_ne_u16_sdwa s0, v16, v10 src0_sel:BYTE_0 src1_sel:DWORD
	v_mov_b32_e32 v17, 0
	v_mov_b32_e32 v104, 0
	s_and_saveexec_b32 s15, s0
	s_cbranch_execz .LBB360_976
; %bb.971:                              ;   in Loop: Header=BB360_506 Depth=1
	v_cmp_ne_u16_sdwa s0, v16, v36 src0_sel:BYTE_0 src1_sel:DWORD
	v_bfrev_b32_e32 v104, 1
	s_and_saveexec_b32 s16, s0
	s_cbranch_execz .LBB360_975
; %bb.972:                              ;   in Loop: Header=BB360_506 Depth=1
	v_and_b32_e32 v18, 0x7f, v16
	v_mov_b32_e32 v104, 0x7f800001
	s_mov_b32 s17, exec_lo
	v_cmpx_ne_u32_e32 0x7f, v18
	s_cbranch_execz .LBB360_974
; %bb.973:                              ;   in Loop: Header=BB360_506 Depth=1
	v_and_b32_e32 v104, 7, v16
	v_lshrrev_b32_e32 v105, 3, v18
	v_cmp_gt_u32_e64 s0, 8, v18
	v_ffbh_u32_e32 v104, v104
	v_min_u32_e32 v104, 32, v104
	v_subrev_nc_u32_e32 v106, 28, v104
	v_sub_nc_u32_e32 v104, 29, v104
	v_cndmask_b32_e64 v18, v105, v104, s0
	v_cndmask_b32_e64 v104, 0, v106, s0
	v_lshl_add_u32 v18, v18, 23, 0x3c000000
	v_lshlrev_b64 v[104:105], v104, v[9:10]
	v_lshlrev_b32_e32 v105, 24, v9
	v_lshlrev_b32_e32 v104, 20, v104
	v_and_b32_e32 v105, 0x80000000, v105
	v_and_b32_e32 v104, 0x700000, v104
	v_or3_b32 v104, v104, v105, v18
.LBB360_974:                            ;   in Loop: Header=BB360_506 Depth=1
	s_or_b32 exec_lo, exec_lo, s17
.LBB360_975:                            ;   in Loop: Header=BB360_506 Depth=1
	s_or_b32 exec_lo, exec_lo, s16
.LBB360_976:                            ;   in Loop: Header=BB360_506 Depth=1
	s_or_b32 exec_lo, exec_lo, s15
	v_cmp_ne_u16_sdwa s0, v9, v10 src0_sel:BYTE_1 src1_sel:DWORD
	s_and_saveexec_b32 s15, s0
	s_cbranch_execz .LBB360_984
; %bb.977:                              ;   in Loop: Header=BB360_506 Depth=1
	v_cmp_ne_u16_sdwa s0, v9, v36 src0_sel:BYTE_1 src1_sel:DWORD
	v_bfrev_b32_e32 v17, 1
	s_and_saveexec_b32 s16, s0
	s_cbranch_execz .LBB360_983
; %bb.978:                              ;   in Loop: Header=BB360_506 Depth=1
	v_and_b32_sdwa v18, v37, v9 dst_sel:DWORD dst_unused:UNUSED_PAD src0_sel:DWORD src1_sel:BYTE_1
	v_mov_b32_e32 v17, 0x7f800001
	s_mov_b32 s17, exec_lo
	v_and_b32_e32 v106, 0x7f, v18
	v_cmpx_ne_u32_e32 0x7f, v106
	s_cbranch_execz .LBB360_982
; %bb.979:                              ;   in Loop: Header=BB360_506 Depth=1
	v_and_b32_e32 v17, 7, v18
	v_mov_b32_e32 v18, v10
	v_lshrrev_b32_e32 v105, 3, v106
	s_mov_b32 s18, exec_lo
	v_cmpx_gt_u32_e32 8, v106
; %bb.980:                              ;   in Loop: Header=BB360_506 Depth=1
	v_ffbh_u32_e32 v105, v17
	v_min_u32_e32 v105, 32, v105
	v_subrev_nc_u32_e32 v106, 28, v105
	v_sub_nc_u32_e32 v105, 29, v105
	v_lshlrev_b64 v[17:18], v106, v[17:18]
	v_and_b32_e32 v17, 7, v17
; %bb.981:                              ;   in Loop: Header=BB360_506 Depth=1
	s_or_b32 exec_lo, exec_lo, s18
	v_lshlrev_b32_e32 v9, 16, v9
	v_lshlrev_b32_e32 v17, 20, v17
	v_lshl_add_u32 v18, v105, 23, 0x3c000000
	v_and_b32_e32 v9, 0x80000000, v9
	v_or3_b32 v17, v17, v9, v18
.LBB360_982:                            ;   in Loop: Header=BB360_506 Depth=1
	s_or_b32 exec_lo, exec_lo, s17
.LBB360_983:                            ;   in Loop: Header=BB360_506 Depth=1
	s_or_b32 exec_lo, exec_lo, s16
.LBB360_984:                            ;   in Loop: Header=BB360_506 Depth=1
	s_or_b32 exec_lo, exec_lo, s15
	v_and_b32_sdwa v9, v16, v38 dst_sel:DWORD dst_unused:UNUSED_PAD src0_sel:WORD_1 src1_sel:DWORD
	v_mov_b32_e32 v18, 0
	v_mov_b32_e32 v105, 0
	s_mov_b32 s15, exec_lo
	v_cmpx_ne_u16_e32 0, v9
	s_cbranch_execz .LBB360_992
; %bb.985:                              ;   in Loop: Header=BB360_506 Depth=1
	v_bfrev_b32_e32 v105, 1
	s_mov_b32 s16, exec_lo
	v_cmpx_ne_u16_e32 0x80, v9
	s_cbranch_execz .LBB360_991
; %bb.986:                              ;   in Loop: Header=BB360_506 Depth=1
	v_bfe_u32 v106, v16, 16, 7
	v_mov_b32_e32 v105, 0x7f800001
	s_mov_b32 s17, exec_lo
	v_cmpx_ne_u32_e32 0x7f, v106
	s_cbranch_execz .LBB360_990
; %bb.987:                              ;   in Loop: Header=BB360_506 Depth=1
	v_and_b32_sdwa v9, v16, v39 dst_sel:DWORD dst_unused:UNUSED_PAD src0_sel:WORD_1 src1_sel:DWORD
	v_lshrrev_b32_e32 v105, 3, v106
	s_mov_b32 s18, exec_lo
	v_cmpx_gt_u32_e32 8, v106
; %bb.988:                              ;   in Loop: Header=BB360_506 Depth=1
	v_ffbh_u32_e32 v105, v9
	v_min_u32_e32 v105, 32, v105
	v_subrev_nc_u32_e32 v106, 28, v105
	v_sub_nc_u32_e32 v105, 29, v105
	v_lshlrev_b64 v[106:107], v106, v[9:10]
	v_and_b32_e32 v9, 7, v106
; %bb.989:                              ;   in Loop: Header=BB360_506 Depth=1
	s_or_b32 exec_lo, exec_lo, s18
	v_lshlrev_b32_sdwa v106, v40, v16 dst_sel:DWORD dst_unused:UNUSED_PAD src0_sel:DWORD src1_sel:WORD_1
	v_lshlrev_b32_e32 v9, 20, v9
	v_lshl_add_u32 v105, v105, 23, 0x3c000000
	v_and_b32_e32 v106, 0x80000000, v106
	v_or3_b32 v105, v9, v106, v105
.LBB360_990:                            ;   in Loop: Header=BB360_506 Depth=1
	s_or_b32 exec_lo, exec_lo, s17
.LBB360_991:                            ;   in Loop: Header=BB360_506 Depth=1
	s_or_b32 exec_lo, exec_lo, s16
.LBB360_992:                            ;   in Loop: Header=BB360_506 Depth=1
	s_or_b32 exec_lo, exec_lo, s15
	s_mov_b32 s15, exec_lo
	v_cmpx_lt_u64_e64 s[2:3], v[15:16]
	s_cbranch_execz .LBB360_1000
; %bb.993:                              ;   in Loop: Header=BB360_506 Depth=1
	v_cmp_ne_u32_sdwa s0, v16, v36 src0_sel:BYTE_3 src1_sel:DWORD
	v_bfrev_b32_e32 v18, 1
	s_and_saveexec_b32 s16, s0
	s_cbranch_execz .LBB360_999
; %bb.994:                              ;   in Loop: Header=BB360_506 Depth=1
	v_bfe_u32 v106, v16, 24, 7
	v_mov_b32_e32 v18, 0x7f800001
	s_mov_b32 s17, exec_lo
	v_cmpx_ne_u32_e32 0x7f, v106
	s_cbranch_execz .LBB360_998
; %bb.995:                              ;   in Loop: Header=BB360_506 Depth=1
	v_and_b32_sdwa v9, v16, v39 dst_sel:DWORD dst_unused:UNUSED_PAD src0_sel:BYTE_3 src1_sel:DWORD
	v_lshrrev_b32_e32 v15, 3, v106
	s_mov_b32 s18, exec_lo
	v_cmpx_gt_u32_e32 8, v106
; %bb.996:                              ;   in Loop: Header=BB360_506 Depth=1
	v_ffbh_u32_e32 v15, v9
	v_min_u32_e32 v15, 32, v15
	v_subrev_nc_u32_e32 v18, 28, v15
	v_sub_nc_u32_e32 v15, 29, v15
	v_lshlrev_b64 v[106:107], v18, v[9:10]
	v_and_b32_e32 v9, 7, v106
; %bb.997:                              ;   in Loop: Header=BB360_506 Depth=1
	s_or_b32 exec_lo, exec_lo, s18
	v_lshlrev_b32_sdwa v16, v40, v16 dst_sel:DWORD dst_unused:UNUSED_PAD src0_sel:DWORD src1_sel:BYTE_3
	v_lshlrev_b32_e32 v9, 20, v9
	v_lshl_add_u32 v15, v15, 23, 0x3c000000
	v_and_b32_e32 v16, 0x80000000, v16
	v_or3_b32 v18, v9, v16, v15
.LBB360_998:                            ;   in Loop: Header=BB360_506 Depth=1
	s_or_b32 exec_lo, exec_lo, s17
.LBB360_999:                            ;   in Loop: Header=BB360_506 Depth=1
	s_or_b32 exec_lo, exec_lo, s16
.LBB360_1000:                           ;   in Loop: Header=BB360_506 Depth=1
	s_or_b32 exec_lo, exec_lo, s15
	v_mul_f32_e32 v9, s5, v17
	v_mul_f32_e32 v15, s5, v104
	;; [unrolled: 1-line block ×5, first 2 shown]
	v_bfe_u32 v96, v9, 16, 1
	v_or_b32_e32 v103, 0x400000, v9
	v_bfe_u32 v104, v15, 16, 1
	v_cmp_u_f32_e64 s0, v9, v9
	v_or_b32_e32 v106, 0x400000, v15
	v_add3_u32 v96, v96, v9, 0x7fff
	v_bfe_u32 v107, v16, 16, 1
	v_add3_u32 v104, v104, v15, 0x7fff
	v_or_b32_e32 v108, 0x400000, v16
	v_bfe_u32 v109, v17, 16, 1
	v_cndmask_b32_e64 v9, v96, v103, s0
	v_cmp_u_f32_e64 s0, v15, v15
	v_add3_u32 v107, v107, v16, 0x7fff
	v_or_b32_e32 v103, 0x400000, v17
	v_add3_u32 v96, v109, v17, 0x7fff
	v_mul_f32_e32 v19, s5, v19
	v_cndmask_b32_e64 v15, v104, v106, s0
	v_cmp_u_f32_e64 s0, v16, v16
	v_bfe_u32 v104, v94, 16, 1
	v_mul_f32_e32 v18, s5, v18
	v_lshrrev_b32_e32 v9, 16, v9
	v_lshrrev_b32_e32 v15, 16, v15
	v_cndmask_b32_e64 v16, v107, v108, s0
	v_cmp_u_f32_e64 s0, v17, v17
	v_or_b32_e32 v108, 0x400000, v18
	v_lshrrev_b32_e32 v16, 16, v16
	v_cndmask_b32_e64 v17, v96, v103, s0
	v_mul_f32_e32 v96, s5, v105
	v_add3_u32 v103, v104, v94, 0x7fff
	v_or_b32_e32 v104, 0x400000, v94
	v_bfe_u32 v105, v19, 16, 1
	v_cmp_u_f32_e64 s0, v94, v94
	v_bfe_u32 v106, v96, 16, 1
	v_or_b32_e32 v107, 0x400000, v96
	v_cndmask_b32_e64 v94, v103, v104, s0
	v_add3_u32 v104, v105, v19, 0x7fff
	v_or_b32_e32 v105, 0x400000, v19
	v_cmp_u_f32_e64 s0, v19, v19
	v_bfe_u32 v103, v18, 16, 1
	v_add3_u32 v106, v106, v96, 0x7fff
	v_lshrrev_b32_e32 v19, 16, v17
	v_lshrrev_b32_e32 v94, 16, v94
	v_cndmask_b32_e64 v104, v104, v105, s0
	v_cmp_u_f32_e64 s0, v96, v96
	v_add3_u32 v103, v103, v18, 0x7fff
	v_lshrrev_b32_e32 v96, 16, v104
	v_cndmask_b32_e64 v105, v106, v107, s0
	v_cmp_u_f32_e64 s0, v18, v18
	v_lshrrev_b32_e32 v18, 16, v105
	v_cndmask_b32_e64 v103, v103, v108, s0
	v_lshrrev_b32_e32 v17, 16, v103
	s_and_saveexec_b32 s0, vcc_lo
	s_cbranch_execz .LBB360_505
; %bb.1001:                             ;   in Loop: Header=BB360_506 Depth=1
	v_cmp_gt_i32_e32 vcc_lo, s11, v50
	v_cndmask_b32_e32 v96, 0, v96, vcc_lo
	v_cmp_gt_i32_e32 vcc_lo, s11, v61
	v_cndmask_b32_e32 v94, 0, v94, vcc_lo
	;; [unrolled: 2-line block ×8, first 2 shown]
	s_branch .LBB360_505
.LBB360_1002:
	s_or_b32 exec_lo, exec_lo, s14
	v_mov_b32_e32 v22, v110
	v_mov_b32_e32 v89, v111
.LBB360_1003:
	s_or_b32 exec_lo, exec_lo, s1
	ds_bpermute_b32 v0, v24, v31
	ds_bpermute_b32 v1, v24, v33
	ds_bpermute_b32 v2, v24, v32
	ds_bpermute_b32 v3, v24, v30
	ds_bpermute_b32 v4, v24, v29
	ds_bpermute_b32 v5, v24, v28
	ds_bpermute_b32 v6, v24, v27
	ds_bpermute_b32 v7, v24, v26
	v_lshrrev_b32_e32 v8, 2, v112
	v_lshlrev_b32_e32 v10, 8, v89
	v_and_b32_e32 v21, 0x3c3, v22
	s_mov_b32 s0, exec_lo
	s_waitcnt lgkmcnt(0)
	s_barrier
	buffer_gl0_inv
	v_add_f32_e32 v0, v31, v0
	v_add_f32_e32 v1, v33, v1
	;; [unrolled: 1-line block ×8, first 2 shown]
	ds_bpermute_b32 v4, v23, v0
	ds_bpermute_b32 v5, v23, v1
	;; [unrolled: 1-line block ×8, first 2 shown]
	v_and_b32_e32 v6, 28, v112
	v_add_nc_u32_e32 v9, 0xa0, v6
	s_waitcnt lgkmcnt(7)
	v_add_f32_e32 v7, v0, v4
	s_waitcnt lgkmcnt(6)
	v_add_f32_e32 v6, v1, v5
	;; [unrolled: 2-line block ×8, first 2 shown]
	v_cmpx_eq_u32_e32 64, v21
	s_cbranch_execz .LBB360_1005
; %bb.1004:
	v_add_nc_u32_e32 v11, v9, v10
	v_add_nc_u32_e32 v12, 0xfffffe00, v11
	;; [unrolled: 1-line block ×9, first 2 shown]
	ds_write_b32 v12, v7
	ds_write_b32 v13, v6
	;; [unrolled: 1-line block ×8, first 2 shown]
.LBB360_1005:
	s_or_b32 exec_lo, exec_lo, s0
	v_lshlrev_b32_e32 v8, 2, v8
	s_mov_b32 s1, exec_lo
	v_cmp_eq_u32_e32 vcc_lo, 0, v25
	s_waitcnt lgkmcnt(0)
	s_barrier
	v_add3_u32 v8, 0xa0, v10, v8
	buffer_gl0_inv
	v_cmpx_gt_u32_e32 64, v22
	s_cbranch_execz .LBB360_1016
; %bb.1006:
	s_and_saveexec_b32 s0, vcc_lo
	s_cbranch_execnz .LBB360_1032
; %bb.1007:
	s_or_b32 exec_lo, exec_lo, s0
	s_and_saveexec_b32 s0, vcc_lo
	s_cbranch_execnz .LBB360_1033
.LBB360_1008:
	s_or_b32 exec_lo, exec_lo, s0
	s_and_saveexec_b32 s0, vcc_lo
	s_cbranch_execnz .LBB360_1034
.LBB360_1009:
	s_or_b32 exec_lo, exec_lo, s0
	s_and_saveexec_b32 s0, vcc_lo
	s_cbranch_execnz .LBB360_1035
.LBB360_1010:
	s_or_b32 exec_lo, exec_lo, s0
	s_and_saveexec_b32 s0, vcc_lo
	s_cbranch_execnz .LBB360_1036
.LBB360_1011:
	s_or_b32 exec_lo, exec_lo, s0
	s_and_saveexec_b32 s0, vcc_lo
	s_cbranch_execnz .LBB360_1037
.LBB360_1012:
	s_or_b32 exec_lo, exec_lo, s0
	s_and_saveexec_b32 s0, vcc_lo
	s_cbranch_execnz .LBB360_1038
.LBB360_1013:
	s_or_b32 exec_lo, exec_lo, s0
	s_and_saveexec_b32 s0, vcc_lo
	s_cbranch_execz .LBB360_1015
.LBB360_1014:
	ds_read_b32 v10, v8 offset:224
	s_waitcnt lgkmcnt(0)
	v_add_f32_e32 v0, v0, v10
.LBB360_1015:
	s_or_b32 exec_lo, exec_lo, s0
.LBB360_1016:
	s_or_b32 exec_lo, exec_lo, s1
	v_and_b32_e32 v10, 0x3e3, v22
	s_mov_b32 s1, exec_lo
	s_barrier
	buffer_gl0_inv
	v_cmpx_eq_u32_e32 32, v10
	s_cbranch_execz .LBB360_1018
; %bb.1017:
	ds_write2_b32 v9, v7, v6 offset1:8
	ds_write2_b32 v9, v5, v4 offset0:16 offset1:24
	ds_write2_b32 v9, v3, v2 offset0:32 offset1:40
	;; [unrolled: 1-line block ×3, first 2 shown]
.LBB360_1018:
	s_or_b32 exec_lo, exec_lo, s1
	s_mov_b32 s1, exec_lo
	s_waitcnt lgkmcnt(0)
	s_barrier
	buffer_gl0_inv
	v_cmpx_gt_u32_e32 32, v22
	s_cbranch_execz .LBB360_1029
; %bb.1019:
	s_and_saveexec_b32 s0, vcc_lo
	s_cbranch_execnz .LBB360_1039
; %bb.1020:
	s_or_b32 exec_lo, exec_lo, s0
	s_and_saveexec_b32 s0, vcc_lo
	s_cbranch_execnz .LBB360_1040
.LBB360_1021:
	s_or_b32 exec_lo, exec_lo, s0
	s_and_saveexec_b32 s0, vcc_lo
	s_cbranch_execnz .LBB360_1041
.LBB360_1022:
	s_or_b32 exec_lo, exec_lo, s0
	s_and_saveexec_b32 s0, vcc_lo
	s_cbranch_execnz .LBB360_1042
.LBB360_1023:
	s_or_b32 exec_lo, exec_lo, s0
	s_and_saveexec_b32 s0, vcc_lo
	s_cbranch_execnz .LBB360_1043
.LBB360_1024:
	s_or_b32 exec_lo, exec_lo, s0
	s_and_saveexec_b32 s0, vcc_lo
	s_cbranch_execnz .LBB360_1044
.LBB360_1025:
	s_or_b32 exec_lo, exec_lo, s0
	s_and_saveexec_b32 s0, vcc_lo
	s_cbranch_execnz .LBB360_1045
.LBB360_1026:
	s_or_b32 exec_lo, exec_lo, s0
	s_and_saveexec_b32 s0, vcc_lo
	s_cbranch_execz .LBB360_1028
.LBB360_1027:
	ds_read_b32 v8, v8 offset:224
	s_waitcnt lgkmcnt(0)
	v_add_f32_e32 v0, v0, v8
.LBB360_1028:
	s_or_b32 exec_lo, exec_lo, s0
.LBB360_1029:
	s_or_b32 exec_lo, exec_lo, s1
	s_barrier
	buffer_gl0_inv
	s_mov_b32 s0, exec_lo
	v_cmpx_eq_u32_e32 0, v10
	s_cbranch_execz .LBB360_1031
; %bb.1030:
	s_mul_i32 s0, s10, s7
	s_mul_i32 s2, s7, s6
	;; [unrolled: 1-line block ×3, first 2 shown]
	v_bfe_u32 v9, v7, 16, 1
	s_lshl_b32 s0, s0, 6
	v_or_b32_e32 v10, 0x400000, v7
	s_ashr_i32 s1, s0, 31
	v_bfe_u32 v11, v6, 16, 1
	s_lshl_b64 s[0:1], s[0:1], 1
	v_add3_u32 v9, v9, v7, 0x7fff
	s_add_u32 s4, s20, s0
	s_addc_u32 s5, s21, s1
	s_ashr_i32 s3, s2, 31
	v_cmp_u_f32_e32 vcc_lo, v7, v7
	s_lshl_b64 s[0:1], s[2:3], 1
	v_lshrrev_b32_e32 v8, 1, v22
	s_add_u32 s2, s4, s0
	s_addc_u32 s3, s5, s1
	s_lshl_b32 s0, s8, 6
	v_cndmask_b32_e32 v7, v9, v10, vcc_lo
	s_ashr_i32 s1, s0, 31
	v_bfe_u32 v9, v5, 16, 1
	s_lshl_b64 s[0:1], s[0:1], 1
	v_add3_u32 v10, v11, v6, 0x7fff
	v_or_b32_e32 v11, 0x400000, v6
	v_cmp_u_f32_e32 vcc_lo, v6, v6
	s_add_u32 s0, s2, s0
	s_addc_u32 s1, s3, s1
	global_store_short_d16_hi v8, v7, s[0:1]
	v_add3_u32 v7, v9, v5, 0x7fff
	v_or_b32_e32 v9, 0x400000, v5
	v_cndmask_b32_e32 v6, v10, v11, vcc_lo
	v_bfe_u32 v10, v4, 16, 1
	v_cmp_u_f32_e32 vcc_lo, v5, v5
	v_or_b32_e32 v11, 0x400000, v0
	global_store_short_d16_hi v8, v6, s[0:1] offset:16
	v_add3_u32 v6, v10, v4, 0x7fff
	v_cndmask_b32_e32 v5, v7, v9, vcc_lo
	v_bfe_u32 v7, v3, 16, 1
	v_or_b32_e32 v9, 0x400000, v4
	v_cmp_u_f32_e32 vcc_lo, v4, v4
	v_or_b32_e32 v10, 0x400000, v1
	global_store_short_d16_hi v8, v5, s[0:1] offset:32
	v_add3_u32 v5, v7, v3, 0x7fff
	v_or_b32_e32 v7, 0x400000, v3
	v_cndmask_b32_e32 v4, v6, v9, vcc_lo
	v_bfe_u32 v6, v2, 16, 1
	v_cmp_u_f32_e32 vcc_lo, v3, v3
	v_bfe_u32 v9, v1, 16, 1
	v_add3_u32 v6, v6, v2, 0x7fff
	v_cndmask_b32_e32 v3, v5, v7, vcc_lo
	v_or_b32_e32 v7, 0x400000, v2
	v_cmp_u_f32_e32 vcc_lo, v2, v2
	v_bfe_u32 v5, v0, 16, 1
	v_add3_u32 v9, v9, v1, 0x7fff
	v_cndmask_b32_e32 v2, v6, v7, vcc_lo
	v_cmp_u_f32_e32 vcc_lo, v1, v1
	v_add3_u32 v5, v5, v0, 0x7fff
	v_cndmask_b32_e32 v1, v9, v10, vcc_lo
	v_cmp_u_f32_e32 vcc_lo, v0, v0
	v_cndmask_b32_e32 v0, v5, v11, vcc_lo
	global_store_short_d16_hi v8, v4, s[0:1] offset:48
	global_store_short_d16_hi v8, v3, s[0:1] offset:64
	;; [unrolled: 1-line block ×5, first 2 shown]
.LBB360_1031:
	s_endpgm
.LBB360_1032:
	ds_read_b32 v10, v8
	s_waitcnt lgkmcnt(0)
	v_add_f32_e32 v7, v7, v10
	s_or_b32 exec_lo, exec_lo, s0
	s_and_saveexec_b32 s0, vcc_lo
	s_cbranch_execz .LBB360_1008
.LBB360_1033:
	ds_read_b32 v10, v8 offset:32
	s_waitcnt lgkmcnt(0)
	v_add_f32_e32 v6, v6, v10
	s_or_b32 exec_lo, exec_lo, s0
	s_and_saveexec_b32 s0, vcc_lo
	s_cbranch_execz .LBB360_1009
.LBB360_1034:
	ds_read_b32 v10, v8 offset:64
	s_waitcnt lgkmcnt(0)
	v_add_f32_e32 v5, v5, v10
	s_or_b32 exec_lo, exec_lo, s0
	s_and_saveexec_b32 s0, vcc_lo
	s_cbranch_execz .LBB360_1010
.LBB360_1035:
	ds_read_b32 v10, v8 offset:96
	s_waitcnt lgkmcnt(0)
	v_add_f32_e32 v4, v4, v10
	s_or_b32 exec_lo, exec_lo, s0
	s_and_saveexec_b32 s0, vcc_lo
	s_cbranch_execz .LBB360_1011
.LBB360_1036:
	ds_read_b32 v10, v8 offset:128
	s_waitcnt lgkmcnt(0)
	v_add_f32_e32 v3, v3, v10
	s_or_b32 exec_lo, exec_lo, s0
	s_and_saveexec_b32 s0, vcc_lo
	s_cbranch_execz .LBB360_1012
.LBB360_1037:
	ds_read_b32 v10, v8 offset:160
	s_waitcnt lgkmcnt(0)
	v_add_f32_e32 v2, v2, v10
	s_or_b32 exec_lo, exec_lo, s0
	s_and_saveexec_b32 s0, vcc_lo
	s_cbranch_execz .LBB360_1013
.LBB360_1038:
	ds_read_b32 v10, v8 offset:192
	s_waitcnt lgkmcnt(0)
	v_add_f32_e32 v1, v1, v10
	s_or_b32 exec_lo, exec_lo, s0
	s_and_saveexec_b32 s0, vcc_lo
	s_cbranch_execnz .LBB360_1014
	s_branch .LBB360_1015
.LBB360_1039:
	ds_read_b32 v9, v8
	s_waitcnt lgkmcnt(0)
	v_add_f32_e32 v7, v7, v9
	s_or_b32 exec_lo, exec_lo, s0
	s_and_saveexec_b32 s0, vcc_lo
	s_cbranch_execz .LBB360_1021
.LBB360_1040:
	ds_read_b32 v9, v8 offset:32
	s_waitcnt lgkmcnt(0)
	v_add_f32_e32 v6, v6, v9
	s_or_b32 exec_lo, exec_lo, s0
	s_and_saveexec_b32 s0, vcc_lo
	s_cbranch_execz .LBB360_1022
.LBB360_1041:
	ds_read_b32 v9, v8 offset:64
	s_waitcnt lgkmcnt(0)
	v_add_f32_e32 v5, v5, v9
	s_or_b32 exec_lo, exec_lo, s0
	s_and_saveexec_b32 s0, vcc_lo
	s_cbranch_execz .LBB360_1023
.LBB360_1042:
	ds_read_b32 v9, v8 offset:96
	s_waitcnt lgkmcnt(0)
	v_add_f32_e32 v4, v4, v9
	s_or_b32 exec_lo, exec_lo, s0
	s_and_saveexec_b32 s0, vcc_lo
	s_cbranch_execz .LBB360_1024
.LBB360_1043:
	ds_read_b32 v9, v8 offset:128
	s_waitcnt lgkmcnt(0)
	v_add_f32_e32 v3, v3, v9
	s_or_b32 exec_lo, exec_lo, s0
	s_and_saveexec_b32 s0, vcc_lo
	s_cbranch_execz .LBB360_1025
.LBB360_1044:
	ds_read_b32 v9, v8 offset:160
	s_waitcnt lgkmcnt(0)
	v_add_f32_e32 v2, v2, v9
	s_or_b32 exec_lo, exec_lo, s0
	s_and_saveexec_b32 s0, vcc_lo
	s_cbranch_execz .LBB360_1026
.LBB360_1045:
	ds_read_b32 v9, v8 offset:192
	s_waitcnt lgkmcnt(0)
	v_add_f32_e32 v1, v1, v9
	s_or_b32 exec_lo, exec_lo, s0
	s_and_saveexec_b32 s0, vcc_lo
	s_cbranch_execnz .LBB360_1027
	s_branch .LBB360_1028
	.section	.rodata,"a",@progbits
	.p2align	6, 0x0
	.amdhsa_kernel _ZN4vllm25paged_attention_v1_kernelI14__hip_bfloat16hLi64ELi32ELi128ELNS_18Fp8KVCacheDataTypeE1ELb0EEEvPT_PKS3_PKT0_S9_ifPKiSB_iPKfiiiSD_SD_iiiii
		.amdhsa_group_segment_fixed_size 160
		.amdhsa_private_segment_fixed_size 104
		.amdhsa_kernarg_size 384
		.amdhsa_user_sgpr_count 6
		.amdhsa_user_sgpr_private_segment_buffer 1
		.amdhsa_user_sgpr_dispatch_ptr 0
		.amdhsa_user_sgpr_queue_ptr 0
		.amdhsa_user_sgpr_kernarg_segment_ptr 1
		.amdhsa_user_sgpr_dispatch_id 0
		.amdhsa_user_sgpr_flat_scratch_init 0
		.amdhsa_user_sgpr_private_segment_size 0
		.amdhsa_wavefront_size32 1
		.amdhsa_uses_dynamic_stack 0
		.amdhsa_system_sgpr_private_segment_wavefront_offset 1
		.amdhsa_system_sgpr_workgroup_id_x 1
		.amdhsa_system_sgpr_workgroup_id_y 1
		.amdhsa_system_sgpr_workgroup_id_z 1
		.amdhsa_system_sgpr_workgroup_info 0
		.amdhsa_system_vgpr_workitem_id 0
		.amdhsa_next_free_vgpr 128
		.amdhsa_next_free_sgpr 40
		.amdhsa_reserve_vcc 1
		.amdhsa_reserve_flat_scratch 0
		.amdhsa_float_round_mode_32 0
		.amdhsa_float_round_mode_16_64 0
		.amdhsa_float_denorm_mode_32 3
		.amdhsa_float_denorm_mode_16_64 3
		.amdhsa_dx10_clamp 1
		.amdhsa_ieee_mode 1
		.amdhsa_fp16_overflow 0
		.amdhsa_workgroup_processor_mode 1
		.amdhsa_memory_ordered 1
		.amdhsa_forward_progress 1
		.amdhsa_shared_vgpr_count 0
		.amdhsa_exception_fp_ieee_invalid_op 0
		.amdhsa_exception_fp_denorm_src 0
		.amdhsa_exception_fp_ieee_div_zero 0
		.amdhsa_exception_fp_ieee_overflow 0
		.amdhsa_exception_fp_ieee_underflow 0
		.amdhsa_exception_fp_ieee_inexact 0
		.amdhsa_exception_int_div_zero 0
	.end_amdhsa_kernel
	.section	.text._ZN4vllm25paged_attention_v1_kernelI14__hip_bfloat16hLi64ELi32ELi128ELNS_18Fp8KVCacheDataTypeE1ELb0EEEvPT_PKS3_PKT0_S9_ifPKiSB_iPKfiiiSD_SD_iiiii,"axG",@progbits,_ZN4vllm25paged_attention_v1_kernelI14__hip_bfloat16hLi64ELi32ELi128ELNS_18Fp8KVCacheDataTypeE1ELb0EEEvPT_PKS3_PKT0_S9_ifPKiSB_iPKfiiiSD_SD_iiiii,comdat
.Lfunc_end360:
	.size	_ZN4vllm25paged_attention_v1_kernelI14__hip_bfloat16hLi64ELi32ELi128ELNS_18Fp8KVCacheDataTypeE1ELb0EEEvPT_PKS3_PKT0_S9_ifPKiSB_iPKfiiiSD_SD_iiiii, .Lfunc_end360-_ZN4vllm25paged_attention_v1_kernelI14__hip_bfloat16hLi64ELi32ELi128ELNS_18Fp8KVCacheDataTypeE1ELb0EEEvPT_PKS3_PKT0_S9_ifPKiSB_iPKfiiiSD_SD_iiiii
                                        ; -- End function
	.set _ZN4vllm25paged_attention_v1_kernelI14__hip_bfloat16hLi64ELi32ELi128ELNS_18Fp8KVCacheDataTypeE1ELb0EEEvPT_PKS3_PKT0_S9_ifPKiSB_iPKfiiiSD_SD_iiiii.num_vgpr, 128
	.set _ZN4vllm25paged_attention_v1_kernelI14__hip_bfloat16hLi64ELi32ELi128ELNS_18Fp8KVCacheDataTypeE1ELb0EEEvPT_PKS3_PKT0_S9_ifPKiSB_iPKfiiiSD_SD_iiiii.num_agpr, 0
	.set _ZN4vllm25paged_attention_v1_kernelI14__hip_bfloat16hLi64ELi32ELi128ELNS_18Fp8KVCacheDataTypeE1ELb0EEEvPT_PKS3_PKT0_S9_ifPKiSB_iPKfiiiSD_SD_iiiii.numbered_sgpr, 40
	.set _ZN4vllm25paged_attention_v1_kernelI14__hip_bfloat16hLi64ELi32ELi128ELNS_18Fp8KVCacheDataTypeE1ELb0EEEvPT_PKS3_PKT0_S9_ifPKiSB_iPKfiiiSD_SD_iiiii.num_named_barrier, 0
	.set _ZN4vllm25paged_attention_v1_kernelI14__hip_bfloat16hLi64ELi32ELi128ELNS_18Fp8KVCacheDataTypeE1ELb0EEEvPT_PKS3_PKT0_S9_ifPKiSB_iPKfiiiSD_SD_iiiii.private_seg_size, 104
	.set _ZN4vllm25paged_attention_v1_kernelI14__hip_bfloat16hLi64ELi32ELi128ELNS_18Fp8KVCacheDataTypeE1ELb0EEEvPT_PKS3_PKT0_S9_ifPKiSB_iPKfiiiSD_SD_iiiii.uses_vcc, 1
	.set _ZN4vllm25paged_attention_v1_kernelI14__hip_bfloat16hLi64ELi32ELi128ELNS_18Fp8KVCacheDataTypeE1ELb0EEEvPT_PKS3_PKT0_S9_ifPKiSB_iPKfiiiSD_SD_iiiii.uses_flat_scratch, 0
	.set _ZN4vllm25paged_attention_v1_kernelI14__hip_bfloat16hLi64ELi32ELi128ELNS_18Fp8KVCacheDataTypeE1ELb0EEEvPT_PKS3_PKT0_S9_ifPKiSB_iPKfiiiSD_SD_iiiii.has_dyn_sized_stack, 0
	.set _ZN4vllm25paged_attention_v1_kernelI14__hip_bfloat16hLi64ELi32ELi128ELNS_18Fp8KVCacheDataTypeE1ELb0EEEvPT_PKS3_PKT0_S9_ifPKiSB_iPKfiiiSD_SD_iiiii.has_recursion, 0
	.set _ZN4vllm25paged_attention_v1_kernelI14__hip_bfloat16hLi64ELi32ELi128ELNS_18Fp8KVCacheDataTypeE1ELb0EEEvPT_PKS3_PKT0_S9_ifPKiSB_iPKfiiiSD_SD_iiiii.has_indirect_call, 0
	.section	.AMDGPU.csdata,"",@progbits
; Kernel info:
; codeLenInByte = 40200
; TotalNumSgprs: 42
; NumVgprs: 128
; ScratchSize: 104
; MemoryBound: 0
; FloatMode: 240
; IeeeMode: 1
; LDSByteSize: 160 bytes/workgroup (compile time only)
; SGPRBlocks: 0
; VGPRBlocks: 15
; NumSGPRsForWavesPerEU: 42
; NumVGPRsForWavesPerEU: 128
; Occupancy: 8
; WaveLimiterHint : 1
; COMPUTE_PGM_RSRC2:SCRATCH_EN: 1
; COMPUTE_PGM_RSRC2:USER_SGPR: 6
; COMPUTE_PGM_RSRC2:TRAP_HANDLER: 0
; COMPUTE_PGM_RSRC2:TGID_X_EN: 1
; COMPUTE_PGM_RSRC2:TGID_Y_EN: 1
; COMPUTE_PGM_RSRC2:TGID_Z_EN: 1
; COMPUTE_PGM_RSRC2:TIDIG_COMP_CNT: 0
	.section	.text._ZN4vllm25paged_attention_v1_kernelI14__hip_bfloat16hLi80ELi32ELi128ELNS_18Fp8KVCacheDataTypeE1ELb0EEEvPT_PKS3_PKT0_S9_ifPKiSB_iPKfiiiSD_SD_iiiii,"axG",@progbits,_ZN4vllm25paged_attention_v1_kernelI14__hip_bfloat16hLi80ELi32ELi128ELNS_18Fp8KVCacheDataTypeE1ELb0EEEvPT_PKS3_PKT0_S9_ifPKiSB_iPKfiiiSD_SD_iiiii,comdat
	.protected	_ZN4vllm25paged_attention_v1_kernelI14__hip_bfloat16hLi80ELi32ELi128ELNS_18Fp8KVCacheDataTypeE1ELb0EEEvPT_PKS3_PKT0_S9_ifPKiSB_iPKfiiiSD_SD_iiiii ; -- Begin function _ZN4vllm25paged_attention_v1_kernelI14__hip_bfloat16hLi80ELi32ELi128ELNS_18Fp8KVCacheDataTypeE1ELb0EEEvPT_PKS3_PKT0_S9_ifPKiSB_iPKfiiiSD_SD_iiiii
	.globl	_ZN4vllm25paged_attention_v1_kernelI14__hip_bfloat16hLi80ELi32ELi128ELNS_18Fp8KVCacheDataTypeE1ELb0EEEvPT_PKS3_PKT0_S9_ifPKiSB_iPKfiiiSD_SD_iiiii
	.p2align	8
	.type	_ZN4vllm25paged_attention_v1_kernelI14__hip_bfloat16hLi80ELi32ELi128ELNS_18Fp8KVCacheDataTypeE1ELb0EEEvPT_PKS3_PKT0_S9_ifPKiSB_iPKfiiiSD_SD_iiiii,@function
_ZN4vllm25paged_attention_v1_kernelI14__hip_bfloat16hLi80ELi32ELi128ELNS_18Fp8KVCacheDataTypeE1ELb0EEEvPT_PKS3_PKT0_S9_ifPKiSB_iPKfiiiSD_SD_iiiii: ; @_ZN4vllm25paged_attention_v1_kernelI14__hip_bfloat16hLi80ELi32ELi128ELNS_18Fp8KVCacheDataTypeE1ELb0EEEvPT_PKS3_PKT0_S9_ifPKiSB_iPKfiiiSD_SD_iiiii
; %bb.0:
	s_mov_b64 s[38:39], s[2:3]
	s_mov_b64 s[36:37], s[0:1]
	s_mov_b32 s10, s7
	s_add_u32 s36, s36, s9
	s_clause 0x2
	s_load_dword s9, s[4:5], 0x80
	s_load_dwordx2 s[0:1], s[4:5], 0x30
	s_load_dwordx2 s[2:3], s[4:5], 0x20
	s_addc_u32 s37, s37, 0
	s_ashr_i32 s11, s7, 31
	v_mov_b32_e32 v10, v0
	s_lshl_b64 s[12:13], s[10:11], 2
	s_mov_b32 s28, 0
	s_waitcnt lgkmcnt(0)
	s_add_u32 s0, s0, s12
	s_addc_u32 s1, s1, s13
	s_abs_i32 s7, s2
	s_abs_i32 s13, s9
	v_cvt_f32_u32_e32 v0, s7
	s_sub_i32 s12, 0, s7
	s_xor_b32 s2, s9, s2
	s_ashr_i32 s2, s2, 31
	v_rcp_iflag_f32_e32 v0, v0
	v_mul_f32_e32 v0, 0x4f7ffffe, v0
	v_cvt_u32_f32_e32 v0, v0
	v_readfirstlane_b32 s11, v0
	s_mul_i32 s12, s12, s11
	s_mul_hi_u32 s12, s11, s12
	s_add_i32 s11, s11, s12
	s_mul_hi_u32 s11, s13, s11
	s_mul_i32 s12, s11, s7
	s_sub_i32 s12, s13, s12
	s_add_i32 s13, s11, 1
	s_sub_i32 s14, s12, s7
	s_cmp_ge_u32 s12, s7
	s_cselect_b32 s11, s13, s11
	s_cselect_b32 s12, s14, s12
	s_add_i32 s13, s11, 1
	s_cmp_ge_u32 s12, s7
	s_cselect_b32 s7, s13, s11
	s_load_dwordx2 s[12:13], s[4:5], 0x40
	s_xor_b32 s7, s7, s2
	s_abs_i32 s16, s6
	s_sub_i32 s17, s7, s2
	s_abs_i32 s2, s17
	v_cvt_f32_u32_e32 v0, s2
	s_sub_i32 s11, 0, s2
	v_rcp_iflag_f32_e32 v0, v0
	v_mul_f32_e32 v0, 0x4f7ffffe, v0
	v_cvt_u32_f32_e32 v0, v0
	v_readfirstlane_b32 s7, v0
	s_mul_i32 s11, s11, s7
	s_mul_hi_u32 s11, s7, s11
	s_add_i32 s7, s7, s11
	s_waitcnt lgkmcnt(0)
	s_cmp_eq_u64 s[12:13], 0
	s_mul_hi_u32 s26, s16, s7
	s_cbranch_scc1 .LBB361_2
; %bb.1:
	s_ashr_i32 s7, s6, 31
	s_lshl_b64 s[14:15], s[6:7], 2
	s_add_u32 s12, s12, s14
	s_addc_u32 s13, s13, s15
	s_load_dword s28, s[12:13], 0x0
.LBB361_2:
	s_load_dword s11, s[0:1], 0x0
	s_clause 0x1
	s_load_dwordx2 s[22:23], s[4:5], 0x28
	s_load_dwordx4 s[12:15], s[4:5], 0x48
	s_ashr_i32 s0, s6, 31
	s_ashr_i32 s1, s17, 31
	s_mulk_i32 s6, 0x50
	s_waitcnt lgkmcnt(0)
	s_mov_b32 s15, exec_lo
	v_cmpx_gt_u32_e32 10, v10
	s_cbranch_execz .LBB361_4
; %bb.3:
	s_load_dwordx2 s[18:19], s[4:5], 0x8
	s_mul_i32 s20, s12, s10
	v_lshlrev_b32_e32 v4, 4, v10
	s_ashr_i32 s21, s20, 31
	s_lshl_b64 s[20:21], s[20:21], 1
	s_waitcnt lgkmcnt(0)
	s_add_u32 s12, s18, s20
	s_addc_u32 s17, s19, s21
	s_ashr_i32 s7, s6, 31
	s_lshl_b64 s[18:19], s[6:7], 1
	s_add_u32 s18, s12, s18
	s_addc_u32 s19, s17, s19
	global_load_dwordx4 v[0:3], v4, s[18:19]
	s_waitcnt vmcnt(0)
	ds_write_b128 v4, v[0:3]
.LBB361_4:
	s_or_b32 exec_lo, exec_lo, s15
	s_add_i32 s7, s11, 31
	s_clause 0x2
	s_load_dwordx2 s[20:21], s[4:5], 0x0
	s_load_dwordx2 s[24:25], s[4:5], 0x18
	s_load_dword s15, s[4:5], 0x38
	s_ashr_i32 s12, s7, 31
	s_mul_i32 s17, s26, s2
	s_lshr_b32 s12, s12, 27
	s_xor_b32 s0, s0, s1
	s_add_i32 s7, s7, s12
	s_sub_i32 s1, s16, s17
	s_ashr_i32 s12, s7, 5
	s_clause 0x1
	s_load_dword s7, s[4:5], 0x88
	s_load_dwordx4 s[16:19], s[4:5], 0x58
	s_add_i32 s27, s26, 1
	s_sub_i32 s29, s1, s2
	s_cmp_ge_u32 s1, s2
	v_lshrrev_b32_e32 v0, 5, v10
	s_cselect_b32 s26, s27, s26
	s_cselect_b32 s1, s29, s1
	s_add_i32 s27, s26, 1
	s_cmp_ge_u32 s1, s2
	v_and_b32_e32 v1, 31, v10
	s_cselect_b32 s1, s27, s26
	v_mov_b32_e32 v97, 0xff7fffff
	s_xor_b32 s1, s1, s0
	v_lshrrev_b32_e32 v37, 3, v10
	s_sub_i32 s1, s1, s0
	v_cmp_gt_i32_e64 s0, s12, v0
	v_lshlrev_b32_e32 v25, 2, v1
	s_waitcnt lgkmcnt(0)
	s_mul_i32 s26, s15, s10
	s_mul_i32 s14, s1, s14
	s_ashr_i32 s27, s26, 31
	buffer_store_dword v0, off, s[36:39], 0 offset:216 ; 4-byte Folded Spill
	buffer_store_dword v1, off, s[36:39], 0 offset:212 ; 4-byte Folded Spill
	s_barrier
	s_waitcnt_vscnt null, 0x0
	buffer_gl0_inv
	s_mov_b32 s15, exec_lo
	s_and_b32 s1, s15, s0
	buffer_store_dword v10, off, s[36:39], 0 offset:220 ; 4-byte Folded Spill
	s_mov_b32 exec_lo, s1
	s_cbranch_execz .LBB361_608
; %bb.5:
	v_mov_b32_e32 v2, 0
	s_load_dwordx2 s[4:5], s[4:5], 0x10
	s_ashr_i32 s1, s14, 31
	v_and_b32_e32 v1, 0x7c, v37
	v_cmp_neq_f32_e64 vcc_lo, s28, 0
	ds_read_b128 v[3:6], v2
	ds_read_b128 v[7:10], v2 offset:16
	ds_read_b128 v[11:14], v2 offset:32
	ds_read_b128 v[15:18], v2 offset:48
	ds_read_b128 v[19:22], v2 offset:64
	s_load_dword s16, s[16:17], 0x0
	v_mov_b32_e32 v97, 0xff7fffff
	v_mov_b32_e32 v100, 0x80
	;; [unrolled: 1-line block ×6, first 2 shown]
	s_mov_b32 s29, s13
	s_mov_b32 s30, 0
	buffer_store_dword v25, off, s[36:39], 0 offset:228 ; 4-byte Folded Spill
	buffer_store_dword v37, off, s[36:39], 0 offset:224 ; 4-byte Folded Spill
	buffer_load_dword v105, off, s[36:39], 0 offset:216 ; 4-byte Folded Reload
	s_waitcnt lgkmcnt(0)
	v_lshlrev_b32_e32 v0, 16, v3
	s_add_u32 s2, s4, s14
	s_addc_u32 s1, s5, s1
	s_lshl_b64 s[4:5], s[26:27], 2
	s_sub_i32 s17, 1, s11
	buffer_store_dword v0, off, s[36:39], 0 ; 4-byte Folded Spill
	v_and_b32_e32 v0, 0xffff0000, v3
	buffer_store_dword v0, off, s[36:39], 0 offset:4 ; 4-byte Folded Spill
	v_lshlrev_b32_e32 v0, 16, v4
	buffer_store_dword v0, off, s[36:39], 0 offset:8 ; 4-byte Folded Spill
	v_and_b32_e32 v0, 0xffff0000, v4
	buffer_store_dword v0, off, s[36:39], 0 offset:12 ; 4-byte Folded Spill
	v_lshlrev_b32_e32 v0, 16, v5
	buffer_store_dword v0, off, s[36:39], 0 offset:16 ; 4-byte Folded Spill
	;; [unrolled: 4-line block ×3, first 2 shown]
	v_and_b32_e32 v0, 0xffff0000, v6
	ds_read_b128 v[3:6], v2 offset:80
	buffer_store_dword v0, off, s[36:39], 0 offset:28 ; 4-byte Folded Spill
	v_lshlrev_b32_e32 v0, 16, v7
	buffer_store_dword v0, off, s[36:39], 0 offset:32 ; 4-byte Folded Spill
	v_and_b32_e32 v0, 0xffff0000, v7
	buffer_store_dword v0, off, s[36:39], 0 offset:36 ; 4-byte Folded Spill
	v_lshlrev_b32_e32 v0, 16, v8
	buffer_store_dword v0, off, s[36:39], 0 offset:40 ; 4-byte Folded Spill
	v_and_b32_e32 v0, 0xffff0000, v8
	;; [unrolled: 4-line block ×4, first 2 shown]
	ds_read_b128 v[7:10], v2 offset:96
	buffer_store_dword v0, off, s[36:39], 0 offset:60 ; 4-byte Folded Spill
	v_lshlrev_b32_e32 v0, 16, v11
	buffer_store_dword v0, off, s[36:39], 0 offset:64 ; 4-byte Folded Spill
	v_and_b32_e32 v0, 0xffff0000, v11
	buffer_store_dword v0, off, s[36:39], 0 offset:68 ; 4-byte Folded Spill
	v_lshlrev_b32_e32 v0, 16, v12
	s_waitcnt lgkmcnt(0)
	v_and_b32_e32 v70, 0xffff0000, v9
	v_lshlrev_b32_e32 v71, 16, v10
	buffer_store_dword v0, off, s[36:39], 0 offset:72 ; 4-byte Folded Spill
	v_and_b32_e32 v0, 0xffff0000, v12
	v_and_b32_e32 v72, 0xffff0000, v10
	buffer_store_dword v0, off, s[36:39], 0 offset:76 ; 4-byte Folded Spill
	v_lshlrev_b32_e32 v0, 16, v13
	buffer_store_dword v0, off, s[36:39], 0 offset:80 ; 4-byte Folded Spill
	v_and_b32_e32 v0, 0xffff0000, v13
	buffer_store_dword v0, off, s[36:39], 0 offset:84 ; 4-byte Folded Spill
	v_lshlrev_b32_e32 v0, 16, v14
	buffer_store_dword v0, off, s[36:39], 0 offset:88 ; 4-byte Folded Spill
	v_and_b32_e32 v0, 0xffff0000, v14
	ds_read_b128 v[11:14], v2 offset:112
	buffer_store_dword v0, off, s[36:39], 0 offset:92 ; 4-byte Folded Spill
	v_lshlrev_b32_e32 v0, 16, v15
	buffer_store_dword v0, off, s[36:39], 0 offset:96 ; 4-byte Folded Spill
	v_and_b32_e32 v0, 0xffff0000, v15
	buffer_store_dword v0, off, s[36:39], 0 offset:100 ; 4-byte Folded Spill
	v_lshlrev_b32_e32 v0, 16, v16
	buffer_store_dword v0, off, s[36:39], 0 offset:104 ; 4-byte Folded Spill
	v_and_b32_e32 v0, 0xffff0000, v16
	;; [unrolled: 4-line block ×4, first 2 shown]
	ds_read_b128 v[15:18], v2 offset:128
	s_waitcnt lgkmcnt(1)
	v_lshlrev_b32_e32 v73, 16, v11
	v_and_b32_e32 v74, 0xffff0000, v11
	v_lshlrev_b32_e32 v75, 16, v12
	buffer_store_dword v0, off, s[36:39], 0 offset:124 ; 4-byte Folded Spill
	v_lshlrev_b32_e32 v0, 16, v19
	v_and_b32_e32 v76, 0xffff0000, v12
	v_lshlrev_b32_e32 v77, 16, v13
	v_and_b32_e32 v78, 0xffff0000, v13
	v_lshlrev_b32_e32 v79, 16, v14
	buffer_store_dword v0, off, s[36:39], 0 offset:128 ; 4-byte Folded Spill
	v_and_b32_e32 v0, 0xffff0000, v19
	v_and_b32_e32 v80, 0xffff0000, v14
	buffer_store_dword v0, off, s[36:39], 0 offset:132 ; 4-byte Folded Spill
	v_lshlrev_b32_e32 v0, 16, v20
	s_waitcnt lgkmcnt(0)
	v_lshlrev_b32_e32 v81, 16, v15
	v_and_b32_e32 v82, 0xffff0000, v15
	buffer_store_dword v0, off, s[36:39], 0 offset:136 ; 4-byte Folded Spill
	v_and_b32_e32 v0, 0xffff0000, v20
	v_lshlrev_b32_e32 v83, 16, v16
	v_and_b32_e32 v84, 0xffff0000, v16
	v_lshlrev_b32_e32 v85, 16, v17
	v_and_b32_e32 v86, 0xffff0000, v17
	buffer_store_dword v0, off, s[36:39], 0 offset:140 ; 4-byte Folded Spill
	v_lshlrev_b32_e32 v0, 16, v21
	v_lshlrev_b32_e32 v87, 16, v18
	v_and_b32_e32 v88, 0xffff0000, v18
	buffer_store_dword v0, off, s[36:39], 0 offset:144 ; 4-byte Folded Spill
	v_and_b32_e32 v0, 0xffff0000, v21
	buffer_store_dword v0, off, s[36:39], 0 offset:148 ; 4-byte Folded Spill
	v_lshlrev_b32_e32 v0, 16, v22
	buffer_store_dword v0, off, s[36:39], 0 offset:152 ; 4-byte Folded Spill
	v_and_b32_e32 v0, 0xffff0000, v22
	buffer_store_dword v0, off, s[36:39], 0 offset:156 ; 4-byte Folded Spill
	v_lshlrev_b32_e32 v0, 16, v3
	;; [unrolled: 4-line block ×5, first 2 shown]
	buffer_store_dword v0, off, s[36:39], 0 offset:184 ; 4-byte Folded Spill
	v_and_b32_e32 v0, 0xffff0000, v6
	ds_read_b128 v[3:6], v2 offset:144
	buffer_store_dword v0, off, s[36:39], 0 offset:188 ; 4-byte Folded Spill
	v_lshlrev_b32_e32 v0, 16, v7
	buffer_store_dword v0, off, s[36:39], 0 offset:192 ; 4-byte Folded Spill
	v_and_b32_e32 v0, 0xffff0000, v7
	buffer_load_dword v7, off, s[36:39], 0 offset:212 ; 4-byte Folded Reload
	buffer_store_dword v0, off, s[36:39], 0 offset:196 ; 4-byte Folded Spill
	v_lshlrev_b32_e32 v0, 16, v8
	s_waitcnt lgkmcnt(0)
	v_lshlrev_b32_e32 v89, 16, v3
	v_and_b32_e32 v90, 0xffff0000, v3
	buffer_store_dword v0, off, s[36:39], 0 offset:200 ; 4-byte Folded Spill
	v_and_b32_e32 v0, 0xffff0000, v8
	v_lshlrev_b32_e32 v91, 16, v4
	v_and_b32_e32 v92, 0xffff0000, v4
	v_lshlrev_b32_e32 v93, 16, v5
	v_and_b32_e32 v94, 0xffff0000, v5
	buffer_store_dword v0, off, s[36:39], 0 offset:204 ; 4-byte Folded Spill
	v_lshlrev_b32_e32 v0, 16, v9
	v_lshlrev_b32_e32 v95, 16, v6
	v_and_b32_e32 v96, 0xffff0000, v6
	buffer_store_dword v0, off, s[36:39], 0 offset:208 ; 4-byte Folded Spill
	s_waitcnt vmcnt(0)
	v_lshlrev_b32_e32 v0, 4, v7
	v_lshl_or_b32 v99, v105, 5, v7
	v_add_co_u32 v3, s2, s2, v0
	v_lshl_or_b32 v0, v105, 7, v25
	v_add_co_ci_u32_e64 v4, null, s1, 0, s2
	s_add_u32 s1, s22, s4
	s_addc_u32 s2, s23, s5
	v_add_co_u32 v5, s1, s1, v1
	v_add_nc_u32_e32 v98, 0xc0, v0
	v_add_co_ci_u32_e64 v6, null, s2, 0, s1
	s_mov_b32 s4, -1
	s_mov_b32 s5, 0xffffff
	s_branch .LBB361_10
.LBB361_6:                              ;   in Loop: Header=BB361_10 Depth=1
	s_or_b32 exec_lo, exec_lo, s34
	v_lshlrev_b32_sdwa v8, v104, v8 dst_sel:DWORD dst_unused:UNUSED_PAD src0_sel:DWORD src1_sel:BYTE_3
	v_lshlrev_b32_e32 v1, 20, v1
	v_lshl_add_u32 v7, v7, 23, 0x3c000000
	v_and_b32_e32 v8, 0x80000000, v8
	v_or3_b32 v67, v1, v8, v7
.LBB361_7:                              ;   in Loop: Header=BB361_10 Depth=1
	s_or_b32 exec_lo, exec_lo, s33
.LBB361_8:                              ;   in Loop: Header=BB361_10 Depth=1
	s_or_b32 exec_lo, exec_lo, s31
.LBB361_9:                              ;   in Loop: Header=BB361_10 Depth=1
	s_or_b32 exec_lo, exec_lo, s2
	v_mul_f32_e32 v1, s16, v64
	v_mul_f32_e32 v52, s16, v52
	v_mul_f32_e32 v50, s16, v50
	v_mul_f32_e32 v49, s16, v49
	v_mul_f32_e32 v48, s16, v48
	v_bfe_u32 v7, v1, 16, 1
	v_or_b32_e32 v8, 0x400000, v1
	v_cmp_u_f32_e64 s1, v1, v1
	v_mul_f32_e32 v47, s16, v47
	v_mul_f32_e32 v46, s16, v46
	v_add3_u32 v7, v7, v1, 0x7fff
	v_mul_f32_e32 v44, s16, v44
	v_mul_f32_e32 v42, s16, v42
	v_mul_f32_e32 v41, s16, v41
	v_mul_f32_e32 v40, s16, v40
	v_cndmask_b32_e64 v1, v7, v8, s1
	v_mul_f32_e32 v7, s16, v59
	v_mul_f32_e32 v39, s16, v39
	v_mul_f32_e32 v38, s16, v38
	v_mul_f32_e32 v36, s16, v36
	v_mul_f32_e32 v34, s16, v34
	v_bfe_u32 v8, v7, 16, 1
	v_or_b32_e32 v9, 0x400000, v7
	v_cmp_u_f32_e64 s1, v7, v7
	v_mul_f32_e32 v33, s16, v33
	v_mul_f32_e32 v32, s16, v32
	v_add3_u32 v8, v8, v7, 0x7fff
	v_mul_f32_e32 v31, s16, v31
	v_mul_f32_e32 v30, s16, v30
	v_mul_f32_e32 v28, s16, v28
	v_mul_f32_e32 v26, s16, v26
	v_cndmask_b32_e64 v7, v8, v9, s1
	;; [unrolled: 16-line block ×3, first 2 shown]
	v_bfe_u32 v9, v8, 16, 1
	v_or_b32_e32 v56, 0x400000, v8
	v_cmp_u_f32_e64 s1, v8, v8
	v_and_b32_e32 v7, 0xffff0000, v7
	v_and_b32_e32 v10, 0xffff0000, v10
	v_add3_u32 v9, v9, v8, 0x7fff
	v_mul_f32_e32 v8, s16, v55
	v_and_b32_e32 v1, 0xffff0000, v1
	v_add_nc_u32_e32 v105, 4, v105
	v_add_co_u32 v5, s2, v5, 16
	v_cndmask_b32_e64 v56, v9, v56, s1
	v_bfe_u32 v9, v8, 16, 1
	v_or_b32_e32 v55, 0x400000, v8
	v_cmp_u_f32_e64 s1, v8, v8
	v_add_co_ci_u32_e64 v6, null, 0, v6, s2
	v_add3_u32 v9, v9, v8, 0x7fff
	v_mul_f32_e32 v8, s16, v54
	v_cndmask_b32_e64 v55, v9, v55, s1
	v_bfe_u32 v9, v8, 16, 1
	v_or_b32_e32 v54, 0x400000, v8
	v_cmp_u_f32_e64 s1, v8, v8
	v_add3_u32 v9, v9, v8, 0x7fff
	v_mul_f32_e32 v8, s16, v62
	v_cndmask_b32_e64 v54, v9, v54, s1
	v_bfe_u32 v9, v8, 16, 1
	v_or_b32_e32 v58, 0x400000, v8
	v_cmp_u_f32_e64 s1, v8, v8
	;; [unrolled: 6-line block ×3, first 2 shown]
	v_add3_u32 v58, v58, v8, 0x7fff
	v_cndmask_b32_e64 v8, v58, v59, s1
	v_bfe_u32 v58, v52, 16, 1
	v_or_b32_e32 v59, 0x400000, v52
	v_cmp_u_f32_e64 s1, v52, v52
	v_add3_u32 v58, v58, v52, 0x7fff
	v_cndmask_b32_e64 v52, v58, v59, s1
	v_bfe_u32 v58, v50, 16, 1
	v_or_b32_e32 v59, 0x400000, v50
	v_cmp_u_f32_e64 s1, v50, v50
	;; [unrolled: 5-line block ×5, first 2 shown]
	v_add3_u32 v58, v58, v47, 0x7fff
	v_bfe_u32 v47, v46, 16, 1
	v_cndmask_b32_e64 v58, v58, v59, s1
	v_add3_u32 v47, v47, v46, 0x7fff
	v_or_b32_e32 v59, 0x400000, v46
	v_cmp_u_f32_e64 s1, v46, v46
	v_mul_f32_e32 v46, s16, v51
	v_cndmask_b32_e64 v59, v47, v59, s1
	v_bfe_u32 v47, v46, 16, 1
	v_or_b32_e32 v51, 0x400000, v46
	v_cmp_u_f32_e64 s1, v46, v46
	v_add3_u32 v47, v47, v46, 0x7fff
	v_cndmask_b32_e64 v46, v47, v51, s1
	v_mul_f32_e32 v47, s16, v53
	v_bfe_u32 v51, v47, 16, 1
	v_or_b32_e32 v53, 0x400000, v47
	v_cmp_u_f32_e64 s1, v47, v47
	v_add3_u32 v51, v51, v47, 0x7fff
	v_cndmask_b32_e64 v47, v51, v53, s1
	v_bfe_u32 v51, v44, 16, 1
	v_or_b32_e32 v53, 0x400000, v44
	v_cmp_u_f32_e64 s1, v44, v44
	v_add3_u32 v51, v51, v44, 0x7fff
	v_cndmask_b32_e64 v44, v51, v53, s1
	;; [unrolled: 5-line block ×5, first 2 shown]
	v_bfe_u32 v51, v39, 16, 1
	v_or_b32_e32 v53, 0x400000, v39
	v_cmp_u_f32_e64 s1, v39, v39
	v_add3_u32 v51, v51, v39, 0x7fff
	v_bfe_u32 v39, v38, 16, 1
	v_cndmask_b32_e64 v51, v51, v53, s1
	v_add3_u32 v39, v39, v38, 0x7fff
	v_or_b32_e32 v53, 0x400000, v38
	v_cmp_u_f32_e64 s1, v38, v38
	v_mul_f32_e32 v38, s16, v43
	v_cndmask_b32_e64 v53, v39, v53, s1
	v_bfe_u32 v39, v38, 16, 1
	v_or_b32_e32 v43, 0x400000, v38
	v_cmp_u_f32_e64 s1, v38, v38
	v_add3_u32 v39, v39, v38, 0x7fff
	v_cndmask_b32_e64 v38, v39, v43, s1
	v_mul_f32_e32 v39, s16, v45
	v_bfe_u32 v43, v39, 16, 1
	v_or_b32_e32 v45, 0x400000, v39
	v_cmp_u_f32_e64 s1, v39, v39
	v_add3_u32 v43, v43, v39, 0x7fff
	v_cndmask_b32_e64 v39, v43, v45, s1
	v_bfe_u32 v43, v36, 16, 1
	v_or_b32_e32 v45, 0x400000, v36
	v_cmp_u_f32_e64 s1, v36, v36
	v_add3_u32 v43, v43, v36, 0x7fff
	v_cndmask_b32_e64 v36, v43, v45, s1
	;; [unrolled: 5-line block ×6, first 2 shown]
	v_bfe_u32 v43, v30, 16, 1
	v_or_b32_e32 v45, 0x400000, v30
	v_cmp_u_f32_e64 s1, v30, v30
	v_add3_u32 v43, v43, v30, 0x7fff
	v_mul_f32_e32 v30, s16, v35
	v_cndmask_b32_e64 v43, v43, v45, s1
	v_bfe_u32 v35, v30, 16, 1
	v_or_b32_e32 v45, 0x400000, v30
	v_cmp_u_f32_e64 s1, v30, v30
	v_add3_u32 v35, v35, v30, 0x7fff
	v_cndmask_b32_e64 v30, v35, v45, s1
	v_mul_f32_e32 v35, s16, v37
	v_bfe_u32 v37, v35, 16, 1
	v_or_b32_e32 v45, 0x400000, v35
	v_cmp_u_f32_e64 s1, v35, v35
	v_add3_u32 v37, v37, v35, 0x7fff
	v_cndmask_b32_e64 v35, v37, v45, s1
	v_bfe_u32 v37, v28, 16, 1
	v_or_b32_e32 v45, 0x400000, v28
	v_cmp_u_f32_e64 s1, v28, v28
	v_add3_u32 v37, v37, v28, 0x7fff
	v_cndmask_b32_e64 v28, v37, v45, s1
	v_bfe_u32 v37, v26, 16, 1
	v_or_b32_e32 v45, 0x400000, v26
	v_cmp_u_f32_e64 s1, v26, v26
	v_add3_u32 v37, v37, v26, 0x7fff
	v_cndmask_b32_e64 v26, v37, v45, s1
	v_bfe_u32 v37, v25, 16, 1
	v_or_b32_e32 v45, 0x400000, v25
	v_cmp_u_f32_e64 s1, v25, v25
	v_add3_u32 v37, v37, v25, 0x7fff
	v_cndmask_b32_e64 v25, v37, v45, s1
	v_bfe_u32 v37, v24, 16, 1
	v_or_b32_e32 v45, 0x400000, v24
	v_cmp_u_f32_e64 s1, v24, v24
	v_add3_u32 v37, v37, v24, 0x7fff
	v_cndmask_b32_e64 v24, v37, v45, s1
	v_bfe_u32 v37, v23, 16, 1
	v_or_b32_e32 v45, 0x400000, v23
	v_cmp_u_f32_e64 s1, v23, v23
	v_add3_u32 v37, v37, v23, 0x7fff
	v_cndmask_b32_e64 v23, v37, v45, s1
	v_bfe_u32 v37, v20, 16, 1
	v_or_b32_e32 v45, 0x400000, v20
	v_cmp_u_f32_e64 s1, v20, v20
	v_add3_u32 v37, v37, v20, 0x7fff
	v_mul_f32_e32 v20, s16, v27
	v_cndmask_b32_e64 v37, v37, v45, s1
	v_bfe_u32 v27, v20, 16, 1
	v_or_b32_e32 v45, 0x400000, v20
	v_cmp_u_f32_e64 s1, v20, v20
	v_add3_u32 v27, v27, v20, 0x7fff
	v_cndmask_b32_e64 v20, v27, v45, s1
	v_mul_f32_e32 v27, s16, v29
	v_bfe_u32 v29, v27, 16, 1
	v_or_b32_e32 v45, 0x400000, v27
	v_cmp_u_f32_e64 s1, v27, v27
	v_add3_u32 v29, v29, v27, 0x7fff
	v_cndmask_b32_e64 v27, v29, v45, s1
	v_bfe_u32 v29, v18, 16, 1
	v_or_b32_e32 v45, 0x400000, v18
	v_cmp_u_f32_e64 s1, v18, v18
	v_add3_u32 v29, v29, v18, 0x7fff
	v_cndmask_b32_e64 v18, v29, v45, s1
	;; [unrolled: 5-line block ×3, first 2 shown]
	v_bfe_u32 v29, v0, 16, 1
	v_or_b32_e32 v45, 0x400000, v0
	v_cmp_u_f32_e64 s1, v0, v0
	v_add3_u32 v29, v29, v0, 0x7fff
	v_mul_f32_e32 v0, s16, v15
	v_cndmask_b32_e64 v29, v29, v45, s1
	v_bfe_u32 v15, v0, 16, 1
	v_or_b32_e32 v45, 0x400000, v0
	v_cmp_u_f32_e64 s1, v0, v0
	v_add3_u32 v15, v15, v0, 0x7fff
	v_mul_f32_e32 v0, s16, v21
	v_cndmask_b32_e64 v15, v15, v45, s1
	v_bfe_u32 v21, v0, 16, 1
	v_or_b32_e32 v45, 0x400000, v0
	v_cmp_u_f32_e64 s1, v0, v0
	v_and_b32_e32 v15, 0xffff0000, v15
	v_add3_u32 v21, v21, v0, 0x7fff
	v_mul_f32_e32 v0, s16, v22
	v_cndmask_b32_e64 v21, v21, v45, s1
	v_bfe_u32 v22, v0, 16, 1
	v_or_b32_e32 v45, 0x400000, v0
	v_cmp_u_f32_e64 s1, v0, v0
	v_and_b32_e32 v21, 0xffff0000, v21
	;; [unrolled: 7-line block ×3, first 2 shown]
	v_add3_u32 v17, v17, v0, 0x7fff
	v_mul_f32_e32 v0, s16, v19
	v_cndmask_b32_e64 v17, v17, v45, s1
	v_bfe_u32 v19, v0, 16, 1
	v_or_b32_e32 v45, 0x400000, v0
	v_cmp_u_f32_e64 s1, v0, v0
	v_add3_u32 v19, v19, v0, 0x7fff
	v_mul_f32_e32 v0, s16, v13
	v_cndmask_b32_e64 v19, v19, v45, s1
	v_bfe_u32 v13, v0, 16, 1
	v_or_b32_e32 v45, 0x400000, v0
	v_cmp_u_f32_e64 s1, v0, v0
	;; [unrolled: 6-line block ×3, first 2 shown]
	v_and_b32_e32 v68, 0xffff0000, v68
	v_add3_u32 v13, v13, v0, 0x7fff
	v_mul_f32_e32 v0, s16, v125
	v_cndmask_b32_e64 v126, v13, v45, s1
	v_bfe_u32 v13, v0, 16, 1
	v_or_b32_e32 v45, 0x400000, v0
	v_cmp_u_f32_e64 s1, v0, v0
	v_add3_u32 v13, v13, v0, 0x7fff
	v_mul_f32_e32 v0, s16, v124
	v_cndmask_b32_e64 v125, v13, v45, s1
	v_bfe_u32 v13, v0, 16, 1
	v_or_b32_e32 v45, 0x400000, v0
	v_cmp_u_f32_e64 s1, v0, v0
	;; [unrolled: 6-line block ×5, first 2 shown]
	v_and_b32_e32 v69, 0xffff0000, v69
	v_add3_u32 v13, v13, v0, 0x7fff
	v_mul_f32_e32 v0, s16, v14
	v_cndmask_b32_e64 v122, v13, v45, s1
	v_bfe_u32 v13, v0, 16, 1
	v_or_b32_e32 v14, 0x400000, v0
	v_cmp_u_f32_e64 s1, v0, v0
	v_add3_u32 v13, v13, v0, 0x7fff
	v_mul_f32_e32 v0, s16, v120
	v_cndmask_b32_e64 v127, v13, v14, s1
	v_bfe_u32 v13, v0, 16, 1
	v_or_b32_e32 v14, 0x400000, v0
	v_cmp_u_f32_e64 s1, v0, v0
	;; [unrolled: 6-line block ×18, first 2 shown]
	v_add3_u32 v13, v13, v0, 0x7fff
	v_cndmask_b32_e64 v0, v13, v14, s1
	v_mul_f32_e32 v13, s16, v61
	buffer_load_dword v61, off, s[36:39], 0 offset:32 ; 4-byte Folded Reload
	v_and_b32_e32 v0, 0xffff0000, v0
	v_bfe_u32 v14, v13, 16, 1
	v_or_b32_e32 v45, 0x400000, v13
	v_cmp_u_f32_e64 s1, v13, v13
	v_add3_u32 v14, v14, v13, 0x7fff
	v_cndmask_b32_e64 v13, v14, v45, s1
	v_mul_f32_e32 v14, s16, v60
	v_bfe_u32 v45, v14, 16, 1
	v_or_b32_e32 v60, 0x400000, v14
	v_cmp_u_f32_e64 s1, v14, v14
	v_add3_u32 v45, v45, v14, 0x7fff
	v_cndmask_b32_e64 v14, v45, v60, s1
	v_mul_f32_e32 v45, s16, v57
	v_bfe_u32 v57, v45, 16, 1
	v_or_b32_e32 v60, 0x400000, v45
	v_cmp_u_f32_e64 s1, v45, v45
	v_add3_u32 v57, v57, v45, 0x7fff
	v_cndmask_b32_e64 v45, v57, v60, s1
	v_bfe_u32 v57, v12, 16, 1
	v_or_b32_e32 v60, 0x400000, v12
	v_cmp_u_f32_e64 s1, v12, v12
	v_add3_u32 v57, v57, v12, 0x7fff
	v_bfe_u32 v12, v11, 16, 1
	v_cndmask_b32_e64 v64, v57, v60, s1
	v_add3_u32 v12, v12, v11, 0x7fff
	v_or_b32_e32 v57, 0x400000, v11
	v_cmp_u_f32_e64 s1, v11, v11
	v_mul_f32_e32 v11, s16, v63
	v_cndmask_b32_e64 v106, v12, v57, s1
	v_bfe_u32 v12, v11, 16, 1
	v_or_b32_e32 v57, 0x400000, v11
	v_cmp_u_f32_e64 s1, v11, v11
	v_add3_u32 v12, v12, v11, 0x7fff
	v_cndmask_b32_e64 v11, v12, v57, s1
	v_mul_f32_e32 v12, s16, v67
	v_bfe_u32 v57, v12, 16, 1
	v_or_b32_e32 v60, 0x400000, v12
	v_cmp_u_f32_e64 s1, v12, v12
	v_add3_u32 v57, v57, v12, 0x7fff
	v_cndmask_b32_e64 v12, v57, v60, s1
	v_and_b32_e32 v57, 0xffff0000, v114
	v_and_b32_e32 v60, 0xffff0000, v119
	v_cmp_gt_i32_e64 s1, s11, v99
	s_waitcnt vmcnt(0)
	v_mul_f32_e32 v65, v61, v57
	s_clause 0x1
	buffer_load_dword v57, off, s[36:39], 0
	buffer_load_dword v61, off, s[36:39], 0 offset:36
	s_waitcnt vmcnt(1)
	v_fmac_f32_e32 v65, v57, v60
	v_and_b32_e32 v57, 0xffff0000, v115
	v_and_b32_e32 v60, 0xffff0000, v107
	buffer_load_dword v107, off, s[36:39], 0 offset:56 ; 4-byte Folded Reload
	s_waitcnt vmcnt(1)
	v_mul_f32_e32 v67, v61, v57
	s_clause 0x1
	buffer_load_dword v57, off, s[36:39], 0 offset:4
	buffer_load_dword v61, off, s[36:39], 0 offset:40
	s_waitcnt vmcnt(1)
	v_fmac_f32_e32 v67, v57, v60
	v_and_b32_e32 v57, 0xffff0000, v66
	v_and_b32_e32 v60, 0xffff0000, v108
	buffer_load_dword v108, off, s[36:39], 0 offset:60 ; 4-byte Folded Reload
	s_waitcnt vmcnt(1)
	v_mul_f32_e32 v66, v61, v57
	s_clause 0x1
	buffer_load_dword v57, off, s[36:39], 0 offset:8
	buffer_load_dword v61, off, s[36:39], 0 offset:44
	s_waitcnt vmcnt(1)
	v_fmac_f32_e32 v66, v57, v60
	v_and_b32_e32 v57, 0xffff0000, v117
	v_and_b32_e32 v60, 0xffff0000, v110
	s_waitcnt vmcnt(0)
	v_mul_f32_e32 v63, v61, v57
	s_clause 0x1
	buffer_load_dword v57, off, s[36:39], 0 offset:12
	buffer_load_dword v61, off, s[36:39], 0 offset:48
	s_waitcnt vmcnt(1)
	v_fmac_f32_e32 v63, v57, v60
	v_and_b32_e32 v57, 0xffff0000, v62
	v_and_b32_e32 v60, 0xffff0000, v109
	;; [unrolled: 9-line block ×3, first 2 shown]
	s_waitcnt vmcnt(0)
	v_mul_f32_e32 v57, v61, v57
	buffer_load_dword v61, off, s[36:39], 0 offset:20 ; 4-byte Folded Reload
	s_waitcnt vmcnt(0)
	v_fmac_f32_e32 v57, v61, v60
	v_and_b32_e32 v60, 0xffff0000, v116
	v_and_b32_e32 v61, 0xffff0000, v111
	v_mul_f32_e32 v60, v107, v60
	buffer_load_dword v107, off, s[36:39], 0 offset:24 ; 4-byte Folded Reload
	s_waitcnt vmcnt(0)
	v_fmac_f32_e32 v60, v107, v61
	v_and_b32_e32 v61, 0xffff0000, v118
	v_and_b32_e32 v107, 0xffff0000, v113
	v_mul_f32_e32 v61, v108, v61
	buffer_load_dword v108, off, s[36:39], 0 offset:28 ; 4-byte Folded Reload
	s_waitcnt vmcnt(0)
	v_fmac_f32_e32 v61, v108, v107
	buffer_load_dword v107, off, s[36:39], 0 offset:64 ; 4-byte Folded Reload
	s_waitcnt vmcnt(0)
	v_fmac_f32_e32 v65, v107, v69
	buffer_load_dword v107, off, s[36:39], 0 offset:68 ; 4-byte Folded Reload
	v_and_b32_e32 v69, 0xffff0000, v123
	s_waitcnt vmcnt(0)
	v_fmac_f32_e32 v67, v107, v69
	buffer_load_dword v107, off, s[36:39], 0 offset:72 ; 4-byte Folded Reload
	v_and_b32_e32 v69, 0xffff0000, v124
	;; [unrolled: 4-line block ×4, first 2 shown]
	s_waitcnt vmcnt(0)
	v_fmac_f32_e32 v62, v107, v69
	buffer_load_dword v69, off, s[36:39], 0 offset:84 ; 4-byte Folded Reload
	s_waitcnt vmcnt(0)
	v_fmac_f32_e32 v57, v69, v68
	buffer_load_dword v69, off, s[36:39], 0 offset:88 ; 4-byte Folded Reload
	v_and_b32_e32 v68, 0xffff0000, v122
	s_waitcnt vmcnt(0)
	v_fmac_f32_e32 v60, v69, v68
	buffer_load_dword v69, off, s[36:39], 0 offset:92 ; 4-byte Folded Reload
	v_and_b32_e32 v68, 0xffff0000, v127
	s_waitcnt vmcnt(0)
	v_fmac_f32_e32 v61, v69, v68
	buffer_load_dword v68, off, s[36:39], 0 offset:96 ; 4-byte Folded Reload
	s_waitcnt vmcnt(0)
	v_fmac_f32_e32 v65, v68, v22
	buffer_load_dword v22, off, s[36:39], 0 offset:100 ; 4-byte Folded Reload
	s_waitcnt vmcnt(0)
	v_fmac_f32_e32 v67, v22, v21
	buffer_load_dword v21, off, s[36:39], 0 offset:104 ; 4-byte Folded Reload
	s_waitcnt vmcnt(0)
	v_fmac_f32_e32 v66, v21, v15
	buffer_load_dword v21, off, s[36:39], 0 offset:108 ; 4-byte Folded Reload
	v_and_b32_e32 v15, 0xffff0000, v29
	s_waitcnt vmcnt(0)
	v_fmac_f32_e32 v63, v21, v15
	v_and_b32_e32 v15, 0xffff0000, v16
	buffer_load_dword v16, off, s[36:39], 0 offset:112 ; 4-byte Folded Reload
	s_waitcnt vmcnt(0)
	v_fmac_f32_e32 v62, v16, v15
	buffer_load_dword v16, off, s[36:39], 0 offset:116 ; 4-byte Folded Reload
	v_and_b32_e32 v15, 0xffff0000, v18
	s_waitcnt vmcnt(0)
	v_fmac_f32_e32 v57, v16, v15
	buffer_load_dword v16, off, s[36:39], 0 offset:120 ; 4-byte Folded Reload
	v_and_b32_e32 v15, 0xffff0000, v17
	;; [unrolled: 4-line block ×24, first 2 shown]
	s_waitcnt vmcnt(0)
	v_fmac_f32_e32 v62, v16, v15
	v_and_b32_e32 v15, 0xffff0000, v44
	v_fmac_f32_e32 v57, v70, v15
	v_and_b32_e32 v15, 0xffff0000, v38
	;; [unrolled: 2-line block ×8, first 2 shown]
	v_fmac_f32_e32 v63, v84, v10
	v_fmac_f32_e32 v62, v77, v15
	v_and_b32_e32 v15, 0xffff0000, v52
	v_and_b32_e32 v10, 0xffff0000, v45
	v_fmac_f32_e32 v62, v85, v7
	v_fmac_f32_e32 v57, v78, v15
	v_and_b32_e32 v15, 0xffff0000, v46
	v_and_b32_e32 v7, 0xffff0000, v14
	v_fmac_f32_e32 v57, v86, v1
	v_fmac_f32_e32 v60, v79, v15
	v_and_b32_e32 v15, 0xffff0000, v47
	v_fmac_f32_e32 v63, v92, v7
	v_and_b32_e32 v1, 0xffff0000, v13
	v_fmac_f32_e32 v57, v94, v0
	v_fmac_f32_e32 v61, v80, v15
	v_and_b32_e32 v15, 0xffff0000, v54
	v_fmac_f32_e32 v62, v93, v1
	;; [unrolled: 3-line block ×3, first 2 shown]
	v_and_b32_e32 v15, 0xffff0000, v56
	v_fmac_f32_e32 v66, v83, v15
	v_and_b32_e32 v15, 0xffff0000, v106
	v_fmac_f32_e32 v66, v91, v10
	v_fmac_f32_e32 v65, v89, v15
	v_and_b32_e32 v15, 0xffff0000, v64
	v_fmac_f32_e32 v67, v90, v15
	v_add_f32_e32 v10, v65, v67
	v_add_f32_e32 v7, v10, v66
	;; [unrolled: 1-line block ×3, first 2 shown]
	v_and_b32_e32 v7, 0xffff0000, v9
	v_add_f32_e32 v0, v1, v62
	v_and_b32_e32 v1, 0xffff0000, v8
	v_fmac_f32_e32 v60, v87, v7
	v_add_f32_e32 v0, v0, v57
	v_fmac_f32_e32 v61, v88, v1
	v_and_b32_e32 v1, 0xffff0000, v11
	v_fmac_f32_e32 v60, v95, v1
	v_and_b32_e32 v1, 0xffff0000, v12
	v_add_f32_e32 v0, v0, v60
	v_fmac_f32_e32 v61, v96, v1
	v_add_nc_u32_e32 v1, s17, v99
	v_add_nc_u32_e32 v99, 0x80, v99
	v_add_f32_e32 v0, v0, v61
	v_cvt_f32_i32_e32 v1, v1
	v_mul_f32_e32 v1, s28, v1
	v_cndmask_b32_e32 v1, 0, v1, vcc_lo
	v_fmac_f32_e32 v1, s3, v0
	v_max_f32_e32 v0, v97, v97
	v_max_f32_e32 v0, v0, v1
	v_cndmask_b32_e64 v1, 0, v1, s1
	v_cndmask_b32_e64 v97, v97, v0, s1
	v_cmp_le_i32_e64 s1, s12, v105
	ds_write_b32 v98, v1
	v_add_nc_u32_e32 v98, 0x200, v98
	s_or_b32 s30, s1, s30
	s_andn2_b32 exec_lo, exec_lo, s30
	s_cbranch_execz .LBB361_607
.LBB361_10:                             ; =>This Inner Loop Header: Depth=1
	global_load_dword v0, v[5:6], off
	v_mov_b32_e32 v106, 0
	s_waitcnt vmcnt(0)
	v_mad_i64_i32 v[7:8], null, v0, s29, v[3:4]
	global_load_dwordx2 v[9:10], v[7:8], off
	s_waitcnt vmcnt(0)
	v_cmp_ne_u16_sdwa s1, v9, v2 src0_sel:BYTE_0 src1_sel:DWORD
	s_and_saveexec_b32 s2, s1
	s_cbranch_execz .LBB361_16
; %bb.11:                               ;   in Loop: Header=BB361_10 Depth=1
	v_cmp_ne_u16_sdwa s1, v9, v100 src0_sel:BYTE_0 src1_sel:DWORD
	v_bfrev_b32_e32 v106, 1
	s_and_saveexec_b32 s31, s1
	s_cbranch_execz .LBB361_15
; %bb.12:                               ;   in Loop: Header=BB361_10 Depth=1
	v_and_b32_e32 v0, 0x7f, v9
	v_mov_b32_e32 v106, 0x7f800001
	s_mov_b32 s33, exec_lo
	v_cmpx_ne_u32_e32 0x7f, v0
	s_cbranch_execz .LBB361_14
; %bb.13:                               ;   in Loop: Header=BB361_10 Depth=1
	v_and_b32_e32 v1, 7, v9
	v_cmp_gt_u32_e64 s1, 8, v0
	v_lshrrev_b32_e32 v11, 3, v0
	v_ffbh_u32_e32 v1, v1
	v_min_u32_e32 v1, 32, v1
	v_subrev_nc_u32_e32 v12, 28, v1
	v_sub_nc_u32_e32 v1, 29, v1
	v_cndmask_b32_e64 v0, 0, v12, s1
	v_cndmask_b32_e64 v11, v11, v1, s1
	v_lshlrev_b64 v[0:1], v0, v[9:10]
	v_lshlrev_b32_e32 v1, 24, v9
	v_lshl_add_u32 v11, v11, 23, 0x3c000000
	v_lshlrev_b32_e32 v0, 20, v0
	v_and_b32_e32 v1, 0x80000000, v1
	v_and_b32_e32 v0, 0x700000, v0
	v_or3_b32 v106, v0, v1, v11
.LBB361_14:                             ;   in Loop: Header=BB361_10 Depth=1
	s_or_b32 exec_lo, exec_lo, s33
.LBB361_15:                             ;   in Loop: Header=BB361_10 Depth=1
	s_or_b32 exec_lo, exec_lo, s31
.LBB361_16:                             ;   in Loop: Header=BB361_10 Depth=1
	s_or_b32 exec_lo, exec_lo, s2
	v_cmp_ne_u16_sdwa s1, v9, v2 src0_sel:BYTE_1 src1_sel:DWORD
	v_mov_b32_e32 v108, 0
	v_mov_b32_e32 v107, 0
	s_and_saveexec_b32 s2, s1
	s_cbranch_execz .LBB361_24
; %bb.17:                               ;   in Loop: Header=BB361_10 Depth=1
	v_cmp_ne_u16_sdwa s1, v9, v100 src0_sel:BYTE_1 src1_sel:DWORD
	v_bfrev_b32_e32 v107, 1
	s_and_saveexec_b32 s31, s1
	s_cbranch_execz .LBB361_23
; %bb.18:                               ;   in Loop: Header=BB361_10 Depth=1
	v_and_b32_sdwa v0, v101, v9 dst_sel:DWORD dst_unused:UNUSED_PAD src0_sel:DWORD src1_sel:BYTE_1
	v_mov_b32_e32 v107, 0x7f800001
	s_mov_b32 s33, exec_lo
	v_and_b32_e32 v11, 0x7f, v0
	v_cmpx_ne_u32_e32 0x7f, v11
	s_cbranch_execz .LBB361_22
; %bb.19:                               ;   in Loop: Header=BB361_10 Depth=1
	v_and_b32_e32 v1, 7, v0
	v_lshrrev_b32_e32 v0, 3, v11
	s_mov_b32 s34, exec_lo
	v_cmpx_gt_u32_e32 8, v11
; %bb.20:                               ;   in Loop: Header=BB361_10 Depth=1
	v_ffbh_u32_e32 v0, v1
	v_min_u32_e32 v0, 32, v0
	v_subrev_nc_u32_e32 v11, 28, v0
	v_sub_nc_u32_e32 v0, 29, v0
	v_lshlrev_b64 v[11:12], v11, v[1:2]
	v_and_b32_e32 v1, 7, v11
; %bb.21:                               ;   in Loop: Header=BB361_10 Depth=1
	s_or_b32 exec_lo, exec_lo, s34
	v_lshlrev_b32_e32 v11, 16, v9
	v_lshlrev_b32_e32 v1, 20, v1
	v_lshl_add_u32 v0, v0, 23, 0x3c000000
	v_and_b32_e32 v11, 0x80000000, v11
	v_or3_b32 v107, v1, v11, v0
.LBB361_22:                             ;   in Loop: Header=BB361_10 Depth=1
	s_or_b32 exec_lo, exec_lo, s33
.LBB361_23:                             ;   in Loop: Header=BB361_10 Depth=1
	s_or_b32 exec_lo, exec_lo, s31
.LBB361_24:                             ;   in Loop: Header=BB361_10 Depth=1
	s_or_b32 exec_lo, exec_lo, s2
	v_and_b32_sdwa v0, v9, v102 dst_sel:DWORD dst_unused:UNUSED_PAD src0_sel:WORD_1 src1_sel:DWORD
	s_mov_b32 s2, exec_lo
	v_cmpx_ne_u16_e32 0, v0
	s_cbranch_execz .LBB361_32
; %bb.25:                               ;   in Loop: Header=BB361_10 Depth=1
	v_bfrev_b32_e32 v108, 1
	s_mov_b32 s31, exec_lo
	v_cmpx_ne_u16_e32 0x80, v0
	s_cbranch_execz .LBB361_31
; %bb.26:                               ;   in Loop: Header=BB361_10 Depth=1
	v_bfe_u32 v11, v9, 16, 7
	v_mov_b32_e32 v108, 0x7f800001
	s_mov_b32 s33, exec_lo
	v_cmpx_ne_u32_e32 0x7f, v11
	s_cbranch_execz .LBB361_30
; %bb.27:                               ;   in Loop: Header=BB361_10 Depth=1
	v_and_b32_sdwa v1, v9, v103 dst_sel:DWORD dst_unused:UNUSED_PAD src0_sel:WORD_1 src1_sel:DWORD
	v_lshrrev_b32_e32 v0, 3, v11
	s_mov_b32 s34, exec_lo
	v_cmpx_gt_u32_e32 8, v11
; %bb.28:                               ;   in Loop: Header=BB361_10 Depth=1
	v_ffbh_u32_e32 v0, v1
	v_min_u32_e32 v0, 32, v0
	v_subrev_nc_u32_e32 v11, 28, v0
	v_sub_nc_u32_e32 v0, 29, v0
	v_lshlrev_b64 v[11:12], v11, v[1:2]
	v_and_b32_e32 v1, 7, v11
; %bb.29:                               ;   in Loop: Header=BB361_10 Depth=1
	s_or_b32 exec_lo, exec_lo, s34
	v_lshlrev_b32_sdwa v11, v104, v9 dst_sel:DWORD dst_unused:UNUSED_PAD src0_sel:DWORD src1_sel:WORD_1
	v_lshlrev_b32_e32 v1, 20, v1
	v_lshl_add_u32 v0, v0, 23, 0x3c000000
	v_and_b32_e32 v11, 0x80000000, v11
	v_or3_b32 v108, v1, v11, v0
.LBB361_30:                             ;   in Loop: Header=BB361_10 Depth=1
	s_or_b32 exec_lo, exec_lo, s33
.LBB361_31:                             ;   in Loop: Header=BB361_10 Depth=1
	s_or_b32 exec_lo, exec_lo, s31
.LBB361_32:                             ;   in Loop: Header=BB361_10 Depth=1
	s_or_b32 exec_lo, exec_lo, s2
	v_mov_b32_e32 v109, 0
	v_mov_b32_e32 v110, 0
	s_mov_b32 s2, exec_lo
	v_cmpx_lt_u32_e32 0xffffff, v9
	s_cbranch_execz .LBB361_40
; %bb.33:                               ;   in Loop: Header=BB361_10 Depth=1
	v_cmp_ne_u32_sdwa s1, v9, v100 src0_sel:BYTE_3 src1_sel:DWORD
	v_bfrev_b32_e32 v110, 1
	s_and_saveexec_b32 s31, s1
	s_cbranch_execz .LBB361_39
; %bb.34:                               ;   in Loop: Header=BB361_10 Depth=1
	v_bfe_u32 v11, v9, 24, 7
	v_mov_b32_e32 v110, 0x7f800001
	s_mov_b32 s33, exec_lo
	v_cmpx_ne_u32_e32 0x7f, v11
	s_cbranch_execz .LBB361_38
; %bb.35:                               ;   in Loop: Header=BB361_10 Depth=1
	v_and_b32_sdwa v1, v9, v103 dst_sel:DWORD dst_unused:UNUSED_PAD src0_sel:BYTE_3 src1_sel:DWORD
	v_lshrrev_b32_e32 v0, 3, v11
	s_mov_b32 s34, exec_lo
	v_cmpx_gt_u32_e32 8, v11
; %bb.36:                               ;   in Loop: Header=BB361_10 Depth=1
	v_ffbh_u32_e32 v0, v1
	v_min_u32_e32 v0, 32, v0
	v_subrev_nc_u32_e32 v11, 28, v0
	v_sub_nc_u32_e32 v0, 29, v0
	v_lshlrev_b64 v[11:12], v11, v[1:2]
	v_and_b32_e32 v1, 7, v11
; %bb.37:                               ;   in Loop: Header=BB361_10 Depth=1
	s_or_b32 exec_lo, exec_lo, s34
	v_lshlrev_b32_sdwa v11, v104, v9 dst_sel:DWORD dst_unused:UNUSED_PAD src0_sel:DWORD src1_sel:BYTE_3
	v_lshlrev_b32_e32 v1, 20, v1
	v_lshl_add_u32 v0, v0, 23, 0x3c000000
	v_and_b32_e32 v11, 0x80000000, v11
	v_or3_b32 v110, v1, v11, v0
.LBB361_38:                             ;   in Loop: Header=BB361_10 Depth=1
	s_or_b32 exec_lo, exec_lo, s33
.LBB361_39:                             ;   in Loop: Header=BB361_10 Depth=1
	s_or_b32 exec_lo, exec_lo, s31
.LBB361_40:                             ;   in Loop: Header=BB361_10 Depth=1
	s_or_b32 exec_lo, exec_lo, s2
	v_mov_b32_e32 v1, v10
	v_cmp_ne_u16_sdwa s1, v10, v2 src0_sel:BYTE_0 src1_sel:DWORD
	s_and_saveexec_b32 s2, s1
	s_cbranch_execz .LBB361_46
; %bb.41:                               ;   in Loop: Header=BB361_10 Depth=1
	v_cmp_ne_u16_sdwa s1, v10, v100 src0_sel:BYTE_0 src1_sel:DWORD
	v_bfrev_b32_e32 v109, 1
	s_and_saveexec_b32 s31, s1
	s_cbranch_execz .LBB361_45
; %bb.42:                               ;   in Loop: Header=BB361_10 Depth=1
	v_and_b32_e32 v0, 0x7f, v10
	v_mov_b32_e32 v109, 0x7f800001
	s_mov_b32 s33, exec_lo
	v_cmpx_ne_u32_e32 0x7f, v0
	s_cbranch_execz .LBB361_44
; %bb.43:                               ;   in Loop: Header=BB361_10 Depth=1
	v_and_b32_e32 v11, 7, v10
	v_lshrrev_b32_e32 v12, 3, v0
	v_cmp_gt_u32_e64 s1, 8, v0
	v_ffbh_u32_e32 v11, v11
	v_min_u32_e32 v11, 32, v11
	v_subrev_nc_u32_e32 v13, 28, v11
	v_sub_nc_u32_e32 v11, 29, v11
	v_cndmask_b32_e64 v0, v12, v11, s1
	v_cndmask_b32_e64 v11, 0, v13, s1
	v_lshl_add_u32 v0, v0, 23, 0x3c000000
	v_lshlrev_b64 v[11:12], v11, v[1:2]
	v_lshlrev_b32_e32 v12, 24, v1
	v_lshlrev_b32_e32 v11, 20, v11
	v_and_b32_e32 v12, 0x80000000, v12
	v_and_b32_e32 v11, 0x700000, v11
	v_or3_b32 v109, v11, v12, v0
.LBB361_44:                             ;   in Loop: Header=BB361_10 Depth=1
	s_or_b32 exec_lo, exec_lo, s33
.LBB361_45:                             ;   in Loop: Header=BB361_10 Depth=1
	s_or_b32 exec_lo, exec_lo, s31
.LBB361_46:                             ;   in Loop: Header=BB361_10 Depth=1
	s_or_b32 exec_lo, exec_lo, s2
	v_cmp_ne_u16_sdwa s1, v1, v2 src0_sel:BYTE_1 src1_sel:DWORD
	v_mov_b32_e32 v111, 0
	v_mov_b32_e32 v112, 0
	s_and_saveexec_b32 s2, s1
	s_cbranch_execz .LBB361_54
; %bb.47:                               ;   in Loop: Header=BB361_10 Depth=1
	v_cmp_ne_u16_sdwa s1, v1, v100 src0_sel:BYTE_1 src1_sel:DWORD
	v_bfrev_b32_e32 v112, 1
	s_and_saveexec_b32 s31, s1
	s_cbranch_execz .LBB361_53
; %bb.48:                               ;   in Loop: Header=BB361_10 Depth=1
	v_and_b32_sdwa v0, v101, v1 dst_sel:DWORD dst_unused:UNUSED_PAD src0_sel:DWORD src1_sel:BYTE_1
	v_mov_b32_e32 v112, 0x7f800001
	s_mov_b32 s33, exec_lo
	v_and_b32_e32 v13, 0x7f, v0
	v_cmpx_ne_u32_e32 0x7f, v13
	s_cbranch_execz .LBB361_52
; %bb.49:                               ;   in Loop: Header=BB361_10 Depth=1
	v_and_b32_e32 v11, 7, v0
	v_mov_b32_e32 v12, v2
	v_lshrrev_b32_e32 v0, 3, v13
	s_mov_b32 s34, exec_lo
	v_cmpx_gt_u32_e32 8, v13
; %bb.50:                               ;   in Loop: Header=BB361_10 Depth=1
	v_ffbh_u32_e32 v0, v11
	v_min_u32_e32 v0, 32, v0
	v_subrev_nc_u32_e32 v13, 28, v0
	v_sub_nc_u32_e32 v0, 29, v0
	v_lshlrev_b64 v[11:12], v13, v[11:12]
	v_and_b32_e32 v11, 7, v11
; %bb.51:                               ;   in Loop: Header=BB361_10 Depth=1
	s_or_b32 exec_lo, exec_lo, s34
	v_lshlrev_b32_e32 v1, 16, v1
	v_lshlrev_b32_e32 v11, 20, v11
	v_lshl_add_u32 v0, v0, 23, 0x3c000000
	v_and_b32_e32 v1, 0x80000000, v1
	v_or3_b32 v112, v11, v1, v0
.LBB361_52:                             ;   in Loop: Header=BB361_10 Depth=1
	s_or_b32 exec_lo, exec_lo, s33
.LBB361_53:                             ;   in Loop: Header=BB361_10 Depth=1
	s_or_b32 exec_lo, exec_lo, s31
.LBB361_54:                             ;   in Loop: Header=BB361_10 Depth=1
	s_or_b32 exec_lo, exec_lo, s2
	v_and_b32_sdwa v0, v10, v102 dst_sel:DWORD dst_unused:UNUSED_PAD src0_sel:WORD_1 src1_sel:DWORD
	s_mov_b32 s2, exec_lo
	v_cmpx_ne_u16_e32 0, v0
	s_cbranch_execz .LBB361_62
; %bb.55:                               ;   in Loop: Header=BB361_10 Depth=1
	v_bfrev_b32_e32 v111, 1
	s_mov_b32 s31, exec_lo
	v_cmpx_ne_u16_e32 0x80, v0
	s_cbranch_execz .LBB361_61
; %bb.56:                               ;   in Loop: Header=BB361_10 Depth=1
	v_bfe_u32 v11, v10, 16, 7
	v_mov_b32_e32 v111, 0x7f800001
	s_mov_b32 s33, exec_lo
	v_cmpx_ne_u32_e32 0x7f, v11
	s_cbranch_execz .LBB361_60
; %bb.57:                               ;   in Loop: Header=BB361_10 Depth=1
	v_and_b32_sdwa v1, v10, v103 dst_sel:DWORD dst_unused:UNUSED_PAD src0_sel:WORD_1 src1_sel:DWORD
	v_lshrrev_b32_e32 v0, 3, v11
	s_mov_b32 s34, exec_lo
	v_cmpx_gt_u32_e32 8, v11
; %bb.58:                               ;   in Loop: Header=BB361_10 Depth=1
	v_ffbh_u32_e32 v0, v1
	v_min_u32_e32 v0, 32, v0
	v_subrev_nc_u32_e32 v11, 28, v0
	v_sub_nc_u32_e32 v0, 29, v0
	v_lshlrev_b64 v[11:12], v11, v[1:2]
	v_and_b32_e32 v1, 7, v11
; %bb.59:                               ;   in Loop: Header=BB361_10 Depth=1
	s_or_b32 exec_lo, exec_lo, s34
	v_lshlrev_b32_sdwa v11, v104, v10 dst_sel:DWORD dst_unused:UNUSED_PAD src0_sel:DWORD src1_sel:WORD_1
	v_lshlrev_b32_e32 v1, 20, v1
	v_lshl_add_u32 v0, v0, 23, 0x3c000000
	v_and_b32_e32 v11, 0x80000000, v11
	v_or3_b32 v111, v1, v11, v0
.LBB361_60:                             ;   in Loop: Header=BB361_10 Depth=1
	s_or_b32 exec_lo, exec_lo, s33
.LBB361_61:                             ;   in Loop: Header=BB361_10 Depth=1
	s_or_b32 exec_lo, exec_lo, s31
.LBB361_62:                             ;   in Loop: Header=BB361_10 Depth=1
	s_or_b32 exec_lo, exec_lo, s2
	v_mov_b32_e32 v114, 0
	v_mov_b32_e32 v113, 0
	s_mov_b32 s2, exec_lo
	v_cmpx_lt_u64_e64 s[4:5], v[9:10]
	s_cbranch_execz .LBB361_70
; %bb.63:                               ;   in Loop: Header=BB361_10 Depth=1
	v_cmp_ne_u32_sdwa s1, v10, v100 src0_sel:BYTE_3 src1_sel:DWORD
	v_bfrev_b32_e32 v113, 1
	s_and_saveexec_b32 s31, s1
	s_cbranch_execz .LBB361_69
; %bb.64:                               ;   in Loop: Header=BB361_10 Depth=1
	v_bfe_u32 v9, v10, 24, 7
	v_mov_b32_e32 v113, 0x7f800001
	s_mov_b32 s33, exec_lo
	v_cmpx_ne_u32_e32 0x7f, v9
	s_cbranch_execz .LBB361_68
; %bb.65:                               ;   in Loop: Header=BB361_10 Depth=1
	v_and_b32_sdwa v1, v10, v103 dst_sel:DWORD dst_unused:UNUSED_PAD src0_sel:BYTE_3 src1_sel:DWORD
	v_lshrrev_b32_e32 v0, 3, v9
	s_mov_b32 s34, exec_lo
	v_cmpx_gt_u32_e32 8, v9
; %bb.66:                               ;   in Loop: Header=BB361_10 Depth=1
	v_ffbh_u32_e32 v0, v1
	v_min_u32_e32 v0, 32, v0
	v_subrev_nc_u32_e32 v9, 28, v0
	v_sub_nc_u32_e32 v0, 29, v0
	v_lshlrev_b64 v[11:12], v9, v[1:2]
	v_and_b32_e32 v1, 7, v11
; %bb.67:                               ;   in Loop: Header=BB361_10 Depth=1
	s_or_b32 exec_lo, exec_lo, s34
	v_lshlrev_b32_sdwa v9, v104, v10 dst_sel:DWORD dst_unused:UNUSED_PAD src0_sel:DWORD src1_sel:BYTE_3
	v_lshlrev_b32_e32 v1, 20, v1
	v_lshl_add_u32 v0, v0, 23, 0x3c000000
	v_and_b32_e32 v9, 0x80000000, v9
	v_or3_b32 v113, v1, v9, v0
.LBB361_68:                             ;   in Loop: Header=BB361_10 Depth=1
	s_or_b32 exec_lo, exec_lo, s33
.LBB361_69:                             ;   in Loop: Header=BB361_10 Depth=1
	s_or_b32 exec_lo, exec_lo, s31
.LBB361_70:                             ;   in Loop: Header=BB361_10 Depth=1
	s_or_b32 exec_lo, exec_lo, s2
	global_load_dwordx2 v[9:10], v[7:8], off offset:8
	s_waitcnt vmcnt(0)
	v_cmp_ne_u16_sdwa s1, v9, v2 src0_sel:BYTE_0 src1_sel:DWORD
	s_and_saveexec_b32 s2, s1
	s_cbranch_execz .LBB361_76
; %bb.71:                               ;   in Loop: Header=BB361_10 Depth=1
	v_cmp_ne_u16_sdwa s1, v9, v100 src0_sel:BYTE_0 src1_sel:DWORD
	v_bfrev_b32_e32 v114, 1
	s_and_saveexec_b32 s31, s1
	s_cbranch_execz .LBB361_75
; %bb.72:                               ;   in Loop: Header=BB361_10 Depth=1
	v_and_b32_e32 v0, 0x7f, v9
	v_mov_b32_e32 v114, 0x7f800001
	s_mov_b32 s33, exec_lo
	v_cmpx_ne_u32_e32 0x7f, v0
	s_cbranch_execz .LBB361_74
; %bb.73:                               ;   in Loop: Header=BB361_10 Depth=1
	v_and_b32_e32 v1, 7, v9
	v_cmp_gt_u32_e64 s1, 8, v0
	v_lshrrev_b32_e32 v11, 3, v0
	v_ffbh_u32_e32 v1, v1
	v_min_u32_e32 v1, 32, v1
	v_subrev_nc_u32_e32 v12, 28, v1
	v_sub_nc_u32_e32 v1, 29, v1
	v_cndmask_b32_e64 v0, 0, v12, s1
	v_cndmask_b32_e64 v11, v11, v1, s1
	v_lshlrev_b64 v[0:1], v0, v[9:10]
	v_lshlrev_b32_e32 v1, 24, v9
	v_lshl_add_u32 v11, v11, 23, 0x3c000000
	v_lshlrev_b32_e32 v0, 20, v0
	v_and_b32_e32 v1, 0x80000000, v1
	v_and_b32_e32 v0, 0x700000, v0
	v_or3_b32 v114, v0, v1, v11
.LBB361_74:                             ;   in Loop: Header=BB361_10 Depth=1
	s_or_b32 exec_lo, exec_lo, s33
.LBB361_75:                             ;   in Loop: Header=BB361_10 Depth=1
	s_or_b32 exec_lo, exec_lo, s31
.LBB361_76:                             ;   in Loop: Header=BB361_10 Depth=1
	s_or_b32 exec_lo, exec_lo, s2
	v_cmp_ne_u16_sdwa s1, v9, v2 src0_sel:BYTE_1 src1_sel:DWORD
	v_mov_b32_e32 v116, 0
	v_mov_b32_e32 v115, 0
	s_and_saveexec_b32 s2, s1
	s_cbranch_execz .LBB361_84
; %bb.77:                               ;   in Loop: Header=BB361_10 Depth=1
	v_cmp_ne_u16_sdwa s1, v9, v100 src0_sel:BYTE_1 src1_sel:DWORD
	v_bfrev_b32_e32 v115, 1
	s_and_saveexec_b32 s31, s1
	s_cbranch_execz .LBB361_83
; %bb.78:                               ;   in Loop: Header=BB361_10 Depth=1
	v_and_b32_sdwa v0, v101, v9 dst_sel:DWORD dst_unused:UNUSED_PAD src0_sel:DWORD src1_sel:BYTE_1
	v_mov_b32_e32 v115, 0x7f800001
	s_mov_b32 s33, exec_lo
	v_and_b32_e32 v11, 0x7f, v0
	v_cmpx_ne_u32_e32 0x7f, v11
	s_cbranch_execz .LBB361_82
; %bb.79:                               ;   in Loop: Header=BB361_10 Depth=1
	v_and_b32_e32 v1, 7, v0
	v_lshrrev_b32_e32 v0, 3, v11
	s_mov_b32 s34, exec_lo
	v_cmpx_gt_u32_e32 8, v11
; %bb.80:                               ;   in Loop: Header=BB361_10 Depth=1
	v_ffbh_u32_e32 v0, v1
	v_min_u32_e32 v0, 32, v0
	v_subrev_nc_u32_e32 v11, 28, v0
	v_sub_nc_u32_e32 v0, 29, v0
	v_lshlrev_b64 v[11:12], v11, v[1:2]
	v_and_b32_e32 v1, 7, v11
; %bb.81:                               ;   in Loop: Header=BB361_10 Depth=1
	s_or_b32 exec_lo, exec_lo, s34
	v_lshlrev_b32_e32 v11, 16, v9
	v_lshlrev_b32_e32 v1, 20, v1
	v_lshl_add_u32 v0, v0, 23, 0x3c000000
	v_and_b32_e32 v11, 0x80000000, v11
	v_or3_b32 v115, v1, v11, v0
.LBB361_82:                             ;   in Loop: Header=BB361_10 Depth=1
	s_or_b32 exec_lo, exec_lo, s33
.LBB361_83:                             ;   in Loop: Header=BB361_10 Depth=1
	s_or_b32 exec_lo, exec_lo, s31
.LBB361_84:                             ;   in Loop: Header=BB361_10 Depth=1
	s_or_b32 exec_lo, exec_lo, s2
	v_and_b32_sdwa v0, v9, v102 dst_sel:DWORD dst_unused:UNUSED_PAD src0_sel:WORD_1 src1_sel:DWORD
	s_mov_b32 s2, exec_lo
	v_cmpx_ne_u16_e32 0, v0
	s_cbranch_execz .LBB361_92
; %bb.85:                               ;   in Loop: Header=BB361_10 Depth=1
	v_bfrev_b32_e32 v116, 1
	s_mov_b32 s31, exec_lo
	v_cmpx_ne_u16_e32 0x80, v0
	s_cbranch_execz .LBB361_91
; %bb.86:                               ;   in Loop: Header=BB361_10 Depth=1
	v_bfe_u32 v11, v9, 16, 7
	v_mov_b32_e32 v116, 0x7f800001
	s_mov_b32 s33, exec_lo
	v_cmpx_ne_u32_e32 0x7f, v11
	s_cbranch_execz .LBB361_90
; %bb.87:                               ;   in Loop: Header=BB361_10 Depth=1
	v_and_b32_sdwa v1, v9, v103 dst_sel:DWORD dst_unused:UNUSED_PAD src0_sel:WORD_1 src1_sel:DWORD
	v_lshrrev_b32_e32 v0, 3, v11
	s_mov_b32 s34, exec_lo
	v_cmpx_gt_u32_e32 8, v11
; %bb.88:                               ;   in Loop: Header=BB361_10 Depth=1
	v_ffbh_u32_e32 v0, v1
	v_min_u32_e32 v0, 32, v0
	v_subrev_nc_u32_e32 v11, 28, v0
	v_sub_nc_u32_e32 v0, 29, v0
	v_lshlrev_b64 v[11:12], v11, v[1:2]
	v_and_b32_e32 v1, 7, v11
; %bb.89:                               ;   in Loop: Header=BB361_10 Depth=1
	s_or_b32 exec_lo, exec_lo, s34
	v_lshlrev_b32_sdwa v11, v104, v9 dst_sel:DWORD dst_unused:UNUSED_PAD src0_sel:DWORD src1_sel:WORD_1
	v_lshlrev_b32_e32 v1, 20, v1
	v_lshl_add_u32 v0, v0, 23, 0x3c000000
	v_and_b32_e32 v11, 0x80000000, v11
	v_or3_b32 v116, v1, v11, v0
.LBB361_90:                             ;   in Loop: Header=BB361_10 Depth=1
	s_or_b32 exec_lo, exec_lo, s33
.LBB361_91:                             ;   in Loop: Header=BB361_10 Depth=1
	s_or_b32 exec_lo, exec_lo, s31
.LBB361_92:                             ;   in Loop: Header=BB361_10 Depth=1
	s_or_b32 exec_lo, exec_lo, s2
	v_mov_b32_e32 v117, 0
	v_mov_b32_e32 v118, 0
	s_mov_b32 s2, exec_lo
	v_cmpx_lt_u32_e32 0xffffff, v9
	s_cbranch_execz .LBB361_100
; %bb.93:                               ;   in Loop: Header=BB361_10 Depth=1
	v_cmp_ne_u32_sdwa s1, v9, v100 src0_sel:BYTE_3 src1_sel:DWORD
	v_bfrev_b32_e32 v118, 1
	s_and_saveexec_b32 s31, s1
	s_cbranch_execz .LBB361_99
; %bb.94:                               ;   in Loop: Header=BB361_10 Depth=1
	v_bfe_u32 v11, v9, 24, 7
	v_mov_b32_e32 v118, 0x7f800001
	s_mov_b32 s33, exec_lo
	v_cmpx_ne_u32_e32 0x7f, v11
	s_cbranch_execz .LBB361_98
; %bb.95:                               ;   in Loop: Header=BB361_10 Depth=1
	v_and_b32_sdwa v1, v9, v103 dst_sel:DWORD dst_unused:UNUSED_PAD src0_sel:BYTE_3 src1_sel:DWORD
	v_lshrrev_b32_e32 v0, 3, v11
	s_mov_b32 s34, exec_lo
	v_cmpx_gt_u32_e32 8, v11
; %bb.96:                               ;   in Loop: Header=BB361_10 Depth=1
	v_ffbh_u32_e32 v0, v1
	v_min_u32_e32 v0, 32, v0
	v_subrev_nc_u32_e32 v11, 28, v0
	v_sub_nc_u32_e32 v0, 29, v0
	v_lshlrev_b64 v[11:12], v11, v[1:2]
	v_and_b32_e32 v1, 7, v11
; %bb.97:                               ;   in Loop: Header=BB361_10 Depth=1
	s_or_b32 exec_lo, exec_lo, s34
	v_lshlrev_b32_sdwa v11, v104, v9 dst_sel:DWORD dst_unused:UNUSED_PAD src0_sel:DWORD src1_sel:BYTE_3
	v_lshlrev_b32_e32 v1, 20, v1
	v_lshl_add_u32 v0, v0, 23, 0x3c000000
	v_and_b32_e32 v11, 0x80000000, v11
	v_or3_b32 v118, v1, v11, v0
.LBB361_98:                             ;   in Loop: Header=BB361_10 Depth=1
	s_or_b32 exec_lo, exec_lo, s33
.LBB361_99:                             ;   in Loop: Header=BB361_10 Depth=1
	s_or_b32 exec_lo, exec_lo, s31
.LBB361_100:                            ;   in Loop: Header=BB361_10 Depth=1
	s_or_b32 exec_lo, exec_lo, s2
	v_mov_b32_e32 v1, v10
	v_cmp_ne_u16_sdwa s1, v10, v2 src0_sel:BYTE_0 src1_sel:DWORD
	s_and_saveexec_b32 s2, s1
	s_cbranch_execz .LBB361_106
; %bb.101:                              ;   in Loop: Header=BB361_10 Depth=1
	v_cmp_ne_u16_sdwa s1, v10, v100 src0_sel:BYTE_0 src1_sel:DWORD
	v_bfrev_b32_e32 v117, 1
	s_and_saveexec_b32 s31, s1
	s_cbranch_execz .LBB361_105
; %bb.102:                              ;   in Loop: Header=BB361_10 Depth=1
	v_and_b32_e32 v0, 0x7f, v10
	v_mov_b32_e32 v117, 0x7f800001
	s_mov_b32 s33, exec_lo
	v_cmpx_ne_u32_e32 0x7f, v0
	s_cbranch_execz .LBB361_104
; %bb.103:                              ;   in Loop: Header=BB361_10 Depth=1
	v_and_b32_e32 v11, 7, v10
	v_lshrrev_b32_e32 v12, 3, v0
	v_cmp_gt_u32_e64 s1, 8, v0
	v_ffbh_u32_e32 v11, v11
	v_min_u32_e32 v11, 32, v11
	v_subrev_nc_u32_e32 v13, 28, v11
	v_sub_nc_u32_e32 v11, 29, v11
	v_cndmask_b32_e64 v0, v12, v11, s1
	v_cndmask_b32_e64 v11, 0, v13, s1
	v_lshl_add_u32 v0, v0, 23, 0x3c000000
	v_lshlrev_b64 v[11:12], v11, v[1:2]
	v_lshlrev_b32_e32 v12, 24, v1
	v_lshlrev_b32_e32 v11, 20, v11
	v_and_b32_e32 v12, 0x80000000, v12
	v_and_b32_e32 v11, 0x700000, v11
	v_or3_b32 v117, v11, v12, v0
.LBB361_104:                            ;   in Loop: Header=BB361_10 Depth=1
	s_or_b32 exec_lo, exec_lo, s33
.LBB361_105:                            ;   in Loop: Header=BB361_10 Depth=1
	s_or_b32 exec_lo, exec_lo, s31
.LBB361_106:                            ;   in Loop: Header=BB361_10 Depth=1
	s_or_b32 exec_lo, exec_lo, s2
	v_cmp_ne_u16_sdwa s1, v1, v2 src0_sel:BYTE_1 src1_sel:DWORD
	v_mov_b32_e32 v119, 0
	v_mov_b32_e32 v120, 0
	s_and_saveexec_b32 s2, s1
	s_cbranch_execz .LBB361_114
; %bb.107:                              ;   in Loop: Header=BB361_10 Depth=1
	v_cmp_ne_u16_sdwa s1, v1, v100 src0_sel:BYTE_1 src1_sel:DWORD
	v_bfrev_b32_e32 v120, 1
	s_and_saveexec_b32 s31, s1
	s_cbranch_execz .LBB361_113
; %bb.108:                              ;   in Loop: Header=BB361_10 Depth=1
	v_and_b32_sdwa v0, v101, v1 dst_sel:DWORD dst_unused:UNUSED_PAD src0_sel:DWORD src1_sel:BYTE_1
	v_mov_b32_e32 v120, 0x7f800001
	s_mov_b32 s33, exec_lo
	v_and_b32_e32 v13, 0x7f, v0
	v_cmpx_ne_u32_e32 0x7f, v13
	s_cbranch_execz .LBB361_112
; %bb.109:                              ;   in Loop: Header=BB361_10 Depth=1
	v_and_b32_e32 v11, 7, v0
	v_mov_b32_e32 v12, v2
	v_lshrrev_b32_e32 v0, 3, v13
	s_mov_b32 s34, exec_lo
	v_cmpx_gt_u32_e32 8, v13
; %bb.110:                              ;   in Loop: Header=BB361_10 Depth=1
	v_ffbh_u32_e32 v0, v11
	v_min_u32_e32 v0, 32, v0
	v_subrev_nc_u32_e32 v13, 28, v0
	v_sub_nc_u32_e32 v0, 29, v0
	v_lshlrev_b64 v[11:12], v13, v[11:12]
	v_and_b32_e32 v11, 7, v11
; %bb.111:                              ;   in Loop: Header=BB361_10 Depth=1
	s_or_b32 exec_lo, exec_lo, s34
	v_lshlrev_b32_e32 v1, 16, v1
	v_lshlrev_b32_e32 v11, 20, v11
	v_lshl_add_u32 v0, v0, 23, 0x3c000000
	v_and_b32_e32 v1, 0x80000000, v1
	v_or3_b32 v120, v11, v1, v0
.LBB361_112:                            ;   in Loop: Header=BB361_10 Depth=1
	s_or_b32 exec_lo, exec_lo, s33
.LBB361_113:                            ;   in Loop: Header=BB361_10 Depth=1
	s_or_b32 exec_lo, exec_lo, s31
.LBB361_114:                            ;   in Loop: Header=BB361_10 Depth=1
	s_or_b32 exec_lo, exec_lo, s2
	v_and_b32_sdwa v0, v10, v102 dst_sel:DWORD dst_unused:UNUSED_PAD src0_sel:WORD_1 src1_sel:DWORD
	s_mov_b32 s2, exec_lo
	v_cmpx_ne_u16_e32 0, v0
	s_cbranch_execz .LBB361_122
; %bb.115:                              ;   in Loop: Header=BB361_10 Depth=1
	v_bfrev_b32_e32 v119, 1
	s_mov_b32 s31, exec_lo
	v_cmpx_ne_u16_e32 0x80, v0
	s_cbranch_execz .LBB361_121
; %bb.116:                              ;   in Loop: Header=BB361_10 Depth=1
	v_bfe_u32 v11, v10, 16, 7
	v_mov_b32_e32 v119, 0x7f800001
	s_mov_b32 s33, exec_lo
	v_cmpx_ne_u32_e32 0x7f, v11
	s_cbranch_execz .LBB361_120
; %bb.117:                              ;   in Loop: Header=BB361_10 Depth=1
	v_and_b32_sdwa v1, v10, v103 dst_sel:DWORD dst_unused:UNUSED_PAD src0_sel:WORD_1 src1_sel:DWORD
	v_lshrrev_b32_e32 v0, 3, v11
	s_mov_b32 s34, exec_lo
	v_cmpx_gt_u32_e32 8, v11
; %bb.118:                              ;   in Loop: Header=BB361_10 Depth=1
	v_ffbh_u32_e32 v0, v1
	v_min_u32_e32 v0, 32, v0
	v_subrev_nc_u32_e32 v11, 28, v0
	v_sub_nc_u32_e32 v0, 29, v0
	v_lshlrev_b64 v[11:12], v11, v[1:2]
	v_and_b32_e32 v1, 7, v11
; %bb.119:                              ;   in Loop: Header=BB361_10 Depth=1
	s_or_b32 exec_lo, exec_lo, s34
	v_lshlrev_b32_sdwa v11, v104, v10 dst_sel:DWORD dst_unused:UNUSED_PAD src0_sel:DWORD src1_sel:WORD_1
	v_lshlrev_b32_e32 v1, 20, v1
	v_lshl_add_u32 v0, v0, 23, 0x3c000000
	v_and_b32_e32 v11, 0x80000000, v11
	v_or3_b32 v119, v1, v11, v0
.LBB361_120:                            ;   in Loop: Header=BB361_10 Depth=1
	s_or_b32 exec_lo, exec_lo, s33
.LBB361_121:                            ;   in Loop: Header=BB361_10 Depth=1
	s_or_b32 exec_lo, exec_lo, s31
.LBB361_122:                            ;   in Loop: Header=BB361_10 Depth=1
	s_or_b32 exec_lo, exec_lo, s2
	v_mov_b32_e32 v122, 0
	v_mov_b32_e32 v121, 0
	s_mov_b32 s2, exec_lo
	v_cmpx_lt_u64_e64 s[4:5], v[9:10]
	s_cbranch_execz .LBB361_130
; %bb.123:                              ;   in Loop: Header=BB361_10 Depth=1
	v_cmp_ne_u32_sdwa s1, v10, v100 src0_sel:BYTE_3 src1_sel:DWORD
	v_bfrev_b32_e32 v121, 1
	s_and_saveexec_b32 s31, s1
	s_cbranch_execz .LBB361_129
; %bb.124:                              ;   in Loop: Header=BB361_10 Depth=1
	v_bfe_u32 v9, v10, 24, 7
	v_mov_b32_e32 v121, 0x7f800001
	s_mov_b32 s33, exec_lo
	v_cmpx_ne_u32_e32 0x7f, v9
	s_cbranch_execz .LBB361_128
; %bb.125:                              ;   in Loop: Header=BB361_10 Depth=1
	v_and_b32_sdwa v1, v10, v103 dst_sel:DWORD dst_unused:UNUSED_PAD src0_sel:BYTE_3 src1_sel:DWORD
	v_lshrrev_b32_e32 v0, 3, v9
	s_mov_b32 s34, exec_lo
	v_cmpx_gt_u32_e32 8, v9
; %bb.126:                              ;   in Loop: Header=BB361_10 Depth=1
	v_ffbh_u32_e32 v0, v1
	v_min_u32_e32 v0, 32, v0
	v_subrev_nc_u32_e32 v9, 28, v0
	v_sub_nc_u32_e32 v0, 29, v0
	v_lshlrev_b64 v[11:12], v9, v[1:2]
	v_and_b32_e32 v1, 7, v11
; %bb.127:                              ;   in Loop: Header=BB361_10 Depth=1
	s_or_b32 exec_lo, exec_lo, s34
	v_lshlrev_b32_sdwa v9, v104, v10 dst_sel:DWORD dst_unused:UNUSED_PAD src0_sel:DWORD src1_sel:BYTE_3
	v_lshlrev_b32_e32 v1, 20, v1
	v_lshl_add_u32 v0, v0, 23, 0x3c000000
	v_and_b32_e32 v9, 0x80000000, v9
	v_or3_b32 v121, v1, v9, v0
.LBB361_128:                            ;   in Loop: Header=BB361_10 Depth=1
	s_or_b32 exec_lo, exec_lo, s33
.LBB361_129:                            ;   in Loop: Header=BB361_10 Depth=1
	s_or_b32 exec_lo, exec_lo, s31
.LBB361_130:                            ;   in Loop: Header=BB361_10 Depth=1
	s_or_b32 exec_lo, exec_lo, s2
	global_load_dwordx2 v[9:10], v[7:8], off offset:512
	s_waitcnt vmcnt(0)
	v_cmp_ne_u16_sdwa s1, v9, v2 src0_sel:BYTE_0 src1_sel:DWORD
	s_and_saveexec_b32 s2, s1
	s_cbranch_execz .LBB361_136
; %bb.131:                              ;   in Loop: Header=BB361_10 Depth=1
	v_cmp_ne_u16_sdwa s1, v9, v100 src0_sel:BYTE_0 src1_sel:DWORD
	v_bfrev_b32_e32 v122, 1
	s_and_saveexec_b32 s31, s1
	s_cbranch_execz .LBB361_135
; %bb.132:                              ;   in Loop: Header=BB361_10 Depth=1
	v_and_b32_e32 v0, 0x7f, v9
	v_mov_b32_e32 v122, 0x7f800001
	s_mov_b32 s33, exec_lo
	v_cmpx_ne_u32_e32 0x7f, v0
	s_cbranch_execz .LBB361_134
; %bb.133:                              ;   in Loop: Header=BB361_10 Depth=1
	v_and_b32_e32 v1, 7, v9
	v_cmp_gt_u32_e64 s1, 8, v0
	v_lshrrev_b32_e32 v11, 3, v0
	v_ffbh_u32_e32 v1, v1
	v_min_u32_e32 v1, 32, v1
	v_subrev_nc_u32_e32 v12, 28, v1
	v_sub_nc_u32_e32 v1, 29, v1
	v_cndmask_b32_e64 v0, 0, v12, s1
	v_cndmask_b32_e64 v11, v11, v1, s1
	v_lshlrev_b64 v[0:1], v0, v[9:10]
	v_lshlrev_b32_e32 v1, 24, v9
	v_lshl_add_u32 v11, v11, 23, 0x3c000000
	v_lshlrev_b32_e32 v0, 20, v0
	v_and_b32_e32 v1, 0x80000000, v1
	v_and_b32_e32 v0, 0x700000, v0
	v_or3_b32 v122, v0, v1, v11
.LBB361_134:                            ;   in Loop: Header=BB361_10 Depth=1
	s_or_b32 exec_lo, exec_lo, s33
.LBB361_135:                            ;   in Loop: Header=BB361_10 Depth=1
	s_or_b32 exec_lo, exec_lo, s31
.LBB361_136:                            ;   in Loop: Header=BB361_10 Depth=1
	s_or_b32 exec_lo, exec_lo, s2
	v_cmp_ne_u16_sdwa s1, v9, v2 src0_sel:BYTE_1 src1_sel:DWORD
	v_mov_b32_e32 v124, 0
	v_mov_b32_e32 v123, 0
	s_and_saveexec_b32 s2, s1
	s_cbranch_execz .LBB361_144
; %bb.137:                              ;   in Loop: Header=BB361_10 Depth=1
	v_cmp_ne_u16_sdwa s1, v9, v100 src0_sel:BYTE_1 src1_sel:DWORD
	v_bfrev_b32_e32 v123, 1
	s_and_saveexec_b32 s31, s1
	s_cbranch_execz .LBB361_143
; %bb.138:                              ;   in Loop: Header=BB361_10 Depth=1
	v_and_b32_sdwa v0, v101, v9 dst_sel:DWORD dst_unused:UNUSED_PAD src0_sel:DWORD src1_sel:BYTE_1
	v_mov_b32_e32 v123, 0x7f800001
	s_mov_b32 s33, exec_lo
	v_and_b32_e32 v11, 0x7f, v0
	v_cmpx_ne_u32_e32 0x7f, v11
	s_cbranch_execz .LBB361_142
; %bb.139:                              ;   in Loop: Header=BB361_10 Depth=1
	v_and_b32_e32 v1, 7, v0
	v_lshrrev_b32_e32 v0, 3, v11
	s_mov_b32 s34, exec_lo
	v_cmpx_gt_u32_e32 8, v11
; %bb.140:                              ;   in Loop: Header=BB361_10 Depth=1
	v_ffbh_u32_e32 v0, v1
	v_min_u32_e32 v0, 32, v0
	v_subrev_nc_u32_e32 v11, 28, v0
	v_sub_nc_u32_e32 v0, 29, v0
	v_lshlrev_b64 v[11:12], v11, v[1:2]
	v_and_b32_e32 v1, 7, v11
; %bb.141:                              ;   in Loop: Header=BB361_10 Depth=1
	s_or_b32 exec_lo, exec_lo, s34
	v_lshlrev_b32_e32 v11, 16, v9
	v_lshlrev_b32_e32 v1, 20, v1
	v_lshl_add_u32 v0, v0, 23, 0x3c000000
	v_and_b32_e32 v11, 0x80000000, v11
	v_or3_b32 v123, v1, v11, v0
.LBB361_142:                            ;   in Loop: Header=BB361_10 Depth=1
	s_or_b32 exec_lo, exec_lo, s33
.LBB361_143:                            ;   in Loop: Header=BB361_10 Depth=1
	s_or_b32 exec_lo, exec_lo, s31
.LBB361_144:                            ;   in Loop: Header=BB361_10 Depth=1
	s_or_b32 exec_lo, exec_lo, s2
	v_and_b32_sdwa v0, v9, v102 dst_sel:DWORD dst_unused:UNUSED_PAD src0_sel:WORD_1 src1_sel:DWORD
	s_mov_b32 s2, exec_lo
	v_cmpx_ne_u16_e32 0, v0
	s_cbranch_execz .LBB361_152
; %bb.145:                              ;   in Loop: Header=BB361_10 Depth=1
	v_bfrev_b32_e32 v124, 1
	s_mov_b32 s31, exec_lo
	v_cmpx_ne_u16_e32 0x80, v0
	s_cbranch_execz .LBB361_151
; %bb.146:                              ;   in Loop: Header=BB361_10 Depth=1
	v_bfe_u32 v11, v9, 16, 7
	v_mov_b32_e32 v124, 0x7f800001
	s_mov_b32 s33, exec_lo
	v_cmpx_ne_u32_e32 0x7f, v11
	s_cbranch_execz .LBB361_150
; %bb.147:                              ;   in Loop: Header=BB361_10 Depth=1
	v_and_b32_sdwa v1, v9, v103 dst_sel:DWORD dst_unused:UNUSED_PAD src0_sel:WORD_1 src1_sel:DWORD
	v_lshrrev_b32_e32 v0, 3, v11
	s_mov_b32 s34, exec_lo
	v_cmpx_gt_u32_e32 8, v11
; %bb.148:                              ;   in Loop: Header=BB361_10 Depth=1
	v_ffbh_u32_e32 v0, v1
	v_min_u32_e32 v0, 32, v0
	v_subrev_nc_u32_e32 v11, 28, v0
	v_sub_nc_u32_e32 v0, 29, v0
	v_lshlrev_b64 v[11:12], v11, v[1:2]
	v_and_b32_e32 v1, 7, v11
; %bb.149:                              ;   in Loop: Header=BB361_10 Depth=1
	s_or_b32 exec_lo, exec_lo, s34
	v_lshlrev_b32_sdwa v11, v104, v9 dst_sel:DWORD dst_unused:UNUSED_PAD src0_sel:DWORD src1_sel:WORD_1
	v_lshlrev_b32_e32 v1, 20, v1
	v_lshl_add_u32 v0, v0, 23, 0x3c000000
	v_and_b32_e32 v11, 0x80000000, v11
	v_or3_b32 v124, v1, v11, v0
.LBB361_150:                            ;   in Loop: Header=BB361_10 Depth=1
	s_or_b32 exec_lo, exec_lo, s33
.LBB361_151:                            ;   in Loop: Header=BB361_10 Depth=1
	s_or_b32 exec_lo, exec_lo, s31
.LBB361_152:                            ;   in Loop: Header=BB361_10 Depth=1
	s_or_b32 exec_lo, exec_lo, s2
	v_mov_b32_e32 v126, 0
	v_mov_b32_e32 v125, 0
	s_mov_b32 s2, exec_lo
	v_cmpx_lt_u32_e32 0xffffff, v9
	s_cbranch_execz .LBB361_160
; %bb.153:                              ;   in Loop: Header=BB361_10 Depth=1
	v_cmp_ne_u32_sdwa s1, v9, v100 src0_sel:BYTE_3 src1_sel:DWORD
	v_bfrev_b32_e32 v125, 1
	s_and_saveexec_b32 s31, s1
	s_cbranch_execz .LBB361_159
; %bb.154:                              ;   in Loop: Header=BB361_10 Depth=1
	v_bfe_u32 v11, v9, 24, 7
	v_mov_b32_e32 v125, 0x7f800001
	s_mov_b32 s33, exec_lo
	v_cmpx_ne_u32_e32 0x7f, v11
	s_cbranch_execz .LBB361_158
; %bb.155:                              ;   in Loop: Header=BB361_10 Depth=1
	v_and_b32_sdwa v1, v9, v103 dst_sel:DWORD dst_unused:UNUSED_PAD src0_sel:BYTE_3 src1_sel:DWORD
	v_lshrrev_b32_e32 v0, 3, v11
	s_mov_b32 s34, exec_lo
	v_cmpx_gt_u32_e32 8, v11
; %bb.156:                              ;   in Loop: Header=BB361_10 Depth=1
	v_ffbh_u32_e32 v0, v1
	v_min_u32_e32 v0, 32, v0
	v_subrev_nc_u32_e32 v11, 28, v0
	v_sub_nc_u32_e32 v0, 29, v0
	v_lshlrev_b64 v[11:12], v11, v[1:2]
	v_and_b32_e32 v1, 7, v11
; %bb.157:                              ;   in Loop: Header=BB361_10 Depth=1
	s_or_b32 exec_lo, exec_lo, s34
	v_lshlrev_b32_sdwa v11, v104, v9 dst_sel:DWORD dst_unused:UNUSED_PAD src0_sel:DWORD src1_sel:BYTE_3
	v_lshlrev_b32_e32 v1, 20, v1
	v_lshl_add_u32 v0, v0, 23, 0x3c000000
	v_and_b32_e32 v11, 0x80000000, v11
	v_or3_b32 v125, v1, v11, v0
.LBB361_158:                            ;   in Loop: Header=BB361_10 Depth=1
	s_or_b32 exec_lo, exec_lo, s33
.LBB361_159:                            ;   in Loop: Header=BB361_10 Depth=1
	s_or_b32 exec_lo, exec_lo, s31
.LBB361_160:                            ;   in Loop: Header=BB361_10 Depth=1
	s_or_b32 exec_lo, exec_lo, s2
	v_mov_b32_e32 v1, v10
	v_cmp_ne_u16_sdwa s1, v10, v2 src0_sel:BYTE_0 src1_sel:DWORD
	s_and_saveexec_b32 s2, s1
	s_cbranch_execz .LBB361_166
; %bb.161:                              ;   in Loop: Header=BB361_10 Depth=1
	v_cmp_ne_u16_sdwa s1, v10, v100 src0_sel:BYTE_0 src1_sel:DWORD
	v_bfrev_b32_e32 v126, 1
	s_and_saveexec_b32 s31, s1
	s_cbranch_execz .LBB361_165
; %bb.162:                              ;   in Loop: Header=BB361_10 Depth=1
	v_and_b32_e32 v0, 0x7f, v10
	v_mov_b32_e32 v126, 0x7f800001
	s_mov_b32 s33, exec_lo
	v_cmpx_ne_u32_e32 0x7f, v0
	s_cbranch_execz .LBB361_164
; %bb.163:                              ;   in Loop: Header=BB361_10 Depth=1
	v_and_b32_e32 v11, 7, v10
	v_lshrrev_b32_e32 v12, 3, v0
	v_cmp_gt_u32_e64 s1, 8, v0
	v_ffbh_u32_e32 v0, v11
	v_min_u32_e32 v0, 32, v0
	v_subrev_nc_u32_e32 v11, 28, v0
	v_sub_nc_u32_e32 v0, 29, v0
	v_cndmask_b32_e64 v11, 0, v11, s1
	v_cndmask_b32_e64 v0, v12, v0, s1
	v_lshlrev_b64 v[11:12], v11, v[1:2]
	v_lshlrev_b32_e32 v12, 24, v1
	v_lshl_add_u32 v0, v0, 23, 0x3c000000
	v_lshlrev_b32_e32 v11, 20, v11
	v_and_b32_e32 v12, 0x80000000, v12
	v_and_b32_e32 v11, 0x700000, v11
	v_or3_b32 v126, v11, v12, v0
.LBB361_164:                            ;   in Loop: Header=BB361_10 Depth=1
	s_or_b32 exec_lo, exec_lo, s33
.LBB361_165:                            ;   in Loop: Header=BB361_10 Depth=1
	s_or_b32 exec_lo, exec_lo, s31
.LBB361_166:                            ;   in Loop: Header=BB361_10 Depth=1
	s_or_b32 exec_lo, exec_lo, s2
	v_cmp_ne_u16_sdwa s1, v1, v2 src0_sel:BYTE_1 src1_sel:DWORD
	v_mov_b32_e32 v127, 0
	v_mov_b32_e32 v13, 0
	s_and_saveexec_b32 s2, s1
	s_cbranch_execz .LBB361_174
; %bb.167:                              ;   in Loop: Header=BB361_10 Depth=1
	v_cmp_ne_u16_sdwa s1, v1, v100 src0_sel:BYTE_1 src1_sel:DWORD
	v_bfrev_b32_e32 v13, 1
	s_and_saveexec_b32 s31, s1
	s_cbranch_execz .LBB361_173
; %bb.168:                              ;   in Loop: Header=BB361_10 Depth=1
	v_and_b32_sdwa v0, v101, v1 dst_sel:DWORD dst_unused:UNUSED_PAD src0_sel:DWORD src1_sel:BYTE_1
	v_mov_b32_e32 v13, 0x7f800001
	s_mov_b32 s33, exec_lo
	v_and_b32_e32 v14, 0x7f, v0
	v_cmpx_ne_u32_e32 0x7f, v14
	s_cbranch_execz .LBB361_172
; %bb.169:                              ;   in Loop: Header=BB361_10 Depth=1
	v_and_b32_e32 v11, 7, v0
	v_mov_b32_e32 v12, v2
	v_lshrrev_b32_e32 v0, 3, v14
	s_mov_b32 s34, exec_lo
	v_cmpx_gt_u32_e32 8, v14
; %bb.170:                              ;   in Loop: Header=BB361_10 Depth=1
	v_ffbh_u32_e32 v0, v11
	v_min_u32_e32 v0, 32, v0
	v_subrev_nc_u32_e32 v13, 28, v0
	v_sub_nc_u32_e32 v0, 29, v0
	v_lshlrev_b64 v[11:12], v13, v[11:12]
	v_and_b32_e32 v11, 7, v11
; %bb.171:                              ;   in Loop: Header=BB361_10 Depth=1
	s_or_b32 exec_lo, exec_lo, s34
	v_lshlrev_b32_e32 v1, 16, v1
	v_lshlrev_b32_e32 v11, 20, v11
	v_lshl_add_u32 v0, v0, 23, 0x3c000000
	v_and_b32_e32 v1, 0x80000000, v1
	v_or3_b32 v13, v11, v1, v0
.LBB361_172:                            ;   in Loop: Header=BB361_10 Depth=1
	s_or_b32 exec_lo, exec_lo, s33
.LBB361_173:                            ;   in Loop: Header=BB361_10 Depth=1
	s_or_b32 exec_lo, exec_lo, s31
.LBB361_174:                            ;   in Loop: Header=BB361_10 Depth=1
	s_or_b32 exec_lo, exec_lo, s2
	v_and_b32_sdwa v0, v10, v102 dst_sel:DWORD dst_unused:UNUSED_PAD src0_sel:WORD_1 src1_sel:DWORD
	s_mov_b32 s2, exec_lo
	v_cmpx_ne_u16_e32 0, v0
	s_cbranch_execz .LBB361_182
; %bb.175:                              ;   in Loop: Header=BB361_10 Depth=1
	v_bfrev_b32_e32 v127, 1
	s_mov_b32 s31, exec_lo
	v_cmpx_ne_u16_e32 0x80, v0
	s_cbranch_execz .LBB361_181
; %bb.176:                              ;   in Loop: Header=BB361_10 Depth=1
	v_bfe_u32 v11, v10, 16, 7
	v_mov_b32_e32 v127, 0x7f800001
	s_mov_b32 s33, exec_lo
	v_cmpx_ne_u32_e32 0x7f, v11
	s_cbranch_execz .LBB361_180
; %bb.177:                              ;   in Loop: Header=BB361_10 Depth=1
	v_and_b32_sdwa v1, v10, v103 dst_sel:DWORD dst_unused:UNUSED_PAD src0_sel:WORD_1 src1_sel:DWORD
	v_lshrrev_b32_e32 v0, 3, v11
	s_mov_b32 s34, exec_lo
	v_cmpx_gt_u32_e32 8, v11
; %bb.178:                              ;   in Loop: Header=BB361_10 Depth=1
	v_ffbh_u32_e32 v0, v1
	v_min_u32_e32 v0, 32, v0
	v_subrev_nc_u32_e32 v11, 28, v0
	v_sub_nc_u32_e32 v0, 29, v0
	v_lshlrev_b64 v[11:12], v11, v[1:2]
	v_and_b32_e32 v1, 7, v11
; %bb.179:                              ;   in Loop: Header=BB361_10 Depth=1
	s_or_b32 exec_lo, exec_lo, s34
	v_lshlrev_b32_sdwa v11, v104, v10 dst_sel:DWORD dst_unused:UNUSED_PAD src0_sel:DWORD src1_sel:WORD_1
	v_lshlrev_b32_e32 v1, 20, v1
	v_lshl_add_u32 v0, v0, 23, 0x3c000000
	v_and_b32_e32 v11, 0x80000000, v11
	v_or3_b32 v127, v1, v11, v0
.LBB361_180:                            ;   in Loop: Header=BB361_10 Depth=1
	s_or_b32 exec_lo, exec_lo, s33
.LBB361_181:                            ;   in Loop: Header=BB361_10 Depth=1
	s_or_b32 exec_lo, exec_lo, s31
.LBB361_182:                            ;   in Loop: Header=BB361_10 Depth=1
	s_or_b32 exec_lo, exec_lo, s2
	v_mov_b32_e32 v22, 0
	v_mov_b32_e32 v14, 0
	s_mov_b32 s2, exec_lo
	v_cmpx_lt_u64_e64 s[4:5], v[9:10]
	s_cbranch_execz .LBB361_190
; %bb.183:                              ;   in Loop: Header=BB361_10 Depth=1
	v_cmp_ne_u32_sdwa s1, v10, v100 src0_sel:BYTE_3 src1_sel:DWORD
	v_bfrev_b32_e32 v14, 1
	s_and_saveexec_b32 s31, s1
	s_cbranch_execz .LBB361_189
; %bb.184:                              ;   in Loop: Header=BB361_10 Depth=1
	v_bfe_u32 v9, v10, 24, 7
	v_mov_b32_e32 v14, 0x7f800001
	s_mov_b32 s33, exec_lo
	v_cmpx_ne_u32_e32 0x7f, v9
	s_cbranch_execz .LBB361_188
; %bb.185:                              ;   in Loop: Header=BB361_10 Depth=1
	v_and_b32_sdwa v1, v10, v103 dst_sel:DWORD dst_unused:UNUSED_PAD src0_sel:BYTE_3 src1_sel:DWORD
	v_lshrrev_b32_e32 v0, 3, v9
	s_mov_b32 s34, exec_lo
	v_cmpx_gt_u32_e32 8, v9
; %bb.186:                              ;   in Loop: Header=BB361_10 Depth=1
	v_ffbh_u32_e32 v0, v1
	v_min_u32_e32 v0, 32, v0
	v_subrev_nc_u32_e32 v9, 28, v0
	v_sub_nc_u32_e32 v0, 29, v0
	v_lshlrev_b64 v[11:12], v9, v[1:2]
	v_and_b32_e32 v1, 7, v11
; %bb.187:                              ;   in Loop: Header=BB361_10 Depth=1
	s_or_b32 exec_lo, exec_lo, s34
	v_lshlrev_b32_sdwa v9, v104, v10 dst_sel:DWORD dst_unused:UNUSED_PAD src0_sel:DWORD src1_sel:BYTE_3
	v_lshlrev_b32_e32 v1, 20, v1
	v_lshl_add_u32 v0, v0, 23, 0x3c000000
	v_and_b32_e32 v9, 0x80000000, v9
	v_or3_b32 v14, v1, v9, v0
.LBB361_188:                            ;   in Loop: Header=BB361_10 Depth=1
	s_or_b32 exec_lo, exec_lo, s33
.LBB361_189:                            ;   in Loop: Header=BB361_10 Depth=1
	s_or_b32 exec_lo, exec_lo, s31
.LBB361_190:                            ;   in Loop: Header=BB361_10 Depth=1
	s_or_b32 exec_lo, exec_lo, s2
	global_load_dwordx2 v[9:10], v[7:8], off offset:520
	s_waitcnt vmcnt(0)
	v_cmp_ne_u16_sdwa s1, v9, v2 src0_sel:BYTE_0 src1_sel:DWORD
	s_and_saveexec_b32 s2, s1
	s_cbranch_execz .LBB361_196
; %bb.191:                              ;   in Loop: Header=BB361_10 Depth=1
	v_cmp_ne_u16_sdwa s1, v9, v100 src0_sel:BYTE_0 src1_sel:DWORD
	v_bfrev_b32_e32 v22, 1
	s_and_saveexec_b32 s31, s1
	s_cbranch_execz .LBB361_195
; %bb.192:                              ;   in Loop: Header=BB361_10 Depth=1
	v_and_b32_e32 v0, 0x7f, v9
	v_mov_b32_e32 v22, 0x7f800001
	s_mov_b32 s33, exec_lo
	v_cmpx_ne_u32_e32 0x7f, v0
	s_cbranch_execz .LBB361_194
; %bb.193:                              ;   in Loop: Header=BB361_10 Depth=1
	v_and_b32_e32 v1, 7, v9
	v_lshrrev_b32_e32 v11, 3, v0
	v_cmp_gt_u32_e64 s1, 8, v0
	v_ffbh_u32_e32 v0, v1
	v_min_u32_e32 v0, 32, v0
	v_subrev_nc_u32_e32 v1, 28, v0
	v_sub_nc_u32_e32 v0, 29, v0
	v_cndmask_b32_e64 v11, v11, v0, s1
	v_cndmask_b32_e64 v0, 0, v1, s1
	v_lshl_add_u32 v11, v11, 23, 0x3c000000
	v_lshlrev_b64 v[0:1], v0, v[9:10]
	v_lshlrev_b32_e32 v1, 24, v9
	v_lshlrev_b32_e32 v0, 20, v0
	v_and_b32_e32 v1, 0x80000000, v1
	v_and_b32_e32 v0, 0x700000, v0
	v_or3_b32 v22, v0, v1, v11
.LBB361_194:                            ;   in Loop: Header=BB361_10 Depth=1
	s_or_b32 exec_lo, exec_lo, s33
.LBB361_195:                            ;   in Loop: Header=BB361_10 Depth=1
	s_or_b32 exec_lo, exec_lo, s31
.LBB361_196:                            ;   in Loop: Header=BB361_10 Depth=1
	s_or_b32 exec_lo, exec_lo, s2
	v_cmp_ne_u16_sdwa s1, v9, v2 src0_sel:BYTE_1 src1_sel:DWORD
	v_mov_b32_e32 v15, 0
	v_mov_b32_e32 v21, 0
	s_and_saveexec_b32 s2, s1
	s_cbranch_execz .LBB361_204
; %bb.197:                              ;   in Loop: Header=BB361_10 Depth=1
	v_cmp_ne_u16_sdwa s1, v9, v100 src0_sel:BYTE_1 src1_sel:DWORD
	v_bfrev_b32_e32 v21, 1
	s_and_saveexec_b32 s31, s1
	s_cbranch_execz .LBB361_203
; %bb.198:                              ;   in Loop: Header=BB361_10 Depth=1
	v_and_b32_sdwa v0, v101, v9 dst_sel:DWORD dst_unused:UNUSED_PAD src0_sel:DWORD src1_sel:BYTE_1
	v_mov_b32_e32 v21, 0x7f800001
	s_mov_b32 s33, exec_lo
	v_and_b32_e32 v11, 0x7f, v0
	v_cmpx_ne_u32_e32 0x7f, v11
	s_cbranch_execz .LBB361_202
; %bb.199:                              ;   in Loop: Header=BB361_10 Depth=1
	v_and_b32_e32 v1, 7, v0
	v_lshrrev_b32_e32 v0, 3, v11
	s_mov_b32 s34, exec_lo
	v_cmpx_gt_u32_e32 8, v11
; %bb.200:                              ;   in Loop: Header=BB361_10 Depth=1
	v_ffbh_u32_e32 v0, v1
	v_min_u32_e32 v0, 32, v0
	v_subrev_nc_u32_e32 v11, 28, v0
	v_sub_nc_u32_e32 v0, 29, v0
	v_lshlrev_b64 v[11:12], v11, v[1:2]
	v_and_b32_e32 v1, 7, v11
; %bb.201:                              ;   in Loop: Header=BB361_10 Depth=1
	s_or_b32 exec_lo, exec_lo, s34
	v_lshlrev_b32_e32 v11, 16, v9
	v_lshlrev_b32_e32 v1, 20, v1
	v_lshl_add_u32 v0, v0, 23, 0x3c000000
	v_and_b32_e32 v11, 0x80000000, v11
	v_or3_b32 v21, v1, v11, v0
.LBB361_202:                            ;   in Loop: Header=BB361_10 Depth=1
	s_or_b32 exec_lo, exec_lo, s33
.LBB361_203:                            ;   in Loop: Header=BB361_10 Depth=1
	s_or_b32 exec_lo, exec_lo, s31
.LBB361_204:                            ;   in Loop: Header=BB361_10 Depth=1
	s_or_b32 exec_lo, exec_lo, s2
	v_and_b32_sdwa v0, v9, v102 dst_sel:DWORD dst_unused:UNUSED_PAD src0_sel:WORD_1 src1_sel:DWORD
	s_mov_b32 s2, exec_lo
	v_cmpx_ne_u16_e32 0, v0
	s_cbranch_execz .LBB361_212
; %bb.205:                              ;   in Loop: Header=BB361_10 Depth=1
	v_bfrev_b32_e32 v15, 1
	s_mov_b32 s31, exec_lo
	v_cmpx_ne_u16_e32 0x80, v0
	s_cbranch_execz .LBB361_211
; %bb.206:                              ;   in Loop: Header=BB361_10 Depth=1
	v_bfe_u32 v11, v9, 16, 7
	v_mov_b32_e32 v15, 0x7f800001
	s_mov_b32 s33, exec_lo
	v_cmpx_ne_u32_e32 0x7f, v11
	s_cbranch_execz .LBB361_210
; %bb.207:                              ;   in Loop: Header=BB361_10 Depth=1
	v_and_b32_sdwa v1, v9, v103 dst_sel:DWORD dst_unused:UNUSED_PAD src0_sel:WORD_1 src1_sel:DWORD
	v_lshrrev_b32_e32 v0, 3, v11
	s_mov_b32 s34, exec_lo
	v_cmpx_gt_u32_e32 8, v11
; %bb.208:                              ;   in Loop: Header=BB361_10 Depth=1
	v_ffbh_u32_e32 v0, v1
	v_min_u32_e32 v0, 32, v0
	v_subrev_nc_u32_e32 v11, 28, v0
	v_sub_nc_u32_e32 v0, 29, v0
	v_lshlrev_b64 v[11:12], v11, v[1:2]
	v_and_b32_e32 v1, 7, v11
; %bb.209:                              ;   in Loop: Header=BB361_10 Depth=1
	s_or_b32 exec_lo, exec_lo, s34
	v_lshlrev_b32_sdwa v11, v104, v9 dst_sel:DWORD dst_unused:UNUSED_PAD src0_sel:DWORD src1_sel:WORD_1
	v_lshlrev_b32_e32 v1, 20, v1
	v_lshl_add_u32 v0, v0, 23, 0x3c000000
	v_and_b32_e32 v11, 0x80000000, v11
	v_or3_b32 v15, v1, v11, v0
.LBB361_210:                            ;   in Loop: Header=BB361_10 Depth=1
	s_or_b32 exec_lo, exec_lo, s33
.LBB361_211:                            ;   in Loop: Header=BB361_10 Depth=1
	s_or_b32 exec_lo, exec_lo, s31
.LBB361_212:                            ;   in Loop: Header=BB361_10 Depth=1
	s_or_b32 exec_lo, exec_lo, s2
	v_mov_b32_e32 v16, 0
	v_mov_b32_e32 v0, 0
	s_mov_b32 s2, exec_lo
	v_cmpx_lt_u32_e32 0xffffff, v9
	s_cbranch_execz .LBB361_220
; %bb.213:                              ;   in Loop: Header=BB361_10 Depth=1
	v_cmp_ne_u32_sdwa s1, v9, v100 src0_sel:BYTE_3 src1_sel:DWORD
	v_bfrev_b32_e32 v0, 1
	s_and_saveexec_b32 s31, s1
	s_cbranch_execz .LBB361_219
; %bb.214:                              ;   in Loop: Header=BB361_10 Depth=1
	v_bfe_u32 v11, v9, 24, 7
	v_mov_b32_e32 v0, 0x7f800001
	s_mov_b32 s33, exec_lo
	v_cmpx_ne_u32_e32 0x7f, v11
	s_cbranch_execz .LBB361_218
; %bb.215:                              ;   in Loop: Header=BB361_10 Depth=1
	v_and_b32_sdwa v1, v9, v103 dst_sel:DWORD dst_unused:UNUSED_PAD src0_sel:BYTE_3 src1_sel:DWORD
	v_lshrrev_b32_e32 v0, 3, v11
	s_mov_b32 s34, exec_lo
	v_cmpx_gt_u32_e32 8, v11
; %bb.216:                              ;   in Loop: Header=BB361_10 Depth=1
	v_ffbh_u32_e32 v0, v1
	v_min_u32_e32 v0, 32, v0
	v_subrev_nc_u32_e32 v11, 28, v0
	v_sub_nc_u32_e32 v0, 29, v0
	v_lshlrev_b64 v[11:12], v11, v[1:2]
	v_and_b32_e32 v1, 7, v11
; %bb.217:                              ;   in Loop: Header=BB361_10 Depth=1
	s_or_b32 exec_lo, exec_lo, s34
	v_lshlrev_b32_sdwa v11, v104, v9 dst_sel:DWORD dst_unused:UNUSED_PAD src0_sel:DWORD src1_sel:BYTE_3
	v_lshlrev_b32_e32 v1, 20, v1
	v_lshl_add_u32 v0, v0, 23, 0x3c000000
	v_and_b32_e32 v11, 0x80000000, v11
	v_or3_b32 v0, v1, v11, v0
.LBB361_218:                            ;   in Loop: Header=BB361_10 Depth=1
	s_or_b32 exec_lo, exec_lo, s33
.LBB361_219:                            ;   in Loop: Header=BB361_10 Depth=1
	s_or_b32 exec_lo, exec_lo, s31
.LBB361_220:                            ;   in Loop: Header=BB361_10 Depth=1
	s_or_b32 exec_lo, exec_lo, s2
	v_mov_b32_e32 v1, v10
	v_cmp_ne_u16_sdwa s1, v10, v2 src0_sel:BYTE_0 src1_sel:DWORD
	s_and_saveexec_b32 s2, s1
	s_cbranch_execz .LBB361_226
; %bb.221:                              ;   in Loop: Header=BB361_10 Depth=1
	v_cmp_ne_u16_sdwa s1, v10, v100 src0_sel:BYTE_0 src1_sel:DWORD
	v_bfrev_b32_e32 v16, 1
	s_and_saveexec_b32 s31, s1
	s_cbranch_execz .LBB361_225
; %bb.222:                              ;   in Loop: Header=BB361_10 Depth=1
	v_and_b32_e32 v11, 0x7f, v10
	v_mov_b32_e32 v16, 0x7f800001
	s_mov_b32 s33, exec_lo
	v_cmpx_ne_u32_e32 0x7f, v11
	s_cbranch_execz .LBB361_224
; %bb.223:                              ;   in Loop: Header=BB361_10 Depth=1
	v_and_b32_e32 v12, 7, v10
	v_lshrrev_b32_e32 v16, 3, v11
	v_cmp_gt_u32_e64 s1, 8, v11
	v_ffbh_u32_e32 v11, v12
	v_min_u32_e32 v11, 32, v11
	v_subrev_nc_u32_e32 v12, 28, v11
	v_sub_nc_u32_e32 v11, 29, v11
	v_cndmask_b32_e64 v16, v16, v11, s1
	v_cndmask_b32_e64 v11, 0, v12, s1
	v_lshl_add_u32 v16, v16, 23, 0x3c000000
	v_lshlrev_b64 v[11:12], v11, v[1:2]
	v_lshlrev_b32_e32 v12, 24, v1
	v_lshlrev_b32_e32 v11, 20, v11
	v_and_b32_e32 v12, 0x80000000, v12
	v_and_b32_e32 v11, 0x700000, v11
	v_or3_b32 v16, v11, v12, v16
.LBB361_224:                            ;   in Loop: Header=BB361_10 Depth=1
	s_or_b32 exec_lo, exec_lo, s33
.LBB361_225:                            ;   in Loop: Header=BB361_10 Depth=1
	s_or_b32 exec_lo, exec_lo, s31
.LBB361_226:                            ;   in Loop: Header=BB361_10 Depth=1
	s_or_b32 exec_lo, exec_lo, s2
	v_cmp_ne_u16_sdwa s1, v1, v2 src0_sel:BYTE_1 src1_sel:DWORD
	v_mov_b32_e32 v17, 0
	v_mov_b32_e32 v18, 0
	s_and_saveexec_b32 s2, s1
	s_cbranch_execz .LBB361_234
; %bb.227:                              ;   in Loop: Header=BB361_10 Depth=1
	v_cmp_ne_u16_sdwa s1, v1, v100 src0_sel:BYTE_1 src1_sel:DWORD
	v_bfrev_b32_e32 v18, 1
	s_and_saveexec_b32 s31, s1
	s_cbranch_execz .LBB361_233
; %bb.228:                              ;   in Loop: Header=BB361_10 Depth=1
	v_and_b32_sdwa v11, v101, v1 dst_sel:DWORD dst_unused:UNUSED_PAD src0_sel:DWORD src1_sel:BYTE_1
	v_mov_b32_e32 v18, 0x7f800001
	s_mov_b32 s33, exec_lo
	v_and_b32_e32 v19, 0x7f, v11
	v_cmpx_ne_u32_e32 0x7f, v19
	s_cbranch_execz .LBB361_232
; %bb.229:                              ;   in Loop: Header=BB361_10 Depth=1
	v_and_b32_e32 v11, 7, v11
	v_mov_b32_e32 v12, v2
	v_lshrrev_b32_e32 v18, 3, v19
	s_mov_b32 s34, exec_lo
	v_cmpx_gt_u32_e32 8, v19
; %bb.230:                              ;   in Loop: Header=BB361_10 Depth=1
	v_ffbh_u32_e32 v18, v11
	v_min_u32_e32 v18, 32, v18
	v_subrev_nc_u32_e32 v19, 28, v18
	v_sub_nc_u32_e32 v18, 29, v18
	v_lshlrev_b64 v[11:12], v19, v[11:12]
	v_and_b32_e32 v11, 7, v11
; %bb.231:                              ;   in Loop: Header=BB361_10 Depth=1
	s_or_b32 exec_lo, exec_lo, s34
	v_lshlrev_b32_e32 v1, 16, v1
	v_lshlrev_b32_e32 v11, 20, v11
	v_lshl_add_u32 v12, v18, 23, 0x3c000000
	v_and_b32_e32 v1, 0x80000000, v1
	v_or3_b32 v18, v11, v1, v12
.LBB361_232:                            ;   in Loop: Header=BB361_10 Depth=1
	s_or_b32 exec_lo, exec_lo, s33
.LBB361_233:                            ;   in Loop: Header=BB361_10 Depth=1
	s_or_b32 exec_lo, exec_lo, s31
.LBB361_234:                            ;   in Loop: Header=BB361_10 Depth=1
	s_or_b32 exec_lo, exec_lo, s2
	v_and_b32_sdwa v1, v10, v102 dst_sel:DWORD dst_unused:UNUSED_PAD src0_sel:WORD_1 src1_sel:DWORD
	s_mov_b32 s2, exec_lo
	v_cmpx_ne_u16_e32 0, v1
	s_cbranch_execz .LBB361_242
; %bb.235:                              ;   in Loop: Header=BB361_10 Depth=1
	v_bfrev_b32_e32 v17, 1
	s_mov_b32 s31, exec_lo
	v_cmpx_ne_u16_e32 0x80, v1
	s_cbranch_execz .LBB361_241
; %bb.236:                              ;   in Loop: Header=BB361_10 Depth=1
	v_bfe_u32 v12, v10, 16, 7
	v_mov_b32_e32 v17, 0x7f800001
	s_mov_b32 s33, exec_lo
	v_cmpx_ne_u32_e32 0x7f, v12
	s_cbranch_execz .LBB361_240
; %bb.237:                              ;   in Loop: Header=BB361_10 Depth=1
	v_and_b32_sdwa v1, v10, v103 dst_sel:DWORD dst_unused:UNUSED_PAD src0_sel:WORD_1 src1_sel:DWORD
	v_lshrrev_b32_e32 v11, 3, v12
	s_mov_b32 s34, exec_lo
	v_cmpx_gt_u32_e32 8, v12
; %bb.238:                              ;   in Loop: Header=BB361_10 Depth=1
	v_ffbh_u32_e32 v11, v1
	v_min_u32_e32 v11, 32, v11
	v_subrev_nc_u32_e32 v12, 28, v11
	v_sub_nc_u32_e32 v11, 29, v11
	v_lshlrev_b64 v[19:20], v12, v[1:2]
	v_and_b32_e32 v1, 7, v19
; %bb.239:                              ;   in Loop: Header=BB361_10 Depth=1
	s_or_b32 exec_lo, exec_lo, s34
	v_lshlrev_b32_sdwa v12, v104, v10 dst_sel:DWORD dst_unused:UNUSED_PAD src0_sel:DWORD src1_sel:WORD_1
	v_lshlrev_b32_e32 v1, 20, v1
	v_lshl_add_u32 v11, v11, 23, 0x3c000000
	v_and_b32_e32 v12, 0x80000000, v12
	v_or3_b32 v17, v1, v12, v11
.LBB361_240:                            ;   in Loop: Header=BB361_10 Depth=1
	s_or_b32 exec_lo, exec_lo, s33
.LBB361_241:                            ;   in Loop: Header=BB361_10 Depth=1
	s_or_b32 exec_lo, exec_lo, s31
.LBB361_242:                            ;   in Loop: Header=BB361_10 Depth=1
	s_or_b32 exec_lo, exec_lo, s2
	v_mov_b32_e32 v20, 0
	v_mov_b32_e32 v19, 0
	s_mov_b32 s2, exec_lo
	v_cmpx_lt_u64_e64 s[4:5], v[9:10]
	s_cbranch_execz .LBB361_250
; %bb.243:                              ;   in Loop: Header=BB361_10 Depth=1
	v_cmp_ne_u32_sdwa s1, v10, v100 src0_sel:BYTE_3 src1_sel:DWORD
	v_bfrev_b32_e32 v19, 1
	s_and_saveexec_b32 s31, s1
	s_cbranch_execz .LBB361_249
; %bb.244:                              ;   in Loop: Header=BB361_10 Depth=1
	v_bfe_u32 v11, v10, 24, 7
	v_mov_b32_e32 v19, 0x7f800001
	s_mov_b32 s33, exec_lo
	v_cmpx_ne_u32_e32 0x7f, v11
	s_cbranch_execz .LBB361_248
; %bb.245:                              ;   in Loop: Header=BB361_10 Depth=1
	v_and_b32_sdwa v1, v10, v103 dst_sel:DWORD dst_unused:UNUSED_PAD src0_sel:BYTE_3 src1_sel:DWORD
	v_lshrrev_b32_e32 v9, 3, v11
	s_mov_b32 s34, exec_lo
	v_cmpx_gt_u32_e32 8, v11
; %bb.246:                              ;   in Loop: Header=BB361_10 Depth=1
	v_ffbh_u32_e32 v9, v1
	v_min_u32_e32 v9, 32, v9
	v_subrev_nc_u32_e32 v11, 28, v9
	v_sub_nc_u32_e32 v9, 29, v9
	v_lshlrev_b64 v[11:12], v11, v[1:2]
	v_and_b32_e32 v1, 7, v11
; %bb.247:                              ;   in Loop: Header=BB361_10 Depth=1
	s_or_b32 exec_lo, exec_lo, s34
	v_lshlrev_b32_sdwa v10, v104, v10 dst_sel:DWORD dst_unused:UNUSED_PAD src0_sel:DWORD src1_sel:BYTE_3
	v_lshlrev_b32_e32 v1, 20, v1
	v_lshl_add_u32 v9, v9, 23, 0x3c000000
	v_and_b32_e32 v10, 0x80000000, v10
	v_or3_b32 v19, v1, v10, v9
.LBB361_248:                            ;   in Loop: Header=BB361_10 Depth=1
	s_or_b32 exec_lo, exec_lo, s33
.LBB361_249:                            ;   in Loop: Header=BB361_10 Depth=1
	s_or_b32 exec_lo, exec_lo, s31
.LBB361_250:                            ;   in Loop: Header=BB361_10 Depth=1
	s_or_b32 exec_lo, exec_lo, s2
	global_load_dwordx2 v[9:10], v[7:8], off offset:1024
	s_waitcnt vmcnt(0)
	v_cmp_ne_u16_sdwa s1, v9, v2 src0_sel:BYTE_0 src1_sel:DWORD
	s_and_saveexec_b32 s2, s1
	s_cbranch_execz .LBB361_256
; %bb.251:                              ;   in Loop: Header=BB361_10 Depth=1
	v_cmp_ne_u16_sdwa s1, v9, v100 src0_sel:BYTE_0 src1_sel:DWORD
	v_bfrev_b32_e32 v20, 1
	s_and_saveexec_b32 s31, s1
	s_cbranch_execz .LBB361_255
; %bb.252:                              ;   in Loop: Header=BB361_10 Depth=1
	v_and_b32_e32 v1, 0x7f, v9
	v_mov_b32_e32 v20, 0x7f800001
	s_mov_b32 s33, exec_lo
	v_cmpx_ne_u32_e32 0x7f, v1
	s_cbranch_execz .LBB361_254
; %bb.253:                              ;   in Loop: Header=BB361_10 Depth=1
	v_and_b32_e32 v11, 7, v9
	v_lshrrev_b32_e32 v12, 3, v1
	v_cmp_gt_u32_e64 s1, 8, v1
	v_ffbh_u32_e32 v1, v11
	v_min_u32_e32 v1, 32, v1
	v_subrev_nc_u32_e32 v11, 28, v1
	v_sub_nc_u32_e32 v1, 29, v1
	v_cndmask_b32_e64 v11, 0, v11, s1
	v_cndmask_b32_e64 v1, v12, v1, s1
	v_lshlrev_b64 v[11:12], v11, v[9:10]
	v_lshlrev_b32_e32 v12, 24, v9
	v_lshl_add_u32 v1, v1, 23, 0x3c000000
	v_lshlrev_b32_e32 v11, 20, v11
	v_and_b32_e32 v12, 0x80000000, v12
	v_and_b32_e32 v11, 0x700000, v11
	v_or3_b32 v20, v11, v12, v1
.LBB361_254:                            ;   in Loop: Header=BB361_10 Depth=1
	s_or_b32 exec_lo, exec_lo, s33
.LBB361_255:                            ;   in Loop: Header=BB361_10 Depth=1
	s_or_b32 exec_lo, exec_lo, s31
.LBB361_256:                            ;   in Loop: Header=BB361_10 Depth=1
	s_or_b32 exec_lo, exec_lo, s2
	v_cmp_ne_u16_sdwa s1, v9, v2 src0_sel:BYTE_1 src1_sel:DWORD
	v_mov_b32_e32 v24, 0
	v_mov_b32_e32 v23, 0
	s_and_saveexec_b32 s2, s1
	s_cbranch_execz .LBB361_264
; %bb.257:                              ;   in Loop: Header=BB361_10 Depth=1
	v_cmp_ne_u16_sdwa s1, v9, v100 src0_sel:BYTE_1 src1_sel:DWORD
	v_bfrev_b32_e32 v23, 1
	s_and_saveexec_b32 s31, s1
	s_cbranch_execz .LBB361_263
; %bb.258:                              ;   in Loop: Header=BB361_10 Depth=1
	v_and_b32_sdwa v1, v101, v9 dst_sel:DWORD dst_unused:UNUSED_PAD src0_sel:DWORD src1_sel:BYTE_1
	v_mov_b32_e32 v23, 0x7f800001
	s_mov_b32 s33, exec_lo
	v_and_b32_e32 v12, 0x7f, v1
	v_cmpx_ne_u32_e32 0x7f, v12
	s_cbranch_execz .LBB361_262
; %bb.259:                              ;   in Loop: Header=BB361_10 Depth=1
	v_and_b32_e32 v1, 7, v1
	v_lshrrev_b32_e32 v11, 3, v12
	s_mov_b32 s34, exec_lo
	v_cmpx_gt_u32_e32 8, v12
; %bb.260:                              ;   in Loop: Header=BB361_10 Depth=1
	v_ffbh_u32_e32 v11, v1
	v_min_u32_e32 v11, 32, v11
	v_subrev_nc_u32_e32 v12, 28, v11
	v_sub_nc_u32_e32 v11, 29, v11
	v_lshlrev_b64 v[25:26], v12, v[1:2]
	v_and_b32_e32 v1, 7, v25
; %bb.261:                              ;   in Loop: Header=BB361_10 Depth=1
	s_or_b32 exec_lo, exec_lo, s34
	v_lshlrev_b32_e32 v12, 16, v9
	v_lshlrev_b32_e32 v1, 20, v1
	v_lshl_add_u32 v11, v11, 23, 0x3c000000
	v_and_b32_e32 v12, 0x80000000, v12
	v_or3_b32 v23, v1, v12, v11
.LBB361_262:                            ;   in Loop: Header=BB361_10 Depth=1
	s_or_b32 exec_lo, exec_lo, s33
.LBB361_263:                            ;   in Loop: Header=BB361_10 Depth=1
	s_or_b32 exec_lo, exec_lo, s31
.LBB361_264:                            ;   in Loop: Header=BB361_10 Depth=1
	s_or_b32 exec_lo, exec_lo, s2
	v_and_b32_sdwa v1, v9, v102 dst_sel:DWORD dst_unused:UNUSED_PAD src0_sel:WORD_1 src1_sel:DWORD
	s_mov_b32 s2, exec_lo
	v_cmpx_ne_u16_e32 0, v1
	s_cbranch_execz .LBB361_272
; %bb.265:                              ;   in Loop: Header=BB361_10 Depth=1
	v_bfrev_b32_e32 v24, 1
	s_mov_b32 s31, exec_lo
	v_cmpx_ne_u16_e32 0x80, v1
	s_cbranch_execz .LBB361_271
; %bb.266:                              ;   in Loop: Header=BB361_10 Depth=1
	v_bfe_u32 v12, v9, 16, 7
	v_mov_b32_e32 v24, 0x7f800001
	s_mov_b32 s33, exec_lo
	v_cmpx_ne_u32_e32 0x7f, v12
	s_cbranch_execz .LBB361_270
; %bb.267:                              ;   in Loop: Header=BB361_10 Depth=1
	v_and_b32_sdwa v1, v9, v103 dst_sel:DWORD dst_unused:UNUSED_PAD src0_sel:WORD_1 src1_sel:DWORD
	v_lshrrev_b32_e32 v11, 3, v12
	s_mov_b32 s34, exec_lo
	v_cmpx_gt_u32_e32 8, v12
; %bb.268:                              ;   in Loop: Header=BB361_10 Depth=1
	v_ffbh_u32_e32 v11, v1
	v_min_u32_e32 v11, 32, v11
	v_subrev_nc_u32_e32 v12, 28, v11
	v_sub_nc_u32_e32 v11, 29, v11
	v_lshlrev_b64 v[24:25], v12, v[1:2]
	v_and_b32_e32 v1, 7, v24
; %bb.269:                              ;   in Loop: Header=BB361_10 Depth=1
	s_or_b32 exec_lo, exec_lo, s34
	v_lshlrev_b32_sdwa v12, v104, v9 dst_sel:DWORD dst_unused:UNUSED_PAD src0_sel:DWORD src1_sel:WORD_1
	v_lshlrev_b32_e32 v1, 20, v1
	v_lshl_add_u32 v11, v11, 23, 0x3c000000
	v_and_b32_e32 v12, 0x80000000, v12
	v_or3_b32 v24, v1, v12, v11
.LBB361_270:                            ;   in Loop: Header=BB361_10 Depth=1
	s_or_b32 exec_lo, exec_lo, s33
.LBB361_271:                            ;   in Loop: Header=BB361_10 Depth=1
	s_or_b32 exec_lo, exec_lo, s31
.LBB361_272:                            ;   in Loop: Header=BB361_10 Depth=1
	s_or_b32 exec_lo, exec_lo, s2
	v_mov_b32_e32 v26, 0
	v_mov_b32_e32 v25, 0
	s_mov_b32 s2, exec_lo
	v_cmpx_lt_u32_e32 0xffffff, v9
	s_cbranch_execz .LBB361_280
; %bb.273:                              ;   in Loop: Header=BB361_10 Depth=1
	v_cmp_ne_u32_sdwa s1, v9, v100 src0_sel:BYTE_3 src1_sel:DWORD
	v_bfrev_b32_e32 v25, 1
	s_and_saveexec_b32 s31, s1
	s_cbranch_execz .LBB361_279
; %bb.274:                              ;   in Loop: Header=BB361_10 Depth=1
	v_bfe_u32 v12, v9, 24, 7
	v_mov_b32_e32 v25, 0x7f800001
	s_mov_b32 s33, exec_lo
	v_cmpx_ne_u32_e32 0x7f, v12
	s_cbranch_execz .LBB361_278
; %bb.275:                              ;   in Loop: Header=BB361_10 Depth=1
	v_and_b32_sdwa v1, v9, v103 dst_sel:DWORD dst_unused:UNUSED_PAD src0_sel:BYTE_3 src1_sel:DWORD
	v_lshrrev_b32_e32 v11, 3, v12
	s_mov_b32 s34, exec_lo
	v_cmpx_gt_u32_e32 8, v12
; %bb.276:                              ;   in Loop: Header=BB361_10 Depth=1
	v_ffbh_u32_e32 v11, v1
	v_min_u32_e32 v11, 32, v11
	v_subrev_nc_u32_e32 v12, 28, v11
	v_sub_nc_u32_e32 v11, 29, v11
	v_lshlrev_b64 v[27:28], v12, v[1:2]
	v_and_b32_e32 v1, 7, v27
; %bb.277:                              ;   in Loop: Header=BB361_10 Depth=1
	s_or_b32 exec_lo, exec_lo, s34
	v_lshlrev_b32_sdwa v12, v104, v9 dst_sel:DWORD dst_unused:UNUSED_PAD src0_sel:DWORD src1_sel:BYTE_3
	v_lshlrev_b32_e32 v1, 20, v1
	v_lshl_add_u32 v11, v11, 23, 0x3c000000
	v_and_b32_e32 v12, 0x80000000, v12
	v_or3_b32 v25, v1, v12, v11
.LBB361_278:                            ;   in Loop: Header=BB361_10 Depth=1
	s_or_b32 exec_lo, exec_lo, s33
.LBB361_279:                            ;   in Loop: Header=BB361_10 Depth=1
	s_or_b32 exec_lo, exec_lo, s31
.LBB361_280:                            ;   in Loop: Header=BB361_10 Depth=1
	s_or_b32 exec_lo, exec_lo, s2
	v_mov_b32_e32 v1, v10
	v_cmp_ne_u16_sdwa s1, v10, v2 src0_sel:BYTE_0 src1_sel:DWORD
	s_and_saveexec_b32 s2, s1
	s_cbranch_execz .LBB361_286
; %bb.281:                              ;   in Loop: Header=BB361_10 Depth=1
	v_cmp_ne_u16_sdwa s1, v10, v100 src0_sel:BYTE_0 src1_sel:DWORD
	v_bfrev_b32_e32 v26, 1
	s_and_saveexec_b32 s31, s1
	s_cbranch_execz .LBB361_285
; %bb.282:                              ;   in Loop: Header=BB361_10 Depth=1
	v_and_b32_e32 v11, 0x7f, v10
	v_mov_b32_e32 v26, 0x7f800001
	s_mov_b32 s33, exec_lo
	v_cmpx_ne_u32_e32 0x7f, v11
	s_cbranch_execz .LBB361_284
; %bb.283:                              ;   in Loop: Header=BB361_10 Depth=1
	v_and_b32_e32 v12, 7, v10
	v_lshrrev_b32_e32 v26, 3, v11
	v_cmp_gt_u32_e64 s1, 8, v11
	v_ffbh_u32_e32 v11, v12
	v_min_u32_e32 v11, 32, v11
	v_subrev_nc_u32_e32 v12, 28, v11
	v_sub_nc_u32_e32 v11, 29, v11
	v_cndmask_b32_e64 v26, v26, v11, s1
	v_cndmask_b32_e64 v11, 0, v12, s1
	v_lshl_add_u32 v26, v26, 23, 0x3c000000
	v_lshlrev_b64 v[11:12], v11, v[1:2]
	v_lshlrev_b32_e32 v12, 24, v1
	v_lshlrev_b32_e32 v11, 20, v11
	v_and_b32_e32 v12, 0x80000000, v12
	v_and_b32_e32 v11, 0x700000, v11
	v_or3_b32 v26, v11, v12, v26
.LBB361_284:                            ;   in Loop: Header=BB361_10 Depth=1
	s_or_b32 exec_lo, exec_lo, s33
.LBB361_285:                            ;   in Loop: Header=BB361_10 Depth=1
	s_or_b32 exec_lo, exec_lo, s31
.LBB361_286:                            ;   in Loop: Header=BB361_10 Depth=1
	s_or_b32 exec_lo, exec_lo, s2
	v_cmp_ne_u16_sdwa s1, v1, v2 src0_sel:BYTE_1 src1_sel:DWORD
	v_mov_b32_e32 v27, 0
	v_mov_b32_e32 v28, 0
	s_and_saveexec_b32 s2, s1
	s_cbranch_execz .LBB361_294
; %bb.287:                              ;   in Loop: Header=BB361_10 Depth=1
	v_cmp_ne_u16_sdwa s1, v1, v100 src0_sel:BYTE_1 src1_sel:DWORD
	v_bfrev_b32_e32 v28, 1
	s_and_saveexec_b32 s31, s1
	s_cbranch_execz .LBB361_293
; %bb.288:                              ;   in Loop: Header=BB361_10 Depth=1
	v_and_b32_sdwa v11, v101, v1 dst_sel:DWORD dst_unused:UNUSED_PAD src0_sel:DWORD src1_sel:BYTE_1
	v_mov_b32_e32 v28, 0x7f800001
	s_mov_b32 s33, exec_lo
	v_and_b32_e32 v29, 0x7f, v11
	v_cmpx_ne_u32_e32 0x7f, v29
	s_cbranch_execz .LBB361_292
; %bb.289:                              ;   in Loop: Header=BB361_10 Depth=1
	v_and_b32_e32 v11, 7, v11
	v_mov_b32_e32 v12, v2
	v_lshrrev_b32_e32 v28, 3, v29
	s_mov_b32 s34, exec_lo
	v_cmpx_gt_u32_e32 8, v29
; %bb.290:                              ;   in Loop: Header=BB361_10 Depth=1
	v_ffbh_u32_e32 v28, v11
	v_min_u32_e32 v28, 32, v28
	v_subrev_nc_u32_e32 v29, 28, v28
	v_sub_nc_u32_e32 v28, 29, v28
	v_lshlrev_b64 v[11:12], v29, v[11:12]
	v_and_b32_e32 v11, 7, v11
; %bb.291:                              ;   in Loop: Header=BB361_10 Depth=1
	s_or_b32 exec_lo, exec_lo, s34
	v_lshlrev_b32_e32 v1, 16, v1
	v_lshlrev_b32_e32 v11, 20, v11
	v_lshl_add_u32 v12, v28, 23, 0x3c000000
	v_and_b32_e32 v1, 0x80000000, v1
	v_or3_b32 v28, v11, v1, v12
.LBB361_292:                            ;   in Loop: Header=BB361_10 Depth=1
	s_or_b32 exec_lo, exec_lo, s33
.LBB361_293:                            ;   in Loop: Header=BB361_10 Depth=1
	s_or_b32 exec_lo, exec_lo, s31
.LBB361_294:                            ;   in Loop: Header=BB361_10 Depth=1
	s_or_b32 exec_lo, exec_lo, s2
	v_and_b32_sdwa v1, v10, v102 dst_sel:DWORD dst_unused:UNUSED_PAD src0_sel:WORD_1 src1_sel:DWORD
	s_mov_b32 s2, exec_lo
	v_cmpx_ne_u16_e32 0, v1
	s_cbranch_execz .LBB361_302
; %bb.295:                              ;   in Loop: Header=BB361_10 Depth=1
	v_bfrev_b32_e32 v27, 1
	s_mov_b32 s31, exec_lo
	v_cmpx_ne_u16_e32 0x80, v1
	s_cbranch_execz .LBB361_301
; %bb.296:                              ;   in Loop: Header=BB361_10 Depth=1
	v_bfe_u32 v12, v10, 16, 7
	v_mov_b32_e32 v27, 0x7f800001
	s_mov_b32 s33, exec_lo
	v_cmpx_ne_u32_e32 0x7f, v12
	s_cbranch_execz .LBB361_300
; %bb.297:                              ;   in Loop: Header=BB361_10 Depth=1
	v_and_b32_sdwa v1, v10, v103 dst_sel:DWORD dst_unused:UNUSED_PAD src0_sel:WORD_1 src1_sel:DWORD
	v_lshrrev_b32_e32 v11, 3, v12
	s_mov_b32 s34, exec_lo
	v_cmpx_gt_u32_e32 8, v12
; %bb.298:                              ;   in Loop: Header=BB361_10 Depth=1
	v_ffbh_u32_e32 v11, v1
	v_min_u32_e32 v11, 32, v11
	v_subrev_nc_u32_e32 v12, 28, v11
	v_sub_nc_u32_e32 v11, 29, v11
	v_lshlrev_b64 v[29:30], v12, v[1:2]
	v_and_b32_e32 v1, 7, v29
; %bb.299:                              ;   in Loop: Header=BB361_10 Depth=1
	s_or_b32 exec_lo, exec_lo, s34
	v_lshlrev_b32_sdwa v12, v104, v10 dst_sel:DWORD dst_unused:UNUSED_PAD src0_sel:DWORD src1_sel:WORD_1
	v_lshlrev_b32_e32 v1, 20, v1
	v_lshl_add_u32 v11, v11, 23, 0x3c000000
	v_and_b32_e32 v12, 0x80000000, v12
	v_or3_b32 v27, v1, v12, v11
.LBB361_300:                            ;   in Loop: Header=BB361_10 Depth=1
	s_or_b32 exec_lo, exec_lo, s33
.LBB361_301:                            ;   in Loop: Header=BB361_10 Depth=1
	s_or_b32 exec_lo, exec_lo, s31
.LBB361_302:                            ;   in Loop: Header=BB361_10 Depth=1
	s_or_b32 exec_lo, exec_lo, s2
	v_mov_b32_e32 v30, 0
	v_mov_b32_e32 v29, 0
	s_mov_b32 s2, exec_lo
	v_cmpx_lt_u64_e64 s[4:5], v[9:10]
	s_cbranch_execz .LBB361_310
; %bb.303:                              ;   in Loop: Header=BB361_10 Depth=1
	v_cmp_ne_u32_sdwa s1, v10, v100 src0_sel:BYTE_3 src1_sel:DWORD
	v_bfrev_b32_e32 v29, 1
	s_and_saveexec_b32 s31, s1
	s_cbranch_execz .LBB361_309
; %bb.304:                              ;   in Loop: Header=BB361_10 Depth=1
	v_bfe_u32 v11, v10, 24, 7
	v_mov_b32_e32 v29, 0x7f800001
	s_mov_b32 s33, exec_lo
	v_cmpx_ne_u32_e32 0x7f, v11
	s_cbranch_execz .LBB361_308
; %bb.305:                              ;   in Loop: Header=BB361_10 Depth=1
	v_and_b32_sdwa v1, v10, v103 dst_sel:DWORD dst_unused:UNUSED_PAD src0_sel:BYTE_3 src1_sel:DWORD
	v_lshrrev_b32_e32 v9, 3, v11
	s_mov_b32 s34, exec_lo
	v_cmpx_gt_u32_e32 8, v11
; %bb.306:                              ;   in Loop: Header=BB361_10 Depth=1
	v_ffbh_u32_e32 v9, v1
	v_min_u32_e32 v9, 32, v9
	v_subrev_nc_u32_e32 v11, 28, v9
	v_sub_nc_u32_e32 v9, 29, v9
	v_lshlrev_b64 v[11:12], v11, v[1:2]
	v_and_b32_e32 v1, 7, v11
; %bb.307:                              ;   in Loop: Header=BB361_10 Depth=1
	s_or_b32 exec_lo, exec_lo, s34
	v_lshlrev_b32_sdwa v10, v104, v10 dst_sel:DWORD dst_unused:UNUSED_PAD src0_sel:DWORD src1_sel:BYTE_3
	v_lshlrev_b32_e32 v1, 20, v1
	v_lshl_add_u32 v9, v9, 23, 0x3c000000
	v_and_b32_e32 v10, 0x80000000, v10
	v_or3_b32 v29, v1, v10, v9
.LBB361_308:                            ;   in Loop: Header=BB361_10 Depth=1
	s_or_b32 exec_lo, exec_lo, s33
.LBB361_309:                            ;   in Loop: Header=BB361_10 Depth=1
	s_or_b32 exec_lo, exec_lo, s31
.LBB361_310:                            ;   in Loop: Header=BB361_10 Depth=1
	s_or_b32 exec_lo, exec_lo, s2
	global_load_dwordx2 v[9:10], v[7:8], off offset:1032
	s_waitcnt vmcnt(0)
	v_cmp_ne_u16_sdwa s1, v9, v2 src0_sel:BYTE_0 src1_sel:DWORD
	s_and_saveexec_b32 s2, s1
	s_cbranch_execz .LBB361_316
; %bb.311:                              ;   in Loop: Header=BB361_10 Depth=1
	v_cmp_ne_u16_sdwa s1, v9, v100 src0_sel:BYTE_0 src1_sel:DWORD
	v_bfrev_b32_e32 v30, 1
	s_and_saveexec_b32 s31, s1
	s_cbranch_execz .LBB361_315
; %bb.312:                              ;   in Loop: Header=BB361_10 Depth=1
	v_and_b32_e32 v1, 0x7f, v9
	v_mov_b32_e32 v30, 0x7f800001
	s_mov_b32 s33, exec_lo
	v_cmpx_ne_u32_e32 0x7f, v1
	s_cbranch_execz .LBB361_314
; %bb.313:                              ;   in Loop: Header=BB361_10 Depth=1
	v_and_b32_e32 v11, 7, v9
	v_lshrrev_b32_e32 v12, 3, v1
	v_cmp_gt_u32_e64 s1, 8, v1
	v_ffbh_u32_e32 v1, v11
	v_min_u32_e32 v1, 32, v1
	v_subrev_nc_u32_e32 v11, 28, v1
	v_sub_nc_u32_e32 v1, 29, v1
	v_cndmask_b32_e64 v11, 0, v11, s1
	v_cndmask_b32_e64 v1, v12, v1, s1
	v_lshlrev_b64 v[11:12], v11, v[9:10]
	v_lshlrev_b32_e32 v12, 24, v9
	v_lshl_add_u32 v1, v1, 23, 0x3c000000
	v_lshlrev_b32_e32 v11, 20, v11
	v_and_b32_e32 v12, 0x80000000, v12
	v_and_b32_e32 v11, 0x700000, v11
	v_or3_b32 v30, v11, v12, v1
.LBB361_314:                            ;   in Loop: Header=BB361_10 Depth=1
	s_or_b32 exec_lo, exec_lo, s33
.LBB361_315:                            ;   in Loop: Header=BB361_10 Depth=1
	s_or_b32 exec_lo, exec_lo, s31
.LBB361_316:                            ;   in Loop: Header=BB361_10 Depth=1
	s_or_b32 exec_lo, exec_lo, s2
	v_cmp_ne_u16_sdwa s1, v9, v2 src0_sel:BYTE_1 src1_sel:DWORD
	v_mov_b32_e32 v32, 0
	v_mov_b32_e32 v31, 0
	s_and_saveexec_b32 s2, s1
	s_cbranch_execz .LBB361_324
; %bb.317:                              ;   in Loop: Header=BB361_10 Depth=1
	v_cmp_ne_u16_sdwa s1, v9, v100 src0_sel:BYTE_1 src1_sel:DWORD
	v_bfrev_b32_e32 v31, 1
	s_and_saveexec_b32 s31, s1
	s_cbranch_execz .LBB361_323
; %bb.318:                              ;   in Loop: Header=BB361_10 Depth=1
	v_and_b32_sdwa v1, v101, v9 dst_sel:DWORD dst_unused:UNUSED_PAD src0_sel:DWORD src1_sel:BYTE_1
	v_mov_b32_e32 v31, 0x7f800001
	s_mov_b32 s33, exec_lo
	v_and_b32_e32 v12, 0x7f, v1
	v_cmpx_ne_u32_e32 0x7f, v12
	s_cbranch_execz .LBB361_322
; %bb.319:                              ;   in Loop: Header=BB361_10 Depth=1
	v_and_b32_e32 v1, 7, v1
	v_lshrrev_b32_e32 v11, 3, v12
	s_mov_b32 s34, exec_lo
	v_cmpx_gt_u32_e32 8, v12
; %bb.320:                              ;   in Loop: Header=BB361_10 Depth=1
	v_ffbh_u32_e32 v11, v1
	v_min_u32_e32 v11, 32, v11
	v_subrev_nc_u32_e32 v12, 28, v11
	v_sub_nc_u32_e32 v11, 29, v11
	v_lshlrev_b64 v[33:34], v12, v[1:2]
	v_and_b32_e32 v1, 7, v33
; %bb.321:                              ;   in Loop: Header=BB361_10 Depth=1
	s_or_b32 exec_lo, exec_lo, s34
	v_lshlrev_b32_e32 v12, 16, v9
	v_lshlrev_b32_e32 v1, 20, v1
	v_lshl_add_u32 v11, v11, 23, 0x3c000000
	v_and_b32_e32 v12, 0x80000000, v12
	v_or3_b32 v31, v1, v12, v11
.LBB361_322:                            ;   in Loop: Header=BB361_10 Depth=1
	s_or_b32 exec_lo, exec_lo, s33
.LBB361_323:                            ;   in Loop: Header=BB361_10 Depth=1
	s_or_b32 exec_lo, exec_lo, s31
.LBB361_324:                            ;   in Loop: Header=BB361_10 Depth=1
	s_or_b32 exec_lo, exec_lo, s2
	v_and_b32_sdwa v1, v9, v102 dst_sel:DWORD dst_unused:UNUSED_PAD src0_sel:WORD_1 src1_sel:DWORD
	s_mov_b32 s2, exec_lo
	v_cmpx_ne_u16_e32 0, v1
	s_cbranch_execz .LBB361_332
; %bb.325:                              ;   in Loop: Header=BB361_10 Depth=1
	v_bfrev_b32_e32 v32, 1
	s_mov_b32 s31, exec_lo
	v_cmpx_ne_u16_e32 0x80, v1
	s_cbranch_execz .LBB361_331
; %bb.326:                              ;   in Loop: Header=BB361_10 Depth=1
	v_bfe_u32 v12, v9, 16, 7
	v_mov_b32_e32 v32, 0x7f800001
	s_mov_b32 s33, exec_lo
	v_cmpx_ne_u32_e32 0x7f, v12
	s_cbranch_execz .LBB361_330
; %bb.327:                              ;   in Loop: Header=BB361_10 Depth=1
	v_and_b32_sdwa v1, v9, v103 dst_sel:DWORD dst_unused:UNUSED_PAD src0_sel:WORD_1 src1_sel:DWORD
	v_lshrrev_b32_e32 v11, 3, v12
	s_mov_b32 s34, exec_lo
	v_cmpx_gt_u32_e32 8, v12
; %bb.328:                              ;   in Loop: Header=BB361_10 Depth=1
	v_ffbh_u32_e32 v11, v1
	v_min_u32_e32 v11, 32, v11
	v_subrev_nc_u32_e32 v12, 28, v11
	v_sub_nc_u32_e32 v11, 29, v11
	v_lshlrev_b64 v[32:33], v12, v[1:2]
	v_and_b32_e32 v1, 7, v32
; %bb.329:                              ;   in Loop: Header=BB361_10 Depth=1
	s_or_b32 exec_lo, exec_lo, s34
	v_lshlrev_b32_sdwa v12, v104, v9 dst_sel:DWORD dst_unused:UNUSED_PAD src0_sel:DWORD src1_sel:WORD_1
	v_lshlrev_b32_e32 v1, 20, v1
	v_lshl_add_u32 v11, v11, 23, 0x3c000000
	v_and_b32_e32 v12, 0x80000000, v12
	v_or3_b32 v32, v1, v12, v11
.LBB361_330:                            ;   in Loop: Header=BB361_10 Depth=1
	s_or_b32 exec_lo, exec_lo, s33
.LBB361_331:                            ;   in Loop: Header=BB361_10 Depth=1
	s_or_b32 exec_lo, exec_lo, s31
.LBB361_332:                            ;   in Loop: Header=BB361_10 Depth=1
	s_or_b32 exec_lo, exec_lo, s2
	v_mov_b32_e32 v34, 0
	v_mov_b32_e32 v33, 0
	s_mov_b32 s2, exec_lo
	v_cmpx_lt_u32_e32 0xffffff, v9
	s_cbranch_execz .LBB361_340
; %bb.333:                              ;   in Loop: Header=BB361_10 Depth=1
	v_cmp_ne_u32_sdwa s1, v9, v100 src0_sel:BYTE_3 src1_sel:DWORD
	v_bfrev_b32_e32 v33, 1
	s_and_saveexec_b32 s31, s1
	s_cbranch_execz .LBB361_339
; %bb.334:                              ;   in Loop: Header=BB361_10 Depth=1
	v_bfe_u32 v12, v9, 24, 7
	v_mov_b32_e32 v33, 0x7f800001
	s_mov_b32 s33, exec_lo
	v_cmpx_ne_u32_e32 0x7f, v12
	s_cbranch_execz .LBB361_338
; %bb.335:                              ;   in Loop: Header=BB361_10 Depth=1
	v_and_b32_sdwa v1, v9, v103 dst_sel:DWORD dst_unused:UNUSED_PAD src0_sel:BYTE_3 src1_sel:DWORD
	v_lshrrev_b32_e32 v11, 3, v12
	s_mov_b32 s34, exec_lo
	v_cmpx_gt_u32_e32 8, v12
; %bb.336:                              ;   in Loop: Header=BB361_10 Depth=1
	v_ffbh_u32_e32 v11, v1
	v_min_u32_e32 v11, 32, v11
	v_subrev_nc_u32_e32 v12, 28, v11
	v_sub_nc_u32_e32 v11, 29, v11
	v_lshlrev_b64 v[35:36], v12, v[1:2]
	v_and_b32_e32 v1, 7, v35
; %bb.337:                              ;   in Loop: Header=BB361_10 Depth=1
	s_or_b32 exec_lo, exec_lo, s34
	v_lshlrev_b32_sdwa v12, v104, v9 dst_sel:DWORD dst_unused:UNUSED_PAD src0_sel:DWORD src1_sel:BYTE_3
	v_lshlrev_b32_e32 v1, 20, v1
	v_lshl_add_u32 v11, v11, 23, 0x3c000000
	v_and_b32_e32 v12, 0x80000000, v12
	v_or3_b32 v33, v1, v12, v11
.LBB361_338:                            ;   in Loop: Header=BB361_10 Depth=1
	s_or_b32 exec_lo, exec_lo, s33
.LBB361_339:                            ;   in Loop: Header=BB361_10 Depth=1
	s_or_b32 exec_lo, exec_lo, s31
.LBB361_340:                            ;   in Loop: Header=BB361_10 Depth=1
	s_or_b32 exec_lo, exec_lo, s2
	v_mov_b32_e32 v1, v10
	v_cmp_ne_u16_sdwa s1, v10, v2 src0_sel:BYTE_0 src1_sel:DWORD
	s_and_saveexec_b32 s2, s1
	s_cbranch_execz .LBB361_346
; %bb.341:                              ;   in Loop: Header=BB361_10 Depth=1
	v_cmp_ne_u16_sdwa s1, v10, v100 src0_sel:BYTE_0 src1_sel:DWORD
	v_bfrev_b32_e32 v34, 1
	s_and_saveexec_b32 s31, s1
	s_cbranch_execz .LBB361_345
; %bb.342:                              ;   in Loop: Header=BB361_10 Depth=1
	v_and_b32_e32 v11, 0x7f, v10
	v_mov_b32_e32 v34, 0x7f800001
	s_mov_b32 s33, exec_lo
	v_cmpx_ne_u32_e32 0x7f, v11
	s_cbranch_execz .LBB361_344
; %bb.343:                              ;   in Loop: Header=BB361_10 Depth=1
	v_and_b32_e32 v12, 7, v10
	v_lshrrev_b32_e32 v34, 3, v11
	v_cmp_gt_u32_e64 s1, 8, v11
	v_ffbh_u32_e32 v11, v12
	v_min_u32_e32 v11, 32, v11
	v_subrev_nc_u32_e32 v12, 28, v11
	v_sub_nc_u32_e32 v11, 29, v11
	v_cndmask_b32_e64 v34, v34, v11, s1
	v_cndmask_b32_e64 v11, 0, v12, s1
	v_lshl_add_u32 v34, v34, 23, 0x3c000000
	v_lshlrev_b64 v[11:12], v11, v[1:2]
	v_lshlrev_b32_e32 v12, 24, v1
	v_lshlrev_b32_e32 v11, 20, v11
	v_and_b32_e32 v12, 0x80000000, v12
	v_and_b32_e32 v11, 0x700000, v11
	v_or3_b32 v34, v11, v12, v34
.LBB361_344:                            ;   in Loop: Header=BB361_10 Depth=1
	s_or_b32 exec_lo, exec_lo, s33
.LBB361_345:                            ;   in Loop: Header=BB361_10 Depth=1
	s_or_b32 exec_lo, exec_lo, s31
.LBB361_346:                            ;   in Loop: Header=BB361_10 Depth=1
	s_or_b32 exec_lo, exec_lo, s2
	v_cmp_ne_u16_sdwa s1, v1, v2 src0_sel:BYTE_1 src1_sel:DWORD
	v_mov_b32_e32 v35, 0
	v_mov_b32_e32 v36, 0
	s_and_saveexec_b32 s2, s1
	s_cbranch_execz .LBB361_354
; %bb.347:                              ;   in Loop: Header=BB361_10 Depth=1
	v_cmp_ne_u16_sdwa s1, v1, v100 src0_sel:BYTE_1 src1_sel:DWORD
	v_bfrev_b32_e32 v36, 1
	s_and_saveexec_b32 s31, s1
	s_cbranch_execz .LBB361_353
; %bb.348:                              ;   in Loop: Header=BB361_10 Depth=1
	v_and_b32_sdwa v11, v101, v1 dst_sel:DWORD dst_unused:UNUSED_PAD src0_sel:DWORD src1_sel:BYTE_1
	v_mov_b32_e32 v36, 0x7f800001
	s_mov_b32 s33, exec_lo
	v_and_b32_e32 v37, 0x7f, v11
	v_cmpx_ne_u32_e32 0x7f, v37
	s_cbranch_execz .LBB361_352
; %bb.349:                              ;   in Loop: Header=BB361_10 Depth=1
	v_and_b32_e32 v11, 7, v11
	v_mov_b32_e32 v12, v2
	v_lshrrev_b32_e32 v36, 3, v37
	s_mov_b32 s34, exec_lo
	v_cmpx_gt_u32_e32 8, v37
; %bb.350:                              ;   in Loop: Header=BB361_10 Depth=1
	v_ffbh_u32_e32 v36, v11
	v_min_u32_e32 v36, 32, v36
	v_subrev_nc_u32_e32 v37, 28, v36
	v_sub_nc_u32_e32 v36, 29, v36
	v_lshlrev_b64 v[11:12], v37, v[11:12]
	v_and_b32_e32 v11, 7, v11
; %bb.351:                              ;   in Loop: Header=BB361_10 Depth=1
	s_or_b32 exec_lo, exec_lo, s34
	v_lshlrev_b32_e32 v1, 16, v1
	v_lshlrev_b32_e32 v11, 20, v11
	v_lshl_add_u32 v12, v36, 23, 0x3c000000
	v_and_b32_e32 v1, 0x80000000, v1
	v_or3_b32 v36, v11, v1, v12
.LBB361_352:                            ;   in Loop: Header=BB361_10 Depth=1
	s_or_b32 exec_lo, exec_lo, s33
.LBB361_353:                            ;   in Loop: Header=BB361_10 Depth=1
	s_or_b32 exec_lo, exec_lo, s31
.LBB361_354:                            ;   in Loop: Header=BB361_10 Depth=1
	s_or_b32 exec_lo, exec_lo, s2
	v_and_b32_sdwa v1, v10, v102 dst_sel:DWORD dst_unused:UNUSED_PAD src0_sel:WORD_1 src1_sel:DWORD
	s_mov_b32 s2, exec_lo
	v_cmpx_ne_u16_e32 0, v1
	s_cbranch_execz .LBB361_362
; %bb.355:                              ;   in Loop: Header=BB361_10 Depth=1
	v_bfrev_b32_e32 v35, 1
	s_mov_b32 s31, exec_lo
	v_cmpx_ne_u16_e32 0x80, v1
	s_cbranch_execz .LBB361_361
; %bb.356:                              ;   in Loop: Header=BB361_10 Depth=1
	v_bfe_u32 v12, v10, 16, 7
	v_mov_b32_e32 v35, 0x7f800001
	s_mov_b32 s33, exec_lo
	v_cmpx_ne_u32_e32 0x7f, v12
	s_cbranch_execz .LBB361_360
; %bb.357:                              ;   in Loop: Header=BB361_10 Depth=1
	v_and_b32_sdwa v1, v10, v103 dst_sel:DWORD dst_unused:UNUSED_PAD src0_sel:WORD_1 src1_sel:DWORD
	v_lshrrev_b32_e32 v11, 3, v12
	s_mov_b32 s34, exec_lo
	v_cmpx_gt_u32_e32 8, v12
; %bb.358:                              ;   in Loop: Header=BB361_10 Depth=1
	v_ffbh_u32_e32 v11, v1
	v_min_u32_e32 v11, 32, v11
	v_subrev_nc_u32_e32 v12, 28, v11
	v_sub_nc_u32_e32 v11, 29, v11
	v_lshlrev_b64 v[37:38], v12, v[1:2]
	v_and_b32_e32 v1, 7, v37
; %bb.359:                              ;   in Loop: Header=BB361_10 Depth=1
	s_or_b32 exec_lo, exec_lo, s34
	v_lshlrev_b32_sdwa v12, v104, v10 dst_sel:DWORD dst_unused:UNUSED_PAD src0_sel:DWORD src1_sel:WORD_1
	v_lshlrev_b32_e32 v1, 20, v1
	v_lshl_add_u32 v11, v11, 23, 0x3c000000
	v_and_b32_e32 v12, 0x80000000, v12
	v_or3_b32 v35, v1, v12, v11
.LBB361_360:                            ;   in Loop: Header=BB361_10 Depth=1
	s_or_b32 exec_lo, exec_lo, s33
.LBB361_361:                            ;   in Loop: Header=BB361_10 Depth=1
	s_or_b32 exec_lo, exec_lo, s31
.LBB361_362:                            ;   in Loop: Header=BB361_10 Depth=1
	s_or_b32 exec_lo, exec_lo, s2
	v_mov_b32_e32 v38, 0
	v_mov_b32_e32 v37, 0
	s_mov_b32 s2, exec_lo
	v_cmpx_lt_u64_e64 s[4:5], v[9:10]
	s_cbranch_execz .LBB361_370
; %bb.363:                              ;   in Loop: Header=BB361_10 Depth=1
	v_cmp_ne_u32_sdwa s1, v10, v100 src0_sel:BYTE_3 src1_sel:DWORD
	v_bfrev_b32_e32 v37, 1
	s_and_saveexec_b32 s31, s1
	s_cbranch_execz .LBB361_369
; %bb.364:                              ;   in Loop: Header=BB361_10 Depth=1
	v_bfe_u32 v11, v10, 24, 7
	v_mov_b32_e32 v37, 0x7f800001
	s_mov_b32 s33, exec_lo
	v_cmpx_ne_u32_e32 0x7f, v11
	s_cbranch_execz .LBB361_368
; %bb.365:                              ;   in Loop: Header=BB361_10 Depth=1
	v_and_b32_sdwa v1, v10, v103 dst_sel:DWORD dst_unused:UNUSED_PAD src0_sel:BYTE_3 src1_sel:DWORD
	v_lshrrev_b32_e32 v9, 3, v11
	s_mov_b32 s34, exec_lo
	v_cmpx_gt_u32_e32 8, v11
; %bb.366:                              ;   in Loop: Header=BB361_10 Depth=1
	v_ffbh_u32_e32 v9, v1
	v_min_u32_e32 v9, 32, v9
	v_subrev_nc_u32_e32 v11, 28, v9
	v_sub_nc_u32_e32 v9, 29, v9
	v_lshlrev_b64 v[11:12], v11, v[1:2]
	v_and_b32_e32 v1, 7, v11
; %bb.367:                              ;   in Loop: Header=BB361_10 Depth=1
	s_or_b32 exec_lo, exec_lo, s34
	v_lshlrev_b32_sdwa v10, v104, v10 dst_sel:DWORD dst_unused:UNUSED_PAD src0_sel:DWORD src1_sel:BYTE_3
	v_lshlrev_b32_e32 v1, 20, v1
	v_lshl_add_u32 v9, v9, 23, 0x3c000000
	v_and_b32_e32 v10, 0x80000000, v10
	v_or3_b32 v37, v1, v10, v9
.LBB361_368:                            ;   in Loop: Header=BB361_10 Depth=1
	s_or_b32 exec_lo, exec_lo, s33
.LBB361_369:                            ;   in Loop: Header=BB361_10 Depth=1
	s_or_b32 exec_lo, exec_lo, s31
.LBB361_370:                            ;   in Loop: Header=BB361_10 Depth=1
	s_or_b32 exec_lo, exec_lo, s2
	global_load_dwordx2 v[9:10], v[7:8], off offset:1536
	s_waitcnt vmcnt(0)
	v_cmp_ne_u16_sdwa s1, v9, v2 src0_sel:BYTE_0 src1_sel:DWORD
	s_and_saveexec_b32 s2, s1
	s_cbranch_execz .LBB361_376
; %bb.371:                              ;   in Loop: Header=BB361_10 Depth=1
	v_cmp_ne_u16_sdwa s1, v9, v100 src0_sel:BYTE_0 src1_sel:DWORD
	v_bfrev_b32_e32 v38, 1
	s_and_saveexec_b32 s31, s1
	s_cbranch_execz .LBB361_375
; %bb.372:                              ;   in Loop: Header=BB361_10 Depth=1
	v_and_b32_e32 v1, 0x7f, v9
	v_mov_b32_e32 v38, 0x7f800001
	s_mov_b32 s33, exec_lo
	v_cmpx_ne_u32_e32 0x7f, v1
	s_cbranch_execz .LBB361_374
; %bb.373:                              ;   in Loop: Header=BB361_10 Depth=1
	v_and_b32_e32 v11, 7, v9
	v_lshrrev_b32_e32 v12, 3, v1
	v_cmp_gt_u32_e64 s1, 8, v1
	v_ffbh_u32_e32 v1, v11
	v_min_u32_e32 v1, 32, v1
	v_subrev_nc_u32_e32 v11, 28, v1
	v_sub_nc_u32_e32 v1, 29, v1
	v_cndmask_b32_e64 v11, 0, v11, s1
	v_cndmask_b32_e64 v1, v12, v1, s1
	v_lshlrev_b64 v[11:12], v11, v[9:10]
	v_lshlrev_b32_e32 v12, 24, v9
	v_lshl_add_u32 v1, v1, 23, 0x3c000000
	v_lshlrev_b32_e32 v11, 20, v11
	v_and_b32_e32 v12, 0x80000000, v12
	v_and_b32_e32 v11, 0x700000, v11
	v_or3_b32 v38, v11, v12, v1
.LBB361_374:                            ;   in Loop: Header=BB361_10 Depth=1
	s_or_b32 exec_lo, exec_lo, s33
.LBB361_375:                            ;   in Loop: Header=BB361_10 Depth=1
	s_or_b32 exec_lo, exec_lo, s31
.LBB361_376:                            ;   in Loop: Header=BB361_10 Depth=1
	s_or_b32 exec_lo, exec_lo, s2
	v_cmp_ne_u16_sdwa s1, v9, v2 src0_sel:BYTE_1 src1_sel:DWORD
	v_mov_b32_e32 v40, 0
	v_mov_b32_e32 v39, 0
	s_and_saveexec_b32 s2, s1
	s_cbranch_execz .LBB361_384
; %bb.377:                              ;   in Loop: Header=BB361_10 Depth=1
	v_cmp_ne_u16_sdwa s1, v9, v100 src0_sel:BYTE_1 src1_sel:DWORD
	v_bfrev_b32_e32 v39, 1
	s_and_saveexec_b32 s31, s1
	s_cbranch_execz .LBB361_383
; %bb.378:                              ;   in Loop: Header=BB361_10 Depth=1
	v_and_b32_sdwa v1, v101, v9 dst_sel:DWORD dst_unused:UNUSED_PAD src0_sel:DWORD src1_sel:BYTE_1
	v_mov_b32_e32 v39, 0x7f800001
	s_mov_b32 s33, exec_lo
	v_and_b32_e32 v12, 0x7f, v1
	v_cmpx_ne_u32_e32 0x7f, v12
	s_cbranch_execz .LBB361_382
; %bb.379:                              ;   in Loop: Header=BB361_10 Depth=1
	v_and_b32_e32 v1, 7, v1
	v_lshrrev_b32_e32 v11, 3, v12
	s_mov_b32 s34, exec_lo
	v_cmpx_gt_u32_e32 8, v12
; %bb.380:                              ;   in Loop: Header=BB361_10 Depth=1
	v_ffbh_u32_e32 v11, v1
	v_min_u32_e32 v11, 32, v11
	v_subrev_nc_u32_e32 v12, 28, v11
	v_sub_nc_u32_e32 v11, 29, v11
	v_lshlrev_b64 v[41:42], v12, v[1:2]
	v_and_b32_e32 v1, 7, v41
; %bb.381:                              ;   in Loop: Header=BB361_10 Depth=1
	s_or_b32 exec_lo, exec_lo, s34
	v_lshlrev_b32_e32 v12, 16, v9
	v_lshlrev_b32_e32 v1, 20, v1
	v_lshl_add_u32 v11, v11, 23, 0x3c000000
	v_and_b32_e32 v12, 0x80000000, v12
	v_or3_b32 v39, v1, v12, v11
.LBB361_382:                            ;   in Loop: Header=BB361_10 Depth=1
	s_or_b32 exec_lo, exec_lo, s33
.LBB361_383:                            ;   in Loop: Header=BB361_10 Depth=1
	s_or_b32 exec_lo, exec_lo, s31
.LBB361_384:                            ;   in Loop: Header=BB361_10 Depth=1
	s_or_b32 exec_lo, exec_lo, s2
	v_and_b32_sdwa v1, v9, v102 dst_sel:DWORD dst_unused:UNUSED_PAD src0_sel:WORD_1 src1_sel:DWORD
	s_mov_b32 s2, exec_lo
	v_cmpx_ne_u16_e32 0, v1
	s_cbranch_execz .LBB361_392
; %bb.385:                              ;   in Loop: Header=BB361_10 Depth=1
	v_bfrev_b32_e32 v40, 1
	s_mov_b32 s31, exec_lo
	v_cmpx_ne_u16_e32 0x80, v1
	s_cbranch_execz .LBB361_391
; %bb.386:                              ;   in Loop: Header=BB361_10 Depth=1
	v_bfe_u32 v12, v9, 16, 7
	v_mov_b32_e32 v40, 0x7f800001
	s_mov_b32 s33, exec_lo
	v_cmpx_ne_u32_e32 0x7f, v12
	s_cbranch_execz .LBB361_390
; %bb.387:                              ;   in Loop: Header=BB361_10 Depth=1
	v_and_b32_sdwa v1, v9, v103 dst_sel:DWORD dst_unused:UNUSED_PAD src0_sel:WORD_1 src1_sel:DWORD
	v_lshrrev_b32_e32 v11, 3, v12
	s_mov_b32 s34, exec_lo
	v_cmpx_gt_u32_e32 8, v12
; %bb.388:                              ;   in Loop: Header=BB361_10 Depth=1
	v_ffbh_u32_e32 v11, v1
	v_min_u32_e32 v11, 32, v11
	v_subrev_nc_u32_e32 v12, 28, v11
	v_sub_nc_u32_e32 v11, 29, v11
	v_lshlrev_b64 v[40:41], v12, v[1:2]
	v_and_b32_e32 v1, 7, v40
; %bb.389:                              ;   in Loop: Header=BB361_10 Depth=1
	s_or_b32 exec_lo, exec_lo, s34
	v_lshlrev_b32_sdwa v12, v104, v9 dst_sel:DWORD dst_unused:UNUSED_PAD src0_sel:DWORD src1_sel:WORD_1
	v_lshlrev_b32_e32 v1, 20, v1
	v_lshl_add_u32 v11, v11, 23, 0x3c000000
	v_and_b32_e32 v12, 0x80000000, v12
	v_or3_b32 v40, v1, v12, v11
.LBB361_390:                            ;   in Loop: Header=BB361_10 Depth=1
	s_or_b32 exec_lo, exec_lo, s33
.LBB361_391:                            ;   in Loop: Header=BB361_10 Depth=1
	s_or_b32 exec_lo, exec_lo, s31
.LBB361_392:                            ;   in Loop: Header=BB361_10 Depth=1
	s_or_b32 exec_lo, exec_lo, s2
	v_mov_b32_e32 v42, 0
	v_mov_b32_e32 v41, 0
	s_mov_b32 s2, exec_lo
	v_cmpx_lt_u32_e32 0xffffff, v9
	s_cbranch_execz .LBB361_400
; %bb.393:                              ;   in Loop: Header=BB361_10 Depth=1
	v_cmp_ne_u32_sdwa s1, v9, v100 src0_sel:BYTE_3 src1_sel:DWORD
	v_bfrev_b32_e32 v41, 1
	s_and_saveexec_b32 s31, s1
	s_cbranch_execz .LBB361_399
; %bb.394:                              ;   in Loop: Header=BB361_10 Depth=1
	v_bfe_u32 v12, v9, 24, 7
	v_mov_b32_e32 v41, 0x7f800001
	s_mov_b32 s33, exec_lo
	v_cmpx_ne_u32_e32 0x7f, v12
	s_cbranch_execz .LBB361_398
; %bb.395:                              ;   in Loop: Header=BB361_10 Depth=1
	v_and_b32_sdwa v1, v9, v103 dst_sel:DWORD dst_unused:UNUSED_PAD src0_sel:BYTE_3 src1_sel:DWORD
	v_lshrrev_b32_e32 v11, 3, v12
	s_mov_b32 s34, exec_lo
	v_cmpx_gt_u32_e32 8, v12
; %bb.396:                              ;   in Loop: Header=BB361_10 Depth=1
	v_ffbh_u32_e32 v11, v1
	v_min_u32_e32 v11, 32, v11
	v_subrev_nc_u32_e32 v12, 28, v11
	v_sub_nc_u32_e32 v11, 29, v11
	v_lshlrev_b64 v[43:44], v12, v[1:2]
	v_and_b32_e32 v1, 7, v43
; %bb.397:                              ;   in Loop: Header=BB361_10 Depth=1
	s_or_b32 exec_lo, exec_lo, s34
	v_lshlrev_b32_sdwa v12, v104, v9 dst_sel:DWORD dst_unused:UNUSED_PAD src0_sel:DWORD src1_sel:BYTE_3
	v_lshlrev_b32_e32 v1, 20, v1
	v_lshl_add_u32 v11, v11, 23, 0x3c000000
	v_and_b32_e32 v12, 0x80000000, v12
	v_or3_b32 v41, v1, v12, v11
.LBB361_398:                            ;   in Loop: Header=BB361_10 Depth=1
	s_or_b32 exec_lo, exec_lo, s33
.LBB361_399:                            ;   in Loop: Header=BB361_10 Depth=1
	s_or_b32 exec_lo, exec_lo, s31
.LBB361_400:                            ;   in Loop: Header=BB361_10 Depth=1
	s_or_b32 exec_lo, exec_lo, s2
	v_mov_b32_e32 v1, v10
	v_cmp_ne_u16_sdwa s1, v10, v2 src0_sel:BYTE_0 src1_sel:DWORD
	s_and_saveexec_b32 s2, s1
	s_cbranch_execz .LBB361_406
; %bb.401:                              ;   in Loop: Header=BB361_10 Depth=1
	v_cmp_ne_u16_sdwa s1, v10, v100 src0_sel:BYTE_0 src1_sel:DWORD
	v_bfrev_b32_e32 v42, 1
	s_and_saveexec_b32 s31, s1
	s_cbranch_execz .LBB361_405
; %bb.402:                              ;   in Loop: Header=BB361_10 Depth=1
	v_and_b32_e32 v11, 0x7f, v10
	v_mov_b32_e32 v42, 0x7f800001
	s_mov_b32 s33, exec_lo
	v_cmpx_ne_u32_e32 0x7f, v11
	s_cbranch_execz .LBB361_404
; %bb.403:                              ;   in Loop: Header=BB361_10 Depth=1
	v_and_b32_e32 v12, 7, v10
	v_lshrrev_b32_e32 v42, 3, v11
	v_cmp_gt_u32_e64 s1, 8, v11
	v_ffbh_u32_e32 v11, v12
	v_min_u32_e32 v11, 32, v11
	v_subrev_nc_u32_e32 v12, 28, v11
	v_sub_nc_u32_e32 v11, 29, v11
	v_cndmask_b32_e64 v42, v42, v11, s1
	v_cndmask_b32_e64 v11, 0, v12, s1
	v_lshl_add_u32 v42, v42, 23, 0x3c000000
	v_lshlrev_b64 v[11:12], v11, v[1:2]
	v_lshlrev_b32_e32 v12, 24, v1
	v_lshlrev_b32_e32 v11, 20, v11
	v_and_b32_e32 v12, 0x80000000, v12
	v_and_b32_e32 v11, 0x700000, v11
	v_or3_b32 v42, v11, v12, v42
.LBB361_404:                            ;   in Loop: Header=BB361_10 Depth=1
	s_or_b32 exec_lo, exec_lo, s33
.LBB361_405:                            ;   in Loop: Header=BB361_10 Depth=1
	s_or_b32 exec_lo, exec_lo, s31
.LBB361_406:                            ;   in Loop: Header=BB361_10 Depth=1
	s_or_b32 exec_lo, exec_lo, s2
	v_cmp_ne_u16_sdwa s1, v1, v2 src0_sel:BYTE_1 src1_sel:DWORD
	v_mov_b32_e32 v43, 0
	v_mov_b32_e32 v44, 0
	s_and_saveexec_b32 s2, s1
	s_cbranch_execz .LBB361_414
; %bb.407:                              ;   in Loop: Header=BB361_10 Depth=1
	v_cmp_ne_u16_sdwa s1, v1, v100 src0_sel:BYTE_1 src1_sel:DWORD
	v_bfrev_b32_e32 v44, 1
	s_and_saveexec_b32 s31, s1
	s_cbranch_execz .LBB361_413
; %bb.408:                              ;   in Loop: Header=BB361_10 Depth=1
	v_and_b32_sdwa v11, v101, v1 dst_sel:DWORD dst_unused:UNUSED_PAD src0_sel:DWORD src1_sel:BYTE_1
	v_mov_b32_e32 v44, 0x7f800001
	s_mov_b32 s33, exec_lo
	v_and_b32_e32 v45, 0x7f, v11
	v_cmpx_ne_u32_e32 0x7f, v45
	s_cbranch_execz .LBB361_412
; %bb.409:                              ;   in Loop: Header=BB361_10 Depth=1
	v_and_b32_e32 v11, 7, v11
	v_mov_b32_e32 v12, v2
	v_lshrrev_b32_e32 v44, 3, v45
	s_mov_b32 s34, exec_lo
	v_cmpx_gt_u32_e32 8, v45
; %bb.410:                              ;   in Loop: Header=BB361_10 Depth=1
	v_ffbh_u32_e32 v44, v11
	v_min_u32_e32 v44, 32, v44
	v_subrev_nc_u32_e32 v45, 28, v44
	v_sub_nc_u32_e32 v44, 29, v44
	v_lshlrev_b64 v[11:12], v45, v[11:12]
	v_and_b32_e32 v11, 7, v11
; %bb.411:                              ;   in Loop: Header=BB361_10 Depth=1
	s_or_b32 exec_lo, exec_lo, s34
	v_lshlrev_b32_e32 v1, 16, v1
	v_lshlrev_b32_e32 v11, 20, v11
	v_lshl_add_u32 v12, v44, 23, 0x3c000000
	v_and_b32_e32 v1, 0x80000000, v1
	v_or3_b32 v44, v11, v1, v12
.LBB361_412:                            ;   in Loop: Header=BB361_10 Depth=1
	s_or_b32 exec_lo, exec_lo, s33
.LBB361_413:                            ;   in Loop: Header=BB361_10 Depth=1
	s_or_b32 exec_lo, exec_lo, s31
.LBB361_414:                            ;   in Loop: Header=BB361_10 Depth=1
	s_or_b32 exec_lo, exec_lo, s2
	v_and_b32_sdwa v1, v10, v102 dst_sel:DWORD dst_unused:UNUSED_PAD src0_sel:WORD_1 src1_sel:DWORD
	s_mov_b32 s2, exec_lo
	v_cmpx_ne_u16_e32 0, v1
	s_cbranch_execz .LBB361_422
; %bb.415:                              ;   in Loop: Header=BB361_10 Depth=1
	v_bfrev_b32_e32 v43, 1
	s_mov_b32 s31, exec_lo
	v_cmpx_ne_u16_e32 0x80, v1
	s_cbranch_execz .LBB361_421
; %bb.416:                              ;   in Loop: Header=BB361_10 Depth=1
	v_bfe_u32 v12, v10, 16, 7
	v_mov_b32_e32 v43, 0x7f800001
	s_mov_b32 s33, exec_lo
	v_cmpx_ne_u32_e32 0x7f, v12
	s_cbranch_execz .LBB361_420
; %bb.417:                              ;   in Loop: Header=BB361_10 Depth=1
	v_and_b32_sdwa v1, v10, v103 dst_sel:DWORD dst_unused:UNUSED_PAD src0_sel:WORD_1 src1_sel:DWORD
	v_lshrrev_b32_e32 v11, 3, v12
	s_mov_b32 s34, exec_lo
	v_cmpx_gt_u32_e32 8, v12
; %bb.418:                              ;   in Loop: Header=BB361_10 Depth=1
	v_ffbh_u32_e32 v11, v1
	v_min_u32_e32 v11, 32, v11
	v_subrev_nc_u32_e32 v12, 28, v11
	v_sub_nc_u32_e32 v11, 29, v11
	v_lshlrev_b64 v[45:46], v12, v[1:2]
	v_and_b32_e32 v1, 7, v45
; %bb.419:                              ;   in Loop: Header=BB361_10 Depth=1
	s_or_b32 exec_lo, exec_lo, s34
	v_lshlrev_b32_sdwa v12, v104, v10 dst_sel:DWORD dst_unused:UNUSED_PAD src0_sel:DWORD src1_sel:WORD_1
	v_lshlrev_b32_e32 v1, 20, v1
	v_lshl_add_u32 v11, v11, 23, 0x3c000000
	v_and_b32_e32 v12, 0x80000000, v12
	v_or3_b32 v43, v1, v12, v11
.LBB361_420:                            ;   in Loop: Header=BB361_10 Depth=1
	s_or_b32 exec_lo, exec_lo, s33
.LBB361_421:                            ;   in Loop: Header=BB361_10 Depth=1
	s_or_b32 exec_lo, exec_lo, s31
.LBB361_422:                            ;   in Loop: Header=BB361_10 Depth=1
	s_or_b32 exec_lo, exec_lo, s2
	v_mov_b32_e32 v46, 0
	v_mov_b32_e32 v45, 0
	s_mov_b32 s2, exec_lo
	v_cmpx_lt_u64_e64 s[4:5], v[9:10]
	s_cbranch_execz .LBB361_430
; %bb.423:                              ;   in Loop: Header=BB361_10 Depth=1
	v_cmp_ne_u32_sdwa s1, v10, v100 src0_sel:BYTE_3 src1_sel:DWORD
	v_bfrev_b32_e32 v45, 1
	s_and_saveexec_b32 s31, s1
	s_cbranch_execz .LBB361_429
; %bb.424:                              ;   in Loop: Header=BB361_10 Depth=1
	v_bfe_u32 v11, v10, 24, 7
	v_mov_b32_e32 v45, 0x7f800001
	s_mov_b32 s33, exec_lo
	v_cmpx_ne_u32_e32 0x7f, v11
	s_cbranch_execz .LBB361_428
; %bb.425:                              ;   in Loop: Header=BB361_10 Depth=1
	v_and_b32_sdwa v1, v10, v103 dst_sel:DWORD dst_unused:UNUSED_PAD src0_sel:BYTE_3 src1_sel:DWORD
	v_lshrrev_b32_e32 v9, 3, v11
	s_mov_b32 s34, exec_lo
	v_cmpx_gt_u32_e32 8, v11
; %bb.426:                              ;   in Loop: Header=BB361_10 Depth=1
	v_ffbh_u32_e32 v9, v1
	v_min_u32_e32 v9, 32, v9
	v_subrev_nc_u32_e32 v11, 28, v9
	v_sub_nc_u32_e32 v9, 29, v9
	v_lshlrev_b64 v[11:12], v11, v[1:2]
	v_and_b32_e32 v1, 7, v11
; %bb.427:                              ;   in Loop: Header=BB361_10 Depth=1
	s_or_b32 exec_lo, exec_lo, s34
	v_lshlrev_b32_sdwa v10, v104, v10 dst_sel:DWORD dst_unused:UNUSED_PAD src0_sel:DWORD src1_sel:BYTE_3
	v_lshlrev_b32_e32 v1, 20, v1
	v_lshl_add_u32 v9, v9, 23, 0x3c000000
	v_and_b32_e32 v10, 0x80000000, v10
	v_or3_b32 v45, v1, v10, v9
.LBB361_428:                            ;   in Loop: Header=BB361_10 Depth=1
	s_or_b32 exec_lo, exec_lo, s33
.LBB361_429:                            ;   in Loop: Header=BB361_10 Depth=1
	s_or_b32 exec_lo, exec_lo, s31
.LBB361_430:                            ;   in Loop: Header=BB361_10 Depth=1
	s_or_b32 exec_lo, exec_lo, s2
	global_load_dwordx2 v[9:10], v[7:8], off offset:1544
	s_waitcnt vmcnt(0)
	v_cmp_ne_u16_sdwa s1, v9, v2 src0_sel:BYTE_0 src1_sel:DWORD
	s_and_saveexec_b32 s2, s1
	s_cbranch_execz .LBB361_436
; %bb.431:                              ;   in Loop: Header=BB361_10 Depth=1
	v_cmp_ne_u16_sdwa s1, v9, v100 src0_sel:BYTE_0 src1_sel:DWORD
	v_bfrev_b32_e32 v46, 1
	s_and_saveexec_b32 s31, s1
	s_cbranch_execz .LBB361_435
; %bb.432:                              ;   in Loop: Header=BB361_10 Depth=1
	v_and_b32_e32 v1, 0x7f, v9
	v_mov_b32_e32 v46, 0x7f800001
	s_mov_b32 s33, exec_lo
	v_cmpx_ne_u32_e32 0x7f, v1
	s_cbranch_execz .LBB361_434
; %bb.433:                              ;   in Loop: Header=BB361_10 Depth=1
	v_and_b32_e32 v11, 7, v9
	v_lshrrev_b32_e32 v12, 3, v1
	v_cmp_gt_u32_e64 s1, 8, v1
	v_ffbh_u32_e32 v1, v11
	v_min_u32_e32 v1, 32, v1
	v_subrev_nc_u32_e32 v11, 28, v1
	v_sub_nc_u32_e32 v1, 29, v1
	v_cndmask_b32_e64 v11, 0, v11, s1
	v_cndmask_b32_e64 v1, v12, v1, s1
	v_lshlrev_b64 v[11:12], v11, v[9:10]
	v_lshlrev_b32_e32 v12, 24, v9
	v_lshl_add_u32 v1, v1, 23, 0x3c000000
	v_lshlrev_b32_e32 v11, 20, v11
	v_and_b32_e32 v12, 0x80000000, v12
	v_and_b32_e32 v11, 0x700000, v11
	v_or3_b32 v46, v11, v12, v1
.LBB361_434:                            ;   in Loop: Header=BB361_10 Depth=1
	s_or_b32 exec_lo, exec_lo, s33
.LBB361_435:                            ;   in Loop: Header=BB361_10 Depth=1
	s_or_b32 exec_lo, exec_lo, s31
.LBB361_436:                            ;   in Loop: Header=BB361_10 Depth=1
	s_or_b32 exec_lo, exec_lo, s2
	v_cmp_ne_u16_sdwa s1, v9, v2 src0_sel:BYTE_1 src1_sel:DWORD
	v_mov_b32_e32 v48, 0
	v_mov_b32_e32 v47, 0
	s_and_saveexec_b32 s2, s1
	s_cbranch_execz .LBB361_444
; %bb.437:                              ;   in Loop: Header=BB361_10 Depth=1
	v_cmp_ne_u16_sdwa s1, v9, v100 src0_sel:BYTE_1 src1_sel:DWORD
	v_bfrev_b32_e32 v47, 1
	s_and_saveexec_b32 s31, s1
	s_cbranch_execz .LBB361_443
; %bb.438:                              ;   in Loop: Header=BB361_10 Depth=1
	v_and_b32_sdwa v1, v101, v9 dst_sel:DWORD dst_unused:UNUSED_PAD src0_sel:DWORD src1_sel:BYTE_1
	v_mov_b32_e32 v47, 0x7f800001
	s_mov_b32 s33, exec_lo
	v_and_b32_e32 v12, 0x7f, v1
	v_cmpx_ne_u32_e32 0x7f, v12
	s_cbranch_execz .LBB361_442
; %bb.439:                              ;   in Loop: Header=BB361_10 Depth=1
	v_and_b32_e32 v1, 7, v1
	v_lshrrev_b32_e32 v11, 3, v12
	s_mov_b32 s34, exec_lo
	v_cmpx_gt_u32_e32 8, v12
; %bb.440:                              ;   in Loop: Header=BB361_10 Depth=1
	v_ffbh_u32_e32 v11, v1
	v_min_u32_e32 v11, 32, v11
	v_subrev_nc_u32_e32 v12, 28, v11
	v_sub_nc_u32_e32 v11, 29, v11
	v_lshlrev_b64 v[49:50], v12, v[1:2]
	v_and_b32_e32 v1, 7, v49
; %bb.441:                              ;   in Loop: Header=BB361_10 Depth=1
	s_or_b32 exec_lo, exec_lo, s34
	v_lshlrev_b32_e32 v12, 16, v9
	v_lshlrev_b32_e32 v1, 20, v1
	v_lshl_add_u32 v11, v11, 23, 0x3c000000
	v_and_b32_e32 v12, 0x80000000, v12
	v_or3_b32 v47, v1, v12, v11
.LBB361_442:                            ;   in Loop: Header=BB361_10 Depth=1
	s_or_b32 exec_lo, exec_lo, s33
.LBB361_443:                            ;   in Loop: Header=BB361_10 Depth=1
	s_or_b32 exec_lo, exec_lo, s31
.LBB361_444:                            ;   in Loop: Header=BB361_10 Depth=1
	s_or_b32 exec_lo, exec_lo, s2
	v_and_b32_sdwa v1, v9, v102 dst_sel:DWORD dst_unused:UNUSED_PAD src0_sel:WORD_1 src1_sel:DWORD
	s_mov_b32 s2, exec_lo
	v_cmpx_ne_u16_e32 0, v1
	s_cbranch_execz .LBB361_452
; %bb.445:                              ;   in Loop: Header=BB361_10 Depth=1
	v_bfrev_b32_e32 v48, 1
	s_mov_b32 s31, exec_lo
	v_cmpx_ne_u16_e32 0x80, v1
	s_cbranch_execz .LBB361_451
; %bb.446:                              ;   in Loop: Header=BB361_10 Depth=1
	v_bfe_u32 v12, v9, 16, 7
	v_mov_b32_e32 v48, 0x7f800001
	s_mov_b32 s33, exec_lo
	v_cmpx_ne_u32_e32 0x7f, v12
	s_cbranch_execz .LBB361_450
; %bb.447:                              ;   in Loop: Header=BB361_10 Depth=1
	v_and_b32_sdwa v1, v9, v103 dst_sel:DWORD dst_unused:UNUSED_PAD src0_sel:WORD_1 src1_sel:DWORD
	v_lshrrev_b32_e32 v11, 3, v12
	s_mov_b32 s34, exec_lo
	v_cmpx_gt_u32_e32 8, v12
; %bb.448:                              ;   in Loop: Header=BB361_10 Depth=1
	v_ffbh_u32_e32 v11, v1
	v_min_u32_e32 v11, 32, v11
	v_subrev_nc_u32_e32 v12, 28, v11
	v_sub_nc_u32_e32 v11, 29, v11
	v_lshlrev_b64 v[48:49], v12, v[1:2]
	v_and_b32_e32 v1, 7, v48
; %bb.449:                              ;   in Loop: Header=BB361_10 Depth=1
	s_or_b32 exec_lo, exec_lo, s34
	v_lshlrev_b32_sdwa v12, v104, v9 dst_sel:DWORD dst_unused:UNUSED_PAD src0_sel:DWORD src1_sel:WORD_1
	v_lshlrev_b32_e32 v1, 20, v1
	v_lshl_add_u32 v11, v11, 23, 0x3c000000
	v_and_b32_e32 v12, 0x80000000, v12
	v_or3_b32 v48, v1, v12, v11
.LBB361_450:                            ;   in Loop: Header=BB361_10 Depth=1
	s_or_b32 exec_lo, exec_lo, s33
.LBB361_451:                            ;   in Loop: Header=BB361_10 Depth=1
	s_or_b32 exec_lo, exec_lo, s31
.LBB361_452:                            ;   in Loop: Header=BB361_10 Depth=1
	s_or_b32 exec_lo, exec_lo, s2
	v_mov_b32_e32 v50, 0
	v_mov_b32_e32 v49, 0
	s_mov_b32 s2, exec_lo
	v_cmpx_lt_u32_e32 0xffffff, v9
	s_cbranch_execz .LBB361_460
; %bb.453:                              ;   in Loop: Header=BB361_10 Depth=1
	v_cmp_ne_u32_sdwa s1, v9, v100 src0_sel:BYTE_3 src1_sel:DWORD
	v_bfrev_b32_e32 v49, 1
	s_and_saveexec_b32 s31, s1
	s_cbranch_execz .LBB361_459
; %bb.454:                              ;   in Loop: Header=BB361_10 Depth=1
	v_bfe_u32 v12, v9, 24, 7
	v_mov_b32_e32 v49, 0x7f800001
	s_mov_b32 s33, exec_lo
	v_cmpx_ne_u32_e32 0x7f, v12
	s_cbranch_execz .LBB361_458
; %bb.455:                              ;   in Loop: Header=BB361_10 Depth=1
	v_and_b32_sdwa v1, v9, v103 dst_sel:DWORD dst_unused:UNUSED_PAD src0_sel:BYTE_3 src1_sel:DWORD
	v_lshrrev_b32_e32 v11, 3, v12
	s_mov_b32 s34, exec_lo
	v_cmpx_gt_u32_e32 8, v12
; %bb.456:                              ;   in Loop: Header=BB361_10 Depth=1
	v_ffbh_u32_e32 v11, v1
	v_min_u32_e32 v11, 32, v11
	v_subrev_nc_u32_e32 v12, 28, v11
	v_sub_nc_u32_e32 v11, 29, v11
	v_lshlrev_b64 v[51:52], v12, v[1:2]
	v_and_b32_e32 v1, 7, v51
; %bb.457:                              ;   in Loop: Header=BB361_10 Depth=1
	s_or_b32 exec_lo, exec_lo, s34
	v_lshlrev_b32_sdwa v12, v104, v9 dst_sel:DWORD dst_unused:UNUSED_PAD src0_sel:DWORD src1_sel:BYTE_3
	v_lshlrev_b32_e32 v1, 20, v1
	v_lshl_add_u32 v11, v11, 23, 0x3c000000
	v_and_b32_e32 v12, 0x80000000, v12
	v_or3_b32 v49, v1, v12, v11
.LBB361_458:                            ;   in Loop: Header=BB361_10 Depth=1
	s_or_b32 exec_lo, exec_lo, s33
.LBB361_459:                            ;   in Loop: Header=BB361_10 Depth=1
	s_or_b32 exec_lo, exec_lo, s31
.LBB361_460:                            ;   in Loop: Header=BB361_10 Depth=1
	s_or_b32 exec_lo, exec_lo, s2
	v_mov_b32_e32 v1, v10
	v_cmp_ne_u16_sdwa s1, v10, v2 src0_sel:BYTE_0 src1_sel:DWORD
	s_and_saveexec_b32 s2, s1
	s_cbranch_execz .LBB361_466
; %bb.461:                              ;   in Loop: Header=BB361_10 Depth=1
	v_cmp_ne_u16_sdwa s1, v10, v100 src0_sel:BYTE_0 src1_sel:DWORD
	v_bfrev_b32_e32 v50, 1
	s_and_saveexec_b32 s31, s1
	s_cbranch_execz .LBB361_465
; %bb.462:                              ;   in Loop: Header=BB361_10 Depth=1
	v_and_b32_e32 v11, 0x7f, v10
	v_mov_b32_e32 v50, 0x7f800001
	s_mov_b32 s33, exec_lo
	v_cmpx_ne_u32_e32 0x7f, v11
	s_cbranch_execz .LBB361_464
; %bb.463:                              ;   in Loop: Header=BB361_10 Depth=1
	v_and_b32_e32 v12, 7, v10
	v_lshrrev_b32_e32 v50, 3, v11
	v_cmp_gt_u32_e64 s1, 8, v11
	v_ffbh_u32_e32 v11, v12
	v_min_u32_e32 v11, 32, v11
	v_subrev_nc_u32_e32 v12, 28, v11
	v_sub_nc_u32_e32 v11, 29, v11
	v_cndmask_b32_e64 v50, v50, v11, s1
	v_cndmask_b32_e64 v11, 0, v12, s1
	v_lshl_add_u32 v50, v50, 23, 0x3c000000
	v_lshlrev_b64 v[11:12], v11, v[1:2]
	v_lshlrev_b32_e32 v12, 24, v1
	v_lshlrev_b32_e32 v11, 20, v11
	v_and_b32_e32 v12, 0x80000000, v12
	v_and_b32_e32 v11, 0x700000, v11
	v_or3_b32 v50, v11, v12, v50
.LBB361_464:                            ;   in Loop: Header=BB361_10 Depth=1
	s_or_b32 exec_lo, exec_lo, s33
.LBB361_465:                            ;   in Loop: Header=BB361_10 Depth=1
	s_or_b32 exec_lo, exec_lo, s31
.LBB361_466:                            ;   in Loop: Header=BB361_10 Depth=1
	s_or_b32 exec_lo, exec_lo, s2
	v_cmp_ne_u16_sdwa s1, v1, v2 src0_sel:BYTE_1 src1_sel:DWORD
	v_mov_b32_e32 v51, 0
	v_mov_b32_e32 v52, 0
	s_and_saveexec_b32 s2, s1
	s_cbranch_execz .LBB361_474
; %bb.467:                              ;   in Loop: Header=BB361_10 Depth=1
	v_cmp_ne_u16_sdwa s1, v1, v100 src0_sel:BYTE_1 src1_sel:DWORD
	v_bfrev_b32_e32 v52, 1
	s_and_saveexec_b32 s31, s1
	s_cbranch_execz .LBB361_473
; %bb.468:                              ;   in Loop: Header=BB361_10 Depth=1
	v_and_b32_sdwa v11, v101, v1 dst_sel:DWORD dst_unused:UNUSED_PAD src0_sel:DWORD src1_sel:BYTE_1
	v_mov_b32_e32 v52, 0x7f800001
	s_mov_b32 s33, exec_lo
	v_and_b32_e32 v53, 0x7f, v11
	v_cmpx_ne_u32_e32 0x7f, v53
	s_cbranch_execz .LBB361_472
; %bb.469:                              ;   in Loop: Header=BB361_10 Depth=1
	v_and_b32_e32 v11, 7, v11
	v_mov_b32_e32 v12, v2
	v_lshrrev_b32_e32 v52, 3, v53
	s_mov_b32 s34, exec_lo
	v_cmpx_gt_u32_e32 8, v53
; %bb.470:                              ;   in Loop: Header=BB361_10 Depth=1
	v_ffbh_u32_e32 v52, v11
	v_min_u32_e32 v52, 32, v52
	v_subrev_nc_u32_e32 v53, 28, v52
	v_sub_nc_u32_e32 v52, 29, v52
	v_lshlrev_b64 v[11:12], v53, v[11:12]
	v_and_b32_e32 v11, 7, v11
; %bb.471:                              ;   in Loop: Header=BB361_10 Depth=1
	s_or_b32 exec_lo, exec_lo, s34
	v_lshlrev_b32_e32 v1, 16, v1
	v_lshlrev_b32_e32 v11, 20, v11
	v_lshl_add_u32 v12, v52, 23, 0x3c000000
	v_and_b32_e32 v1, 0x80000000, v1
	v_or3_b32 v52, v11, v1, v12
.LBB361_472:                            ;   in Loop: Header=BB361_10 Depth=1
	s_or_b32 exec_lo, exec_lo, s33
.LBB361_473:                            ;   in Loop: Header=BB361_10 Depth=1
	s_or_b32 exec_lo, exec_lo, s31
.LBB361_474:                            ;   in Loop: Header=BB361_10 Depth=1
	s_or_b32 exec_lo, exec_lo, s2
	v_and_b32_sdwa v1, v10, v102 dst_sel:DWORD dst_unused:UNUSED_PAD src0_sel:WORD_1 src1_sel:DWORD
	s_mov_b32 s2, exec_lo
	v_cmpx_ne_u16_e32 0, v1
	s_cbranch_execz .LBB361_482
; %bb.475:                              ;   in Loop: Header=BB361_10 Depth=1
	v_bfrev_b32_e32 v51, 1
	s_mov_b32 s31, exec_lo
	v_cmpx_ne_u16_e32 0x80, v1
	s_cbranch_execz .LBB361_481
; %bb.476:                              ;   in Loop: Header=BB361_10 Depth=1
	v_bfe_u32 v12, v10, 16, 7
	v_mov_b32_e32 v51, 0x7f800001
	s_mov_b32 s33, exec_lo
	v_cmpx_ne_u32_e32 0x7f, v12
	s_cbranch_execz .LBB361_480
; %bb.477:                              ;   in Loop: Header=BB361_10 Depth=1
	v_and_b32_sdwa v1, v10, v103 dst_sel:DWORD dst_unused:UNUSED_PAD src0_sel:WORD_1 src1_sel:DWORD
	v_lshrrev_b32_e32 v11, 3, v12
	s_mov_b32 s34, exec_lo
	v_cmpx_gt_u32_e32 8, v12
; %bb.478:                              ;   in Loop: Header=BB361_10 Depth=1
	v_ffbh_u32_e32 v11, v1
	v_min_u32_e32 v11, 32, v11
	v_subrev_nc_u32_e32 v12, 28, v11
	v_sub_nc_u32_e32 v11, 29, v11
	v_lshlrev_b64 v[53:54], v12, v[1:2]
	v_and_b32_e32 v1, 7, v53
; %bb.479:                              ;   in Loop: Header=BB361_10 Depth=1
	s_or_b32 exec_lo, exec_lo, s34
	v_lshlrev_b32_sdwa v12, v104, v10 dst_sel:DWORD dst_unused:UNUSED_PAD src0_sel:DWORD src1_sel:WORD_1
	v_lshlrev_b32_e32 v1, 20, v1
	v_lshl_add_u32 v11, v11, 23, 0x3c000000
	v_and_b32_e32 v12, 0x80000000, v12
	v_or3_b32 v51, v1, v12, v11
.LBB361_480:                            ;   in Loop: Header=BB361_10 Depth=1
	s_or_b32 exec_lo, exec_lo, s33
.LBB361_481:                            ;   in Loop: Header=BB361_10 Depth=1
	s_or_b32 exec_lo, exec_lo, s31
.LBB361_482:                            ;   in Loop: Header=BB361_10 Depth=1
	s_or_b32 exec_lo, exec_lo, s2
	v_mov_b32_e32 v54, 0
	v_mov_b32_e32 v53, 0
	s_mov_b32 s2, exec_lo
	v_cmpx_lt_u64_e64 s[4:5], v[9:10]
	s_cbranch_execz .LBB361_490
; %bb.483:                              ;   in Loop: Header=BB361_10 Depth=1
	v_cmp_ne_u32_sdwa s1, v10, v100 src0_sel:BYTE_3 src1_sel:DWORD
	v_bfrev_b32_e32 v53, 1
	s_and_saveexec_b32 s31, s1
	s_cbranch_execz .LBB361_489
; %bb.484:                              ;   in Loop: Header=BB361_10 Depth=1
	v_bfe_u32 v11, v10, 24, 7
	v_mov_b32_e32 v53, 0x7f800001
	s_mov_b32 s33, exec_lo
	v_cmpx_ne_u32_e32 0x7f, v11
	s_cbranch_execz .LBB361_488
; %bb.485:                              ;   in Loop: Header=BB361_10 Depth=1
	v_and_b32_sdwa v1, v10, v103 dst_sel:DWORD dst_unused:UNUSED_PAD src0_sel:BYTE_3 src1_sel:DWORD
	v_lshrrev_b32_e32 v9, 3, v11
	s_mov_b32 s34, exec_lo
	v_cmpx_gt_u32_e32 8, v11
; %bb.486:                              ;   in Loop: Header=BB361_10 Depth=1
	v_ffbh_u32_e32 v9, v1
	v_min_u32_e32 v9, 32, v9
	v_subrev_nc_u32_e32 v11, 28, v9
	v_sub_nc_u32_e32 v9, 29, v9
	v_lshlrev_b64 v[11:12], v11, v[1:2]
	v_and_b32_e32 v1, 7, v11
; %bb.487:                              ;   in Loop: Header=BB361_10 Depth=1
	s_or_b32 exec_lo, exec_lo, s34
	v_lshlrev_b32_sdwa v10, v104, v10 dst_sel:DWORD dst_unused:UNUSED_PAD src0_sel:DWORD src1_sel:BYTE_3
	v_lshlrev_b32_e32 v1, 20, v1
	v_lshl_add_u32 v9, v9, 23, 0x3c000000
	v_and_b32_e32 v10, 0x80000000, v10
	v_or3_b32 v53, v1, v10, v9
.LBB361_488:                            ;   in Loop: Header=BB361_10 Depth=1
	s_or_b32 exec_lo, exec_lo, s33
.LBB361_489:                            ;   in Loop: Header=BB361_10 Depth=1
	s_or_b32 exec_lo, exec_lo, s31
.LBB361_490:                            ;   in Loop: Header=BB361_10 Depth=1
	s_or_b32 exec_lo, exec_lo, s2
	v_add_co_u32 v7, s1, 0x800, v7
	v_add_co_ci_u32_e64 v8, null, 0, v8, s1
	global_load_dwordx2 v[9:10], v[7:8], off
	s_waitcnt vmcnt(0)
	v_cmp_ne_u16_sdwa s1, v9, v2 src0_sel:BYTE_0 src1_sel:DWORD
	s_and_saveexec_b32 s2, s1
	s_cbranch_execz .LBB361_496
; %bb.491:                              ;   in Loop: Header=BB361_10 Depth=1
	v_cmp_ne_u16_sdwa s1, v9, v100 src0_sel:BYTE_0 src1_sel:DWORD
	v_bfrev_b32_e32 v54, 1
	s_and_saveexec_b32 s31, s1
	s_cbranch_execz .LBB361_495
; %bb.492:                              ;   in Loop: Header=BB361_10 Depth=1
	v_and_b32_e32 v1, 0x7f, v9
	v_mov_b32_e32 v54, 0x7f800001
	s_mov_b32 s33, exec_lo
	v_cmpx_ne_u32_e32 0x7f, v1
	s_cbranch_execz .LBB361_494
; %bb.493:                              ;   in Loop: Header=BB361_10 Depth=1
	v_and_b32_e32 v11, 7, v9
	v_lshrrev_b32_e32 v12, 3, v1
	v_cmp_gt_u32_e64 s1, 8, v1
	v_ffbh_u32_e32 v1, v11
	v_min_u32_e32 v1, 32, v1
	v_subrev_nc_u32_e32 v11, 28, v1
	v_sub_nc_u32_e32 v1, 29, v1
	v_cndmask_b32_e64 v11, 0, v11, s1
	v_cndmask_b32_e64 v1, v12, v1, s1
	v_lshlrev_b64 v[11:12], v11, v[9:10]
	v_lshlrev_b32_e32 v12, 24, v9
	v_lshl_add_u32 v1, v1, 23, 0x3c000000
	v_lshlrev_b32_e32 v11, 20, v11
	v_and_b32_e32 v12, 0x80000000, v12
	v_and_b32_e32 v11, 0x700000, v11
	v_or3_b32 v54, v11, v12, v1
.LBB361_494:                            ;   in Loop: Header=BB361_10 Depth=1
	s_or_b32 exec_lo, exec_lo, s33
.LBB361_495:                            ;   in Loop: Header=BB361_10 Depth=1
	s_or_b32 exec_lo, exec_lo, s31
.LBB361_496:                            ;   in Loop: Header=BB361_10 Depth=1
	s_or_b32 exec_lo, exec_lo, s2
	v_cmp_ne_u16_sdwa s1, v9, v2 src0_sel:BYTE_1 src1_sel:DWORD
	v_mov_b32_e32 v56, 0
	v_mov_b32_e32 v55, 0
	s_and_saveexec_b32 s2, s1
	s_cbranch_execz .LBB361_504
; %bb.497:                              ;   in Loop: Header=BB361_10 Depth=1
	v_cmp_ne_u16_sdwa s1, v9, v100 src0_sel:BYTE_1 src1_sel:DWORD
	v_bfrev_b32_e32 v55, 1
	s_and_saveexec_b32 s31, s1
	s_cbranch_execz .LBB361_503
; %bb.498:                              ;   in Loop: Header=BB361_10 Depth=1
	v_and_b32_sdwa v1, v101, v9 dst_sel:DWORD dst_unused:UNUSED_PAD src0_sel:DWORD src1_sel:BYTE_1
	v_mov_b32_e32 v55, 0x7f800001
	s_mov_b32 s33, exec_lo
	v_and_b32_e32 v12, 0x7f, v1
	v_cmpx_ne_u32_e32 0x7f, v12
	s_cbranch_execz .LBB361_502
; %bb.499:                              ;   in Loop: Header=BB361_10 Depth=1
	v_and_b32_e32 v1, 7, v1
	v_lshrrev_b32_e32 v11, 3, v12
	s_mov_b32 s34, exec_lo
	v_cmpx_gt_u32_e32 8, v12
; %bb.500:                              ;   in Loop: Header=BB361_10 Depth=1
	v_ffbh_u32_e32 v11, v1
	v_min_u32_e32 v11, 32, v11
	v_subrev_nc_u32_e32 v12, 28, v11
	v_sub_nc_u32_e32 v11, 29, v11
	v_lshlrev_b64 v[57:58], v12, v[1:2]
	v_and_b32_e32 v1, 7, v57
; %bb.501:                              ;   in Loop: Header=BB361_10 Depth=1
	s_or_b32 exec_lo, exec_lo, s34
	v_lshlrev_b32_e32 v12, 16, v9
	v_lshlrev_b32_e32 v1, 20, v1
	v_lshl_add_u32 v11, v11, 23, 0x3c000000
	v_and_b32_e32 v12, 0x80000000, v12
	v_or3_b32 v55, v1, v12, v11
.LBB361_502:                            ;   in Loop: Header=BB361_10 Depth=1
	s_or_b32 exec_lo, exec_lo, s33
.LBB361_503:                            ;   in Loop: Header=BB361_10 Depth=1
	s_or_b32 exec_lo, exec_lo, s31
.LBB361_504:                            ;   in Loop: Header=BB361_10 Depth=1
	s_or_b32 exec_lo, exec_lo, s2
	v_and_b32_sdwa v1, v9, v102 dst_sel:DWORD dst_unused:UNUSED_PAD src0_sel:WORD_1 src1_sel:DWORD
	s_mov_b32 s2, exec_lo
	v_cmpx_ne_u16_e32 0, v1
	s_cbranch_execz .LBB361_512
; %bb.505:                              ;   in Loop: Header=BB361_10 Depth=1
	v_bfrev_b32_e32 v56, 1
	s_mov_b32 s31, exec_lo
	v_cmpx_ne_u16_e32 0x80, v1
	s_cbranch_execz .LBB361_511
; %bb.506:                              ;   in Loop: Header=BB361_10 Depth=1
	v_bfe_u32 v12, v9, 16, 7
	v_mov_b32_e32 v56, 0x7f800001
	s_mov_b32 s33, exec_lo
	v_cmpx_ne_u32_e32 0x7f, v12
	s_cbranch_execz .LBB361_510
; %bb.507:                              ;   in Loop: Header=BB361_10 Depth=1
	v_and_b32_sdwa v1, v9, v103 dst_sel:DWORD dst_unused:UNUSED_PAD src0_sel:WORD_1 src1_sel:DWORD
	v_lshrrev_b32_e32 v11, 3, v12
	s_mov_b32 s34, exec_lo
	v_cmpx_gt_u32_e32 8, v12
; %bb.508:                              ;   in Loop: Header=BB361_10 Depth=1
	v_ffbh_u32_e32 v11, v1
	v_min_u32_e32 v11, 32, v11
	v_subrev_nc_u32_e32 v12, 28, v11
	v_sub_nc_u32_e32 v11, 29, v11
	v_lshlrev_b64 v[56:57], v12, v[1:2]
	v_and_b32_e32 v1, 7, v56
; %bb.509:                              ;   in Loop: Header=BB361_10 Depth=1
	s_or_b32 exec_lo, exec_lo, s34
	v_lshlrev_b32_sdwa v12, v104, v9 dst_sel:DWORD dst_unused:UNUSED_PAD src0_sel:DWORD src1_sel:WORD_1
	v_lshlrev_b32_e32 v1, 20, v1
	v_lshl_add_u32 v11, v11, 23, 0x3c000000
	v_and_b32_e32 v12, 0x80000000, v12
	v_or3_b32 v56, v1, v12, v11
.LBB361_510:                            ;   in Loop: Header=BB361_10 Depth=1
	s_or_b32 exec_lo, exec_lo, s33
.LBB361_511:                            ;   in Loop: Header=BB361_10 Depth=1
	s_or_b32 exec_lo, exec_lo, s31
.LBB361_512:                            ;   in Loop: Header=BB361_10 Depth=1
	s_or_b32 exec_lo, exec_lo, s2
	v_mov_b32_e32 v59, 0
	v_mov_b32_e32 v58, 0
	s_mov_b32 s2, exec_lo
	v_cmpx_lt_u32_e32 0xffffff, v9
	s_cbranch_execz .LBB361_520
; %bb.513:                              ;   in Loop: Header=BB361_10 Depth=1
	v_cmp_ne_u32_sdwa s1, v9, v100 src0_sel:BYTE_3 src1_sel:DWORD
	v_bfrev_b32_e32 v58, 1
	s_and_saveexec_b32 s31, s1
	s_cbranch_execz .LBB361_519
; %bb.514:                              ;   in Loop: Header=BB361_10 Depth=1
	v_bfe_u32 v12, v9, 24, 7
	v_mov_b32_e32 v58, 0x7f800001
	s_mov_b32 s33, exec_lo
	v_cmpx_ne_u32_e32 0x7f, v12
	s_cbranch_execz .LBB361_518
; %bb.515:                              ;   in Loop: Header=BB361_10 Depth=1
	v_and_b32_sdwa v1, v9, v103 dst_sel:DWORD dst_unused:UNUSED_PAD src0_sel:BYTE_3 src1_sel:DWORD
	v_lshrrev_b32_e32 v11, 3, v12
	s_mov_b32 s34, exec_lo
	v_cmpx_gt_u32_e32 8, v12
; %bb.516:                              ;   in Loop: Header=BB361_10 Depth=1
	v_ffbh_u32_e32 v11, v1
	v_min_u32_e32 v11, 32, v11
	v_subrev_nc_u32_e32 v12, 28, v11
	v_sub_nc_u32_e32 v11, 29, v11
	v_lshlrev_b64 v[57:58], v12, v[1:2]
	v_and_b32_e32 v1, 7, v57
; %bb.517:                              ;   in Loop: Header=BB361_10 Depth=1
	s_or_b32 exec_lo, exec_lo, s34
	v_lshlrev_b32_sdwa v12, v104, v9 dst_sel:DWORD dst_unused:UNUSED_PAD src0_sel:DWORD src1_sel:BYTE_3
	v_lshlrev_b32_e32 v1, 20, v1
	v_lshl_add_u32 v11, v11, 23, 0x3c000000
	v_and_b32_e32 v12, 0x80000000, v12
	v_or3_b32 v58, v1, v12, v11
.LBB361_518:                            ;   in Loop: Header=BB361_10 Depth=1
	s_or_b32 exec_lo, exec_lo, s33
.LBB361_519:                            ;   in Loop: Header=BB361_10 Depth=1
	s_or_b32 exec_lo, exec_lo, s31
.LBB361_520:                            ;   in Loop: Header=BB361_10 Depth=1
	s_or_b32 exec_lo, exec_lo, s2
	v_mov_b32_e32 v1, v10
	v_cmp_ne_u16_sdwa s1, v10, v2 src0_sel:BYTE_0 src1_sel:DWORD
	s_and_saveexec_b32 s2, s1
	s_cbranch_execz .LBB361_526
; %bb.521:                              ;   in Loop: Header=BB361_10 Depth=1
	v_cmp_ne_u16_sdwa s1, v10, v100 src0_sel:BYTE_0 src1_sel:DWORD
	v_bfrev_b32_e32 v59, 1
	s_and_saveexec_b32 s31, s1
	s_cbranch_execz .LBB361_525
; %bb.522:                              ;   in Loop: Header=BB361_10 Depth=1
	v_and_b32_e32 v11, 0x7f, v10
	v_mov_b32_e32 v59, 0x7f800001
	s_mov_b32 s33, exec_lo
	v_cmpx_ne_u32_e32 0x7f, v11
	s_cbranch_execz .LBB361_524
; %bb.523:                              ;   in Loop: Header=BB361_10 Depth=1
	v_and_b32_e32 v12, 7, v10
	v_lshrrev_b32_e32 v57, 3, v11
	v_cmp_gt_u32_e64 s1, 8, v11
	v_ffbh_u32_e32 v11, v12
	v_min_u32_e32 v11, 32, v11
	v_subrev_nc_u32_e32 v12, 28, v11
	v_sub_nc_u32_e32 v11, 29, v11
	v_cndmask_b32_e64 v57, v57, v11, s1
	v_cndmask_b32_e64 v11, 0, v12, s1
	v_lshl_add_u32 v57, v57, 23, 0x3c000000
	v_lshlrev_b64 v[11:12], v11, v[1:2]
	v_lshlrev_b32_e32 v12, 24, v1
	v_lshlrev_b32_e32 v11, 20, v11
	v_and_b32_e32 v12, 0x80000000, v12
	v_and_b32_e32 v11, 0x700000, v11
	v_or3_b32 v59, v11, v12, v57
.LBB361_524:                            ;   in Loop: Header=BB361_10 Depth=1
	s_or_b32 exec_lo, exec_lo, s33
.LBB361_525:                            ;   in Loop: Header=BB361_10 Depth=1
	s_or_b32 exec_lo, exec_lo, s31
.LBB361_526:                            ;   in Loop: Header=BB361_10 Depth=1
	s_or_b32 exec_lo, exec_lo, s2
	v_cmp_ne_u16_sdwa s1, v1, v2 src0_sel:BYTE_1 src1_sel:DWORD
	v_mov_b32_e32 v62, 0
	v_mov_b32_e32 v64, 0
	s_and_saveexec_b32 s2, s1
	s_cbranch_execz .LBB361_534
; %bb.527:                              ;   in Loop: Header=BB361_10 Depth=1
	v_cmp_ne_u16_sdwa s1, v1, v100 src0_sel:BYTE_1 src1_sel:DWORD
	v_bfrev_b32_e32 v64, 1
	s_and_saveexec_b32 s31, s1
	s_cbranch_execz .LBB361_533
; %bb.528:                              ;   in Loop: Header=BB361_10 Depth=1
	v_and_b32_sdwa v11, v101, v1 dst_sel:DWORD dst_unused:UNUSED_PAD src0_sel:DWORD src1_sel:BYTE_1
	v_mov_b32_e32 v64, 0x7f800001
	s_mov_b32 s33, exec_lo
	v_and_b32_e32 v60, 0x7f, v11
	v_cmpx_ne_u32_e32 0x7f, v60
	s_cbranch_execz .LBB361_532
; %bb.529:                              ;   in Loop: Header=BB361_10 Depth=1
	v_and_b32_e32 v11, 7, v11
	v_mov_b32_e32 v12, v2
	v_lshrrev_b32_e32 v57, 3, v60
	s_mov_b32 s34, exec_lo
	v_cmpx_gt_u32_e32 8, v60
; %bb.530:                              ;   in Loop: Header=BB361_10 Depth=1
	v_ffbh_u32_e32 v57, v11
	v_min_u32_e32 v57, 32, v57
	v_subrev_nc_u32_e32 v60, 28, v57
	v_sub_nc_u32_e32 v57, 29, v57
	v_lshlrev_b64 v[11:12], v60, v[11:12]
	v_and_b32_e32 v11, 7, v11
; %bb.531:                              ;   in Loop: Header=BB361_10 Depth=1
	s_or_b32 exec_lo, exec_lo, s34
	v_lshlrev_b32_e32 v1, 16, v1
	v_lshlrev_b32_e32 v11, 20, v11
	v_lshl_add_u32 v12, v57, 23, 0x3c000000
	v_and_b32_e32 v1, 0x80000000, v1
	v_or3_b32 v64, v11, v1, v12
.LBB361_532:                            ;   in Loop: Header=BB361_10 Depth=1
	s_or_b32 exec_lo, exec_lo, s33
.LBB361_533:                            ;   in Loop: Header=BB361_10 Depth=1
	s_or_b32 exec_lo, exec_lo, s31
.LBB361_534:                            ;   in Loop: Header=BB361_10 Depth=1
	s_or_b32 exec_lo, exec_lo, s2
	v_and_b32_sdwa v1, v10, v102 dst_sel:DWORD dst_unused:UNUSED_PAD src0_sel:WORD_1 src1_sel:DWORD
	s_mov_b32 s2, exec_lo
	v_cmpx_ne_u16_e32 0, v1
	s_cbranch_execz .LBB361_542
; %bb.535:                              ;   in Loop: Header=BB361_10 Depth=1
	v_bfrev_b32_e32 v62, 1
	s_mov_b32 s31, exec_lo
	v_cmpx_ne_u16_e32 0x80, v1
	s_cbranch_execz .LBB361_541
; %bb.536:                              ;   in Loop: Header=BB361_10 Depth=1
	v_bfe_u32 v12, v10, 16, 7
	v_mov_b32_e32 v62, 0x7f800001
	s_mov_b32 s33, exec_lo
	v_cmpx_ne_u32_e32 0x7f, v12
	s_cbranch_execz .LBB361_540
; %bb.537:                              ;   in Loop: Header=BB361_10 Depth=1
	v_and_b32_sdwa v1, v10, v103 dst_sel:DWORD dst_unused:UNUSED_PAD src0_sel:WORD_1 src1_sel:DWORD
	v_lshrrev_b32_e32 v11, 3, v12
	s_mov_b32 s34, exec_lo
	v_cmpx_gt_u32_e32 8, v12
; %bb.538:                              ;   in Loop: Header=BB361_10 Depth=1
	v_ffbh_u32_e32 v11, v1
	v_min_u32_e32 v11, 32, v11
	v_subrev_nc_u32_e32 v12, 28, v11
	v_sub_nc_u32_e32 v11, 29, v11
	v_lshlrev_b64 v[60:61], v12, v[1:2]
	v_and_b32_e32 v1, 7, v60
; %bb.539:                              ;   in Loop: Header=BB361_10 Depth=1
	s_or_b32 exec_lo, exec_lo, s34
	v_lshlrev_b32_sdwa v12, v104, v10 dst_sel:DWORD dst_unused:UNUSED_PAD src0_sel:DWORD src1_sel:WORD_1
	v_lshlrev_b32_e32 v1, 20, v1
	v_lshl_add_u32 v11, v11, 23, 0x3c000000
	v_and_b32_e32 v12, 0x80000000, v12
	v_or3_b32 v62, v1, v12, v11
.LBB361_540:                            ;   in Loop: Header=BB361_10 Depth=1
	s_or_b32 exec_lo, exec_lo, s33
.LBB361_541:                            ;   in Loop: Header=BB361_10 Depth=1
	s_or_b32 exec_lo, exec_lo, s31
.LBB361_542:                            ;   in Loop: Header=BB361_10 Depth=1
	s_or_b32 exec_lo, exec_lo, s2
	v_mov_b32_e32 v11, 0
	v_mov_b32_e32 v66, 0
	s_mov_b32 s2, exec_lo
	v_cmpx_lt_u64_e64 s[4:5], v[9:10]
	s_cbranch_execz .LBB361_550
; %bb.543:                              ;   in Loop: Header=BB361_10 Depth=1
	v_cmp_ne_u32_sdwa s1, v10, v100 src0_sel:BYTE_3 src1_sel:DWORD
	v_bfrev_b32_e32 v66, 1
	s_and_saveexec_b32 s31, s1
	s_cbranch_execz .LBB361_549
; %bb.544:                              ;   in Loop: Header=BB361_10 Depth=1
	v_bfe_u32 v12, v10, 24, 7
	v_mov_b32_e32 v66, 0x7f800001
	s_mov_b32 s33, exec_lo
	v_cmpx_ne_u32_e32 0x7f, v12
	s_cbranch_execz .LBB361_548
; %bb.545:                              ;   in Loop: Header=BB361_10 Depth=1
	v_and_b32_sdwa v1, v10, v103 dst_sel:DWORD dst_unused:UNUSED_PAD src0_sel:BYTE_3 src1_sel:DWORD
	v_lshrrev_b32_e32 v9, 3, v12
	s_mov_b32 s34, exec_lo
	v_cmpx_gt_u32_e32 8, v12
; %bb.546:                              ;   in Loop: Header=BB361_10 Depth=1
	v_ffbh_u32_e32 v9, v1
	v_min_u32_e32 v9, 32, v9
	v_subrev_nc_u32_e32 v12, 28, v9
	v_sub_nc_u32_e32 v9, 29, v9
	v_lshlrev_b64 v[60:61], v12, v[1:2]
	v_and_b32_e32 v1, 7, v60
; %bb.547:                              ;   in Loop: Header=BB361_10 Depth=1
	s_or_b32 exec_lo, exec_lo, s34
	v_lshlrev_b32_sdwa v10, v104, v10 dst_sel:DWORD dst_unused:UNUSED_PAD src0_sel:DWORD src1_sel:BYTE_3
	v_lshlrev_b32_e32 v1, 20, v1
	v_lshl_add_u32 v9, v9, 23, 0x3c000000
	v_and_b32_e32 v10, 0x80000000, v10
	v_or3_b32 v66, v1, v10, v9
.LBB361_548:                            ;   in Loop: Header=BB361_10 Depth=1
	s_or_b32 exec_lo, exec_lo, s33
.LBB361_549:                            ;   in Loop: Header=BB361_10 Depth=1
	s_or_b32 exec_lo, exec_lo, s31
.LBB361_550:                            ;   in Loop: Header=BB361_10 Depth=1
	s_or_b32 exec_lo, exec_lo, s2
	global_load_dwordx2 v[7:8], v[7:8], off offset:8
	s_waitcnt vmcnt(0)
	v_cmp_ne_u16_sdwa s1, v7, v2 src0_sel:BYTE_0 src1_sel:DWORD
	s_and_saveexec_b32 s2, s1
	s_cbranch_execz .LBB361_556
; %bb.551:                              ;   in Loop: Header=BB361_10 Depth=1
	v_cmp_ne_u16_sdwa s1, v7, v100 src0_sel:BYTE_0 src1_sel:DWORD
	v_bfrev_b32_e32 v11, 1
	s_and_saveexec_b32 s31, s1
	s_cbranch_execz .LBB361_555
; %bb.552:                              ;   in Loop: Header=BB361_10 Depth=1
	v_and_b32_e32 v1, 0x7f, v7
	v_mov_b32_e32 v11, 0x7f800001
	s_mov_b32 s33, exec_lo
	v_cmpx_ne_u32_e32 0x7f, v1
	s_cbranch_execz .LBB361_554
; %bb.553:                              ;   in Loop: Header=BB361_10 Depth=1
	v_and_b32_e32 v9, 7, v7
	v_lshrrev_b32_e32 v10, 3, v1
	v_cmp_gt_u32_e64 s1, 8, v1
	v_ffbh_u32_e32 v1, v9
	v_min_u32_e32 v1, 32, v1
	v_subrev_nc_u32_e32 v9, 28, v1
	v_sub_nc_u32_e32 v1, 29, v1
	v_cndmask_b32_e64 v9, 0, v9, s1
	v_cndmask_b32_e64 v1, v10, v1, s1
	v_lshlrev_b64 v[9:10], v9, v[7:8]
	v_lshlrev_b32_e32 v10, 24, v7
	v_lshl_add_u32 v1, v1, 23, 0x3c000000
	v_lshlrev_b32_e32 v9, 20, v9
	v_and_b32_e32 v10, 0x80000000, v10
	v_and_b32_e32 v9, 0x700000, v9
	v_or3_b32 v11, v9, v10, v1
.LBB361_554:                            ;   in Loop: Header=BB361_10 Depth=1
	s_or_b32 exec_lo, exec_lo, s33
.LBB361_555:                            ;   in Loop: Header=BB361_10 Depth=1
	s_or_b32 exec_lo, exec_lo, s31
.LBB361_556:                            ;   in Loop: Header=BB361_10 Depth=1
	s_or_b32 exec_lo, exec_lo, s2
	v_cmp_ne_u16_sdwa s1, v7, v2 src0_sel:BYTE_1 src1_sel:DWORD
	v_mov_b32_e32 v57, 0
	v_mov_b32_e32 v12, 0
	s_and_saveexec_b32 s2, s1
	s_cbranch_execz .LBB361_564
; %bb.557:                              ;   in Loop: Header=BB361_10 Depth=1
	v_cmp_ne_u16_sdwa s1, v7, v100 src0_sel:BYTE_1 src1_sel:DWORD
	v_bfrev_b32_e32 v12, 1
	s_and_saveexec_b32 s31, s1
	s_cbranch_execz .LBB361_563
; %bb.558:                              ;   in Loop: Header=BB361_10 Depth=1
	v_and_b32_sdwa v1, v101, v7 dst_sel:DWORD dst_unused:UNUSED_PAD src0_sel:DWORD src1_sel:BYTE_1
	v_mov_b32_e32 v12, 0x7f800001
	s_mov_b32 s33, exec_lo
	v_and_b32_e32 v10, 0x7f, v1
	v_cmpx_ne_u32_e32 0x7f, v10
	s_cbranch_execz .LBB361_562
; %bb.559:                              ;   in Loop: Header=BB361_10 Depth=1
	v_and_b32_e32 v1, 7, v1
	v_lshrrev_b32_e32 v9, 3, v10
	s_mov_b32 s34, exec_lo
	v_cmpx_gt_u32_e32 8, v10
; %bb.560:                              ;   in Loop: Header=BB361_10 Depth=1
	v_ffbh_u32_e32 v9, v1
	v_min_u32_e32 v9, 32, v9
	v_subrev_nc_u32_e32 v10, 28, v9
	v_sub_nc_u32_e32 v9, 29, v9
	v_lshlrev_b64 v[60:61], v10, v[1:2]
	v_and_b32_e32 v1, 7, v60
; %bb.561:                              ;   in Loop: Header=BB361_10 Depth=1
	s_or_b32 exec_lo, exec_lo, s34
	v_lshlrev_b32_e32 v10, 16, v7
	v_lshlrev_b32_e32 v1, 20, v1
	v_lshl_add_u32 v9, v9, 23, 0x3c000000
	v_and_b32_e32 v10, 0x80000000, v10
	v_or3_b32 v12, v1, v10, v9
.LBB361_562:                            ;   in Loop: Header=BB361_10 Depth=1
	s_or_b32 exec_lo, exec_lo, s33
.LBB361_563:                            ;   in Loop: Header=BB361_10 Depth=1
	s_or_b32 exec_lo, exec_lo, s31
.LBB361_564:                            ;   in Loop: Header=BB361_10 Depth=1
	s_or_b32 exec_lo, exec_lo, s2
	v_and_b32_sdwa v1, v7, v102 dst_sel:DWORD dst_unused:UNUSED_PAD src0_sel:WORD_1 src1_sel:DWORD
	s_mov_b32 s2, exec_lo
	v_cmpx_ne_u16_e32 0, v1
	s_cbranch_execz .LBB361_572
; %bb.565:                              ;   in Loop: Header=BB361_10 Depth=1
	v_bfrev_b32_e32 v57, 1
	s_mov_b32 s31, exec_lo
	v_cmpx_ne_u16_e32 0x80, v1
	s_cbranch_execz .LBB361_571
; %bb.566:                              ;   in Loop: Header=BB361_10 Depth=1
	v_bfe_u32 v10, v7, 16, 7
	v_mov_b32_e32 v57, 0x7f800001
	s_mov_b32 s33, exec_lo
	v_cmpx_ne_u32_e32 0x7f, v10
	s_cbranch_execz .LBB361_570
; %bb.567:                              ;   in Loop: Header=BB361_10 Depth=1
	v_and_b32_sdwa v1, v7, v103 dst_sel:DWORD dst_unused:UNUSED_PAD src0_sel:WORD_1 src1_sel:DWORD
	v_lshrrev_b32_e32 v9, 3, v10
	s_mov_b32 s34, exec_lo
	v_cmpx_gt_u32_e32 8, v10
; %bb.568:                              ;   in Loop: Header=BB361_10 Depth=1
	v_ffbh_u32_e32 v9, v1
	v_min_u32_e32 v9, 32, v9
	v_subrev_nc_u32_e32 v10, 28, v9
	v_sub_nc_u32_e32 v9, 29, v9
	v_lshlrev_b64 v[60:61], v10, v[1:2]
	v_and_b32_e32 v1, 7, v60
; %bb.569:                              ;   in Loop: Header=BB361_10 Depth=1
	s_or_b32 exec_lo, exec_lo, s34
	v_lshlrev_b32_sdwa v10, v104, v7 dst_sel:DWORD dst_unused:UNUSED_PAD src0_sel:DWORD src1_sel:WORD_1
	v_lshlrev_b32_e32 v1, 20, v1
	v_lshl_add_u32 v9, v9, 23, 0x3c000000
	v_and_b32_e32 v10, 0x80000000, v10
	v_or3_b32 v57, v1, v10, v9
.LBB361_570:                            ;   in Loop: Header=BB361_10 Depth=1
	s_or_b32 exec_lo, exec_lo, s33
.LBB361_571:                            ;   in Loop: Header=BB361_10 Depth=1
	s_or_b32 exec_lo, exec_lo, s31
.LBB361_572:                            ;   in Loop: Header=BB361_10 Depth=1
	s_or_b32 exec_lo, exec_lo, s2
	v_mov_b32_e32 v61, 0
	v_mov_b32_e32 v60, 0
	s_mov_b32 s2, exec_lo
	v_cmpx_lt_u32_e32 0xffffff, v7
	s_cbranch_execz .LBB361_580
; %bb.573:                              ;   in Loop: Header=BB361_10 Depth=1
	v_cmp_ne_u32_sdwa s1, v7, v100 src0_sel:BYTE_3 src1_sel:DWORD
	v_bfrev_b32_e32 v60, 1
	s_and_saveexec_b32 s31, s1
	s_cbranch_execz .LBB361_579
; %bb.574:                              ;   in Loop: Header=BB361_10 Depth=1
	v_bfe_u32 v10, v7, 24, 7
	v_mov_b32_e32 v60, 0x7f800001
	s_mov_b32 s33, exec_lo
	v_cmpx_ne_u32_e32 0x7f, v10
	s_cbranch_execz .LBB361_578
; %bb.575:                              ;   in Loop: Header=BB361_10 Depth=1
	v_and_b32_sdwa v1, v7, v103 dst_sel:DWORD dst_unused:UNUSED_PAD src0_sel:BYTE_3 src1_sel:DWORD
	v_lshrrev_b32_e32 v9, 3, v10
	s_mov_b32 s34, exec_lo
	v_cmpx_gt_u32_e32 8, v10
; %bb.576:                              ;   in Loop: Header=BB361_10 Depth=1
	v_ffbh_u32_e32 v9, v1
	v_min_u32_e32 v9, 32, v9
	v_subrev_nc_u32_e32 v10, 28, v9
	v_sub_nc_u32_e32 v9, 29, v9
	v_lshlrev_b64 v[67:68], v10, v[1:2]
	v_and_b32_e32 v1, 7, v67
; %bb.577:                              ;   in Loop: Header=BB361_10 Depth=1
	s_or_b32 exec_lo, exec_lo, s34
	v_lshlrev_b32_sdwa v10, v104, v7 dst_sel:DWORD dst_unused:UNUSED_PAD src0_sel:DWORD src1_sel:BYTE_3
	v_lshlrev_b32_e32 v1, 20, v1
	v_lshl_add_u32 v9, v9, 23, 0x3c000000
	v_and_b32_e32 v10, 0x80000000, v10
	v_or3_b32 v60, v1, v10, v9
.LBB361_578:                            ;   in Loop: Header=BB361_10 Depth=1
	s_or_b32 exec_lo, exec_lo, s33
.LBB361_579:                            ;   in Loop: Header=BB361_10 Depth=1
	s_or_b32 exec_lo, exec_lo, s31
.LBB361_580:                            ;   in Loop: Header=BB361_10 Depth=1
	s_or_b32 exec_lo, exec_lo, s2
	v_mov_b32_e32 v1, v8
	v_cmp_ne_u16_sdwa s1, v8, v2 src0_sel:BYTE_0 src1_sel:DWORD
	s_and_saveexec_b32 s2, s1
	s_cbranch_execz .LBB361_586
; %bb.581:                              ;   in Loop: Header=BB361_10 Depth=1
	v_cmp_ne_u16_sdwa s1, v8, v100 src0_sel:BYTE_0 src1_sel:DWORD
	v_bfrev_b32_e32 v61, 1
	s_and_saveexec_b32 s31, s1
	s_cbranch_execz .LBB361_585
; %bb.582:                              ;   in Loop: Header=BB361_10 Depth=1
	v_and_b32_e32 v9, 0x7f, v8
	v_mov_b32_e32 v61, 0x7f800001
	s_mov_b32 s33, exec_lo
	v_cmpx_ne_u32_e32 0x7f, v9
	s_cbranch_execz .LBB361_584
; %bb.583:                              ;   in Loop: Header=BB361_10 Depth=1
	v_and_b32_e32 v10, 7, v8
	v_lshrrev_b32_e32 v61, 3, v9
	v_cmp_gt_u32_e64 s1, 8, v9
	v_ffbh_u32_e32 v9, v10
	v_min_u32_e32 v9, 32, v9
	v_subrev_nc_u32_e32 v10, 28, v9
	v_sub_nc_u32_e32 v9, 29, v9
	v_cndmask_b32_e64 v61, v61, v9, s1
	v_cndmask_b32_e64 v9, 0, v10, s1
	v_lshl_add_u32 v61, v61, 23, 0x3c000000
	v_lshlrev_b64 v[9:10], v9, v[1:2]
	v_lshlrev_b32_e32 v10, 24, v1
	v_lshlrev_b32_e32 v9, 20, v9
	v_and_b32_e32 v10, 0x80000000, v10
	v_and_b32_e32 v9, 0x700000, v9
	v_or3_b32 v61, v9, v10, v61
.LBB361_584:                            ;   in Loop: Header=BB361_10 Depth=1
	s_or_b32 exec_lo, exec_lo, s33
.LBB361_585:                            ;   in Loop: Header=BB361_10 Depth=1
	s_or_b32 exec_lo, exec_lo, s31
.LBB361_586:                            ;   in Loop: Header=BB361_10 Depth=1
	s_or_b32 exec_lo, exec_lo, s2
	v_cmp_ne_u16_sdwa s1, v1, v2 src0_sel:BYTE_1 src1_sel:DWORD
	v_mov_b32_e32 v63, 0
	v_mov_b32_e32 v65, 0
	s_and_saveexec_b32 s2, s1
	s_cbranch_execz .LBB361_594
; %bb.587:                              ;   in Loop: Header=BB361_10 Depth=1
	v_cmp_ne_u16_sdwa s1, v1, v100 src0_sel:BYTE_1 src1_sel:DWORD
	v_bfrev_b32_e32 v65, 1
	s_and_saveexec_b32 s31, s1
	s_cbranch_execz .LBB361_593
; %bb.588:                              ;   in Loop: Header=BB361_10 Depth=1
	v_and_b32_sdwa v9, v101, v1 dst_sel:DWORD dst_unused:UNUSED_PAD src0_sel:DWORD src1_sel:BYTE_1
	v_mov_b32_e32 v65, 0x7f800001
	s_mov_b32 s33, exec_lo
	v_and_b32_e32 v67, 0x7f, v9
	v_cmpx_ne_u32_e32 0x7f, v67
	s_cbranch_execz .LBB361_592
; %bb.589:                              ;   in Loop: Header=BB361_10 Depth=1
	v_and_b32_e32 v9, 7, v9
	v_mov_b32_e32 v10, v2
	v_lshrrev_b32_e32 v65, 3, v67
	s_mov_b32 s34, exec_lo
	v_cmpx_gt_u32_e32 8, v67
; %bb.590:                              ;   in Loop: Header=BB361_10 Depth=1
	v_ffbh_u32_e32 v65, v9
	v_min_u32_e32 v65, 32, v65
	v_subrev_nc_u32_e32 v67, 28, v65
	v_sub_nc_u32_e32 v65, 29, v65
	v_lshlrev_b64 v[9:10], v67, v[9:10]
	v_and_b32_e32 v9, 7, v9
; %bb.591:                              ;   in Loop: Header=BB361_10 Depth=1
	s_or_b32 exec_lo, exec_lo, s34
	v_lshlrev_b32_e32 v1, 16, v1
	v_lshlrev_b32_e32 v9, 20, v9
	v_lshl_add_u32 v10, v65, 23, 0x3c000000
	v_and_b32_e32 v1, 0x80000000, v1
	v_or3_b32 v65, v9, v1, v10
.LBB361_592:                            ;   in Loop: Header=BB361_10 Depth=1
	s_or_b32 exec_lo, exec_lo, s33
.LBB361_593:                            ;   in Loop: Header=BB361_10 Depth=1
	s_or_b32 exec_lo, exec_lo, s31
.LBB361_594:                            ;   in Loop: Header=BB361_10 Depth=1
	s_or_b32 exec_lo, exec_lo, s2
	v_and_b32_sdwa v1, v8, v102 dst_sel:DWORD dst_unused:UNUSED_PAD src0_sel:WORD_1 src1_sel:DWORD
	s_mov_b32 s2, exec_lo
	v_cmpx_ne_u16_e32 0, v1
	s_cbranch_execz .LBB361_602
; %bb.595:                              ;   in Loop: Header=BB361_10 Depth=1
	v_bfrev_b32_e32 v63, 1
	s_mov_b32 s31, exec_lo
	v_cmpx_ne_u16_e32 0x80, v1
	s_cbranch_execz .LBB361_601
; %bb.596:                              ;   in Loop: Header=BB361_10 Depth=1
	v_bfe_u32 v10, v8, 16, 7
	v_mov_b32_e32 v63, 0x7f800001
	s_mov_b32 s33, exec_lo
	v_cmpx_ne_u32_e32 0x7f, v10
	s_cbranch_execz .LBB361_600
; %bb.597:                              ;   in Loop: Header=BB361_10 Depth=1
	v_and_b32_sdwa v1, v8, v103 dst_sel:DWORD dst_unused:UNUSED_PAD src0_sel:WORD_1 src1_sel:DWORD
	v_lshrrev_b32_e32 v9, 3, v10
	s_mov_b32 s34, exec_lo
	v_cmpx_gt_u32_e32 8, v10
; %bb.598:                              ;   in Loop: Header=BB361_10 Depth=1
	v_ffbh_u32_e32 v9, v1
	v_min_u32_e32 v9, 32, v9
	v_subrev_nc_u32_e32 v10, 28, v9
	v_sub_nc_u32_e32 v9, 29, v9
	v_lshlrev_b64 v[67:68], v10, v[1:2]
	v_and_b32_e32 v1, 7, v67
; %bb.599:                              ;   in Loop: Header=BB361_10 Depth=1
	s_or_b32 exec_lo, exec_lo, s34
	v_lshlrev_b32_sdwa v10, v104, v8 dst_sel:DWORD dst_unused:UNUSED_PAD src0_sel:DWORD src1_sel:WORD_1
	v_lshlrev_b32_e32 v1, 20, v1
	v_lshl_add_u32 v9, v9, 23, 0x3c000000
	v_and_b32_e32 v10, 0x80000000, v10
	v_or3_b32 v63, v1, v10, v9
.LBB361_600:                            ;   in Loop: Header=BB361_10 Depth=1
	s_or_b32 exec_lo, exec_lo, s33
.LBB361_601:                            ;   in Loop: Header=BB361_10 Depth=1
	s_or_b32 exec_lo, exec_lo, s31
.LBB361_602:                            ;   in Loop: Header=BB361_10 Depth=1
	s_or_b32 exec_lo, exec_lo, s2
	v_mov_b32_e32 v67, 0
	s_mov_b32 s2, exec_lo
	v_cmpx_lt_u64_e64 s[4:5], v[7:8]
	s_cbranch_execz .LBB361_9
; %bb.603:                              ;   in Loop: Header=BB361_10 Depth=1
	v_cmp_ne_u32_sdwa s1, v8, v100 src0_sel:BYTE_3 src1_sel:DWORD
	v_bfrev_b32_e32 v67, 1
	s_and_saveexec_b32 s31, s1
	s_cbranch_execz .LBB361_8
; %bb.604:                              ;   in Loop: Header=BB361_10 Depth=1
	v_bfe_u32 v9, v8, 24, 7
	v_mov_b32_e32 v67, 0x7f800001
	s_mov_b32 s33, exec_lo
	v_cmpx_ne_u32_e32 0x7f, v9
	s_cbranch_execz .LBB361_7
; %bb.605:                              ;   in Loop: Header=BB361_10 Depth=1
	v_and_b32_sdwa v1, v8, v103 dst_sel:DWORD dst_unused:UNUSED_PAD src0_sel:BYTE_3 src1_sel:DWORD
	v_lshrrev_b32_e32 v7, 3, v9
	s_mov_b32 s34, exec_lo
	v_cmpx_gt_u32_e32 8, v9
	s_cbranch_execz .LBB361_6
; %bb.606:                              ;   in Loop: Header=BB361_10 Depth=1
	v_ffbh_u32_e32 v7, v1
	v_min_u32_e32 v7, 32, v7
	v_subrev_nc_u32_e32 v9, 28, v7
	v_sub_nc_u32_e32 v7, 29, v7
	v_lshlrev_b64 v[9:10], v9, v[1:2]
	v_and_b32_e32 v1, 7, v9
	s_branch .LBB361_6
.LBB361_607:
	s_or_b32 exec_lo, exec_lo, s30
	s_clause 0x2
	buffer_load_dword v10, off, s[36:39], 0 offset:220
	buffer_load_dword v37, off, s[36:39], 0 offset:224
	;; [unrolled: 1-line block ×3, first 2 shown]
.LBB361_608:
	s_or_b32 exec_lo, exec_lo, s15
	v_mbcnt_lo_u32_b32 v1, -1, 0
	v_max_f32_e32 v4, v97, v97
	v_xor_b32_e32 v0, 16, v1
	v_xor_b32_e32 v3, 8, v1
	v_cmp_gt_i32_e32 vcc_lo, 32, v0
	v_cndmask_b32_e32 v0, v1, v0, vcc_lo
	v_cmp_gt_i32_e32 vcc_lo, 32, v3
	v_lshlrev_b32_e32 v0, 2, v0
	v_cndmask_b32_e32 v3, v1, v3, vcc_lo
	ds_bpermute_b32 v2, v0, v97
	s_waitcnt lgkmcnt(0)
	v_max_f32_e32 v5, v2, v2
	v_lshlrev_b32_e32 v2, 2, v3
	v_max_f32_e32 v4, v4, v5
	v_xor_b32_e32 v5, 4, v1
	ds_bpermute_b32 v3, v2, v4
	v_cmp_gt_i32_e32 vcc_lo, 32, v5
	v_cndmask_b32_e32 v5, v1, v5, vcc_lo
	s_waitcnt lgkmcnt(0)
	v_max_f32_e32 v6, v3, v3
	v_lshlrev_b32_e32 v3, 2, v5
	v_max_f32_e32 v4, v4, v6
	v_xor_b32_e32 v6, 2, v1
	ds_bpermute_b32 v5, v3, v4
	v_cmp_gt_i32_e32 vcc_lo, 32, v6
	v_cndmask_b32_e32 v6, v1, v6, vcc_lo
	v_lshlrev_b32_e32 v24, 2, v6
	v_xor_b32_e32 v6, 1, v1
	v_cmp_gt_i32_e32 vcc_lo, 32, v6
	s_waitcnt lgkmcnt(0)
	v_max_f32_e32 v5, v5, v5
	v_cndmask_b32_e32 v6, v1, v6, vcc_lo
	v_max_f32_e32 v4, v4, v5
	v_lshlrev_b32_e32 v23, 2, v6
	ds_bpermute_b32 v5, v24, v4
	s_waitcnt lgkmcnt(0)
	v_max_f32_e32 v5, v5, v5
	v_max_f32_e32 v1, v4, v5
	buffer_load_dword v4, off, s[36:39], 0 offset:212 ; 4-byte Folded Reload
	ds_bpermute_b32 v5, v23, v1
	s_waitcnt vmcnt(0)
	v_cmp_eq_u32_e32 vcc_lo, 0, v4
	buffer_load_dword v4, off, s[36:39], 0 offset:216 ; 4-byte Folded Reload
	s_waitcnt vmcnt(0)
	v_lshlrev_b32_e32 v4, 2, v4
	s_and_saveexec_b32 s1, vcc_lo
	s_cbranch_execz .LBB361_610
; %bb.609:
	s_waitcnt lgkmcnt(0)
	v_max_f32_e32 v5, v5, v5
	v_max_f32_e32 v1, v1, v1
	;; [unrolled: 1-line block ×3, first 2 shown]
	ds_write_b32 v4, v1 offset:160
.LBB361_610:
	s_or_b32 exec_lo, exec_lo, s1
	buffer_load_dword v1, off, s[36:39], 0 offset:212 ; 4-byte Folded Reload
	s_waitcnt vmcnt(0) lgkmcnt(0)
	s_waitcnt_vscnt null, 0x0
	s_barrier
	buffer_gl0_inv
	v_cmp_gt_u32_e64 s1, 4, v1
	v_mov_b32_e32 v1, 0xff7fffff
	s_and_saveexec_b32 s2, s1
; %bb.611:
	ds_read_b32 v1, v25 offset:160
; %bb.612:
	s_or_b32 exec_lo, exec_lo, s2
	s_waitcnt lgkmcnt(0)
	ds_bpermute_b32 v5, v24, v1
	v_max_f32_e32 v1, v1, v1
	s_lshl_b32 s2, s12, 5
	s_min_i32 s4, s2, s11
	v_cmp_gt_i32_e64 s2, s4, v10
	s_waitcnt lgkmcnt(0)
	v_max_f32_e32 v5, v5, v5
	v_max_f32_e32 v1, v1, v5
	ds_bpermute_b32 v5, v23, v1
	s_waitcnt lgkmcnt(0)
	v_max_f32_e32 v5, v5, v5
	v_max_f32_e32 v1, v1, v5
	v_mov_b32_e32 v5, 0
	ds_bpermute_b32 v6, v5, v1
	v_lshl_add_u32 v1, v10, 2, 0xc0
	s_and_saveexec_b32 s5, s2
	s_cbranch_execz .LBB361_616
; %bb.613:
	v_lshl_add_u32 v7, v10, 2, 0xc0
	v_mov_b32_e32 v5, 0
	v_mov_b32_e32 v8, v10
	s_mov_b32 s15, 0
	.p2align	6
.LBB361_614:                            ; =>This Inner Loop Header: Depth=1
	ds_read_b32 v9, v7
	v_add_nc_u32_e32 v8, 0x80, v8
	v_cmp_le_i32_e64 s3, s4, v8
	s_or_b32 s15, s3, s15
	s_waitcnt lgkmcnt(0)
	v_sub_f32_e32 v9, v9, v6
	v_mul_f32_e32 v9, 0x3fb8aa3b, v9
	v_exp_f32_e32 v9, v9
	ds_write_b32 v7, v9
	v_add_f32_e32 v5, v5, v9
	v_add_nc_u32_e32 v7, 0x200, v7
	s_andn2_b32 exec_lo, exec_lo, s15
	s_cbranch_execnz .LBB361_614
; %bb.615:
	s_or_b32 exec_lo, exec_lo, s15
.LBB361_616:
	s_or_b32 exec_lo, exec_lo, s5
	ds_bpermute_b32 v0, v0, v5
	s_waitcnt lgkmcnt(0)
	v_add_f32_e32 v0, v5, v0
	ds_bpermute_b32 v2, v2, v0
	s_waitcnt lgkmcnt(0)
	v_add_f32_e32 v0, v0, v2
	;; [unrolled: 3-line block ×5, first 2 shown]
	s_and_saveexec_b32 s3, vcc_lo
; %bb.617:
	ds_write_b32 v4, v0 offset:176
; %bb.618:
	s_or_b32 exec_lo, exec_lo, s3
	s_waitcnt lgkmcnt(0)
	s_barrier
	buffer_gl0_inv
	s_and_saveexec_b32 s3, s1
; %bb.619:
	ds_read_b32 v0, v25 offset:176
; %bb.620:
	s_or_b32 exec_lo, exec_lo, s3
	s_waitcnt lgkmcnt(0)
	ds_bpermute_b32 v2, v24, v0
	s_waitcnt lgkmcnt(0)
	v_add_f32_e32 v0, v0, v2
	ds_bpermute_b32 v2, v23, v0
	s_waitcnt lgkmcnt(0)
	v_add_f32_e32 v0, v0, v2
	v_mov_b32_e32 v2, 0
	ds_bpermute_b32 v0, v2, v0
	s_and_saveexec_b32 s1, s2
	s_cbranch_execz .LBB361_623
; %bb.621:
	s_waitcnt lgkmcnt(0)
	v_add_f32_e32 v0, 0x358637bd, v0
	s_mov_b32 s2, 0
	v_div_scale_f32 v2, null, v0, v0, 1.0
	v_div_scale_f32 v5, vcc_lo, 1.0, v0, 1.0
	v_rcp_f32_e32 v3, v2
	v_fma_f32 v4, -v2, v3, 1.0
	v_fmac_f32_e32 v3, v4, v3
	v_mul_f32_e32 v4, v5, v3
	v_fma_f32 v6, -v2, v4, v5
	v_fmac_f32_e32 v4, v6, v3
	v_fma_f32 v2, -v2, v4, v5
	v_div_fmas_f32 v2, v2, v3, v4
	v_div_fixup_f32 v0, v2, v0, 1.0
	v_mov_b32_e32 v2, v10
.LBB361_622:                            ; =>This Inner Loop Header: Depth=1
	ds_read_b32 v3, v1
	v_add_nc_u32_e32 v2, 0x80, v2
	v_cmp_le_i32_e32 vcc_lo, s4, v2
	s_or_b32 s2, vcc_lo, s2
	s_waitcnt lgkmcnt(0)
	v_mul_f32_e32 v3, v0, v3
	ds_write_b32 v1, v3
	v_add_nc_u32_e32 v1, 0x200, v1
	s_andn2_b32 exec_lo, exec_lo, s2
	s_cbranch_execnz .LBB361_622
.LBB361_623:
	s_or_b32 exec_lo, exec_lo, s1
	v_mov_b32_e32 v33, 0
	v_and_b32_e32 v25, 3, v10
	v_mov_b32_e32 v35, 0
	v_mov_b32_e32 v34, 0
	;; [unrolled: 1-line block ×9, first 2 shown]
	s_waitcnt lgkmcnt(0)
	s_barrier
	buffer_gl0_inv
	s_and_saveexec_b32 s1, s0
	s_cbranch_execz .LBB361_1247
; %bb.624:
	buffer_load_dword v43, off, s[36:39], 0 offset:216 ; 4-byte Folded Reload
	v_lshlrev_b32_e32 v0, 3, v10
	s_load_dword s5, s[18:19], 0x0
	s_ashr_i32 s0, s14, 31
	s_add_u32 s2, s24, s14
	v_lshlrev_b32_e32 v2, 5, v25
	v_and_b32_e32 v1, 24, v0
	v_and_b32_e32 v0, 0xf8, v0
	s_addc_u32 s0, s25, s0
	s_mov_b32 s4, s13
	s_add_i32 s13, s12, -1
	v_mov_b32_e32 v10, 0
	v_add_co_u32 v11, s2, s2, v0
	v_and_b32_e32 v0, 0x7c, v37
	v_add_co_ci_u32_e64 v12, null, s0, 0, s2
	s_lshl_b64 s[2:3], s[26:27], 2
	v_mov_b32_e32 v38, 0x80
	s_add_u32 s0, s22, s2
	s_addc_u32 s2, s23, s3
	v_add_co_u32 v13, s0, s0, v0
	v_add_co_ci_u32_e64 v14, null, s2, 0, s0
	v_mov_b32_e32 v39, 0xffff
	v_mov_b32_e32 v40, 0xff
	;; [unrolled: 1-line block ×14, first 2 shown]
	s_mov_b32 s2, -1
	s_mov_b32 s3, 0xffffff
	s_mov_b32 s14, 0
	s_waitcnt vmcnt(0)
	v_lshlrev_b32_e32 v3, 5, v43
	v_lshl_or_b32 v2, v43, 7, v2
	v_or3_b32 v36, v3, v1, 7
	v_add_nc_u32_e32 v37, 0xc0, v2
	s_branch .LBB361_626
.LBB361_625:                            ;   in Loop: Header=BB361_626 Depth=1
	s_or_b32 exec_lo, exec_lo, s0
	v_bfe_u32 v60, v5, 16, 1
	v_bfe_u32 v61, v6, 16, 1
	v_or_b32_e32 v62, 0x400000, v5
	v_cmp_u_f32_e32 vcc_lo, v5, v5
	v_or_b32_e32 v63, 0x400000, v6
	v_add3_u32 v60, v60, v5, 0x7fff
	v_bfe_u32 v64, v7, 16, 1
	v_add3_u32 v61, v61, v6, 0x7fff
	v_bfe_u32 v65, v8, 16, 1
	v_lshlrev_b32_e32 v116, 16, v116
	v_cndmask_b32_e32 v5, v60, v62, vcc_lo
	v_cmp_u_f32_e32 vcc_lo, v6, v6
	v_add3_u32 v60, v64, v7, 0x7fff
	v_add3_u32 v62, v65, v8, 0x7fff
	v_bfe_u32 v64, v1, 16, 1
	v_and_b32_e32 v5, 0xffff0000, v5
	v_cndmask_b32_e32 v6, v61, v63, vcc_lo
	v_or_b32_e32 v61, 0x400000, v7
	v_cmp_u_f32_e32 vcc_lo, v7, v7
	v_or_b32_e32 v63, 0x400000, v8
	v_or_b32_e32 v65, 0x400000, v4
	v_lshlrev_b32_e32 v109, 16, v109
	v_lshlrev_b32_e32 v105, 16, v105
	v_cndmask_b32_e32 v7, v60, v61, vcc_lo
	v_cmp_u_f32_e32 vcc_lo, v8, v8
	v_bfe_u32 v60, v2, 16, 1
	v_add3_u32 v61, v64, v1, 0x7fff
	v_bfe_u32 v64, v3, 16, 1
	v_lshlrev_b32_e32 v104, 16, v104
	v_cndmask_b32_e32 v8, v62, v63, vcc_lo
	v_or_b32_e32 v62, 0x400000, v1
	v_cmp_u_f32_e32 vcc_lo, v1, v1
	v_add3_u32 v60, v60, v2, 0x7fff
	v_or_b32_e32 v63, 0x400000, v2
	v_and_b32_e32 v1, 0xffff0000, v6
	v_lshlrev_b32_e32 v6, 16, v120
	v_cndmask_b32_e32 v61, v61, v62, vcc_lo
	v_cmp_u_f32_e32 vcc_lo, v2, v2
	v_add3_u32 v2, v64, v3, 0x7fff
	v_bfe_u32 v62, v4, 16, 1
	v_or_b32_e32 v64, 0x400000, v3
	v_mul_f32_e32 v6, v1, v6
	v_cndmask_b32_e32 v60, v60, v63, vcc_lo
	v_lshlrev_b32_e32 v63, 16, v119
	v_cmp_u_f32_e32 vcc_lo, v3, v3
	v_add3_u32 v62, v62, v4, 0x7fff
	v_bfe_u32 v3, v6, 16, 1
	v_lshlrev_b32_e32 v106, 16, v106
	v_mul_f32_e32 v63, v5, v63
	v_cndmask_b32_e32 v64, v2, v64, vcc_lo
	v_cmp_u_f32_e32 vcc_lo, v4, v4
	v_and_b32_e32 v2, 0xffff0000, v8
	v_lshlrev_b32_e32 v8, 16, v117
	v_add3_u32 v3, v3, v6, 0x7fff
	v_or_b32_e32 v66, 0x400000, v63
	v_cndmask_b32_e32 v4, v62, v65, vcc_lo
	v_bfe_u32 v62, v63, 16, 1
	v_or_b32_e32 v65, 0x400000, v6
	v_mul_f32_e32 v117, v2, v8
	v_and_b32_e32 v8, 0xffff0000, v7
	v_lshlrev_b32_e32 v7, 16, v118
	v_cmp_u_f32_e32 vcc_lo, v6, v6
	v_add3_u32 v62, v62, v63, 0x7fff
	v_and_b32_e32 v6, 0xffff0000, v61
	v_lshlrev_b32_e32 v61, 16, v114
	v_mul_f32_e32 v7, v8, v7
	v_cndmask_b32_e32 v65, v3, v65, vcc_lo
	v_cmp_u_f32_e32 vcc_lo, v63, v63
	v_bfe_u32 v63, v117, 16, 1
	v_and_b32_e32 v3, 0xffff0000, v60
	v_lshlrev_b32_e32 v60, 16, v113
	v_bfe_u32 v113, v7, 16, 1
	v_cndmask_b32_e32 v62, v62, v66, vcc_lo
	v_add3_u32 v63, v63, v117, 0x7fff
	v_or_b32_e32 v66, 0x400000, v117
	v_mul_f32_e32 v60, v3, v60
	v_cmp_u_f32_e32 vcc_lo, v117, v117
	v_mul_f32_e32 v61, v6, v61
	v_and_b32_e32 v4, 0xffff0000, v4
	v_and_b32_e32 v62, 0xffff0000, v62
	v_bfe_u32 v114, v60, 16, 1
	v_cndmask_b32_e32 v63, v63, v66, vcc_lo
	v_add3_u32 v66, v113, v7, 0x7fff
	v_or_b32_e32 v113, 0x400000, v7
	v_cmp_u_f32_e32 vcc_lo, v7, v7
	v_bfe_u32 v117, v61, 16, 1
	v_mul_f32_e32 v116, v4, v116
	v_and_b32_e32 v7, 0xffff0000, v64
	v_lshlrev_b32_e32 v64, 16, v115
	v_cndmask_b32_e32 v66, v66, v113, vcc_lo
	v_add3_u32 v113, v114, v60, 0x7fff
	v_or_b32_e32 v114, 0x400000, v60
	v_cmp_u_f32_e32 vcc_lo, v60, v60
	v_add3_u32 v117, v117, v61, 0x7fff
	v_or_b32_e32 v115, 0x400000, v61
	v_bfe_u32 v118, v116, 16, 1
	v_mul_f32_e32 v64, v7, v64
	v_cndmask_b32_e32 v60, v113, v114, vcc_lo
	v_cmp_u_f32_e32 vcc_lo, v61, v61
	v_or_b32_e32 v114, 0x400000, v116
	v_add3_u32 v113, v118, v116, 0x7fff
	v_and_b32_e32 v65, 0xffff0000, v65
	v_and_b32_e32 v66, 0xffff0000, v66
	v_cndmask_b32_e32 v61, v117, v115, vcc_lo
	v_bfe_u32 v115, v64, 16, 1
	v_and_b32_e32 v63, 0xffff0000, v63
	v_cmp_u_f32_e32 vcc_lo, v116, v116
	v_add_f32_e32 v62, v62, v65
	v_and_b32_e32 v61, 0xffff0000, v61
	v_lshlrev_b32_e32 v65, 16, v111
	v_add_f32_e32 v63, v66, v63
	v_cndmask_b32_e32 v113, v113, v114, vcc_lo
	v_add3_u32 v114, v115, v64, 0x7fff
	v_or_b32_e32 v115, 0x400000, v64
	v_and_b32_e32 v60, 0xffff0000, v60
	v_cmp_u_f32_e32 vcc_lo, v64, v64
	v_add_f32_e32 v62, v63, v62
	v_mul_f32_e32 v63, v1, v65
	v_and_b32_e32 v65, 0xffff0000, v113
	v_add_f32_e32 v60, v61, v60
	v_cndmask_b32_e32 v64, v114, v115, vcc_lo
	v_lshlrev_b32_e32 v61, 16, v110
	v_bfe_u32 v66, v63, 16, 1
	v_cmp_u_f32_e32 vcc_lo, v63, v63
	v_add_f32_e32 v60, v60, v62
	v_and_b32_e32 v64, 0xffff0000, v64
	v_mul_f32_e32 v61, v5, v61
	v_lshlrev_b32_e32 v62, 16, v107
	v_mul_f32_e32 v109, v8, v109
	v_mul_f32_e32 v105, v3, v105
	v_add_f32_e32 v64, v64, v65
	v_add3_u32 v65, v66, v63, 0x7fff
	v_or_b32_e32 v66, 0x400000, v63
	v_bfe_u32 v107, v61, 16, 1
	v_mul_f32_e32 v62, v2, v62
	v_mul_f32_e32 v104, v6, v104
	v_lshlrev_b32_e32 v108, 16, v108
	v_cndmask_b32_e32 v63, v65, v66, vcc_lo
	v_add3_u32 v65, v107, v61, 0x7fff
	v_or_b32_e32 v66, 0x400000, v61
	v_bfe_u32 v107, v62, 16, 1
	v_cmp_u_f32_e32 vcc_lo, v61, v61
	v_mul_f32_e32 v106, v7, v106
	v_mul_f32_e32 v108, v4, v108
	v_or_b32_e32 v110, 0x400000, v104
	v_and_b32_e32 v63, 0xffff0000, v63
	v_cndmask_b32_e32 v61, v65, v66, vcc_lo
	v_add3_u32 v65, v107, v62, 0x7fff
	v_or_b32_e32 v66, 0x400000, v62
	v_bfe_u32 v107, v109, 16, 1
	v_cmp_u_f32_e32 vcc_lo, v62, v62
	v_bfe_u32 v111, v108, 16, 1
	v_and_b32_e32 v61, 0xffff0000, v61
	v_add_f32_e32 v60, v64, v60
	v_lshlrev_b32_e32 v101, 16, v101
	v_cndmask_b32_e32 v62, v65, v66, vcc_lo
	v_add3_u32 v65, v107, v109, 0x7fff
	v_or_b32_e32 v66, 0x400000, v109
	v_bfe_u32 v107, v105, 16, 1
	v_cmp_u_f32_e32 vcc_lo, v109, v109
	v_or_b32_e32 v109, 0x400000, v105
	v_and_b32_e32 v62, 0xffff0000, v62
	v_add_f32_e32 v61, v61, v63
	v_add3_u32 v107, v107, v105, 0x7fff
	v_cndmask_b32_e32 v65, v65, v66, vcc_lo
	v_bfe_u32 v66, v104, 16, 1
	v_cmp_u_f32_e32 vcc_lo, v105, v105
	v_add_f32_e32 v27, v27, v60
	v_lshlrev_b32_e32 v96, 16, v96
	v_and_b32_e32 v65, 0xffff0000, v65
	v_add3_u32 v66, v66, v104, 0x7fff
	v_cndmask_b32_e32 v105, v107, v109, vcc_lo
	v_cmp_u_f32_e32 vcc_lo, v104, v104
	v_bfe_u32 v107, v106, 16, 1
	v_add3_u32 v104, v111, v108, 0x7fff
	v_or_b32_e32 v109, 0x400000, v108
	v_add_f32_e32 v62, v65, v62
	v_cndmask_b32_e32 v66, v66, v110, vcc_lo
	v_add3_u32 v107, v107, v106, 0x7fff
	v_or_b32_e32 v110, 0x400000, v106
	v_cmp_u_f32_e32 vcc_lo, v106, v106
	v_and_b32_e32 v65, 0xffff0000, v105
	v_and_b32_e32 v63, 0xffff0000, v66
	v_add_f32_e32 v61, v62, v61
	v_lshlrev_b32_e32 v97, 16, v97
	v_cndmask_b32_e32 v66, v107, v110, vcc_lo
	v_cmp_u_f32_e32 vcc_lo, v108, v108
	v_add_f32_e32 v62, v63, v65
	v_lshlrev_b32_e32 v63, 16, v103
	v_lshlrev_b32_e32 v93, 16, v93
	v_and_b32_e32 v65, 0xffff0000, v66
	v_cndmask_b32_e32 v104, v104, v109, vcc_lo
	v_lshlrev_b32_e32 v66, 16, v102
	v_mul_f32_e32 v63, v1, v63
	v_add_f32_e32 v61, v62, v61
	v_mul_f32_e32 v93, v8, v93
	v_and_b32_e32 v102, 0xffff0000, v104
	v_mul_f32_e32 v62, v5, v66
	v_bfe_u32 v66, v63, 16, 1
	v_cmp_u_f32_e32 vcc_lo, v63, v63
	v_lshlrev_b32_e32 v89, 16, v89
	v_add_f32_e32 v64, v65, v102
	v_lshlrev_b32_e32 v65, 16, v99
	v_bfe_u32 v60, v62, 16, 1
	v_or_b32_e32 v99, 0x400000, v62
	v_mul_f32_e32 v89, v3, v89
	v_add_f32_e32 v61, v64, v61
	v_mul_f32_e32 v64, v2, v65
	v_add3_u32 v65, v66, v63, 0x7fff
	v_or_b32_e32 v66, 0x400000, v63
	v_add3_u32 v60, v60, v62, 0x7fff
	v_lshlrev_b32_e32 v88, 16, v88
	v_bfe_u32 v102, v64, 16, 1
	v_lshlrev_b32_e32 v90, 16, v90
	v_cndmask_b32_e32 v63, v65, v66, vcc_lo
	v_cmp_u_f32_e32 vcc_lo, v62, v62
	v_mul_f32_e32 v62, v8, v101
	v_add3_u32 v65, v102, v64, 0x7fff
	v_or_b32_e32 v66, 0x400000, v64
	v_and_b32_e32 v63, 0xffff0000, v63
	v_cndmask_b32_e32 v60, v60, v99, vcc_lo
	v_cmp_u_f32_e32 vcc_lo, v64, v64
	v_bfe_u32 v99, v62, 16, 1
	v_mul_f32_e32 v88, v6, v88
	v_lshlrev_b32_e32 v92, 16, v92
	v_and_b32_e32 v60, 0xffff0000, v60
	v_cndmask_b32_e32 v64, v65, v66, vcc_lo
	v_mul_f32_e32 v65, v3, v96
	v_mul_f32_e32 v66, v6, v97
	v_add3_u32 v96, v99, v62, 0x7fff
	v_or_b32_e32 v97, 0x400000, v62
	v_lshlrev_b32_e32 v99, 16, v100
	v_bfe_u32 v100, v65, 16, 1
	v_cmp_u_f32_e32 vcc_lo, v62, v62
	v_bfe_u32 v101, v66, 16, 1
	v_and_b32_e32 v64, 0xffff0000, v64
	v_add_f32_e32 v60, v60, v63
	v_mul_f32_e32 v90, v7, v90
	v_cndmask_b32_e32 v62, v96, v97, vcc_lo
	v_mul_f32_e32 v96, v4, v99
	v_add3_u32 v97, v100, v65, 0x7fff
	v_or_b32_e32 v99, 0x400000, v65
	v_cmp_u_f32_e32 vcc_lo, v65, v65
	v_add3_u32 v100, v101, v66, 0x7fff
	v_or_b32_e32 v101, 0x400000, v66
	v_bfe_u32 v102, v96, 16, 1
	v_and_b32_e32 v62, 0xffff0000, v62
	v_cndmask_b32_e32 v65, v97, v99, vcc_lo
	v_lshlrev_b32_e32 v97, 16, v98
	v_cmp_u_f32_e32 vcc_lo, v66, v66
	v_add3_u32 v98, v102, v96, 0x7fff
	v_or_b32_e32 v99, 0x400000, v96
	v_add_f32_e32 v62, v62, v64
	v_mul_f32_e32 v97, v7, v97
	v_cndmask_b32_e32 v66, v100, v101, vcc_lo
	v_cmp_u_f32_e32 vcc_lo, v96, v96
	v_lshlrev_b32_e32 v64, 16, v95
	v_and_b32_e32 v65, 0xffff0000, v65
	v_or_b32_e32 v95, 0x400000, v97
	v_and_b32_e32 v63, 0xffff0000, v66
	v_cndmask_b32_e32 v96, v98, v99, vcc_lo
	v_bfe_u32 v98, v97, 16, 1
	v_add_f32_e32 v60, v62, v60
	v_mul_f32_e32 v62, v1, v64
	v_add_f32_e32 v63, v63, v65
	v_lshlrev_b32_e32 v64, 16, v94
	v_add3_u32 v66, v98, v97, 0x7fff
	v_cmp_u_f32_e32 vcc_lo, v97, v97
	v_mul_f32_e32 v92, v4, v92
	v_add_f32_e32 v60, v63, v60
	v_mul_f32_e32 v63, v5, v64
	v_lshlrev_b32_e32 v64, 16, v91
	v_cndmask_b32_e32 v65, v66, v95, vcc_lo
	v_bfe_u32 v66, v62, 16, 1
	v_or_b32_e32 v91, 0x400000, v62
	v_bfe_u32 v94, v63, 16, 1
	v_mul_f32_e32 v64, v2, v64
	v_cmp_u_f32_e32 vcc_lo, v62, v62
	v_add3_u32 v66, v66, v62, 0x7fff
	v_or_b32_e32 v95, 0x400000, v88
	v_bfe_u32 v98, v90, 16, 1
	v_bfe_u32 v97, v92, 16, 1
	v_and_b32_e32 v65, 0xffff0000, v65
	v_cndmask_b32_e32 v62, v66, v91, vcc_lo
	v_add3_u32 v66, v94, v63, 0x7fff
	v_or_b32_e32 v91, 0x400000, v63
	v_bfe_u32 v94, v64, 16, 1
	v_cmp_u_f32_e32 vcc_lo, v63, v63
	v_and_b32_e32 v62, 0xffff0000, v62
	v_lshlrev_b32_e32 v87, 16, v87
	v_lshlrev_b32_e32 v86, 16, v86
	v_add_f32_e32 v28, v28, v61
	v_cndmask_b32_e32 v63, v66, v91, vcc_lo
	v_add3_u32 v66, v94, v64, 0x7fff
	v_or_b32_e32 v91, 0x400000, v64
	v_bfe_u32 v94, v93, 16, 1
	v_cmp_u_f32_e32 vcc_lo, v64, v64
	v_and_b32_e32 v63, 0xffff0000, v63
	v_lshlrev_b32_e32 v0, 16, v0
	v_lshlrev_b32_e32 v21, 16, v21
	;; [unrolled: 1-line block ×3, first 2 shown]
	v_cndmask_b32_e32 v64, v66, v91, vcc_lo
	v_add3_u32 v66, v94, v93, 0x7fff
	v_or_b32_e32 v91, 0x400000, v93
	v_bfe_u32 v94, v89, 16, 1
	v_cmp_u_f32_e32 vcc_lo, v93, v93
	v_and_b32_e32 v64, 0xffff0000, v64
	v_add_f32_e32 v62, v63, v62
	v_mul_f32_e32 v0, v3, v0
	v_add3_u32 v93, v94, v89, 0x7fff
	v_cndmask_b32_e32 v66, v66, v91, vcc_lo
	v_bfe_u32 v91, v88, 16, 1
	v_or_b32_e32 v94, 0x400000, v89
	v_cmp_u_f32_e32 vcc_lo, v89, v89
	v_mul_f32_e32 v21, v6, v21
	v_and_b32_e32 v66, 0xffff0000, v66
	v_add3_u32 v91, v91, v88, 0x7fff
	v_mul_f32_e32 v22, v7, v22
	v_cndmask_b32_e32 v89, v93, v94, vcc_lo
	v_cmp_u_f32_e32 vcc_lo, v88, v88
	v_add3_u32 v93, v98, v90, 0x7fff
	v_or_b32_e32 v94, 0x400000, v90
	v_add_f32_e32 v63, v66, v64
	v_and_b32_e32 v66, 0xffff0000, v89
	v_cndmask_b32_e32 v88, v91, v95, vcc_lo
	v_cmp_u_f32_e32 vcc_lo, v90, v90
	v_add3_u32 v91, v97, v92, 0x7fff
	v_or_b32_e32 v95, 0x400000, v92
	v_and_b32_e32 v89, 0xffff0000, v96
	v_and_b32_e32 v64, 0xffff0000, v88
	v_cndmask_b32_e32 v90, v93, v94, vcc_lo
	v_cmp_u_f32_e32 vcc_lo, v92, v92
	v_add_f32_e32 v62, v63, v62
	v_add_f32_e32 v65, v65, v89
	;; [unrolled: 1-line block ×3, first 2 shown]
	v_and_b32_e32 v64, 0xffff0000, v90
	v_cndmask_b32_e32 v88, v91, v95, vcc_lo
	v_lshlrev_b32_e32 v77, 16, v77
	v_add_f32_e32 v60, v65, v60
	v_add_f32_e32 v62, v63, v62
	v_mul_f32_e32 v65, v5, v86
	v_and_b32_e32 v66, 0xffff0000, v88
	v_lshlrev_b32_e32 v59, 16, v59
	v_add_f32_e32 v29, v29, v60
	v_lshlrev_b32_e32 v58, 16, v58
	v_bfe_u32 v60, v65, 16, 1
	v_add_f32_e32 v63, v64, v66
	v_mul_f32_e32 v64, v1, v87
	v_or_b32_e32 v66, 0x400000, v65
	v_mul_f32_e32 v59, v1, v59
	v_add3_u32 v60, v60, v65, 0x7fff
	v_add_f32_e32 v61, v63, v62
	v_bfe_u32 v62, v64, 16, 1
	v_lshlrev_b32_e32 v63, 16, v83
	v_lshlrev_b32_e32 v83, 16, v85
	v_cmp_u_f32_e32 vcc_lo, v64, v64
	v_add_f32_e32 v30, v30, v61
	v_add3_u32 v61, v62, v64, 0x7fff
	v_or_b32_e32 v62, 0x400000, v64
	v_mul_f32_e32 v63, v2, v63
	v_mul_f32_e32 v64, v8, v83
	v_lshlrev_b32_e32 v83, 16, v84
	v_bfe_u32 v84, v21, 16, 1
	v_cndmask_b32_e32 v61, v61, v62, vcc_lo
	v_bfe_u32 v62, v63, 16, 1
	v_cmp_u_f32_e32 vcc_lo, v65, v65
	v_or_b32_e32 v65, 0x400000, v63
	v_mul_f32_e32 v58, v5, v58
	v_and_b32_e32 v61, 0xffff0000, v61
	v_add3_u32 v62, v62, v63, 0x7fff
	v_cndmask_b32_e32 v60, v60, v66, vcc_lo
	v_bfe_u32 v66, v64, 16, 1
	v_cmp_u_f32_e32 vcc_lo, v63, v63
	v_lshlrev_b32_e32 v55, 16, v55
	v_lshlrev_b32_e32 v57, 16, v57
	v_and_b32_e32 v60, 0xffff0000, v60
	v_add3_u32 v63, v66, v64, 0x7fff
	v_cndmask_b32_e32 v62, v62, v65, vcc_lo
	v_or_b32_e32 v65, 0x400000, v64
	v_bfe_u32 v66, v0, 16, 1
	v_cmp_u_f32_e32 vcc_lo, v64, v64
	v_add_f32_e32 v60, v60, v61
	v_and_b32_e32 v62, 0xffff0000, v62
	v_mul_f32_e32 v55, v2, v55
	v_add3_u32 v64, v66, v0, 0x7fff
	v_cndmask_b32_e32 v63, v63, v65, vcc_lo
	v_mul_f32_e32 v65, v4, v83
	v_or_b32_e32 v66, 0x400000, v0
	v_cmp_u_f32_e32 vcc_lo, v0, v0
	v_add3_u32 v83, v84, v21, 0x7fff
	v_or_b32_e32 v84, 0x400000, v21
	v_bfe_u32 v85, v65, 16, 1
	v_and_b32_e32 v63, 0xffff0000, v63
	v_cndmask_b32_e32 v0, v64, v66, vcc_lo
	v_cmp_u_f32_e32 vcc_lo, v21, v21
	v_or_b32_e32 v66, 0x400000, v65
	v_add3_u32 v64, v85, v65, 0x7fff
	v_add_f32_e32 v61, v63, v62
	v_lshlrev_b32_e32 v62, 16, v82
	v_cndmask_b32_e32 v21, v83, v84, vcc_lo
	v_bfe_u32 v83, v22, 16, 1
	v_cmp_u_f32_e32 vcc_lo, v65, v65
	v_and_b32_e32 v0, 0xffff0000, v0
	v_lshlrev_b32_e32 v63, 16, v81
	v_and_b32_e32 v21, 0xffff0000, v21
	v_add3_u32 v65, v83, v22, 0x7fff
	v_cndmask_b32_e32 v64, v64, v66, vcc_lo
	v_or_b32_e32 v66, 0x400000, v22
	v_cmp_u_f32_e32 vcc_lo, v22, v22
	v_add_f32_e32 v60, v61, v60
	v_mul_f32_e32 v61, v1, v62
	v_add_f32_e32 v0, v21, v0
	v_mul_f32_e32 v21, v5, v63
	v_cndmask_b32_e32 v22, v65, v66, vcc_lo
	v_and_b32_e32 v62, 0xffff0000, v64
	v_bfe_u32 v63, v61, 16, 1
	v_add_f32_e32 v0, v0, v60
	v_bfe_u32 v60, v21, 16, 1
	v_and_b32_e32 v22, 0xffff0000, v22
	v_lshlrev_b32_e32 v64, 16, v78
	v_cmp_u_f32_e32 vcc_lo, v61, v61
	v_or_b32_e32 v65, 0x400000, v21
	v_add3_u32 v60, v60, v21, 0x7fff
	v_add_f32_e32 v22, v22, v62
	v_add3_u32 v62, v63, v61, 0x7fff
	v_or_b32_e32 v63, 0x400000, v61
	v_mul_f32_e32 v64, v2, v64
	v_lshlrev_b32_e32 v66, 16, v80
	v_add_f32_e32 v0, v22, v0
	v_mul_f32_e32 v57, v8, v57
	v_cndmask_b32_e32 v61, v62, v63, vcc_lo
	v_cmp_u_f32_e32 vcc_lo, v21, v21
	v_bfe_u32 v62, v64, 16, 1
	v_lshlrev_b32_e32 v63, 16, v75
	v_add_f32_e32 v31, v31, v0
	v_and_b32_e32 v61, 0xffff0000, v61
	v_cndmask_b32_e32 v21, v60, v65, vcc_lo
	v_mul_f32_e32 v60, v8, v66
	v_add3_u32 v62, v62, v64, 0x7fff
	v_or_b32_e32 v65, 0x400000, v64
	v_lshlrev_b32_e32 v66, 16, v76
	v_mul_f32_e32 v63, v3, v63
	v_bfe_u32 v75, v60, 16, 1
	v_cmp_u_f32_e32 vcc_lo, v64, v64
	v_lshlrev_b32_e32 v76, 16, v79
	v_mul_f32_e32 v64, v6, v66
	v_or_b32_e32 v66, 0x400000, v60
	v_and_b32_e32 v21, 0xffff0000, v21
	v_cndmask_b32_e32 v62, v62, v65, vcc_lo
	v_add3_u32 v65, v75, v60, 0x7fff
	v_bfe_u32 v75, v63, 16, 1
	v_cmp_u_f32_e32 vcc_lo, v60, v60
	v_bfe_u32 v78, v64, 16, 1
	v_and_b32_e32 v62, 0xffff0000, v62
	v_add_f32_e32 v21, v21, v61
	v_lshlrev_b32_e32 v52, 16, v52
	v_cndmask_b32_e32 v60, v65, v66, vcc_lo
	v_add3_u32 v65, v75, v63, 0x7fff
	v_mul_f32_e32 v66, v4, v76
	v_or_b32_e32 v75, 0x400000, v63
	v_cmp_u_f32_e32 vcc_lo, v63, v63
	v_add3_u32 v76, v78, v64, 0x7fff
	v_or_b32_e32 v78, 0x400000, v64
	v_bfe_u32 v79, v66, 16, 1
	v_and_b32_e32 v60, 0xffff0000, v60
	v_cndmask_b32_e32 v63, v65, v75, vcc_lo
	v_mul_f32_e32 v65, v7, v77
	v_cmp_u_f32_e32 vcc_lo, v64, v64
	v_add3_u32 v75, v79, v66, 0x7fff
	v_add_f32_e32 v60, v60, v62
	v_and_b32_e32 v62, 0xffff0000, v63
	v_bfe_u32 v77, v65, 16, 1
	v_cndmask_b32_e32 v64, v76, v78, vcc_lo
	v_or_b32_e32 v76, 0x400000, v66
	v_cmp_u_f32_e32 vcc_lo, v66, v66
	v_add_f32_e32 v21, v60, v21
	v_lshlrev_b32_e32 v60, 16, v74
	v_and_b32_e32 v61, 0xffff0000, v64
	v_lshlrev_b32_e32 v53, 16, v53
	v_cndmask_b32_e32 v66, v75, v76, vcc_lo
	v_add3_u32 v75, v77, v65, 0x7fff
	v_or_b32_e32 v76, 0x400000, v65
	v_cmp_u_f32_e32 vcc_lo, v65, v65
	v_add_f32_e32 v61, v61, v62
	v_lshlrev_b32_e32 v62, 16, v73
	v_and_b32_e32 v64, 0xffff0000, v66
	v_mul_f32_e32 v60, v1, v60
	v_cndmask_b32_e32 v63, v75, v76, vcc_lo
	v_add_f32_e32 v21, v61, v21
	v_mul_f32_e32 v22, v5, v62
	v_lshlrev_b32_e32 v65, 16, v72
	v_bfe_u32 v62, v60, 16, 1
	v_and_b32_e32 v63, 0xffff0000, v63
	v_cmp_u_f32_e32 vcc_lo, v60, v60
	v_mul_f32_e32 v52, v3, v52
	v_mul_f32_e32 v53, v6, v53
	v_lshlrev_b32_e32 v56, 16, v56
	v_add_f32_e32 v61, v63, v64
	v_bfe_u32 v63, v22, 16, 1
	v_lshlrev_b32_e32 v64, 16, v70
	v_lshlrev_b32_e32 v54, 16, v54
	v_mul_f32_e32 v56, v4, v56
	v_add_f32_e32 v0, v61, v21
	v_add3_u32 v21, v62, v60, 0x7fff
	v_or_b32_e32 v61, 0x400000, v60
	v_add3_u32 v62, v63, v22, 0x7fff
	v_mul_f32_e32 v63, v2, v64
	v_or_b32_e32 v64, 0x400000, v22
	v_mul_f32_e32 v54, v7, v54
	v_cndmask_b32_e32 v21, v21, v61, vcc_lo
	v_cmp_u_f32_e32 vcc_lo, v22, v22
	v_bfe_u32 v60, v63, 16, 1
	v_mul_f32_e32 v61, v8, v65
	v_lshlrev_b32_e32 v65, 16, v68
	v_and_b32_e32 v21, 0xffff0000, v21
	v_cndmask_b32_e32 v22, v62, v64, vcc_lo
	v_lshlrev_b32_e32 v62, 16, v67
	v_add3_u32 v60, v60, v63, 0x7fff
	v_or_b32_e32 v64, 0x400000, v63
	v_bfe_u32 v66, v61, 16, 1
	v_cmp_u_f32_e32 vcc_lo, v63, v63
	v_mul_f32_e32 v62, v3, v62
	v_mul_f32_e32 v63, v6, v65
	v_or_b32_e32 v65, 0x400000, v61
	v_lshlrev_b32_e32 v67, 16, v71
	v_cndmask_b32_e32 v60, v60, v64, vcc_lo
	v_add3_u32 v64, v66, v61, 0x7fff
	v_bfe_u32 v66, v62, 16, 1
	v_bfe_u32 v68, v63, 16, 1
	v_cmp_u_f32_e32 vcc_lo, v61, v61
	v_and_b32_e32 v22, 0xffff0000, v22
	v_and_b32_e32 v60, 0xffff0000, v60
	v_lshlrev_b32_e32 v51, 16, v51
	v_lshlrev_b32_e32 v50, 16, v50
	v_cndmask_b32_e32 v61, v64, v65, vcc_lo
	v_add3_u32 v64, v66, v62, 0x7fff
	v_mul_f32_e32 v65, v4, v67
	v_or_b32_e32 v66, 0x400000, v62
	v_add3_u32 v67, v68, v63, 0x7fff
	v_lshlrev_b32_e32 v68, 16, v69
	v_cmp_u_f32_e32 vcc_lo, v62, v62
	v_or_b32_e32 v69, 0x400000, v63
	v_bfe_u32 v70, v65, 16, 1
	v_and_b32_e32 v61, 0xffff0000, v61
	v_add_f32_e32 v21, v22, v21
	v_cndmask_b32_e32 v62, v64, v66, vcc_lo
	v_mul_f32_e32 v64, v7, v68
	v_cmp_u_f32_e32 vcc_lo, v63, v63
	v_add3_u32 v66, v70, v65, 0x7fff
	v_add_f32_e32 v22, v61, v60
	v_and_b32_e32 v61, 0xffff0000, v62
	v_bfe_u32 v68, v64, 16, 1
	v_cndmask_b32_e32 v63, v67, v69, vcc_lo
	v_or_b32_e32 v67, 0x400000, v65
	v_cmp_u_f32_e32 vcc_lo, v65, v65
	v_add_f32_e32 v21, v22, v21
	v_mul_f32_e32 v51, v1, v51
	v_and_b32_e32 v60, 0xffff0000, v63
	v_bfe_u32 v63, v58, 16, 1
	v_cndmask_b32_e32 v65, v66, v67, vcc_lo
	v_add3_u32 v66, v68, v64, 0x7fff
	v_or_b32_e32 v67, 0x400000, v64
	v_cmp_u_f32_e32 vcc_lo, v64, v64
	v_add_f32_e32 v22, v60, v61
	v_and_b32_e32 v61, 0xffff0000, v65
	v_bfe_u32 v64, v55, 16, 1
	v_lshlrev_b32_e32 v47, 16, v47
	v_cndmask_b32_e32 v62, v66, v67, vcc_lo
	v_add_f32_e32 v21, v22, v21
	v_cmp_u_f32_e32 vcc_lo, v59, v59
	v_mul_f32_e32 v50, v5, v50
	v_mul_f32_e32 v47, v2, v47
	v_and_b32_e32 v60, 0xffff0000, v62
	v_bfe_u32 v62, v59, 16, 1
	v_lshlrev_b32_e32 v49, 16, v49
	v_lshlrev_b32_e32 v45, 16, v45
	;; [unrolled: 1-line block ×3, first 2 shown]
	v_add_f32_e32 v22, v60, v61
	v_add3_u32 v60, v62, v59, 0x7fff
	v_or_b32_e32 v61, 0x400000, v59
	v_add3_u32 v62, v63, v58, 0x7fff
	v_or_b32_e32 v63, 0x400000, v58
	v_mul_f32_e32 v49, v8, v49
	v_mul_f32_e32 v45, v3, v45
	v_cndmask_b32_e32 v59, v60, v61, vcc_lo
	v_cmp_u_f32_e32 vcc_lo, v58, v58
	v_add3_u32 v60, v64, v55, 0x7fff
	v_or_b32_e32 v61, 0x400000, v55
	v_bfe_u32 v64, v56, 16, 1
	v_and_b32_e32 v59, 0xffff0000, v59
	v_cndmask_b32_e32 v58, v62, v63, vcc_lo
	v_bfe_u32 v62, v57, 16, 1
	v_cmp_u_f32_e32 vcc_lo, v55, v55
	v_bfe_u32 v63, v53, 16, 1
	v_lshlrev_b32_e32 v48, 16, v48
	v_and_b32_e32 v58, 0xffff0000, v58
	v_mul_f32_e32 v44, v6, v44
	v_cndmask_b32_e32 v55, v60, v61, vcc_lo
	v_add3_u32 v60, v62, v57, 0x7fff
	v_or_b32_e32 v61, 0x400000, v57
	v_bfe_u32 v62, v52, 16, 1
	v_cmp_u_f32_e32 vcc_lo, v57, v57
	v_and_b32_e32 v55, 0xffff0000, v55
	v_add_f32_e32 v58, v58, v59
	v_or_b32_e32 v59, 0x400000, v54
	v_mul_f32_e32 v48, v4, v48
	v_cndmask_b32_e32 v57, v60, v61, vcc_lo
	v_add3_u32 v60, v62, v52, 0x7fff
	v_or_b32_e32 v61, 0x400000, v52
	v_cmp_u_f32_e32 vcc_lo, v52, v52
	v_add3_u32 v62, v63, v53, 0x7fff
	v_or_b32_e32 v63, 0x400000, v53
	v_and_b32_e32 v57, 0xffff0000, v57
	v_lshlrev_b32_e32 v46, 16, v46
	v_cndmask_b32_e32 v52, v60, v61, vcc_lo
	v_cmp_u_f32_e32 vcc_lo, v53, v53
	v_add3_u32 v60, v64, v56, 0x7fff
	v_or_b32_e32 v61, 0x400000, v56
	v_add_f32_e32 v55, v57, v55
	v_and_b32_e32 v52, 0xffff0000, v52
	v_cndmask_b32_e32 v53, v62, v63, vcc_lo
	v_cmp_u_f32_e32 vcc_lo, v56, v56
	v_mul_f32_e32 v46, v7, v46
	v_add_f32_e32 v55, v55, v58
	v_or_b32_e32 v58, 0x400000, v47
	v_and_b32_e32 v53, 0xffff0000, v53
	v_cndmask_b32_e32 v56, v60, v61, vcc_lo
	v_bfe_u32 v60, v54, 16, 1
	v_cmp_u_f32_e32 vcc_lo, v54, v54
	v_lshlrev_b32_e32 v20, 16, v20
	v_add_f32_e32 v52, v53, v52
	v_lshlrev_b32_e32 v19, 16, v19
	v_add3_u32 v57, v60, v54, 0x7fff
	v_bfe_u32 v54, v51, 16, 1
	v_mul_f32_e32 v5, v5, v20
	v_add_f32_e32 v52, v52, v55
	v_or_b32_e32 v55, 0x400000, v51
	v_cndmask_b32_e32 v53, v57, v59, vcc_lo
	v_add3_u32 v54, v54, v51, 0x7fff
	v_bfe_u32 v57, v50, 16, 1
	v_cmp_u_f32_e32 vcc_lo, v51, v51
	v_mul_f32_e32 v1, v1, v19
	v_lshlrev_b32_e32 v17, 16, v17
	v_lshlrev_b32_e32 v16, 16, v16
	;; [unrolled: 1-line block ×3, first 2 shown]
	v_cndmask_b32_e32 v51, v54, v55, vcc_lo
	v_bfe_u32 v54, v47, 16, 1
	v_add3_u32 v55, v57, v50, 0x7fff
	v_or_b32_e32 v57, 0x400000, v50
	v_cmp_u_f32_e32 vcc_lo, v50, v50
	v_and_b32_e32 v51, 0xffff0000, v51
	v_add3_u32 v54, v54, v47, 0x7fff
	v_mul_f32_e32 v8, v8, v17
	v_mul_f32_e32 v2, v2, v16
	v_cndmask_b32_e32 v50, v55, v57, vcc_lo
	v_bfe_u32 v55, v49, 16, 1
	v_cmp_u_f32_e32 vcc_lo, v47, v47
	v_or_b32_e32 v57, 0x400000, v49
	v_mul_f32_e32 v6, v6, v15
	v_and_b32_e32 v50, 0xffff0000, v50
	v_add3_u32 v55, v55, v49, 0x7fff
	v_cndmask_b32_e32 v47, v54, v58, vcc_lo
	v_bfe_u32 v54, v45, 16, 1
	v_cmp_u_f32_e32 vcc_lo, v49, v49
	v_or_b32_e32 v58, 0x400000, v45
	v_add_f32_e32 v50, v50, v51
	v_and_b32_e32 v47, 0xffff0000, v47
	v_add3_u32 v54, v54, v45, 0x7fff
	v_cndmask_b32_e32 v49, v55, v57, vcc_lo
	v_bfe_u32 v55, v44, 16, 1
	v_cmp_u_f32_e32 vcc_lo, v45, v45
	v_bfe_u32 v57, v48, 16, 1
	v_lshlrev_b32_e32 v9, 16, v9
	v_and_b32_e32 v49, 0xffff0000, v49
	v_and_b32_e32 v53, 0xffff0000, v53
	v_cndmask_b32_e32 v45, v54, v58, vcc_lo
	v_add3_u32 v54, v55, v44, 0x7fff
	v_or_b32_e32 v55, 0x400000, v44
	v_cmp_u_f32_e32 vcc_lo, v44, v44
	v_add3_u32 v57, v57, v48, 0x7fff
	v_or_b32_e32 v58, 0x400000, v48
	v_add_f32_e32 v47, v49, v47
	v_and_b32_e32 v45, 0xffff0000, v45
	v_cndmask_b32_e32 v44, v54, v55, vcc_lo
	v_cmp_u_f32_e32 vcc_lo, v48, v48
	v_bfe_u32 v54, v46, 16, 1
	v_or_b32_e32 v55, 0x400000, v46
	v_mul_f32_e32 v3, v3, v9
	v_and_b32_e32 v44, 0xffff0000, v44
	v_cndmask_b32_e32 v48, v57, v58, vcc_lo
	v_add3_u32 v54, v54, v46, 0x7fff
	v_cmp_u_f32_e32 vcc_lo, v46, v46
	v_add_f32_e32 v46, v47, v50
	v_bfe_u32 v47, v5, 16, 1
	v_add_f32_e32 v44, v44, v45
	v_or_b32_e32 v45, 0x400000, v5
	v_cndmask_b32_e32 v20, v54, v55, vcc_lo
	v_cmp_u_f32_e32 vcc_lo, v5, v5
	v_lshlrev_b32_e32 v9, 16, v18
	v_lshlrev_b32_e32 v18, 16, v112
	v_and_b32_e32 v56, 0xffff0000, v56
	v_and_b32_e32 v19, 0xffff0000, v20
	v_add3_u32 v20, v47, v5, 0x7fff
	v_bfe_u32 v47, v1, 16, 1
	v_mul_f32_e32 v7, v7, v9
	v_mul_f32_e32 v4, v4, v18
	v_or_b32_e32 v9, 0x400000, v6
	v_cndmask_b32_e32 v5, v20, v45, vcc_lo
	v_add3_u32 v17, v47, v1, 0x7fff
	v_or_b32_e32 v20, 0x400000, v1
	v_bfe_u32 v45, v8, 16, 1
	v_cmp_u_f32_e32 vcc_lo, v1, v1
	v_bfe_u32 v18, v7, 16, 1
	v_and_b32_e32 v5, 0xffff0000, v5
	v_add_nc_u32_e32 v43, 4, v43
	v_add3_u32 v16, v45, v8, 0x7fff
	v_cndmask_b32_e32 v1, v17, v20, vcc_lo
	v_or_b32_e32 v17, 0x400000, v8
	v_bfe_u32 v20, v2, 16, 1
	v_cmp_u_f32_e32 vcc_lo, v8, v8
	v_add_f32_e32 v32, v32, v0
	v_and_b32_e32 v1, 0xffff0000, v1
	v_add_co_u32 v13, s0, v13, 16
	v_cndmask_b32_e32 v8, v16, v17, vcc_lo
	v_add3_u32 v15, v20, v2, 0x7fff
	v_or_b32_e32 v16, 0x400000, v2
	v_bfe_u32 v17, v6, 16, 1
	v_cmp_u_f32_e32 vcc_lo, v2, v2
	v_bfe_u32 v20, v4, 16, 1
	v_and_b32_e32 v8, 0xffff0000, v8
	v_add_f32_e32 v1, v5, v1
	v_add_nc_u32_e32 v36, 0x80, v36
	v_cndmask_b32_e32 v2, v15, v16, vcc_lo
	v_bfe_u32 v15, v3, 16, 1
	v_add3_u32 v16, v17, v6, 0x7fff
	v_cmp_u_f32_e32 vcc_lo, v6, v6
	v_or_b32_e32 v17, 0x400000, v3
	v_and_b32_e32 v2, 0xffff0000, v2
	v_add3_u32 v15, v15, v3, 0x7fff
	v_add_nc_u32_e32 v37, 0x200, v37
	v_cndmask_b32_e32 v6, v16, v9, vcc_lo
	v_cmp_u_f32_e32 vcc_lo, v3, v3
	v_or_b32_e32 v16, 0x400000, v4
	v_add3_u32 v9, v18, v7, 0x7fff
	v_add_f32_e32 v2, v8, v2
	v_and_b32_e32 v5, 0xffff0000, v6
	v_cndmask_b32_e32 v3, v15, v17, vcc_lo
	v_add3_u32 v15, v20, v4, 0x7fff
	v_cmp_u_f32_e32 vcc_lo, v4, v4
	v_or_b32_e32 v17, 0x400000, v7
	v_add_f32_e32 v1, v2, v1
	v_and_b32_e32 v3, 0xffff0000, v3
	v_add_co_ci_u32_e64 v14, null, 0, v14, s0
	v_cndmask_b32_e32 v4, v15, v16, vcc_lo
	v_cmp_u_f32_e32 vcc_lo, v7, v7
	v_and_b32_e32 v7, 0xffff0000, v48
	v_add_f32_e32 v2, v5, v3
	v_add_f32_e32 v5, v53, v56
	v_and_b32_e32 v3, 0xffff0000, v4
	v_cndmask_b32_e32 v6, v9, v17, vcc_lo
	v_add_f32_e32 v7, v19, v7
	v_add_f32_e32 v1, v2, v1
	v_cmp_le_i32_e32 vcc_lo, s12, v43
	v_and_b32_e32 v4, 0xffff0000, v6
	v_add_f32_e32 v6, v44, v46
	s_or_b32 s14, vcc_lo, s14
	v_add_f32_e32 v2, v4, v3
	v_add_f32_e32 v3, v22, v21
	;; [unrolled: 1-line block ×9, first 2 shown]
	s_andn2_b32 exec_lo, exec_lo, s14
	s_cbranch_execz .LBB361_1246
.LBB361_626:                            ; =>This Inner Loop Header: Depth=1
	global_load_dword v0, v[13:14], off
	s_waitcnt vmcnt(0)
	v_mad_i64_i32 v[15:16], null, v0, s4, v[11:12]
	v_mov_b32_e32 v0, 0
	global_load_dwordx2 v[17:18], v[15:16], off
	ds_read2_b64 v[5:8], v37 offset1:1
	ds_read2_b64 v[1:4], v37 offset0:2 offset1:3
	s_waitcnt vmcnt(0)
	v_cmp_ne_u16_sdwa s15, v17, v10 src0_sel:BYTE_0 src1_sel:DWORD
	s_and_saveexec_b32 s0, s15
	s_cbranch_execz .LBB361_632
; %bb.627:                              ;   in Loop: Header=BB361_626 Depth=1
	v_cmp_ne_u16_sdwa s16, v17, v38 src0_sel:BYTE_0 src1_sel:DWORD
	v_bfrev_b32_e32 v0, 1
	s_and_saveexec_b32 s15, s16
	s_cbranch_execz .LBB361_631
; %bb.628:                              ;   in Loop: Header=BB361_626 Depth=1
	v_and_b32_e32 v9, 0x7f, v17
	v_mov_b32_e32 v0, 0x7f800001
	s_mov_b32 s16, exec_lo
	v_cmpx_ne_u32_e32 0x7f, v9
	s_cbranch_execz .LBB361_630
; %bb.629:                              ;   in Loop: Header=BB361_626 Depth=1
	v_and_b32_e32 v0, 7, v17
	v_cmp_gt_u32_e32 vcc_lo, 8, v9
	v_lshrrev_b32_e32 v19, 3, v9
	v_ffbh_u32_e32 v0, v0
	v_min_u32_e32 v0, 32, v0
	v_subrev_nc_u32_e32 v20, 28, v0
	v_sub_nc_u32_e32 v0, 29, v0
	v_cndmask_b32_e32 v9, 0, v20, vcc_lo
	v_cndmask_b32_e32 v0, v19, v0, vcc_lo
	v_lshlrev_b64 v[19:20], v9, v[17:18]
	v_lshlrev_b32_e32 v9, 24, v17
	v_lshl_add_u32 v0, v0, 23, 0x3c000000
	v_and_b32_e32 v9, 0x80000000, v9
	v_lshlrev_b32_e32 v19, 20, v19
	v_and_b32_e32 v19, 0x700000, v19
	v_or3_b32 v0, v19, v9, v0
.LBB361_630:                            ;   in Loop: Header=BB361_626 Depth=1
	s_or_b32 exec_lo, exec_lo, s16
.LBB361_631:                            ;   in Loop: Header=BB361_626 Depth=1
	s_or_b32 exec_lo, exec_lo, s15
.LBB361_632:                            ;   in Loop: Header=BB361_626 Depth=1
	s_or_b32 exec_lo, exec_lo, s0
	v_cmp_ne_u16_sdwa s15, v17, v10 src0_sel:BYTE_1 src1_sel:DWORD
	v_mov_b32_e32 v22, 0
	v_mov_b32_e32 v21, 0
	s_and_saveexec_b32 s0, s15
	s_cbranch_execz .LBB361_640
; %bb.633:                              ;   in Loop: Header=BB361_626 Depth=1
	v_cmp_ne_u16_sdwa s16, v17, v38 src0_sel:BYTE_1 src1_sel:DWORD
	v_bfrev_b32_e32 v21, 1
	s_and_saveexec_b32 s15, s16
	s_cbranch_execz .LBB361_639
; %bb.634:                              ;   in Loop: Header=BB361_626 Depth=1
	v_and_b32_sdwa v9, v39, v17 dst_sel:DWORD dst_unused:UNUSED_PAD src0_sel:DWORD src1_sel:BYTE_1
	v_mov_b32_e32 v21, 0x7f800001
	s_mov_b32 s16, exec_lo
	v_and_b32_e32 v20, 0x7f, v9
	v_cmpx_ne_u32_e32 0x7f, v20
	s_cbranch_execz .LBB361_638
; %bb.635:                              ;   in Loop: Header=BB361_626 Depth=1
	v_and_b32_e32 v9, 7, v9
	v_lshrrev_b32_e32 v19, 3, v20
	s_mov_b32 s17, exec_lo
	v_cmpx_gt_u32_e32 8, v20
; %bb.636:                              ;   in Loop: Header=BB361_626 Depth=1
	v_ffbh_u32_e32 v19, v9
	v_min_u32_e32 v19, 32, v19
	v_subrev_nc_u32_e32 v20, 28, v19
	v_sub_nc_u32_e32 v19, 29, v19
	v_lshlrev_b64 v[20:21], v20, v[9:10]
	v_and_b32_e32 v9, 7, v20
; %bb.637:                              ;   in Loop: Header=BB361_626 Depth=1
	s_or_b32 exec_lo, exec_lo, s17
	v_lshlrev_b32_e32 v20, 16, v17
	v_lshlrev_b32_e32 v9, 20, v9
	v_lshl_add_u32 v19, v19, 23, 0x3c000000
	v_and_b32_e32 v20, 0x80000000, v20
	v_or3_b32 v21, v9, v20, v19
.LBB361_638:                            ;   in Loop: Header=BB361_626 Depth=1
	s_or_b32 exec_lo, exec_lo, s16
.LBB361_639:                            ;   in Loop: Header=BB361_626 Depth=1
	s_or_b32 exec_lo, exec_lo, s15
.LBB361_640:                            ;   in Loop: Header=BB361_626 Depth=1
	s_or_b32 exec_lo, exec_lo, s0
	v_and_b32_sdwa v9, v17, v40 dst_sel:DWORD dst_unused:UNUSED_PAD src0_sel:WORD_1 src1_sel:DWORD
	s_mov_b32 s0, exec_lo
	v_cmpx_ne_u16_e32 0, v9
	s_cbranch_execz .LBB361_648
; %bb.641:                              ;   in Loop: Header=BB361_626 Depth=1
	v_bfrev_b32_e32 v22, 1
	s_mov_b32 s15, exec_lo
	v_cmpx_ne_u16_e32 0x80, v9
	s_cbranch_execz .LBB361_647
; %bb.642:                              ;   in Loop: Header=BB361_626 Depth=1
	v_bfe_u32 v20, v17, 16, 7
	v_mov_b32_e32 v22, 0x7f800001
	s_mov_b32 s16, exec_lo
	v_cmpx_ne_u32_e32 0x7f, v20
	s_cbranch_execz .LBB361_646
; %bb.643:                              ;   in Loop: Header=BB361_626 Depth=1
	v_and_b32_sdwa v9, v17, v41 dst_sel:DWORD dst_unused:UNUSED_PAD src0_sel:WORD_1 src1_sel:DWORD
	v_lshrrev_b32_e32 v19, 3, v20
	s_mov_b32 s17, exec_lo
	v_cmpx_gt_u32_e32 8, v20
; %bb.644:                              ;   in Loop: Header=BB361_626 Depth=1
	v_ffbh_u32_e32 v19, v9
	v_min_u32_e32 v19, 32, v19
	v_subrev_nc_u32_e32 v20, 28, v19
	v_sub_nc_u32_e32 v19, 29, v19
	v_lshlrev_b64 v[44:45], v20, v[9:10]
	v_and_b32_e32 v9, 7, v44
; %bb.645:                              ;   in Loop: Header=BB361_626 Depth=1
	s_or_b32 exec_lo, exec_lo, s17
	v_lshlrev_b32_sdwa v20, v42, v17 dst_sel:DWORD dst_unused:UNUSED_PAD src0_sel:DWORD src1_sel:WORD_1
	v_lshlrev_b32_e32 v9, 20, v9
	v_lshl_add_u32 v19, v19, 23, 0x3c000000
	v_and_b32_e32 v20, 0x80000000, v20
	v_or3_b32 v22, v9, v20, v19
.LBB361_646:                            ;   in Loop: Header=BB361_626 Depth=1
	s_or_b32 exec_lo, exec_lo, s16
.LBB361_647:                            ;   in Loop: Header=BB361_626 Depth=1
	s_or_b32 exec_lo, exec_lo, s15
.LBB361_648:                            ;   in Loop: Header=BB361_626 Depth=1
	s_or_b32 exec_lo, exec_lo, s0
	v_mov_b32_e32 v44, 0
	v_mov_b32_e32 v45, 0
	s_mov_b32 s0, exec_lo
	v_cmpx_lt_u32_e32 0xffffff, v17
	s_cbranch_execz .LBB361_656
; %bb.649:                              ;   in Loop: Header=BB361_626 Depth=1
	v_cmp_ne_u32_sdwa s16, v17, v38 src0_sel:BYTE_3 src1_sel:DWORD
	v_bfrev_b32_e32 v45, 1
	s_and_saveexec_b32 s15, s16
	s_cbranch_execz .LBB361_655
; %bb.650:                              ;   in Loop: Header=BB361_626 Depth=1
	v_bfe_u32 v20, v17, 24, 7
	v_mov_b32_e32 v45, 0x7f800001
	s_mov_b32 s16, exec_lo
	v_cmpx_ne_u32_e32 0x7f, v20
	s_cbranch_execz .LBB361_654
; %bb.651:                              ;   in Loop: Header=BB361_626 Depth=1
	v_and_b32_sdwa v9, v17, v41 dst_sel:DWORD dst_unused:UNUSED_PAD src0_sel:BYTE_3 src1_sel:DWORD
	v_lshrrev_b32_e32 v19, 3, v20
	s_mov_b32 s17, exec_lo
	v_cmpx_gt_u32_e32 8, v20
; %bb.652:                              ;   in Loop: Header=BB361_626 Depth=1
	v_ffbh_u32_e32 v19, v9
	v_min_u32_e32 v19, 32, v19
	v_subrev_nc_u32_e32 v20, 28, v19
	v_sub_nc_u32_e32 v19, 29, v19
	v_lshlrev_b64 v[45:46], v20, v[9:10]
	v_and_b32_e32 v9, 7, v45
; %bb.653:                              ;   in Loop: Header=BB361_626 Depth=1
	s_or_b32 exec_lo, exec_lo, s17
	v_lshlrev_b32_sdwa v20, v42, v17 dst_sel:DWORD dst_unused:UNUSED_PAD src0_sel:DWORD src1_sel:BYTE_3
	v_lshlrev_b32_e32 v9, 20, v9
	v_lshl_add_u32 v19, v19, 23, 0x3c000000
	v_and_b32_e32 v20, 0x80000000, v20
	v_or3_b32 v45, v9, v20, v19
.LBB361_654:                            ;   in Loop: Header=BB361_626 Depth=1
	s_or_b32 exec_lo, exec_lo, s16
.LBB361_655:                            ;   in Loop: Header=BB361_626 Depth=1
	s_or_b32 exec_lo, exec_lo, s15
.LBB361_656:                            ;   in Loop: Header=BB361_626 Depth=1
	s_or_b32 exec_lo, exec_lo, s0
	v_mov_b32_e32 v9, v18
	v_cmp_ne_u16_sdwa s15, v18, v10 src0_sel:BYTE_0 src1_sel:DWORD
	s_and_saveexec_b32 s0, s15
	s_cbranch_execz .LBB361_662
; %bb.657:                              ;   in Loop: Header=BB361_626 Depth=1
	v_cmp_ne_u16_sdwa s16, v18, v38 src0_sel:BYTE_0 src1_sel:DWORD
	v_bfrev_b32_e32 v44, 1
	s_and_saveexec_b32 s15, s16
	s_cbranch_execz .LBB361_661
; %bb.658:                              ;   in Loop: Header=BB361_626 Depth=1
	v_and_b32_e32 v19, 0x7f, v18
	v_mov_b32_e32 v44, 0x7f800001
	s_mov_b32 s16, exec_lo
	v_cmpx_ne_u32_e32 0x7f, v19
	s_cbranch_execz .LBB361_660
; %bb.659:                              ;   in Loop: Header=BB361_626 Depth=1
	v_and_b32_e32 v20, 7, v18
	v_cmp_gt_u32_e32 vcc_lo, 8, v19
	v_lshrrev_b32_e32 v44, 3, v19
	v_ffbh_u32_e32 v20, v20
	v_min_u32_e32 v20, 32, v20
	v_subrev_nc_u32_e32 v46, 28, v20
	v_sub_nc_u32_e32 v20, 29, v20
	v_cndmask_b32_e32 v19, 0, v46, vcc_lo
	v_cndmask_b32_e32 v44, v44, v20, vcc_lo
	v_lshlrev_b64 v[19:20], v19, v[9:10]
	v_lshlrev_b32_e32 v20, 24, v9
	v_lshl_add_u32 v44, v44, 23, 0x3c000000
	v_lshlrev_b32_e32 v19, 20, v19
	v_and_b32_e32 v20, 0x80000000, v20
	v_and_b32_e32 v19, 0x700000, v19
	v_or3_b32 v44, v19, v20, v44
.LBB361_660:                            ;   in Loop: Header=BB361_626 Depth=1
	s_or_b32 exec_lo, exec_lo, s16
.LBB361_661:                            ;   in Loop: Header=BB361_626 Depth=1
	s_or_b32 exec_lo, exec_lo, s15
.LBB361_662:                            ;   in Loop: Header=BB361_626 Depth=1
	s_or_b32 exec_lo, exec_lo, s0
	v_cmp_ne_u16_sdwa s15, v9, v10 src0_sel:BYTE_1 src1_sel:DWORD
	v_mov_b32_e32 v46, 0
	v_mov_b32_e32 v19, 0
	s_and_saveexec_b32 s0, s15
	s_cbranch_execz .LBB361_670
; %bb.663:                              ;   in Loop: Header=BB361_626 Depth=1
	v_cmp_ne_u16_sdwa s16, v9, v38 src0_sel:BYTE_1 src1_sel:DWORD
	v_bfrev_b32_e32 v19, 1
	s_and_saveexec_b32 s15, s16
	s_cbranch_execz .LBB361_669
; %bb.664:                              ;   in Loop: Header=BB361_626 Depth=1
	v_and_b32_sdwa v20, v39, v9 dst_sel:DWORD dst_unused:UNUSED_PAD src0_sel:DWORD src1_sel:BYTE_1
	v_mov_b32_e32 v19, 0x7f800001
	s_mov_b32 s16, exec_lo
	v_and_b32_e32 v48, 0x7f, v20
	v_cmpx_ne_u32_e32 0x7f, v48
	s_cbranch_execz .LBB361_668
; %bb.665:                              ;   in Loop: Header=BB361_626 Depth=1
	v_and_b32_e32 v19, 7, v20
	v_mov_b32_e32 v20, v10
	v_lshrrev_b32_e32 v47, 3, v48
	s_mov_b32 s17, exec_lo
	v_cmpx_gt_u32_e32 8, v48
; %bb.666:                              ;   in Loop: Header=BB361_626 Depth=1
	v_ffbh_u32_e32 v47, v19
	v_min_u32_e32 v47, 32, v47
	v_subrev_nc_u32_e32 v48, 28, v47
	v_sub_nc_u32_e32 v47, 29, v47
	v_lshlrev_b64 v[19:20], v48, v[19:20]
	v_and_b32_e32 v19, 7, v19
; %bb.667:                              ;   in Loop: Header=BB361_626 Depth=1
	s_or_b32 exec_lo, exec_lo, s17
	v_lshlrev_b32_e32 v9, 16, v9
	v_lshlrev_b32_e32 v19, 20, v19
	v_lshl_add_u32 v20, v47, 23, 0x3c000000
	v_and_b32_e32 v9, 0x80000000, v9
	v_or3_b32 v19, v19, v9, v20
.LBB361_668:                            ;   in Loop: Header=BB361_626 Depth=1
	s_or_b32 exec_lo, exec_lo, s16
.LBB361_669:                            ;   in Loop: Header=BB361_626 Depth=1
	s_or_b32 exec_lo, exec_lo, s15
.LBB361_670:                            ;   in Loop: Header=BB361_626 Depth=1
	s_or_b32 exec_lo, exec_lo, s0
	v_and_b32_sdwa v9, v18, v40 dst_sel:DWORD dst_unused:UNUSED_PAD src0_sel:WORD_1 src1_sel:DWORD
	s_mov_b32 s0, exec_lo
	v_cmpx_ne_u16_e32 0, v9
	s_cbranch_execz .LBB361_678
; %bb.671:                              ;   in Loop: Header=BB361_626 Depth=1
	v_bfrev_b32_e32 v46, 1
	s_mov_b32 s15, exec_lo
	v_cmpx_ne_u16_e32 0x80, v9
	s_cbranch_execz .LBB361_677
; %bb.672:                              ;   in Loop: Header=BB361_626 Depth=1
	v_bfe_u32 v47, v18, 16, 7
	v_mov_b32_e32 v46, 0x7f800001
	s_mov_b32 s16, exec_lo
	v_cmpx_ne_u32_e32 0x7f, v47
	s_cbranch_execz .LBB361_676
; %bb.673:                              ;   in Loop: Header=BB361_626 Depth=1
	v_and_b32_sdwa v9, v18, v41 dst_sel:DWORD dst_unused:UNUSED_PAD src0_sel:WORD_1 src1_sel:DWORD
	v_lshrrev_b32_e32 v20, 3, v47
	s_mov_b32 s17, exec_lo
	v_cmpx_gt_u32_e32 8, v47
; %bb.674:                              ;   in Loop: Header=BB361_626 Depth=1
	v_ffbh_u32_e32 v20, v9
	v_min_u32_e32 v20, 32, v20
	v_subrev_nc_u32_e32 v46, 28, v20
	v_sub_nc_u32_e32 v20, 29, v20
	v_lshlrev_b64 v[46:47], v46, v[9:10]
	v_and_b32_e32 v9, 7, v46
; %bb.675:                              ;   in Loop: Header=BB361_626 Depth=1
	s_or_b32 exec_lo, exec_lo, s17
	v_lshlrev_b32_sdwa v46, v42, v18 dst_sel:DWORD dst_unused:UNUSED_PAD src0_sel:DWORD src1_sel:WORD_1
	v_lshlrev_b32_e32 v9, 20, v9
	v_lshl_add_u32 v20, v20, 23, 0x3c000000
	v_and_b32_e32 v46, 0x80000000, v46
	v_or3_b32 v46, v9, v46, v20
.LBB361_676:                            ;   in Loop: Header=BB361_626 Depth=1
	s_or_b32 exec_lo, exec_lo, s16
.LBB361_677:                            ;   in Loop: Header=BB361_626 Depth=1
	s_or_b32 exec_lo, exec_lo, s15
.LBB361_678:                            ;   in Loop: Header=BB361_626 Depth=1
	s_or_b32 exec_lo, exec_lo, s0
	v_mov_b32_e32 v9, 0
	s_mov_b32 s0, exec_lo
	v_cmpx_lt_u64_e64 s[2:3], v[17:18]
	s_cbranch_execz .LBB361_686
; %bb.679:                              ;   in Loop: Header=BB361_626 Depth=1
	v_cmp_ne_u32_sdwa s16, v18, v38 src0_sel:BYTE_3 src1_sel:DWORD
	v_bfrev_b32_e32 v9, 1
	s_and_saveexec_b32 s15, s16
	s_cbranch_execz .LBB361_685
; %bb.680:                              ;   in Loop: Header=BB361_626 Depth=1
	v_bfe_u32 v20, v18, 24, 7
	v_mov_b32_e32 v9, 0x7f800001
	s_mov_b32 s16, exec_lo
	v_cmpx_ne_u32_e32 0x7f, v20
	s_cbranch_execz .LBB361_684
; %bb.681:                              ;   in Loop: Header=BB361_626 Depth=1
	v_and_b32_sdwa v9, v18, v41 dst_sel:DWORD dst_unused:UNUSED_PAD src0_sel:BYTE_3 src1_sel:DWORD
	v_lshrrev_b32_e32 v17, 3, v20
	s_mov_b32 s17, exec_lo
	v_cmpx_gt_u32_e32 8, v20
; %bb.682:                              ;   in Loop: Header=BB361_626 Depth=1
	v_ffbh_u32_e32 v17, v9
	v_min_u32_e32 v17, 32, v17
	v_subrev_nc_u32_e32 v20, 28, v17
	v_sub_nc_u32_e32 v17, 29, v17
	v_lshlrev_b64 v[47:48], v20, v[9:10]
	v_and_b32_e32 v9, 7, v47
; %bb.683:                              ;   in Loop: Header=BB361_626 Depth=1
	s_or_b32 exec_lo, exec_lo, s17
	v_lshlrev_b32_sdwa v18, v42, v18 dst_sel:DWORD dst_unused:UNUSED_PAD src0_sel:DWORD src1_sel:BYTE_3
	v_lshlrev_b32_e32 v9, 20, v9
	v_lshl_add_u32 v17, v17, 23, 0x3c000000
	v_and_b32_e32 v18, 0x80000000, v18
	v_or3_b32 v9, v9, v18, v17
.LBB361_684:                            ;   in Loop: Header=BB361_626 Depth=1
	s_or_b32 exec_lo, exec_lo, s16
.LBB361_685:                            ;   in Loop: Header=BB361_626 Depth=1
	s_or_b32 exec_lo, exec_lo, s15
.LBB361_686:                            ;   in Loop: Header=BB361_626 Depth=1
	s_or_b32 exec_lo, exec_lo, s0
	s_waitcnt lgkmcnt(0)
	v_mul_f32_e32 v17, s5, v19
	v_mul_f32_e32 v18, s5, v44
	;; [unrolled: 1-line block ×5, first 2 shown]
	v_bfe_u32 v20, v17, 16, 1
	v_or_b32_e32 v44, 0x400000, v17
	v_bfe_u32 v45, v18, 16, 1
	v_cmp_u_f32_e64 s0, v17, v17
	v_or_b32_e32 v47, 0x400000, v18
	v_add3_u32 v20, v20, v17, 0x7fff
	v_bfe_u32 v48, v19, 16, 1
	v_add3_u32 v45, v45, v18, 0x7fff
	v_or_b32_e32 v49, 0x400000, v19
	v_mul_f32_e32 v9, s5, v9
	v_cndmask_b32_e64 v17, v20, v44, s0
	v_cmp_u_f32_e64 s0, v18, v18
	v_add3_u32 v44, v48, v19, 0x7fff
	v_bfe_u32 v20, v22, 16, 1
	v_add_nc_u32_e32 v60, -7, v36
	v_cmp_eq_u32_e32 vcc_lo, s13, v43
	v_cndmask_b32_e64 v18, v45, v47, s0
	v_cmp_u_f32_e64 s0, v19, v19
	v_lshrrev_b32_e32 v45, 16, v17
	v_mul_f32_e32 v19, s5, v21
	v_add3_u32 v20, v20, v22, 0x7fff
	v_or_b32_e32 v21, 0x400000, v22
	v_cndmask_b32_e64 v17, v44, v49, s0
	v_cmp_u_f32_e64 s0, v22, v22
	v_lshrrev_b32_e32 v44, 16, v18
	v_bfe_u32 v22, v0, 16, 1
	v_or_b32_e32 v49, 0x400000, v9
	v_lshrrev_b32_e32 v47, 16, v17
	v_bfe_u32 v17, v19, 16, 1
	v_cndmask_b32_e64 v18, v20, v21, s0
	v_mul_f32_e32 v20, s5, v46
	v_or_b32_e32 v21, 0x400000, v19
	v_cmp_u_f32_e64 s0, v19, v19
	v_add3_u32 v17, v17, v19, 0x7fff
	v_bfe_u32 v19, v9, 16, 1
	v_bfe_u32 v46, v20, 16, 1
	v_or_b32_e32 v48, 0x400000, v20
	v_add_nc_u32_e32 v66, -6, v36
	v_cndmask_b32_e64 v17, v17, v21, s0
	v_add3_u32 v21, v22, v0, 0x7fff
	v_or_b32_e32 v22, 0x400000, v0
	v_cmp_u_f32_e64 s0, v0, v0
	v_add3_u32 v46, v46, v20, 0x7fff
	v_add3_u32 v19, v19, v9, 0x7fff
	v_lshrrev_b32_e32 v51, 16, v17
	v_add_nc_u32_e32 v65, -5, v36
	v_cndmask_b32_e64 v0, v21, v22, s0
	v_cmp_u_f32_e64 s0, v20, v20
	v_add_nc_u32_e32 v64, -4, v36
	v_add_nc_u32_e32 v63, -3, v36
	;; [unrolled: 1-line block ×3, first 2 shown]
	v_lshrrev_b32_e32 v50, 16, v0
	v_cndmask_b32_e64 v20, v46, v48, s0
	v_cmp_u_f32_e64 s0, v9, v9
	v_add_nc_u32_e32 v61, -1, v36
	v_lshrrev_b32_e32 v46, 16, v20
	v_cndmask_b32_e64 v9, v19, v49, s0
	v_lshrrev_b32_e32 v49, 16, v18
	v_lshrrev_b32_e32 v48, 16, v9
	s_and_saveexec_b32 s15, vcc_lo
	s_cbranch_execz .LBB361_688
; %bb.687:                              ;   in Loop: Header=BB361_626 Depth=1
	v_cmp_gt_i32_e64 s0, s11, v60
	v_cndmask_b32_e64 v50, 0, v50, s0
	v_cmp_gt_i32_e64 s0, s11, v66
	v_cndmask_b32_e64 v51, 0, v51, s0
	;; [unrolled: 2-line block ×8, first 2 shown]
.LBB361_688:                            ;   in Loop: Header=BB361_626 Depth=1
	s_or_b32 exec_lo, exec_lo, s15
	global_load_dwordx2 v[17:18], v[15:16], off offset:256
	v_mov_b32_e32 v21, 0
	v_mov_b32_e32 v0, 0
	s_waitcnt vmcnt(0)
	v_cmp_ne_u16_sdwa s0, v17, v10 src0_sel:BYTE_0 src1_sel:DWORD
	s_and_saveexec_b32 s15, s0
	s_cbranch_execz .LBB361_694
; %bb.689:                              ;   in Loop: Header=BB361_626 Depth=1
	v_cmp_ne_u16_sdwa s0, v17, v38 src0_sel:BYTE_0 src1_sel:DWORD
	v_bfrev_b32_e32 v0, 1
	s_and_saveexec_b32 s16, s0
	s_cbranch_execz .LBB361_693
; %bb.690:                              ;   in Loop: Header=BB361_626 Depth=1
	v_and_b32_e32 v9, 0x7f, v17
	v_mov_b32_e32 v0, 0x7f800001
	s_mov_b32 s17, exec_lo
	v_cmpx_ne_u32_e32 0x7f, v9
	s_cbranch_execz .LBB361_692
; %bb.691:                              ;   in Loop: Header=BB361_626 Depth=1
	v_and_b32_e32 v0, 7, v17
	v_cmp_gt_u32_e64 s0, 8, v9
	v_lshrrev_b32_e32 v19, 3, v9
	v_ffbh_u32_e32 v0, v0
	v_min_u32_e32 v0, 32, v0
	v_subrev_nc_u32_e32 v20, 28, v0
	v_sub_nc_u32_e32 v0, 29, v0
	v_cndmask_b32_e64 v9, 0, v20, s0
	v_cndmask_b32_e64 v0, v19, v0, s0
	v_lshlrev_b64 v[19:20], v9, v[17:18]
	v_lshlrev_b32_e32 v9, 24, v17
	v_lshl_add_u32 v0, v0, 23, 0x3c000000
	v_and_b32_e32 v9, 0x80000000, v9
	v_lshlrev_b32_e32 v19, 20, v19
	v_and_b32_e32 v19, 0x700000, v19
	v_or3_b32 v0, v19, v9, v0
.LBB361_692:                            ;   in Loop: Header=BB361_626 Depth=1
	s_or_b32 exec_lo, exec_lo, s17
.LBB361_693:                            ;   in Loop: Header=BB361_626 Depth=1
	s_or_b32 exec_lo, exec_lo, s16
.LBB361_694:                            ;   in Loop: Header=BB361_626 Depth=1
	s_or_b32 exec_lo, exec_lo, s15
	v_cmp_ne_u16_sdwa s0, v17, v10 src0_sel:BYTE_1 src1_sel:DWORD
	s_and_saveexec_b32 s15, s0
	s_cbranch_execz .LBB361_702
; %bb.695:                              ;   in Loop: Header=BB361_626 Depth=1
	v_cmp_ne_u16_sdwa s0, v17, v38 src0_sel:BYTE_1 src1_sel:DWORD
	v_bfrev_b32_e32 v21, 1
	s_and_saveexec_b32 s16, s0
	s_cbranch_execz .LBB361_701
; %bb.696:                              ;   in Loop: Header=BB361_626 Depth=1
	v_and_b32_sdwa v9, v39, v17 dst_sel:DWORD dst_unused:UNUSED_PAD src0_sel:DWORD src1_sel:BYTE_1
	v_mov_b32_e32 v21, 0x7f800001
	s_mov_b32 s17, exec_lo
	v_and_b32_e32 v20, 0x7f, v9
	v_cmpx_ne_u32_e32 0x7f, v20
	s_cbranch_execz .LBB361_700
; %bb.697:                              ;   in Loop: Header=BB361_626 Depth=1
	v_and_b32_e32 v9, 7, v9
	v_lshrrev_b32_e32 v19, 3, v20
	s_mov_b32 s18, exec_lo
	v_cmpx_gt_u32_e32 8, v20
; %bb.698:                              ;   in Loop: Header=BB361_626 Depth=1
	v_ffbh_u32_e32 v19, v9
	v_min_u32_e32 v19, 32, v19
	v_subrev_nc_u32_e32 v20, 28, v19
	v_sub_nc_u32_e32 v19, 29, v19
	v_lshlrev_b64 v[20:21], v20, v[9:10]
	v_and_b32_e32 v9, 7, v20
; %bb.699:                              ;   in Loop: Header=BB361_626 Depth=1
	s_or_b32 exec_lo, exec_lo, s18
	v_lshlrev_b32_e32 v20, 16, v17
	v_lshlrev_b32_e32 v9, 20, v9
	v_lshl_add_u32 v19, v19, 23, 0x3c000000
	v_and_b32_e32 v20, 0x80000000, v20
	v_or3_b32 v21, v9, v20, v19
.LBB361_700:                            ;   in Loop: Header=BB361_626 Depth=1
	s_or_b32 exec_lo, exec_lo, s17
.LBB361_701:                            ;   in Loop: Header=BB361_626 Depth=1
	s_or_b32 exec_lo, exec_lo, s16
.LBB361_702:                            ;   in Loop: Header=BB361_626 Depth=1
	s_or_b32 exec_lo, exec_lo, s15
	v_and_b32_sdwa v9, v17, v40 dst_sel:DWORD dst_unused:UNUSED_PAD src0_sel:WORD_1 src1_sel:DWORD
	v_mov_b32_e32 v52, 0
	v_mov_b32_e32 v22, 0
	s_mov_b32 s15, exec_lo
	v_cmpx_ne_u16_e32 0, v9
	s_cbranch_execz .LBB361_710
; %bb.703:                              ;   in Loop: Header=BB361_626 Depth=1
	v_bfrev_b32_e32 v22, 1
	s_mov_b32 s16, exec_lo
	v_cmpx_ne_u16_e32 0x80, v9
	s_cbranch_execz .LBB361_709
; %bb.704:                              ;   in Loop: Header=BB361_626 Depth=1
	v_bfe_u32 v20, v17, 16, 7
	v_mov_b32_e32 v22, 0x7f800001
	s_mov_b32 s17, exec_lo
	v_cmpx_ne_u32_e32 0x7f, v20
	s_cbranch_execz .LBB361_708
; %bb.705:                              ;   in Loop: Header=BB361_626 Depth=1
	v_and_b32_sdwa v9, v17, v41 dst_sel:DWORD dst_unused:UNUSED_PAD src0_sel:WORD_1 src1_sel:DWORD
	v_lshrrev_b32_e32 v19, 3, v20
	s_mov_b32 s18, exec_lo
	v_cmpx_gt_u32_e32 8, v20
; %bb.706:                              ;   in Loop: Header=BB361_626 Depth=1
	v_ffbh_u32_e32 v19, v9
	v_min_u32_e32 v19, 32, v19
	v_subrev_nc_u32_e32 v20, 28, v19
	v_sub_nc_u32_e32 v19, 29, v19
	v_lshlrev_b64 v[53:54], v20, v[9:10]
	v_and_b32_e32 v9, 7, v53
; %bb.707:                              ;   in Loop: Header=BB361_626 Depth=1
	s_or_b32 exec_lo, exec_lo, s18
	v_lshlrev_b32_sdwa v20, v42, v17 dst_sel:DWORD dst_unused:UNUSED_PAD src0_sel:DWORD src1_sel:WORD_1
	v_lshlrev_b32_e32 v9, 20, v9
	v_lshl_add_u32 v19, v19, 23, 0x3c000000
	v_and_b32_e32 v20, 0x80000000, v20
	v_or3_b32 v22, v9, v20, v19
.LBB361_708:                            ;   in Loop: Header=BB361_626 Depth=1
	s_or_b32 exec_lo, exec_lo, s17
.LBB361_709:                            ;   in Loop: Header=BB361_626 Depth=1
	s_or_b32 exec_lo, exec_lo, s16
.LBB361_710:                            ;   in Loop: Header=BB361_626 Depth=1
	s_or_b32 exec_lo, exec_lo, s15
	s_mov_b32 s15, exec_lo
	v_cmpx_lt_u32_e32 0xffffff, v17
	s_cbranch_execz .LBB361_718
; %bb.711:                              ;   in Loop: Header=BB361_626 Depth=1
	v_cmp_ne_u32_sdwa s0, v17, v38 src0_sel:BYTE_3 src1_sel:DWORD
	v_bfrev_b32_e32 v52, 1
	s_and_saveexec_b32 s16, s0
	s_cbranch_execz .LBB361_717
; %bb.712:                              ;   in Loop: Header=BB361_626 Depth=1
	v_bfe_u32 v20, v17, 24, 7
	v_mov_b32_e32 v52, 0x7f800001
	s_mov_b32 s17, exec_lo
	v_cmpx_ne_u32_e32 0x7f, v20
	s_cbranch_execz .LBB361_716
; %bb.713:                              ;   in Loop: Header=BB361_626 Depth=1
	v_and_b32_sdwa v9, v17, v41 dst_sel:DWORD dst_unused:UNUSED_PAD src0_sel:BYTE_3 src1_sel:DWORD
	v_lshrrev_b32_e32 v19, 3, v20
	s_mov_b32 s18, exec_lo
	v_cmpx_gt_u32_e32 8, v20
; %bb.714:                              ;   in Loop: Header=BB361_626 Depth=1
	v_ffbh_u32_e32 v19, v9
	v_min_u32_e32 v19, 32, v19
	v_subrev_nc_u32_e32 v20, 28, v19
	v_sub_nc_u32_e32 v19, 29, v19
	v_lshlrev_b64 v[52:53], v20, v[9:10]
	v_and_b32_e32 v9, 7, v52
; %bb.715:                              ;   in Loop: Header=BB361_626 Depth=1
	s_or_b32 exec_lo, exec_lo, s18
	v_lshlrev_b32_sdwa v20, v42, v17 dst_sel:DWORD dst_unused:UNUSED_PAD src0_sel:DWORD src1_sel:BYTE_3
	v_lshlrev_b32_e32 v9, 20, v9
	v_lshl_add_u32 v19, v19, 23, 0x3c000000
	v_and_b32_e32 v20, 0x80000000, v20
	v_or3_b32 v52, v9, v20, v19
.LBB361_716:                            ;   in Loop: Header=BB361_626 Depth=1
	s_or_b32 exec_lo, exec_lo, s17
.LBB361_717:                            ;   in Loop: Header=BB361_626 Depth=1
	s_or_b32 exec_lo, exec_lo, s16
.LBB361_718:                            ;   in Loop: Header=BB361_626 Depth=1
	s_or_b32 exec_lo, exec_lo, s15
	v_mov_b32_e32 v9, v18
	v_cmp_ne_u16_sdwa s0, v18, v10 src0_sel:BYTE_0 src1_sel:DWORD
	v_mov_b32_e32 v19, 0
	v_mov_b32_e32 v53, 0
	s_and_saveexec_b32 s15, s0
	s_cbranch_execz .LBB361_724
; %bb.719:                              ;   in Loop: Header=BB361_626 Depth=1
	v_cmp_ne_u16_sdwa s0, v18, v38 src0_sel:BYTE_0 src1_sel:DWORD
	v_bfrev_b32_e32 v53, 1
	s_and_saveexec_b32 s16, s0
	s_cbranch_execz .LBB361_723
; %bb.720:                              ;   in Loop: Header=BB361_626 Depth=1
	v_and_b32_e32 v20, 0x7f, v18
	v_mov_b32_e32 v53, 0x7f800001
	s_mov_b32 s17, exec_lo
	v_cmpx_ne_u32_e32 0x7f, v20
	s_cbranch_execz .LBB361_722
; %bb.721:                              ;   in Loop: Header=BB361_626 Depth=1
	v_and_b32_e32 v53, 7, v18
	v_lshrrev_b32_e32 v54, 3, v20
	v_cmp_gt_u32_e64 s0, 8, v20
	v_ffbh_u32_e32 v53, v53
	v_min_u32_e32 v53, 32, v53
	v_subrev_nc_u32_e32 v55, 28, v53
	v_sub_nc_u32_e32 v53, 29, v53
	v_cndmask_b32_e64 v20, v54, v53, s0
	v_cndmask_b32_e64 v53, 0, v55, s0
	v_lshl_add_u32 v20, v20, 23, 0x3c000000
	v_lshlrev_b64 v[53:54], v53, v[9:10]
	v_lshlrev_b32_e32 v54, 24, v9
	v_lshlrev_b32_e32 v53, 20, v53
	v_and_b32_e32 v54, 0x80000000, v54
	v_and_b32_e32 v53, 0x700000, v53
	v_or3_b32 v53, v53, v54, v20
.LBB361_722:                            ;   in Loop: Header=BB361_626 Depth=1
	s_or_b32 exec_lo, exec_lo, s17
.LBB361_723:                            ;   in Loop: Header=BB361_626 Depth=1
	s_or_b32 exec_lo, exec_lo, s16
.LBB361_724:                            ;   in Loop: Header=BB361_626 Depth=1
	s_or_b32 exec_lo, exec_lo, s15
	v_cmp_ne_u16_sdwa s0, v9, v10 src0_sel:BYTE_1 src1_sel:DWORD
	s_and_saveexec_b32 s15, s0
	s_cbranch_execz .LBB361_732
; %bb.725:                              ;   in Loop: Header=BB361_626 Depth=1
	v_cmp_ne_u16_sdwa s0, v9, v38 src0_sel:BYTE_1 src1_sel:DWORD
	v_bfrev_b32_e32 v19, 1
	s_and_saveexec_b32 s16, s0
	s_cbranch_execz .LBB361_731
; %bb.726:                              ;   in Loop: Header=BB361_626 Depth=1
	v_and_b32_sdwa v20, v39, v9 dst_sel:DWORD dst_unused:UNUSED_PAD src0_sel:DWORD src1_sel:BYTE_1
	v_mov_b32_e32 v19, 0x7f800001
	s_mov_b32 s17, exec_lo
	v_and_b32_e32 v55, 0x7f, v20
	v_cmpx_ne_u32_e32 0x7f, v55
	s_cbranch_execz .LBB361_730
; %bb.727:                              ;   in Loop: Header=BB361_626 Depth=1
	v_and_b32_e32 v19, 7, v20
	v_mov_b32_e32 v20, v10
	v_lshrrev_b32_e32 v54, 3, v55
	s_mov_b32 s18, exec_lo
	v_cmpx_gt_u32_e32 8, v55
; %bb.728:                              ;   in Loop: Header=BB361_626 Depth=1
	v_ffbh_u32_e32 v54, v19
	v_min_u32_e32 v54, 32, v54
	v_subrev_nc_u32_e32 v55, 28, v54
	v_sub_nc_u32_e32 v54, 29, v54
	v_lshlrev_b64 v[19:20], v55, v[19:20]
	v_and_b32_e32 v19, 7, v19
; %bb.729:                              ;   in Loop: Header=BB361_626 Depth=1
	s_or_b32 exec_lo, exec_lo, s18
	v_lshlrev_b32_e32 v9, 16, v9
	v_lshlrev_b32_e32 v19, 20, v19
	v_lshl_add_u32 v20, v54, 23, 0x3c000000
	v_and_b32_e32 v9, 0x80000000, v9
	v_or3_b32 v19, v19, v9, v20
.LBB361_730:                            ;   in Loop: Header=BB361_626 Depth=1
	s_or_b32 exec_lo, exec_lo, s17
.LBB361_731:                            ;   in Loop: Header=BB361_626 Depth=1
	s_or_b32 exec_lo, exec_lo, s16
.LBB361_732:                            ;   in Loop: Header=BB361_626 Depth=1
	s_or_b32 exec_lo, exec_lo, s15
	v_and_b32_sdwa v9, v18, v40 dst_sel:DWORD dst_unused:UNUSED_PAD src0_sel:WORD_1 src1_sel:DWORD
	v_mov_b32_e32 v20, 0
	v_mov_b32_e32 v54, 0
	s_mov_b32 s15, exec_lo
	v_cmpx_ne_u16_e32 0, v9
	s_cbranch_execz .LBB361_740
; %bb.733:                              ;   in Loop: Header=BB361_626 Depth=1
	v_bfrev_b32_e32 v54, 1
	s_mov_b32 s16, exec_lo
	v_cmpx_ne_u16_e32 0x80, v9
	s_cbranch_execz .LBB361_739
; %bb.734:                              ;   in Loop: Header=BB361_626 Depth=1
	v_bfe_u32 v55, v18, 16, 7
	v_mov_b32_e32 v54, 0x7f800001
	s_mov_b32 s17, exec_lo
	v_cmpx_ne_u32_e32 0x7f, v55
	s_cbranch_execz .LBB361_738
; %bb.735:                              ;   in Loop: Header=BB361_626 Depth=1
	v_and_b32_sdwa v9, v18, v41 dst_sel:DWORD dst_unused:UNUSED_PAD src0_sel:WORD_1 src1_sel:DWORD
	v_lshrrev_b32_e32 v54, 3, v55
	s_mov_b32 s18, exec_lo
	v_cmpx_gt_u32_e32 8, v55
; %bb.736:                              ;   in Loop: Header=BB361_626 Depth=1
	v_ffbh_u32_e32 v54, v9
	v_min_u32_e32 v54, 32, v54
	v_subrev_nc_u32_e32 v55, 28, v54
	v_sub_nc_u32_e32 v54, 29, v54
	v_lshlrev_b64 v[55:56], v55, v[9:10]
	v_and_b32_e32 v9, 7, v55
; %bb.737:                              ;   in Loop: Header=BB361_626 Depth=1
	s_or_b32 exec_lo, exec_lo, s18
	v_lshlrev_b32_sdwa v55, v42, v18 dst_sel:DWORD dst_unused:UNUSED_PAD src0_sel:DWORD src1_sel:WORD_1
	v_lshlrev_b32_e32 v9, 20, v9
	v_lshl_add_u32 v54, v54, 23, 0x3c000000
	v_and_b32_e32 v55, 0x80000000, v55
	v_or3_b32 v54, v9, v55, v54
.LBB361_738:                            ;   in Loop: Header=BB361_626 Depth=1
	s_or_b32 exec_lo, exec_lo, s17
.LBB361_739:                            ;   in Loop: Header=BB361_626 Depth=1
	s_or_b32 exec_lo, exec_lo, s16
.LBB361_740:                            ;   in Loop: Header=BB361_626 Depth=1
	s_or_b32 exec_lo, exec_lo, s15
	s_mov_b32 s15, exec_lo
	v_cmpx_lt_u64_e64 s[2:3], v[17:18]
	s_cbranch_execz .LBB361_748
; %bb.741:                              ;   in Loop: Header=BB361_626 Depth=1
	v_cmp_ne_u32_sdwa s0, v18, v38 src0_sel:BYTE_3 src1_sel:DWORD
	v_bfrev_b32_e32 v20, 1
	s_and_saveexec_b32 s16, s0
	s_cbranch_execz .LBB361_747
; %bb.742:                              ;   in Loop: Header=BB361_626 Depth=1
	v_bfe_u32 v55, v18, 24, 7
	v_mov_b32_e32 v20, 0x7f800001
	s_mov_b32 s17, exec_lo
	v_cmpx_ne_u32_e32 0x7f, v55
	s_cbranch_execz .LBB361_746
; %bb.743:                              ;   in Loop: Header=BB361_626 Depth=1
	v_and_b32_sdwa v9, v18, v41 dst_sel:DWORD dst_unused:UNUSED_PAD src0_sel:BYTE_3 src1_sel:DWORD
	v_lshrrev_b32_e32 v17, 3, v55
	s_mov_b32 s18, exec_lo
	v_cmpx_gt_u32_e32 8, v55
; %bb.744:                              ;   in Loop: Header=BB361_626 Depth=1
	v_ffbh_u32_e32 v17, v9
	v_min_u32_e32 v17, 32, v17
	v_subrev_nc_u32_e32 v20, 28, v17
	v_sub_nc_u32_e32 v17, 29, v17
	v_lshlrev_b64 v[55:56], v20, v[9:10]
	v_and_b32_e32 v9, 7, v55
; %bb.745:                              ;   in Loop: Header=BB361_626 Depth=1
	s_or_b32 exec_lo, exec_lo, s18
	v_lshlrev_b32_sdwa v18, v42, v18 dst_sel:DWORD dst_unused:UNUSED_PAD src0_sel:DWORD src1_sel:BYTE_3
	v_lshlrev_b32_e32 v9, 20, v9
	v_lshl_add_u32 v17, v17, 23, 0x3c000000
	v_and_b32_e32 v18, 0x80000000, v18
	v_or3_b32 v20, v9, v18, v17
.LBB361_746:                            ;   in Loop: Header=BB361_626 Depth=1
	s_or_b32 exec_lo, exec_lo, s17
.LBB361_747:                            ;   in Loop: Header=BB361_626 Depth=1
	s_or_b32 exec_lo, exec_lo, s16
.LBB361_748:                            ;   in Loop: Header=BB361_626 Depth=1
	s_or_b32 exec_lo, exec_lo, s15
	v_mul_f32_e32 v9, s5, v19
	v_mul_f32_e32 v17, s5, v53
	v_mul_f32_e32 v19, s5, v22
	v_mul_f32_e32 v18, s5, v52
	v_mul_f32_e32 v0, s5, v0
	v_bfe_u32 v22, v9, 16, 1
	v_or_b32_e32 v52, 0x400000, v9
	v_bfe_u32 v53, v17, 16, 1
	v_cmp_u_f32_e64 s0, v9, v9
	v_or_b32_e32 v55, 0x400000, v17
	v_add3_u32 v22, v22, v9, 0x7fff
	v_bfe_u32 v56, v18, 16, 1
	v_add3_u32 v53, v53, v17, 0x7fff
	v_or_b32_e32 v57, 0x400000, v18
	v_bfe_u32 v58, v19, 16, 1
	v_cndmask_b32_e64 v9, v22, v52, s0
	v_cmp_u_f32_e64 s0, v17, v17
	v_add3_u32 v56, v56, v18, 0x7fff
	v_or_b32_e32 v22, 0x400000, v19
	v_mul_f32_e32 v20, s5, v20
	v_lshrrev_b32_e32 v52, 16, v9
	v_cndmask_b32_e64 v17, v53, v55, s0
	v_cmp_u_f32_e64 s0, v18, v18
	v_mul_f32_e32 v9, s5, v21
	v_add3_u32 v21, v58, v19, 0x7fff
	v_lshrrev_b32_e32 v53, 16, v17
	v_cndmask_b32_e64 v18, v56, v57, s0
	v_bfe_u32 v17, v9, 16, 1
	v_cmp_u_f32_e64 s0, v19, v19
	v_mul_f32_e32 v19, s5, v54
	v_or_b32_e32 v57, 0x400000, v20
	v_lshrrev_b32_e32 v55, 16, v18
	v_add3_u32 v17, v17, v9, 0x7fff
	v_cndmask_b32_e64 v18, v21, v22, s0
	v_or_b32_e32 v21, 0x400000, v9
	v_bfe_u32 v22, v0, 16, 1
	v_cmp_u_f32_e64 s0, v9, v9
	v_bfe_u32 v54, v19, 16, 1
	v_or_b32_e32 v56, 0x400000, v19
	v_cndmask_b32_e64 v9, v17, v21, s0
	v_add3_u32 v21, v22, v0, 0x7fff
	v_or_b32_e32 v22, 0x400000, v0
	v_cmp_u_f32_e64 s0, v0, v0
	v_bfe_u32 v17, v20, 16, 1
	v_add3_u32 v54, v54, v19, 0x7fff
	v_lshrrev_b32_e32 v59, 16, v9
	v_cndmask_b32_e64 v0, v21, v22, s0
	v_cmp_u_f32_e64 s0, v19, v19
	v_add3_u32 v17, v17, v20, 0x7fff
	v_lshrrev_b32_e32 v58, 16, v0
	v_cndmask_b32_e64 v19, v54, v56, s0
	v_cmp_u_f32_e64 s0, v20, v20
	v_lshrrev_b32_e32 v54, 16, v19
	v_cndmask_b32_e64 v17, v17, v57, s0
	v_lshrrev_b32_e32 v57, 16, v18
	v_lshrrev_b32_e32 v56, 16, v17
	s_and_saveexec_b32 s15, vcc_lo
	s_cbranch_execz .LBB361_750
; %bb.749:                              ;   in Loop: Header=BB361_626 Depth=1
	v_cmp_gt_i32_e64 s0, s11, v60
	v_cndmask_b32_e64 v58, 0, v58, s0
	v_cmp_gt_i32_e64 s0, s11, v66
	v_cndmask_b32_e64 v59, 0, v59, s0
	;; [unrolled: 2-line block ×8, first 2 shown]
.LBB361_750:                            ;   in Loop: Header=BB361_626 Depth=1
	s_or_b32 exec_lo, exec_lo, s15
	global_load_dwordx2 v[17:18], v[15:16], off offset:512
	v_mov_b32_e32 v21, 0
	v_mov_b32_e32 v0, 0
	s_waitcnt vmcnt(0)
	v_cmp_ne_u16_sdwa s0, v17, v10 src0_sel:BYTE_0 src1_sel:DWORD
	s_and_saveexec_b32 s15, s0
	s_cbranch_execz .LBB361_756
; %bb.751:                              ;   in Loop: Header=BB361_626 Depth=1
	v_cmp_ne_u16_sdwa s0, v17, v38 src0_sel:BYTE_0 src1_sel:DWORD
	v_bfrev_b32_e32 v0, 1
	s_and_saveexec_b32 s16, s0
	s_cbranch_execz .LBB361_755
; %bb.752:                              ;   in Loop: Header=BB361_626 Depth=1
	v_and_b32_e32 v9, 0x7f, v17
	v_mov_b32_e32 v0, 0x7f800001
	s_mov_b32 s17, exec_lo
	v_cmpx_ne_u32_e32 0x7f, v9
	s_cbranch_execz .LBB361_754
; %bb.753:                              ;   in Loop: Header=BB361_626 Depth=1
	v_and_b32_e32 v0, 7, v17
	v_cmp_gt_u32_e64 s0, 8, v9
	v_lshrrev_b32_e32 v19, 3, v9
	v_ffbh_u32_e32 v0, v0
	v_min_u32_e32 v0, 32, v0
	v_subrev_nc_u32_e32 v20, 28, v0
	v_sub_nc_u32_e32 v0, 29, v0
	v_cndmask_b32_e64 v9, 0, v20, s0
	v_cndmask_b32_e64 v0, v19, v0, s0
	v_lshlrev_b64 v[19:20], v9, v[17:18]
	v_lshlrev_b32_e32 v9, 24, v17
	v_lshl_add_u32 v0, v0, 23, 0x3c000000
	v_and_b32_e32 v9, 0x80000000, v9
	v_lshlrev_b32_e32 v19, 20, v19
	v_and_b32_e32 v19, 0x700000, v19
	v_or3_b32 v0, v19, v9, v0
.LBB361_754:                            ;   in Loop: Header=BB361_626 Depth=1
	s_or_b32 exec_lo, exec_lo, s17
.LBB361_755:                            ;   in Loop: Header=BB361_626 Depth=1
	s_or_b32 exec_lo, exec_lo, s16
.LBB361_756:                            ;   in Loop: Header=BB361_626 Depth=1
	s_or_b32 exec_lo, exec_lo, s15
	v_cmp_ne_u16_sdwa s0, v17, v10 src0_sel:BYTE_1 src1_sel:DWORD
	s_and_saveexec_b32 s15, s0
	s_cbranch_execz .LBB361_764
; %bb.757:                              ;   in Loop: Header=BB361_626 Depth=1
	v_cmp_ne_u16_sdwa s0, v17, v38 src0_sel:BYTE_1 src1_sel:DWORD
	v_bfrev_b32_e32 v21, 1
	s_and_saveexec_b32 s16, s0
	s_cbranch_execz .LBB361_763
; %bb.758:                              ;   in Loop: Header=BB361_626 Depth=1
	v_and_b32_sdwa v9, v39, v17 dst_sel:DWORD dst_unused:UNUSED_PAD src0_sel:DWORD src1_sel:BYTE_1
	v_mov_b32_e32 v21, 0x7f800001
	s_mov_b32 s17, exec_lo
	v_and_b32_e32 v20, 0x7f, v9
	v_cmpx_ne_u32_e32 0x7f, v20
	s_cbranch_execz .LBB361_762
; %bb.759:                              ;   in Loop: Header=BB361_626 Depth=1
	v_and_b32_e32 v9, 7, v9
	v_lshrrev_b32_e32 v19, 3, v20
	s_mov_b32 s18, exec_lo
	v_cmpx_gt_u32_e32 8, v20
; %bb.760:                              ;   in Loop: Header=BB361_626 Depth=1
	v_ffbh_u32_e32 v19, v9
	v_min_u32_e32 v19, 32, v19
	v_subrev_nc_u32_e32 v20, 28, v19
	v_sub_nc_u32_e32 v19, 29, v19
	v_lshlrev_b64 v[20:21], v20, v[9:10]
	v_and_b32_e32 v9, 7, v20
; %bb.761:                              ;   in Loop: Header=BB361_626 Depth=1
	s_or_b32 exec_lo, exec_lo, s18
	v_lshlrev_b32_e32 v20, 16, v17
	v_lshlrev_b32_e32 v9, 20, v9
	v_lshl_add_u32 v19, v19, 23, 0x3c000000
	v_and_b32_e32 v20, 0x80000000, v20
	v_or3_b32 v21, v9, v20, v19
.LBB361_762:                            ;   in Loop: Header=BB361_626 Depth=1
	s_or_b32 exec_lo, exec_lo, s17
.LBB361_763:                            ;   in Loop: Header=BB361_626 Depth=1
	s_or_b32 exec_lo, exec_lo, s16
.LBB361_764:                            ;   in Loop: Header=BB361_626 Depth=1
	s_or_b32 exec_lo, exec_lo, s15
	v_and_b32_sdwa v9, v17, v40 dst_sel:DWORD dst_unused:UNUSED_PAD src0_sel:WORD_1 src1_sel:DWORD
	v_mov_b32_e32 v67, 0
	v_mov_b32_e32 v22, 0
	s_mov_b32 s15, exec_lo
	v_cmpx_ne_u16_e32 0, v9
	s_cbranch_execz .LBB361_772
; %bb.765:                              ;   in Loop: Header=BB361_626 Depth=1
	v_bfrev_b32_e32 v22, 1
	s_mov_b32 s16, exec_lo
	v_cmpx_ne_u16_e32 0x80, v9
	s_cbranch_execz .LBB361_771
; %bb.766:                              ;   in Loop: Header=BB361_626 Depth=1
	v_bfe_u32 v20, v17, 16, 7
	v_mov_b32_e32 v22, 0x7f800001
	s_mov_b32 s17, exec_lo
	v_cmpx_ne_u32_e32 0x7f, v20
	s_cbranch_execz .LBB361_770
; %bb.767:                              ;   in Loop: Header=BB361_626 Depth=1
	v_and_b32_sdwa v9, v17, v41 dst_sel:DWORD dst_unused:UNUSED_PAD src0_sel:WORD_1 src1_sel:DWORD
	v_lshrrev_b32_e32 v19, 3, v20
	s_mov_b32 s18, exec_lo
	v_cmpx_gt_u32_e32 8, v20
; %bb.768:                              ;   in Loop: Header=BB361_626 Depth=1
	v_ffbh_u32_e32 v19, v9
	v_min_u32_e32 v19, 32, v19
	v_subrev_nc_u32_e32 v20, 28, v19
	v_sub_nc_u32_e32 v19, 29, v19
	v_lshlrev_b64 v[68:69], v20, v[9:10]
	v_and_b32_e32 v9, 7, v68
; %bb.769:                              ;   in Loop: Header=BB361_626 Depth=1
	s_or_b32 exec_lo, exec_lo, s18
	v_lshlrev_b32_sdwa v20, v42, v17 dst_sel:DWORD dst_unused:UNUSED_PAD src0_sel:DWORD src1_sel:WORD_1
	v_lshlrev_b32_e32 v9, 20, v9
	v_lshl_add_u32 v19, v19, 23, 0x3c000000
	v_and_b32_e32 v20, 0x80000000, v20
	v_or3_b32 v22, v9, v20, v19
.LBB361_770:                            ;   in Loop: Header=BB361_626 Depth=1
	s_or_b32 exec_lo, exec_lo, s17
.LBB361_771:                            ;   in Loop: Header=BB361_626 Depth=1
	s_or_b32 exec_lo, exec_lo, s16
.LBB361_772:                            ;   in Loop: Header=BB361_626 Depth=1
	s_or_b32 exec_lo, exec_lo, s15
	s_mov_b32 s15, exec_lo
	v_cmpx_lt_u32_e32 0xffffff, v17
	s_cbranch_execz .LBB361_780
; %bb.773:                              ;   in Loop: Header=BB361_626 Depth=1
	v_cmp_ne_u32_sdwa s0, v17, v38 src0_sel:BYTE_3 src1_sel:DWORD
	v_bfrev_b32_e32 v67, 1
	s_and_saveexec_b32 s16, s0
	s_cbranch_execz .LBB361_779
; %bb.774:                              ;   in Loop: Header=BB361_626 Depth=1
	v_bfe_u32 v20, v17, 24, 7
	v_mov_b32_e32 v67, 0x7f800001
	s_mov_b32 s17, exec_lo
	v_cmpx_ne_u32_e32 0x7f, v20
	s_cbranch_execz .LBB361_778
; %bb.775:                              ;   in Loop: Header=BB361_626 Depth=1
	v_and_b32_sdwa v9, v17, v41 dst_sel:DWORD dst_unused:UNUSED_PAD src0_sel:BYTE_3 src1_sel:DWORD
	v_lshrrev_b32_e32 v19, 3, v20
	s_mov_b32 s18, exec_lo
	v_cmpx_gt_u32_e32 8, v20
; %bb.776:                              ;   in Loop: Header=BB361_626 Depth=1
	v_ffbh_u32_e32 v19, v9
	v_min_u32_e32 v19, 32, v19
	v_subrev_nc_u32_e32 v20, 28, v19
	v_sub_nc_u32_e32 v19, 29, v19
	v_lshlrev_b64 v[67:68], v20, v[9:10]
	v_and_b32_e32 v9, 7, v67
; %bb.777:                              ;   in Loop: Header=BB361_626 Depth=1
	s_or_b32 exec_lo, exec_lo, s18
	v_lshlrev_b32_sdwa v20, v42, v17 dst_sel:DWORD dst_unused:UNUSED_PAD src0_sel:DWORD src1_sel:BYTE_3
	v_lshlrev_b32_e32 v9, 20, v9
	v_lshl_add_u32 v19, v19, 23, 0x3c000000
	v_and_b32_e32 v20, 0x80000000, v20
	v_or3_b32 v67, v9, v20, v19
.LBB361_778:                            ;   in Loop: Header=BB361_626 Depth=1
	s_or_b32 exec_lo, exec_lo, s17
.LBB361_779:                            ;   in Loop: Header=BB361_626 Depth=1
	s_or_b32 exec_lo, exec_lo, s16
.LBB361_780:                            ;   in Loop: Header=BB361_626 Depth=1
	s_or_b32 exec_lo, exec_lo, s15
	v_mov_b32_e32 v9, v18
	v_cmp_ne_u16_sdwa s0, v18, v10 src0_sel:BYTE_0 src1_sel:DWORD
	v_mov_b32_e32 v19, 0
	v_mov_b32_e32 v68, 0
	s_and_saveexec_b32 s15, s0
	s_cbranch_execz .LBB361_786
; %bb.781:                              ;   in Loop: Header=BB361_626 Depth=1
	v_cmp_ne_u16_sdwa s0, v18, v38 src0_sel:BYTE_0 src1_sel:DWORD
	v_bfrev_b32_e32 v68, 1
	s_and_saveexec_b32 s16, s0
	s_cbranch_execz .LBB361_785
; %bb.782:                              ;   in Loop: Header=BB361_626 Depth=1
	v_and_b32_e32 v20, 0x7f, v18
	v_mov_b32_e32 v68, 0x7f800001
	s_mov_b32 s17, exec_lo
	v_cmpx_ne_u32_e32 0x7f, v20
	s_cbranch_execz .LBB361_784
; %bb.783:                              ;   in Loop: Header=BB361_626 Depth=1
	v_and_b32_e32 v68, 7, v18
	v_lshrrev_b32_e32 v69, 3, v20
	v_cmp_gt_u32_e64 s0, 8, v20
	v_ffbh_u32_e32 v68, v68
	v_min_u32_e32 v68, 32, v68
	v_subrev_nc_u32_e32 v70, 28, v68
	v_sub_nc_u32_e32 v68, 29, v68
	v_cndmask_b32_e64 v20, v69, v68, s0
	v_cndmask_b32_e64 v68, 0, v70, s0
	v_lshl_add_u32 v20, v20, 23, 0x3c000000
	v_lshlrev_b64 v[68:69], v68, v[9:10]
	v_lshlrev_b32_e32 v69, 24, v9
	v_lshlrev_b32_e32 v68, 20, v68
	v_and_b32_e32 v69, 0x80000000, v69
	v_and_b32_e32 v68, 0x700000, v68
	v_or3_b32 v68, v68, v69, v20
.LBB361_784:                            ;   in Loop: Header=BB361_626 Depth=1
	s_or_b32 exec_lo, exec_lo, s17
.LBB361_785:                            ;   in Loop: Header=BB361_626 Depth=1
	s_or_b32 exec_lo, exec_lo, s16
.LBB361_786:                            ;   in Loop: Header=BB361_626 Depth=1
	s_or_b32 exec_lo, exec_lo, s15
	v_cmp_ne_u16_sdwa s0, v9, v10 src0_sel:BYTE_1 src1_sel:DWORD
	s_and_saveexec_b32 s15, s0
	s_cbranch_execz .LBB361_794
; %bb.787:                              ;   in Loop: Header=BB361_626 Depth=1
	v_cmp_ne_u16_sdwa s0, v9, v38 src0_sel:BYTE_1 src1_sel:DWORD
	v_bfrev_b32_e32 v19, 1
	s_and_saveexec_b32 s16, s0
	s_cbranch_execz .LBB361_793
; %bb.788:                              ;   in Loop: Header=BB361_626 Depth=1
	v_and_b32_sdwa v20, v39, v9 dst_sel:DWORD dst_unused:UNUSED_PAD src0_sel:DWORD src1_sel:BYTE_1
	v_mov_b32_e32 v19, 0x7f800001
	s_mov_b32 s17, exec_lo
	v_and_b32_e32 v70, 0x7f, v20
	v_cmpx_ne_u32_e32 0x7f, v70
	s_cbranch_execz .LBB361_792
; %bb.789:                              ;   in Loop: Header=BB361_626 Depth=1
	v_and_b32_e32 v19, 7, v20
	v_mov_b32_e32 v20, v10
	v_lshrrev_b32_e32 v69, 3, v70
	s_mov_b32 s18, exec_lo
	v_cmpx_gt_u32_e32 8, v70
; %bb.790:                              ;   in Loop: Header=BB361_626 Depth=1
	v_ffbh_u32_e32 v69, v19
	v_min_u32_e32 v69, 32, v69
	v_subrev_nc_u32_e32 v70, 28, v69
	v_sub_nc_u32_e32 v69, 29, v69
	v_lshlrev_b64 v[19:20], v70, v[19:20]
	v_and_b32_e32 v19, 7, v19
; %bb.791:                              ;   in Loop: Header=BB361_626 Depth=1
	s_or_b32 exec_lo, exec_lo, s18
	v_lshlrev_b32_e32 v9, 16, v9
	v_lshlrev_b32_e32 v19, 20, v19
	v_lshl_add_u32 v20, v69, 23, 0x3c000000
	v_and_b32_e32 v9, 0x80000000, v9
	v_or3_b32 v19, v19, v9, v20
.LBB361_792:                            ;   in Loop: Header=BB361_626 Depth=1
	s_or_b32 exec_lo, exec_lo, s17
.LBB361_793:                            ;   in Loop: Header=BB361_626 Depth=1
	s_or_b32 exec_lo, exec_lo, s16
.LBB361_794:                            ;   in Loop: Header=BB361_626 Depth=1
	s_or_b32 exec_lo, exec_lo, s15
	v_and_b32_sdwa v9, v18, v40 dst_sel:DWORD dst_unused:UNUSED_PAD src0_sel:WORD_1 src1_sel:DWORD
	v_mov_b32_e32 v20, 0
	v_mov_b32_e32 v69, 0
	s_mov_b32 s15, exec_lo
	v_cmpx_ne_u16_e32 0, v9
	s_cbranch_execz .LBB361_802
; %bb.795:                              ;   in Loop: Header=BB361_626 Depth=1
	v_bfrev_b32_e32 v69, 1
	s_mov_b32 s16, exec_lo
	v_cmpx_ne_u16_e32 0x80, v9
	s_cbranch_execz .LBB361_801
; %bb.796:                              ;   in Loop: Header=BB361_626 Depth=1
	v_bfe_u32 v70, v18, 16, 7
	v_mov_b32_e32 v69, 0x7f800001
	s_mov_b32 s17, exec_lo
	v_cmpx_ne_u32_e32 0x7f, v70
	s_cbranch_execz .LBB361_800
; %bb.797:                              ;   in Loop: Header=BB361_626 Depth=1
	v_and_b32_sdwa v9, v18, v41 dst_sel:DWORD dst_unused:UNUSED_PAD src0_sel:WORD_1 src1_sel:DWORD
	v_lshrrev_b32_e32 v69, 3, v70
	s_mov_b32 s18, exec_lo
	v_cmpx_gt_u32_e32 8, v70
; %bb.798:                              ;   in Loop: Header=BB361_626 Depth=1
	v_ffbh_u32_e32 v69, v9
	v_min_u32_e32 v69, 32, v69
	v_subrev_nc_u32_e32 v70, 28, v69
	v_sub_nc_u32_e32 v69, 29, v69
	v_lshlrev_b64 v[70:71], v70, v[9:10]
	v_and_b32_e32 v9, 7, v70
; %bb.799:                              ;   in Loop: Header=BB361_626 Depth=1
	s_or_b32 exec_lo, exec_lo, s18
	v_lshlrev_b32_sdwa v70, v42, v18 dst_sel:DWORD dst_unused:UNUSED_PAD src0_sel:DWORD src1_sel:WORD_1
	v_lshlrev_b32_e32 v9, 20, v9
	v_lshl_add_u32 v69, v69, 23, 0x3c000000
	v_and_b32_e32 v70, 0x80000000, v70
	v_or3_b32 v69, v9, v70, v69
.LBB361_800:                            ;   in Loop: Header=BB361_626 Depth=1
	s_or_b32 exec_lo, exec_lo, s17
.LBB361_801:                            ;   in Loop: Header=BB361_626 Depth=1
	s_or_b32 exec_lo, exec_lo, s16
.LBB361_802:                            ;   in Loop: Header=BB361_626 Depth=1
	s_or_b32 exec_lo, exec_lo, s15
	s_mov_b32 s15, exec_lo
	v_cmpx_lt_u64_e64 s[2:3], v[17:18]
	s_cbranch_execz .LBB361_810
; %bb.803:                              ;   in Loop: Header=BB361_626 Depth=1
	v_cmp_ne_u32_sdwa s0, v18, v38 src0_sel:BYTE_3 src1_sel:DWORD
	v_bfrev_b32_e32 v20, 1
	s_and_saveexec_b32 s16, s0
	s_cbranch_execz .LBB361_809
; %bb.804:                              ;   in Loop: Header=BB361_626 Depth=1
	v_bfe_u32 v70, v18, 24, 7
	v_mov_b32_e32 v20, 0x7f800001
	s_mov_b32 s17, exec_lo
	v_cmpx_ne_u32_e32 0x7f, v70
	s_cbranch_execz .LBB361_808
; %bb.805:                              ;   in Loop: Header=BB361_626 Depth=1
	v_and_b32_sdwa v9, v18, v41 dst_sel:DWORD dst_unused:UNUSED_PAD src0_sel:BYTE_3 src1_sel:DWORD
	v_lshrrev_b32_e32 v17, 3, v70
	s_mov_b32 s18, exec_lo
	v_cmpx_gt_u32_e32 8, v70
; %bb.806:                              ;   in Loop: Header=BB361_626 Depth=1
	v_ffbh_u32_e32 v17, v9
	v_min_u32_e32 v17, 32, v17
	v_subrev_nc_u32_e32 v20, 28, v17
	v_sub_nc_u32_e32 v17, 29, v17
	v_lshlrev_b64 v[70:71], v20, v[9:10]
	v_and_b32_e32 v9, 7, v70
; %bb.807:                              ;   in Loop: Header=BB361_626 Depth=1
	s_or_b32 exec_lo, exec_lo, s18
	v_lshlrev_b32_sdwa v18, v42, v18 dst_sel:DWORD dst_unused:UNUSED_PAD src0_sel:DWORD src1_sel:BYTE_3
	v_lshlrev_b32_e32 v9, 20, v9
	v_lshl_add_u32 v17, v17, 23, 0x3c000000
	v_and_b32_e32 v18, 0x80000000, v18
	v_or3_b32 v20, v9, v18, v17
.LBB361_808:                            ;   in Loop: Header=BB361_626 Depth=1
	s_or_b32 exec_lo, exec_lo, s17
.LBB361_809:                            ;   in Loop: Header=BB361_626 Depth=1
	s_or_b32 exec_lo, exec_lo, s16
.LBB361_810:                            ;   in Loop: Header=BB361_626 Depth=1
	s_or_b32 exec_lo, exec_lo, s15
	v_mul_f32_e32 v9, s5, v19
	v_mul_f32_e32 v17, s5, v68
	;; [unrolled: 1-line block ×5, first 2 shown]
	v_bfe_u32 v22, v9, 16, 1
	v_or_b32_e32 v67, 0x400000, v9
	v_bfe_u32 v68, v17, 16, 1
	v_cmp_u_f32_e64 s0, v9, v9
	v_or_b32_e32 v70, 0x400000, v17
	v_add3_u32 v22, v22, v9, 0x7fff
	v_bfe_u32 v71, v18, 16, 1
	v_add3_u32 v68, v68, v17, 0x7fff
	v_or_b32_e32 v72, 0x400000, v18
	v_bfe_u32 v73, v19, 16, 1
	v_cndmask_b32_e64 v9, v22, v67, s0
	v_cmp_u_f32_e64 s0, v17, v17
	v_add3_u32 v71, v71, v18, 0x7fff
	v_or_b32_e32 v22, 0x400000, v19
	v_mul_f32_e32 v20, s5, v20
	v_lshrrev_b32_e32 v67, 16, v9
	v_cndmask_b32_e64 v17, v68, v70, s0
	v_cmp_u_f32_e64 s0, v18, v18
	v_mul_f32_e32 v9, s5, v21
	v_add3_u32 v21, v73, v19, 0x7fff
	v_lshrrev_b32_e32 v68, 16, v17
	v_cndmask_b32_e64 v18, v71, v72, s0
	v_bfe_u32 v17, v9, 16, 1
	v_cmp_u_f32_e64 s0, v19, v19
	v_mul_f32_e32 v19, s5, v69
	v_or_b32_e32 v72, 0x400000, v20
	v_lshrrev_b32_e32 v70, 16, v18
	v_add3_u32 v17, v17, v9, 0x7fff
	v_cndmask_b32_e64 v18, v21, v22, s0
	v_or_b32_e32 v21, 0x400000, v9
	v_bfe_u32 v22, v0, 16, 1
	v_cmp_u_f32_e64 s0, v9, v9
	v_bfe_u32 v69, v19, 16, 1
	v_or_b32_e32 v71, 0x400000, v19
	v_cndmask_b32_e64 v9, v17, v21, s0
	v_add3_u32 v21, v22, v0, 0x7fff
	v_or_b32_e32 v22, 0x400000, v0
	v_cmp_u_f32_e64 s0, v0, v0
	v_bfe_u32 v17, v20, 16, 1
	v_add3_u32 v69, v69, v19, 0x7fff
	v_lshrrev_b32_e32 v74, 16, v9
	v_cndmask_b32_e64 v0, v21, v22, s0
	v_cmp_u_f32_e64 s0, v19, v19
	v_add3_u32 v17, v17, v20, 0x7fff
	v_lshrrev_b32_e32 v73, 16, v0
	v_cndmask_b32_e64 v19, v69, v71, s0
	v_cmp_u_f32_e64 s0, v20, v20
	v_lshrrev_b32_e32 v69, 16, v19
	v_cndmask_b32_e64 v17, v17, v72, s0
	v_lshrrev_b32_e32 v72, 16, v18
	v_lshrrev_b32_e32 v71, 16, v17
	s_and_saveexec_b32 s15, vcc_lo
	s_cbranch_execz .LBB361_812
; %bb.811:                              ;   in Loop: Header=BB361_626 Depth=1
	v_cmp_gt_i32_e64 s0, s11, v60
	v_cndmask_b32_e64 v73, 0, v73, s0
	v_cmp_gt_i32_e64 s0, s11, v66
	v_cndmask_b32_e64 v74, 0, v74, s0
	;; [unrolled: 2-line block ×8, first 2 shown]
.LBB361_812:                            ;   in Loop: Header=BB361_626 Depth=1
	s_or_b32 exec_lo, exec_lo, s15
	global_load_dwordx2 v[17:18], v[15:16], off offset:768
	v_mov_b32_e32 v21, 0
	v_mov_b32_e32 v0, 0
	s_waitcnt vmcnt(0)
	v_cmp_ne_u16_sdwa s0, v17, v10 src0_sel:BYTE_0 src1_sel:DWORD
	s_and_saveexec_b32 s15, s0
	s_cbranch_execz .LBB361_818
; %bb.813:                              ;   in Loop: Header=BB361_626 Depth=1
	v_cmp_ne_u16_sdwa s0, v17, v38 src0_sel:BYTE_0 src1_sel:DWORD
	v_bfrev_b32_e32 v0, 1
	s_and_saveexec_b32 s16, s0
	s_cbranch_execz .LBB361_817
; %bb.814:                              ;   in Loop: Header=BB361_626 Depth=1
	v_and_b32_e32 v9, 0x7f, v17
	v_mov_b32_e32 v0, 0x7f800001
	s_mov_b32 s17, exec_lo
	v_cmpx_ne_u32_e32 0x7f, v9
	s_cbranch_execz .LBB361_816
; %bb.815:                              ;   in Loop: Header=BB361_626 Depth=1
	v_and_b32_e32 v0, 7, v17
	v_cmp_gt_u32_e64 s0, 8, v9
	v_lshrrev_b32_e32 v19, 3, v9
	v_ffbh_u32_e32 v0, v0
	v_min_u32_e32 v0, 32, v0
	v_subrev_nc_u32_e32 v20, 28, v0
	v_sub_nc_u32_e32 v0, 29, v0
	v_cndmask_b32_e64 v9, 0, v20, s0
	v_cndmask_b32_e64 v0, v19, v0, s0
	v_lshlrev_b64 v[19:20], v9, v[17:18]
	v_lshlrev_b32_e32 v9, 24, v17
	v_lshl_add_u32 v0, v0, 23, 0x3c000000
	v_and_b32_e32 v9, 0x80000000, v9
	v_lshlrev_b32_e32 v19, 20, v19
	v_and_b32_e32 v19, 0x700000, v19
	v_or3_b32 v0, v19, v9, v0
.LBB361_816:                            ;   in Loop: Header=BB361_626 Depth=1
	s_or_b32 exec_lo, exec_lo, s17
.LBB361_817:                            ;   in Loop: Header=BB361_626 Depth=1
	s_or_b32 exec_lo, exec_lo, s16
.LBB361_818:                            ;   in Loop: Header=BB361_626 Depth=1
	s_or_b32 exec_lo, exec_lo, s15
	v_cmp_ne_u16_sdwa s0, v17, v10 src0_sel:BYTE_1 src1_sel:DWORD
	s_and_saveexec_b32 s15, s0
	s_cbranch_execz .LBB361_826
; %bb.819:                              ;   in Loop: Header=BB361_626 Depth=1
	v_cmp_ne_u16_sdwa s0, v17, v38 src0_sel:BYTE_1 src1_sel:DWORD
	v_bfrev_b32_e32 v21, 1
	s_and_saveexec_b32 s16, s0
	s_cbranch_execz .LBB361_825
; %bb.820:                              ;   in Loop: Header=BB361_626 Depth=1
	v_and_b32_sdwa v9, v39, v17 dst_sel:DWORD dst_unused:UNUSED_PAD src0_sel:DWORD src1_sel:BYTE_1
	v_mov_b32_e32 v21, 0x7f800001
	s_mov_b32 s17, exec_lo
	v_and_b32_e32 v20, 0x7f, v9
	v_cmpx_ne_u32_e32 0x7f, v20
	s_cbranch_execz .LBB361_824
; %bb.821:                              ;   in Loop: Header=BB361_626 Depth=1
	v_and_b32_e32 v9, 7, v9
	v_lshrrev_b32_e32 v19, 3, v20
	s_mov_b32 s18, exec_lo
	v_cmpx_gt_u32_e32 8, v20
; %bb.822:                              ;   in Loop: Header=BB361_626 Depth=1
	v_ffbh_u32_e32 v19, v9
	v_min_u32_e32 v19, 32, v19
	v_subrev_nc_u32_e32 v20, 28, v19
	v_sub_nc_u32_e32 v19, 29, v19
	v_lshlrev_b64 v[20:21], v20, v[9:10]
	v_and_b32_e32 v9, 7, v20
; %bb.823:                              ;   in Loop: Header=BB361_626 Depth=1
	s_or_b32 exec_lo, exec_lo, s18
	v_lshlrev_b32_e32 v20, 16, v17
	v_lshlrev_b32_e32 v9, 20, v9
	v_lshl_add_u32 v19, v19, 23, 0x3c000000
	v_and_b32_e32 v20, 0x80000000, v20
	v_or3_b32 v21, v9, v20, v19
.LBB361_824:                            ;   in Loop: Header=BB361_626 Depth=1
	s_or_b32 exec_lo, exec_lo, s17
.LBB361_825:                            ;   in Loop: Header=BB361_626 Depth=1
	s_or_b32 exec_lo, exec_lo, s16
.LBB361_826:                            ;   in Loop: Header=BB361_626 Depth=1
	s_or_b32 exec_lo, exec_lo, s15
	v_and_b32_sdwa v9, v17, v40 dst_sel:DWORD dst_unused:UNUSED_PAD src0_sel:WORD_1 src1_sel:DWORD
	v_mov_b32_e32 v75, 0
	v_mov_b32_e32 v22, 0
	s_mov_b32 s15, exec_lo
	v_cmpx_ne_u16_e32 0, v9
	s_cbranch_execz .LBB361_834
; %bb.827:                              ;   in Loop: Header=BB361_626 Depth=1
	v_bfrev_b32_e32 v22, 1
	s_mov_b32 s16, exec_lo
	v_cmpx_ne_u16_e32 0x80, v9
	s_cbranch_execz .LBB361_833
; %bb.828:                              ;   in Loop: Header=BB361_626 Depth=1
	v_bfe_u32 v20, v17, 16, 7
	v_mov_b32_e32 v22, 0x7f800001
	s_mov_b32 s17, exec_lo
	v_cmpx_ne_u32_e32 0x7f, v20
	s_cbranch_execz .LBB361_832
; %bb.829:                              ;   in Loop: Header=BB361_626 Depth=1
	v_and_b32_sdwa v9, v17, v41 dst_sel:DWORD dst_unused:UNUSED_PAD src0_sel:WORD_1 src1_sel:DWORD
	v_lshrrev_b32_e32 v19, 3, v20
	s_mov_b32 s18, exec_lo
	v_cmpx_gt_u32_e32 8, v20
; %bb.830:                              ;   in Loop: Header=BB361_626 Depth=1
	v_ffbh_u32_e32 v19, v9
	v_min_u32_e32 v19, 32, v19
	v_subrev_nc_u32_e32 v20, 28, v19
	v_sub_nc_u32_e32 v19, 29, v19
	v_lshlrev_b64 v[76:77], v20, v[9:10]
	v_and_b32_e32 v9, 7, v76
; %bb.831:                              ;   in Loop: Header=BB361_626 Depth=1
	s_or_b32 exec_lo, exec_lo, s18
	v_lshlrev_b32_sdwa v20, v42, v17 dst_sel:DWORD dst_unused:UNUSED_PAD src0_sel:DWORD src1_sel:WORD_1
	v_lshlrev_b32_e32 v9, 20, v9
	v_lshl_add_u32 v19, v19, 23, 0x3c000000
	v_and_b32_e32 v20, 0x80000000, v20
	v_or3_b32 v22, v9, v20, v19
.LBB361_832:                            ;   in Loop: Header=BB361_626 Depth=1
	s_or_b32 exec_lo, exec_lo, s17
.LBB361_833:                            ;   in Loop: Header=BB361_626 Depth=1
	s_or_b32 exec_lo, exec_lo, s16
.LBB361_834:                            ;   in Loop: Header=BB361_626 Depth=1
	s_or_b32 exec_lo, exec_lo, s15
	s_mov_b32 s15, exec_lo
	v_cmpx_lt_u32_e32 0xffffff, v17
	s_cbranch_execz .LBB361_842
; %bb.835:                              ;   in Loop: Header=BB361_626 Depth=1
	v_cmp_ne_u32_sdwa s0, v17, v38 src0_sel:BYTE_3 src1_sel:DWORD
	v_bfrev_b32_e32 v75, 1
	s_and_saveexec_b32 s16, s0
	s_cbranch_execz .LBB361_841
; %bb.836:                              ;   in Loop: Header=BB361_626 Depth=1
	v_bfe_u32 v20, v17, 24, 7
	v_mov_b32_e32 v75, 0x7f800001
	s_mov_b32 s17, exec_lo
	v_cmpx_ne_u32_e32 0x7f, v20
	s_cbranch_execz .LBB361_840
; %bb.837:                              ;   in Loop: Header=BB361_626 Depth=1
	v_and_b32_sdwa v9, v17, v41 dst_sel:DWORD dst_unused:UNUSED_PAD src0_sel:BYTE_3 src1_sel:DWORD
	v_lshrrev_b32_e32 v19, 3, v20
	s_mov_b32 s18, exec_lo
	v_cmpx_gt_u32_e32 8, v20
; %bb.838:                              ;   in Loop: Header=BB361_626 Depth=1
	v_ffbh_u32_e32 v19, v9
	v_min_u32_e32 v19, 32, v19
	v_subrev_nc_u32_e32 v20, 28, v19
	v_sub_nc_u32_e32 v19, 29, v19
	v_lshlrev_b64 v[75:76], v20, v[9:10]
	v_and_b32_e32 v9, 7, v75
; %bb.839:                              ;   in Loop: Header=BB361_626 Depth=1
	s_or_b32 exec_lo, exec_lo, s18
	v_lshlrev_b32_sdwa v20, v42, v17 dst_sel:DWORD dst_unused:UNUSED_PAD src0_sel:DWORD src1_sel:BYTE_3
	v_lshlrev_b32_e32 v9, 20, v9
	v_lshl_add_u32 v19, v19, 23, 0x3c000000
	v_and_b32_e32 v20, 0x80000000, v20
	v_or3_b32 v75, v9, v20, v19
.LBB361_840:                            ;   in Loop: Header=BB361_626 Depth=1
	s_or_b32 exec_lo, exec_lo, s17
.LBB361_841:                            ;   in Loop: Header=BB361_626 Depth=1
	s_or_b32 exec_lo, exec_lo, s16
.LBB361_842:                            ;   in Loop: Header=BB361_626 Depth=1
	s_or_b32 exec_lo, exec_lo, s15
	v_mov_b32_e32 v9, v18
	v_cmp_ne_u16_sdwa s0, v18, v10 src0_sel:BYTE_0 src1_sel:DWORD
	v_mov_b32_e32 v19, 0
	v_mov_b32_e32 v76, 0
	s_and_saveexec_b32 s15, s0
	s_cbranch_execz .LBB361_848
; %bb.843:                              ;   in Loop: Header=BB361_626 Depth=1
	v_cmp_ne_u16_sdwa s0, v18, v38 src0_sel:BYTE_0 src1_sel:DWORD
	v_bfrev_b32_e32 v76, 1
	s_and_saveexec_b32 s16, s0
	s_cbranch_execz .LBB361_847
; %bb.844:                              ;   in Loop: Header=BB361_626 Depth=1
	v_and_b32_e32 v20, 0x7f, v18
	v_mov_b32_e32 v76, 0x7f800001
	s_mov_b32 s17, exec_lo
	v_cmpx_ne_u32_e32 0x7f, v20
	s_cbranch_execz .LBB361_846
; %bb.845:                              ;   in Loop: Header=BB361_626 Depth=1
	v_and_b32_e32 v76, 7, v18
	v_lshrrev_b32_e32 v77, 3, v20
	v_cmp_gt_u32_e64 s0, 8, v20
	v_ffbh_u32_e32 v76, v76
	v_min_u32_e32 v76, 32, v76
	v_subrev_nc_u32_e32 v78, 28, v76
	v_sub_nc_u32_e32 v76, 29, v76
	v_cndmask_b32_e64 v20, v77, v76, s0
	v_cndmask_b32_e64 v76, 0, v78, s0
	v_lshl_add_u32 v20, v20, 23, 0x3c000000
	v_lshlrev_b64 v[76:77], v76, v[9:10]
	v_lshlrev_b32_e32 v77, 24, v9
	v_lshlrev_b32_e32 v76, 20, v76
	v_and_b32_e32 v77, 0x80000000, v77
	v_and_b32_e32 v76, 0x700000, v76
	v_or3_b32 v76, v76, v77, v20
.LBB361_846:                            ;   in Loop: Header=BB361_626 Depth=1
	s_or_b32 exec_lo, exec_lo, s17
.LBB361_847:                            ;   in Loop: Header=BB361_626 Depth=1
	s_or_b32 exec_lo, exec_lo, s16
.LBB361_848:                            ;   in Loop: Header=BB361_626 Depth=1
	s_or_b32 exec_lo, exec_lo, s15
	v_cmp_ne_u16_sdwa s0, v9, v10 src0_sel:BYTE_1 src1_sel:DWORD
	s_and_saveexec_b32 s15, s0
	s_cbranch_execz .LBB361_856
; %bb.849:                              ;   in Loop: Header=BB361_626 Depth=1
	v_cmp_ne_u16_sdwa s0, v9, v38 src0_sel:BYTE_1 src1_sel:DWORD
	v_bfrev_b32_e32 v19, 1
	s_and_saveexec_b32 s16, s0
	s_cbranch_execz .LBB361_855
; %bb.850:                              ;   in Loop: Header=BB361_626 Depth=1
	v_and_b32_sdwa v20, v39, v9 dst_sel:DWORD dst_unused:UNUSED_PAD src0_sel:DWORD src1_sel:BYTE_1
	v_mov_b32_e32 v19, 0x7f800001
	s_mov_b32 s17, exec_lo
	v_and_b32_e32 v78, 0x7f, v20
	v_cmpx_ne_u32_e32 0x7f, v78
	s_cbranch_execz .LBB361_854
; %bb.851:                              ;   in Loop: Header=BB361_626 Depth=1
	v_and_b32_e32 v19, 7, v20
	v_mov_b32_e32 v20, v10
	v_lshrrev_b32_e32 v77, 3, v78
	s_mov_b32 s18, exec_lo
	v_cmpx_gt_u32_e32 8, v78
; %bb.852:                              ;   in Loop: Header=BB361_626 Depth=1
	v_ffbh_u32_e32 v77, v19
	v_min_u32_e32 v77, 32, v77
	v_subrev_nc_u32_e32 v78, 28, v77
	v_sub_nc_u32_e32 v77, 29, v77
	v_lshlrev_b64 v[19:20], v78, v[19:20]
	v_and_b32_e32 v19, 7, v19
; %bb.853:                              ;   in Loop: Header=BB361_626 Depth=1
	s_or_b32 exec_lo, exec_lo, s18
	v_lshlrev_b32_e32 v9, 16, v9
	v_lshlrev_b32_e32 v19, 20, v19
	v_lshl_add_u32 v20, v77, 23, 0x3c000000
	v_and_b32_e32 v9, 0x80000000, v9
	v_or3_b32 v19, v19, v9, v20
.LBB361_854:                            ;   in Loop: Header=BB361_626 Depth=1
	s_or_b32 exec_lo, exec_lo, s17
.LBB361_855:                            ;   in Loop: Header=BB361_626 Depth=1
	s_or_b32 exec_lo, exec_lo, s16
.LBB361_856:                            ;   in Loop: Header=BB361_626 Depth=1
	s_or_b32 exec_lo, exec_lo, s15
	v_and_b32_sdwa v9, v18, v40 dst_sel:DWORD dst_unused:UNUSED_PAD src0_sel:WORD_1 src1_sel:DWORD
	v_mov_b32_e32 v20, 0
	v_mov_b32_e32 v77, 0
	s_mov_b32 s15, exec_lo
	v_cmpx_ne_u16_e32 0, v9
	s_cbranch_execz .LBB361_864
; %bb.857:                              ;   in Loop: Header=BB361_626 Depth=1
	v_bfrev_b32_e32 v77, 1
	s_mov_b32 s16, exec_lo
	v_cmpx_ne_u16_e32 0x80, v9
	s_cbranch_execz .LBB361_863
; %bb.858:                              ;   in Loop: Header=BB361_626 Depth=1
	v_bfe_u32 v78, v18, 16, 7
	v_mov_b32_e32 v77, 0x7f800001
	s_mov_b32 s17, exec_lo
	v_cmpx_ne_u32_e32 0x7f, v78
	s_cbranch_execz .LBB361_862
; %bb.859:                              ;   in Loop: Header=BB361_626 Depth=1
	v_and_b32_sdwa v9, v18, v41 dst_sel:DWORD dst_unused:UNUSED_PAD src0_sel:WORD_1 src1_sel:DWORD
	v_lshrrev_b32_e32 v77, 3, v78
	s_mov_b32 s18, exec_lo
	v_cmpx_gt_u32_e32 8, v78
; %bb.860:                              ;   in Loop: Header=BB361_626 Depth=1
	v_ffbh_u32_e32 v77, v9
	v_min_u32_e32 v77, 32, v77
	v_subrev_nc_u32_e32 v78, 28, v77
	v_sub_nc_u32_e32 v77, 29, v77
	v_lshlrev_b64 v[78:79], v78, v[9:10]
	v_and_b32_e32 v9, 7, v78
; %bb.861:                              ;   in Loop: Header=BB361_626 Depth=1
	s_or_b32 exec_lo, exec_lo, s18
	v_lshlrev_b32_sdwa v78, v42, v18 dst_sel:DWORD dst_unused:UNUSED_PAD src0_sel:DWORD src1_sel:WORD_1
	v_lshlrev_b32_e32 v9, 20, v9
	v_lshl_add_u32 v77, v77, 23, 0x3c000000
	v_and_b32_e32 v78, 0x80000000, v78
	v_or3_b32 v77, v9, v78, v77
.LBB361_862:                            ;   in Loop: Header=BB361_626 Depth=1
	s_or_b32 exec_lo, exec_lo, s17
.LBB361_863:                            ;   in Loop: Header=BB361_626 Depth=1
	s_or_b32 exec_lo, exec_lo, s16
.LBB361_864:                            ;   in Loop: Header=BB361_626 Depth=1
	s_or_b32 exec_lo, exec_lo, s15
	s_mov_b32 s15, exec_lo
	v_cmpx_lt_u64_e64 s[2:3], v[17:18]
	s_cbranch_execz .LBB361_872
; %bb.865:                              ;   in Loop: Header=BB361_626 Depth=1
	v_cmp_ne_u32_sdwa s0, v18, v38 src0_sel:BYTE_3 src1_sel:DWORD
	v_bfrev_b32_e32 v20, 1
	s_and_saveexec_b32 s16, s0
	s_cbranch_execz .LBB361_871
; %bb.866:                              ;   in Loop: Header=BB361_626 Depth=1
	v_bfe_u32 v78, v18, 24, 7
	v_mov_b32_e32 v20, 0x7f800001
	s_mov_b32 s17, exec_lo
	v_cmpx_ne_u32_e32 0x7f, v78
	s_cbranch_execz .LBB361_870
; %bb.867:                              ;   in Loop: Header=BB361_626 Depth=1
	v_and_b32_sdwa v9, v18, v41 dst_sel:DWORD dst_unused:UNUSED_PAD src0_sel:BYTE_3 src1_sel:DWORD
	v_lshrrev_b32_e32 v17, 3, v78
	s_mov_b32 s18, exec_lo
	v_cmpx_gt_u32_e32 8, v78
; %bb.868:                              ;   in Loop: Header=BB361_626 Depth=1
	v_ffbh_u32_e32 v17, v9
	v_min_u32_e32 v17, 32, v17
	v_subrev_nc_u32_e32 v20, 28, v17
	v_sub_nc_u32_e32 v17, 29, v17
	v_lshlrev_b64 v[78:79], v20, v[9:10]
	v_and_b32_e32 v9, 7, v78
; %bb.869:                              ;   in Loop: Header=BB361_626 Depth=1
	s_or_b32 exec_lo, exec_lo, s18
	v_lshlrev_b32_sdwa v18, v42, v18 dst_sel:DWORD dst_unused:UNUSED_PAD src0_sel:DWORD src1_sel:BYTE_3
	v_lshlrev_b32_e32 v9, 20, v9
	v_lshl_add_u32 v17, v17, 23, 0x3c000000
	v_and_b32_e32 v18, 0x80000000, v18
	v_or3_b32 v20, v9, v18, v17
.LBB361_870:                            ;   in Loop: Header=BB361_626 Depth=1
	s_or_b32 exec_lo, exec_lo, s17
.LBB361_871:                            ;   in Loop: Header=BB361_626 Depth=1
	s_or_b32 exec_lo, exec_lo, s16
.LBB361_872:                            ;   in Loop: Header=BB361_626 Depth=1
	s_or_b32 exec_lo, exec_lo, s15
	v_mul_f32_e32 v9, s5, v19
	v_mul_f32_e32 v17, s5, v76
	;; [unrolled: 1-line block ×5, first 2 shown]
	v_bfe_u32 v22, v9, 16, 1
	v_or_b32_e32 v75, 0x400000, v9
	v_bfe_u32 v76, v17, 16, 1
	v_cmp_u_f32_e64 s0, v9, v9
	v_or_b32_e32 v78, 0x400000, v17
	v_add3_u32 v22, v22, v9, 0x7fff
	v_bfe_u32 v79, v18, 16, 1
	v_add3_u32 v76, v76, v17, 0x7fff
	v_or_b32_e32 v80, 0x400000, v18
	v_bfe_u32 v81, v19, 16, 1
	v_cndmask_b32_e64 v9, v22, v75, s0
	v_cmp_u_f32_e64 s0, v17, v17
	v_add3_u32 v79, v79, v18, 0x7fff
	v_or_b32_e32 v22, 0x400000, v19
	v_mul_f32_e32 v20, s5, v20
	v_lshrrev_b32_e32 v75, 16, v9
	v_cndmask_b32_e64 v17, v76, v78, s0
	v_cmp_u_f32_e64 s0, v18, v18
	v_mul_f32_e32 v9, s5, v21
	v_add3_u32 v21, v81, v19, 0x7fff
	v_lshrrev_b32_e32 v76, 16, v17
	v_cndmask_b32_e64 v18, v79, v80, s0
	v_bfe_u32 v17, v9, 16, 1
	v_cmp_u_f32_e64 s0, v19, v19
	v_mul_f32_e32 v19, s5, v77
	v_or_b32_e32 v80, 0x400000, v20
	v_lshrrev_b32_e32 v78, 16, v18
	v_add3_u32 v17, v17, v9, 0x7fff
	v_cndmask_b32_e64 v18, v21, v22, s0
	v_or_b32_e32 v21, 0x400000, v9
	v_bfe_u32 v22, v0, 16, 1
	v_cmp_u_f32_e64 s0, v9, v9
	v_bfe_u32 v77, v19, 16, 1
	v_or_b32_e32 v79, 0x400000, v19
	v_cndmask_b32_e64 v9, v17, v21, s0
	v_add3_u32 v21, v22, v0, 0x7fff
	v_or_b32_e32 v22, 0x400000, v0
	v_cmp_u_f32_e64 s0, v0, v0
	v_bfe_u32 v17, v20, 16, 1
	v_add3_u32 v77, v77, v19, 0x7fff
	v_lshrrev_b32_e32 v82, 16, v9
	v_cndmask_b32_e64 v0, v21, v22, s0
	v_cmp_u_f32_e64 s0, v19, v19
	v_add3_u32 v17, v17, v20, 0x7fff
	v_lshrrev_b32_e32 v81, 16, v0
	v_cndmask_b32_e64 v19, v77, v79, s0
	v_cmp_u_f32_e64 s0, v20, v20
	v_lshrrev_b32_e32 v77, 16, v19
	v_cndmask_b32_e64 v17, v17, v80, s0
	v_lshrrev_b32_e32 v80, 16, v18
	v_lshrrev_b32_e32 v79, 16, v17
	s_and_saveexec_b32 s15, vcc_lo
	s_cbranch_execz .LBB361_874
; %bb.873:                              ;   in Loop: Header=BB361_626 Depth=1
	v_cmp_gt_i32_e64 s0, s11, v60
	v_cndmask_b32_e64 v81, 0, v81, s0
	v_cmp_gt_i32_e64 s0, s11, v66
	v_cndmask_b32_e64 v82, 0, v82, s0
	;; [unrolled: 2-line block ×8, first 2 shown]
.LBB361_874:                            ;   in Loop: Header=BB361_626 Depth=1
	s_or_b32 exec_lo, exec_lo, s15
	global_load_dwordx2 v[17:18], v[15:16], off offset:1024
	v_mov_b32_e32 v21, 0
	v_mov_b32_e32 v22, 0
	s_waitcnt vmcnt(0)
	v_cmp_ne_u16_sdwa s0, v17, v10 src0_sel:BYTE_0 src1_sel:DWORD
	s_and_saveexec_b32 s15, s0
	s_cbranch_execz .LBB361_880
; %bb.875:                              ;   in Loop: Header=BB361_626 Depth=1
	v_cmp_ne_u16_sdwa s0, v17, v38 src0_sel:BYTE_0 src1_sel:DWORD
	v_bfrev_b32_e32 v22, 1
	s_and_saveexec_b32 s16, s0
	s_cbranch_execz .LBB361_879
; %bb.876:                              ;   in Loop: Header=BB361_626 Depth=1
	v_and_b32_e32 v0, 0x7f, v17
	v_mov_b32_e32 v22, 0x7f800001
	s_mov_b32 s17, exec_lo
	v_cmpx_ne_u32_e32 0x7f, v0
	s_cbranch_execz .LBB361_878
; %bb.877:                              ;   in Loop: Header=BB361_626 Depth=1
	v_and_b32_e32 v9, 7, v17
	v_lshrrev_b32_e32 v19, 3, v0
	v_cmp_gt_u32_e64 s0, 8, v0
	v_ffbh_u32_e32 v9, v9
	v_min_u32_e32 v9, 32, v9
	v_subrev_nc_u32_e32 v20, 28, v9
	v_sub_nc_u32_e32 v9, 29, v9
	v_cndmask_b32_e64 v0, v19, v9, s0
	v_cndmask_b32_e64 v9, 0, v20, s0
	v_lshl_add_u32 v0, v0, 23, 0x3c000000
	v_lshlrev_b64 v[19:20], v9, v[17:18]
	v_lshlrev_b32_e32 v9, 24, v17
	v_and_b32_e32 v9, 0x80000000, v9
	v_lshlrev_b32_e32 v19, 20, v19
	v_and_b32_e32 v19, 0x700000, v19
	v_or3_b32 v22, v19, v9, v0
.LBB361_878:                            ;   in Loop: Header=BB361_626 Depth=1
	s_or_b32 exec_lo, exec_lo, s17
.LBB361_879:                            ;   in Loop: Header=BB361_626 Depth=1
	s_or_b32 exec_lo, exec_lo, s16
.LBB361_880:                            ;   in Loop: Header=BB361_626 Depth=1
	s_or_b32 exec_lo, exec_lo, s15
	v_cmp_ne_u16_sdwa s0, v17, v10 src0_sel:BYTE_1 src1_sel:DWORD
	s_and_saveexec_b32 s15, s0
	s_cbranch_execz .LBB361_888
; %bb.881:                              ;   in Loop: Header=BB361_626 Depth=1
	v_cmp_ne_u16_sdwa s0, v17, v38 src0_sel:BYTE_1 src1_sel:DWORD
	v_bfrev_b32_e32 v21, 1
	s_and_saveexec_b32 s16, s0
	s_cbranch_execz .LBB361_887
; %bb.882:                              ;   in Loop: Header=BB361_626 Depth=1
	v_and_b32_sdwa v0, v39, v17 dst_sel:DWORD dst_unused:UNUSED_PAD src0_sel:DWORD src1_sel:BYTE_1
	v_mov_b32_e32 v21, 0x7f800001
	s_mov_b32 s17, exec_lo
	v_and_b32_e32 v19, 0x7f, v0
	v_cmpx_ne_u32_e32 0x7f, v19
	s_cbranch_execz .LBB361_886
; %bb.883:                              ;   in Loop: Header=BB361_626 Depth=1
	v_and_b32_e32 v9, 7, v0
	v_lshrrev_b32_e32 v0, 3, v19
	s_mov_b32 s18, exec_lo
	v_cmpx_gt_u32_e32 8, v19
; %bb.884:                              ;   in Loop: Header=BB361_626 Depth=1
	v_ffbh_u32_e32 v0, v9
	v_min_u32_e32 v0, 32, v0
	v_subrev_nc_u32_e32 v19, 28, v0
	v_sub_nc_u32_e32 v0, 29, v0
	v_lshlrev_b64 v[19:20], v19, v[9:10]
	v_and_b32_e32 v9, 7, v19
; %bb.885:                              ;   in Loop: Header=BB361_626 Depth=1
	s_or_b32 exec_lo, exec_lo, s18
	v_lshlrev_b32_e32 v19, 16, v17
	v_lshlrev_b32_e32 v9, 20, v9
	v_lshl_add_u32 v0, v0, 23, 0x3c000000
	v_and_b32_e32 v19, 0x80000000, v19
	v_or3_b32 v21, v9, v19, v0
.LBB361_886:                            ;   in Loop: Header=BB361_626 Depth=1
	s_or_b32 exec_lo, exec_lo, s17
.LBB361_887:                            ;   in Loop: Header=BB361_626 Depth=1
	s_or_b32 exec_lo, exec_lo, s16
.LBB361_888:                            ;   in Loop: Header=BB361_626 Depth=1
	s_or_b32 exec_lo, exec_lo, s15
	v_and_b32_sdwa v9, v17, v40 dst_sel:DWORD dst_unused:UNUSED_PAD src0_sel:WORD_1 src1_sel:DWORD
	v_mov_b32_e32 v83, 0
	v_mov_b32_e32 v0, 0
	s_mov_b32 s15, exec_lo
	v_cmpx_ne_u16_e32 0, v9
	s_cbranch_execz .LBB361_896
; %bb.889:                              ;   in Loop: Header=BB361_626 Depth=1
	v_bfrev_b32_e32 v0, 1
	s_mov_b32 s16, exec_lo
	v_cmpx_ne_u16_e32 0x80, v9
	s_cbranch_execz .LBB361_895
; %bb.890:                              ;   in Loop: Header=BB361_626 Depth=1
	v_bfe_u32 v19, v17, 16, 7
	v_mov_b32_e32 v0, 0x7f800001
	s_mov_b32 s17, exec_lo
	v_cmpx_ne_u32_e32 0x7f, v19
	s_cbranch_execz .LBB361_894
; %bb.891:                              ;   in Loop: Header=BB361_626 Depth=1
	v_and_b32_sdwa v9, v17, v41 dst_sel:DWORD dst_unused:UNUSED_PAD src0_sel:WORD_1 src1_sel:DWORD
	v_lshrrev_b32_e32 v0, 3, v19
	s_mov_b32 s18, exec_lo
	v_cmpx_gt_u32_e32 8, v19
; %bb.892:                              ;   in Loop: Header=BB361_626 Depth=1
	v_ffbh_u32_e32 v0, v9
	v_min_u32_e32 v0, 32, v0
	v_subrev_nc_u32_e32 v19, 28, v0
	v_sub_nc_u32_e32 v0, 29, v0
	v_lshlrev_b64 v[19:20], v19, v[9:10]
	v_and_b32_e32 v9, 7, v19
; %bb.893:                              ;   in Loop: Header=BB361_626 Depth=1
	s_or_b32 exec_lo, exec_lo, s18
	v_lshlrev_b32_sdwa v19, v42, v17 dst_sel:DWORD dst_unused:UNUSED_PAD src0_sel:DWORD src1_sel:WORD_1
	v_lshlrev_b32_e32 v9, 20, v9
	v_lshl_add_u32 v0, v0, 23, 0x3c000000
	v_and_b32_e32 v19, 0x80000000, v19
	v_or3_b32 v0, v9, v19, v0
.LBB361_894:                            ;   in Loop: Header=BB361_626 Depth=1
	s_or_b32 exec_lo, exec_lo, s17
.LBB361_895:                            ;   in Loop: Header=BB361_626 Depth=1
	s_or_b32 exec_lo, exec_lo, s16
.LBB361_896:                            ;   in Loop: Header=BB361_626 Depth=1
	s_or_b32 exec_lo, exec_lo, s15
	s_mov_b32 s15, exec_lo
	v_cmpx_lt_u32_e32 0xffffff, v17
	s_cbranch_execz .LBB361_904
; %bb.897:                              ;   in Loop: Header=BB361_626 Depth=1
	v_cmp_ne_u32_sdwa s0, v17, v38 src0_sel:BYTE_3 src1_sel:DWORD
	v_bfrev_b32_e32 v83, 1
	s_and_saveexec_b32 s16, s0
	s_cbranch_execz .LBB361_903
; %bb.898:                              ;   in Loop: Header=BB361_626 Depth=1
	v_bfe_u32 v20, v17, 24, 7
	v_mov_b32_e32 v83, 0x7f800001
	s_mov_b32 s17, exec_lo
	v_cmpx_ne_u32_e32 0x7f, v20
	s_cbranch_execz .LBB361_902
; %bb.899:                              ;   in Loop: Header=BB361_626 Depth=1
	v_and_b32_sdwa v9, v17, v41 dst_sel:DWORD dst_unused:UNUSED_PAD src0_sel:BYTE_3 src1_sel:DWORD
	v_lshrrev_b32_e32 v19, 3, v20
	s_mov_b32 s18, exec_lo
	v_cmpx_gt_u32_e32 8, v20
; %bb.900:                              ;   in Loop: Header=BB361_626 Depth=1
	v_ffbh_u32_e32 v19, v9
	v_min_u32_e32 v19, 32, v19
	v_subrev_nc_u32_e32 v20, 28, v19
	v_sub_nc_u32_e32 v19, 29, v19
	v_lshlrev_b64 v[83:84], v20, v[9:10]
	v_and_b32_e32 v9, 7, v83
; %bb.901:                              ;   in Loop: Header=BB361_626 Depth=1
	s_or_b32 exec_lo, exec_lo, s18
	v_lshlrev_b32_sdwa v20, v42, v17 dst_sel:DWORD dst_unused:UNUSED_PAD src0_sel:DWORD src1_sel:BYTE_3
	v_lshlrev_b32_e32 v9, 20, v9
	v_lshl_add_u32 v19, v19, 23, 0x3c000000
	v_and_b32_e32 v20, 0x80000000, v20
	v_or3_b32 v83, v9, v20, v19
.LBB361_902:                            ;   in Loop: Header=BB361_626 Depth=1
	s_or_b32 exec_lo, exec_lo, s17
.LBB361_903:                            ;   in Loop: Header=BB361_626 Depth=1
	s_or_b32 exec_lo, exec_lo, s16
.LBB361_904:                            ;   in Loop: Header=BB361_626 Depth=1
	s_or_b32 exec_lo, exec_lo, s15
	v_mov_b32_e32 v9, v18
	v_cmp_ne_u16_sdwa s0, v18, v10 src0_sel:BYTE_0 src1_sel:DWORD
	v_mov_b32_e32 v19, 0
	v_mov_b32_e32 v84, 0
	s_and_saveexec_b32 s15, s0
	s_cbranch_execz .LBB361_910
; %bb.905:                              ;   in Loop: Header=BB361_626 Depth=1
	v_cmp_ne_u16_sdwa s0, v18, v38 src0_sel:BYTE_0 src1_sel:DWORD
	v_bfrev_b32_e32 v84, 1
	s_and_saveexec_b32 s16, s0
	s_cbranch_execz .LBB361_909
; %bb.906:                              ;   in Loop: Header=BB361_626 Depth=1
	v_and_b32_e32 v20, 0x7f, v18
	v_mov_b32_e32 v84, 0x7f800001
	s_mov_b32 s17, exec_lo
	v_cmpx_ne_u32_e32 0x7f, v20
	s_cbranch_execz .LBB361_908
; %bb.907:                              ;   in Loop: Header=BB361_626 Depth=1
	v_and_b32_e32 v84, 7, v18
	v_lshrrev_b32_e32 v85, 3, v20
	v_cmp_gt_u32_e64 s0, 8, v20
	v_ffbh_u32_e32 v84, v84
	v_min_u32_e32 v84, 32, v84
	v_subrev_nc_u32_e32 v86, 28, v84
	v_sub_nc_u32_e32 v84, 29, v84
	v_cndmask_b32_e64 v20, v85, v84, s0
	v_cndmask_b32_e64 v84, 0, v86, s0
	v_lshl_add_u32 v20, v20, 23, 0x3c000000
	v_lshlrev_b64 v[84:85], v84, v[9:10]
	v_lshlrev_b32_e32 v85, 24, v9
	v_lshlrev_b32_e32 v84, 20, v84
	v_and_b32_e32 v85, 0x80000000, v85
	v_and_b32_e32 v84, 0x700000, v84
	v_or3_b32 v84, v84, v85, v20
.LBB361_908:                            ;   in Loop: Header=BB361_626 Depth=1
	s_or_b32 exec_lo, exec_lo, s17
.LBB361_909:                            ;   in Loop: Header=BB361_626 Depth=1
	s_or_b32 exec_lo, exec_lo, s16
.LBB361_910:                            ;   in Loop: Header=BB361_626 Depth=1
	s_or_b32 exec_lo, exec_lo, s15
	v_cmp_ne_u16_sdwa s0, v9, v10 src0_sel:BYTE_1 src1_sel:DWORD
	s_and_saveexec_b32 s15, s0
	s_cbranch_execz .LBB361_918
; %bb.911:                              ;   in Loop: Header=BB361_626 Depth=1
	v_cmp_ne_u16_sdwa s0, v9, v38 src0_sel:BYTE_1 src1_sel:DWORD
	v_bfrev_b32_e32 v19, 1
	s_and_saveexec_b32 s16, s0
	s_cbranch_execz .LBB361_917
; %bb.912:                              ;   in Loop: Header=BB361_626 Depth=1
	v_and_b32_sdwa v20, v39, v9 dst_sel:DWORD dst_unused:UNUSED_PAD src0_sel:DWORD src1_sel:BYTE_1
	v_mov_b32_e32 v19, 0x7f800001
	s_mov_b32 s17, exec_lo
	v_and_b32_e32 v86, 0x7f, v20
	v_cmpx_ne_u32_e32 0x7f, v86
	s_cbranch_execz .LBB361_916
; %bb.913:                              ;   in Loop: Header=BB361_626 Depth=1
	v_and_b32_e32 v19, 7, v20
	v_mov_b32_e32 v20, v10
	v_lshrrev_b32_e32 v85, 3, v86
	s_mov_b32 s18, exec_lo
	v_cmpx_gt_u32_e32 8, v86
; %bb.914:                              ;   in Loop: Header=BB361_626 Depth=1
	v_ffbh_u32_e32 v85, v19
	v_min_u32_e32 v85, 32, v85
	v_subrev_nc_u32_e32 v86, 28, v85
	v_sub_nc_u32_e32 v85, 29, v85
	v_lshlrev_b64 v[19:20], v86, v[19:20]
	v_and_b32_e32 v19, 7, v19
; %bb.915:                              ;   in Loop: Header=BB361_626 Depth=1
	s_or_b32 exec_lo, exec_lo, s18
	v_lshlrev_b32_e32 v9, 16, v9
	v_lshlrev_b32_e32 v19, 20, v19
	v_lshl_add_u32 v20, v85, 23, 0x3c000000
	v_and_b32_e32 v9, 0x80000000, v9
	v_or3_b32 v19, v19, v9, v20
.LBB361_916:                            ;   in Loop: Header=BB361_626 Depth=1
	s_or_b32 exec_lo, exec_lo, s17
.LBB361_917:                            ;   in Loop: Header=BB361_626 Depth=1
	s_or_b32 exec_lo, exec_lo, s16
.LBB361_918:                            ;   in Loop: Header=BB361_626 Depth=1
	s_or_b32 exec_lo, exec_lo, s15
	v_and_b32_sdwa v9, v18, v40 dst_sel:DWORD dst_unused:UNUSED_PAD src0_sel:WORD_1 src1_sel:DWORD
	v_mov_b32_e32 v20, 0
	v_mov_b32_e32 v85, 0
	s_mov_b32 s15, exec_lo
	v_cmpx_ne_u16_e32 0, v9
	s_cbranch_execz .LBB361_926
; %bb.919:                              ;   in Loop: Header=BB361_626 Depth=1
	v_bfrev_b32_e32 v85, 1
	s_mov_b32 s16, exec_lo
	v_cmpx_ne_u16_e32 0x80, v9
	s_cbranch_execz .LBB361_925
; %bb.920:                              ;   in Loop: Header=BB361_626 Depth=1
	v_bfe_u32 v86, v18, 16, 7
	v_mov_b32_e32 v85, 0x7f800001
	s_mov_b32 s17, exec_lo
	v_cmpx_ne_u32_e32 0x7f, v86
	s_cbranch_execz .LBB361_924
; %bb.921:                              ;   in Loop: Header=BB361_626 Depth=1
	v_and_b32_sdwa v9, v18, v41 dst_sel:DWORD dst_unused:UNUSED_PAD src0_sel:WORD_1 src1_sel:DWORD
	v_lshrrev_b32_e32 v85, 3, v86
	s_mov_b32 s18, exec_lo
	v_cmpx_gt_u32_e32 8, v86
; %bb.922:                              ;   in Loop: Header=BB361_626 Depth=1
	v_ffbh_u32_e32 v85, v9
	v_min_u32_e32 v85, 32, v85
	v_subrev_nc_u32_e32 v86, 28, v85
	v_sub_nc_u32_e32 v85, 29, v85
	v_lshlrev_b64 v[86:87], v86, v[9:10]
	v_and_b32_e32 v9, 7, v86
; %bb.923:                              ;   in Loop: Header=BB361_626 Depth=1
	s_or_b32 exec_lo, exec_lo, s18
	v_lshlrev_b32_sdwa v86, v42, v18 dst_sel:DWORD dst_unused:UNUSED_PAD src0_sel:DWORD src1_sel:WORD_1
	v_lshlrev_b32_e32 v9, 20, v9
	v_lshl_add_u32 v85, v85, 23, 0x3c000000
	v_and_b32_e32 v86, 0x80000000, v86
	v_or3_b32 v85, v9, v86, v85
.LBB361_924:                            ;   in Loop: Header=BB361_626 Depth=1
	s_or_b32 exec_lo, exec_lo, s17
.LBB361_925:                            ;   in Loop: Header=BB361_626 Depth=1
	s_or_b32 exec_lo, exec_lo, s16
.LBB361_926:                            ;   in Loop: Header=BB361_626 Depth=1
	s_or_b32 exec_lo, exec_lo, s15
	s_mov_b32 s15, exec_lo
	v_cmpx_lt_u64_e64 s[2:3], v[17:18]
	s_cbranch_execz .LBB361_934
; %bb.927:                              ;   in Loop: Header=BB361_626 Depth=1
	v_cmp_ne_u32_sdwa s0, v18, v38 src0_sel:BYTE_3 src1_sel:DWORD
	v_bfrev_b32_e32 v20, 1
	s_and_saveexec_b32 s16, s0
	s_cbranch_execz .LBB361_933
; %bb.928:                              ;   in Loop: Header=BB361_626 Depth=1
	v_bfe_u32 v86, v18, 24, 7
	v_mov_b32_e32 v20, 0x7f800001
	s_mov_b32 s17, exec_lo
	v_cmpx_ne_u32_e32 0x7f, v86
	s_cbranch_execz .LBB361_932
; %bb.929:                              ;   in Loop: Header=BB361_626 Depth=1
	v_and_b32_sdwa v9, v18, v41 dst_sel:DWORD dst_unused:UNUSED_PAD src0_sel:BYTE_3 src1_sel:DWORD
	v_lshrrev_b32_e32 v17, 3, v86
	s_mov_b32 s18, exec_lo
	v_cmpx_gt_u32_e32 8, v86
; %bb.930:                              ;   in Loop: Header=BB361_626 Depth=1
	v_ffbh_u32_e32 v17, v9
	v_min_u32_e32 v17, 32, v17
	v_subrev_nc_u32_e32 v20, 28, v17
	v_sub_nc_u32_e32 v17, 29, v17
	v_lshlrev_b64 v[86:87], v20, v[9:10]
	v_and_b32_e32 v9, 7, v86
; %bb.931:                              ;   in Loop: Header=BB361_626 Depth=1
	s_or_b32 exec_lo, exec_lo, s18
	v_lshlrev_b32_sdwa v18, v42, v18 dst_sel:DWORD dst_unused:UNUSED_PAD src0_sel:DWORD src1_sel:BYTE_3
	v_lshlrev_b32_e32 v9, 20, v9
	v_lshl_add_u32 v17, v17, 23, 0x3c000000
	v_and_b32_e32 v18, 0x80000000, v18
	v_or3_b32 v20, v9, v18, v17
.LBB361_932:                            ;   in Loop: Header=BB361_626 Depth=1
	s_or_b32 exec_lo, exec_lo, s17
.LBB361_933:                            ;   in Loop: Header=BB361_626 Depth=1
	s_or_b32 exec_lo, exec_lo, s16
.LBB361_934:                            ;   in Loop: Header=BB361_626 Depth=1
	s_or_b32 exec_lo, exec_lo, s15
	v_mul_f32_e32 v9, s5, v19
	v_mul_f32_e32 v17, s5, v84
	v_mul_f32_e32 v19, s5, v0
	v_mul_f32_e32 v18, s5, v83
	v_mul_f32_e32 v20, s5, v20
	v_bfe_u32 v0, v9, 16, 1
	v_or_b32_e32 v83, 0x400000, v9
	v_bfe_u32 v84, v17, 16, 1
	v_cmp_u_f32_e64 s0, v9, v9
	v_or_b32_e32 v86, 0x400000, v17
	v_add3_u32 v0, v0, v9, 0x7fff
	v_bfe_u32 v87, v18, 16, 1
	v_add3_u32 v84, v84, v17, 0x7fff
	v_or_b32_e32 v88, 0x400000, v18
	v_bfe_u32 v89, v19, 16, 1
	v_cndmask_b32_e64 v0, v0, v83, s0
	v_cmp_u_f32_e64 s0, v17, v17
	v_add3_u32 v87, v87, v18, 0x7fff
	v_lshrrev_b32_e32 v0, 16, v0
	v_cndmask_b32_e64 v9, v84, v86, s0
	v_cmp_u_f32_e64 s0, v18, v18
	v_mul_f32_e32 v18, s5, v21
	v_add3_u32 v84, v89, v19, 0x7fff
	v_or_b32_e32 v86, 0x400000, v19
	v_lshrrev_b32_e32 v21, 16, v9
	v_cndmask_b32_e64 v17, v87, v88, s0
	v_bfe_u32 v9, v18, 16, 1
	v_cmp_u_f32_e64 s0, v19, v19
	v_mul_f32_e32 v19, s5, v22
	v_mul_f32_e32 v22, s5, v85
	v_lshrrev_b32_e32 v83, 16, v17
	v_add3_u32 v9, v9, v18, 0x7fff
	v_cndmask_b32_e64 v17, v84, v86, s0
	v_or_b32_e32 v84, 0x400000, v18
	v_bfe_u32 v85, v19, 16, 1
	v_cmp_u_f32_e64 s0, v18, v18
	v_bfe_u32 v86, v22, 16, 1
	v_bfe_u32 v18, v20, 16, 1
	v_or_b32_e32 v87, 0x400000, v22
	v_or_b32_e32 v88, 0x400000, v20
	v_cndmask_b32_e64 v9, v9, v84, s0
	v_add3_u32 v84, v85, v19, 0x7fff
	v_or_b32_e32 v85, 0x400000, v19
	v_cmp_u_f32_e64 s0, v19, v19
	v_add3_u32 v86, v86, v22, 0x7fff
	v_add3_u32 v18, v18, v20, 0x7fff
	v_cndmask_b32_e64 v19, v84, v85, s0
	v_cmp_u_f32_e64 s0, v22, v22
	v_lshrrev_b32_e32 v85, 16, v17
	v_cndmask_b32_e64 v22, v86, v87, s0
	v_cmp_u_f32_e64 s0, v20, v20
	v_lshrrev_b32_e32 v87, 16, v9
	v_lshrrev_b32_e32 v86, 16, v19
	v_lshrrev_b32_e32 v22, 16, v22
	v_cndmask_b32_e64 v18, v18, v88, s0
	v_lshrrev_b32_e32 v84, 16, v18
	s_and_saveexec_b32 s15, vcc_lo
	s_cbranch_execz .LBB361_936
; %bb.935:                              ;   in Loop: Header=BB361_626 Depth=1
	v_cmp_gt_i32_e64 s0, s11, v60
	v_cndmask_b32_e64 v86, 0, v86, s0
	v_cmp_gt_i32_e64 s0, s11, v66
	v_cndmask_b32_e64 v87, 0, v87, s0
	;; [unrolled: 2-line block ×8, first 2 shown]
.LBB361_936:                            ;   in Loop: Header=BB361_626 Depth=1
	s_or_b32 exec_lo, exec_lo, s15
	global_load_dwordx2 v[17:18], v[15:16], off offset:1280
	v_mov_b32_e32 v88, 0
	v_mov_b32_e32 v90, 0
	s_waitcnt vmcnt(0)
	v_cmp_ne_u16_sdwa s0, v17, v10 src0_sel:BYTE_0 src1_sel:DWORD
	s_and_saveexec_b32 s15, s0
	s_cbranch_execz .LBB361_942
; %bb.937:                              ;   in Loop: Header=BB361_626 Depth=1
	v_cmp_ne_u16_sdwa s0, v17, v38 src0_sel:BYTE_0 src1_sel:DWORD
	v_bfrev_b32_e32 v90, 1
	s_and_saveexec_b32 s16, s0
	s_cbranch_execz .LBB361_941
; %bb.938:                              ;   in Loop: Header=BB361_626 Depth=1
	v_and_b32_e32 v9, 0x7f, v17
	v_mov_b32_e32 v90, 0x7f800001
	s_mov_b32 s17, exec_lo
	v_cmpx_ne_u32_e32 0x7f, v9
	s_cbranch_execz .LBB361_940
; %bb.939:                              ;   in Loop: Header=BB361_626 Depth=1
	v_and_b32_e32 v19, 7, v17
	v_lshrrev_b32_e32 v20, 3, v9
	v_cmp_gt_u32_e64 s0, 8, v9
	v_ffbh_u32_e32 v19, v19
	v_min_u32_e32 v19, 32, v19
	v_subrev_nc_u32_e32 v89, 28, v19
	v_sub_nc_u32_e32 v19, 29, v19
	v_cndmask_b32_e64 v9, v20, v19, s0
	v_cndmask_b32_e64 v19, 0, v89, s0
	v_lshl_add_u32 v9, v9, 23, 0x3c000000
	v_lshlrev_b64 v[19:20], v19, v[17:18]
	v_lshlrev_b32_e32 v20, 24, v17
	v_lshlrev_b32_e32 v19, 20, v19
	v_and_b32_e32 v20, 0x80000000, v20
	v_and_b32_e32 v19, 0x700000, v19
	v_or3_b32 v90, v19, v20, v9
.LBB361_940:                            ;   in Loop: Header=BB361_626 Depth=1
	s_or_b32 exec_lo, exec_lo, s17
.LBB361_941:                            ;   in Loop: Header=BB361_626 Depth=1
	s_or_b32 exec_lo, exec_lo, s16
.LBB361_942:                            ;   in Loop: Header=BB361_626 Depth=1
	s_or_b32 exec_lo, exec_lo, s15
	v_cmp_ne_u16_sdwa s0, v17, v10 src0_sel:BYTE_1 src1_sel:DWORD
	s_and_saveexec_b32 s15, s0
	s_cbranch_execz .LBB361_950
; %bb.943:                              ;   in Loop: Header=BB361_626 Depth=1
	v_cmp_ne_u16_sdwa s0, v17, v38 src0_sel:BYTE_1 src1_sel:DWORD
	v_bfrev_b32_e32 v88, 1
	s_and_saveexec_b32 s16, s0
	s_cbranch_execz .LBB361_949
; %bb.944:                              ;   in Loop: Header=BB361_626 Depth=1
	v_and_b32_sdwa v9, v39, v17 dst_sel:DWORD dst_unused:UNUSED_PAD src0_sel:DWORD src1_sel:BYTE_1
	v_mov_b32_e32 v88, 0x7f800001
	s_mov_b32 s17, exec_lo
	v_and_b32_e32 v20, 0x7f, v9
	v_cmpx_ne_u32_e32 0x7f, v20
	s_cbranch_execz .LBB361_948
; %bb.945:                              ;   in Loop: Header=BB361_626 Depth=1
	v_and_b32_e32 v9, 7, v9
	v_lshrrev_b32_e32 v19, 3, v20
	s_mov_b32 s18, exec_lo
	v_cmpx_gt_u32_e32 8, v20
; %bb.946:                              ;   in Loop: Header=BB361_626 Depth=1
	v_ffbh_u32_e32 v19, v9
	v_min_u32_e32 v19, 32, v19
	v_subrev_nc_u32_e32 v20, 28, v19
	v_sub_nc_u32_e32 v19, 29, v19
	v_lshlrev_b64 v[88:89], v20, v[9:10]
	v_and_b32_e32 v9, 7, v88
; %bb.947:                              ;   in Loop: Header=BB361_626 Depth=1
	s_or_b32 exec_lo, exec_lo, s18
	v_lshlrev_b32_e32 v20, 16, v17
	v_lshlrev_b32_e32 v9, 20, v9
	v_lshl_add_u32 v19, v19, 23, 0x3c000000
	v_and_b32_e32 v20, 0x80000000, v20
	v_or3_b32 v88, v9, v20, v19
.LBB361_948:                            ;   in Loop: Header=BB361_626 Depth=1
	s_or_b32 exec_lo, exec_lo, s17
.LBB361_949:                            ;   in Loop: Header=BB361_626 Depth=1
	s_or_b32 exec_lo, exec_lo, s16
.LBB361_950:                            ;   in Loop: Header=BB361_626 Depth=1
	s_or_b32 exec_lo, exec_lo, s15
	v_and_b32_sdwa v9, v17, v40 dst_sel:DWORD dst_unused:UNUSED_PAD src0_sel:WORD_1 src1_sel:DWORD
	v_mov_b32_e32 v91, 0
	v_mov_b32_e32 v89, 0
	s_mov_b32 s15, exec_lo
	v_cmpx_ne_u16_e32 0, v9
	s_cbranch_execz .LBB361_958
; %bb.951:                              ;   in Loop: Header=BB361_626 Depth=1
	v_bfrev_b32_e32 v89, 1
	s_mov_b32 s16, exec_lo
	v_cmpx_ne_u16_e32 0x80, v9
	s_cbranch_execz .LBB361_957
; %bb.952:                              ;   in Loop: Header=BB361_626 Depth=1
	v_bfe_u32 v20, v17, 16, 7
	v_mov_b32_e32 v89, 0x7f800001
	s_mov_b32 s17, exec_lo
	v_cmpx_ne_u32_e32 0x7f, v20
	s_cbranch_execz .LBB361_956
; %bb.953:                              ;   in Loop: Header=BB361_626 Depth=1
	v_and_b32_sdwa v9, v17, v41 dst_sel:DWORD dst_unused:UNUSED_PAD src0_sel:WORD_1 src1_sel:DWORD
	v_lshrrev_b32_e32 v19, 3, v20
	s_mov_b32 s18, exec_lo
	v_cmpx_gt_u32_e32 8, v20
; %bb.954:                              ;   in Loop: Header=BB361_626 Depth=1
	v_ffbh_u32_e32 v19, v9
	v_min_u32_e32 v19, 32, v19
	v_subrev_nc_u32_e32 v20, 28, v19
	v_sub_nc_u32_e32 v19, 29, v19
	v_lshlrev_b64 v[92:93], v20, v[9:10]
	v_and_b32_e32 v9, 7, v92
; %bb.955:                              ;   in Loop: Header=BB361_626 Depth=1
	s_or_b32 exec_lo, exec_lo, s18
	v_lshlrev_b32_sdwa v20, v42, v17 dst_sel:DWORD dst_unused:UNUSED_PAD src0_sel:DWORD src1_sel:WORD_1
	v_lshlrev_b32_e32 v9, 20, v9
	v_lshl_add_u32 v19, v19, 23, 0x3c000000
	v_and_b32_e32 v20, 0x80000000, v20
	v_or3_b32 v89, v9, v20, v19
.LBB361_956:                            ;   in Loop: Header=BB361_626 Depth=1
	s_or_b32 exec_lo, exec_lo, s17
.LBB361_957:                            ;   in Loop: Header=BB361_626 Depth=1
	s_or_b32 exec_lo, exec_lo, s16
.LBB361_958:                            ;   in Loop: Header=BB361_626 Depth=1
	s_or_b32 exec_lo, exec_lo, s15
	s_mov_b32 s15, exec_lo
	v_cmpx_lt_u32_e32 0xffffff, v17
	s_cbranch_execz .LBB361_966
; %bb.959:                              ;   in Loop: Header=BB361_626 Depth=1
	v_cmp_ne_u32_sdwa s0, v17, v38 src0_sel:BYTE_3 src1_sel:DWORD
	v_bfrev_b32_e32 v91, 1
	s_and_saveexec_b32 s16, s0
	s_cbranch_execz .LBB361_965
; %bb.960:                              ;   in Loop: Header=BB361_626 Depth=1
	v_bfe_u32 v20, v17, 24, 7
	v_mov_b32_e32 v91, 0x7f800001
	s_mov_b32 s17, exec_lo
	v_cmpx_ne_u32_e32 0x7f, v20
	s_cbranch_execz .LBB361_964
; %bb.961:                              ;   in Loop: Header=BB361_626 Depth=1
	v_and_b32_sdwa v9, v17, v41 dst_sel:DWORD dst_unused:UNUSED_PAD src0_sel:BYTE_3 src1_sel:DWORD
	v_lshrrev_b32_e32 v19, 3, v20
	s_mov_b32 s18, exec_lo
	v_cmpx_gt_u32_e32 8, v20
; %bb.962:                              ;   in Loop: Header=BB361_626 Depth=1
	v_ffbh_u32_e32 v19, v9
	v_min_u32_e32 v19, 32, v19
	v_subrev_nc_u32_e32 v20, 28, v19
	v_sub_nc_u32_e32 v19, 29, v19
	v_lshlrev_b64 v[91:92], v20, v[9:10]
	v_and_b32_e32 v9, 7, v91
; %bb.963:                              ;   in Loop: Header=BB361_626 Depth=1
	s_or_b32 exec_lo, exec_lo, s18
	v_lshlrev_b32_sdwa v20, v42, v17 dst_sel:DWORD dst_unused:UNUSED_PAD src0_sel:DWORD src1_sel:BYTE_3
	v_lshlrev_b32_e32 v9, 20, v9
	v_lshl_add_u32 v19, v19, 23, 0x3c000000
	v_and_b32_e32 v20, 0x80000000, v20
	v_or3_b32 v91, v9, v20, v19
.LBB361_964:                            ;   in Loop: Header=BB361_626 Depth=1
	s_or_b32 exec_lo, exec_lo, s17
.LBB361_965:                            ;   in Loop: Header=BB361_626 Depth=1
	s_or_b32 exec_lo, exec_lo, s16
.LBB361_966:                            ;   in Loop: Header=BB361_626 Depth=1
	s_or_b32 exec_lo, exec_lo, s15
	v_mov_b32_e32 v9, v18
	v_cmp_ne_u16_sdwa s0, v18, v10 src0_sel:BYTE_0 src1_sel:DWORD
	v_mov_b32_e32 v19, 0
	v_mov_b32_e32 v92, 0
	s_and_saveexec_b32 s15, s0
	s_cbranch_execz .LBB361_972
; %bb.967:                              ;   in Loop: Header=BB361_626 Depth=1
	v_cmp_ne_u16_sdwa s0, v18, v38 src0_sel:BYTE_0 src1_sel:DWORD
	v_bfrev_b32_e32 v92, 1
	s_and_saveexec_b32 s16, s0
	s_cbranch_execz .LBB361_971
; %bb.968:                              ;   in Loop: Header=BB361_626 Depth=1
	v_and_b32_e32 v20, 0x7f, v18
	v_mov_b32_e32 v92, 0x7f800001
	s_mov_b32 s17, exec_lo
	v_cmpx_ne_u32_e32 0x7f, v20
	s_cbranch_execz .LBB361_970
; %bb.969:                              ;   in Loop: Header=BB361_626 Depth=1
	v_and_b32_e32 v92, 7, v18
	v_lshrrev_b32_e32 v93, 3, v20
	v_cmp_gt_u32_e64 s0, 8, v20
	v_ffbh_u32_e32 v92, v92
	v_min_u32_e32 v92, 32, v92
	v_subrev_nc_u32_e32 v94, 28, v92
	v_sub_nc_u32_e32 v92, 29, v92
	v_cndmask_b32_e64 v20, v93, v92, s0
	v_cndmask_b32_e64 v92, 0, v94, s0
	v_lshl_add_u32 v20, v20, 23, 0x3c000000
	v_lshlrev_b64 v[92:93], v92, v[9:10]
	v_lshlrev_b32_e32 v93, 24, v9
	v_lshlrev_b32_e32 v92, 20, v92
	v_and_b32_e32 v93, 0x80000000, v93
	v_and_b32_e32 v92, 0x700000, v92
	v_or3_b32 v92, v92, v93, v20
.LBB361_970:                            ;   in Loop: Header=BB361_626 Depth=1
	s_or_b32 exec_lo, exec_lo, s17
.LBB361_971:                            ;   in Loop: Header=BB361_626 Depth=1
	s_or_b32 exec_lo, exec_lo, s16
.LBB361_972:                            ;   in Loop: Header=BB361_626 Depth=1
	s_or_b32 exec_lo, exec_lo, s15
	v_cmp_ne_u16_sdwa s0, v9, v10 src0_sel:BYTE_1 src1_sel:DWORD
	s_and_saveexec_b32 s15, s0
	s_cbranch_execz .LBB361_980
; %bb.973:                              ;   in Loop: Header=BB361_626 Depth=1
	v_cmp_ne_u16_sdwa s0, v9, v38 src0_sel:BYTE_1 src1_sel:DWORD
	v_bfrev_b32_e32 v19, 1
	s_and_saveexec_b32 s16, s0
	s_cbranch_execz .LBB361_979
; %bb.974:                              ;   in Loop: Header=BB361_626 Depth=1
	v_and_b32_sdwa v20, v39, v9 dst_sel:DWORD dst_unused:UNUSED_PAD src0_sel:DWORD src1_sel:BYTE_1
	v_mov_b32_e32 v19, 0x7f800001
	s_mov_b32 s17, exec_lo
	v_and_b32_e32 v94, 0x7f, v20
	v_cmpx_ne_u32_e32 0x7f, v94
	s_cbranch_execz .LBB361_978
; %bb.975:                              ;   in Loop: Header=BB361_626 Depth=1
	v_and_b32_e32 v19, 7, v20
	v_mov_b32_e32 v20, v10
	v_lshrrev_b32_e32 v93, 3, v94
	s_mov_b32 s18, exec_lo
	v_cmpx_gt_u32_e32 8, v94
; %bb.976:                              ;   in Loop: Header=BB361_626 Depth=1
	v_ffbh_u32_e32 v93, v19
	v_min_u32_e32 v93, 32, v93
	v_subrev_nc_u32_e32 v94, 28, v93
	v_sub_nc_u32_e32 v93, 29, v93
	v_lshlrev_b64 v[19:20], v94, v[19:20]
	v_and_b32_e32 v19, 7, v19
; %bb.977:                              ;   in Loop: Header=BB361_626 Depth=1
	s_or_b32 exec_lo, exec_lo, s18
	v_lshlrev_b32_e32 v9, 16, v9
	v_lshlrev_b32_e32 v19, 20, v19
	v_lshl_add_u32 v20, v93, 23, 0x3c000000
	v_and_b32_e32 v9, 0x80000000, v9
	v_or3_b32 v19, v19, v9, v20
.LBB361_978:                            ;   in Loop: Header=BB361_626 Depth=1
	s_or_b32 exec_lo, exec_lo, s17
.LBB361_979:                            ;   in Loop: Header=BB361_626 Depth=1
	s_or_b32 exec_lo, exec_lo, s16
.LBB361_980:                            ;   in Loop: Header=BB361_626 Depth=1
	s_or_b32 exec_lo, exec_lo, s15
	v_and_b32_sdwa v9, v18, v40 dst_sel:DWORD dst_unused:UNUSED_PAD src0_sel:WORD_1 src1_sel:DWORD
	v_mov_b32_e32 v20, 0
	v_mov_b32_e32 v93, 0
	s_mov_b32 s15, exec_lo
	v_cmpx_ne_u16_e32 0, v9
	s_cbranch_execz .LBB361_988
; %bb.981:                              ;   in Loop: Header=BB361_626 Depth=1
	v_bfrev_b32_e32 v93, 1
	s_mov_b32 s16, exec_lo
	v_cmpx_ne_u16_e32 0x80, v9
	s_cbranch_execz .LBB361_987
; %bb.982:                              ;   in Loop: Header=BB361_626 Depth=1
	v_bfe_u32 v94, v18, 16, 7
	v_mov_b32_e32 v93, 0x7f800001
	s_mov_b32 s17, exec_lo
	v_cmpx_ne_u32_e32 0x7f, v94
	s_cbranch_execz .LBB361_986
; %bb.983:                              ;   in Loop: Header=BB361_626 Depth=1
	v_and_b32_sdwa v9, v18, v41 dst_sel:DWORD dst_unused:UNUSED_PAD src0_sel:WORD_1 src1_sel:DWORD
	v_lshrrev_b32_e32 v93, 3, v94
	s_mov_b32 s18, exec_lo
	v_cmpx_gt_u32_e32 8, v94
; %bb.984:                              ;   in Loop: Header=BB361_626 Depth=1
	v_ffbh_u32_e32 v93, v9
	v_min_u32_e32 v93, 32, v93
	v_subrev_nc_u32_e32 v94, 28, v93
	v_sub_nc_u32_e32 v93, 29, v93
	v_lshlrev_b64 v[94:95], v94, v[9:10]
	v_and_b32_e32 v9, 7, v94
; %bb.985:                              ;   in Loop: Header=BB361_626 Depth=1
	s_or_b32 exec_lo, exec_lo, s18
	v_lshlrev_b32_sdwa v94, v42, v18 dst_sel:DWORD dst_unused:UNUSED_PAD src0_sel:DWORD src1_sel:WORD_1
	v_lshlrev_b32_e32 v9, 20, v9
	v_lshl_add_u32 v93, v93, 23, 0x3c000000
	v_and_b32_e32 v94, 0x80000000, v94
	v_or3_b32 v93, v9, v94, v93
.LBB361_986:                            ;   in Loop: Header=BB361_626 Depth=1
	s_or_b32 exec_lo, exec_lo, s17
.LBB361_987:                            ;   in Loop: Header=BB361_626 Depth=1
	s_or_b32 exec_lo, exec_lo, s16
.LBB361_988:                            ;   in Loop: Header=BB361_626 Depth=1
	s_or_b32 exec_lo, exec_lo, s15
	s_mov_b32 s15, exec_lo
	v_cmpx_lt_u64_e64 s[2:3], v[17:18]
	s_cbranch_execz .LBB361_996
; %bb.989:                              ;   in Loop: Header=BB361_626 Depth=1
	v_cmp_ne_u32_sdwa s0, v18, v38 src0_sel:BYTE_3 src1_sel:DWORD
	v_bfrev_b32_e32 v20, 1
	s_and_saveexec_b32 s16, s0
	s_cbranch_execz .LBB361_995
; %bb.990:                              ;   in Loop: Header=BB361_626 Depth=1
	v_bfe_u32 v94, v18, 24, 7
	v_mov_b32_e32 v20, 0x7f800001
	s_mov_b32 s17, exec_lo
	v_cmpx_ne_u32_e32 0x7f, v94
	s_cbranch_execz .LBB361_994
; %bb.991:                              ;   in Loop: Header=BB361_626 Depth=1
	v_and_b32_sdwa v9, v18, v41 dst_sel:DWORD dst_unused:UNUSED_PAD src0_sel:BYTE_3 src1_sel:DWORD
	v_lshrrev_b32_e32 v17, 3, v94
	s_mov_b32 s18, exec_lo
	v_cmpx_gt_u32_e32 8, v94
; %bb.992:                              ;   in Loop: Header=BB361_626 Depth=1
	v_ffbh_u32_e32 v17, v9
	v_min_u32_e32 v17, 32, v17
	v_subrev_nc_u32_e32 v20, 28, v17
	v_sub_nc_u32_e32 v17, 29, v17
	v_lshlrev_b64 v[94:95], v20, v[9:10]
	v_and_b32_e32 v9, 7, v94
; %bb.993:                              ;   in Loop: Header=BB361_626 Depth=1
	s_or_b32 exec_lo, exec_lo, s18
	v_lshlrev_b32_sdwa v18, v42, v18 dst_sel:DWORD dst_unused:UNUSED_PAD src0_sel:DWORD src1_sel:BYTE_3
	v_lshlrev_b32_e32 v9, 20, v9
	v_lshl_add_u32 v17, v17, 23, 0x3c000000
	v_and_b32_e32 v18, 0x80000000, v18
	v_or3_b32 v20, v9, v18, v17
.LBB361_994:                            ;   in Loop: Header=BB361_626 Depth=1
	s_or_b32 exec_lo, exec_lo, s17
.LBB361_995:                            ;   in Loop: Header=BB361_626 Depth=1
	s_or_b32 exec_lo, exec_lo, s16
.LBB361_996:                            ;   in Loop: Header=BB361_626 Depth=1
	s_or_b32 exec_lo, exec_lo, s15
	v_mul_f32_e32 v9, s5, v19
	v_mul_f32_e32 v17, s5, v92
	;; [unrolled: 1-line block ×5, first 2 shown]
	v_bfe_u32 v89, v9, 16, 1
	v_or_b32_e32 v91, 0x400000, v9
	v_bfe_u32 v92, v17, 16, 1
	v_cmp_u_f32_e64 s0, v9, v9
	v_or_b32_e32 v94, 0x400000, v17
	v_add3_u32 v89, v89, v9, 0x7fff
	v_bfe_u32 v95, v18, 16, 1
	v_add3_u32 v92, v92, v17, 0x7fff
	v_or_b32_e32 v96, 0x400000, v18
	v_bfe_u32 v97, v19, 16, 1
	v_cndmask_b32_e64 v9, v89, v91, s0
	v_cmp_u_f32_e64 s0, v17, v17
	v_add3_u32 v95, v95, v18, 0x7fff
	v_lshrrev_b32_e32 v89, 16, v9
	v_cndmask_b32_e64 v17, v92, v94, s0
	v_cmp_u_f32_e64 s0, v18, v18
	v_mul_f32_e32 v9, s5, v88
	v_add3_u32 v92, v97, v19, 0x7fff
	v_or_b32_e32 v94, 0x400000, v19
	v_lshrrev_b32_e32 v88, 16, v17
	v_cndmask_b32_e64 v18, v95, v96, s0
	v_bfe_u32 v17, v9, 16, 1
	v_cmp_u_f32_e64 s0, v19, v19
	v_mul_f32_e32 v19, s5, v90
	v_mul_f32_e32 v90, s5, v93
	v_lshrrev_b32_e32 v91, 16, v18
	v_add3_u32 v17, v17, v9, 0x7fff
	v_cndmask_b32_e64 v18, v92, v94, s0
	v_or_b32_e32 v92, 0x400000, v9
	v_bfe_u32 v93, v19, 16, 1
	v_cmp_u_f32_e64 s0, v9, v9
	v_bfe_u32 v94, v90, 16, 1
	v_or_b32_e32 v95, 0x400000, v90
	v_or_b32_e32 v96, 0x400000, v20
	v_cndmask_b32_e64 v9, v17, v92, s0
	v_add3_u32 v92, v93, v19, 0x7fff
	v_or_b32_e32 v93, 0x400000, v19
	v_cmp_u_f32_e64 s0, v19, v19
	v_bfe_u32 v17, v20, 16, 1
	v_add3_u32 v94, v94, v90, 0x7fff
	v_cndmask_b32_e64 v19, v92, v93, s0
	v_cmp_u_f32_e64 s0, v90, v90
	v_add3_u32 v17, v17, v20, 0x7fff
	v_lshrrev_b32_e32 v93, 16, v18
	v_cndmask_b32_e64 v90, v94, v95, s0
	v_cmp_u_f32_e64 s0, v20, v20
	v_lshrrev_b32_e32 v95, 16, v9
	v_lshrrev_b32_e32 v94, 16, v19
	;; [unrolled: 1-line block ×3, first 2 shown]
	v_cndmask_b32_e64 v17, v17, v96, s0
	v_lshrrev_b32_e32 v92, 16, v17
	s_and_saveexec_b32 s15, vcc_lo
	s_cbranch_execz .LBB361_998
; %bb.997:                              ;   in Loop: Header=BB361_626 Depth=1
	v_cmp_gt_i32_e64 s0, s11, v60
	v_cndmask_b32_e64 v94, 0, v94, s0
	v_cmp_gt_i32_e64 s0, s11, v66
	v_cndmask_b32_e64 v95, 0, v95, s0
	;; [unrolled: 2-line block ×8, first 2 shown]
.LBB361_998:                            ;   in Loop: Header=BB361_626 Depth=1
	s_or_b32 exec_lo, exec_lo, s15
	global_load_dwordx2 v[17:18], v[15:16], off offset:1536
	v_mov_b32_e32 v97, 0
	v_mov_b32_e32 v98, 0
	s_waitcnt vmcnt(0)
	v_cmp_ne_u16_sdwa s0, v17, v10 src0_sel:BYTE_0 src1_sel:DWORD
	s_and_saveexec_b32 s15, s0
	s_cbranch_execz .LBB361_1004
; %bb.999:                              ;   in Loop: Header=BB361_626 Depth=1
	v_cmp_ne_u16_sdwa s0, v17, v38 src0_sel:BYTE_0 src1_sel:DWORD
	v_bfrev_b32_e32 v98, 1
	s_and_saveexec_b32 s16, s0
	s_cbranch_execz .LBB361_1003
; %bb.1000:                             ;   in Loop: Header=BB361_626 Depth=1
	v_and_b32_e32 v9, 0x7f, v17
	v_mov_b32_e32 v98, 0x7f800001
	s_mov_b32 s17, exec_lo
	v_cmpx_ne_u32_e32 0x7f, v9
	s_cbranch_execz .LBB361_1002
; %bb.1001:                             ;   in Loop: Header=BB361_626 Depth=1
	v_and_b32_e32 v19, 7, v17
	v_lshrrev_b32_e32 v20, 3, v9
	v_cmp_gt_u32_e64 s0, 8, v9
	v_ffbh_u32_e32 v19, v19
	v_min_u32_e32 v19, 32, v19
	v_subrev_nc_u32_e32 v96, 28, v19
	v_sub_nc_u32_e32 v19, 29, v19
	v_cndmask_b32_e64 v9, v20, v19, s0
	v_cndmask_b32_e64 v19, 0, v96, s0
	v_lshl_add_u32 v9, v9, 23, 0x3c000000
	v_lshlrev_b64 v[19:20], v19, v[17:18]
	v_lshlrev_b32_e32 v20, 24, v17
	v_lshlrev_b32_e32 v19, 20, v19
	v_and_b32_e32 v20, 0x80000000, v20
	v_and_b32_e32 v19, 0x700000, v19
	v_or3_b32 v98, v19, v20, v9
.LBB361_1002:                           ;   in Loop: Header=BB361_626 Depth=1
	s_or_b32 exec_lo, exec_lo, s17
.LBB361_1003:                           ;   in Loop: Header=BB361_626 Depth=1
	s_or_b32 exec_lo, exec_lo, s16
.LBB361_1004:                           ;   in Loop: Header=BB361_626 Depth=1
	s_or_b32 exec_lo, exec_lo, s15
	v_cmp_ne_u16_sdwa s0, v17, v10 src0_sel:BYTE_1 src1_sel:DWORD
	s_and_saveexec_b32 s15, s0
	s_cbranch_execz .LBB361_1012
; %bb.1005:                             ;   in Loop: Header=BB361_626 Depth=1
	v_cmp_ne_u16_sdwa s0, v17, v38 src0_sel:BYTE_1 src1_sel:DWORD
	v_bfrev_b32_e32 v97, 1
	s_and_saveexec_b32 s16, s0
	s_cbranch_execz .LBB361_1011
; %bb.1006:                             ;   in Loop: Header=BB361_626 Depth=1
	v_and_b32_sdwa v9, v39, v17 dst_sel:DWORD dst_unused:UNUSED_PAD src0_sel:DWORD src1_sel:BYTE_1
	v_mov_b32_e32 v97, 0x7f800001
	s_mov_b32 s17, exec_lo
	v_and_b32_e32 v20, 0x7f, v9
	v_cmpx_ne_u32_e32 0x7f, v20
	s_cbranch_execz .LBB361_1010
; %bb.1007:                             ;   in Loop: Header=BB361_626 Depth=1
	v_and_b32_e32 v9, 7, v9
	v_lshrrev_b32_e32 v19, 3, v20
	s_mov_b32 s18, exec_lo
	v_cmpx_gt_u32_e32 8, v20
; %bb.1008:                             ;   in Loop: Header=BB361_626 Depth=1
	v_ffbh_u32_e32 v19, v9
	v_min_u32_e32 v19, 32, v19
	v_subrev_nc_u32_e32 v20, 28, v19
	v_sub_nc_u32_e32 v19, 29, v19
	v_lshlrev_b64 v[96:97], v20, v[9:10]
	v_and_b32_e32 v9, 7, v96
; %bb.1009:                             ;   in Loop: Header=BB361_626 Depth=1
	s_or_b32 exec_lo, exec_lo, s18
	v_lshlrev_b32_e32 v20, 16, v17
	v_lshlrev_b32_e32 v9, 20, v9
	v_lshl_add_u32 v19, v19, 23, 0x3c000000
	v_and_b32_e32 v20, 0x80000000, v20
	v_or3_b32 v97, v9, v20, v19
.LBB361_1010:                           ;   in Loop: Header=BB361_626 Depth=1
	s_or_b32 exec_lo, exec_lo, s17
.LBB361_1011:                           ;   in Loop: Header=BB361_626 Depth=1
	s_or_b32 exec_lo, exec_lo, s16
.LBB361_1012:                           ;   in Loop: Header=BB361_626 Depth=1
	s_or_b32 exec_lo, exec_lo, s15
	v_and_b32_sdwa v9, v17, v40 dst_sel:DWORD dst_unused:UNUSED_PAD src0_sel:WORD_1 src1_sel:DWORD
	v_mov_b32_e32 v99, 0
	v_mov_b32_e32 v96, 0
	s_mov_b32 s15, exec_lo
	v_cmpx_ne_u16_e32 0, v9
	s_cbranch_execz .LBB361_1020
; %bb.1013:                             ;   in Loop: Header=BB361_626 Depth=1
	v_bfrev_b32_e32 v96, 1
	s_mov_b32 s16, exec_lo
	v_cmpx_ne_u16_e32 0x80, v9
	s_cbranch_execz .LBB361_1019
; %bb.1014:                             ;   in Loop: Header=BB361_626 Depth=1
	v_bfe_u32 v20, v17, 16, 7
	v_mov_b32_e32 v96, 0x7f800001
	s_mov_b32 s17, exec_lo
	v_cmpx_ne_u32_e32 0x7f, v20
	s_cbranch_execz .LBB361_1018
; %bb.1015:                             ;   in Loop: Header=BB361_626 Depth=1
	v_and_b32_sdwa v9, v17, v41 dst_sel:DWORD dst_unused:UNUSED_PAD src0_sel:WORD_1 src1_sel:DWORD
	v_lshrrev_b32_e32 v19, 3, v20
	s_mov_b32 s18, exec_lo
	v_cmpx_gt_u32_e32 8, v20
; %bb.1016:                             ;   in Loop: Header=BB361_626 Depth=1
	v_ffbh_u32_e32 v19, v9
	v_min_u32_e32 v19, 32, v19
	v_subrev_nc_u32_e32 v20, 28, v19
	v_sub_nc_u32_e32 v19, 29, v19
	v_lshlrev_b64 v[100:101], v20, v[9:10]
	v_and_b32_e32 v9, 7, v100
; %bb.1017:                             ;   in Loop: Header=BB361_626 Depth=1
	s_or_b32 exec_lo, exec_lo, s18
	v_lshlrev_b32_sdwa v20, v42, v17 dst_sel:DWORD dst_unused:UNUSED_PAD src0_sel:DWORD src1_sel:WORD_1
	v_lshlrev_b32_e32 v9, 20, v9
	v_lshl_add_u32 v19, v19, 23, 0x3c000000
	v_and_b32_e32 v20, 0x80000000, v20
	v_or3_b32 v96, v9, v20, v19
.LBB361_1018:                           ;   in Loop: Header=BB361_626 Depth=1
	s_or_b32 exec_lo, exec_lo, s17
.LBB361_1019:                           ;   in Loop: Header=BB361_626 Depth=1
	s_or_b32 exec_lo, exec_lo, s16
.LBB361_1020:                           ;   in Loop: Header=BB361_626 Depth=1
	s_or_b32 exec_lo, exec_lo, s15
	s_mov_b32 s15, exec_lo
	v_cmpx_lt_u32_e32 0xffffff, v17
	s_cbranch_execz .LBB361_1028
; %bb.1021:                             ;   in Loop: Header=BB361_626 Depth=1
	v_cmp_ne_u32_sdwa s0, v17, v38 src0_sel:BYTE_3 src1_sel:DWORD
	v_bfrev_b32_e32 v99, 1
	s_and_saveexec_b32 s16, s0
	s_cbranch_execz .LBB361_1027
; %bb.1022:                             ;   in Loop: Header=BB361_626 Depth=1
	v_bfe_u32 v20, v17, 24, 7
	v_mov_b32_e32 v99, 0x7f800001
	s_mov_b32 s17, exec_lo
	v_cmpx_ne_u32_e32 0x7f, v20
	s_cbranch_execz .LBB361_1026
; %bb.1023:                             ;   in Loop: Header=BB361_626 Depth=1
	v_and_b32_sdwa v9, v17, v41 dst_sel:DWORD dst_unused:UNUSED_PAD src0_sel:BYTE_3 src1_sel:DWORD
	v_lshrrev_b32_e32 v19, 3, v20
	s_mov_b32 s18, exec_lo
	v_cmpx_gt_u32_e32 8, v20
; %bb.1024:                             ;   in Loop: Header=BB361_626 Depth=1
	v_ffbh_u32_e32 v19, v9
	v_min_u32_e32 v19, 32, v19
	v_subrev_nc_u32_e32 v20, 28, v19
	v_sub_nc_u32_e32 v19, 29, v19
	v_lshlrev_b64 v[99:100], v20, v[9:10]
	v_and_b32_e32 v9, 7, v99
; %bb.1025:                             ;   in Loop: Header=BB361_626 Depth=1
	s_or_b32 exec_lo, exec_lo, s18
	v_lshlrev_b32_sdwa v20, v42, v17 dst_sel:DWORD dst_unused:UNUSED_PAD src0_sel:DWORD src1_sel:BYTE_3
	v_lshlrev_b32_e32 v9, 20, v9
	v_lshl_add_u32 v19, v19, 23, 0x3c000000
	v_and_b32_e32 v20, 0x80000000, v20
	v_or3_b32 v99, v9, v20, v19
.LBB361_1026:                           ;   in Loop: Header=BB361_626 Depth=1
	s_or_b32 exec_lo, exec_lo, s17
.LBB361_1027:                           ;   in Loop: Header=BB361_626 Depth=1
	s_or_b32 exec_lo, exec_lo, s16
.LBB361_1028:                           ;   in Loop: Header=BB361_626 Depth=1
	s_or_b32 exec_lo, exec_lo, s15
	v_mov_b32_e32 v9, v18
	v_cmp_ne_u16_sdwa s0, v18, v10 src0_sel:BYTE_0 src1_sel:DWORD
	v_mov_b32_e32 v19, 0
	v_mov_b32_e32 v100, 0
	s_and_saveexec_b32 s15, s0
	s_cbranch_execz .LBB361_1034
; %bb.1029:                             ;   in Loop: Header=BB361_626 Depth=1
	v_cmp_ne_u16_sdwa s0, v18, v38 src0_sel:BYTE_0 src1_sel:DWORD
	v_bfrev_b32_e32 v100, 1
	s_and_saveexec_b32 s16, s0
	s_cbranch_execz .LBB361_1033
; %bb.1030:                             ;   in Loop: Header=BB361_626 Depth=1
	v_and_b32_e32 v20, 0x7f, v18
	v_mov_b32_e32 v100, 0x7f800001
	s_mov_b32 s17, exec_lo
	v_cmpx_ne_u32_e32 0x7f, v20
	s_cbranch_execz .LBB361_1032
; %bb.1031:                             ;   in Loop: Header=BB361_626 Depth=1
	v_and_b32_e32 v100, 7, v18
	v_lshrrev_b32_e32 v101, 3, v20
	v_cmp_gt_u32_e64 s0, 8, v20
	v_ffbh_u32_e32 v100, v100
	v_min_u32_e32 v100, 32, v100
	v_subrev_nc_u32_e32 v102, 28, v100
	v_sub_nc_u32_e32 v100, 29, v100
	v_cndmask_b32_e64 v20, v101, v100, s0
	v_cndmask_b32_e64 v100, 0, v102, s0
	v_lshl_add_u32 v20, v20, 23, 0x3c000000
	v_lshlrev_b64 v[100:101], v100, v[9:10]
	v_lshlrev_b32_e32 v101, 24, v9
	v_lshlrev_b32_e32 v100, 20, v100
	v_and_b32_e32 v101, 0x80000000, v101
	v_and_b32_e32 v100, 0x700000, v100
	v_or3_b32 v100, v100, v101, v20
.LBB361_1032:                           ;   in Loop: Header=BB361_626 Depth=1
	s_or_b32 exec_lo, exec_lo, s17
.LBB361_1033:                           ;   in Loop: Header=BB361_626 Depth=1
	s_or_b32 exec_lo, exec_lo, s16
.LBB361_1034:                           ;   in Loop: Header=BB361_626 Depth=1
	s_or_b32 exec_lo, exec_lo, s15
	v_cmp_ne_u16_sdwa s0, v9, v10 src0_sel:BYTE_1 src1_sel:DWORD
	s_and_saveexec_b32 s15, s0
	s_cbranch_execz .LBB361_1042
; %bb.1035:                             ;   in Loop: Header=BB361_626 Depth=1
	v_cmp_ne_u16_sdwa s0, v9, v38 src0_sel:BYTE_1 src1_sel:DWORD
	v_bfrev_b32_e32 v19, 1
	s_and_saveexec_b32 s16, s0
	s_cbranch_execz .LBB361_1041
; %bb.1036:                             ;   in Loop: Header=BB361_626 Depth=1
	v_and_b32_sdwa v20, v39, v9 dst_sel:DWORD dst_unused:UNUSED_PAD src0_sel:DWORD src1_sel:BYTE_1
	v_mov_b32_e32 v19, 0x7f800001
	s_mov_b32 s17, exec_lo
	v_and_b32_e32 v102, 0x7f, v20
	v_cmpx_ne_u32_e32 0x7f, v102
	s_cbranch_execz .LBB361_1040
; %bb.1037:                             ;   in Loop: Header=BB361_626 Depth=1
	v_and_b32_e32 v19, 7, v20
	v_mov_b32_e32 v20, v10
	v_lshrrev_b32_e32 v101, 3, v102
	s_mov_b32 s18, exec_lo
	v_cmpx_gt_u32_e32 8, v102
; %bb.1038:                             ;   in Loop: Header=BB361_626 Depth=1
	v_ffbh_u32_e32 v101, v19
	v_min_u32_e32 v101, 32, v101
	v_subrev_nc_u32_e32 v102, 28, v101
	v_sub_nc_u32_e32 v101, 29, v101
	v_lshlrev_b64 v[19:20], v102, v[19:20]
	v_and_b32_e32 v19, 7, v19
; %bb.1039:                             ;   in Loop: Header=BB361_626 Depth=1
	s_or_b32 exec_lo, exec_lo, s18
	v_lshlrev_b32_e32 v9, 16, v9
	v_lshlrev_b32_e32 v19, 20, v19
	v_lshl_add_u32 v20, v101, 23, 0x3c000000
	v_and_b32_e32 v9, 0x80000000, v9
	v_or3_b32 v19, v19, v9, v20
.LBB361_1040:                           ;   in Loop: Header=BB361_626 Depth=1
	s_or_b32 exec_lo, exec_lo, s17
.LBB361_1041:                           ;   in Loop: Header=BB361_626 Depth=1
	s_or_b32 exec_lo, exec_lo, s16
.LBB361_1042:                           ;   in Loop: Header=BB361_626 Depth=1
	s_or_b32 exec_lo, exec_lo, s15
	v_and_b32_sdwa v9, v18, v40 dst_sel:DWORD dst_unused:UNUSED_PAD src0_sel:WORD_1 src1_sel:DWORD
	v_mov_b32_e32 v20, 0
	v_mov_b32_e32 v101, 0
	s_mov_b32 s15, exec_lo
	v_cmpx_ne_u16_e32 0, v9
	s_cbranch_execz .LBB361_1050
; %bb.1043:                             ;   in Loop: Header=BB361_626 Depth=1
	v_bfrev_b32_e32 v101, 1
	s_mov_b32 s16, exec_lo
	v_cmpx_ne_u16_e32 0x80, v9
	s_cbranch_execz .LBB361_1049
; %bb.1044:                             ;   in Loop: Header=BB361_626 Depth=1
	v_bfe_u32 v102, v18, 16, 7
	v_mov_b32_e32 v101, 0x7f800001
	s_mov_b32 s17, exec_lo
	v_cmpx_ne_u32_e32 0x7f, v102
	s_cbranch_execz .LBB361_1048
; %bb.1045:                             ;   in Loop: Header=BB361_626 Depth=1
	v_and_b32_sdwa v9, v18, v41 dst_sel:DWORD dst_unused:UNUSED_PAD src0_sel:WORD_1 src1_sel:DWORD
	v_lshrrev_b32_e32 v101, 3, v102
	s_mov_b32 s18, exec_lo
	v_cmpx_gt_u32_e32 8, v102
; %bb.1046:                             ;   in Loop: Header=BB361_626 Depth=1
	v_ffbh_u32_e32 v101, v9
	v_min_u32_e32 v101, 32, v101
	v_subrev_nc_u32_e32 v102, 28, v101
	v_sub_nc_u32_e32 v101, 29, v101
	v_lshlrev_b64 v[102:103], v102, v[9:10]
	v_and_b32_e32 v9, 7, v102
; %bb.1047:                             ;   in Loop: Header=BB361_626 Depth=1
	s_or_b32 exec_lo, exec_lo, s18
	v_lshlrev_b32_sdwa v102, v42, v18 dst_sel:DWORD dst_unused:UNUSED_PAD src0_sel:DWORD src1_sel:WORD_1
	v_lshlrev_b32_e32 v9, 20, v9
	v_lshl_add_u32 v101, v101, 23, 0x3c000000
	v_and_b32_e32 v102, 0x80000000, v102
	v_or3_b32 v101, v9, v102, v101
.LBB361_1048:                           ;   in Loop: Header=BB361_626 Depth=1
	s_or_b32 exec_lo, exec_lo, s17
.LBB361_1049:                           ;   in Loop: Header=BB361_626 Depth=1
	s_or_b32 exec_lo, exec_lo, s16
.LBB361_1050:                           ;   in Loop: Header=BB361_626 Depth=1
	s_or_b32 exec_lo, exec_lo, s15
	s_mov_b32 s15, exec_lo
	v_cmpx_lt_u64_e64 s[2:3], v[17:18]
	s_cbranch_execz .LBB361_1058
; %bb.1051:                             ;   in Loop: Header=BB361_626 Depth=1
	v_cmp_ne_u32_sdwa s0, v18, v38 src0_sel:BYTE_3 src1_sel:DWORD
	v_bfrev_b32_e32 v20, 1
	s_and_saveexec_b32 s16, s0
	s_cbranch_execz .LBB361_1057
; %bb.1052:                             ;   in Loop: Header=BB361_626 Depth=1
	v_bfe_u32 v102, v18, 24, 7
	v_mov_b32_e32 v20, 0x7f800001
	s_mov_b32 s17, exec_lo
	v_cmpx_ne_u32_e32 0x7f, v102
	s_cbranch_execz .LBB361_1056
; %bb.1053:                             ;   in Loop: Header=BB361_626 Depth=1
	v_and_b32_sdwa v9, v18, v41 dst_sel:DWORD dst_unused:UNUSED_PAD src0_sel:BYTE_3 src1_sel:DWORD
	v_lshrrev_b32_e32 v17, 3, v102
	s_mov_b32 s18, exec_lo
	v_cmpx_gt_u32_e32 8, v102
; %bb.1054:                             ;   in Loop: Header=BB361_626 Depth=1
	v_ffbh_u32_e32 v17, v9
	v_min_u32_e32 v17, 32, v17
	v_subrev_nc_u32_e32 v20, 28, v17
	v_sub_nc_u32_e32 v17, 29, v17
	v_lshlrev_b64 v[102:103], v20, v[9:10]
	v_and_b32_e32 v9, 7, v102
; %bb.1055:                             ;   in Loop: Header=BB361_626 Depth=1
	s_or_b32 exec_lo, exec_lo, s18
	v_lshlrev_b32_sdwa v18, v42, v18 dst_sel:DWORD dst_unused:UNUSED_PAD src0_sel:DWORD src1_sel:BYTE_3
	v_lshlrev_b32_e32 v9, 20, v9
	v_lshl_add_u32 v17, v17, 23, 0x3c000000
	v_and_b32_e32 v18, 0x80000000, v18
	v_or3_b32 v20, v9, v18, v17
.LBB361_1056:                           ;   in Loop: Header=BB361_626 Depth=1
	s_or_b32 exec_lo, exec_lo, s17
.LBB361_1057:                           ;   in Loop: Header=BB361_626 Depth=1
	s_or_b32 exec_lo, exec_lo, s16
.LBB361_1058:                           ;   in Loop: Header=BB361_626 Depth=1
	s_or_b32 exec_lo, exec_lo, s15
	v_mul_f32_e32 v9, s5, v19
	v_mul_f32_e32 v17, s5, v100
	v_mul_f32_e32 v19, s5, v96
	v_mul_f32_e32 v18, s5, v99
	v_mul_f32_e32 v20, s5, v20
	v_bfe_u32 v96, v9, 16, 1
	v_or_b32_e32 v99, 0x400000, v9
	v_bfe_u32 v100, v17, 16, 1
	v_cmp_u_f32_e64 s0, v9, v9
	v_or_b32_e32 v102, 0x400000, v17
	v_add3_u32 v96, v96, v9, 0x7fff
	v_bfe_u32 v103, v18, 16, 1
	v_add3_u32 v100, v100, v17, 0x7fff
	v_or_b32_e32 v104, 0x400000, v18
	v_bfe_u32 v105, v19, 16, 1
	v_cndmask_b32_e64 v9, v96, v99, s0
	v_cmp_u_f32_e64 s0, v17, v17
	v_add3_u32 v103, v103, v18, 0x7fff
	v_lshrrev_b32_e32 v96, 16, v9
	v_cndmask_b32_e64 v17, v100, v102, s0
	v_cmp_u_f32_e64 s0, v18, v18
	v_mul_f32_e32 v9, s5, v97
	v_add3_u32 v100, v105, v19, 0x7fff
	v_or_b32_e32 v102, 0x400000, v19
	v_lshrrev_b32_e32 v97, 16, v17
	v_cndmask_b32_e64 v18, v103, v104, s0
	v_bfe_u32 v17, v9, 16, 1
	v_cmp_u_f32_e64 s0, v19, v19
	v_mul_f32_e32 v19, s5, v98
	v_mul_f32_e32 v98, s5, v101
	v_lshrrev_b32_e32 v99, 16, v18
	v_add3_u32 v17, v17, v9, 0x7fff
	v_cndmask_b32_e64 v18, v100, v102, s0
	v_or_b32_e32 v100, 0x400000, v9
	v_bfe_u32 v101, v19, 16, 1
	v_cmp_u_f32_e64 s0, v9, v9
	v_bfe_u32 v102, v98, 16, 1
	v_or_b32_e32 v103, 0x400000, v98
	v_or_b32_e32 v104, 0x400000, v20
	v_cndmask_b32_e64 v9, v17, v100, s0
	v_add3_u32 v100, v101, v19, 0x7fff
	v_or_b32_e32 v101, 0x400000, v19
	v_cmp_u_f32_e64 s0, v19, v19
	v_bfe_u32 v17, v20, 16, 1
	v_add3_u32 v102, v102, v98, 0x7fff
	v_cndmask_b32_e64 v19, v100, v101, s0
	v_cmp_u_f32_e64 s0, v98, v98
	v_add3_u32 v17, v17, v20, 0x7fff
	v_lshrrev_b32_e32 v101, 16, v18
	v_cndmask_b32_e64 v98, v102, v103, s0
	v_cmp_u_f32_e64 s0, v20, v20
	v_lshrrev_b32_e32 v103, 16, v9
	v_lshrrev_b32_e32 v102, 16, v19
	v_lshrrev_b32_e32 v98, 16, v98
	v_cndmask_b32_e64 v17, v17, v104, s0
	v_lshrrev_b32_e32 v100, 16, v17
	s_and_saveexec_b32 s15, vcc_lo
	s_cbranch_execz .LBB361_1060
; %bb.1059:                             ;   in Loop: Header=BB361_626 Depth=1
	v_cmp_gt_i32_e64 s0, s11, v60
	v_cndmask_b32_e64 v102, 0, v102, s0
	v_cmp_gt_i32_e64 s0, s11, v66
	v_cndmask_b32_e64 v103, 0, v103, s0
	;; [unrolled: 2-line block ×8, first 2 shown]
.LBB361_1060:                           ;   in Loop: Header=BB361_626 Depth=1
	s_or_b32 exec_lo, exec_lo, s15
	global_load_dwordx2 v[17:18], v[15:16], off offset:1792
	v_mov_b32_e32 v104, 0
	v_mov_b32_e32 v106, 0
	s_waitcnt vmcnt(0)
	v_cmp_ne_u16_sdwa s0, v17, v10 src0_sel:BYTE_0 src1_sel:DWORD
	s_and_saveexec_b32 s15, s0
	s_cbranch_execz .LBB361_1066
; %bb.1061:                             ;   in Loop: Header=BB361_626 Depth=1
	v_cmp_ne_u16_sdwa s0, v17, v38 src0_sel:BYTE_0 src1_sel:DWORD
	v_bfrev_b32_e32 v106, 1
	s_and_saveexec_b32 s16, s0
	s_cbranch_execz .LBB361_1065
; %bb.1062:                             ;   in Loop: Header=BB361_626 Depth=1
	v_and_b32_e32 v9, 0x7f, v17
	v_mov_b32_e32 v106, 0x7f800001
	s_mov_b32 s17, exec_lo
	v_cmpx_ne_u32_e32 0x7f, v9
	s_cbranch_execz .LBB361_1064
; %bb.1063:                             ;   in Loop: Header=BB361_626 Depth=1
	v_and_b32_e32 v19, 7, v17
	v_lshrrev_b32_e32 v20, 3, v9
	v_cmp_gt_u32_e64 s0, 8, v9
	v_ffbh_u32_e32 v19, v19
	v_min_u32_e32 v19, 32, v19
	v_subrev_nc_u32_e32 v105, 28, v19
	v_sub_nc_u32_e32 v19, 29, v19
	v_cndmask_b32_e64 v9, v20, v19, s0
	v_cndmask_b32_e64 v19, 0, v105, s0
	v_lshl_add_u32 v9, v9, 23, 0x3c000000
	v_lshlrev_b64 v[19:20], v19, v[17:18]
	v_lshlrev_b32_e32 v20, 24, v17
	v_lshlrev_b32_e32 v19, 20, v19
	v_and_b32_e32 v20, 0x80000000, v20
	v_and_b32_e32 v19, 0x700000, v19
	v_or3_b32 v106, v19, v20, v9
.LBB361_1064:                           ;   in Loop: Header=BB361_626 Depth=1
	s_or_b32 exec_lo, exec_lo, s17
.LBB361_1065:                           ;   in Loop: Header=BB361_626 Depth=1
	s_or_b32 exec_lo, exec_lo, s16
.LBB361_1066:                           ;   in Loop: Header=BB361_626 Depth=1
	s_or_b32 exec_lo, exec_lo, s15
	v_cmp_ne_u16_sdwa s0, v17, v10 src0_sel:BYTE_1 src1_sel:DWORD
	s_and_saveexec_b32 s15, s0
	s_cbranch_execz .LBB361_1074
; %bb.1067:                             ;   in Loop: Header=BB361_626 Depth=1
	v_cmp_ne_u16_sdwa s0, v17, v38 src0_sel:BYTE_1 src1_sel:DWORD
	v_bfrev_b32_e32 v104, 1
	s_and_saveexec_b32 s16, s0
	s_cbranch_execz .LBB361_1073
; %bb.1068:                             ;   in Loop: Header=BB361_626 Depth=1
	v_and_b32_sdwa v9, v39, v17 dst_sel:DWORD dst_unused:UNUSED_PAD src0_sel:DWORD src1_sel:BYTE_1
	v_mov_b32_e32 v104, 0x7f800001
	s_mov_b32 s17, exec_lo
	v_and_b32_e32 v20, 0x7f, v9
	v_cmpx_ne_u32_e32 0x7f, v20
	s_cbranch_execz .LBB361_1072
; %bb.1069:                             ;   in Loop: Header=BB361_626 Depth=1
	v_and_b32_e32 v9, 7, v9
	v_lshrrev_b32_e32 v19, 3, v20
	s_mov_b32 s18, exec_lo
	v_cmpx_gt_u32_e32 8, v20
; %bb.1070:                             ;   in Loop: Header=BB361_626 Depth=1
	v_ffbh_u32_e32 v19, v9
	v_min_u32_e32 v19, 32, v19
	v_subrev_nc_u32_e32 v20, 28, v19
	v_sub_nc_u32_e32 v19, 29, v19
	v_lshlrev_b64 v[104:105], v20, v[9:10]
	v_and_b32_e32 v9, 7, v104
; %bb.1071:                             ;   in Loop: Header=BB361_626 Depth=1
	s_or_b32 exec_lo, exec_lo, s18
	v_lshlrev_b32_e32 v20, 16, v17
	v_lshlrev_b32_e32 v9, 20, v9
	v_lshl_add_u32 v19, v19, 23, 0x3c000000
	v_and_b32_e32 v20, 0x80000000, v20
	v_or3_b32 v104, v9, v20, v19
.LBB361_1072:                           ;   in Loop: Header=BB361_626 Depth=1
	s_or_b32 exec_lo, exec_lo, s17
.LBB361_1073:                           ;   in Loop: Header=BB361_626 Depth=1
	s_or_b32 exec_lo, exec_lo, s16
.LBB361_1074:                           ;   in Loop: Header=BB361_626 Depth=1
	s_or_b32 exec_lo, exec_lo, s15
	v_and_b32_sdwa v9, v17, v40 dst_sel:DWORD dst_unused:UNUSED_PAD src0_sel:WORD_1 src1_sel:DWORD
	v_mov_b32_e32 v107, 0
	v_mov_b32_e32 v105, 0
	s_mov_b32 s15, exec_lo
	v_cmpx_ne_u16_e32 0, v9
	s_cbranch_execz .LBB361_1082
; %bb.1075:                             ;   in Loop: Header=BB361_626 Depth=1
	v_bfrev_b32_e32 v105, 1
	s_mov_b32 s16, exec_lo
	v_cmpx_ne_u16_e32 0x80, v9
	s_cbranch_execz .LBB361_1081
; %bb.1076:                             ;   in Loop: Header=BB361_626 Depth=1
	v_bfe_u32 v20, v17, 16, 7
	v_mov_b32_e32 v105, 0x7f800001
	s_mov_b32 s17, exec_lo
	v_cmpx_ne_u32_e32 0x7f, v20
	s_cbranch_execz .LBB361_1080
; %bb.1077:                             ;   in Loop: Header=BB361_626 Depth=1
	v_and_b32_sdwa v9, v17, v41 dst_sel:DWORD dst_unused:UNUSED_PAD src0_sel:WORD_1 src1_sel:DWORD
	v_lshrrev_b32_e32 v19, 3, v20
	s_mov_b32 s18, exec_lo
	v_cmpx_gt_u32_e32 8, v20
; %bb.1078:                             ;   in Loop: Header=BB361_626 Depth=1
	v_ffbh_u32_e32 v19, v9
	v_min_u32_e32 v19, 32, v19
	v_subrev_nc_u32_e32 v20, 28, v19
	v_sub_nc_u32_e32 v19, 29, v19
	v_lshlrev_b64 v[108:109], v20, v[9:10]
	v_and_b32_e32 v9, 7, v108
; %bb.1079:                             ;   in Loop: Header=BB361_626 Depth=1
	s_or_b32 exec_lo, exec_lo, s18
	v_lshlrev_b32_sdwa v20, v42, v17 dst_sel:DWORD dst_unused:UNUSED_PAD src0_sel:DWORD src1_sel:WORD_1
	v_lshlrev_b32_e32 v9, 20, v9
	v_lshl_add_u32 v19, v19, 23, 0x3c000000
	v_and_b32_e32 v20, 0x80000000, v20
	v_or3_b32 v105, v9, v20, v19
.LBB361_1080:                           ;   in Loop: Header=BB361_626 Depth=1
	s_or_b32 exec_lo, exec_lo, s17
.LBB361_1081:                           ;   in Loop: Header=BB361_626 Depth=1
	s_or_b32 exec_lo, exec_lo, s16
.LBB361_1082:                           ;   in Loop: Header=BB361_626 Depth=1
	s_or_b32 exec_lo, exec_lo, s15
	s_mov_b32 s15, exec_lo
	v_cmpx_lt_u32_e32 0xffffff, v17
	s_cbranch_execz .LBB361_1090
; %bb.1083:                             ;   in Loop: Header=BB361_626 Depth=1
	v_cmp_ne_u32_sdwa s0, v17, v38 src0_sel:BYTE_3 src1_sel:DWORD
	v_bfrev_b32_e32 v107, 1
	s_and_saveexec_b32 s16, s0
	s_cbranch_execz .LBB361_1089
; %bb.1084:                             ;   in Loop: Header=BB361_626 Depth=1
	v_bfe_u32 v20, v17, 24, 7
	v_mov_b32_e32 v107, 0x7f800001
	s_mov_b32 s17, exec_lo
	v_cmpx_ne_u32_e32 0x7f, v20
	s_cbranch_execz .LBB361_1088
; %bb.1085:                             ;   in Loop: Header=BB361_626 Depth=1
	v_and_b32_sdwa v9, v17, v41 dst_sel:DWORD dst_unused:UNUSED_PAD src0_sel:BYTE_3 src1_sel:DWORD
	v_lshrrev_b32_e32 v19, 3, v20
	s_mov_b32 s18, exec_lo
	v_cmpx_gt_u32_e32 8, v20
; %bb.1086:                             ;   in Loop: Header=BB361_626 Depth=1
	v_ffbh_u32_e32 v19, v9
	v_min_u32_e32 v19, 32, v19
	v_subrev_nc_u32_e32 v20, 28, v19
	v_sub_nc_u32_e32 v19, 29, v19
	v_lshlrev_b64 v[107:108], v20, v[9:10]
	v_and_b32_e32 v9, 7, v107
; %bb.1087:                             ;   in Loop: Header=BB361_626 Depth=1
	s_or_b32 exec_lo, exec_lo, s18
	v_lshlrev_b32_sdwa v20, v42, v17 dst_sel:DWORD dst_unused:UNUSED_PAD src0_sel:DWORD src1_sel:BYTE_3
	v_lshlrev_b32_e32 v9, 20, v9
	v_lshl_add_u32 v19, v19, 23, 0x3c000000
	v_and_b32_e32 v20, 0x80000000, v20
	v_or3_b32 v107, v9, v20, v19
.LBB361_1088:                           ;   in Loop: Header=BB361_626 Depth=1
	s_or_b32 exec_lo, exec_lo, s17
.LBB361_1089:                           ;   in Loop: Header=BB361_626 Depth=1
	s_or_b32 exec_lo, exec_lo, s16
.LBB361_1090:                           ;   in Loop: Header=BB361_626 Depth=1
	s_or_b32 exec_lo, exec_lo, s15
	v_mov_b32_e32 v9, v18
	v_cmp_ne_u16_sdwa s0, v18, v10 src0_sel:BYTE_0 src1_sel:DWORD
	v_mov_b32_e32 v19, 0
	v_mov_b32_e32 v108, 0
	s_and_saveexec_b32 s15, s0
	s_cbranch_execz .LBB361_1096
; %bb.1091:                             ;   in Loop: Header=BB361_626 Depth=1
	v_cmp_ne_u16_sdwa s0, v18, v38 src0_sel:BYTE_0 src1_sel:DWORD
	v_bfrev_b32_e32 v108, 1
	s_and_saveexec_b32 s16, s0
	s_cbranch_execz .LBB361_1095
; %bb.1092:                             ;   in Loop: Header=BB361_626 Depth=1
	v_and_b32_e32 v20, 0x7f, v18
	v_mov_b32_e32 v108, 0x7f800001
	s_mov_b32 s17, exec_lo
	v_cmpx_ne_u32_e32 0x7f, v20
	s_cbranch_execz .LBB361_1094
; %bb.1093:                             ;   in Loop: Header=BB361_626 Depth=1
	v_and_b32_e32 v108, 7, v18
	v_lshrrev_b32_e32 v109, 3, v20
	v_cmp_gt_u32_e64 s0, 8, v20
	v_ffbh_u32_e32 v108, v108
	v_min_u32_e32 v108, 32, v108
	v_subrev_nc_u32_e32 v110, 28, v108
	v_sub_nc_u32_e32 v108, 29, v108
	v_cndmask_b32_e64 v20, v109, v108, s0
	v_cndmask_b32_e64 v108, 0, v110, s0
	v_lshl_add_u32 v20, v20, 23, 0x3c000000
	v_lshlrev_b64 v[108:109], v108, v[9:10]
	v_lshlrev_b32_e32 v109, 24, v9
	v_lshlrev_b32_e32 v108, 20, v108
	v_and_b32_e32 v109, 0x80000000, v109
	v_and_b32_e32 v108, 0x700000, v108
	v_or3_b32 v108, v108, v109, v20
.LBB361_1094:                           ;   in Loop: Header=BB361_626 Depth=1
	s_or_b32 exec_lo, exec_lo, s17
.LBB361_1095:                           ;   in Loop: Header=BB361_626 Depth=1
	s_or_b32 exec_lo, exec_lo, s16
.LBB361_1096:                           ;   in Loop: Header=BB361_626 Depth=1
	s_or_b32 exec_lo, exec_lo, s15
	v_cmp_ne_u16_sdwa s0, v9, v10 src0_sel:BYTE_1 src1_sel:DWORD
	s_and_saveexec_b32 s15, s0
	s_cbranch_execz .LBB361_1104
; %bb.1097:                             ;   in Loop: Header=BB361_626 Depth=1
	v_cmp_ne_u16_sdwa s0, v9, v38 src0_sel:BYTE_1 src1_sel:DWORD
	v_bfrev_b32_e32 v19, 1
	s_and_saveexec_b32 s16, s0
	s_cbranch_execz .LBB361_1103
; %bb.1098:                             ;   in Loop: Header=BB361_626 Depth=1
	v_and_b32_sdwa v20, v39, v9 dst_sel:DWORD dst_unused:UNUSED_PAD src0_sel:DWORD src1_sel:BYTE_1
	v_mov_b32_e32 v19, 0x7f800001
	s_mov_b32 s17, exec_lo
	v_and_b32_e32 v110, 0x7f, v20
	v_cmpx_ne_u32_e32 0x7f, v110
	s_cbranch_execz .LBB361_1102
; %bb.1099:                             ;   in Loop: Header=BB361_626 Depth=1
	v_and_b32_e32 v19, 7, v20
	v_mov_b32_e32 v20, v10
	v_lshrrev_b32_e32 v109, 3, v110
	s_mov_b32 s18, exec_lo
	v_cmpx_gt_u32_e32 8, v110
; %bb.1100:                             ;   in Loop: Header=BB361_626 Depth=1
	v_ffbh_u32_e32 v109, v19
	v_min_u32_e32 v109, 32, v109
	v_subrev_nc_u32_e32 v110, 28, v109
	v_sub_nc_u32_e32 v109, 29, v109
	v_lshlrev_b64 v[19:20], v110, v[19:20]
	v_and_b32_e32 v19, 7, v19
; %bb.1101:                             ;   in Loop: Header=BB361_626 Depth=1
	s_or_b32 exec_lo, exec_lo, s18
	v_lshlrev_b32_e32 v9, 16, v9
	v_lshlrev_b32_e32 v19, 20, v19
	v_lshl_add_u32 v20, v109, 23, 0x3c000000
	v_and_b32_e32 v9, 0x80000000, v9
	v_or3_b32 v19, v19, v9, v20
.LBB361_1102:                           ;   in Loop: Header=BB361_626 Depth=1
	s_or_b32 exec_lo, exec_lo, s17
.LBB361_1103:                           ;   in Loop: Header=BB361_626 Depth=1
	s_or_b32 exec_lo, exec_lo, s16
.LBB361_1104:                           ;   in Loop: Header=BB361_626 Depth=1
	s_or_b32 exec_lo, exec_lo, s15
	v_and_b32_sdwa v9, v18, v40 dst_sel:DWORD dst_unused:UNUSED_PAD src0_sel:WORD_1 src1_sel:DWORD
	v_mov_b32_e32 v20, 0
	v_mov_b32_e32 v109, 0
	s_mov_b32 s15, exec_lo
	v_cmpx_ne_u16_e32 0, v9
	s_cbranch_execz .LBB361_1112
; %bb.1105:                             ;   in Loop: Header=BB361_626 Depth=1
	v_bfrev_b32_e32 v109, 1
	s_mov_b32 s16, exec_lo
	v_cmpx_ne_u16_e32 0x80, v9
	s_cbranch_execz .LBB361_1111
; %bb.1106:                             ;   in Loop: Header=BB361_626 Depth=1
	v_bfe_u32 v110, v18, 16, 7
	v_mov_b32_e32 v109, 0x7f800001
	s_mov_b32 s17, exec_lo
	v_cmpx_ne_u32_e32 0x7f, v110
	s_cbranch_execz .LBB361_1110
; %bb.1107:                             ;   in Loop: Header=BB361_626 Depth=1
	v_and_b32_sdwa v9, v18, v41 dst_sel:DWORD dst_unused:UNUSED_PAD src0_sel:WORD_1 src1_sel:DWORD
	v_lshrrev_b32_e32 v109, 3, v110
	s_mov_b32 s18, exec_lo
	v_cmpx_gt_u32_e32 8, v110
; %bb.1108:                             ;   in Loop: Header=BB361_626 Depth=1
	v_ffbh_u32_e32 v109, v9
	v_min_u32_e32 v109, 32, v109
	v_subrev_nc_u32_e32 v110, 28, v109
	v_sub_nc_u32_e32 v109, 29, v109
	v_lshlrev_b64 v[110:111], v110, v[9:10]
	v_and_b32_e32 v9, 7, v110
; %bb.1109:                             ;   in Loop: Header=BB361_626 Depth=1
	s_or_b32 exec_lo, exec_lo, s18
	v_lshlrev_b32_sdwa v110, v42, v18 dst_sel:DWORD dst_unused:UNUSED_PAD src0_sel:DWORD src1_sel:WORD_1
	v_lshlrev_b32_e32 v9, 20, v9
	v_lshl_add_u32 v109, v109, 23, 0x3c000000
	v_and_b32_e32 v110, 0x80000000, v110
	v_or3_b32 v109, v9, v110, v109
.LBB361_1110:                           ;   in Loop: Header=BB361_626 Depth=1
	s_or_b32 exec_lo, exec_lo, s17
.LBB361_1111:                           ;   in Loop: Header=BB361_626 Depth=1
	s_or_b32 exec_lo, exec_lo, s16
.LBB361_1112:                           ;   in Loop: Header=BB361_626 Depth=1
	s_or_b32 exec_lo, exec_lo, s15
	s_mov_b32 s15, exec_lo
	v_cmpx_lt_u64_e64 s[2:3], v[17:18]
	s_cbranch_execz .LBB361_1120
; %bb.1113:                             ;   in Loop: Header=BB361_626 Depth=1
	v_cmp_ne_u32_sdwa s0, v18, v38 src0_sel:BYTE_3 src1_sel:DWORD
	v_bfrev_b32_e32 v20, 1
	s_and_saveexec_b32 s16, s0
	s_cbranch_execz .LBB361_1119
; %bb.1114:                             ;   in Loop: Header=BB361_626 Depth=1
	v_bfe_u32 v110, v18, 24, 7
	v_mov_b32_e32 v20, 0x7f800001
	s_mov_b32 s17, exec_lo
	v_cmpx_ne_u32_e32 0x7f, v110
	s_cbranch_execz .LBB361_1118
; %bb.1115:                             ;   in Loop: Header=BB361_626 Depth=1
	v_and_b32_sdwa v9, v18, v41 dst_sel:DWORD dst_unused:UNUSED_PAD src0_sel:BYTE_3 src1_sel:DWORD
	v_lshrrev_b32_e32 v17, 3, v110
	s_mov_b32 s18, exec_lo
	v_cmpx_gt_u32_e32 8, v110
; %bb.1116:                             ;   in Loop: Header=BB361_626 Depth=1
	v_ffbh_u32_e32 v17, v9
	v_min_u32_e32 v17, 32, v17
	v_subrev_nc_u32_e32 v20, 28, v17
	v_sub_nc_u32_e32 v17, 29, v17
	v_lshlrev_b64 v[110:111], v20, v[9:10]
	v_and_b32_e32 v9, 7, v110
; %bb.1117:                             ;   in Loop: Header=BB361_626 Depth=1
	s_or_b32 exec_lo, exec_lo, s18
	v_lshlrev_b32_sdwa v18, v42, v18 dst_sel:DWORD dst_unused:UNUSED_PAD src0_sel:DWORD src1_sel:BYTE_3
	v_lshlrev_b32_e32 v9, 20, v9
	v_lshl_add_u32 v17, v17, 23, 0x3c000000
	v_and_b32_e32 v18, 0x80000000, v18
	v_or3_b32 v20, v9, v18, v17
.LBB361_1118:                           ;   in Loop: Header=BB361_626 Depth=1
	s_or_b32 exec_lo, exec_lo, s17
.LBB361_1119:                           ;   in Loop: Header=BB361_626 Depth=1
	s_or_b32 exec_lo, exec_lo, s16
.LBB361_1120:                           ;   in Loop: Header=BB361_626 Depth=1
	s_or_b32 exec_lo, exec_lo, s15
	v_mul_f32_e32 v9, s5, v19
	v_mul_f32_e32 v17, s5, v108
	;; [unrolled: 1-line block ×5, first 2 shown]
	v_bfe_u32 v105, v9, 16, 1
	v_or_b32_e32 v107, 0x400000, v9
	v_bfe_u32 v108, v17, 16, 1
	v_cmp_u_f32_e64 s0, v9, v9
	v_or_b32_e32 v110, 0x400000, v17
	v_add3_u32 v105, v105, v9, 0x7fff
	v_bfe_u32 v111, v18, 16, 1
	v_add3_u32 v108, v108, v17, 0x7fff
	v_or_b32_e32 v112, 0x400000, v18
	v_bfe_u32 v113, v19, 16, 1
	v_cndmask_b32_e64 v9, v105, v107, s0
	v_cmp_u_f32_e64 s0, v17, v17
	v_add3_u32 v111, v111, v18, 0x7fff
	v_lshrrev_b32_e32 v105, 16, v9
	v_cndmask_b32_e64 v17, v108, v110, s0
	v_cmp_u_f32_e64 s0, v18, v18
	v_mul_f32_e32 v9, s5, v104
	v_add3_u32 v108, v113, v19, 0x7fff
	v_or_b32_e32 v110, 0x400000, v19
	v_lshrrev_b32_e32 v104, 16, v17
	v_cndmask_b32_e64 v18, v111, v112, s0
	v_bfe_u32 v17, v9, 16, 1
	v_cmp_u_f32_e64 s0, v19, v19
	v_mul_f32_e32 v19, s5, v106
	v_mul_f32_e32 v106, s5, v109
	v_lshrrev_b32_e32 v107, 16, v18
	v_add3_u32 v17, v17, v9, 0x7fff
	v_cndmask_b32_e64 v18, v108, v110, s0
	v_or_b32_e32 v108, 0x400000, v9
	v_bfe_u32 v109, v19, 16, 1
	v_cmp_u_f32_e64 s0, v9, v9
	v_bfe_u32 v110, v106, 16, 1
	v_or_b32_e32 v111, 0x400000, v106
	v_or_b32_e32 v112, 0x400000, v20
	v_cndmask_b32_e64 v9, v17, v108, s0
	v_add3_u32 v108, v109, v19, 0x7fff
	v_or_b32_e32 v109, 0x400000, v19
	v_cmp_u_f32_e64 s0, v19, v19
	v_bfe_u32 v17, v20, 16, 1
	v_add3_u32 v110, v110, v106, 0x7fff
	v_cndmask_b32_e64 v19, v108, v109, s0
	v_cmp_u_f32_e64 s0, v106, v106
	v_add3_u32 v17, v17, v20, 0x7fff
	v_lshrrev_b32_e32 v109, 16, v18
	v_cndmask_b32_e64 v106, v110, v111, s0
	v_cmp_u_f32_e64 s0, v20, v20
	v_lshrrev_b32_e32 v111, 16, v9
	v_lshrrev_b32_e32 v110, 16, v19
	;; [unrolled: 1-line block ×3, first 2 shown]
	v_cndmask_b32_e64 v17, v17, v112, s0
	v_lshrrev_b32_e32 v108, 16, v17
	s_and_saveexec_b32 s15, vcc_lo
	s_cbranch_execz .LBB361_1122
; %bb.1121:                             ;   in Loop: Header=BB361_626 Depth=1
	v_cmp_gt_i32_e64 s0, s11, v60
	v_cndmask_b32_e64 v110, 0, v110, s0
	v_cmp_gt_i32_e64 s0, s11, v66
	v_cndmask_b32_e64 v111, 0, v111, s0
	;; [unrolled: 2-line block ×8, first 2 shown]
.LBB361_1122:                           ;   in Loop: Header=BB361_626 Depth=1
	s_or_b32 exec_lo, exec_lo, s15
	v_add_co_u32 v15, s0, 0x800, v15
	v_add_co_ci_u32_e64 v16, null, 0, v16, s0
	v_mov_b32_e32 v114, 0
	v_mov_b32_e32 v112, 0
	global_load_dwordx2 v[17:18], v[15:16], off
	s_waitcnt vmcnt(0)
	v_cmp_ne_u16_sdwa s0, v17, v10 src0_sel:BYTE_0 src1_sel:DWORD
	s_and_saveexec_b32 s15, s0
	s_cbranch_execz .LBB361_1128
; %bb.1123:                             ;   in Loop: Header=BB361_626 Depth=1
	v_cmp_ne_u16_sdwa s0, v17, v38 src0_sel:BYTE_0 src1_sel:DWORD
	v_bfrev_b32_e32 v112, 1
	s_and_saveexec_b32 s16, s0
	s_cbranch_execz .LBB361_1127
; %bb.1124:                             ;   in Loop: Header=BB361_626 Depth=1
	v_and_b32_e32 v9, 0x7f, v17
	v_mov_b32_e32 v112, 0x7f800001
	s_mov_b32 s17, exec_lo
	v_cmpx_ne_u32_e32 0x7f, v9
	s_cbranch_execz .LBB361_1126
; %bb.1125:                             ;   in Loop: Header=BB361_626 Depth=1
	v_and_b32_e32 v19, 7, v17
	v_lshrrev_b32_e32 v20, 3, v9
	v_cmp_gt_u32_e64 s0, 8, v9
	v_ffbh_u32_e32 v19, v19
	v_min_u32_e32 v19, 32, v19
	v_subrev_nc_u32_e32 v112, 28, v19
	v_sub_nc_u32_e32 v19, 29, v19
	v_cndmask_b32_e64 v9, v20, v19, s0
	v_cndmask_b32_e64 v19, 0, v112, s0
	v_lshl_add_u32 v9, v9, 23, 0x3c000000
	v_lshlrev_b64 v[19:20], v19, v[17:18]
	v_lshlrev_b32_e32 v20, 24, v17
	v_lshlrev_b32_e32 v19, 20, v19
	v_and_b32_e32 v20, 0x80000000, v20
	v_and_b32_e32 v19, 0x700000, v19
	v_or3_b32 v112, v19, v20, v9
.LBB361_1126:                           ;   in Loop: Header=BB361_626 Depth=1
	s_or_b32 exec_lo, exec_lo, s17
.LBB361_1127:                           ;   in Loop: Header=BB361_626 Depth=1
	s_or_b32 exec_lo, exec_lo, s16
.LBB361_1128:                           ;   in Loop: Header=BB361_626 Depth=1
	s_or_b32 exec_lo, exec_lo, s15
	v_cmp_ne_u16_sdwa s0, v17, v10 src0_sel:BYTE_1 src1_sel:DWORD
	s_and_saveexec_b32 s15, s0
	s_cbranch_execz .LBB361_1136
; %bb.1129:                             ;   in Loop: Header=BB361_626 Depth=1
	v_cmp_ne_u16_sdwa s0, v17, v38 src0_sel:BYTE_1 src1_sel:DWORD
	v_bfrev_b32_e32 v114, 1
	s_and_saveexec_b32 s16, s0
	s_cbranch_execz .LBB361_1135
; %bb.1130:                             ;   in Loop: Header=BB361_626 Depth=1
	v_and_b32_sdwa v9, v39, v17 dst_sel:DWORD dst_unused:UNUSED_PAD src0_sel:DWORD src1_sel:BYTE_1
	v_mov_b32_e32 v114, 0x7f800001
	s_mov_b32 s17, exec_lo
	v_and_b32_e32 v20, 0x7f, v9
	v_cmpx_ne_u32_e32 0x7f, v20
	s_cbranch_execz .LBB361_1134
; %bb.1131:                             ;   in Loop: Header=BB361_626 Depth=1
	v_and_b32_e32 v9, 7, v9
	v_lshrrev_b32_e32 v19, 3, v20
	s_mov_b32 s18, exec_lo
	v_cmpx_gt_u32_e32 8, v20
; %bb.1132:                             ;   in Loop: Header=BB361_626 Depth=1
	v_ffbh_u32_e32 v19, v9
	v_min_u32_e32 v19, 32, v19
	v_subrev_nc_u32_e32 v20, 28, v19
	v_sub_nc_u32_e32 v19, 29, v19
	v_lshlrev_b64 v[113:114], v20, v[9:10]
	v_and_b32_e32 v9, 7, v113
; %bb.1133:                             ;   in Loop: Header=BB361_626 Depth=1
	s_or_b32 exec_lo, exec_lo, s18
	v_lshlrev_b32_e32 v20, 16, v17
	v_lshlrev_b32_e32 v9, 20, v9
	v_lshl_add_u32 v19, v19, 23, 0x3c000000
	v_and_b32_e32 v20, 0x80000000, v20
	v_or3_b32 v114, v9, v20, v19
.LBB361_1134:                           ;   in Loop: Header=BB361_626 Depth=1
	s_or_b32 exec_lo, exec_lo, s17
.LBB361_1135:                           ;   in Loop: Header=BB361_626 Depth=1
	s_or_b32 exec_lo, exec_lo, s16
.LBB361_1136:                           ;   in Loop: Header=BB361_626 Depth=1
	s_or_b32 exec_lo, exec_lo, s15
	v_and_b32_sdwa v9, v17, v40 dst_sel:DWORD dst_unused:UNUSED_PAD src0_sel:WORD_1 src1_sel:DWORD
	v_mov_b32_e32 v115, 0
	v_mov_b32_e32 v113, 0
	s_mov_b32 s15, exec_lo
	v_cmpx_ne_u16_e32 0, v9
	s_cbranch_execz .LBB361_1144
; %bb.1137:                             ;   in Loop: Header=BB361_626 Depth=1
	v_bfrev_b32_e32 v113, 1
	s_mov_b32 s16, exec_lo
	v_cmpx_ne_u16_e32 0x80, v9
	s_cbranch_execz .LBB361_1143
; %bb.1138:                             ;   in Loop: Header=BB361_626 Depth=1
	v_bfe_u32 v20, v17, 16, 7
	v_mov_b32_e32 v113, 0x7f800001
	s_mov_b32 s17, exec_lo
	v_cmpx_ne_u32_e32 0x7f, v20
	s_cbranch_execz .LBB361_1142
; %bb.1139:                             ;   in Loop: Header=BB361_626 Depth=1
	v_and_b32_sdwa v9, v17, v41 dst_sel:DWORD dst_unused:UNUSED_PAD src0_sel:WORD_1 src1_sel:DWORD
	v_lshrrev_b32_e32 v19, 3, v20
	s_mov_b32 s18, exec_lo
	v_cmpx_gt_u32_e32 8, v20
; %bb.1140:                             ;   in Loop: Header=BB361_626 Depth=1
	v_ffbh_u32_e32 v19, v9
	v_min_u32_e32 v19, 32, v19
	v_subrev_nc_u32_e32 v20, 28, v19
	v_sub_nc_u32_e32 v19, 29, v19
	v_lshlrev_b64 v[116:117], v20, v[9:10]
	v_and_b32_e32 v9, 7, v116
; %bb.1141:                             ;   in Loop: Header=BB361_626 Depth=1
	s_or_b32 exec_lo, exec_lo, s18
	v_lshlrev_b32_sdwa v20, v42, v17 dst_sel:DWORD dst_unused:UNUSED_PAD src0_sel:DWORD src1_sel:WORD_1
	v_lshlrev_b32_e32 v9, 20, v9
	v_lshl_add_u32 v19, v19, 23, 0x3c000000
	v_and_b32_e32 v20, 0x80000000, v20
	v_or3_b32 v113, v9, v20, v19
.LBB361_1142:                           ;   in Loop: Header=BB361_626 Depth=1
	s_or_b32 exec_lo, exec_lo, s17
.LBB361_1143:                           ;   in Loop: Header=BB361_626 Depth=1
	s_or_b32 exec_lo, exec_lo, s16
.LBB361_1144:                           ;   in Loop: Header=BB361_626 Depth=1
	s_or_b32 exec_lo, exec_lo, s15
	s_mov_b32 s15, exec_lo
	v_cmpx_lt_u32_e32 0xffffff, v17
	s_cbranch_execz .LBB361_1152
; %bb.1145:                             ;   in Loop: Header=BB361_626 Depth=1
	v_cmp_ne_u32_sdwa s0, v17, v38 src0_sel:BYTE_3 src1_sel:DWORD
	v_bfrev_b32_e32 v115, 1
	s_and_saveexec_b32 s16, s0
	s_cbranch_execz .LBB361_1151
; %bb.1146:                             ;   in Loop: Header=BB361_626 Depth=1
	v_bfe_u32 v20, v17, 24, 7
	v_mov_b32_e32 v115, 0x7f800001
	s_mov_b32 s17, exec_lo
	v_cmpx_ne_u32_e32 0x7f, v20
	s_cbranch_execz .LBB361_1150
; %bb.1147:                             ;   in Loop: Header=BB361_626 Depth=1
	v_and_b32_sdwa v9, v17, v41 dst_sel:DWORD dst_unused:UNUSED_PAD src0_sel:BYTE_3 src1_sel:DWORD
	v_lshrrev_b32_e32 v19, 3, v20
	s_mov_b32 s18, exec_lo
	v_cmpx_gt_u32_e32 8, v20
; %bb.1148:                             ;   in Loop: Header=BB361_626 Depth=1
	v_ffbh_u32_e32 v19, v9
	v_min_u32_e32 v19, 32, v19
	v_subrev_nc_u32_e32 v20, 28, v19
	v_sub_nc_u32_e32 v19, 29, v19
	v_lshlrev_b64 v[115:116], v20, v[9:10]
	v_and_b32_e32 v9, 7, v115
; %bb.1149:                             ;   in Loop: Header=BB361_626 Depth=1
	s_or_b32 exec_lo, exec_lo, s18
	v_lshlrev_b32_sdwa v20, v42, v17 dst_sel:DWORD dst_unused:UNUSED_PAD src0_sel:DWORD src1_sel:BYTE_3
	v_lshlrev_b32_e32 v9, 20, v9
	v_lshl_add_u32 v19, v19, 23, 0x3c000000
	v_and_b32_e32 v20, 0x80000000, v20
	v_or3_b32 v115, v9, v20, v19
.LBB361_1150:                           ;   in Loop: Header=BB361_626 Depth=1
	s_or_b32 exec_lo, exec_lo, s17
.LBB361_1151:                           ;   in Loop: Header=BB361_626 Depth=1
	s_or_b32 exec_lo, exec_lo, s16
.LBB361_1152:                           ;   in Loop: Header=BB361_626 Depth=1
	s_or_b32 exec_lo, exec_lo, s15
	v_mov_b32_e32 v9, v18
	v_cmp_ne_u16_sdwa s0, v18, v10 src0_sel:BYTE_0 src1_sel:DWORD
	v_mov_b32_e32 v19, 0
	v_mov_b32_e32 v116, 0
	s_and_saveexec_b32 s15, s0
	s_cbranch_execz .LBB361_1158
; %bb.1153:                             ;   in Loop: Header=BB361_626 Depth=1
	v_cmp_ne_u16_sdwa s0, v18, v38 src0_sel:BYTE_0 src1_sel:DWORD
	v_bfrev_b32_e32 v116, 1
	s_and_saveexec_b32 s16, s0
	s_cbranch_execz .LBB361_1157
; %bb.1154:                             ;   in Loop: Header=BB361_626 Depth=1
	v_and_b32_e32 v20, 0x7f, v18
	v_mov_b32_e32 v116, 0x7f800001
	s_mov_b32 s17, exec_lo
	v_cmpx_ne_u32_e32 0x7f, v20
	s_cbranch_execz .LBB361_1156
; %bb.1155:                             ;   in Loop: Header=BB361_626 Depth=1
	v_and_b32_e32 v116, 7, v18
	v_lshrrev_b32_e32 v117, 3, v20
	v_cmp_gt_u32_e64 s0, 8, v20
	v_ffbh_u32_e32 v116, v116
	v_min_u32_e32 v116, 32, v116
	v_subrev_nc_u32_e32 v118, 28, v116
	v_sub_nc_u32_e32 v116, 29, v116
	v_cndmask_b32_e64 v20, v117, v116, s0
	v_cndmask_b32_e64 v116, 0, v118, s0
	v_lshl_add_u32 v20, v20, 23, 0x3c000000
	v_lshlrev_b64 v[116:117], v116, v[9:10]
	v_lshlrev_b32_e32 v117, 24, v9
	v_lshlrev_b32_e32 v116, 20, v116
	v_and_b32_e32 v117, 0x80000000, v117
	v_and_b32_e32 v116, 0x700000, v116
	v_or3_b32 v116, v116, v117, v20
.LBB361_1156:                           ;   in Loop: Header=BB361_626 Depth=1
	s_or_b32 exec_lo, exec_lo, s17
.LBB361_1157:                           ;   in Loop: Header=BB361_626 Depth=1
	s_or_b32 exec_lo, exec_lo, s16
.LBB361_1158:                           ;   in Loop: Header=BB361_626 Depth=1
	s_or_b32 exec_lo, exec_lo, s15
	v_cmp_ne_u16_sdwa s0, v9, v10 src0_sel:BYTE_1 src1_sel:DWORD
	s_and_saveexec_b32 s15, s0
	s_cbranch_execz .LBB361_1166
; %bb.1159:                             ;   in Loop: Header=BB361_626 Depth=1
	v_cmp_ne_u16_sdwa s0, v9, v38 src0_sel:BYTE_1 src1_sel:DWORD
	v_bfrev_b32_e32 v19, 1
	s_and_saveexec_b32 s16, s0
	s_cbranch_execz .LBB361_1165
; %bb.1160:                             ;   in Loop: Header=BB361_626 Depth=1
	v_and_b32_sdwa v20, v39, v9 dst_sel:DWORD dst_unused:UNUSED_PAD src0_sel:DWORD src1_sel:BYTE_1
	v_mov_b32_e32 v19, 0x7f800001
	s_mov_b32 s17, exec_lo
	v_and_b32_e32 v118, 0x7f, v20
	v_cmpx_ne_u32_e32 0x7f, v118
	s_cbranch_execz .LBB361_1164
; %bb.1161:                             ;   in Loop: Header=BB361_626 Depth=1
	v_and_b32_e32 v19, 7, v20
	v_mov_b32_e32 v20, v10
	v_lshrrev_b32_e32 v117, 3, v118
	s_mov_b32 s18, exec_lo
	v_cmpx_gt_u32_e32 8, v118
; %bb.1162:                             ;   in Loop: Header=BB361_626 Depth=1
	v_ffbh_u32_e32 v117, v19
	v_min_u32_e32 v117, 32, v117
	v_subrev_nc_u32_e32 v118, 28, v117
	v_sub_nc_u32_e32 v117, 29, v117
	v_lshlrev_b64 v[19:20], v118, v[19:20]
	v_and_b32_e32 v19, 7, v19
; %bb.1163:                             ;   in Loop: Header=BB361_626 Depth=1
	s_or_b32 exec_lo, exec_lo, s18
	v_lshlrev_b32_e32 v9, 16, v9
	v_lshlrev_b32_e32 v19, 20, v19
	v_lshl_add_u32 v20, v117, 23, 0x3c000000
	v_and_b32_e32 v9, 0x80000000, v9
	v_or3_b32 v19, v19, v9, v20
.LBB361_1164:                           ;   in Loop: Header=BB361_626 Depth=1
	s_or_b32 exec_lo, exec_lo, s17
.LBB361_1165:                           ;   in Loop: Header=BB361_626 Depth=1
	s_or_b32 exec_lo, exec_lo, s16
.LBB361_1166:                           ;   in Loop: Header=BB361_626 Depth=1
	s_or_b32 exec_lo, exec_lo, s15
	v_and_b32_sdwa v9, v18, v40 dst_sel:DWORD dst_unused:UNUSED_PAD src0_sel:WORD_1 src1_sel:DWORD
	v_mov_b32_e32 v20, 0
	v_mov_b32_e32 v118, 0
	s_mov_b32 s15, exec_lo
	v_cmpx_ne_u16_e32 0, v9
	s_cbranch_execz .LBB361_1174
; %bb.1167:                             ;   in Loop: Header=BB361_626 Depth=1
	v_bfrev_b32_e32 v118, 1
	s_mov_b32 s16, exec_lo
	v_cmpx_ne_u16_e32 0x80, v9
	s_cbranch_execz .LBB361_1173
; %bb.1168:                             ;   in Loop: Header=BB361_626 Depth=1
	v_bfe_u32 v119, v18, 16, 7
	v_mov_b32_e32 v118, 0x7f800001
	s_mov_b32 s17, exec_lo
	v_cmpx_ne_u32_e32 0x7f, v119
	s_cbranch_execz .LBB361_1172
; %bb.1169:                             ;   in Loop: Header=BB361_626 Depth=1
	v_and_b32_sdwa v9, v18, v41 dst_sel:DWORD dst_unused:UNUSED_PAD src0_sel:WORD_1 src1_sel:DWORD
	v_lshrrev_b32_e32 v117, 3, v119
	s_mov_b32 s18, exec_lo
	v_cmpx_gt_u32_e32 8, v119
; %bb.1170:                             ;   in Loop: Header=BB361_626 Depth=1
	v_ffbh_u32_e32 v117, v9
	v_min_u32_e32 v117, 32, v117
	v_subrev_nc_u32_e32 v118, 28, v117
	v_sub_nc_u32_e32 v117, 29, v117
	v_lshlrev_b64 v[118:119], v118, v[9:10]
	v_and_b32_e32 v9, 7, v118
; %bb.1171:                             ;   in Loop: Header=BB361_626 Depth=1
	s_or_b32 exec_lo, exec_lo, s18
	v_lshlrev_b32_sdwa v118, v42, v18 dst_sel:DWORD dst_unused:UNUSED_PAD src0_sel:DWORD src1_sel:WORD_1
	v_lshlrev_b32_e32 v9, 20, v9
	v_lshl_add_u32 v117, v117, 23, 0x3c000000
	v_and_b32_e32 v118, 0x80000000, v118
	v_or3_b32 v118, v9, v118, v117
.LBB361_1172:                           ;   in Loop: Header=BB361_626 Depth=1
	s_or_b32 exec_lo, exec_lo, s17
.LBB361_1173:                           ;   in Loop: Header=BB361_626 Depth=1
	s_or_b32 exec_lo, exec_lo, s16
.LBB361_1174:                           ;   in Loop: Header=BB361_626 Depth=1
	s_or_b32 exec_lo, exec_lo, s15
	s_mov_b32 s15, exec_lo
	v_cmpx_lt_u64_e64 s[2:3], v[17:18]
	s_cbranch_execz .LBB361_1182
; %bb.1175:                             ;   in Loop: Header=BB361_626 Depth=1
	v_cmp_ne_u32_sdwa s0, v18, v38 src0_sel:BYTE_3 src1_sel:DWORD
	v_bfrev_b32_e32 v20, 1
	s_and_saveexec_b32 s16, s0
	s_cbranch_execz .LBB361_1181
; %bb.1176:                             ;   in Loop: Header=BB361_626 Depth=1
	v_bfe_u32 v117, v18, 24, 7
	v_mov_b32_e32 v20, 0x7f800001
	s_mov_b32 s17, exec_lo
	v_cmpx_ne_u32_e32 0x7f, v117
	s_cbranch_execz .LBB361_1180
; %bb.1177:                             ;   in Loop: Header=BB361_626 Depth=1
	v_and_b32_sdwa v9, v18, v41 dst_sel:DWORD dst_unused:UNUSED_PAD src0_sel:BYTE_3 src1_sel:DWORD
	v_lshrrev_b32_e32 v17, 3, v117
	s_mov_b32 s18, exec_lo
	v_cmpx_gt_u32_e32 8, v117
; %bb.1178:                             ;   in Loop: Header=BB361_626 Depth=1
	v_ffbh_u32_e32 v17, v9
	v_min_u32_e32 v17, 32, v17
	v_subrev_nc_u32_e32 v20, 28, v17
	v_sub_nc_u32_e32 v17, 29, v17
	v_lshlrev_b64 v[119:120], v20, v[9:10]
	v_and_b32_e32 v9, 7, v119
; %bb.1179:                             ;   in Loop: Header=BB361_626 Depth=1
	s_or_b32 exec_lo, exec_lo, s18
	v_lshlrev_b32_sdwa v18, v42, v18 dst_sel:DWORD dst_unused:UNUSED_PAD src0_sel:DWORD src1_sel:BYTE_3
	v_lshlrev_b32_e32 v9, 20, v9
	v_lshl_add_u32 v17, v17, 23, 0x3c000000
	v_and_b32_e32 v18, 0x80000000, v18
	v_or3_b32 v20, v9, v18, v17
.LBB361_1180:                           ;   in Loop: Header=BB361_626 Depth=1
	s_or_b32 exec_lo, exec_lo, s17
.LBB361_1181:                           ;   in Loop: Header=BB361_626 Depth=1
	s_or_b32 exec_lo, exec_lo, s16
.LBB361_1182:                           ;   in Loop: Header=BB361_626 Depth=1
	s_or_b32 exec_lo, exec_lo, s15
	v_mul_f32_e32 v9, s5, v19
	v_mul_f32_e32 v17, s5, v116
	;; [unrolled: 1-line block ×5, first 2 shown]
	v_bfe_u32 v113, v9, 16, 1
	v_or_b32_e32 v115, 0x400000, v9
	v_bfe_u32 v116, v17, 16, 1
	v_cmp_u_f32_e64 s0, v9, v9
	v_or_b32_e32 v117, 0x400000, v17
	v_add3_u32 v113, v113, v9, 0x7fff
	v_bfe_u32 v119, v18, 16, 1
	v_add3_u32 v116, v116, v17, 0x7fff
	v_or_b32_e32 v120, 0x400000, v18
	v_bfe_u32 v121, v19, 16, 1
	v_cndmask_b32_e64 v9, v113, v115, s0
	v_cmp_u_f32_e64 s0, v17, v17
	v_add3_u32 v119, v119, v18, 0x7fff
	v_add3_u32 v115, v121, v19, 0x7fff
	v_lshrrev_b32_e32 v113, 16, v9
	v_cndmask_b32_e64 v17, v116, v117, s0
	v_cmp_u_f32_e64 s0, v18, v18
	v_mul_f32_e32 v9, s5, v114
	v_or_b32_e32 v116, 0x400000, v19
	v_lshrrev_b32_e32 v114, 16, v17
	v_cndmask_b32_e64 v18, v119, v120, s0
	v_bfe_u32 v17, v9, 16, 1
	v_cmp_u_f32_e64 s0, v19, v19
	v_mul_f32_e32 v19, s5, v112
	v_mul_f32_e32 v112, s5, v118
	v_lshrrev_b32_e32 v117, 16, v18
	v_add3_u32 v17, v17, v9, 0x7fff
	v_cndmask_b32_e64 v18, v115, v116, s0
	v_or_b32_e32 v115, 0x400000, v9
	v_bfe_u32 v116, v19, 16, 1
	v_cmp_u_f32_e64 s0, v9, v9
	v_bfe_u32 v118, v112, 16, 1
	v_or_b32_e32 v119, 0x400000, v112
	v_or_b32_e32 v120, 0x400000, v20
	v_cndmask_b32_e64 v9, v17, v115, s0
	v_add3_u32 v115, v116, v19, 0x7fff
	v_or_b32_e32 v116, 0x400000, v19
	v_cmp_u_f32_e64 s0, v19, v19
	v_bfe_u32 v17, v20, 16, 1
	v_add3_u32 v118, v118, v112, 0x7fff
	v_cndmask_b32_e64 v19, v115, v116, s0
	v_cmp_u_f32_e64 s0, v112, v112
	v_add3_u32 v17, v17, v20, 0x7fff
	v_cndmask_b32_e64 v112, v118, v119, s0
	v_cmp_u_f32_e64 s0, v20, v20
	v_lshrrev_b32_e32 v118, 16, v18
	v_lshrrev_b32_e32 v119, 16, v19
	;; [unrolled: 1-line block ×3, first 2 shown]
	v_cndmask_b32_e64 v17, v17, v120, s0
	v_lshrrev_b32_e32 v120, 16, v9
	v_lshrrev_b32_e32 v116, 16, v17
	s_and_saveexec_b32 s15, vcc_lo
	s_cbranch_execz .LBB361_1184
; %bb.1183:                             ;   in Loop: Header=BB361_626 Depth=1
	v_cmp_gt_i32_e64 s0, s11, v60
	v_cndmask_b32_e64 v119, 0, v119, s0
	v_cmp_gt_i32_e64 s0, s11, v66
	v_cndmask_b32_e64 v120, 0, v120, s0
	;; [unrolled: 2-line block ×8, first 2 shown]
.LBB361_1184:                           ;   in Loop: Header=BB361_626 Depth=1
	s_or_b32 exec_lo, exec_lo, s15
	global_load_dwordx2 v[15:16], v[15:16], off offset:256
	v_mov_b32_e32 v19, 0
	v_mov_b32_e32 v20, 0
	s_waitcnt vmcnt(0)
	v_cmp_ne_u16_sdwa s0, v15, v10 src0_sel:BYTE_0 src1_sel:DWORD
	s_and_saveexec_b32 s15, s0
	s_cbranch_execz .LBB361_1190
; %bb.1185:                             ;   in Loop: Header=BB361_626 Depth=1
	v_cmp_ne_u16_sdwa s0, v15, v38 src0_sel:BYTE_0 src1_sel:DWORD
	v_bfrev_b32_e32 v20, 1
	s_and_saveexec_b32 s16, s0
	s_cbranch_execz .LBB361_1189
; %bb.1186:                             ;   in Loop: Header=BB361_626 Depth=1
	v_and_b32_e32 v9, 0x7f, v15
	v_mov_b32_e32 v20, 0x7f800001
	s_mov_b32 s17, exec_lo
	v_cmpx_ne_u32_e32 0x7f, v9
	s_cbranch_execz .LBB361_1188
; %bb.1187:                             ;   in Loop: Header=BB361_626 Depth=1
	v_and_b32_e32 v17, 7, v15
	v_lshrrev_b32_e32 v18, 3, v9
	v_cmp_gt_u32_e64 s0, 8, v9
	v_ffbh_u32_e32 v17, v17
	v_min_u32_e32 v17, 32, v17
	v_subrev_nc_u32_e32 v20, 28, v17
	v_sub_nc_u32_e32 v17, 29, v17
	v_cndmask_b32_e64 v9, v18, v17, s0
	v_cndmask_b32_e64 v17, 0, v20, s0
	v_lshl_add_u32 v9, v9, 23, 0x3c000000
	v_lshlrev_b64 v[17:18], v17, v[15:16]
	v_lshlrev_b32_e32 v18, 24, v15
	v_lshlrev_b32_e32 v17, 20, v17
	v_and_b32_e32 v18, 0x80000000, v18
	v_and_b32_e32 v17, 0x700000, v17
	v_or3_b32 v20, v17, v18, v9
.LBB361_1188:                           ;   in Loop: Header=BB361_626 Depth=1
	s_or_b32 exec_lo, exec_lo, s17
.LBB361_1189:                           ;   in Loop: Header=BB361_626 Depth=1
	s_or_b32 exec_lo, exec_lo, s16
.LBB361_1190:                           ;   in Loop: Header=BB361_626 Depth=1
	s_or_b32 exec_lo, exec_lo, s15
	v_cmp_ne_u16_sdwa s0, v15, v10 src0_sel:BYTE_1 src1_sel:DWORD
	s_and_saveexec_b32 s15, s0
	s_cbranch_execz .LBB361_1198
; %bb.1191:                             ;   in Loop: Header=BB361_626 Depth=1
	v_cmp_ne_u16_sdwa s0, v15, v38 src0_sel:BYTE_1 src1_sel:DWORD
	v_bfrev_b32_e32 v19, 1
	s_and_saveexec_b32 s16, s0
	s_cbranch_execz .LBB361_1197
; %bb.1192:                             ;   in Loop: Header=BB361_626 Depth=1
	v_and_b32_sdwa v9, v39, v15 dst_sel:DWORD dst_unused:UNUSED_PAD src0_sel:DWORD src1_sel:BYTE_1
	v_mov_b32_e32 v19, 0x7f800001
	s_mov_b32 s17, exec_lo
	v_and_b32_e32 v18, 0x7f, v9
	v_cmpx_ne_u32_e32 0x7f, v18
	s_cbranch_execz .LBB361_1196
; %bb.1193:                             ;   in Loop: Header=BB361_626 Depth=1
	v_and_b32_e32 v9, 7, v9
	v_lshrrev_b32_e32 v17, 3, v18
	s_mov_b32 s18, exec_lo
	v_cmpx_gt_u32_e32 8, v18
; %bb.1194:                             ;   in Loop: Header=BB361_626 Depth=1
	v_ffbh_u32_e32 v17, v9
	v_min_u32_e32 v17, 32, v17
	v_subrev_nc_u32_e32 v18, 28, v17
	v_sub_nc_u32_e32 v17, 29, v17
	v_lshlrev_b64 v[18:19], v18, v[9:10]
	v_and_b32_e32 v9, 7, v18
; %bb.1195:                             ;   in Loop: Header=BB361_626 Depth=1
	s_or_b32 exec_lo, exec_lo, s18
	v_lshlrev_b32_e32 v18, 16, v15
	v_lshlrev_b32_e32 v9, 20, v9
	v_lshl_add_u32 v17, v17, 23, 0x3c000000
	v_and_b32_e32 v18, 0x80000000, v18
	v_or3_b32 v19, v9, v18, v17
.LBB361_1196:                           ;   in Loop: Header=BB361_626 Depth=1
	s_or_b32 exec_lo, exec_lo, s17
.LBB361_1197:                           ;   in Loop: Header=BB361_626 Depth=1
	s_or_b32 exec_lo, exec_lo, s16
.LBB361_1198:                           ;   in Loop: Header=BB361_626 Depth=1
	s_or_b32 exec_lo, exec_lo, s15
	v_and_b32_sdwa v9, v15, v40 dst_sel:DWORD dst_unused:UNUSED_PAD src0_sel:WORD_1 src1_sel:DWORD
	v_mov_b32_e32 v121, 0
	v_mov_b32_e32 v112, 0
	s_mov_b32 s15, exec_lo
	v_cmpx_ne_u16_e32 0, v9
	s_cbranch_execz .LBB361_1206
; %bb.1199:                             ;   in Loop: Header=BB361_626 Depth=1
	v_bfrev_b32_e32 v112, 1
	s_mov_b32 s16, exec_lo
	v_cmpx_ne_u16_e32 0x80, v9
	s_cbranch_execz .LBB361_1205
; %bb.1200:                             ;   in Loop: Header=BB361_626 Depth=1
	v_bfe_u32 v18, v15, 16, 7
	v_mov_b32_e32 v112, 0x7f800001
	s_mov_b32 s17, exec_lo
	v_cmpx_ne_u32_e32 0x7f, v18
	s_cbranch_execz .LBB361_1204
; %bb.1201:                             ;   in Loop: Header=BB361_626 Depth=1
	v_and_b32_sdwa v9, v15, v41 dst_sel:DWORD dst_unused:UNUSED_PAD src0_sel:WORD_1 src1_sel:DWORD
	v_lshrrev_b32_e32 v17, 3, v18
	s_mov_b32 s18, exec_lo
	v_cmpx_gt_u32_e32 8, v18
; %bb.1202:                             ;   in Loop: Header=BB361_626 Depth=1
	v_ffbh_u32_e32 v17, v9
	v_min_u32_e32 v17, 32, v17
	v_subrev_nc_u32_e32 v18, 28, v17
	v_sub_nc_u32_e32 v17, 29, v17
	v_lshlrev_b64 v[122:123], v18, v[9:10]
	v_and_b32_e32 v9, 7, v122
; %bb.1203:                             ;   in Loop: Header=BB361_626 Depth=1
	s_or_b32 exec_lo, exec_lo, s18
	v_lshlrev_b32_sdwa v18, v42, v15 dst_sel:DWORD dst_unused:UNUSED_PAD src0_sel:DWORD src1_sel:WORD_1
	v_lshlrev_b32_e32 v9, 20, v9
	v_lshl_add_u32 v17, v17, 23, 0x3c000000
	v_and_b32_e32 v18, 0x80000000, v18
	v_or3_b32 v112, v9, v18, v17
.LBB361_1204:                           ;   in Loop: Header=BB361_626 Depth=1
	s_or_b32 exec_lo, exec_lo, s17
.LBB361_1205:                           ;   in Loop: Header=BB361_626 Depth=1
	s_or_b32 exec_lo, exec_lo, s16
.LBB361_1206:                           ;   in Loop: Header=BB361_626 Depth=1
	s_or_b32 exec_lo, exec_lo, s15
	s_mov_b32 s15, exec_lo
	v_cmpx_lt_u32_e32 0xffffff, v15
	s_cbranch_execz .LBB361_1214
; %bb.1207:                             ;   in Loop: Header=BB361_626 Depth=1
	v_cmp_ne_u32_sdwa s0, v15, v38 src0_sel:BYTE_3 src1_sel:DWORD
	v_bfrev_b32_e32 v121, 1
	s_and_saveexec_b32 s16, s0
	s_cbranch_execz .LBB361_1213
; %bb.1208:                             ;   in Loop: Header=BB361_626 Depth=1
	v_bfe_u32 v18, v15, 24, 7
	v_mov_b32_e32 v121, 0x7f800001
	s_mov_b32 s17, exec_lo
	v_cmpx_ne_u32_e32 0x7f, v18
	s_cbranch_execz .LBB361_1212
; %bb.1209:                             ;   in Loop: Header=BB361_626 Depth=1
	v_and_b32_sdwa v9, v15, v41 dst_sel:DWORD dst_unused:UNUSED_PAD src0_sel:BYTE_3 src1_sel:DWORD
	v_lshrrev_b32_e32 v17, 3, v18
	s_mov_b32 s18, exec_lo
	v_cmpx_gt_u32_e32 8, v18
; %bb.1210:                             ;   in Loop: Header=BB361_626 Depth=1
	v_ffbh_u32_e32 v17, v9
	v_min_u32_e32 v17, 32, v17
	v_subrev_nc_u32_e32 v18, 28, v17
	v_sub_nc_u32_e32 v17, 29, v17
	v_lshlrev_b64 v[121:122], v18, v[9:10]
	v_and_b32_e32 v9, 7, v121
; %bb.1211:                             ;   in Loop: Header=BB361_626 Depth=1
	s_or_b32 exec_lo, exec_lo, s18
	v_lshlrev_b32_sdwa v18, v42, v15 dst_sel:DWORD dst_unused:UNUSED_PAD src0_sel:DWORD src1_sel:BYTE_3
	v_lshlrev_b32_e32 v9, 20, v9
	v_lshl_add_u32 v17, v17, 23, 0x3c000000
	v_and_b32_e32 v18, 0x80000000, v18
	v_or3_b32 v121, v9, v18, v17
.LBB361_1212:                           ;   in Loop: Header=BB361_626 Depth=1
	s_or_b32 exec_lo, exec_lo, s17
.LBB361_1213:                           ;   in Loop: Header=BB361_626 Depth=1
	s_or_b32 exec_lo, exec_lo, s16
.LBB361_1214:                           ;   in Loop: Header=BB361_626 Depth=1
	s_or_b32 exec_lo, exec_lo, s15
	v_mov_b32_e32 v9, v16
	v_cmp_ne_u16_sdwa s0, v16, v10 src0_sel:BYTE_0 src1_sel:DWORD
	v_mov_b32_e32 v17, 0
	v_mov_b32_e32 v123, 0
	s_and_saveexec_b32 s15, s0
	s_cbranch_execz .LBB361_1220
; %bb.1215:                             ;   in Loop: Header=BB361_626 Depth=1
	v_cmp_ne_u16_sdwa s0, v16, v38 src0_sel:BYTE_0 src1_sel:DWORD
	v_bfrev_b32_e32 v123, 1
	s_and_saveexec_b32 s16, s0
	s_cbranch_execz .LBB361_1219
; %bb.1216:                             ;   in Loop: Header=BB361_626 Depth=1
	v_and_b32_e32 v18, 0x7f, v16
	v_mov_b32_e32 v123, 0x7f800001
	s_mov_b32 s17, exec_lo
	v_cmpx_ne_u32_e32 0x7f, v18
	s_cbranch_execz .LBB361_1218
; %bb.1217:                             ;   in Loop: Header=BB361_626 Depth=1
	v_and_b32_e32 v122, 7, v16
	v_lshrrev_b32_e32 v123, 3, v18
	v_cmp_gt_u32_e64 s0, 8, v18
	v_ffbh_u32_e32 v18, v122
	v_min_u32_e32 v18, 32, v18
	v_subrev_nc_u32_e32 v122, 28, v18
	v_sub_nc_u32_e32 v18, 29, v18
	v_cndmask_b32_e64 v122, 0, v122, s0
	v_cndmask_b32_e64 v18, v123, v18, s0
	v_lshlrev_b64 v[122:123], v122, v[9:10]
	v_lshlrev_b32_e32 v123, 24, v9
	v_lshl_add_u32 v18, v18, 23, 0x3c000000
	v_lshlrev_b32_e32 v122, 20, v122
	v_and_b32_e32 v123, 0x80000000, v123
	v_and_b32_e32 v122, 0x700000, v122
	v_or3_b32 v123, v122, v123, v18
.LBB361_1218:                           ;   in Loop: Header=BB361_626 Depth=1
	s_or_b32 exec_lo, exec_lo, s17
.LBB361_1219:                           ;   in Loop: Header=BB361_626 Depth=1
	s_or_b32 exec_lo, exec_lo, s16
.LBB361_1220:                           ;   in Loop: Header=BB361_626 Depth=1
	s_or_b32 exec_lo, exec_lo, s15
	v_cmp_ne_u16_sdwa s0, v9, v10 src0_sel:BYTE_1 src1_sel:DWORD
	s_and_saveexec_b32 s15, s0
	s_cbranch_execz .LBB361_1228
; %bb.1221:                             ;   in Loop: Header=BB361_626 Depth=1
	v_cmp_ne_u16_sdwa s0, v9, v38 src0_sel:BYTE_1 src1_sel:DWORD
	v_bfrev_b32_e32 v17, 1
	s_and_saveexec_b32 s16, s0
	s_cbranch_execz .LBB361_1227
; %bb.1222:                             ;   in Loop: Header=BB361_626 Depth=1
	v_and_b32_sdwa v18, v39, v9 dst_sel:DWORD dst_unused:UNUSED_PAD src0_sel:DWORD src1_sel:BYTE_1
	v_mov_b32_e32 v17, 0x7f800001
	s_mov_b32 s17, exec_lo
	v_and_b32_e32 v124, 0x7f, v18
	v_cmpx_ne_u32_e32 0x7f, v124
	s_cbranch_execz .LBB361_1226
; %bb.1223:                             ;   in Loop: Header=BB361_626 Depth=1
	v_and_b32_e32 v17, 7, v18
	v_mov_b32_e32 v18, v10
	v_lshrrev_b32_e32 v122, 3, v124
	s_mov_b32 s18, exec_lo
	v_cmpx_gt_u32_e32 8, v124
; %bb.1224:                             ;   in Loop: Header=BB361_626 Depth=1
	v_ffbh_u32_e32 v122, v17
	v_min_u32_e32 v122, 32, v122
	v_subrev_nc_u32_e32 v124, 28, v122
	v_sub_nc_u32_e32 v122, 29, v122
	v_lshlrev_b64 v[17:18], v124, v[17:18]
	v_and_b32_e32 v17, 7, v17
; %bb.1225:                             ;   in Loop: Header=BB361_626 Depth=1
	s_or_b32 exec_lo, exec_lo, s18
	v_lshlrev_b32_e32 v9, 16, v9
	v_lshlrev_b32_e32 v17, 20, v17
	v_lshl_add_u32 v18, v122, 23, 0x3c000000
	v_and_b32_e32 v9, 0x80000000, v9
	v_or3_b32 v17, v17, v9, v18
.LBB361_1226:                           ;   in Loop: Header=BB361_626 Depth=1
	s_or_b32 exec_lo, exec_lo, s17
.LBB361_1227:                           ;   in Loop: Header=BB361_626 Depth=1
	s_or_b32 exec_lo, exec_lo, s16
.LBB361_1228:                           ;   in Loop: Header=BB361_626 Depth=1
	s_or_b32 exec_lo, exec_lo, s15
	v_and_b32_sdwa v9, v16, v40 dst_sel:DWORD dst_unused:UNUSED_PAD src0_sel:WORD_1 src1_sel:DWORD
	v_mov_b32_e32 v122, 0
	v_mov_b32_e32 v18, 0
	s_mov_b32 s15, exec_lo
	v_cmpx_ne_u16_e32 0, v9
	s_cbranch_execz .LBB361_1236
; %bb.1229:                             ;   in Loop: Header=BB361_626 Depth=1
	v_bfrev_b32_e32 v18, 1
	s_mov_b32 s16, exec_lo
	v_cmpx_ne_u16_e32 0x80, v9
	s_cbranch_execz .LBB361_1235
; %bb.1230:                             ;   in Loop: Header=BB361_626 Depth=1
	v_bfe_u32 v124, v16, 16, 7
	v_mov_b32_e32 v18, 0x7f800001
	s_mov_b32 s17, exec_lo
	v_cmpx_ne_u32_e32 0x7f, v124
	s_cbranch_execz .LBB361_1234
; %bb.1231:                             ;   in Loop: Header=BB361_626 Depth=1
	v_and_b32_sdwa v9, v16, v41 dst_sel:DWORD dst_unused:UNUSED_PAD src0_sel:WORD_1 src1_sel:DWORD
	v_lshrrev_b32_e32 v18, 3, v124
	s_mov_b32 s18, exec_lo
	v_cmpx_gt_u32_e32 8, v124
; %bb.1232:                             ;   in Loop: Header=BB361_626 Depth=1
	v_ffbh_u32_e32 v18, v9
	v_min_u32_e32 v18, 32, v18
	v_subrev_nc_u32_e32 v124, 28, v18
	v_sub_nc_u32_e32 v18, 29, v18
	v_lshlrev_b64 v[124:125], v124, v[9:10]
	v_and_b32_e32 v9, 7, v124
; %bb.1233:                             ;   in Loop: Header=BB361_626 Depth=1
	s_or_b32 exec_lo, exec_lo, s18
	v_lshlrev_b32_sdwa v124, v42, v16 dst_sel:DWORD dst_unused:UNUSED_PAD src0_sel:DWORD src1_sel:WORD_1
	v_lshlrev_b32_e32 v9, 20, v9
	v_lshl_add_u32 v18, v18, 23, 0x3c000000
	v_and_b32_e32 v124, 0x80000000, v124
	v_or3_b32 v18, v9, v124, v18
.LBB361_1234:                           ;   in Loop: Header=BB361_626 Depth=1
	s_or_b32 exec_lo, exec_lo, s17
.LBB361_1235:                           ;   in Loop: Header=BB361_626 Depth=1
	s_or_b32 exec_lo, exec_lo, s16
.LBB361_1236:                           ;   in Loop: Header=BB361_626 Depth=1
	s_or_b32 exec_lo, exec_lo, s15
	s_mov_b32 s15, exec_lo
	v_cmpx_lt_u64_e64 s[2:3], v[15:16]
	s_cbranch_execz .LBB361_1244
; %bb.1237:                             ;   in Loop: Header=BB361_626 Depth=1
	v_cmp_ne_u32_sdwa s0, v16, v38 src0_sel:BYTE_3 src1_sel:DWORD
	v_bfrev_b32_e32 v122, 1
	s_and_saveexec_b32 s16, s0
	s_cbranch_execz .LBB361_1243
; %bb.1238:                             ;   in Loop: Header=BB361_626 Depth=1
	v_bfe_u32 v124, v16, 24, 7
	v_mov_b32_e32 v122, 0x7f800001
	s_mov_b32 s17, exec_lo
	v_cmpx_ne_u32_e32 0x7f, v124
	s_cbranch_execz .LBB361_1242
; %bb.1239:                             ;   in Loop: Header=BB361_626 Depth=1
	v_and_b32_sdwa v9, v16, v41 dst_sel:DWORD dst_unused:UNUSED_PAD src0_sel:BYTE_3 src1_sel:DWORD
	v_lshrrev_b32_e32 v15, 3, v124
	s_mov_b32 s18, exec_lo
	v_cmpx_gt_u32_e32 8, v124
; %bb.1240:                             ;   in Loop: Header=BB361_626 Depth=1
	v_ffbh_u32_e32 v15, v9
	v_min_u32_e32 v15, 32, v15
	v_subrev_nc_u32_e32 v122, 28, v15
	v_sub_nc_u32_e32 v15, 29, v15
	v_lshlrev_b64 v[124:125], v122, v[9:10]
	v_and_b32_e32 v9, 7, v124
; %bb.1241:                             ;   in Loop: Header=BB361_626 Depth=1
	s_or_b32 exec_lo, exec_lo, s18
	v_lshlrev_b32_sdwa v16, v42, v16 dst_sel:DWORD dst_unused:UNUSED_PAD src0_sel:DWORD src1_sel:BYTE_3
	v_lshlrev_b32_e32 v9, 20, v9
	v_lshl_add_u32 v15, v15, 23, 0x3c000000
	v_and_b32_e32 v16, 0x80000000, v16
	v_or3_b32 v122, v9, v16, v15
.LBB361_1242:                           ;   in Loop: Header=BB361_626 Depth=1
	s_or_b32 exec_lo, exec_lo, s17
.LBB361_1243:                           ;   in Loop: Header=BB361_626 Depth=1
	s_or_b32 exec_lo, exec_lo, s16
.LBB361_1244:                           ;   in Loop: Header=BB361_626 Depth=1
	s_or_b32 exec_lo, exec_lo, s15
	v_mul_f32_e32 v9, s5, v17
	v_mul_f32_e32 v19, s5, v19
	;; [unrolled: 1-line block ×4, first 2 shown]
	v_bfe_u32 v15, v9, 16, 1
	v_or_b32_e32 v16, 0x400000, v9
	v_cmp_u_f32_e64 s0, v9, v9
	v_add3_u32 v15, v15, v9, 0x7fff
	v_cndmask_b32_e64 v9, v15, v16, s0
	v_mul_f32_e32 v15, s5, v123
	v_lshrrev_b32_e32 v9, 16, v9
	v_bfe_u32 v16, v15, 16, 1
	v_or_b32_e32 v17, 0x400000, v15
	v_cmp_u_f32_e64 s0, v15, v15
	v_add3_u32 v16, v16, v15, 0x7fff
	v_cndmask_b32_e64 v15, v16, v17, s0
	v_mul_f32_e32 v16, s5, v121
	v_lshrrev_b32_e32 v15, 16, v15
	;; [unrolled: 7-line block ×3, first 2 shown]
	v_bfe_u32 v112, v17, 16, 1
	v_or_b32_e32 v121, 0x400000, v17
	v_cmp_u_f32_e64 s0, v17, v17
	v_add3_u32 v112, v112, v17, 0x7fff
	v_cndmask_b32_e64 v17, v112, v121, s0
	v_bfe_u32 v112, v19, 16, 1
	v_or_b32_e32 v121, 0x400000, v19
	v_cmp_u_f32_e64 s0, v19, v19
	v_lshrrev_b32_e32 v17, 16, v17
	v_add3_u32 v112, v112, v19, 0x7fff
	v_cndmask_b32_e64 v19, v112, v121, s0
	v_bfe_u32 v112, v20, 16, 1
	v_or_b32_e32 v121, 0x400000, v20
	v_cmp_u_f32_e64 s0, v20, v20
	v_lshrrev_b32_e32 v19, 16, v19
	;; [unrolled: 6-line block ×3, first 2 shown]
	v_add3_u32 v112, v112, v18, 0x7fff
	v_cndmask_b32_e64 v18, v112, v121, s0
	v_mul_f32_e32 v112, s5, v122
	v_lshrrev_b32_e32 v18, 16, v18
	v_bfe_u32 v121, v112, 16, 1
	v_or_b32_e32 v122, 0x400000, v112
	v_cmp_u_f32_e64 s0, v112, v112
	v_add3_u32 v121, v121, v112, 0x7fff
	v_cndmask_b32_e64 v112, v121, v122, s0
	v_lshrrev_b32_e32 v112, 16, v112
	s_and_saveexec_b32 s0, vcc_lo
	s_cbranch_execz .LBB361_625
; %bb.1245:                             ;   in Loop: Header=BB361_626 Depth=1
	v_cmp_gt_i32_e32 vcc_lo, s11, v60
	v_cndmask_b32_e32 v20, 0, v20, vcc_lo
	v_cmp_gt_i32_e32 vcc_lo, s11, v66
	v_cndmask_b32_e32 v19, 0, v19, vcc_lo
	;; [unrolled: 2-line block ×8, first 2 shown]
	s_branch .LBB361_625
.LBB361_1246:
	s_or_b32 exec_lo, exec_lo, s14
.LBB361_1247:
	s_or_b32 exec_lo, exec_lo, s1
	ds_bpermute_b32 v9, v24, v26
	ds_bpermute_b32 v8, v24, v27
	;; [unrolled: 1-line block ×10, first 2 shown]
	s_mov_b32 s0, exec_lo
	s_waitcnt lgkmcnt(9)
	v_add_f32_e32 v17, v26, v9
	buffer_load_dword v9, off, s[36:39], 0 offset:212 ; 4-byte Folded Reload
	s_waitcnt lgkmcnt(8)
	v_add_f32_e32 v16, v27, v8
	s_waitcnt lgkmcnt(7)
	v_add_f32_e32 v0, v33, v0
	;; [unrolled: 2-line block ×9, first 2 shown]
	ds_bpermute_b32 v5, v23, v0
	ds_bpermute_b32 v6, v23, v1
	;; [unrolled: 1-line block ×10, first 2 shown]
	s_waitcnt lgkmcnt(7)
	v_add_f32_e32 v7, v2, v7
	s_waitcnt lgkmcnt(2)
	v_add_f32_e32 v2, v15, v22
	s_waitcnt vmcnt(0)
	v_and_b32_e32 v8, 28, v9
	v_lshrrev_b32_e32 v10, 2, v9
	buffer_load_dword v9, off, s[36:39], 0 offset:216 ; 4-byte Folded Reload
	v_add_nc_u32_e32 v11, 0xc0, v8
	v_add_f32_e32 v8, v1, v6
	v_add_f32_e32 v6, v3, v18
	;; [unrolled: 1-line block ×3, first 2 shown]
	s_waitcnt lgkmcnt(1)
	v_add_f32_e32 v1, v16, v24
	s_waitcnt vmcnt(0)
	v_mul_u32_u24_e32 v12, 0x140, v9
	buffer_load_dword v9, off, s[36:39], 0 offset:220 ; 4-byte Folded Reload
	s_waitcnt vmcnt(0) lgkmcnt(0)
	s_barrier
	buffer_gl0_inv
	v_and_b32_e32 v26, 0x3c3, v9
	v_add_f32_e32 v9, v0, v5
	v_add_f32_e32 v5, v4, v19
	;; [unrolled: 1-line block ×4, first 2 shown]
	v_cmpx_eq_u32_e32 64, v26
	s_cbranch_execz .LBB361_1249
; %bb.1248:
	v_add_nc_u32_e32 v13, v11, v12
	v_add_nc_u32_e32 v14, 0xfffffd80, v13
	;; [unrolled: 1-line block ×6, first 2 shown]
	ds_write_b32 v14, v9
	ds_write_b32 v15, v8
	;; [unrolled: 1-line block ×5, first 2 shown]
	v_add_nc_u32_e32 v14, 0xfffffe20, v13
	v_add_nc_u32_e32 v15, 0xfffffe40, v13
	;; [unrolled: 1-line block ×5, first 2 shown]
	ds_write_b32 v14, v4
	ds_write_b32 v15, v3
	;; [unrolled: 1-line block ×5, first 2 shown]
.LBB361_1249:
	s_or_b32 exec_lo, exec_lo, s0
	buffer_load_dword v13, off, s[36:39], 0 offset:220 ; 4-byte Folded Reload
	v_lshlrev_b32_e32 v10, 2, v10
	s_mov_b32 s1, exec_lo
	v_cmp_eq_u32_e32 vcc_lo, 0, v25
	s_waitcnt vmcnt(0) lgkmcnt(0)
	s_barrier
	v_add3_u32 v10, 0xc0, v12, v10
	buffer_gl0_inv
	v_cmpx_gt_u32_e32 64, v13
	s_cbranch_execz .LBB361_1262
; %bb.1250:
	s_and_saveexec_b32 s0, vcc_lo
	s_cbranch_execnz .LBB361_1280
; %bb.1251:
	s_or_b32 exec_lo, exec_lo, s0
	s_and_saveexec_b32 s0, vcc_lo
	s_cbranch_execnz .LBB361_1281
.LBB361_1252:
	s_or_b32 exec_lo, exec_lo, s0
	s_and_saveexec_b32 s0, vcc_lo
	s_cbranch_execnz .LBB361_1282
.LBB361_1253:
	s_or_b32 exec_lo, exec_lo, s0
	s_and_saveexec_b32 s0, vcc_lo
	s_cbranch_execnz .LBB361_1283
.LBB361_1254:
	s_or_b32 exec_lo, exec_lo, s0
	s_and_saveexec_b32 s0, vcc_lo
	s_cbranch_execnz .LBB361_1284
.LBB361_1255:
	s_or_b32 exec_lo, exec_lo, s0
	s_and_saveexec_b32 s0, vcc_lo
	s_cbranch_execnz .LBB361_1285
.LBB361_1256:
	s_or_b32 exec_lo, exec_lo, s0
	s_and_saveexec_b32 s0, vcc_lo
	s_cbranch_execnz .LBB361_1286
.LBB361_1257:
	s_or_b32 exec_lo, exec_lo, s0
	s_and_saveexec_b32 s0, vcc_lo
	s_cbranch_execnz .LBB361_1287
.LBB361_1258:
	s_or_b32 exec_lo, exec_lo, s0
	s_and_saveexec_b32 s0, vcc_lo
	s_cbranch_execnz .LBB361_1288
.LBB361_1259:
	s_or_b32 exec_lo, exec_lo, s0
	s_and_saveexec_b32 s0, vcc_lo
	s_cbranch_execz .LBB361_1261
.LBB361_1260:
	ds_read_b32 v12, v10 offset:288
	s_waitcnt lgkmcnt(0)
	v_add_f32_e32 v0, v0, v12
.LBB361_1261:
	s_or_b32 exec_lo, exec_lo, s0
.LBB361_1262:
	s_or_b32 exec_lo, exec_lo, s1
	v_and_b32_e32 v12, 0x3e3, v13
	s_mov_b32 s1, exec_lo
	s_barrier
	buffer_gl0_inv
	v_cmpx_eq_u32_e32 32, v12
	s_cbranch_execz .LBB361_1264
; %bb.1263:
	ds_write2_b32 v11, v9, v8 offset1:8
	ds_write2_b32 v11, v7, v6 offset0:16 offset1:24
	ds_write2_b32 v11, v5, v4 offset0:32 offset1:40
	;; [unrolled: 1-line block ×4, first 2 shown]
.LBB361_1264:
	s_or_b32 exec_lo, exec_lo, s1
	s_mov_b32 s1, exec_lo
	s_waitcnt lgkmcnt(0)
	s_barrier
	buffer_gl0_inv
	v_cmpx_gt_u32_e32 32, v13
	s_cbranch_execz .LBB361_1277
; %bb.1265:
	s_and_saveexec_b32 s0, vcc_lo
	s_cbranch_execnz .LBB361_1289
; %bb.1266:
	s_or_b32 exec_lo, exec_lo, s0
	s_and_saveexec_b32 s0, vcc_lo
	s_cbranch_execnz .LBB361_1290
.LBB361_1267:
	s_or_b32 exec_lo, exec_lo, s0
	s_and_saveexec_b32 s0, vcc_lo
	s_cbranch_execnz .LBB361_1291
.LBB361_1268:
	s_or_b32 exec_lo, exec_lo, s0
	s_and_saveexec_b32 s0, vcc_lo
	s_cbranch_execnz .LBB361_1292
.LBB361_1269:
	s_or_b32 exec_lo, exec_lo, s0
	s_and_saveexec_b32 s0, vcc_lo
	s_cbranch_execnz .LBB361_1293
.LBB361_1270:
	s_or_b32 exec_lo, exec_lo, s0
	s_and_saveexec_b32 s0, vcc_lo
	s_cbranch_execnz .LBB361_1294
.LBB361_1271:
	s_or_b32 exec_lo, exec_lo, s0
	s_and_saveexec_b32 s0, vcc_lo
	s_cbranch_execnz .LBB361_1295
.LBB361_1272:
	s_or_b32 exec_lo, exec_lo, s0
	s_and_saveexec_b32 s0, vcc_lo
	s_cbranch_execnz .LBB361_1296
.LBB361_1273:
	s_or_b32 exec_lo, exec_lo, s0
	s_and_saveexec_b32 s0, vcc_lo
	s_cbranch_execnz .LBB361_1297
.LBB361_1274:
	s_or_b32 exec_lo, exec_lo, s0
	s_and_saveexec_b32 s0, vcc_lo
	s_cbranch_execz .LBB361_1276
.LBB361_1275:
	ds_read_b32 v10, v10 offset:288
	s_waitcnt lgkmcnt(0)
	v_add_f32_e32 v0, v0, v10
.LBB361_1276:
	s_or_b32 exec_lo, exec_lo, s0
.LBB361_1277:
	s_or_b32 exec_lo, exec_lo, s1
	s_barrier
	buffer_gl0_inv
	s_mov_b32 s0, exec_lo
	v_cmpx_eq_u32_e32 0, v12
	s_cbranch_execz .LBB361_1279
; %bb.1278:
	s_mul_i32 s0, s10, s7
	v_bfe_u32 v11, v9, 16, 1
	s_mul_i32 s0, s0, s9
	s_mul_i32 s2, s7, s6
	s_mulk_i32 s0, 0x50
	v_lshrrev_b32_e32 v10, 1, v13
	s_ashr_i32 s1, s0, 31
	v_or_b32_e32 v12, 0x400000, v9
	s_lshl_b64 s[0:1], s[0:1], 1
	v_add3_u32 v11, v11, v9, 0x7fff
	s_add_u32 s5, s20, s0
	s_addc_u32 s6, s21, s1
	s_ashr_i32 s3, s2, 31
	v_bfe_u32 v13, v8, 16, 1
	s_lshl_b64 s[0:1], s[2:3], 1
	v_cmp_u_f32_e32 vcc_lo, v9, v9
	s_mul_i32 s4, s8, 0x50
	s_add_u32 s2, s5, s0
	s_addc_u32 s3, s6, s1
	s_ashr_i32 s5, s4, 31
	v_cndmask_b32_e32 v9, v11, v12, vcc_lo
	s_lshl_b64 s[0:1], s[4:5], 1
	v_bfe_u32 v11, v7, 16, 1
	v_add3_u32 v12, v13, v8, 0x7fff
	v_or_b32_e32 v13, 0x400000, v8
	v_cmp_u_f32_e32 vcc_lo, v8, v8
	s_add_u32 s0, s2, s0
	s_addc_u32 s1, s3, s1
	global_store_short_d16_hi v10, v9, s[0:1]
	v_add3_u32 v9, v11, v7, 0x7fff
	v_or_b32_e32 v11, 0x400000, v7
	v_cndmask_b32_e32 v8, v12, v13, vcc_lo
	v_bfe_u32 v12, v6, 16, 1
	v_cmp_u_f32_e32 vcc_lo, v7, v7
	global_store_short_d16_hi v10, v8, s[0:1] offset:16
	v_add3_u32 v8, v12, v6, 0x7fff
	v_cndmask_b32_e32 v7, v9, v11, vcc_lo
	v_bfe_u32 v9, v5, 16, 1
	v_or_b32_e32 v11, 0x400000, v6
	v_cmp_u_f32_e32 vcc_lo, v6, v6
	global_store_short_d16_hi v10, v7, s[0:1] offset:32
	v_add3_u32 v7, v9, v5, 0x7fff
	v_or_b32_e32 v9, 0x400000, v5
	v_cndmask_b32_e32 v6, v8, v11, vcc_lo
	v_bfe_u32 v8, v4, 16, 1
	v_cmp_u_f32_e32 vcc_lo, v5, v5
	v_or_b32_e32 v11, 0x400000, v0
	global_store_short_d16_hi v10, v6, s[0:1] offset:48
	v_add3_u32 v6, v8, v4, 0x7fff
	v_cndmask_b32_e32 v5, v7, v9, vcc_lo
	v_bfe_u32 v7, v3, 16, 1
	v_or_b32_e32 v8, 0x400000, v4
	v_cmp_u_f32_e32 vcc_lo, v4, v4
	v_or_b32_e32 v9, 0x400000, v1
	global_store_short_d16_hi v10, v5, s[0:1] offset:64
	v_add3_u32 v5, v7, v3, 0x7fff
	v_or_b32_e32 v7, 0x400000, v3
	v_cndmask_b32_e32 v4, v6, v8, vcc_lo
	v_bfe_u32 v6, v2, 16, 1
	v_cmp_u_f32_e32 vcc_lo, v3, v3
	v_bfe_u32 v8, v1, 16, 1
	v_add3_u32 v6, v6, v2, 0x7fff
	v_cndmask_b32_e32 v3, v5, v7, vcc_lo
	v_or_b32_e32 v7, 0x400000, v2
	v_cmp_u_f32_e32 vcc_lo, v2, v2
	v_bfe_u32 v5, v0, 16, 1
	v_add3_u32 v8, v8, v1, 0x7fff
	v_cndmask_b32_e32 v2, v6, v7, vcc_lo
	v_cmp_u_f32_e32 vcc_lo, v1, v1
	v_add3_u32 v5, v5, v0, 0x7fff
	v_cndmask_b32_e32 v1, v8, v9, vcc_lo
	v_cmp_u_f32_e32 vcc_lo, v0, v0
	v_cndmask_b32_e32 v0, v5, v11, vcc_lo
	global_store_short_d16_hi v10, v4, s[0:1] offset:80
	global_store_short_d16_hi v10, v3, s[0:1] offset:96
	;; [unrolled: 1-line block ×5, first 2 shown]
.LBB361_1279:
	s_endpgm
.LBB361_1280:
	ds_read_b32 v12, v10
	s_waitcnt lgkmcnt(0)
	v_add_f32_e32 v9, v9, v12
	s_or_b32 exec_lo, exec_lo, s0
	s_and_saveexec_b32 s0, vcc_lo
	s_cbranch_execz .LBB361_1252
.LBB361_1281:
	ds_read_b32 v12, v10 offset:32
	s_waitcnt lgkmcnt(0)
	v_add_f32_e32 v8, v8, v12
	s_or_b32 exec_lo, exec_lo, s0
	s_and_saveexec_b32 s0, vcc_lo
	s_cbranch_execz .LBB361_1253
.LBB361_1282:
	ds_read_b32 v12, v10 offset:64
	s_waitcnt lgkmcnt(0)
	v_add_f32_e32 v7, v7, v12
	s_or_b32 exec_lo, exec_lo, s0
	s_and_saveexec_b32 s0, vcc_lo
	s_cbranch_execz .LBB361_1254
.LBB361_1283:
	ds_read_b32 v12, v10 offset:96
	s_waitcnt lgkmcnt(0)
	v_add_f32_e32 v6, v6, v12
	s_or_b32 exec_lo, exec_lo, s0
	s_and_saveexec_b32 s0, vcc_lo
	s_cbranch_execz .LBB361_1255
.LBB361_1284:
	ds_read_b32 v12, v10 offset:128
	s_waitcnt lgkmcnt(0)
	v_add_f32_e32 v5, v5, v12
	s_or_b32 exec_lo, exec_lo, s0
	s_and_saveexec_b32 s0, vcc_lo
	s_cbranch_execz .LBB361_1256
.LBB361_1285:
	ds_read_b32 v12, v10 offset:160
	s_waitcnt lgkmcnt(0)
	v_add_f32_e32 v4, v4, v12
	s_or_b32 exec_lo, exec_lo, s0
	s_and_saveexec_b32 s0, vcc_lo
	s_cbranch_execz .LBB361_1257
.LBB361_1286:
	ds_read_b32 v12, v10 offset:192
	s_waitcnt lgkmcnt(0)
	v_add_f32_e32 v3, v3, v12
	s_or_b32 exec_lo, exec_lo, s0
	s_and_saveexec_b32 s0, vcc_lo
	s_cbranch_execz .LBB361_1258
.LBB361_1287:
	ds_read_b32 v12, v10 offset:224
	s_waitcnt lgkmcnt(0)
	v_add_f32_e32 v2, v2, v12
	s_or_b32 exec_lo, exec_lo, s0
	s_and_saveexec_b32 s0, vcc_lo
	s_cbranch_execz .LBB361_1259
.LBB361_1288:
	ds_read_b32 v12, v10 offset:256
	s_waitcnt lgkmcnt(0)
	v_add_f32_e32 v1, v1, v12
	s_or_b32 exec_lo, exec_lo, s0
	s_and_saveexec_b32 s0, vcc_lo
	s_cbranch_execnz .LBB361_1260
	s_branch .LBB361_1261
.LBB361_1289:
	ds_read_b32 v11, v10
	s_waitcnt lgkmcnt(0)
	v_add_f32_e32 v9, v9, v11
	s_or_b32 exec_lo, exec_lo, s0
	s_and_saveexec_b32 s0, vcc_lo
	s_cbranch_execz .LBB361_1267
.LBB361_1290:
	ds_read_b32 v11, v10 offset:32
	s_waitcnt lgkmcnt(0)
	v_add_f32_e32 v8, v8, v11
	s_or_b32 exec_lo, exec_lo, s0
	s_and_saveexec_b32 s0, vcc_lo
	s_cbranch_execz .LBB361_1268
.LBB361_1291:
	ds_read_b32 v11, v10 offset:64
	s_waitcnt lgkmcnt(0)
	v_add_f32_e32 v7, v7, v11
	s_or_b32 exec_lo, exec_lo, s0
	s_and_saveexec_b32 s0, vcc_lo
	s_cbranch_execz .LBB361_1269
.LBB361_1292:
	ds_read_b32 v11, v10 offset:96
	s_waitcnt lgkmcnt(0)
	v_add_f32_e32 v6, v6, v11
	s_or_b32 exec_lo, exec_lo, s0
	s_and_saveexec_b32 s0, vcc_lo
	s_cbranch_execz .LBB361_1270
.LBB361_1293:
	ds_read_b32 v11, v10 offset:128
	s_waitcnt lgkmcnt(0)
	v_add_f32_e32 v5, v5, v11
	s_or_b32 exec_lo, exec_lo, s0
	s_and_saveexec_b32 s0, vcc_lo
	s_cbranch_execz .LBB361_1271
.LBB361_1294:
	ds_read_b32 v11, v10 offset:160
	s_waitcnt lgkmcnt(0)
	v_add_f32_e32 v4, v4, v11
	s_or_b32 exec_lo, exec_lo, s0
	s_and_saveexec_b32 s0, vcc_lo
	s_cbranch_execz .LBB361_1272
.LBB361_1295:
	ds_read_b32 v11, v10 offset:192
	s_waitcnt lgkmcnt(0)
	v_add_f32_e32 v3, v3, v11
	s_or_b32 exec_lo, exec_lo, s0
	s_and_saveexec_b32 s0, vcc_lo
	s_cbranch_execz .LBB361_1273
.LBB361_1296:
	ds_read_b32 v11, v10 offset:224
	s_waitcnt lgkmcnt(0)
	v_add_f32_e32 v2, v2, v11
	s_or_b32 exec_lo, exec_lo, s0
	s_and_saveexec_b32 s0, vcc_lo
	s_cbranch_execz .LBB361_1274
.LBB361_1297:
	ds_read_b32 v11, v10 offset:256
	s_waitcnt lgkmcnt(0)
	v_add_f32_e32 v1, v1, v11
	s_or_b32 exec_lo, exec_lo, s0
	s_and_saveexec_b32 s0, vcc_lo
	s_cbranch_execnz .LBB361_1275
	s_branch .LBB361_1276
	.section	.rodata,"a",@progbits
	.p2align	6, 0x0
	.amdhsa_kernel _ZN4vllm25paged_attention_v1_kernelI14__hip_bfloat16hLi80ELi32ELi128ELNS_18Fp8KVCacheDataTypeE1ELb0EEEvPT_PKS3_PKT0_S9_ifPKiSB_iPKfiiiSD_SD_iiiii
		.amdhsa_group_segment_fixed_size 192
		.amdhsa_private_segment_fixed_size 236
		.amdhsa_kernarg_size 384
		.amdhsa_user_sgpr_count 6
		.amdhsa_user_sgpr_private_segment_buffer 1
		.amdhsa_user_sgpr_dispatch_ptr 0
		.amdhsa_user_sgpr_queue_ptr 0
		.amdhsa_user_sgpr_kernarg_segment_ptr 1
		.amdhsa_user_sgpr_dispatch_id 0
		.amdhsa_user_sgpr_flat_scratch_init 0
		.amdhsa_user_sgpr_private_segment_size 0
		.amdhsa_wavefront_size32 1
		.amdhsa_uses_dynamic_stack 0
		.amdhsa_system_sgpr_private_segment_wavefront_offset 1
		.amdhsa_system_sgpr_workgroup_id_x 1
		.amdhsa_system_sgpr_workgroup_id_y 1
		.amdhsa_system_sgpr_workgroup_id_z 1
		.amdhsa_system_sgpr_workgroup_info 0
		.amdhsa_system_vgpr_workitem_id 0
		.amdhsa_next_free_vgpr 128
		.amdhsa_next_free_sgpr 40
		.amdhsa_reserve_vcc 1
		.amdhsa_reserve_flat_scratch 0
		.amdhsa_float_round_mode_32 0
		.amdhsa_float_round_mode_16_64 0
		.amdhsa_float_denorm_mode_32 3
		.amdhsa_float_denorm_mode_16_64 3
		.amdhsa_dx10_clamp 1
		.amdhsa_ieee_mode 1
		.amdhsa_fp16_overflow 0
		.amdhsa_workgroup_processor_mode 1
		.amdhsa_memory_ordered 1
		.amdhsa_forward_progress 1
		.amdhsa_shared_vgpr_count 0
		.amdhsa_exception_fp_ieee_invalid_op 0
		.amdhsa_exception_fp_denorm_src 0
		.amdhsa_exception_fp_ieee_div_zero 0
		.amdhsa_exception_fp_ieee_overflow 0
		.amdhsa_exception_fp_ieee_underflow 0
		.amdhsa_exception_fp_ieee_inexact 0
		.amdhsa_exception_int_div_zero 0
	.end_amdhsa_kernel
	.section	.text._ZN4vllm25paged_attention_v1_kernelI14__hip_bfloat16hLi80ELi32ELi128ELNS_18Fp8KVCacheDataTypeE1ELb0EEEvPT_PKS3_PKT0_S9_ifPKiSB_iPKfiiiSD_SD_iiiii,"axG",@progbits,_ZN4vllm25paged_attention_v1_kernelI14__hip_bfloat16hLi80ELi32ELi128ELNS_18Fp8KVCacheDataTypeE1ELb0EEEvPT_PKS3_PKT0_S9_ifPKiSB_iPKfiiiSD_SD_iiiii,comdat
.Lfunc_end361:
	.size	_ZN4vllm25paged_attention_v1_kernelI14__hip_bfloat16hLi80ELi32ELi128ELNS_18Fp8KVCacheDataTypeE1ELb0EEEvPT_PKS3_PKT0_S9_ifPKiSB_iPKfiiiSD_SD_iiiii, .Lfunc_end361-_ZN4vllm25paged_attention_v1_kernelI14__hip_bfloat16hLi80ELi32ELi128ELNS_18Fp8KVCacheDataTypeE1ELb0EEEvPT_PKS3_PKT0_S9_ifPKiSB_iPKfiiiSD_SD_iiiii
                                        ; -- End function
	.set _ZN4vllm25paged_attention_v1_kernelI14__hip_bfloat16hLi80ELi32ELi128ELNS_18Fp8KVCacheDataTypeE1ELb0EEEvPT_PKS3_PKT0_S9_ifPKiSB_iPKfiiiSD_SD_iiiii.num_vgpr, 128
	.set _ZN4vllm25paged_attention_v1_kernelI14__hip_bfloat16hLi80ELi32ELi128ELNS_18Fp8KVCacheDataTypeE1ELb0EEEvPT_PKS3_PKT0_S9_ifPKiSB_iPKfiiiSD_SD_iiiii.num_agpr, 0
	.set _ZN4vllm25paged_attention_v1_kernelI14__hip_bfloat16hLi80ELi32ELi128ELNS_18Fp8KVCacheDataTypeE1ELb0EEEvPT_PKS3_PKT0_S9_ifPKiSB_iPKfiiiSD_SD_iiiii.numbered_sgpr, 40
	.set _ZN4vllm25paged_attention_v1_kernelI14__hip_bfloat16hLi80ELi32ELi128ELNS_18Fp8KVCacheDataTypeE1ELb0EEEvPT_PKS3_PKT0_S9_ifPKiSB_iPKfiiiSD_SD_iiiii.num_named_barrier, 0
	.set _ZN4vllm25paged_attention_v1_kernelI14__hip_bfloat16hLi80ELi32ELi128ELNS_18Fp8KVCacheDataTypeE1ELb0EEEvPT_PKS3_PKT0_S9_ifPKiSB_iPKfiiiSD_SD_iiiii.private_seg_size, 236
	.set _ZN4vllm25paged_attention_v1_kernelI14__hip_bfloat16hLi80ELi32ELi128ELNS_18Fp8KVCacheDataTypeE1ELb0EEEvPT_PKS3_PKT0_S9_ifPKiSB_iPKfiiiSD_SD_iiiii.uses_vcc, 1
	.set _ZN4vllm25paged_attention_v1_kernelI14__hip_bfloat16hLi80ELi32ELi128ELNS_18Fp8KVCacheDataTypeE1ELb0EEEvPT_PKS3_PKT0_S9_ifPKiSB_iPKfiiiSD_SD_iiiii.uses_flat_scratch, 0
	.set _ZN4vllm25paged_attention_v1_kernelI14__hip_bfloat16hLi80ELi32ELi128ELNS_18Fp8KVCacheDataTypeE1ELb0EEEvPT_PKS3_PKT0_S9_ifPKiSB_iPKfiiiSD_SD_iiiii.has_dyn_sized_stack, 0
	.set _ZN4vllm25paged_attention_v1_kernelI14__hip_bfloat16hLi80ELi32ELi128ELNS_18Fp8KVCacheDataTypeE1ELb0EEEvPT_PKS3_PKT0_S9_ifPKiSB_iPKfiiiSD_SD_iiiii.has_recursion, 0
	.set _ZN4vllm25paged_attention_v1_kernelI14__hip_bfloat16hLi80ELi32ELi128ELNS_18Fp8KVCacheDataTypeE1ELb0EEEvPT_PKS3_PKT0_S9_ifPKiSB_iPKfiiiSD_SD_iiiii.has_indirect_call, 0
	.section	.AMDGPU.csdata,"",@progbits
; Kernel info:
; codeLenInByte = 50280
; TotalNumSgprs: 42
; NumVgprs: 128
; ScratchSize: 236
; MemoryBound: 0
; FloatMode: 240
; IeeeMode: 1
; LDSByteSize: 192 bytes/workgroup (compile time only)
; SGPRBlocks: 0
; VGPRBlocks: 15
; NumSGPRsForWavesPerEU: 42
; NumVGPRsForWavesPerEU: 128
; Occupancy: 8
; WaveLimiterHint : 1
; COMPUTE_PGM_RSRC2:SCRATCH_EN: 1
; COMPUTE_PGM_RSRC2:USER_SGPR: 6
; COMPUTE_PGM_RSRC2:TRAP_HANDLER: 0
; COMPUTE_PGM_RSRC2:TGID_X_EN: 1
; COMPUTE_PGM_RSRC2:TGID_Y_EN: 1
; COMPUTE_PGM_RSRC2:TGID_Z_EN: 1
; COMPUTE_PGM_RSRC2:TIDIG_COMP_CNT: 0
	.text
	.p2align	2                               ; -- Begin function _ZN4vllm22paged_attention_kernelI14__hip_bfloat16hLi96ELi32ELi128ELNS_18Fp8KVCacheDataTypeE1ELb0ELi0EEEvPfS3_PT_PKS4_PKT0_SA_ifPKiSC_iPKfiiiSE_SE_iiiii
	.type	_ZN4vllm22paged_attention_kernelI14__hip_bfloat16hLi96ELi32ELi128ELNS_18Fp8KVCacheDataTypeE1ELb0ELi0EEEvPfS3_PT_PKS4_PKT0_SA_ifPKiSC_iPKfiiiSE_SE_iiiii,@function
_ZN4vllm22paged_attention_kernelI14__hip_bfloat16hLi96ELi32ELi128ELNS_18Fp8KVCacheDataTypeE1ELb0ELi0EEEvPfS3_PT_PKS4_PKT0_SA_ifPKiSC_iPKfiiiSE_SE_iiiii: ; @_ZN4vllm22paged_attention_kernelI14__hip_bfloat16hLi96ELi32ELi128ELNS_18Fp8KVCacheDataTypeE1ELb0ELi0EEEvPfS3_PT_PKS4_PKT0_SA_ifPKiSC_iPKfiiiSE_SE_iiiii
; %bb.0:
	s_waitcnt vmcnt(0) expcnt(0) lgkmcnt(0)
	buffer_store_dword v40, off, s[0:3], s32 offset:188 ; 4-byte Folded Spill
	buffer_store_dword v41, off, s[0:3], s32 offset:184 ; 4-byte Folded Spill
	;; [unrolled: 1-line block ×47, first 2 shown]
	buffer_store_dword v127, off, s[0:3], s32 ; 4-byte Folded Spill
	s_mov_b32 s10, s13
	s_ashr_i32 s11, s13, 31
	buffer_store_dword v18, off, s[0:3], s32 offset:236 ; 4-byte Folded Spill
	buffer_store_dword v11, off, s[0:3], s32 offset:580 ; 4-byte Folded Spill
	;; [unrolled: 1-line block ×4, first 2 shown]
	s_lshl_b64 s[4:5], s[10:11], 2
	buffer_store_dword v1, off, s[0:3], s32 offset:596 ; 4-byte Folded Spill
	buffer_store_dword v0, off, s[0:3], s32 offset:600 ; 4-byte Folded Spill
	v_add_co_u32 v0, vcc_lo, v12, s4
	v_add_co_ci_u32_e64 v1, null, s5, v13, vcc_lo
	s_clause 0x1
	s_load_dword s4, s[8:9], 0x10
	s_load_dword s5, s[8:9], 0x0
	v_mov_b32_e32 v24, v6
	flat_load_dword v29, v[0:1]
	v_sub_nc_u32_e32 v0, 0, v8
	v_mov_b32_e32 v18, v7
	v_mov_b32_e32 v34, 0
	s_mov_b32 s16, s15
	v_max_i32_e32 v0, v8, v0
	v_cvt_f32_u32_e32 v1, v0
	v_sub_nc_u32_e32 v6, 0, v0
	v_rcp_iflag_f32_e32 v1, v1
	s_waitcnt lgkmcnt(0)
	s_lshr_b32 s4, s4, 16
	s_cmp_lg_u32 s4, 0
	s_cselect_b32 s4, -1, 0
	s_cmp_lg_u32 s4, 0
	s_addc_u32 s11, s5, 0
	v_mul_f32_e32 v1, 0x4f7ffffe, v1
	s_abs_i32 s4, s11
	s_mov_b32 s5, exec_lo
	v_cvt_u32_f32_e32 v1, v1
	v_mul_lo_u32 v6, v6, v1
	v_mul_hi_u32 v6, v1, v6
	v_add_nc_u32_e32 v1, v1, v6
	v_mul_hi_u32 v1, s4, v1
	v_mul_lo_u32 v6, v1, v0
	v_add_nc_u32_e32 v7, 1, v1
	v_sub_nc_u32_e32 v6, s4, v6
	s_abs_i32 s4, s12
	v_sub_nc_u32_e32 v9, v6, v0
	v_cmp_ge_u32_e32 vcc_lo, v6, v0
	v_cndmask_b32_e32 v1, v1, v7, vcc_lo
	v_cndmask_b32_e32 v6, v6, v9, vcc_lo
	v_xor_b32_e32 v7, s11, v8
	v_add_nc_u32_e32 v8, 1, v1
	v_cmp_ge_u32_e32 vcc_lo, v6, v0
	v_ashrrev_i32_e32 v7, 31, v7
	v_cndmask_b32_e32 v0, v1, v8, vcc_lo
	v_xor_b32_e32 v0, v0, v7
	v_sub_nc_u32_e32 v1, v0, v7
	v_sub_nc_u32_e32 v0, 0, v1
	v_max_i32_e32 v0, v1, v0
	v_cvt_f32_u32_e32 v6, v0
	v_sub_nc_u32_e32 v7, 0, v0
	v_rcp_iflag_f32_e32 v6, v6
	v_mul_f32_e32 v6, 0x4f7ffffe, v6
	v_cvt_u32_f32_e32 v6, v6
	v_mul_lo_u32 v7, v7, v6
	v_mul_hi_u32 v7, v6, v7
	v_add_nc_u32_e32 v6, v6, v7
	v_mad_u64_u32 v[12:13], null, s4, v6, 0
	v_cmpx_ne_u64_e32 0, v[15:16]
	s_cbranch_execz .LBB362_2
; %bb.1:
	s_ashr_i32 s13, s12, 31
	s_lshl_b64 s[6:7], s[12:13], 2
	v_add_co_u32 v6, vcc_lo, v15, s6
	v_add_co_ci_u32_e64 v7, null, s7, v16, vcc_lo
	flat_load_dword v34, v[6:7]
.LBB362_2:
	s_or_b32 exec_lo, exec_lo, s5
	v_and_b32_e32 v32, 0x3ff, v31
	v_ashrrev_i32_e32 v1, 31, v1
	s_ashr_i32 s5, s12, 31
	s_mulk_i32 s12, 0x60
	s_mov_b32 s6, exec_lo
	v_cmpx_gt_u32_e32 12, v32
	s_cbranch_execz .LBB362_4
; %bb.3:
	v_mul_lo_u32 v6, v17, s10
	s_ashr_i32 s13, s12, 31
	v_lshlrev_b32_e32 v10, 4, v32
	s_lshl_b64 s[18:19], s[12:13], 1
	v_ashrrev_i32_e32 v7, 31, v6
	v_lshlrev_b64 v[6:7], 1, v[6:7]
	v_add_co_u32 v2, vcc_lo, v2, v6
	v_add_co_ci_u32_e64 v3, null, v3, v7, vcc_lo
	v_add_co_u32 v2, vcc_lo, v2, s18
	v_add_co_ci_u32_e64 v3, null, s19, v3, vcc_lo
	;; [unrolled: 2-line block ×3, first 2 shown]
	flat_load_dwordx4 v[6:9], v[2:3]
	s_waitcnt vmcnt(0) lgkmcnt(0)
	ds_write_b128 v10, v[6:9]
.LBB362_4:
	s_or_b32 exec_lo, exec_lo, s6
	v_mul_lo_u32 v2, v13, v0
	v_add_nc_u32_e32 v3, 1, v13
	s_waitcnt vmcnt(0)
	v_add_nc_u32_e32 v7, 31, v29
	v_xor_b32_e32 v1, s5, v1
	s_clause 0x1
	s_load_dword s7, s[8:9], 0x14
	s_load_dword s13, s[8:9], 0x8
	v_lshrrev_b32_e32 v68, 5, v32
	v_and_b32_e32 v52, 31, v32
	v_mov_b32_e32 v30, 0xff7fffff
	v_sub_nc_u32_e32 v2, s4, v2
	v_lshrrev_b32_e32 v10, 3, v32
	v_lshlrev_b32_e32 v12, 2, v52
	v_sub_nc_u32_e32 v6, v2, v0
	v_cmp_ge_u32_e32 vcc_lo, v2, v0
	v_cndmask_b32_e32 v3, v13, v3, vcc_lo
	v_cndmask_b32_e32 v2, v2, v6, vcc_lo
	v_add_nc_u32_e32 v6, 1, v3
	v_cmp_ge_u32_e32 vcc_lo, v2, v0
	v_mul_lo_u32 v0, v14, s10
	v_cndmask_b32_e32 v2, v3, v6, vcc_lo
	v_ashrrev_i32_e32 v3, 31, v7
	v_xor_b32_e32 v2, v2, v1
	v_lshrrev_b32_e32 v3, 27, v3
	v_sub_nc_u32_e32 v2, v2, v1
	v_add_nc_u32_e32 v3, v7, v3
	v_ashrrev_i32_e32 v1, 31, v0
	v_mul_lo_u32 v6, v2, v19
	v_ashrrev_i32_e32 v2, 5, v3
	v_lshlrev_b64 v[15:16], 2, v[0:1]
	v_cmp_ge_i32_e64 s4, v68, v2
	buffer_store_dword v2, off, s[0:3], s32 offset:192 ; 4-byte Folded Spill
	v_ashrrev_i32_e32 v0, 31, v6
	v_cmp_lt_i32_e32 vcc_lo, v68, v2
	buffer_store_dword v6, off, s[0:3], s32 offset:588 ; 4-byte Folded Spill
	buffer_store_dword v0, off, s[0:3], s32 offset:592 ; 4-byte Folded Spill
	s_waitcnt lgkmcnt(0)
	s_waitcnt_vscnt null, 0x0
	s_barrier
	buffer_gl0_inv
	s_mov_b32 s15, exec_lo
	s_and_b32 s5, s15, vcc_lo
	buffer_store_dword v32, off, s[0:3], s32 offset:568 ; 4-byte Folded Spill
	buffer_store_dword v68, off, s[0:3], s32 offset:572 ; 4-byte Folded Spill
	buffer_store_dword v52, off, s[0:3], s32 offset:576 ; 4-byte Folded Spill
	s_mov_b32 exec_lo, s5
	s_cbranch_execz .LBB362_776
; %bb.5:
	v_mov_b32_e32 v13, 0
	buffer_store_dword v22, off, s[0:3], s32 offset:612 ; 4-byte Folded Spill
	buffer_store_dword v23, off, s[0:3], s32 offset:616 ; 4-byte Folded Spill
	;; [unrolled: 1-line block ×4, first 2 shown]
	s_getpc_b64 s[8:9]
	s_add_u32 s8, s8, llvm.amdgcn.dynlds.offset.table@rel32@lo+4
	s_addc_u32 s9, s9, llvm.amdgcn.dynlds.offset.table@rel32@hi+12
	s_ashr_i32 s17, s16, 31
	v_mov_b32_e32 v30, 0xff7fffff
	ds_read_b128 v[0:3], v13
	ds_read_b128 v[6:9], v13 offset:16
	buffer_store_dword v10, off, s[0:3], s32 offset:628 ; 4-byte Folded Spill
	s_lshl_b64 s[18:19], s[16:17], 2
	v_mov_b32_e32 v53, 7
	s_add_u32 s8, s8, s18
	s_addc_u32 s9, s9, s19
	s_mov_b32 s17, 0
	s_waitcnt lgkmcnt(1)
	v_lshlrev_b32_e32 v11, 16, v0
	v_and_b32_e32 v0, 0xffff0000, v0
	buffer_store_dword v11, off, s[0:3], s32 offset:200 ; 4-byte Folded Spill
	buffer_store_dword v0, off, s[0:3], s32 offset:204 ; 4-byte Folded Spill
	v_lshlrev_b32_e32 v0, 16, v1
	v_mov_b32_e32 v11, 0xffff
	buffer_store_dword v0, off, s[0:3], s32 offset:208 ; 4-byte Folded Spill
	v_and_b32_e32 v0, 0xffff0000, v1
	buffer_store_dword v0, off, s[0:3], s32 offset:212 ; 4-byte Folded Spill
	v_lshlrev_b32_e32 v0, 16, v2
	buffer_store_dword v0, off, s[0:3], s32 offset:216 ; 4-byte Folded Spill
	v_and_b32_e32 v0, 0xffff0000, v2
	buffer_store_dword v0, off, s[0:3], s32 offset:220 ; 4-byte Folded Spill
	v_lshlrev_b32_e32 v0, 16, v3
	buffer_store_dword v0, off, s[0:3], s32 offset:224 ; 4-byte Folded Spill
	v_and_b32_e32 v0, 0xffff0000, v3
	buffer_store_dword v0, off, s[0:3], s32 offset:228 ; 4-byte Folded Spill
	s_waitcnt lgkmcnt(0)
	v_lshlrev_b32_e32 v0, 16, v6
	buffer_store_dword v0, off, s[0:3], s32 offset:232 ; 4-byte Folded Spill
	v_and_b32_e32 v0, 0xffff0000, v6
	buffer_store_dword v0, off, s[0:3], s32 offset:240 ; 4-byte Folded Spill
	v_lshlrev_b32_e32 v0, 16, v7
	buffer_store_dword v0, off, s[0:3], s32 offset:248 ; 4-byte Folded Spill
	v_and_b32_e32 v0, 0xffff0000, v7
	v_lshl_or_b32 v7, v68, 5, v52
	buffer_store_dword v0, off, s[0:3], s32 offset:252 ; 4-byte Folded Spill
	v_lshlrev_b32_e32 v0, 16, v8
	buffer_store_dword v0, off, s[0:3], s32 offset:256 ; 4-byte Folded Spill
	v_and_b32_e32 v0, 0xffff0000, v8
	buffer_store_dword v0, off, s[0:3], s32 offset:260 ; 4-byte Folded Spill
	v_lshlrev_b32_e32 v0, 16, v9
	buffer_store_dword v0, off, s[0:3], s32 offset:264 ; 4-byte Folded Spill
	v_and_b32_e32 v0, 0xffff0000, v9
	buffer_store_dword v0, off, s[0:3], s32 offset:268 ; 4-byte Folded Spill
	ds_read_b128 v[0:3], v13 offset:32
	s_waitcnt lgkmcnt(0)
	v_lshlrev_b32_e32 v6, 16, v0
	v_and_b32_e32 v0, 0xffff0000, v0
	buffer_store_dword v6, off, s[0:3], s32 offset:272 ; 4-byte Folded Spill
	buffer_store_dword v0, off, s[0:3], s32 offset:276 ; 4-byte Folded Spill
	v_lshlrev_b32_e32 v0, 16, v1
	buffer_store_dword v0, off, s[0:3], s32 offset:280 ; 4-byte Folded Spill
	v_and_b32_e32 v0, 0xffff0000, v1
	buffer_store_dword v0, off, s[0:3], s32 offset:284 ; 4-byte Folded Spill
	v_lshlrev_b32_e32 v0, 16, v2
	buffer_store_dword v0, off, s[0:3], s32 offset:288 ; 4-byte Folded Spill
	v_and_b32_e32 v0, 0xffff0000, v2
	buffer_store_dword v0, off, s[0:3], s32 offset:292 ; 4-byte Folded Spill
	v_lshlrev_b32_e32 v0, 16, v3
	buffer_store_dword v0, off, s[0:3], s32 offset:296 ; 4-byte Folded Spill
	v_and_b32_e32 v0, 0xffff0000, v3
	buffer_store_dword v0, off, s[0:3], s32 offset:300 ; 4-byte Folded Spill
	ds_read_b128 v[0:3], v13 offset:48
	s_waitcnt lgkmcnt(0)
	v_lshlrev_b32_e32 v6, 16, v0
	v_and_b32_e32 v0, 0xffff0000, v0
	buffer_store_dword v6, off, s[0:3], s32 offset:304 ; 4-byte Folded Spill
	buffer_store_dword v0, off, s[0:3], s32 offset:308 ; 4-byte Folded Spill
	v_lshlrev_b32_e32 v0, 16, v1
	buffer_store_dword v0, off, s[0:3], s32 offset:312 ; 4-byte Folded Spill
	v_and_b32_e32 v0, 0xffff0000, v1
	;; [unrolled: 18-line block ×9, first 2 shown]
	buffer_store_dword v0, off, s[0:3], s32 offset:540 ; 4-byte Folded Spill
	v_lshlrev_b32_e32 v0, 16, v2
	buffer_store_dword v0, off, s[0:3], s32 offset:544 ; 4-byte Folded Spill
	v_and_b32_e32 v0, 0xffff0000, v2
	buffer_store_dword v0, off, s[0:3], s32 offset:548 ; 4-byte Folded Spill
	v_lshlrev_b32_e32 v0, 16, v3
	buffer_store_dword v0, off, s[0:3], s32 offset:552 ; 4-byte Folded Spill
	v_and_b32_e32 v0, 0xffff0000, v3
	buffer_store_dword v0, off, s[0:3], s32 offset:556 ; 4-byte Folded Spill
	ds_read_b128 v[0:3], v13 offset:176
	s_waitcnt lgkmcnt(0)
	v_lshlrev_b32_e32 v6, 16, v0
	v_and_b32_e32 v0, 0xffff0000, v0
	v_lshlrev_b32_e32 v126, 16, v1
	v_and_b32_e32 v127, 0xffff0000, v1
	;; [unrolled: 2-line block ×3, first 2 shown]
	buffer_load_dword v2, off, s[0:3], s32 offset:588 ; 4-byte Folded Reload
	buffer_store_dword v0, off, s[0:3], s32 offset:564 ; 4-byte Folded Spill
	v_lshlrev_b32_e32 v0, 16, v3
	v_and_b32_e32 v31, 0xffff0000, v3
	buffer_load_dword v3, off, s[0:3], s32 offset:592 ; 4-byte Folded Reload
	buffer_store_dword v6, off, s[0:3], s32 offset:560 ; 4-byte Folded Spill
	s_waitcnt vmcnt(1)
	v_add_co_u32 v2, vcc_lo, v4, v2
	v_lshlrev_b32_e32 v4, 4, v52
	s_waitcnt vmcnt(0)
	v_add_co_ci_u32_e64 v3, null, v5, v3, vcc_lo
	v_add_co_u32 v4, vcc_lo, v2, v4
	v_and_b32_e32 v2, 0x7c, v10
	v_add_co_ci_u32_e64 v5, null, 0, v3, vcc_lo
	v_mov_b32_e32 v10, 0xff
	v_add_co_u32 v2, vcc_lo, v2, v15
	buffer_store_dword v15, off, s[0:3], s32 offset:620 ; 4-byte Folded Spill
	buffer_store_dword v16, off, s[0:3], s32 offset:624 ; 4-byte Folded Spill
	buffer_load_dword v6, off, s[0:3], s32 offset:584 ; 4-byte Folded Reload
	s_load_dword s5, s[8:9], 0x0
	s_mov_b32 s8, -1
	s_mov_b32 s9, 0xffffff
	buffer_store_dword v12, off, s[0:3], s32 offset:632 ; 4-byte Folded Spill
	v_add_co_ci_u32_e64 v3, null, 0, v16, vcc_lo
	s_waitcnt vmcnt(0)
	v_add_co_u32 v14, vcc_lo, v6, v2
	buffer_load_dword v2, off, s[0:3], s32 offset:580 ; 4-byte Folded Reload
	v_mov_b32_e32 v6, 0x80
	s_waitcnt vmcnt(0)
	v_add_co_ci_u32_e64 v15, null, v2, v3, vcc_lo
	v_lshl_or_b32 v2, v68, 7, v12
	v_mov_b32_e32 v3, v68
	v_cmp_neq_f32_e32 vcc_lo, 0, v34
	s_waitcnt lgkmcnt(0)
	v_add_nc_u32_e32 v8, s5, v2
	v_mov_b32_e32 v2, 24
	s_branch .LBB362_10
.LBB362_6:                              ;   in Loop: Header=BB362_10 Depth=1
	s_or_b32 exec_lo, exec_lo, s20
	v_lshlrev_b32_sdwa v12, v2, v17 dst_sel:DWORD dst_unused:UNUSED_PAD src0_sel:DWORD src1_sel:BYTE_3
	v_lshlrev_b32_e32 v17, 20, v24
	v_lshl_add_u32 v16, v16, 23, 0x3c000000
	v_and_b32_e32 v12, 0x80000000, v12
	v_or3_b32 v121, v17, v12, v16
.LBB362_7:                              ;   in Loop: Header=BB362_10 Depth=1
	s_or_b32 exec_lo, exec_lo, s19
.LBB362_8:                              ;   in Loop: Header=BB362_10 Depth=1
	s_or_b32 exec_lo, exec_lo, s18
.LBB362_9:                              ;   in Loop: Header=BB362_10 Depth=1
	s_or_b32 exec_lo, exec_lo, s6
	v_mul_f32_e32 v12, v19, v122
	v_mul_f32_e32 v92, v19, v92
	v_mul_f32_e32 v90, v19, v90
	v_mul_f32_e32 v89, v19, v89
	v_mul_f32_e32 v88, v19, v88
	v_bfe_u32 v16, v12, 16, 1
	v_or_b32_e32 v17, 0x400000, v12
	v_cmp_u_f32_e64 s5, v12, v12
	v_mul_f32_e32 v79, v19, v79
	v_mul_f32_e32 v78, v19, v78
	v_add3_u32 v16, v16, v12, 0x7fff
	v_mul_f32_e32 v76, v19, v76
	v_mul_f32_e32 v74, v19, v74
	v_mul_f32_e32 v73, v19, v73
	v_mul_f32_e32 v72, v19, v72
	v_cndmask_b32_e64 v12, v16, v17, s5
	v_mul_f32_e32 v16, v19, v109
	v_mul_f32_e32 v63, v19, v63
	v_mul_f32_e32 v62, v19, v62
	v_mul_f32_e32 v61, v19, v61
	v_mul_f32_e32 v59, v19, v59
	v_bfe_u32 v17, v16, 16, 1
	v_or_b32_e32 v24, 0x400000, v16
	v_cmp_u_f32_e64 s5, v16, v16
	v_mul_f32_e32 v58, v19, v58
	v_mul_f32_e32 v57, v19, v57
	v_add3_u32 v17, v17, v16, 0x7fff
	v_mul_f32_e32 v56, v19, v56
	v_mul_f32_e32 v47, v19, v47
	v_mul_f32_e32 v32, v19, v32
	v_mul_f32_e32 v45, v19, v45
	v_cndmask_b32_e64 v16, v17, v24, s5
	v_mul_f32_e32 v17, v19, v108
	v_mul_f32_e32 v43, v19, v43
	v_mul_f32_e32 v42, v19, v42
	v_mul_f32_e32 v41, v19, v41
	v_mul_f32_e32 v40, v19, v40
	v_bfe_u32 v24, v17, 16, 1
	v_or_b32_e32 v25, 0x400000, v17
	v_cmp_u_f32_e64 s5, v17, v17
	v_mul_f32_e32 v119, v19, v119
	v_mul_f32_e32 v117, v19, v117
	v_add3_u32 v24, v24, v17, 0x7fff
	v_mul_f32_e32 v17, v19, v105
	v_mul_f32_e32 v115, v19, v115
	v_mul_f32_e32 v114, v19, v114
	v_mul_f32_e32 v113, v19, v113
	v_cndmask_b32_e64 v25, v24, v25, s5
	v_bfe_u32 v24, v17, 16, 1
	v_or_b32_e32 v105, 0x400000, v17
	v_cmp_u_f32_e64 s5, v17, v17
	v_mul_f32_e32 v112, v19, v112
	v_mul_f32_e32 v103, v19, v103
	v_add3_u32 v24, v24, v17, 0x7fff
	v_mul_f32_e32 v17, v19, v104
	v_mul_f32_e32 v102, v19, v102
	v_mul_f32_e32 v100, v19, v100
	v_mul_f32_e32 v99, v19, v99
	v_cndmask_b32_e64 v105, v24, v105, s5
	v_bfe_u32 v24, v17, 16, 1
	v_or_b32_e32 v104, 0x400000, v17
	v_cmp_u_f32_e64 s5, v17, v17
	v_mul_f32_e32 v98, v19, v98
	v_mul_f32_e32 v97, v19, v97
	v_add3_u32 v24, v24, v17, 0x7fff
	v_mul_f32_e32 v17, v19, v95
	v_mul_f32_e32 v96, v19, v96
	v_mul_f32_e32 v9, v19, v9
	v_mul_f32_e32 v86, v19, v86
	v_cndmask_b32_e64 v104, v24, v104, s5
	;; [unrolled: 11-line block ×6, first 2 shown]
	v_bfe_u32 v108, v90, 16, 1
	v_or_b32_e32 v109, 0x400000, v90
	v_cmp_u_f32_e64 s5, v90, v90
	v_and_b32_e32 v16, 0xffff0000, v16
	v_and_b32_e32 v12, 0xffff0000, v12
	v_add3_u32 v108, v108, v90, 0x7fff
	v_add_nc_u32_e32 v3, 4, v3
	v_add_co_u32 v14, s6, v14, 16
	v_add_co_ci_u32_e64 v15, null, 0, v15, s6
	v_cndmask_b32_e64 v90, v108, v109, s5
	v_bfe_u32 v108, v89, 16, 1
	v_or_b32_e32 v109, 0x400000, v89
	v_cmp_u_f32_e64 s5, v89, v89
	v_add3_u32 v108, v108, v89, 0x7fff
	v_cndmask_b32_e64 v89, v108, v109, s5
	v_bfe_u32 v108, v88, 16, 1
	v_or_b32_e32 v109, 0x400000, v88
	v_cmp_u_f32_e64 s5, v88, v88
	v_add3_u32 v108, v108, v88, 0x7fff
	;; [unrolled: 5-line block ×4, first 2 shown]
	v_mul_f32_e32 v78, v19, v91
	v_cndmask_b32_e64 v108, v108, v109, s5
	v_bfe_u32 v91, v78, 16, 1
	v_or_b32_e32 v109, 0x400000, v78
	v_cmp_u_f32_e64 s5, v78, v78
	v_add3_u32 v91, v91, v78, 0x7fff
	v_cndmask_b32_e64 v78, v91, v109, s5
	v_mul_f32_e32 v91, v19, v94
	v_bfe_u32 v94, v91, 16, 1
	v_or_b32_e32 v109, 0x400000, v91
	v_cmp_u_f32_e64 s5, v91, v91
	v_add3_u32 v94, v94, v91, 0x7fff
	v_cndmask_b32_e64 v91, v94, v109, s5
	v_bfe_u32 v94, v76, 16, 1
	v_or_b32_e32 v109, 0x400000, v76
	v_cmp_u_f32_e64 s5, v76, v76
	v_add3_u32 v94, v94, v76, 0x7fff
	v_cndmask_b32_e64 v76, v94, v109, s5
	;; [unrolled: 5-line block ×6, first 2 shown]
	v_bfe_u32 v94, v62, 16, 1
	v_or_b32_e32 v109, 0x400000, v62
	v_cmp_u_f32_e64 s5, v62, v62
	v_add3_u32 v94, v94, v62, 0x7fff
	v_mul_f32_e32 v62, v19, v75
	v_cndmask_b32_e64 v94, v94, v109, s5
	v_bfe_u32 v75, v62, 16, 1
	v_or_b32_e32 v109, 0x400000, v62
	v_cmp_u_f32_e64 s5, v62, v62
	v_add3_u32 v75, v75, v62, 0x7fff
	v_cndmask_b32_e64 v62, v75, v109, s5
	v_mul_f32_e32 v75, v19, v77
	v_bfe_u32 v77, v75, 16, 1
	v_or_b32_e32 v109, 0x400000, v75
	v_cmp_u_f32_e64 s5, v75, v75
	v_add3_u32 v77, v77, v75, 0x7fff
	v_cndmask_b32_e64 v75, v77, v109, s5
	v_bfe_u32 v77, v61, 16, 1
	v_or_b32_e32 v109, 0x400000, v61
	v_cmp_u_f32_e64 s5, v61, v61
	v_add3_u32 v77, v77, v61, 0x7fff
	v_cndmask_b32_e64 v61, v77, v109, s5
	;; [unrolled: 5-line block ×6, first 2 shown]
	v_bfe_u32 v77, v47, 16, 1
	v_or_b32_e32 v109, 0x400000, v47
	v_cmp_u_f32_e64 s5, v47, v47
	v_add3_u32 v77, v77, v47, 0x7fff
	v_mul_f32_e32 v47, v19, v60
	v_cndmask_b32_e64 v77, v77, v109, s5
	v_bfe_u32 v60, v47, 16, 1
	v_or_b32_e32 v109, 0x400000, v47
	v_cmp_u_f32_e64 s5, v47, v47
	v_add3_u32 v60, v60, v47, 0x7fff
	v_cndmask_b32_e64 v47, v60, v109, s5
	v_bfe_u32 v60, v32, 16, 1
	v_or_b32_e32 v109, 0x400000, v32
	v_cmp_u_f32_e64 s5, v32, v32
	v_add3_u32 v60, v60, v32, 0x7fff
	;; [unrolled: 5-line block ×8, first 2 shown]
	v_mul_f32_e32 v119, v19, v44
	v_cndmask_b32_e64 v60, v60, v109, s5
	v_bfe_u32 v44, v119, 16, 1
	v_or_b32_e32 v109, 0x400000, v119
	v_cmp_u_f32_e64 s5, v119, v119
	v_add3_u32 v44, v44, v119, 0x7fff
	v_cndmask_b32_e64 v119, v44, v109, s5
	v_mul_f32_e32 v44, v19, v46
	v_bfe_u32 v46, v44, 16, 1
	v_or_b32_e32 v109, 0x400000, v44
	v_cmp_u_f32_e64 s5, v44, v44
	v_add3_u32 v46, v46, v44, 0x7fff
	v_cndmask_b32_e64 v44, v46, v109, s5
	v_bfe_u32 v46, v117, 16, 1
	v_or_b32_e32 v109, 0x400000, v117
	v_cmp_u_f32_e64 s5, v117, v117
	v_add3_u32 v46, v46, v117, 0x7fff
	v_cndmask_b32_e64 v117, v46, v109, s5
	;; [unrolled: 5-line block ×6, first 2 shown]
	v_bfe_u32 v46, v103, 16, 1
	v_or_b32_e32 v109, 0x400000, v103
	v_cmp_u_f32_e64 s5, v103, v103
	v_add3_u32 v46, v46, v103, 0x7fff
	v_mul_f32_e32 v103, v19, v116
	v_cndmask_b32_e64 v46, v46, v109, s5
	v_bfe_u32 v116, v103, 16, 1
	v_or_b32_e32 v109, 0x400000, v103
	v_cmp_u_f32_e64 s5, v103, v103
	v_add3_u32 v116, v116, v103, 0x7fff
	v_cndmask_b32_e64 v103, v116, v109, s5
	v_mul_f32_e32 v116, v19, v118
	v_bfe_u32 v118, v116, 16, 1
	v_or_b32_e32 v109, 0x400000, v116
	v_cmp_u_f32_e64 s5, v116, v116
	v_add3_u32 v118, v118, v116, 0x7fff
	v_cndmask_b32_e64 v116, v118, v109, s5
	v_bfe_u32 v118, v102, 16, 1
	v_or_b32_e32 v109, 0x400000, v102
	v_cmp_u_f32_e64 s5, v102, v102
	v_add3_u32 v118, v118, v102, 0x7fff
	v_cndmask_b32_e64 v102, v118, v109, s5
	;; [unrolled: 5-line block ×6, first 2 shown]
	v_bfe_u32 v118, v96, 16, 1
	v_or_b32_e32 v109, 0x400000, v96
	v_cmp_u_f32_e64 s5, v96, v96
	v_add3_u32 v118, v118, v96, 0x7fff
	v_mul_f32_e32 v96, v19, v101
	v_cndmask_b32_e64 v118, v118, v109, s5
	v_bfe_u32 v101, v96, 16, 1
	v_or_b32_e32 v109, 0x400000, v96
	v_cmp_u_f32_e64 s5, v96, v96
	v_add3_u32 v101, v101, v96, 0x7fff
	v_cndmask_b32_e64 v96, v101, v109, s5
	v_bfe_u32 v101, v9, 16, 1
	v_or_b32_e32 v109, 0x400000, v9
	v_cmp_u_f32_e64 s5, v9, v9
	v_add3_u32 v101, v101, v9, 0x7fff
	v_cndmask_b32_e64 v9, v101, v109, s5
	v_bfe_u32 v101, v86, 16, 1
	v_or_b32_e32 v109, 0x400000, v86
	v_cmp_u_f32_e64 s5, v86, v86
	v_and_b32_e32 v9, 0xffff0000, v9
	v_add3_u32 v101, v101, v86, 0x7fff
	v_cndmask_b32_e64 v86, v101, v109, s5
	v_bfe_u32 v101, v84, 16, 1
	v_or_b32_e32 v109, 0x400000, v84
	v_cmp_u_f32_e64 s5, v84, v84
	v_add3_u32 v101, v101, v84, 0x7fff
	v_cndmask_b32_e64 v84, v101, v109, s5
	v_bfe_u32 v101, v83, 16, 1
	v_or_b32_e32 v109, 0x400000, v83
	v_cmp_u_f32_e64 s5, v83, v83
	;; [unrolled: 5-line block ×5, first 2 shown]
	v_add3_u32 v101, v101, v80, 0x7fff
	v_mul_f32_e32 v80, v19, v85
	v_cndmask_b32_e64 v101, v101, v109, s5
	v_bfe_u32 v85, v80, 16, 1
	v_or_b32_e32 v109, 0x400000, v80
	v_cmp_u_f32_e64 s5, v80, v80
	v_add3_u32 v85, v85, v80, 0x7fff
	v_cndmask_b32_e64 v80, v85, v109, s5
	v_mul_f32_e32 v85, v19, v87
	v_bfe_u32 v87, v85, 16, 1
	v_or_b32_e32 v109, 0x400000, v85
	v_cmp_u_f32_e64 s5, v85, v85
	v_add3_u32 v87, v87, v85, 0x7fff
	v_cndmask_b32_e64 v85, v87, v109, s5
	v_bfe_u32 v87, v70, 16, 1
	v_or_b32_e32 v109, 0x400000, v70
	v_cmp_u_f32_e64 s5, v70, v70
	v_add3_u32 v87, v87, v70, 0x7fff
	v_cndmask_b32_e64 v70, v87, v109, s5
	;; [unrolled: 5-line block ×6, first 2 shown]
	v_bfe_u32 v87, v64, 16, 1
	v_or_b32_e32 v109, 0x400000, v64
	v_cmp_u_f32_e64 s5, v64, v64
	v_add3_u32 v87, v87, v64, 0x7fff
	v_mul_f32_e32 v64, v19, v69
	v_cndmask_b32_e64 v87, v87, v109, s5
	v_bfe_u32 v69, v64, 16, 1
	v_or_b32_e32 v109, 0x400000, v64
	v_cmp_u_f32_e64 s5, v64, v64
	v_add3_u32 v69, v69, v64, 0x7fff
	v_cndmask_b32_e64 v64, v69, v109, s5
	v_mul_f32_e32 v69, v19, v71
	v_bfe_u32 v71, v69, 16, 1
	v_or_b32_e32 v109, 0x400000, v69
	v_cmp_u_f32_e64 s5, v69, v69
	v_add3_u32 v71, v71, v69, 0x7fff
	v_cndmask_b32_e64 v69, v71, v109, s5
	v_bfe_u32 v71, v54, 16, 1
	v_or_b32_e32 v109, 0x400000, v54
	v_cmp_u_f32_e64 s5, v54, v54
	v_add3_u32 v71, v71, v54, 0x7fff
	v_cndmask_b32_e64 v54, v71, v109, s5
	v_bfe_u32 v71, v51, 16, 1
	v_or_b32_e32 v109, 0x400000, v51
	v_cmp_u_f32_e64 s5, v51, v51
	v_add3_u32 v71, v71, v51, 0x7fff
	v_bfe_u32 v51, v50, 16, 1
	v_cndmask_b32_e64 v71, v71, v109, s5
	v_add3_u32 v51, v51, v50, 0x7fff
	v_or_b32_e32 v109, 0x400000, v50
	v_cmp_u_f32_e64 s5, v50, v50
	v_bfe_u32 v50, v49, 16, 1
	v_cndmask_b32_e64 v109, v51, v109, s5
	v_add3_u32 v50, v50, v49, 0x7fff
	v_or_b32_e32 v51, 0x400000, v49
	v_cmp_u_f32_e64 s5, v49, v49
	v_cndmask_b32_e64 v49, v50, v51, s5
	v_bfe_u32 v50, v48, 16, 1
	v_or_b32_e32 v51, 0x400000, v48
	v_cmp_u_f32_e64 s5, v48, v48
	v_add3_u32 v50, v50, v48, 0x7fff
	v_bfe_u32 v48, v39, 16, 1
	v_cndmask_b32_e64 v51, v50, v51, s5
	v_add3_u32 v48, v48, v39, 0x7fff
	v_or_b32_e32 v50, 0x400000, v39
	v_cmp_u_f32_e64 s5, v39, v39
	v_cndmask_b32_e64 v39, v48, v50, s5
	v_mul_f32_e32 v48, v19, v52
	v_bfe_u32 v50, v48, 16, 1
	v_or_b32_e32 v52, 0x400000, v48
	v_cmp_u_f32_e64 s5, v48, v48
	v_add3_u32 v50, v50, v48, 0x7fff
	v_mul_f32_e32 v48, v19, v55
	v_cndmask_b32_e64 v52, v50, v52, s5
	v_bfe_u32 v50, v48, 16, 1
	v_or_b32_e32 v55, 0x400000, v48
	v_cmp_u_f32_e64 s5, v48, v48
	v_add3_u32 v50, v50, v48, 0x7fff
	v_bfe_u32 v48, v37, 16, 1
	v_cndmask_b32_e64 v55, v50, v55, s5
	v_add3_u32 v48, v48, v37, 0x7fff
	v_or_b32_e32 v50, 0x400000, v37
	v_cmp_u_f32_e64 s5, v37, v37
	v_cndmask_b32_e64 v37, v48, v50, s5
	v_bfe_u32 v48, v22, 16, 1
	v_or_b32_e32 v50, 0x400000, v22
	v_cmp_u_f32_e64 s5, v22, v22
	v_add3_u32 v48, v48, v22, 0x7fff
	v_mul_f32_e32 v22, v19, v23
	v_cndmask_b32_e64 v120, v48, v50, s5
	v_bfe_u32 v23, v22, 16, 1
	v_or_b32_e32 v48, 0x400000, v22
	v_cmp_u_f32_e64 s5, v22, v22
	v_add3_u32 v23, v23, v22, 0x7fff
	v_bfe_u32 v22, v18, 16, 1
	v_cndmask_b32_e64 v122, v23, v48, s5
	v_add3_u32 v22, v22, v18, 0x7fff
	v_or_b32_e32 v23, 0x400000, v18
	v_cmp_u_f32_e64 s5, v18, v18
	v_mul_f32_e32 v18, v19, v35
	v_cndmask_b32_e64 v123, v22, v23, s5
	v_bfe_u32 v22, v18, 16, 1
	v_or_b32_e32 v23, 0x400000, v18
	v_cmp_u_f32_e64 s5, v18, v18
	v_add3_u32 v22, v22, v18, 0x7fff
	v_mul_f32_e32 v18, v19, v28
	v_cndmask_b32_e64 v35, v22, v23, s5
	v_bfe_u32 v22, v18, 16, 1
	v_or_b32_e32 v23, 0x400000, v18
	v_cmp_u_f32_e64 s5, v18, v18
	v_and_b32_e32 v35, 0xffff0000, v35
	v_add3_u32 v22, v22, v18, 0x7fff
	v_mul_f32_e32 v18, v19, v36
	v_cndmask_b32_e64 v28, v22, v23, s5
	v_bfe_u32 v22, v18, 16, 1
	v_or_b32_e32 v23, 0x400000, v18
	v_cmp_u_f32_e64 s5, v18, v18
	v_and_b32_e32 v28, 0xffff0000, v28
	v_add3_u32 v22, v22, v18, 0x7fff
	v_mul_f32_e32 v18, v19, v38
	v_cndmask_b32_e64 v124, v22, v23, s5
	v_bfe_u32 v22, v18, 16, 1
	v_or_b32_e32 v23, 0x400000, v18
	v_cmp_u_f32_e64 s5, v18, v18
	v_add3_u32 v22, v22, v18, 0x7fff
	v_mul_f32_e32 v18, v19, v111
	v_cndmask_b32_e64 v125, v22, v23, s5
	v_bfe_u32 v22, v18, 16, 1
	v_or_b32_e32 v23, 0x400000, v18
	v_cmp_u_f32_e64 s5, v18, v18
	v_add3_u32 v22, v22, v18, 0x7fff
	v_cndmask_b32_e64 v18, v22, v23, s5
	v_mul_f32_e32 v22, v19, v107
	v_bfe_u32 v23, v22, 16, 1
	v_or_b32_e32 v36, 0x400000, v22
	v_cmp_u_f32_e64 s5, v22, v22
	v_add3_u32 v23, v23, v22, 0x7fff
	v_cndmask_b32_e64 v22, v23, v36, s5
	v_mul_f32_e32 v23, v19, v106
	v_bfe_u32 v36, v23, 16, 1
	v_or_b32_e32 v38, 0x400000, v23
	v_cmp_u_f32_e64 s5, v23, v23
	v_add3_u32 v36, v36, v23, 0x7fff
	v_cndmask_b32_e64 v23, v36, v38, s5
	v_bfe_u32 v36, v27, 16, 1
	v_or_b32_e32 v38, 0x400000, v27
	v_cmp_u_f32_e64 s5, v27, v27
	v_add3_u32 v36, v36, v27, 0x7fff
	v_cndmask_b32_e64 v27, v36, v38, s5
	v_bfe_u32 v36, v26, 16, 1
	v_or_b32_e32 v38, 0x400000, v26
	v_cmp_u_f32_e64 s5, v26, v26
	v_add3_u32 v36, v36, v26, 0x7fff
	v_mul_f32_e32 v26, v19, v93
	v_cndmask_b32_e64 v36, v36, v38, s5
	v_bfe_u32 v38, v26, 16, 1
	v_or_b32_e32 v48, 0x400000, v26
	v_cmp_u_f32_e64 s5, v26, v26
	v_add3_u32 v38, v38, v26, 0x7fff
	v_mul_f32_e32 v26, v19, v110
	v_cndmask_b32_e64 v48, v38, v48, s5
	v_mul_f32_e32 v38, v19, v121
	v_bfe_u32 v19, v26, 16, 1
	v_or_b32_e32 v50, 0x400000, v26
	v_cmp_u_f32_e64 s5, v26, v26
	v_add3_u32 v19, v19, v26, 0x7fff
	v_bfe_u32 v26, v38, 16, 1
	v_cndmask_b32_e64 v19, v19, v50, s5
	v_add3_u32 v26, v26, v38, 0x7fff
	v_or_b32_e32 v50, 0x400000, v38
	v_cmp_u_f32_e64 s5, v38, v38
	v_and_b32_e32 v38, 0xffff0000, v39
	buffer_load_dword v39, off, s[0:3], s32 offset:232 ; 4-byte Folded Reload
	v_cndmask_b32_e64 v26, v26, v50, s5
	v_cmp_lt_i32_e64 s5, v7, v29
	s_waitcnt vmcnt(0)
	v_mul_f32_e32 v50, v39, v38
	buffer_load_dword v38, off, s[0:3], s32 offset:200 ; 4-byte Folded Reload
	s_waitcnt vmcnt(0)
	v_fmac_f32_e32 v50, v38, v28
	buffer_load_dword v38, off, s[0:3], s32 offset:240 ; 4-byte Folded Reload
	v_and_b32_e32 v28, 0xffff0000, v51
	s_waitcnt vmcnt(0)
	v_mul_f32_e32 v51, v38, v28
	s_clause 0x1
	buffer_load_dword v28, off, s[0:3], s32 offset:204
	buffer_load_dword v38, off, s[0:3], s32 offset:248
	s_waitcnt vmcnt(1)
	v_fmac_f32_e32 v51, v28, v35
	v_and_b32_e32 v28, 0xffff0000, v49
	v_and_b32_e32 v35, 0xffff0000, v123
	s_waitcnt vmcnt(0)
	v_mul_f32_e32 v49, v38, v28
	s_clause 0x1
	buffer_load_dword v28, off, s[0:3], s32 offset:208
	buffer_load_dword v38, off, s[0:3], s32 offset:252
	s_waitcnt vmcnt(1)
	v_fmac_f32_e32 v49, v28, v35
	v_and_b32_e32 v28, 0xffff0000, v109
	;; [unrolled: 9-line block ×3, first 2 shown]
	v_and_b32_e32 v35, 0xffff0000, v120
	s_waitcnt vmcnt(0)
	v_mul_f32_e32 v38, v38, v28
	buffer_load_dword v28, off, s[0:3], s32 offset:216 ; 4-byte Folded Reload
	s_waitcnt vmcnt(0)
	v_fmac_f32_e32 v38, v28, v35
	v_and_b32_e32 v35, 0xffff0000, v37
	buffer_load_dword v37, off, s[0:3], s32 offset:260 ; 4-byte Folded Reload
	v_and_b32_e32 v28, 0xffff0000, v54
	buffer_load_dword v54, off, s[0:3], s32 offset:268 ; 4-byte Folded Reload
	s_waitcnt vmcnt(1)
	v_mul_f32_e32 v28, v37, v28
	buffer_load_dword v37, off, s[0:3], s32 offset:220 ; 4-byte Folded Reload
	s_waitcnt vmcnt(0)
	v_fmac_f32_e32 v28, v37, v35
	v_and_b32_e32 v35, 0xffff0000, v52
	buffer_load_dword v52, off, s[0:3], s32 offset:264 ; 4-byte Folded Reload
	v_and_b32_e32 v37, 0xffff0000, v124
	s_waitcnt vmcnt(0)
	v_mul_f32_e32 v35, v52, v35
	buffer_load_dword v52, off, s[0:3], s32 offset:224 ; 4-byte Folded Reload
	s_waitcnt vmcnt(0)
	v_fmac_f32_e32 v35, v52, v37
	v_and_b32_e32 v37, 0xffff0000, v55
	v_and_b32_e32 v52, 0xffff0000, v125
	v_mul_f32_e32 v37, v54, v37
	buffer_load_dword v54, off, s[0:3], s32 offset:228 ; 4-byte Folded Reload
	s_waitcnt vmcnt(0)
	v_fmac_f32_e32 v37, v54, v52
	buffer_load_dword v54, off, s[0:3], s32 offset:272 ; 4-byte Folded Reload
	v_and_b32_e32 v52, 0xffff0000, v87
	s_waitcnt vmcnt(0)
	v_fmac_f32_e32 v50, v54, v52
	buffer_load_dword v54, off, s[0:3], s32 offset:276 ; 4-byte Folded Reload
	v_and_b32_e32 v52, 0xffff0000, v65
	;; [unrolled: 4-line block ×23, first 2 shown]
	s_waitcnt vmcnt(0)
	v_fmac_f32_e32 v35, v54, v52
	buffer_load_dword v52, off, s[0:3], s32 offset:364 ; 4-byte Folded Reload
	s_waitcnt vmcnt(0)
	v_fmac_f32_e32 v37, v52, v9
	buffer_load_dword v52, off, s[0:3], s32 offset:368 ; 4-byte Folded Reload
	v_and_b32_e32 v9, 0xffff0000, v46
	s_waitcnt vmcnt(0)
	v_fmac_f32_e32 v50, v52, v9
	buffer_load_dword v52, off, s[0:3], s32 offset:372 ; 4-byte Folded Reload
	v_and_b32_e32 v9, 0xffff0000, v112
	;; [unrolled: 4-line block ×23, first 2 shown]
	s_waitcnt vmcnt(0)
	v_fmac_f32_e32 v35, v52, v9
	v_and_b32_e32 v9, 0xffff0000, v32
	buffer_load_dword v32, off, s[0:3], s32 offset:460 ; 4-byte Folded Reload
	s_waitcnt vmcnt(0)
	v_fmac_f32_e32 v37, v32, v9
	buffer_load_dword v32, off, s[0:3], s32 offset:464 ; 4-byte Folded Reload
	v_and_b32_e32 v9, 0xffff0000, v94
	s_waitcnt vmcnt(0)
	v_fmac_f32_e32 v50, v32, v9
	buffer_load_dword v32, off, s[0:3], s32 offset:468 ; 4-byte Folded Reload
	v_and_b32_e32 v9, 0xffff0000, v63
	;; [unrolled: 4-line block ×19, first 2 shown]
	s_waitcnt vmcnt(0)
	v_fmac_f32_e32 v49, v32, v9
	v_and_b32_e32 v9, 0xffff0000, v25
	buffer_load_dword v25, off, s[0:3], s32 offset:540 ; 4-byte Folded Reload
	s_waitcnt vmcnt(0)
	v_fmac_f32_e32 v39, v25, v9
	buffer_load_dword v25, off, s[0:3], s32 offset:560 ; 4-byte Folded Reload
	v_and_b32_e32 v9, 0xffff0000, v48
	s_waitcnt vmcnt(0)
	v_fmac_f32_e32 v50, v25, v9
	buffer_load_dword v25, off, s[0:3], s32 offset:564 ; 4-byte Folded Reload
	v_and_b32_e32 v9, 0xffff0000, v36
	s_waitcnt vmcnt(0)
	v_fmac_f32_e32 v51, v25, v9
	buffer_load_dword v25, off, s[0:3], s32 offset:544 ; 4-byte Folded Reload
	v_and_b32_e32 v9, 0xffff0000, v27
	v_fmac_f32_e32 v49, v126, v9
	v_add_f32_e32 v9, v50, v51
	v_add_f32_e32 v9, v9, v49
	s_waitcnt vmcnt(0)
	v_fmac_f32_e32 v38, v25, v16
	v_and_b32_e32 v16, 0xffff0000, v23
	v_fmac_f32_e32 v39, v127, v16
	buffer_load_dword v16, off, s[0:3], s32 offset:548 ; 4-byte Folded Reload
	v_add_f32_e32 v9, v39, v9
	s_waitcnt vmcnt(0)
	v_fmac_f32_e32 v28, v16, v12
	buffer_load_dword v16, off, s[0:3], s32 offset:552 ; 4-byte Folded Reload
	v_and_b32_e32 v12, 0xffff0000, v22
	v_fmac_f32_e32 v38, v33, v12
	v_and_b32_e32 v12, 0xffff0000, v24
	v_add_f32_e32 v9, v38, v9
	s_waitcnt vmcnt(0)
	v_fmac_f32_e32 v35, v16, v12
	buffer_load_dword v16, off, s[0:3], s32 offset:556 ; 4-byte Folded Reload
	v_and_b32_e32 v12, 0xffff0000, v18
	v_fmac_f32_e32 v28, v1, v12
	v_and_b32_e32 v12, 0xffff0000, v17
	;; [unrolled: 7-line block ×3, first 2 shown]
	v_add_f32_e32 v9, v35, v9
	v_fmac_f32_e32 v37, v31, v12
	v_sub_nc_u32_e32 v12, 1, v29
	v_add_f32_e32 v9, v37, v9
	v_add_nc_u32_e32 v12, v12, v7
	v_add_nc_u32_e32 v7, 0x80, v7
	v_cvt_f32_i32_e32 v12, v12
	v_mul_f32_e32 v12, v34, v12
	v_cndmask_b32_e32 v12, 0, v12, vcc_lo
	s_waitcnt vmcnt(0)
	v_fmac_f32_e32 v12, v16, v9
	v_max_f32_e32 v9, v30, v30
	v_max_f32_e32 v9, v9, v12
	v_cndmask_b32_e64 v12, 0, v12, s5
	v_cndmask_b32_e64 v30, v30, v9, s5
	buffer_load_dword v9, off, s[0:3], s32 offset:192 ; 4-byte Folded Reload
	ds_write_b32 v8, v12
	v_add_nc_u32_e32 v8, 0x200, v8
	s_waitcnt vmcnt(0)
	v_cmp_ge_i32_e64 s5, v3, v9
	s_or_b32 s17, s5, s17
	s_andn2_b32 exec_lo, exec_lo, s17
	s_cbranch_execz .LBB362_775
.LBB362_10:                             ; =>This Inner Loop Header: Depth=1
	flat_load_dword v9, v[14:15]
	buffer_load_dword v12, off, s[0:3], s32 offset:236 ; 4-byte Folded Reload
	v_mov_b32_e32 v28, 0
	s_waitcnt vmcnt(0) lgkmcnt(0)
	v_mad_i64_i32 v[16:17], null, v9, v12, v[4:5]
	flat_load_dwordx2 v[24:25], v[16:17]
	flat_load_dword v19, v[20:21]
	s_waitcnt vmcnt(1) lgkmcnt(1)
	v_cmp_ne_u16_sdwa s5, v24, v13 src0_sel:BYTE_0 src1_sel:DWORD
	s_and_saveexec_b32 s6, s5
	s_cbranch_execz .LBB362_18
; %bb.11:                               ;   in Loop: Header=BB362_10 Depth=1
	v_cmp_ne_u16_sdwa s5, v24, v6 src0_sel:BYTE_0 src1_sel:DWORD
	v_bfrev_b32_e32 v28, 1
	s_and_saveexec_b32 s18, s5
	s_cbranch_execz .LBB362_17
; %bb.12:                               ;   in Loop: Header=BB362_10 Depth=1
	v_and_b32_e32 v12, 0x7f, v24
	v_mov_b32_e32 v28, 0x7f800001
	s_mov_b32 s19, exec_lo
	v_cmpx_ne_u32_e32 0x7f, v12
	s_cbranch_execz .LBB362_16
; %bb.13:                               ;   in Loop: Header=BB362_10 Depth=1
	v_mov_b32_e32 v27, v25
	v_lshrrev_b32_e32 v9, 3, v12
	v_mov_b32_e32 v26, v24
	s_mov_b32 s20, exec_lo
	v_cmpx_gt_u32_e32 8, v12
; %bb.14:                               ;   in Loop: Header=BB362_10 Depth=1
	v_and_b32_e32 v9, 7, v24
	v_ffbh_u32_e32 v9, v9
	v_min_u32_e32 v9, 32, v9
	v_subrev_nc_u32_e32 v12, 28, v9
	v_sub_nc_u32_e32 v9, 29, v9
	v_lshlrev_b64 v[26:27], v12, v[24:25]
; %bb.15:                               ;   in Loop: Header=BB362_10 Depth=1
	s_or_b32 exec_lo, exec_lo, s20
	v_lshlrev_b32_e32 v12, 20, v26
	v_lshlrev_b32_e32 v18, 24, v24
	v_lshl_add_u32 v9, v9, 23, 0x3c000000
	v_and_b32_e32 v12, 0x700000, v12
	v_and_b32_e32 v18, 0x80000000, v18
	v_or3_b32 v28, v12, v18, v9
.LBB362_16:                             ;   in Loop: Header=BB362_10 Depth=1
	s_or_b32 exec_lo, exec_lo, s19
.LBB362_17:                             ;   in Loop: Header=BB362_10 Depth=1
	s_or_b32 exec_lo, exec_lo, s18
.LBB362_18:                             ;   in Loop: Header=BB362_10 Depth=1
	s_or_b32 exec_lo, exec_lo, s6
	v_cmp_ne_u16_sdwa s5, v24, v13 src0_sel:BYTE_1 src1_sel:DWORD
	v_mov_b32_e32 v18, 0
	v_mov_b32_e32 v35, 0
	s_and_saveexec_b32 s6, s5
	s_cbranch_execz .LBB362_26
; %bb.19:                               ;   in Loop: Header=BB362_10 Depth=1
	v_cmp_ne_u16_sdwa s5, v24, v6 src0_sel:BYTE_1 src1_sel:DWORD
	v_bfrev_b32_e32 v35, 1
	s_and_saveexec_b32 s18, s5
	s_cbranch_execz .LBB362_25
; %bb.20:                               ;   in Loop: Header=BB362_10 Depth=1
	v_and_b32_sdwa v9, v11, v24 dst_sel:DWORD dst_unused:UNUSED_PAD src0_sel:DWORD src1_sel:BYTE_1
	v_mov_b32_e32 v35, 0x7f800001
	s_mov_b32 s19, exec_lo
	v_and_b32_e32 v22, 0x7f, v9
	v_cmpx_ne_u32_e32 0x7f, v22
	s_cbranch_execz .LBB362_24
; %bb.21:                               ;   in Loop: Header=BB362_10 Depth=1
	v_and_b32_e32 v12, 7, v9
	v_lshrrev_b32_e32 v9, 3, v22
	s_mov_b32 s20, exec_lo
	v_cmpx_gt_u32_e32 8, v22
; %bb.22:                               ;   in Loop: Header=BB362_10 Depth=1
	v_ffbh_u32_e32 v9, v12
	v_min_u32_e32 v9, 32, v9
	v_subrev_nc_u32_e32 v22, 28, v9
	v_sub_nc_u32_e32 v9, 29, v9
	v_lshlrev_b64 v[22:23], v22, v[12:13]
	v_and_b32_e32 v12, 7, v22
; %bb.23:                               ;   in Loop: Header=BB362_10 Depth=1
	s_or_b32 exec_lo, exec_lo, s20
	v_lshlrev_b32_e32 v22, 16, v24
	v_lshlrev_b32_e32 v12, 20, v12
	v_lshl_add_u32 v9, v9, 23, 0x3c000000
	v_and_b32_e32 v22, 0x80000000, v22
	v_or3_b32 v35, v12, v22, v9
.LBB362_24:                             ;   in Loop: Header=BB362_10 Depth=1
	s_or_b32 exec_lo, exec_lo, s19
.LBB362_25:                             ;   in Loop: Header=BB362_10 Depth=1
	s_or_b32 exec_lo, exec_lo, s18
.LBB362_26:                             ;   in Loop: Header=BB362_10 Depth=1
	s_or_b32 exec_lo, exec_lo, s6
	v_and_b32_sdwa v9, v24, v10 dst_sel:DWORD dst_unused:UNUSED_PAD src0_sel:WORD_1 src1_sel:DWORD
	s_mov_b32 s6, exec_lo
	v_cmpx_ne_u16_e32 0, v9
	s_cbranch_execz .LBB362_34
; %bb.27:                               ;   in Loop: Header=BB362_10 Depth=1
	v_bfrev_b32_e32 v18, 1
	s_mov_b32 s18, exec_lo
	v_cmpx_ne_u16_e32 0x80, v9
	s_cbranch_execz .LBB362_33
; %bb.28:                               ;   in Loop: Header=BB362_10 Depth=1
	v_bfe_u32 v22, v24, 16, 7
	v_mov_b32_e32 v18, 0x7f800001
	s_mov_b32 s19, exec_lo
	v_cmpx_ne_u32_e32 0x7f, v22
	s_cbranch_execz .LBB362_32
; %bb.29:                               ;   in Loop: Header=BB362_10 Depth=1
	v_and_b32_sdwa v12, v24, v53 dst_sel:DWORD dst_unused:UNUSED_PAD src0_sel:WORD_1 src1_sel:DWORD
	v_lshrrev_b32_e32 v9, 3, v22
	s_mov_b32 s20, exec_lo
	v_cmpx_gt_u32_e32 8, v22
; %bb.30:                               ;   in Loop: Header=BB362_10 Depth=1
	v_ffbh_u32_e32 v9, v12
	v_min_u32_e32 v9, 32, v9
	v_subrev_nc_u32_e32 v18, 28, v9
	v_sub_nc_u32_e32 v9, 29, v9
	v_lshlrev_b64 v[22:23], v18, v[12:13]
	v_and_b32_e32 v12, 7, v22
; %bb.31:                               ;   in Loop: Header=BB362_10 Depth=1
	s_or_b32 exec_lo, exec_lo, s20
	v_lshlrev_b32_sdwa v18, v2, v24 dst_sel:DWORD dst_unused:UNUSED_PAD src0_sel:DWORD src1_sel:WORD_1
	v_lshlrev_b32_e32 v12, 20, v12
	v_lshl_add_u32 v9, v9, 23, 0x3c000000
	v_and_b32_e32 v18, 0x80000000, v18
	v_or3_b32 v18, v12, v18, v9
.LBB362_32:                             ;   in Loop: Header=BB362_10 Depth=1
	s_or_b32 exec_lo, exec_lo, s19
.LBB362_33:                             ;   in Loop: Header=BB362_10 Depth=1
	s_or_b32 exec_lo, exec_lo, s18
.LBB362_34:                             ;   in Loop: Header=BB362_10 Depth=1
	s_or_b32 exec_lo, exec_lo, s6
	v_mov_b32_e32 v22, 0
	v_mov_b32_e32 v23, 0
	s_mov_b32 s6, exec_lo
	v_cmpx_lt_u32_e32 0xffffff, v24
	s_cbranch_execz .LBB362_42
; %bb.35:                               ;   in Loop: Header=BB362_10 Depth=1
	v_cmp_ne_u32_sdwa s5, v24, v6 src0_sel:BYTE_3 src1_sel:DWORD
	v_bfrev_b32_e32 v23, 1
	s_and_saveexec_b32 s18, s5
	s_cbranch_execz .LBB362_41
; %bb.36:                               ;   in Loop: Header=BB362_10 Depth=1
	v_bfe_u32 v26, v24, 24, 7
	v_mov_b32_e32 v23, 0x7f800001
	s_mov_b32 s19, exec_lo
	v_cmpx_ne_u32_e32 0x7f, v26
	s_cbranch_execz .LBB362_40
; %bb.37:                               ;   in Loop: Header=BB362_10 Depth=1
	v_and_b32_sdwa v12, v24, v53 dst_sel:DWORD dst_unused:UNUSED_PAD src0_sel:BYTE_3 src1_sel:DWORD
	v_lshrrev_b32_e32 v9, 3, v26
	s_mov_b32 s20, exec_lo
	v_cmpx_gt_u32_e32 8, v26
; %bb.38:                               ;   in Loop: Header=BB362_10 Depth=1
	v_ffbh_u32_e32 v9, v12
	v_min_u32_e32 v9, 32, v9
	v_subrev_nc_u32_e32 v23, 28, v9
	v_sub_nc_u32_e32 v9, 29, v9
	v_lshlrev_b64 v[26:27], v23, v[12:13]
	v_and_b32_e32 v12, 7, v26
; %bb.39:                               ;   in Loop: Header=BB362_10 Depth=1
	s_or_b32 exec_lo, exec_lo, s20
	v_lshlrev_b32_sdwa v23, v2, v24 dst_sel:DWORD dst_unused:UNUSED_PAD src0_sel:DWORD src1_sel:BYTE_3
	v_lshlrev_b32_e32 v12, 20, v12
	v_lshl_add_u32 v9, v9, 23, 0x3c000000
	v_and_b32_e32 v23, 0x80000000, v23
	v_or3_b32 v23, v12, v23, v9
.LBB362_40:                             ;   in Loop: Header=BB362_10 Depth=1
	s_or_b32 exec_lo, exec_lo, s19
.LBB362_41:                             ;   in Loop: Header=BB362_10 Depth=1
	s_or_b32 exec_lo, exec_lo, s18
.LBB362_42:                             ;   in Loop: Header=BB362_10 Depth=1
	s_or_b32 exec_lo, exec_lo, s6
	v_mov_b32_e32 v12, v25
	v_cmp_ne_u16_sdwa s5, v25, v13 src0_sel:BYTE_0 src1_sel:DWORD
	s_and_saveexec_b32 s6, s5
	s_cbranch_execz .LBB362_50
; %bb.43:                               ;   in Loop: Header=BB362_10 Depth=1
	v_cmp_ne_u16_sdwa s5, v25, v6 src0_sel:BYTE_0 src1_sel:DWORD
	v_bfrev_b32_e32 v22, 1
	s_and_saveexec_b32 s18, s5
	s_cbranch_execz .LBB362_49
; %bb.44:                               ;   in Loop: Header=BB362_10 Depth=1
	v_and_b32_e32 v26, 0x7f, v25
	v_mov_b32_e32 v22, 0x7f800001
	s_mov_b32 s19, exec_lo
	v_cmpx_ne_u32_e32 0x7f, v26
	s_cbranch_execz .LBB362_48
; %bb.45:                               ;   in Loop: Header=BB362_10 Depth=1
	v_lshrrev_b32_e32 v9, 3, v26
	v_cmp_gt_u32_e64 s5, 8, v26
	v_mov_b32_e32 v27, v13
	v_mov_b32_e32 v26, v12
	s_and_saveexec_b32 s20, s5
; %bb.46:                               ;   in Loop: Header=BB362_10 Depth=1
	v_and_b32_e32 v9, 7, v25
	v_ffbh_u32_e32 v9, v9
	v_min_u32_e32 v9, 32, v9
	v_subrev_nc_u32_e32 v22, 28, v9
	v_sub_nc_u32_e32 v9, 29, v9
	v_lshlrev_b64 v[26:27], v22, v[12:13]
; %bb.47:                               ;   in Loop: Header=BB362_10 Depth=1
	s_or_b32 exec_lo, exec_lo, s20
	v_lshlrev_b32_e32 v22, 20, v26
	v_lshlrev_b32_e32 v26, 24, v12
	v_lshl_add_u32 v9, v9, 23, 0x3c000000
	v_and_b32_e32 v22, 0x700000, v22
	v_and_b32_e32 v26, 0x80000000, v26
	v_or3_b32 v22, v22, v26, v9
.LBB362_48:                             ;   in Loop: Header=BB362_10 Depth=1
	s_or_b32 exec_lo, exec_lo, s19
.LBB362_49:                             ;   in Loop: Header=BB362_10 Depth=1
	s_or_b32 exec_lo, exec_lo, s18
.LBB362_50:                             ;   in Loop: Header=BB362_10 Depth=1
	s_or_b32 exec_lo, exec_lo, s6
	v_cmp_ne_u16_sdwa s5, v12, v13 src0_sel:BYTE_1 src1_sel:DWORD
	v_mov_b32_e32 v36, 0
	v_mov_b32_e32 v37, 0
	s_and_saveexec_b32 s6, s5
	s_cbranch_execz .LBB362_58
; %bb.51:                               ;   in Loop: Header=BB362_10 Depth=1
	v_cmp_ne_u16_sdwa s5, v12, v6 src0_sel:BYTE_1 src1_sel:DWORD
	v_bfrev_b32_e32 v37, 1
	s_and_saveexec_b32 s18, s5
	s_cbranch_execz .LBB362_57
; %bb.52:                               ;   in Loop: Header=BB362_10 Depth=1
	v_and_b32_sdwa v9, v11, v12 dst_sel:DWORD dst_unused:UNUSED_PAD src0_sel:DWORD src1_sel:BYTE_1
	v_mov_b32_e32 v37, 0x7f800001
	s_mov_b32 s19, exec_lo
	v_and_b32_e32 v32, 0x7f, v9
	v_cmpx_ne_u32_e32 0x7f, v32
	s_cbranch_execz .LBB362_56
; %bb.53:                               ;   in Loop: Header=BB362_10 Depth=1
	v_and_b32_e32 v26, 7, v9
	v_mov_b32_e32 v27, v13
	v_lshrrev_b32_e32 v9, 3, v32
	s_mov_b32 s20, exec_lo
	v_cmpx_gt_u32_e32 8, v32
; %bb.54:                               ;   in Loop: Header=BB362_10 Depth=1
	v_ffbh_u32_e32 v9, v26
	v_min_u32_e32 v9, 32, v9
	v_subrev_nc_u32_e32 v32, 28, v9
	v_sub_nc_u32_e32 v9, 29, v9
	v_lshlrev_b64 v[26:27], v32, v[26:27]
	v_and_b32_e32 v26, 7, v26
; %bb.55:                               ;   in Loop: Header=BB362_10 Depth=1
	s_or_b32 exec_lo, exec_lo, s20
	v_lshlrev_b32_e32 v12, 16, v12
	v_lshlrev_b32_e32 v26, 20, v26
	v_lshl_add_u32 v9, v9, 23, 0x3c000000
	v_and_b32_e32 v12, 0x80000000, v12
	v_or3_b32 v37, v26, v12, v9
.LBB362_56:                             ;   in Loop: Header=BB362_10 Depth=1
	s_or_b32 exec_lo, exec_lo, s19
.LBB362_57:                             ;   in Loop: Header=BB362_10 Depth=1
	s_or_b32 exec_lo, exec_lo, s18
.LBB362_58:                             ;   in Loop: Header=BB362_10 Depth=1
	s_or_b32 exec_lo, exec_lo, s6
	v_and_b32_sdwa v9, v25, v10 dst_sel:DWORD dst_unused:UNUSED_PAD src0_sel:WORD_1 src1_sel:DWORD
	s_mov_b32 s6, exec_lo
	v_cmpx_ne_u16_e32 0, v9
	s_cbranch_execz .LBB362_66
; %bb.59:                               ;   in Loop: Header=BB362_10 Depth=1
	v_bfrev_b32_e32 v36, 1
	s_mov_b32 s18, exec_lo
	v_cmpx_ne_u16_e32 0x80, v9
	s_cbranch_execz .LBB362_65
; %bb.60:                               ;   in Loop: Header=BB362_10 Depth=1
	v_bfe_u32 v26, v25, 16, 7
	v_mov_b32_e32 v36, 0x7f800001
	s_mov_b32 s19, exec_lo
	v_cmpx_ne_u32_e32 0x7f, v26
	s_cbranch_execz .LBB362_64
; %bb.61:                               ;   in Loop: Header=BB362_10 Depth=1
	v_and_b32_sdwa v12, v25, v53 dst_sel:DWORD dst_unused:UNUSED_PAD src0_sel:WORD_1 src1_sel:DWORD
	v_lshrrev_b32_e32 v9, 3, v26
	s_mov_b32 s20, exec_lo
	v_cmpx_gt_u32_e32 8, v26
; %bb.62:                               ;   in Loop: Header=BB362_10 Depth=1
	v_ffbh_u32_e32 v9, v12
	v_min_u32_e32 v9, 32, v9
	v_subrev_nc_u32_e32 v26, 28, v9
	v_sub_nc_u32_e32 v9, 29, v9
	v_lshlrev_b64 v[26:27], v26, v[12:13]
	v_and_b32_e32 v12, 7, v26
; %bb.63:                               ;   in Loop: Header=BB362_10 Depth=1
	s_or_b32 exec_lo, exec_lo, s20
	v_lshlrev_b32_sdwa v26, v2, v25 dst_sel:DWORD dst_unused:UNUSED_PAD src0_sel:DWORD src1_sel:WORD_1
	v_lshlrev_b32_e32 v12, 20, v12
	v_lshl_add_u32 v9, v9, 23, 0x3c000000
	v_and_b32_e32 v26, 0x80000000, v26
	v_or3_b32 v36, v12, v26, v9
.LBB362_64:                             ;   in Loop: Header=BB362_10 Depth=1
	s_or_b32 exec_lo, exec_lo, s19
.LBB362_65:                             ;   in Loop: Header=BB362_10 Depth=1
	s_or_b32 exec_lo, exec_lo, s18
.LBB362_66:                             ;   in Loop: Header=BB362_10 Depth=1
	s_or_b32 exec_lo, exec_lo, s6
	v_mov_b32_e32 v39, 0
	v_mov_b32_e32 v38, 0
	s_mov_b32 s6, exec_lo
	v_cmpx_lt_u64_e64 s[8:9], v[24:25]
	s_cbranch_execz .LBB362_74
; %bb.67:                               ;   in Loop: Header=BB362_10 Depth=1
	v_cmp_ne_u32_sdwa s5, v25, v6 src0_sel:BYTE_3 src1_sel:DWORD
	v_bfrev_b32_e32 v38, 1
	s_and_saveexec_b32 s18, s5
	s_cbranch_execz .LBB362_73
; %bb.68:                               ;   in Loop: Header=BB362_10 Depth=1
	v_bfe_u32 v24, v25, 24, 7
	v_mov_b32_e32 v38, 0x7f800001
	s_mov_b32 s19, exec_lo
	v_cmpx_ne_u32_e32 0x7f, v24
	s_cbranch_execz .LBB362_72
; %bb.69:                               ;   in Loop: Header=BB362_10 Depth=1
	v_and_b32_sdwa v12, v25, v53 dst_sel:DWORD dst_unused:UNUSED_PAD src0_sel:BYTE_3 src1_sel:DWORD
	v_lshrrev_b32_e32 v9, 3, v24
	s_mov_b32 s20, exec_lo
	v_cmpx_gt_u32_e32 8, v24
; %bb.70:                               ;   in Loop: Header=BB362_10 Depth=1
	v_ffbh_u32_e32 v9, v12
	v_min_u32_e32 v9, 32, v9
	v_subrev_nc_u32_e32 v24, 28, v9
	v_sub_nc_u32_e32 v9, 29, v9
	v_lshlrev_b64 v[26:27], v24, v[12:13]
	v_and_b32_e32 v12, 7, v26
; %bb.71:                               ;   in Loop: Header=BB362_10 Depth=1
	s_or_b32 exec_lo, exec_lo, s20
	v_lshlrev_b32_sdwa v24, v2, v25 dst_sel:DWORD dst_unused:UNUSED_PAD src0_sel:DWORD src1_sel:BYTE_3
	v_lshlrev_b32_e32 v12, 20, v12
	v_lshl_add_u32 v9, v9, 23, 0x3c000000
	v_and_b32_e32 v24, 0x80000000, v24
	v_or3_b32 v38, v12, v24, v9
.LBB362_72:                             ;   in Loop: Header=BB362_10 Depth=1
	s_or_b32 exec_lo, exec_lo, s19
.LBB362_73:                             ;   in Loop: Header=BB362_10 Depth=1
	s_or_b32 exec_lo, exec_lo, s18
.LBB362_74:                             ;   in Loop: Header=BB362_10 Depth=1
	s_or_b32 exec_lo, exec_lo, s6
	flat_load_dwordx2 v[24:25], v[16:17] offset:8
	s_waitcnt vmcnt(0) lgkmcnt(0)
	v_cmp_ne_u16_sdwa s5, v24, v13 src0_sel:BYTE_0 src1_sel:DWORD
	s_and_saveexec_b32 s6, s5
	s_cbranch_execz .LBB362_82
; %bb.75:                               ;   in Loop: Header=BB362_10 Depth=1
	v_cmp_ne_u16_sdwa s5, v24, v6 src0_sel:BYTE_0 src1_sel:DWORD
	v_bfrev_b32_e32 v39, 1
	s_and_saveexec_b32 s18, s5
	s_cbranch_execz .LBB362_81
; %bb.76:                               ;   in Loop: Header=BB362_10 Depth=1
	v_and_b32_e32 v12, 0x7f, v24
	v_mov_b32_e32 v39, 0x7f800001
	s_mov_b32 s19, exec_lo
	v_cmpx_ne_u32_e32 0x7f, v12
	s_cbranch_execz .LBB362_80
; %bb.77:                               ;   in Loop: Header=BB362_10 Depth=1
	v_mov_b32_e32 v27, v25
	v_lshrrev_b32_e32 v9, 3, v12
	v_mov_b32_e32 v26, v24
	s_mov_b32 s20, exec_lo
	v_cmpx_gt_u32_e32 8, v12
; %bb.78:                               ;   in Loop: Header=BB362_10 Depth=1
	v_and_b32_e32 v9, 7, v24
	v_ffbh_u32_e32 v9, v9
	v_min_u32_e32 v9, 32, v9
	v_subrev_nc_u32_e32 v12, 28, v9
	v_sub_nc_u32_e32 v9, 29, v9
	v_lshlrev_b64 v[26:27], v12, v[24:25]
; %bb.79:                               ;   in Loop: Header=BB362_10 Depth=1
	s_or_b32 exec_lo, exec_lo, s20
	v_lshlrev_b32_e32 v12, 20, v26
	v_lshlrev_b32_e32 v26, 24, v24
	v_lshl_add_u32 v9, v9, 23, 0x3c000000
	v_and_b32_e32 v12, 0x700000, v12
	v_and_b32_e32 v26, 0x80000000, v26
	v_or3_b32 v39, v12, v26, v9
.LBB362_80:                             ;   in Loop: Header=BB362_10 Depth=1
	s_or_b32 exec_lo, exec_lo, s19
.LBB362_81:                             ;   in Loop: Header=BB362_10 Depth=1
	s_or_b32 exec_lo, exec_lo, s18
.LBB362_82:                             ;   in Loop: Header=BB362_10 Depth=1
	s_or_b32 exec_lo, exec_lo, s6
	v_cmp_ne_u16_sdwa s5, v24, v13 src0_sel:BYTE_1 src1_sel:DWORD
	v_mov_b32_e32 v49, 0
	v_mov_b32_e32 v48, 0
	s_and_saveexec_b32 s6, s5
	s_cbranch_execz .LBB362_90
; %bb.83:                               ;   in Loop: Header=BB362_10 Depth=1
	v_cmp_ne_u16_sdwa s5, v24, v6 src0_sel:BYTE_1 src1_sel:DWORD
	v_bfrev_b32_e32 v48, 1
	s_and_saveexec_b32 s18, s5
	s_cbranch_execz .LBB362_89
; %bb.84:                               ;   in Loop: Header=BB362_10 Depth=1
	v_and_b32_sdwa v9, v11, v24 dst_sel:DWORD dst_unused:UNUSED_PAD src0_sel:DWORD src1_sel:BYTE_1
	v_mov_b32_e32 v48, 0x7f800001
	s_mov_b32 s19, exec_lo
	v_and_b32_e32 v26, 0x7f, v9
	v_cmpx_ne_u32_e32 0x7f, v26
	s_cbranch_execz .LBB362_88
; %bb.85:                               ;   in Loop: Header=BB362_10 Depth=1
	v_and_b32_e32 v12, 7, v9
	v_lshrrev_b32_e32 v9, 3, v26
	s_mov_b32 s20, exec_lo
	v_cmpx_gt_u32_e32 8, v26
; %bb.86:                               ;   in Loop: Header=BB362_10 Depth=1
	v_ffbh_u32_e32 v9, v12
	v_min_u32_e32 v9, 32, v9
	v_subrev_nc_u32_e32 v26, 28, v9
	v_sub_nc_u32_e32 v9, 29, v9
	v_lshlrev_b64 v[26:27], v26, v[12:13]
	v_and_b32_e32 v12, 7, v26
; %bb.87:                               ;   in Loop: Header=BB362_10 Depth=1
	s_or_b32 exec_lo, exec_lo, s20
	v_lshlrev_b32_e32 v26, 16, v24
	v_lshlrev_b32_e32 v12, 20, v12
	v_lshl_add_u32 v9, v9, 23, 0x3c000000
	v_and_b32_e32 v26, 0x80000000, v26
	v_or3_b32 v48, v12, v26, v9
.LBB362_88:                             ;   in Loop: Header=BB362_10 Depth=1
	s_or_b32 exec_lo, exec_lo, s19
.LBB362_89:                             ;   in Loop: Header=BB362_10 Depth=1
	s_or_b32 exec_lo, exec_lo, s18
.LBB362_90:                             ;   in Loop: Header=BB362_10 Depth=1
	s_or_b32 exec_lo, exec_lo, s6
	v_and_b32_sdwa v9, v24, v10 dst_sel:DWORD dst_unused:UNUSED_PAD src0_sel:WORD_1 src1_sel:DWORD
	s_mov_b32 s6, exec_lo
	v_cmpx_ne_u16_e32 0, v9
	s_cbranch_execz .LBB362_98
; %bb.91:                               ;   in Loop: Header=BB362_10 Depth=1
	v_bfrev_b32_e32 v49, 1
	s_mov_b32 s18, exec_lo
	v_cmpx_ne_u16_e32 0x80, v9
	s_cbranch_execz .LBB362_97
; %bb.92:                               ;   in Loop: Header=BB362_10 Depth=1
	v_bfe_u32 v26, v24, 16, 7
	v_mov_b32_e32 v49, 0x7f800001
	s_mov_b32 s19, exec_lo
	v_cmpx_ne_u32_e32 0x7f, v26
	s_cbranch_execz .LBB362_96
; %bb.93:                               ;   in Loop: Header=BB362_10 Depth=1
	v_and_b32_sdwa v12, v24, v53 dst_sel:DWORD dst_unused:UNUSED_PAD src0_sel:WORD_1 src1_sel:DWORD
	v_lshrrev_b32_e32 v9, 3, v26
	s_mov_b32 s20, exec_lo
	v_cmpx_gt_u32_e32 8, v26
; %bb.94:                               ;   in Loop: Header=BB362_10 Depth=1
	v_ffbh_u32_e32 v9, v12
	v_min_u32_e32 v9, 32, v9
	v_subrev_nc_u32_e32 v26, 28, v9
	v_sub_nc_u32_e32 v9, 29, v9
	v_lshlrev_b64 v[26:27], v26, v[12:13]
	v_and_b32_e32 v12, 7, v26
; %bb.95:                               ;   in Loop: Header=BB362_10 Depth=1
	s_or_b32 exec_lo, exec_lo, s20
	v_lshlrev_b32_sdwa v26, v2, v24 dst_sel:DWORD dst_unused:UNUSED_PAD src0_sel:DWORD src1_sel:WORD_1
	v_lshlrev_b32_e32 v12, 20, v12
	v_lshl_add_u32 v9, v9, 23, 0x3c000000
	v_and_b32_e32 v26, 0x80000000, v26
	v_or3_b32 v49, v12, v26, v9
.LBB362_96:                             ;   in Loop: Header=BB362_10 Depth=1
	s_or_b32 exec_lo, exec_lo, s19
.LBB362_97:                             ;   in Loop: Header=BB362_10 Depth=1
	s_or_b32 exec_lo, exec_lo, s18
.LBB362_98:                             ;   in Loop: Header=BB362_10 Depth=1
	s_or_b32 exec_lo, exec_lo, s6
	v_mov_b32_e32 v51, 0
	v_mov_b32_e32 v50, 0
	s_mov_b32 s6, exec_lo
	v_cmpx_lt_u32_e32 0xffffff, v24
	s_cbranch_execz .LBB362_106
; %bb.99:                               ;   in Loop: Header=BB362_10 Depth=1
	v_cmp_ne_u32_sdwa s5, v24, v6 src0_sel:BYTE_3 src1_sel:DWORD
	v_bfrev_b32_e32 v50, 1
	s_and_saveexec_b32 s18, s5
	s_cbranch_execz .LBB362_105
; %bb.100:                              ;   in Loop: Header=BB362_10 Depth=1
	v_bfe_u32 v26, v24, 24, 7
	v_mov_b32_e32 v50, 0x7f800001
	s_mov_b32 s19, exec_lo
	v_cmpx_ne_u32_e32 0x7f, v26
	s_cbranch_execz .LBB362_104
; %bb.101:                              ;   in Loop: Header=BB362_10 Depth=1
	v_and_b32_sdwa v12, v24, v53 dst_sel:DWORD dst_unused:UNUSED_PAD src0_sel:BYTE_3 src1_sel:DWORD
	v_lshrrev_b32_e32 v9, 3, v26
	s_mov_b32 s20, exec_lo
	v_cmpx_gt_u32_e32 8, v26
; %bb.102:                              ;   in Loop: Header=BB362_10 Depth=1
	v_ffbh_u32_e32 v9, v12
	v_min_u32_e32 v9, 32, v9
	v_subrev_nc_u32_e32 v26, 28, v9
	v_sub_nc_u32_e32 v9, 29, v9
	v_lshlrev_b64 v[26:27], v26, v[12:13]
	v_and_b32_e32 v12, 7, v26
; %bb.103:                              ;   in Loop: Header=BB362_10 Depth=1
	s_or_b32 exec_lo, exec_lo, s20
	v_lshlrev_b32_sdwa v26, v2, v24 dst_sel:DWORD dst_unused:UNUSED_PAD src0_sel:DWORD src1_sel:BYTE_3
	v_lshlrev_b32_e32 v12, 20, v12
	v_lshl_add_u32 v9, v9, 23, 0x3c000000
	v_and_b32_e32 v26, 0x80000000, v26
	v_or3_b32 v50, v12, v26, v9
.LBB362_104:                            ;   in Loop: Header=BB362_10 Depth=1
	s_or_b32 exec_lo, exec_lo, s19
.LBB362_105:                            ;   in Loop: Header=BB362_10 Depth=1
	s_or_b32 exec_lo, exec_lo, s18
.LBB362_106:                            ;   in Loop: Header=BB362_10 Depth=1
	s_or_b32 exec_lo, exec_lo, s6
	v_mov_b32_e32 v12, v25
	v_cmp_ne_u16_sdwa s5, v25, v13 src0_sel:BYTE_0 src1_sel:DWORD
	s_and_saveexec_b32 s6, s5
	s_cbranch_execz .LBB362_114
; %bb.107:                              ;   in Loop: Header=BB362_10 Depth=1
	v_cmp_ne_u16_sdwa s5, v25, v6 src0_sel:BYTE_0 src1_sel:DWORD
	v_bfrev_b32_e32 v51, 1
	s_and_saveexec_b32 s18, s5
	s_cbranch_execz .LBB362_113
; %bb.108:                              ;   in Loop: Header=BB362_10 Depth=1
	v_and_b32_e32 v26, 0x7f, v25
	v_mov_b32_e32 v51, 0x7f800001
	s_mov_b32 s19, exec_lo
	v_cmpx_ne_u32_e32 0x7f, v26
	s_cbranch_execz .LBB362_112
; %bb.109:                              ;   in Loop: Header=BB362_10 Depth=1
	v_lshrrev_b32_e32 v9, 3, v26
	v_cmp_gt_u32_e64 s5, 8, v26
	v_mov_b32_e32 v27, v13
	v_mov_b32_e32 v26, v12
	s_and_saveexec_b32 s20, s5
; %bb.110:                              ;   in Loop: Header=BB362_10 Depth=1
	v_and_b32_e32 v9, 7, v25
	v_ffbh_u32_e32 v9, v9
	v_min_u32_e32 v9, 32, v9
	v_subrev_nc_u32_e32 v26, 28, v9
	v_sub_nc_u32_e32 v9, 29, v9
	v_lshlrev_b64 v[26:27], v26, v[12:13]
; %bb.111:                              ;   in Loop: Header=BB362_10 Depth=1
	s_or_b32 exec_lo, exec_lo, s20
	v_lshlrev_b32_e32 v26, 20, v26
	v_lshlrev_b32_e32 v27, 24, v12
	v_lshl_add_u32 v9, v9, 23, 0x3c000000
	v_and_b32_e32 v26, 0x700000, v26
	v_and_b32_e32 v27, 0x80000000, v27
	v_or3_b32 v51, v26, v27, v9
.LBB362_112:                            ;   in Loop: Header=BB362_10 Depth=1
	s_or_b32 exec_lo, exec_lo, s19
.LBB362_113:                            ;   in Loop: Header=BB362_10 Depth=1
	s_or_b32 exec_lo, exec_lo, s18
.LBB362_114:                            ;   in Loop: Header=BB362_10 Depth=1
	s_or_b32 exec_lo, exec_lo, s6
	v_cmp_ne_u16_sdwa s5, v12, v13 src0_sel:BYTE_1 src1_sel:DWORD
	v_mov_b32_e32 v52, 0
	v_mov_b32_e32 v54, 0
	s_and_saveexec_b32 s6, s5
	s_cbranch_execz .LBB362_122
; %bb.115:                              ;   in Loop: Header=BB362_10 Depth=1
	v_cmp_ne_u16_sdwa s5, v12, v6 src0_sel:BYTE_1 src1_sel:DWORD
	v_bfrev_b32_e32 v54, 1
	s_and_saveexec_b32 s18, s5
	s_cbranch_execz .LBB362_121
; %bb.116:                              ;   in Loop: Header=BB362_10 Depth=1
	v_and_b32_sdwa v9, v11, v12 dst_sel:DWORD dst_unused:UNUSED_PAD src0_sel:DWORD src1_sel:BYTE_1
	v_mov_b32_e32 v54, 0x7f800001
	s_mov_b32 s19, exec_lo
	v_and_b32_e32 v32, 0x7f, v9
	v_cmpx_ne_u32_e32 0x7f, v32
	s_cbranch_execz .LBB362_120
; %bb.117:                              ;   in Loop: Header=BB362_10 Depth=1
	v_and_b32_e32 v26, 7, v9
	v_mov_b32_e32 v27, v13
	v_lshrrev_b32_e32 v9, 3, v32
	s_mov_b32 s20, exec_lo
	v_cmpx_gt_u32_e32 8, v32
; %bb.118:                              ;   in Loop: Header=BB362_10 Depth=1
	v_ffbh_u32_e32 v9, v26
	v_min_u32_e32 v9, 32, v9
	v_subrev_nc_u32_e32 v32, 28, v9
	v_sub_nc_u32_e32 v9, 29, v9
	v_lshlrev_b64 v[26:27], v32, v[26:27]
	v_and_b32_e32 v26, 7, v26
; %bb.119:                              ;   in Loop: Header=BB362_10 Depth=1
	s_or_b32 exec_lo, exec_lo, s20
	v_lshlrev_b32_e32 v12, 16, v12
	v_lshlrev_b32_e32 v26, 20, v26
	v_lshl_add_u32 v9, v9, 23, 0x3c000000
	v_and_b32_e32 v12, 0x80000000, v12
	v_or3_b32 v54, v26, v12, v9
.LBB362_120:                            ;   in Loop: Header=BB362_10 Depth=1
	s_or_b32 exec_lo, exec_lo, s19
.LBB362_121:                            ;   in Loop: Header=BB362_10 Depth=1
	s_or_b32 exec_lo, exec_lo, s18
.LBB362_122:                            ;   in Loop: Header=BB362_10 Depth=1
	s_or_b32 exec_lo, exec_lo, s6
	v_and_b32_sdwa v9, v25, v10 dst_sel:DWORD dst_unused:UNUSED_PAD src0_sel:WORD_1 src1_sel:DWORD
	s_mov_b32 s6, exec_lo
	v_cmpx_ne_u16_e32 0, v9
	s_cbranch_execz .LBB362_130
; %bb.123:                              ;   in Loop: Header=BB362_10 Depth=1
	v_bfrev_b32_e32 v52, 1
	s_mov_b32 s18, exec_lo
	v_cmpx_ne_u16_e32 0x80, v9
	s_cbranch_execz .LBB362_129
; %bb.124:                              ;   in Loop: Header=BB362_10 Depth=1
	v_bfe_u32 v26, v25, 16, 7
	v_mov_b32_e32 v52, 0x7f800001
	s_mov_b32 s19, exec_lo
	v_cmpx_ne_u32_e32 0x7f, v26
	s_cbranch_execz .LBB362_128
; %bb.125:                              ;   in Loop: Header=BB362_10 Depth=1
	v_and_b32_sdwa v12, v25, v53 dst_sel:DWORD dst_unused:UNUSED_PAD src0_sel:WORD_1 src1_sel:DWORD
	v_lshrrev_b32_e32 v9, 3, v26
	s_mov_b32 s20, exec_lo
	v_cmpx_gt_u32_e32 8, v26
; %bb.126:                              ;   in Loop: Header=BB362_10 Depth=1
	v_ffbh_u32_e32 v9, v12
	v_min_u32_e32 v9, 32, v9
	v_subrev_nc_u32_e32 v26, 28, v9
	v_sub_nc_u32_e32 v9, 29, v9
	v_lshlrev_b64 v[26:27], v26, v[12:13]
	v_and_b32_e32 v12, 7, v26
; %bb.127:                              ;   in Loop: Header=BB362_10 Depth=1
	s_or_b32 exec_lo, exec_lo, s20
	v_lshlrev_b32_sdwa v26, v2, v25 dst_sel:DWORD dst_unused:UNUSED_PAD src0_sel:DWORD src1_sel:WORD_1
	v_lshlrev_b32_e32 v12, 20, v12
	v_lshl_add_u32 v9, v9, 23, 0x3c000000
	v_and_b32_e32 v26, 0x80000000, v26
	v_or3_b32 v52, v12, v26, v9
.LBB362_128:                            ;   in Loop: Header=BB362_10 Depth=1
	s_or_b32 exec_lo, exec_lo, s19
.LBB362_129:                            ;   in Loop: Header=BB362_10 Depth=1
	s_or_b32 exec_lo, exec_lo, s18
.LBB362_130:                            ;   in Loop: Header=BB362_10 Depth=1
	s_or_b32 exec_lo, exec_lo, s6
	v_mov_b32_e32 v64, 0
	v_mov_b32_e32 v55, 0
	s_mov_b32 s6, exec_lo
	v_cmpx_lt_u64_e64 s[8:9], v[24:25]
	s_cbranch_execz .LBB362_138
; %bb.131:                              ;   in Loop: Header=BB362_10 Depth=1
	v_cmp_ne_u32_sdwa s5, v25, v6 src0_sel:BYTE_3 src1_sel:DWORD
	v_bfrev_b32_e32 v55, 1
	s_and_saveexec_b32 s18, s5
	s_cbranch_execz .LBB362_137
; %bb.132:                              ;   in Loop: Header=BB362_10 Depth=1
	v_bfe_u32 v24, v25, 24, 7
	v_mov_b32_e32 v55, 0x7f800001
	s_mov_b32 s19, exec_lo
	v_cmpx_ne_u32_e32 0x7f, v24
	s_cbranch_execz .LBB362_136
; %bb.133:                              ;   in Loop: Header=BB362_10 Depth=1
	v_and_b32_sdwa v12, v25, v53 dst_sel:DWORD dst_unused:UNUSED_PAD src0_sel:BYTE_3 src1_sel:DWORD
	v_lshrrev_b32_e32 v9, 3, v24
	s_mov_b32 s20, exec_lo
	v_cmpx_gt_u32_e32 8, v24
; %bb.134:                              ;   in Loop: Header=BB362_10 Depth=1
	v_ffbh_u32_e32 v9, v12
	v_min_u32_e32 v9, 32, v9
	v_subrev_nc_u32_e32 v24, 28, v9
	v_sub_nc_u32_e32 v9, 29, v9
	v_lshlrev_b64 v[26:27], v24, v[12:13]
	v_and_b32_e32 v12, 7, v26
; %bb.135:                              ;   in Loop: Header=BB362_10 Depth=1
	s_or_b32 exec_lo, exec_lo, s20
	v_lshlrev_b32_sdwa v24, v2, v25 dst_sel:DWORD dst_unused:UNUSED_PAD src0_sel:DWORD src1_sel:BYTE_3
	v_lshlrev_b32_e32 v12, 20, v12
	v_lshl_add_u32 v9, v9, 23, 0x3c000000
	v_and_b32_e32 v24, 0x80000000, v24
	v_or3_b32 v55, v12, v24, v9
.LBB362_136:                            ;   in Loop: Header=BB362_10 Depth=1
	s_or_b32 exec_lo, exec_lo, s19
.LBB362_137:                            ;   in Loop: Header=BB362_10 Depth=1
	s_or_b32 exec_lo, exec_lo, s18
.LBB362_138:                            ;   in Loop: Header=BB362_10 Depth=1
	s_or_b32 exec_lo, exec_lo, s6
	flat_load_dwordx2 v[24:25], v[16:17] offset:512
	s_waitcnt vmcnt(0) lgkmcnt(0)
	v_cmp_ne_u16_sdwa s5, v24, v13 src0_sel:BYTE_0 src1_sel:DWORD
	s_and_saveexec_b32 s6, s5
	s_cbranch_execz .LBB362_146
; %bb.139:                              ;   in Loop: Header=BB362_10 Depth=1
	v_cmp_ne_u16_sdwa s5, v24, v6 src0_sel:BYTE_0 src1_sel:DWORD
	v_bfrev_b32_e32 v64, 1
	s_and_saveexec_b32 s18, s5
	s_cbranch_execz .LBB362_145
; %bb.140:                              ;   in Loop: Header=BB362_10 Depth=1
	v_and_b32_e32 v12, 0x7f, v24
	v_mov_b32_e32 v64, 0x7f800001
	s_mov_b32 s19, exec_lo
	v_cmpx_ne_u32_e32 0x7f, v12
	s_cbranch_execz .LBB362_144
; %bb.141:                              ;   in Loop: Header=BB362_10 Depth=1
	v_mov_b32_e32 v27, v25
	v_lshrrev_b32_e32 v9, 3, v12
	v_mov_b32_e32 v26, v24
	s_mov_b32 s20, exec_lo
	v_cmpx_gt_u32_e32 8, v12
; %bb.142:                              ;   in Loop: Header=BB362_10 Depth=1
	v_and_b32_e32 v9, 7, v24
	v_ffbh_u32_e32 v9, v9
	v_min_u32_e32 v9, 32, v9
	v_subrev_nc_u32_e32 v12, 28, v9
	v_sub_nc_u32_e32 v9, 29, v9
	v_lshlrev_b64 v[26:27], v12, v[24:25]
; %bb.143:                              ;   in Loop: Header=BB362_10 Depth=1
	s_or_b32 exec_lo, exec_lo, s20
	v_lshlrev_b32_e32 v12, 20, v26
	v_lshlrev_b32_e32 v26, 24, v24
	v_lshl_add_u32 v9, v9, 23, 0x3c000000
	v_and_b32_e32 v12, 0x700000, v12
	v_and_b32_e32 v26, 0x80000000, v26
	v_or3_b32 v64, v12, v26, v9
.LBB362_144:                            ;   in Loop: Header=BB362_10 Depth=1
	s_or_b32 exec_lo, exec_lo, s19
.LBB362_145:                            ;   in Loop: Header=BB362_10 Depth=1
	s_or_b32 exec_lo, exec_lo, s18
.LBB362_146:                            ;   in Loop: Header=BB362_10 Depth=1
	s_or_b32 exec_lo, exec_lo, s6
	v_cmp_ne_u16_sdwa s5, v24, v13 src0_sel:BYTE_1 src1_sel:DWORD
	v_mov_b32_e32 v66, 0
	v_mov_b32_e32 v65, 0
	s_and_saveexec_b32 s6, s5
	s_cbranch_execz .LBB362_154
; %bb.147:                              ;   in Loop: Header=BB362_10 Depth=1
	v_cmp_ne_u16_sdwa s5, v24, v6 src0_sel:BYTE_1 src1_sel:DWORD
	v_bfrev_b32_e32 v65, 1
	s_and_saveexec_b32 s18, s5
	s_cbranch_execz .LBB362_153
; %bb.148:                              ;   in Loop: Header=BB362_10 Depth=1
	v_and_b32_sdwa v9, v11, v24 dst_sel:DWORD dst_unused:UNUSED_PAD src0_sel:DWORD src1_sel:BYTE_1
	v_mov_b32_e32 v65, 0x7f800001
	s_mov_b32 s19, exec_lo
	v_and_b32_e32 v26, 0x7f, v9
	v_cmpx_ne_u32_e32 0x7f, v26
	s_cbranch_execz .LBB362_152
; %bb.149:                              ;   in Loop: Header=BB362_10 Depth=1
	v_and_b32_e32 v12, 7, v9
	v_lshrrev_b32_e32 v9, 3, v26
	s_mov_b32 s20, exec_lo
	v_cmpx_gt_u32_e32 8, v26
; %bb.150:                              ;   in Loop: Header=BB362_10 Depth=1
	v_ffbh_u32_e32 v9, v12
	v_min_u32_e32 v9, 32, v9
	v_subrev_nc_u32_e32 v26, 28, v9
	v_sub_nc_u32_e32 v9, 29, v9
	v_lshlrev_b64 v[26:27], v26, v[12:13]
	v_and_b32_e32 v12, 7, v26
; %bb.151:                              ;   in Loop: Header=BB362_10 Depth=1
	s_or_b32 exec_lo, exec_lo, s20
	v_lshlrev_b32_e32 v26, 16, v24
	v_lshlrev_b32_e32 v12, 20, v12
	v_lshl_add_u32 v9, v9, 23, 0x3c000000
	v_and_b32_e32 v26, 0x80000000, v26
	v_or3_b32 v65, v12, v26, v9
.LBB362_152:                            ;   in Loop: Header=BB362_10 Depth=1
	s_or_b32 exec_lo, exec_lo, s19
.LBB362_153:                            ;   in Loop: Header=BB362_10 Depth=1
	s_or_b32 exec_lo, exec_lo, s18
.LBB362_154:                            ;   in Loop: Header=BB362_10 Depth=1
	s_or_b32 exec_lo, exec_lo, s6
	v_and_b32_sdwa v9, v24, v10 dst_sel:DWORD dst_unused:UNUSED_PAD src0_sel:WORD_1 src1_sel:DWORD
	s_mov_b32 s6, exec_lo
	v_cmpx_ne_u16_e32 0, v9
	s_cbranch_execz .LBB362_162
; %bb.155:                              ;   in Loop: Header=BB362_10 Depth=1
	v_bfrev_b32_e32 v66, 1
	s_mov_b32 s18, exec_lo
	v_cmpx_ne_u16_e32 0x80, v9
	s_cbranch_execz .LBB362_161
; %bb.156:                              ;   in Loop: Header=BB362_10 Depth=1
	v_bfe_u32 v26, v24, 16, 7
	v_mov_b32_e32 v66, 0x7f800001
	s_mov_b32 s19, exec_lo
	v_cmpx_ne_u32_e32 0x7f, v26
	s_cbranch_execz .LBB362_160
; %bb.157:                              ;   in Loop: Header=BB362_10 Depth=1
	v_and_b32_sdwa v12, v24, v53 dst_sel:DWORD dst_unused:UNUSED_PAD src0_sel:WORD_1 src1_sel:DWORD
	v_lshrrev_b32_e32 v9, 3, v26
	s_mov_b32 s20, exec_lo
	v_cmpx_gt_u32_e32 8, v26
; %bb.158:                              ;   in Loop: Header=BB362_10 Depth=1
	v_ffbh_u32_e32 v9, v12
	v_min_u32_e32 v9, 32, v9
	v_subrev_nc_u32_e32 v26, 28, v9
	v_sub_nc_u32_e32 v9, 29, v9
	v_lshlrev_b64 v[26:27], v26, v[12:13]
	v_and_b32_e32 v12, 7, v26
; %bb.159:                              ;   in Loop: Header=BB362_10 Depth=1
	s_or_b32 exec_lo, exec_lo, s20
	v_lshlrev_b32_sdwa v26, v2, v24 dst_sel:DWORD dst_unused:UNUSED_PAD src0_sel:DWORD src1_sel:WORD_1
	v_lshlrev_b32_e32 v12, 20, v12
	v_lshl_add_u32 v9, v9, 23, 0x3c000000
	v_and_b32_e32 v26, 0x80000000, v26
	v_or3_b32 v66, v12, v26, v9
.LBB362_160:                            ;   in Loop: Header=BB362_10 Depth=1
	s_or_b32 exec_lo, exec_lo, s19
.LBB362_161:                            ;   in Loop: Header=BB362_10 Depth=1
	s_or_b32 exec_lo, exec_lo, s18
.LBB362_162:                            ;   in Loop: Header=BB362_10 Depth=1
	s_or_b32 exec_lo, exec_lo, s6
	v_mov_b32_e32 v68, 0
	v_mov_b32_e32 v67, 0
	s_mov_b32 s6, exec_lo
	v_cmpx_lt_u32_e32 0xffffff, v24
	s_cbranch_execz .LBB362_170
; %bb.163:                              ;   in Loop: Header=BB362_10 Depth=1
	v_cmp_ne_u32_sdwa s5, v24, v6 src0_sel:BYTE_3 src1_sel:DWORD
	v_bfrev_b32_e32 v67, 1
	s_and_saveexec_b32 s18, s5
	s_cbranch_execz .LBB362_169
; %bb.164:                              ;   in Loop: Header=BB362_10 Depth=1
	v_bfe_u32 v26, v24, 24, 7
	v_mov_b32_e32 v67, 0x7f800001
	s_mov_b32 s19, exec_lo
	v_cmpx_ne_u32_e32 0x7f, v26
	s_cbranch_execz .LBB362_168
; %bb.165:                              ;   in Loop: Header=BB362_10 Depth=1
	v_and_b32_sdwa v12, v24, v53 dst_sel:DWORD dst_unused:UNUSED_PAD src0_sel:BYTE_3 src1_sel:DWORD
	v_lshrrev_b32_e32 v9, 3, v26
	s_mov_b32 s20, exec_lo
	v_cmpx_gt_u32_e32 8, v26
; %bb.166:                              ;   in Loop: Header=BB362_10 Depth=1
	v_ffbh_u32_e32 v9, v12
	v_min_u32_e32 v9, 32, v9
	v_subrev_nc_u32_e32 v26, 28, v9
	v_sub_nc_u32_e32 v9, 29, v9
	v_lshlrev_b64 v[26:27], v26, v[12:13]
	v_and_b32_e32 v12, 7, v26
; %bb.167:                              ;   in Loop: Header=BB362_10 Depth=1
	s_or_b32 exec_lo, exec_lo, s20
	v_lshlrev_b32_sdwa v26, v2, v24 dst_sel:DWORD dst_unused:UNUSED_PAD src0_sel:DWORD src1_sel:BYTE_3
	v_lshlrev_b32_e32 v12, 20, v12
	v_lshl_add_u32 v9, v9, 23, 0x3c000000
	v_and_b32_e32 v26, 0x80000000, v26
	v_or3_b32 v67, v12, v26, v9
.LBB362_168:                            ;   in Loop: Header=BB362_10 Depth=1
	s_or_b32 exec_lo, exec_lo, s19
.LBB362_169:                            ;   in Loop: Header=BB362_10 Depth=1
	s_or_b32 exec_lo, exec_lo, s18
.LBB362_170:                            ;   in Loop: Header=BB362_10 Depth=1
	s_or_b32 exec_lo, exec_lo, s6
	v_mov_b32_e32 v12, v25
	v_cmp_ne_u16_sdwa s5, v25, v13 src0_sel:BYTE_0 src1_sel:DWORD
	s_and_saveexec_b32 s6, s5
	s_cbranch_execz .LBB362_178
; %bb.171:                              ;   in Loop: Header=BB362_10 Depth=1
	v_cmp_ne_u16_sdwa s5, v25, v6 src0_sel:BYTE_0 src1_sel:DWORD
	v_bfrev_b32_e32 v68, 1
	s_and_saveexec_b32 s18, s5
	s_cbranch_execz .LBB362_177
; %bb.172:                              ;   in Loop: Header=BB362_10 Depth=1
	v_and_b32_e32 v26, 0x7f, v25
	v_mov_b32_e32 v68, 0x7f800001
	s_mov_b32 s19, exec_lo
	v_cmpx_ne_u32_e32 0x7f, v26
	s_cbranch_execz .LBB362_176
; %bb.173:                              ;   in Loop: Header=BB362_10 Depth=1
	v_lshrrev_b32_e32 v9, 3, v26
	v_cmp_gt_u32_e64 s5, 8, v26
	v_mov_b32_e32 v27, v13
	v_mov_b32_e32 v26, v12
	s_and_saveexec_b32 s20, s5
; %bb.174:                              ;   in Loop: Header=BB362_10 Depth=1
	v_and_b32_e32 v9, 7, v25
	v_ffbh_u32_e32 v9, v9
	v_min_u32_e32 v9, 32, v9
	v_subrev_nc_u32_e32 v26, 28, v9
	v_sub_nc_u32_e32 v9, 29, v9
	v_lshlrev_b64 v[26:27], v26, v[12:13]
; %bb.175:                              ;   in Loop: Header=BB362_10 Depth=1
	s_or_b32 exec_lo, exec_lo, s20
	v_lshlrev_b32_e32 v26, 20, v26
	v_lshlrev_b32_e32 v27, 24, v12
	v_lshl_add_u32 v9, v9, 23, 0x3c000000
	v_and_b32_e32 v26, 0x700000, v26
	v_and_b32_e32 v27, 0x80000000, v27
	v_or3_b32 v68, v26, v27, v9
.LBB362_176:                            ;   in Loop: Header=BB362_10 Depth=1
	s_or_b32 exec_lo, exec_lo, s19
.LBB362_177:                            ;   in Loop: Header=BB362_10 Depth=1
	s_or_b32 exec_lo, exec_lo, s18
.LBB362_178:                            ;   in Loop: Header=BB362_10 Depth=1
	s_or_b32 exec_lo, exec_lo, s6
	v_cmp_ne_u16_sdwa s5, v12, v13 src0_sel:BYTE_1 src1_sel:DWORD
	v_mov_b32_e32 v69, 0
	v_mov_b32_e32 v70, 0
	s_and_saveexec_b32 s6, s5
	s_cbranch_execz .LBB362_186
; %bb.179:                              ;   in Loop: Header=BB362_10 Depth=1
	v_cmp_ne_u16_sdwa s5, v12, v6 src0_sel:BYTE_1 src1_sel:DWORD
	v_bfrev_b32_e32 v70, 1
	s_and_saveexec_b32 s18, s5
	s_cbranch_execz .LBB362_185
; %bb.180:                              ;   in Loop: Header=BB362_10 Depth=1
	v_and_b32_sdwa v9, v11, v12 dst_sel:DWORD dst_unused:UNUSED_PAD src0_sel:DWORD src1_sel:BYTE_1
	v_mov_b32_e32 v70, 0x7f800001
	s_mov_b32 s19, exec_lo
	v_and_b32_e32 v32, 0x7f, v9
	v_cmpx_ne_u32_e32 0x7f, v32
	s_cbranch_execz .LBB362_184
; %bb.181:                              ;   in Loop: Header=BB362_10 Depth=1
	v_and_b32_e32 v26, 7, v9
	v_mov_b32_e32 v27, v13
	v_lshrrev_b32_e32 v9, 3, v32
	s_mov_b32 s20, exec_lo
	v_cmpx_gt_u32_e32 8, v32
; %bb.182:                              ;   in Loop: Header=BB362_10 Depth=1
	v_ffbh_u32_e32 v9, v26
	v_min_u32_e32 v9, 32, v9
	v_subrev_nc_u32_e32 v32, 28, v9
	v_sub_nc_u32_e32 v9, 29, v9
	v_lshlrev_b64 v[26:27], v32, v[26:27]
	v_and_b32_e32 v26, 7, v26
; %bb.183:                              ;   in Loop: Header=BB362_10 Depth=1
	s_or_b32 exec_lo, exec_lo, s20
	v_lshlrev_b32_e32 v12, 16, v12
	v_lshlrev_b32_e32 v26, 20, v26
	v_lshl_add_u32 v9, v9, 23, 0x3c000000
	v_and_b32_e32 v12, 0x80000000, v12
	v_or3_b32 v70, v26, v12, v9
.LBB362_184:                            ;   in Loop: Header=BB362_10 Depth=1
	s_or_b32 exec_lo, exec_lo, s19
.LBB362_185:                            ;   in Loop: Header=BB362_10 Depth=1
	s_or_b32 exec_lo, exec_lo, s18
.LBB362_186:                            ;   in Loop: Header=BB362_10 Depth=1
	s_or_b32 exec_lo, exec_lo, s6
	v_and_b32_sdwa v9, v25, v10 dst_sel:DWORD dst_unused:UNUSED_PAD src0_sel:WORD_1 src1_sel:DWORD
	s_mov_b32 s6, exec_lo
	v_cmpx_ne_u16_e32 0, v9
	s_cbranch_execz .LBB362_194
; %bb.187:                              ;   in Loop: Header=BB362_10 Depth=1
	v_bfrev_b32_e32 v69, 1
	s_mov_b32 s18, exec_lo
	v_cmpx_ne_u16_e32 0x80, v9
	s_cbranch_execz .LBB362_193
; %bb.188:                              ;   in Loop: Header=BB362_10 Depth=1
	v_bfe_u32 v26, v25, 16, 7
	v_mov_b32_e32 v69, 0x7f800001
	s_mov_b32 s19, exec_lo
	v_cmpx_ne_u32_e32 0x7f, v26
	s_cbranch_execz .LBB362_192
; %bb.189:                              ;   in Loop: Header=BB362_10 Depth=1
	v_and_b32_sdwa v12, v25, v53 dst_sel:DWORD dst_unused:UNUSED_PAD src0_sel:WORD_1 src1_sel:DWORD
	v_lshrrev_b32_e32 v9, 3, v26
	s_mov_b32 s20, exec_lo
	v_cmpx_gt_u32_e32 8, v26
; %bb.190:                              ;   in Loop: Header=BB362_10 Depth=1
	v_ffbh_u32_e32 v9, v12
	v_min_u32_e32 v9, 32, v9
	v_subrev_nc_u32_e32 v26, 28, v9
	v_sub_nc_u32_e32 v9, 29, v9
	v_lshlrev_b64 v[26:27], v26, v[12:13]
	v_and_b32_e32 v12, 7, v26
; %bb.191:                              ;   in Loop: Header=BB362_10 Depth=1
	s_or_b32 exec_lo, exec_lo, s20
	v_lshlrev_b32_sdwa v26, v2, v25 dst_sel:DWORD dst_unused:UNUSED_PAD src0_sel:DWORD src1_sel:WORD_1
	v_lshlrev_b32_e32 v12, 20, v12
	v_lshl_add_u32 v9, v9, 23, 0x3c000000
	v_and_b32_e32 v26, 0x80000000, v26
	v_or3_b32 v69, v12, v26, v9
.LBB362_192:                            ;   in Loop: Header=BB362_10 Depth=1
	s_or_b32 exec_lo, exec_lo, s19
.LBB362_193:                            ;   in Loop: Header=BB362_10 Depth=1
	s_or_b32 exec_lo, exec_lo, s18
.LBB362_194:                            ;   in Loop: Header=BB362_10 Depth=1
	s_or_b32 exec_lo, exec_lo, s6
	v_mov_b32_e32 v80, 0
	v_mov_b32_e32 v71, 0
	s_mov_b32 s6, exec_lo
	v_cmpx_lt_u64_e64 s[8:9], v[24:25]
	s_cbranch_execz .LBB362_202
; %bb.195:                              ;   in Loop: Header=BB362_10 Depth=1
	v_cmp_ne_u32_sdwa s5, v25, v6 src0_sel:BYTE_3 src1_sel:DWORD
	v_bfrev_b32_e32 v71, 1
	s_and_saveexec_b32 s18, s5
	s_cbranch_execz .LBB362_201
; %bb.196:                              ;   in Loop: Header=BB362_10 Depth=1
	v_bfe_u32 v24, v25, 24, 7
	v_mov_b32_e32 v71, 0x7f800001
	s_mov_b32 s19, exec_lo
	v_cmpx_ne_u32_e32 0x7f, v24
	s_cbranch_execz .LBB362_200
; %bb.197:                              ;   in Loop: Header=BB362_10 Depth=1
	v_and_b32_sdwa v12, v25, v53 dst_sel:DWORD dst_unused:UNUSED_PAD src0_sel:BYTE_3 src1_sel:DWORD
	v_lshrrev_b32_e32 v9, 3, v24
	s_mov_b32 s20, exec_lo
	v_cmpx_gt_u32_e32 8, v24
; %bb.198:                              ;   in Loop: Header=BB362_10 Depth=1
	v_ffbh_u32_e32 v9, v12
	v_min_u32_e32 v9, 32, v9
	v_subrev_nc_u32_e32 v24, 28, v9
	v_sub_nc_u32_e32 v9, 29, v9
	v_lshlrev_b64 v[26:27], v24, v[12:13]
	v_and_b32_e32 v12, 7, v26
; %bb.199:                              ;   in Loop: Header=BB362_10 Depth=1
	s_or_b32 exec_lo, exec_lo, s20
	v_lshlrev_b32_sdwa v24, v2, v25 dst_sel:DWORD dst_unused:UNUSED_PAD src0_sel:DWORD src1_sel:BYTE_3
	v_lshlrev_b32_e32 v12, 20, v12
	v_lshl_add_u32 v9, v9, 23, 0x3c000000
	v_and_b32_e32 v24, 0x80000000, v24
	v_or3_b32 v71, v12, v24, v9
.LBB362_200:                            ;   in Loop: Header=BB362_10 Depth=1
	s_or_b32 exec_lo, exec_lo, s19
.LBB362_201:                            ;   in Loop: Header=BB362_10 Depth=1
	s_or_b32 exec_lo, exec_lo, s18
.LBB362_202:                            ;   in Loop: Header=BB362_10 Depth=1
	s_or_b32 exec_lo, exec_lo, s6
	flat_load_dwordx2 v[24:25], v[16:17] offset:520
	s_waitcnt vmcnt(0) lgkmcnt(0)
	v_cmp_ne_u16_sdwa s5, v24, v13 src0_sel:BYTE_0 src1_sel:DWORD
	s_and_saveexec_b32 s6, s5
	s_cbranch_execz .LBB362_210
; %bb.203:                              ;   in Loop: Header=BB362_10 Depth=1
	v_cmp_ne_u16_sdwa s5, v24, v6 src0_sel:BYTE_0 src1_sel:DWORD
	v_bfrev_b32_e32 v80, 1
	s_and_saveexec_b32 s18, s5
	s_cbranch_execz .LBB362_209
; %bb.204:                              ;   in Loop: Header=BB362_10 Depth=1
	v_and_b32_e32 v12, 0x7f, v24
	v_mov_b32_e32 v80, 0x7f800001
	s_mov_b32 s19, exec_lo
	v_cmpx_ne_u32_e32 0x7f, v12
	s_cbranch_execz .LBB362_208
; %bb.205:                              ;   in Loop: Header=BB362_10 Depth=1
	v_mov_b32_e32 v27, v25
	v_lshrrev_b32_e32 v9, 3, v12
	v_mov_b32_e32 v26, v24
	s_mov_b32 s20, exec_lo
	v_cmpx_gt_u32_e32 8, v12
; %bb.206:                              ;   in Loop: Header=BB362_10 Depth=1
	v_and_b32_e32 v9, 7, v24
	v_ffbh_u32_e32 v9, v9
	v_min_u32_e32 v9, 32, v9
	v_subrev_nc_u32_e32 v12, 28, v9
	v_sub_nc_u32_e32 v9, 29, v9
	v_lshlrev_b64 v[26:27], v12, v[24:25]
; %bb.207:                              ;   in Loop: Header=BB362_10 Depth=1
	s_or_b32 exec_lo, exec_lo, s20
	v_lshlrev_b32_e32 v12, 20, v26
	v_lshlrev_b32_e32 v26, 24, v24
	v_lshl_add_u32 v9, v9, 23, 0x3c000000
	v_and_b32_e32 v12, 0x700000, v12
	v_and_b32_e32 v26, 0x80000000, v26
	v_or3_b32 v80, v12, v26, v9
.LBB362_208:                            ;   in Loop: Header=BB362_10 Depth=1
	s_or_b32 exec_lo, exec_lo, s19
.LBB362_209:                            ;   in Loop: Header=BB362_10 Depth=1
	s_or_b32 exec_lo, exec_lo, s18
.LBB362_210:                            ;   in Loop: Header=BB362_10 Depth=1
	s_or_b32 exec_lo, exec_lo, s6
	v_cmp_ne_u16_sdwa s5, v24, v13 src0_sel:BYTE_1 src1_sel:DWORD
	v_mov_b32_e32 v82, 0
	v_mov_b32_e32 v81, 0
	s_and_saveexec_b32 s6, s5
	s_cbranch_execz .LBB362_218
; %bb.211:                              ;   in Loop: Header=BB362_10 Depth=1
	v_cmp_ne_u16_sdwa s5, v24, v6 src0_sel:BYTE_1 src1_sel:DWORD
	v_bfrev_b32_e32 v81, 1
	s_and_saveexec_b32 s18, s5
	s_cbranch_execz .LBB362_217
; %bb.212:                              ;   in Loop: Header=BB362_10 Depth=1
	v_and_b32_sdwa v9, v11, v24 dst_sel:DWORD dst_unused:UNUSED_PAD src0_sel:DWORD src1_sel:BYTE_1
	v_mov_b32_e32 v81, 0x7f800001
	s_mov_b32 s19, exec_lo
	v_and_b32_e32 v26, 0x7f, v9
	v_cmpx_ne_u32_e32 0x7f, v26
	s_cbranch_execz .LBB362_216
; %bb.213:                              ;   in Loop: Header=BB362_10 Depth=1
	v_and_b32_e32 v12, 7, v9
	v_lshrrev_b32_e32 v9, 3, v26
	s_mov_b32 s20, exec_lo
	v_cmpx_gt_u32_e32 8, v26
; %bb.214:                              ;   in Loop: Header=BB362_10 Depth=1
	v_ffbh_u32_e32 v9, v12
	v_min_u32_e32 v9, 32, v9
	v_subrev_nc_u32_e32 v26, 28, v9
	v_sub_nc_u32_e32 v9, 29, v9
	v_lshlrev_b64 v[26:27], v26, v[12:13]
	v_and_b32_e32 v12, 7, v26
; %bb.215:                              ;   in Loop: Header=BB362_10 Depth=1
	s_or_b32 exec_lo, exec_lo, s20
	v_lshlrev_b32_e32 v26, 16, v24
	v_lshlrev_b32_e32 v12, 20, v12
	v_lshl_add_u32 v9, v9, 23, 0x3c000000
	v_and_b32_e32 v26, 0x80000000, v26
	v_or3_b32 v81, v12, v26, v9
.LBB362_216:                            ;   in Loop: Header=BB362_10 Depth=1
	s_or_b32 exec_lo, exec_lo, s19
.LBB362_217:                            ;   in Loop: Header=BB362_10 Depth=1
	s_or_b32 exec_lo, exec_lo, s18
.LBB362_218:                            ;   in Loop: Header=BB362_10 Depth=1
	s_or_b32 exec_lo, exec_lo, s6
	v_and_b32_sdwa v9, v24, v10 dst_sel:DWORD dst_unused:UNUSED_PAD src0_sel:WORD_1 src1_sel:DWORD
	s_mov_b32 s6, exec_lo
	v_cmpx_ne_u16_e32 0, v9
	s_cbranch_execz .LBB362_226
; %bb.219:                              ;   in Loop: Header=BB362_10 Depth=1
	v_bfrev_b32_e32 v82, 1
	s_mov_b32 s18, exec_lo
	v_cmpx_ne_u16_e32 0x80, v9
	s_cbranch_execz .LBB362_225
; %bb.220:                              ;   in Loop: Header=BB362_10 Depth=1
	v_bfe_u32 v26, v24, 16, 7
	v_mov_b32_e32 v82, 0x7f800001
	s_mov_b32 s19, exec_lo
	v_cmpx_ne_u32_e32 0x7f, v26
	s_cbranch_execz .LBB362_224
; %bb.221:                              ;   in Loop: Header=BB362_10 Depth=1
	v_and_b32_sdwa v12, v24, v53 dst_sel:DWORD dst_unused:UNUSED_PAD src0_sel:WORD_1 src1_sel:DWORD
	v_lshrrev_b32_e32 v9, 3, v26
	s_mov_b32 s20, exec_lo
	v_cmpx_gt_u32_e32 8, v26
; %bb.222:                              ;   in Loop: Header=BB362_10 Depth=1
	v_ffbh_u32_e32 v9, v12
	v_min_u32_e32 v9, 32, v9
	v_subrev_nc_u32_e32 v26, 28, v9
	v_sub_nc_u32_e32 v9, 29, v9
	v_lshlrev_b64 v[26:27], v26, v[12:13]
	v_and_b32_e32 v12, 7, v26
; %bb.223:                              ;   in Loop: Header=BB362_10 Depth=1
	s_or_b32 exec_lo, exec_lo, s20
	v_lshlrev_b32_sdwa v26, v2, v24 dst_sel:DWORD dst_unused:UNUSED_PAD src0_sel:DWORD src1_sel:WORD_1
	v_lshlrev_b32_e32 v12, 20, v12
	v_lshl_add_u32 v9, v9, 23, 0x3c000000
	v_and_b32_e32 v26, 0x80000000, v26
	v_or3_b32 v82, v12, v26, v9
.LBB362_224:                            ;   in Loop: Header=BB362_10 Depth=1
	s_or_b32 exec_lo, exec_lo, s19
.LBB362_225:                            ;   in Loop: Header=BB362_10 Depth=1
	s_or_b32 exec_lo, exec_lo, s18
.LBB362_226:                            ;   in Loop: Header=BB362_10 Depth=1
	s_or_b32 exec_lo, exec_lo, s6
	v_mov_b32_e32 v84, 0
	v_mov_b32_e32 v83, 0
	s_mov_b32 s6, exec_lo
	v_cmpx_lt_u32_e32 0xffffff, v24
	s_cbranch_execz .LBB362_234
; %bb.227:                              ;   in Loop: Header=BB362_10 Depth=1
	v_cmp_ne_u32_sdwa s5, v24, v6 src0_sel:BYTE_3 src1_sel:DWORD
	v_bfrev_b32_e32 v83, 1
	s_and_saveexec_b32 s18, s5
	s_cbranch_execz .LBB362_233
; %bb.228:                              ;   in Loop: Header=BB362_10 Depth=1
	v_bfe_u32 v26, v24, 24, 7
	v_mov_b32_e32 v83, 0x7f800001
	s_mov_b32 s19, exec_lo
	v_cmpx_ne_u32_e32 0x7f, v26
	s_cbranch_execz .LBB362_232
; %bb.229:                              ;   in Loop: Header=BB362_10 Depth=1
	v_and_b32_sdwa v12, v24, v53 dst_sel:DWORD dst_unused:UNUSED_PAD src0_sel:BYTE_3 src1_sel:DWORD
	v_lshrrev_b32_e32 v9, 3, v26
	s_mov_b32 s20, exec_lo
	v_cmpx_gt_u32_e32 8, v26
; %bb.230:                              ;   in Loop: Header=BB362_10 Depth=1
	v_ffbh_u32_e32 v9, v12
	v_min_u32_e32 v9, 32, v9
	v_subrev_nc_u32_e32 v26, 28, v9
	v_sub_nc_u32_e32 v9, 29, v9
	v_lshlrev_b64 v[26:27], v26, v[12:13]
	v_and_b32_e32 v12, 7, v26
; %bb.231:                              ;   in Loop: Header=BB362_10 Depth=1
	s_or_b32 exec_lo, exec_lo, s20
	v_lshlrev_b32_sdwa v26, v2, v24 dst_sel:DWORD dst_unused:UNUSED_PAD src0_sel:DWORD src1_sel:BYTE_3
	v_lshlrev_b32_e32 v12, 20, v12
	v_lshl_add_u32 v9, v9, 23, 0x3c000000
	v_and_b32_e32 v26, 0x80000000, v26
	v_or3_b32 v83, v12, v26, v9
.LBB362_232:                            ;   in Loop: Header=BB362_10 Depth=1
	s_or_b32 exec_lo, exec_lo, s19
.LBB362_233:                            ;   in Loop: Header=BB362_10 Depth=1
	s_or_b32 exec_lo, exec_lo, s18
.LBB362_234:                            ;   in Loop: Header=BB362_10 Depth=1
	s_or_b32 exec_lo, exec_lo, s6
	v_mov_b32_e32 v12, v25
	v_cmp_ne_u16_sdwa s5, v25, v13 src0_sel:BYTE_0 src1_sel:DWORD
	s_and_saveexec_b32 s6, s5
	s_cbranch_execz .LBB362_242
; %bb.235:                              ;   in Loop: Header=BB362_10 Depth=1
	v_cmp_ne_u16_sdwa s5, v25, v6 src0_sel:BYTE_0 src1_sel:DWORD
	v_bfrev_b32_e32 v84, 1
	s_and_saveexec_b32 s18, s5
	s_cbranch_execz .LBB362_241
; %bb.236:                              ;   in Loop: Header=BB362_10 Depth=1
	v_and_b32_e32 v26, 0x7f, v25
	v_mov_b32_e32 v84, 0x7f800001
	s_mov_b32 s19, exec_lo
	v_cmpx_ne_u32_e32 0x7f, v26
	s_cbranch_execz .LBB362_240
; %bb.237:                              ;   in Loop: Header=BB362_10 Depth=1
	v_lshrrev_b32_e32 v9, 3, v26
	v_cmp_gt_u32_e64 s5, 8, v26
	v_mov_b32_e32 v27, v13
	v_mov_b32_e32 v26, v12
	s_and_saveexec_b32 s20, s5
; %bb.238:                              ;   in Loop: Header=BB362_10 Depth=1
	v_and_b32_e32 v9, 7, v25
	v_ffbh_u32_e32 v9, v9
	v_min_u32_e32 v9, 32, v9
	v_subrev_nc_u32_e32 v26, 28, v9
	v_sub_nc_u32_e32 v9, 29, v9
	v_lshlrev_b64 v[26:27], v26, v[12:13]
; %bb.239:                              ;   in Loop: Header=BB362_10 Depth=1
	s_or_b32 exec_lo, exec_lo, s20
	v_lshlrev_b32_e32 v26, 20, v26
	v_lshlrev_b32_e32 v27, 24, v12
	v_lshl_add_u32 v9, v9, 23, 0x3c000000
	v_and_b32_e32 v26, 0x700000, v26
	v_and_b32_e32 v27, 0x80000000, v27
	v_or3_b32 v84, v26, v27, v9
.LBB362_240:                            ;   in Loop: Header=BB362_10 Depth=1
	s_or_b32 exec_lo, exec_lo, s19
.LBB362_241:                            ;   in Loop: Header=BB362_10 Depth=1
	s_or_b32 exec_lo, exec_lo, s18
.LBB362_242:                            ;   in Loop: Header=BB362_10 Depth=1
	s_or_b32 exec_lo, exec_lo, s6
	v_cmp_ne_u16_sdwa s5, v12, v13 src0_sel:BYTE_1 src1_sel:DWORD
	v_mov_b32_e32 v85, 0
	v_mov_b32_e32 v86, 0
	s_and_saveexec_b32 s6, s5
	s_cbranch_execz .LBB362_250
; %bb.243:                              ;   in Loop: Header=BB362_10 Depth=1
	v_cmp_ne_u16_sdwa s5, v12, v6 src0_sel:BYTE_1 src1_sel:DWORD
	v_bfrev_b32_e32 v86, 1
	s_and_saveexec_b32 s18, s5
	s_cbranch_execz .LBB362_249
; %bb.244:                              ;   in Loop: Header=BB362_10 Depth=1
	v_and_b32_sdwa v9, v11, v12 dst_sel:DWORD dst_unused:UNUSED_PAD src0_sel:DWORD src1_sel:BYTE_1
	v_mov_b32_e32 v86, 0x7f800001
	s_mov_b32 s19, exec_lo
	v_and_b32_e32 v32, 0x7f, v9
	v_cmpx_ne_u32_e32 0x7f, v32
	s_cbranch_execz .LBB362_248
; %bb.245:                              ;   in Loop: Header=BB362_10 Depth=1
	v_and_b32_e32 v26, 7, v9
	v_mov_b32_e32 v27, v13
	v_lshrrev_b32_e32 v9, 3, v32
	s_mov_b32 s20, exec_lo
	v_cmpx_gt_u32_e32 8, v32
; %bb.246:                              ;   in Loop: Header=BB362_10 Depth=1
	v_ffbh_u32_e32 v9, v26
	v_min_u32_e32 v9, 32, v9
	v_subrev_nc_u32_e32 v32, 28, v9
	v_sub_nc_u32_e32 v9, 29, v9
	v_lshlrev_b64 v[26:27], v32, v[26:27]
	v_and_b32_e32 v26, 7, v26
; %bb.247:                              ;   in Loop: Header=BB362_10 Depth=1
	s_or_b32 exec_lo, exec_lo, s20
	v_lshlrev_b32_e32 v12, 16, v12
	v_lshlrev_b32_e32 v26, 20, v26
	v_lshl_add_u32 v9, v9, 23, 0x3c000000
	v_and_b32_e32 v12, 0x80000000, v12
	v_or3_b32 v86, v26, v12, v9
.LBB362_248:                            ;   in Loop: Header=BB362_10 Depth=1
	s_or_b32 exec_lo, exec_lo, s19
.LBB362_249:                            ;   in Loop: Header=BB362_10 Depth=1
	s_or_b32 exec_lo, exec_lo, s18
.LBB362_250:                            ;   in Loop: Header=BB362_10 Depth=1
	s_or_b32 exec_lo, exec_lo, s6
	v_and_b32_sdwa v9, v25, v10 dst_sel:DWORD dst_unused:UNUSED_PAD src0_sel:WORD_1 src1_sel:DWORD
	s_mov_b32 s6, exec_lo
	v_cmpx_ne_u16_e32 0, v9
	s_cbranch_execz .LBB362_258
; %bb.251:                              ;   in Loop: Header=BB362_10 Depth=1
	v_bfrev_b32_e32 v85, 1
	s_mov_b32 s18, exec_lo
	v_cmpx_ne_u16_e32 0x80, v9
	s_cbranch_execz .LBB362_257
; %bb.252:                              ;   in Loop: Header=BB362_10 Depth=1
	v_bfe_u32 v26, v25, 16, 7
	v_mov_b32_e32 v85, 0x7f800001
	s_mov_b32 s19, exec_lo
	v_cmpx_ne_u32_e32 0x7f, v26
	s_cbranch_execz .LBB362_256
; %bb.253:                              ;   in Loop: Header=BB362_10 Depth=1
	v_and_b32_sdwa v12, v25, v53 dst_sel:DWORD dst_unused:UNUSED_PAD src0_sel:WORD_1 src1_sel:DWORD
	v_lshrrev_b32_e32 v9, 3, v26
	s_mov_b32 s20, exec_lo
	v_cmpx_gt_u32_e32 8, v26
; %bb.254:                              ;   in Loop: Header=BB362_10 Depth=1
	v_ffbh_u32_e32 v9, v12
	v_min_u32_e32 v9, 32, v9
	v_subrev_nc_u32_e32 v26, 28, v9
	v_sub_nc_u32_e32 v9, 29, v9
	v_lshlrev_b64 v[26:27], v26, v[12:13]
	v_and_b32_e32 v12, 7, v26
; %bb.255:                              ;   in Loop: Header=BB362_10 Depth=1
	s_or_b32 exec_lo, exec_lo, s20
	v_lshlrev_b32_sdwa v26, v2, v25 dst_sel:DWORD dst_unused:UNUSED_PAD src0_sel:DWORD src1_sel:WORD_1
	v_lshlrev_b32_e32 v12, 20, v12
	v_lshl_add_u32 v9, v9, 23, 0x3c000000
	v_and_b32_e32 v26, 0x80000000, v26
	v_or3_b32 v85, v12, v26, v9
.LBB362_256:                            ;   in Loop: Header=BB362_10 Depth=1
	s_or_b32 exec_lo, exec_lo, s19
.LBB362_257:                            ;   in Loop: Header=BB362_10 Depth=1
	s_or_b32 exec_lo, exec_lo, s18
.LBB362_258:                            ;   in Loop: Header=BB362_10 Depth=1
	s_or_b32 exec_lo, exec_lo, s6
	v_mov_b32_e32 v96, 0
	v_mov_b32_e32 v87, 0
	s_mov_b32 s6, exec_lo
	v_cmpx_lt_u64_e64 s[8:9], v[24:25]
	s_cbranch_execz .LBB362_266
; %bb.259:                              ;   in Loop: Header=BB362_10 Depth=1
	v_cmp_ne_u32_sdwa s5, v25, v6 src0_sel:BYTE_3 src1_sel:DWORD
	v_bfrev_b32_e32 v87, 1
	s_and_saveexec_b32 s18, s5
	s_cbranch_execz .LBB362_265
; %bb.260:                              ;   in Loop: Header=BB362_10 Depth=1
	v_bfe_u32 v24, v25, 24, 7
	v_mov_b32_e32 v87, 0x7f800001
	s_mov_b32 s19, exec_lo
	v_cmpx_ne_u32_e32 0x7f, v24
	s_cbranch_execz .LBB362_264
; %bb.261:                              ;   in Loop: Header=BB362_10 Depth=1
	v_and_b32_sdwa v12, v25, v53 dst_sel:DWORD dst_unused:UNUSED_PAD src0_sel:BYTE_3 src1_sel:DWORD
	v_lshrrev_b32_e32 v9, 3, v24
	s_mov_b32 s20, exec_lo
	v_cmpx_gt_u32_e32 8, v24
; %bb.262:                              ;   in Loop: Header=BB362_10 Depth=1
	v_ffbh_u32_e32 v9, v12
	v_min_u32_e32 v9, 32, v9
	v_subrev_nc_u32_e32 v24, 28, v9
	v_sub_nc_u32_e32 v9, 29, v9
	v_lshlrev_b64 v[26:27], v24, v[12:13]
	v_and_b32_e32 v12, 7, v26
; %bb.263:                              ;   in Loop: Header=BB362_10 Depth=1
	s_or_b32 exec_lo, exec_lo, s20
	v_lshlrev_b32_sdwa v24, v2, v25 dst_sel:DWORD dst_unused:UNUSED_PAD src0_sel:DWORD src1_sel:BYTE_3
	v_lshlrev_b32_e32 v12, 20, v12
	v_lshl_add_u32 v9, v9, 23, 0x3c000000
	v_and_b32_e32 v24, 0x80000000, v24
	v_or3_b32 v87, v12, v24, v9
.LBB362_264:                            ;   in Loop: Header=BB362_10 Depth=1
	s_or_b32 exec_lo, exec_lo, s19
.LBB362_265:                            ;   in Loop: Header=BB362_10 Depth=1
	s_or_b32 exec_lo, exec_lo, s18
.LBB362_266:                            ;   in Loop: Header=BB362_10 Depth=1
	s_or_b32 exec_lo, exec_lo, s6
	flat_load_dwordx2 v[24:25], v[16:17] offset:1024
	s_waitcnt vmcnt(0) lgkmcnt(0)
	v_cmp_ne_u16_sdwa s5, v24, v13 src0_sel:BYTE_0 src1_sel:DWORD
	s_and_saveexec_b32 s6, s5
	s_cbranch_execz .LBB362_274
; %bb.267:                              ;   in Loop: Header=BB362_10 Depth=1
	v_cmp_ne_u16_sdwa s5, v24, v6 src0_sel:BYTE_0 src1_sel:DWORD
	v_bfrev_b32_e32 v96, 1
	s_and_saveexec_b32 s18, s5
	s_cbranch_execz .LBB362_273
; %bb.268:                              ;   in Loop: Header=BB362_10 Depth=1
	v_and_b32_e32 v12, 0x7f, v24
	v_mov_b32_e32 v96, 0x7f800001
	s_mov_b32 s19, exec_lo
	v_cmpx_ne_u32_e32 0x7f, v12
	s_cbranch_execz .LBB362_272
; %bb.269:                              ;   in Loop: Header=BB362_10 Depth=1
	v_mov_b32_e32 v27, v25
	v_lshrrev_b32_e32 v9, 3, v12
	v_mov_b32_e32 v26, v24
	s_mov_b32 s20, exec_lo
	v_cmpx_gt_u32_e32 8, v12
; %bb.270:                              ;   in Loop: Header=BB362_10 Depth=1
	v_and_b32_e32 v9, 7, v24
	v_ffbh_u32_e32 v9, v9
	v_min_u32_e32 v9, 32, v9
	v_subrev_nc_u32_e32 v12, 28, v9
	v_sub_nc_u32_e32 v9, 29, v9
	v_lshlrev_b64 v[26:27], v12, v[24:25]
; %bb.271:                              ;   in Loop: Header=BB362_10 Depth=1
	s_or_b32 exec_lo, exec_lo, s20
	v_lshlrev_b32_e32 v12, 20, v26
	v_lshlrev_b32_e32 v26, 24, v24
	v_lshl_add_u32 v9, v9, 23, 0x3c000000
	v_and_b32_e32 v12, 0x700000, v12
	v_and_b32_e32 v26, 0x80000000, v26
	v_or3_b32 v96, v12, v26, v9
.LBB362_272:                            ;   in Loop: Header=BB362_10 Depth=1
	s_or_b32 exec_lo, exec_lo, s19
.LBB362_273:                            ;   in Loop: Header=BB362_10 Depth=1
	s_or_b32 exec_lo, exec_lo, s18
.LBB362_274:                            ;   in Loop: Header=BB362_10 Depth=1
	s_or_b32 exec_lo, exec_lo, s6
	v_cmp_ne_u16_sdwa s5, v24, v13 src0_sel:BYTE_1 src1_sel:DWORD
	v_mov_b32_e32 v98, 0
	v_mov_b32_e32 v97, 0
	s_and_saveexec_b32 s6, s5
	s_cbranch_execz .LBB362_282
; %bb.275:                              ;   in Loop: Header=BB362_10 Depth=1
	v_cmp_ne_u16_sdwa s5, v24, v6 src0_sel:BYTE_1 src1_sel:DWORD
	v_bfrev_b32_e32 v97, 1
	s_and_saveexec_b32 s18, s5
	s_cbranch_execz .LBB362_281
; %bb.276:                              ;   in Loop: Header=BB362_10 Depth=1
	v_and_b32_sdwa v9, v11, v24 dst_sel:DWORD dst_unused:UNUSED_PAD src0_sel:DWORD src1_sel:BYTE_1
	v_mov_b32_e32 v97, 0x7f800001
	s_mov_b32 s19, exec_lo
	v_and_b32_e32 v26, 0x7f, v9
	v_cmpx_ne_u32_e32 0x7f, v26
	s_cbranch_execz .LBB362_280
; %bb.277:                              ;   in Loop: Header=BB362_10 Depth=1
	v_and_b32_e32 v12, 7, v9
	v_lshrrev_b32_e32 v9, 3, v26
	s_mov_b32 s20, exec_lo
	v_cmpx_gt_u32_e32 8, v26
; %bb.278:                              ;   in Loop: Header=BB362_10 Depth=1
	v_ffbh_u32_e32 v9, v12
	v_min_u32_e32 v9, 32, v9
	v_subrev_nc_u32_e32 v26, 28, v9
	v_sub_nc_u32_e32 v9, 29, v9
	v_lshlrev_b64 v[26:27], v26, v[12:13]
	v_and_b32_e32 v12, 7, v26
; %bb.279:                              ;   in Loop: Header=BB362_10 Depth=1
	s_or_b32 exec_lo, exec_lo, s20
	v_lshlrev_b32_e32 v26, 16, v24
	v_lshlrev_b32_e32 v12, 20, v12
	v_lshl_add_u32 v9, v9, 23, 0x3c000000
	v_and_b32_e32 v26, 0x80000000, v26
	v_or3_b32 v97, v12, v26, v9
.LBB362_280:                            ;   in Loop: Header=BB362_10 Depth=1
	s_or_b32 exec_lo, exec_lo, s19
.LBB362_281:                            ;   in Loop: Header=BB362_10 Depth=1
	s_or_b32 exec_lo, exec_lo, s18
.LBB362_282:                            ;   in Loop: Header=BB362_10 Depth=1
	s_or_b32 exec_lo, exec_lo, s6
	v_and_b32_sdwa v9, v24, v10 dst_sel:DWORD dst_unused:UNUSED_PAD src0_sel:WORD_1 src1_sel:DWORD
	s_mov_b32 s6, exec_lo
	v_cmpx_ne_u16_e32 0, v9
	s_cbranch_execz .LBB362_290
; %bb.283:                              ;   in Loop: Header=BB362_10 Depth=1
	v_bfrev_b32_e32 v98, 1
	s_mov_b32 s18, exec_lo
	v_cmpx_ne_u16_e32 0x80, v9
	s_cbranch_execz .LBB362_289
; %bb.284:                              ;   in Loop: Header=BB362_10 Depth=1
	v_bfe_u32 v26, v24, 16, 7
	v_mov_b32_e32 v98, 0x7f800001
	s_mov_b32 s19, exec_lo
	v_cmpx_ne_u32_e32 0x7f, v26
	s_cbranch_execz .LBB362_288
; %bb.285:                              ;   in Loop: Header=BB362_10 Depth=1
	v_and_b32_sdwa v12, v24, v53 dst_sel:DWORD dst_unused:UNUSED_PAD src0_sel:WORD_1 src1_sel:DWORD
	v_lshrrev_b32_e32 v9, 3, v26
	s_mov_b32 s20, exec_lo
	v_cmpx_gt_u32_e32 8, v26
; %bb.286:                              ;   in Loop: Header=BB362_10 Depth=1
	v_ffbh_u32_e32 v9, v12
	v_min_u32_e32 v9, 32, v9
	v_subrev_nc_u32_e32 v26, 28, v9
	v_sub_nc_u32_e32 v9, 29, v9
	v_lshlrev_b64 v[26:27], v26, v[12:13]
	v_and_b32_e32 v12, 7, v26
; %bb.287:                              ;   in Loop: Header=BB362_10 Depth=1
	s_or_b32 exec_lo, exec_lo, s20
	v_lshlrev_b32_sdwa v26, v2, v24 dst_sel:DWORD dst_unused:UNUSED_PAD src0_sel:DWORD src1_sel:WORD_1
	v_lshlrev_b32_e32 v12, 20, v12
	v_lshl_add_u32 v9, v9, 23, 0x3c000000
	v_and_b32_e32 v26, 0x80000000, v26
	v_or3_b32 v98, v12, v26, v9
.LBB362_288:                            ;   in Loop: Header=BB362_10 Depth=1
	s_or_b32 exec_lo, exec_lo, s19
.LBB362_289:                            ;   in Loop: Header=BB362_10 Depth=1
	s_or_b32 exec_lo, exec_lo, s18
.LBB362_290:                            ;   in Loop: Header=BB362_10 Depth=1
	s_or_b32 exec_lo, exec_lo, s6
	v_mov_b32_e32 v100, 0
	v_mov_b32_e32 v99, 0
	s_mov_b32 s6, exec_lo
	v_cmpx_lt_u32_e32 0xffffff, v24
	s_cbranch_execz .LBB362_298
; %bb.291:                              ;   in Loop: Header=BB362_10 Depth=1
	v_cmp_ne_u32_sdwa s5, v24, v6 src0_sel:BYTE_3 src1_sel:DWORD
	v_bfrev_b32_e32 v99, 1
	s_and_saveexec_b32 s18, s5
	s_cbranch_execz .LBB362_297
; %bb.292:                              ;   in Loop: Header=BB362_10 Depth=1
	v_bfe_u32 v26, v24, 24, 7
	v_mov_b32_e32 v99, 0x7f800001
	s_mov_b32 s19, exec_lo
	v_cmpx_ne_u32_e32 0x7f, v26
	s_cbranch_execz .LBB362_296
; %bb.293:                              ;   in Loop: Header=BB362_10 Depth=1
	v_and_b32_sdwa v12, v24, v53 dst_sel:DWORD dst_unused:UNUSED_PAD src0_sel:BYTE_3 src1_sel:DWORD
	v_lshrrev_b32_e32 v9, 3, v26
	s_mov_b32 s20, exec_lo
	v_cmpx_gt_u32_e32 8, v26
; %bb.294:                              ;   in Loop: Header=BB362_10 Depth=1
	v_ffbh_u32_e32 v9, v12
	v_min_u32_e32 v9, 32, v9
	v_subrev_nc_u32_e32 v26, 28, v9
	v_sub_nc_u32_e32 v9, 29, v9
	v_lshlrev_b64 v[26:27], v26, v[12:13]
	v_and_b32_e32 v12, 7, v26
; %bb.295:                              ;   in Loop: Header=BB362_10 Depth=1
	s_or_b32 exec_lo, exec_lo, s20
	v_lshlrev_b32_sdwa v26, v2, v24 dst_sel:DWORD dst_unused:UNUSED_PAD src0_sel:DWORD src1_sel:BYTE_3
	v_lshlrev_b32_e32 v12, 20, v12
	v_lshl_add_u32 v9, v9, 23, 0x3c000000
	v_and_b32_e32 v26, 0x80000000, v26
	v_or3_b32 v99, v12, v26, v9
.LBB362_296:                            ;   in Loop: Header=BB362_10 Depth=1
	s_or_b32 exec_lo, exec_lo, s19
.LBB362_297:                            ;   in Loop: Header=BB362_10 Depth=1
	s_or_b32 exec_lo, exec_lo, s18
.LBB362_298:                            ;   in Loop: Header=BB362_10 Depth=1
	s_or_b32 exec_lo, exec_lo, s6
	v_mov_b32_e32 v12, v25
	v_cmp_ne_u16_sdwa s5, v25, v13 src0_sel:BYTE_0 src1_sel:DWORD
	s_and_saveexec_b32 s6, s5
	s_cbranch_execz .LBB362_306
; %bb.299:                              ;   in Loop: Header=BB362_10 Depth=1
	v_cmp_ne_u16_sdwa s5, v25, v6 src0_sel:BYTE_0 src1_sel:DWORD
	v_bfrev_b32_e32 v100, 1
	s_and_saveexec_b32 s18, s5
	s_cbranch_execz .LBB362_305
; %bb.300:                              ;   in Loop: Header=BB362_10 Depth=1
	v_and_b32_e32 v26, 0x7f, v25
	v_mov_b32_e32 v100, 0x7f800001
	s_mov_b32 s19, exec_lo
	v_cmpx_ne_u32_e32 0x7f, v26
	s_cbranch_execz .LBB362_304
; %bb.301:                              ;   in Loop: Header=BB362_10 Depth=1
	v_lshrrev_b32_e32 v9, 3, v26
	v_cmp_gt_u32_e64 s5, 8, v26
	v_mov_b32_e32 v27, v13
	v_mov_b32_e32 v26, v12
	s_and_saveexec_b32 s20, s5
; %bb.302:                              ;   in Loop: Header=BB362_10 Depth=1
	v_and_b32_e32 v9, 7, v25
	v_ffbh_u32_e32 v9, v9
	v_min_u32_e32 v9, 32, v9
	v_subrev_nc_u32_e32 v26, 28, v9
	v_sub_nc_u32_e32 v9, 29, v9
	v_lshlrev_b64 v[26:27], v26, v[12:13]
; %bb.303:                              ;   in Loop: Header=BB362_10 Depth=1
	s_or_b32 exec_lo, exec_lo, s20
	v_lshlrev_b32_e32 v26, 20, v26
	v_lshlrev_b32_e32 v27, 24, v12
	v_lshl_add_u32 v9, v9, 23, 0x3c000000
	v_and_b32_e32 v26, 0x700000, v26
	v_and_b32_e32 v27, 0x80000000, v27
	v_or3_b32 v100, v26, v27, v9
.LBB362_304:                            ;   in Loop: Header=BB362_10 Depth=1
	s_or_b32 exec_lo, exec_lo, s19
.LBB362_305:                            ;   in Loop: Header=BB362_10 Depth=1
	s_or_b32 exec_lo, exec_lo, s18
.LBB362_306:                            ;   in Loop: Header=BB362_10 Depth=1
	s_or_b32 exec_lo, exec_lo, s6
	v_cmp_ne_u16_sdwa s5, v12, v13 src0_sel:BYTE_1 src1_sel:DWORD
	v_mov_b32_e32 v101, 0
	v_mov_b32_e32 v102, 0
	s_and_saveexec_b32 s6, s5
	s_cbranch_execz .LBB362_314
; %bb.307:                              ;   in Loop: Header=BB362_10 Depth=1
	v_cmp_ne_u16_sdwa s5, v12, v6 src0_sel:BYTE_1 src1_sel:DWORD
	v_bfrev_b32_e32 v102, 1
	s_and_saveexec_b32 s18, s5
	s_cbranch_execz .LBB362_313
; %bb.308:                              ;   in Loop: Header=BB362_10 Depth=1
	v_and_b32_sdwa v9, v11, v12 dst_sel:DWORD dst_unused:UNUSED_PAD src0_sel:DWORD src1_sel:BYTE_1
	v_mov_b32_e32 v102, 0x7f800001
	s_mov_b32 s19, exec_lo
	v_and_b32_e32 v32, 0x7f, v9
	v_cmpx_ne_u32_e32 0x7f, v32
	s_cbranch_execz .LBB362_312
; %bb.309:                              ;   in Loop: Header=BB362_10 Depth=1
	v_and_b32_e32 v26, 7, v9
	v_mov_b32_e32 v27, v13
	v_lshrrev_b32_e32 v9, 3, v32
	s_mov_b32 s20, exec_lo
	v_cmpx_gt_u32_e32 8, v32
; %bb.310:                              ;   in Loop: Header=BB362_10 Depth=1
	v_ffbh_u32_e32 v9, v26
	v_min_u32_e32 v9, 32, v9
	v_subrev_nc_u32_e32 v32, 28, v9
	v_sub_nc_u32_e32 v9, 29, v9
	v_lshlrev_b64 v[26:27], v32, v[26:27]
	v_and_b32_e32 v26, 7, v26
; %bb.311:                              ;   in Loop: Header=BB362_10 Depth=1
	s_or_b32 exec_lo, exec_lo, s20
	v_lshlrev_b32_e32 v12, 16, v12
	v_lshlrev_b32_e32 v26, 20, v26
	v_lshl_add_u32 v9, v9, 23, 0x3c000000
	v_and_b32_e32 v12, 0x80000000, v12
	v_or3_b32 v102, v26, v12, v9
.LBB362_312:                            ;   in Loop: Header=BB362_10 Depth=1
	s_or_b32 exec_lo, exec_lo, s19
.LBB362_313:                            ;   in Loop: Header=BB362_10 Depth=1
	s_or_b32 exec_lo, exec_lo, s18
.LBB362_314:                            ;   in Loop: Header=BB362_10 Depth=1
	s_or_b32 exec_lo, exec_lo, s6
	v_and_b32_sdwa v9, v25, v10 dst_sel:DWORD dst_unused:UNUSED_PAD src0_sel:WORD_1 src1_sel:DWORD
	s_mov_b32 s6, exec_lo
	v_cmpx_ne_u16_e32 0, v9
	s_cbranch_execz .LBB362_322
; %bb.315:                              ;   in Loop: Header=BB362_10 Depth=1
	v_bfrev_b32_e32 v101, 1
	s_mov_b32 s18, exec_lo
	v_cmpx_ne_u16_e32 0x80, v9
	s_cbranch_execz .LBB362_321
; %bb.316:                              ;   in Loop: Header=BB362_10 Depth=1
	v_bfe_u32 v26, v25, 16, 7
	v_mov_b32_e32 v101, 0x7f800001
	s_mov_b32 s19, exec_lo
	v_cmpx_ne_u32_e32 0x7f, v26
	s_cbranch_execz .LBB362_320
; %bb.317:                              ;   in Loop: Header=BB362_10 Depth=1
	v_and_b32_sdwa v12, v25, v53 dst_sel:DWORD dst_unused:UNUSED_PAD src0_sel:WORD_1 src1_sel:DWORD
	v_lshrrev_b32_e32 v9, 3, v26
	s_mov_b32 s20, exec_lo
	v_cmpx_gt_u32_e32 8, v26
; %bb.318:                              ;   in Loop: Header=BB362_10 Depth=1
	v_ffbh_u32_e32 v9, v12
	v_min_u32_e32 v9, 32, v9
	v_subrev_nc_u32_e32 v26, 28, v9
	v_sub_nc_u32_e32 v9, 29, v9
	v_lshlrev_b64 v[26:27], v26, v[12:13]
	v_and_b32_e32 v12, 7, v26
; %bb.319:                              ;   in Loop: Header=BB362_10 Depth=1
	s_or_b32 exec_lo, exec_lo, s20
	v_lshlrev_b32_sdwa v26, v2, v25 dst_sel:DWORD dst_unused:UNUSED_PAD src0_sel:DWORD src1_sel:WORD_1
	v_lshlrev_b32_e32 v12, 20, v12
	v_lshl_add_u32 v9, v9, 23, 0x3c000000
	v_and_b32_e32 v26, 0x80000000, v26
	v_or3_b32 v101, v12, v26, v9
.LBB362_320:                            ;   in Loop: Header=BB362_10 Depth=1
	s_or_b32 exec_lo, exec_lo, s19
.LBB362_321:                            ;   in Loop: Header=BB362_10 Depth=1
	s_or_b32 exec_lo, exec_lo, s18
.LBB362_322:                            ;   in Loop: Header=BB362_10 Depth=1
	s_or_b32 exec_lo, exec_lo, s6
	v_mov_b32_e32 v103, 0
	v_mov_b32_e32 v9, 0
	s_mov_b32 s6, exec_lo
	v_cmpx_lt_u64_e64 s[8:9], v[24:25]
	s_cbranch_execz .LBB362_330
; %bb.323:                              ;   in Loop: Header=BB362_10 Depth=1
	v_cmp_ne_u32_sdwa s5, v25, v6 src0_sel:BYTE_3 src1_sel:DWORD
	v_bfrev_b32_e32 v9, 1
	s_and_saveexec_b32 s18, s5
	s_cbranch_execz .LBB362_329
; %bb.324:                              ;   in Loop: Header=BB362_10 Depth=1
	v_bfe_u32 v24, v25, 24, 7
	v_mov_b32_e32 v9, 0x7f800001
	s_mov_b32 s19, exec_lo
	v_cmpx_ne_u32_e32 0x7f, v24
	s_cbranch_execz .LBB362_328
; %bb.325:                              ;   in Loop: Header=BB362_10 Depth=1
	v_and_b32_sdwa v12, v25, v53 dst_sel:DWORD dst_unused:UNUSED_PAD src0_sel:BYTE_3 src1_sel:DWORD
	v_lshrrev_b32_e32 v9, 3, v24
	s_mov_b32 s20, exec_lo
	v_cmpx_gt_u32_e32 8, v24
; %bb.326:                              ;   in Loop: Header=BB362_10 Depth=1
	v_ffbh_u32_e32 v9, v12
	v_min_u32_e32 v9, 32, v9
	v_subrev_nc_u32_e32 v24, 28, v9
	v_sub_nc_u32_e32 v9, 29, v9
	v_lshlrev_b64 v[26:27], v24, v[12:13]
	v_and_b32_e32 v12, 7, v26
; %bb.327:                              ;   in Loop: Header=BB362_10 Depth=1
	s_or_b32 exec_lo, exec_lo, s20
	v_lshlrev_b32_sdwa v24, v2, v25 dst_sel:DWORD dst_unused:UNUSED_PAD src0_sel:DWORD src1_sel:BYTE_3
	v_lshlrev_b32_e32 v12, 20, v12
	v_lshl_add_u32 v9, v9, 23, 0x3c000000
	v_and_b32_e32 v24, 0x80000000, v24
	v_or3_b32 v9, v12, v24, v9
.LBB362_328:                            ;   in Loop: Header=BB362_10 Depth=1
	s_or_b32 exec_lo, exec_lo, s19
.LBB362_329:                            ;   in Loop: Header=BB362_10 Depth=1
	s_or_b32 exec_lo, exec_lo, s18
.LBB362_330:                            ;   in Loop: Header=BB362_10 Depth=1
	s_or_b32 exec_lo, exec_lo, s6
	flat_load_dwordx2 v[24:25], v[16:17] offset:1032
	s_waitcnt vmcnt(0) lgkmcnt(0)
	v_cmp_ne_u16_sdwa s5, v24, v13 src0_sel:BYTE_0 src1_sel:DWORD
	s_and_saveexec_b32 s6, s5
	s_cbranch_execz .LBB362_338
; %bb.331:                              ;   in Loop: Header=BB362_10 Depth=1
	v_cmp_ne_u16_sdwa s5, v24, v6 src0_sel:BYTE_0 src1_sel:DWORD
	v_bfrev_b32_e32 v103, 1
	s_and_saveexec_b32 s18, s5
	s_cbranch_execz .LBB362_337
; %bb.332:                              ;   in Loop: Header=BB362_10 Depth=1
	v_and_b32_e32 v26, 0x7f, v24
	v_mov_b32_e32 v103, 0x7f800001
	s_mov_b32 s19, exec_lo
	v_cmpx_ne_u32_e32 0x7f, v26
	s_cbranch_execz .LBB362_336
; %bb.333:                              ;   in Loop: Header=BB362_10 Depth=1
	v_lshrrev_b32_e32 v12, 3, v26
	v_cmp_gt_u32_e64 s5, 8, v26
	v_mov_b32_e32 v27, v25
	v_mov_b32_e32 v26, v24
	s_and_saveexec_b32 s20, s5
; %bb.334:                              ;   in Loop: Header=BB362_10 Depth=1
	v_and_b32_e32 v12, 7, v24
	v_ffbh_u32_e32 v12, v12
	v_min_u32_e32 v12, 32, v12
	v_subrev_nc_u32_e32 v26, 28, v12
	v_sub_nc_u32_e32 v12, 29, v12
	v_lshlrev_b64 v[26:27], v26, v[24:25]
; %bb.335:                              ;   in Loop: Header=BB362_10 Depth=1
	s_or_b32 exec_lo, exec_lo, s20
	v_lshlrev_b32_e32 v26, 20, v26
	v_lshlrev_b32_e32 v27, 24, v24
	v_lshl_add_u32 v12, v12, 23, 0x3c000000
	v_and_b32_e32 v26, 0x700000, v26
	v_and_b32_e32 v27, 0x80000000, v27
	v_or3_b32 v103, v26, v27, v12
.LBB362_336:                            ;   in Loop: Header=BB362_10 Depth=1
	s_or_b32 exec_lo, exec_lo, s19
.LBB362_337:                            ;   in Loop: Header=BB362_10 Depth=1
	s_or_b32 exec_lo, exec_lo, s18
.LBB362_338:                            ;   in Loop: Header=BB362_10 Depth=1
	s_or_b32 exec_lo, exec_lo, s6
	v_cmp_ne_u16_sdwa s5, v24, v13 src0_sel:BYTE_1 src1_sel:DWORD
	v_mov_b32_e32 v113, 0
	v_mov_b32_e32 v112, 0
	s_and_saveexec_b32 s6, s5
	s_cbranch_execz .LBB362_346
; %bb.339:                              ;   in Loop: Header=BB362_10 Depth=1
	v_cmp_ne_u16_sdwa s5, v24, v6 src0_sel:BYTE_1 src1_sel:DWORD
	v_bfrev_b32_e32 v112, 1
	s_and_saveexec_b32 s18, s5
	s_cbranch_execz .LBB362_345
; %bb.340:                              ;   in Loop: Header=BB362_10 Depth=1
	v_and_b32_sdwa v12, v11, v24 dst_sel:DWORD dst_unused:UNUSED_PAD src0_sel:DWORD src1_sel:BYTE_1
	v_mov_b32_e32 v112, 0x7f800001
	s_mov_b32 s19, exec_lo
	v_and_b32_e32 v27, 0x7f, v12
	v_cmpx_ne_u32_e32 0x7f, v27
	s_cbranch_execz .LBB362_344
; %bb.341:                              ;   in Loop: Header=BB362_10 Depth=1
	v_and_b32_e32 v12, 7, v12
	v_lshrrev_b32_e32 v26, 3, v27
	s_mov_b32 s20, exec_lo
	v_cmpx_gt_u32_e32 8, v27
; %bb.342:                              ;   in Loop: Header=BB362_10 Depth=1
	v_ffbh_u32_e32 v26, v12
	v_min_u32_e32 v26, 32, v26
	v_subrev_nc_u32_e32 v27, 28, v26
	v_sub_nc_u32_e32 v26, 29, v26
	v_lshlrev_b64 v[114:115], v27, v[12:13]
	v_and_b32_e32 v12, 7, v114
; %bb.343:                              ;   in Loop: Header=BB362_10 Depth=1
	s_or_b32 exec_lo, exec_lo, s20
	v_lshlrev_b32_e32 v27, 16, v24
	v_lshlrev_b32_e32 v12, 20, v12
	v_lshl_add_u32 v26, v26, 23, 0x3c000000
	v_and_b32_e32 v27, 0x80000000, v27
	v_or3_b32 v112, v12, v27, v26
.LBB362_344:                            ;   in Loop: Header=BB362_10 Depth=1
	s_or_b32 exec_lo, exec_lo, s19
.LBB362_345:                            ;   in Loop: Header=BB362_10 Depth=1
	s_or_b32 exec_lo, exec_lo, s18
.LBB362_346:                            ;   in Loop: Header=BB362_10 Depth=1
	s_or_b32 exec_lo, exec_lo, s6
	v_and_b32_sdwa v12, v24, v10 dst_sel:DWORD dst_unused:UNUSED_PAD src0_sel:WORD_1 src1_sel:DWORD
	s_mov_b32 s6, exec_lo
	v_cmpx_ne_u16_e32 0, v12
	s_cbranch_execz .LBB362_354
; %bb.347:                              ;   in Loop: Header=BB362_10 Depth=1
	v_bfrev_b32_e32 v113, 1
	s_mov_b32 s18, exec_lo
	v_cmpx_ne_u16_e32 0x80, v12
	s_cbranch_execz .LBB362_353
; %bb.348:                              ;   in Loop: Header=BB362_10 Depth=1
	v_bfe_u32 v27, v24, 16, 7
	v_mov_b32_e32 v113, 0x7f800001
	s_mov_b32 s19, exec_lo
	v_cmpx_ne_u32_e32 0x7f, v27
	s_cbranch_execz .LBB362_352
; %bb.349:                              ;   in Loop: Header=BB362_10 Depth=1
	v_and_b32_sdwa v12, v24, v53 dst_sel:DWORD dst_unused:UNUSED_PAD src0_sel:WORD_1 src1_sel:DWORD
	v_lshrrev_b32_e32 v26, 3, v27
	s_mov_b32 s20, exec_lo
	v_cmpx_gt_u32_e32 8, v27
; %bb.350:                              ;   in Loop: Header=BB362_10 Depth=1
	v_ffbh_u32_e32 v26, v12
	v_min_u32_e32 v26, 32, v26
	v_subrev_nc_u32_e32 v27, 28, v26
	v_sub_nc_u32_e32 v26, 29, v26
	v_lshlrev_b64 v[113:114], v27, v[12:13]
	v_and_b32_e32 v12, 7, v113
; %bb.351:                              ;   in Loop: Header=BB362_10 Depth=1
	s_or_b32 exec_lo, exec_lo, s20
	v_lshlrev_b32_sdwa v27, v2, v24 dst_sel:DWORD dst_unused:UNUSED_PAD src0_sel:DWORD src1_sel:WORD_1
	v_lshlrev_b32_e32 v12, 20, v12
	v_lshl_add_u32 v26, v26, 23, 0x3c000000
	v_and_b32_e32 v27, 0x80000000, v27
	v_or3_b32 v113, v12, v27, v26
.LBB362_352:                            ;   in Loop: Header=BB362_10 Depth=1
	s_or_b32 exec_lo, exec_lo, s19
.LBB362_353:                            ;   in Loop: Header=BB362_10 Depth=1
	s_or_b32 exec_lo, exec_lo, s18
.LBB362_354:                            ;   in Loop: Header=BB362_10 Depth=1
	s_or_b32 exec_lo, exec_lo, s6
	v_mov_b32_e32 v115, 0
	v_mov_b32_e32 v114, 0
	s_mov_b32 s6, exec_lo
	v_cmpx_lt_u32_e32 0xffffff, v24
	s_cbranch_execz .LBB362_362
; %bb.355:                              ;   in Loop: Header=BB362_10 Depth=1
	v_cmp_ne_u32_sdwa s5, v24, v6 src0_sel:BYTE_3 src1_sel:DWORD
	v_bfrev_b32_e32 v114, 1
	s_and_saveexec_b32 s18, s5
	s_cbranch_execz .LBB362_361
; %bb.356:                              ;   in Loop: Header=BB362_10 Depth=1
	v_bfe_u32 v27, v24, 24, 7
	v_mov_b32_e32 v114, 0x7f800001
	s_mov_b32 s19, exec_lo
	v_cmpx_ne_u32_e32 0x7f, v27
	s_cbranch_execz .LBB362_360
; %bb.357:                              ;   in Loop: Header=BB362_10 Depth=1
	v_and_b32_sdwa v12, v24, v53 dst_sel:DWORD dst_unused:UNUSED_PAD src0_sel:BYTE_3 src1_sel:DWORD
	v_lshrrev_b32_e32 v26, 3, v27
	s_mov_b32 s20, exec_lo
	v_cmpx_gt_u32_e32 8, v27
; %bb.358:                              ;   in Loop: Header=BB362_10 Depth=1
	v_ffbh_u32_e32 v26, v12
	v_min_u32_e32 v26, 32, v26
	v_subrev_nc_u32_e32 v27, 28, v26
	v_sub_nc_u32_e32 v26, 29, v26
	v_lshlrev_b64 v[116:117], v27, v[12:13]
	v_and_b32_e32 v12, 7, v116
; %bb.359:                              ;   in Loop: Header=BB362_10 Depth=1
	s_or_b32 exec_lo, exec_lo, s20
	v_lshlrev_b32_sdwa v27, v2, v24 dst_sel:DWORD dst_unused:UNUSED_PAD src0_sel:DWORD src1_sel:BYTE_3
	v_lshlrev_b32_e32 v12, 20, v12
	v_lshl_add_u32 v26, v26, 23, 0x3c000000
	v_and_b32_e32 v27, 0x80000000, v27
	v_or3_b32 v114, v12, v27, v26
.LBB362_360:                            ;   in Loop: Header=BB362_10 Depth=1
	s_or_b32 exec_lo, exec_lo, s19
.LBB362_361:                            ;   in Loop: Header=BB362_10 Depth=1
	s_or_b32 exec_lo, exec_lo, s18
.LBB362_362:                            ;   in Loop: Header=BB362_10 Depth=1
	s_or_b32 exec_lo, exec_lo, s6
	v_mov_b32_e32 v12, v25
	v_cmp_ne_u16_sdwa s5, v25, v13 src0_sel:BYTE_0 src1_sel:DWORD
	s_and_saveexec_b32 s6, s5
	s_cbranch_execz .LBB362_370
; %bb.363:                              ;   in Loop: Header=BB362_10 Depth=1
	v_cmp_ne_u16_sdwa s5, v25, v6 src0_sel:BYTE_0 src1_sel:DWORD
	v_bfrev_b32_e32 v115, 1
	s_and_saveexec_b32 s18, s5
	s_cbranch_execz .LBB362_369
; %bb.364:                              ;   in Loop: Header=BB362_10 Depth=1
	v_and_b32_e32 v26, 0x7f, v25
	v_mov_b32_e32 v115, 0x7f800001
	s_mov_b32 s19, exec_lo
	v_cmpx_ne_u32_e32 0x7f, v26
	s_cbranch_execz .LBB362_368
; %bb.365:                              ;   in Loop: Header=BB362_10 Depth=1
	v_lshrrev_b32_e32 v32, 3, v26
	v_cmp_gt_u32_e64 s5, 8, v26
	v_mov_b32_e32 v27, v13
	v_mov_b32_e32 v26, v12
	s_and_saveexec_b32 s20, s5
; %bb.366:                              ;   in Loop: Header=BB362_10 Depth=1
	v_and_b32_e32 v26, 7, v25
	v_ffbh_u32_e32 v26, v26
	v_min_u32_e32 v32, 32, v26
	v_subrev_nc_u32_e32 v26, 28, v32
	v_sub_nc_u32_e32 v32, 29, v32
	v_lshlrev_b64 v[26:27], v26, v[12:13]
; %bb.367:                              ;   in Loop: Header=BB362_10 Depth=1
	s_or_b32 exec_lo, exec_lo, s20
	v_lshlrev_b32_e32 v26, 20, v26
	v_lshlrev_b32_e32 v27, 24, v12
	v_lshl_add_u32 v32, v32, 23, 0x3c000000
	v_and_b32_e32 v26, 0x700000, v26
	v_and_b32_e32 v27, 0x80000000, v27
	v_or3_b32 v115, v26, v27, v32
.LBB362_368:                            ;   in Loop: Header=BB362_10 Depth=1
	s_or_b32 exec_lo, exec_lo, s19
.LBB362_369:                            ;   in Loop: Header=BB362_10 Depth=1
	s_or_b32 exec_lo, exec_lo, s18
.LBB362_370:                            ;   in Loop: Header=BB362_10 Depth=1
	s_or_b32 exec_lo, exec_lo, s6
	v_cmp_ne_u16_sdwa s5, v12, v13 src0_sel:BYTE_1 src1_sel:DWORD
	v_mov_b32_e32 v116, 0
	v_mov_b32_e32 v117, 0
	s_and_saveexec_b32 s6, s5
	s_cbranch_execz .LBB362_378
; %bb.371:                              ;   in Loop: Header=BB362_10 Depth=1
	v_cmp_ne_u16_sdwa s5, v12, v6 src0_sel:BYTE_1 src1_sel:DWORD
	v_bfrev_b32_e32 v117, 1
	s_and_saveexec_b32 s18, s5
	s_cbranch_execz .LBB362_377
; %bb.372:                              ;   in Loop: Header=BB362_10 Depth=1
	v_and_b32_sdwa v26, v11, v12 dst_sel:DWORD dst_unused:UNUSED_PAD src0_sel:DWORD src1_sel:BYTE_1
	v_mov_b32_e32 v117, 0x7f800001
	s_mov_b32 s19, exec_lo
	v_and_b32_e32 v118, 0x7f, v26
	v_cmpx_ne_u32_e32 0x7f, v118
	s_cbranch_execz .LBB362_376
; %bb.373:                              ;   in Loop: Header=BB362_10 Depth=1
	v_and_b32_e32 v26, 7, v26
	v_mov_b32_e32 v27, v13
	v_lshrrev_b32_e32 v32, 3, v118
	s_mov_b32 s20, exec_lo
	v_cmpx_gt_u32_e32 8, v118
; %bb.374:                              ;   in Loop: Header=BB362_10 Depth=1
	v_ffbh_u32_e32 v32, v26
	v_min_u32_e32 v32, 32, v32
	v_subrev_nc_u32_e32 v117, 28, v32
	v_sub_nc_u32_e32 v32, 29, v32
	v_lshlrev_b64 v[26:27], v117, v[26:27]
	v_and_b32_e32 v26, 7, v26
; %bb.375:                              ;   in Loop: Header=BB362_10 Depth=1
	s_or_b32 exec_lo, exec_lo, s20
	v_lshlrev_b32_e32 v12, 16, v12
	v_lshlrev_b32_e32 v26, 20, v26
	v_lshl_add_u32 v27, v32, 23, 0x3c000000
	v_and_b32_e32 v12, 0x80000000, v12
	v_or3_b32 v117, v26, v12, v27
.LBB362_376:                            ;   in Loop: Header=BB362_10 Depth=1
	s_or_b32 exec_lo, exec_lo, s19
.LBB362_377:                            ;   in Loop: Header=BB362_10 Depth=1
	s_or_b32 exec_lo, exec_lo, s18
.LBB362_378:                            ;   in Loop: Header=BB362_10 Depth=1
	s_or_b32 exec_lo, exec_lo, s6
	v_and_b32_sdwa v12, v25, v10 dst_sel:DWORD dst_unused:UNUSED_PAD src0_sel:WORD_1 src1_sel:DWORD
	s_mov_b32 s6, exec_lo
	v_cmpx_ne_u16_e32 0, v12
	s_cbranch_execz .LBB362_386
; %bb.379:                              ;   in Loop: Header=BB362_10 Depth=1
	v_bfrev_b32_e32 v116, 1
	s_mov_b32 s18, exec_lo
	v_cmpx_ne_u16_e32 0x80, v12
	s_cbranch_execz .LBB362_385
; %bb.380:                              ;   in Loop: Header=BB362_10 Depth=1
	v_bfe_u32 v27, v25, 16, 7
	v_mov_b32_e32 v116, 0x7f800001
	s_mov_b32 s19, exec_lo
	v_cmpx_ne_u32_e32 0x7f, v27
	s_cbranch_execz .LBB362_384
; %bb.381:                              ;   in Loop: Header=BB362_10 Depth=1
	v_and_b32_sdwa v12, v25, v53 dst_sel:DWORD dst_unused:UNUSED_PAD src0_sel:WORD_1 src1_sel:DWORD
	v_lshrrev_b32_e32 v26, 3, v27
	s_mov_b32 s20, exec_lo
	v_cmpx_gt_u32_e32 8, v27
; %bb.382:                              ;   in Loop: Header=BB362_10 Depth=1
	v_ffbh_u32_e32 v26, v12
	v_min_u32_e32 v26, 32, v26
	v_subrev_nc_u32_e32 v27, 28, v26
	v_sub_nc_u32_e32 v26, 29, v26
	v_lshlrev_b64 v[118:119], v27, v[12:13]
	v_and_b32_e32 v12, 7, v118
; %bb.383:                              ;   in Loop: Header=BB362_10 Depth=1
	s_or_b32 exec_lo, exec_lo, s20
	v_lshlrev_b32_sdwa v27, v2, v25 dst_sel:DWORD dst_unused:UNUSED_PAD src0_sel:DWORD src1_sel:WORD_1
	v_lshlrev_b32_e32 v12, 20, v12
	v_lshl_add_u32 v26, v26, 23, 0x3c000000
	v_and_b32_e32 v27, 0x80000000, v27
	v_or3_b32 v116, v12, v27, v26
.LBB362_384:                            ;   in Loop: Header=BB362_10 Depth=1
	s_or_b32 exec_lo, exec_lo, s19
.LBB362_385:                            ;   in Loop: Header=BB362_10 Depth=1
	s_or_b32 exec_lo, exec_lo, s18
.LBB362_386:                            ;   in Loop: Header=BB362_10 Depth=1
	s_or_b32 exec_lo, exec_lo, s6
	v_mov_b32_e32 v119, 0
	v_mov_b32_e32 v118, 0
	s_mov_b32 s6, exec_lo
	v_cmpx_lt_u64_e64 s[8:9], v[24:25]
	s_cbranch_execz .LBB362_394
; %bb.387:                              ;   in Loop: Header=BB362_10 Depth=1
	v_cmp_ne_u32_sdwa s5, v25, v6 src0_sel:BYTE_3 src1_sel:DWORD
	v_bfrev_b32_e32 v118, 1
	s_and_saveexec_b32 s18, s5
	s_cbranch_execz .LBB362_393
; %bb.388:                              ;   in Loop: Header=BB362_10 Depth=1
	v_bfe_u32 v26, v25, 24, 7
	v_mov_b32_e32 v118, 0x7f800001
	s_mov_b32 s19, exec_lo
	v_cmpx_ne_u32_e32 0x7f, v26
	s_cbranch_execz .LBB362_392
; %bb.389:                              ;   in Loop: Header=BB362_10 Depth=1
	v_and_b32_sdwa v12, v25, v53 dst_sel:DWORD dst_unused:UNUSED_PAD src0_sel:BYTE_3 src1_sel:DWORD
	v_lshrrev_b32_e32 v24, 3, v26
	s_mov_b32 s20, exec_lo
	v_cmpx_gt_u32_e32 8, v26
; %bb.390:                              ;   in Loop: Header=BB362_10 Depth=1
	v_ffbh_u32_e32 v24, v12
	v_min_u32_e32 v24, 32, v24
	v_subrev_nc_u32_e32 v26, 28, v24
	v_sub_nc_u32_e32 v24, 29, v24
	v_lshlrev_b64 v[26:27], v26, v[12:13]
	v_and_b32_e32 v12, 7, v26
; %bb.391:                              ;   in Loop: Header=BB362_10 Depth=1
	s_or_b32 exec_lo, exec_lo, s20
	v_lshlrev_b32_sdwa v25, v2, v25 dst_sel:DWORD dst_unused:UNUSED_PAD src0_sel:DWORD src1_sel:BYTE_3
	v_lshlrev_b32_e32 v12, 20, v12
	v_lshl_add_u32 v24, v24, 23, 0x3c000000
	v_and_b32_e32 v25, 0x80000000, v25
	v_or3_b32 v118, v12, v25, v24
.LBB362_392:                            ;   in Loop: Header=BB362_10 Depth=1
	s_or_b32 exec_lo, exec_lo, s19
.LBB362_393:                            ;   in Loop: Header=BB362_10 Depth=1
	s_or_b32 exec_lo, exec_lo, s18
.LBB362_394:                            ;   in Loop: Header=BB362_10 Depth=1
	s_or_b32 exec_lo, exec_lo, s6
	flat_load_dwordx2 v[24:25], v[16:17] offset:1536
	s_waitcnt vmcnt(0) lgkmcnt(0)
	v_cmp_ne_u16_sdwa s5, v24, v13 src0_sel:BYTE_0 src1_sel:DWORD
	s_and_saveexec_b32 s6, s5
	s_cbranch_execz .LBB362_402
; %bb.395:                              ;   in Loop: Header=BB362_10 Depth=1
	v_cmp_ne_u16_sdwa s5, v24, v6 src0_sel:BYTE_0 src1_sel:DWORD
	v_bfrev_b32_e32 v119, 1
	s_and_saveexec_b32 s18, s5
	s_cbranch_execz .LBB362_401
; %bb.396:                              ;   in Loop: Header=BB362_10 Depth=1
	v_and_b32_e32 v26, 0x7f, v24
	v_mov_b32_e32 v119, 0x7f800001
	s_mov_b32 s19, exec_lo
	v_cmpx_ne_u32_e32 0x7f, v26
	s_cbranch_execz .LBB362_400
; %bb.397:                              ;   in Loop: Header=BB362_10 Depth=1
	v_lshrrev_b32_e32 v12, 3, v26
	v_cmp_gt_u32_e64 s5, 8, v26
	v_mov_b32_e32 v27, v25
	v_mov_b32_e32 v26, v24
	s_and_saveexec_b32 s20, s5
; %bb.398:                              ;   in Loop: Header=BB362_10 Depth=1
	v_and_b32_e32 v12, 7, v24
	v_ffbh_u32_e32 v12, v12
	v_min_u32_e32 v12, 32, v12
	v_subrev_nc_u32_e32 v26, 28, v12
	v_sub_nc_u32_e32 v12, 29, v12
	v_lshlrev_b64 v[26:27], v26, v[24:25]
; %bb.399:                              ;   in Loop: Header=BB362_10 Depth=1
	s_or_b32 exec_lo, exec_lo, s20
	v_lshlrev_b32_e32 v26, 20, v26
	v_lshlrev_b32_e32 v27, 24, v24
	v_lshl_add_u32 v12, v12, 23, 0x3c000000
	v_and_b32_e32 v26, 0x700000, v26
	v_and_b32_e32 v27, 0x80000000, v27
	v_or3_b32 v119, v26, v27, v12
.LBB362_400:                            ;   in Loop: Header=BB362_10 Depth=1
	s_or_b32 exec_lo, exec_lo, s19
.LBB362_401:                            ;   in Loop: Header=BB362_10 Depth=1
	s_or_b32 exec_lo, exec_lo, s18
.LBB362_402:                            ;   in Loop: Header=BB362_10 Depth=1
	s_or_b32 exec_lo, exec_lo, s6
	v_cmp_ne_u16_sdwa s5, v24, v13 src0_sel:BYTE_1 src1_sel:DWORD
	v_mov_b32_e32 v41, 0
	v_mov_b32_e32 v40, 0
	s_and_saveexec_b32 s6, s5
	s_cbranch_execz .LBB362_410
; %bb.403:                              ;   in Loop: Header=BB362_10 Depth=1
	v_cmp_ne_u16_sdwa s5, v24, v6 src0_sel:BYTE_1 src1_sel:DWORD
	v_bfrev_b32_e32 v40, 1
	s_and_saveexec_b32 s18, s5
	s_cbranch_execz .LBB362_409
; %bb.404:                              ;   in Loop: Header=BB362_10 Depth=1
	v_and_b32_sdwa v12, v11, v24 dst_sel:DWORD dst_unused:UNUSED_PAD src0_sel:DWORD src1_sel:BYTE_1
	v_mov_b32_e32 v40, 0x7f800001
	s_mov_b32 s19, exec_lo
	v_and_b32_e32 v27, 0x7f, v12
	v_cmpx_ne_u32_e32 0x7f, v27
	s_cbranch_execz .LBB362_408
; %bb.405:                              ;   in Loop: Header=BB362_10 Depth=1
	v_and_b32_e32 v12, 7, v12
	v_lshrrev_b32_e32 v26, 3, v27
	s_mov_b32 s20, exec_lo
	v_cmpx_gt_u32_e32 8, v27
; %bb.406:                              ;   in Loop: Header=BB362_10 Depth=1
	v_ffbh_u32_e32 v26, v12
	v_min_u32_e32 v26, 32, v26
	v_subrev_nc_u32_e32 v27, 28, v26
	v_sub_nc_u32_e32 v26, 29, v26
	v_lshlrev_b64 v[42:43], v27, v[12:13]
	v_and_b32_e32 v12, 7, v42
; %bb.407:                              ;   in Loop: Header=BB362_10 Depth=1
	s_or_b32 exec_lo, exec_lo, s20
	v_lshlrev_b32_e32 v27, 16, v24
	v_lshlrev_b32_e32 v12, 20, v12
	v_lshl_add_u32 v26, v26, 23, 0x3c000000
	v_and_b32_e32 v27, 0x80000000, v27
	v_or3_b32 v40, v12, v27, v26
.LBB362_408:                            ;   in Loop: Header=BB362_10 Depth=1
	s_or_b32 exec_lo, exec_lo, s19
.LBB362_409:                            ;   in Loop: Header=BB362_10 Depth=1
	s_or_b32 exec_lo, exec_lo, s18
.LBB362_410:                            ;   in Loop: Header=BB362_10 Depth=1
	s_or_b32 exec_lo, exec_lo, s6
	v_and_b32_sdwa v12, v24, v10 dst_sel:DWORD dst_unused:UNUSED_PAD src0_sel:WORD_1 src1_sel:DWORD
	s_mov_b32 s6, exec_lo
	v_cmpx_ne_u16_e32 0, v12
	s_cbranch_execz .LBB362_418
; %bb.411:                              ;   in Loop: Header=BB362_10 Depth=1
	v_bfrev_b32_e32 v41, 1
	s_mov_b32 s18, exec_lo
	v_cmpx_ne_u16_e32 0x80, v12
	s_cbranch_execz .LBB362_417
; %bb.412:                              ;   in Loop: Header=BB362_10 Depth=1
	v_bfe_u32 v27, v24, 16, 7
	v_mov_b32_e32 v41, 0x7f800001
	s_mov_b32 s19, exec_lo
	v_cmpx_ne_u32_e32 0x7f, v27
	s_cbranch_execz .LBB362_416
; %bb.413:                              ;   in Loop: Header=BB362_10 Depth=1
	v_and_b32_sdwa v12, v24, v53 dst_sel:DWORD dst_unused:UNUSED_PAD src0_sel:WORD_1 src1_sel:DWORD
	v_lshrrev_b32_e32 v26, 3, v27
	s_mov_b32 s20, exec_lo
	v_cmpx_gt_u32_e32 8, v27
; %bb.414:                              ;   in Loop: Header=BB362_10 Depth=1
	v_ffbh_u32_e32 v26, v12
	v_min_u32_e32 v26, 32, v26
	v_subrev_nc_u32_e32 v27, 28, v26
	v_sub_nc_u32_e32 v26, 29, v26
	v_lshlrev_b64 v[41:42], v27, v[12:13]
	v_and_b32_e32 v12, 7, v41
; %bb.415:                              ;   in Loop: Header=BB362_10 Depth=1
	s_or_b32 exec_lo, exec_lo, s20
	v_lshlrev_b32_sdwa v27, v2, v24 dst_sel:DWORD dst_unused:UNUSED_PAD src0_sel:DWORD src1_sel:WORD_1
	v_lshlrev_b32_e32 v12, 20, v12
	v_lshl_add_u32 v26, v26, 23, 0x3c000000
	v_and_b32_e32 v27, 0x80000000, v27
	v_or3_b32 v41, v12, v27, v26
.LBB362_416:                            ;   in Loop: Header=BB362_10 Depth=1
	s_or_b32 exec_lo, exec_lo, s19
.LBB362_417:                            ;   in Loop: Header=BB362_10 Depth=1
	s_or_b32 exec_lo, exec_lo, s18
.LBB362_418:                            ;   in Loop: Header=BB362_10 Depth=1
	s_or_b32 exec_lo, exec_lo, s6
	v_mov_b32_e32 v43, 0
	v_mov_b32_e32 v42, 0
	s_mov_b32 s6, exec_lo
	v_cmpx_lt_u32_e32 0xffffff, v24
	s_cbranch_execz .LBB362_426
; %bb.419:                              ;   in Loop: Header=BB362_10 Depth=1
	v_cmp_ne_u32_sdwa s5, v24, v6 src0_sel:BYTE_3 src1_sel:DWORD
	v_bfrev_b32_e32 v42, 1
	s_and_saveexec_b32 s18, s5
	s_cbranch_execz .LBB362_425
; %bb.420:                              ;   in Loop: Header=BB362_10 Depth=1
	v_bfe_u32 v27, v24, 24, 7
	v_mov_b32_e32 v42, 0x7f800001
	s_mov_b32 s19, exec_lo
	v_cmpx_ne_u32_e32 0x7f, v27
	s_cbranch_execz .LBB362_424
; %bb.421:                              ;   in Loop: Header=BB362_10 Depth=1
	v_and_b32_sdwa v12, v24, v53 dst_sel:DWORD dst_unused:UNUSED_PAD src0_sel:BYTE_3 src1_sel:DWORD
	v_lshrrev_b32_e32 v26, 3, v27
	s_mov_b32 s20, exec_lo
	v_cmpx_gt_u32_e32 8, v27
; %bb.422:                              ;   in Loop: Header=BB362_10 Depth=1
	v_ffbh_u32_e32 v26, v12
	v_min_u32_e32 v26, 32, v26
	v_subrev_nc_u32_e32 v27, 28, v26
	v_sub_nc_u32_e32 v26, 29, v26
	v_lshlrev_b64 v[44:45], v27, v[12:13]
	v_and_b32_e32 v12, 7, v44
; %bb.423:                              ;   in Loop: Header=BB362_10 Depth=1
	s_or_b32 exec_lo, exec_lo, s20
	v_lshlrev_b32_sdwa v27, v2, v24 dst_sel:DWORD dst_unused:UNUSED_PAD src0_sel:DWORD src1_sel:BYTE_3
	v_lshlrev_b32_e32 v12, 20, v12
	v_lshl_add_u32 v26, v26, 23, 0x3c000000
	v_and_b32_e32 v27, 0x80000000, v27
	v_or3_b32 v42, v12, v27, v26
.LBB362_424:                            ;   in Loop: Header=BB362_10 Depth=1
	s_or_b32 exec_lo, exec_lo, s19
.LBB362_425:                            ;   in Loop: Header=BB362_10 Depth=1
	s_or_b32 exec_lo, exec_lo, s18
.LBB362_426:                            ;   in Loop: Header=BB362_10 Depth=1
	s_or_b32 exec_lo, exec_lo, s6
	v_mov_b32_e32 v12, v25
	v_cmp_ne_u16_sdwa s5, v25, v13 src0_sel:BYTE_0 src1_sel:DWORD
	s_and_saveexec_b32 s6, s5
	s_cbranch_execz .LBB362_434
; %bb.427:                              ;   in Loop: Header=BB362_10 Depth=1
	v_cmp_ne_u16_sdwa s5, v25, v6 src0_sel:BYTE_0 src1_sel:DWORD
	v_bfrev_b32_e32 v43, 1
	s_and_saveexec_b32 s18, s5
	s_cbranch_execz .LBB362_433
; %bb.428:                              ;   in Loop: Header=BB362_10 Depth=1
	v_and_b32_e32 v26, 0x7f, v25
	v_mov_b32_e32 v43, 0x7f800001
	s_mov_b32 s19, exec_lo
	v_cmpx_ne_u32_e32 0x7f, v26
	s_cbranch_execz .LBB362_432
; %bb.429:                              ;   in Loop: Header=BB362_10 Depth=1
	v_lshrrev_b32_e32 v32, 3, v26
	v_cmp_gt_u32_e64 s5, 8, v26
	v_mov_b32_e32 v27, v13
	v_mov_b32_e32 v26, v12
	s_and_saveexec_b32 s20, s5
; %bb.430:                              ;   in Loop: Header=BB362_10 Depth=1
	v_and_b32_e32 v26, 7, v25
	v_ffbh_u32_e32 v26, v26
	v_min_u32_e32 v32, 32, v26
	v_subrev_nc_u32_e32 v26, 28, v32
	v_sub_nc_u32_e32 v32, 29, v32
	v_lshlrev_b64 v[26:27], v26, v[12:13]
; %bb.431:                              ;   in Loop: Header=BB362_10 Depth=1
	s_or_b32 exec_lo, exec_lo, s20
	v_lshlrev_b32_e32 v26, 20, v26
	v_lshlrev_b32_e32 v27, 24, v12
	v_lshl_add_u32 v32, v32, 23, 0x3c000000
	v_and_b32_e32 v26, 0x700000, v26
	v_and_b32_e32 v27, 0x80000000, v27
	v_or3_b32 v43, v26, v27, v32
.LBB362_432:                            ;   in Loop: Header=BB362_10 Depth=1
	s_or_b32 exec_lo, exec_lo, s19
.LBB362_433:                            ;   in Loop: Header=BB362_10 Depth=1
	s_or_b32 exec_lo, exec_lo, s18
.LBB362_434:                            ;   in Loop: Header=BB362_10 Depth=1
	s_or_b32 exec_lo, exec_lo, s6
	v_cmp_ne_u16_sdwa s5, v12, v13 src0_sel:BYTE_1 src1_sel:DWORD
	v_mov_b32_e32 v44, 0
	v_mov_b32_e32 v45, 0
	s_and_saveexec_b32 s6, s5
	s_cbranch_execz .LBB362_442
; %bb.435:                              ;   in Loop: Header=BB362_10 Depth=1
	v_cmp_ne_u16_sdwa s5, v12, v6 src0_sel:BYTE_1 src1_sel:DWORD
	v_bfrev_b32_e32 v45, 1
	s_and_saveexec_b32 s18, s5
	s_cbranch_execz .LBB362_441
; %bb.436:                              ;   in Loop: Header=BB362_10 Depth=1
	v_and_b32_sdwa v26, v11, v12 dst_sel:DWORD dst_unused:UNUSED_PAD src0_sel:DWORD src1_sel:BYTE_1
	v_mov_b32_e32 v45, 0x7f800001
	s_mov_b32 s19, exec_lo
	v_and_b32_e32 v46, 0x7f, v26
	v_cmpx_ne_u32_e32 0x7f, v46
	s_cbranch_execz .LBB362_440
; %bb.437:                              ;   in Loop: Header=BB362_10 Depth=1
	v_and_b32_e32 v26, 7, v26
	v_mov_b32_e32 v27, v13
	v_lshrrev_b32_e32 v32, 3, v46
	s_mov_b32 s20, exec_lo
	v_cmpx_gt_u32_e32 8, v46
; %bb.438:                              ;   in Loop: Header=BB362_10 Depth=1
	v_ffbh_u32_e32 v32, v26
	v_min_u32_e32 v32, 32, v32
	v_subrev_nc_u32_e32 v45, 28, v32
	v_sub_nc_u32_e32 v32, 29, v32
	v_lshlrev_b64 v[26:27], v45, v[26:27]
	v_and_b32_e32 v26, 7, v26
; %bb.439:                              ;   in Loop: Header=BB362_10 Depth=1
	s_or_b32 exec_lo, exec_lo, s20
	v_lshlrev_b32_e32 v12, 16, v12
	v_lshlrev_b32_e32 v26, 20, v26
	v_lshl_add_u32 v27, v32, 23, 0x3c000000
	v_and_b32_e32 v12, 0x80000000, v12
	v_or3_b32 v45, v26, v12, v27
.LBB362_440:                            ;   in Loop: Header=BB362_10 Depth=1
	s_or_b32 exec_lo, exec_lo, s19
.LBB362_441:                            ;   in Loop: Header=BB362_10 Depth=1
	s_or_b32 exec_lo, exec_lo, s18
.LBB362_442:                            ;   in Loop: Header=BB362_10 Depth=1
	s_or_b32 exec_lo, exec_lo, s6
	v_and_b32_sdwa v12, v25, v10 dst_sel:DWORD dst_unused:UNUSED_PAD src0_sel:WORD_1 src1_sel:DWORD
	s_mov_b32 s6, exec_lo
	v_cmpx_ne_u16_e32 0, v12
	s_cbranch_execz .LBB362_450
; %bb.443:                              ;   in Loop: Header=BB362_10 Depth=1
	v_bfrev_b32_e32 v44, 1
	s_mov_b32 s18, exec_lo
	v_cmpx_ne_u16_e32 0x80, v12
	s_cbranch_execz .LBB362_449
; %bb.444:                              ;   in Loop: Header=BB362_10 Depth=1
	v_bfe_u32 v26, v25, 16, 7
	v_mov_b32_e32 v44, 0x7f800001
	s_mov_b32 s19, exec_lo
	v_cmpx_ne_u32_e32 0x7f, v26
	s_cbranch_execz .LBB362_448
; %bb.445:                              ;   in Loop: Header=BB362_10 Depth=1
	v_and_b32_sdwa v12, v25, v53 dst_sel:DWORD dst_unused:UNUSED_PAD src0_sel:WORD_1 src1_sel:DWORD
	v_lshrrev_b32_e32 v32, 3, v26
	v_cmp_gt_u32_e64 s5, 8, v26
	v_mov_b32_e32 v27, v13
	v_mov_b32_e32 v26, v12
	s_and_saveexec_b32 s20, s5
; %bb.446:                              ;   in Loop: Header=BB362_10 Depth=1
	v_ffbh_u32_e32 v26, v12
	v_min_u32_e32 v32, 32, v26
	v_subrev_nc_u32_e32 v26, 28, v32
	v_sub_nc_u32_e32 v32, 29, v32
	v_lshlrev_b64 v[26:27], v26, v[12:13]
	v_and_b32_e32 v26, 7, v26
; %bb.447:                              ;   in Loop: Header=BB362_10 Depth=1
	s_or_b32 exec_lo, exec_lo, s20
	v_lshlrev_b32_sdwa v12, v2, v25 dst_sel:DWORD dst_unused:UNUSED_PAD src0_sel:DWORD src1_sel:WORD_1
	v_lshlrev_b32_e32 v26, 20, v26
	v_lshl_add_u32 v27, v32, 23, 0x3c000000
	v_and_b32_e32 v12, 0x80000000, v12
	v_or3_b32 v44, v26, v12, v27
.LBB362_448:                            ;   in Loop: Header=BB362_10 Depth=1
	s_or_b32 exec_lo, exec_lo, s19
.LBB362_449:                            ;   in Loop: Header=BB362_10 Depth=1
	s_or_b32 exec_lo, exec_lo, s18
.LBB362_450:                            ;   in Loop: Header=BB362_10 Depth=1
	s_or_b32 exec_lo, exec_lo, s6
	v_mov_b32_e32 v47, 0
	v_mov_b32_e32 v46, 0
	s_mov_b32 s6, exec_lo
	v_cmpx_lt_u64_e64 s[8:9], v[24:25]
	s_cbranch_execz .LBB362_458
; %bb.451:                              ;   in Loop: Header=BB362_10 Depth=1
	v_cmp_ne_u32_sdwa s5, v25, v6 src0_sel:BYTE_3 src1_sel:DWORD
	v_bfrev_b32_e32 v46, 1
	s_and_saveexec_b32 s18, s5
	s_cbranch_execz .LBB362_457
; %bb.452:                              ;   in Loop: Header=BB362_10 Depth=1
	v_bfe_u32 v26, v25, 24, 7
	v_mov_b32_e32 v46, 0x7f800001
	s_mov_b32 s19, exec_lo
	v_cmpx_ne_u32_e32 0x7f, v26
	s_cbranch_execz .LBB362_456
; %bb.453:                              ;   in Loop: Header=BB362_10 Depth=1
	v_and_b32_sdwa v12, v25, v53 dst_sel:DWORD dst_unused:UNUSED_PAD src0_sel:BYTE_3 src1_sel:DWORD
	v_lshrrev_b32_e32 v24, 3, v26
	v_cmp_gt_u32_e64 s5, 8, v26
	v_mov_b32_e32 v27, v13
	v_mov_b32_e32 v26, v12
	s_and_saveexec_b32 s20, s5
; %bb.454:                              ;   in Loop: Header=BB362_10 Depth=1
	v_ffbh_u32_e32 v24, v12
	v_min_u32_e32 v24, 32, v24
	v_subrev_nc_u32_e32 v26, 28, v24
	v_sub_nc_u32_e32 v24, 29, v24
	v_lshlrev_b64 v[26:27], v26, v[12:13]
	v_and_b32_e32 v26, 7, v26
; %bb.455:                              ;   in Loop: Header=BB362_10 Depth=1
	s_or_b32 exec_lo, exec_lo, s20
	v_lshlrev_b32_sdwa v12, v2, v25 dst_sel:DWORD dst_unused:UNUSED_PAD src0_sel:DWORD src1_sel:BYTE_3
	v_lshlrev_b32_e32 v25, 20, v26
	v_lshl_add_u32 v24, v24, 23, 0x3c000000
	v_and_b32_e32 v12, 0x80000000, v12
	v_or3_b32 v46, v25, v12, v24
.LBB362_456:                            ;   in Loop: Header=BB362_10 Depth=1
	s_or_b32 exec_lo, exec_lo, s19
.LBB362_457:                            ;   in Loop: Header=BB362_10 Depth=1
	s_or_b32 exec_lo, exec_lo, s18
.LBB362_458:                            ;   in Loop: Header=BB362_10 Depth=1
	s_or_b32 exec_lo, exec_lo, s6
	flat_load_dwordx2 v[24:25], v[16:17] offset:1544
	s_waitcnt vmcnt(0) lgkmcnt(0)
	v_cmp_ne_u16_sdwa s5, v24, v13 src0_sel:BYTE_0 src1_sel:DWORD
	s_and_saveexec_b32 s6, s5
	s_cbranch_execz .LBB362_466
; %bb.459:                              ;   in Loop: Header=BB362_10 Depth=1
	v_cmp_ne_u16_sdwa s5, v24, v6 src0_sel:BYTE_0 src1_sel:DWORD
	v_bfrev_b32_e32 v47, 1
	s_and_saveexec_b32 s18, s5
	s_cbranch_execz .LBB362_465
; %bb.460:                              ;   in Loop: Header=BB362_10 Depth=1
	v_and_b32_e32 v26, 0x7f, v24
	v_mov_b32_e32 v47, 0x7f800001
	s_mov_b32 s19, exec_lo
	v_cmpx_ne_u32_e32 0x7f, v26
	s_cbranch_execz .LBB362_464
; %bb.461:                              ;   in Loop: Header=BB362_10 Depth=1
	v_lshrrev_b32_e32 v12, 3, v26
	v_cmp_gt_u32_e64 s5, 8, v26
	v_mov_b32_e32 v27, v25
	v_mov_b32_e32 v26, v24
	s_and_saveexec_b32 s20, s5
; %bb.462:                              ;   in Loop: Header=BB362_10 Depth=1
	v_and_b32_e32 v12, 7, v24
	v_ffbh_u32_e32 v12, v12
	v_min_u32_e32 v12, 32, v12
	v_subrev_nc_u32_e32 v26, 28, v12
	v_sub_nc_u32_e32 v12, 29, v12
	v_lshlrev_b64 v[26:27], v26, v[24:25]
; %bb.463:                              ;   in Loop: Header=BB362_10 Depth=1
	s_or_b32 exec_lo, exec_lo, s20
	v_lshlrev_b32_e32 v26, 20, v26
	v_lshlrev_b32_e32 v27, 24, v24
	v_lshl_add_u32 v12, v12, 23, 0x3c000000
	v_and_b32_e32 v26, 0x700000, v26
	v_and_b32_e32 v27, 0x80000000, v27
	v_or3_b32 v47, v26, v27, v12
.LBB362_464:                            ;   in Loop: Header=BB362_10 Depth=1
	s_or_b32 exec_lo, exec_lo, s19
.LBB362_465:                            ;   in Loop: Header=BB362_10 Depth=1
	s_or_b32 exec_lo, exec_lo, s18
.LBB362_466:                            ;   in Loop: Header=BB362_10 Depth=1
	s_or_b32 exec_lo, exec_lo, s6
	v_cmp_ne_u16_sdwa s5, v24, v13 src0_sel:BYTE_1 src1_sel:DWORD
	v_mov_b32_e32 v57, 0
	v_mov_b32_e32 v56, 0
	s_and_saveexec_b32 s6, s5
	s_cbranch_execz .LBB362_474
; %bb.467:                              ;   in Loop: Header=BB362_10 Depth=1
	v_cmp_ne_u16_sdwa s5, v24, v6 src0_sel:BYTE_1 src1_sel:DWORD
	v_bfrev_b32_e32 v56, 1
	s_and_saveexec_b32 s18, s5
	s_cbranch_execz .LBB362_473
; %bb.468:                              ;   in Loop: Header=BB362_10 Depth=1
	v_and_b32_sdwa v12, v11, v24 dst_sel:DWORD dst_unused:UNUSED_PAD src0_sel:DWORD src1_sel:BYTE_1
	v_mov_b32_e32 v56, 0x7f800001
	s_mov_b32 s19, exec_lo
	v_and_b32_e32 v26, 0x7f, v12
	v_cmpx_ne_u32_e32 0x7f, v26
	s_cbranch_execz .LBB362_472
; %bb.469:                              ;   in Loop: Header=BB362_10 Depth=1
	v_and_b32_e32 v12, 7, v12
	v_lshrrev_b32_e32 v32, 3, v26
	v_cmp_gt_u32_e64 s5, 8, v26
	v_mov_b32_e32 v27, v13
	v_mov_b32_e32 v26, v12
	s_and_saveexec_b32 s20, s5
; %bb.470:                              ;   in Loop: Header=BB362_10 Depth=1
	v_ffbh_u32_e32 v26, v12
	v_min_u32_e32 v32, 32, v26
	v_subrev_nc_u32_e32 v26, 28, v32
	v_sub_nc_u32_e32 v32, 29, v32
	v_lshlrev_b64 v[26:27], v26, v[12:13]
	v_and_b32_e32 v26, 7, v26
; %bb.471:                              ;   in Loop: Header=BB362_10 Depth=1
	s_or_b32 exec_lo, exec_lo, s20
	v_lshlrev_b32_e32 v12, 16, v24
	v_lshlrev_b32_e32 v26, 20, v26
	v_lshl_add_u32 v27, v32, 23, 0x3c000000
	v_and_b32_e32 v12, 0x80000000, v12
	v_or3_b32 v56, v26, v12, v27
.LBB362_472:                            ;   in Loop: Header=BB362_10 Depth=1
	s_or_b32 exec_lo, exec_lo, s19
.LBB362_473:                            ;   in Loop: Header=BB362_10 Depth=1
	s_or_b32 exec_lo, exec_lo, s18
.LBB362_474:                            ;   in Loop: Header=BB362_10 Depth=1
	s_or_b32 exec_lo, exec_lo, s6
	v_and_b32_sdwa v12, v24, v10 dst_sel:DWORD dst_unused:UNUSED_PAD src0_sel:WORD_1 src1_sel:DWORD
	s_mov_b32 s6, exec_lo
	v_cmpx_ne_u16_e32 0, v12
	s_cbranch_execz .LBB362_482
; %bb.475:                              ;   in Loop: Header=BB362_10 Depth=1
	v_bfrev_b32_e32 v57, 1
	s_mov_b32 s18, exec_lo
	v_cmpx_ne_u16_e32 0x80, v12
	s_cbranch_execz .LBB362_481
; %bb.476:                              ;   in Loop: Header=BB362_10 Depth=1
	v_bfe_u32 v26, v24, 16, 7
	v_mov_b32_e32 v57, 0x7f800001
	s_mov_b32 s19, exec_lo
	v_cmpx_ne_u32_e32 0x7f, v26
	s_cbranch_execz .LBB362_480
; %bb.477:                              ;   in Loop: Header=BB362_10 Depth=1
	v_and_b32_sdwa v12, v24, v53 dst_sel:DWORD dst_unused:UNUSED_PAD src0_sel:WORD_1 src1_sel:DWORD
	v_lshrrev_b32_e32 v32, 3, v26
	v_cmp_gt_u32_e64 s5, 8, v26
	v_mov_b32_e32 v27, v13
	v_mov_b32_e32 v26, v12
	s_and_saveexec_b32 s20, s5
; %bb.478:                              ;   in Loop: Header=BB362_10 Depth=1
	v_ffbh_u32_e32 v26, v12
	v_min_u32_e32 v32, 32, v26
	v_subrev_nc_u32_e32 v26, 28, v32
	v_sub_nc_u32_e32 v32, 29, v32
	v_lshlrev_b64 v[26:27], v26, v[12:13]
	v_and_b32_e32 v26, 7, v26
; %bb.479:                              ;   in Loop: Header=BB362_10 Depth=1
	s_or_b32 exec_lo, exec_lo, s20
	v_lshlrev_b32_sdwa v12, v2, v24 dst_sel:DWORD dst_unused:UNUSED_PAD src0_sel:DWORD src1_sel:WORD_1
	v_lshlrev_b32_e32 v26, 20, v26
	v_lshl_add_u32 v27, v32, 23, 0x3c000000
	v_and_b32_e32 v12, 0x80000000, v12
	v_or3_b32 v57, v26, v12, v27
.LBB362_480:                            ;   in Loop: Header=BB362_10 Depth=1
	s_or_b32 exec_lo, exec_lo, s19
.LBB362_481:                            ;   in Loop: Header=BB362_10 Depth=1
	s_or_b32 exec_lo, exec_lo, s18
.LBB362_482:                            ;   in Loop: Header=BB362_10 Depth=1
	s_or_b32 exec_lo, exec_lo, s6
	v_mov_b32_e32 v59, 0
	v_mov_b32_e32 v58, 0
	s_mov_b32 s6, exec_lo
	v_cmpx_lt_u32_e32 0xffffff, v24
	s_cbranch_execz .LBB362_490
; %bb.483:                              ;   in Loop: Header=BB362_10 Depth=1
	v_cmp_ne_u32_sdwa s5, v24, v6 src0_sel:BYTE_3 src1_sel:DWORD
	v_bfrev_b32_e32 v58, 1
	s_and_saveexec_b32 s18, s5
	s_cbranch_execz .LBB362_489
; %bb.484:                              ;   in Loop: Header=BB362_10 Depth=1
	v_bfe_u32 v26, v24, 24, 7
	v_mov_b32_e32 v58, 0x7f800001
	s_mov_b32 s19, exec_lo
	v_cmpx_ne_u32_e32 0x7f, v26
	s_cbranch_execz .LBB362_488
; %bb.485:                              ;   in Loop: Header=BB362_10 Depth=1
	v_and_b32_sdwa v12, v24, v53 dst_sel:DWORD dst_unused:UNUSED_PAD src0_sel:BYTE_3 src1_sel:DWORD
	v_lshrrev_b32_e32 v32, 3, v26
	v_cmp_gt_u32_e64 s5, 8, v26
	v_mov_b32_e32 v27, v13
	v_mov_b32_e32 v26, v12
	s_and_saveexec_b32 s20, s5
; %bb.486:                              ;   in Loop: Header=BB362_10 Depth=1
	v_ffbh_u32_e32 v26, v12
	v_min_u32_e32 v32, 32, v26
	v_subrev_nc_u32_e32 v26, 28, v32
	v_sub_nc_u32_e32 v32, 29, v32
	v_lshlrev_b64 v[26:27], v26, v[12:13]
	v_and_b32_e32 v26, 7, v26
; %bb.487:                              ;   in Loop: Header=BB362_10 Depth=1
	s_or_b32 exec_lo, exec_lo, s20
	v_lshlrev_b32_sdwa v12, v2, v24 dst_sel:DWORD dst_unused:UNUSED_PAD src0_sel:DWORD src1_sel:BYTE_3
	v_lshlrev_b32_e32 v26, 20, v26
	v_lshl_add_u32 v27, v32, 23, 0x3c000000
	v_and_b32_e32 v12, 0x80000000, v12
	v_or3_b32 v58, v26, v12, v27
.LBB362_488:                            ;   in Loop: Header=BB362_10 Depth=1
	s_or_b32 exec_lo, exec_lo, s19
.LBB362_489:                            ;   in Loop: Header=BB362_10 Depth=1
	s_or_b32 exec_lo, exec_lo, s18
.LBB362_490:                            ;   in Loop: Header=BB362_10 Depth=1
	s_or_b32 exec_lo, exec_lo, s6
	v_mov_b32_e32 v12, v25
	v_cmp_ne_u16_sdwa s5, v25, v13 src0_sel:BYTE_0 src1_sel:DWORD
	s_and_saveexec_b32 s6, s5
	s_cbranch_execz .LBB362_498
; %bb.491:                              ;   in Loop: Header=BB362_10 Depth=1
	v_cmp_ne_u16_sdwa s5, v25, v6 src0_sel:BYTE_0 src1_sel:DWORD
	v_bfrev_b32_e32 v59, 1
	s_and_saveexec_b32 s18, s5
	s_cbranch_execz .LBB362_497
; %bb.492:                              ;   in Loop: Header=BB362_10 Depth=1
	v_and_b32_e32 v26, 0x7f, v25
	v_mov_b32_e32 v59, 0x7f800001
	s_mov_b32 s19, exec_lo
	v_cmpx_ne_u32_e32 0x7f, v26
	s_cbranch_execz .LBB362_496
; %bb.493:                              ;   in Loop: Header=BB362_10 Depth=1
	v_lshrrev_b32_e32 v32, 3, v26
	v_cmp_gt_u32_e64 s5, 8, v26
	v_mov_b32_e32 v27, v13
	v_mov_b32_e32 v26, v12
	s_and_saveexec_b32 s20, s5
; %bb.494:                              ;   in Loop: Header=BB362_10 Depth=1
	v_and_b32_e32 v26, 7, v25
	v_ffbh_u32_e32 v26, v26
	v_min_u32_e32 v32, 32, v26
	v_subrev_nc_u32_e32 v26, 28, v32
	v_sub_nc_u32_e32 v32, 29, v32
	v_lshlrev_b64 v[26:27], v26, v[12:13]
; %bb.495:                              ;   in Loop: Header=BB362_10 Depth=1
	s_or_b32 exec_lo, exec_lo, s20
	v_lshlrev_b32_e32 v26, 20, v26
	v_lshlrev_b32_e32 v27, 24, v12
	v_lshl_add_u32 v32, v32, 23, 0x3c000000
	v_and_b32_e32 v26, 0x700000, v26
	v_and_b32_e32 v27, 0x80000000, v27
	v_or3_b32 v59, v26, v27, v32
.LBB362_496:                            ;   in Loop: Header=BB362_10 Depth=1
	s_or_b32 exec_lo, exec_lo, s19
.LBB362_497:                            ;   in Loop: Header=BB362_10 Depth=1
	s_or_b32 exec_lo, exec_lo, s18
.LBB362_498:                            ;   in Loop: Header=BB362_10 Depth=1
	s_or_b32 exec_lo, exec_lo, s6
	v_cmp_ne_u16_sdwa s5, v12, v13 src0_sel:BYTE_1 src1_sel:DWORD
	v_mov_b32_e32 v60, 0
	v_mov_b32_e32 v61, 0
	s_and_saveexec_b32 s6, s5
	s_cbranch_execz .LBB362_506
; %bb.499:                              ;   in Loop: Header=BB362_10 Depth=1
	v_cmp_ne_u16_sdwa s5, v12, v6 src0_sel:BYTE_1 src1_sel:DWORD
	v_bfrev_b32_e32 v61, 1
	s_and_saveexec_b32 s18, s5
	s_cbranch_execz .LBB362_505
; %bb.500:                              ;   in Loop: Header=BB362_10 Depth=1
	v_and_b32_sdwa v26, v11, v12 dst_sel:DWORD dst_unused:UNUSED_PAD src0_sel:DWORD src1_sel:BYTE_1
	v_mov_b32_e32 v61, 0x7f800001
	s_mov_b32 s19, exec_lo
	v_and_b32_e32 v62, 0x7f, v26
	v_cmpx_ne_u32_e32 0x7f, v62
	s_cbranch_execz .LBB362_504
; %bb.501:                              ;   in Loop: Header=BB362_10 Depth=1
	v_and_b32_e32 v26, 7, v26
	v_mov_b32_e32 v27, v13
	v_lshrrev_b32_e32 v32, 3, v62
	s_mov_b32 s20, exec_lo
	v_cmpx_gt_u32_e32 8, v62
; %bb.502:                              ;   in Loop: Header=BB362_10 Depth=1
	v_ffbh_u32_e32 v32, v26
	v_min_u32_e32 v32, 32, v32
	v_subrev_nc_u32_e32 v61, 28, v32
	v_sub_nc_u32_e32 v32, 29, v32
	v_lshlrev_b64 v[26:27], v61, v[26:27]
	v_and_b32_e32 v26, 7, v26
; %bb.503:                              ;   in Loop: Header=BB362_10 Depth=1
	s_or_b32 exec_lo, exec_lo, s20
	v_lshlrev_b32_e32 v12, 16, v12
	v_lshlrev_b32_e32 v26, 20, v26
	v_lshl_add_u32 v27, v32, 23, 0x3c000000
	v_and_b32_e32 v12, 0x80000000, v12
	v_or3_b32 v61, v26, v12, v27
.LBB362_504:                            ;   in Loop: Header=BB362_10 Depth=1
	s_or_b32 exec_lo, exec_lo, s19
.LBB362_505:                            ;   in Loop: Header=BB362_10 Depth=1
	s_or_b32 exec_lo, exec_lo, s18
.LBB362_506:                            ;   in Loop: Header=BB362_10 Depth=1
	s_or_b32 exec_lo, exec_lo, s6
	v_and_b32_sdwa v12, v25, v10 dst_sel:DWORD dst_unused:UNUSED_PAD src0_sel:WORD_1 src1_sel:DWORD
	s_mov_b32 s6, exec_lo
	v_cmpx_ne_u16_e32 0, v12
	s_cbranch_execz .LBB362_514
; %bb.507:                              ;   in Loop: Header=BB362_10 Depth=1
	v_bfrev_b32_e32 v60, 1
	s_mov_b32 s18, exec_lo
	v_cmpx_ne_u16_e32 0x80, v12
	s_cbranch_execz .LBB362_513
; %bb.508:                              ;   in Loop: Header=BB362_10 Depth=1
	v_bfe_u32 v26, v25, 16, 7
	v_mov_b32_e32 v60, 0x7f800001
	s_mov_b32 s19, exec_lo
	v_cmpx_ne_u32_e32 0x7f, v26
	s_cbranch_execz .LBB362_512
; %bb.509:                              ;   in Loop: Header=BB362_10 Depth=1
	v_and_b32_sdwa v12, v25, v53 dst_sel:DWORD dst_unused:UNUSED_PAD src0_sel:WORD_1 src1_sel:DWORD
	v_lshrrev_b32_e32 v32, 3, v26
	v_cmp_gt_u32_e64 s5, 8, v26
	v_mov_b32_e32 v27, v13
	v_mov_b32_e32 v26, v12
	s_and_saveexec_b32 s20, s5
; %bb.510:                              ;   in Loop: Header=BB362_10 Depth=1
	v_ffbh_u32_e32 v26, v12
	v_min_u32_e32 v32, 32, v26
	v_subrev_nc_u32_e32 v26, 28, v32
	v_sub_nc_u32_e32 v32, 29, v32
	v_lshlrev_b64 v[26:27], v26, v[12:13]
	v_and_b32_e32 v26, 7, v26
; %bb.511:                              ;   in Loop: Header=BB362_10 Depth=1
	s_or_b32 exec_lo, exec_lo, s20
	v_lshlrev_b32_sdwa v12, v2, v25 dst_sel:DWORD dst_unused:UNUSED_PAD src0_sel:DWORD src1_sel:WORD_1
	v_lshlrev_b32_e32 v26, 20, v26
	v_lshl_add_u32 v27, v32, 23, 0x3c000000
	v_and_b32_e32 v12, 0x80000000, v12
	v_or3_b32 v60, v26, v12, v27
.LBB362_512:                            ;   in Loop: Header=BB362_10 Depth=1
	s_or_b32 exec_lo, exec_lo, s19
.LBB362_513:                            ;   in Loop: Header=BB362_10 Depth=1
	s_or_b32 exec_lo, exec_lo, s18
.LBB362_514:                            ;   in Loop: Header=BB362_10 Depth=1
	s_or_b32 exec_lo, exec_lo, s6
	v_mov_b32_e32 v62, 0
	v_mov_b32_e32 v32, 0
	s_mov_b32 s6, exec_lo
	v_cmpx_lt_u64_e64 s[8:9], v[24:25]
	s_cbranch_execz .LBB362_522
; %bb.515:                              ;   in Loop: Header=BB362_10 Depth=1
	v_cmp_ne_u32_sdwa s5, v25, v6 src0_sel:BYTE_3 src1_sel:DWORD
	v_bfrev_b32_e32 v32, 1
	s_and_saveexec_b32 s18, s5
	s_cbranch_execz .LBB362_521
; %bb.516:                              ;   in Loop: Header=BB362_10 Depth=1
	v_bfe_u32 v26, v25, 24, 7
	v_mov_b32_e32 v32, 0x7f800001
	s_mov_b32 s19, exec_lo
	v_cmpx_ne_u32_e32 0x7f, v26
	s_cbranch_execz .LBB362_520
; %bb.517:                              ;   in Loop: Header=BB362_10 Depth=1
	v_and_b32_sdwa v12, v25, v53 dst_sel:DWORD dst_unused:UNUSED_PAD src0_sel:BYTE_3 src1_sel:DWORD
	v_lshrrev_b32_e32 v24, 3, v26
	v_cmp_gt_u32_e64 s5, 8, v26
	v_mov_b32_e32 v27, v13
	v_mov_b32_e32 v26, v12
	s_and_saveexec_b32 s20, s5
; %bb.518:                              ;   in Loop: Header=BB362_10 Depth=1
	v_ffbh_u32_e32 v24, v12
	v_min_u32_e32 v24, 32, v24
	v_subrev_nc_u32_e32 v26, 28, v24
	v_sub_nc_u32_e32 v24, 29, v24
	v_lshlrev_b64 v[26:27], v26, v[12:13]
	v_and_b32_e32 v26, 7, v26
; %bb.519:                              ;   in Loop: Header=BB362_10 Depth=1
	s_or_b32 exec_lo, exec_lo, s20
	v_lshlrev_b32_sdwa v12, v2, v25 dst_sel:DWORD dst_unused:UNUSED_PAD src0_sel:DWORD src1_sel:BYTE_3
	v_lshlrev_b32_e32 v25, 20, v26
	v_lshl_add_u32 v24, v24, 23, 0x3c000000
	v_and_b32_e32 v12, 0x80000000, v12
	v_or3_b32 v32, v25, v12, v24
.LBB362_520:                            ;   in Loop: Header=BB362_10 Depth=1
	s_or_b32 exec_lo, exec_lo, s19
.LBB362_521:                            ;   in Loop: Header=BB362_10 Depth=1
	s_or_b32 exec_lo, exec_lo, s18
.LBB362_522:                            ;   in Loop: Header=BB362_10 Depth=1
	s_or_b32 exec_lo, exec_lo, s6
	v_add_co_u32 v16, s5, 0x800, v16
	v_add_co_ci_u32_e64 v17, null, 0, v17, s5
	flat_load_dwordx2 v[24:25], v[16:17]
	s_waitcnt vmcnt(0) lgkmcnt(0)
	v_cmp_ne_u16_sdwa s5, v24, v13 src0_sel:BYTE_0 src1_sel:DWORD
	s_and_saveexec_b32 s6, s5
	s_cbranch_execz .LBB362_530
; %bb.523:                              ;   in Loop: Header=BB362_10 Depth=1
	v_cmp_ne_u16_sdwa s5, v24, v6 src0_sel:BYTE_0 src1_sel:DWORD
	v_bfrev_b32_e32 v62, 1
	s_and_saveexec_b32 s18, s5
	s_cbranch_execz .LBB362_529
; %bb.524:                              ;   in Loop: Header=BB362_10 Depth=1
	v_and_b32_e32 v26, 0x7f, v24
	v_mov_b32_e32 v62, 0x7f800001
	s_mov_b32 s19, exec_lo
	v_cmpx_ne_u32_e32 0x7f, v26
	s_cbranch_execz .LBB362_528
; %bb.525:                              ;   in Loop: Header=BB362_10 Depth=1
	v_lshrrev_b32_e32 v12, 3, v26
	v_cmp_gt_u32_e64 s5, 8, v26
	v_mov_b32_e32 v27, v25
	v_mov_b32_e32 v26, v24
	s_and_saveexec_b32 s20, s5
; %bb.526:                              ;   in Loop: Header=BB362_10 Depth=1
	v_and_b32_e32 v12, 7, v24
	v_ffbh_u32_e32 v12, v12
	v_min_u32_e32 v12, 32, v12
	v_subrev_nc_u32_e32 v26, 28, v12
	v_sub_nc_u32_e32 v12, 29, v12
	v_lshlrev_b64 v[26:27], v26, v[24:25]
; %bb.527:                              ;   in Loop: Header=BB362_10 Depth=1
	s_or_b32 exec_lo, exec_lo, s20
	v_lshlrev_b32_e32 v26, 20, v26
	v_lshlrev_b32_e32 v27, 24, v24
	v_lshl_add_u32 v12, v12, 23, 0x3c000000
	v_and_b32_e32 v26, 0x700000, v26
	v_and_b32_e32 v27, 0x80000000, v27
	v_or3_b32 v62, v26, v27, v12
.LBB362_528:                            ;   in Loop: Header=BB362_10 Depth=1
	s_or_b32 exec_lo, exec_lo, s19
.LBB362_529:                            ;   in Loop: Header=BB362_10 Depth=1
	s_or_b32 exec_lo, exec_lo, s18
.LBB362_530:                            ;   in Loop: Header=BB362_10 Depth=1
	s_or_b32 exec_lo, exec_lo, s6
	v_cmp_ne_u16_sdwa s5, v24, v13 src0_sel:BYTE_1 src1_sel:DWORD
	v_mov_b32_e32 v72, 0
	v_mov_b32_e32 v63, 0
	s_and_saveexec_b32 s6, s5
	s_cbranch_execz .LBB362_538
; %bb.531:                              ;   in Loop: Header=BB362_10 Depth=1
	v_cmp_ne_u16_sdwa s5, v24, v6 src0_sel:BYTE_1 src1_sel:DWORD
	v_bfrev_b32_e32 v63, 1
	s_and_saveexec_b32 s18, s5
	s_cbranch_execz .LBB362_537
; %bb.532:                              ;   in Loop: Header=BB362_10 Depth=1
	v_and_b32_sdwa v12, v11, v24 dst_sel:DWORD dst_unused:UNUSED_PAD src0_sel:DWORD src1_sel:BYTE_1
	v_mov_b32_e32 v63, 0x7f800001
	s_mov_b32 s19, exec_lo
	v_and_b32_e32 v26, 0x7f, v12
	v_cmpx_ne_u32_e32 0x7f, v26
	s_cbranch_execz .LBB362_536
; %bb.533:                              ;   in Loop: Header=BB362_10 Depth=1
	v_and_b32_e32 v12, 7, v12
	v_lshrrev_b32_e32 v63, 3, v26
	v_cmp_gt_u32_e64 s5, 8, v26
	v_mov_b32_e32 v27, v13
	v_mov_b32_e32 v26, v12
	s_and_saveexec_b32 s20, s5
; %bb.534:                              ;   in Loop: Header=BB362_10 Depth=1
	v_ffbh_u32_e32 v26, v12
	v_min_u32_e32 v63, 32, v26
	v_subrev_nc_u32_e32 v26, 28, v63
	v_sub_nc_u32_e32 v63, 29, v63
	v_lshlrev_b64 v[26:27], v26, v[12:13]
	v_and_b32_e32 v26, 7, v26
; %bb.535:                              ;   in Loop: Header=BB362_10 Depth=1
	s_or_b32 exec_lo, exec_lo, s20
	v_lshlrev_b32_e32 v12, 16, v24
	v_lshlrev_b32_e32 v26, 20, v26
	v_lshl_add_u32 v27, v63, 23, 0x3c000000
	v_and_b32_e32 v12, 0x80000000, v12
	v_or3_b32 v63, v26, v12, v27
.LBB362_536:                            ;   in Loop: Header=BB362_10 Depth=1
	s_or_b32 exec_lo, exec_lo, s19
.LBB362_537:                            ;   in Loop: Header=BB362_10 Depth=1
	s_or_b32 exec_lo, exec_lo, s18
.LBB362_538:                            ;   in Loop: Header=BB362_10 Depth=1
	s_or_b32 exec_lo, exec_lo, s6
	v_and_b32_sdwa v12, v24, v10 dst_sel:DWORD dst_unused:UNUSED_PAD src0_sel:WORD_1 src1_sel:DWORD
	s_mov_b32 s6, exec_lo
	v_cmpx_ne_u16_e32 0, v12
	s_cbranch_execz .LBB362_546
; %bb.539:                              ;   in Loop: Header=BB362_10 Depth=1
	v_bfrev_b32_e32 v72, 1
	s_mov_b32 s18, exec_lo
	v_cmpx_ne_u16_e32 0x80, v12
	s_cbranch_execz .LBB362_545
; %bb.540:                              ;   in Loop: Header=BB362_10 Depth=1
	v_bfe_u32 v26, v24, 16, 7
	v_mov_b32_e32 v72, 0x7f800001
	s_mov_b32 s19, exec_lo
	v_cmpx_ne_u32_e32 0x7f, v26
	s_cbranch_execz .LBB362_544
; %bb.541:                              ;   in Loop: Header=BB362_10 Depth=1
	v_and_b32_sdwa v12, v24, v53 dst_sel:DWORD dst_unused:UNUSED_PAD src0_sel:WORD_1 src1_sel:DWORD
	v_lshrrev_b32_e32 v72, 3, v26
	v_cmp_gt_u32_e64 s5, 8, v26
	v_mov_b32_e32 v27, v13
	v_mov_b32_e32 v26, v12
	s_and_saveexec_b32 s20, s5
; %bb.542:                              ;   in Loop: Header=BB362_10 Depth=1
	v_ffbh_u32_e32 v26, v12
	v_min_u32_e32 v72, 32, v26
	v_subrev_nc_u32_e32 v26, 28, v72
	v_sub_nc_u32_e32 v72, 29, v72
	v_lshlrev_b64 v[26:27], v26, v[12:13]
	v_and_b32_e32 v26, 7, v26
; %bb.543:                              ;   in Loop: Header=BB362_10 Depth=1
	s_or_b32 exec_lo, exec_lo, s20
	v_lshlrev_b32_sdwa v12, v2, v24 dst_sel:DWORD dst_unused:UNUSED_PAD src0_sel:DWORD src1_sel:WORD_1
	v_lshlrev_b32_e32 v26, 20, v26
	v_lshl_add_u32 v27, v72, 23, 0x3c000000
	v_and_b32_e32 v12, 0x80000000, v12
	v_or3_b32 v72, v26, v12, v27
.LBB362_544:                            ;   in Loop: Header=BB362_10 Depth=1
	s_or_b32 exec_lo, exec_lo, s19
.LBB362_545:                            ;   in Loop: Header=BB362_10 Depth=1
	s_or_b32 exec_lo, exec_lo, s18
.LBB362_546:                            ;   in Loop: Header=BB362_10 Depth=1
	s_or_b32 exec_lo, exec_lo, s6
	v_mov_b32_e32 v74, 0
	v_mov_b32_e32 v73, 0
	s_mov_b32 s6, exec_lo
	v_cmpx_lt_u32_e32 0xffffff, v24
	s_cbranch_execz .LBB362_554
; %bb.547:                              ;   in Loop: Header=BB362_10 Depth=1
	v_cmp_ne_u32_sdwa s5, v24, v6 src0_sel:BYTE_3 src1_sel:DWORD
	v_bfrev_b32_e32 v73, 1
	s_and_saveexec_b32 s18, s5
	s_cbranch_execz .LBB362_553
; %bb.548:                              ;   in Loop: Header=BB362_10 Depth=1
	v_bfe_u32 v26, v24, 24, 7
	v_mov_b32_e32 v73, 0x7f800001
	s_mov_b32 s19, exec_lo
	v_cmpx_ne_u32_e32 0x7f, v26
	s_cbranch_execz .LBB362_552
; %bb.549:                              ;   in Loop: Header=BB362_10 Depth=1
	v_and_b32_sdwa v12, v24, v53 dst_sel:DWORD dst_unused:UNUSED_PAD src0_sel:BYTE_3 src1_sel:DWORD
	v_lshrrev_b32_e32 v73, 3, v26
	v_cmp_gt_u32_e64 s5, 8, v26
	v_mov_b32_e32 v27, v13
	v_mov_b32_e32 v26, v12
	s_and_saveexec_b32 s20, s5
; %bb.550:                              ;   in Loop: Header=BB362_10 Depth=1
	v_ffbh_u32_e32 v26, v12
	v_min_u32_e32 v73, 32, v26
	v_subrev_nc_u32_e32 v26, 28, v73
	v_sub_nc_u32_e32 v73, 29, v73
	v_lshlrev_b64 v[26:27], v26, v[12:13]
	v_and_b32_e32 v26, 7, v26
; %bb.551:                              ;   in Loop: Header=BB362_10 Depth=1
	s_or_b32 exec_lo, exec_lo, s20
	v_lshlrev_b32_sdwa v12, v2, v24 dst_sel:DWORD dst_unused:UNUSED_PAD src0_sel:DWORD src1_sel:BYTE_3
	v_lshlrev_b32_e32 v26, 20, v26
	v_lshl_add_u32 v27, v73, 23, 0x3c000000
	v_and_b32_e32 v12, 0x80000000, v12
	v_or3_b32 v73, v26, v12, v27
.LBB362_552:                            ;   in Loop: Header=BB362_10 Depth=1
	s_or_b32 exec_lo, exec_lo, s19
.LBB362_553:                            ;   in Loop: Header=BB362_10 Depth=1
	s_or_b32 exec_lo, exec_lo, s18
.LBB362_554:                            ;   in Loop: Header=BB362_10 Depth=1
	s_or_b32 exec_lo, exec_lo, s6
	v_mov_b32_e32 v12, v25
	v_cmp_ne_u16_sdwa s5, v25, v13 src0_sel:BYTE_0 src1_sel:DWORD
	s_and_saveexec_b32 s6, s5
	s_cbranch_execz .LBB362_562
; %bb.555:                              ;   in Loop: Header=BB362_10 Depth=1
	v_cmp_ne_u16_sdwa s5, v25, v6 src0_sel:BYTE_0 src1_sel:DWORD
	v_bfrev_b32_e32 v74, 1
	s_and_saveexec_b32 s18, s5
	s_cbranch_execz .LBB362_561
; %bb.556:                              ;   in Loop: Header=BB362_10 Depth=1
	v_and_b32_e32 v26, 0x7f, v25
	v_mov_b32_e32 v74, 0x7f800001
	s_mov_b32 s19, exec_lo
	v_cmpx_ne_u32_e32 0x7f, v26
	s_cbranch_execz .LBB362_560
; %bb.557:                              ;   in Loop: Header=BB362_10 Depth=1
	v_lshrrev_b32_e32 v74, 3, v26
	v_cmp_gt_u32_e64 s5, 8, v26
	v_mov_b32_e32 v27, v13
	v_mov_b32_e32 v26, v12
	s_and_saveexec_b32 s20, s5
; %bb.558:                              ;   in Loop: Header=BB362_10 Depth=1
	v_and_b32_e32 v26, 7, v25
	v_ffbh_u32_e32 v26, v26
	v_min_u32_e32 v74, 32, v26
	v_subrev_nc_u32_e32 v26, 28, v74
	v_sub_nc_u32_e32 v74, 29, v74
	v_lshlrev_b64 v[26:27], v26, v[12:13]
; %bb.559:                              ;   in Loop: Header=BB362_10 Depth=1
	s_or_b32 exec_lo, exec_lo, s20
	v_lshlrev_b32_e32 v26, 20, v26
	v_lshlrev_b32_e32 v27, 24, v12
	v_lshl_add_u32 v74, v74, 23, 0x3c000000
	v_and_b32_e32 v26, 0x700000, v26
	v_and_b32_e32 v27, 0x80000000, v27
	v_or3_b32 v74, v26, v27, v74
.LBB362_560:                            ;   in Loop: Header=BB362_10 Depth=1
	s_or_b32 exec_lo, exec_lo, s19
.LBB362_561:                            ;   in Loop: Header=BB362_10 Depth=1
	s_or_b32 exec_lo, exec_lo, s18
.LBB362_562:                            ;   in Loop: Header=BB362_10 Depth=1
	s_or_b32 exec_lo, exec_lo, s6
	v_cmp_ne_u16_sdwa s5, v12, v13 src0_sel:BYTE_1 src1_sel:DWORD
	v_mov_b32_e32 v75, 0
	v_mov_b32_e32 v76, 0
	s_and_saveexec_b32 s6, s5
	s_cbranch_execz .LBB362_570
; %bb.563:                              ;   in Loop: Header=BB362_10 Depth=1
	v_cmp_ne_u16_sdwa s5, v12, v6 src0_sel:BYTE_1 src1_sel:DWORD
	v_bfrev_b32_e32 v76, 1
	s_and_saveexec_b32 s18, s5
	s_cbranch_execz .LBB362_569
; %bb.564:                              ;   in Loop: Header=BB362_10 Depth=1
	v_and_b32_sdwa v26, v11, v12 dst_sel:DWORD dst_unused:UNUSED_PAD src0_sel:DWORD src1_sel:BYTE_1
	v_mov_b32_e32 v76, 0x7f800001
	s_mov_b32 s19, exec_lo
	v_and_b32_e32 v77, 0x7f, v26
	v_cmpx_ne_u32_e32 0x7f, v77
	s_cbranch_execz .LBB362_568
; %bb.565:                              ;   in Loop: Header=BB362_10 Depth=1
	v_and_b32_e32 v26, 7, v26
	v_mov_b32_e32 v27, v13
	v_lshrrev_b32_e32 v76, 3, v77
	s_mov_b32 s20, exec_lo
	v_cmpx_gt_u32_e32 8, v77
; %bb.566:                              ;   in Loop: Header=BB362_10 Depth=1
	v_ffbh_u32_e32 v76, v26
	v_min_u32_e32 v76, 32, v76
	v_subrev_nc_u32_e32 v77, 28, v76
	v_sub_nc_u32_e32 v76, 29, v76
	v_lshlrev_b64 v[26:27], v77, v[26:27]
	v_and_b32_e32 v26, 7, v26
; %bb.567:                              ;   in Loop: Header=BB362_10 Depth=1
	s_or_b32 exec_lo, exec_lo, s20
	v_lshlrev_b32_e32 v12, 16, v12
	v_lshlrev_b32_e32 v26, 20, v26
	v_lshl_add_u32 v27, v76, 23, 0x3c000000
	v_and_b32_e32 v12, 0x80000000, v12
	v_or3_b32 v76, v26, v12, v27
.LBB362_568:                            ;   in Loop: Header=BB362_10 Depth=1
	s_or_b32 exec_lo, exec_lo, s19
.LBB362_569:                            ;   in Loop: Header=BB362_10 Depth=1
	s_or_b32 exec_lo, exec_lo, s18
.LBB362_570:                            ;   in Loop: Header=BB362_10 Depth=1
	s_or_b32 exec_lo, exec_lo, s6
	v_and_b32_sdwa v12, v25, v10 dst_sel:DWORD dst_unused:UNUSED_PAD src0_sel:WORD_1 src1_sel:DWORD
	s_mov_b32 s6, exec_lo
	v_cmpx_ne_u16_e32 0, v12
	s_cbranch_execz .LBB362_578
; %bb.571:                              ;   in Loop: Header=BB362_10 Depth=1
	v_bfrev_b32_e32 v75, 1
	s_mov_b32 s18, exec_lo
	v_cmpx_ne_u16_e32 0x80, v12
	s_cbranch_execz .LBB362_577
; %bb.572:                              ;   in Loop: Header=BB362_10 Depth=1
	v_bfe_u32 v26, v25, 16, 7
	v_mov_b32_e32 v75, 0x7f800001
	s_mov_b32 s19, exec_lo
	v_cmpx_ne_u32_e32 0x7f, v26
	s_cbranch_execz .LBB362_576
; %bb.573:                              ;   in Loop: Header=BB362_10 Depth=1
	v_and_b32_sdwa v12, v25, v53 dst_sel:DWORD dst_unused:UNUSED_PAD src0_sel:WORD_1 src1_sel:DWORD
	v_lshrrev_b32_e32 v75, 3, v26
	v_cmp_gt_u32_e64 s5, 8, v26
	v_mov_b32_e32 v27, v13
	v_mov_b32_e32 v26, v12
	s_and_saveexec_b32 s20, s5
; %bb.574:                              ;   in Loop: Header=BB362_10 Depth=1
	v_ffbh_u32_e32 v26, v12
	v_min_u32_e32 v75, 32, v26
	v_subrev_nc_u32_e32 v26, 28, v75
	v_sub_nc_u32_e32 v75, 29, v75
	v_lshlrev_b64 v[26:27], v26, v[12:13]
	v_and_b32_e32 v26, 7, v26
; %bb.575:                              ;   in Loop: Header=BB362_10 Depth=1
	s_or_b32 exec_lo, exec_lo, s20
	v_lshlrev_b32_sdwa v12, v2, v25 dst_sel:DWORD dst_unused:UNUSED_PAD src0_sel:DWORD src1_sel:WORD_1
	v_lshlrev_b32_e32 v26, 20, v26
	v_lshl_add_u32 v27, v75, 23, 0x3c000000
	v_and_b32_e32 v12, 0x80000000, v12
	v_or3_b32 v75, v26, v12, v27
.LBB362_576:                            ;   in Loop: Header=BB362_10 Depth=1
	s_or_b32 exec_lo, exec_lo, s19
.LBB362_577:                            ;   in Loop: Header=BB362_10 Depth=1
	s_or_b32 exec_lo, exec_lo, s18
.LBB362_578:                            ;   in Loop: Header=BB362_10 Depth=1
	s_or_b32 exec_lo, exec_lo, s6
	v_mov_b32_e32 v78, 0
	v_mov_b32_e32 v77, 0
	s_mov_b32 s6, exec_lo
	v_cmpx_lt_u64_e64 s[8:9], v[24:25]
	s_cbranch_execz .LBB362_586
; %bb.579:                              ;   in Loop: Header=BB362_10 Depth=1
	v_cmp_ne_u32_sdwa s5, v25, v6 src0_sel:BYTE_3 src1_sel:DWORD
	v_bfrev_b32_e32 v77, 1
	s_and_saveexec_b32 s18, s5
	s_cbranch_execz .LBB362_585
; %bb.580:                              ;   in Loop: Header=BB362_10 Depth=1
	v_bfe_u32 v26, v25, 24, 7
	v_mov_b32_e32 v77, 0x7f800001
	s_mov_b32 s19, exec_lo
	v_cmpx_ne_u32_e32 0x7f, v26
	s_cbranch_execz .LBB362_584
; %bb.581:                              ;   in Loop: Header=BB362_10 Depth=1
	v_and_b32_sdwa v12, v25, v53 dst_sel:DWORD dst_unused:UNUSED_PAD src0_sel:BYTE_3 src1_sel:DWORD
	v_lshrrev_b32_e32 v24, 3, v26
	v_cmp_gt_u32_e64 s5, 8, v26
	v_mov_b32_e32 v27, v13
	v_mov_b32_e32 v26, v12
	s_and_saveexec_b32 s20, s5
; %bb.582:                              ;   in Loop: Header=BB362_10 Depth=1
	v_ffbh_u32_e32 v24, v12
	v_min_u32_e32 v24, 32, v24
	v_subrev_nc_u32_e32 v26, 28, v24
	v_sub_nc_u32_e32 v24, 29, v24
	v_lshlrev_b64 v[26:27], v26, v[12:13]
	v_and_b32_e32 v26, 7, v26
; %bb.583:                              ;   in Loop: Header=BB362_10 Depth=1
	s_or_b32 exec_lo, exec_lo, s20
	v_lshlrev_b32_sdwa v12, v2, v25 dst_sel:DWORD dst_unused:UNUSED_PAD src0_sel:DWORD src1_sel:BYTE_3
	v_lshlrev_b32_e32 v25, 20, v26
	v_lshl_add_u32 v24, v24, 23, 0x3c000000
	v_and_b32_e32 v12, 0x80000000, v12
	v_or3_b32 v77, v25, v12, v24
.LBB362_584:                            ;   in Loop: Header=BB362_10 Depth=1
	s_or_b32 exec_lo, exec_lo, s19
.LBB362_585:                            ;   in Loop: Header=BB362_10 Depth=1
	s_or_b32 exec_lo, exec_lo, s18
.LBB362_586:                            ;   in Loop: Header=BB362_10 Depth=1
	s_or_b32 exec_lo, exec_lo, s6
	flat_load_dwordx2 v[24:25], v[16:17] offset:8
	s_waitcnt vmcnt(0) lgkmcnt(0)
	v_cmp_ne_u16_sdwa s5, v24, v13 src0_sel:BYTE_0 src1_sel:DWORD
	s_and_saveexec_b32 s6, s5
	s_cbranch_execz .LBB362_594
; %bb.587:                              ;   in Loop: Header=BB362_10 Depth=1
	v_cmp_ne_u16_sdwa s5, v24, v6 src0_sel:BYTE_0 src1_sel:DWORD
	v_bfrev_b32_e32 v78, 1
	s_and_saveexec_b32 s18, s5
	s_cbranch_execz .LBB362_593
; %bb.588:                              ;   in Loop: Header=BB362_10 Depth=1
	v_and_b32_e32 v26, 0x7f, v24
	v_mov_b32_e32 v78, 0x7f800001
	s_mov_b32 s19, exec_lo
	v_cmpx_ne_u32_e32 0x7f, v26
	s_cbranch_execz .LBB362_592
; %bb.589:                              ;   in Loop: Header=BB362_10 Depth=1
	v_lshrrev_b32_e32 v12, 3, v26
	v_cmp_gt_u32_e64 s5, 8, v26
	v_mov_b32_e32 v27, v25
	v_mov_b32_e32 v26, v24
	s_and_saveexec_b32 s20, s5
; %bb.590:                              ;   in Loop: Header=BB362_10 Depth=1
	v_and_b32_e32 v12, 7, v24
	v_ffbh_u32_e32 v12, v12
	v_min_u32_e32 v12, 32, v12
	v_subrev_nc_u32_e32 v26, 28, v12
	v_sub_nc_u32_e32 v12, 29, v12
	v_lshlrev_b64 v[26:27], v26, v[24:25]
; %bb.591:                              ;   in Loop: Header=BB362_10 Depth=1
	s_or_b32 exec_lo, exec_lo, s20
	v_lshlrev_b32_e32 v26, 20, v26
	v_lshlrev_b32_e32 v27, 24, v24
	v_lshl_add_u32 v12, v12, 23, 0x3c000000
	v_and_b32_e32 v26, 0x700000, v26
	v_and_b32_e32 v27, 0x80000000, v27
	v_or3_b32 v78, v26, v27, v12
.LBB362_592:                            ;   in Loop: Header=BB362_10 Depth=1
	s_or_b32 exec_lo, exec_lo, s19
.LBB362_593:                            ;   in Loop: Header=BB362_10 Depth=1
	s_or_b32 exec_lo, exec_lo, s18
.LBB362_594:                            ;   in Loop: Header=BB362_10 Depth=1
	s_or_b32 exec_lo, exec_lo, s6
	v_cmp_ne_u16_sdwa s5, v24, v13 src0_sel:BYTE_1 src1_sel:DWORD
	v_mov_b32_e32 v88, 0
	v_mov_b32_e32 v79, 0
	s_and_saveexec_b32 s6, s5
	s_cbranch_execz .LBB362_602
; %bb.595:                              ;   in Loop: Header=BB362_10 Depth=1
	v_cmp_ne_u16_sdwa s5, v24, v6 src0_sel:BYTE_1 src1_sel:DWORD
	v_bfrev_b32_e32 v79, 1
	s_and_saveexec_b32 s18, s5
	s_cbranch_execz .LBB362_601
; %bb.596:                              ;   in Loop: Header=BB362_10 Depth=1
	v_and_b32_sdwa v12, v11, v24 dst_sel:DWORD dst_unused:UNUSED_PAD src0_sel:DWORD src1_sel:BYTE_1
	v_mov_b32_e32 v79, 0x7f800001
	s_mov_b32 s19, exec_lo
	v_and_b32_e32 v26, 0x7f, v12
	v_cmpx_ne_u32_e32 0x7f, v26
	s_cbranch_execz .LBB362_600
; %bb.597:                              ;   in Loop: Header=BB362_10 Depth=1
	v_and_b32_e32 v12, 7, v12
	v_lshrrev_b32_e32 v79, 3, v26
	v_cmp_gt_u32_e64 s5, 8, v26
	v_mov_b32_e32 v27, v13
	v_mov_b32_e32 v26, v12
	s_and_saveexec_b32 s20, s5
; %bb.598:                              ;   in Loop: Header=BB362_10 Depth=1
	v_ffbh_u32_e32 v26, v12
	v_min_u32_e32 v79, 32, v26
	v_subrev_nc_u32_e32 v26, 28, v79
	v_sub_nc_u32_e32 v79, 29, v79
	v_lshlrev_b64 v[26:27], v26, v[12:13]
	v_and_b32_e32 v26, 7, v26
; %bb.599:                              ;   in Loop: Header=BB362_10 Depth=1
	s_or_b32 exec_lo, exec_lo, s20
	v_lshlrev_b32_e32 v12, 16, v24
	v_lshlrev_b32_e32 v26, 20, v26
	v_lshl_add_u32 v27, v79, 23, 0x3c000000
	v_and_b32_e32 v12, 0x80000000, v12
	v_or3_b32 v79, v26, v12, v27
.LBB362_600:                            ;   in Loop: Header=BB362_10 Depth=1
	s_or_b32 exec_lo, exec_lo, s19
.LBB362_601:                            ;   in Loop: Header=BB362_10 Depth=1
	s_or_b32 exec_lo, exec_lo, s18
.LBB362_602:                            ;   in Loop: Header=BB362_10 Depth=1
	s_or_b32 exec_lo, exec_lo, s6
	v_and_b32_sdwa v12, v24, v10 dst_sel:DWORD dst_unused:UNUSED_PAD src0_sel:WORD_1 src1_sel:DWORD
	s_mov_b32 s6, exec_lo
	v_cmpx_ne_u16_e32 0, v12
	s_cbranch_execz .LBB362_610
; %bb.603:                              ;   in Loop: Header=BB362_10 Depth=1
	v_bfrev_b32_e32 v88, 1
	s_mov_b32 s18, exec_lo
	v_cmpx_ne_u16_e32 0x80, v12
	s_cbranch_execz .LBB362_609
; %bb.604:                              ;   in Loop: Header=BB362_10 Depth=1
	v_bfe_u32 v26, v24, 16, 7
	v_mov_b32_e32 v88, 0x7f800001
	s_mov_b32 s19, exec_lo
	v_cmpx_ne_u32_e32 0x7f, v26
	s_cbranch_execz .LBB362_608
; %bb.605:                              ;   in Loop: Header=BB362_10 Depth=1
	v_and_b32_sdwa v12, v24, v53 dst_sel:DWORD dst_unused:UNUSED_PAD src0_sel:WORD_1 src1_sel:DWORD
	v_lshrrev_b32_e32 v88, 3, v26
	v_cmp_gt_u32_e64 s5, 8, v26
	v_mov_b32_e32 v27, v13
	v_mov_b32_e32 v26, v12
	s_and_saveexec_b32 s20, s5
; %bb.606:                              ;   in Loop: Header=BB362_10 Depth=1
	v_ffbh_u32_e32 v26, v12
	v_min_u32_e32 v88, 32, v26
	v_subrev_nc_u32_e32 v26, 28, v88
	v_sub_nc_u32_e32 v88, 29, v88
	v_lshlrev_b64 v[26:27], v26, v[12:13]
	v_and_b32_e32 v26, 7, v26
; %bb.607:                              ;   in Loop: Header=BB362_10 Depth=1
	s_or_b32 exec_lo, exec_lo, s20
	v_lshlrev_b32_sdwa v12, v2, v24 dst_sel:DWORD dst_unused:UNUSED_PAD src0_sel:DWORD src1_sel:WORD_1
	v_lshlrev_b32_e32 v26, 20, v26
	v_lshl_add_u32 v27, v88, 23, 0x3c000000
	v_and_b32_e32 v12, 0x80000000, v12
	v_or3_b32 v88, v26, v12, v27
.LBB362_608:                            ;   in Loop: Header=BB362_10 Depth=1
	s_or_b32 exec_lo, exec_lo, s19
.LBB362_609:                            ;   in Loop: Header=BB362_10 Depth=1
	s_or_b32 exec_lo, exec_lo, s18
.LBB362_610:                            ;   in Loop: Header=BB362_10 Depth=1
	s_or_b32 exec_lo, exec_lo, s6
	v_mov_b32_e32 v90, 0
	v_mov_b32_e32 v89, 0
	s_mov_b32 s6, exec_lo
	v_cmpx_lt_u32_e32 0xffffff, v24
	s_cbranch_execz .LBB362_618
; %bb.611:                              ;   in Loop: Header=BB362_10 Depth=1
	v_cmp_ne_u32_sdwa s5, v24, v6 src0_sel:BYTE_3 src1_sel:DWORD
	v_bfrev_b32_e32 v89, 1
	s_and_saveexec_b32 s18, s5
	s_cbranch_execz .LBB362_617
; %bb.612:                              ;   in Loop: Header=BB362_10 Depth=1
	v_bfe_u32 v26, v24, 24, 7
	v_mov_b32_e32 v89, 0x7f800001
	s_mov_b32 s19, exec_lo
	v_cmpx_ne_u32_e32 0x7f, v26
	s_cbranch_execz .LBB362_616
; %bb.613:                              ;   in Loop: Header=BB362_10 Depth=1
	v_and_b32_sdwa v12, v24, v53 dst_sel:DWORD dst_unused:UNUSED_PAD src0_sel:BYTE_3 src1_sel:DWORD
	v_lshrrev_b32_e32 v89, 3, v26
	v_cmp_gt_u32_e64 s5, 8, v26
	v_mov_b32_e32 v27, v13
	v_mov_b32_e32 v26, v12
	s_and_saveexec_b32 s20, s5
; %bb.614:                              ;   in Loop: Header=BB362_10 Depth=1
	v_ffbh_u32_e32 v26, v12
	v_min_u32_e32 v89, 32, v26
	v_subrev_nc_u32_e32 v26, 28, v89
	v_sub_nc_u32_e32 v89, 29, v89
	v_lshlrev_b64 v[26:27], v26, v[12:13]
	v_and_b32_e32 v26, 7, v26
; %bb.615:                              ;   in Loop: Header=BB362_10 Depth=1
	s_or_b32 exec_lo, exec_lo, s20
	v_lshlrev_b32_sdwa v12, v2, v24 dst_sel:DWORD dst_unused:UNUSED_PAD src0_sel:DWORD src1_sel:BYTE_3
	v_lshlrev_b32_e32 v26, 20, v26
	v_lshl_add_u32 v27, v89, 23, 0x3c000000
	v_and_b32_e32 v12, 0x80000000, v12
	v_or3_b32 v89, v26, v12, v27
.LBB362_616:                            ;   in Loop: Header=BB362_10 Depth=1
	s_or_b32 exec_lo, exec_lo, s19
.LBB362_617:                            ;   in Loop: Header=BB362_10 Depth=1
	s_or_b32 exec_lo, exec_lo, s18
.LBB362_618:                            ;   in Loop: Header=BB362_10 Depth=1
	s_or_b32 exec_lo, exec_lo, s6
	v_mov_b32_e32 v12, v25
	v_cmp_ne_u16_sdwa s5, v25, v13 src0_sel:BYTE_0 src1_sel:DWORD
	s_and_saveexec_b32 s6, s5
	s_cbranch_execz .LBB362_626
; %bb.619:                              ;   in Loop: Header=BB362_10 Depth=1
	v_cmp_ne_u16_sdwa s5, v25, v6 src0_sel:BYTE_0 src1_sel:DWORD
	v_bfrev_b32_e32 v90, 1
	s_and_saveexec_b32 s18, s5
	s_cbranch_execz .LBB362_625
; %bb.620:                              ;   in Loop: Header=BB362_10 Depth=1
	v_and_b32_e32 v26, 0x7f, v25
	v_mov_b32_e32 v90, 0x7f800001
	s_mov_b32 s19, exec_lo
	v_cmpx_ne_u32_e32 0x7f, v26
	s_cbranch_execz .LBB362_624
; %bb.621:                              ;   in Loop: Header=BB362_10 Depth=1
	v_lshrrev_b32_e32 v90, 3, v26
	v_cmp_gt_u32_e64 s5, 8, v26
	v_mov_b32_e32 v27, v13
	v_mov_b32_e32 v26, v12
	s_and_saveexec_b32 s20, s5
; %bb.622:                              ;   in Loop: Header=BB362_10 Depth=1
	v_and_b32_e32 v26, 7, v25
	v_ffbh_u32_e32 v26, v26
	v_min_u32_e32 v90, 32, v26
	v_subrev_nc_u32_e32 v26, 28, v90
	v_sub_nc_u32_e32 v90, 29, v90
	v_lshlrev_b64 v[26:27], v26, v[12:13]
; %bb.623:                              ;   in Loop: Header=BB362_10 Depth=1
	s_or_b32 exec_lo, exec_lo, s20
	v_lshlrev_b32_e32 v26, 20, v26
	v_lshlrev_b32_e32 v27, 24, v12
	v_lshl_add_u32 v90, v90, 23, 0x3c000000
	v_and_b32_e32 v26, 0x700000, v26
	v_and_b32_e32 v27, 0x80000000, v27
	v_or3_b32 v90, v26, v27, v90
.LBB362_624:                            ;   in Loop: Header=BB362_10 Depth=1
	s_or_b32 exec_lo, exec_lo, s19
.LBB362_625:                            ;   in Loop: Header=BB362_10 Depth=1
	s_or_b32 exec_lo, exec_lo, s18
.LBB362_626:                            ;   in Loop: Header=BB362_10 Depth=1
	s_or_b32 exec_lo, exec_lo, s6
	v_cmp_ne_u16_sdwa s5, v12, v13 src0_sel:BYTE_1 src1_sel:DWORD
	v_mov_b32_e32 v91, 0
	v_mov_b32_e32 v92, 0
	s_and_saveexec_b32 s6, s5
	s_cbranch_execz .LBB362_634
; %bb.627:                              ;   in Loop: Header=BB362_10 Depth=1
	v_cmp_ne_u16_sdwa s5, v12, v6 src0_sel:BYTE_1 src1_sel:DWORD
	v_bfrev_b32_e32 v92, 1
	s_and_saveexec_b32 s18, s5
	s_cbranch_execz .LBB362_633
; %bb.628:                              ;   in Loop: Header=BB362_10 Depth=1
	v_and_b32_sdwa v26, v11, v12 dst_sel:DWORD dst_unused:UNUSED_PAD src0_sel:DWORD src1_sel:BYTE_1
	v_mov_b32_e32 v92, 0x7f800001
	s_mov_b32 s19, exec_lo
	v_and_b32_e32 v93, 0x7f, v26
	v_cmpx_ne_u32_e32 0x7f, v93
	s_cbranch_execz .LBB362_632
; %bb.629:                              ;   in Loop: Header=BB362_10 Depth=1
	v_and_b32_e32 v26, 7, v26
	v_mov_b32_e32 v27, v13
	v_lshrrev_b32_e32 v92, 3, v93
	s_mov_b32 s20, exec_lo
	v_cmpx_gt_u32_e32 8, v93
; %bb.630:                              ;   in Loop: Header=BB362_10 Depth=1
	v_ffbh_u32_e32 v92, v26
	v_min_u32_e32 v92, 32, v92
	v_subrev_nc_u32_e32 v93, 28, v92
	v_sub_nc_u32_e32 v92, 29, v92
	v_lshlrev_b64 v[26:27], v93, v[26:27]
	v_and_b32_e32 v26, 7, v26
; %bb.631:                              ;   in Loop: Header=BB362_10 Depth=1
	s_or_b32 exec_lo, exec_lo, s20
	v_lshlrev_b32_e32 v12, 16, v12
	v_lshlrev_b32_e32 v26, 20, v26
	v_lshl_add_u32 v27, v92, 23, 0x3c000000
	v_and_b32_e32 v12, 0x80000000, v12
	v_or3_b32 v92, v26, v12, v27
.LBB362_632:                            ;   in Loop: Header=BB362_10 Depth=1
	s_or_b32 exec_lo, exec_lo, s19
.LBB362_633:                            ;   in Loop: Header=BB362_10 Depth=1
	s_or_b32 exec_lo, exec_lo, s18
.LBB362_634:                            ;   in Loop: Header=BB362_10 Depth=1
	s_or_b32 exec_lo, exec_lo, s6
	v_and_b32_sdwa v12, v25, v10 dst_sel:DWORD dst_unused:UNUSED_PAD src0_sel:WORD_1 src1_sel:DWORD
	s_mov_b32 s6, exec_lo
	v_cmpx_ne_u16_e32 0, v12
	s_cbranch_execz .LBB362_642
; %bb.635:                              ;   in Loop: Header=BB362_10 Depth=1
	v_bfrev_b32_e32 v91, 1
	s_mov_b32 s18, exec_lo
	v_cmpx_ne_u16_e32 0x80, v12
	s_cbranch_execz .LBB362_641
; %bb.636:                              ;   in Loop: Header=BB362_10 Depth=1
	v_bfe_u32 v26, v25, 16, 7
	v_mov_b32_e32 v91, 0x7f800001
	s_mov_b32 s19, exec_lo
	v_cmpx_ne_u32_e32 0x7f, v26
	s_cbranch_execz .LBB362_640
; %bb.637:                              ;   in Loop: Header=BB362_10 Depth=1
	v_and_b32_sdwa v12, v25, v53 dst_sel:DWORD dst_unused:UNUSED_PAD src0_sel:WORD_1 src1_sel:DWORD
	v_lshrrev_b32_e32 v91, 3, v26
	v_cmp_gt_u32_e64 s5, 8, v26
	v_mov_b32_e32 v27, v13
	v_mov_b32_e32 v26, v12
	s_and_saveexec_b32 s20, s5
; %bb.638:                              ;   in Loop: Header=BB362_10 Depth=1
	v_ffbh_u32_e32 v26, v12
	v_min_u32_e32 v91, 32, v26
	v_subrev_nc_u32_e32 v26, 28, v91
	v_sub_nc_u32_e32 v91, 29, v91
	v_lshlrev_b64 v[26:27], v26, v[12:13]
	v_and_b32_e32 v26, 7, v26
; %bb.639:                              ;   in Loop: Header=BB362_10 Depth=1
	s_or_b32 exec_lo, exec_lo, s20
	v_lshlrev_b32_sdwa v12, v2, v25 dst_sel:DWORD dst_unused:UNUSED_PAD src0_sel:DWORD src1_sel:WORD_1
	v_lshlrev_b32_e32 v26, 20, v26
	v_lshl_add_u32 v27, v91, 23, 0x3c000000
	v_and_b32_e32 v12, 0x80000000, v12
	v_or3_b32 v91, v26, v12, v27
.LBB362_640:                            ;   in Loop: Header=BB362_10 Depth=1
	s_or_b32 exec_lo, exec_lo, s19
.LBB362_641:                            ;   in Loop: Header=BB362_10 Depth=1
	s_or_b32 exec_lo, exec_lo, s18
.LBB362_642:                            ;   in Loop: Header=BB362_10 Depth=1
	s_or_b32 exec_lo, exec_lo, s6
	v_mov_b32_e32 v95, 0
	v_mov_b32_e32 v94, 0
	s_mov_b32 s6, exec_lo
	v_cmpx_lt_u64_e64 s[8:9], v[24:25]
	s_cbranch_execz .LBB362_650
; %bb.643:                              ;   in Loop: Header=BB362_10 Depth=1
	v_cmp_ne_u32_sdwa s5, v25, v6 src0_sel:BYTE_3 src1_sel:DWORD
	v_bfrev_b32_e32 v94, 1
	s_and_saveexec_b32 s18, s5
	s_cbranch_execz .LBB362_649
; %bb.644:                              ;   in Loop: Header=BB362_10 Depth=1
	v_bfe_u32 v26, v25, 24, 7
	v_mov_b32_e32 v94, 0x7f800001
	s_mov_b32 s19, exec_lo
	v_cmpx_ne_u32_e32 0x7f, v26
	s_cbranch_execz .LBB362_648
; %bb.645:                              ;   in Loop: Header=BB362_10 Depth=1
	v_and_b32_sdwa v12, v25, v53 dst_sel:DWORD dst_unused:UNUSED_PAD src0_sel:BYTE_3 src1_sel:DWORD
	v_lshrrev_b32_e32 v24, 3, v26
	v_cmp_gt_u32_e64 s5, 8, v26
	v_mov_b32_e32 v27, v13
	v_mov_b32_e32 v26, v12
	s_and_saveexec_b32 s20, s5
; %bb.646:                              ;   in Loop: Header=BB362_10 Depth=1
	v_ffbh_u32_e32 v24, v12
	v_min_u32_e32 v24, 32, v24
	v_subrev_nc_u32_e32 v26, 28, v24
	v_sub_nc_u32_e32 v24, 29, v24
	v_lshlrev_b64 v[26:27], v26, v[12:13]
	v_and_b32_e32 v26, 7, v26
; %bb.647:                              ;   in Loop: Header=BB362_10 Depth=1
	s_or_b32 exec_lo, exec_lo, s20
	v_lshlrev_b32_sdwa v12, v2, v25 dst_sel:DWORD dst_unused:UNUSED_PAD src0_sel:DWORD src1_sel:BYTE_3
	v_lshlrev_b32_e32 v25, 20, v26
	v_lshl_add_u32 v24, v24, 23, 0x3c000000
	v_and_b32_e32 v12, 0x80000000, v12
	v_or3_b32 v94, v25, v12, v24
.LBB362_648:                            ;   in Loop: Header=BB362_10 Depth=1
	s_or_b32 exec_lo, exec_lo, s19
.LBB362_649:                            ;   in Loop: Header=BB362_10 Depth=1
	s_or_b32 exec_lo, exec_lo, s18
.LBB362_650:                            ;   in Loop: Header=BB362_10 Depth=1
	s_or_b32 exec_lo, exec_lo, s6
	flat_load_dwordx2 v[24:25], v[16:17] offset:512
	s_waitcnt vmcnt(0) lgkmcnt(0)
	v_cmp_ne_u16_sdwa s5, v24, v13 src0_sel:BYTE_0 src1_sel:DWORD
	s_and_saveexec_b32 s6, s5
	s_cbranch_execz .LBB362_658
; %bb.651:                              ;   in Loop: Header=BB362_10 Depth=1
	v_cmp_ne_u16_sdwa s5, v24, v6 src0_sel:BYTE_0 src1_sel:DWORD
	v_bfrev_b32_e32 v95, 1
	s_and_saveexec_b32 s18, s5
	s_cbranch_execz .LBB362_657
; %bb.652:                              ;   in Loop: Header=BB362_10 Depth=1
	v_and_b32_e32 v26, 0x7f, v24
	v_mov_b32_e32 v95, 0x7f800001
	s_mov_b32 s19, exec_lo
	v_cmpx_ne_u32_e32 0x7f, v26
	s_cbranch_execz .LBB362_656
; %bb.653:                              ;   in Loop: Header=BB362_10 Depth=1
	v_lshrrev_b32_e32 v12, 3, v26
	v_cmp_gt_u32_e64 s5, 8, v26
	v_mov_b32_e32 v27, v25
	v_mov_b32_e32 v26, v24
	s_and_saveexec_b32 s20, s5
; %bb.654:                              ;   in Loop: Header=BB362_10 Depth=1
	v_and_b32_e32 v12, 7, v24
	v_ffbh_u32_e32 v12, v12
	v_min_u32_e32 v12, 32, v12
	v_subrev_nc_u32_e32 v26, 28, v12
	v_sub_nc_u32_e32 v12, 29, v12
	v_lshlrev_b64 v[26:27], v26, v[24:25]
; %bb.655:                              ;   in Loop: Header=BB362_10 Depth=1
	s_or_b32 exec_lo, exec_lo, s20
	v_lshlrev_b32_e32 v26, 20, v26
	v_lshlrev_b32_e32 v27, 24, v24
	v_lshl_add_u32 v12, v12, 23, 0x3c000000
	v_and_b32_e32 v26, 0x700000, v26
	v_and_b32_e32 v27, 0x80000000, v27
	v_or3_b32 v95, v26, v27, v12
.LBB362_656:                            ;   in Loop: Header=BB362_10 Depth=1
	s_or_b32 exec_lo, exec_lo, s19
.LBB362_657:                            ;   in Loop: Header=BB362_10 Depth=1
	s_or_b32 exec_lo, exec_lo, s18
.LBB362_658:                            ;   in Loop: Header=BB362_10 Depth=1
	s_or_b32 exec_lo, exec_lo, s6
	v_cmp_ne_u16_sdwa s5, v24, v13 src0_sel:BYTE_1 src1_sel:DWORD
	v_mov_b32_e32 v105, 0
	v_mov_b32_e32 v104, 0
	s_and_saveexec_b32 s6, s5
	s_cbranch_execz .LBB362_666
; %bb.659:                              ;   in Loop: Header=BB362_10 Depth=1
	v_cmp_ne_u16_sdwa s5, v24, v6 src0_sel:BYTE_1 src1_sel:DWORD
	v_bfrev_b32_e32 v104, 1
	s_and_saveexec_b32 s18, s5
	s_cbranch_execz .LBB362_665
; %bb.660:                              ;   in Loop: Header=BB362_10 Depth=1
	v_and_b32_sdwa v12, v11, v24 dst_sel:DWORD dst_unused:UNUSED_PAD src0_sel:DWORD src1_sel:BYTE_1
	v_mov_b32_e32 v104, 0x7f800001
	s_mov_b32 s19, exec_lo
	v_and_b32_e32 v26, 0x7f, v12
	v_cmpx_ne_u32_e32 0x7f, v26
	s_cbranch_execz .LBB362_664
; %bb.661:                              ;   in Loop: Header=BB362_10 Depth=1
	v_and_b32_e32 v12, 7, v12
	v_lshrrev_b32_e32 v93, 3, v26
	v_cmp_gt_u32_e64 s5, 8, v26
	v_mov_b32_e32 v27, v13
	v_mov_b32_e32 v26, v12
	s_and_saveexec_b32 s20, s5
; %bb.662:                              ;   in Loop: Header=BB362_10 Depth=1
	v_ffbh_u32_e32 v26, v12
	v_min_u32_e32 v93, 32, v26
	v_subrev_nc_u32_e32 v26, 28, v93
	v_sub_nc_u32_e32 v93, 29, v93
	v_lshlrev_b64 v[26:27], v26, v[12:13]
	v_and_b32_e32 v26, 7, v26
; %bb.663:                              ;   in Loop: Header=BB362_10 Depth=1
	s_or_b32 exec_lo, exec_lo, s20
	v_lshlrev_b32_e32 v12, 16, v24
	v_lshlrev_b32_e32 v26, 20, v26
	v_lshl_add_u32 v27, v93, 23, 0x3c000000
	v_and_b32_e32 v12, 0x80000000, v12
	v_or3_b32 v104, v26, v12, v27
.LBB362_664:                            ;   in Loop: Header=BB362_10 Depth=1
	s_or_b32 exec_lo, exec_lo, s19
.LBB362_665:                            ;   in Loop: Header=BB362_10 Depth=1
	s_or_b32 exec_lo, exec_lo, s18
.LBB362_666:                            ;   in Loop: Header=BB362_10 Depth=1
	s_or_b32 exec_lo, exec_lo, s6
	v_and_b32_sdwa v12, v24, v10 dst_sel:DWORD dst_unused:UNUSED_PAD src0_sel:WORD_1 src1_sel:DWORD
	s_mov_b32 s6, exec_lo
	v_cmpx_ne_u16_e32 0, v12
	s_cbranch_execz .LBB362_674
; %bb.667:                              ;   in Loop: Header=BB362_10 Depth=1
	v_bfrev_b32_e32 v105, 1
	s_mov_b32 s18, exec_lo
	v_cmpx_ne_u16_e32 0x80, v12
	s_cbranch_execz .LBB362_673
; %bb.668:                              ;   in Loop: Header=BB362_10 Depth=1
	v_bfe_u32 v26, v24, 16, 7
	v_mov_b32_e32 v105, 0x7f800001
	s_mov_b32 s19, exec_lo
	v_cmpx_ne_u32_e32 0x7f, v26
	s_cbranch_execz .LBB362_672
; %bb.669:                              ;   in Loop: Header=BB362_10 Depth=1
	v_and_b32_sdwa v12, v24, v53 dst_sel:DWORD dst_unused:UNUSED_PAD src0_sel:WORD_1 src1_sel:DWORD
	v_lshrrev_b32_e32 v93, 3, v26
	v_cmp_gt_u32_e64 s5, 8, v26
	v_mov_b32_e32 v27, v13
	v_mov_b32_e32 v26, v12
	s_and_saveexec_b32 s20, s5
; %bb.670:                              ;   in Loop: Header=BB362_10 Depth=1
	v_ffbh_u32_e32 v26, v12
	v_min_u32_e32 v93, 32, v26
	v_subrev_nc_u32_e32 v26, 28, v93
	v_sub_nc_u32_e32 v93, 29, v93
	v_lshlrev_b64 v[26:27], v26, v[12:13]
	v_and_b32_e32 v26, 7, v26
; %bb.671:                              ;   in Loop: Header=BB362_10 Depth=1
	s_or_b32 exec_lo, exec_lo, s20
	v_lshlrev_b32_sdwa v12, v2, v24 dst_sel:DWORD dst_unused:UNUSED_PAD src0_sel:DWORD src1_sel:WORD_1
	v_lshlrev_b32_e32 v26, 20, v26
	v_lshl_add_u32 v27, v93, 23, 0x3c000000
	v_and_b32_e32 v12, 0x80000000, v12
	v_or3_b32 v105, v26, v12, v27
.LBB362_672:                            ;   in Loop: Header=BB362_10 Depth=1
	s_or_b32 exec_lo, exec_lo, s19
.LBB362_673:                            ;   in Loop: Header=BB362_10 Depth=1
	s_or_b32 exec_lo, exec_lo, s18
.LBB362_674:                            ;   in Loop: Header=BB362_10 Depth=1
	s_or_b32 exec_lo, exec_lo, s6
	v_mov_b32_e32 v109, 0
	v_mov_b32_e32 v108, 0
	s_mov_b32 s6, exec_lo
	v_cmpx_lt_u32_e32 0xffffff, v24
	s_cbranch_execz .LBB362_682
; %bb.675:                              ;   in Loop: Header=BB362_10 Depth=1
	v_cmp_ne_u32_sdwa s5, v24, v6 src0_sel:BYTE_3 src1_sel:DWORD
	v_bfrev_b32_e32 v108, 1
	s_and_saveexec_b32 s18, s5
	s_cbranch_execz .LBB362_681
; %bb.676:                              ;   in Loop: Header=BB362_10 Depth=1
	v_bfe_u32 v26, v24, 24, 7
	v_mov_b32_e32 v108, 0x7f800001
	s_mov_b32 s19, exec_lo
	v_cmpx_ne_u32_e32 0x7f, v26
	s_cbranch_execz .LBB362_680
; %bb.677:                              ;   in Loop: Header=BB362_10 Depth=1
	v_and_b32_sdwa v12, v24, v53 dst_sel:DWORD dst_unused:UNUSED_PAD src0_sel:BYTE_3 src1_sel:DWORD
	v_lshrrev_b32_e32 v93, 3, v26
	v_cmp_gt_u32_e64 s5, 8, v26
	v_mov_b32_e32 v27, v13
	v_mov_b32_e32 v26, v12
	s_and_saveexec_b32 s20, s5
; %bb.678:                              ;   in Loop: Header=BB362_10 Depth=1
	v_ffbh_u32_e32 v26, v12
	v_min_u32_e32 v93, 32, v26
	v_subrev_nc_u32_e32 v26, 28, v93
	v_sub_nc_u32_e32 v93, 29, v93
	v_lshlrev_b64 v[26:27], v26, v[12:13]
	v_and_b32_e32 v26, 7, v26
; %bb.679:                              ;   in Loop: Header=BB362_10 Depth=1
	s_or_b32 exec_lo, exec_lo, s20
	v_lshlrev_b32_sdwa v12, v2, v24 dst_sel:DWORD dst_unused:UNUSED_PAD src0_sel:DWORD src1_sel:BYTE_3
	v_lshlrev_b32_e32 v26, 20, v26
	v_lshl_add_u32 v27, v93, 23, 0x3c000000
	v_and_b32_e32 v12, 0x80000000, v12
	v_or3_b32 v108, v26, v12, v27
.LBB362_680:                            ;   in Loop: Header=BB362_10 Depth=1
	s_or_b32 exec_lo, exec_lo, s19
.LBB362_681:                            ;   in Loop: Header=BB362_10 Depth=1
	s_or_b32 exec_lo, exec_lo, s18
.LBB362_682:                            ;   in Loop: Header=BB362_10 Depth=1
	s_or_b32 exec_lo, exec_lo, s6
	v_mov_b32_e32 v12, v25
	v_cmp_ne_u16_sdwa s5, v25, v13 src0_sel:BYTE_0 src1_sel:DWORD
	s_and_saveexec_b32 s6, s5
	s_cbranch_execz .LBB362_690
; %bb.683:                              ;   in Loop: Header=BB362_10 Depth=1
	v_cmp_ne_u16_sdwa s5, v25, v6 src0_sel:BYTE_0 src1_sel:DWORD
	v_bfrev_b32_e32 v109, 1
	s_and_saveexec_b32 s18, s5
	s_cbranch_execz .LBB362_689
; %bb.684:                              ;   in Loop: Header=BB362_10 Depth=1
	v_and_b32_e32 v26, 0x7f, v25
	v_mov_b32_e32 v109, 0x7f800001
	s_mov_b32 s19, exec_lo
	v_cmpx_ne_u32_e32 0x7f, v26
	s_cbranch_execz .LBB362_688
; %bb.685:                              ;   in Loop: Header=BB362_10 Depth=1
	v_lshrrev_b32_e32 v93, 3, v26
	v_cmp_gt_u32_e64 s5, 8, v26
	v_mov_b32_e32 v27, v13
	v_mov_b32_e32 v26, v12
	s_and_saveexec_b32 s20, s5
; %bb.686:                              ;   in Loop: Header=BB362_10 Depth=1
	v_and_b32_e32 v26, 7, v25
	v_ffbh_u32_e32 v26, v26
	v_min_u32_e32 v93, 32, v26
	v_subrev_nc_u32_e32 v26, 28, v93
	v_sub_nc_u32_e32 v93, 29, v93
	v_lshlrev_b64 v[26:27], v26, v[12:13]
; %bb.687:                              ;   in Loop: Header=BB362_10 Depth=1
	s_or_b32 exec_lo, exec_lo, s20
	v_lshlrev_b32_e32 v26, 20, v26
	v_lshlrev_b32_e32 v27, 24, v12
	v_lshl_add_u32 v93, v93, 23, 0x3c000000
	v_and_b32_e32 v26, 0x700000, v26
	v_and_b32_e32 v27, 0x80000000, v27
	v_or3_b32 v109, v26, v27, v93
.LBB362_688:                            ;   in Loop: Header=BB362_10 Depth=1
	s_or_b32 exec_lo, exec_lo, s19
.LBB362_689:                            ;   in Loop: Header=BB362_10 Depth=1
	s_or_b32 exec_lo, exec_lo, s18
.LBB362_690:                            ;   in Loop: Header=BB362_10 Depth=1
	s_or_b32 exec_lo, exec_lo, s6
	v_cmp_ne_u16_sdwa s5, v12, v13 src0_sel:BYTE_1 src1_sel:DWORD
	v_mov_b32_e32 v120, 0
	v_mov_b32_e32 v122, 0
	s_and_saveexec_b32 s6, s5
	s_cbranch_execz .LBB362_698
; %bb.691:                              ;   in Loop: Header=BB362_10 Depth=1
	v_cmp_ne_u16_sdwa s5, v12, v6 src0_sel:BYTE_1 src1_sel:DWORD
	v_bfrev_b32_e32 v122, 1
	s_and_saveexec_b32 s18, s5
	s_cbranch_execz .LBB362_697
; %bb.692:                              ;   in Loop: Header=BB362_10 Depth=1
	v_and_b32_sdwa v26, v11, v12 dst_sel:DWORD dst_unused:UNUSED_PAD src0_sel:DWORD src1_sel:BYTE_1
	v_mov_b32_e32 v122, 0x7f800001
	s_mov_b32 s19, exec_lo
	v_and_b32_e32 v106, 0x7f, v26
	v_cmpx_ne_u32_e32 0x7f, v106
	s_cbranch_execz .LBB362_696
; %bb.693:                              ;   in Loop: Header=BB362_10 Depth=1
	v_and_b32_e32 v26, 7, v26
	v_mov_b32_e32 v27, v13
	v_lshrrev_b32_e32 v93, 3, v106
	s_mov_b32 s20, exec_lo
	v_cmpx_gt_u32_e32 8, v106
; %bb.694:                              ;   in Loop: Header=BB362_10 Depth=1
	v_ffbh_u32_e32 v93, v26
	v_min_u32_e32 v93, 32, v93
	v_subrev_nc_u32_e32 v106, 28, v93
	v_sub_nc_u32_e32 v93, 29, v93
	v_lshlrev_b64 v[26:27], v106, v[26:27]
	v_and_b32_e32 v26, 7, v26
; %bb.695:                              ;   in Loop: Header=BB362_10 Depth=1
	s_or_b32 exec_lo, exec_lo, s20
	v_lshlrev_b32_e32 v12, 16, v12
	v_lshlrev_b32_e32 v26, 20, v26
	v_lshl_add_u32 v27, v93, 23, 0x3c000000
	v_and_b32_e32 v12, 0x80000000, v12
	v_or3_b32 v122, v26, v12, v27
.LBB362_696:                            ;   in Loop: Header=BB362_10 Depth=1
	s_or_b32 exec_lo, exec_lo, s19
.LBB362_697:                            ;   in Loop: Header=BB362_10 Depth=1
	s_or_b32 exec_lo, exec_lo, s18
.LBB362_698:                            ;   in Loop: Header=BB362_10 Depth=1
	s_or_b32 exec_lo, exec_lo, s6
	v_and_b32_sdwa v12, v25, v10 dst_sel:DWORD dst_unused:UNUSED_PAD src0_sel:WORD_1 src1_sel:DWORD
	s_mov_b32 s6, exec_lo
	v_cmpx_ne_u16_e32 0, v12
	s_cbranch_execz .LBB362_706
; %bb.699:                              ;   in Loop: Header=BB362_10 Depth=1
	v_bfrev_b32_e32 v120, 1
	s_mov_b32 s18, exec_lo
	v_cmpx_ne_u16_e32 0x80, v12
	s_cbranch_execz .LBB362_705
; %bb.700:                              ;   in Loop: Header=BB362_10 Depth=1
	v_bfe_u32 v26, v25, 16, 7
	v_mov_b32_e32 v120, 0x7f800001
	s_mov_b32 s19, exec_lo
	v_cmpx_ne_u32_e32 0x7f, v26
	s_cbranch_execz .LBB362_704
; %bb.701:                              ;   in Loop: Header=BB362_10 Depth=1
	v_and_b32_sdwa v12, v25, v53 dst_sel:DWORD dst_unused:UNUSED_PAD src0_sel:WORD_1 src1_sel:DWORD
	v_lshrrev_b32_e32 v93, 3, v26
	v_cmp_gt_u32_e64 s5, 8, v26
	v_mov_b32_e32 v27, v13
	v_mov_b32_e32 v26, v12
	s_and_saveexec_b32 s20, s5
; %bb.702:                              ;   in Loop: Header=BB362_10 Depth=1
	v_ffbh_u32_e32 v26, v12
	v_min_u32_e32 v93, 32, v26
	v_subrev_nc_u32_e32 v26, 28, v93
	v_sub_nc_u32_e32 v93, 29, v93
	v_lshlrev_b64 v[26:27], v26, v[12:13]
	v_and_b32_e32 v26, 7, v26
; %bb.703:                              ;   in Loop: Header=BB362_10 Depth=1
	s_or_b32 exec_lo, exec_lo, s20
	v_lshlrev_b32_sdwa v12, v2, v25 dst_sel:DWORD dst_unused:UNUSED_PAD src0_sel:DWORD src1_sel:WORD_1
	v_lshlrev_b32_e32 v26, 20, v26
	v_lshl_add_u32 v27, v93, 23, 0x3c000000
	v_and_b32_e32 v12, 0x80000000, v12
	v_or3_b32 v120, v26, v12, v27
.LBB362_704:                            ;   in Loop: Header=BB362_10 Depth=1
	s_or_b32 exec_lo, exec_lo, s19
.LBB362_705:                            ;   in Loop: Header=BB362_10 Depth=1
	s_or_b32 exec_lo, exec_lo, s18
.LBB362_706:                            ;   in Loop: Header=BB362_10 Depth=1
	s_or_b32 exec_lo, exec_lo, s6
	v_mov_b32_e32 v93, 0
	v_mov_b32_e32 v123, 0
	s_mov_b32 s6, exec_lo
	v_cmpx_lt_u64_e64 s[8:9], v[24:25]
	s_cbranch_execz .LBB362_714
; %bb.707:                              ;   in Loop: Header=BB362_10 Depth=1
	v_cmp_ne_u32_sdwa s5, v25, v6 src0_sel:BYTE_3 src1_sel:DWORD
	v_bfrev_b32_e32 v123, 1
	s_and_saveexec_b32 s18, s5
	s_cbranch_execz .LBB362_713
; %bb.708:                              ;   in Loop: Header=BB362_10 Depth=1
	v_bfe_u32 v26, v25, 24, 7
	v_mov_b32_e32 v123, 0x7f800001
	s_mov_b32 s19, exec_lo
	v_cmpx_ne_u32_e32 0x7f, v26
	s_cbranch_execz .LBB362_712
; %bb.709:                              ;   in Loop: Header=BB362_10 Depth=1
	v_and_b32_sdwa v12, v25, v53 dst_sel:DWORD dst_unused:UNUSED_PAD src0_sel:BYTE_3 src1_sel:DWORD
	v_lshrrev_b32_e32 v24, 3, v26
	v_cmp_gt_u32_e64 s5, 8, v26
	v_mov_b32_e32 v27, v13
	v_mov_b32_e32 v26, v12
	s_and_saveexec_b32 s20, s5
; %bb.710:                              ;   in Loop: Header=BB362_10 Depth=1
	v_ffbh_u32_e32 v24, v12
	v_min_u32_e32 v24, 32, v24
	v_subrev_nc_u32_e32 v26, 28, v24
	v_sub_nc_u32_e32 v24, 29, v24
	v_lshlrev_b64 v[26:27], v26, v[12:13]
	v_and_b32_e32 v26, 7, v26
; %bb.711:                              ;   in Loop: Header=BB362_10 Depth=1
	s_or_b32 exec_lo, exec_lo, s20
	v_lshlrev_b32_sdwa v12, v2, v25 dst_sel:DWORD dst_unused:UNUSED_PAD src0_sel:DWORD src1_sel:BYTE_3
	v_lshlrev_b32_e32 v25, 20, v26
	v_lshl_add_u32 v24, v24, 23, 0x3c000000
	v_and_b32_e32 v12, 0x80000000, v12
	v_or3_b32 v123, v25, v12, v24
.LBB362_712:                            ;   in Loop: Header=BB362_10 Depth=1
	s_or_b32 exec_lo, exec_lo, s19
.LBB362_713:                            ;   in Loop: Header=BB362_10 Depth=1
	s_or_b32 exec_lo, exec_lo, s18
.LBB362_714:                            ;   in Loop: Header=BB362_10 Depth=1
	s_or_b32 exec_lo, exec_lo, s6
	flat_load_dwordx2 v[16:17], v[16:17] offset:520
	s_waitcnt vmcnt(0) lgkmcnt(0)
	v_cmp_ne_u16_sdwa s5, v16, v13 src0_sel:BYTE_0 src1_sel:DWORD
	s_and_saveexec_b32 s6, s5
	s_cbranch_execz .LBB362_722
; %bb.715:                              ;   in Loop: Header=BB362_10 Depth=1
	v_cmp_ne_u16_sdwa s5, v16, v6 src0_sel:BYTE_0 src1_sel:DWORD
	v_bfrev_b32_e32 v93, 1
	s_and_saveexec_b32 s18, s5
	s_cbranch_execz .LBB362_721
; %bb.716:                              ;   in Loop: Header=BB362_10 Depth=1
	v_and_b32_e32 v24, 0x7f, v16
	v_mov_b32_e32 v93, 0x7f800001
	s_mov_b32 s19, exec_lo
	v_cmpx_ne_u32_e32 0x7f, v24
	s_cbranch_execz .LBB362_720
; %bb.717:                              ;   in Loop: Header=BB362_10 Depth=1
	v_lshrrev_b32_e32 v12, 3, v24
	v_cmp_gt_u32_e64 s5, 8, v24
	v_mov_b32_e32 v25, v17
	v_mov_b32_e32 v24, v16
	s_and_saveexec_b32 s20, s5
; %bb.718:                              ;   in Loop: Header=BB362_10 Depth=1
	v_and_b32_e32 v12, 7, v16
	v_ffbh_u32_e32 v12, v12
	v_min_u32_e32 v12, 32, v12
	v_subrev_nc_u32_e32 v24, 28, v12
	v_sub_nc_u32_e32 v12, 29, v12
	v_lshlrev_b64 v[24:25], v24, v[16:17]
; %bb.719:                              ;   in Loop: Header=BB362_10 Depth=1
	s_or_b32 exec_lo, exec_lo, s20
	v_lshlrev_b32_e32 v24, 20, v24
	v_lshlrev_b32_e32 v25, 24, v16
	v_lshl_add_u32 v12, v12, 23, 0x3c000000
	v_and_b32_e32 v24, 0x700000, v24
	v_and_b32_e32 v25, 0x80000000, v25
	v_or3_b32 v93, v24, v25, v12
.LBB362_720:                            ;   in Loop: Header=BB362_10 Depth=1
	s_or_b32 exec_lo, exec_lo, s19
.LBB362_721:                            ;   in Loop: Header=BB362_10 Depth=1
	s_or_b32 exec_lo, exec_lo, s18
.LBB362_722:                            ;   in Loop: Header=BB362_10 Depth=1
	s_or_b32 exec_lo, exec_lo, s6
	v_cmp_ne_u16_sdwa s5, v16, v13 src0_sel:BYTE_1 src1_sel:DWORD
	v_mov_b32_e32 v27, 0
	v_mov_b32_e32 v26, 0
	s_and_saveexec_b32 s6, s5
	s_cbranch_execz .LBB362_730
; %bb.723:                              ;   in Loop: Header=BB362_10 Depth=1
	v_cmp_ne_u16_sdwa s5, v16, v6 src0_sel:BYTE_1 src1_sel:DWORD
	v_bfrev_b32_e32 v26, 1
	s_and_saveexec_b32 s18, s5
	s_cbranch_execz .LBB362_729
; %bb.724:                              ;   in Loop: Header=BB362_10 Depth=1
	v_and_b32_sdwa v12, v11, v16 dst_sel:DWORD dst_unused:UNUSED_PAD src0_sel:DWORD src1_sel:BYTE_1
	v_mov_b32_e32 v26, 0x7f800001
	s_mov_b32 s19, exec_lo
	v_and_b32_e32 v24, 0x7f, v12
	v_cmpx_ne_u32_e32 0x7f, v24
	s_cbranch_execz .LBB362_728
; %bb.725:                              ;   in Loop: Header=BB362_10 Depth=1
	v_and_b32_e32 v12, 7, v12
	v_lshrrev_b32_e32 v26, 3, v24
	v_cmp_gt_u32_e64 s5, 8, v24
	v_mov_b32_e32 v25, v13
	v_mov_b32_e32 v24, v12
	s_and_saveexec_b32 s20, s5
; %bb.726:                              ;   in Loop: Header=BB362_10 Depth=1
	v_ffbh_u32_e32 v24, v12
	v_min_u32_e32 v26, 32, v24
	v_subrev_nc_u32_e32 v24, 28, v26
	v_sub_nc_u32_e32 v26, 29, v26
	v_lshlrev_b64 v[24:25], v24, v[12:13]
	v_and_b32_e32 v24, 7, v24
; %bb.727:                              ;   in Loop: Header=BB362_10 Depth=1
	s_or_b32 exec_lo, exec_lo, s20
	v_lshlrev_b32_e32 v12, 16, v16
	v_lshlrev_b32_e32 v24, 20, v24
	v_lshl_add_u32 v25, v26, 23, 0x3c000000
	v_and_b32_e32 v12, 0x80000000, v12
	v_or3_b32 v26, v24, v12, v25
.LBB362_728:                            ;   in Loop: Header=BB362_10 Depth=1
	s_or_b32 exec_lo, exec_lo, s19
.LBB362_729:                            ;   in Loop: Header=BB362_10 Depth=1
	s_or_b32 exec_lo, exec_lo, s18
.LBB362_730:                            ;   in Loop: Header=BB362_10 Depth=1
	s_or_b32 exec_lo, exec_lo, s6
	v_and_b32_sdwa v12, v16, v10 dst_sel:DWORD dst_unused:UNUSED_PAD src0_sel:WORD_1 src1_sel:DWORD
	s_mov_b32 s6, exec_lo
	v_cmpx_ne_u16_e32 0, v12
	s_cbranch_execz .LBB362_738
; %bb.731:                              ;   in Loop: Header=BB362_10 Depth=1
	v_bfrev_b32_e32 v27, 1
	s_mov_b32 s18, exec_lo
	v_cmpx_ne_u16_e32 0x80, v12
	s_cbranch_execz .LBB362_737
; %bb.732:                              ;   in Loop: Header=BB362_10 Depth=1
	v_bfe_u32 v24, v16, 16, 7
	v_mov_b32_e32 v27, 0x7f800001
	s_mov_b32 s19, exec_lo
	v_cmpx_ne_u32_e32 0x7f, v24
	s_cbranch_execz .LBB362_736
; %bb.733:                              ;   in Loop: Header=BB362_10 Depth=1
	v_and_b32_sdwa v12, v16, v53 dst_sel:DWORD dst_unused:UNUSED_PAD src0_sel:WORD_1 src1_sel:DWORD
	v_lshrrev_b32_e32 v27, 3, v24
	v_cmp_gt_u32_e64 s5, 8, v24
	v_mov_b32_e32 v25, v13
	v_mov_b32_e32 v24, v12
	s_and_saveexec_b32 s20, s5
; %bb.734:                              ;   in Loop: Header=BB362_10 Depth=1
	v_ffbh_u32_e32 v24, v12
	v_min_u32_e32 v27, 32, v24
	v_subrev_nc_u32_e32 v24, 28, v27
	v_sub_nc_u32_e32 v27, 29, v27
	v_lshlrev_b64 v[24:25], v24, v[12:13]
	v_and_b32_e32 v24, 7, v24
; %bb.735:                              ;   in Loop: Header=BB362_10 Depth=1
	s_or_b32 exec_lo, exec_lo, s20
	v_lshlrev_b32_sdwa v12, v2, v16 dst_sel:DWORD dst_unused:UNUSED_PAD src0_sel:DWORD src1_sel:WORD_1
	v_lshlrev_b32_e32 v24, 20, v24
	v_lshl_add_u32 v25, v27, 23, 0x3c000000
	v_and_b32_e32 v12, 0x80000000, v12
	v_or3_b32 v27, v24, v12, v25
.LBB362_736:                            ;   in Loop: Header=BB362_10 Depth=1
	s_or_b32 exec_lo, exec_lo, s19
.LBB362_737:                            ;   in Loop: Header=BB362_10 Depth=1
	s_or_b32 exec_lo, exec_lo, s18
.LBB362_738:                            ;   in Loop: Header=BB362_10 Depth=1
	s_or_b32 exec_lo, exec_lo, s6
	v_mov_b32_e32 v107, 0
	v_mov_b32_e32 v106, 0
	s_mov_b32 s6, exec_lo
	v_cmpx_lt_u32_e32 0xffffff, v16
	s_cbranch_execz .LBB362_746
; %bb.739:                              ;   in Loop: Header=BB362_10 Depth=1
	v_cmp_ne_u32_sdwa s5, v16, v6 src0_sel:BYTE_3 src1_sel:DWORD
	v_bfrev_b32_e32 v106, 1
	s_and_saveexec_b32 s18, s5
	s_cbranch_execz .LBB362_745
; %bb.740:                              ;   in Loop: Header=BB362_10 Depth=1
	v_bfe_u32 v24, v16, 24, 7
	v_mov_b32_e32 v106, 0x7f800001
	s_mov_b32 s19, exec_lo
	v_cmpx_ne_u32_e32 0x7f, v24
	s_cbranch_execz .LBB362_744
; %bb.741:                              ;   in Loop: Header=BB362_10 Depth=1
	v_and_b32_sdwa v12, v16, v53 dst_sel:DWORD dst_unused:UNUSED_PAD src0_sel:BYTE_3 src1_sel:DWORD
	v_lshrrev_b32_e32 v106, 3, v24
	v_cmp_gt_u32_e64 s5, 8, v24
	v_mov_b32_e32 v25, v13
	v_mov_b32_e32 v24, v12
	s_and_saveexec_b32 s20, s5
; %bb.742:                              ;   in Loop: Header=BB362_10 Depth=1
	v_ffbh_u32_e32 v24, v12
	v_min_u32_e32 v106, 32, v24
	v_subrev_nc_u32_e32 v24, 28, v106
	v_sub_nc_u32_e32 v106, 29, v106
	v_lshlrev_b64 v[24:25], v24, v[12:13]
	v_and_b32_e32 v24, 7, v24
; %bb.743:                              ;   in Loop: Header=BB362_10 Depth=1
	s_or_b32 exec_lo, exec_lo, s20
	v_lshlrev_b32_sdwa v12, v2, v16 dst_sel:DWORD dst_unused:UNUSED_PAD src0_sel:DWORD src1_sel:BYTE_3
	v_lshlrev_b32_e32 v24, 20, v24
	v_lshl_add_u32 v25, v106, 23, 0x3c000000
	v_and_b32_e32 v12, 0x80000000, v12
	v_or3_b32 v106, v24, v12, v25
.LBB362_744:                            ;   in Loop: Header=BB362_10 Depth=1
	s_or_b32 exec_lo, exec_lo, s19
.LBB362_745:                            ;   in Loop: Header=BB362_10 Depth=1
	s_or_b32 exec_lo, exec_lo, s18
.LBB362_746:                            ;   in Loop: Header=BB362_10 Depth=1
	s_or_b32 exec_lo, exec_lo, s6
	v_mov_b32_e32 v12, v17
	v_cmp_ne_u16_sdwa s5, v17, v13 src0_sel:BYTE_0 src1_sel:DWORD
	s_and_saveexec_b32 s6, s5
	s_cbranch_execz .LBB362_754
; %bb.747:                              ;   in Loop: Header=BB362_10 Depth=1
	v_cmp_ne_u16_sdwa s5, v17, v6 src0_sel:BYTE_0 src1_sel:DWORD
	v_bfrev_b32_e32 v107, 1
	s_and_saveexec_b32 s18, s5
	s_cbranch_execz .LBB362_753
; %bb.748:                              ;   in Loop: Header=BB362_10 Depth=1
	v_and_b32_e32 v24, 0x7f, v17
	v_mov_b32_e32 v107, 0x7f800001
	s_mov_b32 s19, exec_lo
	v_cmpx_ne_u32_e32 0x7f, v24
	s_cbranch_execz .LBB362_752
; %bb.749:                              ;   in Loop: Header=BB362_10 Depth=1
	v_lshrrev_b32_e32 v107, 3, v24
	v_cmp_gt_u32_e64 s5, 8, v24
	v_mov_b32_e32 v25, v13
	v_mov_b32_e32 v24, v12
	s_and_saveexec_b32 s20, s5
; %bb.750:                              ;   in Loop: Header=BB362_10 Depth=1
	v_and_b32_e32 v24, 7, v17
	v_ffbh_u32_e32 v24, v24
	v_min_u32_e32 v107, 32, v24
	v_subrev_nc_u32_e32 v24, 28, v107
	v_sub_nc_u32_e32 v107, 29, v107
	v_lshlrev_b64 v[24:25], v24, v[12:13]
; %bb.751:                              ;   in Loop: Header=BB362_10 Depth=1
	s_or_b32 exec_lo, exec_lo, s20
	v_lshlrev_b32_e32 v24, 20, v24
	v_lshlrev_b32_e32 v25, 24, v12
	v_lshl_add_u32 v107, v107, 23, 0x3c000000
	v_and_b32_e32 v24, 0x700000, v24
	v_and_b32_e32 v25, 0x80000000, v25
	v_or3_b32 v107, v24, v25, v107
.LBB362_752:                            ;   in Loop: Header=BB362_10 Depth=1
	s_or_b32 exec_lo, exec_lo, s19
.LBB362_753:                            ;   in Loop: Header=BB362_10 Depth=1
	s_or_b32 exec_lo, exec_lo, s18
.LBB362_754:                            ;   in Loop: Header=BB362_10 Depth=1
	s_or_b32 exec_lo, exec_lo, s6
	v_cmp_ne_u16_sdwa s5, v12, v13 src0_sel:BYTE_1 src1_sel:DWORD
	v_mov_b32_e32 v110, 0
	v_mov_b32_e32 v111, 0
	s_and_saveexec_b32 s6, s5
	s_cbranch_execz .LBB362_762
; %bb.755:                              ;   in Loop: Header=BB362_10 Depth=1
	v_cmp_ne_u16_sdwa s5, v12, v6 src0_sel:BYTE_1 src1_sel:DWORD
	v_bfrev_b32_e32 v111, 1
	s_and_saveexec_b32 s18, s5
	s_cbranch_execz .LBB362_761
; %bb.756:                              ;   in Loop: Header=BB362_10 Depth=1
	v_and_b32_sdwa v24, v11, v12 dst_sel:DWORD dst_unused:UNUSED_PAD src0_sel:DWORD src1_sel:BYTE_1
	v_mov_b32_e32 v111, 0x7f800001
	s_mov_b32 s19, exec_lo
	v_and_b32_e32 v121, 0x7f, v24
	v_cmpx_ne_u32_e32 0x7f, v121
	s_cbranch_execz .LBB362_760
; %bb.757:                              ;   in Loop: Header=BB362_10 Depth=1
	v_and_b32_e32 v24, 7, v24
	v_mov_b32_e32 v25, v13
	v_lshrrev_b32_e32 v111, 3, v121
	s_mov_b32 s20, exec_lo
	v_cmpx_gt_u32_e32 8, v121
; %bb.758:                              ;   in Loop: Header=BB362_10 Depth=1
	v_ffbh_u32_e32 v111, v24
	v_min_u32_e32 v111, 32, v111
	v_subrev_nc_u32_e32 v121, 28, v111
	v_sub_nc_u32_e32 v111, 29, v111
	v_lshlrev_b64 v[24:25], v121, v[24:25]
	v_and_b32_e32 v24, 7, v24
; %bb.759:                              ;   in Loop: Header=BB362_10 Depth=1
	s_or_b32 exec_lo, exec_lo, s20
	v_lshlrev_b32_e32 v12, 16, v12
	v_lshlrev_b32_e32 v24, 20, v24
	v_lshl_add_u32 v25, v111, 23, 0x3c000000
	v_and_b32_e32 v12, 0x80000000, v12
	v_or3_b32 v111, v24, v12, v25
.LBB362_760:                            ;   in Loop: Header=BB362_10 Depth=1
	s_or_b32 exec_lo, exec_lo, s19
.LBB362_761:                            ;   in Loop: Header=BB362_10 Depth=1
	s_or_b32 exec_lo, exec_lo, s18
.LBB362_762:                            ;   in Loop: Header=BB362_10 Depth=1
	s_or_b32 exec_lo, exec_lo, s6
	v_and_b32_sdwa v12, v17, v10 dst_sel:DWORD dst_unused:UNUSED_PAD src0_sel:WORD_1 src1_sel:DWORD
	s_mov_b32 s6, exec_lo
	v_cmpx_ne_u16_e32 0, v12
	s_cbranch_execz .LBB362_770
; %bb.763:                              ;   in Loop: Header=BB362_10 Depth=1
	v_bfrev_b32_e32 v110, 1
	s_mov_b32 s18, exec_lo
	v_cmpx_ne_u16_e32 0x80, v12
	s_cbranch_execz .LBB362_769
; %bb.764:                              ;   in Loop: Header=BB362_10 Depth=1
	v_bfe_u32 v24, v17, 16, 7
	v_mov_b32_e32 v110, 0x7f800001
	s_mov_b32 s19, exec_lo
	v_cmpx_ne_u32_e32 0x7f, v24
	s_cbranch_execz .LBB362_768
; %bb.765:                              ;   in Loop: Header=BB362_10 Depth=1
	v_and_b32_sdwa v12, v17, v53 dst_sel:DWORD dst_unused:UNUSED_PAD src0_sel:WORD_1 src1_sel:DWORD
	v_lshrrev_b32_e32 v110, 3, v24
	v_cmp_gt_u32_e64 s5, 8, v24
	v_mov_b32_e32 v25, v13
	v_mov_b32_e32 v24, v12
	s_and_saveexec_b32 s20, s5
; %bb.766:                              ;   in Loop: Header=BB362_10 Depth=1
	v_ffbh_u32_e32 v24, v12
	v_min_u32_e32 v110, 32, v24
	v_subrev_nc_u32_e32 v24, 28, v110
	v_sub_nc_u32_e32 v110, 29, v110
	v_lshlrev_b64 v[24:25], v24, v[12:13]
	v_and_b32_e32 v24, 7, v24
; %bb.767:                              ;   in Loop: Header=BB362_10 Depth=1
	s_or_b32 exec_lo, exec_lo, s20
	v_lshlrev_b32_sdwa v12, v2, v17 dst_sel:DWORD dst_unused:UNUSED_PAD src0_sel:DWORD src1_sel:WORD_1
	v_lshlrev_b32_e32 v24, 20, v24
	v_lshl_add_u32 v25, v110, 23, 0x3c000000
	v_and_b32_e32 v12, 0x80000000, v12
	v_or3_b32 v110, v24, v12, v25
.LBB362_768:                            ;   in Loop: Header=BB362_10 Depth=1
	s_or_b32 exec_lo, exec_lo, s19
.LBB362_769:                            ;   in Loop: Header=BB362_10 Depth=1
	s_or_b32 exec_lo, exec_lo, s18
.LBB362_770:                            ;   in Loop: Header=BB362_10 Depth=1
	s_or_b32 exec_lo, exec_lo, s6
	v_mov_b32_e32 v121, 0
	s_mov_b32 s6, exec_lo
	v_cmpx_lt_u64_e64 s[8:9], v[16:17]
	s_cbranch_execz .LBB362_9
; %bb.771:                              ;   in Loop: Header=BB362_10 Depth=1
	v_cmp_ne_u32_sdwa s5, v17, v6 src0_sel:BYTE_3 src1_sel:DWORD
	v_bfrev_b32_e32 v121, 1
	s_and_saveexec_b32 s18, s5
	s_cbranch_execz .LBB362_8
; %bb.772:                              ;   in Loop: Header=BB362_10 Depth=1
	v_bfe_u32 v24, v17, 24, 7
	v_mov_b32_e32 v121, 0x7f800001
	s_mov_b32 s19, exec_lo
	v_cmpx_ne_u32_e32 0x7f, v24
	s_cbranch_execz .LBB362_7
; %bb.773:                              ;   in Loop: Header=BB362_10 Depth=1
	v_and_b32_sdwa v12, v17, v53 dst_sel:DWORD dst_unused:UNUSED_PAD src0_sel:BYTE_3 src1_sel:DWORD
	v_lshrrev_b32_e32 v16, 3, v24
	v_cmp_gt_u32_e64 s5, 8, v24
	v_mov_b32_e32 v25, v13
	v_mov_b32_e32 v24, v12
	s_and_saveexec_b32 s20, s5
	s_cbranch_execz .LBB362_6
; %bb.774:                              ;   in Loop: Header=BB362_10 Depth=1
	v_ffbh_u32_e32 v16, v12
	v_min_u32_e32 v16, 32, v16
	v_subrev_nc_u32_e32 v24, 28, v16
	v_sub_nc_u32_e32 v16, 29, v16
	v_lshlrev_b64 v[24:25], v24, v[12:13]
	v_and_b32_e32 v24, 7, v24
	s_branch .LBB362_6
.LBB362_775:
	s_or_b32 exec_lo, exec_lo, s17
	s_clause 0xa
	buffer_load_dword v32, off, s[0:3], s32 offset:568
	buffer_load_dword v68, off, s[0:3], s32 offset:572
	;; [unrolled: 1-line block ×11, first 2 shown]
.LBB362_776:
	s_or_b32 exec_lo, exec_lo, s15
	v_mbcnt_lo_u32_b32 v0, -1, 0
	v_max_f32_e32 v4, v30, v30
	s_lshr_b32 s8, s7, 16
	v_xor_b32_e32 v1, 16, v0
	v_xor_b32_e32 v3, 8, v0
	v_cmp_gt_i32_e32 vcc_lo, 32, v1
	v_cndmask_b32_e32 v1, v0, v1, vcc_lo
	v_cmp_gt_i32_e32 vcc_lo, 32, v3
	v_lshlrev_b32_e32 v1, 2, v1
	v_cndmask_b32_e32 v3, v0, v3, vcc_lo
	ds_bpermute_b32 v2, v1, v30
	s_waitcnt lgkmcnt(0)
	v_max_f32_e32 v5, v2, v2
	v_lshlrev_b32_e32 v2, 2, v3
	v_max_f32_e32 v4, v4, v5
	v_xor_b32_e32 v5, 4, v0
	ds_bpermute_b32 v3, v2, v4
	v_cmp_gt_i32_e32 vcc_lo, 32, v5
	v_cndmask_b32_e32 v5, v0, v5, vcc_lo
	s_waitcnt lgkmcnt(0)
	v_max_f32_e32 v6, v3, v3
	v_lshlrev_b32_e32 v3, 2, v5
	v_max_f32_e32 v4, v4, v6
	v_xor_b32_e32 v6, 2, v0
	ds_bpermute_b32 v5, v3, v4
	v_cmp_gt_i32_e32 vcc_lo, 32, v6
	v_cndmask_b32_e32 v6, v0, v6, vcc_lo
	v_lshlrev_b32_e32 v11, 2, v6
	v_xor_b32_e32 v6, 1, v0
	v_cmp_gt_i32_e32 vcc_lo, 32, v6
	s_waitcnt lgkmcnt(0)
	v_max_f32_e32 v5, v5, v5
	v_cndmask_b32_e32 v6, v0, v6, vcc_lo
	s_waitcnt vmcnt(8)
	v_cmp_eq_u32_e32 vcc_lo, 0, v52
	v_max_f32_e32 v4, v4, v5
	v_lshlrev_b32_e32 v14, 2, v6
	ds_bpermute_b32 v5, v11, v4
	s_waitcnt lgkmcnt(0)
	v_max_f32_e32 v5, v5, v5
	v_max_f32_e32 v0, v4, v5
	v_lshlrev_b32_e32 v4, 2, v68
	ds_bpermute_b32 v5, v14, v0
	s_and_saveexec_b32 s5, vcc_lo
	s_cbranch_execz .LBB362_778
; %bb.777:
	s_waitcnt lgkmcnt(0)
	v_max_f32_e32 v5, v5, v5
	v_max_f32_e32 v0, v0, v0
	;; [unrolled: 1-line block ×3, first 2 shown]
	ds_write_b32 v4, v0 offset:192
.LBB362_778:
	s_or_b32 exec_lo, exec_lo, s5
	v_cmp_gt_u32_e64 s5, 4, v52
	v_mov_b32_e32 v0, 0xff7fffff
	s_waitcnt vmcnt(0) lgkmcnt(0)
	s_waitcnt_vscnt null, 0x0
	s_barrier
	buffer_gl0_inv
	s_and_saveexec_b32 s6, s5
; %bb.779:
	ds_read_b32 v0, v12 offset:192
; %bb.780:
	s_or_b32 exec_lo, exec_lo, s6
	s_waitcnt lgkmcnt(0)
	ds_bpermute_b32 v5, v11, v0
	v_max_f32_e32 v0, v0, v0
	v_mov_b32_e32 v6, 0
	s_waitcnt lgkmcnt(0)
	v_max_f32_e32 v5, v5, v5
	v_max_f32_e32 v0, v0, v5
	ds_bpermute_b32 v5, v14, v0
	s_waitcnt lgkmcnt(0)
	v_max_f32_e32 v5, v5, v5
	v_max_f32_e32 v0, v0, v5
	ds_bpermute_b32 v5, v6, v0
	buffer_load_dword v0, off, s[0:3], s32 offset:192 ; 4-byte Folded Reload
	s_waitcnt vmcnt(0)
	v_lshlrev_b32_e32 v0, 5, v0
	v_min_i32_e32 v0, v0, v29
	v_cmp_lt_i32_e64 s6, v32, v0
	s_and_saveexec_b32 s9, s6
	s_cbranch_execz .LBB362_784
; %bb.781:
	s_getpc_b64 s[18:19]
	s_add_u32 s18, s18, llvm.amdgcn.dynlds.offset.table@rel32@lo+4
	s_addc_u32 s19, s19, llvm.amdgcn.dynlds.offset.table@rel32@hi+12
	s_ashr_i32 s17, s16, 31
	v_mov_b32_e32 v6, 0
	s_lshl_b64 s[20:21], s[16:17], 2
	v_mov_b32_e32 v8, v32
	s_add_u32 s18, s18, s20
	s_addc_u32 s19, s19, s21
	s_mov_b32 s15, 0
	s_load_dword s7, s[18:19], 0x0
	s_waitcnt lgkmcnt(0)
	v_lshl_add_u32 v7, v32, 2, s7
	.p2align	6
.LBB362_782:                            ; =>This Inner Loop Header: Depth=1
	ds_read_b32 v9, v7
	v_add_nc_u32_e32 v8, 0x80, v8
	v_cmp_ge_i32_e64 s7, v8, v0
	s_or_b32 s15, s7, s15
	s_waitcnt lgkmcnt(0)
	v_sub_f32_e32 v9, v9, v5
	v_mul_f32_e32 v9, 0x3fb8aa3b, v9
	v_exp_f32_e32 v9, v9
	ds_write_b32 v7, v9
	v_add_f32_e32 v6, v6, v9
	v_add_nc_u32_e32 v7, 0x200, v7
	s_andn2_b32 exec_lo, exec_lo, s15
	s_cbranch_execnz .LBB362_782
; %bb.783:
	s_or_b32 exec_lo, exec_lo, s15
.LBB362_784:
	s_or_b32 exec_lo, exec_lo, s9
	ds_bpermute_b32 v1, v1, v6
	s_waitcnt lgkmcnt(0)
	v_add_f32_e32 v1, v6, v1
	ds_bpermute_b32 v2, v2, v1
	s_waitcnt lgkmcnt(0)
	v_add_f32_e32 v1, v1, v2
	;; [unrolled: 3-line block ×5, first 2 shown]
	s_and_saveexec_b32 s7, vcc_lo
; %bb.785:
	ds_write_b32 v4, v1 offset:208
; %bb.786:
	s_or_b32 exec_lo, exec_lo, s7
	s_waitcnt lgkmcnt(0)
	s_barrier
	buffer_gl0_inv
	s_and_saveexec_b32 s7, s5
; %bb.787:
	ds_read_b32 v1, v12 offset:208
; %bb.788:
	s_or_b32 exec_lo, exec_lo, s7
	s_waitcnt lgkmcnt(0)
	ds_bpermute_b32 v2, v11, v1
	s_waitcnt lgkmcnt(0)
	v_add_f32_e32 v1, v1, v2
	ds_bpermute_b32 v2, v14, v1
	s_waitcnt lgkmcnt(0)
	v_add_f32_e32 v1, v1, v2
	v_mov_b32_e32 v2, 0
	ds_bpermute_b32 v1, v2, v1
	s_and_saveexec_b32 s5, s6
	s_cbranch_execz .LBB362_791
; %bb.789:
	s_waitcnt lgkmcnt(0)
	v_add_f32_e32 v2, 0x358637bd, v1
	s_getpc_b64 s[6:7]
	s_add_u32 s6, s6, llvm.amdgcn.dynlds.offset.table@rel32@lo+4
	s_addc_u32 s7, s7, llvm.amdgcn.dynlds.offset.table@rel32@hi+12
	s_ashr_i32 s17, s16, 31
	s_lshl_b64 s[18:19], s[16:17], 2
	v_div_scale_f32 v1, null, v2, v2, 1.0
	v_div_scale_f32 v5, vcc_lo, 1.0, v2, 1.0
	s_add_u32 s6, s6, s18
	v_rcp_f32_e32 v3, v1
	s_addc_u32 s7, s7, s19
	s_load_dword s6, s[6:7], 0x0
	v_fma_f32 v4, -v1, v3, 1.0
	v_fmac_f32_e32 v3, v4, v3
	v_mul_f32_e32 v4, v5, v3
	v_fma_f32 v6, -v1, v4, v5
	v_fmac_f32_e32 v4, v6, v3
	v_fma_f32 v1, -v1, v4, v5
	v_div_fmas_f32 v3, v1, v3, v4
	s_waitcnt lgkmcnt(0)
	v_lshl_add_u32 v1, v32, 2, s6
	s_mov_b32 s6, 0
	v_div_fixup_f32 v2, v3, v2, 1.0
	v_mov_b32_e32 v3, v32
.LBB362_790:                            ; =>This Inner Loop Header: Depth=1
	ds_read_b32 v4, v1
	v_add_nc_u32_e32 v3, 0x80, v3
	v_cmp_ge_i32_e32 vcc_lo, v3, v0
	s_or_b32 s6, vcc_lo, s6
	s_waitcnt lgkmcnt(0)
	v_mul_f32_e32 v4, v2, v4
	ds_write_b32 v1, v4
	v_add_nc_u32_e32 v1, 0x200, v1
	s_andn2_b32 exec_lo, exec_lo, s6
	s_cbranch_execnz .LBB362_790
.LBB362_791:
	s_or_b32 exec_lo, exec_lo, s5
	s_waitcnt lgkmcnt(0)
	s_barrier
	buffer_gl0_inv
	s_and_saveexec_b32 s5, s4
	s_xor_b32 s4, exec_lo, s5
; %bb.792:
                                        ; implicit-def: $vgpr0
                                        ; kill: killed $vgpr0
	s_ashr_i32 s17, s16, 31
                                        ; implicit-def: $vgpr0
                                        ; kill: killed $vgpr0
                                        ; implicit-def: $vgpr29
                                        ; implicit-def: $vgpr24
                                        ; implicit-def: $vgpr18
                                        ; implicit-def: $vgpr22_vgpr23
                                        ; implicit-def: $vgpr10
                                        ; implicit-def: $vgpr15_vgpr16
                                        ; implicit-def: $vgpr0
                                        ; kill: killed $vgpr0
                                        ; implicit-def: $vgpr0
                                        ; kill: killed $vgpr0
	;; [unrolled: 2-line block ×4, first 2 shown]
; %bb.793:
	s_or_saveexec_b32 s5, s4
	v_mov_b32_e32 v4, s16
	v_mov_b32_e32 v48, 0
	;; [unrolled: 1-line block ×3, first 2 shown]
	v_and_b32_e32 v53, 3, v32
	v_mov_b32_e32 v51, 0
	v_mov_b32_e32 v50, 0
	;; [unrolled: 1-line block ×11, first 2 shown]
	s_xor_b32 exec_lo, exec_lo, s5
	s_cbranch_execz .LBB362_1589
; %bb.794:
	buffer_store_dword v11, off, s[0:3], s32 offset:252 ; 4-byte Folded Spill
	buffer_store_dword v14, off, s[0:3], s32 offset:248 ; 4-byte Folded Spill
	s_clause 0x1
	buffer_load_dword v2, off, s[0:3], s32 offset:588
	buffer_load_dword v3, off, s[0:3], s32 offset:592
	v_lshlrev_b32_e32 v0, 3, v32
	s_getpc_b64 s[6:7]
	s_add_u32 s6, s6, llvm.amdgcn.dynlds.offset.table@rel32@lo+4
	s_addc_u32 s7, s7, llvm.amdgcn.dynlds.offset.table@rel32@hi+12
	s_ashr_i32 s17, s16, 31
	flat_load_dword v52, v[22:23]
	s_lshl_b64 s[18:19], s[16:17], 2
	v_and_b32_e32 v1, 24, v0
	v_and_b32_e32 v0, 0xf8, v0
	s_add_u32 s6, s6, s18
	s_addc_u32 s7, s7, s19
	v_and_b32_e32 v4, 0x7c, v10
	s_load_dword s4, s[6:7], 0x0
	v_mov_b32_e32 v12, 0
	v_mov_b32_e32 v55, 0x80
	;; [unrolled: 1-line block ×15, first 2 shown]
	s_mov_b32 s6, -1
	s_mov_b32 s7, 0xffffff
	s_mov_b32 s9, 0
	s_waitcnt vmcnt(2)
	v_add_co_u32 v2, vcc_lo, v24, v2
	s_waitcnt vmcnt(1)
	v_add_co_ci_u32_e64 v3, null, v18, v3, vcc_lo
	v_add_co_u32 v2, vcc_lo, v2, v0
	v_add_co_ci_u32_e64 v3, null, 0, v3, vcc_lo
	v_lshlrev_b32_e32 v0, 5, v53
	buffer_store_dword v2, off, s[0:3], s32 offset:240 ; 4-byte Folded Spill
	buffer_store_dword v3, off, s[0:3], s32 offset:244 ; 4-byte Folded Spill
	;; [unrolled: 1-line block ×3, first 2 shown]
	buffer_load_dword v5, off, s[0:3], s32 offset:584 ; 4-byte Folded Reload
	v_add_co_u32 v2, vcc_lo, v4, v15
	v_add_co_ci_u32_e64 v3, null, 0, v16, vcc_lo
	v_lshlrev_b32_e32 v4, 5, v68
	v_lshl_or_b32 v0, v68, 7, v0
	v_or3_b32 v53, v4, v1, 7
	s_waitcnt lgkmcnt(0)
	v_add_nc_u32_e32 v54, s4, v0
	s_waitcnt vmcnt(0)
	v_add_co_u32 v15, vcc_lo, v5, v2
	buffer_load_dword v2, off, s[0:3], s32 offset:580 ; 4-byte Folded Reload
	s_waitcnt vmcnt(0)
	v_add_co_ci_u32_e64 v16, null, v2, v3, vcc_lo
	s_branch .LBB362_796
.LBB362_795:                            ;   in Loop: Header=BB362_796 Depth=1
	s_or_b32 exec_lo, exec_lo, s4
	v_bfe_u32 v82, v6, 16, 1
	v_or_b32_e32 v83, 0x400000, v6
	v_cmp_u_f32_e32 vcc_lo, v6, v6
	v_lshlrev_b32_e32 v81, 16, v81
	v_lshlrev_b32_e32 v70, 16, v70
	v_add3_u32 v82, v82, v6, 0x7fff
	v_bfe_u32 v6, v7, 16, 1
	v_lshlrev_b32_e32 v13, 16, v13
	v_lshlrev_b32_e32 v14, 16, v14
	;; [unrolled: 1-line block ×3, first 2 shown]
	v_cndmask_b32_e32 v82, v82, v83, vcc_lo
	v_add3_u32 v6, v6, v7, 0x7fff
	v_or_b32_e32 v83, 0x400000, v7
	v_cmp_u_f32_e32 vcc_lo, v7, v7
	v_lshlrev_b32_e32 v17, 16, v17
	v_lshlrev_b32_e32 v32, 16, v32
	;; [unrolled: 1-line block ×4, first 2 shown]
	v_cndmask_b32_e32 v7, v6, v83, vcc_lo
	v_bfe_u32 v6, v8, 16, 1
	v_or_b32_e32 v83, 0x400000, v8
	v_cmp_u_f32_e32 vcc_lo, v8, v8
	v_lshlrev_b32_e32 v1, 16, v1
	v_and_b32_e32 v7, 0xffff0000, v7
	v_add3_u32 v6, v6, v8, 0x7fff
	v_bfe_u32 v8, v9, 16, 1
	v_lshlrev_b32_e32 v0, 16, v0
	v_add_nc_u32_e32 v68, 4, v68
	v_mul_f32_e32 v13, v7, v13
	v_cndmask_b32_e32 v6, v6, v83, vcc_lo
	v_add3_u32 v8, v8, v9, 0x7fff
	v_or_b32_e32 v83, 0x400000, v9
	v_cmp_u_f32_e32 vcc_lo, v9, v9
	v_bfe_u32 v9, v2, 16, 1
	v_add_nc_u32_e32 v53, 0x80, v53
	v_add_nc_u32_e32 v54, 0x200, v54
	v_cndmask_b32_e32 v8, v8, v83, vcc_lo
	v_add3_u32 v9, v9, v2, 0x7fff
	v_or_b32_e32 v83, 0x400000, v2
	v_cmp_u_f32_e32 vcc_lo, v2, v2
	v_cndmask_b32_e32 v2, v9, v83, vcc_lo
	v_bfe_u32 v9, v3, 16, 1
	v_or_b32_e32 v83, 0x400000, v3
	v_cmp_u_f32_e32 vcc_lo, v3, v3
	v_add3_u32 v9, v9, v3, 0x7fff
	v_cndmask_b32_e32 v3, v9, v83, vcc_lo
	v_bfe_u32 v9, v4, 16, 1
	v_or_b32_e32 v83, 0x400000, v4
	v_cmp_u_f32_e32 vcc_lo, v4, v4
	v_and_b32_e32 v3, 0xffff0000, v3
	v_add3_u32 v9, v9, v4, 0x7fff
	v_mul_f32_e32 v1, v3, v1
	v_cndmask_b32_e32 v4, v9, v83, vcc_lo
	v_bfe_u32 v9, v5, 16, 1
	v_or_b32_e32 v83, 0x400000, v5
	v_cmp_u_f32_e32 vcc_lo, v5, v5
	v_and_b32_e32 v4, 0xffff0000, v4
	v_add3_u32 v9, v9, v5, 0x7fff
	v_lshlrev_b32_e32 v5, 16, v71
	v_mul_f32_e32 v70, v4, v70
	v_cndmask_b32_e32 v83, v9, v83, vcc_lo
	v_mul_f32_e32 v5, v7, v5
	v_mul_f32_e32 v25, v4, v25
	v_bfe_u32 v9, v5, 16, 1
	v_or_b32_e32 v71, 0x400000, v5
	v_cmp_u_f32_e32 vcc_lo, v5, v5
	v_add3_u32 v9, v9, v5, 0x7fff
	v_lshlrev_b32_e32 v5, 16, v80
	v_cndmask_b32_e32 v71, v9, v71, vcc_lo
	v_and_b32_e32 v9, 0xffff0000, v82
	v_and_b32_e32 v71, 0xffff0000, v71
	v_mul_f32_e32 v5, v9, v5
	v_mul_f32_e32 v14, v9, v14
	v_bfe_u32 v80, v5, 16, 1
	v_or_b32_e32 v82, 0x400000, v5
	v_cmp_u_f32_e32 vcc_lo, v5, v5
	v_add3_u32 v80, v80, v5, 0x7fff
	v_and_b32_e32 v5, 0xffff0000, v8
	v_lshlrev_b32_e32 v8, 16, v67
	v_cndmask_b32_e32 v80, v80, v82, vcc_lo
	v_mul_f32_e32 v26, v5, v26
	v_mul_f32_e32 v8, v5, v8
	v_and_b32_e32 v80, 0xffff0000, v80
	v_bfe_u32 v67, v8, 16, 1
	v_or_b32_e32 v82, 0x400000, v8
	v_cmp_u_f32_e32 vcc_lo, v8, v8
	v_add_f32_e32 v71, v80, v71
	v_add3_u32 v67, v67, v8, 0x7fff
	v_and_b32_e32 v8, 0xffff0000, v6
	v_lshlrev_b32_e32 v6, 16, v69
	v_cndmask_b32_e32 v67, v67, v82, vcc_lo
	v_mul_f32_e32 v17, v8, v17
	v_mul_f32_e32 v6, v8, v6
	v_and_b32_e32 v67, 0xffff0000, v67
	v_bfe_u32 v69, v6, 16, 1
	v_or_b32_e32 v82, 0x400000, v6
	v_cmp_u_f32_e32 vcc_lo, v6, v6
	v_add3_u32 v69, v69, v6, 0x7fff
	v_lshlrev_b32_e32 v6, 16, v64
	v_cndmask_b32_e32 v69, v69, v82, vcc_lo
	v_mul_f32_e32 v6, v3, v6
	v_and_b32_e32 v69, 0xffff0000, v69
	v_bfe_u32 v64, v6, 16, 1
	v_or_b32_e32 v82, 0x400000, v6
	v_cmp_u_f32_e32 vcc_lo, v6, v6
	v_add_f32_e32 v67, v69, v67
	v_add3_u32 v64, v64, v6, 0x7fff
	v_and_b32_e32 v6, 0xffff0000, v2
	v_lshlrev_b32_e32 v2, 16, v66
	v_add_f32_e32 v67, v71, v67
	v_cndmask_b32_e32 v64, v64, v82, vcc_lo
	v_mul_f32_e32 v18, v6, v18
	v_mul_f32_e32 v2, v6, v2
	;; [unrolled: 1-line block ×3, first 2 shown]
	v_and_b32_e32 v64, 0xffff0000, v64
	v_bfe_u32 v66, v2, 16, 1
	v_or_b32_e32 v82, 0x400000, v2
	v_cmp_u_f32_e32 vcc_lo, v2, v2
	v_add3_u32 v66, v66, v2, 0x7fff
	v_and_b32_e32 v2, 0xffff0000, v83
	v_cndmask_b32_e32 v66, v66, v82, vcc_lo
	v_mul_f32_e32 v81, v2, v81
	v_mul_f32_e32 v32, v2, v32
	v_and_b32_e32 v66, 0xffff0000, v66
	v_bfe_u32 v82, v81, 16, 1
	v_or_b32_e32 v83, 0x400000, v81
	v_cmp_u_f32_e32 vcc_lo, v81, v81
	v_add_f32_e32 v64, v66, v64
	v_add3_u32 v82, v82, v81, 0x7fff
	v_add_f32_e32 v64, v67, v64
	v_cndmask_b32_e32 v81, v82, v83, vcc_lo
	v_bfe_u32 v82, v70, 16, 1
	v_or_b32_e32 v83, 0x400000, v70
	v_cmp_u_f32_e32 vcc_lo, v70, v70
	v_and_b32_e32 v67, 0xffff0000, v81
	v_add3_u32 v82, v82, v70, 0x7fff
	v_cndmask_b32_e32 v70, v82, v83, vcc_lo
	v_cmp_u_f32_e32 vcc_lo, v13, v13
	v_and_b32_e32 v66, 0xffff0000, v70
	v_add_f32_e32 v66, v66, v67
	v_add_f32_e32 v64, v64, v66
	v_or_b32_e32 v66, 0x400000, v13
	v_add_f32_e32 v33, v33, v64
	v_bfe_u32 v64, v13, 16, 1
	v_add3_u32 v64, v64, v13, 0x7fff
	v_cndmask_b32_e32 v13, v64, v66, vcc_lo
	v_bfe_u32 v64, v14, 16, 1
	v_or_b32_e32 v66, 0x400000, v14
	v_cmp_u_f32_e32 vcc_lo, v14, v14
	v_and_b32_e32 v13, 0xffff0000, v13
	v_add3_u32 v64, v64, v14, 0x7fff
	v_cndmask_b32_e32 v14, v64, v66, vcc_lo
	v_bfe_u32 v64, v26, 16, 1
	v_or_b32_e32 v66, 0x400000, v26
	v_cmp_u_f32_e32 vcc_lo, v26, v26
	v_and_b32_e32 v14, 0xffff0000, v14
	v_add3_u32 v64, v64, v26, 0x7fff
	v_add_f32_e32 v13, v14, v13
	v_cndmask_b32_e32 v26, v64, v66, vcc_lo
	v_bfe_u32 v64, v17, 16, 1
	v_or_b32_e32 v66, 0x400000, v17
	v_cmp_u_f32_e32 vcc_lo, v17, v17
	v_add3_u32 v64, v64, v17, 0x7fff
	v_cndmask_b32_e32 v17, v64, v66, vcc_lo
	v_lshlrev_b32_e32 v64, 16, v126
	v_and_b32_e32 v14, 0xffff0000, v17
	v_mul_f32_e32 v64, v3, v64
	v_and_b32_e32 v17, 0xffff0000, v26
	v_bfe_u32 v66, v64, 16, 1
	v_or_b32_e32 v67, 0x400000, v64
	v_cmp_u_f32_e32 vcc_lo, v64, v64
	v_add_f32_e32 v14, v14, v17
	v_add3_u32 v66, v66, v64, 0x7fff
	v_add_f32_e32 v13, v13, v14
	v_cndmask_b32_e32 v64, v66, v67, vcc_lo
	v_lshlrev_b32_e32 v66, 16, v127
	v_and_b32_e32 v17, 0xffff0000, v64
	v_mul_f32_e32 v66, v6, v66
	v_bfe_u32 v67, v66, 16, 1
	v_or_b32_e32 v69, 0x400000, v66
	v_cmp_u_f32_e32 vcc_lo, v66, v66
	v_add3_u32 v67, v67, v66, 0x7fff
	v_cndmask_b32_e32 v66, v67, v69, vcc_lo
	v_bfe_u32 v67, v32, 16, 1
	v_or_b32_e32 v69, 0x400000, v32
	v_cmp_u_f32_e32 vcc_lo, v32, v32
	v_and_b32_e32 v14, 0xffff0000, v66
	v_add3_u32 v67, v67, v32, 0x7fff
	v_add_f32_e32 v14, v14, v17
	v_cndmask_b32_e32 v32, v67, v69, vcc_lo
	v_bfe_u32 v67, v25, 16, 1
	v_or_b32_e32 v69, 0x400000, v25
	v_cmp_u_f32_e32 vcc_lo, v25, v25
	v_add_f32_e32 v13, v13, v14
	v_and_b32_e32 v17, 0xffff0000, v32
	v_add3_u32 v67, v67, v25, 0x7fff
	v_cndmask_b32_e32 v25, v67, v69, vcc_lo
	v_and_b32_e32 v14, 0xffff0000, v25
	v_add_f32_e32 v14, v14, v17
	v_add_f32_e32 v13, v13, v14
	;; [unrolled: 1-line block ×3, first 2 shown]
	v_lshlrev_b32_e32 v13, 16, v123
	v_mul_f32_e32 v13, v7, v13
	v_bfe_u32 v14, v13, 16, 1
	v_or_b32_e32 v17, 0x400000, v13
	v_cmp_u_f32_e32 vcc_lo, v13, v13
	v_add3_u32 v14, v14, v13, 0x7fff
	v_cndmask_b32_e32 v13, v14, v17, vcc_lo
	v_lshlrev_b32_e32 v14, 16, v124
	v_and_b32_e32 v13, 0xffff0000, v13
	v_mul_f32_e32 v14, v9, v14
	v_bfe_u32 v17, v14, 16, 1
	v_or_b32_e32 v25, 0x400000, v14
	v_cmp_u_f32_e32 vcc_lo, v14, v14
	v_add3_u32 v17, v17, v14, 0x7fff
	v_cndmask_b32_e32 v14, v17, v25, vcc_lo
	v_lshlrev_b32_e32 v17, 16, v120
	v_and_b32_e32 v14, 0xffff0000, v14
	v_mul_f32_e32 v17, v5, v17
	v_add_f32_e32 v13, v14, v13
	v_bfe_u32 v25, v17, 16, 1
	v_or_b32_e32 v26, 0x400000, v17
	v_cmp_u_f32_e32 vcc_lo, v17, v17
	v_add3_u32 v25, v25, v17, 0x7fff
	v_cndmask_b32_e32 v17, v25, v26, vcc_lo
	v_lshlrev_b32_e32 v25, 16, v121
	v_and_b32_e32 v17, 0xffff0000, v17
	v_mul_f32_e32 v25, v8, v25
	v_bfe_u32 v26, v25, 16, 1
	v_or_b32_e32 v32, 0x400000, v25
	v_cmp_u_f32_e32 vcc_lo, v25, v25
	v_add3_u32 v26, v26, v25, 0x7fff
	v_cndmask_b32_e32 v25, v26, v32, vcc_lo
	v_lshlrev_b32_e32 v26, 16, v110
	v_and_b32_e32 v14, 0xffff0000, v25
	v_mul_f32_e32 v26, v3, v26
	v_add_f32_e32 v14, v14, v17
	v_bfe_u32 v32, v26, 16, 1
	v_or_b32_e32 v64, 0x400000, v26
	v_cmp_u_f32_e32 vcc_lo, v26, v26
	v_add_f32_e32 v13, v13, v14
	v_add3_u32 v32, v32, v26, 0x7fff
	v_cndmask_b32_e32 v26, v32, v64, vcc_lo
	v_lshlrev_b32_e32 v32, 16, v111
	v_and_b32_e32 v17, 0xffff0000, v26
	v_mul_f32_e32 v32, v6, v32
	v_bfe_u32 v64, v32, 16, 1
	v_or_b32_e32 v66, 0x400000, v32
	v_cmp_u_f32_e32 vcc_lo, v32, v32
	v_add3_u32 v64, v64, v32, 0x7fff
	v_cndmask_b32_e32 v32, v64, v66, vcc_lo
	v_lshlrev_b32_e32 v64, 16, v125
	v_and_b32_e32 v14, 0xffff0000, v32
	v_mul_f32_e32 v64, v2, v64
	v_add_f32_e32 v14, v14, v17
	v_bfe_u32 v66, v64, 16, 1
	v_or_b32_e32 v67, 0x400000, v64
	v_cmp_u_f32_e32 vcc_lo, v64, v64
	v_add_f32_e32 v13, v13, v14
	v_add3_u32 v66, v66, v64, 0x7fff
	v_cndmask_b32_e32 v64, v66, v67, vcc_lo
	v_lshlrev_b32_e32 v66, 16, v122
	v_and_b32_e32 v17, 0xffff0000, v64
	v_mul_f32_e32 v66, v4, v66
	v_bfe_u32 v67, v66, 16, 1
	v_or_b32_e32 v69, 0x400000, v66
	v_cmp_u_f32_e32 vcc_lo, v66, v66
	v_add3_u32 v67, v67, v66, 0x7fff
	v_cndmask_b32_e32 v66, v67, v69, vcc_lo
	v_and_b32_e32 v14, 0xffff0000, v66
	v_add_f32_e32 v14, v14, v17
	v_add_f32_e32 v13, v13, v14
	;; [unrolled: 1-line block ×3, first 2 shown]
	v_lshlrev_b32_e32 v13, 16, v109
	v_mul_f32_e32 v13, v7, v13
	v_bfe_u32 v14, v13, 16, 1
	v_or_b32_e32 v17, 0x400000, v13
	v_cmp_u_f32_e32 vcc_lo, v13, v13
	v_add3_u32 v14, v14, v13, 0x7fff
	v_cndmask_b32_e32 v13, v14, v17, vcc_lo
	v_lshlrev_b32_e32 v14, 16, v108
	v_and_b32_e32 v13, 0xffff0000, v13
	v_mul_f32_e32 v14, v9, v14
	v_bfe_u32 v17, v14, 16, 1
	v_or_b32_e32 v25, 0x400000, v14
	v_cmp_u_f32_e32 vcc_lo, v14, v14
	v_add3_u32 v17, v17, v14, 0x7fff
	v_cndmask_b32_e32 v14, v17, v25, vcc_lo
	v_lshlrev_b32_e32 v17, 16, v106
	v_and_b32_e32 v14, 0xffff0000, v14
	v_mul_f32_e32 v17, v5, v17
	v_add_f32_e32 v13, v14, v13
	v_bfe_u32 v25, v17, 16, 1
	v_or_b32_e32 v26, 0x400000, v17
	v_cmp_u_f32_e32 vcc_lo, v17, v17
	v_add3_u32 v25, v25, v17, 0x7fff
	v_cndmask_b32_e32 v17, v25, v26, vcc_lo
	v_lshlrev_b32_e32 v25, 16, v107
	v_and_b32_e32 v17, 0xffff0000, v17
	v_mul_f32_e32 v25, v8, v25
	v_bfe_u32 v26, v25, 16, 1
	v_or_b32_e32 v32, 0x400000, v25
	v_cmp_u_f32_e32 vcc_lo, v25, v25
	v_add3_u32 v26, v26, v25, 0x7fff
	v_cndmask_b32_e32 v25, v26, v32, vcc_lo
	v_lshlrev_b32_e32 v26, 16, v95
	v_and_b32_e32 v14, 0xffff0000, v25
	v_mul_f32_e32 v26, v3, v26
	v_add_f32_e32 v14, v14, v17
	v_bfe_u32 v32, v26, 16, 1
	v_or_b32_e32 v64, 0x400000, v26
	v_cmp_u_f32_e32 vcc_lo, v26, v26
	v_add_f32_e32 v13, v13, v14
	v_add3_u32 v32, v32, v26, 0x7fff
	v_cndmask_b32_e32 v26, v32, v64, vcc_lo
	v_lshlrev_b32_e32 v32, 16, v94
	v_and_b32_e32 v17, 0xffff0000, v26
	v_mul_f32_e32 v32, v6, v32
	v_bfe_u32 v64, v32, 16, 1
	v_or_b32_e32 v66, 0x400000, v32
	v_cmp_u_f32_e32 vcc_lo, v32, v32
	v_add3_u32 v64, v64, v32, 0x7fff
	v_cndmask_b32_e32 v32, v64, v66, vcc_lo
	v_lshlrev_b32_e32 v64, 16, v105
	v_and_b32_e32 v14, 0xffff0000, v32
	v_mul_f32_e32 v64, v2, v64
	v_add_f32_e32 v14, v14, v17
	v_bfe_u32 v66, v64, 16, 1
	v_or_b32_e32 v67, 0x400000, v64
	v_cmp_u_f32_e32 vcc_lo, v64, v64
	v_add_f32_e32 v13, v13, v14
	v_add3_u32 v66, v66, v64, 0x7fff
	v_cndmask_b32_e32 v64, v66, v67, vcc_lo
	v_lshlrev_b32_e32 v66, 16, v104
	v_and_b32_e32 v17, 0xffff0000, v64
	v_mul_f32_e32 v66, v4, v66
	v_bfe_u32 v67, v66, 16, 1
	v_or_b32_e32 v69, 0x400000, v66
	v_cmp_u_f32_e32 vcc_lo, v66, v66
	v_add3_u32 v67, v67, v66, 0x7fff
	v_cndmask_b32_e32 v66, v67, v69, vcc_lo
	v_and_b32_e32 v14, 0xffff0000, v66
	v_add_f32_e32 v14, v14, v17
	v_add_f32_e32 v13, v13, v14
	;; [unrolled: 1-line block ×3, first 2 shown]
	v_lshlrev_b32_e32 v13, 16, v93
	v_mul_f32_e32 v13, v7, v13
	v_bfe_u32 v14, v13, 16, 1
	v_or_b32_e32 v17, 0x400000, v13
	v_cmp_u_f32_e32 vcc_lo, v13, v13
	v_add3_u32 v14, v14, v13, 0x7fff
	v_cndmask_b32_e32 v13, v14, v17, vcc_lo
	v_lshlrev_b32_e32 v14, 16, v92
	v_and_b32_e32 v13, 0xffff0000, v13
	v_mul_f32_e32 v14, v9, v14
	v_bfe_u32 v17, v14, 16, 1
	v_or_b32_e32 v25, 0x400000, v14
	v_cmp_u_f32_e32 vcc_lo, v14, v14
	v_add3_u32 v17, v17, v14, 0x7fff
	v_cndmask_b32_e32 v14, v17, v25, vcc_lo
	v_lshlrev_b32_e32 v17, 16, v90
	v_and_b32_e32 v14, 0xffff0000, v14
	v_mul_f32_e32 v17, v5, v17
	v_add_f32_e32 v13, v14, v13
	v_bfe_u32 v25, v17, 16, 1
	v_or_b32_e32 v26, 0x400000, v17
	v_cmp_u_f32_e32 vcc_lo, v17, v17
	v_add3_u32 v25, v25, v17, 0x7fff
	v_cndmask_b32_e32 v17, v25, v26, vcc_lo
	v_lshlrev_b32_e32 v25, 16, v91
	v_and_b32_e32 v17, 0xffff0000, v17
	v_mul_f32_e32 v25, v8, v25
	v_bfe_u32 v26, v25, 16, 1
	v_or_b32_e32 v32, 0x400000, v25
	v_cmp_u_f32_e32 vcc_lo, v25, v25
	v_add3_u32 v26, v26, v25, 0x7fff
	v_cndmask_b32_e32 v25, v26, v32, vcc_lo
	v_lshlrev_b32_e32 v26, 16, v79
	v_and_b32_e32 v14, 0xffff0000, v25
	v_mul_f32_e32 v26, v3, v26
	v_add_f32_e32 v14, v14, v17
	v_bfe_u32 v32, v26, 16, 1
	v_or_b32_e32 v64, 0x400000, v26
	v_cmp_u_f32_e32 vcc_lo, v26, v26
	v_add_f32_e32 v13, v13, v14
	v_add3_u32 v32, v32, v26, 0x7fff
	v_cndmask_b32_e32 v26, v32, v64, vcc_lo
	v_lshlrev_b32_e32 v32, 16, v78
	v_and_b32_e32 v17, 0xffff0000, v26
	v_mul_f32_e32 v32, v6, v32
	v_bfe_u32 v64, v32, 16, 1
	v_or_b32_e32 v66, 0x400000, v32
	v_cmp_u_f32_e32 vcc_lo, v32, v32
	v_add3_u32 v64, v64, v32, 0x7fff
	v_cndmask_b32_e32 v32, v64, v66, vcc_lo
	v_lshlrev_b32_e32 v64, 16, v89
	v_and_b32_e32 v14, 0xffff0000, v32
	v_mul_f32_e32 v64, v2, v64
	v_add_f32_e32 v14, v14, v17
	v_bfe_u32 v66, v64, 16, 1
	v_or_b32_e32 v67, 0x400000, v64
	v_cmp_u_f32_e32 vcc_lo, v64, v64
	v_add_f32_e32 v13, v13, v14
	v_add3_u32 v66, v66, v64, 0x7fff
	v_cndmask_b32_e32 v64, v66, v67, vcc_lo
	v_lshlrev_b32_e32 v66, 16, v88
	v_and_b32_e32 v17, 0xffff0000, v64
	v_mul_f32_e32 v66, v4, v66
	v_bfe_u32 v67, v66, 16, 1
	v_or_b32_e32 v69, 0x400000, v66
	v_cmp_u_f32_e32 vcc_lo, v66, v66
	v_add3_u32 v67, v67, v66, 0x7fff
	v_cndmask_b32_e32 v66, v67, v69, vcc_lo
	v_and_b32_e32 v14, 0xffff0000, v66
	v_add_f32_e32 v14, v14, v17
	v_add_f32_e32 v13, v13, v14
	v_add_f32_e32 v37, v37, v13
	v_lshlrev_b32_e32 v13, 16, v77
	v_mul_f32_e32 v13, v7, v13
	v_bfe_u32 v14, v13, 16, 1
	v_or_b32_e32 v17, 0x400000, v13
	v_cmp_u_f32_e32 vcc_lo, v13, v13
	v_add3_u32 v14, v14, v13, 0x7fff
	v_cndmask_b32_e32 v13, v14, v17, vcc_lo
	v_lshlrev_b32_e32 v14, 16, v76
	v_and_b32_e32 v13, 0xffff0000, v13
	v_mul_f32_e32 v14, v9, v14
	v_bfe_u32 v17, v14, 16, 1
	v_or_b32_e32 v25, 0x400000, v14
	v_cmp_u_f32_e32 vcc_lo, v14, v14
	v_add3_u32 v17, v17, v14, 0x7fff
	v_cndmask_b32_e32 v14, v17, v25, vcc_lo
	v_lshlrev_b32_e32 v17, 16, v74
	v_and_b32_e32 v14, 0xffff0000, v14
	v_mul_f32_e32 v17, v5, v17
	v_add_f32_e32 v13, v14, v13
	v_bfe_u32 v25, v17, 16, 1
	v_or_b32_e32 v26, 0x400000, v17
	v_cmp_u_f32_e32 vcc_lo, v17, v17
	v_add3_u32 v25, v25, v17, 0x7fff
	v_cndmask_b32_e32 v17, v25, v26, vcc_lo
	v_lshlrev_b32_e32 v25, 16, v75
	v_and_b32_e32 v17, 0xffff0000, v17
	v_mul_f32_e32 v25, v8, v25
	v_bfe_u32 v26, v25, 16, 1
	v_or_b32_e32 v32, 0x400000, v25
	v_cmp_u_f32_e32 vcc_lo, v25, v25
	v_add3_u32 v26, v26, v25, 0x7fff
	v_cndmask_b32_e32 v25, v26, v32, vcc_lo
	v_lshlrev_b32_e32 v26, 16, v28
	v_and_b32_e32 v14, 0xffff0000, v25
	v_mul_f32_e32 v26, v3, v26
	v_add_f32_e32 v14, v14, v17
	v_bfe_u32 v28, v26, 16, 1
	v_or_b32_e32 v32, 0x400000, v26
	v_cmp_u_f32_e32 vcc_lo, v26, v26
	v_add_f32_e32 v13, v13, v14
	v_add3_u32 v28, v28, v26, 0x7fff
	v_cndmask_b32_e32 v26, v28, v32, vcc_lo
	v_bfe_u32 v28, v18, 16, 1
	v_or_b32_e32 v32, 0x400000, v18
	v_cmp_u_f32_e32 vcc_lo, v18, v18
	v_and_b32_e32 v17, 0xffff0000, v26
	v_add3_u32 v28, v28, v18, 0x7fff
	v_cndmask_b32_e32 v18, v28, v32, vcc_lo
	v_lshlrev_b32_e32 v28, 16, v73
	v_and_b32_e32 v14, 0xffff0000, v18
	v_mul_f32_e32 v28, v2, v28
	v_add_f32_e32 v14, v14, v17
	v_bfe_u32 v32, v28, 16, 1
	v_or_b32_e32 v64, 0x400000, v28
	v_cmp_u_f32_e32 vcc_lo, v28, v28
	v_add_f32_e32 v13, v13, v14
	v_add3_u32 v32, v32, v28, 0x7fff
	v_cndmask_b32_e32 v28, v32, v64, vcc_lo
	v_lshlrev_b32_e32 v32, 16, v72
	v_and_b32_e32 v17, 0xffff0000, v28
	v_mul_f32_e32 v32, v4, v32
	v_bfe_u32 v64, v32, 16, 1
	v_or_b32_e32 v66, 0x400000, v32
	v_cmp_u_f32_e32 vcc_lo, v32, v32
	v_add3_u32 v64, v64, v32, 0x7fff
	v_cndmask_b32_e32 v32, v64, v66, vcc_lo
	v_and_b32_e32 v14, 0xffff0000, v32
	v_add_f32_e32 v14, v14, v17
	v_add_f32_e32 v13, v13, v14
	;; [unrolled: 1-line block ×3, first 2 shown]
	v_lshlrev_b32_e32 v13, 16, v63
	v_mul_f32_e32 v13, v7, v13
	v_bfe_u32 v14, v13, 16, 1
	v_or_b32_e32 v17, 0x400000, v13
	v_cmp_u_f32_e32 vcc_lo, v13, v13
	v_add3_u32 v14, v14, v13, 0x7fff
	v_cndmask_b32_e32 v13, v14, v17, vcc_lo
	v_lshlrev_b32_e32 v14, 16, v62
	v_and_b32_e32 v13, 0xffff0000, v13
	v_mul_f32_e32 v14, v9, v14
	v_bfe_u32 v17, v14, 16, 1
	v_or_b32_e32 v18, 0x400000, v14
	v_cmp_u_f32_e32 vcc_lo, v14, v14
	v_add3_u32 v17, v17, v14, 0x7fff
	v_cndmask_b32_e32 v14, v17, v18, vcc_lo
	v_lshlrev_b32_e32 v17, 16, v60
	v_and_b32_e32 v14, 0xffff0000, v14
	v_mul_f32_e32 v17, v5, v17
	v_add_f32_e32 v13, v14, v13
	v_bfe_u32 v18, v17, 16, 1
	v_or_b32_e32 v25, 0x400000, v17
	v_cmp_u_f32_e32 vcc_lo, v17, v17
	v_add3_u32 v18, v18, v17, 0x7fff
	v_cndmask_b32_e32 v17, v18, v25, vcc_lo
	v_lshlrev_b32_e32 v18, 16, v61
	v_and_b32_e32 v17, 0xffff0000, v17
	v_mul_f32_e32 v18, v8, v18
	v_bfe_u32 v25, v18, 16, 1
	v_or_b32_e32 v26, 0x400000, v18
	v_cmp_u_f32_e32 vcc_lo, v18, v18
	v_add3_u32 v25, v25, v18, 0x7fff
	v_cndmask_b32_e32 v18, v25, v26, vcc_lo
	v_bfe_u32 v25, v1, 16, 1
	v_or_b32_e32 v26, 0x400000, v1
	v_cmp_u_f32_e32 vcc_lo, v1, v1
	v_and_b32_e32 v14, 0xffff0000, v18
	v_add3_u32 v25, v25, v1, 0x7fff
	v_add_f32_e32 v14, v14, v17
	v_cndmask_b32_e32 v1, v25, v26, vcc_lo
	v_bfe_u32 v25, v0, 16, 1
	v_or_b32_e32 v26, 0x400000, v0
	v_cmp_u_f32_e32 vcc_lo, v0, v0
	v_add_f32_e32 v13, v13, v14
	v_and_b32_e32 v1, 0xffff0000, v1
	v_add3_u32 v25, v25, v0, 0x7fff
	v_cndmask_b32_e32 v0, v25, v26, vcc_lo
	v_lshlrev_b32_e32 v25, 16, v31
	v_and_b32_e32 v0, 0xffff0000, v0
	v_mul_f32_e32 v25, v2, v25
	v_add_f32_e32 v0, v0, v1
	v_bfe_u32 v26, v25, 16, 1
	v_or_b32_e32 v28, 0x400000, v25
	v_cmp_u_f32_e32 vcc_lo, v25, v25
	v_add_f32_e32 v0, v13, v0
	v_add3_u32 v26, v26, v25, 0x7fff
	v_cndmask_b32_e32 v25, v26, v28, vcc_lo
	v_lshlrev_b32_e32 v26, 16, v30
	v_and_b32_e32 v13, 0xffff0000, v25
	v_mul_f32_e32 v26, v4, v26
	v_bfe_u32 v28, v26, 16, 1
	v_or_b32_e32 v30, 0x400000, v26
	v_cmp_u_f32_e32 vcc_lo, v26, v26
	v_add3_u32 v28, v28, v26, 0x7fff
	v_cndmask_b32_e32 v26, v28, v30, vcc_lo
	v_and_b32_e32 v1, 0xffff0000, v26
	v_add_f32_e32 v1, v1, v13
	v_add_f32_e32 v0, v0, v1
	;; [unrolled: 1-line block ×3, first 2 shown]
	v_lshlrev_b32_e32 v0, 16, v59
	v_mul_f32_e32 v0, v7, v0
	v_bfe_u32 v1, v0, 16, 1
	v_or_b32_e32 v13, 0x400000, v0
	v_cmp_u_f32_e32 vcc_lo, v0, v0
	v_add3_u32 v1, v1, v0, 0x7fff
	v_cndmask_b32_e32 v0, v1, v13, vcc_lo
	v_lshlrev_b32_e32 v1, 16, v58
	v_and_b32_e32 v0, 0xffff0000, v0
	v_mul_f32_e32 v1, v9, v1
	v_bfe_u32 v13, v1, 16, 1
	v_or_b32_e32 v14, 0x400000, v1
	v_cmp_u_f32_e32 vcc_lo, v1, v1
	v_add3_u32 v13, v13, v1, 0x7fff
	v_cndmask_b32_e32 v1, v13, v14, vcc_lo
	v_lshlrev_b32_e32 v13, 16, v56
	v_and_b32_e32 v1, 0xffff0000, v1
	v_mul_f32_e32 v13, v5, v13
	v_add_f32_e32 v0, v1, v0
	v_bfe_u32 v14, v13, 16, 1
	v_or_b32_e32 v17, 0x400000, v13
	v_cmp_u_f32_e32 vcc_lo, v13, v13
	v_add3_u32 v14, v14, v13, 0x7fff
	v_cndmask_b32_e32 v13, v14, v17, vcc_lo
	v_lshlrev_b32_e32 v14, 16, v57
	v_and_b32_e32 v13, 0xffff0000, v13
	v_mul_f32_e32 v14, v8, v14
	v_bfe_u32 v17, v14, 16, 1
	v_or_b32_e32 v18, 0x400000, v14
	v_cmp_u_f32_e32 vcc_lo, v14, v14
	v_add3_u32 v17, v17, v14, 0x7fff
	v_cndmask_b32_e32 v14, v17, v18, vcc_lo
	v_lshlrev_b32_e32 v17, 16, v45
	v_and_b32_e32 v1, 0xffff0000, v14
	v_mul_f32_e32 v17, v3, v17
	v_add_f32_e32 v1, v1, v13
	v_bfe_u32 v18, v17, 16, 1
	v_or_b32_e32 v25, 0x400000, v17
	v_cmp_u_f32_e32 vcc_lo, v17, v17
	v_add_f32_e32 v0, v0, v1
	v_add3_u32 v18, v18, v17, 0x7fff
	v_cndmask_b32_e32 v17, v18, v25, vcc_lo
	v_lshlrev_b32_e32 v18, 16, v44
	v_and_b32_e32 v13, 0xffff0000, v17
	v_mul_f32_e32 v18, v6, v18
	v_bfe_u32 v25, v18, 16, 1
	v_or_b32_e32 v26, 0x400000, v18
	v_cmp_u_f32_e32 vcc_lo, v18, v18
	v_add3_u32 v25, v25, v18, 0x7fff
	v_cndmask_b32_e32 v18, v25, v26, vcc_lo
	v_lshlrev_b32_e32 v25, 16, v47
	v_and_b32_e32 v1, 0xffff0000, v18
	v_mul_f32_e32 v25, v2, v25
	v_add_f32_e32 v1, v1, v13
	v_bfe_u32 v26, v25, 16, 1
	v_or_b32_e32 v28, 0x400000, v25
	v_cmp_u_f32_e32 vcc_lo, v25, v25
	v_add_f32_e32 v0, v0, v1
	v_add3_u32 v26, v26, v25, 0x7fff
	v_cndmask_b32_e32 v25, v26, v28, vcc_lo
	v_lshlrev_b32_e32 v26, 16, v46
	v_and_b32_e32 v13, 0xffff0000, v25
	v_mul_f32_e32 v26, v4, v26
	v_bfe_u32 v28, v26, 16, 1
	v_or_b32_e32 v30, 0x400000, v26
	v_cmp_u_f32_e32 vcc_lo, v26, v26
	v_add3_u32 v28, v28, v26, 0x7fff
	v_cndmask_b32_e32 v26, v28, v30, vcc_lo
	v_and_b32_e32 v1, 0xffff0000, v26
	v_add_f32_e32 v1, v1, v13
	v_add_f32_e32 v0, v0, v1
	;; [unrolled: 1-line block ×3, first 2 shown]
	v_lshlrev_b32_e32 v0, 16, v116
	v_mul_f32_e32 v0, v7, v0
	v_bfe_u32 v1, v0, 16, 1
	v_or_b32_e32 v13, 0x400000, v0
	v_cmp_u_f32_e32 vcc_lo, v0, v0
	v_add3_u32 v1, v1, v0, 0x7fff
	v_cndmask_b32_e32 v0, v1, v13, vcc_lo
	v_lshlrev_b32_e32 v1, 16, v115
	v_and_b32_e32 v0, 0xffff0000, v0
	v_mul_f32_e32 v1, v9, v1
	v_bfe_u32 v13, v1, 16, 1
	v_or_b32_e32 v14, 0x400000, v1
	v_cmp_u_f32_e32 vcc_lo, v1, v1
	v_add3_u32 v13, v13, v1, 0x7fff
	v_cndmask_b32_e32 v1, v13, v14, vcc_lo
	v_lshlrev_b32_e32 v13, 16, v113
	v_and_b32_e32 v1, 0xffff0000, v1
	v_mul_f32_e32 v13, v5, v13
	v_add_f32_e32 v0, v1, v0
	v_bfe_u32 v14, v13, 16, 1
	v_or_b32_e32 v17, 0x400000, v13
	v_cmp_u_f32_e32 vcc_lo, v13, v13
	v_add3_u32 v14, v14, v13, 0x7fff
	v_cndmask_b32_e32 v13, v14, v17, vcc_lo
	v_lshlrev_b32_e32 v14, 16, v114
	v_and_b32_e32 v13, 0xffff0000, v13
	v_mul_f32_e32 v14, v8, v14
	v_bfe_u32 v17, v14, 16, 1
	v_or_b32_e32 v18, 0x400000, v14
	v_cmp_u_f32_e32 vcc_lo, v14, v14
	v_add3_u32 v17, v17, v14, 0x7fff
	v_cndmask_b32_e32 v14, v17, v18, vcc_lo
	v_lshlrev_b32_e32 v17, 16, v102
	v_and_b32_e32 v1, 0xffff0000, v14
	v_mul_f32_e32 v17, v3, v17
	v_add_f32_e32 v1, v1, v13
	v_bfe_u32 v18, v17, 16, 1
	v_or_b32_e32 v25, 0x400000, v17
	v_cmp_u_f32_e32 vcc_lo, v17, v17
	v_add_f32_e32 v0, v0, v1
	v_add3_u32 v18, v18, v17, 0x7fff
	v_cndmask_b32_e32 v17, v18, v25, vcc_lo
	v_lshlrev_b32_e32 v18, 16, v101
	v_and_b32_e32 v13, 0xffff0000, v17
	v_mul_f32_e32 v18, v6, v18
	v_bfe_u32 v25, v18, 16, 1
	v_or_b32_e32 v26, 0x400000, v18
	v_cmp_u_f32_e32 vcc_lo, v18, v18
	v_add3_u32 v25, v25, v18, 0x7fff
	v_cndmask_b32_e32 v18, v25, v26, vcc_lo
	v_lshlrev_b32_e32 v25, 16, v112
	v_and_b32_e32 v1, 0xffff0000, v18
	v_mul_f32_e32 v25, v2, v25
	v_add_f32_e32 v1, v1, v13
	v_bfe_u32 v26, v25, 16, 1
	v_or_b32_e32 v28, 0x400000, v25
	v_cmp_u_f32_e32 vcc_lo, v25, v25
	v_add_f32_e32 v0, v0, v1
	v_add3_u32 v26, v26, v25, 0x7fff
	v_cndmask_b32_e32 v25, v26, v28, vcc_lo
	v_lshlrev_b32_e32 v26, 16, v103
	v_and_b32_e32 v13, 0xffff0000, v25
	v_mul_f32_e32 v26, v4, v26
	v_bfe_u32 v28, v26, 16, 1
	v_or_b32_e32 v30, 0x400000, v26
	v_cmp_u_f32_e32 vcc_lo, v26, v26
	v_add3_u32 v28, v28, v26, 0x7fff
	v_cndmask_b32_e32 v26, v28, v30, vcc_lo
	v_and_b32_e32 v1, 0xffff0000, v26
	v_add_f32_e32 v1, v1, v13
	v_add_f32_e32 v0, v0, v1
	;; [unrolled: 1-line block ×3, first 2 shown]
	v_lshlrev_b32_e32 v0, 16, v100
	v_mul_f32_e32 v0, v7, v0
	v_bfe_u32 v1, v0, 16, 1
	v_or_b32_e32 v13, 0x400000, v0
	v_cmp_u_f32_e32 vcc_lo, v0, v0
	v_add3_u32 v1, v1, v0, 0x7fff
	v_cndmask_b32_e32 v0, v1, v13, vcc_lo
	v_lshlrev_b32_e32 v1, 16, v99
	v_and_b32_e32 v0, 0xffff0000, v0
	v_mul_f32_e32 v1, v9, v1
	v_bfe_u32 v13, v1, 16, 1
	v_or_b32_e32 v14, 0x400000, v1
	v_cmp_u_f32_e32 vcc_lo, v1, v1
	v_add3_u32 v13, v13, v1, 0x7fff
	v_cndmask_b32_e32 v1, v13, v14, vcc_lo
	v_lshlrev_b32_e32 v13, 16, v97
	v_and_b32_e32 v1, 0xffff0000, v1
	v_mul_f32_e32 v13, v5, v13
	v_add_f32_e32 v0, v1, v0
	v_bfe_u32 v14, v13, 16, 1
	v_or_b32_e32 v17, 0x400000, v13
	v_cmp_u_f32_e32 vcc_lo, v13, v13
	v_add3_u32 v14, v14, v13, 0x7fff
	v_cndmask_b32_e32 v13, v14, v17, vcc_lo
	v_lshlrev_b32_e32 v14, 16, v98
	v_and_b32_e32 v13, 0xffff0000, v13
	v_mul_f32_e32 v14, v8, v14
	v_bfe_u32 v17, v14, 16, 1
	v_or_b32_e32 v18, 0x400000, v14
	v_cmp_u_f32_e32 vcc_lo, v14, v14
	v_add3_u32 v17, v17, v14, 0x7fff
	v_cndmask_b32_e32 v14, v17, v18, vcc_lo
	v_lshlrev_b32_e32 v17, 16, v96
	v_and_b32_e32 v1, 0xffff0000, v14
	v_mul_f32_e32 v17, v3, v17
	v_add_f32_e32 v1, v1, v13
	v_bfe_u32 v18, v17, 16, 1
	v_or_b32_e32 v25, 0x400000, v17
	v_cmp_u_f32_e32 vcc_lo, v17, v17
	v_add_f32_e32 v0, v0, v1
	v_add3_u32 v18, v18, v17, 0x7fff
	v_cndmask_b32_e32 v17, v18, v25, vcc_lo
	buffer_load_dword v18, off, s[0:3], s32 offset:232 ; 4-byte Folded Reload
	v_and_b32_e32 v13, 0xffff0000, v17
	s_waitcnt vmcnt(0)
	v_lshlrev_b32_e32 v18, 16, v18
	v_mul_f32_e32 v18, v6, v18
	v_bfe_u32 v25, v18, 16, 1
	v_or_b32_e32 v26, 0x400000, v18
	v_cmp_u_f32_e32 vcc_lo, v18, v18
	v_add3_u32 v25, v25, v18, 0x7fff
	v_cndmask_b32_e32 v18, v25, v26, vcc_lo
	v_lshlrev_b32_e32 v25, 16, v87
	v_and_b32_e32 v1, 0xffff0000, v18
	v_mul_f32_e32 v25, v2, v25
	v_add_f32_e32 v1, v1, v13
	v_bfe_u32 v26, v25, 16, 1
	v_or_b32_e32 v28, 0x400000, v25
	v_cmp_u_f32_e32 vcc_lo, v25, v25
	v_add_f32_e32 v0, v0, v1
	v_add3_u32 v26, v26, v25, 0x7fff
	v_cndmask_b32_e32 v25, v26, v28, vcc_lo
	buffer_load_dword v26, off, s[0:3], s32 offset:228 ; 4-byte Folded Reload
	v_and_b32_e32 v13, 0xffff0000, v25
	s_waitcnt vmcnt(0)
	v_lshlrev_b32_e32 v26, 16, v26
	v_mul_f32_e32 v26, v4, v26
	v_bfe_u32 v28, v26, 16, 1
	v_or_b32_e32 v30, 0x400000, v26
	v_cmp_u_f32_e32 vcc_lo, v26, v26
	v_add3_u32 v28, v28, v26, 0x7fff
	v_cndmask_b32_e32 v26, v28, v30, vcc_lo
	v_and_b32_e32 v1, 0xffff0000, v26
	v_add_f32_e32 v1, v1, v13
	v_add_f32_e32 v0, v0, v1
	;; [unrolled: 1-line block ×3, first 2 shown]
	buffer_load_dword v0, off, s[0:3], s32 offset:224 ; 4-byte Folded Reload
	s_waitcnt vmcnt(0)
	v_lshlrev_b32_e32 v0, 16, v0
	v_mul_f32_e32 v0, v7, v0
	v_bfe_u32 v1, v0, 16, 1
	v_or_b32_e32 v13, 0x400000, v0
	v_cmp_u_f32_e32 vcc_lo, v0, v0
	v_add3_u32 v1, v1, v0, 0x7fff
	v_cndmask_b32_e32 v0, v1, v13, vcc_lo
	buffer_load_dword v1, off, s[0:3], s32 offset:220 ; 4-byte Folded Reload
	v_and_b32_e32 v0, 0xffff0000, v0
	s_waitcnt vmcnt(0)
	v_lshlrev_b32_e32 v1, 16, v1
	v_mul_f32_e32 v1, v9, v1
	v_bfe_u32 v13, v1, 16, 1
	v_or_b32_e32 v14, 0x400000, v1
	v_cmp_u_f32_e32 vcc_lo, v1, v1
	v_add3_u32 v13, v13, v1, 0x7fff
	v_cndmask_b32_e32 v1, v13, v14, vcc_lo
	buffer_load_dword v13, off, s[0:3], s32 offset:216 ; 4-byte Folded Reload
	v_and_b32_e32 v1, 0xffff0000, v1
	v_add_f32_e32 v0, v1, v0
	s_waitcnt vmcnt(0)
	v_lshlrev_b32_e32 v13, 16, v13
	v_mul_f32_e32 v13, v5, v13
	v_bfe_u32 v14, v13, 16, 1
	v_or_b32_e32 v17, 0x400000, v13
	v_cmp_u_f32_e32 vcc_lo, v13, v13
	v_add3_u32 v14, v14, v13, 0x7fff
	v_cndmask_b32_e32 v13, v14, v17, vcc_lo
	buffer_load_dword v14, off, s[0:3], s32 offset:212 ; 4-byte Folded Reload
	v_and_b32_e32 v13, 0xffff0000, v13
	s_waitcnt vmcnt(0)
	v_lshlrev_b32_e32 v14, 16, v14
	v_mul_f32_e32 v14, v8, v14
	v_bfe_u32 v17, v14, 16, 1
	v_or_b32_e32 v18, 0x400000, v14
	v_cmp_u_f32_e32 vcc_lo, v14, v14
	v_add3_u32 v17, v17, v14, 0x7fff
	v_cndmask_b32_e32 v14, v17, v18, vcc_lo
	buffer_load_dword v17, off, s[0:3], s32 offset:208 ; 4-byte Folded Reload
	v_and_b32_e32 v1, 0xffff0000, v14
	v_add_f32_e32 v1, v1, v13
	v_add_f32_e32 v0, v0, v1
	s_waitcnt vmcnt(0)
	v_lshlrev_b32_e32 v17, 16, v17
	v_mul_f32_e32 v17, v3, v17
	v_bfe_u32 v18, v17, 16, 1
	v_or_b32_e32 v25, 0x400000, v17
	v_cmp_u_f32_e32 vcc_lo, v17, v17
	v_add3_u32 v18, v18, v17, 0x7fff
	v_cndmask_b32_e32 v17, v18, v25, vcc_lo
	buffer_load_dword v18, off, s[0:3], s32 offset:200 ; 4-byte Folded Reload
	v_and_b32_e32 v13, 0xffff0000, v17
	s_waitcnt vmcnt(0)
	v_lshlrev_b32_e32 v18, 16, v18
	v_mul_f32_e32 v18, v6, v18
	v_bfe_u32 v25, v18, 16, 1
	v_or_b32_e32 v26, 0x400000, v18
	v_cmp_u_f32_e32 vcc_lo, v18, v18
	v_add3_u32 v25, v25, v18, 0x7fff
	v_cndmask_b32_e32 v18, v25, v26, vcc_lo
	buffer_load_dword v25, off, s[0:3], s32 offset:204 ; 4-byte Folded Reload
	v_and_b32_e32 v1, 0xffff0000, v18
	v_add_f32_e32 v1, v1, v13
	v_add_f32_e32 v0, v0, v1
	s_waitcnt vmcnt(0)
	v_lshlrev_b32_e32 v25, 16, v25
	v_mul_f32_e32 v25, v2, v25
	v_bfe_u32 v26, v25, 16, 1
	v_or_b32_e32 v28, 0x400000, v25
	v_cmp_u_f32_e32 vcc_lo, v25, v25
	v_add3_u32 v26, v26, v25, 0x7fff
	v_cndmask_b32_e32 v25, v26, v28, vcc_lo
	buffer_load_dword v26, off, s[0:3], s32 offset:196 ; 4-byte Folded Reload
	v_and_b32_e32 v13, 0xffff0000, v25
	s_waitcnt vmcnt(0)
	v_lshlrev_b32_e32 v26, 16, v26
	v_mul_f32_e32 v26, v4, v26
	v_bfe_u32 v28, v26, 16, 1
	v_or_b32_e32 v30, 0x400000, v26
	v_cmp_u_f32_e32 vcc_lo, v26, v26
	v_add3_u32 v28, v28, v26, 0x7fff
	v_cndmask_b32_e32 v26, v28, v30, vcc_lo
	v_and_b32_e32 v1, 0xffff0000, v26
	v_add_f32_e32 v1, v1, v13
	v_add_f32_e32 v0, v0, v1
	;; [unrolled: 1-line block ×3, first 2 shown]
	v_lshlrev_b32_e32 v0, 16, v24
	v_mul_f32_e32 v0, v9, v0
	v_bfe_u32 v1, v0, 16, 1
	v_or_b32_e32 v9, 0x400000, v0
	v_cmp_u_f32_e32 vcc_lo, v0, v0
	v_add3_u32 v1, v1, v0, 0x7fff
	v_cndmask_b32_e32 v0, v1, v9, vcc_lo
	v_lshlrev_b32_e32 v1, 16, v23
	v_and_b32_e32 v0, 0xffff0000, v0
	v_mul_f32_e32 v1, v7, v1
	v_bfe_u32 v7, v1, 16, 1
	v_or_b32_e32 v9, 0x400000, v1
	v_cmp_u_f32_e32 vcc_lo, v1, v1
	v_add3_u32 v7, v7, v1, 0x7fff
	v_cndmask_b32_e32 v1, v7, v9, vcc_lo
	v_lshlrev_b32_e32 v7, 16, v21
	v_and_b32_e32 v1, 0xffff0000, v1
	v_mul_f32_e32 v7, v8, v7
	v_add_f32_e32 v0, v0, v1
	v_bfe_u32 v8, v7, 16, 1
	v_or_b32_e32 v9, 0x400000, v7
	v_cmp_u_f32_e32 vcc_lo, v7, v7
	v_add3_u32 v8, v8, v7, 0x7fff
	v_cndmask_b32_e32 v7, v8, v9, vcc_lo
	v_lshlrev_b32_e32 v8, 16, v19
	v_mul_f32_e32 v5, v5, v8
	v_bfe_u32 v8, v5, 16, 1
	v_or_b32_e32 v9, 0x400000, v5
	v_cmp_u_f32_e32 vcc_lo, v5, v5
	v_add3_u32 v8, v8, v5, 0x7fff
	v_cndmask_b32_e32 v5, v8, v9, vcc_lo
	v_lshlrev_b32_e32 v8, 16, v11
	v_and_b32_e32 v1, 0xffff0000, v5
	v_mul_f32_e32 v6, v6, v8
	v_and_b32_e32 v5, 0xffff0000, v7
	v_bfe_u32 v8, v6, 16, 1
	v_or_b32_e32 v9, 0x400000, v6
	v_cmp_u_f32_e32 vcc_lo, v6, v6
	v_add_f32_e32 v1, v5, v1
	v_add3_u32 v8, v8, v6, 0x7fff
	v_add_f32_e32 v0, v0, v1
	v_cndmask_b32_e32 v6, v8, v9, vcc_lo
	v_lshlrev_b32_e32 v8, 16, v10
	v_mul_f32_e32 v3, v3, v8
	v_bfe_u32 v8, v3, 16, 1
	v_or_b32_e32 v9, 0x400000, v3
	v_cmp_u_f32_e32 vcc_lo, v3, v3
	v_add3_u32 v8, v8, v3, 0x7fff
	v_cndmask_b32_e32 v3, v8, v9, vcc_lo
	v_lshlrev_b32_e32 v8, 16, v20
	v_and_b32_e32 v1, 0xffff0000, v3
	v_mul_f32_e32 v4, v4, v8
	v_and_b32_e32 v3, 0xffff0000, v6
	v_bfe_u32 v8, v4, 16, 1
	v_or_b32_e32 v9, 0x400000, v4
	v_cmp_u_f32_e32 vcc_lo, v4, v4
	v_add_f32_e32 v1, v3, v1
	v_add3_u32 v8, v8, v4, 0x7fff
	v_add_f32_e32 v0, v0, v1
	v_cndmask_b32_e32 v4, v8, v9, vcc_lo
	v_lshlrev_b32_e32 v8, 16, v22
	v_mul_f32_e32 v2, v2, v8
	v_bfe_u32 v8, v2, 16, 1
	v_or_b32_e32 v9, 0x400000, v2
	v_cmp_u_f32_e32 vcc_lo, v2, v2
	v_add3_u32 v8, v8, v2, 0x7fff
	v_cndmask_b32_e32 v2, v8, v9, vcc_lo
	v_add_co_u32 v15, vcc_lo, v15, 16
	v_add_co_ci_u32_e64 v16, null, 0, v16, vcc_lo
	v_and_b32_e32 v1, 0xffff0000, v2
	v_and_b32_e32 v2, 0xffff0000, v4
	v_add_f32_e32 v1, v2, v1
	v_add_f32_e32 v0, v0, v1
	;; [unrolled: 1-line block ×3, first 2 shown]
	buffer_load_dword v0, off, s[0:3], s32 offset:192 ; 4-byte Folded Reload
	s_waitcnt vmcnt(0)
	v_cmp_ge_i32_e32 vcc_lo, v68, v0
	s_or_b32 s9, vcc_lo, s9
	s_andn2_b32 exec_lo, exec_lo, s9
	s_cbranch_execz .LBB362_1588
.LBB362_796:                            ; =>This Inner Loop Header: Depth=1
	flat_load_dword v0, v[15:16]
	s_clause 0x2
	buffer_load_dword v1, off, s[0:3], s32 offset:236
	buffer_load_dword v2, off, s[0:3], s32 offset:240
	;; [unrolled: 1-line block ×3, first 2 shown]
	s_waitcnt vmcnt(0) lgkmcnt(0)
	v_mad_i64_i32 v[19:20], null, v0, v1, v[2:3]
	v_mov_b32_e32 v0, 0
	flat_load_dwordx2 v[21:22], v[19:20]
	ds_read2_b64 v[6:9], v54 offset1:1
	ds_read2_b64 v[2:5], v54 offset0:2 offset1:3
	s_waitcnt vmcnt(0) lgkmcnt(2)
	v_cmp_ne_u16_sdwa s15, v21, v12 src0_sel:BYTE_0 src1_sel:DWORD
	s_and_saveexec_b32 s4, s15
	s_cbranch_execz .LBB362_804
; %bb.797:                              ;   in Loop: Header=BB362_796 Depth=1
	v_cmp_ne_u16_sdwa s18, v21, v55 src0_sel:BYTE_0 src1_sel:DWORD
	v_bfrev_b32_e32 v0, 1
	s_and_saveexec_b32 s15, s18
	s_cbranch_execz .LBB362_803
; %bb.798:                              ;   in Loop: Header=BB362_796 Depth=1
	v_and_b32_e32 v1, 0x7f, v21
	v_mov_b32_e32 v0, 0x7f800001
	s_mov_b32 s18, exec_lo
	v_cmpx_ne_u32_e32 0x7f, v1
	s_cbranch_execz .LBB362_802
; %bb.799:                              ;   in Loop: Header=BB362_796 Depth=1
	v_lshrrev_b32_e32 v0, 3, v1
	v_mov_b32_e32 v10, v21
	s_mov_b32 s19, exec_lo
	v_mov_b32_e32 v11, v22
	v_cmpx_gt_u32_e32 8, v1
; %bb.800:                              ;   in Loop: Header=BB362_796 Depth=1
	v_and_b32_e32 v0, 7, v21
	v_ffbh_u32_e32 v0, v0
	v_min_u32_e32 v0, 32, v0
	v_subrev_nc_u32_e32 v1, 28, v0
	v_sub_nc_u32_e32 v0, 29, v0
	v_lshlrev_b64 v[10:11], v1, v[21:22]
; %bb.801:                              ;   in Loop: Header=BB362_796 Depth=1
	s_or_b32 exec_lo, exec_lo, s19
	v_lshlrev_b32_e32 v1, 20, v10
	v_lshlrev_b32_e32 v10, 24, v21
	v_lshl_add_u32 v0, v0, 23, 0x3c000000
	v_and_b32_e32 v1, 0x700000, v1
	v_and_b32_e32 v10, 0x80000000, v10
	v_or3_b32 v0, v1, v10, v0
.LBB362_802:                            ;   in Loop: Header=BB362_796 Depth=1
	s_or_b32 exec_lo, exec_lo, s18
.LBB362_803:                            ;   in Loop: Header=BB362_796 Depth=1
	s_or_b32 exec_lo, exec_lo, s15
.LBB362_804:                            ;   in Loop: Header=BB362_796 Depth=1
	s_or_b32 exec_lo, exec_lo, s4
	v_cmp_ne_u16_sdwa s15, v21, v12 src0_sel:BYTE_1 src1_sel:DWORD
	v_mov_b32_e32 v10, 0
	v_mov_b32_e32 v1, 0
	s_and_saveexec_b32 s4, s15
	s_cbranch_execz .LBB362_812
; %bb.805:                              ;   in Loop: Header=BB362_796 Depth=1
	v_cmp_ne_u16_sdwa s18, v21, v55 src0_sel:BYTE_1 src1_sel:DWORD
	v_bfrev_b32_e32 v1, 1
	s_and_saveexec_b32 s15, s18
	s_cbranch_execz .LBB362_811
; %bb.806:                              ;   in Loop: Header=BB362_796 Depth=1
	v_mov_b32_e32 v1, 0xffff
	s_mov_b32 s18, exec_lo
	v_and_b32_sdwa v11, v1, v21 dst_sel:DWORD dst_unused:UNUSED_PAD src0_sel:DWORD src1_sel:BYTE_1
	v_mov_b32_e32 v1, 0x7f800001
	v_and_b32_e32 v13, 0x7f, v11
	v_cmpx_ne_u32_e32 0x7f, v13
	s_cbranch_execz .LBB362_810
; %bb.807:                              ;   in Loop: Header=BB362_796 Depth=1
	v_and_b32_e32 v11, 7, v11
	v_lshrrev_b32_e32 v1, 3, v13
	s_mov_b32 s19, exec_lo
	v_cmpx_gt_u32_e32 8, v13
; %bb.808:                              ;   in Loop: Header=BB362_796 Depth=1
	v_ffbh_u32_e32 v1, v11
	v_min_u32_e32 v1, 32, v1
	v_subrev_nc_u32_e32 v13, 28, v1
	v_sub_nc_u32_e32 v1, 29, v1
	v_lshlrev_b64 v[13:14], v13, v[11:12]
	v_and_b32_e32 v11, 7, v13
; %bb.809:                              ;   in Loop: Header=BB362_796 Depth=1
	s_or_b32 exec_lo, exec_lo, s19
	v_lshlrev_b32_e32 v13, 16, v21
	v_lshlrev_b32_e32 v11, 20, v11
	v_lshl_add_u32 v1, v1, 23, 0x3c000000
	v_and_b32_e32 v13, 0x80000000, v13
	v_or3_b32 v1, v11, v13, v1
.LBB362_810:                            ;   in Loop: Header=BB362_796 Depth=1
	s_or_b32 exec_lo, exec_lo, s18
.LBB362_811:                            ;   in Loop: Header=BB362_796 Depth=1
	s_or_b32 exec_lo, exec_lo, s15
.LBB362_812:                            ;   in Loop: Header=BB362_796 Depth=1
	s_or_b32 exec_lo, exec_lo, s4
	v_and_b32_sdwa v11, v21, v65 dst_sel:DWORD dst_unused:UNUSED_PAD src0_sel:WORD_1 src1_sel:DWORD
	s_mov_b32 s4, exec_lo
	v_cmpx_ne_u16_e32 0, v11
	s_cbranch_execz .LBB362_820
; %bb.813:                              ;   in Loop: Header=BB362_796 Depth=1
	v_bfrev_b32_e32 v10, 1
	s_mov_b32 s15, exec_lo
	v_cmpx_ne_u16_e32 0x80, v11
	s_cbranch_execz .LBB362_819
; %bb.814:                              ;   in Loop: Header=BB362_796 Depth=1
	v_bfe_u32 v13, v21, 16, 7
	v_mov_b32_e32 v10, 0x7f800001
	s_mov_b32 s18, exec_lo
	v_cmpx_ne_u32_e32 0x7f, v13
	s_cbranch_execz .LBB362_818
; %bb.815:                              ;   in Loop: Header=BB362_796 Depth=1
	v_mov_b32_e32 v10, 7
	s_mov_b32 s19, exec_lo
	v_and_b32_sdwa v11, v21, v10 dst_sel:DWORD dst_unused:UNUSED_PAD src0_sel:WORD_1 src1_sel:DWORD
	v_lshrrev_b32_e32 v10, 3, v13
	v_cmpx_gt_u32_e32 8, v13
; %bb.816:                              ;   in Loop: Header=BB362_796 Depth=1
	v_ffbh_u32_e32 v10, v11
	v_min_u32_e32 v10, 32, v10
	v_subrev_nc_u32_e32 v13, 28, v10
	v_sub_nc_u32_e32 v10, 29, v10
	v_lshlrev_b64 v[13:14], v13, v[11:12]
	v_and_b32_e32 v11, 7, v13
; %bb.817:                              ;   in Loop: Header=BB362_796 Depth=1
	s_or_b32 exec_lo, exec_lo, s19
	v_mov_b32_e32 v13, 24
	v_lshlrev_b32_e32 v11, 20, v11
	v_lshl_add_u32 v10, v10, 23, 0x3c000000
	v_lshlrev_b32_sdwa v13, v13, v21 dst_sel:DWORD dst_unused:UNUSED_PAD src0_sel:DWORD src1_sel:WORD_1
	v_and_b32_e32 v13, 0x80000000, v13
	v_or3_b32 v10, v11, v13, v10
.LBB362_818:                            ;   in Loop: Header=BB362_796 Depth=1
	s_or_b32 exec_lo, exec_lo, s18
.LBB362_819:                            ;   in Loop: Header=BB362_796 Depth=1
	s_or_b32 exec_lo, exec_lo, s15
.LBB362_820:                            ;   in Loop: Header=BB362_796 Depth=1
	s_or_b32 exec_lo, exec_lo, s4
	v_mov_b32_e32 v14, 0
	v_mov_b32_e32 v13, 0
	s_mov_b32 s4, exec_lo
	v_cmpx_lt_u32_e32 0xffffff, v21
	s_cbranch_execz .LBB362_828
; %bb.821:                              ;   in Loop: Header=BB362_796 Depth=1
	v_cmp_ne_u32_sdwa s18, v21, v55 src0_sel:BYTE_3 src1_sel:DWORD
	v_bfrev_b32_e32 v13, 1
	s_and_saveexec_b32 s15, s18
	s_cbranch_execz .LBB362_827
; %bb.822:                              ;   in Loop: Header=BB362_796 Depth=1
	v_bfe_u32 v17, v21, 24, 7
	v_mov_b32_e32 v13, 0x7f800001
	s_mov_b32 s18, exec_lo
	v_cmpx_ne_u32_e32 0x7f, v17
	s_cbranch_execz .LBB362_826
; %bb.823:                              ;   in Loop: Header=BB362_796 Depth=1
	v_mov_b32_e32 v11, 7
	v_lshrrev_b32_e32 v13, 3, v17
	s_mov_b32 s19, exec_lo
	v_and_b32_sdwa v11, v21, v11 dst_sel:DWORD dst_unused:UNUSED_PAD src0_sel:BYTE_3 src1_sel:DWORD
	v_cmpx_gt_u32_e32 8, v17
; %bb.824:                              ;   in Loop: Header=BB362_796 Depth=1
	v_ffbh_u32_e32 v13, v11
	v_min_u32_e32 v13, 32, v13
	v_subrev_nc_u32_e32 v17, 28, v13
	v_sub_nc_u32_e32 v13, 29, v13
	v_lshlrev_b64 v[17:18], v17, v[11:12]
	v_and_b32_e32 v11, 7, v17
; %bb.825:                              ;   in Loop: Header=BB362_796 Depth=1
	s_or_b32 exec_lo, exec_lo, s19
	v_mov_b32_e32 v17, 24
	v_lshlrev_b32_e32 v11, 20, v11
	v_lshl_add_u32 v13, v13, 23, 0x3c000000
	v_lshlrev_b32_sdwa v17, v17, v21 dst_sel:DWORD dst_unused:UNUSED_PAD src0_sel:DWORD src1_sel:BYTE_3
	v_and_b32_e32 v17, 0x80000000, v17
	v_or3_b32 v13, v11, v17, v13
.LBB362_826:                            ;   in Loop: Header=BB362_796 Depth=1
	s_or_b32 exec_lo, exec_lo, s18
.LBB362_827:                            ;   in Loop: Header=BB362_796 Depth=1
	s_or_b32 exec_lo, exec_lo, s15
.LBB362_828:                            ;   in Loop: Header=BB362_796 Depth=1
	s_or_b32 exec_lo, exec_lo, s4
	v_mov_b32_e32 v11, v22
	v_cmp_ne_u16_sdwa s15, v22, v12 src0_sel:BYTE_0 src1_sel:DWORD
	s_and_saveexec_b32 s4, s15
	s_cbranch_execz .LBB362_836
; %bb.829:                              ;   in Loop: Header=BB362_796 Depth=1
	v_cmp_ne_u16_sdwa s18, v22, v55 src0_sel:BYTE_0 src1_sel:DWORD
	v_bfrev_b32_e32 v14, 1
	s_and_saveexec_b32 s15, s18
	s_cbranch_execz .LBB362_835
; %bb.830:                              ;   in Loop: Header=BB362_796 Depth=1
	v_and_b32_e32 v17, 0x7f, v22
	v_mov_b32_e32 v14, 0x7f800001
	s_mov_b32 s18, exec_lo
	v_cmpx_ne_u32_e32 0x7f, v17
	s_cbranch_execz .LBB362_834
; %bb.831:                              ;   in Loop: Header=BB362_796 Depth=1
	v_mov_b32_e32 v24, v12
	v_lshrrev_b32_e32 v14, 3, v17
	v_mov_b32_e32 v23, v11
	s_mov_b32 s19, exec_lo
	v_cmpx_gt_u32_e32 8, v17
; %bb.832:                              ;   in Loop: Header=BB362_796 Depth=1
	v_and_b32_e32 v14, 7, v22
	v_ffbh_u32_e32 v14, v14
	v_min_u32_e32 v14, 32, v14
	v_subrev_nc_u32_e32 v17, 28, v14
	v_sub_nc_u32_e32 v14, 29, v14
	v_lshlrev_b64 v[23:24], v17, v[11:12]
; %bb.833:                              ;   in Loop: Header=BB362_796 Depth=1
	s_or_b32 exec_lo, exec_lo, s19
	v_lshlrev_b32_e32 v17, 20, v23
	v_lshlrev_b32_e32 v18, 24, v11
	v_lshl_add_u32 v14, v14, 23, 0x3c000000
	v_and_b32_e32 v17, 0x700000, v17
	v_and_b32_e32 v18, 0x80000000, v18
	v_or3_b32 v14, v17, v18, v14
.LBB362_834:                            ;   in Loop: Header=BB362_796 Depth=1
	s_or_b32 exec_lo, exec_lo, s18
.LBB362_835:                            ;   in Loop: Header=BB362_796 Depth=1
	s_or_b32 exec_lo, exec_lo, s15
.LBB362_836:                            ;   in Loop: Header=BB362_796 Depth=1
	s_or_b32 exec_lo, exec_lo, s4
	v_cmp_ne_u16_sdwa s15, v11, v12 src0_sel:BYTE_1 src1_sel:DWORD
	v_mov_b32_e32 v17, 0
	v_mov_b32_e32 v18, 0
	s_and_saveexec_b32 s4, s15
	s_cbranch_execz .LBB362_844
; %bb.837:                              ;   in Loop: Header=BB362_796 Depth=1
	v_cmp_ne_u16_sdwa s18, v11, v55 src0_sel:BYTE_1 src1_sel:DWORD
	v_bfrev_b32_e32 v18, 1
	s_and_saveexec_b32 s15, s18
	s_cbranch_execz .LBB362_843
; %bb.838:                              ;   in Loop: Header=BB362_796 Depth=1
	v_mov_b32_e32 v18, 0xffff
	s_mov_b32 s18, exec_lo
	v_and_b32_sdwa v23, v18, v11 dst_sel:DWORD dst_unused:UNUSED_PAD src0_sel:DWORD src1_sel:BYTE_1
	v_mov_b32_e32 v18, 0x7f800001
	v_and_b32_e32 v25, 0x7f, v23
	v_cmpx_ne_u32_e32 0x7f, v25
	s_cbranch_execz .LBB362_842
; %bb.839:                              ;   in Loop: Header=BB362_796 Depth=1
	v_and_b32_e32 v23, 7, v23
	v_mov_b32_e32 v24, v12
	v_lshrrev_b32_e32 v18, 3, v25
	s_mov_b32 s19, exec_lo
	v_cmpx_gt_u32_e32 8, v25
; %bb.840:                              ;   in Loop: Header=BB362_796 Depth=1
	v_ffbh_u32_e32 v18, v23
	v_min_u32_e32 v18, 32, v18
	v_subrev_nc_u32_e32 v25, 28, v18
	v_sub_nc_u32_e32 v18, 29, v18
	v_lshlrev_b64 v[23:24], v25, v[23:24]
	v_and_b32_e32 v23, 7, v23
; %bb.841:                              ;   in Loop: Header=BB362_796 Depth=1
	s_or_b32 exec_lo, exec_lo, s19
	v_lshlrev_b32_e32 v11, 16, v11
	v_lshlrev_b32_e32 v23, 20, v23
	v_lshl_add_u32 v18, v18, 23, 0x3c000000
	v_and_b32_e32 v11, 0x80000000, v11
	v_or3_b32 v18, v23, v11, v18
.LBB362_842:                            ;   in Loop: Header=BB362_796 Depth=1
	s_or_b32 exec_lo, exec_lo, s18
.LBB362_843:                            ;   in Loop: Header=BB362_796 Depth=1
	s_or_b32 exec_lo, exec_lo, s15
.LBB362_844:                            ;   in Loop: Header=BB362_796 Depth=1
	s_or_b32 exec_lo, exec_lo, s4
	v_and_b32_sdwa v11, v22, v65 dst_sel:DWORD dst_unused:UNUSED_PAD src0_sel:WORD_1 src1_sel:DWORD
	s_mov_b32 s4, exec_lo
	v_cmpx_ne_u16_e32 0, v11
	s_cbranch_execz .LBB362_852
; %bb.845:                              ;   in Loop: Header=BB362_796 Depth=1
	v_bfrev_b32_e32 v17, 1
	s_mov_b32 s15, exec_lo
	v_cmpx_ne_u16_e32 0x80, v11
	s_cbranch_execz .LBB362_851
; %bb.846:                              ;   in Loop: Header=BB362_796 Depth=1
	v_bfe_u32 v23, v22, 16, 7
	v_mov_b32_e32 v17, 0x7f800001
	s_mov_b32 s18, exec_lo
	v_cmpx_ne_u32_e32 0x7f, v23
	s_cbranch_execz .LBB362_850
; %bb.847:                              ;   in Loop: Header=BB362_796 Depth=1
	v_mov_b32_e32 v11, 7
	v_lshrrev_b32_e32 v17, 3, v23
	s_mov_b32 s19, exec_lo
	v_and_b32_sdwa v11, v22, v11 dst_sel:DWORD dst_unused:UNUSED_PAD src0_sel:WORD_1 src1_sel:DWORD
	v_cmpx_gt_u32_e32 8, v23
; %bb.848:                              ;   in Loop: Header=BB362_796 Depth=1
	v_ffbh_u32_e32 v17, v11
	v_min_u32_e32 v17, 32, v17
	v_subrev_nc_u32_e32 v23, 28, v17
	v_sub_nc_u32_e32 v17, 29, v17
	v_lshlrev_b64 v[23:24], v23, v[11:12]
	v_and_b32_e32 v11, 7, v23
; %bb.849:                              ;   in Loop: Header=BB362_796 Depth=1
	s_or_b32 exec_lo, exec_lo, s19
	v_mov_b32_e32 v23, 24
	v_lshlrev_b32_e32 v11, 20, v11
	v_lshl_add_u32 v17, v17, 23, 0x3c000000
	v_lshlrev_b32_sdwa v23, v23, v22 dst_sel:DWORD dst_unused:UNUSED_PAD src0_sel:DWORD src1_sel:WORD_1
	v_and_b32_e32 v23, 0x80000000, v23
	v_or3_b32 v17, v11, v23, v17
.LBB362_850:                            ;   in Loop: Header=BB362_796 Depth=1
	s_or_b32 exec_lo, exec_lo, s18
.LBB362_851:                            ;   in Loop: Header=BB362_796 Depth=1
	s_or_b32 exec_lo, exec_lo, s15
.LBB362_852:                            ;   in Loop: Header=BB362_796 Depth=1
	s_or_b32 exec_lo, exec_lo, s4
	v_mov_b32_e32 v11, 0
	s_mov_b32 s4, exec_lo
	v_cmpx_lt_u64_e64 s[6:7], v[21:22]
	s_cbranch_execz .LBB362_860
; %bb.853:                              ;   in Loop: Header=BB362_796 Depth=1
	v_cmp_ne_u32_sdwa s18, v22, v55 src0_sel:BYTE_3 src1_sel:DWORD
	v_bfrev_b32_e32 v11, 1
	s_and_saveexec_b32 s15, s18
	s_cbranch_execz .LBB362_859
; %bb.854:                              ;   in Loop: Header=BB362_796 Depth=1
	v_bfe_u32 v23, v22, 24, 7
	v_mov_b32_e32 v11, 0x7f800001
	s_mov_b32 s18, exec_lo
	v_cmpx_ne_u32_e32 0x7f, v23
	s_cbranch_execz .LBB362_858
; %bb.855:                              ;   in Loop: Header=BB362_796 Depth=1
	v_mov_b32_e32 v11, 7
	v_lshrrev_b32_e32 v21, 3, v23
	s_mov_b32 s19, exec_lo
	v_and_b32_sdwa v11, v22, v11 dst_sel:DWORD dst_unused:UNUSED_PAD src0_sel:BYTE_3 src1_sel:DWORD
	v_cmpx_gt_u32_e32 8, v23
; %bb.856:                              ;   in Loop: Header=BB362_796 Depth=1
	v_ffbh_u32_e32 v21, v11
	v_min_u32_e32 v21, 32, v21
	v_subrev_nc_u32_e32 v23, 28, v21
	v_sub_nc_u32_e32 v21, 29, v21
	v_lshlrev_b64 v[23:24], v23, v[11:12]
	v_and_b32_e32 v11, 7, v23
; %bb.857:                              ;   in Loop: Header=BB362_796 Depth=1
	s_or_b32 exec_lo, exec_lo, s19
	v_mov_b32_e32 v23, 24
	v_lshlrev_b32_e32 v11, 20, v11
	v_lshl_add_u32 v21, v21, 23, 0x3c000000
	v_lshlrev_b32_sdwa v22, v23, v22 dst_sel:DWORD dst_unused:UNUSED_PAD src0_sel:DWORD src1_sel:BYTE_3
	v_and_b32_e32 v22, 0x80000000, v22
	v_or3_b32 v11, v11, v22, v21
.LBB362_858:                            ;   in Loop: Header=BB362_796 Depth=1
	s_or_b32 exec_lo, exec_lo, s18
.LBB362_859:                            ;   in Loop: Header=BB362_796 Depth=1
	s_or_b32 exec_lo, exec_lo, s15
.LBB362_860:                            ;   in Loop: Header=BB362_796 Depth=1
	s_or_b32 exec_lo, exec_lo, s4
	buffer_load_dword v21, off, s[0:3], s32 offset:192 ; 4-byte Folded Reload
	v_mul_f32_e32 v18, v52, v18
	v_mul_f32_e32 v14, v52, v14
	;; [unrolled: 1-line block ×5, first 2 shown]
	v_or_b32_e32 v22, 0x400000, v18
	v_bfe_u32 v23, v14, 16, 1
	v_cmp_u_f32_e64 s4, v18, v18
	v_or_b32_e32 v24, 0x400000, v14
	v_bfe_u32 v25, v13, 16, 1
	v_or_b32_e32 v26, 0x400000, v13
	v_add3_u32 v23, v23, v14, 0x7fff
	v_mul_f32_e32 v0, v52, v0
	v_mul_f32_e32 v11, v52, v11
	v_add_nc_u32_e32 v117, -7, v53
	v_add_nc_u32_e32 v43, -6, v53
	v_add_nc_u32_e32 v42, -5, v53
	v_add_nc_u32_e32 v41, -4, v53
	v_add_nc_u32_e32 v40, -3, v53
	v_add_nc_u32_e32 v119, -2, v53
	v_add_nc_u32_e32 v118, -1, v53
	s_waitcnt vmcnt(0)
	v_add_nc_u32_e32 v21, -1, v21
	v_cmp_eq_u32_e32 vcc_lo, v21, v68
	v_bfe_u32 v21, v18, 16, 1
	v_add3_u32 v21, v21, v18, 0x7fff
	v_cndmask_b32_e64 v18, v21, v22, s4
	v_cmp_u_f32_e64 s4, v14, v14
	v_add3_u32 v22, v25, v13, 0x7fff
	v_bfe_u32 v21, v10, 16, 1
	v_lshrrev_b32_e32 v18, 16, v18
	v_cndmask_b32_e64 v14, v23, v24, s4
	v_cmp_u_f32_e64 s4, v13, v13
	v_or_b32_e32 v23, 0x400000, v11
	buffer_store_dword v18, off, s[0:3], s32 offset:208 ; 4-byte Folded Spill
	v_add3_u32 v18, v21, v10, 0x7fff
	v_cndmask_b32_e64 v13, v22, v26, s4
	v_or_b32_e32 v21, 0x400000, v10
	v_lshrrev_b32_e32 v14, 16, v14
	v_cmp_u_f32_e64 s4, v10, v10
	v_lshrrev_b32_e32 v13, 16, v13
	buffer_store_dword v14, off, s[0:3], s32 offset:200 ; 4-byte Folded Spill
	v_cndmask_b32_e64 v10, v18, v21, s4
	v_mul_f32_e32 v14, v52, v17
	buffer_store_dword v13, off, s[0:3], s32 offset:216 ; 4-byte Folded Spill
	v_bfe_u32 v13, v1, 16, 1
	v_or_b32_e32 v17, 0x400000, v1
	v_bfe_u32 v18, v0, 16, 1
	v_cmp_u_f32_e64 s4, v1, v1
	v_bfe_u32 v21, v14, 16, 1
	v_add3_u32 v13, v13, v1, 0x7fff
	v_or_b32_e32 v22, 0x400000, v14
	v_lshrrev_b32_e32 v10, 16, v10
	v_add3_u32 v21, v21, v14, 0x7fff
	v_cndmask_b32_e64 v1, v13, v17, s4
	v_add3_u32 v17, v18, v0, 0x7fff
	v_or_b32_e32 v18, 0x400000, v0
	v_cmp_u_f32_e64 s4, v0, v0
	v_bfe_u32 v13, v11, 16, 1
	v_lshrrev_b32_e32 v1, 16, v1
	buffer_store_dword v10, off, s[0:3], s32 offset:212 ; 4-byte Folded Spill
	v_cndmask_b32_e64 v0, v17, v18, s4
	v_cmp_u_f32_e64 s4, v14, v14
	v_add3_u32 v13, v13, v11, 0x7fff
	buffer_store_dword v1, off, s[0:3], s32 offset:224 ; 4-byte Folded Spill
	v_lshrrev_b32_e32 v0, 16, v0
	v_cndmask_b32_e64 v14, v21, v22, s4
	v_cmp_u_f32_e64 s4, v11, v11
	buffer_store_dword v0, off, s[0:3], s32 offset:220 ; 4-byte Folded Spill
	v_lshrrev_b32_e32 v0, 16, v14
	v_cndmask_b32_e64 v11, v13, v23, s4
	buffer_store_dword v0, off, s[0:3], s32 offset:196 ; 4-byte Folded Spill
	v_lshrrev_b32_e32 v0, 16, v11
	buffer_store_dword v0, off, s[0:3], s32 offset:204 ; 4-byte Folded Spill
	s_and_saveexec_b32 s15, vcc_lo
	s_cbranch_execz .LBB362_862
; %bb.861:                              ;   in Loop: Header=BB362_796 Depth=1
	buffer_load_dword v0, off, s[0:3], s32 offset:220 ; 4-byte Folded Reload
	v_cmp_lt_i32_e64 s4, v117, v29
	s_waitcnt vmcnt(0)
	v_cndmask_b32_e64 v0, 0, v0, s4
	v_cmp_lt_i32_e64 s4, v43, v29
	buffer_store_dword v0, off, s[0:3], s32 offset:220 ; 4-byte Folded Spill
	buffer_load_dword v0, off, s[0:3], s32 offset:224 ; 4-byte Folded Reload
	s_waitcnt vmcnt(0)
	v_cndmask_b32_e64 v0, 0, v0, s4
	v_cmp_lt_i32_e64 s4, v42, v29
	buffer_store_dword v0, off, s[0:3], s32 offset:224 ; 4-byte Folded Spill
	buffer_load_dword v0, off, s[0:3], s32 offset:212 ; 4-byte Folded Reload
	;; [unrolled: 5-line block ×7, first 2 shown]
	s_waitcnt vmcnt(0)
	v_cndmask_b32_e64 v0, 0, v0, s4
	buffer_store_dword v0, off, s[0:3], s32 offset:204 ; 4-byte Folded Spill
.LBB362_862:                            ;   in Loop: Header=BB362_796 Depth=1
	s_or_b32 exec_lo, exec_lo, s15
	flat_load_dwordx2 v[21:22], v[19:20] offset:256
	v_mov_b32_e32 v1, 0
	v_mov_b32_e32 v0, 0
	s_waitcnt vmcnt(0) lgkmcnt(0)
	v_cmp_ne_u16_sdwa s4, v21, v12 src0_sel:BYTE_0 src1_sel:DWORD
	s_and_saveexec_b32 s15, s4
	s_cbranch_execz .LBB362_870
; %bb.863:                              ;   in Loop: Header=BB362_796 Depth=1
	v_cmp_ne_u16_sdwa s4, v21, v55 src0_sel:BYTE_0 src1_sel:DWORD
	v_bfrev_b32_e32 v0, 1
	s_and_saveexec_b32 s18, s4
	s_cbranch_execz .LBB362_869
; %bb.864:                              ;   in Loop: Header=BB362_796 Depth=1
	v_and_b32_e32 v10, 0x7f, v21
	v_mov_b32_e32 v0, 0x7f800001
	s_mov_b32 s19, exec_lo
	v_cmpx_ne_u32_e32 0x7f, v10
	s_cbranch_execz .LBB362_868
; %bb.865:                              ;   in Loop: Header=BB362_796 Depth=1
	v_lshrrev_b32_e32 v0, 3, v10
	v_cmp_gt_u32_e64 s4, 8, v10
	v_mov_b32_e32 v10, v21
	v_mov_b32_e32 v11, v22
	s_and_saveexec_b32 s20, s4
; %bb.866:                              ;   in Loop: Header=BB362_796 Depth=1
	v_and_b32_e32 v0, 7, v21
	v_ffbh_u32_e32 v0, v0
	v_min_u32_e32 v0, 32, v0
	v_subrev_nc_u32_e32 v10, 28, v0
	v_sub_nc_u32_e32 v0, 29, v0
	v_lshlrev_b64 v[10:11], v10, v[21:22]
; %bb.867:                              ;   in Loop: Header=BB362_796 Depth=1
	s_or_b32 exec_lo, exec_lo, s20
	v_lshlrev_b32_e32 v10, 20, v10
	v_lshlrev_b32_e32 v11, 24, v21
	v_lshl_add_u32 v0, v0, 23, 0x3c000000
	v_and_b32_e32 v10, 0x700000, v10
	v_and_b32_e32 v11, 0x80000000, v11
	v_or3_b32 v0, v10, v11, v0
.LBB362_868:                            ;   in Loop: Header=BB362_796 Depth=1
	s_or_b32 exec_lo, exec_lo, s19
.LBB362_869:                            ;   in Loop: Header=BB362_796 Depth=1
	s_or_b32 exec_lo, exec_lo, s18
.LBB362_870:                            ;   in Loop: Header=BB362_796 Depth=1
	s_or_b32 exec_lo, exec_lo, s15
	v_cmp_ne_u16_sdwa s4, v21, v12 src0_sel:BYTE_1 src1_sel:DWORD
	s_and_saveexec_b32 s15, s4
	s_cbranch_execz .LBB362_878
; %bb.871:                              ;   in Loop: Header=BB362_796 Depth=1
	v_cmp_ne_u16_sdwa s4, v21, v55 src0_sel:BYTE_1 src1_sel:DWORD
	v_bfrev_b32_e32 v1, 1
	s_and_saveexec_b32 s18, s4
	s_cbranch_execz .LBB362_877
; %bb.872:                              ;   in Loop: Header=BB362_796 Depth=1
	v_mov_b32_e32 v1, 0xffff
	s_mov_b32 s19, exec_lo
	v_and_b32_sdwa v11, v1, v21 dst_sel:DWORD dst_unused:UNUSED_PAD src0_sel:DWORD src1_sel:BYTE_1
	v_mov_b32_e32 v1, 0x7f800001
	v_and_b32_e32 v10, 0x7f, v11
	v_cmpx_ne_u32_e32 0x7f, v10
	s_cbranch_execz .LBB362_876
; %bb.873:                              ;   in Loop: Header=BB362_796 Depth=1
	v_and_b32_e32 v11, 7, v11
	v_lshrrev_b32_e32 v1, 3, v10
	s_mov_b32 s20, exec_lo
	v_cmpx_gt_u32_e32 8, v10
; %bb.874:                              ;   in Loop: Header=BB362_796 Depth=1
	v_ffbh_u32_e32 v1, v11
	v_min_u32_e32 v1, 32, v1
	v_subrev_nc_u32_e32 v10, 28, v1
	v_sub_nc_u32_e32 v1, 29, v1
	v_lshlrev_b64 v[10:11], v10, v[11:12]
	v_and_b32_e32 v11, 7, v10
; %bb.875:                              ;   in Loop: Header=BB362_796 Depth=1
	s_or_b32 exec_lo, exec_lo, s20
	v_lshlrev_b32_e32 v10, 16, v21
	v_lshlrev_b32_e32 v11, 20, v11
	v_lshl_add_u32 v1, v1, 23, 0x3c000000
	v_and_b32_e32 v10, 0x80000000, v10
	v_or3_b32 v1, v11, v10, v1
.LBB362_876:                            ;   in Loop: Header=BB362_796 Depth=1
	s_or_b32 exec_lo, exec_lo, s19
.LBB362_877:                            ;   in Loop: Header=BB362_796 Depth=1
	s_or_b32 exec_lo, exec_lo, s18
.LBB362_878:                            ;   in Loop: Header=BB362_796 Depth=1
	s_or_b32 exec_lo, exec_lo, s15
	v_and_b32_sdwa v11, v21, v65 dst_sel:DWORD dst_unused:UNUSED_PAD src0_sel:WORD_1 src1_sel:DWORD
	v_mov_b32_e32 v13, 0
	v_mov_b32_e32 v10, 0
	s_mov_b32 s15, exec_lo
	v_cmpx_ne_u16_e32 0, v11
	s_cbranch_execz .LBB362_886
; %bb.879:                              ;   in Loop: Header=BB362_796 Depth=1
	v_bfrev_b32_e32 v10, 1
	s_mov_b32 s18, exec_lo
	v_cmpx_ne_u16_e32 0x80, v11
	s_cbranch_execz .LBB362_885
; %bb.880:                              ;   in Loop: Header=BB362_796 Depth=1
	v_bfe_u32 v14, v21, 16, 7
	v_mov_b32_e32 v10, 0x7f800001
	s_mov_b32 s19, exec_lo
	v_cmpx_ne_u32_e32 0x7f, v14
	s_cbranch_execz .LBB362_884
; %bb.881:                              ;   in Loop: Header=BB362_796 Depth=1
	v_mov_b32_e32 v10, 7
	s_mov_b32 s20, exec_lo
	v_and_b32_sdwa v11, v21, v10 dst_sel:DWORD dst_unused:UNUSED_PAD src0_sel:WORD_1 src1_sel:DWORD
	v_lshrrev_b32_e32 v10, 3, v14
	v_cmpx_gt_u32_e32 8, v14
; %bb.882:                              ;   in Loop: Header=BB362_796 Depth=1
	v_ffbh_u32_e32 v10, v11
	v_min_u32_e32 v10, 32, v10
	v_subrev_nc_u32_e32 v14, 28, v10
	v_sub_nc_u32_e32 v10, 29, v10
	v_lshlrev_b64 v[17:18], v14, v[11:12]
	v_and_b32_e32 v11, 7, v17
; %bb.883:                              ;   in Loop: Header=BB362_796 Depth=1
	s_or_b32 exec_lo, exec_lo, s20
	v_mov_b32_e32 v14, 24
	v_lshlrev_b32_e32 v11, 20, v11
	v_lshl_add_u32 v10, v10, 23, 0x3c000000
	v_lshlrev_b32_sdwa v14, v14, v21 dst_sel:DWORD dst_unused:UNUSED_PAD src0_sel:DWORD src1_sel:WORD_1
	v_and_b32_e32 v14, 0x80000000, v14
	v_or3_b32 v10, v11, v14, v10
.LBB362_884:                            ;   in Loop: Header=BB362_796 Depth=1
	s_or_b32 exec_lo, exec_lo, s19
.LBB362_885:                            ;   in Loop: Header=BB362_796 Depth=1
	s_or_b32 exec_lo, exec_lo, s18
.LBB362_886:                            ;   in Loop: Header=BB362_796 Depth=1
	s_or_b32 exec_lo, exec_lo, s15
	s_mov_b32 s15, exec_lo
	v_cmpx_lt_u32_e32 0xffffff, v21
	s_cbranch_execz .LBB362_894
; %bb.887:                              ;   in Loop: Header=BB362_796 Depth=1
	v_cmp_ne_u32_sdwa s4, v21, v55 src0_sel:BYTE_3 src1_sel:DWORD
	v_bfrev_b32_e32 v13, 1
	s_and_saveexec_b32 s18, s4
	s_cbranch_execz .LBB362_893
; %bb.888:                              ;   in Loop: Header=BB362_796 Depth=1
	v_bfe_u32 v14, v21, 24, 7
	v_mov_b32_e32 v13, 0x7f800001
	s_mov_b32 s19, exec_lo
	v_cmpx_ne_u32_e32 0x7f, v14
	s_cbranch_execz .LBB362_892
; %bb.889:                              ;   in Loop: Header=BB362_796 Depth=1
	v_mov_b32_e32 v11, 7
	v_lshrrev_b32_e32 v13, 3, v14
	s_mov_b32 s20, exec_lo
	v_and_b32_sdwa v11, v21, v11 dst_sel:DWORD dst_unused:UNUSED_PAD src0_sel:BYTE_3 src1_sel:DWORD
	v_cmpx_gt_u32_e32 8, v14
; %bb.890:                              ;   in Loop: Header=BB362_796 Depth=1
	v_ffbh_u32_e32 v13, v11
	v_min_u32_e32 v13, 32, v13
	v_subrev_nc_u32_e32 v14, 28, v13
	v_sub_nc_u32_e32 v13, 29, v13
	v_lshlrev_b64 v[17:18], v14, v[11:12]
	v_and_b32_e32 v11, 7, v17
; %bb.891:                              ;   in Loop: Header=BB362_796 Depth=1
	s_or_b32 exec_lo, exec_lo, s20
	v_mov_b32_e32 v14, 24
	v_lshlrev_b32_e32 v11, 20, v11
	v_lshl_add_u32 v13, v13, 23, 0x3c000000
	v_lshlrev_b32_sdwa v14, v14, v21 dst_sel:DWORD dst_unused:UNUSED_PAD src0_sel:DWORD src1_sel:BYTE_3
	v_and_b32_e32 v14, 0x80000000, v14
	v_or3_b32 v13, v11, v14, v13
.LBB362_892:                            ;   in Loop: Header=BB362_796 Depth=1
	s_or_b32 exec_lo, exec_lo, s19
.LBB362_893:                            ;   in Loop: Header=BB362_796 Depth=1
	s_or_b32 exec_lo, exec_lo, s18
.LBB362_894:                            ;   in Loop: Header=BB362_796 Depth=1
	s_or_b32 exec_lo, exec_lo, s15
	v_mov_b32_e32 v11, v22
	v_cmp_ne_u16_sdwa s4, v22, v12 src0_sel:BYTE_0 src1_sel:DWORD
	v_mov_b32_e32 v17, 0
	v_mov_b32_e32 v14, 0
	s_and_saveexec_b32 s15, s4
	s_cbranch_execz .LBB362_902
; %bb.895:                              ;   in Loop: Header=BB362_796 Depth=1
	v_cmp_ne_u16_sdwa s4, v22, v55 src0_sel:BYTE_0 src1_sel:DWORD
	v_bfrev_b32_e32 v14, 1
	s_and_saveexec_b32 s18, s4
	s_cbranch_execz .LBB362_901
; %bb.896:                              ;   in Loop: Header=BB362_796 Depth=1
	v_and_b32_e32 v18, 0x7f, v22
	v_mov_b32_e32 v14, 0x7f800001
	s_mov_b32 s19, exec_lo
	v_cmpx_ne_u32_e32 0x7f, v18
	s_cbranch_execz .LBB362_900
; %bb.897:                              ;   in Loop: Header=BB362_796 Depth=1
	v_mov_b32_e32 v24, v12
	v_lshrrev_b32_e32 v14, 3, v18
	v_mov_b32_e32 v23, v11
	s_mov_b32 s20, exec_lo
	v_cmpx_gt_u32_e32 8, v18
; %bb.898:                              ;   in Loop: Header=BB362_796 Depth=1
	v_and_b32_e32 v14, 7, v22
	v_ffbh_u32_e32 v14, v14
	v_min_u32_e32 v14, 32, v14
	v_subrev_nc_u32_e32 v18, 28, v14
	v_sub_nc_u32_e32 v14, 29, v14
	v_lshlrev_b64 v[23:24], v18, v[11:12]
; %bb.899:                              ;   in Loop: Header=BB362_796 Depth=1
	s_or_b32 exec_lo, exec_lo, s20
	v_lshlrev_b32_e32 v18, 20, v23
	v_lshlrev_b32_e32 v23, 24, v11
	v_lshl_add_u32 v14, v14, 23, 0x3c000000
	v_and_b32_e32 v18, 0x700000, v18
	v_and_b32_e32 v23, 0x80000000, v23
	v_or3_b32 v14, v18, v23, v14
.LBB362_900:                            ;   in Loop: Header=BB362_796 Depth=1
	s_or_b32 exec_lo, exec_lo, s19
.LBB362_901:                            ;   in Loop: Header=BB362_796 Depth=1
	s_or_b32 exec_lo, exec_lo, s18
.LBB362_902:                            ;   in Loop: Header=BB362_796 Depth=1
	s_or_b32 exec_lo, exec_lo, s15
	v_cmp_ne_u16_sdwa s4, v11, v12 src0_sel:BYTE_1 src1_sel:DWORD
	s_and_saveexec_b32 s15, s4
	s_cbranch_execz .LBB362_910
; %bb.903:                              ;   in Loop: Header=BB362_796 Depth=1
	v_cmp_ne_u16_sdwa s4, v11, v55 src0_sel:BYTE_1 src1_sel:DWORD
	v_bfrev_b32_e32 v17, 1
	s_and_saveexec_b32 s18, s4
	s_cbranch_execz .LBB362_909
; %bb.904:                              ;   in Loop: Header=BB362_796 Depth=1
	v_mov_b32_e32 v17, 0xffff
	s_mov_b32 s19, exec_lo
	v_and_b32_sdwa v23, v17, v11 dst_sel:DWORD dst_unused:UNUSED_PAD src0_sel:DWORD src1_sel:BYTE_1
	v_mov_b32_e32 v17, 0x7f800001
	v_and_b32_e32 v18, 0x7f, v23
	v_cmpx_ne_u32_e32 0x7f, v18
	s_cbranch_execz .LBB362_908
; %bb.905:                              ;   in Loop: Header=BB362_796 Depth=1
	v_and_b32_e32 v23, 7, v23
	v_mov_b32_e32 v24, v12
	v_lshrrev_b32_e32 v17, 3, v18
	s_mov_b32 s20, exec_lo
	v_cmpx_gt_u32_e32 8, v18
; %bb.906:                              ;   in Loop: Header=BB362_796 Depth=1
	v_ffbh_u32_e32 v17, v23
	v_min_u32_e32 v17, 32, v17
	v_subrev_nc_u32_e32 v18, 28, v17
	v_sub_nc_u32_e32 v17, 29, v17
	v_lshlrev_b64 v[23:24], v18, v[23:24]
	v_and_b32_e32 v23, 7, v23
; %bb.907:                              ;   in Loop: Header=BB362_796 Depth=1
	s_or_b32 exec_lo, exec_lo, s20
	v_lshlrev_b32_e32 v11, 16, v11
	v_lshlrev_b32_e32 v18, 20, v23
	v_lshl_add_u32 v17, v17, 23, 0x3c000000
	v_and_b32_e32 v11, 0x80000000, v11
	v_or3_b32 v17, v18, v11, v17
.LBB362_908:                            ;   in Loop: Header=BB362_796 Depth=1
	s_or_b32 exec_lo, exec_lo, s19
.LBB362_909:                            ;   in Loop: Header=BB362_796 Depth=1
	s_or_b32 exec_lo, exec_lo, s18
.LBB362_910:                            ;   in Loop: Header=BB362_796 Depth=1
	s_or_b32 exec_lo, exec_lo, s15
	v_and_b32_sdwa v11, v22, v65 dst_sel:DWORD dst_unused:UNUSED_PAD src0_sel:WORD_1 src1_sel:DWORD
	v_mov_b32_e32 v18, 0
	v_mov_b32_e32 v23, 0
	s_mov_b32 s15, exec_lo
	v_cmpx_ne_u16_e32 0, v11
	s_cbranch_execz .LBB362_918
; %bb.911:                              ;   in Loop: Header=BB362_796 Depth=1
	v_bfrev_b32_e32 v23, 1
	s_mov_b32 s18, exec_lo
	v_cmpx_ne_u16_e32 0x80, v11
	s_cbranch_execz .LBB362_917
; %bb.912:                              ;   in Loop: Header=BB362_796 Depth=1
	v_bfe_u32 v24, v22, 16, 7
	v_mov_b32_e32 v23, 0x7f800001
	s_mov_b32 s19, exec_lo
	v_cmpx_ne_u32_e32 0x7f, v24
	s_cbranch_execz .LBB362_916
; %bb.913:                              ;   in Loop: Header=BB362_796 Depth=1
	v_mov_b32_e32 v11, 7
	v_lshrrev_b32_e32 v23, 3, v24
	s_mov_b32 s20, exec_lo
	v_and_b32_sdwa v11, v22, v11 dst_sel:DWORD dst_unused:UNUSED_PAD src0_sel:WORD_1 src1_sel:DWORD
	v_cmpx_gt_u32_e32 8, v24
; %bb.914:                              ;   in Loop: Header=BB362_796 Depth=1
	v_ffbh_u32_e32 v23, v11
	v_min_u32_e32 v23, 32, v23
	v_subrev_nc_u32_e32 v24, 28, v23
	v_sub_nc_u32_e32 v23, 29, v23
	v_lshlrev_b64 v[24:25], v24, v[11:12]
	v_and_b32_e32 v11, 7, v24
; %bb.915:                              ;   in Loop: Header=BB362_796 Depth=1
	s_or_b32 exec_lo, exec_lo, s20
	v_mov_b32_e32 v24, 24
	v_lshlrev_b32_e32 v11, 20, v11
	v_lshl_add_u32 v23, v23, 23, 0x3c000000
	v_lshlrev_b32_sdwa v24, v24, v22 dst_sel:DWORD dst_unused:UNUSED_PAD src0_sel:DWORD src1_sel:WORD_1
	v_and_b32_e32 v24, 0x80000000, v24
	v_or3_b32 v23, v11, v24, v23
.LBB362_916:                            ;   in Loop: Header=BB362_796 Depth=1
	s_or_b32 exec_lo, exec_lo, s19
.LBB362_917:                            ;   in Loop: Header=BB362_796 Depth=1
	s_or_b32 exec_lo, exec_lo, s18
.LBB362_918:                            ;   in Loop: Header=BB362_796 Depth=1
	s_or_b32 exec_lo, exec_lo, s15
	s_mov_b32 s15, exec_lo
	v_cmpx_lt_u64_e64 s[6:7], v[21:22]
	s_cbranch_execz .LBB362_926
; %bb.919:                              ;   in Loop: Header=BB362_796 Depth=1
	v_cmp_ne_u32_sdwa s4, v22, v55 src0_sel:BYTE_3 src1_sel:DWORD
	v_bfrev_b32_e32 v18, 1
	s_and_saveexec_b32 s18, s4
	s_cbranch_execz .LBB362_925
; %bb.920:                              ;   in Loop: Header=BB362_796 Depth=1
	v_bfe_u32 v21, v22, 24, 7
	v_mov_b32_e32 v18, 0x7f800001
	s_mov_b32 s19, exec_lo
	v_cmpx_ne_u32_e32 0x7f, v21
	s_cbranch_execz .LBB362_924
; %bb.921:                              ;   in Loop: Header=BB362_796 Depth=1
	v_mov_b32_e32 v11, 7
	v_lshrrev_b32_e32 v18, 3, v21
	s_mov_b32 s20, exec_lo
	v_and_b32_sdwa v11, v22, v11 dst_sel:DWORD dst_unused:UNUSED_PAD src0_sel:BYTE_3 src1_sel:DWORD
	v_cmpx_gt_u32_e32 8, v21
; %bb.922:                              ;   in Loop: Header=BB362_796 Depth=1
	v_ffbh_u32_e32 v18, v11
	v_min_u32_e32 v18, 32, v18
	v_subrev_nc_u32_e32 v21, 28, v18
	v_sub_nc_u32_e32 v18, 29, v18
	v_lshlrev_b64 v[24:25], v21, v[11:12]
	v_and_b32_e32 v11, 7, v24
; %bb.923:                              ;   in Loop: Header=BB362_796 Depth=1
	s_or_b32 exec_lo, exec_lo, s20
	v_mov_b32_e32 v21, 24
	v_lshlrev_b32_e32 v11, 20, v11
	v_lshl_add_u32 v18, v18, 23, 0x3c000000
	v_lshlrev_b32_sdwa v21, v21, v22 dst_sel:DWORD dst_unused:UNUSED_PAD src0_sel:DWORD src1_sel:BYTE_3
	v_and_b32_e32 v21, 0x80000000, v21
	v_or3_b32 v18, v11, v21, v18
.LBB362_924:                            ;   in Loop: Header=BB362_796 Depth=1
	s_or_b32 exec_lo, exec_lo, s19
.LBB362_925:                            ;   in Loop: Header=BB362_796 Depth=1
	s_or_b32 exec_lo, exec_lo, s18
.LBB362_926:                            ;   in Loop: Header=BB362_796 Depth=1
	s_or_b32 exec_lo, exec_lo, s15
	v_mul_f32_e32 v11, v52, v17
	v_mul_f32_e32 v14, v52, v14
	;; [unrolled: 1-line block ×5, first 2 shown]
	v_bfe_u32 v17, v11, 16, 1
	v_or_b32_e32 v21, 0x400000, v11
	v_bfe_u32 v22, v14, 16, 1
	v_cmp_u_f32_e64 s4, v11, v11
	v_or_b32_e32 v24, 0x400000, v14
	v_add3_u32 v17, v17, v11, 0x7fff
	v_bfe_u32 v25, v13, 16, 1
	v_add3_u32 v22, v22, v14, 0x7fff
	v_or_b32_e32 v26, 0x400000, v13
	v_bfe_u32 v28, v10, 16, 1
	v_cndmask_b32_e64 v11, v17, v21, s4
	v_cmp_u_f32_e64 s4, v14, v14
	v_add3_u32 v25, v25, v13, 0x7fff
	v_or_b32_e32 v17, 0x400000, v10
	v_mul_f32_e32 v0, v52, v0
	v_lshrrev_b32_e32 v96, 16, v11
	v_cndmask_b32_e64 v14, v22, v24, s4
	v_cmp_u_f32_e64 s4, v13, v13
	v_add3_u32 v11, v28, v10, 0x7fff
	v_lshrrev_b32_e32 v14, 16, v14
	v_cndmask_b32_e64 v13, v25, v26, s4
	v_cmp_u_f32_e64 s4, v10, v10
	buffer_store_dword v14, off, s[0:3], s32 offset:232 ; 4-byte Folded Spill
	v_lshrrev_b32_e32 v97, 16, v13
	v_bfe_u32 v13, v1, 16, 1
	v_cndmask_b32_e64 v10, v11, v17, s4
	v_mul_f32_e32 v11, v52, v23
	v_or_b32_e32 v14, 0x400000, v1
	v_mul_f32_e32 v17, v52, v18
	v_add3_u32 v13, v13, v1, 0x7fff
	v_bfe_u32 v18, v0, 16, 1
	v_cmp_u_f32_e64 s4, v1, v1
	v_bfe_u32 v21, v11, 16, 1
	v_or_b32_e32 v22, 0x400000, v11
	v_or_b32_e32 v23, 0x400000, v17
	v_lshrrev_b32_e32 v98, 16, v10
	v_cndmask_b32_e64 v1, v13, v14, s4
	v_add3_u32 v14, v18, v0, 0x7fff
	v_or_b32_e32 v18, 0x400000, v0
	v_cmp_u_f32_e64 s4, v0, v0
	v_bfe_u32 v13, v17, 16, 1
	v_add3_u32 v21, v21, v11, 0x7fff
	v_lshrrev_b32_e32 v100, 16, v1
	v_cndmask_b32_e64 v0, v14, v18, s4
	v_cmp_u_f32_e64 s4, v11, v11
	v_add3_u32 v13, v13, v17, 0x7fff
	v_lshrrev_b32_e32 v99, 16, v0
	v_cndmask_b32_e64 v11, v21, v22, s4
	v_cmp_u_f32_e64 s4, v17, v17
	v_lshrrev_b32_e32 v0, 16, v11
	v_cndmask_b32_e64 v13, v13, v23, s4
	buffer_store_dword v0, off, s[0:3], s32 offset:228 ; 4-byte Folded Spill
	v_lshrrev_b32_e32 v87, 16, v13
	s_and_saveexec_b32 s15, vcc_lo
	s_cbranch_execz .LBB362_928
; %bb.927:                              ;   in Loop: Header=BB362_796 Depth=1
	buffer_load_dword v0, off, s[0:3], s32 offset:232 ; 4-byte Folded Reload
	v_cmp_lt_i32_e64 s4, v117, v29
	v_cndmask_b32_e64 v99, 0, v99, s4
	v_cmp_lt_i32_e64 s4, v43, v29
	v_cndmask_b32_e64 v100, 0, v100, s4
	;; [unrolled: 2-line block ×4, first 2 shown]
	v_cmp_lt_i32_e64 s4, v40, v29
	s_waitcnt vmcnt(0)
	v_cndmask_b32_e64 v0, 0, v0, s4
	v_cmp_lt_i32_e64 s4, v119, v29
	buffer_store_dword v0, off, s[0:3], s32 offset:232 ; 4-byte Folded Spill
	buffer_load_dword v0, off, s[0:3], s32 offset:228 ; 4-byte Folded Reload
	v_cndmask_b32_e64 v96, 0, v96, s4
	v_cmp_lt_i32_e64 s4, v118, v29
	s_waitcnt vmcnt(0)
	v_cndmask_b32_e64 v0, 0, v0, s4
	v_cmp_lt_i32_e64 s4, v53, v29
	buffer_store_dword v0, off, s[0:3], s32 offset:228 ; 4-byte Folded Spill
	v_cndmask_b32_e64 v87, 0, v87, s4
.LBB362_928:                            ;   in Loop: Header=BB362_796 Depth=1
	s_or_b32 exec_lo, exec_lo, s15
	flat_load_dwordx2 v[21:22], v[19:20] offset:512
	v_mov_b32_e32 v1, 0
	v_mov_b32_e32 v0, 0
	s_waitcnt vmcnt(0) lgkmcnt(0)
	v_cmp_ne_u16_sdwa s4, v21, v12 src0_sel:BYTE_0 src1_sel:DWORD
	s_and_saveexec_b32 s15, s4
	s_cbranch_execz .LBB362_936
; %bb.929:                              ;   in Loop: Header=BB362_796 Depth=1
	v_cmp_ne_u16_sdwa s4, v21, v55 src0_sel:BYTE_0 src1_sel:DWORD
	v_bfrev_b32_e32 v0, 1
	s_and_saveexec_b32 s18, s4
	s_cbranch_execz .LBB362_935
; %bb.930:                              ;   in Loop: Header=BB362_796 Depth=1
	v_and_b32_e32 v10, 0x7f, v21
	v_mov_b32_e32 v0, 0x7f800001
	s_mov_b32 s19, exec_lo
	v_cmpx_ne_u32_e32 0x7f, v10
	s_cbranch_execz .LBB362_934
; %bb.931:                              ;   in Loop: Header=BB362_796 Depth=1
	v_lshrrev_b32_e32 v0, 3, v10
	v_cmp_gt_u32_e64 s4, 8, v10
	v_mov_b32_e32 v10, v21
	v_mov_b32_e32 v11, v22
	s_and_saveexec_b32 s20, s4
; %bb.932:                              ;   in Loop: Header=BB362_796 Depth=1
	v_and_b32_e32 v0, 7, v21
	v_ffbh_u32_e32 v0, v0
	v_min_u32_e32 v0, 32, v0
	v_subrev_nc_u32_e32 v10, 28, v0
	v_sub_nc_u32_e32 v0, 29, v0
	v_lshlrev_b64 v[10:11], v10, v[21:22]
; %bb.933:                              ;   in Loop: Header=BB362_796 Depth=1
	s_or_b32 exec_lo, exec_lo, s20
	v_lshlrev_b32_e32 v10, 20, v10
	v_lshlrev_b32_e32 v11, 24, v21
	v_lshl_add_u32 v0, v0, 23, 0x3c000000
	v_and_b32_e32 v10, 0x700000, v10
	v_and_b32_e32 v11, 0x80000000, v11
	v_or3_b32 v0, v10, v11, v0
.LBB362_934:                            ;   in Loop: Header=BB362_796 Depth=1
	s_or_b32 exec_lo, exec_lo, s19
.LBB362_935:                            ;   in Loop: Header=BB362_796 Depth=1
	s_or_b32 exec_lo, exec_lo, s18
.LBB362_936:                            ;   in Loop: Header=BB362_796 Depth=1
	s_or_b32 exec_lo, exec_lo, s15
	v_cmp_ne_u16_sdwa s4, v21, v12 src0_sel:BYTE_1 src1_sel:DWORD
	s_and_saveexec_b32 s15, s4
	s_cbranch_execz .LBB362_944
; %bb.937:                              ;   in Loop: Header=BB362_796 Depth=1
	v_cmp_ne_u16_sdwa s4, v21, v55 src0_sel:BYTE_1 src1_sel:DWORD
	v_bfrev_b32_e32 v1, 1
	s_and_saveexec_b32 s18, s4
	s_cbranch_execz .LBB362_943
; %bb.938:                              ;   in Loop: Header=BB362_796 Depth=1
	v_mov_b32_e32 v1, 0xffff
	s_mov_b32 s19, exec_lo
	v_and_b32_sdwa v11, v1, v21 dst_sel:DWORD dst_unused:UNUSED_PAD src0_sel:DWORD src1_sel:BYTE_1
	v_mov_b32_e32 v1, 0x7f800001
	v_and_b32_e32 v10, 0x7f, v11
	v_cmpx_ne_u32_e32 0x7f, v10
	s_cbranch_execz .LBB362_942
; %bb.939:                              ;   in Loop: Header=BB362_796 Depth=1
	v_and_b32_e32 v11, 7, v11
	v_lshrrev_b32_e32 v1, 3, v10
	s_mov_b32 s20, exec_lo
	v_cmpx_gt_u32_e32 8, v10
; %bb.940:                              ;   in Loop: Header=BB362_796 Depth=1
	v_ffbh_u32_e32 v1, v11
	v_min_u32_e32 v1, 32, v1
	v_subrev_nc_u32_e32 v10, 28, v1
	v_sub_nc_u32_e32 v1, 29, v1
	v_lshlrev_b64 v[10:11], v10, v[11:12]
	v_and_b32_e32 v11, 7, v10
; %bb.941:                              ;   in Loop: Header=BB362_796 Depth=1
	s_or_b32 exec_lo, exec_lo, s20
	v_lshlrev_b32_e32 v10, 16, v21
	v_lshlrev_b32_e32 v11, 20, v11
	v_lshl_add_u32 v1, v1, 23, 0x3c000000
	v_and_b32_e32 v10, 0x80000000, v10
	v_or3_b32 v1, v11, v10, v1
.LBB362_942:                            ;   in Loop: Header=BB362_796 Depth=1
	s_or_b32 exec_lo, exec_lo, s19
.LBB362_943:                            ;   in Loop: Header=BB362_796 Depth=1
	s_or_b32 exec_lo, exec_lo, s18
.LBB362_944:                            ;   in Loop: Header=BB362_796 Depth=1
	s_or_b32 exec_lo, exec_lo, s15
	v_and_b32_sdwa v11, v21, v65 dst_sel:DWORD dst_unused:UNUSED_PAD src0_sel:WORD_1 src1_sel:DWORD
	v_mov_b32_e32 v13, 0
	v_mov_b32_e32 v10, 0
	s_mov_b32 s15, exec_lo
	v_cmpx_ne_u16_e32 0, v11
	s_cbranch_execz .LBB362_952
; %bb.945:                              ;   in Loop: Header=BB362_796 Depth=1
	v_bfrev_b32_e32 v10, 1
	s_mov_b32 s18, exec_lo
	v_cmpx_ne_u16_e32 0x80, v11
	s_cbranch_execz .LBB362_951
; %bb.946:                              ;   in Loop: Header=BB362_796 Depth=1
	v_bfe_u32 v14, v21, 16, 7
	v_mov_b32_e32 v10, 0x7f800001
	s_mov_b32 s19, exec_lo
	v_cmpx_ne_u32_e32 0x7f, v14
	s_cbranch_execz .LBB362_950
; %bb.947:                              ;   in Loop: Header=BB362_796 Depth=1
	v_mov_b32_e32 v10, 7
	s_mov_b32 s20, exec_lo
	v_and_b32_sdwa v11, v21, v10 dst_sel:DWORD dst_unused:UNUSED_PAD src0_sel:WORD_1 src1_sel:DWORD
	v_lshrrev_b32_e32 v10, 3, v14
	v_cmpx_gt_u32_e32 8, v14
; %bb.948:                              ;   in Loop: Header=BB362_796 Depth=1
	v_ffbh_u32_e32 v10, v11
	v_min_u32_e32 v10, 32, v10
	v_subrev_nc_u32_e32 v14, 28, v10
	v_sub_nc_u32_e32 v10, 29, v10
	v_lshlrev_b64 v[17:18], v14, v[11:12]
	v_and_b32_e32 v11, 7, v17
; %bb.949:                              ;   in Loop: Header=BB362_796 Depth=1
	s_or_b32 exec_lo, exec_lo, s20
	v_mov_b32_e32 v14, 24
	v_lshlrev_b32_e32 v11, 20, v11
	v_lshl_add_u32 v10, v10, 23, 0x3c000000
	v_lshlrev_b32_sdwa v14, v14, v21 dst_sel:DWORD dst_unused:UNUSED_PAD src0_sel:DWORD src1_sel:WORD_1
	v_and_b32_e32 v14, 0x80000000, v14
	v_or3_b32 v10, v11, v14, v10
.LBB362_950:                            ;   in Loop: Header=BB362_796 Depth=1
	s_or_b32 exec_lo, exec_lo, s19
.LBB362_951:                            ;   in Loop: Header=BB362_796 Depth=1
	s_or_b32 exec_lo, exec_lo, s18
.LBB362_952:                            ;   in Loop: Header=BB362_796 Depth=1
	s_or_b32 exec_lo, exec_lo, s15
	s_mov_b32 s15, exec_lo
	v_cmpx_lt_u32_e32 0xffffff, v21
	s_cbranch_execz .LBB362_960
; %bb.953:                              ;   in Loop: Header=BB362_796 Depth=1
	v_cmp_ne_u32_sdwa s4, v21, v55 src0_sel:BYTE_3 src1_sel:DWORD
	v_bfrev_b32_e32 v13, 1
	s_and_saveexec_b32 s18, s4
	s_cbranch_execz .LBB362_959
; %bb.954:                              ;   in Loop: Header=BB362_796 Depth=1
	v_bfe_u32 v14, v21, 24, 7
	v_mov_b32_e32 v13, 0x7f800001
	s_mov_b32 s19, exec_lo
	v_cmpx_ne_u32_e32 0x7f, v14
	s_cbranch_execz .LBB362_958
; %bb.955:                              ;   in Loop: Header=BB362_796 Depth=1
	v_mov_b32_e32 v11, 7
	v_lshrrev_b32_e32 v13, 3, v14
	s_mov_b32 s20, exec_lo
	v_and_b32_sdwa v11, v21, v11 dst_sel:DWORD dst_unused:UNUSED_PAD src0_sel:BYTE_3 src1_sel:DWORD
	v_cmpx_gt_u32_e32 8, v14
; %bb.956:                              ;   in Loop: Header=BB362_796 Depth=1
	v_ffbh_u32_e32 v13, v11
	v_min_u32_e32 v13, 32, v13
	v_subrev_nc_u32_e32 v14, 28, v13
	v_sub_nc_u32_e32 v13, 29, v13
	v_lshlrev_b64 v[17:18], v14, v[11:12]
	v_and_b32_e32 v11, 7, v17
; %bb.957:                              ;   in Loop: Header=BB362_796 Depth=1
	s_or_b32 exec_lo, exec_lo, s20
	v_mov_b32_e32 v14, 24
	v_lshlrev_b32_e32 v11, 20, v11
	v_lshl_add_u32 v13, v13, 23, 0x3c000000
	v_lshlrev_b32_sdwa v14, v14, v21 dst_sel:DWORD dst_unused:UNUSED_PAD src0_sel:DWORD src1_sel:BYTE_3
	v_and_b32_e32 v14, 0x80000000, v14
	v_or3_b32 v13, v11, v14, v13
.LBB362_958:                            ;   in Loop: Header=BB362_796 Depth=1
	s_or_b32 exec_lo, exec_lo, s19
.LBB362_959:                            ;   in Loop: Header=BB362_796 Depth=1
	s_or_b32 exec_lo, exec_lo, s18
.LBB362_960:                            ;   in Loop: Header=BB362_796 Depth=1
	s_or_b32 exec_lo, exec_lo, s15
	v_mov_b32_e32 v11, v22
	v_cmp_ne_u16_sdwa s4, v22, v12 src0_sel:BYTE_0 src1_sel:DWORD
	v_mov_b32_e32 v17, 0
	v_mov_b32_e32 v14, 0
	s_and_saveexec_b32 s15, s4
	s_cbranch_execz .LBB362_968
; %bb.961:                              ;   in Loop: Header=BB362_796 Depth=1
	v_cmp_ne_u16_sdwa s4, v22, v55 src0_sel:BYTE_0 src1_sel:DWORD
	v_bfrev_b32_e32 v14, 1
	s_and_saveexec_b32 s18, s4
	s_cbranch_execz .LBB362_967
; %bb.962:                              ;   in Loop: Header=BB362_796 Depth=1
	v_and_b32_e32 v18, 0x7f, v22
	v_mov_b32_e32 v14, 0x7f800001
	s_mov_b32 s19, exec_lo
	v_cmpx_ne_u32_e32 0x7f, v18
	s_cbranch_execz .LBB362_966
; %bb.963:                              ;   in Loop: Header=BB362_796 Depth=1
	v_mov_b32_e32 v24, v12
	v_lshrrev_b32_e32 v14, 3, v18
	v_mov_b32_e32 v23, v11
	s_mov_b32 s20, exec_lo
	v_cmpx_gt_u32_e32 8, v18
; %bb.964:                              ;   in Loop: Header=BB362_796 Depth=1
	v_and_b32_e32 v14, 7, v22
	v_ffbh_u32_e32 v14, v14
	v_min_u32_e32 v14, 32, v14
	v_subrev_nc_u32_e32 v18, 28, v14
	v_sub_nc_u32_e32 v14, 29, v14
	v_lshlrev_b64 v[23:24], v18, v[11:12]
; %bb.965:                              ;   in Loop: Header=BB362_796 Depth=1
	s_or_b32 exec_lo, exec_lo, s20
	v_lshlrev_b32_e32 v18, 20, v23
	v_lshlrev_b32_e32 v23, 24, v11
	v_lshl_add_u32 v14, v14, 23, 0x3c000000
	v_and_b32_e32 v18, 0x700000, v18
	v_and_b32_e32 v23, 0x80000000, v23
	v_or3_b32 v14, v18, v23, v14
.LBB362_966:                            ;   in Loop: Header=BB362_796 Depth=1
	s_or_b32 exec_lo, exec_lo, s19
.LBB362_967:                            ;   in Loop: Header=BB362_796 Depth=1
	s_or_b32 exec_lo, exec_lo, s18
.LBB362_968:                            ;   in Loop: Header=BB362_796 Depth=1
	s_or_b32 exec_lo, exec_lo, s15
	v_cmp_ne_u16_sdwa s4, v11, v12 src0_sel:BYTE_1 src1_sel:DWORD
	s_and_saveexec_b32 s15, s4
	s_cbranch_execz .LBB362_976
; %bb.969:                              ;   in Loop: Header=BB362_796 Depth=1
	v_cmp_ne_u16_sdwa s4, v11, v55 src0_sel:BYTE_1 src1_sel:DWORD
	v_bfrev_b32_e32 v17, 1
	s_and_saveexec_b32 s18, s4
	s_cbranch_execz .LBB362_975
; %bb.970:                              ;   in Loop: Header=BB362_796 Depth=1
	v_mov_b32_e32 v17, 0xffff
	s_mov_b32 s19, exec_lo
	v_and_b32_sdwa v23, v17, v11 dst_sel:DWORD dst_unused:UNUSED_PAD src0_sel:DWORD src1_sel:BYTE_1
	v_mov_b32_e32 v17, 0x7f800001
	v_and_b32_e32 v18, 0x7f, v23
	v_cmpx_ne_u32_e32 0x7f, v18
	s_cbranch_execz .LBB362_974
; %bb.971:                              ;   in Loop: Header=BB362_796 Depth=1
	v_and_b32_e32 v23, 7, v23
	v_mov_b32_e32 v24, v12
	v_lshrrev_b32_e32 v17, 3, v18
	s_mov_b32 s20, exec_lo
	v_cmpx_gt_u32_e32 8, v18
; %bb.972:                              ;   in Loop: Header=BB362_796 Depth=1
	v_ffbh_u32_e32 v17, v23
	v_min_u32_e32 v17, 32, v17
	v_subrev_nc_u32_e32 v18, 28, v17
	v_sub_nc_u32_e32 v17, 29, v17
	v_lshlrev_b64 v[23:24], v18, v[23:24]
	v_and_b32_e32 v23, 7, v23
; %bb.973:                              ;   in Loop: Header=BB362_796 Depth=1
	s_or_b32 exec_lo, exec_lo, s20
	v_lshlrev_b32_e32 v11, 16, v11
	v_lshlrev_b32_e32 v18, 20, v23
	v_lshl_add_u32 v17, v17, 23, 0x3c000000
	v_and_b32_e32 v11, 0x80000000, v11
	v_or3_b32 v17, v18, v11, v17
.LBB362_974:                            ;   in Loop: Header=BB362_796 Depth=1
	s_or_b32 exec_lo, exec_lo, s19
.LBB362_975:                            ;   in Loop: Header=BB362_796 Depth=1
	s_or_b32 exec_lo, exec_lo, s18
.LBB362_976:                            ;   in Loop: Header=BB362_796 Depth=1
	s_or_b32 exec_lo, exec_lo, s15
	v_and_b32_sdwa v11, v22, v65 dst_sel:DWORD dst_unused:UNUSED_PAD src0_sel:WORD_1 src1_sel:DWORD
	v_mov_b32_e32 v18, 0
	v_mov_b32_e32 v23, 0
	s_mov_b32 s15, exec_lo
	v_cmpx_ne_u16_e32 0, v11
	s_cbranch_execz .LBB362_984
; %bb.977:                              ;   in Loop: Header=BB362_796 Depth=1
	v_bfrev_b32_e32 v23, 1
	s_mov_b32 s18, exec_lo
	v_cmpx_ne_u16_e32 0x80, v11
	s_cbranch_execz .LBB362_983
; %bb.978:                              ;   in Loop: Header=BB362_796 Depth=1
	v_bfe_u32 v24, v22, 16, 7
	v_mov_b32_e32 v23, 0x7f800001
	s_mov_b32 s19, exec_lo
	v_cmpx_ne_u32_e32 0x7f, v24
	s_cbranch_execz .LBB362_982
; %bb.979:                              ;   in Loop: Header=BB362_796 Depth=1
	v_mov_b32_e32 v11, 7
	v_lshrrev_b32_e32 v23, 3, v24
	s_mov_b32 s20, exec_lo
	v_and_b32_sdwa v11, v22, v11 dst_sel:DWORD dst_unused:UNUSED_PAD src0_sel:WORD_1 src1_sel:DWORD
	v_cmpx_gt_u32_e32 8, v24
; %bb.980:                              ;   in Loop: Header=BB362_796 Depth=1
	v_ffbh_u32_e32 v23, v11
	v_min_u32_e32 v23, 32, v23
	v_subrev_nc_u32_e32 v24, 28, v23
	v_sub_nc_u32_e32 v23, 29, v23
	v_lshlrev_b64 v[24:25], v24, v[11:12]
	v_and_b32_e32 v11, 7, v24
; %bb.981:                              ;   in Loop: Header=BB362_796 Depth=1
	s_or_b32 exec_lo, exec_lo, s20
	v_mov_b32_e32 v24, 24
	v_lshlrev_b32_e32 v11, 20, v11
	v_lshl_add_u32 v23, v23, 23, 0x3c000000
	v_lshlrev_b32_sdwa v24, v24, v22 dst_sel:DWORD dst_unused:UNUSED_PAD src0_sel:DWORD src1_sel:WORD_1
	v_and_b32_e32 v24, 0x80000000, v24
	v_or3_b32 v23, v11, v24, v23
.LBB362_982:                            ;   in Loop: Header=BB362_796 Depth=1
	s_or_b32 exec_lo, exec_lo, s19
.LBB362_983:                            ;   in Loop: Header=BB362_796 Depth=1
	s_or_b32 exec_lo, exec_lo, s18
.LBB362_984:                            ;   in Loop: Header=BB362_796 Depth=1
	s_or_b32 exec_lo, exec_lo, s15
	s_mov_b32 s15, exec_lo
	v_cmpx_lt_u64_e64 s[6:7], v[21:22]
	s_cbranch_execz .LBB362_992
; %bb.985:                              ;   in Loop: Header=BB362_796 Depth=1
	v_cmp_ne_u32_sdwa s4, v22, v55 src0_sel:BYTE_3 src1_sel:DWORD
	v_bfrev_b32_e32 v18, 1
	s_and_saveexec_b32 s18, s4
	s_cbranch_execz .LBB362_991
; %bb.986:                              ;   in Loop: Header=BB362_796 Depth=1
	v_bfe_u32 v21, v22, 24, 7
	v_mov_b32_e32 v18, 0x7f800001
	s_mov_b32 s19, exec_lo
	v_cmpx_ne_u32_e32 0x7f, v21
	s_cbranch_execz .LBB362_990
; %bb.987:                              ;   in Loop: Header=BB362_796 Depth=1
	v_mov_b32_e32 v11, 7
	v_lshrrev_b32_e32 v18, 3, v21
	s_mov_b32 s20, exec_lo
	v_and_b32_sdwa v11, v22, v11 dst_sel:DWORD dst_unused:UNUSED_PAD src0_sel:BYTE_3 src1_sel:DWORD
	v_cmpx_gt_u32_e32 8, v21
; %bb.988:                              ;   in Loop: Header=BB362_796 Depth=1
	v_ffbh_u32_e32 v18, v11
	v_min_u32_e32 v18, 32, v18
	v_subrev_nc_u32_e32 v21, 28, v18
	v_sub_nc_u32_e32 v18, 29, v18
	v_lshlrev_b64 v[24:25], v21, v[11:12]
	v_and_b32_e32 v11, 7, v24
; %bb.989:                              ;   in Loop: Header=BB362_796 Depth=1
	s_or_b32 exec_lo, exec_lo, s20
	v_mov_b32_e32 v21, 24
	v_lshlrev_b32_e32 v11, 20, v11
	v_lshl_add_u32 v18, v18, 23, 0x3c000000
	v_lshlrev_b32_sdwa v21, v21, v22 dst_sel:DWORD dst_unused:UNUSED_PAD src0_sel:DWORD src1_sel:BYTE_3
	v_and_b32_e32 v21, 0x80000000, v21
	v_or3_b32 v18, v11, v21, v18
.LBB362_990:                            ;   in Loop: Header=BB362_796 Depth=1
	s_or_b32 exec_lo, exec_lo, s19
.LBB362_991:                            ;   in Loop: Header=BB362_796 Depth=1
	s_or_b32 exec_lo, exec_lo, s18
.LBB362_992:                            ;   in Loop: Header=BB362_796 Depth=1
	s_or_b32 exec_lo, exec_lo, s15
	v_mul_f32_e32 v11, v52, v17
	v_mul_f32_e32 v14, v52, v14
	;; [unrolled: 1-line block ×5, first 2 shown]
	v_bfe_u32 v17, v11, 16, 1
	v_or_b32_e32 v21, 0x400000, v11
	v_bfe_u32 v22, v14, 16, 1
	v_cmp_u_f32_e64 s4, v11, v11
	v_or_b32_e32 v24, 0x400000, v14
	v_add3_u32 v17, v17, v11, 0x7fff
	v_bfe_u32 v25, v13, 16, 1
	v_add3_u32 v22, v22, v14, 0x7fff
	v_or_b32_e32 v26, 0x400000, v13
	v_bfe_u32 v28, v10, 16, 1
	v_cndmask_b32_e64 v11, v17, v21, s4
	v_cmp_u_f32_e64 s4, v14, v14
	v_add3_u32 v25, v25, v13, 0x7fff
	v_or_b32_e32 v17, 0x400000, v10
	v_mul_f32_e32 v0, v52, v0
	v_lshrrev_b32_e32 v102, 16, v11
	v_cndmask_b32_e64 v14, v22, v24, s4
	v_cmp_u_f32_e64 s4, v13, v13
	v_add3_u32 v11, v28, v10, 0x7fff
	v_lshrrev_b32_e32 v101, 16, v14
	v_cndmask_b32_e64 v13, v25, v26, s4
	v_cmp_u_f32_e64 s4, v10, v10
	v_or_b32_e32 v14, 0x400000, v1
	v_lshrrev_b32_e32 v113, 16, v13
	v_bfe_u32 v13, v1, 16, 1
	v_cndmask_b32_e64 v10, v11, v17, s4
	v_mul_f32_e32 v11, v52, v23
	v_mul_f32_e32 v17, v52, v18
	v_bfe_u32 v18, v0, 16, 1
	v_add3_u32 v13, v13, v1, 0x7fff
	v_cmp_u_f32_e64 s4, v1, v1
	v_bfe_u32 v21, v11, 16, 1
	v_or_b32_e32 v22, 0x400000, v11
	v_or_b32_e32 v23, 0x400000, v17
	v_lshrrev_b32_e32 v114, 16, v10
	v_cndmask_b32_e64 v1, v13, v14, s4
	v_add3_u32 v14, v18, v0, 0x7fff
	v_or_b32_e32 v18, 0x400000, v0
	v_cmp_u_f32_e64 s4, v0, v0
	v_bfe_u32 v13, v17, 16, 1
	v_add3_u32 v21, v21, v11, 0x7fff
	v_lshrrev_b32_e32 v116, 16, v1
	v_cndmask_b32_e64 v0, v14, v18, s4
	v_cmp_u_f32_e64 s4, v11, v11
	v_add3_u32 v13, v13, v17, 0x7fff
	v_lshrrev_b32_e32 v115, 16, v0
	v_cndmask_b32_e64 v11, v21, v22, s4
	v_cmp_u_f32_e64 s4, v17, v17
	v_lshrrev_b32_e32 v103, 16, v11
	v_cndmask_b32_e64 v13, v13, v23, s4
	v_lshrrev_b32_e32 v112, 16, v13
	s_and_saveexec_b32 s15, vcc_lo
	s_cbranch_execz .LBB362_994
; %bb.993:                              ;   in Loop: Header=BB362_796 Depth=1
	v_cmp_lt_i32_e64 s4, v117, v29
	v_cndmask_b32_e64 v115, 0, v115, s4
	v_cmp_lt_i32_e64 s4, v43, v29
	v_cndmask_b32_e64 v116, 0, v116, s4
	;; [unrolled: 2-line block ×8, first 2 shown]
.LBB362_994:                            ;   in Loop: Header=BB362_796 Depth=1
	s_or_b32 exec_lo, exec_lo, s15
	flat_load_dwordx2 v[21:22], v[19:20] offset:768
	v_mov_b32_e32 v1, 0
	v_mov_b32_e32 v0, 0
	s_waitcnt vmcnt(0) lgkmcnt(0)
	v_cmp_ne_u16_sdwa s4, v21, v12 src0_sel:BYTE_0 src1_sel:DWORD
	s_and_saveexec_b32 s15, s4
	s_cbranch_execz .LBB362_1002
; %bb.995:                              ;   in Loop: Header=BB362_796 Depth=1
	v_cmp_ne_u16_sdwa s4, v21, v55 src0_sel:BYTE_0 src1_sel:DWORD
	v_bfrev_b32_e32 v0, 1
	s_and_saveexec_b32 s18, s4
	s_cbranch_execz .LBB362_1001
; %bb.996:                              ;   in Loop: Header=BB362_796 Depth=1
	v_and_b32_e32 v10, 0x7f, v21
	v_mov_b32_e32 v0, 0x7f800001
	s_mov_b32 s19, exec_lo
	v_cmpx_ne_u32_e32 0x7f, v10
	s_cbranch_execz .LBB362_1000
; %bb.997:                              ;   in Loop: Header=BB362_796 Depth=1
	v_lshrrev_b32_e32 v0, 3, v10
	v_cmp_gt_u32_e64 s4, 8, v10
	v_mov_b32_e32 v10, v21
	v_mov_b32_e32 v11, v22
	s_and_saveexec_b32 s20, s4
; %bb.998:                              ;   in Loop: Header=BB362_796 Depth=1
	v_and_b32_e32 v0, 7, v21
	v_ffbh_u32_e32 v0, v0
	v_min_u32_e32 v0, 32, v0
	v_subrev_nc_u32_e32 v10, 28, v0
	v_sub_nc_u32_e32 v0, 29, v0
	v_lshlrev_b64 v[10:11], v10, v[21:22]
; %bb.999:                              ;   in Loop: Header=BB362_796 Depth=1
	s_or_b32 exec_lo, exec_lo, s20
	v_lshlrev_b32_e32 v10, 20, v10
	v_lshlrev_b32_e32 v11, 24, v21
	v_lshl_add_u32 v0, v0, 23, 0x3c000000
	v_and_b32_e32 v10, 0x700000, v10
	v_and_b32_e32 v11, 0x80000000, v11
	v_or3_b32 v0, v10, v11, v0
.LBB362_1000:                           ;   in Loop: Header=BB362_796 Depth=1
	s_or_b32 exec_lo, exec_lo, s19
.LBB362_1001:                           ;   in Loop: Header=BB362_796 Depth=1
	s_or_b32 exec_lo, exec_lo, s18
.LBB362_1002:                           ;   in Loop: Header=BB362_796 Depth=1
	s_or_b32 exec_lo, exec_lo, s15
	v_cmp_ne_u16_sdwa s4, v21, v12 src0_sel:BYTE_1 src1_sel:DWORD
	s_and_saveexec_b32 s15, s4
	s_cbranch_execz .LBB362_1010
; %bb.1003:                             ;   in Loop: Header=BB362_796 Depth=1
	v_cmp_ne_u16_sdwa s4, v21, v55 src0_sel:BYTE_1 src1_sel:DWORD
	v_bfrev_b32_e32 v1, 1
	s_and_saveexec_b32 s18, s4
	s_cbranch_execz .LBB362_1009
; %bb.1004:                             ;   in Loop: Header=BB362_796 Depth=1
	v_mov_b32_e32 v1, 0xffff
	s_mov_b32 s19, exec_lo
	v_and_b32_sdwa v11, v1, v21 dst_sel:DWORD dst_unused:UNUSED_PAD src0_sel:DWORD src1_sel:BYTE_1
	v_mov_b32_e32 v1, 0x7f800001
	v_and_b32_e32 v10, 0x7f, v11
	v_cmpx_ne_u32_e32 0x7f, v10
	s_cbranch_execz .LBB362_1008
; %bb.1005:                             ;   in Loop: Header=BB362_796 Depth=1
	v_and_b32_e32 v11, 7, v11
	v_lshrrev_b32_e32 v1, 3, v10
	s_mov_b32 s20, exec_lo
	v_cmpx_gt_u32_e32 8, v10
; %bb.1006:                             ;   in Loop: Header=BB362_796 Depth=1
	v_ffbh_u32_e32 v1, v11
	v_min_u32_e32 v1, 32, v1
	v_subrev_nc_u32_e32 v10, 28, v1
	v_sub_nc_u32_e32 v1, 29, v1
	v_lshlrev_b64 v[10:11], v10, v[11:12]
	v_and_b32_e32 v11, 7, v10
; %bb.1007:                             ;   in Loop: Header=BB362_796 Depth=1
	s_or_b32 exec_lo, exec_lo, s20
	v_lshlrev_b32_e32 v10, 16, v21
	v_lshlrev_b32_e32 v11, 20, v11
	v_lshl_add_u32 v1, v1, 23, 0x3c000000
	v_and_b32_e32 v10, 0x80000000, v10
	v_or3_b32 v1, v11, v10, v1
.LBB362_1008:                           ;   in Loop: Header=BB362_796 Depth=1
	s_or_b32 exec_lo, exec_lo, s19
.LBB362_1009:                           ;   in Loop: Header=BB362_796 Depth=1
	s_or_b32 exec_lo, exec_lo, s18
.LBB362_1010:                           ;   in Loop: Header=BB362_796 Depth=1
	s_or_b32 exec_lo, exec_lo, s15
	v_and_b32_sdwa v11, v21, v65 dst_sel:DWORD dst_unused:UNUSED_PAD src0_sel:WORD_1 src1_sel:DWORD
	v_mov_b32_e32 v13, 0
	v_mov_b32_e32 v10, 0
	s_mov_b32 s15, exec_lo
	v_cmpx_ne_u16_e32 0, v11
	s_cbranch_execz .LBB362_1018
; %bb.1011:                             ;   in Loop: Header=BB362_796 Depth=1
	v_bfrev_b32_e32 v10, 1
	s_mov_b32 s18, exec_lo
	v_cmpx_ne_u16_e32 0x80, v11
	s_cbranch_execz .LBB362_1017
; %bb.1012:                             ;   in Loop: Header=BB362_796 Depth=1
	v_bfe_u32 v14, v21, 16, 7
	v_mov_b32_e32 v10, 0x7f800001
	s_mov_b32 s19, exec_lo
	v_cmpx_ne_u32_e32 0x7f, v14
	s_cbranch_execz .LBB362_1016
; %bb.1013:                             ;   in Loop: Header=BB362_796 Depth=1
	v_mov_b32_e32 v10, 7
	s_mov_b32 s20, exec_lo
	v_and_b32_sdwa v11, v21, v10 dst_sel:DWORD dst_unused:UNUSED_PAD src0_sel:WORD_1 src1_sel:DWORD
	v_lshrrev_b32_e32 v10, 3, v14
	v_cmpx_gt_u32_e32 8, v14
; %bb.1014:                             ;   in Loop: Header=BB362_796 Depth=1
	v_ffbh_u32_e32 v10, v11
	v_min_u32_e32 v10, 32, v10
	v_subrev_nc_u32_e32 v14, 28, v10
	v_sub_nc_u32_e32 v10, 29, v10
	v_lshlrev_b64 v[17:18], v14, v[11:12]
	v_and_b32_e32 v11, 7, v17
; %bb.1015:                             ;   in Loop: Header=BB362_796 Depth=1
	s_or_b32 exec_lo, exec_lo, s20
	v_mov_b32_e32 v14, 24
	v_lshlrev_b32_e32 v11, 20, v11
	v_lshl_add_u32 v10, v10, 23, 0x3c000000
	v_lshlrev_b32_sdwa v14, v14, v21 dst_sel:DWORD dst_unused:UNUSED_PAD src0_sel:DWORD src1_sel:WORD_1
	v_and_b32_e32 v14, 0x80000000, v14
	v_or3_b32 v10, v11, v14, v10
.LBB362_1016:                           ;   in Loop: Header=BB362_796 Depth=1
	s_or_b32 exec_lo, exec_lo, s19
.LBB362_1017:                           ;   in Loop: Header=BB362_796 Depth=1
	s_or_b32 exec_lo, exec_lo, s18
.LBB362_1018:                           ;   in Loop: Header=BB362_796 Depth=1
	s_or_b32 exec_lo, exec_lo, s15
	s_mov_b32 s15, exec_lo
	v_cmpx_lt_u32_e32 0xffffff, v21
	s_cbranch_execz .LBB362_1026
; %bb.1019:                             ;   in Loop: Header=BB362_796 Depth=1
	v_cmp_ne_u32_sdwa s4, v21, v55 src0_sel:BYTE_3 src1_sel:DWORD
	v_bfrev_b32_e32 v13, 1
	s_and_saveexec_b32 s18, s4
	s_cbranch_execz .LBB362_1025
; %bb.1020:                             ;   in Loop: Header=BB362_796 Depth=1
	v_bfe_u32 v14, v21, 24, 7
	v_mov_b32_e32 v13, 0x7f800001
	s_mov_b32 s19, exec_lo
	v_cmpx_ne_u32_e32 0x7f, v14
	s_cbranch_execz .LBB362_1024
; %bb.1021:                             ;   in Loop: Header=BB362_796 Depth=1
	v_mov_b32_e32 v11, 7
	v_lshrrev_b32_e32 v13, 3, v14
	s_mov_b32 s20, exec_lo
	v_and_b32_sdwa v11, v21, v11 dst_sel:DWORD dst_unused:UNUSED_PAD src0_sel:BYTE_3 src1_sel:DWORD
	v_cmpx_gt_u32_e32 8, v14
; %bb.1022:                             ;   in Loop: Header=BB362_796 Depth=1
	v_ffbh_u32_e32 v13, v11
	v_min_u32_e32 v13, 32, v13
	v_subrev_nc_u32_e32 v14, 28, v13
	v_sub_nc_u32_e32 v13, 29, v13
	v_lshlrev_b64 v[17:18], v14, v[11:12]
	v_and_b32_e32 v11, 7, v17
; %bb.1023:                             ;   in Loop: Header=BB362_796 Depth=1
	s_or_b32 exec_lo, exec_lo, s20
	v_mov_b32_e32 v14, 24
	v_lshlrev_b32_e32 v11, 20, v11
	v_lshl_add_u32 v13, v13, 23, 0x3c000000
	v_lshlrev_b32_sdwa v14, v14, v21 dst_sel:DWORD dst_unused:UNUSED_PAD src0_sel:DWORD src1_sel:BYTE_3
	v_and_b32_e32 v14, 0x80000000, v14
	v_or3_b32 v13, v11, v14, v13
.LBB362_1024:                           ;   in Loop: Header=BB362_796 Depth=1
	s_or_b32 exec_lo, exec_lo, s19
.LBB362_1025:                           ;   in Loop: Header=BB362_796 Depth=1
	s_or_b32 exec_lo, exec_lo, s18
.LBB362_1026:                           ;   in Loop: Header=BB362_796 Depth=1
	s_or_b32 exec_lo, exec_lo, s15
	v_mov_b32_e32 v11, v22
	v_cmp_ne_u16_sdwa s4, v22, v12 src0_sel:BYTE_0 src1_sel:DWORD
	v_mov_b32_e32 v17, 0
	v_mov_b32_e32 v14, 0
	s_and_saveexec_b32 s15, s4
	s_cbranch_execz .LBB362_1034
; %bb.1027:                             ;   in Loop: Header=BB362_796 Depth=1
	v_cmp_ne_u16_sdwa s4, v22, v55 src0_sel:BYTE_0 src1_sel:DWORD
	v_bfrev_b32_e32 v14, 1
	s_and_saveexec_b32 s18, s4
	s_cbranch_execz .LBB362_1033
; %bb.1028:                             ;   in Loop: Header=BB362_796 Depth=1
	v_and_b32_e32 v18, 0x7f, v22
	v_mov_b32_e32 v14, 0x7f800001
	s_mov_b32 s19, exec_lo
	v_cmpx_ne_u32_e32 0x7f, v18
	s_cbranch_execz .LBB362_1032
; %bb.1029:                             ;   in Loop: Header=BB362_796 Depth=1
	v_mov_b32_e32 v24, v12
	v_lshrrev_b32_e32 v14, 3, v18
	v_mov_b32_e32 v23, v11
	s_mov_b32 s20, exec_lo
	v_cmpx_gt_u32_e32 8, v18
; %bb.1030:                             ;   in Loop: Header=BB362_796 Depth=1
	v_and_b32_e32 v14, 7, v22
	v_ffbh_u32_e32 v14, v14
	v_min_u32_e32 v14, 32, v14
	v_subrev_nc_u32_e32 v18, 28, v14
	v_sub_nc_u32_e32 v14, 29, v14
	v_lshlrev_b64 v[23:24], v18, v[11:12]
; %bb.1031:                             ;   in Loop: Header=BB362_796 Depth=1
	s_or_b32 exec_lo, exec_lo, s20
	v_lshlrev_b32_e32 v18, 20, v23
	v_lshlrev_b32_e32 v23, 24, v11
	v_lshl_add_u32 v14, v14, 23, 0x3c000000
	v_and_b32_e32 v18, 0x700000, v18
	v_and_b32_e32 v23, 0x80000000, v23
	v_or3_b32 v14, v18, v23, v14
.LBB362_1032:                           ;   in Loop: Header=BB362_796 Depth=1
	s_or_b32 exec_lo, exec_lo, s19
.LBB362_1033:                           ;   in Loop: Header=BB362_796 Depth=1
	s_or_b32 exec_lo, exec_lo, s18
.LBB362_1034:                           ;   in Loop: Header=BB362_796 Depth=1
	s_or_b32 exec_lo, exec_lo, s15
	v_cmp_ne_u16_sdwa s4, v11, v12 src0_sel:BYTE_1 src1_sel:DWORD
	s_and_saveexec_b32 s15, s4
	s_cbranch_execz .LBB362_1042
; %bb.1035:                             ;   in Loop: Header=BB362_796 Depth=1
	v_cmp_ne_u16_sdwa s4, v11, v55 src0_sel:BYTE_1 src1_sel:DWORD
	v_bfrev_b32_e32 v17, 1
	s_and_saveexec_b32 s18, s4
	s_cbranch_execz .LBB362_1041
; %bb.1036:                             ;   in Loop: Header=BB362_796 Depth=1
	v_mov_b32_e32 v17, 0xffff
	s_mov_b32 s19, exec_lo
	v_and_b32_sdwa v23, v17, v11 dst_sel:DWORD dst_unused:UNUSED_PAD src0_sel:DWORD src1_sel:BYTE_1
	v_mov_b32_e32 v17, 0x7f800001
	v_and_b32_e32 v18, 0x7f, v23
	v_cmpx_ne_u32_e32 0x7f, v18
	s_cbranch_execz .LBB362_1040
; %bb.1037:                             ;   in Loop: Header=BB362_796 Depth=1
	v_and_b32_e32 v23, 7, v23
	v_mov_b32_e32 v24, v12
	v_lshrrev_b32_e32 v17, 3, v18
	s_mov_b32 s20, exec_lo
	v_cmpx_gt_u32_e32 8, v18
; %bb.1038:                             ;   in Loop: Header=BB362_796 Depth=1
	v_ffbh_u32_e32 v17, v23
	v_min_u32_e32 v17, 32, v17
	v_subrev_nc_u32_e32 v18, 28, v17
	v_sub_nc_u32_e32 v17, 29, v17
	v_lshlrev_b64 v[23:24], v18, v[23:24]
	v_and_b32_e32 v23, 7, v23
; %bb.1039:                             ;   in Loop: Header=BB362_796 Depth=1
	s_or_b32 exec_lo, exec_lo, s20
	v_lshlrev_b32_e32 v11, 16, v11
	v_lshlrev_b32_e32 v18, 20, v23
	v_lshl_add_u32 v17, v17, 23, 0x3c000000
	v_and_b32_e32 v11, 0x80000000, v11
	v_or3_b32 v17, v18, v11, v17
.LBB362_1040:                           ;   in Loop: Header=BB362_796 Depth=1
	s_or_b32 exec_lo, exec_lo, s19
.LBB362_1041:                           ;   in Loop: Header=BB362_796 Depth=1
	s_or_b32 exec_lo, exec_lo, s18
.LBB362_1042:                           ;   in Loop: Header=BB362_796 Depth=1
	s_or_b32 exec_lo, exec_lo, s15
	v_and_b32_sdwa v11, v22, v65 dst_sel:DWORD dst_unused:UNUSED_PAD src0_sel:WORD_1 src1_sel:DWORD
	v_mov_b32_e32 v18, 0
	v_mov_b32_e32 v23, 0
	s_mov_b32 s15, exec_lo
	v_cmpx_ne_u16_e32 0, v11
	s_cbranch_execz .LBB362_1050
; %bb.1043:                             ;   in Loop: Header=BB362_796 Depth=1
	v_bfrev_b32_e32 v23, 1
	s_mov_b32 s18, exec_lo
	v_cmpx_ne_u16_e32 0x80, v11
	s_cbranch_execz .LBB362_1049
; %bb.1044:                             ;   in Loop: Header=BB362_796 Depth=1
	v_bfe_u32 v24, v22, 16, 7
	v_mov_b32_e32 v23, 0x7f800001
	s_mov_b32 s19, exec_lo
	v_cmpx_ne_u32_e32 0x7f, v24
	s_cbranch_execz .LBB362_1048
; %bb.1045:                             ;   in Loop: Header=BB362_796 Depth=1
	v_mov_b32_e32 v11, 7
	v_lshrrev_b32_e32 v23, 3, v24
	s_mov_b32 s20, exec_lo
	v_and_b32_sdwa v11, v22, v11 dst_sel:DWORD dst_unused:UNUSED_PAD src0_sel:WORD_1 src1_sel:DWORD
	v_cmpx_gt_u32_e32 8, v24
; %bb.1046:                             ;   in Loop: Header=BB362_796 Depth=1
	v_ffbh_u32_e32 v23, v11
	v_min_u32_e32 v23, 32, v23
	v_subrev_nc_u32_e32 v24, 28, v23
	v_sub_nc_u32_e32 v23, 29, v23
	v_lshlrev_b64 v[24:25], v24, v[11:12]
	v_and_b32_e32 v11, 7, v24
; %bb.1047:                             ;   in Loop: Header=BB362_796 Depth=1
	s_or_b32 exec_lo, exec_lo, s20
	v_mov_b32_e32 v24, 24
	v_lshlrev_b32_e32 v11, 20, v11
	v_lshl_add_u32 v23, v23, 23, 0x3c000000
	v_lshlrev_b32_sdwa v24, v24, v22 dst_sel:DWORD dst_unused:UNUSED_PAD src0_sel:DWORD src1_sel:WORD_1
	v_and_b32_e32 v24, 0x80000000, v24
	v_or3_b32 v23, v11, v24, v23
.LBB362_1048:                           ;   in Loop: Header=BB362_796 Depth=1
	s_or_b32 exec_lo, exec_lo, s19
.LBB362_1049:                           ;   in Loop: Header=BB362_796 Depth=1
	s_or_b32 exec_lo, exec_lo, s18
.LBB362_1050:                           ;   in Loop: Header=BB362_796 Depth=1
	s_or_b32 exec_lo, exec_lo, s15
	s_mov_b32 s15, exec_lo
	v_cmpx_lt_u64_e64 s[6:7], v[21:22]
	s_cbranch_execz .LBB362_1058
; %bb.1051:                             ;   in Loop: Header=BB362_796 Depth=1
	v_cmp_ne_u32_sdwa s4, v22, v55 src0_sel:BYTE_3 src1_sel:DWORD
	v_bfrev_b32_e32 v18, 1
	s_and_saveexec_b32 s18, s4
	s_cbranch_execz .LBB362_1057
; %bb.1052:                             ;   in Loop: Header=BB362_796 Depth=1
	v_bfe_u32 v21, v22, 24, 7
	v_mov_b32_e32 v18, 0x7f800001
	s_mov_b32 s19, exec_lo
	v_cmpx_ne_u32_e32 0x7f, v21
	s_cbranch_execz .LBB362_1056
; %bb.1053:                             ;   in Loop: Header=BB362_796 Depth=1
	v_mov_b32_e32 v11, 7
	v_lshrrev_b32_e32 v18, 3, v21
	s_mov_b32 s20, exec_lo
	v_and_b32_sdwa v11, v22, v11 dst_sel:DWORD dst_unused:UNUSED_PAD src0_sel:BYTE_3 src1_sel:DWORD
	v_cmpx_gt_u32_e32 8, v21
; %bb.1054:                             ;   in Loop: Header=BB362_796 Depth=1
	v_ffbh_u32_e32 v18, v11
	v_min_u32_e32 v18, 32, v18
	v_subrev_nc_u32_e32 v21, 28, v18
	v_sub_nc_u32_e32 v18, 29, v18
	v_lshlrev_b64 v[24:25], v21, v[11:12]
	v_and_b32_e32 v11, 7, v24
; %bb.1055:                             ;   in Loop: Header=BB362_796 Depth=1
	s_or_b32 exec_lo, exec_lo, s20
	v_mov_b32_e32 v21, 24
	v_lshlrev_b32_e32 v11, 20, v11
	v_lshl_add_u32 v18, v18, 23, 0x3c000000
	v_lshlrev_b32_sdwa v21, v21, v22 dst_sel:DWORD dst_unused:UNUSED_PAD src0_sel:DWORD src1_sel:BYTE_3
	v_and_b32_e32 v21, 0x80000000, v21
	v_or3_b32 v18, v11, v21, v18
.LBB362_1056:                           ;   in Loop: Header=BB362_796 Depth=1
	s_or_b32 exec_lo, exec_lo, s19
.LBB362_1057:                           ;   in Loop: Header=BB362_796 Depth=1
	s_or_b32 exec_lo, exec_lo, s18
.LBB362_1058:                           ;   in Loop: Header=BB362_796 Depth=1
	s_or_b32 exec_lo, exec_lo, s15
	v_mul_f32_e32 v11, v52, v17
	v_mul_f32_e32 v14, v52, v14
	;; [unrolled: 1-line block ×5, first 2 shown]
	v_bfe_u32 v17, v11, 16, 1
	v_or_b32_e32 v21, 0x400000, v11
	v_bfe_u32 v22, v14, 16, 1
	v_cmp_u_f32_e64 s4, v11, v11
	v_or_b32_e32 v24, 0x400000, v14
	v_add3_u32 v17, v17, v11, 0x7fff
	v_bfe_u32 v25, v13, 16, 1
	v_add3_u32 v22, v22, v14, 0x7fff
	v_or_b32_e32 v26, 0x400000, v13
	v_bfe_u32 v28, v10, 16, 1
	v_cndmask_b32_e64 v11, v17, v21, s4
	v_cmp_u_f32_e64 s4, v14, v14
	v_add3_u32 v25, v25, v13, 0x7fff
	v_or_b32_e32 v17, 0x400000, v10
	v_mul_f32_e32 v0, v52, v0
	v_lshrrev_b32_e32 v45, 16, v11
	v_cndmask_b32_e64 v14, v22, v24, s4
	v_cmp_u_f32_e64 s4, v13, v13
	v_add3_u32 v11, v28, v10, 0x7fff
	v_lshrrev_b32_e32 v44, 16, v14
	v_cndmask_b32_e64 v13, v25, v26, s4
	v_cmp_u_f32_e64 s4, v10, v10
	v_or_b32_e32 v14, 0x400000, v1
	v_lshrrev_b32_e32 v56, 16, v13
	v_bfe_u32 v13, v1, 16, 1
	v_cndmask_b32_e64 v10, v11, v17, s4
	v_mul_f32_e32 v11, v52, v23
	v_mul_f32_e32 v17, v52, v18
	v_bfe_u32 v18, v0, 16, 1
	v_add3_u32 v13, v13, v1, 0x7fff
	v_cmp_u_f32_e64 s4, v1, v1
	v_bfe_u32 v21, v11, 16, 1
	v_or_b32_e32 v22, 0x400000, v11
	v_or_b32_e32 v23, 0x400000, v17
	v_lshrrev_b32_e32 v57, 16, v10
	v_cndmask_b32_e64 v1, v13, v14, s4
	v_add3_u32 v14, v18, v0, 0x7fff
	v_or_b32_e32 v18, 0x400000, v0
	v_cmp_u_f32_e64 s4, v0, v0
	v_bfe_u32 v13, v17, 16, 1
	v_add3_u32 v21, v21, v11, 0x7fff
	v_lshrrev_b32_e32 v59, 16, v1
	v_cndmask_b32_e64 v0, v14, v18, s4
	v_cmp_u_f32_e64 s4, v11, v11
	v_add3_u32 v13, v13, v17, 0x7fff
	v_lshrrev_b32_e32 v58, 16, v0
	v_cndmask_b32_e64 v11, v21, v22, s4
	v_cmp_u_f32_e64 s4, v17, v17
	v_lshrrev_b32_e32 v46, 16, v11
	v_cndmask_b32_e64 v13, v13, v23, s4
	v_lshrrev_b32_e32 v47, 16, v13
	s_and_saveexec_b32 s15, vcc_lo
	s_cbranch_execz .LBB362_1060
; %bb.1059:                             ;   in Loop: Header=BB362_796 Depth=1
	v_cmp_lt_i32_e64 s4, v117, v29
	v_cndmask_b32_e64 v58, 0, v58, s4
	v_cmp_lt_i32_e64 s4, v43, v29
	v_cndmask_b32_e64 v59, 0, v59, s4
	;; [unrolled: 2-line block ×8, first 2 shown]
.LBB362_1060:                           ;   in Loop: Header=BB362_796 Depth=1
	s_or_b32 exec_lo, exec_lo, s15
	flat_load_dwordx2 v[21:22], v[19:20] offset:1024
	v_mov_b32_e32 v0, 0
	v_mov_b32_e32 v10, 0
	s_waitcnt vmcnt(0) lgkmcnt(0)
	v_cmp_ne_u16_sdwa s4, v21, v12 src0_sel:BYTE_0 src1_sel:DWORD
	s_and_saveexec_b32 s15, s4
	s_cbranch_execz .LBB362_1068
; %bb.1061:                             ;   in Loop: Header=BB362_796 Depth=1
	v_cmp_ne_u16_sdwa s4, v21, v55 src0_sel:BYTE_0 src1_sel:DWORD
	v_bfrev_b32_e32 v10, 1
	s_and_saveexec_b32 s18, s4
	s_cbranch_execz .LBB362_1067
; %bb.1062:                             ;   in Loop: Header=BB362_796 Depth=1
	v_and_b32_e32 v11, 0x7f, v21
	v_mov_b32_e32 v10, 0x7f800001
	s_mov_b32 s19, exec_lo
	v_cmpx_ne_u32_e32 0x7f, v11
	s_cbranch_execz .LBB362_1066
; %bb.1063:                             ;   in Loop: Header=BB362_796 Depth=1
	v_lshrrev_b32_e32 v1, 3, v11
	v_cmp_gt_u32_e64 s4, 8, v11
	v_mov_b32_e32 v10, v21
	v_mov_b32_e32 v11, v22
	s_and_saveexec_b32 s20, s4
; %bb.1064:                             ;   in Loop: Header=BB362_796 Depth=1
	v_and_b32_e32 v1, 7, v21
	v_ffbh_u32_e32 v1, v1
	v_min_u32_e32 v1, 32, v1
	v_subrev_nc_u32_e32 v10, 28, v1
	v_sub_nc_u32_e32 v1, 29, v1
	v_lshlrev_b64 v[10:11], v10, v[21:22]
; %bb.1065:                             ;   in Loop: Header=BB362_796 Depth=1
	s_or_b32 exec_lo, exec_lo, s20
	v_lshlrev_b32_e32 v10, 20, v10
	v_lshlrev_b32_e32 v11, 24, v21
	v_lshl_add_u32 v1, v1, 23, 0x3c000000
	v_and_b32_e32 v10, 0x700000, v10
	v_and_b32_e32 v11, 0x80000000, v11
	v_or3_b32 v10, v10, v11, v1
.LBB362_1066:                           ;   in Loop: Header=BB362_796 Depth=1
	s_or_b32 exec_lo, exec_lo, s19
.LBB362_1067:                           ;   in Loop: Header=BB362_796 Depth=1
	s_or_b32 exec_lo, exec_lo, s18
.LBB362_1068:                           ;   in Loop: Header=BB362_796 Depth=1
	s_or_b32 exec_lo, exec_lo, s15
	v_cmp_ne_u16_sdwa s4, v21, v12 src0_sel:BYTE_1 src1_sel:DWORD
	s_and_saveexec_b32 s15, s4
	s_cbranch_execz .LBB362_1076
; %bb.1069:                             ;   in Loop: Header=BB362_796 Depth=1
	v_cmp_ne_u16_sdwa s4, v21, v55 src0_sel:BYTE_1 src1_sel:DWORD
	v_bfrev_b32_e32 v0, 1
	s_and_saveexec_b32 s18, s4
	s_cbranch_execz .LBB362_1075
; %bb.1070:                             ;   in Loop: Header=BB362_796 Depth=1
	v_mov_b32_e32 v0, 0xffff
	s_mov_b32 s19, exec_lo
	v_and_b32_sdwa v11, v0, v21 dst_sel:DWORD dst_unused:UNUSED_PAD src0_sel:DWORD src1_sel:BYTE_1
	v_mov_b32_e32 v0, 0x7f800001
	v_and_b32_e32 v1, 0x7f, v11
	v_cmpx_ne_u32_e32 0x7f, v1
	s_cbranch_execz .LBB362_1074
; %bb.1071:                             ;   in Loop: Header=BB362_796 Depth=1
	v_and_b32_e32 v11, 7, v11
	v_lshrrev_b32_e32 v0, 3, v1
	s_mov_b32 s20, exec_lo
	v_cmpx_gt_u32_e32 8, v1
; %bb.1072:                             ;   in Loop: Header=BB362_796 Depth=1
	v_ffbh_u32_e32 v0, v11
	v_min_u32_e32 v0, 32, v0
	v_subrev_nc_u32_e32 v1, 28, v0
	v_sub_nc_u32_e32 v0, 29, v0
	v_lshlrev_b64 v[13:14], v1, v[11:12]
	v_and_b32_e32 v11, 7, v13
; %bb.1073:                             ;   in Loop: Header=BB362_796 Depth=1
	s_or_b32 exec_lo, exec_lo, s20
	v_lshlrev_b32_e32 v1, 16, v21
	v_lshlrev_b32_e32 v11, 20, v11
	v_lshl_add_u32 v0, v0, 23, 0x3c000000
	v_and_b32_e32 v1, 0x80000000, v1
	v_or3_b32 v0, v11, v1, v0
.LBB362_1074:                           ;   in Loop: Header=BB362_796 Depth=1
	s_or_b32 exec_lo, exec_lo, s19
.LBB362_1075:                           ;   in Loop: Header=BB362_796 Depth=1
	s_or_b32 exec_lo, exec_lo, s18
.LBB362_1076:                           ;   in Loop: Header=BB362_796 Depth=1
	s_or_b32 exec_lo, exec_lo, s15
	v_and_b32_sdwa v11, v21, v65 dst_sel:DWORD dst_unused:UNUSED_PAD src0_sel:WORD_1 src1_sel:DWORD
	v_mov_b32_e32 v13, 0
	v_mov_b32_e32 v1, 0
	s_mov_b32 s15, exec_lo
	v_cmpx_ne_u16_e32 0, v11
	s_cbranch_execz .LBB362_1084
; %bb.1077:                             ;   in Loop: Header=BB362_796 Depth=1
	v_bfrev_b32_e32 v1, 1
	s_mov_b32 s18, exec_lo
	v_cmpx_ne_u16_e32 0x80, v11
	s_cbranch_execz .LBB362_1083
; %bb.1078:                             ;   in Loop: Header=BB362_796 Depth=1
	v_bfe_u32 v14, v21, 16, 7
	v_mov_b32_e32 v1, 0x7f800001
	s_mov_b32 s19, exec_lo
	v_cmpx_ne_u32_e32 0x7f, v14
	s_cbranch_execz .LBB362_1082
; %bb.1079:                             ;   in Loop: Header=BB362_796 Depth=1
	v_mov_b32_e32 v1, 7
	s_mov_b32 s20, exec_lo
	v_and_b32_sdwa v11, v21, v1 dst_sel:DWORD dst_unused:UNUSED_PAD src0_sel:WORD_1 src1_sel:DWORD
	v_lshrrev_b32_e32 v1, 3, v14
	v_cmpx_gt_u32_e32 8, v14
; %bb.1080:                             ;   in Loop: Header=BB362_796 Depth=1
	v_ffbh_u32_e32 v1, v11
	v_min_u32_e32 v1, 32, v1
	v_subrev_nc_u32_e32 v14, 28, v1
	v_sub_nc_u32_e32 v1, 29, v1
	v_lshlrev_b64 v[17:18], v14, v[11:12]
	v_and_b32_e32 v11, 7, v17
; %bb.1081:                             ;   in Loop: Header=BB362_796 Depth=1
	s_or_b32 exec_lo, exec_lo, s20
	v_mov_b32_e32 v14, 24
	v_lshlrev_b32_e32 v11, 20, v11
	v_lshl_add_u32 v1, v1, 23, 0x3c000000
	v_lshlrev_b32_sdwa v14, v14, v21 dst_sel:DWORD dst_unused:UNUSED_PAD src0_sel:DWORD src1_sel:WORD_1
	v_and_b32_e32 v14, 0x80000000, v14
	v_or3_b32 v1, v11, v14, v1
.LBB362_1082:                           ;   in Loop: Header=BB362_796 Depth=1
	s_or_b32 exec_lo, exec_lo, s19
.LBB362_1083:                           ;   in Loop: Header=BB362_796 Depth=1
	s_or_b32 exec_lo, exec_lo, s18
.LBB362_1084:                           ;   in Loop: Header=BB362_796 Depth=1
	s_or_b32 exec_lo, exec_lo, s15
	s_mov_b32 s15, exec_lo
	v_cmpx_lt_u32_e32 0xffffff, v21
	s_cbranch_execz .LBB362_1092
; %bb.1085:                             ;   in Loop: Header=BB362_796 Depth=1
	v_cmp_ne_u32_sdwa s4, v21, v55 src0_sel:BYTE_3 src1_sel:DWORD
	v_bfrev_b32_e32 v13, 1
	s_and_saveexec_b32 s18, s4
	s_cbranch_execz .LBB362_1091
; %bb.1086:                             ;   in Loop: Header=BB362_796 Depth=1
	v_bfe_u32 v14, v21, 24, 7
	v_mov_b32_e32 v13, 0x7f800001
	s_mov_b32 s19, exec_lo
	v_cmpx_ne_u32_e32 0x7f, v14
	s_cbranch_execz .LBB362_1090
; %bb.1087:                             ;   in Loop: Header=BB362_796 Depth=1
	v_mov_b32_e32 v11, 7
	v_lshrrev_b32_e32 v13, 3, v14
	s_mov_b32 s20, exec_lo
	v_and_b32_sdwa v11, v21, v11 dst_sel:DWORD dst_unused:UNUSED_PAD src0_sel:BYTE_3 src1_sel:DWORD
	v_cmpx_gt_u32_e32 8, v14
; %bb.1088:                             ;   in Loop: Header=BB362_796 Depth=1
	v_ffbh_u32_e32 v13, v11
	v_min_u32_e32 v13, 32, v13
	v_subrev_nc_u32_e32 v14, 28, v13
	v_sub_nc_u32_e32 v13, 29, v13
	v_lshlrev_b64 v[17:18], v14, v[11:12]
	v_and_b32_e32 v11, 7, v17
; %bb.1089:                             ;   in Loop: Header=BB362_796 Depth=1
	s_or_b32 exec_lo, exec_lo, s20
	v_mov_b32_e32 v14, 24
	v_lshlrev_b32_e32 v11, 20, v11
	v_lshl_add_u32 v13, v13, 23, 0x3c000000
	v_lshlrev_b32_sdwa v14, v14, v21 dst_sel:DWORD dst_unused:UNUSED_PAD src0_sel:DWORD src1_sel:BYTE_3
	v_and_b32_e32 v14, 0x80000000, v14
	v_or3_b32 v13, v11, v14, v13
.LBB362_1090:                           ;   in Loop: Header=BB362_796 Depth=1
	s_or_b32 exec_lo, exec_lo, s19
.LBB362_1091:                           ;   in Loop: Header=BB362_796 Depth=1
	s_or_b32 exec_lo, exec_lo, s18
.LBB362_1092:                           ;   in Loop: Header=BB362_796 Depth=1
	s_or_b32 exec_lo, exec_lo, s15
	v_mov_b32_e32 v11, v22
	v_cmp_ne_u16_sdwa s4, v22, v12 src0_sel:BYTE_0 src1_sel:DWORD
	v_mov_b32_e32 v17, 0
	v_mov_b32_e32 v14, 0
	s_and_saveexec_b32 s15, s4
	s_cbranch_execz .LBB362_1100
; %bb.1093:                             ;   in Loop: Header=BB362_796 Depth=1
	v_cmp_ne_u16_sdwa s4, v22, v55 src0_sel:BYTE_0 src1_sel:DWORD
	v_bfrev_b32_e32 v14, 1
	s_and_saveexec_b32 s18, s4
	s_cbranch_execz .LBB362_1099
; %bb.1094:                             ;   in Loop: Header=BB362_796 Depth=1
	v_and_b32_e32 v18, 0x7f, v22
	v_mov_b32_e32 v14, 0x7f800001
	s_mov_b32 s19, exec_lo
	v_cmpx_ne_u32_e32 0x7f, v18
	s_cbranch_execz .LBB362_1098
; %bb.1095:                             ;   in Loop: Header=BB362_796 Depth=1
	v_mov_b32_e32 v24, v12
	v_lshrrev_b32_e32 v14, 3, v18
	v_mov_b32_e32 v23, v11
	s_mov_b32 s20, exec_lo
	v_cmpx_gt_u32_e32 8, v18
; %bb.1096:                             ;   in Loop: Header=BB362_796 Depth=1
	v_and_b32_e32 v14, 7, v22
	v_ffbh_u32_e32 v14, v14
	v_min_u32_e32 v14, 32, v14
	v_subrev_nc_u32_e32 v18, 28, v14
	v_sub_nc_u32_e32 v14, 29, v14
	v_lshlrev_b64 v[23:24], v18, v[11:12]
; %bb.1097:                             ;   in Loop: Header=BB362_796 Depth=1
	s_or_b32 exec_lo, exec_lo, s20
	v_lshlrev_b32_e32 v18, 20, v23
	v_lshlrev_b32_e32 v23, 24, v11
	v_lshl_add_u32 v14, v14, 23, 0x3c000000
	v_and_b32_e32 v18, 0x700000, v18
	v_and_b32_e32 v23, 0x80000000, v23
	v_or3_b32 v14, v18, v23, v14
.LBB362_1098:                           ;   in Loop: Header=BB362_796 Depth=1
	s_or_b32 exec_lo, exec_lo, s19
.LBB362_1099:                           ;   in Loop: Header=BB362_796 Depth=1
	s_or_b32 exec_lo, exec_lo, s18
.LBB362_1100:                           ;   in Loop: Header=BB362_796 Depth=1
	s_or_b32 exec_lo, exec_lo, s15
	v_cmp_ne_u16_sdwa s4, v11, v12 src0_sel:BYTE_1 src1_sel:DWORD
	s_and_saveexec_b32 s15, s4
	s_cbranch_execz .LBB362_1108
; %bb.1101:                             ;   in Loop: Header=BB362_796 Depth=1
	v_cmp_ne_u16_sdwa s4, v11, v55 src0_sel:BYTE_1 src1_sel:DWORD
	v_bfrev_b32_e32 v17, 1
	s_and_saveexec_b32 s18, s4
	s_cbranch_execz .LBB362_1107
; %bb.1102:                             ;   in Loop: Header=BB362_796 Depth=1
	v_mov_b32_e32 v17, 0xffff
	s_mov_b32 s19, exec_lo
	v_and_b32_sdwa v23, v17, v11 dst_sel:DWORD dst_unused:UNUSED_PAD src0_sel:DWORD src1_sel:BYTE_1
	v_mov_b32_e32 v17, 0x7f800001
	v_and_b32_e32 v18, 0x7f, v23
	v_cmpx_ne_u32_e32 0x7f, v18
	s_cbranch_execz .LBB362_1106
; %bb.1103:                             ;   in Loop: Header=BB362_796 Depth=1
	v_and_b32_e32 v23, 7, v23
	v_mov_b32_e32 v24, v12
	v_lshrrev_b32_e32 v17, 3, v18
	s_mov_b32 s20, exec_lo
	v_cmpx_gt_u32_e32 8, v18
; %bb.1104:                             ;   in Loop: Header=BB362_796 Depth=1
	v_ffbh_u32_e32 v17, v23
	v_min_u32_e32 v17, 32, v17
	v_subrev_nc_u32_e32 v18, 28, v17
	v_sub_nc_u32_e32 v17, 29, v17
	v_lshlrev_b64 v[23:24], v18, v[23:24]
	v_and_b32_e32 v23, 7, v23
; %bb.1105:                             ;   in Loop: Header=BB362_796 Depth=1
	s_or_b32 exec_lo, exec_lo, s20
	v_lshlrev_b32_e32 v11, 16, v11
	v_lshlrev_b32_e32 v18, 20, v23
	v_lshl_add_u32 v17, v17, 23, 0x3c000000
	v_and_b32_e32 v11, 0x80000000, v11
	v_or3_b32 v17, v18, v11, v17
.LBB362_1106:                           ;   in Loop: Header=BB362_796 Depth=1
	s_or_b32 exec_lo, exec_lo, s19
.LBB362_1107:                           ;   in Loop: Header=BB362_796 Depth=1
	s_or_b32 exec_lo, exec_lo, s18
.LBB362_1108:                           ;   in Loop: Header=BB362_796 Depth=1
	s_or_b32 exec_lo, exec_lo, s15
	v_and_b32_sdwa v11, v22, v65 dst_sel:DWORD dst_unused:UNUSED_PAD src0_sel:WORD_1 src1_sel:DWORD
	v_mov_b32_e32 v18, 0
	v_mov_b32_e32 v25, 0
	s_mov_b32 s15, exec_lo
	v_cmpx_ne_u16_e32 0, v11
	s_cbranch_execz .LBB362_1116
; %bb.1109:                             ;   in Loop: Header=BB362_796 Depth=1
	v_bfrev_b32_e32 v25, 1
	s_mov_b32 s18, exec_lo
	v_cmpx_ne_u16_e32 0x80, v11
	s_cbranch_execz .LBB362_1115
; %bb.1110:                             ;   in Loop: Header=BB362_796 Depth=1
	v_bfe_u32 v23, v22, 16, 7
	v_mov_b32_e32 v25, 0x7f800001
	s_mov_b32 s19, exec_lo
	v_cmpx_ne_u32_e32 0x7f, v23
	s_cbranch_execz .LBB362_1114
; %bb.1111:                             ;   in Loop: Header=BB362_796 Depth=1
	v_mov_b32_e32 v11, 7
	v_lshrrev_b32_e32 v25, 3, v23
	v_cmp_gt_u32_e64 s4, 8, v23
	v_and_b32_sdwa v11, v22, v11 dst_sel:DWORD dst_unused:UNUSED_PAD src0_sel:WORD_1 src1_sel:DWORD
	v_mov_b32_e32 v24, v12
	v_mov_b32_e32 v23, v11
	s_and_saveexec_b32 s20, s4
; %bb.1112:                             ;   in Loop: Header=BB362_796 Depth=1
	v_ffbh_u32_e32 v23, v11
	v_min_u32_e32 v25, 32, v23
	v_subrev_nc_u32_e32 v23, 28, v25
	v_sub_nc_u32_e32 v25, 29, v25
	v_lshlrev_b64 v[23:24], v23, v[11:12]
	v_and_b32_e32 v23, 7, v23
; %bb.1113:                             ;   in Loop: Header=BB362_796 Depth=1
	s_or_b32 exec_lo, exec_lo, s20
	v_mov_b32_e32 v11, 24
	v_lshlrev_b32_e32 v23, 20, v23
	v_lshl_add_u32 v24, v25, 23, 0x3c000000
	v_lshlrev_b32_sdwa v11, v11, v22 dst_sel:DWORD dst_unused:UNUSED_PAD src0_sel:DWORD src1_sel:WORD_1
	v_and_b32_e32 v11, 0x80000000, v11
	v_or3_b32 v25, v23, v11, v24
.LBB362_1114:                           ;   in Loop: Header=BB362_796 Depth=1
	s_or_b32 exec_lo, exec_lo, s19
.LBB362_1115:                           ;   in Loop: Header=BB362_796 Depth=1
	s_or_b32 exec_lo, exec_lo, s18
.LBB362_1116:                           ;   in Loop: Header=BB362_796 Depth=1
	s_or_b32 exec_lo, exec_lo, s15
	s_mov_b32 s15, exec_lo
	v_cmpx_lt_u64_e64 s[6:7], v[21:22]
	s_cbranch_execz .LBB362_1124
; %bb.1117:                             ;   in Loop: Header=BB362_796 Depth=1
	v_cmp_ne_u32_sdwa s4, v22, v55 src0_sel:BYTE_3 src1_sel:DWORD
	v_bfrev_b32_e32 v18, 1
	s_and_saveexec_b32 s18, s4
	s_cbranch_execz .LBB362_1123
; %bb.1118:                             ;   in Loop: Header=BB362_796 Depth=1
	v_bfe_u32 v21, v22, 24, 7
	v_mov_b32_e32 v18, 0x7f800001
	s_mov_b32 s19, exec_lo
	v_cmpx_ne_u32_e32 0x7f, v21
	s_cbranch_execz .LBB362_1122
; %bb.1119:                             ;   in Loop: Header=BB362_796 Depth=1
	v_mov_b32_e32 v11, 7
	v_lshrrev_b32_e32 v18, 3, v21
	s_mov_b32 s20, exec_lo
	v_and_b32_sdwa v11, v22, v11 dst_sel:DWORD dst_unused:UNUSED_PAD src0_sel:BYTE_3 src1_sel:DWORD
	v_mov_b32_e32 v24, v12
	v_mov_b32_e32 v23, v11
	v_cmpx_gt_u32_e32 8, v21
; %bb.1120:                             ;   in Loop: Header=BB362_796 Depth=1
	v_ffbh_u32_e32 v18, v11
	v_min_u32_e32 v18, 32, v18
	v_subrev_nc_u32_e32 v21, 28, v18
	v_sub_nc_u32_e32 v18, 29, v18
	v_lshlrev_b64 v[23:24], v21, v[11:12]
	v_and_b32_e32 v23, 7, v23
; %bb.1121:                             ;   in Loop: Header=BB362_796 Depth=1
	s_or_b32 exec_lo, exec_lo, s20
	v_mov_b32_e32 v11, 24
	v_lshlrev_b32_e32 v21, 20, v23
	v_lshl_add_u32 v18, v18, 23, 0x3c000000
	v_lshlrev_b32_sdwa v11, v11, v22 dst_sel:DWORD dst_unused:UNUSED_PAD src0_sel:DWORD src1_sel:BYTE_3
	v_and_b32_e32 v11, 0x80000000, v11
	v_or3_b32 v18, v21, v11, v18
.LBB362_1122:                           ;   in Loop: Header=BB362_796 Depth=1
	s_or_b32 exec_lo, exec_lo, s19
.LBB362_1123:                           ;   in Loop: Header=BB362_796 Depth=1
	s_or_b32 exec_lo, exec_lo, s18
.LBB362_1124:                           ;   in Loop: Header=BB362_796 Depth=1
	s_or_b32 exec_lo, exec_lo, s15
	v_mul_f32_e32 v11, v52, v17
	v_mul_f32_e32 v14, v52, v14
	;; [unrolled: 1-line block ×5, first 2 shown]
	v_bfe_u32 v1, v11, 16, 1
	v_or_b32_e32 v21, 0x400000, v11
	v_bfe_u32 v22, v14, 16, 1
	v_cmp_u_f32_e64 s4, v11, v11
	v_or_b32_e32 v23, 0x400000, v14
	v_add3_u32 v1, v1, v11, 0x7fff
	v_bfe_u32 v24, v13, 16, 1
	v_add3_u32 v22, v22, v14, 0x7fff
	v_or_b32_e32 v26, 0x400000, v13
	v_bfe_u32 v28, v17, 16, 1
	v_cndmask_b32_e64 v1, v1, v21, s4
	v_cmp_u_f32_e64 s4, v14, v14
	v_add3_u32 v24, v24, v13, 0x7fff
	v_mul_f32_e32 v14, v52, v0
	v_add3_u32 v21, v28, v17, 0x7fff
	v_mul_f32_e32 v18, v52, v18
	v_cndmask_b32_e64 v11, v22, v23, s4
	v_cmp_u_f32_e64 s4, v13, v13
	v_or_b32_e32 v22, 0x400000, v17
	v_lshrrev_b32_e32 v1, 16, v1
	v_lshrrev_b32_e32 v0, 16, v11
	v_cndmask_b32_e64 v13, v24, v26, s4
	v_bfe_u32 v11, v14, 16, 1
	v_cmp_u_f32_e64 s4, v17, v17
	v_mul_f32_e32 v17, v52, v25
	v_or_b32_e32 v25, 0x400000, v18
	v_lshrrev_b32_e32 v60, 16, v13
	v_add3_u32 v11, v11, v14, 0x7fff
	v_cndmask_b32_e64 v13, v21, v22, s4
	v_or_b32_e32 v21, 0x400000, v14
	v_bfe_u32 v22, v10, 16, 1
	v_cmp_u_f32_e64 s4, v14, v14
	v_bfe_u32 v23, v17, 16, 1
	v_bfe_u32 v14, v18, 16, 1
	v_or_b32_e32 v24, 0x400000, v17
	v_lshrrev_b32_e32 v61, 16, v13
	v_cndmask_b32_e64 v11, v11, v21, s4
	v_add3_u32 v21, v22, v10, 0x7fff
	v_or_b32_e32 v22, 0x400000, v10
	v_cmp_u_f32_e64 s4, v10, v10
	v_add3_u32 v23, v23, v17, 0x7fff
	v_add3_u32 v14, v14, v18, 0x7fff
	v_lshrrev_b32_e32 v63, 16, v11
	v_cndmask_b32_e64 v10, v21, v22, s4
	v_cmp_u_f32_e64 s4, v17, v17
	v_lshrrev_b32_e32 v62, 16, v10
	v_cndmask_b32_e64 v17, v23, v24, s4
	v_cmp_u_f32_e64 s4, v18, v18
	v_lshrrev_b32_e32 v30, 16, v17
	v_cndmask_b32_e64 v14, v14, v25, s4
	v_lshrrev_b32_e32 v31, 16, v14
	s_and_saveexec_b32 s15, vcc_lo
	s_cbranch_execz .LBB362_1126
; %bb.1125:                             ;   in Loop: Header=BB362_796 Depth=1
	v_cmp_lt_i32_e64 s4, v117, v29
	v_cndmask_b32_e64 v62, 0, v62, s4
	v_cmp_lt_i32_e64 s4, v43, v29
	v_cndmask_b32_e64 v63, 0, v63, s4
	;; [unrolled: 2-line block ×8, first 2 shown]
.LBB362_1126:                           ;   in Loop: Header=BB362_796 Depth=1
	s_or_b32 exec_lo, exec_lo, s15
	flat_load_dwordx2 v[21:22], v[19:20] offset:1280
	v_mov_b32_e32 v13, 0
	v_mov_b32_e32 v10, 0
	s_waitcnt vmcnt(0) lgkmcnt(0)
	v_cmp_ne_u16_sdwa s4, v21, v12 src0_sel:BYTE_0 src1_sel:DWORD
	s_and_saveexec_b32 s15, s4
	s_cbranch_execz .LBB362_1134
; %bb.1127:                             ;   in Loop: Header=BB362_796 Depth=1
	v_cmp_ne_u16_sdwa s4, v21, v55 src0_sel:BYTE_0 src1_sel:DWORD
	v_bfrev_b32_e32 v10, 1
	s_and_saveexec_b32 s18, s4
	s_cbranch_execz .LBB362_1133
; %bb.1128:                             ;   in Loop: Header=BB362_796 Depth=1
	v_and_b32_e32 v11, 0x7f, v21
	v_mov_b32_e32 v10, 0x7f800001
	s_mov_b32 s19, exec_lo
	v_cmpx_ne_u32_e32 0x7f, v11
	s_cbranch_execz .LBB362_1132
; %bb.1129:                             ;   in Loop: Header=BB362_796 Depth=1
	v_lshrrev_b32_e32 v14, 3, v11
	v_cmp_gt_u32_e64 s4, 8, v11
	v_mov_b32_e32 v10, v21
	v_mov_b32_e32 v11, v22
	s_and_saveexec_b32 s20, s4
; %bb.1130:                             ;   in Loop: Header=BB362_796 Depth=1
	v_and_b32_e32 v10, 7, v21
	v_ffbh_u32_e32 v10, v10
	v_min_u32_e32 v14, 32, v10
	v_subrev_nc_u32_e32 v10, 28, v14
	v_sub_nc_u32_e32 v14, 29, v14
	v_lshlrev_b64 v[10:11], v10, v[21:22]
; %bb.1131:                             ;   in Loop: Header=BB362_796 Depth=1
	s_or_b32 exec_lo, exec_lo, s20
	v_lshlrev_b32_e32 v10, 20, v10
	v_lshlrev_b32_e32 v11, 24, v21
	v_lshl_add_u32 v14, v14, 23, 0x3c000000
	v_and_b32_e32 v10, 0x700000, v10
	v_and_b32_e32 v11, 0x80000000, v11
	v_or3_b32 v10, v10, v11, v14
.LBB362_1132:                           ;   in Loop: Header=BB362_796 Depth=1
	s_or_b32 exec_lo, exec_lo, s19
.LBB362_1133:                           ;   in Loop: Header=BB362_796 Depth=1
	s_or_b32 exec_lo, exec_lo, s18
.LBB362_1134:                           ;   in Loop: Header=BB362_796 Depth=1
	s_or_b32 exec_lo, exec_lo, s15
	v_cmp_ne_u16_sdwa s4, v21, v12 src0_sel:BYTE_1 src1_sel:DWORD
	s_and_saveexec_b32 s15, s4
	s_cbranch_execz .LBB362_1142
; %bb.1135:                             ;   in Loop: Header=BB362_796 Depth=1
	v_cmp_ne_u16_sdwa s4, v21, v55 src0_sel:BYTE_1 src1_sel:DWORD
	v_bfrev_b32_e32 v13, 1
	s_and_saveexec_b32 s18, s4
	s_cbranch_execz .LBB362_1141
; %bb.1136:                             ;   in Loop: Header=BB362_796 Depth=1
	v_mov_b32_e32 v11, 0xffff
	v_mov_b32_e32 v13, 0x7f800001
	s_mov_b32 s19, exec_lo
	v_and_b32_sdwa v11, v11, v21 dst_sel:DWORD dst_unused:UNUSED_PAD src0_sel:DWORD src1_sel:BYTE_1
	v_and_b32_e32 v14, 0x7f, v11
	v_cmpx_ne_u32_e32 0x7f, v14
	s_cbranch_execz .LBB362_1140
; %bb.1137:                             ;   in Loop: Header=BB362_796 Depth=1
	v_and_b32_e32 v11, 7, v11
	v_mov_b32_e32 v24, v12
	v_lshrrev_b32_e32 v13, 3, v14
	s_mov_b32 s20, exec_lo
	v_mov_b32_e32 v23, v11
	v_cmpx_gt_u32_e32 8, v14
; %bb.1138:                             ;   in Loop: Header=BB362_796 Depth=1
	v_ffbh_u32_e32 v13, v11
	v_min_u32_e32 v13, 32, v13
	v_subrev_nc_u32_e32 v14, 28, v13
	v_sub_nc_u32_e32 v13, 29, v13
	v_lshlrev_b64 v[17:18], v14, v[11:12]
	v_and_b32_e32 v23, 7, v17
; %bb.1139:                             ;   in Loop: Header=BB362_796 Depth=1
	s_or_b32 exec_lo, exec_lo, s20
	v_lshlrev_b32_e32 v11, 16, v21
	v_lshlrev_b32_e32 v14, 20, v23
	v_lshl_add_u32 v13, v13, 23, 0x3c000000
	v_and_b32_e32 v11, 0x80000000, v11
	v_or3_b32 v13, v14, v11, v13
.LBB362_1140:                           ;   in Loop: Header=BB362_796 Depth=1
	s_or_b32 exec_lo, exec_lo, s19
.LBB362_1141:                           ;   in Loop: Header=BB362_796 Depth=1
	s_or_b32 exec_lo, exec_lo, s18
.LBB362_1142:                           ;   in Loop: Header=BB362_796 Depth=1
	s_or_b32 exec_lo, exec_lo, s15
	v_and_b32_sdwa v11, v21, v65 dst_sel:DWORD dst_unused:UNUSED_PAD src0_sel:WORD_1 src1_sel:DWORD
	v_mov_b32_e32 v17, 0
	v_mov_b32_e32 v14, 0
	s_mov_b32 s15, exec_lo
	v_cmpx_ne_u16_e32 0, v11
	s_cbranch_execz .LBB362_1150
; %bb.1143:                             ;   in Loop: Header=BB362_796 Depth=1
	v_bfrev_b32_e32 v14, 1
	s_mov_b32 s18, exec_lo
	v_cmpx_ne_u16_e32 0x80, v11
	s_cbranch_execz .LBB362_1149
; %bb.1144:                             ;   in Loop: Header=BB362_796 Depth=1
	v_bfe_u32 v18, v21, 16, 7
	v_mov_b32_e32 v14, 0x7f800001
	s_mov_b32 s19, exec_lo
	v_cmpx_ne_u32_e32 0x7f, v18
	s_cbranch_execz .LBB362_1148
; %bb.1145:                             ;   in Loop: Header=BB362_796 Depth=1
	v_mov_b32_e32 v11, 7
	v_lshrrev_b32_e32 v14, 3, v18
	s_mov_b32 s20, exec_lo
	v_and_b32_sdwa v11, v21, v11 dst_sel:DWORD dst_unused:UNUSED_PAD src0_sel:WORD_1 src1_sel:DWORD
	v_mov_b32_e32 v24, v12
	v_mov_b32_e32 v23, v11
	v_cmpx_gt_u32_e32 8, v18
; %bb.1146:                             ;   in Loop: Header=BB362_796 Depth=1
	v_ffbh_u32_e32 v14, v11
	v_min_u32_e32 v14, 32, v14
	v_subrev_nc_u32_e32 v18, 28, v14
	v_sub_nc_u32_e32 v14, 29, v14
	v_lshlrev_b64 v[23:24], v18, v[11:12]
	v_and_b32_e32 v23, 7, v23
; %bb.1147:                             ;   in Loop: Header=BB362_796 Depth=1
	s_or_b32 exec_lo, exec_lo, s20
	v_mov_b32_e32 v11, 24
	v_lshlrev_b32_e32 v18, 20, v23
	v_lshl_add_u32 v14, v14, 23, 0x3c000000
	v_lshlrev_b32_sdwa v11, v11, v21 dst_sel:DWORD dst_unused:UNUSED_PAD src0_sel:DWORD src1_sel:WORD_1
	v_and_b32_e32 v11, 0x80000000, v11
	v_or3_b32 v14, v18, v11, v14
.LBB362_1148:                           ;   in Loop: Header=BB362_796 Depth=1
	s_or_b32 exec_lo, exec_lo, s19
.LBB362_1149:                           ;   in Loop: Header=BB362_796 Depth=1
	s_or_b32 exec_lo, exec_lo, s18
.LBB362_1150:                           ;   in Loop: Header=BB362_796 Depth=1
	s_or_b32 exec_lo, exec_lo, s15
	s_mov_b32 s15, exec_lo
	v_cmpx_lt_u32_e32 0xffffff, v21
	s_cbranch_execz .LBB362_1158
; %bb.1151:                             ;   in Loop: Header=BB362_796 Depth=1
	v_cmp_ne_u32_sdwa s4, v21, v55 src0_sel:BYTE_3 src1_sel:DWORD
	v_bfrev_b32_e32 v17, 1
	s_and_saveexec_b32 s18, s4
	s_cbranch_execz .LBB362_1157
; %bb.1152:                             ;   in Loop: Header=BB362_796 Depth=1
	v_bfe_u32 v18, v21, 24, 7
	v_mov_b32_e32 v17, 0x7f800001
	s_mov_b32 s19, exec_lo
	v_cmpx_ne_u32_e32 0x7f, v18
	s_cbranch_execz .LBB362_1156
; %bb.1153:                             ;   in Loop: Header=BB362_796 Depth=1
	v_mov_b32_e32 v11, 7
	v_lshrrev_b32_e32 v17, 3, v18
	s_mov_b32 s20, exec_lo
	v_and_b32_sdwa v11, v21, v11 dst_sel:DWORD dst_unused:UNUSED_PAD src0_sel:BYTE_3 src1_sel:DWORD
	v_mov_b32_e32 v24, v12
	v_mov_b32_e32 v23, v11
	v_cmpx_gt_u32_e32 8, v18
; %bb.1154:                             ;   in Loop: Header=BB362_796 Depth=1
	v_ffbh_u32_e32 v17, v11
	v_min_u32_e32 v17, 32, v17
	v_subrev_nc_u32_e32 v18, 28, v17
	v_sub_nc_u32_e32 v17, 29, v17
	v_lshlrev_b64 v[23:24], v18, v[11:12]
	v_and_b32_e32 v23, 7, v23
; %bb.1155:                             ;   in Loop: Header=BB362_796 Depth=1
	s_or_b32 exec_lo, exec_lo, s20
	v_mov_b32_e32 v11, 24
	v_lshlrev_b32_e32 v18, 20, v23
	v_lshl_add_u32 v17, v17, 23, 0x3c000000
	v_lshlrev_b32_sdwa v11, v11, v21 dst_sel:DWORD dst_unused:UNUSED_PAD src0_sel:DWORD src1_sel:BYTE_3
	v_and_b32_e32 v11, 0x80000000, v11
	v_or3_b32 v17, v18, v11, v17
.LBB362_1156:                           ;   in Loop: Header=BB362_796 Depth=1
	s_or_b32 exec_lo, exec_lo, s19
.LBB362_1157:                           ;   in Loop: Header=BB362_796 Depth=1
	s_or_b32 exec_lo, exec_lo, s18
.LBB362_1158:                           ;   in Loop: Header=BB362_796 Depth=1
	s_or_b32 exec_lo, exec_lo, s15
	v_mov_b32_e32 v11, v22
	v_cmp_ne_u16_sdwa s4, v22, v12 src0_sel:BYTE_0 src1_sel:DWORD
	v_mov_b32_e32 v25, 0
	v_mov_b32_e32 v18, 0
	s_and_saveexec_b32 s15, s4
	s_cbranch_execz .LBB362_1166
; %bb.1159:                             ;   in Loop: Header=BB362_796 Depth=1
	v_cmp_ne_u16_sdwa s4, v22, v55 src0_sel:BYTE_0 src1_sel:DWORD
	v_bfrev_b32_e32 v18, 1
	s_and_saveexec_b32 s18, s4
	s_cbranch_execz .LBB362_1165
; %bb.1160:                             ;   in Loop: Header=BB362_796 Depth=1
	v_and_b32_e32 v23, 0x7f, v22
	v_mov_b32_e32 v18, 0x7f800001
	s_mov_b32 s19, exec_lo
	v_cmpx_ne_u32_e32 0x7f, v23
	s_cbranch_execz .LBB362_1164
; %bb.1161:                             ;   in Loop: Header=BB362_796 Depth=1
	v_lshrrev_b32_e32 v18, 3, v23
	v_cmp_gt_u32_e64 s4, 8, v23
	v_mov_b32_e32 v24, v12
	v_mov_b32_e32 v23, v11
	s_and_saveexec_b32 s20, s4
; %bb.1162:                             ;   in Loop: Header=BB362_796 Depth=1
	v_and_b32_e32 v18, 7, v22
	v_ffbh_u32_e32 v18, v18
	v_min_u32_e32 v18, 32, v18
	v_subrev_nc_u32_e32 v23, 28, v18
	v_sub_nc_u32_e32 v18, 29, v18
	v_lshlrev_b64 v[23:24], v23, v[11:12]
; %bb.1163:                             ;   in Loop: Header=BB362_796 Depth=1
	s_or_b32 exec_lo, exec_lo, s20
	v_lshlrev_b32_e32 v23, 20, v23
	v_lshlrev_b32_e32 v24, 24, v11
	v_lshl_add_u32 v18, v18, 23, 0x3c000000
	v_and_b32_e32 v23, 0x700000, v23
	v_and_b32_e32 v24, 0x80000000, v24
	v_or3_b32 v18, v23, v24, v18
.LBB362_1164:                           ;   in Loop: Header=BB362_796 Depth=1
	s_or_b32 exec_lo, exec_lo, s19
.LBB362_1165:                           ;   in Loop: Header=BB362_796 Depth=1
	s_or_b32 exec_lo, exec_lo, s18
.LBB362_1166:                           ;   in Loop: Header=BB362_796 Depth=1
	s_or_b32 exec_lo, exec_lo, s15
	v_cmp_ne_u16_sdwa s4, v11, v12 src0_sel:BYTE_1 src1_sel:DWORD
	s_and_saveexec_b32 s15, s4
	s_cbranch_execz .LBB362_1174
; %bb.1167:                             ;   in Loop: Header=BB362_796 Depth=1
	v_cmp_ne_u16_sdwa s4, v11, v55 src0_sel:BYTE_1 src1_sel:DWORD
	v_bfrev_b32_e32 v25, 1
	s_and_saveexec_b32 s18, s4
	s_cbranch_execz .LBB362_1173
; %bb.1168:                             ;   in Loop: Header=BB362_796 Depth=1
	v_mov_b32_e32 v23, 0xffff
	v_mov_b32_e32 v25, 0x7f800001
	s_mov_b32 s19, exec_lo
	v_and_b32_sdwa v23, v23, v11 dst_sel:DWORD dst_unused:UNUSED_PAD src0_sel:DWORD src1_sel:BYTE_1
	v_and_b32_e32 v26, 0x7f, v23
	v_cmpx_ne_u32_e32 0x7f, v26
	s_cbranch_execz .LBB362_1172
; %bb.1169:                             ;   in Loop: Header=BB362_796 Depth=1
	v_and_b32_e32 v23, 7, v23
	v_mov_b32_e32 v24, v12
	v_lshrrev_b32_e32 v25, 3, v26
	s_mov_b32 s20, exec_lo
	v_cmpx_gt_u32_e32 8, v26
; %bb.1170:                             ;   in Loop: Header=BB362_796 Depth=1
	v_ffbh_u32_e32 v25, v23
	v_min_u32_e32 v25, 32, v25
	v_subrev_nc_u32_e32 v26, 28, v25
	v_sub_nc_u32_e32 v25, 29, v25
	v_lshlrev_b64 v[23:24], v26, v[23:24]
	v_and_b32_e32 v23, 7, v23
; %bb.1171:                             ;   in Loop: Header=BB362_796 Depth=1
	s_or_b32 exec_lo, exec_lo, s20
	v_lshlrev_b32_e32 v11, 16, v11
	v_lshlrev_b32_e32 v23, 20, v23
	v_lshl_add_u32 v24, v25, 23, 0x3c000000
	v_and_b32_e32 v11, 0x80000000, v11
	v_or3_b32 v25, v23, v11, v24
.LBB362_1172:                           ;   in Loop: Header=BB362_796 Depth=1
	s_or_b32 exec_lo, exec_lo, s19
.LBB362_1173:                           ;   in Loop: Header=BB362_796 Depth=1
	s_or_b32 exec_lo, exec_lo, s18
.LBB362_1174:                           ;   in Loop: Header=BB362_796 Depth=1
	s_or_b32 exec_lo, exec_lo, s15
	v_and_b32_sdwa v11, v22, v65 dst_sel:DWORD dst_unused:UNUSED_PAD src0_sel:WORD_1 src1_sel:DWORD
	v_mov_b32_e32 v26, 0
	v_mov_b32_e32 v32, 0
	s_mov_b32 s15, exec_lo
	v_cmpx_ne_u16_e32 0, v11
	s_cbranch_execz .LBB362_1182
; %bb.1175:                             ;   in Loop: Header=BB362_796 Depth=1
	v_bfrev_b32_e32 v32, 1
	s_mov_b32 s18, exec_lo
	v_cmpx_ne_u16_e32 0x80, v11
	s_cbranch_execz .LBB362_1181
; %bb.1176:                             ;   in Loop: Header=BB362_796 Depth=1
	v_bfe_u32 v23, v22, 16, 7
	v_mov_b32_e32 v32, 0x7f800001
	s_mov_b32 s19, exec_lo
	v_cmpx_ne_u32_e32 0x7f, v23
	s_cbranch_execz .LBB362_1180
; %bb.1177:                             ;   in Loop: Header=BB362_796 Depth=1
	v_mov_b32_e32 v11, 7
	v_lshrrev_b32_e32 v28, 3, v23
	v_cmp_gt_u32_e64 s4, 8, v23
	v_and_b32_sdwa v11, v22, v11 dst_sel:DWORD dst_unused:UNUSED_PAD src0_sel:WORD_1 src1_sel:DWORD
	v_mov_b32_e32 v24, v12
	v_mov_b32_e32 v23, v11
	s_and_saveexec_b32 s20, s4
; %bb.1178:                             ;   in Loop: Header=BB362_796 Depth=1
	v_ffbh_u32_e32 v23, v11
	v_min_u32_e32 v28, 32, v23
	v_subrev_nc_u32_e32 v23, 28, v28
	v_sub_nc_u32_e32 v28, 29, v28
	v_lshlrev_b64 v[23:24], v23, v[11:12]
	v_and_b32_e32 v23, 7, v23
; %bb.1179:                             ;   in Loop: Header=BB362_796 Depth=1
	s_or_b32 exec_lo, exec_lo, s20
	v_mov_b32_e32 v11, 24
	v_lshlrev_b32_e32 v23, 20, v23
	v_lshl_add_u32 v24, v28, 23, 0x3c000000
	v_lshlrev_b32_sdwa v11, v11, v22 dst_sel:DWORD dst_unused:UNUSED_PAD src0_sel:DWORD src1_sel:WORD_1
	v_and_b32_e32 v11, 0x80000000, v11
	v_or3_b32 v32, v23, v11, v24
.LBB362_1180:                           ;   in Loop: Header=BB362_796 Depth=1
	s_or_b32 exec_lo, exec_lo, s19
.LBB362_1181:                           ;   in Loop: Header=BB362_796 Depth=1
	s_or_b32 exec_lo, exec_lo, s18
.LBB362_1182:                           ;   in Loop: Header=BB362_796 Depth=1
	s_or_b32 exec_lo, exec_lo, s15
	s_mov_b32 s15, exec_lo
	v_cmpx_lt_u64_e64 s[6:7], v[21:22]
	s_cbranch_execz .LBB362_1190
; %bb.1183:                             ;   in Loop: Header=BB362_796 Depth=1
	v_cmp_ne_u32_sdwa s4, v22, v55 src0_sel:BYTE_3 src1_sel:DWORD
	v_bfrev_b32_e32 v26, 1
	s_and_saveexec_b32 s18, s4
	s_cbranch_execz .LBB362_1189
; %bb.1184:                             ;   in Loop: Header=BB362_796 Depth=1
	v_bfe_u32 v23, v22, 24, 7
	v_mov_b32_e32 v26, 0x7f800001
	s_mov_b32 s19, exec_lo
	v_cmpx_ne_u32_e32 0x7f, v23
	s_cbranch_execz .LBB362_1188
; %bb.1185:                             ;   in Loop: Header=BB362_796 Depth=1
	v_mov_b32_e32 v11, 7
	v_lshrrev_b32_e32 v21, 3, v23
	v_cmp_gt_u32_e64 s4, 8, v23
	v_and_b32_sdwa v11, v22, v11 dst_sel:DWORD dst_unused:UNUSED_PAD src0_sel:BYTE_3 src1_sel:DWORD
	v_mov_b32_e32 v24, v12
	v_mov_b32_e32 v23, v11
	s_and_saveexec_b32 s20, s4
; %bb.1186:                             ;   in Loop: Header=BB362_796 Depth=1
	v_ffbh_u32_e32 v21, v11
	v_min_u32_e32 v21, 32, v21
	v_subrev_nc_u32_e32 v23, 28, v21
	v_sub_nc_u32_e32 v21, 29, v21
	v_lshlrev_b64 v[23:24], v23, v[11:12]
	v_and_b32_e32 v23, 7, v23
; %bb.1187:                             ;   in Loop: Header=BB362_796 Depth=1
	s_or_b32 exec_lo, exec_lo, s20
	v_mov_b32_e32 v11, 24
	v_lshl_add_u32 v21, v21, 23, 0x3c000000
	v_lshlrev_b32_sdwa v11, v11, v22 dst_sel:DWORD dst_unused:UNUSED_PAD src0_sel:DWORD src1_sel:BYTE_3
	v_lshlrev_b32_e32 v22, 20, v23
	v_and_b32_e32 v11, 0x80000000, v11
	v_or3_b32 v26, v22, v11, v21
.LBB362_1188:                           ;   in Loop: Header=BB362_796 Depth=1
	s_or_b32 exec_lo, exec_lo, s19
.LBB362_1189:                           ;   in Loop: Header=BB362_796 Depth=1
	s_or_b32 exec_lo, exec_lo, s18
.LBB362_1190:                           ;   in Loop: Header=BB362_796 Depth=1
	s_or_b32 exec_lo, exec_lo, s15
	v_mul_f32_e32 v11, v52, v25
	v_mul_f32_e32 v18, v52, v18
	;; [unrolled: 1-line block ×5, first 2 shown]
	v_bfe_u32 v21, v11, 16, 1
	v_or_b32_e32 v22, 0x400000, v11
	v_bfe_u32 v23, v18, 16, 1
	v_cmp_u_f32_e64 s4, v11, v11
	v_or_b32_e32 v24, 0x400000, v18
	v_add3_u32 v21, v21, v11, 0x7fff
	v_bfe_u32 v25, v17, 16, 1
	v_add3_u32 v23, v23, v18, 0x7fff
	v_or_b32_e32 v28, 0x400000, v17
	v_bfe_u32 v64, v14, 16, 1
	v_cndmask_b32_e64 v11, v21, v22, s4
	v_cmp_u_f32_e64 s4, v18, v18
	v_add3_u32 v25, v25, v17, 0x7fff
	v_or_b32_e32 v21, 0x400000, v14
	v_mul_f32_e32 v22, v52, v26
	v_cndmask_b32_e64 v18, v23, v24, s4
	v_cmp_u_f32_e64 s4, v17, v17
	v_bfe_u32 v23, v10, 16, 1
	v_or_b32_e32 v26, 0x400000, v22
	v_lshrrev_b32_e32 v18, 16, v18
	v_cndmask_b32_e64 v17, v25, v28, s4
	v_lshrrev_b32_e32 v28, 16, v11
	v_mul_f32_e32 v11, v52, v13
	v_add3_u32 v13, v64, v14, 0x7fff
	v_cmp_u_f32_e64 s4, v14, v14
	v_lshrrev_b32_e32 v74, 16, v17
	v_mul_f32_e32 v14, v52, v32
	v_bfe_u32 v17, v11, 16, 1
	v_cndmask_b32_e64 v13, v13, v21, s4
	v_or_b32_e32 v21, 0x400000, v11
	v_cmp_u_f32_e64 s4, v11, v11
	v_add3_u32 v17, v17, v11, 0x7fff
	v_bfe_u32 v24, v14, 16, 1
	v_or_b32_e32 v25, 0x400000, v14
	v_lshrrev_b32_e32 v75, 16, v13
	v_cndmask_b32_e64 v11, v17, v21, s4
	v_add3_u32 v21, v23, v10, 0x7fff
	v_or_b32_e32 v23, 0x400000, v10
	v_cmp_u_f32_e64 s4, v10, v10
	v_bfe_u32 v17, v22, 16, 1
	v_add3_u32 v24, v24, v14, 0x7fff
	v_lshrrev_b32_e32 v77, 16, v11
	v_cndmask_b32_e64 v10, v21, v23, s4
	v_cmp_u_f32_e64 s4, v14, v14
	v_add3_u32 v17, v17, v22, 0x7fff
	v_lshrrev_b32_e32 v76, 16, v10
	v_cndmask_b32_e64 v14, v24, v25, s4
	v_cmp_u_f32_e64 s4, v22, v22
	v_lshrrev_b32_e32 v72, 16, v14
	v_cndmask_b32_e64 v17, v17, v26, s4
	v_lshrrev_b32_e32 v73, 16, v17
	s_and_saveexec_b32 s15, vcc_lo
	s_cbranch_execz .LBB362_1192
; %bb.1191:                             ;   in Loop: Header=BB362_796 Depth=1
	v_cmp_lt_i32_e64 s4, v117, v29
	v_cndmask_b32_e64 v76, 0, v76, s4
	v_cmp_lt_i32_e64 s4, v43, v29
	v_cndmask_b32_e64 v77, 0, v77, s4
	;; [unrolled: 2-line block ×8, first 2 shown]
.LBB362_1192:                           ;   in Loop: Header=BB362_796 Depth=1
	s_or_b32 exec_lo, exec_lo, s15
	flat_load_dwordx2 v[21:22], v[19:20] offset:1536
	v_mov_b32_e32 v13, 0
	v_mov_b32_e32 v10, 0
	s_waitcnt vmcnt(0) lgkmcnt(0)
	v_cmp_ne_u16_sdwa s4, v21, v12 src0_sel:BYTE_0 src1_sel:DWORD
	s_and_saveexec_b32 s15, s4
	s_cbranch_execz .LBB362_1200
; %bb.1193:                             ;   in Loop: Header=BB362_796 Depth=1
	v_cmp_ne_u16_sdwa s4, v21, v55 src0_sel:BYTE_0 src1_sel:DWORD
	v_bfrev_b32_e32 v10, 1
	s_and_saveexec_b32 s18, s4
	s_cbranch_execz .LBB362_1199
; %bb.1194:                             ;   in Loop: Header=BB362_796 Depth=1
	v_and_b32_e32 v11, 0x7f, v21
	v_mov_b32_e32 v10, 0x7f800001
	s_mov_b32 s19, exec_lo
	v_cmpx_ne_u32_e32 0x7f, v11
	s_cbranch_execz .LBB362_1198
; %bb.1195:                             ;   in Loop: Header=BB362_796 Depth=1
	v_lshrrev_b32_e32 v14, 3, v11
	v_cmp_gt_u32_e64 s4, 8, v11
	v_mov_b32_e32 v10, v21
	v_mov_b32_e32 v11, v22
	s_and_saveexec_b32 s20, s4
; %bb.1196:                             ;   in Loop: Header=BB362_796 Depth=1
	v_and_b32_e32 v10, 7, v21
	v_ffbh_u32_e32 v10, v10
	v_min_u32_e32 v14, 32, v10
	v_subrev_nc_u32_e32 v10, 28, v14
	v_sub_nc_u32_e32 v14, 29, v14
	v_lshlrev_b64 v[10:11], v10, v[21:22]
; %bb.1197:                             ;   in Loop: Header=BB362_796 Depth=1
	s_or_b32 exec_lo, exec_lo, s20
	v_lshlrev_b32_e32 v10, 20, v10
	v_lshlrev_b32_e32 v11, 24, v21
	v_lshl_add_u32 v14, v14, 23, 0x3c000000
	v_and_b32_e32 v10, 0x700000, v10
	v_and_b32_e32 v11, 0x80000000, v11
	v_or3_b32 v10, v10, v11, v14
.LBB362_1198:                           ;   in Loop: Header=BB362_796 Depth=1
	s_or_b32 exec_lo, exec_lo, s19
.LBB362_1199:                           ;   in Loop: Header=BB362_796 Depth=1
	s_or_b32 exec_lo, exec_lo, s18
.LBB362_1200:                           ;   in Loop: Header=BB362_796 Depth=1
	s_or_b32 exec_lo, exec_lo, s15
	v_cmp_ne_u16_sdwa s4, v21, v12 src0_sel:BYTE_1 src1_sel:DWORD
	s_and_saveexec_b32 s15, s4
	s_cbranch_execz .LBB362_1208
; %bb.1201:                             ;   in Loop: Header=BB362_796 Depth=1
	v_cmp_ne_u16_sdwa s4, v21, v55 src0_sel:BYTE_1 src1_sel:DWORD
	v_bfrev_b32_e32 v13, 1
	s_and_saveexec_b32 s18, s4
	s_cbranch_execz .LBB362_1207
; %bb.1202:                             ;   in Loop: Header=BB362_796 Depth=1
	v_mov_b32_e32 v11, 0xffff
	v_mov_b32_e32 v13, 0x7f800001
	s_mov_b32 s19, exec_lo
	v_and_b32_sdwa v11, v11, v21 dst_sel:DWORD dst_unused:UNUSED_PAD src0_sel:DWORD src1_sel:BYTE_1
	v_and_b32_e32 v14, 0x7f, v11
	v_cmpx_ne_u32_e32 0x7f, v14
	s_cbranch_execz .LBB362_1206
; %bb.1203:                             ;   in Loop: Header=BB362_796 Depth=1
	v_and_b32_e32 v11, 7, v11
	v_mov_b32_e32 v24, v12
	v_lshrrev_b32_e32 v13, 3, v14
	s_mov_b32 s20, exec_lo
	v_mov_b32_e32 v23, v11
	v_cmpx_gt_u32_e32 8, v14
; %bb.1204:                             ;   in Loop: Header=BB362_796 Depth=1
	v_ffbh_u32_e32 v13, v11
	v_min_u32_e32 v13, 32, v13
	v_subrev_nc_u32_e32 v14, 28, v13
	v_sub_nc_u32_e32 v13, 29, v13
	v_lshlrev_b64 v[23:24], v14, v[11:12]
	v_and_b32_e32 v23, 7, v23
; %bb.1205:                             ;   in Loop: Header=BB362_796 Depth=1
	s_or_b32 exec_lo, exec_lo, s20
	v_lshlrev_b32_e32 v11, 16, v21
	v_lshlrev_b32_e32 v14, 20, v23
	v_lshl_add_u32 v13, v13, 23, 0x3c000000
	v_and_b32_e32 v11, 0x80000000, v11
	v_or3_b32 v13, v14, v11, v13
.LBB362_1206:                           ;   in Loop: Header=BB362_796 Depth=1
	s_or_b32 exec_lo, exec_lo, s19
.LBB362_1207:                           ;   in Loop: Header=BB362_796 Depth=1
	s_or_b32 exec_lo, exec_lo, s18
.LBB362_1208:                           ;   in Loop: Header=BB362_796 Depth=1
	s_or_b32 exec_lo, exec_lo, s15
	v_and_b32_sdwa v11, v21, v65 dst_sel:DWORD dst_unused:UNUSED_PAD src0_sel:WORD_1 src1_sel:DWORD
	v_mov_b32_e32 v17, 0
	v_mov_b32_e32 v14, 0
	s_mov_b32 s15, exec_lo
	v_cmpx_ne_u16_e32 0, v11
	s_cbranch_execz .LBB362_1216
; %bb.1209:                             ;   in Loop: Header=BB362_796 Depth=1
	v_bfrev_b32_e32 v14, 1
	s_mov_b32 s18, exec_lo
	v_cmpx_ne_u16_e32 0x80, v11
	s_cbranch_execz .LBB362_1215
; %bb.1210:                             ;   in Loop: Header=BB362_796 Depth=1
	v_bfe_u32 v23, v21, 16, 7
	v_mov_b32_e32 v14, 0x7f800001
	s_mov_b32 s19, exec_lo
	v_cmpx_ne_u32_e32 0x7f, v23
	s_cbranch_execz .LBB362_1214
; %bb.1211:                             ;   in Loop: Header=BB362_796 Depth=1
	v_mov_b32_e32 v11, 7
	v_lshrrev_b32_e32 v14, 3, v23
	v_cmp_gt_u32_e64 s4, 8, v23
	v_and_b32_sdwa v11, v21, v11 dst_sel:DWORD dst_unused:UNUSED_PAD src0_sel:WORD_1 src1_sel:DWORD
	v_mov_b32_e32 v24, v12
	v_mov_b32_e32 v23, v11
	s_and_saveexec_b32 s20, s4
; %bb.1212:                             ;   in Loop: Header=BB362_796 Depth=1
	v_ffbh_u32_e32 v14, v11
	v_min_u32_e32 v14, 32, v14
	v_subrev_nc_u32_e32 v23, 28, v14
	v_sub_nc_u32_e32 v14, 29, v14
	v_lshlrev_b64 v[23:24], v23, v[11:12]
	v_and_b32_e32 v23, 7, v23
; %bb.1213:                             ;   in Loop: Header=BB362_796 Depth=1
	s_or_b32 exec_lo, exec_lo, s20
	v_mov_b32_e32 v11, 24
	v_lshlrev_b32_e32 v23, 20, v23
	v_lshl_add_u32 v14, v14, 23, 0x3c000000
	v_lshlrev_b32_sdwa v11, v11, v21 dst_sel:DWORD dst_unused:UNUSED_PAD src0_sel:DWORD src1_sel:WORD_1
	v_and_b32_e32 v11, 0x80000000, v11
	v_or3_b32 v14, v23, v11, v14
.LBB362_1214:                           ;   in Loop: Header=BB362_796 Depth=1
	s_or_b32 exec_lo, exec_lo, s19
.LBB362_1215:                           ;   in Loop: Header=BB362_796 Depth=1
	s_or_b32 exec_lo, exec_lo, s18
.LBB362_1216:                           ;   in Loop: Header=BB362_796 Depth=1
	s_or_b32 exec_lo, exec_lo, s15
	s_mov_b32 s15, exec_lo
	v_cmpx_lt_u32_e32 0xffffff, v21
	s_cbranch_execz .LBB362_1224
; %bb.1217:                             ;   in Loop: Header=BB362_796 Depth=1
	v_cmp_ne_u32_sdwa s4, v21, v55 src0_sel:BYTE_3 src1_sel:DWORD
	v_bfrev_b32_e32 v17, 1
	s_and_saveexec_b32 s18, s4
	s_cbranch_execz .LBB362_1223
; %bb.1218:                             ;   in Loop: Header=BB362_796 Depth=1
	v_bfe_u32 v23, v21, 24, 7
	v_mov_b32_e32 v17, 0x7f800001
	s_mov_b32 s19, exec_lo
	v_cmpx_ne_u32_e32 0x7f, v23
	s_cbranch_execz .LBB362_1222
; %bb.1219:                             ;   in Loop: Header=BB362_796 Depth=1
	v_mov_b32_e32 v11, 7
	v_lshrrev_b32_e32 v17, 3, v23
	v_cmp_gt_u32_e64 s4, 8, v23
	v_and_b32_sdwa v11, v21, v11 dst_sel:DWORD dst_unused:UNUSED_PAD src0_sel:BYTE_3 src1_sel:DWORD
	v_mov_b32_e32 v24, v12
	v_mov_b32_e32 v23, v11
	s_and_saveexec_b32 s20, s4
; %bb.1220:                             ;   in Loop: Header=BB362_796 Depth=1
	v_ffbh_u32_e32 v17, v11
	v_min_u32_e32 v17, 32, v17
	v_subrev_nc_u32_e32 v23, 28, v17
	v_sub_nc_u32_e32 v17, 29, v17
	v_lshlrev_b64 v[23:24], v23, v[11:12]
	v_and_b32_e32 v23, 7, v23
; %bb.1221:                             ;   in Loop: Header=BB362_796 Depth=1
	s_or_b32 exec_lo, exec_lo, s20
	v_mov_b32_e32 v11, 24
	v_lshlrev_b32_e32 v23, 20, v23
	v_lshl_add_u32 v17, v17, 23, 0x3c000000
	v_lshlrev_b32_sdwa v11, v11, v21 dst_sel:DWORD dst_unused:UNUSED_PAD src0_sel:DWORD src1_sel:BYTE_3
	v_and_b32_e32 v11, 0x80000000, v11
	v_or3_b32 v17, v23, v11, v17
.LBB362_1222:                           ;   in Loop: Header=BB362_796 Depth=1
	s_or_b32 exec_lo, exec_lo, s19
.LBB362_1223:                           ;   in Loop: Header=BB362_796 Depth=1
	s_or_b32 exec_lo, exec_lo, s18
.LBB362_1224:                           ;   in Loop: Header=BB362_796 Depth=1
	s_or_b32 exec_lo, exec_lo, s15
	v_mov_b32_e32 v11, v22
	v_cmp_ne_u16_sdwa s4, v22, v12 src0_sel:BYTE_0 src1_sel:DWORD
	v_mov_b32_e32 v26, 0
	v_mov_b32_e32 v25, 0
	s_and_saveexec_b32 s15, s4
	s_cbranch_execz .LBB362_1232
; %bb.1225:                             ;   in Loop: Header=BB362_796 Depth=1
	v_cmp_ne_u16_sdwa s4, v22, v55 src0_sel:BYTE_0 src1_sel:DWORD
	v_bfrev_b32_e32 v25, 1
	s_and_saveexec_b32 s18, s4
	s_cbranch_execz .LBB362_1231
; %bb.1226:                             ;   in Loop: Header=BB362_796 Depth=1
	v_and_b32_e32 v23, 0x7f, v22
	v_mov_b32_e32 v25, 0x7f800001
	s_mov_b32 s19, exec_lo
	v_cmpx_ne_u32_e32 0x7f, v23
	s_cbranch_execz .LBB362_1230
; %bb.1227:                             ;   in Loop: Header=BB362_796 Depth=1
	v_lshrrev_b32_e32 v25, 3, v23
	v_cmp_gt_u32_e64 s4, 8, v23
	v_mov_b32_e32 v24, v12
	v_mov_b32_e32 v23, v11
	s_and_saveexec_b32 s20, s4
; %bb.1228:                             ;   in Loop: Header=BB362_796 Depth=1
	v_and_b32_e32 v23, 7, v22
	v_ffbh_u32_e32 v23, v23
	v_min_u32_e32 v25, 32, v23
	v_subrev_nc_u32_e32 v23, 28, v25
	v_sub_nc_u32_e32 v25, 29, v25
	v_lshlrev_b64 v[23:24], v23, v[11:12]
; %bb.1229:                             ;   in Loop: Header=BB362_796 Depth=1
	s_or_b32 exec_lo, exec_lo, s20
	v_lshlrev_b32_e32 v23, 20, v23
	v_lshlrev_b32_e32 v24, 24, v11
	v_lshl_add_u32 v25, v25, 23, 0x3c000000
	v_and_b32_e32 v23, 0x700000, v23
	v_and_b32_e32 v24, 0x80000000, v24
	v_or3_b32 v25, v23, v24, v25
.LBB362_1230:                           ;   in Loop: Header=BB362_796 Depth=1
	s_or_b32 exec_lo, exec_lo, s19
.LBB362_1231:                           ;   in Loop: Header=BB362_796 Depth=1
	s_or_b32 exec_lo, exec_lo, s18
.LBB362_1232:                           ;   in Loop: Header=BB362_796 Depth=1
	s_or_b32 exec_lo, exec_lo, s15
	v_cmp_ne_u16_sdwa s4, v11, v12 src0_sel:BYTE_1 src1_sel:DWORD
	s_and_saveexec_b32 s15, s4
	s_cbranch_execz .LBB362_1240
; %bb.1233:                             ;   in Loop: Header=BB362_796 Depth=1
	v_cmp_ne_u16_sdwa s4, v11, v55 src0_sel:BYTE_1 src1_sel:DWORD
	v_bfrev_b32_e32 v26, 1
	s_and_saveexec_b32 s18, s4
	s_cbranch_execz .LBB362_1239
; %bb.1234:                             ;   in Loop: Header=BB362_796 Depth=1
	v_mov_b32_e32 v23, 0xffff
	v_mov_b32_e32 v26, 0x7f800001
	s_mov_b32 s19, exec_lo
	v_and_b32_sdwa v23, v23, v11 dst_sel:DWORD dst_unused:UNUSED_PAD src0_sel:DWORD src1_sel:BYTE_1
	v_and_b32_e32 v32, 0x7f, v23
	v_cmpx_ne_u32_e32 0x7f, v32
	s_cbranch_execz .LBB362_1238
; %bb.1235:                             ;   in Loop: Header=BB362_796 Depth=1
	v_and_b32_e32 v23, 7, v23
	v_mov_b32_e32 v24, v12
	v_lshrrev_b32_e32 v26, 3, v32
	s_mov_b32 s20, exec_lo
	v_cmpx_gt_u32_e32 8, v32
; %bb.1236:                             ;   in Loop: Header=BB362_796 Depth=1
	v_ffbh_u32_e32 v26, v23
	v_min_u32_e32 v26, 32, v26
	v_subrev_nc_u32_e32 v32, 28, v26
	v_sub_nc_u32_e32 v26, 29, v26
	v_lshlrev_b64 v[23:24], v32, v[23:24]
	v_and_b32_e32 v23, 7, v23
; %bb.1237:                             ;   in Loop: Header=BB362_796 Depth=1
	s_or_b32 exec_lo, exec_lo, s20
	v_lshlrev_b32_e32 v11, 16, v11
	v_lshlrev_b32_e32 v23, 20, v23
	v_lshl_add_u32 v24, v26, 23, 0x3c000000
	v_and_b32_e32 v11, 0x80000000, v11
	v_or3_b32 v26, v23, v11, v24
.LBB362_1238:                           ;   in Loop: Header=BB362_796 Depth=1
	s_or_b32 exec_lo, exec_lo, s19
.LBB362_1239:                           ;   in Loop: Header=BB362_796 Depth=1
	s_or_b32 exec_lo, exec_lo, s18
.LBB362_1240:                           ;   in Loop: Header=BB362_796 Depth=1
	s_or_b32 exec_lo, exec_lo, s15
	v_and_b32_sdwa v11, v22, v65 dst_sel:DWORD dst_unused:UNUSED_PAD src0_sel:WORD_1 src1_sel:DWORD
	v_mov_b32_e32 v32, 0
	v_mov_b32_e32 v64, 0
	s_mov_b32 s15, exec_lo
	v_cmpx_ne_u16_e32 0, v11
	s_cbranch_execz .LBB362_1248
; %bb.1241:                             ;   in Loop: Header=BB362_796 Depth=1
	v_bfrev_b32_e32 v64, 1
	s_mov_b32 s18, exec_lo
	v_cmpx_ne_u16_e32 0x80, v11
	s_cbranch_execz .LBB362_1247
; %bb.1242:                             ;   in Loop: Header=BB362_796 Depth=1
	v_bfe_u32 v23, v22, 16, 7
	v_mov_b32_e32 v64, 0x7f800001
	s_mov_b32 s19, exec_lo
	v_cmpx_ne_u32_e32 0x7f, v23
	s_cbranch_execz .LBB362_1246
; %bb.1243:                             ;   in Loop: Header=BB362_796 Depth=1
	v_mov_b32_e32 v11, 7
	v_lshrrev_b32_e32 v64, 3, v23
	v_cmp_gt_u32_e64 s4, 8, v23
	v_and_b32_sdwa v11, v22, v11 dst_sel:DWORD dst_unused:UNUSED_PAD src0_sel:WORD_1 src1_sel:DWORD
	v_mov_b32_e32 v24, v12
	v_mov_b32_e32 v23, v11
	s_and_saveexec_b32 s20, s4
; %bb.1244:                             ;   in Loop: Header=BB362_796 Depth=1
	v_ffbh_u32_e32 v23, v11
	v_min_u32_e32 v64, 32, v23
	v_subrev_nc_u32_e32 v23, 28, v64
	v_sub_nc_u32_e32 v64, 29, v64
	v_lshlrev_b64 v[23:24], v23, v[11:12]
	v_and_b32_e32 v23, 7, v23
; %bb.1245:                             ;   in Loop: Header=BB362_796 Depth=1
	s_or_b32 exec_lo, exec_lo, s20
	v_mov_b32_e32 v11, 24
	v_lshlrev_b32_e32 v23, 20, v23
	v_lshl_add_u32 v24, v64, 23, 0x3c000000
	v_lshlrev_b32_sdwa v11, v11, v22 dst_sel:DWORD dst_unused:UNUSED_PAD src0_sel:DWORD src1_sel:WORD_1
	v_and_b32_e32 v11, 0x80000000, v11
	v_or3_b32 v64, v23, v11, v24
.LBB362_1246:                           ;   in Loop: Header=BB362_796 Depth=1
	s_or_b32 exec_lo, exec_lo, s19
.LBB362_1247:                           ;   in Loop: Header=BB362_796 Depth=1
	s_or_b32 exec_lo, exec_lo, s18
.LBB362_1248:                           ;   in Loop: Header=BB362_796 Depth=1
	s_or_b32 exec_lo, exec_lo, s15
	s_mov_b32 s15, exec_lo
	v_cmpx_lt_u64_e64 s[6:7], v[21:22]
	s_cbranch_execz .LBB362_1256
; %bb.1249:                             ;   in Loop: Header=BB362_796 Depth=1
	v_cmp_ne_u32_sdwa s4, v22, v55 src0_sel:BYTE_3 src1_sel:DWORD
	v_bfrev_b32_e32 v32, 1
	s_and_saveexec_b32 s18, s4
	s_cbranch_execz .LBB362_1255
; %bb.1250:                             ;   in Loop: Header=BB362_796 Depth=1
	v_bfe_u32 v23, v22, 24, 7
	v_mov_b32_e32 v32, 0x7f800001
	s_mov_b32 s19, exec_lo
	v_cmpx_ne_u32_e32 0x7f, v23
	s_cbranch_execz .LBB362_1254
; %bb.1251:                             ;   in Loop: Header=BB362_796 Depth=1
	v_mov_b32_e32 v11, 7
	v_lshrrev_b32_e32 v21, 3, v23
	v_cmp_gt_u32_e64 s4, 8, v23
	v_and_b32_sdwa v11, v22, v11 dst_sel:DWORD dst_unused:UNUSED_PAD src0_sel:BYTE_3 src1_sel:DWORD
	v_mov_b32_e32 v24, v12
	v_mov_b32_e32 v23, v11
	s_and_saveexec_b32 s20, s4
; %bb.1252:                             ;   in Loop: Header=BB362_796 Depth=1
	v_ffbh_u32_e32 v21, v11
	v_min_u32_e32 v21, 32, v21
	v_subrev_nc_u32_e32 v23, 28, v21
	v_sub_nc_u32_e32 v21, 29, v21
	v_lshlrev_b64 v[23:24], v23, v[11:12]
	v_and_b32_e32 v23, 7, v23
; %bb.1253:                             ;   in Loop: Header=BB362_796 Depth=1
	s_or_b32 exec_lo, exec_lo, s20
	v_mov_b32_e32 v11, 24
	v_lshl_add_u32 v21, v21, 23, 0x3c000000
	v_lshlrev_b32_sdwa v11, v11, v22 dst_sel:DWORD dst_unused:UNUSED_PAD src0_sel:DWORD src1_sel:BYTE_3
	v_lshlrev_b32_e32 v22, 20, v23
	v_and_b32_e32 v11, 0x80000000, v11
	v_or3_b32 v32, v22, v11, v21
.LBB362_1254:                           ;   in Loop: Header=BB362_796 Depth=1
	s_or_b32 exec_lo, exec_lo, s19
.LBB362_1255:                           ;   in Loop: Header=BB362_796 Depth=1
	s_or_b32 exec_lo, exec_lo, s18
.LBB362_1256:                           ;   in Loop: Header=BB362_796 Depth=1
	s_or_b32 exec_lo, exec_lo, s15
	v_mul_f32_e32 v11, v52, v26
	v_mul_f32_e32 v21, v52, v25
	;; [unrolled: 1-line block ×5, first 2 shown]
	v_bfe_u32 v22, v11, 16, 1
	v_or_b32_e32 v23, 0x400000, v11
	v_bfe_u32 v24, v21, 16, 1
	v_cmp_u_f32_e64 s4, v11, v11
	v_or_b32_e32 v25, 0x400000, v21
	v_add3_u32 v22, v22, v11, 0x7fff
	v_bfe_u32 v26, v17, 16, 1
	v_add3_u32 v24, v24, v21, 0x7fff
	v_or_b32_e32 v66, 0x400000, v17
	v_bfe_u32 v67, v14, 16, 1
	v_cndmask_b32_e64 v11, v22, v23, s4
	v_cmp_u_f32_e64 s4, v21, v21
	v_add3_u32 v26, v26, v17, 0x7fff
	v_or_b32_e32 v22, 0x400000, v14
	v_bfe_u32 v23, v10, 16, 1
	v_lshrrev_b32_e32 v79, 16, v11
	v_cndmask_b32_e64 v21, v24, v25, s4
	v_cmp_u_f32_e64 s4, v17, v17
	v_mul_f32_e32 v11, v52, v13
	v_add3_u32 v13, v67, v14, 0x7fff
	v_lshrrev_b32_e32 v78, 16, v21
	v_cndmask_b32_e64 v17, v26, v66, s4
	v_cmp_u_f32_e64 s4, v14, v14
	v_mul_f32_e32 v14, v52, v64
	v_or_b32_e32 v21, 0x400000, v11
	v_lshrrev_b32_e32 v90, 16, v17
	v_bfe_u32 v17, v11, 16, 1
	v_cndmask_b32_e64 v13, v13, v22, s4
	v_cmp_u_f32_e64 s4, v11, v11
	v_mul_f32_e32 v22, v52, v32
	v_bfe_u32 v24, v14, 16, 1
	v_add3_u32 v17, v17, v11, 0x7fff
	v_or_b32_e32 v25, 0x400000, v14
	v_lshrrev_b32_e32 v91, 16, v13
	v_or_b32_e32 v26, 0x400000, v22
	v_add3_u32 v24, v24, v14, 0x7fff
	v_cndmask_b32_e64 v11, v17, v21, s4
	v_add3_u32 v21, v23, v10, 0x7fff
	v_or_b32_e32 v23, 0x400000, v10
	v_cmp_u_f32_e64 s4, v10, v10
	v_bfe_u32 v17, v22, 16, 1
	v_lshrrev_b32_e32 v93, 16, v11
	v_cndmask_b32_e64 v10, v21, v23, s4
	v_cmp_u_f32_e64 s4, v14, v14
	v_add3_u32 v17, v17, v22, 0x7fff
	v_lshrrev_b32_e32 v92, 16, v10
	v_cndmask_b32_e64 v14, v24, v25, s4
	v_cmp_u_f32_e64 s4, v22, v22
	v_lshrrev_b32_e32 v88, 16, v14
	v_cndmask_b32_e64 v17, v17, v26, s4
	v_lshrrev_b32_e32 v89, 16, v17
	s_and_saveexec_b32 s15, vcc_lo
	s_cbranch_execz .LBB362_1258
; %bb.1257:                             ;   in Loop: Header=BB362_796 Depth=1
	v_cmp_lt_i32_e64 s4, v117, v29
	v_cndmask_b32_e64 v92, 0, v92, s4
	v_cmp_lt_i32_e64 s4, v43, v29
	v_cndmask_b32_e64 v93, 0, v93, s4
	;; [unrolled: 2-line block ×8, first 2 shown]
.LBB362_1258:                           ;   in Loop: Header=BB362_796 Depth=1
	s_or_b32 exec_lo, exec_lo, s15
	flat_load_dwordx2 v[21:22], v[19:20] offset:1792
	v_mov_b32_e32 v13, 0
	v_mov_b32_e32 v10, 0
	s_waitcnt vmcnt(0) lgkmcnt(0)
	v_cmp_ne_u16_sdwa s4, v21, v12 src0_sel:BYTE_0 src1_sel:DWORD
	s_and_saveexec_b32 s15, s4
	s_cbranch_execz .LBB362_1266
; %bb.1259:                             ;   in Loop: Header=BB362_796 Depth=1
	v_cmp_ne_u16_sdwa s4, v21, v55 src0_sel:BYTE_0 src1_sel:DWORD
	v_bfrev_b32_e32 v10, 1
	s_and_saveexec_b32 s18, s4
	s_cbranch_execz .LBB362_1265
; %bb.1260:                             ;   in Loop: Header=BB362_796 Depth=1
	v_and_b32_e32 v11, 0x7f, v21
	v_mov_b32_e32 v10, 0x7f800001
	s_mov_b32 s19, exec_lo
	v_cmpx_ne_u32_e32 0x7f, v11
	s_cbranch_execz .LBB362_1264
; %bb.1261:                             ;   in Loop: Header=BB362_796 Depth=1
	v_lshrrev_b32_e32 v14, 3, v11
	v_cmp_gt_u32_e64 s4, 8, v11
	v_mov_b32_e32 v10, v21
	v_mov_b32_e32 v11, v22
	s_and_saveexec_b32 s20, s4
; %bb.1262:                             ;   in Loop: Header=BB362_796 Depth=1
	v_and_b32_e32 v10, 7, v21
	v_ffbh_u32_e32 v10, v10
	v_min_u32_e32 v14, 32, v10
	v_subrev_nc_u32_e32 v10, 28, v14
	v_sub_nc_u32_e32 v14, 29, v14
	v_lshlrev_b64 v[10:11], v10, v[21:22]
; %bb.1263:                             ;   in Loop: Header=BB362_796 Depth=1
	s_or_b32 exec_lo, exec_lo, s20
	v_lshlrev_b32_e32 v10, 20, v10
	v_lshlrev_b32_e32 v11, 24, v21
	v_lshl_add_u32 v14, v14, 23, 0x3c000000
	v_and_b32_e32 v10, 0x700000, v10
	v_and_b32_e32 v11, 0x80000000, v11
	v_or3_b32 v10, v10, v11, v14
.LBB362_1264:                           ;   in Loop: Header=BB362_796 Depth=1
	s_or_b32 exec_lo, exec_lo, s19
.LBB362_1265:                           ;   in Loop: Header=BB362_796 Depth=1
	s_or_b32 exec_lo, exec_lo, s18
.LBB362_1266:                           ;   in Loop: Header=BB362_796 Depth=1
	s_or_b32 exec_lo, exec_lo, s15
	v_cmp_ne_u16_sdwa s4, v21, v12 src0_sel:BYTE_1 src1_sel:DWORD
	s_and_saveexec_b32 s15, s4
	s_cbranch_execz .LBB362_1274
; %bb.1267:                             ;   in Loop: Header=BB362_796 Depth=1
	v_cmp_ne_u16_sdwa s4, v21, v55 src0_sel:BYTE_1 src1_sel:DWORD
	v_bfrev_b32_e32 v13, 1
	s_and_saveexec_b32 s18, s4
	s_cbranch_execz .LBB362_1273
; %bb.1268:                             ;   in Loop: Header=BB362_796 Depth=1
	v_mov_b32_e32 v11, 0xffff
	v_mov_b32_e32 v13, 0x7f800001
	s_mov_b32 s19, exec_lo
	v_and_b32_sdwa v11, v11, v21 dst_sel:DWORD dst_unused:UNUSED_PAD src0_sel:DWORD src1_sel:BYTE_1
	v_and_b32_e32 v14, 0x7f, v11
	v_cmpx_ne_u32_e32 0x7f, v14
	s_cbranch_execz .LBB362_1272
; %bb.1269:                             ;   in Loop: Header=BB362_796 Depth=1
	v_and_b32_e32 v11, 7, v11
	v_mov_b32_e32 v24, v12
	v_lshrrev_b32_e32 v13, 3, v14
	s_mov_b32 s20, exec_lo
	v_mov_b32_e32 v23, v11
	v_cmpx_gt_u32_e32 8, v14
; %bb.1270:                             ;   in Loop: Header=BB362_796 Depth=1
	v_ffbh_u32_e32 v13, v11
	v_min_u32_e32 v13, 32, v13
	v_subrev_nc_u32_e32 v14, 28, v13
	v_sub_nc_u32_e32 v13, 29, v13
	v_lshlrev_b64 v[23:24], v14, v[11:12]
	v_and_b32_e32 v23, 7, v23
; %bb.1271:                             ;   in Loop: Header=BB362_796 Depth=1
	s_or_b32 exec_lo, exec_lo, s20
	v_lshlrev_b32_e32 v11, 16, v21
	v_lshlrev_b32_e32 v14, 20, v23
	v_lshl_add_u32 v13, v13, 23, 0x3c000000
	v_and_b32_e32 v11, 0x80000000, v11
	v_or3_b32 v13, v14, v11, v13
.LBB362_1272:                           ;   in Loop: Header=BB362_796 Depth=1
	s_or_b32 exec_lo, exec_lo, s19
.LBB362_1273:                           ;   in Loop: Header=BB362_796 Depth=1
	s_or_b32 exec_lo, exec_lo, s18
.LBB362_1274:                           ;   in Loop: Header=BB362_796 Depth=1
	s_or_b32 exec_lo, exec_lo, s15
	v_and_b32_sdwa v11, v21, v65 dst_sel:DWORD dst_unused:UNUSED_PAD src0_sel:WORD_1 src1_sel:DWORD
	v_mov_b32_e32 v17, 0
	v_mov_b32_e32 v14, 0
	s_mov_b32 s15, exec_lo
	v_cmpx_ne_u16_e32 0, v11
	s_cbranch_execz .LBB362_1282
; %bb.1275:                             ;   in Loop: Header=BB362_796 Depth=1
	v_bfrev_b32_e32 v14, 1
	s_mov_b32 s18, exec_lo
	v_cmpx_ne_u16_e32 0x80, v11
	s_cbranch_execz .LBB362_1281
; %bb.1276:                             ;   in Loop: Header=BB362_796 Depth=1
	v_bfe_u32 v23, v21, 16, 7
	v_mov_b32_e32 v14, 0x7f800001
	s_mov_b32 s19, exec_lo
	v_cmpx_ne_u32_e32 0x7f, v23
	s_cbranch_execz .LBB362_1280
; %bb.1277:                             ;   in Loop: Header=BB362_796 Depth=1
	v_mov_b32_e32 v11, 7
	v_lshrrev_b32_e32 v14, 3, v23
	v_cmp_gt_u32_e64 s4, 8, v23
	v_and_b32_sdwa v11, v21, v11 dst_sel:DWORD dst_unused:UNUSED_PAD src0_sel:WORD_1 src1_sel:DWORD
	v_mov_b32_e32 v24, v12
	v_mov_b32_e32 v23, v11
	s_and_saveexec_b32 s20, s4
; %bb.1278:                             ;   in Loop: Header=BB362_796 Depth=1
	v_ffbh_u32_e32 v14, v11
	v_min_u32_e32 v14, 32, v14
	v_subrev_nc_u32_e32 v23, 28, v14
	v_sub_nc_u32_e32 v14, 29, v14
	v_lshlrev_b64 v[23:24], v23, v[11:12]
	v_and_b32_e32 v23, 7, v23
; %bb.1279:                             ;   in Loop: Header=BB362_796 Depth=1
	s_or_b32 exec_lo, exec_lo, s20
	v_mov_b32_e32 v11, 24
	v_lshlrev_b32_e32 v23, 20, v23
	v_lshl_add_u32 v14, v14, 23, 0x3c000000
	v_lshlrev_b32_sdwa v11, v11, v21 dst_sel:DWORD dst_unused:UNUSED_PAD src0_sel:DWORD src1_sel:WORD_1
	v_and_b32_e32 v11, 0x80000000, v11
	v_or3_b32 v14, v23, v11, v14
.LBB362_1280:                           ;   in Loop: Header=BB362_796 Depth=1
	s_or_b32 exec_lo, exec_lo, s19
.LBB362_1281:                           ;   in Loop: Header=BB362_796 Depth=1
	s_or_b32 exec_lo, exec_lo, s18
.LBB362_1282:                           ;   in Loop: Header=BB362_796 Depth=1
	s_or_b32 exec_lo, exec_lo, s15
	s_mov_b32 s15, exec_lo
	v_cmpx_lt_u32_e32 0xffffff, v21
	s_cbranch_execz .LBB362_1290
; %bb.1283:                             ;   in Loop: Header=BB362_796 Depth=1
	v_cmp_ne_u32_sdwa s4, v21, v55 src0_sel:BYTE_3 src1_sel:DWORD
	v_bfrev_b32_e32 v17, 1
	s_and_saveexec_b32 s18, s4
	s_cbranch_execz .LBB362_1289
; %bb.1284:                             ;   in Loop: Header=BB362_796 Depth=1
	v_bfe_u32 v23, v21, 24, 7
	v_mov_b32_e32 v17, 0x7f800001
	s_mov_b32 s19, exec_lo
	v_cmpx_ne_u32_e32 0x7f, v23
	s_cbranch_execz .LBB362_1288
; %bb.1285:                             ;   in Loop: Header=BB362_796 Depth=1
	v_mov_b32_e32 v11, 7
	v_lshrrev_b32_e32 v17, 3, v23
	v_cmp_gt_u32_e64 s4, 8, v23
	v_and_b32_sdwa v11, v21, v11 dst_sel:DWORD dst_unused:UNUSED_PAD src0_sel:BYTE_3 src1_sel:DWORD
	v_mov_b32_e32 v24, v12
	v_mov_b32_e32 v23, v11
	s_and_saveexec_b32 s20, s4
; %bb.1286:                             ;   in Loop: Header=BB362_796 Depth=1
	v_ffbh_u32_e32 v17, v11
	v_min_u32_e32 v17, 32, v17
	v_subrev_nc_u32_e32 v23, 28, v17
	v_sub_nc_u32_e32 v17, 29, v17
	v_lshlrev_b64 v[23:24], v23, v[11:12]
	v_and_b32_e32 v23, 7, v23
; %bb.1287:                             ;   in Loop: Header=BB362_796 Depth=1
	s_or_b32 exec_lo, exec_lo, s20
	v_mov_b32_e32 v11, 24
	v_lshlrev_b32_e32 v23, 20, v23
	v_lshl_add_u32 v17, v17, 23, 0x3c000000
	v_lshlrev_b32_sdwa v11, v11, v21 dst_sel:DWORD dst_unused:UNUSED_PAD src0_sel:DWORD src1_sel:BYTE_3
	v_and_b32_e32 v11, 0x80000000, v11
	v_or3_b32 v17, v23, v11, v17
.LBB362_1288:                           ;   in Loop: Header=BB362_796 Depth=1
	s_or_b32 exec_lo, exec_lo, s19
.LBB362_1289:                           ;   in Loop: Header=BB362_796 Depth=1
	s_or_b32 exec_lo, exec_lo, s18
.LBB362_1290:                           ;   in Loop: Header=BB362_796 Depth=1
	s_or_b32 exec_lo, exec_lo, s15
	v_mov_b32_e32 v11, v22
	v_cmp_ne_u16_sdwa s4, v22, v12 src0_sel:BYTE_0 src1_sel:DWORD
	v_mov_b32_e32 v26, 0
	v_mov_b32_e32 v25, 0
	s_and_saveexec_b32 s15, s4
	s_cbranch_execz .LBB362_1298
; %bb.1291:                             ;   in Loop: Header=BB362_796 Depth=1
	v_cmp_ne_u16_sdwa s4, v22, v55 src0_sel:BYTE_0 src1_sel:DWORD
	v_bfrev_b32_e32 v25, 1
	s_and_saveexec_b32 s18, s4
	s_cbranch_execz .LBB362_1297
; %bb.1292:                             ;   in Loop: Header=BB362_796 Depth=1
	v_and_b32_e32 v23, 0x7f, v22
	v_mov_b32_e32 v25, 0x7f800001
	s_mov_b32 s19, exec_lo
	v_cmpx_ne_u32_e32 0x7f, v23
	s_cbranch_execz .LBB362_1296
; %bb.1293:                             ;   in Loop: Header=BB362_796 Depth=1
	v_lshrrev_b32_e32 v25, 3, v23
	v_cmp_gt_u32_e64 s4, 8, v23
	v_mov_b32_e32 v24, v12
	v_mov_b32_e32 v23, v11
	s_and_saveexec_b32 s20, s4
; %bb.1294:                             ;   in Loop: Header=BB362_796 Depth=1
	v_and_b32_e32 v23, 7, v22
	v_ffbh_u32_e32 v23, v23
	v_min_u32_e32 v25, 32, v23
	v_subrev_nc_u32_e32 v23, 28, v25
	v_sub_nc_u32_e32 v25, 29, v25
	v_lshlrev_b64 v[23:24], v23, v[11:12]
; %bb.1295:                             ;   in Loop: Header=BB362_796 Depth=1
	s_or_b32 exec_lo, exec_lo, s20
	v_lshlrev_b32_e32 v23, 20, v23
	v_lshlrev_b32_e32 v24, 24, v11
	v_lshl_add_u32 v25, v25, 23, 0x3c000000
	v_and_b32_e32 v23, 0x700000, v23
	v_and_b32_e32 v24, 0x80000000, v24
	v_or3_b32 v25, v23, v24, v25
.LBB362_1296:                           ;   in Loop: Header=BB362_796 Depth=1
	s_or_b32 exec_lo, exec_lo, s19
.LBB362_1297:                           ;   in Loop: Header=BB362_796 Depth=1
	s_or_b32 exec_lo, exec_lo, s18
.LBB362_1298:                           ;   in Loop: Header=BB362_796 Depth=1
	s_or_b32 exec_lo, exec_lo, s15
	v_cmp_ne_u16_sdwa s4, v11, v12 src0_sel:BYTE_1 src1_sel:DWORD
	s_and_saveexec_b32 s15, s4
	s_cbranch_execz .LBB362_1306
; %bb.1299:                             ;   in Loop: Header=BB362_796 Depth=1
	v_cmp_ne_u16_sdwa s4, v11, v55 src0_sel:BYTE_1 src1_sel:DWORD
	v_bfrev_b32_e32 v26, 1
	s_and_saveexec_b32 s18, s4
	s_cbranch_execz .LBB362_1305
; %bb.1300:                             ;   in Loop: Header=BB362_796 Depth=1
	v_mov_b32_e32 v23, 0xffff
	v_mov_b32_e32 v26, 0x7f800001
	s_mov_b32 s19, exec_lo
	v_and_b32_sdwa v23, v23, v11 dst_sel:DWORD dst_unused:UNUSED_PAD src0_sel:DWORD src1_sel:BYTE_1
	v_and_b32_e32 v32, 0x7f, v23
	v_cmpx_ne_u32_e32 0x7f, v32
	s_cbranch_execz .LBB362_1304
; %bb.1301:                             ;   in Loop: Header=BB362_796 Depth=1
	v_and_b32_e32 v23, 7, v23
	v_mov_b32_e32 v24, v12
	v_lshrrev_b32_e32 v26, 3, v32
	s_mov_b32 s20, exec_lo
	v_cmpx_gt_u32_e32 8, v32
; %bb.1302:                             ;   in Loop: Header=BB362_796 Depth=1
	v_ffbh_u32_e32 v26, v23
	v_min_u32_e32 v26, 32, v26
	v_subrev_nc_u32_e32 v32, 28, v26
	v_sub_nc_u32_e32 v26, 29, v26
	v_lshlrev_b64 v[23:24], v32, v[23:24]
	v_and_b32_e32 v23, 7, v23
; %bb.1303:                             ;   in Loop: Header=BB362_796 Depth=1
	s_or_b32 exec_lo, exec_lo, s20
	v_lshlrev_b32_e32 v11, 16, v11
	v_lshlrev_b32_e32 v23, 20, v23
	v_lshl_add_u32 v24, v26, 23, 0x3c000000
	v_and_b32_e32 v11, 0x80000000, v11
	v_or3_b32 v26, v23, v11, v24
.LBB362_1304:                           ;   in Loop: Header=BB362_796 Depth=1
	s_or_b32 exec_lo, exec_lo, s19
.LBB362_1305:                           ;   in Loop: Header=BB362_796 Depth=1
	s_or_b32 exec_lo, exec_lo, s18
.LBB362_1306:                           ;   in Loop: Header=BB362_796 Depth=1
	s_or_b32 exec_lo, exec_lo, s15
	v_and_b32_sdwa v11, v22, v65 dst_sel:DWORD dst_unused:UNUSED_PAD src0_sel:WORD_1 src1_sel:DWORD
	v_mov_b32_e32 v32, 0
	v_mov_b32_e32 v64, 0
	s_mov_b32 s15, exec_lo
	v_cmpx_ne_u16_e32 0, v11
	s_cbranch_execz .LBB362_1314
; %bb.1307:                             ;   in Loop: Header=BB362_796 Depth=1
	v_bfrev_b32_e32 v64, 1
	s_mov_b32 s18, exec_lo
	v_cmpx_ne_u16_e32 0x80, v11
	s_cbranch_execz .LBB362_1313
; %bb.1308:                             ;   in Loop: Header=BB362_796 Depth=1
	v_bfe_u32 v23, v22, 16, 7
	v_mov_b32_e32 v64, 0x7f800001
	s_mov_b32 s19, exec_lo
	v_cmpx_ne_u32_e32 0x7f, v23
	s_cbranch_execz .LBB362_1312
; %bb.1309:                             ;   in Loop: Header=BB362_796 Depth=1
	v_mov_b32_e32 v11, 7
	v_lshrrev_b32_e32 v64, 3, v23
	v_cmp_gt_u32_e64 s4, 8, v23
	v_and_b32_sdwa v11, v22, v11 dst_sel:DWORD dst_unused:UNUSED_PAD src0_sel:WORD_1 src1_sel:DWORD
	v_mov_b32_e32 v24, v12
	v_mov_b32_e32 v23, v11
	s_and_saveexec_b32 s20, s4
; %bb.1310:                             ;   in Loop: Header=BB362_796 Depth=1
	v_ffbh_u32_e32 v23, v11
	v_min_u32_e32 v64, 32, v23
	v_subrev_nc_u32_e32 v23, 28, v64
	v_sub_nc_u32_e32 v64, 29, v64
	v_lshlrev_b64 v[23:24], v23, v[11:12]
	v_and_b32_e32 v23, 7, v23
; %bb.1311:                             ;   in Loop: Header=BB362_796 Depth=1
	s_or_b32 exec_lo, exec_lo, s20
	v_mov_b32_e32 v11, 24
	v_lshlrev_b32_e32 v23, 20, v23
	v_lshl_add_u32 v24, v64, 23, 0x3c000000
	v_lshlrev_b32_sdwa v11, v11, v22 dst_sel:DWORD dst_unused:UNUSED_PAD src0_sel:DWORD src1_sel:WORD_1
	v_and_b32_e32 v11, 0x80000000, v11
	v_or3_b32 v64, v23, v11, v24
.LBB362_1312:                           ;   in Loop: Header=BB362_796 Depth=1
	s_or_b32 exec_lo, exec_lo, s19
.LBB362_1313:                           ;   in Loop: Header=BB362_796 Depth=1
	s_or_b32 exec_lo, exec_lo, s18
.LBB362_1314:                           ;   in Loop: Header=BB362_796 Depth=1
	s_or_b32 exec_lo, exec_lo, s15
	s_mov_b32 s15, exec_lo
	v_cmpx_lt_u64_e64 s[6:7], v[21:22]
	s_cbranch_execz .LBB362_1322
; %bb.1315:                             ;   in Loop: Header=BB362_796 Depth=1
	v_cmp_ne_u32_sdwa s4, v22, v55 src0_sel:BYTE_3 src1_sel:DWORD
	v_bfrev_b32_e32 v32, 1
	s_and_saveexec_b32 s18, s4
	s_cbranch_execz .LBB362_1321
; %bb.1316:                             ;   in Loop: Header=BB362_796 Depth=1
	v_bfe_u32 v23, v22, 24, 7
	v_mov_b32_e32 v32, 0x7f800001
	s_mov_b32 s19, exec_lo
	v_cmpx_ne_u32_e32 0x7f, v23
	s_cbranch_execz .LBB362_1320
; %bb.1317:                             ;   in Loop: Header=BB362_796 Depth=1
	v_mov_b32_e32 v11, 7
	v_lshrrev_b32_e32 v21, 3, v23
	v_cmp_gt_u32_e64 s4, 8, v23
	v_and_b32_sdwa v11, v22, v11 dst_sel:DWORD dst_unused:UNUSED_PAD src0_sel:BYTE_3 src1_sel:DWORD
	v_mov_b32_e32 v24, v12
	v_mov_b32_e32 v23, v11
	s_and_saveexec_b32 s20, s4
; %bb.1318:                             ;   in Loop: Header=BB362_796 Depth=1
	v_ffbh_u32_e32 v21, v11
	v_min_u32_e32 v21, 32, v21
	v_subrev_nc_u32_e32 v23, 28, v21
	v_sub_nc_u32_e32 v21, 29, v21
	v_lshlrev_b64 v[23:24], v23, v[11:12]
	v_and_b32_e32 v23, 7, v23
; %bb.1319:                             ;   in Loop: Header=BB362_796 Depth=1
	s_or_b32 exec_lo, exec_lo, s20
	v_mov_b32_e32 v11, 24
	v_lshl_add_u32 v21, v21, 23, 0x3c000000
	v_lshlrev_b32_sdwa v11, v11, v22 dst_sel:DWORD dst_unused:UNUSED_PAD src0_sel:DWORD src1_sel:BYTE_3
	v_lshlrev_b32_e32 v22, 20, v23
	v_and_b32_e32 v11, 0x80000000, v11
	v_or3_b32 v32, v22, v11, v21
.LBB362_1320:                           ;   in Loop: Header=BB362_796 Depth=1
	s_or_b32 exec_lo, exec_lo, s19
.LBB362_1321:                           ;   in Loop: Header=BB362_796 Depth=1
	s_or_b32 exec_lo, exec_lo, s18
.LBB362_1322:                           ;   in Loop: Header=BB362_796 Depth=1
	s_or_b32 exec_lo, exec_lo, s15
	v_mul_f32_e32 v11, v52, v26
	v_mul_f32_e32 v21, v52, v25
	;; [unrolled: 1-line block ×5, first 2 shown]
	v_bfe_u32 v22, v11, 16, 1
	v_or_b32_e32 v23, 0x400000, v11
	v_bfe_u32 v24, v21, 16, 1
	v_cmp_u_f32_e64 s4, v11, v11
	v_or_b32_e32 v25, 0x400000, v21
	v_add3_u32 v22, v22, v11, 0x7fff
	v_bfe_u32 v26, v17, 16, 1
	v_add3_u32 v24, v24, v21, 0x7fff
	v_or_b32_e32 v66, 0x400000, v17
	v_bfe_u32 v67, v14, 16, 1
	v_cndmask_b32_e64 v11, v22, v23, s4
	v_cmp_u_f32_e64 s4, v21, v21
	v_add3_u32 v26, v26, v17, 0x7fff
	v_or_b32_e32 v22, 0x400000, v14
	v_bfe_u32 v23, v10, 16, 1
	v_lshrrev_b32_e32 v95, 16, v11
	v_cndmask_b32_e64 v21, v24, v25, s4
	v_cmp_u_f32_e64 s4, v17, v17
	v_mul_f32_e32 v11, v52, v13
	v_add3_u32 v13, v67, v14, 0x7fff
	v_lshrrev_b32_e32 v94, 16, v21
	v_cndmask_b32_e64 v17, v26, v66, s4
	v_cmp_u_f32_e64 s4, v14, v14
	v_mul_f32_e32 v14, v52, v64
	v_or_b32_e32 v21, 0x400000, v11
	v_lshrrev_b32_e32 v106, 16, v17
	v_bfe_u32 v17, v11, 16, 1
	v_cndmask_b32_e64 v13, v13, v22, s4
	v_cmp_u_f32_e64 s4, v11, v11
	v_mul_f32_e32 v22, v52, v32
	v_bfe_u32 v24, v14, 16, 1
	v_add3_u32 v17, v17, v11, 0x7fff
	v_or_b32_e32 v25, 0x400000, v14
	v_lshrrev_b32_e32 v107, 16, v13
	v_or_b32_e32 v26, 0x400000, v22
	v_add3_u32 v24, v24, v14, 0x7fff
	v_cndmask_b32_e64 v11, v17, v21, s4
	v_add3_u32 v21, v23, v10, 0x7fff
	v_or_b32_e32 v23, 0x400000, v10
	v_cmp_u_f32_e64 s4, v10, v10
	v_bfe_u32 v17, v22, 16, 1
	v_lshrrev_b32_e32 v109, 16, v11
	v_cndmask_b32_e64 v10, v21, v23, s4
	v_cmp_u_f32_e64 s4, v14, v14
	v_add3_u32 v17, v17, v22, 0x7fff
	v_lshrrev_b32_e32 v108, 16, v10
	v_cndmask_b32_e64 v14, v24, v25, s4
	v_cmp_u_f32_e64 s4, v22, v22
	v_lshrrev_b32_e32 v104, 16, v14
	v_cndmask_b32_e64 v17, v17, v26, s4
	v_lshrrev_b32_e32 v105, 16, v17
	s_and_saveexec_b32 s15, vcc_lo
	s_cbranch_execz .LBB362_1324
; %bb.1323:                             ;   in Loop: Header=BB362_796 Depth=1
	v_cmp_lt_i32_e64 s4, v117, v29
	v_cndmask_b32_e64 v108, 0, v108, s4
	v_cmp_lt_i32_e64 s4, v43, v29
	v_cndmask_b32_e64 v109, 0, v109, s4
	;; [unrolled: 2-line block ×8, first 2 shown]
.LBB362_1324:                           ;   in Loop: Header=BB362_796 Depth=1
	s_or_b32 exec_lo, exec_lo, s15
	v_add_co_u32 v19, s4, 0x800, v19
	v_add_co_ci_u32_e64 v20, null, 0, v20, s4
	v_mov_b32_e32 v13, 0
	v_mov_b32_e32 v10, 0
	flat_load_dwordx2 v[21:22], v[19:20]
	s_waitcnt vmcnt(0) lgkmcnt(0)
	v_cmp_ne_u16_sdwa s4, v21, v12 src0_sel:BYTE_0 src1_sel:DWORD
	s_and_saveexec_b32 s15, s4
	s_cbranch_execz .LBB362_1332
; %bb.1325:                             ;   in Loop: Header=BB362_796 Depth=1
	v_cmp_ne_u16_sdwa s4, v21, v55 src0_sel:BYTE_0 src1_sel:DWORD
	v_bfrev_b32_e32 v10, 1
	s_and_saveexec_b32 s18, s4
	s_cbranch_execz .LBB362_1331
; %bb.1326:                             ;   in Loop: Header=BB362_796 Depth=1
	v_and_b32_e32 v11, 0x7f, v21
	v_mov_b32_e32 v10, 0x7f800001
	s_mov_b32 s19, exec_lo
	v_cmpx_ne_u32_e32 0x7f, v11
	s_cbranch_execz .LBB362_1330
; %bb.1327:                             ;   in Loop: Header=BB362_796 Depth=1
	v_lshrrev_b32_e32 v14, 3, v11
	v_cmp_gt_u32_e64 s4, 8, v11
	v_mov_b32_e32 v10, v21
	v_mov_b32_e32 v11, v22
	s_and_saveexec_b32 s20, s4
; %bb.1328:                             ;   in Loop: Header=BB362_796 Depth=1
	v_and_b32_e32 v10, 7, v21
	v_ffbh_u32_e32 v10, v10
	v_min_u32_e32 v14, 32, v10
	v_subrev_nc_u32_e32 v10, 28, v14
	v_sub_nc_u32_e32 v14, 29, v14
	v_lshlrev_b64 v[10:11], v10, v[21:22]
; %bb.1329:                             ;   in Loop: Header=BB362_796 Depth=1
	s_or_b32 exec_lo, exec_lo, s20
	v_lshlrev_b32_e32 v10, 20, v10
	v_lshlrev_b32_e32 v11, 24, v21
	v_lshl_add_u32 v14, v14, 23, 0x3c000000
	v_and_b32_e32 v10, 0x700000, v10
	v_and_b32_e32 v11, 0x80000000, v11
	v_or3_b32 v10, v10, v11, v14
.LBB362_1330:                           ;   in Loop: Header=BB362_796 Depth=1
	s_or_b32 exec_lo, exec_lo, s19
.LBB362_1331:                           ;   in Loop: Header=BB362_796 Depth=1
	s_or_b32 exec_lo, exec_lo, s18
.LBB362_1332:                           ;   in Loop: Header=BB362_796 Depth=1
	s_or_b32 exec_lo, exec_lo, s15
	v_cmp_ne_u16_sdwa s4, v21, v12 src0_sel:BYTE_1 src1_sel:DWORD
	s_and_saveexec_b32 s15, s4
	s_cbranch_execz .LBB362_1340
; %bb.1333:                             ;   in Loop: Header=BB362_796 Depth=1
	v_cmp_ne_u16_sdwa s4, v21, v55 src0_sel:BYTE_1 src1_sel:DWORD
	v_bfrev_b32_e32 v13, 1
	s_and_saveexec_b32 s18, s4
	s_cbranch_execz .LBB362_1339
; %bb.1334:                             ;   in Loop: Header=BB362_796 Depth=1
	v_mov_b32_e32 v11, 0xffff
	v_mov_b32_e32 v13, 0x7f800001
	s_mov_b32 s19, exec_lo
	v_and_b32_sdwa v11, v11, v21 dst_sel:DWORD dst_unused:UNUSED_PAD src0_sel:DWORD src1_sel:BYTE_1
	v_and_b32_e32 v14, 0x7f, v11
	v_cmpx_ne_u32_e32 0x7f, v14
	s_cbranch_execz .LBB362_1338
; %bb.1335:                             ;   in Loop: Header=BB362_796 Depth=1
	v_and_b32_e32 v11, 7, v11
	v_mov_b32_e32 v24, v12
	v_lshrrev_b32_e32 v13, 3, v14
	s_mov_b32 s20, exec_lo
	v_mov_b32_e32 v23, v11
	v_cmpx_gt_u32_e32 8, v14
; %bb.1336:                             ;   in Loop: Header=BB362_796 Depth=1
	v_ffbh_u32_e32 v13, v11
	v_min_u32_e32 v13, 32, v13
	v_subrev_nc_u32_e32 v14, 28, v13
	v_sub_nc_u32_e32 v13, 29, v13
	v_lshlrev_b64 v[23:24], v14, v[11:12]
	v_and_b32_e32 v23, 7, v23
; %bb.1337:                             ;   in Loop: Header=BB362_796 Depth=1
	s_or_b32 exec_lo, exec_lo, s20
	v_lshlrev_b32_e32 v11, 16, v21
	v_lshlrev_b32_e32 v14, 20, v23
	v_lshl_add_u32 v13, v13, 23, 0x3c000000
	v_and_b32_e32 v11, 0x80000000, v11
	v_or3_b32 v13, v14, v11, v13
.LBB362_1338:                           ;   in Loop: Header=BB362_796 Depth=1
	s_or_b32 exec_lo, exec_lo, s19
.LBB362_1339:                           ;   in Loop: Header=BB362_796 Depth=1
	s_or_b32 exec_lo, exec_lo, s18
.LBB362_1340:                           ;   in Loop: Header=BB362_796 Depth=1
	s_or_b32 exec_lo, exec_lo, s15
	v_and_b32_sdwa v11, v21, v65 dst_sel:DWORD dst_unused:UNUSED_PAD src0_sel:WORD_1 src1_sel:DWORD
	v_mov_b32_e32 v17, 0
	v_mov_b32_e32 v14, 0
	s_mov_b32 s15, exec_lo
	v_cmpx_ne_u16_e32 0, v11
	s_cbranch_execz .LBB362_1348
; %bb.1341:                             ;   in Loop: Header=BB362_796 Depth=1
	v_bfrev_b32_e32 v14, 1
	s_mov_b32 s18, exec_lo
	v_cmpx_ne_u16_e32 0x80, v11
	s_cbranch_execz .LBB362_1347
; %bb.1342:                             ;   in Loop: Header=BB362_796 Depth=1
	v_bfe_u32 v23, v21, 16, 7
	v_mov_b32_e32 v14, 0x7f800001
	s_mov_b32 s19, exec_lo
	v_cmpx_ne_u32_e32 0x7f, v23
	s_cbranch_execz .LBB362_1346
; %bb.1343:                             ;   in Loop: Header=BB362_796 Depth=1
	v_mov_b32_e32 v11, 7
	v_lshrrev_b32_e32 v14, 3, v23
	v_cmp_gt_u32_e64 s4, 8, v23
	v_and_b32_sdwa v11, v21, v11 dst_sel:DWORD dst_unused:UNUSED_PAD src0_sel:WORD_1 src1_sel:DWORD
	v_mov_b32_e32 v24, v12
	v_mov_b32_e32 v23, v11
	s_and_saveexec_b32 s20, s4
; %bb.1344:                             ;   in Loop: Header=BB362_796 Depth=1
	v_ffbh_u32_e32 v14, v11
	v_min_u32_e32 v14, 32, v14
	v_subrev_nc_u32_e32 v23, 28, v14
	v_sub_nc_u32_e32 v14, 29, v14
	v_lshlrev_b64 v[23:24], v23, v[11:12]
	v_and_b32_e32 v23, 7, v23
; %bb.1345:                             ;   in Loop: Header=BB362_796 Depth=1
	s_or_b32 exec_lo, exec_lo, s20
	v_mov_b32_e32 v11, 24
	v_lshlrev_b32_e32 v23, 20, v23
	v_lshl_add_u32 v14, v14, 23, 0x3c000000
	v_lshlrev_b32_sdwa v11, v11, v21 dst_sel:DWORD dst_unused:UNUSED_PAD src0_sel:DWORD src1_sel:WORD_1
	v_and_b32_e32 v11, 0x80000000, v11
	v_or3_b32 v14, v23, v11, v14
.LBB362_1346:                           ;   in Loop: Header=BB362_796 Depth=1
	s_or_b32 exec_lo, exec_lo, s19
.LBB362_1347:                           ;   in Loop: Header=BB362_796 Depth=1
	s_or_b32 exec_lo, exec_lo, s18
.LBB362_1348:                           ;   in Loop: Header=BB362_796 Depth=1
	s_or_b32 exec_lo, exec_lo, s15
	s_mov_b32 s15, exec_lo
	v_cmpx_lt_u32_e32 0xffffff, v21
	s_cbranch_execz .LBB362_1356
; %bb.1349:                             ;   in Loop: Header=BB362_796 Depth=1
	v_cmp_ne_u32_sdwa s4, v21, v55 src0_sel:BYTE_3 src1_sel:DWORD
	v_bfrev_b32_e32 v17, 1
	s_and_saveexec_b32 s18, s4
	s_cbranch_execz .LBB362_1355
; %bb.1350:                             ;   in Loop: Header=BB362_796 Depth=1
	v_bfe_u32 v23, v21, 24, 7
	v_mov_b32_e32 v17, 0x7f800001
	s_mov_b32 s19, exec_lo
	v_cmpx_ne_u32_e32 0x7f, v23
	s_cbranch_execz .LBB362_1354
; %bb.1351:                             ;   in Loop: Header=BB362_796 Depth=1
	v_mov_b32_e32 v11, 7
	v_lshrrev_b32_e32 v17, 3, v23
	v_cmp_gt_u32_e64 s4, 8, v23
	v_and_b32_sdwa v11, v21, v11 dst_sel:DWORD dst_unused:UNUSED_PAD src0_sel:BYTE_3 src1_sel:DWORD
	v_mov_b32_e32 v24, v12
	v_mov_b32_e32 v23, v11
	s_and_saveexec_b32 s20, s4
; %bb.1352:                             ;   in Loop: Header=BB362_796 Depth=1
	v_ffbh_u32_e32 v17, v11
	v_min_u32_e32 v17, 32, v17
	v_subrev_nc_u32_e32 v23, 28, v17
	v_sub_nc_u32_e32 v17, 29, v17
	v_lshlrev_b64 v[23:24], v23, v[11:12]
	v_and_b32_e32 v23, 7, v23
; %bb.1353:                             ;   in Loop: Header=BB362_796 Depth=1
	s_or_b32 exec_lo, exec_lo, s20
	v_mov_b32_e32 v11, 24
	v_lshlrev_b32_e32 v23, 20, v23
	v_lshl_add_u32 v17, v17, 23, 0x3c000000
	v_lshlrev_b32_sdwa v11, v11, v21 dst_sel:DWORD dst_unused:UNUSED_PAD src0_sel:DWORD src1_sel:BYTE_3
	v_and_b32_e32 v11, 0x80000000, v11
	v_or3_b32 v17, v23, v11, v17
.LBB362_1354:                           ;   in Loop: Header=BB362_796 Depth=1
	s_or_b32 exec_lo, exec_lo, s19
.LBB362_1355:                           ;   in Loop: Header=BB362_796 Depth=1
	s_or_b32 exec_lo, exec_lo, s18
.LBB362_1356:                           ;   in Loop: Header=BB362_796 Depth=1
	s_or_b32 exec_lo, exec_lo, s15
	v_mov_b32_e32 v11, v22
	v_cmp_ne_u16_sdwa s4, v22, v12 src0_sel:BYTE_0 src1_sel:DWORD
	v_mov_b32_e32 v64, 0
	v_mov_b32_e32 v32, 0
	s_and_saveexec_b32 s15, s4
	s_cbranch_execz .LBB362_1364
; %bb.1357:                             ;   in Loop: Header=BB362_796 Depth=1
	v_cmp_ne_u16_sdwa s4, v22, v55 src0_sel:BYTE_0 src1_sel:DWORD
	v_bfrev_b32_e32 v32, 1
	s_and_saveexec_b32 s18, s4
	s_cbranch_execz .LBB362_1363
; %bb.1358:                             ;   in Loop: Header=BB362_796 Depth=1
	v_and_b32_e32 v23, 0x7f, v22
	v_mov_b32_e32 v32, 0x7f800001
	s_mov_b32 s19, exec_lo
	v_cmpx_ne_u32_e32 0x7f, v23
	s_cbranch_execz .LBB362_1362
; %bb.1359:                             ;   in Loop: Header=BB362_796 Depth=1
	v_lshrrev_b32_e32 v25, 3, v23
	v_cmp_gt_u32_e64 s4, 8, v23
	v_mov_b32_e32 v24, v12
	v_mov_b32_e32 v23, v11
	s_and_saveexec_b32 s20, s4
; %bb.1360:                             ;   in Loop: Header=BB362_796 Depth=1
	v_and_b32_e32 v23, 7, v22
	v_ffbh_u32_e32 v23, v23
	v_min_u32_e32 v25, 32, v23
	v_subrev_nc_u32_e32 v23, 28, v25
	v_sub_nc_u32_e32 v25, 29, v25
	v_lshlrev_b64 v[23:24], v23, v[11:12]
; %bb.1361:                             ;   in Loop: Header=BB362_796 Depth=1
	s_or_b32 exec_lo, exec_lo, s20
	v_lshlrev_b32_e32 v23, 20, v23
	v_lshlrev_b32_e32 v24, 24, v11
	v_lshl_add_u32 v25, v25, 23, 0x3c000000
	v_and_b32_e32 v23, 0x700000, v23
	v_and_b32_e32 v24, 0x80000000, v24
	v_or3_b32 v32, v23, v24, v25
.LBB362_1362:                           ;   in Loop: Header=BB362_796 Depth=1
	s_or_b32 exec_lo, exec_lo, s19
.LBB362_1363:                           ;   in Loop: Header=BB362_796 Depth=1
	s_or_b32 exec_lo, exec_lo, s18
.LBB362_1364:                           ;   in Loop: Header=BB362_796 Depth=1
	s_or_b32 exec_lo, exec_lo, s15
	v_cmp_ne_u16_sdwa s4, v11, v12 src0_sel:BYTE_1 src1_sel:DWORD
	s_and_saveexec_b32 s15, s4
	s_cbranch_execz .LBB362_1372
; %bb.1365:                             ;   in Loop: Header=BB362_796 Depth=1
	v_cmp_ne_u16_sdwa s4, v11, v55 src0_sel:BYTE_1 src1_sel:DWORD
	v_bfrev_b32_e32 v64, 1
	s_and_saveexec_b32 s18, s4
	s_cbranch_execz .LBB362_1371
; %bb.1366:                             ;   in Loop: Header=BB362_796 Depth=1
	v_mov_b32_e32 v23, 0xffff
	v_mov_b32_e32 v64, 0x7f800001
	s_mov_b32 s19, exec_lo
	v_and_b32_sdwa v23, v23, v11 dst_sel:DWORD dst_unused:UNUSED_PAD src0_sel:DWORD src1_sel:BYTE_1
	v_and_b32_e32 v26, 0x7f, v23
	v_cmpx_ne_u32_e32 0x7f, v26
	s_cbranch_execz .LBB362_1370
; %bb.1367:                             ;   in Loop: Header=BB362_796 Depth=1
	v_and_b32_e32 v23, 7, v23
	v_mov_b32_e32 v24, v12
	v_lshrrev_b32_e32 v25, 3, v26
	s_mov_b32 s20, exec_lo
	v_cmpx_gt_u32_e32 8, v26
; %bb.1368:                             ;   in Loop: Header=BB362_796 Depth=1
	v_ffbh_u32_e32 v25, v23
	v_min_u32_e32 v25, 32, v25
	v_subrev_nc_u32_e32 v26, 28, v25
	v_sub_nc_u32_e32 v25, 29, v25
	v_lshlrev_b64 v[23:24], v26, v[23:24]
	v_and_b32_e32 v23, 7, v23
; %bb.1369:                             ;   in Loop: Header=BB362_796 Depth=1
	s_or_b32 exec_lo, exec_lo, s20
	v_lshlrev_b32_e32 v11, 16, v11
	v_lshlrev_b32_e32 v23, 20, v23
	v_lshl_add_u32 v24, v25, 23, 0x3c000000
	v_and_b32_e32 v11, 0x80000000, v11
	v_or3_b32 v64, v23, v11, v24
.LBB362_1370:                           ;   in Loop: Header=BB362_796 Depth=1
	s_or_b32 exec_lo, exec_lo, s19
.LBB362_1371:                           ;   in Loop: Header=BB362_796 Depth=1
	s_or_b32 exec_lo, exec_lo, s18
.LBB362_1372:                           ;   in Loop: Header=BB362_796 Depth=1
	s_or_b32 exec_lo, exec_lo, s15
	v_and_b32_sdwa v11, v22, v65 dst_sel:DWORD dst_unused:UNUSED_PAD src0_sel:WORD_1 src1_sel:DWORD
	v_mov_b32_e32 v25, 0
	v_mov_b32_e32 v26, 0
	s_mov_b32 s15, exec_lo
	v_cmpx_ne_u16_e32 0, v11
	s_cbranch_execz .LBB362_1380
; %bb.1373:                             ;   in Loop: Header=BB362_796 Depth=1
	v_bfrev_b32_e32 v26, 1
	s_mov_b32 s18, exec_lo
	v_cmpx_ne_u16_e32 0x80, v11
	s_cbranch_execz .LBB362_1379
; %bb.1374:                             ;   in Loop: Header=BB362_796 Depth=1
	v_bfe_u32 v23, v22, 16, 7
	v_mov_b32_e32 v26, 0x7f800001
	s_mov_b32 s19, exec_lo
	v_cmpx_ne_u32_e32 0x7f, v23
	s_cbranch_execz .LBB362_1378
; %bb.1375:                             ;   in Loop: Header=BB362_796 Depth=1
	v_mov_b32_e32 v11, 7
	v_lshrrev_b32_e32 v26, 3, v23
	v_cmp_gt_u32_e64 s4, 8, v23
	v_and_b32_sdwa v11, v22, v11 dst_sel:DWORD dst_unused:UNUSED_PAD src0_sel:WORD_1 src1_sel:DWORD
	v_mov_b32_e32 v24, v12
	v_mov_b32_e32 v23, v11
	s_and_saveexec_b32 s20, s4
; %bb.1376:                             ;   in Loop: Header=BB362_796 Depth=1
	v_ffbh_u32_e32 v23, v11
	v_min_u32_e32 v26, 32, v23
	v_subrev_nc_u32_e32 v23, 28, v26
	v_sub_nc_u32_e32 v26, 29, v26
	v_lshlrev_b64 v[23:24], v23, v[11:12]
	v_and_b32_e32 v23, 7, v23
; %bb.1377:                             ;   in Loop: Header=BB362_796 Depth=1
	s_or_b32 exec_lo, exec_lo, s20
	v_mov_b32_e32 v11, 24
	v_lshlrev_b32_e32 v23, 20, v23
	v_lshl_add_u32 v24, v26, 23, 0x3c000000
	v_lshlrev_b32_sdwa v11, v11, v22 dst_sel:DWORD dst_unused:UNUSED_PAD src0_sel:DWORD src1_sel:WORD_1
	v_and_b32_e32 v11, 0x80000000, v11
	v_or3_b32 v26, v23, v11, v24
.LBB362_1378:                           ;   in Loop: Header=BB362_796 Depth=1
	s_or_b32 exec_lo, exec_lo, s19
.LBB362_1379:                           ;   in Loop: Header=BB362_796 Depth=1
	s_or_b32 exec_lo, exec_lo, s18
.LBB362_1380:                           ;   in Loop: Header=BB362_796 Depth=1
	s_or_b32 exec_lo, exec_lo, s15
	s_mov_b32 s15, exec_lo
	v_cmpx_lt_u64_e64 s[6:7], v[21:22]
	s_cbranch_execz .LBB362_1388
; %bb.1381:                             ;   in Loop: Header=BB362_796 Depth=1
	v_cmp_ne_u32_sdwa s4, v22, v55 src0_sel:BYTE_3 src1_sel:DWORD
	v_bfrev_b32_e32 v25, 1
	s_and_saveexec_b32 s18, s4
	s_cbranch_execz .LBB362_1387
; %bb.1382:                             ;   in Loop: Header=BB362_796 Depth=1
	v_bfe_u32 v23, v22, 24, 7
	v_mov_b32_e32 v25, 0x7f800001
	s_mov_b32 s19, exec_lo
	v_cmpx_ne_u32_e32 0x7f, v23
	s_cbranch_execz .LBB362_1386
; %bb.1383:                             ;   in Loop: Header=BB362_796 Depth=1
	v_mov_b32_e32 v11, 7
	v_lshrrev_b32_e32 v21, 3, v23
	v_cmp_gt_u32_e64 s4, 8, v23
	v_and_b32_sdwa v11, v22, v11 dst_sel:DWORD dst_unused:UNUSED_PAD src0_sel:BYTE_3 src1_sel:DWORD
	v_mov_b32_e32 v24, v12
	v_mov_b32_e32 v23, v11
	s_and_saveexec_b32 s20, s4
; %bb.1384:                             ;   in Loop: Header=BB362_796 Depth=1
	v_ffbh_u32_e32 v21, v11
	v_min_u32_e32 v21, 32, v21
	v_subrev_nc_u32_e32 v23, 28, v21
	v_sub_nc_u32_e32 v21, 29, v21
	v_lshlrev_b64 v[23:24], v23, v[11:12]
	v_and_b32_e32 v23, 7, v23
; %bb.1385:                             ;   in Loop: Header=BB362_796 Depth=1
	s_or_b32 exec_lo, exec_lo, s20
	v_mov_b32_e32 v11, 24
	v_lshl_add_u32 v21, v21, 23, 0x3c000000
	v_lshlrev_b32_sdwa v11, v11, v22 dst_sel:DWORD dst_unused:UNUSED_PAD src0_sel:DWORD src1_sel:BYTE_3
	v_lshlrev_b32_e32 v22, 20, v23
	v_and_b32_e32 v11, 0x80000000, v11
	v_or3_b32 v25, v22, v11, v21
.LBB362_1386:                           ;   in Loop: Header=BB362_796 Depth=1
	s_or_b32 exec_lo, exec_lo, s19
.LBB362_1387:                           ;   in Loop: Header=BB362_796 Depth=1
	s_or_b32 exec_lo, exec_lo, s18
.LBB362_1388:                           ;   in Loop: Header=BB362_796 Depth=1
	s_or_b32 exec_lo, exec_lo, s15
	v_mul_f32_e32 v11, v52, v64
	v_mul_f32_e32 v10, v52, v10
	v_bfe_u32 v21, v11, 16, 1
	v_or_b32_e32 v22, 0x400000, v11
	v_cmp_u_f32_e64 s4, v11, v11
	v_add3_u32 v21, v21, v11, 0x7fff
	v_cndmask_b32_e64 v11, v21, v22, s4
	v_lshrrev_b32_e32 v110, 16, v11
	v_mul_f32_e32 v11, v52, v32
	v_bfe_u32 v21, v11, 16, 1
	v_or_b32_e32 v22, 0x400000, v11
	v_cmp_u_f32_e64 s4, v11, v11
	v_add3_u32 v21, v21, v11, 0x7fff
	v_cndmask_b32_e64 v11, v21, v22, s4
	v_lshrrev_b32_e32 v111, 16, v11
	;; [unrolled: 7-line block ×4, first 2 shown]
	v_mul_f32_e32 v11, v52, v13
	v_bfe_u32 v13, v11, 16, 1
	v_or_b32_e32 v14, 0x400000, v11
	v_cmp_u_f32_e64 s4, v11, v11
	v_add3_u32 v13, v13, v11, 0x7fff
	v_cndmask_b32_e64 v11, v13, v14, s4
	v_or_b32_e32 v13, 0x400000, v10
	v_cmp_u_f32_e64 s4, v10, v10
	v_lshrrev_b32_e32 v123, 16, v11
	v_bfe_u32 v11, v10, 16, 1
	v_add3_u32 v11, v11, v10, 0x7fff
	v_cndmask_b32_e64 v10, v11, v13, s4
	v_lshrrev_b32_e32 v124, 16, v10
	v_mul_f32_e32 v10, v52, v26
	v_bfe_u32 v11, v10, 16, 1
	v_or_b32_e32 v13, 0x400000, v10
	v_cmp_u_f32_e64 s4, v10, v10
	v_add3_u32 v11, v11, v10, 0x7fff
	v_cndmask_b32_e64 v10, v11, v13, s4
	v_lshrrev_b32_e32 v122, 16, v10
	v_mul_f32_e32 v10, v52, v25
	v_bfe_u32 v11, v10, 16, 1
	v_or_b32_e32 v13, 0x400000, v10
	v_cmp_u_f32_e64 s4, v10, v10
	v_add3_u32 v11, v11, v10, 0x7fff
	v_cndmask_b32_e64 v10, v11, v13, s4
	v_lshrrev_b32_e32 v125, 16, v10
	s_and_saveexec_b32 s15, vcc_lo
	s_cbranch_execz .LBB362_1390
; %bb.1389:                             ;   in Loop: Header=BB362_796 Depth=1
	v_cmp_lt_i32_e64 s4, v117, v29
	v_cndmask_b32_e64 v124, 0, v124, s4
	v_cmp_lt_i32_e64 s4, v43, v29
	v_cndmask_b32_e64 v123, 0, v123, s4
	;; [unrolled: 2-line block ×8, first 2 shown]
.LBB362_1390:                           ;   in Loop: Header=BB362_796 Depth=1
	s_or_b32 exec_lo, exec_lo, s15
	flat_load_dwordx2 v[21:22], v[19:20] offset:256
	v_mov_b32_e32 v13, 0
	v_mov_b32_e32 v10, 0
	s_waitcnt vmcnt(0) lgkmcnt(0)
	v_cmp_ne_u16_sdwa s4, v21, v12 src0_sel:BYTE_0 src1_sel:DWORD
	s_and_saveexec_b32 s15, s4
	s_cbranch_execz .LBB362_1398
; %bb.1391:                             ;   in Loop: Header=BB362_796 Depth=1
	v_cmp_ne_u16_sdwa s4, v21, v55 src0_sel:BYTE_0 src1_sel:DWORD
	v_bfrev_b32_e32 v10, 1
	s_and_saveexec_b32 s18, s4
	s_cbranch_execz .LBB362_1397
; %bb.1392:                             ;   in Loop: Header=BB362_796 Depth=1
	v_and_b32_e32 v11, 0x7f, v21
	v_mov_b32_e32 v10, 0x7f800001
	s_mov_b32 s19, exec_lo
	v_cmpx_ne_u32_e32 0x7f, v11
	s_cbranch_execz .LBB362_1396
; %bb.1393:                             ;   in Loop: Header=BB362_796 Depth=1
	v_lshrrev_b32_e32 v14, 3, v11
	v_cmp_gt_u32_e64 s4, 8, v11
	v_mov_b32_e32 v10, v21
	v_mov_b32_e32 v11, v22
	s_and_saveexec_b32 s20, s4
; %bb.1394:                             ;   in Loop: Header=BB362_796 Depth=1
	v_and_b32_e32 v10, 7, v21
	v_ffbh_u32_e32 v10, v10
	v_min_u32_e32 v14, 32, v10
	v_subrev_nc_u32_e32 v10, 28, v14
	v_sub_nc_u32_e32 v14, 29, v14
	v_lshlrev_b64 v[10:11], v10, v[21:22]
; %bb.1395:                             ;   in Loop: Header=BB362_796 Depth=1
	s_or_b32 exec_lo, exec_lo, s20
	v_lshlrev_b32_e32 v10, 20, v10
	v_lshlrev_b32_e32 v11, 24, v21
	v_lshl_add_u32 v14, v14, 23, 0x3c000000
	v_and_b32_e32 v10, 0x700000, v10
	v_and_b32_e32 v11, 0x80000000, v11
	v_or3_b32 v10, v10, v11, v14
.LBB362_1396:                           ;   in Loop: Header=BB362_796 Depth=1
	s_or_b32 exec_lo, exec_lo, s19
.LBB362_1397:                           ;   in Loop: Header=BB362_796 Depth=1
	s_or_b32 exec_lo, exec_lo, s18
.LBB362_1398:                           ;   in Loop: Header=BB362_796 Depth=1
	s_or_b32 exec_lo, exec_lo, s15
	v_cmp_ne_u16_sdwa s4, v21, v12 src0_sel:BYTE_1 src1_sel:DWORD
	s_and_saveexec_b32 s15, s4
	s_cbranch_execz .LBB362_1406
; %bb.1399:                             ;   in Loop: Header=BB362_796 Depth=1
	v_cmp_ne_u16_sdwa s4, v21, v55 src0_sel:BYTE_1 src1_sel:DWORD
	v_bfrev_b32_e32 v13, 1
	s_and_saveexec_b32 s18, s4
	s_cbranch_execz .LBB362_1405
; %bb.1400:                             ;   in Loop: Header=BB362_796 Depth=1
	v_mov_b32_e32 v11, 0xffff
	v_mov_b32_e32 v13, 0x7f800001
	s_mov_b32 s19, exec_lo
	v_and_b32_sdwa v11, v11, v21 dst_sel:DWORD dst_unused:UNUSED_PAD src0_sel:DWORD src1_sel:BYTE_1
	v_and_b32_e32 v14, 0x7f, v11
	v_cmpx_ne_u32_e32 0x7f, v14
	s_cbranch_execz .LBB362_1404
; %bb.1401:                             ;   in Loop: Header=BB362_796 Depth=1
	v_and_b32_e32 v11, 7, v11
	v_mov_b32_e32 v24, v12
	v_lshrrev_b32_e32 v13, 3, v14
	s_mov_b32 s20, exec_lo
	v_mov_b32_e32 v23, v11
	v_cmpx_gt_u32_e32 8, v14
; %bb.1402:                             ;   in Loop: Header=BB362_796 Depth=1
	v_ffbh_u32_e32 v13, v11
	v_min_u32_e32 v13, 32, v13
	v_subrev_nc_u32_e32 v14, 28, v13
	v_sub_nc_u32_e32 v13, 29, v13
	v_lshlrev_b64 v[23:24], v14, v[11:12]
	v_and_b32_e32 v23, 7, v23
; %bb.1403:                             ;   in Loop: Header=BB362_796 Depth=1
	s_or_b32 exec_lo, exec_lo, s20
	v_lshlrev_b32_e32 v11, 16, v21
	v_lshlrev_b32_e32 v14, 20, v23
	v_lshl_add_u32 v13, v13, 23, 0x3c000000
	v_and_b32_e32 v11, 0x80000000, v11
	v_or3_b32 v13, v14, v11, v13
.LBB362_1404:                           ;   in Loop: Header=BB362_796 Depth=1
	s_or_b32 exec_lo, exec_lo, s19
.LBB362_1405:                           ;   in Loop: Header=BB362_796 Depth=1
	s_or_b32 exec_lo, exec_lo, s18
.LBB362_1406:                           ;   in Loop: Header=BB362_796 Depth=1
	s_or_b32 exec_lo, exec_lo, s15
	v_and_b32_sdwa v11, v21, v65 dst_sel:DWORD dst_unused:UNUSED_PAD src0_sel:WORD_1 src1_sel:DWORD
	v_mov_b32_e32 v17, 0
	v_mov_b32_e32 v14, 0
	s_mov_b32 s15, exec_lo
	v_cmpx_ne_u16_e32 0, v11
	s_cbranch_execz .LBB362_1414
; %bb.1407:                             ;   in Loop: Header=BB362_796 Depth=1
	v_bfrev_b32_e32 v14, 1
	s_mov_b32 s18, exec_lo
	v_cmpx_ne_u16_e32 0x80, v11
	s_cbranch_execz .LBB362_1413
; %bb.1408:                             ;   in Loop: Header=BB362_796 Depth=1
	v_bfe_u32 v23, v21, 16, 7
	v_mov_b32_e32 v14, 0x7f800001
	s_mov_b32 s19, exec_lo
	v_cmpx_ne_u32_e32 0x7f, v23
	s_cbranch_execz .LBB362_1412
; %bb.1409:                             ;   in Loop: Header=BB362_796 Depth=1
	v_mov_b32_e32 v11, 7
	v_lshrrev_b32_e32 v14, 3, v23
	v_cmp_gt_u32_e64 s4, 8, v23
	v_and_b32_sdwa v11, v21, v11 dst_sel:DWORD dst_unused:UNUSED_PAD src0_sel:WORD_1 src1_sel:DWORD
	v_mov_b32_e32 v24, v12
	v_mov_b32_e32 v23, v11
	s_and_saveexec_b32 s20, s4
; %bb.1410:                             ;   in Loop: Header=BB362_796 Depth=1
	v_ffbh_u32_e32 v14, v11
	v_min_u32_e32 v14, 32, v14
	v_subrev_nc_u32_e32 v23, 28, v14
	v_sub_nc_u32_e32 v14, 29, v14
	v_lshlrev_b64 v[23:24], v23, v[11:12]
	v_and_b32_e32 v23, 7, v23
; %bb.1411:                             ;   in Loop: Header=BB362_796 Depth=1
	s_or_b32 exec_lo, exec_lo, s20
	v_mov_b32_e32 v11, 24
	v_lshlrev_b32_e32 v23, 20, v23
	v_lshl_add_u32 v14, v14, 23, 0x3c000000
	v_lshlrev_b32_sdwa v11, v11, v21 dst_sel:DWORD dst_unused:UNUSED_PAD src0_sel:DWORD src1_sel:WORD_1
	v_and_b32_e32 v11, 0x80000000, v11
	v_or3_b32 v14, v23, v11, v14
.LBB362_1412:                           ;   in Loop: Header=BB362_796 Depth=1
	s_or_b32 exec_lo, exec_lo, s19
.LBB362_1413:                           ;   in Loop: Header=BB362_796 Depth=1
	s_or_b32 exec_lo, exec_lo, s18
.LBB362_1414:                           ;   in Loop: Header=BB362_796 Depth=1
	s_or_b32 exec_lo, exec_lo, s15
	s_mov_b32 s15, exec_lo
	v_cmpx_lt_u32_e32 0xffffff, v21
	s_cbranch_execz .LBB362_1422
; %bb.1415:                             ;   in Loop: Header=BB362_796 Depth=1
	v_cmp_ne_u32_sdwa s4, v21, v55 src0_sel:BYTE_3 src1_sel:DWORD
	v_bfrev_b32_e32 v17, 1
	s_and_saveexec_b32 s18, s4
	s_cbranch_execz .LBB362_1421
; %bb.1416:                             ;   in Loop: Header=BB362_796 Depth=1
	v_bfe_u32 v23, v21, 24, 7
	v_mov_b32_e32 v17, 0x7f800001
	s_mov_b32 s19, exec_lo
	v_cmpx_ne_u32_e32 0x7f, v23
	s_cbranch_execz .LBB362_1420
; %bb.1417:                             ;   in Loop: Header=BB362_796 Depth=1
	v_mov_b32_e32 v11, 7
	v_lshrrev_b32_e32 v17, 3, v23
	v_cmp_gt_u32_e64 s4, 8, v23
	v_and_b32_sdwa v11, v21, v11 dst_sel:DWORD dst_unused:UNUSED_PAD src0_sel:BYTE_3 src1_sel:DWORD
	v_mov_b32_e32 v24, v12
	v_mov_b32_e32 v23, v11
	s_and_saveexec_b32 s20, s4
; %bb.1418:                             ;   in Loop: Header=BB362_796 Depth=1
	v_ffbh_u32_e32 v17, v11
	v_min_u32_e32 v17, 32, v17
	v_subrev_nc_u32_e32 v23, 28, v17
	v_sub_nc_u32_e32 v17, 29, v17
	v_lshlrev_b64 v[23:24], v23, v[11:12]
	v_and_b32_e32 v23, 7, v23
; %bb.1419:                             ;   in Loop: Header=BB362_796 Depth=1
	s_or_b32 exec_lo, exec_lo, s20
	v_mov_b32_e32 v11, 24
	v_lshlrev_b32_e32 v23, 20, v23
	v_lshl_add_u32 v17, v17, 23, 0x3c000000
	v_lshlrev_b32_sdwa v11, v11, v21 dst_sel:DWORD dst_unused:UNUSED_PAD src0_sel:DWORD src1_sel:BYTE_3
	v_and_b32_e32 v11, 0x80000000, v11
	v_or3_b32 v17, v23, v11, v17
.LBB362_1420:                           ;   in Loop: Header=BB362_796 Depth=1
	s_or_b32 exec_lo, exec_lo, s19
.LBB362_1421:                           ;   in Loop: Header=BB362_796 Depth=1
	s_or_b32 exec_lo, exec_lo, s18
.LBB362_1422:                           ;   in Loop: Header=BB362_796 Depth=1
	s_or_b32 exec_lo, exec_lo, s15
	v_mov_b32_e32 v11, v22
	v_cmp_ne_u16_sdwa s4, v22, v12 src0_sel:BYTE_0 src1_sel:DWORD
	v_mov_b32_e32 v64, 0
	v_mov_b32_e32 v26, 0
	s_and_saveexec_b32 s15, s4
	s_cbranch_execz .LBB362_1430
; %bb.1423:                             ;   in Loop: Header=BB362_796 Depth=1
	v_cmp_ne_u16_sdwa s4, v22, v55 src0_sel:BYTE_0 src1_sel:DWORD
	v_bfrev_b32_e32 v26, 1
	s_and_saveexec_b32 s18, s4
	s_cbranch_execz .LBB362_1429
; %bb.1424:                             ;   in Loop: Header=BB362_796 Depth=1
	v_and_b32_e32 v23, 0x7f, v22
	v_mov_b32_e32 v26, 0x7f800001
	s_mov_b32 s19, exec_lo
	v_cmpx_ne_u32_e32 0x7f, v23
	s_cbranch_execz .LBB362_1428
; %bb.1425:                             ;   in Loop: Header=BB362_796 Depth=1
	v_lshrrev_b32_e32 v25, 3, v23
	v_cmp_gt_u32_e64 s4, 8, v23
	v_mov_b32_e32 v24, v12
	v_mov_b32_e32 v23, v11
	s_and_saveexec_b32 s20, s4
; %bb.1426:                             ;   in Loop: Header=BB362_796 Depth=1
	v_and_b32_e32 v23, 7, v22
	v_ffbh_u32_e32 v23, v23
	v_min_u32_e32 v25, 32, v23
	v_subrev_nc_u32_e32 v23, 28, v25
	v_sub_nc_u32_e32 v25, 29, v25
	v_lshlrev_b64 v[23:24], v23, v[11:12]
; %bb.1427:                             ;   in Loop: Header=BB362_796 Depth=1
	s_or_b32 exec_lo, exec_lo, s20
	v_lshlrev_b32_e32 v23, 20, v23
	v_lshlrev_b32_e32 v24, 24, v11
	v_lshl_add_u32 v25, v25, 23, 0x3c000000
	v_and_b32_e32 v23, 0x700000, v23
	v_and_b32_e32 v24, 0x80000000, v24
	v_or3_b32 v26, v23, v24, v25
.LBB362_1428:                           ;   in Loop: Header=BB362_796 Depth=1
	s_or_b32 exec_lo, exec_lo, s19
.LBB362_1429:                           ;   in Loop: Header=BB362_796 Depth=1
	s_or_b32 exec_lo, exec_lo, s18
.LBB362_1430:                           ;   in Loop: Header=BB362_796 Depth=1
	s_or_b32 exec_lo, exec_lo, s15
	v_cmp_ne_u16_sdwa s4, v11, v12 src0_sel:BYTE_1 src1_sel:DWORD
	s_and_saveexec_b32 s15, s4
	s_cbranch_execz .LBB362_1438
; %bb.1431:                             ;   in Loop: Header=BB362_796 Depth=1
	v_cmp_ne_u16_sdwa s4, v11, v55 src0_sel:BYTE_1 src1_sel:DWORD
	v_bfrev_b32_e32 v64, 1
	s_and_saveexec_b32 s18, s4
	s_cbranch_execz .LBB362_1437
; %bb.1432:                             ;   in Loop: Header=BB362_796 Depth=1
	v_mov_b32_e32 v23, 0xffff
	v_mov_b32_e32 v64, 0x7f800001
	s_mov_b32 s19, exec_lo
	v_and_b32_sdwa v23, v23, v11 dst_sel:DWORD dst_unused:UNUSED_PAD src0_sel:DWORD src1_sel:BYTE_1
	v_and_b32_e32 v32, 0x7f, v23
	v_cmpx_ne_u32_e32 0x7f, v32
	s_cbranch_execz .LBB362_1436
; %bb.1433:                             ;   in Loop: Header=BB362_796 Depth=1
	v_and_b32_e32 v23, 7, v23
	v_mov_b32_e32 v24, v12
	v_lshrrev_b32_e32 v25, 3, v32
	s_mov_b32 s20, exec_lo
	v_cmpx_gt_u32_e32 8, v32
; %bb.1434:                             ;   in Loop: Header=BB362_796 Depth=1
	v_ffbh_u32_e32 v25, v23
	v_min_u32_e32 v25, 32, v25
	v_subrev_nc_u32_e32 v32, 28, v25
	v_sub_nc_u32_e32 v25, 29, v25
	v_lshlrev_b64 v[23:24], v32, v[23:24]
	v_and_b32_e32 v23, 7, v23
; %bb.1435:                             ;   in Loop: Header=BB362_796 Depth=1
	s_or_b32 exec_lo, exec_lo, s20
	v_lshlrev_b32_e32 v11, 16, v11
	v_lshlrev_b32_e32 v23, 20, v23
	v_lshl_add_u32 v24, v25, 23, 0x3c000000
	v_and_b32_e32 v11, 0x80000000, v11
	v_or3_b32 v64, v23, v11, v24
.LBB362_1436:                           ;   in Loop: Header=BB362_796 Depth=1
	s_or_b32 exec_lo, exec_lo, s19
.LBB362_1437:                           ;   in Loop: Header=BB362_796 Depth=1
	s_or_b32 exec_lo, exec_lo, s18
.LBB362_1438:                           ;   in Loop: Header=BB362_796 Depth=1
	s_or_b32 exec_lo, exec_lo, s15
	v_and_b32_sdwa v11, v22, v65 dst_sel:DWORD dst_unused:UNUSED_PAD src0_sel:WORD_1 src1_sel:DWORD
	v_mov_b32_e32 v32, 0
	v_mov_b32_e32 v25, 0
	s_mov_b32 s15, exec_lo
	v_cmpx_ne_u16_e32 0, v11
	s_cbranch_execz .LBB362_1446
; %bb.1439:                             ;   in Loop: Header=BB362_796 Depth=1
	v_bfrev_b32_e32 v25, 1
	s_mov_b32 s18, exec_lo
	v_cmpx_ne_u16_e32 0x80, v11
	s_cbranch_execz .LBB362_1445
; %bb.1440:                             ;   in Loop: Header=BB362_796 Depth=1
	v_bfe_u32 v23, v22, 16, 7
	v_mov_b32_e32 v25, 0x7f800001
	s_mov_b32 s19, exec_lo
	v_cmpx_ne_u32_e32 0x7f, v23
	s_cbranch_execz .LBB362_1444
; %bb.1441:                             ;   in Loop: Header=BB362_796 Depth=1
	v_mov_b32_e32 v11, 7
	v_lshrrev_b32_e32 v25, 3, v23
	v_cmp_gt_u32_e64 s4, 8, v23
	v_and_b32_sdwa v11, v22, v11 dst_sel:DWORD dst_unused:UNUSED_PAD src0_sel:WORD_1 src1_sel:DWORD
	v_mov_b32_e32 v24, v12
	v_mov_b32_e32 v23, v11
	s_and_saveexec_b32 s20, s4
; %bb.1442:                             ;   in Loop: Header=BB362_796 Depth=1
	v_ffbh_u32_e32 v23, v11
	v_min_u32_e32 v25, 32, v23
	v_subrev_nc_u32_e32 v23, 28, v25
	v_sub_nc_u32_e32 v25, 29, v25
	v_lshlrev_b64 v[23:24], v23, v[11:12]
	v_and_b32_e32 v23, 7, v23
; %bb.1443:                             ;   in Loop: Header=BB362_796 Depth=1
	s_or_b32 exec_lo, exec_lo, s20
	v_mov_b32_e32 v11, 24
	v_lshlrev_b32_e32 v23, 20, v23
	v_lshl_add_u32 v24, v25, 23, 0x3c000000
	v_lshlrev_b32_sdwa v11, v11, v22 dst_sel:DWORD dst_unused:UNUSED_PAD src0_sel:DWORD src1_sel:WORD_1
	v_and_b32_e32 v11, 0x80000000, v11
	v_or3_b32 v25, v23, v11, v24
.LBB362_1444:                           ;   in Loop: Header=BB362_796 Depth=1
	s_or_b32 exec_lo, exec_lo, s19
.LBB362_1445:                           ;   in Loop: Header=BB362_796 Depth=1
	s_or_b32 exec_lo, exec_lo, s18
.LBB362_1446:                           ;   in Loop: Header=BB362_796 Depth=1
	s_or_b32 exec_lo, exec_lo, s15
	s_mov_b32 s15, exec_lo
	v_cmpx_lt_u64_e64 s[6:7], v[21:22]
	s_cbranch_execz .LBB362_1454
; %bb.1447:                             ;   in Loop: Header=BB362_796 Depth=1
	v_cmp_ne_u32_sdwa s4, v22, v55 src0_sel:BYTE_3 src1_sel:DWORD
	v_bfrev_b32_e32 v32, 1
	s_and_saveexec_b32 s18, s4
	s_cbranch_execz .LBB362_1453
; %bb.1448:                             ;   in Loop: Header=BB362_796 Depth=1
	v_bfe_u32 v23, v22, 24, 7
	v_mov_b32_e32 v32, 0x7f800001
	s_mov_b32 s19, exec_lo
	v_cmpx_ne_u32_e32 0x7f, v23
	s_cbranch_execz .LBB362_1452
; %bb.1449:                             ;   in Loop: Header=BB362_796 Depth=1
	v_mov_b32_e32 v11, 7
	v_lshrrev_b32_e32 v21, 3, v23
	v_cmp_gt_u32_e64 s4, 8, v23
	v_and_b32_sdwa v11, v22, v11 dst_sel:DWORD dst_unused:UNUSED_PAD src0_sel:BYTE_3 src1_sel:DWORD
	v_mov_b32_e32 v24, v12
	v_mov_b32_e32 v23, v11
	s_and_saveexec_b32 s20, s4
; %bb.1450:                             ;   in Loop: Header=BB362_796 Depth=1
	v_ffbh_u32_e32 v21, v11
	v_min_u32_e32 v21, 32, v21
	v_subrev_nc_u32_e32 v23, 28, v21
	v_sub_nc_u32_e32 v21, 29, v21
	v_lshlrev_b64 v[23:24], v23, v[11:12]
	v_and_b32_e32 v23, 7, v23
; %bb.1451:                             ;   in Loop: Header=BB362_796 Depth=1
	s_or_b32 exec_lo, exec_lo, s20
	v_mov_b32_e32 v11, 24
	v_lshl_add_u32 v21, v21, 23, 0x3c000000
	v_lshlrev_b32_sdwa v11, v11, v22 dst_sel:DWORD dst_unused:UNUSED_PAD src0_sel:DWORD src1_sel:BYTE_3
	v_lshlrev_b32_e32 v22, 20, v23
	v_and_b32_e32 v11, 0x80000000, v11
	v_or3_b32 v32, v22, v11, v21
.LBB362_1452:                           ;   in Loop: Header=BB362_796 Depth=1
	s_or_b32 exec_lo, exec_lo, s19
.LBB362_1453:                           ;   in Loop: Header=BB362_796 Depth=1
	s_or_b32 exec_lo, exec_lo, s18
.LBB362_1454:                           ;   in Loop: Header=BB362_796 Depth=1
	s_or_b32 exec_lo, exec_lo, s15
	v_mul_f32_e32 v11, v52, v64
	v_mul_f32_e32 v10, v52, v10
	v_bfe_u32 v21, v11, 16, 1
	v_or_b32_e32 v22, 0x400000, v11
	v_cmp_u_f32_e64 s4, v11, v11
	v_add3_u32 v21, v21, v11, 0x7fff
	v_cndmask_b32_e64 v11, v21, v22, s4
	v_lshrrev_b32_e32 v126, 16, v11
	v_mul_f32_e32 v11, v52, v26
	v_bfe_u32 v21, v11, 16, 1
	v_or_b32_e32 v22, 0x400000, v11
	v_cmp_u_f32_e64 s4, v11, v11
	v_add3_u32 v21, v21, v11, 0x7fff
	v_cndmask_b32_e64 v11, v21, v22, s4
	v_lshrrev_b32_e32 v127, 16, v11
	;; [unrolled: 7-line block ×4, first 2 shown]
	v_mul_f32_e32 v11, v52, v13
	v_bfe_u32 v13, v11, 16, 1
	v_or_b32_e32 v14, 0x400000, v11
	v_cmp_u_f32_e64 s4, v11, v11
	v_add3_u32 v13, v13, v11, 0x7fff
	v_cndmask_b32_e64 v11, v13, v14, s4
	v_or_b32_e32 v14, 0x400000, v10
	v_cmp_u_f32_e64 s4, v10, v10
	v_lshrrev_b32_e32 v13, 16, v11
	v_bfe_u32 v11, v10, 16, 1
	v_add3_u32 v11, v11, v10, 0x7fff
	v_cndmask_b32_e64 v10, v11, v14, s4
	v_lshrrev_b32_e32 v14, 16, v10
	v_mul_f32_e32 v10, v52, v25
	v_bfe_u32 v11, v10, 16, 1
	v_or_b32_e32 v21, 0x400000, v10
	v_cmp_u_f32_e64 s4, v10, v10
	v_add3_u32 v11, v11, v10, 0x7fff
	v_cndmask_b32_e64 v10, v11, v21, s4
	v_lshrrev_b32_e32 v25, 16, v10
	v_mul_f32_e32 v10, v52, v32
	v_bfe_u32 v11, v10, 16, 1
	v_or_b32_e32 v21, 0x400000, v10
	v_cmp_u_f32_e64 s4, v10, v10
	v_add3_u32 v11, v11, v10, 0x7fff
	v_cndmask_b32_e64 v10, v11, v21, s4
	v_lshrrev_b32_e32 v32, 16, v10
	s_and_saveexec_b32 s15, vcc_lo
	s_cbranch_execz .LBB362_1456
; %bb.1455:                             ;   in Loop: Header=BB362_796 Depth=1
	v_cmp_lt_i32_e64 s4, v117, v29
	v_cndmask_b32_e64 v14, 0, v14, s4
	v_cmp_lt_i32_e64 s4, v43, v29
	v_cndmask_b32_e64 v13, 0, v13, s4
	v_cmp_lt_i32_e64 s4, v42, v29
	v_cndmask_b32_e64 v17, 0, v17, s4
	v_cmp_lt_i32_e64 s4, v41, v29
	v_cndmask_b32_e64 v26, 0, v26, s4
	v_cmp_lt_i32_e64 s4, v40, v29
	v_cndmask_b32_e64 v127, 0, v127, s4
	v_cmp_lt_i32_e64 s4, v119, v29
	v_cndmask_b32_e64 v126, 0, v126, s4
	v_cmp_lt_i32_e64 s4, v118, v29
	v_cndmask_b32_e64 v25, 0, v25, s4
	v_cmp_lt_i32_e64 s4, v53, v29
	v_cndmask_b32_e64 v32, 0, v32, s4
.LBB362_1456:                           ;   in Loop: Header=BB362_796 Depth=1
	s_or_b32 exec_lo, exec_lo, s15
	flat_load_dwordx2 v[21:22], v[19:20] offset:512
	v_mov_b32_e32 v70, 0
	v_mov_b32_e32 v10, 0
	s_waitcnt vmcnt(0) lgkmcnt(0)
	v_cmp_ne_u16_sdwa s4, v21, v12 src0_sel:BYTE_0 src1_sel:DWORD
	s_and_saveexec_b32 s15, s4
	s_cbranch_execz .LBB362_1464
; %bb.1457:                             ;   in Loop: Header=BB362_796 Depth=1
	v_cmp_ne_u16_sdwa s4, v21, v55 src0_sel:BYTE_0 src1_sel:DWORD
	v_bfrev_b32_e32 v10, 1
	s_and_saveexec_b32 s18, s4
	s_cbranch_execz .LBB362_1463
; %bb.1458:                             ;   in Loop: Header=BB362_796 Depth=1
	v_and_b32_e32 v11, 0x7f, v21
	v_mov_b32_e32 v10, 0x7f800001
	s_mov_b32 s19, exec_lo
	v_cmpx_ne_u32_e32 0x7f, v11
	s_cbranch_execz .LBB362_1462
; %bb.1459:                             ;   in Loop: Header=BB362_796 Depth=1
	v_lshrrev_b32_e32 v23, 3, v11
	v_cmp_gt_u32_e64 s4, 8, v11
	v_mov_b32_e32 v10, v21
	v_mov_b32_e32 v11, v22
	s_and_saveexec_b32 s20, s4
; %bb.1460:                             ;   in Loop: Header=BB362_796 Depth=1
	v_and_b32_e32 v10, 7, v21
	v_ffbh_u32_e32 v10, v10
	v_min_u32_e32 v23, 32, v10
	v_subrev_nc_u32_e32 v10, 28, v23
	v_sub_nc_u32_e32 v23, 29, v23
	v_lshlrev_b64 v[10:11], v10, v[21:22]
; %bb.1461:                             ;   in Loop: Header=BB362_796 Depth=1
	s_or_b32 exec_lo, exec_lo, s20
	v_lshlrev_b32_e32 v10, 20, v10
	v_lshlrev_b32_e32 v11, 24, v21
	v_lshl_add_u32 v23, v23, 23, 0x3c000000
	v_and_b32_e32 v10, 0x700000, v10
	v_and_b32_e32 v11, 0x80000000, v11
	v_or3_b32 v10, v10, v11, v23
.LBB362_1462:                           ;   in Loop: Header=BB362_796 Depth=1
	s_or_b32 exec_lo, exec_lo, s19
.LBB362_1463:                           ;   in Loop: Header=BB362_796 Depth=1
	s_or_b32 exec_lo, exec_lo, s18
.LBB362_1464:                           ;   in Loop: Header=BB362_796 Depth=1
	s_or_b32 exec_lo, exec_lo, s15
	v_cmp_ne_u16_sdwa s4, v21, v12 src0_sel:BYTE_1 src1_sel:DWORD
	s_and_saveexec_b32 s15, s4
	s_cbranch_execz .LBB362_1472
; %bb.1465:                             ;   in Loop: Header=BB362_796 Depth=1
	v_cmp_ne_u16_sdwa s4, v21, v55 src0_sel:BYTE_1 src1_sel:DWORD
	v_bfrev_b32_e32 v70, 1
	s_and_saveexec_b32 s18, s4
	s_cbranch_execz .LBB362_1471
; %bb.1466:                             ;   in Loop: Header=BB362_796 Depth=1
	v_mov_b32_e32 v11, 0xffff
	v_mov_b32_e32 v70, 0x7f800001
	s_mov_b32 s19, exec_lo
	v_and_b32_sdwa v11, v11, v21 dst_sel:DWORD dst_unused:UNUSED_PAD src0_sel:DWORD src1_sel:BYTE_1
	v_and_b32_e32 v23, 0x7f, v11
	v_cmpx_ne_u32_e32 0x7f, v23
	s_cbranch_execz .LBB362_1470
; %bb.1467:                             ;   in Loop: Header=BB362_796 Depth=1
	v_and_b32_e32 v11, 7, v11
	v_lshrrev_b32_e32 v64, 3, v23
	v_cmp_gt_u32_e64 s4, 8, v23
	v_mov_b32_e32 v24, v12
	v_mov_b32_e32 v23, v11
	s_and_saveexec_b32 s20, s4
; %bb.1468:                             ;   in Loop: Header=BB362_796 Depth=1
	v_ffbh_u32_e32 v23, v11
	v_min_u32_e32 v64, 32, v23
	v_subrev_nc_u32_e32 v23, 28, v64
	v_sub_nc_u32_e32 v64, 29, v64
	v_lshlrev_b64 v[23:24], v23, v[11:12]
	v_and_b32_e32 v23, 7, v23
; %bb.1469:                             ;   in Loop: Header=BB362_796 Depth=1
	s_or_b32 exec_lo, exec_lo, s20
	v_lshlrev_b32_e32 v11, 16, v21
	v_lshlrev_b32_e32 v23, 20, v23
	v_lshl_add_u32 v24, v64, 23, 0x3c000000
	v_and_b32_e32 v11, 0x80000000, v11
	v_or3_b32 v70, v23, v11, v24
.LBB362_1470:                           ;   in Loop: Header=BB362_796 Depth=1
	s_or_b32 exec_lo, exec_lo, s19
.LBB362_1471:                           ;   in Loop: Header=BB362_796 Depth=1
	s_or_b32 exec_lo, exec_lo, s18
.LBB362_1472:                           ;   in Loop: Header=BB362_796 Depth=1
	s_or_b32 exec_lo, exec_lo, s15
	v_and_b32_sdwa v11, v21, v65 dst_sel:DWORD dst_unused:UNUSED_PAD src0_sel:WORD_1 src1_sel:DWORD
	v_mov_b32_e32 v67, 0
	v_mov_b32_e32 v69, 0
	s_mov_b32 s15, exec_lo
	v_cmpx_ne_u16_e32 0, v11
	s_cbranch_execz .LBB362_1480
; %bb.1473:                             ;   in Loop: Header=BB362_796 Depth=1
	v_bfrev_b32_e32 v69, 1
	s_mov_b32 s18, exec_lo
	v_cmpx_ne_u16_e32 0x80, v11
	s_cbranch_execz .LBB362_1479
; %bb.1474:                             ;   in Loop: Header=BB362_796 Depth=1
	v_bfe_u32 v23, v21, 16, 7
	v_mov_b32_e32 v69, 0x7f800001
	s_mov_b32 s19, exec_lo
	v_cmpx_ne_u32_e32 0x7f, v23
	s_cbranch_execz .LBB362_1478
; %bb.1475:                             ;   in Loop: Header=BB362_796 Depth=1
	v_mov_b32_e32 v11, 7
	v_lshrrev_b32_e32 v64, 3, v23
	v_cmp_gt_u32_e64 s4, 8, v23
	v_and_b32_sdwa v11, v21, v11 dst_sel:DWORD dst_unused:UNUSED_PAD src0_sel:WORD_1 src1_sel:DWORD
	v_mov_b32_e32 v24, v12
	v_mov_b32_e32 v23, v11
	s_and_saveexec_b32 s20, s4
; %bb.1476:                             ;   in Loop: Header=BB362_796 Depth=1
	v_ffbh_u32_e32 v23, v11
	v_min_u32_e32 v64, 32, v23
	v_subrev_nc_u32_e32 v23, 28, v64
	v_sub_nc_u32_e32 v64, 29, v64
	v_lshlrev_b64 v[23:24], v23, v[11:12]
	v_and_b32_e32 v23, 7, v23
; %bb.1477:                             ;   in Loop: Header=BB362_796 Depth=1
	s_or_b32 exec_lo, exec_lo, s20
	v_mov_b32_e32 v11, 24
	v_lshlrev_b32_e32 v23, 20, v23
	v_lshl_add_u32 v24, v64, 23, 0x3c000000
	v_lshlrev_b32_sdwa v11, v11, v21 dst_sel:DWORD dst_unused:UNUSED_PAD src0_sel:DWORD src1_sel:WORD_1
	v_and_b32_e32 v11, 0x80000000, v11
	v_or3_b32 v69, v23, v11, v24
.LBB362_1478:                           ;   in Loop: Header=BB362_796 Depth=1
	s_or_b32 exec_lo, exec_lo, s19
.LBB362_1479:                           ;   in Loop: Header=BB362_796 Depth=1
	s_or_b32 exec_lo, exec_lo, s18
.LBB362_1480:                           ;   in Loop: Header=BB362_796 Depth=1
	s_or_b32 exec_lo, exec_lo, s15
	s_mov_b32 s15, exec_lo
	v_cmpx_lt_u32_e32 0xffffff, v21
	s_cbranch_execz .LBB362_1488
; %bb.1481:                             ;   in Loop: Header=BB362_796 Depth=1
	v_cmp_ne_u32_sdwa s4, v21, v55 src0_sel:BYTE_3 src1_sel:DWORD
	v_bfrev_b32_e32 v67, 1
	s_and_saveexec_b32 s18, s4
	s_cbranch_execz .LBB362_1487
; %bb.1482:                             ;   in Loop: Header=BB362_796 Depth=1
	v_bfe_u32 v23, v21, 24, 7
	v_mov_b32_e32 v67, 0x7f800001
	s_mov_b32 s19, exec_lo
	v_cmpx_ne_u32_e32 0x7f, v23
	s_cbranch_execz .LBB362_1486
; %bb.1483:                             ;   in Loop: Header=BB362_796 Depth=1
	v_mov_b32_e32 v11, 7
	v_lshrrev_b32_e32 v64, 3, v23
	v_cmp_gt_u32_e64 s4, 8, v23
	v_and_b32_sdwa v11, v21, v11 dst_sel:DWORD dst_unused:UNUSED_PAD src0_sel:BYTE_3 src1_sel:DWORD
	v_mov_b32_e32 v24, v12
	v_mov_b32_e32 v23, v11
	s_and_saveexec_b32 s20, s4
; %bb.1484:                             ;   in Loop: Header=BB362_796 Depth=1
	v_ffbh_u32_e32 v23, v11
	v_min_u32_e32 v64, 32, v23
	v_subrev_nc_u32_e32 v23, 28, v64
	v_sub_nc_u32_e32 v64, 29, v64
	v_lshlrev_b64 v[23:24], v23, v[11:12]
	v_and_b32_e32 v23, 7, v23
; %bb.1485:                             ;   in Loop: Header=BB362_796 Depth=1
	s_or_b32 exec_lo, exec_lo, s20
	v_mov_b32_e32 v11, 24
	v_lshlrev_b32_e32 v23, 20, v23
	v_lshl_add_u32 v24, v64, 23, 0x3c000000
	v_lshlrev_b32_sdwa v11, v11, v21 dst_sel:DWORD dst_unused:UNUSED_PAD src0_sel:DWORD src1_sel:BYTE_3
	v_and_b32_e32 v11, 0x80000000, v11
	v_or3_b32 v67, v23, v11, v24
.LBB362_1486:                           ;   in Loop: Header=BB362_796 Depth=1
	s_or_b32 exec_lo, exec_lo, s19
.LBB362_1487:                           ;   in Loop: Header=BB362_796 Depth=1
	s_or_b32 exec_lo, exec_lo, s18
.LBB362_1488:                           ;   in Loop: Header=BB362_796 Depth=1
	s_or_b32 exec_lo, exec_lo, s15
	v_mov_b32_e32 v11, v22
	v_cmp_ne_u16_sdwa s4, v22, v12 src0_sel:BYTE_0 src1_sel:DWORD
	v_mov_b32_e32 v64, 0
	v_mov_b32_e32 v66, 0
	s_and_saveexec_b32 s15, s4
	s_cbranch_execz .LBB362_1496
; %bb.1489:                             ;   in Loop: Header=BB362_796 Depth=1
	v_cmp_ne_u16_sdwa s4, v22, v55 src0_sel:BYTE_0 src1_sel:DWORD
	v_bfrev_b32_e32 v66, 1
	s_and_saveexec_b32 s18, s4
	s_cbranch_execz .LBB362_1495
; %bb.1490:                             ;   in Loop: Header=BB362_796 Depth=1
	v_and_b32_e32 v23, 0x7f, v22
	v_mov_b32_e32 v66, 0x7f800001
	s_mov_b32 s19, exec_lo
	v_cmpx_ne_u32_e32 0x7f, v23
	s_cbranch_execz .LBB362_1494
; %bb.1491:                             ;   in Loop: Header=BB362_796 Depth=1
	v_lshrrev_b32_e32 v66, 3, v23
	v_cmp_gt_u32_e64 s4, 8, v23
	v_mov_b32_e32 v24, v12
	v_mov_b32_e32 v23, v11
	s_and_saveexec_b32 s20, s4
; %bb.1492:                             ;   in Loop: Header=BB362_796 Depth=1
	v_and_b32_e32 v23, 7, v22
	v_ffbh_u32_e32 v23, v23
	v_min_u32_e32 v66, 32, v23
	v_subrev_nc_u32_e32 v23, 28, v66
	v_sub_nc_u32_e32 v66, 29, v66
	v_lshlrev_b64 v[23:24], v23, v[11:12]
; %bb.1493:                             ;   in Loop: Header=BB362_796 Depth=1
	s_or_b32 exec_lo, exec_lo, s20
	v_lshlrev_b32_e32 v23, 20, v23
	v_lshlrev_b32_e32 v24, 24, v11
	v_lshl_add_u32 v66, v66, 23, 0x3c000000
	v_and_b32_e32 v23, 0x700000, v23
	v_and_b32_e32 v24, 0x80000000, v24
	v_or3_b32 v66, v23, v24, v66
.LBB362_1494:                           ;   in Loop: Header=BB362_796 Depth=1
	s_or_b32 exec_lo, exec_lo, s19
.LBB362_1495:                           ;   in Loop: Header=BB362_796 Depth=1
	s_or_b32 exec_lo, exec_lo, s18
.LBB362_1496:                           ;   in Loop: Header=BB362_796 Depth=1
	s_or_b32 exec_lo, exec_lo, s15
	v_cmp_ne_u16_sdwa s4, v11, v12 src0_sel:BYTE_1 src1_sel:DWORD
	s_and_saveexec_b32 s15, s4
	s_cbranch_execz .LBB362_1504
; %bb.1497:                             ;   in Loop: Header=BB362_796 Depth=1
	v_cmp_ne_u16_sdwa s4, v11, v55 src0_sel:BYTE_1 src1_sel:DWORD
	v_bfrev_b32_e32 v64, 1
	s_and_saveexec_b32 s18, s4
	s_cbranch_execz .LBB362_1503
; %bb.1498:                             ;   in Loop: Header=BB362_796 Depth=1
	v_mov_b32_e32 v23, 0xffff
	v_mov_b32_e32 v64, 0x7f800001
	s_mov_b32 s19, exec_lo
	v_and_b32_sdwa v23, v23, v11 dst_sel:DWORD dst_unused:UNUSED_PAD src0_sel:DWORD src1_sel:BYTE_1
	v_and_b32_e32 v71, 0x7f, v23
	v_cmpx_ne_u32_e32 0x7f, v71
	s_cbranch_execz .LBB362_1502
; %bb.1499:                             ;   in Loop: Header=BB362_796 Depth=1
	v_and_b32_e32 v23, 7, v23
	v_mov_b32_e32 v24, v12
	v_lshrrev_b32_e32 v64, 3, v71
	s_mov_b32 s20, exec_lo
	v_cmpx_gt_u32_e32 8, v71
; %bb.1500:                             ;   in Loop: Header=BB362_796 Depth=1
	v_ffbh_u32_e32 v64, v23
	v_min_u32_e32 v64, 32, v64
	v_subrev_nc_u32_e32 v71, 28, v64
	v_sub_nc_u32_e32 v64, 29, v64
	v_lshlrev_b64 v[23:24], v71, v[23:24]
	v_and_b32_e32 v23, 7, v23
; %bb.1501:                             ;   in Loop: Header=BB362_796 Depth=1
	s_or_b32 exec_lo, exec_lo, s20
	v_lshlrev_b32_e32 v11, 16, v11
	v_lshlrev_b32_e32 v23, 20, v23
	v_lshl_add_u32 v24, v64, 23, 0x3c000000
	v_and_b32_e32 v11, 0x80000000, v11
	v_or3_b32 v64, v23, v11, v24
.LBB362_1502:                           ;   in Loop: Header=BB362_796 Depth=1
	s_or_b32 exec_lo, exec_lo, s19
.LBB362_1503:                           ;   in Loop: Header=BB362_796 Depth=1
	s_or_b32 exec_lo, exec_lo, s18
.LBB362_1504:                           ;   in Loop: Header=BB362_796 Depth=1
	s_or_b32 exec_lo, exec_lo, s15
	v_and_b32_sdwa v11, v22, v65 dst_sel:DWORD dst_unused:UNUSED_PAD src0_sel:WORD_1 src1_sel:DWORD
	v_mov_b32_e32 v81, 0
	v_mov_b32_e32 v82, 0
	s_mov_b32 s15, exec_lo
	v_cmpx_ne_u16_e32 0, v11
	s_cbranch_execz .LBB362_1512
; %bb.1505:                             ;   in Loop: Header=BB362_796 Depth=1
	v_bfrev_b32_e32 v82, 1
	s_mov_b32 s18, exec_lo
	v_cmpx_ne_u16_e32 0x80, v11
	s_cbranch_execz .LBB362_1511
; %bb.1506:                             ;   in Loop: Header=BB362_796 Depth=1
	v_bfe_u32 v23, v22, 16, 7
	v_mov_b32_e32 v82, 0x7f800001
	s_mov_b32 s19, exec_lo
	v_cmpx_ne_u32_e32 0x7f, v23
	s_cbranch_execz .LBB362_1510
; %bb.1507:                             ;   in Loop: Header=BB362_796 Depth=1
	v_mov_b32_e32 v11, 7
	v_lshrrev_b32_e32 v71, 3, v23
	v_cmp_gt_u32_e64 s4, 8, v23
	v_and_b32_sdwa v11, v22, v11 dst_sel:DWORD dst_unused:UNUSED_PAD src0_sel:WORD_1 src1_sel:DWORD
	v_mov_b32_e32 v24, v12
	v_mov_b32_e32 v23, v11
	s_and_saveexec_b32 s20, s4
; %bb.1508:                             ;   in Loop: Header=BB362_796 Depth=1
	v_ffbh_u32_e32 v23, v11
	v_min_u32_e32 v71, 32, v23
	v_subrev_nc_u32_e32 v23, 28, v71
	v_sub_nc_u32_e32 v71, 29, v71
	v_lshlrev_b64 v[23:24], v23, v[11:12]
	v_and_b32_e32 v23, 7, v23
; %bb.1509:                             ;   in Loop: Header=BB362_796 Depth=1
	s_or_b32 exec_lo, exec_lo, s20
	v_mov_b32_e32 v11, 24
	v_lshlrev_b32_e32 v23, 20, v23
	v_lshl_add_u32 v24, v71, 23, 0x3c000000
	v_lshlrev_b32_sdwa v11, v11, v22 dst_sel:DWORD dst_unused:UNUSED_PAD src0_sel:DWORD src1_sel:WORD_1
	v_and_b32_e32 v11, 0x80000000, v11
	v_or3_b32 v82, v23, v11, v24
.LBB362_1510:                           ;   in Loop: Header=BB362_796 Depth=1
	s_or_b32 exec_lo, exec_lo, s19
.LBB362_1511:                           ;   in Loop: Header=BB362_796 Depth=1
	s_or_b32 exec_lo, exec_lo, s18
.LBB362_1512:                           ;   in Loop: Header=BB362_796 Depth=1
	s_or_b32 exec_lo, exec_lo, s15
	s_mov_b32 s15, exec_lo
	v_cmpx_lt_u64_e64 s[6:7], v[21:22]
	s_cbranch_execz .LBB362_1520
; %bb.1513:                             ;   in Loop: Header=BB362_796 Depth=1
	v_cmp_ne_u32_sdwa s4, v22, v55 src0_sel:BYTE_3 src1_sel:DWORD
	v_bfrev_b32_e32 v81, 1
	s_and_saveexec_b32 s18, s4
	s_cbranch_execz .LBB362_1519
; %bb.1514:                             ;   in Loop: Header=BB362_796 Depth=1
	v_bfe_u32 v23, v22, 24, 7
	v_mov_b32_e32 v81, 0x7f800001
	s_mov_b32 s19, exec_lo
	v_cmpx_ne_u32_e32 0x7f, v23
	s_cbranch_execz .LBB362_1518
; %bb.1515:                             ;   in Loop: Header=BB362_796 Depth=1
	v_mov_b32_e32 v11, 7
	v_lshrrev_b32_e32 v21, 3, v23
	v_cmp_gt_u32_e64 s4, 8, v23
	v_and_b32_sdwa v11, v22, v11 dst_sel:DWORD dst_unused:UNUSED_PAD src0_sel:BYTE_3 src1_sel:DWORD
	v_mov_b32_e32 v24, v12
	v_mov_b32_e32 v23, v11
	s_and_saveexec_b32 s20, s4
; %bb.1516:                             ;   in Loop: Header=BB362_796 Depth=1
	v_ffbh_u32_e32 v21, v11
	v_min_u32_e32 v21, 32, v21
	v_subrev_nc_u32_e32 v23, 28, v21
	v_sub_nc_u32_e32 v21, 29, v21
	v_lshlrev_b64 v[23:24], v23, v[11:12]
	v_and_b32_e32 v23, 7, v23
; %bb.1517:                             ;   in Loop: Header=BB362_796 Depth=1
	s_or_b32 exec_lo, exec_lo, s20
	v_mov_b32_e32 v11, 24
	v_lshl_add_u32 v21, v21, 23, 0x3c000000
	v_lshlrev_b32_sdwa v11, v11, v22 dst_sel:DWORD dst_unused:UNUSED_PAD src0_sel:DWORD src1_sel:BYTE_3
	v_lshlrev_b32_e32 v22, 20, v23
	v_and_b32_e32 v11, 0x80000000, v11
	v_or3_b32 v81, v22, v11, v21
.LBB362_1518:                           ;   in Loop: Header=BB362_796 Depth=1
	s_or_b32 exec_lo, exec_lo, s19
.LBB362_1519:                           ;   in Loop: Header=BB362_796 Depth=1
	s_or_b32 exec_lo, exec_lo, s18
.LBB362_1520:                           ;   in Loop: Header=BB362_796 Depth=1
	s_or_b32 exec_lo, exec_lo, s15
	v_mul_f32_e32 v11, v52, v64
	v_mul_f32_e32 v10, v52, v10
	v_bfe_u32 v21, v11, 16, 1
	v_or_b32_e32 v22, 0x400000, v11
	v_cmp_u_f32_e64 s4, v11, v11
	v_add3_u32 v21, v21, v11, 0x7fff
	v_cndmask_b32_e64 v11, v21, v22, s4
	v_lshrrev_b32_e32 v64, 16, v11
	v_mul_f32_e32 v11, v52, v66
	v_bfe_u32 v21, v11, 16, 1
	v_or_b32_e32 v22, 0x400000, v11
	v_cmp_u_f32_e64 s4, v11, v11
	v_add3_u32 v21, v21, v11, 0x7fff
	v_cndmask_b32_e64 v11, v21, v22, s4
	v_lshrrev_b32_e32 v66, 16, v11
	;; [unrolled: 7-line block ×4, first 2 shown]
	v_mul_f32_e32 v11, v52, v70
	v_bfe_u32 v21, v11, 16, 1
	v_or_b32_e32 v22, 0x400000, v11
	v_cmp_u_f32_e64 s4, v11, v11
	v_add3_u32 v21, v21, v11, 0x7fff
	v_cndmask_b32_e64 v11, v21, v22, s4
	v_or_b32_e32 v21, 0x400000, v10
	v_cmp_u_f32_e64 s4, v10, v10
	v_lshrrev_b32_e32 v71, 16, v11
	v_bfe_u32 v11, v10, 16, 1
	v_add3_u32 v11, v11, v10, 0x7fff
	v_cndmask_b32_e64 v10, v11, v21, s4
	v_lshrrev_b32_e32 v80, 16, v10
	v_mul_f32_e32 v10, v52, v82
	v_bfe_u32 v11, v10, 16, 1
	v_or_b32_e32 v21, 0x400000, v10
	v_cmp_u_f32_e64 s4, v10, v10
	v_add3_u32 v11, v11, v10, 0x7fff
	v_cndmask_b32_e64 v10, v11, v21, s4
	v_lshrrev_b32_e32 v70, 16, v10
	v_mul_f32_e32 v10, v52, v81
	v_bfe_u32 v11, v10, 16, 1
	v_or_b32_e32 v21, 0x400000, v10
	v_cmp_u_f32_e64 s4, v10, v10
	v_add3_u32 v11, v11, v10, 0x7fff
	v_cndmask_b32_e64 v10, v11, v21, s4
	v_lshrrev_b32_e32 v81, 16, v10
	s_and_saveexec_b32 s15, vcc_lo
	s_cbranch_execz .LBB362_1522
; %bb.1521:                             ;   in Loop: Header=BB362_796 Depth=1
	v_cmp_lt_i32_e64 s4, v117, v29
	v_cndmask_b32_e64 v80, 0, v80, s4
	v_cmp_lt_i32_e64 s4, v43, v29
	v_cndmask_b32_e64 v71, 0, v71, s4
	;; [unrolled: 2-line block ×8, first 2 shown]
.LBB362_1522:                           ;   in Loop: Header=BB362_796 Depth=1
	s_or_b32 exec_lo, exec_lo, s15
	flat_load_dwordx2 v[19:20], v[19:20] offset:768
	v_mov_b32_e32 v23, 0
	v_mov_b32_e32 v24, 0
	s_waitcnt vmcnt(0) lgkmcnt(0)
	v_cmp_ne_u16_sdwa s4, v19, v12 src0_sel:BYTE_0 src1_sel:DWORD
	s_and_saveexec_b32 s15, s4
	s_cbranch_execz .LBB362_1530
; %bb.1523:                             ;   in Loop: Header=BB362_796 Depth=1
	v_cmp_ne_u16_sdwa s4, v19, v55 src0_sel:BYTE_0 src1_sel:DWORD
	v_bfrev_b32_e32 v24, 1
	s_and_saveexec_b32 s18, s4
	s_cbranch_execz .LBB362_1529
; %bb.1524:                             ;   in Loop: Header=BB362_796 Depth=1
	v_and_b32_e32 v10, 0x7f, v19
	v_mov_b32_e32 v24, 0x7f800001
	s_mov_b32 s19, exec_lo
	v_cmpx_ne_u32_e32 0x7f, v10
	s_cbranch_execz .LBB362_1528
; %bb.1525:                             ;   in Loop: Header=BB362_796 Depth=1
	v_lshrrev_b32_e32 v21, 3, v10
	v_cmp_gt_u32_e64 s4, 8, v10
	v_mov_b32_e32 v10, v19
	v_mov_b32_e32 v11, v20
	s_and_saveexec_b32 s20, s4
; %bb.1526:                             ;   in Loop: Header=BB362_796 Depth=1
	v_and_b32_e32 v10, 7, v19
	v_ffbh_u32_e32 v10, v10
	v_min_u32_e32 v21, 32, v10
	v_subrev_nc_u32_e32 v10, 28, v21
	v_sub_nc_u32_e32 v21, 29, v21
	v_lshlrev_b64 v[10:11], v10, v[19:20]
; %bb.1527:                             ;   in Loop: Header=BB362_796 Depth=1
	s_or_b32 exec_lo, exec_lo, s20
	v_lshlrev_b32_e32 v10, 20, v10
	v_lshlrev_b32_e32 v11, 24, v19
	v_lshl_add_u32 v21, v21, 23, 0x3c000000
	v_and_b32_e32 v10, 0x700000, v10
	v_and_b32_e32 v11, 0x80000000, v11
	v_or3_b32 v24, v10, v11, v21
.LBB362_1528:                           ;   in Loop: Header=BB362_796 Depth=1
	s_or_b32 exec_lo, exec_lo, s19
.LBB362_1529:                           ;   in Loop: Header=BB362_796 Depth=1
	s_or_b32 exec_lo, exec_lo, s18
.LBB362_1530:                           ;   in Loop: Header=BB362_796 Depth=1
	s_or_b32 exec_lo, exec_lo, s15
	v_cmp_ne_u16_sdwa s4, v19, v12 src0_sel:BYTE_1 src1_sel:DWORD
	s_and_saveexec_b32 s15, s4
	s_cbranch_execz .LBB362_1538
; %bb.1531:                             ;   in Loop: Header=BB362_796 Depth=1
	v_cmp_ne_u16_sdwa s4, v19, v55 src0_sel:BYTE_1 src1_sel:DWORD
	v_bfrev_b32_e32 v23, 1
	s_and_saveexec_b32 s18, s4
	s_cbranch_execz .LBB362_1537
; %bb.1532:                             ;   in Loop: Header=BB362_796 Depth=1
	v_mov_b32_e32 v10, 0xffff
	v_mov_b32_e32 v23, 0x7f800001
	s_mov_b32 s19, exec_lo
	v_and_b32_sdwa v10, v10, v19 dst_sel:DWORD dst_unused:UNUSED_PAD src0_sel:DWORD src1_sel:BYTE_1
	v_and_b32_e32 v21, 0x7f, v10
	v_cmpx_ne_u32_e32 0x7f, v21
	s_cbranch_execz .LBB362_1536
; %bb.1533:                             ;   in Loop: Header=BB362_796 Depth=1
	v_and_b32_e32 v11, 7, v10
	v_lshrrev_b32_e32 v10, 3, v21
	v_cmp_gt_u32_e64 s4, 8, v21
	v_mov_b32_e32 v22, v12
	v_mov_b32_e32 v21, v11
	s_and_saveexec_b32 s20, s4
; %bb.1534:                             ;   in Loop: Header=BB362_796 Depth=1
	v_ffbh_u32_e32 v10, v11
	v_min_u32_e32 v10, 32, v10
	v_subrev_nc_u32_e32 v21, 28, v10
	v_sub_nc_u32_e32 v10, 29, v10
	v_lshlrev_b64 v[21:22], v21, v[11:12]
	v_and_b32_e32 v21, 7, v21
; %bb.1535:                             ;   in Loop: Header=BB362_796 Depth=1
	s_or_b32 exec_lo, exec_lo, s20
	v_lshlrev_b32_e32 v11, 16, v19
	v_lshlrev_b32_e32 v21, 20, v21
	v_lshl_add_u32 v10, v10, 23, 0x3c000000
	v_and_b32_e32 v11, 0x80000000, v11
	v_or3_b32 v23, v21, v11, v10
.LBB362_1536:                           ;   in Loop: Header=BB362_796 Depth=1
	s_or_b32 exec_lo, exec_lo, s19
.LBB362_1537:                           ;   in Loop: Header=BB362_796 Depth=1
	s_or_b32 exec_lo, exec_lo, s18
.LBB362_1538:                           ;   in Loop: Header=BB362_796 Depth=1
	s_or_b32 exec_lo, exec_lo, s15
	v_and_b32_sdwa v10, v19, v65 dst_sel:DWORD dst_unused:UNUSED_PAD src0_sel:WORD_1 src1_sel:DWORD
	v_mov_b32_e32 v83, 0
	v_mov_b32_e32 v82, 0
	s_mov_b32 s15, exec_lo
	v_cmpx_ne_u16_e32 0, v10
	s_cbranch_execz .LBB362_1546
; %bb.1539:                             ;   in Loop: Header=BB362_796 Depth=1
	v_bfrev_b32_e32 v82, 1
	s_mov_b32 s18, exec_lo
	v_cmpx_ne_u16_e32 0x80, v10
	s_cbranch_execz .LBB362_1545
; %bb.1540:                             ;   in Loop: Header=BB362_796 Depth=1
	v_bfe_u32 v21, v19, 16, 7
	v_mov_b32_e32 v82, 0x7f800001
	s_mov_b32 s19, exec_lo
	v_cmpx_ne_u32_e32 0x7f, v21
	s_cbranch_execz .LBB362_1544
; %bb.1541:                             ;   in Loop: Header=BB362_796 Depth=1
	v_mov_b32_e32 v10, 7
	v_cmp_gt_u32_e64 s4, 8, v21
	v_and_b32_sdwa v11, v19, v10 dst_sel:DWORD dst_unused:UNUSED_PAD src0_sel:WORD_1 src1_sel:DWORD
	v_lshrrev_b32_e32 v10, 3, v21
	v_mov_b32_e32 v22, v12
	v_mov_b32_e32 v21, v11
	s_and_saveexec_b32 s20, s4
; %bb.1542:                             ;   in Loop: Header=BB362_796 Depth=1
	v_ffbh_u32_e32 v10, v11
	v_min_u32_e32 v10, 32, v10
	v_subrev_nc_u32_e32 v21, 28, v10
	v_sub_nc_u32_e32 v10, 29, v10
	v_lshlrev_b64 v[21:22], v21, v[11:12]
	v_and_b32_e32 v21, 7, v21
; %bb.1543:                             ;   in Loop: Header=BB362_796 Depth=1
	s_or_b32 exec_lo, exec_lo, s20
	v_mov_b32_e32 v11, 24
	v_lshlrev_b32_e32 v21, 20, v21
	v_lshl_add_u32 v10, v10, 23, 0x3c000000
	v_lshlrev_b32_sdwa v11, v11, v19 dst_sel:DWORD dst_unused:UNUSED_PAD src0_sel:DWORD src1_sel:WORD_1
	v_and_b32_e32 v11, 0x80000000, v11
	v_or3_b32 v82, v21, v11, v10
.LBB362_1544:                           ;   in Loop: Header=BB362_796 Depth=1
	s_or_b32 exec_lo, exec_lo, s19
.LBB362_1545:                           ;   in Loop: Header=BB362_796 Depth=1
	s_or_b32 exec_lo, exec_lo, s18
.LBB362_1546:                           ;   in Loop: Header=BB362_796 Depth=1
	s_or_b32 exec_lo, exec_lo, s15
	s_mov_b32 s15, exec_lo
	v_cmpx_lt_u32_e32 0xffffff, v19
	s_cbranch_execz .LBB362_1554
; %bb.1547:                             ;   in Loop: Header=BB362_796 Depth=1
	v_cmp_ne_u32_sdwa s4, v19, v55 src0_sel:BYTE_3 src1_sel:DWORD
	v_bfrev_b32_e32 v83, 1
	s_and_saveexec_b32 s18, s4
	s_cbranch_execz .LBB362_1553
; %bb.1548:                             ;   in Loop: Header=BB362_796 Depth=1
	v_bfe_u32 v21, v19, 24, 7
	v_mov_b32_e32 v83, 0x7f800001
	s_mov_b32 s19, exec_lo
	v_cmpx_ne_u32_e32 0x7f, v21
	s_cbranch_execz .LBB362_1552
; %bb.1549:                             ;   in Loop: Header=BB362_796 Depth=1
	v_mov_b32_e32 v10, 7
	v_cmp_gt_u32_e64 s4, 8, v21
	v_and_b32_sdwa v11, v19, v10 dst_sel:DWORD dst_unused:UNUSED_PAD src0_sel:BYTE_3 src1_sel:DWORD
	v_lshrrev_b32_e32 v10, 3, v21
	v_mov_b32_e32 v22, v12
	v_mov_b32_e32 v21, v11
	s_and_saveexec_b32 s20, s4
; %bb.1550:                             ;   in Loop: Header=BB362_796 Depth=1
	v_ffbh_u32_e32 v10, v11
	v_min_u32_e32 v10, 32, v10
	v_subrev_nc_u32_e32 v21, 28, v10
	v_sub_nc_u32_e32 v10, 29, v10
	v_lshlrev_b64 v[21:22], v21, v[11:12]
	v_and_b32_e32 v21, 7, v21
; %bb.1551:                             ;   in Loop: Header=BB362_796 Depth=1
	s_or_b32 exec_lo, exec_lo, s20
	v_mov_b32_e32 v11, 24
	v_lshlrev_b32_e32 v21, 20, v21
	v_lshl_add_u32 v10, v10, 23, 0x3c000000
	v_lshlrev_b32_sdwa v11, v11, v19 dst_sel:DWORD dst_unused:UNUSED_PAD src0_sel:DWORD src1_sel:BYTE_3
	v_and_b32_e32 v11, 0x80000000, v11
	v_or3_b32 v83, v21, v11, v10
.LBB362_1552:                           ;   in Loop: Header=BB362_796 Depth=1
	s_or_b32 exec_lo, exec_lo, s19
.LBB362_1553:                           ;   in Loop: Header=BB362_796 Depth=1
	s_or_b32 exec_lo, exec_lo, s18
.LBB362_1554:                           ;   in Loop: Header=BB362_796 Depth=1
	s_or_b32 exec_lo, exec_lo, s15
	v_mov_b32_e32 v11, v20
	v_cmp_ne_u16_sdwa s4, v20, v12 src0_sel:BYTE_0 src1_sel:DWORD
	v_mov_b32_e32 v10, 0
	v_mov_b32_e32 v86, 0
	s_and_saveexec_b32 s15, s4
	s_cbranch_execz .LBB362_1562
; %bb.1555:                             ;   in Loop: Header=BB362_796 Depth=1
	v_cmp_ne_u16_sdwa s4, v20, v55 src0_sel:BYTE_0 src1_sel:DWORD
	v_bfrev_b32_e32 v86, 1
	s_and_saveexec_b32 s18, s4
	s_cbranch_execz .LBB362_1561
; %bb.1556:                             ;   in Loop: Header=BB362_796 Depth=1
	v_and_b32_e32 v21, 0x7f, v20
	v_mov_b32_e32 v86, 0x7f800001
	s_mov_b32 s19, exec_lo
	v_cmpx_ne_u32_e32 0x7f, v21
	s_cbranch_execz .LBB362_1560
; %bb.1557:                             ;   in Loop: Header=BB362_796 Depth=1
	v_lshrrev_b32_e32 v84, 3, v21
	v_cmp_gt_u32_e64 s4, 8, v21
	v_mov_b32_e32 v22, v12
	v_mov_b32_e32 v21, v11
	s_and_saveexec_b32 s20, s4
; %bb.1558:                             ;   in Loop: Header=BB362_796 Depth=1
	v_and_b32_e32 v21, 7, v20
	v_ffbh_u32_e32 v21, v21
	v_min_u32_e32 v84, 32, v21
	v_subrev_nc_u32_e32 v21, 28, v84
	v_sub_nc_u32_e32 v84, 29, v84
	v_lshlrev_b64 v[21:22], v21, v[11:12]
; %bb.1559:                             ;   in Loop: Header=BB362_796 Depth=1
	s_or_b32 exec_lo, exec_lo, s20
	v_lshlrev_b32_e32 v21, 20, v21
	v_lshlrev_b32_e32 v22, 24, v11
	v_lshl_add_u32 v84, v84, 23, 0x3c000000
	v_and_b32_e32 v21, 0x700000, v21
	v_and_b32_e32 v22, 0x80000000, v22
	v_or3_b32 v86, v21, v22, v84
.LBB362_1560:                           ;   in Loop: Header=BB362_796 Depth=1
	s_or_b32 exec_lo, exec_lo, s19
.LBB362_1561:                           ;   in Loop: Header=BB362_796 Depth=1
	s_or_b32 exec_lo, exec_lo, s18
.LBB362_1562:                           ;   in Loop: Header=BB362_796 Depth=1
	s_or_b32 exec_lo, exec_lo, s15
	v_cmp_ne_u16_sdwa s4, v11, v12 src0_sel:BYTE_1 src1_sel:DWORD
	s_and_saveexec_b32 s15, s4
	s_cbranch_execz .LBB362_1570
; %bb.1563:                             ;   in Loop: Header=BB362_796 Depth=1
	v_cmp_ne_u16_sdwa s4, v11, v55 src0_sel:BYTE_1 src1_sel:DWORD
	v_bfrev_b32_e32 v10, 1
	s_and_saveexec_b32 s18, s4
	s_cbranch_execz .LBB362_1569
; %bb.1564:                             ;   in Loop: Header=BB362_796 Depth=1
	v_mov_b32_e32 v10, 0xffff
	s_mov_b32 s19, exec_lo
	v_and_b32_sdwa v21, v10, v11 dst_sel:DWORD dst_unused:UNUSED_PAD src0_sel:DWORD src1_sel:BYTE_1
	v_mov_b32_e32 v10, 0x7f800001
	v_and_b32_e32 v84, 0x7f, v21
	v_cmpx_ne_u32_e32 0x7f, v84
	s_cbranch_execz .LBB362_1568
; %bb.1565:                             ;   in Loop: Header=BB362_796 Depth=1
	v_and_b32_e32 v21, 7, v21
	v_mov_b32_e32 v22, v12
	v_lshrrev_b32_e32 v10, 3, v84
	s_mov_b32 s20, exec_lo
	v_cmpx_gt_u32_e32 8, v84
; %bb.1566:                             ;   in Loop: Header=BB362_796 Depth=1
	v_ffbh_u32_e32 v10, v21
	v_min_u32_e32 v10, 32, v10
	v_subrev_nc_u32_e32 v84, 28, v10
	v_sub_nc_u32_e32 v10, 29, v10
	v_lshlrev_b64 v[21:22], v84, v[21:22]
	v_and_b32_e32 v21, 7, v21
; %bb.1567:                             ;   in Loop: Header=BB362_796 Depth=1
	s_or_b32 exec_lo, exec_lo, s20
	v_lshlrev_b32_e32 v11, 16, v11
	v_lshlrev_b32_e32 v21, 20, v21
	v_lshl_add_u32 v10, v10, 23, 0x3c000000
	v_and_b32_e32 v11, 0x80000000, v11
	v_or3_b32 v10, v21, v11, v10
.LBB362_1568:                           ;   in Loop: Header=BB362_796 Depth=1
	s_or_b32 exec_lo, exec_lo, s19
.LBB362_1569:                           ;   in Loop: Header=BB362_796 Depth=1
	s_or_b32 exec_lo, exec_lo, s18
.LBB362_1570:                           ;   in Loop: Header=BB362_796 Depth=1
	s_or_b32 exec_lo, exec_lo, s15
	v_and_b32_sdwa v11, v20, v65 dst_sel:DWORD dst_unused:UNUSED_PAD src0_sel:WORD_1 src1_sel:DWORD
	v_mov_b32_e32 v84, 0
	v_mov_b32_e32 v85, 0
	s_mov_b32 s15, exec_lo
	v_cmpx_ne_u16_e32 0, v11
	s_cbranch_execz .LBB362_1578
; %bb.1571:                             ;   in Loop: Header=BB362_796 Depth=1
	v_bfrev_b32_e32 v85, 1
	s_mov_b32 s18, exec_lo
	v_cmpx_ne_u16_e32 0x80, v11
	s_cbranch_execz .LBB362_1577
; %bb.1572:                             ;   in Loop: Header=BB362_796 Depth=1
	v_bfe_u32 v21, v20, 16, 7
	v_mov_b32_e32 v85, 0x7f800001
	s_mov_b32 s19, exec_lo
	v_cmpx_ne_u32_e32 0x7f, v21
	s_cbranch_execz .LBB362_1576
; %bb.1573:                             ;   in Loop: Header=BB362_796 Depth=1
	v_mov_b32_e32 v11, 7
	v_lshrrev_b32_e32 v85, 3, v21
	v_cmp_gt_u32_e64 s4, 8, v21
	v_and_b32_sdwa v11, v20, v11 dst_sel:DWORD dst_unused:UNUSED_PAD src0_sel:WORD_1 src1_sel:DWORD
	v_mov_b32_e32 v22, v12
	v_mov_b32_e32 v21, v11
	s_and_saveexec_b32 s20, s4
; %bb.1574:                             ;   in Loop: Header=BB362_796 Depth=1
	v_ffbh_u32_e32 v21, v11
	v_min_u32_e32 v85, 32, v21
	v_subrev_nc_u32_e32 v21, 28, v85
	v_sub_nc_u32_e32 v85, 29, v85
	v_lshlrev_b64 v[21:22], v21, v[11:12]
	v_and_b32_e32 v21, 7, v21
; %bb.1575:                             ;   in Loop: Header=BB362_796 Depth=1
	s_or_b32 exec_lo, exec_lo, s20
	v_mov_b32_e32 v11, 24
	v_lshlrev_b32_e32 v21, 20, v21
	v_lshl_add_u32 v22, v85, 23, 0x3c000000
	v_lshlrev_b32_sdwa v11, v11, v20 dst_sel:DWORD dst_unused:UNUSED_PAD src0_sel:DWORD src1_sel:WORD_1
	v_and_b32_e32 v11, 0x80000000, v11
	v_or3_b32 v85, v21, v11, v22
.LBB362_1576:                           ;   in Loop: Header=BB362_796 Depth=1
	s_or_b32 exec_lo, exec_lo, s19
.LBB362_1577:                           ;   in Loop: Header=BB362_796 Depth=1
	s_or_b32 exec_lo, exec_lo, s18
.LBB362_1578:                           ;   in Loop: Header=BB362_796 Depth=1
	s_or_b32 exec_lo, exec_lo, s15
	s_mov_b32 s15, exec_lo
	v_cmpx_lt_u64_e64 s[6:7], v[19:20]
	s_cbranch_execz .LBB362_1586
; %bb.1579:                             ;   in Loop: Header=BB362_796 Depth=1
	v_cmp_ne_u32_sdwa s4, v20, v55 src0_sel:BYTE_3 src1_sel:DWORD
	v_bfrev_b32_e32 v84, 1
	s_and_saveexec_b32 s18, s4
	s_cbranch_execz .LBB362_1585
; %bb.1580:                             ;   in Loop: Header=BB362_796 Depth=1
	v_bfe_u32 v21, v20, 24, 7
	v_mov_b32_e32 v84, 0x7f800001
	s_mov_b32 s19, exec_lo
	v_cmpx_ne_u32_e32 0x7f, v21
	s_cbranch_execz .LBB362_1584
; %bb.1581:                             ;   in Loop: Header=BB362_796 Depth=1
	v_mov_b32_e32 v11, 7
	v_lshrrev_b32_e32 v19, 3, v21
	v_cmp_gt_u32_e64 s4, 8, v21
	v_and_b32_sdwa v11, v20, v11 dst_sel:DWORD dst_unused:UNUSED_PAD src0_sel:BYTE_3 src1_sel:DWORD
	v_mov_b32_e32 v22, v12
	v_mov_b32_e32 v21, v11
	s_and_saveexec_b32 s20, s4
; %bb.1582:                             ;   in Loop: Header=BB362_796 Depth=1
	v_ffbh_u32_e32 v19, v11
	v_min_u32_e32 v19, 32, v19
	v_subrev_nc_u32_e32 v21, 28, v19
	v_sub_nc_u32_e32 v19, 29, v19
	v_lshlrev_b64 v[21:22], v21, v[11:12]
	v_and_b32_e32 v21, 7, v21
; %bb.1583:                             ;   in Loop: Header=BB362_796 Depth=1
	s_or_b32 exec_lo, exec_lo, s20
	v_mov_b32_e32 v11, 24
	v_lshl_add_u32 v19, v19, 23, 0x3c000000
	v_lshlrev_b32_sdwa v11, v11, v20 dst_sel:DWORD dst_unused:UNUSED_PAD src0_sel:DWORD src1_sel:BYTE_3
	v_lshlrev_b32_e32 v20, 20, v21
	v_and_b32_e32 v11, 0x80000000, v11
	v_or3_b32 v84, v20, v11, v19
.LBB362_1584:                           ;   in Loop: Header=BB362_796 Depth=1
	s_or_b32 exec_lo, exec_lo, s19
.LBB362_1585:                           ;   in Loop: Header=BB362_796 Depth=1
	s_or_b32 exec_lo, exec_lo, s18
.LBB362_1586:                           ;   in Loop: Header=BB362_796 Depth=1
	s_or_b32 exec_lo, exec_lo, s15
	v_mul_f32_e32 v10, v52, v10
	v_bfe_u32 v11, v10, 16, 1
	v_or_b32_e32 v19, 0x400000, v10
	v_cmp_u_f32_e64 s4, v10, v10
	v_add3_u32 v11, v11, v10, 0x7fff
	v_cndmask_b32_e64 v10, v11, v19, s4
	v_mul_f32_e32 v11, v52, v86
	v_lshrrev_b32_e32 v10, 16, v10
	v_bfe_u32 v19, v11, 16, 1
	v_or_b32_e32 v20, 0x400000, v11
	v_cmp_u_f32_e64 s4, v11, v11
	v_add3_u32 v19, v19, v11, 0x7fff
	v_cndmask_b32_e64 v11, v19, v20, s4
	v_mul_f32_e32 v19, v52, v83
	v_lshrrev_b32_e32 v11, 16, v11
	;; [unrolled: 7-line block ×3, first 2 shown]
	v_bfe_u32 v21, v20, 16, 1
	v_or_b32_e32 v22, 0x400000, v20
	v_cmp_u_f32_e64 s4, v20, v20
	v_add3_u32 v21, v21, v20, 0x7fff
	v_cndmask_b32_e64 v20, v21, v22, s4
	v_lshrrev_b32_e32 v21, 16, v20
	v_mul_f32_e32 v20, v52, v23
	v_bfe_u32 v22, v20, 16, 1
	v_or_b32_e32 v23, 0x400000, v20
	v_cmp_u_f32_e64 s4, v20, v20
	v_add3_u32 v22, v22, v20, 0x7fff
	v_cndmask_b32_e64 v20, v22, v23, s4
	v_lshrrev_b32_e32 v23, 16, v20
	v_mul_f32_e32 v20, v52, v24
	;; [unrolled: 7-line block ×3, first 2 shown]
	v_bfe_u32 v22, v20, 16, 1
	v_or_b32_e32 v82, 0x400000, v20
	v_cmp_u_f32_e64 s4, v20, v20
	v_add3_u32 v22, v22, v20, 0x7fff
	v_cndmask_b32_e64 v20, v22, v82, s4
	v_mul_f32_e32 v22, v52, v84
	v_lshrrev_b32_e32 v20, 16, v20
	v_bfe_u32 v82, v22, 16, 1
	v_or_b32_e32 v83, 0x400000, v22
	v_cmp_u_f32_e64 s4, v22, v22
	v_add3_u32 v82, v82, v22, 0x7fff
	v_cndmask_b32_e64 v22, v82, v83, s4
	v_lshrrev_b32_e32 v22, 16, v22
	s_and_saveexec_b32 s4, vcc_lo
	s_cbranch_execz .LBB362_795
; %bb.1587:                             ;   in Loop: Header=BB362_796 Depth=1
	v_cmp_lt_i32_e32 vcc_lo, v117, v29
	v_cndmask_b32_e32 v24, 0, v24, vcc_lo
	v_cmp_lt_i32_e32 vcc_lo, v43, v29
	v_cndmask_b32_e32 v23, 0, v23, vcc_lo
	;; [unrolled: 2-line block ×8, first 2 shown]
	s_branch .LBB362_795
.LBB362_1588:
	s_or_b32 exec_lo, exec_lo, s9
	s_clause 0x5
	buffer_load_dword v32, off, s[0:3], s32 offset:568
	buffer_load_dword v68, off, s[0:3], s32 offset:572
	;; [unrolled: 1-line block ×6, first 2 shown]
	v_mov_b32_e32 v4, s16
	v_mov_b32_e32 v5, s17
.LBB362_1589:
	s_or_b32 exec_lo, exec_lo, s5
	v_lshlrev_b64 v[0:1], 2, v[4:5]
	s_getpc_b64 s[4:5]
	s_add_u32 s4, s4, llvm.amdgcn.dynlds.offset.table@rel32@lo+4
	s_addc_u32 s5, s5, llvm.amdgcn.dynlds.offset.table@rel32@hi+12
	s_waitcnt vmcnt(0)
	s_waitcnt_vscnt null, 0x0
	s_barrier
	buffer_gl0_inv
	ds_bpermute_b32 v2, v11, v50
	v_add_co_u32 v0, vcc_lo, s4, v0
	v_add_co_ci_u32_e64 v1, null, s5, v1, vcc_lo
	ds_bpermute_b32 v3, v11, v49
	ds_bpermute_b32 v4, v11, v39
	;; [unrolled: 1-line block ×3, first 2 shown]
	global_load_dword v12, v[0:1], off
	ds_bpermute_b32 v0, v11, v48
	ds_bpermute_b32 v1, v11, v51
	;; [unrolled: 1-line block ×8, first 2 shown]
	v_and_b32_e32 v30, 28, v52
	v_mul_u32_u24_e32 v15, 0x180, v68
	v_and_b32_e32 v31, 0x3c3, v32
	s_waitcnt lgkmcnt(11)
	v_add_f32_e32 v2, v50, v2
	s_mov_b32 s4, exec_lo
	s_waitcnt lgkmcnt(10)
	v_add_f32_e32 v3, v49, v3
	s_waitcnt lgkmcnt(9)
	v_add_f32_e32 v4, v39, v4
	;; [unrolled: 2-line block ×11, first 2 shown]
	ds_bpermute_b32 v6, v14, v0
	ds_bpermute_b32 v7, v14, v1
	;; [unrolled: 1-line block ×12, first 2 shown]
	v_lshrrev_b32_e32 v14, 2, v52
	s_waitcnt lgkmcnt(11)
	v_add_f32_e32 v11, v0, v6
	s_waitcnt lgkmcnt(10)
	v_add_f32_e32 v10, v1, v7
	;; [unrolled: 2-line block ×12, first 2 shown]
	s_waitcnt vmcnt(0)
	v_add_nc_u32_e32 v13, v12, v30
	v_cmpx_eq_u32_e32 64, v31
	s_cbranch_execz .LBB362_1591
; %bb.1590:
	v_add_nc_u32_e32 v16, v13, v15
	v_add_nc_u32_e32 v17, 0xfffffd00, v16
	;; [unrolled: 1-line block ×8, first 2 shown]
	ds_write_b32 v17, v11
	ds_write_b32 v18, v10
	;; [unrolled: 1-line block ×7, first 2 shown]
	v_add_nc_u32_e32 v17, 0xfffffde0, v16
	v_add_nc_u32_e32 v18, 0xfffffe00, v16
	;; [unrolled: 1-line block ×5, first 2 shown]
	ds_write_b32 v17, v4
	ds_write_b32 v18, v3
	;; [unrolled: 1-line block ×5, first 2 shown]
.LBB362_1591:
	s_or_b32 exec_lo, exec_lo, s4
	v_lshlrev_b32_e32 v14, 2, v14
	s_mov_b32 s5, exec_lo
	v_cmp_eq_u32_e32 vcc_lo, 0, v53
	s_waitcnt lgkmcnt(0)
	s_barrier
	v_add3_u32 v12, v12, v15, v14
	buffer_gl0_inv
	v_cmpx_gt_u32_e32 64, v32
	s_cbranch_execz .LBB362_1606
; %bb.1592:
	s_and_saveexec_b32 s4, vcc_lo
	s_cbranch_execnz .LBB362_1626
; %bb.1593:
	s_or_b32 exec_lo, exec_lo, s4
	s_and_saveexec_b32 s4, vcc_lo
	s_cbranch_execnz .LBB362_1627
.LBB362_1594:
	s_or_b32 exec_lo, exec_lo, s4
	s_and_saveexec_b32 s4, vcc_lo
	s_cbranch_execnz .LBB362_1628
.LBB362_1595:
	s_or_b32 exec_lo, exec_lo, s4
	s_and_saveexec_b32 s4, vcc_lo
	s_cbranch_execnz .LBB362_1629
.LBB362_1596:
	s_or_b32 exec_lo, exec_lo, s4
	s_and_saveexec_b32 s4, vcc_lo
	s_cbranch_execnz .LBB362_1630
.LBB362_1597:
	s_or_b32 exec_lo, exec_lo, s4
	s_and_saveexec_b32 s4, vcc_lo
	s_cbranch_execnz .LBB362_1631
.LBB362_1598:
	s_or_b32 exec_lo, exec_lo, s4
	s_and_saveexec_b32 s4, vcc_lo
	s_cbranch_execnz .LBB362_1632
.LBB362_1599:
	s_or_b32 exec_lo, exec_lo, s4
	s_and_saveexec_b32 s4, vcc_lo
	s_cbranch_execnz .LBB362_1633
.LBB362_1600:
	s_or_b32 exec_lo, exec_lo, s4
	s_and_saveexec_b32 s4, vcc_lo
	s_cbranch_execnz .LBB362_1634
.LBB362_1601:
	s_or_b32 exec_lo, exec_lo, s4
	s_and_saveexec_b32 s4, vcc_lo
	s_cbranch_execnz .LBB362_1635
.LBB362_1602:
	s_or_b32 exec_lo, exec_lo, s4
	s_and_saveexec_b32 s4, vcc_lo
	s_cbranch_execnz .LBB362_1636
.LBB362_1603:
	s_or_b32 exec_lo, exec_lo, s4
	s_and_saveexec_b32 s4, vcc_lo
	s_cbranch_execz .LBB362_1605
.LBB362_1604:
	ds_read_b32 v14, v12 offset:352
	s_waitcnt lgkmcnt(0)
	v_add_f32_e32 v0, v14, v0
.LBB362_1605:
	s_or_b32 exec_lo, exec_lo, s4
.LBB362_1606:
	s_or_b32 exec_lo, exec_lo, s5
	v_and_b32_e32 v14, 0x3e3, v32
	s_mov_b32 s5, exec_lo
	s_barrier
	buffer_gl0_inv
	v_cmpx_eq_u32_e32 32, v14
	s_cbranch_execz .LBB362_1608
; %bb.1607:
	ds_write2_b32 v13, v11, v10 offset1:8
	ds_write2_b32 v13, v9, v8 offset0:16 offset1:24
	ds_write2_b32 v13, v7, v6 offset0:32 offset1:40
	;; [unrolled: 1-line block ×5, first 2 shown]
.LBB362_1608:
	s_or_b32 exec_lo, exec_lo, s5
	s_mov_b32 s5, exec_lo
	s_waitcnt lgkmcnt(0)
	s_barrier
	buffer_gl0_inv
	v_cmpx_gt_u32_e32 32, v32
	s_cbranch_execz .LBB362_1623
; %bb.1609:
	s_and_saveexec_b32 s4, vcc_lo
	s_cbranch_execnz .LBB362_1637
; %bb.1610:
	s_or_b32 exec_lo, exec_lo, s4
	s_and_saveexec_b32 s4, vcc_lo
	s_cbranch_execnz .LBB362_1638
.LBB362_1611:
	s_or_b32 exec_lo, exec_lo, s4
	s_and_saveexec_b32 s4, vcc_lo
	s_cbranch_execnz .LBB362_1639
.LBB362_1612:
	s_or_b32 exec_lo, exec_lo, s4
	s_and_saveexec_b32 s4, vcc_lo
	s_cbranch_execnz .LBB362_1640
.LBB362_1613:
	s_or_b32 exec_lo, exec_lo, s4
	s_and_saveexec_b32 s4, vcc_lo
	s_cbranch_execnz .LBB362_1641
.LBB362_1614:
	s_or_b32 exec_lo, exec_lo, s4
	s_and_saveexec_b32 s4, vcc_lo
	s_cbranch_execnz .LBB362_1642
.LBB362_1615:
	s_or_b32 exec_lo, exec_lo, s4
	s_and_saveexec_b32 s4, vcc_lo
	s_cbranch_execnz .LBB362_1643
.LBB362_1616:
	s_or_b32 exec_lo, exec_lo, s4
	s_and_saveexec_b32 s4, vcc_lo
	s_cbranch_execnz .LBB362_1644
.LBB362_1617:
	s_or_b32 exec_lo, exec_lo, s4
	s_and_saveexec_b32 s4, vcc_lo
	s_cbranch_execnz .LBB362_1645
.LBB362_1618:
	s_or_b32 exec_lo, exec_lo, s4
	s_and_saveexec_b32 s4, vcc_lo
	s_cbranch_execnz .LBB362_1646
.LBB362_1619:
	s_or_b32 exec_lo, exec_lo, s4
	s_and_saveexec_b32 s4, vcc_lo
	s_cbranch_execnz .LBB362_1647
.LBB362_1620:
	s_or_b32 exec_lo, exec_lo, s4
	s_and_saveexec_b32 s4, vcc_lo
	s_cbranch_execz .LBB362_1622
.LBB362_1621:
	ds_read_b32 v12, v12 offset:352
	s_waitcnt lgkmcnt(0)
	v_add_f32_e32 v0, v12, v0
.LBB362_1622:
	s_or_b32 exec_lo, exec_lo, s4
.LBB362_1623:
	s_or_b32 exec_lo, exec_lo, s5
	s_mov_b32 s4, exec_lo
	s_barrier
	buffer_gl0_inv
	v_cmpx_eq_u32_e32 0, v14
	s_cbranch_execz .LBB362_1625
; %bb.1624:
	s_clause 0x1
	buffer_load_dword v15, off, s[0:3], s32 offset:600
	buffer_load_dword v16, off, s[0:3], s32 offset:596
	s_and_b32 s5, 0xffff, s8
	s_mul_i32 s6, s14, 0x60
	s_cmp_lg_u32 s5, 0
	v_lshrrev_b32_e32 v12, 1, v32
	s_cselect_b32 s5, -1, 0
	v_bfe_u32 v13, v11, 16, 1
	s_cmp_lg_u32 s5, 0
	v_or_b32_e32 v14, 0x400000, v11
	s_addc_u32 s5, s13, 0
	s_mul_i32 s7, s5, s10
	s_mul_i32 s10, s12, s5
	;; [unrolled: 1-line block ×3, first 2 shown]
	s_ashr_i32 s11, s10, 31
	s_mulk_i32 s8, 0x60
	s_ashr_i32 s7, s6, 31
	s_ashr_i32 s9, s8, 31
	s_lshl_b64 s[6:7], s[6:7], 1
	s_lshl_b64 s[8:9], s[8:9], 1
	v_add3_u32 v17, v13, v11, 0x7fff
	s_waitcnt vmcnt(1)
	v_add_co_u32 v15, vcc_lo, v15, s8
	s_waitcnt vmcnt(0)
	v_add_co_ci_u32_e64 v16, null, s9, v16, vcc_lo
	s_lshl_b64 s[8:9], s[10:11], 1
	v_add_co_u32 v15, vcc_lo, v15, s8
	v_add_co_ci_u32_e64 v16, null, s9, v16, vcc_lo
	v_add_co_u32 v15, vcc_lo, v15, s6
	v_add_co_ci_u32_e64 v16, null, s7, v16, vcc_lo
	;; [unrolled: 2-line block ×3, first 2 shown]
	v_bfe_u32 v15, v10, 16, 1
	v_cmp_u_f32_e32 vcc_lo, v11, v11
	v_or_b32_e32 v16, 0x400000, v10
	v_add3_u32 v15, v15, v10, 0x7fff
	v_cndmask_b32_e32 v11, v17, v14, vcc_lo
	v_bfe_u32 v14, v9, 16, 1
	v_cmp_u_f32_e32 vcc_lo, v10, v10
	flat_store_short_d16_hi v[12:13], v11
	v_add3_u32 v11, v14, v9, 0x7fff
	v_or_b32_e32 v14, 0x400000, v9
	v_cndmask_b32_e32 v10, v15, v16, vcc_lo
	v_bfe_u32 v15, v8, 16, 1
	v_cmp_u_f32_e32 vcc_lo, v9, v9
	flat_store_short_d16_hi v[12:13], v10 offset:16
	v_add3_u32 v10, v15, v8, 0x7fff
	v_cndmask_b32_e32 v9, v11, v14, vcc_lo
	v_bfe_u32 v11, v7, 16, 1
	v_or_b32_e32 v14, 0x400000, v8
	v_cmp_u_f32_e32 vcc_lo, v8, v8
	flat_store_short_d16_hi v[12:13], v9 offset:32
	v_add3_u32 v9, v11, v7, 0x7fff
	v_or_b32_e32 v11, 0x400000, v7
	v_cndmask_b32_e32 v8, v10, v14, vcc_lo
	v_bfe_u32 v10, v6, 16, 1
	v_cmp_u_f32_e32 vcc_lo, v7, v7
	flat_store_short_d16_hi v[12:13], v8 offset:48
	v_add3_u32 v8, v10, v6, 0x7fff
	v_cndmask_b32_e32 v7, v9, v11, vcc_lo
	v_bfe_u32 v9, v5, 16, 1
	v_or_b32_e32 v10, 0x400000, v6
	v_cmp_u_f32_e32 vcc_lo, v6, v6
	flat_store_short_d16_hi v[12:13], v7 offset:64
	v_add3_u32 v7, v9, v5, 0x7fff
	v_or_b32_e32 v9, 0x400000, v5
	v_cndmask_b32_e32 v6, v8, v10, vcc_lo
	v_bfe_u32 v8, v4, 16, 1
	v_cmp_u_f32_e32 vcc_lo, v5, v5
	v_or_b32_e32 v10, 0x400000, v0
	flat_store_short_d16_hi v[12:13], v6 offset:80
	v_add3_u32 v6, v8, v4, 0x7fff
	v_cndmask_b32_e32 v5, v7, v9, vcc_lo
	v_bfe_u32 v7, v3, 16, 1
	v_or_b32_e32 v8, 0x400000, v4
	v_cmp_u_f32_e32 vcc_lo, v4, v4
	v_or_b32_e32 v9, 0x400000, v1
	flat_store_short_d16_hi v[12:13], v5 offset:96
	v_add3_u32 v5, v7, v3, 0x7fff
	v_or_b32_e32 v7, 0x400000, v3
	v_cndmask_b32_e32 v4, v6, v8, vcc_lo
	v_bfe_u32 v6, v2, 16, 1
	v_cmp_u_f32_e32 vcc_lo, v3, v3
	v_bfe_u32 v8, v1, 16, 1
	v_add3_u32 v6, v6, v2, 0x7fff
	v_cndmask_b32_e32 v3, v5, v7, vcc_lo
	v_or_b32_e32 v7, 0x400000, v2
	v_cmp_u_f32_e32 vcc_lo, v2, v2
	v_bfe_u32 v5, v0, 16, 1
	v_add3_u32 v8, v8, v1, 0x7fff
	v_cndmask_b32_e32 v2, v6, v7, vcc_lo
	v_cmp_u_f32_e32 vcc_lo, v1, v1
	v_add3_u32 v5, v5, v0, 0x7fff
	v_cndmask_b32_e32 v1, v8, v9, vcc_lo
	v_cmp_u_f32_e32 vcc_lo, v0, v0
	v_cndmask_b32_e32 v0, v5, v10, vcc_lo
	flat_store_short_d16_hi v[12:13], v4 offset:112
	flat_store_short_d16_hi v[12:13], v3 offset:128
	;; [unrolled: 1-line block ×5, first 2 shown]
.LBB362_1625:
	s_or_b32 exec_lo, exec_lo, s4
	s_clause 0x2f
	buffer_load_dword v127, off, s[0:3], s32
	buffer_load_dword v126, off, s[0:3], s32 offset:4
	buffer_load_dword v125, off, s[0:3], s32 offset:8
	;; [unrolled: 1-line block ×47, first 2 shown]
	s_waitcnt vmcnt(0) lgkmcnt(0)
	s_setpc_b64 s[30:31]
.LBB362_1626:
	ds_read_b32 v14, v12
	s_waitcnt lgkmcnt(0)
	v_add_f32_e32 v11, v14, v11
	s_or_b32 exec_lo, exec_lo, s4
	s_and_saveexec_b32 s4, vcc_lo
	s_cbranch_execz .LBB362_1594
.LBB362_1627:
	ds_read_b32 v14, v12 offset:32
	s_waitcnt lgkmcnt(0)
	v_add_f32_e32 v10, v14, v10
	s_or_b32 exec_lo, exec_lo, s4
	s_and_saveexec_b32 s4, vcc_lo
	s_cbranch_execz .LBB362_1595
.LBB362_1628:
	ds_read_b32 v14, v12 offset:64
	s_waitcnt lgkmcnt(0)
	v_add_f32_e32 v9, v14, v9
	s_or_b32 exec_lo, exec_lo, s4
	s_and_saveexec_b32 s4, vcc_lo
	s_cbranch_execz .LBB362_1596
.LBB362_1629:
	ds_read_b32 v14, v12 offset:96
	s_waitcnt lgkmcnt(0)
	v_add_f32_e32 v8, v14, v8
	s_or_b32 exec_lo, exec_lo, s4
	s_and_saveexec_b32 s4, vcc_lo
	s_cbranch_execz .LBB362_1597
.LBB362_1630:
	ds_read_b32 v14, v12 offset:128
	s_waitcnt lgkmcnt(0)
	v_add_f32_e32 v7, v14, v7
	s_or_b32 exec_lo, exec_lo, s4
	s_and_saveexec_b32 s4, vcc_lo
	s_cbranch_execz .LBB362_1598
.LBB362_1631:
	ds_read_b32 v14, v12 offset:160
	s_waitcnt lgkmcnt(0)
	v_add_f32_e32 v6, v14, v6
	s_or_b32 exec_lo, exec_lo, s4
	s_and_saveexec_b32 s4, vcc_lo
	s_cbranch_execz .LBB362_1599
.LBB362_1632:
	ds_read_b32 v14, v12 offset:192
	s_waitcnt lgkmcnt(0)
	v_add_f32_e32 v5, v14, v5
	s_or_b32 exec_lo, exec_lo, s4
	s_and_saveexec_b32 s4, vcc_lo
	s_cbranch_execz .LBB362_1600
.LBB362_1633:
	ds_read_b32 v14, v12 offset:224
	s_waitcnt lgkmcnt(0)
	v_add_f32_e32 v4, v14, v4
	s_or_b32 exec_lo, exec_lo, s4
	s_and_saveexec_b32 s4, vcc_lo
	s_cbranch_execz .LBB362_1601
.LBB362_1634:
	ds_read_b32 v14, v12 offset:256
	s_waitcnt lgkmcnt(0)
	v_add_f32_e32 v3, v14, v3
	s_or_b32 exec_lo, exec_lo, s4
	s_and_saveexec_b32 s4, vcc_lo
	s_cbranch_execz .LBB362_1602
.LBB362_1635:
	ds_read_b32 v14, v12 offset:288
	s_waitcnt lgkmcnt(0)
	v_add_f32_e32 v2, v14, v2
	s_or_b32 exec_lo, exec_lo, s4
	s_and_saveexec_b32 s4, vcc_lo
	s_cbranch_execz .LBB362_1603
.LBB362_1636:
	ds_read_b32 v14, v12 offset:320
	s_waitcnt lgkmcnt(0)
	v_add_f32_e32 v1, v14, v1
	s_or_b32 exec_lo, exec_lo, s4
	s_and_saveexec_b32 s4, vcc_lo
	s_cbranch_execnz .LBB362_1604
	s_branch .LBB362_1605
.LBB362_1637:
	ds_read_b32 v13, v12
	s_waitcnt lgkmcnt(0)
	v_add_f32_e32 v11, v13, v11
	s_or_b32 exec_lo, exec_lo, s4
	s_and_saveexec_b32 s4, vcc_lo
	s_cbranch_execz .LBB362_1611
.LBB362_1638:
	ds_read_b32 v13, v12 offset:32
	s_waitcnt lgkmcnt(0)
	v_add_f32_e32 v10, v13, v10
	s_or_b32 exec_lo, exec_lo, s4
	s_and_saveexec_b32 s4, vcc_lo
	s_cbranch_execz .LBB362_1612
.LBB362_1639:
	ds_read_b32 v13, v12 offset:64
	s_waitcnt lgkmcnt(0)
	v_add_f32_e32 v9, v13, v9
	s_or_b32 exec_lo, exec_lo, s4
	s_and_saveexec_b32 s4, vcc_lo
	s_cbranch_execz .LBB362_1613
.LBB362_1640:
	ds_read_b32 v13, v12 offset:96
	s_waitcnt lgkmcnt(0)
	v_add_f32_e32 v8, v13, v8
	s_or_b32 exec_lo, exec_lo, s4
	s_and_saveexec_b32 s4, vcc_lo
	s_cbranch_execz .LBB362_1614
.LBB362_1641:
	ds_read_b32 v13, v12 offset:128
	s_waitcnt lgkmcnt(0)
	v_add_f32_e32 v7, v13, v7
	s_or_b32 exec_lo, exec_lo, s4
	s_and_saveexec_b32 s4, vcc_lo
	s_cbranch_execz .LBB362_1615
.LBB362_1642:
	ds_read_b32 v13, v12 offset:160
	s_waitcnt lgkmcnt(0)
	v_add_f32_e32 v6, v13, v6
	s_or_b32 exec_lo, exec_lo, s4
	s_and_saveexec_b32 s4, vcc_lo
	s_cbranch_execz .LBB362_1616
.LBB362_1643:
	ds_read_b32 v13, v12 offset:192
	s_waitcnt lgkmcnt(0)
	v_add_f32_e32 v5, v13, v5
	s_or_b32 exec_lo, exec_lo, s4
	s_and_saveexec_b32 s4, vcc_lo
	s_cbranch_execz .LBB362_1617
.LBB362_1644:
	ds_read_b32 v13, v12 offset:224
	s_waitcnt lgkmcnt(0)
	v_add_f32_e32 v4, v13, v4
	s_or_b32 exec_lo, exec_lo, s4
	s_and_saveexec_b32 s4, vcc_lo
	s_cbranch_execz .LBB362_1618
.LBB362_1645:
	ds_read_b32 v13, v12 offset:256
	s_waitcnt lgkmcnt(0)
	v_add_f32_e32 v3, v13, v3
	s_or_b32 exec_lo, exec_lo, s4
	s_and_saveexec_b32 s4, vcc_lo
	s_cbranch_execz .LBB362_1619
.LBB362_1646:
	ds_read_b32 v13, v12 offset:288
	s_waitcnt lgkmcnt(0)
	v_add_f32_e32 v2, v13, v2
	s_or_b32 exec_lo, exec_lo, s4
	s_and_saveexec_b32 s4, vcc_lo
	s_cbranch_execz .LBB362_1620
.LBB362_1647:
	ds_read_b32 v13, v12 offset:320
	s_waitcnt lgkmcnt(0)
	v_add_f32_e32 v1, v13, v1
	s_or_b32 exec_lo, exec_lo, s4
	s_and_saveexec_b32 s4, vcc_lo
	s_cbranch_execnz .LBB362_1621
	s_branch .LBB362_1622
.Lfunc_end362:
	.size	_ZN4vllm22paged_attention_kernelI14__hip_bfloat16hLi96ELi32ELi128ELNS_18Fp8KVCacheDataTypeE1ELb0ELi0EEEvPfS3_PT_PKS4_PKT0_SA_ifPKiSC_iPKfiiiSE_SE_iiiii, .Lfunc_end362-_ZN4vllm22paged_attention_kernelI14__hip_bfloat16hLi96ELi32ELi128ELNS_18Fp8KVCacheDataTypeE1ELb0ELi0EEEvPfS3_PT_PKS4_PKT0_SA_ifPKiSC_iPKfiiiSE_SE_iiiii
                                        ; -- End function
	.set .L_ZN4vllm22paged_attention_kernelI14__hip_bfloat16hLi96ELi32ELi128ELNS_18Fp8KVCacheDataTypeE1ELb0ELi0EEEvPfS3_PT_PKS4_PKT0_SA_ifPKiSC_iPKfiiiSE_SE_iiiii.num_vgpr, 128
	.set .L_ZN4vllm22paged_attention_kernelI14__hip_bfloat16hLi96ELi32ELi128ELNS_18Fp8KVCacheDataTypeE1ELb0ELi0EEEvPfS3_PT_PKS4_PKT0_SA_ifPKiSC_iPKfiiiSE_SE_iiiii.num_agpr, 0
	.set .L_ZN4vllm22paged_attention_kernelI14__hip_bfloat16hLi96ELi32ELi128ELNS_18Fp8KVCacheDataTypeE1ELb0ELi0EEEvPfS3_PT_PKS4_PKT0_SA_ifPKiSC_iPKfiiiSE_SE_iiiii.numbered_sgpr, 33
	.set .L_ZN4vllm22paged_attention_kernelI14__hip_bfloat16hLi96ELi32ELi128ELNS_18Fp8KVCacheDataTypeE1ELb0ELi0EEEvPfS3_PT_PKS4_PKT0_SA_ifPKiSC_iPKfiiiSE_SE_iiiii.num_named_barrier, 0
	.set .L_ZN4vllm22paged_attention_kernelI14__hip_bfloat16hLi96ELi32ELi128ELNS_18Fp8KVCacheDataTypeE1ELb0ELi0EEEvPfS3_PT_PKS4_PKT0_SA_ifPKiSC_iPKfiiiSE_SE_iiiii.private_seg_size, 640
	.set .L_ZN4vllm22paged_attention_kernelI14__hip_bfloat16hLi96ELi32ELi128ELNS_18Fp8KVCacheDataTypeE1ELb0ELi0EEEvPfS3_PT_PKS4_PKT0_SA_ifPKiSC_iPKfiiiSE_SE_iiiii.uses_vcc, 1
	.set .L_ZN4vllm22paged_attention_kernelI14__hip_bfloat16hLi96ELi32ELi128ELNS_18Fp8KVCacheDataTypeE1ELb0ELi0EEEvPfS3_PT_PKS4_PKT0_SA_ifPKiSC_iPKfiiiSE_SE_iiiii.uses_flat_scratch, 0
	.set .L_ZN4vllm22paged_attention_kernelI14__hip_bfloat16hLi96ELi32ELi128ELNS_18Fp8KVCacheDataTypeE1ELb0ELi0EEEvPfS3_PT_PKS4_PKT0_SA_ifPKiSC_iPKfiiiSE_SE_iiiii.has_dyn_sized_stack, 0
	.set .L_ZN4vllm22paged_attention_kernelI14__hip_bfloat16hLi96ELi32ELi128ELNS_18Fp8KVCacheDataTypeE1ELb0ELi0EEEvPfS3_PT_PKS4_PKT0_SA_ifPKiSC_iPKfiiiSE_SE_iiiii.has_recursion, 0
	.set .L_ZN4vllm22paged_attention_kernelI14__hip_bfloat16hLi96ELi32ELi128ELNS_18Fp8KVCacheDataTypeE1ELb0ELi0EEEvPfS3_PT_PKS4_PKT0_SA_ifPKiSC_iPKfiiiSE_SE_iiiii.has_indirect_call, 0
	.section	.AMDGPU.csdata,"",@progbits
; Function info:
; codeLenInByte = 63536
; TotalNumSgprs: 35
; NumVgprs: 128
; ScratchSize: 640
; MemoryBound: 0
	.section	.text._ZN4vllm25paged_attention_v1_kernelI14__hip_bfloat16hLi96ELi32ELi128ELNS_18Fp8KVCacheDataTypeE1ELb0EEEvPT_PKS3_PKT0_S9_ifPKiSB_iPKfiiiSD_SD_iiiii,"axG",@progbits,_ZN4vllm25paged_attention_v1_kernelI14__hip_bfloat16hLi96ELi32ELi128ELNS_18Fp8KVCacheDataTypeE1ELb0EEEvPT_PKS3_PKT0_S9_ifPKiSB_iPKfiiiSD_SD_iiiii,comdat
	.protected	_ZN4vllm25paged_attention_v1_kernelI14__hip_bfloat16hLi96ELi32ELi128ELNS_18Fp8KVCacheDataTypeE1ELb0EEEvPT_PKS3_PKT0_S9_ifPKiSB_iPKfiiiSD_SD_iiiii ; -- Begin function _ZN4vllm25paged_attention_v1_kernelI14__hip_bfloat16hLi96ELi32ELi128ELNS_18Fp8KVCacheDataTypeE1ELb0EEEvPT_PKS3_PKT0_S9_ifPKiSB_iPKfiiiSD_SD_iiiii
	.globl	_ZN4vllm25paged_attention_v1_kernelI14__hip_bfloat16hLi96ELi32ELi128ELNS_18Fp8KVCacheDataTypeE1ELb0EEEvPT_PKS3_PKT0_S9_ifPKiSB_iPKfiiiSD_SD_iiiii
	.p2align	8
	.type	_ZN4vllm25paged_attention_v1_kernelI14__hip_bfloat16hLi96ELi32ELi128ELNS_18Fp8KVCacheDataTypeE1ELb0EEEvPT_PKS3_PKT0_S9_ifPKiSB_iPKfiiiSD_SD_iiiii,@function
_ZN4vllm25paged_attention_v1_kernelI14__hip_bfloat16hLi96ELi32ELi128ELNS_18Fp8KVCacheDataTypeE1ELb0EEEvPT_PKS3_PKT0_S9_ifPKiSB_iPKfiiiSD_SD_iiiii: ; @_ZN4vllm25paged_attention_v1_kernelI14__hip_bfloat16hLi96ELi32ELi128ELNS_18Fp8KVCacheDataTypeE1ELb0EEEvPT_PKS3_PKT0_S9_ifPKiSB_iPKfiiiSD_SD_iiiii
; %bb.0:
	s_clause 0x5
	s_load_dwordx8 s[16:23], s[4:5], 0x0
	s_load_dwordx4 s[36:39], s[4:5], 0x20
	s_load_dwordx2 s[10:11], s[4:5], 0x30
	s_load_dword s13, s[4:5], 0x38
	s_load_dwordx2 s[34:35], s[4:5], 0x40
	s_load_dwordx8 s[24:31], s[4:5], 0x48
	s_add_u32 s0, s0, s9
	s_addc_u32 s1, s1, 0
	v_mov_b32_e32 v31, v0
	s_mov_b32 s14, s8
	s_add_u32 s8, s4, 0x80
	s_addc_u32 s9, s5, 0
	s_getpc_b64 s[4:5]
	s_add_u32 s4, s4, _ZN4vllm22paged_attention_kernelI14__hip_bfloat16hLi96ELi32ELi128ELNS_18Fp8KVCacheDataTypeE1ELb0ELi0EEEvPfS3_PT_PKS4_PKT0_SA_ifPKiSC_iPKfiiiSE_SE_iiiii@rel32@lo+4
	s_addc_u32 s5, s5, _ZN4vllm22paged_attention_kernelI14__hip_bfloat16hLi96ELi32ELi128ELNS_18Fp8KVCacheDataTypeE1ELb0ELi0EEEvPfS3_PT_PKS4_PKT0_SA_ifPKiSC_iPKfiiiSE_SE_iiiii@rel32@hi+12
	s_mov_b32 s12, s6
	s_mov_b32 s15, 14
	;; [unrolled: 1-line block ×3, first 2 shown]
	s_waitcnt lgkmcnt(0)
	v_mov_b32_e32 v0, s16
	v_mov_b32_e32 v1, s17
	;; [unrolled: 1-line block ×24, first 2 shown]
	s_mov_b32 s13, s7
	s_swappc_b64 s[30:31], s[4:5]
	s_endpgm
	.section	.rodata,"a",@progbits
	.p2align	6, 0x0
	.amdhsa_kernel _ZN4vllm25paged_attention_v1_kernelI14__hip_bfloat16hLi96ELi32ELi128ELNS_18Fp8KVCacheDataTypeE1ELb0EEEvPT_PKS3_PKT0_S9_ifPKiSB_iPKfiiiSD_SD_iiiii
		.amdhsa_group_segment_fixed_size 224
		.amdhsa_private_segment_fixed_size 640
		.amdhsa_kernarg_size 384
		.amdhsa_user_sgpr_count 6
		.amdhsa_user_sgpr_private_segment_buffer 1
		.amdhsa_user_sgpr_dispatch_ptr 0
		.amdhsa_user_sgpr_queue_ptr 0
		.amdhsa_user_sgpr_kernarg_segment_ptr 1
		.amdhsa_user_sgpr_dispatch_id 0
		.amdhsa_user_sgpr_flat_scratch_init 0
		.amdhsa_user_sgpr_private_segment_size 0
		.amdhsa_wavefront_size32 1
		.amdhsa_uses_dynamic_stack 0
		.amdhsa_system_sgpr_private_segment_wavefront_offset 1
		.amdhsa_system_sgpr_workgroup_id_x 1
		.amdhsa_system_sgpr_workgroup_id_y 1
		.amdhsa_system_sgpr_workgroup_id_z 1
		.amdhsa_system_sgpr_workgroup_info 0
		.amdhsa_system_vgpr_workitem_id 0
		.amdhsa_next_free_vgpr 128
		.amdhsa_next_free_sgpr 40
		.amdhsa_reserve_vcc 1
		.amdhsa_reserve_flat_scratch 0
		.amdhsa_float_round_mode_32 0
		.amdhsa_float_round_mode_16_64 0
		.amdhsa_float_denorm_mode_32 3
		.amdhsa_float_denorm_mode_16_64 3
		.amdhsa_dx10_clamp 1
		.amdhsa_ieee_mode 1
		.amdhsa_fp16_overflow 0
		.amdhsa_workgroup_processor_mode 1
		.amdhsa_memory_ordered 1
		.amdhsa_forward_progress 1
		.amdhsa_shared_vgpr_count 0
		.amdhsa_exception_fp_ieee_invalid_op 0
		.amdhsa_exception_fp_denorm_src 0
		.amdhsa_exception_fp_ieee_div_zero 0
		.amdhsa_exception_fp_ieee_overflow 0
		.amdhsa_exception_fp_ieee_underflow 0
		.amdhsa_exception_fp_ieee_inexact 0
		.amdhsa_exception_int_div_zero 0
	.end_amdhsa_kernel
	.section	.text._ZN4vllm25paged_attention_v1_kernelI14__hip_bfloat16hLi96ELi32ELi128ELNS_18Fp8KVCacheDataTypeE1ELb0EEEvPT_PKS3_PKT0_S9_ifPKiSB_iPKfiiiSD_SD_iiiii,"axG",@progbits,_ZN4vllm25paged_attention_v1_kernelI14__hip_bfloat16hLi96ELi32ELi128ELNS_18Fp8KVCacheDataTypeE1ELb0EEEvPT_PKS3_PKT0_S9_ifPKiSB_iPKfiiiSD_SD_iiiii,comdat
.Lfunc_end363:
	.size	_ZN4vllm25paged_attention_v1_kernelI14__hip_bfloat16hLi96ELi32ELi128ELNS_18Fp8KVCacheDataTypeE1ELb0EEEvPT_PKS3_PKT0_S9_ifPKiSB_iPKfiiiSD_SD_iiiii, .Lfunc_end363-_ZN4vllm25paged_attention_v1_kernelI14__hip_bfloat16hLi96ELi32ELi128ELNS_18Fp8KVCacheDataTypeE1ELb0EEEvPT_PKS3_PKT0_S9_ifPKiSB_iPKfiiiSD_SD_iiiii
                                        ; -- End function
	.set _ZN4vllm25paged_attention_v1_kernelI14__hip_bfloat16hLi96ELi32ELi128ELNS_18Fp8KVCacheDataTypeE1ELb0EEEvPT_PKS3_PKT0_S9_ifPKiSB_iPKfiiiSD_SD_iiiii.num_vgpr, max(32, .L_ZN4vllm22paged_attention_kernelI14__hip_bfloat16hLi96ELi32ELi128ELNS_18Fp8KVCacheDataTypeE1ELb0ELi0EEEvPfS3_PT_PKS4_PKT0_SA_ifPKiSC_iPKfiiiSE_SE_iiiii.num_vgpr)
	.set _ZN4vllm25paged_attention_v1_kernelI14__hip_bfloat16hLi96ELi32ELi128ELNS_18Fp8KVCacheDataTypeE1ELb0EEEvPT_PKS3_PKT0_S9_ifPKiSB_iPKfiiiSD_SD_iiiii.num_agpr, max(0, .L_ZN4vllm22paged_attention_kernelI14__hip_bfloat16hLi96ELi32ELi128ELNS_18Fp8KVCacheDataTypeE1ELb0ELi0EEEvPfS3_PT_PKS4_PKT0_SA_ifPKiSC_iPKfiiiSE_SE_iiiii.num_agpr)
	.set _ZN4vllm25paged_attention_v1_kernelI14__hip_bfloat16hLi96ELi32ELi128ELNS_18Fp8KVCacheDataTypeE1ELb0EEEvPT_PKS3_PKT0_S9_ifPKiSB_iPKfiiiSD_SD_iiiii.numbered_sgpr, max(40, .L_ZN4vllm22paged_attention_kernelI14__hip_bfloat16hLi96ELi32ELi128ELNS_18Fp8KVCacheDataTypeE1ELb0ELi0EEEvPfS3_PT_PKS4_PKT0_SA_ifPKiSC_iPKfiiiSE_SE_iiiii.numbered_sgpr)
	.set _ZN4vllm25paged_attention_v1_kernelI14__hip_bfloat16hLi96ELi32ELi128ELNS_18Fp8KVCacheDataTypeE1ELb0EEEvPT_PKS3_PKT0_S9_ifPKiSB_iPKfiiiSD_SD_iiiii.num_named_barrier, max(0, .L_ZN4vllm22paged_attention_kernelI14__hip_bfloat16hLi96ELi32ELi128ELNS_18Fp8KVCacheDataTypeE1ELb0ELi0EEEvPfS3_PT_PKS4_PKT0_SA_ifPKiSC_iPKfiiiSE_SE_iiiii.num_named_barrier)
	.set _ZN4vllm25paged_attention_v1_kernelI14__hip_bfloat16hLi96ELi32ELi128ELNS_18Fp8KVCacheDataTypeE1ELb0EEEvPT_PKS3_PKT0_S9_ifPKiSB_iPKfiiiSD_SD_iiiii.private_seg_size, 0+max(.L_ZN4vllm22paged_attention_kernelI14__hip_bfloat16hLi96ELi32ELi128ELNS_18Fp8KVCacheDataTypeE1ELb0ELi0EEEvPfS3_PT_PKS4_PKT0_SA_ifPKiSC_iPKfiiiSE_SE_iiiii.private_seg_size)
	.set _ZN4vllm25paged_attention_v1_kernelI14__hip_bfloat16hLi96ELi32ELi128ELNS_18Fp8KVCacheDataTypeE1ELb0EEEvPT_PKS3_PKT0_S9_ifPKiSB_iPKfiiiSD_SD_iiiii.uses_vcc, or(1, .L_ZN4vllm22paged_attention_kernelI14__hip_bfloat16hLi96ELi32ELi128ELNS_18Fp8KVCacheDataTypeE1ELb0ELi0EEEvPfS3_PT_PKS4_PKT0_SA_ifPKiSC_iPKfiiiSE_SE_iiiii.uses_vcc)
	.set _ZN4vllm25paged_attention_v1_kernelI14__hip_bfloat16hLi96ELi32ELi128ELNS_18Fp8KVCacheDataTypeE1ELb0EEEvPT_PKS3_PKT0_S9_ifPKiSB_iPKfiiiSD_SD_iiiii.uses_flat_scratch, or(0, .L_ZN4vllm22paged_attention_kernelI14__hip_bfloat16hLi96ELi32ELi128ELNS_18Fp8KVCacheDataTypeE1ELb0ELi0EEEvPfS3_PT_PKS4_PKT0_SA_ifPKiSC_iPKfiiiSE_SE_iiiii.uses_flat_scratch)
	.set _ZN4vllm25paged_attention_v1_kernelI14__hip_bfloat16hLi96ELi32ELi128ELNS_18Fp8KVCacheDataTypeE1ELb0EEEvPT_PKS3_PKT0_S9_ifPKiSB_iPKfiiiSD_SD_iiiii.has_dyn_sized_stack, or(0, .L_ZN4vllm22paged_attention_kernelI14__hip_bfloat16hLi96ELi32ELi128ELNS_18Fp8KVCacheDataTypeE1ELb0ELi0EEEvPfS3_PT_PKS4_PKT0_SA_ifPKiSC_iPKfiiiSE_SE_iiiii.has_dyn_sized_stack)
	.set _ZN4vllm25paged_attention_v1_kernelI14__hip_bfloat16hLi96ELi32ELi128ELNS_18Fp8KVCacheDataTypeE1ELb0EEEvPT_PKS3_PKT0_S9_ifPKiSB_iPKfiiiSD_SD_iiiii.has_recursion, or(0, .L_ZN4vllm22paged_attention_kernelI14__hip_bfloat16hLi96ELi32ELi128ELNS_18Fp8KVCacheDataTypeE1ELb0ELi0EEEvPfS3_PT_PKS4_PKT0_SA_ifPKiSC_iPKfiiiSE_SE_iiiii.has_recursion)
	.set _ZN4vllm25paged_attention_v1_kernelI14__hip_bfloat16hLi96ELi32ELi128ELNS_18Fp8KVCacheDataTypeE1ELb0EEEvPT_PKS3_PKT0_S9_ifPKiSB_iPKfiiiSD_SD_iiiii.has_indirect_call, or(0, .L_ZN4vllm22paged_attention_kernelI14__hip_bfloat16hLi96ELi32ELi128ELNS_18Fp8KVCacheDataTypeE1ELb0ELi0EEEvPfS3_PT_PKS4_PKT0_SA_ifPKiSC_iPKfiiiSE_SE_iiiii.has_indirect_call)
	.section	.AMDGPU.csdata,"",@progbits
; Kernel info:
; codeLenInByte = 224
; TotalNumSgprs: 42
; NumVgprs: 128
; ScratchSize: 640
; MemoryBound: 0
; FloatMode: 240
; IeeeMode: 1
; LDSByteSize: 224 bytes/workgroup (compile time only)
; SGPRBlocks: 0
; VGPRBlocks: 15
; NumSGPRsForWavesPerEU: 42
; NumVGPRsForWavesPerEU: 128
; Occupancy: 8
; WaveLimiterHint : 1
; COMPUTE_PGM_RSRC2:SCRATCH_EN: 1
; COMPUTE_PGM_RSRC2:USER_SGPR: 6
; COMPUTE_PGM_RSRC2:TRAP_HANDLER: 0
; COMPUTE_PGM_RSRC2:TGID_X_EN: 1
; COMPUTE_PGM_RSRC2:TGID_Y_EN: 1
; COMPUTE_PGM_RSRC2:TGID_Z_EN: 1
; COMPUTE_PGM_RSRC2:TIDIG_COMP_CNT: 0
	.text
	.p2align	2                               ; -- Begin function _ZN4vllm22paged_attention_kernelI14__hip_bfloat16hLi112ELi32ELi128ELNS_18Fp8KVCacheDataTypeE1ELb0ELi0EEEvPfS3_PT_PKS4_PKT0_SA_ifPKiSC_iPKfiiiSE_SE_iiiii
	.type	_ZN4vllm22paged_attention_kernelI14__hip_bfloat16hLi112ELi32ELi128ELNS_18Fp8KVCacheDataTypeE1ELb0ELi0EEEvPfS3_PT_PKS4_PKT0_SA_ifPKiSC_iPKfiiiSE_SE_iiiii,@function
_ZN4vllm22paged_attention_kernelI14__hip_bfloat16hLi112ELi32ELi128ELNS_18Fp8KVCacheDataTypeE1ELb0ELi0EEEvPfS3_PT_PKS4_PKT0_SA_ifPKiSC_iPKfiiiSE_SE_iiiii: ; @_ZN4vllm22paged_attention_kernelI14__hip_bfloat16hLi112ELi32ELi128ELNS_18Fp8KVCacheDataTypeE1ELb0ELi0EEEvPfS3_PT_PKS4_PKT0_SA_ifPKiSC_iPKfiiiSE_SE_iiiii
; %bb.0:
	s_waitcnt vmcnt(0) expcnt(0) lgkmcnt(0)
	buffer_store_dword v40, off, s[0:3], s32 offset:188 ; 4-byte Folded Spill
	buffer_store_dword v41, off, s[0:3], s32 offset:184 ; 4-byte Folded Spill
	;; [unrolled: 1-line block ×47, first 2 shown]
	buffer_store_dword v127, off, s[0:3], s32 ; 4-byte Folded Spill
	s_mov_b32 s10, s13
	s_ashr_i32 s11, s13, 31
	buffer_store_dword v22, off, s[0:3], s32 offset:736 ; 4-byte Folded Spill
	buffer_store_dword v23, off, s[0:3], s32 offset:740 ; 4-byte Folded Spill
	;; [unrolled: 1-line block ×8, first 2 shown]
	s_lshl_b64 s[4:5], s[10:11], 2
	buffer_store_dword v1, off, s[0:3], s32 offset:728 ; 4-byte Folded Spill
	buffer_store_dword v0, off, s[0:3], s32 offset:732 ; 4-byte Folded Spill
	v_add_co_u32 v0, vcc_lo, v12, s4
	v_add_co_ci_u32_e64 v1, null, s5, v13, vcc_lo
	s_clause 0x1
	s_load_dword s4, s[8:9], 0x10
	s_load_dword s5, s[8:9], 0x0
	v_mov_b32_e32 v20, v6
	flat_load_dword v30, v[0:1]
	v_sub_nc_u32_e32 v0, 0, v8
	v_mov_b32_e32 v18, v7
	s_mov_b32 s16, s15
	v_max_i32_e32 v0, v8, v0
	v_cvt_f32_u32_e32 v1, v0
	v_sub_nc_u32_e32 v6, 0, v0
	v_rcp_iflag_f32_e32 v1, v1
	s_waitcnt lgkmcnt(0)
	s_lshr_b32 s4, s4, 16
	s_cmp_lg_u32 s4, 0
	s_cselect_b32 s4, -1, 0
	s_cmp_lg_u32 s4, 0
	s_addc_u32 s11, s5, 0
	v_mul_f32_e32 v1, 0x4f7ffffe, v1
	s_abs_i32 s4, s11
	s_mov_b32 s5, exec_lo
	v_cvt_u32_f32_e32 v1, v1
	v_mul_lo_u32 v6, v6, v1
	v_mul_hi_u32 v6, v1, v6
	v_add_nc_u32_e32 v1, v1, v6
	v_mul_hi_u32 v1, s4, v1
	v_mul_lo_u32 v6, v1, v0
	v_add_nc_u32_e32 v7, 1, v1
	v_sub_nc_u32_e32 v6, s4, v6
	s_abs_i32 s4, s12
	v_sub_nc_u32_e32 v9, v6, v0
	v_cmp_ge_u32_e32 vcc_lo, v6, v0
	v_cndmask_b32_e32 v1, v1, v7, vcc_lo
	v_cndmask_b32_e32 v6, v6, v9, vcc_lo
	v_xor_b32_e32 v7, s11, v8
	v_add_nc_u32_e32 v8, 1, v1
	v_cmp_ge_u32_e32 vcc_lo, v6, v0
	v_ashrrev_i32_e32 v7, 31, v7
	v_cndmask_b32_e32 v0, v1, v8, vcc_lo
	v_xor_b32_e32 v0, v0, v7
	v_sub_nc_u32_e32 v1, v0, v7
	v_sub_nc_u32_e32 v0, 0, v1
	v_max_i32_e32 v0, v1, v0
	v_cvt_f32_u32_e32 v6, v0
	v_sub_nc_u32_e32 v7, 0, v0
	v_rcp_iflag_f32_e32 v6, v6
	v_mul_f32_e32 v6, 0x4f7ffffe, v6
	v_cvt_u32_f32_e32 v6, v6
	v_mul_lo_u32 v7, v7, v6
	v_mul_hi_u32 v7, v6, v7
	v_add_nc_u32_e32 v6, v6, v7
	v_mad_u64_u32 v[12:13], null, s4, v6, 0
	v_mov_b32_e32 v6, 0
	buffer_store_dword v6, off, s[0:3], s32 offset:208 ; 4-byte Folded Spill
	v_cmpx_ne_u64_e32 0, v[15:16]
	s_cbranch_execz .LBB364_2
; %bb.1:
	s_ashr_i32 s13, s12, 31
	s_lshl_b64 s[6:7], s[12:13], 2
	v_add_co_u32 v6, vcc_lo, v15, s6
	v_add_co_ci_u32_e64 v7, null, s7, v16, vcc_lo
	flat_load_dword v6, v[6:7]
	s_waitcnt vmcnt(0) lgkmcnt(0)
	buffer_store_dword v6, off, s[0:3], s32 offset:208 ; 4-byte Folded Spill
.LBB364_2:
	s_or_b32 exec_lo, exec_lo, s5
	v_and_b32_e32 v11, 0x3ff, v31
	v_ashrrev_i32_e32 v1, 31, v1
	s_ashr_i32 s5, s12, 31
	s_mulk_i32 s12, 0x70
	s_mov_b32 s6, exec_lo
	v_cmpx_gt_u32_e32 14, v11
	s_cbranch_execz .LBB364_4
; %bb.3:
	v_mul_lo_u32 v6, v17, s10
	s_ashr_i32 s13, s12, 31
	v_lshlrev_b32_e32 v10, 4, v11
	s_lshl_b64 s[18:19], s[12:13], 1
	v_ashrrev_i32_e32 v7, 31, v6
	v_lshlrev_b64 v[6:7], 1, v[6:7]
	v_add_co_u32 v2, vcc_lo, v2, v6
	v_add_co_ci_u32_e64 v3, null, v3, v7, vcc_lo
	v_add_co_u32 v2, vcc_lo, v2, s18
	v_add_co_ci_u32_e64 v3, null, s19, v3, vcc_lo
	;; [unrolled: 2-line block ×3, first 2 shown]
	flat_load_dwordx4 v[6:9], v[2:3]
	s_waitcnt vmcnt(0) lgkmcnt(0)
	ds_write_b128 v10, v[6:9]
.LBB364_4:
	s_or_b32 exec_lo, exec_lo, s6
	v_mul_lo_u32 v2, v13, v0
	v_add_nc_u32_e32 v3, 1, v13
	s_waitcnt vmcnt(0)
	v_add_nc_u32_e32 v7, 31, v30
	v_xor_b32_e32 v1, s5, v1
	s_clause 0x1
	s_load_dword s7, s[8:9], 0x14
	s_load_dword s13, s[8:9], 0x8
	v_and_b32_e32 v10, 31, v11
	v_mov_b32_e32 v37, 0xff7fffff
	v_sub_nc_u32_e32 v2, s4, v2
	v_lshlrev_b32_e32 v12, 2, v10
	v_sub_nc_u32_e32 v6, v2, v0
	v_cmp_ge_u32_e32 vcc_lo, v2, v0
	v_cndmask_b32_e32 v3, v13, v3, vcc_lo
	v_cndmask_b32_e32 v2, v2, v6, vcc_lo
	v_add_nc_u32_e32 v6, 1, v3
	v_cmp_ge_u32_e32 vcc_lo, v2, v0
	v_mul_lo_u32 v0, v14, s10
	v_cndmask_b32_e32 v2, v3, v6, vcc_lo
	v_ashrrev_i32_e32 v3, 31, v7
	v_lshrrev_b32_e32 v6, 5, v11
	v_xor_b32_e32 v2, v2, v1
	v_lshrrev_b32_e32 v3, 27, v3
	v_sub_nc_u32_e32 v2, v2, v1
	v_ashrrev_i32_e32 v1, 31, v0
	v_add_nc_u32_e32 v3, v7, v3
	v_mul_lo_u32 v7, v2, v19
	v_lshlrev_b64 v[0:1], 2, v[0:1]
	v_ashrrev_i32_e32 v2, 5, v3
	v_lshrrev_b32_e32 v3, 3, v11
	v_cmp_ge_i32_e64 s4, v6, v2
	buffer_store_dword v3, off, s[0:3], s32 offset:716 ; 4-byte Folded Spill
	buffer_store_dword v0, off, s[0:3], s32 offset:708 ; 4-byte Folded Spill
	;; [unrolled: 1-line block ×3, first 2 shown]
	v_ashrrev_i32_e32 v0, 31, v7
	buffer_store_dword v6, off, s[0:3], s32 offset:688 ; 4-byte Folded Spill
	buffer_store_dword v2, off, s[0:3], s32 offset:192 ; 4-byte Folded Spill
	v_cmp_lt_i32_e32 vcc_lo, v6, v2
	buffer_store_dword v7, off, s[0:3], s32 offset:720 ; 4-byte Folded Spill
	buffer_store_dword v0, off, s[0:3], s32 offset:724 ; 4-byte Folded Spill
	s_waitcnt lgkmcnt(0)
	s_waitcnt_vscnt null, 0x0
	s_barrier
	buffer_gl0_inv
	s_mov_b32 s15, exec_lo
	s_and_b32 s5, s15, vcc_lo
	buffer_store_dword v10, off, s[0:3], s32 offset:696 ; 4-byte Folded Spill
	buffer_store_dword v11, off, s[0:3], s32 offset:692 ; 4-byte Folded Spill
	s_mov_b32 exec_lo, s5
	s_cbranch_execz .LBB364_904
; %bb.5:
	v_mov_b32_e32 v13, 0
	buffer_store_dword v20, off, s[0:3], s32 offset:748 ; 4-byte Folded Spill
	buffer_store_dword v18, off, s[0:3], s32 offset:744 ; 4-byte Folded Spill
	s_getpc_b64 s[8:9]
	s_add_u32 s8, s8, llvm.amdgcn.dynlds.offset.table@rel32@lo+4
	s_addc_u32 s9, s9, llvm.amdgcn.dynlds.offset.table@rel32@hi+12
	s_ashr_i32 s17, s16, 31
	v_mov_b32_e32 v37, 0xff7fffff
	ds_read_b128 v[0:3], v13
	ds_read_b128 v[6:9], v13 offset:16
	ds_read_b128 v[14:17], v13 offset:32
	;; [unrolled: 1-line block ×3, first 2 shown]
	s_lshl_b64 s[18:19], s[16:17], 2
	v_mov_b32_e32 v48, 0x80
	s_add_u32 s8, s8, s18
	s_addc_u32 s9, s9, s19
	v_mov_b32_e32 v50, 0xff
	v_mov_b32_e32 v51, 7
	;; [unrolled: 1-line block ×3, first 2 shown]
	s_mov_b32 s17, 0
	s_waitcnt lgkmcnt(3)
	v_lshlrev_b32_e32 v11, 16, v0
	v_and_b32_e32 v0, 0xffff0000, v0
	buffer_store_dword v11, off, s[0:3], s32 offset:224 ; 4-byte Folded Spill
	buffer_store_dword v0, off, s[0:3], s32 offset:228 ; 4-byte Folded Spill
	v_lshlrev_b32_e32 v0, 16, v1
	buffer_store_dword v0, off, s[0:3], s32 offset:232 ; 4-byte Folded Spill
	v_and_b32_e32 v0, 0xffff0000, v1
	buffer_store_dword v0, off, s[0:3], s32 offset:236 ; 4-byte Folded Spill
	v_lshlrev_b32_e32 v0, 16, v2
	buffer_store_dword v0, off, s[0:3], s32 offset:240 ; 4-byte Folded Spill
	v_and_b32_e32 v0, 0xffff0000, v2
	buffer_store_dword v0, off, s[0:3], s32 offset:244 ; 4-byte Folded Spill
	v_lshlrev_b32_e32 v0, 16, v3
	buffer_store_dword v0, off, s[0:3], s32 offset:248 ; 4-byte Folded Spill
	v_and_b32_e32 v0, 0xffff0000, v3
	buffer_store_dword v0, off, s[0:3], s32 offset:252 ; 4-byte Folded Spill
	s_waitcnt lgkmcnt(2)
	v_lshlrev_b32_e32 v0, 16, v6
	buffer_store_dword v0, off, s[0:3], s32 offset:256 ; 4-byte Folded Spill
	v_and_b32_e32 v0, 0xffff0000, v6
	buffer_store_dword v0, off, s[0:3], s32 offset:260 ; 4-byte Folded Spill
	v_lshlrev_b32_e32 v0, 16, v7
	buffer_store_dword v0, off, s[0:3], s32 offset:264 ; 4-byte Folded Spill
	v_and_b32_e32 v0, 0xffff0000, v7
	buffer_store_dword v0, off, s[0:3], s32 offset:268 ; 4-byte Folded Spill
	v_lshlrev_b32_e32 v0, 16, v8
	buffer_store_dword v0, off, s[0:3], s32 offset:272 ; 4-byte Folded Spill
	v_and_b32_e32 v0, 0xffff0000, v8
	buffer_store_dword v0, off, s[0:3], s32 offset:276 ; 4-byte Folded Spill
	v_lshlrev_b32_e32 v0, 16, v9
	buffer_store_dword v0, off, s[0:3], s32 offset:280 ; 4-byte Folded Spill
	v_and_b32_e32 v0, 0xffff0000, v9
	buffer_store_dword v0, off, s[0:3], s32 offset:284 ; 4-byte Folded Spill
	s_waitcnt lgkmcnt(1)
	v_lshlrev_b32_e32 v0, 16, v14
	buffer_store_dword v0, off, s[0:3], s32 offset:288 ; 4-byte Folded Spill
	v_and_b32_e32 v0, 0xffff0000, v14
	;; [unrolled: 17-line block ×3, first 2 shown]
	buffer_store_dword v0, off, s[0:3], s32 offset:332 ; 4-byte Folded Spill
	v_lshlrev_b32_e32 v0, 16, v19
	buffer_store_dword v0, off, s[0:3], s32 offset:336 ; 4-byte Folded Spill
	v_and_b32_e32 v0, 0xffff0000, v19
	buffer_store_dword v0, off, s[0:3], s32 offset:340 ; 4-byte Folded Spill
	v_lshlrev_b32_e32 v0, 16, v20
	buffer_store_dword v0, off, s[0:3], s32 offset:344 ; 4-byte Folded Spill
	v_and_b32_e32 v0, 0xffff0000, v20
	buffer_store_dword v0, off, s[0:3], s32 offset:348 ; 4-byte Folded Spill
	v_lshlrev_b32_e32 v0, 16, v21
	buffer_store_dword v0, off, s[0:3], s32 offset:352 ; 4-byte Folded Spill
	v_and_b32_e32 v0, 0xffff0000, v21
	buffer_store_dword v0, off, s[0:3], s32 offset:356 ; 4-byte Folded Spill
	ds_read_b128 v[0:3], v13 offset:64
	s_waitcnt lgkmcnt(0)
	v_lshlrev_b32_e32 v6, 16, v0
	v_and_b32_e32 v0, 0xffff0000, v0
	buffer_store_dword v6, off, s[0:3], s32 offset:360 ; 4-byte Folded Spill
	buffer_store_dword v0, off, s[0:3], s32 offset:364 ; 4-byte Folded Spill
	v_lshlrev_b32_e32 v0, 16, v1
	buffer_store_dword v0, off, s[0:3], s32 offset:368 ; 4-byte Folded Spill
	v_and_b32_e32 v0, 0xffff0000, v1
	buffer_store_dword v0, off, s[0:3], s32 offset:372 ; 4-byte Folded Spill
	v_lshlrev_b32_e32 v0, 16, v2
	buffer_store_dword v0, off, s[0:3], s32 offset:376 ; 4-byte Folded Spill
	v_and_b32_e32 v0, 0xffff0000, v2
	buffer_store_dword v0, off, s[0:3], s32 offset:380 ; 4-byte Folded Spill
	v_lshlrev_b32_e32 v0, 16, v3
	buffer_store_dword v0, off, s[0:3], s32 offset:384 ; 4-byte Folded Spill
	v_and_b32_e32 v0, 0xffff0000, v3
	buffer_store_dword v0, off, s[0:3], s32 offset:388 ; 4-byte Folded Spill
	ds_read_b128 v[0:3], v13 offset:80
	s_waitcnt lgkmcnt(0)
	v_lshlrev_b32_e32 v6, 16, v0
	v_and_b32_e32 v0, 0xffff0000, v0
	buffer_store_dword v6, off, s[0:3], s32 offset:392 ; 4-byte Folded Spill
	;; [unrolled: 18-line block ×10, first 2 shown]
	buffer_store_dword v0, off, s[0:3], s32 offset:652 ; 4-byte Folded Spill
	v_lshlrev_b32_e32 v0, 16, v1
	buffer_store_dword v0, off, s[0:3], s32 offset:656 ; 4-byte Folded Spill
	v_and_b32_e32 v0, 0xffff0000, v1
	buffer_load_dword v1, off, s[0:3], s32 offset:724 ; 4-byte Folded Reload
	buffer_store_dword v0, off, s[0:3], s32 offset:660 ; 4-byte Folded Spill
	v_lshlrev_b32_e32 v0, 16, v2
	buffer_store_dword v0, off, s[0:3], s32 offset:664 ; 4-byte Folded Spill
	v_and_b32_e32 v0, 0xffff0000, v2
	v_lshlrev_b32_e32 v2, 4, v10
	buffer_store_dword v0, off, s[0:3], s32 offset:668 ; 4-byte Folded Spill
	v_lshlrev_b32_e32 v0, 16, v3
	buffer_store_dword v0, off, s[0:3], s32 offset:672 ; 4-byte Folded Spill
	v_and_b32_e32 v0, 0xffff0000, v3
	buffer_store_dword v0, off, s[0:3], s32 offset:676 ; 4-byte Folded Spill
	buffer_load_dword v0, off, s[0:3], s32 offset:720 ; 4-byte Folded Reload
	s_waitcnt vmcnt(0)
	v_add_co_u32 v0, vcc_lo, v4, v0
	v_add_co_ci_u32_e64 v1, null, v5, v1, vcc_lo
	v_add_co_u32 v0, vcc_lo, v0, v2
	v_add_co_ci_u32_e64 v1, null, 0, v1, vcc_lo
	buffer_store_dword v0, off, s[0:3], s32 offset:680 ; 4-byte Folded Spill
	buffer_store_dword v1, off, s[0:3], s32 offset:684 ; 4-byte Folded Spill
	s_clause 0x2
	buffer_load_dword v0, off, s[0:3], s32 offset:716
	buffer_load_dword v1, off, s[0:3], s32 offset:708
	buffer_load_dword v2, off, s[0:3], s32 offset:712
	s_load_dword s5, s[8:9], 0x0
	s_mov_b32 s8, -1
	s_mov_b32 s9, 0xffffff
	buffer_store_dword v12, off, s[0:3], s32 offset:752 ; 4-byte Folded Spill
	buffer_load_dword v53, off, s[0:3], s32 offset:688 ; 4-byte Folded Reload
	s_waitcnt vmcnt(3)
	v_and_b32_e32 v0, 0x7c, v0
	s_waitcnt vmcnt(2)
	v_add_co_u32 v0, vcc_lo, v0, v1
	s_waitcnt vmcnt(1)
	v_add_co_ci_u32_e64 v1, null, 0, v2, vcc_lo
	buffer_load_dword v2, off, s[0:3], s32 offset:704 ; 4-byte Folded Reload
	s_waitcnt vmcnt(1)
	v_lshl_or_b32 v39, v53, 5, v10
	s_waitcnt vmcnt(0)
	v_add_co_u32 v14, vcc_lo, v2, v0
	buffer_load_dword v0, off, s[0:3], s32 offset:700 ; 4-byte Folded Reload
	s_waitcnt vmcnt(0)
	v_add_co_ci_u32_e64 v15, null, v0, v1, vcc_lo
	buffer_load_dword v0, off, s[0:3], s32 offset:208 ; 4-byte Folded Reload
	s_waitcnt vmcnt(0)
	v_cmp_neq_f32_e32 vcc_lo, 0, v0
	v_lshl_or_b32 v0, v53, 7, v12
	s_waitcnt lgkmcnt(0)
	v_add_nc_u32_e32 v38, s5, v0
	s_branch .LBB364_10
.LBB364_6:                              ;   in Loop: Header=BB364_10 Depth=1
	s_or_b32 exec_lo, exec_lo, s20
	v_lshlrev_b32_sdwa v12, v52, v17 dst_sel:DWORD dst_unused:UNUSED_PAD src0_sel:DWORD src1_sel:BYTE_3
	v_lshlrev_b32_e32 v17, 20, v24
	v_lshl_add_u32 v16, v16, 23, 0x3c000000
	v_and_b32_e32 v12, 0x80000000, v12
	v_or3_b32 v20, v17, v12, v16
.LBB364_7:                              ;   in Loop: Header=BB364_10 Depth=1
	s_or_b32 exec_lo, exec_lo, s19
.LBB364_8:                              ;   in Loop: Header=BB364_10 Depth=1
	s_or_b32 exec_lo, exec_lo, s18
.LBB364_9:                              ;   in Loop: Header=BB364_10 Depth=1
	s_or_b32 exec_lo, exec_lo, s6
	v_mul_f32_e32 v12, v54, v65
	v_mul_f32_e32 v5, v54, v5
	;; [unrolled: 1-line block ×5, first 2 shown]
	v_bfe_u32 v16, v12, 16, 1
	v_or_b32_e32 v17, 0x400000, v12
	v_cmp_u_f32_e64 s5, v12, v12
	v_mul_f32_e32 v8, v54, v8
	v_mul_f32_e32 v32, v54, v32
	v_add3_u32 v16, v16, v12, 0x7fff
	v_mul_f32_e32 v9, v54, v9
	v_mul_f32_e32 v22, v54, v22
	;; [unrolled: 1-line block ×4, first 2 shown]
	v_cndmask_b32_e64 v12, v16, v17, s5
	v_mul_f32_e32 v16, v54, v21
	v_mul_f32_e32 v26, v54, v26
	;; [unrolled: 1-line block ×3, first 2 shown]
	v_add_nc_u32_e32 v53, 4, v53
	v_add_co_u32 v14, s6, v14, 16
	v_bfe_u32 v17, v16, 16, 1
	v_or_b32_e32 v21, 0x400000, v16
	v_cmp_u_f32_e64 s5, v16, v16
	v_add_co_ci_u32_e64 v15, null, 0, v15, s6
	v_add3_u32 v17, v17, v16, 0x7fff
	v_cndmask_b32_e64 v16, v17, v21, s5
	v_bfe_u32 v17, v5, 16, 1
	v_or_b32_e32 v21, 0x400000, v5
	v_cmp_u_f32_e64 s5, v5, v5
	v_add3_u32 v17, v17, v5, 0x7fff
	v_mul_f32_e32 v5, v54, v36
	v_cndmask_b32_e64 v17, v17, v21, s5
	v_bfe_u32 v21, v5, 16, 1
	v_or_b32_e32 v24, 0x400000, v5
	v_cmp_u_f32_e64 s5, v5, v5
	v_add3_u32 v21, v21, v5, 0x7fff
	v_mul_f32_e32 v5, v54, v23
	;; [unrolled: 6-line block ×11, first 2 shown]
	v_cndmask_b32_e64 v6, v6, v21, s5
	v_bfe_u32 v7, v5, 16, 1
	v_or_b32_e32 v21, 0x400000, v5
	v_cmp_u_f32_e64 s5, v5, v5
	v_add3_u32 v7, v7, v5, 0x7fff
	v_bfe_u32 v5, v3, 16, 1
	v_cndmask_b32_e64 v34, v7, v21, s5
	v_add3_u32 v5, v5, v3, 0x7fff
	v_or_b32_e32 v7, 0x400000, v3
	v_cmp_u_f32_e64 s5, v3, v3
	v_cndmask_b32_e64 v3, v5, v7, s5
	v_mul_f32_e32 v5, v54, v28
	v_bfe_u32 v7, v5, 16, 1
	v_or_b32_e32 v21, 0x400000, v5
	v_cmp_u_f32_e64 s5, v5, v5
	v_add3_u32 v7, v7, v5, 0x7fff
	v_mul_f32_e32 v5, v54, v29
	v_cndmask_b32_e64 v7, v7, v21, s5
	v_bfe_u32 v21, v5, 16, 1
	v_or_b32_e32 v28, 0x400000, v5
	v_cmp_u_f32_e64 s5, v5, v5
	v_add3_u32 v21, v21, v5, 0x7fff
	v_cndmask_b32_e64 v5, v21, v28, s5
	v_bfe_u32 v21, v0, 16, 1
	v_or_b32_e32 v28, 0x400000, v0
	v_cmp_u_f32_e64 s5, v0, v0
	v_add3_u32 v21, v21, v0, 0x7fff
	v_cndmask_b32_e64 v0, v21, v28, s5
	v_bfe_u32 v21, v1, 16, 1
	v_or_b32_e32 v28, 0x400000, v1
	v_cmp_u_f32_e64 s5, v1, v1
	v_and_b32_e32 v0, 0xffff0000, v0
	v_add3_u32 v21, v21, v1, 0x7fff
	v_cndmask_b32_e64 v1, v21, v28, s5
	v_mul_f32_e32 v21, v54, v33
	v_and_b32_e32 v1, 0xffff0000, v1
	v_bfe_u32 v28, v21, 16, 1
	v_or_b32_e32 v29, 0x400000, v21
	v_cmp_u_f32_e64 s5, v21, v21
	v_add3_u32 v28, v28, v21, 0x7fff
	v_cndmask_b32_e64 v21, v28, v29, s5
	v_mul_f32_e32 v28, v54, v127
	v_and_b32_e32 v21, 0xffff0000, v21
	v_bfe_u32 v29, v28, 16, 1
	v_or_b32_e32 v33, 0x400000, v28
	v_cmp_u_f32_e64 s5, v28, v28
	v_add3_u32 v29, v29, v28, 0x7fff
	v_mul_f32_e32 v28, v54, v126
	v_cndmask_b32_e64 v29, v29, v33, s5
	v_bfe_u32 v33, v28, 16, 1
	v_or_b32_e32 v65, 0x400000, v28
	v_cmp_u_f32_e64 s5, v28, v28
	v_and_b32_e32 v29, 0xffff0000, v29
	v_add3_u32 v33, v33, v28, 0x7fff
	v_mul_f32_e32 v28, v54, v31
	v_cndmask_b32_e64 v33, v33, v65, s5
	v_bfe_u32 v31, v28, 16, 1
	v_or_b32_e32 v65, 0x400000, v28
	v_cmp_u_f32_e64 s5, v28, v28
	v_add3_u32 v31, v31, v28, 0x7fff
	v_cndmask_b32_e64 v28, v31, v65, s5
	v_bfe_u32 v31, v8, 16, 1
	v_or_b32_e32 v65, 0x400000, v8
	v_cmp_u_f32_e64 s5, v8, v8
	v_add3_u32 v31, v31, v8, 0x7fff
	v_cndmask_b32_e64 v8, v31, v65, s5
	v_mul_f32_e32 v31, v54, v124
	v_bfe_u32 v65, v31, 16, 1
	v_or_b32_e32 v66, 0x400000, v31
	v_cmp_u_f32_e64 s5, v31, v31
	v_add3_u32 v65, v65, v31, 0x7fff
	v_cndmask_b32_e64 v31, v65, v66, s5
	v_mul_f32_e32 v65, v54, v122
	v_and_b32_e32 v31, 0xffff0000, v31
	v_bfe_u32 v66, v65, 16, 1
	v_or_b32_e32 v67, 0x400000, v65
	v_cmp_u_f32_e64 s5, v65, v65
	v_add3_u32 v66, v66, v65, 0x7fff
	v_mul_f32_e32 v65, v54, v121
	v_cndmask_b32_e64 v122, v66, v67, s5
	v_bfe_u32 v66, v65, 16, 1
	v_or_b32_e32 v67, 0x400000, v65
	v_cmp_u_f32_e64 s5, v65, v65
	v_add3_u32 v66, v66, v65, 0x7fff
	v_mul_f32_e32 v65, v54, v120
	v_cndmask_b32_e64 v121, v66, v67, s5
	;; [unrolled: 6-line block ×15, first 2 shown]
	v_bfe_u32 v66, v65, 16, 1
	v_or_b32_e32 v67, 0x400000, v65
	v_cmp_u_f32_e64 s5, v65, v65
	v_add3_u32 v66, v66, v65, 0x7fff
	v_cndmask_b32_e64 v65, v66, v67, s5
	v_mul_f32_e32 v66, v54, v90
	v_bfe_u32 v67, v66, 16, 1
	v_or_b32_e32 v90, 0x400000, v66
	v_cmp_u_f32_e64 s5, v66, v66
	v_add3_u32 v67, v67, v66, 0x7fff
	v_mul_f32_e32 v66, v54, v89
	v_cndmask_b32_e64 v90, v67, v90, s5
	v_bfe_u32 v67, v66, 16, 1
	v_or_b32_e32 v89, 0x400000, v66
	v_cmp_u_f32_e64 s5, v66, v66
	v_add3_u32 v67, v67, v66, 0x7fff
	v_mul_f32_e32 v66, v54, v88
	v_cndmask_b32_e64 v89, v67, v89, s5
	;; [unrolled: 6-line block ×7, first 2 shown]
	v_bfe_u32 v67, v66, 16, 1
	v_or_b32_e32 v76, 0x400000, v66
	v_cmp_u_f32_e64 s5, v66, v66
	v_add3_u32 v67, v67, v66, 0x7fff
	v_cndmask_b32_e64 v66, v67, v76, s5
	v_mul_f32_e32 v67, v54, v74
	v_bfe_u32 v74, v67, 16, 1
	v_or_b32_e32 v76, 0x400000, v67
	v_cmp_u_f32_e64 s5, v67, v67
	v_add3_u32 v74, v74, v67, 0x7fff
	v_mul_f32_e32 v67, v54, v73
	v_cndmask_b32_e64 v74, v74, v76, s5
	v_bfe_u32 v73, v67, 16, 1
	v_or_b32_e32 v76, 0x400000, v67
	v_cmp_u_f32_e64 s5, v67, v67
	v_add3_u32 v73, v73, v67, 0x7fff
	v_mul_f32_e32 v67, v54, v72
	v_cndmask_b32_e64 v73, v73, v76, s5
	v_bfe_u32 v72, v67, 16, 1
	v_or_b32_e32 v76, 0x400000, v67
	v_cmp_u_f32_e64 s5, v67, v67
	v_add3_u32 v72, v72, v67, 0x7fff
	v_bfe_u32 v67, v32, 16, 1
	v_cndmask_b32_e64 v72, v72, v76, s5
	v_add3_u32 v67, v67, v32, 0x7fff
	v_or_b32_e32 v76, 0x400000, v32
	v_cmp_u_f32_e64 s5, v32, v32
	v_mul_f32_e32 v32, v54, v63
	v_cndmask_b32_e64 v76, v67, v76, s5
	v_bfe_u32 v67, v32, 16, 1
	v_or_b32_e32 v63, 0x400000, v32
	v_cmp_u_f32_e64 s5, v32, v32
	v_add3_u32 v67, v67, v32, 0x7fff
	v_mul_f32_e32 v32, v54, v75
	v_cndmask_b32_e64 v93, v67, v63, s5
	v_bfe_u32 v67, v32, 16, 1
	v_or_b32_e32 v63, 0x400000, v32
	v_cmp_u_f32_e64 s5, v32, v32
	v_add3_u32 v67, v67, v32, 0x7fff
	v_cndmask_b32_e64 v32, v67, v63, s5
	v_mul_f32_e32 v67, v54, v77
	v_and_b32_e32 v32, 0xffff0000, v32
	v_bfe_u32 v63, v67, 16, 1
	v_or_b32_e32 v75, 0x400000, v67
	v_cmp_u_f32_e64 s5, v67, v67
	v_add3_u32 v63, v63, v67, 0x7fff
	v_mul_f32_e32 v67, v54, v61
	v_cndmask_b32_e64 v63, v63, v75, s5
	v_bfe_u32 v61, v67, 16, 1
	v_or_b32_e32 v75, 0x400000, v67
	v_cmp_u_f32_e64 s5, v67, v67
	v_add3_u32 v61, v61, v67, 0x7fff
	v_mul_f32_e32 v67, v54, v59
	v_cndmask_b32_e64 v61, v61, v75, s5
	;; [unrolled: 6-line block ×22, first 2 shown]
	v_bfe_u32 v112, v67, 16, 1
	v_or_b32_e32 v46, 0x400000, v67
	v_cmp_u_f32_e64 s5, v67, v67
	v_add3_u32 v112, v112, v67, 0x7fff
	v_bfe_u32 v67, v9, 16, 1
	v_cndmask_b32_e64 v46, v112, v46, s5
	v_add3_u32 v67, v67, v9, 0x7fff
	v_or_b32_e32 v112, 0x400000, v9
	v_cmp_u_f32_e64 s5, v9, v9
	v_mul_f32_e32 v9, v54, v118
	v_cndmask_b32_e64 v112, v67, v112, s5
	v_bfe_u32 v67, v9, 16, 1
	v_or_b32_e32 v118, 0x400000, v9
	v_cmp_u_f32_e64 s5, v9, v9
	v_add3_u32 v67, v67, v9, 0x7fff
	v_mul_f32_e32 v9, v54, v102
	v_cndmask_b32_e64 v118, v67, v118, s5
	v_bfe_u32 v67, v9, 16, 1
	v_or_b32_e32 v102, 0x400000, v9
	v_cmp_u_f32_e64 s5, v9, v9
	v_add3_u32 v67, v67, v9, 0x7fff
	;; [unrolled: 6-line block ×13, first 2 shown]
	v_mul_f32_e32 v9, v54, v81
	v_cndmask_b32_e64 v67, v67, v82, s5
	v_bfe_u32 v81, v9, 16, 1
	v_or_b32_e32 v82, 0x400000, v9
	v_cmp_u_f32_e64 s5, v9, v9
	v_and_b32_e32 v67, 0xffff0000, v67
	v_add3_u32 v81, v81, v9, 0x7fff
	v_mul_f32_e32 v9, v54, v80
	v_cndmask_b32_e64 v81, v81, v82, s5
	v_bfe_u32 v80, v9, 16, 1
	v_or_b32_e32 v82, 0x400000, v9
	v_cmp_u_f32_e64 s5, v9, v9
	v_add3_u32 v80, v80, v9, 0x7fff
	v_mul_f32_e32 v9, v54, v85
	v_cndmask_b32_e64 v80, v80, v82, s5
	v_bfe_u32 v82, v9, 16, 1
	v_or_b32_e32 v85, 0x400000, v9
	v_cmp_u_f32_e64 s5, v9, v9
	;; [unrolled: 6-line block ×5, first 2 shown]
	v_add3_u32 v68, v68, v9, 0x7fff
	buffer_load_dword v9, off, s[0:3], s32 offset:204 ; 4-byte Folded Reload
	v_cndmask_b32_e64 v87, v68, v87, s5
	s_waitcnt vmcnt(0)
	v_mul_f32_e32 v9, v54, v9
	v_bfe_u32 v68, v9, 16, 1
	v_or_b32_e32 v103, 0x400000, v9
	v_cmp_u_f32_e64 s5, v9, v9
	v_add3_u32 v68, v68, v9, 0x7fff
	buffer_load_dword v9, off, s[0:3], s32 offset:200 ; 4-byte Folded Reload
	v_cndmask_b32_e64 v68, v68, v103, s5
	s_waitcnt vmcnt(0)
	v_mul_f32_e32 v9, v54, v9
	v_bfe_u32 v103, v9, 16, 1
	v_or_b32_e32 v109, 0x400000, v9
	v_cmp_u_f32_e64 s5, v9, v9
	v_add3_u32 v103, v103, v9, 0x7fff
	v_mul_f32_e32 v9, v54, v49
	v_cndmask_b32_e64 v103, v103, v109, s5
	v_bfe_u32 v109, v9, 16, 1
	v_or_b32_e32 v126, 0x400000, v9
	v_cmp_u_f32_e64 s5, v9, v9
	v_add3_u32 v109, v109, v9, 0x7fff
	buffer_load_dword v9, off, s[0:3], s32 offset:196 ; 4-byte Folded Reload
	v_cndmask_b32_e64 v109, v109, v126, s5
	s_waitcnt vmcnt(0)
	v_mul_f32_e32 v9, v54, v9
	v_bfe_u32 v126, v9, 16, 1
	v_or_b32_e32 v127, 0x400000, v9
	v_cmp_u_f32_e64 s5, v9, v9
	v_add3_u32 v126, v126, v9, 0x7fff
	v_mul_f32_e32 v9, v54, v69
	v_cndmask_b32_e64 v126, v126, v127, s5
	v_bfe_u32 v69, v9, 16, 1
	v_or_b32_e32 v127, 0x400000, v9
	v_cmp_u_f32_e64 s5, v9, v9
	v_add3_u32 v69, v69, v9, 0x7fff
	v_mul_f32_e32 v9, v54, v71
	v_cndmask_b32_e64 v127, v69, v127, s5
	;; [unrolled: 6-line block ×3, first 2 shown]
	v_bfe_u32 v64, v9, 16, 1
	v_or_b32_e32 v69, 0x400000, v9
	v_cmp_u_f32_e64 s5, v9, v9
	buffer_load_dword v71, off, s[0:3], s32 offset:260 ; 4-byte Folded Reload
	v_and_b32_e32 v49, 0xffff0000, v49
	v_add3_u32 v64, v64, v9, 0x7fff
	v_cndmask_b32_e64 v9, v64, v69, s5
	v_bfe_u32 v64, v22, 16, 1
	v_or_b32_e32 v69, 0x400000, v22
	v_cmp_u_f32_e64 s5, v22, v22
	v_add3_u32 v64, v64, v22, 0x7fff
	v_cndmask_b32_e64 v22, v64, v69, s5
	v_bfe_u32 v64, v18, 16, 1
	v_or_b32_e32 v69, 0x400000, v18
	v_cmp_u_f32_e64 s5, v18, v18
	;; [unrolled: 5-line block ×5, first 2 shown]
	v_add3_u32 v64, v64, v2, 0x7fff
	v_mul_f32_e32 v2, v54, v4
	v_mul_f32_e32 v4, v54, v20
	v_cndmask_b32_e64 v64, v64, v69, s5
	buffer_load_dword v69, off, s[0:3], s32 offset:256 ; 4-byte Folded Reload
	v_bfe_u32 v20, v2, 16, 1
	v_or_b32_e32 v54, 0x400000, v2
	v_cmp_u_f32_e64 s5, v2, v2
	v_add3_u32 v20, v20, v2, 0x7fff
	v_cndmask_b32_e64 v2, v20, v54, s5
	v_bfe_u32 v20, v4, 16, 1
	v_or_b32_e32 v54, 0x400000, v4
	v_cmp_u_f32_e64 s5, v4, v4
	v_add3_u32 v20, v20, v4, 0x7fff
	v_cndmask_b32_e64 v4, v20, v54, s5
	v_and_b32_e32 v20, 0xffff0000, v80
	v_and_b32_e32 v54, 0xffff0000, v126
	v_cmp_lt_i32_e64 s5, v39, v30
	buffer_load_dword v80, off, s[0:3], s32 offset:272 ; 4-byte Folded Reload
	s_waitcnt vmcnt(1)
	v_mul_f32_e32 v20, v69, v20
	buffer_load_dword v69, off, s[0:3], s32 offset:224 ; 4-byte Folded Reload
	s_waitcnt vmcnt(0)
	v_fmac_f32_e32 v20, v69, v54
	v_and_b32_e32 v54, 0xffff0000, v81
	v_and_b32_e32 v69, 0xffff0000, v109
	buffer_load_dword v81, off, s[0:3], s32 offset:280 ; 4-byte Folded Reload
	v_mul_f32_e32 v54, v71, v54
	buffer_load_dword v71, off, s[0:3], s32 offset:228 ; 4-byte Folded Reload
	s_waitcnt vmcnt(0)
	v_fmac_f32_e32 v54, v71, v69
	buffer_load_dword v71, off, s[0:3], s32 offset:264 ; 4-byte Folded Reload
	v_and_b32_e32 v69, 0xffff0000, v103
	s_waitcnt vmcnt(0)
	v_mul_f32_e32 v67, v71, v67
	buffer_load_dword v71, off, s[0:3], s32 offset:232 ; 4-byte Folded Reload
	s_waitcnt vmcnt(0)
	v_fmac_f32_e32 v67, v71, v69
	v_and_b32_e32 v71, 0xffff0000, v68
	buffer_load_dword v68, off, s[0:3], s32 offset:268 ; 4-byte Folded Reload
	v_and_b32_e32 v69, 0xffff0000, v83
	s_waitcnt vmcnt(0)
	v_mul_f32_e32 v68, v68, v69
	buffer_load_dword v69, off, s[0:3], s32 offset:236 ; 4-byte Folded Reload
	s_waitcnt vmcnt(0)
	v_fmac_f32_e32 v68, v69, v71
	v_and_b32_e32 v69, 0xffff0000, v84
	v_and_b32_e32 v71, 0xffff0000, v87
	v_mul_f32_e32 v69, v80, v69
	buffer_load_dword v80, off, s[0:3], s32 offset:240 ; 4-byte Folded Reload
	s_waitcnt vmcnt(0)
	v_fmac_f32_e32 v69, v80, v71
	v_and_b32_e32 v80, 0xffff0000, v70
	buffer_load_dword v70, off, s[0:3], s32 offset:276 ; 4-byte Folded Reload
	v_and_b32_e32 v71, 0xffff0000, v86
	s_waitcnt vmcnt(0)
	v_mul_f32_e32 v70, v70, v71
	buffer_load_dword v71, off, s[0:3], s32 offset:244 ; 4-byte Folded Reload
	s_waitcnt vmcnt(0)
	v_fmac_f32_e32 v70, v71, v80
	v_and_b32_e32 v71, 0xffff0000, v82
	v_and_b32_e32 v80, 0xffff0000, v127
	v_mul_f32_e32 v71, v81, v71
	buffer_load_dword v81, off, s[0:3], s32 offset:248 ; 4-byte Folded Reload
	s_waitcnt vmcnt(0)
	v_fmac_f32_e32 v71, v81, v80
	buffer_load_dword v81, off, s[0:3], s32 offset:284 ; 4-byte Folded Reload
	v_and_b32_e32 v80, 0xffff0000, v85
	s_waitcnt vmcnt(0)
	v_mul_f32_e32 v80, v81, v80
	buffer_load_dword v81, off, s[0:3], s32 offset:252 ; 4-byte Folded Reload
	s_waitcnt vmcnt(0)
	v_fmac_f32_e32 v80, v81, v49
	buffer_load_dword v81, off, s[0:3], s32 offset:288 ; 4-byte Folded Reload
	v_and_b32_e32 v49, 0xffff0000, v77
	s_waitcnt vmcnt(0)
	v_fmac_f32_e32 v20, v81, v49
	buffer_load_dword v81, off, s[0:3], s32 offset:292 ; 4-byte Folded Reload
	v_and_b32_e32 v49, 0xffff0000, v97
	;; [unrolled: 4-line block ×37, first 2 shown]
	s_waitcnt vmcnt(0)
	v_fmac_f32_e32 v69, v81, v49
	v_and_b32_e32 v49, 0xffff0000, v66
	buffer_load_dword v66, off, s[0:3], s32 offset:444 ; 4-byte Folded Reload
	s_waitcnt vmcnt(0)
	v_fmac_f32_e32 v70, v66, v49
	buffer_load_dword v49, off, s[0:3], s32 offset:448 ; 4-byte Folded Reload
	s_waitcnt vmcnt(0)
	v_fmac_f32_e32 v71, v49, v32
	buffer_load_dword v49, off, s[0:3], s32 offset:452 ; 4-byte Folded Reload
	v_and_b32_e32 v32, 0xffff0000, v63
	s_waitcnt vmcnt(0)
	v_fmac_f32_e32 v80, v49, v32
	buffer_load_dword v49, off, s[0:3], s32 offset:456 ; 4-byte Folded Reload
	v_and_b32_e32 v32, 0xffff0000, v92
	;; [unrolled: 4-line block ×22, first 2 shown]
	s_waitcnt vmcnt(0)
	v_fmac_f32_e32 v69, v49, v32
	buffer_load_dword v32, off, s[0:3], s32 offset:540 ; 4-byte Folded Reload
	s_waitcnt vmcnt(0)
	v_fmac_f32_e32 v70, v32, v31
	buffer_load_dword v32, off, s[0:3], s32 offset:544 ; 4-byte Folded Reload
	v_and_b32_e32 v31, 0xffff0000, v110
	s_waitcnt vmcnt(0)
	v_fmac_f32_e32 v71, v32, v31
	buffer_load_dword v32, off, s[0:3], s32 offset:548 ; 4-byte Folded Reload
	v_and_b32_e32 v31, 0xffff0000, v123
	;; [unrolled: 4-line block ×3, first 2 shown]
	s_waitcnt vmcnt(0)
	v_fmac_f32_e32 v20, v32, v31
	buffer_load_dword v31, off, s[0:3], s32 offset:556 ; 4-byte Folded Reload
	s_waitcnt vmcnt(0)
	v_fmac_f32_e32 v54, v31, v29
	buffer_load_dword v29, off, s[0:3], s32 offset:560 ; 4-byte Folded Reload
	;; [unrolled: 3-line block ×5, first 2 shown]
	v_and_b32_e32 v0, 0xffff0000, v5
	s_waitcnt vmcnt(0)
	v_fmac_f32_e32 v70, v1, v0
	buffer_load_dword v1, off, s[0:3], s32 offset:576 ; 4-byte Folded Reload
	v_and_b32_e32 v0, 0xffff0000, v28
	s_waitcnt vmcnt(0)
	v_fmac_f32_e32 v71, v1, v0
	buffer_load_dword v1, off, s[0:3], s32 offset:580 ; 4-byte Folded Reload
	;; [unrolled: 4-line block ×9, first 2 shown]
	v_and_b32_e32 v0, 0xffff0000, v3
	buffer_load_dword v3, off, s[0:3], s32 offset:660 ; 4-byte Folded Reload
	s_waitcnt vmcnt(1)
	v_fmac_f32_e32 v71, v1, v0
	buffer_load_dword v1, off, s[0:3], s32 offset:612 ; 4-byte Folded Reload
	v_and_b32_e32 v0, 0xffff0000, v7
	s_waitcnt vmcnt(0)
	v_fmac_f32_e32 v80, v1, v0
	buffer_load_dword v1, off, s[0:3], s32 offset:616 ; 4-byte Folded Reload
	v_and_b32_e32 v0, 0xffff0000, v36
	;; [unrolled: 4-line block ×12, first 2 shown]
	s_waitcnt vmcnt(0)
	v_fmac_f32_e32 v67, v1, v0
	v_and_b32_e32 v1, 0xffff0000, v18
	v_add_f32_e32 v0, v20, v54
	v_fmac_f32_e32 v68, v3, v1
	buffer_load_dword v3, off, s[0:3], s32 offset:664 ; 4-byte Folded Reload
	v_and_b32_e32 v1, 0xffff0000, v22
	v_add_f32_e32 v0, v0, v67
	v_add_f32_e32 v0, v68, v0
	s_waitcnt vmcnt(0)
	v_fmac_f32_e32 v69, v3, v1
	buffer_load_dword v3, off, s[0:3], s32 offset:668 ; 4-byte Folded Reload
	v_and_b32_e32 v1, 0xffff0000, v9
	v_add_f32_e32 v0, v69, v0
	s_waitcnt vmcnt(0)
	v_fmac_f32_e32 v70, v3, v1
	v_and_b32_e32 v1, 0xffff0000, v2
	buffer_load_dword v2, off, s[0:3], s32 offset:672 ; 4-byte Folded Reload
	v_add_f32_e32 v0, v70, v0
	s_waitcnt vmcnt(0)
	v_fmac_f32_e32 v71, v2, v1
	buffer_load_dword v2, off, s[0:3], s32 offset:676 ; 4-byte Folded Reload
	v_and_b32_e32 v1, 0xffff0000, v4
	v_add_f32_e32 v0, v71, v0
	s_waitcnt vmcnt(0)
	v_fmac_f32_e32 v80, v2, v1
	buffer_load_dword v2, off, s[0:3], s32 offset:208 ; 4-byte Folded Reload
	v_sub_nc_u32_e32 v1, 1, v30
	v_add_f32_e32 v0, v80, v0
	v_add_nc_u32_e32 v1, v1, v39
	v_add_nc_u32_e32 v39, 0x80, v39
	v_cvt_f32_i32_e32 v1, v1
	s_waitcnt vmcnt(0)
	v_mul_f32_e32 v1, v2, v1
	buffer_load_dword v2, off, s[0:3], s32 offset:220 ; 4-byte Folded Reload
	v_cndmask_b32_e32 v1, 0, v1, vcc_lo
	s_waitcnt vmcnt(0)
	v_fmac_f32_e32 v1, v2, v0
	v_max_f32_e32 v0, v37, v37
	v_max_f32_e32 v0, v0, v1
	v_cndmask_b32_e64 v1, 0, v1, s5
	v_cndmask_b32_e64 v37, v37, v0, s5
	buffer_load_dword v0, off, s[0:3], s32 offset:192 ; 4-byte Folded Reload
	ds_write_b32 v38, v1
	v_add_nc_u32_e32 v38, 0x200, v38
	s_waitcnt vmcnt(0)
	v_cmp_ge_i32_e64 s5, v53, v0
	s_or_b32 s17, s5, s17
	s_andn2_b32 exec_lo, exec_lo, s17
	s_cbranch_execz .LBB364_903
.LBB364_10:                             ; =>This Inner Loop Header: Depth=1
	flat_load_dword v0, v[14:15]
	s_clause 0x2
	buffer_load_dword v1, off, s[0:3], s32 offset:312
	buffer_load_dword v2, off, s[0:3], s32 offset:680
	;; [unrolled: 1-line block ×3, first 2 shown]
	s_waitcnt vmcnt(0) lgkmcnt(0)
	v_mad_i64_i32 v[16:17], null, v0, v1, v[2:3]
	flat_load_dwordx2 v[24:25], v[16:17]
	s_clause 0x1
	buffer_load_dword v0, off, s[0:3], s32 offset:212
	buffer_load_dword v1, off, s[0:3], s32 offset:216
	s_waitcnt vmcnt(2) lgkmcnt(0)
	v_cmp_ne_u16_sdwa s5, v24, v13 src0_sel:BYTE_0 src1_sel:DWORD
	s_waitcnt vmcnt(0)
	flat_load_dword v54, v[0:1]
	v_mov_b32_e32 v0, 0
	buffer_store_dword v0, off, s[0:3], s32 offset:196 ; 4-byte Folded Spill
	s_and_saveexec_b32 s6, s5
	s_cbranch_execz .LBB364_18
; %bb.11:                               ;   in Loop: Header=BB364_10 Depth=1
	v_cmp_ne_u16_sdwa s5, v24, v48 src0_sel:BYTE_0 src1_sel:DWORD
	v_bfrev_b32_e32 v0, 1
	buffer_store_dword v0, off, s[0:3], s32 offset:196 ; 4-byte Folded Spill
	s_and_saveexec_b32 s18, s5
	s_cbranch_execz .LBB364_17
; %bb.12:                               ;   in Loop: Header=BB364_10 Depth=1
	v_and_b32_e32 v1, 0x7f, v24
	v_mov_b32_e32 v0, 0x7f800001
	s_mov_b32 s19, exec_lo
	buffer_store_dword v0, off, s[0:3], s32 offset:196 ; 4-byte Folded Spill
	v_cmpx_ne_u32_e32 0x7f, v1
	s_cbranch_execz .LBB364_16
; %bb.13:                               ;   in Loop: Header=BB364_10 Depth=1
	v_mov_b32_e32 v27, v25
	v_lshrrev_b32_e32 v0, 3, v1
	v_mov_b32_e32 v26, v24
	s_mov_b32 s20, exec_lo
	v_cmpx_gt_u32_e32 8, v1
; %bb.14:                               ;   in Loop: Header=BB364_10 Depth=1
	v_and_b32_e32 v0, 7, v24
	v_ffbh_u32_e32 v0, v0
	v_min_u32_e32 v0, 32, v0
	v_subrev_nc_u32_e32 v1, 28, v0
	v_sub_nc_u32_e32 v0, 29, v0
	v_lshlrev_b64 v[26:27], v1, v[24:25]
; %bb.15:                               ;   in Loop: Header=BB364_10 Depth=1
	s_or_b32 exec_lo, exec_lo, s20
	v_lshlrev_b32_e32 v1, 20, v26
	v_lshlrev_b32_e32 v2, 24, v24
	v_lshl_add_u32 v0, v0, 23, 0x3c000000
	v_and_b32_e32 v1, 0x700000, v1
	v_and_b32_e32 v2, 0x80000000, v2
	v_or3_b32 v0, v1, v2, v0
	buffer_store_dword v0, off, s[0:3], s32 offset:196 ; 4-byte Folded Spill
.LBB364_16:                             ;   in Loop: Header=BB364_10 Depth=1
	s_or_b32 exec_lo, exec_lo, s19
.LBB364_17:                             ;   in Loop: Header=BB364_10 Depth=1
	s_or_b32 exec_lo, exec_lo, s18
.LBB364_18:                             ;   in Loop: Header=BB364_10 Depth=1
	s_or_b32 exec_lo, exec_lo, s6
	v_cmp_ne_u16_sdwa s5, v24, v13 src0_sel:BYTE_1 src1_sel:DWORD
	v_mov_b32_e32 v0, 0
	v_mov_b32_e32 v49, 0
	buffer_store_dword v0, off, s[0:3], s32 offset:200 ; 4-byte Folded Spill
	s_and_saveexec_b32 s6, s5
	s_cbranch_execz .LBB364_26
; %bb.19:                               ;   in Loop: Header=BB364_10 Depth=1
	v_cmp_ne_u16_sdwa s5, v24, v48 src0_sel:BYTE_1 src1_sel:DWORD
	v_bfrev_b32_e32 v49, 1
	s_and_saveexec_b32 s18, s5
	s_cbranch_execz .LBB364_25
; %bb.20:                               ;   in Loop: Header=BB364_10 Depth=1
	v_mov_b32_e32 v0, 0xffff
	v_mov_b32_e32 v49, 0x7f800001
	s_mov_b32 s19, exec_lo
	v_and_b32_sdwa v0, v0, v24 dst_sel:DWORD dst_unused:UNUSED_PAD src0_sel:DWORD src1_sel:BYTE_1
	v_and_b32_e32 v1, 0x7f, v0
	v_cmpx_ne_u32_e32 0x7f, v1
	s_cbranch_execz .LBB364_24
; %bb.21:                               ;   in Loop: Header=BB364_10 Depth=1
	v_and_b32_e32 v12, 7, v0
	v_lshrrev_b32_e32 v0, 3, v1
	s_mov_b32 s20, exec_lo
	v_cmpx_gt_u32_e32 8, v1
; %bb.22:                               ;   in Loop: Header=BB364_10 Depth=1
	v_ffbh_u32_e32 v0, v12
	v_min_u32_e32 v0, 32, v0
	v_subrev_nc_u32_e32 v1, 28, v0
	v_sub_nc_u32_e32 v0, 29, v0
	v_lshlrev_b64 v[1:2], v1, v[12:13]
	v_and_b32_e32 v12, 7, v1
; %bb.23:                               ;   in Loop: Header=BB364_10 Depth=1
	s_or_b32 exec_lo, exec_lo, s20
	v_lshlrev_b32_e32 v1, 16, v24
	v_lshlrev_b32_e32 v2, 20, v12
	v_lshl_add_u32 v0, v0, 23, 0x3c000000
	v_and_b32_e32 v1, 0x80000000, v1
	v_or3_b32 v49, v2, v1, v0
.LBB364_24:                             ;   in Loop: Header=BB364_10 Depth=1
	s_or_b32 exec_lo, exec_lo, s19
.LBB364_25:                             ;   in Loop: Header=BB364_10 Depth=1
	s_or_b32 exec_lo, exec_lo, s18
.LBB364_26:                             ;   in Loop: Header=BB364_10 Depth=1
	s_or_b32 exec_lo, exec_lo, s6
	v_and_b32_sdwa v0, v24, v50 dst_sel:DWORD dst_unused:UNUSED_PAD src0_sel:WORD_1 src1_sel:DWORD
	s_mov_b32 s6, exec_lo
	v_cmpx_ne_u16_e32 0, v0
	s_cbranch_execz .LBB364_34
; %bb.27:                               ;   in Loop: Header=BB364_10 Depth=1
	v_cmp_ne_u16_e64 s5, 0x80, v0
	v_bfrev_b32_e32 v0, 1
	buffer_store_dword v0, off, s[0:3], s32 offset:200 ; 4-byte Folded Spill
	s_and_saveexec_b32 s18, s5
	s_cbranch_execz .LBB364_33
; %bb.28:                               ;   in Loop: Header=BB364_10 Depth=1
	v_bfe_u32 v1, v24, 16, 7
	v_mov_b32_e32 v0, 0x7f800001
	s_mov_b32 s19, exec_lo
	buffer_store_dword v0, off, s[0:3], s32 offset:200 ; 4-byte Folded Spill
	v_cmpx_ne_u32_e32 0x7f, v1
	s_cbranch_execz .LBB364_32
; %bb.29:                               ;   in Loop: Header=BB364_10 Depth=1
	v_and_b32_sdwa v12, v24, v51 dst_sel:DWORD dst_unused:UNUSED_PAD src0_sel:WORD_1 src1_sel:DWORD
	v_lshrrev_b32_e32 v0, 3, v1
	s_mov_b32 s20, exec_lo
	v_cmpx_gt_u32_e32 8, v1
; %bb.30:                               ;   in Loop: Header=BB364_10 Depth=1
	v_ffbh_u32_e32 v0, v12
	v_min_u32_e32 v0, 32, v0
	v_subrev_nc_u32_e32 v1, 28, v0
	v_sub_nc_u32_e32 v0, 29, v0
	v_lshlrev_b64 v[1:2], v1, v[12:13]
	v_and_b32_e32 v12, 7, v1
; %bb.31:                               ;   in Loop: Header=BB364_10 Depth=1
	s_or_b32 exec_lo, exec_lo, s20
	v_lshlrev_b32_sdwa v1, v52, v24 dst_sel:DWORD dst_unused:UNUSED_PAD src0_sel:DWORD src1_sel:WORD_1
	v_lshlrev_b32_e32 v2, 20, v12
	v_lshl_add_u32 v0, v0, 23, 0x3c000000
	v_and_b32_e32 v1, 0x80000000, v1
	v_or3_b32 v0, v2, v1, v0
	buffer_store_dword v0, off, s[0:3], s32 offset:200 ; 4-byte Folded Spill
.LBB364_32:                             ;   in Loop: Header=BB364_10 Depth=1
	s_or_b32 exec_lo, exec_lo, s19
.LBB364_33:                             ;   in Loop: Header=BB364_10 Depth=1
	s_or_b32 exec_lo, exec_lo, s18
.LBB364_34:                             ;   in Loop: Header=BB364_10 Depth=1
	s_or_b32 exec_lo, exec_lo, s6
	v_mov_b32_e32 v68, 0
	v_mov_b32_e32 v0, 0
	s_mov_b32 s6, exec_lo
	buffer_store_dword v0, off, s[0:3], s32 offset:204 ; 4-byte Folded Spill
	v_cmpx_lt_u32_e32 0xffffff, v24
	s_cbranch_execz .LBB364_42
; %bb.35:                               ;   in Loop: Header=BB364_10 Depth=1
	v_cmp_ne_u32_sdwa s5, v24, v48 src0_sel:BYTE_3 src1_sel:DWORD
	v_bfrev_b32_e32 v0, 1
	buffer_store_dword v0, off, s[0:3], s32 offset:204 ; 4-byte Folded Spill
	s_and_saveexec_b32 s18, s5
	s_cbranch_execz .LBB364_41
; %bb.36:                               ;   in Loop: Header=BB364_10 Depth=1
	v_bfe_u32 v1, v24, 24, 7
	v_mov_b32_e32 v0, 0x7f800001
	s_mov_b32 s19, exec_lo
	buffer_store_dword v0, off, s[0:3], s32 offset:204 ; 4-byte Folded Spill
	v_cmpx_ne_u32_e32 0x7f, v1
	s_cbranch_execz .LBB364_40
; %bb.37:                               ;   in Loop: Header=BB364_10 Depth=1
	v_and_b32_sdwa v12, v24, v51 dst_sel:DWORD dst_unused:UNUSED_PAD src0_sel:BYTE_3 src1_sel:DWORD
	v_lshrrev_b32_e32 v0, 3, v1
	s_mov_b32 s20, exec_lo
	v_cmpx_gt_u32_e32 8, v1
; %bb.38:                               ;   in Loop: Header=BB364_10 Depth=1
	v_ffbh_u32_e32 v0, v12
	v_min_u32_e32 v0, 32, v0
	v_subrev_nc_u32_e32 v1, 28, v0
	v_sub_nc_u32_e32 v0, 29, v0
	v_lshlrev_b64 v[1:2], v1, v[12:13]
	v_and_b32_e32 v12, 7, v1
; %bb.39:                               ;   in Loop: Header=BB364_10 Depth=1
	s_or_b32 exec_lo, exec_lo, s20
	v_lshlrev_b32_sdwa v1, v52, v24 dst_sel:DWORD dst_unused:UNUSED_PAD src0_sel:DWORD src1_sel:BYTE_3
	v_lshlrev_b32_e32 v2, 20, v12
	v_lshl_add_u32 v0, v0, 23, 0x3c000000
	v_and_b32_e32 v1, 0x80000000, v1
	v_or3_b32 v0, v2, v1, v0
	buffer_store_dword v0, off, s[0:3], s32 offset:204 ; 4-byte Folded Spill
.LBB364_40:                             ;   in Loop: Header=BB364_10 Depth=1
	s_or_b32 exec_lo, exec_lo, s19
.LBB364_41:                             ;   in Loop: Header=BB364_10 Depth=1
	s_or_b32 exec_lo, exec_lo, s18
.LBB364_42:                             ;   in Loop: Header=BB364_10 Depth=1
	s_or_b32 exec_lo, exec_lo, s6
	v_mov_b32_e32 v12, v25
	v_cmp_ne_u16_sdwa s5, v25, v13 src0_sel:BYTE_0 src1_sel:DWORD
	s_and_saveexec_b32 s6, s5
	s_cbranch_execz .LBB364_50
; %bb.43:                               ;   in Loop: Header=BB364_10 Depth=1
	v_cmp_ne_u16_sdwa s5, v25, v48 src0_sel:BYTE_0 src1_sel:DWORD
	v_bfrev_b32_e32 v68, 1
	s_and_saveexec_b32 s18, s5
	s_cbranch_execz .LBB364_49
; %bb.44:                               ;   in Loop: Header=BB364_10 Depth=1
	v_and_b32_e32 v1, 0x7f, v25
	v_mov_b32_e32 v68, 0x7f800001
	s_mov_b32 s19, exec_lo
	v_cmpx_ne_u32_e32 0x7f, v1
	s_cbranch_execz .LBB364_48
; %bb.45:                               ;   in Loop: Header=BB364_10 Depth=1
	v_mov_b32_e32 v27, v13
	v_lshrrev_b32_e32 v0, 3, v1
	v_mov_b32_e32 v26, v12
	s_mov_b32 s20, exec_lo
	v_cmpx_gt_u32_e32 8, v1
; %bb.46:                               ;   in Loop: Header=BB364_10 Depth=1
	v_and_b32_e32 v0, 7, v25
	v_ffbh_u32_e32 v0, v0
	v_min_u32_e32 v0, 32, v0
	v_subrev_nc_u32_e32 v1, 28, v0
	v_sub_nc_u32_e32 v0, 29, v0
	v_lshlrev_b64 v[26:27], v1, v[12:13]
; %bb.47:                               ;   in Loop: Header=BB364_10 Depth=1
	s_or_b32 exec_lo, exec_lo, s20
	v_lshlrev_b32_e32 v1, 20, v26
	v_lshlrev_b32_e32 v2, 24, v12
	v_lshl_add_u32 v0, v0, 23, 0x3c000000
	v_and_b32_e32 v1, 0x700000, v1
	v_and_b32_e32 v2, 0x80000000, v2
	v_or3_b32 v68, v1, v2, v0
.LBB364_48:                             ;   in Loop: Header=BB364_10 Depth=1
	s_or_b32 exec_lo, exec_lo, s19
.LBB364_49:                             ;   in Loop: Header=BB364_10 Depth=1
	s_or_b32 exec_lo, exec_lo, s18
.LBB364_50:                             ;   in Loop: Header=BB364_10 Depth=1
	s_or_b32 exec_lo, exec_lo, s6
	v_cmp_ne_u16_sdwa s5, v12, v13 src0_sel:BYTE_1 src1_sel:DWORD
	v_mov_b32_e32 v69, 0
	v_mov_b32_e32 v70, 0
	s_and_saveexec_b32 s6, s5
	s_cbranch_execz .LBB364_58
; %bb.51:                               ;   in Loop: Header=BB364_10 Depth=1
	v_cmp_ne_u16_sdwa s5, v12, v48 src0_sel:BYTE_1 src1_sel:DWORD
	v_bfrev_b32_e32 v70, 1
	s_and_saveexec_b32 s18, s5
	s_cbranch_execz .LBB364_57
; %bb.52:                               ;   in Loop: Header=BB364_10 Depth=1
	v_mov_b32_e32 v0, 0xffff
	v_mov_b32_e32 v70, 0x7f800001
	s_mov_b32 s19, exec_lo
	v_and_b32_sdwa v0, v0, v12 dst_sel:DWORD dst_unused:UNUSED_PAD src0_sel:DWORD src1_sel:BYTE_1
	v_and_b32_e32 v1, 0x7f, v0
	v_cmpx_ne_u32_e32 0x7f, v1
	s_cbranch_execz .LBB364_56
; %bb.53:                               ;   in Loop: Header=BB364_10 Depth=1
	v_and_b32_e32 v26, 7, v0
	v_mov_b32_e32 v27, v13
	v_lshrrev_b32_e32 v0, 3, v1
	s_mov_b32 s20, exec_lo
	v_cmpx_gt_u32_e32 8, v1
; %bb.54:                               ;   in Loop: Header=BB364_10 Depth=1
	v_ffbh_u32_e32 v0, v26
	v_min_u32_e32 v0, 32, v0
	v_subrev_nc_u32_e32 v1, 28, v0
	v_sub_nc_u32_e32 v0, 29, v0
	v_lshlrev_b64 v[1:2], v1, v[26:27]
	v_and_b32_e32 v26, 7, v1
; %bb.55:                               ;   in Loop: Header=BB364_10 Depth=1
	s_or_b32 exec_lo, exec_lo, s20
	v_lshlrev_b32_e32 v1, 16, v12
	v_lshlrev_b32_e32 v2, 20, v26
	v_lshl_add_u32 v0, v0, 23, 0x3c000000
	v_and_b32_e32 v1, 0x80000000, v1
	v_or3_b32 v70, v2, v1, v0
.LBB364_56:                             ;   in Loop: Header=BB364_10 Depth=1
	s_or_b32 exec_lo, exec_lo, s19
.LBB364_57:                             ;   in Loop: Header=BB364_10 Depth=1
	s_or_b32 exec_lo, exec_lo, s18
.LBB364_58:                             ;   in Loop: Header=BB364_10 Depth=1
	s_or_b32 exec_lo, exec_lo, s6
	v_and_b32_sdwa v0, v25, v50 dst_sel:DWORD dst_unused:UNUSED_PAD src0_sel:WORD_1 src1_sel:DWORD
	s_mov_b32 s6, exec_lo
	v_cmpx_ne_u16_e32 0, v0
	s_cbranch_execz .LBB364_66
; %bb.59:                               ;   in Loop: Header=BB364_10 Depth=1
	v_bfrev_b32_e32 v69, 1
	s_mov_b32 s18, exec_lo
	v_cmpx_ne_u16_e32 0x80, v0
	s_cbranch_execz .LBB364_65
; %bb.60:                               ;   in Loop: Header=BB364_10 Depth=1
	v_bfe_u32 v1, v25, 16, 7
	v_mov_b32_e32 v69, 0x7f800001
	s_mov_b32 s19, exec_lo
	v_cmpx_ne_u32_e32 0x7f, v1
	s_cbranch_execz .LBB364_64
; %bb.61:                               ;   in Loop: Header=BB364_10 Depth=1
	v_and_b32_sdwa v12, v25, v51 dst_sel:DWORD dst_unused:UNUSED_PAD src0_sel:WORD_1 src1_sel:DWORD
	v_mov_b32_e32 v27, v13
	v_lshrrev_b32_e32 v0, 3, v1
	s_mov_b32 s20, exec_lo
	v_mov_b32_e32 v26, v12
	v_cmpx_gt_u32_e32 8, v1
; %bb.62:                               ;   in Loop: Header=BB364_10 Depth=1
	v_ffbh_u32_e32 v0, v12
	v_min_u32_e32 v0, 32, v0
	v_subrev_nc_u32_e32 v1, 28, v0
	v_sub_nc_u32_e32 v0, 29, v0
	v_lshlrev_b64 v[1:2], v1, v[12:13]
	v_and_b32_e32 v26, 7, v1
; %bb.63:                               ;   in Loop: Header=BB364_10 Depth=1
	s_or_b32 exec_lo, exec_lo, s20
	v_lshlrev_b32_sdwa v1, v52, v25 dst_sel:DWORD dst_unused:UNUSED_PAD src0_sel:DWORD src1_sel:WORD_1
	v_lshlrev_b32_e32 v2, 20, v26
	v_lshl_add_u32 v0, v0, 23, 0x3c000000
	v_and_b32_e32 v1, 0x80000000, v1
	v_or3_b32 v69, v2, v1, v0
.LBB364_64:                             ;   in Loop: Header=BB364_10 Depth=1
	s_or_b32 exec_lo, exec_lo, s19
.LBB364_65:                             ;   in Loop: Header=BB364_10 Depth=1
	s_or_b32 exec_lo, exec_lo, s18
.LBB364_66:                             ;   in Loop: Header=BB364_10 Depth=1
	s_or_b32 exec_lo, exec_lo, s6
	v_mov_b32_e32 v80, 0
	v_mov_b32_e32 v71, 0
	s_mov_b32 s6, exec_lo
	v_cmpx_lt_u64_e64 s[8:9], v[24:25]
	s_cbranch_execz .LBB364_74
; %bb.67:                               ;   in Loop: Header=BB364_10 Depth=1
	v_cmp_ne_u32_sdwa s5, v25, v48 src0_sel:BYTE_3 src1_sel:DWORD
	v_bfrev_b32_e32 v71, 1
	s_and_saveexec_b32 s18, s5
	s_cbranch_execz .LBB364_73
; %bb.68:                               ;   in Loop: Header=BB364_10 Depth=1
	v_bfe_u32 v1, v25, 24, 7
	v_mov_b32_e32 v71, 0x7f800001
	s_mov_b32 s19, exec_lo
	v_cmpx_ne_u32_e32 0x7f, v1
	s_cbranch_execz .LBB364_72
; %bb.69:                               ;   in Loop: Header=BB364_10 Depth=1
	v_and_b32_sdwa v12, v25, v51 dst_sel:DWORD dst_unused:UNUSED_PAD src0_sel:BYTE_3 src1_sel:DWORD
	v_mov_b32_e32 v27, v13
	v_lshrrev_b32_e32 v0, 3, v1
	s_mov_b32 s20, exec_lo
	v_mov_b32_e32 v26, v12
	v_cmpx_gt_u32_e32 8, v1
; %bb.70:                               ;   in Loop: Header=BB364_10 Depth=1
	v_ffbh_u32_e32 v0, v12
	v_min_u32_e32 v0, 32, v0
	v_subrev_nc_u32_e32 v1, 28, v0
	v_sub_nc_u32_e32 v0, 29, v0
	v_lshlrev_b64 v[1:2], v1, v[12:13]
	v_and_b32_e32 v26, 7, v1
; %bb.71:                               ;   in Loop: Header=BB364_10 Depth=1
	s_or_b32 exec_lo, exec_lo, s20
	v_lshlrev_b32_sdwa v1, v52, v25 dst_sel:DWORD dst_unused:UNUSED_PAD src0_sel:DWORD src1_sel:BYTE_3
	v_lshlrev_b32_e32 v2, 20, v26
	v_lshl_add_u32 v0, v0, 23, 0x3c000000
	v_and_b32_e32 v1, 0x80000000, v1
	v_or3_b32 v71, v2, v1, v0
.LBB364_72:                             ;   in Loop: Header=BB364_10 Depth=1
	s_or_b32 exec_lo, exec_lo, s19
.LBB364_73:                             ;   in Loop: Header=BB364_10 Depth=1
	s_or_b32 exec_lo, exec_lo, s18
.LBB364_74:                             ;   in Loop: Header=BB364_10 Depth=1
	s_or_b32 exec_lo, exec_lo, s6
	flat_load_dwordx2 v[24:25], v[16:17] offset:8
	s_waitcnt vmcnt(0) lgkmcnt(0)
	v_cmp_ne_u16_sdwa s5, v24, v13 src0_sel:BYTE_0 src1_sel:DWORD
	s_and_saveexec_b32 s6, s5
	s_cbranch_execz .LBB364_82
; %bb.75:                               ;   in Loop: Header=BB364_10 Depth=1
	v_cmp_ne_u16_sdwa s5, v24, v48 src0_sel:BYTE_0 src1_sel:DWORD
	v_bfrev_b32_e32 v80, 1
	s_and_saveexec_b32 s18, s5
	s_cbranch_execz .LBB364_81
; %bb.76:                               ;   in Loop: Header=BB364_10 Depth=1
	v_and_b32_e32 v1, 0x7f, v24
	v_mov_b32_e32 v80, 0x7f800001
	s_mov_b32 s19, exec_lo
	v_cmpx_ne_u32_e32 0x7f, v1
	s_cbranch_execz .LBB364_80
; %bb.77:                               ;   in Loop: Header=BB364_10 Depth=1
	v_mov_b32_e32 v27, v25
	v_lshrrev_b32_e32 v0, 3, v1
	v_mov_b32_e32 v26, v24
	s_mov_b32 s20, exec_lo
	v_cmpx_gt_u32_e32 8, v1
; %bb.78:                               ;   in Loop: Header=BB364_10 Depth=1
	v_and_b32_e32 v0, 7, v24
	v_ffbh_u32_e32 v0, v0
	v_min_u32_e32 v0, 32, v0
	v_subrev_nc_u32_e32 v1, 28, v0
	v_sub_nc_u32_e32 v0, 29, v0
	v_lshlrev_b64 v[26:27], v1, v[24:25]
; %bb.79:                               ;   in Loop: Header=BB364_10 Depth=1
	s_or_b32 exec_lo, exec_lo, s20
	v_lshlrev_b32_e32 v1, 20, v26
	v_lshlrev_b32_e32 v2, 24, v24
	v_lshl_add_u32 v0, v0, 23, 0x3c000000
	v_and_b32_e32 v1, 0x700000, v1
	v_and_b32_e32 v2, 0x80000000, v2
	v_or3_b32 v80, v1, v2, v0
.LBB364_80:                             ;   in Loop: Header=BB364_10 Depth=1
	s_or_b32 exec_lo, exec_lo, s19
.LBB364_81:                             ;   in Loop: Header=BB364_10 Depth=1
	s_or_b32 exec_lo, exec_lo, s18
.LBB364_82:                             ;   in Loop: Header=BB364_10 Depth=1
	s_or_b32 exec_lo, exec_lo, s6
	v_cmp_ne_u16_sdwa s5, v24, v13 src0_sel:BYTE_1 src1_sel:DWORD
	v_mov_b32_e32 v82, 0
	v_mov_b32_e32 v81, 0
	s_and_saveexec_b32 s6, s5
	s_cbranch_execz .LBB364_90
; %bb.83:                               ;   in Loop: Header=BB364_10 Depth=1
	v_cmp_ne_u16_sdwa s5, v24, v48 src0_sel:BYTE_1 src1_sel:DWORD
	v_bfrev_b32_e32 v81, 1
	s_and_saveexec_b32 s18, s5
	s_cbranch_execz .LBB364_89
; %bb.84:                               ;   in Loop: Header=BB364_10 Depth=1
	v_mov_b32_e32 v0, 0xffff
	v_mov_b32_e32 v81, 0x7f800001
	s_mov_b32 s19, exec_lo
	v_and_b32_sdwa v0, v0, v24 dst_sel:DWORD dst_unused:UNUSED_PAD src0_sel:DWORD src1_sel:BYTE_1
	v_and_b32_e32 v1, 0x7f, v0
	v_cmpx_ne_u32_e32 0x7f, v1
	s_cbranch_execz .LBB364_88
; %bb.85:                               ;   in Loop: Header=BB364_10 Depth=1
	v_and_b32_e32 v12, 7, v0
	v_mov_b32_e32 v27, v13
	v_lshrrev_b32_e32 v0, 3, v1
	s_mov_b32 s20, exec_lo
	v_mov_b32_e32 v26, v12
	v_cmpx_gt_u32_e32 8, v1
; %bb.86:                               ;   in Loop: Header=BB364_10 Depth=1
	v_ffbh_u32_e32 v0, v12
	v_min_u32_e32 v0, 32, v0
	v_subrev_nc_u32_e32 v1, 28, v0
	v_sub_nc_u32_e32 v0, 29, v0
	v_lshlrev_b64 v[1:2], v1, v[12:13]
	v_and_b32_e32 v26, 7, v1
; %bb.87:                               ;   in Loop: Header=BB364_10 Depth=1
	s_or_b32 exec_lo, exec_lo, s20
	v_lshlrev_b32_e32 v1, 16, v24
	v_lshlrev_b32_e32 v2, 20, v26
	v_lshl_add_u32 v0, v0, 23, 0x3c000000
	v_and_b32_e32 v1, 0x80000000, v1
	v_or3_b32 v81, v2, v1, v0
.LBB364_88:                             ;   in Loop: Header=BB364_10 Depth=1
	s_or_b32 exec_lo, exec_lo, s19
.LBB364_89:                             ;   in Loop: Header=BB364_10 Depth=1
	s_or_b32 exec_lo, exec_lo, s18
.LBB364_90:                             ;   in Loop: Header=BB364_10 Depth=1
	s_or_b32 exec_lo, exec_lo, s6
	v_and_b32_sdwa v0, v24, v50 dst_sel:DWORD dst_unused:UNUSED_PAD src0_sel:WORD_1 src1_sel:DWORD
	s_mov_b32 s6, exec_lo
	v_cmpx_ne_u16_e32 0, v0
	s_cbranch_execz .LBB364_98
; %bb.91:                               ;   in Loop: Header=BB364_10 Depth=1
	v_bfrev_b32_e32 v82, 1
	s_mov_b32 s18, exec_lo
	v_cmpx_ne_u16_e32 0x80, v0
	s_cbranch_execz .LBB364_97
; %bb.92:                               ;   in Loop: Header=BB364_10 Depth=1
	v_bfe_u32 v1, v24, 16, 7
	v_mov_b32_e32 v82, 0x7f800001
	s_mov_b32 s19, exec_lo
	v_cmpx_ne_u32_e32 0x7f, v1
	s_cbranch_execz .LBB364_96
; %bb.93:                               ;   in Loop: Header=BB364_10 Depth=1
	v_and_b32_sdwa v12, v24, v51 dst_sel:DWORD dst_unused:UNUSED_PAD src0_sel:WORD_1 src1_sel:DWORD
	v_mov_b32_e32 v27, v13
	v_lshrrev_b32_e32 v0, 3, v1
	s_mov_b32 s20, exec_lo
	v_mov_b32_e32 v26, v12
	v_cmpx_gt_u32_e32 8, v1
; %bb.94:                               ;   in Loop: Header=BB364_10 Depth=1
	v_ffbh_u32_e32 v0, v12
	v_min_u32_e32 v0, 32, v0
	v_subrev_nc_u32_e32 v1, 28, v0
	v_sub_nc_u32_e32 v0, 29, v0
	v_lshlrev_b64 v[1:2], v1, v[12:13]
	v_and_b32_e32 v26, 7, v1
; %bb.95:                               ;   in Loop: Header=BB364_10 Depth=1
	s_or_b32 exec_lo, exec_lo, s20
	v_lshlrev_b32_sdwa v1, v52, v24 dst_sel:DWORD dst_unused:UNUSED_PAD src0_sel:DWORD src1_sel:WORD_1
	v_lshlrev_b32_e32 v2, 20, v26
	v_lshl_add_u32 v0, v0, 23, 0x3c000000
	v_and_b32_e32 v1, 0x80000000, v1
	v_or3_b32 v82, v2, v1, v0
.LBB364_96:                             ;   in Loop: Header=BB364_10 Depth=1
	s_or_b32 exec_lo, exec_lo, s19
.LBB364_97:                             ;   in Loop: Header=BB364_10 Depth=1
	s_or_b32 exec_lo, exec_lo, s18
.LBB364_98:                             ;   in Loop: Header=BB364_10 Depth=1
	s_or_b32 exec_lo, exec_lo, s6
	v_mov_b32_e32 v84, 0
	v_mov_b32_e32 v83, 0
	s_mov_b32 s6, exec_lo
	v_cmpx_lt_u32_e32 0xffffff, v24
	s_cbranch_execz .LBB364_106
; %bb.99:                               ;   in Loop: Header=BB364_10 Depth=1
	v_cmp_ne_u32_sdwa s5, v24, v48 src0_sel:BYTE_3 src1_sel:DWORD
	v_bfrev_b32_e32 v83, 1
	s_and_saveexec_b32 s18, s5
	s_cbranch_execz .LBB364_105
; %bb.100:                              ;   in Loop: Header=BB364_10 Depth=1
	v_bfe_u32 v1, v24, 24, 7
	v_mov_b32_e32 v83, 0x7f800001
	s_mov_b32 s19, exec_lo
	v_cmpx_ne_u32_e32 0x7f, v1
	s_cbranch_execz .LBB364_104
; %bb.101:                              ;   in Loop: Header=BB364_10 Depth=1
	v_and_b32_sdwa v12, v24, v51 dst_sel:DWORD dst_unused:UNUSED_PAD src0_sel:BYTE_3 src1_sel:DWORD
	v_mov_b32_e32 v27, v13
	v_lshrrev_b32_e32 v0, 3, v1
	s_mov_b32 s20, exec_lo
	v_mov_b32_e32 v26, v12
	v_cmpx_gt_u32_e32 8, v1
; %bb.102:                              ;   in Loop: Header=BB364_10 Depth=1
	v_ffbh_u32_e32 v0, v12
	v_min_u32_e32 v0, 32, v0
	v_subrev_nc_u32_e32 v1, 28, v0
	v_sub_nc_u32_e32 v0, 29, v0
	v_lshlrev_b64 v[1:2], v1, v[12:13]
	v_and_b32_e32 v26, 7, v1
; %bb.103:                              ;   in Loop: Header=BB364_10 Depth=1
	s_or_b32 exec_lo, exec_lo, s20
	v_lshlrev_b32_sdwa v1, v52, v24 dst_sel:DWORD dst_unused:UNUSED_PAD src0_sel:DWORD src1_sel:BYTE_3
	v_lshlrev_b32_e32 v2, 20, v26
	v_lshl_add_u32 v0, v0, 23, 0x3c000000
	v_and_b32_e32 v1, 0x80000000, v1
	v_or3_b32 v83, v2, v1, v0
.LBB364_104:                            ;   in Loop: Header=BB364_10 Depth=1
	s_or_b32 exec_lo, exec_lo, s19
.LBB364_105:                            ;   in Loop: Header=BB364_10 Depth=1
	s_or_b32 exec_lo, exec_lo, s18
.LBB364_106:                            ;   in Loop: Header=BB364_10 Depth=1
	s_or_b32 exec_lo, exec_lo, s6
	v_mov_b32_e32 v12, v25
	v_cmp_ne_u16_sdwa s5, v25, v13 src0_sel:BYTE_0 src1_sel:DWORD
	s_and_saveexec_b32 s6, s5
	s_cbranch_execz .LBB364_114
; %bb.107:                              ;   in Loop: Header=BB364_10 Depth=1
	v_cmp_ne_u16_sdwa s5, v25, v48 src0_sel:BYTE_0 src1_sel:DWORD
	v_bfrev_b32_e32 v84, 1
	s_and_saveexec_b32 s18, s5
	s_cbranch_execz .LBB364_113
; %bb.108:                              ;   in Loop: Header=BB364_10 Depth=1
	v_and_b32_e32 v1, 0x7f, v25
	v_mov_b32_e32 v84, 0x7f800001
	s_mov_b32 s19, exec_lo
	v_cmpx_ne_u32_e32 0x7f, v1
	s_cbranch_execz .LBB364_112
; %bb.109:                              ;   in Loop: Header=BB364_10 Depth=1
	v_mov_b32_e32 v27, v13
	v_lshrrev_b32_e32 v0, 3, v1
	v_mov_b32_e32 v26, v12
	s_mov_b32 s20, exec_lo
	v_cmpx_gt_u32_e32 8, v1
; %bb.110:                              ;   in Loop: Header=BB364_10 Depth=1
	v_and_b32_e32 v0, 7, v25
	v_ffbh_u32_e32 v0, v0
	v_min_u32_e32 v0, 32, v0
	v_subrev_nc_u32_e32 v1, 28, v0
	v_sub_nc_u32_e32 v0, 29, v0
	v_lshlrev_b64 v[26:27], v1, v[12:13]
; %bb.111:                              ;   in Loop: Header=BB364_10 Depth=1
	s_or_b32 exec_lo, exec_lo, s20
	v_lshlrev_b32_e32 v1, 20, v26
	v_lshlrev_b32_e32 v2, 24, v12
	v_lshl_add_u32 v0, v0, 23, 0x3c000000
	v_and_b32_e32 v1, 0x700000, v1
	v_and_b32_e32 v2, 0x80000000, v2
	v_or3_b32 v84, v1, v2, v0
.LBB364_112:                            ;   in Loop: Header=BB364_10 Depth=1
	s_or_b32 exec_lo, exec_lo, s19
.LBB364_113:                            ;   in Loop: Header=BB364_10 Depth=1
	s_or_b32 exec_lo, exec_lo, s18
.LBB364_114:                            ;   in Loop: Header=BB364_10 Depth=1
	s_or_b32 exec_lo, exec_lo, s6
	v_cmp_ne_u16_sdwa s5, v12, v13 src0_sel:BYTE_1 src1_sel:DWORD
	v_mov_b32_e32 v85, 0
	v_mov_b32_e32 v86, 0
	s_and_saveexec_b32 s6, s5
	s_cbranch_execz .LBB364_122
; %bb.115:                              ;   in Loop: Header=BB364_10 Depth=1
	v_cmp_ne_u16_sdwa s5, v12, v48 src0_sel:BYTE_1 src1_sel:DWORD
	v_bfrev_b32_e32 v86, 1
	s_and_saveexec_b32 s18, s5
	s_cbranch_execz .LBB364_121
; %bb.116:                              ;   in Loop: Header=BB364_10 Depth=1
	v_mov_b32_e32 v0, 0xffff
	v_mov_b32_e32 v86, 0x7f800001
	s_mov_b32 s19, exec_lo
	v_and_b32_sdwa v0, v0, v12 dst_sel:DWORD dst_unused:UNUSED_PAD src0_sel:DWORD src1_sel:BYTE_1
	v_and_b32_e32 v1, 0x7f, v0
	v_cmpx_ne_u32_e32 0x7f, v1
	s_cbranch_execz .LBB364_120
; %bb.117:                              ;   in Loop: Header=BB364_10 Depth=1
	v_and_b32_e32 v26, 7, v0
	v_mov_b32_e32 v27, v13
	v_lshrrev_b32_e32 v0, 3, v1
	s_mov_b32 s20, exec_lo
	v_cmpx_gt_u32_e32 8, v1
; %bb.118:                              ;   in Loop: Header=BB364_10 Depth=1
	v_ffbh_u32_e32 v0, v26
	v_min_u32_e32 v0, 32, v0
	v_subrev_nc_u32_e32 v1, 28, v0
	v_sub_nc_u32_e32 v0, 29, v0
	v_lshlrev_b64 v[1:2], v1, v[26:27]
	v_and_b32_e32 v26, 7, v1
; %bb.119:                              ;   in Loop: Header=BB364_10 Depth=1
	s_or_b32 exec_lo, exec_lo, s20
	v_lshlrev_b32_e32 v1, 16, v12
	v_lshlrev_b32_e32 v2, 20, v26
	v_lshl_add_u32 v0, v0, 23, 0x3c000000
	v_and_b32_e32 v1, 0x80000000, v1
	v_or3_b32 v86, v2, v1, v0
.LBB364_120:                            ;   in Loop: Header=BB364_10 Depth=1
	s_or_b32 exec_lo, exec_lo, s19
.LBB364_121:                            ;   in Loop: Header=BB364_10 Depth=1
	s_or_b32 exec_lo, exec_lo, s18
.LBB364_122:                            ;   in Loop: Header=BB364_10 Depth=1
	s_or_b32 exec_lo, exec_lo, s6
	v_and_b32_sdwa v0, v25, v50 dst_sel:DWORD dst_unused:UNUSED_PAD src0_sel:WORD_1 src1_sel:DWORD
	s_mov_b32 s6, exec_lo
	v_cmpx_ne_u16_e32 0, v0
	s_cbranch_execz .LBB364_130
; %bb.123:                              ;   in Loop: Header=BB364_10 Depth=1
	v_bfrev_b32_e32 v85, 1
	s_mov_b32 s18, exec_lo
	v_cmpx_ne_u16_e32 0x80, v0
	s_cbranch_execz .LBB364_129
; %bb.124:                              ;   in Loop: Header=BB364_10 Depth=1
	v_bfe_u32 v1, v25, 16, 7
	v_mov_b32_e32 v85, 0x7f800001
	s_mov_b32 s19, exec_lo
	v_cmpx_ne_u32_e32 0x7f, v1
	s_cbranch_execz .LBB364_128
; %bb.125:                              ;   in Loop: Header=BB364_10 Depth=1
	v_and_b32_sdwa v12, v25, v51 dst_sel:DWORD dst_unused:UNUSED_PAD src0_sel:WORD_1 src1_sel:DWORD
	v_mov_b32_e32 v27, v13
	v_lshrrev_b32_e32 v0, 3, v1
	s_mov_b32 s20, exec_lo
	v_mov_b32_e32 v26, v12
	v_cmpx_gt_u32_e32 8, v1
; %bb.126:                              ;   in Loop: Header=BB364_10 Depth=1
	v_ffbh_u32_e32 v0, v12
	v_min_u32_e32 v0, 32, v0
	v_subrev_nc_u32_e32 v1, 28, v0
	v_sub_nc_u32_e32 v0, 29, v0
	v_lshlrev_b64 v[1:2], v1, v[12:13]
	v_and_b32_e32 v26, 7, v1
; %bb.127:                              ;   in Loop: Header=BB364_10 Depth=1
	s_or_b32 exec_lo, exec_lo, s20
	v_lshlrev_b32_sdwa v1, v52, v25 dst_sel:DWORD dst_unused:UNUSED_PAD src0_sel:DWORD src1_sel:WORD_1
	v_lshlrev_b32_e32 v2, 20, v26
	v_lshl_add_u32 v0, v0, 23, 0x3c000000
	v_and_b32_e32 v1, 0x80000000, v1
	v_or3_b32 v85, v2, v1, v0
.LBB364_128:                            ;   in Loop: Header=BB364_10 Depth=1
	s_or_b32 exec_lo, exec_lo, s19
.LBB364_129:                            ;   in Loop: Header=BB364_10 Depth=1
	s_or_b32 exec_lo, exec_lo, s18
.LBB364_130:                            ;   in Loop: Header=BB364_10 Depth=1
	s_or_b32 exec_lo, exec_lo, s6
	v_mov_b32_e32 v96, 0
	v_mov_b32_e32 v87, 0
	s_mov_b32 s6, exec_lo
	v_cmpx_lt_u64_e64 s[8:9], v[24:25]
	s_cbranch_execz .LBB364_138
; %bb.131:                              ;   in Loop: Header=BB364_10 Depth=1
	v_cmp_ne_u32_sdwa s5, v25, v48 src0_sel:BYTE_3 src1_sel:DWORD
	v_bfrev_b32_e32 v87, 1
	s_and_saveexec_b32 s18, s5
	s_cbranch_execz .LBB364_137
; %bb.132:                              ;   in Loop: Header=BB364_10 Depth=1
	v_bfe_u32 v1, v25, 24, 7
	v_mov_b32_e32 v87, 0x7f800001
	s_mov_b32 s19, exec_lo
	v_cmpx_ne_u32_e32 0x7f, v1
	s_cbranch_execz .LBB364_136
; %bb.133:                              ;   in Loop: Header=BB364_10 Depth=1
	v_and_b32_sdwa v12, v25, v51 dst_sel:DWORD dst_unused:UNUSED_PAD src0_sel:BYTE_3 src1_sel:DWORD
	v_mov_b32_e32 v27, v13
	v_lshrrev_b32_e32 v0, 3, v1
	s_mov_b32 s20, exec_lo
	v_mov_b32_e32 v26, v12
	v_cmpx_gt_u32_e32 8, v1
; %bb.134:                              ;   in Loop: Header=BB364_10 Depth=1
	v_ffbh_u32_e32 v0, v12
	v_min_u32_e32 v0, 32, v0
	v_subrev_nc_u32_e32 v1, 28, v0
	v_sub_nc_u32_e32 v0, 29, v0
	v_lshlrev_b64 v[1:2], v1, v[12:13]
	v_and_b32_e32 v26, 7, v1
; %bb.135:                              ;   in Loop: Header=BB364_10 Depth=1
	s_or_b32 exec_lo, exec_lo, s20
	v_lshlrev_b32_sdwa v1, v52, v25 dst_sel:DWORD dst_unused:UNUSED_PAD src0_sel:DWORD src1_sel:BYTE_3
	v_lshlrev_b32_e32 v2, 20, v26
	v_lshl_add_u32 v0, v0, 23, 0x3c000000
	v_and_b32_e32 v1, 0x80000000, v1
	v_or3_b32 v87, v2, v1, v0
.LBB364_136:                            ;   in Loop: Header=BB364_10 Depth=1
	s_or_b32 exec_lo, exec_lo, s19
.LBB364_137:                            ;   in Loop: Header=BB364_10 Depth=1
	s_or_b32 exec_lo, exec_lo, s18
.LBB364_138:                            ;   in Loop: Header=BB364_10 Depth=1
	s_or_b32 exec_lo, exec_lo, s6
	flat_load_dwordx2 v[24:25], v[16:17] offset:512
	s_waitcnt vmcnt(0) lgkmcnt(0)
	v_cmp_ne_u16_sdwa s5, v24, v13 src0_sel:BYTE_0 src1_sel:DWORD
	s_and_saveexec_b32 s6, s5
	s_cbranch_execz .LBB364_146
; %bb.139:                              ;   in Loop: Header=BB364_10 Depth=1
	v_cmp_ne_u16_sdwa s5, v24, v48 src0_sel:BYTE_0 src1_sel:DWORD
	v_bfrev_b32_e32 v96, 1
	s_and_saveexec_b32 s18, s5
	s_cbranch_execz .LBB364_145
; %bb.140:                              ;   in Loop: Header=BB364_10 Depth=1
	v_and_b32_e32 v1, 0x7f, v24
	v_mov_b32_e32 v96, 0x7f800001
	s_mov_b32 s19, exec_lo
	v_cmpx_ne_u32_e32 0x7f, v1
	s_cbranch_execz .LBB364_144
; %bb.141:                              ;   in Loop: Header=BB364_10 Depth=1
	v_mov_b32_e32 v27, v25
	v_lshrrev_b32_e32 v0, 3, v1
	v_mov_b32_e32 v26, v24
	s_mov_b32 s20, exec_lo
	v_cmpx_gt_u32_e32 8, v1
; %bb.142:                              ;   in Loop: Header=BB364_10 Depth=1
	v_and_b32_e32 v0, 7, v24
	v_ffbh_u32_e32 v0, v0
	v_min_u32_e32 v0, 32, v0
	v_subrev_nc_u32_e32 v1, 28, v0
	v_sub_nc_u32_e32 v0, 29, v0
	v_lshlrev_b64 v[26:27], v1, v[24:25]
; %bb.143:                              ;   in Loop: Header=BB364_10 Depth=1
	s_or_b32 exec_lo, exec_lo, s20
	v_lshlrev_b32_e32 v1, 20, v26
	v_lshlrev_b32_e32 v2, 24, v24
	v_lshl_add_u32 v0, v0, 23, 0x3c000000
	v_and_b32_e32 v1, 0x700000, v1
	v_and_b32_e32 v2, 0x80000000, v2
	v_or3_b32 v96, v1, v2, v0
.LBB364_144:                            ;   in Loop: Header=BB364_10 Depth=1
	s_or_b32 exec_lo, exec_lo, s19
.LBB364_145:                            ;   in Loop: Header=BB364_10 Depth=1
	s_or_b32 exec_lo, exec_lo, s18
.LBB364_146:                            ;   in Loop: Header=BB364_10 Depth=1
	s_or_b32 exec_lo, exec_lo, s6
	v_cmp_ne_u16_sdwa s5, v24, v13 src0_sel:BYTE_1 src1_sel:DWORD
	v_mov_b32_e32 v98, 0
	v_mov_b32_e32 v97, 0
	s_and_saveexec_b32 s6, s5
	s_cbranch_execz .LBB364_154
; %bb.147:                              ;   in Loop: Header=BB364_10 Depth=1
	v_cmp_ne_u16_sdwa s5, v24, v48 src0_sel:BYTE_1 src1_sel:DWORD
	v_bfrev_b32_e32 v97, 1
	s_and_saveexec_b32 s18, s5
	s_cbranch_execz .LBB364_153
; %bb.148:                              ;   in Loop: Header=BB364_10 Depth=1
	v_mov_b32_e32 v0, 0xffff
	v_mov_b32_e32 v97, 0x7f800001
	s_mov_b32 s19, exec_lo
	v_and_b32_sdwa v0, v0, v24 dst_sel:DWORD dst_unused:UNUSED_PAD src0_sel:DWORD src1_sel:BYTE_1
	v_and_b32_e32 v1, 0x7f, v0
	v_cmpx_ne_u32_e32 0x7f, v1
	s_cbranch_execz .LBB364_152
; %bb.149:                              ;   in Loop: Header=BB364_10 Depth=1
	v_and_b32_e32 v12, 7, v0
	v_mov_b32_e32 v27, v13
	v_lshrrev_b32_e32 v0, 3, v1
	s_mov_b32 s20, exec_lo
	v_mov_b32_e32 v26, v12
	v_cmpx_gt_u32_e32 8, v1
; %bb.150:                              ;   in Loop: Header=BB364_10 Depth=1
	v_ffbh_u32_e32 v0, v12
	v_min_u32_e32 v0, 32, v0
	v_subrev_nc_u32_e32 v1, 28, v0
	v_sub_nc_u32_e32 v0, 29, v0
	v_lshlrev_b64 v[1:2], v1, v[12:13]
	v_and_b32_e32 v26, 7, v1
; %bb.151:                              ;   in Loop: Header=BB364_10 Depth=1
	s_or_b32 exec_lo, exec_lo, s20
	v_lshlrev_b32_e32 v1, 16, v24
	v_lshlrev_b32_e32 v2, 20, v26
	v_lshl_add_u32 v0, v0, 23, 0x3c000000
	v_and_b32_e32 v1, 0x80000000, v1
	v_or3_b32 v97, v2, v1, v0
.LBB364_152:                            ;   in Loop: Header=BB364_10 Depth=1
	s_or_b32 exec_lo, exec_lo, s19
.LBB364_153:                            ;   in Loop: Header=BB364_10 Depth=1
	s_or_b32 exec_lo, exec_lo, s18
.LBB364_154:                            ;   in Loop: Header=BB364_10 Depth=1
	s_or_b32 exec_lo, exec_lo, s6
	v_and_b32_sdwa v0, v24, v50 dst_sel:DWORD dst_unused:UNUSED_PAD src0_sel:WORD_1 src1_sel:DWORD
	s_mov_b32 s6, exec_lo
	v_cmpx_ne_u16_e32 0, v0
	s_cbranch_execz .LBB364_162
; %bb.155:                              ;   in Loop: Header=BB364_10 Depth=1
	v_bfrev_b32_e32 v98, 1
	s_mov_b32 s18, exec_lo
	v_cmpx_ne_u16_e32 0x80, v0
	s_cbranch_execz .LBB364_161
; %bb.156:                              ;   in Loop: Header=BB364_10 Depth=1
	v_bfe_u32 v1, v24, 16, 7
	v_mov_b32_e32 v98, 0x7f800001
	s_mov_b32 s19, exec_lo
	v_cmpx_ne_u32_e32 0x7f, v1
	s_cbranch_execz .LBB364_160
; %bb.157:                              ;   in Loop: Header=BB364_10 Depth=1
	v_and_b32_sdwa v12, v24, v51 dst_sel:DWORD dst_unused:UNUSED_PAD src0_sel:WORD_1 src1_sel:DWORD
	v_mov_b32_e32 v27, v13
	v_lshrrev_b32_e32 v0, 3, v1
	s_mov_b32 s20, exec_lo
	v_mov_b32_e32 v26, v12
	v_cmpx_gt_u32_e32 8, v1
; %bb.158:                              ;   in Loop: Header=BB364_10 Depth=1
	v_ffbh_u32_e32 v0, v12
	v_min_u32_e32 v0, 32, v0
	v_subrev_nc_u32_e32 v1, 28, v0
	v_sub_nc_u32_e32 v0, 29, v0
	v_lshlrev_b64 v[1:2], v1, v[12:13]
	v_and_b32_e32 v26, 7, v1
; %bb.159:                              ;   in Loop: Header=BB364_10 Depth=1
	s_or_b32 exec_lo, exec_lo, s20
	v_lshlrev_b32_sdwa v1, v52, v24 dst_sel:DWORD dst_unused:UNUSED_PAD src0_sel:DWORD src1_sel:WORD_1
	v_lshlrev_b32_e32 v2, 20, v26
	v_lshl_add_u32 v0, v0, 23, 0x3c000000
	v_and_b32_e32 v1, 0x80000000, v1
	v_or3_b32 v98, v2, v1, v0
.LBB364_160:                            ;   in Loop: Header=BB364_10 Depth=1
	s_or_b32 exec_lo, exec_lo, s19
.LBB364_161:                            ;   in Loop: Header=BB364_10 Depth=1
	s_or_b32 exec_lo, exec_lo, s18
.LBB364_162:                            ;   in Loop: Header=BB364_10 Depth=1
	s_or_b32 exec_lo, exec_lo, s6
	v_mov_b32_e32 v100, 0
	v_mov_b32_e32 v99, 0
	s_mov_b32 s6, exec_lo
	v_cmpx_lt_u32_e32 0xffffff, v24
	s_cbranch_execz .LBB364_170
; %bb.163:                              ;   in Loop: Header=BB364_10 Depth=1
	v_cmp_ne_u32_sdwa s5, v24, v48 src0_sel:BYTE_3 src1_sel:DWORD
	v_bfrev_b32_e32 v99, 1
	s_and_saveexec_b32 s18, s5
	s_cbranch_execz .LBB364_169
; %bb.164:                              ;   in Loop: Header=BB364_10 Depth=1
	v_bfe_u32 v1, v24, 24, 7
	v_mov_b32_e32 v99, 0x7f800001
	s_mov_b32 s19, exec_lo
	v_cmpx_ne_u32_e32 0x7f, v1
	s_cbranch_execz .LBB364_168
; %bb.165:                              ;   in Loop: Header=BB364_10 Depth=1
	v_and_b32_sdwa v12, v24, v51 dst_sel:DWORD dst_unused:UNUSED_PAD src0_sel:BYTE_3 src1_sel:DWORD
	v_mov_b32_e32 v27, v13
	v_lshrrev_b32_e32 v0, 3, v1
	s_mov_b32 s20, exec_lo
	v_mov_b32_e32 v26, v12
	v_cmpx_gt_u32_e32 8, v1
; %bb.166:                              ;   in Loop: Header=BB364_10 Depth=1
	v_ffbh_u32_e32 v0, v12
	v_min_u32_e32 v0, 32, v0
	v_subrev_nc_u32_e32 v1, 28, v0
	v_sub_nc_u32_e32 v0, 29, v0
	v_lshlrev_b64 v[1:2], v1, v[12:13]
	v_and_b32_e32 v26, 7, v1
; %bb.167:                              ;   in Loop: Header=BB364_10 Depth=1
	s_or_b32 exec_lo, exec_lo, s20
	v_lshlrev_b32_sdwa v1, v52, v24 dst_sel:DWORD dst_unused:UNUSED_PAD src0_sel:DWORD src1_sel:BYTE_3
	v_lshlrev_b32_e32 v2, 20, v26
	v_lshl_add_u32 v0, v0, 23, 0x3c000000
	v_and_b32_e32 v1, 0x80000000, v1
	v_or3_b32 v99, v2, v1, v0
.LBB364_168:                            ;   in Loop: Header=BB364_10 Depth=1
	s_or_b32 exec_lo, exec_lo, s19
.LBB364_169:                            ;   in Loop: Header=BB364_10 Depth=1
	s_or_b32 exec_lo, exec_lo, s18
.LBB364_170:                            ;   in Loop: Header=BB364_10 Depth=1
	s_or_b32 exec_lo, exec_lo, s6
	v_mov_b32_e32 v12, v25
	v_cmp_ne_u16_sdwa s5, v25, v13 src0_sel:BYTE_0 src1_sel:DWORD
	s_and_saveexec_b32 s6, s5
	s_cbranch_execz .LBB364_178
; %bb.171:                              ;   in Loop: Header=BB364_10 Depth=1
	v_cmp_ne_u16_sdwa s5, v25, v48 src0_sel:BYTE_0 src1_sel:DWORD
	v_bfrev_b32_e32 v100, 1
	s_and_saveexec_b32 s18, s5
	s_cbranch_execz .LBB364_177
; %bb.172:                              ;   in Loop: Header=BB364_10 Depth=1
	v_and_b32_e32 v1, 0x7f, v25
	v_mov_b32_e32 v100, 0x7f800001
	s_mov_b32 s19, exec_lo
	v_cmpx_ne_u32_e32 0x7f, v1
	s_cbranch_execz .LBB364_176
; %bb.173:                              ;   in Loop: Header=BB364_10 Depth=1
	v_mov_b32_e32 v27, v13
	v_lshrrev_b32_e32 v0, 3, v1
	v_mov_b32_e32 v26, v12
	s_mov_b32 s20, exec_lo
	v_cmpx_gt_u32_e32 8, v1
; %bb.174:                              ;   in Loop: Header=BB364_10 Depth=1
	v_and_b32_e32 v0, 7, v25
	v_ffbh_u32_e32 v0, v0
	v_min_u32_e32 v0, 32, v0
	v_subrev_nc_u32_e32 v1, 28, v0
	v_sub_nc_u32_e32 v0, 29, v0
	v_lshlrev_b64 v[26:27], v1, v[12:13]
; %bb.175:                              ;   in Loop: Header=BB364_10 Depth=1
	s_or_b32 exec_lo, exec_lo, s20
	v_lshlrev_b32_e32 v1, 20, v26
	v_lshlrev_b32_e32 v2, 24, v12
	v_lshl_add_u32 v0, v0, 23, 0x3c000000
	v_and_b32_e32 v1, 0x700000, v1
	v_and_b32_e32 v2, 0x80000000, v2
	v_or3_b32 v100, v1, v2, v0
.LBB364_176:                            ;   in Loop: Header=BB364_10 Depth=1
	s_or_b32 exec_lo, exec_lo, s19
.LBB364_177:                            ;   in Loop: Header=BB364_10 Depth=1
	s_or_b32 exec_lo, exec_lo, s18
.LBB364_178:                            ;   in Loop: Header=BB364_10 Depth=1
	s_or_b32 exec_lo, exec_lo, s6
	v_cmp_ne_u16_sdwa s5, v12, v13 src0_sel:BYTE_1 src1_sel:DWORD
	v_mov_b32_e32 v101, 0
	v_mov_b32_e32 v102, 0
	s_and_saveexec_b32 s6, s5
	s_cbranch_execz .LBB364_186
; %bb.179:                              ;   in Loop: Header=BB364_10 Depth=1
	v_cmp_ne_u16_sdwa s5, v12, v48 src0_sel:BYTE_1 src1_sel:DWORD
	v_bfrev_b32_e32 v102, 1
	s_and_saveexec_b32 s18, s5
	s_cbranch_execz .LBB364_185
; %bb.180:                              ;   in Loop: Header=BB364_10 Depth=1
	v_mov_b32_e32 v0, 0xffff
	v_mov_b32_e32 v102, 0x7f800001
	s_mov_b32 s19, exec_lo
	v_and_b32_sdwa v0, v0, v12 dst_sel:DWORD dst_unused:UNUSED_PAD src0_sel:DWORD src1_sel:BYTE_1
	v_and_b32_e32 v1, 0x7f, v0
	v_cmpx_ne_u32_e32 0x7f, v1
	s_cbranch_execz .LBB364_184
; %bb.181:                              ;   in Loop: Header=BB364_10 Depth=1
	v_and_b32_e32 v26, 7, v0
	v_mov_b32_e32 v27, v13
	v_lshrrev_b32_e32 v0, 3, v1
	s_mov_b32 s20, exec_lo
	v_cmpx_gt_u32_e32 8, v1
; %bb.182:                              ;   in Loop: Header=BB364_10 Depth=1
	v_ffbh_u32_e32 v0, v26
	v_min_u32_e32 v0, 32, v0
	v_subrev_nc_u32_e32 v1, 28, v0
	v_sub_nc_u32_e32 v0, 29, v0
	v_lshlrev_b64 v[1:2], v1, v[26:27]
	v_and_b32_e32 v26, 7, v1
; %bb.183:                              ;   in Loop: Header=BB364_10 Depth=1
	s_or_b32 exec_lo, exec_lo, s20
	v_lshlrev_b32_e32 v1, 16, v12
	v_lshlrev_b32_e32 v2, 20, v26
	v_lshl_add_u32 v0, v0, 23, 0x3c000000
	v_and_b32_e32 v1, 0x80000000, v1
	v_or3_b32 v102, v2, v1, v0
.LBB364_184:                            ;   in Loop: Header=BB364_10 Depth=1
	s_or_b32 exec_lo, exec_lo, s19
.LBB364_185:                            ;   in Loop: Header=BB364_10 Depth=1
	s_or_b32 exec_lo, exec_lo, s18
.LBB364_186:                            ;   in Loop: Header=BB364_10 Depth=1
	s_or_b32 exec_lo, exec_lo, s6
	v_and_b32_sdwa v0, v25, v50 dst_sel:DWORD dst_unused:UNUSED_PAD src0_sel:WORD_1 src1_sel:DWORD
	s_mov_b32 s6, exec_lo
	v_cmpx_ne_u16_e32 0, v0
	s_cbranch_execz .LBB364_194
; %bb.187:                              ;   in Loop: Header=BB364_10 Depth=1
	v_bfrev_b32_e32 v101, 1
	s_mov_b32 s18, exec_lo
	v_cmpx_ne_u16_e32 0x80, v0
	s_cbranch_execz .LBB364_193
; %bb.188:                              ;   in Loop: Header=BB364_10 Depth=1
	v_bfe_u32 v1, v25, 16, 7
	v_mov_b32_e32 v101, 0x7f800001
	s_mov_b32 s19, exec_lo
	v_cmpx_ne_u32_e32 0x7f, v1
	s_cbranch_execz .LBB364_192
; %bb.189:                              ;   in Loop: Header=BB364_10 Depth=1
	v_and_b32_sdwa v12, v25, v51 dst_sel:DWORD dst_unused:UNUSED_PAD src0_sel:WORD_1 src1_sel:DWORD
	v_mov_b32_e32 v27, v13
	v_lshrrev_b32_e32 v0, 3, v1
	s_mov_b32 s20, exec_lo
	v_mov_b32_e32 v26, v12
	v_cmpx_gt_u32_e32 8, v1
; %bb.190:                              ;   in Loop: Header=BB364_10 Depth=1
	v_ffbh_u32_e32 v0, v12
	v_min_u32_e32 v0, 32, v0
	v_subrev_nc_u32_e32 v1, 28, v0
	v_sub_nc_u32_e32 v0, 29, v0
	v_lshlrev_b64 v[1:2], v1, v[12:13]
	v_and_b32_e32 v26, 7, v1
; %bb.191:                              ;   in Loop: Header=BB364_10 Depth=1
	s_or_b32 exec_lo, exec_lo, s20
	v_lshlrev_b32_sdwa v1, v52, v25 dst_sel:DWORD dst_unused:UNUSED_PAD src0_sel:DWORD src1_sel:WORD_1
	v_lshlrev_b32_e32 v2, 20, v26
	v_lshl_add_u32 v0, v0, 23, 0x3c000000
	v_and_b32_e32 v1, 0x80000000, v1
	v_or3_b32 v101, v2, v1, v0
.LBB364_192:                            ;   in Loop: Header=BB364_10 Depth=1
	s_or_b32 exec_lo, exec_lo, s19
.LBB364_193:                            ;   in Loop: Header=BB364_10 Depth=1
	s_or_b32 exec_lo, exec_lo, s18
.LBB364_194:                            ;   in Loop: Header=BB364_10 Depth=1
	s_or_b32 exec_lo, exec_lo, s6
	v_mov_b32_e32 v112, 0
	v_mov_b32_e32 v103, 0
	s_mov_b32 s6, exec_lo
	v_cmpx_lt_u64_e64 s[8:9], v[24:25]
	s_cbranch_execz .LBB364_202
; %bb.195:                              ;   in Loop: Header=BB364_10 Depth=1
	v_cmp_ne_u32_sdwa s5, v25, v48 src0_sel:BYTE_3 src1_sel:DWORD
	v_bfrev_b32_e32 v103, 1
	s_and_saveexec_b32 s18, s5
	s_cbranch_execz .LBB364_201
; %bb.196:                              ;   in Loop: Header=BB364_10 Depth=1
	v_bfe_u32 v1, v25, 24, 7
	v_mov_b32_e32 v103, 0x7f800001
	s_mov_b32 s19, exec_lo
	v_cmpx_ne_u32_e32 0x7f, v1
	s_cbranch_execz .LBB364_200
; %bb.197:                              ;   in Loop: Header=BB364_10 Depth=1
	v_and_b32_sdwa v12, v25, v51 dst_sel:DWORD dst_unused:UNUSED_PAD src0_sel:BYTE_3 src1_sel:DWORD
	v_mov_b32_e32 v27, v13
	v_lshrrev_b32_e32 v0, 3, v1
	s_mov_b32 s20, exec_lo
	v_mov_b32_e32 v26, v12
	v_cmpx_gt_u32_e32 8, v1
; %bb.198:                              ;   in Loop: Header=BB364_10 Depth=1
	v_ffbh_u32_e32 v0, v12
	v_min_u32_e32 v0, 32, v0
	v_subrev_nc_u32_e32 v1, 28, v0
	v_sub_nc_u32_e32 v0, 29, v0
	v_lshlrev_b64 v[1:2], v1, v[12:13]
	v_and_b32_e32 v26, 7, v1
; %bb.199:                              ;   in Loop: Header=BB364_10 Depth=1
	s_or_b32 exec_lo, exec_lo, s20
	v_lshlrev_b32_sdwa v1, v52, v25 dst_sel:DWORD dst_unused:UNUSED_PAD src0_sel:DWORD src1_sel:BYTE_3
	v_lshlrev_b32_e32 v2, 20, v26
	v_lshl_add_u32 v0, v0, 23, 0x3c000000
	v_and_b32_e32 v1, 0x80000000, v1
	v_or3_b32 v103, v2, v1, v0
.LBB364_200:                            ;   in Loop: Header=BB364_10 Depth=1
	s_or_b32 exec_lo, exec_lo, s19
.LBB364_201:                            ;   in Loop: Header=BB364_10 Depth=1
	s_or_b32 exec_lo, exec_lo, s18
.LBB364_202:                            ;   in Loop: Header=BB364_10 Depth=1
	s_or_b32 exec_lo, exec_lo, s6
	flat_load_dwordx2 v[24:25], v[16:17] offset:520
	s_waitcnt vmcnt(0) lgkmcnt(0)
	v_cmp_ne_u16_sdwa s5, v24, v13 src0_sel:BYTE_0 src1_sel:DWORD
	s_and_saveexec_b32 s6, s5
	s_cbranch_execz .LBB364_210
; %bb.203:                              ;   in Loop: Header=BB364_10 Depth=1
	v_cmp_ne_u16_sdwa s5, v24, v48 src0_sel:BYTE_0 src1_sel:DWORD
	v_bfrev_b32_e32 v112, 1
	s_and_saveexec_b32 s18, s5
	s_cbranch_execz .LBB364_209
; %bb.204:                              ;   in Loop: Header=BB364_10 Depth=1
	v_and_b32_e32 v1, 0x7f, v24
	v_mov_b32_e32 v112, 0x7f800001
	s_mov_b32 s19, exec_lo
	v_cmpx_ne_u32_e32 0x7f, v1
	s_cbranch_execz .LBB364_208
; %bb.205:                              ;   in Loop: Header=BB364_10 Depth=1
	v_mov_b32_e32 v27, v25
	v_lshrrev_b32_e32 v0, 3, v1
	v_mov_b32_e32 v26, v24
	s_mov_b32 s20, exec_lo
	v_cmpx_gt_u32_e32 8, v1
; %bb.206:                              ;   in Loop: Header=BB364_10 Depth=1
	v_and_b32_e32 v0, 7, v24
	v_ffbh_u32_e32 v0, v0
	v_min_u32_e32 v0, 32, v0
	v_subrev_nc_u32_e32 v1, 28, v0
	v_sub_nc_u32_e32 v0, 29, v0
	v_lshlrev_b64 v[26:27], v1, v[24:25]
; %bb.207:                              ;   in Loop: Header=BB364_10 Depth=1
	s_or_b32 exec_lo, exec_lo, s20
	v_lshlrev_b32_e32 v1, 20, v26
	v_lshlrev_b32_e32 v2, 24, v24
	v_lshl_add_u32 v0, v0, 23, 0x3c000000
	v_and_b32_e32 v1, 0x700000, v1
	v_and_b32_e32 v2, 0x80000000, v2
	v_or3_b32 v112, v1, v2, v0
.LBB364_208:                            ;   in Loop: Header=BB364_10 Depth=1
	s_or_b32 exec_lo, exec_lo, s19
.LBB364_209:                            ;   in Loop: Header=BB364_10 Depth=1
	s_or_b32 exec_lo, exec_lo, s18
.LBB364_210:                            ;   in Loop: Header=BB364_10 Depth=1
	s_or_b32 exec_lo, exec_lo, s6
	v_cmp_ne_u16_sdwa s5, v24, v13 src0_sel:BYTE_1 src1_sel:DWORD
	v_mov_b32_e32 v114, 0
	v_mov_b32_e32 v113, 0
	s_and_saveexec_b32 s6, s5
	s_cbranch_execz .LBB364_218
; %bb.211:                              ;   in Loop: Header=BB364_10 Depth=1
	v_cmp_ne_u16_sdwa s5, v24, v48 src0_sel:BYTE_1 src1_sel:DWORD
	v_bfrev_b32_e32 v113, 1
	s_and_saveexec_b32 s18, s5
	s_cbranch_execz .LBB364_217
; %bb.212:                              ;   in Loop: Header=BB364_10 Depth=1
	v_mov_b32_e32 v0, 0xffff
	v_mov_b32_e32 v113, 0x7f800001
	s_mov_b32 s19, exec_lo
	v_and_b32_sdwa v0, v0, v24 dst_sel:DWORD dst_unused:UNUSED_PAD src0_sel:DWORD src1_sel:BYTE_1
	v_and_b32_e32 v1, 0x7f, v0
	v_cmpx_ne_u32_e32 0x7f, v1
	s_cbranch_execz .LBB364_216
; %bb.213:                              ;   in Loop: Header=BB364_10 Depth=1
	v_and_b32_e32 v12, 7, v0
	v_mov_b32_e32 v27, v13
	v_lshrrev_b32_e32 v0, 3, v1
	s_mov_b32 s20, exec_lo
	v_mov_b32_e32 v26, v12
	v_cmpx_gt_u32_e32 8, v1
; %bb.214:                              ;   in Loop: Header=BB364_10 Depth=1
	v_ffbh_u32_e32 v0, v12
	v_min_u32_e32 v0, 32, v0
	v_subrev_nc_u32_e32 v1, 28, v0
	v_sub_nc_u32_e32 v0, 29, v0
	v_lshlrev_b64 v[1:2], v1, v[12:13]
	v_and_b32_e32 v26, 7, v1
; %bb.215:                              ;   in Loop: Header=BB364_10 Depth=1
	s_or_b32 exec_lo, exec_lo, s20
	v_lshlrev_b32_e32 v1, 16, v24
	v_lshlrev_b32_e32 v2, 20, v26
	v_lshl_add_u32 v0, v0, 23, 0x3c000000
	v_and_b32_e32 v1, 0x80000000, v1
	v_or3_b32 v113, v2, v1, v0
.LBB364_216:                            ;   in Loop: Header=BB364_10 Depth=1
	s_or_b32 exec_lo, exec_lo, s19
.LBB364_217:                            ;   in Loop: Header=BB364_10 Depth=1
	s_or_b32 exec_lo, exec_lo, s18
.LBB364_218:                            ;   in Loop: Header=BB364_10 Depth=1
	s_or_b32 exec_lo, exec_lo, s6
	v_and_b32_sdwa v0, v24, v50 dst_sel:DWORD dst_unused:UNUSED_PAD src0_sel:WORD_1 src1_sel:DWORD
	s_mov_b32 s6, exec_lo
	v_cmpx_ne_u16_e32 0, v0
	s_cbranch_execz .LBB364_226
; %bb.219:                              ;   in Loop: Header=BB364_10 Depth=1
	v_bfrev_b32_e32 v114, 1
	s_mov_b32 s18, exec_lo
	v_cmpx_ne_u16_e32 0x80, v0
	s_cbranch_execz .LBB364_225
; %bb.220:                              ;   in Loop: Header=BB364_10 Depth=1
	v_bfe_u32 v1, v24, 16, 7
	v_mov_b32_e32 v114, 0x7f800001
	s_mov_b32 s19, exec_lo
	v_cmpx_ne_u32_e32 0x7f, v1
	s_cbranch_execz .LBB364_224
; %bb.221:                              ;   in Loop: Header=BB364_10 Depth=1
	v_and_b32_sdwa v12, v24, v51 dst_sel:DWORD dst_unused:UNUSED_PAD src0_sel:WORD_1 src1_sel:DWORD
	v_mov_b32_e32 v27, v13
	v_lshrrev_b32_e32 v0, 3, v1
	s_mov_b32 s20, exec_lo
	v_mov_b32_e32 v26, v12
	v_cmpx_gt_u32_e32 8, v1
; %bb.222:                              ;   in Loop: Header=BB364_10 Depth=1
	v_ffbh_u32_e32 v0, v12
	v_min_u32_e32 v0, 32, v0
	v_subrev_nc_u32_e32 v1, 28, v0
	v_sub_nc_u32_e32 v0, 29, v0
	v_lshlrev_b64 v[1:2], v1, v[12:13]
	v_and_b32_e32 v26, 7, v1
; %bb.223:                              ;   in Loop: Header=BB364_10 Depth=1
	s_or_b32 exec_lo, exec_lo, s20
	v_lshlrev_b32_sdwa v1, v52, v24 dst_sel:DWORD dst_unused:UNUSED_PAD src0_sel:DWORD src1_sel:WORD_1
	v_lshlrev_b32_e32 v2, 20, v26
	v_lshl_add_u32 v0, v0, 23, 0x3c000000
	v_and_b32_e32 v1, 0x80000000, v1
	v_or3_b32 v114, v2, v1, v0
.LBB364_224:                            ;   in Loop: Header=BB364_10 Depth=1
	s_or_b32 exec_lo, exec_lo, s19
.LBB364_225:                            ;   in Loop: Header=BB364_10 Depth=1
	s_or_b32 exec_lo, exec_lo, s18
.LBB364_226:                            ;   in Loop: Header=BB364_10 Depth=1
	s_or_b32 exec_lo, exec_lo, s6
	v_mov_b32_e32 v116, 0
	v_mov_b32_e32 v115, 0
	s_mov_b32 s6, exec_lo
	v_cmpx_lt_u32_e32 0xffffff, v24
	s_cbranch_execz .LBB364_234
; %bb.227:                              ;   in Loop: Header=BB364_10 Depth=1
	v_cmp_ne_u32_sdwa s5, v24, v48 src0_sel:BYTE_3 src1_sel:DWORD
	v_bfrev_b32_e32 v115, 1
	s_and_saveexec_b32 s18, s5
	s_cbranch_execz .LBB364_233
; %bb.228:                              ;   in Loop: Header=BB364_10 Depth=1
	v_bfe_u32 v1, v24, 24, 7
	v_mov_b32_e32 v115, 0x7f800001
	s_mov_b32 s19, exec_lo
	v_cmpx_ne_u32_e32 0x7f, v1
	s_cbranch_execz .LBB364_232
; %bb.229:                              ;   in Loop: Header=BB364_10 Depth=1
	v_and_b32_sdwa v12, v24, v51 dst_sel:DWORD dst_unused:UNUSED_PAD src0_sel:BYTE_3 src1_sel:DWORD
	v_mov_b32_e32 v27, v13
	v_lshrrev_b32_e32 v0, 3, v1
	s_mov_b32 s20, exec_lo
	v_mov_b32_e32 v26, v12
	v_cmpx_gt_u32_e32 8, v1
; %bb.230:                              ;   in Loop: Header=BB364_10 Depth=1
	v_ffbh_u32_e32 v0, v12
	v_min_u32_e32 v0, 32, v0
	v_subrev_nc_u32_e32 v1, 28, v0
	v_sub_nc_u32_e32 v0, 29, v0
	v_lshlrev_b64 v[1:2], v1, v[12:13]
	v_and_b32_e32 v26, 7, v1
; %bb.231:                              ;   in Loop: Header=BB364_10 Depth=1
	s_or_b32 exec_lo, exec_lo, s20
	v_lshlrev_b32_sdwa v1, v52, v24 dst_sel:DWORD dst_unused:UNUSED_PAD src0_sel:DWORD src1_sel:BYTE_3
	v_lshlrev_b32_e32 v2, 20, v26
	v_lshl_add_u32 v0, v0, 23, 0x3c000000
	v_and_b32_e32 v1, 0x80000000, v1
	v_or3_b32 v115, v2, v1, v0
.LBB364_232:                            ;   in Loop: Header=BB364_10 Depth=1
	s_or_b32 exec_lo, exec_lo, s19
.LBB364_233:                            ;   in Loop: Header=BB364_10 Depth=1
	s_or_b32 exec_lo, exec_lo, s18
.LBB364_234:                            ;   in Loop: Header=BB364_10 Depth=1
	s_or_b32 exec_lo, exec_lo, s6
	v_mov_b32_e32 v12, v25
	v_cmp_ne_u16_sdwa s5, v25, v13 src0_sel:BYTE_0 src1_sel:DWORD
	s_and_saveexec_b32 s6, s5
	s_cbranch_execz .LBB364_242
; %bb.235:                              ;   in Loop: Header=BB364_10 Depth=1
	v_cmp_ne_u16_sdwa s5, v25, v48 src0_sel:BYTE_0 src1_sel:DWORD
	v_bfrev_b32_e32 v116, 1
	s_and_saveexec_b32 s18, s5
	s_cbranch_execz .LBB364_241
; %bb.236:                              ;   in Loop: Header=BB364_10 Depth=1
	v_and_b32_e32 v1, 0x7f, v25
	v_mov_b32_e32 v116, 0x7f800001
	s_mov_b32 s19, exec_lo
	v_cmpx_ne_u32_e32 0x7f, v1
	s_cbranch_execz .LBB364_240
; %bb.237:                              ;   in Loop: Header=BB364_10 Depth=1
	v_mov_b32_e32 v27, v13
	v_lshrrev_b32_e32 v0, 3, v1
	v_mov_b32_e32 v26, v12
	s_mov_b32 s20, exec_lo
	v_cmpx_gt_u32_e32 8, v1
; %bb.238:                              ;   in Loop: Header=BB364_10 Depth=1
	v_and_b32_e32 v0, 7, v25
	v_ffbh_u32_e32 v0, v0
	v_min_u32_e32 v0, 32, v0
	v_subrev_nc_u32_e32 v1, 28, v0
	v_sub_nc_u32_e32 v0, 29, v0
	v_lshlrev_b64 v[26:27], v1, v[12:13]
; %bb.239:                              ;   in Loop: Header=BB364_10 Depth=1
	s_or_b32 exec_lo, exec_lo, s20
	v_lshlrev_b32_e32 v1, 20, v26
	v_lshlrev_b32_e32 v2, 24, v12
	v_lshl_add_u32 v0, v0, 23, 0x3c000000
	v_and_b32_e32 v1, 0x700000, v1
	v_and_b32_e32 v2, 0x80000000, v2
	v_or3_b32 v116, v1, v2, v0
.LBB364_240:                            ;   in Loop: Header=BB364_10 Depth=1
	s_or_b32 exec_lo, exec_lo, s19
.LBB364_241:                            ;   in Loop: Header=BB364_10 Depth=1
	s_or_b32 exec_lo, exec_lo, s18
.LBB364_242:                            ;   in Loop: Header=BB364_10 Depth=1
	s_or_b32 exec_lo, exec_lo, s6
	v_cmp_ne_u16_sdwa s5, v12, v13 src0_sel:BYTE_1 src1_sel:DWORD
	v_mov_b32_e32 v9, 0
	v_mov_b32_e32 v117, 0
	s_and_saveexec_b32 s6, s5
	s_cbranch_execz .LBB364_250
; %bb.243:                              ;   in Loop: Header=BB364_10 Depth=1
	v_cmp_ne_u16_sdwa s5, v12, v48 src0_sel:BYTE_1 src1_sel:DWORD
	v_bfrev_b32_e32 v117, 1
	s_and_saveexec_b32 s18, s5
	s_cbranch_execz .LBB364_249
; %bb.244:                              ;   in Loop: Header=BB364_10 Depth=1
	v_mov_b32_e32 v0, 0xffff
	v_mov_b32_e32 v117, 0x7f800001
	s_mov_b32 s19, exec_lo
	v_and_b32_sdwa v0, v0, v12 dst_sel:DWORD dst_unused:UNUSED_PAD src0_sel:DWORD src1_sel:BYTE_1
	v_and_b32_e32 v1, 0x7f, v0
	v_cmpx_ne_u32_e32 0x7f, v1
	s_cbranch_execz .LBB364_248
; %bb.245:                              ;   in Loop: Header=BB364_10 Depth=1
	v_and_b32_e32 v26, 7, v0
	v_mov_b32_e32 v27, v13
	v_lshrrev_b32_e32 v0, 3, v1
	s_mov_b32 s20, exec_lo
	v_cmpx_gt_u32_e32 8, v1
; %bb.246:                              ;   in Loop: Header=BB364_10 Depth=1
	v_ffbh_u32_e32 v0, v26
	v_min_u32_e32 v0, 32, v0
	v_subrev_nc_u32_e32 v1, 28, v0
	v_sub_nc_u32_e32 v0, 29, v0
	v_lshlrev_b64 v[1:2], v1, v[26:27]
	v_and_b32_e32 v26, 7, v1
; %bb.247:                              ;   in Loop: Header=BB364_10 Depth=1
	s_or_b32 exec_lo, exec_lo, s20
	v_lshlrev_b32_e32 v1, 16, v12
	v_lshlrev_b32_e32 v2, 20, v26
	v_lshl_add_u32 v0, v0, 23, 0x3c000000
	v_and_b32_e32 v1, 0x80000000, v1
	v_or3_b32 v117, v2, v1, v0
.LBB364_248:                            ;   in Loop: Header=BB364_10 Depth=1
	s_or_b32 exec_lo, exec_lo, s19
.LBB364_249:                            ;   in Loop: Header=BB364_10 Depth=1
	s_or_b32 exec_lo, exec_lo, s18
.LBB364_250:                            ;   in Loop: Header=BB364_10 Depth=1
	s_or_b32 exec_lo, exec_lo, s6
	v_and_b32_sdwa v0, v25, v50 dst_sel:DWORD dst_unused:UNUSED_PAD src0_sel:WORD_1 src1_sel:DWORD
	s_mov_b32 s6, exec_lo
	v_cmpx_ne_u16_e32 0, v0
	s_cbranch_execz .LBB364_258
; %bb.251:                              ;   in Loop: Header=BB364_10 Depth=1
	v_bfrev_b32_e32 v9, 1
	s_mov_b32 s18, exec_lo
	v_cmpx_ne_u16_e32 0x80, v0
	s_cbranch_execz .LBB364_257
; %bb.252:                              ;   in Loop: Header=BB364_10 Depth=1
	v_bfe_u32 v1, v25, 16, 7
	v_mov_b32_e32 v9, 0x7f800001
	s_mov_b32 s19, exec_lo
	v_cmpx_ne_u32_e32 0x7f, v1
	s_cbranch_execz .LBB364_256
; %bb.253:                              ;   in Loop: Header=BB364_10 Depth=1
	v_and_b32_sdwa v12, v25, v51 dst_sel:DWORD dst_unused:UNUSED_PAD src0_sel:WORD_1 src1_sel:DWORD
	v_mov_b32_e32 v27, v13
	v_lshrrev_b32_e32 v0, 3, v1
	s_mov_b32 s20, exec_lo
	v_mov_b32_e32 v26, v12
	v_cmpx_gt_u32_e32 8, v1
; %bb.254:                              ;   in Loop: Header=BB364_10 Depth=1
	v_ffbh_u32_e32 v0, v12
	v_min_u32_e32 v0, 32, v0
	v_subrev_nc_u32_e32 v1, 28, v0
	v_sub_nc_u32_e32 v0, 29, v0
	v_lshlrev_b64 v[1:2], v1, v[12:13]
	v_and_b32_e32 v26, 7, v1
; %bb.255:                              ;   in Loop: Header=BB364_10 Depth=1
	s_or_b32 exec_lo, exec_lo, s20
	v_lshlrev_b32_sdwa v1, v52, v25 dst_sel:DWORD dst_unused:UNUSED_PAD src0_sel:DWORD src1_sel:WORD_1
	v_lshlrev_b32_e32 v2, 20, v26
	v_lshl_add_u32 v0, v0, 23, 0x3c000000
	v_and_b32_e32 v1, 0x80000000, v1
	v_or3_b32 v9, v2, v1, v0
.LBB364_256:                            ;   in Loop: Header=BB364_10 Depth=1
	s_or_b32 exec_lo, exec_lo, s19
.LBB364_257:                            ;   in Loop: Header=BB364_10 Depth=1
	s_or_b32 exec_lo, exec_lo, s18
.LBB364_258:                            ;   in Loop: Header=BB364_10 Depth=1
	s_or_b32 exec_lo, exec_lo, s6
	v_mov_b32_e32 v119, 0
	v_mov_b32_e32 v118, 0
	s_mov_b32 s6, exec_lo
	v_cmpx_lt_u64_e64 s[8:9], v[24:25]
	s_cbranch_execz .LBB364_266
; %bb.259:                              ;   in Loop: Header=BB364_10 Depth=1
	v_cmp_ne_u32_sdwa s5, v25, v48 src0_sel:BYTE_3 src1_sel:DWORD
	v_bfrev_b32_e32 v118, 1
	s_and_saveexec_b32 s18, s5
	s_cbranch_execz .LBB364_265
; %bb.260:                              ;   in Loop: Header=BB364_10 Depth=1
	v_bfe_u32 v1, v25, 24, 7
	v_mov_b32_e32 v118, 0x7f800001
	s_mov_b32 s19, exec_lo
	v_cmpx_ne_u32_e32 0x7f, v1
	s_cbranch_execz .LBB364_264
; %bb.261:                              ;   in Loop: Header=BB364_10 Depth=1
	v_and_b32_sdwa v12, v25, v51 dst_sel:DWORD dst_unused:UNUSED_PAD src0_sel:BYTE_3 src1_sel:DWORD
	v_mov_b32_e32 v27, v13
	v_lshrrev_b32_e32 v0, 3, v1
	s_mov_b32 s20, exec_lo
	v_mov_b32_e32 v26, v12
	v_cmpx_gt_u32_e32 8, v1
; %bb.262:                              ;   in Loop: Header=BB364_10 Depth=1
	v_ffbh_u32_e32 v0, v12
	v_min_u32_e32 v0, 32, v0
	v_subrev_nc_u32_e32 v1, 28, v0
	v_sub_nc_u32_e32 v0, 29, v0
	v_lshlrev_b64 v[1:2], v1, v[12:13]
	v_and_b32_e32 v26, 7, v1
; %bb.263:                              ;   in Loop: Header=BB364_10 Depth=1
	s_or_b32 exec_lo, exec_lo, s20
	v_lshlrev_b32_sdwa v1, v52, v25 dst_sel:DWORD dst_unused:UNUSED_PAD src0_sel:DWORD src1_sel:BYTE_3
	v_lshlrev_b32_e32 v2, 20, v26
	v_lshl_add_u32 v0, v0, 23, 0x3c000000
	v_and_b32_e32 v1, 0x80000000, v1
	v_or3_b32 v118, v2, v1, v0
.LBB364_264:                            ;   in Loop: Header=BB364_10 Depth=1
	s_or_b32 exec_lo, exec_lo, s19
.LBB364_265:                            ;   in Loop: Header=BB364_10 Depth=1
	s_or_b32 exec_lo, exec_lo, s18
.LBB364_266:                            ;   in Loop: Header=BB364_10 Depth=1
	s_or_b32 exec_lo, exec_lo, s6
	flat_load_dwordx2 v[24:25], v[16:17] offset:1024
	s_waitcnt vmcnt(0) lgkmcnt(0)
	v_cmp_ne_u16_sdwa s5, v24, v13 src0_sel:BYTE_0 src1_sel:DWORD
	s_and_saveexec_b32 s6, s5
	s_cbranch_execz .LBB364_274
; %bb.267:                              ;   in Loop: Header=BB364_10 Depth=1
	v_cmp_ne_u16_sdwa s5, v24, v48 src0_sel:BYTE_0 src1_sel:DWORD
	v_bfrev_b32_e32 v119, 1
	s_and_saveexec_b32 s18, s5
	s_cbranch_execz .LBB364_273
; %bb.268:                              ;   in Loop: Header=BB364_10 Depth=1
	v_and_b32_e32 v1, 0x7f, v24
	v_mov_b32_e32 v119, 0x7f800001
	s_mov_b32 s19, exec_lo
	v_cmpx_ne_u32_e32 0x7f, v1
	s_cbranch_execz .LBB364_272
; %bb.269:                              ;   in Loop: Header=BB364_10 Depth=1
	v_mov_b32_e32 v27, v25
	v_lshrrev_b32_e32 v0, 3, v1
	v_mov_b32_e32 v26, v24
	s_mov_b32 s20, exec_lo
	v_cmpx_gt_u32_e32 8, v1
; %bb.270:                              ;   in Loop: Header=BB364_10 Depth=1
	v_and_b32_e32 v0, 7, v24
	v_ffbh_u32_e32 v0, v0
	v_min_u32_e32 v0, 32, v0
	v_subrev_nc_u32_e32 v1, 28, v0
	v_sub_nc_u32_e32 v0, 29, v0
	v_lshlrev_b64 v[26:27], v1, v[24:25]
; %bb.271:                              ;   in Loop: Header=BB364_10 Depth=1
	s_or_b32 exec_lo, exec_lo, s20
	v_lshlrev_b32_e32 v1, 20, v26
	v_lshlrev_b32_e32 v2, 24, v24
	v_lshl_add_u32 v0, v0, 23, 0x3c000000
	v_and_b32_e32 v1, 0x700000, v1
	v_and_b32_e32 v2, 0x80000000, v2
	v_or3_b32 v119, v1, v2, v0
.LBB364_272:                            ;   in Loop: Header=BB364_10 Depth=1
	s_or_b32 exec_lo, exec_lo, s19
.LBB364_273:                            ;   in Loop: Header=BB364_10 Depth=1
	s_or_b32 exec_lo, exec_lo, s18
.LBB364_274:                            ;   in Loop: Header=BB364_10 Depth=1
	s_or_b32 exec_lo, exec_lo, s6
	v_cmp_ne_u16_sdwa s5, v24, v13 src0_sel:BYTE_1 src1_sel:DWORD
	v_mov_b32_e32 v41, 0
	v_mov_b32_e32 v40, 0
	s_and_saveexec_b32 s6, s5
	s_cbranch_execz .LBB364_282
; %bb.275:                              ;   in Loop: Header=BB364_10 Depth=1
	v_cmp_ne_u16_sdwa s5, v24, v48 src0_sel:BYTE_1 src1_sel:DWORD
	v_bfrev_b32_e32 v40, 1
	s_and_saveexec_b32 s18, s5
	s_cbranch_execz .LBB364_281
; %bb.276:                              ;   in Loop: Header=BB364_10 Depth=1
	v_mov_b32_e32 v0, 0xffff
	v_mov_b32_e32 v40, 0x7f800001
	s_mov_b32 s19, exec_lo
	v_and_b32_sdwa v0, v0, v24 dst_sel:DWORD dst_unused:UNUSED_PAD src0_sel:DWORD src1_sel:BYTE_1
	v_and_b32_e32 v1, 0x7f, v0
	v_cmpx_ne_u32_e32 0x7f, v1
	s_cbranch_execz .LBB364_280
; %bb.277:                              ;   in Loop: Header=BB364_10 Depth=1
	v_and_b32_e32 v12, 7, v0
	v_mov_b32_e32 v27, v13
	v_lshrrev_b32_e32 v0, 3, v1
	s_mov_b32 s20, exec_lo
	v_mov_b32_e32 v26, v12
	v_cmpx_gt_u32_e32 8, v1
; %bb.278:                              ;   in Loop: Header=BB364_10 Depth=1
	v_ffbh_u32_e32 v0, v12
	v_min_u32_e32 v0, 32, v0
	v_subrev_nc_u32_e32 v1, 28, v0
	v_sub_nc_u32_e32 v0, 29, v0
	v_lshlrev_b64 v[1:2], v1, v[12:13]
	v_and_b32_e32 v26, 7, v1
; %bb.279:                              ;   in Loop: Header=BB364_10 Depth=1
	s_or_b32 exec_lo, exec_lo, s20
	v_lshlrev_b32_e32 v1, 16, v24
	v_lshlrev_b32_e32 v2, 20, v26
	v_lshl_add_u32 v0, v0, 23, 0x3c000000
	v_and_b32_e32 v1, 0x80000000, v1
	v_or3_b32 v40, v2, v1, v0
.LBB364_280:                            ;   in Loop: Header=BB364_10 Depth=1
	s_or_b32 exec_lo, exec_lo, s19
.LBB364_281:                            ;   in Loop: Header=BB364_10 Depth=1
	s_or_b32 exec_lo, exec_lo, s18
.LBB364_282:                            ;   in Loop: Header=BB364_10 Depth=1
	s_or_b32 exec_lo, exec_lo, s6
	v_and_b32_sdwa v0, v24, v50 dst_sel:DWORD dst_unused:UNUSED_PAD src0_sel:WORD_1 src1_sel:DWORD
	s_mov_b32 s6, exec_lo
	v_cmpx_ne_u16_e32 0, v0
	s_cbranch_execz .LBB364_290
; %bb.283:                              ;   in Loop: Header=BB364_10 Depth=1
	v_bfrev_b32_e32 v41, 1
	s_mov_b32 s18, exec_lo
	v_cmpx_ne_u16_e32 0x80, v0
	s_cbranch_execz .LBB364_289
; %bb.284:                              ;   in Loop: Header=BB364_10 Depth=1
	v_bfe_u32 v1, v24, 16, 7
	v_mov_b32_e32 v41, 0x7f800001
	s_mov_b32 s19, exec_lo
	v_cmpx_ne_u32_e32 0x7f, v1
	s_cbranch_execz .LBB364_288
; %bb.285:                              ;   in Loop: Header=BB364_10 Depth=1
	v_and_b32_sdwa v12, v24, v51 dst_sel:DWORD dst_unused:UNUSED_PAD src0_sel:WORD_1 src1_sel:DWORD
	v_mov_b32_e32 v27, v13
	v_lshrrev_b32_e32 v0, 3, v1
	s_mov_b32 s20, exec_lo
	v_mov_b32_e32 v26, v12
	v_cmpx_gt_u32_e32 8, v1
; %bb.286:                              ;   in Loop: Header=BB364_10 Depth=1
	v_ffbh_u32_e32 v0, v12
	v_min_u32_e32 v0, 32, v0
	v_subrev_nc_u32_e32 v1, 28, v0
	v_sub_nc_u32_e32 v0, 29, v0
	v_lshlrev_b64 v[1:2], v1, v[12:13]
	v_and_b32_e32 v26, 7, v1
; %bb.287:                              ;   in Loop: Header=BB364_10 Depth=1
	s_or_b32 exec_lo, exec_lo, s20
	v_lshlrev_b32_sdwa v1, v52, v24 dst_sel:DWORD dst_unused:UNUSED_PAD src0_sel:DWORD src1_sel:WORD_1
	v_lshlrev_b32_e32 v2, 20, v26
	v_lshl_add_u32 v0, v0, 23, 0x3c000000
	v_and_b32_e32 v1, 0x80000000, v1
	v_or3_b32 v41, v2, v1, v0
.LBB364_288:                            ;   in Loop: Header=BB364_10 Depth=1
	s_or_b32 exec_lo, exec_lo, s19
.LBB364_289:                            ;   in Loop: Header=BB364_10 Depth=1
	s_or_b32 exec_lo, exec_lo, s18
.LBB364_290:                            ;   in Loop: Header=BB364_10 Depth=1
	s_or_b32 exec_lo, exec_lo, s6
	v_mov_b32_e32 v43, 0
	v_mov_b32_e32 v42, 0
	s_mov_b32 s6, exec_lo
	v_cmpx_lt_u32_e32 0xffffff, v24
	s_cbranch_execz .LBB364_298
; %bb.291:                              ;   in Loop: Header=BB364_10 Depth=1
	v_cmp_ne_u32_sdwa s5, v24, v48 src0_sel:BYTE_3 src1_sel:DWORD
	v_bfrev_b32_e32 v42, 1
	s_and_saveexec_b32 s18, s5
	s_cbranch_execz .LBB364_297
; %bb.292:                              ;   in Loop: Header=BB364_10 Depth=1
	v_bfe_u32 v1, v24, 24, 7
	v_mov_b32_e32 v42, 0x7f800001
	s_mov_b32 s19, exec_lo
	v_cmpx_ne_u32_e32 0x7f, v1
	s_cbranch_execz .LBB364_296
; %bb.293:                              ;   in Loop: Header=BB364_10 Depth=1
	v_and_b32_sdwa v12, v24, v51 dst_sel:DWORD dst_unused:UNUSED_PAD src0_sel:BYTE_3 src1_sel:DWORD
	v_mov_b32_e32 v27, v13
	v_lshrrev_b32_e32 v0, 3, v1
	s_mov_b32 s20, exec_lo
	v_mov_b32_e32 v26, v12
	v_cmpx_gt_u32_e32 8, v1
; %bb.294:                              ;   in Loop: Header=BB364_10 Depth=1
	v_ffbh_u32_e32 v0, v12
	v_min_u32_e32 v0, 32, v0
	v_subrev_nc_u32_e32 v1, 28, v0
	v_sub_nc_u32_e32 v0, 29, v0
	v_lshlrev_b64 v[1:2], v1, v[12:13]
	v_and_b32_e32 v26, 7, v1
; %bb.295:                              ;   in Loop: Header=BB364_10 Depth=1
	s_or_b32 exec_lo, exec_lo, s20
	v_lshlrev_b32_sdwa v1, v52, v24 dst_sel:DWORD dst_unused:UNUSED_PAD src0_sel:DWORD src1_sel:BYTE_3
	v_lshlrev_b32_e32 v2, 20, v26
	v_lshl_add_u32 v0, v0, 23, 0x3c000000
	v_and_b32_e32 v1, 0x80000000, v1
	v_or3_b32 v42, v2, v1, v0
.LBB364_296:                            ;   in Loop: Header=BB364_10 Depth=1
	s_or_b32 exec_lo, exec_lo, s19
.LBB364_297:                            ;   in Loop: Header=BB364_10 Depth=1
	s_or_b32 exec_lo, exec_lo, s18
.LBB364_298:                            ;   in Loop: Header=BB364_10 Depth=1
	s_or_b32 exec_lo, exec_lo, s6
	v_mov_b32_e32 v12, v25
	v_cmp_ne_u16_sdwa s5, v25, v13 src0_sel:BYTE_0 src1_sel:DWORD
	s_and_saveexec_b32 s6, s5
	s_cbranch_execz .LBB364_306
; %bb.299:                              ;   in Loop: Header=BB364_10 Depth=1
	v_cmp_ne_u16_sdwa s5, v25, v48 src0_sel:BYTE_0 src1_sel:DWORD
	v_bfrev_b32_e32 v43, 1
	s_and_saveexec_b32 s18, s5
	s_cbranch_execz .LBB364_305
; %bb.300:                              ;   in Loop: Header=BB364_10 Depth=1
	v_and_b32_e32 v1, 0x7f, v25
	v_mov_b32_e32 v43, 0x7f800001
	s_mov_b32 s19, exec_lo
	v_cmpx_ne_u32_e32 0x7f, v1
	s_cbranch_execz .LBB364_304
; %bb.301:                              ;   in Loop: Header=BB364_10 Depth=1
	v_mov_b32_e32 v27, v13
	v_lshrrev_b32_e32 v0, 3, v1
	v_mov_b32_e32 v26, v12
	s_mov_b32 s20, exec_lo
	v_cmpx_gt_u32_e32 8, v1
; %bb.302:                              ;   in Loop: Header=BB364_10 Depth=1
	v_and_b32_e32 v0, 7, v25
	v_ffbh_u32_e32 v0, v0
	v_min_u32_e32 v0, 32, v0
	v_subrev_nc_u32_e32 v1, 28, v0
	v_sub_nc_u32_e32 v0, 29, v0
	v_lshlrev_b64 v[26:27], v1, v[12:13]
; %bb.303:                              ;   in Loop: Header=BB364_10 Depth=1
	s_or_b32 exec_lo, exec_lo, s20
	v_lshlrev_b32_e32 v1, 20, v26
	v_lshlrev_b32_e32 v2, 24, v12
	v_lshl_add_u32 v0, v0, 23, 0x3c000000
	v_and_b32_e32 v1, 0x700000, v1
	v_and_b32_e32 v2, 0x80000000, v2
	v_or3_b32 v43, v1, v2, v0
.LBB364_304:                            ;   in Loop: Header=BB364_10 Depth=1
	s_or_b32 exec_lo, exec_lo, s19
.LBB364_305:                            ;   in Loop: Header=BB364_10 Depth=1
	s_or_b32 exec_lo, exec_lo, s18
.LBB364_306:                            ;   in Loop: Header=BB364_10 Depth=1
	s_or_b32 exec_lo, exec_lo, s6
	v_cmp_ne_u16_sdwa s5, v12, v13 src0_sel:BYTE_1 src1_sel:DWORD
	v_mov_b32_e32 v44, 0
	v_mov_b32_e32 v45, 0
	s_and_saveexec_b32 s6, s5
	s_cbranch_execz .LBB364_314
; %bb.307:                              ;   in Loop: Header=BB364_10 Depth=1
	v_cmp_ne_u16_sdwa s5, v12, v48 src0_sel:BYTE_1 src1_sel:DWORD
	v_bfrev_b32_e32 v45, 1
	s_and_saveexec_b32 s18, s5
	s_cbranch_execz .LBB364_313
; %bb.308:                              ;   in Loop: Header=BB364_10 Depth=1
	v_mov_b32_e32 v0, 0xffff
	v_mov_b32_e32 v45, 0x7f800001
	s_mov_b32 s19, exec_lo
	v_and_b32_sdwa v0, v0, v12 dst_sel:DWORD dst_unused:UNUSED_PAD src0_sel:DWORD src1_sel:BYTE_1
	v_and_b32_e32 v1, 0x7f, v0
	v_cmpx_ne_u32_e32 0x7f, v1
	s_cbranch_execz .LBB364_312
; %bb.309:                              ;   in Loop: Header=BB364_10 Depth=1
	v_and_b32_e32 v26, 7, v0
	v_mov_b32_e32 v27, v13
	v_lshrrev_b32_e32 v0, 3, v1
	s_mov_b32 s20, exec_lo
	v_cmpx_gt_u32_e32 8, v1
; %bb.310:                              ;   in Loop: Header=BB364_10 Depth=1
	v_ffbh_u32_e32 v0, v26
	v_min_u32_e32 v0, 32, v0
	v_subrev_nc_u32_e32 v1, 28, v0
	v_sub_nc_u32_e32 v0, 29, v0
	v_lshlrev_b64 v[1:2], v1, v[26:27]
	v_and_b32_e32 v26, 7, v1
; %bb.311:                              ;   in Loop: Header=BB364_10 Depth=1
	s_or_b32 exec_lo, exec_lo, s20
	v_lshlrev_b32_e32 v1, 16, v12
	v_lshlrev_b32_e32 v2, 20, v26
	v_lshl_add_u32 v0, v0, 23, 0x3c000000
	v_and_b32_e32 v1, 0x80000000, v1
	v_or3_b32 v45, v2, v1, v0
.LBB364_312:                            ;   in Loop: Header=BB364_10 Depth=1
	s_or_b32 exec_lo, exec_lo, s19
.LBB364_313:                            ;   in Loop: Header=BB364_10 Depth=1
	s_or_b32 exec_lo, exec_lo, s18
.LBB364_314:                            ;   in Loop: Header=BB364_10 Depth=1
	s_or_b32 exec_lo, exec_lo, s6
	v_and_b32_sdwa v0, v25, v50 dst_sel:DWORD dst_unused:UNUSED_PAD src0_sel:WORD_1 src1_sel:DWORD
	s_mov_b32 s6, exec_lo
	v_cmpx_ne_u16_e32 0, v0
	s_cbranch_execz .LBB364_322
; %bb.315:                              ;   in Loop: Header=BB364_10 Depth=1
	v_bfrev_b32_e32 v44, 1
	s_mov_b32 s18, exec_lo
	v_cmpx_ne_u16_e32 0x80, v0
	s_cbranch_execz .LBB364_321
; %bb.316:                              ;   in Loop: Header=BB364_10 Depth=1
	v_bfe_u32 v1, v25, 16, 7
	v_mov_b32_e32 v44, 0x7f800001
	s_mov_b32 s19, exec_lo
	v_cmpx_ne_u32_e32 0x7f, v1
	s_cbranch_execz .LBB364_320
; %bb.317:                              ;   in Loop: Header=BB364_10 Depth=1
	v_and_b32_sdwa v12, v25, v51 dst_sel:DWORD dst_unused:UNUSED_PAD src0_sel:WORD_1 src1_sel:DWORD
	v_mov_b32_e32 v27, v13
	v_lshrrev_b32_e32 v0, 3, v1
	s_mov_b32 s20, exec_lo
	v_mov_b32_e32 v26, v12
	v_cmpx_gt_u32_e32 8, v1
; %bb.318:                              ;   in Loop: Header=BB364_10 Depth=1
	v_ffbh_u32_e32 v0, v12
	v_min_u32_e32 v0, 32, v0
	v_subrev_nc_u32_e32 v1, 28, v0
	v_sub_nc_u32_e32 v0, 29, v0
	v_lshlrev_b64 v[1:2], v1, v[12:13]
	v_and_b32_e32 v26, 7, v1
; %bb.319:                              ;   in Loop: Header=BB364_10 Depth=1
	s_or_b32 exec_lo, exec_lo, s20
	v_lshlrev_b32_sdwa v1, v52, v25 dst_sel:DWORD dst_unused:UNUSED_PAD src0_sel:DWORD src1_sel:WORD_1
	v_lshlrev_b32_e32 v2, 20, v26
	v_lshl_add_u32 v0, v0, 23, 0x3c000000
	v_and_b32_e32 v1, 0x80000000, v1
	v_or3_b32 v44, v2, v1, v0
.LBB364_320:                            ;   in Loop: Header=BB364_10 Depth=1
	s_or_b32 exec_lo, exec_lo, s19
.LBB364_321:                            ;   in Loop: Header=BB364_10 Depth=1
	s_or_b32 exec_lo, exec_lo, s18
.LBB364_322:                            ;   in Loop: Header=BB364_10 Depth=1
	s_or_b32 exec_lo, exec_lo, s6
	v_mov_b32_e32 v47, 0
	v_mov_b32_e32 v46, 0
	s_mov_b32 s6, exec_lo
	v_cmpx_lt_u64_e64 s[8:9], v[24:25]
	s_cbranch_execz .LBB364_330
; %bb.323:                              ;   in Loop: Header=BB364_10 Depth=1
	v_cmp_ne_u32_sdwa s5, v25, v48 src0_sel:BYTE_3 src1_sel:DWORD
	v_bfrev_b32_e32 v46, 1
	s_and_saveexec_b32 s18, s5
	s_cbranch_execz .LBB364_329
; %bb.324:                              ;   in Loop: Header=BB364_10 Depth=1
	v_bfe_u32 v1, v25, 24, 7
	v_mov_b32_e32 v46, 0x7f800001
	s_mov_b32 s19, exec_lo
	v_cmpx_ne_u32_e32 0x7f, v1
	s_cbranch_execz .LBB364_328
; %bb.325:                              ;   in Loop: Header=BB364_10 Depth=1
	v_and_b32_sdwa v12, v25, v51 dst_sel:DWORD dst_unused:UNUSED_PAD src0_sel:BYTE_3 src1_sel:DWORD
	v_mov_b32_e32 v27, v13
	v_lshrrev_b32_e32 v0, 3, v1
	s_mov_b32 s20, exec_lo
	v_mov_b32_e32 v26, v12
	v_cmpx_gt_u32_e32 8, v1
; %bb.326:                              ;   in Loop: Header=BB364_10 Depth=1
	v_ffbh_u32_e32 v0, v12
	v_min_u32_e32 v0, 32, v0
	v_subrev_nc_u32_e32 v1, 28, v0
	v_sub_nc_u32_e32 v0, 29, v0
	v_lshlrev_b64 v[1:2], v1, v[12:13]
	v_and_b32_e32 v26, 7, v1
; %bb.327:                              ;   in Loop: Header=BB364_10 Depth=1
	s_or_b32 exec_lo, exec_lo, s20
	v_lshlrev_b32_sdwa v1, v52, v25 dst_sel:DWORD dst_unused:UNUSED_PAD src0_sel:DWORD src1_sel:BYTE_3
	v_lshlrev_b32_e32 v2, 20, v26
	v_lshl_add_u32 v0, v0, 23, 0x3c000000
	v_and_b32_e32 v1, 0x80000000, v1
	v_or3_b32 v46, v2, v1, v0
.LBB364_328:                            ;   in Loop: Header=BB364_10 Depth=1
	s_or_b32 exec_lo, exec_lo, s19
.LBB364_329:                            ;   in Loop: Header=BB364_10 Depth=1
	s_or_b32 exec_lo, exec_lo, s18
.LBB364_330:                            ;   in Loop: Header=BB364_10 Depth=1
	s_or_b32 exec_lo, exec_lo, s6
	flat_load_dwordx2 v[24:25], v[16:17] offset:1032
	s_waitcnt vmcnt(0) lgkmcnt(0)
	v_cmp_ne_u16_sdwa s5, v24, v13 src0_sel:BYTE_0 src1_sel:DWORD
	s_and_saveexec_b32 s6, s5
	s_cbranch_execz .LBB364_338
; %bb.331:                              ;   in Loop: Header=BB364_10 Depth=1
	v_cmp_ne_u16_sdwa s5, v24, v48 src0_sel:BYTE_0 src1_sel:DWORD
	v_bfrev_b32_e32 v47, 1
	s_and_saveexec_b32 s18, s5
	s_cbranch_execz .LBB364_337
; %bb.332:                              ;   in Loop: Header=BB364_10 Depth=1
	v_and_b32_e32 v1, 0x7f, v24
	v_mov_b32_e32 v47, 0x7f800001
	s_mov_b32 s19, exec_lo
	v_cmpx_ne_u32_e32 0x7f, v1
	s_cbranch_execz .LBB364_336
; %bb.333:                              ;   in Loop: Header=BB364_10 Depth=1
	v_mov_b32_e32 v27, v25
	v_lshrrev_b32_e32 v0, 3, v1
	v_mov_b32_e32 v26, v24
	s_mov_b32 s20, exec_lo
	v_cmpx_gt_u32_e32 8, v1
; %bb.334:                              ;   in Loop: Header=BB364_10 Depth=1
	v_and_b32_e32 v0, 7, v24
	v_ffbh_u32_e32 v0, v0
	v_min_u32_e32 v0, 32, v0
	v_subrev_nc_u32_e32 v1, 28, v0
	v_sub_nc_u32_e32 v0, 29, v0
	v_lshlrev_b64 v[26:27], v1, v[24:25]
; %bb.335:                              ;   in Loop: Header=BB364_10 Depth=1
	s_or_b32 exec_lo, exec_lo, s20
	v_lshlrev_b32_e32 v1, 20, v26
	v_lshlrev_b32_e32 v2, 24, v24
	v_lshl_add_u32 v0, v0, 23, 0x3c000000
	v_and_b32_e32 v1, 0x700000, v1
	v_and_b32_e32 v2, 0x80000000, v2
	v_or3_b32 v47, v1, v2, v0
.LBB364_336:                            ;   in Loop: Header=BB364_10 Depth=1
	s_or_b32 exec_lo, exec_lo, s19
.LBB364_337:                            ;   in Loop: Header=BB364_10 Depth=1
	s_or_b32 exec_lo, exec_lo, s18
.LBB364_338:                            ;   in Loop: Header=BB364_10 Depth=1
	s_or_b32 exec_lo, exec_lo, s6
	v_cmp_ne_u16_sdwa s5, v24, v13 src0_sel:BYTE_1 src1_sel:DWORD
	v_mov_b32_e32 v57, 0
	v_mov_b32_e32 v56, 0
	s_and_saveexec_b32 s6, s5
	s_cbranch_execz .LBB364_346
; %bb.339:                              ;   in Loop: Header=BB364_10 Depth=1
	v_cmp_ne_u16_sdwa s5, v24, v48 src0_sel:BYTE_1 src1_sel:DWORD
	v_bfrev_b32_e32 v56, 1
	s_and_saveexec_b32 s18, s5
	s_cbranch_execz .LBB364_345
; %bb.340:                              ;   in Loop: Header=BB364_10 Depth=1
	v_mov_b32_e32 v0, 0xffff
	v_mov_b32_e32 v56, 0x7f800001
	s_mov_b32 s19, exec_lo
	v_and_b32_sdwa v0, v0, v24 dst_sel:DWORD dst_unused:UNUSED_PAD src0_sel:DWORD src1_sel:BYTE_1
	v_and_b32_e32 v1, 0x7f, v0
	v_cmpx_ne_u32_e32 0x7f, v1
	s_cbranch_execz .LBB364_344
; %bb.341:                              ;   in Loop: Header=BB364_10 Depth=1
	v_and_b32_e32 v12, 7, v0
	v_mov_b32_e32 v27, v13
	v_lshrrev_b32_e32 v0, 3, v1
	s_mov_b32 s20, exec_lo
	v_mov_b32_e32 v26, v12
	v_cmpx_gt_u32_e32 8, v1
; %bb.342:                              ;   in Loop: Header=BB364_10 Depth=1
	v_ffbh_u32_e32 v0, v12
	v_min_u32_e32 v0, 32, v0
	v_subrev_nc_u32_e32 v1, 28, v0
	v_sub_nc_u32_e32 v0, 29, v0
	v_lshlrev_b64 v[1:2], v1, v[12:13]
	v_and_b32_e32 v26, 7, v1
; %bb.343:                              ;   in Loop: Header=BB364_10 Depth=1
	s_or_b32 exec_lo, exec_lo, s20
	v_lshlrev_b32_e32 v1, 16, v24
	v_lshlrev_b32_e32 v2, 20, v26
	v_lshl_add_u32 v0, v0, 23, 0x3c000000
	v_and_b32_e32 v1, 0x80000000, v1
	v_or3_b32 v56, v2, v1, v0
.LBB364_344:                            ;   in Loop: Header=BB364_10 Depth=1
	s_or_b32 exec_lo, exec_lo, s19
.LBB364_345:                            ;   in Loop: Header=BB364_10 Depth=1
	s_or_b32 exec_lo, exec_lo, s18
.LBB364_346:                            ;   in Loop: Header=BB364_10 Depth=1
	s_or_b32 exec_lo, exec_lo, s6
	v_and_b32_sdwa v0, v24, v50 dst_sel:DWORD dst_unused:UNUSED_PAD src0_sel:WORD_1 src1_sel:DWORD
	s_mov_b32 s6, exec_lo
	v_cmpx_ne_u16_e32 0, v0
	s_cbranch_execz .LBB364_354
; %bb.347:                              ;   in Loop: Header=BB364_10 Depth=1
	v_bfrev_b32_e32 v57, 1
	s_mov_b32 s18, exec_lo
	v_cmpx_ne_u16_e32 0x80, v0
	s_cbranch_execz .LBB364_353
; %bb.348:                              ;   in Loop: Header=BB364_10 Depth=1
	v_bfe_u32 v1, v24, 16, 7
	v_mov_b32_e32 v57, 0x7f800001
	s_mov_b32 s19, exec_lo
	v_cmpx_ne_u32_e32 0x7f, v1
	s_cbranch_execz .LBB364_352
; %bb.349:                              ;   in Loop: Header=BB364_10 Depth=1
	v_and_b32_sdwa v12, v24, v51 dst_sel:DWORD dst_unused:UNUSED_PAD src0_sel:WORD_1 src1_sel:DWORD
	v_mov_b32_e32 v27, v13
	v_lshrrev_b32_e32 v0, 3, v1
	s_mov_b32 s20, exec_lo
	v_mov_b32_e32 v26, v12
	v_cmpx_gt_u32_e32 8, v1
; %bb.350:                              ;   in Loop: Header=BB364_10 Depth=1
	v_ffbh_u32_e32 v0, v12
	v_min_u32_e32 v0, 32, v0
	v_subrev_nc_u32_e32 v1, 28, v0
	v_sub_nc_u32_e32 v0, 29, v0
	v_lshlrev_b64 v[1:2], v1, v[12:13]
	v_and_b32_e32 v26, 7, v1
; %bb.351:                              ;   in Loop: Header=BB364_10 Depth=1
	s_or_b32 exec_lo, exec_lo, s20
	v_lshlrev_b32_sdwa v1, v52, v24 dst_sel:DWORD dst_unused:UNUSED_PAD src0_sel:DWORD src1_sel:WORD_1
	v_lshlrev_b32_e32 v2, 20, v26
	v_lshl_add_u32 v0, v0, 23, 0x3c000000
	v_and_b32_e32 v1, 0x80000000, v1
	v_or3_b32 v57, v2, v1, v0
.LBB364_352:                            ;   in Loop: Header=BB364_10 Depth=1
	s_or_b32 exec_lo, exec_lo, s19
.LBB364_353:                            ;   in Loop: Header=BB364_10 Depth=1
	s_or_b32 exec_lo, exec_lo, s18
.LBB364_354:                            ;   in Loop: Header=BB364_10 Depth=1
	s_or_b32 exec_lo, exec_lo, s6
	v_mov_b32_e32 v59, 0
	v_mov_b32_e32 v58, 0
	s_mov_b32 s6, exec_lo
	v_cmpx_lt_u32_e32 0xffffff, v24
	s_cbranch_execz .LBB364_362
; %bb.355:                              ;   in Loop: Header=BB364_10 Depth=1
	v_cmp_ne_u32_sdwa s5, v24, v48 src0_sel:BYTE_3 src1_sel:DWORD
	v_bfrev_b32_e32 v58, 1
	s_and_saveexec_b32 s18, s5
	s_cbranch_execz .LBB364_361
; %bb.356:                              ;   in Loop: Header=BB364_10 Depth=1
	v_bfe_u32 v1, v24, 24, 7
	v_mov_b32_e32 v58, 0x7f800001
	s_mov_b32 s19, exec_lo
	v_cmpx_ne_u32_e32 0x7f, v1
	s_cbranch_execz .LBB364_360
; %bb.357:                              ;   in Loop: Header=BB364_10 Depth=1
	v_and_b32_sdwa v12, v24, v51 dst_sel:DWORD dst_unused:UNUSED_PAD src0_sel:BYTE_3 src1_sel:DWORD
	v_mov_b32_e32 v27, v13
	v_lshrrev_b32_e32 v0, 3, v1
	s_mov_b32 s20, exec_lo
	v_mov_b32_e32 v26, v12
	v_cmpx_gt_u32_e32 8, v1
; %bb.358:                              ;   in Loop: Header=BB364_10 Depth=1
	v_ffbh_u32_e32 v0, v12
	v_min_u32_e32 v0, 32, v0
	v_subrev_nc_u32_e32 v1, 28, v0
	v_sub_nc_u32_e32 v0, 29, v0
	v_lshlrev_b64 v[1:2], v1, v[12:13]
	v_and_b32_e32 v26, 7, v1
; %bb.359:                              ;   in Loop: Header=BB364_10 Depth=1
	s_or_b32 exec_lo, exec_lo, s20
	v_lshlrev_b32_sdwa v1, v52, v24 dst_sel:DWORD dst_unused:UNUSED_PAD src0_sel:DWORD src1_sel:BYTE_3
	v_lshlrev_b32_e32 v2, 20, v26
	v_lshl_add_u32 v0, v0, 23, 0x3c000000
	v_and_b32_e32 v1, 0x80000000, v1
	v_or3_b32 v58, v2, v1, v0
.LBB364_360:                            ;   in Loop: Header=BB364_10 Depth=1
	s_or_b32 exec_lo, exec_lo, s19
.LBB364_361:                            ;   in Loop: Header=BB364_10 Depth=1
	s_or_b32 exec_lo, exec_lo, s18
.LBB364_362:                            ;   in Loop: Header=BB364_10 Depth=1
	s_or_b32 exec_lo, exec_lo, s6
	v_mov_b32_e32 v12, v25
	v_cmp_ne_u16_sdwa s5, v25, v13 src0_sel:BYTE_0 src1_sel:DWORD
	s_and_saveexec_b32 s6, s5
	s_cbranch_execz .LBB364_370
; %bb.363:                              ;   in Loop: Header=BB364_10 Depth=1
	v_cmp_ne_u16_sdwa s5, v25, v48 src0_sel:BYTE_0 src1_sel:DWORD
	v_bfrev_b32_e32 v59, 1
	s_and_saveexec_b32 s18, s5
	s_cbranch_execz .LBB364_369
; %bb.364:                              ;   in Loop: Header=BB364_10 Depth=1
	v_and_b32_e32 v1, 0x7f, v25
	v_mov_b32_e32 v59, 0x7f800001
	s_mov_b32 s19, exec_lo
	v_cmpx_ne_u32_e32 0x7f, v1
	s_cbranch_execz .LBB364_368
; %bb.365:                              ;   in Loop: Header=BB364_10 Depth=1
	v_mov_b32_e32 v27, v13
	v_lshrrev_b32_e32 v0, 3, v1
	v_mov_b32_e32 v26, v12
	s_mov_b32 s20, exec_lo
	v_cmpx_gt_u32_e32 8, v1
; %bb.366:                              ;   in Loop: Header=BB364_10 Depth=1
	v_and_b32_e32 v0, 7, v25
	v_ffbh_u32_e32 v0, v0
	v_min_u32_e32 v0, 32, v0
	v_subrev_nc_u32_e32 v1, 28, v0
	v_sub_nc_u32_e32 v0, 29, v0
	v_lshlrev_b64 v[26:27], v1, v[12:13]
; %bb.367:                              ;   in Loop: Header=BB364_10 Depth=1
	s_or_b32 exec_lo, exec_lo, s20
	v_lshlrev_b32_e32 v1, 20, v26
	v_lshlrev_b32_e32 v2, 24, v12
	v_lshl_add_u32 v0, v0, 23, 0x3c000000
	v_and_b32_e32 v1, 0x700000, v1
	v_and_b32_e32 v2, 0x80000000, v2
	v_or3_b32 v59, v1, v2, v0
.LBB364_368:                            ;   in Loop: Header=BB364_10 Depth=1
	s_or_b32 exec_lo, exec_lo, s19
.LBB364_369:                            ;   in Loop: Header=BB364_10 Depth=1
	s_or_b32 exec_lo, exec_lo, s18
.LBB364_370:                            ;   in Loop: Header=BB364_10 Depth=1
	s_or_b32 exec_lo, exec_lo, s6
	v_cmp_ne_u16_sdwa s5, v12, v13 src0_sel:BYTE_1 src1_sel:DWORD
	v_mov_b32_e32 v60, 0
	v_mov_b32_e32 v61, 0
	s_and_saveexec_b32 s6, s5
	s_cbranch_execz .LBB364_378
; %bb.371:                              ;   in Loop: Header=BB364_10 Depth=1
	v_cmp_ne_u16_sdwa s5, v12, v48 src0_sel:BYTE_1 src1_sel:DWORD
	v_bfrev_b32_e32 v61, 1
	s_and_saveexec_b32 s18, s5
	s_cbranch_execz .LBB364_377
; %bb.372:                              ;   in Loop: Header=BB364_10 Depth=1
	v_mov_b32_e32 v0, 0xffff
	v_mov_b32_e32 v61, 0x7f800001
	s_mov_b32 s19, exec_lo
	v_and_b32_sdwa v0, v0, v12 dst_sel:DWORD dst_unused:UNUSED_PAD src0_sel:DWORD src1_sel:BYTE_1
	v_and_b32_e32 v1, 0x7f, v0
	v_cmpx_ne_u32_e32 0x7f, v1
	s_cbranch_execz .LBB364_376
; %bb.373:                              ;   in Loop: Header=BB364_10 Depth=1
	v_and_b32_e32 v26, 7, v0
	v_mov_b32_e32 v27, v13
	v_lshrrev_b32_e32 v0, 3, v1
	s_mov_b32 s20, exec_lo
	v_cmpx_gt_u32_e32 8, v1
; %bb.374:                              ;   in Loop: Header=BB364_10 Depth=1
	v_ffbh_u32_e32 v0, v26
	v_min_u32_e32 v0, 32, v0
	v_subrev_nc_u32_e32 v1, 28, v0
	v_sub_nc_u32_e32 v0, 29, v0
	v_lshlrev_b64 v[1:2], v1, v[26:27]
	v_and_b32_e32 v26, 7, v1
; %bb.375:                              ;   in Loop: Header=BB364_10 Depth=1
	s_or_b32 exec_lo, exec_lo, s20
	v_lshlrev_b32_e32 v1, 16, v12
	v_lshlrev_b32_e32 v2, 20, v26
	v_lshl_add_u32 v0, v0, 23, 0x3c000000
	v_and_b32_e32 v1, 0x80000000, v1
	v_or3_b32 v61, v2, v1, v0
.LBB364_376:                            ;   in Loop: Header=BB364_10 Depth=1
	s_or_b32 exec_lo, exec_lo, s19
.LBB364_377:                            ;   in Loop: Header=BB364_10 Depth=1
	s_or_b32 exec_lo, exec_lo, s18
.LBB364_378:                            ;   in Loop: Header=BB364_10 Depth=1
	s_or_b32 exec_lo, exec_lo, s6
	v_and_b32_sdwa v0, v25, v50 dst_sel:DWORD dst_unused:UNUSED_PAD src0_sel:WORD_1 src1_sel:DWORD
	s_mov_b32 s6, exec_lo
	v_cmpx_ne_u16_e32 0, v0
	s_cbranch_execz .LBB364_386
; %bb.379:                              ;   in Loop: Header=BB364_10 Depth=1
	v_bfrev_b32_e32 v60, 1
	s_mov_b32 s18, exec_lo
	v_cmpx_ne_u16_e32 0x80, v0
	s_cbranch_execz .LBB364_385
; %bb.380:                              ;   in Loop: Header=BB364_10 Depth=1
	v_bfe_u32 v1, v25, 16, 7
	v_mov_b32_e32 v60, 0x7f800001
	s_mov_b32 s19, exec_lo
	v_cmpx_ne_u32_e32 0x7f, v1
	s_cbranch_execz .LBB364_384
; %bb.381:                              ;   in Loop: Header=BB364_10 Depth=1
	v_and_b32_sdwa v12, v25, v51 dst_sel:DWORD dst_unused:UNUSED_PAD src0_sel:WORD_1 src1_sel:DWORD
	v_mov_b32_e32 v27, v13
	v_lshrrev_b32_e32 v0, 3, v1
	s_mov_b32 s20, exec_lo
	v_mov_b32_e32 v26, v12
	v_cmpx_gt_u32_e32 8, v1
; %bb.382:                              ;   in Loop: Header=BB364_10 Depth=1
	v_ffbh_u32_e32 v0, v12
	v_min_u32_e32 v0, 32, v0
	v_subrev_nc_u32_e32 v1, 28, v0
	v_sub_nc_u32_e32 v0, 29, v0
	v_lshlrev_b64 v[1:2], v1, v[12:13]
	v_and_b32_e32 v26, 7, v1
; %bb.383:                              ;   in Loop: Header=BB364_10 Depth=1
	s_or_b32 exec_lo, exec_lo, s20
	v_lshlrev_b32_sdwa v1, v52, v25 dst_sel:DWORD dst_unused:UNUSED_PAD src0_sel:DWORD src1_sel:WORD_1
	v_lshlrev_b32_e32 v2, 20, v26
	v_lshl_add_u32 v0, v0, 23, 0x3c000000
	v_and_b32_e32 v1, 0x80000000, v1
	v_or3_b32 v60, v2, v1, v0
.LBB364_384:                            ;   in Loop: Header=BB364_10 Depth=1
	s_or_b32 exec_lo, exec_lo, s19
.LBB364_385:                            ;   in Loop: Header=BB364_10 Depth=1
	s_or_b32 exec_lo, exec_lo, s18
.LBB364_386:                            ;   in Loop: Header=BB364_10 Depth=1
	s_or_b32 exec_lo, exec_lo, s6
	v_mov_b32_e32 v63, 0
	v_mov_b32_e32 v62, 0
	s_mov_b32 s6, exec_lo
	v_cmpx_lt_u64_e64 s[8:9], v[24:25]
	s_cbranch_execz .LBB364_394
; %bb.387:                              ;   in Loop: Header=BB364_10 Depth=1
	v_cmp_ne_u32_sdwa s5, v25, v48 src0_sel:BYTE_3 src1_sel:DWORD
	v_bfrev_b32_e32 v62, 1
	s_and_saveexec_b32 s18, s5
	s_cbranch_execz .LBB364_393
; %bb.388:                              ;   in Loop: Header=BB364_10 Depth=1
	v_bfe_u32 v1, v25, 24, 7
	v_mov_b32_e32 v62, 0x7f800001
	s_mov_b32 s19, exec_lo
	v_cmpx_ne_u32_e32 0x7f, v1
	s_cbranch_execz .LBB364_392
; %bb.389:                              ;   in Loop: Header=BB364_10 Depth=1
	v_and_b32_sdwa v12, v25, v51 dst_sel:DWORD dst_unused:UNUSED_PAD src0_sel:BYTE_3 src1_sel:DWORD
	v_mov_b32_e32 v27, v13
	v_lshrrev_b32_e32 v0, 3, v1
	s_mov_b32 s20, exec_lo
	v_mov_b32_e32 v26, v12
	v_cmpx_gt_u32_e32 8, v1
; %bb.390:                              ;   in Loop: Header=BB364_10 Depth=1
	v_ffbh_u32_e32 v0, v12
	v_min_u32_e32 v0, 32, v0
	v_subrev_nc_u32_e32 v1, 28, v0
	v_sub_nc_u32_e32 v0, 29, v0
	v_lshlrev_b64 v[1:2], v1, v[12:13]
	v_and_b32_e32 v26, 7, v1
; %bb.391:                              ;   in Loop: Header=BB364_10 Depth=1
	s_or_b32 exec_lo, exec_lo, s20
	v_lshlrev_b32_sdwa v1, v52, v25 dst_sel:DWORD dst_unused:UNUSED_PAD src0_sel:DWORD src1_sel:BYTE_3
	v_lshlrev_b32_e32 v2, 20, v26
	v_lshl_add_u32 v0, v0, 23, 0x3c000000
	v_and_b32_e32 v1, 0x80000000, v1
	v_or3_b32 v62, v2, v1, v0
.LBB364_392:                            ;   in Loop: Header=BB364_10 Depth=1
	s_or_b32 exec_lo, exec_lo, s19
.LBB364_393:                            ;   in Loop: Header=BB364_10 Depth=1
	s_or_b32 exec_lo, exec_lo, s18
.LBB364_394:                            ;   in Loop: Header=BB364_10 Depth=1
	s_or_b32 exec_lo, exec_lo, s6
	flat_load_dwordx2 v[24:25], v[16:17] offset:1536
	s_waitcnt vmcnt(0) lgkmcnt(0)
	v_cmp_ne_u16_sdwa s5, v24, v13 src0_sel:BYTE_0 src1_sel:DWORD
	s_and_saveexec_b32 s6, s5
	s_cbranch_execz .LBB364_402
; %bb.395:                              ;   in Loop: Header=BB364_10 Depth=1
	v_cmp_ne_u16_sdwa s5, v24, v48 src0_sel:BYTE_0 src1_sel:DWORD
	v_bfrev_b32_e32 v63, 1
	s_and_saveexec_b32 s18, s5
	s_cbranch_execz .LBB364_401
; %bb.396:                              ;   in Loop: Header=BB364_10 Depth=1
	v_and_b32_e32 v1, 0x7f, v24
	v_mov_b32_e32 v63, 0x7f800001
	s_mov_b32 s19, exec_lo
	v_cmpx_ne_u32_e32 0x7f, v1
	s_cbranch_execz .LBB364_400
; %bb.397:                              ;   in Loop: Header=BB364_10 Depth=1
	v_mov_b32_e32 v27, v25
	v_lshrrev_b32_e32 v0, 3, v1
	v_mov_b32_e32 v26, v24
	s_mov_b32 s20, exec_lo
	v_cmpx_gt_u32_e32 8, v1
; %bb.398:                              ;   in Loop: Header=BB364_10 Depth=1
	v_and_b32_e32 v0, 7, v24
	v_ffbh_u32_e32 v0, v0
	v_min_u32_e32 v0, 32, v0
	v_subrev_nc_u32_e32 v1, 28, v0
	v_sub_nc_u32_e32 v0, 29, v0
	v_lshlrev_b64 v[26:27], v1, v[24:25]
; %bb.399:                              ;   in Loop: Header=BB364_10 Depth=1
	s_or_b32 exec_lo, exec_lo, s20
	v_lshlrev_b32_e32 v1, 20, v26
	v_lshlrev_b32_e32 v2, 24, v24
	v_lshl_add_u32 v0, v0, 23, 0x3c000000
	v_and_b32_e32 v1, 0x700000, v1
	v_and_b32_e32 v2, 0x80000000, v2
	v_or3_b32 v63, v1, v2, v0
.LBB364_400:                            ;   in Loop: Header=BB364_10 Depth=1
	s_or_b32 exec_lo, exec_lo, s19
.LBB364_401:                            ;   in Loop: Header=BB364_10 Depth=1
	s_or_b32 exec_lo, exec_lo, s18
.LBB364_402:                            ;   in Loop: Header=BB364_10 Depth=1
	s_or_b32 exec_lo, exec_lo, s6
	v_cmp_ne_u16_sdwa s5, v24, v13 src0_sel:BYTE_1 src1_sel:DWORD
	v_mov_b32_e32 v72, 0
	v_mov_b32_e32 v32, 0
	s_and_saveexec_b32 s6, s5
	s_cbranch_execz .LBB364_410
; %bb.403:                              ;   in Loop: Header=BB364_10 Depth=1
	v_cmp_ne_u16_sdwa s5, v24, v48 src0_sel:BYTE_1 src1_sel:DWORD
	v_bfrev_b32_e32 v32, 1
	s_and_saveexec_b32 s18, s5
	s_cbranch_execz .LBB364_409
; %bb.404:                              ;   in Loop: Header=BB364_10 Depth=1
	v_mov_b32_e32 v0, 0xffff
	v_mov_b32_e32 v32, 0x7f800001
	s_mov_b32 s19, exec_lo
	v_and_b32_sdwa v0, v0, v24 dst_sel:DWORD dst_unused:UNUSED_PAD src0_sel:DWORD src1_sel:BYTE_1
	v_and_b32_e32 v1, 0x7f, v0
	v_cmpx_ne_u32_e32 0x7f, v1
	s_cbranch_execz .LBB364_408
; %bb.405:                              ;   in Loop: Header=BB364_10 Depth=1
	v_and_b32_e32 v12, 7, v0
	v_mov_b32_e32 v27, v13
	v_lshrrev_b32_e32 v0, 3, v1
	s_mov_b32 s20, exec_lo
	v_mov_b32_e32 v26, v12
	v_cmpx_gt_u32_e32 8, v1
; %bb.406:                              ;   in Loop: Header=BB364_10 Depth=1
	v_ffbh_u32_e32 v0, v12
	v_min_u32_e32 v0, 32, v0
	v_subrev_nc_u32_e32 v1, 28, v0
	v_sub_nc_u32_e32 v0, 29, v0
	v_lshlrev_b64 v[1:2], v1, v[12:13]
	v_and_b32_e32 v26, 7, v1
; %bb.407:                              ;   in Loop: Header=BB364_10 Depth=1
	s_or_b32 exec_lo, exec_lo, s20
	v_lshlrev_b32_e32 v1, 16, v24
	v_lshlrev_b32_e32 v2, 20, v26
	v_lshl_add_u32 v0, v0, 23, 0x3c000000
	v_and_b32_e32 v1, 0x80000000, v1
	v_or3_b32 v32, v2, v1, v0
.LBB364_408:                            ;   in Loop: Header=BB364_10 Depth=1
	s_or_b32 exec_lo, exec_lo, s19
.LBB364_409:                            ;   in Loop: Header=BB364_10 Depth=1
	s_or_b32 exec_lo, exec_lo, s18
.LBB364_410:                            ;   in Loop: Header=BB364_10 Depth=1
	s_or_b32 exec_lo, exec_lo, s6
	v_and_b32_sdwa v0, v24, v50 dst_sel:DWORD dst_unused:UNUSED_PAD src0_sel:WORD_1 src1_sel:DWORD
	s_mov_b32 s6, exec_lo
	v_cmpx_ne_u16_e32 0, v0
	s_cbranch_execz .LBB364_418
; %bb.411:                              ;   in Loop: Header=BB364_10 Depth=1
	v_bfrev_b32_e32 v72, 1
	s_mov_b32 s18, exec_lo
	v_cmpx_ne_u16_e32 0x80, v0
	s_cbranch_execz .LBB364_417
; %bb.412:                              ;   in Loop: Header=BB364_10 Depth=1
	v_bfe_u32 v1, v24, 16, 7
	v_mov_b32_e32 v72, 0x7f800001
	s_mov_b32 s19, exec_lo
	v_cmpx_ne_u32_e32 0x7f, v1
	s_cbranch_execz .LBB364_416
; %bb.413:                              ;   in Loop: Header=BB364_10 Depth=1
	v_and_b32_sdwa v12, v24, v51 dst_sel:DWORD dst_unused:UNUSED_PAD src0_sel:WORD_1 src1_sel:DWORD
	v_mov_b32_e32 v27, v13
	v_lshrrev_b32_e32 v0, 3, v1
	s_mov_b32 s20, exec_lo
	v_mov_b32_e32 v26, v12
	v_cmpx_gt_u32_e32 8, v1
; %bb.414:                              ;   in Loop: Header=BB364_10 Depth=1
	v_ffbh_u32_e32 v0, v12
	v_min_u32_e32 v0, 32, v0
	v_subrev_nc_u32_e32 v1, 28, v0
	v_sub_nc_u32_e32 v0, 29, v0
	v_lshlrev_b64 v[1:2], v1, v[12:13]
	v_and_b32_e32 v26, 7, v1
; %bb.415:                              ;   in Loop: Header=BB364_10 Depth=1
	s_or_b32 exec_lo, exec_lo, s20
	v_lshlrev_b32_sdwa v1, v52, v24 dst_sel:DWORD dst_unused:UNUSED_PAD src0_sel:DWORD src1_sel:WORD_1
	v_lshlrev_b32_e32 v2, 20, v26
	v_lshl_add_u32 v0, v0, 23, 0x3c000000
	v_and_b32_e32 v1, 0x80000000, v1
	v_or3_b32 v72, v2, v1, v0
.LBB364_416:                            ;   in Loop: Header=BB364_10 Depth=1
	s_or_b32 exec_lo, exec_lo, s19
.LBB364_417:                            ;   in Loop: Header=BB364_10 Depth=1
	s_or_b32 exec_lo, exec_lo, s18
.LBB364_418:                            ;   in Loop: Header=BB364_10 Depth=1
	s_or_b32 exec_lo, exec_lo, s6
	v_mov_b32_e32 v74, 0
	v_mov_b32_e32 v73, 0
	s_mov_b32 s6, exec_lo
	v_cmpx_lt_u32_e32 0xffffff, v24
	s_cbranch_execz .LBB364_426
; %bb.419:                              ;   in Loop: Header=BB364_10 Depth=1
	v_cmp_ne_u32_sdwa s5, v24, v48 src0_sel:BYTE_3 src1_sel:DWORD
	v_bfrev_b32_e32 v73, 1
	s_and_saveexec_b32 s18, s5
	s_cbranch_execz .LBB364_425
; %bb.420:                              ;   in Loop: Header=BB364_10 Depth=1
	v_bfe_u32 v1, v24, 24, 7
	v_mov_b32_e32 v73, 0x7f800001
	s_mov_b32 s19, exec_lo
	v_cmpx_ne_u32_e32 0x7f, v1
	s_cbranch_execz .LBB364_424
; %bb.421:                              ;   in Loop: Header=BB364_10 Depth=1
	v_and_b32_sdwa v12, v24, v51 dst_sel:DWORD dst_unused:UNUSED_PAD src0_sel:BYTE_3 src1_sel:DWORD
	v_mov_b32_e32 v27, v13
	v_lshrrev_b32_e32 v0, 3, v1
	s_mov_b32 s20, exec_lo
	v_mov_b32_e32 v26, v12
	v_cmpx_gt_u32_e32 8, v1
; %bb.422:                              ;   in Loop: Header=BB364_10 Depth=1
	v_ffbh_u32_e32 v0, v12
	v_min_u32_e32 v0, 32, v0
	v_subrev_nc_u32_e32 v1, 28, v0
	v_sub_nc_u32_e32 v0, 29, v0
	v_lshlrev_b64 v[1:2], v1, v[12:13]
	v_and_b32_e32 v26, 7, v1
; %bb.423:                              ;   in Loop: Header=BB364_10 Depth=1
	s_or_b32 exec_lo, exec_lo, s20
	v_lshlrev_b32_sdwa v1, v52, v24 dst_sel:DWORD dst_unused:UNUSED_PAD src0_sel:DWORD src1_sel:BYTE_3
	v_lshlrev_b32_e32 v2, 20, v26
	v_lshl_add_u32 v0, v0, 23, 0x3c000000
	v_and_b32_e32 v1, 0x80000000, v1
	v_or3_b32 v73, v2, v1, v0
.LBB364_424:                            ;   in Loop: Header=BB364_10 Depth=1
	s_or_b32 exec_lo, exec_lo, s19
.LBB364_425:                            ;   in Loop: Header=BB364_10 Depth=1
	s_or_b32 exec_lo, exec_lo, s18
.LBB364_426:                            ;   in Loop: Header=BB364_10 Depth=1
	s_or_b32 exec_lo, exec_lo, s6
	v_mov_b32_e32 v12, v25
	v_cmp_ne_u16_sdwa s5, v25, v13 src0_sel:BYTE_0 src1_sel:DWORD
	s_and_saveexec_b32 s6, s5
	s_cbranch_execz .LBB364_434
; %bb.427:                              ;   in Loop: Header=BB364_10 Depth=1
	v_cmp_ne_u16_sdwa s5, v25, v48 src0_sel:BYTE_0 src1_sel:DWORD
	v_bfrev_b32_e32 v74, 1
	s_and_saveexec_b32 s18, s5
	s_cbranch_execz .LBB364_433
; %bb.428:                              ;   in Loop: Header=BB364_10 Depth=1
	v_and_b32_e32 v1, 0x7f, v25
	v_mov_b32_e32 v74, 0x7f800001
	s_mov_b32 s19, exec_lo
	v_cmpx_ne_u32_e32 0x7f, v1
	s_cbranch_execz .LBB364_432
; %bb.429:                              ;   in Loop: Header=BB364_10 Depth=1
	v_mov_b32_e32 v27, v13
	v_lshrrev_b32_e32 v0, 3, v1
	v_mov_b32_e32 v26, v12
	s_mov_b32 s20, exec_lo
	v_cmpx_gt_u32_e32 8, v1
; %bb.430:                              ;   in Loop: Header=BB364_10 Depth=1
	v_and_b32_e32 v0, 7, v25
	v_ffbh_u32_e32 v0, v0
	v_min_u32_e32 v0, 32, v0
	v_subrev_nc_u32_e32 v1, 28, v0
	v_sub_nc_u32_e32 v0, 29, v0
	v_lshlrev_b64 v[26:27], v1, v[12:13]
; %bb.431:                              ;   in Loop: Header=BB364_10 Depth=1
	s_or_b32 exec_lo, exec_lo, s20
	v_lshlrev_b32_e32 v1, 20, v26
	v_lshlrev_b32_e32 v2, 24, v12
	v_lshl_add_u32 v0, v0, 23, 0x3c000000
	v_and_b32_e32 v1, 0x700000, v1
	v_and_b32_e32 v2, 0x80000000, v2
	v_or3_b32 v74, v1, v2, v0
.LBB364_432:                            ;   in Loop: Header=BB364_10 Depth=1
	s_or_b32 exec_lo, exec_lo, s19
.LBB364_433:                            ;   in Loop: Header=BB364_10 Depth=1
	s_or_b32 exec_lo, exec_lo, s18
.LBB364_434:                            ;   in Loop: Header=BB364_10 Depth=1
	s_or_b32 exec_lo, exec_lo, s6
	v_cmp_ne_u16_sdwa s5, v12, v13 src0_sel:BYTE_1 src1_sel:DWORD
	v_mov_b32_e32 v75, 0
	v_mov_b32_e32 v76, 0
	s_and_saveexec_b32 s6, s5
	s_cbranch_execz .LBB364_442
; %bb.435:                              ;   in Loop: Header=BB364_10 Depth=1
	v_cmp_ne_u16_sdwa s5, v12, v48 src0_sel:BYTE_1 src1_sel:DWORD
	v_bfrev_b32_e32 v76, 1
	s_and_saveexec_b32 s18, s5
	s_cbranch_execz .LBB364_441
; %bb.436:                              ;   in Loop: Header=BB364_10 Depth=1
	v_mov_b32_e32 v0, 0xffff
	v_mov_b32_e32 v76, 0x7f800001
	s_mov_b32 s19, exec_lo
	v_and_b32_sdwa v0, v0, v12 dst_sel:DWORD dst_unused:UNUSED_PAD src0_sel:DWORD src1_sel:BYTE_1
	v_and_b32_e32 v1, 0x7f, v0
	v_cmpx_ne_u32_e32 0x7f, v1
	s_cbranch_execz .LBB364_440
; %bb.437:                              ;   in Loop: Header=BB364_10 Depth=1
	v_and_b32_e32 v26, 7, v0
	v_mov_b32_e32 v27, v13
	v_lshrrev_b32_e32 v0, 3, v1
	s_mov_b32 s20, exec_lo
	v_cmpx_gt_u32_e32 8, v1
; %bb.438:                              ;   in Loop: Header=BB364_10 Depth=1
	v_ffbh_u32_e32 v0, v26
	v_min_u32_e32 v0, 32, v0
	v_subrev_nc_u32_e32 v1, 28, v0
	v_sub_nc_u32_e32 v0, 29, v0
	v_lshlrev_b64 v[1:2], v1, v[26:27]
	v_and_b32_e32 v26, 7, v1
; %bb.439:                              ;   in Loop: Header=BB364_10 Depth=1
	s_or_b32 exec_lo, exec_lo, s20
	v_lshlrev_b32_e32 v1, 16, v12
	v_lshlrev_b32_e32 v2, 20, v26
	v_lshl_add_u32 v0, v0, 23, 0x3c000000
	v_and_b32_e32 v1, 0x80000000, v1
	v_or3_b32 v76, v2, v1, v0
.LBB364_440:                            ;   in Loop: Header=BB364_10 Depth=1
	s_or_b32 exec_lo, exec_lo, s19
.LBB364_441:                            ;   in Loop: Header=BB364_10 Depth=1
	s_or_b32 exec_lo, exec_lo, s18
.LBB364_442:                            ;   in Loop: Header=BB364_10 Depth=1
	s_or_b32 exec_lo, exec_lo, s6
	v_and_b32_sdwa v0, v25, v50 dst_sel:DWORD dst_unused:UNUSED_PAD src0_sel:WORD_1 src1_sel:DWORD
	s_mov_b32 s6, exec_lo
	v_cmpx_ne_u16_e32 0, v0
	s_cbranch_execz .LBB364_450
; %bb.443:                              ;   in Loop: Header=BB364_10 Depth=1
	v_bfrev_b32_e32 v75, 1
	s_mov_b32 s18, exec_lo
	v_cmpx_ne_u16_e32 0x80, v0
	s_cbranch_execz .LBB364_449
; %bb.444:                              ;   in Loop: Header=BB364_10 Depth=1
	v_bfe_u32 v1, v25, 16, 7
	v_mov_b32_e32 v75, 0x7f800001
	s_mov_b32 s19, exec_lo
	v_cmpx_ne_u32_e32 0x7f, v1
	s_cbranch_execz .LBB364_448
; %bb.445:                              ;   in Loop: Header=BB364_10 Depth=1
	v_and_b32_sdwa v12, v25, v51 dst_sel:DWORD dst_unused:UNUSED_PAD src0_sel:WORD_1 src1_sel:DWORD
	v_mov_b32_e32 v27, v13
	v_lshrrev_b32_e32 v0, 3, v1
	s_mov_b32 s20, exec_lo
	v_mov_b32_e32 v26, v12
	v_cmpx_gt_u32_e32 8, v1
; %bb.446:                              ;   in Loop: Header=BB364_10 Depth=1
	v_ffbh_u32_e32 v0, v12
	v_min_u32_e32 v0, 32, v0
	v_subrev_nc_u32_e32 v1, 28, v0
	v_sub_nc_u32_e32 v0, 29, v0
	v_lshlrev_b64 v[1:2], v1, v[12:13]
	v_and_b32_e32 v26, 7, v1
; %bb.447:                              ;   in Loop: Header=BB364_10 Depth=1
	s_or_b32 exec_lo, exec_lo, s20
	v_lshlrev_b32_sdwa v1, v52, v25 dst_sel:DWORD dst_unused:UNUSED_PAD src0_sel:DWORD src1_sel:WORD_1
	v_lshlrev_b32_e32 v2, 20, v26
	v_lshl_add_u32 v0, v0, 23, 0x3c000000
	v_and_b32_e32 v1, 0x80000000, v1
	v_or3_b32 v75, v2, v1, v0
.LBB364_448:                            ;   in Loop: Header=BB364_10 Depth=1
	s_or_b32 exec_lo, exec_lo, s19
.LBB364_449:                            ;   in Loop: Header=BB364_10 Depth=1
	s_or_b32 exec_lo, exec_lo, s18
.LBB364_450:                            ;   in Loop: Header=BB364_10 Depth=1
	s_or_b32 exec_lo, exec_lo, s6
	v_mov_b32_e32 v78, 0
	v_mov_b32_e32 v77, 0
	s_mov_b32 s6, exec_lo
	v_cmpx_lt_u64_e64 s[8:9], v[24:25]
	s_cbranch_execz .LBB364_458
; %bb.451:                              ;   in Loop: Header=BB364_10 Depth=1
	v_cmp_ne_u32_sdwa s5, v25, v48 src0_sel:BYTE_3 src1_sel:DWORD
	v_bfrev_b32_e32 v77, 1
	s_and_saveexec_b32 s18, s5
	s_cbranch_execz .LBB364_457
; %bb.452:                              ;   in Loop: Header=BB364_10 Depth=1
	v_bfe_u32 v1, v25, 24, 7
	v_mov_b32_e32 v77, 0x7f800001
	s_mov_b32 s19, exec_lo
	v_cmpx_ne_u32_e32 0x7f, v1
	s_cbranch_execz .LBB364_456
; %bb.453:                              ;   in Loop: Header=BB364_10 Depth=1
	v_and_b32_sdwa v12, v25, v51 dst_sel:DWORD dst_unused:UNUSED_PAD src0_sel:BYTE_3 src1_sel:DWORD
	v_mov_b32_e32 v27, v13
	v_lshrrev_b32_e32 v0, 3, v1
	s_mov_b32 s20, exec_lo
	v_mov_b32_e32 v26, v12
	v_cmpx_gt_u32_e32 8, v1
; %bb.454:                              ;   in Loop: Header=BB364_10 Depth=1
	v_ffbh_u32_e32 v0, v12
	v_min_u32_e32 v0, 32, v0
	v_subrev_nc_u32_e32 v1, 28, v0
	v_sub_nc_u32_e32 v0, 29, v0
	v_lshlrev_b64 v[1:2], v1, v[12:13]
	v_and_b32_e32 v26, 7, v1
; %bb.455:                              ;   in Loop: Header=BB364_10 Depth=1
	s_or_b32 exec_lo, exec_lo, s20
	v_lshlrev_b32_sdwa v1, v52, v25 dst_sel:DWORD dst_unused:UNUSED_PAD src0_sel:DWORD src1_sel:BYTE_3
	v_lshlrev_b32_e32 v2, 20, v26
	v_lshl_add_u32 v0, v0, 23, 0x3c000000
	v_and_b32_e32 v1, 0x80000000, v1
	v_or3_b32 v77, v2, v1, v0
.LBB364_456:                            ;   in Loop: Header=BB364_10 Depth=1
	s_or_b32 exec_lo, exec_lo, s19
.LBB364_457:                            ;   in Loop: Header=BB364_10 Depth=1
	s_or_b32 exec_lo, exec_lo, s18
.LBB364_458:                            ;   in Loop: Header=BB364_10 Depth=1
	s_or_b32 exec_lo, exec_lo, s6
	flat_load_dwordx2 v[24:25], v[16:17] offset:1544
	s_waitcnt vmcnt(0) lgkmcnt(0)
	v_cmp_ne_u16_sdwa s5, v24, v13 src0_sel:BYTE_0 src1_sel:DWORD
	s_and_saveexec_b32 s6, s5
	s_cbranch_execz .LBB364_466
; %bb.459:                              ;   in Loop: Header=BB364_10 Depth=1
	v_cmp_ne_u16_sdwa s5, v24, v48 src0_sel:BYTE_0 src1_sel:DWORD
	v_bfrev_b32_e32 v78, 1
	s_and_saveexec_b32 s18, s5
	s_cbranch_execz .LBB364_465
; %bb.460:                              ;   in Loop: Header=BB364_10 Depth=1
	v_and_b32_e32 v1, 0x7f, v24
	v_mov_b32_e32 v78, 0x7f800001
	s_mov_b32 s19, exec_lo
	v_cmpx_ne_u32_e32 0x7f, v1
	s_cbranch_execz .LBB364_464
; %bb.461:                              ;   in Loop: Header=BB364_10 Depth=1
	v_mov_b32_e32 v27, v25
	v_lshrrev_b32_e32 v0, 3, v1
	v_mov_b32_e32 v26, v24
	s_mov_b32 s20, exec_lo
	v_cmpx_gt_u32_e32 8, v1
; %bb.462:                              ;   in Loop: Header=BB364_10 Depth=1
	v_and_b32_e32 v0, 7, v24
	v_ffbh_u32_e32 v0, v0
	v_min_u32_e32 v0, 32, v0
	v_subrev_nc_u32_e32 v1, 28, v0
	v_sub_nc_u32_e32 v0, 29, v0
	v_lshlrev_b64 v[26:27], v1, v[24:25]
; %bb.463:                              ;   in Loop: Header=BB364_10 Depth=1
	s_or_b32 exec_lo, exec_lo, s20
	v_lshlrev_b32_e32 v1, 20, v26
	v_lshlrev_b32_e32 v2, 24, v24
	v_lshl_add_u32 v0, v0, 23, 0x3c000000
	v_and_b32_e32 v1, 0x700000, v1
	v_and_b32_e32 v2, 0x80000000, v2
	v_or3_b32 v78, v1, v2, v0
.LBB364_464:                            ;   in Loop: Header=BB364_10 Depth=1
	s_or_b32 exec_lo, exec_lo, s19
.LBB364_465:                            ;   in Loop: Header=BB364_10 Depth=1
	s_or_b32 exec_lo, exec_lo, s18
.LBB364_466:                            ;   in Loop: Header=BB364_10 Depth=1
	s_or_b32 exec_lo, exec_lo, s6
	v_cmp_ne_u16_sdwa s5, v24, v13 src0_sel:BYTE_1 src1_sel:DWORD
	v_mov_b32_e32 v88, 0
	v_mov_b32_e32 v79, 0
	s_and_saveexec_b32 s6, s5
	s_cbranch_execz .LBB364_474
; %bb.467:                              ;   in Loop: Header=BB364_10 Depth=1
	v_cmp_ne_u16_sdwa s5, v24, v48 src0_sel:BYTE_1 src1_sel:DWORD
	v_bfrev_b32_e32 v79, 1
	s_and_saveexec_b32 s18, s5
	s_cbranch_execz .LBB364_473
; %bb.468:                              ;   in Loop: Header=BB364_10 Depth=1
	v_mov_b32_e32 v0, 0xffff
	v_mov_b32_e32 v79, 0x7f800001
	s_mov_b32 s19, exec_lo
	v_and_b32_sdwa v0, v0, v24 dst_sel:DWORD dst_unused:UNUSED_PAD src0_sel:DWORD src1_sel:BYTE_1
	v_and_b32_e32 v1, 0x7f, v0
	v_cmpx_ne_u32_e32 0x7f, v1
	s_cbranch_execz .LBB364_472
; %bb.469:                              ;   in Loop: Header=BB364_10 Depth=1
	v_and_b32_e32 v12, 7, v0
	v_mov_b32_e32 v27, v13
	v_lshrrev_b32_e32 v0, 3, v1
	s_mov_b32 s20, exec_lo
	v_mov_b32_e32 v26, v12
	v_cmpx_gt_u32_e32 8, v1
; %bb.470:                              ;   in Loop: Header=BB364_10 Depth=1
	v_ffbh_u32_e32 v0, v12
	v_min_u32_e32 v0, 32, v0
	v_subrev_nc_u32_e32 v1, 28, v0
	v_sub_nc_u32_e32 v0, 29, v0
	v_lshlrev_b64 v[1:2], v1, v[12:13]
	v_and_b32_e32 v26, 7, v1
; %bb.471:                              ;   in Loop: Header=BB364_10 Depth=1
	s_or_b32 exec_lo, exec_lo, s20
	v_lshlrev_b32_e32 v1, 16, v24
	v_lshlrev_b32_e32 v2, 20, v26
	v_lshl_add_u32 v0, v0, 23, 0x3c000000
	v_and_b32_e32 v1, 0x80000000, v1
	v_or3_b32 v79, v2, v1, v0
.LBB364_472:                            ;   in Loop: Header=BB364_10 Depth=1
	s_or_b32 exec_lo, exec_lo, s19
.LBB364_473:                            ;   in Loop: Header=BB364_10 Depth=1
	s_or_b32 exec_lo, exec_lo, s18
.LBB364_474:                            ;   in Loop: Header=BB364_10 Depth=1
	s_or_b32 exec_lo, exec_lo, s6
	v_and_b32_sdwa v0, v24, v50 dst_sel:DWORD dst_unused:UNUSED_PAD src0_sel:WORD_1 src1_sel:DWORD
	s_mov_b32 s6, exec_lo
	v_cmpx_ne_u16_e32 0, v0
	s_cbranch_execz .LBB364_482
; %bb.475:                              ;   in Loop: Header=BB364_10 Depth=1
	v_bfrev_b32_e32 v88, 1
	s_mov_b32 s18, exec_lo
	v_cmpx_ne_u16_e32 0x80, v0
	s_cbranch_execz .LBB364_481
; %bb.476:                              ;   in Loop: Header=BB364_10 Depth=1
	v_bfe_u32 v1, v24, 16, 7
	v_mov_b32_e32 v88, 0x7f800001
	s_mov_b32 s19, exec_lo
	v_cmpx_ne_u32_e32 0x7f, v1
	s_cbranch_execz .LBB364_480
; %bb.477:                              ;   in Loop: Header=BB364_10 Depth=1
	v_and_b32_sdwa v12, v24, v51 dst_sel:DWORD dst_unused:UNUSED_PAD src0_sel:WORD_1 src1_sel:DWORD
	v_mov_b32_e32 v27, v13
	v_lshrrev_b32_e32 v0, 3, v1
	s_mov_b32 s20, exec_lo
	v_mov_b32_e32 v26, v12
	v_cmpx_gt_u32_e32 8, v1
; %bb.478:                              ;   in Loop: Header=BB364_10 Depth=1
	v_ffbh_u32_e32 v0, v12
	v_min_u32_e32 v0, 32, v0
	v_subrev_nc_u32_e32 v1, 28, v0
	v_sub_nc_u32_e32 v0, 29, v0
	v_lshlrev_b64 v[1:2], v1, v[12:13]
	v_and_b32_e32 v26, 7, v1
; %bb.479:                              ;   in Loop: Header=BB364_10 Depth=1
	s_or_b32 exec_lo, exec_lo, s20
	v_lshlrev_b32_sdwa v1, v52, v24 dst_sel:DWORD dst_unused:UNUSED_PAD src0_sel:DWORD src1_sel:WORD_1
	v_lshlrev_b32_e32 v2, 20, v26
	v_lshl_add_u32 v0, v0, 23, 0x3c000000
	v_and_b32_e32 v1, 0x80000000, v1
	v_or3_b32 v88, v2, v1, v0
.LBB364_480:                            ;   in Loop: Header=BB364_10 Depth=1
	s_or_b32 exec_lo, exec_lo, s19
.LBB364_481:                            ;   in Loop: Header=BB364_10 Depth=1
	s_or_b32 exec_lo, exec_lo, s18
.LBB364_482:                            ;   in Loop: Header=BB364_10 Depth=1
	s_or_b32 exec_lo, exec_lo, s6
	v_mov_b32_e32 v90, 0
	v_mov_b32_e32 v89, 0
	s_mov_b32 s6, exec_lo
	v_cmpx_lt_u32_e32 0xffffff, v24
	s_cbranch_execz .LBB364_490
; %bb.483:                              ;   in Loop: Header=BB364_10 Depth=1
	v_cmp_ne_u32_sdwa s5, v24, v48 src0_sel:BYTE_3 src1_sel:DWORD
	v_bfrev_b32_e32 v89, 1
	s_and_saveexec_b32 s18, s5
	s_cbranch_execz .LBB364_489
; %bb.484:                              ;   in Loop: Header=BB364_10 Depth=1
	v_bfe_u32 v1, v24, 24, 7
	v_mov_b32_e32 v89, 0x7f800001
	s_mov_b32 s19, exec_lo
	v_cmpx_ne_u32_e32 0x7f, v1
	s_cbranch_execz .LBB364_488
; %bb.485:                              ;   in Loop: Header=BB364_10 Depth=1
	v_and_b32_sdwa v12, v24, v51 dst_sel:DWORD dst_unused:UNUSED_PAD src0_sel:BYTE_3 src1_sel:DWORD
	v_mov_b32_e32 v27, v13
	v_lshrrev_b32_e32 v0, 3, v1
	s_mov_b32 s20, exec_lo
	v_mov_b32_e32 v26, v12
	v_cmpx_gt_u32_e32 8, v1
; %bb.486:                              ;   in Loop: Header=BB364_10 Depth=1
	v_ffbh_u32_e32 v0, v12
	v_min_u32_e32 v0, 32, v0
	v_subrev_nc_u32_e32 v1, 28, v0
	v_sub_nc_u32_e32 v0, 29, v0
	v_lshlrev_b64 v[1:2], v1, v[12:13]
	v_and_b32_e32 v26, 7, v1
; %bb.487:                              ;   in Loop: Header=BB364_10 Depth=1
	s_or_b32 exec_lo, exec_lo, s20
	v_lshlrev_b32_sdwa v1, v52, v24 dst_sel:DWORD dst_unused:UNUSED_PAD src0_sel:DWORD src1_sel:BYTE_3
	v_lshlrev_b32_e32 v2, 20, v26
	v_lshl_add_u32 v0, v0, 23, 0x3c000000
	v_and_b32_e32 v1, 0x80000000, v1
	v_or3_b32 v89, v2, v1, v0
.LBB364_488:                            ;   in Loop: Header=BB364_10 Depth=1
	s_or_b32 exec_lo, exec_lo, s19
.LBB364_489:                            ;   in Loop: Header=BB364_10 Depth=1
	s_or_b32 exec_lo, exec_lo, s18
.LBB364_490:                            ;   in Loop: Header=BB364_10 Depth=1
	s_or_b32 exec_lo, exec_lo, s6
	v_mov_b32_e32 v12, v25
	v_cmp_ne_u16_sdwa s5, v25, v13 src0_sel:BYTE_0 src1_sel:DWORD
	s_and_saveexec_b32 s6, s5
	s_cbranch_execz .LBB364_498
; %bb.491:                              ;   in Loop: Header=BB364_10 Depth=1
	v_cmp_ne_u16_sdwa s5, v25, v48 src0_sel:BYTE_0 src1_sel:DWORD
	v_bfrev_b32_e32 v90, 1
	s_and_saveexec_b32 s18, s5
	s_cbranch_execz .LBB364_497
; %bb.492:                              ;   in Loop: Header=BB364_10 Depth=1
	v_and_b32_e32 v1, 0x7f, v25
	v_mov_b32_e32 v90, 0x7f800001
	s_mov_b32 s19, exec_lo
	v_cmpx_ne_u32_e32 0x7f, v1
	s_cbranch_execz .LBB364_496
; %bb.493:                              ;   in Loop: Header=BB364_10 Depth=1
	v_mov_b32_e32 v27, v13
	v_lshrrev_b32_e32 v0, 3, v1
	v_mov_b32_e32 v26, v12
	s_mov_b32 s20, exec_lo
	v_cmpx_gt_u32_e32 8, v1
; %bb.494:                              ;   in Loop: Header=BB364_10 Depth=1
	v_and_b32_e32 v0, 7, v25
	v_ffbh_u32_e32 v0, v0
	v_min_u32_e32 v0, 32, v0
	v_subrev_nc_u32_e32 v1, 28, v0
	v_sub_nc_u32_e32 v0, 29, v0
	v_lshlrev_b64 v[26:27], v1, v[12:13]
; %bb.495:                              ;   in Loop: Header=BB364_10 Depth=1
	s_or_b32 exec_lo, exec_lo, s20
	v_lshlrev_b32_e32 v1, 20, v26
	v_lshlrev_b32_e32 v2, 24, v12
	v_lshl_add_u32 v0, v0, 23, 0x3c000000
	v_and_b32_e32 v1, 0x700000, v1
	v_and_b32_e32 v2, 0x80000000, v2
	v_or3_b32 v90, v1, v2, v0
.LBB364_496:                            ;   in Loop: Header=BB364_10 Depth=1
	s_or_b32 exec_lo, exec_lo, s19
.LBB364_497:                            ;   in Loop: Header=BB364_10 Depth=1
	s_or_b32 exec_lo, exec_lo, s18
.LBB364_498:                            ;   in Loop: Header=BB364_10 Depth=1
	s_or_b32 exec_lo, exec_lo, s6
	v_cmp_ne_u16_sdwa s5, v12, v13 src0_sel:BYTE_1 src1_sel:DWORD
	v_mov_b32_e32 v91, 0
	v_mov_b32_e32 v92, 0
	s_and_saveexec_b32 s6, s5
	s_cbranch_execz .LBB364_506
; %bb.499:                              ;   in Loop: Header=BB364_10 Depth=1
	v_cmp_ne_u16_sdwa s5, v12, v48 src0_sel:BYTE_1 src1_sel:DWORD
	v_bfrev_b32_e32 v92, 1
	s_and_saveexec_b32 s18, s5
	s_cbranch_execz .LBB364_505
; %bb.500:                              ;   in Loop: Header=BB364_10 Depth=1
	v_mov_b32_e32 v0, 0xffff
	v_mov_b32_e32 v92, 0x7f800001
	s_mov_b32 s19, exec_lo
	v_and_b32_sdwa v0, v0, v12 dst_sel:DWORD dst_unused:UNUSED_PAD src0_sel:DWORD src1_sel:BYTE_1
	v_and_b32_e32 v1, 0x7f, v0
	v_cmpx_ne_u32_e32 0x7f, v1
	s_cbranch_execz .LBB364_504
; %bb.501:                              ;   in Loop: Header=BB364_10 Depth=1
	v_and_b32_e32 v26, 7, v0
	v_mov_b32_e32 v27, v13
	v_lshrrev_b32_e32 v0, 3, v1
	s_mov_b32 s20, exec_lo
	v_cmpx_gt_u32_e32 8, v1
; %bb.502:                              ;   in Loop: Header=BB364_10 Depth=1
	v_ffbh_u32_e32 v0, v26
	v_min_u32_e32 v0, 32, v0
	v_subrev_nc_u32_e32 v1, 28, v0
	v_sub_nc_u32_e32 v0, 29, v0
	v_lshlrev_b64 v[1:2], v1, v[26:27]
	v_and_b32_e32 v26, 7, v1
; %bb.503:                              ;   in Loop: Header=BB364_10 Depth=1
	s_or_b32 exec_lo, exec_lo, s20
	v_lshlrev_b32_e32 v1, 16, v12
	v_lshlrev_b32_e32 v2, 20, v26
	v_lshl_add_u32 v0, v0, 23, 0x3c000000
	v_and_b32_e32 v1, 0x80000000, v1
	v_or3_b32 v92, v2, v1, v0
.LBB364_504:                            ;   in Loop: Header=BB364_10 Depth=1
	s_or_b32 exec_lo, exec_lo, s19
.LBB364_505:                            ;   in Loop: Header=BB364_10 Depth=1
	s_or_b32 exec_lo, exec_lo, s18
.LBB364_506:                            ;   in Loop: Header=BB364_10 Depth=1
	s_or_b32 exec_lo, exec_lo, s6
	v_and_b32_sdwa v0, v25, v50 dst_sel:DWORD dst_unused:UNUSED_PAD src0_sel:WORD_1 src1_sel:DWORD
	s_mov_b32 s6, exec_lo
	v_cmpx_ne_u16_e32 0, v0
	s_cbranch_execz .LBB364_514
; %bb.507:                              ;   in Loop: Header=BB364_10 Depth=1
	v_bfrev_b32_e32 v91, 1
	s_mov_b32 s18, exec_lo
	v_cmpx_ne_u16_e32 0x80, v0
	s_cbranch_execz .LBB364_513
; %bb.508:                              ;   in Loop: Header=BB364_10 Depth=1
	v_bfe_u32 v1, v25, 16, 7
	v_mov_b32_e32 v91, 0x7f800001
	s_mov_b32 s19, exec_lo
	v_cmpx_ne_u32_e32 0x7f, v1
	s_cbranch_execz .LBB364_512
; %bb.509:                              ;   in Loop: Header=BB364_10 Depth=1
	v_and_b32_sdwa v12, v25, v51 dst_sel:DWORD dst_unused:UNUSED_PAD src0_sel:WORD_1 src1_sel:DWORD
	v_mov_b32_e32 v27, v13
	v_lshrrev_b32_e32 v0, 3, v1
	s_mov_b32 s20, exec_lo
	v_mov_b32_e32 v26, v12
	v_cmpx_gt_u32_e32 8, v1
; %bb.510:                              ;   in Loop: Header=BB364_10 Depth=1
	v_ffbh_u32_e32 v0, v12
	v_min_u32_e32 v0, 32, v0
	v_subrev_nc_u32_e32 v1, 28, v0
	v_sub_nc_u32_e32 v0, 29, v0
	v_lshlrev_b64 v[1:2], v1, v[12:13]
	v_and_b32_e32 v26, 7, v1
; %bb.511:                              ;   in Loop: Header=BB364_10 Depth=1
	s_or_b32 exec_lo, exec_lo, s20
	v_lshlrev_b32_sdwa v1, v52, v25 dst_sel:DWORD dst_unused:UNUSED_PAD src0_sel:DWORD src1_sel:WORD_1
	v_lshlrev_b32_e32 v2, 20, v26
	v_lshl_add_u32 v0, v0, 23, 0x3c000000
	v_and_b32_e32 v1, 0x80000000, v1
	v_or3_b32 v91, v2, v1, v0
.LBB364_512:                            ;   in Loop: Header=BB364_10 Depth=1
	s_or_b32 exec_lo, exec_lo, s19
.LBB364_513:                            ;   in Loop: Header=BB364_10 Depth=1
	s_or_b32 exec_lo, exec_lo, s18
.LBB364_514:                            ;   in Loop: Header=BB364_10 Depth=1
	s_or_b32 exec_lo, exec_lo, s6
	v_mov_b32_e32 v94, 0
	v_mov_b32_e32 v93, 0
	s_mov_b32 s6, exec_lo
	v_cmpx_lt_u64_e64 s[8:9], v[24:25]
	s_cbranch_execz .LBB364_522
; %bb.515:                              ;   in Loop: Header=BB364_10 Depth=1
	v_cmp_ne_u32_sdwa s5, v25, v48 src0_sel:BYTE_3 src1_sel:DWORD
	v_bfrev_b32_e32 v93, 1
	s_and_saveexec_b32 s18, s5
	s_cbranch_execz .LBB364_521
; %bb.516:                              ;   in Loop: Header=BB364_10 Depth=1
	v_bfe_u32 v1, v25, 24, 7
	v_mov_b32_e32 v93, 0x7f800001
	s_mov_b32 s19, exec_lo
	v_cmpx_ne_u32_e32 0x7f, v1
	s_cbranch_execz .LBB364_520
; %bb.517:                              ;   in Loop: Header=BB364_10 Depth=1
	v_and_b32_sdwa v12, v25, v51 dst_sel:DWORD dst_unused:UNUSED_PAD src0_sel:BYTE_3 src1_sel:DWORD
	v_mov_b32_e32 v27, v13
	v_lshrrev_b32_e32 v0, 3, v1
	s_mov_b32 s20, exec_lo
	v_mov_b32_e32 v26, v12
	v_cmpx_gt_u32_e32 8, v1
; %bb.518:                              ;   in Loop: Header=BB364_10 Depth=1
	v_ffbh_u32_e32 v0, v12
	v_min_u32_e32 v0, 32, v0
	v_subrev_nc_u32_e32 v1, 28, v0
	v_sub_nc_u32_e32 v0, 29, v0
	v_lshlrev_b64 v[1:2], v1, v[12:13]
	v_and_b32_e32 v26, 7, v1
; %bb.519:                              ;   in Loop: Header=BB364_10 Depth=1
	s_or_b32 exec_lo, exec_lo, s20
	v_lshlrev_b32_sdwa v1, v52, v25 dst_sel:DWORD dst_unused:UNUSED_PAD src0_sel:DWORD src1_sel:BYTE_3
	v_lshlrev_b32_e32 v2, 20, v26
	v_lshl_add_u32 v0, v0, 23, 0x3c000000
	v_and_b32_e32 v1, 0x80000000, v1
	v_or3_b32 v93, v2, v1, v0
.LBB364_520:                            ;   in Loop: Header=BB364_10 Depth=1
	s_or_b32 exec_lo, exec_lo, s19
.LBB364_521:                            ;   in Loop: Header=BB364_10 Depth=1
	s_or_b32 exec_lo, exec_lo, s18
.LBB364_522:                            ;   in Loop: Header=BB364_10 Depth=1
	s_or_b32 exec_lo, exec_lo, s6
	v_add_co_u32 v16, s5, 0x800, v16
	v_add_co_ci_u32_e64 v17, null, 0, v17, s5
	flat_load_dwordx2 v[24:25], v[16:17]
	s_waitcnt vmcnt(0) lgkmcnt(0)
	v_cmp_ne_u16_sdwa s5, v24, v13 src0_sel:BYTE_0 src1_sel:DWORD
	s_and_saveexec_b32 s6, s5
	s_cbranch_execz .LBB364_530
; %bb.523:                              ;   in Loop: Header=BB364_10 Depth=1
	v_cmp_ne_u16_sdwa s5, v24, v48 src0_sel:BYTE_0 src1_sel:DWORD
	v_bfrev_b32_e32 v94, 1
	s_and_saveexec_b32 s18, s5
	s_cbranch_execz .LBB364_529
; %bb.524:                              ;   in Loop: Header=BB364_10 Depth=1
	v_and_b32_e32 v1, 0x7f, v24
	v_mov_b32_e32 v94, 0x7f800001
	s_mov_b32 s19, exec_lo
	v_cmpx_ne_u32_e32 0x7f, v1
	s_cbranch_execz .LBB364_528
; %bb.525:                              ;   in Loop: Header=BB364_10 Depth=1
	v_mov_b32_e32 v27, v25
	v_lshrrev_b32_e32 v0, 3, v1
	v_mov_b32_e32 v26, v24
	s_mov_b32 s20, exec_lo
	v_cmpx_gt_u32_e32 8, v1
; %bb.526:                              ;   in Loop: Header=BB364_10 Depth=1
	v_and_b32_e32 v0, 7, v24
	v_ffbh_u32_e32 v0, v0
	v_min_u32_e32 v0, 32, v0
	v_subrev_nc_u32_e32 v1, 28, v0
	v_sub_nc_u32_e32 v0, 29, v0
	v_lshlrev_b64 v[26:27], v1, v[24:25]
; %bb.527:                              ;   in Loop: Header=BB364_10 Depth=1
	s_or_b32 exec_lo, exec_lo, s20
	v_lshlrev_b32_e32 v1, 20, v26
	v_lshlrev_b32_e32 v2, 24, v24
	v_lshl_add_u32 v0, v0, 23, 0x3c000000
	v_and_b32_e32 v1, 0x700000, v1
	v_and_b32_e32 v2, 0x80000000, v2
	v_or3_b32 v94, v1, v2, v0
.LBB364_528:                            ;   in Loop: Header=BB364_10 Depth=1
	s_or_b32 exec_lo, exec_lo, s19
.LBB364_529:                            ;   in Loop: Header=BB364_10 Depth=1
	s_or_b32 exec_lo, exec_lo, s18
.LBB364_530:                            ;   in Loop: Header=BB364_10 Depth=1
	s_or_b32 exec_lo, exec_lo, s6
	v_cmp_ne_u16_sdwa s5, v24, v13 src0_sel:BYTE_1 src1_sel:DWORD
	v_mov_b32_e32 v104, 0
	v_mov_b32_e32 v95, 0
	s_and_saveexec_b32 s6, s5
	s_cbranch_execz .LBB364_538
; %bb.531:                              ;   in Loop: Header=BB364_10 Depth=1
	v_cmp_ne_u16_sdwa s5, v24, v48 src0_sel:BYTE_1 src1_sel:DWORD
	v_bfrev_b32_e32 v95, 1
	s_and_saveexec_b32 s18, s5
	s_cbranch_execz .LBB364_537
; %bb.532:                              ;   in Loop: Header=BB364_10 Depth=1
	v_mov_b32_e32 v0, 0xffff
	v_mov_b32_e32 v95, 0x7f800001
	s_mov_b32 s19, exec_lo
	v_and_b32_sdwa v0, v0, v24 dst_sel:DWORD dst_unused:UNUSED_PAD src0_sel:DWORD src1_sel:BYTE_1
	v_and_b32_e32 v1, 0x7f, v0
	v_cmpx_ne_u32_e32 0x7f, v1
	s_cbranch_execz .LBB364_536
; %bb.533:                              ;   in Loop: Header=BB364_10 Depth=1
	v_and_b32_e32 v12, 7, v0
	v_mov_b32_e32 v27, v13
	v_lshrrev_b32_e32 v0, 3, v1
	s_mov_b32 s20, exec_lo
	v_mov_b32_e32 v26, v12
	v_cmpx_gt_u32_e32 8, v1
; %bb.534:                              ;   in Loop: Header=BB364_10 Depth=1
	v_ffbh_u32_e32 v0, v12
	v_min_u32_e32 v0, 32, v0
	v_subrev_nc_u32_e32 v1, 28, v0
	v_sub_nc_u32_e32 v0, 29, v0
	v_lshlrev_b64 v[1:2], v1, v[12:13]
	v_and_b32_e32 v26, 7, v1
; %bb.535:                              ;   in Loop: Header=BB364_10 Depth=1
	s_or_b32 exec_lo, exec_lo, s20
	v_lshlrev_b32_e32 v1, 16, v24
	v_lshlrev_b32_e32 v2, 20, v26
	v_lshl_add_u32 v0, v0, 23, 0x3c000000
	v_and_b32_e32 v1, 0x80000000, v1
	v_or3_b32 v95, v2, v1, v0
.LBB364_536:                            ;   in Loop: Header=BB364_10 Depth=1
	s_or_b32 exec_lo, exec_lo, s19
.LBB364_537:                            ;   in Loop: Header=BB364_10 Depth=1
	s_or_b32 exec_lo, exec_lo, s18
.LBB364_538:                            ;   in Loop: Header=BB364_10 Depth=1
	s_or_b32 exec_lo, exec_lo, s6
	v_and_b32_sdwa v0, v24, v50 dst_sel:DWORD dst_unused:UNUSED_PAD src0_sel:WORD_1 src1_sel:DWORD
	s_mov_b32 s6, exec_lo
	v_cmpx_ne_u16_e32 0, v0
	s_cbranch_execz .LBB364_546
; %bb.539:                              ;   in Loop: Header=BB364_10 Depth=1
	v_bfrev_b32_e32 v104, 1
	s_mov_b32 s18, exec_lo
	v_cmpx_ne_u16_e32 0x80, v0
	s_cbranch_execz .LBB364_545
; %bb.540:                              ;   in Loop: Header=BB364_10 Depth=1
	v_bfe_u32 v1, v24, 16, 7
	v_mov_b32_e32 v104, 0x7f800001
	s_mov_b32 s19, exec_lo
	v_cmpx_ne_u32_e32 0x7f, v1
	s_cbranch_execz .LBB364_544
; %bb.541:                              ;   in Loop: Header=BB364_10 Depth=1
	v_and_b32_sdwa v12, v24, v51 dst_sel:DWORD dst_unused:UNUSED_PAD src0_sel:WORD_1 src1_sel:DWORD
	v_mov_b32_e32 v27, v13
	v_lshrrev_b32_e32 v0, 3, v1
	s_mov_b32 s20, exec_lo
	v_mov_b32_e32 v26, v12
	v_cmpx_gt_u32_e32 8, v1
; %bb.542:                              ;   in Loop: Header=BB364_10 Depth=1
	v_ffbh_u32_e32 v0, v12
	v_min_u32_e32 v0, 32, v0
	v_subrev_nc_u32_e32 v1, 28, v0
	v_sub_nc_u32_e32 v0, 29, v0
	v_lshlrev_b64 v[1:2], v1, v[12:13]
	v_and_b32_e32 v26, 7, v1
; %bb.543:                              ;   in Loop: Header=BB364_10 Depth=1
	s_or_b32 exec_lo, exec_lo, s20
	v_lshlrev_b32_sdwa v1, v52, v24 dst_sel:DWORD dst_unused:UNUSED_PAD src0_sel:DWORD src1_sel:WORD_1
	v_lshlrev_b32_e32 v2, 20, v26
	v_lshl_add_u32 v0, v0, 23, 0x3c000000
	v_and_b32_e32 v1, 0x80000000, v1
	v_or3_b32 v104, v2, v1, v0
.LBB364_544:                            ;   in Loop: Header=BB364_10 Depth=1
	s_or_b32 exec_lo, exec_lo, s19
.LBB364_545:                            ;   in Loop: Header=BB364_10 Depth=1
	s_or_b32 exec_lo, exec_lo, s18
.LBB364_546:                            ;   in Loop: Header=BB364_10 Depth=1
	s_or_b32 exec_lo, exec_lo, s6
	v_mov_b32_e32 v106, 0
	v_mov_b32_e32 v105, 0
	s_mov_b32 s6, exec_lo
	v_cmpx_lt_u32_e32 0xffffff, v24
	s_cbranch_execz .LBB364_554
; %bb.547:                              ;   in Loop: Header=BB364_10 Depth=1
	v_cmp_ne_u32_sdwa s5, v24, v48 src0_sel:BYTE_3 src1_sel:DWORD
	v_bfrev_b32_e32 v105, 1
	s_and_saveexec_b32 s18, s5
	s_cbranch_execz .LBB364_553
; %bb.548:                              ;   in Loop: Header=BB364_10 Depth=1
	v_bfe_u32 v1, v24, 24, 7
	v_mov_b32_e32 v105, 0x7f800001
	s_mov_b32 s19, exec_lo
	v_cmpx_ne_u32_e32 0x7f, v1
	s_cbranch_execz .LBB364_552
; %bb.549:                              ;   in Loop: Header=BB364_10 Depth=1
	v_and_b32_sdwa v12, v24, v51 dst_sel:DWORD dst_unused:UNUSED_PAD src0_sel:BYTE_3 src1_sel:DWORD
	v_mov_b32_e32 v27, v13
	v_lshrrev_b32_e32 v0, 3, v1
	s_mov_b32 s20, exec_lo
	v_mov_b32_e32 v26, v12
	v_cmpx_gt_u32_e32 8, v1
; %bb.550:                              ;   in Loop: Header=BB364_10 Depth=1
	v_ffbh_u32_e32 v0, v12
	v_min_u32_e32 v0, 32, v0
	v_subrev_nc_u32_e32 v1, 28, v0
	v_sub_nc_u32_e32 v0, 29, v0
	v_lshlrev_b64 v[1:2], v1, v[12:13]
	v_and_b32_e32 v26, 7, v1
; %bb.551:                              ;   in Loop: Header=BB364_10 Depth=1
	s_or_b32 exec_lo, exec_lo, s20
	v_lshlrev_b32_sdwa v1, v52, v24 dst_sel:DWORD dst_unused:UNUSED_PAD src0_sel:DWORD src1_sel:BYTE_3
	v_lshlrev_b32_e32 v2, 20, v26
	v_lshl_add_u32 v0, v0, 23, 0x3c000000
	v_and_b32_e32 v1, 0x80000000, v1
	v_or3_b32 v105, v2, v1, v0
.LBB364_552:                            ;   in Loop: Header=BB364_10 Depth=1
	s_or_b32 exec_lo, exec_lo, s19
.LBB364_553:                            ;   in Loop: Header=BB364_10 Depth=1
	s_or_b32 exec_lo, exec_lo, s18
.LBB364_554:                            ;   in Loop: Header=BB364_10 Depth=1
	s_or_b32 exec_lo, exec_lo, s6
	v_mov_b32_e32 v12, v25
	v_cmp_ne_u16_sdwa s5, v25, v13 src0_sel:BYTE_0 src1_sel:DWORD
	s_and_saveexec_b32 s6, s5
	s_cbranch_execz .LBB364_562
; %bb.555:                              ;   in Loop: Header=BB364_10 Depth=1
	v_cmp_ne_u16_sdwa s5, v25, v48 src0_sel:BYTE_0 src1_sel:DWORD
	v_bfrev_b32_e32 v106, 1
	s_and_saveexec_b32 s18, s5
	s_cbranch_execz .LBB364_561
; %bb.556:                              ;   in Loop: Header=BB364_10 Depth=1
	v_and_b32_e32 v1, 0x7f, v25
	v_mov_b32_e32 v106, 0x7f800001
	s_mov_b32 s19, exec_lo
	v_cmpx_ne_u32_e32 0x7f, v1
	s_cbranch_execz .LBB364_560
; %bb.557:                              ;   in Loop: Header=BB364_10 Depth=1
	v_mov_b32_e32 v27, v13
	v_lshrrev_b32_e32 v0, 3, v1
	v_mov_b32_e32 v26, v12
	s_mov_b32 s20, exec_lo
	v_cmpx_gt_u32_e32 8, v1
; %bb.558:                              ;   in Loop: Header=BB364_10 Depth=1
	v_and_b32_e32 v0, 7, v25
	v_ffbh_u32_e32 v0, v0
	v_min_u32_e32 v0, 32, v0
	v_subrev_nc_u32_e32 v1, 28, v0
	v_sub_nc_u32_e32 v0, 29, v0
	v_lshlrev_b64 v[26:27], v1, v[12:13]
; %bb.559:                              ;   in Loop: Header=BB364_10 Depth=1
	s_or_b32 exec_lo, exec_lo, s20
	v_lshlrev_b32_e32 v1, 20, v26
	v_lshlrev_b32_e32 v2, 24, v12
	v_lshl_add_u32 v0, v0, 23, 0x3c000000
	v_and_b32_e32 v1, 0x700000, v1
	v_and_b32_e32 v2, 0x80000000, v2
	v_or3_b32 v106, v1, v2, v0
.LBB364_560:                            ;   in Loop: Header=BB364_10 Depth=1
	s_or_b32 exec_lo, exec_lo, s19
.LBB364_561:                            ;   in Loop: Header=BB364_10 Depth=1
	s_or_b32 exec_lo, exec_lo, s18
.LBB364_562:                            ;   in Loop: Header=BB364_10 Depth=1
	s_or_b32 exec_lo, exec_lo, s6
	v_cmp_ne_u16_sdwa s5, v12, v13 src0_sel:BYTE_1 src1_sel:DWORD
	v_mov_b32_e32 v107, 0
	v_mov_b32_e32 v108, 0
	s_and_saveexec_b32 s6, s5
	s_cbranch_execz .LBB364_570
; %bb.563:                              ;   in Loop: Header=BB364_10 Depth=1
	v_cmp_ne_u16_sdwa s5, v12, v48 src0_sel:BYTE_1 src1_sel:DWORD
	v_bfrev_b32_e32 v108, 1
	s_and_saveexec_b32 s18, s5
	s_cbranch_execz .LBB364_569
; %bb.564:                              ;   in Loop: Header=BB364_10 Depth=1
	v_mov_b32_e32 v0, 0xffff
	v_mov_b32_e32 v108, 0x7f800001
	s_mov_b32 s19, exec_lo
	v_and_b32_sdwa v0, v0, v12 dst_sel:DWORD dst_unused:UNUSED_PAD src0_sel:DWORD src1_sel:BYTE_1
	v_and_b32_e32 v1, 0x7f, v0
	v_cmpx_ne_u32_e32 0x7f, v1
	s_cbranch_execz .LBB364_568
; %bb.565:                              ;   in Loop: Header=BB364_10 Depth=1
	v_and_b32_e32 v26, 7, v0
	v_mov_b32_e32 v27, v13
	v_lshrrev_b32_e32 v0, 3, v1
	s_mov_b32 s20, exec_lo
	v_cmpx_gt_u32_e32 8, v1
; %bb.566:                              ;   in Loop: Header=BB364_10 Depth=1
	v_ffbh_u32_e32 v0, v26
	v_min_u32_e32 v0, 32, v0
	v_subrev_nc_u32_e32 v1, 28, v0
	v_sub_nc_u32_e32 v0, 29, v0
	v_lshlrev_b64 v[1:2], v1, v[26:27]
	v_and_b32_e32 v26, 7, v1
; %bb.567:                              ;   in Loop: Header=BB364_10 Depth=1
	s_or_b32 exec_lo, exec_lo, s20
	v_lshlrev_b32_e32 v1, 16, v12
	v_lshlrev_b32_e32 v2, 20, v26
	v_lshl_add_u32 v0, v0, 23, 0x3c000000
	v_and_b32_e32 v1, 0x80000000, v1
	v_or3_b32 v108, v2, v1, v0
.LBB364_568:                            ;   in Loop: Header=BB364_10 Depth=1
	s_or_b32 exec_lo, exec_lo, s19
.LBB364_569:                            ;   in Loop: Header=BB364_10 Depth=1
	s_or_b32 exec_lo, exec_lo, s18
.LBB364_570:                            ;   in Loop: Header=BB364_10 Depth=1
	s_or_b32 exec_lo, exec_lo, s6
	v_and_b32_sdwa v0, v25, v50 dst_sel:DWORD dst_unused:UNUSED_PAD src0_sel:WORD_1 src1_sel:DWORD
	s_mov_b32 s6, exec_lo
	v_cmpx_ne_u16_e32 0, v0
	s_cbranch_execz .LBB364_578
; %bb.571:                              ;   in Loop: Header=BB364_10 Depth=1
	v_bfrev_b32_e32 v107, 1
	s_mov_b32 s18, exec_lo
	v_cmpx_ne_u16_e32 0x80, v0
	s_cbranch_execz .LBB364_577
; %bb.572:                              ;   in Loop: Header=BB364_10 Depth=1
	v_bfe_u32 v1, v25, 16, 7
	v_mov_b32_e32 v107, 0x7f800001
	s_mov_b32 s19, exec_lo
	v_cmpx_ne_u32_e32 0x7f, v1
	s_cbranch_execz .LBB364_576
; %bb.573:                              ;   in Loop: Header=BB364_10 Depth=1
	v_and_b32_sdwa v12, v25, v51 dst_sel:DWORD dst_unused:UNUSED_PAD src0_sel:WORD_1 src1_sel:DWORD
	v_mov_b32_e32 v27, v13
	v_lshrrev_b32_e32 v0, 3, v1
	s_mov_b32 s20, exec_lo
	v_mov_b32_e32 v26, v12
	v_cmpx_gt_u32_e32 8, v1
; %bb.574:                              ;   in Loop: Header=BB364_10 Depth=1
	v_ffbh_u32_e32 v0, v12
	v_min_u32_e32 v0, 32, v0
	v_subrev_nc_u32_e32 v1, 28, v0
	v_sub_nc_u32_e32 v0, 29, v0
	v_lshlrev_b64 v[1:2], v1, v[12:13]
	v_and_b32_e32 v26, 7, v1
; %bb.575:                              ;   in Loop: Header=BB364_10 Depth=1
	s_or_b32 exec_lo, exec_lo, s20
	v_lshlrev_b32_sdwa v1, v52, v25 dst_sel:DWORD dst_unused:UNUSED_PAD src0_sel:DWORD src1_sel:WORD_1
	v_lshlrev_b32_e32 v2, 20, v26
	v_lshl_add_u32 v0, v0, 23, 0x3c000000
	v_and_b32_e32 v1, 0x80000000, v1
	v_or3_b32 v107, v2, v1, v0
.LBB364_576:                            ;   in Loop: Header=BB364_10 Depth=1
	s_or_b32 exec_lo, exec_lo, s19
.LBB364_577:                            ;   in Loop: Header=BB364_10 Depth=1
	s_or_b32 exec_lo, exec_lo, s18
.LBB364_578:                            ;   in Loop: Header=BB364_10 Depth=1
	s_or_b32 exec_lo, exec_lo, s6
	v_mov_b32_e32 v110, 0
	v_mov_b32_e32 v109, 0
	s_mov_b32 s6, exec_lo
	v_cmpx_lt_u64_e64 s[8:9], v[24:25]
	s_cbranch_execz .LBB364_586
; %bb.579:                              ;   in Loop: Header=BB364_10 Depth=1
	v_cmp_ne_u32_sdwa s5, v25, v48 src0_sel:BYTE_3 src1_sel:DWORD
	v_bfrev_b32_e32 v109, 1
	s_and_saveexec_b32 s18, s5
	s_cbranch_execz .LBB364_585
; %bb.580:                              ;   in Loop: Header=BB364_10 Depth=1
	v_bfe_u32 v1, v25, 24, 7
	v_mov_b32_e32 v109, 0x7f800001
	s_mov_b32 s19, exec_lo
	v_cmpx_ne_u32_e32 0x7f, v1
	s_cbranch_execz .LBB364_584
; %bb.581:                              ;   in Loop: Header=BB364_10 Depth=1
	v_and_b32_sdwa v12, v25, v51 dst_sel:DWORD dst_unused:UNUSED_PAD src0_sel:BYTE_3 src1_sel:DWORD
	v_mov_b32_e32 v27, v13
	v_lshrrev_b32_e32 v0, 3, v1
	s_mov_b32 s20, exec_lo
	v_mov_b32_e32 v26, v12
	v_cmpx_gt_u32_e32 8, v1
; %bb.582:                              ;   in Loop: Header=BB364_10 Depth=1
	v_ffbh_u32_e32 v0, v12
	v_min_u32_e32 v0, 32, v0
	v_subrev_nc_u32_e32 v1, 28, v0
	v_sub_nc_u32_e32 v0, 29, v0
	v_lshlrev_b64 v[1:2], v1, v[12:13]
	v_and_b32_e32 v26, 7, v1
; %bb.583:                              ;   in Loop: Header=BB364_10 Depth=1
	s_or_b32 exec_lo, exec_lo, s20
	v_lshlrev_b32_sdwa v1, v52, v25 dst_sel:DWORD dst_unused:UNUSED_PAD src0_sel:DWORD src1_sel:BYTE_3
	v_lshlrev_b32_e32 v2, 20, v26
	v_lshl_add_u32 v0, v0, 23, 0x3c000000
	v_and_b32_e32 v1, 0x80000000, v1
	v_or3_b32 v109, v2, v1, v0
.LBB364_584:                            ;   in Loop: Header=BB364_10 Depth=1
	s_or_b32 exec_lo, exec_lo, s19
.LBB364_585:                            ;   in Loop: Header=BB364_10 Depth=1
	s_or_b32 exec_lo, exec_lo, s18
.LBB364_586:                            ;   in Loop: Header=BB364_10 Depth=1
	s_or_b32 exec_lo, exec_lo, s6
	flat_load_dwordx2 v[24:25], v[16:17] offset:8
	s_waitcnt vmcnt(0) lgkmcnt(0)
	v_cmp_ne_u16_sdwa s5, v24, v13 src0_sel:BYTE_0 src1_sel:DWORD
	s_and_saveexec_b32 s6, s5
	s_cbranch_execz .LBB364_594
; %bb.587:                              ;   in Loop: Header=BB364_10 Depth=1
	v_cmp_ne_u16_sdwa s5, v24, v48 src0_sel:BYTE_0 src1_sel:DWORD
	v_bfrev_b32_e32 v110, 1
	s_and_saveexec_b32 s18, s5
	s_cbranch_execz .LBB364_593
; %bb.588:                              ;   in Loop: Header=BB364_10 Depth=1
	v_and_b32_e32 v1, 0x7f, v24
	v_mov_b32_e32 v110, 0x7f800001
	s_mov_b32 s19, exec_lo
	v_cmpx_ne_u32_e32 0x7f, v1
	s_cbranch_execz .LBB364_592
; %bb.589:                              ;   in Loop: Header=BB364_10 Depth=1
	v_mov_b32_e32 v27, v25
	v_lshrrev_b32_e32 v0, 3, v1
	v_mov_b32_e32 v26, v24
	s_mov_b32 s20, exec_lo
	v_cmpx_gt_u32_e32 8, v1
; %bb.590:                              ;   in Loop: Header=BB364_10 Depth=1
	v_and_b32_e32 v0, 7, v24
	v_ffbh_u32_e32 v0, v0
	v_min_u32_e32 v0, 32, v0
	v_subrev_nc_u32_e32 v1, 28, v0
	v_sub_nc_u32_e32 v0, 29, v0
	v_lshlrev_b64 v[26:27], v1, v[24:25]
; %bb.591:                              ;   in Loop: Header=BB364_10 Depth=1
	s_or_b32 exec_lo, exec_lo, s20
	v_lshlrev_b32_e32 v1, 20, v26
	v_lshlrev_b32_e32 v2, 24, v24
	v_lshl_add_u32 v0, v0, 23, 0x3c000000
	v_and_b32_e32 v1, 0x700000, v1
	v_and_b32_e32 v2, 0x80000000, v2
	v_or3_b32 v110, v1, v2, v0
.LBB364_592:                            ;   in Loop: Header=BB364_10 Depth=1
	s_or_b32 exec_lo, exec_lo, s19
.LBB364_593:                            ;   in Loop: Header=BB364_10 Depth=1
	s_or_b32 exec_lo, exec_lo, s18
.LBB364_594:                            ;   in Loop: Header=BB364_10 Depth=1
	s_or_b32 exec_lo, exec_lo, s6
	v_cmp_ne_u16_sdwa s5, v24, v13 src0_sel:BYTE_1 src1_sel:DWORD
	v_mov_b32_e32 v120, 0
	v_mov_b32_e32 v111, 0
	s_and_saveexec_b32 s6, s5
	s_cbranch_execz .LBB364_602
; %bb.595:                              ;   in Loop: Header=BB364_10 Depth=1
	v_cmp_ne_u16_sdwa s5, v24, v48 src0_sel:BYTE_1 src1_sel:DWORD
	v_bfrev_b32_e32 v111, 1
	s_and_saveexec_b32 s18, s5
	s_cbranch_execz .LBB364_601
; %bb.596:                              ;   in Loop: Header=BB364_10 Depth=1
	v_mov_b32_e32 v0, 0xffff
	v_mov_b32_e32 v111, 0x7f800001
	s_mov_b32 s19, exec_lo
	v_and_b32_sdwa v0, v0, v24 dst_sel:DWORD dst_unused:UNUSED_PAD src0_sel:DWORD src1_sel:BYTE_1
	v_and_b32_e32 v1, 0x7f, v0
	v_cmpx_ne_u32_e32 0x7f, v1
	s_cbranch_execz .LBB364_600
; %bb.597:                              ;   in Loop: Header=BB364_10 Depth=1
	v_and_b32_e32 v12, 7, v0
	v_mov_b32_e32 v27, v13
	v_lshrrev_b32_e32 v0, 3, v1
	s_mov_b32 s20, exec_lo
	v_mov_b32_e32 v26, v12
	v_cmpx_gt_u32_e32 8, v1
; %bb.598:                              ;   in Loop: Header=BB364_10 Depth=1
	v_ffbh_u32_e32 v0, v12
	v_min_u32_e32 v0, 32, v0
	v_subrev_nc_u32_e32 v1, 28, v0
	v_sub_nc_u32_e32 v0, 29, v0
	v_lshlrev_b64 v[1:2], v1, v[12:13]
	v_and_b32_e32 v26, 7, v1
; %bb.599:                              ;   in Loop: Header=BB364_10 Depth=1
	s_or_b32 exec_lo, exec_lo, s20
	v_lshlrev_b32_e32 v1, 16, v24
	v_lshlrev_b32_e32 v2, 20, v26
	v_lshl_add_u32 v0, v0, 23, 0x3c000000
	v_and_b32_e32 v1, 0x80000000, v1
	v_or3_b32 v111, v2, v1, v0
.LBB364_600:                            ;   in Loop: Header=BB364_10 Depth=1
	s_or_b32 exec_lo, exec_lo, s19
.LBB364_601:                            ;   in Loop: Header=BB364_10 Depth=1
	s_or_b32 exec_lo, exec_lo, s18
.LBB364_602:                            ;   in Loop: Header=BB364_10 Depth=1
	s_or_b32 exec_lo, exec_lo, s6
	v_and_b32_sdwa v0, v24, v50 dst_sel:DWORD dst_unused:UNUSED_PAD src0_sel:WORD_1 src1_sel:DWORD
	s_mov_b32 s6, exec_lo
	v_cmpx_ne_u16_e32 0, v0
	s_cbranch_execz .LBB364_610
; %bb.603:                              ;   in Loop: Header=BB364_10 Depth=1
	v_bfrev_b32_e32 v120, 1
	s_mov_b32 s18, exec_lo
	v_cmpx_ne_u16_e32 0x80, v0
	s_cbranch_execz .LBB364_609
; %bb.604:                              ;   in Loop: Header=BB364_10 Depth=1
	v_bfe_u32 v1, v24, 16, 7
	v_mov_b32_e32 v120, 0x7f800001
	s_mov_b32 s19, exec_lo
	v_cmpx_ne_u32_e32 0x7f, v1
	s_cbranch_execz .LBB364_608
; %bb.605:                              ;   in Loop: Header=BB364_10 Depth=1
	v_and_b32_sdwa v12, v24, v51 dst_sel:DWORD dst_unused:UNUSED_PAD src0_sel:WORD_1 src1_sel:DWORD
	v_mov_b32_e32 v27, v13
	v_lshrrev_b32_e32 v0, 3, v1
	s_mov_b32 s20, exec_lo
	v_mov_b32_e32 v26, v12
	v_cmpx_gt_u32_e32 8, v1
; %bb.606:                              ;   in Loop: Header=BB364_10 Depth=1
	v_ffbh_u32_e32 v0, v12
	v_min_u32_e32 v0, 32, v0
	v_subrev_nc_u32_e32 v1, 28, v0
	v_sub_nc_u32_e32 v0, 29, v0
	v_lshlrev_b64 v[1:2], v1, v[12:13]
	v_and_b32_e32 v26, 7, v1
; %bb.607:                              ;   in Loop: Header=BB364_10 Depth=1
	s_or_b32 exec_lo, exec_lo, s20
	v_lshlrev_b32_sdwa v1, v52, v24 dst_sel:DWORD dst_unused:UNUSED_PAD src0_sel:DWORD src1_sel:WORD_1
	v_lshlrev_b32_e32 v2, 20, v26
	v_lshl_add_u32 v0, v0, 23, 0x3c000000
	v_and_b32_e32 v1, 0x80000000, v1
	v_or3_b32 v120, v2, v1, v0
.LBB364_608:                            ;   in Loop: Header=BB364_10 Depth=1
	s_or_b32 exec_lo, exec_lo, s19
.LBB364_609:                            ;   in Loop: Header=BB364_10 Depth=1
	s_or_b32 exec_lo, exec_lo, s18
.LBB364_610:                            ;   in Loop: Header=BB364_10 Depth=1
	s_or_b32 exec_lo, exec_lo, s6
	v_mov_b32_e32 v122, 0
	v_mov_b32_e32 v121, 0
	s_mov_b32 s6, exec_lo
	v_cmpx_lt_u32_e32 0xffffff, v24
	s_cbranch_execz .LBB364_618
; %bb.611:                              ;   in Loop: Header=BB364_10 Depth=1
	v_cmp_ne_u32_sdwa s5, v24, v48 src0_sel:BYTE_3 src1_sel:DWORD
	v_bfrev_b32_e32 v121, 1
	s_and_saveexec_b32 s18, s5
	s_cbranch_execz .LBB364_617
; %bb.612:                              ;   in Loop: Header=BB364_10 Depth=1
	v_bfe_u32 v1, v24, 24, 7
	v_mov_b32_e32 v121, 0x7f800001
	s_mov_b32 s19, exec_lo
	v_cmpx_ne_u32_e32 0x7f, v1
	s_cbranch_execz .LBB364_616
; %bb.613:                              ;   in Loop: Header=BB364_10 Depth=1
	v_and_b32_sdwa v12, v24, v51 dst_sel:DWORD dst_unused:UNUSED_PAD src0_sel:BYTE_3 src1_sel:DWORD
	v_mov_b32_e32 v27, v13
	v_lshrrev_b32_e32 v0, 3, v1
	s_mov_b32 s20, exec_lo
	v_mov_b32_e32 v26, v12
	v_cmpx_gt_u32_e32 8, v1
; %bb.614:                              ;   in Loop: Header=BB364_10 Depth=1
	v_ffbh_u32_e32 v0, v12
	v_min_u32_e32 v0, 32, v0
	v_subrev_nc_u32_e32 v1, 28, v0
	v_sub_nc_u32_e32 v0, 29, v0
	v_lshlrev_b64 v[1:2], v1, v[12:13]
	v_and_b32_e32 v26, 7, v1
; %bb.615:                              ;   in Loop: Header=BB364_10 Depth=1
	s_or_b32 exec_lo, exec_lo, s20
	v_lshlrev_b32_sdwa v1, v52, v24 dst_sel:DWORD dst_unused:UNUSED_PAD src0_sel:DWORD src1_sel:BYTE_3
	v_lshlrev_b32_e32 v2, 20, v26
	v_lshl_add_u32 v0, v0, 23, 0x3c000000
	v_and_b32_e32 v1, 0x80000000, v1
	v_or3_b32 v121, v2, v1, v0
.LBB364_616:                            ;   in Loop: Header=BB364_10 Depth=1
	s_or_b32 exec_lo, exec_lo, s19
.LBB364_617:                            ;   in Loop: Header=BB364_10 Depth=1
	s_or_b32 exec_lo, exec_lo, s18
.LBB364_618:                            ;   in Loop: Header=BB364_10 Depth=1
	s_or_b32 exec_lo, exec_lo, s6
	v_mov_b32_e32 v12, v25
	v_cmp_ne_u16_sdwa s5, v25, v13 src0_sel:BYTE_0 src1_sel:DWORD
	s_and_saveexec_b32 s6, s5
	s_cbranch_execz .LBB364_626
; %bb.619:                              ;   in Loop: Header=BB364_10 Depth=1
	v_cmp_ne_u16_sdwa s5, v25, v48 src0_sel:BYTE_0 src1_sel:DWORD
	v_bfrev_b32_e32 v122, 1
	s_and_saveexec_b32 s18, s5
	s_cbranch_execz .LBB364_625
; %bb.620:                              ;   in Loop: Header=BB364_10 Depth=1
	v_and_b32_e32 v1, 0x7f, v25
	v_mov_b32_e32 v122, 0x7f800001
	s_mov_b32 s19, exec_lo
	v_cmpx_ne_u32_e32 0x7f, v1
	s_cbranch_execz .LBB364_624
; %bb.621:                              ;   in Loop: Header=BB364_10 Depth=1
	v_mov_b32_e32 v27, v13
	v_lshrrev_b32_e32 v0, 3, v1
	v_mov_b32_e32 v26, v12
	s_mov_b32 s20, exec_lo
	v_cmpx_gt_u32_e32 8, v1
; %bb.622:                              ;   in Loop: Header=BB364_10 Depth=1
	v_and_b32_e32 v0, 7, v25
	v_ffbh_u32_e32 v0, v0
	v_min_u32_e32 v0, 32, v0
	v_subrev_nc_u32_e32 v1, 28, v0
	v_sub_nc_u32_e32 v0, 29, v0
	v_lshlrev_b64 v[26:27], v1, v[12:13]
; %bb.623:                              ;   in Loop: Header=BB364_10 Depth=1
	s_or_b32 exec_lo, exec_lo, s20
	v_lshlrev_b32_e32 v1, 20, v26
	v_lshlrev_b32_e32 v2, 24, v12
	v_lshl_add_u32 v0, v0, 23, 0x3c000000
	v_and_b32_e32 v1, 0x700000, v1
	v_and_b32_e32 v2, 0x80000000, v2
	v_or3_b32 v122, v1, v2, v0
.LBB364_624:                            ;   in Loop: Header=BB364_10 Depth=1
	s_or_b32 exec_lo, exec_lo, s19
.LBB364_625:                            ;   in Loop: Header=BB364_10 Depth=1
	s_or_b32 exec_lo, exec_lo, s18
.LBB364_626:                            ;   in Loop: Header=BB364_10 Depth=1
	s_or_b32 exec_lo, exec_lo, s6
	v_cmp_ne_u16_sdwa s5, v12, v13 src0_sel:BYTE_1 src1_sel:DWORD
	v_mov_b32_e32 v123, 0
	v_mov_b32_e32 v124, 0
	s_and_saveexec_b32 s6, s5
	s_cbranch_execz .LBB364_634
; %bb.627:                              ;   in Loop: Header=BB364_10 Depth=1
	v_cmp_ne_u16_sdwa s5, v12, v48 src0_sel:BYTE_1 src1_sel:DWORD
	v_bfrev_b32_e32 v124, 1
	s_and_saveexec_b32 s18, s5
	s_cbranch_execz .LBB364_633
; %bb.628:                              ;   in Loop: Header=BB364_10 Depth=1
	v_mov_b32_e32 v0, 0xffff
	v_mov_b32_e32 v124, 0x7f800001
	s_mov_b32 s19, exec_lo
	v_and_b32_sdwa v0, v0, v12 dst_sel:DWORD dst_unused:UNUSED_PAD src0_sel:DWORD src1_sel:BYTE_1
	v_and_b32_e32 v1, 0x7f, v0
	v_cmpx_ne_u32_e32 0x7f, v1
	s_cbranch_execz .LBB364_632
; %bb.629:                              ;   in Loop: Header=BB364_10 Depth=1
	v_and_b32_e32 v26, 7, v0
	v_mov_b32_e32 v27, v13
	v_lshrrev_b32_e32 v0, 3, v1
	s_mov_b32 s20, exec_lo
	v_cmpx_gt_u32_e32 8, v1
; %bb.630:                              ;   in Loop: Header=BB364_10 Depth=1
	v_ffbh_u32_e32 v0, v26
	v_min_u32_e32 v0, 32, v0
	v_subrev_nc_u32_e32 v1, 28, v0
	v_sub_nc_u32_e32 v0, 29, v0
	v_lshlrev_b64 v[1:2], v1, v[26:27]
	v_and_b32_e32 v26, 7, v1
; %bb.631:                              ;   in Loop: Header=BB364_10 Depth=1
	s_or_b32 exec_lo, exec_lo, s20
	v_lshlrev_b32_e32 v1, 16, v12
	v_lshlrev_b32_e32 v2, 20, v26
	v_lshl_add_u32 v0, v0, 23, 0x3c000000
	v_and_b32_e32 v1, 0x80000000, v1
	v_or3_b32 v124, v2, v1, v0
.LBB364_632:                            ;   in Loop: Header=BB364_10 Depth=1
	s_or_b32 exec_lo, exec_lo, s19
.LBB364_633:                            ;   in Loop: Header=BB364_10 Depth=1
	s_or_b32 exec_lo, exec_lo, s18
.LBB364_634:                            ;   in Loop: Header=BB364_10 Depth=1
	s_or_b32 exec_lo, exec_lo, s6
	v_and_b32_sdwa v0, v25, v50 dst_sel:DWORD dst_unused:UNUSED_PAD src0_sel:WORD_1 src1_sel:DWORD
	s_mov_b32 s6, exec_lo
	v_cmpx_ne_u16_e32 0, v0
	s_cbranch_execz .LBB364_642
; %bb.635:                              ;   in Loop: Header=BB364_10 Depth=1
	v_bfrev_b32_e32 v123, 1
	s_mov_b32 s18, exec_lo
	v_cmpx_ne_u16_e32 0x80, v0
	s_cbranch_execz .LBB364_641
; %bb.636:                              ;   in Loop: Header=BB364_10 Depth=1
	v_bfe_u32 v1, v25, 16, 7
	v_mov_b32_e32 v123, 0x7f800001
	s_mov_b32 s19, exec_lo
	v_cmpx_ne_u32_e32 0x7f, v1
	s_cbranch_execz .LBB364_640
; %bb.637:                              ;   in Loop: Header=BB364_10 Depth=1
	v_and_b32_sdwa v12, v25, v51 dst_sel:DWORD dst_unused:UNUSED_PAD src0_sel:WORD_1 src1_sel:DWORD
	v_mov_b32_e32 v27, v13
	v_lshrrev_b32_e32 v0, 3, v1
	s_mov_b32 s20, exec_lo
	v_mov_b32_e32 v26, v12
	v_cmpx_gt_u32_e32 8, v1
; %bb.638:                              ;   in Loop: Header=BB364_10 Depth=1
	v_ffbh_u32_e32 v0, v12
	v_min_u32_e32 v0, 32, v0
	v_subrev_nc_u32_e32 v1, 28, v0
	v_sub_nc_u32_e32 v0, 29, v0
	v_lshlrev_b64 v[1:2], v1, v[12:13]
	v_and_b32_e32 v26, 7, v1
; %bb.639:                              ;   in Loop: Header=BB364_10 Depth=1
	s_or_b32 exec_lo, exec_lo, s20
	v_lshlrev_b32_sdwa v1, v52, v25 dst_sel:DWORD dst_unused:UNUSED_PAD src0_sel:DWORD src1_sel:WORD_1
	v_lshlrev_b32_e32 v2, 20, v26
	v_lshl_add_u32 v0, v0, 23, 0x3c000000
	v_and_b32_e32 v1, 0x80000000, v1
	v_or3_b32 v123, v2, v1, v0
.LBB364_640:                            ;   in Loop: Header=BB364_10 Depth=1
	s_or_b32 exec_lo, exec_lo, s19
.LBB364_641:                            ;   in Loop: Header=BB364_10 Depth=1
	s_or_b32 exec_lo, exec_lo, s18
.LBB364_642:                            ;   in Loop: Header=BB364_10 Depth=1
	s_or_b32 exec_lo, exec_lo, s6
	v_mov_b32_e32 v126, 0
	v_mov_b32_e32 v125, 0
	s_mov_b32 s6, exec_lo
	v_cmpx_lt_u64_e64 s[8:9], v[24:25]
	s_cbranch_execz .LBB364_650
; %bb.643:                              ;   in Loop: Header=BB364_10 Depth=1
	v_cmp_ne_u32_sdwa s5, v25, v48 src0_sel:BYTE_3 src1_sel:DWORD
	v_bfrev_b32_e32 v125, 1
	s_and_saveexec_b32 s18, s5
	s_cbranch_execz .LBB364_649
; %bb.644:                              ;   in Loop: Header=BB364_10 Depth=1
	v_bfe_u32 v1, v25, 24, 7
	v_mov_b32_e32 v125, 0x7f800001
	s_mov_b32 s19, exec_lo
	v_cmpx_ne_u32_e32 0x7f, v1
	s_cbranch_execz .LBB364_648
; %bb.645:                              ;   in Loop: Header=BB364_10 Depth=1
	v_and_b32_sdwa v12, v25, v51 dst_sel:DWORD dst_unused:UNUSED_PAD src0_sel:BYTE_3 src1_sel:DWORD
	v_mov_b32_e32 v27, v13
	v_lshrrev_b32_e32 v0, 3, v1
	s_mov_b32 s20, exec_lo
	v_mov_b32_e32 v26, v12
	v_cmpx_gt_u32_e32 8, v1
; %bb.646:                              ;   in Loop: Header=BB364_10 Depth=1
	v_ffbh_u32_e32 v0, v12
	v_min_u32_e32 v0, 32, v0
	v_subrev_nc_u32_e32 v1, 28, v0
	v_sub_nc_u32_e32 v0, 29, v0
	v_lshlrev_b64 v[1:2], v1, v[12:13]
	v_and_b32_e32 v26, 7, v1
; %bb.647:                              ;   in Loop: Header=BB364_10 Depth=1
	s_or_b32 exec_lo, exec_lo, s20
	v_lshlrev_b32_sdwa v1, v52, v25 dst_sel:DWORD dst_unused:UNUSED_PAD src0_sel:DWORD src1_sel:BYTE_3
	v_lshlrev_b32_e32 v2, 20, v26
	v_lshl_add_u32 v0, v0, 23, 0x3c000000
	v_and_b32_e32 v1, 0x80000000, v1
	v_or3_b32 v125, v2, v1, v0
.LBB364_648:                            ;   in Loop: Header=BB364_10 Depth=1
	s_or_b32 exec_lo, exec_lo, s19
.LBB364_649:                            ;   in Loop: Header=BB364_10 Depth=1
	s_or_b32 exec_lo, exec_lo, s18
.LBB364_650:                            ;   in Loop: Header=BB364_10 Depth=1
	s_or_b32 exec_lo, exec_lo, s6
	flat_load_dwordx2 v[24:25], v[16:17] offset:512
	s_waitcnt vmcnt(0) lgkmcnt(0)
	v_cmp_ne_u16_sdwa s5, v24, v13 src0_sel:BYTE_0 src1_sel:DWORD
	s_and_saveexec_b32 s6, s5
	s_cbranch_execz .LBB364_658
; %bb.651:                              ;   in Loop: Header=BB364_10 Depth=1
	v_cmp_ne_u16_sdwa s5, v24, v48 src0_sel:BYTE_0 src1_sel:DWORD
	v_bfrev_b32_e32 v126, 1
	s_and_saveexec_b32 s18, s5
	s_cbranch_execz .LBB364_657
; %bb.652:                              ;   in Loop: Header=BB364_10 Depth=1
	v_and_b32_e32 v1, 0x7f, v24
	v_mov_b32_e32 v126, 0x7f800001
	s_mov_b32 s19, exec_lo
	v_cmpx_ne_u32_e32 0x7f, v1
	s_cbranch_execz .LBB364_656
; %bb.653:                              ;   in Loop: Header=BB364_10 Depth=1
	v_mov_b32_e32 v27, v25
	v_lshrrev_b32_e32 v0, 3, v1
	v_mov_b32_e32 v26, v24
	s_mov_b32 s20, exec_lo
	v_cmpx_gt_u32_e32 8, v1
; %bb.654:                              ;   in Loop: Header=BB364_10 Depth=1
	v_and_b32_e32 v0, 7, v24
	v_ffbh_u32_e32 v0, v0
	v_min_u32_e32 v0, 32, v0
	v_subrev_nc_u32_e32 v1, 28, v0
	v_sub_nc_u32_e32 v0, 29, v0
	v_lshlrev_b64 v[26:27], v1, v[24:25]
; %bb.655:                              ;   in Loop: Header=BB364_10 Depth=1
	s_or_b32 exec_lo, exec_lo, s20
	v_lshlrev_b32_e32 v1, 20, v26
	v_lshlrev_b32_e32 v2, 24, v24
	v_lshl_add_u32 v0, v0, 23, 0x3c000000
	v_and_b32_e32 v1, 0x700000, v1
	v_and_b32_e32 v2, 0x80000000, v2
	v_or3_b32 v126, v1, v2, v0
.LBB364_656:                            ;   in Loop: Header=BB364_10 Depth=1
	s_or_b32 exec_lo, exec_lo, s19
.LBB364_657:                            ;   in Loop: Header=BB364_10 Depth=1
	s_or_b32 exec_lo, exec_lo, s18
.LBB364_658:                            ;   in Loop: Header=BB364_10 Depth=1
	s_or_b32 exec_lo, exec_lo, s6
	v_cmp_ne_u16_sdwa s5, v24, v13 src0_sel:BYTE_1 src1_sel:DWORD
	v_mov_b32_e32 v33, 0
	v_mov_b32_e32 v127, 0
	s_and_saveexec_b32 s6, s5
	s_cbranch_execz .LBB364_666
; %bb.659:                              ;   in Loop: Header=BB364_10 Depth=1
	v_cmp_ne_u16_sdwa s5, v24, v48 src0_sel:BYTE_1 src1_sel:DWORD
	v_bfrev_b32_e32 v127, 1
	s_and_saveexec_b32 s18, s5
	s_cbranch_execz .LBB364_665
; %bb.660:                              ;   in Loop: Header=BB364_10 Depth=1
	v_mov_b32_e32 v0, 0xffff
	v_mov_b32_e32 v127, 0x7f800001
	s_mov_b32 s19, exec_lo
	v_and_b32_sdwa v0, v0, v24 dst_sel:DWORD dst_unused:UNUSED_PAD src0_sel:DWORD src1_sel:BYTE_1
	v_and_b32_e32 v1, 0x7f, v0
	v_cmpx_ne_u32_e32 0x7f, v1
	s_cbranch_execz .LBB364_664
; %bb.661:                              ;   in Loop: Header=BB364_10 Depth=1
	v_and_b32_e32 v12, 7, v0
	v_mov_b32_e32 v27, v13
	v_lshrrev_b32_e32 v0, 3, v1
	s_mov_b32 s20, exec_lo
	v_mov_b32_e32 v26, v12
	v_cmpx_gt_u32_e32 8, v1
; %bb.662:                              ;   in Loop: Header=BB364_10 Depth=1
	v_ffbh_u32_e32 v0, v12
	v_min_u32_e32 v0, 32, v0
	v_subrev_nc_u32_e32 v1, 28, v0
	v_sub_nc_u32_e32 v0, 29, v0
	v_lshlrev_b64 v[1:2], v1, v[12:13]
	v_and_b32_e32 v26, 7, v1
; %bb.663:                              ;   in Loop: Header=BB364_10 Depth=1
	s_or_b32 exec_lo, exec_lo, s20
	v_lshlrev_b32_e32 v1, 16, v24
	v_lshlrev_b32_e32 v2, 20, v26
	v_lshl_add_u32 v0, v0, 23, 0x3c000000
	v_and_b32_e32 v1, 0x80000000, v1
	v_or3_b32 v127, v2, v1, v0
.LBB364_664:                            ;   in Loop: Header=BB364_10 Depth=1
	s_or_b32 exec_lo, exec_lo, s19
.LBB364_665:                            ;   in Loop: Header=BB364_10 Depth=1
	s_or_b32 exec_lo, exec_lo, s18
.LBB364_666:                            ;   in Loop: Header=BB364_10 Depth=1
	s_or_b32 exec_lo, exec_lo, s6
	v_and_b32_sdwa v0, v24, v50 dst_sel:DWORD dst_unused:UNUSED_PAD src0_sel:WORD_1 src1_sel:DWORD
	s_mov_b32 s6, exec_lo
	v_cmpx_ne_u16_e32 0, v0
	s_cbranch_execz .LBB364_674
; %bb.667:                              ;   in Loop: Header=BB364_10 Depth=1
	v_bfrev_b32_e32 v33, 1
	s_mov_b32 s18, exec_lo
	v_cmpx_ne_u16_e32 0x80, v0
	s_cbranch_execz .LBB364_673
; %bb.668:                              ;   in Loop: Header=BB364_10 Depth=1
	v_bfe_u32 v1, v24, 16, 7
	v_mov_b32_e32 v33, 0x7f800001
	s_mov_b32 s19, exec_lo
	v_cmpx_ne_u32_e32 0x7f, v1
	s_cbranch_execz .LBB364_672
; %bb.669:                              ;   in Loop: Header=BB364_10 Depth=1
	v_and_b32_sdwa v12, v24, v51 dst_sel:DWORD dst_unused:UNUSED_PAD src0_sel:WORD_1 src1_sel:DWORD
	v_mov_b32_e32 v27, v13
	v_lshrrev_b32_e32 v0, 3, v1
	s_mov_b32 s20, exec_lo
	v_mov_b32_e32 v26, v12
	v_cmpx_gt_u32_e32 8, v1
; %bb.670:                              ;   in Loop: Header=BB364_10 Depth=1
	v_ffbh_u32_e32 v0, v12
	v_min_u32_e32 v0, 32, v0
	v_subrev_nc_u32_e32 v1, 28, v0
	v_sub_nc_u32_e32 v0, 29, v0
	v_lshlrev_b64 v[1:2], v1, v[12:13]
	v_and_b32_e32 v26, 7, v1
; %bb.671:                              ;   in Loop: Header=BB364_10 Depth=1
	s_or_b32 exec_lo, exec_lo, s20
	v_lshlrev_b32_sdwa v1, v52, v24 dst_sel:DWORD dst_unused:UNUSED_PAD src0_sel:DWORD src1_sel:WORD_1
	v_lshlrev_b32_e32 v2, 20, v26
	v_lshl_add_u32 v0, v0, 23, 0x3c000000
	v_and_b32_e32 v1, 0x80000000, v1
	v_or3_b32 v33, v2, v1, v0
.LBB364_672:                            ;   in Loop: Header=BB364_10 Depth=1
	s_or_b32 exec_lo, exec_lo, s19
.LBB364_673:                            ;   in Loop: Header=BB364_10 Depth=1
	s_or_b32 exec_lo, exec_lo, s18
.LBB364_674:                            ;   in Loop: Header=BB364_10 Depth=1
	s_or_b32 exec_lo, exec_lo, s6
	v_mov_b32_e32 v0, 0
	v_mov_b32_e32 v1, 0
	s_mov_b32 s6, exec_lo
	v_cmpx_lt_u32_e32 0xffffff, v24
	s_cbranch_execz .LBB364_682
; %bb.675:                              ;   in Loop: Header=BB364_10 Depth=1
	v_cmp_ne_u32_sdwa s5, v24, v48 src0_sel:BYTE_3 src1_sel:DWORD
	v_bfrev_b32_e32 v1, 1
	s_and_saveexec_b32 s18, s5
	s_cbranch_execz .LBB364_681
; %bb.676:                              ;   in Loop: Header=BB364_10 Depth=1
	v_bfe_u32 v2, v24, 24, 7
	v_mov_b32_e32 v1, 0x7f800001
	s_mov_b32 s19, exec_lo
	v_cmpx_ne_u32_e32 0x7f, v2
	s_cbranch_execz .LBB364_680
; %bb.677:                              ;   in Loop: Header=BB364_10 Depth=1
	v_and_b32_sdwa v12, v24, v51 dst_sel:DWORD dst_unused:UNUSED_PAD src0_sel:BYTE_3 src1_sel:DWORD
	v_mov_b32_e32 v27, v13
	v_lshrrev_b32_e32 v1, 3, v2
	s_mov_b32 s20, exec_lo
	v_mov_b32_e32 v26, v12
	v_cmpx_gt_u32_e32 8, v2
; %bb.678:                              ;   in Loop: Header=BB364_10 Depth=1
	v_ffbh_u32_e32 v1, v12
	v_min_u32_e32 v1, 32, v1
	v_subrev_nc_u32_e32 v2, 28, v1
	v_sub_nc_u32_e32 v1, 29, v1
	v_lshlrev_b64 v[2:3], v2, v[12:13]
	v_and_b32_e32 v26, 7, v2
; %bb.679:                              ;   in Loop: Header=BB364_10 Depth=1
	s_or_b32 exec_lo, exec_lo, s20
	v_lshlrev_b32_sdwa v2, v52, v24 dst_sel:DWORD dst_unused:UNUSED_PAD src0_sel:DWORD src1_sel:BYTE_3
	v_lshlrev_b32_e32 v3, 20, v26
	v_lshl_add_u32 v1, v1, 23, 0x3c000000
	v_and_b32_e32 v2, 0x80000000, v2
	v_or3_b32 v1, v3, v2, v1
.LBB364_680:                            ;   in Loop: Header=BB364_10 Depth=1
	s_or_b32 exec_lo, exec_lo, s19
.LBB364_681:                            ;   in Loop: Header=BB364_10 Depth=1
	s_or_b32 exec_lo, exec_lo, s18
.LBB364_682:                            ;   in Loop: Header=BB364_10 Depth=1
	s_or_b32 exec_lo, exec_lo, s6
	v_mov_b32_e32 v12, v25
	v_cmp_ne_u16_sdwa s5, v25, v13 src0_sel:BYTE_0 src1_sel:DWORD
	s_and_saveexec_b32 s6, s5
	s_cbranch_execz .LBB364_690
; %bb.683:                              ;   in Loop: Header=BB364_10 Depth=1
	v_cmp_ne_u16_sdwa s5, v25, v48 src0_sel:BYTE_0 src1_sel:DWORD
	v_bfrev_b32_e32 v0, 1
	s_and_saveexec_b32 s18, s5
	s_cbranch_execz .LBB364_689
; %bb.684:                              ;   in Loop: Header=BB364_10 Depth=1
	v_and_b32_e32 v2, 0x7f, v25
	v_mov_b32_e32 v0, 0x7f800001
	s_mov_b32 s19, exec_lo
	v_cmpx_ne_u32_e32 0x7f, v2
	s_cbranch_execz .LBB364_688
; %bb.685:                              ;   in Loop: Header=BB364_10 Depth=1
	v_mov_b32_e32 v27, v13
	v_lshrrev_b32_e32 v0, 3, v2
	v_mov_b32_e32 v26, v12
	s_mov_b32 s20, exec_lo
	v_cmpx_gt_u32_e32 8, v2
; %bb.686:                              ;   in Loop: Header=BB364_10 Depth=1
	v_and_b32_e32 v0, 7, v25
	v_ffbh_u32_e32 v0, v0
	v_min_u32_e32 v0, 32, v0
	v_subrev_nc_u32_e32 v2, 28, v0
	v_sub_nc_u32_e32 v0, 29, v0
	v_lshlrev_b64 v[26:27], v2, v[12:13]
; %bb.687:                              ;   in Loop: Header=BB364_10 Depth=1
	s_or_b32 exec_lo, exec_lo, s20
	v_lshlrev_b32_e32 v2, 20, v26
	v_lshlrev_b32_e32 v3, 24, v12
	v_lshl_add_u32 v0, v0, 23, 0x3c000000
	v_and_b32_e32 v2, 0x700000, v2
	v_and_b32_e32 v3, 0x80000000, v3
	v_or3_b32 v0, v2, v3, v0
.LBB364_688:                            ;   in Loop: Header=BB364_10 Depth=1
	s_or_b32 exec_lo, exec_lo, s19
.LBB364_689:                            ;   in Loop: Header=BB364_10 Depth=1
	s_or_b32 exec_lo, exec_lo, s18
.LBB364_690:                            ;   in Loop: Header=BB364_10 Depth=1
	s_or_b32 exec_lo, exec_lo, s6
	v_cmp_ne_u16_sdwa s5, v12, v13 src0_sel:BYTE_1 src1_sel:DWORD
	v_mov_b32_e32 v31, 0
	v_mov_b32_e32 v29, 0
	s_and_saveexec_b32 s6, s5
	s_cbranch_execz .LBB364_698
; %bb.691:                              ;   in Loop: Header=BB364_10 Depth=1
	v_cmp_ne_u16_sdwa s5, v12, v48 src0_sel:BYTE_1 src1_sel:DWORD
	v_bfrev_b32_e32 v29, 1
	s_and_saveexec_b32 s18, s5
	s_cbranch_execz .LBB364_697
; %bb.692:                              ;   in Loop: Header=BB364_10 Depth=1
	v_mov_b32_e32 v2, 0xffff
	v_mov_b32_e32 v29, 0x7f800001
	s_mov_b32 s19, exec_lo
	v_and_b32_sdwa v2, v2, v12 dst_sel:DWORD dst_unused:UNUSED_PAD src0_sel:DWORD src1_sel:BYTE_1
	v_and_b32_e32 v3, 0x7f, v2
	v_cmpx_ne_u32_e32 0x7f, v3
	s_cbranch_execz .LBB364_696
; %bb.693:                              ;   in Loop: Header=BB364_10 Depth=1
	v_and_b32_e32 v26, 7, v2
	v_mov_b32_e32 v27, v13
	v_lshrrev_b32_e32 v2, 3, v3
	s_mov_b32 s20, exec_lo
	v_cmpx_gt_u32_e32 8, v3
; %bb.694:                              ;   in Loop: Header=BB364_10 Depth=1
	v_ffbh_u32_e32 v2, v26
	v_min_u32_e32 v2, 32, v2
	v_subrev_nc_u32_e32 v3, 28, v2
	v_sub_nc_u32_e32 v2, 29, v2
	v_lshlrev_b64 v[3:4], v3, v[26:27]
	v_and_b32_e32 v26, 7, v3
; %bb.695:                              ;   in Loop: Header=BB364_10 Depth=1
	s_or_b32 exec_lo, exec_lo, s20
	v_lshlrev_b32_e32 v3, 16, v12
	v_lshlrev_b32_e32 v4, 20, v26
	v_lshl_add_u32 v2, v2, 23, 0x3c000000
	v_and_b32_e32 v3, 0x80000000, v3
	v_or3_b32 v29, v4, v3, v2
.LBB364_696:                            ;   in Loop: Header=BB364_10 Depth=1
	s_or_b32 exec_lo, exec_lo, s19
.LBB364_697:                            ;   in Loop: Header=BB364_10 Depth=1
	s_or_b32 exec_lo, exec_lo, s18
.LBB364_698:                            ;   in Loop: Header=BB364_10 Depth=1
	s_or_b32 exec_lo, exec_lo, s6
	v_and_b32_sdwa v2, v25, v50 dst_sel:DWORD dst_unused:UNUSED_PAD src0_sel:WORD_1 src1_sel:DWORD
	s_mov_b32 s6, exec_lo
	v_cmpx_ne_u16_e32 0, v2
	s_cbranch_execz .LBB364_706
; %bb.699:                              ;   in Loop: Header=BB364_10 Depth=1
	v_bfrev_b32_e32 v31, 1
	s_mov_b32 s18, exec_lo
	v_cmpx_ne_u16_e32 0x80, v2
	s_cbranch_execz .LBB364_705
; %bb.700:                              ;   in Loop: Header=BB364_10 Depth=1
	v_bfe_u32 v3, v25, 16, 7
	v_mov_b32_e32 v31, 0x7f800001
	s_mov_b32 s19, exec_lo
	v_cmpx_ne_u32_e32 0x7f, v3
	s_cbranch_execz .LBB364_704
; %bb.701:                              ;   in Loop: Header=BB364_10 Depth=1
	v_and_b32_sdwa v12, v25, v51 dst_sel:DWORD dst_unused:UNUSED_PAD src0_sel:WORD_1 src1_sel:DWORD
	v_mov_b32_e32 v27, v13
	v_lshrrev_b32_e32 v2, 3, v3
	s_mov_b32 s20, exec_lo
	v_mov_b32_e32 v26, v12
	v_cmpx_gt_u32_e32 8, v3
; %bb.702:                              ;   in Loop: Header=BB364_10 Depth=1
	v_ffbh_u32_e32 v2, v12
	v_min_u32_e32 v2, 32, v2
	v_subrev_nc_u32_e32 v3, 28, v2
	v_sub_nc_u32_e32 v2, 29, v2
	v_lshlrev_b64 v[3:4], v3, v[12:13]
	v_and_b32_e32 v26, 7, v3
; %bb.703:                              ;   in Loop: Header=BB364_10 Depth=1
	s_or_b32 exec_lo, exec_lo, s20
	v_lshlrev_b32_sdwa v3, v52, v25 dst_sel:DWORD dst_unused:UNUSED_PAD src0_sel:DWORD src1_sel:WORD_1
	v_lshlrev_b32_e32 v4, 20, v26
	v_lshl_add_u32 v2, v2, 23, 0x3c000000
	v_and_b32_e32 v3, 0x80000000, v3
	v_or3_b32 v31, v4, v3, v2
.LBB364_704:                            ;   in Loop: Header=BB364_10 Depth=1
	s_or_b32 exec_lo, exec_lo, s19
.LBB364_705:                            ;   in Loop: Header=BB364_10 Depth=1
	s_or_b32 exec_lo, exec_lo, s18
.LBB364_706:                            ;   in Loop: Header=BB364_10 Depth=1
	s_or_b32 exec_lo, exec_lo, s6
	v_mov_b32_e32 v7, 0
	v_mov_b32_e32 v8, 0
	s_mov_b32 s6, exec_lo
	v_cmpx_lt_u64_e64 s[8:9], v[24:25]
	s_cbranch_execz .LBB364_714
; %bb.707:                              ;   in Loop: Header=BB364_10 Depth=1
	v_cmp_ne_u32_sdwa s5, v25, v48 src0_sel:BYTE_3 src1_sel:DWORD
	v_bfrev_b32_e32 v8, 1
	s_and_saveexec_b32 s18, s5
	s_cbranch_execz .LBB364_713
; %bb.708:                              ;   in Loop: Header=BB364_10 Depth=1
	v_bfe_u32 v3, v25, 24, 7
	v_mov_b32_e32 v8, 0x7f800001
	s_mov_b32 s19, exec_lo
	v_cmpx_ne_u32_e32 0x7f, v3
	s_cbranch_execz .LBB364_712
; %bb.709:                              ;   in Loop: Header=BB364_10 Depth=1
	v_and_b32_sdwa v12, v25, v51 dst_sel:DWORD dst_unused:UNUSED_PAD src0_sel:BYTE_3 src1_sel:DWORD
	v_mov_b32_e32 v27, v13
	v_lshrrev_b32_e32 v2, 3, v3
	s_mov_b32 s20, exec_lo
	v_mov_b32_e32 v26, v12
	v_cmpx_gt_u32_e32 8, v3
; %bb.710:                              ;   in Loop: Header=BB364_10 Depth=1
	v_ffbh_u32_e32 v2, v12
	v_min_u32_e32 v2, 32, v2
	v_subrev_nc_u32_e32 v3, 28, v2
	v_sub_nc_u32_e32 v2, 29, v2
	v_lshlrev_b64 v[3:4], v3, v[12:13]
	v_and_b32_e32 v26, 7, v3
; %bb.711:                              ;   in Loop: Header=BB364_10 Depth=1
	s_or_b32 exec_lo, exec_lo, s20
	v_lshlrev_b32_sdwa v3, v52, v25 dst_sel:DWORD dst_unused:UNUSED_PAD src0_sel:DWORD src1_sel:BYTE_3
	v_lshlrev_b32_e32 v4, 20, v26
	v_lshl_add_u32 v2, v2, 23, 0x3c000000
	v_and_b32_e32 v3, 0x80000000, v3
	v_or3_b32 v8, v4, v3, v2
.LBB364_712:                            ;   in Loop: Header=BB364_10 Depth=1
	s_or_b32 exec_lo, exec_lo, s19
.LBB364_713:                            ;   in Loop: Header=BB364_10 Depth=1
	s_or_b32 exec_lo, exec_lo, s18
.LBB364_714:                            ;   in Loop: Header=BB364_10 Depth=1
	s_or_b32 exec_lo, exec_lo, s6
	flat_load_dwordx2 v[24:25], v[16:17] offset:520
	s_waitcnt vmcnt(0) lgkmcnt(0)
	v_cmp_ne_u16_sdwa s5, v24, v13 src0_sel:BYTE_0 src1_sel:DWORD
	s_and_saveexec_b32 s6, s5
	s_cbranch_execz .LBB364_722
; %bb.715:                              ;   in Loop: Header=BB364_10 Depth=1
	v_cmp_ne_u16_sdwa s5, v24, v48 src0_sel:BYTE_0 src1_sel:DWORD
	v_bfrev_b32_e32 v7, 1
	s_and_saveexec_b32 s18, s5
	s_cbranch_execz .LBB364_721
; %bb.716:                              ;   in Loop: Header=BB364_10 Depth=1
	v_and_b32_e32 v3, 0x7f, v24
	v_mov_b32_e32 v7, 0x7f800001
	s_mov_b32 s19, exec_lo
	v_cmpx_ne_u32_e32 0x7f, v3
	s_cbranch_execz .LBB364_720
; %bb.717:                              ;   in Loop: Header=BB364_10 Depth=1
	v_mov_b32_e32 v27, v25
	v_lshrrev_b32_e32 v2, 3, v3
	v_mov_b32_e32 v26, v24
	s_mov_b32 s20, exec_lo
	v_cmpx_gt_u32_e32 8, v3
; %bb.718:                              ;   in Loop: Header=BB364_10 Depth=1
	v_and_b32_e32 v2, 7, v24
	v_ffbh_u32_e32 v2, v2
	v_min_u32_e32 v2, 32, v2
	v_subrev_nc_u32_e32 v3, 28, v2
	v_sub_nc_u32_e32 v2, 29, v2
	v_lshlrev_b64 v[26:27], v3, v[24:25]
; %bb.719:                              ;   in Loop: Header=BB364_10 Depth=1
	s_or_b32 exec_lo, exec_lo, s20
	v_lshlrev_b32_e32 v3, 20, v26
	v_lshlrev_b32_e32 v4, 24, v24
	v_lshl_add_u32 v2, v2, 23, 0x3c000000
	v_and_b32_e32 v3, 0x700000, v3
	v_and_b32_e32 v4, 0x80000000, v4
	v_or3_b32 v7, v3, v4, v2
.LBB364_720:                            ;   in Loop: Header=BB364_10 Depth=1
	s_or_b32 exec_lo, exec_lo, s19
.LBB364_721:                            ;   in Loop: Header=BB364_10 Depth=1
	s_or_b32 exec_lo, exec_lo, s18
.LBB364_722:                            ;   in Loop: Header=BB364_10 Depth=1
	s_or_b32 exec_lo, exec_lo, s6
	v_cmp_ne_u16_sdwa s5, v24, v13 src0_sel:BYTE_1 src1_sel:DWORD
	v_mov_b32_e32 v11, 0
	v_mov_b32_e32 v6, 0
	s_and_saveexec_b32 s6, s5
	s_cbranch_execz .LBB364_730
; %bb.723:                              ;   in Loop: Header=BB364_10 Depth=1
	v_cmp_ne_u16_sdwa s5, v24, v48 src0_sel:BYTE_1 src1_sel:DWORD
	v_bfrev_b32_e32 v6, 1
	s_and_saveexec_b32 s18, s5
	s_cbranch_execz .LBB364_729
; %bb.724:                              ;   in Loop: Header=BB364_10 Depth=1
	v_mov_b32_e32 v2, 0xffff
	v_mov_b32_e32 v6, 0x7f800001
	s_mov_b32 s19, exec_lo
	v_and_b32_sdwa v2, v2, v24 dst_sel:DWORD dst_unused:UNUSED_PAD src0_sel:DWORD src1_sel:BYTE_1
	v_and_b32_e32 v3, 0x7f, v2
	v_cmpx_ne_u32_e32 0x7f, v3
	s_cbranch_execz .LBB364_728
; %bb.725:                              ;   in Loop: Header=BB364_10 Depth=1
	v_and_b32_e32 v12, 7, v2
	v_mov_b32_e32 v27, v13
	v_lshrrev_b32_e32 v2, 3, v3
	s_mov_b32 s20, exec_lo
	v_mov_b32_e32 v26, v12
	v_cmpx_gt_u32_e32 8, v3
; %bb.726:                              ;   in Loop: Header=BB364_10 Depth=1
	v_ffbh_u32_e32 v2, v12
	v_min_u32_e32 v2, 32, v2
	v_subrev_nc_u32_e32 v3, 28, v2
	v_sub_nc_u32_e32 v2, 29, v2
	v_lshlrev_b64 v[3:4], v3, v[12:13]
	v_and_b32_e32 v26, 7, v3
; %bb.727:                              ;   in Loop: Header=BB364_10 Depth=1
	s_or_b32 exec_lo, exec_lo, s20
	v_lshlrev_b32_e32 v3, 16, v24
	v_lshlrev_b32_e32 v4, 20, v26
	v_lshl_add_u32 v2, v2, 23, 0x3c000000
	v_and_b32_e32 v3, 0x80000000, v3
	v_or3_b32 v6, v4, v3, v2
.LBB364_728:                            ;   in Loop: Header=BB364_10 Depth=1
	s_or_b32 exec_lo, exec_lo, s19
.LBB364_729:                            ;   in Loop: Header=BB364_10 Depth=1
	s_or_b32 exec_lo, exec_lo, s18
.LBB364_730:                            ;   in Loop: Header=BB364_10 Depth=1
	s_or_b32 exec_lo, exec_lo, s6
	v_and_b32_sdwa v2, v24, v50 dst_sel:DWORD dst_unused:UNUSED_PAD src0_sel:WORD_1 src1_sel:DWORD
	s_mov_b32 s6, exec_lo
	v_cmpx_ne_u16_e32 0, v2
	s_cbranch_execz .LBB364_738
; %bb.731:                              ;   in Loop: Header=BB364_10 Depth=1
	v_bfrev_b32_e32 v11, 1
	s_mov_b32 s18, exec_lo
	v_cmpx_ne_u16_e32 0x80, v2
	s_cbranch_execz .LBB364_737
; %bb.732:                              ;   in Loop: Header=BB364_10 Depth=1
	v_bfe_u32 v3, v24, 16, 7
	v_mov_b32_e32 v11, 0x7f800001
	s_mov_b32 s19, exec_lo
	v_cmpx_ne_u32_e32 0x7f, v3
	s_cbranch_execz .LBB364_736
; %bb.733:                              ;   in Loop: Header=BB364_10 Depth=1
	v_and_b32_sdwa v12, v24, v51 dst_sel:DWORD dst_unused:UNUSED_PAD src0_sel:WORD_1 src1_sel:DWORD
	v_mov_b32_e32 v27, v13
	v_lshrrev_b32_e32 v2, 3, v3
	s_mov_b32 s20, exec_lo
	v_mov_b32_e32 v26, v12
	v_cmpx_gt_u32_e32 8, v3
; %bb.734:                              ;   in Loop: Header=BB364_10 Depth=1
	v_ffbh_u32_e32 v2, v12
	v_min_u32_e32 v2, 32, v2
	v_subrev_nc_u32_e32 v3, 28, v2
	v_sub_nc_u32_e32 v2, 29, v2
	v_lshlrev_b64 v[3:4], v3, v[12:13]
	v_and_b32_e32 v26, 7, v3
; %bb.735:                              ;   in Loop: Header=BB364_10 Depth=1
	s_or_b32 exec_lo, exec_lo, s20
	v_lshlrev_b32_sdwa v3, v52, v24 dst_sel:DWORD dst_unused:UNUSED_PAD src0_sel:DWORD src1_sel:WORD_1
	v_lshlrev_b32_e32 v4, 20, v26
	v_lshl_add_u32 v2, v2, 23, 0x3c000000
	v_and_b32_e32 v3, 0x80000000, v3
	v_or3_b32 v11, v4, v3, v2
.LBB364_736:                            ;   in Loop: Header=BB364_10 Depth=1
	s_or_b32 exec_lo, exec_lo, s19
.LBB364_737:                            ;   in Loop: Header=BB364_10 Depth=1
	s_or_b32 exec_lo, exec_lo, s18
.LBB364_738:                            ;   in Loop: Header=BB364_10 Depth=1
	s_or_b32 exec_lo, exec_lo, s6
	v_mov_b32_e32 v55, 0
	v_mov_b32_e32 v10, 0
	s_mov_b32 s6, exec_lo
	v_cmpx_lt_u32_e32 0xffffff, v24
	s_cbranch_execz .LBB364_746
; %bb.739:                              ;   in Loop: Header=BB364_10 Depth=1
	v_cmp_ne_u32_sdwa s5, v24, v48 src0_sel:BYTE_3 src1_sel:DWORD
	v_bfrev_b32_e32 v10, 1
	s_and_saveexec_b32 s18, s5
	s_cbranch_execz .LBB364_745
; %bb.740:                              ;   in Loop: Header=BB364_10 Depth=1
	v_bfe_u32 v3, v24, 24, 7
	v_mov_b32_e32 v10, 0x7f800001
	s_mov_b32 s19, exec_lo
	v_cmpx_ne_u32_e32 0x7f, v3
	s_cbranch_execz .LBB364_744
; %bb.741:                              ;   in Loop: Header=BB364_10 Depth=1
	v_and_b32_sdwa v12, v24, v51 dst_sel:DWORD dst_unused:UNUSED_PAD src0_sel:BYTE_3 src1_sel:DWORD
	v_mov_b32_e32 v27, v13
	v_lshrrev_b32_e32 v2, 3, v3
	s_mov_b32 s20, exec_lo
	v_mov_b32_e32 v26, v12
	v_cmpx_gt_u32_e32 8, v3
; %bb.742:                              ;   in Loop: Header=BB364_10 Depth=1
	v_ffbh_u32_e32 v2, v12
	v_min_u32_e32 v2, 32, v2
	v_subrev_nc_u32_e32 v3, 28, v2
	v_sub_nc_u32_e32 v2, 29, v2
	v_lshlrev_b64 v[3:4], v3, v[12:13]
	v_and_b32_e32 v26, 7, v3
; %bb.743:                              ;   in Loop: Header=BB364_10 Depth=1
	s_or_b32 exec_lo, exec_lo, s20
	v_lshlrev_b32_sdwa v3, v52, v24 dst_sel:DWORD dst_unused:UNUSED_PAD src0_sel:DWORD src1_sel:BYTE_3
	v_lshlrev_b32_e32 v4, 20, v26
	v_lshl_add_u32 v2, v2, 23, 0x3c000000
	v_and_b32_e32 v3, 0x80000000, v3
	v_or3_b32 v10, v4, v3, v2
.LBB364_744:                            ;   in Loop: Header=BB364_10 Depth=1
	s_or_b32 exec_lo, exec_lo, s19
.LBB364_745:                            ;   in Loop: Header=BB364_10 Depth=1
	s_or_b32 exec_lo, exec_lo, s18
.LBB364_746:                            ;   in Loop: Header=BB364_10 Depth=1
	s_or_b32 exec_lo, exec_lo, s6
	v_mov_b32_e32 v12, v25
	v_cmp_ne_u16_sdwa s5, v25, v13 src0_sel:BYTE_0 src1_sel:DWORD
	s_and_saveexec_b32 s6, s5
	s_cbranch_execz .LBB364_754
; %bb.747:                              ;   in Loop: Header=BB364_10 Depth=1
	v_cmp_ne_u16_sdwa s5, v25, v48 src0_sel:BYTE_0 src1_sel:DWORD
	v_bfrev_b32_e32 v55, 1
	s_and_saveexec_b32 s18, s5
	s_cbranch_execz .LBB364_753
; %bb.748:                              ;   in Loop: Header=BB364_10 Depth=1
	v_and_b32_e32 v3, 0x7f, v25
	v_mov_b32_e32 v55, 0x7f800001
	s_mov_b32 s19, exec_lo
	v_cmpx_ne_u32_e32 0x7f, v3
	s_cbranch_execz .LBB364_752
; %bb.749:                              ;   in Loop: Header=BB364_10 Depth=1
	v_mov_b32_e32 v27, v13
	v_lshrrev_b32_e32 v2, 3, v3
	v_mov_b32_e32 v26, v12
	s_mov_b32 s20, exec_lo
	v_cmpx_gt_u32_e32 8, v3
; %bb.750:                              ;   in Loop: Header=BB364_10 Depth=1
	v_and_b32_e32 v2, 7, v25
	v_ffbh_u32_e32 v2, v2
	v_min_u32_e32 v2, 32, v2
	v_subrev_nc_u32_e32 v3, 28, v2
	v_sub_nc_u32_e32 v2, 29, v2
	v_lshlrev_b64 v[26:27], v3, v[12:13]
; %bb.751:                              ;   in Loop: Header=BB364_10 Depth=1
	s_or_b32 exec_lo, exec_lo, s20
	v_lshlrev_b32_e32 v3, 20, v26
	v_lshlrev_b32_e32 v4, 24, v12
	v_lshl_add_u32 v2, v2, 23, 0x3c000000
	v_and_b32_e32 v3, 0x700000, v3
	v_and_b32_e32 v4, 0x80000000, v4
	v_or3_b32 v55, v3, v4, v2
.LBB364_752:                            ;   in Loop: Header=BB364_10 Depth=1
	s_or_b32 exec_lo, exec_lo, s19
.LBB364_753:                            ;   in Loop: Header=BB364_10 Depth=1
	s_or_b32 exec_lo, exec_lo, s18
.LBB364_754:                            ;   in Loop: Header=BB364_10 Depth=1
	s_or_b32 exec_lo, exec_lo, s6
	v_cmp_ne_u16_sdwa s5, v12, v13 src0_sel:BYTE_1 src1_sel:DWORD
	v_mov_b32_e32 v3, 0
	v_mov_b32_e32 v19, 0
	s_and_saveexec_b32 s6, s5
	s_cbranch_execz .LBB364_762
; %bb.755:                              ;   in Loop: Header=BB364_10 Depth=1
	v_cmp_ne_u16_sdwa s5, v12, v48 src0_sel:BYTE_1 src1_sel:DWORD
	v_bfrev_b32_e32 v19, 1
	s_and_saveexec_b32 s18, s5
	s_cbranch_execz .LBB364_761
; %bb.756:                              ;   in Loop: Header=BB364_10 Depth=1
	v_mov_b32_e32 v2, 0xffff
	v_mov_b32_e32 v19, 0x7f800001
	s_mov_b32 s19, exec_lo
	v_and_b32_sdwa v2, v2, v12 dst_sel:DWORD dst_unused:UNUSED_PAD src0_sel:DWORD src1_sel:BYTE_1
	v_and_b32_e32 v4, 0x7f, v2
	v_cmpx_ne_u32_e32 0x7f, v4
	s_cbranch_execz .LBB364_760
; %bb.757:                              ;   in Loop: Header=BB364_10 Depth=1
	v_and_b32_e32 v26, 7, v2
	v_mov_b32_e32 v27, v13
	v_lshrrev_b32_e32 v2, 3, v4
	s_mov_b32 s20, exec_lo
	v_cmpx_gt_u32_e32 8, v4
; %bb.758:                              ;   in Loop: Header=BB364_10 Depth=1
	v_ffbh_u32_e32 v2, v26
	v_min_u32_e32 v2, 32, v2
	v_subrev_nc_u32_e32 v4, 28, v2
	v_sub_nc_u32_e32 v2, 29, v2
	v_lshlrev_b64 v[4:5], v4, v[26:27]
	v_and_b32_e32 v26, 7, v4
; %bb.759:                              ;   in Loop: Header=BB364_10 Depth=1
	s_or_b32 exec_lo, exec_lo, s20
	v_lshlrev_b32_e32 v4, 16, v12
	v_lshlrev_b32_e32 v5, 20, v26
	v_lshl_add_u32 v2, v2, 23, 0x3c000000
	v_and_b32_e32 v4, 0x80000000, v4
	v_or3_b32 v19, v5, v4, v2
.LBB364_760:                            ;   in Loop: Header=BB364_10 Depth=1
	s_or_b32 exec_lo, exec_lo, s19
.LBB364_761:                            ;   in Loop: Header=BB364_10 Depth=1
	s_or_b32 exec_lo, exec_lo, s18
.LBB364_762:                            ;   in Loop: Header=BB364_10 Depth=1
	s_or_b32 exec_lo, exec_lo, s6
	v_and_b32_sdwa v2, v25, v50 dst_sel:DWORD dst_unused:UNUSED_PAD src0_sel:WORD_1 src1_sel:DWORD
	s_mov_b32 s6, exec_lo
	v_cmpx_ne_u16_e32 0, v2
	s_cbranch_execz .LBB364_770
; %bb.763:                              ;   in Loop: Header=BB364_10 Depth=1
	v_bfrev_b32_e32 v3, 1
	s_mov_b32 s18, exec_lo
	v_cmpx_ne_u16_e32 0x80, v2
	s_cbranch_execz .LBB364_769
; %bb.764:                              ;   in Loop: Header=BB364_10 Depth=1
	v_bfe_u32 v4, v25, 16, 7
	v_mov_b32_e32 v3, 0x7f800001
	s_mov_b32 s19, exec_lo
	v_cmpx_ne_u32_e32 0x7f, v4
	s_cbranch_execz .LBB364_768
; %bb.765:                              ;   in Loop: Header=BB364_10 Depth=1
	v_and_b32_sdwa v12, v25, v51 dst_sel:DWORD dst_unused:UNUSED_PAD src0_sel:WORD_1 src1_sel:DWORD
	v_mov_b32_e32 v27, v13
	v_lshrrev_b32_e32 v2, 3, v4
	s_mov_b32 s20, exec_lo
	v_mov_b32_e32 v26, v12
	v_cmpx_gt_u32_e32 8, v4
; %bb.766:                              ;   in Loop: Header=BB364_10 Depth=1
	v_ffbh_u32_e32 v2, v12
	v_min_u32_e32 v2, 32, v2
	v_subrev_nc_u32_e32 v3, 28, v2
	v_sub_nc_u32_e32 v2, 29, v2
	v_lshlrev_b64 v[3:4], v3, v[12:13]
	v_and_b32_e32 v26, 7, v3
; %bb.767:                              ;   in Loop: Header=BB364_10 Depth=1
	s_or_b32 exec_lo, exec_lo, s20
	v_lshlrev_b32_sdwa v3, v52, v25 dst_sel:DWORD dst_unused:UNUSED_PAD src0_sel:DWORD src1_sel:WORD_1
	v_lshlrev_b32_e32 v4, 20, v26
	v_lshl_add_u32 v2, v2, 23, 0x3c000000
	v_and_b32_e32 v3, 0x80000000, v3
	v_or3_b32 v3, v4, v3, v2
.LBB364_768:                            ;   in Loop: Header=BB364_10 Depth=1
	s_or_b32 exec_lo, exec_lo, s19
.LBB364_769:                            ;   in Loop: Header=BB364_10 Depth=1
	s_or_b32 exec_lo, exec_lo, s18
.LBB364_770:                            ;   in Loop: Header=BB364_10 Depth=1
	s_or_b32 exec_lo, exec_lo, s6
	v_mov_b32_e32 v35, 0
	v_mov_b32_e32 v28, 0
	s_mov_b32 s6, exec_lo
	v_cmpx_lt_u64_e64 s[8:9], v[24:25]
	s_cbranch_execz .LBB364_778
; %bb.771:                              ;   in Loop: Header=BB364_10 Depth=1
	v_cmp_ne_u32_sdwa s5, v25, v48 src0_sel:BYTE_3 src1_sel:DWORD
	v_bfrev_b32_e32 v28, 1
	s_and_saveexec_b32 s18, s5
	s_cbranch_execz .LBB364_777
; %bb.772:                              ;   in Loop: Header=BB364_10 Depth=1
	v_bfe_u32 v4, v25, 24, 7
	v_mov_b32_e32 v28, 0x7f800001
	s_mov_b32 s19, exec_lo
	v_cmpx_ne_u32_e32 0x7f, v4
	s_cbranch_execz .LBB364_776
; %bb.773:                              ;   in Loop: Header=BB364_10 Depth=1
	v_and_b32_sdwa v12, v25, v51 dst_sel:DWORD dst_unused:UNUSED_PAD src0_sel:BYTE_3 src1_sel:DWORD
	v_mov_b32_e32 v27, v13
	v_lshrrev_b32_e32 v2, 3, v4
	s_mov_b32 s20, exec_lo
	v_mov_b32_e32 v26, v12
	v_cmpx_gt_u32_e32 8, v4
; %bb.774:                              ;   in Loop: Header=BB364_10 Depth=1
	v_ffbh_u32_e32 v2, v12
	v_min_u32_e32 v2, 32, v2
	v_subrev_nc_u32_e32 v4, 28, v2
	v_sub_nc_u32_e32 v2, 29, v2
	v_lshlrev_b64 v[4:5], v4, v[12:13]
	v_and_b32_e32 v26, 7, v4
; %bb.775:                              ;   in Loop: Header=BB364_10 Depth=1
	s_or_b32 exec_lo, exec_lo, s20
	v_lshlrev_b32_sdwa v4, v52, v25 dst_sel:DWORD dst_unused:UNUSED_PAD src0_sel:DWORD src1_sel:BYTE_3
	v_lshlrev_b32_e32 v5, 20, v26
	v_lshl_add_u32 v2, v2, 23, 0x3c000000
	v_and_b32_e32 v4, 0x80000000, v4
	v_or3_b32 v28, v5, v4, v2
.LBB364_776:                            ;   in Loop: Header=BB364_10 Depth=1
	s_or_b32 exec_lo, exec_lo, s19
.LBB364_777:                            ;   in Loop: Header=BB364_10 Depth=1
	s_or_b32 exec_lo, exec_lo, s18
.LBB364_778:                            ;   in Loop: Header=BB364_10 Depth=1
	s_or_b32 exec_lo, exec_lo, s6
	flat_load_dwordx2 v[24:25], v[16:17] offset:1024
	s_waitcnt vmcnt(0) lgkmcnt(0)
	v_cmp_ne_u16_sdwa s5, v24, v13 src0_sel:BYTE_0 src1_sel:DWORD
	s_and_saveexec_b32 s6, s5
	s_cbranch_execz .LBB364_786
; %bb.779:                              ;   in Loop: Header=BB364_10 Depth=1
	v_cmp_ne_u16_sdwa s5, v24, v48 src0_sel:BYTE_0 src1_sel:DWORD
	v_bfrev_b32_e32 v35, 1
	s_and_saveexec_b32 s18, s5
	s_cbranch_execz .LBB364_785
; %bb.780:                              ;   in Loop: Header=BB364_10 Depth=1
	v_and_b32_e32 v4, 0x7f, v24
	v_mov_b32_e32 v35, 0x7f800001
	s_mov_b32 s19, exec_lo
	v_cmpx_ne_u32_e32 0x7f, v4
	s_cbranch_execz .LBB364_784
; %bb.781:                              ;   in Loop: Header=BB364_10 Depth=1
	v_mov_b32_e32 v27, v25
	v_lshrrev_b32_e32 v2, 3, v4
	v_mov_b32_e32 v26, v24
	s_mov_b32 s20, exec_lo
	v_cmpx_gt_u32_e32 8, v4
; %bb.782:                              ;   in Loop: Header=BB364_10 Depth=1
	v_and_b32_e32 v2, 7, v24
	v_ffbh_u32_e32 v2, v2
	v_min_u32_e32 v2, 32, v2
	v_subrev_nc_u32_e32 v4, 28, v2
	v_sub_nc_u32_e32 v2, 29, v2
	v_lshlrev_b64 v[26:27], v4, v[24:25]
; %bb.783:                              ;   in Loop: Header=BB364_10 Depth=1
	s_or_b32 exec_lo, exec_lo, s20
	v_lshlrev_b32_e32 v4, 20, v26
	v_lshlrev_b32_e32 v5, 24, v24
	v_lshl_add_u32 v2, v2, 23, 0x3c000000
	v_and_b32_e32 v4, 0x700000, v4
	v_and_b32_e32 v5, 0x80000000, v5
	v_or3_b32 v35, v4, v5, v2
.LBB364_784:                            ;   in Loop: Header=BB364_10 Depth=1
	s_or_b32 exec_lo, exec_lo, s19
.LBB364_785:                            ;   in Loop: Header=BB364_10 Depth=1
	s_or_b32 exec_lo, exec_lo, s18
.LBB364_786:                            ;   in Loop: Header=BB364_10 Depth=1
	s_or_b32 exec_lo, exec_lo, s6
	v_cmp_ne_u16_sdwa s5, v24, v13 src0_sel:BYTE_1 src1_sel:DWORD
	v_mov_b32_e32 v36, 0
	v_mov_b32_e32 v23, 0
	s_and_saveexec_b32 s6, s5
	s_cbranch_execz .LBB364_794
; %bb.787:                              ;   in Loop: Header=BB364_10 Depth=1
	v_cmp_ne_u16_sdwa s5, v24, v48 src0_sel:BYTE_1 src1_sel:DWORD
	v_bfrev_b32_e32 v23, 1
	s_and_saveexec_b32 s18, s5
	s_cbranch_execz .LBB364_793
; %bb.788:                              ;   in Loop: Header=BB364_10 Depth=1
	v_mov_b32_e32 v2, 0xffff
	v_mov_b32_e32 v23, 0x7f800001
	s_mov_b32 s19, exec_lo
	v_and_b32_sdwa v2, v2, v24 dst_sel:DWORD dst_unused:UNUSED_PAD src0_sel:DWORD src1_sel:BYTE_1
	v_and_b32_e32 v4, 0x7f, v2
	v_cmpx_ne_u32_e32 0x7f, v4
	s_cbranch_execz .LBB364_792
; %bb.789:                              ;   in Loop: Header=BB364_10 Depth=1
	v_and_b32_e32 v12, 7, v2
	v_mov_b32_e32 v27, v13
	v_lshrrev_b32_e32 v2, 3, v4
	s_mov_b32 s20, exec_lo
	v_mov_b32_e32 v26, v12
	v_cmpx_gt_u32_e32 8, v4
; %bb.790:                              ;   in Loop: Header=BB364_10 Depth=1
	v_ffbh_u32_e32 v2, v12
	v_min_u32_e32 v2, 32, v2
	v_subrev_nc_u32_e32 v4, 28, v2
	v_sub_nc_u32_e32 v2, 29, v2
	v_lshlrev_b64 v[4:5], v4, v[12:13]
	v_and_b32_e32 v26, 7, v4
; %bb.791:                              ;   in Loop: Header=BB364_10 Depth=1
	s_or_b32 exec_lo, exec_lo, s20
	v_lshlrev_b32_e32 v4, 16, v24
	v_lshlrev_b32_e32 v5, 20, v26
	v_lshl_add_u32 v2, v2, 23, 0x3c000000
	v_and_b32_e32 v4, 0x80000000, v4
	v_or3_b32 v23, v5, v4, v2
.LBB364_792:                            ;   in Loop: Header=BB364_10 Depth=1
	s_or_b32 exec_lo, exec_lo, s19
.LBB364_793:                            ;   in Loop: Header=BB364_10 Depth=1
	s_or_b32 exec_lo, exec_lo, s18
.LBB364_794:                            ;   in Loop: Header=BB364_10 Depth=1
	s_or_b32 exec_lo, exec_lo, s6
	v_and_b32_sdwa v2, v24, v50 dst_sel:DWORD dst_unused:UNUSED_PAD src0_sel:WORD_1 src1_sel:DWORD
	s_mov_b32 s6, exec_lo
	v_cmpx_ne_u16_e32 0, v2
	s_cbranch_execz .LBB364_802
; %bb.795:                              ;   in Loop: Header=BB364_10 Depth=1
	v_bfrev_b32_e32 v36, 1
	s_mov_b32 s18, exec_lo
	v_cmpx_ne_u16_e32 0x80, v2
	s_cbranch_execz .LBB364_801
; %bb.796:                              ;   in Loop: Header=BB364_10 Depth=1
	v_bfe_u32 v4, v24, 16, 7
	v_mov_b32_e32 v36, 0x7f800001
	s_mov_b32 s19, exec_lo
	v_cmpx_ne_u32_e32 0x7f, v4
	s_cbranch_execz .LBB364_800
; %bb.797:                              ;   in Loop: Header=BB364_10 Depth=1
	v_and_b32_sdwa v12, v24, v51 dst_sel:DWORD dst_unused:UNUSED_PAD src0_sel:WORD_1 src1_sel:DWORD
	v_mov_b32_e32 v27, v13
	v_lshrrev_b32_e32 v2, 3, v4
	s_mov_b32 s20, exec_lo
	v_mov_b32_e32 v26, v12
	v_cmpx_gt_u32_e32 8, v4
; %bb.798:                              ;   in Loop: Header=BB364_10 Depth=1
	v_ffbh_u32_e32 v2, v12
	v_min_u32_e32 v2, 32, v2
	v_subrev_nc_u32_e32 v4, 28, v2
	v_sub_nc_u32_e32 v2, 29, v2
	v_lshlrev_b64 v[4:5], v4, v[12:13]
	v_and_b32_e32 v26, 7, v4
; %bb.799:                              ;   in Loop: Header=BB364_10 Depth=1
	s_or_b32 exec_lo, exec_lo, s20
	v_lshlrev_b32_sdwa v4, v52, v24 dst_sel:DWORD dst_unused:UNUSED_PAD src0_sel:DWORD src1_sel:WORD_1
	v_lshlrev_b32_e32 v5, 20, v26
	v_lshl_add_u32 v2, v2, 23, 0x3c000000
	v_and_b32_e32 v4, 0x80000000, v4
	v_or3_b32 v36, v5, v4, v2
.LBB364_800:                            ;   in Loop: Header=BB364_10 Depth=1
	s_or_b32 exec_lo, exec_lo, s19
.LBB364_801:                            ;   in Loop: Header=BB364_10 Depth=1
	s_or_b32 exec_lo, exec_lo, s18
.LBB364_802:                            ;   in Loop: Header=BB364_10 Depth=1
	s_or_b32 exec_lo, exec_lo, s6
	v_mov_b32_e32 v21, 0
	v_mov_b32_e32 v5, 0
	s_mov_b32 s6, exec_lo
	v_cmpx_lt_u32_e32 0xffffff, v24
	s_cbranch_execz .LBB364_810
; %bb.803:                              ;   in Loop: Header=BB364_10 Depth=1
	v_cmp_ne_u32_sdwa s5, v24, v48 src0_sel:BYTE_3 src1_sel:DWORD
	v_bfrev_b32_e32 v5, 1
	s_and_saveexec_b32 s18, s5
	s_cbranch_execz .LBB364_809
; %bb.804:                              ;   in Loop: Header=BB364_10 Depth=1
	v_bfe_u32 v4, v24, 24, 7
	v_mov_b32_e32 v5, 0x7f800001
	s_mov_b32 s19, exec_lo
	v_cmpx_ne_u32_e32 0x7f, v4
	s_cbranch_execz .LBB364_808
; %bb.805:                              ;   in Loop: Header=BB364_10 Depth=1
	v_and_b32_sdwa v12, v24, v51 dst_sel:DWORD dst_unused:UNUSED_PAD src0_sel:BYTE_3 src1_sel:DWORD
	v_mov_b32_e32 v27, v13
	v_lshrrev_b32_e32 v2, 3, v4
	s_mov_b32 s20, exec_lo
	v_mov_b32_e32 v26, v12
	v_cmpx_gt_u32_e32 8, v4
; %bb.806:                              ;   in Loop: Header=BB364_10 Depth=1
	v_ffbh_u32_e32 v2, v12
	v_min_u32_e32 v2, 32, v2
	v_subrev_nc_u32_e32 v4, 28, v2
	v_sub_nc_u32_e32 v2, 29, v2
	v_lshlrev_b64 v[4:5], v4, v[12:13]
	v_and_b32_e32 v26, 7, v4
; %bb.807:                              ;   in Loop: Header=BB364_10 Depth=1
	s_or_b32 exec_lo, exec_lo, s20
	v_lshlrev_b32_sdwa v4, v52, v24 dst_sel:DWORD dst_unused:UNUSED_PAD src0_sel:DWORD src1_sel:BYTE_3
	v_lshlrev_b32_e32 v5, 20, v26
	v_lshl_add_u32 v2, v2, 23, 0x3c000000
	v_and_b32_e32 v4, 0x80000000, v4
	v_or3_b32 v5, v5, v4, v2
.LBB364_808:                            ;   in Loop: Header=BB364_10 Depth=1
	s_or_b32 exec_lo, exec_lo, s19
.LBB364_809:                            ;   in Loop: Header=BB364_10 Depth=1
	s_or_b32 exec_lo, exec_lo, s18
.LBB364_810:                            ;   in Loop: Header=BB364_10 Depth=1
	s_or_b32 exec_lo, exec_lo, s6
	v_mov_b32_e32 v12, v25
	v_cmp_ne_u16_sdwa s5, v25, v13 src0_sel:BYTE_0 src1_sel:DWORD
	s_and_saveexec_b32 s6, s5
	s_cbranch_execz .LBB364_818
; %bb.811:                              ;   in Loop: Header=BB364_10 Depth=1
	v_cmp_ne_u16_sdwa s5, v25, v48 src0_sel:BYTE_0 src1_sel:DWORD
	v_bfrev_b32_e32 v21, 1
	s_and_saveexec_b32 s18, s5
	s_cbranch_execz .LBB364_817
; %bb.812:                              ;   in Loop: Header=BB364_10 Depth=1
	v_and_b32_e32 v4, 0x7f, v25
	v_mov_b32_e32 v21, 0x7f800001
	s_mov_b32 s19, exec_lo
	v_cmpx_ne_u32_e32 0x7f, v4
	s_cbranch_execz .LBB364_816
; %bb.813:                              ;   in Loop: Header=BB364_10 Depth=1
	v_mov_b32_e32 v27, v13
	v_lshrrev_b32_e32 v2, 3, v4
	v_mov_b32_e32 v26, v12
	s_mov_b32 s20, exec_lo
	v_cmpx_gt_u32_e32 8, v4
; %bb.814:                              ;   in Loop: Header=BB364_10 Depth=1
	v_and_b32_e32 v2, 7, v25
	v_ffbh_u32_e32 v2, v2
	v_min_u32_e32 v2, 32, v2
	v_subrev_nc_u32_e32 v4, 28, v2
	v_sub_nc_u32_e32 v2, 29, v2
	v_lshlrev_b64 v[26:27], v4, v[12:13]
; %bb.815:                              ;   in Loop: Header=BB364_10 Depth=1
	s_or_b32 exec_lo, exec_lo, s20
	v_lshlrev_b32_e32 v4, 20, v26
	v_lshlrev_b32_e32 v18, 24, v12
	v_lshl_add_u32 v2, v2, 23, 0x3c000000
	v_and_b32_e32 v4, 0x700000, v4
	v_and_b32_e32 v18, 0x80000000, v18
	v_or3_b32 v21, v4, v18, v2
.LBB364_816:                            ;   in Loop: Header=BB364_10 Depth=1
	s_or_b32 exec_lo, exec_lo, s19
.LBB364_817:                            ;   in Loop: Header=BB364_10 Depth=1
	s_or_b32 exec_lo, exec_lo, s18
.LBB364_818:                            ;   in Loop: Header=BB364_10 Depth=1
	s_or_b32 exec_lo, exec_lo, s6
	v_cmp_ne_u16_sdwa s5, v12, v13 src0_sel:BYTE_1 src1_sel:DWORD
	v_mov_b32_e32 v34, 0
	v_mov_b32_e32 v65, 0
	s_and_saveexec_b32 s6, s5
	s_cbranch_execz .LBB364_826
; %bb.819:                              ;   in Loop: Header=BB364_10 Depth=1
	v_cmp_ne_u16_sdwa s5, v12, v48 src0_sel:BYTE_1 src1_sel:DWORD
	v_bfrev_b32_e32 v65, 1
	s_and_saveexec_b32 s18, s5
	s_cbranch_execz .LBB364_825
; %bb.820:                              ;   in Loop: Header=BB364_10 Depth=1
	v_mov_b32_e32 v2, 0xffff
	v_mov_b32_e32 v65, 0x7f800001
	s_mov_b32 s19, exec_lo
	v_and_b32_sdwa v2, v2, v12 dst_sel:DWORD dst_unused:UNUSED_PAD src0_sel:DWORD src1_sel:BYTE_1
	v_and_b32_e32 v4, 0x7f, v2
	v_cmpx_ne_u32_e32 0x7f, v4
	s_cbranch_execz .LBB364_824
; %bb.821:                              ;   in Loop: Header=BB364_10 Depth=1
	v_and_b32_e32 v26, 7, v2
	v_mov_b32_e32 v27, v13
	v_lshrrev_b32_e32 v2, 3, v4
	s_mov_b32 s20, exec_lo
	v_cmpx_gt_u32_e32 8, v4
; %bb.822:                              ;   in Loop: Header=BB364_10 Depth=1
	v_ffbh_u32_e32 v2, v26
	v_min_u32_e32 v2, 32, v2
	v_subrev_nc_u32_e32 v4, 28, v2
	v_sub_nc_u32_e32 v2, 29, v2
	v_lshlrev_b64 v[26:27], v4, v[26:27]
	v_and_b32_e32 v26, 7, v26
; %bb.823:                              ;   in Loop: Header=BB364_10 Depth=1
	s_or_b32 exec_lo, exec_lo, s20
	v_lshlrev_b32_e32 v4, 16, v12
	v_lshlrev_b32_e32 v12, 20, v26
	v_lshl_add_u32 v2, v2, 23, 0x3c000000
	v_and_b32_e32 v4, 0x80000000, v4
	v_or3_b32 v65, v12, v4, v2
.LBB364_824:                            ;   in Loop: Header=BB364_10 Depth=1
	s_or_b32 exec_lo, exec_lo, s19
.LBB364_825:                            ;   in Loop: Header=BB364_10 Depth=1
	s_or_b32 exec_lo, exec_lo, s18
.LBB364_826:                            ;   in Loop: Header=BB364_10 Depth=1
	s_or_b32 exec_lo, exec_lo, s6
	v_and_b32_sdwa v2, v25, v50 dst_sel:DWORD dst_unused:UNUSED_PAD src0_sel:WORD_1 src1_sel:DWORD
	s_mov_b32 s6, exec_lo
	v_cmpx_ne_u16_e32 0, v2
	s_cbranch_execz .LBB364_834
; %bb.827:                              ;   in Loop: Header=BB364_10 Depth=1
	v_bfrev_b32_e32 v34, 1
	s_mov_b32 s18, exec_lo
	v_cmpx_ne_u16_e32 0x80, v2
	s_cbranch_execz .LBB364_833
; %bb.828:                              ;   in Loop: Header=BB364_10 Depth=1
	v_bfe_u32 v4, v25, 16, 7
	v_mov_b32_e32 v34, 0x7f800001
	s_mov_b32 s19, exec_lo
	v_cmpx_ne_u32_e32 0x7f, v4
	s_cbranch_execz .LBB364_832
; %bb.829:                              ;   in Loop: Header=BB364_10 Depth=1
	v_and_b32_sdwa v12, v25, v51 dst_sel:DWORD dst_unused:UNUSED_PAD src0_sel:WORD_1 src1_sel:DWORD
	v_mov_b32_e32 v27, v13
	v_lshrrev_b32_e32 v2, 3, v4
	s_mov_b32 s20, exec_lo
	v_mov_b32_e32 v26, v12
	v_cmpx_gt_u32_e32 8, v4
; %bb.830:                              ;   in Loop: Header=BB364_10 Depth=1
	v_ffbh_u32_e32 v2, v12
	v_min_u32_e32 v2, 32, v2
	v_subrev_nc_u32_e32 v4, 28, v2
	v_sub_nc_u32_e32 v2, 29, v2
	v_lshlrev_b64 v[26:27], v4, v[12:13]
	v_and_b32_e32 v26, 7, v26
; %bb.831:                              ;   in Loop: Header=BB364_10 Depth=1
	s_or_b32 exec_lo, exec_lo, s20
	v_lshlrev_b32_sdwa v4, v52, v25 dst_sel:DWORD dst_unused:UNUSED_PAD src0_sel:DWORD src1_sel:WORD_1
	v_lshlrev_b32_e32 v12, 20, v26
	v_lshl_add_u32 v2, v2, 23, 0x3c000000
	v_and_b32_e32 v4, 0x80000000, v4
	v_or3_b32 v34, v12, v4, v2
.LBB364_832:                            ;   in Loop: Header=BB364_10 Depth=1
	s_or_b32 exec_lo, exec_lo, s19
.LBB364_833:                            ;   in Loop: Header=BB364_10 Depth=1
	s_or_b32 exec_lo, exec_lo, s18
.LBB364_834:                            ;   in Loop: Header=BB364_10 Depth=1
	s_or_b32 exec_lo, exec_lo, s6
	v_mov_b32_e32 v2, 0
	v_mov_b32_e32 v66, 0
	s_mov_b32 s6, exec_lo
	v_cmpx_lt_u64_e64 s[8:9], v[24:25]
	s_cbranch_execz .LBB364_842
; %bb.835:                              ;   in Loop: Header=BB364_10 Depth=1
	v_cmp_ne_u32_sdwa s5, v25, v48 src0_sel:BYTE_3 src1_sel:DWORD
	v_bfrev_b32_e32 v66, 1
	s_and_saveexec_b32 s18, s5
	s_cbranch_execz .LBB364_841
; %bb.836:                              ;   in Loop: Header=BB364_10 Depth=1
	v_bfe_u32 v18, v25, 24, 7
	v_mov_b32_e32 v66, 0x7f800001
	s_mov_b32 s19, exec_lo
	v_cmpx_ne_u32_e32 0x7f, v18
	s_cbranch_execz .LBB364_840
; %bb.837:                              ;   in Loop: Header=BB364_10 Depth=1
	v_and_b32_sdwa v12, v25, v51 dst_sel:DWORD dst_unused:UNUSED_PAD src0_sel:BYTE_3 src1_sel:DWORD
	v_mov_b32_e32 v27, v13
	v_lshrrev_b32_e32 v4, 3, v18
	s_mov_b32 s20, exec_lo
	v_mov_b32_e32 v26, v12
	v_cmpx_gt_u32_e32 8, v18
; %bb.838:                              ;   in Loop: Header=BB364_10 Depth=1
	v_ffbh_u32_e32 v4, v12
	v_min_u32_e32 v4, 32, v4
	v_subrev_nc_u32_e32 v18, 28, v4
	v_sub_nc_u32_e32 v4, 29, v4
	v_lshlrev_b64 v[26:27], v18, v[12:13]
	v_and_b32_e32 v26, 7, v26
; %bb.839:                              ;   in Loop: Header=BB364_10 Depth=1
	s_or_b32 exec_lo, exec_lo, s20
	v_lshlrev_b32_sdwa v12, v52, v25 dst_sel:DWORD dst_unused:UNUSED_PAD src0_sel:DWORD src1_sel:BYTE_3
	v_lshlrev_b32_e32 v18, 20, v26
	v_lshl_add_u32 v4, v4, 23, 0x3c000000
	v_and_b32_e32 v12, 0x80000000, v12
	v_or3_b32 v66, v18, v12, v4
.LBB364_840:                            ;   in Loop: Header=BB364_10 Depth=1
	s_or_b32 exec_lo, exec_lo, s19
.LBB364_841:                            ;   in Loop: Header=BB364_10 Depth=1
	s_or_b32 exec_lo, exec_lo, s18
.LBB364_842:                            ;   in Loop: Header=BB364_10 Depth=1
	s_or_b32 exec_lo, exec_lo, s6
	flat_load_dwordx2 v[16:17], v[16:17] offset:1032
	s_waitcnt vmcnt(0) lgkmcnt(0)
	v_cmp_ne_u16_sdwa s5, v16, v13 src0_sel:BYTE_0 src1_sel:DWORD
	s_and_saveexec_b32 s6, s5
	s_cbranch_execz .LBB364_850
; %bb.843:                              ;   in Loop: Header=BB364_10 Depth=1
	v_cmp_ne_u16_sdwa s5, v16, v48 src0_sel:BYTE_0 src1_sel:DWORD
	v_bfrev_b32_e32 v2, 1
	s_and_saveexec_b32 s18, s5
	s_cbranch_execz .LBB364_849
; %bb.844:                              ;   in Loop: Header=BB364_10 Depth=1
	v_and_b32_e32 v4, 0x7f, v16
	v_mov_b32_e32 v2, 0x7f800001
	s_mov_b32 s19, exec_lo
	v_cmpx_ne_u32_e32 0x7f, v4
	s_cbranch_execz .LBB364_848
; %bb.845:                              ;   in Loop: Header=BB364_10 Depth=1
	v_mov_b32_e32 v25, v17
	v_lshrrev_b32_e32 v2, 3, v4
	v_mov_b32_e32 v24, v16
	s_mov_b32 s20, exec_lo
	v_cmpx_gt_u32_e32 8, v4
; %bb.846:                              ;   in Loop: Header=BB364_10 Depth=1
	v_and_b32_e32 v2, 7, v16
	v_ffbh_u32_e32 v2, v2
	v_min_u32_e32 v2, 32, v2
	v_subrev_nc_u32_e32 v4, 28, v2
	v_sub_nc_u32_e32 v2, 29, v2
	v_lshlrev_b64 v[24:25], v4, v[16:17]
; %bb.847:                              ;   in Loop: Header=BB364_10 Depth=1
	s_or_b32 exec_lo, exec_lo, s20
	v_lshlrev_b32_e32 v4, 20, v24
	v_lshlrev_b32_e32 v12, 24, v16
	v_lshl_add_u32 v2, v2, 23, 0x3c000000
	v_and_b32_e32 v4, 0x700000, v4
	v_and_b32_e32 v12, 0x80000000, v12
	v_or3_b32 v2, v4, v12, v2
.LBB364_848:                            ;   in Loop: Header=BB364_10 Depth=1
	s_or_b32 exec_lo, exec_lo, s19
.LBB364_849:                            ;   in Loop: Header=BB364_10 Depth=1
	s_or_b32 exec_lo, exec_lo, s18
.LBB364_850:                            ;   in Loop: Header=BB364_10 Depth=1
	s_or_b32 exec_lo, exec_lo, s6
	v_cmp_ne_u16_sdwa s5, v16, v13 src0_sel:BYTE_1 src1_sel:DWORD
	v_mov_b32_e32 v27, 0
	v_mov_b32_e32 v26, 0
	s_and_saveexec_b32 s6, s5
	s_cbranch_execz .LBB364_858
; %bb.851:                              ;   in Loop: Header=BB364_10 Depth=1
	v_cmp_ne_u16_sdwa s5, v16, v48 src0_sel:BYTE_1 src1_sel:DWORD
	v_bfrev_b32_e32 v26, 1
	s_and_saveexec_b32 s18, s5
	s_cbranch_execz .LBB364_857
; %bb.852:                              ;   in Loop: Header=BB364_10 Depth=1
	v_mov_b32_e32 v4, 0xffff
	v_mov_b32_e32 v26, 0x7f800001
	s_mov_b32 s19, exec_lo
	v_and_b32_sdwa v4, v4, v16 dst_sel:DWORD dst_unused:UNUSED_PAD src0_sel:DWORD src1_sel:BYTE_1
	v_and_b32_e32 v18, 0x7f, v4
	v_cmpx_ne_u32_e32 0x7f, v18
	s_cbranch_execz .LBB364_856
; %bb.853:                              ;   in Loop: Header=BB364_10 Depth=1
	v_and_b32_e32 v12, 7, v4
	v_mov_b32_e32 v25, v13
	v_lshrrev_b32_e32 v4, 3, v18
	s_mov_b32 s20, exec_lo
	v_mov_b32_e32 v24, v12
	v_cmpx_gt_u32_e32 8, v18
; %bb.854:                              ;   in Loop: Header=BB364_10 Depth=1
	v_ffbh_u32_e32 v4, v12
	v_min_u32_e32 v4, 32, v4
	v_subrev_nc_u32_e32 v18, 28, v4
	v_sub_nc_u32_e32 v4, 29, v4
	v_lshlrev_b64 v[24:25], v18, v[12:13]
	v_and_b32_e32 v24, 7, v24
; %bb.855:                              ;   in Loop: Header=BB364_10 Depth=1
	s_or_b32 exec_lo, exec_lo, s20
	v_lshlrev_b32_e32 v12, 16, v16
	v_lshlrev_b32_e32 v18, 20, v24
	v_lshl_add_u32 v4, v4, 23, 0x3c000000
	v_and_b32_e32 v12, 0x80000000, v12
	v_or3_b32 v26, v18, v12, v4
.LBB364_856:                            ;   in Loop: Header=BB364_10 Depth=1
	s_or_b32 exec_lo, exec_lo, s19
.LBB364_857:                            ;   in Loop: Header=BB364_10 Depth=1
	s_or_b32 exec_lo, exec_lo, s18
.LBB364_858:                            ;   in Loop: Header=BB364_10 Depth=1
	s_or_b32 exec_lo, exec_lo, s6
	v_and_b32_sdwa v4, v16, v50 dst_sel:DWORD dst_unused:UNUSED_PAD src0_sel:WORD_1 src1_sel:DWORD
	s_mov_b32 s6, exec_lo
	v_cmpx_ne_u16_e32 0, v4
	s_cbranch_execz .LBB364_866
; %bb.859:                              ;   in Loop: Header=BB364_10 Depth=1
	v_bfrev_b32_e32 v27, 1
	s_mov_b32 s18, exec_lo
	v_cmpx_ne_u16_e32 0x80, v4
	s_cbranch_execz .LBB364_865
; %bb.860:                              ;   in Loop: Header=BB364_10 Depth=1
	v_bfe_u32 v18, v16, 16, 7
	v_mov_b32_e32 v27, 0x7f800001
	s_mov_b32 s19, exec_lo
	v_cmpx_ne_u32_e32 0x7f, v18
	s_cbranch_execz .LBB364_864
; %bb.861:                              ;   in Loop: Header=BB364_10 Depth=1
	v_and_b32_sdwa v12, v16, v51 dst_sel:DWORD dst_unused:UNUSED_PAD src0_sel:WORD_1 src1_sel:DWORD
	v_mov_b32_e32 v25, v13
	v_lshrrev_b32_e32 v4, 3, v18
	s_mov_b32 s20, exec_lo
	v_mov_b32_e32 v24, v12
	v_cmpx_gt_u32_e32 8, v18
; %bb.862:                              ;   in Loop: Header=BB364_10 Depth=1
	v_ffbh_u32_e32 v4, v12
	v_min_u32_e32 v4, 32, v4
	v_subrev_nc_u32_e32 v18, 28, v4
	v_sub_nc_u32_e32 v4, 29, v4
	v_lshlrev_b64 v[24:25], v18, v[12:13]
	v_and_b32_e32 v24, 7, v24
; %bb.863:                              ;   in Loop: Header=BB364_10 Depth=1
	s_or_b32 exec_lo, exec_lo, s20
	v_lshlrev_b32_sdwa v12, v52, v16 dst_sel:DWORD dst_unused:UNUSED_PAD src0_sel:DWORD src1_sel:WORD_1
	v_lshlrev_b32_e32 v18, 20, v24
	v_lshl_add_u32 v4, v4, 23, 0x3c000000
	v_and_b32_e32 v12, 0x80000000, v12
	v_or3_b32 v27, v18, v12, v4
.LBB364_864:                            ;   in Loop: Header=BB364_10 Depth=1
	s_or_b32 exec_lo, exec_lo, s19
.LBB364_865:                            ;   in Loop: Header=BB364_10 Depth=1
	s_or_b32 exec_lo, exec_lo, s18
.LBB364_866:                            ;   in Loop: Header=BB364_10 Depth=1
	s_or_b32 exec_lo, exec_lo, s6
	v_mov_b32_e32 v22, 0
	v_mov_b32_e32 v18, 0
	s_mov_b32 s6, exec_lo
	v_cmpx_lt_u32_e32 0xffffff, v16
	s_cbranch_execz .LBB364_874
; %bb.867:                              ;   in Loop: Header=BB364_10 Depth=1
	v_cmp_ne_u32_sdwa s5, v16, v48 src0_sel:BYTE_3 src1_sel:DWORD
	v_bfrev_b32_e32 v18, 1
	s_and_saveexec_b32 s18, s5
	s_cbranch_execz .LBB364_873
; %bb.868:                              ;   in Loop: Header=BB364_10 Depth=1
	v_bfe_u32 v20, v16, 24, 7
	v_mov_b32_e32 v18, 0x7f800001
	s_mov_b32 s19, exec_lo
	v_cmpx_ne_u32_e32 0x7f, v20
	s_cbranch_execz .LBB364_872
; %bb.869:                              ;   in Loop: Header=BB364_10 Depth=1
	v_and_b32_sdwa v12, v16, v51 dst_sel:DWORD dst_unused:UNUSED_PAD src0_sel:BYTE_3 src1_sel:DWORD
	v_mov_b32_e32 v25, v13
	v_lshrrev_b32_e32 v4, 3, v20
	s_mov_b32 s20, exec_lo
	v_mov_b32_e32 v24, v12
	v_cmpx_gt_u32_e32 8, v20
; %bb.870:                              ;   in Loop: Header=BB364_10 Depth=1
	v_ffbh_u32_e32 v4, v12
	v_min_u32_e32 v4, 32, v4
	v_subrev_nc_u32_e32 v18, 28, v4
	v_sub_nc_u32_e32 v4, 29, v4
	v_lshlrev_b64 v[24:25], v18, v[12:13]
	v_and_b32_e32 v24, 7, v24
; %bb.871:                              ;   in Loop: Header=BB364_10 Depth=1
	s_or_b32 exec_lo, exec_lo, s20
	v_lshlrev_b32_sdwa v12, v52, v16 dst_sel:DWORD dst_unused:UNUSED_PAD src0_sel:DWORD src1_sel:BYTE_3
	v_lshlrev_b32_e32 v18, 20, v24
	v_lshl_add_u32 v4, v4, 23, 0x3c000000
	v_and_b32_e32 v12, 0x80000000, v12
	v_or3_b32 v18, v18, v12, v4
.LBB364_872:                            ;   in Loop: Header=BB364_10 Depth=1
	s_or_b32 exec_lo, exec_lo, s19
.LBB364_873:                            ;   in Loop: Header=BB364_10 Depth=1
	s_or_b32 exec_lo, exec_lo, s18
.LBB364_874:                            ;   in Loop: Header=BB364_10 Depth=1
	s_or_b32 exec_lo, exec_lo, s6
	v_mov_b32_e32 v12, v17
	v_cmp_ne_u16_sdwa s5, v17, v13 src0_sel:BYTE_0 src1_sel:DWORD
	s_and_saveexec_b32 s6, s5
	s_cbranch_execz .LBB364_882
; %bb.875:                              ;   in Loop: Header=BB364_10 Depth=1
	v_cmp_ne_u16_sdwa s5, v17, v48 src0_sel:BYTE_0 src1_sel:DWORD
	v_bfrev_b32_e32 v22, 1
	s_and_saveexec_b32 s18, s5
	s_cbranch_execz .LBB364_881
; %bb.876:                              ;   in Loop: Header=BB364_10 Depth=1
	v_and_b32_e32 v20, 0x7f, v17
	v_mov_b32_e32 v22, 0x7f800001
	s_mov_b32 s19, exec_lo
	v_cmpx_ne_u32_e32 0x7f, v20
	s_cbranch_execz .LBB364_880
; %bb.877:                              ;   in Loop: Header=BB364_10 Depth=1
	v_mov_b32_e32 v25, v13
	v_lshrrev_b32_e32 v4, 3, v20
	v_mov_b32_e32 v24, v12
	s_mov_b32 s20, exec_lo
	v_cmpx_gt_u32_e32 8, v20
; %bb.878:                              ;   in Loop: Header=BB364_10 Depth=1
	v_and_b32_e32 v4, 7, v17
	v_ffbh_u32_e32 v4, v4
	v_min_u32_e32 v4, 32, v4
	v_subrev_nc_u32_e32 v20, 28, v4
	v_sub_nc_u32_e32 v4, 29, v4
	v_lshlrev_b64 v[24:25], v20, v[12:13]
; %bb.879:                              ;   in Loop: Header=BB364_10 Depth=1
	s_or_b32 exec_lo, exec_lo, s20
	v_lshlrev_b32_e32 v20, 20, v24
	v_lshlrev_b32_e32 v22, 24, v12
	v_lshl_add_u32 v4, v4, 23, 0x3c000000
	v_and_b32_e32 v20, 0x700000, v20
	v_and_b32_e32 v22, 0x80000000, v22
	v_or3_b32 v22, v20, v22, v4
.LBB364_880:                            ;   in Loop: Header=BB364_10 Depth=1
	s_or_b32 exec_lo, exec_lo, s19
.LBB364_881:                            ;   in Loop: Header=BB364_10 Depth=1
	s_or_b32 exec_lo, exec_lo, s18
.LBB364_882:                            ;   in Loop: Header=BB364_10 Depth=1
	s_or_b32 exec_lo, exec_lo, s6
	v_cmp_ne_u16_sdwa s5, v12, v13 src0_sel:BYTE_1 src1_sel:DWORD
	v_mov_b32_e32 v4, 0
	v_mov_b32_e32 v64, 0
	s_and_saveexec_b32 s6, s5
	s_cbranch_execz .LBB364_890
; %bb.883:                              ;   in Loop: Header=BB364_10 Depth=1
	v_cmp_ne_u16_sdwa s5, v12, v48 src0_sel:BYTE_1 src1_sel:DWORD
	v_bfrev_b32_e32 v64, 1
	s_and_saveexec_b32 s18, s5
	s_cbranch_execz .LBB364_889
; %bb.884:                              ;   in Loop: Header=BB364_10 Depth=1
	v_mov_b32_e32 v20, 0xffff
	v_mov_b32_e32 v64, 0x7f800001
	s_mov_b32 s19, exec_lo
	v_and_b32_sdwa v20, v20, v12 dst_sel:DWORD dst_unused:UNUSED_PAD src0_sel:DWORD src1_sel:BYTE_1
	v_and_b32_e32 v67, 0x7f, v20
	v_cmpx_ne_u32_e32 0x7f, v67
	s_cbranch_execz .LBB364_888
; %bb.885:                              ;   in Loop: Header=BB364_10 Depth=1
	v_and_b32_e32 v24, 7, v20
	v_mov_b32_e32 v25, v13
	v_lshrrev_b32_e32 v20, 3, v67
	s_mov_b32 s20, exec_lo
	v_cmpx_gt_u32_e32 8, v67
; %bb.886:                              ;   in Loop: Header=BB364_10 Depth=1
	v_ffbh_u32_e32 v20, v24
	v_min_u32_e32 v20, 32, v20
	v_subrev_nc_u32_e32 v64, 28, v20
	v_sub_nc_u32_e32 v20, 29, v20
	v_lshlrev_b64 v[24:25], v64, v[24:25]
	v_and_b32_e32 v24, 7, v24
; %bb.887:                              ;   in Loop: Header=BB364_10 Depth=1
	s_or_b32 exec_lo, exec_lo, s20
	v_lshlrev_b32_e32 v12, 16, v12
	v_lshlrev_b32_e32 v24, 20, v24
	v_lshl_add_u32 v20, v20, 23, 0x3c000000
	v_and_b32_e32 v12, 0x80000000, v12
	v_or3_b32 v64, v24, v12, v20
.LBB364_888:                            ;   in Loop: Header=BB364_10 Depth=1
	s_or_b32 exec_lo, exec_lo, s19
.LBB364_889:                            ;   in Loop: Header=BB364_10 Depth=1
	s_or_b32 exec_lo, exec_lo, s18
.LBB364_890:                            ;   in Loop: Header=BB364_10 Depth=1
	s_or_b32 exec_lo, exec_lo, s6
	v_and_b32_sdwa v12, v17, v50 dst_sel:DWORD dst_unused:UNUSED_PAD src0_sel:WORD_1 src1_sel:DWORD
	s_mov_b32 s6, exec_lo
	v_cmpx_ne_u16_e32 0, v12
	s_cbranch_execz .LBB364_898
; %bb.891:                              ;   in Loop: Header=BB364_10 Depth=1
	v_bfrev_b32_e32 v4, 1
	s_mov_b32 s18, exec_lo
	v_cmpx_ne_u16_e32 0x80, v12
	s_cbranch_execz .LBB364_897
; %bb.892:                              ;   in Loop: Header=BB364_10 Depth=1
	v_bfe_u32 v20, v17, 16, 7
	v_mov_b32_e32 v4, 0x7f800001
	s_mov_b32 s19, exec_lo
	v_cmpx_ne_u32_e32 0x7f, v20
	s_cbranch_execz .LBB364_896
; %bb.893:                              ;   in Loop: Header=BB364_10 Depth=1
	v_and_b32_sdwa v12, v17, v51 dst_sel:DWORD dst_unused:UNUSED_PAD src0_sel:WORD_1 src1_sel:DWORD
	v_mov_b32_e32 v25, v13
	v_lshrrev_b32_e32 v4, 3, v20
	s_mov_b32 s20, exec_lo
	v_mov_b32_e32 v24, v12
	v_cmpx_gt_u32_e32 8, v20
; %bb.894:                              ;   in Loop: Header=BB364_10 Depth=1
	v_ffbh_u32_e32 v4, v12
	v_min_u32_e32 v4, 32, v4
	v_subrev_nc_u32_e32 v20, 28, v4
	v_sub_nc_u32_e32 v4, 29, v4
	v_lshlrev_b64 v[24:25], v20, v[12:13]
	v_and_b32_e32 v24, 7, v24
; %bb.895:                              ;   in Loop: Header=BB364_10 Depth=1
	s_or_b32 exec_lo, exec_lo, s20
	v_lshlrev_b32_sdwa v12, v52, v17 dst_sel:DWORD dst_unused:UNUSED_PAD src0_sel:DWORD src1_sel:WORD_1
	v_lshlrev_b32_e32 v20, 20, v24
	v_lshl_add_u32 v4, v4, 23, 0x3c000000
	v_and_b32_e32 v12, 0x80000000, v12
	v_or3_b32 v4, v20, v12, v4
.LBB364_896:                            ;   in Loop: Header=BB364_10 Depth=1
	s_or_b32 exec_lo, exec_lo, s19
.LBB364_897:                            ;   in Loop: Header=BB364_10 Depth=1
	s_or_b32 exec_lo, exec_lo, s18
.LBB364_898:                            ;   in Loop: Header=BB364_10 Depth=1
	s_or_b32 exec_lo, exec_lo, s6
	v_mov_b32_e32 v20, 0
	s_mov_b32 s6, exec_lo
	v_cmpx_lt_u64_e64 s[8:9], v[16:17]
	s_cbranch_execz .LBB364_9
; %bb.899:                              ;   in Loop: Header=BB364_10 Depth=1
	v_cmp_ne_u32_sdwa s5, v17, v48 src0_sel:BYTE_3 src1_sel:DWORD
	v_bfrev_b32_e32 v20, 1
	s_and_saveexec_b32 s18, s5
	s_cbranch_execz .LBB364_8
; %bb.900:                              ;   in Loop: Header=BB364_10 Depth=1
	v_bfe_u32 v24, v17, 24, 7
	v_mov_b32_e32 v20, 0x7f800001
	s_mov_b32 s19, exec_lo
	v_cmpx_ne_u32_e32 0x7f, v24
	s_cbranch_execz .LBB364_7
; %bb.901:                              ;   in Loop: Header=BB364_10 Depth=1
	v_and_b32_sdwa v12, v17, v51 dst_sel:DWORD dst_unused:UNUSED_PAD src0_sel:BYTE_3 src1_sel:DWORD
	v_lshrrev_b32_e32 v16, 3, v24
	v_cmp_gt_u32_e64 s5, 8, v24
	v_mov_b32_e32 v25, v13
	v_mov_b32_e32 v24, v12
	s_and_saveexec_b32 s20, s5
	s_cbranch_execz .LBB364_6
; %bb.902:                              ;   in Loop: Header=BB364_10 Depth=1
	v_ffbh_u32_e32 v16, v12
	v_min_u32_e32 v16, 32, v16
	v_subrev_nc_u32_e32 v20, 28, v16
	v_sub_nc_u32_e32 v16, 29, v16
	v_lshlrev_b64 v[24:25], v20, v[12:13]
	v_and_b32_e32 v24, 7, v24
	s_branch .LBB364_6
.LBB364_903:
	s_or_b32 exec_lo, exec_lo, s17
	s_clause 0x4
	buffer_load_dword v11, off, s[0:3], s32 offset:692
	buffer_load_dword v10, off, s[0:3], s32 offset:696
	;; [unrolled: 1-line block ×5, first 2 shown]
.LBB364_904:
	s_or_b32 exec_lo, exec_lo, s15
	v_mbcnt_lo_u32_b32 v0, -1, 0
	v_max_f32_e32 v4, v37, v37
	s_lshr_b32 s8, s7, 16
	v_xor_b32_e32 v1, 16, v0
	v_xor_b32_e32 v3, 8, v0
	v_cmp_gt_i32_e32 vcc_lo, 32, v1
	v_cndmask_b32_e32 v1, v0, v1, vcc_lo
	v_cmp_gt_i32_e32 vcc_lo, 32, v3
	v_lshlrev_b32_e32 v1, 2, v1
	v_cndmask_b32_e32 v3, v0, v3, vcc_lo
	ds_bpermute_b32 v2, v1, v37
	s_waitcnt lgkmcnt(0)
	v_max_f32_e32 v5, v2, v2
	v_lshlrev_b32_e32 v2, 2, v3
	v_max_f32_e32 v4, v4, v5
	v_xor_b32_e32 v5, 4, v0
	ds_bpermute_b32 v3, v2, v4
	v_cmp_gt_i32_e32 vcc_lo, 32, v5
	v_cndmask_b32_e32 v5, v0, v5, vcc_lo
	s_waitcnt lgkmcnt(0)
	v_max_f32_e32 v6, v3, v3
	v_lshlrev_b32_e32 v3, 2, v5
	v_max_f32_e32 v4, v4, v6
	v_xor_b32_e32 v6, 2, v0
	ds_bpermute_b32 v5, v3, v4
	v_cmp_gt_i32_e32 vcc_lo, 32, v6
	v_cndmask_b32_e32 v6, v0, v6, vcc_lo
	v_lshlrev_b32_e32 v13, 2, v6
	v_xor_b32_e32 v6, 1, v0
	v_cmp_gt_i32_e32 vcc_lo, 32, v6
	s_waitcnt lgkmcnt(0)
	v_max_f32_e32 v5, v5, v5
	v_cndmask_b32_e32 v6, v0, v6, vcc_lo
	s_waitcnt vmcnt(3)
	v_cmp_eq_u32_e32 vcc_lo, 0, v10
	v_max_f32_e32 v4, v4, v5
	v_lshlrev_b32_e32 v16, 2, v6
	ds_bpermute_b32 v5, v13, v4
	s_waitcnt lgkmcnt(0)
	v_max_f32_e32 v5, v5, v5
	v_max_f32_e32 v0, v4, v5
	buffer_load_dword v4, off, s[0:3], s32 offset:688 ; 4-byte Folded Reload
	ds_bpermute_b32 v5, v16, v0
	s_waitcnt vmcnt(0)
	v_lshlrev_b32_e32 v4, 2, v4
	s_and_saveexec_b32 s5, vcc_lo
	s_cbranch_execz .LBB364_906
; %bb.905:
	s_waitcnt lgkmcnt(0)
	v_max_f32_e32 v5, v5, v5
	v_max_f32_e32 v0, v0, v0
	;; [unrolled: 1-line block ×3, first 2 shown]
	ds_write_b32 v4, v0 offset:224
.LBB364_906:
	s_or_b32 exec_lo, exec_lo, s5
	v_cmp_gt_u32_e64 s5, 4, v10
	v_mov_b32_e32 v0, 0xff7fffff
	s_waitcnt lgkmcnt(0)
	s_waitcnt_vscnt null, 0x0
	s_barrier
	buffer_gl0_inv
	s_and_saveexec_b32 s6, s5
; %bb.907:
	ds_read_b32 v0, v12 offset:224
; %bb.908:
	s_or_b32 exec_lo, exec_lo, s6
	s_waitcnt lgkmcnt(0)
	ds_bpermute_b32 v5, v13, v0
	v_max_f32_e32 v0, v0, v0
	v_mov_b32_e32 v6, 0
	s_waitcnt lgkmcnt(0)
	v_max_f32_e32 v5, v5, v5
	v_max_f32_e32 v0, v0, v5
	ds_bpermute_b32 v5, v16, v0
	s_waitcnt lgkmcnt(0)
	v_max_f32_e32 v5, v5, v5
	v_max_f32_e32 v0, v0, v5
	ds_bpermute_b32 v5, v6, v0
	buffer_load_dword v0, off, s[0:3], s32 offset:192 ; 4-byte Folded Reload
	s_waitcnt vmcnt(0)
	v_lshlrev_b32_e32 v0, 5, v0
	v_min_i32_e32 v0, v0, v30
	v_cmp_lt_i32_e64 s6, v11, v0
	s_and_saveexec_b32 s9, s6
	s_cbranch_execz .LBB364_912
; %bb.909:
	s_getpc_b64 s[18:19]
	s_add_u32 s18, s18, llvm.amdgcn.dynlds.offset.table@rel32@lo+4
	s_addc_u32 s19, s19, llvm.amdgcn.dynlds.offset.table@rel32@hi+12
	s_ashr_i32 s17, s16, 31
	v_mov_b32_e32 v6, 0
	s_lshl_b64 s[20:21], s[16:17], 2
	v_mov_b32_e32 v8, v11
	s_add_u32 s18, s18, s20
	s_addc_u32 s19, s19, s21
	s_mov_b32 s15, 0
	s_load_dword s7, s[18:19], 0x0
	s_waitcnt lgkmcnt(0)
	v_lshl_add_u32 v7, v11, 2, s7
	.p2align	6
.LBB364_910:                            ; =>This Inner Loop Header: Depth=1
	ds_read_b32 v9, v7
	v_add_nc_u32_e32 v8, 0x80, v8
	v_cmp_ge_i32_e64 s7, v8, v0
	s_or_b32 s15, s7, s15
	s_waitcnt lgkmcnt(0)
	v_sub_f32_e32 v9, v9, v5
	v_mul_f32_e32 v9, 0x3fb8aa3b, v9
	v_exp_f32_e32 v9, v9
	ds_write_b32 v7, v9
	v_add_f32_e32 v6, v6, v9
	v_add_nc_u32_e32 v7, 0x200, v7
	s_andn2_b32 exec_lo, exec_lo, s15
	s_cbranch_execnz .LBB364_910
; %bb.911:
	s_or_b32 exec_lo, exec_lo, s15
.LBB364_912:
	s_or_b32 exec_lo, exec_lo, s9
	ds_bpermute_b32 v1, v1, v6
	s_waitcnt lgkmcnt(0)
	v_add_f32_e32 v1, v6, v1
	ds_bpermute_b32 v2, v2, v1
	s_waitcnt lgkmcnt(0)
	v_add_f32_e32 v1, v1, v2
	ds_bpermute_b32 v2, v3, v1
	s_waitcnt lgkmcnt(0)
	v_add_f32_e32 v1, v1, v2
	ds_bpermute_b32 v2, v13, v1
	s_waitcnt lgkmcnt(0)
	v_add_f32_e32 v1, v1, v2
	ds_bpermute_b32 v2, v16, v1
	s_waitcnt lgkmcnt(0)
	v_add_f32_e32 v1, v1, v2
	s_and_saveexec_b32 s7, vcc_lo
; %bb.913:
	ds_write_b32 v4, v1 offset:240
; %bb.914:
	s_or_b32 exec_lo, exec_lo, s7
	s_waitcnt lgkmcnt(0)
	s_barrier
	buffer_gl0_inv
	s_and_saveexec_b32 s7, s5
; %bb.915:
	ds_read_b32 v1, v12 offset:240
; %bb.916:
	s_or_b32 exec_lo, exec_lo, s7
	s_waitcnt lgkmcnt(0)
	ds_bpermute_b32 v2, v13, v1
	s_waitcnt lgkmcnt(0)
	v_add_f32_e32 v1, v1, v2
	ds_bpermute_b32 v2, v16, v1
	s_waitcnt lgkmcnt(0)
	v_add_f32_e32 v1, v1, v2
	v_mov_b32_e32 v2, 0
	ds_bpermute_b32 v1, v2, v1
	s_and_saveexec_b32 s5, s6
	s_cbranch_execz .LBB364_919
; %bb.917:
	s_waitcnt lgkmcnt(0)
	v_add_f32_e32 v2, 0x358637bd, v1
	s_getpc_b64 s[6:7]
	s_add_u32 s6, s6, llvm.amdgcn.dynlds.offset.table@rel32@lo+4
	s_addc_u32 s7, s7, llvm.amdgcn.dynlds.offset.table@rel32@hi+12
	s_ashr_i32 s17, s16, 31
	s_lshl_b64 s[18:19], s[16:17], 2
	v_div_scale_f32 v1, null, v2, v2, 1.0
	v_div_scale_f32 v5, vcc_lo, 1.0, v2, 1.0
	s_add_u32 s6, s6, s18
	v_rcp_f32_e32 v3, v1
	s_addc_u32 s7, s7, s19
	s_load_dword s6, s[6:7], 0x0
	v_fma_f32 v4, -v1, v3, 1.0
	v_fmac_f32_e32 v3, v4, v3
	v_mul_f32_e32 v4, v5, v3
	v_fma_f32 v6, -v1, v4, v5
	v_fmac_f32_e32 v4, v6, v3
	v_fma_f32 v1, -v1, v4, v5
	v_div_fmas_f32 v3, v1, v3, v4
	s_waitcnt lgkmcnt(0)
	v_lshl_add_u32 v1, v11, 2, s6
	s_mov_b32 s6, 0
	v_div_fixup_f32 v2, v3, v2, 1.0
	v_mov_b32_e32 v3, v11
.LBB364_918:                            ; =>This Inner Loop Header: Depth=1
	ds_read_b32 v4, v1
	v_add_nc_u32_e32 v3, 0x80, v3
	v_cmp_ge_i32_e32 vcc_lo, v3, v0
	s_or_b32 s6, vcc_lo, s6
	s_waitcnt lgkmcnt(0)
	v_mul_f32_e32 v4, v2, v4
	ds_write_b32 v1, v4
	v_add_nc_u32_e32 v1, 0x200, v1
	s_andn2_b32 exec_lo, exec_lo, s6
	s_cbranch_execnz .LBB364_918
.LBB364_919:
	s_or_b32 exec_lo, exec_lo, s5
	s_waitcnt lgkmcnt(0)
	s_barrier
	buffer_gl0_inv
	s_and_saveexec_b32 s5, s4
	s_xor_b32 s4, exec_lo, s5
; %bb.920:
                                        ; implicit-def: $vgpr0
                                        ; kill: killed $vgpr0
	s_ashr_i32 s17, s16, 31
                                        ; implicit-def: $vgpr0
                                        ; kill: killed $vgpr0
                                        ; implicit-def: $vgpr30
                                        ; implicit-def: $vgpr20
                                        ; implicit-def: $vgpr18
                                        ; implicit-def: $vgpr0
                                        ; kill: killed $vgpr0
                                        ; implicit-def: $vgpr0
                                        ; kill: killed $vgpr0
                                        ; implicit-def: $vgpr0_vgpr1
                                        ; kill: killed $vgpr0_vgpr1
                                        ; implicit-def: $vgpr0
                                        ; kill: killed $vgpr0
                                        ; implicit-def: $vgpr0
                                        ; kill: killed $vgpr0
                                        ; implicit-def: $vgpr0
                                        ; kill: killed $vgpr0
                                        ; implicit-def: $vgpr0_vgpr1
                                        ; kill: killed $vgpr0_vgpr1
; %bb.921:
	s_or_saveexec_b32 s5, s4
	v_mov_b32_e32 v4, s16
	v_mov_b32_e32 v50, 0
	;; [unrolled: 1-line block ×3, first 2 shown]
	v_and_b32_e32 v55, 3, v11
	v_mov_b32_e32 v53, 0
	v_mov_b32_e32 v52, 0
	;; [unrolled: 1-line block ×13, first 2 shown]
	s_xor_b32 exec_lo, exec_lo, s5
	s_cbranch_execz .LBB364_1849
; %bb.922:
	buffer_store_dword v13, off, s[0:3], s32 offset:328 ; 4-byte Folded Spill
	buffer_store_dword v16, off, s[0:3], s32 offset:324 ; 4-byte Folded Spill
	s_clause 0x4
	buffer_load_dword v0, off, s[0:3], s32 offset:736
	buffer_load_dword v1, off, s[0:3], s32 offset:740
	;; [unrolled: 1-line block ×5, first 2 shown]
	s_getpc_b64 s[6:7]
	s_add_u32 s6, s6, llvm.amdgcn.dynlds.offset.table@rel32@lo+4
	s_addc_u32 s7, s7, llvm.amdgcn.dynlds.offset.table@rel32@hi+12
	s_ashr_i32 s17, s16, 31
	v_mov_b32_e32 v12, 0
	s_lshl_b64 s[18:19], s[16:17], 2
	v_mov_b32_e32 v65, 0x80
	s_add_u32 s6, s6, s18
	s_addc_u32 s7, s7, s19
	v_mov_b32_e32 v67, 0xff
	s_load_dword s4, s[6:7], 0x0
	v_mov_b32_e32 v27, 0
	v_mov_b32_e32 v33, 0
	;; [unrolled: 1-line block ×14, first 2 shown]
	s_mov_b32 s6, -1
	s_mov_b32 s7, 0xffffff
	s_mov_b32 s9, 0
	s_waitcnt vmcnt(3)
	flat_load_dword v54, v[0:1]
	buffer_load_dword v0, off, s[0:3], s32 offset:692 ; 4-byte Folded Reload
	s_waitcnt vmcnt(4)
	v_add_co_u32 v2, vcc_lo, v20, v2
	s_waitcnt vmcnt(3)
	v_add_co_ci_u32_e64 v3, null, v18, v3, vcc_lo
	s_waitcnt vmcnt(2)
	v_and_b32_e32 v4, 0x7c, v4
	s_waitcnt vmcnt(0)
	v_lshlrev_b32_e32 v0, 3, v0
	v_and_b32_e32 v1, 24, v0
	v_and_b32_e32 v0, 0xf8, v0
	v_add_co_u32 v2, vcc_lo, v2, v0
	v_add_co_ci_u32_e64 v3, null, 0, v3, vcc_lo
	v_lshlrev_b32_e32 v0, 5, v55
	buffer_store_dword v2, off, s[0:3], s32 offset:316 ; 4-byte Folded Spill
	buffer_store_dword v3, off, s[0:3], s32 offset:320 ; 4-byte Folded Spill
	buffer_store_dword v55, off, s[0:3], s32 offset:332 ; 4-byte Folded Spill
	s_clause 0x3
	buffer_load_dword v2, off, s[0:3], s32 offset:708
	buffer_load_dword v3, off, s[0:3], s32 offset:712
	;; [unrolled: 1-line block ×4, first 2 shown]
	s_waitcnt vmcnt(3)
	v_add_co_u32 v2, vcc_lo, v4, v2
	s_waitcnt vmcnt(2)
	v_add_co_ci_u32_e64 v3, null, 0, v3, vcc_lo
	s_waitcnt vmcnt(1)
	v_add_co_u32 v15, vcc_lo, v5, v2
	buffer_load_dword v2, off, s[0:3], s32 offset:700 ; 4-byte Folded Reload
	s_waitcnt vmcnt(1)
	v_lshlrev_b32_e32 v4, 5, v70
	v_lshl_or_b32 v0, v70, 7, v0
	v_or3_b32 v55, v4, v1, 7
	s_waitcnt lgkmcnt(0)
	v_add_nc_u32_e32 v64, s4, v0
	s_waitcnt vmcnt(0)
	v_add_co_ci_u32_e64 v16, null, v2, v3, vcc_lo
	s_branch .LBB364_924
.LBB364_923:                            ;   in Loop: Header=BB364_924 Depth=1
	s_or_b32 exec_lo, exec_lo, s4
	v_bfe_u32 v118, v6, 16, 1
	v_or_b32_e32 v119, 0x400000, v6
	v_cmp_u_f32_e32 vcc_lo, v6, v6
	v_lshlrev_b32_e32 v115, 16, v115
	v_lshlrev_b32_e32 v98, 16, v98
	v_add3_u32 v118, v118, v6, 0x7fff
	v_lshlrev_b32_e32 v100, 16, v100
	v_lshlrev_b32_e32 v96, 16, v96
	;; [unrolled: 1-line block ×4, first 2 shown]
	v_cndmask_b32_e32 v6, v118, v119, vcc_lo
	v_bfe_u32 v118, v7, 16, 1
	v_or_b32_e32 v119, 0x400000, v7
	v_cmp_u_f32_e32 vcc_lo, v7, v7
	v_lshlrev_b32_e32 v87, 16, v87
	v_lshlrev_b32_e32 v101, 16, v101
	v_add3_u32 v118, v118, v7, 0x7fff
	v_lshlrev_b32_e32 v99, 16, v99
	v_lshlrev_b32_e32 v66, 16, v66
	;; [unrolled: 1-line block ×4, first 2 shown]
	v_cndmask_b32_e32 v7, v118, v119, vcc_lo
	v_bfe_u32 v118, v8, 16, 1
	v_or_b32_e32 v119, 0x400000, v8
	v_cmp_u_f32_e32 vcc_lo, v8, v8
	v_lshlrev_b32_e32 v81, 16, v81
	v_lshlrev_b32_e32 v82, 16, v82
	v_add3_u32 v118, v118, v8, 0x7fff
	v_bfe_u32 v8, v9, 16, 1
	v_lshlrev_b32_e32 v68, 16, v68
	v_lshlrev_b32_e32 v32, 16, v32
	;; [unrolled: 1-line block ×3, first 2 shown]
	v_cndmask_b32_e32 v118, v118, v119, vcc_lo
	v_add3_u32 v8, v8, v9, 0x7fff
	v_or_b32_e32 v119, 0x400000, v9
	v_cmp_u_f32_e32 vcc_lo, v9, v9
	v_or_b32_e32 v9, 0x400000, v2
	v_lshlrev_b32_e32 v17, 16, v17
	v_lshlrev_b32_e32 v26, 16, v26
	;; [unrolled: 1-line block ×3, first 2 shown]
	v_cndmask_b32_e32 v119, v8, v119, vcc_lo
	v_bfe_u32 v8, v2, 16, 1
	v_cmp_u_f32_e32 vcc_lo, v2, v2
	v_lshlrev_b32_e32 v25, 16, v25
	v_lshlrev_b32_e32 v18, 16, v18
	;; [unrolled: 1-line block ×3, first 2 shown]
	v_add3_u32 v8, v8, v2, 0x7fff
	v_lshlrev_b32_e32 v28, 16, v28
	v_lshlrev_b32_e32 v0, 16, v0
	v_add_nc_u32_e32 v70, 4, v70
	v_add_nc_u32_e32 v55, 0x80, v55
	v_cndmask_b32_e32 v2, v8, v9, vcc_lo
	v_bfe_u32 v8, v3, 16, 1
	v_or_b32_e32 v9, 0x400000, v3
	v_cmp_u_f32_e32 vcc_lo, v3, v3
	v_add_nc_u32_e32 v64, 0x200, v64
	v_add3_u32 v8, v8, v3, 0x7fff
	v_cndmask_b32_e32 v3, v8, v9, vcc_lo
	v_bfe_u32 v8, v4, 16, 1
	v_or_b32_e32 v9, 0x400000, v4
	v_cmp_u_f32_e32 vcc_lo, v4, v4
	v_add3_u32 v8, v8, v4, 0x7fff
	v_bfe_u32 v4, v5, 16, 1
	v_cndmask_b32_e32 v40, v8, v9, vcc_lo
	v_add3_u32 v4, v4, v5, 0x7fff
	v_or_b32_e32 v8, 0x400000, v5
	v_cmp_u_f32_e32 vcc_lo, v5, v5
	v_and_b32_e32 v9, 0xffff0000, v6
	v_cndmask_b32_e32 v41, v4, v8, vcc_lo
	v_and_b32_e32 v8, 0xffff0000, v7
	v_lshlrev_b32_e32 v4, 16, v114
	v_mul_f32_e32 v100, v9, v100
	v_mul_f32_e32 v66, v9, v66
	;; [unrolled: 1-line block ×6, first 2 shown]
	v_bfe_u32 v5, v4, 16, 1
	v_or_b32_e32 v7, 0x400000, v4
	v_cmp_u_f32_e32 vcc_lo, v4, v4
	v_add3_u32 v5, v5, v4, 0x7fff
	v_lshlrev_b32_e32 v4, 16, v116
	v_cndmask_b32_e32 v114, v5, v7, vcc_lo
	v_mul_f32_e32 v4, v9, v4
	v_and_b32_e32 v114, 0xffff0000, v114
	v_bfe_u32 v5, v4, 16, 1
	v_or_b32_e32 v6, 0x400000, v4
	v_cmp_u_f32_e32 vcc_lo, v4, v4
	v_add3_u32 v5, v5, v4, 0x7fff
	v_lshlrev_b32_e32 v4, 16, v112
	v_cndmask_b32_e32 v116, v5, v6, vcc_lo
	v_and_b32_e32 v6, 0xffff0000, v119
	v_and_b32_e32 v116, 0xffff0000, v116
	v_mul_f32_e32 v4, v6, v4
	v_mul_f32_e32 v96, v6, v96
	;; [unrolled: 1-line block ×4, first 2 shown]
	v_add_f32_e32 v114, v116, v114
	v_bfe_u32 v5, v4, 16, 1
	v_or_b32_e32 v7, 0x400000, v4
	v_cmp_u_f32_e32 vcc_lo, v4, v4
	v_add3_u32 v5, v5, v4, 0x7fff
	v_lshlrev_b32_e32 v4, 16, v113
	v_cndmask_b32_e32 v112, v5, v7, vcc_lo
	v_and_b32_e32 v7, 0xffff0000, v118
	v_and_b32_e32 v112, 0xffff0000, v112
	v_mul_f32_e32 v4, v7, v4
	v_mul_f32_e32 v97, v7, v97
	;; [unrolled: 1-line block ×4, first 2 shown]
	v_bfe_u32 v5, v4, 16, 1
	v_or_b32_e32 v113, 0x400000, v4
	v_cmp_u_f32_e32 vcc_lo, v4, v4
	v_add3_u32 v5, v5, v4, 0x7fff
	v_and_b32_e32 v4, 0xffff0000, v3
	v_lshlrev_b32_e32 v3, 16, v102
	v_cndmask_b32_e32 v113, v5, v113, vcc_lo
	v_mul_f32_e32 v69, v4, v69
	v_mul_f32_e32 v3, v4, v3
	;; [unrolled: 1-line block ×4, first 2 shown]
	v_and_b32_e32 v113, 0xffff0000, v113
	v_mul_f32_e32 v18, v4, v18
	v_bfe_u32 v5, v3, 16, 1
	v_or_b32_e32 v102, 0x400000, v3
	v_cmp_u_f32_e32 vcc_lo, v3, v3
	v_add_f32_e32 v112, v113, v112
	v_add3_u32 v5, v5, v3, 0x7fff
	v_add_f32_e32 v112, v114, v112
	v_cndmask_b32_e32 v102, v5, v102, vcc_lo
	v_and_b32_e32 v5, 0xffff0000, v2
	v_lshlrev_b32_e32 v2, 16, v103
	v_and_b32_e32 v102, 0xffff0000, v102
	v_mul_f32_e32 v87, v5, v87
	v_mul_f32_e32 v2, v5, v2
	;; [unrolled: 1-line block ×5, first 2 shown]
	v_bfe_u32 v3, v2, 16, 1
	v_or_b32_e32 v103, 0x400000, v2
	v_cmp_u_f32_e32 vcc_lo, v2, v2
	v_add3_u32 v3, v3, v2, 0x7fff
	v_and_b32_e32 v2, 0xffff0000, v41
	v_cndmask_b32_e32 v103, v3, v103, vcc_lo
	v_lshlrev_b32_e32 v3, 16, v117
	v_mul_f32_e32 v101, v2, v101
	v_mul_f32_e32 v68, v2, v68
	v_and_b32_e32 v103, 0xffff0000, v103
	v_mul_f32_e32 v3, v2, v3
	v_add_f32_e32 v102, v103, v102
	v_bfe_u32 v117, v3, 16, 1
	v_or_b32_e32 v118, 0x400000, v3
	v_cmp_u_f32_e32 vcc_lo, v3, v3
	v_add_f32_e32 v102, v112, v102
	v_add3_u32 v117, v117, v3, 0x7fff
	v_and_b32_e32 v3, 0xffff0000, v40
	v_cndmask_b32_e32 v117, v117, v118, vcc_lo
	v_mul_f32_e32 v115, v3, v115
	v_mul_f32_e32 v99, v3, v99
	;; [unrolled: 1-line block ×4, first 2 shown]
	v_and_b32_e32 v112, 0xffff0000, v117
	v_bfe_u32 v118, v115, 16, 1
	v_or_b32_e32 v119, 0x400000, v115
	v_cmp_u_f32_e32 vcc_lo, v115, v115
	v_add3_u32 v118, v118, v115, 0x7fff
	v_cndmask_b32_e32 v115, v118, v119, vcc_lo
	v_cmp_u_f32_e32 vcc_lo, v98, v98
	v_and_b32_e32 v103, 0xffff0000, v115
	v_add_f32_e32 v103, v103, v112
	v_add_f32_e32 v102, v102, v103
	v_or_b32_e32 v103, 0x400000, v98
	v_add_f32_e32 v33, v33, v102
	v_bfe_u32 v102, v98, 16, 1
	v_add3_u32 v102, v102, v98, 0x7fff
	v_cndmask_b32_e32 v98, v102, v103, vcc_lo
	v_bfe_u32 v102, v100, 16, 1
	v_or_b32_e32 v103, 0x400000, v100
	v_cmp_u_f32_e32 vcc_lo, v100, v100
	v_and_b32_e32 v98, 0xffff0000, v98
	v_add3_u32 v102, v102, v100, 0x7fff
	v_cndmask_b32_e32 v100, v102, v103, vcc_lo
	v_bfe_u32 v102, v96, 16, 1
	v_or_b32_e32 v103, 0x400000, v96
	v_cmp_u_f32_e32 vcc_lo, v96, v96
	v_and_b32_e32 v100, 0xffff0000, v100
	v_add3_u32 v102, v102, v96, 0x7fff
	v_add_f32_e32 v98, v100, v98
	v_cndmask_b32_e32 v96, v102, v103, vcc_lo
	v_bfe_u32 v102, v97, 16, 1
	v_or_b32_e32 v103, 0x400000, v97
	v_cmp_u_f32_e32 vcc_lo, v97, v97
	v_and_b32_e32 v96, 0xffff0000, v96
	v_add3_u32 v102, v102, v97, 0x7fff
	v_cndmask_b32_e32 v97, v102, v103, vcc_lo
	v_bfe_u32 v102, v69, 16, 1
	v_or_b32_e32 v103, 0x400000, v69
	v_cmp_u_f32_e32 vcc_lo, v69, v69
	v_and_b32_e32 v97, 0xffff0000, v97
	v_add3_u32 v102, v102, v69, 0x7fff
	v_add_f32_e32 v96, v97, v96
	v_cndmask_b32_e32 v69, v102, v103, vcc_lo
	v_bfe_u32 v102, v87, 16, 1
	v_or_b32_e32 v103, 0x400000, v87
	v_cmp_u_f32_e32 vcc_lo, v87, v87
	v_add_f32_e32 v96, v98, v96
	v_and_b32_e32 v69, 0xffff0000, v69
	v_add3_u32 v102, v102, v87, 0x7fff
	v_cndmask_b32_e32 v87, v102, v103, vcc_lo
	v_bfe_u32 v102, v101, 16, 1
	v_or_b32_e32 v103, 0x400000, v101
	v_cmp_u_f32_e32 vcc_lo, v101, v101
	v_and_b32_e32 v87, 0xffff0000, v87
	v_add3_u32 v102, v102, v101, 0x7fff
	v_add_f32_e32 v69, v87, v69
	v_cndmask_b32_e32 v101, v102, v103, vcc_lo
	v_bfe_u32 v102, v99, 16, 1
	v_or_b32_e32 v103, 0x400000, v99
	v_cmp_u_f32_e32 vcc_lo, v99, v99
	v_add_f32_e32 v69, v96, v69
	v_and_b32_e32 v96, 0xffff0000, v101
	v_add3_u32 v102, v102, v99, 0x7fff
	v_cndmask_b32_e32 v99, v102, v103, vcc_lo
	v_and_b32_e32 v87, 0xffff0000, v99
	v_add_f32_e32 v87, v87, v96
	v_add_f32_e32 v69, v69, v87
	;; [unrolled: 1-line block ×3, first 2 shown]
	v_lshlrev_b32_e32 v69, 16, v85
	v_mul_f32_e32 v69, v8, v69
	v_bfe_u32 v85, v69, 16, 1
	v_or_b32_e32 v87, 0x400000, v69
	v_cmp_u_f32_e32 vcc_lo, v69, v69
	v_add3_u32 v85, v85, v69, 0x7fff
	v_cndmask_b32_e32 v69, v85, v87, vcc_lo
	v_bfe_u32 v85, v66, 16, 1
	v_or_b32_e32 v87, 0x400000, v66
	v_cmp_u_f32_e32 vcc_lo, v66, v66
	v_and_b32_e32 v69, 0xffff0000, v69
	v_add3_u32 v85, v85, v66, 0x7fff
	v_cndmask_b32_e32 v66, v85, v87, vcc_lo
	v_bfe_u32 v85, v83, 16, 1
	v_or_b32_e32 v87, 0x400000, v83
	v_cmp_u_f32_e32 vcc_lo, v83, v83
	v_and_b32_e32 v66, 0xffff0000, v66
	v_add3_u32 v85, v85, v83, 0x7fff
	v_add_f32_e32 v66, v66, v69
	v_cndmask_b32_e32 v83, v85, v87, vcc_lo
	v_bfe_u32 v85, v84, 16, 1
	v_or_b32_e32 v87, 0x400000, v84
	v_cmp_u_f32_e32 vcc_lo, v84, v84
	v_and_b32_e32 v83, 0xffff0000, v83
	v_add3_u32 v85, v85, v84, 0x7fff
	v_cndmask_b32_e32 v84, v85, v87, vcc_lo
	v_bfe_u32 v85, v81, 16, 1
	v_or_b32_e32 v87, 0x400000, v81
	v_cmp_u_f32_e32 vcc_lo, v81, v81
	v_and_b32_e32 v69, 0xffff0000, v84
	v_add3_u32 v85, v85, v81, 0x7fff
	v_add_f32_e32 v69, v69, v83
	v_cndmask_b32_e32 v81, v85, v87, vcc_lo
	v_bfe_u32 v85, v82, 16, 1
	v_or_b32_e32 v87, 0x400000, v82
	v_cmp_u_f32_e32 vcc_lo, v82, v82
	v_add_f32_e32 v66, v66, v69
	v_and_b32_e32 v81, 0xffff0000, v81
	v_add3_u32 v85, v85, v82, 0x7fff
	v_cndmask_b32_e32 v82, v85, v87, vcc_lo
	v_bfe_u32 v85, v68, 16, 1
	v_or_b32_e32 v87, 0x400000, v68
	v_cmp_u_f32_e32 vcc_lo, v68, v68
	v_and_b32_e32 v69, 0xffff0000, v82
	v_add3_u32 v85, v85, v68, 0x7fff
	v_add_f32_e32 v69, v69, v81
	v_cndmask_b32_e32 v68, v85, v87, vcc_lo
	v_lshlrev_b32_e32 v85, 16, v86
	v_add_f32_e32 v66, v66, v69
	v_and_b32_e32 v68, 0xffff0000, v68
	v_mul_f32_e32 v85, v3, v85
	v_bfe_u32 v86, v85, 16, 1
	v_or_b32_e32 v87, 0x400000, v85
	v_cmp_u_f32_e32 vcc_lo, v85, v85
	v_add3_u32 v86, v86, v85, 0x7fff
	v_cndmask_b32_e32 v85, v86, v87, vcc_lo
	v_cmp_u_f32_e32 vcc_lo, v32, v32
	v_and_b32_e32 v69, 0xffff0000, v85
	v_add_f32_e32 v68, v69, v68
	v_add_f32_e32 v66, v66, v68
	v_or_b32_e32 v68, 0x400000, v32
	v_add_f32_e32 v35, v35, v66
	v_bfe_u32 v66, v32, 16, 1
	v_add3_u32 v66, v66, v32, 0x7fff
	v_cndmask_b32_e32 v32, v66, v68, vcc_lo
	v_lshlrev_b32_e32 v66, 16, v71
	v_and_b32_e32 v32, 0xffff0000, v32
	v_mul_f32_e32 v66, v9, v66
	v_bfe_u32 v68, v66, 16, 1
	v_or_b32_e32 v69, 0x400000, v66
	v_cmp_u_f32_e32 vcc_lo, v66, v66
	v_add3_u32 v68, v68, v66, 0x7fff
	v_cndmask_b32_e32 v66, v68, v69, vcc_lo
	v_bfe_u32 v68, v14, 16, 1
	v_or_b32_e32 v69, 0x400000, v14
	v_cmp_u_f32_e32 vcc_lo, v14, v14
	v_and_b32_e32 v66, 0xffff0000, v66
	v_add3_u32 v68, v68, v14, 0x7fff
	v_add_f32_e32 v32, v66, v32
	v_cndmask_b32_e32 v14, v68, v69, vcc_lo
	v_bfe_u32 v68, v17, 16, 1
	v_or_b32_e32 v69, 0x400000, v17
	v_cmp_u_f32_e32 vcc_lo, v17, v17
	v_and_b32_e32 v14, 0xffff0000, v14
	v_add3_u32 v68, v68, v17, 0x7fff
	v_cndmask_b32_e32 v17, v68, v69, vcc_lo
	v_bfe_u32 v68, v26, 16, 1
	v_or_b32_e32 v69, 0x400000, v26
	v_cmp_u_f32_e32 vcc_lo, v26, v26
	v_and_b32_e32 v17, 0xffff0000, v17
	v_add3_u32 v68, v68, v26, 0x7fff
	v_add_f32_e32 v14, v17, v14
	v_cndmask_b32_e32 v26, v68, v69, vcc_lo
	v_bfe_u32 v68, v13, 16, 1
	v_or_b32_e32 v69, 0x400000, v13
	v_cmp_u_f32_e32 vcc_lo, v13, v13
	v_add_f32_e32 v14, v32, v14
	v_and_b32_e32 v17, 0xffff0000, v26
	v_add3_u32 v68, v68, v13, 0x7fff
	v_cndmask_b32_e32 v13, v68, v69, vcc_lo
	v_lshlrev_b32_e32 v68, 16, v80
	v_and_b32_e32 v13, 0xffff0000, v13
	v_mul_f32_e32 v68, v2, v68
	v_add_f32_e32 v13, v13, v17
	v_bfe_u32 v69, v68, 16, 1
	v_or_b32_e32 v71, 0x400000, v68
	v_cmp_u_f32_e32 vcc_lo, v68, v68
	v_add_f32_e32 v13, v14, v13
	v_add3_u32 v69, v69, v68, 0x7fff
	v_cndmask_b32_e32 v68, v69, v71, vcc_lo
	v_bfe_u32 v69, v25, 16, 1
	v_or_b32_e32 v71, 0x400000, v25
	v_cmp_u_f32_e32 vcc_lo, v25, v25
	v_and_b32_e32 v17, 0xffff0000, v68
	v_add3_u32 v69, v69, v25, 0x7fff
	v_cndmask_b32_e32 v25, v69, v71, vcc_lo
	v_and_b32_e32 v14, 0xffff0000, v25
	v_add_f32_e32 v14, v14, v17
	v_add_f32_e32 v13, v13, v14
	;; [unrolled: 1-line block ×3, first 2 shown]
	v_lshlrev_b32_e32 v13, 16, v125
	v_mul_f32_e32 v13, v8, v13
	v_bfe_u32 v14, v13, 16, 1
	v_or_b32_e32 v17, 0x400000, v13
	v_cmp_u_f32_e32 vcc_lo, v13, v13
	v_add3_u32 v14, v14, v13, 0x7fff
	v_cndmask_b32_e32 v13, v14, v17, vcc_lo
	v_lshlrev_b32_e32 v14, 16, v126
	v_and_b32_e32 v13, 0xffff0000, v13
	v_mul_f32_e32 v14, v9, v14
	v_bfe_u32 v17, v14, 16, 1
	v_or_b32_e32 v25, 0x400000, v14
	v_cmp_u_f32_e32 vcc_lo, v14, v14
	v_add3_u32 v17, v17, v14, 0x7fff
	v_cndmask_b32_e32 v14, v17, v25, vcc_lo
	v_lshlrev_b32_e32 v17, 16, v122
	v_and_b32_e32 v14, 0xffff0000, v14
	v_mul_f32_e32 v17, v6, v17
	v_add_f32_e32 v13, v14, v13
	v_bfe_u32 v25, v17, 16, 1
	v_or_b32_e32 v26, 0x400000, v17
	v_cmp_u_f32_e32 vcc_lo, v17, v17
	v_add3_u32 v25, v25, v17, 0x7fff
	v_cndmask_b32_e32 v17, v25, v26, vcc_lo
	v_lshlrev_b32_e32 v25, 16, v123
	v_and_b32_e32 v17, 0xffff0000, v17
	v_mul_f32_e32 v25, v7, v25
	v_bfe_u32 v26, v25, 16, 1
	v_or_b32_e32 v32, 0x400000, v25
	v_cmp_u_f32_e32 vcc_lo, v25, v25
	v_add3_u32 v26, v26, v25, 0x7fff
	v_cndmask_b32_e32 v25, v26, v32, vcc_lo
	v_lshlrev_b32_e32 v26, 16, v120
	v_and_b32_e32 v14, 0xffff0000, v25
	v_mul_f32_e32 v26, v4, v26
	v_add_f32_e32 v14, v14, v17
	v_bfe_u32 v32, v26, 16, 1
	v_or_b32_e32 v66, 0x400000, v26
	v_cmp_u_f32_e32 vcc_lo, v26, v26
	v_add_f32_e32 v13, v13, v14
	v_add3_u32 v32, v32, v26, 0x7fff
	v_cndmask_b32_e32 v26, v32, v66, vcc_lo
	v_lshlrev_b32_e32 v32, 16, v121
	v_and_b32_e32 v17, 0xffff0000, v26
	v_mul_f32_e32 v32, v5, v32
	v_bfe_u32 v66, v32, 16, 1
	v_or_b32_e32 v68, 0x400000, v32
	v_cmp_u_f32_e32 vcc_lo, v32, v32
	v_add3_u32 v66, v66, v32, 0x7fff
	v_cndmask_b32_e32 v32, v66, v68, vcc_lo
	v_lshlrev_b32_e32 v66, 16, v127
	v_and_b32_e32 v14, 0xffff0000, v32
	v_mul_f32_e32 v66, v2, v66
	v_add_f32_e32 v14, v14, v17
	v_bfe_u32 v68, v66, 16, 1
	v_or_b32_e32 v69, 0x400000, v66
	v_cmp_u_f32_e32 vcc_lo, v66, v66
	v_add_f32_e32 v13, v13, v14
	v_add3_u32 v68, v68, v66, 0x7fff
	v_cndmask_b32_e32 v66, v68, v69, vcc_lo
	v_lshlrev_b32_e32 v68, 16, v124
	v_and_b32_e32 v17, 0xffff0000, v66
	v_mul_f32_e32 v68, v3, v68
	v_bfe_u32 v69, v68, 16, 1
	v_or_b32_e32 v71, 0x400000, v68
	v_cmp_u_f32_e32 vcc_lo, v68, v68
	v_add3_u32 v69, v69, v68, 0x7fff
	v_cndmask_b32_e32 v68, v69, v71, vcc_lo
	v_and_b32_e32 v14, 0xffff0000, v68
	v_add_f32_e32 v14, v14, v17
	v_add_f32_e32 v13, v13, v14
	;; [unrolled: 1-line block ×3, first 2 shown]
	v_lshlrev_b32_e32 v13, 16, v109
	v_mul_f32_e32 v13, v8, v13
	v_bfe_u32 v14, v13, 16, 1
	v_or_b32_e32 v17, 0x400000, v13
	v_cmp_u_f32_e32 vcc_lo, v13, v13
	v_add3_u32 v14, v14, v13, 0x7fff
	v_cndmask_b32_e32 v13, v14, v17, vcc_lo
	v_lshlrev_b32_e32 v14, 16, v110
	v_and_b32_e32 v13, 0xffff0000, v13
	v_mul_f32_e32 v14, v9, v14
	v_bfe_u32 v17, v14, 16, 1
	v_or_b32_e32 v25, 0x400000, v14
	v_cmp_u_f32_e32 vcc_lo, v14, v14
	v_add3_u32 v17, v17, v14, 0x7fff
	v_cndmask_b32_e32 v14, v17, v25, vcc_lo
	v_lshlrev_b32_e32 v17, 16, v106
	v_and_b32_e32 v14, 0xffff0000, v14
	v_mul_f32_e32 v17, v6, v17
	v_add_f32_e32 v13, v14, v13
	v_bfe_u32 v25, v17, 16, 1
	v_or_b32_e32 v26, 0x400000, v17
	v_cmp_u_f32_e32 vcc_lo, v17, v17
	v_add3_u32 v25, v25, v17, 0x7fff
	v_cndmask_b32_e32 v17, v25, v26, vcc_lo
	v_lshlrev_b32_e32 v25, 16, v107
	v_and_b32_e32 v17, 0xffff0000, v17
	v_mul_f32_e32 v25, v7, v25
	v_bfe_u32 v26, v25, 16, 1
	v_or_b32_e32 v32, 0x400000, v25
	v_cmp_u_f32_e32 vcc_lo, v25, v25
	v_add3_u32 v26, v26, v25, 0x7fff
	v_cndmask_b32_e32 v25, v26, v32, vcc_lo
	v_lshlrev_b32_e32 v26, 16, v104
	v_and_b32_e32 v14, 0xffff0000, v25
	v_mul_f32_e32 v26, v4, v26
	v_add_f32_e32 v14, v14, v17
	v_bfe_u32 v32, v26, 16, 1
	v_or_b32_e32 v66, 0x400000, v26
	v_cmp_u_f32_e32 vcc_lo, v26, v26
	v_add_f32_e32 v13, v13, v14
	v_add3_u32 v32, v32, v26, 0x7fff
	v_cndmask_b32_e32 v26, v32, v66, vcc_lo
	v_lshlrev_b32_e32 v32, 16, v105
	v_and_b32_e32 v17, 0xffff0000, v26
	v_mul_f32_e32 v32, v5, v32
	v_bfe_u32 v66, v32, 16, 1
	v_or_b32_e32 v68, 0x400000, v32
	v_cmp_u_f32_e32 vcc_lo, v32, v32
	v_add3_u32 v66, v66, v32, 0x7fff
	v_cndmask_b32_e32 v32, v66, v68, vcc_lo
	v_lshlrev_b32_e32 v66, 16, v111
	v_and_b32_e32 v14, 0xffff0000, v32
	v_mul_f32_e32 v66, v2, v66
	v_add_f32_e32 v14, v14, v17
	v_bfe_u32 v68, v66, 16, 1
	v_or_b32_e32 v69, 0x400000, v66
	v_cmp_u_f32_e32 vcc_lo, v66, v66
	v_add_f32_e32 v13, v13, v14
	v_add3_u32 v68, v68, v66, 0x7fff
	v_cndmask_b32_e32 v66, v68, v69, vcc_lo
	v_lshlrev_b32_e32 v68, 16, v108
	v_and_b32_e32 v17, 0xffff0000, v66
	v_mul_f32_e32 v68, v3, v68
	v_bfe_u32 v69, v68, 16, 1
	v_or_b32_e32 v71, 0x400000, v68
	v_cmp_u_f32_e32 vcc_lo, v68, v68
	v_add3_u32 v69, v69, v68, 0x7fff
	v_cndmask_b32_e32 v68, v69, v71, vcc_lo
	v_and_b32_e32 v14, 0xffff0000, v68
	v_add_f32_e32 v14, v14, v17
	v_add_f32_e32 v13, v13, v14
	;; [unrolled: 1-line block ×3, first 2 shown]
	v_lshlrev_b32_e32 v13, 16, v95
	v_mul_f32_e32 v13, v8, v13
	v_bfe_u32 v14, v13, 16, 1
	v_or_b32_e32 v17, 0x400000, v13
	v_cmp_u_f32_e32 vcc_lo, v13, v13
	v_add3_u32 v14, v14, v13, 0x7fff
	v_cndmask_b32_e32 v13, v14, v17, vcc_lo
	v_lshlrev_b32_e32 v14, 16, v94
	v_and_b32_e32 v13, 0xffff0000, v13
	v_mul_f32_e32 v14, v9, v14
	v_bfe_u32 v17, v14, 16, 1
	v_or_b32_e32 v25, 0x400000, v14
	v_cmp_u_f32_e32 vcc_lo, v14, v14
	v_add3_u32 v17, v17, v14, 0x7fff
	v_cndmask_b32_e32 v14, v17, v25, vcc_lo
	v_lshlrev_b32_e32 v17, 16, v31
	v_and_b32_e32 v14, 0xffff0000, v14
	v_mul_f32_e32 v17, v6, v17
	v_add_f32_e32 v13, v14, v13
	v_bfe_u32 v25, v17, 16, 1
	v_or_b32_e32 v26, 0x400000, v17
	v_cmp_u_f32_e32 vcc_lo, v17, v17
	v_add3_u32 v25, v25, v17, 0x7fff
	v_cndmask_b32_e32 v17, v25, v26, vcc_lo
	v_lshlrev_b32_e32 v25, 16, v93
	v_and_b32_e32 v17, 0xffff0000, v17
	v_mul_f32_e32 v25, v7, v25
	v_bfe_u32 v26, v25, 16, 1
	v_or_b32_e32 v31, 0x400000, v25
	v_cmp_u_f32_e32 vcc_lo, v25, v25
	v_add3_u32 v26, v26, v25, 0x7fff
	v_cndmask_b32_e32 v25, v26, v31, vcc_lo
	v_bfe_u32 v26, v18, 16, 1
	v_or_b32_e32 v31, 0x400000, v18
	v_cmp_u_f32_e32 vcc_lo, v18, v18
	v_and_b32_e32 v14, 0xffff0000, v25
	v_add3_u32 v26, v26, v18, 0x7fff
	v_add_f32_e32 v14, v14, v17
	v_cndmask_b32_e32 v18, v26, v31, vcc_lo
	v_bfe_u32 v26, v1, 16, 1
	v_or_b32_e32 v31, 0x400000, v1
	v_cmp_u_f32_e32 vcc_lo, v1, v1
	v_add_f32_e32 v13, v13, v14
	v_and_b32_e32 v14, 0xffff0000, v18
	v_add3_u32 v26, v26, v1, 0x7fff
	v_cndmask_b32_e32 v1, v26, v31, vcc_lo
	v_lshlrev_b32_e32 v26, 16, v29
	v_and_b32_e32 v1, 0xffff0000, v1
	v_mul_f32_e32 v26, v2, v26
	v_add_f32_e32 v1, v1, v14
	v_bfe_u32 v29, v26, 16, 1
	v_or_b32_e32 v31, 0x400000, v26
	v_cmp_u_f32_e32 vcc_lo, v26, v26
	v_add_f32_e32 v1, v13, v1
	v_add3_u32 v29, v29, v26, 0x7fff
	v_cndmask_b32_e32 v26, v29, v31, vcc_lo
	v_bfe_u32 v29, v28, 16, 1
	v_or_b32_e32 v31, 0x400000, v28
	v_cmp_u_f32_e32 vcc_lo, v28, v28
	v_and_b32_e32 v14, 0xffff0000, v26
	v_add3_u32 v29, v29, v28, 0x7fff
	v_cndmask_b32_e32 v28, v29, v31, vcc_lo
	v_cmp_u_f32_e32 vcc_lo, v0, v0
	v_and_b32_e32 v13, 0xffff0000, v28
	v_add_f32_e32 v13, v13, v14
	v_add_f32_e32 v1, v1, v13
	v_or_b32_e32 v13, 0x400000, v0
	v_add_f32_e32 v39, v39, v1
	v_bfe_u32 v1, v0, 16, 1
	v_add3_u32 v1, v1, v0, 0x7fff
	v_cndmask_b32_e32 v0, v1, v13, vcc_lo
	v_lshlrev_b32_e32 v1, 16, v92
	v_and_b32_e32 v0, 0xffff0000, v0
	v_mul_f32_e32 v1, v9, v1
	v_bfe_u32 v13, v1, 16, 1
	v_or_b32_e32 v14, 0x400000, v1
	v_cmp_u_f32_e32 vcc_lo, v1, v1
	v_add3_u32 v13, v13, v1, 0x7fff
	v_cndmask_b32_e32 v1, v13, v14, vcc_lo
	v_lshlrev_b32_e32 v13, 16, v90
	v_and_b32_e32 v1, 0xffff0000, v1
	v_mul_f32_e32 v13, v6, v13
	v_add_f32_e32 v0, v1, v0
	v_bfe_u32 v14, v13, 16, 1
	v_or_b32_e32 v17, 0x400000, v13
	v_cmp_u_f32_e32 vcc_lo, v13, v13
	v_add3_u32 v14, v14, v13, 0x7fff
	v_cndmask_b32_e32 v13, v14, v17, vcc_lo
	v_lshlrev_b32_e32 v14, 16, v91
	v_and_b32_e32 v13, 0xffff0000, v13
	v_mul_f32_e32 v14, v7, v14
	v_bfe_u32 v17, v14, 16, 1
	v_or_b32_e32 v18, 0x400000, v14
	v_cmp_u_f32_e32 vcc_lo, v14, v14
	v_add3_u32 v17, v17, v14, 0x7fff
	v_cndmask_b32_e32 v14, v17, v18, vcc_lo
	v_lshlrev_b32_e32 v17, 16, v79
	v_and_b32_e32 v1, 0xffff0000, v14
	v_mul_f32_e32 v17, v4, v17
	v_add_f32_e32 v1, v1, v13
	v_bfe_u32 v18, v17, 16, 1
	v_or_b32_e32 v25, 0x400000, v17
	v_cmp_u_f32_e32 vcc_lo, v17, v17
	v_add_f32_e32 v0, v0, v1
	v_add3_u32 v18, v18, v17, 0x7fff
	v_cndmask_b32_e32 v17, v18, v25, vcc_lo
	v_lshlrev_b32_e32 v18, 16, v78
	v_and_b32_e32 v13, 0xffff0000, v17
	v_mul_f32_e32 v18, v5, v18
	v_bfe_u32 v25, v18, 16, 1
	v_or_b32_e32 v26, 0x400000, v18
	v_cmp_u_f32_e32 vcc_lo, v18, v18
	v_add3_u32 v25, v25, v18, 0x7fff
	v_cndmask_b32_e32 v18, v25, v26, vcc_lo
	v_lshlrev_b32_e32 v25, 16, v89
	v_and_b32_e32 v1, 0xffff0000, v18
	v_mul_f32_e32 v25, v2, v25
	v_add_f32_e32 v1, v1, v13
	v_bfe_u32 v26, v25, 16, 1
	v_or_b32_e32 v28, 0x400000, v25
	v_cmp_u_f32_e32 vcc_lo, v25, v25
	v_add_f32_e32 v0, v0, v1
	v_add3_u32 v26, v26, v25, 0x7fff
	v_cndmask_b32_e32 v25, v26, v28, vcc_lo
	v_lshlrev_b32_e32 v26, 16, v88
	v_and_b32_e32 v13, 0xffff0000, v25
	v_mul_f32_e32 v26, v3, v26
	v_bfe_u32 v28, v26, 16, 1
	v_or_b32_e32 v29, 0x400000, v26
	v_cmp_u_f32_e32 vcc_lo, v26, v26
	v_add3_u32 v28, v28, v26, 0x7fff
	v_cndmask_b32_e32 v26, v28, v29, vcc_lo
	v_and_b32_e32 v1, 0xffff0000, v26
	v_add_f32_e32 v1, v1, v13
	v_add_f32_e32 v0, v0, v1
	v_add_f32_e32 v48, v48, v0
	v_lshlrev_b32_e32 v0, 16, v77
	v_mul_f32_e32 v0, v8, v0
	v_bfe_u32 v1, v0, 16, 1
	v_or_b32_e32 v13, 0x400000, v0
	v_cmp_u_f32_e32 vcc_lo, v0, v0
	v_add3_u32 v1, v1, v0, 0x7fff
	v_cndmask_b32_e32 v0, v1, v13, vcc_lo
	v_lshlrev_b32_e32 v1, 16, v76
	v_and_b32_e32 v0, 0xffff0000, v0
	v_mul_f32_e32 v1, v9, v1
	v_bfe_u32 v13, v1, 16, 1
	v_or_b32_e32 v14, 0x400000, v1
	v_cmp_u_f32_e32 vcc_lo, v1, v1
	v_add3_u32 v13, v13, v1, 0x7fff
	v_cndmask_b32_e32 v1, v13, v14, vcc_lo
	v_lshlrev_b32_e32 v13, 16, v74
	v_and_b32_e32 v1, 0xffff0000, v1
	v_mul_f32_e32 v13, v6, v13
	v_add_f32_e32 v0, v1, v0
	v_bfe_u32 v14, v13, 16, 1
	v_or_b32_e32 v17, 0x400000, v13
	v_cmp_u_f32_e32 vcc_lo, v13, v13
	v_add3_u32 v14, v14, v13, 0x7fff
	v_cndmask_b32_e32 v13, v14, v17, vcc_lo
	v_lshlrev_b32_e32 v14, 16, v75
	v_and_b32_e32 v13, 0xffff0000, v13
	v_mul_f32_e32 v14, v7, v14
	v_bfe_u32 v17, v14, 16, 1
	v_or_b32_e32 v18, 0x400000, v14
	v_cmp_u_f32_e32 vcc_lo, v14, v14
	v_add3_u32 v17, v17, v14, 0x7fff
	v_cndmask_b32_e32 v14, v17, v18, vcc_lo
	v_lshlrev_b32_e32 v17, 16, v63
	v_and_b32_e32 v1, 0xffff0000, v14
	v_mul_f32_e32 v17, v4, v17
	v_add_f32_e32 v1, v1, v13
	v_bfe_u32 v18, v17, 16, 1
	v_or_b32_e32 v25, 0x400000, v17
	v_cmp_u_f32_e32 vcc_lo, v17, v17
	v_add_f32_e32 v0, v0, v1
	v_add3_u32 v18, v18, v17, 0x7fff
	v_cndmask_b32_e32 v17, v18, v25, vcc_lo
	v_lshlrev_b32_e32 v18, 16, v62
	v_and_b32_e32 v13, 0xffff0000, v17
	v_mul_f32_e32 v18, v5, v18
	v_bfe_u32 v25, v18, 16, 1
	v_or_b32_e32 v26, 0x400000, v18
	v_cmp_u_f32_e32 vcc_lo, v18, v18
	v_add3_u32 v25, v25, v18, 0x7fff
	v_cndmask_b32_e32 v18, v25, v26, vcc_lo
	v_lshlrev_b32_e32 v25, 16, v73
	v_and_b32_e32 v1, 0xffff0000, v18
	v_mul_f32_e32 v25, v2, v25
	v_add_f32_e32 v1, v1, v13
	v_bfe_u32 v26, v25, 16, 1
	v_or_b32_e32 v28, 0x400000, v25
	v_cmp_u_f32_e32 vcc_lo, v25, v25
	v_add_f32_e32 v0, v0, v1
	v_add3_u32 v26, v26, v25, 0x7fff
	v_cndmask_b32_e32 v25, v26, v28, vcc_lo
	v_lshlrev_b32_e32 v26, 16, v72
	v_and_b32_e32 v13, 0xffff0000, v25
	v_mul_f32_e32 v26, v3, v26
	v_bfe_u32 v28, v26, 16, 1
	v_or_b32_e32 v29, 0x400000, v26
	v_cmp_u_f32_e32 vcc_lo, v26, v26
	v_add3_u32 v28, v28, v26, 0x7fff
	v_cndmask_b32_e32 v26, v28, v29, vcc_lo
	v_and_b32_e32 v1, 0xffff0000, v26
	v_add_f32_e32 v1, v1, v13
	v_add_f32_e32 v0, v0, v1
	;; [unrolled: 1-line block ×3, first 2 shown]
	v_lshlrev_b32_e32 v0, 16, v46
	v_mul_f32_e32 v0, v8, v0
	v_bfe_u32 v1, v0, 16, 1
	v_or_b32_e32 v13, 0x400000, v0
	v_cmp_u_f32_e32 vcc_lo, v0, v0
	v_add3_u32 v1, v1, v0, 0x7fff
	v_cndmask_b32_e32 v0, v1, v13, vcc_lo
	v_lshlrev_b32_e32 v1, 16, v45
	v_and_b32_e32 v0, 0xffff0000, v0
	v_mul_f32_e32 v1, v9, v1
	v_bfe_u32 v13, v1, 16, 1
	v_or_b32_e32 v14, 0x400000, v1
	v_cmp_u_f32_e32 vcc_lo, v1, v1
	v_add3_u32 v13, v13, v1, 0x7fff
	v_cndmask_b32_e32 v1, v13, v14, vcc_lo
	v_lshlrev_b32_e32 v13, 16, v43
	v_and_b32_e32 v1, 0xffff0000, v1
	v_mul_f32_e32 v13, v6, v13
	v_add_f32_e32 v0, v1, v0
	v_bfe_u32 v14, v13, 16, 1
	v_or_b32_e32 v17, 0x400000, v13
	v_cmp_u_f32_e32 vcc_lo, v13, v13
	v_add3_u32 v14, v14, v13, 0x7fff
	v_cndmask_b32_e32 v13, v14, v17, vcc_lo
	v_lshlrev_b32_e32 v14, 16, v44
	v_and_b32_e32 v13, 0xffff0000, v13
	v_mul_f32_e32 v14, v7, v14
	v_bfe_u32 v17, v14, 16, 1
	v_or_b32_e32 v18, 0x400000, v14
	v_cmp_u_f32_e32 vcc_lo, v14, v14
	v_add3_u32 v17, v17, v14, 0x7fff
	v_cndmask_b32_e32 v14, v17, v18, vcc_lo
	buffer_load_dword v17, off, s[0:3], s32 offset:308 ; 4-byte Folded Reload
	v_and_b32_e32 v1, 0xffff0000, v14
	v_add_f32_e32 v1, v1, v13
	v_add_f32_e32 v0, v0, v1
	s_waitcnt vmcnt(0)
	v_lshlrev_b32_e32 v17, 16, v17
	v_mul_f32_e32 v17, v4, v17
	v_bfe_u32 v18, v17, 16, 1
	v_or_b32_e32 v25, 0x400000, v17
	v_cmp_u_f32_e32 vcc_lo, v17, v17
	v_add3_u32 v18, v18, v17, 0x7fff
	v_cndmask_b32_e32 v17, v18, v25, vcc_lo
	buffer_load_dword v18, off, s[0:3], s32 offset:300 ; 4-byte Folded Reload
	v_and_b32_e32 v13, 0xffff0000, v17
	s_waitcnt vmcnt(0)
	v_lshlrev_b32_e32 v18, 16, v18
	v_mul_f32_e32 v18, v5, v18
	v_bfe_u32 v25, v18, 16, 1
	v_or_b32_e32 v26, 0x400000, v18
	v_cmp_u_f32_e32 vcc_lo, v18, v18
	v_add3_u32 v25, v25, v18, 0x7fff
	v_cndmask_b32_e32 v18, v25, v26, vcc_lo
	buffer_load_dword v25, off, s[0:3], s32 offset:304 ; 4-byte Folded Reload
	v_and_b32_e32 v1, 0xffff0000, v18
	v_add_f32_e32 v1, v1, v13
	v_add_f32_e32 v0, v0, v1
	s_waitcnt vmcnt(0)
	v_lshlrev_b32_e32 v25, 16, v25
	v_mul_f32_e32 v25, v2, v25
	v_bfe_u32 v26, v25, 16, 1
	v_or_b32_e32 v28, 0x400000, v25
	v_cmp_u_f32_e32 vcc_lo, v25, v25
	v_add3_u32 v26, v26, v25, 0x7fff
	v_cndmask_b32_e32 v25, v26, v28, vcc_lo
	buffer_load_dword v26, off, s[0:3], s32 offset:296 ; 4-byte Folded Reload
	v_and_b32_e32 v13, 0xffff0000, v25
	s_waitcnt vmcnt(0)
	v_lshlrev_b32_e32 v26, 16, v26
	v_mul_f32_e32 v26, v3, v26
	v_bfe_u32 v28, v26, 16, 1
	v_or_b32_e32 v29, 0x400000, v26
	v_cmp_u_f32_e32 vcc_lo, v26, v26
	v_add3_u32 v28, v28, v26, 0x7fff
	v_cndmask_b32_e32 v26, v28, v29, vcc_lo
	v_and_b32_e32 v1, 0xffff0000, v26
	v_add_f32_e32 v1, v1, v13
	v_add_f32_e32 v0, v0, v1
	;; [unrolled: 1-line block ×3, first 2 shown]
	buffer_load_dword v0, off, s[0:3], s32 offset:292 ; 4-byte Folded Reload
	s_waitcnt vmcnt(0)
	v_lshlrev_b32_e32 v0, 16, v0
	v_mul_f32_e32 v0, v8, v0
	v_bfe_u32 v1, v0, 16, 1
	v_or_b32_e32 v13, 0x400000, v0
	v_cmp_u_f32_e32 vcc_lo, v0, v0
	v_add3_u32 v1, v1, v0, 0x7fff
	v_cndmask_b32_e32 v0, v1, v13, vcc_lo
	buffer_load_dword v1, off, s[0:3], s32 offset:288 ; 4-byte Folded Reload
	v_and_b32_e32 v0, 0xffff0000, v0
	s_waitcnt vmcnt(0)
	v_lshlrev_b32_e32 v1, 16, v1
	v_mul_f32_e32 v1, v9, v1
	v_bfe_u32 v13, v1, 16, 1
	v_or_b32_e32 v14, 0x400000, v1
	v_cmp_u_f32_e32 vcc_lo, v1, v1
	v_add3_u32 v13, v13, v1, 0x7fff
	v_cndmask_b32_e32 v1, v13, v14, vcc_lo
	buffer_load_dword v13, off, s[0:3], s32 offset:284 ; 4-byte Folded Reload
	v_and_b32_e32 v1, 0xffff0000, v1
	v_add_f32_e32 v0, v1, v0
	s_waitcnt vmcnt(0)
	v_lshlrev_b32_e32 v13, 16, v13
	v_mul_f32_e32 v13, v6, v13
	v_bfe_u32 v14, v13, 16, 1
	v_or_b32_e32 v17, 0x400000, v13
	v_cmp_u_f32_e32 vcc_lo, v13, v13
	v_add3_u32 v14, v14, v13, 0x7fff
	v_cndmask_b32_e32 v13, v14, v17, vcc_lo
	buffer_load_dword v14, off, s[0:3], s32 offset:280 ; 4-byte Folded Reload
	v_and_b32_e32 v13, 0xffff0000, v13
	s_waitcnt vmcnt(0)
	v_lshlrev_b32_e32 v14, 16, v14
	v_mul_f32_e32 v14, v7, v14
	v_bfe_u32 v17, v14, 16, 1
	v_or_b32_e32 v18, 0x400000, v14
	v_cmp_u_f32_e32 vcc_lo, v14, v14
	v_add3_u32 v17, v17, v14, 0x7fff
	v_cndmask_b32_e32 v14, v17, v18, vcc_lo
	buffer_load_dword v17, off, s[0:3], s32 offset:276 ; 4-byte Folded Reload
	v_and_b32_e32 v1, 0xffff0000, v14
	v_add_f32_e32 v1, v1, v13
	v_add_f32_e32 v0, v0, v1
	s_waitcnt vmcnt(0)
	v_lshlrev_b32_e32 v17, 16, v17
	v_mul_f32_e32 v17, v4, v17
	v_bfe_u32 v18, v17, 16, 1
	v_or_b32_e32 v25, 0x400000, v17
	v_cmp_u_f32_e32 vcc_lo, v17, v17
	v_add3_u32 v18, v18, v17, 0x7fff
	v_cndmask_b32_e32 v17, v18, v25, vcc_lo
	buffer_load_dword v18, off, s[0:3], s32 offset:272 ; 4-byte Folded Reload
	v_and_b32_e32 v13, 0xffff0000, v17
	s_waitcnt vmcnt(0)
	v_lshlrev_b32_e32 v18, 16, v18
	v_mul_f32_e32 v18, v5, v18
	v_bfe_u32 v25, v18, 16, 1
	v_or_b32_e32 v26, 0x400000, v18
	v_cmp_u_f32_e32 vcc_lo, v18, v18
	v_add3_u32 v25, v25, v18, 0x7fff
	v_cndmask_b32_e32 v18, v25, v26, vcc_lo
	buffer_load_dword v25, off, s[0:3], s32 offset:268 ; 4-byte Folded Reload
	v_and_b32_e32 v1, 0xffff0000, v18
	v_add_f32_e32 v1, v1, v13
	v_add_f32_e32 v0, v0, v1
	s_waitcnt vmcnt(0)
	v_lshlrev_b32_e32 v25, 16, v25
	v_mul_f32_e32 v25, v2, v25
	v_bfe_u32 v26, v25, 16, 1
	v_or_b32_e32 v28, 0x400000, v25
	v_cmp_u_f32_e32 vcc_lo, v25, v25
	v_add3_u32 v26, v26, v25, 0x7fff
	v_cndmask_b32_e32 v25, v26, v28, vcc_lo
	buffer_load_dword v26, off, s[0:3], s32 offset:264 ; 4-byte Folded Reload
	v_and_b32_e32 v13, 0xffff0000, v25
	s_waitcnt vmcnt(0)
	v_lshlrev_b32_e32 v26, 16, v26
	v_mul_f32_e32 v26, v3, v26
	v_bfe_u32 v28, v26, 16, 1
	v_or_b32_e32 v29, 0x400000, v26
	v_cmp_u_f32_e32 vcc_lo, v26, v26
	v_add3_u32 v28, v28, v26, 0x7fff
	v_cndmask_b32_e32 v26, v28, v29, vcc_lo
	v_and_b32_e32 v1, 0xffff0000, v26
	v_add_f32_e32 v1, v1, v13
	v_add_f32_e32 v0, v0, v1
	;; [unrolled: 1-line block ×3, first 2 shown]
	buffer_load_dword v0, off, s[0:3], s32 offset:260 ; 4-byte Folded Reload
	s_waitcnt vmcnt(0)
	v_lshlrev_b32_e32 v0, 16, v0
	v_mul_f32_e32 v0, v8, v0
	v_bfe_u32 v1, v0, 16, 1
	v_or_b32_e32 v13, 0x400000, v0
	v_cmp_u_f32_e32 vcc_lo, v0, v0
	v_add3_u32 v1, v1, v0, 0x7fff
	v_cndmask_b32_e32 v0, v1, v13, vcc_lo
	buffer_load_dword v1, off, s[0:3], s32 offset:256 ; 4-byte Folded Reload
	v_and_b32_e32 v0, 0xffff0000, v0
	s_waitcnt vmcnt(0)
	v_lshlrev_b32_e32 v1, 16, v1
	v_mul_f32_e32 v1, v9, v1
	v_bfe_u32 v13, v1, 16, 1
	v_or_b32_e32 v14, 0x400000, v1
	v_cmp_u_f32_e32 vcc_lo, v1, v1
	v_add3_u32 v13, v13, v1, 0x7fff
	v_cndmask_b32_e32 v1, v13, v14, vcc_lo
	buffer_load_dword v13, off, s[0:3], s32 offset:252 ; 4-byte Folded Reload
	v_and_b32_e32 v1, 0xffff0000, v1
	v_add_f32_e32 v0, v1, v0
	s_waitcnt vmcnt(0)
	v_lshlrev_b32_e32 v13, 16, v13
	v_mul_f32_e32 v13, v6, v13
	v_bfe_u32 v14, v13, 16, 1
	v_or_b32_e32 v17, 0x400000, v13
	v_cmp_u_f32_e32 vcc_lo, v13, v13
	v_add3_u32 v14, v14, v13, 0x7fff
	v_cndmask_b32_e32 v13, v14, v17, vcc_lo
	buffer_load_dword v14, off, s[0:3], s32 offset:248 ; 4-byte Folded Reload
	v_and_b32_e32 v13, 0xffff0000, v13
	s_waitcnt vmcnt(0)
	v_lshlrev_b32_e32 v14, 16, v14
	v_mul_f32_e32 v14, v7, v14
	v_bfe_u32 v17, v14, 16, 1
	v_or_b32_e32 v18, 0x400000, v14
	v_cmp_u_f32_e32 vcc_lo, v14, v14
	v_add3_u32 v17, v17, v14, 0x7fff
	v_cndmask_b32_e32 v14, v17, v18, vcc_lo
	buffer_load_dword v17, off, s[0:3], s32 offset:244 ; 4-byte Folded Reload
	v_and_b32_e32 v1, 0xffff0000, v14
	v_add_f32_e32 v1, v1, v13
	v_add_f32_e32 v0, v0, v1
	s_waitcnt vmcnt(0)
	v_lshlrev_b32_e32 v17, 16, v17
	v_mul_f32_e32 v17, v4, v17
	v_bfe_u32 v18, v17, 16, 1
	v_or_b32_e32 v25, 0x400000, v17
	v_cmp_u_f32_e32 vcc_lo, v17, v17
	v_add3_u32 v18, v18, v17, 0x7fff
	v_cndmask_b32_e32 v17, v18, v25, vcc_lo
	buffer_load_dword v18, off, s[0:3], s32 offset:240 ; 4-byte Folded Reload
	v_and_b32_e32 v13, 0xffff0000, v17
	s_waitcnt vmcnt(0)
	v_lshlrev_b32_e32 v18, 16, v18
	v_mul_f32_e32 v18, v5, v18
	v_bfe_u32 v25, v18, 16, 1
	v_or_b32_e32 v26, 0x400000, v18
	v_cmp_u_f32_e32 vcc_lo, v18, v18
	v_add3_u32 v25, v25, v18, 0x7fff
	v_cndmask_b32_e32 v18, v25, v26, vcc_lo
	buffer_load_dword v25, off, s[0:3], s32 offset:236 ; 4-byte Folded Reload
	v_and_b32_e32 v1, 0xffff0000, v18
	v_add_f32_e32 v1, v1, v13
	v_add_f32_e32 v0, v0, v1
	s_waitcnt vmcnt(0)
	v_lshlrev_b32_e32 v25, 16, v25
	v_mul_f32_e32 v25, v2, v25
	v_bfe_u32 v26, v25, 16, 1
	v_or_b32_e32 v28, 0x400000, v25
	v_cmp_u_f32_e32 vcc_lo, v25, v25
	v_add3_u32 v26, v26, v25, 0x7fff
	v_cndmask_b32_e32 v25, v26, v28, vcc_lo
	buffer_load_dword v26, off, s[0:3], s32 offset:232 ; 4-byte Folded Reload
	v_and_b32_e32 v13, 0xffff0000, v25
	s_waitcnt vmcnt(0)
	v_lshlrev_b32_e32 v26, 16, v26
	v_mul_f32_e32 v26, v3, v26
	v_bfe_u32 v28, v26, 16, 1
	v_or_b32_e32 v29, 0x400000, v26
	v_cmp_u_f32_e32 vcc_lo, v26, v26
	v_add3_u32 v28, v28, v26, 0x7fff
	v_cndmask_b32_e32 v26, v28, v29, vcc_lo
	v_and_b32_e32 v1, 0xffff0000, v26
	v_add_f32_e32 v1, v1, v13
	v_add_f32_e32 v0, v0, v1
	;; [unrolled: 1-line block ×3, first 2 shown]
	buffer_load_dword v0, off, s[0:3], s32 offset:228 ; 4-byte Folded Reload
	s_waitcnt vmcnt(0)
	v_lshlrev_b32_e32 v0, 16, v0
	v_mul_f32_e32 v0, v8, v0
	v_bfe_u32 v1, v0, 16, 1
	v_or_b32_e32 v13, 0x400000, v0
	v_cmp_u_f32_e32 vcc_lo, v0, v0
	v_add3_u32 v1, v1, v0, 0x7fff
	v_cndmask_b32_e32 v0, v1, v13, vcc_lo
	buffer_load_dword v1, off, s[0:3], s32 offset:224 ; 4-byte Folded Reload
	v_and_b32_e32 v0, 0xffff0000, v0
	s_waitcnt vmcnt(0)
	v_lshlrev_b32_e32 v1, 16, v1
	v_mul_f32_e32 v1, v9, v1
	v_bfe_u32 v13, v1, 16, 1
	v_or_b32_e32 v14, 0x400000, v1
	v_cmp_u_f32_e32 vcc_lo, v1, v1
	v_add3_u32 v13, v13, v1, 0x7fff
	v_cndmask_b32_e32 v1, v13, v14, vcc_lo
	buffer_load_dword v13, off, s[0:3], s32 offset:220 ; 4-byte Folded Reload
	v_and_b32_e32 v1, 0xffff0000, v1
	v_add_f32_e32 v0, v1, v0
	s_waitcnt vmcnt(0)
	v_lshlrev_b32_e32 v13, 16, v13
	v_mul_f32_e32 v13, v6, v13
	v_bfe_u32 v14, v13, 16, 1
	v_or_b32_e32 v17, 0x400000, v13
	v_cmp_u_f32_e32 vcc_lo, v13, v13
	v_add3_u32 v14, v14, v13, 0x7fff
	v_cndmask_b32_e32 v13, v14, v17, vcc_lo
	buffer_load_dword v14, off, s[0:3], s32 offset:212 ; 4-byte Folded Reload
	v_and_b32_e32 v13, 0xffff0000, v13
	s_waitcnt vmcnt(0)
	v_lshlrev_b32_e32 v14, 16, v14
	v_mul_f32_e32 v14, v7, v14
	v_bfe_u32 v17, v14, 16, 1
	v_or_b32_e32 v18, 0x400000, v14
	v_cmp_u_f32_e32 vcc_lo, v14, v14
	v_add3_u32 v17, v17, v14, 0x7fff
	v_cndmask_b32_e32 v14, v17, v18, vcc_lo
	buffer_load_dword v17, off, s[0:3], s32 offset:208 ; 4-byte Folded Reload
	v_and_b32_e32 v1, 0xffff0000, v14
	v_add_f32_e32 v1, v1, v13
	v_add_f32_e32 v0, v0, v1
	s_waitcnt vmcnt(0)
	v_lshlrev_b32_e32 v17, 16, v17
	v_mul_f32_e32 v17, v4, v17
	v_bfe_u32 v18, v17, 16, 1
	v_or_b32_e32 v25, 0x400000, v17
	v_cmp_u_f32_e32 vcc_lo, v17, v17
	v_add3_u32 v18, v18, v17, 0x7fff
	v_cndmask_b32_e32 v17, v18, v25, vcc_lo
	buffer_load_dword v18, off, s[0:3], s32 offset:200 ; 4-byte Folded Reload
	v_and_b32_e32 v13, 0xffff0000, v17
	s_waitcnt vmcnt(0)
	v_lshlrev_b32_e32 v18, 16, v18
	v_mul_f32_e32 v18, v5, v18
	v_bfe_u32 v25, v18, 16, 1
	v_or_b32_e32 v26, 0x400000, v18
	v_cmp_u_f32_e32 vcc_lo, v18, v18
	v_add3_u32 v25, v25, v18, 0x7fff
	v_cndmask_b32_e32 v18, v25, v26, vcc_lo
	buffer_load_dword v25, off, s[0:3], s32 offset:204 ; 4-byte Folded Reload
	v_and_b32_e32 v1, 0xffff0000, v18
	v_add_f32_e32 v1, v1, v13
	v_add_f32_e32 v0, v0, v1
	s_waitcnt vmcnt(0)
	v_lshlrev_b32_e32 v25, 16, v25
	v_mul_f32_e32 v25, v2, v25
	v_bfe_u32 v26, v25, 16, 1
	v_or_b32_e32 v28, 0x400000, v25
	v_cmp_u_f32_e32 vcc_lo, v25, v25
	v_add3_u32 v26, v26, v25, 0x7fff
	v_cndmask_b32_e32 v25, v26, v28, vcc_lo
	buffer_load_dword v26, off, s[0:3], s32 offset:196 ; 4-byte Folded Reload
	v_and_b32_e32 v13, 0xffff0000, v25
	s_waitcnt vmcnt(0)
	v_lshlrev_b32_e32 v26, 16, v26
	v_mul_f32_e32 v26, v3, v26
	v_bfe_u32 v28, v26, 16, 1
	v_or_b32_e32 v29, 0x400000, v26
	v_cmp_u_f32_e32 vcc_lo, v26, v26
	v_add3_u32 v28, v28, v26, 0x7fff
	v_cndmask_b32_e32 v26, v28, v29, vcc_lo
	v_and_b32_e32 v1, 0xffff0000, v26
	v_add_f32_e32 v1, v1, v13
	v_add_f32_e32 v0, v0, v1
	v_add_f32_e32 v50, v50, v0
	v_lshlrev_b32_e32 v0, 16, v24
	v_mul_f32_e32 v0, v9, v0
	v_bfe_u32 v1, v0, 16, 1
	v_or_b32_e32 v9, 0x400000, v0
	v_cmp_u_f32_e32 vcc_lo, v0, v0
	v_add3_u32 v1, v1, v0, 0x7fff
	v_cndmask_b32_e32 v0, v1, v9, vcc_lo
	v_lshlrev_b32_e32 v1, 16, v23
	v_and_b32_e32 v0, 0xffff0000, v0
	v_mul_f32_e32 v1, v8, v1
	v_bfe_u32 v8, v1, 16, 1
	v_or_b32_e32 v9, 0x400000, v1
	v_cmp_u_f32_e32 vcc_lo, v1, v1
	v_add3_u32 v8, v8, v1, 0x7fff
	v_cndmask_b32_e32 v1, v8, v9, vcc_lo
	v_lshlrev_b32_e32 v8, 16, v21
	v_and_b32_e32 v1, 0xffff0000, v1
	v_mul_f32_e32 v7, v7, v8
	v_add_f32_e32 v0, v0, v1
	v_bfe_u32 v8, v7, 16, 1
	v_or_b32_e32 v9, 0x400000, v7
	v_cmp_u_f32_e32 vcc_lo, v7, v7
	v_add3_u32 v8, v8, v7, 0x7fff
	v_cndmask_b32_e32 v7, v8, v9, vcc_lo
	v_lshlrev_b32_e32 v8, 16, v19
	v_mul_f32_e32 v6, v6, v8
	v_bfe_u32 v8, v6, 16, 1
	v_or_b32_e32 v9, 0x400000, v6
	v_cmp_u_f32_e32 vcc_lo, v6, v6
	v_add3_u32 v8, v8, v6, 0x7fff
	v_cndmask_b32_e32 v6, v8, v9, vcc_lo
	v_lshlrev_b32_e32 v8, 16, v11
	v_and_b32_e32 v1, 0xffff0000, v6
	v_mul_f32_e32 v5, v5, v8
	v_and_b32_e32 v6, 0xffff0000, v7
	v_bfe_u32 v8, v5, 16, 1
	v_or_b32_e32 v9, 0x400000, v5
	v_cmp_u_f32_e32 vcc_lo, v5, v5
	v_add_f32_e32 v1, v6, v1
	v_add3_u32 v8, v8, v5, 0x7fff
	v_add_f32_e32 v0, v0, v1
	v_cndmask_b32_e32 v5, v8, v9, vcc_lo
	v_lshlrev_b32_e32 v8, 16, v10
	v_mul_f32_e32 v4, v4, v8
	v_bfe_u32 v8, v4, 16, 1
	v_or_b32_e32 v9, 0x400000, v4
	v_cmp_u_f32_e32 vcc_lo, v4, v4
	v_add3_u32 v8, v8, v4, 0x7fff
	v_cndmask_b32_e32 v4, v8, v9, vcc_lo
	v_lshlrev_b32_e32 v8, 16, v20
	v_and_b32_e32 v1, 0xffff0000, v4
	v_mul_f32_e32 v3, v3, v8
	v_and_b32_e32 v4, 0xffff0000, v5
	v_bfe_u32 v8, v3, 16, 1
	v_or_b32_e32 v9, 0x400000, v3
	v_cmp_u_f32_e32 vcc_lo, v3, v3
	v_add_f32_e32 v1, v4, v1
	v_add3_u32 v8, v8, v3, 0x7fff
	v_add_f32_e32 v0, v0, v1
	v_cndmask_b32_e32 v3, v8, v9, vcc_lo
	v_lshlrev_b32_e32 v8, 16, v22
	v_mul_f32_e32 v2, v2, v8
	v_bfe_u32 v8, v2, 16, 1
	v_or_b32_e32 v9, 0x400000, v2
	v_cmp_u_f32_e32 vcc_lo, v2, v2
	v_add3_u32 v8, v8, v2, 0x7fff
	v_cndmask_b32_e32 v2, v8, v9, vcc_lo
	v_add_co_u32 v15, vcc_lo, v15, 16
	v_add_co_ci_u32_e64 v16, null, 0, v16, vcc_lo
	v_and_b32_e32 v1, 0xffff0000, v2
	v_and_b32_e32 v2, 0xffff0000, v3
	v_add_f32_e32 v1, v2, v1
	v_add_f32_e32 v0, v0, v1
	;; [unrolled: 1-line block ×3, first 2 shown]
	buffer_load_dword v0, off, s[0:3], s32 offset:192 ; 4-byte Folded Reload
	s_waitcnt vmcnt(0)
	v_cmp_ge_i32_e32 vcc_lo, v70, v0
	s_or_b32 s9, vcc_lo, s9
	s_andn2_b32 exec_lo, exec_lo, s9
	s_cbranch_execz .LBB364_1848
.LBB364_924:                            ; =>This Inner Loop Header: Depth=1
	flat_load_dword v0, v[15:16]
	s_clause 0x2
	buffer_load_dword v1, off, s[0:3], s32 offset:312
	buffer_load_dword v2, off, s[0:3], s32 offset:316
	;; [unrolled: 1-line block ×3, first 2 shown]
	s_waitcnt vmcnt(0) lgkmcnt(0)
	v_mad_i64_i32 v[19:20], null, v0, v1, v[2:3]
	v_mov_b32_e32 v0, 0
	flat_load_dwordx2 v[21:22], v[19:20]
	ds_read2_b64 v[6:9], v64 offset1:1
	ds_read2_b64 v[2:5], v64 offset0:2 offset1:3
	s_waitcnt vmcnt(0) lgkmcnt(2)
	v_cmp_ne_u16_sdwa s15, v21, v12 src0_sel:BYTE_0 src1_sel:DWORD
	s_and_saveexec_b32 s4, s15
	s_cbranch_execz .LBB364_932
; %bb.925:                              ;   in Loop: Header=BB364_924 Depth=1
	v_cmp_ne_u16_sdwa s18, v21, v65 src0_sel:BYTE_0 src1_sel:DWORD
	v_bfrev_b32_e32 v0, 1
	s_and_saveexec_b32 s15, s18
	s_cbranch_execz .LBB364_931
; %bb.926:                              ;   in Loop: Header=BB364_924 Depth=1
	v_and_b32_e32 v1, 0x7f, v21
	v_mov_b32_e32 v0, 0x7f800001
	s_mov_b32 s18, exec_lo
	v_cmpx_ne_u32_e32 0x7f, v1
	s_cbranch_execz .LBB364_930
; %bb.927:                              ;   in Loop: Header=BB364_924 Depth=1
	v_lshrrev_b32_e32 v0, 3, v1
	v_mov_b32_e32 v10, v21
	s_mov_b32 s19, exec_lo
	v_mov_b32_e32 v11, v22
	v_cmpx_gt_u32_e32 8, v1
; %bb.928:                              ;   in Loop: Header=BB364_924 Depth=1
	v_and_b32_e32 v0, 7, v21
	v_ffbh_u32_e32 v0, v0
	v_min_u32_e32 v0, 32, v0
	v_subrev_nc_u32_e32 v1, 28, v0
	v_sub_nc_u32_e32 v0, 29, v0
	v_lshlrev_b64 v[10:11], v1, v[21:22]
; %bb.929:                              ;   in Loop: Header=BB364_924 Depth=1
	s_or_b32 exec_lo, exec_lo, s19
	v_lshlrev_b32_e32 v1, 20, v10
	v_lshlrev_b32_e32 v10, 24, v21
	v_lshl_add_u32 v0, v0, 23, 0x3c000000
	v_and_b32_e32 v1, 0x700000, v1
	v_and_b32_e32 v10, 0x80000000, v10
	v_or3_b32 v0, v1, v10, v0
.LBB364_930:                            ;   in Loop: Header=BB364_924 Depth=1
	s_or_b32 exec_lo, exec_lo, s18
.LBB364_931:                            ;   in Loop: Header=BB364_924 Depth=1
	s_or_b32 exec_lo, exec_lo, s15
.LBB364_932:                            ;   in Loop: Header=BB364_924 Depth=1
	s_or_b32 exec_lo, exec_lo, s4
	v_cmp_ne_u16_sdwa s15, v21, v12 src0_sel:BYTE_1 src1_sel:DWORD
	v_mov_b32_e32 v10, 0
	v_mov_b32_e32 v1, 0
	s_and_saveexec_b32 s4, s15
	s_cbranch_execz .LBB364_940
; %bb.933:                              ;   in Loop: Header=BB364_924 Depth=1
	v_cmp_ne_u16_sdwa s18, v21, v65 src0_sel:BYTE_1 src1_sel:DWORD
	v_bfrev_b32_e32 v1, 1
	s_and_saveexec_b32 s15, s18
	s_cbranch_execz .LBB364_939
; %bb.934:                              ;   in Loop: Header=BB364_924 Depth=1
	v_mov_b32_e32 v1, 0xffff
	s_mov_b32 s18, exec_lo
	v_and_b32_sdwa v11, v1, v21 dst_sel:DWORD dst_unused:UNUSED_PAD src0_sel:DWORD src1_sel:BYTE_1
	v_mov_b32_e32 v1, 0x7f800001
	v_and_b32_e32 v13, 0x7f, v11
	v_cmpx_ne_u32_e32 0x7f, v13
	s_cbranch_execz .LBB364_938
; %bb.935:                              ;   in Loop: Header=BB364_924 Depth=1
	v_and_b32_e32 v11, 7, v11
	v_mov_b32_e32 v24, v12
	v_lshrrev_b32_e32 v1, 3, v13
	s_mov_b32 s19, exec_lo
	v_mov_b32_e32 v23, v11
	v_cmpx_gt_u32_e32 8, v13
; %bb.936:                              ;   in Loop: Header=BB364_924 Depth=1
	v_ffbh_u32_e32 v1, v11
	v_min_u32_e32 v1, 32, v1
	v_subrev_nc_u32_e32 v13, 28, v1
	v_sub_nc_u32_e32 v1, 29, v1
	v_lshlrev_b64 v[13:14], v13, v[11:12]
	v_and_b32_e32 v23, 7, v13
; %bb.937:                              ;   in Loop: Header=BB364_924 Depth=1
	s_or_b32 exec_lo, exec_lo, s19
	v_lshlrev_b32_e32 v11, 16, v21
	v_lshlrev_b32_e32 v13, 20, v23
	v_lshl_add_u32 v1, v1, 23, 0x3c000000
	v_and_b32_e32 v11, 0x80000000, v11
	v_or3_b32 v1, v13, v11, v1
.LBB364_938:                            ;   in Loop: Header=BB364_924 Depth=1
	s_or_b32 exec_lo, exec_lo, s18
.LBB364_939:                            ;   in Loop: Header=BB364_924 Depth=1
	s_or_b32 exec_lo, exec_lo, s15
.LBB364_940:                            ;   in Loop: Header=BB364_924 Depth=1
	s_or_b32 exec_lo, exec_lo, s4
	v_and_b32_sdwa v11, v21, v67 dst_sel:DWORD dst_unused:UNUSED_PAD src0_sel:WORD_1 src1_sel:DWORD
	s_mov_b32 s4, exec_lo
	v_cmpx_ne_u16_e32 0, v11
	s_cbranch_execz .LBB364_948
; %bb.941:                              ;   in Loop: Header=BB364_924 Depth=1
	v_bfrev_b32_e32 v10, 1
	s_mov_b32 s15, exec_lo
	v_cmpx_ne_u16_e32 0x80, v11
	s_cbranch_execz .LBB364_947
; %bb.942:                              ;   in Loop: Header=BB364_924 Depth=1
	v_bfe_u32 v13, v21, 16, 7
	v_mov_b32_e32 v10, 0x7f800001
	s_mov_b32 s18, exec_lo
	v_cmpx_ne_u32_e32 0x7f, v13
	s_cbranch_execz .LBB364_946
; %bb.943:                              ;   in Loop: Header=BB364_924 Depth=1
	v_mov_b32_e32 v10, 7
	s_mov_b32 s19, exec_lo
	v_and_b32_sdwa v11, v21, v10 dst_sel:DWORD dst_unused:UNUSED_PAD src0_sel:WORD_1 src1_sel:DWORD
	v_mov_b32_e32 v24, v12
	v_lshrrev_b32_e32 v10, 3, v13
	v_mov_b32_e32 v23, v11
	v_cmpx_gt_u32_e32 8, v13
; %bb.944:                              ;   in Loop: Header=BB364_924 Depth=1
	v_ffbh_u32_e32 v10, v11
	v_min_u32_e32 v10, 32, v10
	v_subrev_nc_u32_e32 v13, 28, v10
	v_sub_nc_u32_e32 v10, 29, v10
	v_lshlrev_b64 v[13:14], v13, v[11:12]
	v_and_b32_e32 v23, 7, v13
; %bb.945:                              ;   in Loop: Header=BB364_924 Depth=1
	s_or_b32 exec_lo, exec_lo, s19
	v_mov_b32_e32 v11, 24
	v_lshlrev_b32_e32 v13, 20, v23
	v_lshl_add_u32 v10, v10, 23, 0x3c000000
	v_lshlrev_b32_sdwa v11, v11, v21 dst_sel:DWORD dst_unused:UNUSED_PAD src0_sel:DWORD src1_sel:WORD_1
	v_and_b32_e32 v11, 0x80000000, v11
	v_or3_b32 v10, v13, v11, v10
.LBB364_946:                            ;   in Loop: Header=BB364_924 Depth=1
	s_or_b32 exec_lo, exec_lo, s18
.LBB364_947:                            ;   in Loop: Header=BB364_924 Depth=1
	s_or_b32 exec_lo, exec_lo, s15
.LBB364_948:                            ;   in Loop: Header=BB364_924 Depth=1
	s_or_b32 exec_lo, exec_lo, s4
	v_mov_b32_e32 v14, 0
	v_mov_b32_e32 v13, 0
	s_mov_b32 s4, exec_lo
	v_cmpx_lt_u32_e32 0xffffff, v21
	s_cbranch_execz .LBB364_956
; %bb.949:                              ;   in Loop: Header=BB364_924 Depth=1
	v_cmp_ne_u32_sdwa s18, v21, v65 src0_sel:BYTE_3 src1_sel:DWORD
	v_bfrev_b32_e32 v13, 1
	s_and_saveexec_b32 s15, s18
	s_cbranch_execz .LBB364_955
; %bb.950:                              ;   in Loop: Header=BB364_924 Depth=1
	v_bfe_u32 v17, v21, 24, 7
	v_mov_b32_e32 v13, 0x7f800001
	s_mov_b32 s18, exec_lo
	v_cmpx_ne_u32_e32 0x7f, v17
	s_cbranch_execz .LBB364_954
; %bb.951:                              ;   in Loop: Header=BB364_924 Depth=1
	v_mov_b32_e32 v11, 7
	v_lshrrev_b32_e32 v13, 3, v17
	s_mov_b32 s19, exec_lo
	v_and_b32_sdwa v11, v21, v11 dst_sel:DWORD dst_unused:UNUSED_PAD src0_sel:BYTE_3 src1_sel:DWORD
	v_mov_b32_e32 v24, v12
	v_mov_b32_e32 v23, v11
	v_cmpx_gt_u32_e32 8, v17
; %bb.952:                              ;   in Loop: Header=BB364_924 Depth=1
	v_ffbh_u32_e32 v13, v11
	v_min_u32_e32 v13, 32, v13
	v_subrev_nc_u32_e32 v17, 28, v13
	v_sub_nc_u32_e32 v13, 29, v13
	v_lshlrev_b64 v[17:18], v17, v[11:12]
	v_and_b32_e32 v23, 7, v17
; %bb.953:                              ;   in Loop: Header=BB364_924 Depth=1
	s_or_b32 exec_lo, exec_lo, s19
	v_mov_b32_e32 v11, 24
	v_lshlrev_b32_e32 v17, 20, v23
	v_lshl_add_u32 v13, v13, 23, 0x3c000000
	v_lshlrev_b32_sdwa v11, v11, v21 dst_sel:DWORD dst_unused:UNUSED_PAD src0_sel:DWORD src1_sel:BYTE_3
	v_and_b32_e32 v11, 0x80000000, v11
	v_or3_b32 v13, v17, v11, v13
.LBB364_954:                            ;   in Loop: Header=BB364_924 Depth=1
	s_or_b32 exec_lo, exec_lo, s18
.LBB364_955:                            ;   in Loop: Header=BB364_924 Depth=1
	s_or_b32 exec_lo, exec_lo, s15
.LBB364_956:                            ;   in Loop: Header=BB364_924 Depth=1
	s_or_b32 exec_lo, exec_lo, s4
	v_mov_b32_e32 v11, v22
	v_cmp_ne_u16_sdwa s15, v22, v12 src0_sel:BYTE_0 src1_sel:DWORD
	s_and_saveexec_b32 s4, s15
	s_cbranch_execz .LBB364_964
; %bb.957:                              ;   in Loop: Header=BB364_924 Depth=1
	v_cmp_ne_u16_sdwa s18, v22, v65 src0_sel:BYTE_0 src1_sel:DWORD
	v_bfrev_b32_e32 v14, 1
	s_and_saveexec_b32 s15, s18
	s_cbranch_execz .LBB364_963
; %bb.958:                              ;   in Loop: Header=BB364_924 Depth=1
	v_and_b32_e32 v17, 0x7f, v22
	v_mov_b32_e32 v14, 0x7f800001
	s_mov_b32 s18, exec_lo
	v_cmpx_ne_u32_e32 0x7f, v17
	s_cbranch_execz .LBB364_962
; %bb.959:                              ;   in Loop: Header=BB364_924 Depth=1
	v_mov_b32_e32 v24, v12
	v_lshrrev_b32_e32 v14, 3, v17
	v_mov_b32_e32 v23, v11
	s_mov_b32 s19, exec_lo
	v_cmpx_gt_u32_e32 8, v17
; %bb.960:                              ;   in Loop: Header=BB364_924 Depth=1
	v_and_b32_e32 v14, 7, v22
	v_ffbh_u32_e32 v14, v14
	v_min_u32_e32 v14, 32, v14
	v_subrev_nc_u32_e32 v17, 28, v14
	v_sub_nc_u32_e32 v14, 29, v14
	v_lshlrev_b64 v[23:24], v17, v[11:12]
; %bb.961:                              ;   in Loop: Header=BB364_924 Depth=1
	s_or_b32 exec_lo, exec_lo, s19
	v_lshlrev_b32_e32 v17, 20, v23
	v_lshlrev_b32_e32 v18, 24, v11
	v_lshl_add_u32 v14, v14, 23, 0x3c000000
	v_and_b32_e32 v17, 0x700000, v17
	v_and_b32_e32 v18, 0x80000000, v18
	v_or3_b32 v14, v17, v18, v14
.LBB364_962:                            ;   in Loop: Header=BB364_924 Depth=1
	s_or_b32 exec_lo, exec_lo, s18
.LBB364_963:                            ;   in Loop: Header=BB364_924 Depth=1
	s_or_b32 exec_lo, exec_lo, s15
.LBB364_964:                            ;   in Loop: Header=BB364_924 Depth=1
	s_or_b32 exec_lo, exec_lo, s4
	v_cmp_ne_u16_sdwa s15, v11, v12 src0_sel:BYTE_1 src1_sel:DWORD
	v_mov_b32_e32 v17, 0
	v_mov_b32_e32 v18, 0
	s_and_saveexec_b32 s4, s15
	s_cbranch_execz .LBB364_972
; %bb.965:                              ;   in Loop: Header=BB364_924 Depth=1
	v_cmp_ne_u16_sdwa s18, v11, v65 src0_sel:BYTE_1 src1_sel:DWORD
	v_bfrev_b32_e32 v18, 1
	s_and_saveexec_b32 s15, s18
	s_cbranch_execz .LBB364_971
; %bb.966:                              ;   in Loop: Header=BB364_924 Depth=1
	v_mov_b32_e32 v18, 0xffff
	s_mov_b32 s18, exec_lo
	v_and_b32_sdwa v23, v18, v11 dst_sel:DWORD dst_unused:UNUSED_PAD src0_sel:DWORD src1_sel:BYTE_1
	v_mov_b32_e32 v18, 0x7f800001
	v_and_b32_e32 v25, 0x7f, v23
	v_cmpx_ne_u32_e32 0x7f, v25
	s_cbranch_execz .LBB364_970
; %bb.967:                              ;   in Loop: Header=BB364_924 Depth=1
	v_and_b32_e32 v23, 7, v23
	v_mov_b32_e32 v24, v12
	v_lshrrev_b32_e32 v18, 3, v25
	s_mov_b32 s19, exec_lo
	v_cmpx_gt_u32_e32 8, v25
; %bb.968:                              ;   in Loop: Header=BB364_924 Depth=1
	v_ffbh_u32_e32 v18, v23
	v_min_u32_e32 v18, 32, v18
	v_subrev_nc_u32_e32 v25, 28, v18
	v_sub_nc_u32_e32 v18, 29, v18
	v_lshlrev_b64 v[23:24], v25, v[23:24]
	v_and_b32_e32 v23, 7, v23
; %bb.969:                              ;   in Loop: Header=BB364_924 Depth=1
	s_or_b32 exec_lo, exec_lo, s19
	v_lshlrev_b32_e32 v11, 16, v11
	v_lshlrev_b32_e32 v23, 20, v23
	v_lshl_add_u32 v18, v18, 23, 0x3c000000
	v_and_b32_e32 v11, 0x80000000, v11
	v_or3_b32 v18, v23, v11, v18
.LBB364_970:                            ;   in Loop: Header=BB364_924 Depth=1
	s_or_b32 exec_lo, exec_lo, s18
.LBB364_971:                            ;   in Loop: Header=BB364_924 Depth=1
	s_or_b32 exec_lo, exec_lo, s15
.LBB364_972:                            ;   in Loop: Header=BB364_924 Depth=1
	s_or_b32 exec_lo, exec_lo, s4
	v_and_b32_sdwa v11, v22, v67 dst_sel:DWORD dst_unused:UNUSED_PAD src0_sel:WORD_1 src1_sel:DWORD
	s_mov_b32 s4, exec_lo
	v_cmpx_ne_u16_e32 0, v11
	s_cbranch_execz .LBB364_980
; %bb.973:                              ;   in Loop: Header=BB364_924 Depth=1
	v_bfrev_b32_e32 v17, 1
	s_mov_b32 s15, exec_lo
	v_cmpx_ne_u16_e32 0x80, v11
	s_cbranch_execz .LBB364_979
; %bb.974:                              ;   in Loop: Header=BB364_924 Depth=1
	v_bfe_u32 v23, v22, 16, 7
	v_mov_b32_e32 v17, 0x7f800001
	s_mov_b32 s18, exec_lo
	v_cmpx_ne_u32_e32 0x7f, v23
	s_cbranch_execz .LBB364_978
; %bb.975:                              ;   in Loop: Header=BB364_924 Depth=1
	v_mov_b32_e32 v11, 7
	v_lshrrev_b32_e32 v17, 3, v23
	v_cmp_gt_u32_e32 vcc_lo, 8, v23
	v_and_b32_sdwa v11, v22, v11 dst_sel:DWORD dst_unused:UNUSED_PAD src0_sel:WORD_1 src1_sel:DWORD
	v_mov_b32_e32 v24, v12
	v_mov_b32_e32 v23, v11
	s_and_saveexec_b32 s19, vcc_lo
; %bb.976:                              ;   in Loop: Header=BB364_924 Depth=1
	v_ffbh_u32_e32 v17, v11
	v_min_u32_e32 v17, 32, v17
	v_subrev_nc_u32_e32 v23, 28, v17
	v_sub_nc_u32_e32 v17, 29, v17
	v_lshlrev_b64 v[23:24], v23, v[11:12]
	v_and_b32_e32 v23, 7, v23
; %bb.977:                              ;   in Loop: Header=BB364_924 Depth=1
	s_or_b32 exec_lo, exec_lo, s19
	v_mov_b32_e32 v11, 24
	v_lshlrev_b32_e32 v23, 20, v23
	v_lshl_add_u32 v17, v17, 23, 0x3c000000
	v_lshlrev_b32_sdwa v11, v11, v22 dst_sel:DWORD dst_unused:UNUSED_PAD src0_sel:DWORD src1_sel:WORD_1
	v_and_b32_e32 v11, 0x80000000, v11
	v_or3_b32 v17, v23, v11, v17
.LBB364_978:                            ;   in Loop: Header=BB364_924 Depth=1
	s_or_b32 exec_lo, exec_lo, s18
.LBB364_979:                            ;   in Loop: Header=BB364_924 Depth=1
	s_or_b32 exec_lo, exec_lo, s15
.LBB364_980:                            ;   in Loop: Header=BB364_924 Depth=1
	s_or_b32 exec_lo, exec_lo, s4
	v_mov_b32_e32 v11, 0
	s_mov_b32 s4, exec_lo
	v_cmpx_lt_u64_e64 s[6:7], v[21:22]
	s_cbranch_execz .LBB364_988
; %bb.981:                              ;   in Loop: Header=BB364_924 Depth=1
	v_cmp_ne_u32_sdwa s18, v22, v65 src0_sel:BYTE_3 src1_sel:DWORD
	v_bfrev_b32_e32 v11, 1
	s_and_saveexec_b32 s15, s18
	s_cbranch_execz .LBB364_987
; %bb.982:                              ;   in Loop: Header=BB364_924 Depth=1
	v_bfe_u32 v23, v22, 24, 7
	v_mov_b32_e32 v11, 0x7f800001
	s_mov_b32 s18, exec_lo
	v_cmpx_ne_u32_e32 0x7f, v23
	s_cbranch_execz .LBB364_986
; %bb.983:                              ;   in Loop: Header=BB364_924 Depth=1
	v_mov_b32_e32 v11, 7
	v_lshrrev_b32_e32 v21, 3, v23
	v_cmp_gt_u32_e32 vcc_lo, 8, v23
	v_and_b32_sdwa v11, v22, v11 dst_sel:DWORD dst_unused:UNUSED_PAD src0_sel:BYTE_3 src1_sel:DWORD
	v_mov_b32_e32 v24, v12
	v_mov_b32_e32 v23, v11
	s_and_saveexec_b32 s19, vcc_lo
; %bb.984:                              ;   in Loop: Header=BB364_924 Depth=1
	v_ffbh_u32_e32 v21, v11
	v_min_u32_e32 v21, 32, v21
	v_subrev_nc_u32_e32 v23, 28, v21
	v_sub_nc_u32_e32 v21, 29, v21
	v_lshlrev_b64 v[23:24], v23, v[11:12]
	v_and_b32_e32 v23, 7, v23
; %bb.985:                              ;   in Loop: Header=BB364_924 Depth=1
	s_or_b32 exec_lo, exec_lo, s19
	v_mov_b32_e32 v11, 24
	v_lshl_add_u32 v21, v21, 23, 0x3c000000
	v_lshlrev_b32_sdwa v11, v11, v22 dst_sel:DWORD dst_unused:UNUSED_PAD src0_sel:DWORD src1_sel:BYTE_3
	v_lshlrev_b32_e32 v22, 20, v23
	v_and_b32_e32 v11, 0x80000000, v11
	v_or3_b32 v11, v22, v11, v21
.LBB364_986:                            ;   in Loop: Header=BB364_924 Depth=1
	s_or_b32 exec_lo, exec_lo, s18
.LBB364_987:                            ;   in Loop: Header=BB364_924 Depth=1
	s_or_b32 exec_lo, exec_lo, s15
.LBB364_988:                            ;   in Loop: Header=BB364_924 Depth=1
	s_or_b32 exec_lo, exec_lo, s4
	buffer_load_dword v21, off, s[0:3], s32 offset:192 ; 4-byte Folded Reload
	v_mul_f32_e32 v18, v54, v18
	v_mul_f32_e32 v14, v54, v14
	;; [unrolled: 1-line block ×5, first 2 shown]
	v_or_b32_e32 v22, 0x400000, v18
	v_bfe_u32 v23, v14, 16, 1
	v_cmp_u_f32_e64 s4, v18, v18
	v_or_b32_e32 v24, 0x400000, v14
	v_bfe_u32 v25, v13, 16, 1
	v_or_b32_e32 v26, 0x400000, v13
	v_add3_u32 v23, v23, v14, 0x7fff
	v_mul_f32_e32 v0, v54, v0
	v_mul_f32_e32 v11, v54, v11
	v_add_nc_u32_e32 v47, -7, v55
	v_add_nc_u32_e32 v61, -6, v55
	;; [unrolled: 1-line block ×7, first 2 shown]
	s_waitcnt vmcnt(0)
	v_add_nc_u32_e32 v21, -1, v21
	v_cmp_eq_u32_e32 vcc_lo, v21, v70
	v_bfe_u32 v21, v18, 16, 1
	v_add3_u32 v21, v21, v18, 0x7fff
	v_cndmask_b32_e64 v18, v21, v22, s4
	v_cmp_u_f32_e64 s4, v14, v14
	v_add3_u32 v22, v25, v13, 0x7fff
	v_bfe_u32 v21, v10, 16, 1
	v_lshrrev_b32_e32 v18, 16, v18
	v_cndmask_b32_e64 v14, v23, v24, s4
	v_cmp_u_f32_e64 s4, v13, v13
	v_or_b32_e32 v23, 0x400000, v11
	buffer_store_dword v18, off, s[0:3], s32 offset:208 ; 4-byte Folded Spill
	v_add3_u32 v18, v21, v10, 0x7fff
	v_cndmask_b32_e64 v13, v22, v26, s4
	v_or_b32_e32 v21, 0x400000, v10
	v_lshrrev_b32_e32 v14, 16, v14
	v_cmp_u_f32_e64 s4, v10, v10
	v_lshrrev_b32_e32 v13, 16, v13
	buffer_store_dword v14, off, s[0:3], s32 offset:200 ; 4-byte Folded Spill
	v_cndmask_b32_e64 v10, v18, v21, s4
	v_mul_f32_e32 v14, v54, v17
	buffer_store_dword v13, off, s[0:3], s32 offset:220 ; 4-byte Folded Spill
	v_bfe_u32 v13, v1, 16, 1
	v_or_b32_e32 v17, 0x400000, v1
	v_bfe_u32 v18, v0, 16, 1
	v_cmp_u_f32_e64 s4, v1, v1
	v_bfe_u32 v21, v14, 16, 1
	v_add3_u32 v13, v13, v1, 0x7fff
	v_or_b32_e32 v22, 0x400000, v14
	v_lshrrev_b32_e32 v10, 16, v10
	v_add3_u32 v21, v21, v14, 0x7fff
	v_cndmask_b32_e64 v1, v13, v17, s4
	v_add3_u32 v17, v18, v0, 0x7fff
	v_or_b32_e32 v18, 0x400000, v0
	v_cmp_u_f32_e64 s4, v0, v0
	v_bfe_u32 v13, v11, 16, 1
	v_lshrrev_b32_e32 v1, 16, v1
	buffer_store_dword v10, off, s[0:3], s32 offset:212 ; 4-byte Folded Spill
	v_cndmask_b32_e64 v0, v17, v18, s4
	v_cmp_u_f32_e64 s4, v14, v14
	v_add3_u32 v13, v13, v11, 0x7fff
	buffer_store_dword v1, off, s[0:3], s32 offset:228 ; 4-byte Folded Spill
	v_lshrrev_b32_e32 v0, 16, v0
	v_cndmask_b32_e64 v14, v21, v22, s4
	v_cmp_u_f32_e64 s4, v11, v11
	buffer_store_dword v0, off, s[0:3], s32 offset:224 ; 4-byte Folded Spill
	v_lshrrev_b32_e32 v0, 16, v14
	v_cndmask_b32_e64 v11, v13, v23, s4
	buffer_store_dword v0, off, s[0:3], s32 offset:196 ; 4-byte Folded Spill
	v_lshrrev_b32_e32 v0, 16, v11
	buffer_store_dword v0, off, s[0:3], s32 offset:204 ; 4-byte Folded Spill
	s_and_saveexec_b32 s15, vcc_lo
	s_cbranch_execz .LBB364_990
; %bb.989:                              ;   in Loop: Header=BB364_924 Depth=1
	buffer_load_dword v0, off, s[0:3], s32 offset:224 ; 4-byte Folded Reload
	v_cmp_lt_i32_e64 s4, v47, v30
	s_waitcnt vmcnt(0)
	v_cndmask_b32_e64 v0, 0, v0, s4
	v_cmp_lt_i32_e64 s4, v61, v30
	buffer_store_dword v0, off, s[0:3], s32 offset:224 ; 4-byte Folded Spill
	buffer_load_dword v0, off, s[0:3], s32 offset:228 ; 4-byte Folded Reload
	s_waitcnt vmcnt(0)
	v_cndmask_b32_e64 v0, 0, v0, s4
	v_cmp_lt_i32_e64 s4, v60, v30
	buffer_store_dword v0, off, s[0:3], s32 offset:228 ; 4-byte Folded Spill
	buffer_load_dword v0, off, s[0:3], s32 offset:212 ; 4-byte Folded Reload
	;; [unrolled: 5-line block ×7, first 2 shown]
	s_waitcnt vmcnt(0)
	v_cndmask_b32_e64 v0, 0, v0, s4
	buffer_store_dword v0, off, s[0:3], s32 offset:204 ; 4-byte Folded Spill
.LBB364_990:                            ;   in Loop: Header=BB364_924 Depth=1
	s_or_b32 exec_lo, exec_lo, s15
	flat_load_dwordx2 v[21:22], v[19:20] offset:256
	v_mov_b32_e32 v1, 0
	v_mov_b32_e32 v0, 0
	s_waitcnt vmcnt(0) lgkmcnt(0)
	v_cmp_ne_u16_sdwa s4, v21, v12 src0_sel:BYTE_0 src1_sel:DWORD
	s_and_saveexec_b32 s15, s4
	s_cbranch_execz .LBB364_998
; %bb.991:                              ;   in Loop: Header=BB364_924 Depth=1
	v_cmp_ne_u16_sdwa s4, v21, v65 src0_sel:BYTE_0 src1_sel:DWORD
	v_bfrev_b32_e32 v0, 1
	s_and_saveexec_b32 s18, s4
	s_cbranch_execz .LBB364_997
; %bb.992:                              ;   in Loop: Header=BB364_924 Depth=1
	v_and_b32_e32 v10, 0x7f, v21
	v_mov_b32_e32 v0, 0x7f800001
	s_mov_b32 s19, exec_lo
	v_cmpx_ne_u32_e32 0x7f, v10
	s_cbranch_execz .LBB364_996
; %bb.993:                              ;   in Loop: Header=BB364_924 Depth=1
	v_lshrrev_b32_e32 v0, 3, v10
	v_cmp_gt_u32_e64 s4, 8, v10
	v_mov_b32_e32 v10, v21
	v_mov_b32_e32 v11, v22
	s_and_saveexec_b32 s20, s4
; %bb.994:                              ;   in Loop: Header=BB364_924 Depth=1
	v_and_b32_e32 v0, 7, v21
	v_ffbh_u32_e32 v0, v0
	v_min_u32_e32 v0, 32, v0
	v_subrev_nc_u32_e32 v10, 28, v0
	v_sub_nc_u32_e32 v0, 29, v0
	v_lshlrev_b64 v[10:11], v10, v[21:22]
; %bb.995:                              ;   in Loop: Header=BB364_924 Depth=1
	s_or_b32 exec_lo, exec_lo, s20
	v_lshlrev_b32_e32 v10, 20, v10
	v_lshlrev_b32_e32 v11, 24, v21
	v_lshl_add_u32 v0, v0, 23, 0x3c000000
	v_and_b32_e32 v10, 0x700000, v10
	v_and_b32_e32 v11, 0x80000000, v11
	v_or3_b32 v0, v10, v11, v0
.LBB364_996:                            ;   in Loop: Header=BB364_924 Depth=1
	s_or_b32 exec_lo, exec_lo, s19
.LBB364_997:                            ;   in Loop: Header=BB364_924 Depth=1
	s_or_b32 exec_lo, exec_lo, s18
.LBB364_998:                            ;   in Loop: Header=BB364_924 Depth=1
	s_or_b32 exec_lo, exec_lo, s15
	v_cmp_ne_u16_sdwa s4, v21, v12 src0_sel:BYTE_1 src1_sel:DWORD
	s_and_saveexec_b32 s15, s4
	s_cbranch_execz .LBB364_1006
; %bb.999:                              ;   in Loop: Header=BB364_924 Depth=1
	v_cmp_ne_u16_sdwa s4, v21, v65 src0_sel:BYTE_1 src1_sel:DWORD
	v_bfrev_b32_e32 v1, 1
	s_and_saveexec_b32 s18, s4
	s_cbranch_execz .LBB364_1005
; %bb.1000:                             ;   in Loop: Header=BB364_924 Depth=1
	v_mov_b32_e32 v1, 0xffff
	s_mov_b32 s19, exec_lo
	v_and_b32_sdwa v11, v1, v21 dst_sel:DWORD dst_unused:UNUSED_PAD src0_sel:DWORD src1_sel:BYTE_1
	v_mov_b32_e32 v1, 0x7f800001
	v_and_b32_e32 v10, 0x7f, v11
	v_cmpx_ne_u32_e32 0x7f, v10
	s_cbranch_execz .LBB364_1004
; %bb.1001:                             ;   in Loop: Header=BB364_924 Depth=1
	v_and_b32_e32 v11, 7, v11
	v_mov_b32_e32 v24, v12
	v_lshrrev_b32_e32 v1, 3, v10
	s_mov_b32 s20, exec_lo
	v_mov_b32_e32 v23, v11
	v_cmpx_gt_u32_e32 8, v10
; %bb.1002:                             ;   in Loop: Header=BB364_924 Depth=1
	v_ffbh_u32_e32 v1, v11
	v_min_u32_e32 v1, 32, v1
	v_subrev_nc_u32_e32 v10, 28, v1
	v_sub_nc_u32_e32 v1, 29, v1
	v_lshlrev_b64 v[10:11], v10, v[11:12]
	v_and_b32_e32 v23, 7, v10
; %bb.1003:                             ;   in Loop: Header=BB364_924 Depth=1
	s_or_b32 exec_lo, exec_lo, s20
	v_lshlrev_b32_e32 v10, 16, v21
	v_lshlrev_b32_e32 v11, 20, v23
	v_lshl_add_u32 v1, v1, 23, 0x3c000000
	v_and_b32_e32 v10, 0x80000000, v10
	v_or3_b32 v1, v11, v10, v1
.LBB364_1004:                           ;   in Loop: Header=BB364_924 Depth=1
	s_or_b32 exec_lo, exec_lo, s19
.LBB364_1005:                           ;   in Loop: Header=BB364_924 Depth=1
	s_or_b32 exec_lo, exec_lo, s18
.LBB364_1006:                           ;   in Loop: Header=BB364_924 Depth=1
	s_or_b32 exec_lo, exec_lo, s15
	v_and_b32_sdwa v11, v21, v67 dst_sel:DWORD dst_unused:UNUSED_PAD src0_sel:WORD_1 src1_sel:DWORD
	v_mov_b32_e32 v13, 0
	v_mov_b32_e32 v10, 0
	s_mov_b32 s15, exec_lo
	v_cmpx_ne_u16_e32 0, v11
	s_cbranch_execz .LBB364_1014
; %bb.1007:                             ;   in Loop: Header=BB364_924 Depth=1
	v_bfrev_b32_e32 v10, 1
	s_mov_b32 s18, exec_lo
	v_cmpx_ne_u16_e32 0x80, v11
	s_cbranch_execz .LBB364_1013
; %bb.1008:                             ;   in Loop: Header=BB364_924 Depth=1
	v_bfe_u32 v14, v21, 16, 7
	v_mov_b32_e32 v10, 0x7f800001
	s_mov_b32 s19, exec_lo
	v_cmpx_ne_u32_e32 0x7f, v14
	s_cbranch_execz .LBB364_1012
; %bb.1009:                             ;   in Loop: Header=BB364_924 Depth=1
	v_mov_b32_e32 v10, 7
	s_mov_b32 s20, exec_lo
	v_and_b32_sdwa v11, v21, v10 dst_sel:DWORD dst_unused:UNUSED_PAD src0_sel:WORD_1 src1_sel:DWORD
	v_mov_b32_e32 v24, v12
	v_lshrrev_b32_e32 v10, 3, v14
	v_mov_b32_e32 v23, v11
	v_cmpx_gt_u32_e32 8, v14
; %bb.1010:                             ;   in Loop: Header=BB364_924 Depth=1
	v_ffbh_u32_e32 v10, v11
	v_min_u32_e32 v10, 32, v10
	v_subrev_nc_u32_e32 v14, 28, v10
	v_sub_nc_u32_e32 v10, 29, v10
	v_lshlrev_b64 v[17:18], v14, v[11:12]
	v_and_b32_e32 v23, 7, v17
; %bb.1011:                             ;   in Loop: Header=BB364_924 Depth=1
	s_or_b32 exec_lo, exec_lo, s20
	v_mov_b32_e32 v11, 24
	v_lshlrev_b32_e32 v14, 20, v23
	v_lshl_add_u32 v10, v10, 23, 0x3c000000
	v_lshlrev_b32_sdwa v11, v11, v21 dst_sel:DWORD dst_unused:UNUSED_PAD src0_sel:DWORD src1_sel:WORD_1
	v_and_b32_e32 v11, 0x80000000, v11
	v_or3_b32 v10, v14, v11, v10
.LBB364_1012:                           ;   in Loop: Header=BB364_924 Depth=1
	s_or_b32 exec_lo, exec_lo, s19
.LBB364_1013:                           ;   in Loop: Header=BB364_924 Depth=1
	s_or_b32 exec_lo, exec_lo, s18
.LBB364_1014:                           ;   in Loop: Header=BB364_924 Depth=1
	s_or_b32 exec_lo, exec_lo, s15
	s_mov_b32 s15, exec_lo
	v_cmpx_lt_u32_e32 0xffffff, v21
	s_cbranch_execz .LBB364_1022
; %bb.1015:                             ;   in Loop: Header=BB364_924 Depth=1
	v_cmp_ne_u32_sdwa s4, v21, v65 src0_sel:BYTE_3 src1_sel:DWORD
	v_bfrev_b32_e32 v13, 1
	s_and_saveexec_b32 s18, s4
	s_cbranch_execz .LBB364_1021
; %bb.1016:                             ;   in Loop: Header=BB364_924 Depth=1
	v_bfe_u32 v14, v21, 24, 7
	v_mov_b32_e32 v13, 0x7f800001
	s_mov_b32 s19, exec_lo
	v_cmpx_ne_u32_e32 0x7f, v14
	s_cbranch_execz .LBB364_1020
; %bb.1017:                             ;   in Loop: Header=BB364_924 Depth=1
	v_mov_b32_e32 v11, 7
	v_lshrrev_b32_e32 v13, 3, v14
	s_mov_b32 s20, exec_lo
	v_and_b32_sdwa v11, v21, v11 dst_sel:DWORD dst_unused:UNUSED_PAD src0_sel:BYTE_3 src1_sel:DWORD
	v_mov_b32_e32 v24, v12
	v_mov_b32_e32 v23, v11
	v_cmpx_gt_u32_e32 8, v14
; %bb.1018:                             ;   in Loop: Header=BB364_924 Depth=1
	v_ffbh_u32_e32 v13, v11
	v_min_u32_e32 v13, 32, v13
	v_subrev_nc_u32_e32 v14, 28, v13
	v_sub_nc_u32_e32 v13, 29, v13
	v_lshlrev_b64 v[17:18], v14, v[11:12]
	v_and_b32_e32 v23, 7, v17
; %bb.1019:                             ;   in Loop: Header=BB364_924 Depth=1
	s_or_b32 exec_lo, exec_lo, s20
	v_mov_b32_e32 v11, 24
	v_lshlrev_b32_e32 v14, 20, v23
	v_lshl_add_u32 v13, v13, 23, 0x3c000000
	v_lshlrev_b32_sdwa v11, v11, v21 dst_sel:DWORD dst_unused:UNUSED_PAD src0_sel:DWORD src1_sel:BYTE_3
	v_and_b32_e32 v11, 0x80000000, v11
	v_or3_b32 v13, v14, v11, v13
.LBB364_1020:                           ;   in Loop: Header=BB364_924 Depth=1
	s_or_b32 exec_lo, exec_lo, s19
.LBB364_1021:                           ;   in Loop: Header=BB364_924 Depth=1
	s_or_b32 exec_lo, exec_lo, s18
.LBB364_1022:                           ;   in Loop: Header=BB364_924 Depth=1
	s_or_b32 exec_lo, exec_lo, s15
	v_mov_b32_e32 v11, v22
	v_cmp_ne_u16_sdwa s4, v22, v12 src0_sel:BYTE_0 src1_sel:DWORD
	v_mov_b32_e32 v17, 0
	v_mov_b32_e32 v14, 0
	s_and_saveexec_b32 s15, s4
	s_cbranch_execz .LBB364_1030
; %bb.1023:                             ;   in Loop: Header=BB364_924 Depth=1
	v_cmp_ne_u16_sdwa s4, v22, v65 src0_sel:BYTE_0 src1_sel:DWORD
	v_bfrev_b32_e32 v14, 1
	s_and_saveexec_b32 s18, s4
	s_cbranch_execz .LBB364_1029
; %bb.1024:                             ;   in Loop: Header=BB364_924 Depth=1
	v_and_b32_e32 v18, 0x7f, v22
	v_mov_b32_e32 v14, 0x7f800001
	s_mov_b32 s19, exec_lo
	v_cmpx_ne_u32_e32 0x7f, v18
	s_cbranch_execz .LBB364_1028
; %bb.1025:                             ;   in Loop: Header=BB364_924 Depth=1
	v_mov_b32_e32 v24, v12
	v_lshrrev_b32_e32 v14, 3, v18
	v_mov_b32_e32 v23, v11
	s_mov_b32 s20, exec_lo
	v_cmpx_gt_u32_e32 8, v18
; %bb.1026:                             ;   in Loop: Header=BB364_924 Depth=1
	v_and_b32_e32 v14, 7, v22
	v_ffbh_u32_e32 v14, v14
	v_min_u32_e32 v14, 32, v14
	v_subrev_nc_u32_e32 v18, 28, v14
	v_sub_nc_u32_e32 v14, 29, v14
	v_lshlrev_b64 v[23:24], v18, v[11:12]
; %bb.1027:                             ;   in Loop: Header=BB364_924 Depth=1
	s_or_b32 exec_lo, exec_lo, s20
	v_lshlrev_b32_e32 v18, 20, v23
	v_lshlrev_b32_e32 v23, 24, v11
	v_lshl_add_u32 v14, v14, 23, 0x3c000000
	v_and_b32_e32 v18, 0x700000, v18
	v_and_b32_e32 v23, 0x80000000, v23
	v_or3_b32 v14, v18, v23, v14
.LBB364_1028:                           ;   in Loop: Header=BB364_924 Depth=1
	s_or_b32 exec_lo, exec_lo, s19
.LBB364_1029:                           ;   in Loop: Header=BB364_924 Depth=1
	s_or_b32 exec_lo, exec_lo, s18
.LBB364_1030:                           ;   in Loop: Header=BB364_924 Depth=1
	s_or_b32 exec_lo, exec_lo, s15
	v_cmp_ne_u16_sdwa s4, v11, v12 src0_sel:BYTE_1 src1_sel:DWORD
	s_and_saveexec_b32 s15, s4
	s_cbranch_execz .LBB364_1038
; %bb.1031:                             ;   in Loop: Header=BB364_924 Depth=1
	v_cmp_ne_u16_sdwa s4, v11, v65 src0_sel:BYTE_1 src1_sel:DWORD
	v_bfrev_b32_e32 v17, 1
	s_and_saveexec_b32 s18, s4
	s_cbranch_execz .LBB364_1037
; %bb.1032:                             ;   in Loop: Header=BB364_924 Depth=1
	v_mov_b32_e32 v17, 0xffff
	s_mov_b32 s19, exec_lo
	v_and_b32_sdwa v23, v17, v11 dst_sel:DWORD dst_unused:UNUSED_PAD src0_sel:DWORD src1_sel:BYTE_1
	v_mov_b32_e32 v17, 0x7f800001
	v_and_b32_e32 v18, 0x7f, v23
	v_cmpx_ne_u32_e32 0x7f, v18
	s_cbranch_execz .LBB364_1036
; %bb.1033:                             ;   in Loop: Header=BB364_924 Depth=1
	v_and_b32_e32 v23, 7, v23
	v_mov_b32_e32 v24, v12
	v_lshrrev_b32_e32 v17, 3, v18
	s_mov_b32 s20, exec_lo
	v_cmpx_gt_u32_e32 8, v18
; %bb.1034:                             ;   in Loop: Header=BB364_924 Depth=1
	v_ffbh_u32_e32 v17, v23
	v_min_u32_e32 v17, 32, v17
	v_subrev_nc_u32_e32 v18, 28, v17
	v_sub_nc_u32_e32 v17, 29, v17
	v_lshlrev_b64 v[23:24], v18, v[23:24]
	v_and_b32_e32 v23, 7, v23
; %bb.1035:                             ;   in Loop: Header=BB364_924 Depth=1
	s_or_b32 exec_lo, exec_lo, s20
	v_lshlrev_b32_e32 v11, 16, v11
	v_lshlrev_b32_e32 v18, 20, v23
	v_lshl_add_u32 v17, v17, 23, 0x3c000000
	v_and_b32_e32 v11, 0x80000000, v11
	v_or3_b32 v17, v18, v11, v17
.LBB364_1036:                           ;   in Loop: Header=BB364_924 Depth=1
	s_or_b32 exec_lo, exec_lo, s19
.LBB364_1037:                           ;   in Loop: Header=BB364_924 Depth=1
	s_or_b32 exec_lo, exec_lo, s18
.LBB364_1038:                           ;   in Loop: Header=BB364_924 Depth=1
	s_or_b32 exec_lo, exec_lo, s15
	v_and_b32_sdwa v11, v22, v67 dst_sel:DWORD dst_unused:UNUSED_PAD src0_sel:WORD_1 src1_sel:DWORD
	v_mov_b32_e32 v18, 0
	v_mov_b32_e32 v25, 0
	s_mov_b32 s15, exec_lo
	v_cmpx_ne_u16_e32 0, v11
	s_cbranch_execz .LBB364_1046
; %bb.1039:                             ;   in Loop: Header=BB364_924 Depth=1
	v_bfrev_b32_e32 v25, 1
	s_mov_b32 s18, exec_lo
	v_cmpx_ne_u16_e32 0x80, v11
	s_cbranch_execz .LBB364_1045
; %bb.1040:                             ;   in Loop: Header=BB364_924 Depth=1
	v_bfe_u32 v23, v22, 16, 7
	v_mov_b32_e32 v25, 0x7f800001
	s_mov_b32 s19, exec_lo
	v_cmpx_ne_u32_e32 0x7f, v23
	s_cbranch_execz .LBB364_1044
; %bb.1041:                             ;   in Loop: Header=BB364_924 Depth=1
	v_mov_b32_e32 v11, 7
	v_lshrrev_b32_e32 v25, 3, v23
	v_cmp_gt_u32_e64 s4, 8, v23
	v_and_b32_sdwa v11, v22, v11 dst_sel:DWORD dst_unused:UNUSED_PAD src0_sel:WORD_1 src1_sel:DWORD
	v_mov_b32_e32 v24, v12
	v_mov_b32_e32 v23, v11
	s_and_saveexec_b32 s20, s4
; %bb.1042:                             ;   in Loop: Header=BB364_924 Depth=1
	v_ffbh_u32_e32 v23, v11
	v_min_u32_e32 v25, 32, v23
	v_subrev_nc_u32_e32 v23, 28, v25
	v_sub_nc_u32_e32 v25, 29, v25
	v_lshlrev_b64 v[23:24], v23, v[11:12]
	v_and_b32_e32 v23, 7, v23
; %bb.1043:                             ;   in Loop: Header=BB364_924 Depth=1
	s_or_b32 exec_lo, exec_lo, s20
	v_mov_b32_e32 v11, 24
	v_lshlrev_b32_e32 v23, 20, v23
	v_lshl_add_u32 v24, v25, 23, 0x3c000000
	v_lshlrev_b32_sdwa v11, v11, v22 dst_sel:DWORD dst_unused:UNUSED_PAD src0_sel:DWORD src1_sel:WORD_1
	v_and_b32_e32 v11, 0x80000000, v11
	v_or3_b32 v25, v23, v11, v24
.LBB364_1044:                           ;   in Loop: Header=BB364_924 Depth=1
	s_or_b32 exec_lo, exec_lo, s19
.LBB364_1045:                           ;   in Loop: Header=BB364_924 Depth=1
	s_or_b32 exec_lo, exec_lo, s18
.LBB364_1046:                           ;   in Loop: Header=BB364_924 Depth=1
	s_or_b32 exec_lo, exec_lo, s15
	s_mov_b32 s15, exec_lo
	v_cmpx_lt_u64_e64 s[6:7], v[21:22]
	s_cbranch_execz .LBB364_1054
; %bb.1047:                             ;   in Loop: Header=BB364_924 Depth=1
	v_cmp_ne_u32_sdwa s4, v22, v65 src0_sel:BYTE_3 src1_sel:DWORD
	v_bfrev_b32_e32 v18, 1
	s_and_saveexec_b32 s18, s4
	s_cbranch_execz .LBB364_1053
; %bb.1048:                             ;   in Loop: Header=BB364_924 Depth=1
	v_bfe_u32 v21, v22, 24, 7
	v_mov_b32_e32 v18, 0x7f800001
	s_mov_b32 s19, exec_lo
	v_cmpx_ne_u32_e32 0x7f, v21
	s_cbranch_execz .LBB364_1052
; %bb.1049:                             ;   in Loop: Header=BB364_924 Depth=1
	v_mov_b32_e32 v11, 7
	v_lshrrev_b32_e32 v18, 3, v21
	s_mov_b32 s20, exec_lo
	v_and_b32_sdwa v11, v22, v11 dst_sel:DWORD dst_unused:UNUSED_PAD src0_sel:BYTE_3 src1_sel:DWORD
	v_mov_b32_e32 v24, v12
	v_mov_b32_e32 v23, v11
	v_cmpx_gt_u32_e32 8, v21
; %bb.1050:                             ;   in Loop: Header=BB364_924 Depth=1
	v_ffbh_u32_e32 v18, v11
	v_min_u32_e32 v18, 32, v18
	v_subrev_nc_u32_e32 v21, 28, v18
	v_sub_nc_u32_e32 v18, 29, v18
	v_lshlrev_b64 v[23:24], v21, v[11:12]
	v_and_b32_e32 v23, 7, v23
; %bb.1051:                             ;   in Loop: Header=BB364_924 Depth=1
	s_or_b32 exec_lo, exec_lo, s20
	v_mov_b32_e32 v11, 24
	v_lshlrev_b32_e32 v21, 20, v23
	v_lshl_add_u32 v18, v18, 23, 0x3c000000
	v_lshlrev_b32_sdwa v11, v11, v22 dst_sel:DWORD dst_unused:UNUSED_PAD src0_sel:DWORD src1_sel:BYTE_3
	v_and_b32_e32 v11, 0x80000000, v11
	v_or3_b32 v18, v21, v11, v18
.LBB364_1052:                           ;   in Loop: Header=BB364_924 Depth=1
	s_or_b32 exec_lo, exec_lo, s19
.LBB364_1053:                           ;   in Loop: Header=BB364_924 Depth=1
	s_or_b32 exec_lo, exec_lo, s18
.LBB364_1054:                           ;   in Loop: Header=BB364_924 Depth=1
	s_or_b32 exec_lo, exec_lo, s15
	v_mul_f32_e32 v11, v54, v17
	v_mul_f32_e32 v14, v54, v14
	;; [unrolled: 1-line block ×5, first 2 shown]
	v_bfe_u32 v17, v11, 16, 1
	v_or_b32_e32 v21, 0x400000, v11
	v_bfe_u32 v22, v14, 16, 1
	v_cmp_u_f32_e64 s4, v11, v11
	v_or_b32_e32 v23, 0x400000, v14
	v_add3_u32 v17, v17, v11, 0x7fff
	v_bfe_u32 v24, v13, 16, 1
	v_add3_u32 v22, v22, v14, 0x7fff
	v_or_b32_e32 v26, 0x400000, v13
	v_bfe_u32 v28, v10, 16, 1
	v_cndmask_b32_e64 v11, v17, v21, s4
	v_cmp_u_f32_e64 s4, v14, v14
	v_add3_u32 v24, v24, v13, 0x7fff
	v_or_b32_e32 v17, 0x400000, v10
	v_mul_f32_e32 v0, v54, v0
	v_lshrrev_b32_e32 v11, 16, v11
	v_cndmask_b32_e64 v14, v22, v23, s4
	v_cmp_u_f32_e64 s4, v13, v13
	buffer_store_dword v11, off, s[0:3], s32 offset:244 ; 4-byte Folded Spill
	v_add3_u32 v11, v28, v10, 0x7fff
	v_cndmask_b32_e64 v13, v24, v26, s4
	v_lshrrev_b32_e32 v14, 16, v14
	v_cmp_u_f32_e64 s4, v10, v10
	v_lshrrev_b32_e32 v13, 16, v13
	buffer_store_dword v14, off, s[0:3], s32 offset:240 ; 4-byte Folded Spill
	v_cndmask_b32_e64 v10, v11, v17, s4
	v_mul_f32_e32 v11, v54, v25
	v_or_b32_e32 v14, 0x400000, v1
	buffer_store_dword v13, off, s[0:3], s32 offset:252 ; 4-byte Folded Spill
	v_bfe_u32 v13, v1, 16, 1
	v_mul_f32_e32 v17, v54, v18
	v_bfe_u32 v18, v0, 16, 1
	v_cmp_u_f32_e64 s4, v1, v1
	v_bfe_u32 v21, v11, 16, 1
	v_add3_u32 v13, v13, v1, 0x7fff
	v_or_b32_e32 v22, 0x400000, v11
	v_or_b32_e32 v23, 0x400000, v17
	v_lshrrev_b32_e32 v10, 16, v10
	v_add3_u32 v21, v21, v11, 0x7fff
	v_cndmask_b32_e64 v1, v13, v14, s4
	v_add3_u32 v14, v18, v0, 0x7fff
	v_or_b32_e32 v18, 0x400000, v0
	v_cmp_u_f32_e64 s4, v0, v0
	v_bfe_u32 v13, v17, 16, 1
	v_lshrrev_b32_e32 v1, 16, v1
	buffer_store_dword v10, off, s[0:3], s32 offset:248 ; 4-byte Folded Spill
	v_cndmask_b32_e64 v0, v14, v18, s4
	v_cmp_u_f32_e64 s4, v11, v11
	v_add3_u32 v13, v13, v17, 0x7fff
	buffer_store_dword v1, off, s[0:3], s32 offset:260 ; 4-byte Folded Spill
	v_lshrrev_b32_e32 v0, 16, v0
	v_cndmask_b32_e64 v11, v21, v22, s4
	v_cmp_u_f32_e64 s4, v17, v17
	buffer_store_dword v0, off, s[0:3], s32 offset:256 ; 4-byte Folded Spill
	v_lshrrev_b32_e32 v0, 16, v11
	v_cndmask_b32_e64 v13, v13, v23, s4
	buffer_store_dword v0, off, s[0:3], s32 offset:232 ; 4-byte Folded Spill
	v_lshrrev_b32_e32 v0, 16, v13
	buffer_store_dword v0, off, s[0:3], s32 offset:236 ; 4-byte Folded Spill
	s_and_saveexec_b32 s15, vcc_lo
	s_cbranch_execz .LBB364_1056
; %bb.1055:                             ;   in Loop: Header=BB364_924 Depth=1
	buffer_load_dword v0, off, s[0:3], s32 offset:256 ; 4-byte Folded Reload
	v_cmp_lt_i32_e64 s4, v47, v30
	s_waitcnt vmcnt(0)
	v_cndmask_b32_e64 v0, 0, v0, s4
	v_cmp_lt_i32_e64 s4, v61, v30
	buffer_store_dword v0, off, s[0:3], s32 offset:256 ; 4-byte Folded Spill
	buffer_load_dword v0, off, s[0:3], s32 offset:260 ; 4-byte Folded Reload
	s_waitcnt vmcnt(0)
	v_cndmask_b32_e64 v0, 0, v0, s4
	v_cmp_lt_i32_e64 s4, v60, v30
	buffer_store_dword v0, off, s[0:3], s32 offset:260 ; 4-byte Folded Spill
	buffer_load_dword v0, off, s[0:3], s32 offset:248 ; 4-byte Folded Reload
	;; [unrolled: 5-line block ×7, first 2 shown]
	s_waitcnt vmcnt(0)
	v_cndmask_b32_e64 v0, 0, v0, s4
	buffer_store_dword v0, off, s[0:3], s32 offset:236 ; 4-byte Folded Spill
.LBB364_1056:                           ;   in Loop: Header=BB364_924 Depth=1
	s_or_b32 exec_lo, exec_lo, s15
	flat_load_dwordx2 v[21:22], v[19:20] offset:512
	v_mov_b32_e32 v1, 0
	v_mov_b32_e32 v0, 0
	s_waitcnt vmcnt(0) lgkmcnt(0)
	v_cmp_ne_u16_sdwa s4, v21, v12 src0_sel:BYTE_0 src1_sel:DWORD
	s_and_saveexec_b32 s15, s4
	s_cbranch_execz .LBB364_1064
; %bb.1057:                             ;   in Loop: Header=BB364_924 Depth=1
	v_cmp_ne_u16_sdwa s4, v21, v65 src0_sel:BYTE_0 src1_sel:DWORD
	v_bfrev_b32_e32 v0, 1
	s_and_saveexec_b32 s18, s4
	s_cbranch_execz .LBB364_1063
; %bb.1058:                             ;   in Loop: Header=BB364_924 Depth=1
	v_and_b32_e32 v10, 0x7f, v21
	v_mov_b32_e32 v0, 0x7f800001
	s_mov_b32 s19, exec_lo
	v_cmpx_ne_u32_e32 0x7f, v10
	s_cbranch_execz .LBB364_1062
; %bb.1059:                             ;   in Loop: Header=BB364_924 Depth=1
	v_lshrrev_b32_e32 v0, 3, v10
	v_cmp_gt_u32_e64 s4, 8, v10
	v_mov_b32_e32 v10, v21
	v_mov_b32_e32 v11, v22
	s_and_saveexec_b32 s20, s4
; %bb.1060:                             ;   in Loop: Header=BB364_924 Depth=1
	v_and_b32_e32 v0, 7, v21
	v_ffbh_u32_e32 v0, v0
	v_min_u32_e32 v0, 32, v0
	v_subrev_nc_u32_e32 v10, 28, v0
	v_sub_nc_u32_e32 v0, 29, v0
	v_lshlrev_b64 v[10:11], v10, v[21:22]
; %bb.1061:                             ;   in Loop: Header=BB364_924 Depth=1
	s_or_b32 exec_lo, exec_lo, s20
	v_lshlrev_b32_e32 v10, 20, v10
	v_lshlrev_b32_e32 v11, 24, v21
	v_lshl_add_u32 v0, v0, 23, 0x3c000000
	v_and_b32_e32 v10, 0x700000, v10
	v_and_b32_e32 v11, 0x80000000, v11
	v_or3_b32 v0, v10, v11, v0
.LBB364_1062:                           ;   in Loop: Header=BB364_924 Depth=1
	s_or_b32 exec_lo, exec_lo, s19
.LBB364_1063:                           ;   in Loop: Header=BB364_924 Depth=1
	s_or_b32 exec_lo, exec_lo, s18
.LBB364_1064:                           ;   in Loop: Header=BB364_924 Depth=1
	s_or_b32 exec_lo, exec_lo, s15
	v_cmp_ne_u16_sdwa s4, v21, v12 src0_sel:BYTE_1 src1_sel:DWORD
	s_and_saveexec_b32 s15, s4
	s_cbranch_execz .LBB364_1072
; %bb.1065:                             ;   in Loop: Header=BB364_924 Depth=1
	v_cmp_ne_u16_sdwa s4, v21, v65 src0_sel:BYTE_1 src1_sel:DWORD
	v_bfrev_b32_e32 v1, 1
	s_and_saveexec_b32 s18, s4
	s_cbranch_execz .LBB364_1071
; %bb.1066:                             ;   in Loop: Header=BB364_924 Depth=1
	v_mov_b32_e32 v1, 0xffff
	s_mov_b32 s19, exec_lo
	v_and_b32_sdwa v11, v1, v21 dst_sel:DWORD dst_unused:UNUSED_PAD src0_sel:DWORD src1_sel:BYTE_1
	v_mov_b32_e32 v1, 0x7f800001
	v_and_b32_e32 v10, 0x7f, v11
	v_cmpx_ne_u32_e32 0x7f, v10
	s_cbranch_execz .LBB364_1070
; %bb.1067:                             ;   in Loop: Header=BB364_924 Depth=1
	v_and_b32_e32 v11, 7, v11
	v_mov_b32_e32 v24, v12
	v_lshrrev_b32_e32 v1, 3, v10
	s_mov_b32 s20, exec_lo
	v_mov_b32_e32 v23, v11
	v_cmpx_gt_u32_e32 8, v10
; %bb.1068:                             ;   in Loop: Header=BB364_924 Depth=1
	v_ffbh_u32_e32 v1, v11
	v_min_u32_e32 v1, 32, v1
	v_subrev_nc_u32_e32 v10, 28, v1
	v_sub_nc_u32_e32 v1, 29, v1
	v_lshlrev_b64 v[10:11], v10, v[11:12]
	v_and_b32_e32 v23, 7, v10
; %bb.1069:                             ;   in Loop: Header=BB364_924 Depth=1
	s_or_b32 exec_lo, exec_lo, s20
	v_lshlrev_b32_e32 v10, 16, v21
	v_lshlrev_b32_e32 v11, 20, v23
	v_lshl_add_u32 v1, v1, 23, 0x3c000000
	v_and_b32_e32 v10, 0x80000000, v10
	v_or3_b32 v1, v11, v10, v1
.LBB364_1070:                           ;   in Loop: Header=BB364_924 Depth=1
	s_or_b32 exec_lo, exec_lo, s19
.LBB364_1071:                           ;   in Loop: Header=BB364_924 Depth=1
	s_or_b32 exec_lo, exec_lo, s18
.LBB364_1072:                           ;   in Loop: Header=BB364_924 Depth=1
	s_or_b32 exec_lo, exec_lo, s15
	v_and_b32_sdwa v11, v21, v67 dst_sel:DWORD dst_unused:UNUSED_PAD src0_sel:WORD_1 src1_sel:DWORD
	v_mov_b32_e32 v13, 0
	v_mov_b32_e32 v10, 0
	s_mov_b32 s15, exec_lo
	v_cmpx_ne_u16_e32 0, v11
	s_cbranch_execz .LBB364_1080
; %bb.1073:                             ;   in Loop: Header=BB364_924 Depth=1
	v_bfrev_b32_e32 v10, 1
	s_mov_b32 s18, exec_lo
	v_cmpx_ne_u16_e32 0x80, v11
	s_cbranch_execz .LBB364_1079
; %bb.1074:                             ;   in Loop: Header=BB364_924 Depth=1
	v_bfe_u32 v14, v21, 16, 7
	v_mov_b32_e32 v10, 0x7f800001
	s_mov_b32 s19, exec_lo
	v_cmpx_ne_u32_e32 0x7f, v14
	s_cbranch_execz .LBB364_1078
; %bb.1075:                             ;   in Loop: Header=BB364_924 Depth=1
	v_mov_b32_e32 v10, 7
	s_mov_b32 s20, exec_lo
	v_and_b32_sdwa v11, v21, v10 dst_sel:DWORD dst_unused:UNUSED_PAD src0_sel:WORD_1 src1_sel:DWORD
	v_mov_b32_e32 v24, v12
	v_lshrrev_b32_e32 v10, 3, v14
	v_mov_b32_e32 v23, v11
	v_cmpx_gt_u32_e32 8, v14
; %bb.1076:                             ;   in Loop: Header=BB364_924 Depth=1
	v_ffbh_u32_e32 v10, v11
	v_min_u32_e32 v10, 32, v10
	v_subrev_nc_u32_e32 v14, 28, v10
	v_sub_nc_u32_e32 v10, 29, v10
	v_lshlrev_b64 v[17:18], v14, v[11:12]
	v_and_b32_e32 v23, 7, v17
; %bb.1077:                             ;   in Loop: Header=BB364_924 Depth=1
	s_or_b32 exec_lo, exec_lo, s20
	v_mov_b32_e32 v11, 24
	v_lshlrev_b32_e32 v14, 20, v23
	v_lshl_add_u32 v10, v10, 23, 0x3c000000
	v_lshlrev_b32_sdwa v11, v11, v21 dst_sel:DWORD dst_unused:UNUSED_PAD src0_sel:DWORD src1_sel:WORD_1
	v_and_b32_e32 v11, 0x80000000, v11
	v_or3_b32 v10, v14, v11, v10
.LBB364_1078:                           ;   in Loop: Header=BB364_924 Depth=1
	s_or_b32 exec_lo, exec_lo, s19
.LBB364_1079:                           ;   in Loop: Header=BB364_924 Depth=1
	s_or_b32 exec_lo, exec_lo, s18
.LBB364_1080:                           ;   in Loop: Header=BB364_924 Depth=1
	s_or_b32 exec_lo, exec_lo, s15
	s_mov_b32 s15, exec_lo
	v_cmpx_lt_u32_e32 0xffffff, v21
	s_cbranch_execz .LBB364_1088
; %bb.1081:                             ;   in Loop: Header=BB364_924 Depth=1
	v_cmp_ne_u32_sdwa s4, v21, v65 src0_sel:BYTE_3 src1_sel:DWORD
	v_bfrev_b32_e32 v13, 1
	s_and_saveexec_b32 s18, s4
	s_cbranch_execz .LBB364_1087
; %bb.1082:                             ;   in Loop: Header=BB364_924 Depth=1
	v_bfe_u32 v14, v21, 24, 7
	v_mov_b32_e32 v13, 0x7f800001
	s_mov_b32 s19, exec_lo
	v_cmpx_ne_u32_e32 0x7f, v14
	s_cbranch_execz .LBB364_1086
; %bb.1083:                             ;   in Loop: Header=BB364_924 Depth=1
	v_mov_b32_e32 v11, 7
	v_lshrrev_b32_e32 v13, 3, v14
	s_mov_b32 s20, exec_lo
	v_and_b32_sdwa v11, v21, v11 dst_sel:DWORD dst_unused:UNUSED_PAD src0_sel:BYTE_3 src1_sel:DWORD
	v_mov_b32_e32 v24, v12
	v_mov_b32_e32 v23, v11
	v_cmpx_gt_u32_e32 8, v14
; %bb.1084:                             ;   in Loop: Header=BB364_924 Depth=1
	v_ffbh_u32_e32 v13, v11
	v_min_u32_e32 v13, 32, v13
	v_subrev_nc_u32_e32 v14, 28, v13
	v_sub_nc_u32_e32 v13, 29, v13
	v_lshlrev_b64 v[17:18], v14, v[11:12]
	v_and_b32_e32 v23, 7, v17
; %bb.1085:                             ;   in Loop: Header=BB364_924 Depth=1
	s_or_b32 exec_lo, exec_lo, s20
	v_mov_b32_e32 v11, 24
	v_lshlrev_b32_e32 v14, 20, v23
	v_lshl_add_u32 v13, v13, 23, 0x3c000000
	v_lshlrev_b32_sdwa v11, v11, v21 dst_sel:DWORD dst_unused:UNUSED_PAD src0_sel:DWORD src1_sel:BYTE_3
	v_and_b32_e32 v11, 0x80000000, v11
	v_or3_b32 v13, v14, v11, v13
.LBB364_1086:                           ;   in Loop: Header=BB364_924 Depth=1
	s_or_b32 exec_lo, exec_lo, s19
.LBB364_1087:                           ;   in Loop: Header=BB364_924 Depth=1
	s_or_b32 exec_lo, exec_lo, s18
.LBB364_1088:                           ;   in Loop: Header=BB364_924 Depth=1
	s_or_b32 exec_lo, exec_lo, s15
	v_mov_b32_e32 v11, v22
	v_cmp_ne_u16_sdwa s4, v22, v12 src0_sel:BYTE_0 src1_sel:DWORD
	v_mov_b32_e32 v17, 0
	v_mov_b32_e32 v14, 0
	s_and_saveexec_b32 s15, s4
	s_cbranch_execz .LBB364_1096
; %bb.1089:                             ;   in Loop: Header=BB364_924 Depth=1
	v_cmp_ne_u16_sdwa s4, v22, v65 src0_sel:BYTE_0 src1_sel:DWORD
	v_bfrev_b32_e32 v14, 1
	s_and_saveexec_b32 s18, s4
	s_cbranch_execz .LBB364_1095
; %bb.1090:                             ;   in Loop: Header=BB364_924 Depth=1
	v_and_b32_e32 v18, 0x7f, v22
	v_mov_b32_e32 v14, 0x7f800001
	s_mov_b32 s19, exec_lo
	v_cmpx_ne_u32_e32 0x7f, v18
	s_cbranch_execz .LBB364_1094
; %bb.1091:                             ;   in Loop: Header=BB364_924 Depth=1
	v_mov_b32_e32 v24, v12
	v_lshrrev_b32_e32 v14, 3, v18
	v_mov_b32_e32 v23, v11
	s_mov_b32 s20, exec_lo
	v_cmpx_gt_u32_e32 8, v18
; %bb.1092:                             ;   in Loop: Header=BB364_924 Depth=1
	v_and_b32_e32 v14, 7, v22
	v_ffbh_u32_e32 v14, v14
	v_min_u32_e32 v14, 32, v14
	v_subrev_nc_u32_e32 v18, 28, v14
	v_sub_nc_u32_e32 v14, 29, v14
	v_lshlrev_b64 v[23:24], v18, v[11:12]
; %bb.1093:                             ;   in Loop: Header=BB364_924 Depth=1
	s_or_b32 exec_lo, exec_lo, s20
	v_lshlrev_b32_e32 v18, 20, v23
	v_lshlrev_b32_e32 v23, 24, v11
	v_lshl_add_u32 v14, v14, 23, 0x3c000000
	v_and_b32_e32 v18, 0x700000, v18
	v_and_b32_e32 v23, 0x80000000, v23
	v_or3_b32 v14, v18, v23, v14
.LBB364_1094:                           ;   in Loop: Header=BB364_924 Depth=1
	s_or_b32 exec_lo, exec_lo, s19
.LBB364_1095:                           ;   in Loop: Header=BB364_924 Depth=1
	s_or_b32 exec_lo, exec_lo, s18
.LBB364_1096:                           ;   in Loop: Header=BB364_924 Depth=1
	s_or_b32 exec_lo, exec_lo, s15
	v_cmp_ne_u16_sdwa s4, v11, v12 src0_sel:BYTE_1 src1_sel:DWORD
	s_and_saveexec_b32 s15, s4
	s_cbranch_execz .LBB364_1104
; %bb.1097:                             ;   in Loop: Header=BB364_924 Depth=1
	v_cmp_ne_u16_sdwa s4, v11, v65 src0_sel:BYTE_1 src1_sel:DWORD
	v_bfrev_b32_e32 v17, 1
	s_and_saveexec_b32 s18, s4
	s_cbranch_execz .LBB364_1103
; %bb.1098:                             ;   in Loop: Header=BB364_924 Depth=1
	v_mov_b32_e32 v17, 0xffff
	s_mov_b32 s19, exec_lo
	v_and_b32_sdwa v23, v17, v11 dst_sel:DWORD dst_unused:UNUSED_PAD src0_sel:DWORD src1_sel:BYTE_1
	v_mov_b32_e32 v17, 0x7f800001
	v_and_b32_e32 v18, 0x7f, v23
	v_cmpx_ne_u32_e32 0x7f, v18
	s_cbranch_execz .LBB364_1102
; %bb.1099:                             ;   in Loop: Header=BB364_924 Depth=1
	v_and_b32_e32 v23, 7, v23
	v_mov_b32_e32 v24, v12
	v_lshrrev_b32_e32 v17, 3, v18
	s_mov_b32 s20, exec_lo
	v_cmpx_gt_u32_e32 8, v18
; %bb.1100:                             ;   in Loop: Header=BB364_924 Depth=1
	v_ffbh_u32_e32 v17, v23
	v_min_u32_e32 v17, 32, v17
	v_subrev_nc_u32_e32 v18, 28, v17
	v_sub_nc_u32_e32 v17, 29, v17
	v_lshlrev_b64 v[23:24], v18, v[23:24]
	v_and_b32_e32 v23, 7, v23
; %bb.1101:                             ;   in Loop: Header=BB364_924 Depth=1
	s_or_b32 exec_lo, exec_lo, s20
	v_lshlrev_b32_e32 v11, 16, v11
	v_lshlrev_b32_e32 v18, 20, v23
	v_lshl_add_u32 v17, v17, 23, 0x3c000000
	v_and_b32_e32 v11, 0x80000000, v11
	v_or3_b32 v17, v18, v11, v17
.LBB364_1102:                           ;   in Loop: Header=BB364_924 Depth=1
	s_or_b32 exec_lo, exec_lo, s19
.LBB364_1103:                           ;   in Loop: Header=BB364_924 Depth=1
	s_or_b32 exec_lo, exec_lo, s18
.LBB364_1104:                           ;   in Loop: Header=BB364_924 Depth=1
	s_or_b32 exec_lo, exec_lo, s15
	v_and_b32_sdwa v11, v22, v67 dst_sel:DWORD dst_unused:UNUSED_PAD src0_sel:WORD_1 src1_sel:DWORD
	v_mov_b32_e32 v18, 0
	v_mov_b32_e32 v25, 0
	s_mov_b32 s15, exec_lo
	v_cmpx_ne_u16_e32 0, v11
	s_cbranch_execz .LBB364_1112
; %bb.1105:                             ;   in Loop: Header=BB364_924 Depth=1
	v_bfrev_b32_e32 v25, 1
	s_mov_b32 s18, exec_lo
	v_cmpx_ne_u16_e32 0x80, v11
	s_cbranch_execz .LBB364_1111
; %bb.1106:                             ;   in Loop: Header=BB364_924 Depth=1
	v_bfe_u32 v23, v22, 16, 7
	v_mov_b32_e32 v25, 0x7f800001
	s_mov_b32 s19, exec_lo
	v_cmpx_ne_u32_e32 0x7f, v23
	s_cbranch_execz .LBB364_1110
; %bb.1107:                             ;   in Loop: Header=BB364_924 Depth=1
	v_mov_b32_e32 v11, 7
	v_lshrrev_b32_e32 v25, 3, v23
	v_cmp_gt_u32_e64 s4, 8, v23
	v_and_b32_sdwa v11, v22, v11 dst_sel:DWORD dst_unused:UNUSED_PAD src0_sel:WORD_1 src1_sel:DWORD
	v_mov_b32_e32 v24, v12
	v_mov_b32_e32 v23, v11
	s_and_saveexec_b32 s20, s4
; %bb.1108:                             ;   in Loop: Header=BB364_924 Depth=1
	v_ffbh_u32_e32 v23, v11
	v_min_u32_e32 v25, 32, v23
	v_subrev_nc_u32_e32 v23, 28, v25
	v_sub_nc_u32_e32 v25, 29, v25
	v_lshlrev_b64 v[23:24], v23, v[11:12]
	v_and_b32_e32 v23, 7, v23
; %bb.1109:                             ;   in Loop: Header=BB364_924 Depth=1
	s_or_b32 exec_lo, exec_lo, s20
	v_mov_b32_e32 v11, 24
	v_lshlrev_b32_e32 v23, 20, v23
	v_lshl_add_u32 v24, v25, 23, 0x3c000000
	v_lshlrev_b32_sdwa v11, v11, v22 dst_sel:DWORD dst_unused:UNUSED_PAD src0_sel:DWORD src1_sel:WORD_1
	v_and_b32_e32 v11, 0x80000000, v11
	v_or3_b32 v25, v23, v11, v24
.LBB364_1110:                           ;   in Loop: Header=BB364_924 Depth=1
	s_or_b32 exec_lo, exec_lo, s19
.LBB364_1111:                           ;   in Loop: Header=BB364_924 Depth=1
	s_or_b32 exec_lo, exec_lo, s18
.LBB364_1112:                           ;   in Loop: Header=BB364_924 Depth=1
	s_or_b32 exec_lo, exec_lo, s15
	s_mov_b32 s15, exec_lo
	v_cmpx_lt_u64_e64 s[6:7], v[21:22]
	s_cbranch_execz .LBB364_1120
; %bb.1113:                             ;   in Loop: Header=BB364_924 Depth=1
	v_cmp_ne_u32_sdwa s4, v22, v65 src0_sel:BYTE_3 src1_sel:DWORD
	v_bfrev_b32_e32 v18, 1
	s_and_saveexec_b32 s18, s4
	s_cbranch_execz .LBB364_1119
; %bb.1114:                             ;   in Loop: Header=BB364_924 Depth=1
	v_bfe_u32 v21, v22, 24, 7
	v_mov_b32_e32 v18, 0x7f800001
	s_mov_b32 s19, exec_lo
	v_cmpx_ne_u32_e32 0x7f, v21
	s_cbranch_execz .LBB364_1118
; %bb.1115:                             ;   in Loop: Header=BB364_924 Depth=1
	v_mov_b32_e32 v11, 7
	v_lshrrev_b32_e32 v18, 3, v21
	s_mov_b32 s20, exec_lo
	v_and_b32_sdwa v11, v22, v11 dst_sel:DWORD dst_unused:UNUSED_PAD src0_sel:BYTE_3 src1_sel:DWORD
	v_mov_b32_e32 v24, v12
	v_mov_b32_e32 v23, v11
	v_cmpx_gt_u32_e32 8, v21
; %bb.1116:                             ;   in Loop: Header=BB364_924 Depth=1
	v_ffbh_u32_e32 v18, v11
	v_min_u32_e32 v18, 32, v18
	v_subrev_nc_u32_e32 v21, 28, v18
	v_sub_nc_u32_e32 v18, 29, v18
	v_lshlrev_b64 v[23:24], v21, v[11:12]
	v_and_b32_e32 v23, 7, v23
; %bb.1117:                             ;   in Loop: Header=BB364_924 Depth=1
	s_or_b32 exec_lo, exec_lo, s20
	v_mov_b32_e32 v11, 24
	v_lshlrev_b32_e32 v21, 20, v23
	v_lshl_add_u32 v18, v18, 23, 0x3c000000
	v_lshlrev_b32_sdwa v11, v11, v22 dst_sel:DWORD dst_unused:UNUSED_PAD src0_sel:DWORD src1_sel:BYTE_3
	v_and_b32_e32 v11, 0x80000000, v11
	v_or3_b32 v18, v21, v11, v18
.LBB364_1118:                           ;   in Loop: Header=BB364_924 Depth=1
	s_or_b32 exec_lo, exec_lo, s19
.LBB364_1119:                           ;   in Loop: Header=BB364_924 Depth=1
	s_or_b32 exec_lo, exec_lo, s18
.LBB364_1120:                           ;   in Loop: Header=BB364_924 Depth=1
	s_or_b32 exec_lo, exec_lo, s15
	v_mul_f32_e32 v11, v54, v17
	v_mul_f32_e32 v14, v54, v14
	;; [unrolled: 1-line block ×5, first 2 shown]
	v_bfe_u32 v17, v11, 16, 1
	v_or_b32_e32 v21, 0x400000, v11
	v_bfe_u32 v22, v14, 16, 1
	v_cmp_u_f32_e64 s4, v11, v11
	v_or_b32_e32 v23, 0x400000, v14
	v_add3_u32 v17, v17, v11, 0x7fff
	v_bfe_u32 v24, v13, 16, 1
	v_add3_u32 v22, v22, v14, 0x7fff
	v_or_b32_e32 v26, 0x400000, v13
	v_bfe_u32 v28, v10, 16, 1
	v_cndmask_b32_e64 v11, v17, v21, s4
	v_cmp_u_f32_e64 s4, v14, v14
	v_add3_u32 v24, v24, v13, 0x7fff
	v_or_b32_e32 v17, 0x400000, v10
	v_mul_f32_e32 v0, v54, v0
	v_lshrrev_b32_e32 v11, 16, v11
	v_cndmask_b32_e64 v14, v22, v23, s4
	v_cmp_u_f32_e64 s4, v13, v13
	buffer_store_dword v11, off, s[0:3], s32 offset:276 ; 4-byte Folded Spill
	v_add3_u32 v11, v28, v10, 0x7fff
	v_cndmask_b32_e64 v13, v24, v26, s4
	v_lshrrev_b32_e32 v14, 16, v14
	v_cmp_u_f32_e64 s4, v10, v10
	v_lshrrev_b32_e32 v13, 16, v13
	buffer_store_dword v14, off, s[0:3], s32 offset:272 ; 4-byte Folded Spill
	v_cndmask_b32_e64 v10, v11, v17, s4
	v_mul_f32_e32 v11, v54, v25
	v_or_b32_e32 v14, 0x400000, v1
	buffer_store_dword v13, off, s[0:3], s32 offset:284 ; 4-byte Folded Spill
	v_bfe_u32 v13, v1, 16, 1
	v_mul_f32_e32 v17, v54, v18
	v_bfe_u32 v18, v0, 16, 1
	v_cmp_u_f32_e64 s4, v1, v1
	v_bfe_u32 v21, v11, 16, 1
	v_add3_u32 v13, v13, v1, 0x7fff
	v_or_b32_e32 v22, 0x400000, v11
	v_or_b32_e32 v23, 0x400000, v17
	v_lshrrev_b32_e32 v10, 16, v10
	v_add3_u32 v21, v21, v11, 0x7fff
	v_cndmask_b32_e64 v1, v13, v14, s4
	v_add3_u32 v14, v18, v0, 0x7fff
	v_or_b32_e32 v18, 0x400000, v0
	v_cmp_u_f32_e64 s4, v0, v0
	v_bfe_u32 v13, v17, 16, 1
	v_lshrrev_b32_e32 v1, 16, v1
	buffer_store_dword v10, off, s[0:3], s32 offset:280 ; 4-byte Folded Spill
	v_cndmask_b32_e64 v0, v14, v18, s4
	v_cmp_u_f32_e64 s4, v11, v11
	v_add3_u32 v13, v13, v17, 0x7fff
	buffer_store_dword v1, off, s[0:3], s32 offset:292 ; 4-byte Folded Spill
	v_lshrrev_b32_e32 v0, 16, v0
	v_cndmask_b32_e64 v11, v21, v22, s4
	v_cmp_u_f32_e64 s4, v17, v17
	buffer_store_dword v0, off, s[0:3], s32 offset:288 ; 4-byte Folded Spill
	v_lshrrev_b32_e32 v0, 16, v11
	v_cndmask_b32_e64 v13, v13, v23, s4
	buffer_store_dword v0, off, s[0:3], s32 offset:264 ; 4-byte Folded Spill
	v_lshrrev_b32_e32 v0, 16, v13
	buffer_store_dword v0, off, s[0:3], s32 offset:268 ; 4-byte Folded Spill
	s_and_saveexec_b32 s15, vcc_lo
	s_cbranch_execz .LBB364_1122
; %bb.1121:                             ;   in Loop: Header=BB364_924 Depth=1
	buffer_load_dword v0, off, s[0:3], s32 offset:288 ; 4-byte Folded Reload
	v_cmp_lt_i32_e64 s4, v47, v30
	s_waitcnt vmcnt(0)
	v_cndmask_b32_e64 v0, 0, v0, s4
	v_cmp_lt_i32_e64 s4, v61, v30
	buffer_store_dword v0, off, s[0:3], s32 offset:288 ; 4-byte Folded Spill
	buffer_load_dword v0, off, s[0:3], s32 offset:292 ; 4-byte Folded Reload
	s_waitcnt vmcnt(0)
	v_cndmask_b32_e64 v0, 0, v0, s4
	v_cmp_lt_i32_e64 s4, v60, v30
	buffer_store_dword v0, off, s[0:3], s32 offset:292 ; 4-byte Folded Spill
	buffer_load_dword v0, off, s[0:3], s32 offset:280 ; 4-byte Folded Reload
	;; [unrolled: 5-line block ×7, first 2 shown]
	s_waitcnt vmcnt(0)
	v_cndmask_b32_e64 v0, 0, v0, s4
	buffer_store_dword v0, off, s[0:3], s32 offset:268 ; 4-byte Folded Spill
.LBB364_1122:                           ;   in Loop: Header=BB364_924 Depth=1
	s_or_b32 exec_lo, exec_lo, s15
	flat_load_dwordx2 v[21:22], v[19:20] offset:768
	v_mov_b32_e32 v1, 0
	v_mov_b32_e32 v0, 0
	s_waitcnt vmcnt(0) lgkmcnt(0)
	v_cmp_ne_u16_sdwa s4, v21, v12 src0_sel:BYTE_0 src1_sel:DWORD
	s_and_saveexec_b32 s15, s4
	s_cbranch_execz .LBB364_1130
; %bb.1123:                             ;   in Loop: Header=BB364_924 Depth=1
	v_cmp_ne_u16_sdwa s4, v21, v65 src0_sel:BYTE_0 src1_sel:DWORD
	v_bfrev_b32_e32 v0, 1
	s_and_saveexec_b32 s18, s4
	s_cbranch_execz .LBB364_1129
; %bb.1124:                             ;   in Loop: Header=BB364_924 Depth=1
	v_and_b32_e32 v10, 0x7f, v21
	v_mov_b32_e32 v0, 0x7f800001
	s_mov_b32 s19, exec_lo
	v_cmpx_ne_u32_e32 0x7f, v10
	s_cbranch_execz .LBB364_1128
; %bb.1125:                             ;   in Loop: Header=BB364_924 Depth=1
	v_lshrrev_b32_e32 v0, 3, v10
	v_cmp_gt_u32_e64 s4, 8, v10
	v_mov_b32_e32 v10, v21
	v_mov_b32_e32 v11, v22
	s_and_saveexec_b32 s20, s4
; %bb.1126:                             ;   in Loop: Header=BB364_924 Depth=1
	v_and_b32_e32 v0, 7, v21
	v_ffbh_u32_e32 v0, v0
	v_min_u32_e32 v0, 32, v0
	v_subrev_nc_u32_e32 v10, 28, v0
	v_sub_nc_u32_e32 v0, 29, v0
	v_lshlrev_b64 v[10:11], v10, v[21:22]
; %bb.1127:                             ;   in Loop: Header=BB364_924 Depth=1
	s_or_b32 exec_lo, exec_lo, s20
	v_lshlrev_b32_e32 v10, 20, v10
	v_lshlrev_b32_e32 v11, 24, v21
	v_lshl_add_u32 v0, v0, 23, 0x3c000000
	v_and_b32_e32 v10, 0x700000, v10
	v_and_b32_e32 v11, 0x80000000, v11
	v_or3_b32 v0, v10, v11, v0
.LBB364_1128:                           ;   in Loop: Header=BB364_924 Depth=1
	s_or_b32 exec_lo, exec_lo, s19
.LBB364_1129:                           ;   in Loop: Header=BB364_924 Depth=1
	s_or_b32 exec_lo, exec_lo, s18
.LBB364_1130:                           ;   in Loop: Header=BB364_924 Depth=1
	s_or_b32 exec_lo, exec_lo, s15
	v_cmp_ne_u16_sdwa s4, v21, v12 src0_sel:BYTE_1 src1_sel:DWORD
	s_and_saveexec_b32 s15, s4
	s_cbranch_execz .LBB364_1138
; %bb.1131:                             ;   in Loop: Header=BB364_924 Depth=1
	v_cmp_ne_u16_sdwa s4, v21, v65 src0_sel:BYTE_1 src1_sel:DWORD
	v_bfrev_b32_e32 v1, 1
	s_and_saveexec_b32 s18, s4
	s_cbranch_execz .LBB364_1137
; %bb.1132:                             ;   in Loop: Header=BB364_924 Depth=1
	v_mov_b32_e32 v1, 0xffff
	s_mov_b32 s19, exec_lo
	v_and_b32_sdwa v11, v1, v21 dst_sel:DWORD dst_unused:UNUSED_PAD src0_sel:DWORD src1_sel:BYTE_1
	v_mov_b32_e32 v1, 0x7f800001
	v_and_b32_e32 v10, 0x7f, v11
	v_cmpx_ne_u32_e32 0x7f, v10
	s_cbranch_execz .LBB364_1136
; %bb.1133:                             ;   in Loop: Header=BB364_924 Depth=1
	v_and_b32_e32 v11, 7, v11
	v_mov_b32_e32 v24, v12
	v_lshrrev_b32_e32 v1, 3, v10
	s_mov_b32 s20, exec_lo
	v_mov_b32_e32 v23, v11
	v_cmpx_gt_u32_e32 8, v10
; %bb.1134:                             ;   in Loop: Header=BB364_924 Depth=1
	v_ffbh_u32_e32 v1, v11
	v_min_u32_e32 v1, 32, v1
	v_subrev_nc_u32_e32 v10, 28, v1
	v_sub_nc_u32_e32 v1, 29, v1
	v_lshlrev_b64 v[10:11], v10, v[11:12]
	v_and_b32_e32 v23, 7, v10
; %bb.1135:                             ;   in Loop: Header=BB364_924 Depth=1
	s_or_b32 exec_lo, exec_lo, s20
	v_lshlrev_b32_e32 v10, 16, v21
	v_lshlrev_b32_e32 v11, 20, v23
	v_lshl_add_u32 v1, v1, 23, 0x3c000000
	v_and_b32_e32 v10, 0x80000000, v10
	v_or3_b32 v1, v11, v10, v1
.LBB364_1136:                           ;   in Loop: Header=BB364_924 Depth=1
	s_or_b32 exec_lo, exec_lo, s19
.LBB364_1137:                           ;   in Loop: Header=BB364_924 Depth=1
	s_or_b32 exec_lo, exec_lo, s18
.LBB364_1138:                           ;   in Loop: Header=BB364_924 Depth=1
	s_or_b32 exec_lo, exec_lo, s15
	v_and_b32_sdwa v11, v21, v67 dst_sel:DWORD dst_unused:UNUSED_PAD src0_sel:WORD_1 src1_sel:DWORD
	v_mov_b32_e32 v13, 0
	v_mov_b32_e32 v10, 0
	s_mov_b32 s15, exec_lo
	v_cmpx_ne_u16_e32 0, v11
	s_cbranch_execz .LBB364_1146
; %bb.1139:                             ;   in Loop: Header=BB364_924 Depth=1
	v_bfrev_b32_e32 v10, 1
	s_mov_b32 s18, exec_lo
	v_cmpx_ne_u16_e32 0x80, v11
	s_cbranch_execz .LBB364_1145
; %bb.1140:                             ;   in Loop: Header=BB364_924 Depth=1
	v_bfe_u32 v14, v21, 16, 7
	v_mov_b32_e32 v10, 0x7f800001
	s_mov_b32 s19, exec_lo
	v_cmpx_ne_u32_e32 0x7f, v14
	s_cbranch_execz .LBB364_1144
; %bb.1141:                             ;   in Loop: Header=BB364_924 Depth=1
	v_mov_b32_e32 v10, 7
	s_mov_b32 s20, exec_lo
	v_and_b32_sdwa v11, v21, v10 dst_sel:DWORD dst_unused:UNUSED_PAD src0_sel:WORD_1 src1_sel:DWORD
	v_mov_b32_e32 v24, v12
	v_lshrrev_b32_e32 v10, 3, v14
	v_mov_b32_e32 v23, v11
	v_cmpx_gt_u32_e32 8, v14
; %bb.1142:                             ;   in Loop: Header=BB364_924 Depth=1
	v_ffbh_u32_e32 v10, v11
	v_min_u32_e32 v10, 32, v10
	v_subrev_nc_u32_e32 v14, 28, v10
	v_sub_nc_u32_e32 v10, 29, v10
	v_lshlrev_b64 v[17:18], v14, v[11:12]
	v_and_b32_e32 v23, 7, v17
; %bb.1143:                             ;   in Loop: Header=BB364_924 Depth=1
	s_or_b32 exec_lo, exec_lo, s20
	v_mov_b32_e32 v11, 24
	v_lshlrev_b32_e32 v14, 20, v23
	v_lshl_add_u32 v10, v10, 23, 0x3c000000
	v_lshlrev_b32_sdwa v11, v11, v21 dst_sel:DWORD dst_unused:UNUSED_PAD src0_sel:DWORD src1_sel:WORD_1
	v_and_b32_e32 v11, 0x80000000, v11
	v_or3_b32 v10, v14, v11, v10
.LBB364_1144:                           ;   in Loop: Header=BB364_924 Depth=1
	s_or_b32 exec_lo, exec_lo, s19
.LBB364_1145:                           ;   in Loop: Header=BB364_924 Depth=1
	s_or_b32 exec_lo, exec_lo, s18
.LBB364_1146:                           ;   in Loop: Header=BB364_924 Depth=1
	s_or_b32 exec_lo, exec_lo, s15
	s_mov_b32 s15, exec_lo
	v_cmpx_lt_u32_e32 0xffffff, v21
	s_cbranch_execz .LBB364_1154
; %bb.1147:                             ;   in Loop: Header=BB364_924 Depth=1
	v_cmp_ne_u32_sdwa s4, v21, v65 src0_sel:BYTE_3 src1_sel:DWORD
	v_bfrev_b32_e32 v13, 1
	s_and_saveexec_b32 s18, s4
	s_cbranch_execz .LBB364_1153
; %bb.1148:                             ;   in Loop: Header=BB364_924 Depth=1
	v_bfe_u32 v14, v21, 24, 7
	v_mov_b32_e32 v13, 0x7f800001
	s_mov_b32 s19, exec_lo
	v_cmpx_ne_u32_e32 0x7f, v14
	s_cbranch_execz .LBB364_1152
; %bb.1149:                             ;   in Loop: Header=BB364_924 Depth=1
	v_mov_b32_e32 v11, 7
	v_lshrrev_b32_e32 v13, 3, v14
	s_mov_b32 s20, exec_lo
	v_and_b32_sdwa v11, v21, v11 dst_sel:DWORD dst_unused:UNUSED_PAD src0_sel:BYTE_3 src1_sel:DWORD
	v_mov_b32_e32 v24, v12
	v_mov_b32_e32 v23, v11
	v_cmpx_gt_u32_e32 8, v14
; %bb.1150:                             ;   in Loop: Header=BB364_924 Depth=1
	v_ffbh_u32_e32 v13, v11
	v_min_u32_e32 v13, 32, v13
	v_subrev_nc_u32_e32 v14, 28, v13
	v_sub_nc_u32_e32 v13, 29, v13
	v_lshlrev_b64 v[17:18], v14, v[11:12]
	v_and_b32_e32 v23, 7, v17
; %bb.1151:                             ;   in Loop: Header=BB364_924 Depth=1
	s_or_b32 exec_lo, exec_lo, s20
	v_mov_b32_e32 v11, 24
	v_lshlrev_b32_e32 v14, 20, v23
	v_lshl_add_u32 v13, v13, 23, 0x3c000000
	v_lshlrev_b32_sdwa v11, v11, v21 dst_sel:DWORD dst_unused:UNUSED_PAD src0_sel:DWORD src1_sel:BYTE_3
	v_and_b32_e32 v11, 0x80000000, v11
	v_or3_b32 v13, v14, v11, v13
.LBB364_1152:                           ;   in Loop: Header=BB364_924 Depth=1
	s_or_b32 exec_lo, exec_lo, s19
.LBB364_1153:                           ;   in Loop: Header=BB364_924 Depth=1
	s_or_b32 exec_lo, exec_lo, s18
.LBB364_1154:                           ;   in Loop: Header=BB364_924 Depth=1
	s_or_b32 exec_lo, exec_lo, s15
	v_mov_b32_e32 v11, v22
	v_cmp_ne_u16_sdwa s4, v22, v12 src0_sel:BYTE_0 src1_sel:DWORD
	v_mov_b32_e32 v17, 0
	v_mov_b32_e32 v14, 0
	s_and_saveexec_b32 s15, s4
	s_cbranch_execz .LBB364_1162
; %bb.1155:                             ;   in Loop: Header=BB364_924 Depth=1
	v_cmp_ne_u16_sdwa s4, v22, v65 src0_sel:BYTE_0 src1_sel:DWORD
	v_bfrev_b32_e32 v14, 1
	s_and_saveexec_b32 s18, s4
	s_cbranch_execz .LBB364_1161
; %bb.1156:                             ;   in Loop: Header=BB364_924 Depth=1
	v_and_b32_e32 v18, 0x7f, v22
	v_mov_b32_e32 v14, 0x7f800001
	s_mov_b32 s19, exec_lo
	v_cmpx_ne_u32_e32 0x7f, v18
	s_cbranch_execz .LBB364_1160
; %bb.1157:                             ;   in Loop: Header=BB364_924 Depth=1
	v_mov_b32_e32 v24, v12
	v_lshrrev_b32_e32 v14, 3, v18
	v_mov_b32_e32 v23, v11
	s_mov_b32 s20, exec_lo
	v_cmpx_gt_u32_e32 8, v18
; %bb.1158:                             ;   in Loop: Header=BB364_924 Depth=1
	v_and_b32_e32 v14, 7, v22
	v_ffbh_u32_e32 v14, v14
	v_min_u32_e32 v14, 32, v14
	v_subrev_nc_u32_e32 v18, 28, v14
	v_sub_nc_u32_e32 v14, 29, v14
	v_lshlrev_b64 v[23:24], v18, v[11:12]
; %bb.1159:                             ;   in Loop: Header=BB364_924 Depth=1
	s_or_b32 exec_lo, exec_lo, s20
	v_lshlrev_b32_e32 v18, 20, v23
	v_lshlrev_b32_e32 v23, 24, v11
	v_lshl_add_u32 v14, v14, 23, 0x3c000000
	v_and_b32_e32 v18, 0x700000, v18
	v_and_b32_e32 v23, 0x80000000, v23
	v_or3_b32 v14, v18, v23, v14
.LBB364_1160:                           ;   in Loop: Header=BB364_924 Depth=1
	s_or_b32 exec_lo, exec_lo, s19
.LBB364_1161:                           ;   in Loop: Header=BB364_924 Depth=1
	s_or_b32 exec_lo, exec_lo, s18
.LBB364_1162:                           ;   in Loop: Header=BB364_924 Depth=1
	s_or_b32 exec_lo, exec_lo, s15
	v_cmp_ne_u16_sdwa s4, v11, v12 src0_sel:BYTE_1 src1_sel:DWORD
	s_and_saveexec_b32 s15, s4
	s_cbranch_execz .LBB364_1170
; %bb.1163:                             ;   in Loop: Header=BB364_924 Depth=1
	v_cmp_ne_u16_sdwa s4, v11, v65 src0_sel:BYTE_1 src1_sel:DWORD
	v_bfrev_b32_e32 v17, 1
	s_and_saveexec_b32 s18, s4
	s_cbranch_execz .LBB364_1169
; %bb.1164:                             ;   in Loop: Header=BB364_924 Depth=1
	v_mov_b32_e32 v17, 0xffff
	s_mov_b32 s19, exec_lo
	v_and_b32_sdwa v23, v17, v11 dst_sel:DWORD dst_unused:UNUSED_PAD src0_sel:DWORD src1_sel:BYTE_1
	v_mov_b32_e32 v17, 0x7f800001
	v_and_b32_e32 v18, 0x7f, v23
	v_cmpx_ne_u32_e32 0x7f, v18
	s_cbranch_execz .LBB364_1168
; %bb.1165:                             ;   in Loop: Header=BB364_924 Depth=1
	v_and_b32_e32 v23, 7, v23
	v_mov_b32_e32 v24, v12
	v_lshrrev_b32_e32 v17, 3, v18
	s_mov_b32 s20, exec_lo
	v_cmpx_gt_u32_e32 8, v18
; %bb.1166:                             ;   in Loop: Header=BB364_924 Depth=1
	v_ffbh_u32_e32 v17, v23
	v_min_u32_e32 v17, 32, v17
	v_subrev_nc_u32_e32 v18, 28, v17
	v_sub_nc_u32_e32 v17, 29, v17
	v_lshlrev_b64 v[23:24], v18, v[23:24]
	v_and_b32_e32 v23, 7, v23
; %bb.1167:                             ;   in Loop: Header=BB364_924 Depth=1
	s_or_b32 exec_lo, exec_lo, s20
	v_lshlrev_b32_e32 v11, 16, v11
	v_lshlrev_b32_e32 v18, 20, v23
	v_lshl_add_u32 v17, v17, 23, 0x3c000000
	v_and_b32_e32 v11, 0x80000000, v11
	v_or3_b32 v17, v18, v11, v17
.LBB364_1168:                           ;   in Loop: Header=BB364_924 Depth=1
	s_or_b32 exec_lo, exec_lo, s19
.LBB364_1169:                           ;   in Loop: Header=BB364_924 Depth=1
	s_or_b32 exec_lo, exec_lo, s18
.LBB364_1170:                           ;   in Loop: Header=BB364_924 Depth=1
	s_or_b32 exec_lo, exec_lo, s15
	v_and_b32_sdwa v11, v22, v67 dst_sel:DWORD dst_unused:UNUSED_PAD src0_sel:WORD_1 src1_sel:DWORD
	v_mov_b32_e32 v18, 0
	v_mov_b32_e32 v25, 0
	s_mov_b32 s15, exec_lo
	v_cmpx_ne_u16_e32 0, v11
	s_cbranch_execz .LBB364_1178
; %bb.1171:                             ;   in Loop: Header=BB364_924 Depth=1
	v_bfrev_b32_e32 v25, 1
	s_mov_b32 s18, exec_lo
	v_cmpx_ne_u16_e32 0x80, v11
	s_cbranch_execz .LBB364_1177
; %bb.1172:                             ;   in Loop: Header=BB364_924 Depth=1
	v_bfe_u32 v23, v22, 16, 7
	v_mov_b32_e32 v25, 0x7f800001
	s_mov_b32 s19, exec_lo
	v_cmpx_ne_u32_e32 0x7f, v23
	s_cbranch_execz .LBB364_1176
; %bb.1173:                             ;   in Loop: Header=BB364_924 Depth=1
	v_mov_b32_e32 v11, 7
	v_lshrrev_b32_e32 v25, 3, v23
	v_cmp_gt_u32_e64 s4, 8, v23
	v_and_b32_sdwa v11, v22, v11 dst_sel:DWORD dst_unused:UNUSED_PAD src0_sel:WORD_1 src1_sel:DWORD
	v_mov_b32_e32 v24, v12
	v_mov_b32_e32 v23, v11
	s_and_saveexec_b32 s20, s4
; %bb.1174:                             ;   in Loop: Header=BB364_924 Depth=1
	v_ffbh_u32_e32 v23, v11
	v_min_u32_e32 v25, 32, v23
	v_subrev_nc_u32_e32 v23, 28, v25
	v_sub_nc_u32_e32 v25, 29, v25
	v_lshlrev_b64 v[23:24], v23, v[11:12]
	v_and_b32_e32 v23, 7, v23
; %bb.1175:                             ;   in Loop: Header=BB364_924 Depth=1
	s_or_b32 exec_lo, exec_lo, s20
	v_mov_b32_e32 v11, 24
	v_lshlrev_b32_e32 v23, 20, v23
	v_lshl_add_u32 v24, v25, 23, 0x3c000000
	v_lshlrev_b32_sdwa v11, v11, v22 dst_sel:DWORD dst_unused:UNUSED_PAD src0_sel:DWORD src1_sel:WORD_1
	v_and_b32_e32 v11, 0x80000000, v11
	v_or3_b32 v25, v23, v11, v24
.LBB364_1176:                           ;   in Loop: Header=BB364_924 Depth=1
	s_or_b32 exec_lo, exec_lo, s19
.LBB364_1177:                           ;   in Loop: Header=BB364_924 Depth=1
	s_or_b32 exec_lo, exec_lo, s18
.LBB364_1178:                           ;   in Loop: Header=BB364_924 Depth=1
	s_or_b32 exec_lo, exec_lo, s15
	s_mov_b32 s15, exec_lo
	v_cmpx_lt_u64_e64 s[6:7], v[21:22]
	s_cbranch_execz .LBB364_1186
; %bb.1179:                             ;   in Loop: Header=BB364_924 Depth=1
	v_cmp_ne_u32_sdwa s4, v22, v65 src0_sel:BYTE_3 src1_sel:DWORD
	v_bfrev_b32_e32 v18, 1
	s_and_saveexec_b32 s18, s4
	s_cbranch_execz .LBB364_1185
; %bb.1180:                             ;   in Loop: Header=BB364_924 Depth=1
	v_bfe_u32 v21, v22, 24, 7
	v_mov_b32_e32 v18, 0x7f800001
	s_mov_b32 s19, exec_lo
	v_cmpx_ne_u32_e32 0x7f, v21
	s_cbranch_execz .LBB364_1184
; %bb.1181:                             ;   in Loop: Header=BB364_924 Depth=1
	v_mov_b32_e32 v11, 7
	v_lshrrev_b32_e32 v18, 3, v21
	s_mov_b32 s20, exec_lo
	v_and_b32_sdwa v11, v22, v11 dst_sel:DWORD dst_unused:UNUSED_PAD src0_sel:BYTE_3 src1_sel:DWORD
	v_mov_b32_e32 v24, v12
	v_mov_b32_e32 v23, v11
	v_cmpx_gt_u32_e32 8, v21
; %bb.1182:                             ;   in Loop: Header=BB364_924 Depth=1
	v_ffbh_u32_e32 v18, v11
	v_min_u32_e32 v18, 32, v18
	v_subrev_nc_u32_e32 v21, 28, v18
	v_sub_nc_u32_e32 v18, 29, v18
	v_lshlrev_b64 v[23:24], v21, v[11:12]
	v_and_b32_e32 v23, 7, v23
; %bb.1183:                             ;   in Loop: Header=BB364_924 Depth=1
	s_or_b32 exec_lo, exec_lo, s20
	v_mov_b32_e32 v11, 24
	v_lshlrev_b32_e32 v21, 20, v23
	v_lshl_add_u32 v18, v18, 23, 0x3c000000
	v_lshlrev_b32_sdwa v11, v11, v22 dst_sel:DWORD dst_unused:UNUSED_PAD src0_sel:DWORD src1_sel:BYTE_3
	v_and_b32_e32 v11, 0x80000000, v11
	v_or3_b32 v18, v21, v11, v18
.LBB364_1184:                           ;   in Loop: Header=BB364_924 Depth=1
	s_or_b32 exec_lo, exec_lo, s19
.LBB364_1185:                           ;   in Loop: Header=BB364_924 Depth=1
	s_or_b32 exec_lo, exec_lo, s18
.LBB364_1186:                           ;   in Loop: Header=BB364_924 Depth=1
	s_or_b32 exec_lo, exec_lo, s15
	v_mul_f32_e32 v11, v54, v17
	v_mul_f32_e32 v14, v54, v14
	;; [unrolled: 1-line block ×5, first 2 shown]
	v_bfe_u32 v17, v11, 16, 1
	v_or_b32_e32 v21, 0x400000, v11
	v_bfe_u32 v22, v14, 16, 1
	v_cmp_u_f32_e64 s4, v11, v11
	v_or_b32_e32 v23, 0x400000, v14
	v_add3_u32 v17, v17, v11, 0x7fff
	v_bfe_u32 v24, v13, 16, 1
	v_add3_u32 v22, v22, v14, 0x7fff
	v_or_b32_e32 v26, 0x400000, v13
	v_bfe_u32 v28, v10, 16, 1
	v_cndmask_b32_e64 v11, v17, v21, s4
	v_cmp_u_f32_e64 s4, v14, v14
	v_add3_u32 v24, v24, v13, 0x7fff
	v_or_b32_e32 v17, 0x400000, v10
	v_mul_f32_e32 v0, v54, v0
	v_lshrrev_b32_e32 v11, 16, v11
	v_cndmask_b32_e64 v14, v22, v23, s4
	v_cmp_u_f32_e64 s4, v13, v13
	buffer_store_dword v11, off, s[0:3], s32 offset:308 ; 4-byte Folded Spill
	v_add3_u32 v11, v28, v10, 0x7fff
	v_cndmask_b32_e64 v13, v24, v26, s4
	v_lshrrev_b32_e32 v14, 16, v14
	v_cmp_u_f32_e64 s4, v10, v10
	v_lshrrev_b32_e32 v43, 16, v13
	v_bfe_u32 v13, v1, 16, 1
	buffer_store_dword v14, off, s[0:3], s32 offset:300 ; 4-byte Folded Spill
	v_cndmask_b32_e64 v10, v11, v17, s4
	v_mul_f32_e32 v11, v54, v25
	v_or_b32_e32 v14, 0x400000, v1
	v_add3_u32 v13, v13, v1, 0x7fff
	v_mul_f32_e32 v17, v54, v18
	v_bfe_u32 v18, v0, 16, 1
	v_cmp_u_f32_e64 s4, v1, v1
	v_bfe_u32 v21, v11, 16, 1
	v_or_b32_e32 v22, 0x400000, v11
	v_or_b32_e32 v23, 0x400000, v17
	v_lshrrev_b32_e32 v44, 16, v10
	v_cndmask_b32_e64 v1, v13, v14, s4
	v_add3_u32 v14, v18, v0, 0x7fff
	v_or_b32_e32 v18, 0x400000, v0
	v_cmp_u_f32_e64 s4, v0, v0
	v_bfe_u32 v13, v17, 16, 1
	v_add3_u32 v21, v21, v11, 0x7fff
	v_lshrrev_b32_e32 v46, 16, v1
	v_cndmask_b32_e64 v0, v14, v18, s4
	v_cmp_u_f32_e64 s4, v11, v11
	v_add3_u32 v13, v13, v17, 0x7fff
	v_lshrrev_b32_e32 v45, 16, v0
	v_cndmask_b32_e64 v11, v21, v22, s4
	v_cmp_u_f32_e64 s4, v17, v17
	v_lshrrev_b32_e32 v0, 16, v11
	v_cndmask_b32_e64 v13, v13, v23, s4
	buffer_store_dword v0, off, s[0:3], s32 offset:296 ; 4-byte Folded Spill
	v_lshrrev_b32_e32 v0, 16, v13
	buffer_store_dword v0, off, s[0:3], s32 offset:304 ; 4-byte Folded Spill
	s_and_saveexec_b32 s15, vcc_lo
	s_cbranch_execz .LBB364_1188
; %bb.1187:                             ;   in Loop: Header=BB364_924 Depth=1
	buffer_load_dword v0, off, s[0:3], s32 offset:300 ; 4-byte Folded Reload
	v_cmp_lt_i32_e64 s4, v47, v30
	v_cndmask_b32_e64 v45, 0, v45, s4
	v_cmp_lt_i32_e64 s4, v61, v30
	v_cndmask_b32_e64 v46, 0, v46, s4
	;; [unrolled: 2-line block ×4, first 2 shown]
	v_cmp_lt_i32_e64 s4, v58, v30
	s_waitcnt vmcnt(0)
	v_cndmask_b32_e64 v0, 0, v0, s4
	v_cmp_lt_i32_e64 s4, v57, v30
	buffer_store_dword v0, off, s[0:3], s32 offset:300 ; 4-byte Folded Spill
	buffer_load_dword v0, off, s[0:3], s32 offset:308 ; 4-byte Folded Reload
	s_waitcnt vmcnt(0)
	v_cndmask_b32_e64 v0, 0, v0, s4
	v_cmp_lt_i32_e64 s4, v56, v30
	buffer_store_dword v0, off, s[0:3], s32 offset:308 ; 4-byte Folded Spill
	buffer_load_dword v0, off, s[0:3], s32 offset:296 ; 4-byte Folded Reload
	;; [unrolled: 5-line block ×3, first 2 shown]
	s_waitcnt vmcnt(0)
	v_cndmask_b32_e64 v0, 0, v0, s4
	buffer_store_dword v0, off, s[0:3], s32 offset:304 ; 4-byte Folded Spill
.LBB364_1188:                           ;   in Loop: Header=BB364_924 Depth=1
	s_or_b32 exec_lo, exec_lo, s15
	flat_load_dwordx2 v[21:22], v[19:20] offset:1024
	v_mov_b32_e32 v1, 0
	v_mov_b32_e32 v0, 0
	s_waitcnt vmcnt(0) lgkmcnt(0)
	v_cmp_ne_u16_sdwa s4, v21, v12 src0_sel:BYTE_0 src1_sel:DWORD
	s_and_saveexec_b32 s15, s4
	s_cbranch_execz .LBB364_1196
; %bb.1189:                             ;   in Loop: Header=BB364_924 Depth=1
	v_cmp_ne_u16_sdwa s4, v21, v65 src0_sel:BYTE_0 src1_sel:DWORD
	v_bfrev_b32_e32 v0, 1
	s_and_saveexec_b32 s18, s4
	s_cbranch_execz .LBB364_1195
; %bb.1190:                             ;   in Loop: Header=BB364_924 Depth=1
	v_and_b32_e32 v10, 0x7f, v21
	v_mov_b32_e32 v0, 0x7f800001
	s_mov_b32 s19, exec_lo
	v_cmpx_ne_u32_e32 0x7f, v10
	s_cbranch_execz .LBB364_1194
; %bb.1191:                             ;   in Loop: Header=BB364_924 Depth=1
	v_lshrrev_b32_e32 v0, 3, v10
	v_cmp_gt_u32_e64 s4, 8, v10
	v_mov_b32_e32 v10, v21
	v_mov_b32_e32 v11, v22
	s_and_saveexec_b32 s20, s4
; %bb.1192:                             ;   in Loop: Header=BB364_924 Depth=1
	v_and_b32_e32 v0, 7, v21
	v_ffbh_u32_e32 v0, v0
	v_min_u32_e32 v0, 32, v0
	v_subrev_nc_u32_e32 v10, 28, v0
	v_sub_nc_u32_e32 v0, 29, v0
	v_lshlrev_b64 v[10:11], v10, v[21:22]
; %bb.1193:                             ;   in Loop: Header=BB364_924 Depth=1
	s_or_b32 exec_lo, exec_lo, s20
	v_lshlrev_b32_e32 v10, 20, v10
	v_lshlrev_b32_e32 v11, 24, v21
	v_lshl_add_u32 v0, v0, 23, 0x3c000000
	v_and_b32_e32 v10, 0x700000, v10
	v_and_b32_e32 v11, 0x80000000, v11
	v_or3_b32 v0, v10, v11, v0
.LBB364_1194:                           ;   in Loop: Header=BB364_924 Depth=1
	s_or_b32 exec_lo, exec_lo, s19
.LBB364_1195:                           ;   in Loop: Header=BB364_924 Depth=1
	s_or_b32 exec_lo, exec_lo, s18
.LBB364_1196:                           ;   in Loop: Header=BB364_924 Depth=1
	s_or_b32 exec_lo, exec_lo, s15
	v_cmp_ne_u16_sdwa s4, v21, v12 src0_sel:BYTE_1 src1_sel:DWORD
	s_and_saveexec_b32 s15, s4
	s_cbranch_execz .LBB364_1204
; %bb.1197:                             ;   in Loop: Header=BB364_924 Depth=1
	v_cmp_ne_u16_sdwa s4, v21, v65 src0_sel:BYTE_1 src1_sel:DWORD
	v_bfrev_b32_e32 v1, 1
	s_and_saveexec_b32 s18, s4
	s_cbranch_execz .LBB364_1203
; %bb.1198:                             ;   in Loop: Header=BB364_924 Depth=1
	v_mov_b32_e32 v1, 0xffff
	s_mov_b32 s19, exec_lo
	v_and_b32_sdwa v11, v1, v21 dst_sel:DWORD dst_unused:UNUSED_PAD src0_sel:DWORD src1_sel:BYTE_1
	v_mov_b32_e32 v1, 0x7f800001
	v_and_b32_e32 v10, 0x7f, v11
	v_cmpx_ne_u32_e32 0x7f, v10
	s_cbranch_execz .LBB364_1202
; %bb.1199:                             ;   in Loop: Header=BB364_924 Depth=1
	v_and_b32_e32 v11, 7, v11
	v_mov_b32_e32 v24, v12
	v_lshrrev_b32_e32 v1, 3, v10
	s_mov_b32 s20, exec_lo
	v_mov_b32_e32 v23, v11
	v_cmpx_gt_u32_e32 8, v10
; %bb.1200:                             ;   in Loop: Header=BB364_924 Depth=1
	v_ffbh_u32_e32 v1, v11
	v_min_u32_e32 v1, 32, v1
	v_subrev_nc_u32_e32 v10, 28, v1
	v_sub_nc_u32_e32 v1, 29, v1
	v_lshlrev_b64 v[10:11], v10, v[11:12]
	v_and_b32_e32 v23, 7, v10
; %bb.1201:                             ;   in Loop: Header=BB364_924 Depth=1
	s_or_b32 exec_lo, exec_lo, s20
	v_lshlrev_b32_e32 v10, 16, v21
	v_lshlrev_b32_e32 v11, 20, v23
	v_lshl_add_u32 v1, v1, 23, 0x3c000000
	v_and_b32_e32 v10, 0x80000000, v10
	v_or3_b32 v1, v11, v10, v1
.LBB364_1202:                           ;   in Loop: Header=BB364_924 Depth=1
	s_or_b32 exec_lo, exec_lo, s19
.LBB364_1203:                           ;   in Loop: Header=BB364_924 Depth=1
	s_or_b32 exec_lo, exec_lo, s18
.LBB364_1204:                           ;   in Loop: Header=BB364_924 Depth=1
	s_or_b32 exec_lo, exec_lo, s15
	v_and_b32_sdwa v11, v21, v67 dst_sel:DWORD dst_unused:UNUSED_PAD src0_sel:WORD_1 src1_sel:DWORD
	v_mov_b32_e32 v13, 0
	v_mov_b32_e32 v10, 0
	s_mov_b32 s15, exec_lo
	v_cmpx_ne_u16_e32 0, v11
	s_cbranch_execz .LBB364_1212
; %bb.1205:                             ;   in Loop: Header=BB364_924 Depth=1
	v_bfrev_b32_e32 v10, 1
	s_mov_b32 s18, exec_lo
	v_cmpx_ne_u16_e32 0x80, v11
	s_cbranch_execz .LBB364_1211
; %bb.1206:                             ;   in Loop: Header=BB364_924 Depth=1
	v_bfe_u32 v14, v21, 16, 7
	v_mov_b32_e32 v10, 0x7f800001
	s_mov_b32 s19, exec_lo
	v_cmpx_ne_u32_e32 0x7f, v14
	s_cbranch_execz .LBB364_1210
; %bb.1207:                             ;   in Loop: Header=BB364_924 Depth=1
	v_mov_b32_e32 v10, 7
	s_mov_b32 s20, exec_lo
	v_and_b32_sdwa v11, v21, v10 dst_sel:DWORD dst_unused:UNUSED_PAD src0_sel:WORD_1 src1_sel:DWORD
	v_mov_b32_e32 v24, v12
	v_lshrrev_b32_e32 v10, 3, v14
	v_mov_b32_e32 v23, v11
	v_cmpx_gt_u32_e32 8, v14
; %bb.1208:                             ;   in Loop: Header=BB364_924 Depth=1
	v_ffbh_u32_e32 v10, v11
	v_min_u32_e32 v10, 32, v10
	v_subrev_nc_u32_e32 v14, 28, v10
	v_sub_nc_u32_e32 v10, 29, v10
	v_lshlrev_b64 v[17:18], v14, v[11:12]
	v_and_b32_e32 v23, 7, v17
; %bb.1209:                             ;   in Loop: Header=BB364_924 Depth=1
	s_or_b32 exec_lo, exec_lo, s20
	v_mov_b32_e32 v11, 24
	v_lshlrev_b32_e32 v14, 20, v23
	v_lshl_add_u32 v10, v10, 23, 0x3c000000
	v_lshlrev_b32_sdwa v11, v11, v21 dst_sel:DWORD dst_unused:UNUSED_PAD src0_sel:DWORD src1_sel:WORD_1
	v_and_b32_e32 v11, 0x80000000, v11
	v_or3_b32 v10, v14, v11, v10
.LBB364_1210:                           ;   in Loop: Header=BB364_924 Depth=1
	s_or_b32 exec_lo, exec_lo, s19
.LBB364_1211:                           ;   in Loop: Header=BB364_924 Depth=1
	s_or_b32 exec_lo, exec_lo, s18
.LBB364_1212:                           ;   in Loop: Header=BB364_924 Depth=1
	s_or_b32 exec_lo, exec_lo, s15
	s_mov_b32 s15, exec_lo
	v_cmpx_lt_u32_e32 0xffffff, v21
	s_cbranch_execz .LBB364_1220
; %bb.1213:                             ;   in Loop: Header=BB364_924 Depth=1
	v_cmp_ne_u32_sdwa s4, v21, v65 src0_sel:BYTE_3 src1_sel:DWORD
	v_bfrev_b32_e32 v13, 1
	s_and_saveexec_b32 s18, s4
	s_cbranch_execz .LBB364_1219
; %bb.1214:                             ;   in Loop: Header=BB364_924 Depth=1
	v_bfe_u32 v14, v21, 24, 7
	v_mov_b32_e32 v13, 0x7f800001
	s_mov_b32 s19, exec_lo
	v_cmpx_ne_u32_e32 0x7f, v14
	s_cbranch_execz .LBB364_1218
; %bb.1215:                             ;   in Loop: Header=BB364_924 Depth=1
	v_mov_b32_e32 v11, 7
	v_lshrrev_b32_e32 v13, 3, v14
	s_mov_b32 s20, exec_lo
	v_and_b32_sdwa v11, v21, v11 dst_sel:DWORD dst_unused:UNUSED_PAD src0_sel:BYTE_3 src1_sel:DWORD
	v_mov_b32_e32 v24, v12
	v_mov_b32_e32 v23, v11
	v_cmpx_gt_u32_e32 8, v14
; %bb.1216:                             ;   in Loop: Header=BB364_924 Depth=1
	v_ffbh_u32_e32 v13, v11
	v_min_u32_e32 v13, 32, v13
	v_subrev_nc_u32_e32 v14, 28, v13
	v_sub_nc_u32_e32 v13, 29, v13
	v_lshlrev_b64 v[17:18], v14, v[11:12]
	v_and_b32_e32 v23, 7, v17
; %bb.1217:                             ;   in Loop: Header=BB364_924 Depth=1
	s_or_b32 exec_lo, exec_lo, s20
	v_mov_b32_e32 v11, 24
	v_lshlrev_b32_e32 v14, 20, v23
	v_lshl_add_u32 v13, v13, 23, 0x3c000000
	v_lshlrev_b32_sdwa v11, v11, v21 dst_sel:DWORD dst_unused:UNUSED_PAD src0_sel:DWORD src1_sel:BYTE_3
	v_and_b32_e32 v11, 0x80000000, v11
	v_or3_b32 v13, v14, v11, v13
.LBB364_1218:                           ;   in Loop: Header=BB364_924 Depth=1
	s_or_b32 exec_lo, exec_lo, s19
.LBB364_1219:                           ;   in Loop: Header=BB364_924 Depth=1
	s_or_b32 exec_lo, exec_lo, s18
.LBB364_1220:                           ;   in Loop: Header=BB364_924 Depth=1
	s_or_b32 exec_lo, exec_lo, s15
	v_mov_b32_e32 v11, v22
	v_cmp_ne_u16_sdwa s4, v22, v12 src0_sel:BYTE_0 src1_sel:DWORD
	v_mov_b32_e32 v17, 0
	v_mov_b32_e32 v14, 0
	s_and_saveexec_b32 s15, s4
	s_cbranch_execz .LBB364_1228
; %bb.1221:                             ;   in Loop: Header=BB364_924 Depth=1
	v_cmp_ne_u16_sdwa s4, v22, v65 src0_sel:BYTE_0 src1_sel:DWORD
	v_bfrev_b32_e32 v14, 1
	s_and_saveexec_b32 s18, s4
	s_cbranch_execz .LBB364_1227
; %bb.1222:                             ;   in Loop: Header=BB364_924 Depth=1
	v_and_b32_e32 v18, 0x7f, v22
	v_mov_b32_e32 v14, 0x7f800001
	s_mov_b32 s19, exec_lo
	v_cmpx_ne_u32_e32 0x7f, v18
	s_cbranch_execz .LBB364_1226
; %bb.1223:                             ;   in Loop: Header=BB364_924 Depth=1
	v_mov_b32_e32 v24, v12
	v_lshrrev_b32_e32 v14, 3, v18
	v_mov_b32_e32 v23, v11
	s_mov_b32 s20, exec_lo
	v_cmpx_gt_u32_e32 8, v18
; %bb.1224:                             ;   in Loop: Header=BB364_924 Depth=1
	v_and_b32_e32 v14, 7, v22
	v_ffbh_u32_e32 v14, v14
	v_min_u32_e32 v14, 32, v14
	v_subrev_nc_u32_e32 v18, 28, v14
	v_sub_nc_u32_e32 v14, 29, v14
	v_lshlrev_b64 v[23:24], v18, v[11:12]
; %bb.1225:                             ;   in Loop: Header=BB364_924 Depth=1
	s_or_b32 exec_lo, exec_lo, s20
	v_lshlrev_b32_e32 v18, 20, v23
	v_lshlrev_b32_e32 v23, 24, v11
	v_lshl_add_u32 v14, v14, 23, 0x3c000000
	v_and_b32_e32 v18, 0x700000, v18
	v_and_b32_e32 v23, 0x80000000, v23
	v_or3_b32 v14, v18, v23, v14
.LBB364_1226:                           ;   in Loop: Header=BB364_924 Depth=1
	s_or_b32 exec_lo, exec_lo, s19
.LBB364_1227:                           ;   in Loop: Header=BB364_924 Depth=1
	s_or_b32 exec_lo, exec_lo, s18
.LBB364_1228:                           ;   in Loop: Header=BB364_924 Depth=1
	s_or_b32 exec_lo, exec_lo, s15
	v_cmp_ne_u16_sdwa s4, v11, v12 src0_sel:BYTE_1 src1_sel:DWORD
	s_and_saveexec_b32 s15, s4
	s_cbranch_execz .LBB364_1236
; %bb.1229:                             ;   in Loop: Header=BB364_924 Depth=1
	v_cmp_ne_u16_sdwa s4, v11, v65 src0_sel:BYTE_1 src1_sel:DWORD
	v_bfrev_b32_e32 v17, 1
	s_and_saveexec_b32 s18, s4
	s_cbranch_execz .LBB364_1235
; %bb.1230:                             ;   in Loop: Header=BB364_924 Depth=1
	v_mov_b32_e32 v17, 0xffff
	s_mov_b32 s19, exec_lo
	v_and_b32_sdwa v23, v17, v11 dst_sel:DWORD dst_unused:UNUSED_PAD src0_sel:DWORD src1_sel:BYTE_1
	v_mov_b32_e32 v17, 0x7f800001
	v_and_b32_e32 v18, 0x7f, v23
	v_cmpx_ne_u32_e32 0x7f, v18
	s_cbranch_execz .LBB364_1234
; %bb.1231:                             ;   in Loop: Header=BB364_924 Depth=1
	v_and_b32_e32 v23, 7, v23
	v_mov_b32_e32 v24, v12
	v_lshrrev_b32_e32 v17, 3, v18
	s_mov_b32 s20, exec_lo
	v_cmpx_gt_u32_e32 8, v18
; %bb.1232:                             ;   in Loop: Header=BB364_924 Depth=1
	v_ffbh_u32_e32 v17, v23
	v_min_u32_e32 v17, 32, v17
	v_subrev_nc_u32_e32 v18, 28, v17
	v_sub_nc_u32_e32 v17, 29, v17
	v_lshlrev_b64 v[23:24], v18, v[23:24]
	v_and_b32_e32 v23, 7, v23
; %bb.1233:                             ;   in Loop: Header=BB364_924 Depth=1
	s_or_b32 exec_lo, exec_lo, s20
	v_lshlrev_b32_e32 v11, 16, v11
	v_lshlrev_b32_e32 v18, 20, v23
	v_lshl_add_u32 v17, v17, 23, 0x3c000000
	v_and_b32_e32 v11, 0x80000000, v11
	v_or3_b32 v17, v18, v11, v17
.LBB364_1234:                           ;   in Loop: Header=BB364_924 Depth=1
	s_or_b32 exec_lo, exec_lo, s19
.LBB364_1235:                           ;   in Loop: Header=BB364_924 Depth=1
	s_or_b32 exec_lo, exec_lo, s18
.LBB364_1236:                           ;   in Loop: Header=BB364_924 Depth=1
	s_or_b32 exec_lo, exec_lo, s15
	v_and_b32_sdwa v11, v22, v67 dst_sel:DWORD dst_unused:UNUSED_PAD src0_sel:WORD_1 src1_sel:DWORD
	v_mov_b32_e32 v18, 0
	v_mov_b32_e32 v25, 0
	s_mov_b32 s15, exec_lo
	v_cmpx_ne_u16_e32 0, v11
	s_cbranch_execz .LBB364_1244
; %bb.1237:                             ;   in Loop: Header=BB364_924 Depth=1
	v_bfrev_b32_e32 v25, 1
	s_mov_b32 s18, exec_lo
	v_cmpx_ne_u16_e32 0x80, v11
	s_cbranch_execz .LBB364_1243
; %bb.1238:                             ;   in Loop: Header=BB364_924 Depth=1
	v_bfe_u32 v23, v22, 16, 7
	v_mov_b32_e32 v25, 0x7f800001
	s_mov_b32 s19, exec_lo
	v_cmpx_ne_u32_e32 0x7f, v23
	s_cbranch_execz .LBB364_1242
; %bb.1239:                             ;   in Loop: Header=BB364_924 Depth=1
	v_mov_b32_e32 v11, 7
	v_lshrrev_b32_e32 v25, 3, v23
	v_cmp_gt_u32_e64 s4, 8, v23
	v_and_b32_sdwa v11, v22, v11 dst_sel:DWORD dst_unused:UNUSED_PAD src0_sel:WORD_1 src1_sel:DWORD
	v_mov_b32_e32 v24, v12
	v_mov_b32_e32 v23, v11
	s_and_saveexec_b32 s20, s4
; %bb.1240:                             ;   in Loop: Header=BB364_924 Depth=1
	v_ffbh_u32_e32 v23, v11
	v_min_u32_e32 v25, 32, v23
	v_subrev_nc_u32_e32 v23, 28, v25
	v_sub_nc_u32_e32 v25, 29, v25
	v_lshlrev_b64 v[23:24], v23, v[11:12]
	v_and_b32_e32 v23, 7, v23
; %bb.1241:                             ;   in Loop: Header=BB364_924 Depth=1
	s_or_b32 exec_lo, exec_lo, s20
	v_mov_b32_e32 v11, 24
	v_lshlrev_b32_e32 v23, 20, v23
	v_lshl_add_u32 v24, v25, 23, 0x3c000000
	v_lshlrev_b32_sdwa v11, v11, v22 dst_sel:DWORD dst_unused:UNUSED_PAD src0_sel:DWORD src1_sel:WORD_1
	v_and_b32_e32 v11, 0x80000000, v11
	v_or3_b32 v25, v23, v11, v24
.LBB364_1242:                           ;   in Loop: Header=BB364_924 Depth=1
	s_or_b32 exec_lo, exec_lo, s19
.LBB364_1243:                           ;   in Loop: Header=BB364_924 Depth=1
	s_or_b32 exec_lo, exec_lo, s18
.LBB364_1244:                           ;   in Loop: Header=BB364_924 Depth=1
	s_or_b32 exec_lo, exec_lo, s15
	s_mov_b32 s15, exec_lo
	v_cmpx_lt_u64_e64 s[6:7], v[21:22]
	s_cbranch_execz .LBB364_1252
; %bb.1245:                             ;   in Loop: Header=BB364_924 Depth=1
	v_cmp_ne_u32_sdwa s4, v22, v65 src0_sel:BYTE_3 src1_sel:DWORD
	v_bfrev_b32_e32 v18, 1
	s_and_saveexec_b32 s18, s4
	s_cbranch_execz .LBB364_1251
; %bb.1246:                             ;   in Loop: Header=BB364_924 Depth=1
	v_bfe_u32 v21, v22, 24, 7
	v_mov_b32_e32 v18, 0x7f800001
	s_mov_b32 s19, exec_lo
	v_cmpx_ne_u32_e32 0x7f, v21
	s_cbranch_execz .LBB364_1250
; %bb.1247:                             ;   in Loop: Header=BB364_924 Depth=1
	v_mov_b32_e32 v11, 7
	v_lshrrev_b32_e32 v18, 3, v21
	s_mov_b32 s20, exec_lo
	v_and_b32_sdwa v11, v22, v11 dst_sel:DWORD dst_unused:UNUSED_PAD src0_sel:BYTE_3 src1_sel:DWORD
	v_mov_b32_e32 v24, v12
	v_mov_b32_e32 v23, v11
	v_cmpx_gt_u32_e32 8, v21
; %bb.1248:                             ;   in Loop: Header=BB364_924 Depth=1
	v_ffbh_u32_e32 v18, v11
	v_min_u32_e32 v18, 32, v18
	v_subrev_nc_u32_e32 v21, 28, v18
	v_sub_nc_u32_e32 v18, 29, v18
	v_lshlrev_b64 v[23:24], v21, v[11:12]
	v_and_b32_e32 v23, 7, v23
; %bb.1249:                             ;   in Loop: Header=BB364_924 Depth=1
	s_or_b32 exec_lo, exec_lo, s20
	v_mov_b32_e32 v11, 24
	v_lshlrev_b32_e32 v21, 20, v23
	v_lshl_add_u32 v18, v18, 23, 0x3c000000
	v_lshlrev_b32_sdwa v11, v11, v22 dst_sel:DWORD dst_unused:UNUSED_PAD src0_sel:DWORD src1_sel:BYTE_3
	v_and_b32_e32 v11, 0x80000000, v11
	v_or3_b32 v18, v21, v11, v18
.LBB364_1250:                           ;   in Loop: Header=BB364_924 Depth=1
	s_or_b32 exec_lo, exec_lo, s19
.LBB364_1251:                           ;   in Loop: Header=BB364_924 Depth=1
	s_or_b32 exec_lo, exec_lo, s18
.LBB364_1252:                           ;   in Loop: Header=BB364_924 Depth=1
	s_or_b32 exec_lo, exec_lo, s15
	v_mul_f32_e32 v11, v54, v17
	v_mul_f32_e32 v14, v54, v14
	;; [unrolled: 1-line block ×5, first 2 shown]
	v_bfe_u32 v17, v11, 16, 1
	v_or_b32_e32 v21, 0x400000, v11
	v_bfe_u32 v22, v14, 16, 1
	v_cmp_u_f32_e64 s4, v11, v11
	v_or_b32_e32 v23, 0x400000, v14
	v_add3_u32 v17, v17, v11, 0x7fff
	v_bfe_u32 v24, v13, 16, 1
	v_add3_u32 v22, v22, v14, 0x7fff
	v_or_b32_e32 v26, 0x400000, v13
	v_bfe_u32 v28, v10, 16, 1
	v_cndmask_b32_e64 v11, v17, v21, s4
	v_cmp_u_f32_e64 s4, v14, v14
	v_add3_u32 v24, v24, v13, 0x7fff
	v_or_b32_e32 v17, 0x400000, v10
	v_mul_f32_e32 v0, v54, v0
	v_lshrrev_b32_e32 v63, 16, v11
	v_cndmask_b32_e64 v14, v22, v23, s4
	v_cmp_u_f32_e64 s4, v13, v13
	v_add3_u32 v11, v28, v10, 0x7fff
	v_lshrrev_b32_e32 v62, 16, v14
	v_cndmask_b32_e64 v13, v24, v26, s4
	v_cmp_u_f32_e64 s4, v10, v10
	v_or_b32_e32 v14, 0x400000, v1
	v_lshrrev_b32_e32 v74, 16, v13
	v_bfe_u32 v13, v1, 16, 1
	v_cndmask_b32_e64 v10, v11, v17, s4
	v_mul_f32_e32 v11, v54, v25
	v_mul_f32_e32 v17, v54, v18
	v_bfe_u32 v18, v0, 16, 1
	v_add3_u32 v13, v13, v1, 0x7fff
	v_cmp_u_f32_e64 s4, v1, v1
	v_bfe_u32 v21, v11, 16, 1
	v_or_b32_e32 v22, 0x400000, v11
	v_or_b32_e32 v23, 0x400000, v17
	v_lshrrev_b32_e32 v75, 16, v10
	v_cndmask_b32_e64 v1, v13, v14, s4
	v_add3_u32 v14, v18, v0, 0x7fff
	v_or_b32_e32 v18, 0x400000, v0
	v_cmp_u_f32_e64 s4, v0, v0
	v_bfe_u32 v13, v17, 16, 1
	v_add3_u32 v21, v21, v11, 0x7fff
	v_lshrrev_b32_e32 v77, 16, v1
	v_cndmask_b32_e64 v0, v14, v18, s4
	v_cmp_u_f32_e64 s4, v11, v11
	v_add3_u32 v13, v13, v17, 0x7fff
	v_lshrrev_b32_e32 v76, 16, v0
	v_cndmask_b32_e64 v11, v21, v22, s4
	v_cmp_u_f32_e64 s4, v17, v17
	v_lshrrev_b32_e32 v72, 16, v11
	v_cndmask_b32_e64 v13, v13, v23, s4
	v_lshrrev_b32_e32 v73, 16, v13
	s_and_saveexec_b32 s15, vcc_lo
	s_cbranch_execz .LBB364_1254
; %bb.1253:                             ;   in Loop: Header=BB364_924 Depth=1
	v_cmp_lt_i32_e64 s4, v47, v30
	v_cndmask_b32_e64 v76, 0, v76, s4
	v_cmp_lt_i32_e64 s4, v61, v30
	v_cndmask_b32_e64 v77, 0, v77, s4
	;; [unrolled: 2-line block ×8, first 2 shown]
.LBB364_1254:                           ;   in Loop: Header=BB364_924 Depth=1
	s_or_b32 exec_lo, exec_lo, s15
	flat_load_dwordx2 v[21:22], v[19:20] offset:1280
	v_mov_b32_e32 v1, 0
	v_mov_b32_e32 v0, 0
	s_waitcnt vmcnt(0) lgkmcnt(0)
	v_cmp_ne_u16_sdwa s4, v21, v12 src0_sel:BYTE_0 src1_sel:DWORD
	s_and_saveexec_b32 s15, s4
	s_cbranch_execz .LBB364_1262
; %bb.1255:                             ;   in Loop: Header=BB364_924 Depth=1
	v_cmp_ne_u16_sdwa s4, v21, v65 src0_sel:BYTE_0 src1_sel:DWORD
	v_bfrev_b32_e32 v0, 1
	s_and_saveexec_b32 s18, s4
	s_cbranch_execz .LBB364_1261
; %bb.1256:                             ;   in Loop: Header=BB364_924 Depth=1
	v_and_b32_e32 v10, 0x7f, v21
	v_mov_b32_e32 v0, 0x7f800001
	s_mov_b32 s19, exec_lo
	v_cmpx_ne_u32_e32 0x7f, v10
	s_cbranch_execz .LBB364_1260
; %bb.1257:                             ;   in Loop: Header=BB364_924 Depth=1
	v_lshrrev_b32_e32 v0, 3, v10
	v_cmp_gt_u32_e64 s4, 8, v10
	v_mov_b32_e32 v10, v21
	v_mov_b32_e32 v11, v22
	s_and_saveexec_b32 s20, s4
; %bb.1258:                             ;   in Loop: Header=BB364_924 Depth=1
	v_and_b32_e32 v0, 7, v21
	v_ffbh_u32_e32 v0, v0
	v_min_u32_e32 v0, 32, v0
	v_subrev_nc_u32_e32 v10, 28, v0
	v_sub_nc_u32_e32 v0, 29, v0
	v_lshlrev_b64 v[10:11], v10, v[21:22]
; %bb.1259:                             ;   in Loop: Header=BB364_924 Depth=1
	s_or_b32 exec_lo, exec_lo, s20
	v_lshlrev_b32_e32 v10, 20, v10
	v_lshlrev_b32_e32 v11, 24, v21
	v_lshl_add_u32 v0, v0, 23, 0x3c000000
	v_and_b32_e32 v10, 0x700000, v10
	v_and_b32_e32 v11, 0x80000000, v11
	v_or3_b32 v0, v10, v11, v0
.LBB364_1260:                           ;   in Loop: Header=BB364_924 Depth=1
	s_or_b32 exec_lo, exec_lo, s19
.LBB364_1261:                           ;   in Loop: Header=BB364_924 Depth=1
	s_or_b32 exec_lo, exec_lo, s18
.LBB364_1262:                           ;   in Loop: Header=BB364_924 Depth=1
	s_or_b32 exec_lo, exec_lo, s15
	v_cmp_ne_u16_sdwa s4, v21, v12 src0_sel:BYTE_1 src1_sel:DWORD
	s_and_saveexec_b32 s15, s4
	s_cbranch_execz .LBB364_1270
; %bb.1263:                             ;   in Loop: Header=BB364_924 Depth=1
	v_cmp_ne_u16_sdwa s4, v21, v65 src0_sel:BYTE_1 src1_sel:DWORD
	v_bfrev_b32_e32 v1, 1
	s_and_saveexec_b32 s18, s4
	s_cbranch_execz .LBB364_1269
; %bb.1264:                             ;   in Loop: Header=BB364_924 Depth=1
	v_mov_b32_e32 v1, 0xffff
	s_mov_b32 s19, exec_lo
	v_and_b32_sdwa v11, v1, v21 dst_sel:DWORD dst_unused:UNUSED_PAD src0_sel:DWORD src1_sel:BYTE_1
	v_mov_b32_e32 v1, 0x7f800001
	v_and_b32_e32 v10, 0x7f, v11
	v_cmpx_ne_u32_e32 0x7f, v10
	s_cbranch_execz .LBB364_1268
; %bb.1265:                             ;   in Loop: Header=BB364_924 Depth=1
	v_and_b32_e32 v11, 7, v11
	v_mov_b32_e32 v24, v12
	v_lshrrev_b32_e32 v1, 3, v10
	s_mov_b32 s20, exec_lo
	v_mov_b32_e32 v23, v11
	v_cmpx_gt_u32_e32 8, v10
; %bb.1266:                             ;   in Loop: Header=BB364_924 Depth=1
	v_ffbh_u32_e32 v1, v11
	v_min_u32_e32 v1, 32, v1
	v_subrev_nc_u32_e32 v10, 28, v1
	v_sub_nc_u32_e32 v1, 29, v1
	v_lshlrev_b64 v[10:11], v10, v[11:12]
	v_and_b32_e32 v23, 7, v10
; %bb.1267:                             ;   in Loop: Header=BB364_924 Depth=1
	s_or_b32 exec_lo, exec_lo, s20
	v_lshlrev_b32_e32 v10, 16, v21
	v_lshlrev_b32_e32 v11, 20, v23
	v_lshl_add_u32 v1, v1, 23, 0x3c000000
	v_and_b32_e32 v10, 0x80000000, v10
	v_or3_b32 v1, v11, v10, v1
.LBB364_1268:                           ;   in Loop: Header=BB364_924 Depth=1
	s_or_b32 exec_lo, exec_lo, s19
.LBB364_1269:                           ;   in Loop: Header=BB364_924 Depth=1
	s_or_b32 exec_lo, exec_lo, s18
.LBB364_1270:                           ;   in Loop: Header=BB364_924 Depth=1
	s_or_b32 exec_lo, exec_lo, s15
	v_and_b32_sdwa v11, v21, v67 dst_sel:DWORD dst_unused:UNUSED_PAD src0_sel:WORD_1 src1_sel:DWORD
	v_mov_b32_e32 v13, 0
	v_mov_b32_e32 v10, 0
	s_mov_b32 s15, exec_lo
	v_cmpx_ne_u16_e32 0, v11
	s_cbranch_execz .LBB364_1278
; %bb.1271:                             ;   in Loop: Header=BB364_924 Depth=1
	v_bfrev_b32_e32 v10, 1
	s_mov_b32 s18, exec_lo
	v_cmpx_ne_u16_e32 0x80, v11
	s_cbranch_execz .LBB364_1277
; %bb.1272:                             ;   in Loop: Header=BB364_924 Depth=1
	v_bfe_u32 v14, v21, 16, 7
	v_mov_b32_e32 v10, 0x7f800001
	s_mov_b32 s19, exec_lo
	v_cmpx_ne_u32_e32 0x7f, v14
	s_cbranch_execz .LBB364_1276
; %bb.1273:                             ;   in Loop: Header=BB364_924 Depth=1
	v_mov_b32_e32 v10, 7
	s_mov_b32 s20, exec_lo
	v_and_b32_sdwa v11, v21, v10 dst_sel:DWORD dst_unused:UNUSED_PAD src0_sel:WORD_1 src1_sel:DWORD
	v_mov_b32_e32 v24, v12
	v_lshrrev_b32_e32 v10, 3, v14
	v_mov_b32_e32 v23, v11
	v_cmpx_gt_u32_e32 8, v14
; %bb.1274:                             ;   in Loop: Header=BB364_924 Depth=1
	v_ffbh_u32_e32 v10, v11
	v_min_u32_e32 v10, 32, v10
	v_subrev_nc_u32_e32 v14, 28, v10
	v_sub_nc_u32_e32 v10, 29, v10
	v_lshlrev_b64 v[17:18], v14, v[11:12]
	v_and_b32_e32 v23, 7, v17
; %bb.1275:                             ;   in Loop: Header=BB364_924 Depth=1
	s_or_b32 exec_lo, exec_lo, s20
	v_mov_b32_e32 v11, 24
	v_lshlrev_b32_e32 v14, 20, v23
	v_lshl_add_u32 v10, v10, 23, 0x3c000000
	v_lshlrev_b32_sdwa v11, v11, v21 dst_sel:DWORD dst_unused:UNUSED_PAD src0_sel:DWORD src1_sel:WORD_1
	v_and_b32_e32 v11, 0x80000000, v11
	v_or3_b32 v10, v14, v11, v10
.LBB364_1276:                           ;   in Loop: Header=BB364_924 Depth=1
	s_or_b32 exec_lo, exec_lo, s19
.LBB364_1277:                           ;   in Loop: Header=BB364_924 Depth=1
	s_or_b32 exec_lo, exec_lo, s18
.LBB364_1278:                           ;   in Loop: Header=BB364_924 Depth=1
	s_or_b32 exec_lo, exec_lo, s15
	s_mov_b32 s15, exec_lo
	v_cmpx_lt_u32_e32 0xffffff, v21
	s_cbranch_execz .LBB364_1286
; %bb.1279:                             ;   in Loop: Header=BB364_924 Depth=1
	v_cmp_ne_u32_sdwa s4, v21, v65 src0_sel:BYTE_3 src1_sel:DWORD
	v_bfrev_b32_e32 v13, 1
	s_and_saveexec_b32 s18, s4
	s_cbranch_execz .LBB364_1285
; %bb.1280:                             ;   in Loop: Header=BB364_924 Depth=1
	v_bfe_u32 v14, v21, 24, 7
	v_mov_b32_e32 v13, 0x7f800001
	s_mov_b32 s19, exec_lo
	v_cmpx_ne_u32_e32 0x7f, v14
	s_cbranch_execz .LBB364_1284
; %bb.1281:                             ;   in Loop: Header=BB364_924 Depth=1
	v_mov_b32_e32 v11, 7
	v_lshrrev_b32_e32 v13, 3, v14
	s_mov_b32 s20, exec_lo
	v_and_b32_sdwa v11, v21, v11 dst_sel:DWORD dst_unused:UNUSED_PAD src0_sel:BYTE_3 src1_sel:DWORD
	v_mov_b32_e32 v24, v12
	v_mov_b32_e32 v23, v11
	v_cmpx_gt_u32_e32 8, v14
; %bb.1282:                             ;   in Loop: Header=BB364_924 Depth=1
	v_ffbh_u32_e32 v13, v11
	v_min_u32_e32 v13, 32, v13
	v_subrev_nc_u32_e32 v14, 28, v13
	v_sub_nc_u32_e32 v13, 29, v13
	v_lshlrev_b64 v[17:18], v14, v[11:12]
	v_and_b32_e32 v23, 7, v17
; %bb.1283:                             ;   in Loop: Header=BB364_924 Depth=1
	s_or_b32 exec_lo, exec_lo, s20
	v_mov_b32_e32 v11, 24
	v_lshlrev_b32_e32 v14, 20, v23
	v_lshl_add_u32 v13, v13, 23, 0x3c000000
	v_lshlrev_b32_sdwa v11, v11, v21 dst_sel:DWORD dst_unused:UNUSED_PAD src0_sel:DWORD src1_sel:BYTE_3
	v_and_b32_e32 v11, 0x80000000, v11
	v_or3_b32 v13, v14, v11, v13
.LBB364_1284:                           ;   in Loop: Header=BB364_924 Depth=1
	s_or_b32 exec_lo, exec_lo, s19
.LBB364_1285:                           ;   in Loop: Header=BB364_924 Depth=1
	s_or_b32 exec_lo, exec_lo, s18
.LBB364_1286:                           ;   in Loop: Header=BB364_924 Depth=1
	s_or_b32 exec_lo, exec_lo, s15
	v_mov_b32_e32 v11, v22
	v_cmp_ne_u16_sdwa s4, v22, v12 src0_sel:BYTE_0 src1_sel:DWORD
	v_mov_b32_e32 v17, 0
	v_mov_b32_e32 v14, 0
	s_and_saveexec_b32 s15, s4
	s_cbranch_execz .LBB364_1294
; %bb.1287:                             ;   in Loop: Header=BB364_924 Depth=1
	v_cmp_ne_u16_sdwa s4, v22, v65 src0_sel:BYTE_0 src1_sel:DWORD
	v_bfrev_b32_e32 v14, 1
	s_and_saveexec_b32 s18, s4
	s_cbranch_execz .LBB364_1293
; %bb.1288:                             ;   in Loop: Header=BB364_924 Depth=1
	v_and_b32_e32 v18, 0x7f, v22
	v_mov_b32_e32 v14, 0x7f800001
	s_mov_b32 s19, exec_lo
	v_cmpx_ne_u32_e32 0x7f, v18
	s_cbranch_execz .LBB364_1292
; %bb.1289:                             ;   in Loop: Header=BB364_924 Depth=1
	v_mov_b32_e32 v24, v12
	v_lshrrev_b32_e32 v14, 3, v18
	v_mov_b32_e32 v23, v11
	s_mov_b32 s20, exec_lo
	v_cmpx_gt_u32_e32 8, v18
; %bb.1290:                             ;   in Loop: Header=BB364_924 Depth=1
	v_and_b32_e32 v14, 7, v22
	v_ffbh_u32_e32 v14, v14
	v_min_u32_e32 v14, 32, v14
	v_subrev_nc_u32_e32 v18, 28, v14
	v_sub_nc_u32_e32 v14, 29, v14
	v_lshlrev_b64 v[23:24], v18, v[11:12]
; %bb.1291:                             ;   in Loop: Header=BB364_924 Depth=1
	s_or_b32 exec_lo, exec_lo, s20
	v_lshlrev_b32_e32 v18, 20, v23
	v_lshlrev_b32_e32 v23, 24, v11
	v_lshl_add_u32 v14, v14, 23, 0x3c000000
	v_and_b32_e32 v18, 0x700000, v18
	v_and_b32_e32 v23, 0x80000000, v23
	v_or3_b32 v14, v18, v23, v14
.LBB364_1292:                           ;   in Loop: Header=BB364_924 Depth=1
	s_or_b32 exec_lo, exec_lo, s19
.LBB364_1293:                           ;   in Loop: Header=BB364_924 Depth=1
	s_or_b32 exec_lo, exec_lo, s18
.LBB364_1294:                           ;   in Loop: Header=BB364_924 Depth=1
	s_or_b32 exec_lo, exec_lo, s15
	v_cmp_ne_u16_sdwa s4, v11, v12 src0_sel:BYTE_1 src1_sel:DWORD
	s_and_saveexec_b32 s15, s4
	s_cbranch_execz .LBB364_1302
; %bb.1295:                             ;   in Loop: Header=BB364_924 Depth=1
	v_cmp_ne_u16_sdwa s4, v11, v65 src0_sel:BYTE_1 src1_sel:DWORD
	v_bfrev_b32_e32 v17, 1
	s_and_saveexec_b32 s18, s4
	s_cbranch_execz .LBB364_1301
; %bb.1296:                             ;   in Loop: Header=BB364_924 Depth=1
	v_mov_b32_e32 v17, 0xffff
	s_mov_b32 s19, exec_lo
	v_and_b32_sdwa v23, v17, v11 dst_sel:DWORD dst_unused:UNUSED_PAD src0_sel:DWORD src1_sel:BYTE_1
	v_mov_b32_e32 v17, 0x7f800001
	v_and_b32_e32 v18, 0x7f, v23
	v_cmpx_ne_u32_e32 0x7f, v18
	s_cbranch_execz .LBB364_1300
; %bb.1297:                             ;   in Loop: Header=BB364_924 Depth=1
	v_and_b32_e32 v23, 7, v23
	v_mov_b32_e32 v24, v12
	v_lshrrev_b32_e32 v17, 3, v18
	s_mov_b32 s20, exec_lo
	v_cmpx_gt_u32_e32 8, v18
; %bb.1298:                             ;   in Loop: Header=BB364_924 Depth=1
	v_ffbh_u32_e32 v17, v23
	v_min_u32_e32 v17, 32, v17
	v_subrev_nc_u32_e32 v18, 28, v17
	v_sub_nc_u32_e32 v17, 29, v17
	v_lshlrev_b64 v[23:24], v18, v[23:24]
	v_and_b32_e32 v23, 7, v23
; %bb.1299:                             ;   in Loop: Header=BB364_924 Depth=1
	s_or_b32 exec_lo, exec_lo, s20
	v_lshlrev_b32_e32 v11, 16, v11
	v_lshlrev_b32_e32 v18, 20, v23
	v_lshl_add_u32 v17, v17, 23, 0x3c000000
	v_and_b32_e32 v11, 0x80000000, v11
	v_or3_b32 v17, v18, v11, v17
.LBB364_1300:                           ;   in Loop: Header=BB364_924 Depth=1
	s_or_b32 exec_lo, exec_lo, s19
.LBB364_1301:                           ;   in Loop: Header=BB364_924 Depth=1
	s_or_b32 exec_lo, exec_lo, s18
.LBB364_1302:                           ;   in Loop: Header=BB364_924 Depth=1
	s_or_b32 exec_lo, exec_lo, s15
	v_and_b32_sdwa v11, v22, v67 dst_sel:DWORD dst_unused:UNUSED_PAD src0_sel:WORD_1 src1_sel:DWORD
	v_mov_b32_e32 v18, 0
	v_mov_b32_e32 v25, 0
	s_mov_b32 s15, exec_lo
	v_cmpx_ne_u16_e32 0, v11
	s_cbranch_execz .LBB364_1310
; %bb.1303:                             ;   in Loop: Header=BB364_924 Depth=1
	v_bfrev_b32_e32 v25, 1
	s_mov_b32 s18, exec_lo
	v_cmpx_ne_u16_e32 0x80, v11
	s_cbranch_execz .LBB364_1309
; %bb.1304:                             ;   in Loop: Header=BB364_924 Depth=1
	v_bfe_u32 v23, v22, 16, 7
	v_mov_b32_e32 v25, 0x7f800001
	s_mov_b32 s19, exec_lo
	v_cmpx_ne_u32_e32 0x7f, v23
	s_cbranch_execz .LBB364_1308
; %bb.1305:                             ;   in Loop: Header=BB364_924 Depth=1
	v_mov_b32_e32 v11, 7
	v_lshrrev_b32_e32 v25, 3, v23
	v_cmp_gt_u32_e64 s4, 8, v23
	v_and_b32_sdwa v11, v22, v11 dst_sel:DWORD dst_unused:UNUSED_PAD src0_sel:WORD_1 src1_sel:DWORD
	v_mov_b32_e32 v24, v12
	v_mov_b32_e32 v23, v11
	s_and_saveexec_b32 s20, s4
; %bb.1306:                             ;   in Loop: Header=BB364_924 Depth=1
	v_ffbh_u32_e32 v23, v11
	v_min_u32_e32 v25, 32, v23
	v_subrev_nc_u32_e32 v23, 28, v25
	v_sub_nc_u32_e32 v25, 29, v25
	v_lshlrev_b64 v[23:24], v23, v[11:12]
	v_and_b32_e32 v23, 7, v23
; %bb.1307:                             ;   in Loop: Header=BB364_924 Depth=1
	s_or_b32 exec_lo, exec_lo, s20
	v_mov_b32_e32 v11, 24
	v_lshlrev_b32_e32 v23, 20, v23
	v_lshl_add_u32 v24, v25, 23, 0x3c000000
	v_lshlrev_b32_sdwa v11, v11, v22 dst_sel:DWORD dst_unused:UNUSED_PAD src0_sel:DWORD src1_sel:WORD_1
	v_and_b32_e32 v11, 0x80000000, v11
	v_or3_b32 v25, v23, v11, v24
.LBB364_1308:                           ;   in Loop: Header=BB364_924 Depth=1
	s_or_b32 exec_lo, exec_lo, s19
.LBB364_1309:                           ;   in Loop: Header=BB364_924 Depth=1
	s_or_b32 exec_lo, exec_lo, s18
.LBB364_1310:                           ;   in Loop: Header=BB364_924 Depth=1
	s_or_b32 exec_lo, exec_lo, s15
	s_mov_b32 s15, exec_lo
	v_cmpx_lt_u64_e64 s[6:7], v[21:22]
	s_cbranch_execz .LBB364_1318
; %bb.1311:                             ;   in Loop: Header=BB364_924 Depth=1
	v_cmp_ne_u32_sdwa s4, v22, v65 src0_sel:BYTE_3 src1_sel:DWORD
	v_bfrev_b32_e32 v18, 1
	s_and_saveexec_b32 s18, s4
	s_cbranch_execz .LBB364_1317
; %bb.1312:                             ;   in Loop: Header=BB364_924 Depth=1
	v_bfe_u32 v21, v22, 24, 7
	v_mov_b32_e32 v18, 0x7f800001
	s_mov_b32 s19, exec_lo
	v_cmpx_ne_u32_e32 0x7f, v21
	s_cbranch_execz .LBB364_1316
; %bb.1313:                             ;   in Loop: Header=BB364_924 Depth=1
	v_mov_b32_e32 v11, 7
	v_lshrrev_b32_e32 v18, 3, v21
	s_mov_b32 s20, exec_lo
	v_and_b32_sdwa v11, v22, v11 dst_sel:DWORD dst_unused:UNUSED_PAD src0_sel:BYTE_3 src1_sel:DWORD
	v_mov_b32_e32 v24, v12
	v_mov_b32_e32 v23, v11
	v_cmpx_gt_u32_e32 8, v21
; %bb.1314:                             ;   in Loop: Header=BB364_924 Depth=1
	v_ffbh_u32_e32 v18, v11
	v_min_u32_e32 v18, 32, v18
	v_subrev_nc_u32_e32 v21, 28, v18
	v_sub_nc_u32_e32 v18, 29, v18
	v_lshlrev_b64 v[23:24], v21, v[11:12]
	v_and_b32_e32 v23, 7, v23
; %bb.1315:                             ;   in Loop: Header=BB364_924 Depth=1
	s_or_b32 exec_lo, exec_lo, s20
	v_mov_b32_e32 v11, 24
	v_lshlrev_b32_e32 v21, 20, v23
	v_lshl_add_u32 v18, v18, 23, 0x3c000000
	v_lshlrev_b32_sdwa v11, v11, v22 dst_sel:DWORD dst_unused:UNUSED_PAD src0_sel:DWORD src1_sel:BYTE_3
	v_and_b32_e32 v11, 0x80000000, v11
	v_or3_b32 v18, v21, v11, v18
.LBB364_1316:                           ;   in Loop: Header=BB364_924 Depth=1
	s_or_b32 exec_lo, exec_lo, s19
.LBB364_1317:                           ;   in Loop: Header=BB364_924 Depth=1
	s_or_b32 exec_lo, exec_lo, s18
.LBB364_1318:                           ;   in Loop: Header=BB364_924 Depth=1
	s_or_b32 exec_lo, exec_lo, s15
	v_mul_f32_e32 v11, v54, v17
	v_mul_f32_e32 v14, v54, v14
	;; [unrolled: 1-line block ×5, first 2 shown]
	v_bfe_u32 v17, v11, 16, 1
	v_or_b32_e32 v21, 0x400000, v11
	v_bfe_u32 v22, v14, 16, 1
	v_cmp_u_f32_e64 s4, v11, v11
	v_or_b32_e32 v23, 0x400000, v14
	v_add3_u32 v17, v17, v11, 0x7fff
	v_bfe_u32 v24, v13, 16, 1
	v_add3_u32 v22, v22, v14, 0x7fff
	v_or_b32_e32 v26, 0x400000, v13
	v_bfe_u32 v28, v10, 16, 1
	v_cndmask_b32_e64 v11, v17, v21, s4
	v_cmp_u_f32_e64 s4, v14, v14
	v_add3_u32 v24, v24, v13, 0x7fff
	v_or_b32_e32 v17, 0x400000, v10
	v_mul_f32_e32 v0, v54, v0
	v_lshrrev_b32_e32 v79, 16, v11
	v_cndmask_b32_e64 v14, v22, v23, s4
	v_cmp_u_f32_e64 s4, v13, v13
	v_add3_u32 v11, v28, v10, 0x7fff
	v_lshrrev_b32_e32 v78, 16, v14
	v_cndmask_b32_e64 v13, v24, v26, s4
	v_cmp_u_f32_e64 s4, v10, v10
	v_or_b32_e32 v14, 0x400000, v1
	v_lshrrev_b32_e32 v90, 16, v13
	v_bfe_u32 v13, v1, 16, 1
	v_cndmask_b32_e64 v10, v11, v17, s4
	v_mul_f32_e32 v11, v54, v25
	v_mul_f32_e32 v17, v54, v18
	v_bfe_u32 v18, v0, 16, 1
	v_add3_u32 v13, v13, v1, 0x7fff
	v_cmp_u_f32_e64 s4, v1, v1
	v_bfe_u32 v21, v11, 16, 1
	v_or_b32_e32 v22, 0x400000, v11
	v_or_b32_e32 v23, 0x400000, v17
	v_lshrrev_b32_e32 v91, 16, v10
	v_cndmask_b32_e64 v1, v13, v14, s4
	v_add3_u32 v14, v18, v0, 0x7fff
	v_or_b32_e32 v18, 0x400000, v0
	v_cmp_u_f32_e64 s4, v0, v0
	v_bfe_u32 v13, v17, 16, 1
	v_add3_u32 v21, v21, v11, 0x7fff
	v_lshrrev_b32_e32 v0, 16, v1
	v_cndmask_b32_e64 v14, v14, v18, s4
	v_cmp_u_f32_e64 s4, v11, v11
	v_add3_u32 v13, v13, v17, 0x7fff
	v_lshrrev_b32_e32 v92, 16, v14
	v_cndmask_b32_e64 v11, v21, v22, s4
	v_cmp_u_f32_e64 s4, v17, v17
	v_lshrrev_b32_e32 v88, 16, v11
	v_cndmask_b32_e64 v13, v13, v23, s4
	v_lshrrev_b32_e32 v89, 16, v13
	s_and_saveexec_b32 s15, vcc_lo
	s_cbranch_execz .LBB364_1320
; %bb.1319:                             ;   in Loop: Header=BB364_924 Depth=1
	v_cmp_lt_i32_e64 s4, v47, v30
	v_cndmask_b32_e64 v92, 0, v92, s4
	v_cmp_lt_i32_e64 s4, v61, v30
	v_cndmask_b32_e64 v0, 0, v0, s4
	;; [unrolled: 2-line block ×8, first 2 shown]
.LBB364_1320:                           ;   in Loop: Header=BB364_924 Depth=1
	s_or_b32 exec_lo, exec_lo, s15
	flat_load_dwordx2 v[21:22], v[19:20] offset:1536
	v_mov_b32_e32 v1, 0
	v_mov_b32_e32 v10, 0
	s_waitcnt vmcnt(0) lgkmcnt(0)
	v_cmp_ne_u16_sdwa s4, v21, v12 src0_sel:BYTE_0 src1_sel:DWORD
	s_and_saveexec_b32 s15, s4
	s_cbranch_execz .LBB364_1328
; %bb.1321:                             ;   in Loop: Header=BB364_924 Depth=1
	v_cmp_ne_u16_sdwa s4, v21, v65 src0_sel:BYTE_0 src1_sel:DWORD
	v_bfrev_b32_e32 v10, 1
	s_and_saveexec_b32 s18, s4
	s_cbranch_execz .LBB364_1327
; %bb.1322:                             ;   in Loop: Header=BB364_924 Depth=1
	v_and_b32_e32 v11, 0x7f, v21
	v_mov_b32_e32 v10, 0x7f800001
	s_mov_b32 s19, exec_lo
	v_cmpx_ne_u32_e32 0x7f, v11
	s_cbranch_execz .LBB364_1326
; %bb.1323:                             ;   in Loop: Header=BB364_924 Depth=1
	v_lshrrev_b32_e32 v13, 3, v11
	v_cmp_gt_u32_e64 s4, 8, v11
	v_mov_b32_e32 v10, v21
	v_mov_b32_e32 v11, v22
	s_and_saveexec_b32 s20, s4
; %bb.1324:                             ;   in Loop: Header=BB364_924 Depth=1
	v_and_b32_e32 v10, 7, v21
	v_ffbh_u32_e32 v10, v10
	v_min_u32_e32 v13, 32, v10
	v_subrev_nc_u32_e32 v10, 28, v13
	v_sub_nc_u32_e32 v13, 29, v13
	v_lshlrev_b64 v[10:11], v10, v[21:22]
; %bb.1325:                             ;   in Loop: Header=BB364_924 Depth=1
	s_or_b32 exec_lo, exec_lo, s20
	v_lshlrev_b32_e32 v10, 20, v10
	v_lshlrev_b32_e32 v11, 24, v21
	v_lshl_add_u32 v13, v13, 23, 0x3c000000
	v_and_b32_e32 v10, 0x700000, v10
	v_and_b32_e32 v11, 0x80000000, v11
	v_or3_b32 v10, v10, v11, v13
.LBB364_1326:                           ;   in Loop: Header=BB364_924 Depth=1
	s_or_b32 exec_lo, exec_lo, s19
.LBB364_1327:                           ;   in Loop: Header=BB364_924 Depth=1
	s_or_b32 exec_lo, exec_lo, s18
.LBB364_1328:                           ;   in Loop: Header=BB364_924 Depth=1
	s_or_b32 exec_lo, exec_lo, s15
	v_cmp_ne_u16_sdwa s4, v21, v12 src0_sel:BYTE_1 src1_sel:DWORD
	s_and_saveexec_b32 s15, s4
	s_cbranch_execz .LBB364_1336
; %bb.1329:                             ;   in Loop: Header=BB364_924 Depth=1
	v_cmp_ne_u16_sdwa s4, v21, v65 src0_sel:BYTE_1 src1_sel:DWORD
	v_bfrev_b32_e32 v1, 1
	s_and_saveexec_b32 s18, s4
	s_cbranch_execz .LBB364_1335
; %bb.1330:                             ;   in Loop: Header=BB364_924 Depth=1
	v_mov_b32_e32 v1, 0xffff
	s_mov_b32 s19, exec_lo
	v_and_b32_sdwa v11, v1, v21 dst_sel:DWORD dst_unused:UNUSED_PAD src0_sel:DWORD src1_sel:BYTE_1
	v_mov_b32_e32 v1, 0x7f800001
	v_and_b32_e32 v13, 0x7f, v11
	v_cmpx_ne_u32_e32 0x7f, v13
	s_cbranch_execz .LBB364_1334
; %bb.1331:                             ;   in Loop: Header=BB364_924 Depth=1
	v_and_b32_e32 v11, 7, v11
	v_mov_b32_e32 v24, v12
	v_lshrrev_b32_e32 v1, 3, v13
	s_mov_b32 s20, exec_lo
	v_mov_b32_e32 v23, v11
	v_cmpx_gt_u32_e32 8, v13
; %bb.1332:                             ;   in Loop: Header=BB364_924 Depth=1
	v_ffbh_u32_e32 v1, v11
	v_min_u32_e32 v1, 32, v1
	v_subrev_nc_u32_e32 v13, 28, v1
	v_sub_nc_u32_e32 v1, 29, v1
	v_lshlrev_b64 v[13:14], v13, v[11:12]
	v_and_b32_e32 v23, 7, v13
; %bb.1333:                             ;   in Loop: Header=BB364_924 Depth=1
	s_or_b32 exec_lo, exec_lo, s20
	v_lshlrev_b32_e32 v11, 16, v21
	v_lshlrev_b32_e32 v13, 20, v23
	v_lshl_add_u32 v1, v1, 23, 0x3c000000
	v_and_b32_e32 v11, 0x80000000, v11
	v_or3_b32 v1, v13, v11, v1
.LBB364_1334:                           ;   in Loop: Header=BB364_924 Depth=1
	s_or_b32 exec_lo, exec_lo, s19
.LBB364_1335:                           ;   in Loop: Header=BB364_924 Depth=1
	s_or_b32 exec_lo, exec_lo, s18
.LBB364_1336:                           ;   in Loop: Header=BB364_924 Depth=1
	s_or_b32 exec_lo, exec_lo, s15
	v_and_b32_sdwa v11, v21, v67 dst_sel:DWORD dst_unused:UNUSED_PAD src0_sel:WORD_1 src1_sel:DWORD
	v_mov_b32_e32 v14, 0
	v_mov_b32_e32 v13, 0
	s_mov_b32 s15, exec_lo
	v_cmpx_ne_u16_e32 0, v11
	s_cbranch_execz .LBB364_1344
; %bb.1337:                             ;   in Loop: Header=BB364_924 Depth=1
	v_bfrev_b32_e32 v13, 1
	s_mov_b32 s18, exec_lo
	v_cmpx_ne_u16_e32 0x80, v11
	s_cbranch_execz .LBB364_1343
; %bb.1338:                             ;   in Loop: Header=BB364_924 Depth=1
	v_bfe_u32 v17, v21, 16, 7
	v_mov_b32_e32 v13, 0x7f800001
	s_mov_b32 s19, exec_lo
	v_cmpx_ne_u32_e32 0x7f, v17
	s_cbranch_execz .LBB364_1342
; %bb.1339:                             ;   in Loop: Header=BB364_924 Depth=1
	v_mov_b32_e32 v11, 7
	v_lshrrev_b32_e32 v13, 3, v17
	s_mov_b32 s20, exec_lo
	v_and_b32_sdwa v11, v21, v11 dst_sel:DWORD dst_unused:UNUSED_PAD src0_sel:WORD_1 src1_sel:DWORD
	v_mov_b32_e32 v24, v12
	v_mov_b32_e32 v23, v11
	v_cmpx_gt_u32_e32 8, v17
; %bb.1340:                             ;   in Loop: Header=BB364_924 Depth=1
	v_ffbh_u32_e32 v13, v11
	v_min_u32_e32 v13, 32, v13
	v_subrev_nc_u32_e32 v17, 28, v13
	v_sub_nc_u32_e32 v13, 29, v13
	v_lshlrev_b64 v[17:18], v17, v[11:12]
	v_and_b32_e32 v23, 7, v17
; %bb.1341:                             ;   in Loop: Header=BB364_924 Depth=1
	s_or_b32 exec_lo, exec_lo, s20
	v_mov_b32_e32 v11, 24
	v_lshlrev_b32_e32 v17, 20, v23
	v_lshl_add_u32 v13, v13, 23, 0x3c000000
	v_lshlrev_b32_sdwa v11, v11, v21 dst_sel:DWORD dst_unused:UNUSED_PAD src0_sel:DWORD src1_sel:WORD_1
	v_and_b32_e32 v11, 0x80000000, v11
	v_or3_b32 v13, v17, v11, v13
.LBB364_1342:                           ;   in Loop: Header=BB364_924 Depth=1
	s_or_b32 exec_lo, exec_lo, s19
.LBB364_1343:                           ;   in Loop: Header=BB364_924 Depth=1
	s_or_b32 exec_lo, exec_lo, s18
.LBB364_1344:                           ;   in Loop: Header=BB364_924 Depth=1
	s_or_b32 exec_lo, exec_lo, s15
	s_mov_b32 s15, exec_lo
	v_cmpx_lt_u32_e32 0xffffff, v21
	s_cbranch_execz .LBB364_1352
; %bb.1345:                             ;   in Loop: Header=BB364_924 Depth=1
	v_cmp_ne_u32_sdwa s4, v21, v65 src0_sel:BYTE_3 src1_sel:DWORD
	v_bfrev_b32_e32 v14, 1
	s_and_saveexec_b32 s18, s4
	s_cbranch_execz .LBB364_1351
; %bb.1346:                             ;   in Loop: Header=BB364_924 Depth=1
	v_bfe_u32 v17, v21, 24, 7
	v_mov_b32_e32 v14, 0x7f800001
	s_mov_b32 s19, exec_lo
	v_cmpx_ne_u32_e32 0x7f, v17
	s_cbranch_execz .LBB364_1350
; %bb.1347:                             ;   in Loop: Header=BB364_924 Depth=1
	v_mov_b32_e32 v11, 7
	v_lshrrev_b32_e32 v14, 3, v17
	s_mov_b32 s20, exec_lo
	v_and_b32_sdwa v11, v21, v11 dst_sel:DWORD dst_unused:UNUSED_PAD src0_sel:BYTE_3 src1_sel:DWORD
	v_mov_b32_e32 v24, v12
	v_mov_b32_e32 v23, v11
	v_cmpx_gt_u32_e32 8, v17
; %bb.1348:                             ;   in Loop: Header=BB364_924 Depth=1
	v_ffbh_u32_e32 v14, v11
	v_min_u32_e32 v14, 32, v14
	v_subrev_nc_u32_e32 v17, 28, v14
	v_sub_nc_u32_e32 v14, 29, v14
	v_lshlrev_b64 v[17:18], v17, v[11:12]
	v_and_b32_e32 v23, 7, v17
; %bb.1349:                             ;   in Loop: Header=BB364_924 Depth=1
	s_or_b32 exec_lo, exec_lo, s20
	v_mov_b32_e32 v11, 24
	v_lshlrev_b32_e32 v17, 20, v23
	v_lshl_add_u32 v14, v14, 23, 0x3c000000
	v_lshlrev_b32_sdwa v11, v11, v21 dst_sel:DWORD dst_unused:UNUSED_PAD src0_sel:DWORD src1_sel:BYTE_3
	v_and_b32_e32 v11, 0x80000000, v11
	v_or3_b32 v14, v17, v11, v14
.LBB364_1350:                           ;   in Loop: Header=BB364_924 Depth=1
	s_or_b32 exec_lo, exec_lo, s19
.LBB364_1351:                           ;   in Loop: Header=BB364_924 Depth=1
	s_or_b32 exec_lo, exec_lo, s18
.LBB364_1352:                           ;   in Loop: Header=BB364_924 Depth=1
	s_or_b32 exec_lo, exec_lo, s15
	v_mov_b32_e32 v11, v22
	v_cmp_ne_u16_sdwa s4, v22, v12 src0_sel:BYTE_0 src1_sel:DWORD
	v_mov_b32_e32 v18, 0
	v_mov_b32_e32 v17, 0
	s_and_saveexec_b32 s15, s4
	s_cbranch_execz .LBB364_1360
; %bb.1353:                             ;   in Loop: Header=BB364_924 Depth=1
	v_cmp_ne_u16_sdwa s4, v22, v65 src0_sel:BYTE_0 src1_sel:DWORD
	v_bfrev_b32_e32 v17, 1
	s_and_saveexec_b32 s18, s4
	s_cbranch_execz .LBB364_1359
; %bb.1354:                             ;   in Loop: Header=BB364_924 Depth=1
	v_and_b32_e32 v23, 0x7f, v22
	v_mov_b32_e32 v17, 0x7f800001
	s_mov_b32 s19, exec_lo
	v_cmpx_ne_u32_e32 0x7f, v23
	s_cbranch_execz .LBB364_1358
; %bb.1355:                             ;   in Loop: Header=BB364_924 Depth=1
	v_lshrrev_b32_e32 v17, 3, v23
	v_cmp_gt_u32_e64 s4, 8, v23
	v_mov_b32_e32 v24, v12
	v_mov_b32_e32 v23, v11
	s_and_saveexec_b32 s20, s4
; %bb.1356:                             ;   in Loop: Header=BB364_924 Depth=1
	v_and_b32_e32 v17, 7, v22
	v_ffbh_u32_e32 v17, v17
	v_min_u32_e32 v17, 32, v17
	v_subrev_nc_u32_e32 v23, 28, v17
	v_sub_nc_u32_e32 v17, 29, v17
	v_lshlrev_b64 v[23:24], v23, v[11:12]
; %bb.1357:                             ;   in Loop: Header=BB364_924 Depth=1
	s_or_b32 exec_lo, exec_lo, s20
	v_lshlrev_b32_e32 v23, 20, v23
	v_lshlrev_b32_e32 v24, 24, v11
	v_lshl_add_u32 v17, v17, 23, 0x3c000000
	v_and_b32_e32 v23, 0x700000, v23
	v_and_b32_e32 v24, 0x80000000, v24
	v_or3_b32 v17, v23, v24, v17
.LBB364_1358:                           ;   in Loop: Header=BB364_924 Depth=1
	s_or_b32 exec_lo, exec_lo, s19
.LBB364_1359:                           ;   in Loop: Header=BB364_924 Depth=1
	s_or_b32 exec_lo, exec_lo, s18
.LBB364_1360:                           ;   in Loop: Header=BB364_924 Depth=1
	s_or_b32 exec_lo, exec_lo, s15
	v_cmp_ne_u16_sdwa s4, v11, v12 src0_sel:BYTE_1 src1_sel:DWORD
	s_and_saveexec_b32 s15, s4
	s_cbranch_execz .LBB364_1368
; %bb.1361:                             ;   in Loop: Header=BB364_924 Depth=1
	v_cmp_ne_u16_sdwa s4, v11, v65 src0_sel:BYTE_1 src1_sel:DWORD
	v_bfrev_b32_e32 v18, 1
	s_and_saveexec_b32 s18, s4
	s_cbranch_execz .LBB364_1367
; %bb.1362:                             ;   in Loop: Header=BB364_924 Depth=1
	v_mov_b32_e32 v18, 0xffff
	s_mov_b32 s19, exec_lo
	v_and_b32_sdwa v23, v18, v11 dst_sel:DWORD dst_unused:UNUSED_PAD src0_sel:DWORD src1_sel:BYTE_1
	v_mov_b32_e32 v18, 0x7f800001
	v_and_b32_e32 v25, 0x7f, v23
	v_cmpx_ne_u32_e32 0x7f, v25
	s_cbranch_execz .LBB364_1366
; %bb.1363:                             ;   in Loop: Header=BB364_924 Depth=1
	v_and_b32_e32 v23, 7, v23
	v_mov_b32_e32 v24, v12
	v_lshrrev_b32_e32 v18, 3, v25
	s_mov_b32 s20, exec_lo
	v_cmpx_gt_u32_e32 8, v25
; %bb.1364:                             ;   in Loop: Header=BB364_924 Depth=1
	v_ffbh_u32_e32 v18, v23
	v_min_u32_e32 v18, 32, v18
	v_subrev_nc_u32_e32 v25, 28, v18
	v_sub_nc_u32_e32 v18, 29, v18
	v_lshlrev_b64 v[23:24], v25, v[23:24]
	v_and_b32_e32 v23, 7, v23
; %bb.1365:                             ;   in Loop: Header=BB364_924 Depth=1
	s_or_b32 exec_lo, exec_lo, s20
	v_lshlrev_b32_e32 v11, 16, v11
	v_lshlrev_b32_e32 v23, 20, v23
	v_lshl_add_u32 v18, v18, 23, 0x3c000000
	v_and_b32_e32 v11, 0x80000000, v11
	v_or3_b32 v18, v23, v11, v18
.LBB364_1366:                           ;   in Loop: Header=BB364_924 Depth=1
	s_or_b32 exec_lo, exec_lo, s19
.LBB364_1367:                           ;   in Loop: Header=BB364_924 Depth=1
	s_or_b32 exec_lo, exec_lo, s18
.LBB364_1368:                           ;   in Loop: Header=BB364_924 Depth=1
	s_or_b32 exec_lo, exec_lo, s15
	v_and_b32_sdwa v11, v22, v67 dst_sel:DWORD dst_unused:UNUSED_PAD src0_sel:WORD_1 src1_sel:DWORD
	v_mov_b32_e32 v25, 0
	v_mov_b32_e32 v26, 0
	s_mov_b32 s15, exec_lo
	v_cmpx_ne_u16_e32 0, v11
	s_cbranch_execz .LBB364_1376
; %bb.1369:                             ;   in Loop: Header=BB364_924 Depth=1
	v_bfrev_b32_e32 v26, 1
	s_mov_b32 s18, exec_lo
	v_cmpx_ne_u16_e32 0x80, v11
	s_cbranch_execz .LBB364_1375
; %bb.1370:                             ;   in Loop: Header=BB364_924 Depth=1
	v_bfe_u32 v23, v22, 16, 7
	v_mov_b32_e32 v26, 0x7f800001
	s_mov_b32 s19, exec_lo
	v_cmpx_ne_u32_e32 0x7f, v23
	s_cbranch_execz .LBB364_1374
; %bb.1371:                             ;   in Loop: Header=BB364_924 Depth=1
	v_mov_b32_e32 v11, 7
	v_lshrrev_b32_e32 v26, 3, v23
	v_cmp_gt_u32_e64 s4, 8, v23
	v_and_b32_sdwa v11, v22, v11 dst_sel:DWORD dst_unused:UNUSED_PAD src0_sel:WORD_1 src1_sel:DWORD
	v_mov_b32_e32 v24, v12
	v_mov_b32_e32 v23, v11
	s_and_saveexec_b32 s20, s4
; %bb.1372:                             ;   in Loop: Header=BB364_924 Depth=1
	v_ffbh_u32_e32 v23, v11
	v_min_u32_e32 v26, 32, v23
	v_subrev_nc_u32_e32 v23, 28, v26
	v_sub_nc_u32_e32 v26, 29, v26
	v_lshlrev_b64 v[23:24], v23, v[11:12]
	v_and_b32_e32 v23, 7, v23
; %bb.1373:                             ;   in Loop: Header=BB364_924 Depth=1
	s_or_b32 exec_lo, exec_lo, s20
	v_mov_b32_e32 v11, 24
	v_lshlrev_b32_e32 v23, 20, v23
	v_lshl_add_u32 v24, v26, 23, 0x3c000000
	v_lshlrev_b32_sdwa v11, v11, v22 dst_sel:DWORD dst_unused:UNUSED_PAD src0_sel:DWORD src1_sel:WORD_1
	v_and_b32_e32 v11, 0x80000000, v11
	v_or3_b32 v26, v23, v11, v24
.LBB364_1374:                           ;   in Loop: Header=BB364_924 Depth=1
	s_or_b32 exec_lo, exec_lo, s19
.LBB364_1375:                           ;   in Loop: Header=BB364_924 Depth=1
	s_or_b32 exec_lo, exec_lo, s18
.LBB364_1376:                           ;   in Loop: Header=BB364_924 Depth=1
	s_or_b32 exec_lo, exec_lo, s15
	s_mov_b32 s15, exec_lo
	v_cmpx_lt_u64_e64 s[6:7], v[21:22]
	s_cbranch_execz .LBB364_1384
; %bb.1377:                             ;   in Loop: Header=BB364_924 Depth=1
	v_cmp_ne_u32_sdwa s4, v22, v65 src0_sel:BYTE_3 src1_sel:DWORD
	v_bfrev_b32_e32 v25, 1
	s_and_saveexec_b32 s18, s4
	s_cbranch_execz .LBB364_1383
; %bb.1378:                             ;   in Loop: Header=BB364_924 Depth=1
	v_bfe_u32 v23, v22, 24, 7
	v_mov_b32_e32 v25, 0x7f800001
	s_mov_b32 s19, exec_lo
	v_cmpx_ne_u32_e32 0x7f, v23
	s_cbranch_execz .LBB364_1382
; %bb.1379:                             ;   in Loop: Header=BB364_924 Depth=1
	v_mov_b32_e32 v11, 7
	v_lshrrev_b32_e32 v21, 3, v23
	v_cmp_gt_u32_e64 s4, 8, v23
	v_and_b32_sdwa v11, v22, v11 dst_sel:DWORD dst_unused:UNUSED_PAD src0_sel:BYTE_3 src1_sel:DWORD
	v_mov_b32_e32 v24, v12
	v_mov_b32_e32 v23, v11
	s_and_saveexec_b32 s20, s4
; %bb.1380:                             ;   in Loop: Header=BB364_924 Depth=1
	v_ffbh_u32_e32 v21, v11
	v_min_u32_e32 v21, 32, v21
	v_subrev_nc_u32_e32 v23, 28, v21
	v_sub_nc_u32_e32 v21, 29, v21
	v_lshlrev_b64 v[23:24], v23, v[11:12]
	v_and_b32_e32 v23, 7, v23
; %bb.1381:                             ;   in Loop: Header=BB364_924 Depth=1
	s_or_b32 exec_lo, exec_lo, s20
	v_mov_b32_e32 v11, 24
	v_lshl_add_u32 v21, v21, 23, 0x3c000000
	v_lshlrev_b32_sdwa v11, v11, v22 dst_sel:DWORD dst_unused:UNUSED_PAD src0_sel:DWORD src1_sel:BYTE_3
	v_lshlrev_b32_e32 v22, 20, v23
	v_and_b32_e32 v11, 0x80000000, v11
	v_or3_b32 v25, v22, v11, v21
.LBB364_1382:                           ;   in Loop: Header=BB364_924 Depth=1
	s_or_b32 exec_lo, exec_lo, s19
.LBB364_1383:                           ;   in Loop: Header=BB364_924 Depth=1
	s_or_b32 exec_lo, exec_lo, s18
.LBB364_1384:                           ;   in Loop: Header=BB364_924 Depth=1
	s_or_b32 exec_lo, exec_lo, s15
	v_mul_f32_e32 v11, v54, v18
	v_mul_f32_e32 v17, v54, v17
	;; [unrolled: 1-line block ×5, first 2 shown]
	v_bfe_u32 v18, v11, 16, 1
	v_or_b32_e32 v21, 0x400000, v11
	v_bfe_u32 v22, v17, 16, 1
	v_cmp_u_f32_e64 s4, v11, v11
	v_or_b32_e32 v23, 0x400000, v17
	v_add3_u32 v18, v18, v11, 0x7fff
	v_bfe_u32 v24, v14, 16, 1
	v_add3_u32 v22, v22, v17, 0x7fff
	v_or_b32_e32 v28, 0x400000, v14
	v_bfe_u32 v29, v13, 16, 1
	v_cndmask_b32_e64 v11, v18, v21, s4
	v_cmp_u_f32_e64 s4, v17, v17
	v_add3_u32 v24, v24, v14, 0x7fff
	v_add3_u32 v21, v29, v13, 0x7fff
	v_lshrrev_b32_e32 v18, 16, v11
	v_cndmask_b32_e64 v17, v22, v23, s4
	v_cmp_u_f32_e64 s4, v14, v14
	v_mul_f32_e32 v11, v54, v1
	v_or_b32_e32 v22, 0x400000, v13
	v_bfe_u32 v23, v10, 16, 1
	v_lshrrev_b32_e32 v1, 16, v17
	v_cndmask_b32_e64 v14, v24, v28, s4
	v_cmp_u_f32_e64 s4, v13, v13
	v_mul_f32_e32 v17, v54, v26
	v_lshrrev_b32_e32 v31, 16, v14
	v_bfe_u32 v14, v11, 16, 1
	v_cndmask_b32_e64 v13, v21, v22, s4
	v_or_b32_e32 v21, 0x400000, v11
	v_cmp_u_f32_e64 s4, v11, v11
	v_mul_f32_e32 v22, v54, v25
	v_add3_u32 v14, v14, v11, 0x7fff
	v_bfe_u32 v24, v17, 16, 1
	v_or_b32_e32 v25, 0x400000, v17
	v_lshrrev_b32_e32 v93, 16, v13
	v_or_b32_e32 v26, 0x400000, v22
	v_cndmask_b32_e64 v11, v14, v21, s4
	v_add3_u32 v21, v23, v10, 0x7fff
	v_or_b32_e32 v23, 0x400000, v10
	v_cmp_u_f32_e64 s4, v10, v10
	v_bfe_u32 v14, v22, 16, 1
	v_add3_u32 v24, v24, v17, 0x7fff
	v_lshrrev_b32_e32 v95, 16, v11
	v_cndmask_b32_e64 v10, v21, v23, s4
	v_cmp_u_f32_e64 s4, v17, v17
	v_add3_u32 v14, v14, v22, 0x7fff
	v_lshrrev_b32_e32 v94, 16, v10
	v_cndmask_b32_e64 v17, v24, v25, s4
	v_cmp_u_f32_e64 s4, v22, v22
	v_lshrrev_b32_e32 v28, 16, v17
	v_cndmask_b32_e64 v14, v14, v26, s4
	v_lshrrev_b32_e32 v29, 16, v14
	s_and_saveexec_b32 s15, vcc_lo
	s_cbranch_execz .LBB364_1386
; %bb.1385:                             ;   in Loop: Header=BB364_924 Depth=1
	v_cmp_lt_i32_e64 s4, v47, v30
	v_cndmask_b32_e64 v94, 0, v94, s4
	v_cmp_lt_i32_e64 s4, v61, v30
	v_cndmask_b32_e64 v95, 0, v95, s4
	;; [unrolled: 2-line block ×8, first 2 shown]
.LBB364_1386:                           ;   in Loop: Header=BB364_924 Depth=1
	s_or_b32 exec_lo, exec_lo, s15
	flat_load_dwordx2 v[21:22], v[19:20] offset:1792
	v_mov_b32_e32 v13, 0
	v_mov_b32_e32 v10, 0
	s_waitcnt vmcnt(0) lgkmcnt(0)
	v_cmp_ne_u16_sdwa s4, v21, v12 src0_sel:BYTE_0 src1_sel:DWORD
	s_and_saveexec_b32 s15, s4
	s_cbranch_execz .LBB364_1394
; %bb.1387:                             ;   in Loop: Header=BB364_924 Depth=1
	v_cmp_ne_u16_sdwa s4, v21, v65 src0_sel:BYTE_0 src1_sel:DWORD
	v_bfrev_b32_e32 v10, 1
	s_and_saveexec_b32 s18, s4
	s_cbranch_execz .LBB364_1393
; %bb.1388:                             ;   in Loop: Header=BB364_924 Depth=1
	v_and_b32_e32 v11, 0x7f, v21
	v_mov_b32_e32 v10, 0x7f800001
	s_mov_b32 s19, exec_lo
	v_cmpx_ne_u32_e32 0x7f, v11
	s_cbranch_execz .LBB364_1392
; %bb.1389:                             ;   in Loop: Header=BB364_924 Depth=1
	v_lshrrev_b32_e32 v14, 3, v11
	v_cmp_gt_u32_e64 s4, 8, v11
	v_mov_b32_e32 v10, v21
	v_mov_b32_e32 v11, v22
	s_and_saveexec_b32 s20, s4
; %bb.1390:                             ;   in Loop: Header=BB364_924 Depth=1
	v_and_b32_e32 v10, 7, v21
	v_ffbh_u32_e32 v10, v10
	v_min_u32_e32 v14, 32, v10
	v_subrev_nc_u32_e32 v10, 28, v14
	v_sub_nc_u32_e32 v14, 29, v14
	v_lshlrev_b64 v[10:11], v10, v[21:22]
; %bb.1391:                             ;   in Loop: Header=BB364_924 Depth=1
	s_or_b32 exec_lo, exec_lo, s20
	v_lshlrev_b32_e32 v10, 20, v10
	v_lshlrev_b32_e32 v11, 24, v21
	v_lshl_add_u32 v14, v14, 23, 0x3c000000
	v_and_b32_e32 v10, 0x700000, v10
	v_and_b32_e32 v11, 0x80000000, v11
	v_or3_b32 v10, v10, v11, v14
.LBB364_1392:                           ;   in Loop: Header=BB364_924 Depth=1
	s_or_b32 exec_lo, exec_lo, s19
.LBB364_1393:                           ;   in Loop: Header=BB364_924 Depth=1
	s_or_b32 exec_lo, exec_lo, s18
.LBB364_1394:                           ;   in Loop: Header=BB364_924 Depth=1
	s_or_b32 exec_lo, exec_lo, s15
	v_cmp_ne_u16_sdwa s4, v21, v12 src0_sel:BYTE_1 src1_sel:DWORD
	s_and_saveexec_b32 s15, s4
	s_cbranch_execz .LBB364_1402
; %bb.1395:                             ;   in Loop: Header=BB364_924 Depth=1
	v_cmp_ne_u16_sdwa s4, v21, v65 src0_sel:BYTE_1 src1_sel:DWORD
	v_bfrev_b32_e32 v13, 1
	s_and_saveexec_b32 s18, s4
	s_cbranch_execz .LBB364_1401
; %bb.1396:                             ;   in Loop: Header=BB364_924 Depth=1
	v_mov_b32_e32 v11, 0xffff
	v_mov_b32_e32 v13, 0x7f800001
	s_mov_b32 s19, exec_lo
	v_and_b32_sdwa v11, v11, v21 dst_sel:DWORD dst_unused:UNUSED_PAD src0_sel:DWORD src1_sel:BYTE_1
	v_and_b32_e32 v14, 0x7f, v11
	v_cmpx_ne_u32_e32 0x7f, v14
	s_cbranch_execz .LBB364_1400
; %bb.1397:                             ;   in Loop: Header=BB364_924 Depth=1
	v_and_b32_e32 v11, 7, v11
	v_mov_b32_e32 v24, v12
	v_lshrrev_b32_e32 v13, 3, v14
	s_mov_b32 s20, exec_lo
	v_mov_b32_e32 v23, v11
	v_cmpx_gt_u32_e32 8, v14
; %bb.1398:                             ;   in Loop: Header=BB364_924 Depth=1
	v_ffbh_u32_e32 v13, v11
	v_min_u32_e32 v13, 32, v13
	v_subrev_nc_u32_e32 v14, 28, v13
	v_sub_nc_u32_e32 v13, 29, v13
	v_lshlrev_b64 v[23:24], v14, v[11:12]
	v_and_b32_e32 v23, 7, v23
; %bb.1399:                             ;   in Loop: Header=BB364_924 Depth=1
	s_or_b32 exec_lo, exec_lo, s20
	v_lshlrev_b32_e32 v11, 16, v21
	v_lshlrev_b32_e32 v14, 20, v23
	v_lshl_add_u32 v13, v13, 23, 0x3c000000
	v_and_b32_e32 v11, 0x80000000, v11
	v_or3_b32 v13, v14, v11, v13
.LBB364_1400:                           ;   in Loop: Header=BB364_924 Depth=1
	s_or_b32 exec_lo, exec_lo, s19
.LBB364_1401:                           ;   in Loop: Header=BB364_924 Depth=1
	s_or_b32 exec_lo, exec_lo, s18
.LBB364_1402:                           ;   in Loop: Header=BB364_924 Depth=1
	s_or_b32 exec_lo, exec_lo, s15
	v_and_b32_sdwa v11, v21, v67 dst_sel:DWORD dst_unused:UNUSED_PAD src0_sel:WORD_1 src1_sel:DWORD
	v_mov_b32_e32 v17, 0
	v_mov_b32_e32 v14, 0
	s_mov_b32 s15, exec_lo
	v_cmpx_ne_u16_e32 0, v11
	s_cbranch_execz .LBB364_1410
; %bb.1403:                             ;   in Loop: Header=BB364_924 Depth=1
	v_bfrev_b32_e32 v14, 1
	s_mov_b32 s18, exec_lo
	v_cmpx_ne_u16_e32 0x80, v11
	s_cbranch_execz .LBB364_1409
; %bb.1404:                             ;   in Loop: Header=BB364_924 Depth=1
	v_bfe_u32 v23, v21, 16, 7
	v_mov_b32_e32 v14, 0x7f800001
	s_mov_b32 s19, exec_lo
	v_cmpx_ne_u32_e32 0x7f, v23
	s_cbranch_execz .LBB364_1408
; %bb.1405:                             ;   in Loop: Header=BB364_924 Depth=1
	v_mov_b32_e32 v11, 7
	v_lshrrev_b32_e32 v14, 3, v23
	v_cmp_gt_u32_e64 s4, 8, v23
	v_and_b32_sdwa v11, v21, v11 dst_sel:DWORD dst_unused:UNUSED_PAD src0_sel:WORD_1 src1_sel:DWORD
	v_mov_b32_e32 v24, v12
	v_mov_b32_e32 v23, v11
	s_and_saveexec_b32 s20, s4
; %bb.1406:                             ;   in Loop: Header=BB364_924 Depth=1
	v_ffbh_u32_e32 v14, v11
	v_min_u32_e32 v14, 32, v14
	v_subrev_nc_u32_e32 v23, 28, v14
	v_sub_nc_u32_e32 v14, 29, v14
	v_lshlrev_b64 v[23:24], v23, v[11:12]
	v_and_b32_e32 v23, 7, v23
; %bb.1407:                             ;   in Loop: Header=BB364_924 Depth=1
	s_or_b32 exec_lo, exec_lo, s20
	v_mov_b32_e32 v11, 24
	v_lshlrev_b32_e32 v23, 20, v23
	v_lshl_add_u32 v14, v14, 23, 0x3c000000
	v_lshlrev_b32_sdwa v11, v11, v21 dst_sel:DWORD dst_unused:UNUSED_PAD src0_sel:DWORD src1_sel:WORD_1
	v_and_b32_e32 v11, 0x80000000, v11
	v_or3_b32 v14, v23, v11, v14
.LBB364_1408:                           ;   in Loop: Header=BB364_924 Depth=1
	s_or_b32 exec_lo, exec_lo, s19
.LBB364_1409:                           ;   in Loop: Header=BB364_924 Depth=1
	s_or_b32 exec_lo, exec_lo, s18
.LBB364_1410:                           ;   in Loop: Header=BB364_924 Depth=1
	s_or_b32 exec_lo, exec_lo, s15
	s_mov_b32 s15, exec_lo
	v_cmpx_lt_u32_e32 0xffffff, v21
	s_cbranch_execz .LBB364_1418
; %bb.1411:                             ;   in Loop: Header=BB364_924 Depth=1
	v_cmp_ne_u32_sdwa s4, v21, v65 src0_sel:BYTE_3 src1_sel:DWORD
	v_bfrev_b32_e32 v17, 1
	s_and_saveexec_b32 s18, s4
	s_cbranch_execz .LBB364_1417
; %bb.1412:                             ;   in Loop: Header=BB364_924 Depth=1
	v_bfe_u32 v23, v21, 24, 7
	v_mov_b32_e32 v17, 0x7f800001
	s_mov_b32 s19, exec_lo
	v_cmpx_ne_u32_e32 0x7f, v23
	s_cbranch_execz .LBB364_1416
; %bb.1413:                             ;   in Loop: Header=BB364_924 Depth=1
	v_mov_b32_e32 v11, 7
	v_lshrrev_b32_e32 v17, 3, v23
	v_cmp_gt_u32_e64 s4, 8, v23
	v_and_b32_sdwa v11, v21, v11 dst_sel:DWORD dst_unused:UNUSED_PAD src0_sel:BYTE_3 src1_sel:DWORD
	v_mov_b32_e32 v24, v12
	v_mov_b32_e32 v23, v11
	s_and_saveexec_b32 s20, s4
; %bb.1414:                             ;   in Loop: Header=BB364_924 Depth=1
	v_ffbh_u32_e32 v17, v11
	v_min_u32_e32 v17, 32, v17
	v_subrev_nc_u32_e32 v23, 28, v17
	v_sub_nc_u32_e32 v17, 29, v17
	v_lshlrev_b64 v[23:24], v23, v[11:12]
	v_and_b32_e32 v23, 7, v23
; %bb.1415:                             ;   in Loop: Header=BB364_924 Depth=1
	s_or_b32 exec_lo, exec_lo, s20
	v_mov_b32_e32 v11, 24
	v_lshlrev_b32_e32 v23, 20, v23
	v_lshl_add_u32 v17, v17, 23, 0x3c000000
	v_lshlrev_b32_sdwa v11, v11, v21 dst_sel:DWORD dst_unused:UNUSED_PAD src0_sel:DWORD src1_sel:BYTE_3
	v_and_b32_e32 v11, 0x80000000, v11
	v_or3_b32 v17, v23, v11, v17
.LBB364_1416:                           ;   in Loop: Header=BB364_924 Depth=1
	s_or_b32 exec_lo, exec_lo, s19
.LBB364_1417:                           ;   in Loop: Header=BB364_924 Depth=1
	s_or_b32 exec_lo, exec_lo, s18
.LBB364_1418:                           ;   in Loop: Header=BB364_924 Depth=1
	s_or_b32 exec_lo, exec_lo, s15
	v_mov_b32_e32 v11, v22
	v_cmp_ne_u16_sdwa s4, v22, v12 src0_sel:BYTE_0 src1_sel:DWORD
	v_mov_b32_e32 v66, 0
	v_mov_b32_e32 v32, 0
	s_and_saveexec_b32 s15, s4
	s_cbranch_execz .LBB364_1426
; %bb.1419:                             ;   in Loop: Header=BB364_924 Depth=1
	v_cmp_ne_u16_sdwa s4, v22, v65 src0_sel:BYTE_0 src1_sel:DWORD
	v_bfrev_b32_e32 v32, 1
	s_and_saveexec_b32 s18, s4
	s_cbranch_execz .LBB364_1425
; %bb.1420:                             ;   in Loop: Header=BB364_924 Depth=1
	v_and_b32_e32 v23, 0x7f, v22
	v_mov_b32_e32 v32, 0x7f800001
	s_mov_b32 s19, exec_lo
	v_cmpx_ne_u32_e32 0x7f, v23
	s_cbranch_execz .LBB364_1424
; %bb.1421:                             ;   in Loop: Header=BB364_924 Depth=1
	v_lshrrev_b32_e32 v25, 3, v23
	v_cmp_gt_u32_e64 s4, 8, v23
	v_mov_b32_e32 v24, v12
	v_mov_b32_e32 v23, v11
	s_and_saveexec_b32 s20, s4
; %bb.1422:                             ;   in Loop: Header=BB364_924 Depth=1
	v_and_b32_e32 v23, 7, v22
	v_ffbh_u32_e32 v23, v23
	v_min_u32_e32 v25, 32, v23
	v_subrev_nc_u32_e32 v23, 28, v25
	v_sub_nc_u32_e32 v25, 29, v25
	v_lshlrev_b64 v[23:24], v23, v[11:12]
; %bb.1423:                             ;   in Loop: Header=BB364_924 Depth=1
	s_or_b32 exec_lo, exec_lo, s20
	v_lshlrev_b32_e32 v23, 20, v23
	v_lshlrev_b32_e32 v24, 24, v11
	v_lshl_add_u32 v25, v25, 23, 0x3c000000
	v_and_b32_e32 v23, 0x700000, v23
	v_and_b32_e32 v24, 0x80000000, v24
	v_or3_b32 v32, v23, v24, v25
.LBB364_1424:                           ;   in Loop: Header=BB364_924 Depth=1
	s_or_b32 exec_lo, exec_lo, s19
.LBB364_1425:                           ;   in Loop: Header=BB364_924 Depth=1
	s_or_b32 exec_lo, exec_lo, s18
.LBB364_1426:                           ;   in Loop: Header=BB364_924 Depth=1
	s_or_b32 exec_lo, exec_lo, s15
	v_cmp_ne_u16_sdwa s4, v11, v12 src0_sel:BYTE_1 src1_sel:DWORD
	s_and_saveexec_b32 s15, s4
	s_cbranch_execz .LBB364_1434
; %bb.1427:                             ;   in Loop: Header=BB364_924 Depth=1
	v_cmp_ne_u16_sdwa s4, v11, v65 src0_sel:BYTE_1 src1_sel:DWORD
	v_bfrev_b32_e32 v66, 1
	s_and_saveexec_b32 s18, s4
	s_cbranch_execz .LBB364_1433
; %bb.1428:                             ;   in Loop: Header=BB364_924 Depth=1
	v_mov_b32_e32 v23, 0xffff
	v_mov_b32_e32 v66, 0x7f800001
	s_mov_b32 s19, exec_lo
	v_and_b32_sdwa v23, v23, v11 dst_sel:DWORD dst_unused:UNUSED_PAD src0_sel:DWORD src1_sel:BYTE_1
	v_and_b32_e32 v26, 0x7f, v23
	v_cmpx_ne_u32_e32 0x7f, v26
	s_cbranch_execz .LBB364_1432
; %bb.1429:                             ;   in Loop: Header=BB364_924 Depth=1
	v_and_b32_e32 v23, 7, v23
	v_mov_b32_e32 v24, v12
	v_lshrrev_b32_e32 v25, 3, v26
	s_mov_b32 s20, exec_lo
	v_cmpx_gt_u32_e32 8, v26
; %bb.1430:                             ;   in Loop: Header=BB364_924 Depth=1
	v_ffbh_u32_e32 v25, v23
	v_min_u32_e32 v25, 32, v25
	v_subrev_nc_u32_e32 v26, 28, v25
	v_sub_nc_u32_e32 v25, 29, v25
	v_lshlrev_b64 v[23:24], v26, v[23:24]
	v_and_b32_e32 v23, 7, v23
; %bb.1431:                             ;   in Loop: Header=BB364_924 Depth=1
	s_or_b32 exec_lo, exec_lo, s20
	v_lshlrev_b32_e32 v11, 16, v11
	v_lshlrev_b32_e32 v23, 20, v23
	v_lshl_add_u32 v24, v25, 23, 0x3c000000
	v_and_b32_e32 v11, 0x80000000, v11
	v_or3_b32 v66, v23, v11, v24
.LBB364_1432:                           ;   in Loop: Header=BB364_924 Depth=1
	s_or_b32 exec_lo, exec_lo, s19
.LBB364_1433:                           ;   in Loop: Header=BB364_924 Depth=1
	s_or_b32 exec_lo, exec_lo, s18
.LBB364_1434:                           ;   in Loop: Header=BB364_924 Depth=1
	s_or_b32 exec_lo, exec_lo, s15
	v_and_b32_sdwa v11, v22, v67 dst_sel:DWORD dst_unused:UNUSED_PAD src0_sel:WORD_1 src1_sel:DWORD
	v_mov_b32_e32 v25, 0
	v_mov_b32_e32 v26, 0
	s_mov_b32 s15, exec_lo
	v_cmpx_ne_u16_e32 0, v11
	s_cbranch_execz .LBB364_1442
; %bb.1435:                             ;   in Loop: Header=BB364_924 Depth=1
	v_bfrev_b32_e32 v26, 1
	s_mov_b32 s18, exec_lo
	v_cmpx_ne_u16_e32 0x80, v11
	s_cbranch_execz .LBB364_1441
; %bb.1436:                             ;   in Loop: Header=BB364_924 Depth=1
	v_bfe_u32 v23, v22, 16, 7
	v_mov_b32_e32 v26, 0x7f800001
	s_mov_b32 s19, exec_lo
	v_cmpx_ne_u32_e32 0x7f, v23
	s_cbranch_execz .LBB364_1440
; %bb.1437:                             ;   in Loop: Header=BB364_924 Depth=1
	v_mov_b32_e32 v11, 7
	v_lshrrev_b32_e32 v26, 3, v23
	v_cmp_gt_u32_e64 s4, 8, v23
	v_and_b32_sdwa v11, v22, v11 dst_sel:DWORD dst_unused:UNUSED_PAD src0_sel:WORD_1 src1_sel:DWORD
	v_mov_b32_e32 v24, v12
	v_mov_b32_e32 v23, v11
	s_and_saveexec_b32 s20, s4
; %bb.1438:                             ;   in Loop: Header=BB364_924 Depth=1
	v_ffbh_u32_e32 v23, v11
	v_min_u32_e32 v26, 32, v23
	v_subrev_nc_u32_e32 v23, 28, v26
	v_sub_nc_u32_e32 v26, 29, v26
	v_lshlrev_b64 v[23:24], v23, v[11:12]
	v_and_b32_e32 v23, 7, v23
; %bb.1439:                             ;   in Loop: Header=BB364_924 Depth=1
	s_or_b32 exec_lo, exec_lo, s20
	v_mov_b32_e32 v11, 24
	v_lshlrev_b32_e32 v23, 20, v23
	v_lshl_add_u32 v24, v26, 23, 0x3c000000
	v_lshlrev_b32_sdwa v11, v11, v22 dst_sel:DWORD dst_unused:UNUSED_PAD src0_sel:DWORD src1_sel:WORD_1
	v_and_b32_e32 v11, 0x80000000, v11
	v_or3_b32 v26, v23, v11, v24
.LBB364_1440:                           ;   in Loop: Header=BB364_924 Depth=1
	s_or_b32 exec_lo, exec_lo, s19
.LBB364_1441:                           ;   in Loop: Header=BB364_924 Depth=1
	s_or_b32 exec_lo, exec_lo, s18
.LBB364_1442:                           ;   in Loop: Header=BB364_924 Depth=1
	s_or_b32 exec_lo, exec_lo, s15
	s_mov_b32 s15, exec_lo
	v_cmpx_lt_u64_e64 s[6:7], v[21:22]
	s_cbranch_execz .LBB364_1450
; %bb.1443:                             ;   in Loop: Header=BB364_924 Depth=1
	v_cmp_ne_u32_sdwa s4, v22, v65 src0_sel:BYTE_3 src1_sel:DWORD
	v_bfrev_b32_e32 v25, 1
	s_and_saveexec_b32 s18, s4
	s_cbranch_execz .LBB364_1449
; %bb.1444:                             ;   in Loop: Header=BB364_924 Depth=1
	v_bfe_u32 v23, v22, 24, 7
	v_mov_b32_e32 v25, 0x7f800001
	s_mov_b32 s19, exec_lo
	v_cmpx_ne_u32_e32 0x7f, v23
	s_cbranch_execz .LBB364_1448
; %bb.1445:                             ;   in Loop: Header=BB364_924 Depth=1
	v_mov_b32_e32 v11, 7
	v_lshrrev_b32_e32 v21, 3, v23
	v_cmp_gt_u32_e64 s4, 8, v23
	v_and_b32_sdwa v11, v22, v11 dst_sel:DWORD dst_unused:UNUSED_PAD src0_sel:BYTE_3 src1_sel:DWORD
	v_mov_b32_e32 v24, v12
	v_mov_b32_e32 v23, v11
	s_and_saveexec_b32 s20, s4
; %bb.1446:                             ;   in Loop: Header=BB364_924 Depth=1
	v_ffbh_u32_e32 v21, v11
	v_min_u32_e32 v21, 32, v21
	v_subrev_nc_u32_e32 v23, 28, v21
	v_sub_nc_u32_e32 v21, 29, v21
	v_lshlrev_b64 v[23:24], v23, v[11:12]
	v_and_b32_e32 v23, 7, v23
; %bb.1447:                             ;   in Loop: Header=BB364_924 Depth=1
	s_or_b32 exec_lo, exec_lo, s20
	v_mov_b32_e32 v11, 24
	v_lshl_add_u32 v21, v21, 23, 0x3c000000
	v_lshlrev_b32_sdwa v11, v11, v22 dst_sel:DWORD dst_unused:UNUSED_PAD src0_sel:DWORD src1_sel:BYTE_3
	v_lshlrev_b32_e32 v22, 20, v23
	v_and_b32_e32 v11, 0x80000000, v11
	v_or3_b32 v25, v22, v11, v21
.LBB364_1448:                           ;   in Loop: Header=BB364_924 Depth=1
	s_or_b32 exec_lo, exec_lo, s19
.LBB364_1449:                           ;   in Loop: Header=BB364_924 Depth=1
	s_or_b32 exec_lo, exec_lo, s18
.LBB364_1450:                           ;   in Loop: Header=BB364_924 Depth=1
	s_or_b32 exec_lo, exec_lo, s15
	v_mul_f32_e32 v11, v54, v66
	v_mul_f32_e32 v10, v54, v10
	v_bfe_u32 v21, v11, 16, 1
	v_or_b32_e32 v22, 0x400000, v11
	v_cmp_u_f32_e64 s4, v11, v11
	v_add3_u32 v21, v21, v11, 0x7fff
	v_cndmask_b32_e64 v11, v21, v22, s4
	v_lshrrev_b32_e32 v104, 16, v11
	v_mul_f32_e32 v11, v54, v32
	v_bfe_u32 v21, v11, 16, 1
	v_or_b32_e32 v22, 0x400000, v11
	v_cmp_u_f32_e64 s4, v11, v11
	v_add3_u32 v21, v21, v11, 0x7fff
	v_cndmask_b32_e64 v11, v21, v22, s4
	v_lshrrev_b32_e32 v105, 16, v11
	;; [unrolled: 7-line block ×4, first 2 shown]
	v_mul_f32_e32 v11, v54, v13
	v_bfe_u32 v13, v11, 16, 1
	v_or_b32_e32 v14, 0x400000, v11
	v_cmp_u_f32_e64 s4, v11, v11
	v_add3_u32 v13, v13, v11, 0x7fff
	v_cndmask_b32_e64 v11, v13, v14, s4
	v_or_b32_e32 v13, 0x400000, v10
	v_cmp_u_f32_e64 s4, v10, v10
	v_lshrrev_b32_e32 v109, 16, v11
	v_bfe_u32 v11, v10, 16, 1
	v_add3_u32 v11, v11, v10, 0x7fff
	v_cndmask_b32_e64 v10, v11, v13, s4
	v_lshrrev_b32_e32 v110, 16, v10
	v_mul_f32_e32 v10, v54, v26
	v_bfe_u32 v11, v10, 16, 1
	v_or_b32_e32 v13, 0x400000, v10
	v_cmp_u_f32_e64 s4, v10, v10
	v_add3_u32 v11, v11, v10, 0x7fff
	v_cndmask_b32_e64 v10, v11, v13, s4
	v_lshrrev_b32_e32 v108, 16, v10
	v_mul_f32_e32 v10, v54, v25
	v_bfe_u32 v11, v10, 16, 1
	v_or_b32_e32 v13, 0x400000, v10
	v_cmp_u_f32_e64 s4, v10, v10
	v_add3_u32 v11, v11, v10, 0x7fff
	v_cndmask_b32_e64 v10, v11, v13, s4
	v_lshrrev_b32_e32 v111, 16, v10
	s_and_saveexec_b32 s15, vcc_lo
	s_cbranch_execz .LBB364_1452
; %bb.1451:                             ;   in Loop: Header=BB364_924 Depth=1
	v_cmp_lt_i32_e64 s4, v47, v30
	v_cndmask_b32_e64 v110, 0, v110, s4
	v_cmp_lt_i32_e64 s4, v61, v30
	v_cndmask_b32_e64 v109, 0, v109, s4
	;; [unrolled: 2-line block ×8, first 2 shown]
.LBB364_1452:                           ;   in Loop: Header=BB364_924 Depth=1
	s_or_b32 exec_lo, exec_lo, s15
	v_add_co_u32 v19, s4, 0x800, v19
	v_add_co_ci_u32_e64 v20, null, 0, v20, s4
	v_mov_b32_e32 v13, 0
	v_mov_b32_e32 v10, 0
	flat_load_dwordx2 v[21:22], v[19:20]
	s_waitcnt vmcnt(0) lgkmcnt(0)
	v_cmp_ne_u16_sdwa s4, v21, v12 src0_sel:BYTE_0 src1_sel:DWORD
	s_and_saveexec_b32 s15, s4
	s_cbranch_execz .LBB364_1460
; %bb.1453:                             ;   in Loop: Header=BB364_924 Depth=1
	v_cmp_ne_u16_sdwa s4, v21, v65 src0_sel:BYTE_0 src1_sel:DWORD
	v_bfrev_b32_e32 v10, 1
	s_and_saveexec_b32 s18, s4
	s_cbranch_execz .LBB364_1459
; %bb.1454:                             ;   in Loop: Header=BB364_924 Depth=1
	v_and_b32_e32 v11, 0x7f, v21
	v_mov_b32_e32 v10, 0x7f800001
	s_mov_b32 s19, exec_lo
	v_cmpx_ne_u32_e32 0x7f, v11
	s_cbranch_execz .LBB364_1458
; %bb.1455:                             ;   in Loop: Header=BB364_924 Depth=1
	v_lshrrev_b32_e32 v14, 3, v11
	v_cmp_gt_u32_e64 s4, 8, v11
	v_mov_b32_e32 v10, v21
	v_mov_b32_e32 v11, v22
	s_and_saveexec_b32 s20, s4
; %bb.1456:                             ;   in Loop: Header=BB364_924 Depth=1
	v_and_b32_e32 v10, 7, v21
	v_ffbh_u32_e32 v10, v10
	v_min_u32_e32 v14, 32, v10
	v_subrev_nc_u32_e32 v10, 28, v14
	v_sub_nc_u32_e32 v14, 29, v14
	v_lshlrev_b64 v[10:11], v10, v[21:22]
; %bb.1457:                             ;   in Loop: Header=BB364_924 Depth=1
	s_or_b32 exec_lo, exec_lo, s20
	v_lshlrev_b32_e32 v10, 20, v10
	v_lshlrev_b32_e32 v11, 24, v21
	v_lshl_add_u32 v14, v14, 23, 0x3c000000
	v_and_b32_e32 v10, 0x700000, v10
	v_and_b32_e32 v11, 0x80000000, v11
	v_or3_b32 v10, v10, v11, v14
.LBB364_1458:                           ;   in Loop: Header=BB364_924 Depth=1
	s_or_b32 exec_lo, exec_lo, s19
.LBB364_1459:                           ;   in Loop: Header=BB364_924 Depth=1
	s_or_b32 exec_lo, exec_lo, s18
.LBB364_1460:                           ;   in Loop: Header=BB364_924 Depth=1
	s_or_b32 exec_lo, exec_lo, s15
	v_cmp_ne_u16_sdwa s4, v21, v12 src0_sel:BYTE_1 src1_sel:DWORD
	s_and_saveexec_b32 s15, s4
	s_cbranch_execz .LBB364_1468
; %bb.1461:                             ;   in Loop: Header=BB364_924 Depth=1
	v_cmp_ne_u16_sdwa s4, v21, v65 src0_sel:BYTE_1 src1_sel:DWORD
	v_bfrev_b32_e32 v13, 1
	s_and_saveexec_b32 s18, s4
	s_cbranch_execz .LBB364_1467
; %bb.1462:                             ;   in Loop: Header=BB364_924 Depth=1
	v_mov_b32_e32 v11, 0xffff
	v_mov_b32_e32 v13, 0x7f800001
	s_mov_b32 s19, exec_lo
	v_and_b32_sdwa v11, v11, v21 dst_sel:DWORD dst_unused:UNUSED_PAD src0_sel:DWORD src1_sel:BYTE_1
	v_and_b32_e32 v14, 0x7f, v11
	v_cmpx_ne_u32_e32 0x7f, v14
	s_cbranch_execz .LBB364_1466
; %bb.1463:                             ;   in Loop: Header=BB364_924 Depth=1
	v_and_b32_e32 v11, 7, v11
	v_mov_b32_e32 v24, v12
	v_lshrrev_b32_e32 v13, 3, v14
	s_mov_b32 s20, exec_lo
	v_mov_b32_e32 v23, v11
	v_cmpx_gt_u32_e32 8, v14
; %bb.1464:                             ;   in Loop: Header=BB364_924 Depth=1
	v_ffbh_u32_e32 v13, v11
	v_min_u32_e32 v13, 32, v13
	v_subrev_nc_u32_e32 v14, 28, v13
	v_sub_nc_u32_e32 v13, 29, v13
	v_lshlrev_b64 v[23:24], v14, v[11:12]
	v_and_b32_e32 v23, 7, v23
; %bb.1465:                             ;   in Loop: Header=BB364_924 Depth=1
	s_or_b32 exec_lo, exec_lo, s20
	v_lshlrev_b32_e32 v11, 16, v21
	v_lshlrev_b32_e32 v14, 20, v23
	v_lshl_add_u32 v13, v13, 23, 0x3c000000
	v_and_b32_e32 v11, 0x80000000, v11
	v_or3_b32 v13, v14, v11, v13
.LBB364_1466:                           ;   in Loop: Header=BB364_924 Depth=1
	s_or_b32 exec_lo, exec_lo, s19
.LBB364_1467:                           ;   in Loop: Header=BB364_924 Depth=1
	s_or_b32 exec_lo, exec_lo, s18
.LBB364_1468:                           ;   in Loop: Header=BB364_924 Depth=1
	s_or_b32 exec_lo, exec_lo, s15
	v_and_b32_sdwa v11, v21, v67 dst_sel:DWORD dst_unused:UNUSED_PAD src0_sel:WORD_1 src1_sel:DWORD
	v_mov_b32_e32 v17, 0
	v_mov_b32_e32 v14, 0
	s_mov_b32 s15, exec_lo
	v_cmpx_ne_u16_e32 0, v11
	s_cbranch_execz .LBB364_1476
; %bb.1469:                             ;   in Loop: Header=BB364_924 Depth=1
	v_bfrev_b32_e32 v14, 1
	s_mov_b32 s18, exec_lo
	v_cmpx_ne_u16_e32 0x80, v11
	s_cbranch_execz .LBB364_1475
; %bb.1470:                             ;   in Loop: Header=BB364_924 Depth=1
	v_bfe_u32 v23, v21, 16, 7
	v_mov_b32_e32 v14, 0x7f800001
	s_mov_b32 s19, exec_lo
	v_cmpx_ne_u32_e32 0x7f, v23
	s_cbranch_execz .LBB364_1474
; %bb.1471:                             ;   in Loop: Header=BB364_924 Depth=1
	v_mov_b32_e32 v11, 7
	v_lshrrev_b32_e32 v14, 3, v23
	v_cmp_gt_u32_e64 s4, 8, v23
	v_and_b32_sdwa v11, v21, v11 dst_sel:DWORD dst_unused:UNUSED_PAD src0_sel:WORD_1 src1_sel:DWORD
	v_mov_b32_e32 v24, v12
	v_mov_b32_e32 v23, v11
	s_and_saveexec_b32 s20, s4
; %bb.1472:                             ;   in Loop: Header=BB364_924 Depth=1
	v_ffbh_u32_e32 v14, v11
	v_min_u32_e32 v14, 32, v14
	v_subrev_nc_u32_e32 v23, 28, v14
	v_sub_nc_u32_e32 v14, 29, v14
	v_lshlrev_b64 v[23:24], v23, v[11:12]
	v_and_b32_e32 v23, 7, v23
; %bb.1473:                             ;   in Loop: Header=BB364_924 Depth=1
	s_or_b32 exec_lo, exec_lo, s20
	v_mov_b32_e32 v11, 24
	v_lshlrev_b32_e32 v23, 20, v23
	v_lshl_add_u32 v14, v14, 23, 0x3c000000
	v_lshlrev_b32_sdwa v11, v11, v21 dst_sel:DWORD dst_unused:UNUSED_PAD src0_sel:DWORD src1_sel:WORD_1
	v_and_b32_e32 v11, 0x80000000, v11
	v_or3_b32 v14, v23, v11, v14
.LBB364_1474:                           ;   in Loop: Header=BB364_924 Depth=1
	s_or_b32 exec_lo, exec_lo, s19
.LBB364_1475:                           ;   in Loop: Header=BB364_924 Depth=1
	s_or_b32 exec_lo, exec_lo, s18
.LBB364_1476:                           ;   in Loop: Header=BB364_924 Depth=1
	s_or_b32 exec_lo, exec_lo, s15
	s_mov_b32 s15, exec_lo
	v_cmpx_lt_u32_e32 0xffffff, v21
	s_cbranch_execz .LBB364_1484
; %bb.1477:                             ;   in Loop: Header=BB364_924 Depth=1
	v_cmp_ne_u32_sdwa s4, v21, v65 src0_sel:BYTE_3 src1_sel:DWORD
	v_bfrev_b32_e32 v17, 1
	s_and_saveexec_b32 s18, s4
	s_cbranch_execz .LBB364_1483
; %bb.1478:                             ;   in Loop: Header=BB364_924 Depth=1
	v_bfe_u32 v23, v21, 24, 7
	v_mov_b32_e32 v17, 0x7f800001
	s_mov_b32 s19, exec_lo
	v_cmpx_ne_u32_e32 0x7f, v23
	s_cbranch_execz .LBB364_1482
; %bb.1479:                             ;   in Loop: Header=BB364_924 Depth=1
	v_mov_b32_e32 v11, 7
	v_lshrrev_b32_e32 v17, 3, v23
	v_cmp_gt_u32_e64 s4, 8, v23
	v_and_b32_sdwa v11, v21, v11 dst_sel:DWORD dst_unused:UNUSED_PAD src0_sel:BYTE_3 src1_sel:DWORD
	v_mov_b32_e32 v24, v12
	v_mov_b32_e32 v23, v11
	s_and_saveexec_b32 s20, s4
; %bb.1480:                             ;   in Loop: Header=BB364_924 Depth=1
	v_ffbh_u32_e32 v17, v11
	v_min_u32_e32 v17, 32, v17
	v_subrev_nc_u32_e32 v23, 28, v17
	v_sub_nc_u32_e32 v17, 29, v17
	v_lshlrev_b64 v[23:24], v23, v[11:12]
	v_and_b32_e32 v23, 7, v23
; %bb.1481:                             ;   in Loop: Header=BB364_924 Depth=1
	s_or_b32 exec_lo, exec_lo, s20
	v_mov_b32_e32 v11, 24
	v_lshlrev_b32_e32 v23, 20, v23
	v_lshl_add_u32 v17, v17, 23, 0x3c000000
	v_lshlrev_b32_sdwa v11, v11, v21 dst_sel:DWORD dst_unused:UNUSED_PAD src0_sel:DWORD src1_sel:BYTE_3
	v_and_b32_e32 v11, 0x80000000, v11
	v_or3_b32 v17, v23, v11, v17
.LBB364_1482:                           ;   in Loop: Header=BB364_924 Depth=1
	s_or_b32 exec_lo, exec_lo, s19
.LBB364_1483:                           ;   in Loop: Header=BB364_924 Depth=1
	s_or_b32 exec_lo, exec_lo, s18
.LBB364_1484:                           ;   in Loop: Header=BB364_924 Depth=1
	s_or_b32 exec_lo, exec_lo, s15
	v_mov_b32_e32 v11, v22
	v_cmp_ne_u16_sdwa s4, v22, v12 src0_sel:BYTE_0 src1_sel:DWORD
	v_mov_b32_e32 v66, 0
	v_mov_b32_e32 v32, 0
	s_and_saveexec_b32 s15, s4
	s_cbranch_execz .LBB364_1492
; %bb.1485:                             ;   in Loop: Header=BB364_924 Depth=1
	v_cmp_ne_u16_sdwa s4, v22, v65 src0_sel:BYTE_0 src1_sel:DWORD
	v_bfrev_b32_e32 v32, 1
	s_and_saveexec_b32 s18, s4
	s_cbranch_execz .LBB364_1491
; %bb.1486:                             ;   in Loop: Header=BB364_924 Depth=1
	v_and_b32_e32 v23, 0x7f, v22
	v_mov_b32_e32 v32, 0x7f800001
	s_mov_b32 s19, exec_lo
	v_cmpx_ne_u32_e32 0x7f, v23
	s_cbranch_execz .LBB364_1490
; %bb.1487:                             ;   in Loop: Header=BB364_924 Depth=1
	v_lshrrev_b32_e32 v25, 3, v23
	v_cmp_gt_u32_e64 s4, 8, v23
	v_mov_b32_e32 v24, v12
	v_mov_b32_e32 v23, v11
	s_and_saveexec_b32 s20, s4
; %bb.1488:                             ;   in Loop: Header=BB364_924 Depth=1
	v_and_b32_e32 v23, 7, v22
	v_ffbh_u32_e32 v23, v23
	v_min_u32_e32 v25, 32, v23
	v_subrev_nc_u32_e32 v23, 28, v25
	v_sub_nc_u32_e32 v25, 29, v25
	v_lshlrev_b64 v[23:24], v23, v[11:12]
; %bb.1489:                             ;   in Loop: Header=BB364_924 Depth=1
	s_or_b32 exec_lo, exec_lo, s20
	v_lshlrev_b32_e32 v23, 20, v23
	v_lshlrev_b32_e32 v24, 24, v11
	v_lshl_add_u32 v25, v25, 23, 0x3c000000
	v_and_b32_e32 v23, 0x700000, v23
	v_and_b32_e32 v24, 0x80000000, v24
	v_or3_b32 v32, v23, v24, v25
.LBB364_1490:                           ;   in Loop: Header=BB364_924 Depth=1
	s_or_b32 exec_lo, exec_lo, s19
.LBB364_1491:                           ;   in Loop: Header=BB364_924 Depth=1
	s_or_b32 exec_lo, exec_lo, s18
.LBB364_1492:                           ;   in Loop: Header=BB364_924 Depth=1
	s_or_b32 exec_lo, exec_lo, s15
	v_cmp_ne_u16_sdwa s4, v11, v12 src0_sel:BYTE_1 src1_sel:DWORD
	s_and_saveexec_b32 s15, s4
	s_cbranch_execz .LBB364_1500
; %bb.1493:                             ;   in Loop: Header=BB364_924 Depth=1
	v_cmp_ne_u16_sdwa s4, v11, v65 src0_sel:BYTE_1 src1_sel:DWORD
	v_bfrev_b32_e32 v66, 1
	s_and_saveexec_b32 s18, s4
	s_cbranch_execz .LBB364_1499
; %bb.1494:                             ;   in Loop: Header=BB364_924 Depth=1
	v_mov_b32_e32 v23, 0xffff
	v_mov_b32_e32 v66, 0x7f800001
	s_mov_b32 s19, exec_lo
	v_and_b32_sdwa v23, v23, v11 dst_sel:DWORD dst_unused:UNUSED_PAD src0_sel:DWORD src1_sel:BYTE_1
	v_and_b32_e32 v26, 0x7f, v23
	v_cmpx_ne_u32_e32 0x7f, v26
	s_cbranch_execz .LBB364_1498
; %bb.1495:                             ;   in Loop: Header=BB364_924 Depth=1
	v_and_b32_e32 v23, 7, v23
	v_mov_b32_e32 v24, v12
	v_lshrrev_b32_e32 v25, 3, v26
	s_mov_b32 s20, exec_lo
	v_cmpx_gt_u32_e32 8, v26
; %bb.1496:                             ;   in Loop: Header=BB364_924 Depth=1
	v_ffbh_u32_e32 v25, v23
	v_min_u32_e32 v25, 32, v25
	v_subrev_nc_u32_e32 v26, 28, v25
	v_sub_nc_u32_e32 v25, 29, v25
	v_lshlrev_b64 v[23:24], v26, v[23:24]
	v_and_b32_e32 v23, 7, v23
; %bb.1497:                             ;   in Loop: Header=BB364_924 Depth=1
	s_or_b32 exec_lo, exec_lo, s20
	v_lshlrev_b32_e32 v11, 16, v11
	v_lshlrev_b32_e32 v23, 20, v23
	v_lshl_add_u32 v24, v25, 23, 0x3c000000
	v_and_b32_e32 v11, 0x80000000, v11
	v_or3_b32 v66, v23, v11, v24
.LBB364_1498:                           ;   in Loop: Header=BB364_924 Depth=1
	s_or_b32 exec_lo, exec_lo, s19
.LBB364_1499:                           ;   in Loop: Header=BB364_924 Depth=1
	s_or_b32 exec_lo, exec_lo, s18
.LBB364_1500:                           ;   in Loop: Header=BB364_924 Depth=1
	s_or_b32 exec_lo, exec_lo, s15
	v_and_b32_sdwa v11, v22, v67 dst_sel:DWORD dst_unused:UNUSED_PAD src0_sel:WORD_1 src1_sel:DWORD
	v_mov_b32_e32 v25, 0
	v_mov_b32_e32 v26, 0
	s_mov_b32 s15, exec_lo
	v_cmpx_ne_u16_e32 0, v11
	s_cbranch_execz .LBB364_1508
; %bb.1501:                             ;   in Loop: Header=BB364_924 Depth=1
	v_bfrev_b32_e32 v26, 1
	s_mov_b32 s18, exec_lo
	v_cmpx_ne_u16_e32 0x80, v11
	s_cbranch_execz .LBB364_1507
; %bb.1502:                             ;   in Loop: Header=BB364_924 Depth=1
	v_bfe_u32 v23, v22, 16, 7
	v_mov_b32_e32 v26, 0x7f800001
	s_mov_b32 s19, exec_lo
	v_cmpx_ne_u32_e32 0x7f, v23
	s_cbranch_execz .LBB364_1506
; %bb.1503:                             ;   in Loop: Header=BB364_924 Depth=1
	v_mov_b32_e32 v11, 7
	v_lshrrev_b32_e32 v26, 3, v23
	v_cmp_gt_u32_e64 s4, 8, v23
	v_and_b32_sdwa v11, v22, v11 dst_sel:DWORD dst_unused:UNUSED_PAD src0_sel:WORD_1 src1_sel:DWORD
	v_mov_b32_e32 v24, v12
	v_mov_b32_e32 v23, v11
	s_and_saveexec_b32 s20, s4
; %bb.1504:                             ;   in Loop: Header=BB364_924 Depth=1
	v_ffbh_u32_e32 v23, v11
	v_min_u32_e32 v26, 32, v23
	v_subrev_nc_u32_e32 v23, 28, v26
	v_sub_nc_u32_e32 v26, 29, v26
	v_lshlrev_b64 v[23:24], v23, v[11:12]
	v_and_b32_e32 v23, 7, v23
; %bb.1505:                             ;   in Loop: Header=BB364_924 Depth=1
	s_or_b32 exec_lo, exec_lo, s20
	v_mov_b32_e32 v11, 24
	v_lshlrev_b32_e32 v23, 20, v23
	v_lshl_add_u32 v24, v26, 23, 0x3c000000
	v_lshlrev_b32_sdwa v11, v11, v22 dst_sel:DWORD dst_unused:UNUSED_PAD src0_sel:DWORD src1_sel:WORD_1
	v_and_b32_e32 v11, 0x80000000, v11
	v_or3_b32 v26, v23, v11, v24
.LBB364_1506:                           ;   in Loop: Header=BB364_924 Depth=1
	s_or_b32 exec_lo, exec_lo, s19
.LBB364_1507:                           ;   in Loop: Header=BB364_924 Depth=1
	s_or_b32 exec_lo, exec_lo, s18
.LBB364_1508:                           ;   in Loop: Header=BB364_924 Depth=1
	s_or_b32 exec_lo, exec_lo, s15
	s_mov_b32 s15, exec_lo
	v_cmpx_lt_u64_e64 s[6:7], v[21:22]
	s_cbranch_execz .LBB364_1516
; %bb.1509:                             ;   in Loop: Header=BB364_924 Depth=1
	v_cmp_ne_u32_sdwa s4, v22, v65 src0_sel:BYTE_3 src1_sel:DWORD
	v_bfrev_b32_e32 v25, 1
	s_and_saveexec_b32 s18, s4
	s_cbranch_execz .LBB364_1515
; %bb.1510:                             ;   in Loop: Header=BB364_924 Depth=1
	v_bfe_u32 v23, v22, 24, 7
	v_mov_b32_e32 v25, 0x7f800001
	s_mov_b32 s19, exec_lo
	v_cmpx_ne_u32_e32 0x7f, v23
	s_cbranch_execz .LBB364_1514
; %bb.1511:                             ;   in Loop: Header=BB364_924 Depth=1
	v_mov_b32_e32 v11, 7
	v_lshrrev_b32_e32 v21, 3, v23
	v_cmp_gt_u32_e64 s4, 8, v23
	v_and_b32_sdwa v11, v22, v11 dst_sel:DWORD dst_unused:UNUSED_PAD src0_sel:BYTE_3 src1_sel:DWORD
	v_mov_b32_e32 v24, v12
	v_mov_b32_e32 v23, v11
	s_and_saveexec_b32 s20, s4
; %bb.1512:                             ;   in Loop: Header=BB364_924 Depth=1
	v_ffbh_u32_e32 v21, v11
	v_min_u32_e32 v21, 32, v21
	v_subrev_nc_u32_e32 v23, 28, v21
	v_sub_nc_u32_e32 v21, 29, v21
	v_lshlrev_b64 v[23:24], v23, v[11:12]
	v_and_b32_e32 v23, 7, v23
; %bb.1513:                             ;   in Loop: Header=BB364_924 Depth=1
	s_or_b32 exec_lo, exec_lo, s20
	v_mov_b32_e32 v11, 24
	v_lshl_add_u32 v21, v21, 23, 0x3c000000
	v_lshlrev_b32_sdwa v11, v11, v22 dst_sel:DWORD dst_unused:UNUSED_PAD src0_sel:DWORD src1_sel:BYTE_3
	v_lshlrev_b32_e32 v22, 20, v23
	v_and_b32_e32 v11, 0x80000000, v11
	v_or3_b32 v25, v22, v11, v21
.LBB364_1514:                           ;   in Loop: Header=BB364_924 Depth=1
	s_or_b32 exec_lo, exec_lo, s19
.LBB364_1515:                           ;   in Loop: Header=BB364_924 Depth=1
	s_or_b32 exec_lo, exec_lo, s18
.LBB364_1516:                           ;   in Loop: Header=BB364_924 Depth=1
	s_or_b32 exec_lo, exec_lo, s15
	v_mul_f32_e32 v11, v54, v66
	v_mul_f32_e32 v10, v54, v10
	v_bfe_u32 v21, v11, 16, 1
	v_or_b32_e32 v22, 0x400000, v11
	v_cmp_u_f32_e64 s4, v11, v11
	v_add3_u32 v21, v21, v11, 0x7fff
	v_cndmask_b32_e64 v11, v21, v22, s4
	v_lshrrev_b32_e32 v120, 16, v11
	v_mul_f32_e32 v11, v54, v32
	v_bfe_u32 v21, v11, 16, 1
	v_or_b32_e32 v22, 0x400000, v11
	v_cmp_u_f32_e64 s4, v11, v11
	v_add3_u32 v21, v21, v11, 0x7fff
	v_cndmask_b32_e64 v11, v21, v22, s4
	v_lshrrev_b32_e32 v121, 16, v11
	;; [unrolled: 7-line block ×4, first 2 shown]
	v_mul_f32_e32 v11, v54, v13
	v_bfe_u32 v13, v11, 16, 1
	v_or_b32_e32 v14, 0x400000, v11
	v_cmp_u_f32_e64 s4, v11, v11
	v_add3_u32 v13, v13, v11, 0x7fff
	v_cndmask_b32_e64 v11, v13, v14, s4
	v_or_b32_e32 v13, 0x400000, v10
	v_cmp_u_f32_e64 s4, v10, v10
	v_lshrrev_b32_e32 v125, 16, v11
	v_bfe_u32 v11, v10, 16, 1
	v_add3_u32 v11, v11, v10, 0x7fff
	v_cndmask_b32_e64 v10, v11, v13, s4
	v_lshrrev_b32_e32 v126, 16, v10
	v_mul_f32_e32 v10, v54, v26
	v_bfe_u32 v11, v10, 16, 1
	v_or_b32_e32 v13, 0x400000, v10
	v_cmp_u_f32_e64 s4, v10, v10
	v_add3_u32 v11, v11, v10, 0x7fff
	v_cndmask_b32_e64 v10, v11, v13, s4
	v_lshrrev_b32_e32 v124, 16, v10
	v_mul_f32_e32 v10, v54, v25
	v_bfe_u32 v11, v10, 16, 1
	v_or_b32_e32 v13, 0x400000, v10
	v_cmp_u_f32_e64 s4, v10, v10
	v_add3_u32 v11, v11, v10, 0x7fff
	v_cndmask_b32_e64 v10, v11, v13, s4
	v_lshrrev_b32_e32 v127, 16, v10
	s_and_saveexec_b32 s15, vcc_lo
	s_cbranch_execz .LBB364_1518
; %bb.1517:                             ;   in Loop: Header=BB364_924 Depth=1
	v_cmp_lt_i32_e64 s4, v47, v30
	v_cndmask_b32_e64 v126, 0, v126, s4
	v_cmp_lt_i32_e64 s4, v61, v30
	v_cndmask_b32_e64 v125, 0, v125, s4
	;; [unrolled: 2-line block ×8, first 2 shown]
.LBB364_1518:                           ;   in Loop: Header=BB364_924 Depth=1
	s_or_b32 exec_lo, exec_lo, s15
	flat_load_dwordx2 v[21:22], v[19:20] offset:256
	v_mov_b32_e32 v25, 0
	v_mov_b32_e32 v10, 0
	s_waitcnt vmcnt(0) lgkmcnt(0)
	v_cmp_ne_u16_sdwa s4, v21, v12 src0_sel:BYTE_0 src1_sel:DWORD
	s_and_saveexec_b32 s15, s4
	s_cbranch_execz .LBB364_1526
; %bb.1519:                             ;   in Loop: Header=BB364_924 Depth=1
	v_cmp_ne_u16_sdwa s4, v21, v65 src0_sel:BYTE_0 src1_sel:DWORD
	v_bfrev_b32_e32 v10, 1
	s_and_saveexec_b32 s18, s4
	s_cbranch_execz .LBB364_1525
; %bb.1520:                             ;   in Loop: Header=BB364_924 Depth=1
	v_and_b32_e32 v11, 0x7f, v21
	v_mov_b32_e32 v10, 0x7f800001
	s_mov_b32 s19, exec_lo
	v_cmpx_ne_u32_e32 0x7f, v11
	s_cbranch_execz .LBB364_1524
; %bb.1521:                             ;   in Loop: Header=BB364_924 Depth=1
	v_lshrrev_b32_e32 v13, 3, v11
	v_cmp_gt_u32_e64 s4, 8, v11
	v_mov_b32_e32 v10, v21
	v_mov_b32_e32 v11, v22
	s_and_saveexec_b32 s20, s4
; %bb.1522:                             ;   in Loop: Header=BB364_924 Depth=1
	v_and_b32_e32 v10, 7, v21
	v_ffbh_u32_e32 v10, v10
	v_min_u32_e32 v13, 32, v10
	v_subrev_nc_u32_e32 v10, 28, v13
	v_sub_nc_u32_e32 v13, 29, v13
	v_lshlrev_b64 v[10:11], v10, v[21:22]
; %bb.1523:                             ;   in Loop: Header=BB364_924 Depth=1
	s_or_b32 exec_lo, exec_lo, s20
	v_lshlrev_b32_e32 v10, 20, v10
	v_lshlrev_b32_e32 v11, 24, v21
	v_lshl_add_u32 v13, v13, 23, 0x3c000000
	v_and_b32_e32 v10, 0x700000, v10
	v_and_b32_e32 v11, 0x80000000, v11
	v_or3_b32 v10, v10, v11, v13
.LBB364_1524:                           ;   in Loop: Header=BB364_924 Depth=1
	s_or_b32 exec_lo, exec_lo, s19
.LBB364_1525:                           ;   in Loop: Header=BB364_924 Depth=1
	s_or_b32 exec_lo, exec_lo, s18
.LBB364_1526:                           ;   in Loop: Header=BB364_924 Depth=1
	s_or_b32 exec_lo, exec_lo, s15
	v_cmp_ne_u16_sdwa s4, v21, v12 src0_sel:BYTE_1 src1_sel:DWORD
	s_and_saveexec_b32 s15, s4
	s_cbranch_execz .LBB364_1534
; %bb.1527:                             ;   in Loop: Header=BB364_924 Depth=1
	v_cmp_ne_u16_sdwa s4, v21, v65 src0_sel:BYTE_1 src1_sel:DWORD
	v_bfrev_b32_e32 v25, 1
	s_and_saveexec_b32 s18, s4
	s_cbranch_execz .LBB364_1533
; %bb.1528:                             ;   in Loop: Header=BB364_924 Depth=1
	v_mov_b32_e32 v11, 0xffff
	v_mov_b32_e32 v25, 0x7f800001
	s_mov_b32 s19, exec_lo
	v_and_b32_sdwa v11, v11, v21 dst_sel:DWORD dst_unused:UNUSED_PAD src0_sel:DWORD src1_sel:BYTE_1
	v_and_b32_e32 v14, 0x7f, v11
	v_cmpx_ne_u32_e32 0x7f, v14
	s_cbranch_execz .LBB364_1532
; %bb.1529:                             ;   in Loop: Header=BB364_924 Depth=1
	v_and_b32_e32 v11, 7, v11
	v_mov_b32_e32 v24, v12
	v_lshrrev_b32_e32 v13, 3, v14
	s_mov_b32 s20, exec_lo
	v_mov_b32_e32 v23, v11
	v_cmpx_gt_u32_e32 8, v14
; %bb.1530:                             ;   in Loop: Header=BB364_924 Depth=1
	v_ffbh_u32_e32 v13, v11
	v_min_u32_e32 v13, 32, v13
	v_subrev_nc_u32_e32 v14, 28, v13
	v_sub_nc_u32_e32 v13, 29, v13
	v_lshlrev_b64 v[23:24], v14, v[11:12]
	v_and_b32_e32 v23, 7, v23
; %bb.1531:                             ;   in Loop: Header=BB364_924 Depth=1
	s_or_b32 exec_lo, exec_lo, s20
	v_lshlrev_b32_e32 v11, 16, v21
	v_lshlrev_b32_e32 v14, 20, v23
	v_lshl_add_u32 v13, v13, 23, 0x3c000000
	v_and_b32_e32 v11, 0x80000000, v11
	v_or3_b32 v25, v14, v11, v13
.LBB364_1532:                           ;   in Loop: Header=BB364_924 Depth=1
	s_or_b32 exec_lo, exec_lo, s19
.LBB364_1533:                           ;   in Loop: Header=BB364_924 Depth=1
	s_or_b32 exec_lo, exec_lo, s18
.LBB364_1534:                           ;   in Loop: Header=BB364_924 Depth=1
	s_or_b32 exec_lo, exec_lo, s15
	v_and_b32_sdwa v11, v21, v67 dst_sel:DWORD dst_unused:UNUSED_PAD src0_sel:WORD_1 src1_sel:DWORD
	v_mov_b32_e32 v14, 0
	v_mov_b32_e32 v17, 0
	s_mov_b32 s15, exec_lo
	v_cmpx_ne_u16_e32 0, v11
	s_cbranch_execz .LBB364_1542
; %bb.1535:                             ;   in Loop: Header=BB364_924 Depth=1
	v_bfrev_b32_e32 v17, 1
	s_mov_b32 s18, exec_lo
	v_cmpx_ne_u16_e32 0x80, v11
	s_cbranch_execz .LBB364_1541
; %bb.1536:                             ;   in Loop: Header=BB364_924 Depth=1
	v_bfe_u32 v23, v21, 16, 7
	v_mov_b32_e32 v17, 0x7f800001
	s_mov_b32 s19, exec_lo
	v_cmpx_ne_u32_e32 0x7f, v23
	s_cbranch_execz .LBB364_1540
; %bb.1537:                             ;   in Loop: Header=BB364_924 Depth=1
	v_mov_b32_e32 v11, 7
	v_lshrrev_b32_e32 v13, 3, v23
	v_cmp_gt_u32_e64 s4, 8, v23
	v_and_b32_sdwa v11, v21, v11 dst_sel:DWORD dst_unused:UNUSED_PAD src0_sel:WORD_1 src1_sel:DWORD
	v_mov_b32_e32 v24, v12
	v_mov_b32_e32 v23, v11
	s_and_saveexec_b32 s20, s4
; %bb.1538:                             ;   in Loop: Header=BB364_924 Depth=1
	v_ffbh_u32_e32 v13, v11
	v_min_u32_e32 v13, 32, v13
	v_subrev_nc_u32_e32 v17, 28, v13
	v_sub_nc_u32_e32 v13, 29, v13
	v_lshlrev_b64 v[23:24], v17, v[11:12]
	v_and_b32_e32 v23, 7, v23
; %bb.1539:                             ;   in Loop: Header=BB364_924 Depth=1
	s_or_b32 exec_lo, exec_lo, s20
	v_mov_b32_e32 v11, 24
	v_lshlrev_b32_e32 v17, 20, v23
	v_lshl_add_u32 v13, v13, 23, 0x3c000000
	v_lshlrev_b32_sdwa v11, v11, v21 dst_sel:DWORD dst_unused:UNUSED_PAD src0_sel:DWORD src1_sel:WORD_1
	v_and_b32_e32 v11, 0x80000000, v11
	v_or3_b32 v17, v17, v11, v13
.LBB364_1540:                           ;   in Loop: Header=BB364_924 Depth=1
	s_or_b32 exec_lo, exec_lo, s19
.LBB364_1541:                           ;   in Loop: Header=BB364_924 Depth=1
	s_or_b32 exec_lo, exec_lo, s18
.LBB364_1542:                           ;   in Loop: Header=BB364_924 Depth=1
	s_or_b32 exec_lo, exec_lo, s15
	s_mov_b32 s15, exec_lo
	v_cmpx_lt_u32_e32 0xffffff, v21
	s_cbranch_execz .LBB364_1550
; %bb.1543:                             ;   in Loop: Header=BB364_924 Depth=1
	v_cmp_ne_u32_sdwa s4, v21, v65 src0_sel:BYTE_3 src1_sel:DWORD
	v_bfrev_b32_e32 v14, 1
	s_and_saveexec_b32 s18, s4
	s_cbranch_execz .LBB364_1549
; %bb.1544:                             ;   in Loop: Header=BB364_924 Depth=1
	v_bfe_u32 v23, v21, 24, 7
	v_mov_b32_e32 v14, 0x7f800001
	s_mov_b32 s19, exec_lo
	v_cmpx_ne_u32_e32 0x7f, v23
	s_cbranch_execz .LBB364_1548
; %bb.1545:                             ;   in Loop: Header=BB364_924 Depth=1
	v_mov_b32_e32 v11, 7
	v_lshrrev_b32_e32 v13, 3, v23
	v_cmp_gt_u32_e64 s4, 8, v23
	v_and_b32_sdwa v11, v21, v11 dst_sel:DWORD dst_unused:UNUSED_PAD src0_sel:BYTE_3 src1_sel:DWORD
	v_mov_b32_e32 v24, v12
	v_mov_b32_e32 v23, v11
	s_and_saveexec_b32 s20, s4
; %bb.1546:                             ;   in Loop: Header=BB364_924 Depth=1
	v_ffbh_u32_e32 v13, v11
	v_min_u32_e32 v13, 32, v13
	v_subrev_nc_u32_e32 v14, 28, v13
	v_sub_nc_u32_e32 v13, 29, v13
	v_lshlrev_b64 v[23:24], v14, v[11:12]
	v_and_b32_e32 v23, 7, v23
; %bb.1547:                             ;   in Loop: Header=BB364_924 Depth=1
	s_or_b32 exec_lo, exec_lo, s20
	v_mov_b32_e32 v11, 24
	v_lshlrev_b32_e32 v14, 20, v23
	v_lshl_add_u32 v13, v13, 23, 0x3c000000
	v_lshlrev_b32_sdwa v11, v11, v21 dst_sel:DWORD dst_unused:UNUSED_PAD src0_sel:DWORD src1_sel:BYTE_3
	v_and_b32_e32 v11, 0x80000000, v11
	v_or3_b32 v14, v14, v11, v13
.LBB364_1548:                           ;   in Loop: Header=BB364_924 Depth=1
	s_or_b32 exec_lo, exec_lo, s19
.LBB364_1549:                           ;   in Loop: Header=BB364_924 Depth=1
	s_or_b32 exec_lo, exec_lo, s18
.LBB364_1550:                           ;   in Loop: Header=BB364_924 Depth=1
	s_or_b32 exec_lo, exec_lo, s15
	v_mov_b32_e32 v11, v22
	v_cmp_ne_u16_sdwa s4, v22, v12 src0_sel:BYTE_0 src1_sel:DWORD
	v_mov_b32_e32 v26, 0
	v_mov_b32_e32 v13, 0
	s_and_saveexec_b32 s15, s4
	s_cbranch_execz .LBB364_1558
; %bb.1551:                             ;   in Loop: Header=BB364_924 Depth=1
	v_cmp_ne_u16_sdwa s4, v22, v65 src0_sel:BYTE_0 src1_sel:DWORD
	v_bfrev_b32_e32 v13, 1
	s_and_saveexec_b32 s18, s4
	s_cbranch_execz .LBB364_1557
; %bb.1552:                             ;   in Loop: Header=BB364_924 Depth=1
	v_and_b32_e32 v23, 0x7f, v22
	v_mov_b32_e32 v13, 0x7f800001
	s_mov_b32 s19, exec_lo
	v_cmpx_ne_u32_e32 0x7f, v23
	s_cbranch_execz .LBB364_1556
; %bb.1553:                             ;   in Loop: Header=BB364_924 Depth=1
	v_lshrrev_b32_e32 v13, 3, v23
	v_cmp_gt_u32_e64 s4, 8, v23
	v_mov_b32_e32 v24, v12
	v_mov_b32_e32 v23, v11
	s_and_saveexec_b32 s20, s4
; %bb.1554:                             ;   in Loop: Header=BB364_924 Depth=1
	v_and_b32_e32 v13, 7, v22
	v_ffbh_u32_e32 v13, v13
	v_min_u32_e32 v13, 32, v13
	v_subrev_nc_u32_e32 v23, 28, v13
	v_sub_nc_u32_e32 v13, 29, v13
	v_lshlrev_b64 v[23:24], v23, v[11:12]
; %bb.1555:                             ;   in Loop: Header=BB364_924 Depth=1
	s_or_b32 exec_lo, exec_lo, s20
	v_lshlrev_b32_e32 v23, 20, v23
	v_lshlrev_b32_e32 v24, 24, v11
	v_lshl_add_u32 v13, v13, 23, 0x3c000000
	v_and_b32_e32 v23, 0x700000, v23
	v_and_b32_e32 v24, 0x80000000, v24
	v_or3_b32 v13, v23, v24, v13
.LBB364_1556:                           ;   in Loop: Header=BB364_924 Depth=1
	s_or_b32 exec_lo, exec_lo, s19
.LBB364_1557:                           ;   in Loop: Header=BB364_924 Depth=1
	s_or_b32 exec_lo, exec_lo, s18
.LBB364_1558:                           ;   in Loop: Header=BB364_924 Depth=1
	s_or_b32 exec_lo, exec_lo, s15
	v_cmp_ne_u16_sdwa s4, v11, v12 src0_sel:BYTE_1 src1_sel:DWORD
	s_and_saveexec_b32 s15, s4
	s_cbranch_execz .LBB364_1566
; %bb.1559:                             ;   in Loop: Header=BB364_924 Depth=1
	v_cmp_ne_u16_sdwa s4, v11, v65 src0_sel:BYTE_1 src1_sel:DWORD
	v_bfrev_b32_e32 v26, 1
	s_and_saveexec_b32 s18, s4
	s_cbranch_execz .LBB364_1565
; %bb.1560:                             ;   in Loop: Header=BB364_924 Depth=1
	v_mov_b32_e32 v23, 0xffff
	v_mov_b32_e32 v26, 0x7f800001
	s_mov_b32 s19, exec_lo
	v_and_b32_sdwa v23, v23, v11 dst_sel:DWORD dst_unused:UNUSED_PAD src0_sel:DWORD src1_sel:BYTE_1
	v_and_b32_e32 v32, 0x7f, v23
	v_cmpx_ne_u32_e32 0x7f, v32
	s_cbranch_execz .LBB364_1564
; %bb.1561:                             ;   in Loop: Header=BB364_924 Depth=1
	v_and_b32_e32 v23, 7, v23
	v_mov_b32_e32 v24, v12
	v_lshrrev_b32_e32 v26, 3, v32
	s_mov_b32 s20, exec_lo
	v_cmpx_gt_u32_e32 8, v32
; %bb.1562:                             ;   in Loop: Header=BB364_924 Depth=1
	v_ffbh_u32_e32 v26, v23
	v_min_u32_e32 v26, 32, v26
	v_subrev_nc_u32_e32 v32, 28, v26
	v_sub_nc_u32_e32 v26, 29, v26
	v_lshlrev_b64 v[23:24], v32, v[23:24]
	v_and_b32_e32 v23, 7, v23
; %bb.1563:                             ;   in Loop: Header=BB364_924 Depth=1
	s_or_b32 exec_lo, exec_lo, s20
	v_lshlrev_b32_e32 v11, 16, v11
	v_lshlrev_b32_e32 v23, 20, v23
	v_lshl_add_u32 v24, v26, 23, 0x3c000000
	v_and_b32_e32 v11, 0x80000000, v11
	v_or3_b32 v26, v23, v11, v24
.LBB364_1564:                           ;   in Loop: Header=BB364_924 Depth=1
	s_or_b32 exec_lo, exec_lo, s19
.LBB364_1565:                           ;   in Loop: Header=BB364_924 Depth=1
	s_or_b32 exec_lo, exec_lo, s18
.LBB364_1566:                           ;   in Loop: Header=BB364_924 Depth=1
	s_or_b32 exec_lo, exec_lo, s15
	v_and_b32_sdwa v11, v22, v67 dst_sel:DWORD dst_unused:UNUSED_PAD src0_sel:WORD_1 src1_sel:DWORD
	v_mov_b32_e32 v66, 0
	v_mov_b32_e32 v68, 0
	s_mov_b32 s15, exec_lo
	v_cmpx_ne_u16_e32 0, v11
	s_cbranch_execz .LBB364_1574
; %bb.1567:                             ;   in Loop: Header=BB364_924 Depth=1
	v_bfrev_b32_e32 v68, 1
	s_mov_b32 s18, exec_lo
	v_cmpx_ne_u16_e32 0x80, v11
	s_cbranch_execz .LBB364_1573
; %bb.1568:                             ;   in Loop: Header=BB364_924 Depth=1
	v_bfe_u32 v23, v22, 16, 7
	v_mov_b32_e32 v68, 0x7f800001
	s_mov_b32 s19, exec_lo
	v_cmpx_ne_u32_e32 0x7f, v23
	s_cbranch_execz .LBB364_1572
; %bb.1569:                             ;   in Loop: Header=BB364_924 Depth=1
	v_mov_b32_e32 v11, 7
	v_lshrrev_b32_e32 v32, 3, v23
	v_cmp_gt_u32_e64 s4, 8, v23
	v_and_b32_sdwa v11, v22, v11 dst_sel:DWORD dst_unused:UNUSED_PAD src0_sel:WORD_1 src1_sel:DWORD
	v_mov_b32_e32 v24, v12
	v_mov_b32_e32 v23, v11
	s_and_saveexec_b32 s20, s4
; %bb.1570:                             ;   in Loop: Header=BB364_924 Depth=1
	v_ffbh_u32_e32 v23, v11
	v_min_u32_e32 v32, 32, v23
	v_subrev_nc_u32_e32 v23, 28, v32
	v_sub_nc_u32_e32 v32, 29, v32
	v_lshlrev_b64 v[23:24], v23, v[11:12]
	v_and_b32_e32 v23, 7, v23
; %bb.1571:                             ;   in Loop: Header=BB364_924 Depth=1
	s_or_b32 exec_lo, exec_lo, s20
	v_mov_b32_e32 v11, 24
	v_lshlrev_b32_e32 v23, 20, v23
	v_lshl_add_u32 v24, v32, 23, 0x3c000000
	v_lshlrev_b32_sdwa v11, v11, v22 dst_sel:DWORD dst_unused:UNUSED_PAD src0_sel:DWORD src1_sel:WORD_1
	v_and_b32_e32 v11, 0x80000000, v11
	v_or3_b32 v68, v23, v11, v24
.LBB364_1572:                           ;   in Loop: Header=BB364_924 Depth=1
	s_or_b32 exec_lo, exec_lo, s19
.LBB364_1573:                           ;   in Loop: Header=BB364_924 Depth=1
	s_or_b32 exec_lo, exec_lo, s18
.LBB364_1574:                           ;   in Loop: Header=BB364_924 Depth=1
	s_or_b32 exec_lo, exec_lo, s15
	s_mov_b32 s15, exec_lo
	v_cmpx_lt_u64_e64 s[6:7], v[21:22]
	s_cbranch_execz .LBB364_1582
; %bb.1575:                             ;   in Loop: Header=BB364_924 Depth=1
	v_cmp_ne_u32_sdwa s4, v22, v65 src0_sel:BYTE_3 src1_sel:DWORD
	v_bfrev_b32_e32 v66, 1
	s_and_saveexec_b32 s18, s4
	s_cbranch_execz .LBB364_1581
; %bb.1576:                             ;   in Loop: Header=BB364_924 Depth=1
	v_bfe_u32 v23, v22, 24, 7
	v_mov_b32_e32 v66, 0x7f800001
	s_mov_b32 s19, exec_lo
	v_cmpx_ne_u32_e32 0x7f, v23
	s_cbranch_execz .LBB364_1580
; %bb.1577:                             ;   in Loop: Header=BB364_924 Depth=1
	v_mov_b32_e32 v11, 7
	v_lshrrev_b32_e32 v21, 3, v23
	v_cmp_gt_u32_e64 s4, 8, v23
	v_and_b32_sdwa v11, v22, v11 dst_sel:DWORD dst_unused:UNUSED_PAD src0_sel:BYTE_3 src1_sel:DWORD
	v_mov_b32_e32 v24, v12
	v_mov_b32_e32 v23, v11
	s_and_saveexec_b32 s20, s4
; %bb.1578:                             ;   in Loop: Header=BB364_924 Depth=1
	v_ffbh_u32_e32 v21, v11
	v_min_u32_e32 v21, 32, v21
	v_subrev_nc_u32_e32 v23, 28, v21
	v_sub_nc_u32_e32 v21, 29, v21
	v_lshlrev_b64 v[23:24], v23, v[11:12]
	v_and_b32_e32 v23, 7, v23
; %bb.1579:                             ;   in Loop: Header=BB364_924 Depth=1
	s_or_b32 exec_lo, exec_lo, s20
	v_mov_b32_e32 v11, 24
	v_lshl_add_u32 v21, v21, 23, 0x3c000000
	v_lshlrev_b32_sdwa v11, v11, v22 dst_sel:DWORD dst_unused:UNUSED_PAD src0_sel:DWORD src1_sel:BYTE_3
	v_lshlrev_b32_e32 v22, 20, v23
	v_and_b32_e32 v11, 0x80000000, v11
	v_or3_b32 v66, v22, v11, v21
.LBB364_1580:                           ;   in Loop: Header=BB364_924 Depth=1
	s_or_b32 exec_lo, exec_lo, s19
.LBB364_1581:                           ;   in Loop: Header=BB364_924 Depth=1
	s_or_b32 exec_lo, exec_lo, s18
.LBB364_1582:                           ;   in Loop: Header=BB364_924 Depth=1
	s_or_b32 exec_lo, exec_lo, s15
	v_mul_f32_e32 v11, v54, v26
	v_mul_f32_e32 v10, v54, v10
	v_bfe_u32 v21, v11, 16, 1
	v_or_b32_e32 v22, 0x400000, v11
	v_cmp_u_f32_e64 s4, v11, v11
	v_add3_u32 v21, v21, v11, 0x7fff
	v_cndmask_b32_e64 v11, v21, v22, s4
	v_lshrrev_b32_e32 v26, 16, v11
	v_mul_f32_e32 v11, v54, v13
	v_bfe_u32 v13, v11, 16, 1
	v_or_b32_e32 v21, 0x400000, v11
	v_cmp_u_f32_e64 s4, v11, v11
	v_add3_u32 v13, v13, v11, 0x7fff
	v_cndmask_b32_e64 v11, v13, v21, s4
	v_lshrrev_b32_e32 v13, 16, v11
	;; [unrolled: 7-line block ×4, first 2 shown]
	v_mul_f32_e32 v11, v54, v25
	v_bfe_u32 v21, v11, 16, 1
	v_or_b32_e32 v22, 0x400000, v11
	v_cmp_u_f32_e64 s4, v11, v11
	v_add3_u32 v21, v21, v11, 0x7fff
	v_cndmask_b32_e64 v11, v21, v22, s4
	v_or_b32_e32 v21, 0x400000, v10
	v_cmp_u_f32_e64 s4, v10, v10
	v_lshrrev_b32_e32 v32, 16, v11
	v_bfe_u32 v11, v10, 16, 1
	v_add3_u32 v11, v11, v10, 0x7fff
	v_cndmask_b32_e64 v10, v11, v21, s4
	v_lshrrev_b32_e32 v71, 16, v10
	v_mul_f32_e32 v10, v54, v68
	v_bfe_u32 v11, v10, 16, 1
	v_or_b32_e32 v21, 0x400000, v10
	v_cmp_u_f32_e64 s4, v10, v10
	v_add3_u32 v11, v11, v10, 0x7fff
	v_cndmask_b32_e64 v10, v11, v21, s4
	v_lshrrev_b32_e32 v25, 16, v10
	v_mul_f32_e32 v10, v54, v66
	v_bfe_u32 v11, v10, 16, 1
	v_or_b32_e32 v21, 0x400000, v10
	v_cmp_u_f32_e64 s4, v10, v10
	v_add3_u32 v11, v11, v10, 0x7fff
	v_cndmask_b32_e64 v10, v11, v21, s4
	v_lshrrev_b32_e32 v80, 16, v10
	s_and_saveexec_b32 s15, vcc_lo
	s_cbranch_execz .LBB364_1584
; %bb.1583:                             ;   in Loop: Header=BB364_924 Depth=1
	v_cmp_lt_i32_e64 s4, v47, v30
	v_cndmask_b32_e64 v71, 0, v71, s4
	v_cmp_lt_i32_e64 s4, v61, v30
	v_cndmask_b32_e64 v32, 0, v32, s4
	;; [unrolled: 2-line block ×8, first 2 shown]
.LBB364_1584:                           ;   in Loop: Header=BB364_924 Depth=1
	s_or_b32 exec_lo, exec_lo, s15
	flat_load_dwordx2 v[21:22], v[19:20] offset:512
	v_mov_b32_e32 v66, 0
	v_mov_b32_e32 v10, 0
	s_waitcnt vmcnt(0) lgkmcnt(0)
	v_cmp_ne_u16_sdwa s4, v21, v12 src0_sel:BYTE_0 src1_sel:DWORD
	s_and_saveexec_b32 s15, s4
	s_cbranch_execz .LBB364_1592
; %bb.1585:                             ;   in Loop: Header=BB364_924 Depth=1
	v_cmp_ne_u16_sdwa s4, v21, v65 src0_sel:BYTE_0 src1_sel:DWORD
	v_bfrev_b32_e32 v10, 1
	s_and_saveexec_b32 s18, s4
	s_cbranch_execz .LBB364_1591
; %bb.1586:                             ;   in Loop: Header=BB364_924 Depth=1
	v_and_b32_e32 v11, 0x7f, v21
	v_mov_b32_e32 v10, 0x7f800001
	s_mov_b32 s19, exec_lo
	v_cmpx_ne_u32_e32 0x7f, v11
	s_cbranch_execz .LBB364_1590
; %bb.1587:                             ;   in Loop: Header=BB364_924 Depth=1
	v_lshrrev_b32_e32 v23, 3, v11
	v_cmp_gt_u32_e64 s4, 8, v11
	v_mov_b32_e32 v10, v21
	v_mov_b32_e32 v11, v22
	s_and_saveexec_b32 s20, s4
; %bb.1588:                             ;   in Loop: Header=BB364_924 Depth=1
	v_and_b32_e32 v10, 7, v21
	v_ffbh_u32_e32 v10, v10
	v_min_u32_e32 v23, 32, v10
	v_subrev_nc_u32_e32 v10, 28, v23
	v_sub_nc_u32_e32 v23, 29, v23
	v_lshlrev_b64 v[10:11], v10, v[21:22]
; %bb.1589:                             ;   in Loop: Header=BB364_924 Depth=1
	s_or_b32 exec_lo, exec_lo, s20
	v_lshlrev_b32_e32 v10, 20, v10
	v_lshlrev_b32_e32 v11, 24, v21
	v_lshl_add_u32 v23, v23, 23, 0x3c000000
	v_and_b32_e32 v10, 0x700000, v10
	v_and_b32_e32 v11, 0x80000000, v11
	v_or3_b32 v10, v10, v11, v23
.LBB364_1590:                           ;   in Loop: Header=BB364_924 Depth=1
	s_or_b32 exec_lo, exec_lo, s19
.LBB364_1591:                           ;   in Loop: Header=BB364_924 Depth=1
	s_or_b32 exec_lo, exec_lo, s18
.LBB364_1592:                           ;   in Loop: Header=BB364_924 Depth=1
	s_or_b32 exec_lo, exec_lo, s15
	v_cmp_ne_u16_sdwa s4, v21, v12 src0_sel:BYTE_1 src1_sel:DWORD
	s_and_saveexec_b32 s15, s4
	s_cbranch_execz .LBB364_1600
; %bb.1593:                             ;   in Loop: Header=BB364_924 Depth=1
	v_cmp_ne_u16_sdwa s4, v21, v65 src0_sel:BYTE_1 src1_sel:DWORD
	v_bfrev_b32_e32 v66, 1
	s_and_saveexec_b32 s18, s4
	s_cbranch_execz .LBB364_1599
; %bb.1594:                             ;   in Loop: Header=BB364_924 Depth=1
	v_mov_b32_e32 v11, 0xffff
	v_mov_b32_e32 v66, 0x7f800001
	s_mov_b32 s19, exec_lo
	v_and_b32_sdwa v11, v11, v21 dst_sel:DWORD dst_unused:UNUSED_PAD src0_sel:DWORD src1_sel:BYTE_1
	v_and_b32_e32 v23, 0x7f, v11
	v_cmpx_ne_u32_e32 0x7f, v23
	s_cbranch_execz .LBB364_1598
; %bb.1595:                             ;   in Loop: Header=BB364_924 Depth=1
	v_and_b32_e32 v11, 7, v11
	v_lshrrev_b32_e32 v66, 3, v23
	v_cmp_gt_u32_e64 s4, 8, v23
	v_mov_b32_e32 v24, v12
	v_mov_b32_e32 v23, v11
	s_and_saveexec_b32 s20, s4
; %bb.1596:                             ;   in Loop: Header=BB364_924 Depth=1
	v_ffbh_u32_e32 v23, v11
	v_min_u32_e32 v66, 32, v23
	v_subrev_nc_u32_e32 v23, 28, v66
	v_sub_nc_u32_e32 v66, 29, v66
	v_lshlrev_b64 v[23:24], v23, v[11:12]
	v_and_b32_e32 v23, 7, v23
; %bb.1597:                             ;   in Loop: Header=BB364_924 Depth=1
	s_or_b32 exec_lo, exec_lo, s20
	v_lshlrev_b32_e32 v11, 16, v21
	v_lshlrev_b32_e32 v23, 20, v23
	v_lshl_add_u32 v24, v66, 23, 0x3c000000
	v_and_b32_e32 v11, 0x80000000, v11
	v_or3_b32 v66, v23, v11, v24
.LBB364_1598:                           ;   in Loop: Header=BB364_924 Depth=1
	s_or_b32 exec_lo, exec_lo, s19
.LBB364_1599:                           ;   in Loop: Header=BB364_924 Depth=1
	s_or_b32 exec_lo, exec_lo, s18
.LBB364_1600:                           ;   in Loop: Header=BB364_924 Depth=1
	s_or_b32 exec_lo, exec_lo, s15
	v_and_b32_sdwa v11, v21, v67 dst_sel:DWORD dst_unused:UNUSED_PAD src0_sel:WORD_1 src1_sel:DWORD
	v_mov_b32_e32 v69, 0
	v_mov_b32_e32 v68, 0
	s_mov_b32 s15, exec_lo
	v_cmpx_ne_u16_e32 0, v11
	s_cbranch_execz .LBB364_1608
; %bb.1601:                             ;   in Loop: Header=BB364_924 Depth=1
	v_bfrev_b32_e32 v68, 1
	s_mov_b32 s18, exec_lo
	v_cmpx_ne_u16_e32 0x80, v11
	s_cbranch_execz .LBB364_1607
; %bb.1602:                             ;   in Loop: Header=BB364_924 Depth=1
	v_bfe_u32 v23, v21, 16, 7
	v_mov_b32_e32 v68, 0x7f800001
	s_mov_b32 s19, exec_lo
	v_cmpx_ne_u32_e32 0x7f, v23
	s_cbranch_execz .LBB364_1606
; %bb.1603:                             ;   in Loop: Header=BB364_924 Depth=1
	v_mov_b32_e32 v11, 7
	v_lshrrev_b32_e32 v68, 3, v23
	v_cmp_gt_u32_e64 s4, 8, v23
	v_and_b32_sdwa v11, v21, v11 dst_sel:DWORD dst_unused:UNUSED_PAD src0_sel:WORD_1 src1_sel:DWORD
	v_mov_b32_e32 v24, v12
	v_mov_b32_e32 v23, v11
	s_and_saveexec_b32 s20, s4
; %bb.1604:                             ;   in Loop: Header=BB364_924 Depth=1
	v_ffbh_u32_e32 v23, v11
	v_min_u32_e32 v68, 32, v23
	v_subrev_nc_u32_e32 v23, 28, v68
	v_sub_nc_u32_e32 v68, 29, v68
	v_lshlrev_b64 v[23:24], v23, v[11:12]
	v_and_b32_e32 v23, 7, v23
; %bb.1605:                             ;   in Loop: Header=BB364_924 Depth=1
	s_or_b32 exec_lo, exec_lo, s20
	v_mov_b32_e32 v11, 24
	v_lshlrev_b32_e32 v23, 20, v23
	v_lshl_add_u32 v24, v68, 23, 0x3c000000
	v_lshlrev_b32_sdwa v11, v11, v21 dst_sel:DWORD dst_unused:UNUSED_PAD src0_sel:DWORD src1_sel:WORD_1
	v_and_b32_e32 v11, 0x80000000, v11
	v_or3_b32 v68, v23, v11, v24
.LBB364_1606:                           ;   in Loop: Header=BB364_924 Depth=1
	s_or_b32 exec_lo, exec_lo, s19
.LBB364_1607:                           ;   in Loop: Header=BB364_924 Depth=1
	s_or_b32 exec_lo, exec_lo, s18
.LBB364_1608:                           ;   in Loop: Header=BB364_924 Depth=1
	s_or_b32 exec_lo, exec_lo, s15
	s_mov_b32 s15, exec_lo
	v_cmpx_lt_u32_e32 0xffffff, v21
	s_cbranch_execz .LBB364_1616
; %bb.1609:                             ;   in Loop: Header=BB364_924 Depth=1
	v_cmp_ne_u32_sdwa s4, v21, v65 src0_sel:BYTE_3 src1_sel:DWORD
	v_bfrev_b32_e32 v69, 1
	s_and_saveexec_b32 s18, s4
	s_cbranch_execz .LBB364_1615
; %bb.1610:                             ;   in Loop: Header=BB364_924 Depth=1
	v_bfe_u32 v23, v21, 24, 7
	v_mov_b32_e32 v69, 0x7f800001
	s_mov_b32 s19, exec_lo
	v_cmpx_ne_u32_e32 0x7f, v23
	s_cbranch_execz .LBB364_1614
; %bb.1611:                             ;   in Loop: Header=BB364_924 Depth=1
	v_mov_b32_e32 v11, 7
	v_lshrrev_b32_e32 v69, 3, v23
	v_cmp_gt_u32_e64 s4, 8, v23
	v_and_b32_sdwa v11, v21, v11 dst_sel:DWORD dst_unused:UNUSED_PAD src0_sel:BYTE_3 src1_sel:DWORD
	v_mov_b32_e32 v24, v12
	v_mov_b32_e32 v23, v11
	s_and_saveexec_b32 s20, s4
; %bb.1612:                             ;   in Loop: Header=BB364_924 Depth=1
	v_ffbh_u32_e32 v23, v11
	v_min_u32_e32 v69, 32, v23
	v_subrev_nc_u32_e32 v23, 28, v69
	v_sub_nc_u32_e32 v69, 29, v69
	v_lshlrev_b64 v[23:24], v23, v[11:12]
	v_and_b32_e32 v23, 7, v23
; %bb.1613:                             ;   in Loop: Header=BB364_924 Depth=1
	s_or_b32 exec_lo, exec_lo, s20
	v_mov_b32_e32 v11, 24
	v_lshlrev_b32_e32 v23, 20, v23
	v_lshl_add_u32 v24, v69, 23, 0x3c000000
	v_lshlrev_b32_sdwa v11, v11, v21 dst_sel:DWORD dst_unused:UNUSED_PAD src0_sel:DWORD src1_sel:BYTE_3
	v_and_b32_e32 v11, 0x80000000, v11
	v_or3_b32 v69, v23, v11, v24
.LBB364_1614:                           ;   in Loop: Header=BB364_924 Depth=1
	s_or_b32 exec_lo, exec_lo, s19
.LBB364_1615:                           ;   in Loop: Header=BB364_924 Depth=1
	s_or_b32 exec_lo, exec_lo, s18
.LBB364_1616:                           ;   in Loop: Header=BB364_924 Depth=1
	s_or_b32 exec_lo, exec_lo, s15
	v_mov_b32_e32 v11, v22
	v_cmp_ne_u16_sdwa s4, v22, v12 src0_sel:BYTE_0 src1_sel:DWORD
	v_mov_b32_e32 v81, 0
	v_mov_b32_e32 v82, 0
	s_and_saveexec_b32 s15, s4
	s_cbranch_execz .LBB364_1624
; %bb.1617:                             ;   in Loop: Header=BB364_924 Depth=1
	v_cmp_ne_u16_sdwa s4, v22, v65 src0_sel:BYTE_0 src1_sel:DWORD
	v_bfrev_b32_e32 v82, 1
	s_and_saveexec_b32 s18, s4
	s_cbranch_execz .LBB364_1623
; %bb.1618:                             ;   in Loop: Header=BB364_924 Depth=1
	v_and_b32_e32 v23, 0x7f, v22
	v_mov_b32_e32 v82, 0x7f800001
	s_mov_b32 s19, exec_lo
	v_cmpx_ne_u32_e32 0x7f, v23
	s_cbranch_execz .LBB364_1622
; %bb.1619:                             ;   in Loop: Header=BB364_924 Depth=1
	v_lshrrev_b32_e32 v82, 3, v23
	v_cmp_gt_u32_e64 s4, 8, v23
	v_mov_b32_e32 v24, v12
	v_mov_b32_e32 v23, v11
	s_and_saveexec_b32 s20, s4
; %bb.1620:                             ;   in Loop: Header=BB364_924 Depth=1
	v_and_b32_e32 v23, 7, v22
	v_ffbh_u32_e32 v23, v23
	v_min_u32_e32 v82, 32, v23
	v_subrev_nc_u32_e32 v23, 28, v82
	v_sub_nc_u32_e32 v82, 29, v82
	v_lshlrev_b64 v[23:24], v23, v[11:12]
; %bb.1621:                             ;   in Loop: Header=BB364_924 Depth=1
	s_or_b32 exec_lo, exec_lo, s20
	v_lshlrev_b32_e32 v23, 20, v23
	v_lshlrev_b32_e32 v24, 24, v11
	v_lshl_add_u32 v82, v82, 23, 0x3c000000
	v_and_b32_e32 v23, 0x700000, v23
	v_and_b32_e32 v24, 0x80000000, v24
	v_or3_b32 v82, v23, v24, v82
.LBB364_1622:                           ;   in Loop: Header=BB364_924 Depth=1
	s_or_b32 exec_lo, exec_lo, s19
.LBB364_1623:                           ;   in Loop: Header=BB364_924 Depth=1
	s_or_b32 exec_lo, exec_lo, s18
.LBB364_1624:                           ;   in Loop: Header=BB364_924 Depth=1
	s_or_b32 exec_lo, exec_lo, s15
	v_cmp_ne_u16_sdwa s4, v11, v12 src0_sel:BYTE_1 src1_sel:DWORD
	s_and_saveexec_b32 s15, s4
	s_cbranch_execz .LBB364_1632
; %bb.1625:                             ;   in Loop: Header=BB364_924 Depth=1
	v_cmp_ne_u16_sdwa s4, v11, v65 src0_sel:BYTE_1 src1_sel:DWORD
	v_bfrev_b32_e32 v81, 1
	s_and_saveexec_b32 s18, s4
	s_cbranch_execz .LBB364_1631
; %bb.1626:                             ;   in Loop: Header=BB364_924 Depth=1
	v_mov_b32_e32 v23, 0xffff
	v_mov_b32_e32 v81, 0x7f800001
	s_mov_b32 s19, exec_lo
	v_and_b32_sdwa v23, v23, v11 dst_sel:DWORD dst_unused:UNUSED_PAD src0_sel:DWORD src1_sel:BYTE_1
	v_and_b32_e32 v83, 0x7f, v23
	v_cmpx_ne_u32_e32 0x7f, v83
	s_cbranch_execz .LBB364_1630
; %bb.1627:                             ;   in Loop: Header=BB364_924 Depth=1
	v_and_b32_e32 v23, 7, v23
	v_mov_b32_e32 v24, v12
	v_lshrrev_b32_e32 v81, 3, v83
	s_mov_b32 s20, exec_lo
	v_cmpx_gt_u32_e32 8, v83
; %bb.1628:                             ;   in Loop: Header=BB364_924 Depth=1
	v_ffbh_u32_e32 v81, v23
	v_min_u32_e32 v81, 32, v81
	v_subrev_nc_u32_e32 v83, 28, v81
	v_sub_nc_u32_e32 v81, 29, v81
	v_lshlrev_b64 v[23:24], v83, v[23:24]
	v_and_b32_e32 v23, 7, v23
; %bb.1629:                             ;   in Loop: Header=BB364_924 Depth=1
	s_or_b32 exec_lo, exec_lo, s20
	v_lshlrev_b32_e32 v11, 16, v11
	v_lshlrev_b32_e32 v23, 20, v23
	v_lshl_add_u32 v24, v81, 23, 0x3c000000
	v_and_b32_e32 v11, 0x80000000, v11
	v_or3_b32 v81, v23, v11, v24
.LBB364_1630:                           ;   in Loop: Header=BB364_924 Depth=1
	s_or_b32 exec_lo, exec_lo, s19
.LBB364_1631:                           ;   in Loop: Header=BB364_924 Depth=1
	s_or_b32 exec_lo, exec_lo, s18
.LBB364_1632:                           ;   in Loop: Header=BB364_924 Depth=1
	s_or_b32 exec_lo, exec_lo, s15
	v_and_b32_sdwa v11, v22, v67 dst_sel:DWORD dst_unused:UNUSED_PAD src0_sel:WORD_1 src1_sel:DWORD
	v_mov_b32_e32 v87, 0
	v_mov_b32_e32 v86, 0
	s_mov_b32 s15, exec_lo
	v_cmpx_ne_u16_e32 0, v11
	s_cbranch_execz .LBB364_1640
; %bb.1633:                             ;   in Loop: Header=BB364_924 Depth=1
	v_bfrev_b32_e32 v86, 1
	s_mov_b32 s18, exec_lo
	v_cmpx_ne_u16_e32 0x80, v11
	s_cbranch_execz .LBB364_1639
; %bb.1634:                             ;   in Loop: Header=BB364_924 Depth=1
	v_bfe_u32 v23, v22, 16, 7
	v_mov_b32_e32 v86, 0x7f800001
	s_mov_b32 s19, exec_lo
	v_cmpx_ne_u32_e32 0x7f, v23
	s_cbranch_execz .LBB364_1638
; %bb.1635:                             ;   in Loop: Header=BB364_924 Depth=1
	v_mov_b32_e32 v11, 7
	v_lshrrev_b32_e32 v83, 3, v23
	v_cmp_gt_u32_e64 s4, 8, v23
	v_and_b32_sdwa v11, v22, v11 dst_sel:DWORD dst_unused:UNUSED_PAD src0_sel:WORD_1 src1_sel:DWORD
	v_mov_b32_e32 v24, v12
	v_mov_b32_e32 v23, v11
	s_and_saveexec_b32 s20, s4
; %bb.1636:                             ;   in Loop: Header=BB364_924 Depth=1
	v_ffbh_u32_e32 v23, v11
	v_min_u32_e32 v83, 32, v23
	v_subrev_nc_u32_e32 v23, 28, v83
	v_sub_nc_u32_e32 v83, 29, v83
	v_lshlrev_b64 v[23:24], v23, v[11:12]
	v_and_b32_e32 v23, 7, v23
; %bb.1637:                             ;   in Loop: Header=BB364_924 Depth=1
	s_or_b32 exec_lo, exec_lo, s20
	v_mov_b32_e32 v11, 24
	v_lshlrev_b32_e32 v23, 20, v23
	v_lshl_add_u32 v24, v83, 23, 0x3c000000
	v_lshlrev_b32_sdwa v11, v11, v22 dst_sel:DWORD dst_unused:UNUSED_PAD src0_sel:DWORD src1_sel:WORD_1
	v_and_b32_e32 v11, 0x80000000, v11
	v_or3_b32 v86, v23, v11, v24
.LBB364_1638:                           ;   in Loop: Header=BB364_924 Depth=1
	s_or_b32 exec_lo, exec_lo, s19
.LBB364_1639:                           ;   in Loop: Header=BB364_924 Depth=1
	s_or_b32 exec_lo, exec_lo, s18
.LBB364_1640:                           ;   in Loop: Header=BB364_924 Depth=1
	s_or_b32 exec_lo, exec_lo, s15
	s_mov_b32 s15, exec_lo
	v_cmpx_lt_u64_e64 s[6:7], v[21:22]
	s_cbranch_execz .LBB364_1648
; %bb.1641:                             ;   in Loop: Header=BB364_924 Depth=1
	v_cmp_ne_u32_sdwa s4, v22, v65 src0_sel:BYTE_3 src1_sel:DWORD
	v_bfrev_b32_e32 v87, 1
	s_and_saveexec_b32 s18, s4
	s_cbranch_execz .LBB364_1647
; %bb.1642:                             ;   in Loop: Header=BB364_924 Depth=1
	v_bfe_u32 v23, v22, 24, 7
	v_mov_b32_e32 v87, 0x7f800001
	s_mov_b32 s19, exec_lo
	v_cmpx_ne_u32_e32 0x7f, v23
	s_cbranch_execz .LBB364_1646
; %bb.1643:                             ;   in Loop: Header=BB364_924 Depth=1
	v_mov_b32_e32 v11, 7
	v_lshrrev_b32_e32 v21, 3, v23
	v_cmp_gt_u32_e64 s4, 8, v23
	v_and_b32_sdwa v11, v22, v11 dst_sel:DWORD dst_unused:UNUSED_PAD src0_sel:BYTE_3 src1_sel:DWORD
	v_mov_b32_e32 v24, v12
	v_mov_b32_e32 v23, v11
	s_and_saveexec_b32 s20, s4
; %bb.1644:                             ;   in Loop: Header=BB364_924 Depth=1
	v_ffbh_u32_e32 v21, v11
	v_min_u32_e32 v21, 32, v21
	v_subrev_nc_u32_e32 v23, 28, v21
	v_sub_nc_u32_e32 v21, 29, v21
	v_lshlrev_b64 v[23:24], v23, v[11:12]
	v_and_b32_e32 v23, 7, v23
; %bb.1645:                             ;   in Loop: Header=BB364_924 Depth=1
	s_or_b32 exec_lo, exec_lo, s20
	v_mov_b32_e32 v11, 24
	v_lshl_add_u32 v21, v21, 23, 0x3c000000
	v_lshlrev_b32_sdwa v11, v11, v22 dst_sel:DWORD dst_unused:UNUSED_PAD src0_sel:DWORD src1_sel:BYTE_3
	v_lshlrev_b32_e32 v22, 20, v23
	v_and_b32_e32 v11, 0x80000000, v11
	v_or3_b32 v87, v22, v11, v21
.LBB364_1646:                           ;   in Loop: Header=BB364_924 Depth=1
	s_or_b32 exec_lo, exec_lo, s19
.LBB364_1647:                           ;   in Loop: Header=BB364_924 Depth=1
	s_or_b32 exec_lo, exec_lo, s18
.LBB364_1648:                           ;   in Loop: Header=BB364_924 Depth=1
	s_or_b32 exec_lo, exec_lo, s15
	v_mul_f32_e32 v11, v54, v81
	v_mul_f32_e32 v10, v54, v10
	v_bfe_u32 v21, v11, 16, 1
	v_or_b32_e32 v22, 0x400000, v11
	v_cmp_u_f32_e64 s4, v11, v11
	v_add3_u32 v21, v21, v11, 0x7fff
	v_cndmask_b32_e64 v11, v21, v22, s4
	v_lshrrev_b32_e32 v81, 16, v11
	v_mul_f32_e32 v11, v54, v82
	v_bfe_u32 v21, v11, 16, 1
	v_or_b32_e32 v22, 0x400000, v11
	v_cmp_u_f32_e64 s4, v11, v11
	v_add3_u32 v21, v21, v11, 0x7fff
	v_cndmask_b32_e64 v11, v21, v22, s4
	v_lshrrev_b32_e32 v82, 16, v11
	;; [unrolled: 7-line block ×4, first 2 shown]
	v_mul_f32_e32 v11, v54, v66
	v_bfe_u32 v21, v11, 16, 1
	v_or_b32_e32 v22, 0x400000, v11
	v_cmp_u_f32_e64 s4, v11, v11
	v_add3_u32 v21, v21, v11, 0x7fff
	v_cndmask_b32_e64 v11, v21, v22, s4
	v_or_b32_e32 v21, 0x400000, v10
	v_cmp_u_f32_e64 s4, v10, v10
	v_lshrrev_b32_e32 v85, 16, v11
	v_bfe_u32 v11, v10, 16, 1
	v_add3_u32 v11, v11, v10, 0x7fff
	v_cndmask_b32_e64 v10, v11, v21, s4
	v_lshrrev_b32_e32 v66, 16, v10
	v_mul_f32_e32 v10, v54, v86
	v_bfe_u32 v11, v10, 16, 1
	v_or_b32_e32 v21, 0x400000, v10
	v_cmp_u_f32_e64 s4, v10, v10
	v_add3_u32 v11, v11, v10, 0x7fff
	v_cndmask_b32_e64 v10, v11, v21, s4
	v_lshrrev_b32_e32 v86, 16, v10
	v_mul_f32_e32 v10, v54, v87
	v_bfe_u32 v11, v10, 16, 1
	v_or_b32_e32 v21, 0x400000, v10
	v_cmp_u_f32_e64 s4, v10, v10
	v_add3_u32 v11, v11, v10, 0x7fff
	v_cndmask_b32_e64 v10, v11, v21, s4
	v_lshrrev_b32_e32 v68, 16, v10
	s_and_saveexec_b32 s15, vcc_lo
	s_cbranch_execz .LBB364_1650
; %bb.1649:                             ;   in Loop: Header=BB364_924 Depth=1
	v_cmp_lt_i32_e64 s4, v47, v30
	v_cndmask_b32_e64 v66, 0, v66, s4
	v_cmp_lt_i32_e64 s4, v61, v30
	v_cndmask_b32_e64 v85, 0, v85, s4
	;; [unrolled: 2-line block ×8, first 2 shown]
.LBB364_1650:                           ;   in Loop: Header=BB364_924 Depth=1
	s_or_b32 exec_lo, exec_lo, s15
	flat_load_dwordx2 v[21:22], v[19:20] offset:768
	v_mov_b32_e32 v98, 0
	v_mov_b32_e32 v10, 0
	s_waitcnt vmcnt(0) lgkmcnt(0)
	v_cmp_ne_u16_sdwa s4, v21, v12 src0_sel:BYTE_0 src1_sel:DWORD
	s_and_saveexec_b32 s15, s4
	s_cbranch_execz .LBB364_1658
; %bb.1651:                             ;   in Loop: Header=BB364_924 Depth=1
	v_cmp_ne_u16_sdwa s4, v21, v65 src0_sel:BYTE_0 src1_sel:DWORD
	v_bfrev_b32_e32 v10, 1
	s_and_saveexec_b32 s18, s4
	s_cbranch_execz .LBB364_1657
; %bb.1652:                             ;   in Loop: Header=BB364_924 Depth=1
	v_and_b32_e32 v11, 0x7f, v21
	v_mov_b32_e32 v10, 0x7f800001
	s_mov_b32 s19, exec_lo
	v_cmpx_ne_u32_e32 0x7f, v11
	s_cbranch_execz .LBB364_1656
; %bb.1653:                             ;   in Loop: Header=BB364_924 Depth=1
	v_lshrrev_b32_e32 v23, 3, v11
	v_cmp_gt_u32_e64 s4, 8, v11
	v_mov_b32_e32 v10, v21
	v_mov_b32_e32 v11, v22
	s_and_saveexec_b32 s20, s4
; %bb.1654:                             ;   in Loop: Header=BB364_924 Depth=1
	v_and_b32_e32 v10, 7, v21
	v_ffbh_u32_e32 v10, v10
	v_min_u32_e32 v23, 32, v10
	v_subrev_nc_u32_e32 v10, 28, v23
	v_sub_nc_u32_e32 v23, 29, v23
	v_lshlrev_b64 v[10:11], v10, v[21:22]
; %bb.1655:                             ;   in Loop: Header=BB364_924 Depth=1
	s_or_b32 exec_lo, exec_lo, s20
	v_lshlrev_b32_e32 v10, 20, v10
	v_lshlrev_b32_e32 v11, 24, v21
	v_lshl_add_u32 v23, v23, 23, 0x3c000000
	v_and_b32_e32 v10, 0x700000, v10
	v_and_b32_e32 v11, 0x80000000, v11
	v_or3_b32 v10, v10, v11, v23
.LBB364_1656:                           ;   in Loop: Header=BB364_924 Depth=1
	s_or_b32 exec_lo, exec_lo, s19
.LBB364_1657:                           ;   in Loop: Header=BB364_924 Depth=1
	s_or_b32 exec_lo, exec_lo, s18
.LBB364_1658:                           ;   in Loop: Header=BB364_924 Depth=1
	s_or_b32 exec_lo, exec_lo, s15
	v_cmp_ne_u16_sdwa s4, v21, v12 src0_sel:BYTE_1 src1_sel:DWORD
	s_and_saveexec_b32 s15, s4
	s_cbranch_execz .LBB364_1666
; %bb.1659:                             ;   in Loop: Header=BB364_924 Depth=1
	v_cmp_ne_u16_sdwa s4, v21, v65 src0_sel:BYTE_1 src1_sel:DWORD
	v_bfrev_b32_e32 v98, 1
	s_and_saveexec_b32 s18, s4
	s_cbranch_execz .LBB364_1665
; %bb.1660:                             ;   in Loop: Header=BB364_924 Depth=1
	v_mov_b32_e32 v11, 0xffff
	v_mov_b32_e32 v98, 0x7f800001
	s_mov_b32 s19, exec_lo
	v_and_b32_sdwa v11, v11, v21 dst_sel:DWORD dst_unused:UNUSED_PAD src0_sel:DWORD src1_sel:BYTE_1
	v_and_b32_e32 v23, 0x7f, v11
	v_cmpx_ne_u32_e32 0x7f, v23
	s_cbranch_execz .LBB364_1664
; %bb.1661:                             ;   in Loop: Header=BB364_924 Depth=1
	v_and_b32_e32 v11, 7, v11
	v_lshrrev_b32_e32 v69, 3, v23
	v_cmp_gt_u32_e64 s4, 8, v23
	v_mov_b32_e32 v24, v12
	v_mov_b32_e32 v23, v11
	s_and_saveexec_b32 s20, s4
; %bb.1662:                             ;   in Loop: Header=BB364_924 Depth=1
	v_ffbh_u32_e32 v23, v11
	v_min_u32_e32 v69, 32, v23
	v_subrev_nc_u32_e32 v23, 28, v69
	v_sub_nc_u32_e32 v69, 29, v69
	v_lshlrev_b64 v[23:24], v23, v[11:12]
	v_and_b32_e32 v23, 7, v23
; %bb.1663:                             ;   in Loop: Header=BB364_924 Depth=1
	s_or_b32 exec_lo, exec_lo, s20
	v_lshlrev_b32_e32 v11, 16, v21
	v_lshlrev_b32_e32 v23, 20, v23
	v_lshl_add_u32 v24, v69, 23, 0x3c000000
	v_and_b32_e32 v11, 0x80000000, v11
	v_or3_b32 v98, v23, v11, v24
.LBB364_1664:                           ;   in Loop: Header=BB364_924 Depth=1
	s_or_b32 exec_lo, exec_lo, s19
.LBB364_1665:                           ;   in Loop: Header=BB364_924 Depth=1
	s_or_b32 exec_lo, exec_lo, s18
.LBB364_1666:                           ;   in Loop: Header=BB364_924 Depth=1
	s_or_b32 exec_lo, exec_lo, s15
	v_and_b32_sdwa v11, v21, v67 dst_sel:DWORD dst_unused:UNUSED_PAD src0_sel:WORD_1 src1_sel:DWORD
	v_mov_b32_e32 v96, 0
	v_mov_b32_e32 v97, 0
	s_mov_b32 s15, exec_lo
	v_cmpx_ne_u16_e32 0, v11
	s_cbranch_execz .LBB364_1674
; %bb.1667:                             ;   in Loop: Header=BB364_924 Depth=1
	v_bfrev_b32_e32 v97, 1
	s_mov_b32 s18, exec_lo
	v_cmpx_ne_u16_e32 0x80, v11
	s_cbranch_execz .LBB364_1673
; %bb.1668:                             ;   in Loop: Header=BB364_924 Depth=1
	v_bfe_u32 v23, v21, 16, 7
	v_mov_b32_e32 v97, 0x7f800001
	s_mov_b32 s19, exec_lo
	v_cmpx_ne_u32_e32 0x7f, v23
	s_cbranch_execz .LBB364_1672
; %bb.1669:                             ;   in Loop: Header=BB364_924 Depth=1
	v_mov_b32_e32 v11, 7
	v_lshrrev_b32_e32 v69, 3, v23
	v_cmp_gt_u32_e64 s4, 8, v23
	v_and_b32_sdwa v11, v21, v11 dst_sel:DWORD dst_unused:UNUSED_PAD src0_sel:WORD_1 src1_sel:DWORD
	v_mov_b32_e32 v24, v12
	v_mov_b32_e32 v23, v11
	s_and_saveexec_b32 s20, s4
; %bb.1670:                             ;   in Loop: Header=BB364_924 Depth=1
	v_ffbh_u32_e32 v23, v11
	v_min_u32_e32 v69, 32, v23
	v_subrev_nc_u32_e32 v23, 28, v69
	v_sub_nc_u32_e32 v69, 29, v69
	v_lshlrev_b64 v[23:24], v23, v[11:12]
	v_and_b32_e32 v23, 7, v23
; %bb.1671:                             ;   in Loop: Header=BB364_924 Depth=1
	s_or_b32 exec_lo, exec_lo, s20
	v_mov_b32_e32 v11, 24
	v_lshlrev_b32_e32 v23, 20, v23
	v_lshl_add_u32 v24, v69, 23, 0x3c000000
	v_lshlrev_b32_sdwa v11, v11, v21 dst_sel:DWORD dst_unused:UNUSED_PAD src0_sel:DWORD src1_sel:WORD_1
	v_and_b32_e32 v11, 0x80000000, v11
	v_or3_b32 v97, v23, v11, v24
.LBB364_1672:                           ;   in Loop: Header=BB364_924 Depth=1
	s_or_b32 exec_lo, exec_lo, s19
.LBB364_1673:                           ;   in Loop: Header=BB364_924 Depth=1
	s_or_b32 exec_lo, exec_lo, s18
.LBB364_1674:                           ;   in Loop: Header=BB364_924 Depth=1
	s_or_b32 exec_lo, exec_lo, s15
	s_mov_b32 s15, exec_lo
	v_cmpx_lt_u32_e32 0xffffff, v21
	s_cbranch_execz .LBB364_1682
; %bb.1675:                             ;   in Loop: Header=BB364_924 Depth=1
	v_cmp_ne_u32_sdwa s4, v21, v65 src0_sel:BYTE_3 src1_sel:DWORD
	v_bfrev_b32_e32 v96, 1
	s_and_saveexec_b32 s18, s4
	s_cbranch_execz .LBB364_1681
; %bb.1676:                             ;   in Loop: Header=BB364_924 Depth=1
	v_bfe_u32 v23, v21, 24, 7
	v_mov_b32_e32 v96, 0x7f800001
	s_mov_b32 s19, exec_lo
	v_cmpx_ne_u32_e32 0x7f, v23
	s_cbranch_execz .LBB364_1680
; %bb.1677:                             ;   in Loop: Header=BB364_924 Depth=1
	v_mov_b32_e32 v11, 7
	v_lshrrev_b32_e32 v69, 3, v23
	v_cmp_gt_u32_e64 s4, 8, v23
	v_and_b32_sdwa v11, v21, v11 dst_sel:DWORD dst_unused:UNUSED_PAD src0_sel:BYTE_3 src1_sel:DWORD
	v_mov_b32_e32 v24, v12
	v_mov_b32_e32 v23, v11
	s_and_saveexec_b32 s20, s4
; %bb.1678:                             ;   in Loop: Header=BB364_924 Depth=1
	v_ffbh_u32_e32 v23, v11
	v_min_u32_e32 v69, 32, v23
	v_subrev_nc_u32_e32 v23, 28, v69
	v_sub_nc_u32_e32 v69, 29, v69
	v_lshlrev_b64 v[23:24], v23, v[11:12]
	v_and_b32_e32 v23, 7, v23
; %bb.1679:                             ;   in Loop: Header=BB364_924 Depth=1
	s_or_b32 exec_lo, exec_lo, s20
	v_mov_b32_e32 v11, 24
	v_lshlrev_b32_e32 v23, 20, v23
	v_lshl_add_u32 v24, v69, 23, 0x3c000000
	v_lshlrev_b32_sdwa v11, v11, v21 dst_sel:DWORD dst_unused:UNUSED_PAD src0_sel:DWORD src1_sel:BYTE_3
	v_and_b32_e32 v11, 0x80000000, v11
	v_or3_b32 v96, v23, v11, v24
.LBB364_1680:                           ;   in Loop: Header=BB364_924 Depth=1
	s_or_b32 exec_lo, exec_lo, s19
.LBB364_1681:                           ;   in Loop: Header=BB364_924 Depth=1
	s_or_b32 exec_lo, exec_lo, s18
.LBB364_1682:                           ;   in Loop: Header=BB364_924 Depth=1
	s_or_b32 exec_lo, exec_lo, s15
	v_mov_b32_e32 v11, v22
	v_cmp_ne_u16_sdwa s4, v22, v12 src0_sel:BYTE_0 src1_sel:DWORD
	v_mov_b32_e32 v69, 0
	v_mov_b32_e32 v87, 0
	s_and_saveexec_b32 s15, s4
	s_cbranch_execz .LBB364_1690
; %bb.1683:                             ;   in Loop: Header=BB364_924 Depth=1
	v_cmp_ne_u16_sdwa s4, v22, v65 src0_sel:BYTE_0 src1_sel:DWORD
	v_bfrev_b32_e32 v87, 1
	s_and_saveexec_b32 s18, s4
	s_cbranch_execz .LBB364_1689
; %bb.1684:                             ;   in Loop: Header=BB364_924 Depth=1
	v_and_b32_e32 v23, 0x7f, v22
	v_mov_b32_e32 v87, 0x7f800001
	s_mov_b32 s19, exec_lo
	v_cmpx_ne_u32_e32 0x7f, v23
	s_cbranch_execz .LBB364_1688
; %bb.1685:                             ;   in Loop: Header=BB364_924 Depth=1
	v_lshrrev_b32_e32 v87, 3, v23
	v_cmp_gt_u32_e64 s4, 8, v23
	v_mov_b32_e32 v24, v12
	v_mov_b32_e32 v23, v11
	s_and_saveexec_b32 s20, s4
; %bb.1686:                             ;   in Loop: Header=BB364_924 Depth=1
	v_and_b32_e32 v23, 7, v22
	v_ffbh_u32_e32 v23, v23
	v_min_u32_e32 v87, 32, v23
	v_subrev_nc_u32_e32 v23, 28, v87
	v_sub_nc_u32_e32 v87, 29, v87
	v_lshlrev_b64 v[23:24], v23, v[11:12]
; %bb.1687:                             ;   in Loop: Header=BB364_924 Depth=1
	s_or_b32 exec_lo, exec_lo, s20
	v_lshlrev_b32_e32 v23, 20, v23
	v_lshlrev_b32_e32 v24, 24, v11
	v_lshl_add_u32 v87, v87, 23, 0x3c000000
	v_and_b32_e32 v23, 0x700000, v23
	v_and_b32_e32 v24, 0x80000000, v24
	v_or3_b32 v87, v23, v24, v87
.LBB364_1688:                           ;   in Loop: Header=BB364_924 Depth=1
	s_or_b32 exec_lo, exec_lo, s19
.LBB364_1689:                           ;   in Loop: Header=BB364_924 Depth=1
	s_or_b32 exec_lo, exec_lo, s18
.LBB364_1690:                           ;   in Loop: Header=BB364_924 Depth=1
	s_or_b32 exec_lo, exec_lo, s15
	v_cmp_ne_u16_sdwa s4, v11, v12 src0_sel:BYTE_1 src1_sel:DWORD
	s_and_saveexec_b32 s15, s4
	s_cbranch_execz .LBB364_1698
; %bb.1691:                             ;   in Loop: Header=BB364_924 Depth=1
	v_cmp_ne_u16_sdwa s4, v11, v65 src0_sel:BYTE_1 src1_sel:DWORD
	v_bfrev_b32_e32 v69, 1
	s_and_saveexec_b32 s18, s4
	s_cbranch_execz .LBB364_1697
; %bb.1692:                             ;   in Loop: Header=BB364_924 Depth=1
	v_mov_b32_e32 v23, 0xffff
	v_mov_b32_e32 v69, 0x7f800001
	s_mov_b32 s19, exec_lo
	v_and_b32_sdwa v23, v23, v11 dst_sel:DWORD dst_unused:UNUSED_PAD src0_sel:DWORD src1_sel:BYTE_1
	v_and_b32_e32 v99, 0x7f, v23
	v_cmpx_ne_u32_e32 0x7f, v99
	s_cbranch_execz .LBB364_1696
; %bb.1693:                             ;   in Loop: Header=BB364_924 Depth=1
	v_and_b32_e32 v23, 7, v23
	v_mov_b32_e32 v24, v12
	v_lshrrev_b32_e32 v69, 3, v99
	s_mov_b32 s20, exec_lo
	v_cmpx_gt_u32_e32 8, v99
; %bb.1694:                             ;   in Loop: Header=BB364_924 Depth=1
	v_ffbh_u32_e32 v69, v23
	v_min_u32_e32 v69, 32, v69
	v_subrev_nc_u32_e32 v99, 28, v69
	v_sub_nc_u32_e32 v69, 29, v69
	v_lshlrev_b64 v[23:24], v99, v[23:24]
	v_and_b32_e32 v23, 7, v23
; %bb.1695:                             ;   in Loop: Header=BB364_924 Depth=1
	s_or_b32 exec_lo, exec_lo, s20
	v_lshlrev_b32_e32 v11, 16, v11
	v_lshlrev_b32_e32 v23, 20, v23
	v_lshl_add_u32 v24, v69, 23, 0x3c000000
	v_and_b32_e32 v11, 0x80000000, v11
	v_or3_b32 v69, v23, v11, v24
.LBB364_1696:                           ;   in Loop: Header=BB364_924 Depth=1
	s_or_b32 exec_lo, exec_lo, s19
.LBB364_1697:                           ;   in Loop: Header=BB364_924 Depth=1
	s_or_b32 exec_lo, exec_lo, s18
.LBB364_1698:                           ;   in Loop: Header=BB364_924 Depth=1
	s_or_b32 exec_lo, exec_lo, s15
	v_and_b32_sdwa v11, v22, v67 dst_sel:DWORD dst_unused:UNUSED_PAD src0_sel:WORD_1 src1_sel:DWORD
	v_mov_b32_e32 v101, 0
	v_mov_b32_e32 v99, 0
	s_mov_b32 s15, exec_lo
	v_cmpx_ne_u16_e32 0, v11
	s_cbranch_execz .LBB364_1706
; %bb.1699:                             ;   in Loop: Header=BB364_924 Depth=1
	v_bfrev_b32_e32 v99, 1
	s_mov_b32 s18, exec_lo
	v_cmpx_ne_u16_e32 0x80, v11
	s_cbranch_execz .LBB364_1705
; %bb.1700:                             ;   in Loop: Header=BB364_924 Depth=1
	v_bfe_u32 v23, v22, 16, 7
	v_mov_b32_e32 v99, 0x7f800001
	s_mov_b32 s19, exec_lo
	v_cmpx_ne_u32_e32 0x7f, v23
	s_cbranch_execz .LBB364_1704
; %bb.1701:                             ;   in Loop: Header=BB364_924 Depth=1
	v_mov_b32_e32 v11, 7
	v_lshrrev_b32_e32 v99, 3, v23
	v_cmp_gt_u32_e64 s4, 8, v23
	v_and_b32_sdwa v11, v22, v11 dst_sel:DWORD dst_unused:UNUSED_PAD src0_sel:WORD_1 src1_sel:DWORD
	v_mov_b32_e32 v24, v12
	v_mov_b32_e32 v23, v11
	s_and_saveexec_b32 s20, s4
; %bb.1702:                             ;   in Loop: Header=BB364_924 Depth=1
	v_ffbh_u32_e32 v23, v11
	v_min_u32_e32 v99, 32, v23
	v_subrev_nc_u32_e32 v23, 28, v99
	v_sub_nc_u32_e32 v99, 29, v99
	v_lshlrev_b64 v[23:24], v23, v[11:12]
	v_and_b32_e32 v23, 7, v23
; %bb.1703:                             ;   in Loop: Header=BB364_924 Depth=1
	s_or_b32 exec_lo, exec_lo, s20
	v_mov_b32_e32 v11, 24
	v_lshlrev_b32_e32 v23, 20, v23
	v_lshl_add_u32 v24, v99, 23, 0x3c000000
	v_lshlrev_b32_sdwa v11, v11, v22 dst_sel:DWORD dst_unused:UNUSED_PAD src0_sel:DWORD src1_sel:WORD_1
	v_and_b32_e32 v11, 0x80000000, v11
	v_or3_b32 v99, v23, v11, v24
.LBB364_1704:                           ;   in Loop: Header=BB364_924 Depth=1
	s_or_b32 exec_lo, exec_lo, s19
.LBB364_1705:                           ;   in Loop: Header=BB364_924 Depth=1
	s_or_b32 exec_lo, exec_lo, s18
.LBB364_1706:                           ;   in Loop: Header=BB364_924 Depth=1
	s_or_b32 exec_lo, exec_lo, s15
	s_mov_b32 s15, exec_lo
	v_cmpx_lt_u64_e64 s[6:7], v[21:22]
	s_cbranch_execz .LBB364_1714
; %bb.1707:                             ;   in Loop: Header=BB364_924 Depth=1
	v_cmp_ne_u32_sdwa s4, v22, v65 src0_sel:BYTE_3 src1_sel:DWORD
	v_bfrev_b32_e32 v101, 1
	s_and_saveexec_b32 s18, s4
	s_cbranch_execz .LBB364_1713
; %bb.1708:                             ;   in Loop: Header=BB364_924 Depth=1
	v_bfe_u32 v23, v22, 24, 7
	v_mov_b32_e32 v101, 0x7f800001
	s_mov_b32 s19, exec_lo
	v_cmpx_ne_u32_e32 0x7f, v23
	s_cbranch_execz .LBB364_1712
; %bb.1709:                             ;   in Loop: Header=BB364_924 Depth=1
	v_mov_b32_e32 v11, 7
	v_lshrrev_b32_e32 v21, 3, v23
	v_cmp_gt_u32_e64 s4, 8, v23
	v_and_b32_sdwa v11, v22, v11 dst_sel:DWORD dst_unused:UNUSED_PAD src0_sel:BYTE_3 src1_sel:DWORD
	v_mov_b32_e32 v24, v12
	v_mov_b32_e32 v23, v11
	s_and_saveexec_b32 s20, s4
; %bb.1710:                             ;   in Loop: Header=BB364_924 Depth=1
	v_ffbh_u32_e32 v21, v11
	v_min_u32_e32 v21, 32, v21
	v_subrev_nc_u32_e32 v23, 28, v21
	v_sub_nc_u32_e32 v21, 29, v21
	v_lshlrev_b64 v[23:24], v23, v[11:12]
	v_and_b32_e32 v23, 7, v23
; %bb.1711:                             ;   in Loop: Header=BB364_924 Depth=1
	s_or_b32 exec_lo, exec_lo, s20
	v_mov_b32_e32 v11, 24
	v_lshl_add_u32 v21, v21, 23, 0x3c000000
	v_lshlrev_b32_sdwa v11, v11, v22 dst_sel:DWORD dst_unused:UNUSED_PAD src0_sel:DWORD src1_sel:BYTE_3
	v_lshlrev_b32_e32 v22, 20, v23
	v_and_b32_e32 v11, 0x80000000, v11
	v_or3_b32 v101, v22, v11, v21
.LBB364_1712:                           ;   in Loop: Header=BB364_924 Depth=1
	s_or_b32 exec_lo, exec_lo, s19
.LBB364_1713:                           ;   in Loop: Header=BB364_924 Depth=1
	s_or_b32 exec_lo, exec_lo, s18
.LBB364_1714:                           ;   in Loop: Header=BB364_924 Depth=1
	s_or_b32 exec_lo, exec_lo, s15
	v_mul_f32_e32 v11, v54, v69
	v_mul_f32_e32 v10, v54, v10
	v_bfe_u32 v21, v11, 16, 1
	v_or_b32_e32 v22, 0x400000, v11
	v_cmp_u_f32_e64 s4, v11, v11
	v_add3_u32 v21, v21, v11, 0x7fff
	v_cndmask_b32_e64 v11, v21, v22, s4
	v_lshrrev_b32_e32 v69, 16, v11
	v_mul_f32_e32 v11, v54, v87
	v_bfe_u32 v21, v11, 16, 1
	v_or_b32_e32 v22, 0x400000, v11
	v_cmp_u_f32_e64 s4, v11, v11
	v_add3_u32 v21, v21, v11, 0x7fff
	v_cndmask_b32_e64 v11, v21, v22, s4
	v_lshrrev_b32_e32 v87, 16, v11
	;; [unrolled: 7-line block ×4, first 2 shown]
	v_mul_f32_e32 v11, v54, v98
	v_bfe_u32 v21, v11, 16, 1
	v_or_b32_e32 v22, 0x400000, v11
	v_cmp_u_f32_e64 s4, v11, v11
	v_add3_u32 v21, v21, v11, 0x7fff
	v_cndmask_b32_e64 v11, v21, v22, s4
	v_or_b32_e32 v21, 0x400000, v10
	v_cmp_u_f32_e64 s4, v10, v10
	v_lshrrev_b32_e32 v98, 16, v11
	v_bfe_u32 v11, v10, 16, 1
	v_add3_u32 v11, v11, v10, 0x7fff
	v_cndmask_b32_e64 v10, v11, v21, s4
	v_lshrrev_b32_e32 v100, 16, v10
	v_mul_f32_e32 v10, v54, v99
	v_bfe_u32 v11, v10, 16, 1
	v_or_b32_e32 v21, 0x400000, v10
	v_cmp_u_f32_e64 s4, v10, v10
	v_add3_u32 v11, v11, v10, 0x7fff
	v_cndmask_b32_e64 v10, v11, v21, s4
	v_lshrrev_b32_e32 v99, 16, v10
	v_mul_f32_e32 v10, v54, v101
	v_bfe_u32 v11, v10, 16, 1
	v_or_b32_e32 v21, 0x400000, v10
	v_cmp_u_f32_e64 s4, v10, v10
	v_add3_u32 v11, v11, v10, 0x7fff
	v_cndmask_b32_e64 v10, v11, v21, s4
	v_lshrrev_b32_e32 v101, 16, v10
	s_and_saveexec_b32 s15, vcc_lo
	s_cbranch_execz .LBB364_1716
; %bb.1715:                             ;   in Loop: Header=BB364_924 Depth=1
	v_cmp_lt_i32_e64 s4, v47, v30
	v_cndmask_b32_e64 v100, 0, v100, s4
	v_cmp_lt_i32_e64 s4, v61, v30
	v_cndmask_b32_e64 v98, 0, v98, s4
	;; [unrolled: 2-line block ×8, first 2 shown]
.LBB364_1716:                           ;   in Loop: Header=BB364_924 Depth=1
	s_or_b32 exec_lo, exec_lo, s15
	flat_load_dwordx2 v[21:22], v[19:20] offset:1024
	v_mov_b32_e32 v114, 0
	v_mov_b32_e32 v10, 0
	s_waitcnt vmcnt(0) lgkmcnt(0)
	v_cmp_ne_u16_sdwa s4, v21, v12 src0_sel:BYTE_0 src1_sel:DWORD
	s_and_saveexec_b32 s15, s4
	s_cbranch_execz .LBB364_1724
; %bb.1717:                             ;   in Loop: Header=BB364_924 Depth=1
	v_cmp_ne_u16_sdwa s4, v21, v65 src0_sel:BYTE_0 src1_sel:DWORD
	v_bfrev_b32_e32 v10, 1
	s_and_saveexec_b32 s18, s4
	s_cbranch_execz .LBB364_1723
; %bb.1718:                             ;   in Loop: Header=BB364_924 Depth=1
	v_and_b32_e32 v11, 0x7f, v21
	v_mov_b32_e32 v10, 0x7f800001
	s_mov_b32 s19, exec_lo
	v_cmpx_ne_u32_e32 0x7f, v11
	s_cbranch_execz .LBB364_1722
; %bb.1719:                             ;   in Loop: Header=BB364_924 Depth=1
	v_lshrrev_b32_e32 v23, 3, v11
	v_cmp_gt_u32_e64 s4, 8, v11
	v_mov_b32_e32 v10, v21
	v_mov_b32_e32 v11, v22
	s_and_saveexec_b32 s20, s4
; %bb.1720:                             ;   in Loop: Header=BB364_924 Depth=1
	v_and_b32_e32 v10, 7, v21
	v_ffbh_u32_e32 v10, v10
	v_min_u32_e32 v23, 32, v10
	v_subrev_nc_u32_e32 v10, 28, v23
	v_sub_nc_u32_e32 v23, 29, v23
	v_lshlrev_b64 v[10:11], v10, v[21:22]
; %bb.1721:                             ;   in Loop: Header=BB364_924 Depth=1
	s_or_b32 exec_lo, exec_lo, s20
	v_lshlrev_b32_e32 v10, 20, v10
	v_lshlrev_b32_e32 v11, 24, v21
	v_lshl_add_u32 v23, v23, 23, 0x3c000000
	v_and_b32_e32 v10, 0x700000, v10
	v_and_b32_e32 v11, 0x80000000, v11
	v_or3_b32 v10, v10, v11, v23
.LBB364_1722:                           ;   in Loop: Header=BB364_924 Depth=1
	s_or_b32 exec_lo, exec_lo, s19
.LBB364_1723:                           ;   in Loop: Header=BB364_924 Depth=1
	s_or_b32 exec_lo, exec_lo, s18
.LBB364_1724:                           ;   in Loop: Header=BB364_924 Depth=1
	s_or_b32 exec_lo, exec_lo, s15
	v_cmp_ne_u16_sdwa s4, v21, v12 src0_sel:BYTE_1 src1_sel:DWORD
	s_and_saveexec_b32 s15, s4
	s_cbranch_execz .LBB364_1732
; %bb.1725:                             ;   in Loop: Header=BB364_924 Depth=1
	v_cmp_ne_u16_sdwa s4, v21, v65 src0_sel:BYTE_1 src1_sel:DWORD
	v_bfrev_b32_e32 v114, 1
	s_and_saveexec_b32 s18, s4
	s_cbranch_execz .LBB364_1731
; %bb.1726:                             ;   in Loop: Header=BB364_924 Depth=1
	v_mov_b32_e32 v11, 0xffff
	v_mov_b32_e32 v114, 0x7f800001
	s_mov_b32 s19, exec_lo
	v_and_b32_sdwa v11, v11, v21 dst_sel:DWORD dst_unused:UNUSED_PAD src0_sel:DWORD src1_sel:BYTE_1
	v_and_b32_e32 v23, 0x7f, v11
	v_cmpx_ne_u32_e32 0x7f, v23
	s_cbranch_execz .LBB364_1730
; %bb.1727:                             ;   in Loop: Header=BB364_924 Depth=1
	v_and_b32_e32 v11, 7, v11
	v_lshrrev_b32_e32 v102, 3, v23
	v_cmp_gt_u32_e64 s4, 8, v23
	v_mov_b32_e32 v24, v12
	v_mov_b32_e32 v23, v11
	s_and_saveexec_b32 s20, s4
; %bb.1728:                             ;   in Loop: Header=BB364_924 Depth=1
	v_ffbh_u32_e32 v23, v11
	v_min_u32_e32 v102, 32, v23
	v_subrev_nc_u32_e32 v23, 28, v102
	v_sub_nc_u32_e32 v102, 29, v102
	v_lshlrev_b64 v[23:24], v23, v[11:12]
	v_and_b32_e32 v23, 7, v23
; %bb.1729:                             ;   in Loop: Header=BB364_924 Depth=1
	s_or_b32 exec_lo, exec_lo, s20
	v_lshlrev_b32_e32 v11, 16, v21
	v_lshlrev_b32_e32 v23, 20, v23
	v_lshl_add_u32 v24, v102, 23, 0x3c000000
	v_and_b32_e32 v11, 0x80000000, v11
	v_or3_b32 v114, v23, v11, v24
.LBB364_1730:                           ;   in Loop: Header=BB364_924 Depth=1
	s_or_b32 exec_lo, exec_lo, s19
.LBB364_1731:                           ;   in Loop: Header=BB364_924 Depth=1
	s_or_b32 exec_lo, exec_lo, s18
.LBB364_1732:                           ;   in Loop: Header=BB364_924 Depth=1
	s_or_b32 exec_lo, exec_lo, s15
	v_and_b32_sdwa v11, v21, v67 dst_sel:DWORD dst_unused:UNUSED_PAD src0_sel:WORD_1 src1_sel:DWORD
	v_mov_b32_e32 v112, 0
	v_mov_b32_e32 v113, 0
	s_mov_b32 s15, exec_lo
	v_cmpx_ne_u16_e32 0, v11
	s_cbranch_execz .LBB364_1740
; %bb.1733:                             ;   in Loop: Header=BB364_924 Depth=1
	v_bfrev_b32_e32 v113, 1
	s_mov_b32 s18, exec_lo
	v_cmpx_ne_u16_e32 0x80, v11
	s_cbranch_execz .LBB364_1739
; %bb.1734:                             ;   in Loop: Header=BB364_924 Depth=1
	v_bfe_u32 v23, v21, 16, 7
	v_mov_b32_e32 v113, 0x7f800001
	s_mov_b32 s19, exec_lo
	v_cmpx_ne_u32_e32 0x7f, v23
	s_cbranch_execz .LBB364_1738
; %bb.1735:                             ;   in Loop: Header=BB364_924 Depth=1
	v_mov_b32_e32 v11, 7
	v_lshrrev_b32_e32 v102, 3, v23
	v_cmp_gt_u32_e64 s4, 8, v23
	v_and_b32_sdwa v11, v21, v11 dst_sel:DWORD dst_unused:UNUSED_PAD src0_sel:WORD_1 src1_sel:DWORD
	v_mov_b32_e32 v24, v12
	v_mov_b32_e32 v23, v11
	s_and_saveexec_b32 s20, s4
; %bb.1736:                             ;   in Loop: Header=BB364_924 Depth=1
	v_ffbh_u32_e32 v23, v11
	v_min_u32_e32 v102, 32, v23
	v_subrev_nc_u32_e32 v23, 28, v102
	v_sub_nc_u32_e32 v102, 29, v102
	v_lshlrev_b64 v[23:24], v23, v[11:12]
	v_and_b32_e32 v23, 7, v23
; %bb.1737:                             ;   in Loop: Header=BB364_924 Depth=1
	s_or_b32 exec_lo, exec_lo, s20
	v_mov_b32_e32 v11, 24
	v_lshlrev_b32_e32 v23, 20, v23
	v_lshl_add_u32 v24, v102, 23, 0x3c000000
	v_lshlrev_b32_sdwa v11, v11, v21 dst_sel:DWORD dst_unused:UNUSED_PAD src0_sel:DWORD src1_sel:WORD_1
	v_and_b32_e32 v11, 0x80000000, v11
	v_or3_b32 v113, v23, v11, v24
.LBB364_1738:                           ;   in Loop: Header=BB364_924 Depth=1
	s_or_b32 exec_lo, exec_lo, s19
.LBB364_1739:                           ;   in Loop: Header=BB364_924 Depth=1
	s_or_b32 exec_lo, exec_lo, s18
.LBB364_1740:                           ;   in Loop: Header=BB364_924 Depth=1
	s_or_b32 exec_lo, exec_lo, s15
	s_mov_b32 s15, exec_lo
	v_cmpx_lt_u32_e32 0xffffff, v21
	s_cbranch_execz .LBB364_1748
; %bb.1741:                             ;   in Loop: Header=BB364_924 Depth=1
	v_cmp_ne_u32_sdwa s4, v21, v65 src0_sel:BYTE_3 src1_sel:DWORD
	v_bfrev_b32_e32 v112, 1
	s_and_saveexec_b32 s18, s4
	s_cbranch_execz .LBB364_1747
; %bb.1742:                             ;   in Loop: Header=BB364_924 Depth=1
	v_bfe_u32 v23, v21, 24, 7
	v_mov_b32_e32 v112, 0x7f800001
	s_mov_b32 s19, exec_lo
	v_cmpx_ne_u32_e32 0x7f, v23
	s_cbranch_execz .LBB364_1746
; %bb.1743:                             ;   in Loop: Header=BB364_924 Depth=1
	v_mov_b32_e32 v11, 7
	v_lshrrev_b32_e32 v102, 3, v23
	v_cmp_gt_u32_e64 s4, 8, v23
	v_and_b32_sdwa v11, v21, v11 dst_sel:DWORD dst_unused:UNUSED_PAD src0_sel:BYTE_3 src1_sel:DWORD
	v_mov_b32_e32 v24, v12
	v_mov_b32_e32 v23, v11
	s_and_saveexec_b32 s20, s4
; %bb.1744:                             ;   in Loop: Header=BB364_924 Depth=1
	v_ffbh_u32_e32 v23, v11
	v_min_u32_e32 v102, 32, v23
	v_subrev_nc_u32_e32 v23, 28, v102
	v_sub_nc_u32_e32 v102, 29, v102
	v_lshlrev_b64 v[23:24], v23, v[11:12]
	v_and_b32_e32 v23, 7, v23
; %bb.1745:                             ;   in Loop: Header=BB364_924 Depth=1
	s_or_b32 exec_lo, exec_lo, s20
	v_mov_b32_e32 v11, 24
	v_lshlrev_b32_e32 v23, 20, v23
	v_lshl_add_u32 v24, v102, 23, 0x3c000000
	v_lshlrev_b32_sdwa v11, v11, v21 dst_sel:DWORD dst_unused:UNUSED_PAD src0_sel:DWORD src1_sel:BYTE_3
	v_and_b32_e32 v11, 0x80000000, v11
	v_or3_b32 v112, v23, v11, v24
.LBB364_1746:                           ;   in Loop: Header=BB364_924 Depth=1
	s_or_b32 exec_lo, exec_lo, s19
.LBB364_1747:                           ;   in Loop: Header=BB364_924 Depth=1
	s_or_b32 exec_lo, exec_lo, s18
.LBB364_1748:                           ;   in Loop: Header=BB364_924 Depth=1
	s_or_b32 exec_lo, exec_lo, s15
	v_mov_b32_e32 v11, v22
	v_cmp_ne_u16_sdwa s4, v22, v12 src0_sel:BYTE_0 src1_sel:DWORD
	v_mov_b32_e32 v102, 0
	v_mov_b32_e32 v103, 0
	s_and_saveexec_b32 s15, s4
	s_cbranch_execz .LBB364_1756
; %bb.1749:                             ;   in Loop: Header=BB364_924 Depth=1
	v_cmp_ne_u16_sdwa s4, v22, v65 src0_sel:BYTE_0 src1_sel:DWORD
	v_bfrev_b32_e32 v103, 1
	s_and_saveexec_b32 s18, s4
	s_cbranch_execz .LBB364_1755
; %bb.1750:                             ;   in Loop: Header=BB364_924 Depth=1
	v_and_b32_e32 v23, 0x7f, v22
	v_mov_b32_e32 v103, 0x7f800001
	s_mov_b32 s19, exec_lo
	v_cmpx_ne_u32_e32 0x7f, v23
	s_cbranch_execz .LBB364_1754
; %bb.1751:                             ;   in Loop: Header=BB364_924 Depth=1
	v_lshrrev_b32_e32 v103, 3, v23
	v_cmp_gt_u32_e64 s4, 8, v23
	v_mov_b32_e32 v24, v12
	v_mov_b32_e32 v23, v11
	s_and_saveexec_b32 s20, s4
; %bb.1752:                             ;   in Loop: Header=BB364_924 Depth=1
	v_and_b32_e32 v23, 7, v22
	v_ffbh_u32_e32 v23, v23
	v_min_u32_e32 v103, 32, v23
	v_subrev_nc_u32_e32 v23, 28, v103
	v_sub_nc_u32_e32 v103, 29, v103
	v_lshlrev_b64 v[23:24], v23, v[11:12]
; %bb.1753:                             ;   in Loop: Header=BB364_924 Depth=1
	s_or_b32 exec_lo, exec_lo, s20
	v_lshlrev_b32_e32 v23, 20, v23
	v_lshlrev_b32_e32 v24, 24, v11
	v_lshl_add_u32 v103, v103, 23, 0x3c000000
	v_and_b32_e32 v23, 0x700000, v23
	v_and_b32_e32 v24, 0x80000000, v24
	v_or3_b32 v103, v23, v24, v103
.LBB364_1754:                           ;   in Loop: Header=BB364_924 Depth=1
	s_or_b32 exec_lo, exec_lo, s19
.LBB364_1755:                           ;   in Loop: Header=BB364_924 Depth=1
	s_or_b32 exec_lo, exec_lo, s18
.LBB364_1756:                           ;   in Loop: Header=BB364_924 Depth=1
	s_or_b32 exec_lo, exec_lo, s15
	v_cmp_ne_u16_sdwa s4, v11, v12 src0_sel:BYTE_1 src1_sel:DWORD
	s_and_saveexec_b32 s15, s4
	s_cbranch_execz .LBB364_1764
; %bb.1757:                             ;   in Loop: Header=BB364_924 Depth=1
	v_cmp_ne_u16_sdwa s4, v11, v65 src0_sel:BYTE_1 src1_sel:DWORD
	v_bfrev_b32_e32 v102, 1
	s_and_saveexec_b32 s18, s4
	s_cbranch_execz .LBB364_1763
; %bb.1758:                             ;   in Loop: Header=BB364_924 Depth=1
	v_mov_b32_e32 v23, 0xffff
	v_mov_b32_e32 v102, 0x7f800001
	s_mov_b32 s19, exec_lo
	v_and_b32_sdwa v23, v23, v11 dst_sel:DWORD dst_unused:UNUSED_PAD src0_sel:DWORD src1_sel:BYTE_1
	v_and_b32_e32 v115, 0x7f, v23
	v_cmpx_ne_u32_e32 0x7f, v115
	s_cbranch_execz .LBB364_1762
; %bb.1759:                             ;   in Loop: Header=BB364_924 Depth=1
	v_and_b32_e32 v23, 7, v23
	v_mov_b32_e32 v24, v12
	v_lshrrev_b32_e32 v102, 3, v115
	s_mov_b32 s20, exec_lo
	v_cmpx_gt_u32_e32 8, v115
; %bb.1760:                             ;   in Loop: Header=BB364_924 Depth=1
	v_ffbh_u32_e32 v102, v23
	v_min_u32_e32 v102, 32, v102
	v_subrev_nc_u32_e32 v115, 28, v102
	v_sub_nc_u32_e32 v102, 29, v102
	v_lshlrev_b64 v[23:24], v115, v[23:24]
	v_and_b32_e32 v23, 7, v23
; %bb.1761:                             ;   in Loop: Header=BB364_924 Depth=1
	s_or_b32 exec_lo, exec_lo, s20
	v_lshlrev_b32_e32 v11, 16, v11
	v_lshlrev_b32_e32 v23, 20, v23
	v_lshl_add_u32 v24, v102, 23, 0x3c000000
	v_and_b32_e32 v11, 0x80000000, v11
	v_or3_b32 v102, v23, v11, v24
.LBB364_1762:                           ;   in Loop: Header=BB364_924 Depth=1
	s_or_b32 exec_lo, exec_lo, s19
.LBB364_1763:                           ;   in Loop: Header=BB364_924 Depth=1
	s_or_b32 exec_lo, exec_lo, s18
.LBB364_1764:                           ;   in Loop: Header=BB364_924 Depth=1
	s_or_b32 exec_lo, exec_lo, s15
	v_and_b32_sdwa v11, v22, v67 dst_sel:DWORD dst_unused:UNUSED_PAD src0_sel:WORD_1 src1_sel:DWORD
	v_mov_b32_e32 v117, 0
	v_mov_b32_e32 v115, 0
	s_mov_b32 s15, exec_lo
	v_cmpx_ne_u16_e32 0, v11
	s_cbranch_execz .LBB364_1772
; %bb.1765:                             ;   in Loop: Header=BB364_924 Depth=1
	v_bfrev_b32_e32 v115, 1
	s_mov_b32 s18, exec_lo
	v_cmpx_ne_u16_e32 0x80, v11
	s_cbranch_execz .LBB364_1771
; %bb.1766:                             ;   in Loop: Header=BB364_924 Depth=1
	v_bfe_u32 v23, v22, 16, 7
	v_mov_b32_e32 v115, 0x7f800001
	s_mov_b32 s19, exec_lo
	v_cmpx_ne_u32_e32 0x7f, v23
	s_cbranch_execz .LBB364_1770
; %bb.1767:                             ;   in Loop: Header=BB364_924 Depth=1
	v_mov_b32_e32 v11, 7
	v_lshrrev_b32_e32 v115, 3, v23
	v_cmp_gt_u32_e64 s4, 8, v23
	v_and_b32_sdwa v11, v22, v11 dst_sel:DWORD dst_unused:UNUSED_PAD src0_sel:WORD_1 src1_sel:DWORD
	v_mov_b32_e32 v24, v12
	v_mov_b32_e32 v23, v11
	s_and_saveexec_b32 s20, s4
; %bb.1768:                             ;   in Loop: Header=BB364_924 Depth=1
	v_ffbh_u32_e32 v23, v11
	v_min_u32_e32 v115, 32, v23
	v_subrev_nc_u32_e32 v23, 28, v115
	v_sub_nc_u32_e32 v115, 29, v115
	v_lshlrev_b64 v[23:24], v23, v[11:12]
	v_and_b32_e32 v23, 7, v23
; %bb.1769:                             ;   in Loop: Header=BB364_924 Depth=1
	s_or_b32 exec_lo, exec_lo, s20
	v_mov_b32_e32 v11, 24
	v_lshlrev_b32_e32 v23, 20, v23
	v_lshl_add_u32 v24, v115, 23, 0x3c000000
	v_lshlrev_b32_sdwa v11, v11, v22 dst_sel:DWORD dst_unused:UNUSED_PAD src0_sel:DWORD src1_sel:WORD_1
	v_and_b32_e32 v11, 0x80000000, v11
	v_or3_b32 v115, v23, v11, v24
.LBB364_1770:                           ;   in Loop: Header=BB364_924 Depth=1
	s_or_b32 exec_lo, exec_lo, s19
.LBB364_1771:                           ;   in Loop: Header=BB364_924 Depth=1
	s_or_b32 exec_lo, exec_lo, s18
.LBB364_1772:                           ;   in Loop: Header=BB364_924 Depth=1
	s_or_b32 exec_lo, exec_lo, s15
	s_mov_b32 s15, exec_lo
	v_cmpx_lt_u64_e64 s[6:7], v[21:22]
	s_cbranch_execz .LBB364_1780
; %bb.1773:                             ;   in Loop: Header=BB364_924 Depth=1
	v_cmp_ne_u32_sdwa s4, v22, v65 src0_sel:BYTE_3 src1_sel:DWORD
	v_bfrev_b32_e32 v117, 1
	s_and_saveexec_b32 s18, s4
	s_cbranch_execz .LBB364_1779
; %bb.1774:                             ;   in Loop: Header=BB364_924 Depth=1
	v_bfe_u32 v23, v22, 24, 7
	v_mov_b32_e32 v117, 0x7f800001
	s_mov_b32 s19, exec_lo
	v_cmpx_ne_u32_e32 0x7f, v23
	s_cbranch_execz .LBB364_1778
; %bb.1775:                             ;   in Loop: Header=BB364_924 Depth=1
	v_mov_b32_e32 v11, 7
	v_lshrrev_b32_e32 v21, 3, v23
	v_cmp_gt_u32_e64 s4, 8, v23
	v_and_b32_sdwa v11, v22, v11 dst_sel:DWORD dst_unused:UNUSED_PAD src0_sel:BYTE_3 src1_sel:DWORD
	v_mov_b32_e32 v24, v12
	v_mov_b32_e32 v23, v11
	s_and_saveexec_b32 s20, s4
; %bb.1776:                             ;   in Loop: Header=BB364_924 Depth=1
	v_ffbh_u32_e32 v21, v11
	v_min_u32_e32 v21, 32, v21
	v_subrev_nc_u32_e32 v23, 28, v21
	v_sub_nc_u32_e32 v21, 29, v21
	v_lshlrev_b64 v[23:24], v23, v[11:12]
	v_and_b32_e32 v23, 7, v23
; %bb.1777:                             ;   in Loop: Header=BB364_924 Depth=1
	s_or_b32 exec_lo, exec_lo, s20
	v_mov_b32_e32 v11, 24
	v_lshl_add_u32 v21, v21, 23, 0x3c000000
	v_lshlrev_b32_sdwa v11, v11, v22 dst_sel:DWORD dst_unused:UNUSED_PAD src0_sel:DWORD src1_sel:BYTE_3
	v_lshlrev_b32_e32 v22, 20, v23
	v_and_b32_e32 v11, 0x80000000, v11
	v_or3_b32 v117, v22, v11, v21
.LBB364_1778:                           ;   in Loop: Header=BB364_924 Depth=1
	s_or_b32 exec_lo, exec_lo, s19
.LBB364_1779:                           ;   in Loop: Header=BB364_924 Depth=1
	s_or_b32 exec_lo, exec_lo, s18
.LBB364_1780:                           ;   in Loop: Header=BB364_924 Depth=1
	s_or_b32 exec_lo, exec_lo, s15
	v_mul_f32_e32 v11, v54, v102
	v_mul_f32_e32 v10, v54, v10
	v_bfe_u32 v21, v11, 16, 1
	v_or_b32_e32 v22, 0x400000, v11
	v_cmp_u_f32_e64 s4, v11, v11
	v_add3_u32 v21, v21, v11, 0x7fff
	v_cndmask_b32_e64 v11, v21, v22, s4
	v_lshrrev_b32_e32 v102, 16, v11
	v_mul_f32_e32 v11, v54, v103
	v_bfe_u32 v21, v11, 16, 1
	v_or_b32_e32 v22, 0x400000, v11
	v_cmp_u_f32_e64 s4, v11, v11
	v_add3_u32 v21, v21, v11, 0x7fff
	v_cndmask_b32_e64 v11, v21, v22, s4
	v_lshrrev_b32_e32 v103, 16, v11
	;; [unrolled: 7-line block ×4, first 2 shown]
	v_mul_f32_e32 v11, v54, v114
	v_bfe_u32 v21, v11, 16, 1
	v_or_b32_e32 v22, 0x400000, v11
	v_cmp_u_f32_e64 s4, v11, v11
	v_add3_u32 v21, v21, v11, 0x7fff
	v_cndmask_b32_e64 v11, v21, v22, s4
	v_or_b32_e32 v21, 0x400000, v10
	v_cmp_u_f32_e64 s4, v10, v10
	v_lshrrev_b32_e32 v114, 16, v11
	v_bfe_u32 v11, v10, 16, 1
	v_add3_u32 v11, v11, v10, 0x7fff
	v_cndmask_b32_e64 v10, v11, v21, s4
	v_lshrrev_b32_e32 v116, 16, v10
	v_mul_f32_e32 v10, v54, v115
	v_bfe_u32 v11, v10, 16, 1
	v_or_b32_e32 v21, 0x400000, v10
	v_cmp_u_f32_e64 s4, v10, v10
	v_add3_u32 v11, v11, v10, 0x7fff
	v_cndmask_b32_e64 v10, v11, v21, s4
	v_lshrrev_b32_e32 v115, 16, v10
	v_mul_f32_e32 v10, v54, v117
	v_bfe_u32 v11, v10, 16, 1
	v_or_b32_e32 v21, 0x400000, v10
	v_cmp_u_f32_e64 s4, v10, v10
	v_add3_u32 v11, v11, v10, 0x7fff
	v_cndmask_b32_e64 v10, v11, v21, s4
	v_lshrrev_b32_e32 v117, 16, v10
	s_and_saveexec_b32 s15, vcc_lo
	s_cbranch_execz .LBB364_1782
; %bb.1781:                             ;   in Loop: Header=BB364_924 Depth=1
	v_cmp_lt_i32_e64 s4, v47, v30
	v_cndmask_b32_e64 v116, 0, v116, s4
	v_cmp_lt_i32_e64 s4, v61, v30
	v_cndmask_b32_e64 v114, 0, v114, s4
	;; [unrolled: 2-line block ×8, first 2 shown]
.LBB364_1782:                           ;   in Loop: Header=BB364_924 Depth=1
	s_or_b32 exec_lo, exec_lo, s15
	flat_load_dwordx2 v[19:20], v[19:20] offset:1280
	v_mov_b32_e32 v23, 0
	v_mov_b32_e32 v24, 0
	s_waitcnt vmcnt(0) lgkmcnt(0)
	v_cmp_ne_u16_sdwa s4, v19, v12 src0_sel:BYTE_0 src1_sel:DWORD
	s_and_saveexec_b32 s15, s4
	s_cbranch_execz .LBB364_1790
; %bb.1783:                             ;   in Loop: Header=BB364_924 Depth=1
	v_cmp_ne_u16_sdwa s4, v19, v65 src0_sel:BYTE_0 src1_sel:DWORD
	v_bfrev_b32_e32 v24, 1
	s_and_saveexec_b32 s18, s4
	s_cbranch_execz .LBB364_1789
; %bb.1784:                             ;   in Loop: Header=BB364_924 Depth=1
	v_and_b32_e32 v10, 0x7f, v19
	v_mov_b32_e32 v24, 0x7f800001
	s_mov_b32 s19, exec_lo
	v_cmpx_ne_u32_e32 0x7f, v10
	s_cbranch_execz .LBB364_1788
; %bb.1785:                             ;   in Loop: Header=BB364_924 Depth=1
	v_lshrrev_b32_e32 v21, 3, v10
	v_cmp_gt_u32_e64 s4, 8, v10
	v_mov_b32_e32 v10, v19
	v_mov_b32_e32 v11, v20
	s_and_saveexec_b32 s20, s4
; %bb.1786:                             ;   in Loop: Header=BB364_924 Depth=1
	v_and_b32_e32 v10, 7, v19
	v_ffbh_u32_e32 v10, v10
	v_min_u32_e32 v21, 32, v10
	v_subrev_nc_u32_e32 v10, 28, v21
	v_sub_nc_u32_e32 v21, 29, v21
	v_lshlrev_b64 v[10:11], v10, v[19:20]
; %bb.1787:                             ;   in Loop: Header=BB364_924 Depth=1
	s_or_b32 exec_lo, exec_lo, s20
	v_lshlrev_b32_e32 v10, 20, v10
	v_lshlrev_b32_e32 v11, 24, v19
	v_lshl_add_u32 v21, v21, 23, 0x3c000000
	v_and_b32_e32 v10, 0x700000, v10
	v_and_b32_e32 v11, 0x80000000, v11
	v_or3_b32 v24, v10, v11, v21
.LBB364_1788:                           ;   in Loop: Header=BB364_924 Depth=1
	s_or_b32 exec_lo, exec_lo, s19
.LBB364_1789:                           ;   in Loop: Header=BB364_924 Depth=1
	s_or_b32 exec_lo, exec_lo, s18
.LBB364_1790:                           ;   in Loop: Header=BB364_924 Depth=1
	s_or_b32 exec_lo, exec_lo, s15
	v_cmp_ne_u16_sdwa s4, v19, v12 src0_sel:BYTE_1 src1_sel:DWORD
	s_and_saveexec_b32 s15, s4
	s_cbranch_execz .LBB364_1798
; %bb.1791:                             ;   in Loop: Header=BB364_924 Depth=1
	v_cmp_ne_u16_sdwa s4, v19, v65 src0_sel:BYTE_1 src1_sel:DWORD
	v_bfrev_b32_e32 v23, 1
	s_and_saveexec_b32 s18, s4
	s_cbranch_execz .LBB364_1797
; %bb.1792:                             ;   in Loop: Header=BB364_924 Depth=1
	v_mov_b32_e32 v10, 0xffff
	v_mov_b32_e32 v23, 0x7f800001
	s_mov_b32 s19, exec_lo
	v_and_b32_sdwa v10, v10, v19 dst_sel:DWORD dst_unused:UNUSED_PAD src0_sel:DWORD src1_sel:BYTE_1
	v_and_b32_e32 v21, 0x7f, v10
	v_cmpx_ne_u32_e32 0x7f, v21
	s_cbranch_execz .LBB364_1796
; %bb.1793:                             ;   in Loop: Header=BB364_924 Depth=1
	v_and_b32_e32 v11, 7, v10
	v_lshrrev_b32_e32 v10, 3, v21
	v_cmp_gt_u32_e64 s4, 8, v21
	v_mov_b32_e32 v22, v12
	v_mov_b32_e32 v21, v11
	s_and_saveexec_b32 s20, s4
; %bb.1794:                             ;   in Loop: Header=BB364_924 Depth=1
	v_ffbh_u32_e32 v10, v11
	v_min_u32_e32 v10, 32, v10
	v_subrev_nc_u32_e32 v21, 28, v10
	v_sub_nc_u32_e32 v10, 29, v10
	v_lshlrev_b64 v[21:22], v21, v[11:12]
	v_and_b32_e32 v21, 7, v21
; %bb.1795:                             ;   in Loop: Header=BB364_924 Depth=1
	s_or_b32 exec_lo, exec_lo, s20
	v_lshlrev_b32_e32 v11, 16, v19
	v_lshlrev_b32_e32 v21, 20, v21
	v_lshl_add_u32 v10, v10, 23, 0x3c000000
	v_and_b32_e32 v11, 0x80000000, v11
	v_or3_b32 v23, v21, v11, v10
.LBB364_1796:                           ;   in Loop: Header=BB364_924 Depth=1
	s_or_b32 exec_lo, exec_lo, s19
.LBB364_1797:                           ;   in Loop: Header=BB364_924 Depth=1
	s_or_b32 exec_lo, exec_lo, s18
.LBB364_1798:                           ;   in Loop: Header=BB364_924 Depth=1
	s_or_b32 exec_lo, exec_lo, s15
	v_and_b32_sdwa v10, v19, v67 dst_sel:DWORD dst_unused:UNUSED_PAD src0_sel:WORD_1 src1_sel:DWORD
	v_mov_b32_e32 v119, 0
	v_mov_b32_e32 v118, 0
	s_mov_b32 s15, exec_lo
	v_cmpx_ne_u16_e32 0, v10
	s_cbranch_execz .LBB364_1806
; %bb.1799:                             ;   in Loop: Header=BB364_924 Depth=1
	v_bfrev_b32_e32 v118, 1
	s_mov_b32 s18, exec_lo
	v_cmpx_ne_u16_e32 0x80, v10
	s_cbranch_execz .LBB364_1805
; %bb.1800:                             ;   in Loop: Header=BB364_924 Depth=1
	v_bfe_u32 v21, v19, 16, 7
	v_mov_b32_e32 v118, 0x7f800001
	s_mov_b32 s19, exec_lo
	v_cmpx_ne_u32_e32 0x7f, v21
	s_cbranch_execz .LBB364_1804
; %bb.1801:                             ;   in Loop: Header=BB364_924 Depth=1
	v_mov_b32_e32 v10, 7
	v_cmp_gt_u32_e64 s4, 8, v21
	v_and_b32_sdwa v11, v19, v10 dst_sel:DWORD dst_unused:UNUSED_PAD src0_sel:WORD_1 src1_sel:DWORD
	v_lshrrev_b32_e32 v10, 3, v21
	v_mov_b32_e32 v22, v12
	v_mov_b32_e32 v21, v11
	s_and_saveexec_b32 s20, s4
; %bb.1802:                             ;   in Loop: Header=BB364_924 Depth=1
	v_ffbh_u32_e32 v10, v11
	v_min_u32_e32 v10, 32, v10
	v_subrev_nc_u32_e32 v21, 28, v10
	v_sub_nc_u32_e32 v10, 29, v10
	v_lshlrev_b64 v[21:22], v21, v[11:12]
	v_and_b32_e32 v21, 7, v21
; %bb.1803:                             ;   in Loop: Header=BB364_924 Depth=1
	s_or_b32 exec_lo, exec_lo, s20
	v_mov_b32_e32 v11, 24
	v_lshlrev_b32_e32 v21, 20, v21
	v_lshl_add_u32 v10, v10, 23, 0x3c000000
	v_lshlrev_b32_sdwa v11, v11, v19 dst_sel:DWORD dst_unused:UNUSED_PAD src0_sel:DWORD src1_sel:WORD_1
	v_and_b32_e32 v11, 0x80000000, v11
	v_or3_b32 v118, v21, v11, v10
.LBB364_1804:                           ;   in Loop: Header=BB364_924 Depth=1
	s_or_b32 exec_lo, exec_lo, s19
.LBB364_1805:                           ;   in Loop: Header=BB364_924 Depth=1
	s_or_b32 exec_lo, exec_lo, s18
.LBB364_1806:                           ;   in Loop: Header=BB364_924 Depth=1
	s_or_b32 exec_lo, exec_lo, s15
	s_mov_b32 s15, exec_lo
	v_cmpx_lt_u32_e32 0xffffff, v19
	s_cbranch_execz .LBB364_1814
; %bb.1807:                             ;   in Loop: Header=BB364_924 Depth=1
	v_cmp_ne_u32_sdwa s4, v19, v65 src0_sel:BYTE_3 src1_sel:DWORD
	v_bfrev_b32_e32 v119, 1
	s_and_saveexec_b32 s18, s4
	s_cbranch_execz .LBB364_1813
; %bb.1808:                             ;   in Loop: Header=BB364_924 Depth=1
	v_bfe_u32 v21, v19, 24, 7
	v_mov_b32_e32 v119, 0x7f800001
	s_mov_b32 s19, exec_lo
	v_cmpx_ne_u32_e32 0x7f, v21
	s_cbranch_execz .LBB364_1812
; %bb.1809:                             ;   in Loop: Header=BB364_924 Depth=1
	v_mov_b32_e32 v10, 7
	v_cmp_gt_u32_e64 s4, 8, v21
	v_and_b32_sdwa v11, v19, v10 dst_sel:DWORD dst_unused:UNUSED_PAD src0_sel:BYTE_3 src1_sel:DWORD
	v_lshrrev_b32_e32 v10, 3, v21
	v_mov_b32_e32 v22, v12
	v_mov_b32_e32 v21, v11
	s_and_saveexec_b32 s20, s4
; %bb.1810:                             ;   in Loop: Header=BB364_924 Depth=1
	v_ffbh_u32_e32 v10, v11
	v_min_u32_e32 v10, 32, v10
	v_subrev_nc_u32_e32 v21, 28, v10
	v_sub_nc_u32_e32 v10, 29, v10
	v_lshlrev_b64 v[21:22], v21, v[11:12]
	v_and_b32_e32 v21, 7, v21
; %bb.1811:                             ;   in Loop: Header=BB364_924 Depth=1
	s_or_b32 exec_lo, exec_lo, s20
	v_mov_b32_e32 v11, 24
	v_lshlrev_b32_e32 v21, 20, v21
	v_lshl_add_u32 v10, v10, 23, 0x3c000000
	v_lshlrev_b32_sdwa v11, v11, v19 dst_sel:DWORD dst_unused:UNUSED_PAD src0_sel:DWORD src1_sel:BYTE_3
	v_and_b32_e32 v11, 0x80000000, v11
	v_or3_b32 v119, v21, v11, v10
.LBB364_1812:                           ;   in Loop: Header=BB364_924 Depth=1
	s_or_b32 exec_lo, exec_lo, s19
.LBB364_1813:                           ;   in Loop: Header=BB364_924 Depth=1
	s_or_b32 exec_lo, exec_lo, s18
.LBB364_1814:                           ;   in Loop: Header=BB364_924 Depth=1
	s_or_b32 exec_lo, exec_lo, s15
	v_mov_b32_e32 v11, v20
	v_cmp_ne_u16_sdwa s4, v20, v12 src0_sel:BYTE_0 src1_sel:DWORD
	v_mov_b32_e32 v10, 0
	v_mov_b32_e32 v42, 0
	s_and_saveexec_b32 s15, s4
	s_cbranch_execz .LBB364_1822
; %bb.1815:                             ;   in Loop: Header=BB364_924 Depth=1
	v_cmp_ne_u16_sdwa s4, v20, v65 src0_sel:BYTE_0 src1_sel:DWORD
	v_bfrev_b32_e32 v42, 1
	s_and_saveexec_b32 s18, s4
	s_cbranch_execz .LBB364_1821
; %bb.1816:                             ;   in Loop: Header=BB364_924 Depth=1
	v_and_b32_e32 v21, 0x7f, v20
	v_mov_b32_e32 v42, 0x7f800001
	s_mov_b32 s19, exec_lo
	v_cmpx_ne_u32_e32 0x7f, v21
	s_cbranch_execz .LBB364_1820
; %bb.1817:                             ;   in Loop: Header=BB364_924 Depth=1
	v_lshrrev_b32_e32 v40, 3, v21
	v_cmp_gt_u32_e64 s4, 8, v21
	v_mov_b32_e32 v22, v12
	v_mov_b32_e32 v21, v11
	s_and_saveexec_b32 s20, s4
; %bb.1818:                             ;   in Loop: Header=BB364_924 Depth=1
	v_and_b32_e32 v21, 7, v20
	v_ffbh_u32_e32 v21, v21
	v_min_u32_e32 v40, 32, v21
	v_subrev_nc_u32_e32 v21, 28, v40
	v_sub_nc_u32_e32 v40, 29, v40
	v_lshlrev_b64 v[21:22], v21, v[11:12]
; %bb.1819:                             ;   in Loop: Header=BB364_924 Depth=1
	s_or_b32 exec_lo, exec_lo, s20
	v_lshlrev_b32_e32 v21, 20, v21
	v_lshlrev_b32_e32 v22, 24, v11
	v_lshl_add_u32 v40, v40, 23, 0x3c000000
	v_and_b32_e32 v21, 0x700000, v21
	v_and_b32_e32 v22, 0x80000000, v22
	v_or3_b32 v42, v21, v22, v40
.LBB364_1820:                           ;   in Loop: Header=BB364_924 Depth=1
	s_or_b32 exec_lo, exec_lo, s19
.LBB364_1821:                           ;   in Loop: Header=BB364_924 Depth=1
	s_or_b32 exec_lo, exec_lo, s18
.LBB364_1822:                           ;   in Loop: Header=BB364_924 Depth=1
	s_or_b32 exec_lo, exec_lo, s15
	v_cmp_ne_u16_sdwa s4, v11, v12 src0_sel:BYTE_1 src1_sel:DWORD
	s_and_saveexec_b32 s15, s4
	s_cbranch_execz .LBB364_1830
; %bb.1823:                             ;   in Loop: Header=BB364_924 Depth=1
	v_cmp_ne_u16_sdwa s4, v11, v65 src0_sel:BYTE_1 src1_sel:DWORD
	v_bfrev_b32_e32 v10, 1
	s_and_saveexec_b32 s18, s4
	s_cbranch_execz .LBB364_1829
; %bb.1824:                             ;   in Loop: Header=BB364_924 Depth=1
	v_mov_b32_e32 v10, 0xffff
	s_mov_b32 s19, exec_lo
	v_and_b32_sdwa v21, v10, v11 dst_sel:DWORD dst_unused:UNUSED_PAD src0_sel:DWORD src1_sel:BYTE_1
	v_mov_b32_e32 v10, 0x7f800001
	v_and_b32_e32 v40, 0x7f, v21
	v_cmpx_ne_u32_e32 0x7f, v40
	s_cbranch_execz .LBB364_1828
; %bb.1825:                             ;   in Loop: Header=BB364_924 Depth=1
	v_and_b32_e32 v21, 7, v21
	v_mov_b32_e32 v22, v12
	v_lshrrev_b32_e32 v10, 3, v40
	s_mov_b32 s20, exec_lo
	v_cmpx_gt_u32_e32 8, v40
; %bb.1826:                             ;   in Loop: Header=BB364_924 Depth=1
	v_ffbh_u32_e32 v10, v21
	v_min_u32_e32 v10, 32, v10
	v_subrev_nc_u32_e32 v40, 28, v10
	v_sub_nc_u32_e32 v10, 29, v10
	v_lshlrev_b64 v[21:22], v40, v[21:22]
	v_and_b32_e32 v21, 7, v21
; %bb.1827:                             ;   in Loop: Header=BB364_924 Depth=1
	s_or_b32 exec_lo, exec_lo, s20
	v_lshlrev_b32_e32 v11, 16, v11
	v_lshlrev_b32_e32 v21, 20, v21
	v_lshl_add_u32 v10, v10, 23, 0x3c000000
	v_and_b32_e32 v11, 0x80000000, v11
	v_or3_b32 v10, v21, v11, v10
.LBB364_1828:                           ;   in Loop: Header=BB364_924 Depth=1
	s_or_b32 exec_lo, exec_lo, s19
.LBB364_1829:                           ;   in Loop: Header=BB364_924 Depth=1
	s_or_b32 exec_lo, exec_lo, s18
.LBB364_1830:                           ;   in Loop: Header=BB364_924 Depth=1
	s_or_b32 exec_lo, exec_lo, s15
	v_and_b32_sdwa v11, v20, v67 dst_sel:DWORD dst_unused:UNUSED_PAD src0_sel:WORD_1 src1_sel:DWORD
	v_mov_b32_e32 v40, 0
	v_mov_b32_e32 v41, 0
	s_mov_b32 s15, exec_lo
	v_cmpx_ne_u16_e32 0, v11
	s_cbranch_execz .LBB364_1838
; %bb.1831:                             ;   in Loop: Header=BB364_924 Depth=1
	v_bfrev_b32_e32 v41, 1
	s_mov_b32 s18, exec_lo
	v_cmpx_ne_u16_e32 0x80, v11
	s_cbranch_execz .LBB364_1837
; %bb.1832:                             ;   in Loop: Header=BB364_924 Depth=1
	v_bfe_u32 v21, v20, 16, 7
	v_mov_b32_e32 v41, 0x7f800001
	s_mov_b32 s19, exec_lo
	v_cmpx_ne_u32_e32 0x7f, v21
	s_cbranch_execz .LBB364_1836
; %bb.1833:                             ;   in Loop: Header=BB364_924 Depth=1
	v_mov_b32_e32 v11, 7
	v_lshrrev_b32_e32 v41, 3, v21
	v_cmp_gt_u32_e64 s4, 8, v21
	v_and_b32_sdwa v11, v20, v11 dst_sel:DWORD dst_unused:UNUSED_PAD src0_sel:WORD_1 src1_sel:DWORD
	v_mov_b32_e32 v22, v12
	v_mov_b32_e32 v21, v11
	s_and_saveexec_b32 s20, s4
; %bb.1834:                             ;   in Loop: Header=BB364_924 Depth=1
	v_ffbh_u32_e32 v21, v11
	v_min_u32_e32 v41, 32, v21
	v_subrev_nc_u32_e32 v21, 28, v41
	v_sub_nc_u32_e32 v41, 29, v41
	v_lshlrev_b64 v[21:22], v21, v[11:12]
	v_and_b32_e32 v21, 7, v21
; %bb.1835:                             ;   in Loop: Header=BB364_924 Depth=1
	s_or_b32 exec_lo, exec_lo, s20
	v_mov_b32_e32 v11, 24
	v_lshlrev_b32_e32 v21, 20, v21
	v_lshl_add_u32 v22, v41, 23, 0x3c000000
	v_lshlrev_b32_sdwa v11, v11, v20 dst_sel:DWORD dst_unused:UNUSED_PAD src0_sel:DWORD src1_sel:WORD_1
	v_and_b32_e32 v11, 0x80000000, v11
	v_or3_b32 v41, v21, v11, v22
.LBB364_1836:                           ;   in Loop: Header=BB364_924 Depth=1
	s_or_b32 exec_lo, exec_lo, s19
.LBB364_1837:                           ;   in Loop: Header=BB364_924 Depth=1
	s_or_b32 exec_lo, exec_lo, s18
.LBB364_1838:                           ;   in Loop: Header=BB364_924 Depth=1
	s_or_b32 exec_lo, exec_lo, s15
	s_mov_b32 s15, exec_lo
	v_cmpx_lt_u64_e64 s[6:7], v[19:20]
	s_cbranch_execz .LBB364_1846
; %bb.1839:                             ;   in Loop: Header=BB364_924 Depth=1
	v_cmp_ne_u32_sdwa s4, v20, v65 src0_sel:BYTE_3 src1_sel:DWORD
	v_bfrev_b32_e32 v40, 1
	s_and_saveexec_b32 s18, s4
	s_cbranch_execz .LBB364_1845
; %bb.1840:                             ;   in Loop: Header=BB364_924 Depth=1
	v_bfe_u32 v21, v20, 24, 7
	v_mov_b32_e32 v40, 0x7f800001
	s_mov_b32 s19, exec_lo
	v_cmpx_ne_u32_e32 0x7f, v21
	s_cbranch_execz .LBB364_1844
; %bb.1841:                             ;   in Loop: Header=BB364_924 Depth=1
	v_mov_b32_e32 v11, 7
	v_lshrrev_b32_e32 v19, 3, v21
	v_cmp_gt_u32_e64 s4, 8, v21
	v_and_b32_sdwa v11, v20, v11 dst_sel:DWORD dst_unused:UNUSED_PAD src0_sel:BYTE_3 src1_sel:DWORD
	v_mov_b32_e32 v22, v12
	v_mov_b32_e32 v21, v11
	s_and_saveexec_b32 s20, s4
; %bb.1842:                             ;   in Loop: Header=BB364_924 Depth=1
	v_ffbh_u32_e32 v19, v11
	v_min_u32_e32 v19, 32, v19
	v_subrev_nc_u32_e32 v21, 28, v19
	v_sub_nc_u32_e32 v19, 29, v19
	v_lshlrev_b64 v[21:22], v21, v[11:12]
	v_and_b32_e32 v21, 7, v21
; %bb.1843:                             ;   in Loop: Header=BB364_924 Depth=1
	s_or_b32 exec_lo, exec_lo, s20
	v_mov_b32_e32 v11, 24
	v_lshl_add_u32 v19, v19, 23, 0x3c000000
	v_lshlrev_b32_sdwa v11, v11, v20 dst_sel:DWORD dst_unused:UNUSED_PAD src0_sel:DWORD src1_sel:BYTE_3
	v_lshlrev_b32_e32 v20, 20, v21
	v_and_b32_e32 v11, 0x80000000, v11
	v_or3_b32 v40, v20, v11, v19
.LBB364_1844:                           ;   in Loop: Header=BB364_924 Depth=1
	s_or_b32 exec_lo, exec_lo, s19
.LBB364_1845:                           ;   in Loop: Header=BB364_924 Depth=1
	s_or_b32 exec_lo, exec_lo, s18
.LBB364_1846:                           ;   in Loop: Header=BB364_924 Depth=1
	s_or_b32 exec_lo, exec_lo, s15
	v_mul_f32_e32 v10, v54, v10
	v_bfe_u32 v11, v10, 16, 1
	v_or_b32_e32 v19, 0x400000, v10
	v_cmp_u_f32_e64 s4, v10, v10
	v_add3_u32 v11, v11, v10, 0x7fff
	v_cndmask_b32_e64 v10, v11, v19, s4
	v_mul_f32_e32 v11, v54, v42
	v_lshrrev_b32_e32 v10, 16, v10
	v_bfe_u32 v19, v11, 16, 1
	v_or_b32_e32 v20, 0x400000, v11
	v_cmp_u_f32_e64 s4, v11, v11
	v_add3_u32 v19, v19, v11, 0x7fff
	v_cndmask_b32_e64 v11, v19, v20, s4
	v_mul_f32_e32 v19, v54, v119
	v_lshrrev_b32_e32 v11, 16, v11
	;; [unrolled: 7-line block ×3, first 2 shown]
	v_bfe_u32 v21, v20, 16, 1
	v_or_b32_e32 v22, 0x400000, v20
	v_cmp_u_f32_e64 s4, v20, v20
	v_add3_u32 v21, v21, v20, 0x7fff
	v_cndmask_b32_e64 v20, v21, v22, s4
	v_lshrrev_b32_e32 v21, 16, v20
	v_mul_f32_e32 v20, v54, v23
	v_bfe_u32 v22, v20, 16, 1
	v_or_b32_e32 v23, 0x400000, v20
	v_cmp_u_f32_e64 s4, v20, v20
	v_add3_u32 v22, v22, v20, 0x7fff
	v_cndmask_b32_e64 v20, v22, v23, s4
	v_lshrrev_b32_e32 v23, 16, v20
	v_mul_f32_e32 v20, v54, v24
	;; [unrolled: 7-line block ×3, first 2 shown]
	v_bfe_u32 v22, v20, 16, 1
	v_or_b32_e32 v118, 0x400000, v20
	v_cmp_u_f32_e64 s4, v20, v20
	v_add3_u32 v22, v22, v20, 0x7fff
	v_cndmask_b32_e64 v20, v22, v118, s4
	v_mul_f32_e32 v22, v54, v40
	v_lshrrev_b32_e32 v20, 16, v20
	v_bfe_u32 v118, v22, 16, 1
	v_or_b32_e32 v119, 0x400000, v22
	v_cmp_u_f32_e64 s4, v22, v22
	v_add3_u32 v118, v118, v22, 0x7fff
	v_cndmask_b32_e64 v22, v118, v119, s4
	v_lshrrev_b32_e32 v22, 16, v22
	s_and_saveexec_b32 s4, vcc_lo
	s_cbranch_execz .LBB364_923
; %bb.1847:                             ;   in Loop: Header=BB364_924 Depth=1
	v_cmp_lt_i32_e32 vcc_lo, v47, v30
	v_cndmask_b32_e32 v24, 0, v24, vcc_lo
	v_cmp_lt_i32_e32 vcc_lo, v61, v30
	v_cndmask_b32_e32 v23, 0, v23, vcc_lo
	v_cmp_lt_i32_e32 vcc_lo, v60, v30
	v_cndmask_b32_e32 v21, 0, v21, vcc_lo
	v_cmp_lt_i32_e32 vcc_lo, v59, v30
	v_cndmask_b32_e32 v19, 0, v19, vcc_lo
	v_cmp_lt_i32_e32 vcc_lo, v58, v30
	v_cndmask_b32_e32 v11, 0, v11, vcc_lo
	v_cmp_lt_i32_e32 vcc_lo, v57, v30
	v_cndmask_b32_e32 v10, 0, v10, vcc_lo
	v_cmp_lt_i32_e32 vcc_lo, v56, v30
	v_cndmask_b32_e32 v20, 0, v20, vcc_lo
	v_cmp_lt_i32_e32 vcc_lo, v55, v30
	v_cndmask_b32_e32 v22, 0, v22, vcc_lo
	s_branch .LBB364_923
.LBB364_1848:
	s_or_b32 exec_lo, exec_lo, s9
	s_clause 0x2
	buffer_load_dword v16, off, s[0:3], s32 offset:324
	buffer_load_dword v13, off, s[0:3], s32 offset:328
	;; [unrolled: 1-line block ×3, first 2 shown]
	v_mov_b32_e32 v4, s16
	v_mov_b32_e32 v5, s17
.LBB364_1849:
	s_or_b32 exec_lo, exec_lo, s5
	s_waitcnt vmcnt(1)
	ds_bpermute_b32 v11, v13, v34
	s_waitcnt vmcnt(0) lgkmcnt(0)
	s_waitcnt_vscnt null, 0x0
	s_barrier
	buffer_gl0_inv
	v_lshlrev_b64 v[0:1], 2, v[4:5]
	s_getpc_b64 s[4:5]
	s_add_u32 s4, s4, llvm.amdgcn.dynlds.offset.table@rel32@lo+4
	s_addc_u32 s5, s5, llvm.amdgcn.dynlds.offset.table@rel32@hi+12
	ds_bpermute_b32 v2, v13, v52
	ds_bpermute_b32 v3, v13, v51
	;; [unrolled: 1-line block ×4, first 2 shown]
	v_add_co_u32 v0, vcc_lo, s4, v0
	v_add_co_ci_u32_e64 v1, null, s5, v1, vcc_lo
	ds_bpermute_b32 v6, v13, v39
	ds_bpermute_b32 v7, v13, v38
	;; [unrolled: 1-line block ×3, first 2 shown]
	global_load_dword v14, v[0:1], off
	ds_bpermute_b32 v0, v13, v50
	ds_bpermute_b32 v1, v13, v53
	v_add_f32_e32 v21, v34, v11
	buffer_load_dword v11, off, s[0:3], s32 offset:696 ; 4-byte Folded Reload
	ds_bpermute_b32 v9, v13, v36
	ds_bpermute_b32 v10, v13, v35
	;; [unrolled: 1-line block ×4, first 2 shown]
	s_waitcnt lgkmcnt(12)
	v_add_f32_e32 v2, v52, v2
	s_waitcnt lgkmcnt(11)
	v_add_f32_e32 v3, v51, v3
	;; [unrolled: 2-line block ×4, first 2 shown]
	ds_bpermute_b32 v31, v16, v21
	s_mov_b32 s4, exec_lo
	ds_bpermute_b32 v24, v16, v4
	s_waitcnt lgkmcnt(10)
	v_add_f32_e32 v6, v39, v6
	s_waitcnt lgkmcnt(9)
	v_add_f32_e32 v15, v38, v7
	;; [unrolled: 2-line block ×3, first 2 shown]
	ds_bpermute_b32 v25, v16, v5
	s_waitcnt lgkmcnt(8)
	v_add_f32_e32 v0, v50, v0
	s_waitcnt lgkmcnt(7)
	v_add_f32_e32 v1, v53, v1
	ds_bpermute_b32 v26, v16, v6
	ds_bpermute_b32 v28, v16, v18
	s_waitcnt lgkmcnt(8)
	v_add_f32_e32 v19, v36, v9
	s_waitcnt lgkmcnt(7)
	v_add_f32_e32 v20, v35, v10
	;; [unrolled: 2-line block ×4, first 2 shown]
	ds_bpermute_b32 v7, v16, v0
	ds_bpermute_b32 v8, v16, v1
	;; [unrolled: 1-line block ×9, first 2 shown]
	buffer_load_dword v36, off, s[0:3], s32 offset:692 ; 4-byte Folded Reload
	s_waitcnt lgkmcnt(8)
	v_add_f32_e32 v13, v0, v7
	s_waitcnt lgkmcnt(7)
	v_add_f32_e32 v12, v1, v8
	v_add_f32_e32 v8, v5, v25
	s_waitcnt lgkmcnt(5)
	v_add_f32_e32 v10, v3, v10
	v_add_f32_e32 v7, v6, v26
	s_waitcnt lgkmcnt(4)
	v_add_f32_e32 v6, v15, v27
	v_add_f32_e32 v5, v18, v28
	s_waitcnt lgkmcnt(2)
	v_add_f32_e32 v3, v20, v30
	s_waitcnt lgkmcnt(1)
	v_add_f32_e32 v1, v22, v32
	s_waitcnt lgkmcnt(0)
	v_add_f32_e32 v0, v23, v33
	s_waitcnt vmcnt(1)
	v_lshrrev_b32_e32 v16, 2, v11
	v_and_b32_e32 v34, 28, v11
	buffer_load_dword v11, off, s[0:3], s32 offset:688 ; 4-byte Folded Reload
	v_add_nc_u32_e32 v15, v14, v34
	s_waitcnt vmcnt(1)
	v_and_b32_e32 v35, 0x3c3, v36
	s_waitcnt vmcnt(0)
	v_mul_u32_u24_e32 v17, 0x1c0, v11
	v_add_f32_e32 v11, v2, v9
	v_add_f32_e32 v9, v4, v24
	;; [unrolled: 1-line block ×4, first 2 shown]
	v_cmpx_eq_u32_e32 64, v35
	s_cbranch_execz .LBB364_1851
; %bb.1850:
	v_add_nc_u32_e32 v18, v15, v17
	v_add_nc_u32_e32 v19, 0xfffffc80, v18
	;; [unrolled: 1-line block ×7, first 2 shown]
	ds_write_b32 v19, v13
	ds_write_b32 v20, v12
	ds_write_b32 v21, v11
	ds_write_b32 v22, v10
	v_add_nc_u32_e32 v19, 0xfffffd40, v18
	v_add_nc_u32_e32 v20, 0xfffffd60, v18
	;; [unrolled: 1-line block ×3, first 2 shown]
	ds_write_b32 v23, v9
	ds_write_b32 v24, v8
	;; [unrolled: 1-line block ×5, first 2 shown]
	v_add_nc_u32_e32 v19, 0xfffffda0, v18
	v_add_nc_u32_e32 v20, 0xfffffdc0, v18
	;; [unrolled: 1-line block ×5, first 2 shown]
	ds_write_b32 v19, v4
	ds_write_b32 v20, v3
	;; [unrolled: 1-line block ×5, first 2 shown]
.LBB364_1851:
	s_or_b32 exec_lo, exec_lo, s4
	v_lshlrev_b32_e32 v16, 2, v16
	s_mov_b32 s5, exec_lo
	v_cmp_eq_u32_e32 vcc_lo, 0, v55
	s_waitcnt lgkmcnt(0)
	s_barrier
	v_add3_u32 v14, v14, v17, v16
	buffer_gl0_inv
	v_cmpx_gt_u32_e32 64, v36
	s_cbranch_execz .LBB364_1868
; %bb.1852:
	s_and_saveexec_b32 s4, vcc_lo
	s_cbranch_execnz .LBB364_1890
; %bb.1853:
	s_or_b32 exec_lo, exec_lo, s4
	s_and_saveexec_b32 s4, vcc_lo
	s_cbranch_execnz .LBB364_1891
.LBB364_1854:
	s_or_b32 exec_lo, exec_lo, s4
	s_and_saveexec_b32 s4, vcc_lo
	s_cbranch_execnz .LBB364_1892
.LBB364_1855:
	s_or_b32 exec_lo, exec_lo, s4
	s_and_saveexec_b32 s4, vcc_lo
	s_cbranch_execnz .LBB364_1893
.LBB364_1856:
	s_or_b32 exec_lo, exec_lo, s4
	s_and_saveexec_b32 s4, vcc_lo
	s_cbranch_execnz .LBB364_1894
.LBB364_1857:
	s_or_b32 exec_lo, exec_lo, s4
	s_and_saveexec_b32 s4, vcc_lo
	s_cbranch_execnz .LBB364_1895
.LBB364_1858:
	s_or_b32 exec_lo, exec_lo, s4
	s_and_saveexec_b32 s4, vcc_lo
	s_cbranch_execnz .LBB364_1896
.LBB364_1859:
	s_or_b32 exec_lo, exec_lo, s4
	s_and_saveexec_b32 s4, vcc_lo
	s_cbranch_execnz .LBB364_1897
.LBB364_1860:
	s_or_b32 exec_lo, exec_lo, s4
	s_and_saveexec_b32 s4, vcc_lo
	s_cbranch_execnz .LBB364_1898
.LBB364_1861:
	s_or_b32 exec_lo, exec_lo, s4
	s_and_saveexec_b32 s4, vcc_lo
	s_cbranch_execnz .LBB364_1899
.LBB364_1862:
	s_or_b32 exec_lo, exec_lo, s4
	s_and_saveexec_b32 s4, vcc_lo
	s_cbranch_execnz .LBB364_1900
.LBB364_1863:
	s_or_b32 exec_lo, exec_lo, s4
	s_and_saveexec_b32 s4, vcc_lo
	s_cbranch_execnz .LBB364_1901
.LBB364_1864:
	s_or_b32 exec_lo, exec_lo, s4
	s_and_saveexec_b32 s4, vcc_lo
	s_cbranch_execnz .LBB364_1902
.LBB364_1865:
	s_or_b32 exec_lo, exec_lo, s4
	s_and_saveexec_b32 s4, vcc_lo
	s_cbranch_execz .LBB364_1867
.LBB364_1866:
	ds_read_b32 v16, v14 offset:416
	s_waitcnt lgkmcnt(0)
	v_add_f32_e32 v0, v16, v0
.LBB364_1867:
	s_or_b32 exec_lo, exec_lo, s4
.LBB364_1868:
	s_or_b32 exec_lo, exec_lo, s5
	v_and_b32_e32 v16, 0x3e3, v36
	s_mov_b32 s5, exec_lo
	s_barrier
	buffer_gl0_inv
	v_cmpx_eq_u32_e32 32, v16
	s_cbranch_execz .LBB364_1870
; %bb.1869:
	ds_write2_b32 v15, v13, v12 offset1:8
	ds_write2_b32 v15, v11, v10 offset0:16 offset1:24
	ds_write2_b32 v15, v9, v8 offset0:32 offset1:40
	;; [unrolled: 1-line block ×6, first 2 shown]
.LBB364_1870:
	s_or_b32 exec_lo, exec_lo, s5
	s_mov_b32 s5, exec_lo
	s_waitcnt lgkmcnt(0)
	s_barrier
	buffer_gl0_inv
	v_cmpx_gt_u32_e32 32, v36
	s_cbranch_execz .LBB364_1887
; %bb.1871:
	s_and_saveexec_b32 s4, vcc_lo
	s_cbranch_execnz .LBB364_1903
; %bb.1872:
	s_or_b32 exec_lo, exec_lo, s4
	s_and_saveexec_b32 s4, vcc_lo
	s_cbranch_execnz .LBB364_1904
.LBB364_1873:
	s_or_b32 exec_lo, exec_lo, s4
	s_and_saveexec_b32 s4, vcc_lo
	s_cbranch_execnz .LBB364_1905
.LBB364_1874:
	s_or_b32 exec_lo, exec_lo, s4
	s_and_saveexec_b32 s4, vcc_lo
	s_cbranch_execnz .LBB364_1906
.LBB364_1875:
	s_or_b32 exec_lo, exec_lo, s4
	s_and_saveexec_b32 s4, vcc_lo
	s_cbranch_execnz .LBB364_1907
.LBB364_1876:
	s_or_b32 exec_lo, exec_lo, s4
	s_and_saveexec_b32 s4, vcc_lo
	s_cbranch_execnz .LBB364_1908
.LBB364_1877:
	s_or_b32 exec_lo, exec_lo, s4
	s_and_saveexec_b32 s4, vcc_lo
	s_cbranch_execnz .LBB364_1909
.LBB364_1878:
	s_or_b32 exec_lo, exec_lo, s4
	s_and_saveexec_b32 s4, vcc_lo
	s_cbranch_execnz .LBB364_1910
.LBB364_1879:
	s_or_b32 exec_lo, exec_lo, s4
	s_and_saveexec_b32 s4, vcc_lo
	s_cbranch_execnz .LBB364_1911
.LBB364_1880:
	s_or_b32 exec_lo, exec_lo, s4
	s_and_saveexec_b32 s4, vcc_lo
	s_cbranch_execnz .LBB364_1912
.LBB364_1881:
	s_or_b32 exec_lo, exec_lo, s4
	s_and_saveexec_b32 s4, vcc_lo
	s_cbranch_execnz .LBB364_1913
.LBB364_1882:
	s_or_b32 exec_lo, exec_lo, s4
	s_and_saveexec_b32 s4, vcc_lo
	s_cbranch_execnz .LBB364_1914
.LBB364_1883:
	s_or_b32 exec_lo, exec_lo, s4
	s_and_saveexec_b32 s4, vcc_lo
	s_cbranch_execnz .LBB364_1915
.LBB364_1884:
	s_or_b32 exec_lo, exec_lo, s4
	s_and_saveexec_b32 s4, vcc_lo
	s_cbranch_execz .LBB364_1886
.LBB364_1885:
	ds_read_b32 v14, v14 offset:416
	s_waitcnt lgkmcnt(0)
	v_add_f32_e32 v0, v14, v0
.LBB364_1886:
	s_or_b32 exec_lo, exec_lo, s4
.LBB364_1887:
	s_or_b32 exec_lo, exec_lo, s5
	s_mov_b32 s4, exec_lo
	s_barrier
	buffer_gl0_inv
	v_cmpx_eq_u32_e32 0, v16
	s_cbranch_execz .LBB364_1889
; %bb.1888:
	s_clause 0x1
	buffer_load_dword v17, off, s[0:3], s32 offset:732
	buffer_load_dword v18, off, s[0:3], s32 offset:728
	s_and_b32 s5, 0xffff, s8
	s_mul_i32 s6, s14, 0x70
	s_cmp_lg_u32 s5, 0
	v_lshrrev_b32_e32 v14, 1, v36
	s_cselect_b32 s5, -1, 0
	v_bfe_u32 v15, v13, 16, 1
	s_cmp_lg_u32 s5, 0
	v_or_b32_e32 v16, 0x400000, v13
	s_addc_u32 s5, s13, 0
	s_mul_i32 s7, s5, s10
	s_mul_i32 s10, s12, s5
	;; [unrolled: 1-line block ×3, first 2 shown]
	s_ashr_i32 s11, s10, 31
	s_mulk_i32 s8, 0x70
	s_ashr_i32 s7, s6, 31
	s_ashr_i32 s9, s8, 31
	s_lshl_b64 s[6:7], s[6:7], 1
	s_lshl_b64 s[8:9], s[8:9], 1
	v_add3_u32 v19, v15, v13, 0x7fff
	s_waitcnt vmcnt(1)
	v_add_co_u32 v17, vcc_lo, v17, s8
	s_waitcnt vmcnt(0)
	v_add_co_ci_u32_e64 v18, null, s9, v18, vcc_lo
	s_lshl_b64 s[8:9], s[10:11], 1
	v_add_co_u32 v17, vcc_lo, v17, s8
	v_add_co_ci_u32_e64 v18, null, s9, v18, vcc_lo
	v_add_co_u32 v17, vcc_lo, v17, s6
	v_add_co_ci_u32_e64 v18, null, s7, v18, vcc_lo
	v_add_co_u32 v14, vcc_lo, v17, v14
	v_add_co_ci_u32_e64 v15, null, 0, v18, vcc_lo
	v_bfe_u32 v17, v12, 16, 1
	v_cmp_u_f32_e32 vcc_lo, v13, v13
	v_or_b32_e32 v18, 0x400000, v12
	v_add3_u32 v17, v17, v12, 0x7fff
	v_cndmask_b32_e32 v13, v19, v16, vcc_lo
	v_bfe_u32 v16, v11, 16, 1
	v_cmp_u_f32_e32 vcc_lo, v12, v12
	flat_store_short_d16_hi v[14:15], v13
	v_add3_u32 v13, v16, v11, 0x7fff
	v_or_b32_e32 v16, 0x400000, v11
	v_cndmask_b32_e32 v12, v17, v18, vcc_lo
	v_bfe_u32 v17, v10, 16, 1
	v_cmp_u_f32_e32 vcc_lo, v11, v11
	flat_store_short_d16_hi v[14:15], v12 offset:16
	v_add3_u32 v12, v17, v10, 0x7fff
	v_cndmask_b32_e32 v11, v13, v16, vcc_lo
	v_bfe_u32 v13, v9, 16, 1
	v_or_b32_e32 v16, 0x400000, v10
	v_cmp_u_f32_e32 vcc_lo, v10, v10
	flat_store_short_d16_hi v[14:15], v11 offset:32
	v_add3_u32 v11, v13, v9, 0x7fff
	v_or_b32_e32 v13, 0x400000, v9
	v_cndmask_b32_e32 v10, v12, v16, vcc_lo
	v_bfe_u32 v12, v8, 16, 1
	v_cmp_u_f32_e32 vcc_lo, v9, v9
	flat_store_short_d16_hi v[14:15], v10 offset:48
	v_add3_u32 v10, v12, v8, 0x7fff
	v_cndmask_b32_e32 v9, v11, v13, vcc_lo
	v_bfe_u32 v11, v7, 16, 1
	v_or_b32_e32 v12, 0x400000, v8
	v_cmp_u_f32_e32 vcc_lo, v8, v8
	flat_store_short_d16_hi v[14:15], v9 offset:64
	;; [unrolled: 12-line block ×3, first 2 shown]
	v_add3_u32 v7, v9, v5, 0x7fff
	v_or_b32_e32 v9, 0x400000, v5
	v_cndmask_b32_e32 v6, v8, v10, vcc_lo
	v_bfe_u32 v8, v4, 16, 1
	v_cmp_u_f32_e32 vcc_lo, v5, v5
	v_or_b32_e32 v10, 0x400000, v0
	flat_store_short_d16_hi v[14:15], v6 offset:112
	v_add3_u32 v6, v8, v4, 0x7fff
	v_cndmask_b32_e32 v5, v7, v9, vcc_lo
	v_bfe_u32 v7, v3, 16, 1
	v_or_b32_e32 v8, 0x400000, v4
	v_cmp_u_f32_e32 vcc_lo, v4, v4
	v_or_b32_e32 v9, 0x400000, v1
	flat_store_short_d16_hi v[14:15], v5 offset:128
	v_add3_u32 v5, v7, v3, 0x7fff
	v_or_b32_e32 v7, 0x400000, v3
	v_cndmask_b32_e32 v4, v6, v8, vcc_lo
	v_bfe_u32 v6, v2, 16, 1
	v_cmp_u_f32_e32 vcc_lo, v3, v3
	v_bfe_u32 v8, v1, 16, 1
	v_add3_u32 v6, v6, v2, 0x7fff
	v_cndmask_b32_e32 v3, v5, v7, vcc_lo
	v_or_b32_e32 v7, 0x400000, v2
	v_cmp_u_f32_e32 vcc_lo, v2, v2
	v_bfe_u32 v5, v0, 16, 1
	v_add3_u32 v8, v8, v1, 0x7fff
	v_cndmask_b32_e32 v2, v6, v7, vcc_lo
	v_cmp_u_f32_e32 vcc_lo, v1, v1
	v_add3_u32 v5, v5, v0, 0x7fff
	v_cndmask_b32_e32 v1, v8, v9, vcc_lo
	v_cmp_u_f32_e32 vcc_lo, v0, v0
	v_cndmask_b32_e32 v0, v5, v10, vcc_lo
	flat_store_short_d16_hi v[14:15], v4 offset:144
	flat_store_short_d16_hi v[14:15], v3 offset:160
	;; [unrolled: 1-line block ×5, first 2 shown]
.LBB364_1889:
	s_or_b32 exec_lo, exec_lo, s4
	s_clause 0x2f
	buffer_load_dword v127, off, s[0:3], s32
	buffer_load_dword v126, off, s[0:3], s32 offset:4
	buffer_load_dword v125, off, s[0:3], s32 offset:8
	;; [unrolled: 1-line block ×47, first 2 shown]
	s_waitcnt vmcnt(0) lgkmcnt(0)
	s_setpc_b64 s[30:31]
.LBB364_1890:
	ds_read_b32 v16, v14
	s_waitcnt lgkmcnt(0)
	v_add_f32_e32 v13, v16, v13
	s_or_b32 exec_lo, exec_lo, s4
	s_and_saveexec_b32 s4, vcc_lo
	s_cbranch_execz .LBB364_1854
.LBB364_1891:
	ds_read_b32 v16, v14 offset:32
	s_waitcnt lgkmcnt(0)
	v_add_f32_e32 v12, v16, v12
	s_or_b32 exec_lo, exec_lo, s4
	s_and_saveexec_b32 s4, vcc_lo
	s_cbranch_execz .LBB364_1855
.LBB364_1892:
	ds_read_b32 v16, v14 offset:64
	s_waitcnt lgkmcnt(0)
	v_add_f32_e32 v11, v16, v11
	s_or_b32 exec_lo, exec_lo, s4
	s_and_saveexec_b32 s4, vcc_lo
	s_cbranch_execz .LBB364_1856
.LBB364_1893:
	ds_read_b32 v16, v14 offset:96
	s_waitcnt lgkmcnt(0)
	v_add_f32_e32 v10, v16, v10
	s_or_b32 exec_lo, exec_lo, s4
	s_and_saveexec_b32 s4, vcc_lo
	s_cbranch_execz .LBB364_1857
.LBB364_1894:
	ds_read_b32 v16, v14 offset:128
	s_waitcnt lgkmcnt(0)
	v_add_f32_e32 v9, v16, v9
	s_or_b32 exec_lo, exec_lo, s4
	s_and_saveexec_b32 s4, vcc_lo
	s_cbranch_execz .LBB364_1858
.LBB364_1895:
	ds_read_b32 v16, v14 offset:160
	s_waitcnt lgkmcnt(0)
	v_add_f32_e32 v8, v16, v8
	s_or_b32 exec_lo, exec_lo, s4
	s_and_saveexec_b32 s4, vcc_lo
	s_cbranch_execz .LBB364_1859
.LBB364_1896:
	ds_read_b32 v16, v14 offset:192
	s_waitcnt lgkmcnt(0)
	v_add_f32_e32 v7, v16, v7
	s_or_b32 exec_lo, exec_lo, s4
	s_and_saveexec_b32 s4, vcc_lo
	s_cbranch_execz .LBB364_1860
.LBB364_1897:
	ds_read_b32 v16, v14 offset:224
	s_waitcnt lgkmcnt(0)
	v_add_f32_e32 v6, v16, v6
	s_or_b32 exec_lo, exec_lo, s4
	s_and_saveexec_b32 s4, vcc_lo
	s_cbranch_execz .LBB364_1861
.LBB364_1898:
	ds_read_b32 v16, v14 offset:256
	s_waitcnt lgkmcnt(0)
	v_add_f32_e32 v5, v16, v5
	s_or_b32 exec_lo, exec_lo, s4
	s_and_saveexec_b32 s4, vcc_lo
	s_cbranch_execz .LBB364_1862
.LBB364_1899:
	ds_read_b32 v16, v14 offset:288
	s_waitcnt lgkmcnt(0)
	v_add_f32_e32 v4, v16, v4
	s_or_b32 exec_lo, exec_lo, s4
	s_and_saveexec_b32 s4, vcc_lo
	s_cbranch_execz .LBB364_1863
.LBB364_1900:
	ds_read_b32 v16, v14 offset:320
	s_waitcnt lgkmcnt(0)
	v_add_f32_e32 v3, v16, v3
	s_or_b32 exec_lo, exec_lo, s4
	s_and_saveexec_b32 s4, vcc_lo
	s_cbranch_execz .LBB364_1864
.LBB364_1901:
	ds_read_b32 v16, v14 offset:352
	s_waitcnt lgkmcnt(0)
	v_add_f32_e32 v2, v16, v2
	s_or_b32 exec_lo, exec_lo, s4
	s_and_saveexec_b32 s4, vcc_lo
	s_cbranch_execz .LBB364_1865
.LBB364_1902:
	ds_read_b32 v16, v14 offset:384
	s_waitcnt lgkmcnt(0)
	v_add_f32_e32 v1, v16, v1
	s_or_b32 exec_lo, exec_lo, s4
	s_and_saveexec_b32 s4, vcc_lo
	s_cbranch_execnz .LBB364_1866
	s_branch .LBB364_1867
.LBB364_1903:
	ds_read_b32 v15, v14
	s_waitcnt lgkmcnt(0)
	v_add_f32_e32 v13, v15, v13
	s_or_b32 exec_lo, exec_lo, s4
	s_and_saveexec_b32 s4, vcc_lo
	s_cbranch_execz .LBB364_1873
.LBB364_1904:
	ds_read_b32 v15, v14 offset:32
	s_waitcnt lgkmcnt(0)
	v_add_f32_e32 v12, v15, v12
	s_or_b32 exec_lo, exec_lo, s4
	s_and_saveexec_b32 s4, vcc_lo
	s_cbranch_execz .LBB364_1874
.LBB364_1905:
	ds_read_b32 v15, v14 offset:64
	s_waitcnt lgkmcnt(0)
	v_add_f32_e32 v11, v15, v11
	s_or_b32 exec_lo, exec_lo, s4
	s_and_saveexec_b32 s4, vcc_lo
	s_cbranch_execz .LBB364_1875
.LBB364_1906:
	ds_read_b32 v15, v14 offset:96
	s_waitcnt lgkmcnt(0)
	v_add_f32_e32 v10, v15, v10
	s_or_b32 exec_lo, exec_lo, s4
	s_and_saveexec_b32 s4, vcc_lo
	s_cbranch_execz .LBB364_1876
.LBB364_1907:
	ds_read_b32 v15, v14 offset:128
	s_waitcnt lgkmcnt(0)
	v_add_f32_e32 v9, v15, v9
	s_or_b32 exec_lo, exec_lo, s4
	s_and_saveexec_b32 s4, vcc_lo
	s_cbranch_execz .LBB364_1877
.LBB364_1908:
	ds_read_b32 v15, v14 offset:160
	s_waitcnt lgkmcnt(0)
	v_add_f32_e32 v8, v15, v8
	s_or_b32 exec_lo, exec_lo, s4
	s_and_saveexec_b32 s4, vcc_lo
	s_cbranch_execz .LBB364_1878
.LBB364_1909:
	ds_read_b32 v15, v14 offset:192
	s_waitcnt lgkmcnt(0)
	v_add_f32_e32 v7, v15, v7
	s_or_b32 exec_lo, exec_lo, s4
	s_and_saveexec_b32 s4, vcc_lo
	s_cbranch_execz .LBB364_1879
.LBB364_1910:
	ds_read_b32 v15, v14 offset:224
	s_waitcnt lgkmcnt(0)
	v_add_f32_e32 v6, v15, v6
	s_or_b32 exec_lo, exec_lo, s4
	s_and_saveexec_b32 s4, vcc_lo
	s_cbranch_execz .LBB364_1880
.LBB364_1911:
	ds_read_b32 v15, v14 offset:256
	s_waitcnt lgkmcnt(0)
	v_add_f32_e32 v5, v15, v5
	s_or_b32 exec_lo, exec_lo, s4
	s_and_saveexec_b32 s4, vcc_lo
	s_cbranch_execz .LBB364_1881
.LBB364_1912:
	ds_read_b32 v15, v14 offset:288
	s_waitcnt lgkmcnt(0)
	v_add_f32_e32 v4, v15, v4
	s_or_b32 exec_lo, exec_lo, s4
	s_and_saveexec_b32 s4, vcc_lo
	s_cbranch_execz .LBB364_1882
.LBB364_1913:
	ds_read_b32 v15, v14 offset:320
	s_waitcnt lgkmcnt(0)
	v_add_f32_e32 v3, v15, v3
	s_or_b32 exec_lo, exec_lo, s4
	s_and_saveexec_b32 s4, vcc_lo
	s_cbranch_execz .LBB364_1883
.LBB364_1914:
	ds_read_b32 v15, v14 offset:352
	s_waitcnt lgkmcnt(0)
	v_add_f32_e32 v2, v15, v2
	s_or_b32 exec_lo, exec_lo, s4
	s_and_saveexec_b32 s4, vcc_lo
	s_cbranch_execz .LBB364_1884
.LBB364_1915:
	ds_read_b32 v15, v14 offset:384
	s_waitcnt lgkmcnt(0)
	v_add_f32_e32 v1, v15, v1
	s_or_b32 exec_lo, exec_lo, s4
	s_and_saveexec_b32 s4, vcc_lo
	s_cbranch_execnz .LBB364_1885
	s_branch .LBB364_1886
.Lfunc_end364:
	.size	_ZN4vllm22paged_attention_kernelI14__hip_bfloat16hLi112ELi32ELi128ELNS_18Fp8KVCacheDataTypeE1ELb0ELi0EEEvPfS3_PT_PKS4_PKT0_SA_ifPKiSC_iPKfiiiSE_SE_iiiii, .Lfunc_end364-_ZN4vllm22paged_attention_kernelI14__hip_bfloat16hLi112ELi32ELi128ELNS_18Fp8KVCacheDataTypeE1ELb0ELi0EEEvPfS3_PT_PKS4_PKT0_SA_ifPKiSC_iPKfiiiSE_SE_iiiii
                                        ; -- End function
	.set .L_ZN4vllm22paged_attention_kernelI14__hip_bfloat16hLi112ELi32ELi128ELNS_18Fp8KVCacheDataTypeE1ELb0ELi0EEEvPfS3_PT_PKS4_PKT0_SA_ifPKiSC_iPKfiiiSE_SE_iiiii.num_vgpr, 128
	.set .L_ZN4vllm22paged_attention_kernelI14__hip_bfloat16hLi112ELi32ELi128ELNS_18Fp8KVCacheDataTypeE1ELb0ELi0EEEvPfS3_PT_PKS4_PKT0_SA_ifPKiSC_iPKfiiiSE_SE_iiiii.num_agpr, 0
	.set .L_ZN4vllm22paged_attention_kernelI14__hip_bfloat16hLi112ELi32ELi128ELNS_18Fp8KVCacheDataTypeE1ELb0ELi0EEEvPfS3_PT_PKS4_PKT0_SA_ifPKiSC_iPKfiiiSE_SE_iiiii.numbered_sgpr, 33
	.set .L_ZN4vllm22paged_attention_kernelI14__hip_bfloat16hLi112ELi32ELi128ELNS_18Fp8KVCacheDataTypeE1ELb0ELi0EEEvPfS3_PT_PKS4_PKT0_SA_ifPKiSC_iPKfiiiSE_SE_iiiii.num_named_barrier, 0
	.set .L_ZN4vllm22paged_attention_kernelI14__hip_bfloat16hLi112ELi32ELi128ELNS_18Fp8KVCacheDataTypeE1ELb0ELi0EEEvPfS3_PT_PKS4_PKT0_SA_ifPKiSC_iPKfiiiSE_SE_iiiii.private_seg_size, 760
	.set .L_ZN4vllm22paged_attention_kernelI14__hip_bfloat16hLi112ELi32ELi128ELNS_18Fp8KVCacheDataTypeE1ELb0ELi0EEEvPfS3_PT_PKS4_PKT0_SA_ifPKiSC_iPKfiiiSE_SE_iiiii.uses_vcc, 1
	.set .L_ZN4vllm22paged_attention_kernelI14__hip_bfloat16hLi112ELi32ELi128ELNS_18Fp8KVCacheDataTypeE1ELb0ELi0EEEvPfS3_PT_PKS4_PKT0_SA_ifPKiSC_iPKfiiiSE_SE_iiiii.uses_flat_scratch, 0
	.set .L_ZN4vllm22paged_attention_kernelI14__hip_bfloat16hLi112ELi32ELi128ELNS_18Fp8KVCacheDataTypeE1ELb0ELi0EEEvPfS3_PT_PKS4_PKT0_SA_ifPKiSC_iPKfiiiSE_SE_iiiii.has_dyn_sized_stack, 0
	.set .L_ZN4vllm22paged_attention_kernelI14__hip_bfloat16hLi112ELi32ELi128ELNS_18Fp8KVCacheDataTypeE1ELb0ELi0EEEvPfS3_PT_PKS4_PKT0_SA_ifPKiSC_iPKfiiiSE_SE_iiiii.has_recursion, 0
	.set .L_ZN4vllm22paged_attention_kernelI14__hip_bfloat16hLi112ELi32ELi128ELNS_18Fp8KVCacheDataTypeE1ELb0ELi0EEEvPfS3_PT_PKS4_PKT0_SA_ifPKiSC_iPKfiiiSE_SE_iiiii.has_indirect_call, 0
	.section	.AMDGPU.csdata,"",@progbits
; Function info:
; codeLenInByte = 75052
; TotalNumSgprs: 35
; NumVgprs: 128
; ScratchSize: 760
; MemoryBound: 0
	.section	.text._ZN4vllm25paged_attention_v1_kernelI14__hip_bfloat16hLi112ELi32ELi128ELNS_18Fp8KVCacheDataTypeE1ELb0EEEvPT_PKS3_PKT0_S9_ifPKiSB_iPKfiiiSD_SD_iiiii,"axG",@progbits,_ZN4vllm25paged_attention_v1_kernelI14__hip_bfloat16hLi112ELi32ELi128ELNS_18Fp8KVCacheDataTypeE1ELb0EEEvPT_PKS3_PKT0_S9_ifPKiSB_iPKfiiiSD_SD_iiiii,comdat
	.protected	_ZN4vllm25paged_attention_v1_kernelI14__hip_bfloat16hLi112ELi32ELi128ELNS_18Fp8KVCacheDataTypeE1ELb0EEEvPT_PKS3_PKT0_S9_ifPKiSB_iPKfiiiSD_SD_iiiii ; -- Begin function _ZN4vllm25paged_attention_v1_kernelI14__hip_bfloat16hLi112ELi32ELi128ELNS_18Fp8KVCacheDataTypeE1ELb0EEEvPT_PKS3_PKT0_S9_ifPKiSB_iPKfiiiSD_SD_iiiii
	.globl	_ZN4vllm25paged_attention_v1_kernelI14__hip_bfloat16hLi112ELi32ELi128ELNS_18Fp8KVCacheDataTypeE1ELb0EEEvPT_PKS3_PKT0_S9_ifPKiSB_iPKfiiiSD_SD_iiiii
	.p2align	8
	.type	_ZN4vllm25paged_attention_v1_kernelI14__hip_bfloat16hLi112ELi32ELi128ELNS_18Fp8KVCacheDataTypeE1ELb0EEEvPT_PKS3_PKT0_S9_ifPKiSB_iPKfiiiSD_SD_iiiii,@function
_ZN4vllm25paged_attention_v1_kernelI14__hip_bfloat16hLi112ELi32ELi128ELNS_18Fp8KVCacheDataTypeE1ELb0EEEvPT_PKS3_PKT0_S9_ifPKiSB_iPKfiiiSD_SD_iiiii: ; @_ZN4vllm25paged_attention_v1_kernelI14__hip_bfloat16hLi112ELi32ELi128ELNS_18Fp8KVCacheDataTypeE1ELb0EEEvPT_PKS3_PKT0_S9_ifPKiSB_iPKfiiiSD_SD_iiiii
; %bb.0:
	s_clause 0x5
	s_load_dwordx8 s[16:23], s[4:5], 0x0
	s_load_dwordx4 s[36:39], s[4:5], 0x20
	s_load_dwordx2 s[10:11], s[4:5], 0x30
	s_load_dword s13, s[4:5], 0x38
	s_load_dwordx2 s[34:35], s[4:5], 0x40
	s_load_dwordx8 s[24:31], s[4:5], 0x48
	s_add_u32 s0, s0, s9
	s_addc_u32 s1, s1, 0
	v_mov_b32_e32 v31, v0
	s_mov_b32 s14, s8
	s_add_u32 s8, s4, 0x80
	s_addc_u32 s9, s5, 0
	s_getpc_b64 s[4:5]
	s_add_u32 s4, s4, _ZN4vllm22paged_attention_kernelI14__hip_bfloat16hLi112ELi32ELi128ELNS_18Fp8KVCacheDataTypeE1ELb0ELi0EEEvPfS3_PT_PKS4_PKT0_SA_ifPKiSC_iPKfiiiSE_SE_iiiii@rel32@lo+4
	s_addc_u32 s5, s5, _ZN4vllm22paged_attention_kernelI14__hip_bfloat16hLi112ELi32ELi128ELNS_18Fp8KVCacheDataTypeE1ELb0ELi0EEEvPfS3_PT_PKS4_PKT0_SA_ifPKiSC_iPKfiiiSE_SE_iiiii@rel32@hi+12
	s_mov_b32 s12, s6
	s_mov_b32 s15, 0
	;; [unrolled: 1-line block ×3, first 2 shown]
	s_waitcnt lgkmcnt(0)
	v_mov_b32_e32 v0, s16
	v_mov_b32_e32 v1, s17
	;; [unrolled: 1-line block ×24, first 2 shown]
	s_mov_b32 s13, s7
	s_swappc_b64 s[30:31], s[4:5]
	s_endpgm
	.section	.rodata,"a",@progbits
	.p2align	6, 0x0
	.amdhsa_kernel _ZN4vllm25paged_attention_v1_kernelI14__hip_bfloat16hLi112ELi32ELi128ELNS_18Fp8KVCacheDataTypeE1ELb0EEEvPT_PKS3_PKT0_S9_ifPKiSB_iPKfiiiSD_SD_iiiii
		.amdhsa_group_segment_fixed_size 256
		.amdhsa_private_segment_fixed_size 760
		.amdhsa_kernarg_size 384
		.amdhsa_user_sgpr_count 6
		.amdhsa_user_sgpr_private_segment_buffer 1
		.amdhsa_user_sgpr_dispatch_ptr 0
		.amdhsa_user_sgpr_queue_ptr 0
		.amdhsa_user_sgpr_kernarg_segment_ptr 1
		.amdhsa_user_sgpr_dispatch_id 0
		.amdhsa_user_sgpr_flat_scratch_init 0
		.amdhsa_user_sgpr_private_segment_size 0
		.amdhsa_wavefront_size32 1
		.amdhsa_uses_dynamic_stack 0
		.amdhsa_system_sgpr_private_segment_wavefront_offset 1
		.amdhsa_system_sgpr_workgroup_id_x 1
		.amdhsa_system_sgpr_workgroup_id_y 1
		.amdhsa_system_sgpr_workgroup_id_z 1
		.amdhsa_system_sgpr_workgroup_info 0
		.amdhsa_system_vgpr_workitem_id 0
		.amdhsa_next_free_vgpr 128
		.amdhsa_next_free_sgpr 40
		.amdhsa_reserve_vcc 1
		.amdhsa_reserve_flat_scratch 0
		.amdhsa_float_round_mode_32 0
		.amdhsa_float_round_mode_16_64 0
		.amdhsa_float_denorm_mode_32 3
		.amdhsa_float_denorm_mode_16_64 3
		.amdhsa_dx10_clamp 1
		.amdhsa_ieee_mode 1
		.amdhsa_fp16_overflow 0
		.amdhsa_workgroup_processor_mode 1
		.amdhsa_memory_ordered 1
		.amdhsa_forward_progress 1
		.amdhsa_shared_vgpr_count 0
		.amdhsa_exception_fp_ieee_invalid_op 0
		.amdhsa_exception_fp_denorm_src 0
		.amdhsa_exception_fp_ieee_div_zero 0
		.amdhsa_exception_fp_ieee_overflow 0
		.amdhsa_exception_fp_ieee_underflow 0
		.amdhsa_exception_fp_ieee_inexact 0
		.amdhsa_exception_int_div_zero 0
	.end_amdhsa_kernel
	.section	.text._ZN4vllm25paged_attention_v1_kernelI14__hip_bfloat16hLi112ELi32ELi128ELNS_18Fp8KVCacheDataTypeE1ELb0EEEvPT_PKS3_PKT0_S9_ifPKiSB_iPKfiiiSD_SD_iiiii,"axG",@progbits,_ZN4vllm25paged_attention_v1_kernelI14__hip_bfloat16hLi112ELi32ELi128ELNS_18Fp8KVCacheDataTypeE1ELb0EEEvPT_PKS3_PKT0_S9_ifPKiSB_iPKfiiiSD_SD_iiiii,comdat
.Lfunc_end365:
	.size	_ZN4vllm25paged_attention_v1_kernelI14__hip_bfloat16hLi112ELi32ELi128ELNS_18Fp8KVCacheDataTypeE1ELb0EEEvPT_PKS3_PKT0_S9_ifPKiSB_iPKfiiiSD_SD_iiiii, .Lfunc_end365-_ZN4vllm25paged_attention_v1_kernelI14__hip_bfloat16hLi112ELi32ELi128ELNS_18Fp8KVCacheDataTypeE1ELb0EEEvPT_PKS3_PKT0_S9_ifPKiSB_iPKfiiiSD_SD_iiiii
                                        ; -- End function
	.set _ZN4vllm25paged_attention_v1_kernelI14__hip_bfloat16hLi112ELi32ELi128ELNS_18Fp8KVCacheDataTypeE1ELb0EEEvPT_PKS3_PKT0_S9_ifPKiSB_iPKfiiiSD_SD_iiiii.num_vgpr, max(32, .L_ZN4vllm22paged_attention_kernelI14__hip_bfloat16hLi112ELi32ELi128ELNS_18Fp8KVCacheDataTypeE1ELb0ELi0EEEvPfS3_PT_PKS4_PKT0_SA_ifPKiSC_iPKfiiiSE_SE_iiiii.num_vgpr)
	.set _ZN4vllm25paged_attention_v1_kernelI14__hip_bfloat16hLi112ELi32ELi128ELNS_18Fp8KVCacheDataTypeE1ELb0EEEvPT_PKS3_PKT0_S9_ifPKiSB_iPKfiiiSD_SD_iiiii.num_agpr, max(0, .L_ZN4vllm22paged_attention_kernelI14__hip_bfloat16hLi112ELi32ELi128ELNS_18Fp8KVCacheDataTypeE1ELb0ELi0EEEvPfS3_PT_PKS4_PKT0_SA_ifPKiSC_iPKfiiiSE_SE_iiiii.num_agpr)
	.set _ZN4vllm25paged_attention_v1_kernelI14__hip_bfloat16hLi112ELi32ELi128ELNS_18Fp8KVCacheDataTypeE1ELb0EEEvPT_PKS3_PKT0_S9_ifPKiSB_iPKfiiiSD_SD_iiiii.numbered_sgpr, max(40, .L_ZN4vllm22paged_attention_kernelI14__hip_bfloat16hLi112ELi32ELi128ELNS_18Fp8KVCacheDataTypeE1ELb0ELi0EEEvPfS3_PT_PKS4_PKT0_SA_ifPKiSC_iPKfiiiSE_SE_iiiii.numbered_sgpr)
	.set _ZN4vllm25paged_attention_v1_kernelI14__hip_bfloat16hLi112ELi32ELi128ELNS_18Fp8KVCacheDataTypeE1ELb0EEEvPT_PKS3_PKT0_S9_ifPKiSB_iPKfiiiSD_SD_iiiii.num_named_barrier, max(0, .L_ZN4vllm22paged_attention_kernelI14__hip_bfloat16hLi112ELi32ELi128ELNS_18Fp8KVCacheDataTypeE1ELb0ELi0EEEvPfS3_PT_PKS4_PKT0_SA_ifPKiSC_iPKfiiiSE_SE_iiiii.num_named_barrier)
	.set _ZN4vllm25paged_attention_v1_kernelI14__hip_bfloat16hLi112ELi32ELi128ELNS_18Fp8KVCacheDataTypeE1ELb0EEEvPT_PKS3_PKT0_S9_ifPKiSB_iPKfiiiSD_SD_iiiii.private_seg_size, 0+max(.L_ZN4vllm22paged_attention_kernelI14__hip_bfloat16hLi112ELi32ELi128ELNS_18Fp8KVCacheDataTypeE1ELb0ELi0EEEvPfS3_PT_PKS4_PKT0_SA_ifPKiSC_iPKfiiiSE_SE_iiiii.private_seg_size)
	.set _ZN4vllm25paged_attention_v1_kernelI14__hip_bfloat16hLi112ELi32ELi128ELNS_18Fp8KVCacheDataTypeE1ELb0EEEvPT_PKS3_PKT0_S9_ifPKiSB_iPKfiiiSD_SD_iiiii.uses_vcc, or(1, .L_ZN4vllm22paged_attention_kernelI14__hip_bfloat16hLi112ELi32ELi128ELNS_18Fp8KVCacheDataTypeE1ELb0ELi0EEEvPfS3_PT_PKS4_PKT0_SA_ifPKiSC_iPKfiiiSE_SE_iiiii.uses_vcc)
	.set _ZN4vllm25paged_attention_v1_kernelI14__hip_bfloat16hLi112ELi32ELi128ELNS_18Fp8KVCacheDataTypeE1ELb0EEEvPT_PKS3_PKT0_S9_ifPKiSB_iPKfiiiSD_SD_iiiii.uses_flat_scratch, or(0, .L_ZN4vllm22paged_attention_kernelI14__hip_bfloat16hLi112ELi32ELi128ELNS_18Fp8KVCacheDataTypeE1ELb0ELi0EEEvPfS3_PT_PKS4_PKT0_SA_ifPKiSC_iPKfiiiSE_SE_iiiii.uses_flat_scratch)
	.set _ZN4vllm25paged_attention_v1_kernelI14__hip_bfloat16hLi112ELi32ELi128ELNS_18Fp8KVCacheDataTypeE1ELb0EEEvPT_PKS3_PKT0_S9_ifPKiSB_iPKfiiiSD_SD_iiiii.has_dyn_sized_stack, or(0, .L_ZN4vllm22paged_attention_kernelI14__hip_bfloat16hLi112ELi32ELi128ELNS_18Fp8KVCacheDataTypeE1ELb0ELi0EEEvPfS3_PT_PKS4_PKT0_SA_ifPKiSC_iPKfiiiSE_SE_iiiii.has_dyn_sized_stack)
	.set _ZN4vllm25paged_attention_v1_kernelI14__hip_bfloat16hLi112ELi32ELi128ELNS_18Fp8KVCacheDataTypeE1ELb0EEEvPT_PKS3_PKT0_S9_ifPKiSB_iPKfiiiSD_SD_iiiii.has_recursion, or(0, .L_ZN4vllm22paged_attention_kernelI14__hip_bfloat16hLi112ELi32ELi128ELNS_18Fp8KVCacheDataTypeE1ELb0ELi0EEEvPfS3_PT_PKS4_PKT0_SA_ifPKiSC_iPKfiiiSE_SE_iiiii.has_recursion)
	.set _ZN4vllm25paged_attention_v1_kernelI14__hip_bfloat16hLi112ELi32ELi128ELNS_18Fp8KVCacheDataTypeE1ELb0EEEvPT_PKS3_PKT0_S9_ifPKiSB_iPKfiiiSD_SD_iiiii.has_indirect_call, or(0, .L_ZN4vllm22paged_attention_kernelI14__hip_bfloat16hLi112ELi32ELi128ELNS_18Fp8KVCacheDataTypeE1ELb0ELi0EEEvPfS3_PT_PKS4_PKT0_SA_ifPKiSC_iPKfiiiSE_SE_iiiii.has_indirect_call)
	.section	.AMDGPU.csdata,"",@progbits
; Kernel info:
; codeLenInByte = 224
; TotalNumSgprs: 42
; NumVgprs: 128
; ScratchSize: 760
; MemoryBound: 0
; FloatMode: 240
; IeeeMode: 1
; LDSByteSize: 256 bytes/workgroup (compile time only)
; SGPRBlocks: 0
; VGPRBlocks: 15
; NumSGPRsForWavesPerEU: 42
; NumVGPRsForWavesPerEU: 128
; Occupancy: 8
; WaveLimiterHint : 1
; COMPUTE_PGM_RSRC2:SCRATCH_EN: 1
; COMPUTE_PGM_RSRC2:USER_SGPR: 6
; COMPUTE_PGM_RSRC2:TRAP_HANDLER: 0
; COMPUTE_PGM_RSRC2:TGID_X_EN: 1
; COMPUTE_PGM_RSRC2:TGID_Y_EN: 1
; COMPUTE_PGM_RSRC2:TGID_Z_EN: 1
; COMPUTE_PGM_RSRC2:TIDIG_COMP_CNT: 0
	.text
	.p2align	2                               ; -- Begin function _ZN4vllm22paged_attention_kernelI14__hip_bfloat16hLi120ELi32ELi128ELNS_18Fp8KVCacheDataTypeE1ELb0ELi0EEEvPfS3_PT_PKS4_PKT0_SA_ifPKiSC_iPKfiiiSE_SE_iiiii
	.type	_ZN4vllm22paged_attention_kernelI14__hip_bfloat16hLi120ELi32ELi128ELNS_18Fp8KVCacheDataTypeE1ELb0ELi0EEEvPfS3_PT_PKS4_PKT0_SA_ifPKiSC_iPKfiiiSE_SE_iiiii,@function
_ZN4vllm22paged_attention_kernelI14__hip_bfloat16hLi120ELi32ELi128ELNS_18Fp8KVCacheDataTypeE1ELb0ELi0EEEvPfS3_PT_PKS4_PKT0_SA_ifPKiSC_iPKfiiiSE_SE_iiiii: ; @_ZN4vllm22paged_attention_kernelI14__hip_bfloat16hLi120ELi32ELi128ELNS_18Fp8KVCacheDataTypeE1ELb0ELi0EEEvPfS3_PT_PKS4_PKT0_SA_ifPKiSC_iPKfiiiSE_SE_iiiii
; %bb.0:
	s_waitcnt vmcnt(0) expcnt(0) lgkmcnt(0)
	buffer_store_dword v40, off, s[0:3], s32 offset:188 ; 4-byte Folded Spill
	buffer_store_dword v41, off, s[0:3], s32 offset:184 ; 4-byte Folded Spill
	;; [unrolled: 1-line block ×47, first 2 shown]
	buffer_store_dword v127, off, s[0:3], s32 ; 4-byte Folded Spill
	s_mov_b32 s10, s13
	s_ashr_i32 s11, s13, 31
	buffer_store_dword v20, off, s[0:3], s32 offset:236 ; 4-byte Folded Spill
	buffer_store_dword v21, off, s[0:3], s32 offset:240 ; 4-byte Folded Spill
	;; [unrolled: 1-line block ×4, first 2 shown]
	s_lshl_b64 s[4:5], s[10:11], 2
	buffer_store_dword v1, off, s[0:3], s32 offset:760 ; 4-byte Folded Spill
	buffer_store_dword v0, off, s[0:3], s32 offset:764 ; 4-byte Folded Spill
	v_add_co_u32 v0, vcc_lo, v12, s4
	v_add_co_ci_u32_e64 v1, null, s5, v13, vcc_lo
	s_clause 0x1
	s_load_dword s4, s[8:9], 0x10
	s_load_dword s5, s[8:9], 0x0
	v_mov_b32_e32 v20, v6
	flat_load_dword v30, v[0:1]
	v_sub_nc_u32_e32 v0, 0, v8
	v_mov_b32_e32 v18, v7
	s_mov_b32 s16, s15
	v_max_i32_e32 v0, v8, v0
	v_cvt_f32_u32_e32 v1, v0
	v_sub_nc_u32_e32 v6, 0, v0
	v_rcp_iflag_f32_e32 v1, v1
	s_waitcnt lgkmcnt(0)
	s_lshr_b32 s4, s4, 16
	s_cmp_lg_u32 s4, 0
	s_cselect_b32 s4, -1, 0
	s_cmp_lg_u32 s4, 0
	s_addc_u32 s11, s5, 0
	v_mul_f32_e32 v1, 0x4f7ffffe, v1
	s_abs_i32 s4, s11
	s_mov_b32 s5, exec_lo
	v_cvt_u32_f32_e32 v1, v1
	v_mul_lo_u32 v6, v6, v1
	v_mul_hi_u32 v6, v1, v6
	v_add_nc_u32_e32 v1, v1, v6
	v_mul_hi_u32 v1, s4, v1
	v_mul_lo_u32 v6, v1, v0
	v_add_nc_u32_e32 v7, 1, v1
	v_sub_nc_u32_e32 v6, s4, v6
	s_abs_i32 s4, s12
	v_sub_nc_u32_e32 v9, v6, v0
	v_cmp_ge_u32_e32 vcc_lo, v6, v0
	v_cndmask_b32_e32 v1, v1, v7, vcc_lo
	v_cndmask_b32_e32 v6, v6, v9, vcc_lo
	v_xor_b32_e32 v7, s11, v8
	v_add_nc_u32_e32 v8, 1, v1
	v_cmp_ge_u32_e32 vcc_lo, v6, v0
	v_ashrrev_i32_e32 v7, 31, v7
	v_cndmask_b32_e32 v0, v1, v8, vcc_lo
	v_xor_b32_e32 v0, v0, v7
	v_sub_nc_u32_e32 v1, v0, v7
	v_sub_nc_u32_e32 v0, 0, v1
	v_max_i32_e32 v0, v1, v0
	v_cvt_f32_u32_e32 v6, v0
	v_sub_nc_u32_e32 v7, 0, v0
	v_rcp_iflag_f32_e32 v6, v6
	v_mul_f32_e32 v6, 0x4f7ffffe, v6
	v_cvt_u32_f32_e32 v6, v6
	v_mul_lo_u32 v7, v7, v6
	v_mul_hi_u32 v7, v6, v7
	v_add_nc_u32_e32 v6, v6, v7
	v_mad_u64_u32 v[12:13], null, s4, v6, 0
	v_mov_b32_e32 v6, 0
	buffer_store_dword v6, off, s[0:3], s32 offset:232 ; 4-byte Folded Spill
	v_cmpx_ne_u64_e32 0, v[15:16]
	s_cbranch_execz .LBB366_2
; %bb.1:
	s_ashr_i32 s13, s12, 31
	s_lshl_b64 s[6:7], s[12:13], 2
	v_add_co_u32 v6, vcc_lo, v15, s6
	v_add_co_ci_u32_e64 v7, null, s7, v16, vcc_lo
	flat_load_dword v6, v[6:7]
	s_waitcnt vmcnt(0) lgkmcnt(0)
	buffer_store_dword v6, off, s[0:3], s32 offset:232 ; 4-byte Folded Spill
.LBB366_2:
	s_or_b32 exec_lo, exec_lo, s5
	v_and_b32_e32 v64, 0x3ff, v31
	v_ashrrev_i32_e32 v1, 31, v1
	s_ashr_i32 s5, s12, 31
	s_mulk_i32 s12, 0x78
	s_mov_b32 s6, exec_lo
	v_cmpx_gt_u32_e32 15, v64
	s_cbranch_execz .LBB366_4
; %bb.3:
	v_mul_lo_u32 v6, v17, s10
	s_ashr_i32 s13, s12, 31
	v_lshlrev_b32_e32 v12, 4, v64
	s_lshl_b64 s[18:19], s[12:13], 1
	v_ashrrev_i32_e32 v7, 31, v6
	v_lshlrev_b64 v[6:7], 1, v[6:7]
	v_add_co_u32 v2, vcc_lo, v2, v6
	v_add_co_ci_u32_e64 v3, null, v3, v7, vcc_lo
	v_add_co_u32 v2, vcc_lo, v2, s18
	v_add_co_ci_u32_e64 v3, null, s19, v3, vcc_lo
	;; [unrolled: 2-line block ×3, first 2 shown]
	flat_load_dwordx4 v[6:9], v[2:3]
	s_waitcnt vmcnt(0) lgkmcnt(0)
	ds_write_b128 v12, v[6:9]
.LBB366_4:
	s_or_b32 exec_lo, exec_lo, s6
	v_mul_lo_u32 v2, v13, v0
	v_add_nc_u32_e32 v3, 1, v13
	s_waitcnt vmcnt(0)
	v_add_nc_u32_e32 v7, 31, v30
	v_xor_b32_e32 v1, s5, v1
	s_clause 0x1
	s_load_dword s7, s[8:9], 0x14
	s_load_dword s13, s[8:9], 0x8
	v_lshrrev_b32_e32 v71, 5, v64
	v_and_b32_e32 v55, 31, v64
	v_mov_b32_e32 v103, 0xff7fffff
	v_sub_nc_u32_e32 v2, s4, v2
	v_lshrrev_b32_e32 v26, 3, v64
	v_lshlrev_b32_e32 v27, 2, v55
	v_sub_nc_u32_e32 v6, v2, v0
	v_cmp_ge_u32_e32 vcc_lo, v2, v0
	v_cndmask_b32_e32 v3, v13, v3, vcc_lo
	v_cndmask_b32_e32 v2, v2, v6, vcc_lo
	v_add_nc_u32_e32 v6, 1, v3
	v_cmp_ge_u32_e32 vcc_lo, v2, v0
	v_mul_lo_u32 v0, v14, s10
	v_cndmask_b32_e32 v2, v3, v6, vcc_lo
	v_ashrrev_i32_e32 v3, 31, v7
	v_xor_b32_e32 v2, v2, v1
	v_lshrrev_b32_e32 v3, 27, v3
	v_sub_nc_u32_e32 v2, v2, v1
	v_add_nc_u32_e32 v3, v7, v3
	v_ashrrev_i32_e32 v1, 31, v0
	v_mul_lo_u32 v12, v2, v19
	v_ashrrev_i32_e32 v2, 5, v3
	v_lshlrev_b64 v[24:25], 2, v[0:1]
	v_cmp_ge_i32_e64 s4, v71, v2
	buffer_store_dword v2, off, s[0:3], s32 offset:192 ; 4-byte Folded Spill
	v_ashrrev_i32_e32 v28, 31, v12
	v_cmp_lt_i32_e32 vcc_lo, v71, v2
	s_waitcnt lgkmcnt(0)
	s_waitcnt_vscnt null, 0x0
	s_barrier
	buffer_gl0_inv
	s_mov_b32 s15, exec_lo
	s_and_b32 s5, s15, vcc_lo
	buffer_store_dword v64, off, s[0:3], s32 offset:748 ; 4-byte Folded Spill
	buffer_store_dword v71, off, s[0:3], s32 offset:752 ; 4-byte Folded Spill
	;; [unrolled: 1-line block ×3, first 2 shown]
	s_mov_b32 exec_lo, s5
	s_cbranch_execz .LBB366_968
; %bb.5:
	v_mov_b32_e32 v13, 0
	buffer_store_dword v30, off, s[0:3], s32 offset:248 ; 4-byte Folded Spill
	buffer_store_dword v22, off, s[0:3], s32 offset:784 ; 4-byte Folded Spill
	;; [unrolled: 1-line block ×5, first 2 shown]
	s_getpc_b64 s[8:9]
	s_add_u32 s8, s8, llvm.amdgcn.dynlds.offset.table@rel32@lo+4
	s_addc_u32 s9, s9, llvm.amdgcn.dynlds.offset.table@rel32@hi+12
	s_ashr_i32 s17, s16, 31
	v_lshl_or_b32 v30, v71, 5, v55
	ds_read_b128 v[0:3], v13
	ds_read_b128 v[6:9], v13 offset:16
	ds_read_b128 v[14:17], v13 offset:32
	;; [unrolled: 1-line block ×3, first 2 shown]
	s_lshl_b64 s[18:19], s[16:17], 2
	v_mov_b32_e32 v103, 0xff7fffff
	s_add_u32 s8, s8, s18
	s_addc_u32 s9, s9, s19
	v_mov_b32_e32 v65, v71
	s_mov_b32 s17, 0
	s_waitcnt lgkmcnt(3)
	v_lshlrev_b32_e32 v22, 16, v0
	v_and_b32_e32 v0, 0xffff0000, v0
	buffer_store_dword v22, off, s[0:3], s32 offset:252 ; 4-byte Folded Spill
	buffer_store_dword v0, off, s[0:3], s32 offset:256 ; 4-byte Folded Spill
	v_lshlrev_b32_e32 v0, 16, v1
	buffer_store_dword v0, off, s[0:3], s32 offset:260 ; 4-byte Folded Spill
	v_and_b32_e32 v0, 0xffff0000, v1
	buffer_store_dword v0, off, s[0:3], s32 offset:264 ; 4-byte Folded Spill
	v_lshlrev_b32_e32 v0, 16, v2
	buffer_store_dword v0, off, s[0:3], s32 offset:268 ; 4-byte Folded Spill
	v_and_b32_e32 v0, 0xffff0000, v2
	buffer_store_dword v0, off, s[0:3], s32 offset:272 ; 4-byte Folded Spill
	v_lshlrev_b32_e32 v0, 16, v3
	buffer_store_dword v0, off, s[0:3], s32 offset:276 ; 4-byte Folded Spill
	v_and_b32_e32 v0, 0xffff0000, v3
	buffer_store_dword v0, off, s[0:3], s32 offset:280 ; 4-byte Folded Spill
	s_waitcnt lgkmcnt(2)
	v_lshlrev_b32_e32 v0, 16, v6
	buffer_store_dword v0, off, s[0:3], s32 offset:284 ; 4-byte Folded Spill
	v_and_b32_e32 v0, 0xffff0000, v6
	buffer_store_dword v0, off, s[0:3], s32 offset:288 ; 4-byte Folded Spill
	v_lshlrev_b32_e32 v0, 16, v7
	buffer_store_dword v0, off, s[0:3], s32 offset:292 ; 4-byte Folded Spill
	v_and_b32_e32 v0, 0xffff0000, v7
	buffer_store_dword v0, off, s[0:3], s32 offset:296 ; 4-byte Folded Spill
	v_lshlrev_b32_e32 v0, 16, v8
	buffer_store_dword v0, off, s[0:3], s32 offset:300 ; 4-byte Folded Spill
	v_and_b32_e32 v0, 0xffff0000, v8
	buffer_store_dword v0, off, s[0:3], s32 offset:304 ; 4-byte Folded Spill
	v_lshlrev_b32_e32 v0, 16, v9
	buffer_store_dword v0, off, s[0:3], s32 offset:308 ; 4-byte Folded Spill
	v_and_b32_e32 v0, 0xffff0000, v9
	buffer_store_dword v0, off, s[0:3], s32 offset:312 ; 4-byte Folded Spill
	s_waitcnt lgkmcnt(1)
	v_lshlrev_b32_e32 v0, 16, v14
	buffer_store_dword v0, off, s[0:3], s32 offset:316 ; 4-byte Folded Spill
	v_and_b32_e32 v0, 0xffff0000, v14
	;; [unrolled: 17-line block ×3, first 2 shown]
	buffer_store_dword v0, off, s[0:3], s32 offset:356 ; 4-byte Folded Spill
	v_lshlrev_b32_e32 v0, 16, v19
	buffer_store_dword v0, off, s[0:3], s32 offset:364 ; 4-byte Folded Spill
	v_and_b32_e32 v0, 0xffff0000, v19
	buffer_store_dword v0, off, s[0:3], s32 offset:368 ; 4-byte Folded Spill
	v_lshlrev_b32_e32 v0, 16, v20
	buffer_store_dword v0, off, s[0:3], s32 offset:372 ; 4-byte Folded Spill
	v_and_b32_e32 v0, 0xffff0000, v20
	buffer_store_dword v0, off, s[0:3], s32 offset:376 ; 4-byte Folded Spill
	v_lshlrev_b32_e32 v0, 16, v21
	buffer_store_dword v0, off, s[0:3], s32 offset:380 ; 4-byte Folded Spill
	v_and_b32_e32 v0, 0xffff0000, v21
	buffer_store_dword v0, off, s[0:3], s32 offset:384 ; 4-byte Folded Spill
	ds_read_b128 v[0:3], v13 offset:64
	s_waitcnt lgkmcnt(0)
	v_lshlrev_b32_e32 v6, 16, v0
	v_and_b32_e32 v0, 0xffff0000, v0
	buffer_store_dword v6, off, s[0:3], s32 offset:388 ; 4-byte Folded Spill
	buffer_store_dword v0, off, s[0:3], s32 offset:392 ; 4-byte Folded Spill
	v_lshlrev_b32_e32 v0, 16, v1
	buffer_store_dword v0, off, s[0:3], s32 offset:396 ; 4-byte Folded Spill
	v_and_b32_e32 v0, 0xffff0000, v1
	buffer_store_dword v0, off, s[0:3], s32 offset:400 ; 4-byte Folded Spill
	v_lshlrev_b32_e32 v0, 16, v2
	buffer_store_dword v0, off, s[0:3], s32 offset:404 ; 4-byte Folded Spill
	v_and_b32_e32 v0, 0xffff0000, v2
	buffer_store_dword v0, off, s[0:3], s32 offset:408 ; 4-byte Folded Spill
	v_lshlrev_b32_e32 v0, 16, v3
	buffer_store_dword v0, off, s[0:3], s32 offset:412 ; 4-byte Folded Spill
	v_and_b32_e32 v0, 0xffff0000, v3
	buffer_store_dword v0, off, s[0:3], s32 offset:416 ; 4-byte Folded Spill
	ds_read_b128 v[0:3], v13 offset:80
	s_waitcnt lgkmcnt(0)
	v_lshlrev_b32_e32 v6, 16, v0
	v_and_b32_e32 v0, 0xffff0000, v0
	buffer_store_dword v6, off, s[0:3], s32 offset:420 ; 4-byte Folded Spill
	;; [unrolled: 18-line block ×11, first 2 shown]
	buffer_store_dword v0, off, s[0:3], s32 offset:712 ; 4-byte Folded Spill
	v_lshlrev_b32_e32 v0, 16, v1
	buffer_store_dword v0, off, s[0:3], s32 offset:716 ; 4-byte Folded Spill
	v_and_b32_e32 v0, 0xffff0000, v1
	buffer_store_dword v0, off, s[0:3], s32 offset:720 ; 4-byte Folded Spill
	v_lshlrev_b32_e32 v0, 16, v2
	buffer_store_dword v0, off, s[0:3], s32 offset:724 ; 4-byte Folded Spill
	v_and_b32_e32 v0, 0xffff0000, v2
	v_lshlrev_b32_e32 v2, 4, v55
	buffer_store_dword v0, off, s[0:3], s32 offset:728 ; 4-byte Folded Spill
	v_lshlrev_b32_e32 v0, 16, v3
	buffer_store_dword v0, off, s[0:3], s32 offset:732 ; 4-byte Folded Spill
	v_and_b32_e32 v0, 0xffff0000, v3
	buffer_store_dword v0, off, s[0:3], s32 offset:736 ; 4-byte Folded Spill
	buffer_store_dword v12, off, s[0:3], s32 offset:804 ; 4-byte Folded Spill
	v_add_co_u32 v0, vcc_lo, v4, v12
	v_add_co_ci_u32_e64 v1, null, v5, v28, vcc_lo
	buffer_store_dword v28, off, s[0:3], s32 offset:808 ; 4-byte Folded Spill
	v_add_co_u32 v0, vcc_lo, v0, v2
	v_add_co_ci_u32_e64 v1, null, 0, v1, vcc_lo
	buffer_store_dword v0, off, s[0:3], s32 offset:740 ; 4-byte Folded Spill
	buffer_store_dword v1, off, s[0:3], s32 offset:744 ; 4-byte Folded Spill
	;; [unrolled: 1-line block ×3, first 2 shown]
	v_and_b32_e32 v0, 0x7c, v26
	v_add_co_u32 v0, vcc_lo, v0, v24
	buffer_store_dword v24, off, s[0:3], s32 offset:792 ; 4-byte Folded Spill
	buffer_store_dword v25, off, s[0:3], s32 offset:796 ; 4-byte Folded Spill
	s_load_dword s5, s[8:9], 0x0
	s_mov_b32 s8, -1
	s_mov_b32 s9, 0xffffff
	buffer_store_dword v10, off, s[0:3], s32 offset:772 ; 4-byte Folded Spill
	buffer_store_dword v11, off, s[0:3], s32 offset:768 ; 4-byte Folded Spill
	;; [unrolled: 1-line block ×3, first 2 shown]
	v_add_co_ci_u32_e64 v1, null, 0, v25, vcc_lo
	v_add_co_u32 v2, vcc_lo, v10, v0
	buffer_load_dword v0, off, s[0:3], s32 offset:232 ; 4-byte Folded Reload
	v_add_co_ci_u32_e64 v3, null, v11, v1, vcc_lo
	s_waitcnt vmcnt(0)
	v_cmp_neq_f32_e32 vcc_lo, 0, v0
	v_lshl_or_b32 v0, v71, 7, v27
	s_waitcnt lgkmcnt(0)
	v_add_nc_u32_e32 v67, s5, v0
	s_branch .LBB366_10
.LBB366_6:                              ;   in Loop: Header=BB366_10 Depth=1
	s_or_b32 exec_lo, exec_lo, s20
	v_mov_b32_e32 v12, 24
	v_lshl_add_u32 v16, v16, 23, 0x3c000000
	v_lshlrev_b32_sdwa v12, v12, v17 dst_sel:DWORD dst_unused:UNUSED_PAD src0_sel:DWORD src1_sel:BYTE_3
	v_lshlrev_b32_e32 v17, 20, v24
	v_and_b32_e32 v12, 0x80000000, v12
	v_or3_b32 v86, v17, v12, v16
.LBB366_7:                              ;   in Loop: Header=BB366_10 Depth=1
	s_or_b32 exec_lo, exec_lo, s19
.LBB366_8:                              ;   in Loop: Header=BB366_10 Depth=1
	s_or_b32 exec_lo, exec_lo, s18
	v_mov_b32_e32 v67, v68
	v_mov_b32_e32 v30, v53
	;; [unrolled: 1-line block ×3, first 2 shown]
.LBB366_9:                              ;   in Loop: Header=BB366_10 Depth=1
	s_or_b32 exec_lo, exec_lo, s6
	v_mul_f32_e32 v12, v71, v98
	v_mul_f32_e32 v20, v71, v20
	v_mul_f32_e32 v27, v71, v27
	v_mul_f32_e32 v4, v71, v4
	v_mul_f32_e32 v51, v71, v51
	v_bfe_u32 v16, v12, 16, 1
	v_or_b32_e32 v17, 0x400000, v12
	v_cmp_u_f32_e64 s5, v12, v12
	v_mul_f32_e32 v50, v71, v50
	v_mul_f32_e32 v49, v71, v49
	v_add3_u32 v16, v16, v12, 0x7fff
	v_mul_f32_e32 v48, v71, v48
	v_mul_f32_e32 v39, v71, v39
	v_mul_f32_e32 v34, v71, v34
	v_mul_f32_e32 v37, v71, v37
	v_cndmask_b32_e64 v12, v16, v17, s5
	v_mul_f32_e32 v16, v71, v96
	v_mul_f32_e32 v22, v71, v22
	v_mul_f32_e32 v23, v71, v23
	v_mul_f32_e32 v18, v71, v18
	v_mul_f32_e32 v35, v71, v35
	v_bfe_u32 v17, v16, 16, 1
	v_or_b32_e32 v24, 0x400000, v16
	v_cmp_u_f32_e64 s5, v16, v16
	v_mul_f32_e32 v28, v71, v28
	v_mul_f32_e32 v3, v71, v3
	v_add3_u32 v17, v17, v16, 0x7fff
	v_mul_f32_e32 v10, v71, v10
	v_mul_f32_e32 v11, v71, v11
	v_mul_f32_e32 v6, v71, v6
	v_mul_f32_e32 v7, v71, v7
	v_cndmask_b32_e64 v16, v17, v24, s5
	;; [unrolled: 16-line block ×4, first 2 shown]
	v_bfe_u32 v25, v20, 16, 1
	v_or_b32_e32 v83, 0x400000, v20
	v_cmp_u_f32_e64 s5, v20, v20
	v_mul_f32_e32 v72, v71, v72
	v_mul_f32_e32 v63, v71, v63
	v_add3_u32 v25, v25, v20, 0x7fff
	v_mul_f32_e32 v20, v71, v21
	v_mul_f32_e32 v61, v71, v61
	;; [unrolled: 1-line block ×4, first 2 shown]
	v_cndmask_b32_e64 v25, v25, v83, s5
	v_bfe_u32 v21, v20, 16, 1
	v_or_b32_e32 v83, 0x400000, v20
	v_cmp_u_f32_e64 s5, v20, v20
	v_mul_f32_e32 v57, v71, v57
	v_mul_f32_e32 v56, v71, v56
	v_add3_u32 v21, v21, v20, 0x7fff
	v_mul_f32_e32 v47, v71, v47
	v_mul_f32_e32 v45, v71, v45
	;; [unrolled: 1-line block ×4, first 2 shown]
	v_cndmask_b32_e64 v20, v21, v83, s5
	v_mul_f32_e32 v21, v71, v97
	v_mul_f32_e32 v41, v71, v41
	;; [unrolled: 1-line block ×5, first 2 shown]
	v_bfe_u32 v83, v21, 16, 1
	v_or_b32_e32 v87, 0x400000, v21
	v_cmp_u_f32_e64 s5, v21, v21
	v_mul_f32_e32 v116, v71, v116
	v_mul_f32_e32 v115, v71, v115
	v_add3_u32 v83, v83, v21, 0x7fff
	v_mul_f32_e32 v114, v71, v114
	v_mul_f32_e32 v113, v71, v113
	;; [unrolled: 1-line block ×4, first 2 shown]
	v_cndmask_b32_e64 v21, v83, v87, s5
	v_bfe_u32 v83, v27, 16, 1
	v_or_b32_e32 v87, 0x400000, v27
	v_cmp_u_f32_e64 s5, v27, v27
	v_mul_f32_e32 v5, v71, v5
	v_add_nc_u32_e32 v65, 4, v65
	v_add3_u32 v83, v83, v27, 0x7fff
	v_cndmask_b32_e64 v27, v83, v87, s5
	v_bfe_u32 v83, v4, 16, 1
	v_or_b32_e32 v87, 0x400000, v4
	v_cmp_u_f32_e64 s5, v4, v4
	v_add3_u32 v83, v83, v4, 0x7fff
	v_cndmask_b32_e64 v4, v83, v87, s5
	v_bfe_u32 v83, v51, 16, 1
	v_or_b32_e32 v87, 0x400000, v51
	v_cmp_u_f32_e64 s5, v51, v51
	;; [unrolled: 5-line block ×6, first 2 shown]
	v_add3_u32 v83, v83, v39, 0x7fff
	v_bfe_u32 v39, v34, 16, 1
	v_cndmask_b32_e64 v83, v83, v87, s5
	v_add3_u32 v39, v39, v34, 0x7fff
	v_or_b32_e32 v87, 0x400000, v34
	v_cmp_u_f32_e64 s5, v34, v34
	v_cndmask_b32_e64 v34, v39, v87, s5
	v_mul_f32_e32 v39, v71, v80
	v_bfe_u32 v80, v39, 16, 1
	v_or_b32_e32 v87, 0x400000, v39
	v_cmp_u_f32_e64 s5, v39, v39
	v_add3_u32 v80, v80, v39, 0x7fff
	v_cndmask_b32_e64 v39, v80, v87, s5
	v_bfe_u32 v80, v37, 16, 1
	v_or_b32_e32 v87, 0x400000, v37
	v_cmp_u_f32_e64 s5, v37, v37
	v_add3_u32 v80, v80, v37, 0x7fff
	v_cndmask_b32_e64 v37, v80, v87, s5
	;; [unrolled: 5-line block ×6, first 2 shown]
	v_bfe_u32 v80, v28, 16, 1
	v_or_b32_e32 v87, 0x400000, v28
	v_cmp_u_f32_e64 s5, v28, v28
	v_add3_u32 v80, v80, v28, 0x7fff
	v_mul_f32_e32 v28, v71, v36
	v_cndmask_b32_e64 v80, v80, v87, s5
	v_bfe_u32 v36, v28, 16, 1
	v_or_b32_e32 v87, 0x400000, v28
	v_cmp_u_f32_e64 s5, v28, v28
	v_add3_u32 v36, v36, v28, 0x7fff
	v_cndmask_b32_e64 v28, v36, v87, s5
	v_mul_f32_e32 v36, v71, v38
	v_bfe_u32 v38, v36, 16, 1
	v_or_b32_e32 v87, 0x400000, v36
	v_cmp_u_f32_e64 s5, v36, v36
	v_add3_u32 v38, v38, v36, 0x7fff
	v_cndmask_b32_e64 v36, v38, v87, s5
	v_bfe_u32 v38, v3, 16, 1
	v_or_b32_e32 v87, 0x400000, v3
	v_cmp_u_f32_e64 s5, v3, v3
	v_add3_u32 v38, v38, v3, 0x7fff
	v_cndmask_b32_e64 v3, v38, v87, s5
	v_mul_f32_e32 v38, v71, v64
	v_bfe_u32 v64, v38, 16, 1
	v_or_b32_e32 v87, 0x400000, v38
	v_cmp_u_f32_e64 s5, v38, v38
	v_add3_u32 v64, v64, v38, 0x7fff
	v_cndmask_b32_e64 v38, v64, v87, s5
	v_bfe_u32 v64, v10, 16, 1
	v_or_b32_e32 v87, 0x400000, v10
	v_cmp_u_f32_e64 s5, v10, v10
	v_add3_u32 v64, v64, v10, 0x7fff
	v_cndmask_b32_e64 v10, v64, v87, s5
	;; [unrolled: 5-line block ×4, first 2 shown]
	v_bfe_u32 v64, v7, 16, 1
	v_or_b32_e32 v87, 0x400000, v7
	v_cmp_u_f32_e64 s5, v7, v7
	v_add3_u32 v64, v64, v7, 0x7fff
	v_bfe_u32 v7, v2, 16, 1
	v_cndmask_b32_e64 v64, v64, v87, s5
	v_add3_u32 v7, v7, v2, 0x7fff
	v_or_b32_e32 v87, 0x400000, v2
	v_cmp_u_f32_e64 s5, v2, v2
	v_cndmask_b32_e64 v2, v7, v87, s5
	v_mul_f32_e32 v7, v71, v19
	v_bfe_u32 v19, v7, 16, 1
	v_or_b32_e32 v87, 0x400000, v7
	v_cmp_u_f32_e64 s5, v7, v7
	v_add3_u32 v19, v19, v7, 0x7fff
	v_cndmask_b32_e64 v7, v19, v87, s5
	v_mul_f32_e32 v19, v71, v29
	v_bfe_u32 v29, v19, 16, 1
	v_or_b32_e32 v87, 0x400000, v19
	v_cmp_u_f32_e64 s5, v19, v19
	v_add3_u32 v29, v29, v19, 0x7fff
	v_cndmask_b32_e64 v19, v29, v87, s5
	v_bfe_u32 v29, v0, 16, 1
	v_or_b32_e32 v87, 0x400000, v0
	v_cmp_u_f32_e64 s5, v0, v0
	v_add3_u32 v29, v29, v0, 0x7fff
	v_cndmask_b32_e64 v0, v29, v87, s5
	v_bfe_u32 v29, v1, 16, 1
	v_or_b32_e32 v87, 0x400000, v1
	v_cmp_u_f32_e64 s5, v1, v1
	v_and_b32_e32 v0, 0xffff0000, v0
	v_add3_u32 v29, v29, v1, 0x7fff
	v_cndmask_b32_e64 v1, v29, v87, s5
	v_mul_f32_e32 v29, v71, v33
	v_and_b32_e32 v1, 0xffff0000, v1
	v_bfe_u32 v33, v29, 16, 1
	v_or_b32_e32 v87, 0x400000, v29
	v_cmp_u_f32_e64 s5, v29, v29
	v_add3_u32 v33, v33, v29, 0x7fff
	v_cndmask_b32_e64 v29, v33, v87, s5
	v_mul_f32_e32 v33, v71, v127
	v_bfe_u32 v87, v33, 16, 1
	v_or_b32_e32 v96, 0x400000, v33
	v_cmp_u_f32_e64 s5, v33, v33
	v_add3_u32 v87, v87, v33, 0x7fff
	v_cndmask_b32_e64 v33, v87, v96, s5
	v_mul_f32_e32 v87, v71, v126
	v_bfe_u32 v96, v87, 16, 1
	v_or_b32_e32 v97, 0x400000, v87
	v_cmp_u_f32_e64 s5, v87, v87
	v_add3_u32 v96, v96, v87, 0x7fff
	v_cndmask_b32_e64 v87, v96, v97, s5
	v_bfe_u32 v96, v31, 16, 1
	v_or_b32_e32 v97, 0x400000, v31
	v_cmp_u_f32_e64 s5, v31, v31
	v_add3_u32 v96, v96, v31, 0x7fff
	v_cndmask_b32_e64 v31, v96, v97, s5
	;; [unrolled: 5-line block ×3, first 2 shown]
	v_mul_f32_e32 v96, v71, v124
	v_bfe_u32 v97, v96, 16, 1
	v_or_b32_e32 v98, 0x400000, v96
	v_cmp_u_f32_e64 s5, v96, v96
	v_add3_u32 v97, v97, v96, 0x7fff
	v_cndmask_b32_e64 v96, v97, v98, s5
	v_mul_f32_e32 v97, v71, v122
	v_bfe_u32 v98, v97, 16, 1
	v_or_b32_e32 v122, 0x400000, v97
	v_cmp_u_f32_e64 s5, v97, v97
	v_add3_u32 v98, v98, v97, 0x7fff
	v_mul_f32_e32 v97, v71, v121
	v_cndmask_b32_e64 v122, v98, v122, s5
	v_bfe_u32 v98, v97, 16, 1
	v_or_b32_e32 v121, 0x400000, v97
	v_cmp_u_f32_e64 s5, v97, v97
	v_add3_u32 v98, v98, v97, 0x7fff
	v_cndmask_b32_e64 v97, v98, v121, s5
	v_mul_f32_e32 v98, v71, v120
	v_bfe_u32 v120, v98, 16, 1
	v_or_b32_e32 v121, 0x400000, v98
	v_cmp_u_f32_e64 s5, v98, v98
	v_add3_u32 v120, v120, v98, 0x7fff
	v_mul_f32_e32 v98, v71, v111
	v_cndmask_b32_e64 v120, v120, v121, s5
	v_bfe_u32 v111, v98, 16, 1
	v_or_b32_e32 v121, 0x400000, v98
	v_cmp_u_f32_e64 s5, v98, v98
	v_add3_u32 v111, v111, v98, 0x7fff
	v_mul_f32_e32 v98, v71, v110
	v_cndmask_b32_e64 v111, v111, v121, s5
	v_bfe_u32 v110, v98, 16, 1
	v_or_b32_e32 v121, 0x400000, v98
	v_cmp_u_f32_e64 s5, v98, v98
	v_add3_u32 v110, v110, v98, 0x7fff
	v_mul_f32_e32 v98, v71, v123
	v_cndmask_b32_e64 v124, v110, v121, s5
	v_bfe_u32 v110, v98, 16, 1
	v_or_b32_e32 v121, 0x400000, v98
	v_cmp_u_f32_e64 s5, v98, v98
	v_add3_u32 v110, v110, v98, 0x7fff
	v_mul_f32_e32 v98, v71, v125
	v_cndmask_b32_e64 v110, v110, v121, s5
	v_bfe_u32 v121, v98, 16, 1
	v_or_b32_e32 v123, 0x400000, v98
	v_cmp_u_f32_e64 s5, v98, v98
	v_add3_u32 v121, v121, v98, 0x7fff
	v_mul_f32_e32 v98, v71, v108
	v_cndmask_b32_e64 v121, v121, v123, s5
	v_bfe_u32 v108, v98, 16, 1
	v_or_b32_e32 v123, 0x400000, v98
	v_cmp_u_f32_e64 s5, v98, v98
	v_add3_u32 v108, v108, v98, 0x7fff
	v_cndmask_b32_e64 v98, v108, v123, s5
	v_bfe_u32 v108, v106, 16, 1
	v_or_b32_e32 v123, 0x400000, v106
	v_cmp_u_f32_e64 s5, v106, v106
	v_add3_u32 v108, v108, v106, 0x7fff
	v_cndmask_b32_e64 v106, v108, v123, s5
	v_bfe_u32 v108, v105, 16, 1
	v_or_b32_e32 v123, 0x400000, v105
	v_cmp_u_f32_e64 s5, v105, v105
	v_add3_u32 v108, v108, v105, 0x7fff
	v_cndmask_b32_e64 v105, v108, v123, s5
	v_bfe_u32 v108, v104, 16, 1
	v_or_b32_e32 v123, 0x400000, v104
	v_cmp_u_f32_e64 s5, v104, v104
	v_add3_u32 v108, v108, v104, 0x7fff
	v_cndmask_b32_e64 v104, v108, v123, s5
	v_bfe_u32 v108, v95, 16, 1
	v_or_b32_e32 v123, 0x400000, v95
	v_cmp_u_f32_e64 s5, v95, v95
	v_add3_u32 v108, v108, v95, 0x7fff
	v_cndmask_b32_e64 v95, v108, v123, s5
	v_bfe_u32 v108, v94, 16, 1
	v_or_b32_e32 v123, 0x400000, v94
	v_cmp_u_f32_e64 s5, v94, v94
	v_add3_u32 v108, v108, v94, 0x7fff
	v_mul_f32_e32 v94, v71, v107
	v_cndmask_b32_e64 v108, v108, v123, s5
	v_bfe_u32 v107, v94, 16, 1
	v_or_b32_e32 v123, 0x400000, v94
	v_cmp_u_f32_e64 s5, v94, v94
	v_add3_u32 v107, v107, v94, 0x7fff
	v_cndmask_b32_e64 v94, v107, v123, s5
	v_mul_f32_e32 v107, v71, v109
	v_bfe_u32 v109, v107, 16, 1
	v_or_b32_e32 v123, 0x400000, v107
	v_cmp_u_f32_e64 s5, v107, v107
	v_add3_u32 v109, v109, v107, 0x7fff
	v_cndmask_b32_e64 v107, v109, v123, s5
	v_bfe_u32 v109, v92, 16, 1
	v_or_b32_e32 v123, 0x400000, v92
	v_cmp_u_f32_e64 s5, v92, v92
	v_add3_u32 v109, v109, v92, 0x7fff
	v_cndmask_b32_e64 v92, v109, v123, s5
	v_bfe_u32 v109, v90, 16, 1
	v_or_b32_e32 v123, 0x400000, v90
	v_cmp_u_f32_e64 s5, v90, v90
	v_add3_u32 v109, v109, v90, 0x7fff
	v_cndmask_b32_e64 v90, v109, v123, s5
	v_bfe_u32 v109, v89, 16, 1
	v_or_b32_e32 v123, 0x400000, v89
	v_cmp_u_f32_e64 s5, v89, v89
	v_add3_u32 v109, v109, v89, 0x7fff
	v_cndmask_b32_e64 v89, v109, v123, s5
	v_bfe_u32 v109, v88, 16, 1
	v_or_b32_e32 v123, 0x400000, v88
	v_cmp_u_f32_e64 s5, v88, v88
	v_add3_u32 v109, v109, v88, 0x7fff
	v_cndmask_b32_e64 v88, v109, v123, s5
	v_bfe_u32 v109, v79, 16, 1
	v_or_b32_e32 v123, 0x400000, v79
	v_cmp_u_f32_e64 s5, v79, v79
	v_add3_u32 v109, v109, v79, 0x7fff
	v_cndmask_b32_e64 v79, v109, v123, s5
	v_bfe_u32 v109, v78, 16, 1
	v_or_b32_e32 v123, 0x400000, v78
	v_cmp_u_f32_e64 s5, v78, v78
	v_add3_u32 v109, v109, v78, 0x7fff
	v_mul_f32_e32 v78, v71, v91
	v_cndmask_b32_e64 v109, v109, v123, s5
	v_bfe_u32 v91, v78, 16, 1
	v_or_b32_e32 v123, 0x400000, v78
	v_cmp_u_f32_e64 s5, v78, v78
	v_add3_u32 v91, v91, v78, 0x7fff
	v_cndmask_b32_e64 v78, v91, v123, s5
	v_mul_f32_e32 v91, v71, v93
	v_bfe_u32 v93, v91, 16, 1
	v_or_b32_e32 v123, 0x400000, v91
	v_cmp_u_f32_e64 s5, v91, v91
	v_add3_u32 v93, v93, v91, 0x7fff
	v_cndmask_b32_e64 v91, v93, v123, s5
	v_bfe_u32 v93, v76, 16, 1
	v_or_b32_e32 v123, 0x400000, v76
	v_cmp_u_f32_e64 s5, v76, v76
	v_add3_u32 v93, v93, v76, 0x7fff
	v_cndmask_b32_e64 v76, v93, v123, s5
	v_bfe_u32 v93, v74, 16, 1
	v_or_b32_e32 v123, 0x400000, v74
	v_cmp_u_f32_e64 s5, v74, v74
	v_add3_u32 v93, v93, v74, 0x7fff
	v_cndmask_b32_e64 v74, v93, v123, s5
	v_bfe_u32 v93, v32, 16, 1
	v_or_b32_e32 v123, 0x400000, v32
	v_cmp_u_f32_e64 s5, v32, v32
	v_add3_u32 v93, v93, v32, 0x7fff
	v_cndmask_b32_e64 v32, v93, v123, s5
	v_bfe_u32 v93, v73, 16, 1
	v_or_b32_e32 v123, 0x400000, v73
	v_cmp_u_f32_e64 s5, v73, v73
	v_add3_u32 v93, v93, v73, 0x7fff
	v_cndmask_b32_e64 v73, v93, v123, s5
	v_bfe_u32 v93, v72, 16, 1
	v_or_b32_e32 v123, 0x400000, v72
	v_cmp_u_f32_e64 s5, v72, v72
	v_add3_u32 v93, v93, v72, 0x7fff
	v_cndmask_b32_e64 v72, v93, v123, s5
	v_bfe_u32 v93, v63, 16, 1
	v_or_b32_e32 v123, 0x400000, v63
	v_cmp_u_f32_e64 s5, v63, v63
	v_add3_u32 v93, v93, v63, 0x7fff
	v_mul_f32_e32 v63, v71, v75
	v_cndmask_b32_e64 v93, v93, v123, s5
	v_bfe_u32 v75, v63, 16, 1
	v_or_b32_e32 v123, 0x400000, v63
	v_cmp_u_f32_e64 s5, v63, v63
	v_add3_u32 v75, v75, v63, 0x7fff
	v_cndmask_b32_e64 v63, v75, v123, s5
	v_mul_f32_e32 v75, v71, v77
	v_bfe_u32 v77, v75, 16, 1
	v_or_b32_e32 v123, 0x400000, v75
	v_cmp_u_f32_e64 s5, v75, v75
	v_add3_u32 v77, v77, v75, 0x7fff
	v_cndmask_b32_e64 v75, v77, v123, s5
	v_bfe_u32 v77, v61, 16, 1
	v_or_b32_e32 v123, 0x400000, v61
	v_cmp_u_f32_e64 s5, v61, v61
	v_add3_u32 v77, v77, v61, 0x7fff
	v_cndmask_b32_e64 v61, v77, v123, s5
	v_bfe_u32 v77, v59, 16, 1
	v_or_b32_e32 v123, 0x400000, v59
	v_cmp_u_f32_e64 s5, v59, v59
	v_add3_u32 v77, v77, v59, 0x7fff
	v_cndmask_b32_e64 v59, v77, v123, s5
	v_bfe_u32 v77, v58, 16, 1
	v_or_b32_e32 v123, 0x400000, v58
	v_cmp_u_f32_e64 s5, v58, v58
	v_add3_u32 v77, v77, v58, 0x7fff
	v_cndmask_b32_e64 v58, v77, v123, s5
	v_bfe_u32 v77, v57, 16, 1
	v_or_b32_e32 v123, 0x400000, v57
	v_cmp_u_f32_e64 s5, v57, v57
	v_add3_u32 v77, v77, v57, 0x7fff
	v_cndmask_b32_e64 v57, v77, v123, s5
	v_bfe_u32 v77, v56, 16, 1
	v_or_b32_e32 v123, 0x400000, v56
	v_cmp_u_f32_e64 s5, v56, v56
	v_add3_u32 v77, v77, v56, 0x7fff
	v_cndmask_b32_e64 v56, v77, v123, s5
	v_bfe_u32 v77, v47, 16, 1
	v_or_b32_e32 v123, 0x400000, v47
	v_cmp_u_f32_e64 s5, v47, v47
	v_add3_u32 v77, v77, v47, 0x7fff
	v_mul_f32_e32 v47, v71, v60
	v_cndmask_b32_e64 v77, v77, v123, s5
	v_bfe_u32 v60, v47, 16, 1
	v_or_b32_e32 v123, 0x400000, v47
	v_cmp_u_f32_e64 s5, v47, v47
	v_add3_u32 v60, v60, v47, 0x7fff
	v_cndmask_b32_e64 v47, v60, v123, s5
	v_mul_f32_e32 v60, v71, v62
	v_bfe_u32 v62, v60, 16, 1
	v_or_b32_e32 v123, 0x400000, v60
	v_cmp_u_f32_e64 s5, v60, v60
	v_add3_u32 v62, v62, v60, 0x7fff
	v_cndmask_b32_e64 v60, v62, v123, s5
	v_bfe_u32 v62, v45, 16, 1
	v_or_b32_e32 v123, 0x400000, v45
	v_cmp_u_f32_e64 s5, v45, v45
	v_add3_u32 v62, v62, v45, 0x7fff
	v_cndmask_b32_e64 v45, v62, v123, s5
	v_bfe_u32 v62, v43, 16, 1
	v_or_b32_e32 v123, 0x400000, v43
	v_cmp_u_f32_e64 s5, v43, v43
	v_add3_u32 v62, v62, v43, 0x7fff
	v_cndmask_b32_e64 v43, v62, v123, s5
	v_bfe_u32 v62, v42, 16, 1
	v_or_b32_e32 v123, 0x400000, v42
	v_cmp_u_f32_e64 s5, v42, v42
	v_add3_u32 v62, v62, v42, 0x7fff
	v_cndmask_b32_e64 v42, v62, v123, s5
	v_bfe_u32 v62, v41, 16, 1
	v_or_b32_e32 v123, 0x400000, v41
	v_cmp_u_f32_e64 s5, v41, v41
	v_add3_u32 v62, v62, v41, 0x7fff
	v_cndmask_b32_e64 v41, v62, v123, s5
	v_bfe_u32 v62, v40, 16, 1
	v_or_b32_e32 v123, 0x400000, v40
	v_cmp_u_f32_e64 s5, v40, v40
	v_add3_u32 v62, v62, v40, 0x7fff
	v_cndmask_b32_e64 v40, v62, v123, s5
	v_bfe_u32 v62, v119, 16, 1
	v_or_b32_e32 v123, 0x400000, v119
	v_cmp_u_f32_e64 s5, v119, v119
	v_add3_u32 v62, v62, v119, 0x7fff
	v_mul_f32_e32 v119, v71, v44
	v_cndmask_b32_e64 v62, v62, v123, s5
	v_bfe_u32 v44, v119, 16, 1
	v_or_b32_e32 v123, 0x400000, v119
	v_cmp_u_f32_e64 s5, v119, v119
	v_add3_u32 v44, v44, v119, 0x7fff
	v_cndmask_b32_e64 v119, v44, v123, s5
	v_mul_f32_e32 v44, v71, v46
	v_bfe_u32 v46, v44, 16, 1
	v_or_b32_e32 v123, 0x400000, v44
	v_cmp_u_f32_e64 s5, v44, v44
	v_add3_u32 v46, v46, v44, 0x7fff
	v_cndmask_b32_e64 v44, v46, v123, s5
	v_bfe_u32 v46, v117, 16, 1
	v_or_b32_e32 v123, 0x400000, v117
	v_cmp_u_f32_e64 s5, v117, v117
	v_add3_u32 v46, v46, v117, 0x7fff
	v_cndmask_b32_e64 v117, v46, v123, s5
	v_bfe_u32 v46, v116, 16, 1
	v_or_b32_e32 v123, 0x400000, v116
	v_cmp_u_f32_e64 s5, v116, v116
	v_add3_u32 v46, v46, v116, 0x7fff
	v_cndmask_b32_e64 v116, v46, v123, s5
	;; [unrolled: 5-line block ×4, first 2 shown]
	v_bfe_u32 v46, v113, 16, 1
	v_or_b32_e32 v123, 0x400000, v113
	v_cmp_u_f32_e64 s5, v113, v113
	v_add3_u32 v46, v46, v113, 0x7fff
	v_bfe_u32 v113, v112, 16, 1
	v_cndmask_b32_e64 v46, v46, v123, s5
	v_add3_u32 v113, v113, v112, 0x7fff
	v_or_b32_e32 v123, 0x400000, v112
	v_cmp_u_f32_e64 s5, v112, v112
	v_bfe_u32 v112, v9, 16, 1
	v_cndmask_b32_e64 v123, v113, v123, s5
	v_add3_u32 v112, v112, v9, 0x7fff
	v_or_b32_e32 v113, 0x400000, v9
	v_cmp_u_f32_e64 s5, v9, v9
	v_mul_f32_e32 v9, v71, v118
	v_cndmask_b32_e64 v113, v112, v113, s5
	v_bfe_u32 v112, v9, 16, 1
	v_or_b32_e32 v118, 0x400000, v9
	v_cmp_u_f32_e64 s5, v9, v9
	v_add3_u32 v112, v112, v9, 0x7fff
	v_mul_f32_e32 v9, v71, v102
	v_cndmask_b32_e64 v118, v112, v118, s5
	v_bfe_u32 v102, v9, 16, 1
	v_or_b32_e32 v112, 0x400000, v9
	v_cmp_u_f32_e64 s5, v9, v9
	v_add3_u32 v102, v102, v9, 0x7fff
	;; [unrolled: 6-line block ×4, first 2 shown]
	buffer_load_dword v9, off, s[0:3], s32 offset:212 ; 4-byte Folded Reload
	v_cndmask_b32_e64 v100, v99, v100, s5
	s_waitcnt vmcnt(0)
	v_mul_f32_e32 v9, v71, v9
	v_bfe_u32 v99, v9, 16, 1
	v_or_b32_e32 v125, 0x400000, v9
	v_cmp_u_f32_e64 s5, v9, v9
	v_add3_u32 v99, v99, v9, 0x7fff
	buffer_load_dword v9, off, s[0:3], s32 offset:208 ; 4-byte Folded Reload
	v_cndmask_b32_e64 v125, v99, v125, s5
	s_waitcnt vmcnt(0)
	v_mul_f32_e32 v9, v71, v9
	v_bfe_u32 v99, v9, 16, 1
	v_or_b32_e32 v126, 0x400000, v9
	v_cmp_u_f32_e64 s5, v9, v9
	v_add3_u32 v99, v99, v9, 0x7fff
	;; [unrolled: 8-line block ×3, first 2 shown]
	v_mul_f32_e32 v9, v71, v101
	v_cndmask_b32_e64 v127, v99, v127, s5
	v_bfe_u32 v99, v9, 16, 1
	v_or_b32_e32 v101, 0x400000, v9
	v_cmp_u_f32_e64 s5, v9, v9
	v_add3_u32 v99, v99, v9, 0x7fff
	buffer_load_dword v9, off, s[0:3], s32 offset:216 ; 4-byte Folded Reload
	v_cndmask_b32_e64 v103, v99, v101, s5
	s_waitcnt vmcnt(0)
	v_mul_f32_e32 v9, v71, v9
	v_bfe_u32 v99, v9, 16, 1
	v_or_b32_e32 v101, 0x400000, v9
	v_cmp_u_f32_e64 s5, v9, v9
	v_add3_u32 v99, v99, v9, 0x7fff
	buffer_load_dword v9, off, s[0:3], s32 offset:196 ; 4-byte Folded Reload
	v_cndmask_b32_e64 v66, v99, v101, s5
	s_waitcnt vmcnt(0)
	v_mul_f32_e32 v9, v71, v9
	v_bfe_u32 v99, v9, 16, 1
	v_or_b32_e32 v101, 0x400000, v9
	v_cmp_u_f32_e64 s5, v9, v9
	v_add3_u32 v99, v99, v9, 0x7fff
	v_mul_f32_e32 v9, v71, v54
	v_cndmask_b32_e64 v68, v99, v101, s5
	v_bfe_u32 v99, v9, 16, 1
	v_or_b32_e32 v101, 0x400000, v9
	v_cmp_u_f32_e64 s5, v9, v9
	v_add3_u32 v99, v99, v9, 0x7fff
	v_mul_f32_e32 v9, v71, v69
	v_cndmask_b32_e64 v101, v99, v101, s5
	;; [unrolled: 6-line block ×6, first 2 shown]
	v_bfe_u32 v99, v9, 16, 1
	v_or_b32_e32 v55, 0x400000, v9
	v_cmp_u_f32_e64 s5, v9, v9
	v_and_b32_e32 v53, 0xffff0000, v53
	v_add3_u32 v99, v99, v9, 0x7fff
	buffer_load_dword v9, off, s[0:3], s32 offset:200 ; 4-byte Folded Reload
	v_cndmask_b32_e64 v55, v99, v55, s5
	s_waitcnt vmcnt(0)
	v_mul_f32_e32 v9, v71, v9
	v_bfe_u32 v99, v9, 16, 1
	v_or_b32_e32 v14, 0x400000, v9
	v_cmp_u_f32_e64 s5, v9, v9
	v_add3_u32 v99, v99, v9, 0x7fff
	v_mul_f32_e32 v9, v71, v85
	v_cndmask_b32_e64 v14, v99, v14, s5
	v_bfe_u32 v15, v9, 16, 1
	v_or_b32_e32 v85, 0x400000, v9
	v_cmp_u_f32_e64 s5, v9, v9
	v_and_b32_e32 v14, 0xffff0000, v14
	v_add3_u32 v15, v15, v9, 0x7fff
	v_cndmask_b32_e64 v9, v15, v85, s5
	v_mul_f32_e32 v15, v71, v82
	v_bfe_u32 v82, v15, 16, 1
	v_or_b32_e32 v85, 0x400000, v15
	v_cmp_u_f32_e64 s5, v15, v15
	v_add3_u32 v82, v82, v15, 0x7fff
	v_mul_f32_e32 v15, v71, v81
	v_cndmask_b32_e64 v82, v82, v85, s5
	v_bfe_u32 v81, v15, 16, 1
	v_or_b32_e32 v85, 0x400000, v15
	v_cmp_u_f32_e64 s5, v15, v15
	v_add3_u32 v81, v81, v15, 0x7fff
	v_mul_f32_e32 v15, v71, v26
	v_cndmask_b32_e64 v81, v81, v85, s5
	v_bfe_u32 v26, v15, 16, 1
	v_or_b32_e32 v85, 0x400000, v15
	v_cmp_u_f32_e64 s5, v15, v15
	v_add3_u32 v26, v26, v15, 0x7fff
	v_bfe_u32 v15, v5, 16, 1
	v_cndmask_b32_e64 v26, v26, v85, s5
	v_add3_u32 v15, v15, v5, 0x7fff
	v_or_b32_e32 v85, 0x400000, v5
	v_cmp_u_f32_e64 s5, v5, v5
	v_mul_f32_e32 v5, v71, v52
	v_cndmask_b32_e64 v85, v15, v85, s5
	v_bfe_u32 v15, v5, 16, 1
	v_or_b32_e32 v52, 0x400000, v5
	v_cmp_u_f32_e64 s5, v5, v5
	v_add3_u32 v15, v15, v5, 0x7fff
	v_mul_f32_e32 v5, v71, v84
	v_cndmask_b32_e64 v99, v15, v52, s5
	v_bfe_u32 v52, v5, 16, 1
	v_mul_f32_e32 v15, v71, v86
	v_or_b32_e32 v71, 0x400000, v5
	v_cmp_u_f32_e64 s5, v5, v5
	v_add3_u32 v52, v52, v5, 0x7fff
	v_cndmask_b32_e64 v5, v52, v71, s5
	v_bfe_u32 v52, v15, 16, 1
	v_or_b32_e32 v71, 0x400000, v15
	v_cmp_u_f32_e64 s5, v15, v15
	v_add3_u32 v52, v52, v15, 0x7fff
	v_and_b32_e32 v15, 0xffff0000, v127
	v_cndmask_b32_e64 v52, v52, v71, s5
	buffer_load_dword v71, off, s[0:3], s32 offset:284 ; 4-byte Folded Reload
	s_waitcnt vmcnt(0)
	v_mul_f32_e32 v71, v71, v15
	buffer_load_dword v15, off, s[0:3], s32 offset:252 ; 4-byte Folded Reload
	s_waitcnt vmcnt(0)
	v_fmac_f32_e32 v71, v15, v53
	v_and_b32_e32 v53, 0xffff0000, v70
	buffer_load_dword v70, off, s[0:3], s32 offset:288 ; 4-byte Folded Reload
	v_and_b32_e32 v15, 0xffff0000, v126
	s_waitcnt vmcnt(0)
	v_mul_f32_e32 v84, v70, v15
	buffer_load_dword v15, off, s[0:3], s32 offset:256 ; 4-byte Folded Reload
	s_waitcnt vmcnt(0)
	v_fmac_f32_e32 v84, v15, v53
	v_and_b32_e32 v53, 0xffff0000, v54
	buffer_load_dword v54, off, s[0:3], s32 offset:292 ; 4-byte Folded Reload
	v_and_b32_e32 v15, 0xffff0000, v125
	s_waitcnt vmcnt(0)
	v_mul_f32_e32 v86, v54, v15
	s_clause 0x1
	buffer_load_dword v15, off, s[0:3], s32 offset:260
	buffer_load_dword v54, off, s[0:3], s32 offset:296
	s_waitcnt vmcnt(1)
	v_fmac_f32_e32 v86, v15, v53
	v_and_b32_e32 v15, 0xffff0000, v100
	v_and_b32_e32 v53, 0xffff0000, v69
	s_waitcnt vmcnt(0)
	v_mul_f32_e32 v100, v54, v15
	s_clause 0x1
	buffer_load_dword v15, off, s[0:3], s32 offset:264
	buffer_load_dword v54, off, s[0:3], s32 offset:300
	s_waitcnt vmcnt(1)
	v_fmac_f32_e32 v100, v15, v53
	v_and_b32_e32 v15, 0xffff0000, v112
	;; [unrolled: 9-line block ×4, first 2 shown]
	v_and_b32_e32 v53, 0xffff0000, v55
	s_waitcnt vmcnt(0)
	v_mul_f32_e32 v103, v54, v15
	buffer_load_dword v15, off, s[0:3], s32 offset:276 ; 4-byte Folded Reload
	s_waitcnt vmcnt(0)
	v_fmac_f32_e32 v103, v15, v53
	buffer_load_dword v53, off, s[0:3], s32 offset:312 ; 4-byte Folded Reload
	v_and_b32_e32 v15, 0xffff0000, v66
	s_waitcnt vmcnt(0)
	v_mul_f32_e32 v112, v53, v15
	buffer_load_dword v15, off, s[0:3], s32 offset:280 ; 4-byte Folded Reload
	s_waitcnt vmcnt(0)
	v_fmac_f32_e32 v112, v15, v14
	buffer_load_dword v15, off, s[0:3], s32 offset:316 ; 4-byte Folded Reload
	v_and_b32_e32 v14, 0xffff0000, v123
	s_waitcnt vmcnt(0)
	v_fmac_f32_e32 v71, v15, v14
	buffer_load_dword v15, off, s[0:3], s32 offset:320 ; 4-byte Folded Reload
	v_and_b32_e32 v14, 0xffff0000, v46
	;; [unrolled: 4-line block ×59, first 2 shown]
	s_waitcnt vmcnt(0)
	v_fmac_f32_e32 v86, v15, v14
	buffer_load_dword v14, off, s[0:3], s32 offset:560 ; 4-byte Folded Reload
	s_waitcnt vmcnt(0)
	v_fmac_f32_e32 v100, v14, v1
	buffer_load_dword v1, off, s[0:3], s32 offset:564 ; 4-byte Folded Reload
	;; [unrolled: 3-line block ×3, first 2 shown]
	v_and_b32_e32 v0, 0xffff0000, v19
	s_waitcnt vmcnt(0)
	v_fmac_f32_e32 v102, v1, v0
	buffer_load_dword v1, off, s[0:3], s32 offset:572 ; 4-byte Folded Reload
	v_and_b32_e32 v0, 0xffff0000, v31
	s_waitcnt vmcnt(0)
	v_fmac_f32_e32 v103, v1, v0
	buffer_load_dword v1, off, s[0:3], s32 offset:576 ; 4-byte Folded Reload
	;; [unrolled: 4-line block ×8, first 2 shown]
	v_and_b32_e32 v0, 0xffff0000, v3
	buffer_load_dword v3, off, s[0:3], s32 offset:248 ; 4-byte Folded Reload
	s_waitcnt vmcnt(1)
	v_fmac_f32_e32 v102, v1, v0
	buffer_load_dword v1, off, s[0:3], s32 offset:604 ; 4-byte Folded Reload
	v_and_b32_e32 v0, 0xffff0000, v2
	buffer_load_dword v2, off, s[0:3], s32 offset:720 ; 4-byte Folded Reload
	s_waitcnt vmcnt(1)
	v_fmac_f32_e32 v103, v1, v0
	buffer_load_dword v1, off, s[0:3], s32 offset:608 ; 4-byte Folded Reload
	v_and_b32_e32 v0, 0xffff0000, v7
	s_waitcnt vmcnt(0)
	v_fmac_f32_e32 v112, v1, v0
	buffer_load_dword v1, off, s[0:3], s32 offset:612 ; 4-byte Folded Reload
	v_and_b32_e32 v0, 0xffff0000, v80
	;; [unrolled: 4-line block ×28, first 2 shown]
	s_waitcnt vmcnt(0)
	v_fmac_f32_e32 v86, v1, v0
	v_and_b32_e32 v1, 0xffff0000, v81
	v_add_f32_e32 v0, v71, v84
	v_fmac_f32_e32 v100, v2, v1
	buffer_load_dword v2, off, s[0:3], s32 offset:724 ; 4-byte Folded Reload
	v_and_b32_e32 v1, 0xffff0000, v82
	v_add_f32_e32 v0, v0, v86
	v_add_f32_e32 v0, v100, v0
	s_waitcnt vmcnt(0)
	v_fmac_f32_e32 v101, v2, v1
	buffer_load_dword v2, off, s[0:3], s32 offset:728 ; 4-byte Folded Reload
	v_and_b32_e32 v1, 0xffff0000, v9
	v_add_f32_e32 v0, v101, v0
	s_waitcnt vmcnt(0)
	v_fmac_f32_e32 v102, v2, v1
	buffer_load_dword v2, off, s[0:3], s32 offset:732 ; 4-byte Folded Reload
	v_and_b32_e32 v1, 0xffff0000, v5
	;; [unrolled: 5-line block ×3, first 2 shown]
	v_add_f32_e32 v0, v103, v0
	buffer_load_dword v103, off, s[0:3], s32 offset:220 ; 4-byte Folded Reload
	s_waitcnt vmcnt(1)
	v_fmac_f32_e32 v112, v2, v1
	buffer_load_dword v2, off, s[0:3], s32 offset:232 ; 4-byte Folded Reload
	v_sub_nc_u32_e32 v1, 1, v3
	v_cmp_lt_i32_e64 s5, v30, v3
	v_add_f32_e32 v0, v112, v0
	v_add_nc_u32_e32 v1, v1, v30
	v_add_nc_u32_e32 v30, 0x80, v30
	v_cvt_f32_i32_e32 v1, v1
	s_waitcnt vmcnt(0)
	v_mul_f32_e32 v1, v2, v1
	buffer_load_dword v2, off, s[0:3], s32 offset:244 ; 4-byte Folded Reload
	v_cndmask_b32_e32 v1, 0, v1, vcc_lo
	s_waitcnt vmcnt(0)
	v_fmac_f32_e32 v1, v2, v0
	v_max_f32_e32 v0, v103, v103
	v_max_f32_e32 v0, v0, v1
	v_cndmask_b32_e64 v1, 0, v1, s5
	v_cndmask_b32_e64 v103, v103, v0, s5
	ds_write_b32 v67, v1
	s_clause 0x2
	buffer_load_dword v0, off, s[0:3], s32 offset:192
	buffer_load_dword v2, off, s[0:3], s32 offset:224
	;; [unrolled: 1-line block ×3, first 2 shown]
	v_add_nc_u32_e32 v67, 0x200, v67
	s_waitcnt vmcnt(2)
	v_cmp_ge_i32_e64 s5, v65, v0
	s_waitcnt vmcnt(1)
	v_add_co_u32 v2, s6, v2, 16
	s_waitcnt vmcnt(0)
	v_add_co_ci_u32_e64 v3, null, 0, v3, s6
	s_or_b32 s17, s5, s17
	s_andn2_b32 exec_lo, exec_lo, s17
	s_cbranch_execz .LBB366_967
.LBB366_10:                             ; =>This Inner Loop Header: Depth=1
	buffer_store_dword v2, off, s[0:3], s32 offset:224 ; 4-byte Folded Spill
	buffer_store_dword v3, off, s[0:3], s32 offset:228 ; 4-byte Folded Spill
	v_mov_b32_e32 v66, v65
	v_mov_b32_e32 v53, v30
	;; [unrolled: 1-line block ×4, first 2 shown]
	flat_load_dword v0, v[2:3]
	s_clause 0x2
	buffer_load_dword v1, off, s[0:3], s32 offset:352
	buffer_load_dword v2, off, s[0:3], s32 offset:740
	;; [unrolled: 1-line block ×3, first 2 shown]
	s_waitcnt vmcnt(0) lgkmcnt(0)
	v_mad_i64_i32 v[16:17], null, v0, v1, v[2:3]
	flat_load_dwordx2 v[24:25], v[16:17]
	s_clause 0x1
	buffer_load_dword v0, off, s[0:3], s32 offset:236
	buffer_load_dword v1, off, s[0:3], s32 offset:240
	s_waitcnt vmcnt(2) lgkmcnt(0)
	v_cmp_ne_u16_sdwa s5, v24, v13 src0_sel:BYTE_0 src1_sel:DWORD
	s_waitcnt vmcnt(0)
	flat_load_dword v71, v[0:1]
	s_and_saveexec_b32 s6, s5
	s_cbranch_execz .LBB366_18
; %bb.11:                               ;   in Loop: Header=BB366_10 Depth=1
	v_mov_b32_e32 v0, 0x80
	v_bfrev_b32_e32 v55, 1
	v_cmp_ne_u16_sdwa s5, v24, v0 src0_sel:BYTE_0 src1_sel:DWORD
	s_and_saveexec_b32 s18, s5
	s_cbranch_execz .LBB366_17
; %bb.12:                               ;   in Loop: Header=BB366_10 Depth=1
	v_and_b32_e32 v1, 0x7f, v24
	v_mov_b32_e32 v55, 0x7f800001
	s_mov_b32 s19, exec_lo
	v_cmpx_ne_u32_e32 0x7f, v1
	s_cbranch_execz .LBB366_16
; %bb.13:                               ;   in Loop: Header=BB366_10 Depth=1
	v_mov_b32_e32 v27, v25
	v_lshrrev_b32_e32 v0, 3, v1
	v_mov_b32_e32 v26, v24
	s_mov_b32 s20, exec_lo
	v_cmpx_gt_u32_e32 8, v1
; %bb.14:                               ;   in Loop: Header=BB366_10 Depth=1
	v_and_b32_e32 v0, 7, v24
	v_ffbh_u32_e32 v0, v0
	v_min_u32_e32 v0, 32, v0
	v_subrev_nc_u32_e32 v1, 28, v0
	v_sub_nc_u32_e32 v0, 29, v0
	v_lshlrev_b64 v[26:27], v1, v[24:25]
; %bb.15:                               ;   in Loop: Header=BB366_10 Depth=1
	s_or_b32 exec_lo, exec_lo, s20
	v_lshlrev_b32_e32 v1, 20, v26
	v_lshlrev_b32_e32 v2, 24, v24
	v_lshl_add_u32 v0, v0, 23, 0x3c000000
	v_and_b32_e32 v1, 0x700000, v1
	v_and_b32_e32 v2, 0x80000000, v2
	v_or3_b32 v55, v1, v2, v0
.LBB366_16:                             ;   in Loop: Header=BB366_10 Depth=1
	s_or_b32 exec_lo, exec_lo, s19
.LBB366_17:                             ;   in Loop: Header=BB366_10 Depth=1
	s_or_b32 exec_lo, exec_lo, s18
.LBB366_18:                             ;   in Loop: Header=BB366_10 Depth=1
	s_or_b32 exec_lo, exec_lo, s6
	v_cmp_ne_u16_sdwa s5, v24, v13 src0_sel:BYTE_1 src1_sel:DWORD
	v_mov_b32_e32 v30, 0
	v_mov_b32_e32 v70, 0
	s_and_saveexec_b32 s6, s5
	s_cbranch_execz .LBB366_26
; %bb.19:                               ;   in Loop: Header=BB366_10 Depth=1
	v_mov_b32_e32 v0, 0x80
	v_bfrev_b32_e32 v70, 1
	v_cmp_ne_u16_sdwa s5, v24, v0 src0_sel:BYTE_1 src1_sel:DWORD
	s_and_saveexec_b32 s18, s5
	s_cbranch_execz .LBB366_25
; %bb.20:                               ;   in Loop: Header=BB366_10 Depth=1
	v_mov_b32_e32 v0, 0xffff
	v_mov_b32_e32 v70, 0x7f800001
	s_mov_b32 s19, exec_lo
	v_and_b32_sdwa v0, v0, v24 dst_sel:DWORD dst_unused:UNUSED_PAD src0_sel:DWORD src1_sel:BYTE_1
	v_and_b32_e32 v1, 0x7f, v0
	v_cmpx_ne_u32_e32 0x7f, v1
	s_cbranch_execz .LBB366_24
; %bb.21:                               ;   in Loop: Header=BB366_10 Depth=1
	v_and_b32_e32 v12, 7, v0
	v_mov_b32_e32 v27, v13
	v_lshrrev_b32_e32 v0, 3, v1
	s_mov_b32 s20, exec_lo
	v_mov_b32_e32 v26, v12
	v_cmpx_gt_u32_e32 8, v1
; %bb.22:                               ;   in Loop: Header=BB366_10 Depth=1
	v_ffbh_u32_e32 v0, v12
	v_min_u32_e32 v0, 32, v0
	v_subrev_nc_u32_e32 v1, 28, v0
	v_sub_nc_u32_e32 v0, 29, v0
	v_lshlrev_b64 v[1:2], v1, v[12:13]
	v_and_b32_e32 v26, 7, v1
; %bb.23:                               ;   in Loop: Header=BB366_10 Depth=1
	s_or_b32 exec_lo, exec_lo, s20
	v_lshlrev_b32_e32 v1, 16, v24
	v_lshlrev_b32_e32 v2, 20, v26
	v_lshl_add_u32 v0, v0, 23, 0x3c000000
	v_and_b32_e32 v1, 0x80000000, v1
	v_or3_b32 v70, v2, v1, v0
.LBB366_24:                             ;   in Loop: Header=BB366_10 Depth=1
	s_or_b32 exec_lo, exec_lo, s19
.LBB366_25:                             ;   in Loop: Header=BB366_10 Depth=1
	s_or_b32 exec_lo, exec_lo, s18
.LBB366_26:                             ;   in Loop: Header=BB366_10 Depth=1
	s_or_b32 exec_lo, exec_lo, s6
	v_mov_b32_e32 v0, 0xff
	s_mov_b32 s6, exec_lo
	v_and_b32_sdwa v0, v24, v0 dst_sel:DWORD dst_unused:UNUSED_PAD src0_sel:WORD_1 src1_sel:DWORD
	v_cmpx_ne_u16_e32 0, v0
	s_cbranch_execz .LBB366_34
; %bb.27:                               ;   in Loop: Header=BB366_10 Depth=1
	v_bfrev_b32_e32 v30, 1
	s_mov_b32 s18, exec_lo
	v_cmpx_ne_u16_e32 0x80, v0
	s_cbranch_execz .LBB366_33
; %bb.28:                               ;   in Loop: Header=BB366_10 Depth=1
	v_bfe_u32 v1, v24, 16, 7
	v_mov_b32_e32 v30, 0x7f800001
	s_mov_b32 s19, exec_lo
	v_cmpx_ne_u32_e32 0x7f, v1
	s_cbranch_execz .LBB366_32
; %bb.29:                               ;   in Loop: Header=BB366_10 Depth=1
	v_mov_b32_e32 v0, 7
	s_mov_b32 s20, exec_lo
	v_and_b32_sdwa v12, v24, v0 dst_sel:DWORD dst_unused:UNUSED_PAD src0_sel:WORD_1 src1_sel:DWORD
	v_mov_b32_e32 v27, v13
	v_lshrrev_b32_e32 v0, 3, v1
	v_mov_b32_e32 v26, v12
	v_cmpx_gt_u32_e32 8, v1
; %bb.30:                               ;   in Loop: Header=BB366_10 Depth=1
	v_ffbh_u32_e32 v0, v12
	v_min_u32_e32 v0, 32, v0
	v_subrev_nc_u32_e32 v1, 28, v0
	v_sub_nc_u32_e32 v0, 29, v0
	v_lshlrev_b64 v[1:2], v1, v[12:13]
	v_and_b32_e32 v26, 7, v1
; %bb.31:                               ;   in Loop: Header=BB366_10 Depth=1
	s_or_b32 exec_lo, exec_lo, s20
	v_mov_b32_e32 v1, 24
	v_lshlrev_b32_e32 v2, 20, v26
	v_lshl_add_u32 v0, v0, 23, 0x3c000000
	v_lshlrev_b32_sdwa v1, v1, v24 dst_sel:DWORD dst_unused:UNUSED_PAD src0_sel:DWORD src1_sel:WORD_1
	v_and_b32_e32 v1, 0x80000000, v1
	v_or3_b32 v30, v2, v1, v0
.LBB366_32:                             ;   in Loop: Header=BB366_10 Depth=1
	s_or_b32 exec_lo, exec_lo, s19
.LBB366_33:                             ;   in Loop: Header=BB366_10 Depth=1
	s_or_b32 exec_lo, exec_lo, s18
.LBB366_34:                             ;   in Loop: Header=BB366_10 Depth=1
	s_or_b32 exec_lo, exec_lo, s6
	v_mov_b32_e32 v54, 0
	v_mov_b32_e32 v69, 0
	s_mov_b32 s6, exec_lo
	v_cmpx_lt_u32_e32 0xffffff, v24
	s_cbranch_execz .LBB366_42
; %bb.35:                               ;   in Loop: Header=BB366_10 Depth=1
	v_mov_b32_e32 v0, 0x80
	v_bfrev_b32_e32 v69, 1
	v_cmp_ne_u32_sdwa s5, v24, v0 src0_sel:BYTE_3 src1_sel:DWORD
	s_and_saveexec_b32 s18, s5
	s_cbranch_execz .LBB366_41
; %bb.36:                               ;   in Loop: Header=BB366_10 Depth=1
	v_bfe_u32 v1, v24, 24, 7
	v_mov_b32_e32 v69, 0x7f800001
	s_mov_b32 s19, exec_lo
	v_cmpx_ne_u32_e32 0x7f, v1
	s_cbranch_execz .LBB366_40
; %bb.37:                               ;   in Loop: Header=BB366_10 Depth=1
	v_mov_b32_e32 v0, 7
	s_mov_b32 s20, exec_lo
	v_and_b32_sdwa v12, v24, v0 dst_sel:DWORD dst_unused:UNUSED_PAD src0_sel:BYTE_3 src1_sel:DWORD
	v_mov_b32_e32 v27, v13
	v_lshrrev_b32_e32 v0, 3, v1
	v_mov_b32_e32 v26, v12
	v_cmpx_gt_u32_e32 8, v1
; %bb.38:                               ;   in Loop: Header=BB366_10 Depth=1
	v_ffbh_u32_e32 v0, v12
	v_min_u32_e32 v0, 32, v0
	v_subrev_nc_u32_e32 v1, 28, v0
	v_sub_nc_u32_e32 v0, 29, v0
	v_lshlrev_b64 v[1:2], v1, v[12:13]
	v_and_b32_e32 v26, 7, v1
; %bb.39:                               ;   in Loop: Header=BB366_10 Depth=1
	s_or_b32 exec_lo, exec_lo, s20
	v_mov_b32_e32 v1, 24
	v_lshlrev_b32_e32 v2, 20, v26
	v_lshl_add_u32 v0, v0, 23, 0x3c000000
	v_lshlrev_b32_sdwa v1, v1, v24 dst_sel:DWORD dst_unused:UNUSED_PAD src0_sel:DWORD src1_sel:BYTE_3
	v_and_b32_e32 v1, 0x80000000, v1
	v_or3_b32 v69, v2, v1, v0
.LBB366_40:                             ;   in Loop: Header=BB366_10 Depth=1
	s_or_b32 exec_lo, exec_lo, s19
.LBB366_41:                             ;   in Loop: Header=BB366_10 Depth=1
	s_or_b32 exec_lo, exec_lo, s18
.LBB366_42:                             ;   in Loop: Header=BB366_10 Depth=1
	s_or_b32 exec_lo, exec_lo, s6
	v_mov_b32_e32 v12, v25
	v_cmp_ne_u16_sdwa s5, v25, v13 src0_sel:BYTE_0 src1_sel:DWORD
	s_and_saveexec_b32 s6, s5
	s_cbranch_execz .LBB366_50
; %bb.43:                               ;   in Loop: Header=BB366_10 Depth=1
	v_mov_b32_e32 v0, 0x80
	v_bfrev_b32_e32 v54, 1
	v_cmp_ne_u16_sdwa s5, v25, v0 src0_sel:BYTE_0 src1_sel:DWORD
	s_and_saveexec_b32 s18, s5
	s_cbranch_execz .LBB366_49
; %bb.44:                               ;   in Loop: Header=BB366_10 Depth=1
	v_and_b32_e32 v1, 0x7f, v25
	v_mov_b32_e32 v54, 0x7f800001
	s_mov_b32 s19, exec_lo
	v_cmpx_ne_u32_e32 0x7f, v1
	s_cbranch_execz .LBB366_48
; %bb.45:                               ;   in Loop: Header=BB366_10 Depth=1
	v_mov_b32_e32 v27, v13
	v_lshrrev_b32_e32 v0, 3, v1
	v_mov_b32_e32 v26, v12
	s_mov_b32 s20, exec_lo
	v_cmpx_gt_u32_e32 8, v1
; %bb.46:                               ;   in Loop: Header=BB366_10 Depth=1
	v_and_b32_e32 v0, 7, v25
	v_ffbh_u32_e32 v0, v0
	v_min_u32_e32 v0, 32, v0
	v_subrev_nc_u32_e32 v1, 28, v0
	v_sub_nc_u32_e32 v0, 29, v0
	v_lshlrev_b64 v[26:27], v1, v[12:13]
; %bb.47:                               ;   in Loop: Header=BB366_10 Depth=1
	s_or_b32 exec_lo, exec_lo, s20
	v_lshlrev_b32_e32 v1, 20, v26
	v_lshlrev_b32_e32 v2, 24, v12
	v_lshl_add_u32 v0, v0, 23, 0x3c000000
	v_and_b32_e32 v1, 0x700000, v1
	v_and_b32_e32 v2, 0x80000000, v2
	v_or3_b32 v54, v1, v2, v0
.LBB366_48:                             ;   in Loop: Header=BB366_10 Depth=1
	s_or_b32 exec_lo, exec_lo, s19
.LBB366_49:                             ;   in Loop: Header=BB366_10 Depth=1
	s_or_b32 exec_lo, exec_lo, s18
.LBB366_50:                             ;   in Loop: Header=BB366_10 Depth=1
	s_or_b32 exec_lo, exec_lo, s6
	v_cmp_ne_u16_sdwa s5, v12, v13 src0_sel:BYTE_1 src1_sel:DWORD
	v_mov_b32_e32 v14, 0
	v_mov_b32_e32 v0, 0
	buffer_store_dword v0, off, s[0:3], s32 offset:196 ; 4-byte Folded Spill
	s_and_saveexec_b32 s6, s5
	s_cbranch_execz .LBB366_58
; %bb.51:                               ;   in Loop: Header=BB366_10 Depth=1
	v_mov_b32_e32 v0, 0x80
	v_cmp_ne_u16_sdwa s5, v12, v0 src0_sel:BYTE_1 src1_sel:DWORD
	v_bfrev_b32_e32 v0, 1
	buffer_store_dword v0, off, s[0:3], s32 offset:196 ; 4-byte Folded Spill
	s_and_saveexec_b32 s18, s5
	s_cbranch_execz .LBB366_57
; %bb.52:                               ;   in Loop: Header=BB366_10 Depth=1
	v_mov_b32_e32 v0, 0xffff
	v_mov_b32_e32 v2, 0x7f800001
	s_mov_b32 s19, exec_lo
	v_and_b32_sdwa v0, v0, v12 dst_sel:DWORD dst_unused:UNUSED_PAD src0_sel:DWORD src1_sel:BYTE_1
	buffer_store_dword v2, off, s[0:3], s32 offset:196 ; 4-byte Folded Spill
	v_and_b32_e32 v1, 0x7f, v0
	v_cmpx_ne_u32_e32 0x7f, v1
	s_cbranch_execz .LBB366_56
; %bb.53:                               ;   in Loop: Header=BB366_10 Depth=1
	v_and_b32_e32 v26, 7, v0
	v_mov_b32_e32 v27, v13
	v_lshrrev_b32_e32 v0, 3, v1
	s_mov_b32 s20, exec_lo
	v_cmpx_gt_u32_e32 8, v1
; %bb.54:                               ;   in Loop: Header=BB366_10 Depth=1
	v_ffbh_u32_e32 v0, v26
	v_min_u32_e32 v0, 32, v0
	v_subrev_nc_u32_e32 v1, 28, v0
	v_sub_nc_u32_e32 v0, 29, v0
	v_lshlrev_b64 v[1:2], v1, v[26:27]
	v_and_b32_e32 v26, 7, v1
; %bb.55:                               ;   in Loop: Header=BB366_10 Depth=1
	s_or_b32 exec_lo, exec_lo, s20
	v_lshlrev_b32_e32 v1, 16, v12
	v_lshlrev_b32_e32 v2, 20, v26
	v_lshl_add_u32 v0, v0, 23, 0x3c000000
	v_and_b32_e32 v1, 0x80000000, v1
	v_or3_b32 v0, v2, v1, v0
	buffer_store_dword v0, off, s[0:3], s32 offset:196 ; 4-byte Folded Spill
.LBB366_56:                             ;   in Loop: Header=BB366_10 Depth=1
	s_or_b32 exec_lo, exec_lo, s19
.LBB366_57:                             ;   in Loop: Header=BB366_10 Depth=1
	s_or_b32 exec_lo, exec_lo, s18
.LBB366_58:                             ;   in Loop: Header=BB366_10 Depth=1
	s_or_b32 exec_lo, exec_lo, s6
	v_mov_b32_e32 v0, 0xff
	s_mov_b32 s6, exec_lo
	v_and_b32_sdwa v0, v25, v0 dst_sel:DWORD dst_unused:UNUSED_PAD src0_sel:WORD_1 src1_sel:DWORD
	v_cmpx_ne_u16_e32 0, v0
	s_cbranch_execz .LBB366_66
; %bb.59:                               ;   in Loop: Header=BB366_10 Depth=1
	v_bfrev_b32_e32 v14, 1
	s_mov_b32 s18, exec_lo
	v_cmpx_ne_u16_e32 0x80, v0
	s_cbranch_execz .LBB366_65
; %bb.60:                               ;   in Loop: Header=BB366_10 Depth=1
	v_bfe_u32 v1, v25, 16, 7
	v_mov_b32_e32 v14, 0x7f800001
	s_mov_b32 s19, exec_lo
	v_cmpx_ne_u32_e32 0x7f, v1
	s_cbranch_execz .LBB366_64
; %bb.61:                               ;   in Loop: Header=BB366_10 Depth=1
	v_mov_b32_e32 v0, 7
	s_mov_b32 s20, exec_lo
	v_and_b32_sdwa v12, v25, v0 dst_sel:DWORD dst_unused:UNUSED_PAD src0_sel:WORD_1 src1_sel:DWORD
	v_mov_b32_e32 v27, v13
	v_lshrrev_b32_e32 v0, 3, v1
	v_mov_b32_e32 v26, v12
	v_cmpx_gt_u32_e32 8, v1
; %bb.62:                               ;   in Loop: Header=BB366_10 Depth=1
	v_ffbh_u32_e32 v0, v12
	v_min_u32_e32 v0, 32, v0
	v_subrev_nc_u32_e32 v1, 28, v0
	v_sub_nc_u32_e32 v0, 29, v0
	v_lshlrev_b64 v[1:2], v1, v[12:13]
	v_and_b32_e32 v26, 7, v1
; %bb.63:                               ;   in Loop: Header=BB366_10 Depth=1
	s_or_b32 exec_lo, exec_lo, s20
	v_mov_b32_e32 v1, 24
	v_lshlrev_b32_e32 v2, 20, v26
	v_lshl_add_u32 v0, v0, 23, 0x3c000000
	v_lshlrev_b32_sdwa v1, v1, v25 dst_sel:DWORD dst_unused:UNUSED_PAD src0_sel:DWORD src1_sel:WORD_1
	v_and_b32_e32 v1, 0x80000000, v1
	v_or3_b32 v14, v2, v1, v0
.LBB366_64:                             ;   in Loop: Header=BB366_10 Depth=1
	s_or_b32 exec_lo, exec_lo, s19
.LBB366_65:                             ;   in Loop: Header=BB366_10 Depth=1
	s_or_b32 exec_lo, exec_lo, s18
.LBB366_66:                             ;   in Loop: Header=BB366_10 Depth=1
	s_or_b32 exec_lo, exec_lo, s6
	v_mov_b32_e32 v0, 0
	s_mov_b32 s6, exec_lo
	buffer_store_dword v0, off, s[0:3], s32 offset:204 ; 4-byte Folded Spill
	v_mov_b32_e32 v0, 0
	buffer_store_dword v0, off, s[0:3], s32 offset:200 ; 4-byte Folded Spill
	v_cmpx_lt_u64_e64 s[8:9], v[24:25]
	s_cbranch_execz .LBB366_74
; %bb.67:                               ;   in Loop: Header=BB366_10 Depth=1
	v_mov_b32_e32 v0, 0x80
	v_cmp_ne_u32_sdwa s5, v25, v0 src0_sel:BYTE_3 src1_sel:DWORD
	v_bfrev_b32_e32 v0, 1
	buffer_store_dword v0, off, s[0:3], s32 offset:200 ; 4-byte Folded Spill
	s_and_saveexec_b32 s18, s5
	s_cbranch_execz .LBB366_73
; %bb.68:                               ;   in Loop: Header=BB366_10 Depth=1
	v_bfe_u32 v1, v25, 24, 7
	v_mov_b32_e32 v0, 0x7f800001
	s_mov_b32 s19, exec_lo
	buffer_store_dword v0, off, s[0:3], s32 offset:200 ; 4-byte Folded Spill
	v_cmpx_ne_u32_e32 0x7f, v1
	s_cbranch_execz .LBB366_72
; %bb.69:                               ;   in Loop: Header=BB366_10 Depth=1
	v_mov_b32_e32 v0, 7
	s_mov_b32 s20, exec_lo
	v_and_b32_sdwa v12, v25, v0 dst_sel:DWORD dst_unused:UNUSED_PAD src0_sel:BYTE_3 src1_sel:DWORD
	v_mov_b32_e32 v27, v13
	v_lshrrev_b32_e32 v0, 3, v1
	v_mov_b32_e32 v26, v12
	v_cmpx_gt_u32_e32 8, v1
; %bb.70:                               ;   in Loop: Header=BB366_10 Depth=1
	v_ffbh_u32_e32 v0, v12
	v_min_u32_e32 v0, 32, v0
	v_subrev_nc_u32_e32 v1, 28, v0
	v_sub_nc_u32_e32 v0, 29, v0
	v_lshlrev_b64 v[1:2], v1, v[12:13]
	v_and_b32_e32 v26, 7, v1
; %bb.71:                               ;   in Loop: Header=BB366_10 Depth=1
	s_or_b32 exec_lo, exec_lo, s20
	v_mov_b32_e32 v1, 24
	v_lshlrev_b32_e32 v2, 20, v26
	v_lshl_add_u32 v0, v0, 23, 0x3c000000
	v_lshlrev_b32_sdwa v1, v1, v25 dst_sel:DWORD dst_unused:UNUSED_PAD src0_sel:DWORD src1_sel:BYTE_3
	v_and_b32_e32 v1, 0x80000000, v1
	v_or3_b32 v0, v2, v1, v0
	buffer_store_dword v0, off, s[0:3], s32 offset:200 ; 4-byte Folded Spill
.LBB366_72:                             ;   in Loop: Header=BB366_10 Depth=1
	s_or_b32 exec_lo, exec_lo, s19
.LBB366_73:                             ;   in Loop: Header=BB366_10 Depth=1
	s_or_b32 exec_lo, exec_lo, s18
.LBB366_74:                             ;   in Loop: Header=BB366_10 Depth=1
	s_or_b32 exec_lo, exec_lo, s6
	flat_load_dwordx2 v[24:25], v[16:17] offset:8
	s_waitcnt vmcnt(0) lgkmcnt(0)
	v_cmp_ne_u16_sdwa s5, v24, v13 src0_sel:BYTE_0 src1_sel:DWORD
	s_and_saveexec_b32 s6, s5
	s_cbranch_execz .LBB366_82
; %bb.75:                               ;   in Loop: Header=BB366_10 Depth=1
	v_mov_b32_e32 v0, 0x80
	v_cmp_ne_u16_sdwa s5, v24, v0 src0_sel:BYTE_0 src1_sel:DWORD
	v_bfrev_b32_e32 v0, 1
	buffer_store_dword v0, off, s[0:3], s32 offset:204 ; 4-byte Folded Spill
	s_and_saveexec_b32 s18, s5
	s_cbranch_execz .LBB366_81
; %bb.76:                               ;   in Loop: Header=BB366_10 Depth=1
	v_and_b32_e32 v1, 0x7f, v24
	v_mov_b32_e32 v0, 0x7f800001
	s_mov_b32 s19, exec_lo
	buffer_store_dword v0, off, s[0:3], s32 offset:204 ; 4-byte Folded Spill
	v_cmpx_ne_u32_e32 0x7f, v1
	s_cbranch_execz .LBB366_80
; %bb.77:                               ;   in Loop: Header=BB366_10 Depth=1
	v_mov_b32_e32 v27, v25
	v_lshrrev_b32_e32 v0, 3, v1
	v_mov_b32_e32 v26, v24
	s_mov_b32 s20, exec_lo
	v_cmpx_gt_u32_e32 8, v1
; %bb.78:                               ;   in Loop: Header=BB366_10 Depth=1
	v_and_b32_e32 v0, 7, v24
	v_ffbh_u32_e32 v0, v0
	v_min_u32_e32 v0, 32, v0
	v_subrev_nc_u32_e32 v1, 28, v0
	v_sub_nc_u32_e32 v0, 29, v0
	v_lshlrev_b64 v[26:27], v1, v[24:25]
; %bb.79:                               ;   in Loop: Header=BB366_10 Depth=1
	s_or_b32 exec_lo, exec_lo, s20
	v_lshlrev_b32_e32 v1, 20, v26
	v_lshlrev_b32_e32 v2, 24, v24
	v_lshl_add_u32 v0, v0, 23, 0x3c000000
	v_and_b32_e32 v1, 0x700000, v1
	v_and_b32_e32 v2, 0x80000000, v2
	v_or3_b32 v0, v1, v2, v0
	buffer_store_dword v0, off, s[0:3], s32 offset:204 ; 4-byte Folded Spill
.LBB366_80:                             ;   in Loop: Header=BB366_10 Depth=1
	s_or_b32 exec_lo, exec_lo, s19
.LBB366_81:                             ;   in Loop: Header=BB366_10 Depth=1
	s_or_b32 exec_lo, exec_lo, s18
.LBB366_82:                             ;   in Loop: Header=BB366_10 Depth=1
	s_or_b32 exec_lo, exec_lo, s6
	v_mov_b32_e32 v0, 0
	v_cmp_ne_u16_sdwa s5, v24, v13 src0_sel:BYTE_1 src1_sel:DWORD
	buffer_store_dword v0, off, s[0:3], s32 offset:212 ; 4-byte Folded Spill
	v_mov_b32_e32 v0, 0
	buffer_store_dword v0, off, s[0:3], s32 offset:208 ; 4-byte Folded Spill
	s_and_saveexec_b32 s6, s5
	s_cbranch_execz .LBB366_90
; %bb.83:                               ;   in Loop: Header=BB366_10 Depth=1
	v_mov_b32_e32 v0, 0x80
	v_cmp_ne_u16_sdwa s5, v24, v0 src0_sel:BYTE_1 src1_sel:DWORD
	v_bfrev_b32_e32 v0, 1
	buffer_store_dword v0, off, s[0:3], s32 offset:208 ; 4-byte Folded Spill
	s_and_saveexec_b32 s18, s5
	s_cbranch_execz .LBB366_89
; %bb.84:                               ;   in Loop: Header=BB366_10 Depth=1
	v_mov_b32_e32 v0, 0xffff
	v_mov_b32_e32 v2, 0x7f800001
	s_mov_b32 s19, exec_lo
	v_and_b32_sdwa v0, v0, v24 dst_sel:DWORD dst_unused:UNUSED_PAD src0_sel:DWORD src1_sel:BYTE_1
	buffer_store_dword v2, off, s[0:3], s32 offset:208 ; 4-byte Folded Spill
	v_and_b32_e32 v1, 0x7f, v0
	v_cmpx_ne_u32_e32 0x7f, v1
	s_cbranch_execz .LBB366_88
; %bb.85:                               ;   in Loop: Header=BB366_10 Depth=1
	v_and_b32_e32 v12, 7, v0
	v_mov_b32_e32 v27, v13
	v_lshrrev_b32_e32 v0, 3, v1
	s_mov_b32 s20, exec_lo
	v_mov_b32_e32 v26, v12
	v_cmpx_gt_u32_e32 8, v1
; %bb.86:                               ;   in Loop: Header=BB366_10 Depth=1
	v_ffbh_u32_e32 v0, v12
	v_min_u32_e32 v0, 32, v0
	v_subrev_nc_u32_e32 v1, 28, v0
	v_sub_nc_u32_e32 v0, 29, v0
	v_lshlrev_b64 v[1:2], v1, v[12:13]
	v_and_b32_e32 v26, 7, v1
; %bb.87:                               ;   in Loop: Header=BB366_10 Depth=1
	s_or_b32 exec_lo, exec_lo, s20
	v_lshlrev_b32_e32 v1, 16, v24
	v_lshlrev_b32_e32 v2, 20, v26
	v_lshl_add_u32 v0, v0, 23, 0x3c000000
	v_and_b32_e32 v1, 0x80000000, v1
	v_or3_b32 v0, v2, v1, v0
	buffer_store_dword v0, off, s[0:3], s32 offset:208 ; 4-byte Folded Spill
.LBB366_88:                             ;   in Loop: Header=BB366_10 Depth=1
	s_or_b32 exec_lo, exec_lo, s19
.LBB366_89:                             ;   in Loop: Header=BB366_10 Depth=1
	s_or_b32 exec_lo, exec_lo, s18
.LBB366_90:                             ;   in Loop: Header=BB366_10 Depth=1
	s_or_b32 exec_lo, exec_lo, s6
	v_mov_b32_e32 v0, 0xff
	s_mov_b32 s6, exec_lo
	v_and_b32_sdwa v0, v24, v0 dst_sel:DWORD dst_unused:UNUSED_PAD src0_sel:WORD_1 src1_sel:DWORD
	v_cmpx_ne_u16_e32 0, v0
	s_cbranch_execz .LBB366_98
; %bb.91:                               ;   in Loop: Header=BB366_10 Depth=1
	v_cmp_ne_u16_e64 s5, 0x80, v0
	v_bfrev_b32_e32 v0, 1
	buffer_store_dword v0, off, s[0:3], s32 offset:212 ; 4-byte Folded Spill
	s_and_saveexec_b32 s18, s5
	s_cbranch_execz .LBB366_97
; %bb.92:                               ;   in Loop: Header=BB366_10 Depth=1
	v_bfe_u32 v1, v24, 16, 7
	v_mov_b32_e32 v0, 0x7f800001
	s_mov_b32 s19, exec_lo
	buffer_store_dword v0, off, s[0:3], s32 offset:212 ; 4-byte Folded Spill
	v_cmpx_ne_u32_e32 0x7f, v1
	s_cbranch_execz .LBB366_96
; %bb.93:                               ;   in Loop: Header=BB366_10 Depth=1
	v_mov_b32_e32 v0, 7
	s_mov_b32 s20, exec_lo
	v_and_b32_sdwa v12, v24, v0 dst_sel:DWORD dst_unused:UNUSED_PAD src0_sel:WORD_1 src1_sel:DWORD
	v_mov_b32_e32 v27, v13
	v_lshrrev_b32_e32 v0, 3, v1
	v_mov_b32_e32 v26, v12
	v_cmpx_gt_u32_e32 8, v1
; %bb.94:                               ;   in Loop: Header=BB366_10 Depth=1
	v_ffbh_u32_e32 v0, v12
	v_min_u32_e32 v0, 32, v0
	v_subrev_nc_u32_e32 v1, 28, v0
	v_sub_nc_u32_e32 v0, 29, v0
	v_lshlrev_b64 v[1:2], v1, v[12:13]
	v_and_b32_e32 v26, 7, v1
; %bb.95:                               ;   in Loop: Header=BB366_10 Depth=1
	s_or_b32 exec_lo, exec_lo, s20
	v_mov_b32_e32 v1, 24
	v_lshlrev_b32_e32 v2, 20, v26
	v_lshl_add_u32 v0, v0, 23, 0x3c000000
	v_lshlrev_b32_sdwa v1, v1, v24 dst_sel:DWORD dst_unused:UNUSED_PAD src0_sel:DWORD src1_sel:WORD_1
	v_and_b32_e32 v1, 0x80000000, v1
	v_or3_b32 v0, v2, v1, v0
	buffer_store_dword v0, off, s[0:3], s32 offset:212 ; 4-byte Folded Spill
.LBB366_96:                             ;   in Loop: Header=BB366_10 Depth=1
	s_or_b32 exec_lo, exec_lo, s19
.LBB366_97:                             ;   in Loop: Header=BB366_10 Depth=1
	s_or_b32 exec_lo, exec_lo, s18
.LBB366_98:                             ;   in Loop: Header=BB366_10 Depth=1
	s_or_b32 exec_lo, exec_lo, s6
	v_mov_b32_e32 v100, 0
	v_mov_b32_e32 v99, 0
	s_mov_b32 s6, exec_lo
	v_cmpx_lt_u32_e32 0xffffff, v24
	s_cbranch_execz .LBB366_106
; %bb.99:                               ;   in Loop: Header=BB366_10 Depth=1
	v_mov_b32_e32 v0, 0x80
	v_bfrev_b32_e32 v99, 1
	v_cmp_ne_u32_sdwa s5, v24, v0 src0_sel:BYTE_3 src1_sel:DWORD
	s_and_saveexec_b32 s18, s5
	s_cbranch_execz .LBB366_105
; %bb.100:                              ;   in Loop: Header=BB366_10 Depth=1
	v_bfe_u32 v1, v24, 24, 7
	v_mov_b32_e32 v99, 0x7f800001
	s_mov_b32 s19, exec_lo
	v_cmpx_ne_u32_e32 0x7f, v1
	s_cbranch_execz .LBB366_104
; %bb.101:                              ;   in Loop: Header=BB366_10 Depth=1
	v_mov_b32_e32 v0, 7
	s_mov_b32 s20, exec_lo
	v_and_b32_sdwa v12, v24, v0 dst_sel:DWORD dst_unused:UNUSED_PAD src0_sel:BYTE_3 src1_sel:DWORD
	v_mov_b32_e32 v27, v13
	v_lshrrev_b32_e32 v0, 3, v1
	v_mov_b32_e32 v26, v12
	v_cmpx_gt_u32_e32 8, v1
; %bb.102:                              ;   in Loop: Header=BB366_10 Depth=1
	v_ffbh_u32_e32 v0, v12
	v_min_u32_e32 v0, 32, v0
	v_subrev_nc_u32_e32 v1, 28, v0
	v_sub_nc_u32_e32 v0, 29, v0
	v_lshlrev_b64 v[1:2], v1, v[12:13]
	v_and_b32_e32 v26, 7, v1
; %bb.103:                              ;   in Loop: Header=BB366_10 Depth=1
	s_or_b32 exec_lo, exec_lo, s20
	v_mov_b32_e32 v1, 24
	v_lshlrev_b32_e32 v2, 20, v26
	v_lshl_add_u32 v0, v0, 23, 0x3c000000
	v_lshlrev_b32_sdwa v1, v1, v24 dst_sel:DWORD dst_unused:UNUSED_PAD src0_sel:DWORD src1_sel:BYTE_3
	v_and_b32_e32 v1, 0x80000000, v1
	v_or3_b32 v99, v2, v1, v0
.LBB366_104:                            ;   in Loop: Header=BB366_10 Depth=1
	s_or_b32 exec_lo, exec_lo, s19
.LBB366_105:                            ;   in Loop: Header=BB366_10 Depth=1
	s_or_b32 exec_lo, exec_lo, s18
.LBB366_106:                            ;   in Loop: Header=BB366_10 Depth=1
	s_or_b32 exec_lo, exec_lo, s6
	v_mov_b32_e32 v12, v25
	v_cmp_ne_u16_sdwa s5, v25, v13 src0_sel:BYTE_0 src1_sel:DWORD
	s_and_saveexec_b32 s6, s5
	s_cbranch_execz .LBB366_114
; %bb.107:                              ;   in Loop: Header=BB366_10 Depth=1
	v_mov_b32_e32 v0, 0x80
	v_bfrev_b32_e32 v100, 1
	v_cmp_ne_u16_sdwa s5, v25, v0 src0_sel:BYTE_0 src1_sel:DWORD
	s_and_saveexec_b32 s18, s5
	s_cbranch_execz .LBB366_113
; %bb.108:                              ;   in Loop: Header=BB366_10 Depth=1
	v_and_b32_e32 v1, 0x7f, v25
	v_mov_b32_e32 v100, 0x7f800001
	s_mov_b32 s19, exec_lo
	v_cmpx_ne_u32_e32 0x7f, v1
	s_cbranch_execz .LBB366_112
; %bb.109:                              ;   in Loop: Header=BB366_10 Depth=1
	v_mov_b32_e32 v27, v13
	v_lshrrev_b32_e32 v0, 3, v1
	v_mov_b32_e32 v26, v12
	s_mov_b32 s20, exec_lo
	v_cmpx_gt_u32_e32 8, v1
; %bb.110:                              ;   in Loop: Header=BB366_10 Depth=1
	v_and_b32_e32 v0, 7, v25
	v_ffbh_u32_e32 v0, v0
	v_min_u32_e32 v0, 32, v0
	v_subrev_nc_u32_e32 v1, 28, v0
	v_sub_nc_u32_e32 v0, 29, v0
	v_lshlrev_b64 v[26:27], v1, v[12:13]
; %bb.111:                              ;   in Loop: Header=BB366_10 Depth=1
	s_or_b32 exec_lo, exec_lo, s20
	v_lshlrev_b32_e32 v1, 20, v26
	v_lshlrev_b32_e32 v2, 24, v12
	v_lshl_add_u32 v0, v0, 23, 0x3c000000
	v_and_b32_e32 v1, 0x700000, v1
	v_and_b32_e32 v2, 0x80000000, v2
	v_or3_b32 v100, v1, v2, v0
.LBB366_112:                            ;   in Loop: Header=BB366_10 Depth=1
	s_or_b32 exec_lo, exec_lo, s19
.LBB366_113:                            ;   in Loop: Header=BB366_10 Depth=1
	s_or_b32 exec_lo, exec_lo, s18
.LBB366_114:                            ;   in Loop: Header=BB366_10 Depth=1
	s_or_b32 exec_lo, exec_lo, s6
	v_cmp_ne_u16_sdwa s5, v12, v13 src0_sel:BYTE_1 src1_sel:DWORD
	v_mov_b32_e32 v101, 0
	v_mov_b32_e32 v102, 0
	s_and_saveexec_b32 s6, s5
	s_cbranch_execz .LBB366_122
; %bb.115:                              ;   in Loop: Header=BB366_10 Depth=1
	v_mov_b32_e32 v0, 0x80
	v_bfrev_b32_e32 v102, 1
	v_cmp_ne_u16_sdwa s5, v12, v0 src0_sel:BYTE_1 src1_sel:DWORD
	s_and_saveexec_b32 s18, s5
	s_cbranch_execz .LBB366_121
; %bb.116:                              ;   in Loop: Header=BB366_10 Depth=1
	v_mov_b32_e32 v0, 0xffff
	v_mov_b32_e32 v102, 0x7f800001
	s_mov_b32 s19, exec_lo
	v_and_b32_sdwa v0, v0, v12 dst_sel:DWORD dst_unused:UNUSED_PAD src0_sel:DWORD src1_sel:BYTE_1
	v_and_b32_e32 v1, 0x7f, v0
	v_cmpx_ne_u32_e32 0x7f, v1
	s_cbranch_execz .LBB366_120
; %bb.117:                              ;   in Loop: Header=BB366_10 Depth=1
	v_and_b32_e32 v26, 7, v0
	v_mov_b32_e32 v27, v13
	v_lshrrev_b32_e32 v0, 3, v1
	s_mov_b32 s20, exec_lo
	v_cmpx_gt_u32_e32 8, v1
; %bb.118:                              ;   in Loop: Header=BB366_10 Depth=1
	v_ffbh_u32_e32 v0, v26
	v_min_u32_e32 v0, 32, v0
	v_subrev_nc_u32_e32 v1, 28, v0
	v_sub_nc_u32_e32 v0, 29, v0
	v_lshlrev_b64 v[1:2], v1, v[26:27]
	v_and_b32_e32 v26, 7, v1
; %bb.119:                              ;   in Loop: Header=BB366_10 Depth=1
	s_or_b32 exec_lo, exec_lo, s20
	v_lshlrev_b32_e32 v1, 16, v12
	v_lshlrev_b32_e32 v2, 20, v26
	v_lshl_add_u32 v0, v0, 23, 0x3c000000
	v_and_b32_e32 v1, 0x80000000, v1
	v_or3_b32 v102, v2, v1, v0
.LBB366_120:                            ;   in Loop: Header=BB366_10 Depth=1
	s_or_b32 exec_lo, exec_lo, s19
.LBB366_121:                            ;   in Loop: Header=BB366_10 Depth=1
	s_or_b32 exec_lo, exec_lo, s18
.LBB366_122:                            ;   in Loop: Header=BB366_10 Depth=1
	s_or_b32 exec_lo, exec_lo, s6
	v_mov_b32_e32 v0, 0xff
	s_mov_b32 s6, exec_lo
	v_and_b32_sdwa v0, v25, v0 dst_sel:DWORD dst_unused:UNUSED_PAD src0_sel:WORD_1 src1_sel:DWORD
	v_cmpx_ne_u16_e32 0, v0
	s_cbranch_execz .LBB366_130
; %bb.123:                              ;   in Loop: Header=BB366_10 Depth=1
	v_bfrev_b32_e32 v101, 1
	s_mov_b32 s18, exec_lo
	v_cmpx_ne_u16_e32 0x80, v0
	s_cbranch_execz .LBB366_129
; %bb.124:                              ;   in Loop: Header=BB366_10 Depth=1
	v_bfe_u32 v1, v25, 16, 7
	v_mov_b32_e32 v101, 0x7f800001
	s_mov_b32 s19, exec_lo
	v_cmpx_ne_u32_e32 0x7f, v1
	s_cbranch_execz .LBB366_128
; %bb.125:                              ;   in Loop: Header=BB366_10 Depth=1
	v_mov_b32_e32 v0, 7
	s_mov_b32 s20, exec_lo
	v_and_b32_sdwa v12, v25, v0 dst_sel:DWORD dst_unused:UNUSED_PAD src0_sel:WORD_1 src1_sel:DWORD
	v_mov_b32_e32 v27, v13
	v_lshrrev_b32_e32 v0, 3, v1
	v_mov_b32_e32 v26, v12
	v_cmpx_gt_u32_e32 8, v1
; %bb.126:                              ;   in Loop: Header=BB366_10 Depth=1
	v_ffbh_u32_e32 v0, v12
	v_min_u32_e32 v0, 32, v0
	v_subrev_nc_u32_e32 v1, 28, v0
	v_sub_nc_u32_e32 v0, 29, v0
	v_lshlrev_b64 v[1:2], v1, v[12:13]
	v_and_b32_e32 v26, 7, v1
; %bb.127:                              ;   in Loop: Header=BB366_10 Depth=1
	s_or_b32 exec_lo, exec_lo, s20
	v_mov_b32_e32 v1, 24
	v_lshlrev_b32_e32 v2, 20, v26
	v_lshl_add_u32 v0, v0, 23, 0x3c000000
	v_lshlrev_b32_sdwa v1, v1, v25 dst_sel:DWORD dst_unused:UNUSED_PAD src0_sel:DWORD src1_sel:WORD_1
	v_and_b32_e32 v1, 0x80000000, v1
	v_or3_b32 v101, v2, v1, v0
.LBB366_128:                            ;   in Loop: Header=BB366_10 Depth=1
	s_or_b32 exec_lo, exec_lo, s19
.LBB366_129:                            ;   in Loop: Header=BB366_10 Depth=1
	s_or_b32 exec_lo, exec_lo, s18
.LBB366_130:                            ;   in Loop: Header=BB366_10 Depth=1
	s_or_b32 exec_lo, exec_lo, s6
	v_mov_b32_e32 v112, 0
	v_mov_b32_e32 v0, 0
	s_mov_b32 s6, exec_lo
	buffer_store_dword v0, off, s[0:3], s32 offset:216 ; 4-byte Folded Spill
	v_cmpx_lt_u64_e64 s[8:9], v[24:25]
	s_cbranch_execz .LBB366_138
; %bb.131:                              ;   in Loop: Header=BB366_10 Depth=1
	v_mov_b32_e32 v0, 0x80
	v_cmp_ne_u32_sdwa s5, v25, v0 src0_sel:BYTE_3 src1_sel:DWORD
	v_bfrev_b32_e32 v0, 1
	buffer_store_dword v0, off, s[0:3], s32 offset:216 ; 4-byte Folded Spill
	s_and_saveexec_b32 s18, s5
	s_cbranch_execz .LBB366_137
; %bb.132:                              ;   in Loop: Header=BB366_10 Depth=1
	v_bfe_u32 v1, v25, 24, 7
	v_mov_b32_e32 v0, 0x7f800001
	s_mov_b32 s19, exec_lo
	buffer_store_dword v0, off, s[0:3], s32 offset:216 ; 4-byte Folded Spill
	v_cmpx_ne_u32_e32 0x7f, v1
	s_cbranch_execz .LBB366_136
; %bb.133:                              ;   in Loop: Header=BB366_10 Depth=1
	v_mov_b32_e32 v0, 7
	s_mov_b32 s20, exec_lo
	v_and_b32_sdwa v12, v25, v0 dst_sel:DWORD dst_unused:UNUSED_PAD src0_sel:BYTE_3 src1_sel:DWORD
	v_mov_b32_e32 v27, v13
	v_lshrrev_b32_e32 v0, 3, v1
	v_mov_b32_e32 v26, v12
	v_cmpx_gt_u32_e32 8, v1
; %bb.134:                              ;   in Loop: Header=BB366_10 Depth=1
	v_ffbh_u32_e32 v0, v12
	v_min_u32_e32 v0, 32, v0
	v_subrev_nc_u32_e32 v1, 28, v0
	v_sub_nc_u32_e32 v0, 29, v0
	v_lshlrev_b64 v[1:2], v1, v[12:13]
	v_and_b32_e32 v26, 7, v1
; %bb.135:                              ;   in Loop: Header=BB366_10 Depth=1
	s_or_b32 exec_lo, exec_lo, s20
	v_mov_b32_e32 v1, 24
	v_lshlrev_b32_e32 v2, 20, v26
	v_lshl_add_u32 v0, v0, 23, 0x3c000000
	v_lshlrev_b32_sdwa v1, v1, v25 dst_sel:DWORD dst_unused:UNUSED_PAD src0_sel:DWORD src1_sel:BYTE_3
	v_and_b32_e32 v1, 0x80000000, v1
	v_or3_b32 v0, v2, v1, v0
	buffer_store_dword v0, off, s[0:3], s32 offset:216 ; 4-byte Folded Spill
.LBB366_136:                            ;   in Loop: Header=BB366_10 Depth=1
	s_or_b32 exec_lo, exec_lo, s19
.LBB366_137:                            ;   in Loop: Header=BB366_10 Depth=1
	s_or_b32 exec_lo, exec_lo, s18
.LBB366_138:                            ;   in Loop: Header=BB366_10 Depth=1
	s_or_b32 exec_lo, exec_lo, s6
	flat_load_dwordx2 v[24:25], v[16:17] offset:512
	s_waitcnt vmcnt(0) lgkmcnt(0)
	v_cmp_ne_u16_sdwa s5, v24, v13 src0_sel:BYTE_0 src1_sel:DWORD
	s_and_saveexec_b32 s6, s5
	s_cbranch_execz .LBB366_146
; %bb.139:                              ;   in Loop: Header=BB366_10 Depth=1
	v_mov_b32_e32 v0, 0x80
	v_bfrev_b32_e32 v112, 1
	v_cmp_ne_u16_sdwa s5, v24, v0 src0_sel:BYTE_0 src1_sel:DWORD
	s_and_saveexec_b32 s18, s5
	s_cbranch_execz .LBB366_145
; %bb.140:                              ;   in Loop: Header=BB366_10 Depth=1
	v_and_b32_e32 v1, 0x7f, v24
	v_mov_b32_e32 v112, 0x7f800001
	s_mov_b32 s19, exec_lo
	v_cmpx_ne_u32_e32 0x7f, v1
	s_cbranch_execz .LBB366_144
; %bb.141:                              ;   in Loop: Header=BB366_10 Depth=1
	v_mov_b32_e32 v27, v25
	v_lshrrev_b32_e32 v0, 3, v1
	v_mov_b32_e32 v26, v24
	s_mov_b32 s20, exec_lo
	v_cmpx_gt_u32_e32 8, v1
; %bb.142:                              ;   in Loop: Header=BB366_10 Depth=1
	v_and_b32_e32 v0, 7, v24
	v_ffbh_u32_e32 v0, v0
	v_min_u32_e32 v0, 32, v0
	v_subrev_nc_u32_e32 v1, 28, v0
	v_sub_nc_u32_e32 v0, 29, v0
	v_lshlrev_b64 v[26:27], v1, v[24:25]
; %bb.143:                              ;   in Loop: Header=BB366_10 Depth=1
	s_or_b32 exec_lo, exec_lo, s20
	v_lshlrev_b32_e32 v1, 20, v26
	v_lshlrev_b32_e32 v2, 24, v24
	v_lshl_add_u32 v0, v0, 23, 0x3c000000
	v_and_b32_e32 v1, 0x700000, v1
	v_and_b32_e32 v2, 0x80000000, v2
	v_or3_b32 v112, v1, v2, v0
.LBB366_144:                            ;   in Loop: Header=BB366_10 Depth=1
	s_or_b32 exec_lo, exec_lo, s19
.LBB366_145:                            ;   in Loop: Header=BB366_10 Depth=1
	s_or_b32 exec_lo, exec_lo, s18
.LBB366_146:                            ;   in Loop: Header=BB366_10 Depth=1
	s_or_b32 exec_lo, exec_lo, s6
	v_cmp_ne_u16_sdwa s5, v24, v13 src0_sel:BYTE_1 src1_sel:DWORD
	v_mov_b32_e32 v114, 0
	v_mov_b32_e32 v113, 0
	s_and_saveexec_b32 s6, s5
	s_cbranch_execz .LBB366_154
; %bb.147:                              ;   in Loop: Header=BB366_10 Depth=1
	v_mov_b32_e32 v0, 0x80
	v_bfrev_b32_e32 v113, 1
	v_cmp_ne_u16_sdwa s5, v24, v0 src0_sel:BYTE_1 src1_sel:DWORD
	s_and_saveexec_b32 s18, s5
	s_cbranch_execz .LBB366_153
; %bb.148:                              ;   in Loop: Header=BB366_10 Depth=1
	v_mov_b32_e32 v0, 0xffff
	v_mov_b32_e32 v113, 0x7f800001
	s_mov_b32 s19, exec_lo
	v_and_b32_sdwa v0, v0, v24 dst_sel:DWORD dst_unused:UNUSED_PAD src0_sel:DWORD src1_sel:BYTE_1
	v_and_b32_e32 v1, 0x7f, v0
	v_cmpx_ne_u32_e32 0x7f, v1
	s_cbranch_execz .LBB366_152
; %bb.149:                              ;   in Loop: Header=BB366_10 Depth=1
	v_and_b32_e32 v12, 7, v0
	v_mov_b32_e32 v27, v13
	v_lshrrev_b32_e32 v0, 3, v1
	s_mov_b32 s20, exec_lo
	v_mov_b32_e32 v26, v12
	v_cmpx_gt_u32_e32 8, v1
; %bb.150:                              ;   in Loop: Header=BB366_10 Depth=1
	v_ffbh_u32_e32 v0, v12
	v_min_u32_e32 v0, 32, v0
	v_subrev_nc_u32_e32 v1, 28, v0
	v_sub_nc_u32_e32 v0, 29, v0
	v_lshlrev_b64 v[1:2], v1, v[12:13]
	v_and_b32_e32 v26, 7, v1
; %bb.151:                              ;   in Loop: Header=BB366_10 Depth=1
	s_or_b32 exec_lo, exec_lo, s20
	v_lshlrev_b32_e32 v1, 16, v24
	v_lshlrev_b32_e32 v2, 20, v26
	v_lshl_add_u32 v0, v0, 23, 0x3c000000
	v_and_b32_e32 v1, 0x80000000, v1
	v_or3_b32 v113, v2, v1, v0
.LBB366_152:                            ;   in Loop: Header=BB366_10 Depth=1
	s_or_b32 exec_lo, exec_lo, s19
.LBB366_153:                            ;   in Loop: Header=BB366_10 Depth=1
	s_or_b32 exec_lo, exec_lo, s18
.LBB366_154:                            ;   in Loop: Header=BB366_10 Depth=1
	s_or_b32 exec_lo, exec_lo, s6
	v_mov_b32_e32 v0, 0xff
	s_mov_b32 s6, exec_lo
	v_and_b32_sdwa v0, v24, v0 dst_sel:DWORD dst_unused:UNUSED_PAD src0_sel:WORD_1 src1_sel:DWORD
	v_cmpx_ne_u16_e32 0, v0
	s_cbranch_execz .LBB366_162
; %bb.155:                              ;   in Loop: Header=BB366_10 Depth=1
	v_bfrev_b32_e32 v114, 1
	s_mov_b32 s18, exec_lo
	v_cmpx_ne_u16_e32 0x80, v0
	s_cbranch_execz .LBB366_161
; %bb.156:                              ;   in Loop: Header=BB366_10 Depth=1
	v_bfe_u32 v1, v24, 16, 7
	v_mov_b32_e32 v114, 0x7f800001
	s_mov_b32 s19, exec_lo
	v_cmpx_ne_u32_e32 0x7f, v1
	s_cbranch_execz .LBB366_160
; %bb.157:                              ;   in Loop: Header=BB366_10 Depth=1
	v_mov_b32_e32 v0, 7
	s_mov_b32 s20, exec_lo
	v_and_b32_sdwa v12, v24, v0 dst_sel:DWORD dst_unused:UNUSED_PAD src0_sel:WORD_1 src1_sel:DWORD
	v_mov_b32_e32 v27, v13
	v_lshrrev_b32_e32 v0, 3, v1
	v_mov_b32_e32 v26, v12
	v_cmpx_gt_u32_e32 8, v1
; %bb.158:                              ;   in Loop: Header=BB366_10 Depth=1
	v_ffbh_u32_e32 v0, v12
	v_min_u32_e32 v0, 32, v0
	v_subrev_nc_u32_e32 v1, 28, v0
	v_sub_nc_u32_e32 v0, 29, v0
	v_lshlrev_b64 v[1:2], v1, v[12:13]
	v_and_b32_e32 v26, 7, v1
; %bb.159:                              ;   in Loop: Header=BB366_10 Depth=1
	s_or_b32 exec_lo, exec_lo, s20
	v_mov_b32_e32 v1, 24
	v_lshlrev_b32_e32 v2, 20, v26
	v_lshl_add_u32 v0, v0, 23, 0x3c000000
	v_lshlrev_b32_sdwa v1, v1, v24 dst_sel:DWORD dst_unused:UNUSED_PAD src0_sel:DWORD src1_sel:WORD_1
	v_and_b32_e32 v1, 0x80000000, v1
	v_or3_b32 v114, v2, v1, v0
.LBB366_160:                            ;   in Loop: Header=BB366_10 Depth=1
	s_or_b32 exec_lo, exec_lo, s19
.LBB366_161:                            ;   in Loop: Header=BB366_10 Depth=1
	s_or_b32 exec_lo, exec_lo, s18
.LBB366_162:                            ;   in Loop: Header=BB366_10 Depth=1
	s_or_b32 exec_lo, exec_lo, s6
	v_mov_b32_e32 v116, 0
	v_mov_b32_e32 v115, 0
	s_mov_b32 s6, exec_lo
	v_cmpx_lt_u32_e32 0xffffff, v24
	s_cbranch_execz .LBB366_170
; %bb.163:                              ;   in Loop: Header=BB366_10 Depth=1
	v_mov_b32_e32 v0, 0x80
	v_bfrev_b32_e32 v115, 1
	v_cmp_ne_u32_sdwa s5, v24, v0 src0_sel:BYTE_3 src1_sel:DWORD
	s_and_saveexec_b32 s18, s5
	s_cbranch_execz .LBB366_169
; %bb.164:                              ;   in Loop: Header=BB366_10 Depth=1
	v_bfe_u32 v1, v24, 24, 7
	v_mov_b32_e32 v115, 0x7f800001
	s_mov_b32 s19, exec_lo
	v_cmpx_ne_u32_e32 0x7f, v1
	s_cbranch_execz .LBB366_168
; %bb.165:                              ;   in Loop: Header=BB366_10 Depth=1
	v_mov_b32_e32 v0, 7
	s_mov_b32 s20, exec_lo
	v_and_b32_sdwa v12, v24, v0 dst_sel:DWORD dst_unused:UNUSED_PAD src0_sel:BYTE_3 src1_sel:DWORD
	v_mov_b32_e32 v27, v13
	v_lshrrev_b32_e32 v0, 3, v1
	v_mov_b32_e32 v26, v12
	v_cmpx_gt_u32_e32 8, v1
; %bb.166:                              ;   in Loop: Header=BB366_10 Depth=1
	v_ffbh_u32_e32 v0, v12
	v_min_u32_e32 v0, 32, v0
	v_subrev_nc_u32_e32 v1, 28, v0
	v_sub_nc_u32_e32 v0, 29, v0
	v_lshlrev_b64 v[1:2], v1, v[12:13]
	v_and_b32_e32 v26, 7, v1
; %bb.167:                              ;   in Loop: Header=BB366_10 Depth=1
	s_or_b32 exec_lo, exec_lo, s20
	v_mov_b32_e32 v1, 24
	v_lshlrev_b32_e32 v2, 20, v26
	v_lshl_add_u32 v0, v0, 23, 0x3c000000
	v_lshlrev_b32_sdwa v1, v1, v24 dst_sel:DWORD dst_unused:UNUSED_PAD src0_sel:DWORD src1_sel:BYTE_3
	v_and_b32_e32 v1, 0x80000000, v1
	v_or3_b32 v115, v2, v1, v0
.LBB366_168:                            ;   in Loop: Header=BB366_10 Depth=1
	s_or_b32 exec_lo, exec_lo, s19
.LBB366_169:                            ;   in Loop: Header=BB366_10 Depth=1
	s_or_b32 exec_lo, exec_lo, s18
.LBB366_170:                            ;   in Loop: Header=BB366_10 Depth=1
	s_or_b32 exec_lo, exec_lo, s6
	v_mov_b32_e32 v12, v25
	v_cmp_ne_u16_sdwa s5, v25, v13 src0_sel:BYTE_0 src1_sel:DWORD
	s_and_saveexec_b32 s6, s5
	s_cbranch_execz .LBB366_178
; %bb.171:                              ;   in Loop: Header=BB366_10 Depth=1
	v_mov_b32_e32 v0, 0x80
	v_bfrev_b32_e32 v116, 1
	v_cmp_ne_u16_sdwa s5, v25, v0 src0_sel:BYTE_0 src1_sel:DWORD
	s_and_saveexec_b32 s18, s5
	s_cbranch_execz .LBB366_177
; %bb.172:                              ;   in Loop: Header=BB366_10 Depth=1
	v_and_b32_e32 v1, 0x7f, v25
	v_mov_b32_e32 v116, 0x7f800001
	s_mov_b32 s19, exec_lo
	v_cmpx_ne_u32_e32 0x7f, v1
	s_cbranch_execz .LBB366_176
; %bb.173:                              ;   in Loop: Header=BB366_10 Depth=1
	v_mov_b32_e32 v27, v13
	v_lshrrev_b32_e32 v0, 3, v1
	v_mov_b32_e32 v26, v12
	s_mov_b32 s20, exec_lo
	v_cmpx_gt_u32_e32 8, v1
; %bb.174:                              ;   in Loop: Header=BB366_10 Depth=1
	v_and_b32_e32 v0, 7, v25
	v_ffbh_u32_e32 v0, v0
	v_min_u32_e32 v0, 32, v0
	v_subrev_nc_u32_e32 v1, 28, v0
	v_sub_nc_u32_e32 v0, 29, v0
	v_lshlrev_b64 v[26:27], v1, v[12:13]
; %bb.175:                              ;   in Loop: Header=BB366_10 Depth=1
	s_or_b32 exec_lo, exec_lo, s20
	v_lshlrev_b32_e32 v1, 20, v26
	v_lshlrev_b32_e32 v2, 24, v12
	v_lshl_add_u32 v0, v0, 23, 0x3c000000
	v_and_b32_e32 v1, 0x700000, v1
	v_and_b32_e32 v2, 0x80000000, v2
	v_or3_b32 v116, v1, v2, v0
.LBB366_176:                            ;   in Loop: Header=BB366_10 Depth=1
	s_or_b32 exec_lo, exec_lo, s19
.LBB366_177:                            ;   in Loop: Header=BB366_10 Depth=1
	s_or_b32 exec_lo, exec_lo, s18
.LBB366_178:                            ;   in Loop: Header=BB366_10 Depth=1
	s_or_b32 exec_lo, exec_lo, s6
	v_cmp_ne_u16_sdwa s5, v12, v13 src0_sel:BYTE_1 src1_sel:DWORD
	v_mov_b32_e32 v9, 0
	v_mov_b32_e32 v117, 0
	s_and_saveexec_b32 s6, s5
	s_cbranch_execz .LBB366_186
; %bb.179:                              ;   in Loop: Header=BB366_10 Depth=1
	v_mov_b32_e32 v0, 0x80
	v_bfrev_b32_e32 v117, 1
	v_cmp_ne_u16_sdwa s5, v12, v0 src0_sel:BYTE_1 src1_sel:DWORD
	s_and_saveexec_b32 s18, s5
	s_cbranch_execz .LBB366_185
; %bb.180:                              ;   in Loop: Header=BB366_10 Depth=1
	v_mov_b32_e32 v0, 0xffff
	v_mov_b32_e32 v117, 0x7f800001
	s_mov_b32 s19, exec_lo
	v_and_b32_sdwa v0, v0, v12 dst_sel:DWORD dst_unused:UNUSED_PAD src0_sel:DWORD src1_sel:BYTE_1
	v_and_b32_e32 v1, 0x7f, v0
	v_cmpx_ne_u32_e32 0x7f, v1
	s_cbranch_execz .LBB366_184
; %bb.181:                              ;   in Loop: Header=BB366_10 Depth=1
	v_and_b32_e32 v26, 7, v0
	v_mov_b32_e32 v27, v13
	v_lshrrev_b32_e32 v0, 3, v1
	s_mov_b32 s20, exec_lo
	v_cmpx_gt_u32_e32 8, v1
; %bb.182:                              ;   in Loop: Header=BB366_10 Depth=1
	v_ffbh_u32_e32 v0, v26
	v_min_u32_e32 v0, 32, v0
	v_subrev_nc_u32_e32 v1, 28, v0
	v_sub_nc_u32_e32 v0, 29, v0
	v_lshlrev_b64 v[1:2], v1, v[26:27]
	v_and_b32_e32 v26, 7, v1
; %bb.183:                              ;   in Loop: Header=BB366_10 Depth=1
	s_or_b32 exec_lo, exec_lo, s20
	v_lshlrev_b32_e32 v1, 16, v12
	v_lshlrev_b32_e32 v2, 20, v26
	v_lshl_add_u32 v0, v0, 23, 0x3c000000
	v_and_b32_e32 v1, 0x80000000, v1
	v_or3_b32 v117, v2, v1, v0
.LBB366_184:                            ;   in Loop: Header=BB366_10 Depth=1
	s_or_b32 exec_lo, exec_lo, s19
.LBB366_185:                            ;   in Loop: Header=BB366_10 Depth=1
	s_or_b32 exec_lo, exec_lo, s18
.LBB366_186:                            ;   in Loop: Header=BB366_10 Depth=1
	s_or_b32 exec_lo, exec_lo, s6
	v_mov_b32_e32 v0, 0xff
	s_mov_b32 s6, exec_lo
	v_and_b32_sdwa v0, v25, v0 dst_sel:DWORD dst_unused:UNUSED_PAD src0_sel:WORD_1 src1_sel:DWORD
	v_cmpx_ne_u16_e32 0, v0
	s_cbranch_execz .LBB366_194
; %bb.187:                              ;   in Loop: Header=BB366_10 Depth=1
	v_bfrev_b32_e32 v9, 1
	s_mov_b32 s18, exec_lo
	v_cmpx_ne_u16_e32 0x80, v0
	s_cbranch_execz .LBB366_193
; %bb.188:                              ;   in Loop: Header=BB366_10 Depth=1
	v_bfe_u32 v1, v25, 16, 7
	v_mov_b32_e32 v9, 0x7f800001
	s_mov_b32 s19, exec_lo
	v_cmpx_ne_u32_e32 0x7f, v1
	s_cbranch_execz .LBB366_192
; %bb.189:                              ;   in Loop: Header=BB366_10 Depth=1
	v_mov_b32_e32 v0, 7
	s_mov_b32 s20, exec_lo
	v_and_b32_sdwa v12, v25, v0 dst_sel:DWORD dst_unused:UNUSED_PAD src0_sel:WORD_1 src1_sel:DWORD
	v_mov_b32_e32 v27, v13
	v_lshrrev_b32_e32 v0, 3, v1
	v_mov_b32_e32 v26, v12
	v_cmpx_gt_u32_e32 8, v1
; %bb.190:                              ;   in Loop: Header=BB366_10 Depth=1
	v_ffbh_u32_e32 v0, v12
	v_min_u32_e32 v0, 32, v0
	v_subrev_nc_u32_e32 v1, 28, v0
	v_sub_nc_u32_e32 v0, 29, v0
	v_lshlrev_b64 v[1:2], v1, v[12:13]
	v_and_b32_e32 v26, 7, v1
; %bb.191:                              ;   in Loop: Header=BB366_10 Depth=1
	s_or_b32 exec_lo, exec_lo, s20
	v_mov_b32_e32 v1, 24
	v_lshlrev_b32_e32 v2, 20, v26
	v_lshl_add_u32 v0, v0, 23, 0x3c000000
	v_lshlrev_b32_sdwa v1, v1, v25 dst_sel:DWORD dst_unused:UNUSED_PAD src0_sel:DWORD src1_sel:WORD_1
	v_and_b32_e32 v1, 0x80000000, v1
	v_or3_b32 v9, v2, v1, v0
.LBB366_192:                            ;   in Loop: Header=BB366_10 Depth=1
	s_or_b32 exec_lo, exec_lo, s19
.LBB366_193:                            ;   in Loop: Header=BB366_10 Depth=1
	s_or_b32 exec_lo, exec_lo, s18
.LBB366_194:                            ;   in Loop: Header=BB366_10 Depth=1
	s_or_b32 exec_lo, exec_lo, s6
	v_mov_b32_e32 v119, 0
	v_mov_b32_e32 v118, 0
	s_mov_b32 s6, exec_lo
	v_cmpx_lt_u64_e64 s[8:9], v[24:25]
	s_cbranch_execz .LBB366_202
; %bb.195:                              ;   in Loop: Header=BB366_10 Depth=1
	v_mov_b32_e32 v0, 0x80
	v_bfrev_b32_e32 v118, 1
	v_cmp_ne_u32_sdwa s5, v25, v0 src0_sel:BYTE_3 src1_sel:DWORD
	s_and_saveexec_b32 s18, s5
	s_cbranch_execz .LBB366_201
; %bb.196:                              ;   in Loop: Header=BB366_10 Depth=1
	v_bfe_u32 v1, v25, 24, 7
	v_mov_b32_e32 v118, 0x7f800001
	s_mov_b32 s19, exec_lo
	v_cmpx_ne_u32_e32 0x7f, v1
	s_cbranch_execz .LBB366_200
; %bb.197:                              ;   in Loop: Header=BB366_10 Depth=1
	v_mov_b32_e32 v0, 7
	s_mov_b32 s20, exec_lo
	v_and_b32_sdwa v12, v25, v0 dst_sel:DWORD dst_unused:UNUSED_PAD src0_sel:BYTE_3 src1_sel:DWORD
	v_mov_b32_e32 v27, v13
	v_lshrrev_b32_e32 v0, 3, v1
	v_mov_b32_e32 v26, v12
	v_cmpx_gt_u32_e32 8, v1
; %bb.198:                              ;   in Loop: Header=BB366_10 Depth=1
	v_ffbh_u32_e32 v0, v12
	v_min_u32_e32 v0, 32, v0
	v_subrev_nc_u32_e32 v1, 28, v0
	v_sub_nc_u32_e32 v0, 29, v0
	v_lshlrev_b64 v[1:2], v1, v[12:13]
	v_and_b32_e32 v26, 7, v1
; %bb.199:                              ;   in Loop: Header=BB366_10 Depth=1
	s_or_b32 exec_lo, exec_lo, s20
	v_mov_b32_e32 v1, 24
	v_lshlrev_b32_e32 v2, 20, v26
	v_lshl_add_u32 v0, v0, 23, 0x3c000000
	v_lshlrev_b32_sdwa v1, v1, v25 dst_sel:DWORD dst_unused:UNUSED_PAD src0_sel:DWORD src1_sel:BYTE_3
	v_and_b32_e32 v1, 0x80000000, v1
	v_or3_b32 v118, v2, v1, v0
.LBB366_200:                            ;   in Loop: Header=BB366_10 Depth=1
	s_or_b32 exec_lo, exec_lo, s19
.LBB366_201:                            ;   in Loop: Header=BB366_10 Depth=1
	s_or_b32 exec_lo, exec_lo, s18
.LBB366_202:                            ;   in Loop: Header=BB366_10 Depth=1
	s_or_b32 exec_lo, exec_lo, s6
	flat_load_dwordx2 v[24:25], v[16:17] offset:520
	s_waitcnt vmcnt(0) lgkmcnt(0)
	v_cmp_ne_u16_sdwa s5, v24, v13 src0_sel:BYTE_0 src1_sel:DWORD
	s_and_saveexec_b32 s6, s5
	s_cbranch_execz .LBB366_210
; %bb.203:                              ;   in Loop: Header=BB366_10 Depth=1
	v_mov_b32_e32 v0, 0x80
	v_bfrev_b32_e32 v119, 1
	v_cmp_ne_u16_sdwa s5, v24, v0 src0_sel:BYTE_0 src1_sel:DWORD
	s_and_saveexec_b32 s18, s5
	s_cbranch_execz .LBB366_209
; %bb.204:                              ;   in Loop: Header=BB366_10 Depth=1
	v_and_b32_e32 v1, 0x7f, v24
	v_mov_b32_e32 v119, 0x7f800001
	s_mov_b32 s19, exec_lo
	v_cmpx_ne_u32_e32 0x7f, v1
	s_cbranch_execz .LBB366_208
; %bb.205:                              ;   in Loop: Header=BB366_10 Depth=1
	v_mov_b32_e32 v27, v25
	v_lshrrev_b32_e32 v0, 3, v1
	v_mov_b32_e32 v26, v24
	s_mov_b32 s20, exec_lo
	v_cmpx_gt_u32_e32 8, v1
; %bb.206:                              ;   in Loop: Header=BB366_10 Depth=1
	v_and_b32_e32 v0, 7, v24
	v_ffbh_u32_e32 v0, v0
	v_min_u32_e32 v0, 32, v0
	v_subrev_nc_u32_e32 v1, 28, v0
	v_sub_nc_u32_e32 v0, 29, v0
	v_lshlrev_b64 v[26:27], v1, v[24:25]
; %bb.207:                              ;   in Loop: Header=BB366_10 Depth=1
	s_or_b32 exec_lo, exec_lo, s20
	v_lshlrev_b32_e32 v1, 20, v26
	v_lshlrev_b32_e32 v2, 24, v24
	v_lshl_add_u32 v0, v0, 23, 0x3c000000
	v_and_b32_e32 v1, 0x700000, v1
	v_and_b32_e32 v2, 0x80000000, v2
	v_or3_b32 v119, v1, v2, v0
.LBB366_208:                            ;   in Loop: Header=BB366_10 Depth=1
	s_or_b32 exec_lo, exec_lo, s19
.LBB366_209:                            ;   in Loop: Header=BB366_10 Depth=1
	s_or_b32 exec_lo, exec_lo, s18
.LBB366_210:                            ;   in Loop: Header=BB366_10 Depth=1
	s_or_b32 exec_lo, exec_lo, s6
	v_cmp_ne_u16_sdwa s5, v24, v13 src0_sel:BYTE_1 src1_sel:DWORD
	v_mov_b32_e32 v41, 0
	v_mov_b32_e32 v40, 0
	s_and_saveexec_b32 s6, s5
	s_cbranch_execz .LBB366_218
; %bb.211:                              ;   in Loop: Header=BB366_10 Depth=1
	v_mov_b32_e32 v0, 0x80
	v_bfrev_b32_e32 v40, 1
	v_cmp_ne_u16_sdwa s5, v24, v0 src0_sel:BYTE_1 src1_sel:DWORD
	s_and_saveexec_b32 s18, s5
	s_cbranch_execz .LBB366_217
; %bb.212:                              ;   in Loop: Header=BB366_10 Depth=1
	v_mov_b32_e32 v0, 0xffff
	v_mov_b32_e32 v40, 0x7f800001
	s_mov_b32 s19, exec_lo
	v_and_b32_sdwa v0, v0, v24 dst_sel:DWORD dst_unused:UNUSED_PAD src0_sel:DWORD src1_sel:BYTE_1
	v_and_b32_e32 v1, 0x7f, v0
	v_cmpx_ne_u32_e32 0x7f, v1
	s_cbranch_execz .LBB366_216
; %bb.213:                              ;   in Loop: Header=BB366_10 Depth=1
	v_and_b32_e32 v12, 7, v0
	v_mov_b32_e32 v27, v13
	v_lshrrev_b32_e32 v0, 3, v1
	s_mov_b32 s20, exec_lo
	v_mov_b32_e32 v26, v12
	v_cmpx_gt_u32_e32 8, v1
; %bb.214:                              ;   in Loop: Header=BB366_10 Depth=1
	v_ffbh_u32_e32 v0, v12
	v_min_u32_e32 v0, 32, v0
	v_subrev_nc_u32_e32 v1, 28, v0
	v_sub_nc_u32_e32 v0, 29, v0
	v_lshlrev_b64 v[1:2], v1, v[12:13]
	v_and_b32_e32 v26, 7, v1
; %bb.215:                              ;   in Loop: Header=BB366_10 Depth=1
	s_or_b32 exec_lo, exec_lo, s20
	v_lshlrev_b32_e32 v1, 16, v24
	v_lshlrev_b32_e32 v2, 20, v26
	v_lshl_add_u32 v0, v0, 23, 0x3c000000
	v_and_b32_e32 v1, 0x80000000, v1
	v_or3_b32 v40, v2, v1, v0
.LBB366_216:                            ;   in Loop: Header=BB366_10 Depth=1
	s_or_b32 exec_lo, exec_lo, s19
.LBB366_217:                            ;   in Loop: Header=BB366_10 Depth=1
	s_or_b32 exec_lo, exec_lo, s18
.LBB366_218:                            ;   in Loop: Header=BB366_10 Depth=1
	s_or_b32 exec_lo, exec_lo, s6
	v_mov_b32_e32 v0, 0xff
	s_mov_b32 s6, exec_lo
	v_and_b32_sdwa v0, v24, v0 dst_sel:DWORD dst_unused:UNUSED_PAD src0_sel:WORD_1 src1_sel:DWORD
	v_cmpx_ne_u16_e32 0, v0
	s_cbranch_execz .LBB366_226
; %bb.219:                              ;   in Loop: Header=BB366_10 Depth=1
	v_bfrev_b32_e32 v41, 1
	s_mov_b32 s18, exec_lo
	v_cmpx_ne_u16_e32 0x80, v0
	s_cbranch_execz .LBB366_225
; %bb.220:                              ;   in Loop: Header=BB366_10 Depth=1
	v_bfe_u32 v1, v24, 16, 7
	v_mov_b32_e32 v41, 0x7f800001
	s_mov_b32 s19, exec_lo
	v_cmpx_ne_u32_e32 0x7f, v1
	s_cbranch_execz .LBB366_224
; %bb.221:                              ;   in Loop: Header=BB366_10 Depth=1
	v_mov_b32_e32 v0, 7
	s_mov_b32 s20, exec_lo
	v_and_b32_sdwa v12, v24, v0 dst_sel:DWORD dst_unused:UNUSED_PAD src0_sel:WORD_1 src1_sel:DWORD
	v_mov_b32_e32 v27, v13
	v_lshrrev_b32_e32 v0, 3, v1
	v_mov_b32_e32 v26, v12
	v_cmpx_gt_u32_e32 8, v1
; %bb.222:                              ;   in Loop: Header=BB366_10 Depth=1
	v_ffbh_u32_e32 v0, v12
	v_min_u32_e32 v0, 32, v0
	v_subrev_nc_u32_e32 v1, 28, v0
	v_sub_nc_u32_e32 v0, 29, v0
	v_lshlrev_b64 v[1:2], v1, v[12:13]
	v_and_b32_e32 v26, 7, v1
; %bb.223:                              ;   in Loop: Header=BB366_10 Depth=1
	s_or_b32 exec_lo, exec_lo, s20
	v_mov_b32_e32 v1, 24
	v_lshlrev_b32_e32 v2, 20, v26
	v_lshl_add_u32 v0, v0, 23, 0x3c000000
	v_lshlrev_b32_sdwa v1, v1, v24 dst_sel:DWORD dst_unused:UNUSED_PAD src0_sel:DWORD src1_sel:WORD_1
	v_and_b32_e32 v1, 0x80000000, v1
	v_or3_b32 v41, v2, v1, v0
.LBB366_224:                            ;   in Loop: Header=BB366_10 Depth=1
	s_or_b32 exec_lo, exec_lo, s19
.LBB366_225:                            ;   in Loop: Header=BB366_10 Depth=1
	s_or_b32 exec_lo, exec_lo, s18
.LBB366_226:                            ;   in Loop: Header=BB366_10 Depth=1
	s_or_b32 exec_lo, exec_lo, s6
	v_mov_b32_e32 v43, 0
	v_mov_b32_e32 v42, 0
	s_mov_b32 s6, exec_lo
	v_cmpx_lt_u32_e32 0xffffff, v24
	s_cbranch_execz .LBB366_234
; %bb.227:                              ;   in Loop: Header=BB366_10 Depth=1
	v_mov_b32_e32 v0, 0x80
	v_bfrev_b32_e32 v42, 1
	v_cmp_ne_u32_sdwa s5, v24, v0 src0_sel:BYTE_3 src1_sel:DWORD
	s_and_saveexec_b32 s18, s5
	s_cbranch_execz .LBB366_233
; %bb.228:                              ;   in Loop: Header=BB366_10 Depth=1
	v_bfe_u32 v1, v24, 24, 7
	v_mov_b32_e32 v42, 0x7f800001
	s_mov_b32 s19, exec_lo
	v_cmpx_ne_u32_e32 0x7f, v1
	s_cbranch_execz .LBB366_232
; %bb.229:                              ;   in Loop: Header=BB366_10 Depth=1
	v_mov_b32_e32 v0, 7
	s_mov_b32 s20, exec_lo
	v_and_b32_sdwa v12, v24, v0 dst_sel:DWORD dst_unused:UNUSED_PAD src0_sel:BYTE_3 src1_sel:DWORD
	v_mov_b32_e32 v27, v13
	v_lshrrev_b32_e32 v0, 3, v1
	v_mov_b32_e32 v26, v12
	v_cmpx_gt_u32_e32 8, v1
; %bb.230:                              ;   in Loop: Header=BB366_10 Depth=1
	v_ffbh_u32_e32 v0, v12
	v_min_u32_e32 v0, 32, v0
	v_subrev_nc_u32_e32 v1, 28, v0
	v_sub_nc_u32_e32 v0, 29, v0
	v_lshlrev_b64 v[1:2], v1, v[12:13]
	v_and_b32_e32 v26, 7, v1
; %bb.231:                              ;   in Loop: Header=BB366_10 Depth=1
	s_or_b32 exec_lo, exec_lo, s20
	v_mov_b32_e32 v1, 24
	v_lshlrev_b32_e32 v2, 20, v26
	v_lshl_add_u32 v0, v0, 23, 0x3c000000
	v_lshlrev_b32_sdwa v1, v1, v24 dst_sel:DWORD dst_unused:UNUSED_PAD src0_sel:DWORD src1_sel:BYTE_3
	v_and_b32_e32 v1, 0x80000000, v1
	v_or3_b32 v42, v2, v1, v0
.LBB366_232:                            ;   in Loop: Header=BB366_10 Depth=1
	s_or_b32 exec_lo, exec_lo, s19
.LBB366_233:                            ;   in Loop: Header=BB366_10 Depth=1
	s_or_b32 exec_lo, exec_lo, s18
.LBB366_234:                            ;   in Loop: Header=BB366_10 Depth=1
	s_or_b32 exec_lo, exec_lo, s6
	v_mov_b32_e32 v12, v25
	v_cmp_ne_u16_sdwa s5, v25, v13 src0_sel:BYTE_0 src1_sel:DWORD
	s_and_saveexec_b32 s6, s5
	s_cbranch_execz .LBB366_242
; %bb.235:                              ;   in Loop: Header=BB366_10 Depth=1
	v_mov_b32_e32 v0, 0x80
	v_bfrev_b32_e32 v43, 1
	v_cmp_ne_u16_sdwa s5, v25, v0 src0_sel:BYTE_0 src1_sel:DWORD
	s_and_saveexec_b32 s18, s5
	s_cbranch_execz .LBB366_241
; %bb.236:                              ;   in Loop: Header=BB366_10 Depth=1
	v_and_b32_e32 v1, 0x7f, v25
	v_mov_b32_e32 v43, 0x7f800001
	s_mov_b32 s19, exec_lo
	v_cmpx_ne_u32_e32 0x7f, v1
	s_cbranch_execz .LBB366_240
; %bb.237:                              ;   in Loop: Header=BB366_10 Depth=1
	v_mov_b32_e32 v27, v13
	v_lshrrev_b32_e32 v0, 3, v1
	v_mov_b32_e32 v26, v12
	s_mov_b32 s20, exec_lo
	v_cmpx_gt_u32_e32 8, v1
; %bb.238:                              ;   in Loop: Header=BB366_10 Depth=1
	v_and_b32_e32 v0, 7, v25
	v_ffbh_u32_e32 v0, v0
	v_min_u32_e32 v0, 32, v0
	v_subrev_nc_u32_e32 v1, 28, v0
	v_sub_nc_u32_e32 v0, 29, v0
	v_lshlrev_b64 v[26:27], v1, v[12:13]
; %bb.239:                              ;   in Loop: Header=BB366_10 Depth=1
	s_or_b32 exec_lo, exec_lo, s20
	v_lshlrev_b32_e32 v1, 20, v26
	v_lshlrev_b32_e32 v2, 24, v12
	v_lshl_add_u32 v0, v0, 23, 0x3c000000
	v_and_b32_e32 v1, 0x700000, v1
	v_and_b32_e32 v2, 0x80000000, v2
	v_or3_b32 v43, v1, v2, v0
.LBB366_240:                            ;   in Loop: Header=BB366_10 Depth=1
	s_or_b32 exec_lo, exec_lo, s19
.LBB366_241:                            ;   in Loop: Header=BB366_10 Depth=1
	s_or_b32 exec_lo, exec_lo, s18
.LBB366_242:                            ;   in Loop: Header=BB366_10 Depth=1
	s_or_b32 exec_lo, exec_lo, s6
	v_cmp_ne_u16_sdwa s5, v12, v13 src0_sel:BYTE_1 src1_sel:DWORD
	v_mov_b32_e32 v44, 0
	v_mov_b32_e32 v45, 0
	s_and_saveexec_b32 s6, s5
	s_cbranch_execz .LBB366_250
; %bb.243:                              ;   in Loop: Header=BB366_10 Depth=1
	v_mov_b32_e32 v0, 0x80
	v_bfrev_b32_e32 v45, 1
	v_cmp_ne_u16_sdwa s5, v12, v0 src0_sel:BYTE_1 src1_sel:DWORD
	s_and_saveexec_b32 s18, s5
	s_cbranch_execz .LBB366_249
; %bb.244:                              ;   in Loop: Header=BB366_10 Depth=1
	v_mov_b32_e32 v0, 0xffff
	v_mov_b32_e32 v45, 0x7f800001
	s_mov_b32 s19, exec_lo
	v_and_b32_sdwa v0, v0, v12 dst_sel:DWORD dst_unused:UNUSED_PAD src0_sel:DWORD src1_sel:BYTE_1
	v_and_b32_e32 v1, 0x7f, v0
	v_cmpx_ne_u32_e32 0x7f, v1
	s_cbranch_execz .LBB366_248
; %bb.245:                              ;   in Loop: Header=BB366_10 Depth=1
	v_and_b32_e32 v26, 7, v0
	v_mov_b32_e32 v27, v13
	v_lshrrev_b32_e32 v0, 3, v1
	s_mov_b32 s20, exec_lo
	v_cmpx_gt_u32_e32 8, v1
; %bb.246:                              ;   in Loop: Header=BB366_10 Depth=1
	v_ffbh_u32_e32 v0, v26
	v_min_u32_e32 v0, 32, v0
	v_subrev_nc_u32_e32 v1, 28, v0
	v_sub_nc_u32_e32 v0, 29, v0
	v_lshlrev_b64 v[1:2], v1, v[26:27]
	v_and_b32_e32 v26, 7, v1
; %bb.247:                              ;   in Loop: Header=BB366_10 Depth=1
	s_or_b32 exec_lo, exec_lo, s20
	v_lshlrev_b32_e32 v1, 16, v12
	v_lshlrev_b32_e32 v2, 20, v26
	v_lshl_add_u32 v0, v0, 23, 0x3c000000
	v_and_b32_e32 v1, 0x80000000, v1
	v_or3_b32 v45, v2, v1, v0
.LBB366_248:                            ;   in Loop: Header=BB366_10 Depth=1
	s_or_b32 exec_lo, exec_lo, s19
.LBB366_249:                            ;   in Loop: Header=BB366_10 Depth=1
	s_or_b32 exec_lo, exec_lo, s18
.LBB366_250:                            ;   in Loop: Header=BB366_10 Depth=1
	s_or_b32 exec_lo, exec_lo, s6
	v_mov_b32_e32 v0, 0xff
	s_mov_b32 s6, exec_lo
	v_and_b32_sdwa v0, v25, v0 dst_sel:DWORD dst_unused:UNUSED_PAD src0_sel:WORD_1 src1_sel:DWORD
	v_cmpx_ne_u16_e32 0, v0
	s_cbranch_execz .LBB366_258
; %bb.251:                              ;   in Loop: Header=BB366_10 Depth=1
	v_bfrev_b32_e32 v44, 1
	s_mov_b32 s18, exec_lo
	v_cmpx_ne_u16_e32 0x80, v0
	s_cbranch_execz .LBB366_257
; %bb.252:                              ;   in Loop: Header=BB366_10 Depth=1
	v_bfe_u32 v1, v25, 16, 7
	v_mov_b32_e32 v44, 0x7f800001
	s_mov_b32 s19, exec_lo
	v_cmpx_ne_u32_e32 0x7f, v1
	s_cbranch_execz .LBB366_256
; %bb.253:                              ;   in Loop: Header=BB366_10 Depth=1
	v_mov_b32_e32 v0, 7
	s_mov_b32 s20, exec_lo
	v_and_b32_sdwa v12, v25, v0 dst_sel:DWORD dst_unused:UNUSED_PAD src0_sel:WORD_1 src1_sel:DWORD
	v_mov_b32_e32 v27, v13
	v_lshrrev_b32_e32 v0, 3, v1
	v_mov_b32_e32 v26, v12
	v_cmpx_gt_u32_e32 8, v1
; %bb.254:                              ;   in Loop: Header=BB366_10 Depth=1
	v_ffbh_u32_e32 v0, v12
	v_min_u32_e32 v0, 32, v0
	v_subrev_nc_u32_e32 v1, 28, v0
	v_sub_nc_u32_e32 v0, 29, v0
	v_lshlrev_b64 v[1:2], v1, v[12:13]
	v_and_b32_e32 v26, 7, v1
; %bb.255:                              ;   in Loop: Header=BB366_10 Depth=1
	s_or_b32 exec_lo, exec_lo, s20
	v_mov_b32_e32 v1, 24
	v_lshlrev_b32_e32 v2, 20, v26
	v_lshl_add_u32 v0, v0, 23, 0x3c000000
	v_lshlrev_b32_sdwa v1, v1, v25 dst_sel:DWORD dst_unused:UNUSED_PAD src0_sel:DWORD src1_sel:WORD_1
	v_and_b32_e32 v1, 0x80000000, v1
	v_or3_b32 v44, v2, v1, v0
.LBB366_256:                            ;   in Loop: Header=BB366_10 Depth=1
	s_or_b32 exec_lo, exec_lo, s19
.LBB366_257:                            ;   in Loop: Header=BB366_10 Depth=1
	s_or_b32 exec_lo, exec_lo, s18
.LBB366_258:                            ;   in Loop: Header=BB366_10 Depth=1
	s_or_b32 exec_lo, exec_lo, s6
	v_mov_b32_e32 v47, 0
	v_mov_b32_e32 v46, 0
	s_mov_b32 s6, exec_lo
	v_cmpx_lt_u64_e64 s[8:9], v[24:25]
	s_cbranch_execz .LBB366_266
; %bb.259:                              ;   in Loop: Header=BB366_10 Depth=1
	v_mov_b32_e32 v0, 0x80
	v_bfrev_b32_e32 v46, 1
	v_cmp_ne_u32_sdwa s5, v25, v0 src0_sel:BYTE_3 src1_sel:DWORD
	s_and_saveexec_b32 s18, s5
	s_cbranch_execz .LBB366_265
; %bb.260:                              ;   in Loop: Header=BB366_10 Depth=1
	v_bfe_u32 v1, v25, 24, 7
	v_mov_b32_e32 v46, 0x7f800001
	s_mov_b32 s19, exec_lo
	v_cmpx_ne_u32_e32 0x7f, v1
	s_cbranch_execz .LBB366_264
; %bb.261:                              ;   in Loop: Header=BB366_10 Depth=1
	v_mov_b32_e32 v0, 7
	s_mov_b32 s20, exec_lo
	v_and_b32_sdwa v12, v25, v0 dst_sel:DWORD dst_unused:UNUSED_PAD src0_sel:BYTE_3 src1_sel:DWORD
	v_mov_b32_e32 v27, v13
	v_lshrrev_b32_e32 v0, 3, v1
	v_mov_b32_e32 v26, v12
	v_cmpx_gt_u32_e32 8, v1
; %bb.262:                              ;   in Loop: Header=BB366_10 Depth=1
	v_ffbh_u32_e32 v0, v12
	v_min_u32_e32 v0, 32, v0
	v_subrev_nc_u32_e32 v1, 28, v0
	v_sub_nc_u32_e32 v0, 29, v0
	v_lshlrev_b64 v[1:2], v1, v[12:13]
	v_and_b32_e32 v26, 7, v1
; %bb.263:                              ;   in Loop: Header=BB366_10 Depth=1
	s_or_b32 exec_lo, exec_lo, s20
	v_mov_b32_e32 v1, 24
	v_lshlrev_b32_e32 v2, 20, v26
	v_lshl_add_u32 v0, v0, 23, 0x3c000000
	v_lshlrev_b32_sdwa v1, v1, v25 dst_sel:DWORD dst_unused:UNUSED_PAD src0_sel:DWORD src1_sel:BYTE_3
	v_and_b32_e32 v1, 0x80000000, v1
	v_or3_b32 v46, v2, v1, v0
.LBB366_264:                            ;   in Loop: Header=BB366_10 Depth=1
	s_or_b32 exec_lo, exec_lo, s19
.LBB366_265:                            ;   in Loop: Header=BB366_10 Depth=1
	s_or_b32 exec_lo, exec_lo, s18
.LBB366_266:                            ;   in Loop: Header=BB366_10 Depth=1
	s_or_b32 exec_lo, exec_lo, s6
	flat_load_dwordx2 v[24:25], v[16:17] offset:1024
	s_waitcnt vmcnt(0) lgkmcnt(0)
	v_cmp_ne_u16_sdwa s5, v24, v13 src0_sel:BYTE_0 src1_sel:DWORD
	s_and_saveexec_b32 s6, s5
	s_cbranch_execz .LBB366_274
; %bb.267:                              ;   in Loop: Header=BB366_10 Depth=1
	v_mov_b32_e32 v0, 0x80
	v_bfrev_b32_e32 v47, 1
	v_cmp_ne_u16_sdwa s5, v24, v0 src0_sel:BYTE_0 src1_sel:DWORD
	s_and_saveexec_b32 s18, s5
	s_cbranch_execz .LBB366_273
; %bb.268:                              ;   in Loop: Header=BB366_10 Depth=1
	v_and_b32_e32 v1, 0x7f, v24
	v_mov_b32_e32 v47, 0x7f800001
	s_mov_b32 s19, exec_lo
	v_cmpx_ne_u32_e32 0x7f, v1
	s_cbranch_execz .LBB366_272
; %bb.269:                              ;   in Loop: Header=BB366_10 Depth=1
	v_mov_b32_e32 v27, v25
	v_lshrrev_b32_e32 v0, 3, v1
	v_mov_b32_e32 v26, v24
	s_mov_b32 s20, exec_lo
	v_cmpx_gt_u32_e32 8, v1
; %bb.270:                              ;   in Loop: Header=BB366_10 Depth=1
	v_and_b32_e32 v0, 7, v24
	v_ffbh_u32_e32 v0, v0
	v_min_u32_e32 v0, 32, v0
	v_subrev_nc_u32_e32 v1, 28, v0
	v_sub_nc_u32_e32 v0, 29, v0
	v_lshlrev_b64 v[26:27], v1, v[24:25]
; %bb.271:                              ;   in Loop: Header=BB366_10 Depth=1
	s_or_b32 exec_lo, exec_lo, s20
	v_lshlrev_b32_e32 v1, 20, v26
	v_lshlrev_b32_e32 v2, 24, v24
	v_lshl_add_u32 v0, v0, 23, 0x3c000000
	v_and_b32_e32 v1, 0x700000, v1
	v_and_b32_e32 v2, 0x80000000, v2
	v_or3_b32 v47, v1, v2, v0
.LBB366_272:                            ;   in Loop: Header=BB366_10 Depth=1
	s_or_b32 exec_lo, exec_lo, s19
.LBB366_273:                            ;   in Loop: Header=BB366_10 Depth=1
	s_or_b32 exec_lo, exec_lo, s18
.LBB366_274:                            ;   in Loop: Header=BB366_10 Depth=1
	s_or_b32 exec_lo, exec_lo, s6
	v_cmp_ne_u16_sdwa s5, v24, v13 src0_sel:BYTE_1 src1_sel:DWORD
	v_mov_b32_e32 v57, 0
	v_mov_b32_e32 v56, 0
	s_and_saveexec_b32 s6, s5
	s_cbranch_execz .LBB366_282
; %bb.275:                              ;   in Loop: Header=BB366_10 Depth=1
	v_mov_b32_e32 v0, 0x80
	v_bfrev_b32_e32 v56, 1
	v_cmp_ne_u16_sdwa s5, v24, v0 src0_sel:BYTE_1 src1_sel:DWORD
	s_and_saveexec_b32 s18, s5
	s_cbranch_execz .LBB366_281
; %bb.276:                              ;   in Loop: Header=BB366_10 Depth=1
	v_mov_b32_e32 v0, 0xffff
	v_mov_b32_e32 v56, 0x7f800001
	s_mov_b32 s19, exec_lo
	v_and_b32_sdwa v0, v0, v24 dst_sel:DWORD dst_unused:UNUSED_PAD src0_sel:DWORD src1_sel:BYTE_1
	v_and_b32_e32 v1, 0x7f, v0
	v_cmpx_ne_u32_e32 0x7f, v1
	s_cbranch_execz .LBB366_280
; %bb.277:                              ;   in Loop: Header=BB366_10 Depth=1
	v_and_b32_e32 v12, 7, v0
	v_mov_b32_e32 v27, v13
	v_lshrrev_b32_e32 v0, 3, v1
	s_mov_b32 s20, exec_lo
	v_mov_b32_e32 v26, v12
	v_cmpx_gt_u32_e32 8, v1
; %bb.278:                              ;   in Loop: Header=BB366_10 Depth=1
	v_ffbh_u32_e32 v0, v12
	v_min_u32_e32 v0, 32, v0
	v_subrev_nc_u32_e32 v1, 28, v0
	v_sub_nc_u32_e32 v0, 29, v0
	v_lshlrev_b64 v[1:2], v1, v[12:13]
	v_and_b32_e32 v26, 7, v1
; %bb.279:                              ;   in Loop: Header=BB366_10 Depth=1
	s_or_b32 exec_lo, exec_lo, s20
	v_lshlrev_b32_e32 v1, 16, v24
	v_lshlrev_b32_e32 v2, 20, v26
	v_lshl_add_u32 v0, v0, 23, 0x3c000000
	v_and_b32_e32 v1, 0x80000000, v1
	v_or3_b32 v56, v2, v1, v0
.LBB366_280:                            ;   in Loop: Header=BB366_10 Depth=1
	s_or_b32 exec_lo, exec_lo, s19
.LBB366_281:                            ;   in Loop: Header=BB366_10 Depth=1
	s_or_b32 exec_lo, exec_lo, s18
.LBB366_282:                            ;   in Loop: Header=BB366_10 Depth=1
	s_or_b32 exec_lo, exec_lo, s6
	v_mov_b32_e32 v0, 0xff
	s_mov_b32 s6, exec_lo
	v_and_b32_sdwa v0, v24, v0 dst_sel:DWORD dst_unused:UNUSED_PAD src0_sel:WORD_1 src1_sel:DWORD
	v_cmpx_ne_u16_e32 0, v0
	s_cbranch_execz .LBB366_290
; %bb.283:                              ;   in Loop: Header=BB366_10 Depth=1
	v_bfrev_b32_e32 v57, 1
	s_mov_b32 s18, exec_lo
	v_cmpx_ne_u16_e32 0x80, v0
	s_cbranch_execz .LBB366_289
; %bb.284:                              ;   in Loop: Header=BB366_10 Depth=1
	v_bfe_u32 v1, v24, 16, 7
	v_mov_b32_e32 v57, 0x7f800001
	s_mov_b32 s19, exec_lo
	v_cmpx_ne_u32_e32 0x7f, v1
	s_cbranch_execz .LBB366_288
; %bb.285:                              ;   in Loop: Header=BB366_10 Depth=1
	v_mov_b32_e32 v0, 7
	s_mov_b32 s20, exec_lo
	v_and_b32_sdwa v12, v24, v0 dst_sel:DWORD dst_unused:UNUSED_PAD src0_sel:WORD_1 src1_sel:DWORD
	v_mov_b32_e32 v27, v13
	v_lshrrev_b32_e32 v0, 3, v1
	v_mov_b32_e32 v26, v12
	v_cmpx_gt_u32_e32 8, v1
; %bb.286:                              ;   in Loop: Header=BB366_10 Depth=1
	v_ffbh_u32_e32 v0, v12
	v_min_u32_e32 v0, 32, v0
	v_subrev_nc_u32_e32 v1, 28, v0
	v_sub_nc_u32_e32 v0, 29, v0
	v_lshlrev_b64 v[1:2], v1, v[12:13]
	v_and_b32_e32 v26, 7, v1
; %bb.287:                              ;   in Loop: Header=BB366_10 Depth=1
	s_or_b32 exec_lo, exec_lo, s20
	v_mov_b32_e32 v1, 24
	v_lshlrev_b32_e32 v2, 20, v26
	v_lshl_add_u32 v0, v0, 23, 0x3c000000
	v_lshlrev_b32_sdwa v1, v1, v24 dst_sel:DWORD dst_unused:UNUSED_PAD src0_sel:DWORD src1_sel:WORD_1
	v_and_b32_e32 v1, 0x80000000, v1
	v_or3_b32 v57, v2, v1, v0
.LBB366_288:                            ;   in Loop: Header=BB366_10 Depth=1
	s_or_b32 exec_lo, exec_lo, s19
.LBB366_289:                            ;   in Loop: Header=BB366_10 Depth=1
	s_or_b32 exec_lo, exec_lo, s18
.LBB366_290:                            ;   in Loop: Header=BB366_10 Depth=1
	s_or_b32 exec_lo, exec_lo, s6
	v_mov_b32_e32 v59, 0
	v_mov_b32_e32 v58, 0
	s_mov_b32 s6, exec_lo
	v_cmpx_lt_u32_e32 0xffffff, v24
	s_cbranch_execz .LBB366_298
; %bb.291:                              ;   in Loop: Header=BB366_10 Depth=1
	v_mov_b32_e32 v0, 0x80
	v_bfrev_b32_e32 v58, 1
	v_cmp_ne_u32_sdwa s5, v24, v0 src0_sel:BYTE_3 src1_sel:DWORD
	s_and_saveexec_b32 s18, s5
	s_cbranch_execz .LBB366_297
; %bb.292:                              ;   in Loop: Header=BB366_10 Depth=1
	v_bfe_u32 v1, v24, 24, 7
	v_mov_b32_e32 v58, 0x7f800001
	s_mov_b32 s19, exec_lo
	v_cmpx_ne_u32_e32 0x7f, v1
	s_cbranch_execz .LBB366_296
; %bb.293:                              ;   in Loop: Header=BB366_10 Depth=1
	v_mov_b32_e32 v0, 7
	s_mov_b32 s20, exec_lo
	v_and_b32_sdwa v12, v24, v0 dst_sel:DWORD dst_unused:UNUSED_PAD src0_sel:BYTE_3 src1_sel:DWORD
	v_mov_b32_e32 v27, v13
	v_lshrrev_b32_e32 v0, 3, v1
	v_mov_b32_e32 v26, v12
	v_cmpx_gt_u32_e32 8, v1
; %bb.294:                              ;   in Loop: Header=BB366_10 Depth=1
	v_ffbh_u32_e32 v0, v12
	v_min_u32_e32 v0, 32, v0
	v_subrev_nc_u32_e32 v1, 28, v0
	v_sub_nc_u32_e32 v0, 29, v0
	v_lshlrev_b64 v[1:2], v1, v[12:13]
	v_and_b32_e32 v26, 7, v1
; %bb.295:                              ;   in Loop: Header=BB366_10 Depth=1
	s_or_b32 exec_lo, exec_lo, s20
	v_mov_b32_e32 v1, 24
	v_lshlrev_b32_e32 v2, 20, v26
	v_lshl_add_u32 v0, v0, 23, 0x3c000000
	v_lshlrev_b32_sdwa v1, v1, v24 dst_sel:DWORD dst_unused:UNUSED_PAD src0_sel:DWORD src1_sel:BYTE_3
	v_and_b32_e32 v1, 0x80000000, v1
	v_or3_b32 v58, v2, v1, v0
.LBB366_296:                            ;   in Loop: Header=BB366_10 Depth=1
	s_or_b32 exec_lo, exec_lo, s19
.LBB366_297:                            ;   in Loop: Header=BB366_10 Depth=1
	s_or_b32 exec_lo, exec_lo, s18
.LBB366_298:                            ;   in Loop: Header=BB366_10 Depth=1
	s_or_b32 exec_lo, exec_lo, s6
	v_mov_b32_e32 v12, v25
	v_cmp_ne_u16_sdwa s5, v25, v13 src0_sel:BYTE_0 src1_sel:DWORD
	s_and_saveexec_b32 s6, s5
	s_cbranch_execz .LBB366_306
; %bb.299:                              ;   in Loop: Header=BB366_10 Depth=1
	v_mov_b32_e32 v0, 0x80
	v_bfrev_b32_e32 v59, 1
	v_cmp_ne_u16_sdwa s5, v25, v0 src0_sel:BYTE_0 src1_sel:DWORD
	s_and_saveexec_b32 s18, s5
	s_cbranch_execz .LBB366_305
; %bb.300:                              ;   in Loop: Header=BB366_10 Depth=1
	v_and_b32_e32 v1, 0x7f, v25
	v_mov_b32_e32 v59, 0x7f800001
	s_mov_b32 s19, exec_lo
	v_cmpx_ne_u32_e32 0x7f, v1
	s_cbranch_execz .LBB366_304
; %bb.301:                              ;   in Loop: Header=BB366_10 Depth=1
	v_mov_b32_e32 v27, v13
	v_lshrrev_b32_e32 v0, 3, v1
	v_mov_b32_e32 v26, v12
	s_mov_b32 s20, exec_lo
	v_cmpx_gt_u32_e32 8, v1
; %bb.302:                              ;   in Loop: Header=BB366_10 Depth=1
	v_and_b32_e32 v0, 7, v25
	v_ffbh_u32_e32 v0, v0
	v_min_u32_e32 v0, 32, v0
	v_subrev_nc_u32_e32 v1, 28, v0
	v_sub_nc_u32_e32 v0, 29, v0
	v_lshlrev_b64 v[26:27], v1, v[12:13]
; %bb.303:                              ;   in Loop: Header=BB366_10 Depth=1
	s_or_b32 exec_lo, exec_lo, s20
	v_lshlrev_b32_e32 v1, 20, v26
	v_lshlrev_b32_e32 v2, 24, v12
	v_lshl_add_u32 v0, v0, 23, 0x3c000000
	v_and_b32_e32 v1, 0x700000, v1
	v_and_b32_e32 v2, 0x80000000, v2
	v_or3_b32 v59, v1, v2, v0
.LBB366_304:                            ;   in Loop: Header=BB366_10 Depth=1
	s_or_b32 exec_lo, exec_lo, s19
.LBB366_305:                            ;   in Loop: Header=BB366_10 Depth=1
	s_or_b32 exec_lo, exec_lo, s18
.LBB366_306:                            ;   in Loop: Header=BB366_10 Depth=1
	s_or_b32 exec_lo, exec_lo, s6
	v_cmp_ne_u16_sdwa s5, v12, v13 src0_sel:BYTE_1 src1_sel:DWORD
	v_mov_b32_e32 v60, 0
	v_mov_b32_e32 v61, 0
	s_and_saveexec_b32 s6, s5
	s_cbranch_execz .LBB366_314
; %bb.307:                              ;   in Loop: Header=BB366_10 Depth=1
	v_mov_b32_e32 v0, 0x80
	v_bfrev_b32_e32 v61, 1
	v_cmp_ne_u16_sdwa s5, v12, v0 src0_sel:BYTE_1 src1_sel:DWORD
	s_and_saveexec_b32 s18, s5
	s_cbranch_execz .LBB366_313
; %bb.308:                              ;   in Loop: Header=BB366_10 Depth=1
	v_mov_b32_e32 v0, 0xffff
	v_mov_b32_e32 v61, 0x7f800001
	s_mov_b32 s19, exec_lo
	v_and_b32_sdwa v0, v0, v12 dst_sel:DWORD dst_unused:UNUSED_PAD src0_sel:DWORD src1_sel:BYTE_1
	v_and_b32_e32 v1, 0x7f, v0
	v_cmpx_ne_u32_e32 0x7f, v1
	s_cbranch_execz .LBB366_312
; %bb.309:                              ;   in Loop: Header=BB366_10 Depth=1
	v_and_b32_e32 v26, 7, v0
	v_mov_b32_e32 v27, v13
	v_lshrrev_b32_e32 v0, 3, v1
	s_mov_b32 s20, exec_lo
	v_cmpx_gt_u32_e32 8, v1
; %bb.310:                              ;   in Loop: Header=BB366_10 Depth=1
	v_ffbh_u32_e32 v0, v26
	v_min_u32_e32 v0, 32, v0
	v_subrev_nc_u32_e32 v1, 28, v0
	v_sub_nc_u32_e32 v0, 29, v0
	v_lshlrev_b64 v[1:2], v1, v[26:27]
	v_and_b32_e32 v26, 7, v1
; %bb.311:                              ;   in Loop: Header=BB366_10 Depth=1
	s_or_b32 exec_lo, exec_lo, s20
	v_lshlrev_b32_e32 v1, 16, v12
	v_lshlrev_b32_e32 v2, 20, v26
	v_lshl_add_u32 v0, v0, 23, 0x3c000000
	v_and_b32_e32 v1, 0x80000000, v1
	v_or3_b32 v61, v2, v1, v0
.LBB366_312:                            ;   in Loop: Header=BB366_10 Depth=1
	s_or_b32 exec_lo, exec_lo, s19
.LBB366_313:                            ;   in Loop: Header=BB366_10 Depth=1
	s_or_b32 exec_lo, exec_lo, s18
.LBB366_314:                            ;   in Loop: Header=BB366_10 Depth=1
	s_or_b32 exec_lo, exec_lo, s6
	v_mov_b32_e32 v0, 0xff
	s_mov_b32 s6, exec_lo
	v_and_b32_sdwa v0, v25, v0 dst_sel:DWORD dst_unused:UNUSED_PAD src0_sel:WORD_1 src1_sel:DWORD
	v_cmpx_ne_u16_e32 0, v0
	s_cbranch_execz .LBB366_322
; %bb.315:                              ;   in Loop: Header=BB366_10 Depth=1
	v_bfrev_b32_e32 v60, 1
	s_mov_b32 s18, exec_lo
	v_cmpx_ne_u16_e32 0x80, v0
	s_cbranch_execz .LBB366_321
; %bb.316:                              ;   in Loop: Header=BB366_10 Depth=1
	v_bfe_u32 v1, v25, 16, 7
	v_mov_b32_e32 v60, 0x7f800001
	s_mov_b32 s19, exec_lo
	v_cmpx_ne_u32_e32 0x7f, v1
	s_cbranch_execz .LBB366_320
; %bb.317:                              ;   in Loop: Header=BB366_10 Depth=1
	v_mov_b32_e32 v0, 7
	s_mov_b32 s20, exec_lo
	v_and_b32_sdwa v12, v25, v0 dst_sel:DWORD dst_unused:UNUSED_PAD src0_sel:WORD_1 src1_sel:DWORD
	v_mov_b32_e32 v27, v13
	v_lshrrev_b32_e32 v0, 3, v1
	v_mov_b32_e32 v26, v12
	v_cmpx_gt_u32_e32 8, v1
; %bb.318:                              ;   in Loop: Header=BB366_10 Depth=1
	v_ffbh_u32_e32 v0, v12
	v_min_u32_e32 v0, 32, v0
	v_subrev_nc_u32_e32 v1, 28, v0
	v_sub_nc_u32_e32 v0, 29, v0
	v_lshlrev_b64 v[1:2], v1, v[12:13]
	v_and_b32_e32 v26, 7, v1
; %bb.319:                              ;   in Loop: Header=BB366_10 Depth=1
	s_or_b32 exec_lo, exec_lo, s20
	v_mov_b32_e32 v1, 24
	v_lshlrev_b32_e32 v2, 20, v26
	v_lshl_add_u32 v0, v0, 23, 0x3c000000
	v_lshlrev_b32_sdwa v1, v1, v25 dst_sel:DWORD dst_unused:UNUSED_PAD src0_sel:DWORD src1_sel:WORD_1
	v_and_b32_e32 v1, 0x80000000, v1
	v_or3_b32 v60, v2, v1, v0
.LBB366_320:                            ;   in Loop: Header=BB366_10 Depth=1
	s_or_b32 exec_lo, exec_lo, s19
.LBB366_321:                            ;   in Loop: Header=BB366_10 Depth=1
	s_or_b32 exec_lo, exec_lo, s18
.LBB366_322:                            ;   in Loop: Header=BB366_10 Depth=1
	s_or_b32 exec_lo, exec_lo, s6
	v_mov_b32_e32 v63, 0
	v_mov_b32_e32 v62, 0
	s_mov_b32 s6, exec_lo
	v_cmpx_lt_u64_e64 s[8:9], v[24:25]
	s_cbranch_execz .LBB366_330
; %bb.323:                              ;   in Loop: Header=BB366_10 Depth=1
	v_mov_b32_e32 v0, 0x80
	v_bfrev_b32_e32 v62, 1
	v_cmp_ne_u32_sdwa s5, v25, v0 src0_sel:BYTE_3 src1_sel:DWORD
	s_and_saveexec_b32 s18, s5
	s_cbranch_execz .LBB366_329
; %bb.324:                              ;   in Loop: Header=BB366_10 Depth=1
	v_bfe_u32 v1, v25, 24, 7
	v_mov_b32_e32 v62, 0x7f800001
	s_mov_b32 s19, exec_lo
	v_cmpx_ne_u32_e32 0x7f, v1
	s_cbranch_execz .LBB366_328
; %bb.325:                              ;   in Loop: Header=BB366_10 Depth=1
	v_mov_b32_e32 v0, 7
	s_mov_b32 s20, exec_lo
	v_and_b32_sdwa v12, v25, v0 dst_sel:DWORD dst_unused:UNUSED_PAD src0_sel:BYTE_3 src1_sel:DWORD
	v_mov_b32_e32 v27, v13
	v_lshrrev_b32_e32 v0, 3, v1
	v_mov_b32_e32 v26, v12
	v_cmpx_gt_u32_e32 8, v1
; %bb.326:                              ;   in Loop: Header=BB366_10 Depth=1
	v_ffbh_u32_e32 v0, v12
	v_min_u32_e32 v0, 32, v0
	v_subrev_nc_u32_e32 v1, 28, v0
	v_sub_nc_u32_e32 v0, 29, v0
	v_lshlrev_b64 v[1:2], v1, v[12:13]
	v_and_b32_e32 v26, 7, v1
; %bb.327:                              ;   in Loop: Header=BB366_10 Depth=1
	s_or_b32 exec_lo, exec_lo, s20
	v_mov_b32_e32 v1, 24
	v_lshlrev_b32_e32 v2, 20, v26
	v_lshl_add_u32 v0, v0, 23, 0x3c000000
	v_lshlrev_b32_sdwa v1, v1, v25 dst_sel:DWORD dst_unused:UNUSED_PAD src0_sel:DWORD src1_sel:BYTE_3
	v_and_b32_e32 v1, 0x80000000, v1
	v_or3_b32 v62, v2, v1, v0
.LBB366_328:                            ;   in Loop: Header=BB366_10 Depth=1
	s_or_b32 exec_lo, exec_lo, s19
.LBB366_329:                            ;   in Loop: Header=BB366_10 Depth=1
	s_or_b32 exec_lo, exec_lo, s18
.LBB366_330:                            ;   in Loop: Header=BB366_10 Depth=1
	s_or_b32 exec_lo, exec_lo, s6
	flat_load_dwordx2 v[24:25], v[16:17] offset:1032
	s_waitcnt vmcnt(0) lgkmcnt(0)
	v_cmp_ne_u16_sdwa s5, v24, v13 src0_sel:BYTE_0 src1_sel:DWORD
	s_and_saveexec_b32 s6, s5
	s_cbranch_execz .LBB366_338
; %bb.331:                              ;   in Loop: Header=BB366_10 Depth=1
	v_mov_b32_e32 v0, 0x80
	v_bfrev_b32_e32 v63, 1
	v_cmp_ne_u16_sdwa s5, v24, v0 src0_sel:BYTE_0 src1_sel:DWORD
	s_and_saveexec_b32 s18, s5
	s_cbranch_execz .LBB366_337
; %bb.332:                              ;   in Loop: Header=BB366_10 Depth=1
	v_and_b32_e32 v1, 0x7f, v24
	v_mov_b32_e32 v63, 0x7f800001
	s_mov_b32 s19, exec_lo
	v_cmpx_ne_u32_e32 0x7f, v1
	s_cbranch_execz .LBB366_336
; %bb.333:                              ;   in Loop: Header=BB366_10 Depth=1
	v_mov_b32_e32 v27, v25
	v_lshrrev_b32_e32 v0, 3, v1
	v_mov_b32_e32 v26, v24
	s_mov_b32 s20, exec_lo
	v_cmpx_gt_u32_e32 8, v1
; %bb.334:                              ;   in Loop: Header=BB366_10 Depth=1
	v_and_b32_e32 v0, 7, v24
	v_ffbh_u32_e32 v0, v0
	v_min_u32_e32 v0, 32, v0
	v_subrev_nc_u32_e32 v1, 28, v0
	v_sub_nc_u32_e32 v0, 29, v0
	v_lshlrev_b64 v[26:27], v1, v[24:25]
; %bb.335:                              ;   in Loop: Header=BB366_10 Depth=1
	s_or_b32 exec_lo, exec_lo, s20
	v_lshlrev_b32_e32 v1, 20, v26
	v_lshlrev_b32_e32 v2, 24, v24
	v_lshl_add_u32 v0, v0, 23, 0x3c000000
	v_and_b32_e32 v1, 0x700000, v1
	v_and_b32_e32 v2, 0x80000000, v2
	v_or3_b32 v63, v1, v2, v0
.LBB366_336:                            ;   in Loop: Header=BB366_10 Depth=1
	s_or_b32 exec_lo, exec_lo, s19
.LBB366_337:                            ;   in Loop: Header=BB366_10 Depth=1
	s_or_b32 exec_lo, exec_lo, s18
.LBB366_338:                            ;   in Loop: Header=BB366_10 Depth=1
	s_or_b32 exec_lo, exec_lo, s6
	v_cmp_ne_u16_sdwa s5, v24, v13 src0_sel:BYTE_1 src1_sel:DWORD
	v_mov_b32_e32 v73, 0
	v_mov_b32_e32 v72, 0
	s_and_saveexec_b32 s6, s5
	s_cbranch_execz .LBB366_346
; %bb.339:                              ;   in Loop: Header=BB366_10 Depth=1
	v_mov_b32_e32 v0, 0x80
	v_bfrev_b32_e32 v72, 1
	v_cmp_ne_u16_sdwa s5, v24, v0 src0_sel:BYTE_1 src1_sel:DWORD
	s_and_saveexec_b32 s18, s5
	s_cbranch_execz .LBB366_345
; %bb.340:                              ;   in Loop: Header=BB366_10 Depth=1
	v_mov_b32_e32 v0, 0xffff
	v_mov_b32_e32 v72, 0x7f800001
	s_mov_b32 s19, exec_lo
	v_and_b32_sdwa v0, v0, v24 dst_sel:DWORD dst_unused:UNUSED_PAD src0_sel:DWORD src1_sel:BYTE_1
	v_and_b32_e32 v1, 0x7f, v0
	v_cmpx_ne_u32_e32 0x7f, v1
	s_cbranch_execz .LBB366_344
; %bb.341:                              ;   in Loop: Header=BB366_10 Depth=1
	v_and_b32_e32 v12, 7, v0
	v_mov_b32_e32 v27, v13
	v_lshrrev_b32_e32 v0, 3, v1
	s_mov_b32 s20, exec_lo
	v_mov_b32_e32 v26, v12
	v_cmpx_gt_u32_e32 8, v1
; %bb.342:                              ;   in Loop: Header=BB366_10 Depth=1
	v_ffbh_u32_e32 v0, v12
	v_min_u32_e32 v0, 32, v0
	v_subrev_nc_u32_e32 v1, 28, v0
	v_sub_nc_u32_e32 v0, 29, v0
	v_lshlrev_b64 v[1:2], v1, v[12:13]
	v_and_b32_e32 v26, 7, v1
; %bb.343:                              ;   in Loop: Header=BB366_10 Depth=1
	s_or_b32 exec_lo, exec_lo, s20
	v_lshlrev_b32_e32 v1, 16, v24
	v_lshlrev_b32_e32 v2, 20, v26
	v_lshl_add_u32 v0, v0, 23, 0x3c000000
	v_and_b32_e32 v1, 0x80000000, v1
	v_or3_b32 v72, v2, v1, v0
.LBB366_344:                            ;   in Loop: Header=BB366_10 Depth=1
	s_or_b32 exec_lo, exec_lo, s19
.LBB366_345:                            ;   in Loop: Header=BB366_10 Depth=1
	s_or_b32 exec_lo, exec_lo, s18
.LBB366_346:                            ;   in Loop: Header=BB366_10 Depth=1
	s_or_b32 exec_lo, exec_lo, s6
	v_mov_b32_e32 v0, 0xff
	s_mov_b32 s6, exec_lo
	v_and_b32_sdwa v0, v24, v0 dst_sel:DWORD dst_unused:UNUSED_PAD src0_sel:WORD_1 src1_sel:DWORD
	v_cmpx_ne_u16_e32 0, v0
	s_cbranch_execz .LBB366_354
; %bb.347:                              ;   in Loop: Header=BB366_10 Depth=1
	v_bfrev_b32_e32 v73, 1
	s_mov_b32 s18, exec_lo
	v_cmpx_ne_u16_e32 0x80, v0
	s_cbranch_execz .LBB366_353
; %bb.348:                              ;   in Loop: Header=BB366_10 Depth=1
	v_bfe_u32 v1, v24, 16, 7
	v_mov_b32_e32 v73, 0x7f800001
	s_mov_b32 s19, exec_lo
	v_cmpx_ne_u32_e32 0x7f, v1
	s_cbranch_execz .LBB366_352
; %bb.349:                              ;   in Loop: Header=BB366_10 Depth=1
	v_mov_b32_e32 v0, 7
	s_mov_b32 s20, exec_lo
	v_and_b32_sdwa v12, v24, v0 dst_sel:DWORD dst_unused:UNUSED_PAD src0_sel:WORD_1 src1_sel:DWORD
	v_mov_b32_e32 v27, v13
	v_lshrrev_b32_e32 v0, 3, v1
	v_mov_b32_e32 v26, v12
	v_cmpx_gt_u32_e32 8, v1
; %bb.350:                              ;   in Loop: Header=BB366_10 Depth=1
	v_ffbh_u32_e32 v0, v12
	v_min_u32_e32 v0, 32, v0
	v_subrev_nc_u32_e32 v1, 28, v0
	v_sub_nc_u32_e32 v0, 29, v0
	v_lshlrev_b64 v[1:2], v1, v[12:13]
	v_and_b32_e32 v26, 7, v1
; %bb.351:                              ;   in Loop: Header=BB366_10 Depth=1
	s_or_b32 exec_lo, exec_lo, s20
	v_mov_b32_e32 v1, 24
	v_lshlrev_b32_e32 v2, 20, v26
	v_lshl_add_u32 v0, v0, 23, 0x3c000000
	v_lshlrev_b32_sdwa v1, v1, v24 dst_sel:DWORD dst_unused:UNUSED_PAD src0_sel:DWORD src1_sel:WORD_1
	v_and_b32_e32 v1, 0x80000000, v1
	v_or3_b32 v73, v2, v1, v0
.LBB366_352:                            ;   in Loop: Header=BB366_10 Depth=1
	s_or_b32 exec_lo, exec_lo, s19
.LBB366_353:                            ;   in Loop: Header=BB366_10 Depth=1
	s_or_b32 exec_lo, exec_lo, s18
.LBB366_354:                            ;   in Loop: Header=BB366_10 Depth=1
	s_or_b32 exec_lo, exec_lo, s6
	v_mov_b32_e32 v74, 0
	v_mov_b32_e32 v32, 0
	s_mov_b32 s6, exec_lo
	v_cmpx_lt_u32_e32 0xffffff, v24
	s_cbranch_execz .LBB366_362
; %bb.355:                              ;   in Loop: Header=BB366_10 Depth=1
	v_mov_b32_e32 v0, 0x80
	v_bfrev_b32_e32 v32, 1
	v_cmp_ne_u32_sdwa s5, v24, v0 src0_sel:BYTE_3 src1_sel:DWORD
	s_and_saveexec_b32 s18, s5
	s_cbranch_execz .LBB366_361
; %bb.356:                              ;   in Loop: Header=BB366_10 Depth=1
	v_bfe_u32 v1, v24, 24, 7
	v_mov_b32_e32 v32, 0x7f800001
	s_mov_b32 s19, exec_lo
	v_cmpx_ne_u32_e32 0x7f, v1
	s_cbranch_execz .LBB366_360
; %bb.357:                              ;   in Loop: Header=BB366_10 Depth=1
	v_mov_b32_e32 v0, 7
	s_mov_b32 s20, exec_lo
	v_and_b32_sdwa v12, v24, v0 dst_sel:DWORD dst_unused:UNUSED_PAD src0_sel:BYTE_3 src1_sel:DWORD
	v_mov_b32_e32 v27, v13
	v_lshrrev_b32_e32 v0, 3, v1
	v_mov_b32_e32 v26, v12
	v_cmpx_gt_u32_e32 8, v1
; %bb.358:                              ;   in Loop: Header=BB366_10 Depth=1
	v_ffbh_u32_e32 v0, v12
	v_min_u32_e32 v0, 32, v0
	v_subrev_nc_u32_e32 v1, 28, v0
	v_sub_nc_u32_e32 v0, 29, v0
	v_lshlrev_b64 v[1:2], v1, v[12:13]
	v_and_b32_e32 v26, 7, v1
; %bb.359:                              ;   in Loop: Header=BB366_10 Depth=1
	s_or_b32 exec_lo, exec_lo, s20
	v_mov_b32_e32 v1, 24
	v_lshlrev_b32_e32 v2, 20, v26
	v_lshl_add_u32 v0, v0, 23, 0x3c000000
	v_lshlrev_b32_sdwa v1, v1, v24 dst_sel:DWORD dst_unused:UNUSED_PAD src0_sel:DWORD src1_sel:BYTE_3
	v_and_b32_e32 v1, 0x80000000, v1
	v_or3_b32 v32, v2, v1, v0
.LBB366_360:                            ;   in Loop: Header=BB366_10 Depth=1
	s_or_b32 exec_lo, exec_lo, s19
.LBB366_361:                            ;   in Loop: Header=BB366_10 Depth=1
	s_or_b32 exec_lo, exec_lo, s18
.LBB366_362:                            ;   in Loop: Header=BB366_10 Depth=1
	s_or_b32 exec_lo, exec_lo, s6
	v_mov_b32_e32 v12, v25
	v_cmp_ne_u16_sdwa s5, v25, v13 src0_sel:BYTE_0 src1_sel:DWORD
	s_and_saveexec_b32 s6, s5
	s_cbranch_execz .LBB366_370
; %bb.363:                              ;   in Loop: Header=BB366_10 Depth=1
	v_mov_b32_e32 v0, 0x80
	v_bfrev_b32_e32 v74, 1
	v_cmp_ne_u16_sdwa s5, v25, v0 src0_sel:BYTE_0 src1_sel:DWORD
	s_and_saveexec_b32 s18, s5
	s_cbranch_execz .LBB366_369
; %bb.364:                              ;   in Loop: Header=BB366_10 Depth=1
	v_and_b32_e32 v1, 0x7f, v25
	v_mov_b32_e32 v74, 0x7f800001
	s_mov_b32 s19, exec_lo
	v_cmpx_ne_u32_e32 0x7f, v1
	s_cbranch_execz .LBB366_368
; %bb.365:                              ;   in Loop: Header=BB366_10 Depth=1
	v_mov_b32_e32 v27, v13
	v_lshrrev_b32_e32 v0, 3, v1
	v_mov_b32_e32 v26, v12
	s_mov_b32 s20, exec_lo
	v_cmpx_gt_u32_e32 8, v1
; %bb.366:                              ;   in Loop: Header=BB366_10 Depth=1
	v_and_b32_e32 v0, 7, v25
	v_ffbh_u32_e32 v0, v0
	v_min_u32_e32 v0, 32, v0
	v_subrev_nc_u32_e32 v1, 28, v0
	v_sub_nc_u32_e32 v0, 29, v0
	v_lshlrev_b64 v[26:27], v1, v[12:13]
; %bb.367:                              ;   in Loop: Header=BB366_10 Depth=1
	s_or_b32 exec_lo, exec_lo, s20
	v_lshlrev_b32_e32 v1, 20, v26
	v_lshlrev_b32_e32 v2, 24, v12
	v_lshl_add_u32 v0, v0, 23, 0x3c000000
	v_and_b32_e32 v1, 0x700000, v1
	v_and_b32_e32 v2, 0x80000000, v2
	v_or3_b32 v74, v1, v2, v0
.LBB366_368:                            ;   in Loop: Header=BB366_10 Depth=1
	s_or_b32 exec_lo, exec_lo, s19
.LBB366_369:                            ;   in Loop: Header=BB366_10 Depth=1
	s_or_b32 exec_lo, exec_lo, s18
.LBB366_370:                            ;   in Loop: Header=BB366_10 Depth=1
	s_or_b32 exec_lo, exec_lo, s6
	v_cmp_ne_u16_sdwa s5, v12, v13 src0_sel:BYTE_1 src1_sel:DWORD
	v_mov_b32_e32 v75, 0
	v_mov_b32_e32 v76, 0
	s_and_saveexec_b32 s6, s5
	s_cbranch_execz .LBB366_378
; %bb.371:                              ;   in Loop: Header=BB366_10 Depth=1
	v_mov_b32_e32 v0, 0x80
	v_bfrev_b32_e32 v76, 1
	v_cmp_ne_u16_sdwa s5, v12, v0 src0_sel:BYTE_1 src1_sel:DWORD
	s_and_saveexec_b32 s18, s5
	s_cbranch_execz .LBB366_377
; %bb.372:                              ;   in Loop: Header=BB366_10 Depth=1
	v_mov_b32_e32 v0, 0xffff
	v_mov_b32_e32 v76, 0x7f800001
	s_mov_b32 s19, exec_lo
	v_and_b32_sdwa v0, v0, v12 dst_sel:DWORD dst_unused:UNUSED_PAD src0_sel:DWORD src1_sel:BYTE_1
	v_and_b32_e32 v1, 0x7f, v0
	v_cmpx_ne_u32_e32 0x7f, v1
	s_cbranch_execz .LBB366_376
; %bb.373:                              ;   in Loop: Header=BB366_10 Depth=1
	v_and_b32_e32 v26, 7, v0
	v_mov_b32_e32 v27, v13
	v_lshrrev_b32_e32 v0, 3, v1
	s_mov_b32 s20, exec_lo
	v_cmpx_gt_u32_e32 8, v1
; %bb.374:                              ;   in Loop: Header=BB366_10 Depth=1
	v_ffbh_u32_e32 v0, v26
	v_min_u32_e32 v0, 32, v0
	v_subrev_nc_u32_e32 v1, 28, v0
	v_sub_nc_u32_e32 v0, 29, v0
	v_lshlrev_b64 v[1:2], v1, v[26:27]
	v_and_b32_e32 v26, 7, v1
; %bb.375:                              ;   in Loop: Header=BB366_10 Depth=1
	s_or_b32 exec_lo, exec_lo, s20
	v_lshlrev_b32_e32 v1, 16, v12
	v_lshlrev_b32_e32 v2, 20, v26
	v_lshl_add_u32 v0, v0, 23, 0x3c000000
	v_and_b32_e32 v1, 0x80000000, v1
	v_or3_b32 v76, v2, v1, v0
.LBB366_376:                            ;   in Loop: Header=BB366_10 Depth=1
	s_or_b32 exec_lo, exec_lo, s19
.LBB366_377:                            ;   in Loop: Header=BB366_10 Depth=1
	s_or_b32 exec_lo, exec_lo, s18
.LBB366_378:                            ;   in Loop: Header=BB366_10 Depth=1
	s_or_b32 exec_lo, exec_lo, s6
	v_mov_b32_e32 v0, 0xff
	s_mov_b32 s6, exec_lo
	v_and_b32_sdwa v0, v25, v0 dst_sel:DWORD dst_unused:UNUSED_PAD src0_sel:WORD_1 src1_sel:DWORD
	v_cmpx_ne_u16_e32 0, v0
	s_cbranch_execz .LBB366_386
; %bb.379:                              ;   in Loop: Header=BB366_10 Depth=1
	v_bfrev_b32_e32 v75, 1
	s_mov_b32 s18, exec_lo
	v_cmpx_ne_u16_e32 0x80, v0
	s_cbranch_execz .LBB366_385
; %bb.380:                              ;   in Loop: Header=BB366_10 Depth=1
	v_bfe_u32 v1, v25, 16, 7
	v_mov_b32_e32 v75, 0x7f800001
	s_mov_b32 s19, exec_lo
	v_cmpx_ne_u32_e32 0x7f, v1
	s_cbranch_execz .LBB366_384
; %bb.381:                              ;   in Loop: Header=BB366_10 Depth=1
	v_mov_b32_e32 v0, 7
	s_mov_b32 s20, exec_lo
	v_and_b32_sdwa v12, v25, v0 dst_sel:DWORD dst_unused:UNUSED_PAD src0_sel:WORD_1 src1_sel:DWORD
	v_mov_b32_e32 v27, v13
	v_lshrrev_b32_e32 v0, 3, v1
	v_mov_b32_e32 v26, v12
	v_cmpx_gt_u32_e32 8, v1
; %bb.382:                              ;   in Loop: Header=BB366_10 Depth=1
	v_ffbh_u32_e32 v0, v12
	v_min_u32_e32 v0, 32, v0
	v_subrev_nc_u32_e32 v1, 28, v0
	v_sub_nc_u32_e32 v0, 29, v0
	v_lshlrev_b64 v[1:2], v1, v[12:13]
	v_and_b32_e32 v26, 7, v1
; %bb.383:                              ;   in Loop: Header=BB366_10 Depth=1
	s_or_b32 exec_lo, exec_lo, s20
	v_mov_b32_e32 v1, 24
	v_lshlrev_b32_e32 v2, 20, v26
	v_lshl_add_u32 v0, v0, 23, 0x3c000000
	v_lshlrev_b32_sdwa v1, v1, v25 dst_sel:DWORD dst_unused:UNUSED_PAD src0_sel:DWORD src1_sel:WORD_1
	v_and_b32_e32 v1, 0x80000000, v1
	v_or3_b32 v75, v2, v1, v0
.LBB366_384:                            ;   in Loop: Header=BB366_10 Depth=1
	s_or_b32 exec_lo, exec_lo, s19
.LBB366_385:                            ;   in Loop: Header=BB366_10 Depth=1
	s_or_b32 exec_lo, exec_lo, s18
.LBB366_386:                            ;   in Loop: Header=BB366_10 Depth=1
	s_or_b32 exec_lo, exec_lo, s6
	v_mov_b32_e32 v78, 0
	v_mov_b32_e32 v77, 0
	s_mov_b32 s6, exec_lo
	v_cmpx_lt_u64_e64 s[8:9], v[24:25]
	s_cbranch_execz .LBB366_394
; %bb.387:                              ;   in Loop: Header=BB366_10 Depth=1
	v_mov_b32_e32 v0, 0x80
	v_bfrev_b32_e32 v77, 1
	v_cmp_ne_u32_sdwa s5, v25, v0 src0_sel:BYTE_3 src1_sel:DWORD
	s_and_saveexec_b32 s18, s5
	s_cbranch_execz .LBB366_393
; %bb.388:                              ;   in Loop: Header=BB366_10 Depth=1
	v_bfe_u32 v1, v25, 24, 7
	v_mov_b32_e32 v77, 0x7f800001
	s_mov_b32 s19, exec_lo
	v_cmpx_ne_u32_e32 0x7f, v1
	s_cbranch_execz .LBB366_392
; %bb.389:                              ;   in Loop: Header=BB366_10 Depth=1
	v_mov_b32_e32 v0, 7
	s_mov_b32 s20, exec_lo
	v_and_b32_sdwa v12, v25, v0 dst_sel:DWORD dst_unused:UNUSED_PAD src0_sel:BYTE_3 src1_sel:DWORD
	v_mov_b32_e32 v27, v13
	v_lshrrev_b32_e32 v0, 3, v1
	v_mov_b32_e32 v26, v12
	v_cmpx_gt_u32_e32 8, v1
; %bb.390:                              ;   in Loop: Header=BB366_10 Depth=1
	v_ffbh_u32_e32 v0, v12
	v_min_u32_e32 v0, 32, v0
	v_subrev_nc_u32_e32 v1, 28, v0
	v_sub_nc_u32_e32 v0, 29, v0
	v_lshlrev_b64 v[1:2], v1, v[12:13]
	v_and_b32_e32 v26, 7, v1
; %bb.391:                              ;   in Loop: Header=BB366_10 Depth=1
	s_or_b32 exec_lo, exec_lo, s20
	v_mov_b32_e32 v1, 24
	v_lshlrev_b32_e32 v2, 20, v26
	v_lshl_add_u32 v0, v0, 23, 0x3c000000
	v_lshlrev_b32_sdwa v1, v1, v25 dst_sel:DWORD dst_unused:UNUSED_PAD src0_sel:DWORD src1_sel:BYTE_3
	v_and_b32_e32 v1, 0x80000000, v1
	v_or3_b32 v77, v2, v1, v0
.LBB366_392:                            ;   in Loop: Header=BB366_10 Depth=1
	s_or_b32 exec_lo, exec_lo, s19
.LBB366_393:                            ;   in Loop: Header=BB366_10 Depth=1
	s_or_b32 exec_lo, exec_lo, s18
.LBB366_394:                            ;   in Loop: Header=BB366_10 Depth=1
	s_or_b32 exec_lo, exec_lo, s6
	flat_load_dwordx2 v[24:25], v[16:17] offset:1536
	s_waitcnt vmcnt(0) lgkmcnt(0)
	v_cmp_ne_u16_sdwa s5, v24, v13 src0_sel:BYTE_0 src1_sel:DWORD
	s_and_saveexec_b32 s6, s5
	s_cbranch_execz .LBB366_402
; %bb.395:                              ;   in Loop: Header=BB366_10 Depth=1
	v_mov_b32_e32 v0, 0x80
	v_bfrev_b32_e32 v78, 1
	v_cmp_ne_u16_sdwa s5, v24, v0 src0_sel:BYTE_0 src1_sel:DWORD
	s_and_saveexec_b32 s18, s5
	s_cbranch_execz .LBB366_401
; %bb.396:                              ;   in Loop: Header=BB366_10 Depth=1
	v_and_b32_e32 v1, 0x7f, v24
	v_mov_b32_e32 v78, 0x7f800001
	s_mov_b32 s19, exec_lo
	v_cmpx_ne_u32_e32 0x7f, v1
	s_cbranch_execz .LBB366_400
; %bb.397:                              ;   in Loop: Header=BB366_10 Depth=1
	v_mov_b32_e32 v27, v25
	v_lshrrev_b32_e32 v0, 3, v1
	v_mov_b32_e32 v26, v24
	s_mov_b32 s20, exec_lo
	v_cmpx_gt_u32_e32 8, v1
; %bb.398:                              ;   in Loop: Header=BB366_10 Depth=1
	v_and_b32_e32 v0, 7, v24
	v_ffbh_u32_e32 v0, v0
	v_min_u32_e32 v0, 32, v0
	v_subrev_nc_u32_e32 v1, 28, v0
	v_sub_nc_u32_e32 v0, 29, v0
	v_lshlrev_b64 v[26:27], v1, v[24:25]
; %bb.399:                              ;   in Loop: Header=BB366_10 Depth=1
	s_or_b32 exec_lo, exec_lo, s20
	v_lshlrev_b32_e32 v1, 20, v26
	v_lshlrev_b32_e32 v2, 24, v24
	v_lshl_add_u32 v0, v0, 23, 0x3c000000
	v_and_b32_e32 v1, 0x700000, v1
	v_and_b32_e32 v2, 0x80000000, v2
	v_or3_b32 v78, v1, v2, v0
.LBB366_400:                            ;   in Loop: Header=BB366_10 Depth=1
	s_or_b32 exec_lo, exec_lo, s19
.LBB366_401:                            ;   in Loop: Header=BB366_10 Depth=1
	s_or_b32 exec_lo, exec_lo, s18
.LBB366_402:                            ;   in Loop: Header=BB366_10 Depth=1
	s_or_b32 exec_lo, exec_lo, s6
	v_cmp_ne_u16_sdwa s5, v24, v13 src0_sel:BYTE_1 src1_sel:DWORD
	v_mov_b32_e32 v88, 0
	v_mov_b32_e32 v79, 0
	s_and_saveexec_b32 s6, s5
	s_cbranch_execz .LBB366_410
; %bb.403:                              ;   in Loop: Header=BB366_10 Depth=1
	v_mov_b32_e32 v0, 0x80
	v_bfrev_b32_e32 v79, 1
	v_cmp_ne_u16_sdwa s5, v24, v0 src0_sel:BYTE_1 src1_sel:DWORD
	s_and_saveexec_b32 s18, s5
	s_cbranch_execz .LBB366_409
; %bb.404:                              ;   in Loop: Header=BB366_10 Depth=1
	v_mov_b32_e32 v0, 0xffff
	v_mov_b32_e32 v79, 0x7f800001
	s_mov_b32 s19, exec_lo
	v_and_b32_sdwa v0, v0, v24 dst_sel:DWORD dst_unused:UNUSED_PAD src0_sel:DWORD src1_sel:BYTE_1
	v_and_b32_e32 v1, 0x7f, v0
	v_cmpx_ne_u32_e32 0x7f, v1
	s_cbranch_execz .LBB366_408
; %bb.405:                              ;   in Loop: Header=BB366_10 Depth=1
	v_and_b32_e32 v12, 7, v0
	v_mov_b32_e32 v27, v13
	v_lshrrev_b32_e32 v0, 3, v1
	s_mov_b32 s20, exec_lo
	v_mov_b32_e32 v26, v12
	v_cmpx_gt_u32_e32 8, v1
; %bb.406:                              ;   in Loop: Header=BB366_10 Depth=1
	v_ffbh_u32_e32 v0, v12
	v_min_u32_e32 v0, 32, v0
	v_subrev_nc_u32_e32 v1, 28, v0
	v_sub_nc_u32_e32 v0, 29, v0
	v_lshlrev_b64 v[1:2], v1, v[12:13]
	v_and_b32_e32 v26, 7, v1
; %bb.407:                              ;   in Loop: Header=BB366_10 Depth=1
	s_or_b32 exec_lo, exec_lo, s20
	v_lshlrev_b32_e32 v1, 16, v24
	v_lshlrev_b32_e32 v2, 20, v26
	v_lshl_add_u32 v0, v0, 23, 0x3c000000
	v_and_b32_e32 v1, 0x80000000, v1
	v_or3_b32 v79, v2, v1, v0
.LBB366_408:                            ;   in Loop: Header=BB366_10 Depth=1
	s_or_b32 exec_lo, exec_lo, s19
.LBB366_409:                            ;   in Loop: Header=BB366_10 Depth=1
	s_or_b32 exec_lo, exec_lo, s18
.LBB366_410:                            ;   in Loop: Header=BB366_10 Depth=1
	s_or_b32 exec_lo, exec_lo, s6
	v_mov_b32_e32 v0, 0xff
	s_mov_b32 s6, exec_lo
	v_and_b32_sdwa v0, v24, v0 dst_sel:DWORD dst_unused:UNUSED_PAD src0_sel:WORD_1 src1_sel:DWORD
	v_cmpx_ne_u16_e32 0, v0
	s_cbranch_execz .LBB366_418
; %bb.411:                              ;   in Loop: Header=BB366_10 Depth=1
	v_bfrev_b32_e32 v88, 1
	s_mov_b32 s18, exec_lo
	v_cmpx_ne_u16_e32 0x80, v0
	s_cbranch_execz .LBB366_417
; %bb.412:                              ;   in Loop: Header=BB366_10 Depth=1
	v_bfe_u32 v1, v24, 16, 7
	v_mov_b32_e32 v88, 0x7f800001
	s_mov_b32 s19, exec_lo
	v_cmpx_ne_u32_e32 0x7f, v1
	s_cbranch_execz .LBB366_416
; %bb.413:                              ;   in Loop: Header=BB366_10 Depth=1
	v_mov_b32_e32 v0, 7
	s_mov_b32 s20, exec_lo
	v_and_b32_sdwa v12, v24, v0 dst_sel:DWORD dst_unused:UNUSED_PAD src0_sel:WORD_1 src1_sel:DWORD
	v_mov_b32_e32 v27, v13
	v_lshrrev_b32_e32 v0, 3, v1
	v_mov_b32_e32 v26, v12
	v_cmpx_gt_u32_e32 8, v1
; %bb.414:                              ;   in Loop: Header=BB366_10 Depth=1
	v_ffbh_u32_e32 v0, v12
	v_min_u32_e32 v0, 32, v0
	v_subrev_nc_u32_e32 v1, 28, v0
	v_sub_nc_u32_e32 v0, 29, v0
	v_lshlrev_b64 v[1:2], v1, v[12:13]
	v_and_b32_e32 v26, 7, v1
; %bb.415:                              ;   in Loop: Header=BB366_10 Depth=1
	s_or_b32 exec_lo, exec_lo, s20
	v_mov_b32_e32 v1, 24
	v_lshlrev_b32_e32 v2, 20, v26
	v_lshl_add_u32 v0, v0, 23, 0x3c000000
	v_lshlrev_b32_sdwa v1, v1, v24 dst_sel:DWORD dst_unused:UNUSED_PAD src0_sel:DWORD src1_sel:WORD_1
	v_and_b32_e32 v1, 0x80000000, v1
	v_or3_b32 v88, v2, v1, v0
.LBB366_416:                            ;   in Loop: Header=BB366_10 Depth=1
	s_or_b32 exec_lo, exec_lo, s19
.LBB366_417:                            ;   in Loop: Header=BB366_10 Depth=1
	s_or_b32 exec_lo, exec_lo, s18
.LBB366_418:                            ;   in Loop: Header=BB366_10 Depth=1
	s_or_b32 exec_lo, exec_lo, s6
	v_mov_b32_e32 v90, 0
	v_mov_b32_e32 v89, 0
	s_mov_b32 s6, exec_lo
	v_cmpx_lt_u32_e32 0xffffff, v24
	s_cbranch_execz .LBB366_426
; %bb.419:                              ;   in Loop: Header=BB366_10 Depth=1
	v_mov_b32_e32 v0, 0x80
	v_bfrev_b32_e32 v89, 1
	v_cmp_ne_u32_sdwa s5, v24, v0 src0_sel:BYTE_3 src1_sel:DWORD
	s_and_saveexec_b32 s18, s5
	s_cbranch_execz .LBB366_425
; %bb.420:                              ;   in Loop: Header=BB366_10 Depth=1
	v_bfe_u32 v1, v24, 24, 7
	v_mov_b32_e32 v89, 0x7f800001
	s_mov_b32 s19, exec_lo
	v_cmpx_ne_u32_e32 0x7f, v1
	s_cbranch_execz .LBB366_424
; %bb.421:                              ;   in Loop: Header=BB366_10 Depth=1
	v_mov_b32_e32 v0, 7
	s_mov_b32 s20, exec_lo
	v_and_b32_sdwa v12, v24, v0 dst_sel:DWORD dst_unused:UNUSED_PAD src0_sel:BYTE_3 src1_sel:DWORD
	v_mov_b32_e32 v27, v13
	v_lshrrev_b32_e32 v0, 3, v1
	v_mov_b32_e32 v26, v12
	v_cmpx_gt_u32_e32 8, v1
; %bb.422:                              ;   in Loop: Header=BB366_10 Depth=1
	v_ffbh_u32_e32 v0, v12
	v_min_u32_e32 v0, 32, v0
	v_subrev_nc_u32_e32 v1, 28, v0
	v_sub_nc_u32_e32 v0, 29, v0
	v_lshlrev_b64 v[1:2], v1, v[12:13]
	v_and_b32_e32 v26, 7, v1
; %bb.423:                              ;   in Loop: Header=BB366_10 Depth=1
	s_or_b32 exec_lo, exec_lo, s20
	v_mov_b32_e32 v1, 24
	v_lshlrev_b32_e32 v2, 20, v26
	v_lshl_add_u32 v0, v0, 23, 0x3c000000
	v_lshlrev_b32_sdwa v1, v1, v24 dst_sel:DWORD dst_unused:UNUSED_PAD src0_sel:DWORD src1_sel:BYTE_3
	v_and_b32_e32 v1, 0x80000000, v1
	v_or3_b32 v89, v2, v1, v0
.LBB366_424:                            ;   in Loop: Header=BB366_10 Depth=1
	s_or_b32 exec_lo, exec_lo, s19
.LBB366_425:                            ;   in Loop: Header=BB366_10 Depth=1
	s_or_b32 exec_lo, exec_lo, s18
.LBB366_426:                            ;   in Loop: Header=BB366_10 Depth=1
	s_or_b32 exec_lo, exec_lo, s6
	v_mov_b32_e32 v12, v25
	v_cmp_ne_u16_sdwa s5, v25, v13 src0_sel:BYTE_0 src1_sel:DWORD
	s_and_saveexec_b32 s6, s5
	s_cbranch_execz .LBB366_434
; %bb.427:                              ;   in Loop: Header=BB366_10 Depth=1
	v_mov_b32_e32 v0, 0x80
	v_bfrev_b32_e32 v90, 1
	v_cmp_ne_u16_sdwa s5, v25, v0 src0_sel:BYTE_0 src1_sel:DWORD
	s_and_saveexec_b32 s18, s5
	s_cbranch_execz .LBB366_433
; %bb.428:                              ;   in Loop: Header=BB366_10 Depth=1
	v_and_b32_e32 v1, 0x7f, v25
	v_mov_b32_e32 v90, 0x7f800001
	s_mov_b32 s19, exec_lo
	v_cmpx_ne_u32_e32 0x7f, v1
	s_cbranch_execz .LBB366_432
; %bb.429:                              ;   in Loop: Header=BB366_10 Depth=1
	v_mov_b32_e32 v27, v13
	v_lshrrev_b32_e32 v0, 3, v1
	v_mov_b32_e32 v26, v12
	s_mov_b32 s20, exec_lo
	v_cmpx_gt_u32_e32 8, v1
; %bb.430:                              ;   in Loop: Header=BB366_10 Depth=1
	v_and_b32_e32 v0, 7, v25
	v_ffbh_u32_e32 v0, v0
	v_min_u32_e32 v0, 32, v0
	v_subrev_nc_u32_e32 v1, 28, v0
	v_sub_nc_u32_e32 v0, 29, v0
	v_lshlrev_b64 v[26:27], v1, v[12:13]
; %bb.431:                              ;   in Loop: Header=BB366_10 Depth=1
	s_or_b32 exec_lo, exec_lo, s20
	v_lshlrev_b32_e32 v1, 20, v26
	v_lshlrev_b32_e32 v2, 24, v12
	v_lshl_add_u32 v0, v0, 23, 0x3c000000
	v_and_b32_e32 v1, 0x700000, v1
	v_and_b32_e32 v2, 0x80000000, v2
	v_or3_b32 v90, v1, v2, v0
.LBB366_432:                            ;   in Loop: Header=BB366_10 Depth=1
	s_or_b32 exec_lo, exec_lo, s19
.LBB366_433:                            ;   in Loop: Header=BB366_10 Depth=1
	s_or_b32 exec_lo, exec_lo, s18
.LBB366_434:                            ;   in Loop: Header=BB366_10 Depth=1
	s_or_b32 exec_lo, exec_lo, s6
	v_cmp_ne_u16_sdwa s5, v12, v13 src0_sel:BYTE_1 src1_sel:DWORD
	v_mov_b32_e32 v91, 0
	v_mov_b32_e32 v92, 0
	s_and_saveexec_b32 s6, s5
	s_cbranch_execz .LBB366_442
; %bb.435:                              ;   in Loop: Header=BB366_10 Depth=1
	v_mov_b32_e32 v0, 0x80
	v_bfrev_b32_e32 v92, 1
	v_cmp_ne_u16_sdwa s5, v12, v0 src0_sel:BYTE_1 src1_sel:DWORD
	s_and_saveexec_b32 s18, s5
	s_cbranch_execz .LBB366_441
; %bb.436:                              ;   in Loop: Header=BB366_10 Depth=1
	v_mov_b32_e32 v0, 0xffff
	v_mov_b32_e32 v92, 0x7f800001
	s_mov_b32 s19, exec_lo
	v_and_b32_sdwa v0, v0, v12 dst_sel:DWORD dst_unused:UNUSED_PAD src0_sel:DWORD src1_sel:BYTE_1
	v_and_b32_e32 v1, 0x7f, v0
	v_cmpx_ne_u32_e32 0x7f, v1
	s_cbranch_execz .LBB366_440
; %bb.437:                              ;   in Loop: Header=BB366_10 Depth=1
	v_and_b32_e32 v26, 7, v0
	v_mov_b32_e32 v27, v13
	v_lshrrev_b32_e32 v0, 3, v1
	s_mov_b32 s20, exec_lo
	v_cmpx_gt_u32_e32 8, v1
; %bb.438:                              ;   in Loop: Header=BB366_10 Depth=1
	v_ffbh_u32_e32 v0, v26
	v_min_u32_e32 v0, 32, v0
	v_subrev_nc_u32_e32 v1, 28, v0
	v_sub_nc_u32_e32 v0, 29, v0
	v_lshlrev_b64 v[1:2], v1, v[26:27]
	v_and_b32_e32 v26, 7, v1
; %bb.439:                              ;   in Loop: Header=BB366_10 Depth=1
	s_or_b32 exec_lo, exec_lo, s20
	v_lshlrev_b32_e32 v1, 16, v12
	v_lshlrev_b32_e32 v2, 20, v26
	v_lshl_add_u32 v0, v0, 23, 0x3c000000
	v_and_b32_e32 v1, 0x80000000, v1
	v_or3_b32 v92, v2, v1, v0
.LBB366_440:                            ;   in Loop: Header=BB366_10 Depth=1
	s_or_b32 exec_lo, exec_lo, s19
.LBB366_441:                            ;   in Loop: Header=BB366_10 Depth=1
	s_or_b32 exec_lo, exec_lo, s18
.LBB366_442:                            ;   in Loop: Header=BB366_10 Depth=1
	s_or_b32 exec_lo, exec_lo, s6
	v_mov_b32_e32 v0, 0xff
	s_mov_b32 s6, exec_lo
	v_and_b32_sdwa v0, v25, v0 dst_sel:DWORD dst_unused:UNUSED_PAD src0_sel:WORD_1 src1_sel:DWORD
	v_cmpx_ne_u16_e32 0, v0
	s_cbranch_execz .LBB366_450
; %bb.443:                              ;   in Loop: Header=BB366_10 Depth=1
	v_bfrev_b32_e32 v91, 1
	s_mov_b32 s18, exec_lo
	v_cmpx_ne_u16_e32 0x80, v0
	s_cbranch_execz .LBB366_449
; %bb.444:                              ;   in Loop: Header=BB366_10 Depth=1
	v_bfe_u32 v1, v25, 16, 7
	v_mov_b32_e32 v91, 0x7f800001
	s_mov_b32 s19, exec_lo
	v_cmpx_ne_u32_e32 0x7f, v1
	s_cbranch_execz .LBB366_448
; %bb.445:                              ;   in Loop: Header=BB366_10 Depth=1
	v_mov_b32_e32 v0, 7
	s_mov_b32 s20, exec_lo
	v_and_b32_sdwa v12, v25, v0 dst_sel:DWORD dst_unused:UNUSED_PAD src0_sel:WORD_1 src1_sel:DWORD
	v_mov_b32_e32 v27, v13
	v_lshrrev_b32_e32 v0, 3, v1
	v_mov_b32_e32 v26, v12
	v_cmpx_gt_u32_e32 8, v1
; %bb.446:                              ;   in Loop: Header=BB366_10 Depth=1
	v_ffbh_u32_e32 v0, v12
	v_min_u32_e32 v0, 32, v0
	v_subrev_nc_u32_e32 v1, 28, v0
	v_sub_nc_u32_e32 v0, 29, v0
	v_lshlrev_b64 v[1:2], v1, v[12:13]
	v_and_b32_e32 v26, 7, v1
; %bb.447:                              ;   in Loop: Header=BB366_10 Depth=1
	s_or_b32 exec_lo, exec_lo, s20
	v_mov_b32_e32 v1, 24
	v_lshlrev_b32_e32 v2, 20, v26
	v_lshl_add_u32 v0, v0, 23, 0x3c000000
	v_lshlrev_b32_sdwa v1, v1, v25 dst_sel:DWORD dst_unused:UNUSED_PAD src0_sel:DWORD src1_sel:WORD_1
	v_and_b32_e32 v1, 0x80000000, v1
	v_or3_b32 v91, v2, v1, v0
.LBB366_448:                            ;   in Loop: Header=BB366_10 Depth=1
	s_or_b32 exec_lo, exec_lo, s19
.LBB366_449:                            ;   in Loop: Header=BB366_10 Depth=1
	s_or_b32 exec_lo, exec_lo, s18
.LBB366_450:                            ;   in Loop: Header=BB366_10 Depth=1
	s_or_b32 exec_lo, exec_lo, s6
	v_mov_b32_e32 v94, 0
	v_mov_b32_e32 v93, 0
	s_mov_b32 s6, exec_lo
	v_cmpx_lt_u64_e64 s[8:9], v[24:25]
	s_cbranch_execz .LBB366_458
; %bb.451:                              ;   in Loop: Header=BB366_10 Depth=1
	v_mov_b32_e32 v0, 0x80
	v_bfrev_b32_e32 v93, 1
	v_cmp_ne_u32_sdwa s5, v25, v0 src0_sel:BYTE_3 src1_sel:DWORD
	s_and_saveexec_b32 s18, s5
	s_cbranch_execz .LBB366_457
; %bb.452:                              ;   in Loop: Header=BB366_10 Depth=1
	v_bfe_u32 v1, v25, 24, 7
	v_mov_b32_e32 v93, 0x7f800001
	s_mov_b32 s19, exec_lo
	v_cmpx_ne_u32_e32 0x7f, v1
	s_cbranch_execz .LBB366_456
; %bb.453:                              ;   in Loop: Header=BB366_10 Depth=1
	v_mov_b32_e32 v0, 7
	s_mov_b32 s20, exec_lo
	v_and_b32_sdwa v12, v25, v0 dst_sel:DWORD dst_unused:UNUSED_PAD src0_sel:BYTE_3 src1_sel:DWORD
	v_mov_b32_e32 v27, v13
	v_lshrrev_b32_e32 v0, 3, v1
	v_mov_b32_e32 v26, v12
	v_cmpx_gt_u32_e32 8, v1
; %bb.454:                              ;   in Loop: Header=BB366_10 Depth=1
	v_ffbh_u32_e32 v0, v12
	v_min_u32_e32 v0, 32, v0
	v_subrev_nc_u32_e32 v1, 28, v0
	v_sub_nc_u32_e32 v0, 29, v0
	v_lshlrev_b64 v[1:2], v1, v[12:13]
	v_and_b32_e32 v26, 7, v1
; %bb.455:                              ;   in Loop: Header=BB366_10 Depth=1
	s_or_b32 exec_lo, exec_lo, s20
	v_mov_b32_e32 v1, 24
	v_lshlrev_b32_e32 v2, 20, v26
	v_lshl_add_u32 v0, v0, 23, 0x3c000000
	v_lshlrev_b32_sdwa v1, v1, v25 dst_sel:DWORD dst_unused:UNUSED_PAD src0_sel:DWORD src1_sel:BYTE_3
	v_and_b32_e32 v1, 0x80000000, v1
	v_or3_b32 v93, v2, v1, v0
.LBB366_456:                            ;   in Loop: Header=BB366_10 Depth=1
	s_or_b32 exec_lo, exec_lo, s19
.LBB366_457:                            ;   in Loop: Header=BB366_10 Depth=1
	s_or_b32 exec_lo, exec_lo, s18
.LBB366_458:                            ;   in Loop: Header=BB366_10 Depth=1
	s_or_b32 exec_lo, exec_lo, s6
	flat_load_dwordx2 v[24:25], v[16:17] offset:1544
	s_waitcnt vmcnt(0) lgkmcnt(0)
	v_cmp_ne_u16_sdwa s5, v24, v13 src0_sel:BYTE_0 src1_sel:DWORD
	s_and_saveexec_b32 s6, s5
	s_cbranch_execz .LBB366_466
; %bb.459:                              ;   in Loop: Header=BB366_10 Depth=1
	v_mov_b32_e32 v0, 0x80
	v_bfrev_b32_e32 v94, 1
	v_cmp_ne_u16_sdwa s5, v24, v0 src0_sel:BYTE_0 src1_sel:DWORD
	s_and_saveexec_b32 s18, s5
	s_cbranch_execz .LBB366_465
; %bb.460:                              ;   in Loop: Header=BB366_10 Depth=1
	v_and_b32_e32 v1, 0x7f, v24
	v_mov_b32_e32 v94, 0x7f800001
	s_mov_b32 s19, exec_lo
	v_cmpx_ne_u32_e32 0x7f, v1
	s_cbranch_execz .LBB366_464
; %bb.461:                              ;   in Loop: Header=BB366_10 Depth=1
	v_mov_b32_e32 v27, v25
	v_lshrrev_b32_e32 v0, 3, v1
	v_mov_b32_e32 v26, v24
	s_mov_b32 s20, exec_lo
	v_cmpx_gt_u32_e32 8, v1
; %bb.462:                              ;   in Loop: Header=BB366_10 Depth=1
	v_and_b32_e32 v0, 7, v24
	v_ffbh_u32_e32 v0, v0
	v_min_u32_e32 v0, 32, v0
	v_subrev_nc_u32_e32 v1, 28, v0
	v_sub_nc_u32_e32 v0, 29, v0
	v_lshlrev_b64 v[26:27], v1, v[24:25]
; %bb.463:                              ;   in Loop: Header=BB366_10 Depth=1
	s_or_b32 exec_lo, exec_lo, s20
	v_lshlrev_b32_e32 v1, 20, v26
	v_lshlrev_b32_e32 v2, 24, v24
	v_lshl_add_u32 v0, v0, 23, 0x3c000000
	v_and_b32_e32 v1, 0x700000, v1
	v_and_b32_e32 v2, 0x80000000, v2
	v_or3_b32 v94, v1, v2, v0
.LBB366_464:                            ;   in Loop: Header=BB366_10 Depth=1
	s_or_b32 exec_lo, exec_lo, s19
.LBB366_465:                            ;   in Loop: Header=BB366_10 Depth=1
	s_or_b32 exec_lo, exec_lo, s18
.LBB366_466:                            ;   in Loop: Header=BB366_10 Depth=1
	s_or_b32 exec_lo, exec_lo, s6
	v_cmp_ne_u16_sdwa s5, v24, v13 src0_sel:BYTE_1 src1_sel:DWORD
	v_mov_b32_e32 v104, 0
	v_mov_b32_e32 v95, 0
	s_and_saveexec_b32 s6, s5
	s_cbranch_execz .LBB366_474
; %bb.467:                              ;   in Loop: Header=BB366_10 Depth=1
	v_mov_b32_e32 v0, 0x80
	v_bfrev_b32_e32 v95, 1
	v_cmp_ne_u16_sdwa s5, v24, v0 src0_sel:BYTE_1 src1_sel:DWORD
	s_and_saveexec_b32 s18, s5
	s_cbranch_execz .LBB366_473
; %bb.468:                              ;   in Loop: Header=BB366_10 Depth=1
	v_mov_b32_e32 v0, 0xffff
	v_mov_b32_e32 v95, 0x7f800001
	s_mov_b32 s19, exec_lo
	v_and_b32_sdwa v0, v0, v24 dst_sel:DWORD dst_unused:UNUSED_PAD src0_sel:DWORD src1_sel:BYTE_1
	v_and_b32_e32 v1, 0x7f, v0
	v_cmpx_ne_u32_e32 0x7f, v1
	s_cbranch_execz .LBB366_472
; %bb.469:                              ;   in Loop: Header=BB366_10 Depth=1
	v_and_b32_e32 v12, 7, v0
	v_mov_b32_e32 v27, v13
	v_lshrrev_b32_e32 v0, 3, v1
	s_mov_b32 s20, exec_lo
	v_mov_b32_e32 v26, v12
	v_cmpx_gt_u32_e32 8, v1
; %bb.470:                              ;   in Loop: Header=BB366_10 Depth=1
	v_ffbh_u32_e32 v0, v12
	v_min_u32_e32 v0, 32, v0
	v_subrev_nc_u32_e32 v1, 28, v0
	v_sub_nc_u32_e32 v0, 29, v0
	v_lshlrev_b64 v[1:2], v1, v[12:13]
	v_and_b32_e32 v26, 7, v1
; %bb.471:                              ;   in Loop: Header=BB366_10 Depth=1
	s_or_b32 exec_lo, exec_lo, s20
	v_lshlrev_b32_e32 v1, 16, v24
	v_lshlrev_b32_e32 v2, 20, v26
	v_lshl_add_u32 v0, v0, 23, 0x3c000000
	v_and_b32_e32 v1, 0x80000000, v1
	v_or3_b32 v95, v2, v1, v0
.LBB366_472:                            ;   in Loop: Header=BB366_10 Depth=1
	s_or_b32 exec_lo, exec_lo, s19
.LBB366_473:                            ;   in Loop: Header=BB366_10 Depth=1
	s_or_b32 exec_lo, exec_lo, s18
.LBB366_474:                            ;   in Loop: Header=BB366_10 Depth=1
	s_or_b32 exec_lo, exec_lo, s6
	v_mov_b32_e32 v0, 0xff
	s_mov_b32 s6, exec_lo
	v_and_b32_sdwa v0, v24, v0 dst_sel:DWORD dst_unused:UNUSED_PAD src0_sel:WORD_1 src1_sel:DWORD
	v_cmpx_ne_u16_e32 0, v0
	s_cbranch_execz .LBB366_482
; %bb.475:                              ;   in Loop: Header=BB366_10 Depth=1
	v_bfrev_b32_e32 v104, 1
	s_mov_b32 s18, exec_lo
	v_cmpx_ne_u16_e32 0x80, v0
	s_cbranch_execz .LBB366_481
; %bb.476:                              ;   in Loop: Header=BB366_10 Depth=1
	v_bfe_u32 v1, v24, 16, 7
	v_mov_b32_e32 v104, 0x7f800001
	s_mov_b32 s19, exec_lo
	v_cmpx_ne_u32_e32 0x7f, v1
	s_cbranch_execz .LBB366_480
; %bb.477:                              ;   in Loop: Header=BB366_10 Depth=1
	v_mov_b32_e32 v0, 7
	s_mov_b32 s20, exec_lo
	v_and_b32_sdwa v12, v24, v0 dst_sel:DWORD dst_unused:UNUSED_PAD src0_sel:WORD_1 src1_sel:DWORD
	v_mov_b32_e32 v27, v13
	v_lshrrev_b32_e32 v0, 3, v1
	v_mov_b32_e32 v26, v12
	v_cmpx_gt_u32_e32 8, v1
; %bb.478:                              ;   in Loop: Header=BB366_10 Depth=1
	v_ffbh_u32_e32 v0, v12
	v_min_u32_e32 v0, 32, v0
	v_subrev_nc_u32_e32 v1, 28, v0
	v_sub_nc_u32_e32 v0, 29, v0
	v_lshlrev_b64 v[1:2], v1, v[12:13]
	v_and_b32_e32 v26, 7, v1
; %bb.479:                              ;   in Loop: Header=BB366_10 Depth=1
	s_or_b32 exec_lo, exec_lo, s20
	v_mov_b32_e32 v1, 24
	v_lshlrev_b32_e32 v2, 20, v26
	v_lshl_add_u32 v0, v0, 23, 0x3c000000
	v_lshlrev_b32_sdwa v1, v1, v24 dst_sel:DWORD dst_unused:UNUSED_PAD src0_sel:DWORD src1_sel:WORD_1
	v_and_b32_e32 v1, 0x80000000, v1
	v_or3_b32 v104, v2, v1, v0
.LBB366_480:                            ;   in Loop: Header=BB366_10 Depth=1
	s_or_b32 exec_lo, exec_lo, s19
.LBB366_481:                            ;   in Loop: Header=BB366_10 Depth=1
	s_or_b32 exec_lo, exec_lo, s18
.LBB366_482:                            ;   in Loop: Header=BB366_10 Depth=1
	s_or_b32 exec_lo, exec_lo, s6
	v_mov_b32_e32 v106, 0
	v_mov_b32_e32 v105, 0
	s_mov_b32 s6, exec_lo
	v_cmpx_lt_u32_e32 0xffffff, v24
	s_cbranch_execz .LBB366_490
; %bb.483:                              ;   in Loop: Header=BB366_10 Depth=1
	v_mov_b32_e32 v0, 0x80
	v_bfrev_b32_e32 v105, 1
	v_cmp_ne_u32_sdwa s5, v24, v0 src0_sel:BYTE_3 src1_sel:DWORD
	s_and_saveexec_b32 s18, s5
	s_cbranch_execz .LBB366_489
; %bb.484:                              ;   in Loop: Header=BB366_10 Depth=1
	v_bfe_u32 v1, v24, 24, 7
	v_mov_b32_e32 v105, 0x7f800001
	s_mov_b32 s19, exec_lo
	v_cmpx_ne_u32_e32 0x7f, v1
	s_cbranch_execz .LBB366_488
; %bb.485:                              ;   in Loop: Header=BB366_10 Depth=1
	v_mov_b32_e32 v0, 7
	s_mov_b32 s20, exec_lo
	v_and_b32_sdwa v12, v24, v0 dst_sel:DWORD dst_unused:UNUSED_PAD src0_sel:BYTE_3 src1_sel:DWORD
	v_mov_b32_e32 v27, v13
	v_lshrrev_b32_e32 v0, 3, v1
	v_mov_b32_e32 v26, v12
	v_cmpx_gt_u32_e32 8, v1
; %bb.486:                              ;   in Loop: Header=BB366_10 Depth=1
	v_ffbh_u32_e32 v0, v12
	v_min_u32_e32 v0, 32, v0
	v_subrev_nc_u32_e32 v1, 28, v0
	v_sub_nc_u32_e32 v0, 29, v0
	v_lshlrev_b64 v[1:2], v1, v[12:13]
	v_and_b32_e32 v26, 7, v1
; %bb.487:                              ;   in Loop: Header=BB366_10 Depth=1
	s_or_b32 exec_lo, exec_lo, s20
	v_mov_b32_e32 v1, 24
	v_lshlrev_b32_e32 v2, 20, v26
	v_lshl_add_u32 v0, v0, 23, 0x3c000000
	v_lshlrev_b32_sdwa v1, v1, v24 dst_sel:DWORD dst_unused:UNUSED_PAD src0_sel:DWORD src1_sel:BYTE_3
	v_and_b32_e32 v1, 0x80000000, v1
	v_or3_b32 v105, v2, v1, v0
.LBB366_488:                            ;   in Loop: Header=BB366_10 Depth=1
	s_or_b32 exec_lo, exec_lo, s19
.LBB366_489:                            ;   in Loop: Header=BB366_10 Depth=1
	s_or_b32 exec_lo, exec_lo, s18
.LBB366_490:                            ;   in Loop: Header=BB366_10 Depth=1
	s_or_b32 exec_lo, exec_lo, s6
	v_mov_b32_e32 v12, v25
	v_cmp_ne_u16_sdwa s5, v25, v13 src0_sel:BYTE_0 src1_sel:DWORD
	s_and_saveexec_b32 s6, s5
	s_cbranch_execz .LBB366_498
; %bb.491:                              ;   in Loop: Header=BB366_10 Depth=1
	v_mov_b32_e32 v0, 0x80
	v_bfrev_b32_e32 v106, 1
	v_cmp_ne_u16_sdwa s5, v25, v0 src0_sel:BYTE_0 src1_sel:DWORD
	s_and_saveexec_b32 s18, s5
	s_cbranch_execz .LBB366_497
; %bb.492:                              ;   in Loop: Header=BB366_10 Depth=1
	v_and_b32_e32 v1, 0x7f, v25
	v_mov_b32_e32 v106, 0x7f800001
	s_mov_b32 s19, exec_lo
	v_cmpx_ne_u32_e32 0x7f, v1
	s_cbranch_execz .LBB366_496
; %bb.493:                              ;   in Loop: Header=BB366_10 Depth=1
	v_mov_b32_e32 v27, v13
	v_lshrrev_b32_e32 v0, 3, v1
	v_mov_b32_e32 v26, v12
	s_mov_b32 s20, exec_lo
	v_cmpx_gt_u32_e32 8, v1
; %bb.494:                              ;   in Loop: Header=BB366_10 Depth=1
	v_and_b32_e32 v0, 7, v25
	v_ffbh_u32_e32 v0, v0
	v_min_u32_e32 v0, 32, v0
	v_subrev_nc_u32_e32 v1, 28, v0
	v_sub_nc_u32_e32 v0, 29, v0
	v_lshlrev_b64 v[26:27], v1, v[12:13]
; %bb.495:                              ;   in Loop: Header=BB366_10 Depth=1
	s_or_b32 exec_lo, exec_lo, s20
	v_lshlrev_b32_e32 v1, 20, v26
	v_lshlrev_b32_e32 v2, 24, v12
	v_lshl_add_u32 v0, v0, 23, 0x3c000000
	v_and_b32_e32 v1, 0x700000, v1
	v_and_b32_e32 v2, 0x80000000, v2
	v_or3_b32 v106, v1, v2, v0
.LBB366_496:                            ;   in Loop: Header=BB366_10 Depth=1
	s_or_b32 exec_lo, exec_lo, s19
.LBB366_497:                            ;   in Loop: Header=BB366_10 Depth=1
	s_or_b32 exec_lo, exec_lo, s18
.LBB366_498:                            ;   in Loop: Header=BB366_10 Depth=1
	s_or_b32 exec_lo, exec_lo, s6
	v_cmp_ne_u16_sdwa s5, v12, v13 src0_sel:BYTE_1 src1_sel:DWORD
	v_mov_b32_e32 v107, 0
	v_mov_b32_e32 v108, 0
	s_and_saveexec_b32 s6, s5
	s_cbranch_execz .LBB366_506
; %bb.499:                              ;   in Loop: Header=BB366_10 Depth=1
	v_mov_b32_e32 v0, 0x80
	v_bfrev_b32_e32 v108, 1
	v_cmp_ne_u16_sdwa s5, v12, v0 src0_sel:BYTE_1 src1_sel:DWORD
	s_and_saveexec_b32 s18, s5
	s_cbranch_execz .LBB366_505
; %bb.500:                              ;   in Loop: Header=BB366_10 Depth=1
	v_mov_b32_e32 v0, 0xffff
	v_mov_b32_e32 v108, 0x7f800001
	s_mov_b32 s19, exec_lo
	v_and_b32_sdwa v0, v0, v12 dst_sel:DWORD dst_unused:UNUSED_PAD src0_sel:DWORD src1_sel:BYTE_1
	v_and_b32_e32 v1, 0x7f, v0
	v_cmpx_ne_u32_e32 0x7f, v1
	s_cbranch_execz .LBB366_504
; %bb.501:                              ;   in Loop: Header=BB366_10 Depth=1
	v_and_b32_e32 v26, 7, v0
	v_mov_b32_e32 v27, v13
	v_lshrrev_b32_e32 v0, 3, v1
	s_mov_b32 s20, exec_lo
	v_cmpx_gt_u32_e32 8, v1
; %bb.502:                              ;   in Loop: Header=BB366_10 Depth=1
	v_ffbh_u32_e32 v0, v26
	v_min_u32_e32 v0, 32, v0
	v_subrev_nc_u32_e32 v1, 28, v0
	v_sub_nc_u32_e32 v0, 29, v0
	v_lshlrev_b64 v[1:2], v1, v[26:27]
	v_and_b32_e32 v26, 7, v1
; %bb.503:                              ;   in Loop: Header=BB366_10 Depth=1
	s_or_b32 exec_lo, exec_lo, s20
	v_lshlrev_b32_e32 v1, 16, v12
	v_lshlrev_b32_e32 v2, 20, v26
	v_lshl_add_u32 v0, v0, 23, 0x3c000000
	v_and_b32_e32 v1, 0x80000000, v1
	v_or3_b32 v108, v2, v1, v0
.LBB366_504:                            ;   in Loop: Header=BB366_10 Depth=1
	s_or_b32 exec_lo, exec_lo, s19
.LBB366_505:                            ;   in Loop: Header=BB366_10 Depth=1
	s_or_b32 exec_lo, exec_lo, s18
.LBB366_506:                            ;   in Loop: Header=BB366_10 Depth=1
	s_or_b32 exec_lo, exec_lo, s6
	v_mov_b32_e32 v0, 0xff
	s_mov_b32 s6, exec_lo
	v_and_b32_sdwa v0, v25, v0 dst_sel:DWORD dst_unused:UNUSED_PAD src0_sel:WORD_1 src1_sel:DWORD
	v_cmpx_ne_u16_e32 0, v0
	s_cbranch_execz .LBB366_514
; %bb.507:                              ;   in Loop: Header=BB366_10 Depth=1
	v_bfrev_b32_e32 v107, 1
	s_mov_b32 s18, exec_lo
	v_cmpx_ne_u16_e32 0x80, v0
	s_cbranch_execz .LBB366_513
; %bb.508:                              ;   in Loop: Header=BB366_10 Depth=1
	v_bfe_u32 v1, v25, 16, 7
	v_mov_b32_e32 v107, 0x7f800001
	s_mov_b32 s19, exec_lo
	v_cmpx_ne_u32_e32 0x7f, v1
	s_cbranch_execz .LBB366_512
; %bb.509:                              ;   in Loop: Header=BB366_10 Depth=1
	v_mov_b32_e32 v0, 7
	s_mov_b32 s20, exec_lo
	v_and_b32_sdwa v12, v25, v0 dst_sel:DWORD dst_unused:UNUSED_PAD src0_sel:WORD_1 src1_sel:DWORD
	v_mov_b32_e32 v27, v13
	v_lshrrev_b32_e32 v0, 3, v1
	v_mov_b32_e32 v26, v12
	v_cmpx_gt_u32_e32 8, v1
; %bb.510:                              ;   in Loop: Header=BB366_10 Depth=1
	v_ffbh_u32_e32 v0, v12
	v_min_u32_e32 v0, 32, v0
	v_subrev_nc_u32_e32 v1, 28, v0
	v_sub_nc_u32_e32 v0, 29, v0
	v_lshlrev_b64 v[1:2], v1, v[12:13]
	v_and_b32_e32 v26, 7, v1
; %bb.511:                              ;   in Loop: Header=BB366_10 Depth=1
	s_or_b32 exec_lo, exec_lo, s20
	v_mov_b32_e32 v1, 24
	v_lshlrev_b32_e32 v2, 20, v26
	v_lshl_add_u32 v0, v0, 23, 0x3c000000
	v_lshlrev_b32_sdwa v1, v1, v25 dst_sel:DWORD dst_unused:UNUSED_PAD src0_sel:DWORD src1_sel:WORD_1
	v_and_b32_e32 v1, 0x80000000, v1
	v_or3_b32 v107, v2, v1, v0
.LBB366_512:                            ;   in Loop: Header=BB366_10 Depth=1
	s_or_b32 exec_lo, exec_lo, s19
.LBB366_513:                            ;   in Loop: Header=BB366_10 Depth=1
	s_or_b32 exec_lo, exec_lo, s18
.LBB366_514:                            ;   in Loop: Header=BB366_10 Depth=1
	s_or_b32 exec_lo, exec_lo, s6
	v_mov_b32_e32 v110, 0
	v_mov_b32_e32 v109, 0
	s_mov_b32 s6, exec_lo
	v_cmpx_lt_u64_e64 s[8:9], v[24:25]
	s_cbranch_execz .LBB366_522
; %bb.515:                              ;   in Loop: Header=BB366_10 Depth=1
	v_mov_b32_e32 v0, 0x80
	v_bfrev_b32_e32 v109, 1
	v_cmp_ne_u32_sdwa s5, v25, v0 src0_sel:BYTE_3 src1_sel:DWORD
	s_and_saveexec_b32 s18, s5
	s_cbranch_execz .LBB366_521
; %bb.516:                              ;   in Loop: Header=BB366_10 Depth=1
	v_bfe_u32 v1, v25, 24, 7
	v_mov_b32_e32 v109, 0x7f800001
	s_mov_b32 s19, exec_lo
	v_cmpx_ne_u32_e32 0x7f, v1
	s_cbranch_execz .LBB366_520
; %bb.517:                              ;   in Loop: Header=BB366_10 Depth=1
	v_mov_b32_e32 v0, 7
	s_mov_b32 s20, exec_lo
	v_and_b32_sdwa v12, v25, v0 dst_sel:DWORD dst_unused:UNUSED_PAD src0_sel:BYTE_3 src1_sel:DWORD
	v_mov_b32_e32 v27, v13
	v_lshrrev_b32_e32 v0, 3, v1
	v_mov_b32_e32 v26, v12
	v_cmpx_gt_u32_e32 8, v1
; %bb.518:                              ;   in Loop: Header=BB366_10 Depth=1
	v_ffbh_u32_e32 v0, v12
	v_min_u32_e32 v0, 32, v0
	v_subrev_nc_u32_e32 v1, 28, v0
	v_sub_nc_u32_e32 v0, 29, v0
	v_lshlrev_b64 v[1:2], v1, v[12:13]
	v_and_b32_e32 v26, 7, v1
; %bb.519:                              ;   in Loop: Header=BB366_10 Depth=1
	s_or_b32 exec_lo, exec_lo, s20
	v_mov_b32_e32 v1, 24
	v_lshlrev_b32_e32 v2, 20, v26
	v_lshl_add_u32 v0, v0, 23, 0x3c000000
	v_lshlrev_b32_sdwa v1, v1, v25 dst_sel:DWORD dst_unused:UNUSED_PAD src0_sel:DWORD src1_sel:BYTE_3
	v_and_b32_e32 v1, 0x80000000, v1
	v_or3_b32 v109, v2, v1, v0
.LBB366_520:                            ;   in Loop: Header=BB366_10 Depth=1
	s_or_b32 exec_lo, exec_lo, s19
.LBB366_521:                            ;   in Loop: Header=BB366_10 Depth=1
	s_or_b32 exec_lo, exec_lo, s18
.LBB366_522:                            ;   in Loop: Header=BB366_10 Depth=1
	s_or_b32 exec_lo, exec_lo, s6
	v_add_co_u32 v16, s5, 0x800, v16
	v_add_co_ci_u32_e64 v17, null, 0, v17, s5
	flat_load_dwordx2 v[24:25], v[16:17]
	s_waitcnt vmcnt(0) lgkmcnt(0)
	v_cmp_ne_u16_sdwa s5, v24, v13 src0_sel:BYTE_0 src1_sel:DWORD
	s_and_saveexec_b32 s6, s5
	s_cbranch_execz .LBB366_530
; %bb.523:                              ;   in Loop: Header=BB366_10 Depth=1
	v_mov_b32_e32 v0, 0x80
	v_bfrev_b32_e32 v110, 1
	v_cmp_ne_u16_sdwa s5, v24, v0 src0_sel:BYTE_0 src1_sel:DWORD
	s_and_saveexec_b32 s18, s5
	s_cbranch_execz .LBB366_529
; %bb.524:                              ;   in Loop: Header=BB366_10 Depth=1
	v_and_b32_e32 v1, 0x7f, v24
	v_mov_b32_e32 v110, 0x7f800001
	s_mov_b32 s19, exec_lo
	v_cmpx_ne_u32_e32 0x7f, v1
	s_cbranch_execz .LBB366_528
; %bb.525:                              ;   in Loop: Header=BB366_10 Depth=1
	v_mov_b32_e32 v27, v25
	v_lshrrev_b32_e32 v0, 3, v1
	v_mov_b32_e32 v26, v24
	s_mov_b32 s20, exec_lo
	v_cmpx_gt_u32_e32 8, v1
; %bb.526:                              ;   in Loop: Header=BB366_10 Depth=1
	v_and_b32_e32 v0, 7, v24
	v_ffbh_u32_e32 v0, v0
	v_min_u32_e32 v0, 32, v0
	v_subrev_nc_u32_e32 v1, 28, v0
	v_sub_nc_u32_e32 v0, 29, v0
	v_lshlrev_b64 v[26:27], v1, v[24:25]
; %bb.527:                              ;   in Loop: Header=BB366_10 Depth=1
	s_or_b32 exec_lo, exec_lo, s20
	v_lshlrev_b32_e32 v1, 20, v26
	v_lshlrev_b32_e32 v2, 24, v24
	v_lshl_add_u32 v0, v0, 23, 0x3c000000
	v_and_b32_e32 v1, 0x700000, v1
	v_and_b32_e32 v2, 0x80000000, v2
	v_or3_b32 v110, v1, v2, v0
.LBB366_528:                            ;   in Loop: Header=BB366_10 Depth=1
	s_or_b32 exec_lo, exec_lo, s19
.LBB366_529:                            ;   in Loop: Header=BB366_10 Depth=1
	s_or_b32 exec_lo, exec_lo, s18
.LBB366_530:                            ;   in Loop: Header=BB366_10 Depth=1
	s_or_b32 exec_lo, exec_lo, s6
	v_cmp_ne_u16_sdwa s5, v24, v13 src0_sel:BYTE_1 src1_sel:DWORD
	v_mov_b32_e32 v120, 0
	v_mov_b32_e32 v111, 0
	s_and_saveexec_b32 s6, s5
	s_cbranch_execz .LBB366_538
; %bb.531:                              ;   in Loop: Header=BB366_10 Depth=1
	v_mov_b32_e32 v0, 0x80
	v_bfrev_b32_e32 v111, 1
	v_cmp_ne_u16_sdwa s5, v24, v0 src0_sel:BYTE_1 src1_sel:DWORD
	s_and_saveexec_b32 s18, s5
	s_cbranch_execz .LBB366_537
; %bb.532:                              ;   in Loop: Header=BB366_10 Depth=1
	v_mov_b32_e32 v0, 0xffff
	v_mov_b32_e32 v111, 0x7f800001
	s_mov_b32 s19, exec_lo
	v_and_b32_sdwa v0, v0, v24 dst_sel:DWORD dst_unused:UNUSED_PAD src0_sel:DWORD src1_sel:BYTE_1
	v_and_b32_e32 v1, 0x7f, v0
	v_cmpx_ne_u32_e32 0x7f, v1
	s_cbranch_execz .LBB366_536
; %bb.533:                              ;   in Loop: Header=BB366_10 Depth=1
	v_and_b32_e32 v12, 7, v0
	v_mov_b32_e32 v27, v13
	v_lshrrev_b32_e32 v0, 3, v1
	s_mov_b32 s20, exec_lo
	v_mov_b32_e32 v26, v12
	v_cmpx_gt_u32_e32 8, v1
; %bb.534:                              ;   in Loop: Header=BB366_10 Depth=1
	v_ffbh_u32_e32 v0, v12
	v_min_u32_e32 v0, 32, v0
	v_subrev_nc_u32_e32 v1, 28, v0
	v_sub_nc_u32_e32 v0, 29, v0
	v_lshlrev_b64 v[1:2], v1, v[12:13]
	v_and_b32_e32 v26, 7, v1
; %bb.535:                              ;   in Loop: Header=BB366_10 Depth=1
	s_or_b32 exec_lo, exec_lo, s20
	v_lshlrev_b32_e32 v1, 16, v24
	v_lshlrev_b32_e32 v2, 20, v26
	v_lshl_add_u32 v0, v0, 23, 0x3c000000
	v_and_b32_e32 v1, 0x80000000, v1
	v_or3_b32 v111, v2, v1, v0
.LBB366_536:                            ;   in Loop: Header=BB366_10 Depth=1
	s_or_b32 exec_lo, exec_lo, s19
.LBB366_537:                            ;   in Loop: Header=BB366_10 Depth=1
	s_or_b32 exec_lo, exec_lo, s18
.LBB366_538:                            ;   in Loop: Header=BB366_10 Depth=1
	s_or_b32 exec_lo, exec_lo, s6
	v_mov_b32_e32 v0, 0xff
	s_mov_b32 s6, exec_lo
	v_and_b32_sdwa v0, v24, v0 dst_sel:DWORD dst_unused:UNUSED_PAD src0_sel:WORD_1 src1_sel:DWORD
	v_cmpx_ne_u16_e32 0, v0
	s_cbranch_execz .LBB366_546
; %bb.539:                              ;   in Loop: Header=BB366_10 Depth=1
	v_bfrev_b32_e32 v120, 1
	s_mov_b32 s18, exec_lo
	v_cmpx_ne_u16_e32 0x80, v0
	s_cbranch_execz .LBB366_545
; %bb.540:                              ;   in Loop: Header=BB366_10 Depth=1
	v_bfe_u32 v1, v24, 16, 7
	v_mov_b32_e32 v120, 0x7f800001
	s_mov_b32 s19, exec_lo
	v_cmpx_ne_u32_e32 0x7f, v1
	s_cbranch_execz .LBB366_544
; %bb.541:                              ;   in Loop: Header=BB366_10 Depth=1
	v_mov_b32_e32 v0, 7
	s_mov_b32 s20, exec_lo
	v_and_b32_sdwa v12, v24, v0 dst_sel:DWORD dst_unused:UNUSED_PAD src0_sel:WORD_1 src1_sel:DWORD
	v_mov_b32_e32 v27, v13
	v_lshrrev_b32_e32 v0, 3, v1
	v_mov_b32_e32 v26, v12
	v_cmpx_gt_u32_e32 8, v1
; %bb.542:                              ;   in Loop: Header=BB366_10 Depth=1
	v_ffbh_u32_e32 v0, v12
	v_min_u32_e32 v0, 32, v0
	v_subrev_nc_u32_e32 v1, 28, v0
	v_sub_nc_u32_e32 v0, 29, v0
	v_lshlrev_b64 v[1:2], v1, v[12:13]
	v_and_b32_e32 v26, 7, v1
; %bb.543:                              ;   in Loop: Header=BB366_10 Depth=1
	s_or_b32 exec_lo, exec_lo, s20
	v_mov_b32_e32 v1, 24
	v_lshlrev_b32_e32 v2, 20, v26
	v_lshl_add_u32 v0, v0, 23, 0x3c000000
	v_lshlrev_b32_sdwa v1, v1, v24 dst_sel:DWORD dst_unused:UNUSED_PAD src0_sel:DWORD src1_sel:WORD_1
	v_and_b32_e32 v1, 0x80000000, v1
	v_or3_b32 v120, v2, v1, v0
.LBB366_544:                            ;   in Loop: Header=BB366_10 Depth=1
	s_or_b32 exec_lo, exec_lo, s19
.LBB366_545:                            ;   in Loop: Header=BB366_10 Depth=1
	s_or_b32 exec_lo, exec_lo, s18
.LBB366_546:                            ;   in Loop: Header=BB366_10 Depth=1
	s_or_b32 exec_lo, exec_lo, s6
	v_mov_b32_e32 v122, 0
	v_mov_b32_e32 v121, 0
	s_mov_b32 s6, exec_lo
	v_cmpx_lt_u32_e32 0xffffff, v24
	s_cbranch_execz .LBB366_554
; %bb.547:                              ;   in Loop: Header=BB366_10 Depth=1
	v_mov_b32_e32 v0, 0x80
	v_bfrev_b32_e32 v121, 1
	v_cmp_ne_u32_sdwa s5, v24, v0 src0_sel:BYTE_3 src1_sel:DWORD
	s_and_saveexec_b32 s18, s5
	s_cbranch_execz .LBB366_553
; %bb.548:                              ;   in Loop: Header=BB366_10 Depth=1
	v_bfe_u32 v1, v24, 24, 7
	v_mov_b32_e32 v121, 0x7f800001
	s_mov_b32 s19, exec_lo
	v_cmpx_ne_u32_e32 0x7f, v1
	s_cbranch_execz .LBB366_552
; %bb.549:                              ;   in Loop: Header=BB366_10 Depth=1
	v_mov_b32_e32 v0, 7
	s_mov_b32 s20, exec_lo
	v_and_b32_sdwa v12, v24, v0 dst_sel:DWORD dst_unused:UNUSED_PAD src0_sel:BYTE_3 src1_sel:DWORD
	v_mov_b32_e32 v27, v13
	v_lshrrev_b32_e32 v0, 3, v1
	v_mov_b32_e32 v26, v12
	v_cmpx_gt_u32_e32 8, v1
; %bb.550:                              ;   in Loop: Header=BB366_10 Depth=1
	v_ffbh_u32_e32 v0, v12
	v_min_u32_e32 v0, 32, v0
	v_subrev_nc_u32_e32 v1, 28, v0
	v_sub_nc_u32_e32 v0, 29, v0
	v_lshlrev_b64 v[1:2], v1, v[12:13]
	v_and_b32_e32 v26, 7, v1
; %bb.551:                              ;   in Loop: Header=BB366_10 Depth=1
	s_or_b32 exec_lo, exec_lo, s20
	v_mov_b32_e32 v1, 24
	v_lshlrev_b32_e32 v2, 20, v26
	v_lshl_add_u32 v0, v0, 23, 0x3c000000
	v_lshlrev_b32_sdwa v1, v1, v24 dst_sel:DWORD dst_unused:UNUSED_PAD src0_sel:DWORD src1_sel:BYTE_3
	v_and_b32_e32 v1, 0x80000000, v1
	v_or3_b32 v121, v2, v1, v0
.LBB366_552:                            ;   in Loop: Header=BB366_10 Depth=1
	s_or_b32 exec_lo, exec_lo, s19
.LBB366_553:                            ;   in Loop: Header=BB366_10 Depth=1
	s_or_b32 exec_lo, exec_lo, s18
.LBB366_554:                            ;   in Loop: Header=BB366_10 Depth=1
	s_or_b32 exec_lo, exec_lo, s6
	v_mov_b32_e32 v12, v25
	v_cmp_ne_u16_sdwa s5, v25, v13 src0_sel:BYTE_0 src1_sel:DWORD
	s_and_saveexec_b32 s6, s5
	s_cbranch_execz .LBB366_562
; %bb.555:                              ;   in Loop: Header=BB366_10 Depth=1
	v_mov_b32_e32 v0, 0x80
	v_bfrev_b32_e32 v122, 1
	v_cmp_ne_u16_sdwa s5, v25, v0 src0_sel:BYTE_0 src1_sel:DWORD
	s_and_saveexec_b32 s18, s5
	s_cbranch_execz .LBB366_561
; %bb.556:                              ;   in Loop: Header=BB366_10 Depth=1
	v_and_b32_e32 v1, 0x7f, v25
	v_mov_b32_e32 v122, 0x7f800001
	s_mov_b32 s19, exec_lo
	v_cmpx_ne_u32_e32 0x7f, v1
	s_cbranch_execz .LBB366_560
; %bb.557:                              ;   in Loop: Header=BB366_10 Depth=1
	v_mov_b32_e32 v27, v13
	v_lshrrev_b32_e32 v0, 3, v1
	v_mov_b32_e32 v26, v12
	s_mov_b32 s20, exec_lo
	v_cmpx_gt_u32_e32 8, v1
; %bb.558:                              ;   in Loop: Header=BB366_10 Depth=1
	v_and_b32_e32 v0, 7, v25
	v_ffbh_u32_e32 v0, v0
	v_min_u32_e32 v0, 32, v0
	v_subrev_nc_u32_e32 v1, 28, v0
	v_sub_nc_u32_e32 v0, 29, v0
	v_lshlrev_b64 v[26:27], v1, v[12:13]
; %bb.559:                              ;   in Loop: Header=BB366_10 Depth=1
	s_or_b32 exec_lo, exec_lo, s20
	v_lshlrev_b32_e32 v1, 20, v26
	v_lshlrev_b32_e32 v2, 24, v12
	v_lshl_add_u32 v0, v0, 23, 0x3c000000
	v_and_b32_e32 v1, 0x700000, v1
	v_and_b32_e32 v2, 0x80000000, v2
	v_or3_b32 v122, v1, v2, v0
.LBB366_560:                            ;   in Loop: Header=BB366_10 Depth=1
	s_or_b32 exec_lo, exec_lo, s19
.LBB366_561:                            ;   in Loop: Header=BB366_10 Depth=1
	s_or_b32 exec_lo, exec_lo, s18
.LBB366_562:                            ;   in Loop: Header=BB366_10 Depth=1
	s_or_b32 exec_lo, exec_lo, s6
	v_cmp_ne_u16_sdwa s5, v12, v13 src0_sel:BYTE_1 src1_sel:DWORD
	v_mov_b32_e32 v123, 0
	v_mov_b32_e32 v124, 0
	s_and_saveexec_b32 s6, s5
	s_cbranch_execz .LBB366_570
; %bb.563:                              ;   in Loop: Header=BB366_10 Depth=1
	v_mov_b32_e32 v0, 0x80
	v_bfrev_b32_e32 v124, 1
	v_cmp_ne_u16_sdwa s5, v12, v0 src0_sel:BYTE_1 src1_sel:DWORD
	s_and_saveexec_b32 s18, s5
	s_cbranch_execz .LBB366_569
; %bb.564:                              ;   in Loop: Header=BB366_10 Depth=1
	v_mov_b32_e32 v0, 0xffff
	v_mov_b32_e32 v124, 0x7f800001
	s_mov_b32 s19, exec_lo
	v_and_b32_sdwa v0, v0, v12 dst_sel:DWORD dst_unused:UNUSED_PAD src0_sel:DWORD src1_sel:BYTE_1
	v_and_b32_e32 v1, 0x7f, v0
	v_cmpx_ne_u32_e32 0x7f, v1
	s_cbranch_execz .LBB366_568
; %bb.565:                              ;   in Loop: Header=BB366_10 Depth=1
	v_and_b32_e32 v26, 7, v0
	v_mov_b32_e32 v27, v13
	v_lshrrev_b32_e32 v0, 3, v1
	s_mov_b32 s20, exec_lo
	v_cmpx_gt_u32_e32 8, v1
; %bb.566:                              ;   in Loop: Header=BB366_10 Depth=1
	v_ffbh_u32_e32 v0, v26
	v_min_u32_e32 v0, 32, v0
	v_subrev_nc_u32_e32 v1, 28, v0
	v_sub_nc_u32_e32 v0, 29, v0
	v_lshlrev_b64 v[1:2], v1, v[26:27]
	v_and_b32_e32 v26, 7, v1
; %bb.567:                              ;   in Loop: Header=BB366_10 Depth=1
	s_or_b32 exec_lo, exec_lo, s20
	v_lshlrev_b32_e32 v1, 16, v12
	v_lshlrev_b32_e32 v2, 20, v26
	v_lshl_add_u32 v0, v0, 23, 0x3c000000
	v_and_b32_e32 v1, 0x80000000, v1
	v_or3_b32 v124, v2, v1, v0
.LBB366_568:                            ;   in Loop: Header=BB366_10 Depth=1
	s_or_b32 exec_lo, exec_lo, s19
.LBB366_569:                            ;   in Loop: Header=BB366_10 Depth=1
	s_or_b32 exec_lo, exec_lo, s18
.LBB366_570:                            ;   in Loop: Header=BB366_10 Depth=1
	s_or_b32 exec_lo, exec_lo, s6
	v_mov_b32_e32 v0, 0xff
	s_mov_b32 s6, exec_lo
	v_and_b32_sdwa v0, v25, v0 dst_sel:DWORD dst_unused:UNUSED_PAD src0_sel:WORD_1 src1_sel:DWORD
	v_cmpx_ne_u16_e32 0, v0
	s_cbranch_execz .LBB366_578
; %bb.571:                              ;   in Loop: Header=BB366_10 Depth=1
	v_bfrev_b32_e32 v123, 1
	s_mov_b32 s18, exec_lo
	v_cmpx_ne_u16_e32 0x80, v0
	s_cbranch_execz .LBB366_577
; %bb.572:                              ;   in Loop: Header=BB366_10 Depth=1
	v_bfe_u32 v1, v25, 16, 7
	v_mov_b32_e32 v123, 0x7f800001
	s_mov_b32 s19, exec_lo
	v_cmpx_ne_u32_e32 0x7f, v1
	s_cbranch_execz .LBB366_576
; %bb.573:                              ;   in Loop: Header=BB366_10 Depth=1
	v_mov_b32_e32 v0, 7
	s_mov_b32 s20, exec_lo
	v_and_b32_sdwa v12, v25, v0 dst_sel:DWORD dst_unused:UNUSED_PAD src0_sel:WORD_1 src1_sel:DWORD
	v_mov_b32_e32 v27, v13
	v_lshrrev_b32_e32 v0, 3, v1
	v_mov_b32_e32 v26, v12
	v_cmpx_gt_u32_e32 8, v1
; %bb.574:                              ;   in Loop: Header=BB366_10 Depth=1
	v_ffbh_u32_e32 v0, v12
	v_min_u32_e32 v0, 32, v0
	v_subrev_nc_u32_e32 v1, 28, v0
	v_sub_nc_u32_e32 v0, 29, v0
	v_lshlrev_b64 v[1:2], v1, v[12:13]
	v_and_b32_e32 v26, 7, v1
; %bb.575:                              ;   in Loop: Header=BB366_10 Depth=1
	s_or_b32 exec_lo, exec_lo, s20
	v_mov_b32_e32 v1, 24
	v_lshlrev_b32_e32 v2, 20, v26
	v_lshl_add_u32 v0, v0, 23, 0x3c000000
	v_lshlrev_b32_sdwa v1, v1, v25 dst_sel:DWORD dst_unused:UNUSED_PAD src0_sel:DWORD src1_sel:WORD_1
	v_and_b32_e32 v1, 0x80000000, v1
	v_or3_b32 v123, v2, v1, v0
.LBB366_576:                            ;   in Loop: Header=BB366_10 Depth=1
	s_or_b32 exec_lo, exec_lo, s19
.LBB366_577:                            ;   in Loop: Header=BB366_10 Depth=1
	s_or_b32 exec_lo, exec_lo, s18
.LBB366_578:                            ;   in Loop: Header=BB366_10 Depth=1
	s_or_b32 exec_lo, exec_lo, s6
	v_mov_b32_e32 v126, 0
	v_mov_b32_e32 v125, 0
	s_mov_b32 s6, exec_lo
	v_cmpx_lt_u64_e64 s[8:9], v[24:25]
	s_cbranch_execz .LBB366_586
; %bb.579:                              ;   in Loop: Header=BB366_10 Depth=1
	v_mov_b32_e32 v0, 0x80
	v_bfrev_b32_e32 v125, 1
	v_cmp_ne_u32_sdwa s5, v25, v0 src0_sel:BYTE_3 src1_sel:DWORD
	s_and_saveexec_b32 s18, s5
	s_cbranch_execz .LBB366_585
; %bb.580:                              ;   in Loop: Header=BB366_10 Depth=1
	v_bfe_u32 v1, v25, 24, 7
	v_mov_b32_e32 v125, 0x7f800001
	s_mov_b32 s19, exec_lo
	v_cmpx_ne_u32_e32 0x7f, v1
	s_cbranch_execz .LBB366_584
; %bb.581:                              ;   in Loop: Header=BB366_10 Depth=1
	v_mov_b32_e32 v0, 7
	s_mov_b32 s20, exec_lo
	v_and_b32_sdwa v12, v25, v0 dst_sel:DWORD dst_unused:UNUSED_PAD src0_sel:BYTE_3 src1_sel:DWORD
	v_mov_b32_e32 v27, v13
	v_lshrrev_b32_e32 v0, 3, v1
	v_mov_b32_e32 v26, v12
	v_cmpx_gt_u32_e32 8, v1
; %bb.582:                              ;   in Loop: Header=BB366_10 Depth=1
	v_ffbh_u32_e32 v0, v12
	v_min_u32_e32 v0, 32, v0
	v_subrev_nc_u32_e32 v1, 28, v0
	v_sub_nc_u32_e32 v0, 29, v0
	v_lshlrev_b64 v[1:2], v1, v[12:13]
	v_and_b32_e32 v26, 7, v1
; %bb.583:                              ;   in Loop: Header=BB366_10 Depth=1
	s_or_b32 exec_lo, exec_lo, s20
	v_mov_b32_e32 v1, 24
	v_lshlrev_b32_e32 v2, 20, v26
	v_lshl_add_u32 v0, v0, 23, 0x3c000000
	v_lshlrev_b32_sdwa v1, v1, v25 dst_sel:DWORD dst_unused:UNUSED_PAD src0_sel:DWORD src1_sel:BYTE_3
	v_and_b32_e32 v1, 0x80000000, v1
	v_or3_b32 v125, v2, v1, v0
.LBB366_584:                            ;   in Loop: Header=BB366_10 Depth=1
	s_or_b32 exec_lo, exec_lo, s19
.LBB366_585:                            ;   in Loop: Header=BB366_10 Depth=1
	s_or_b32 exec_lo, exec_lo, s18
.LBB366_586:                            ;   in Loop: Header=BB366_10 Depth=1
	s_or_b32 exec_lo, exec_lo, s6
	flat_load_dwordx2 v[24:25], v[16:17] offset:8
	s_waitcnt vmcnt(0) lgkmcnt(0)
	v_cmp_ne_u16_sdwa s5, v24, v13 src0_sel:BYTE_0 src1_sel:DWORD
	s_and_saveexec_b32 s6, s5
	s_cbranch_execz .LBB366_594
; %bb.587:                              ;   in Loop: Header=BB366_10 Depth=1
	v_mov_b32_e32 v0, 0x80
	v_bfrev_b32_e32 v126, 1
	v_cmp_ne_u16_sdwa s5, v24, v0 src0_sel:BYTE_0 src1_sel:DWORD
	s_and_saveexec_b32 s18, s5
	s_cbranch_execz .LBB366_593
; %bb.588:                              ;   in Loop: Header=BB366_10 Depth=1
	v_and_b32_e32 v1, 0x7f, v24
	v_mov_b32_e32 v126, 0x7f800001
	s_mov_b32 s19, exec_lo
	v_cmpx_ne_u32_e32 0x7f, v1
	s_cbranch_execz .LBB366_592
; %bb.589:                              ;   in Loop: Header=BB366_10 Depth=1
	v_mov_b32_e32 v27, v25
	v_lshrrev_b32_e32 v0, 3, v1
	v_mov_b32_e32 v26, v24
	s_mov_b32 s20, exec_lo
	v_cmpx_gt_u32_e32 8, v1
; %bb.590:                              ;   in Loop: Header=BB366_10 Depth=1
	v_and_b32_e32 v0, 7, v24
	v_ffbh_u32_e32 v0, v0
	v_min_u32_e32 v0, 32, v0
	v_subrev_nc_u32_e32 v1, 28, v0
	v_sub_nc_u32_e32 v0, 29, v0
	v_lshlrev_b64 v[26:27], v1, v[24:25]
; %bb.591:                              ;   in Loop: Header=BB366_10 Depth=1
	s_or_b32 exec_lo, exec_lo, s20
	v_lshlrev_b32_e32 v1, 20, v26
	v_lshlrev_b32_e32 v2, 24, v24
	v_lshl_add_u32 v0, v0, 23, 0x3c000000
	v_and_b32_e32 v1, 0x700000, v1
	v_and_b32_e32 v2, 0x80000000, v2
	v_or3_b32 v126, v1, v2, v0
.LBB366_592:                            ;   in Loop: Header=BB366_10 Depth=1
	s_or_b32 exec_lo, exec_lo, s19
.LBB366_593:                            ;   in Loop: Header=BB366_10 Depth=1
	s_or_b32 exec_lo, exec_lo, s18
.LBB366_594:                            ;   in Loop: Header=BB366_10 Depth=1
	s_or_b32 exec_lo, exec_lo, s6
	v_cmp_ne_u16_sdwa s5, v24, v13 src0_sel:BYTE_1 src1_sel:DWORD
	v_mov_b32_e32 v33, 0
	v_mov_b32_e32 v127, 0
	s_and_saveexec_b32 s6, s5
	s_cbranch_execz .LBB366_602
; %bb.595:                              ;   in Loop: Header=BB366_10 Depth=1
	v_mov_b32_e32 v0, 0x80
	v_bfrev_b32_e32 v127, 1
	v_cmp_ne_u16_sdwa s5, v24, v0 src0_sel:BYTE_1 src1_sel:DWORD
	s_and_saveexec_b32 s18, s5
	s_cbranch_execz .LBB366_601
; %bb.596:                              ;   in Loop: Header=BB366_10 Depth=1
	v_mov_b32_e32 v0, 0xffff
	v_mov_b32_e32 v127, 0x7f800001
	s_mov_b32 s19, exec_lo
	v_and_b32_sdwa v0, v0, v24 dst_sel:DWORD dst_unused:UNUSED_PAD src0_sel:DWORD src1_sel:BYTE_1
	v_and_b32_e32 v1, 0x7f, v0
	v_cmpx_ne_u32_e32 0x7f, v1
	s_cbranch_execz .LBB366_600
; %bb.597:                              ;   in Loop: Header=BB366_10 Depth=1
	v_and_b32_e32 v12, 7, v0
	v_mov_b32_e32 v27, v13
	v_lshrrev_b32_e32 v0, 3, v1
	s_mov_b32 s20, exec_lo
	v_mov_b32_e32 v26, v12
	v_cmpx_gt_u32_e32 8, v1
; %bb.598:                              ;   in Loop: Header=BB366_10 Depth=1
	v_ffbh_u32_e32 v0, v12
	v_min_u32_e32 v0, 32, v0
	v_subrev_nc_u32_e32 v1, 28, v0
	v_sub_nc_u32_e32 v0, 29, v0
	v_lshlrev_b64 v[1:2], v1, v[12:13]
	v_and_b32_e32 v26, 7, v1
; %bb.599:                              ;   in Loop: Header=BB366_10 Depth=1
	s_or_b32 exec_lo, exec_lo, s20
	v_lshlrev_b32_e32 v1, 16, v24
	v_lshlrev_b32_e32 v2, 20, v26
	v_lshl_add_u32 v0, v0, 23, 0x3c000000
	v_and_b32_e32 v1, 0x80000000, v1
	v_or3_b32 v127, v2, v1, v0
.LBB366_600:                            ;   in Loop: Header=BB366_10 Depth=1
	s_or_b32 exec_lo, exec_lo, s19
.LBB366_601:                            ;   in Loop: Header=BB366_10 Depth=1
	s_or_b32 exec_lo, exec_lo, s18
.LBB366_602:                            ;   in Loop: Header=BB366_10 Depth=1
	s_or_b32 exec_lo, exec_lo, s6
	v_mov_b32_e32 v0, 0xff
	s_mov_b32 s6, exec_lo
	v_and_b32_sdwa v0, v24, v0 dst_sel:DWORD dst_unused:UNUSED_PAD src0_sel:WORD_1 src1_sel:DWORD
	v_cmpx_ne_u16_e32 0, v0
	s_cbranch_execz .LBB366_610
; %bb.603:                              ;   in Loop: Header=BB366_10 Depth=1
	v_bfrev_b32_e32 v33, 1
	s_mov_b32 s18, exec_lo
	v_cmpx_ne_u16_e32 0x80, v0
	s_cbranch_execz .LBB366_609
; %bb.604:                              ;   in Loop: Header=BB366_10 Depth=1
	v_bfe_u32 v1, v24, 16, 7
	v_mov_b32_e32 v33, 0x7f800001
	s_mov_b32 s19, exec_lo
	v_cmpx_ne_u32_e32 0x7f, v1
	s_cbranch_execz .LBB366_608
; %bb.605:                              ;   in Loop: Header=BB366_10 Depth=1
	v_mov_b32_e32 v0, 7
	s_mov_b32 s20, exec_lo
	v_and_b32_sdwa v12, v24, v0 dst_sel:DWORD dst_unused:UNUSED_PAD src0_sel:WORD_1 src1_sel:DWORD
	v_mov_b32_e32 v27, v13
	v_lshrrev_b32_e32 v0, 3, v1
	v_mov_b32_e32 v26, v12
	v_cmpx_gt_u32_e32 8, v1
; %bb.606:                              ;   in Loop: Header=BB366_10 Depth=1
	v_ffbh_u32_e32 v0, v12
	v_min_u32_e32 v0, 32, v0
	v_subrev_nc_u32_e32 v1, 28, v0
	v_sub_nc_u32_e32 v0, 29, v0
	v_lshlrev_b64 v[1:2], v1, v[12:13]
	v_and_b32_e32 v26, 7, v1
; %bb.607:                              ;   in Loop: Header=BB366_10 Depth=1
	s_or_b32 exec_lo, exec_lo, s20
	v_mov_b32_e32 v1, 24
	v_lshlrev_b32_e32 v2, 20, v26
	v_lshl_add_u32 v0, v0, 23, 0x3c000000
	v_lshlrev_b32_sdwa v1, v1, v24 dst_sel:DWORD dst_unused:UNUSED_PAD src0_sel:DWORD src1_sel:WORD_1
	v_and_b32_e32 v1, 0x80000000, v1
	v_or3_b32 v33, v2, v1, v0
.LBB366_608:                            ;   in Loop: Header=BB366_10 Depth=1
	s_or_b32 exec_lo, exec_lo, s19
.LBB366_609:                            ;   in Loop: Header=BB366_10 Depth=1
	s_or_b32 exec_lo, exec_lo, s18
.LBB366_610:                            ;   in Loop: Header=BB366_10 Depth=1
	s_or_b32 exec_lo, exec_lo, s6
	v_mov_b32_e32 v0, 0
	v_mov_b32_e32 v1, 0
	s_mov_b32 s6, exec_lo
	v_cmpx_lt_u32_e32 0xffffff, v24
	s_cbranch_execz .LBB366_618
; %bb.611:                              ;   in Loop: Header=BB366_10 Depth=1
	v_mov_b32_e32 v1, 0x80
	v_cmp_ne_u32_sdwa s5, v24, v1 src0_sel:BYTE_3 src1_sel:DWORD
	v_bfrev_b32_e32 v1, 1
	s_and_saveexec_b32 s18, s5
	s_cbranch_execz .LBB366_617
; %bb.612:                              ;   in Loop: Header=BB366_10 Depth=1
	v_bfe_u32 v2, v24, 24, 7
	v_mov_b32_e32 v1, 0x7f800001
	s_mov_b32 s19, exec_lo
	v_cmpx_ne_u32_e32 0x7f, v2
	s_cbranch_execz .LBB366_616
; %bb.613:                              ;   in Loop: Header=BB366_10 Depth=1
	v_mov_b32_e32 v1, 7
	s_mov_b32 s20, exec_lo
	v_and_b32_sdwa v12, v24, v1 dst_sel:DWORD dst_unused:UNUSED_PAD src0_sel:BYTE_3 src1_sel:DWORD
	v_mov_b32_e32 v27, v13
	v_lshrrev_b32_e32 v1, 3, v2
	v_mov_b32_e32 v26, v12
	v_cmpx_gt_u32_e32 8, v2
; %bb.614:                              ;   in Loop: Header=BB366_10 Depth=1
	v_ffbh_u32_e32 v1, v12
	v_min_u32_e32 v1, 32, v1
	v_subrev_nc_u32_e32 v2, 28, v1
	v_sub_nc_u32_e32 v1, 29, v1
	v_lshlrev_b64 v[2:3], v2, v[12:13]
	v_and_b32_e32 v26, 7, v2
; %bb.615:                              ;   in Loop: Header=BB366_10 Depth=1
	s_or_b32 exec_lo, exec_lo, s20
	v_mov_b32_e32 v2, 24
	v_lshlrev_b32_e32 v3, 20, v26
	v_lshl_add_u32 v1, v1, 23, 0x3c000000
	v_lshlrev_b32_sdwa v2, v2, v24 dst_sel:DWORD dst_unused:UNUSED_PAD src0_sel:DWORD src1_sel:BYTE_3
	v_and_b32_e32 v2, 0x80000000, v2
	v_or3_b32 v1, v3, v2, v1
.LBB366_616:                            ;   in Loop: Header=BB366_10 Depth=1
	s_or_b32 exec_lo, exec_lo, s19
.LBB366_617:                            ;   in Loop: Header=BB366_10 Depth=1
	s_or_b32 exec_lo, exec_lo, s18
.LBB366_618:                            ;   in Loop: Header=BB366_10 Depth=1
	s_or_b32 exec_lo, exec_lo, s6
	v_mov_b32_e32 v12, v25
	v_cmp_ne_u16_sdwa s5, v25, v13 src0_sel:BYTE_0 src1_sel:DWORD
	s_and_saveexec_b32 s6, s5
	s_cbranch_execz .LBB366_626
; %bb.619:                              ;   in Loop: Header=BB366_10 Depth=1
	v_mov_b32_e32 v0, 0x80
	v_cmp_ne_u16_sdwa s5, v25, v0 src0_sel:BYTE_0 src1_sel:DWORD
	v_bfrev_b32_e32 v0, 1
	s_and_saveexec_b32 s18, s5
	s_cbranch_execz .LBB366_625
; %bb.620:                              ;   in Loop: Header=BB366_10 Depth=1
	v_and_b32_e32 v2, 0x7f, v25
	v_mov_b32_e32 v0, 0x7f800001
	s_mov_b32 s19, exec_lo
	v_cmpx_ne_u32_e32 0x7f, v2
	s_cbranch_execz .LBB366_624
; %bb.621:                              ;   in Loop: Header=BB366_10 Depth=1
	v_mov_b32_e32 v27, v13
	v_lshrrev_b32_e32 v0, 3, v2
	v_mov_b32_e32 v26, v12
	s_mov_b32 s20, exec_lo
	v_cmpx_gt_u32_e32 8, v2
; %bb.622:                              ;   in Loop: Header=BB366_10 Depth=1
	v_and_b32_e32 v0, 7, v25
	v_ffbh_u32_e32 v0, v0
	v_min_u32_e32 v0, 32, v0
	v_subrev_nc_u32_e32 v2, 28, v0
	v_sub_nc_u32_e32 v0, 29, v0
	v_lshlrev_b64 v[26:27], v2, v[12:13]
; %bb.623:                              ;   in Loop: Header=BB366_10 Depth=1
	s_or_b32 exec_lo, exec_lo, s20
	v_lshlrev_b32_e32 v2, 20, v26
	v_lshlrev_b32_e32 v3, 24, v12
	v_lshl_add_u32 v0, v0, 23, 0x3c000000
	v_and_b32_e32 v2, 0x700000, v2
	v_and_b32_e32 v3, 0x80000000, v3
	v_or3_b32 v0, v2, v3, v0
.LBB366_624:                            ;   in Loop: Header=BB366_10 Depth=1
	s_or_b32 exec_lo, exec_lo, s19
.LBB366_625:                            ;   in Loop: Header=BB366_10 Depth=1
	s_or_b32 exec_lo, exec_lo, s18
.LBB366_626:                            ;   in Loop: Header=BB366_10 Depth=1
	s_or_b32 exec_lo, exec_lo, s6
	v_cmp_ne_u16_sdwa s5, v12, v13 src0_sel:BYTE_1 src1_sel:DWORD
	v_mov_b32_e32 v31, 0
	v_mov_b32_e32 v29, 0
	s_and_saveexec_b32 s6, s5
	s_cbranch_execz .LBB366_634
; %bb.627:                              ;   in Loop: Header=BB366_10 Depth=1
	v_mov_b32_e32 v2, 0x80
	v_bfrev_b32_e32 v29, 1
	v_cmp_ne_u16_sdwa s5, v12, v2 src0_sel:BYTE_1 src1_sel:DWORD
	s_and_saveexec_b32 s18, s5
	s_cbranch_execz .LBB366_633
; %bb.628:                              ;   in Loop: Header=BB366_10 Depth=1
	v_mov_b32_e32 v2, 0xffff
	v_mov_b32_e32 v29, 0x7f800001
	s_mov_b32 s19, exec_lo
	v_and_b32_sdwa v2, v2, v12 dst_sel:DWORD dst_unused:UNUSED_PAD src0_sel:DWORD src1_sel:BYTE_1
	v_and_b32_e32 v3, 0x7f, v2
	v_cmpx_ne_u32_e32 0x7f, v3
	s_cbranch_execz .LBB366_632
; %bb.629:                              ;   in Loop: Header=BB366_10 Depth=1
	v_and_b32_e32 v26, 7, v2
	v_mov_b32_e32 v27, v13
	v_lshrrev_b32_e32 v2, 3, v3
	s_mov_b32 s20, exec_lo
	v_cmpx_gt_u32_e32 8, v3
; %bb.630:                              ;   in Loop: Header=BB366_10 Depth=1
	v_ffbh_u32_e32 v2, v26
	v_min_u32_e32 v2, 32, v2
	v_subrev_nc_u32_e32 v3, 28, v2
	v_sub_nc_u32_e32 v2, 29, v2
	v_lshlrev_b64 v[3:4], v3, v[26:27]
	v_and_b32_e32 v26, 7, v3
; %bb.631:                              ;   in Loop: Header=BB366_10 Depth=1
	s_or_b32 exec_lo, exec_lo, s20
	v_lshlrev_b32_e32 v3, 16, v12
	v_lshlrev_b32_e32 v4, 20, v26
	v_lshl_add_u32 v2, v2, 23, 0x3c000000
	v_and_b32_e32 v3, 0x80000000, v3
	v_or3_b32 v29, v4, v3, v2
.LBB366_632:                            ;   in Loop: Header=BB366_10 Depth=1
	s_or_b32 exec_lo, exec_lo, s19
.LBB366_633:                            ;   in Loop: Header=BB366_10 Depth=1
	s_or_b32 exec_lo, exec_lo, s18
.LBB366_634:                            ;   in Loop: Header=BB366_10 Depth=1
	s_or_b32 exec_lo, exec_lo, s6
	v_mov_b32_e32 v2, 0xff
	s_mov_b32 s6, exec_lo
	v_and_b32_sdwa v2, v25, v2 dst_sel:DWORD dst_unused:UNUSED_PAD src0_sel:WORD_1 src1_sel:DWORD
	v_cmpx_ne_u16_e32 0, v2
	s_cbranch_execz .LBB366_642
; %bb.635:                              ;   in Loop: Header=BB366_10 Depth=1
	v_bfrev_b32_e32 v31, 1
	s_mov_b32 s18, exec_lo
	v_cmpx_ne_u16_e32 0x80, v2
	s_cbranch_execz .LBB366_641
; %bb.636:                              ;   in Loop: Header=BB366_10 Depth=1
	v_bfe_u32 v3, v25, 16, 7
	v_mov_b32_e32 v31, 0x7f800001
	s_mov_b32 s19, exec_lo
	v_cmpx_ne_u32_e32 0x7f, v3
	s_cbranch_execz .LBB366_640
; %bb.637:                              ;   in Loop: Header=BB366_10 Depth=1
	v_mov_b32_e32 v2, 7
	s_mov_b32 s20, exec_lo
	v_and_b32_sdwa v12, v25, v2 dst_sel:DWORD dst_unused:UNUSED_PAD src0_sel:WORD_1 src1_sel:DWORD
	v_mov_b32_e32 v27, v13
	v_lshrrev_b32_e32 v2, 3, v3
	v_mov_b32_e32 v26, v12
	v_cmpx_gt_u32_e32 8, v3
; %bb.638:                              ;   in Loop: Header=BB366_10 Depth=1
	v_ffbh_u32_e32 v2, v12
	v_min_u32_e32 v2, 32, v2
	v_subrev_nc_u32_e32 v3, 28, v2
	v_sub_nc_u32_e32 v2, 29, v2
	v_lshlrev_b64 v[3:4], v3, v[12:13]
	v_and_b32_e32 v26, 7, v3
; %bb.639:                              ;   in Loop: Header=BB366_10 Depth=1
	s_or_b32 exec_lo, exec_lo, s20
	v_mov_b32_e32 v3, 24
	v_lshlrev_b32_e32 v4, 20, v26
	v_lshl_add_u32 v2, v2, 23, 0x3c000000
	v_lshlrev_b32_sdwa v3, v3, v25 dst_sel:DWORD dst_unused:UNUSED_PAD src0_sel:DWORD src1_sel:WORD_1
	v_and_b32_e32 v3, 0x80000000, v3
	v_or3_b32 v31, v4, v3, v2
.LBB366_640:                            ;   in Loop: Header=BB366_10 Depth=1
	s_or_b32 exec_lo, exec_lo, s19
.LBB366_641:                            ;   in Loop: Header=BB366_10 Depth=1
	s_or_b32 exec_lo, exec_lo, s18
.LBB366_642:                            ;   in Loop: Header=BB366_10 Depth=1
	s_or_b32 exec_lo, exec_lo, s6
	v_mov_b32_e32 v7, 0
	v_mov_b32_e32 v8, 0
	s_mov_b32 s6, exec_lo
	v_cmpx_lt_u64_e64 s[8:9], v[24:25]
	s_cbranch_execz .LBB366_650
; %bb.643:                              ;   in Loop: Header=BB366_10 Depth=1
	v_mov_b32_e32 v2, 0x80
	v_bfrev_b32_e32 v8, 1
	v_cmp_ne_u32_sdwa s5, v25, v2 src0_sel:BYTE_3 src1_sel:DWORD
	s_and_saveexec_b32 s18, s5
	s_cbranch_execz .LBB366_649
; %bb.644:                              ;   in Loop: Header=BB366_10 Depth=1
	v_bfe_u32 v3, v25, 24, 7
	v_mov_b32_e32 v8, 0x7f800001
	s_mov_b32 s19, exec_lo
	v_cmpx_ne_u32_e32 0x7f, v3
	s_cbranch_execz .LBB366_648
; %bb.645:                              ;   in Loop: Header=BB366_10 Depth=1
	v_mov_b32_e32 v2, 7
	s_mov_b32 s20, exec_lo
	v_and_b32_sdwa v12, v25, v2 dst_sel:DWORD dst_unused:UNUSED_PAD src0_sel:BYTE_3 src1_sel:DWORD
	v_mov_b32_e32 v27, v13
	v_lshrrev_b32_e32 v2, 3, v3
	v_mov_b32_e32 v26, v12
	v_cmpx_gt_u32_e32 8, v3
; %bb.646:                              ;   in Loop: Header=BB366_10 Depth=1
	v_ffbh_u32_e32 v2, v12
	v_min_u32_e32 v2, 32, v2
	v_subrev_nc_u32_e32 v3, 28, v2
	v_sub_nc_u32_e32 v2, 29, v2
	v_lshlrev_b64 v[3:4], v3, v[12:13]
	v_and_b32_e32 v26, 7, v3
; %bb.647:                              ;   in Loop: Header=BB366_10 Depth=1
	s_or_b32 exec_lo, exec_lo, s20
	v_mov_b32_e32 v3, 24
	v_lshlrev_b32_e32 v4, 20, v26
	v_lshl_add_u32 v2, v2, 23, 0x3c000000
	v_lshlrev_b32_sdwa v3, v3, v25 dst_sel:DWORD dst_unused:UNUSED_PAD src0_sel:DWORD src1_sel:BYTE_3
	v_and_b32_e32 v3, 0x80000000, v3
	v_or3_b32 v8, v4, v3, v2
.LBB366_648:                            ;   in Loop: Header=BB366_10 Depth=1
	s_or_b32 exec_lo, exec_lo, s19
.LBB366_649:                            ;   in Loop: Header=BB366_10 Depth=1
	s_or_b32 exec_lo, exec_lo, s18
.LBB366_650:                            ;   in Loop: Header=BB366_10 Depth=1
	s_or_b32 exec_lo, exec_lo, s6
	flat_load_dwordx2 v[24:25], v[16:17] offset:512
	s_waitcnt vmcnt(0) lgkmcnt(0)
	v_cmp_ne_u16_sdwa s5, v24, v13 src0_sel:BYTE_0 src1_sel:DWORD
	s_and_saveexec_b32 s6, s5
	s_cbranch_execz .LBB366_658
; %bb.651:                              ;   in Loop: Header=BB366_10 Depth=1
	v_mov_b32_e32 v2, 0x80
	v_bfrev_b32_e32 v7, 1
	v_cmp_ne_u16_sdwa s5, v24, v2 src0_sel:BYTE_0 src1_sel:DWORD
	s_and_saveexec_b32 s18, s5
	s_cbranch_execz .LBB366_657
; %bb.652:                              ;   in Loop: Header=BB366_10 Depth=1
	v_and_b32_e32 v3, 0x7f, v24
	v_mov_b32_e32 v7, 0x7f800001
	s_mov_b32 s19, exec_lo
	v_cmpx_ne_u32_e32 0x7f, v3
	s_cbranch_execz .LBB366_656
; %bb.653:                              ;   in Loop: Header=BB366_10 Depth=1
	v_mov_b32_e32 v27, v25
	v_lshrrev_b32_e32 v2, 3, v3
	v_mov_b32_e32 v26, v24
	s_mov_b32 s20, exec_lo
	v_cmpx_gt_u32_e32 8, v3
; %bb.654:                              ;   in Loop: Header=BB366_10 Depth=1
	v_and_b32_e32 v2, 7, v24
	v_ffbh_u32_e32 v2, v2
	v_min_u32_e32 v2, 32, v2
	v_subrev_nc_u32_e32 v3, 28, v2
	v_sub_nc_u32_e32 v2, 29, v2
	v_lshlrev_b64 v[26:27], v3, v[24:25]
; %bb.655:                              ;   in Loop: Header=BB366_10 Depth=1
	s_or_b32 exec_lo, exec_lo, s20
	v_lshlrev_b32_e32 v3, 20, v26
	v_lshlrev_b32_e32 v4, 24, v24
	v_lshl_add_u32 v2, v2, 23, 0x3c000000
	v_and_b32_e32 v3, 0x700000, v3
	v_and_b32_e32 v4, 0x80000000, v4
	v_or3_b32 v7, v3, v4, v2
.LBB366_656:                            ;   in Loop: Header=BB366_10 Depth=1
	s_or_b32 exec_lo, exec_lo, s19
.LBB366_657:                            ;   in Loop: Header=BB366_10 Depth=1
	s_or_b32 exec_lo, exec_lo, s18
.LBB366_658:                            ;   in Loop: Header=BB366_10 Depth=1
	s_or_b32 exec_lo, exec_lo, s6
	v_cmp_ne_u16_sdwa s5, v24, v13 src0_sel:BYTE_1 src1_sel:DWORD
	v_mov_b32_e32 v11, 0
	v_mov_b32_e32 v6, 0
	s_and_saveexec_b32 s6, s5
	s_cbranch_execz .LBB366_666
; %bb.659:                              ;   in Loop: Header=BB366_10 Depth=1
	v_mov_b32_e32 v2, 0x80
	v_bfrev_b32_e32 v6, 1
	v_cmp_ne_u16_sdwa s5, v24, v2 src0_sel:BYTE_1 src1_sel:DWORD
	s_and_saveexec_b32 s18, s5
	s_cbranch_execz .LBB366_665
; %bb.660:                              ;   in Loop: Header=BB366_10 Depth=1
	v_mov_b32_e32 v2, 0xffff
	v_mov_b32_e32 v6, 0x7f800001
	s_mov_b32 s19, exec_lo
	v_and_b32_sdwa v2, v2, v24 dst_sel:DWORD dst_unused:UNUSED_PAD src0_sel:DWORD src1_sel:BYTE_1
	v_and_b32_e32 v3, 0x7f, v2
	v_cmpx_ne_u32_e32 0x7f, v3
	s_cbranch_execz .LBB366_664
; %bb.661:                              ;   in Loop: Header=BB366_10 Depth=1
	v_and_b32_e32 v12, 7, v2
	v_mov_b32_e32 v27, v13
	v_lshrrev_b32_e32 v2, 3, v3
	s_mov_b32 s20, exec_lo
	v_mov_b32_e32 v26, v12
	v_cmpx_gt_u32_e32 8, v3
; %bb.662:                              ;   in Loop: Header=BB366_10 Depth=1
	v_ffbh_u32_e32 v2, v12
	v_min_u32_e32 v2, 32, v2
	v_subrev_nc_u32_e32 v3, 28, v2
	v_sub_nc_u32_e32 v2, 29, v2
	v_lshlrev_b64 v[3:4], v3, v[12:13]
	v_and_b32_e32 v26, 7, v3
; %bb.663:                              ;   in Loop: Header=BB366_10 Depth=1
	s_or_b32 exec_lo, exec_lo, s20
	v_lshlrev_b32_e32 v3, 16, v24
	v_lshlrev_b32_e32 v4, 20, v26
	v_lshl_add_u32 v2, v2, 23, 0x3c000000
	v_and_b32_e32 v3, 0x80000000, v3
	v_or3_b32 v6, v4, v3, v2
.LBB366_664:                            ;   in Loop: Header=BB366_10 Depth=1
	s_or_b32 exec_lo, exec_lo, s19
.LBB366_665:                            ;   in Loop: Header=BB366_10 Depth=1
	s_or_b32 exec_lo, exec_lo, s18
.LBB366_666:                            ;   in Loop: Header=BB366_10 Depth=1
	s_or_b32 exec_lo, exec_lo, s6
	v_mov_b32_e32 v2, 0xff
	s_mov_b32 s6, exec_lo
	v_and_b32_sdwa v2, v24, v2 dst_sel:DWORD dst_unused:UNUSED_PAD src0_sel:WORD_1 src1_sel:DWORD
	v_cmpx_ne_u16_e32 0, v2
	s_cbranch_execz .LBB366_674
; %bb.667:                              ;   in Loop: Header=BB366_10 Depth=1
	v_bfrev_b32_e32 v11, 1
	s_mov_b32 s18, exec_lo
	v_cmpx_ne_u16_e32 0x80, v2
	s_cbranch_execz .LBB366_673
; %bb.668:                              ;   in Loop: Header=BB366_10 Depth=1
	v_bfe_u32 v3, v24, 16, 7
	v_mov_b32_e32 v11, 0x7f800001
	s_mov_b32 s19, exec_lo
	v_cmpx_ne_u32_e32 0x7f, v3
	s_cbranch_execz .LBB366_672
; %bb.669:                              ;   in Loop: Header=BB366_10 Depth=1
	v_mov_b32_e32 v2, 7
	s_mov_b32 s20, exec_lo
	v_and_b32_sdwa v12, v24, v2 dst_sel:DWORD dst_unused:UNUSED_PAD src0_sel:WORD_1 src1_sel:DWORD
	v_mov_b32_e32 v27, v13
	v_lshrrev_b32_e32 v2, 3, v3
	v_mov_b32_e32 v26, v12
	v_cmpx_gt_u32_e32 8, v3
; %bb.670:                              ;   in Loop: Header=BB366_10 Depth=1
	v_ffbh_u32_e32 v2, v12
	v_min_u32_e32 v2, 32, v2
	v_subrev_nc_u32_e32 v3, 28, v2
	v_sub_nc_u32_e32 v2, 29, v2
	v_lshlrev_b64 v[3:4], v3, v[12:13]
	v_and_b32_e32 v26, 7, v3
; %bb.671:                              ;   in Loop: Header=BB366_10 Depth=1
	s_or_b32 exec_lo, exec_lo, s20
	v_mov_b32_e32 v3, 24
	v_lshlrev_b32_e32 v4, 20, v26
	v_lshl_add_u32 v2, v2, 23, 0x3c000000
	v_lshlrev_b32_sdwa v3, v3, v24 dst_sel:DWORD dst_unused:UNUSED_PAD src0_sel:DWORD src1_sel:WORD_1
	v_and_b32_e32 v3, 0x80000000, v3
	v_or3_b32 v11, v4, v3, v2
.LBB366_672:                            ;   in Loop: Header=BB366_10 Depth=1
	s_or_b32 exec_lo, exec_lo, s19
.LBB366_673:                            ;   in Loop: Header=BB366_10 Depth=1
	s_or_b32 exec_lo, exec_lo, s18
.LBB366_674:                            ;   in Loop: Header=BB366_10 Depth=1
	s_or_b32 exec_lo, exec_lo, s6
	v_mov_b32_e32 v64, 0
	v_mov_b32_e32 v10, 0
	s_mov_b32 s6, exec_lo
	v_cmpx_lt_u32_e32 0xffffff, v24
	s_cbranch_execz .LBB366_682
; %bb.675:                              ;   in Loop: Header=BB366_10 Depth=1
	v_mov_b32_e32 v2, 0x80
	v_bfrev_b32_e32 v10, 1
	v_cmp_ne_u32_sdwa s5, v24, v2 src0_sel:BYTE_3 src1_sel:DWORD
	s_and_saveexec_b32 s18, s5
	s_cbranch_execz .LBB366_681
; %bb.676:                              ;   in Loop: Header=BB366_10 Depth=1
	v_bfe_u32 v3, v24, 24, 7
	v_mov_b32_e32 v10, 0x7f800001
	s_mov_b32 s19, exec_lo
	v_cmpx_ne_u32_e32 0x7f, v3
	s_cbranch_execz .LBB366_680
; %bb.677:                              ;   in Loop: Header=BB366_10 Depth=1
	v_mov_b32_e32 v2, 7
	s_mov_b32 s20, exec_lo
	v_and_b32_sdwa v12, v24, v2 dst_sel:DWORD dst_unused:UNUSED_PAD src0_sel:BYTE_3 src1_sel:DWORD
	v_mov_b32_e32 v27, v13
	v_lshrrev_b32_e32 v2, 3, v3
	v_mov_b32_e32 v26, v12
	v_cmpx_gt_u32_e32 8, v3
; %bb.678:                              ;   in Loop: Header=BB366_10 Depth=1
	v_ffbh_u32_e32 v2, v12
	v_min_u32_e32 v2, 32, v2
	v_subrev_nc_u32_e32 v3, 28, v2
	v_sub_nc_u32_e32 v2, 29, v2
	v_lshlrev_b64 v[3:4], v3, v[12:13]
	v_and_b32_e32 v26, 7, v3
; %bb.679:                              ;   in Loop: Header=BB366_10 Depth=1
	s_or_b32 exec_lo, exec_lo, s20
	v_mov_b32_e32 v3, 24
	v_lshlrev_b32_e32 v4, 20, v26
	v_lshl_add_u32 v2, v2, 23, 0x3c000000
	v_lshlrev_b32_sdwa v3, v3, v24 dst_sel:DWORD dst_unused:UNUSED_PAD src0_sel:DWORD src1_sel:BYTE_3
	v_and_b32_e32 v3, 0x80000000, v3
	v_or3_b32 v10, v4, v3, v2
.LBB366_680:                            ;   in Loop: Header=BB366_10 Depth=1
	s_or_b32 exec_lo, exec_lo, s19
.LBB366_681:                            ;   in Loop: Header=BB366_10 Depth=1
	s_or_b32 exec_lo, exec_lo, s18
.LBB366_682:                            ;   in Loop: Header=BB366_10 Depth=1
	s_or_b32 exec_lo, exec_lo, s6
	v_mov_b32_e32 v12, v25
	v_cmp_ne_u16_sdwa s5, v25, v13 src0_sel:BYTE_0 src1_sel:DWORD
	s_and_saveexec_b32 s6, s5
	s_cbranch_execz .LBB366_690
; %bb.683:                              ;   in Loop: Header=BB366_10 Depth=1
	v_mov_b32_e32 v2, 0x80
	v_bfrev_b32_e32 v64, 1
	v_cmp_ne_u16_sdwa s5, v25, v2 src0_sel:BYTE_0 src1_sel:DWORD
	s_and_saveexec_b32 s18, s5
	s_cbranch_execz .LBB366_689
; %bb.684:                              ;   in Loop: Header=BB366_10 Depth=1
	v_and_b32_e32 v3, 0x7f, v25
	v_mov_b32_e32 v64, 0x7f800001
	s_mov_b32 s19, exec_lo
	v_cmpx_ne_u32_e32 0x7f, v3
	s_cbranch_execz .LBB366_688
; %bb.685:                              ;   in Loop: Header=BB366_10 Depth=1
	v_mov_b32_e32 v27, v13
	v_lshrrev_b32_e32 v2, 3, v3
	v_mov_b32_e32 v26, v12
	s_mov_b32 s20, exec_lo
	v_cmpx_gt_u32_e32 8, v3
; %bb.686:                              ;   in Loop: Header=BB366_10 Depth=1
	v_and_b32_e32 v2, 7, v25
	v_ffbh_u32_e32 v2, v2
	v_min_u32_e32 v2, 32, v2
	v_subrev_nc_u32_e32 v3, 28, v2
	v_sub_nc_u32_e32 v2, 29, v2
	v_lshlrev_b64 v[26:27], v3, v[12:13]
; %bb.687:                              ;   in Loop: Header=BB366_10 Depth=1
	s_or_b32 exec_lo, exec_lo, s20
	v_lshlrev_b32_e32 v3, 20, v26
	v_lshlrev_b32_e32 v4, 24, v12
	v_lshl_add_u32 v2, v2, 23, 0x3c000000
	v_and_b32_e32 v3, 0x700000, v3
	v_and_b32_e32 v4, 0x80000000, v4
	v_or3_b32 v64, v3, v4, v2
.LBB366_688:                            ;   in Loop: Header=BB366_10 Depth=1
	s_or_b32 exec_lo, exec_lo, s19
.LBB366_689:                            ;   in Loop: Header=BB366_10 Depth=1
	s_or_b32 exec_lo, exec_lo, s18
.LBB366_690:                            ;   in Loop: Header=BB366_10 Depth=1
	s_or_b32 exec_lo, exec_lo, s6
	v_cmp_ne_u16_sdwa s5, v12, v13 src0_sel:BYTE_1 src1_sel:DWORD
	v_mov_b32_e32 v2, 0
	v_mov_b32_e32 v3, 0
	s_and_saveexec_b32 s6, s5
	s_cbranch_execz .LBB366_698
; %bb.691:                              ;   in Loop: Header=BB366_10 Depth=1
	v_mov_b32_e32 v3, 0x80
	v_cmp_ne_u16_sdwa s5, v12, v3 src0_sel:BYTE_1 src1_sel:DWORD
	v_bfrev_b32_e32 v3, 1
	s_and_saveexec_b32 s18, s5
	s_cbranch_execz .LBB366_697
; %bb.692:                              ;   in Loop: Header=BB366_10 Depth=1
	v_mov_b32_e32 v3, 0xffff
	s_mov_b32 s19, exec_lo
	v_and_b32_sdwa v5, v3, v12 dst_sel:DWORD dst_unused:UNUSED_PAD src0_sel:DWORD src1_sel:BYTE_1
	v_mov_b32_e32 v3, 0x7f800001
	v_and_b32_e32 v4, 0x7f, v5
	v_cmpx_ne_u32_e32 0x7f, v4
	s_cbranch_execz .LBB366_696
; %bb.693:                              ;   in Loop: Header=BB366_10 Depth=1
	v_and_b32_e32 v26, 7, v5
	v_mov_b32_e32 v27, v13
	v_lshrrev_b32_e32 v3, 3, v4
	s_mov_b32 s20, exec_lo
	v_cmpx_gt_u32_e32 8, v4
; %bb.694:                              ;   in Loop: Header=BB366_10 Depth=1
	v_ffbh_u32_e32 v3, v26
	v_min_u32_e32 v3, 32, v3
	v_subrev_nc_u32_e32 v4, 28, v3
	v_sub_nc_u32_e32 v3, 29, v3
	v_lshlrev_b64 v[4:5], v4, v[26:27]
	v_and_b32_e32 v26, 7, v4
; %bb.695:                              ;   in Loop: Header=BB366_10 Depth=1
	s_or_b32 exec_lo, exec_lo, s20
	v_lshlrev_b32_e32 v4, 16, v12
	v_lshlrev_b32_e32 v5, 20, v26
	v_lshl_add_u32 v3, v3, 23, 0x3c000000
	v_and_b32_e32 v4, 0x80000000, v4
	v_or3_b32 v3, v5, v4, v3
.LBB366_696:                            ;   in Loop: Header=BB366_10 Depth=1
	s_or_b32 exec_lo, exec_lo, s19
.LBB366_697:                            ;   in Loop: Header=BB366_10 Depth=1
	s_or_b32 exec_lo, exec_lo, s18
.LBB366_698:                            ;   in Loop: Header=BB366_10 Depth=1
	s_or_b32 exec_lo, exec_lo, s6
	v_mov_b32_e32 v4, 0xff
	s_mov_b32 s6, exec_lo
	v_and_b32_sdwa v4, v25, v4 dst_sel:DWORD dst_unused:UNUSED_PAD src0_sel:WORD_1 src1_sel:DWORD
	v_cmpx_ne_u16_e32 0, v4
	s_cbranch_execz .LBB366_706
; %bb.699:                              ;   in Loop: Header=BB366_10 Depth=1
	v_bfrev_b32_e32 v2, 1
	s_mov_b32 s18, exec_lo
	v_cmpx_ne_u16_e32 0x80, v4
	s_cbranch_execz .LBB366_705
; %bb.700:                              ;   in Loop: Header=BB366_10 Depth=1
	v_bfe_u32 v4, v25, 16, 7
	v_mov_b32_e32 v2, 0x7f800001
	s_mov_b32 s19, exec_lo
	v_cmpx_ne_u32_e32 0x7f, v4
	s_cbranch_execz .LBB366_704
; %bb.701:                              ;   in Loop: Header=BB366_10 Depth=1
	v_mov_b32_e32 v2, 7
	s_mov_b32 s20, exec_lo
	v_and_b32_sdwa v12, v25, v2 dst_sel:DWORD dst_unused:UNUSED_PAD src0_sel:WORD_1 src1_sel:DWORD
	v_mov_b32_e32 v27, v13
	v_lshrrev_b32_e32 v2, 3, v4
	v_mov_b32_e32 v26, v12
	v_cmpx_gt_u32_e32 8, v4
; %bb.702:                              ;   in Loop: Header=BB366_10 Depth=1
	v_ffbh_u32_e32 v2, v12
	v_min_u32_e32 v2, 32, v2
	v_subrev_nc_u32_e32 v4, 28, v2
	v_sub_nc_u32_e32 v2, 29, v2
	v_lshlrev_b64 v[4:5], v4, v[12:13]
	v_and_b32_e32 v26, 7, v4
; %bb.703:                              ;   in Loop: Header=BB366_10 Depth=1
	s_or_b32 exec_lo, exec_lo, s20
	v_mov_b32_e32 v4, 24
	v_lshlrev_b32_e32 v5, 20, v26
	v_lshl_add_u32 v2, v2, 23, 0x3c000000
	v_lshlrev_b32_sdwa v4, v4, v25 dst_sel:DWORD dst_unused:UNUSED_PAD src0_sel:DWORD src1_sel:WORD_1
	v_and_b32_e32 v4, 0x80000000, v4
	v_or3_b32 v2, v5, v4, v2
.LBB366_704:                            ;   in Loop: Header=BB366_10 Depth=1
	s_or_b32 exec_lo, exec_lo, s19
.LBB366_705:                            ;   in Loop: Header=BB366_10 Depth=1
	s_or_b32 exec_lo, exec_lo, s18
.LBB366_706:                            ;   in Loop: Header=BB366_10 Depth=1
	s_or_b32 exec_lo, exec_lo, s6
	v_mov_b32_e32 v28, 0
	v_mov_b32_e32 v19, 0
	s_mov_b32 s6, exec_lo
	v_cmpx_lt_u64_e64 s[8:9], v[24:25]
	s_cbranch_execz .LBB366_714
; %bb.707:                              ;   in Loop: Header=BB366_10 Depth=1
	v_mov_b32_e32 v4, 0x80
	v_bfrev_b32_e32 v19, 1
	v_cmp_ne_u32_sdwa s5, v25, v4 src0_sel:BYTE_3 src1_sel:DWORD
	s_and_saveexec_b32 s18, s5
	s_cbranch_execz .LBB366_713
; %bb.708:                              ;   in Loop: Header=BB366_10 Depth=1
	v_bfe_u32 v5, v25, 24, 7
	v_mov_b32_e32 v19, 0x7f800001
	s_mov_b32 s19, exec_lo
	v_cmpx_ne_u32_e32 0x7f, v5
	s_cbranch_execz .LBB366_712
; %bb.709:                              ;   in Loop: Header=BB366_10 Depth=1
	v_mov_b32_e32 v4, 7
	s_mov_b32 s20, exec_lo
	v_and_b32_sdwa v12, v25, v4 dst_sel:DWORD dst_unused:UNUSED_PAD src0_sel:BYTE_3 src1_sel:DWORD
	v_mov_b32_e32 v27, v13
	v_lshrrev_b32_e32 v4, 3, v5
	v_mov_b32_e32 v26, v12
	v_cmpx_gt_u32_e32 8, v5
; %bb.710:                              ;   in Loop: Header=BB366_10 Depth=1
	v_ffbh_u32_e32 v4, v12
	v_min_u32_e32 v4, 32, v4
	v_subrev_nc_u32_e32 v5, 28, v4
	v_sub_nc_u32_e32 v4, 29, v4
	v_lshlrev_b64 v[18:19], v5, v[12:13]
	v_and_b32_e32 v26, 7, v18
; %bb.711:                              ;   in Loop: Header=BB366_10 Depth=1
	s_or_b32 exec_lo, exec_lo, s20
	v_mov_b32_e32 v5, 24
	v_lshlrev_b32_e32 v12, 20, v26
	v_lshl_add_u32 v4, v4, 23, 0x3c000000
	v_lshlrev_b32_sdwa v5, v5, v25 dst_sel:DWORD dst_unused:UNUSED_PAD src0_sel:DWORD src1_sel:BYTE_3
	v_and_b32_e32 v5, 0x80000000, v5
	v_or3_b32 v19, v12, v5, v4
.LBB366_712:                            ;   in Loop: Header=BB366_10 Depth=1
	s_or_b32 exec_lo, exec_lo, s19
.LBB366_713:                            ;   in Loop: Header=BB366_10 Depth=1
	s_or_b32 exec_lo, exec_lo, s18
.LBB366_714:                            ;   in Loop: Header=BB366_10 Depth=1
	s_or_b32 exec_lo, exec_lo, s6
	flat_load_dwordx2 v[24:25], v[16:17] offset:520
	s_waitcnt vmcnt(0) lgkmcnt(0)
	v_cmp_ne_u16_sdwa s5, v24, v13 src0_sel:BYTE_0 src1_sel:DWORD
	s_and_saveexec_b32 s6, s5
	s_cbranch_execz .LBB366_722
; %bb.715:                              ;   in Loop: Header=BB366_10 Depth=1
	v_mov_b32_e32 v4, 0x80
	v_bfrev_b32_e32 v28, 1
	v_cmp_ne_u16_sdwa s5, v24, v4 src0_sel:BYTE_0 src1_sel:DWORD
	s_and_saveexec_b32 s18, s5
	s_cbranch_execz .LBB366_721
; %bb.716:                              ;   in Loop: Header=BB366_10 Depth=1
	v_and_b32_e32 v5, 0x7f, v24
	v_mov_b32_e32 v28, 0x7f800001
	s_mov_b32 s19, exec_lo
	v_cmpx_ne_u32_e32 0x7f, v5
	s_cbranch_execz .LBB366_720
; %bb.717:                              ;   in Loop: Header=BB366_10 Depth=1
	v_mov_b32_e32 v27, v25
	v_lshrrev_b32_e32 v4, 3, v5
	v_mov_b32_e32 v26, v24
	s_mov_b32 s20, exec_lo
	v_cmpx_gt_u32_e32 8, v5
; %bb.718:                              ;   in Loop: Header=BB366_10 Depth=1
	v_and_b32_e32 v4, 7, v24
	v_ffbh_u32_e32 v4, v4
	v_min_u32_e32 v4, 32, v4
	v_subrev_nc_u32_e32 v5, 28, v4
	v_sub_nc_u32_e32 v4, 29, v4
	v_lshlrev_b64 v[26:27], v5, v[24:25]
; %bb.719:                              ;   in Loop: Header=BB366_10 Depth=1
	s_or_b32 exec_lo, exec_lo, s20
	v_lshlrev_b32_e32 v5, 20, v26
	v_lshlrev_b32_e32 v12, 24, v24
	v_lshl_add_u32 v4, v4, 23, 0x3c000000
	v_and_b32_e32 v5, 0x700000, v5
	v_and_b32_e32 v12, 0x80000000, v12
	v_or3_b32 v28, v5, v12, v4
.LBB366_720:                            ;   in Loop: Header=BB366_10 Depth=1
	s_or_b32 exec_lo, exec_lo, s19
.LBB366_721:                            ;   in Loop: Header=BB366_10 Depth=1
	s_or_b32 exec_lo, exec_lo, s18
.LBB366_722:                            ;   in Loop: Header=BB366_10 Depth=1
	s_or_b32 exec_lo, exec_lo, s6
	v_cmp_ne_u16_sdwa s5, v24, v13 src0_sel:BYTE_1 src1_sel:DWORD
	v_mov_b32_e32 v18, 0
	v_mov_b32_e32 v35, 0
	s_and_saveexec_b32 s6, s5
	s_cbranch_execz .LBB366_730
; %bb.723:                              ;   in Loop: Header=BB366_10 Depth=1
	v_mov_b32_e32 v4, 0x80
	v_bfrev_b32_e32 v35, 1
	v_cmp_ne_u16_sdwa s5, v24, v4 src0_sel:BYTE_1 src1_sel:DWORD
	s_and_saveexec_b32 s18, s5
	s_cbranch_execz .LBB366_729
; %bb.724:                              ;   in Loop: Header=BB366_10 Depth=1
	v_mov_b32_e32 v4, 0xffff
	v_mov_b32_e32 v35, 0x7f800001
	s_mov_b32 s19, exec_lo
	v_and_b32_sdwa v4, v4, v24 dst_sel:DWORD dst_unused:UNUSED_PAD src0_sel:DWORD src1_sel:BYTE_1
	v_and_b32_e32 v5, 0x7f, v4
	v_cmpx_ne_u32_e32 0x7f, v5
	s_cbranch_execz .LBB366_728
; %bb.725:                              ;   in Loop: Header=BB366_10 Depth=1
	v_and_b32_e32 v12, 7, v4
	v_mov_b32_e32 v27, v13
	v_lshrrev_b32_e32 v4, 3, v5
	s_mov_b32 s20, exec_lo
	v_mov_b32_e32 v26, v12
	v_cmpx_gt_u32_e32 8, v5
; %bb.726:                              ;   in Loop: Header=BB366_10 Depth=1
	v_ffbh_u32_e32 v4, v12
	v_min_u32_e32 v4, 32, v4
	v_subrev_nc_u32_e32 v5, 28, v4
	v_sub_nc_u32_e32 v4, 29, v4
	v_lshlrev_b64 v[20:21], v5, v[12:13]
	v_and_b32_e32 v26, 7, v20
; %bb.727:                              ;   in Loop: Header=BB366_10 Depth=1
	s_or_b32 exec_lo, exec_lo, s20
	v_lshlrev_b32_e32 v5, 16, v24
	v_lshlrev_b32_e32 v12, 20, v26
	v_lshl_add_u32 v4, v4, 23, 0x3c000000
	v_and_b32_e32 v5, 0x80000000, v5
	v_or3_b32 v35, v12, v5, v4
.LBB366_728:                            ;   in Loop: Header=BB366_10 Depth=1
	s_or_b32 exec_lo, exec_lo, s19
.LBB366_729:                            ;   in Loop: Header=BB366_10 Depth=1
	s_or_b32 exec_lo, exec_lo, s18
.LBB366_730:                            ;   in Loop: Header=BB366_10 Depth=1
	s_or_b32 exec_lo, exec_lo, s6
	v_mov_b32_e32 v4, 0xff
	s_mov_b32 s6, exec_lo
	v_and_b32_sdwa v4, v24, v4 dst_sel:DWORD dst_unused:UNUSED_PAD src0_sel:WORD_1 src1_sel:DWORD
	v_cmpx_ne_u16_e32 0, v4
	s_cbranch_execz .LBB366_738
; %bb.731:                              ;   in Loop: Header=BB366_10 Depth=1
	v_bfrev_b32_e32 v18, 1
	s_mov_b32 s18, exec_lo
	v_cmpx_ne_u16_e32 0x80, v4
	s_cbranch_execz .LBB366_737
; %bb.732:                              ;   in Loop: Header=BB366_10 Depth=1
	v_bfe_u32 v5, v24, 16, 7
	v_mov_b32_e32 v18, 0x7f800001
	s_mov_b32 s19, exec_lo
	v_cmpx_ne_u32_e32 0x7f, v5
	s_cbranch_execz .LBB366_736
; %bb.733:                              ;   in Loop: Header=BB366_10 Depth=1
	v_mov_b32_e32 v4, 7
	s_mov_b32 s20, exec_lo
	v_and_b32_sdwa v12, v24, v4 dst_sel:DWORD dst_unused:UNUSED_PAD src0_sel:WORD_1 src1_sel:DWORD
	v_mov_b32_e32 v27, v13
	v_lshrrev_b32_e32 v4, 3, v5
	v_mov_b32_e32 v26, v12
	v_cmpx_gt_u32_e32 8, v5
; %bb.734:                              ;   in Loop: Header=BB366_10 Depth=1
	v_ffbh_u32_e32 v4, v12
	v_min_u32_e32 v4, 32, v4
	v_subrev_nc_u32_e32 v5, 28, v4
	v_sub_nc_u32_e32 v4, 29, v4
	v_lshlrev_b64 v[20:21], v5, v[12:13]
	v_and_b32_e32 v26, 7, v20
; %bb.735:                              ;   in Loop: Header=BB366_10 Depth=1
	s_or_b32 exec_lo, exec_lo, s20
	v_mov_b32_e32 v5, 24
	v_lshlrev_b32_e32 v12, 20, v26
	v_lshl_add_u32 v4, v4, 23, 0x3c000000
	v_lshlrev_b32_sdwa v5, v5, v24 dst_sel:DWORD dst_unused:UNUSED_PAD src0_sel:DWORD src1_sel:WORD_1
	v_and_b32_e32 v5, 0x80000000, v5
	v_or3_b32 v18, v12, v5, v4
.LBB366_736:                            ;   in Loop: Header=BB366_10 Depth=1
	s_or_b32 exec_lo, exec_lo, s19
.LBB366_737:                            ;   in Loop: Header=BB366_10 Depth=1
	s_or_b32 exec_lo, exec_lo, s18
.LBB366_738:                            ;   in Loop: Header=BB366_10 Depth=1
	s_or_b32 exec_lo, exec_lo, s6
	v_mov_b32_e32 v22, 0
	v_mov_b32_e32 v23, 0
	s_mov_b32 s6, exec_lo
	v_cmpx_lt_u32_e32 0xffffff, v24
	s_cbranch_execz .LBB366_746
; %bb.739:                              ;   in Loop: Header=BB366_10 Depth=1
	v_mov_b32_e32 v4, 0x80
	v_bfrev_b32_e32 v23, 1
	v_cmp_ne_u32_sdwa s5, v24, v4 src0_sel:BYTE_3 src1_sel:DWORD
	s_and_saveexec_b32 s18, s5
	s_cbranch_execz .LBB366_745
; %bb.740:                              ;   in Loop: Header=BB366_10 Depth=1
	v_bfe_u32 v5, v24, 24, 7
	v_mov_b32_e32 v23, 0x7f800001
	s_mov_b32 s19, exec_lo
	v_cmpx_ne_u32_e32 0x7f, v5
	s_cbranch_execz .LBB366_744
; %bb.741:                              ;   in Loop: Header=BB366_10 Depth=1
	v_mov_b32_e32 v4, 7
	s_mov_b32 s20, exec_lo
	v_and_b32_sdwa v12, v24, v4 dst_sel:DWORD dst_unused:UNUSED_PAD src0_sel:BYTE_3 src1_sel:DWORD
	v_mov_b32_e32 v27, v13
	v_lshrrev_b32_e32 v4, 3, v5
	v_mov_b32_e32 v26, v12
	v_cmpx_gt_u32_e32 8, v5
; %bb.742:                              ;   in Loop: Header=BB366_10 Depth=1
	v_ffbh_u32_e32 v4, v12
	v_min_u32_e32 v4, 32, v4
	v_subrev_nc_u32_e32 v5, 28, v4
	v_sub_nc_u32_e32 v4, 29, v4
	v_lshlrev_b64 v[20:21], v5, v[12:13]
	v_and_b32_e32 v26, 7, v20
; %bb.743:                              ;   in Loop: Header=BB366_10 Depth=1
	s_or_b32 exec_lo, exec_lo, s20
	v_mov_b32_e32 v5, 24
	v_lshlrev_b32_e32 v12, 20, v26
	v_lshl_add_u32 v4, v4, 23, 0x3c000000
	v_lshlrev_b32_sdwa v5, v5, v24 dst_sel:DWORD dst_unused:UNUSED_PAD src0_sel:DWORD src1_sel:BYTE_3
	v_and_b32_e32 v5, 0x80000000, v5
	v_or3_b32 v23, v12, v5, v4
.LBB366_744:                            ;   in Loop: Header=BB366_10 Depth=1
	s_or_b32 exec_lo, exec_lo, s19
.LBB366_745:                            ;   in Loop: Header=BB366_10 Depth=1
	s_or_b32 exec_lo, exec_lo, s18
.LBB366_746:                            ;   in Loop: Header=BB366_10 Depth=1
	s_or_b32 exec_lo, exec_lo, s6
	v_mov_b32_e32 v12, v25
	v_cmp_ne_u16_sdwa s5, v25, v13 src0_sel:BYTE_0 src1_sel:DWORD
	s_and_saveexec_b32 s6, s5
	s_cbranch_execz .LBB366_754
; %bb.747:                              ;   in Loop: Header=BB366_10 Depth=1
	v_mov_b32_e32 v4, 0x80
	v_bfrev_b32_e32 v22, 1
	v_cmp_ne_u16_sdwa s5, v25, v4 src0_sel:BYTE_0 src1_sel:DWORD
	s_and_saveexec_b32 s18, s5
	s_cbranch_execz .LBB366_753
; %bb.748:                              ;   in Loop: Header=BB366_10 Depth=1
	v_and_b32_e32 v5, 0x7f, v25
	v_mov_b32_e32 v22, 0x7f800001
	s_mov_b32 s19, exec_lo
	v_cmpx_ne_u32_e32 0x7f, v5
	s_cbranch_execz .LBB366_752
; %bb.749:                              ;   in Loop: Header=BB366_10 Depth=1
	v_mov_b32_e32 v27, v13
	v_lshrrev_b32_e32 v4, 3, v5
	v_mov_b32_e32 v26, v12
	s_mov_b32 s20, exec_lo
	v_cmpx_gt_u32_e32 8, v5
; %bb.750:                              ;   in Loop: Header=BB366_10 Depth=1
	v_and_b32_e32 v4, 7, v25
	v_ffbh_u32_e32 v4, v4
	v_min_u32_e32 v4, 32, v4
	v_subrev_nc_u32_e32 v5, 28, v4
	v_sub_nc_u32_e32 v4, 29, v4
	v_lshlrev_b64 v[26:27], v5, v[12:13]
; %bb.751:                              ;   in Loop: Header=BB366_10 Depth=1
	s_or_b32 exec_lo, exec_lo, s20
	v_lshlrev_b32_e32 v5, 20, v26
	v_lshlrev_b32_e32 v20, 24, v12
	v_lshl_add_u32 v4, v4, 23, 0x3c000000
	v_and_b32_e32 v5, 0x700000, v5
	v_and_b32_e32 v20, 0x80000000, v20
	v_or3_b32 v22, v5, v20, v4
.LBB366_752:                            ;   in Loop: Header=BB366_10 Depth=1
	s_or_b32 exec_lo, exec_lo, s19
.LBB366_753:                            ;   in Loop: Header=BB366_10 Depth=1
	s_or_b32 exec_lo, exec_lo, s18
.LBB366_754:                            ;   in Loop: Header=BB366_10 Depth=1
	s_or_b32 exec_lo, exec_lo, s6
	v_cmp_ne_u16_sdwa s5, v12, v13 src0_sel:BYTE_1 src1_sel:DWORD
	v_mov_b32_e32 v36, 0
	v_mov_b32_e32 v37, 0
	s_and_saveexec_b32 s6, s5
	s_cbranch_execz .LBB366_762
; %bb.755:                              ;   in Loop: Header=BB366_10 Depth=1
	v_mov_b32_e32 v4, 0x80
	v_bfrev_b32_e32 v37, 1
	v_cmp_ne_u16_sdwa s5, v12, v4 src0_sel:BYTE_1 src1_sel:DWORD
	s_and_saveexec_b32 s18, s5
	s_cbranch_execz .LBB366_761
; %bb.756:                              ;   in Loop: Header=BB366_10 Depth=1
	v_mov_b32_e32 v4, 0xffff
	v_mov_b32_e32 v37, 0x7f800001
	s_mov_b32 s19, exec_lo
	v_and_b32_sdwa v4, v4, v12 dst_sel:DWORD dst_unused:UNUSED_PAD src0_sel:DWORD src1_sel:BYTE_1
	v_and_b32_e32 v5, 0x7f, v4
	v_cmpx_ne_u32_e32 0x7f, v5
	s_cbranch_execz .LBB366_760
; %bb.757:                              ;   in Loop: Header=BB366_10 Depth=1
	v_and_b32_e32 v26, 7, v4
	v_mov_b32_e32 v27, v13
	v_lshrrev_b32_e32 v4, 3, v5
	s_mov_b32 s20, exec_lo
	v_cmpx_gt_u32_e32 8, v5
; %bb.758:                              ;   in Loop: Header=BB366_10 Depth=1
	v_ffbh_u32_e32 v4, v26
	v_min_u32_e32 v4, 32, v4
	v_subrev_nc_u32_e32 v5, 28, v4
	v_sub_nc_u32_e32 v4, 29, v4
	v_lshlrev_b64 v[20:21], v5, v[26:27]
	v_and_b32_e32 v26, 7, v20
; %bb.759:                              ;   in Loop: Header=BB366_10 Depth=1
	s_or_b32 exec_lo, exec_lo, s20
	v_lshlrev_b32_e32 v5, 16, v12
	v_lshlrev_b32_e32 v12, 20, v26
	v_lshl_add_u32 v4, v4, 23, 0x3c000000
	v_and_b32_e32 v5, 0x80000000, v5
	v_or3_b32 v37, v12, v5, v4
.LBB366_760:                            ;   in Loop: Header=BB366_10 Depth=1
	s_or_b32 exec_lo, exec_lo, s19
.LBB366_761:                            ;   in Loop: Header=BB366_10 Depth=1
	s_or_b32 exec_lo, exec_lo, s18
.LBB366_762:                            ;   in Loop: Header=BB366_10 Depth=1
	s_or_b32 exec_lo, exec_lo, s6
	v_mov_b32_e32 v4, 0xff
	s_mov_b32 s6, exec_lo
	v_and_b32_sdwa v4, v25, v4 dst_sel:DWORD dst_unused:UNUSED_PAD src0_sel:WORD_1 src1_sel:DWORD
	v_cmpx_ne_u16_e32 0, v4
	s_cbranch_execz .LBB366_770
; %bb.763:                              ;   in Loop: Header=BB366_10 Depth=1
	v_bfrev_b32_e32 v36, 1
	s_mov_b32 s18, exec_lo
	v_cmpx_ne_u16_e32 0x80, v4
	s_cbranch_execz .LBB366_769
; %bb.764:                              ;   in Loop: Header=BB366_10 Depth=1
	v_bfe_u32 v5, v25, 16, 7
	v_mov_b32_e32 v36, 0x7f800001
	s_mov_b32 s19, exec_lo
	v_cmpx_ne_u32_e32 0x7f, v5
	s_cbranch_execz .LBB366_768
; %bb.765:                              ;   in Loop: Header=BB366_10 Depth=1
	v_mov_b32_e32 v4, 7
	s_mov_b32 s20, exec_lo
	v_and_b32_sdwa v12, v25, v4 dst_sel:DWORD dst_unused:UNUSED_PAD src0_sel:WORD_1 src1_sel:DWORD
	v_mov_b32_e32 v27, v13
	v_lshrrev_b32_e32 v4, 3, v5
	v_mov_b32_e32 v26, v12
	v_cmpx_gt_u32_e32 8, v5
; %bb.766:                              ;   in Loop: Header=BB366_10 Depth=1
	v_ffbh_u32_e32 v4, v12
	v_min_u32_e32 v4, 32, v4
	v_subrev_nc_u32_e32 v5, 28, v4
	v_sub_nc_u32_e32 v4, 29, v4
	v_lshlrev_b64 v[20:21], v5, v[12:13]
	v_and_b32_e32 v26, 7, v20
; %bb.767:                              ;   in Loop: Header=BB366_10 Depth=1
	s_or_b32 exec_lo, exec_lo, s20
	v_mov_b32_e32 v5, 24
	v_lshlrev_b32_e32 v12, 20, v26
	v_lshl_add_u32 v4, v4, 23, 0x3c000000
	v_lshlrev_b32_sdwa v5, v5, v25 dst_sel:DWORD dst_unused:UNUSED_PAD src0_sel:DWORD src1_sel:WORD_1
	v_and_b32_e32 v5, 0x80000000, v5
	v_or3_b32 v36, v12, v5, v4
.LBB366_768:                            ;   in Loop: Header=BB366_10 Depth=1
	s_or_b32 exec_lo, exec_lo, s19
.LBB366_769:                            ;   in Loop: Header=BB366_10 Depth=1
	s_or_b32 exec_lo, exec_lo, s18
.LBB366_770:                            ;   in Loop: Header=BB366_10 Depth=1
	s_or_b32 exec_lo, exec_lo, s6
	v_mov_b32_e32 v39, 0
	v_mov_b32_e32 v38, 0
	s_mov_b32 s6, exec_lo
	v_cmpx_lt_u64_e64 s[8:9], v[24:25]
	s_cbranch_execz .LBB366_778
; %bb.771:                              ;   in Loop: Header=BB366_10 Depth=1
	v_mov_b32_e32 v4, 0x80
	v_bfrev_b32_e32 v38, 1
	v_cmp_ne_u32_sdwa s5, v25, v4 src0_sel:BYTE_3 src1_sel:DWORD
	s_and_saveexec_b32 s18, s5
	s_cbranch_execz .LBB366_777
; %bb.772:                              ;   in Loop: Header=BB366_10 Depth=1
	v_bfe_u32 v5, v25, 24, 7
	v_mov_b32_e32 v38, 0x7f800001
	s_mov_b32 s19, exec_lo
	v_cmpx_ne_u32_e32 0x7f, v5
	s_cbranch_execz .LBB366_776
; %bb.773:                              ;   in Loop: Header=BB366_10 Depth=1
	v_mov_b32_e32 v4, 7
	s_mov_b32 s20, exec_lo
	v_and_b32_sdwa v12, v25, v4 dst_sel:DWORD dst_unused:UNUSED_PAD src0_sel:BYTE_3 src1_sel:DWORD
	v_mov_b32_e32 v27, v13
	v_lshrrev_b32_e32 v4, 3, v5
	v_mov_b32_e32 v26, v12
	v_cmpx_gt_u32_e32 8, v5
; %bb.774:                              ;   in Loop: Header=BB366_10 Depth=1
	v_ffbh_u32_e32 v4, v12
	v_min_u32_e32 v4, 32, v4
	v_subrev_nc_u32_e32 v5, 28, v4
	v_sub_nc_u32_e32 v4, 29, v4
	v_lshlrev_b64 v[20:21], v5, v[12:13]
	v_and_b32_e32 v26, 7, v20
; %bb.775:                              ;   in Loop: Header=BB366_10 Depth=1
	s_or_b32 exec_lo, exec_lo, s20
	v_mov_b32_e32 v5, 24
	v_lshlrev_b32_e32 v12, 20, v26
	v_lshl_add_u32 v4, v4, 23, 0x3c000000
	v_lshlrev_b32_sdwa v5, v5, v25 dst_sel:DWORD dst_unused:UNUSED_PAD src0_sel:DWORD src1_sel:BYTE_3
	v_and_b32_e32 v5, 0x80000000, v5
	v_or3_b32 v38, v12, v5, v4
.LBB366_776:                            ;   in Loop: Header=BB366_10 Depth=1
	s_or_b32 exec_lo, exec_lo, s19
.LBB366_777:                            ;   in Loop: Header=BB366_10 Depth=1
	s_or_b32 exec_lo, exec_lo, s18
.LBB366_778:                            ;   in Loop: Header=BB366_10 Depth=1
	s_or_b32 exec_lo, exec_lo, s6
	flat_load_dwordx2 v[24:25], v[16:17] offset:1024
	s_waitcnt vmcnt(0) lgkmcnt(0)
	v_cmp_ne_u16_sdwa s5, v24, v13 src0_sel:BYTE_0 src1_sel:DWORD
	s_and_saveexec_b32 s6, s5
	s_cbranch_execz .LBB366_786
; %bb.779:                              ;   in Loop: Header=BB366_10 Depth=1
	v_mov_b32_e32 v4, 0x80
	v_bfrev_b32_e32 v39, 1
	v_cmp_ne_u16_sdwa s5, v24, v4 src0_sel:BYTE_0 src1_sel:DWORD
	s_and_saveexec_b32 s18, s5
	s_cbranch_execz .LBB366_785
; %bb.780:                              ;   in Loop: Header=BB366_10 Depth=1
	v_and_b32_e32 v5, 0x7f, v24
	v_mov_b32_e32 v39, 0x7f800001
	s_mov_b32 s19, exec_lo
	v_cmpx_ne_u32_e32 0x7f, v5
	s_cbranch_execz .LBB366_784
; %bb.781:                              ;   in Loop: Header=BB366_10 Depth=1
	v_mov_b32_e32 v27, v25
	v_lshrrev_b32_e32 v4, 3, v5
	v_mov_b32_e32 v26, v24
	s_mov_b32 s20, exec_lo
	v_cmpx_gt_u32_e32 8, v5
; %bb.782:                              ;   in Loop: Header=BB366_10 Depth=1
	v_and_b32_e32 v4, 7, v24
	v_ffbh_u32_e32 v4, v4
	v_min_u32_e32 v4, 32, v4
	v_subrev_nc_u32_e32 v5, 28, v4
	v_sub_nc_u32_e32 v4, 29, v4
	v_lshlrev_b64 v[26:27], v5, v[24:25]
; %bb.783:                              ;   in Loop: Header=BB366_10 Depth=1
	s_or_b32 exec_lo, exec_lo, s20
	v_lshlrev_b32_e32 v5, 20, v26
	v_lshlrev_b32_e32 v12, 24, v24
	v_lshl_add_u32 v4, v4, 23, 0x3c000000
	v_and_b32_e32 v5, 0x700000, v5
	v_and_b32_e32 v12, 0x80000000, v12
	v_or3_b32 v39, v5, v12, v4
.LBB366_784:                            ;   in Loop: Header=BB366_10 Depth=1
	s_or_b32 exec_lo, exec_lo, s19
.LBB366_785:                            ;   in Loop: Header=BB366_10 Depth=1
	s_or_b32 exec_lo, exec_lo, s18
.LBB366_786:                            ;   in Loop: Header=BB366_10 Depth=1
	s_or_b32 exec_lo, exec_lo, s6
	v_cmp_ne_u16_sdwa s5, v24, v13 src0_sel:BYTE_1 src1_sel:DWORD
	v_mov_b32_e32 v49, 0
	v_mov_b32_e32 v48, 0
	s_and_saveexec_b32 s6, s5
	s_cbranch_execz .LBB366_794
; %bb.787:                              ;   in Loop: Header=BB366_10 Depth=1
	v_mov_b32_e32 v4, 0x80
	v_bfrev_b32_e32 v48, 1
	v_cmp_ne_u16_sdwa s5, v24, v4 src0_sel:BYTE_1 src1_sel:DWORD
	s_and_saveexec_b32 s18, s5
	s_cbranch_execz .LBB366_793
; %bb.788:                              ;   in Loop: Header=BB366_10 Depth=1
	v_mov_b32_e32 v4, 0xffff
	v_mov_b32_e32 v48, 0x7f800001
	s_mov_b32 s19, exec_lo
	v_and_b32_sdwa v4, v4, v24 dst_sel:DWORD dst_unused:UNUSED_PAD src0_sel:DWORD src1_sel:BYTE_1
	v_and_b32_e32 v5, 0x7f, v4
	v_cmpx_ne_u32_e32 0x7f, v5
	s_cbranch_execz .LBB366_792
; %bb.789:                              ;   in Loop: Header=BB366_10 Depth=1
	v_and_b32_e32 v12, 7, v4
	v_mov_b32_e32 v27, v13
	v_lshrrev_b32_e32 v4, 3, v5
	s_mov_b32 s20, exec_lo
	v_mov_b32_e32 v26, v12
	v_cmpx_gt_u32_e32 8, v5
; %bb.790:                              ;   in Loop: Header=BB366_10 Depth=1
	v_ffbh_u32_e32 v4, v12
	v_min_u32_e32 v4, 32, v4
	v_subrev_nc_u32_e32 v5, 28, v4
	v_sub_nc_u32_e32 v4, 29, v4
	v_lshlrev_b64 v[20:21], v5, v[12:13]
	v_and_b32_e32 v26, 7, v20
; %bb.791:                              ;   in Loop: Header=BB366_10 Depth=1
	s_or_b32 exec_lo, exec_lo, s20
	v_lshlrev_b32_e32 v5, 16, v24
	v_lshlrev_b32_e32 v12, 20, v26
	v_lshl_add_u32 v4, v4, 23, 0x3c000000
	v_and_b32_e32 v5, 0x80000000, v5
	v_or3_b32 v48, v12, v5, v4
.LBB366_792:                            ;   in Loop: Header=BB366_10 Depth=1
	s_or_b32 exec_lo, exec_lo, s19
.LBB366_793:                            ;   in Loop: Header=BB366_10 Depth=1
	s_or_b32 exec_lo, exec_lo, s18
.LBB366_794:                            ;   in Loop: Header=BB366_10 Depth=1
	s_or_b32 exec_lo, exec_lo, s6
	v_mov_b32_e32 v4, 0xff
	s_mov_b32 s6, exec_lo
	v_and_b32_sdwa v4, v24, v4 dst_sel:DWORD dst_unused:UNUSED_PAD src0_sel:WORD_1 src1_sel:DWORD
	v_cmpx_ne_u16_e32 0, v4
	s_cbranch_execz .LBB366_802
; %bb.795:                              ;   in Loop: Header=BB366_10 Depth=1
	v_bfrev_b32_e32 v49, 1
	s_mov_b32 s18, exec_lo
	v_cmpx_ne_u16_e32 0x80, v4
	s_cbranch_execz .LBB366_801
; %bb.796:                              ;   in Loop: Header=BB366_10 Depth=1
	v_bfe_u32 v5, v24, 16, 7
	v_mov_b32_e32 v49, 0x7f800001
	s_mov_b32 s19, exec_lo
	v_cmpx_ne_u32_e32 0x7f, v5
	s_cbranch_execz .LBB366_800
; %bb.797:                              ;   in Loop: Header=BB366_10 Depth=1
	v_mov_b32_e32 v4, 7
	s_mov_b32 s20, exec_lo
	v_and_b32_sdwa v12, v24, v4 dst_sel:DWORD dst_unused:UNUSED_PAD src0_sel:WORD_1 src1_sel:DWORD
	v_mov_b32_e32 v27, v13
	v_lshrrev_b32_e32 v4, 3, v5
	v_mov_b32_e32 v26, v12
	v_cmpx_gt_u32_e32 8, v5
; %bb.798:                              ;   in Loop: Header=BB366_10 Depth=1
	v_ffbh_u32_e32 v4, v12
	v_min_u32_e32 v4, 32, v4
	v_subrev_nc_u32_e32 v5, 28, v4
	v_sub_nc_u32_e32 v4, 29, v4
	v_lshlrev_b64 v[20:21], v5, v[12:13]
	v_and_b32_e32 v26, 7, v20
; %bb.799:                              ;   in Loop: Header=BB366_10 Depth=1
	s_or_b32 exec_lo, exec_lo, s20
	v_mov_b32_e32 v5, 24
	v_lshlrev_b32_e32 v12, 20, v26
	v_lshl_add_u32 v4, v4, 23, 0x3c000000
	v_lshlrev_b32_sdwa v5, v5, v24 dst_sel:DWORD dst_unused:UNUSED_PAD src0_sel:DWORD src1_sel:WORD_1
	v_and_b32_e32 v5, 0x80000000, v5
	v_or3_b32 v49, v12, v5, v4
.LBB366_800:                            ;   in Loop: Header=BB366_10 Depth=1
	s_or_b32 exec_lo, exec_lo, s19
.LBB366_801:                            ;   in Loop: Header=BB366_10 Depth=1
	s_or_b32 exec_lo, exec_lo, s18
.LBB366_802:                            ;   in Loop: Header=BB366_10 Depth=1
	s_or_b32 exec_lo, exec_lo, s6
	v_mov_b32_e32 v51, 0
	v_mov_b32_e32 v50, 0
	s_mov_b32 s6, exec_lo
	v_cmpx_lt_u32_e32 0xffffff, v24
	s_cbranch_execz .LBB366_810
; %bb.803:                              ;   in Loop: Header=BB366_10 Depth=1
	v_mov_b32_e32 v4, 0x80
	v_bfrev_b32_e32 v50, 1
	v_cmp_ne_u32_sdwa s5, v24, v4 src0_sel:BYTE_3 src1_sel:DWORD
	s_and_saveexec_b32 s18, s5
	s_cbranch_execz .LBB366_809
; %bb.804:                              ;   in Loop: Header=BB366_10 Depth=1
	v_bfe_u32 v5, v24, 24, 7
	v_mov_b32_e32 v50, 0x7f800001
	s_mov_b32 s19, exec_lo
	v_cmpx_ne_u32_e32 0x7f, v5
	s_cbranch_execz .LBB366_808
; %bb.805:                              ;   in Loop: Header=BB366_10 Depth=1
	v_mov_b32_e32 v4, 7
	s_mov_b32 s20, exec_lo
	v_and_b32_sdwa v12, v24, v4 dst_sel:DWORD dst_unused:UNUSED_PAD src0_sel:BYTE_3 src1_sel:DWORD
	v_mov_b32_e32 v27, v13
	v_lshrrev_b32_e32 v4, 3, v5
	v_mov_b32_e32 v26, v12
	v_cmpx_gt_u32_e32 8, v5
; %bb.806:                              ;   in Loop: Header=BB366_10 Depth=1
	v_ffbh_u32_e32 v4, v12
	v_min_u32_e32 v4, 32, v4
	v_subrev_nc_u32_e32 v5, 28, v4
	v_sub_nc_u32_e32 v4, 29, v4
	v_lshlrev_b64 v[20:21], v5, v[12:13]
	v_and_b32_e32 v26, 7, v20
; %bb.807:                              ;   in Loop: Header=BB366_10 Depth=1
	s_or_b32 exec_lo, exec_lo, s20
	v_mov_b32_e32 v5, 24
	v_lshlrev_b32_e32 v12, 20, v26
	v_lshl_add_u32 v4, v4, 23, 0x3c000000
	v_lshlrev_b32_sdwa v5, v5, v24 dst_sel:DWORD dst_unused:UNUSED_PAD src0_sel:DWORD src1_sel:BYTE_3
	v_and_b32_e32 v5, 0x80000000, v5
	v_or3_b32 v50, v12, v5, v4
.LBB366_808:                            ;   in Loop: Header=BB366_10 Depth=1
	s_or_b32 exec_lo, exec_lo, s19
.LBB366_809:                            ;   in Loop: Header=BB366_10 Depth=1
	s_or_b32 exec_lo, exec_lo, s18
.LBB366_810:                            ;   in Loop: Header=BB366_10 Depth=1
	s_or_b32 exec_lo, exec_lo, s6
	v_mov_b32_e32 v12, v25
	v_cmp_ne_u16_sdwa s5, v25, v13 src0_sel:BYTE_0 src1_sel:DWORD
	s_and_saveexec_b32 s6, s5
	s_cbranch_execz .LBB366_818
; %bb.811:                              ;   in Loop: Header=BB366_10 Depth=1
	v_mov_b32_e32 v4, 0x80
	v_bfrev_b32_e32 v51, 1
	v_cmp_ne_u16_sdwa s5, v25, v4 src0_sel:BYTE_0 src1_sel:DWORD
	s_and_saveexec_b32 s18, s5
	s_cbranch_execz .LBB366_817
; %bb.812:                              ;   in Loop: Header=BB366_10 Depth=1
	v_and_b32_e32 v5, 0x7f, v25
	v_mov_b32_e32 v51, 0x7f800001
	s_mov_b32 s19, exec_lo
	v_cmpx_ne_u32_e32 0x7f, v5
	s_cbranch_execz .LBB366_816
; %bb.813:                              ;   in Loop: Header=BB366_10 Depth=1
	v_mov_b32_e32 v27, v13
	v_lshrrev_b32_e32 v4, 3, v5
	v_mov_b32_e32 v26, v12
	s_mov_b32 s20, exec_lo
	v_cmpx_gt_u32_e32 8, v5
; %bb.814:                              ;   in Loop: Header=BB366_10 Depth=1
	v_and_b32_e32 v4, 7, v25
	v_ffbh_u32_e32 v4, v4
	v_min_u32_e32 v4, 32, v4
	v_subrev_nc_u32_e32 v5, 28, v4
	v_sub_nc_u32_e32 v4, 29, v4
	v_lshlrev_b64 v[26:27], v5, v[12:13]
; %bb.815:                              ;   in Loop: Header=BB366_10 Depth=1
	s_or_b32 exec_lo, exec_lo, s20
	v_lshlrev_b32_e32 v5, 20, v26
	v_lshlrev_b32_e32 v20, 24, v12
	v_lshl_add_u32 v4, v4, 23, 0x3c000000
	v_and_b32_e32 v5, 0x700000, v5
	v_and_b32_e32 v20, 0x80000000, v20
	v_or3_b32 v51, v5, v20, v4
.LBB366_816:                            ;   in Loop: Header=BB366_10 Depth=1
	s_or_b32 exec_lo, exec_lo, s19
.LBB366_817:                            ;   in Loop: Header=BB366_10 Depth=1
	s_or_b32 exec_lo, exec_lo, s18
.LBB366_818:                            ;   in Loop: Header=BB366_10 Depth=1
	s_or_b32 exec_lo, exec_lo, s6
	v_cmp_ne_u16_sdwa s5, v12, v13 src0_sel:BYTE_1 src1_sel:DWORD
	v_mov_b32_e32 v34, 0
	v_mov_b32_e32 v4, 0
	s_and_saveexec_b32 s6, s5
	s_cbranch_execz .LBB366_826
; %bb.819:                              ;   in Loop: Header=BB366_10 Depth=1
	v_mov_b32_e32 v4, 0x80
	v_cmp_ne_u16_sdwa s5, v12, v4 src0_sel:BYTE_1 src1_sel:DWORD
	v_bfrev_b32_e32 v4, 1
	s_and_saveexec_b32 s18, s5
	s_cbranch_execz .LBB366_825
; %bb.820:                              ;   in Loop: Header=BB366_10 Depth=1
	v_mov_b32_e32 v4, 0xffff
	s_mov_b32 s19, exec_lo
	v_and_b32_sdwa v20, v4, v12 dst_sel:DWORD dst_unused:UNUSED_PAD src0_sel:DWORD src1_sel:BYTE_1
	v_mov_b32_e32 v4, 0x7f800001
	v_and_b32_e32 v5, 0x7f, v20
	v_cmpx_ne_u32_e32 0x7f, v5
	s_cbranch_execz .LBB366_824
; %bb.821:                              ;   in Loop: Header=BB366_10 Depth=1
	v_and_b32_e32 v26, 7, v20
	v_mov_b32_e32 v27, v13
	v_lshrrev_b32_e32 v4, 3, v5
	s_mov_b32 s20, exec_lo
	v_cmpx_gt_u32_e32 8, v5
; %bb.822:                              ;   in Loop: Header=BB366_10 Depth=1
	v_ffbh_u32_e32 v4, v26
	v_min_u32_e32 v4, 32, v4
	v_subrev_nc_u32_e32 v5, 28, v4
	v_sub_nc_u32_e32 v4, 29, v4
	v_lshlrev_b64 v[20:21], v5, v[26:27]
	v_and_b32_e32 v26, 7, v20
; %bb.823:                              ;   in Loop: Header=BB366_10 Depth=1
	s_or_b32 exec_lo, exec_lo, s20
	v_lshlrev_b32_e32 v5, 16, v12
	v_lshlrev_b32_e32 v12, 20, v26
	v_lshl_add_u32 v4, v4, 23, 0x3c000000
	v_and_b32_e32 v5, 0x80000000, v5
	v_or3_b32 v4, v12, v5, v4
.LBB366_824:                            ;   in Loop: Header=BB366_10 Depth=1
	s_or_b32 exec_lo, exec_lo, s19
.LBB366_825:                            ;   in Loop: Header=BB366_10 Depth=1
	s_or_b32 exec_lo, exec_lo, s18
.LBB366_826:                            ;   in Loop: Header=BB366_10 Depth=1
	s_or_b32 exec_lo, exec_lo, s6
	v_mov_b32_e32 v5, 0xff
	s_mov_b32 s6, exec_lo
	v_and_b32_sdwa v5, v25, v5 dst_sel:DWORD dst_unused:UNUSED_PAD src0_sel:WORD_1 src1_sel:DWORD
	v_cmpx_ne_u16_e32 0, v5
	s_cbranch_execz .LBB366_834
; %bb.827:                              ;   in Loop: Header=BB366_10 Depth=1
	v_bfrev_b32_e32 v34, 1
	s_mov_b32 s18, exec_lo
	v_cmpx_ne_u16_e32 0x80, v5
	s_cbranch_execz .LBB366_833
; %bb.828:                              ;   in Loop: Header=BB366_10 Depth=1
	v_bfe_u32 v20, v25, 16, 7
	v_mov_b32_e32 v34, 0x7f800001
	s_mov_b32 s19, exec_lo
	v_cmpx_ne_u32_e32 0x7f, v20
	s_cbranch_execz .LBB366_832
; %bb.829:                              ;   in Loop: Header=BB366_10 Depth=1
	v_mov_b32_e32 v5, 7
	s_mov_b32 s20, exec_lo
	v_and_b32_sdwa v12, v25, v5 dst_sel:DWORD dst_unused:UNUSED_PAD src0_sel:WORD_1 src1_sel:DWORD
	v_mov_b32_e32 v27, v13
	v_lshrrev_b32_e32 v5, 3, v20
	v_mov_b32_e32 v26, v12
	v_cmpx_gt_u32_e32 8, v20
; %bb.830:                              ;   in Loop: Header=BB366_10 Depth=1
	v_ffbh_u32_e32 v5, v12
	v_min_u32_e32 v5, 32, v5
	v_subrev_nc_u32_e32 v20, 28, v5
	v_sub_nc_u32_e32 v5, 29, v5
	v_lshlrev_b64 v[20:21], v20, v[12:13]
	v_and_b32_e32 v26, 7, v20
; %bb.831:                              ;   in Loop: Header=BB366_10 Depth=1
	s_or_b32 exec_lo, exec_lo, s20
	v_mov_b32_e32 v12, 24
	v_lshlrev_b32_e32 v20, 20, v26
	v_lshl_add_u32 v5, v5, 23, 0x3c000000
	v_lshlrev_b32_sdwa v12, v12, v25 dst_sel:DWORD dst_unused:UNUSED_PAD src0_sel:DWORD src1_sel:WORD_1
	v_and_b32_e32 v12, 0x80000000, v12
	v_or3_b32 v34, v20, v12, v5
.LBB366_832:                            ;   in Loop: Header=BB366_10 Depth=1
	s_or_b32 exec_lo, exec_lo, s19
.LBB366_833:                            ;   in Loop: Header=BB366_10 Depth=1
	s_or_b32 exec_lo, exec_lo, s18
.LBB366_834:                            ;   in Loop: Header=BB366_10 Depth=1
	s_or_b32 exec_lo, exec_lo, s6
	v_mov_b32_e32 v21, 0
	v_mov_b32_e32 v80, 0
	s_mov_b32 s6, exec_lo
	v_cmpx_lt_u64_e64 s[8:9], v[24:25]
	s_cbranch_execz .LBB366_842
; %bb.835:                              ;   in Loop: Header=BB366_10 Depth=1
	v_mov_b32_e32 v5, 0x80
	v_bfrev_b32_e32 v80, 1
	v_cmp_ne_u32_sdwa s5, v25, v5 src0_sel:BYTE_3 src1_sel:DWORD
	s_and_saveexec_b32 s18, s5
	s_cbranch_execz .LBB366_841
; %bb.836:                              ;   in Loop: Header=BB366_10 Depth=1
	v_bfe_u32 v20, v25, 24, 7
	v_mov_b32_e32 v80, 0x7f800001
	s_mov_b32 s19, exec_lo
	v_cmpx_ne_u32_e32 0x7f, v20
	s_cbranch_execz .LBB366_840
; %bb.837:                              ;   in Loop: Header=BB366_10 Depth=1
	v_mov_b32_e32 v5, 7
	s_mov_b32 s20, exec_lo
	v_and_b32_sdwa v12, v25, v5 dst_sel:DWORD dst_unused:UNUSED_PAD src0_sel:BYTE_3 src1_sel:DWORD
	v_mov_b32_e32 v27, v13
	v_lshrrev_b32_e32 v5, 3, v20
	v_mov_b32_e32 v26, v12
	v_cmpx_gt_u32_e32 8, v20
; %bb.838:                              ;   in Loop: Header=BB366_10 Depth=1
	v_ffbh_u32_e32 v5, v12
	v_min_u32_e32 v5, 32, v5
	v_subrev_nc_u32_e32 v20, 28, v5
	v_sub_nc_u32_e32 v5, 29, v5
	v_lshlrev_b64 v[26:27], v20, v[12:13]
	v_and_b32_e32 v26, 7, v26
; %bb.839:                              ;   in Loop: Header=BB366_10 Depth=1
	s_or_b32 exec_lo, exec_lo, s20
	v_mov_b32_e32 v12, 24
	v_lshlrev_b32_e32 v20, 20, v26
	v_lshl_add_u32 v5, v5, 23, 0x3c000000
	v_lshlrev_b32_sdwa v12, v12, v25 dst_sel:DWORD dst_unused:UNUSED_PAD src0_sel:DWORD src1_sel:BYTE_3
	v_and_b32_e32 v12, 0x80000000, v12
	v_or3_b32 v80, v20, v12, v5
.LBB366_840:                            ;   in Loop: Header=BB366_10 Depth=1
	s_or_b32 exec_lo, exec_lo, s19
.LBB366_841:                            ;   in Loop: Header=BB366_10 Depth=1
	s_or_b32 exec_lo, exec_lo, s18
.LBB366_842:                            ;   in Loop: Header=BB366_10 Depth=1
	s_or_b32 exec_lo, exec_lo, s6
	flat_load_dwordx2 v[24:25], v[16:17] offset:1032
	s_waitcnt vmcnt(0) lgkmcnt(0)
	v_cmp_ne_u16_sdwa s5, v24, v13 src0_sel:BYTE_0 src1_sel:DWORD
	s_and_saveexec_b32 s6, s5
	s_cbranch_execz .LBB366_850
; %bb.843:                              ;   in Loop: Header=BB366_10 Depth=1
	v_mov_b32_e32 v5, 0x80
	v_bfrev_b32_e32 v21, 1
	v_cmp_ne_u16_sdwa s5, v24, v5 src0_sel:BYTE_0 src1_sel:DWORD
	s_and_saveexec_b32 s18, s5
	s_cbranch_execz .LBB366_849
; %bb.844:                              ;   in Loop: Header=BB366_10 Depth=1
	v_and_b32_e32 v12, 0x7f, v24
	v_mov_b32_e32 v21, 0x7f800001
	s_mov_b32 s19, exec_lo
	v_cmpx_ne_u32_e32 0x7f, v12
	s_cbranch_execz .LBB366_848
; %bb.845:                              ;   in Loop: Header=BB366_10 Depth=1
	v_mov_b32_e32 v27, v25
	v_lshrrev_b32_e32 v5, 3, v12
	v_mov_b32_e32 v26, v24
	s_mov_b32 s20, exec_lo
	v_cmpx_gt_u32_e32 8, v12
; %bb.846:                              ;   in Loop: Header=BB366_10 Depth=1
	v_and_b32_e32 v5, 7, v24
	v_ffbh_u32_e32 v5, v5
	v_min_u32_e32 v5, 32, v5
	v_subrev_nc_u32_e32 v12, 28, v5
	v_sub_nc_u32_e32 v5, 29, v5
	v_lshlrev_b64 v[26:27], v12, v[24:25]
; %bb.847:                              ;   in Loop: Header=BB366_10 Depth=1
	s_or_b32 exec_lo, exec_lo, s20
	v_lshlrev_b32_e32 v12, 20, v26
	v_lshlrev_b32_e32 v20, 24, v24
	v_lshl_add_u32 v5, v5, 23, 0x3c000000
	v_and_b32_e32 v12, 0x700000, v12
	v_and_b32_e32 v20, 0x80000000, v20
	v_or3_b32 v21, v12, v20, v5
.LBB366_848:                            ;   in Loop: Header=BB366_10 Depth=1
	s_or_b32 exec_lo, exec_lo, s19
.LBB366_849:                            ;   in Loop: Header=BB366_10 Depth=1
	s_or_b32 exec_lo, exec_lo, s18
.LBB366_850:                            ;   in Loop: Header=BB366_10 Depth=1
	s_or_b32 exec_lo, exec_lo, s6
	v_cmp_ne_u16_sdwa s5, v24, v13 src0_sel:BYTE_1 src1_sel:DWORD
	v_mov_b32_e32 v83, 0
	v_mov_b32_e32 v20, 0
	s_and_saveexec_b32 s6, s5
	s_cbranch_execz .LBB366_858
; %bb.851:                              ;   in Loop: Header=BB366_10 Depth=1
	v_mov_b32_e32 v5, 0x80
	v_bfrev_b32_e32 v20, 1
	v_cmp_ne_u16_sdwa s5, v24, v5 src0_sel:BYTE_1 src1_sel:DWORD
	s_and_saveexec_b32 s18, s5
	s_cbranch_execz .LBB366_857
; %bb.852:                              ;   in Loop: Header=BB366_10 Depth=1
	v_mov_b32_e32 v5, 0xffff
	v_mov_b32_e32 v20, 0x7f800001
	s_mov_b32 s19, exec_lo
	v_and_b32_sdwa v5, v5, v24 dst_sel:DWORD dst_unused:UNUSED_PAD src0_sel:DWORD src1_sel:BYTE_1
	v_and_b32_e32 v26, 0x7f, v5
	v_cmpx_ne_u32_e32 0x7f, v26
	s_cbranch_execz .LBB366_856
; %bb.853:                              ;   in Loop: Header=BB366_10 Depth=1
	v_and_b32_e32 v12, 7, v5
	v_lshrrev_b32_e32 v5, 3, v26
	v_cmp_gt_u32_e64 s5, 8, v26
	v_mov_b32_e32 v27, v13
	v_mov_b32_e32 v26, v12
	s_and_saveexec_b32 s20, s5
; %bb.854:                              ;   in Loop: Header=BB366_10 Depth=1
	v_ffbh_u32_e32 v5, v12
	v_min_u32_e32 v5, 32, v5
	v_subrev_nc_u32_e32 v20, 28, v5
	v_sub_nc_u32_e32 v5, 29, v5
	v_lshlrev_b64 v[26:27], v20, v[12:13]
	v_and_b32_e32 v26, 7, v26
; %bb.855:                              ;   in Loop: Header=BB366_10 Depth=1
	s_or_b32 exec_lo, exec_lo, s20
	v_lshlrev_b32_e32 v12, 16, v24
	v_lshlrev_b32_e32 v20, 20, v26
	v_lshl_add_u32 v5, v5, 23, 0x3c000000
	v_and_b32_e32 v12, 0x80000000, v12
	v_or3_b32 v20, v20, v12, v5
.LBB366_856:                            ;   in Loop: Header=BB366_10 Depth=1
	s_or_b32 exec_lo, exec_lo, s19
.LBB366_857:                            ;   in Loop: Header=BB366_10 Depth=1
	s_or_b32 exec_lo, exec_lo, s18
.LBB366_858:                            ;   in Loop: Header=BB366_10 Depth=1
	s_or_b32 exec_lo, exec_lo, s6
	v_mov_b32_e32 v5, 0xff
	s_mov_b32 s6, exec_lo
	v_and_b32_sdwa v5, v24, v5 dst_sel:DWORD dst_unused:UNUSED_PAD src0_sel:WORD_1 src1_sel:DWORD
	v_cmpx_ne_u16_e32 0, v5
	s_cbranch_execz .LBB366_866
; %bb.859:                              ;   in Loop: Header=BB366_10 Depth=1
	v_bfrev_b32_e32 v83, 1
	s_mov_b32 s18, exec_lo
	v_cmpx_ne_u16_e32 0x80, v5
	s_cbranch_execz .LBB366_865
; %bb.860:                              ;   in Loop: Header=BB366_10 Depth=1
	v_bfe_u32 v26, v24, 16, 7
	v_mov_b32_e32 v83, 0x7f800001
	s_mov_b32 s19, exec_lo
	v_cmpx_ne_u32_e32 0x7f, v26
	s_cbranch_execz .LBB366_864
; %bb.861:                              ;   in Loop: Header=BB366_10 Depth=1
	v_mov_b32_e32 v5, 7
	v_cmp_gt_u32_e64 s5, 8, v26
	v_and_b32_sdwa v12, v24, v5 dst_sel:DWORD dst_unused:UNUSED_PAD src0_sel:WORD_1 src1_sel:DWORD
	v_lshrrev_b32_e32 v5, 3, v26
	v_mov_b32_e32 v27, v13
	v_mov_b32_e32 v26, v12
	s_and_saveexec_b32 s20, s5
; %bb.862:                              ;   in Loop: Header=BB366_10 Depth=1
	v_ffbh_u32_e32 v5, v12
	v_min_u32_e32 v5, 32, v5
	v_subrev_nc_u32_e32 v26, 28, v5
	v_sub_nc_u32_e32 v5, 29, v5
	v_lshlrev_b64 v[26:27], v26, v[12:13]
	v_and_b32_e32 v26, 7, v26
; %bb.863:                              ;   in Loop: Header=BB366_10 Depth=1
	s_or_b32 exec_lo, exec_lo, s20
	v_mov_b32_e32 v12, 24
	v_lshlrev_b32_e32 v26, 20, v26
	v_lshl_add_u32 v5, v5, 23, 0x3c000000
	v_lshlrev_b32_sdwa v12, v12, v24 dst_sel:DWORD dst_unused:UNUSED_PAD src0_sel:DWORD src1_sel:WORD_1
	v_and_b32_e32 v12, 0x80000000, v12
	v_or3_b32 v83, v26, v12, v5
.LBB366_864:                            ;   in Loop: Header=BB366_10 Depth=1
	s_or_b32 exec_lo, exec_lo, s19
.LBB366_865:                            ;   in Loop: Header=BB366_10 Depth=1
	s_or_b32 exec_lo, exec_lo, s18
.LBB366_866:                            ;   in Loop: Header=BB366_10 Depth=1
	s_or_b32 exec_lo, exec_lo, s6
	v_mov_b32_e32 v96, 0
	v_mov_b32_e32 v87, 0
	s_mov_b32 s6, exec_lo
	v_cmpx_lt_u32_e32 0xffffff, v24
	s_cbranch_execz .LBB366_874
; %bb.867:                              ;   in Loop: Header=BB366_10 Depth=1
	v_mov_b32_e32 v5, 0x80
	v_bfrev_b32_e32 v87, 1
	v_cmp_ne_u32_sdwa s5, v24, v5 src0_sel:BYTE_3 src1_sel:DWORD
	s_and_saveexec_b32 s18, s5
	s_cbranch_execz .LBB366_873
; %bb.868:                              ;   in Loop: Header=BB366_10 Depth=1
	v_bfe_u32 v26, v24, 24, 7
	v_mov_b32_e32 v87, 0x7f800001
	s_mov_b32 s19, exec_lo
	v_cmpx_ne_u32_e32 0x7f, v26
	s_cbranch_execz .LBB366_872
; %bb.869:                              ;   in Loop: Header=BB366_10 Depth=1
	v_mov_b32_e32 v5, 7
	v_cmp_gt_u32_e64 s5, 8, v26
	v_and_b32_sdwa v12, v24, v5 dst_sel:DWORD dst_unused:UNUSED_PAD src0_sel:BYTE_3 src1_sel:DWORD
	v_lshrrev_b32_e32 v5, 3, v26
	v_mov_b32_e32 v27, v13
	v_mov_b32_e32 v26, v12
	s_and_saveexec_b32 s20, s5
; %bb.870:                              ;   in Loop: Header=BB366_10 Depth=1
	v_ffbh_u32_e32 v5, v12
	v_min_u32_e32 v5, 32, v5
	v_subrev_nc_u32_e32 v26, 28, v5
	v_sub_nc_u32_e32 v5, 29, v5
	v_lshlrev_b64 v[26:27], v26, v[12:13]
	v_and_b32_e32 v26, 7, v26
; %bb.871:                              ;   in Loop: Header=BB366_10 Depth=1
	s_or_b32 exec_lo, exec_lo, s20
	v_mov_b32_e32 v12, 24
	v_lshlrev_b32_e32 v26, 20, v26
	v_lshl_add_u32 v5, v5, 23, 0x3c000000
	v_lshlrev_b32_sdwa v12, v12, v24 dst_sel:DWORD dst_unused:UNUSED_PAD src0_sel:DWORD src1_sel:BYTE_3
	v_and_b32_e32 v12, 0x80000000, v12
	v_or3_b32 v87, v26, v12, v5
.LBB366_872:                            ;   in Loop: Header=BB366_10 Depth=1
	s_or_b32 exec_lo, exec_lo, s19
.LBB366_873:                            ;   in Loop: Header=BB366_10 Depth=1
	s_or_b32 exec_lo, exec_lo, s18
.LBB366_874:                            ;   in Loop: Header=BB366_10 Depth=1
	s_or_b32 exec_lo, exec_lo, s6
	v_mov_b32_e32 v12, v25
	v_cmp_ne_u16_sdwa s5, v25, v13 src0_sel:BYTE_0 src1_sel:DWORD
	s_and_saveexec_b32 s6, s5
	s_cbranch_execz .LBB366_882
; %bb.875:                              ;   in Loop: Header=BB366_10 Depth=1
	v_mov_b32_e32 v5, 0x80
	v_bfrev_b32_e32 v96, 1
	v_cmp_ne_u16_sdwa s5, v25, v5 src0_sel:BYTE_0 src1_sel:DWORD
	s_and_saveexec_b32 s18, s5
	s_cbranch_execz .LBB366_881
; %bb.876:                              ;   in Loop: Header=BB366_10 Depth=1
	v_and_b32_e32 v26, 0x7f, v25
	v_mov_b32_e32 v96, 0x7f800001
	s_mov_b32 s19, exec_lo
	v_cmpx_ne_u32_e32 0x7f, v26
	s_cbranch_execz .LBB366_880
; %bb.877:                              ;   in Loop: Header=BB366_10 Depth=1
	v_lshrrev_b32_e32 v5, 3, v26
	v_cmp_gt_u32_e64 s5, 8, v26
	v_mov_b32_e32 v27, v13
	v_mov_b32_e32 v26, v12
	s_and_saveexec_b32 s20, s5
; %bb.878:                              ;   in Loop: Header=BB366_10 Depth=1
	v_and_b32_e32 v5, 7, v25
	v_ffbh_u32_e32 v5, v5
	v_min_u32_e32 v5, 32, v5
	v_subrev_nc_u32_e32 v26, 28, v5
	v_sub_nc_u32_e32 v5, 29, v5
	v_lshlrev_b64 v[26:27], v26, v[12:13]
; %bb.879:                              ;   in Loop: Header=BB366_10 Depth=1
	s_or_b32 exec_lo, exec_lo, s20
	v_lshlrev_b32_e32 v26, 20, v26
	v_lshlrev_b32_e32 v27, 24, v12
	v_lshl_add_u32 v5, v5, 23, 0x3c000000
	v_and_b32_e32 v26, 0x700000, v26
	v_and_b32_e32 v27, 0x80000000, v27
	v_or3_b32 v96, v26, v27, v5
.LBB366_880:                            ;   in Loop: Header=BB366_10 Depth=1
	s_or_b32 exec_lo, exec_lo, s19
.LBB366_881:                            ;   in Loop: Header=BB366_10 Depth=1
	s_or_b32 exec_lo, exec_lo, s18
.LBB366_882:                            ;   in Loop: Header=BB366_10 Depth=1
	s_or_b32 exec_lo, exec_lo, s6
	v_cmp_ne_u16_sdwa s5, v12, v13 src0_sel:BYTE_1 src1_sel:DWORD
	v_mov_b32_e32 v97, 0
	v_mov_b32_e32 v98, 0
	s_and_saveexec_b32 s6, s5
	s_cbranch_execz .LBB366_890
; %bb.883:                              ;   in Loop: Header=BB366_10 Depth=1
	v_mov_b32_e32 v5, 0x80
	v_bfrev_b32_e32 v98, 1
	v_cmp_ne_u16_sdwa s5, v12, v5 src0_sel:BYTE_1 src1_sel:DWORD
	s_and_saveexec_b32 s18, s5
	s_cbranch_execz .LBB366_889
; %bb.884:                              ;   in Loop: Header=BB366_10 Depth=1
	v_mov_b32_e32 v5, 0xffff
	v_mov_b32_e32 v98, 0x7f800001
	s_mov_b32 s19, exec_lo
	v_and_b32_sdwa v5, v5, v12 dst_sel:DWORD dst_unused:UNUSED_PAD src0_sel:DWORD src1_sel:BYTE_1
	v_and_b32_e32 v52, 0x7f, v5
	v_cmpx_ne_u32_e32 0x7f, v52
	s_cbranch_execz .LBB366_888
; %bb.885:                              ;   in Loop: Header=BB366_10 Depth=1
	v_and_b32_e32 v26, 7, v5
	v_mov_b32_e32 v27, v13
	v_lshrrev_b32_e32 v5, 3, v52
	s_mov_b32 s20, exec_lo
	v_cmpx_gt_u32_e32 8, v52
; %bb.886:                              ;   in Loop: Header=BB366_10 Depth=1
	v_ffbh_u32_e32 v5, v26
	v_min_u32_e32 v5, 32, v5
	v_subrev_nc_u32_e32 v52, 28, v5
	v_sub_nc_u32_e32 v5, 29, v5
	v_lshlrev_b64 v[26:27], v52, v[26:27]
	v_and_b32_e32 v26, 7, v26
; %bb.887:                              ;   in Loop: Header=BB366_10 Depth=1
	s_or_b32 exec_lo, exec_lo, s20
	v_lshlrev_b32_e32 v12, 16, v12
	v_lshlrev_b32_e32 v26, 20, v26
	v_lshl_add_u32 v5, v5, 23, 0x3c000000
	v_and_b32_e32 v12, 0x80000000, v12
	v_or3_b32 v98, v26, v12, v5
.LBB366_888:                            ;   in Loop: Header=BB366_10 Depth=1
	s_or_b32 exec_lo, exec_lo, s19
.LBB366_889:                            ;   in Loop: Header=BB366_10 Depth=1
	s_or_b32 exec_lo, exec_lo, s18
.LBB366_890:                            ;   in Loop: Header=BB366_10 Depth=1
	s_or_b32 exec_lo, exec_lo, s6
	v_mov_b32_e32 v5, 0xff
	s_mov_b32 s6, exec_lo
	v_and_b32_sdwa v5, v25, v5 dst_sel:DWORD dst_unused:UNUSED_PAD src0_sel:WORD_1 src1_sel:DWORD
	v_cmpx_ne_u16_e32 0, v5
	s_cbranch_execz .LBB366_898
; %bb.891:                              ;   in Loop: Header=BB366_10 Depth=1
	v_bfrev_b32_e32 v97, 1
	s_mov_b32 s18, exec_lo
	v_cmpx_ne_u16_e32 0x80, v5
	s_cbranch_execz .LBB366_897
; %bb.892:                              ;   in Loop: Header=BB366_10 Depth=1
	v_bfe_u32 v26, v25, 16, 7
	v_mov_b32_e32 v97, 0x7f800001
	s_mov_b32 s19, exec_lo
	v_cmpx_ne_u32_e32 0x7f, v26
	s_cbranch_execz .LBB366_896
; %bb.893:                              ;   in Loop: Header=BB366_10 Depth=1
	v_mov_b32_e32 v5, 7
	v_cmp_gt_u32_e64 s5, 8, v26
	v_and_b32_sdwa v12, v25, v5 dst_sel:DWORD dst_unused:UNUSED_PAD src0_sel:WORD_1 src1_sel:DWORD
	v_lshrrev_b32_e32 v5, 3, v26
	v_mov_b32_e32 v27, v13
	v_mov_b32_e32 v26, v12
	s_and_saveexec_b32 s20, s5
; %bb.894:                              ;   in Loop: Header=BB366_10 Depth=1
	v_ffbh_u32_e32 v5, v12
	v_min_u32_e32 v5, 32, v5
	v_subrev_nc_u32_e32 v26, 28, v5
	v_sub_nc_u32_e32 v5, 29, v5
	v_lshlrev_b64 v[26:27], v26, v[12:13]
	v_and_b32_e32 v26, 7, v26
; %bb.895:                              ;   in Loop: Header=BB366_10 Depth=1
	s_or_b32 exec_lo, exec_lo, s20
	v_mov_b32_e32 v12, 24
	v_lshlrev_b32_e32 v26, 20, v26
	v_lshl_add_u32 v5, v5, 23, 0x3c000000
	v_lshlrev_b32_sdwa v12, v12, v25 dst_sel:DWORD dst_unused:UNUSED_PAD src0_sel:DWORD src1_sel:WORD_1
	v_and_b32_e32 v12, 0x80000000, v12
	v_or3_b32 v97, v26, v12, v5
.LBB366_896:                            ;   in Loop: Header=BB366_10 Depth=1
	s_or_b32 exec_lo, exec_lo, s19
.LBB366_897:                            ;   in Loop: Header=BB366_10 Depth=1
	s_or_b32 exec_lo, exec_lo, s18
.LBB366_898:                            ;   in Loop: Header=BB366_10 Depth=1
	s_or_b32 exec_lo, exec_lo, s6
	v_mov_b32_e32 v52, 0
	v_mov_b32_e32 v27, 0
	s_mov_b32 s6, exec_lo
	v_cmpx_lt_u64_e64 s[8:9], v[24:25]
	s_cbranch_execz .LBB366_906
; %bb.899:                              ;   in Loop: Header=BB366_10 Depth=1
	v_mov_b32_e32 v5, 0x80
	v_bfrev_b32_e32 v27, 1
	v_cmp_ne_u32_sdwa s5, v25, v5 src0_sel:BYTE_3 src1_sel:DWORD
	s_and_saveexec_b32 s18, s5
	s_cbranch_execz .LBB366_905
; %bb.900:                              ;   in Loop: Header=BB366_10 Depth=1
	v_bfe_u32 v24, v25, 24, 7
	v_mov_b32_e32 v27, 0x7f800001
	s_mov_b32 s19, exec_lo
	v_cmpx_ne_u32_e32 0x7f, v24
	s_cbranch_execz .LBB366_904
; %bb.901:                              ;   in Loop: Header=BB366_10 Depth=1
	v_mov_b32_e32 v5, 7
	s_mov_b32 s20, exec_lo
	v_and_b32_sdwa v12, v25, v5 dst_sel:DWORD dst_unused:UNUSED_PAD src0_sel:BYTE_3 src1_sel:DWORD
	v_mov_b32_e32 v27, v13
	v_lshrrev_b32_e32 v5, 3, v24
	v_mov_b32_e32 v26, v12
	v_cmpx_gt_u32_e32 8, v24
; %bb.902:                              ;   in Loop: Header=BB366_10 Depth=1
	v_ffbh_u32_e32 v5, v12
	v_min_u32_e32 v5, 32, v5
	v_subrev_nc_u32_e32 v24, 28, v5
	v_sub_nc_u32_e32 v5, 29, v5
	v_lshlrev_b64 v[26:27], v24, v[12:13]
	v_and_b32_e32 v26, 7, v26
; %bb.903:                              ;   in Loop: Header=BB366_10 Depth=1
	s_or_b32 exec_lo, exec_lo, s20
	v_mov_b32_e32 v12, 24
	v_lshlrev_b32_e32 v24, 20, v26
	v_lshl_add_u32 v5, v5, 23, 0x3c000000
	v_lshlrev_b32_sdwa v12, v12, v25 dst_sel:DWORD dst_unused:UNUSED_PAD src0_sel:DWORD src1_sel:BYTE_3
	v_and_b32_e32 v12, 0x80000000, v12
	v_or3_b32 v27, v24, v12, v5
.LBB366_904:                            ;   in Loop: Header=BB366_10 Depth=1
	s_or_b32 exec_lo, exec_lo, s19
.LBB366_905:                            ;   in Loop: Header=BB366_10 Depth=1
	s_or_b32 exec_lo, exec_lo, s18
.LBB366_906:                            ;   in Loop: Header=BB366_10 Depth=1
	s_or_b32 exec_lo, exec_lo, s6
	flat_load_dwordx2 v[16:17], v[16:17] offset:1536
	s_waitcnt vmcnt(0) lgkmcnt(0)
	v_cmp_ne_u16_sdwa s5, v16, v13 src0_sel:BYTE_0 src1_sel:DWORD
	s_and_saveexec_b32 s6, s5
	s_cbranch_execz .LBB366_914
; %bb.907:                              ;   in Loop: Header=BB366_10 Depth=1
	v_mov_b32_e32 v5, 0x80
	v_bfrev_b32_e32 v52, 1
	v_cmp_ne_u16_sdwa s5, v16, v5 src0_sel:BYTE_0 src1_sel:DWORD
	s_and_saveexec_b32 s18, s5
	s_cbranch_execz .LBB366_913
; %bb.908:                              ;   in Loop: Header=BB366_10 Depth=1
	v_and_b32_e32 v12, 0x7f, v16
	v_mov_b32_e32 v52, 0x7f800001
	s_mov_b32 s19, exec_lo
	v_cmpx_ne_u32_e32 0x7f, v12
	s_cbranch_execz .LBB366_912
; %bb.909:                              ;   in Loop: Header=BB366_10 Depth=1
	v_mov_b32_e32 v25, v17
	v_lshrrev_b32_e32 v5, 3, v12
	v_mov_b32_e32 v24, v16
	s_mov_b32 s20, exec_lo
	v_cmpx_gt_u32_e32 8, v12
; %bb.910:                              ;   in Loop: Header=BB366_10 Depth=1
	v_and_b32_e32 v5, 7, v16
	v_ffbh_u32_e32 v5, v5
	v_min_u32_e32 v5, 32, v5
	v_subrev_nc_u32_e32 v12, 28, v5
	v_sub_nc_u32_e32 v5, 29, v5
	v_lshlrev_b64 v[24:25], v12, v[16:17]
; %bb.911:                              ;   in Loop: Header=BB366_10 Depth=1
	s_or_b32 exec_lo, exec_lo, s20
	v_lshlrev_b32_e32 v12, 20, v24
	v_lshlrev_b32_e32 v24, 24, v16
	v_lshl_add_u32 v5, v5, 23, 0x3c000000
	v_and_b32_e32 v12, 0x700000, v12
	v_and_b32_e32 v24, 0x80000000, v24
	v_or3_b32 v52, v12, v24, v5
.LBB366_912:                            ;   in Loop: Header=BB366_10 Depth=1
	s_or_b32 exec_lo, exec_lo, s19
.LBB366_913:                            ;   in Loop: Header=BB366_10 Depth=1
	s_or_b32 exec_lo, exec_lo, s18
.LBB366_914:                            ;   in Loop: Header=BB366_10 Depth=1
	s_or_b32 exec_lo, exec_lo, s6
	v_cmp_ne_u16_sdwa s5, v16, v13 src0_sel:BYTE_1 src1_sel:DWORD
	v_mov_b32_e32 v26, 0
	v_mov_b32_e32 v5, 0
	s_and_saveexec_b32 s6, s5
	s_cbranch_execz .LBB366_922
; %bb.915:                              ;   in Loop: Header=BB366_10 Depth=1
	v_mov_b32_e32 v5, 0x80
	v_cmp_ne_u16_sdwa s5, v16, v5 src0_sel:BYTE_1 src1_sel:DWORD
	v_bfrev_b32_e32 v5, 1
	s_and_saveexec_b32 s18, s5
	s_cbranch_execz .LBB366_921
; %bb.916:                              ;   in Loop: Header=BB366_10 Depth=1
	v_mov_b32_e32 v5, 0xffff
	s_mov_b32 s19, exec_lo
	v_and_b32_sdwa v12, v5, v16 dst_sel:DWORD dst_unused:UNUSED_PAD src0_sel:DWORD src1_sel:BYTE_1
	v_mov_b32_e32 v5, 0x7f800001
	v_and_b32_e32 v24, 0x7f, v12
	v_cmpx_ne_u32_e32 0x7f, v24
	s_cbranch_execz .LBB366_920
; %bb.917:                              ;   in Loop: Header=BB366_10 Depth=1
	v_and_b32_e32 v12, 7, v12
	v_lshrrev_b32_e32 v5, 3, v24
	v_cmp_gt_u32_e64 s5, 8, v24
	v_mov_b32_e32 v25, v13
	v_mov_b32_e32 v24, v12
	s_and_saveexec_b32 s20, s5
; %bb.918:                              ;   in Loop: Header=BB366_10 Depth=1
	v_ffbh_u32_e32 v5, v12
	v_min_u32_e32 v5, 32, v5
	v_subrev_nc_u32_e32 v24, 28, v5
	v_sub_nc_u32_e32 v5, 29, v5
	v_lshlrev_b64 v[24:25], v24, v[12:13]
	v_and_b32_e32 v24, 7, v24
; %bb.919:                              ;   in Loop: Header=BB366_10 Depth=1
	s_or_b32 exec_lo, exec_lo, s20
	v_lshlrev_b32_e32 v12, 16, v16
	v_lshlrev_b32_e32 v24, 20, v24
	v_lshl_add_u32 v5, v5, 23, 0x3c000000
	v_and_b32_e32 v12, 0x80000000, v12
	v_or3_b32 v5, v24, v12, v5
.LBB366_920:                            ;   in Loop: Header=BB366_10 Depth=1
	s_or_b32 exec_lo, exec_lo, s19
.LBB366_921:                            ;   in Loop: Header=BB366_10 Depth=1
	s_or_b32 exec_lo, exec_lo, s18
.LBB366_922:                            ;   in Loop: Header=BB366_10 Depth=1
	s_or_b32 exec_lo, exec_lo, s6
	v_mov_b32_e32 v12, 0xff
	s_mov_b32 s6, exec_lo
	v_and_b32_sdwa v12, v16, v12 dst_sel:DWORD dst_unused:UNUSED_PAD src0_sel:WORD_1 src1_sel:DWORD
	v_cmpx_ne_u16_e32 0, v12
	s_cbranch_execz .LBB366_930
; %bb.923:                              ;   in Loop: Header=BB366_10 Depth=1
	v_bfrev_b32_e32 v26, 1
	s_mov_b32 s18, exec_lo
	v_cmpx_ne_u16_e32 0x80, v12
	s_cbranch_execz .LBB366_929
; %bb.924:                              ;   in Loop: Header=BB366_10 Depth=1
	v_bfe_u32 v24, v16, 16, 7
	v_mov_b32_e32 v26, 0x7f800001
	s_mov_b32 s19, exec_lo
	v_cmpx_ne_u32_e32 0x7f, v24
	s_cbranch_execz .LBB366_928
; %bb.925:                              ;   in Loop: Header=BB366_10 Depth=1
	v_mov_b32_e32 v12, 7
	v_lshrrev_b32_e32 v26, 3, v24
	v_cmp_gt_u32_e64 s5, 8, v24
	v_and_b32_sdwa v12, v16, v12 dst_sel:DWORD dst_unused:UNUSED_PAD src0_sel:WORD_1 src1_sel:DWORD
	v_mov_b32_e32 v25, v13
	v_mov_b32_e32 v24, v12
	s_and_saveexec_b32 s20, s5
; %bb.926:                              ;   in Loop: Header=BB366_10 Depth=1
	v_ffbh_u32_e32 v24, v12
	v_min_u32_e32 v26, 32, v24
	v_subrev_nc_u32_e32 v24, 28, v26
	v_sub_nc_u32_e32 v26, 29, v26
	v_lshlrev_b64 v[24:25], v24, v[12:13]
	v_and_b32_e32 v24, 7, v24
; %bb.927:                              ;   in Loop: Header=BB366_10 Depth=1
	s_or_b32 exec_lo, exec_lo, s20
	v_mov_b32_e32 v12, 24
	v_lshlrev_b32_e32 v24, 20, v24
	v_lshl_add_u32 v25, v26, 23, 0x3c000000
	v_lshlrev_b32_sdwa v12, v12, v16 dst_sel:DWORD dst_unused:UNUSED_PAD src0_sel:DWORD src1_sel:WORD_1
	v_and_b32_e32 v12, 0x80000000, v12
	v_or3_b32 v26, v24, v12, v25
.LBB366_928:                            ;   in Loop: Header=BB366_10 Depth=1
	s_or_b32 exec_lo, exec_lo, s19
.LBB366_929:                            ;   in Loop: Header=BB366_10 Depth=1
	s_or_b32 exec_lo, exec_lo, s18
.LBB366_930:                            ;   in Loop: Header=BB366_10 Depth=1
	s_or_b32 exec_lo, exec_lo, s6
	v_mov_b32_e32 v82, 0
	v_mov_b32_e32 v81, 0
	s_mov_b32 s6, exec_lo
	v_cmpx_lt_u32_e32 0xffffff, v16
	s_cbranch_execz .LBB366_938
; %bb.931:                              ;   in Loop: Header=BB366_10 Depth=1
	v_mov_b32_e32 v12, 0x80
	v_bfrev_b32_e32 v81, 1
	v_cmp_ne_u32_sdwa s5, v16, v12 src0_sel:BYTE_3 src1_sel:DWORD
	s_and_saveexec_b32 s18, s5
	s_cbranch_execz .LBB366_937
; %bb.932:                              ;   in Loop: Header=BB366_10 Depth=1
	v_bfe_u32 v24, v16, 24, 7
	v_mov_b32_e32 v81, 0x7f800001
	s_mov_b32 s19, exec_lo
	v_cmpx_ne_u32_e32 0x7f, v24
	s_cbranch_execz .LBB366_936
; %bb.933:                              ;   in Loop: Header=BB366_10 Depth=1
	v_mov_b32_e32 v12, 7
	v_lshrrev_b32_e32 v81, 3, v24
	v_cmp_gt_u32_e64 s5, 8, v24
	v_and_b32_sdwa v12, v16, v12 dst_sel:DWORD dst_unused:UNUSED_PAD src0_sel:BYTE_3 src1_sel:DWORD
	v_mov_b32_e32 v25, v13
	v_mov_b32_e32 v24, v12
	s_and_saveexec_b32 s20, s5
; %bb.934:                              ;   in Loop: Header=BB366_10 Depth=1
	v_ffbh_u32_e32 v24, v12
	v_min_u32_e32 v81, 32, v24
	v_subrev_nc_u32_e32 v24, 28, v81
	v_sub_nc_u32_e32 v81, 29, v81
	v_lshlrev_b64 v[24:25], v24, v[12:13]
	v_and_b32_e32 v24, 7, v24
; %bb.935:                              ;   in Loop: Header=BB366_10 Depth=1
	s_or_b32 exec_lo, exec_lo, s20
	v_mov_b32_e32 v12, 24
	v_lshlrev_b32_e32 v24, 20, v24
	v_lshl_add_u32 v25, v81, 23, 0x3c000000
	v_lshlrev_b32_sdwa v12, v12, v16 dst_sel:DWORD dst_unused:UNUSED_PAD src0_sel:DWORD src1_sel:BYTE_3
	v_and_b32_e32 v12, 0x80000000, v12
	v_or3_b32 v81, v24, v12, v25
.LBB366_936:                            ;   in Loop: Header=BB366_10 Depth=1
	s_or_b32 exec_lo, exec_lo, s19
.LBB366_937:                            ;   in Loop: Header=BB366_10 Depth=1
	s_or_b32 exec_lo, exec_lo, s18
.LBB366_938:                            ;   in Loop: Header=BB366_10 Depth=1
	s_or_b32 exec_lo, exec_lo, s6
	v_mov_b32_e32 v12, v17
	v_cmp_ne_u16_sdwa s5, v17, v13 src0_sel:BYTE_0 src1_sel:DWORD
	s_and_saveexec_b32 s6, s5
	s_cbranch_execz .LBB366_946
; %bb.939:                              ;   in Loop: Header=BB366_10 Depth=1
	v_mov_b32_e32 v24, 0x80
	v_bfrev_b32_e32 v82, 1
	v_cmp_ne_u16_sdwa s5, v17, v24 src0_sel:BYTE_0 src1_sel:DWORD
	s_and_saveexec_b32 s18, s5
	s_cbranch_execz .LBB366_945
; %bb.940:                              ;   in Loop: Header=BB366_10 Depth=1
	v_and_b32_e32 v24, 0x7f, v17
	v_mov_b32_e32 v82, 0x7f800001
	s_mov_b32 s19, exec_lo
	v_cmpx_ne_u32_e32 0x7f, v24
	s_cbranch_execz .LBB366_944
; %bb.941:                              ;   in Loop: Header=BB366_10 Depth=1
	v_lshrrev_b32_e32 v82, 3, v24
	v_cmp_gt_u32_e64 s5, 8, v24
	v_mov_b32_e32 v25, v13
	v_mov_b32_e32 v24, v12
	s_and_saveexec_b32 s20, s5
; %bb.942:                              ;   in Loop: Header=BB366_10 Depth=1
	v_and_b32_e32 v24, 7, v17
	v_ffbh_u32_e32 v24, v24
	v_min_u32_e32 v82, 32, v24
	v_subrev_nc_u32_e32 v24, 28, v82
	v_sub_nc_u32_e32 v82, 29, v82
	v_lshlrev_b64 v[24:25], v24, v[12:13]
; %bb.943:                              ;   in Loop: Header=BB366_10 Depth=1
	s_or_b32 exec_lo, exec_lo, s20
	v_lshlrev_b32_e32 v24, 20, v24
	v_lshlrev_b32_e32 v25, 24, v12
	v_lshl_add_u32 v82, v82, 23, 0x3c000000
	v_and_b32_e32 v24, 0x700000, v24
	v_and_b32_e32 v25, 0x80000000, v25
	v_or3_b32 v82, v24, v25, v82
.LBB366_944:                            ;   in Loop: Header=BB366_10 Depth=1
	s_or_b32 exec_lo, exec_lo, s19
.LBB366_945:                            ;   in Loop: Header=BB366_10 Depth=1
	s_or_b32 exec_lo, exec_lo, s18
.LBB366_946:                            ;   in Loop: Header=BB366_10 Depth=1
	s_or_b32 exec_lo, exec_lo, s6
	v_cmp_ne_u16_sdwa s5, v12, v13 src0_sel:BYTE_1 src1_sel:DWORD
	v_mov_b32_e32 v84, 0
	v_mov_b32_e32 v85, 0
	s_and_saveexec_b32 s6, s5
	s_cbranch_execz .LBB366_954
; %bb.947:                              ;   in Loop: Header=BB366_10 Depth=1
	v_mov_b32_e32 v24, 0x80
	v_bfrev_b32_e32 v85, 1
	v_cmp_ne_u16_sdwa s5, v12, v24 src0_sel:BYTE_1 src1_sel:DWORD
	s_and_saveexec_b32 s18, s5
	s_cbranch_execz .LBB366_953
; %bb.948:                              ;   in Loop: Header=BB366_10 Depth=1
	v_mov_b32_e32 v24, 0xffff
	v_mov_b32_e32 v85, 0x7f800001
	s_mov_b32 s19, exec_lo
	v_and_b32_sdwa v24, v24, v12 dst_sel:DWORD dst_unused:UNUSED_PAD src0_sel:DWORD src1_sel:BYTE_1
	v_and_b32_e32 v86, 0x7f, v24
	v_cmpx_ne_u32_e32 0x7f, v86
	s_cbranch_execz .LBB366_952
; %bb.949:                              ;   in Loop: Header=BB366_10 Depth=1
	v_and_b32_e32 v24, 7, v24
	v_mov_b32_e32 v25, v13
	v_lshrrev_b32_e32 v85, 3, v86
	s_mov_b32 s20, exec_lo
	v_cmpx_gt_u32_e32 8, v86
; %bb.950:                              ;   in Loop: Header=BB366_10 Depth=1
	v_ffbh_u32_e32 v85, v24
	v_min_u32_e32 v85, 32, v85
	v_subrev_nc_u32_e32 v86, 28, v85
	v_sub_nc_u32_e32 v85, 29, v85
	v_lshlrev_b64 v[24:25], v86, v[24:25]
	v_and_b32_e32 v24, 7, v24
; %bb.951:                              ;   in Loop: Header=BB366_10 Depth=1
	s_or_b32 exec_lo, exec_lo, s20
	v_lshlrev_b32_e32 v12, 16, v12
	v_lshlrev_b32_e32 v24, 20, v24
	v_lshl_add_u32 v25, v85, 23, 0x3c000000
	v_and_b32_e32 v12, 0x80000000, v12
	v_or3_b32 v85, v24, v12, v25
.LBB366_952:                            ;   in Loop: Header=BB366_10 Depth=1
	s_or_b32 exec_lo, exec_lo, s19
.LBB366_953:                            ;   in Loop: Header=BB366_10 Depth=1
	s_or_b32 exec_lo, exec_lo, s18
.LBB366_954:                            ;   in Loop: Header=BB366_10 Depth=1
	s_or_b32 exec_lo, exec_lo, s6
	v_mov_b32_e32 v12, 0xff
	s_mov_b32 s6, exec_lo
	v_and_b32_sdwa v12, v17, v12 dst_sel:DWORD dst_unused:UNUSED_PAD src0_sel:WORD_1 src1_sel:DWORD
	v_cmpx_ne_u16_e32 0, v12
	s_cbranch_execz .LBB366_962
; %bb.955:                              ;   in Loop: Header=BB366_10 Depth=1
	v_bfrev_b32_e32 v84, 1
	s_mov_b32 s18, exec_lo
	v_cmpx_ne_u16_e32 0x80, v12
	s_cbranch_execz .LBB366_961
; %bb.956:                              ;   in Loop: Header=BB366_10 Depth=1
	v_bfe_u32 v24, v17, 16, 7
	v_mov_b32_e32 v84, 0x7f800001
	s_mov_b32 s19, exec_lo
	v_cmpx_ne_u32_e32 0x7f, v24
	s_cbranch_execz .LBB366_960
; %bb.957:                              ;   in Loop: Header=BB366_10 Depth=1
	v_mov_b32_e32 v12, 7
	v_lshrrev_b32_e32 v84, 3, v24
	v_cmp_gt_u32_e64 s5, 8, v24
	v_and_b32_sdwa v12, v17, v12 dst_sel:DWORD dst_unused:UNUSED_PAD src0_sel:WORD_1 src1_sel:DWORD
	v_mov_b32_e32 v25, v13
	v_mov_b32_e32 v24, v12
	s_and_saveexec_b32 s20, s5
; %bb.958:                              ;   in Loop: Header=BB366_10 Depth=1
	v_ffbh_u32_e32 v24, v12
	v_min_u32_e32 v84, 32, v24
	v_subrev_nc_u32_e32 v24, 28, v84
	v_sub_nc_u32_e32 v84, 29, v84
	v_lshlrev_b64 v[24:25], v24, v[12:13]
	v_and_b32_e32 v24, 7, v24
; %bb.959:                              ;   in Loop: Header=BB366_10 Depth=1
	s_or_b32 exec_lo, exec_lo, s20
	v_mov_b32_e32 v12, 24
	v_lshlrev_b32_e32 v24, 20, v24
	v_lshl_add_u32 v25, v84, 23, 0x3c000000
	v_lshlrev_b32_sdwa v12, v12, v17 dst_sel:DWORD dst_unused:UNUSED_PAD src0_sel:DWORD src1_sel:WORD_1
	v_and_b32_e32 v12, 0x80000000, v12
	v_or3_b32 v84, v24, v12, v25
.LBB366_960:                            ;   in Loop: Header=BB366_10 Depth=1
	s_or_b32 exec_lo, exec_lo, s19
.LBB366_961:                            ;   in Loop: Header=BB366_10 Depth=1
	s_or_b32 exec_lo, exec_lo, s18
.LBB366_962:                            ;   in Loop: Header=BB366_10 Depth=1
	s_or_b32 exec_lo, exec_lo, s6
	v_mov_b32_e32 v15, v30
	v_mov_b32_e32 v86, 0
	buffer_store_dword v103, off, s[0:3], s32 offset:220 ; 4-byte Folded Spill
	v_cmp_lt_u64_e64 s5, s[8:9], v[16:17]
	s_mov_b32 s6, exec_lo
	v_mov_b32_e32 v67, v68
	v_mov_b32_e32 v30, v53
	;; [unrolled: 1-line block ×3, first 2 shown]
	s_and_b32 s5, s6, s5
	s_mov_b32 exec_lo, s5
	s_cbranch_execz .LBB366_9
; %bb.963:                              ;   in Loop: Header=BB366_10 Depth=1
	v_mov_b32_e32 v12, 0x80
	v_bfrev_b32_e32 v86, 1
	v_cmp_ne_u32_sdwa s5, v17, v12 src0_sel:BYTE_3 src1_sel:DWORD
	s_and_saveexec_b32 s18, s5
	s_cbranch_execz .LBB366_8
; %bb.964:                              ;   in Loop: Header=BB366_10 Depth=1
	v_bfe_u32 v24, v17, 24, 7
	v_mov_b32_e32 v86, 0x7f800001
	s_mov_b32 s19, exec_lo
	v_cmpx_ne_u32_e32 0x7f, v24
	s_cbranch_execz .LBB366_7
; %bb.965:                              ;   in Loop: Header=BB366_10 Depth=1
	v_mov_b32_e32 v12, 7
	v_lshrrev_b32_e32 v16, 3, v24
	v_cmp_gt_u32_e64 s5, 8, v24
	v_and_b32_sdwa v12, v17, v12 dst_sel:DWORD dst_unused:UNUSED_PAD src0_sel:BYTE_3 src1_sel:DWORD
	v_mov_b32_e32 v25, v13
	v_mov_b32_e32 v24, v12
	s_and_saveexec_b32 s20, s5
	s_cbranch_execz .LBB366_6
; %bb.966:                              ;   in Loop: Header=BB366_10 Depth=1
	v_ffbh_u32_e32 v16, v12
	v_min_u32_e32 v16, 32, v16
	v_subrev_nc_u32_e32 v24, 28, v16
	v_sub_nc_u32_e32 v16, 29, v16
	v_lshlrev_b64 v[24:25], v24, v[12:13]
	v_and_b32_e32 v24, 7, v24
	s_branch .LBB366_6
.LBB366_967:
	s_or_b32 exec_lo, exec_lo, s17
	s_clause 0xf
	buffer_load_dword v64, off, s[0:3], s32 offset:748
	buffer_load_dword v71, off, s[0:3], s32 offset:752
	;; [unrolled: 1-line block ×16, first 2 shown]
.LBB366_968:
	s_or_b32 exec_lo, exec_lo, s15
	v_mbcnt_lo_u32_b32 v0, -1, 0
	v_max_f32_e32 v4, v103, v103
	s_lshr_b32 s8, s7, 16
	v_xor_b32_e32 v1, 16, v0
	v_xor_b32_e32 v3, 8, v0
	v_cmp_gt_i32_e32 vcc_lo, 32, v1
	v_cndmask_b32_e32 v1, v0, v1, vcc_lo
	v_cmp_gt_i32_e32 vcc_lo, 32, v3
	v_lshlrev_b32_e32 v1, 2, v1
	v_cndmask_b32_e32 v3, v0, v3, vcc_lo
	ds_bpermute_b32 v2, v1, v103
	s_waitcnt lgkmcnt(0)
	v_max_f32_e32 v5, v2, v2
	v_lshlrev_b32_e32 v2, 2, v3
	v_max_f32_e32 v4, v4, v5
	v_xor_b32_e32 v5, 4, v0
	ds_bpermute_b32 v3, v2, v4
	v_cmp_gt_i32_e32 vcc_lo, 32, v5
	v_cndmask_b32_e32 v5, v0, v5, vcc_lo
	s_waitcnt lgkmcnt(0)
	v_max_f32_e32 v6, v3, v3
	v_lshlrev_b32_e32 v3, 2, v5
	v_max_f32_e32 v4, v4, v6
	v_xor_b32_e32 v6, 2, v0
	ds_bpermute_b32 v5, v3, v4
	v_cmp_gt_i32_e32 vcc_lo, 32, v6
	v_cndmask_b32_e32 v6, v0, v6, vcc_lo
	v_lshlrev_b32_e32 v14, 2, v6
	v_xor_b32_e32 v6, 1, v0
	v_cmp_gt_i32_e32 vcc_lo, 32, v6
	s_waitcnt lgkmcnt(0)
	v_max_f32_e32 v5, v5, v5
	v_cndmask_b32_e32 v6, v0, v6, vcc_lo
	s_waitcnt vmcnt(13)
	v_cmp_eq_u32_e32 vcc_lo, 0, v55
	v_max_f32_e32 v4, v4, v5
	v_lshlrev_b32_e32 v17, 2, v6
	ds_bpermute_b32 v5, v14, v4
	s_waitcnt lgkmcnt(0)
	v_max_f32_e32 v5, v5, v5
	v_max_f32_e32 v0, v4, v5
	v_lshlrev_b32_e32 v4, 2, v71
	ds_bpermute_b32 v5, v17, v0
	s_and_saveexec_b32 s5, vcc_lo
	s_cbranch_execz .LBB366_970
; %bb.969:
	s_waitcnt lgkmcnt(0)
	v_max_f32_e32 v5, v5, v5
	v_max_f32_e32 v0, v0, v0
	;; [unrolled: 1-line block ×3, first 2 shown]
	ds_write_b32 v4, v0 offset:240
.LBB366_970:
	s_or_b32 exec_lo, exec_lo, s5
	v_cmp_gt_u32_e64 s5, 4, v55
	v_mov_b32_e32 v0, 0xff7fffff
	s_waitcnt vmcnt(0) lgkmcnt(0)
	s_waitcnt_vscnt null, 0x0
	s_barrier
	buffer_gl0_inv
	s_and_saveexec_b32 s6, s5
; %bb.971:
	ds_read_b32 v0, v27 offset:240
; %bb.972:
	s_or_b32 exec_lo, exec_lo, s6
	s_waitcnt lgkmcnt(0)
	ds_bpermute_b32 v5, v14, v0
	v_max_f32_e32 v0, v0, v0
	v_mov_b32_e32 v6, 0
	s_waitcnt lgkmcnt(0)
	v_max_f32_e32 v5, v5, v5
	v_max_f32_e32 v0, v0, v5
	ds_bpermute_b32 v5, v17, v0
	s_waitcnt lgkmcnt(0)
	v_max_f32_e32 v5, v5, v5
	v_max_f32_e32 v0, v0, v5
	ds_bpermute_b32 v5, v6, v0
	buffer_load_dword v0, off, s[0:3], s32 offset:192 ; 4-byte Folded Reload
	s_waitcnt vmcnt(0)
	v_lshlrev_b32_e32 v0, 5, v0
	v_min_i32_e32 v0, v0, v30
	v_cmp_lt_i32_e64 s6, v64, v0
	s_and_saveexec_b32 s9, s6
	s_cbranch_execz .LBB366_976
; %bb.973:
	s_getpc_b64 s[18:19]
	s_add_u32 s18, s18, llvm.amdgcn.dynlds.offset.table@rel32@lo+4
	s_addc_u32 s19, s19, llvm.amdgcn.dynlds.offset.table@rel32@hi+12
	s_ashr_i32 s17, s16, 31
	v_mov_b32_e32 v6, 0
	s_lshl_b64 s[20:21], s[16:17], 2
	v_mov_b32_e32 v8, v64
	s_add_u32 s18, s18, s20
	s_addc_u32 s19, s19, s21
	s_mov_b32 s15, 0
	s_load_dword s7, s[18:19], 0x0
	s_waitcnt lgkmcnt(0)
	v_lshl_add_u32 v7, v64, 2, s7
	.p2align	6
.LBB366_974:                            ; =>This Inner Loop Header: Depth=1
	ds_read_b32 v9, v7
	v_add_nc_u32_e32 v8, 0x80, v8
	v_cmp_ge_i32_e64 s7, v8, v0
	s_or_b32 s15, s7, s15
	s_waitcnt lgkmcnt(0)
	v_sub_f32_e32 v9, v9, v5
	v_mul_f32_e32 v9, 0x3fb8aa3b, v9
	v_exp_f32_e32 v9, v9
	ds_write_b32 v7, v9
	v_add_f32_e32 v6, v6, v9
	v_add_nc_u32_e32 v7, 0x200, v7
	s_andn2_b32 exec_lo, exec_lo, s15
	s_cbranch_execnz .LBB366_974
; %bb.975:
	s_or_b32 exec_lo, exec_lo, s15
.LBB366_976:
	s_or_b32 exec_lo, exec_lo, s9
	ds_bpermute_b32 v1, v1, v6
	s_waitcnt lgkmcnt(0)
	v_add_f32_e32 v1, v6, v1
	ds_bpermute_b32 v2, v2, v1
	s_waitcnt lgkmcnt(0)
	v_add_f32_e32 v1, v1, v2
	;; [unrolled: 3-line block ×5, first 2 shown]
	s_and_saveexec_b32 s7, vcc_lo
; %bb.977:
	ds_write_b32 v4, v1 offset:256
; %bb.978:
	s_or_b32 exec_lo, exec_lo, s7
	s_waitcnt lgkmcnt(0)
	s_barrier
	buffer_gl0_inv
	s_and_saveexec_b32 s7, s5
; %bb.979:
	ds_read_b32 v1, v27 offset:256
; %bb.980:
	s_or_b32 exec_lo, exec_lo, s7
	s_waitcnt lgkmcnt(0)
	ds_bpermute_b32 v2, v14, v1
	s_waitcnt lgkmcnt(0)
	v_add_f32_e32 v1, v1, v2
	ds_bpermute_b32 v2, v17, v1
	s_waitcnt lgkmcnt(0)
	v_add_f32_e32 v1, v1, v2
	v_mov_b32_e32 v2, 0
	ds_bpermute_b32 v1, v2, v1
	s_and_saveexec_b32 s5, s6
	s_cbranch_execz .LBB366_983
; %bb.981:
	s_waitcnt lgkmcnt(0)
	v_add_f32_e32 v2, 0x358637bd, v1
	s_getpc_b64 s[6:7]
	s_add_u32 s6, s6, llvm.amdgcn.dynlds.offset.table@rel32@lo+4
	s_addc_u32 s7, s7, llvm.amdgcn.dynlds.offset.table@rel32@hi+12
	s_ashr_i32 s17, s16, 31
	s_lshl_b64 s[18:19], s[16:17], 2
	v_div_scale_f32 v1, null, v2, v2, 1.0
	v_div_scale_f32 v5, vcc_lo, 1.0, v2, 1.0
	s_add_u32 s6, s6, s18
	v_rcp_f32_e32 v3, v1
	s_addc_u32 s7, s7, s19
	s_load_dword s6, s[6:7], 0x0
	v_fma_f32 v4, -v1, v3, 1.0
	v_fmac_f32_e32 v3, v4, v3
	v_mul_f32_e32 v4, v5, v3
	v_fma_f32 v6, -v1, v4, v5
	v_fmac_f32_e32 v4, v6, v3
	v_fma_f32 v1, -v1, v4, v5
	v_div_fmas_f32 v3, v1, v3, v4
	s_waitcnt lgkmcnt(0)
	v_lshl_add_u32 v1, v64, 2, s6
	s_mov_b32 s6, 0
	v_div_fixup_f32 v2, v3, v2, 1.0
	v_mov_b32_e32 v3, v64
.LBB366_982:                            ; =>This Inner Loop Header: Depth=1
	ds_read_b32 v4, v1
	v_add_nc_u32_e32 v3, 0x80, v3
	v_cmp_ge_i32_e32 vcc_lo, v3, v0
	s_or_b32 s6, vcc_lo, s6
	s_waitcnt lgkmcnt(0)
	v_mul_f32_e32 v4, v2, v4
	ds_write_b32 v1, v4
	v_add_nc_u32_e32 v1, 0x200, v1
	s_andn2_b32 exec_lo, exec_lo, s6
	s_cbranch_execnz .LBB366_982
.LBB366_983:
	s_or_b32 exec_lo, exec_lo, s5
	s_waitcnt lgkmcnt(0)
	s_barrier
	buffer_gl0_inv
	s_and_saveexec_b32 s5, s4
	s_xor_b32 s4, exec_lo, s5
; %bb.984:
	s_ashr_i32 s17, s16, 31
                                        ; implicit-def: $vgpr0
                                        ; implicit-def: $vgpr30
                                        ; kill: killed $vgpr0
                                        ; implicit-def: $vgpr20
                                        ; implicit-def: $vgpr18
                                        ; implicit-def: $vgpr10
                                        ; implicit-def: $vgpr11
                                        ; implicit-def: $vgpr0
                                        ; kill: killed $vgpr0
                                        ; implicit-def: $vgpr22_vgpr23
                                        ; implicit-def: $vgpr12
                                        ; implicit-def: $vgpr28
                                        ; implicit-def: $vgpr26
                                        ; implicit-def: $vgpr24_vgpr25
; %bb.985:
	s_or_saveexec_b32 s5, s4
	v_mov_b32_e32 v4, s16
	v_mov_b32_e32 v51, 0
	;; [unrolled: 1-line block ×3, first 2 shown]
	v_and_b32_e32 v65, 3, v64
	v_mov_b32_e32 v54, 0
	v_mov_b32_e32 v53, 0
	;; [unrolled: 1-line block ×14, first 2 shown]
	s_xor_b32 exec_lo, exec_lo, s5
	s_cbranch_execz .LBB366_1979
; %bb.986:
	buffer_store_dword v14, off, s[0:3], s32 offset:368 ; 4-byte Folded Spill
	buffer_store_dword v17, off, s[0:3], s32 offset:364 ; 4-byte Folded Spill
	flat_load_dword v55, v[22:23]
	s_getpc_b64 s[6:7]
	s_add_u32 s6, s6, llvm.amdgcn.dynlds.offset.table@rel32@lo+4
	s_addc_u32 s7, s7, llvm.amdgcn.dynlds.offset.table@rel32@hi+12
	s_ashr_i32 s17, s16, 31
	v_lshlrev_b32_e32 v0, 3, v64
	s_lshl_b64 s[18:19], s[16:17], 2
	v_add_co_u32 v2, vcc_lo, v20, v12
	s_add_u32 s6, s6, s18
	s_addc_u32 s7, s7, s19
	v_and_b32_e32 v1, 24, v0
	v_and_b32_e32 v0, 0xf8, v0
	s_load_dword s4, s[6:7], 0x0
	v_add_co_ci_u32_e64 v3, null, v18, v28, vcc_lo
	v_and_b32_e32 v4, 0x7c, v26
	v_add_co_u32 v2, vcc_lo, v2, v0
	v_add_co_ci_u32_e64 v3, null, 0, v3, vcc_lo
	v_lshlrev_b32_e32 v0, 5, v65
	buffer_store_dword v2, off, s[0:3], s32 offset:356 ; 4-byte Folded Spill
	buffer_store_dword v3, off, s[0:3], s32 offset:360 ; 4-byte Folded Spill
	;; [unrolled: 1-line block ×3, first 2 shown]
	v_add_co_u32 v2, vcc_lo, v4, v24
	v_add_co_ci_u32_e64 v3, null, 0, v25, vcc_lo
	v_lshlrev_b32_e32 v4, 5, v71
	v_lshl_or_b32 v0, v71, 7, v0
	v_add_co_u32 v15, vcc_lo, v10, v2
	v_mov_b32_e32 v12, 0
	v_add_co_ci_u32_e64 v16, null, v11, v3, vcc_lo
	v_or3_b32 v64, v4, v1, 7
	s_waitcnt lgkmcnt(0)
	v_add_nc_u32_e32 v65, s4, v0
	v_mov_b32_e32 v66, 0x80
	v_mov_b32_e32 v68, 0xff
	;; [unrolled: 1-line block ×17, first 2 shown]
	s_mov_b32 s6, -1
	s_mov_b32 s7, 0xffffff
	s_mov_b32 s9, 0
	s_branch .LBB366_988
.LBB366_987:                            ;   in Loop: Header=BB366_988 Depth=1
	s_or_b32 exec_lo, exec_lo, s4
	v_bfe_u32 v56, v6, 16, 1
	v_or_b32_e32 v57, 0x400000, v6
	v_cmp_u_f32_e32 vcc_lo, v6, v6
	v_lshlrev_b32_e32 v45, 16, v45
	v_lshlrev_b32_e32 v116, 16, v116
	v_add3_u32 v56, v56, v6, 0x7fff
	v_lshlrev_b32_e32 v118, 16, v118
	v_lshlrev_b32_e32 v114, 16, v114
	;; [unrolled: 1-line block ×4, first 2 shown]
	v_cndmask_b32_e32 v6, v56, v57, vcc_lo
	v_bfe_u32 v56, v7, 16, 1
	v_or_b32_e32 v57, 0x400000, v7
	v_cmp_u_f32_e32 vcc_lo, v7, v7
	v_lshlrev_b32_e32 v113, 16, v113
	v_lshlrev_b32_e32 v119, 16, v119
	v_add3_u32 v56, v56, v7, 0x7fff
	v_lshlrev_b32_e32 v117, 16, v117
	v_lshlrev_b32_e32 v103, 16, v103
	;; [unrolled: 1-line block ×4, first 2 shown]
	v_cndmask_b32_e32 v7, v56, v57, vcc_lo
	v_bfe_u32 v56, v8, 16, 1
	v_or_b32_e32 v57, 0x400000, v8
	v_cmp_u_f32_e32 vcc_lo, v8, v8
	v_lshlrev_b32_e32 v102, 16, v102
	v_lshlrev_b32_e32 v99, 16, v99
	v_add3_u32 v56, v56, v8, 0x7fff
	v_bfe_u32 v8, v9, 16, 1
	v_lshlrev_b32_e32 v100, 16, v100
	v_lshlrev_b32_e32 v70, 16, v70
	;; [unrolled: 1-line block ×3, first 2 shown]
	v_cndmask_b32_e32 v56, v56, v57, vcc_lo
	v_add3_u32 v8, v8, v9, 0x7fff
	v_or_b32_e32 v57, 0x400000, v9
	v_cmp_u_f32_e32 vcc_lo, v9, v9
	v_or_b32_e32 v9, 0x400000, v2
	v_lshlrev_b32_e32 v83, 16, v83
	v_lshlrev_b32_e32 v84, 16, v84
	;; [unrolled: 1-line block ×3, first 2 shown]
	v_cndmask_b32_e32 v57, v8, v57, vcc_lo
	v_bfe_u32 v8, v2, 16, 1
	v_cmp_u_f32_e32 vcc_lo, v2, v2
	v_lshlrev_b32_e32 v25, 16, v25
	v_lshlrev_b32_e32 v13, 16, v13
	;; [unrolled: 1-line block ×3, first 2 shown]
	v_add3_u32 v8, v8, v2, 0x7fff
	v_lshlrev_b32_e32 v32, 16, v32
	v_lshlrev_b32_e32 v26, 16, v26
	;; [unrolled: 1-line block ×4, first 2 shown]
	v_cndmask_b32_e32 v2, v8, v9, vcc_lo
	v_bfe_u32 v8, v3, 16, 1
	v_or_b32_e32 v9, 0x400000, v3
	v_cmp_u_f32_e32 vcc_lo, v3, v3
	v_lshlrev_b32_e32 v18, 16, v18
	v_add_nc_u32_e32 v71, 4, v71
	v_add3_u32 v8, v8, v3, 0x7fff
	v_add_nc_u32_e32 v64, 0x80, v64
	v_add_nc_u32_e32 v65, 0x200, v65
	v_cndmask_b32_e32 v3, v8, v9, vcc_lo
	v_bfe_u32 v8, v4, 16, 1
	v_or_b32_e32 v9, 0x400000, v4
	v_cmp_u_f32_e32 vcc_lo, v4, v4
	v_add3_u32 v8, v8, v4, 0x7fff
	v_bfe_u32 v4, v5, 16, 1
	v_cndmask_b32_e32 v58, v8, v9, vcc_lo
	v_add3_u32 v4, v4, v5, 0x7fff
	v_or_b32_e32 v8, 0x400000, v5
	v_cmp_u_f32_e32 vcc_lo, v5, v5
	v_and_b32_e32 v9, 0xffff0000, v6
	v_cndmask_b32_e32 v59, v4, v8, vcc_lo
	v_and_b32_e32 v8, 0xffff0000, v7
	v_lshlrev_b32_e32 v4, 16, v44
	v_mul_f32_e32 v118, v9, v118
	v_mul_f32_e32 v69, v9, v69
	;; [unrolled: 1-line block ×5, first 2 shown]
	v_bfe_u32 v5, v4, 16, 1
	v_or_b32_e32 v7, 0x400000, v4
	v_cmp_u_f32_e32 vcc_lo, v4, v4
	v_add3_u32 v5, v5, v4, 0x7fff
	v_lshlrev_b32_e32 v4, 16, v46
	v_cndmask_b32_e32 v44, v5, v7, vcc_lo
	v_mul_f32_e32 v4, v9, v4
	v_and_b32_e32 v44, 0xffff0000, v44
	v_bfe_u32 v5, v4, 16, 1
	v_or_b32_e32 v6, 0x400000, v4
	v_cmp_u_f32_e32 vcc_lo, v4, v4
	v_add3_u32 v5, v5, v4, 0x7fff
	v_lshlrev_b32_e32 v4, 16, v42
	v_cndmask_b32_e32 v46, v5, v6, vcc_lo
	v_and_b32_e32 v6, 0xffff0000, v57
	v_and_b32_e32 v46, 0xffff0000, v46
	v_mul_f32_e32 v4, v6, v4
	v_mul_f32_e32 v114, v6, v114
	v_mul_f32_e32 v101, v6, v101
	v_mul_f32_e32 v17, v6, v17
	v_add_f32_e32 v44, v46, v44
	v_bfe_u32 v5, v4, 16, 1
	v_or_b32_e32 v7, 0x400000, v4
	v_cmp_u_f32_e32 vcc_lo, v4, v4
	v_add3_u32 v5, v5, v4, 0x7fff
	v_lshlrev_b32_e32 v4, 16, v43
	v_cndmask_b32_e32 v42, v5, v7, vcc_lo
	v_and_b32_e32 v7, 0xffff0000, v56
	v_and_b32_e32 v42, 0xffff0000, v42
	v_mul_f32_e32 v4, v7, v4
	v_mul_f32_e32 v115, v7, v115
	;; [unrolled: 1-line block ×4, first 2 shown]
	v_bfe_u32 v5, v4, 16, 1
	v_or_b32_e32 v43, 0x400000, v4
	v_cmp_u_f32_e32 vcc_lo, v4, v4
	v_add3_u32 v5, v5, v4, 0x7fff
	v_and_b32_e32 v4, 0xffff0000, v3
	v_lshlrev_b32_e32 v3, 16, v40
	v_cndmask_b32_e32 v43, v5, v43, vcc_lo
	v_mul_f32_e32 v112, v4, v112
	v_mul_f32_e32 v3, v4, v3
	;; [unrolled: 1-line block ×4, first 2 shown]
	v_and_b32_e32 v43, 0xffff0000, v43
	v_mul_f32_e32 v13, v4, v13
	v_bfe_u32 v5, v3, 16, 1
	v_or_b32_e32 v40, 0x400000, v3
	v_cmp_u_f32_e32 vcc_lo, v3, v3
	v_add_f32_e32 v42, v43, v42
	v_mul_f32_e32 v1, v4, v1
	v_add3_u32 v5, v5, v3, 0x7fff
	v_add_f32_e32 v42, v44, v42
	v_cndmask_b32_e32 v40, v5, v40, vcc_lo
	v_and_b32_e32 v5, 0xffff0000, v2
	v_lshlrev_b32_e32 v2, 16, v41
	v_and_b32_e32 v40, 0xffff0000, v40
	v_mul_f32_e32 v113, v5, v113
	v_mul_f32_e32 v2, v5, v2
	;; [unrolled: 1-line block ×6, first 2 shown]
	v_bfe_u32 v3, v2, 16, 1
	v_or_b32_e32 v41, 0x400000, v2
	v_cmp_u_f32_e32 vcc_lo, v2, v2
	v_add3_u32 v3, v3, v2, 0x7fff
	v_and_b32_e32 v2, 0xffff0000, v59
	v_cndmask_b32_e32 v41, v3, v41, vcc_lo
	v_lshlrev_b32_e32 v3, 16, v47
	v_mul_f32_e32 v119, v2, v119
	v_mul_f32_e32 v70, v2, v70
	;; [unrolled: 1-line block ×3, first 2 shown]
	v_and_b32_e32 v41, 0xffff0000, v41
	v_mul_f32_e32 v3, v2, v3
	v_add_f32_e32 v40, v41, v40
	v_bfe_u32 v47, v3, 16, 1
	v_or_b32_e32 v56, 0x400000, v3
	v_cmp_u_f32_e32 vcc_lo, v3, v3
	v_add_f32_e32 v40, v42, v40
	v_add3_u32 v47, v47, v3, 0x7fff
	v_and_b32_e32 v3, 0xffff0000, v58
	v_cndmask_b32_e32 v47, v47, v56, vcc_lo
	v_mul_f32_e32 v45, v3, v45
	v_mul_f32_e32 v117, v3, v117
	;; [unrolled: 1-line block ×4, first 2 shown]
	v_and_b32_e32 v42, 0xffff0000, v47
	v_bfe_u32 v56, v45, 16, 1
	v_or_b32_e32 v57, 0x400000, v45
	v_cmp_u_f32_e32 vcc_lo, v45, v45
	v_mul_f32_e32 v18, v3, v18
	v_add3_u32 v56, v56, v45, 0x7fff
	v_cndmask_b32_e32 v45, v56, v57, vcc_lo
	v_cmp_u_f32_e32 vcc_lo, v116, v116
	v_and_b32_e32 v41, 0xffff0000, v45
	v_add_f32_e32 v41, v41, v42
	v_add_f32_e32 v40, v40, v41
	v_or_b32_e32 v41, 0x400000, v116
	v_add_f32_e32 v33, v33, v40
	v_bfe_u32 v40, v116, 16, 1
	v_add3_u32 v40, v40, v116, 0x7fff
	v_cndmask_b32_e32 v116, v40, v41, vcc_lo
	v_bfe_u32 v40, v118, 16, 1
	v_or_b32_e32 v41, 0x400000, v118
	v_cmp_u_f32_e32 vcc_lo, v118, v118
	v_and_b32_e32 v116, 0xffff0000, v116
	v_add3_u32 v40, v40, v118, 0x7fff
	v_cndmask_b32_e32 v118, v40, v41, vcc_lo
	v_bfe_u32 v40, v114, 16, 1
	v_or_b32_e32 v41, 0x400000, v114
	v_cmp_u_f32_e32 vcc_lo, v114, v114
	v_and_b32_e32 v118, 0xffff0000, v118
	v_add3_u32 v40, v40, v114, 0x7fff
	v_add_f32_e32 v116, v118, v116
	v_cndmask_b32_e32 v114, v40, v41, vcc_lo
	v_bfe_u32 v40, v115, 16, 1
	v_or_b32_e32 v41, 0x400000, v115
	v_cmp_u_f32_e32 vcc_lo, v115, v115
	v_and_b32_e32 v114, 0xffff0000, v114
	v_add3_u32 v40, v40, v115, 0x7fff
	v_cndmask_b32_e32 v115, v40, v41, vcc_lo
	v_bfe_u32 v40, v112, 16, 1
	v_or_b32_e32 v41, 0x400000, v112
	v_cmp_u_f32_e32 vcc_lo, v112, v112
	v_and_b32_e32 v115, 0xffff0000, v115
	v_add3_u32 v40, v40, v112, 0x7fff
	v_add_f32_e32 v114, v115, v114
	v_cndmask_b32_e32 v112, v40, v41, vcc_lo
	v_bfe_u32 v40, v113, 16, 1
	v_or_b32_e32 v41, 0x400000, v113
	v_cmp_u_f32_e32 vcc_lo, v113, v113
	v_add_f32_e32 v114, v116, v114
	v_and_b32_e32 v112, 0xffff0000, v112
	v_add3_u32 v40, v40, v113, 0x7fff
	v_cndmask_b32_e32 v113, v40, v41, vcc_lo
	v_bfe_u32 v40, v119, 16, 1
	v_or_b32_e32 v41, 0x400000, v119
	v_cmp_u_f32_e32 vcc_lo, v119, v119
	v_and_b32_e32 v113, 0xffff0000, v113
	v_add3_u32 v40, v40, v119, 0x7fff
	v_add_f32_e32 v112, v113, v112
	v_cndmask_b32_e32 v119, v40, v41, vcc_lo
	v_bfe_u32 v40, v117, 16, 1
	v_or_b32_e32 v41, 0x400000, v117
	v_cmp_u_f32_e32 vcc_lo, v117, v117
	v_add_f32_e32 v112, v114, v112
	v_and_b32_e32 v114, 0xffff0000, v119
	v_add3_u32 v40, v40, v117, 0x7fff
	v_cndmask_b32_e32 v117, v40, v41, vcc_lo
	v_cmp_u_f32_e32 vcc_lo, v103, v103
	v_and_b32_e32 v113, 0xffff0000, v117
	v_add_f32_e32 v113, v113, v114
	v_add_f32_e32 v112, v112, v113
	v_or_b32_e32 v113, 0x400000, v103
	v_add_f32_e32 v34, v34, v112
	v_bfe_u32 v112, v103, 16, 1
	v_add3_u32 v112, v112, v103, 0x7fff
	v_cndmask_b32_e32 v103, v112, v113, vcc_lo
	v_bfe_u32 v112, v69, 16, 1
	v_or_b32_e32 v113, 0x400000, v69
	v_cmp_u_f32_e32 vcc_lo, v69, v69
	v_and_b32_e32 v103, 0xffff0000, v103
	v_add3_u32 v112, v112, v69, 0x7fff
	v_cndmask_b32_e32 v69, v112, v113, vcc_lo
	v_bfe_u32 v112, v101, 16, 1
	v_or_b32_e32 v113, 0x400000, v101
	v_cmp_u_f32_e32 vcc_lo, v101, v101
	v_and_b32_e32 v69, 0xffff0000, v69
	v_add3_u32 v112, v112, v101, 0x7fff
	v_add_f32_e32 v69, v69, v103
	v_cndmask_b32_e32 v101, v112, v113, vcc_lo
	v_bfe_u32 v112, v102, 16, 1
	v_or_b32_e32 v113, 0x400000, v102
	v_cmp_u_f32_e32 vcc_lo, v102, v102
	v_and_b32_e32 v101, 0xffff0000, v101
	v_add3_u32 v112, v112, v102, 0x7fff
	v_cndmask_b32_e32 v102, v112, v113, vcc_lo
	v_bfe_u32 v112, v99, 16, 1
	v_or_b32_e32 v113, 0x400000, v99
	v_cmp_u_f32_e32 vcc_lo, v99, v99
	v_and_b32_e32 v102, 0xffff0000, v102
	v_add3_u32 v112, v112, v99, 0x7fff
	v_add_f32_e32 v101, v102, v101
	v_cndmask_b32_e32 v99, v112, v113, vcc_lo
	v_bfe_u32 v112, v100, 16, 1
	v_or_b32_e32 v113, 0x400000, v100
	v_cmp_u_f32_e32 vcc_lo, v100, v100
	v_add_f32_e32 v69, v69, v101
	v_and_b32_e32 v99, 0xffff0000, v99
	v_add3_u32 v112, v112, v100, 0x7fff
	v_cndmask_b32_e32 v100, v112, v113, vcc_lo
	v_bfe_u32 v112, v70, 16, 1
	v_or_b32_e32 v113, 0x400000, v70
	v_cmp_u_f32_e32 vcc_lo, v70, v70
	v_and_b32_e32 v100, 0xffff0000, v100
	v_add3_u32 v112, v112, v70, 0x7fff
	v_add_f32_e32 v99, v100, v99
	v_cndmask_b32_e32 v70, v112, v113, vcc_lo
	v_bfe_u32 v112, v67, 16, 1
	v_or_b32_e32 v113, 0x400000, v67
	v_cmp_u_f32_e32 vcc_lo, v67, v67
	v_add_f32_e32 v69, v69, v99
	v_and_b32_e32 v70, 0xffff0000, v70
	v_add3_u32 v112, v112, v67, 0x7fff
	v_cndmask_b32_e32 v67, v112, v113, vcc_lo
	v_and_b32_e32 v67, 0xffff0000, v67
	v_add_f32_e32 v67, v67, v70
	v_add_f32_e32 v67, v69, v67
	;; [unrolled: 1-line block ×3, first 2 shown]
	v_lshlrev_b32_e32 v67, 16, v87
	v_mul_f32_e32 v67, v8, v67
	v_bfe_u32 v69, v67, 16, 1
	v_or_b32_e32 v70, 0x400000, v67
	v_cmp_u_f32_e32 vcc_lo, v67, v67
	v_add3_u32 v69, v69, v67, 0x7fff
	v_cndmask_b32_e32 v67, v69, v70, vcc_lo
	v_lshlrev_b32_e32 v69, 16, v97
	v_and_b32_e32 v67, 0xffff0000, v67
	v_mul_f32_e32 v69, v9, v69
	v_bfe_u32 v70, v69, 16, 1
	v_or_b32_e32 v87, 0x400000, v69
	v_cmp_u_f32_e32 vcc_lo, v69, v69
	v_add3_u32 v70, v70, v69, 0x7fff
	v_cndmask_b32_e32 v69, v70, v87, vcc_lo
	v_lshlrev_b32_e32 v70, 16, v85
	v_and_b32_e32 v69, 0xffff0000, v69
	v_mul_f32_e32 v70, v6, v70
	v_add_f32_e32 v67, v69, v67
	v_bfe_u32 v85, v70, 16, 1
	v_or_b32_e32 v87, 0x400000, v70
	v_cmp_u_f32_e32 vcc_lo, v70, v70
	v_add3_u32 v85, v85, v70, 0x7fff
	v_cndmask_b32_e32 v70, v85, v87, vcc_lo
	v_lshlrev_b32_e32 v85, 16, v86
	v_and_b32_e32 v70, 0xffff0000, v70
	v_mul_f32_e32 v85, v7, v85
	v_bfe_u32 v86, v85, 16, 1
	v_or_b32_e32 v87, 0x400000, v85
	v_cmp_u_f32_e32 vcc_lo, v85, v85
	v_add3_u32 v86, v86, v85, 0x7fff
	v_cndmask_b32_e32 v85, v86, v87, vcc_lo
	v_bfe_u32 v86, v83, 16, 1
	v_or_b32_e32 v87, 0x400000, v83
	v_cmp_u_f32_e32 vcc_lo, v83, v83
	v_and_b32_e32 v69, 0xffff0000, v85
	v_add3_u32 v86, v86, v83, 0x7fff
	v_add_f32_e32 v69, v69, v70
	v_cndmask_b32_e32 v83, v86, v87, vcc_lo
	v_bfe_u32 v86, v84, 16, 1
	v_or_b32_e32 v87, 0x400000, v84
	v_cmp_u_f32_e32 vcc_lo, v84, v84
	v_add_f32_e32 v67, v67, v69
	v_and_b32_e32 v70, 0xffff0000, v83
	v_add3_u32 v86, v86, v84, 0x7fff
	v_cndmask_b32_e32 v84, v86, v87, vcc_lo
	v_lshlrev_b32_e32 v86, 16, v98
	v_and_b32_e32 v69, 0xffff0000, v84
	v_mul_f32_e32 v86, v2, v86
	v_add_f32_e32 v69, v69, v70
	v_bfe_u32 v87, v86, 16, 1
	v_or_b32_e32 v97, 0x400000, v86
	v_cmp_u_f32_e32 vcc_lo, v86, v86
	v_add_f32_e32 v67, v67, v69
	v_add3_u32 v87, v87, v86, 0x7fff
	v_cndmask_b32_e32 v86, v87, v97, vcc_lo
	v_lshlrev_b32_e32 v87, 16, v96
	v_and_b32_e32 v70, 0xffff0000, v86
	v_mul_f32_e32 v87, v3, v87
	v_bfe_u32 v96, v87, 16, 1
	v_or_b32_e32 v97, 0x400000, v87
	v_cmp_u_f32_e32 vcc_lo, v87, v87
	v_add3_u32 v96, v96, v87, 0x7fff
	v_cndmask_b32_e32 v87, v96, v97, vcc_lo
	v_and_b32_e32 v69, 0xffff0000, v87
	v_add_f32_e32 v69, v69, v70
	v_add_f32_e32 v67, v67, v69
	;; [unrolled: 1-line block ×3, first 2 shown]
	v_lshlrev_b32_e32 v67, 16, v80
	v_mul_f32_e32 v67, v8, v67
	v_bfe_u32 v69, v67, 16, 1
	v_or_b32_e32 v70, 0x400000, v67
	v_cmp_u_f32_e32 vcc_lo, v67, v67
	v_add3_u32 v69, v69, v67, 0x7fff
	v_cndmask_b32_e32 v67, v69, v70, vcc_lo
	v_lshlrev_b32_e32 v69, 16, v81
	v_and_b32_e32 v67, 0xffff0000, v67
	v_mul_f32_e32 v69, v9, v69
	v_bfe_u32 v70, v69, 16, 1
	v_or_b32_e32 v80, 0x400000, v69
	v_cmp_u_f32_e32 vcc_lo, v69, v69
	v_add3_u32 v70, v70, v69, 0x7fff
	v_cndmask_b32_e32 v69, v70, v80, vcc_lo
	v_bfe_u32 v70, v17, 16, 1
	v_or_b32_e32 v80, 0x400000, v17
	v_cmp_u_f32_e32 vcc_lo, v17, v17
	v_and_b32_e32 v69, 0xffff0000, v69
	v_add3_u32 v70, v70, v17, 0x7fff
	v_add_f32_e32 v67, v69, v67
	v_cndmask_b32_e32 v17, v70, v80, vcc_lo
	v_bfe_u32 v70, v25, 16, 1
	v_or_b32_e32 v80, 0x400000, v25
	v_cmp_u_f32_e32 vcc_lo, v25, v25
	v_and_b32_e32 v17, 0xffff0000, v17
	v_add3_u32 v70, v70, v25, 0x7fff
	v_cndmask_b32_e32 v25, v70, v80, vcc_lo
	v_bfe_u32 v70, v13, 16, 1
	v_or_b32_e32 v80, 0x400000, v13
	v_cmp_u_f32_e32 vcc_lo, v13, v13
	v_and_b32_e32 v25, 0xffff0000, v25
	v_add3_u32 v70, v70, v13, 0x7fff
	v_add_f32_e32 v17, v25, v17
	v_cndmask_b32_e32 v13, v70, v80, vcc_lo
	v_bfe_u32 v70, v14, 16, 1
	v_or_b32_e32 v80, 0x400000, v14
	v_cmp_u_f32_e32 vcc_lo, v14, v14
	v_add_f32_e32 v17, v67, v17
	v_and_b32_e32 v13, 0xffff0000, v13
	v_add3_u32 v70, v70, v14, 0x7fff
	v_cndmask_b32_e32 v14, v70, v80, vcc_lo
	v_lshlrev_b32_e32 v70, 16, v82
	v_and_b32_e32 v14, 0xffff0000, v14
	v_mul_f32_e32 v70, v2, v70
	v_add_f32_e32 v13, v14, v13
	v_bfe_u32 v80, v70, 16, 1
	v_or_b32_e32 v81, 0x400000, v70
	v_cmp_u_f32_e32 vcc_lo, v70, v70
	v_add_f32_e32 v13, v17, v13
	v_add3_u32 v80, v80, v70, 0x7fff
	v_cndmask_b32_e32 v70, v80, v81, vcc_lo
	v_bfe_u32 v80, v32, 16, 1
	v_or_b32_e32 v81, 0x400000, v32
	v_cmp_u_f32_e32 vcc_lo, v32, v32
	v_and_b32_e32 v17, 0xffff0000, v70
	v_add3_u32 v80, v80, v32, 0x7fff
	v_cndmask_b32_e32 v32, v80, v81, vcc_lo
	v_and_b32_e32 v14, 0xffff0000, v32
	v_add_f32_e32 v14, v14, v17
	v_add_f32_e32 v13, v13, v14
	v_add_f32_e32 v37, v37, v13
	v_lshlrev_b32_e32 v13, 16, v126
	v_mul_f32_e32 v13, v8, v13
	v_bfe_u32 v14, v13, 16, 1
	v_or_b32_e32 v17, 0x400000, v13
	v_cmp_u_f32_e32 vcc_lo, v13, v13
	v_add3_u32 v14, v14, v13, 0x7fff
	v_cndmask_b32_e32 v13, v14, v17, vcc_lo
	v_lshlrev_b32_e32 v14, 16, v127
	v_and_b32_e32 v13, 0xffff0000, v13
	v_mul_f32_e32 v14, v9, v14
	v_bfe_u32 v17, v14, 16, 1
	v_or_b32_e32 v25, 0x400000, v14
	v_cmp_u_f32_e32 vcc_lo, v14, v14
	v_add3_u32 v17, v17, v14, 0x7fff
	v_cndmask_b32_e32 v14, v17, v25, vcc_lo
	v_lshlrev_b32_e32 v17, 16, v123
	v_and_b32_e32 v14, 0xffff0000, v14
	v_mul_f32_e32 v17, v6, v17
	v_add_f32_e32 v13, v14, v13
	v_bfe_u32 v25, v17, 16, 1
	v_or_b32_e32 v32, 0x400000, v17
	v_cmp_u_f32_e32 vcc_lo, v17, v17
	v_add3_u32 v25, v25, v17, 0x7fff
	v_cndmask_b32_e32 v17, v25, v32, vcc_lo
	v_lshlrev_b32_e32 v25, 16, v124
	v_and_b32_e32 v17, 0xffff0000, v17
	v_mul_f32_e32 v25, v7, v25
	v_bfe_u32 v32, v25, 16, 1
	v_or_b32_e32 v67, 0x400000, v25
	v_cmp_u_f32_e32 vcc_lo, v25, v25
	v_add3_u32 v32, v32, v25, 0x7fff
	v_cndmask_b32_e32 v25, v32, v67, vcc_lo
	v_lshlrev_b32_e32 v32, 16, v121
	v_and_b32_e32 v14, 0xffff0000, v25
	v_mul_f32_e32 v32, v4, v32
	v_add_f32_e32 v14, v14, v17
	v_bfe_u32 v67, v32, 16, 1
	v_or_b32_e32 v69, 0x400000, v32
	v_cmp_u_f32_e32 vcc_lo, v32, v32
	v_add_f32_e32 v13, v13, v14
	v_add3_u32 v67, v67, v32, 0x7fff
	v_cndmask_b32_e32 v32, v67, v69, vcc_lo
	v_lshlrev_b32_e32 v67, 16, v122
	v_and_b32_e32 v17, 0xffff0000, v32
	v_mul_f32_e32 v67, v5, v67
	v_bfe_u32 v69, v67, 16, 1
	v_or_b32_e32 v70, 0x400000, v67
	v_cmp_u_f32_e32 vcc_lo, v67, v67
	v_add3_u32 v69, v69, v67, 0x7fff
	v_cndmask_b32_e32 v67, v69, v70, vcc_lo
	v_bfe_u32 v69, v26, 16, 1
	v_or_b32_e32 v70, 0x400000, v26
	v_cmp_u_f32_e32 vcc_lo, v26, v26
	v_and_b32_e32 v14, 0xffff0000, v67
	v_add3_u32 v69, v69, v26, 0x7fff
	v_add_f32_e32 v14, v14, v17
	v_cndmask_b32_e32 v26, v69, v70, vcc_lo
	v_lshlrev_b32_e32 v69, 16, v125
	v_add_f32_e32 v13, v13, v14
	v_and_b32_e32 v17, 0xffff0000, v26
	v_mul_f32_e32 v69, v3, v69
	v_bfe_u32 v70, v69, 16, 1
	v_or_b32_e32 v80, 0x400000, v69
	v_cmp_u_f32_e32 vcc_lo, v69, v69
	v_add3_u32 v70, v70, v69, 0x7fff
	v_cndmask_b32_e32 v69, v70, v80, vcc_lo
	v_and_b32_e32 v14, 0xffff0000, v69
	v_add_f32_e32 v14, v14, v17
	v_add_f32_e32 v13, v13, v14
	;; [unrolled: 1-line block ×3, first 2 shown]
	v_lshlrev_b32_e32 v13, 16, v110
	v_mul_f32_e32 v13, v8, v13
	v_bfe_u32 v14, v13, 16, 1
	v_or_b32_e32 v17, 0x400000, v13
	v_cmp_u_f32_e32 vcc_lo, v13, v13
	v_add3_u32 v14, v14, v13, 0x7fff
	v_cndmask_b32_e32 v13, v14, v17, vcc_lo
	v_lshlrev_b32_e32 v14, 16, v111
	v_and_b32_e32 v13, 0xffff0000, v13
	v_mul_f32_e32 v14, v9, v14
	v_bfe_u32 v17, v14, 16, 1
	v_or_b32_e32 v25, 0x400000, v14
	v_cmp_u_f32_e32 vcc_lo, v14, v14
	v_add3_u32 v17, v17, v14, 0x7fff
	v_cndmask_b32_e32 v14, v17, v25, vcc_lo
	v_lshlrev_b32_e32 v17, 16, v107
	v_and_b32_e32 v14, 0xffff0000, v14
	v_mul_f32_e32 v17, v6, v17
	v_add_f32_e32 v13, v14, v13
	v_bfe_u32 v25, v17, 16, 1
	v_or_b32_e32 v26, 0x400000, v17
	v_cmp_u_f32_e32 vcc_lo, v17, v17
	v_add3_u32 v25, v25, v17, 0x7fff
	v_cndmask_b32_e32 v17, v25, v26, vcc_lo
	v_lshlrev_b32_e32 v25, 16, v108
	v_and_b32_e32 v17, 0xffff0000, v17
	v_mul_f32_e32 v25, v7, v25
	v_bfe_u32 v26, v25, 16, 1
	v_or_b32_e32 v32, 0x400000, v25
	v_cmp_u_f32_e32 vcc_lo, v25, v25
	v_add3_u32 v26, v26, v25, 0x7fff
	v_cndmask_b32_e32 v25, v26, v32, vcc_lo
	v_lshlrev_b32_e32 v26, 16, v105
	v_and_b32_e32 v14, 0xffff0000, v25
	v_mul_f32_e32 v26, v4, v26
	v_add_f32_e32 v14, v14, v17
	v_bfe_u32 v32, v26, 16, 1
	v_or_b32_e32 v67, 0x400000, v26
	v_cmp_u_f32_e32 vcc_lo, v26, v26
	v_add_f32_e32 v13, v13, v14
	v_add3_u32 v32, v32, v26, 0x7fff
	v_cndmask_b32_e32 v26, v32, v67, vcc_lo
	v_lshlrev_b32_e32 v32, 16, v106
	v_and_b32_e32 v17, 0xffff0000, v26
	v_mul_f32_e32 v32, v5, v32
	v_bfe_u32 v67, v32, 16, 1
	v_or_b32_e32 v69, 0x400000, v32
	v_cmp_u_f32_e32 vcc_lo, v32, v32
	v_add3_u32 v67, v67, v32, 0x7fff
	v_cndmask_b32_e32 v32, v67, v69, vcc_lo
	v_lshlrev_b32_e32 v67, 16, v120
	v_and_b32_e32 v14, 0xffff0000, v32
	v_mul_f32_e32 v67, v2, v67
	v_add_f32_e32 v14, v14, v17
	v_bfe_u32 v69, v67, 16, 1
	v_or_b32_e32 v70, 0x400000, v67
	v_cmp_u_f32_e32 vcc_lo, v67, v67
	v_add_f32_e32 v13, v13, v14
	v_add3_u32 v69, v69, v67, 0x7fff
	v_cndmask_b32_e32 v67, v69, v70, vcc_lo
	v_lshlrev_b32_e32 v69, 16, v109
	v_and_b32_e32 v17, 0xffff0000, v67
	v_mul_f32_e32 v69, v3, v69
	v_bfe_u32 v70, v69, 16, 1
	v_or_b32_e32 v80, 0x400000, v69
	v_cmp_u_f32_e32 vcc_lo, v69, v69
	v_add3_u32 v70, v70, v69, 0x7fff
	v_cndmask_b32_e32 v69, v70, v80, vcc_lo
	v_and_b32_e32 v14, 0xffff0000, v69
	v_add_f32_e32 v14, v14, v17
	v_add_f32_e32 v13, v13, v14
	;; [unrolled: 1-line block ×3, first 2 shown]
	v_lshlrev_b32_e32 v13, 16, v104
	v_mul_f32_e32 v13, v8, v13
	v_bfe_u32 v14, v13, 16, 1
	v_or_b32_e32 v17, 0x400000, v13
	v_cmp_u_f32_e32 vcc_lo, v13, v13
	v_add3_u32 v14, v14, v13, 0x7fff
	v_cndmask_b32_e32 v13, v14, v17, vcc_lo
	v_lshlrev_b32_e32 v14, 16, v95
	v_and_b32_e32 v13, 0xffff0000, v13
	v_mul_f32_e32 v14, v9, v14
	v_bfe_u32 v17, v14, 16, 1
	v_or_b32_e32 v25, 0x400000, v14
	v_cmp_u_f32_e32 vcc_lo, v14, v14
	v_add3_u32 v17, v17, v14, 0x7fff
	v_cndmask_b32_e32 v14, v17, v25, vcc_lo
	v_lshlrev_b32_e32 v17, 16, v29
	v_and_b32_e32 v14, 0xffff0000, v14
	v_mul_f32_e32 v17, v6, v17
	v_add_f32_e32 v13, v14, v13
	v_bfe_u32 v25, v17, 16, 1
	v_or_b32_e32 v26, 0x400000, v17
	v_cmp_u_f32_e32 vcc_lo, v17, v17
	v_add3_u32 v25, v25, v17, 0x7fff
	v_cndmask_b32_e32 v17, v25, v26, vcc_lo
	v_lshlrev_b32_e32 v25, 16, v31
	v_and_b32_e32 v17, 0xffff0000, v17
	v_mul_f32_e32 v25, v7, v25
	v_bfe_u32 v26, v25, 16, 1
	v_or_b32_e32 v29, 0x400000, v25
	v_cmp_u_f32_e32 vcc_lo, v25, v25
	v_add3_u32 v26, v26, v25, 0x7fff
	v_cndmask_b32_e32 v25, v26, v29, vcc_lo
	v_bfe_u32 v26, v1, 16, 1
	v_or_b32_e32 v29, 0x400000, v1
	v_cmp_u_f32_e32 vcc_lo, v1, v1
	v_and_b32_e32 v14, 0xffff0000, v25
	v_add3_u32 v26, v26, v1, 0x7fff
	v_add_f32_e32 v14, v14, v17
	v_cndmask_b32_e32 v1, v26, v29, vcc_lo
	v_bfe_u32 v26, v0, 16, 1
	v_or_b32_e32 v29, 0x400000, v0
	v_cmp_u_f32_e32 vcc_lo, v0, v0
	v_add_f32_e32 v13, v13, v14
	v_and_b32_e32 v1, 0xffff0000, v1
	v_add3_u32 v26, v26, v0, 0x7fff
	v_cndmask_b32_e32 v0, v26, v29, vcc_lo
	v_lshlrev_b32_e32 v26, 16, v28
	v_and_b32_e32 v0, 0xffff0000, v0
	v_mul_f32_e32 v26, v2, v26
	v_add_f32_e32 v0, v0, v1
	v_bfe_u32 v28, v26, 16, 1
	v_or_b32_e32 v29, 0x400000, v26
	v_cmp_u_f32_e32 vcc_lo, v26, v26
	v_add_f32_e32 v0, v13, v0
	v_add3_u32 v28, v28, v26, 0x7fff
	v_cndmask_b32_e32 v26, v28, v29, vcc_lo
	v_bfe_u32 v28, v18, 16, 1
	v_or_b32_e32 v29, 0x400000, v18
	v_cmp_u_f32_e32 vcc_lo, v18, v18
	v_and_b32_e32 v13, 0xffff0000, v26
	v_add3_u32 v28, v28, v18, 0x7fff
	v_cndmask_b32_e32 v18, v28, v29, vcc_lo
	v_and_b32_e32 v1, 0xffff0000, v18
	v_add_f32_e32 v1, v1, v13
	v_add_f32_e32 v0, v0, v1
	;; [unrolled: 1-line block ×3, first 2 shown]
	v_lshlrev_b32_e32 v0, 16, v94
	v_mul_f32_e32 v0, v8, v0
	v_bfe_u32 v1, v0, 16, 1
	v_or_b32_e32 v13, 0x400000, v0
	v_cmp_u_f32_e32 vcc_lo, v0, v0
	v_add3_u32 v1, v1, v0, 0x7fff
	v_cndmask_b32_e32 v0, v1, v13, vcc_lo
	v_lshlrev_b32_e32 v1, 16, v93
	v_and_b32_e32 v0, 0xffff0000, v0
	v_mul_f32_e32 v1, v9, v1
	v_bfe_u32 v13, v1, 16, 1
	v_or_b32_e32 v14, 0x400000, v1
	v_cmp_u_f32_e32 vcc_lo, v1, v1
	v_add3_u32 v13, v13, v1, 0x7fff
	v_cndmask_b32_e32 v1, v13, v14, vcc_lo
	v_lshlrev_b32_e32 v13, 16, v91
	v_and_b32_e32 v1, 0xffff0000, v1
	v_mul_f32_e32 v13, v6, v13
	v_add_f32_e32 v0, v1, v0
	v_bfe_u32 v14, v13, 16, 1
	v_or_b32_e32 v17, 0x400000, v13
	v_cmp_u_f32_e32 vcc_lo, v13, v13
	v_add3_u32 v14, v14, v13, 0x7fff
	v_cndmask_b32_e32 v13, v14, v17, vcc_lo
	v_lshlrev_b32_e32 v14, 16, v92
	v_and_b32_e32 v13, 0xffff0000, v13
	v_mul_f32_e32 v14, v7, v14
	v_bfe_u32 v17, v14, 16, 1
	v_or_b32_e32 v18, 0x400000, v14
	v_cmp_u_f32_e32 vcc_lo, v14, v14
	v_add3_u32 v17, v17, v14, 0x7fff
	v_cndmask_b32_e32 v14, v17, v18, vcc_lo
	v_lshlrev_b32_e32 v17, 16, v88
	v_and_b32_e32 v1, 0xffff0000, v14
	v_mul_f32_e32 v17, v4, v17
	v_add_f32_e32 v1, v1, v13
	v_bfe_u32 v18, v17, 16, 1
	v_or_b32_e32 v25, 0x400000, v17
	v_cmp_u_f32_e32 vcc_lo, v17, v17
	v_add_f32_e32 v0, v0, v1
	v_add3_u32 v18, v18, v17, 0x7fff
	v_cndmask_b32_e32 v17, v18, v25, vcc_lo
	v_lshlrev_b32_e32 v18, 16, v79
	v_and_b32_e32 v13, 0xffff0000, v17
	v_mul_f32_e32 v18, v5, v18
	v_bfe_u32 v25, v18, 16, 1
	v_or_b32_e32 v26, 0x400000, v18
	v_cmp_u_f32_e32 vcc_lo, v18, v18
	v_add3_u32 v25, v25, v18, 0x7fff
	v_cndmask_b32_e32 v18, v25, v26, vcc_lo
	v_lshlrev_b32_e32 v25, 16, v90
	v_and_b32_e32 v1, 0xffff0000, v18
	v_mul_f32_e32 v25, v2, v25
	v_add_f32_e32 v1, v1, v13
	v_bfe_u32 v26, v25, 16, 1
	v_or_b32_e32 v28, 0x400000, v25
	v_cmp_u_f32_e32 vcc_lo, v25, v25
	v_add_f32_e32 v0, v0, v1
	v_add3_u32 v26, v26, v25, 0x7fff
	v_cndmask_b32_e32 v25, v26, v28, vcc_lo
	v_lshlrev_b32_e32 v26, 16, v89
	v_and_b32_e32 v13, 0xffff0000, v25
	v_mul_f32_e32 v26, v3, v26
	v_bfe_u32 v28, v26, 16, 1
	v_or_b32_e32 v29, 0x400000, v26
	v_cmp_u_f32_e32 vcc_lo, v26, v26
	v_add3_u32 v28, v28, v26, 0x7fff
	v_cndmask_b32_e32 v26, v28, v29, vcc_lo
	v_and_b32_e32 v1, 0xffff0000, v26
	v_add_f32_e32 v1, v1, v13
	v_add_f32_e32 v0, v0, v1
	;; [unrolled: 1-line block ×3, first 2 shown]
	v_lshlrev_b32_e32 v0, 16, v78
	v_mul_f32_e32 v0, v8, v0
	v_bfe_u32 v1, v0, 16, 1
	v_or_b32_e32 v13, 0x400000, v0
	v_cmp_u_f32_e32 vcc_lo, v0, v0
	v_add3_u32 v1, v1, v0, 0x7fff
	v_cndmask_b32_e32 v0, v1, v13, vcc_lo
	v_lshlrev_b32_e32 v1, 16, v77
	v_and_b32_e32 v0, 0xffff0000, v0
	v_mul_f32_e32 v1, v9, v1
	v_bfe_u32 v13, v1, 16, 1
	v_or_b32_e32 v14, 0x400000, v1
	v_cmp_u_f32_e32 vcc_lo, v1, v1
	v_add3_u32 v13, v13, v1, 0x7fff
	v_cndmask_b32_e32 v1, v13, v14, vcc_lo
	buffer_load_dword v13, off, s[0:3], s32 offset:348 ; 4-byte Folded Reload
	v_and_b32_e32 v1, 0xffff0000, v1
	v_add_f32_e32 v0, v1, v0
	s_waitcnt vmcnt(0)
	v_lshlrev_b32_e32 v13, 16, v13
	v_mul_f32_e32 v13, v6, v13
	v_bfe_u32 v14, v13, 16, 1
	v_or_b32_e32 v17, 0x400000, v13
	v_cmp_u_f32_e32 vcc_lo, v13, v13
	v_add3_u32 v14, v14, v13, 0x7fff
	v_cndmask_b32_e32 v13, v14, v17, vcc_lo
	v_lshlrev_b32_e32 v14, 16, v76
	v_and_b32_e32 v13, 0xffff0000, v13
	v_mul_f32_e32 v14, v7, v14
	v_bfe_u32 v17, v14, 16, 1
	v_or_b32_e32 v18, 0x400000, v14
	v_cmp_u_f32_e32 vcc_lo, v14, v14
	v_add3_u32 v17, v17, v14, 0x7fff
	v_cndmask_b32_e32 v14, v17, v18, vcc_lo
	buffer_load_dword v17, off, s[0:3], s32 offset:336 ; 4-byte Folded Reload
	v_and_b32_e32 v1, 0xffff0000, v14
	v_add_f32_e32 v1, v1, v13
	v_add_f32_e32 v0, v0, v1
	s_waitcnt vmcnt(0)
	v_lshlrev_b32_e32 v17, 16, v17
	v_mul_f32_e32 v17, v4, v17
	v_bfe_u32 v18, v17, 16, 1
	v_or_b32_e32 v25, 0x400000, v17
	v_cmp_u_f32_e32 vcc_lo, v17, v17
	v_add3_u32 v18, v18, v17, 0x7fff
	v_cndmask_b32_e32 v17, v18, v25, vcc_lo
	buffer_load_dword v18, off, s[0:3], s32 offset:332 ; 4-byte Folded Reload
	v_and_b32_e32 v13, 0xffff0000, v17
	s_waitcnt vmcnt(0)
	v_lshlrev_b32_e32 v18, 16, v18
	v_mul_f32_e32 v18, v5, v18
	v_bfe_u32 v25, v18, 16, 1
	v_or_b32_e32 v26, 0x400000, v18
	v_cmp_u_f32_e32 vcc_lo, v18, v18
	v_add3_u32 v25, v25, v18, 0x7fff
	v_cndmask_b32_e32 v18, v25, v26, vcc_lo
	buffer_load_dword v25, off, s[0:3], s32 offset:344 ; 4-byte Folded Reload
	v_and_b32_e32 v1, 0xffff0000, v18
	v_add_f32_e32 v1, v1, v13
	v_add_f32_e32 v0, v0, v1
	s_waitcnt vmcnt(0)
	v_lshlrev_b32_e32 v25, 16, v25
	v_mul_f32_e32 v25, v2, v25
	v_bfe_u32 v26, v25, 16, 1
	v_or_b32_e32 v28, 0x400000, v25
	v_cmp_u_f32_e32 vcc_lo, v25, v25
	v_add3_u32 v26, v26, v25, 0x7fff
	v_cndmask_b32_e32 v25, v26, v28, vcc_lo
	buffer_load_dword v26, off, s[0:3], s32 offset:340 ; 4-byte Folded Reload
	v_and_b32_e32 v13, 0xffff0000, v25
	s_waitcnt vmcnt(0)
	v_lshlrev_b32_e32 v26, 16, v26
	v_mul_f32_e32 v26, v3, v26
	v_bfe_u32 v28, v26, 16, 1
	v_or_b32_e32 v29, 0x400000, v26
	v_cmp_u_f32_e32 vcc_lo, v26, v26
	v_add3_u32 v28, v28, v26, 0x7fff
	v_cndmask_b32_e32 v26, v28, v29, vcc_lo
	v_and_b32_e32 v1, 0xffff0000, v26
	v_add_f32_e32 v1, v1, v13
	v_add_f32_e32 v0, v0, v1
	v_add_f32_e32 v50, v50, v0
	buffer_load_dword v0, off, s[0:3], s32 offset:328 ; 4-byte Folded Reload
	s_waitcnt vmcnt(0)
	v_lshlrev_b32_e32 v0, 16, v0
	v_mul_f32_e32 v0, v8, v0
	v_bfe_u32 v1, v0, 16, 1
	v_or_b32_e32 v13, 0x400000, v0
	v_cmp_u_f32_e32 vcc_lo, v0, v0
	v_add3_u32 v1, v1, v0, 0x7fff
	v_cndmask_b32_e32 v0, v1, v13, vcc_lo
	buffer_load_dword v1, off, s[0:3], s32 offset:324 ; 4-byte Folded Reload
	v_and_b32_e32 v0, 0xffff0000, v0
	s_waitcnt vmcnt(0)
	v_lshlrev_b32_e32 v1, 16, v1
	v_mul_f32_e32 v1, v9, v1
	v_bfe_u32 v13, v1, 16, 1
	v_or_b32_e32 v14, 0x400000, v1
	v_cmp_u_f32_e32 vcc_lo, v1, v1
	v_add3_u32 v13, v13, v1, 0x7fff
	v_cndmask_b32_e32 v1, v13, v14, vcc_lo
	buffer_load_dword v13, off, s[0:3], s32 offset:316 ; 4-byte Folded Reload
	v_and_b32_e32 v1, 0xffff0000, v1
	v_add_f32_e32 v0, v1, v0
	s_waitcnt vmcnt(0)
	v_lshlrev_b32_e32 v13, 16, v13
	v_mul_f32_e32 v13, v6, v13
	v_bfe_u32 v14, v13, 16, 1
	v_or_b32_e32 v17, 0x400000, v13
	v_cmp_u_f32_e32 vcc_lo, v13, v13
	v_add3_u32 v14, v14, v13, 0x7fff
	v_cndmask_b32_e32 v13, v14, v17, vcc_lo
	buffer_load_dword v14, off, s[0:3], s32 offset:320 ; 4-byte Folded Reload
	v_and_b32_e32 v13, 0xffff0000, v13
	s_waitcnt vmcnt(0)
	v_lshlrev_b32_e32 v14, 16, v14
	v_mul_f32_e32 v14, v7, v14
	v_bfe_u32 v17, v14, 16, 1
	v_or_b32_e32 v18, 0x400000, v14
	v_cmp_u_f32_e32 vcc_lo, v14, v14
	v_add3_u32 v17, v17, v14, 0x7fff
	v_cndmask_b32_e32 v14, v17, v18, vcc_lo
	buffer_load_dword v17, off, s[0:3], s32 offset:312 ; 4-byte Folded Reload
	v_and_b32_e32 v1, 0xffff0000, v14
	v_add_f32_e32 v1, v1, v13
	v_add_f32_e32 v0, v0, v1
	s_waitcnt vmcnt(0)
	v_lshlrev_b32_e32 v17, 16, v17
	v_mul_f32_e32 v17, v4, v17
	v_bfe_u32 v18, v17, 16, 1
	v_or_b32_e32 v25, 0x400000, v17
	v_cmp_u_f32_e32 vcc_lo, v17, v17
	v_add3_u32 v18, v18, v17, 0x7fff
	v_cndmask_b32_e32 v17, v18, v25, vcc_lo
	buffer_load_dword v18, off, s[0:3], s32 offset:304 ; 4-byte Folded Reload
	v_and_b32_e32 v13, 0xffff0000, v17
	s_waitcnt vmcnt(0)
	v_lshlrev_b32_e32 v18, 16, v18
	v_mul_f32_e32 v18, v5, v18
	v_bfe_u32 v25, v18, 16, 1
	v_or_b32_e32 v26, 0x400000, v18
	v_cmp_u_f32_e32 vcc_lo, v18, v18
	v_add3_u32 v25, v25, v18, 0x7fff
	v_cndmask_b32_e32 v18, v25, v26, vcc_lo
	buffer_load_dword v25, off, s[0:3], s32 offset:308 ; 4-byte Folded Reload
	v_and_b32_e32 v1, 0xffff0000, v18
	v_add_f32_e32 v1, v1, v13
	v_add_f32_e32 v0, v0, v1
	s_waitcnt vmcnt(0)
	v_lshlrev_b32_e32 v25, 16, v25
	v_mul_f32_e32 v25, v2, v25
	v_bfe_u32 v26, v25, 16, 1
	v_or_b32_e32 v28, 0x400000, v25
	v_cmp_u_f32_e32 vcc_lo, v25, v25
	v_add3_u32 v26, v26, v25, 0x7fff
	v_cndmask_b32_e32 v25, v26, v28, vcc_lo
	buffer_load_dword v26, off, s[0:3], s32 offset:300 ; 4-byte Folded Reload
	v_and_b32_e32 v13, 0xffff0000, v25
	s_waitcnt vmcnt(0)
	v_lshlrev_b32_e32 v26, 16, v26
	v_mul_f32_e32 v26, v3, v26
	v_bfe_u32 v28, v26, 16, 1
	v_or_b32_e32 v29, 0x400000, v26
	v_cmp_u_f32_e32 vcc_lo, v26, v26
	v_add3_u32 v28, v28, v26, 0x7fff
	v_cndmask_b32_e32 v26, v28, v29, vcc_lo
	v_and_b32_e32 v1, 0xffff0000, v26
	v_add_f32_e32 v1, v1, v13
	v_add_f32_e32 v0, v0, v1
	;; [unrolled: 1-line block ×3, first 2 shown]
	buffer_load_dword v0, off, s[0:3], s32 offset:296 ; 4-byte Folded Reload
	s_waitcnt vmcnt(0)
	v_lshlrev_b32_e32 v0, 16, v0
	v_mul_f32_e32 v0, v8, v0
	v_bfe_u32 v1, v0, 16, 1
	v_or_b32_e32 v13, 0x400000, v0
	v_cmp_u_f32_e32 vcc_lo, v0, v0
	v_add3_u32 v1, v1, v0, 0x7fff
	v_cndmask_b32_e32 v0, v1, v13, vcc_lo
	buffer_load_dword v1, off, s[0:3], s32 offset:292 ; 4-byte Folded Reload
	v_and_b32_e32 v0, 0xffff0000, v0
	s_waitcnt vmcnt(0)
	v_lshlrev_b32_e32 v1, 16, v1
	v_mul_f32_e32 v1, v9, v1
	v_bfe_u32 v13, v1, 16, 1
	v_or_b32_e32 v14, 0x400000, v1
	v_cmp_u_f32_e32 vcc_lo, v1, v1
	v_add3_u32 v13, v13, v1, 0x7fff
	v_cndmask_b32_e32 v1, v13, v14, vcc_lo
	buffer_load_dword v13, off, s[0:3], s32 offset:288 ; 4-byte Folded Reload
	v_and_b32_e32 v1, 0xffff0000, v1
	v_add_f32_e32 v0, v1, v0
	s_waitcnt vmcnt(0)
	v_lshlrev_b32_e32 v13, 16, v13
	v_mul_f32_e32 v13, v6, v13
	v_bfe_u32 v14, v13, 16, 1
	v_or_b32_e32 v17, 0x400000, v13
	v_cmp_u_f32_e32 vcc_lo, v13, v13
	v_add3_u32 v14, v14, v13, 0x7fff
	v_cndmask_b32_e32 v13, v14, v17, vcc_lo
	buffer_load_dword v14, off, s[0:3], s32 offset:284 ; 4-byte Folded Reload
	v_and_b32_e32 v13, 0xffff0000, v13
	s_waitcnt vmcnt(0)
	v_lshlrev_b32_e32 v14, 16, v14
	v_mul_f32_e32 v14, v7, v14
	v_bfe_u32 v17, v14, 16, 1
	v_or_b32_e32 v18, 0x400000, v14
	v_cmp_u_f32_e32 vcc_lo, v14, v14
	v_add3_u32 v17, v17, v14, 0x7fff
	v_cndmask_b32_e32 v14, v17, v18, vcc_lo
	buffer_load_dword v17, off, s[0:3], s32 offset:280 ; 4-byte Folded Reload
	v_and_b32_e32 v1, 0xffff0000, v14
	v_add_f32_e32 v1, v1, v13
	v_add_f32_e32 v0, v0, v1
	s_waitcnt vmcnt(0)
	v_lshlrev_b32_e32 v17, 16, v17
	v_mul_f32_e32 v17, v4, v17
	v_bfe_u32 v18, v17, 16, 1
	v_or_b32_e32 v25, 0x400000, v17
	v_cmp_u_f32_e32 vcc_lo, v17, v17
	v_add3_u32 v18, v18, v17, 0x7fff
	v_cndmask_b32_e32 v17, v18, v25, vcc_lo
	buffer_load_dword v18, off, s[0:3], s32 offset:276 ; 4-byte Folded Reload
	v_and_b32_e32 v13, 0xffff0000, v17
	s_waitcnt vmcnt(0)
	v_lshlrev_b32_e32 v18, 16, v18
	v_mul_f32_e32 v18, v5, v18
	v_bfe_u32 v25, v18, 16, 1
	v_or_b32_e32 v26, 0x400000, v18
	v_cmp_u_f32_e32 vcc_lo, v18, v18
	v_add3_u32 v25, v25, v18, 0x7fff
	v_cndmask_b32_e32 v18, v25, v26, vcc_lo
	buffer_load_dword v25, off, s[0:3], s32 offset:272 ; 4-byte Folded Reload
	v_and_b32_e32 v1, 0xffff0000, v18
	v_add_f32_e32 v1, v1, v13
	v_add_f32_e32 v0, v0, v1
	s_waitcnt vmcnt(0)
	v_lshlrev_b32_e32 v25, 16, v25
	v_mul_f32_e32 v25, v2, v25
	v_bfe_u32 v26, v25, 16, 1
	v_or_b32_e32 v28, 0x400000, v25
	v_cmp_u_f32_e32 vcc_lo, v25, v25
	v_add3_u32 v26, v26, v25, 0x7fff
	v_cndmask_b32_e32 v25, v26, v28, vcc_lo
	buffer_load_dword v26, off, s[0:3], s32 offset:268 ; 4-byte Folded Reload
	v_and_b32_e32 v13, 0xffff0000, v25
	s_waitcnt vmcnt(0)
	v_lshlrev_b32_e32 v26, 16, v26
	v_mul_f32_e32 v26, v3, v26
	v_bfe_u32 v28, v26, 16, 1
	v_or_b32_e32 v29, 0x400000, v26
	v_cmp_u_f32_e32 vcc_lo, v26, v26
	v_add3_u32 v28, v28, v26, 0x7fff
	v_cndmask_b32_e32 v26, v28, v29, vcc_lo
	v_and_b32_e32 v1, 0xffff0000, v26
	v_add_f32_e32 v1, v1, v13
	v_add_f32_e32 v0, v0, v1
	;; [unrolled: 1-line block ×3, first 2 shown]
	buffer_load_dword v0, off, s[0:3], s32 offset:264 ; 4-byte Folded Reload
	s_waitcnt vmcnt(0)
	v_lshlrev_b32_e32 v0, 16, v0
	v_mul_f32_e32 v0, v8, v0
	v_bfe_u32 v1, v0, 16, 1
	v_or_b32_e32 v13, 0x400000, v0
	v_cmp_u_f32_e32 vcc_lo, v0, v0
	v_add3_u32 v1, v1, v0, 0x7fff
	v_cndmask_b32_e32 v0, v1, v13, vcc_lo
	buffer_load_dword v1, off, s[0:3], s32 offset:260 ; 4-byte Folded Reload
	v_and_b32_e32 v0, 0xffff0000, v0
	s_waitcnt vmcnt(0)
	v_lshlrev_b32_e32 v1, 16, v1
	v_mul_f32_e32 v1, v9, v1
	v_bfe_u32 v13, v1, 16, 1
	v_or_b32_e32 v14, 0x400000, v1
	v_cmp_u_f32_e32 vcc_lo, v1, v1
	v_add3_u32 v13, v13, v1, 0x7fff
	v_cndmask_b32_e32 v1, v13, v14, vcc_lo
	buffer_load_dword v13, off, s[0:3], s32 offset:256 ; 4-byte Folded Reload
	v_and_b32_e32 v1, 0xffff0000, v1
	v_add_f32_e32 v0, v1, v0
	s_waitcnt vmcnt(0)
	v_lshlrev_b32_e32 v13, 16, v13
	v_mul_f32_e32 v13, v6, v13
	v_bfe_u32 v14, v13, 16, 1
	v_or_b32_e32 v17, 0x400000, v13
	v_cmp_u_f32_e32 vcc_lo, v13, v13
	v_add3_u32 v14, v14, v13, 0x7fff
	v_cndmask_b32_e32 v13, v14, v17, vcc_lo
	buffer_load_dword v14, off, s[0:3], s32 offset:252 ; 4-byte Folded Reload
	v_and_b32_e32 v13, 0xffff0000, v13
	s_waitcnt vmcnt(0)
	v_lshlrev_b32_e32 v14, 16, v14
	v_mul_f32_e32 v14, v7, v14
	v_bfe_u32 v17, v14, 16, 1
	v_or_b32_e32 v18, 0x400000, v14
	v_cmp_u_f32_e32 vcc_lo, v14, v14
	v_add3_u32 v17, v17, v14, 0x7fff
	v_cndmask_b32_e32 v14, v17, v18, vcc_lo
	buffer_load_dword v17, off, s[0:3], s32 offset:248 ; 4-byte Folded Reload
	v_and_b32_e32 v1, 0xffff0000, v14
	v_add_f32_e32 v1, v1, v13
	v_add_f32_e32 v0, v0, v1
	s_waitcnt vmcnt(0)
	v_lshlrev_b32_e32 v17, 16, v17
	v_mul_f32_e32 v17, v4, v17
	v_bfe_u32 v18, v17, 16, 1
	v_or_b32_e32 v25, 0x400000, v17
	v_cmp_u_f32_e32 vcc_lo, v17, v17
	v_add3_u32 v18, v18, v17, 0x7fff
	v_cndmask_b32_e32 v17, v18, v25, vcc_lo
	buffer_load_dword v18, off, s[0:3], s32 offset:244 ; 4-byte Folded Reload
	v_and_b32_e32 v13, 0xffff0000, v17
	s_waitcnt vmcnt(0)
	v_lshlrev_b32_e32 v18, 16, v18
	v_mul_f32_e32 v18, v5, v18
	v_bfe_u32 v25, v18, 16, 1
	v_or_b32_e32 v26, 0x400000, v18
	v_cmp_u_f32_e32 vcc_lo, v18, v18
	v_add3_u32 v25, v25, v18, 0x7fff
	v_cndmask_b32_e32 v18, v25, v26, vcc_lo
	buffer_load_dword v25, off, s[0:3], s32 offset:236 ; 4-byte Folded Reload
	v_and_b32_e32 v1, 0xffff0000, v18
	v_add_f32_e32 v1, v1, v13
	v_add_f32_e32 v0, v0, v1
	s_waitcnt vmcnt(0)
	v_lshlrev_b32_e32 v25, 16, v25
	v_mul_f32_e32 v25, v2, v25
	v_bfe_u32 v26, v25, 16, 1
	v_or_b32_e32 v28, 0x400000, v25
	v_cmp_u_f32_e32 vcc_lo, v25, v25
	v_add3_u32 v26, v26, v25, 0x7fff
	v_cndmask_b32_e32 v25, v26, v28, vcc_lo
	buffer_load_dword v26, off, s[0:3], s32 offset:232 ; 4-byte Folded Reload
	v_and_b32_e32 v13, 0xffff0000, v25
	s_waitcnt vmcnt(0)
	v_lshlrev_b32_e32 v26, 16, v26
	v_mul_f32_e32 v26, v3, v26
	v_bfe_u32 v28, v26, 16, 1
	v_or_b32_e32 v29, 0x400000, v26
	v_cmp_u_f32_e32 vcc_lo, v26, v26
	v_add3_u32 v28, v28, v26, 0x7fff
	v_cndmask_b32_e32 v26, v28, v29, vcc_lo
	v_and_b32_e32 v1, 0xffff0000, v26
	v_add_f32_e32 v1, v1, v13
	v_add_f32_e32 v0, v0, v1
	v_add_f32_e32 v54, v54, v0
	buffer_load_dword v0, off, s[0:3], s32 offset:224 ; 4-byte Folded Reload
	s_waitcnt vmcnt(0)
	v_lshlrev_b32_e32 v0, 16, v0
	v_mul_f32_e32 v0, v8, v0
	v_bfe_u32 v1, v0, 16, 1
	v_or_b32_e32 v13, 0x400000, v0
	v_cmp_u_f32_e32 vcc_lo, v0, v0
	v_add3_u32 v1, v1, v0, 0x7fff
	v_cndmask_b32_e32 v0, v1, v13, vcc_lo
	buffer_load_dword v1, off, s[0:3], s32 offset:220 ; 4-byte Folded Reload
	v_and_b32_e32 v0, 0xffff0000, v0
	s_waitcnt vmcnt(0)
	v_lshlrev_b32_e32 v1, 16, v1
	v_mul_f32_e32 v1, v9, v1
	v_bfe_u32 v13, v1, 16, 1
	v_or_b32_e32 v14, 0x400000, v1
	v_cmp_u_f32_e32 vcc_lo, v1, v1
	v_add3_u32 v13, v13, v1, 0x7fff
	v_cndmask_b32_e32 v1, v13, v14, vcc_lo
	buffer_load_dword v13, off, s[0:3], s32 offset:216 ; 4-byte Folded Reload
	v_and_b32_e32 v1, 0xffff0000, v1
	v_add_f32_e32 v0, v1, v0
	s_waitcnt vmcnt(0)
	v_lshlrev_b32_e32 v13, 16, v13
	v_mul_f32_e32 v13, v6, v13
	v_bfe_u32 v14, v13, 16, 1
	v_or_b32_e32 v17, 0x400000, v13
	v_cmp_u_f32_e32 vcc_lo, v13, v13
	v_add3_u32 v14, v14, v13, 0x7fff
	v_cndmask_b32_e32 v13, v14, v17, vcc_lo
	buffer_load_dword v14, off, s[0:3], s32 offset:212 ; 4-byte Folded Reload
	v_and_b32_e32 v13, 0xffff0000, v13
	s_waitcnt vmcnt(0)
	v_lshlrev_b32_e32 v14, 16, v14
	v_mul_f32_e32 v14, v7, v14
	v_bfe_u32 v17, v14, 16, 1
	v_or_b32_e32 v18, 0x400000, v14
	v_cmp_u_f32_e32 vcc_lo, v14, v14
	v_add3_u32 v17, v17, v14, 0x7fff
	v_cndmask_b32_e32 v14, v17, v18, vcc_lo
	buffer_load_dword v17, off, s[0:3], s32 offset:208 ; 4-byte Folded Reload
	v_and_b32_e32 v1, 0xffff0000, v14
	v_add_f32_e32 v1, v1, v13
	v_add_f32_e32 v0, v0, v1
	s_waitcnt vmcnt(0)
	v_lshlrev_b32_e32 v17, 16, v17
	v_mul_f32_e32 v17, v4, v17
	v_bfe_u32 v18, v17, 16, 1
	v_or_b32_e32 v25, 0x400000, v17
	v_cmp_u_f32_e32 vcc_lo, v17, v17
	v_add3_u32 v18, v18, v17, 0x7fff
	v_cndmask_b32_e32 v17, v18, v25, vcc_lo
	buffer_load_dword v18, off, s[0:3], s32 offset:200 ; 4-byte Folded Reload
	v_and_b32_e32 v13, 0xffff0000, v17
	s_waitcnt vmcnt(0)
	v_lshlrev_b32_e32 v18, 16, v18
	v_mul_f32_e32 v18, v5, v18
	v_bfe_u32 v25, v18, 16, 1
	v_or_b32_e32 v26, 0x400000, v18
	v_cmp_u_f32_e32 vcc_lo, v18, v18
	v_add3_u32 v25, v25, v18, 0x7fff
	v_cndmask_b32_e32 v18, v25, v26, vcc_lo
	buffer_load_dword v25, off, s[0:3], s32 offset:204 ; 4-byte Folded Reload
	v_and_b32_e32 v1, 0xffff0000, v18
	v_add_f32_e32 v1, v1, v13
	v_add_f32_e32 v0, v0, v1
	s_waitcnt vmcnt(0)
	v_lshlrev_b32_e32 v25, 16, v25
	v_mul_f32_e32 v25, v2, v25
	v_bfe_u32 v26, v25, 16, 1
	v_or_b32_e32 v28, 0x400000, v25
	v_cmp_u_f32_e32 vcc_lo, v25, v25
	v_add3_u32 v26, v26, v25, 0x7fff
	v_cndmask_b32_e32 v25, v26, v28, vcc_lo
	buffer_load_dword v26, off, s[0:3], s32 offset:196 ; 4-byte Folded Reload
	v_and_b32_e32 v13, 0xffff0000, v25
	s_waitcnt vmcnt(0)
	v_lshlrev_b32_e32 v26, 16, v26
	v_mul_f32_e32 v26, v3, v26
	v_bfe_u32 v28, v26, 16, 1
	v_or_b32_e32 v29, 0x400000, v26
	v_cmp_u_f32_e32 vcc_lo, v26, v26
	v_add3_u32 v28, v28, v26, 0x7fff
	v_cndmask_b32_e32 v26, v28, v29, vcc_lo
	v_and_b32_e32 v1, 0xffff0000, v26
	v_add_f32_e32 v1, v1, v13
	v_add_f32_e32 v0, v0, v1
	;; [unrolled: 1-line block ×3, first 2 shown]
	v_lshlrev_b32_e32 v0, 16, v24
	v_mul_f32_e32 v0, v9, v0
	v_bfe_u32 v1, v0, 16, 1
	v_or_b32_e32 v9, 0x400000, v0
	v_cmp_u_f32_e32 vcc_lo, v0, v0
	v_add3_u32 v1, v1, v0, 0x7fff
	v_cndmask_b32_e32 v0, v1, v9, vcc_lo
	v_lshlrev_b32_e32 v1, 16, v23
	v_and_b32_e32 v0, 0xffff0000, v0
	v_mul_f32_e32 v1, v8, v1
	v_bfe_u32 v8, v1, 16, 1
	v_or_b32_e32 v9, 0x400000, v1
	v_cmp_u_f32_e32 vcc_lo, v1, v1
	v_add3_u32 v8, v8, v1, 0x7fff
	v_cndmask_b32_e32 v1, v8, v9, vcc_lo
	v_lshlrev_b32_e32 v8, 16, v21
	v_and_b32_e32 v1, 0xffff0000, v1
	v_mul_f32_e32 v7, v7, v8
	v_add_f32_e32 v0, v0, v1
	v_bfe_u32 v8, v7, 16, 1
	v_or_b32_e32 v9, 0x400000, v7
	v_cmp_u_f32_e32 vcc_lo, v7, v7
	v_add3_u32 v8, v8, v7, 0x7fff
	v_cndmask_b32_e32 v7, v8, v9, vcc_lo
	v_lshlrev_b32_e32 v8, 16, v19
	v_mul_f32_e32 v6, v6, v8
	v_bfe_u32 v8, v6, 16, 1
	v_or_b32_e32 v9, 0x400000, v6
	v_cmp_u_f32_e32 vcc_lo, v6, v6
	v_add3_u32 v8, v8, v6, 0x7fff
	v_cndmask_b32_e32 v6, v8, v9, vcc_lo
	v_lshlrev_b32_e32 v8, 16, v11
	v_and_b32_e32 v1, 0xffff0000, v6
	v_mul_f32_e32 v5, v5, v8
	v_and_b32_e32 v6, 0xffff0000, v7
	v_bfe_u32 v8, v5, 16, 1
	v_or_b32_e32 v9, 0x400000, v5
	v_cmp_u_f32_e32 vcc_lo, v5, v5
	v_add_f32_e32 v1, v6, v1
	v_add3_u32 v8, v8, v5, 0x7fff
	v_add_f32_e32 v0, v0, v1
	v_cndmask_b32_e32 v5, v8, v9, vcc_lo
	v_lshlrev_b32_e32 v8, 16, v10
	v_mul_f32_e32 v4, v4, v8
	v_bfe_u32 v8, v4, 16, 1
	v_or_b32_e32 v9, 0x400000, v4
	v_cmp_u_f32_e32 vcc_lo, v4, v4
	v_add3_u32 v8, v8, v4, 0x7fff
	v_cndmask_b32_e32 v4, v8, v9, vcc_lo
	v_lshlrev_b32_e32 v8, 16, v20
	v_and_b32_e32 v1, 0xffff0000, v4
	v_mul_f32_e32 v3, v3, v8
	v_and_b32_e32 v4, 0xffff0000, v5
	v_bfe_u32 v8, v3, 16, 1
	v_or_b32_e32 v9, 0x400000, v3
	v_cmp_u_f32_e32 vcc_lo, v3, v3
	v_add_f32_e32 v1, v4, v1
	v_add3_u32 v8, v8, v3, 0x7fff
	v_add_f32_e32 v0, v0, v1
	v_cndmask_b32_e32 v3, v8, v9, vcc_lo
	v_lshlrev_b32_e32 v8, 16, v22
	v_mul_f32_e32 v2, v2, v8
	v_bfe_u32 v8, v2, 16, 1
	v_or_b32_e32 v9, 0x400000, v2
	v_cmp_u_f32_e32 vcc_lo, v2, v2
	v_add3_u32 v8, v8, v2, 0x7fff
	v_cndmask_b32_e32 v2, v8, v9, vcc_lo
	v_add_co_u32 v15, vcc_lo, v15, 16
	v_add_co_ci_u32_e64 v16, null, 0, v16, vcc_lo
	v_and_b32_e32 v1, 0xffff0000, v2
	v_and_b32_e32 v2, 0xffff0000, v3
	v_add_f32_e32 v1, v2, v1
	v_add_f32_e32 v0, v0, v1
	;; [unrolled: 1-line block ×3, first 2 shown]
	buffer_load_dword v0, off, s[0:3], s32 offset:192 ; 4-byte Folded Reload
	s_waitcnt vmcnt(0)
	v_cmp_ge_i32_e32 vcc_lo, v71, v0
	s_or_b32 s9, vcc_lo, s9
	s_andn2_b32 exec_lo, exec_lo, s9
	s_cbranch_execz .LBB366_1978
.LBB366_988:                            ; =>This Inner Loop Header: Depth=1
	flat_load_dword v0, v[15:16]
	s_clause 0x2
	buffer_load_dword v1, off, s[0:3], s32 offset:352
	buffer_load_dword v2, off, s[0:3], s32 offset:356
	;; [unrolled: 1-line block ×3, first 2 shown]
	s_waitcnt vmcnt(0) lgkmcnt(0)
	v_mad_i64_i32 v[19:20], null, v0, v1, v[2:3]
	v_mov_b32_e32 v0, 0
	flat_load_dwordx2 v[21:22], v[19:20]
	ds_read2_b64 v[6:9], v65 offset1:1
	ds_read2_b64 v[2:5], v65 offset0:2 offset1:3
	s_waitcnt vmcnt(0) lgkmcnt(2)
	v_cmp_ne_u16_sdwa s15, v21, v12 src0_sel:BYTE_0 src1_sel:DWORD
	s_and_saveexec_b32 s4, s15
	s_cbranch_execz .LBB366_996
; %bb.989:                              ;   in Loop: Header=BB366_988 Depth=1
	v_cmp_ne_u16_sdwa s18, v21, v66 src0_sel:BYTE_0 src1_sel:DWORD
	v_bfrev_b32_e32 v0, 1
	s_and_saveexec_b32 s15, s18
	s_cbranch_execz .LBB366_995
; %bb.990:                              ;   in Loop: Header=BB366_988 Depth=1
	v_and_b32_e32 v1, 0x7f, v21
	v_mov_b32_e32 v0, 0x7f800001
	s_mov_b32 s18, exec_lo
	v_cmpx_ne_u32_e32 0x7f, v1
	s_cbranch_execz .LBB366_994
; %bb.991:                              ;   in Loop: Header=BB366_988 Depth=1
	v_lshrrev_b32_e32 v0, 3, v1
	v_mov_b32_e32 v10, v21
	s_mov_b32 s19, exec_lo
	v_mov_b32_e32 v11, v22
	v_cmpx_gt_u32_e32 8, v1
; %bb.992:                              ;   in Loop: Header=BB366_988 Depth=1
	v_and_b32_e32 v0, 7, v21
	v_ffbh_u32_e32 v0, v0
	v_min_u32_e32 v0, 32, v0
	v_subrev_nc_u32_e32 v1, 28, v0
	v_sub_nc_u32_e32 v0, 29, v0
	v_lshlrev_b64 v[10:11], v1, v[21:22]
; %bb.993:                              ;   in Loop: Header=BB366_988 Depth=1
	s_or_b32 exec_lo, exec_lo, s19
	v_lshlrev_b32_e32 v1, 20, v10
	v_lshlrev_b32_e32 v10, 24, v21
	v_lshl_add_u32 v0, v0, 23, 0x3c000000
	v_and_b32_e32 v1, 0x700000, v1
	v_and_b32_e32 v10, 0x80000000, v10
	v_or3_b32 v0, v1, v10, v0
.LBB366_994:                            ;   in Loop: Header=BB366_988 Depth=1
	s_or_b32 exec_lo, exec_lo, s18
.LBB366_995:                            ;   in Loop: Header=BB366_988 Depth=1
	s_or_b32 exec_lo, exec_lo, s15
.LBB366_996:                            ;   in Loop: Header=BB366_988 Depth=1
	s_or_b32 exec_lo, exec_lo, s4
	v_cmp_ne_u16_sdwa s15, v21, v12 src0_sel:BYTE_1 src1_sel:DWORD
	v_mov_b32_e32 v10, 0
	v_mov_b32_e32 v1, 0
	s_and_saveexec_b32 s4, s15
	s_cbranch_execz .LBB366_1004
; %bb.997:                              ;   in Loop: Header=BB366_988 Depth=1
	v_cmp_ne_u16_sdwa s18, v21, v66 src0_sel:BYTE_1 src1_sel:DWORD
	v_bfrev_b32_e32 v1, 1
	s_and_saveexec_b32 s15, s18
	s_cbranch_execz .LBB366_1003
; %bb.998:                              ;   in Loop: Header=BB366_988 Depth=1
	v_mov_b32_e32 v1, 0xffff
	s_mov_b32 s18, exec_lo
	v_and_b32_sdwa v11, v1, v21 dst_sel:DWORD dst_unused:UNUSED_PAD src0_sel:DWORD src1_sel:BYTE_1
	v_mov_b32_e32 v1, 0x7f800001
	v_and_b32_e32 v13, 0x7f, v11
	v_cmpx_ne_u32_e32 0x7f, v13
	s_cbranch_execz .LBB366_1002
; %bb.999:                              ;   in Loop: Header=BB366_988 Depth=1
	v_and_b32_e32 v11, 7, v11
	v_mov_b32_e32 v24, v12
	v_lshrrev_b32_e32 v1, 3, v13
	s_mov_b32 s19, exec_lo
	v_mov_b32_e32 v23, v11
	v_cmpx_gt_u32_e32 8, v13
; %bb.1000:                             ;   in Loop: Header=BB366_988 Depth=1
	v_ffbh_u32_e32 v1, v11
	v_min_u32_e32 v1, 32, v1
	v_subrev_nc_u32_e32 v13, 28, v1
	v_sub_nc_u32_e32 v1, 29, v1
	v_lshlrev_b64 v[13:14], v13, v[11:12]
	v_and_b32_e32 v23, 7, v13
; %bb.1001:                             ;   in Loop: Header=BB366_988 Depth=1
	s_or_b32 exec_lo, exec_lo, s19
	v_lshlrev_b32_e32 v11, 16, v21
	v_lshlrev_b32_e32 v13, 20, v23
	v_lshl_add_u32 v1, v1, 23, 0x3c000000
	v_and_b32_e32 v11, 0x80000000, v11
	v_or3_b32 v1, v13, v11, v1
.LBB366_1002:                           ;   in Loop: Header=BB366_988 Depth=1
	s_or_b32 exec_lo, exec_lo, s18
.LBB366_1003:                           ;   in Loop: Header=BB366_988 Depth=1
	s_or_b32 exec_lo, exec_lo, s15
.LBB366_1004:                           ;   in Loop: Header=BB366_988 Depth=1
	s_or_b32 exec_lo, exec_lo, s4
	v_and_b32_sdwa v11, v21, v68 dst_sel:DWORD dst_unused:UNUSED_PAD src0_sel:WORD_1 src1_sel:DWORD
	s_mov_b32 s4, exec_lo
	v_cmpx_ne_u16_e32 0, v11
	s_cbranch_execz .LBB366_1012
; %bb.1005:                             ;   in Loop: Header=BB366_988 Depth=1
	v_bfrev_b32_e32 v10, 1
	s_mov_b32 s15, exec_lo
	v_cmpx_ne_u16_e32 0x80, v11
	s_cbranch_execz .LBB366_1011
; %bb.1006:                             ;   in Loop: Header=BB366_988 Depth=1
	v_bfe_u32 v13, v21, 16, 7
	v_mov_b32_e32 v10, 0x7f800001
	s_mov_b32 s18, exec_lo
	v_cmpx_ne_u32_e32 0x7f, v13
	s_cbranch_execz .LBB366_1010
; %bb.1007:                             ;   in Loop: Header=BB366_988 Depth=1
	v_mov_b32_e32 v10, 7
	s_mov_b32 s19, exec_lo
	v_and_b32_sdwa v11, v21, v10 dst_sel:DWORD dst_unused:UNUSED_PAD src0_sel:WORD_1 src1_sel:DWORD
	v_mov_b32_e32 v24, v12
	v_lshrrev_b32_e32 v10, 3, v13
	v_mov_b32_e32 v23, v11
	v_cmpx_gt_u32_e32 8, v13
; %bb.1008:                             ;   in Loop: Header=BB366_988 Depth=1
	v_ffbh_u32_e32 v10, v11
	v_min_u32_e32 v10, 32, v10
	v_subrev_nc_u32_e32 v13, 28, v10
	v_sub_nc_u32_e32 v10, 29, v10
	v_lshlrev_b64 v[13:14], v13, v[11:12]
	v_and_b32_e32 v23, 7, v13
; %bb.1009:                             ;   in Loop: Header=BB366_988 Depth=1
	s_or_b32 exec_lo, exec_lo, s19
	v_mov_b32_e32 v11, 24
	v_lshlrev_b32_e32 v13, 20, v23
	v_lshl_add_u32 v10, v10, 23, 0x3c000000
	v_lshlrev_b32_sdwa v11, v11, v21 dst_sel:DWORD dst_unused:UNUSED_PAD src0_sel:DWORD src1_sel:WORD_1
	v_and_b32_e32 v11, 0x80000000, v11
	v_or3_b32 v10, v13, v11, v10
.LBB366_1010:                           ;   in Loop: Header=BB366_988 Depth=1
	s_or_b32 exec_lo, exec_lo, s18
.LBB366_1011:                           ;   in Loop: Header=BB366_988 Depth=1
	s_or_b32 exec_lo, exec_lo, s15
.LBB366_1012:                           ;   in Loop: Header=BB366_988 Depth=1
	s_or_b32 exec_lo, exec_lo, s4
	v_mov_b32_e32 v14, 0
	v_mov_b32_e32 v13, 0
	s_mov_b32 s4, exec_lo
	v_cmpx_lt_u32_e32 0xffffff, v21
	s_cbranch_execz .LBB366_1020
; %bb.1013:                             ;   in Loop: Header=BB366_988 Depth=1
	v_cmp_ne_u32_sdwa s18, v21, v66 src0_sel:BYTE_3 src1_sel:DWORD
	v_bfrev_b32_e32 v13, 1
	s_and_saveexec_b32 s15, s18
	s_cbranch_execz .LBB366_1019
; %bb.1014:                             ;   in Loop: Header=BB366_988 Depth=1
	v_bfe_u32 v17, v21, 24, 7
	v_mov_b32_e32 v13, 0x7f800001
	s_mov_b32 s18, exec_lo
	v_cmpx_ne_u32_e32 0x7f, v17
	s_cbranch_execz .LBB366_1018
; %bb.1015:                             ;   in Loop: Header=BB366_988 Depth=1
	v_mov_b32_e32 v11, 7
	v_lshrrev_b32_e32 v13, 3, v17
	s_mov_b32 s19, exec_lo
	v_and_b32_sdwa v11, v21, v11 dst_sel:DWORD dst_unused:UNUSED_PAD src0_sel:BYTE_3 src1_sel:DWORD
	v_mov_b32_e32 v24, v12
	v_mov_b32_e32 v23, v11
	v_cmpx_gt_u32_e32 8, v17
; %bb.1016:                             ;   in Loop: Header=BB366_988 Depth=1
	v_ffbh_u32_e32 v13, v11
	v_min_u32_e32 v13, 32, v13
	v_subrev_nc_u32_e32 v17, 28, v13
	v_sub_nc_u32_e32 v13, 29, v13
	v_lshlrev_b64 v[17:18], v17, v[11:12]
	v_and_b32_e32 v23, 7, v17
; %bb.1017:                             ;   in Loop: Header=BB366_988 Depth=1
	s_or_b32 exec_lo, exec_lo, s19
	v_mov_b32_e32 v11, 24
	v_lshlrev_b32_e32 v17, 20, v23
	v_lshl_add_u32 v13, v13, 23, 0x3c000000
	v_lshlrev_b32_sdwa v11, v11, v21 dst_sel:DWORD dst_unused:UNUSED_PAD src0_sel:DWORD src1_sel:BYTE_3
	v_and_b32_e32 v11, 0x80000000, v11
	v_or3_b32 v13, v17, v11, v13
.LBB366_1018:                           ;   in Loop: Header=BB366_988 Depth=1
	s_or_b32 exec_lo, exec_lo, s18
.LBB366_1019:                           ;   in Loop: Header=BB366_988 Depth=1
	s_or_b32 exec_lo, exec_lo, s15
.LBB366_1020:                           ;   in Loop: Header=BB366_988 Depth=1
	s_or_b32 exec_lo, exec_lo, s4
	v_mov_b32_e32 v11, v22
	v_cmp_ne_u16_sdwa s15, v22, v12 src0_sel:BYTE_0 src1_sel:DWORD
	s_and_saveexec_b32 s4, s15
	s_cbranch_execz .LBB366_1028
; %bb.1021:                             ;   in Loop: Header=BB366_988 Depth=1
	v_cmp_ne_u16_sdwa s18, v22, v66 src0_sel:BYTE_0 src1_sel:DWORD
	v_bfrev_b32_e32 v14, 1
	s_and_saveexec_b32 s15, s18
	s_cbranch_execz .LBB366_1027
; %bb.1022:                             ;   in Loop: Header=BB366_988 Depth=1
	v_and_b32_e32 v17, 0x7f, v22
	v_mov_b32_e32 v14, 0x7f800001
	s_mov_b32 s18, exec_lo
	v_cmpx_ne_u32_e32 0x7f, v17
	s_cbranch_execz .LBB366_1026
; %bb.1023:                             ;   in Loop: Header=BB366_988 Depth=1
	v_mov_b32_e32 v24, v12
	v_lshrrev_b32_e32 v14, 3, v17
	v_mov_b32_e32 v23, v11
	s_mov_b32 s19, exec_lo
	v_cmpx_gt_u32_e32 8, v17
; %bb.1024:                             ;   in Loop: Header=BB366_988 Depth=1
	v_and_b32_e32 v14, 7, v22
	v_ffbh_u32_e32 v14, v14
	v_min_u32_e32 v14, 32, v14
	v_subrev_nc_u32_e32 v17, 28, v14
	v_sub_nc_u32_e32 v14, 29, v14
	v_lshlrev_b64 v[23:24], v17, v[11:12]
; %bb.1025:                             ;   in Loop: Header=BB366_988 Depth=1
	s_or_b32 exec_lo, exec_lo, s19
	v_lshlrev_b32_e32 v17, 20, v23
	v_lshlrev_b32_e32 v18, 24, v11
	v_lshl_add_u32 v14, v14, 23, 0x3c000000
	v_and_b32_e32 v17, 0x700000, v17
	v_and_b32_e32 v18, 0x80000000, v18
	v_or3_b32 v14, v17, v18, v14
.LBB366_1026:                           ;   in Loop: Header=BB366_988 Depth=1
	s_or_b32 exec_lo, exec_lo, s18
.LBB366_1027:                           ;   in Loop: Header=BB366_988 Depth=1
	s_or_b32 exec_lo, exec_lo, s15
.LBB366_1028:                           ;   in Loop: Header=BB366_988 Depth=1
	s_or_b32 exec_lo, exec_lo, s4
	v_cmp_ne_u16_sdwa s15, v11, v12 src0_sel:BYTE_1 src1_sel:DWORD
	v_mov_b32_e32 v17, 0
	v_mov_b32_e32 v18, 0
	s_and_saveexec_b32 s4, s15
	s_cbranch_execz .LBB366_1036
; %bb.1029:                             ;   in Loop: Header=BB366_988 Depth=1
	v_cmp_ne_u16_sdwa s18, v11, v66 src0_sel:BYTE_1 src1_sel:DWORD
	v_bfrev_b32_e32 v18, 1
	s_and_saveexec_b32 s15, s18
	s_cbranch_execz .LBB366_1035
; %bb.1030:                             ;   in Loop: Header=BB366_988 Depth=1
	v_mov_b32_e32 v18, 0xffff
	s_mov_b32 s18, exec_lo
	v_and_b32_sdwa v23, v18, v11 dst_sel:DWORD dst_unused:UNUSED_PAD src0_sel:DWORD src1_sel:BYTE_1
	v_mov_b32_e32 v18, 0x7f800001
	v_and_b32_e32 v25, 0x7f, v23
	v_cmpx_ne_u32_e32 0x7f, v25
	s_cbranch_execz .LBB366_1034
; %bb.1031:                             ;   in Loop: Header=BB366_988 Depth=1
	v_and_b32_e32 v23, 7, v23
	v_mov_b32_e32 v24, v12
	v_lshrrev_b32_e32 v18, 3, v25
	s_mov_b32 s19, exec_lo
	v_cmpx_gt_u32_e32 8, v25
; %bb.1032:                             ;   in Loop: Header=BB366_988 Depth=1
	v_ffbh_u32_e32 v18, v23
	v_min_u32_e32 v18, 32, v18
	v_subrev_nc_u32_e32 v25, 28, v18
	v_sub_nc_u32_e32 v18, 29, v18
	v_lshlrev_b64 v[23:24], v25, v[23:24]
	v_and_b32_e32 v23, 7, v23
; %bb.1033:                             ;   in Loop: Header=BB366_988 Depth=1
	s_or_b32 exec_lo, exec_lo, s19
	v_lshlrev_b32_e32 v11, 16, v11
	v_lshlrev_b32_e32 v23, 20, v23
	v_lshl_add_u32 v18, v18, 23, 0x3c000000
	v_and_b32_e32 v11, 0x80000000, v11
	v_or3_b32 v18, v23, v11, v18
.LBB366_1034:                           ;   in Loop: Header=BB366_988 Depth=1
	s_or_b32 exec_lo, exec_lo, s18
.LBB366_1035:                           ;   in Loop: Header=BB366_988 Depth=1
	s_or_b32 exec_lo, exec_lo, s15
.LBB366_1036:                           ;   in Loop: Header=BB366_988 Depth=1
	s_or_b32 exec_lo, exec_lo, s4
	v_and_b32_sdwa v11, v22, v68 dst_sel:DWORD dst_unused:UNUSED_PAD src0_sel:WORD_1 src1_sel:DWORD
	s_mov_b32 s4, exec_lo
	v_cmpx_ne_u16_e32 0, v11
	s_cbranch_execz .LBB366_1044
; %bb.1037:                             ;   in Loop: Header=BB366_988 Depth=1
	v_bfrev_b32_e32 v17, 1
	s_mov_b32 s15, exec_lo
	v_cmpx_ne_u16_e32 0x80, v11
	s_cbranch_execz .LBB366_1043
; %bb.1038:                             ;   in Loop: Header=BB366_988 Depth=1
	v_bfe_u32 v23, v22, 16, 7
	v_mov_b32_e32 v17, 0x7f800001
	s_mov_b32 s18, exec_lo
	v_cmpx_ne_u32_e32 0x7f, v23
	s_cbranch_execz .LBB366_1042
; %bb.1039:                             ;   in Loop: Header=BB366_988 Depth=1
	v_mov_b32_e32 v11, 7
	v_lshrrev_b32_e32 v17, 3, v23
	v_cmp_gt_u32_e32 vcc_lo, 8, v23
	v_and_b32_sdwa v11, v22, v11 dst_sel:DWORD dst_unused:UNUSED_PAD src0_sel:WORD_1 src1_sel:DWORD
	v_mov_b32_e32 v24, v12
	v_mov_b32_e32 v23, v11
	s_and_saveexec_b32 s19, vcc_lo
; %bb.1040:                             ;   in Loop: Header=BB366_988 Depth=1
	v_ffbh_u32_e32 v17, v11
	v_min_u32_e32 v17, 32, v17
	v_subrev_nc_u32_e32 v23, 28, v17
	v_sub_nc_u32_e32 v17, 29, v17
	v_lshlrev_b64 v[23:24], v23, v[11:12]
	v_and_b32_e32 v23, 7, v23
; %bb.1041:                             ;   in Loop: Header=BB366_988 Depth=1
	s_or_b32 exec_lo, exec_lo, s19
	v_mov_b32_e32 v11, 24
	v_lshlrev_b32_e32 v23, 20, v23
	v_lshl_add_u32 v17, v17, 23, 0x3c000000
	v_lshlrev_b32_sdwa v11, v11, v22 dst_sel:DWORD dst_unused:UNUSED_PAD src0_sel:DWORD src1_sel:WORD_1
	v_and_b32_e32 v11, 0x80000000, v11
	v_or3_b32 v17, v23, v11, v17
.LBB366_1042:                           ;   in Loop: Header=BB366_988 Depth=1
	s_or_b32 exec_lo, exec_lo, s18
.LBB366_1043:                           ;   in Loop: Header=BB366_988 Depth=1
	s_or_b32 exec_lo, exec_lo, s15
.LBB366_1044:                           ;   in Loop: Header=BB366_988 Depth=1
	s_or_b32 exec_lo, exec_lo, s4
	v_mov_b32_e32 v11, 0
	s_mov_b32 s4, exec_lo
	v_cmpx_lt_u64_e64 s[6:7], v[21:22]
	s_cbranch_execz .LBB366_1052
; %bb.1045:                             ;   in Loop: Header=BB366_988 Depth=1
	v_cmp_ne_u32_sdwa s18, v22, v66 src0_sel:BYTE_3 src1_sel:DWORD
	v_bfrev_b32_e32 v11, 1
	s_and_saveexec_b32 s15, s18
	s_cbranch_execz .LBB366_1051
; %bb.1046:                             ;   in Loop: Header=BB366_988 Depth=1
	v_bfe_u32 v23, v22, 24, 7
	v_mov_b32_e32 v11, 0x7f800001
	s_mov_b32 s18, exec_lo
	v_cmpx_ne_u32_e32 0x7f, v23
	s_cbranch_execz .LBB366_1050
; %bb.1047:                             ;   in Loop: Header=BB366_988 Depth=1
	v_mov_b32_e32 v11, 7
	v_lshrrev_b32_e32 v21, 3, v23
	v_cmp_gt_u32_e32 vcc_lo, 8, v23
	v_and_b32_sdwa v11, v22, v11 dst_sel:DWORD dst_unused:UNUSED_PAD src0_sel:BYTE_3 src1_sel:DWORD
	v_mov_b32_e32 v24, v12
	v_mov_b32_e32 v23, v11
	s_and_saveexec_b32 s19, vcc_lo
; %bb.1048:                             ;   in Loop: Header=BB366_988 Depth=1
	v_ffbh_u32_e32 v21, v11
	v_min_u32_e32 v21, 32, v21
	v_subrev_nc_u32_e32 v23, 28, v21
	v_sub_nc_u32_e32 v21, 29, v21
	v_lshlrev_b64 v[23:24], v23, v[11:12]
	v_and_b32_e32 v23, 7, v23
; %bb.1049:                             ;   in Loop: Header=BB366_988 Depth=1
	s_or_b32 exec_lo, exec_lo, s19
	v_mov_b32_e32 v11, 24
	v_lshl_add_u32 v21, v21, 23, 0x3c000000
	v_lshlrev_b32_sdwa v11, v11, v22 dst_sel:DWORD dst_unused:UNUSED_PAD src0_sel:DWORD src1_sel:BYTE_3
	v_lshlrev_b32_e32 v22, 20, v23
	v_and_b32_e32 v11, 0x80000000, v11
	v_or3_b32 v11, v22, v11, v21
.LBB366_1050:                           ;   in Loop: Header=BB366_988 Depth=1
	s_or_b32 exec_lo, exec_lo, s18
.LBB366_1051:                           ;   in Loop: Header=BB366_988 Depth=1
	s_or_b32 exec_lo, exec_lo, s15
.LBB366_1052:                           ;   in Loop: Header=BB366_988 Depth=1
	s_or_b32 exec_lo, exec_lo, s4
	buffer_load_dword v21, off, s[0:3], s32 offset:192 ; 4-byte Folded Reload
	v_mul_f32_e32 v18, v55, v18
	v_mul_f32_e32 v14, v55, v14
	;; [unrolled: 1-line block ×5, first 2 shown]
	v_or_b32_e32 v22, 0x400000, v18
	v_bfe_u32 v23, v14, 16, 1
	v_cmp_u_f32_e64 s4, v18, v18
	v_or_b32_e32 v24, 0x400000, v14
	v_bfe_u32 v25, v13, 16, 1
	v_or_b32_e32 v26, 0x400000, v13
	v_add3_u32 v23, v23, v14, 0x7fff
	v_mul_f32_e32 v0, v55, v0
	v_mul_f32_e32 v11, v55, v11
	v_add_nc_u32_e32 v56, -7, v64
	v_add_nc_u32_e32 v62, -6, v64
	;; [unrolled: 1-line block ×7, first 2 shown]
	s_waitcnt vmcnt(0)
	v_add_nc_u32_e32 v21, -1, v21
	v_cmp_eq_u32_e32 vcc_lo, v21, v71
	v_bfe_u32 v21, v18, 16, 1
	v_add3_u32 v21, v21, v18, 0x7fff
	v_cndmask_b32_e64 v18, v21, v22, s4
	v_cmp_u_f32_e64 s4, v14, v14
	v_add3_u32 v22, v25, v13, 0x7fff
	v_bfe_u32 v21, v10, 16, 1
	v_lshrrev_b32_e32 v18, 16, v18
	v_cndmask_b32_e64 v14, v23, v24, s4
	v_cmp_u_f32_e64 s4, v13, v13
	v_or_b32_e32 v23, 0x400000, v11
	buffer_store_dword v18, off, s[0:3], s32 offset:208 ; 4-byte Folded Spill
	v_add3_u32 v18, v21, v10, 0x7fff
	v_cndmask_b32_e64 v13, v22, v26, s4
	v_or_b32_e32 v21, 0x400000, v10
	v_lshrrev_b32_e32 v14, 16, v14
	v_cmp_u_f32_e64 s4, v10, v10
	v_lshrrev_b32_e32 v13, 16, v13
	buffer_store_dword v14, off, s[0:3], s32 offset:200 ; 4-byte Folded Spill
	v_cndmask_b32_e64 v10, v18, v21, s4
	v_mul_f32_e32 v14, v55, v17
	buffer_store_dword v13, off, s[0:3], s32 offset:216 ; 4-byte Folded Spill
	v_bfe_u32 v13, v1, 16, 1
	v_or_b32_e32 v17, 0x400000, v1
	v_bfe_u32 v18, v0, 16, 1
	v_cmp_u_f32_e64 s4, v1, v1
	v_bfe_u32 v21, v14, 16, 1
	v_add3_u32 v13, v13, v1, 0x7fff
	v_or_b32_e32 v22, 0x400000, v14
	v_lshrrev_b32_e32 v10, 16, v10
	v_add3_u32 v21, v21, v14, 0x7fff
	v_cndmask_b32_e64 v1, v13, v17, s4
	v_add3_u32 v17, v18, v0, 0x7fff
	v_or_b32_e32 v18, 0x400000, v0
	v_cmp_u_f32_e64 s4, v0, v0
	v_bfe_u32 v13, v11, 16, 1
	v_lshrrev_b32_e32 v1, 16, v1
	buffer_store_dword v10, off, s[0:3], s32 offset:212 ; 4-byte Folded Spill
	v_cndmask_b32_e64 v0, v17, v18, s4
	v_cmp_u_f32_e64 s4, v14, v14
	v_add3_u32 v13, v13, v11, 0x7fff
	buffer_store_dword v1, off, s[0:3], s32 offset:224 ; 4-byte Folded Spill
	v_lshrrev_b32_e32 v0, 16, v0
	v_cndmask_b32_e64 v14, v21, v22, s4
	v_cmp_u_f32_e64 s4, v11, v11
	buffer_store_dword v0, off, s[0:3], s32 offset:220 ; 4-byte Folded Spill
	v_lshrrev_b32_e32 v0, 16, v14
	v_cndmask_b32_e64 v11, v13, v23, s4
	buffer_store_dword v0, off, s[0:3], s32 offset:196 ; 4-byte Folded Spill
	v_lshrrev_b32_e32 v0, 16, v11
	buffer_store_dword v0, off, s[0:3], s32 offset:204 ; 4-byte Folded Spill
	s_and_saveexec_b32 s15, vcc_lo
	s_cbranch_execz .LBB366_1054
; %bb.1053:                             ;   in Loop: Header=BB366_988 Depth=1
	buffer_load_dword v0, off, s[0:3], s32 offset:220 ; 4-byte Folded Reload
	v_cmp_lt_i32_e64 s4, v56, v30
	s_waitcnt vmcnt(0)
	v_cndmask_b32_e64 v0, 0, v0, s4
	v_cmp_lt_i32_e64 s4, v62, v30
	buffer_store_dword v0, off, s[0:3], s32 offset:220 ; 4-byte Folded Spill
	buffer_load_dword v0, off, s[0:3], s32 offset:224 ; 4-byte Folded Reload
	s_waitcnt vmcnt(0)
	v_cndmask_b32_e64 v0, 0, v0, s4
	v_cmp_lt_i32_e64 s4, v61, v30
	buffer_store_dword v0, off, s[0:3], s32 offset:224 ; 4-byte Folded Spill
	buffer_load_dword v0, off, s[0:3], s32 offset:212 ; 4-byte Folded Reload
	;; [unrolled: 5-line block ×7, first 2 shown]
	s_waitcnt vmcnt(0)
	v_cndmask_b32_e64 v0, 0, v0, s4
	buffer_store_dword v0, off, s[0:3], s32 offset:204 ; 4-byte Folded Spill
.LBB366_1054:                           ;   in Loop: Header=BB366_988 Depth=1
	s_or_b32 exec_lo, exec_lo, s15
	flat_load_dwordx2 v[21:22], v[19:20] offset:256
	v_mov_b32_e32 v1, 0
	v_mov_b32_e32 v0, 0
	s_waitcnt vmcnt(0) lgkmcnt(0)
	v_cmp_ne_u16_sdwa s4, v21, v12 src0_sel:BYTE_0 src1_sel:DWORD
	s_and_saveexec_b32 s15, s4
	s_cbranch_execz .LBB366_1062
; %bb.1055:                             ;   in Loop: Header=BB366_988 Depth=1
	v_cmp_ne_u16_sdwa s4, v21, v66 src0_sel:BYTE_0 src1_sel:DWORD
	v_bfrev_b32_e32 v0, 1
	s_and_saveexec_b32 s18, s4
	s_cbranch_execz .LBB366_1061
; %bb.1056:                             ;   in Loop: Header=BB366_988 Depth=1
	v_and_b32_e32 v10, 0x7f, v21
	v_mov_b32_e32 v0, 0x7f800001
	s_mov_b32 s19, exec_lo
	v_cmpx_ne_u32_e32 0x7f, v10
	s_cbranch_execz .LBB366_1060
; %bb.1057:                             ;   in Loop: Header=BB366_988 Depth=1
	v_lshrrev_b32_e32 v0, 3, v10
	v_cmp_gt_u32_e64 s4, 8, v10
	v_mov_b32_e32 v10, v21
	v_mov_b32_e32 v11, v22
	s_and_saveexec_b32 s20, s4
; %bb.1058:                             ;   in Loop: Header=BB366_988 Depth=1
	v_and_b32_e32 v0, 7, v21
	v_ffbh_u32_e32 v0, v0
	v_min_u32_e32 v0, 32, v0
	v_subrev_nc_u32_e32 v10, 28, v0
	v_sub_nc_u32_e32 v0, 29, v0
	v_lshlrev_b64 v[10:11], v10, v[21:22]
; %bb.1059:                             ;   in Loop: Header=BB366_988 Depth=1
	s_or_b32 exec_lo, exec_lo, s20
	v_lshlrev_b32_e32 v10, 20, v10
	v_lshlrev_b32_e32 v11, 24, v21
	v_lshl_add_u32 v0, v0, 23, 0x3c000000
	v_and_b32_e32 v10, 0x700000, v10
	v_and_b32_e32 v11, 0x80000000, v11
	v_or3_b32 v0, v10, v11, v0
.LBB366_1060:                           ;   in Loop: Header=BB366_988 Depth=1
	s_or_b32 exec_lo, exec_lo, s19
.LBB366_1061:                           ;   in Loop: Header=BB366_988 Depth=1
	s_or_b32 exec_lo, exec_lo, s18
.LBB366_1062:                           ;   in Loop: Header=BB366_988 Depth=1
	s_or_b32 exec_lo, exec_lo, s15
	v_cmp_ne_u16_sdwa s4, v21, v12 src0_sel:BYTE_1 src1_sel:DWORD
	s_and_saveexec_b32 s15, s4
	s_cbranch_execz .LBB366_1070
; %bb.1063:                             ;   in Loop: Header=BB366_988 Depth=1
	v_cmp_ne_u16_sdwa s4, v21, v66 src0_sel:BYTE_1 src1_sel:DWORD
	v_bfrev_b32_e32 v1, 1
	s_and_saveexec_b32 s18, s4
	s_cbranch_execz .LBB366_1069
; %bb.1064:                             ;   in Loop: Header=BB366_988 Depth=1
	v_mov_b32_e32 v1, 0xffff
	s_mov_b32 s19, exec_lo
	v_and_b32_sdwa v11, v1, v21 dst_sel:DWORD dst_unused:UNUSED_PAD src0_sel:DWORD src1_sel:BYTE_1
	v_mov_b32_e32 v1, 0x7f800001
	v_and_b32_e32 v10, 0x7f, v11
	v_cmpx_ne_u32_e32 0x7f, v10
	s_cbranch_execz .LBB366_1068
; %bb.1065:                             ;   in Loop: Header=BB366_988 Depth=1
	v_and_b32_e32 v11, 7, v11
	v_mov_b32_e32 v24, v12
	v_lshrrev_b32_e32 v1, 3, v10
	s_mov_b32 s20, exec_lo
	v_mov_b32_e32 v23, v11
	v_cmpx_gt_u32_e32 8, v10
; %bb.1066:                             ;   in Loop: Header=BB366_988 Depth=1
	v_ffbh_u32_e32 v1, v11
	v_min_u32_e32 v1, 32, v1
	v_subrev_nc_u32_e32 v10, 28, v1
	v_sub_nc_u32_e32 v1, 29, v1
	v_lshlrev_b64 v[10:11], v10, v[11:12]
	v_and_b32_e32 v23, 7, v10
; %bb.1067:                             ;   in Loop: Header=BB366_988 Depth=1
	s_or_b32 exec_lo, exec_lo, s20
	v_lshlrev_b32_e32 v10, 16, v21
	v_lshlrev_b32_e32 v11, 20, v23
	v_lshl_add_u32 v1, v1, 23, 0x3c000000
	v_and_b32_e32 v10, 0x80000000, v10
	v_or3_b32 v1, v11, v10, v1
.LBB366_1068:                           ;   in Loop: Header=BB366_988 Depth=1
	s_or_b32 exec_lo, exec_lo, s19
.LBB366_1069:                           ;   in Loop: Header=BB366_988 Depth=1
	s_or_b32 exec_lo, exec_lo, s18
.LBB366_1070:                           ;   in Loop: Header=BB366_988 Depth=1
	s_or_b32 exec_lo, exec_lo, s15
	v_and_b32_sdwa v11, v21, v68 dst_sel:DWORD dst_unused:UNUSED_PAD src0_sel:WORD_1 src1_sel:DWORD
	v_mov_b32_e32 v13, 0
	v_mov_b32_e32 v10, 0
	s_mov_b32 s15, exec_lo
	v_cmpx_ne_u16_e32 0, v11
	s_cbranch_execz .LBB366_1078
; %bb.1071:                             ;   in Loop: Header=BB366_988 Depth=1
	v_bfrev_b32_e32 v10, 1
	s_mov_b32 s18, exec_lo
	v_cmpx_ne_u16_e32 0x80, v11
	s_cbranch_execz .LBB366_1077
; %bb.1072:                             ;   in Loop: Header=BB366_988 Depth=1
	v_bfe_u32 v14, v21, 16, 7
	v_mov_b32_e32 v10, 0x7f800001
	s_mov_b32 s19, exec_lo
	v_cmpx_ne_u32_e32 0x7f, v14
	s_cbranch_execz .LBB366_1076
; %bb.1073:                             ;   in Loop: Header=BB366_988 Depth=1
	v_mov_b32_e32 v10, 7
	s_mov_b32 s20, exec_lo
	v_and_b32_sdwa v11, v21, v10 dst_sel:DWORD dst_unused:UNUSED_PAD src0_sel:WORD_1 src1_sel:DWORD
	v_mov_b32_e32 v24, v12
	v_lshrrev_b32_e32 v10, 3, v14
	v_mov_b32_e32 v23, v11
	v_cmpx_gt_u32_e32 8, v14
; %bb.1074:                             ;   in Loop: Header=BB366_988 Depth=1
	v_ffbh_u32_e32 v10, v11
	v_min_u32_e32 v10, 32, v10
	v_subrev_nc_u32_e32 v14, 28, v10
	v_sub_nc_u32_e32 v10, 29, v10
	v_lshlrev_b64 v[17:18], v14, v[11:12]
	v_and_b32_e32 v23, 7, v17
; %bb.1075:                             ;   in Loop: Header=BB366_988 Depth=1
	s_or_b32 exec_lo, exec_lo, s20
	v_mov_b32_e32 v11, 24
	v_lshlrev_b32_e32 v14, 20, v23
	v_lshl_add_u32 v10, v10, 23, 0x3c000000
	v_lshlrev_b32_sdwa v11, v11, v21 dst_sel:DWORD dst_unused:UNUSED_PAD src0_sel:DWORD src1_sel:WORD_1
	v_and_b32_e32 v11, 0x80000000, v11
	v_or3_b32 v10, v14, v11, v10
.LBB366_1076:                           ;   in Loop: Header=BB366_988 Depth=1
	s_or_b32 exec_lo, exec_lo, s19
.LBB366_1077:                           ;   in Loop: Header=BB366_988 Depth=1
	s_or_b32 exec_lo, exec_lo, s18
.LBB366_1078:                           ;   in Loop: Header=BB366_988 Depth=1
	s_or_b32 exec_lo, exec_lo, s15
	s_mov_b32 s15, exec_lo
	v_cmpx_lt_u32_e32 0xffffff, v21
	s_cbranch_execz .LBB366_1086
; %bb.1079:                             ;   in Loop: Header=BB366_988 Depth=1
	v_cmp_ne_u32_sdwa s4, v21, v66 src0_sel:BYTE_3 src1_sel:DWORD
	v_bfrev_b32_e32 v13, 1
	s_and_saveexec_b32 s18, s4
	s_cbranch_execz .LBB366_1085
; %bb.1080:                             ;   in Loop: Header=BB366_988 Depth=1
	v_bfe_u32 v14, v21, 24, 7
	v_mov_b32_e32 v13, 0x7f800001
	s_mov_b32 s19, exec_lo
	v_cmpx_ne_u32_e32 0x7f, v14
	s_cbranch_execz .LBB366_1084
; %bb.1081:                             ;   in Loop: Header=BB366_988 Depth=1
	v_mov_b32_e32 v11, 7
	v_lshrrev_b32_e32 v13, 3, v14
	s_mov_b32 s20, exec_lo
	v_and_b32_sdwa v11, v21, v11 dst_sel:DWORD dst_unused:UNUSED_PAD src0_sel:BYTE_3 src1_sel:DWORD
	v_mov_b32_e32 v24, v12
	v_mov_b32_e32 v23, v11
	v_cmpx_gt_u32_e32 8, v14
; %bb.1082:                             ;   in Loop: Header=BB366_988 Depth=1
	v_ffbh_u32_e32 v13, v11
	v_min_u32_e32 v13, 32, v13
	v_subrev_nc_u32_e32 v14, 28, v13
	v_sub_nc_u32_e32 v13, 29, v13
	v_lshlrev_b64 v[17:18], v14, v[11:12]
	v_and_b32_e32 v23, 7, v17
; %bb.1083:                             ;   in Loop: Header=BB366_988 Depth=1
	s_or_b32 exec_lo, exec_lo, s20
	v_mov_b32_e32 v11, 24
	v_lshlrev_b32_e32 v14, 20, v23
	v_lshl_add_u32 v13, v13, 23, 0x3c000000
	v_lshlrev_b32_sdwa v11, v11, v21 dst_sel:DWORD dst_unused:UNUSED_PAD src0_sel:DWORD src1_sel:BYTE_3
	v_and_b32_e32 v11, 0x80000000, v11
	v_or3_b32 v13, v14, v11, v13
.LBB366_1084:                           ;   in Loop: Header=BB366_988 Depth=1
	s_or_b32 exec_lo, exec_lo, s19
.LBB366_1085:                           ;   in Loop: Header=BB366_988 Depth=1
	s_or_b32 exec_lo, exec_lo, s18
.LBB366_1086:                           ;   in Loop: Header=BB366_988 Depth=1
	s_or_b32 exec_lo, exec_lo, s15
	v_mov_b32_e32 v11, v22
	v_cmp_ne_u16_sdwa s4, v22, v12 src0_sel:BYTE_0 src1_sel:DWORD
	v_mov_b32_e32 v17, 0
	v_mov_b32_e32 v14, 0
	s_and_saveexec_b32 s15, s4
	s_cbranch_execz .LBB366_1094
; %bb.1087:                             ;   in Loop: Header=BB366_988 Depth=1
	v_cmp_ne_u16_sdwa s4, v22, v66 src0_sel:BYTE_0 src1_sel:DWORD
	v_bfrev_b32_e32 v14, 1
	s_and_saveexec_b32 s18, s4
	s_cbranch_execz .LBB366_1093
; %bb.1088:                             ;   in Loop: Header=BB366_988 Depth=1
	v_and_b32_e32 v18, 0x7f, v22
	v_mov_b32_e32 v14, 0x7f800001
	s_mov_b32 s19, exec_lo
	v_cmpx_ne_u32_e32 0x7f, v18
	s_cbranch_execz .LBB366_1092
; %bb.1089:                             ;   in Loop: Header=BB366_988 Depth=1
	v_mov_b32_e32 v24, v12
	v_lshrrev_b32_e32 v14, 3, v18
	v_mov_b32_e32 v23, v11
	s_mov_b32 s20, exec_lo
	v_cmpx_gt_u32_e32 8, v18
; %bb.1090:                             ;   in Loop: Header=BB366_988 Depth=1
	v_and_b32_e32 v14, 7, v22
	v_ffbh_u32_e32 v14, v14
	v_min_u32_e32 v14, 32, v14
	v_subrev_nc_u32_e32 v18, 28, v14
	v_sub_nc_u32_e32 v14, 29, v14
	v_lshlrev_b64 v[23:24], v18, v[11:12]
; %bb.1091:                             ;   in Loop: Header=BB366_988 Depth=1
	s_or_b32 exec_lo, exec_lo, s20
	v_lshlrev_b32_e32 v18, 20, v23
	v_lshlrev_b32_e32 v23, 24, v11
	v_lshl_add_u32 v14, v14, 23, 0x3c000000
	v_and_b32_e32 v18, 0x700000, v18
	v_and_b32_e32 v23, 0x80000000, v23
	v_or3_b32 v14, v18, v23, v14
.LBB366_1092:                           ;   in Loop: Header=BB366_988 Depth=1
	s_or_b32 exec_lo, exec_lo, s19
.LBB366_1093:                           ;   in Loop: Header=BB366_988 Depth=1
	s_or_b32 exec_lo, exec_lo, s18
.LBB366_1094:                           ;   in Loop: Header=BB366_988 Depth=1
	s_or_b32 exec_lo, exec_lo, s15
	v_cmp_ne_u16_sdwa s4, v11, v12 src0_sel:BYTE_1 src1_sel:DWORD
	s_and_saveexec_b32 s15, s4
	s_cbranch_execz .LBB366_1102
; %bb.1095:                             ;   in Loop: Header=BB366_988 Depth=1
	v_cmp_ne_u16_sdwa s4, v11, v66 src0_sel:BYTE_1 src1_sel:DWORD
	v_bfrev_b32_e32 v17, 1
	s_and_saveexec_b32 s18, s4
	s_cbranch_execz .LBB366_1101
; %bb.1096:                             ;   in Loop: Header=BB366_988 Depth=1
	v_mov_b32_e32 v17, 0xffff
	s_mov_b32 s19, exec_lo
	v_and_b32_sdwa v23, v17, v11 dst_sel:DWORD dst_unused:UNUSED_PAD src0_sel:DWORD src1_sel:BYTE_1
	v_mov_b32_e32 v17, 0x7f800001
	v_and_b32_e32 v18, 0x7f, v23
	v_cmpx_ne_u32_e32 0x7f, v18
	s_cbranch_execz .LBB366_1100
; %bb.1097:                             ;   in Loop: Header=BB366_988 Depth=1
	v_and_b32_e32 v23, 7, v23
	v_mov_b32_e32 v24, v12
	v_lshrrev_b32_e32 v17, 3, v18
	s_mov_b32 s20, exec_lo
	v_cmpx_gt_u32_e32 8, v18
; %bb.1098:                             ;   in Loop: Header=BB366_988 Depth=1
	v_ffbh_u32_e32 v17, v23
	v_min_u32_e32 v17, 32, v17
	v_subrev_nc_u32_e32 v18, 28, v17
	v_sub_nc_u32_e32 v17, 29, v17
	v_lshlrev_b64 v[23:24], v18, v[23:24]
	v_and_b32_e32 v23, 7, v23
; %bb.1099:                             ;   in Loop: Header=BB366_988 Depth=1
	s_or_b32 exec_lo, exec_lo, s20
	v_lshlrev_b32_e32 v11, 16, v11
	v_lshlrev_b32_e32 v18, 20, v23
	v_lshl_add_u32 v17, v17, 23, 0x3c000000
	v_and_b32_e32 v11, 0x80000000, v11
	v_or3_b32 v17, v18, v11, v17
.LBB366_1100:                           ;   in Loop: Header=BB366_988 Depth=1
	s_or_b32 exec_lo, exec_lo, s19
.LBB366_1101:                           ;   in Loop: Header=BB366_988 Depth=1
	s_or_b32 exec_lo, exec_lo, s18
.LBB366_1102:                           ;   in Loop: Header=BB366_988 Depth=1
	s_or_b32 exec_lo, exec_lo, s15
	v_and_b32_sdwa v11, v22, v68 dst_sel:DWORD dst_unused:UNUSED_PAD src0_sel:WORD_1 src1_sel:DWORD
	v_mov_b32_e32 v18, 0
	v_mov_b32_e32 v25, 0
	s_mov_b32 s15, exec_lo
	v_cmpx_ne_u16_e32 0, v11
	s_cbranch_execz .LBB366_1110
; %bb.1103:                             ;   in Loop: Header=BB366_988 Depth=1
	v_bfrev_b32_e32 v25, 1
	s_mov_b32 s18, exec_lo
	v_cmpx_ne_u16_e32 0x80, v11
	s_cbranch_execz .LBB366_1109
; %bb.1104:                             ;   in Loop: Header=BB366_988 Depth=1
	v_bfe_u32 v23, v22, 16, 7
	v_mov_b32_e32 v25, 0x7f800001
	s_mov_b32 s19, exec_lo
	v_cmpx_ne_u32_e32 0x7f, v23
	s_cbranch_execz .LBB366_1108
; %bb.1105:                             ;   in Loop: Header=BB366_988 Depth=1
	v_mov_b32_e32 v11, 7
	v_lshrrev_b32_e32 v25, 3, v23
	v_cmp_gt_u32_e64 s4, 8, v23
	v_and_b32_sdwa v11, v22, v11 dst_sel:DWORD dst_unused:UNUSED_PAD src0_sel:WORD_1 src1_sel:DWORD
	v_mov_b32_e32 v24, v12
	v_mov_b32_e32 v23, v11
	s_and_saveexec_b32 s20, s4
; %bb.1106:                             ;   in Loop: Header=BB366_988 Depth=1
	v_ffbh_u32_e32 v23, v11
	v_min_u32_e32 v25, 32, v23
	v_subrev_nc_u32_e32 v23, 28, v25
	v_sub_nc_u32_e32 v25, 29, v25
	v_lshlrev_b64 v[23:24], v23, v[11:12]
	v_and_b32_e32 v23, 7, v23
; %bb.1107:                             ;   in Loop: Header=BB366_988 Depth=1
	s_or_b32 exec_lo, exec_lo, s20
	v_mov_b32_e32 v11, 24
	v_lshlrev_b32_e32 v23, 20, v23
	v_lshl_add_u32 v24, v25, 23, 0x3c000000
	v_lshlrev_b32_sdwa v11, v11, v22 dst_sel:DWORD dst_unused:UNUSED_PAD src0_sel:DWORD src1_sel:WORD_1
	v_and_b32_e32 v11, 0x80000000, v11
	v_or3_b32 v25, v23, v11, v24
.LBB366_1108:                           ;   in Loop: Header=BB366_988 Depth=1
	s_or_b32 exec_lo, exec_lo, s19
.LBB366_1109:                           ;   in Loop: Header=BB366_988 Depth=1
	s_or_b32 exec_lo, exec_lo, s18
.LBB366_1110:                           ;   in Loop: Header=BB366_988 Depth=1
	s_or_b32 exec_lo, exec_lo, s15
	s_mov_b32 s15, exec_lo
	v_cmpx_lt_u64_e64 s[6:7], v[21:22]
	s_cbranch_execz .LBB366_1118
; %bb.1111:                             ;   in Loop: Header=BB366_988 Depth=1
	v_cmp_ne_u32_sdwa s4, v22, v66 src0_sel:BYTE_3 src1_sel:DWORD
	v_bfrev_b32_e32 v18, 1
	s_and_saveexec_b32 s18, s4
	s_cbranch_execz .LBB366_1117
; %bb.1112:                             ;   in Loop: Header=BB366_988 Depth=1
	v_bfe_u32 v21, v22, 24, 7
	v_mov_b32_e32 v18, 0x7f800001
	s_mov_b32 s19, exec_lo
	v_cmpx_ne_u32_e32 0x7f, v21
	s_cbranch_execz .LBB366_1116
; %bb.1113:                             ;   in Loop: Header=BB366_988 Depth=1
	v_mov_b32_e32 v11, 7
	v_lshrrev_b32_e32 v18, 3, v21
	s_mov_b32 s20, exec_lo
	v_and_b32_sdwa v11, v22, v11 dst_sel:DWORD dst_unused:UNUSED_PAD src0_sel:BYTE_3 src1_sel:DWORD
	v_mov_b32_e32 v24, v12
	v_mov_b32_e32 v23, v11
	v_cmpx_gt_u32_e32 8, v21
; %bb.1114:                             ;   in Loop: Header=BB366_988 Depth=1
	v_ffbh_u32_e32 v18, v11
	v_min_u32_e32 v18, 32, v18
	v_subrev_nc_u32_e32 v21, 28, v18
	v_sub_nc_u32_e32 v18, 29, v18
	v_lshlrev_b64 v[23:24], v21, v[11:12]
	v_and_b32_e32 v23, 7, v23
; %bb.1115:                             ;   in Loop: Header=BB366_988 Depth=1
	s_or_b32 exec_lo, exec_lo, s20
	v_mov_b32_e32 v11, 24
	v_lshlrev_b32_e32 v21, 20, v23
	v_lshl_add_u32 v18, v18, 23, 0x3c000000
	v_lshlrev_b32_sdwa v11, v11, v22 dst_sel:DWORD dst_unused:UNUSED_PAD src0_sel:DWORD src1_sel:BYTE_3
	v_and_b32_e32 v11, 0x80000000, v11
	v_or3_b32 v18, v21, v11, v18
.LBB366_1116:                           ;   in Loop: Header=BB366_988 Depth=1
	s_or_b32 exec_lo, exec_lo, s19
.LBB366_1117:                           ;   in Loop: Header=BB366_988 Depth=1
	s_or_b32 exec_lo, exec_lo, s18
.LBB366_1118:                           ;   in Loop: Header=BB366_988 Depth=1
	s_or_b32 exec_lo, exec_lo, s15
	v_mul_f32_e32 v11, v55, v17
	v_mul_f32_e32 v14, v55, v14
	;; [unrolled: 1-line block ×5, first 2 shown]
	v_bfe_u32 v17, v11, 16, 1
	v_or_b32_e32 v21, 0x400000, v11
	v_bfe_u32 v22, v14, 16, 1
	v_cmp_u_f32_e64 s4, v11, v11
	v_or_b32_e32 v23, 0x400000, v14
	v_add3_u32 v17, v17, v11, 0x7fff
	v_bfe_u32 v24, v13, 16, 1
	v_add3_u32 v22, v22, v14, 0x7fff
	v_or_b32_e32 v26, 0x400000, v13
	v_bfe_u32 v28, v10, 16, 1
	v_cndmask_b32_e64 v11, v17, v21, s4
	v_cmp_u_f32_e64 s4, v14, v14
	v_add3_u32 v24, v24, v13, 0x7fff
	v_or_b32_e32 v17, 0x400000, v10
	v_mul_f32_e32 v0, v55, v0
	v_lshrrev_b32_e32 v11, 16, v11
	v_cndmask_b32_e64 v14, v22, v23, s4
	v_cmp_u_f32_e64 s4, v13, v13
	buffer_store_dword v11, off, s[0:3], s32 offset:248 ; 4-byte Folded Spill
	v_add3_u32 v11, v28, v10, 0x7fff
	v_cndmask_b32_e64 v13, v24, v26, s4
	v_lshrrev_b32_e32 v14, 16, v14
	v_cmp_u_f32_e64 s4, v10, v10
	v_lshrrev_b32_e32 v13, 16, v13
	buffer_store_dword v14, off, s[0:3], s32 offset:244 ; 4-byte Folded Spill
	v_cndmask_b32_e64 v10, v11, v17, s4
	v_mul_f32_e32 v11, v55, v25
	v_or_b32_e32 v14, 0x400000, v1
	buffer_store_dword v13, off, s[0:3], s32 offset:256 ; 4-byte Folded Spill
	v_bfe_u32 v13, v1, 16, 1
	v_mul_f32_e32 v17, v55, v18
	v_bfe_u32 v18, v0, 16, 1
	v_cmp_u_f32_e64 s4, v1, v1
	v_bfe_u32 v21, v11, 16, 1
	v_add3_u32 v13, v13, v1, 0x7fff
	v_or_b32_e32 v22, 0x400000, v11
	v_or_b32_e32 v23, 0x400000, v17
	v_lshrrev_b32_e32 v10, 16, v10
	v_add3_u32 v21, v21, v11, 0x7fff
	v_cndmask_b32_e64 v1, v13, v14, s4
	v_add3_u32 v14, v18, v0, 0x7fff
	v_or_b32_e32 v18, 0x400000, v0
	v_cmp_u_f32_e64 s4, v0, v0
	v_bfe_u32 v13, v17, 16, 1
	v_lshrrev_b32_e32 v1, 16, v1
	buffer_store_dword v10, off, s[0:3], s32 offset:252 ; 4-byte Folded Spill
	v_cndmask_b32_e64 v0, v14, v18, s4
	v_cmp_u_f32_e64 s4, v11, v11
	v_add3_u32 v13, v13, v17, 0x7fff
	buffer_store_dword v1, off, s[0:3], s32 offset:264 ; 4-byte Folded Spill
	v_lshrrev_b32_e32 v0, 16, v0
	v_cndmask_b32_e64 v11, v21, v22, s4
	v_cmp_u_f32_e64 s4, v17, v17
	buffer_store_dword v0, off, s[0:3], s32 offset:260 ; 4-byte Folded Spill
	v_lshrrev_b32_e32 v0, 16, v11
	v_cndmask_b32_e64 v13, v13, v23, s4
	buffer_store_dword v0, off, s[0:3], s32 offset:232 ; 4-byte Folded Spill
	v_lshrrev_b32_e32 v0, 16, v13
	buffer_store_dword v0, off, s[0:3], s32 offset:236 ; 4-byte Folded Spill
	s_and_saveexec_b32 s15, vcc_lo
	s_cbranch_execz .LBB366_1120
; %bb.1119:                             ;   in Loop: Header=BB366_988 Depth=1
	buffer_load_dword v0, off, s[0:3], s32 offset:260 ; 4-byte Folded Reload
	v_cmp_lt_i32_e64 s4, v56, v30
	s_waitcnt vmcnt(0)
	v_cndmask_b32_e64 v0, 0, v0, s4
	v_cmp_lt_i32_e64 s4, v62, v30
	buffer_store_dword v0, off, s[0:3], s32 offset:260 ; 4-byte Folded Spill
	buffer_load_dword v0, off, s[0:3], s32 offset:264 ; 4-byte Folded Reload
	s_waitcnt vmcnt(0)
	v_cndmask_b32_e64 v0, 0, v0, s4
	v_cmp_lt_i32_e64 s4, v61, v30
	buffer_store_dword v0, off, s[0:3], s32 offset:264 ; 4-byte Folded Spill
	buffer_load_dword v0, off, s[0:3], s32 offset:252 ; 4-byte Folded Reload
	;; [unrolled: 5-line block ×7, first 2 shown]
	s_waitcnt vmcnt(0)
	v_cndmask_b32_e64 v0, 0, v0, s4
	buffer_store_dword v0, off, s[0:3], s32 offset:236 ; 4-byte Folded Spill
.LBB366_1120:                           ;   in Loop: Header=BB366_988 Depth=1
	s_or_b32 exec_lo, exec_lo, s15
	flat_load_dwordx2 v[21:22], v[19:20] offset:512
	v_mov_b32_e32 v1, 0
	v_mov_b32_e32 v0, 0
	s_waitcnt vmcnt(0) lgkmcnt(0)
	v_cmp_ne_u16_sdwa s4, v21, v12 src0_sel:BYTE_0 src1_sel:DWORD
	s_and_saveexec_b32 s15, s4
	s_cbranch_execz .LBB366_1128
; %bb.1121:                             ;   in Loop: Header=BB366_988 Depth=1
	v_cmp_ne_u16_sdwa s4, v21, v66 src0_sel:BYTE_0 src1_sel:DWORD
	v_bfrev_b32_e32 v0, 1
	s_and_saveexec_b32 s18, s4
	s_cbranch_execz .LBB366_1127
; %bb.1122:                             ;   in Loop: Header=BB366_988 Depth=1
	v_and_b32_e32 v10, 0x7f, v21
	v_mov_b32_e32 v0, 0x7f800001
	s_mov_b32 s19, exec_lo
	v_cmpx_ne_u32_e32 0x7f, v10
	s_cbranch_execz .LBB366_1126
; %bb.1123:                             ;   in Loop: Header=BB366_988 Depth=1
	v_lshrrev_b32_e32 v0, 3, v10
	v_cmp_gt_u32_e64 s4, 8, v10
	v_mov_b32_e32 v10, v21
	v_mov_b32_e32 v11, v22
	s_and_saveexec_b32 s20, s4
; %bb.1124:                             ;   in Loop: Header=BB366_988 Depth=1
	v_and_b32_e32 v0, 7, v21
	v_ffbh_u32_e32 v0, v0
	v_min_u32_e32 v0, 32, v0
	v_subrev_nc_u32_e32 v10, 28, v0
	v_sub_nc_u32_e32 v0, 29, v0
	v_lshlrev_b64 v[10:11], v10, v[21:22]
; %bb.1125:                             ;   in Loop: Header=BB366_988 Depth=1
	s_or_b32 exec_lo, exec_lo, s20
	v_lshlrev_b32_e32 v10, 20, v10
	v_lshlrev_b32_e32 v11, 24, v21
	v_lshl_add_u32 v0, v0, 23, 0x3c000000
	v_and_b32_e32 v10, 0x700000, v10
	v_and_b32_e32 v11, 0x80000000, v11
	v_or3_b32 v0, v10, v11, v0
.LBB366_1126:                           ;   in Loop: Header=BB366_988 Depth=1
	s_or_b32 exec_lo, exec_lo, s19
.LBB366_1127:                           ;   in Loop: Header=BB366_988 Depth=1
	s_or_b32 exec_lo, exec_lo, s18
.LBB366_1128:                           ;   in Loop: Header=BB366_988 Depth=1
	s_or_b32 exec_lo, exec_lo, s15
	v_cmp_ne_u16_sdwa s4, v21, v12 src0_sel:BYTE_1 src1_sel:DWORD
	s_and_saveexec_b32 s15, s4
	s_cbranch_execz .LBB366_1136
; %bb.1129:                             ;   in Loop: Header=BB366_988 Depth=1
	v_cmp_ne_u16_sdwa s4, v21, v66 src0_sel:BYTE_1 src1_sel:DWORD
	v_bfrev_b32_e32 v1, 1
	s_and_saveexec_b32 s18, s4
	s_cbranch_execz .LBB366_1135
; %bb.1130:                             ;   in Loop: Header=BB366_988 Depth=1
	v_mov_b32_e32 v1, 0xffff
	s_mov_b32 s19, exec_lo
	v_and_b32_sdwa v11, v1, v21 dst_sel:DWORD dst_unused:UNUSED_PAD src0_sel:DWORD src1_sel:BYTE_1
	v_mov_b32_e32 v1, 0x7f800001
	v_and_b32_e32 v10, 0x7f, v11
	v_cmpx_ne_u32_e32 0x7f, v10
	s_cbranch_execz .LBB366_1134
; %bb.1131:                             ;   in Loop: Header=BB366_988 Depth=1
	v_and_b32_e32 v11, 7, v11
	v_mov_b32_e32 v24, v12
	v_lshrrev_b32_e32 v1, 3, v10
	s_mov_b32 s20, exec_lo
	v_mov_b32_e32 v23, v11
	v_cmpx_gt_u32_e32 8, v10
; %bb.1132:                             ;   in Loop: Header=BB366_988 Depth=1
	v_ffbh_u32_e32 v1, v11
	v_min_u32_e32 v1, 32, v1
	v_subrev_nc_u32_e32 v10, 28, v1
	v_sub_nc_u32_e32 v1, 29, v1
	v_lshlrev_b64 v[10:11], v10, v[11:12]
	v_and_b32_e32 v23, 7, v10
; %bb.1133:                             ;   in Loop: Header=BB366_988 Depth=1
	s_or_b32 exec_lo, exec_lo, s20
	v_lshlrev_b32_e32 v10, 16, v21
	v_lshlrev_b32_e32 v11, 20, v23
	v_lshl_add_u32 v1, v1, 23, 0x3c000000
	v_and_b32_e32 v10, 0x80000000, v10
	v_or3_b32 v1, v11, v10, v1
.LBB366_1134:                           ;   in Loop: Header=BB366_988 Depth=1
	s_or_b32 exec_lo, exec_lo, s19
.LBB366_1135:                           ;   in Loop: Header=BB366_988 Depth=1
	s_or_b32 exec_lo, exec_lo, s18
.LBB366_1136:                           ;   in Loop: Header=BB366_988 Depth=1
	s_or_b32 exec_lo, exec_lo, s15
	v_and_b32_sdwa v11, v21, v68 dst_sel:DWORD dst_unused:UNUSED_PAD src0_sel:WORD_1 src1_sel:DWORD
	v_mov_b32_e32 v13, 0
	v_mov_b32_e32 v10, 0
	s_mov_b32 s15, exec_lo
	v_cmpx_ne_u16_e32 0, v11
	s_cbranch_execz .LBB366_1144
; %bb.1137:                             ;   in Loop: Header=BB366_988 Depth=1
	v_bfrev_b32_e32 v10, 1
	s_mov_b32 s18, exec_lo
	v_cmpx_ne_u16_e32 0x80, v11
	s_cbranch_execz .LBB366_1143
; %bb.1138:                             ;   in Loop: Header=BB366_988 Depth=1
	v_bfe_u32 v14, v21, 16, 7
	v_mov_b32_e32 v10, 0x7f800001
	s_mov_b32 s19, exec_lo
	v_cmpx_ne_u32_e32 0x7f, v14
	s_cbranch_execz .LBB366_1142
; %bb.1139:                             ;   in Loop: Header=BB366_988 Depth=1
	v_mov_b32_e32 v10, 7
	s_mov_b32 s20, exec_lo
	v_and_b32_sdwa v11, v21, v10 dst_sel:DWORD dst_unused:UNUSED_PAD src0_sel:WORD_1 src1_sel:DWORD
	v_mov_b32_e32 v24, v12
	v_lshrrev_b32_e32 v10, 3, v14
	v_mov_b32_e32 v23, v11
	v_cmpx_gt_u32_e32 8, v14
; %bb.1140:                             ;   in Loop: Header=BB366_988 Depth=1
	v_ffbh_u32_e32 v10, v11
	v_min_u32_e32 v10, 32, v10
	v_subrev_nc_u32_e32 v14, 28, v10
	v_sub_nc_u32_e32 v10, 29, v10
	v_lshlrev_b64 v[17:18], v14, v[11:12]
	v_and_b32_e32 v23, 7, v17
; %bb.1141:                             ;   in Loop: Header=BB366_988 Depth=1
	s_or_b32 exec_lo, exec_lo, s20
	v_mov_b32_e32 v11, 24
	v_lshlrev_b32_e32 v14, 20, v23
	v_lshl_add_u32 v10, v10, 23, 0x3c000000
	v_lshlrev_b32_sdwa v11, v11, v21 dst_sel:DWORD dst_unused:UNUSED_PAD src0_sel:DWORD src1_sel:WORD_1
	v_and_b32_e32 v11, 0x80000000, v11
	v_or3_b32 v10, v14, v11, v10
.LBB366_1142:                           ;   in Loop: Header=BB366_988 Depth=1
	s_or_b32 exec_lo, exec_lo, s19
.LBB366_1143:                           ;   in Loop: Header=BB366_988 Depth=1
	s_or_b32 exec_lo, exec_lo, s18
.LBB366_1144:                           ;   in Loop: Header=BB366_988 Depth=1
	s_or_b32 exec_lo, exec_lo, s15
	s_mov_b32 s15, exec_lo
	v_cmpx_lt_u32_e32 0xffffff, v21
	s_cbranch_execz .LBB366_1152
; %bb.1145:                             ;   in Loop: Header=BB366_988 Depth=1
	v_cmp_ne_u32_sdwa s4, v21, v66 src0_sel:BYTE_3 src1_sel:DWORD
	v_bfrev_b32_e32 v13, 1
	s_and_saveexec_b32 s18, s4
	s_cbranch_execz .LBB366_1151
; %bb.1146:                             ;   in Loop: Header=BB366_988 Depth=1
	v_bfe_u32 v14, v21, 24, 7
	v_mov_b32_e32 v13, 0x7f800001
	s_mov_b32 s19, exec_lo
	v_cmpx_ne_u32_e32 0x7f, v14
	s_cbranch_execz .LBB366_1150
; %bb.1147:                             ;   in Loop: Header=BB366_988 Depth=1
	v_mov_b32_e32 v11, 7
	v_lshrrev_b32_e32 v13, 3, v14
	s_mov_b32 s20, exec_lo
	v_and_b32_sdwa v11, v21, v11 dst_sel:DWORD dst_unused:UNUSED_PAD src0_sel:BYTE_3 src1_sel:DWORD
	v_mov_b32_e32 v24, v12
	v_mov_b32_e32 v23, v11
	v_cmpx_gt_u32_e32 8, v14
; %bb.1148:                             ;   in Loop: Header=BB366_988 Depth=1
	v_ffbh_u32_e32 v13, v11
	v_min_u32_e32 v13, 32, v13
	v_subrev_nc_u32_e32 v14, 28, v13
	v_sub_nc_u32_e32 v13, 29, v13
	v_lshlrev_b64 v[17:18], v14, v[11:12]
	v_and_b32_e32 v23, 7, v17
; %bb.1149:                             ;   in Loop: Header=BB366_988 Depth=1
	s_or_b32 exec_lo, exec_lo, s20
	v_mov_b32_e32 v11, 24
	v_lshlrev_b32_e32 v14, 20, v23
	v_lshl_add_u32 v13, v13, 23, 0x3c000000
	v_lshlrev_b32_sdwa v11, v11, v21 dst_sel:DWORD dst_unused:UNUSED_PAD src0_sel:DWORD src1_sel:BYTE_3
	v_and_b32_e32 v11, 0x80000000, v11
	v_or3_b32 v13, v14, v11, v13
.LBB366_1150:                           ;   in Loop: Header=BB366_988 Depth=1
	s_or_b32 exec_lo, exec_lo, s19
.LBB366_1151:                           ;   in Loop: Header=BB366_988 Depth=1
	s_or_b32 exec_lo, exec_lo, s18
.LBB366_1152:                           ;   in Loop: Header=BB366_988 Depth=1
	s_or_b32 exec_lo, exec_lo, s15
	v_mov_b32_e32 v11, v22
	v_cmp_ne_u16_sdwa s4, v22, v12 src0_sel:BYTE_0 src1_sel:DWORD
	v_mov_b32_e32 v17, 0
	v_mov_b32_e32 v14, 0
	s_and_saveexec_b32 s15, s4
	s_cbranch_execz .LBB366_1160
; %bb.1153:                             ;   in Loop: Header=BB366_988 Depth=1
	v_cmp_ne_u16_sdwa s4, v22, v66 src0_sel:BYTE_0 src1_sel:DWORD
	v_bfrev_b32_e32 v14, 1
	s_and_saveexec_b32 s18, s4
	s_cbranch_execz .LBB366_1159
; %bb.1154:                             ;   in Loop: Header=BB366_988 Depth=1
	v_and_b32_e32 v18, 0x7f, v22
	v_mov_b32_e32 v14, 0x7f800001
	s_mov_b32 s19, exec_lo
	v_cmpx_ne_u32_e32 0x7f, v18
	s_cbranch_execz .LBB366_1158
; %bb.1155:                             ;   in Loop: Header=BB366_988 Depth=1
	v_mov_b32_e32 v24, v12
	v_lshrrev_b32_e32 v14, 3, v18
	v_mov_b32_e32 v23, v11
	s_mov_b32 s20, exec_lo
	v_cmpx_gt_u32_e32 8, v18
; %bb.1156:                             ;   in Loop: Header=BB366_988 Depth=1
	v_and_b32_e32 v14, 7, v22
	v_ffbh_u32_e32 v14, v14
	v_min_u32_e32 v14, 32, v14
	v_subrev_nc_u32_e32 v18, 28, v14
	v_sub_nc_u32_e32 v14, 29, v14
	v_lshlrev_b64 v[23:24], v18, v[11:12]
; %bb.1157:                             ;   in Loop: Header=BB366_988 Depth=1
	s_or_b32 exec_lo, exec_lo, s20
	v_lshlrev_b32_e32 v18, 20, v23
	v_lshlrev_b32_e32 v23, 24, v11
	v_lshl_add_u32 v14, v14, 23, 0x3c000000
	v_and_b32_e32 v18, 0x700000, v18
	v_and_b32_e32 v23, 0x80000000, v23
	v_or3_b32 v14, v18, v23, v14
.LBB366_1158:                           ;   in Loop: Header=BB366_988 Depth=1
	s_or_b32 exec_lo, exec_lo, s19
.LBB366_1159:                           ;   in Loop: Header=BB366_988 Depth=1
	s_or_b32 exec_lo, exec_lo, s18
.LBB366_1160:                           ;   in Loop: Header=BB366_988 Depth=1
	s_or_b32 exec_lo, exec_lo, s15
	v_cmp_ne_u16_sdwa s4, v11, v12 src0_sel:BYTE_1 src1_sel:DWORD
	s_and_saveexec_b32 s15, s4
	s_cbranch_execz .LBB366_1168
; %bb.1161:                             ;   in Loop: Header=BB366_988 Depth=1
	v_cmp_ne_u16_sdwa s4, v11, v66 src0_sel:BYTE_1 src1_sel:DWORD
	v_bfrev_b32_e32 v17, 1
	s_and_saveexec_b32 s18, s4
	s_cbranch_execz .LBB366_1167
; %bb.1162:                             ;   in Loop: Header=BB366_988 Depth=1
	v_mov_b32_e32 v17, 0xffff
	s_mov_b32 s19, exec_lo
	v_and_b32_sdwa v23, v17, v11 dst_sel:DWORD dst_unused:UNUSED_PAD src0_sel:DWORD src1_sel:BYTE_1
	v_mov_b32_e32 v17, 0x7f800001
	v_and_b32_e32 v18, 0x7f, v23
	v_cmpx_ne_u32_e32 0x7f, v18
	s_cbranch_execz .LBB366_1166
; %bb.1163:                             ;   in Loop: Header=BB366_988 Depth=1
	v_and_b32_e32 v23, 7, v23
	v_mov_b32_e32 v24, v12
	v_lshrrev_b32_e32 v17, 3, v18
	s_mov_b32 s20, exec_lo
	v_cmpx_gt_u32_e32 8, v18
; %bb.1164:                             ;   in Loop: Header=BB366_988 Depth=1
	v_ffbh_u32_e32 v17, v23
	v_min_u32_e32 v17, 32, v17
	v_subrev_nc_u32_e32 v18, 28, v17
	v_sub_nc_u32_e32 v17, 29, v17
	v_lshlrev_b64 v[23:24], v18, v[23:24]
	v_and_b32_e32 v23, 7, v23
; %bb.1165:                             ;   in Loop: Header=BB366_988 Depth=1
	s_or_b32 exec_lo, exec_lo, s20
	v_lshlrev_b32_e32 v11, 16, v11
	v_lshlrev_b32_e32 v18, 20, v23
	v_lshl_add_u32 v17, v17, 23, 0x3c000000
	v_and_b32_e32 v11, 0x80000000, v11
	v_or3_b32 v17, v18, v11, v17
.LBB366_1166:                           ;   in Loop: Header=BB366_988 Depth=1
	s_or_b32 exec_lo, exec_lo, s19
.LBB366_1167:                           ;   in Loop: Header=BB366_988 Depth=1
	s_or_b32 exec_lo, exec_lo, s18
.LBB366_1168:                           ;   in Loop: Header=BB366_988 Depth=1
	s_or_b32 exec_lo, exec_lo, s15
	v_and_b32_sdwa v11, v22, v68 dst_sel:DWORD dst_unused:UNUSED_PAD src0_sel:WORD_1 src1_sel:DWORD
	v_mov_b32_e32 v18, 0
	v_mov_b32_e32 v25, 0
	s_mov_b32 s15, exec_lo
	v_cmpx_ne_u16_e32 0, v11
	s_cbranch_execz .LBB366_1176
; %bb.1169:                             ;   in Loop: Header=BB366_988 Depth=1
	v_bfrev_b32_e32 v25, 1
	s_mov_b32 s18, exec_lo
	v_cmpx_ne_u16_e32 0x80, v11
	s_cbranch_execz .LBB366_1175
; %bb.1170:                             ;   in Loop: Header=BB366_988 Depth=1
	v_bfe_u32 v23, v22, 16, 7
	v_mov_b32_e32 v25, 0x7f800001
	s_mov_b32 s19, exec_lo
	v_cmpx_ne_u32_e32 0x7f, v23
	s_cbranch_execz .LBB366_1174
; %bb.1171:                             ;   in Loop: Header=BB366_988 Depth=1
	v_mov_b32_e32 v11, 7
	v_lshrrev_b32_e32 v25, 3, v23
	v_cmp_gt_u32_e64 s4, 8, v23
	v_and_b32_sdwa v11, v22, v11 dst_sel:DWORD dst_unused:UNUSED_PAD src0_sel:WORD_1 src1_sel:DWORD
	v_mov_b32_e32 v24, v12
	v_mov_b32_e32 v23, v11
	s_and_saveexec_b32 s20, s4
; %bb.1172:                             ;   in Loop: Header=BB366_988 Depth=1
	v_ffbh_u32_e32 v23, v11
	v_min_u32_e32 v25, 32, v23
	v_subrev_nc_u32_e32 v23, 28, v25
	v_sub_nc_u32_e32 v25, 29, v25
	v_lshlrev_b64 v[23:24], v23, v[11:12]
	v_and_b32_e32 v23, 7, v23
; %bb.1173:                             ;   in Loop: Header=BB366_988 Depth=1
	s_or_b32 exec_lo, exec_lo, s20
	v_mov_b32_e32 v11, 24
	v_lshlrev_b32_e32 v23, 20, v23
	v_lshl_add_u32 v24, v25, 23, 0x3c000000
	v_lshlrev_b32_sdwa v11, v11, v22 dst_sel:DWORD dst_unused:UNUSED_PAD src0_sel:DWORD src1_sel:WORD_1
	v_and_b32_e32 v11, 0x80000000, v11
	v_or3_b32 v25, v23, v11, v24
.LBB366_1174:                           ;   in Loop: Header=BB366_988 Depth=1
	s_or_b32 exec_lo, exec_lo, s19
.LBB366_1175:                           ;   in Loop: Header=BB366_988 Depth=1
	s_or_b32 exec_lo, exec_lo, s18
.LBB366_1176:                           ;   in Loop: Header=BB366_988 Depth=1
	s_or_b32 exec_lo, exec_lo, s15
	s_mov_b32 s15, exec_lo
	v_cmpx_lt_u64_e64 s[6:7], v[21:22]
	s_cbranch_execz .LBB366_1184
; %bb.1177:                             ;   in Loop: Header=BB366_988 Depth=1
	v_cmp_ne_u32_sdwa s4, v22, v66 src0_sel:BYTE_3 src1_sel:DWORD
	v_bfrev_b32_e32 v18, 1
	s_and_saveexec_b32 s18, s4
	s_cbranch_execz .LBB366_1183
; %bb.1178:                             ;   in Loop: Header=BB366_988 Depth=1
	v_bfe_u32 v21, v22, 24, 7
	v_mov_b32_e32 v18, 0x7f800001
	s_mov_b32 s19, exec_lo
	v_cmpx_ne_u32_e32 0x7f, v21
	s_cbranch_execz .LBB366_1182
; %bb.1179:                             ;   in Loop: Header=BB366_988 Depth=1
	v_mov_b32_e32 v11, 7
	v_lshrrev_b32_e32 v18, 3, v21
	s_mov_b32 s20, exec_lo
	v_and_b32_sdwa v11, v22, v11 dst_sel:DWORD dst_unused:UNUSED_PAD src0_sel:BYTE_3 src1_sel:DWORD
	v_mov_b32_e32 v24, v12
	v_mov_b32_e32 v23, v11
	v_cmpx_gt_u32_e32 8, v21
; %bb.1180:                             ;   in Loop: Header=BB366_988 Depth=1
	v_ffbh_u32_e32 v18, v11
	v_min_u32_e32 v18, 32, v18
	v_subrev_nc_u32_e32 v21, 28, v18
	v_sub_nc_u32_e32 v18, 29, v18
	v_lshlrev_b64 v[23:24], v21, v[11:12]
	v_and_b32_e32 v23, 7, v23
; %bb.1181:                             ;   in Loop: Header=BB366_988 Depth=1
	s_or_b32 exec_lo, exec_lo, s20
	v_mov_b32_e32 v11, 24
	v_lshlrev_b32_e32 v21, 20, v23
	v_lshl_add_u32 v18, v18, 23, 0x3c000000
	v_lshlrev_b32_sdwa v11, v11, v22 dst_sel:DWORD dst_unused:UNUSED_PAD src0_sel:DWORD src1_sel:BYTE_3
	v_and_b32_e32 v11, 0x80000000, v11
	v_or3_b32 v18, v21, v11, v18
.LBB366_1182:                           ;   in Loop: Header=BB366_988 Depth=1
	s_or_b32 exec_lo, exec_lo, s19
.LBB366_1183:                           ;   in Loop: Header=BB366_988 Depth=1
	s_or_b32 exec_lo, exec_lo, s18
.LBB366_1184:                           ;   in Loop: Header=BB366_988 Depth=1
	s_or_b32 exec_lo, exec_lo, s15
	v_mul_f32_e32 v11, v55, v17
	v_mul_f32_e32 v14, v55, v14
	;; [unrolled: 1-line block ×5, first 2 shown]
	v_bfe_u32 v17, v11, 16, 1
	v_or_b32_e32 v21, 0x400000, v11
	v_bfe_u32 v22, v14, 16, 1
	v_cmp_u_f32_e64 s4, v11, v11
	v_or_b32_e32 v23, 0x400000, v14
	v_add3_u32 v17, v17, v11, 0x7fff
	v_bfe_u32 v24, v13, 16, 1
	v_add3_u32 v22, v22, v14, 0x7fff
	v_or_b32_e32 v26, 0x400000, v13
	v_bfe_u32 v28, v10, 16, 1
	v_cndmask_b32_e64 v11, v17, v21, s4
	v_cmp_u_f32_e64 s4, v14, v14
	v_add3_u32 v24, v24, v13, 0x7fff
	v_or_b32_e32 v17, 0x400000, v10
	v_mul_f32_e32 v0, v55, v0
	v_lshrrev_b32_e32 v11, 16, v11
	v_cndmask_b32_e64 v14, v22, v23, s4
	v_cmp_u_f32_e64 s4, v13, v13
	buffer_store_dword v11, off, s[0:3], s32 offset:280 ; 4-byte Folded Spill
	v_add3_u32 v11, v28, v10, 0x7fff
	v_cndmask_b32_e64 v13, v24, v26, s4
	v_lshrrev_b32_e32 v14, 16, v14
	v_cmp_u_f32_e64 s4, v10, v10
	v_lshrrev_b32_e32 v13, 16, v13
	buffer_store_dword v14, off, s[0:3], s32 offset:276 ; 4-byte Folded Spill
	v_cndmask_b32_e64 v10, v11, v17, s4
	v_mul_f32_e32 v11, v55, v25
	v_or_b32_e32 v14, 0x400000, v1
	buffer_store_dword v13, off, s[0:3], s32 offset:288 ; 4-byte Folded Spill
	v_bfe_u32 v13, v1, 16, 1
	v_mul_f32_e32 v17, v55, v18
	v_bfe_u32 v18, v0, 16, 1
	v_cmp_u_f32_e64 s4, v1, v1
	v_bfe_u32 v21, v11, 16, 1
	v_add3_u32 v13, v13, v1, 0x7fff
	v_or_b32_e32 v22, 0x400000, v11
	v_or_b32_e32 v23, 0x400000, v17
	v_lshrrev_b32_e32 v10, 16, v10
	v_add3_u32 v21, v21, v11, 0x7fff
	v_cndmask_b32_e64 v1, v13, v14, s4
	v_add3_u32 v14, v18, v0, 0x7fff
	v_or_b32_e32 v18, 0x400000, v0
	v_cmp_u_f32_e64 s4, v0, v0
	v_bfe_u32 v13, v17, 16, 1
	v_lshrrev_b32_e32 v1, 16, v1
	buffer_store_dword v10, off, s[0:3], s32 offset:284 ; 4-byte Folded Spill
	v_cndmask_b32_e64 v0, v14, v18, s4
	v_cmp_u_f32_e64 s4, v11, v11
	v_add3_u32 v13, v13, v17, 0x7fff
	buffer_store_dword v1, off, s[0:3], s32 offset:296 ; 4-byte Folded Spill
	v_lshrrev_b32_e32 v0, 16, v0
	v_cndmask_b32_e64 v11, v21, v22, s4
	v_cmp_u_f32_e64 s4, v17, v17
	buffer_store_dword v0, off, s[0:3], s32 offset:292 ; 4-byte Folded Spill
	v_lshrrev_b32_e32 v0, 16, v11
	v_cndmask_b32_e64 v13, v13, v23, s4
	buffer_store_dword v0, off, s[0:3], s32 offset:268 ; 4-byte Folded Spill
	v_lshrrev_b32_e32 v0, 16, v13
	buffer_store_dword v0, off, s[0:3], s32 offset:272 ; 4-byte Folded Spill
	s_and_saveexec_b32 s15, vcc_lo
	s_cbranch_execz .LBB366_1186
; %bb.1185:                             ;   in Loop: Header=BB366_988 Depth=1
	buffer_load_dword v0, off, s[0:3], s32 offset:292 ; 4-byte Folded Reload
	v_cmp_lt_i32_e64 s4, v56, v30
	s_waitcnt vmcnt(0)
	v_cndmask_b32_e64 v0, 0, v0, s4
	v_cmp_lt_i32_e64 s4, v62, v30
	buffer_store_dword v0, off, s[0:3], s32 offset:292 ; 4-byte Folded Spill
	buffer_load_dword v0, off, s[0:3], s32 offset:296 ; 4-byte Folded Reload
	s_waitcnt vmcnt(0)
	v_cndmask_b32_e64 v0, 0, v0, s4
	v_cmp_lt_i32_e64 s4, v61, v30
	buffer_store_dword v0, off, s[0:3], s32 offset:296 ; 4-byte Folded Spill
	buffer_load_dword v0, off, s[0:3], s32 offset:284 ; 4-byte Folded Reload
	;; [unrolled: 5-line block ×7, first 2 shown]
	s_waitcnt vmcnt(0)
	v_cndmask_b32_e64 v0, 0, v0, s4
	buffer_store_dword v0, off, s[0:3], s32 offset:272 ; 4-byte Folded Spill
.LBB366_1186:                           ;   in Loop: Header=BB366_988 Depth=1
	s_or_b32 exec_lo, exec_lo, s15
	flat_load_dwordx2 v[21:22], v[19:20] offset:768
	v_mov_b32_e32 v1, 0
	v_mov_b32_e32 v0, 0
	s_waitcnt vmcnt(0) lgkmcnt(0)
	v_cmp_ne_u16_sdwa s4, v21, v12 src0_sel:BYTE_0 src1_sel:DWORD
	s_and_saveexec_b32 s15, s4
	s_cbranch_execz .LBB366_1194
; %bb.1187:                             ;   in Loop: Header=BB366_988 Depth=1
	v_cmp_ne_u16_sdwa s4, v21, v66 src0_sel:BYTE_0 src1_sel:DWORD
	v_bfrev_b32_e32 v0, 1
	s_and_saveexec_b32 s18, s4
	s_cbranch_execz .LBB366_1193
; %bb.1188:                             ;   in Loop: Header=BB366_988 Depth=1
	v_and_b32_e32 v10, 0x7f, v21
	v_mov_b32_e32 v0, 0x7f800001
	s_mov_b32 s19, exec_lo
	v_cmpx_ne_u32_e32 0x7f, v10
	s_cbranch_execz .LBB366_1192
; %bb.1189:                             ;   in Loop: Header=BB366_988 Depth=1
	v_lshrrev_b32_e32 v0, 3, v10
	v_cmp_gt_u32_e64 s4, 8, v10
	v_mov_b32_e32 v10, v21
	v_mov_b32_e32 v11, v22
	s_and_saveexec_b32 s20, s4
; %bb.1190:                             ;   in Loop: Header=BB366_988 Depth=1
	v_and_b32_e32 v0, 7, v21
	v_ffbh_u32_e32 v0, v0
	v_min_u32_e32 v0, 32, v0
	v_subrev_nc_u32_e32 v10, 28, v0
	v_sub_nc_u32_e32 v0, 29, v0
	v_lshlrev_b64 v[10:11], v10, v[21:22]
; %bb.1191:                             ;   in Loop: Header=BB366_988 Depth=1
	s_or_b32 exec_lo, exec_lo, s20
	v_lshlrev_b32_e32 v10, 20, v10
	v_lshlrev_b32_e32 v11, 24, v21
	v_lshl_add_u32 v0, v0, 23, 0x3c000000
	v_and_b32_e32 v10, 0x700000, v10
	v_and_b32_e32 v11, 0x80000000, v11
	v_or3_b32 v0, v10, v11, v0
.LBB366_1192:                           ;   in Loop: Header=BB366_988 Depth=1
	s_or_b32 exec_lo, exec_lo, s19
.LBB366_1193:                           ;   in Loop: Header=BB366_988 Depth=1
	s_or_b32 exec_lo, exec_lo, s18
.LBB366_1194:                           ;   in Loop: Header=BB366_988 Depth=1
	s_or_b32 exec_lo, exec_lo, s15
	v_cmp_ne_u16_sdwa s4, v21, v12 src0_sel:BYTE_1 src1_sel:DWORD
	s_and_saveexec_b32 s15, s4
	s_cbranch_execz .LBB366_1202
; %bb.1195:                             ;   in Loop: Header=BB366_988 Depth=1
	v_cmp_ne_u16_sdwa s4, v21, v66 src0_sel:BYTE_1 src1_sel:DWORD
	v_bfrev_b32_e32 v1, 1
	s_and_saveexec_b32 s18, s4
	s_cbranch_execz .LBB366_1201
; %bb.1196:                             ;   in Loop: Header=BB366_988 Depth=1
	v_mov_b32_e32 v1, 0xffff
	s_mov_b32 s19, exec_lo
	v_and_b32_sdwa v11, v1, v21 dst_sel:DWORD dst_unused:UNUSED_PAD src0_sel:DWORD src1_sel:BYTE_1
	v_mov_b32_e32 v1, 0x7f800001
	v_and_b32_e32 v10, 0x7f, v11
	v_cmpx_ne_u32_e32 0x7f, v10
	s_cbranch_execz .LBB366_1200
; %bb.1197:                             ;   in Loop: Header=BB366_988 Depth=1
	v_and_b32_e32 v11, 7, v11
	v_mov_b32_e32 v24, v12
	v_lshrrev_b32_e32 v1, 3, v10
	s_mov_b32 s20, exec_lo
	v_mov_b32_e32 v23, v11
	v_cmpx_gt_u32_e32 8, v10
; %bb.1198:                             ;   in Loop: Header=BB366_988 Depth=1
	v_ffbh_u32_e32 v1, v11
	v_min_u32_e32 v1, 32, v1
	v_subrev_nc_u32_e32 v10, 28, v1
	v_sub_nc_u32_e32 v1, 29, v1
	v_lshlrev_b64 v[10:11], v10, v[11:12]
	v_and_b32_e32 v23, 7, v10
; %bb.1199:                             ;   in Loop: Header=BB366_988 Depth=1
	s_or_b32 exec_lo, exec_lo, s20
	v_lshlrev_b32_e32 v10, 16, v21
	v_lshlrev_b32_e32 v11, 20, v23
	v_lshl_add_u32 v1, v1, 23, 0x3c000000
	v_and_b32_e32 v10, 0x80000000, v10
	v_or3_b32 v1, v11, v10, v1
.LBB366_1200:                           ;   in Loop: Header=BB366_988 Depth=1
	s_or_b32 exec_lo, exec_lo, s19
.LBB366_1201:                           ;   in Loop: Header=BB366_988 Depth=1
	s_or_b32 exec_lo, exec_lo, s18
.LBB366_1202:                           ;   in Loop: Header=BB366_988 Depth=1
	s_or_b32 exec_lo, exec_lo, s15
	v_and_b32_sdwa v11, v21, v68 dst_sel:DWORD dst_unused:UNUSED_PAD src0_sel:WORD_1 src1_sel:DWORD
	v_mov_b32_e32 v13, 0
	v_mov_b32_e32 v10, 0
	s_mov_b32 s15, exec_lo
	v_cmpx_ne_u16_e32 0, v11
	s_cbranch_execz .LBB366_1210
; %bb.1203:                             ;   in Loop: Header=BB366_988 Depth=1
	v_bfrev_b32_e32 v10, 1
	s_mov_b32 s18, exec_lo
	v_cmpx_ne_u16_e32 0x80, v11
	s_cbranch_execz .LBB366_1209
; %bb.1204:                             ;   in Loop: Header=BB366_988 Depth=1
	v_bfe_u32 v14, v21, 16, 7
	v_mov_b32_e32 v10, 0x7f800001
	s_mov_b32 s19, exec_lo
	v_cmpx_ne_u32_e32 0x7f, v14
	s_cbranch_execz .LBB366_1208
; %bb.1205:                             ;   in Loop: Header=BB366_988 Depth=1
	v_mov_b32_e32 v10, 7
	s_mov_b32 s20, exec_lo
	v_and_b32_sdwa v11, v21, v10 dst_sel:DWORD dst_unused:UNUSED_PAD src0_sel:WORD_1 src1_sel:DWORD
	v_mov_b32_e32 v24, v12
	v_lshrrev_b32_e32 v10, 3, v14
	v_mov_b32_e32 v23, v11
	v_cmpx_gt_u32_e32 8, v14
; %bb.1206:                             ;   in Loop: Header=BB366_988 Depth=1
	v_ffbh_u32_e32 v10, v11
	v_min_u32_e32 v10, 32, v10
	v_subrev_nc_u32_e32 v14, 28, v10
	v_sub_nc_u32_e32 v10, 29, v10
	v_lshlrev_b64 v[17:18], v14, v[11:12]
	v_and_b32_e32 v23, 7, v17
; %bb.1207:                             ;   in Loop: Header=BB366_988 Depth=1
	s_or_b32 exec_lo, exec_lo, s20
	v_mov_b32_e32 v11, 24
	v_lshlrev_b32_e32 v14, 20, v23
	v_lshl_add_u32 v10, v10, 23, 0x3c000000
	v_lshlrev_b32_sdwa v11, v11, v21 dst_sel:DWORD dst_unused:UNUSED_PAD src0_sel:DWORD src1_sel:WORD_1
	v_and_b32_e32 v11, 0x80000000, v11
	v_or3_b32 v10, v14, v11, v10
.LBB366_1208:                           ;   in Loop: Header=BB366_988 Depth=1
	s_or_b32 exec_lo, exec_lo, s19
.LBB366_1209:                           ;   in Loop: Header=BB366_988 Depth=1
	s_or_b32 exec_lo, exec_lo, s18
.LBB366_1210:                           ;   in Loop: Header=BB366_988 Depth=1
	s_or_b32 exec_lo, exec_lo, s15
	s_mov_b32 s15, exec_lo
	v_cmpx_lt_u32_e32 0xffffff, v21
	s_cbranch_execz .LBB366_1218
; %bb.1211:                             ;   in Loop: Header=BB366_988 Depth=1
	v_cmp_ne_u32_sdwa s4, v21, v66 src0_sel:BYTE_3 src1_sel:DWORD
	v_bfrev_b32_e32 v13, 1
	s_and_saveexec_b32 s18, s4
	s_cbranch_execz .LBB366_1217
; %bb.1212:                             ;   in Loop: Header=BB366_988 Depth=1
	v_bfe_u32 v14, v21, 24, 7
	v_mov_b32_e32 v13, 0x7f800001
	s_mov_b32 s19, exec_lo
	v_cmpx_ne_u32_e32 0x7f, v14
	s_cbranch_execz .LBB366_1216
; %bb.1213:                             ;   in Loop: Header=BB366_988 Depth=1
	v_mov_b32_e32 v11, 7
	v_lshrrev_b32_e32 v13, 3, v14
	s_mov_b32 s20, exec_lo
	v_and_b32_sdwa v11, v21, v11 dst_sel:DWORD dst_unused:UNUSED_PAD src0_sel:BYTE_3 src1_sel:DWORD
	v_mov_b32_e32 v24, v12
	v_mov_b32_e32 v23, v11
	v_cmpx_gt_u32_e32 8, v14
; %bb.1214:                             ;   in Loop: Header=BB366_988 Depth=1
	v_ffbh_u32_e32 v13, v11
	v_min_u32_e32 v13, 32, v13
	v_subrev_nc_u32_e32 v14, 28, v13
	v_sub_nc_u32_e32 v13, 29, v13
	v_lshlrev_b64 v[17:18], v14, v[11:12]
	v_and_b32_e32 v23, 7, v17
; %bb.1215:                             ;   in Loop: Header=BB366_988 Depth=1
	s_or_b32 exec_lo, exec_lo, s20
	v_mov_b32_e32 v11, 24
	v_lshlrev_b32_e32 v14, 20, v23
	v_lshl_add_u32 v13, v13, 23, 0x3c000000
	v_lshlrev_b32_sdwa v11, v11, v21 dst_sel:DWORD dst_unused:UNUSED_PAD src0_sel:DWORD src1_sel:BYTE_3
	v_and_b32_e32 v11, 0x80000000, v11
	v_or3_b32 v13, v14, v11, v13
.LBB366_1216:                           ;   in Loop: Header=BB366_988 Depth=1
	s_or_b32 exec_lo, exec_lo, s19
.LBB366_1217:                           ;   in Loop: Header=BB366_988 Depth=1
	s_or_b32 exec_lo, exec_lo, s18
.LBB366_1218:                           ;   in Loop: Header=BB366_988 Depth=1
	s_or_b32 exec_lo, exec_lo, s15
	v_mov_b32_e32 v11, v22
	v_cmp_ne_u16_sdwa s4, v22, v12 src0_sel:BYTE_0 src1_sel:DWORD
	v_mov_b32_e32 v17, 0
	v_mov_b32_e32 v14, 0
	s_and_saveexec_b32 s15, s4
	s_cbranch_execz .LBB366_1226
; %bb.1219:                             ;   in Loop: Header=BB366_988 Depth=1
	v_cmp_ne_u16_sdwa s4, v22, v66 src0_sel:BYTE_0 src1_sel:DWORD
	v_bfrev_b32_e32 v14, 1
	s_and_saveexec_b32 s18, s4
	s_cbranch_execz .LBB366_1225
; %bb.1220:                             ;   in Loop: Header=BB366_988 Depth=1
	v_and_b32_e32 v18, 0x7f, v22
	v_mov_b32_e32 v14, 0x7f800001
	s_mov_b32 s19, exec_lo
	v_cmpx_ne_u32_e32 0x7f, v18
	s_cbranch_execz .LBB366_1224
; %bb.1221:                             ;   in Loop: Header=BB366_988 Depth=1
	v_mov_b32_e32 v24, v12
	v_lshrrev_b32_e32 v14, 3, v18
	v_mov_b32_e32 v23, v11
	s_mov_b32 s20, exec_lo
	v_cmpx_gt_u32_e32 8, v18
; %bb.1222:                             ;   in Loop: Header=BB366_988 Depth=1
	v_and_b32_e32 v14, 7, v22
	v_ffbh_u32_e32 v14, v14
	v_min_u32_e32 v14, 32, v14
	v_subrev_nc_u32_e32 v18, 28, v14
	v_sub_nc_u32_e32 v14, 29, v14
	v_lshlrev_b64 v[23:24], v18, v[11:12]
; %bb.1223:                             ;   in Loop: Header=BB366_988 Depth=1
	s_or_b32 exec_lo, exec_lo, s20
	v_lshlrev_b32_e32 v18, 20, v23
	v_lshlrev_b32_e32 v23, 24, v11
	v_lshl_add_u32 v14, v14, 23, 0x3c000000
	v_and_b32_e32 v18, 0x700000, v18
	v_and_b32_e32 v23, 0x80000000, v23
	v_or3_b32 v14, v18, v23, v14
.LBB366_1224:                           ;   in Loop: Header=BB366_988 Depth=1
	s_or_b32 exec_lo, exec_lo, s19
.LBB366_1225:                           ;   in Loop: Header=BB366_988 Depth=1
	s_or_b32 exec_lo, exec_lo, s18
.LBB366_1226:                           ;   in Loop: Header=BB366_988 Depth=1
	s_or_b32 exec_lo, exec_lo, s15
	v_cmp_ne_u16_sdwa s4, v11, v12 src0_sel:BYTE_1 src1_sel:DWORD
	s_and_saveexec_b32 s15, s4
	s_cbranch_execz .LBB366_1234
; %bb.1227:                             ;   in Loop: Header=BB366_988 Depth=1
	v_cmp_ne_u16_sdwa s4, v11, v66 src0_sel:BYTE_1 src1_sel:DWORD
	v_bfrev_b32_e32 v17, 1
	s_and_saveexec_b32 s18, s4
	s_cbranch_execz .LBB366_1233
; %bb.1228:                             ;   in Loop: Header=BB366_988 Depth=1
	v_mov_b32_e32 v17, 0xffff
	s_mov_b32 s19, exec_lo
	v_and_b32_sdwa v23, v17, v11 dst_sel:DWORD dst_unused:UNUSED_PAD src0_sel:DWORD src1_sel:BYTE_1
	v_mov_b32_e32 v17, 0x7f800001
	v_and_b32_e32 v18, 0x7f, v23
	v_cmpx_ne_u32_e32 0x7f, v18
	s_cbranch_execz .LBB366_1232
; %bb.1229:                             ;   in Loop: Header=BB366_988 Depth=1
	v_and_b32_e32 v23, 7, v23
	v_mov_b32_e32 v24, v12
	v_lshrrev_b32_e32 v17, 3, v18
	s_mov_b32 s20, exec_lo
	v_cmpx_gt_u32_e32 8, v18
; %bb.1230:                             ;   in Loop: Header=BB366_988 Depth=1
	v_ffbh_u32_e32 v17, v23
	v_min_u32_e32 v17, 32, v17
	v_subrev_nc_u32_e32 v18, 28, v17
	v_sub_nc_u32_e32 v17, 29, v17
	v_lshlrev_b64 v[23:24], v18, v[23:24]
	v_and_b32_e32 v23, 7, v23
; %bb.1231:                             ;   in Loop: Header=BB366_988 Depth=1
	s_or_b32 exec_lo, exec_lo, s20
	v_lshlrev_b32_e32 v11, 16, v11
	v_lshlrev_b32_e32 v18, 20, v23
	v_lshl_add_u32 v17, v17, 23, 0x3c000000
	v_and_b32_e32 v11, 0x80000000, v11
	v_or3_b32 v17, v18, v11, v17
.LBB366_1232:                           ;   in Loop: Header=BB366_988 Depth=1
	s_or_b32 exec_lo, exec_lo, s19
.LBB366_1233:                           ;   in Loop: Header=BB366_988 Depth=1
	s_or_b32 exec_lo, exec_lo, s18
.LBB366_1234:                           ;   in Loop: Header=BB366_988 Depth=1
	s_or_b32 exec_lo, exec_lo, s15
	v_and_b32_sdwa v11, v22, v68 dst_sel:DWORD dst_unused:UNUSED_PAD src0_sel:WORD_1 src1_sel:DWORD
	v_mov_b32_e32 v18, 0
	v_mov_b32_e32 v25, 0
	s_mov_b32 s15, exec_lo
	v_cmpx_ne_u16_e32 0, v11
	s_cbranch_execz .LBB366_1242
; %bb.1235:                             ;   in Loop: Header=BB366_988 Depth=1
	v_bfrev_b32_e32 v25, 1
	s_mov_b32 s18, exec_lo
	v_cmpx_ne_u16_e32 0x80, v11
	s_cbranch_execz .LBB366_1241
; %bb.1236:                             ;   in Loop: Header=BB366_988 Depth=1
	v_bfe_u32 v23, v22, 16, 7
	v_mov_b32_e32 v25, 0x7f800001
	s_mov_b32 s19, exec_lo
	v_cmpx_ne_u32_e32 0x7f, v23
	s_cbranch_execz .LBB366_1240
; %bb.1237:                             ;   in Loop: Header=BB366_988 Depth=1
	v_mov_b32_e32 v11, 7
	v_lshrrev_b32_e32 v25, 3, v23
	v_cmp_gt_u32_e64 s4, 8, v23
	v_and_b32_sdwa v11, v22, v11 dst_sel:DWORD dst_unused:UNUSED_PAD src0_sel:WORD_1 src1_sel:DWORD
	v_mov_b32_e32 v24, v12
	v_mov_b32_e32 v23, v11
	s_and_saveexec_b32 s20, s4
; %bb.1238:                             ;   in Loop: Header=BB366_988 Depth=1
	v_ffbh_u32_e32 v23, v11
	v_min_u32_e32 v25, 32, v23
	v_subrev_nc_u32_e32 v23, 28, v25
	v_sub_nc_u32_e32 v25, 29, v25
	v_lshlrev_b64 v[23:24], v23, v[11:12]
	v_and_b32_e32 v23, 7, v23
; %bb.1239:                             ;   in Loop: Header=BB366_988 Depth=1
	s_or_b32 exec_lo, exec_lo, s20
	v_mov_b32_e32 v11, 24
	v_lshlrev_b32_e32 v23, 20, v23
	v_lshl_add_u32 v24, v25, 23, 0x3c000000
	v_lshlrev_b32_sdwa v11, v11, v22 dst_sel:DWORD dst_unused:UNUSED_PAD src0_sel:DWORD src1_sel:WORD_1
	v_and_b32_e32 v11, 0x80000000, v11
	v_or3_b32 v25, v23, v11, v24
.LBB366_1240:                           ;   in Loop: Header=BB366_988 Depth=1
	s_or_b32 exec_lo, exec_lo, s19
.LBB366_1241:                           ;   in Loop: Header=BB366_988 Depth=1
	s_or_b32 exec_lo, exec_lo, s18
.LBB366_1242:                           ;   in Loop: Header=BB366_988 Depth=1
	s_or_b32 exec_lo, exec_lo, s15
	s_mov_b32 s15, exec_lo
	v_cmpx_lt_u64_e64 s[6:7], v[21:22]
	s_cbranch_execz .LBB366_1250
; %bb.1243:                             ;   in Loop: Header=BB366_988 Depth=1
	v_cmp_ne_u32_sdwa s4, v22, v66 src0_sel:BYTE_3 src1_sel:DWORD
	v_bfrev_b32_e32 v18, 1
	s_and_saveexec_b32 s18, s4
	s_cbranch_execz .LBB366_1249
; %bb.1244:                             ;   in Loop: Header=BB366_988 Depth=1
	v_bfe_u32 v21, v22, 24, 7
	v_mov_b32_e32 v18, 0x7f800001
	s_mov_b32 s19, exec_lo
	v_cmpx_ne_u32_e32 0x7f, v21
	s_cbranch_execz .LBB366_1248
; %bb.1245:                             ;   in Loop: Header=BB366_988 Depth=1
	v_mov_b32_e32 v11, 7
	v_lshrrev_b32_e32 v18, 3, v21
	s_mov_b32 s20, exec_lo
	v_and_b32_sdwa v11, v22, v11 dst_sel:DWORD dst_unused:UNUSED_PAD src0_sel:BYTE_3 src1_sel:DWORD
	v_mov_b32_e32 v24, v12
	v_mov_b32_e32 v23, v11
	v_cmpx_gt_u32_e32 8, v21
; %bb.1246:                             ;   in Loop: Header=BB366_988 Depth=1
	v_ffbh_u32_e32 v18, v11
	v_min_u32_e32 v18, 32, v18
	v_subrev_nc_u32_e32 v21, 28, v18
	v_sub_nc_u32_e32 v18, 29, v18
	v_lshlrev_b64 v[23:24], v21, v[11:12]
	v_and_b32_e32 v23, 7, v23
; %bb.1247:                             ;   in Loop: Header=BB366_988 Depth=1
	s_or_b32 exec_lo, exec_lo, s20
	v_mov_b32_e32 v11, 24
	v_lshlrev_b32_e32 v21, 20, v23
	v_lshl_add_u32 v18, v18, 23, 0x3c000000
	v_lshlrev_b32_sdwa v11, v11, v22 dst_sel:DWORD dst_unused:UNUSED_PAD src0_sel:DWORD src1_sel:BYTE_3
	v_and_b32_e32 v11, 0x80000000, v11
	v_or3_b32 v18, v21, v11, v18
.LBB366_1248:                           ;   in Loop: Header=BB366_988 Depth=1
	s_or_b32 exec_lo, exec_lo, s19
.LBB366_1249:                           ;   in Loop: Header=BB366_988 Depth=1
	s_or_b32 exec_lo, exec_lo, s18
.LBB366_1250:                           ;   in Loop: Header=BB366_988 Depth=1
	s_or_b32 exec_lo, exec_lo, s15
	v_mul_f32_e32 v11, v55, v17
	v_mul_f32_e32 v14, v55, v14
	;; [unrolled: 1-line block ×5, first 2 shown]
	v_bfe_u32 v17, v11, 16, 1
	v_or_b32_e32 v21, 0x400000, v11
	v_bfe_u32 v22, v14, 16, 1
	v_cmp_u_f32_e64 s4, v11, v11
	v_or_b32_e32 v23, 0x400000, v14
	v_add3_u32 v17, v17, v11, 0x7fff
	v_bfe_u32 v24, v13, 16, 1
	v_add3_u32 v22, v22, v14, 0x7fff
	v_or_b32_e32 v26, 0x400000, v13
	v_bfe_u32 v28, v10, 16, 1
	v_cndmask_b32_e64 v11, v17, v21, s4
	v_cmp_u_f32_e64 s4, v14, v14
	v_add3_u32 v24, v24, v13, 0x7fff
	v_or_b32_e32 v17, 0x400000, v10
	v_mul_f32_e32 v0, v55, v0
	v_lshrrev_b32_e32 v11, 16, v11
	v_cndmask_b32_e64 v14, v22, v23, s4
	v_cmp_u_f32_e64 s4, v13, v13
	buffer_store_dword v11, off, s[0:3], s32 offset:312 ; 4-byte Folded Spill
	v_add3_u32 v11, v28, v10, 0x7fff
	v_cndmask_b32_e64 v13, v24, v26, s4
	v_lshrrev_b32_e32 v14, 16, v14
	v_cmp_u_f32_e64 s4, v10, v10
	v_lshrrev_b32_e32 v13, 16, v13
	buffer_store_dword v14, off, s[0:3], s32 offset:304 ; 4-byte Folded Spill
	v_cndmask_b32_e64 v10, v11, v17, s4
	v_mul_f32_e32 v11, v55, v25
	v_or_b32_e32 v14, 0x400000, v1
	buffer_store_dword v13, off, s[0:3], s32 offset:316 ; 4-byte Folded Spill
	v_bfe_u32 v13, v1, 16, 1
	v_mul_f32_e32 v17, v55, v18
	v_bfe_u32 v18, v0, 16, 1
	v_cmp_u_f32_e64 s4, v1, v1
	v_bfe_u32 v21, v11, 16, 1
	v_add3_u32 v13, v13, v1, 0x7fff
	v_or_b32_e32 v22, 0x400000, v11
	v_or_b32_e32 v23, 0x400000, v17
	v_lshrrev_b32_e32 v10, 16, v10
	v_add3_u32 v21, v21, v11, 0x7fff
	v_cndmask_b32_e64 v1, v13, v14, s4
	v_add3_u32 v14, v18, v0, 0x7fff
	v_or_b32_e32 v18, 0x400000, v0
	v_cmp_u_f32_e64 s4, v0, v0
	v_bfe_u32 v13, v17, 16, 1
	v_lshrrev_b32_e32 v1, 16, v1
	buffer_store_dword v10, off, s[0:3], s32 offset:320 ; 4-byte Folded Spill
	v_cndmask_b32_e64 v0, v14, v18, s4
	v_cmp_u_f32_e64 s4, v11, v11
	v_add3_u32 v13, v13, v17, 0x7fff
	buffer_store_dword v1, off, s[0:3], s32 offset:328 ; 4-byte Folded Spill
	v_lshrrev_b32_e32 v0, 16, v0
	v_cndmask_b32_e64 v11, v21, v22, s4
	v_cmp_u_f32_e64 s4, v17, v17
	buffer_store_dword v0, off, s[0:3], s32 offset:324 ; 4-byte Folded Spill
	v_lshrrev_b32_e32 v0, 16, v11
	v_cndmask_b32_e64 v13, v13, v23, s4
	buffer_store_dword v0, off, s[0:3], s32 offset:300 ; 4-byte Folded Spill
	v_lshrrev_b32_e32 v0, 16, v13
	buffer_store_dword v0, off, s[0:3], s32 offset:308 ; 4-byte Folded Spill
	s_and_saveexec_b32 s15, vcc_lo
	s_cbranch_execz .LBB366_1252
; %bb.1251:                             ;   in Loop: Header=BB366_988 Depth=1
	buffer_load_dword v0, off, s[0:3], s32 offset:324 ; 4-byte Folded Reload
	v_cmp_lt_i32_e64 s4, v56, v30
	s_waitcnt vmcnt(0)
	v_cndmask_b32_e64 v0, 0, v0, s4
	v_cmp_lt_i32_e64 s4, v62, v30
	buffer_store_dword v0, off, s[0:3], s32 offset:324 ; 4-byte Folded Spill
	buffer_load_dword v0, off, s[0:3], s32 offset:328 ; 4-byte Folded Reload
	s_waitcnt vmcnt(0)
	v_cndmask_b32_e64 v0, 0, v0, s4
	v_cmp_lt_i32_e64 s4, v61, v30
	buffer_store_dword v0, off, s[0:3], s32 offset:328 ; 4-byte Folded Spill
	buffer_load_dword v0, off, s[0:3], s32 offset:320 ; 4-byte Folded Reload
	;; [unrolled: 5-line block ×7, first 2 shown]
	s_waitcnt vmcnt(0)
	v_cndmask_b32_e64 v0, 0, v0, s4
	buffer_store_dword v0, off, s[0:3], s32 offset:308 ; 4-byte Folded Spill
.LBB366_1252:                           ;   in Loop: Header=BB366_988 Depth=1
	s_or_b32 exec_lo, exec_lo, s15
	flat_load_dwordx2 v[21:22], v[19:20] offset:1024
	v_mov_b32_e32 v1, 0
	v_mov_b32_e32 v0, 0
	s_waitcnt vmcnt(0) lgkmcnt(0)
	v_cmp_ne_u16_sdwa s4, v21, v12 src0_sel:BYTE_0 src1_sel:DWORD
	s_and_saveexec_b32 s15, s4
	s_cbranch_execz .LBB366_1260
; %bb.1253:                             ;   in Loop: Header=BB366_988 Depth=1
	v_cmp_ne_u16_sdwa s4, v21, v66 src0_sel:BYTE_0 src1_sel:DWORD
	v_bfrev_b32_e32 v0, 1
	s_and_saveexec_b32 s18, s4
	s_cbranch_execz .LBB366_1259
; %bb.1254:                             ;   in Loop: Header=BB366_988 Depth=1
	v_and_b32_e32 v10, 0x7f, v21
	v_mov_b32_e32 v0, 0x7f800001
	s_mov_b32 s19, exec_lo
	v_cmpx_ne_u32_e32 0x7f, v10
	s_cbranch_execz .LBB366_1258
; %bb.1255:                             ;   in Loop: Header=BB366_988 Depth=1
	v_lshrrev_b32_e32 v0, 3, v10
	v_cmp_gt_u32_e64 s4, 8, v10
	v_mov_b32_e32 v10, v21
	v_mov_b32_e32 v11, v22
	s_and_saveexec_b32 s20, s4
; %bb.1256:                             ;   in Loop: Header=BB366_988 Depth=1
	v_and_b32_e32 v0, 7, v21
	v_ffbh_u32_e32 v0, v0
	v_min_u32_e32 v0, 32, v0
	v_subrev_nc_u32_e32 v10, 28, v0
	v_sub_nc_u32_e32 v0, 29, v0
	v_lshlrev_b64 v[10:11], v10, v[21:22]
; %bb.1257:                             ;   in Loop: Header=BB366_988 Depth=1
	s_or_b32 exec_lo, exec_lo, s20
	v_lshlrev_b32_e32 v10, 20, v10
	v_lshlrev_b32_e32 v11, 24, v21
	v_lshl_add_u32 v0, v0, 23, 0x3c000000
	v_and_b32_e32 v10, 0x700000, v10
	v_and_b32_e32 v11, 0x80000000, v11
	v_or3_b32 v0, v10, v11, v0
.LBB366_1258:                           ;   in Loop: Header=BB366_988 Depth=1
	s_or_b32 exec_lo, exec_lo, s19
.LBB366_1259:                           ;   in Loop: Header=BB366_988 Depth=1
	s_or_b32 exec_lo, exec_lo, s18
.LBB366_1260:                           ;   in Loop: Header=BB366_988 Depth=1
	s_or_b32 exec_lo, exec_lo, s15
	v_cmp_ne_u16_sdwa s4, v21, v12 src0_sel:BYTE_1 src1_sel:DWORD
	s_and_saveexec_b32 s15, s4
	s_cbranch_execz .LBB366_1268
; %bb.1261:                             ;   in Loop: Header=BB366_988 Depth=1
	v_cmp_ne_u16_sdwa s4, v21, v66 src0_sel:BYTE_1 src1_sel:DWORD
	v_bfrev_b32_e32 v1, 1
	s_and_saveexec_b32 s18, s4
	s_cbranch_execz .LBB366_1267
; %bb.1262:                             ;   in Loop: Header=BB366_988 Depth=1
	v_mov_b32_e32 v1, 0xffff
	s_mov_b32 s19, exec_lo
	v_and_b32_sdwa v11, v1, v21 dst_sel:DWORD dst_unused:UNUSED_PAD src0_sel:DWORD src1_sel:BYTE_1
	v_mov_b32_e32 v1, 0x7f800001
	v_and_b32_e32 v10, 0x7f, v11
	v_cmpx_ne_u32_e32 0x7f, v10
	s_cbranch_execz .LBB366_1266
; %bb.1263:                             ;   in Loop: Header=BB366_988 Depth=1
	v_and_b32_e32 v11, 7, v11
	v_mov_b32_e32 v24, v12
	v_lshrrev_b32_e32 v1, 3, v10
	s_mov_b32 s20, exec_lo
	v_mov_b32_e32 v23, v11
	v_cmpx_gt_u32_e32 8, v10
; %bb.1264:                             ;   in Loop: Header=BB366_988 Depth=1
	v_ffbh_u32_e32 v1, v11
	v_min_u32_e32 v1, 32, v1
	v_subrev_nc_u32_e32 v10, 28, v1
	v_sub_nc_u32_e32 v1, 29, v1
	v_lshlrev_b64 v[10:11], v10, v[11:12]
	v_and_b32_e32 v23, 7, v10
; %bb.1265:                             ;   in Loop: Header=BB366_988 Depth=1
	s_or_b32 exec_lo, exec_lo, s20
	v_lshlrev_b32_e32 v10, 16, v21
	v_lshlrev_b32_e32 v11, 20, v23
	v_lshl_add_u32 v1, v1, 23, 0x3c000000
	v_and_b32_e32 v10, 0x80000000, v10
	v_or3_b32 v1, v11, v10, v1
.LBB366_1266:                           ;   in Loop: Header=BB366_988 Depth=1
	s_or_b32 exec_lo, exec_lo, s19
.LBB366_1267:                           ;   in Loop: Header=BB366_988 Depth=1
	s_or_b32 exec_lo, exec_lo, s18
.LBB366_1268:                           ;   in Loop: Header=BB366_988 Depth=1
	s_or_b32 exec_lo, exec_lo, s15
	v_and_b32_sdwa v11, v21, v68 dst_sel:DWORD dst_unused:UNUSED_PAD src0_sel:WORD_1 src1_sel:DWORD
	v_mov_b32_e32 v13, 0
	v_mov_b32_e32 v10, 0
	s_mov_b32 s15, exec_lo
	v_cmpx_ne_u16_e32 0, v11
	s_cbranch_execz .LBB366_1276
; %bb.1269:                             ;   in Loop: Header=BB366_988 Depth=1
	v_bfrev_b32_e32 v10, 1
	s_mov_b32 s18, exec_lo
	v_cmpx_ne_u16_e32 0x80, v11
	s_cbranch_execz .LBB366_1275
; %bb.1270:                             ;   in Loop: Header=BB366_988 Depth=1
	v_bfe_u32 v14, v21, 16, 7
	v_mov_b32_e32 v10, 0x7f800001
	s_mov_b32 s19, exec_lo
	v_cmpx_ne_u32_e32 0x7f, v14
	s_cbranch_execz .LBB366_1274
; %bb.1271:                             ;   in Loop: Header=BB366_988 Depth=1
	v_mov_b32_e32 v10, 7
	s_mov_b32 s20, exec_lo
	v_and_b32_sdwa v11, v21, v10 dst_sel:DWORD dst_unused:UNUSED_PAD src0_sel:WORD_1 src1_sel:DWORD
	v_mov_b32_e32 v24, v12
	v_lshrrev_b32_e32 v10, 3, v14
	v_mov_b32_e32 v23, v11
	v_cmpx_gt_u32_e32 8, v14
; %bb.1272:                             ;   in Loop: Header=BB366_988 Depth=1
	v_ffbh_u32_e32 v10, v11
	v_min_u32_e32 v10, 32, v10
	v_subrev_nc_u32_e32 v14, 28, v10
	v_sub_nc_u32_e32 v10, 29, v10
	v_lshlrev_b64 v[17:18], v14, v[11:12]
	v_and_b32_e32 v23, 7, v17
; %bb.1273:                             ;   in Loop: Header=BB366_988 Depth=1
	s_or_b32 exec_lo, exec_lo, s20
	v_mov_b32_e32 v11, 24
	v_lshlrev_b32_e32 v14, 20, v23
	v_lshl_add_u32 v10, v10, 23, 0x3c000000
	v_lshlrev_b32_sdwa v11, v11, v21 dst_sel:DWORD dst_unused:UNUSED_PAD src0_sel:DWORD src1_sel:WORD_1
	v_and_b32_e32 v11, 0x80000000, v11
	v_or3_b32 v10, v14, v11, v10
.LBB366_1274:                           ;   in Loop: Header=BB366_988 Depth=1
	s_or_b32 exec_lo, exec_lo, s19
.LBB366_1275:                           ;   in Loop: Header=BB366_988 Depth=1
	s_or_b32 exec_lo, exec_lo, s18
.LBB366_1276:                           ;   in Loop: Header=BB366_988 Depth=1
	s_or_b32 exec_lo, exec_lo, s15
	s_mov_b32 s15, exec_lo
	v_cmpx_lt_u32_e32 0xffffff, v21
	s_cbranch_execz .LBB366_1284
; %bb.1277:                             ;   in Loop: Header=BB366_988 Depth=1
	v_cmp_ne_u32_sdwa s4, v21, v66 src0_sel:BYTE_3 src1_sel:DWORD
	v_bfrev_b32_e32 v13, 1
	s_and_saveexec_b32 s18, s4
	s_cbranch_execz .LBB366_1283
; %bb.1278:                             ;   in Loop: Header=BB366_988 Depth=1
	v_bfe_u32 v14, v21, 24, 7
	v_mov_b32_e32 v13, 0x7f800001
	s_mov_b32 s19, exec_lo
	v_cmpx_ne_u32_e32 0x7f, v14
	s_cbranch_execz .LBB366_1282
; %bb.1279:                             ;   in Loop: Header=BB366_988 Depth=1
	v_mov_b32_e32 v11, 7
	v_lshrrev_b32_e32 v13, 3, v14
	s_mov_b32 s20, exec_lo
	v_and_b32_sdwa v11, v21, v11 dst_sel:DWORD dst_unused:UNUSED_PAD src0_sel:BYTE_3 src1_sel:DWORD
	v_mov_b32_e32 v24, v12
	v_mov_b32_e32 v23, v11
	v_cmpx_gt_u32_e32 8, v14
; %bb.1280:                             ;   in Loop: Header=BB366_988 Depth=1
	v_ffbh_u32_e32 v13, v11
	v_min_u32_e32 v13, 32, v13
	v_subrev_nc_u32_e32 v14, 28, v13
	v_sub_nc_u32_e32 v13, 29, v13
	v_lshlrev_b64 v[17:18], v14, v[11:12]
	v_and_b32_e32 v23, 7, v17
; %bb.1281:                             ;   in Loop: Header=BB366_988 Depth=1
	s_or_b32 exec_lo, exec_lo, s20
	v_mov_b32_e32 v11, 24
	v_lshlrev_b32_e32 v14, 20, v23
	v_lshl_add_u32 v13, v13, 23, 0x3c000000
	v_lshlrev_b32_sdwa v11, v11, v21 dst_sel:DWORD dst_unused:UNUSED_PAD src0_sel:DWORD src1_sel:BYTE_3
	v_and_b32_e32 v11, 0x80000000, v11
	v_or3_b32 v13, v14, v11, v13
.LBB366_1282:                           ;   in Loop: Header=BB366_988 Depth=1
	s_or_b32 exec_lo, exec_lo, s19
.LBB366_1283:                           ;   in Loop: Header=BB366_988 Depth=1
	s_or_b32 exec_lo, exec_lo, s18
.LBB366_1284:                           ;   in Loop: Header=BB366_988 Depth=1
	s_or_b32 exec_lo, exec_lo, s15
	v_mov_b32_e32 v11, v22
	v_cmp_ne_u16_sdwa s4, v22, v12 src0_sel:BYTE_0 src1_sel:DWORD
	v_mov_b32_e32 v17, 0
	v_mov_b32_e32 v14, 0
	s_and_saveexec_b32 s15, s4
	s_cbranch_execz .LBB366_1292
; %bb.1285:                             ;   in Loop: Header=BB366_988 Depth=1
	v_cmp_ne_u16_sdwa s4, v22, v66 src0_sel:BYTE_0 src1_sel:DWORD
	v_bfrev_b32_e32 v14, 1
	s_and_saveexec_b32 s18, s4
	s_cbranch_execz .LBB366_1291
; %bb.1286:                             ;   in Loop: Header=BB366_988 Depth=1
	v_and_b32_e32 v18, 0x7f, v22
	v_mov_b32_e32 v14, 0x7f800001
	s_mov_b32 s19, exec_lo
	v_cmpx_ne_u32_e32 0x7f, v18
	s_cbranch_execz .LBB366_1290
; %bb.1287:                             ;   in Loop: Header=BB366_988 Depth=1
	v_mov_b32_e32 v24, v12
	v_lshrrev_b32_e32 v14, 3, v18
	v_mov_b32_e32 v23, v11
	s_mov_b32 s20, exec_lo
	v_cmpx_gt_u32_e32 8, v18
; %bb.1288:                             ;   in Loop: Header=BB366_988 Depth=1
	v_and_b32_e32 v14, 7, v22
	v_ffbh_u32_e32 v14, v14
	v_min_u32_e32 v14, 32, v14
	v_subrev_nc_u32_e32 v18, 28, v14
	v_sub_nc_u32_e32 v14, 29, v14
	v_lshlrev_b64 v[23:24], v18, v[11:12]
; %bb.1289:                             ;   in Loop: Header=BB366_988 Depth=1
	s_or_b32 exec_lo, exec_lo, s20
	v_lshlrev_b32_e32 v18, 20, v23
	v_lshlrev_b32_e32 v23, 24, v11
	v_lshl_add_u32 v14, v14, 23, 0x3c000000
	v_and_b32_e32 v18, 0x700000, v18
	v_and_b32_e32 v23, 0x80000000, v23
	v_or3_b32 v14, v18, v23, v14
.LBB366_1290:                           ;   in Loop: Header=BB366_988 Depth=1
	s_or_b32 exec_lo, exec_lo, s19
.LBB366_1291:                           ;   in Loop: Header=BB366_988 Depth=1
	s_or_b32 exec_lo, exec_lo, s18
.LBB366_1292:                           ;   in Loop: Header=BB366_988 Depth=1
	s_or_b32 exec_lo, exec_lo, s15
	v_cmp_ne_u16_sdwa s4, v11, v12 src0_sel:BYTE_1 src1_sel:DWORD
	s_and_saveexec_b32 s15, s4
	s_cbranch_execz .LBB366_1300
; %bb.1293:                             ;   in Loop: Header=BB366_988 Depth=1
	v_cmp_ne_u16_sdwa s4, v11, v66 src0_sel:BYTE_1 src1_sel:DWORD
	v_bfrev_b32_e32 v17, 1
	s_and_saveexec_b32 s18, s4
	s_cbranch_execz .LBB366_1299
; %bb.1294:                             ;   in Loop: Header=BB366_988 Depth=1
	v_mov_b32_e32 v17, 0xffff
	s_mov_b32 s19, exec_lo
	v_and_b32_sdwa v23, v17, v11 dst_sel:DWORD dst_unused:UNUSED_PAD src0_sel:DWORD src1_sel:BYTE_1
	v_mov_b32_e32 v17, 0x7f800001
	v_and_b32_e32 v18, 0x7f, v23
	v_cmpx_ne_u32_e32 0x7f, v18
	s_cbranch_execz .LBB366_1298
; %bb.1295:                             ;   in Loop: Header=BB366_988 Depth=1
	v_and_b32_e32 v23, 7, v23
	v_mov_b32_e32 v24, v12
	v_lshrrev_b32_e32 v17, 3, v18
	s_mov_b32 s20, exec_lo
	v_cmpx_gt_u32_e32 8, v18
; %bb.1296:                             ;   in Loop: Header=BB366_988 Depth=1
	v_ffbh_u32_e32 v17, v23
	v_min_u32_e32 v17, 32, v17
	v_subrev_nc_u32_e32 v18, 28, v17
	v_sub_nc_u32_e32 v17, 29, v17
	v_lshlrev_b64 v[23:24], v18, v[23:24]
	v_and_b32_e32 v23, 7, v23
; %bb.1297:                             ;   in Loop: Header=BB366_988 Depth=1
	s_or_b32 exec_lo, exec_lo, s20
	v_lshlrev_b32_e32 v11, 16, v11
	v_lshlrev_b32_e32 v18, 20, v23
	v_lshl_add_u32 v17, v17, 23, 0x3c000000
	v_and_b32_e32 v11, 0x80000000, v11
	v_or3_b32 v17, v18, v11, v17
.LBB366_1298:                           ;   in Loop: Header=BB366_988 Depth=1
	s_or_b32 exec_lo, exec_lo, s19
.LBB366_1299:                           ;   in Loop: Header=BB366_988 Depth=1
	s_or_b32 exec_lo, exec_lo, s18
.LBB366_1300:                           ;   in Loop: Header=BB366_988 Depth=1
	s_or_b32 exec_lo, exec_lo, s15
	v_and_b32_sdwa v11, v22, v68 dst_sel:DWORD dst_unused:UNUSED_PAD src0_sel:WORD_1 src1_sel:DWORD
	v_mov_b32_e32 v18, 0
	v_mov_b32_e32 v25, 0
	s_mov_b32 s15, exec_lo
	v_cmpx_ne_u16_e32 0, v11
	s_cbranch_execz .LBB366_1308
; %bb.1301:                             ;   in Loop: Header=BB366_988 Depth=1
	v_bfrev_b32_e32 v25, 1
	s_mov_b32 s18, exec_lo
	v_cmpx_ne_u16_e32 0x80, v11
	s_cbranch_execz .LBB366_1307
; %bb.1302:                             ;   in Loop: Header=BB366_988 Depth=1
	v_bfe_u32 v23, v22, 16, 7
	v_mov_b32_e32 v25, 0x7f800001
	s_mov_b32 s19, exec_lo
	v_cmpx_ne_u32_e32 0x7f, v23
	s_cbranch_execz .LBB366_1306
; %bb.1303:                             ;   in Loop: Header=BB366_988 Depth=1
	v_mov_b32_e32 v11, 7
	v_lshrrev_b32_e32 v25, 3, v23
	v_cmp_gt_u32_e64 s4, 8, v23
	v_and_b32_sdwa v11, v22, v11 dst_sel:DWORD dst_unused:UNUSED_PAD src0_sel:WORD_1 src1_sel:DWORD
	v_mov_b32_e32 v24, v12
	v_mov_b32_e32 v23, v11
	s_and_saveexec_b32 s20, s4
; %bb.1304:                             ;   in Loop: Header=BB366_988 Depth=1
	v_ffbh_u32_e32 v23, v11
	v_min_u32_e32 v25, 32, v23
	v_subrev_nc_u32_e32 v23, 28, v25
	v_sub_nc_u32_e32 v25, 29, v25
	v_lshlrev_b64 v[23:24], v23, v[11:12]
	v_and_b32_e32 v23, 7, v23
; %bb.1305:                             ;   in Loop: Header=BB366_988 Depth=1
	s_or_b32 exec_lo, exec_lo, s20
	v_mov_b32_e32 v11, 24
	v_lshlrev_b32_e32 v23, 20, v23
	v_lshl_add_u32 v24, v25, 23, 0x3c000000
	v_lshlrev_b32_sdwa v11, v11, v22 dst_sel:DWORD dst_unused:UNUSED_PAD src0_sel:DWORD src1_sel:WORD_1
	v_and_b32_e32 v11, 0x80000000, v11
	v_or3_b32 v25, v23, v11, v24
.LBB366_1306:                           ;   in Loop: Header=BB366_988 Depth=1
	s_or_b32 exec_lo, exec_lo, s19
.LBB366_1307:                           ;   in Loop: Header=BB366_988 Depth=1
	s_or_b32 exec_lo, exec_lo, s18
.LBB366_1308:                           ;   in Loop: Header=BB366_988 Depth=1
	s_or_b32 exec_lo, exec_lo, s15
	s_mov_b32 s15, exec_lo
	v_cmpx_lt_u64_e64 s[6:7], v[21:22]
	s_cbranch_execz .LBB366_1316
; %bb.1309:                             ;   in Loop: Header=BB366_988 Depth=1
	v_cmp_ne_u32_sdwa s4, v22, v66 src0_sel:BYTE_3 src1_sel:DWORD
	v_bfrev_b32_e32 v18, 1
	s_and_saveexec_b32 s18, s4
	s_cbranch_execz .LBB366_1315
; %bb.1310:                             ;   in Loop: Header=BB366_988 Depth=1
	v_bfe_u32 v21, v22, 24, 7
	v_mov_b32_e32 v18, 0x7f800001
	s_mov_b32 s19, exec_lo
	v_cmpx_ne_u32_e32 0x7f, v21
	s_cbranch_execz .LBB366_1314
; %bb.1311:                             ;   in Loop: Header=BB366_988 Depth=1
	v_mov_b32_e32 v11, 7
	v_lshrrev_b32_e32 v18, 3, v21
	s_mov_b32 s20, exec_lo
	v_and_b32_sdwa v11, v22, v11 dst_sel:DWORD dst_unused:UNUSED_PAD src0_sel:BYTE_3 src1_sel:DWORD
	v_mov_b32_e32 v24, v12
	v_mov_b32_e32 v23, v11
	v_cmpx_gt_u32_e32 8, v21
; %bb.1312:                             ;   in Loop: Header=BB366_988 Depth=1
	v_ffbh_u32_e32 v18, v11
	v_min_u32_e32 v18, 32, v18
	v_subrev_nc_u32_e32 v21, 28, v18
	v_sub_nc_u32_e32 v18, 29, v18
	v_lshlrev_b64 v[23:24], v21, v[11:12]
	v_and_b32_e32 v23, 7, v23
; %bb.1313:                             ;   in Loop: Header=BB366_988 Depth=1
	s_or_b32 exec_lo, exec_lo, s20
	v_mov_b32_e32 v11, 24
	v_lshlrev_b32_e32 v21, 20, v23
	v_lshl_add_u32 v18, v18, 23, 0x3c000000
	v_lshlrev_b32_sdwa v11, v11, v22 dst_sel:DWORD dst_unused:UNUSED_PAD src0_sel:DWORD src1_sel:BYTE_3
	v_and_b32_e32 v11, 0x80000000, v11
	v_or3_b32 v18, v21, v11, v18
.LBB366_1314:                           ;   in Loop: Header=BB366_988 Depth=1
	s_or_b32 exec_lo, exec_lo, s19
.LBB366_1315:                           ;   in Loop: Header=BB366_988 Depth=1
	s_or_b32 exec_lo, exec_lo, s18
.LBB366_1316:                           ;   in Loop: Header=BB366_988 Depth=1
	s_or_b32 exec_lo, exec_lo, s15
	v_mul_f32_e32 v11, v55, v17
	v_mul_f32_e32 v14, v55, v14
	;; [unrolled: 1-line block ×5, first 2 shown]
	v_bfe_u32 v17, v11, 16, 1
	v_or_b32_e32 v21, 0x400000, v11
	v_bfe_u32 v22, v14, 16, 1
	v_cmp_u_f32_e64 s4, v11, v11
	v_or_b32_e32 v23, 0x400000, v14
	v_add3_u32 v17, v17, v11, 0x7fff
	v_bfe_u32 v24, v13, 16, 1
	v_add3_u32 v22, v22, v14, 0x7fff
	v_or_b32_e32 v26, 0x400000, v13
	v_bfe_u32 v28, v10, 16, 1
	v_cndmask_b32_e64 v11, v17, v21, s4
	v_cmp_u_f32_e64 s4, v14, v14
	v_add3_u32 v24, v24, v13, 0x7fff
	v_or_b32_e32 v17, 0x400000, v10
	v_mul_f32_e32 v0, v55, v0
	v_lshrrev_b32_e32 v11, 16, v11
	v_cndmask_b32_e64 v14, v22, v23, s4
	v_cmp_u_f32_e64 s4, v13, v13
	buffer_store_dword v11, off, s[0:3], s32 offset:336 ; 4-byte Folded Spill
	v_add3_u32 v11, v28, v10, 0x7fff
	v_cndmask_b32_e64 v13, v24, v26, s4
	v_lshrrev_b32_e32 v14, 16, v14
	v_cmp_u_f32_e64 s4, v10, v10
	v_lshrrev_b32_e32 v13, 16, v13
	buffer_store_dword v14, off, s[0:3], s32 offset:332 ; 4-byte Folded Spill
	v_cndmask_b32_e64 v10, v11, v17, s4
	v_mul_f32_e32 v11, v55, v25
	v_or_b32_e32 v14, 0x400000, v1
	buffer_store_dword v13, off, s[0:3], s32 offset:348 ; 4-byte Folded Spill
	v_bfe_u32 v13, v1, 16, 1
	v_mul_f32_e32 v17, v55, v18
	v_bfe_u32 v18, v0, 16, 1
	v_cmp_u_f32_e64 s4, v1, v1
	v_bfe_u32 v21, v11, 16, 1
	v_add3_u32 v13, v13, v1, 0x7fff
	v_or_b32_e32 v22, 0x400000, v11
	v_or_b32_e32 v23, 0x400000, v17
	v_lshrrev_b32_e32 v76, 16, v10
	v_add3_u32 v21, v21, v11, 0x7fff
	v_cndmask_b32_e64 v1, v13, v14, s4
	v_add3_u32 v14, v18, v0, 0x7fff
	v_or_b32_e32 v18, 0x400000, v0
	v_cmp_u_f32_e64 s4, v0, v0
	v_bfe_u32 v13, v17, 16, 1
	v_lshrrev_b32_e32 v78, 16, v1
	v_cndmask_b32_e64 v0, v14, v18, s4
	v_cmp_u_f32_e64 s4, v11, v11
	v_add3_u32 v13, v13, v17, 0x7fff
	v_lshrrev_b32_e32 v77, 16, v0
	v_cndmask_b32_e64 v11, v21, v22, s4
	v_cmp_u_f32_e64 s4, v17, v17
	v_lshrrev_b32_e32 v0, 16, v11
	v_cndmask_b32_e64 v13, v13, v23, s4
	buffer_store_dword v0, off, s[0:3], s32 offset:340 ; 4-byte Folded Spill
	v_lshrrev_b32_e32 v0, 16, v13
	buffer_store_dword v0, off, s[0:3], s32 offset:344 ; 4-byte Folded Spill
	s_and_saveexec_b32 s15, vcc_lo
	s_cbranch_execz .LBB366_1318
; %bb.1317:                             ;   in Loop: Header=BB366_988 Depth=1
	buffer_load_dword v0, off, s[0:3], s32 offset:348 ; 4-byte Folded Reload
	v_cmp_lt_i32_e64 s4, v56, v30
	v_cndmask_b32_e64 v77, 0, v77, s4
	v_cmp_lt_i32_e64 s4, v62, v30
	v_cndmask_b32_e64 v78, 0, v78, s4
	;; [unrolled: 2-line block ×3, first 2 shown]
	v_cmp_lt_i32_e64 s4, v60, v30
	s_waitcnt vmcnt(0)
	v_cndmask_b32_e64 v0, 0, v0, s4
	v_cmp_lt_i32_e64 s4, v59, v30
	buffer_store_dword v0, off, s[0:3], s32 offset:348 ; 4-byte Folded Spill
	buffer_load_dword v0, off, s[0:3], s32 offset:332 ; 4-byte Folded Reload
	s_waitcnt vmcnt(0)
	v_cndmask_b32_e64 v0, 0, v0, s4
	v_cmp_lt_i32_e64 s4, v58, v30
	buffer_store_dword v0, off, s[0:3], s32 offset:332 ; 4-byte Folded Spill
	buffer_load_dword v0, off, s[0:3], s32 offset:336 ; 4-byte Folded Reload
	;; [unrolled: 5-line block ×4, first 2 shown]
	s_waitcnt vmcnt(0)
	v_cndmask_b32_e64 v0, 0, v0, s4
	buffer_store_dword v0, off, s[0:3], s32 offset:344 ; 4-byte Folded Spill
.LBB366_1318:                           ;   in Loop: Header=BB366_988 Depth=1
	s_or_b32 exec_lo, exec_lo, s15
	flat_load_dwordx2 v[21:22], v[19:20] offset:1280
	v_mov_b32_e32 v1, 0
	v_mov_b32_e32 v0, 0
	s_waitcnt vmcnt(0) lgkmcnt(0)
	v_cmp_ne_u16_sdwa s4, v21, v12 src0_sel:BYTE_0 src1_sel:DWORD
	s_and_saveexec_b32 s15, s4
	s_cbranch_execz .LBB366_1326
; %bb.1319:                             ;   in Loop: Header=BB366_988 Depth=1
	v_cmp_ne_u16_sdwa s4, v21, v66 src0_sel:BYTE_0 src1_sel:DWORD
	v_bfrev_b32_e32 v0, 1
	s_and_saveexec_b32 s18, s4
	s_cbranch_execz .LBB366_1325
; %bb.1320:                             ;   in Loop: Header=BB366_988 Depth=1
	v_and_b32_e32 v10, 0x7f, v21
	v_mov_b32_e32 v0, 0x7f800001
	s_mov_b32 s19, exec_lo
	v_cmpx_ne_u32_e32 0x7f, v10
	s_cbranch_execz .LBB366_1324
; %bb.1321:                             ;   in Loop: Header=BB366_988 Depth=1
	v_lshrrev_b32_e32 v0, 3, v10
	v_cmp_gt_u32_e64 s4, 8, v10
	v_mov_b32_e32 v10, v21
	v_mov_b32_e32 v11, v22
	s_and_saveexec_b32 s20, s4
; %bb.1322:                             ;   in Loop: Header=BB366_988 Depth=1
	v_and_b32_e32 v0, 7, v21
	v_ffbh_u32_e32 v0, v0
	v_min_u32_e32 v0, 32, v0
	v_subrev_nc_u32_e32 v10, 28, v0
	v_sub_nc_u32_e32 v0, 29, v0
	v_lshlrev_b64 v[10:11], v10, v[21:22]
; %bb.1323:                             ;   in Loop: Header=BB366_988 Depth=1
	s_or_b32 exec_lo, exec_lo, s20
	v_lshlrev_b32_e32 v10, 20, v10
	v_lshlrev_b32_e32 v11, 24, v21
	v_lshl_add_u32 v0, v0, 23, 0x3c000000
	v_and_b32_e32 v10, 0x700000, v10
	v_and_b32_e32 v11, 0x80000000, v11
	v_or3_b32 v0, v10, v11, v0
.LBB366_1324:                           ;   in Loop: Header=BB366_988 Depth=1
	s_or_b32 exec_lo, exec_lo, s19
.LBB366_1325:                           ;   in Loop: Header=BB366_988 Depth=1
	s_or_b32 exec_lo, exec_lo, s18
.LBB366_1326:                           ;   in Loop: Header=BB366_988 Depth=1
	s_or_b32 exec_lo, exec_lo, s15
	v_cmp_ne_u16_sdwa s4, v21, v12 src0_sel:BYTE_1 src1_sel:DWORD
	s_and_saveexec_b32 s15, s4
	s_cbranch_execz .LBB366_1334
; %bb.1327:                             ;   in Loop: Header=BB366_988 Depth=1
	v_cmp_ne_u16_sdwa s4, v21, v66 src0_sel:BYTE_1 src1_sel:DWORD
	v_bfrev_b32_e32 v1, 1
	s_and_saveexec_b32 s18, s4
	s_cbranch_execz .LBB366_1333
; %bb.1328:                             ;   in Loop: Header=BB366_988 Depth=1
	v_mov_b32_e32 v1, 0xffff
	s_mov_b32 s19, exec_lo
	v_and_b32_sdwa v11, v1, v21 dst_sel:DWORD dst_unused:UNUSED_PAD src0_sel:DWORD src1_sel:BYTE_1
	v_mov_b32_e32 v1, 0x7f800001
	v_and_b32_e32 v10, 0x7f, v11
	v_cmpx_ne_u32_e32 0x7f, v10
	s_cbranch_execz .LBB366_1332
; %bb.1329:                             ;   in Loop: Header=BB366_988 Depth=1
	v_and_b32_e32 v11, 7, v11
	v_mov_b32_e32 v24, v12
	v_lshrrev_b32_e32 v1, 3, v10
	s_mov_b32 s20, exec_lo
	v_mov_b32_e32 v23, v11
	v_cmpx_gt_u32_e32 8, v10
; %bb.1330:                             ;   in Loop: Header=BB366_988 Depth=1
	v_ffbh_u32_e32 v1, v11
	v_min_u32_e32 v1, 32, v1
	v_subrev_nc_u32_e32 v10, 28, v1
	v_sub_nc_u32_e32 v1, 29, v1
	v_lshlrev_b64 v[10:11], v10, v[11:12]
	v_and_b32_e32 v23, 7, v10
; %bb.1331:                             ;   in Loop: Header=BB366_988 Depth=1
	s_or_b32 exec_lo, exec_lo, s20
	v_lshlrev_b32_e32 v10, 16, v21
	v_lshlrev_b32_e32 v11, 20, v23
	v_lshl_add_u32 v1, v1, 23, 0x3c000000
	v_and_b32_e32 v10, 0x80000000, v10
	v_or3_b32 v1, v11, v10, v1
.LBB366_1332:                           ;   in Loop: Header=BB366_988 Depth=1
	s_or_b32 exec_lo, exec_lo, s19
.LBB366_1333:                           ;   in Loop: Header=BB366_988 Depth=1
	s_or_b32 exec_lo, exec_lo, s18
.LBB366_1334:                           ;   in Loop: Header=BB366_988 Depth=1
	s_or_b32 exec_lo, exec_lo, s15
	v_and_b32_sdwa v11, v21, v68 dst_sel:DWORD dst_unused:UNUSED_PAD src0_sel:WORD_1 src1_sel:DWORD
	v_mov_b32_e32 v13, 0
	v_mov_b32_e32 v10, 0
	s_mov_b32 s15, exec_lo
	v_cmpx_ne_u16_e32 0, v11
	s_cbranch_execz .LBB366_1342
; %bb.1335:                             ;   in Loop: Header=BB366_988 Depth=1
	v_bfrev_b32_e32 v10, 1
	s_mov_b32 s18, exec_lo
	v_cmpx_ne_u16_e32 0x80, v11
	s_cbranch_execz .LBB366_1341
; %bb.1336:                             ;   in Loop: Header=BB366_988 Depth=1
	v_bfe_u32 v14, v21, 16, 7
	v_mov_b32_e32 v10, 0x7f800001
	s_mov_b32 s19, exec_lo
	v_cmpx_ne_u32_e32 0x7f, v14
	s_cbranch_execz .LBB366_1340
; %bb.1337:                             ;   in Loop: Header=BB366_988 Depth=1
	v_mov_b32_e32 v10, 7
	s_mov_b32 s20, exec_lo
	v_and_b32_sdwa v11, v21, v10 dst_sel:DWORD dst_unused:UNUSED_PAD src0_sel:WORD_1 src1_sel:DWORD
	v_mov_b32_e32 v24, v12
	v_lshrrev_b32_e32 v10, 3, v14
	v_mov_b32_e32 v23, v11
	v_cmpx_gt_u32_e32 8, v14
; %bb.1338:                             ;   in Loop: Header=BB366_988 Depth=1
	v_ffbh_u32_e32 v10, v11
	v_min_u32_e32 v10, 32, v10
	v_subrev_nc_u32_e32 v14, 28, v10
	v_sub_nc_u32_e32 v10, 29, v10
	v_lshlrev_b64 v[17:18], v14, v[11:12]
	v_and_b32_e32 v23, 7, v17
; %bb.1339:                             ;   in Loop: Header=BB366_988 Depth=1
	s_or_b32 exec_lo, exec_lo, s20
	v_mov_b32_e32 v11, 24
	v_lshlrev_b32_e32 v14, 20, v23
	v_lshl_add_u32 v10, v10, 23, 0x3c000000
	v_lshlrev_b32_sdwa v11, v11, v21 dst_sel:DWORD dst_unused:UNUSED_PAD src0_sel:DWORD src1_sel:WORD_1
	v_and_b32_e32 v11, 0x80000000, v11
	v_or3_b32 v10, v14, v11, v10
.LBB366_1340:                           ;   in Loop: Header=BB366_988 Depth=1
	s_or_b32 exec_lo, exec_lo, s19
.LBB366_1341:                           ;   in Loop: Header=BB366_988 Depth=1
	s_or_b32 exec_lo, exec_lo, s18
.LBB366_1342:                           ;   in Loop: Header=BB366_988 Depth=1
	s_or_b32 exec_lo, exec_lo, s15
	s_mov_b32 s15, exec_lo
	v_cmpx_lt_u32_e32 0xffffff, v21
	s_cbranch_execz .LBB366_1350
; %bb.1343:                             ;   in Loop: Header=BB366_988 Depth=1
	v_cmp_ne_u32_sdwa s4, v21, v66 src0_sel:BYTE_3 src1_sel:DWORD
	v_bfrev_b32_e32 v13, 1
	s_and_saveexec_b32 s18, s4
	s_cbranch_execz .LBB366_1349
; %bb.1344:                             ;   in Loop: Header=BB366_988 Depth=1
	v_bfe_u32 v14, v21, 24, 7
	v_mov_b32_e32 v13, 0x7f800001
	s_mov_b32 s19, exec_lo
	v_cmpx_ne_u32_e32 0x7f, v14
	s_cbranch_execz .LBB366_1348
; %bb.1345:                             ;   in Loop: Header=BB366_988 Depth=1
	v_mov_b32_e32 v11, 7
	v_lshrrev_b32_e32 v13, 3, v14
	s_mov_b32 s20, exec_lo
	v_and_b32_sdwa v11, v21, v11 dst_sel:DWORD dst_unused:UNUSED_PAD src0_sel:BYTE_3 src1_sel:DWORD
	v_mov_b32_e32 v24, v12
	v_mov_b32_e32 v23, v11
	v_cmpx_gt_u32_e32 8, v14
; %bb.1346:                             ;   in Loop: Header=BB366_988 Depth=1
	v_ffbh_u32_e32 v13, v11
	v_min_u32_e32 v13, 32, v13
	v_subrev_nc_u32_e32 v14, 28, v13
	v_sub_nc_u32_e32 v13, 29, v13
	v_lshlrev_b64 v[17:18], v14, v[11:12]
	v_and_b32_e32 v23, 7, v17
; %bb.1347:                             ;   in Loop: Header=BB366_988 Depth=1
	s_or_b32 exec_lo, exec_lo, s20
	v_mov_b32_e32 v11, 24
	v_lshlrev_b32_e32 v14, 20, v23
	v_lshl_add_u32 v13, v13, 23, 0x3c000000
	v_lshlrev_b32_sdwa v11, v11, v21 dst_sel:DWORD dst_unused:UNUSED_PAD src0_sel:DWORD src1_sel:BYTE_3
	v_and_b32_e32 v11, 0x80000000, v11
	v_or3_b32 v13, v14, v11, v13
.LBB366_1348:                           ;   in Loop: Header=BB366_988 Depth=1
	s_or_b32 exec_lo, exec_lo, s19
.LBB366_1349:                           ;   in Loop: Header=BB366_988 Depth=1
	s_or_b32 exec_lo, exec_lo, s18
.LBB366_1350:                           ;   in Loop: Header=BB366_988 Depth=1
	s_or_b32 exec_lo, exec_lo, s15
	v_mov_b32_e32 v11, v22
	v_cmp_ne_u16_sdwa s4, v22, v12 src0_sel:BYTE_0 src1_sel:DWORD
	v_mov_b32_e32 v17, 0
	v_mov_b32_e32 v14, 0
	s_and_saveexec_b32 s15, s4
	s_cbranch_execz .LBB366_1358
; %bb.1351:                             ;   in Loop: Header=BB366_988 Depth=1
	v_cmp_ne_u16_sdwa s4, v22, v66 src0_sel:BYTE_0 src1_sel:DWORD
	v_bfrev_b32_e32 v14, 1
	s_and_saveexec_b32 s18, s4
	s_cbranch_execz .LBB366_1357
; %bb.1352:                             ;   in Loop: Header=BB366_988 Depth=1
	v_and_b32_e32 v18, 0x7f, v22
	v_mov_b32_e32 v14, 0x7f800001
	s_mov_b32 s19, exec_lo
	v_cmpx_ne_u32_e32 0x7f, v18
	s_cbranch_execz .LBB366_1356
; %bb.1353:                             ;   in Loop: Header=BB366_988 Depth=1
	v_mov_b32_e32 v24, v12
	v_lshrrev_b32_e32 v14, 3, v18
	v_mov_b32_e32 v23, v11
	s_mov_b32 s20, exec_lo
	v_cmpx_gt_u32_e32 8, v18
; %bb.1354:                             ;   in Loop: Header=BB366_988 Depth=1
	v_and_b32_e32 v14, 7, v22
	v_ffbh_u32_e32 v14, v14
	v_min_u32_e32 v14, 32, v14
	v_subrev_nc_u32_e32 v18, 28, v14
	v_sub_nc_u32_e32 v14, 29, v14
	v_lshlrev_b64 v[23:24], v18, v[11:12]
; %bb.1355:                             ;   in Loop: Header=BB366_988 Depth=1
	s_or_b32 exec_lo, exec_lo, s20
	v_lshlrev_b32_e32 v18, 20, v23
	v_lshlrev_b32_e32 v23, 24, v11
	v_lshl_add_u32 v14, v14, 23, 0x3c000000
	v_and_b32_e32 v18, 0x700000, v18
	v_and_b32_e32 v23, 0x80000000, v23
	v_or3_b32 v14, v18, v23, v14
.LBB366_1356:                           ;   in Loop: Header=BB366_988 Depth=1
	s_or_b32 exec_lo, exec_lo, s19
.LBB366_1357:                           ;   in Loop: Header=BB366_988 Depth=1
	s_or_b32 exec_lo, exec_lo, s18
.LBB366_1358:                           ;   in Loop: Header=BB366_988 Depth=1
	s_or_b32 exec_lo, exec_lo, s15
	v_cmp_ne_u16_sdwa s4, v11, v12 src0_sel:BYTE_1 src1_sel:DWORD
	s_and_saveexec_b32 s15, s4
	s_cbranch_execz .LBB366_1366
; %bb.1359:                             ;   in Loop: Header=BB366_988 Depth=1
	v_cmp_ne_u16_sdwa s4, v11, v66 src0_sel:BYTE_1 src1_sel:DWORD
	v_bfrev_b32_e32 v17, 1
	s_and_saveexec_b32 s18, s4
	s_cbranch_execz .LBB366_1365
; %bb.1360:                             ;   in Loop: Header=BB366_988 Depth=1
	v_mov_b32_e32 v17, 0xffff
	s_mov_b32 s19, exec_lo
	v_and_b32_sdwa v23, v17, v11 dst_sel:DWORD dst_unused:UNUSED_PAD src0_sel:DWORD src1_sel:BYTE_1
	v_mov_b32_e32 v17, 0x7f800001
	v_and_b32_e32 v18, 0x7f, v23
	v_cmpx_ne_u32_e32 0x7f, v18
	s_cbranch_execz .LBB366_1364
; %bb.1361:                             ;   in Loop: Header=BB366_988 Depth=1
	v_and_b32_e32 v23, 7, v23
	v_mov_b32_e32 v24, v12
	v_lshrrev_b32_e32 v17, 3, v18
	s_mov_b32 s20, exec_lo
	v_cmpx_gt_u32_e32 8, v18
; %bb.1362:                             ;   in Loop: Header=BB366_988 Depth=1
	v_ffbh_u32_e32 v17, v23
	v_min_u32_e32 v17, 32, v17
	v_subrev_nc_u32_e32 v18, 28, v17
	v_sub_nc_u32_e32 v17, 29, v17
	v_lshlrev_b64 v[23:24], v18, v[23:24]
	v_and_b32_e32 v23, 7, v23
; %bb.1363:                             ;   in Loop: Header=BB366_988 Depth=1
	s_or_b32 exec_lo, exec_lo, s20
	v_lshlrev_b32_e32 v11, 16, v11
	v_lshlrev_b32_e32 v18, 20, v23
	v_lshl_add_u32 v17, v17, 23, 0x3c000000
	v_and_b32_e32 v11, 0x80000000, v11
	v_or3_b32 v17, v18, v11, v17
.LBB366_1364:                           ;   in Loop: Header=BB366_988 Depth=1
	s_or_b32 exec_lo, exec_lo, s19
.LBB366_1365:                           ;   in Loop: Header=BB366_988 Depth=1
	s_or_b32 exec_lo, exec_lo, s18
.LBB366_1366:                           ;   in Loop: Header=BB366_988 Depth=1
	s_or_b32 exec_lo, exec_lo, s15
	v_and_b32_sdwa v11, v22, v68 dst_sel:DWORD dst_unused:UNUSED_PAD src0_sel:WORD_1 src1_sel:DWORD
	v_mov_b32_e32 v18, 0
	v_mov_b32_e32 v25, 0
	s_mov_b32 s15, exec_lo
	v_cmpx_ne_u16_e32 0, v11
	s_cbranch_execz .LBB366_1374
; %bb.1367:                             ;   in Loop: Header=BB366_988 Depth=1
	v_bfrev_b32_e32 v25, 1
	s_mov_b32 s18, exec_lo
	v_cmpx_ne_u16_e32 0x80, v11
	s_cbranch_execz .LBB366_1373
; %bb.1368:                             ;   in Loop: Header=BB366_988 Depth=1
	v_bfe_u32 v23, v22, 16, 7
	v_mov_b32_e32 v25, 0x7f800001
	s_mov_b32 s19, exec_lo
	v_cmpx_ne_u32_e32 0x7f, v23
	s_cbranch_execz .LBB366_1372
; %bb.1369:                             ;   in Loop: Header=BB366_988 Depth=1
	v_mov_b32_e32 v11, 7
	v_lshrrev_b32_e32 v25, 3, v23
	v_cmp_gt_u32_e64 s4, 8, v23
	v_and_b32_sdwa v11, v22, v11 dst_sel:DWORD dst_unused:UNUSED_PAD src0_sel:WORD_1 src1_sel:DWORD
	v_mov_b32_e32 v24, v12
	v_mov_b32_e32 v23, v11
	s_and_saveexec_b32 s20, s4
; %bb.1370:                             ;   in Loop: Header=BB366_988 Depth=1
	v_ffbh_u32_e32 v23, v11
	v_min_u32_e32 v25, 32, v23
	v_subrev_nc_u32_e32 v23, 28, v25
	v_sub_nc_u32_e32 v25, 29, v25
	v_lshlrev_b64 v[23:24], v23, v[11:12]
	v_and_b32_e32 v23, 7, v23
; %bb.1371:                             ;   in Loop: Header=BB366_988 Depth=1
	s_or_b32 exec_lo, exec_lo, s20
	v_mov_b32_e32 v11, 24
	v_lshlrev_b32_e32 v23, 20, v23
	v_lshl_add_u32 v24, v25, 23, 0x3c000000
	v_lshlrev_b32_sdwa v11, v11, v22 dst_sel:DWORD dst_unused:UNUSED_PAD src0_sel:DWORD src1_sel:WORD_1
	v_and_b32_e32 v11, 0x80000000, v11
	v_or3_b32 v25, v23, v11, v24
.LBB366_1372:                           ;   in Loop: Header=BB366_988 Depth=1
	s_or_b32 exec_lo, exec_lo, s19
.LBB366_1373:                           ;   in Loop: Header=BB366_988 Depth=1
	s_or_b32 exec_lo, exec_lo, s18
.LBB366_1374:                           ;   in Loop: Header=BB366_988 Depth=1
	s_or_b32 exec_lo, exec_lo, s15
	s_mov_b32 s15, exec_lo
	v_cmpx_lt_u64_e64 s[6:7], v[21:22]
	s_cbranch_execz .LBB366_1382
; %bb.1375:                             ;   in Loop: Header=BB366_988 Depth=1
	v_cmp_ne_u32_sdwa s4, v22, v66 src0_sel:BYTE_3 src1_sel:DWORD
	v_bfrev_b32_e32 v18, 1
	s_and_saveexec_b32 s18, s4
	s_cbranch_execz .LBB366_1381
; %bb.1376:                             ;   in Loop: Header=BB366_988 Depth=1
	v_bfe_u32 v21, v22, 24, 7
	v_mov_b32_e32 v18, 0x7f800001
	s_mov_b32 s19, exec_lo
	v_cmpx_ne_u32_e32 0x7f, v21
	s_cbranch_execz .LBB366_1380
; %bb.1377:                             ;   in Loop: Header=BB366_988 Depth=1
	v_mov_b32_e32 v11, 7
	v_lshrrev_b32_e32 v18, 3, v21
	s_mov_b32 s20, exec_lo
	v_and_b32_sdwa v11, v22, v11 dst_sel:DWORD dst_unused:UNUSED_PAD src0_sel:BYTE_3 src1_sel:DWORD
	v_mov_b32_e32 v24, v12
	v_mov_b32_e32 v23, v11
	v_cmpx_gt_u32_e32 8, v21
; %bb.1378:                             ;   in Loop: Header=BB366_988 Depth=1
	v_ffbh_u32_e32 v18, v11
	v_min_u32_e32 v18, 32, v18
	v_subrev_nc_u32_e32 v21, 28, v18
	v_sub_nc_u32_e32 v18, 29, v18
	v_lshlrev_b64 v[23:24], v21, v[11:12]
	v_and_b32_e32 v23, 7, v23
; %bb.1379:                             ;   in Loop: Header=BB366_988 Depth=1
	s_or_b32 exec_lo, exec_lo, s20
	v_mov_b32_e32 v11, 24
	v_lshlrev_b32_e32 v21, 20, v23
	v_lshl_add_u32 v18, v18, 23, 0x3c000000
	v_lshlrev_b32_sdwa v11, v11, v22 dst_sel:DWORD dst_unused:UNUSED_PAD src0_sel:DWORD src1_sel:BYTE_3
	v_and_b32_e32 v11, 0x80000000, v11
	v_or3_b32 v18, v21, v11, v18
.LBB366_1380:                           ;   in Loop: Header=BB366_988 Depth=1
	s_or_b32 exec_lo, exec_lo, s19
.LBB366_1381:                           ;   in Loop: Header=BB366_988 Depth=1
	s_or_b32 exec_lo, exec_lo, s18
.LBB366_1382:                           ;   in Loop: Header=BB366_988 Depth=1
	s_or_b32 exec_lo, exec_lo, s15
	v_mul_f32_e32 v11, v55, v17
	v_mul_f32_e32 v14, v55, v14
	;; [unrolled: 1-line block ×5, first 2 shown]
	v_bfe_u32 v17, v11, 16, 1
	v_or_b32_e32 v21, 0x400000, v11
	v_bfe_u32 v22, v14, 16, 1
	v_cmp_u_f32_e64 s4, v11, v11
	v_or_b32_e32 v23, 0x400000, v14
	v_add3_u32 v17, v17, v11, 0x7fff
	v_bfe_u32 v24, v13, 16, 1
	v_add3_u32 v22, v22, v14, 0x7fff
	v_or_b32_e32 v26, 0x400000, v13
	v_bfe_u32 v28, v10, 16, 1
	v_cndmask_b32_e64 v11, v17, v21, s4
	v_cmp_u_f32_e64 s4, v14, v14
	v_add3_u32 v24, v24, v13, 0x7fff
	v_or_b32_e32 v17, 0x400000, v10
	v_mul_f32_e32 v0, v55, v0
	v_lshrrev_b32_e32 v88, 16, v11
	v_cndmask_b32_e64 v14, v22, v23, s4
	v_cmp_u_f32_e64 s4, v13, v13
	v_add3_u32 v11, v28, v10, 0x7fff
	v_lshrrev_b32_e32 v79, 16, v14
	v_cndmask_b32_e64 v13, v24, v26, s4
	v_cmp_u_f32_e64 s4, v10, v10
	v_or_b32_e32 v14, 0x400000, v1
	v_lshrrev_b32_e32 v91, 16, v13
	v_bfe_u32 v13, v1, 16, 1
	v_cndmask_b32_e64 v10, v11, v17, s4
	v_mul_f32_e32 v11, v55, v25
	v_mul_f32_e32 v17, v55, v18
	v_bfe_u32 v18, v0, 16, 1
	v_add3_u32 v13, v13, v1, 0x7fff
	v_cmp_u_f32_e64 s4, v1, v1
	v_bfe_u32 v21, v11, 16, 1
	v_or_b32_e32 v22, 0x400000, v11
	v_or_b32_e32 v23, 0x400000, v17
	v_lshrrev_b32_e32 v92, 16, v10
	v_cndmask_b32_e64 v1, v13, v14, s4
	v_add3_u32 v14, v18, v0, 0x7fff
	v_or_b32_e32 v18, 0x400000, v0
	v_cmp_u_f32_e64 s4, v0, v0
	v_bfe_u32 v13, v17, 16, 1
	v_add3_u32 v21, v21, v11, 0x7fff
	v_lshrrev_b32_e32 v94, 16, v1
	v_cndmask_b32_e64 v0, v14, v18, s4
	v_cmp_u_f32_e64 s4, v11, v11
	v_add3_u32 v13, v13, v17, 0x7fff
	v_lshrrev_b32_e32 v93, 16, v0
	v_cndmask_b32_e64 v11, v21, v22, s4
	v_cmp_u_f32_e64 s4, v17, v17
	v_lshrrev_b32_e32 v89, 16, v11
	v_cndmask_b32_e64 v13, v13, v23, s4
	v_lshrrev_b32_e32 v90, 16, v13
	s_and_saveexec_b32 s15, vcc_lo
	s_cbranch_execz .LBB366_1384
; %bb.1383:                             ;   in Loop: Header=BB366_988 Depth=1
	v_cmp_lt_i32_e64 s4, v56, v30
	v_cndmask_b32_e64 v93, 0, v93, s4
	v_cmp_lt_i32_e64 s4, v62, v30
	v_cndmask_b32_e64 v94, 0, v94, s4
	v_cmp_lt_i32_e64 s4, v61, v30
	v_cndmask_b32_e64 v92, 0, v92, s4
	v_cmp_lt_i32_e64 s4, v60, v30
	v_cndmask_b32_e64 v91, 0, v91, s4
	v_cmp_lt_i32_e64 s4, v59, v30
	v_cndmask_b32_e64 v79, 0, v79, s4
	v_cmp_lt_i32_e64 s4, v58, v30
	v_cndmask_b32_e64 v88, 0, v88, s4
	v_cmp_lt_i32_e64 s4, v57, v30
	v_cndmask_b32_e64 v89, 0, v89, s4
	v_cmp_lt_i32_e64 s4, v64, v30
	v_cndmask_b32_e64 v90, 0, v90, s4
.LBB366_1384:                           ;   in Loop: Header=BB366_988 Depth=1
	s_or_b32 exec_lo, exec_lo, s15
	flat_load_dwordx2 v[21:22], v[19:20] offset:1536
	v_mov_b32_e32 v0, 0
	v_mov_b32_e32 v10, 0
	s_waitcnt vmcnt(0) lgkmcnt(0)
	v_cmp_ne_u16_sdwa s4, v21, v12 src0_sel:BYTE_0 src1_sel:DWORD
	s_and_saveexec_b32 s15, s4
	s_cbranch_execz .LBB366_1392
; %bb.1385:                             ;   in Loop: Header=BB366_988 Depth=1
	v_cmp_ne_u16_sdwa s4, v21, v66 src0_sel:BYTE_0 src1_sel:DWORD
	v_bfrev_b32_e32 v10, 1
	s_and_saveexec_b32 s18, s4
	s_cbranch_execz .LBB366_1391
; %bb.1386:                             ;   in Loop: Header=BB366_988 Depth=1
	v_and_b32_e32 v11, 0x7f, v21
	v_mov_b32_e32 v10, 0x7f800001
	s_mov_b32 s19, exec_lo
	v_cmpx_ne_u32_e32 0x7f, v11
	s_cbranch_execz .LBB366_1390
; %bb.1387:                             ;   in Loop: Header=BB366_988 Depth=1
	v_lshrrev_b32_e32 v1, 3, v11
	v_cmp_gt_u32_e64 s4, 8, v11
	v_mov_b32_e32 v10, v21
	v_mov_b32_e32 v11, v22
	s_and_saveexec_b32 s20, s4
; %bb.1388:                             ;   in Loop: Header=BB366_988 Depth=1
	v_and_b32_e32 v1, 7, v21
	v_ffbh_u32_e32 v1, v1
	v_min_u32_e32 v1, 32, v1
	v_subrev_nc_u32_e32 v10, 28, v1
	v_sub_nc_u32_e32 v1, 29, v1
	v_lshlrev_b64 v[10:11], v10, v[21:22]
; %bb.1389:                             ;   in Loop: Header=BB366_988 Depth=1
	s_or_b32 exec_lo, exec_lo, s20
	v_lshlrev_b32_e32 v10, 20, v10
	v_lshlrev_b32_e32 v11, 24, v21
	v_lshl_add_u32 v1, v1, 23, 0x3c000000
	v_and_b32_e32 v10, 0x700000, v10
	v_and_b32_e32 v11, 0x80000000, v11
	v_or3_b32 v10, v10, v11, v1
.LBB366_1390:                           ;   in Loop: Header=BB366_988 Depth=1
	s_or_b32 exec_lo, exec_lo, s19
.LBB366_1391:                           ;   in Loop: Header=BB366_988 Depth=1
	s_or_b32 exec_lo, exec_lo, s18
.LBB366_1392:                           ;   in Loop: Header=BB366_988 Depth=1
	s_or_b32 exec_lo, exec_lo, s15
	v_cmp_ne_u16_sdwa s4, v21, v12 src0_sel:BYTE_1 src1_sel:DWORD
	s_and_saveexec_b32 s15, s4
	s_cbranch_execz .LBB366_1400
; %bb.1393:                             ;   in Loop: Header=BB366_988 Depth=1
	v_cmp_ne_u16_sdwa s4, v21, v66 src0_sel:BYTE_1 src1_sel:DWORD
	v_bfrev_b32_e32 v0, 1
	s_and_saveexec_b32 s18, s4
	s_cbranch_execz .LBB366_1399
; %bb.1394:                             ;   in Loop: Header=BB366_988 Depth=1
	v_mov_b32_e32 v0, 0xffff
	s_mov_b32 s19, exec_lo
	v_and_b32_sdwa v11, v0, v21 dst_sel:DWORD dst_unused:UNUSED_PAD src0_sel:DWORD src1_sel:BYTE_1
	v_mov_b32_e32 v0, 0x7f800001
	v_and_b32_e32 v1, 0x7f, v11
	v_cmpx_ne_u32_e32 0x7f, v1
	s_cbranch_execz .LBB366_1398
; %bb.1395:                             ;   in Loop: Header=BB366_988 Depth=1
	v_and_b32_e32 v11, 7, v11
	v_mov_b32_e32 v24, v12
	v_lshrrev_b32_e32 v0, 3, v1
	s_mov_b32 s20, exec_lo
	v_mov_b32_e32 v23, v11
	v_cmpx_gt_u32_e32 8, v1
; %bb.1396:                             ;   in Loop: Header=BB366_988 Depth=1
	v_ffbh_u32_e32 v0, v11
	v_min_u32_e32 v0, 32, v0
	v_subrev_nc_u32_e32 v1, 28, v0
	v_sub_nc_u32_e32 v0, 29, v0
	v_lshlrev_b64 v[13:14], v1, v[11:12]
	v_and_b32_e32 v23, 7, v13
; %bb.1397:                             ;   in Loop: Header=BB366_988 Depth=1
	s_or_b32 exec_lo, exec_lo, s20
	v_lshlrev_b32_e32 v1, 16, v21
	v_lshlrev_b32_e32 v11, 20, v23
	v_lshl_add_u32 v0, v0, 23, 0x3c000000
	v_and_b32_e32 v1, 0x80000000, v1
	v_or3_b32 v0, v11, v1, v0
.LBB366_1398:                           ;   in Loop: Header=BB366_988 Depth=1
	s_or_b32 exec_lo, exec_lo, s19
.LBB366_1399:                           ;   in Loop: Header=BB366_988 Depth=1
	s_or_b32 exec_lo, exec_lo, s18
.LBB366_1400:                           ;   in Loop: Header=BB366_988 Depth=1
	s_or_b32 exec_lo, exec_lo, s15
	v_and_b32_sdwa v11, v21, v68 dst_sel:DWORD dst_unused:UNUSED_PAD src0_sel:WORD_1 src1_sel:DWORD
	v_mov_b32_e32 v13, 0
	v_mov_b32_e32 v1, 0
	s_mov_b32 s15, exec_lo
	v_cmpx_ne_u16_e32 0, v11
	s_cbranch_execz .LBB366_1408
; %bb.1401:                             ;   in Loop: Header=BB366_988 Depth=1
	v_bfrev_b32_e32 v1, 1
	s_mov_b32 s18, exec_lo
	v_cmpx_ne_u16_e32 0x80, v11
	s_cbranch_execz .LBB366_1407
; %bb.1402:                             ;   in Loop: Header=BB366_988 Depth=1
	v_bfe_u32 v14, v21, 16, 7
	v_mov_b32_e32 v1, 0x7f800001
	s_mov_b32 s19, exec_lo
	v_cmpx_ne_u32_e32 0x7f, v14
	s_cbranch_execz .LBB366_1406
; %bb.1403:                             ;   in Loop: Header=BB366_988 Depth=1
	v_mov_b32_e32 v1, 7
	s_mov_b32 s20, exec_lo
	v_and_b32_sdwa v11, v21, v1 dst_sel:DWORD dst_unused:UNUSED_PAD src0_sel:WORD_1 src1_sel:DWORD
	v_mov_b32_e32 v24, v12
	v_lshrrev_b32_e32 v1, 3, v14
	v_mov_b32_e32 v23, v11
	v_cmpx_gt_u32_e32 8, v14
; %bb.1404:                             ;   in Loop: Header=BB366_988 Depth=1
	v_ffbh_u32_e32 v1, v11
	v_min_u32_e32 v1, 32, v1
	v_subrev_nc_u32_e32 v14, 28, v1
	v_sub_nc_u32_e32 v1, 29, v1
	v_lshlrev_b64 v[17:18], v14, v[11:12]
	v_and_b32_e32 v23, 7, v17
; %bb.1405:                             ;   in Loop: Header=BB366_988 Depth=1
	s_or_b32 exec_lo, exec_lo, s20
	v_mov_b32_e32 v11, 24
	v_lshlrev_b32_e32 v14, 20, v23
	v_lshl_add_u32 v1, v1, 23, 0x3c000000
	v_lshlrev_b32_sdwa v11, v11, v21 dst_sel:DWORD dst_unused:UNUSED_PAD src0_sel:DWORD src1_sel:WORD_1
	v_and_b32_e32 v11, 0x80000000, v11
	v_or3_b32 v1, v14, v11, v1
.LBB366_1406:                           ;   in Loop: Header=BB366_988 Depth=1
	s_or_b32 exec_lo, exec_lo, s19
.LBB366_1407:                           ;   in Loop: Header=BB366_988 Depth=1
	s_or_b32 exec_lo, exec_lo, s18
.LBB366_1408:                           ;   in Loop: Header=BB366_988 Depth=1
	s_or_b32 exec_lo, exec_lo, s15
	s_mov_b32 s15, exec_lo
	v_cmpx_lt_u32_e32 0xffffff, v21
	s_cbranch_execz .LBB366_1416
; %bb.1409:                             ;   in Loop: Header=BB366_988 Depth=1
	v_cmp_ne_u32_sdwa s4, v21, v66 src0_sel:BYTE_3 src1_sel:DWORD
	v_bfrev_b32_e32 v13, 1
	s_and_saveexec_b32 s18, s4
	s_cbranch_execz .LBB366_1415
; %bb.1410:                             ;   in Loop: Header=BB366_988 Depth=1
	v_bfe_u32 v14, v21, 24, 7
	v_mov_b32_e32 v13, 0x7f800001
	s_mov_b32 s19, exec_lo
	v_cmpx_ne_u32_e32 0x7f, v14
	s_cbranch_execz .LBB366_1414
; %bb.1411:                             ;   in Loop: Header=BB366_988 Depth=1
	v_mov_b32_e32 v11, 7
	v_lshrrev_b32_e32 v13, 3, v14
	s_mov_b32 s20, exec_lo
	v_and_b32_sdwa v11, v21, v11 dst_sel:DWORD dst_unused:UNUSED_PAD src0_sel:BYTE_3 src1_sel:DWORD
	v_mov_b32_e32 v24, v12
	v_mov_b32_e32 v23, v11
	v_cmpx_gt_u32_e32 8, v14
; %bb.1412:                             ;   in Loop: Header=BB366_988 Depth=1
	v_ffbh_u32_e32 v13, v11
	v_min_u32_e32 v13, 32, v13
	v_subrev_nc_u32_e32 v14, 28, v13
	v_sub_nc_u32_e32 v13, 29, v13
	v_lshlrev_b64 v[17:18], v14, v[11:12]
	v_and_b32_e32 v23, 7, v17
; %bb.1413:                             ;   in Loop: Header=BB366_988 Depth=1
	s_or_b32 exec_lo, exec_lo, s20
	v_mov_b32_e32 v11, 24
	v_lshlrev_b32_e32 v14, 20, v23
	v_lshl_add_u32 v13, v13, 23, 0x3c000000
	v_lshlrev_b32_sdwa v11, v11, v21 dst_sel:DWORD dst_unused:UNUSED_PAD src0_sel:DWORD src1_sel:BYTE_3
	v_and_b32_e32 v11, 0x80000000, v11
	v_or3_b32 v13, v14, v11, v13
.LBB366_1414:                           ;   in Loop: Header=BB366_988 Depth=1
	s_or_b32 exec_lo, exec_lo, s19
.LBB366_1415:                           ;   in Loop: Header=BB366_988 Depth=1
	s_or_b32 exec_lo, exec_lo, s18
.LBB366_1416:                           ;   in Loop: Header=BB366_988 Depth=1
	s_or_b32 exec_lo, exec_lo, s15
	v_mov_b32_e32 v11, v22
	v_cmp_ne_u16_sdwa s4, v22, v12 src0_sel:BYTE_0 src1_sel:DWORD
	v_mov_b32_e32 v17, 0
	v_mov_b32_e32 v14, 0
	s_and_saveexec_b32 s15, s4
	s_cbranch_execz .LBB366_1424
; %bb.1417:                             ;   in Loop: Header=BB366_988 Depth=1
	v_cmp_ne_u16_sdwa s4, v22, v66 src0_sel:BYTE_0 src1_sel:DWORD
	v_bfrev_b32_e32 v14, 1
	s_and_saveexec_b32 s18, s4
	s_cbranch_execz .LBB366_1423
; %bb.1418:                             ;   in Loop: Header=BB366_988 Depth=1
	v_and_b32_e32 v18, 0x7f, v22
	v_mov_b32_e32 v14, 0x7f800001
	s_mov_b32 s19, exec_lo
	v_cmpx_ne_u32_e32 0x7f, v18
	s_cbranch_execz .LBB366_1422
; %bb.1419:                             ;   in Loop: Header=BB366_988 Depth=1
	v_mov_b32_e32 v24, v12
	v_lshrrev_b32_e32 v14, 3, v18
	v_mov_b32_e32 v23, v11
	s_mov_b32 s20, exec_lo
	v_cmpx_gt_u32_e32 8, v18
; %bb.1420:                             ;   in Loop: Header=BB366_988 Depth=1
	v_and_b32_e32 v14, 7, v22
	v_ffbh_u32_e32 v14, v14
	v_min_u32_e32 v14, 32, v14
	v_subrev_nc_u32_e32 v18, 28, v14
	v_sub_nc_u32_e32 v14, 29, v14
	v_lshlrev_b64 v[23:24], v18, v[11:12]
; %bb.1421:                             ;   in Loop: Header=BB366_988 Depth=1
	s_or_b32 exec_lo, exec_lo, s20
	v_lshlrev_b32_e32 v18, 20, v23
	v_lshlrev_b32_e32 v23, 24, v11
	v_lshl_add_u32 v14, v14, 23, 0x3c000000
	v_and_b32_e32 v18, 0x700000, v18
	v_and_b32_e32 v23, 0x80000000, v23
	v_or3_b32 v14, v18, v23, v14
.LBB366_1422:                           ;   in Loop: Header=BB366_988 Depth=1
	s_or_b32 exec_lo, exec_lo, s19
.LBB366_1423:                           ;   in Loop: Header=BB366_988 Depth=1
	s_or_b32 exec_lo, exec_lo, s18
.LBB366_1424:                           ;   in Loop: Header=BB366_988 Depth=1
	s_or_b32 exec_lo, exec_lo, s15
	v_cmp_ne_u16_sdwa s4, v11, v12 src0_sel:BYTE_1 src1_sel:DWORD
	s_and_saveexec_b32 s15, s4
	s_cbranch_execz .LBB366_1432
; %bb.1425:                             ;   in Loop: Header=BB366_988 Depth=1
	v_cmp_ne_u16_sdwa s4, v11, v66 src0_sel:BYTE_1 src1_sel:DWORD
	v_bfrev_b32_e32 v17, 1
	s_and_saveexec_b32 s18, s4
	s_cbranch_execz .LBB366_1431
; %bb.1426:                             ;   in Loop: Header=BB366_988 Depth=1
	v_mov_b32_e32 v17, 0xffff
	s_mov_b32 s19, exec_lo
	v_and_b32_sdwa v23, v17, v11 dst_sel:DWORD dst_unused:UNUSED_PAD src0_sel:DWORD src1_sel:BYTE_1
	v_mov_b32_e32 v17, 0x7f800001
	v_and_b32_e32 v18, 0x7f, v23
	v_cmpx_ne_u32_e32 0x7f, v18
	s_cbranch_execz .LBB366_1430
; %bb.1427:                             ;   in Loop: Header=BB366_988 Depth=1
	v_and_b32_e32 v23, 7, v23
	v_mov_b32_e32 v24, v12
	v_lshrrev_b32_e32 v17, 3, v18
	s_mov_b32 s20, exec_lo
	v_cmpx_gt_u32_e32 8, v18
; %bb.1428:                             ;   in Loop: Header=BB366_988 Depth=1
	v_ffbh_u32_e32 v17, v23
	v_min_u32_e32 v17, 32, v17
	v_subrev_nc_u32_e32 v18, 28, v17
	v_sub_nc_u32_e32 v17, 29, v17
	v_lshlrev_b64 v[23:24], v18, v[23:24]
	v_and_b32_e32 v23, 7, v23
; %bb.1429:                             ;   in Loop: Header=BB366_988 Depth=1
	s_or_b32 exec_lo, exec_lo, s20
	v_lshlrev_b32_e32 v11, 16, v11
	v_lshlrev_b32_e32 v18, 20, v23
	v_lshl_add_u32 v17, v17, 23, 0x3c000000
	v_and_b32_e32 v11, 0x80000000, v11
	v_or3_b32 v17, v18, v11, v17
.LBB366_1430:                           ;   in Loop: Header=BB366_988 Depth=1
	s_or_b32 exec_lo, exec_lo, s19
.LBB366_1431:                           ;   in Loop: Header=BB366_988 Depth=1
	s_or_b32 exec_lo, exec_lo, s18
.LBB366_1432:                           ;   in Loop: Header=BB366_988 Depth=1
	s_or_b32 exec_lo, exec_lo, s15
	v_and_b32_sdwa v11, v22, v68 dst_sel:DWORD dst_unused:UNUSED_PAD src0_sel:WORD_1 src1_sel:DWORD
	v_mov_b32_e32 v18, 0
	v_mov_b32_e32 v25, 0
	s_mov_b32 s15, exec_lo
	v_cmpx_ne_u16_e32 0, v11
	s_cbranch_execz .LBB366_1440
; %bb.1433:                             ;   in Loop: Header=BB366_988 Depth=1
	v_bfrev_b32_e32 v25, 1
	s_mov_b32 s18, exec_lo
	v_cmpx_ne_u16_e32 0x80, v11
	s_cbranch_execz .LBB366_1439
; %bb.1434:                             ;   in Loop: Header=BB366_988 Depth=1
	v_bfe_u32 v23, v22, 16, 7
	v_mov_b32_e32 v25, 0x7f800001
	s_mov_b32 s19, exec_lo
	v_cmpx_ne_u32_e32 0x7f, v23
	s_cbranch_execz .LBB366_1438
; %bb.1435:                             ;   in Loop: Header=BB366_988 Depth=1
	v_mov_b32_e32 v11, 7
	v_lshrrev_b32_e32 v25, 3, v23
	v_cmp_gt_u32_e64 s4, 8, v23
	v_and_b32_sdwa v11, v22, v11 dst_sel:DWORD dst_unused:UNUSED_PAD src0_sel:WORD_1 src1_sel:DWORD
	v_mov_b32_e32 v24, v12
	v_mov_b32_e32 v23, v11
	s_and_saveexec_b32 s20, s4
; %bb.1436:                             ;   in Loop: Header=BB366_988 Depth=1
	v_ffbh_u32_e32 v23, v11
	v_min_u32_e32 v25, 32, v23
	v_subrev_nc_u32_e32 v23, 28, v25
	v_sub_nc_u32_e32 v25, 29, v25
	v_lshlrev_b64 v[23:24], v23, v[11:12]
	v_and_b32_e32 v23, 7, v23
; %bb.1437:                             ;   in Loop: Header=BB366_988 Depth=1
	s_or_b32 exec_lo, exec_lo, s20
	v_mov_b32_e32 v11, 24
	v_lshlrev_b32_e32 v23, 20, v23
	v_lshl_add_u32 v24, v25, 23, 0x3c000000
	v_lshlrev_b32_sdwa v11, v11, v22 dst_sel:DWORD dst_unused:UNUSED_PAD src0_sel:DWORD src1_sel:WORD_1
	v_and_b32_e32 v11, 0x80000000, v11
	v_or3_b32 v25, v23, v11, v24
.LBB366_1438:                           ;   in Loop: Header=BB366_988 Depth=1
	s_or_b32 exec_lo, exec_lo, s19
.LBB366_1439:                           ;   in Loop: Header=BB366_988 Depth=1
	s_or_b32 exec_lo, exec_lo, s18
.LBB366_1440:                           ;   in Loop: Header=BB366_988 Depth=1
	s_or_b32 exec_lo, exec_lo, s15
	s_mov_b32 s15, exec_lo
	v_cmpx_lt_u64_e64 s[6:7], v[21:22]
	s_cbranch_execz .LBB366_1448
; %bb.1441:                             ;   in Loop: Header=BB366_988 Depth=1
	v_cmp_ne_u32_sdwa s4, v22, v66 src0_sel:BYTE_3 src1_sel:DWORD
	v_bfrev_b32_e32 v18, 1
	s_and_saveexec_b32 s18, s4
	s_cbranch_execz .LBB366_1447
; %bb.1442:                             ;   in Loop: Header=BB366_988 Depth=1
	v_bfe_u32 v21, v22, 24, 7
	v_mov_b32_e32 v18, 0x7f800001
	s_mov_b32 s19, exec_lo
	v_cmpx_ne_u32_e32 0x7f, v21
	s_cbranch_execz .LBB366_1446
; %bb.1443:                             ;   in Loop: Header=BB366_988 Depth=1
	v_mov_b32_e32 v11, 7
	v_lshrrev_b32_e32 v18, 3, v21
	s_mov_b32 s20, exec_lo
	v_and_b32_sdwa v11, v22, v11 dst_sel:DWORD dst_unused:UNUSED_PAD src0_sel:BYTE_3 src1_sel:DWORD
	v_mov_b32_e32 v24, v12
	v_mov_b32_e32 v23, v11
	v_cmpx_gt_u32_e32 8, v21
; %bb.1444:                             ;   in Loop: Header=BB366_988 Depth=1
	v_ffbh_u32_e32 v18, v11
	v_min_u32_e32 v18, 32, v18
	v_subrev_nc_u32_e32 v21, 28, v18
	v_sub_nc_u32_e32 v18, 29, v18
	v_lshlrev_b64 v[23:24], v21, v[11:12]
	v_and_b32_e32 v23, 7, v23
; %bb.1445:                             ;   in Loop: Header=BB366_988 Depth=1
	s_or_b32 exec_lo, exec_lo, s20
	v_mov_b32_e32 v11, 24
	v_lshlrev_b32_e32 v21, 20, v23
	v_lshl_add_u32 v18, v18, 23, 0x3c000000
	v_lshlrev_b32_sdwa v11, v11, v22 dst_sel:DWORD dst_unused:UNUSED_PAD src0_sel:DWORD src1_sel:BYTE_3
	v_and_b32_e32 v11, 0x80000000, v11
	v_or3_b32 v18, v21, v11, v18
.LBB366_1446:                           ;   in Loop: Header=BB366_988 Depth=1
	s_or_b32 exec_lo, exec_lo, s19
.LBB366_1447:                           ;   in Loop: Header=BB366_988 Depth=1
	s_or_b32 exec_lo, exec_lo, s18
.LBB366_1448:                           ;   in Loop: Header=BB366_988 Depth=1
	s_or_b32 exec_lo, exec_lo, s15
	v_mul_f32_e32 v11, v55, v17
	v_mul_f32_e32 v14, v55, v14
	v_mul_f32_e32 v17, v55, v1
	v_mul_f32_e32 v13, v55, v13
	v_mul_f32_e32 v10, v55, v10
	v_bfe_u32 v1, v11, 16, 1
	v_or_b32_e32 v21, 0x400000, v11
	v_bfe_u32 v22, v14, 16, 1
	v_cmp_u_f32_e64 s4, v11, v11
	v_or_b32_e32 v23, 0x400000, v14
	v_add3_u32 v1, v1, v11, 0x7fff
	v_bfe_u32 v24, v13, 16, 1
	v_add3_u32 v22, v22, v14, 0x7fff
	v_or_b32_e32 v26, 0x400000, v13
	v_bfe_u32 v28, v17, 16, 1
	v_cndmask_b32_e64 v1, v1, v21, s4
	v_cmp_u_f32_e64 s4, v14, v14
	v_add3_u32 v24, v24, v13, 0x7fff
	v_mul_f32_e32 v14, v55, v0
	v_add3_u32 v21, v28, v17, 0x7fff
	v_mul_f32_e32 v18, v55, v18
	v_cndmask_b32_e64 v11, v22, v23, s4
	v_cmp_u_f32_e64 s4, v13, v13
	v_or_b32_e32 v22, 0x400000, v17
	v_lshrrev_b32_e32 v1, 16, v1
	v_lshrrev_b32_e32 v0, 16, v11
	v_cndmask_b32_e64 v13, v24, v26, s4
	v_bfe_u32 v11, v14, 16, 1
	v_cmp_u_f32_e64 s4, v17, v17
	v_mul_f32_e32 v17, v55, v25
	v_or_b32_e32 v25, 0x400000, v18
	v_lshrrev_b32_e32 v29, 16, v13
	v_add3_u32 v11, v11, v14, 0x7fff
	v_cndmask_b32_e64 v13, v21, v22, s4
	v_or_b32_e32 v21, 0x400000, v14
	v_bfe_u32 v22, v10, 16, 1
	v_cmp_u_f32_e64 s4, v14, v14
	v_bfe_u32 v23, v17, 16, 1
	v_bfe_u32 v14, v18, 16, 1
	v_or_b32_e32 v24, 0x400000, v17
	v_lshrrev_b32_e32 v31, 16, v13
	v_cndmask_b32_e64 v11, v11, v21, s4
	v_add3_u32 v21, v22, v10, 0x7fff
	v_or_b32_e32 v22, 0x400000, v10
	v_cmp_u_f32_e64 s4, v10, v10
	v_add3_u32 v23, v23, v17, 0x7fff
	v_add3_u32 v14, v14, v18, 0x7fff
	v_lshrrev_b32_e32 v104, 16, v11
	v_cndmask_b32_e64 v10, v21, v22, s4
	v_cmp_u_f32_e64 s4, v17, v17
	v_lshrrev_b32_e32 v95, 16, v10
	v_cndmask_b32_e64 v17, v23, v24, s4
	v_cmp_u_f32_e64 s4, v18, v18
	v_lshrrev_b32_e32 v18, 16, v17
	v_cndmask_b32_e64 v14, v14, v25, s4
	v_lshrrev_b32_e32 v28, 16, v14
	s_and_saveexec_b32 s15, vcc_lo
	s_cbranch_execz .LBB366_1450
; %bb.1449:                             ;   in Loop: Header=BB366_988 Depth=1
	v_cmp_lt_i32_e64 s4, v56, v30
	v_cndmask_b32_e64 v95, 0, v95, s4
	v_cmp_lt_i32_e64 s4, v62, v30
	v_cndmask_b32_e64 v104, 0, v104, s4
	v_cmp_lt_i32_e64 s4, v61, v30
	v_cndmask_b32_e64 v31, 0, v31, s4
	v_cmp_lt_i32_e64 s4, v60, v30
	v_cndmask_b32_e64 v29, 0, v29, s4
	v_cmp_lt_i32_e64 s4, v59, v30
	v_cndmask_b32_e64 v0, 0, v0, s4
	v_cmp_lt_i32_e64 s4, v58, v30
	v_cndmask_b32_e64 v1, 0, v1, s4
	v_cmp_lt_i32_e64 s4, v57, v30
	v_cndmask_b32_e64 v18, 0, v18, s4
	v_cmp_lt_i32_e64 s4, v64, v30
	v_cndmask_b32_e64 v28, 0, v28, s4
.LBB366_1450:                           ;   in Loop: Header=BB366_988 Depth=1
	s_or_b32 exec_lo, exec_lo, s15
	flat_load_dwordx2 v[21:22], v[19:20] offset:1792
	v_mov_b32_e32 v13, 0
	v_mov_b32_e32 v10, 0
	s_waitcnt vmcnt(0) lgkmcnt(0)
	v_cmp_ne_u16_sdwa s4, v21, v12 src0_sel:BYTE_0 src1_sel:DWORD
	s_and_saveexec_b32 s15, s4
	s_cbranch_execz .LBB366_1458
; %bb.1451:                             ;   in Loop: Header=BB366_988 Depth=1
	v_cmp_ne_u16_sdwa s4, v21, v66 src0_sel:BYTE_0 src1_sel:DWORD
	v_bfrev_b32_e32 v10, 1
	s_and_saveexec_b32 s18, s4
	s_cbranch_execz .LBB366_1457
; %bb.1452:                             ;   in Loop: Header=BB366_988 Depth=1
	v_and_b32_e32 v11, 0x7f, v21
	v_mov_b32_e32 v10, 0x7f800001
	s_mov_b32 s19, exec_lo
	v_cmpx_ne_u32_e32 0x7f, v11
	s_cbranch_execz .LBB366_1456
; %bb.1453:                             ;   in Loop: Header=BB366_988 Depth=1
	v_lshrrev_b32_e32 v14, 3, v11
	v_cmp_gt_u32_e64 s4, 8, v11
	v_mov_b32_e32 v10, v21
	v_mov_b32_e32 v11, v22
	s_and_saveexec_b32 s20, s4
; %bb.1454:                             ;   in Loop: Header=BB366_988 Depth=1
	v_and_b32_e32 v10, 7, v21
	v_ffbh_u32_e32 v10, v10
	v_min_u32_e32 v14, 32, v10
	v_subrev_nc_u32_e32 v10, 28, v14
	v_sub_nc_u32_e32 v14, 29, v14
	v_lshlrev_b64 v[10:11], v10, v[21:22]
; %bb.1455:                             ;   in Loop: Header=BB366_988 Depth=1
	s_or_b32 exec_lo, exec_lo, s20
	v_lshlrev_b32_e32 v10, 20, v10
	v_lshlrev_b32_e32 v11, 24, v21
	v_lshl_add_u32 v14, v14, 23, 0x3c000000
	v_and_b32_e32 v10, 0x700000, v10
	v_and_b32_e32 v11, 0x80000000, v11
	v_or3_b32 v10, v10, v11, v14
.LBB366_1456:                           ;   in Loop: Header=BB366_988 Depth=1
	s_or_b32 exec_lo, exec_lo, s19
.LBB366_1457:                           ;   in Loop: Header=BB366_988 Depth=1
	s_or_b32 exec_lo, exec_lo, s18
.LBB366_1458:                           ;   in Loop: Header=BB366_988 Depth=1
	s_or_b32 exec_lo, exec_lo, s15
	v_cmp_ne_u16_sdwa s4, v21, v12 src0_sel:BYTE_1 src1_sel:DWORD
	s_and_saveexec_b32 s15, s4
	s_cbranch_execz .LBB366_1466
; %bb.1459:                             ;   in Loop: Header=BB366_988 Depth=1
	v_cmp_ne_u16_sdwa s4, v21, v66 src0_sel:BYTE_1 src1_sel:DWORD
	v_bfrev_b32_e32 v13, 1
	s_and_saveexec_b32 s18, s4
	s_cbranch_execz .LBB366_1465
; %bb.1460:                             ;   in Loop: Header=BB366_988 Depth=1
	v_mov_b32_e32 v11, 0xffff
	v_mov_b32_e32 v13, 0x7f800001
	s_mov_b32 s19, exec_lo
	v_and_b32_sdwa v11, v11, v21 dst_sel:DWORD dst_unused:UNUSED_PAD src0_sel:DWORD src1_sel:BYTE_1
	v_and_b32_e32 v14, 0x7f, v11
	v_cmpx_ne_u32_e32 0x7f, v14
	s_cbranch_execz .LBB366_1464
; %bb.1461:                             ;   in Loop: Header=BB366_988 Depth=1
	v_and_b32_e32 v11, 7, v11
	v_mov_b32_e32 v24, v12
	v_lshrrev_b32_e32 v13, 3, v14
	s_mov_b32 s20, exec_lo
	v_mov_b32_e32 v23, v11
	v_cmpx_gt_u32_e32 8, v14
; %bb.1462:                             ;   in Loop: Header=BB366_988 Depth=1
	v_ffbh_u32_e32 v13, v11
	v_min_u32_e32 v13, 32, v13
	v_subrev_nc_u32_e32 v14, 28, v13
	v_sub_nc_u32_e32 v13, 29, v13
	v_lshlrev_b64 v[23:24], v14, v[11:12]
	v_and_b32_e32 v23, 7, v23
; %bb.1463:                             ;   in Loop: Header=BB366_988 Depth=1
	s_or_b32 exec_lo, exec_lo, s20
	v_lshlrev_b32_e32 v11, 16, v21
	v_lshlrev_b32_e32 v14, 20, v23
	v_lshl_add_u32 v13, v13, 23, 0x3c000000
	v_and_b32_e32 v11, 0x80000000, v11
	v_or3_b32 v13, v14, v11, v13
.LBB366_1464:                           ;   in Loop: Header=BB366_988 Depth=1
	s_or_b32 exec_lo, exec_lo, s19
.LBB366_1465:                           ;   in Loop: Header=BB366_988 Depth=1
	s_or_b32 exec_lo, exec_lo, s18
.LBB366_1466:                           ;   in Loop: Header=BB366_988 Depth=1
	s_or_b32 exec_lo, exec_lo, s15
	v_and_b32_sdwa v11, v21, v68 dst_sel:DWORD dst_unused:UNUSED_PAD src0_sel:WORD_1 src1_sel:DWORD
	v_mov_b32_e32 v17, 0
	v_mov_b32_e32 v14, 0
	s_mov_b32 s15, exec_lo
	v_cmpx_ne_u16_e32 0, v11
	s_cbranch_execz .LBB366_1474
; %bb.1467:                             ;   in Loop: Header=BB366_988 Depth=1
	v_bfrev_b32_e32 v14, 1
	s_mov_b32 s18, exec_lo
	v_cmpx_ne_u16_e32 0x80, v11
	s_cbranch_execz .LBB366_1473
; %bb.1468:                             ;   in Loop: Header=BB366_988 Depth=1
	v_bfe_u32 v23, v21, 16, 7
	v_mov_b32_e32 v14, 0x7f800001
	s_mov_b32 s19, exec_lo
	v_cmpx_ne_u32_e32 0x7f, v23
	s_cbranch_execz .LBB366_1472
; %bb.1469:                             ;   in Loop: Header=BB366_988 Depth=1
	v_mov_b32_e32 v11, 7
	v_lshrrev_b32_e32 v14, 3, v23
	v_cmp_gt_u32_e64 s4, 8, v23
	v_and_b32_sdwa v11, v21, v11 dst_sel:DWORD dst_unused:UNUSED_PAD src0_sel:WORD_1 src1_sel:DWORD
	v_mov_b32_e32 v24, v12
	v_mov_b32_e32 v23, v11
	s_and_saveexec_b32 s20, s4
; %bb.1470:                             ;   in Loop: Header=BB366_988 Depth=1
	v_ffbh_u32_e32 v14, v11
	v_min_u32_e32 v14, 32, v14
	v_subrev_nc_u32_e32 v23, 28, v14
	v_sub_nc_u32_e32 v14, 29, v14
	v_lshlrev_b64 v[23:24], v23, v[11:12]
	v_and_b32_e32 v23, 7, v23
; %bb.1471:                             ;   in Loop: Header=BB366_988 Depth=1
	s_or_b32 exec_lo, exec_lo, s20
	v_mov_b32_e32 v11, 24
	v_lshlrev_b32_e32 v23, 20, v23
	v_lshl_add_u32 v14, v14, 23, 0x3c000000
	v_lshlrev_b32_sdwa v11, v11, v21 dst_sel:DWORD dst_unused:UNUSED_PAD src0_sel:DWORD src1_sel:WORD_1
	v_and_b32_e32 v11, 0x80000000, v11
	v_or3_b32 v14, v23, v11, v14
.LBB366_1472:                           ;   in Loop: Header=BB366_988 Depth=1
	s_or_b32 exec_lo, exec_lo, s19
.LBB366_1473:                           ;   in Loop: Header=BB366_988 Depth=1
	s_or_b32 exec_lo, exec_lo, s18
.LBB366_1474:                           ;   in Loop: Header=BB366_988 Depth=1
	s_or_b32 exec_lo, exec_lo, s15
	s_mov_b32 s15, exec_lo
	v_cmpx_lt_u32_e32 0xffffff, v21
	s_cbranch_execz .LBB366_1482
; %bb.1475:                             ;   in Loop: Header=BB366_988 Depth=1
	v_cmp_ne_u32_sdwa s4, v21, v66 src0_sel:BYTE_3 src1_sel:DWORD
	v_bfrev_b32_e32 v17, 1
	s_and_saveexec_b32 s18, s4
	s_cbranch_execz .LBB366_1481
; %bb.1476:                             ;   in Loop: Header=BB366_988 Depth=1
	v_bfe_u32 v23, v21, 24, 7
	v_mov_b32_e32 v17, 0x7f800001
	s_mov_b32 s19, exec_lo
	v_cmpx_ne_u32_e32 0x7f, v23
	s_cbranch_execz .LBB366_1480
; %bb.1477:                             ;   in Loop: Header=BB366_988 Depth=1
	v_mov_b32_e32 v11, 7
	v_lshrrev_b32_e32 v17, 3, v23
	v_cmp_gt_u32_e64 s4, 8, v23
	v_and_b32_sdwa v11, v21, v11 dst_sel:DWORD dst_unused:UNUSED_PAD src0_sel:BYTE_3 src1_sel:DWORD
	v_mov_b32_e32 v24, v12
	v_mov_b32_e32 v23, v11
	s_and_saveexec_b32 s20, s4
; %bb.1478:                             ;   in Loop: Header=BB366_988 Depth=1
	v_ffbh_u32_e32 v17, v11
	v_min_u32_e32 v17, 32, v17
	v_subrev_nc_u32_e32 v23, 28, v17
	v_sub_nc_u32_e32 v17, 29, v17
	v_lshlrev_b64 v[23:24], v23, v[11:12]
	v_and_b32_e32 v23, 7, v23
; %bb.1479:                             ;   in Loop: Header=BB366_988 Depth=1
	s_or_b32 exec_lo, exec_lo, s20
	v_mov_b32_e32 v11, 24
	v_lshlrev_b32_e32 v23, 20, v23
	v_lshl_add_u32 v17, v17, 23, 0x3c000000
	v_lshlrev_b32_sdwa v11, v11, v21 dst_sel:DWORD dst_unused:UNUSED_PAD src0_sel:DWORD src1_sel:BYTE_3
	v_and_b32_e32 v11, 0x80000000, v11
	v_or3_b32 v17, v23, v11, v17
.LBB366_1480:                           ;   in Loop: Header=BB366_988 Depth=1
	s_or_b32 exec_lo, exec_lo, s19
.LBB366_1481:                           ;   in Loop: Header=BB366_988 Depth=1
	s_or_b32 exec_lo, exec_lo, s18
.LBB366_1482:                           ;   in Loop: Header=BB366_988 Depth=1
	s_or_b32 exec_lo, exec_lo, s15
	v_mov_b32_e32 v11, v22
	v_cmp_ne_u16_sdwa s4, v22, v12 src0_sel:BYTE_0 src1_sel:DWORD
	v_mov_b32_e32 v67, 0
	v_mov_b32_e32 v32, 0
	s_and_saveexec_b32 s15, s4
	s_cbranch_execz .LBB366_1490
; %bb.1483:                             ;   in Loop: Header=BB366_988 Depth=1
	v_cmp_ne_u16_sdwa s4, v22, v66 src0_sel:BYTE_0 src1_sel:DWORD
	v_bfrev_b32_e32 v32, 1
	s_and_saveexec_b32 s18, s4
	s_cbranch_execz .LBB366_1489
; %bb.1484:                             ;   in Loop: Header=BB366_988 Depth=1
	v_and_b32_e32 v23, 0x7f, v22
	v_mov_b32_e32 v32, 0x7f800001
	s_mov_b32 s19, exec_lo
	v_cmpx_ne_u32_e32 0x7f, v23
	s_cbranch_execz .LBB366_1488
; %bb.1485:                             ;   in Loop: Header=BB366_988 Depth=1
	v_lshrrev_b32_e32 v25, 3, v23
	v_cmp_gt_u32_e64 s4, 8, v23
	v_mov_b32_e32 v24, v12
	v_mov_b32_e32 v23, v11
	s_and_saveexec_b32 s20, s4
; %bb.1486:                             ;   in Loop: Header=BB366_988 Depth=1
	v_and_b32_e32 v23, 7, v22
	v_ffbh_u32_e32 v23, v23
	v_min_u32_e32 v25, 32, v23
	v_subrev_nc_u32_e32 v23, 28, v25
	v_sub_nc_u32_e32 v25, 29, v25
	v_lshlrev_b64 v[23:24], v23, v[11:12]
; %bb.1487:                             ;   in Loop: Header=BB366_988 Depth=1
	s_or_b32 exec_lo, exec_lo, s20
	v_lshlrev_b32_e32 v23, 20, v23
	v_lshlrev_b32_e32 v24, 24, v11
	v_lshl_add_u32 v25, v25, 23, 0x3c000000
	v_and_b32_e32 v23, 0x700000, v23
	v_and_b32_e32 v24, 0x80000000, v24
	v_or3_b32 v32, v23, v24, v25
.LBB366_1488:                           ;   in Loop: Header=BB366_988 Depth=1
	s_or_b32 exec_lo, exec_lo, s19
.LBB366_1489:                           ;   in Loop: Header=BB366_988 Depth=1
	s_or_b32 exec_lo, exec_lo, s18
.LBB366_1490:                           ;   in Loop: Header=BB366_988 Depth=1
	s_or_b32 exec_lo, exec_lo, s15
	v_cmp_ne_u16_sdwa s4, v11, v12 src0_sel:BYTE_1 src1_sel:DWORD
	s_and_saveexec_b32 s15, s4
	s_cbranch_execz .LBB366_1498
; %bb.1491:                             ;   in Loop: Header=BB366_988 Depth=1
	v_cmp_ne_u16_sdwa s4, v11, v66 src0_sel:BYTE_1 src1_sel:DWORD
	v_bfrev_b32_e32 v67, 1
	s_and_saveexec_b32 s18, s4
	s_cbranch_execz .LBB366_1497
; %bb.1492:                             ;   in Loop: Header=BB366_988 Depth=1
	v_mov_b32_e32 v23, 0xffff
	v_mov_b32_e32 v67, 0x7f800001
	s_mov_b32 s19, exec_lo
	v_and_b32_sdwa v23, v23, v11 dst_sel:DWORD dst_unused:UNUSED_PAD src0_sel:DWORD src1_sel:BYTE_1
	v_and_b32_e32 v26, 0x7f, v23
	v_cmpx_ne_u32_e32 0x7f, v26
	s_cbranch_execz .LBB366_1496
; %bb.1493:                             ;   in Loop: Header=BB366_988 Depth=1
	v_and_b32_e32 v23, 7, v23
	v_mov_b32_e32 v24, v12
	v_lshrrev_b32_e32 v25, 3, v26
	s_mov_b32 s20, exec_lo
	v_cmpx_gt_u32_e32 8, v26
; %bb.1494:                             ;   in Loop: Header=BB366_988 Depth=1
	v_ffbh_u32_e32 v25, v23
	v_min_u32_e32 v25, 32, v25
	v_subrev_nc_u32_e32 v26, 28, v25
	v_sub_nc_u32_e32 v25, 29, v25
	v_lshlrev_b64 v[23:24], v26, v[23:24]
	v_and_b32_e32 v23, 7, v23
; %bb.1495:                             ;   in Loop: Header=BB366_988 Depth=1
	s_or_b32 exec_lo, exec_lo, s20
	v_lshlrev_b32_e32 v11, 16, v11
	v_lshlrev_b32_e32 v23, 20, v23
	v_lshl_add_u32 v24, v25, 23, 0x3c000000
	v_and_b32_e32 v11, 0x80000000, v11
	v_or3_b32 v67, v23, v11, v24
.LBB366_1496:                           ;   in Loop: Header=BB366_988 Depth=1
	s_or_b32 exec_lo, exec_lo, s19
.LBB366_1497:                           ;   in Loop: Header=BB366_988 Depth=1
	s_or_b32 exec_lo, exec_lo, s18
.LBB366_1498:                           ;   in Loop: Header=BB366_988 Depth=1
	s_or_b32 exec_lo, exec_lo, s15
	v_and_b32_sdwa v11, v22, v68 dst_sel:DWORD dst_unused:UNUSED_PAD src0_sel:WORD_1 src1_sel:DWORD
	v_mov_b32_e32 v25, 0
	v_mov_b32_e32 v26, 0
	s_mov_b32 s15, exec_lo
	v_cmpx_ne_u16_e32 0, v11
	s_cbranch_execz .LBB366_1506
; %bb.1499:                             ;   in Loop: Header=BB366_988 Depth=1
	v_bfrev_b32_e32 v26, 1
	s_mov_b32 s18, exec_lo
	v_cmpx_ne_u16_e32 0x80, v11
	s_cbranch_execz .LBB366_1505
; %bb.1500:                             ;   in Loop: Header=BB366_988 Depth=1
	v_bfe_u32 v23, v22, 16, 7
	v_mov_b32_e32 v26, 0x7f800001
	s_mov_b32 s19, exec_lo
	v_cmpx_ne_u32_e32 0x7f, v23
	s_cbranch_execz .LBB366_1504
; %bb.1501:                             ;   in Loop: Header=BB366_988 Depth=1
	v_mov_b32_e32 v11, 7
	v_lshrrev_b32_e32 v26, 3, v23
	v_cmp_gt_u32_e64 s4, 8, v23
	v_and_b32_sdwa v11, v22, v11 dst_sel:DWORD dst_unused:UNUSED_PAD src0_sel:WORD_1 src1_sel:DWORD
	v_mov_b32_e32 v24, v12
	v_mov_b32_e32 v23, v11
	s_and_saveexec_b32 s20, s4
; %bb.1502:                             ;   in Loop: Header=BB366_988 Depth=1
	v_ffbh_u32_e32 v23, v11
	v_min_u32_e32 v26, 32, v23
	v_subrev_nc_u32_e32 v23, 28, v26
	v_sub_nc_u32_e32 v26, 29, v26
	v_lshlrev_b64 v[23:24], v23, v[11:12]
	v_and_b32_e32 v23, 7, v23
; %bb.1503:                             ;   in Loop: Header=BB366_988 Depth=1
	s_or_b32 exec_lo, exec_lo, s20
	v_mov_b32_e32 v11, 24
	v_lshlrev_b32_e32 v23, 20, v23
	v_lshl_add_u32 v24, v26, 23, 0x3c000000
	v_lshlrev_b32_sdwa v11, v11, v22 dst_sel:DWORD dst_unused:UNUSED_PAD src0_sel:DWORD src1_sel:WORD_1
	v_and_b32_e32 v11, 0x80000000, v11
	v_or3_b32 v26, v23, v11, v24
.LBB366_1504:                           ;   in Loop: Header=BB366_988 Depth=1
	s_or_b32 exec_lo, exec_lo, s19
.LBB366_1505:                           ;   in Loop: Header=BB366_988 Depth=1
	s_or_b32 exec_lo, exec_lo, s18
.LBB366_1506:                           ;   in Loop: Header=BB366_988 Depth=1
	s_or_b32 exec_lo, exec_lo, s15
	s_mov_b32 s15, exec_lo
	v_cmpx_lt_u64_e64 s[6:7], v[21:22]
	s_cbranch_execz .LBB366_1514
; %bb.1507:                             ;   in Loop: Header=BB366_988 Depth=1
	v_cmp_ne_u32_sdwa s4, v22, v66 src0_sel:BYTE_3 src1_sel:DWORD
	v_bfrev_b32_e32 v25, 1
	s_and_saveexec_b32 s18, s4
	s_cbranch_execz .LBB366_1513
; %bb.1508:                             ;   in Loop: Header=BB366_988 Depth=1
	v_bfe_u32 v23, v22, 24, 7
	v_mov_b32_e32 v25, 0x7f800001
	s_mov_b32 s19, exec_lo
	v_cmpx_ne_u32_e32 0x7f, v23
	s_cbranch_execz .LBB366_1512
; %bb.1509:                             ;   in Loop: Header=BB366_988 Depth=1
	v_mov_b32_e32 v11, 7
	v_lshrrev_b32_e32 v21, 3, v23
	v_cmp_gt_u32_e64 s4, 8, v23
	v_and_b32_sdwa v11, v22, v11 dst_sel:DWORD dst_unused:UNUSED_PAD src0_sel:BYTE_3 src1_sel:DWORD
	v_mov_b32_e32 v24, v12
	v_mov_b32_e32 v23, v11
	s_and_saveexec_b32 s20, s4
; %bb.1510:                             ;   in Loop: Header=BB366_988 Depth=1
	v_ffbh_u32_e32 v21, v11
	v_min_u32_e32 v21, 32, v21
	v_subrev_nc_u32_e32 v23, 28, v21
	v_sub_nc_u32_e32 v21, 29, v21
	v_lshlrev_b64 v[23:24], v23, v[11:12]
	v_and_b32_e32 v23, 7, v23
; %bb.1511:                             ;   in Loop: Header=BB366_988 Depth=1
	s_or_b32 exec_lo, exec_lo, s20
	v_mov_b32_e32 v11, 24
	v_lshl_add_u32 v21, v21, 23, 0x3c000000
	v_lshlrev_b32_sdwa v11, v11, v22 dst_sel:DWORD dst_unused:UNUSED_PAD src0_sel:DWORD src1_sel:BYTE_3
	v_lshlrev_b32_e32 v22, 20, v23
	v_and_b32_e32 v11, 0x80000000, v11
	v_or3_b32 v25, v22, v11, v21
.LBB366_1512:                           ;   in Loop: Header=BB366_988 Depth=1
	s_or_b32 exec_lo, exec_lo, s19
.LBB366_1513:                           ;   in Loop: Header=BB366_988 Depth=1
	s_or_b32 exec_lo, exec_lo, s18
.LBB366_1514:                           ;   in Loop: Header=BB366_988 Depth=1
	s_or_b32 exec_lo, exec_lo, s15
	v_mul_f32_e32 v11, v55, v67
	v_mul_f32_e32 v10, v55, v10
	v_bfe_u32 v21, v11, 16, 1
	v_or_b32_e32 v22, 0x400000, v11
	v_cmp_u_f32_e64 s4, v11, v11
	v_add3_u32 v21, v21, v11, 0x7fff
	v_cndmask_b32_e64 v11, v21, v22, s4
	v_lshrrev_b32_e32 v105, 16, v11
	v_mul_f32_e32 v11, v55, v32
	v_bfe_u32 v21, v11, 16, 1
	v_or_b32_e32 v22, 0x400000, v11
	v_cmp_u_f32_e64 s4, v11, v11
	v_add3_u32 v21, v21, v11, 0x7fff
	v_cndmask_b32_e64 v11, v21, v22, s4
	v_lshrrev_b32_e32 v106, 16, v11
	;; [unrolled: 7-line block ×4, first 2 shown]
	v_mul_f32_e32 v11, v55, v13
	v_bfe_u32 v13, v11, 16, 1
	v_or_b32_e32 v14, 0x400000, v11
	v_cmp_u_f32_e64 s4, v11, v11
	v_add3_u32 v13, v13, v11, 0x7fff
	v_cndmask_b32_e64 v11, v13, v14, s4
	v_or_b32_e32 v13, 0x400000, v10
	v_cmp_u_f32_e64 s4, v10, v10
	v_lshrrev_b32_e32 v110, 16, v11
	v_bfe_u32 v11, v10, 16, 1
	v_add3_u32 v11, v11, v10, 0x7fff
	v_cndmask_b32_e64 v10, v11, v13, s4
	v_lshrrev_b32_e32 v111, 16, v10
	v_mul_f32_e32 v10, v55, v26
	v_bfe_u32 v11, v10, 16, 1
	v_or_b32_e32 v13, 0x400000, v10
	v_cmp_u_f32_e64 s4, v10, v10
	v_add3_u32 v11, v11, v10, 0x7fff
	v_cndmask_b32_e64 v10, v11, v13, s4
	v_lshrrev_b32_e32 v109, 16, v10
	v_mul_f32_e32 v10, v55, v25
	v_bfe_u32 v11, v10, 16, 1
	v_or_b32_e32 v13, 0x400000, v10
	v_cmp_u_f32_e64 s4, v10, v10
	v_add3_u32 v11, v11, v10, 0x7fff
	v_cndmask_b32_e64 v10, v11, v13, s4
	v_lshrrev_b32_e32 v120, 16, v10
	s_and_saveexec_b32 s15, vcc_lo
	s_cbranch_execz .LBB366_1516
; %bb.1515:                             ;   in Loop: Header=BB366_988 Depth=1
	v_cmp_lt_i32_e64 s4, v56, v30
	v_cndmask_b32_e64 v111, 0, v111, s4
	v_cmp_lt_i32_e64 s4, v62, v30
	v_cndmask_b32_e64 v110, 0, v110, s4
	;; [unrolled: 2-line block ×8, first 2 shown]
.LBB366_1516:                           ;   in Loop: Header=BB366_988 Depth=1
	s_or_b32 exec_lo, exec_lo, s15
	v_add_co_u32 v19, s4, 0x800, v19
	v_add_co_ci_u32_e64 v20, null, 0, v20, s4
	v_mov_b32_e32 v13, 0
	v_mov_b32_e32 v10, 0
	flat_load_dwordx2 v[21:22], v[19:20]
	s_waitcnt vmcnt(0) lgkmcnt(0)
	v_cmp_ne_u16_sdwa s4, v21, v12 src0_sel:BYTE_0 src1_sel:DWORD
	s_and_saveexec_b32 s15, s4
	s_cbranch_execz .LBB366_1524
; %bb.1517:                             ;   in Loop: Header=BB366_988 Depth=1
	v_cmp_ne_u16_sdwa s4, v21, v66 src0_sel:BYTE_0 src1_sel:DWORD
	v_bfrev_b32_e32 v10, 1
	s_and_saveexec_b32 s18, s4
	s_cbranch_execz .LBB366_1523
; %bb.1518:                             ;   in Loop: Header=BB366_988 Depth=1
	v_and_b32_e32 v11, 0x7f, v21
	v_mov_b32_e32 v10, 0x7f800001
	s_mov_b32 s19, exec_lo
	v_cmpx_ne_u32_e32 0x7f, v11
	s_cbranch_execz .LBB366_1522
; %bb.1519:                             ;   in Loop: Header=BB366_988 Depth=1
	v_lshrrev_b32_e32 v14, 3, v11
	v_cmp_gt_u32_e64 s4, 8, v11
	v_mov_b32_e32 v10, v21
	v_mov_b32_e32 v11, v22
	s_and_saveexec_b32 s20, s4
; %bb.1520:                             ;   in Loop: Header=BB366_988 Depth=1
	v_and_b32_e32 v10, 7, v21
	v_ffbh_u32_e32 v10, v10
	v_min_u32_e32 v14, 32, v10
	v_subrev_nc_u32_e32 v10, 28, v14
	v_sub_nc_u32_e32 v14, 29, v14
	v_lshlrev_b64 v[10:11], v10, v[21:22]
; %bb.1521:                             ;   in Loop: Header=BB366_988 Depth=1
	s_or_b32 exec_lo, exec_lo, s20
	v_lshlrev_b32_e32 v10, 20, v10
	v_lshlrev_b32_e32 v11, 24, v21
	v_lshl_add_u32 v14, v14, 23, 0x3c000000
	v_and_b32_e32 v10, 0x700000, v10
	v_and_b32_e32 v11, 0x80000000, v11
	v_or3_b32 v10, v10, v11, v14
.LBB366_1522:                           ;   in Loop: Header=BB366_988 Depth=1
	s_or_b32 exec_lo, exec_lo, s19
.LBB366_1523:                           ;   in Loop: Header=BB366_988 Depth=1
	s_or_b32 exec_lo, exec_lo, s18
.LBB366_1524:                           ;   in Loop: Header=BB366_988 Depth=1
	s_or_b32 exec_lo, exec_lo, s15
	v_cmp_ne_u16_sdwa s4, v21, v12 src0_sel:BYTE_1 src1_sel:DWORD
	s_and_saveexec_b32 s15, s4
	s_cbranch_execz .LBB366_1532
; %bb.1525:                             ;   in Loop: Header=BB366_988 Depth=1
	v_cmp_ne_u16_sdwa s4, v21, v66 src0_sel:BYTE_1 src1_sel:DWORD
	v_bfrev_b32_e32 v13, 1
	s_and_saveexec_b32 s18, s4
	s_cbranch_execz .LBB366_1531
; %bb.1526:                             ;   in Loop: Header=BB366_988 Depth=1
	v_mov_b32_e32 v11, 0xffff
	v_mov_b32_e32 v13, 0x7f800001
	s_mov_b32 s19, exec_lo
	v_and_b32_sdwa v11, v11, v21 dst_sel:DWORD dst_unused:UNUSED_PAD src0_sel:DWORD src1_sel:BYTE_1
	v_and_b32_e32 v14, 0x7f, v11
	v_cmpx_ne_u32_e32 0x7f, v14
	s_cbranch_execz .LBB366_1530
; %bb.1527:                             ;   in Loop: Header=BB366_988 Depth=1
	v_and_b32_e32 v11, 7, v11
	v_mov_b32_e32 v24, v12
	v_lshrrev_b32_e32 v13, 3, v14
	s_mov_b32 s20, exec_lo
	v_mov_b32_e32 v23, v11
	v_cmpx_gt_u32_e32 8, v14
; %bb.1528:                             ;   in Loop: Header=BB366_988 Depth=1
	v_ffbh_u32_e32 v13, v11
	v_min_u32_e32 v13, 32, v13
	v_subrev_nc_u32_e32 v14, 28, v13
	v_sub_nc_u32_e32 v13, 29, v13
	v_lshlrev_b64 v[23:24], v14, v[11:12]
	v_and_b32_e32 v23, 7, v23
; %bb.1529:                             ;   in Loop: Header=BB366_988 Depth=1
	s_or_b32 exec_lo, exec_lo, s20
	v_lshlrev_b32_e32 v11, 16, v21
	v_lshlrev_b32_e32 v14, 20, v23
	v_lshl_add_u32 v13, v13, 23, 0x3c000000
	v_and_b32_e32 v11, 0x80000000, v11
	v_or3_b32 v13, v14, v11, v13
.LBB366_1530:                           ;   in Loop: Header=BB366_988 Depth=1
	s_or_b32 exec_lo, exec_lo, s19
.LBB366_1531:                           ;   in Loop: Header=BB366_988 Depth=1
	s_or_b32 exec_lo, exec_lo, s18
.LBB366_1532:                           ;   in Loop: Header=BB366_988 Depth=1
	s_or_b32 exec_lo, exec_lo, s15
	v_and_b32_sdwa v11, v21, v68 dst_sel:DWORD dst_unused:UNUSED_PAD src0_sel:WORD_1 src1_sel:DWORD
	v_mov_b32_e32 v17, 0
	v_mov_b32_e32 v14, 0
	s_mov_b32 s15, exec_lo
	v_cmpx_ne_u16_e32 0, v11
	s_cbranch_execz .LBB366_1540
; %bb.1533:                             ;   in Loop: Header=BB366_988 Depth=1
	v_bfrev_b32_e32 v14, 1
	s_mov_b32 s18, exec_lo
	v_cmpx_ne_u16_e32 0x80, v11
	s_cbranch_execz .LBB366_1539
; %bb.1534:                             ;   in Loop: Header=BB366_988 Depth=1
	v_bfe_u32 v23, v21, 16, 7
	v_mov_b32_e32 v14, 0x7f800001
	s_mov_b32 s19, exec_lo
	v_cmpx_ne_u32_e32 0x7f, v23
	s_cbranch_execz .LBB366_1538
; %bb.1535:                             ;   in Loop: Header=BB366_988 Depth=1
	v_mov_b32_e32 v11, 7
	v_lshrrev_b32_e32 v14, 3, v23
	v_cmp_gt_u32_e64 s4, 8, v23
	v_and_b32_sdwa v11, v21, v11 dst_sel:DWORD dst_unused:UNUSED_PAD src0_sel:WORD_1 src1_sel:DWORD
	v_mov_b32_e32 v24, v12
	v_mov_b32_e32 v23, v11
	s_and_saveexec_b32 s20, s4
; %bb.1536:                             ;   in Loop: Header=BB366_988 Depth=1
	v_ffbh_u32_e32 v14, v11
	v_min_u32_e32 v14, 32, v14
	v_subrev_nc_u32_e32 v23, 28, v14
	v_sub_nc_u32_e32 v14, 29, v14
	v_lshlrev_b64 v[23:24], v23, v[11:12]
	v_and_b32_e32 v23, 7, v23
; %bb.1537:                             ;   in Loop: Header=BB366_988 Depth=1
	s_or_b32 exec_lo, exec_lo, s20
	v_mov_b32_e32 v11, 24
	v_lshlrev_b32_e32 v23, 20, v23
	v_lshl_add_u32 v14, v14, 23, 0x3c000000
	v_lshlrev_b32_sdwa v11, v11, v21 dst_sel:DWORD dst_unused:UNUSED_PAD src0_sel:DWORD src1_sel:WORD_1
	v_and_b32_e32 v11, 0x80000000, v11
	v_or3_b32 v14, v23, v11, v14
.LBB366_1538:                           ;   in Loop: Header=BB366_988 Depth=1
	s_or_b32 exec_lo, exec_lo, s19
.LBB366_1539:                           ;   in Loop: Header=BB366_988 Depth=1
	s_or_b32 exec_lo, exec_lo, s18
.LBB366_1540:                           ;   in Loop: Header=BB366_988 Depth=1
	s_or_b32 exec_lo, exec_lo, s15
	s_mov_b32 s15, exec_lo
	v_cmpx_lt_u32_e32 0xffffff, v21
	s_cbranch_execz .LBB366_1548
; %bb.1541:                             ;   in Loop: Header=BB366_988 Depth=1
	v_cmp_ne_u32_sdwa s4, v21, v66 src0_sel:BYTE_3 src1_sel:DWORD
	v_bfrev_b32_e32 v17, 1
	s_and_saveexec_b32 s18, s4
	s_cbranch_execz .LBB366_1547
; %bb.1542:                             ;   in Loop: Header=BB366_988 Depth=1
	v_bfe_u32 v23, v21, 24, 7
	v_mov_b32_e32 v17, 0x7f800001
	s_mov_b32 s19, exec_lo
	v_cmpx_ne_u32_e32 0x7f, v23
	s_cbranch_execz .LBB366_1546
; %bb.1543:                             ;   in Loop: Header=BB366_988 Depth=1
	v_mov_b32_e32 v11, 7
	v_lshrrev_b32_e32 v17, 3, v23
	v_cmp_gt_u32_e64 s4, 8, v23
	v_and_b32_sdwa v11, v21, v11 dst_sel:DWORD dst_unused:UNUSED_PAD src0_sel:BYTE_3 src1_sel:DWORD
	v_mov_b32_e32 v24, v12
	v_mov_b32_e32 v23, v11
	s_and_saveexec_b32 s20, s4
; %bb.1544:                             ;   in Loop: Header=BB366_988 Depth=1
	v_ffbh_u32_e32 v17, v11
	v_min_u32_e32 v17, 32, v17
	v_subrev_nc_u32_e32 v23, 28, v17
	v_sub_nc_u32_e32 v17, 29, v17
	v_lshlrev_b64 v[23:24], v23, v[11:12]
	v_and_b32_e32 v23, 7, v23
; %bb.1545:                             ;   in Loop: Header=BB366_988 Depth=1
	s_or_b32 exec_lo, exec_lo, s20
	v_mov_b32_e32 v11, 24
	v_lshlrev_b32_e32 v23, 20, v23
	v_lshl_add_u32 v17, v17, 23, 0x3c000000
	v_lshlrev_b32_sdwa v11, v11, v21 dst_sel:DWORD dst_unused:UNUSED_PAD src0_sel:DWORD src1_sel:BYTE_3
	v_and_b32_e32 v11, 0x80000000, v11
	v_or3_b32 v17, v23, v11, v17
.LBB366_1546:                           ;   in Loop: Header=BB366_988 Depth=1
	s_or_b32 exec_lo, exec_lo, s19
.LBB366_1547:                           ;   in Loop: Header=BB366_988 Depth=1
	s_or_b32 exec_lo, exec_lo, s18
.LBB366_1548:                           ;   in Loop: Header=BB366_988 Depth=1
	s_or_b32 exec_lo, exec_lo, s15
	v_mov_b32_e32 v11, v22
	v_cmp_ne_u16_sdwa s4, v22, v12 src0_sel:BYTE_0 src1_sel:DWORD
	v_mov_b32_e32 v67, 0
	v_mov_b32_e32 v32, 0
	s_and_saveexec_b32 s15, s4
	s_cbranch_execz .LBB366_1556
; %bb.1549:                             ;   in Loop: Header=BB366_988 Depth=1
	v_cmp_ne_u16_sdwa s4, v22, v66 src0_sel:BYTE_0 src1_sel:DWORD
	v_bfrev_b32_e32 v32, 1
	s_and_saveexec_b32 s18, s4
	s_cbranch_execz .LBB366_1555
; %bb.1550:                             ;   in Loop: Header=BB366_988 Depth=1
	v_and_b32_e32 v23, 0x7f, v22
	v_mov_b32_e32 v32, 0x7f800001
	s_mov_b32 s19, exec_lo
	v_cmpx_ne_u32_e32 0x7f, v23
	s_cbranch_execz .LBB366_1554
; %bb.1551:                             ;   in Loop: Header=BB366_988 Depth=1
	v_lshrrev_b32_e32 v25, 3, v23
	v_cmp_gt_u32_e64 s4, 8, v23
	v_mov_b32_e32 v24, v12
	v_mov_b32_e32 v23, v11
	s_and_saveexec_b32 s20, s4
; %bb.1552:                             ;   in Loop: Header=BB366_988 Depth=1
	v_and_b32_e32 v23, 7, v22
	v_ffbh_u32_e32 v23, v23
	v_min_u32_e32 v25, 32, v23
	v_subrev_nc_u32_e32 v23, 28, v25
	v_sub_nc_u32_e32 v25, 29, v25
	v_lshlrev_b64 v[23:24], v23, v[11:12]
; %bb.1553:                             ;   in Loop: Header=BB366_988 Depth=1
	s_or_b32 exec_lo, exec_lo, s20
	v_lshlrev_b32_e32 v23, 20, v23
	v_lshlrev_b32_e32 v24, 24, v11
	v_lshl_add_u32 v25, v25, 23, 0x3c000000
	v_and_b32_e32 v23, 0x700000, v23
	v_and_b32_e32 v24, 0x80000000, v24
	v_or3_b32 v32, v23, v24, v25
.LBB366_1554:                           ;   in Loop: Header=BB366_988 Depth=1
	s_or_b32 exec_lo, exec_lo, s19
.LBB366_1555:                           ;   in Loop: Header=BB366_988 Depth=1
	s_or_b32 exec_lo, exec_lo, s18
.LBB366_1556:                           ;   in Loop: Header=BB366_988 Depth=1
	s_or_b32 exec_lo, exec_lo, s15
	v_cmp_ne_u16_sdwa s4, v11, v12 src0_sel:BYTE_1 src1_sel:DWORD
	s_and_saveexec_b32 s15, s4
	s_cbranch_execz .LBB366_1564
; %bb.1557:                             ;   in Loop: Header=BB366_988 Depth=1
	v_cmp_ne_u16_sdwa s4, v11, v66 src0_sel:BYTE_1 src1_sel:DWORD
	v_bfrev_b32_e32 v67, 1
	s_and_saveexec_b32 s18, s4
	s_cbranch_execz .LBB366_1563
; %bb.1558:                             ;   in Loop: Header=BB366_988 Depth=1
	v_mov_b32_e32 v23, 0xffff
	v_mov_b32_e32 v67, 0x7f800001
	s_mov_b32 s19, exec_lo
	v_and_b32_sdwa v23, v23, v11 dst_sel:DWORD dst_unused:UNUSED_PAD src0_sel:DWORD src1_sel:BYTE_1
	v_and_b32_e32 v26, 0x7f, v23
	v_cmpx_ne_u32_e32 0x7f, v26
	s_cbranch_execz .LBB366_1562
; %bb.1559:                             ;   in Loop: Header=BB366_988 Depth=1
	v_and_b32_e32 v23, 7, v23
	v_mov_b32_e32 v24, v12
	v_lshrrev_b32_e32 v25, 3, v26
	s_mov_b32 s20, exec_lo
	v_cmpx_gt_u32_e32 8, v26
; %bb.1560:                             ;   in Loop: Header=BB366_988 Depth=1
	v_ffbh_u32_e32 v25, v23
	v_min_u32_e32 v25, 32, v25
	v_subrev_nc_u32_e32 v26, 28, v25
	v_sub_nc_u32_e32 v25, 29, v25
	v_lshlrev_b64 v[23:24], v26, v[23:24]
	v_and_b32_e32 v23, 7, v23
; %bb.1561:                             ;   in Loop: Header=BB366_988 Depth=1
	s_or_b32 exec_lo, exec_lo, s20
	v_lshlrev_b32_e32 v11, 16, v11
	v_lshlrev_b32_e32 v23, 20, v23
	v_lshl_add_u32 v24, v25, 23, 0x3c000000
	v_and_b32_e32 v11, 0x80000000, v11
	v_or3_b32 v67, v23, v11, v24
.LBB366_1562:                           ;   in Loop: Header=BB366_988 Depth=1
	s_or_b32 exec_lo, exec_lo, s19
.LBB366_1563:                           ;   in Loop: Header=BB366_988 Depth=1
	s_or_b32 exec_lo, exec_lo, s18
.LBB366_1564:                           ;   in Loop: Header=BB366_988 Depth=1
	s_or_b32 exec_lo, exec_lo, s15
	v_and_b32_sdwa v11, v22, v68 dst_sel:DWORD dst_unused:UNUSED_PAD src0_sel:WORD_1 src1_sel:DWORD
	v_mov_b32_e32 v25, 0
	v_mov_b32_e32 v26, 0
	s_mov_b32 s15, exec_lo
	v_cmpx_ne_u16_e32 0, v11
	s_cbranch_execz .LBB366_1572
; %bb.1565:                             ;   in Loop: Header=BB366_988 Depth=1
	v_bfrev_b32_e32 v26, 1
	s_mov_b32 s18, exec_lo
	v_cmpx_ne_u16_e32 0x80, v11
	s_cbranch_execz .LBB366_1571
; %bb.1566:                             ;   in Loop: Header=BB366_988 Depth=1
	v_bfe_u32 v23, v22, 16, 7
	v_mov_b32_e32 v26, 0x7f800001
	s_mov_b32 s19, exec_lo
	v_cmpx_ne_u32_e32 0x7f, v23
	s_cbranch_execz .LBB366_1570
; %bb.1567:                             ;   in Loop: Header=BB366_988 Depth=1
	v_mov_b32_e32 v11, 7
	v_lshrrev_b32_e32 v26, 3, v23
	v_cmp_gt_u32_e64 s4, 8, v23
	v_and_b32_sdwa v11, v22, v11 dst_sel:DWORD dst_unused:UNUSED_PAD src0_sel:WORD_1 src1_sel:DWORD
	v_mov_b32_e32 v24, v12
	v_mov_b32_e32 v23, v11
	s_and_saveexec_b32 s20, s4
; %bb.1568:                             ;   in Loop: Header=BB366_988 Depth=1
	v_ffbh_u32_e32 v23, v11
	v_min_u32_e32 v26, 32, v23
	v_subrev_nc_u32_e32 v23, 28, v26
	v_sub_nc_u32_e32 v26, 29, v26
	v_lshlrev_b64 v[23:24], v23, v[11:12]
	v_and_b32_e32 v23, 7, v23
; %bb.1569:                             ;   in Loop: Header=BB366_988 Depth=1
	s_or_b32 exec_lo, exec_lo, s20
	v_mov_b32_e32 v11, 24
	v_lshlrev_b32_e32 v23, 20, v23
	v_lshl_add_u32 v24, v26, 23, 0x3c000000
	v_lshlrev_b32_sdwa v11, v11, v22 dst_sel:DWORD dst_unused:UNUSED_PAD src0_sel:DWORD src1_sel:WORD_1
	v_and_b32_e32 v11, 0x80000000, v11
	v_or3_b32 v26, v23, v11, v24
.LBB366_1570:                           ;   in Loop: Header=BB366_988 Depth=1
	s_or_b32 exec_lo, exec_lo, s19
.LBB366_1571:                           ;   in Loop: Header=BB366_988 Depth=1
	s_or_b32 exec_lo, exec_lo, s18
.LBB366_1572:                           ;   in Loop: Header=BB366_988 Depth=1
	s_or_b32 exec_lo, exec_lo, s15
	s_mov_b32 s15, exec_lo
	v_cmpx_lt_u64_e64 s[6:7], v[21:22]
	s_cbranch_execz .LBB366_1580
; %bb.1573:                             ;   in Loop: Header=BB366_988 Depth=1
	v_cmp_ne_u32_sdwa s4, v22, v66 src0_sel:BYTE_3 src1_sel:DWORD
	v_bfrev_b32_e32 v25, 1
	s_and_saveexec_b32 s18, s4
	s_cbranch_execz .LBB366_1579
; %bb.1574:                             ;   in Loop: Header=BB366_988 Depth=1
	v_bfe_u32 v23, v22, 24, 7
	v_mov_b32_e32 v25, 0x7f800001
	s_mov_b32 s19, exec_lo
	v_cmpx_ne_u32_e32 0x7f, v23
	s_cbranch_execz .LBB366_1578
; %bb.1575:                             ;   in Loop: Header=BB366_988 Depth=1
	v_mov_b32_e32 v11, 7
	v_lshrrev_b32_e32 v21, 3, v23
	v_cmp_gt_u32_e64 s4, 8, v23
	v_and_b32_sdwa v11, v22, v11 dst_sel:DWORD dst_unused:UNUSED_PAD src0_sel:BYTE_3 src1_sel:DWORD
	v_mov_b32_e32 v24, v12
	v_mov_b32_e32 v23, v11
	s_and_saveexec_b32 s20, s4
; %bb.1576:                             ;   in Loop: Header=BB366_988 Depth=1
	v_ffbh_u32_e32 v21, v11
	v_min_u32_e32 v21, 32, v21
	v_subrev_nc_u32_e32 v23, 28, v21
	v_sub_nc_u32_e32 v21, 29, v21
	v_lshlrev_b64 v[23:24], v23, v[11:12]
	v_and_b32_e32 v23, 7, v23
; %bb.1577:                             ;   in Loop: Header=BB366_988 Depth=1
	s_or_b32 exec_lo, exec_lo, s20
	v_mov_b32_e32 v11, 24
	v_lshl_add_u32 v21, v21, 23, 0x3c000000
	v_lshlrev_b32_sdwa v11, v11, v22 dst_sel:DWORD dst_unused:UNUSED_PAD src0_sel:DWORD src1_sel:BYTE_3
	v_lshlrev_b32_e32 v22, 20, v23
	v_and_b32_e32 v11, 0x80000000, v11
	v_or3_b32 v25, v22, v11, v21
.LBB366_1578:                           ;   in Loop: Header=BB366_988 Depth=1
	s_or_b32 exec_lo, exec_lo, s19
.LBB366_1579:                           ;   in Loop: Header=BB366_988 Depth=1
	s_or_b32 exec_lo, exec_lo, s18
.LBB366_1580:                           ;   in Loop: Header=BB366_988 Depth=1
	s_or_b32 exec_lo, exec_lo, s15
	v_mul_f32_e32 v11, v55, v67
	v_mul_f32_e32 v10, v55, v10
	v_bfe_u32 v21, v11, 16, 1
	v_or_b32_e32 v22, 0x400000, v11
	v_cmp_u_f32_e64 s4, v11, v11
	v_add3_u32 v21, v21, v11, 0x7fff
	v_cndmask_b32_e64 v11, v21, v22, s4
	v_lshrrev_b32_e32 v121, 16, v11
	v_mul_f32_e32 v11, v55, v32
	v_bfe_u32 v21, v11, 16, 1
	v_or_b32_e32 v22, 0x400000, v11
	v_cmp_u_f32_e64 s4, v11, v11
	v_add3_u32 v21, v21, v11, 0x7fff
	v_cndmask_b32_e64 v11, v21, v22, s4
	v_lshrrev_b32_e32 v122, 16, v11
	v_mul_f32_e32 v11, v55, v17
	v_bfe_u32 v17, v11, 16, 1
	v_or_b32_e32 v21, 0x400000, v11
	v_cmp_u_f32_e64 s4, v11, v11
	v_add3_u32 v17, v17, v11, 0x7fff
	v_cndmask_b32_e64 v11, v17, v21, s4
	v_lshrrev_b32_e32 v123, 16, v11
	v_mul_f32_e32 v11, v55, v14
	v_bfe_u32 v14, v11, 16, 1
	v_or_b32_e32 v17, 0x400000, v11
	v_cmp_u_f32_e64 s4, v11, v11
	v_add3_u32 v14, v14, v11, 0x7fff
	v_cndmask_b32_e64 v11, v14, v17, s4
	v_lshrrev_b32_e32 v124, 16, v11
	v_mul_f32_e32 v11, v55, v13
	v_bfe_u32 v13, v11, 16, 1
	v_or_b32_e32 v14, 0x400000, v11
	v_cmp_u_f32_e64 s4, v11, v11
	v_add3_u32 v13, v13, v11, 0x7fff
	v_cndmask_b32_e64 v11, v13, v14, s4
	v_or_b32_e32 v13, 0x400000, v10
	v_cmp_u_f32_e64 s4, v10, v10
	v_lshrrev_b32_e32 v126, 16, v11
	v_bfe_u32 v11, v10, 16, 1
	v_add3_u32 v11, v11, v10, 0x7fff
	v_cndmask_b32_e64 v10, v11, v13, s4
	v_lshrrev_b32_e32 v127, 16, v10
	v_mul_f32_e32 v10, v55, v26
	v_bfe_u32 v11, v10, 16, 1
	v_or_b32_e32 v13, 0x400000, v10
	v_cmp_u_f32_e64 s4, v10, v10
	v_add3_u32 v11, v11, v10, 0x7fff
	v_cndmask_b32_e64 v10, v11, v13, s4
	v_lshrrev_b32_e32 v125, 16, v10
	v_mul_f32_e32 v10, v55, v25
	v_bfe_u32 v11, v10, 16, 1
	v_or_b32_e32 v13, 0x400000, v10
	v_cmp_u_f32_e64 s4, v10, v10
	v_add3_u32 v11, v11, v10, 0x7fff
	v_cndmask_b32_e64 v10, v11, v13, s4
	v_lshrrev_b32_e32 v26, 16, v10
	s_and_saveexec_b32 s15, vcc_lo
	s_cbranch_execz .LBB366_1582
; %bb.1581:                             ;   in Loop: Header=BB366_988 Depth=1
	v_cmp_lt_i32_e64 s4, v56, v30
	v_cndmask_b32_e64 v127, 0, v127, s4
	v_cmp_lt_i32_e64 s4, v62, v30
	v_cndmask_b32_e64 v126, 0, v126, s4
	;; [unrolled: 2-line block ×8, first 2 shown]
.LBB366_1582:                           ;   in Loop: Header=BB366_988 Depth=1
	s_or_b32 exec_lo, exec_lo, s15
	flat_load_dwordx2 v[21:22], v[19:20] offset:256
	v_mov_b32_e32 v32, 0
	v_mov_b32_e32 v10, 0
	s_waitcnt vmcnt(0) lgkmcnt(0)
	v_cmp_ne_u16_sdwa s4, v21, v12 src0_sel:BYTE_0 src1_sel:DWORD
	s_and_saveexec_b32 s15, s4
	s_cbranch_execz .LBB366_1590
; %bb.1583:                             ;   in Loop: Header=BB366_988 Depth=1
	v_cmp_ne_u16_sdwa s4, v21, v66 src0_sel:BYTE_0 src1_sel:DWORD
	v_bfrev_b32_e32 v10, 1
	s_and_saveexec_b32 s18, s4
	s_cbranch_execz .LBB366_1589
; %bb.1584:                             ;   in Loop: Header=BB366_988 Depth=1
	v_and_b32_e32 v11, 0x7f, v21
	v_mov_b32_e32 v10, 0x7f800001
	s_mov_b32 s19, exec_lo
	v_cmpx_ne_u32_e32 0x7f, v11
	s_cbranch_execz .LBB366_1588
; %bb.1585:                             ;   in Loop: Header=BB366_988 Depth=1
	v_lshrrev_b32_e32 v13, 3, v11
	v_cmp_gt_u32_e64 s4, 8, v11
	v_mov_b32_e32 v10, v21
	v_mov_b32_e32 v11, v22
	s_and_saveexec_b32 s20, s4
; %bb.1586:                             ;   in Loop: Header=BB366_988 Depth=1
	v_and_b32_e32 v10, 7, v21
	v_ffbh_u32_e32 v10, v10
	v_min_u32_e32 v13, 32, v10
	v_subrev_nc_u32_e32 v10, 28, v13
	v_sub_nc_u32_e32 v13, 29, v13
	v_lshlrev_b64 v[10:11], v10, v[21:22]
; %bb.1587:                             ;   in Loop: Header=BB366_988 Depth=1
	s_or_b32 exec_lo, exec_lo, s20
	v_lshlrev_b32_e32 v10, 20, v10
	v_lshlrev_b32_e32 v11, 24, v21
	v_lshl_add_u32 v13, v13, 23, 0x3c000000
	v_and_b32_e32 v10, 0x700000, v10
	v_and_b32_e32 v11, 0x80000000, v11
	v_or3_b32 v10, v10, v11, v13
.LBB366_1588:                           ;   in Loop: Header=BB366_988 Depth=1
	s_or_b32 exec_lo, exec_lo, s19
.LBB366_1589:                           ;   in Loop: Header=BB366_988 Depth=1
	s_or_b32 exec_lo, exec_lo, s18
.LBB366_1590:                           ;   in Loop: Header=BB366_988 Depth=1
	s_or_b32 exec_lo, exec_lo, s15
	v_cmp_ne_u16_sdwa s4, v21, v12 src0_sel:BYTE_1 src1_sel:DWORD
	s_and_saveexec_b32 s15, s4
	s_cbranch_execz .LBB366_1598
; %bb.1591:                             ;   in Loop: Header=BB366_988 Depth=1
	v_cmp_ne_u16_sdwa s4, v21, v66 src0_sel:BYTE_1 src1_sel:DWORD
	v_bfrev_b32_e32 v32, 1
	s_and_saveexec_b32 s18, s4
	s_cbranch_execz .LBB366_1597
; %bb.1592:                             ;   in Loop: Header=BB366_988 Depth=1
	v_mov_b32_e32 v11, 0xffff
	v_mov_b32_e32 v32, 0x7f800001
	s_mov_b32 s19, exec_lo
	v_and_b32_sdwa v11, v11, v21 dst_sel:DWORD dst_unused:UNUSED_PAD src0_sel:DWORD src1_sel:BYTE_1
	v_and_b32_e32 v14, 0x7f, v11
	v_cmpx_ne_u32_e32 0x7f, v14
	s_cbranch_execz .LBB366_1596
; %bb.1593:                             ;   in Loop: Header=BB366_988 Depth=1
	v_and_b32_e32 v11, 7, v11
	v_mov_b32_e32 v24, v12
	v_lshrrev_b32_e32 v13, 3, v14
	s_mov_b32 s20, exec_lo
	v_mov_b32_e32 v23, v11
	v_cmpx_gt_u32_e32 8, v14
; %bb.1594:                             ;   in Loop: Header=BB366_988 Depth=1
	v_ffbh_u32_e32 v13, v11
	v_min_u32_e32 v13, 32, v13
	v_subrev_nc_u32_e32 v14, 28, v13
	v_sub_nc_u32_e32 v13, 29, v13
	v_lshlrev_b64 v[23:24], v14, v[11:12]
	v_and_b32_e32 v23, 7, v23
; %bb.1595:                             ;   in Loop: Header=BB366_988 Depth=1
	s_or_b32 exec_lo, exec_lo, s20
	v_lshlrev_b32_e32 v11, 16, v21
	v_lshlrev_b32_e32 v14, 20, v23
	v_lshl_add_u32 v13, v13, 23, 0x3c000000
	v_and_b32_e32 v11, 0x80000000, v11
	v_or3_b32 v32, v14, v11, v13
.LBB366_1596:                           ;   in Loop: Header=BB366_988 Depth=1
	s_or_b32 exec_lo, exec_lo, s19
.LBB366_1597:                           ;   in Loop: Header=BB366_988 Depth=1
	s_or_b32 exec_lo, exec_lo, s18
.LBB366_1598:                           ;   in Loop: Header=BB366_988 Depth=1
	s_or_b32 exec_lo, exec_lo, s15
	v_and_b32_sdwa v11, v21, v68 dst_sel:DWORD dst_unused:UNUSED_PAD src0_sel:WORD_1 src1_sel:DWORD
	v_mov_b32_e32 v17, 0
	v_mov_b32_e32 v25, 0
	s_mov_b32 s15, exec_lo
	v_cmpx_ne_u16_e32 0, v11
	s_cbranch_execz .LBB366_1606
; %bb.1599:                             ;   in Loop: Header=BB366_988 Depth=1
	v_bfrev_b32_e32 v25, 1
	s_mov_b32 s18, exec_lo
	v_cmpx_ne_u16_e32 0x80, v11
	s_cbranch_execz .LBB366_1605
; %bb.1600:                             ;   in Loop: Header=BB366_988 Depth=1
	v_bfe_u32 v14, v21, 16, 7
	v_mov_b32_e32 v25, 0x7f800001
	s_mov_b32 s19, exec_lo
	v_cmpx_ne_u32_e32 0x7f, v14
	s_cbranch_execz .LBB366_1604
; %bb.1601:                             ;   in Loop: Header=BB366_988 Depth=1
	v_mov_b32_e32 v11, 7
	v_lshrrev_b32_e32 v13, 3, v14
	s_mov_b32 s20, exec_lo
	v_and_b32_sdwa v11, v21, v11 dst_sel:DWORD dst_unused:UNUSED_PAD src0_sel:WORD_1 src1_sel:DWORD
	v_mov_b32_e32 v24, v12
	v_mov_b32_e32 v23, v11
	v_cmpx_gt_u32_e32 8, v14
; %bb.1602:                             ;   in Loop: Header=BB366_988 Depth=1
	v_ffbh_u32_e32 v13, v11
	v_min_u32_e32 v13, 32, v13
	v_subrev_nc_u32_e32 v14, 28, v13
	v_sub_nc_u32_e32 v13, 29, v13
	v_lshlrev_b64 v[23:24], v14, v[11:12]
	v_and_b32_e32 v23, 7, v23
; %bb.1603:                             ;   in Loop: Header=BB366_988 Depth=1
	s_or_b32 exec_lo, exec_lo, s20
	v_mov_b32_e32 v11, 24
	v_lshlrev_b32_e32 v14, 20, v23
	v_lshl_add_u32 v13, v13, 23, 0x3c000000
	v_lshlrev_b32_sdwa v11, v11, v21 dst_sel:DWORD dst_unused:UNUSED_PAD src0_sel:DWORD src1_sel:WORD_1
	v_and_b32_e32 v11, 0x80000000, v11
	v_or3_b32 v25, v14, v11, v13
.LBB366_1604:                           ;   in Loop: Header=BB366_988 Depth=1
	s_or_b32 exec_lo, exec_lo, s19
.LBB366_1605:                           ;   in Loop: Header=BB366_988 Depth=1
	s_or_b32 exec_lo, exec_lo, s18
.LBB366_1606:                           ;   in Loop: Header=BB366_988 Depth=1
	s_or_b32 exec_lo, exec_lo, s15
	s_mov_b32 s15, exec_lo
	v_cmpx_lt_u32_e32 0xffffff, v21
	s_cbranch_execz .LBB366_1614
; %bb.1607:                             ;   in Loop: Header=BB366_988 Depth=1
	v_cmp_ne_u32_sdwa s4, v21, v66 src0_sel:BYTE_3 src1_sel:DWORD
	v_bfrev_b32_e32 v17, 1
	s_and_saveexec_b32 s18, s4
	s_cbranch_execz .LBB366_1613
; %bb.1608:                             ;   in Loop: Header=BB366_988 Depth=1
	v_bfe_u32 v14, v21, 24, 7
	v_mov_b32_e32 v17, 0x7f800001
	s_mov_b32 s19, exec_lo
	v_cmpx_ne_u32_e32 0x7f, v14
	s_cbranch_execz .LBB366_1612
; %bb.1609:                             ;   in Loop: Header=BB366_988 Depth=1
	v_mov_b32_e32 v11, 7
	v_lshrrev_b32_e32 v13, 3, v14
	s_mov_b32 s20, exec_lo
	v_and_b32_sdwa v11, v21, v11 dst_sel:DWORD dst_unused:UNUSED_PAD src0_sel:BYTE_3 src1_sel:DWORD
	v_mov_b32_e32 v24, v12
	v_mov_b32_e32 v23, v11
	v_cmpx_gt_u32_e32 8, v14
; %bb.1610:                             ;   in Loop: Header=BB366_988 Depth=1
	v_ffbh_u32_e32 v13, v11
	v_min_u32_e32 v13, 32, v13
	v_subrev_nc_u32_e32 v14, 28, v13
	v_sub_nc_u32_e32 v13, 29, v13
	v_lshlrev_b64 v[23:24], v14, v[11:12]
	v_and_b32_e32 v23, 7, v23
; %bb.1611:                             ;   in Loop: Header=BB366_988 Depth=1
	s_or_b32 exec_lo, exec_lo, s20
	v_mov_b32_e32 v11, 24
	v_lshlrev_b32_e32 v14, 20, v23
	v_lshl_add_u32 v13, v13, 23, 0x3c000000
	v_lshlrev_b32_sdwa v11, v11, v21 dst_sel:DWORD dst_unused:UNUSED_PAD src0_sel:DWORD src1_sel:BYTE_3
	v_and_b32_e32 v11, 0x80000000, v11
	v_or3_b32 v17, v14, v11, v13
.LBB366_1612:                           ;   in Loop: Header=BB366_988 Depth=1
	s_or_b32 exec_lo, exec_lo, s19
.LBB366_1613:                           ;   in Loop: Header=BB366_988 Depth=1
	s_or_b32 exec_lo, exec_lo, s18
.LBB366_1614:                           ;   in Loop: Header=BB366_988 Depth=1
	s_or_b32 exec_lo, exec_lo, s15
	v_mov_b32_e32 v11, v22
	v_cmp_ne_u16_sdwa s4, v22, v12 src0_sel:BYTE_0 src1_sel:DWORD
	v_mov_b32_e32 v13, 0
	v_mov_b32_e32 v14, 0
	s_and_saveexec_b32 s15, s4
	s_cbranch_execz .LBB366_1622
; %bb.1615:                             ;   in Loop: Header=BB366_988 Depth=1
	v_cmp_ne_u16_sdwa s4, v22, v66 src0_sel:BYTE_0 src1_sel:DWORD
	v_bfrev_b32_e32 v14, 1
	s_and_saveexec_b32 s18, s4
	s_cbranch_execz .LBB366_1621
; %bb.1616:                             ;   in Loop: Header=BB366_988 Depth=1
	v_and_b32_e32 v23, 0x7f, v22
	v_mov_b32_e32 v14, 0x7f800001
	s_mov_b32 s19, exec_lo
	v_cmpx_ne_u32_e32 0x7f, v23
	s_cbranch_execz .LBB366_1620
; %bb.1617:                             ;   in Loop: Header=BB366_988 Depth=1
	v_lshrrev_b32_e32 v14, 3, v23
	v_cmp_gt_u32_e64 s4, 8, v23
	v_mov_b32_e32 v24, v12
	v_mov_b32_e32 v23, v11
	s_and_saveexec_b32 s20, s4
; %bb.1618:                             ;   in Loop: Header=BB366_988 Depth=1
	v_and_b32_e32 v14, 7, v22
	v_ffbh_u32_e32 v14, v14
	v_min_u32_e32 v14, 32, v14
	v_subrev_nc_u32_e32 v23, 28, v14
	v_sub_nc_u32_e32 v14, 29, v14
	v_lshlrev_b64 v[23:24], v23, v[11:12]
; %bb.1619:                             ;   in Loop: Header=BB366_988 Depth=1
	s_or_b32 exec_lo, exec_lo, s20
	v_lshlrev_b32_e32 v23, 20, v23
	v_lshlrev_b32_e32 v24, 24, v11
	v_lshl_add_u32 v14, v14, 23, 0x3c000000
	v_and_b32_e32 v23, 0x700000, v23
	v_and_b32_e32 v24, 0x80000000, v24
	v_or3_b32 v14, v23, v24, v14
.LBB366_1620:                           ;   in Loop: Header=BB366_988 Depth=1
	s_or_b32 exec_lo, exec_lo, s19
.LBB366_1621:                           ;   in Loop: Header=BB366_988 Depth=1
	s_or_b32 exec_lo, exec_lo, s18
.LBB366_1622:                           ;   in Loop: Header=BB366_988 Depth=1
	s_or_b32 exec_lo, exec_lo, s15
	v_cmp_ne_u16_sdwa s4, v11, v12 src0_sel:BYTE_1 src1_sel:DWORD
	s_and_saveexec_b32 s15, s4
	s_cbranch_execz .LBB366_1630
; %bb.1623:                             ;   in Loop: Header=BB366_988 Depth=1
	v_cmp_ne_u16_sdwa s4, v11, v66 src0_sel:BYTE_1 src1_sel:DWORD
	v_bfrev_b32_e32 v13, 1
	s_and_saveexec_b32 s18, s4
	s_cbranch_execz .LBB366_1629
; %bb.1624:                             ;   in Loop: Header=BB366_988 Depth=1
	v_mov_b32_e32 v13, 0xffff
	s_mov_b32 s19, exec_lo
	v_and_b32_sdwa v23, v13, v11 dst_sel:DWORD dst_unused:UNUSED_PAD src0_sel:DWORD src1_sel:BYTE_1
	v_mov_b32_e32 v13, 0x7f800001
	v_and_b32_e32 v67, 0x7f, v23
	v_cmpx_ne_u32_e32 0x7f, v67
	s_cbranch_execz .LBB366_1628
; %bb.1625:                             ;   in Loop: Header=BB366_988 Depth=1
	v_and_b32_e32 v23, 7, v23
	v_mov_b32_e32 v24, v12
	v_lshrrev_b32_e32 v13, 3, v67
	s_mov_b32 s20, exec_lo
	v_cmpx_gt_u32_e32 8, v67
; %bb.1626:                             ;   in Loop: Header=BB366_988 Depth=1
	v_ffbh_u32_e32 v13, v23
	v_min_u32_e32 v13, 32, v13
	v_subrev_nc_u32_e32 v67, 28, v13
	v_sub_nc_u32_e32 v13, 29, v13
	v_lshlrev_b64 v[23:24], v67, v[23:24]
	v_and_b32_e32 v23, 7, v23
; %bb.1627:                             ;   in Loop: Header=BB366_988 Depth=1
	s_or_b32 exec_lo, exec_lo, s20
	v_lshlrev_b32_e32 v11, 16, v11
	v_lshlrev_b32_e32 v23, 20, v23
	v_lshl_add_u32 v13, v13, 23, 0x3c000000
	v_and_b32_e32 v11, 0x80000000, v11
	v_or3_b32 v13, v23, v11, v13
.LBB366_1628:                           ;   in Loop: Header=BB366_988 Depth=1
	s_or_b32 exec_lo, exec_lo, s19
.LBB366_1629:                           ;   in Loop: Header=BB366_988 Depth=1
	s_or_b32 exec_lo, exec_lo, s18
.LBB366_1630:                           ;   in Loop: Header=BB366_988 Depth=1
	s_or_b32 exec_lo, exec_lo, s15
	v_and_b32_sdwa v11, v22, v68 dst_sel:DWORD dst_unused:UNUSED_PAD src0_sel:WORD_1 src1_sel:DWORD
	v_mov_b32_e32 v67, 0
	v_mov_b32_e32 v69, 0
	s_mov_b32 s15, exec_lo
	v_cmpx_ne_u16_e32 0, v11
	s_cbranch_execz .LBB366_1638
; %bb.1631:                             ;   in Loop: Header=BB366_988 Depth=1
	v_bfrev_b32_e32 v69, 1
	s_mov_b32 s18, exec_lo
	v_cmpx_ne_u16_e32 0x80, v11
	s_cbranch_execz .LBB366_1637
; %bb.1632:                             ;   in Loop: Header=BB366_988 Depth=1
	v_bfe_u32 v23, v22, 16, 7
	v_mov_b32_e32 v69, 0x7f800001
	s_mov_b32 s19, exec_lo
	v_cmpx_ne_u32_e32 0x7f, v23
	s_cbranch_execz .LBB366_1636
; %bb.1633:                             ;   in Loop: Header=BB366_988 Depth=1
	v_mov_b32_e32 v11, 7
	v_lshrrev_b32_e32 v69, 3, v23
	v_cmp_gt_u32_e64 s4, 8, v23
	v_and_b32_sdwa v11, v22, v11 dst_sel:DWORD dst_unused:UNUSED_PAD src0_sel:WORD_1 src1_sel:DWORD
	v_mov_b32_e32 v24, v12
	v_mov_b32_e32 v23, v11
	s_and_saveexec_b32 s20, s4
; %bb.1634:                             ;   in Loop: Header=BB366_988 Depth=1
	v_ffbh_u32_e32 v23, v11
	v_min_u32_e32 v69, 32, v23
	v_subrev_nc_u32_e32 v23, 28, v69
	v_sub_nc_u32_e32 v69, 29, v69
	v_lshlrev_b64 v[23:24], v23, v[11:12]
	v_and_b32_e32 v23, 7, v23
; %bb.1635:                             ;   in Loop: Header=BB366_988 Depth=1
	s_or_b32 exec_lo, exec_lo, s20
	v_mov_b32_e32 v11, 24
	v_lshlrev_b32_e32 v23, 20, v23
	v_lshl_add_u32 v24, v69, 23, 0x3c000000
	v_lshlrev_b32_sdwa v11, v11, v22 dst_sel:DWORD dst_unused:UNUSED_PAD src0_sel:DWORD src1_sel:WORD_1
	v_and_b32_e32 v11, 0x80000000, v11
	v_or3_b32 v69, v23, v11, v24
.LBB366_1636:                           ;   in Loop: Header=BB366_988 Depth=1
	s_or_b32 exec_lo, exec_lo, s19
.LBB366_1637:                           ;   in Loop: Header=BB366_988 Depth=1
	s_or_b32 exec_lo, exec_lo, s18
.LBB366_1638:                           ;   in Loop: Header=BB366_988 Depth=1
	s_or_b32 exec_lo, exec_lo, s15
	s_mov_b32 s15, exec_lo
	v_cmpx_lt_u64_e64 s[6:7], v[21:22]
	s_cbranch_execz .LBB366_1646
; %bb.1639:                             ;   in Loop: Header=BB366_988 Depth=1
	v_cmp_ne_u32_sdwa s4, v22, v66 src0_sel:BYTE_3 src1_sel:DWORD
	v_bfrev_b32_e32 v67, 1
	s_and_saveexec_b32 s18, s4
	s_cbranch_execz .LBB366_1645
; %bb.1640:                             ;   in Loop: Header=BB366_988 Depth=1
	v_bfe_u32 v23, v22, 24, 7
	v_mov_b32_e32 v67, 0x7f800001
	s_mov_b32 s19, exec_lo
	v_cmpx_ne_u32_e32 0x7f, v23
	s_cbranch_execz .LBB366_1644
; %bb.1641:                             ;   in Loop: Header=BB366_988 Depth=1
	v_mov_b32_e32 v11, 7
	v_lshrrev_b32_e32 v21, 3, v23
	v_cmp_gt_u32_e64 s4, 8, v23
	v_and_b32_sdwa v11, v22, v11 dst_sel:DWORD dst_unused:UNUSED_PAD src0_sel:BYTE_3 src1_sel:DWORD
	v_mov_b32_e32 v24, v12
	v_mov_b32_e32 v23, v11
	s_and_saveexec_b32 s20, s4
; %bb.1642:                             ;   in Loop: Header=BB366_988 Depth=1
	v_ffbh_u32_e32 v21, v11
	v_min_u32_e32 v21, 32, v21
	v_subrev_nc_u32_e32 v23, 28, v21
	v_sub_nc_u32_e32 v21, 29, v21
	v_lshlrev_b64 v[23:24], v23, v[11:12]
	v_and_b32_e32 v23, 7, v23
; %bb.1643:                             ;   in Loop: Header=BB366_988 Depth=1
	s_or_b32 exec_lo, exec_lo, s20
	v_mov_b32_e32 v11, 24
	v_lshl_add_u32 v21, v21, 23, 0x3c000000
	v_lshlrev_b32_sdwa v11, v11, v22 dst_sel:DWORD dst_unused:UNUSED_PAD src0_sel:DWORD src1_sel:BYTE_3
	v_lshlrev_b32_e32 v22, 20, v23
	v_and_b32_e32 v11, 0x80000000, v11
	v_or3_b32 v67, v22, v11, v21
.LBB366_1644:                           ;   in Loop: Header=BB366_988 Depth=1
	s_or_b32 exec_lo, exec_lo, s19
.LBB366_1645:                           ;   in Loop: Header=BB366_988 Depth=1
	s_or_b32 exec_lo, exec_lo, s18
.LBB366_1646:                           ;   in Loop: Header=BB366_988 Depth=1
	s_or_b32 exec_lo, exec_lo, s15
	v_mul_f32_e32 v11, v55, v13
	v_mul_f32_e32 v10, v55, v10
	v_bfe_u32 v13, v11, 16, 1
	v_or_b32_e32 v21, 0x400000, v11
	v_cmp_u_f32_e64 s4, v11, v11
	v_add3_u32 v13, v13, v11, 0x7fff
	v_cndmask_b32_e64 v11, v13, v21, s4
	v_lshrrev_b32_e32 v13, 16, v11
	v_mul_f32_e32 v11, v55, v14
	v_bfe_u32 v14, v11, 16, 1
	v_or_b32_e32 v21, 0x400000, v11
	v_cmp_u_f32_e64 s4, v11, v11
	v_add3_u32 v14, v14, v11, 0x7fff
	v_cndmask_b32_e64 v11, v14, v21, s4
	v_lshrrev_b32_e32 v14, 16, v11
	;; [unrolled: 7-line block ×4, first 2 shown]
	v_mul_f32_e32 v11, v55, v32
	v_bfe_u32 v21, v11, 16, 1
	v_or_b32_e32 v22, 0x400000, v11
	v_cmp_u_f32_e64 s4, v11, v11
	v_add3_u32 v21, v21, v11, 0x7fff
	v_cndmask_b32_e64 v11, v21, v22, s4
	v_or_b32_e32 v21, 0x400000, v10
	v_cmp_u_f32_e64 s4, v10, v10
	v_lshrrev_b32_e32 v80, 16, v11
	v_bfe_u32 v11, v10, 16, 1
	v_add3_u32 v11, v11, v10, 0x7fff
	v_cndmask_b32_e64 v10, v11, v21, s4
	v_lshrrev_b32_e32 v81, 16, v10
	v_mul_f32_e32 v10, v55, v69
	v_bfe_u32 v11, v10, 16, 1
	v_or_b32_e32 v21, 0x400000, v10
	v_cmp_u_f32_e64 s4, v10, v10
	v_add3_u32 v11, v11, v10, 0x7fff
	v_cndmask_b32_e64 v10, v11, v21, s4
	v_lshrrev_b32_e32 v32, 16, v10
	v_mul_f32_e32 v10, v55, v67
	v_bfe_u32 v11, v10, 16, 1
	v_or_b32_e32 v21, 0x400000, v10
	v_cmp_u_f32_e64 s4, v10, v10
	v_add3_u32 v11, v11, v10, 0x7fff
	v_cndmask_b32_e64 v10, v11, v21, s4
	v_lshrrev_b32_e32 v82, 16, v10
	s_and_saveexec_b32 s15, vcc_lo
	s_cbranch_execz .LBB366_1648
; %bb.1647:                             ;   in Loop: Header=BB366_988 Depth=1
	v_cmp_lt_i32_e64 s4, v56, v30
	v_cndmask_b32_e64 v81, 0, v81, s4
	v_cmp_lt_i32_e64 s4, v62, v30
	v_cndmask_b32_e64 v80, 0, v80, s4
	;; [unrolled: 2-line block ×8, first 2 shown]
.LBB366_1648:                           ;   in Loop: Header=BB366_988 Depth=1
	s_or_b32 exec_lo, exec_lo, s15
	flat_load_dwordx2 v[21:22], v[19:20] offset:512
	v_mov_b32_e32 v67, 0
	v_mov_b32_e32 v10, 0
	s_waitcnt vmcnt(0) lgkmcnt(0)
	v_cmp_ne_u16_sdwa s4, v21, v12 src0_sel:BYTE_0 src1_sel:DWORD
	s_and_saveexec_b32 s15, s4
	s_cbranch_execz .LBB366_1656
; %bb.1649:                             ;   in Loop: Header=BB366_988 Depth=1
	v_cmp_ne_u16_sdwa s4, v21, v66 src0_sel:BYTE_0 src1_sel:DWORD
	v_bfrev_b32_e32 v10, 1
	s_and_saveexec_b32 s18, s4
	s_cbranch_execz .LBB366_1655
; %bb.1650:                             ;   in Loop: Header=BB366_988 Depth=1
	v_and_b32_e32 v11, 0x7f, v21
	v_mov_b32_e32 v10, 0x7f800001
	s_mov_b32 s19, exec_lo
	v_cmpx_ne_u32_e32 0x7f, v11
	s_cbranch_execz .LBB366_1654
; %bb.1651:                             ;   in Loop: Header=BB366_988 Depth=1
	v_lshrrev_b32_e32 v23, 3, v11
	v_cmp_gt_u32_e64 s4, 8, v11
	v_mov_b32_e32 v10, v21
	v_mov_b32_e32 v11, v22
	s_and_saveexec_b32 s20, s4
; %bb.1652:                             ;   in Loop: Header=BB366_988 Depth=1
	v_and_b32_e32 v10, 7, v21
	v_ffbh_u32_e32 v10, v10
	v_min_u32_e32 v23, 32, v10
	v_subrev_nc_u32_e32 v10, 28, v23
	v_sub_nc_u32_e32 v23, 29, v23
	v_lshlrev_b64 v[10:11], v10, v[21:22]
; %bb.1653:                             ;   in Loop: Header=BB366_988 Depth=1
	s_or_b32 exec_lo, exec_lo, s20
	v_lshlrev_b32_e32 v10, 20, v10
	v_lshlrev_b32_e32 v11, 24, v21
	v_lshl_add_u32 v23, v23, 23, 0x3c000000
	v_and_b32_e32 v10, 0x700000, v10
	v_and_b32_e32 v11, 0x80000000, v11
	v_or3_b32 v10, v10, v11, v23
.LBB366_1654:                           ;   in Loop: Header=BB366_988 Depth=1
	s_or_b32 exec_lo, exec_lo, s19
.LBB366_1655:                           ;   in Loop: Header=BB366_988 Depth=1
	s_or_b32 exec_lo, exec_lo, s18
.LBB366_1656:                           ;   in Loop: Header=BB366_988 Depth=1
	s_or_b32 exec_lo, exec_lo, s15
	v_cmp_ne_u16_sdwa s4, v21, v12 src0_sel:BYTE_1 src1_sel:DWORD
	s_and_saveexec_b32 s15, s4
	s_cbranch_execz .LBB366_1664
; %bb.1657:                             ;   in Loop: Header=BB366_988 Depth=1
	v_cmp_ne_u16_sdwa s4, v21, v66 src0_sel:BYTE_1 src1_sel:DWORD
	v_bfrev_b32_e32 v67, 1
	s_and_saveexec_b32 s18, s4
	s_cbranch_execz .LBB366_1663
; %bb.1658:                             ;   in Loop: Header=BB366_988 Depth=1
	v_mov_b32_e32 v11, 0xffff
	v_mov_b32_e32 v67, 0x7f800001
	s_mov_b32 s19, exec_lo
	v_and_b32_sdwa v11, v11, v21 dst_sel:DWORD dst_unused:UNUSED_PAD src0_sel:DWORD src1_sel:BYTE_1
	v_and_b32_e32 v23, 0x7f, v11
	v_cmpx_ne_u32_e32 0x7f, v23
	s_cbranch_execz .LBB366_1662
; %bb.1659:                             ;   in Loop: Header=BB366_988 Depth=1
	v_and_b32_e32 v11, 7, v11
	v_lshrrev_b32_e32 v67, 3, v23
	v_cmp_gt_u32_e64 s4, 8, v23
	v_mov_b32_e32 v24, v12
	v_mov_b32_e32 v23, v11
	s_and_saveexec_b32 s20, s4
; %bb.1660:                             ;   in Loop: Header=BB366_988 Depth=1
	v_ffbh_u32_e32 v23, v11
	v_min_u32_e32 v67, 32, v23
	v_subrev_nc_u32_e32 v23, 28, v67
	v_sub_nc_u32_e32 v67, 29, v67
	v_lshlrev_b64 v[23:24], v23, v[11:12]
	v_and_b32_e32 v23, 7, v23
; %bb.1661:                             ;   in Loop: Header=BB366_988 Depth=1
	s_or_b32 exec_lo, exec_lo, s20
	v_lshlrev_b32_e32 v11, 16, v21
	v_lshlrev_b32_e32 v23, 20, v23
	v_lshl_add_u32 v24, v67, 23, 0x3c000000
	v_and_b32_e32 v11, 0x80000000, v11
	v_or3_b32 v67, v23, v11, v24
.LBB366_1662:                           ;   in Loop: Header=BB366_988 Depth=1
	s_or_b32 exec_lo, exec_lo, s19
.LBB366_1663:                           ;   in Loop: Header=BB366_988 Depth=1
	s_or_b32 exec_lo, exec_lo, s18
.LBB366_1664:                           ;   in Loop: Header=BB366_988 Depth=1
	s_or_b32 exec_lo, exec_lo, s15
	v_and_b32_sdwa v11, v21, v68 dst_sel:DWORD dst_unused:UNUSED_PAD src0_sel:WORD_1 src1_sel:DWORD
	v_mov_b32_e32 v70, 0
	v_mov_b32_e32 v69, 0
	s_mov_b32 s15, exec_lo
	v_cmpx_ne_u16_e32 0, v11
	s_cbranch_execz .LBB366_1672
; %bb.1665:                             ;   in Loop: Header=BB366_988 Depth=1
	v_bfrev_b32_e32 v69, 1
	s_mov_b32 s18, exec_lo
	v_cmpx_ne_u16_e32 0x80, v11
	s_cbranch_execz .LBB366_1671
; %bb.1666:                             ;   in Loop: Header=BB366_988 Depth=1
	v_bfe_u32 v23, v21, 16, 7
	v_mov_b32_e32 v69, 0x7f800001
	s_mov_b32 s19, exec_lo
	v_cmpx_ne_u32_e32 0x7f, v23
	s_cbranch_execz .LBB366_1670
; %bb.1667:                             ;   in Loop: Header=BB366_988 Depth=1
	v_mov_b32_e32 v11, 7
	v_lshrrev_b32_e32 v69, 3, v23
	v_cmp_gt_u32_e64 s4, 8, v23
	v_and_b32_sdwa v11, v21, v11 dst_sel:DWORD dst_unused:UNUSED_PAD src0_sel:WORD_1 src1_sel:DWORD
	v_mov_b32_e32 v24, v12
	v_mov_b32_e32 v23, v11
	s_and_saveexec_b32 s20, s4
; %bb.1668:                             ;   in Loop: Header=BB366_988 Depth=1
	v_ffbh_u32_e32 v23, v11
	v_min_u32_e32 v69, 32, v23
	v_subrev_nc_u32_e32 v23, 28, v69
	v_sub_nc_u32_e32 v69, 29, v69
	v_lshlrev_b64 v[23:24], v23, v[11:12]
	v_and_b32_e32 v23, 7, v23
; %bb.1669:                             ;   in Loop: Header=BB366_988 Depth=1
	s_or_b32 exec_lo, exec_lo, s20
	v_mov_b32_e32 v11, 24
	v_lshlrev_b32_e32 v23, 20, v23
	v_lshl_add_u32 v24, v69, 23, 0x3c000000
	v_lshlrev_b32_sdwa v11, v11, v21 dst_sel:DWORD dst_unused:UNUSED_PAD src0_sel:DWORD src1_sel:WORD_1
	v_and_b32_e32 v11, 0x80000000, v11
	v_or3_b32 v69, v23, v11, v24
.LBB366_1670:                           ;   in Loop: Header=BB366_988 Depth=1
	s_or_b32 exec_lo, exec_lo, s19
.LBB366_1671:                           ;   in Loop: Header=BB366_988 Depth=1
	s_or_b32 exec_lo, exec_lo, s18
.LBB366_1672:                           ;   in Loop: Header=BB366_988 Depth=1
	s_or_b32 exec_lo, exec_lo, s15
	s_mov_b32 s15, exec_lo
	v_cmpx_lt_u32_e32 0xffffff, v21
	s_cbranch_execz .LBB366_1680
; %bb.1673:                             ;   in Loop: Header=BB366_988 Depth=1
	v_cmp_ne_u32_sdwa s4, v21, v66 src0_sel:BYTE_3 src1_sel:DWORD
	v_bfrev_b32_e32 v70, 1
	s_and_saveexec_b32 s18, s4
	s_cbranch_execz .LBB366_1679
; %bb.1674:                             ;   in Loop: Header=BB366_988 Depth=1
	v_bfe_u32 v23, v21, 24, 7
	v_mov_b32_e32 v70, 0x7f800001
	s_mov_b32 s19, exec_lo
	v_cmpx_ne_u32_e32 0x7f, v23
	s_cbranch_execz .LBB366_1678
; %bb.1675:                             ;   in Loop: Header=BB366_988 Depth=1
	v_mov_b32_e32 v11, 7
	v_lshrrev_b32_e32 v70, 3, v23
	v_cmp_gt_u32_e64 s4, 8, v23
	v_and_b32_sdwa v11, v21, v11 dst_sel:DWORD dst_unused:UNUSED_PAD src0_sel:BYTE_3 src1_sel:DWORD
	v_mov_b32_e32 v24, v12
	v_mov_b32_e32 v23, v11
	s_and_saveexec_b32 s20, s4
; %bb.1676:                             ;   in Loop: Header=BB366_988 Depth=1
	v_ffbh_u32_e32 v23, v11
	v_min_u32_e32 v70, 32, v23
	v_subrev_nc_u32_e32 v23, 28, v70
	v_sub_nc_u32_e32 v70, 29, v70
	v_lshlrev_b64 v[23:24], v23, v[11:12]
	v_and_b32_e32 v23, 7, v23
; %bb.1677:                             ;   in Loop: Header=BB366_988 Depth=1
	s_or_b32 exec_lo, exec_lo, s20
	v_mov_b32_e32 v11, 24
	v_lshlrev_b32_e32 v23, 20, v23
	v_lshl_add_u32 v24, v70, 23, 0x3c000000
	v_lshlrev_b32_sdwa v11, v11, v21 dst_sel:DWORD dst_unused:UNUSED_PAD src0_sel:DWORD src1_sel:BYTE_3
	v_and_b32_e32 v11, 0x80000000, v11
	v_or3_b32 v70, v23, v11, v24
.LBB366_1678:                           ;   in Loop: Header=BB366_988 Depth=1
	s_or_b32 exec_lo, exec_lo, s19
.LBB366_1679:                           ;   in Loop: Header=BB366_988 Depth=1
	s_or_b32 exec_lo, exec_lo, s18
.LBB366_1680:                           ;   in Loop: Header=BB366_988 Depth=1
	s_or_b32 exec_lo, exec_lo, s15
	v_mov_b32_e32 v11, v22
	v_cmp_ne_u16_sdwa s4, v22, v12 src0_sel:BYTE_0 src1_sel:DWORD
	v_mov_b32_e32 v83, 0
	v_mov_b32_e32 v84, 0
	s_and_saveexec_b32 s15, s4
	s_cbranch_execz .LBB366_1688
; %bb.1681:                             ;   in Loop: Header=BB366_988 Depth=1
	v_cmp_ne_u16_sdwa s4, v22, v66 src0_sel:BYTE_0 src1_sel:DWORD
	v_bfrev_b32_e32 v84, 1
	s_and_saveexec_b32 s18, s4
	s_cbranch_execz .LBB366_1687
; %bb.1682:                             ;   in Loop: Header=BB366_988 Depth=1
	v_and_b32_e32 v23, 0x7f, v22
	v_mov_b32_e32 v84, 0x7f800001
	s_mov_b32 s19, exec_lo
	v_cmpx_ne_u32_e32 0x7f, v23
	s_cbranch_execz .LBB366_1686
; %bb.1683:                             ;   in Loop: Header=BB366_988 Depth=1
	v_lshrrev_b32_e32 v84, 3, v23
	v_cmp_gt_u32_e64 s4, 8, v23
	v_mov_b32_e32 v24, v12
	v_mov_b32_e32 v23, v11
	s_and_saveexec_b32 s20, s4
; %bb.1684:                             ;   in Loop: Header=BB366_988 Depth=1
	v_and_b32_e32 v23, 7, v22
	v_ffbh_u32_e32 v23, v23
	v_min_u32_e32 v84, 32, v23
	v_subrev_nc_u32_e32 v23, 28, v84
	v_sub_nc_u32_e32 v84, 29, v84
	v_lshlrev_b64 v[23:24], v23, v[11:12]
; %bb.1685:                             ;   in Loop: Header=BB366_988 Depth=1
	s_or_b32 exec_lo, exec_lo, s20
	v_lshlrev_b32_e32 v23, 20, v23
	v_lshlrev_b32_e32 v24, 24, v11
	v_lshl_add_u32 v84, v84, 23, 0x3c000000
	v_and_b32_e32 v23, 0x700000, v23
	v_and_b32_e32 v24, 0x80000000, v24
	v_or3_b32 v84, v23, v24, v84
.LBB366_1686:                           ;   in Loop: Header=BB366_988 Depth=1
	s_or_b32 exec_lo, exec_lo, s19
.LBB366_1687:                           ;   in Loop: Header=BB366_988 Depth=1
	s_or_b32 exec_lo, exec_lo, s18
.LBB366_1688:                           ;   in Loop: Header=BB366_988 Depth=1
	s_or_b32 exec_lo, exec_lo, s15
	v_cmp_ne_u16_sdwa s4, v11, v12 src0_sel:BYTE_1 src1_sel:DWORD
	s_and_saveexec_b32 s15, s4
	s_cbranch_execz .LBB366_1696
; %bb.1689:                             ;   in Loop: Header=BB366_988 Depth=1
	v_cmp_ne_u16_sdwa s4, v11, v66 src0_sel:BYTE_1 src1_sel:DWORD
	v_bfrev_b32_e32 v83, 1
	s_and_saveexec_b32 s18, s4
	s_cbranch_execz .LBB366_1695
; %bb.1690:                             ;   in Loop: Header=BB366_988 Depth=1
	v_mov_b32_e32 v23, 0xffff
	v_mov_b32_e32 v83, 0x7f800001
	s_mov_b32 s19, exec_lo
	v_and_b32_sdwa v23, v23, v11 dst_sel:DWORD dst_unused:UNUSED_PAD src0_sel:DWORD src1_sel:BYTE_1
	v_and_b32_e32 v85, 0x7f, v23
	v_cmpx_ne_u32_e32 0x7f, v85
	s_cbranch_execz .LBB366_1694
; %bb.1691:                             ;   in Loop: Header=BB366_988 Depth=1
	v_and_b32_e32 v23, 7, v23
	v_mov_b32_e32 v24, v12
	v_lshrrev_b32_e32 v83, 3, v85
	s_mov_b32 s20, exec_lo
	v_cmpx_gt_u32_e32 8, v85
; %bb.1692:                             ;   in Loop: Header=BB366_988 Depth=1
	v_ffbh_u32_e32 v83, v23
	v_min_u32_e32 v83, 32, v83
	v_subrev_nc_u32_e32 v85, 28, v83
	v_sub_nc_u32_e32 v83, 29, v83
	v_lshlrev_b64 v[23:24], v85, v[23:24]
	v_and_b32_e32 v23, 7, v23
; %bb.1693:                             ;   in Loop: Header=BB366_988 Depth=1
	s_or_b32 exec_lo, exec_lo, s20
	v_lshlrev_b32_e32 v11, 16, v11
	v_lshlrev_b32_e32 v23, 20, v23
	v_lshl_add_u32 v24, v83, 23, 0x3c000000
	v_and_b32_e32 v11, 0x80000000, v11
	v_or3_b32 v83, v23, v11, v24
.LBB366_1694:                           ;   in Loop: Header=BB366_988 Depth=1
	s_or_b32 exec_lo, exec_lo, s19
.LBB366_1695:                           ;   in Loop: Header=BB366_988 Depth=1
	s_or_b32 exec_lo, exec_lo, s18
.LBB366_1696:                           ;   in Loop: Header=BB366_988 Depth=1
	s_or_b32 exec_lo, exec_lo, s15
	v_and_b32_sdwa v11, v22, v68 dst_sel:DWORD dst_unused:UNUSED_PAD src0_sel:WORD_1 src1_sel:DWORD
	v_mov_b32_e32 v98, 0
	v_mov_b32_e32 v96, 0
	s_mov_b32 s15, exec_lo
	v_cmpx_ne_u16_e32 0, v11
	s_cbranch_execz .LBB366_1704
; %bb.1697:                             ;   in Loop: Header=BB366_988 Depth=1
	v_bfrev_b32_e32 v96, 1
	s_mov_b32 s18, exec_lo
	v_cmpx_ne_u16_e32 0x80, v11
	s_cbranch_execz .LBB366_1703
; %bb.1698:                             ;   in Loop: Header=BB366_988 Depth=1
	v_bfe_u32 v23, v22, 16, 7
	v_mov_b32_e32 v96, 0x7f800001
	s_mov_b32 s19, exec_lo
	v_cmpx_ne_u32_e32 0x7f, v23
	s_cbranch_execz .LBB366_1702
; %bb.1699:                             ;   in Loop: Header=BB366_988 Depth=1
	v_mov_b32_e32 v11, 7
	v_lshrrev_b32_e32 v85, 3, v23
	v_cmp_gt_u32_e64 s4, 8, v23
	v_and_b32_sdwa v11, v22, v11 dst_sel:DWORD dst_unused:UNUSED_PAD src0_sel:WORD_1 src1_sel:DWORD
	v_mov_b32_e32 v24, v12
	v_mov_b32_e32 v23, v11
	s_and_saveexec_b32 s20, s4
; %bb.1700:                             ;   in Loop: Header=BB366_988 Depth=1
	v_ffbh_u32_e32 v23, v11
	v_min_u32_e32 v85, 32, v23
	v_subrev_nc_u32_e32 v23, 28, v85
	v_sub_nc_u32_e32 v85, 29, v85
	v_lshlrev_b64 v[23:24], v23, v[11:12]
	v_and_b32_e32 v23, 7, v23
; %bb.1701:                             ;   in Loop: Header=BB366_988 Depth=1
	s_or_b32 exec_lo, exec_lo, s20
	v_mov_b32_e32 v11, 24
	v_lshlrev_b32_e32 v23, 20, v23
	v_lshl_add_u32 v24, v85, 23, 0x3c000000
	v_lshlrev_b32_sdwa v11, v11, v22 dst_sel:DWORD dst_unused:UNUSED_PAD src0_sel:DWORD src1_sel:WORD_1
	v_and_b32_e32 v11, 0x80000000, v11
	v_or3_b32 v96, v23, v11, v24
.LBB366_1702:                           ;   in Loop: Header=BB366_988 Depth=1
	s_or_b32 exec_lo, exec_lo, s19
.LBB366_1703:                           ;   in Loop: Header=BB366_988 Depth=1
	s_or_b32 exec_lo, exec_lo, s18
.LBB366_1704:                           ;   in Loop: Header=BB366_988 Depth=1
	s_or_b32 exec_lo, exec_lo, s15
	s_mov_b32 s15, exec_lo
	v_cmpx_lt_u64_e64 s[6:7], v[21:22]
	s_cbranch_execz .LBB366_1712
; %bb.1705:                             ;   in Loop: Header=BB366_988 Depth=1
	v_cmp_ne_u32_sdwa s4, v22, v66 src0_sel:BYTE_3 src1_sel:DWORD
	v_bfrev_b32_e32 v98, 1
	s_and_saveexec_b32 s18, s4
	s_cbranch_execz .LBB366_1711
; %bb.1706:                             ;   in Loop: Header=BB366_988 Depth=1
	v_bfe_u32 v23, v22, 24, 7
	v_mov_b32_e32 v98, 0x7f800001
	s_mov_b32 s19, exec_lo
	v_cmpx_ne_u32_e32 0x7f, v23
	s_cbranch_execz .LBB366_1710
; %bb.1707:                             ;   in Loop: Header=BB366_988 Depth=1
	v_mov_b32_e32 v11, 7
	v_lshrrev_b32_e32 v21, 3, v23
	v_cmp_gt_u32_e64 s4, 8, v23
	v_and_b32_sdwa v11, v22, v11 dst_sel:DWORD dst_unused:UNUSED_PAD src0_sel:BYTE_3 src1_sel:DWORD
	v_mov_b32_e32 v24, v12
	v_mov_b32_e32 v23, v11
	s_and_saveexec_b32 s20, s4
; %bb.1708:                             ;   in Loop: Header=BB366_988 Depth=1
	v_ffbh_u32_e32 v21, v11
	v_min_u32_e32 v21, 32, v21
	v_subrev_nc_u32_e32 v23, 28, v21
	v_sub_nc_u32_e32 v21, 29, v21
	v_lshlrev_b64 v[23:24], v23, v[11:12]
	v_and_b32_e32 v23, 7, v23
; %bb.1709:                             ;   in Loop: Header=BB366_988 Depth=1
	s_or_b32 exec_lo, exec_lo, s20
	v_mov_b32_e32 v11, 24
	v_lshl_add_u32 v21, v21, 23, 0x3c000000
	v_lshlrev_b32_sdwa v11, v11, v22 dst_sel:DWORD dst_unused:UNUSED_PAD src0_sel:DWORD src1_sel:BYTE_3
	v_lshlrev_b32_e32 v22, 20, v23
	v_and_b32_e32 v11, 0x80000000, v11
	v_or3_b32 v98, v22, v11, v21
.LBB366_1710:                           ;   in Loop: Header=BB366_988 Depth=1
	s_or_b32 exec_lo, exec_lo, s19
.LBB366_1711:                           ;   in Loop: Header=BB366_988 Depth=1
	s_or_b32 exec_lo, exec_lo, s18
.LBB366_1712:                           ;   in Loop: Header=BB366_988 Depth=1
	s_or_b32 exec_lo, exec_lo, s15
	v_mul_f32_e32 v11, v55, v83
	v_mul_f32_e32 v10, v55, v10
	v_bfe_u32 v21, v11, 16, 1
	v_or_b32_e32 v22, 0x400000, v11
	v_cmp_u_f32_e64 s4, v11, v11
	v_add3_u32 v21, v21, v11, 0x7fff
	v_cndmask_b32_e64 v11, v21, v22, s4
	v_lshrrev_b32_e32 v83, 16, v11
	v_mul_f32_e32 v11, v55, v84
	v_bfe_u32 v21, v11, 16, 1
	v_or_b32_e32 v22, 0x400000, v11
	v_cmp_u_f32_e64 s4, v11, v11
	v_add3_u32 v21, v21, v11, 0x7fff
	v_cndmask_b32_e64 v11, v21, v22, s4
	v_lshrrev_b32_e32 v84, 16, v11
	v_mul_f32_e32 v11, v55, v70
	v_bfe_u32 v21, v11, 16, 1
	v_or_b32_e32 v22, 0x400000, v11
	v_cmp_u_f32_e64 s4, v11, v11
	v_add3_u32 v21, v21, v11, 0x7fff
	v_cndmask_b32_e64 v11, v21, v22, s4
	v_lshrrev_b32_e32 v85, 16, v11
	v_mul_f32_e32 v11, v55, v69
	v_bfe_u32 v21, v11, 16, 1
	v_or_b32_e32 v22, 0x400000, v11
	v_cmp_u_f32_e64 s4, v11, v11
	v_add3_u32 v21, v21, v11, 0x7fff
	v_cndmask_b32_e64 v11, v21, v22, s4
	v_lshrrev_b32_e32 v86, 16, v11
	v_mul_f32_e32 v11, v55, v67
	v_bfe_u32 v21, v11, 16, 1
	v_or_b32_e32 v22, 0x400000, v11
	v_cmp_u_f32_e64 s4, v11, v11
	v_add3_u32 v21, v21, v11, 0x7fff
	v_cndmask_b32_e64 v11, v21, v22, s4
	v_or_b32_e32 v21, 0x400000, v10
	v_cmp_u_f32_e64 s4, v10, v10
	v_lshrrev_b32_e32 v87, 16, v11
	v_bfe_u32 v11, v10, 16, 1
	v_add3_u32 v11, v11, v10, 0x7fff
	v_cndmask_b32_e64 v10, v11, v21, s4
	v_lshrrev_b32_e32 v97, 16, v10
	v_mul_f32_e32 v10, v55, v96
	v_bfe_u32 v11, v10, 16, 1
	v_or_b32_e32 v21, 0x400000, v10
	v_cmp_u_f32_e64 s4, v10, v10
	v_add3_u32 v11, v11, v10, 0x7fff
	v_cndmask_b32_e64 v10, v11, v21, s4
	v_lshrrev_b32_e32 v96, 16, v10
	v_mul_f32_e32 v10, v55, v98
	v_bfe_u32 v11, v10, 16, 1
	v_or_b32_e32 v21, 0x400000, v10
	v_cmp_u_f32_e64 s4, v10, v10
	v_add3_u32 v11, v11, v10, 0x7fff
	v_cndmask_b32_e64 v10, v11, v21, s4
	v_lshrrev_b32_e32 v98, 16, v10
	s_and_saveexec_b32 s15, vcc_lo
	s_cbranch_execz .LBB366_1714
; %bb.1713:                             ;   in Loop: Header=BB366_988 Depth=1
	v_cmp_lt_i32_e64 s4, v56, v30
	v_cndmask_b32_e64 v97, 0, v97, s4
	v_cmp_lt_i32_e64 s4, v62, v30
	v_cndmask_b32_e64 v87, 0, v87, s4
	;; [unrolled: 2-line block ×8, first 2 shown]
.LBB366_1714:                           ;   in Loop: Header=BB366_988 Depth=1
	s_or_b32 exec_lo, exec_lo, s15
	flat_load_dwordx2 v[21:22], v[19:20] offset:768
	v_mov_b32_e32 v67, 0
	v_mov_b32_e32 v10, 0
	s_waitcnt vmcnt(0) lgkmcnt(0)
	v_cmp_ne_u16_sdwa s4, v21, v12 src0_sel:BYTE_0 src1_sel:DWORD
	s_and_saveexec_b32 s15, s4
	s_cbranch_execz .LBB366_1722
; %bb.1715:                             ;   in Loop: Header=BB366_988 Depth=1
	v_cmp_ne_u16_sdwa s4, v21, v66 src0_sel:BYTE_0 src1_sel:DWORD
	v_bfrev_b32_e32 v10, 1
	s_and_saveexec_b32 s18, s4
	s_cbranch_execz .LBB366_1721
; %bb.1716:                             ;   in Loop: Header=BB366_988 Depth=1
	v_and_b32_e32 v11, 0x7f, v21
	v_mov_b32_e32 v10, 0x7f800001
	s_mov_b32 s19, exec_lo
	v_cmpx_ne_u32_e32 0x7f, v11
	s_cbranch_execz .LBB366_1720
; %bb.1717:                             ;   in Loop: Header=BB366_988 Depth=1
	v_lshrrev_b32_e32 v23, 3, v11
	v_cmp_gt_u32_e64 s4, 8, v11
	v_mov_b32_e32 v10, v21
	v_mov_b32_e32 v11, v22
	s_and_saveexec_b32 s20, s4
; %bb.1718:                             ;   in Loop: Header=BB366_988 Depth=1
	v_and_b32_e32 v10, 7, v21
	v_ffbh_u32_e32 v10, v10
	v_min_u32_e32 v23, 32, v10
	v_subrev_nc_u32_e32 v10, 28, v23
	v_sub_nc_u32_e32 v23, 29, v23
	v_lshlrev_b64 v[10:11], v10, v[21:22]
; %bb.1719:                             ;   in Loop: Header=BB366_988 Depth=1
	s_or_b32 exec_lo, exec_lo, s20
	v_lshlrev_b32_e32 v10, 20, v10
	v_lshlrev_b32_e32 v11, 24, v21
	v_lshl_add_u32 v23, v23, 23, 0x3c000000
	v_and_b32_e32 v10, 0x700000, v10
	v_and_b32_e32 v11, 0x80000000, v11
	v_or3_b32 v10, v10, v11, v23
.LBB366_1720:                           ;   in Loop: Header=BB366_988 Depth=1
	s_or_b32 exec_lo, exec_lo, s19
.LBB366_1721:                           ;   in Loop: Header=BB366_988 Depth=1
	s_or_b32 exec_lo, exec_lo, s18
.LBB366_1722:                           ;   in Loop: Header=BB366_988 Depth=1
	s_or_b32 exec_lo, exec_lo, s15
	v_cmp_ne_u16_sdwa s4, v21, v12 src0_sel:BYTE_1 src1_sel:DWORD
	s_and_saveexec_b32 s15, s4
	s_cbranch_execz .LBB366_1730
; %bb.1723:                             ;   in Loop: Header=BB366_988 Depth=1
	v_cmp_ne_u16_sdwa s4, v21, v66 src0_sel:BYTE_1 src1_sel:DWORD
	v_bfrev_b32_e32 v67, 1
	s_and_saveexec_b32 s18, s4
	s_cbranch_execz .LBB366_1729
; %bb.1724:                             ;   in Loop: Header=BB366_988 Depth=1
	v_mov_b32_e32 v11, 0xffff
	v_mov_b32_e32 v67, 0x7f800001
	s_mov_b32 s19, exec_lo
	v_and_b32_sdwa v11, v11, v21 dst_sel:DWORD dst_unused:UNUSED_PAD src0_sel:DWORD src1_sel:BYTE_1
	v_and_b32_e32 v23, 0x7f, v11
	v_cmpx_ne_u32_e32 0x7f, v23
	s_cbranch_execz .LBB366_1728
; %bb.1725:                             ;   in Loop: Header=BB366_988 Depth=1
	v_and_b32_e32 v11, 7, v11
	v_lshrrev_b32_e32 v67, 3, v23
	v_cmp_gt_u32_e64 s4, 8, v23
	v_mov_b32_e32 v24, v12
	v_mov_b32_e32 v23, v11
	s_and_saveexec_b32 s20, s4
; %bb.1726:                             ;   in Loop: Header=BB366_988 Depth=1
	v_ffbh_u32_e32 v23, v11
	v_min_u32_e32 v67, 32, v23
	v_subrev_nc_u32_e32 v23, 28, v67
	v_sub_nc_u32_e32 v67, 29, v67
	v_lshlrev_b64 v[23:24], v23, v[11:12]
	v_and_b32_e32 v23, 7, v23
; %bb.1727:                             ;   in Loop: Header=BB366_988 Depth=1
	s_or_b32 exec_lo, exec_lo, s20
	v_lshlrev_b32_e32 v11, 16, v21
	v_lshlrev_b32_e32 v23, 20, v23
	v_lshl_add_u32 v24, v67, 23, 0x3c000000
	v_and_b32_e32 v11, 0x80000000, v11
	v_or3_b32 v67, v23, v11, v24
.LBB366_1728:                           ;   in Loop: Header=BB366_988 Depth=1
	s_or_b32 exec_lo, exec_lo, s19
.LBB366_1729:                           ;   in Loop: Header=BB366_988 Depth=1
	s_or_b32 exec_lo, exec_lo, s18
.LBB366_1730:                           ;   in Loop: Header=BB366_988 Depth=1
	s_or_b32 exec_lo, exec_lo, s15
	v_and_b32_sdwa v11, v21, v68 dst_sel:DWORD dst_unused:UNUSED_PAD src0_sel:WORD_1 src1_sel:DWORD
	v_mov_b32_e32 v70, 0
	v_mov_b32_e32 v69, 0
	s_mov_b32 s15, exec_lo
	v_cmpx_ne_u16_e32 0, v11
	s_cbranch_execz .LBB366_1738
; %bb.1731:                             ;   in Loop: Header=BB366_988 Depth=1
	v_bfrev_b32_e32 v69, 1
	s_mov_b32 s18, exec_lo
	v_cmpx_ne_u16_e32 0x80, v11
	s_cbranch_execz .LBB366_1737
; %bb.1732:                             ;   in Loop: Header=BB366_988 Depth=1
	v_bfe_u32 v23, v21, 16, 7
	v_mov_b32_e32 v69, 0x7f800001
	s_mov_b32 s19, exec_lo
	v_cmpx_ne_u32_e32 0x7f, v23
	s_cbranch_execz .LBB366_1736
; %bb.1733:                             ;   in Loop: Header=BB366_988 Depth=1
	v_mov_b32_e32 v11, 7
	v_lshrrev_b32_e32 v69, 3, v23
	v_cmp_gt_u32_e64 s4, 8, v23
	v_and_b32_sdwa v11, v21, v11 dst_sel:DWORD dst_unused:UNUSED_PAD src0_sel:WORD_1 src1_sel:DWORD
	v_mov_b32_e32 v24, v12
	v_mov_b32_e32 v23, v11
	s_and_saveexec_b32 s20, s4
; %bb.1734:                             ;   in Loop: Header=BB366_988 Depth=1
	v_ffbh_u32_e32 v23, v11
	v_min_u32_e32 v69, 32, v23
	v_subrev_nc_u32_e32 v23, 28, v69
	v_sub_nc_u32_e32 v69, 29, v69
	v_lshlrev_b64 v[23:24], v23, v[11:12]
	v_and_b32_e32 v23, 7, v23
; %bb.1735:                             ;   in Loop: Header=BB366_988 Depth=1
	s_or_b32 exec_lo, exec_lo, s20
	v_mov_b32_e32 v11, 24
	v_lshlrev_b32_e32 v23, 20, v23
	v_lshl_add_u32 v24, v69, 23, 0x3c000000
	v_lshlrev_b32_sdwa v11, v11, v21 dst_sel:DWORD dst_unused:UNUSED_PAD src0_sel:DWORD src1_sel:WORD_1
	v_and_b32_e32 v11, 0x80000000, v11
	v_or3_b32 v69, v23, v11, v24
.LBB366_1736:                           ;   in Loop: Header=BB366_988 Depth=1
	s_or_b32 exec_lo, exec_lo, s19
.LBB366_1737:                           ;   in Loop: Header=BB366_988 Depth=1
	s_or_b32 exec_lo, exec_lo, s18
.LBB366_1738:                           ;   in Loop: Header=BB366_988 Depth=1
	s_or_b32 exec_lo, exec_lo, s15
	s_mov_b32 s15, exec_lo
	v_cmpx_lt_u32_e32 0xffffff, v21
	s_cbranch_execz .LBB366_1746
; %bb.1739:                             ;   in Loop: Header=BB366_988 Depth=1
	v_cmp_ne_u32_sdwa s4, v21, v66 src0_sel:BYTE_3 src1_sel:DWORD
	v_bfrev_b32_e32 v70, 1
	s_and_saveexec_b32 s18, s4
	s_cbranch_execz .LBB366_1745
; %bb.1740:                             ;   in Loop: Header=BB366_988 Depth=1
	v_bfe_u32 v23, v21, 24, 7
	v_mov_b32_e32 v70, 0x7f800001
	s_mov_b32 s19, exec_lo
	v_cmpx_ne_u32_e32 0x7f, v23
	s_cbranch_execz .LBB366_1744
; %bb.1741:                             ;   in Loop: Header=BB366_988 Depth=1
	v_mov_b32_e32 v11, 7
	v_lshrrev_b32_e32 v70, 3, v23
	v_cmp_gt_u32_e64 s4, 8, v23
	v_and_b32_sdwa v11, v21, v11 dst_sel:DWORD dst_unused:UNUSED_PAD src0_sel:BYTE_3 src1_sel:DWORD
	v_mov_b32_e32 v24, v12
	v_mov_b32_e32 v23, v11
	s_and_saveexec_b32 s20, s4
; %bb.1742:                             ;   in Loop: Header=BB366_988 Depth=1
	v_ffbh_u32_e32 v23, v11
	v_min_u32_e32 v70, 32, v23
	v_subrev_nc_u32_e32 v23, 28, v70
	v_sub_nc_u32_e32 v70, 29, v70
	v_lshlrev_b64 v[23:24], v23, v[11:12]
	v_and_b32_e32 v23, 7, v23
; %bb.1743:                             ;   in Loop: Header=BB366_988 Depth=1
	s_or_b32 exec_lo, exec_lo, s20
	v_mov_b32_e32 v11, 24
	v_lshlrev_b32_e32 v23, 20, v23
	v_lshl_add_u32 v24, v70, 23, 0x3c000000
	v_lshlrev_b32_sdwa v11, v11, v21 dst_sel:DWORD dst_unused:UNUSED_PAD src0_sel:DWORD src1_sel:BYTE_3
	v_and_b32_e32 v11, 0x80000000, v11
	v_or3_b32 v70, v23, v11, v24
.LBB366_1744:                           ;   in Loop: Header=BB366_988 Depth=1
	s_or_b32 exec_lo, exec_lo, s19
.LBB366_1745:                           ;   in Loop: Header=BB366_988 Depth=1
	s_or_b32 exec_lo, exec_lo, s18
.LBB366_1746:                           ;   in Loop: Header=BB366_988 Depth=1
	s_or_b32 exec_lo, exec_lo, s15
	v_mov_b32_e32 v11, v22
	v_cmp_ne_u16_sdwa s4, v22, v12 src0_sel:BYTE_0 src1_sel:DWORD
	v_mov_b32_e32 v99, 0
	v_mov_b32_e32 v100, 0
	s_and_saveexec_b32 s15, s4
	s_cbranch_execz .LBB366_1754
; %bb.1747:                             ;   in Loop: Header=BB366_988 Depth=1
	v_cmp_ne_u16_sdwa s4, v22, v66 src0_sel:BYTE_0 src1_sel:DWORD
	v_bfrev_b32_e32 v100, 1
	s_and_saveexec_b32 s18, s4
	s_cbranch_execz .LBB366_1753
; %bb.1748:                             ;   in Loop: Header=BB366_988 Depth=1
	v_and_b32_e32 v23, 0x7f, v22
	v_mov_b32_e32 v100, 0x7f800001
	s_mov_b32 s19, exec_lo
	v_cmpx_ne_u32_e32 0x7f, v23
	s_cbranch_execz .LBB366_1752
; %bb.1749:                             ;   in Loop: Header=BB366_988 Depth=1
	v_lshrrev_b32_e32 v100, 3, v23
	v_cmp_gt_u32_e64 s4, 8, v23
	v_mov_b32_e32 v24, v12
	v_mov_b32_e32 v23, v11
	s_and_saveexec_b32 s20, s4
; %bb.1750:                             ;   in Loop: Header=BB366_988 Depth=1
	v_and_b32_e32 v23, 7, v22
	v_ffbh_u32_e32 v23, v23
	v_min_u32_e32 v100, 32, v23
	v_subrev_nc_u32_e32 v23, 28, v100
	v_sub_nc_u32_e32 v100, 29, v100
	v_lshlrev_b64 v[23:24], v23, v[11:12]
; %bb.1751:                             ;   in Loop: Header=BB366_988 Depth=1
	s_or_b32 exec_lo, exec_lo, s20
	v_lshlrev_b32_e32 v23, 20, v23
	v_lshlrev_b32_e32 v24, 24, v11
	v_lshl_add_u32 v100, v100, 23, 0x3c000000
	v_and_b32_e32 v23, 0x700000, v23
	v_and_b32_e32 v24, 0x80000000, v24
	v_or3_b32 v100, v23, v24, v100
.LBB366_1752:                           ;   in Loop: Header=BB366_988 Depth=1
	s_or_b32 exec_lo, exec_lo, s19
.LBB366_1753:                           ;   in Loop: Header=BB366_988 Depth=1
	s_or_b32 exec_lo, exec_lo, s18
.LBB366_1754:                           ;   in Loop: Header=BB366_988 Depth=1
	s_or_b32 exec_lo, exec_lo, s15
	v_cmp_ne_u16_sdwa s4, v11, v12 src0_sel:BYTE_1 src1_sel:DWORD
	s_and_saveexec_b32 s15, s4
	s_cbranch_execz .LBB366_1762
; %bb.1755:                             ;   in Loop: Header=BB366_988 Depth=1
	v_cmp_ne_u16_sdwa s4, v11, v66 src0_sel:BYTE_1 src1_sel:DWORD
	v_bfrev_b32_e32 v99, 1
	s_and_saveexec_b32 s18, s4
	s_cbranch_execz .LBB366_1761
; %bb.1756:                             ;   in Loop: Header=BB366_988 Depth=1
	v_mov_b32_e32 v23, 0xffff
	v_mov_b32_e32 v99, 0x7f800001
	s_mov_b32 s19, exec_lo
	v_and_b32_sdwa v23, v23, v11 dst_sel:DWORD dst_unused:UNUSED_PAD src0_sel:DWORD src1_sel:BYTE_1
	v_and_b32_e32 v101, 0x7f, v23
	v_cmpx_ne_u32_e32 0x7f, v101
	s_cbranch_execz .LBB366_1760
; %bb.1757:                             ;   in Loop: Header=BB366_988 Depth=1
	v_and_b32_e32 v23, 7, v23
	v_mov_b32_e32 v24, v12
	v_lshrrev_b32_e32 v99, 3, v101
	s_mov_b32 s20, exec_lo
	v_cmpx_gt_u32_e32 8, v101
; %bb.1758:                             ;   in Loop: Header=BB366_988 Depth=1
	v_ffbh_u32_e32 v99, v23
	v_min_u32_e32 v99, 32, v99
	v_subrev_nc_u32_e32 v101, 28, v99
	v_sub_nc_u32_e32 v99, 29, v99
	v_lshlrev_b64 v[23:24], v101, v[23:24]
	v_and_b32_e32 v23, 7, v23
; %bb.1759:                             ;   in Loop: Header=BB366_988 Depth=1
	s_or_b32 exec_lo, exec_lo, s20
	v_lshlrev_b32_e32 v11, 16, v11
	v_lshlrev_b32_e32 v23, 20, v23
	v_lshl_add_u32 v24, v99, 23, 0x3c000000
	v_and_b32_e32 v11, 0x80000000, v11
	v_or3_b32 v99, v23, v11, v24
.LBB366_1760:                           ;   in Loop: Header=BB366_988 Depth=1
	s_or_b32 exec_lo, exec_lo, s19
.LBB366_1761:                           ;   in Loop: Header=BB366_988 Depth=1
	s_or_b32 exec_lo, exec_lo, s18
.LBB366_1762:                           ;   in Loop: Header=BB366_988 Depth=1
	s_or_b32 exec_lo, exec_lo, s15
	v_and_b32_sdwa v11, v22, v68 dst_sel:DWORD dst_unused:UNUSED_PAD src0_sel:WORD_1 src1_sel:DWORD
	v_mov_b32_e32 v112, 0
	v_mov_b32_e32 v113, 0
	s_mov_b32 s15, exec_lo
	v_cmpx_ne_u16_e32 0, v11
	s_cbranch_execz .LBB366_1770
; %bb.1763:                             ;   in Loop: Header=BB366_988 Depth=1
	v_bfrev_b32_e32 v113, 1
	s_mov_b32 s18, exec_lo
	v_cmpx_ne_u16_e32 0x80, v11
	s_cbranch_execz .LBB366_1769
; %bb.1764:                             ;   in Loop: Header=BB366_988 Depth=1
	v_bfe_u32 v23, v22, 16, 7
	v_mov_b32_e32 v113, 0x7f800001
	s_mov_b32 s19, exec_lo
	v_cmpx_ne_u32_e32 0x7f, v23
	s_cbranch_execz .LBB366_1768
; %bb.1765:                             ;   in Loop: Header=BB366_988 Depth=1
	v_mov_b32_e32 v11, 7
	v_lshrrev_b32_e32 v101, 3, v23
	v_cmp_gt_u32_e64 s4, 8, v23
	v_and_b32_sdwa v11, v22, v11 dst_sel:DWORD dst_unused:UNUSED_PAD src0_sel:WORD_1 src1_sel:DWORD
	v_mov_b32_e32 v24, v12
	v_mov_b32_e32 v23, v11
	s_and_saveexec_b32 s20, s4
; %bb.1766:                             ;   in Loop: Header=BB366_988 Depth=1
	v_ffbh_u32_e32 v23, v11
	v_min_u32_e32 v101, 32, v23
	v_subrev_nc_u32_e32 v23, 28, v101
	v_sub_nc_u32_e32 v101, 29, v101
	v_lshlrev_b64 v[23:24], v23, v[11:12]
	v_and_b32_e32 v23, 7, v23
; %bb.1767:                             ;   in Loop: Header=BB366_988 Depth=1
	s_or_b32 exec_lo, exec_lo, s20
	v_mov_b32_e32 v11, 24
	v_lshlrev_b32_e32 v23, 20, v23
	v_lshl_add_u32 v24, v101, 23, 0x3c000000
	v_lshlrev_b32_sdwa v11, v11, v22 dst_sel:DWORD dst_unused:UNUSED_PAD src0_sel:DWORD src1_sel:WORD_1
	v_and_b32_e32 v11, 0x80000000, v11
	v_or3_b32 v113, v23, v11, v24
.LBB366_1768:                           ;   in Loop: Header=BB366_988 Depth=1
	s_or_b32 exec_lo, exec_lo, s19
.LBB366_1769:                           ;   in Loop: Header=BB366_988 Depth=1
	s_or_b32 exec_lo, exec_lo, s18
.LBB366_1770:                           ;   in Loop: Header=BB366_988 Depth=1
	s_or_b32 exec_lo, exec_lo, s15
	s_mov_b32 s15, exec_lo
	v_cmpx_lt_u64_e64 s[6:7], v[21:22]
	s_cbranch_execz .LBB366_1778
; %bb.1771:                             ;   in Loop: Header=BB366_988 Depth=1
	v_cmp_ne_u32_sdwa s4, v22, v66 src0_sel:BYTE_3 src1_sel:DWORD
	v_bfrev_b32_e32 v112, 1
	s_and_saveexec_b32 s18, s4
	s_cbranch_execz .LBB366_1777
; %bb.1772:                             ;   in Loop: Header=BB366_988 Depth=1
	v_bfe_u32 v23, v22, 24, 7
	v_mov_b32_e32 v112, 0x7f800001
	s_mov_b32 s19, exec_lo
	v_cmpx_ne_u32_e32 0x7f, v23
	s_cbranch_execz .LBB366_1776
; %bb.1773:                             ;   in Loop: Header=BB366_988 Depth=1
	v_mov_b32_e32 v11, 7
	v_lshrrev_b32_e32 v21, 3, v23
	v_cmp_gt_u32_e64 s4, 8, v23
	v_and_b32_sdwa v11, v22, v11 dst_sel:DWORD dst_unused:UNUSED_PAD src0_sel:BYTE_3 src1_sel:DWORD
	v_mov_b32_e32 v24, v12
	v_mov_b32_e32 v23, v11
	s_and_saveexec_b32 s20, s4
; %bb.1774:                             ;   in Loop: Header=BB366_988 Depth=1
	v_ffbh_u32_e32 v21, v11
	v_min_u32_e32 v21, 32, v21
	v_subrev_nc_u32_e32 v23, 28, v21
	v_sub_nc_u32_e32 v21, 29, v21
	v_lshlrev_b64 v[23:24], v23, v[11:12]
	v_and_b32_e32 v23, 7, v23
; %bb.1775:                             ;   in Loop: Header=BB366_988 Depth=1
	s_or_b32 exec_lo, exec_lo, s20
	v_mov_b32_e32 v11, 24
	v_lshl_add_u32 v21, v21, 23, 0x3c000000
	v_lshlrev_b32_sdwa v11, v11, v22 dst_sel:DWORD dst_unused:UNUSED_PAD src0_sel:DWORD src1_sel:BYTE_3
	v_lshlrev_b32_e32 v22, 20, v23
	v_and_b32_e32 v11, 0x80000000, v11
	v_or3_b32 v112, v22, v11, v21
.LBB366_1776:                           ;   in Loop: Header=BB366_988 Depth=1
	s_or_b32 exec_lo, exec_lo, s19
.LBB366_1777:                           ;   in Loop: Header=BB366_988 Depth=1
	s_or_b32 exec_lo, exec_lo, s18
.LBB366_1778:                           ;   in Loop: Header=BB366_988 Depth=1
	s_or_b32 exec_lo, exec_lo, s15
	v_mul_f32_e32 v11, v55, v99
	v_mul_f32_e32 v10, v55, v10
	v_bfe_u32 v21, v11, 16, 1
	v_or_b32_e32 v22, 0x400000, v11
	v_cmp_u_f32_e64 s4, v11, v11
	v_add3_u32 v21, v21, v11, 0x7fff
	v_cndmask_b32_e64 v11, v21, v22, s4
	v_lshrrev_b32_e32 v99, 16, v11
	v_mul_f32_e32 v11, v55, v100
	v_bfe_u32 v21, v11, 16, 1
	v_or_b32_e32 v22, 0x400000, v11
	v_cmp_u_f32_e64 s4, v11, v11
	v_add3_u32 v21, v21, v11, 0x7fff
	v_cndmask_b32_e64 v11, v21, v22, s4
	v_lshrrev_b32_e32 v100, 16, v11
	;; [unrolled: 7-line block ×4, first 2 shown]
	v_mul_f32_e32 v11, v55, v67
	v_bfe_u32 v21, v11, 16, 1
	v_or_b32_e32 v22, 0x400000, v11
	v_cmp_u_f32_e64 s4, v11, v11
	v_add3_u32 v21, v21, v11, 0x7fff
	v_cndmask_b32_e64 v11, v21, v22, s4
	v_or_b32_e32 v21, 0x400000, v10
	v_cmp_u_f32_e64 s4, v10, v10
	v_lshrrev_b32_e32 v103, 16, v11
	v_bfe_u32 v11, v10, 16, 1
	v_add3_u32 v11, v11, v10, 0x7fff
	v_cndmask_b32_e64 v10, v11, v21, s4
	v_lshrrev_b32_e32 v69, 16, v10
	v_mul_f32_e32 v10, v55, v113
	v_bfe_u32 v11, v10, 16, 1
	v_or_b32_e32 v21, 0x400000, v10
	v_cmp_u_f32_e64 s4, v10, v10
	v_add3_u32 v11, v11, v10, 0x7fff
	v_cndmask_b32_e64 v10, v11, v21, s4
	v_lshrrev_b32_e32 v67, 16, v10
	v_mul_f32_e32 v10, v55, v112
	v_bfe_u32 v11, v10, 16, 1
	v_or_b32_e32 v21, 0x400000, v10
	v_cmp_u_f32_e64 s4, v10, v10
	v_add3_u32 v11, v11, v10, 0x7fff
	v_cndmask_b32_e64 v10, v11, v21, s4
	v_lshrrev_b32_e32 v70, 16, v10
	s_and_saveexec_b32 s15, vcc_lo
	s_cbranch_execz .LBB366_1780
; %bb.1779:                             ;   in Loop: Header=BB366_988 Depth=1
	v_cmp_lt_i32_e64 s4, v56, v30
	v_cndmask_b32_e64 v69, 0, v69, s4
	v_cmp_lt_i32_e64 s4, v62, v30
	v_cndmask_b32_e64 v103, 0, v103, s4
	;; [unrolled: 2-line block ×8, first 2 shown]
.LBB366_1780:                           ;   in Loop: Header=BB366_988 Depth=1
	s_or_b32 exec_lo, exec_lo, s15
	flat_load_dwordx2 v[21:22], v[19:20] offset:1024
	v_mov_b32_e32 v116, 0
	v_mov_b32_e32 v10, 0
	s_waitcnt vmcnt(0) lgkmcnt(0)
	v_cmp_ne_u16_sdwa s4, v21, v12 src0_sel:BYTE_0 src1_sel:DWORD
	s_and_saveexec_b32 s15, s4
	s_cbranch_execz .LBB366_1788
; %bb.1781:                             ;   in Loop: Header=BB366_988 Depth=1
	v_cmp_ne_u16_sdwa s4, v21, v66 src0_sel:BYTE_0 src1_sel:DWORD
	v_bfrev_b32_e32 v10, 1
	s_and_saveexec_b32 s18, s4
	s_cbranch_execz .LBB366_1787
; %bb.1782:                             ;   in Loop: Header=BB366_988 Depth=1
	v_and_b32_e32 v11, 0x7f, v21
	v_mov_b32_e32 v10, 0x7f800001
	s_mov_b32 s19, exec_lo
	v_cmpx_ne_u32_e32 0x7f, v11
	s_cbranch_execz .LBB366_1786
; %bb.1783:                             ;   in Loop: Header=BB366_988 Depth=1
	v_lshrrev_b32_e32 v23, 3, v11
	v_cmp_gt_u32_e64 s4, 8, v11
	v_mov_b32_e32 v10, v21
	v_mov_b32_e32 v11, v22
	s_and_saveexec_b32 s20, s4
; %bb.1784:                             ;   in Loop: Header=BB366_988 Depth=1
	v_and_b32_e32 v10, 7, v21
	v_ffbh_u32_e32 v10, v10
	v_min_u32_e32 v23, 32, v10
	v_subrev_nc_u32_e32 v10, 28, v23
	v_sub_nc_u32_e32 v23, 29, v23
	v_lshlrev_b64 v[10:11], v10, v[21:22]
; %bb.1785:                             ;   in Loop: Header=BB366_988 Depth=1
	s_or_b32 exec_lo, exec_lo, s20
	v_lshlrev_b32_e32 v10, 20, v10
	v_lshlrev_b32_e32 v11, 24, v21
	v_lshl_add_u32 v23, v23, 23, 0x3c000000
	v_and_b32_e32 v10, 0x700000, v10
	v_and_b32_e32 v11, 0x80000000, v11
	v_or3_b32 v10, v10, v11, v23
.LBB366_1786:                           ;   in Loop: Header=BB366_988 Depth=1
	s_or_b32 exec_lo, exec_lo, s19
.LBB366_1787:                           ;   in Loop: Header=BB366_988 Depth=1
	s_or_b32 exec_lo, exec_lo, s18
.LBB366_1788:                           ;   in Loop: Header=BB366_988 Depth=1
	s_or_b32 exec_lo, exec_lo, s15
	v_cmp_ne_u16_sdwa s4, v21, v12 src0_sel:BYTE_1 src1_sel:DWORD
	s_and_saveexec_b32 s15, s4
	s_cbranch_execz .LBB366_1796
; %bb.1789:                             ;   in Loop: Header=BB366_988 Depth=1
	v_cmp_ne_u16_sdwa s4, v21, v66 src0_sel:BYTE_1 src1_sel:DWORD
	v_bfrev_b32_e32 v116, 1
	s_and_saveexec_b32 s18, s4
	s_cbranch_execz .LBB366_1795
; %bb.1790:                             ;   in Loop: Header=BB366_988 Depth=1
	v_mov_b32_e32 v11, 0xffff
	v_mov_b32_e32 v116, 0x7f800001
	s_mov_b32 s19, exec_lo
	v_and_b32_sdwa v11, v11, v21 dst_sel:DWORD dst_unused:UNUSED_PAD src0_sel:DWORD src1_sel:BYTE_1
	v_and_b32_e32 v23, 0x7f, v11
	v_cmpx_ne_u32_e32 0x7f, v23
	s_cbranch_execz .LBB366_1794
; %bb.1791:                             ;   in Loop: Header=BB366_988 Depth=1
	v_and_b32_e32 v11, 7, v11
	v_lshrrev_b32_e32 v112, 3, v23
	v_cmp_gt_u32_e64 s4, 8, v23
	v_mov_b32_e32 v24, v12
	v_mov_b32_e32 v23, v11
	s_and_saveexec_b32 s20, s4
; %bb.1792:                             ;   in Loop: Header=BB366_988 Depth=1
	v_ffbh_u32_e32 v23, v11
	v_min_u32_e32 v112, 32, v23
	v_subrev_nc_u32_e32 v23, 28, v112
	v_sub_nc_u32_e32 v112, 29, v112
	v_lshlrev_b64 v[23:24], v23, v[11:12]
	v_and_b32_e32 v23, 7, v23
; %bb.1793:                             ;   in Loop: Header=BB366_988 Depth=1
	s_or_b32 exec_lo, exec_lo, s20
	v_lshlrev_b32_e32 v11, 16, v21
	v_lshlrev_b32_e32 v23, 20, v23
	v_lshl_add_u32 v24, v112, 23, 0x3c000000
	v_and_b32_e32 v11, 0x80000000, v11
	v_or3_b32 v116, v23, v11, v24
.LBB366_1794:                           ;   in Loop: Header=BB366_988 Depth=1
	s_or_b32 exec_lo, exec_lo, s19
.LBB366_1795:                           ;   in Loop: Header=BB366_988 Depth=1
	s_or_b32 exec_lo, exec_lo, s18
.LBB366_1796:                           ;   in Loop: Header=BB366_988 Depth=1
	s_or_b32 exec_lo, exec_lo, s15
	v_and_b32_sdwa v11, v21, v68 dst_sel:DWORD dst_unused:UNUSED_PAD src0_sel:WORD_1 src1_sel:DWORD
	v_mov_b32_e32 v114, 0
	v_mov_b32_e32 v115, 0
	s_mov_b32 s15, exec_lo
	v_cmpx_ne_u16_e32 0, v11
	s_cbranch_execz .LBB366_1804
; %bb.1797:                             ;   in Loop: Header=BB366_988 Depth=1
	v_bfrev_b32_e32 v115, 1
	s_mov_b32 s18, exec_lo
	v_cmpx_ne_u16_e32 0x80, v11
	s_cbranch_execz .LBB366_1803
; %bb.1798:                             ;   in Loop: Header=BB366_988 Depth=1
	v_bfe_u32 v23, v21, 16, 7
	v_mov_b32_e32 v115, 0x7f800001
	s_mov_b32 s19, exec_lo
	v_cmpx_ne_u32_e32 0x7f, v23
	s_cbranch_execz .LBB366_1802
; %bb.1799:                             ;   in Loop: Header=BB366_988 Depth=1
	v_mov_b32_e32 v11, 7
	v_lshrrev_b32_e32 v112, 3, v23
	v_cmp_gt_u32_e64 s4, 8, v23
	v_and_b32_sdwa v11, v21, v11 dst_sel:DWORD dst_unused:UNUSED_PAD src0_sel:WORD_1 src1_sel:DWORD
	v_mov_b32_e32 v24, v12
	v_mov_b32_e32 v23, v11
	s_and_saveexec_b32 s20, s4
; %bb.1800:                             ;   in Loop: Header=BB366_988 Depth=1
	v_ffbh_u32_e32 v23, v11
	v_min_u32_e32 v112, 32, v23
	v_subrev_nc_u32_e32 v23, 28, v112
	v_sub_nc_u32_e32 v112, 29, v112
	v_lshlrev_b64 v[23:24], v23, v[11:12]
	v_and_b32_e32 v23, 7, v23
; %bb.1801:                             ;   in Loop: Header=BB366_988 Depth=1
	s_or_b32 exec_lo, exec_lo, s20
	v_mov_b32_e32 v11, 24
	v_lshlrev_b32_e32 v23, 20, v23
	v_lshl_add_u32 v24, v112, 23, 0x3c000000
	v_lshlrev_b32_sdwa v11, v11, v21 dst_sel:DWORD dst_unused:UNUSED_PAD src0_sel:DWORD src1_sel:WORD_1
	v_and_b32_e32 v11, 0x80000000, v11
	v_or3_b32 v115, v23, v11, v24
.LBB366_1802:                           ;   in Loop: Header=BB366_988 Depth=1
	s_or_b32 exec_lo, exec_lo, s19
.LBB366_1803:                           ;   in Loop: Header=BB366_988 Depth=1
	s_or_b32 exec_lo, exec_lo, s18
.LBB366_1804:                           ;   in Loop: Header=BB366_988 Depth=1
	s_or_b32 exec_lo, exec_lo, s15
	s_mov_b32 s15, exec_lo
	v_cmpx_lt_u32_e32 0xffffff, v21
	s_cbranch_execz .LBB366_1812
; %bb.1805:                             ;   in Loop: Header=BB366_988 Depth=1
	v_cmp_ne_u32_sdwa s4, v21, v66 src0_sel:BYTE_3 src1_sel:DWORD
	v_bfrev_b32_e32 v114, 1
	s_and_saveexec_b32 s18, s4
	s_cbranch_execz .LBB366_1811
; %bb.1806:                             ;   in Loop: Header=BB366_988 Depth=1
	v_bfe_u32 v23, v21, 24, 7
	v_mov_b32_e32 v114, 0x7f800001
	s_mov_b32 s19, exec_lo
	v_cmpx_ne_u32_e32 0x7f, v23
	s_cbranch_execz .LBB366_1810
; %bb.1807:                             ;   in Loop: Header=BB366_988 Depth=1
	v_mov_b32_e32 v11, 7
	v_lshrrev_b32_e32 v112, 3, v23
	v_cmp_gt_u32_e64 s4, 8, v23
	v_and_b32_sdwa v11, v21, v11 dst_sel:DWORD dst_unused:UNUSED_PAD src0_sel:BYTE_3 src1_sel:DWORD
	v_mov_b32_e32 v24, v12
	v_mov_b32_e32 v23, v11
	s_and_saveexec_b32 s20, s4
; %bb.1808:                             ;   in Loop: Header=BB366_988 Depth=1
	v_ffbh_u32_e32 v23, v11
	v_min_u32_e32 v112, 32, v23
	v_subrev_nc_u32_e32 v23, 28, v112
	v_sub_nc_u32_e32 v112, 29, v112
	v_lshlrev_b64 v[23:24], v23, v[11:12]
	v_and_b32_e32 v23, 7, v23
; %bb.1809:                             ;   in Loop: Header=BB366_988 Depth=1
	s_or_b32 exec_lo, exec_lo, s20
	v_mov_b32_e32 v11, 24
	v_lshlrev_b32_e32 v23, 20, v23
	v_lshl_add_u32 v24, v112, 23, 0x3c000000
	v_lshlrev_b32_sdwa v11, v11, v21 dst_sel:DWORD dst_unused:UNUSED_PAD src0_sel:DWORD src1_sel:BYTE_3
	v_and_b32_e32 v11, 0x80000000, v11
	v_or3_b32 v114, v23, v11, v24
.LBB366_1810:                           ;   in Loop: Header=BB366_988 Depth=1
	s_or_b32 exec_lo, exec_lo, s19
.LBB366_1811:                           ;   in Loop: Header=BB366_988 Depth=1
	s_or_b32 exec_lo, exec_lo, s18
.LBB366_1812:                           ;   in Loop: Header=BB366_988 Depth=1
	s_or_b32 exec_lo, exec_lo, s15
	v_mov_b32_e32 v11, v22
	v_cmp_ne_u16_sdwa s4, v22, v12 src0_sel:BYTE_0 src1_sel:DWORD
	v_mov_b32_e32 v112, 0
	v_mov_b32_e32 v113, 0
	s_and_saveexec_b32 s15, s4
	s_cbranch_execz .LBB366_1820
; %bb.1813:                             ;   in Loop: Header=BB366_988 Depth=1
	v_cmp_ne_u16_sdwa s4, v22, v66 src0_sel:BYTE_0 src1_sel:DWORD
	v_bfrev_b32_e32 v113, 1
	s_and_saveexec_b32 s18, s4
	s_cbranch_execz .LBB366_1819
; %bb.1814:                             ;   in Loop: Header=BB366_988 Depth=1
	v_and_b32_e32 v23, 0x7f, v22
	v_mov_b32_e32 v113, 0x7f800001
	s_mov_b32 s19, exec_lo
	v_cmpx_ne_u32_e32 0x7f, v23
	s_cbranch_execz .LBB366_1818
; %bb.1815:                             ;   in Loop: Header=BB366_988 Depth=1
	v_lshrrev_b32_e32 v113, 3, v23
	v_cmp_gt_u32_e64 s4, 8, v23
	v_mov_b32_e32 v24, v12
	v_mov_b32_e32 v23, v11
	s_and_saveexec_b32 s20, s4
; %bb.1816:                             ;   in Loop: Header=BB366_988 Depth=1
	v_and_b32_e32 v23, 7, v22
	v_ffbh_u32_e32 v23, v23
	v_min_u32_e32 v113, 32, v23
	v_subrev_nc_u32_e32 v23, 28, v113
	v_sub_nc_u32_e32 v113, 29, v113
	v_lshlrev_b64 v[23:24], v23, v[11:12]
; %bb.1817:                             ;   in Loop: Header=BB366_988 Depth=1
	s_or_b32 exec_lo, exec_lo, s20
	v_lshlrev_b32_e32 v23, 20, v23
	v_lshlrev_b32_e32 v24, 24, v11
	v_lshl_add_u32 v113, v113, 23, 0x3c000000
	v_and_b32_e32 v23, 0x700000, v23
	v_and_b32_e32 v24, 0x80000000, v24
	v_or3_b32 v113, v23, v24, v113
.LBB366_1818:                           ;   in Loop: Header=BB366_988 Depth=1
	s_or_b32 exec_lo, exec_lo, s19
.LBB366_1819:                           ;   in Loop: Header=BB366_988 Depth=1
	s_or_b32 exec_lo, exec_lo, s18
.LBB366_1820:                           ;   in Loop: Header=BB366_988 Depth=1
	s_or_b32 exec_lo, exec_lo, s15
	v_cmp_ne_u16_sdwa s4, v11, v12 src0_sel:BYTE_1 src1_sel:DWORD
	s_and_saveexec_b32 s15, s4
	s_cbranch_execz .LBB366_1828
; %bb.1821:                             ;   in Loop: Header=BB366_988 Depth=1
	v_cmp_ne_u16_sdwa s4, v11, v66 src0_sel:BYTE_1 src1_sel:DWORD
	v_bfrev_b32_e32 v112, 1
	s_and_saveexec_b32 s18, s4
	s_cbranch_execz .LBB366_1827
; %bb.1822:                             ;   in Loop: Header=BB366_988 Depth=1
	v_mov_b32_e32 v23, 0xffff
	v_mov_b32_e32 v112, 0x7f800001
	s_mov_b32 s19, exec_lo
	v_and_b32_sdwa v23, v23, v11 dst_sel:DWORD dst_unused:UNUSED_PAD src0_sel:DWORD src1_sel:BYTE_1
	v_and_b32_e32 v117, 0x7f, v23
	v_cmpx_ne_u32_e32 0x7f, v117
	s_cbranch_execz .LBB366_1826
; %bb.1823:                             ;   in Loop: Header=BB366_988 Depth=1
	v_and_b32_e32 v23, 7, v23
	v_mov_b32_e32 v24, v12
	v_lshrrev_b32_e32 v112, 3, v117
	s_mov_b32 s20, exec_lo
	v_cmpx_gt_u32_e32 8, v117
; %bb.1824:                             ;   in Loop: Header=BB366_988 Depth=1
	v_ffbh_u32_e32 v112, v23
	v_min_u32_e32 v112, 32, v112
	v_subrev_nc_u32_e32 v117, 28, v112
	v_sub_nc_u32_e32 v112, 29, v112
	v_lshlrev_b64 v[23:24], v117, v[23:24]
	v_and_b32_e32 v23, 7, v23
; %bb.1825:                             ;   in Loop: Header=BB366_988 Depth=1
	s_or_b32 exec_lo, exec_lo, s20
	v_lshlrev_b32_e32 v11, 16, v11
	v_lshlrev_b32_e32 v23, 20, v23
	v_lshl_add_u32 v24, v112, 23, 0x3c000000
	v_and_b32_e32 v11, 0x80000000, v11
	v_or3_b32 v112, v23, v11, v24
.LBB366_1826:                           ;   in Loop: Header=BB366_988 Depth=1
	s_or_b32 exec_lo, exec_lo, s19
.LBB366_1827:                           ;   in Loop: Header=BB366_988 Depth=1
	s_or_b32 exec_lo, exec_lo, s18
.LBB366_1828:                           ;   in Loop: Header=BB366_988 Depth=1
	s_or_b32 exec_lo, exec_lo, s15
	v_and_b32_sdwa v11, v22, v68 dst_sel:DWORD dst_unused:UNUSED_PAD src0_sel:WORD_1 src1_sel:DWORD
	v_mov_b32_e32 v119, 0
	v_mov_b32_e32 v117, 0
	s_mov_b32 s15, exec_lo
	v_cmpx_ne_u16_e32 0, v11
	s_cbranch_execz .LBB366_1836
; %bb.1829:                             ;   in Loop: Header=BB366_988 Depth=1
	v_bfrev_b32_e32 v117, 1
	s_mov_b32 s18, exec_lo
	v_cmpx_ne_u16_e32 0x80, v11
	s_cbranch_execz .LBB366_1835
; %bb.1830:                             ;   in Loop: Header=BB366_988 Depth=1
	v_bfe_u32 v23, v22, 16, 7
	v_mov_b32_e32 v117, 0x7f800001
	s_mov_b32 s19, exec_lo
	v_cmpx_ne_u32_e32 0x7f, v23
	s_cbranch_execz .LBB366_1834
; %bb.1831:                             ;   in Loop: Header=BB366_988 Depth=1
	v_mov_b32_e32 v11, 7
	v_lshrrev_b32_e32 v117, 3, v23
	v_cmp_gt_u32_e64 s4, 8, v23
	v_and_b32_sdwa v11, v22, v11 dst_sel:DWORD dst_unused:UNUSED_PAD src0_sel:WORD_1 src1_sel:DWORD
	v_mov_b32_e32 v24, v12
	v_mov_b32_e32 v23, v11
	s_and_saveexec_b32 s20, s4
; %bb.1832:                             ;   in Loop: Header=BB366_988 Depth=1
	v_ffbh_u32_e32 v23, v11
	v_min_u32_e32 v117, 32, v23
	v_subrev_nc_u32_e32 v23, 28, v117
	v_sub_nc_u32_e32 v117, 29, v117
	v_lshlrev_b64 v[23:24], v23, v[11:12]
	v_and_b32_e32 v23, 7, v23
; %bb.1833:                             ;   in Loop: Header=BB366_988 Depth=1
	s_or_b32 exec_lo, exec_lo, s20
	v_mov_b32_e32 v11, 24
	v_lshlrev_b32_e32 v23, 20, v23
	v_lshl_add_u32 v24, v117, 23, 0x3c000000
	v_lshlrev_b32_sdwa v11, v11, v22 dst_sel:DWORD dst_unused:UNUSED_PAD src0_sel:DWORD src1_sel:WORD_1
	v_and_b32_e32 v11, 0x80000000, v11
	v_or3_b32 v117, v23, v11, v24
.LBB366_1834:                           ;   in Loop: Header=BB366_988 Depth=1
	s_or_b32 exec_lo, exec_lo, s19
.LBB366_1835:                           ;   in Loop: Header=BB366_988 Depth=1
	s_or_b32 exec_lo, exec_lo, s18
.LBB366_1836:                           ;   in Loop: Header=BB366_988 Depth=1
	s_or_b32 exec_lo, exec_lo, s15
	s_mov_b32 s15, exec_lo
	v_cmpx_lt_u64_e64 s[6:7], v[21:22]
	s_cbranch_execz .LBB366_1844
; %bb.1837:                             ;   in Loop: Header=BB366_988 Depth=1
	v_cmp_ne_u32_sdwa s4, v22, v66 src0_sel:BYTE_3 src1_sel:DWORD
	v_bfrev_b32_e32 v119, 1
	s_and_saveexec_b32 s18, s4
	s_cbranch_execz .LBB366_1843
; %bb.1838:                             ;   in Loop: Header=BB366_988 Depth=1
	v_bfe_u32 v23, v22, 24, 7
	v_mov_b32_e32 v119, 0x7f800001
	s_mov_b32 s19, exec_lo
	v_cmpx_ne_u32_e32 0x7f, v23
	s_cbranch_execz .LBB366_1842
; %bb.1839:                             ;   in Loop: Header=BB366_988 Depth=1
	v_mov_b32_e32 v11, 7
	v_lshrrev_b32_e32 v21, 3, v23
	v_cmp_gt_u32_e64 s4, 8, v23
	v_and_b32_sdwa v11, v22, v11 dst_sel:DWORD dst_unused:UNUSED_PAD src0_sel:BYTE_3 src1_sel:DWORD
	v_mov_b32_e32 v24, v12
	v_mov_b32_e32 v23, v11
	s_and_saveexec_b32 s20, s4
; %bb.1840:                             ;   in Loop: Header=BB366_988 Depth=1
	v_ffbh_u32_e32 v21, v11
	v_min_u32_e32 v21, 32, v21
	v_subrev_nc_u32_e32 v23, 28, v21
	v_sub_nc_u32_e32 v21, 29, v21
	v_lshlrev_b64 v[23:24], v23, v[11:12]
	v_and_b32_e32 v23, 7, v23
; %bb.1841:                             ;   in Loop: Header=BB366_988 Depth=1
	s_or_b32 exec_lo, exec_lo, s20
	v_mov_b32_e32 v11, 24
	v_lshl_add_u32 v21, v21, 23, 0x3c000000
	v_lshlrev_b32_sdwa v11, v11, v22 dst_sel:DWORD dst_unused:UNUSED_PAD src0_sel:DWORD src1_sel:BYTE_3
	v_lshlrev_b32_e32 v22, 20, v23
	v_and_b32_e32 v11, 0x80000000, v11
	v_or3_b32 v119, v22, v11, v21
.LBB366_1842:                           ;   in Loop: Header=BB366_988 Depth=1
	s_or_b32 exec_lo, exec_lo, s19
.LBB366_1843:                           ;   in Loop: Header=BB366_988 Depth=1
	s_or_b32 exec_lo, exec_lo, s18
.LBB366_1844:                           ;   in Loop: Header=BB366_988 Depth=1
	s_or_b32 exec_lo, exec_lo, s15
	v_mul_f32_e32 v11, v55, v112
	v_mul_f32_e32 v10, v55, v10
	v_bfe_u32 v21, v11, 16, 1
	v_or_b32_e32 v22, 0x400000, v11
	v_cmp_u_f32_e64 s4, v11, v11
	v_add3_u32 v21, v21, v11, 0x7fff
	v_cndmask_b32_e64 v11, v21, v22, s4
	v_lshrrev_b32_e32 v112, 16, v11
	v_mul_f32_e32 v11, v55, v113
	v_bfe_u32 v21, v11, 16, 1
	v_or_b32_e32 v22, 0x400000, v11
	v_cmp_u_f32_e64 s4, v11, v11
	v_add3_u32 v21, v21, v11, 0x7fff
	v_cndmask_b32_e64 v11, v21, v22, s4
	v_lshrrev_b32_e32 v113, 16, v11
	v_mul_f32_e32 v11, v55, v114
	v_bfe_u32 v21, v11, 16, 1
	v_or_b32_e32 v22, 0x400000, v11
	v_cmp_u_f32_e64 s4, v11, v11
	v_add3_u32 v21, v21, v11, 0x7fff
	v_cndmask_b32_e64 v11, v21, v22, s4
	v_lshrrev_b32_e32 v114, 16, v11
	v_mul_f32_e32 v11, v55, v115
	v_bfe_u32 v21, v11, 16, 1
	v_or_b32_e32 v22, 0x400000, v11
	v_cmp_u_f32_e64 s4, v11, v11
	v_add3_u32 v21, v21, v11, 0x7fff
	v_cndmask_b32_e64 v11, v21, v22, s4
	v_lshrrev_b32_e32 v115, 16, v11
	v_mul_f32_e32 v11, v55, v116
	v_bfe_u32 v21, v11, 16, 1
	v_or_b32_e32 v22, 0x400000, v11
	v_cmp_u_f32_e64 s4, v11, v11
	v_add3_u32 v21, v21, v11, 0x7fff
	v_cndmask_b32_e64 v11, v21, v22, s4
	v_or_b32_e32 v21, 0x400000, v10
	v_cmp_u_f32_e64 s4, v10, v10
	v_lshrrev_b32_e32 v116, 16, v11
	v_bfe_u32 v11, v10, 16, 1
	v_add3_u32 v11, v11, v10, 0x7fff
	v_cndmask_b32_e64 v10, v11, v21, s4
	v_lshrrev_b32_e32 v118, 16, v10
	v_mul_f32_e32 v10, v55, v117
	v_bfe_u32 v11, v10, 16, 1
	v_or_b32_e32 v21, 0x400000, v10
	v_cmp_u_f32_e64 s4, v10, v10
	v_add3_u32 v11, v11, v10, 0x7fff
	v_cndmask_b32_e64 v10, v11, v21, s4
	v_lshrrev_b32_e32 v117, 16, v10
	v_mul_f32_e32 v10, v55, v119
	v_bfe_u32 v11, v10, 16, 1
	v_or_b32_e32 v21, 0x400000, v10
	v_cmp_u_f32_e64 s4, v10, v10
	v_add3_u32 v11, v11, v10, 0x7fff
	v_cndmask_b32_e64 v10, v11, v21, s4
	v_lshrrev_b32_e32 v119, 16, v10
	s_and_saveexec_b32 s15, vcc_lo
	s_cbranch_execz .LBB366_1846
; %bb.1845:                             ;   in Loop: Header=BB366_988 Depth=1
	v_cmp_lt_i32_e64 s4, v56, v30
	v_cndmask_b32_e64 v118, 0, v118, s4
	v_cmp_lt_i32_e64 s4, v62, v30
	v_cndmask_b32_e64 v116, 0, v116, s4
	;; [unrolled: 2-line block ×8, first 2 shown]
.LBB366_1846:                           ;   in Loop: Header=BB366_988 Depth=1
	s_or_b32 exec_lo, exec_lo, s15
	flat_load_dwordx2 v[21:22], v[19:20] offset:1280
	v_mov_b32_e32 v44, 0
	v_mov_b32_e32 v10, 0
	s_waitcnt vmcnt(0) lgkmcnt(0)
	v_cmp_ne_u16_sdwa s4, v21, v12 src0_sel:BYTE_0 src1_sel:DWORD
	s_and_saveexec_b32 s15, s4
	s_cbranch_execz .LBB366_1854
; %bb.1847:                             ;   in Loop: Header=BB366_988 Depth=1
	v_cmp_ne_u16_sdwa s4, v21, v66 src0_sel:BYTE_0 src1_sel:DWORD
	v_bfrev_b32_e32 v10, 1
	s_and_saveexec_b32 s18, s4
	s_cbranch_execz .LBB366_1853
; %bb.1848:                             ;   in Loop: Header=BB366_988 Depth=1
	v_and_b32_e32 v11, 0x7f, v21
	v_mov_b32_e32 v10, 0x7f800001
	s_mov_b32 s19, exec_lo
	v_cmpx_ne_u32_e32 0x7f, v11
	s_cbranch_execz .LBB366_1852
; %bb.1849:                             ;   in Loop: Header=BB366_988 Depth=1
	v_lshrrev_b32_e32 v23, 3, v11
	v_cmp_gt_u32_e64 s4, 8, v11
	v_mov_b32_e32 v10, v21
	v_mov_b32_e32 v11, v22
	s_and_saveexec_b32 s20, s4
; %bb.1850:                             ;   in Loop: Header=BB366_988 Depth=1
	v_and_b32_e32 v10, 7, v21
	v_ffbh_u32_e32 v10, v10
	v_min_u32_e32 v23, 32, v10
	v_subrev_nc_u32_e32 v10, 28, v23
	v_sub_nc_u32_e32 v23, 29, v23
	v_lshlrev_b64 v[10:11], v10, v[21:22]
; %bb.1851:                             ;   in Loop: Header=BB366_988 Depth=1
	s_or_b32 exec_lo, exec_lo, s20
	v_lshlrev_b32_e32 v10, 20, v10
	v_lshlrev_b32_e32 v11, 24, v21
	v_lshl_add_u32 v23, v23, 23, 0x3c000000
	v_and_b32_e32 v10, 0x700000, v10
	v_and_b32_e32 v11, 0x80000000, v11
	v_or3_b32 v10, v10, v11, v23
.LBB366_1852:                           ;   in Loop: Header=BB366_988 Depth=1
	s_or_b32 exec_lo, exec_lo, s19
.LBB366_1853:                           ;   in Loop: Header=BB366_988 Depth=1
	s_or_b32 exec_lo, exec_lo, s18
.LBB366_1854:                           ;   in Loop: Header=BB366_988 Depth=1
	s_or_b32 exec_lo, exec_lo, s15
	v_cmp_ne_u16_sdwa s4, v21, v12 src0_sel:BYTE_1 src1_sel:DWORD
	s_and_saveexec_b32 s15, s4
	s_cbranch_execz .LBB366_1862
; %bb.1855:                             ;   in Loop: Header=BB366_988 Depth=1
	v_cmp_ne_u16_sdwa s4, v21, v66 src0_sel:BYTE_1 src1_sel:DWORD
	v_bfrev_b32_e32 v44, 1
	s_and_saveexec_b32 s18, s4
	s_cbranch_execz .LBB366_1861
; %bb.1856:                             ;   in Loop: Header=BB366_988 Depth=1
	v_mov_b32_e32 v11, 0xffff
	v_mov_b32_e32 v44, 0x7f800001
	s_mov_b32 s19, exec_lo
	v_and_b32_sdwa v11, v11, v21 dst_sel:DWORD dst_unused:UNUSED_PAD src0_sel:DWORD src1_sel:BYTE_1
	v_and_b32_e32 v23, 0x7f, v11
	v_cmpx_ne_u32_e32 0x7f, v23
	s_cbranch_execz .LBB366_1860
; %bb.1857:                             ;   in Loop: Header=BB366_988 Depth=1
	v_and_b32_e32 v11, 7, v11
	v_lshrrev_b32_e32 v40, 3, v23
	v_cmp_gt_u32_e64 s4, 8, v23
	v_mov_b32_e32 v24, v12
	v_mov_b32_e32 v23, v11
	s_and_saveexec_b32 s20, s4
; %bb.1858:                             ;   in Loop: Header=BB366_988 Depth=1
	v_ffbh_u32_e32 v23, v11
	v_min_u32_e32 v40, 32, v23
	v_subrev_nc_u32_e32 v23, 28, v40
	v_sub_nc_u32_e32 v40, 29, v40
	v_lshlrev_b64 v[23:24], v23, v[11:12]
	v_and_b32_e32 v23, 7, v23
; %bb.1859:                             ;   in Loop: Header=BB366_988 Depth=1
	s_or_b32 exec_lo, exec_lo, s20
	v_lshlrev_b32_e32 v11, 16, v21
	v_lshlrev_b32_e32 v23, 20, v23
	v_lshl_add_u32 v24, v40, 23, 0x3c000000
	v_and_b32_e32 v11, 0x80000000, v11
	v_or3_b32 v44, v23, v11, v24
.LBB366_1860:                           ;   in Loop: Header=BB366_988 Depth=1
	s_or_b32 exec_lo, exec_lo, s19
.LBB366_1861:                           ;   in Loop: Header=BB366_988 Depth=1
	s_or_b32 exec_lo, exec_lo, s18
.LBB366_1862:                           ;   in Loop: Header=BB366_988 Depth=1
	s_or_b32 exec_lo, exec_lo, s15
	v_and_b32_sdwa v11, v21, v68 dst_sel:DWORD dst_unused:UNUSED_PAD src0_sel:WORD_1 src1_sel:DWORD
	v_mov_b32_e32 v42, 0
	v_mov_b32_e32 v43, 0
	s_mov_b32 s15, exec_lo
	v_cmpx_ne_u16_e32 0, v11
	s_cbranch_execz .LBB366_1870
; %bb.1863:                             ;   in Loop: Header=BB366_988 Depth=1
	v_bfrev_b32_e32 v43, 1
	s_mov_b32 s18, exec_lo
	v_cmpx_ne_u16_e32 0x80, v11
	s_cbranch_execz .LBB366_1869
; %bb.1864:                             ;   in Loop: Header=BB366_988 Depth=1
	v_bfe_u32 v23, v21, 16, 7
	v_mov_b32_e32 v43, 0x7f800001
	s_mov_b32 s19, exec_lo
	v_cmpx_ne_u32_e32 0x7f, v23
	s_cbranch_execz .LBB366_1868
; %bb.1865:                             ;   in Loop: Header=BB366_988 Depth=1
	v_mov_b32_e32 v11, 7
	v_lshrrev_b32_e32 v40, 3, v23
	v_cmp_gt_u32_e64 s4, 8, v23
	v_and_b32_sdwa v11, v21, v11 dst_sel:DWORD dst_unused:UNUSED_PAD src0_sel:WORD_1 src1_sel:DWORD
	v_mov_b32_e32 v24, v12
	v_mov_b32_e32 v23, v11
	s_and_saveexec_b32 s20, s4
; %bb.1866:                             ;   in Loop: Header=BB366_988 Depth=1
	v_ffbh_u32_e32 v23, v11
	v_min_u32_e32 v40, 32, v23
	v_subrev_nc_u32_e32 v23, 28, v40
	v_sub_nc_u32_e32 v40, 29, v40
	v_lshlrev_b64 v[23:24], v23, v[11:12]
	v_and_b32_e32 v23, 7, v23
; %bb.1867:                             ;   in Loop: Header=BB366_988 Depth=1
	s_or_b32 exec_lo, exec_lo, s20
	v_mov_b32_e32 v11, 24
	v_lshlrev_b32_e32 v23, 20, v23
	v_lshl_add_u32 v24, v40, 23, 0x3c000000
	v_lshlrev_b32_sdwa v11, v11, v21 dst_sel:DWORD dst_unused:UNUSED_PAD src0_sel:DWORD src1_sel:WORD_1
	v_and_b32_e32 v11, 0x80000000, v11
	v_or3_b32 v43, v23, v11, v24
.LBB366_1868:                           ;   in Loop: Header=BB366_988 Depth=1
	s_or_b32 exec_lo, exec_lo, s19
.LBB366_1869:                           ;   in Loop: Header=BB366_988 Depth=1
	s_or_b32 exec_lo, exec_lo, s18
.LBB366_1870:                           ;   in Loop: Header=BB366_988 Depth=1
	s_or_b32 exec_lo, exec_lo, s15
	s_mov_b32 s15, exec_lo
	v_cmpx_lt_u32_e32 0xffffff, v21
	s_cbranch_execz .LBB366_1878
; %bb.1871:                             ;   in Loop: Header=BB366_988 Depth=1
	v_cmp_ne_u32_sdwa s4, v21, v66 src0_sel:BYTE_3 src1_sel:DWORD
	v_bfrev_b32_e32 v42, 1
	s_and_saveexec_b32 s18, s4
	s_cbranch_execz .LBB366_1877
; %bb.1872:                             ;   in Loop: Header=BB366_988 Depth=1
	v_bfe_u32 v23, v21, 24, 7
	v_mov_b32_e32 v42, 0x7f800001
	s_mov_b32 s19, exec_lo
	v_cmpx_ne_u32_e32 0x7f, v23
	s_cbranch_execz .LBB366_1876
; %bb.1873:                             ;   in Loop: Header=BB366_988 Depth=1
	v_mov_b32_e32 v11, 7
	v_lshrrev_b32_e32 v40, 3, v23
	v_cmp_gt_u32_e64 s4, 8, v23
	v_and_b32_sdwa v11, v21, v11 dst_sel:DWORD dst_unused:UNUSED_PAD src0_sel:BYTE_3 src1_sel:DWORD
	v_mov_b32_e32 v24, v12
	v_mov_b32_e32 v23, v11
	s_and_saveexec_b32 s20, s4
; %bb.1874:                             ;   in Loop: Header=BB366_988 Depth=1
	v_ffbh_u32_e32 v23, v11
	v_min_u32_e32 v40, 32, v23
	v_subrev_nc_u32_e32 v23, 28, v40
	v_sub_nc_u32_e32 v40, 29, v40
	v_lshlrev_b64 v[23:24], v23, v[11:12]
	v_and_b32_e32 v23, 7, v23
; %bb.1875:                             ;   in Loop: Header=BB366_988 Depth=1
	s_or_b32 exec_lo, exec_lo, s20
	v_mov_b32_e32 v11, 24
	v_lshlrev_b32_e32 v23, 20, v23
	v_lshl_add_u32 v24, v40, 23, 0x3c000000
	v_lshlrev_b32_sdwa v11, v11, v21 dst_sel:DWORD dst_unused:UNUSED_PAD src0_sel:DWORD src1_sel:BYTE_3
	v_and_b32_e32 v11, 0x80000000, v11
	v_or3_b32 v42, v23, v11, v24
.LBB366_1876:                           ;   in Loop: Header=BB366_988 Depth=1
	s_or_b32 exec_lo, exec_lo, s19
.LBB366_1877:                           ;   in Loop: Header=BB366_988 Depth=1
	s_or_b32 exec_lo, exec_lo, s18
.LBB366_1878:                           ;   in Loop: Header=BB366_988 Depth=1
	s_or_b32 exec_lo, exec_lo, s15
	v_mov_b32_e32 v11, v22
	v_cmp_ne_u16_sdwa s4, v22, v12 src0_sel:BYTE_0 src1_sel:DWORD
	v_mov_b32_e32 v40, 0
	v_mov_b32_e32 v41, 0
	s_and_saveexec_b32 s15, s4
	s_cbranch_execz .LBB366_1886
; %bb.1879:                             ;   in Loop: Header=BB366_988 Depth=1
	v_cmp_ne_u16_sdwa s4, v22, v66 src0_sel:BYTE_0 src1_sel:DWORD
	v_bfrev_b32_e32 v41, 1
	s_and_saveexec_b32 s18, s4
	s_cbranch_execz .LBB366_1885
; %bb.1880:                             ;   in Loop: Header=BB366_988 Depth=1
	v_and_b32_e32 v23, 0x7f, v22
	v_mov_b32_e32 v41, 0x7f800001
	s_mov_b32 s19, exec_lo
	v_cmpx_ne_u32_e32 0x7f, v23
	s_cbranch_execz .LBB366_1884
; %bb.1881:                             ;   in Loop: Header=BB366_988 Depth=1
	v_lshrrev_b32_e32 v41, 3, v23
	v_cmp_gt_u32_e64 s4, 8, v23
	v_mov_b32_e32 v24, v12
	v_mov_b32_e32 v23, v11
	s_and_saveexec_b32 s20, s4
; %bb.1882:                             ;   in Loop: Header=BB366_988 Depth=1
	v_and_b32_e32 v23, 7, v22
	v_ffbh_u32_e32 v23, v23
	v_min_u32_e32 v41, 32, v23
	v_subrev_nc_u32_e32 v23, 28, v41
	v_sub_nc_u32_e32 v41, 29, v41
	v_lshlrev_b64 v[23:24], v23, v[11:12]
; %bb.1883:                             ;   in Loop: Header=BB366_988 Depth=1
	s_or_b32 exec_lo, exec_lo, s20
	v_lshlrev_b32_e32 v23, 20, v23
	v_lshlrev_b32_e32 v24, 24, v11
	v_lshl_add_u32 v41, v41, 23, 0x3c000000
	v_and_b32_e32 v23, 0x700000, v23
	v_and_b32_e32 v24, 0x80000000, v24
	v_or3_b32 v41, v23, v24, v41
.LBB366_1884:                           ;   in Loop: Header=BB366_988 Depth=1
	s_or_b32 exec_lo, exec_lo, s19
.LBB366_1885:                           ;   in Loop: Header=BB366_988 Depth=1
	s_or_b32 exec_lo, exec_lo, s18
.LBB366_1886:                           ;   in Loop: Header=BB366_988 Depth=1
	s_or_b32 exec_lo, exec_lo, s15
	v_cmp_ne_u16_sdwa s4, v11, v12 src0_sel:BYTE_1 src1_sel:DWORD
	s_and_saveexec_b32 s15, s4
	s_cbranch_execz .LBB366_1894
; %bb.1887:                             ;   in Loop: Header=BB366_988 Depth=1
	v_cmp_ne_u16_sdwa s4, v11, v66 src0_sel:BYTE_1 src1_sel:DWORD
	v_bfrev_b32_e32 v40, 1
	s_and_saveexec_b32 s18, s4
	s_cbranch_execz .LBB366_1893
; %bb.1888:                             ;   in Loop: Header=BB366_988 Depth=1
	v_mov_b32_e32 v23, 0xffff
	v_mov_b32_e32 v40, 0x7f800001
	s_mov_b32 s19, exec_lo
	v_and_b32_sdwa v23, v23, v11 dst_sel:DWORD dst_unused:UNUSED_PAD src0_sel:DWORD src1_sel:BYTE_1
	v_and_b32_e32 v45, 0x7f, v23
	v_cmpx_ne_u32_e32 0x7f, v45
	s_cbranch_execz .LBB366_1892
; %bb.1889:                             ;   in Loop: Header=BB366_988 Depth=1
	v_and_b32_e32 v23, 7, v23
	v_mov_b32_e32 v24, v12
	v_lshrrev_b32_e32 v40, 3, v45
	s_mov_b32 s20, exec_lo
	v_cmpx_gt_u32_e32 8, v45
; %bb.1890:                             ;   in Loop: Header=BB366_988 Depth=1
	v_ffbh_u32_e32 v40, v23
	v_min_u32_e32 v40, 32, v40
	v_subrev_nc_u32_e32 v45, 28, v40
	v_sub_nc_u32_e32 v40, 29, v40
	v_lshlrev_b64 v[23:24], v45, v[23:24]
	v_and_b32_e32 v23, 7, v23
; %bb.1891:                             ;   in Loop: Header=BB366_988 Depth=1
	s_or_b32 exec_lo, exec_lo, s20
	v_lshlrev_b32_e32 v11, 16, v11
	v_lshlrev_b32_e32 v23, 20, v23
	v_lshl_add_u32 v24, v40, 23, 0x3c000000
	v_and_b32_e32 v11, 0x80000000, v11
	v_or3_b32 v40, v23, v11, v24
.LBB366_1892:                           ;   in Loop: Header=BB366_988 Depth=1
	s_or_b32 exec_lo, exec_lo, s19
.LBB366_1893:                           ;   in Loop: Header=BB366_988 Depth=1
	s_or_b32 exec_lo, exec_lo, s18
.LBB366_1894:                           ;   in Loop: Header=BB366_988 Depth=1
	s_or_b32 exec_lo, exec_lo, s15
	v_and_b32_sdwa v11, v22, v68 dst_sel:DWORD dst_unused:UNUSED_PAD src0_sel:WORD_1 src1_sel:DWORD
	v_mov_b32_e32 v47, 0
	v_mov_b32_e32 v45, 0
	s_mov_b32 s15, exec_lo
	v_cmpx_ne_u16_e32 0, v11
	s_cbranch_execz .LBB366_1902
; %bb.1895:                             ;   in Loop: Header=BB366_988 Depth=1
	v_bfrev_b32_e32 v45, 1
	s_mov_b32 s18, exec_lo
	v_cmpx_ne_u16_e32 0x80, v11
	s_cbranch_execz .LBB366_1901
; %bb.1896:                             ;   in Loop: Header=BB366_988 Depth=1
	v_bfe_u32 v23, v22, 16, 7
	v_mov_b32_e32 v45, 0x7f800001
	s_mov_b32 s19, exec_lo
	v_cmpx_ne_u32_e32 0x7f, v23
	s_cbranch_execz .LBB366_1900
; %bb.1897:                             ;   in Loop: Header=BB366_988 Depth=1
	v_mov_b32_e32 v11, 7
	v_lshrrev_b32_e32 v45, 3, v23
	v_cmp_gt_u32_e64 s4, 8, v23
	v_and_b32_sdwa v11, v22, v11 dst_sel:DWORD dst_unused:UNUSED_PAD src0_sel:WORD_1 src1_sel:DWORD
	v_mov_b32_e32 v24, v12
	v_mov_b32_e32 v23, v11
	s_and_saveexec_b32 s20, s4
; %bb.1898:                             ;   in Loop: Header=BB366_988 Depth=1
	v_ffbh_u32_e32 v23, v11
	v_min_u32_e32 v45, 32, v23
	v_subrev_nc_u32_e32 v23, 28, v45
	v_sub_nc_u32_e32 v45, 29, v45
	v_lshlrev_b64 v[23:24], v23, v[11:12]
	v_and_b32_e32 v23, 7, v23
; %bb.1899:                             ;   in Loop: Header=BB366_988 Depth=1
	s_or_b32 exec_lo, exec_lo, s20
	v_mov_b32_e32 v11, 24
	v_lshlrev_b32_e32 v23, 20, v23
	v_lshl_add_u32 v24, v45, 23, 0x3c000000
	v_lshlrev_b32_sdwa v11, v11, v22 dst_sel:DWORD dst_unused:UNUSED_PAD src0_sel:DWORD src1_sel:WORD_1
	v_and_b32_e32 v11, 0x80000000, v11
	v_or3_b32 v45, v23, v11, v24
.LBB366_1900:                           ;   in Loop: Header=BB366_988 Depth=1
	s_or_b32 exec_lo, exec_lo, s19
.LBB366_1901:                           ;   in Loop: Header=BB366_988 Depth=1
	s_or_b32 exec_lo, exec_lo, s18
.LBB366_1902:                           ;   in Loop: Header=BB366_988 Depth=1
	s_or_b32 exec_lo, exec_lo, s15
	s_mov_b32 s15, exec_lo
	v_cmpx_lt_u64_e64 s[6:7], v[21:22]
	s_cbranch_execz .LBB366_1910
; %bb.1903:                             ;   in Loop: Header=BB366_988 Depth=1
	v_cmp_ne_u32_sdwa s4, v22, v66 src0_sel:BYTE_3 src1_sel:DWORD
	v_bfrev_b32_e32 v47, 1
	s_and_saveexec_b32 s18, s4
	s_cbranch_execz .LBB366_1909
; %bb.1904:                             ;   in Loop: Header=BB366_988 Depth=1
	v_bfe_u32 v23, v22, 24, 7
	v_mov_b32_e32 v47, 0x7f800001
	s_mov_b32 s19, exec_lo
	v_cmpx_ne_u32_e32 0x7f, v23
	s_cbranch_execz .LBB366_1908
; %bb.1905:                             ;   in Loop: Header=BB366_988 Depth=1
	v_mov_b32_e32 v11, 7
	v_lshrrev_b32_e32 v21, 3, v23
	v_cmp_gt_u32_e64 s4, 8, v23
	v_and_b32_sdwa v11, v22, v11 dst_sel:DWORD dst_unused:UNUSED_PAD src0_sel:BYTE_3 src1_sel:DWORD
	v_mov_b32_e32 v24, v12
	v_mov_b32_e32 v23, v11
	s_and_saveexec_b32 s20, s4
; %bb.1906:                             ;   in Loop: Header=BB366_988 Depth=1
	v_ffbh_u32_e32 v21, v11
	v_min_u32_e32 v21, 32, v21
	v_subrev_nc_u32_e32 v23, 28, v21
	v_sub_nc_u32_e32 v21, 29, v21
	v_lshlrev_b64 v[23:24], v23, v[11:12]
	v_and_b32_e32 v23, 7, v23
; %bb.1907:                             ;   in Loop: Header=BB366_988 Depth=1
	s_or_b32 exec_lo, exec_lo, s20
	v_mov_b32_e32 v11, 24
	v_lshl_add_u32 v21, v21, 23, 0x3c000000
	v_lshlrev_b32_sdwa v11, v11, v22 dst_sel:DWORD dst_unused:UNUSED_PAD src0_sel:DWORD src1_sel:BYTE_3
	v_lshlrev_b32_e32 v22, 20, v23
	v_and_b32_e32 v11, 0x80000000, v11
	v_or3_b32 v47, v22, v11, v21
.LBB366_1908:                           ;   in Loop: Header=BB366_988 Depth=1
	s_or_b32 exec_lo, exec_lo, s19
.LBB366_1909:                           ;   in Loop: Header=BB366_988 Depth=1
	s_or_b32 exec_lo, exec_lo, s18
.LBB366_1910:                           ;   in Loop: Header=BB366_988 Depth=1
	s_or_b32 exec_lo, exec_lo, s15
	v_mul_f32_e32 v11, v55, v40
	v_mul_f32_e32 v10, v55, v10
	v_bfe_u32 v21, v11, 16, 1
	v_or_b32_e32 v22, 0x400000, v11
	v_cmp_u_f32_e64 s4, v11, v11
	v_add3_u32 v21, v21, v11, 0x7fff
	v_cndmask_b32_e64 v11, v21, v22, s4
	v_lshrrev_b32_e32 v40, 16, v11
	v_mul_f32_e32 v11, v55, v41
	v_bfe_u32 v21, v11, 16, 1
	v_or_b32_e32 v22, 0x400000, v11
	v_cmp_u_f32_e64 s4, v11, v11
	v_add3_u32 v21, v21, v11, 0x7fff
	v_cndmask_b32_e64 v11, v21, v22, s4
	v_lshrrev_b32_e32 v41, 16, v11
	;; [unrolled: 7-line block ×4, first 2 shown]
	v_mul_f32_e32 v11, v55, v44
	v_bfe_u32 v21, v11, 16, 1
	v_or_b32_e32 v22, 0x400000, v11
	v_cmp_u_f32_e64 s4, v11, v11
	v_add3_u32 v21, v21, v11, 0x7fff
	v_cndmask_b32_e64 v11, v21, v22, s4
	v_or_b32_e32 v21, 0x400000, v10
	v_cmp_u_f32_e64 s4, v10, v10
	v_lshrrev_b32_e32 v44, 16, v11
	v_bfe_u32 v11, v10, 16, 1
	v_add3_u32 v11, v11, v10, 0x7fff
	v_cndmask_b32_e64 v10, v11, v21, s4
	v_lshrrev_b32_e32 v46, 16, v10
	v_mul_f32_e32 v10, v55, v45
	v_bfe_u32 v11, v10, 16, 1
	v_or_b32_e32 v21, 0x400000, v10
	v_cmp_u_f32_e64 s4, v10, v10
	v_add3_u32 v11, v11, v10, 0x7fff
	v_cndmask_b32_e64 v10, v11, v21, s4
	v_lshrrev_b32_e32 v45, 16, v10
	v_mul_f32_e32 v10, v55, v47
	v_bfe_u32 v11, v10, 16, 1
	v_or_b32_e32 v21, 0x400000, v10
	v_cmp_u_f32_e64 s4, v10, v10
	v_add3_u32 v11, v11, v10, 0x7fff
	v_cndmask_b32_e64 v10, v11, v21, s4
	v_lshrrev_b32_e32 v47, 16, v10
	s_and_saveexec_b32 s15, vcc_lo
	s_cbranch_execz .LBB366_1912
; %bb.1911:                             ;   in Loop: Header=BB366_988 Depth=1
	v_cmp_lt_i32_e64 s4, v56, v30
	v_cndmask_b32_e64 v46, 0, v46, s4
	v_cmp_lt_i32_e64 s4, v62, v30
	v_cndmask_b32_e64 v44, 0, v44, s4
	;; [unrolled: 2-line block ×8, first 2 shown]
.LBB366_1912:                           ;   in Loop: Header=BB366_988 Depth=1
	s_or_b32 exec_lo, exec_lo, s15
	flat_load_dwordx2 v[19:20], v[19:20] offset:1536
	v_mov_b32_e32 v23, 0
	v_mov_b32_e32 v24, 0
	s_waitcnt vmcnt(0) lgkmcnt(0)
	v_cmp_ne_u16_sdwa s4, v19, v12 src0_sel:BYTE_0 src1_sel:DWORD
	s_and_saveexec_b32 s15, s4
	s_cbranch_execz .LBB366_1920
; %bb.1913:                             ;   in Loop: Header=BB366_988 Depth=1
	v_cmp_ne_u16_sdwa s4, v19, v66 src0_sel:BYTE_0 src1_sel:DWORD
	v_bfrev_b32_e32 v24, 1
	s_and_saveexec_b32 s18, s4
	s_cbranch_execz .LBB366_1919
; %bb.1914:                             ;   in Loop: Header=BB366_988 Depth=1
	v_and_b32_e32 v10, 0x7f, v19
	v_mov_b32_e32 v24, 0x7f800001
	s_mov_b32 s19, exec_lo
	v_cmpx_ne_u32_e32 0x7f, v10
	s_cbranch_execz .LBB366_1918
; %bb.1915:                             ;   in Loop: Header=BB366_988 Depth=1
	v_lshrrev_b32_e32 v21, 3, v10
	v_cmp_gt_u32_e64 s4, 8, v10
	v_mov_b32_e32 v10, v19
	v_mov_b32_e32 v11, v20
	s_and_saveexec_b32 s20, s4
; %bb.1916:                             ;   in Loop: Header=BB366_988 Depth=1
	v_and_b32_e32 v10, 7, v19
	v_ffbh_u32_e32 v10, v10
	v_min_u32_e32 v21, 32, v10
	v_subrev_nc_u32_e32 v10, 28, v21
	v_sub_nc_u32_e32 v21, 29, v21
	v_lshlrev_b64 v[10:11], v10, v[19:20]
; %bb.1917:                             ;   in Loop: Header=BB366_988 Depth=1
	s_or_b32 exec_lo, exec_lo, s20
	v_lshlrev_b32_e32 v10, 20, v10
	v_lshlrev_b32_e32 v11, 24, v19
	v_lshl_add_u32 v21, v21, 23, 0x3c000000
	v_and_b32_e32 v10, 0x700000, v10
	v_and_b32_e32 v11, 0x80000000, v11
	v_or3_b32 v24, v10, v11, v21
.LBB366_1918:                           ;   in Loop: Header=BB366_988 Depth=1
	s_or_b32 exec_lo, exec_lo, s19
.LBB366_1919:                           ;   in Loop: Header=BB366_988 Depth=1
	s_or_b32 exec_lo, exec_lo, s18
.LBB366_1920:                           ;   in Loop: Header=BB366_988 Depth=1
	s_or_b32 exec_lo, exec_lo, s15
	v_cmp_ne_u16_sdwa s4, v19, v12 src0_sel:BYTE_1 src1_sel:DWORD
	s_and_saveexec_b32 s15, s4
	s_cbranch_execz .LBB366_1928
; %bb.1921:                             ;   in Loop: Header=BB366_988 Depth=1
	v_cmp_ne_u16_sdwa s4, v19, v66 src0_sel:BYTE_1 src1_sel:DWORD
	v_bfrev_b32_e32 v23, 1
	s_and_saveexec_b32 s18, s4
	s_cbranch_execz .LBB366_1927
; %bb.1922:                             ;   in Loop: Header=BB366_988 Depth=1
	v_mov_b32_e32 v10, 0xffff
	v_mov_b32_e32 v23, 0x7f800001
	s_mov_b32 s19, exec_lo
	v_and_b32_sdwa v10, v10, v19 dst_sel:DWORD dst_unused:UNUSED_PAD src0_sel:DWORD src1_sel:BYTE_1
	v_and_b32_e32 v21, 0x7f, v10
	v_cmpx_ne_u32_e32 0x7f, v21
	s_cbranch_execz .LBB366_1926
; %bb.1923:                             ;   in Loop: Header=BB366_988 Depth=1
	v_and_b32_e32 v11, 7, v10
	v_lshrrev_b32_e32 v10, 3, v21
	v_cmp_gt_u32_e64 s4, 8, v21
	v_mov_b32_e32 v22, v12
	v_mov_b32_e32 v21, v11
	s_and_saveexec_b32 s20, s4
; %bb.1924:                             ;   in Loop: Header=BB366_988 Depth=1
	v_ffbh_u32_e32 v10, v11
	v_min_u32_e32 v10, 32, v10
	v_subrev_nc_u32_e32 v21, 28, v10
	v_sub_nc_u32_e32 v10, 29, v10
	v_lshlrev_b64 v[21:22], v21, v[11:12]
	v_and_b32_e32 v21, 7, v21
; %bb.1925:                             ;   in Loop: Header=BB366_988 Depth=1
	s_or_b32 exec_lo, exec_lo, s20
	v_lshlrev_b32_e32 v11, 16, v19
	v_lshlrev_b32_e32 v21, 20, v21
	v_lshl_add_u32 v10, v10, 23, 0x3c000000
	v_and_b32_e32 v11, 0x80000000, v11
	v_or3_b32 v23, v21, v11, v10
.LBB366_1926:                           ;   in Loop: Header=BB366_988 Depth=1
	s_or_b32 exec_lo, exec_lo, s19
.LBB366_1927:                           ;   in Loop: Header=BB366_988 Depth=1
	s_or_b32 exec_lo, exec_lo, s18
.LBB366_1928:                           ;   in Loop: Header=BB366_988 Depth=1
	s_or_b32 exec_lo, exec_lo, s15
	v_and_b32_sdwa v10, v19, v68 dst_sel:DWORD dst_unused:UNUSED_PAD src0_sel:WORD_1 src1_sel:DWORD
	v_mov_b32_e32 v72, 0
	v_mov_b32_e32 v63, 0
	s_mov_b32 s15, exec_lo
	v_cmpx_ne_u16_e32 0, v10
	s_cbranch_execz .LBB366_1936
; %bb.1929:                             ;   in Loop: Header=BB366_988 Depth=1
	v_bfrev_b32_e32 v63, 1
	s_mov_b32 s18, exec_lo
	v_cmpx_ne_u16_e32 0x80, v10
	s_cbranch_execz .LBB366_1935
; %bb.1930:                             ;   in Loop: Header=BB366_988 Depth=1
	v_bfe_u32 v21, v19, 16, 7
	v_mov_b32_e32 v63, 0x7f800001
	s_mov_b32 s19, exec_lo
	v_cmpx_ne_u32_e32 0x7f, v21
	s_cbranch_execz .LBB366_1934
; %bb.1931:                             ;   in Loop: Header=BB366_988 Depth=1
	v_mov_b32_e32 v10, 7
	v_cmp_gt_u32_e64 s4, 8, v21
	v_and_b32_sdwa v11, v19, v10 dst_sel:DWORD dst_unused:UNUSED_PAD src0_sel:WORD_1 src1_sel:DWORD
	v_lshrrev_b32_e32 v10, 3, v21
	v_mov_b32_e32 v22, v12
	v_mov_b32_e32 v21, v11
	s_and_saveexec_b32 s20, s4
; %bb.1932:                             ;   in Loop: Header=BB366_988 Depth=1
	v_ffbh_u32_e32 v10, v11
	v_min_u32_e32 v10, 32, v10
	v_subrev_nc_u32_e32 v21, 28, v10
	v_sub_nc_u32_e32 v10, 29, v10
	v_lshlrev_b64 v[21:22], v21, v[11:12]
	v_and_b32_e32 v21, 7, v21
; %bb.1933:                             ;   in Loop: Header=BB366_988 Depth=1
	s_or_b32 exec_lo, exec_lo, s20
	v_mov_b32_e32 v11, 24
	v_lshlrev_b32_e32 v21, 20, v21
	v_lshl_add_u32 v10, v10, 23, 0x3c000000
	v_lshlrev_b32_sdwa v11, v11, v19 dst_sel:DWORD dst_unused:UNUSED_PAD src0_sel:DWORD src1_sel:WORD_1
	v_and_b32_e32 v11, 0x80000000, v11
	v_or3_b32 v63, v21, v11, v10
.LBB366_1934:                           ;   in Loop: Header=BB366_988 Depth=1
	s_or_b32 exec_lo, exec_lo, s19
.LBB366_1935:                           ;   in Loop: Header=BB366_988 Depth=1
	s_or_b32 exec_lo, exec_lo, s18
.LBB366_1936:                           ;   in Loop: Header=BB366_988 Depth=1
	s_or_b32 exec_lo, exec_lo, s15
	s_mov_b32 s15, exec_lo
	v_cmpx_lt_u32_e32 0xffffff, v19
	s_cbranch_execz .LBB366_1944
; %bb.1937:                             ;   in Loop: Header=BB366_988 Depth=1
	v_cmp_ne_u32_sdwa s4, v19, v66 src0_sel:BYTE_3 src1_sel:DWORD
	v_bfrev_b32_e32 v72, 1
	s_and_saveexec_b32 s18, s4
	s_cbranch_execz .LBB366_1943
; %bb.1938:                             ;   in Loop: Header=BB366_988 Depth=1
	v_bfe_u32 v21, v19, 24, 7
	v_mov_b32_e32 v72, 0x7f800001
	s_mov_b32 s19, exec_lo
	v_cmpx_ne_u32_e32 0x7f, v21
	s_cbranch_execz .LBB366_1942
; %bb.1939:                             ;   in Loop: Header=BB366_988 Depth=1
	v_mov_b32_e32 v10, 7
	v_cmp_gt_u32_e64 s4, 8, v21
	v_and_b32_sdwa v11, v19, v10 dst_sel:DWORD dst_unused:UNUSED_PAD src0_sel:BYTE_3 src1_sel:DWORD
	v_lshrrev_b32_e32 v10, 3, v21
	v_mov_b32_e32 v22, v12
	v_mov_b32_e32 v21, v11
	s_and_saveexec_b32 s20, s4
; %bb.1940:                             ;   in Loop: Header=BB366_988 Depth=1
	v_ffbh_u32_e32 v10, v11
	v_min_u32_e32 v10, 32, v10
	v_subrev_nc_u32_e32 v21, 28, v10
	v_sub_nc_u32_e32 v10, 29, v10
	v_lshlrev_b64 v[21:22], v21, v[11:12]
	v_and_b32_e32 v21, 7, v21
; %bb.1941:                             ;   in Loop: Header=BB366_988 Depth=1
	s_or_b32 exec_lo, exec_lo, s20
	v_mov_b32_e32 v11, 24
	v_lshlrev_b32_e32 v21, 20, v21
	v_lshl_add_u32 v10, v10, 23, 0x3c000000
	v_lshlrev_b32_sdwa v11, v11, v19 dst_sel:DWORD dst_unused:UNUSED_PAD src0_sel:DWORD src1_sel:BYTE_3
	v_and_b32_e32 v11, 0x80000000, v11
	v_or3_b32 v72, v21, v11, v10
.LBB366_1942:                           ;   in Loop: Header=BB366_988 Depth=1
	s_or_b32 exec_lo, exec_lo, s19
.LBB366_1943:                           ;   in Loop: Header=BB366_988 Depth=1
	s_or_b32 exec_lo, exec_lo, s18
.LBB366_1944:                           ;   in Loop: Header=BB366_988 Depth=1
	s_or_b32 exec_lo, exec_lo, s15
	v_mov_b32_e32 v11, v20
	v_cmp_ne_u16_sdwa s4, v20, v12 src0_sel:BYTE_0 src1_sel:DWORD
	v_mov_b32_e32 v10, 0
	v_mov_b32_e32 v75, 0
	s_and_saveexec_b32 s15, s4
	s_cbranch_execz .LBB366_1952
; %bb.1945:                             ;   in Loop: Header=BB366_988 Depth=1
	v_cmp_ne_u16_sdwa s4, v20, v66 src0_sel:BYTE_0 src1_sel:DWORD
	v_bfrev_b32_e32 v75, 1
	s_and_saveexec_b32 s18, s4
	s_cbranch_execz .LBB366_1951
; %bb.1946:                             ;   in Loop: Header=BB366_988 Depth=1
	v_and_b32_e32 v21, 0x7f, v20
	v_mov_b32_e32 v75, 0x7f800001
	s_mov_b32 s19, exec_lo
	v_cmpx_ne_u32_e32 0x7f, v21
	s_cbranch_execz .LBB366_1950
; %bb.1947:                             ;   in Loop: Header=BB366_988 Depth=1
	v_lshrrev_b32_e32 v73, 3, v21
	v_cmp_gt_u32_e64 s4, 8, v21
	v_mov_b32_e32 v22, v12
	v_mov_b32_e32 v21, v11
	s_and_saveexec_b32 s20, s4
; %bb.1948:                             ;   in Loop: Header=BB366_988 Depth=1
	v_and_b32_e32 v21, 7, v20
	v_ffbh_u32_e32 v21, v21
	v_min_u32_e32 v73, 32, v21
	v_subrev_nc_u32_e32 v21, 28, v73
	v_sub_nc_u32_e32 v73, 29, v73
	v_lshlrev_b64 v[21:22], v21, v[11:12]
; %bb.1949:                             ;   in Loop: Header=BB366_988 Depth=1
	s_or_b32 exec_lo, exec_lo, s20
	v_lshlrev_b32_e32 v21, 20, v21
	v_lshlrev_b32_e32 v22, 24, v11
	v_lshl_add_u32 v73, v73, 23, 0x3c000000
	v_and_b32_e32 v21, 0x700000, v21
	v_and_b32_e32 v22, 0x80000000, v22
	v_or3_b32 v75, v21, v22, v73
.LBB366_1950:                           ;   in Loop: Header=BB366_988 Depth=1
	s_or_b32 exec_lo, exec_lo, s19
.LBB366_1951:                           ;   in Loop: Header=BB366_988 Depth=1
	s_or_b32 exec_lo, exec_lo, s18
.LBB366_1952:                           ;   in Loop: Header=BB366_988 Depth=1
	s_or_b32 exec_lo, exec_lo, s15
	v_cmp_ne_u16_sdwa s4, v11, v12 src0_sel:BYTE_1 src1_sel:DWORD
	s_and_saveexec_b32 s15, s4
	s_cbranch_execz .LBB366_1960
; %bb.1953:                             ;   in Loop: Header=BB366_988 Depth=1
	v_cmp_ne_u16_sdwa s4, v11, v66 src0_sel:BYTE_1 src1_sel:DWORD
	v_bfrev_b32_e32 v10, 1
	s_and_saveexec_b32 s18, s4
	s_cbranch_execz .LBB366_1959
; %bb.1954:                             ;   in Loop: Header=BB366_988 Depth=1
	v_mov_b32_e32 v10, 0xffff
	s_mov_b32 s19, exec_lo
	v_and_b32_sdwa v21, v10, v11 dst_sel:DWORD dst_unused:UNUSED_PAD src0_sel:DWORD src1_sel:BYTE_1
	v_mov_b32_e32 v10, 0x7f800001
	v_and_b32_e32 v73, 0x7f, v21
	v_cmpx_ne_u32_e32 0x7f, v73
	s_cbranch_execz .LBB366_1958
; %bb.1955:                             ;   in Loop: Header=BB366_988 Depth=1
	v_and_b32_e32 v21, 7, v21
	v_mov_b32_e32 v22, v12
	v_lshrrev_b32_e32 v10, 3, v73
	s_mov_b32 s20, exec_lo
	v_cmpx_gt_u32_e32 8, v73
; %bb.1956:                             ;   in Loop: Header=BB366_988 Depth=1
	v_ffbh_u32_e32 v10, v21
	v_min_u32_e32 v10, 32, v10
	v_subrev_nc_u32_e32 v73, 28, v10
	v_sub_nc_u32_e32 v10, 29, v10
	v_lshlrev_b64 v[21:22], v73, v[21:22]
	v_and_b32_e32 v21, 7, v21
; %bb.1957:                             ;   in Loop: Header=BB366_988 Depth=1
	s_or_b32 exec_lo, exec_lo, s20
	v_lshlrev_b32_e32 v11, 16, v11
	v_lshlrev_b32_e32 v21, 20, v21
	v_lshl_add_u32 v10, v10, 23, 0x3c000000
	v_and_b32_e32 v11, 0x80000000, v11
	v_or3_b32 v10, v21, v11, v10
.LBB366_1958:                           ;   in Loop: Header=BB366_988 Depth=1
	s_or_b32 exec_lo, exec_lo, s19
.LBB366_1959:                           ;   in Loop: Header=BB366_988 Depth=1
	s_or_b32 exec_lo, exec_lo, s18
.LBB366_1960:                           ;   in Loop: Header=BB366_988 Depth=1
	s_or_b32 exec_lo, exec_lo, s15
	v_and_b32_sdwa v11, v20, v68 dst_sel:DWORD dst_unused:UNUSED_PAD src0_sel:WORD_1 src1_sel:DWORD
	v_mov_b32_e32 v73, 0
	v_mov_b32_e32 v74, 0
	s_mov_b32 s15, exec_lo
	v_cmpx_ne_u16_e32 0, v11
	s_cbranch_execz .LBB366_1968
; %bb.1961:                             ;   in Loop: Header=BB366_988 Depth=1
	v_bfrev_b32_e32 v74, 1
	s_mov_b32 s18, exec_lo
	v_cmpx_ne_u16_e32 0x80, v11
	s_cbranch_execz .LBB366_1967
; %bb.1962:                             ;   in Loop: Header=BB366_988 Depth=1
	v_bfe_u32 v21, v20, 16, 7
	v_mov_b32_e32 v74, 0x7f800001
	s_mov_b32 s19, exec_lo
	v_cmpx_ne_u32_e32 0x7f, v21
	s_cbranch_execz .LBB366_1966
; %bb.1963:                             ;   in Loop: Header=BB366_988 Depth=1
	v_mov_b32_e32 v11, 7
	v_lshrrev_b32_e32 v74, 3, v21
	v_cmp_gt_u32_e64 s4, 8, v21
	v_and_b32_sdwa v11, v20, v11 dst_sel:DWORD dst_unused:UNUSED_PAD src0_sel:WORD_1 src1_sel:DWORD
	v_mov_b32_e32 v22, v12
	v_mov_b32_e32 v21, v11
	s_and_saveexec_b32 s20, s4
; %bb.1964:                             ;   in Loop: Header=BB366_988 Depth=1
	v_ffbh_u32_e32 v21, v11
	v_min_u32_e32 v74, 32, v21
	v_subrev_nc_u32_e32 v21, 28, v74
	v_sub_nc_u32_e32 v74, 29, v74
	v_lshlrev_b64 v[21:22], v21, v[11:12]
	v_and_b32_e32 v21, 7, v21
; %bb.1965:                             ;   in Loop: Header=BB366_988 Depth=1
	s_or_b32 exec_lo, exec_lo, s20
	v_mov_b32_e32 v11, 24
	v_lshlrev_b32_e32 v21, 20, v21
	v_lshl_add_u32 v22, v74, 23, 0x3c000000
	v_lshlrev_b32_sdwa v11, v11, v20 dst_sel:DWORD dst_unused:UNUSED_PAD src0_sel:DWORD src1_sel:WORD_1
	v_and_b32_e32 v11, 0x80000000, v11
	v_or3_b32 v74, v21, v11, v22
.LBB366_1966:                           ;   in Loop: Header=BB366_988 Depth=1
	s_or_b32 exec_lo, exec_lo, s19
.LBB366_1967:                           ;   in Loop: Header=BB366_988 Depth=1
	s_or_b32 exec_lo, exec_lo, s18
.LBB366_1968:                           ;   in Loop: Header=BB366_988 Depth=1
	s_or_b32 exec_lo, exec_lo, s15
	s_mov_b32 s15, exec_lo
	v_cmpx_lt_u64_e64 s[6:7], v[19:20]
	s_cbranch_execz .LBB366_1976
; %bb.1969:                             ;   in Loop: Header=BB366_988 Depth=1
	v_cmp_ne_u32_sdwa s4, v20, v66 src0_sel:BYTE_3 src1_sel:DWORD
	v_bfrev_b32_e32 v73, 1
	s_and_saveexec_b32 s18, s4
	s_cbranch_execz .LBB366_1975
; %bb.1970:                             ;   in Loop: Header=BB366_988 Depth=1
	v_bfe_u32 v21, v20, 24, 7
	v_mov_b32_e32 v73, 0x7f800001
	s_mov_b32 s19, exec_lo
	v_cmpx_ne_u32_e32 0x7f, v21
	s_cbranch_execz .LBB366_1974
; %bb.1971:                             ;   in Loop: Header=BB366_988 Depth=1
	v_mov_b32_e32 v11, 7
	v_lshrrev_b32_e32 v19, 3, v21
	v_cmp_gt_u32_e64 s4, 8, v21
	v_and_b32_sdwa v11, v20, v11 dst_sel:DWORD dst_unused:UNUSED_PAD src0_sel:BYTE_3 src1_sel:DWORD
	v_mov_b32_e32 v22, v12
	v_mov_b32_e32 v21, v11
	s_and_saveexec_b32 s20, s4
; %bb.1972:                             ;   in Loop: Header=BB366_988 Depth=1
	v_ffbh_u32_e32 v19, v11
	v_min_u32_e32 v19, 32, v19
	v_subrev_nc_u32_e32 v21, 28, v19
	v_sub_nc_u32_e32 v19, 29, v19
	v_lshlrev_b64 v[21:22], v21, v[11:12]
	v_and_b32_e32 v21, 7, v21
; %bb.1973:                             ;   in Loop: Header=BB366_988 Depth=1
	s_or_b32 exec_lo, exec_lo, s20
	v_mov_b32_e32 v11, 24
	v_lshl_add_u32 v19, v19, 23, 0x3c000000
	v_lshlrev_b32_sdwa v11, v11, v20 dst_sel:DWORD dst_unused:UNUSED_PAD src0_sel:DWORD src1_sel:BYTE_3
	v_lshlrev_b32_e32 v20, 20, v21
	v_and_b32_e32 v11, 0x80000000, v11
	v_or3_b32 v73, v20, v11, v19
.LBB366_1974:                           ;   in Loop: Header=BB366_988 Depth=1
	s_or_b32 exec_lo, exec_lo, s19
.LBB366_1975:                           ;   in Loop: Header=BB366_988 Depth=1
	s_or_b32 exec_lo, exec_lo, s18
.LBB366_1976:                           ;   in Loop: Header=BB366_988 Depth=1
	s_or_b32 exec_lo, exec_lo, s15
	v_mul_f32_e32 v10, v55, v10
	v_bfe_u32 v11, v10, 16, 1
	v_or_b32_e32 v19, 0x400000, v10
	v_cmp_u_f32_e64 s4, v10, v10
	v_add3_u32 v11, v11, v10, 0x7fff
	v_cndmask_b32_e64 v10, v11, v19, s4
	v_mul_f32_e32 v11, v55, v75
	v_lshrrev_b32_e32 v10, 16, v10
	v_bfe_u32 v19, v11, 16, 1
	v_or_b32_e32 v20, 0x400000, v11
	v_cmp_u_f32_e64 s4, v11, v11
	v_add3_u32 v19, v19, v11, 0x7fff
	v_cndmask_b32_e64 v11, v19, v20, s4
	v_mul_f32_e32 v19, v55, v72
	v_lshrrev_b32_e32 v11, 16, v11
	;; [unrolled: 7-line block ×3, first 2 shown]
	v_bfe_u32 v21, v20, 16, 1
	v_or_b32_e32 v22, 0x400000, v20
	v_cmp_u_f32_e64 s4, v20, v20
	v_add3_u32 v21, v21, v20, 0x7fff
	v_cndmask_b32_e64 v20, v21, v22, s4
	v_lshrrev_b32_e32 v21, 16, v20
	v_mul_f32_e32 v20, v55, v23
	v_bfe_u32 v22, v20, 16, 1
	v_or_b32_e32 v23, 0x400000, v20
	v_cmp_u_f32_e64 s4, v20, v20
	v_add3_u32 v22, v22, v20, 0x7fff
	v_cndmask_b32_e64 v20, v22, v23, s4
	v_lshrrev_b32_e32 v23, 16, v20
	v_mul_f32_e32 v20, v55, v24
	;; [unrolled: 7-line block ×3, first 2 shown]
	v_bfe_u32 v22, v20, 16, 1
	v_or_b32_e32 v63, 0x400000, v20
	v_cmp_u_f32_e64 s4, v20, v20
	v_add3_u32 v22, v22, v20, 0x7fff
	v_cndmask_b32_e64 v20, v22, v63, s4
	v_mul_f32_e32 v22, v55, v73
	v_lshrrev_b32_e32 v20, 16, v20
	v_bfe_u32 v63, v22, 16, 1
	v_or_b32_e32 v72, 0x400000, v22
	v_cmp_u_f32_e64 s4, v22, v22
	v_add3_u32 v63, v63, v22, 0x7fff
	v_cndmask_b32_e64 v22, v63, v72, s4
	v_lshrrev_b32_e32 v22, 16, v22
	s_and_saveexec_b32 s4, vcc_lo
	s_cbranch_execz .LBB366_987
; %bb.1977:                             ;   in Loop: Header=BB366_988 Depth=1
	v_cmp_lt_i32_e32 vcc_lo, v56, v30
	v_cndmask_b32_e32 v24, 0, v24, vcc_lo
	v_cmp_lt_i32_e32 vcc_lo, v62, v30
	v_cndmask_b32_e32 v23, 0, v23, vcc_lo
	;; [unrolled: 2-line block ×8, first 2 shown]
	s_branch .LBB366_987
.LBB366_1978:
	s_or_b32 exec_lo, exec_lo, s9
	s_clause 0x5
	buffer_load_dword v64, off, s[0:3], s32 offset:748
	buffer_load_dword v71, off, s[0:3], s32 offset:752
	;; [unrolled: 1-line block ×6, first 2 shown]
	v_mov_b32_e32 v4, s16
	v_mov_b32_e32 v5, s17
.LBB366_1979:
	s_or_b32 exec_lo, exec_lo, s5
	v_lshlrev_b64 v[0:1], 2, v[4:5]
	s_getpc_b64 s[4:5]
	s_add_u32 s4, s4, llvm.amdgcn.dynlds.offset.table@rel32@lo+4
	s_addc_u32 s5, s5, llvm.amdgcn.dynlds.offset.table@rel32@hi+12
	s_waitcnt vmcnt(0)
	s_waitcnt_vscnt null, 0x0
	s_barrier
	buffer_gl0_inv
	ds_bpermute_b32 v2, v14, v53
	v_add_co_u32 v0, vcc_lo, s4, v0
	v_add_co_ci_u32_e64 v1, null, s5, v1, vcc_lo
	ds_bpermute_b32 v3, v14, v52
	ds_bpermute_b32 v4, v14, v50
	;; [unrolled: 1-line block ×3, first 2 shown]
	global_load_dword v15, v[0:1], off
	ds_bpermute_b32 v0, v14, v51
	ds_bpermute_b32 v1, v14, v54
	;; [unrolled: 1-line block ×11, first 2 shown]
	s_waitcnt lgkmcnt(14)
	v_add_f32_e32 v2, v53, v2
	v_mul_u32_u24_e32 v18, 0x1e0, v71
	s_mov_b32 s4, exec_lo
	s_waitcnt lgkmcnt(13)
	v_add_f32_e32 v3, v52, v3
	s_waitcnt lgkmcnt(12)
	v_add_f32_e32 v4, v50, v4
	;; [unrolled: 2-line block ×14, first 2 shown]
	ds_bpermute_b32 v8, v17, v0
	ds_bpermute_b32 v9, v17, v1
	;; [unrolled: 1-line block ×15, first 2 shown]
	v_and_b32_e32 v36, 28, v55
	v_lshrrev_b32_e32 v17, 2, v55
	v_and_b32_e32 v37, 0x3c3, v64
	s_waitcnt lgkmcnt(14)
	v_add_f32_e32 v14, v0, v8
	s_waitcnt lgkmcnt(13)
	v_add_f32_e32 v13, v1, v9
	;; [unrolled: 2-line block ×15, first 2 shown]
	s_waitcnt vmcnt(0)
	v_add_nc_u32_e32 v16, v15, v36
	v_cmpx_eq_u32_e32 64, v37
	s_cbranch_execz .LBB366_1981
; %bb.1980:
	v_add_nc_u32_e32 v19, v16, v18
	v_add_nc_u32_e32 v20, 0xfffffc40, v19
	;; [unrolled: 1-line block ×6, first 2 shown]
	ds_write_b32 v20, v14
	ds_write_b32 v21, v13
	ds_write_b32 v22, v12
	ds_write_b32 v23, v11
	ds_write_b32 v24, v10
	v_add_nc_u32_e32 v20, 0xfffffce0, v19
	v_add_nc_u32_e32 v21, 0xfffffd00, v19
	;; [unrolled: 1-line block ×5, first 2 shown]
	ds_write_b32 v20, v9
	ds_write_b32 v21, v8
	;; [unrolled: 1-line block ×5, first 2 shown]
	v_add_nc_u32_e32 v20, 0xfffffd80, v19
	v_add_nc_u32_e32 v21, 0xfffffda0, v19
	;; [unrolled: 1-line block ×5, first 2 shown]
	ds_write_b32 v20, v4
	ds_write_b32 v21, v3
	;; [unrolled: 1-line block ×5, first 2 shown]
.LBB366_1981:
	s_or_b32 exec_lo, exec_lo, s4
	v_lshlrev_b32_e32 v17, 2, v17
	s_mov_b32 s5, exec_lo
	v_cmp_eq_u32_e32 vcc_lo, 0, v65
	s_waitcnt lgkmcnt(0)
	s_barrier
	v_add3_u32 v15, v15, v18, v17
	buffer_gl0_inv
	v_cmpx_gt_u32_e32 64, v64
	s_cbranch_execz .LBB366_1999
; %bb.1982:
	s_and_saveexec_b32 s4, vcc_lo
	s_cbranch_execnz .LBB366_2022
; %bb.1983:
	s_or_b32 exec_lo, exec_lo, s4
	s_and_saveexec_b32 s4, vcc_lo
	s_cbranch_execnz .LBB366_2023
.LBB366_1984:
	s_or_b32 exec_lo, exec_lo, s4
	s_and_saveexec_b32 s4, vcc_lo
	s_cbranch_execnz .LBB366_2024
.LBB366_1985:
	s_or_b32 exec_lo, exec_lo, s4
	s_and_saveexec_b32 s4, vcc_lo
	s_cbranch_execnz .LBB366_2025
.LBB366_1986:
	s_or_b32 exec_lo, exec_lo, s4
	s_and_saveexec_b32 s4, vcc_lo
	s_cbranch_execnz .LBB366_2026
.LBB366_1987:
	s_or_b32 exec_lo, exec_lo, s4
	s_and_saveexec_b32 s4, vcc_lo
	s_cbranch_execnz .LBB366_2027
.LBB366_1988:
	s_or_b32 exec_lo, exec_lo, s4
	s_and_saveexec_b32 s4, vcc_lo
	s_cbranch_execnz .LBB366_2028
.LBB366_1989:
	s_or_b32 exec_lo, exec_lo, s4
	s_and_saveexec_b32 s4, vcc_lo
	s_cbranch_execnz .LBB366_2029
.LBB366_1990:
	s_or_b32 exec_lo, exec_lo, s4
	s_and_saveexec_b32 s4, vcc_lo
	s_cbranch_execnz .LBB366_2030
.LBB366_1991:
	s_or_b32 exec_lo, exec_lo, s4
	s_and_saveexec_b32 s4, vcc_lo
	s_cbranch_execnz .LBB366_2031
.LBB366_1992:
	s_or_b32 exec_lo, exec_lo, s4
	s_and_saveexec_b32 s4, vcc_lo
	s_cbranch_execnz .LBB366_2032
.LBB366_1993:
	s_or_b32 exec_lo, exec_lo, s4
	s_and_saveexec_b32 s4, vcc_lo
	s_cbranch_execnz .LBB366_2033
.LBB366_1994:
	s_or_b32 exec_lo, exec_lo, s4
	s_and_saveexec_b32 s4, vcc_lo
	s_cbranch_execnz .LBB366_2034
.LBB366_1995:
	s_or_b32 exec_lo, exec_lo, s4
	s_and_saveexec_b32 s4, vcc_lo
	s_cbranch_execnz .LBB366_2035
.LBB366_1996:
	s_or_b32 exec_lo, exec_lo, s4
	s_and_saveexec_b32 s4, vcc_lo
	s_cbranch_execz .LBB366_1998
.LBB366_1997:
	ds_read_b32 v17, v15 offset:448
	s_waitcnt lgkmcnt(0)
	v_add_f32_e32 v0, v17, v0
.LBB366_1998:
	s_or_b32 exec_lo, exec_lo, s4
.LBB366_1999:
	s_or_b32 exec_lo, exec_lo, s5
	v_and_b32_e32 v17, 0x3e3, v64
	s_mov_b32 s5, exec_lo
	s_barrier
	buffer_gl0_inv
	v_cmpx_eq_u32_e32 32, v17
	s_cbranch_execz .LBB366_2001
; %bb.2000:
	ds_write2_b32 v16, v14, v13 offset1:8
	ds_write2_b32 v16, v12, v11 offset0:16 offset1:24
	ds_write2_b32 v16, v10, v9 offset0:32 offset1:40
	;; [unrolled: 1-line block ×6, first 2 shown]
	ds_write_b32 v16, v0 offset:448
.LBB366_2001:
	s_or_b32 exec_lo, exec_lo, s5
	s_mov_b32 s5, exec_lo
	s_waitcnt lgkmcnt(0)
	s_barrier
	buffer_gl0_inv
	v_cmpx_gt_u32_e32 32, v64
	s_cbranch_execz .LBB366_2019
; %bb.2002:
	s_and_saveexec_b32 s4, vcc_lo
	s_cbranch_execnz .LBB366_2036
; %bb.2003:
	s_or_b32 exec_lo, exec_lo, s4
	s_and_saveexec_b32 s4, vcc_lo
	s_cbranch_execnz .LBB366_2037
.LBB366_2004:
	s_or_b32 exec_lo, exec_lo, s4
	s_and_saveexec_b32 s4, vcc_lo
	s_cbranch_execnz .LBB366_2038
.LBB366_2005:
	s_or_b32 exec_lo, exec_lo, s4
	s_and_saveexec_b32 s4, vcc_lo
	s_cbranch_execnz .LBB366_2039
.LBB366_2006:
	s_or_b32 exec_lo, exec_lo, s4
	s_and_saveexec_b32 s4, vcc_lo
	s_cbranch_execnz .LBB366_2040
.LBB366_2007:
	s_or_b32 exec_lo, exec_lo, s4
	s_and_saveexec_b32 s4, vcc_lo
	s_cbranch_execnz .LBB366_2041
.LBB366_2008:
	s_or_b32 exec_lo, exec_lo, s4
	s_and_saveexec_b32 s4, vcc_lo
	s_cbranch_execnz .LBB366_2042
.LBB366_2009:
	s_or_b32 exec_lo, exec_lo, s4
	s_and_saveexec_b32 s4, vcc_lo
	s_cbranch_execnz .LBB366_2043
.LBB366_2010:
	s_or_b32 exec_lo, exec_lo, s4
	s_and_saveexec_b32 s4, vcc_lo
	s_cbranch_execnz .LBB366_2044
.LBB366_2011:
	s_or_b32 exec_lo, exec_lo, s4
	s_and_saveexec_b32 s4, vcc_lo
	s_cbranch_execnz .LBB366_2045
.LBB366_2012:
	s_or_b32 exec_lo, exec_lo, s4
	s_and_saveexec_b32 s4, vcc_lo
	s_cbranch_execnz .LBB366_2046
.LBB366_2013:
	s_or_b32 exec_lo, exec_lo, s4
	s_and_saveexec_b32 s4, vcc_lo
	s_cbranch_execnz .LBB366_2047
.LBB366_2014:
	s_or_b32 exec_lo, exec_lo, s4
	s_and_saveexec_b32 s4, vcc_lo
	s_cbranch_execnz .LBB366_2048
.LBB366_2015:
	s_or_b32 exec_lo, exec_lo, s4
	s_and_saveexec_b32 s4, vcc_lo
	s_cbranch_execnz .LBB366_2049
.LBB366_2016:
	s_or_b32 exec_lo, exec_lo, s4
	s_and_saveexec_b32 s4, vcc_lo
	s_cbranch_execz .LBB366_2018
.LBB366_2017:
	ds_read_b32 v15, v15 offset:448
	s_waitcnt lgkmcnt(0)
	v_add_f32_e32 v0, v15, v0
.LBB366_2018:
	s_or_b32 exec_lo, exec_lo, s4
.LBB366_2019:
	s_or_b32 exec_lo, exec_lo, s5
	s_mov_b32 s4, exec_lo
	s_barrier
	buffer_gl0_inv
	v_cmpx_eq_u32_e32 0, v17
	s_cbranch_execz .LBB366_2021
; %bb.2020:
	s_clause 0x1
	buffer_load_dword v19, off, s[0:3], s32 offset:764
	buffer_load_dword v20, off, s[0:3], s32 offset:760
	s_and_b32 s5, 0xffff, s8
	s_mul_i32 s6, s14, 0x78
	s_cmp_lg_u32 s5, 0
	v_lshrrev_b32_e32 v15, 1, v64
	s_cselect_b32 s5, -1, 0
	v_bfe_u32 v16, v14, 16, 1
	s_cmp_lg_u32 s5, 0
	v_or_b32_e32 v17, 0x400000, v14
	s_addc_u32 s5, s13, 0
	v_bfe_u32 v18, v13, 16, 1
	s_mul_i32 s7, s5, s10
	s_mul_i32 s10, s12, s5
	;; [unrolled: 1-line block ×3, first 2 shown]
	s_ashr_i32 s11, s10, 31
	s_mulk_i32 s8, 0x78
	s_ashr_i32 s7, s6, 31
	s_ashr_i32 s9, s8, 31
	s_lshl_b64 s[6:7], s[6:7], 1
	s_lshl_b64 s[8:9], s[8:9], 1
	v_add3_u32 v21, v16, v14, 0x7fff
	v_add3_u32 v18, v18, v13, 0x7fff
	s_waitcnt vmcnt(1)
	v_add_co_u32 v19, vcc_lo, v19, s8
	s_waitcnt vmcnt(0)
	v_add_co_ci_u32_e64 v20, null, s9, v20, vcc_lo
	s_lshl_b64 s[8:9], s[10:11], 1
	v_add_co_u32 v19, vcc_lo, v19, s8
	v_add_co_ci_u32_e64 v20, null, s9, v20, vcc_lo
	v_add_co_u32 v19, vcc_lo, v19, s6
	v_add_co_ci_u32_e64 v20, null, s7, v20, vcc_lo
	;; [unrolled: 2-line block ×3, first 2 shown]
	v_cmp_u_f32_e32 vcc_lo, v14, v14
	v_or_b32_e32 v19, 0x400000, v13
	v_cndmask_b32_e32 v14, v21, v17, vcc_lo
	v_bfe_u32 v17, v12, 16, 1
	v_cmp_u_f32_e32 vcc_lo, v13, v13
	flat_store_short_d16_hi v[15:16], v14
	v_add3_u32 v14, v17, v12, 0x7fff
	v_cndmask_b32_e32 v13, v18, v19, vcc_lo
	v_bfe_u32 v18, v11, 16, 1
	v_or_b32_e32 v17, 0x400000, v12
	v_cmp_u_f32_e32 vcc_lo, v12, v12
	flat_store_short_d16_hi v[15:16], v13 offset:16
	v_add3_u32 v13, v18, v11, 0x7fff
	v_or_b32_e32 v18, 0x400000, v11
	v_cndmask_b32_e32 v12, v14, v17, vcc_lo
	v_bfe_u32 v14, v10, 16, 1
	v_cmp_u_f32_e32 vcc_lo, v11, v11
	flat_store_short_d16_hi v[15:16], v12 offset:32
	v_add3_u32 v12, v14, v10, 0x7fff
	v_cndmask_b32_e32 v11, v13, v18, vcc_lo
	v_bfe_u32 v13, v9, 16, 1
	v_or_b32_e32 v14, 0x400000, v10
	v_cmp_u_f32_e32 vcc_lo, v10, v10
	flat_store_short_d16_hi v[15:16], v11 offset:48
	v_add3_u32 v11, v13, v9, 0x7fff
	v_or_b32_e32 v13, 0x400000, v9
	v_cndmask_b32_e32 v10, v12, v14, vcc_lo
	v_bfe_u32 v12, v8, 16, 1
	v_cmp_u_f32_e32 vcc_lo, v9, v9
	flat_store_short_d16_hi v[15:16], v10 offset:64
	;; [unrolled: 12-line block ×3, first 2 shown]
	v_add3_u32 v8, v10, v6, 0x7fff
	v_cndmask_b32_e32 v7, v9, v11, vcc_lo
	v_bfe_u32 v9, v5, 16, 1
	v_or_b32_e32 v10, 0x400000, v6
	v_cmp_u_f32_e32 vcc_lo, v6, v6
	flat_store_short_d16_hi v[15:16], v7 offset:112
	v_add3_u32 v7, v9, v5, 0x7fff
	v_or_b32_e32 v9, 0x400000, v5
	v_cndmask_b32_e32 v6, v8, v10, vcc_lo
	v_bfe_u32 v8, v4, 16, 1
	v_cmp_u_f32_e32 vcc_lo, v5, v5
	v_or_b32_e32 v10, 0x400000, v0
	flat_store_short_d16_hi v[15:16], v6 offset:128
	v_add3_u32 v6, v8, v4, 0x7fff
	v_cndmask_b32_e32 v5, v7, v9, vcc_lo
	v_bfe_u32 v7, v3, 16, 1
	v_or_b32_e32 v8, 0x400000, v4
	v_cmp_u_f32_e32 vcc_lo, v4, v4
	v_or_b32_e32 v9, 0x400000, v1
	flat_store_short_d16_hi v[15:16], v5 offset:144
	v_add3_u32 v5, v7, v3, 0x7fff
	v_or_b32_e32 v7, 0x400000, v3
	v_cndmask_b32_e32 v4, v6, v8, vcc_lo
	v_bfe_u32 v6, v2, 16, 1
	v_cmp_u_f32_e32 vcc_lo, v3, v3
	v_bfe_u32 v8, v1, 16, 1
	v_add3_u32 v6, v6, v2, 0x7fff
	v_cndmask_b32_e32 v3, v5, v7, vcc_lo
	v_or_b32_e32 v7, 0x400000, v2
	v_cmp_u_f32_e32 vcc_lo, v2, v2
	v_bfe_u32 v5, v0, 16, 1
	v_add3_u32 v8, v8, v1, 0x7fff
	v_cndmask_b32_e32 v2, v6, v7, vcc_lo
	v_cmp_u_f32_e32 vcc_lo, v1, v1
	v_add3_u32 v5, v5, v0, 0x7fff
	v_cndmask_b32_e32 v1, v8, v9, vcc_lo
	v_cmp_u_f32_e32 vcc_lo, v0, v0
	v_cndmask_b32_e32 v0, v5, v10, vcc_lo
	flat_store_short_d16_hi v[15:16], v4 offset:160
	flat_store_short_d16_hi v[15:16], v3 offset:176
	;; [unrolled: 1-line block ×5, first 2 shown]
.LBB366_2021:
	s_or_b32 exec_lo, exec_lo, s4
	s_clause 0x2f
	buffer_load_dword v127, off, s[0:3], s32
	buffer_load_dword v126, off, s[0:3], s32 offset:4
	buffer_load_dword v125, off, s[0:3], s32 offset:8
	;; [unrolled: 1-line block ×47, first 2 shown]
	s_waitcnt vmcnt(0) lgkmcnt(0)
	s_setpc_b64 s[30:31]
.LBB366_2022:
	ds_read_b32 v17, v15
	s_waitcnt lgkmcnt(0)
	v_add_f32_e32 v14, v17, v14
	s_or_b32 exec_lo, exec_lo, s4
	s_and_saveexec_b32 s4, vcc_lo
	s_cbranch_execz .LBB366_1984
.LBB366_2023:
	ds_read_b32 v17, v15 offset:32
	s_waitcnt lgkmcnt(0)
	v_add_f32_e32 v13, v17, v13
	s_or_b32 exec_lo, exec_lo, s4
	s_and_saveexec_b32 s4, vcc_lo
	s_cbranch_execz .LBB366_1985
.LBB366_2024:
	ds_read_b32 v17, v15 offset:64
	s_waitcnt lgkmcnt(0)
	v_add_f32_e32 v12, v17, v12
	s_or_b32 exec_lo, exec_lo, s4
	s_and_saveexec_b32 s4, vcc_lo
	s_cbranch_execz .LBB366_1986
.LBB366_2025:
	ds_read_b32 v17, v15 offset:96
	s_waitcnt lgkmcnt(0)
	v_add_f32_e32 v11, v17, v11
	s_or_b32 exec_lo, exec_lo, s4
	s_and_saveexec_b32 s4, vcc_lo
	s_cbranch_execz .LBB366_1987
.LBB366_2026:
	ds_read_b32 v17, v15 offset:128
	s_waitcnt lgkmcnt(0)
	v_add_f32_e32 v10, v17, v10
	s_or_b32 exec_lo, exec_lo, s4
	s_and_saveexec_b32 s4, vcc_lo
	s_cbranch_execz .LBB366_1988
.LBB366_2027:
	ds_read_b32 v17, v15 offset:160
	s_waitcnt lgkmcnt(0)
	v_add_f32_e32 v9, v17, v9
	s_or_b32 exec_lo, exec_lo, s4
	s_and_saveexec_b32 s4, vcc_lo
	s_cbranch_execz .LBB366_1989
.LBB366_2028:
	ds_read_b32 v17, v15 offset:192
	s_waitcnt lgkmcnt(0)
	v_add_f32_e32 v8, v17, v8
	s_or_b32 exec_lo, exec_lo, s4
	s_and_saveexec_b32 s4, vcc_lo
	s_cbranch_execz .LBB366_1990
.LBB366_2029:
	ds_read_b32 v17, v15 offset:224
	s_waitcnt lgkmcnt(0)
	v_add_f32_e32 v7, v17, v7
	s_or_b32 exec_lo, exec_lo, s4
	s_and_saveexec_b32 s4, vcc_lo
	s_cbranch_execz .LBB366_1991
.LBB366_2030:
	ds_read_b32 v17, v15 offset:256
	s_waitcnt lgkmcnt(0)
	v_add_f32_e32 v6, v17, v6
	s_or_b32 exec_lo, exec_lo, s4
	s_and_saveexec_b32 s4, vcc_lo
	s_cbranch_execz .LBB366_1992
.LBB366_2031:
	ds_read_b32 v17, v15 offset:288
	s_waitcnt lgkmcnt(0)
	v_add_f32_e32 v5, v17, v5
	s_or_b32 exec_lo, exec_lo, s4
	s_and_saveexec_b32 s4, vcc_lo
	s_cbranch_execz .LBB366_1993
.LBB366_2032:
	ds_read_b32 v17, v15 offset:320
	s_waitcnt lgkmcnt(0)
	v_add_f32_e32 v4, v17, v4
	s_or_b32 exec_lo, exec_lo, s4
	s_and_saveexec_b32 s4, vcc_lo
	s_cbranch_execz .LBB366_1994
.LBB366_2033:
	ds_read_b32 v17, v15 offset:352
	s_waitcnt lgkmcnt(0)
	v_add_f32_e32 v3, v17, v3
	s_or_b32 exec_lo, exec_lo, s4
	s_and_saveexec_b32 s4, vcc_lo
	s_cbranch_execz .LBB366_1995
.LBB366_2034:
	ds_read_b32 v17, v15 offset:384
	s_waitcnt lgkmcnt(0)
	v_add_f32_e32 v2, v17, v2
	s_or_b32 exec_lo, exec_lo, s4
	s_and_saveexec_b32 s4, vcc_lo
	s_cbranch_execz .LBB366_1996
.LBB366_2035:
	ds_read_b32 v17, v15 offset:416
	s_waitcnt lgkmcnt(0)
	v_add_f32_e32 v1, v17, v1
	s_or_b32 exec_lo, exec_lo, s4
	s_and_saveexec_b32 s4, vcc_lo
	s_cbranch_execnz .LBB366_1997
	s_branch .LBB366_1998
.LBB366_2036:
	ds_read_b32 v16, v15
	s_waitcnt lgkmcnt(0)
	v_add_f32_e32 v14, v16, v14
	s_or_b32 exec_lo, exec_lo, s4
	s_and_saveexec_b32 s4, vcc_lo
	s_cbranch_execz .LBB366_2004
.LBB366_2037:
	ds_read_b32 v16, v15 offset:32
	s_waitcnt lgkmcnt(0)
	v_add_f32_e32 v13, v16, v13
	s_or_b32 exec_lo, exec_lo, s4
	s_and_saveexec_b32 s4, vcc_lo
	s_cbranch_execz .LBB366_2005
.LBB366_2038:
	ds_read_b32 v16, v15 offset:64
	s_waitcnt lgkmcnt(0)
	v_add_f32_e32 v12, v16, v12
	s_or_b32 exec_lo, exec_lo, s4
	s_and_saveexec_b32 s4, vcc_lo
	s_cbranch_execz .LBB366_2006
.LBB366_2039:
	ds_read_b32 v16, v15 offset:96
	s_waitcnt lgkmcnt(0)
	v_add_f32_e32 v11, v16, v11
	s_or_b32 exec_lo, exec_lo, s4
	s_and_saveexec_b32 s4, vcc_lo
	s_cbranch_execz .LBB366_2007
.LBB366_2040:
	ds_read_b32 v16, v15 offset:128
	s_waitcnt lgkmcnt(0)
	v_add_f32_e32 v10, v16, v10
	s_or_b32 exec_lo, exec_lo, s4
	s_and_saveexec_b32 s4, vcc_lo
	s_cbranch_execz .LBB366_2008
.LBB366_2041:
	ds_read_b32 v16, v15 offset:160
	s_waitcnt lgkmcnt(0)
	v_add_f32_e32 v9, v16, v9
	s_or_b32 exec_lo, exec_lo, s4
	s_and_saveexec_b32 s4, vcc_lo
	s_cbranch_execz .LBB366_2009
.LBB366_2042:
	ds_read_b32 v16, v15 offset:192
	s_waitcnt lgkmcnt(0)
	v_add_f32_e32 v8, v16, v8
	s_or_b32 exec_lo, exec_lo, s4
	s_and_saveexec_b32 s4, vcc_lo
	s_cbranch_execz .LBB366_2010
.LBB366_2043:
	ds_read_b32 v16, v15 offset:224
	s_waitcnt lgkmcnt(0)
	v_add_f32_e32 v7, v16, v7
	s_or_b32 exec_lo, exec_lo, s4
	s_and_saveexec_b32 s4, vcc_lo
	s_cbranch_execz .LBB366_2011
.LBB366_2044:
	ds_read_b32 v16, v15 offset:256
	s_waitcnt lgkmcnt(0)
	v_add_f32_e32 v6, v16, v6
	s_or_b32 exec_lo, exec_lo, s4
	s_and_saveexec_b32 s4, vcc_lo
	s_cbranch_execz .LBB366_2012
.LBB366_2045:
	ds_read_b32 v16, v15 offset:288
	s_waitcnt lgkmcnt(0)
	v_add_f32_e32 v5, v16, v5
	s_or_b32 exec_lo, exec_lo, s4
	s_and_saveexec_b32 s4, vcc_lo
	s_cbranch_execz .LBB366_2013
.LBB366_2046:
	ds_read_b32 v16, v15 offset:320
	s_waitcnt lgkmcnt(0)
	v_add_f32_e32 v4, v16, v4
	s_or_b32 exec_lo, exec_lo, s4
	s_and_saveexec_b32 s4, vcc_lo
	s_cbranch_execz .LBB366_2014
.LBB366_2047:
	ds_read_b32 v16, v15 offset:352
	s_waitcnt lgkmcnt(0)
	v_add_f32_e32 v3, v16, v3
	s_or_b32 exec_lo, exec_lo, s4
	s_and_saveexec_b32 s4, vcc_lo
	s_cbranch_execz .LBB366_2015
.LBB366_2048:
	ds_read_b32 v16, v15 offset:384
	s_waitcnt lgkmcnt(0)
	v_add_f32_e32 v2, v16, v2
	s_or_b32 exec_lo, exec_lo, s4
	s_and_saveexec_b32 s4, vcc_lo
	s_cbranch_execz .LBB366_2016
.LBB366_2049:
	ds_read_b32 v16, v15 offset:416
	s_waitcnt lgkmcnt(0)
	v_add_f32_e32 v1, v16, v1
	s_or_b32 exec_lo, exec_lo, s4
	s_and_saveexec_b32 s4, vcc_lo
	s_cbranch_execnz .LBB366_2017
	s_branch .LBB366_2018
.Lfunc_end366:
	.size	_ZN4vllm22paged_attention_kernelI14__hip_bfloat16hLi120ELi32ELi128ELNS_18Fp8KVCacheDataTypeE1ELb0ELi0EEEvPfS3_PT_PKS4_PKT0_SA_ifPKiSC_iPKfiiiSE_SE_iiiii, .Lfunc_end366-_ZN4vllm22paged_attention_kernelI14__hip_bfloat16hLi120ELi32ELi128ELNS_18Fp8KVCacheDataTypeE1ELb0ELi0EEEvPfS3_PT_PKS4_PKT0_SA_ifPKiSC_iPKfiiiSE_SE_iiiii
                                        ; -- End function
	.set .L_ZN4vllm22paged_attention_kernelI14__hip_bfloat16hLi120ELi32ELi128ELNS_18Fp8KVCacheDataTypeE1ELb0ELi0EEEvPfS3_PT_PKS4_PKT0_SA_ifPKiSC_iPKfiiiSE_SE_iiiii.num_vgpr, 128
	.set .L_ZN4vllm22paged_attention_kernelI14__hip_bfloat16hLi120ELi32ELi128ELNS_18Fp8KVCacheDataTypeE1ELb0ELi0EEEvPfS3_PT_PKS4_PKT0_SA_ifPKiSC_iPKfiiiSE_SE_iiiii.num_agpr, 0
	.set .L_ZN4vllm22paged_attention_kernelI14__hip_bfloat16hLi120ELi32ELi128ELNS_18Fp8KVCacheDataTypeE1ELb0ELi0EEEvPfS3_PT_PKS4_PKT0_SA_ifPKiSC_iPKfiiiSE_SE_iiiii.numbered_sgpr, 33
	.set .L_ZN4vllm22paged_attention_kernelI14__hip_bfloat16hLi120ELi32ELi128ELNS_18Fp8KVCacheDataTypeE1ELb0ELi0EEEvPfS3_PT_PKS4_PKT0_SA_ifPKiSC_iPKfiiiSE_SE_iiiii.num_named_barrier, 0
	.set .L_ZN4vllm22paged_attention_kernelI14__hip_bfloat16hLi120ELi32ELi128ELNS_18Fp8KVCacheDataTypeE1ELb0ELi0EEEvPfS3_PT_PKS4_PKT0_SA_ifPKiSC_iPKfiiiSE_SE_iiiii.private_seg_size, 820
	.set .L_ZN4vllm22paged_attention_kernelI14__hip_bfloat16hLi120ELi32ELi128ELNS_18Fp8KVCacheDataTypeE1ELb0ELi0EEEvPfS3_PT_PKS4_PKT0_SA_ifPKiSC_iPKfiiiSE_SE_iiiii.uses_vcc, 1
	.set .L_ZN4vllm22paged_attention_kernelI14__hip_bfloat16hLi120ELi32ELi128ELNS_18Fp8KVCacheDataTypeE1ELb0ELi0EEEvPfS3_PT_PKS4_PKT0_SA_ifPKiSC_iPKfiiiSE_SE_iiiii.uses_flat_scratch, 0
	.set .L_ZN4vllm22paged_attention_kernelI14__hip_bfloat16hLi120ELi32ELi128ELNS_18Fp8KVCacheDataTypeE1ELb0ELi0EEEvPfS3_PT_PKS4_PKT0_SA_ifPKiSC_iPKfiiiSE_SE_iiiii.has_dyn_sized_stack, 0
	.set .L_ZN4vllm22paged_attention_kernelI14__hip_bfloat16hLi120ELi32ELi128ELNS_18Fp8KVCacheDataTypeE1ELb0ELi0EEEvPfS3_PT_PKS4_PKT0_SA_ifPKiSC_iPKfiiiSE_SE_iiiii.has_recursion, 0
	.set .L_ZN4vllm22paged_attention_kernelI14__hip_bfloat16hLi120ELi32ELi128ELNS_18Fp8KVCacheDataTypeE1ELb0ELi0EEEvPfS3_PT_PKS4_PKT0_SA_ifPKiSC_iPKfiiiSE_SE_iiiii.has_indirect_call, 0
	.section	.AMDGPU.csdata,"",@progbits
; Function info:
; codeLenInByte = 81936
; TotalNumSgprs: 35
; NumVgprs: 128
; ScratchSize: 820
; MemoryBound: 0
	.section	.text._ZN4vllm25paged_attention_v1_kernelI14__hip_bfloat16hLi120ELi32ELi128ELNS_18Fp8KVCacheDataTypeE1ELb0EEEvPT_PKS3_PKT0_S9_ifPKiSB_iPKfiiiSD_SD_iiiii,"axG",@progbits,_ZN4vllm25paged_attention_v1_kernelI14__hip_bfloat16hLi120ELi32ELi128ELNS_18Fp8KVCacheDataTypeE1ELb0EEEvPT_PKS3_PKT0_S9_ifPKiSB_iPKfiiiSD_SD_iiiii,comdat
	.protected	_ZN4vllm25paged_attention_v1_kernelI14__hip_bfloat16hLi120ELi32ELi128ELNS_18Fp8KVCacheDataTypeE1ELb0EEEvPT_PKS3_PKT0_S9_ifPKiSB_iPKfiiiSD_SD_iiiii ; -- Begin function _ZN4vllm25paged_attention_v1_kernelI14__hip_bfloat16hLi120ELi32ELi128ELNS_18Fp8KVCacheDataTypeE1ELb0EEEvPT_PKS3_PKT0_S9_ifPKiSB_iPKfiiiSD_SD_iiiii
	.globl	_ZN4vllm25paged_attention_v1_kernelI14__hip_bfloat16hLi120ELi32ELi128ELNS_18Fp8KVCacheDataTypeE1ELb0EEEvPT_PKS3_PKT0_S9_ifPKiSB_iPKfiiiSD_SD_iiiii
	.p2align	8
	.type	_ZN4vllm25paged_attention_v1_kernelI14__hip_bfloat16hLi120ELi32ELi128ELNS_18Fp8KVCacheDataTypeE1ELb0EEEvPT_PKS3_PKT0_S9_ifPKiSB_iPKfiiiSD_SD_iiiii,@function
_ZN4vllm25paged_attention_v1_kernelI14__hip_bfloat16hLi120ELi32ELi128ELNS_18Fp8KVCacheDataTypeE1ELb0EEEvPT_PKS3_PKT0_S9_ifPKiSB_iPKfiiiSD_SD_iiiii: ; @_ZN4vllm25paged_attention_v1_kernelI14__hip_bfloat16hLi120ELi32ELi128ELNS_18Fp8KVCacheDataTypeE1ELb0EEEvPT_PKS3_PKT0_S9_ifPKiSB_iPKfiiiSD_SD_iiiii
; %bb.0:
	s_clause 0x5
	s_load_dwordx8 s[16:23], s[4:5], 0x0
	s_load_dwordx4 s[36:39], s[4:5], 0x20
	s_load_dwordx2 s[10:11], s[4:5], 0x30
	s_load_dword s13, s[4:5], 0x38
	s_load_dwordx2 s[34:35], s[4:5], 0x40
	s_load_dwordx8 s[24:31], s[4:5], 0x48
	s_add_u32 s0, s0, s9
	s_addc_u32 s1, s1, 0
	v_mov_b32_e32 v31, v0
	s_mov_b32 s14, s8
	s_add_u32 s8, s4, 0x80
	s_addc_u32 s9, s5, 0
	s_getpc_b64 s[4:5]
	s_add_u32 s4, s4, _ZN4vllm22paged_attention_kernelI14__hip_bfloat16hLi120ELi32ELi128ELNS_18Fp8KVCacheDataTypeE1ELb0ELi0EEEvPfS3_PT_PKS4_PKT0_SA_ifPKiSC_iPKfiiiSE_SE_iiiii@rel32@lo+4
	s_addc_u32 s5, s5, _ZN4vllm22paged_attention_kernelI14__hip_bfloat16hLi120ELi32ELi128ELNS_18Fp8KVCacheDataTypeE1ELb0ELi0EEEvPfS3_PT_PKS4_PKT0_SA_ifPKiSC_iPKfiiiSE_SE_iiiii@rel32@hi+12
	s_mov_b32 s12, s6
	s_mov_b32 s15, 2
	;; [unrolled: 1-line block ×3, first 2 shown]
	s_waitcnt lgkmcnt(0)
	v_mov_b32_e32 v0, s16
	v_mov_b32_e32 v1, s17
	;; [unrolled: 1-line block ×24, first 2 shown]
	s_mov_b32 s13, s7
	s_swappc_b64 s[30:31], s[4:5]
	s_endpgm
	.section	.rodata,"a",@progbits
	.p2align	6, 0x0
	.amdhsa_kernel _ZN4vllm25paged_attention_v1_kernelI14__hip_bfloat16hLi120ELi32ELi128ELNS_18Fp8KVCacheDataTypeE1ELb0EEEvPT_PKS3_PKT0_S9_ifPKiSB_iPKfiiiSD_SD_iiiii
		.amdhsa_group_segment_fixed_size 272
		.amdhsa_private_segment_fixed_size 820
		.amdhsa_kernarg_size 384
		.amdhsa_user_sgpr_count 6
		.amdhsa_user_sgpr_private_segment_buffer 1
		.amdhsa_user_sgpr_dispatch_ptr 0
		.amdhsa_user_sgpr_queue_ptr 0
		.amdhsa_user_sgpr_kernarg_segment_ptr 1
		.amdhsa_user_sgpr_dispatch_id 0
		.amdhsa_user_sgpr_flat_scratch_init 0
		.amdhsa_user_sgpr_private_segment_size 0
		.amdhsa_wavefront_size32 1
		.amdhsa_uses_dynamic_stack 0
		.amdhsa_system_sgpr_private_segment_wavefront_offset 1
		.amdhsa_system_sgpr_workgroup_id_x 1
		.amdhsa_system_sgpr_workgroup_id_y 1
		.amdhsa_system_sgpr_workgroup_id_z 1
		.amdhsa_system_sgpr_workgroup_info 0
		.amdhsa_system_vgpr_workitem_id 0
		.amdhsa_next_free_vgpr 128
		.amdhsa_next_free_sgpr 40
		.amdhsa_reserve_vcc 1
		.amdhsa_reserve_flat_scratch 0
		.amdhsa_float_round_mode_32 0
		.amdhsa_float_round_mode_16_64 0
		.amdhsa_float_denorm_mode_32 3
		.amdhsa_float_denorm_mode_16_64 3
		.amdhsa_dx10_clamp 1
		.amdhsa_ieee_mode 1
		.amdhsa_fp16_overflow 0
		.amdhsa_workgroup_processor_mode 1
		.amdhsa_memory_ordered 1
		.amdhsa_forward_progress 1
		.amdhsa_shared_vgpr_count 0
		.amdhsa_exception_fp_ieee_invalid_op 0
		.amdhsa_exception_fp_denorm_src 0
		.amdhsa_exception_fp_ieee_div_zero 0
		.amdhsa_exception_fp_ieee_overflow 0
		.amdhsa_exception_fp_ieee_underflow 0
		.amdhsa_exception_fp_ieee_inexact 0
		.amdhsa_exception_int_div_zero 0
	.end_amdhsa_kernel
	.section	.text._ZN4vllm25paged_attention_v1_kernelI14__hip_bfloat16hLi120ELi32ELi128ELNS_18Fp8KVCacheDataTypeE1ELb0EEEvPT_PKS3_PKT0_S9_ifPKiSB_iPKfiiiSD_SD_iiiii,"axG",@progbits,_ZN4vllm25paged_attention_v1_kernelI14__hip_bfloat16hLi120ELi32ELi128ELNS_18Fp8KVCacheDataTypeE1ELb0EEEvPT_PKS3_PKT0_S9_ifPKiSB_iPKfiiiSD_SD_iiiii,comdat
.Lfunc_end367:
	.size	_ZN4vllm25paged_attention_v1_kernelI14__hip_bfloat16hLi120ELi32ELi128ELNS_18Fp8KVCacheDataTypeE1ELb0EEEvPT_PKS3_PKT0_S9_ifPKiSB_iPKfiiiSD_SD_iiiii, .Lfunc_end367-_ZN4vllm25paged_attention_v1_kernelI14__hip_bfloat16hLi120ELi32ELi128ELNS_18Fp8KVCacheDataTypeE1ELb0EEEvPT_PKS3_PKT0_S9_ifPKiSB_iPKfiiiSD_SD_iiiii
                                        ; -- End function
	.set _ZN4vllm25paged_attention_v1_kernelI14__hip_bfloat16hLi120ELi32ELi128ELNS_18Fp8KVCacheDataTypeE1ELb0EEEvPT_PKS3_PKT0_S9_ifPKiSB_iPKfiiiSD_SD_iiiii.num_vgpr, max(32, .L_ZN4vllm22paged_attention_kernelI14__hip_bfloat16hLi120ELi32ELi128ELNS_18Fp8KVCacheDataTypeE1ELb0ELi0EEEvPfS3_PT_PKS4_PKT0_SA_ifPKiSC_iPKfiiiSE_SE_iiiii.num_vgpr)
	.set _ZN4vllm25paged_attention_v1_kernelI14__hip_bfloat16hLi120ELi32ELi128ELNS_18Fp8KVCacheDataTypeE1ELb0EEEvPT_PKS3_PKT0_S9_ifPKiSB_iPKfiiiSD_SD_iiiii.num_agpr, max(0, .L_ZN4vllm22paged_attention_kernelI14__hip_bfloat16hLi120ELi32ELi128ELNS_18Fp8KVCacheDataTypeE1ELb0ELi0EEEvPfS3_PT_PKS4_PKT0_SA_ifPKiSC_iPKfiiiSE_SE_iiiii.num_agpr)
	.set _ZN4vllm25paged_attention_v1_kernelI14__hip_bfloat16hLi120ELi32ELi128ELNS_18Fp8KVCacheDataTypeE1ELb0EEEvPT_PKS3_PKT0_S9_ifPKiSB_iPKfiiiSD_SD_iiiii.numbered_sgpr, max(40, .L_ZN4vllm22paged_attention_kernelI14__hip_bfloat16hLi120ELi32ELi128ELNS_18Fp8KVCacheDataTypeE1ELb0ELi0EEEvPfS3_PT_PKS4_PKT0_SA_ifPKiSC_iPKfiiiSE_SE_iiiii.numbered_sgpr)
	.set _ZN4vllm25paged_attention_v1_kernelI14__hip_bfloat16hLi120ELi32ELi128ELNS_18Fp8KVCacheDataTypeE1ELb0EEEvPT_PKS3_PKT0_S9_ifPKiSB_iPKfiiiSD_SD_iiiii.num_named_barrier, max(0, .L_ZN4vllm22paged_attention_kernelI14__hip_bfloat16hLi120ELi32ELi128ELNS_18Fp8KVCacheDataTypeE1ELb0ELi0EEEvPfS3_PT_PKS4_PKT0_SA_ifPKiSC_iPKfiiiSE_SE_iiiii.num_named_barrier)
	.set _ZN4vllm25paged_attention_v1_kernelI14__hip_bfloat16hLi120ELi32ELi128ELNS_18Fp8KVCacheDataTypeE1ELb0EEEvPT_PKS3_PKT0_S9_ifPKiSB_iPKfiiiSD_SD_iiiii.private_seg_size, 0+max(.L_ZN4vllm22paged_attention_kernelI14__hip_bfloat16hLi120ELi32ELi128ELNS_18Fp8KVCacheDataTypeE1ELb0ELi0EEEvPfS3_PT_PKS4_PKT0_SA_ifPKiSC_iPKfiiiSE_SE_iiiii.private_seg_size)
	.set _ZN4vllm25paged_attention_v1_kernelI14__hip_bfloat16hLi120ELi32ELi128ELNS_18Fp8KVCacheDataTypeE1ELb0EEEvPT_PKS3_PKT0_S9_ifPKiSB_iPKfiiiSD_SD_iiiii.uses_vcc, or(1, .L_ZN4vllm22paged_attention_kernelI14__hip_bfloat16hLi120ELi32ELi128ELNS_18Fp8KVCacheDataTypeE1ELb0ELi0EEEvPfS3_PT_PKS4_PKT0_SA_ifPKiSC_iPKfiiiSE_SE_iiiii.uses_vcc)
	.set _ZN4vllm25paged_attention_v1_kernelI14__hip_bfloat16hLi120ELi32ELi128ELNS_18Fp8KVCacheDataTypeE1ELb0EEEvPT_PKS3_PKT0_S9_ifPKiSB_iPKfiiiSD_SD_iiiii.uses_flat_scratch, or(0, .L_ZN4vllm22paged_attention_kernelI14__hip_bfloat16hLi120ELi32ELi128ELNS_18Fp8KVCacheDataTypeE1ELb0ELi0EEEvPfS3_PT_PKS4_PKT0_SA_ifPKiSC_iPKfiiiSE_SE_iiiii.uses_flat_scratch)
	.set _ZN4vllm25paged_attention_v1_kernelI14__hip_bfloat16hLi120ELi32ELi128ELNS_18Fp8KVCacheDataTypeE1ELb0EEEvPT_PKS3_PKT0_S9_ifPKiSB_iPKfiiiSD_SD_iiiii.has_dyn_sized_stack, or(0, .L_ZN4vllm22paged_attention_kernelI14__hip_bfloat16hLi120ELi32ELi128ELNS_18Fp8KVCacheDataTypeE1ELb0ELi0EEEvPfS3_PT_PKS4_PKT0_SA_ifPKiSC_iPKfiiiSE_SE_iiiii.has_dyn_sized_stack)
	.set _ZN4vllm25paged_attention_v1_kernelI14__hip_bfloat16hLi120ELi32ELi128ELNS_18Fp8KVCacheDataTypeE1ELb0EEEvPT_PKS3_PKT0_S9_ifPKiSB_iPKfiiiSD_SD_iiiii.has_recursion, or(0, .L_ZN4vllm22paged_attention_kernelI14__hip_bfloat16hLi120ELi32ELi128ELNS_18Fp8KVCacheDataTypeE1ELb0ELi0EEEvPfS3_PT_PKS4_PKT0_SA_ifPKiSC_iPKfiiiSE_SE_iiiii.has_recursion)
	.set _ZN4vllm25paged_attention_v1_kernelI14__hip_bfloat16hLi120ELi32ELi128ELNS_18Fp8KVCacheDataTypeE1ELb0EEEvPT_PKS3_PKT0_S9_ifPKiSB_iPKfiiiSD_SD_iiiii.has_indirect_call, or(0, .L_ZN4vllm22paged_attention_kernelI14__hip_bfloat16hLi120ELi32ELi128ELNS_18Fp8KVCacheDataTypeE1ELb0ELi0EEEvPfS3_PT_PKS4_PKT0_SA_ifPKiSC_iPKfiiiSE_SE_iiiii.has_indirect_call)
	.section	.AMDGPU.csdata,"",@progbits
; Kernel info:
; codeLenInByte = 224
; TotalNumSgprs: 42
; NumVgprs: 128
; ScratchSize: 820
; MemoryBound: 0
; FloatMode: 240
; IeeeMode: 1
; LDSByteSize: 272 bytes/workgroup (compile time only)
; SGPRBlocks: 0
; VGPRBlocks: 15
; NumSGPRsForWavesPerEU: 42
; NumVGPRsForWavesPerEU: 128
; Occupancy: 8
; WaveLimiterHint : 1
; COMPUTE_PGM_RSRC2:SCRATCH_EN: 1
; COMPUTE_PGM_RSRC2:USER_SGPR: 6
; COMPUTE_PGM_RSRC2:TRAP_HANDLER: 0
; COMPUTE_PGM_RSRC2:TGID_X_EN: 1
; COMPUTE_PGM_RSRC2:TGID_Y_EN: 1
; COMPUTE_PGM_RSRC2:TGID_Z_EN: 1
; COMPUTE_PGM_RSRC2:TIDIG_COMP_CNT: 0
	.text
	.p2align	2                               ; -- Begin function _ZN4vllm22paged_attention_kernelI14__hip_bfloat16hLi128ELi32ELi128ELNS_18Fp8KVCacheDataTypeE1ELb0ELi0EEEvPfS3_PT_PKS4_PKT0_SA_ifPKiSC_iPKfiiiSE_SE_iiiii
	.type	_ZN4vllm22paged_attention_kernelI14__hip_bfloat16hLi128ELi32ELi128ELNS_18Fp8KVCacheDataTypeE1ELb0ELi0EEEvPfS3_PT_PKS4_PKT0_SA_ifPKiSC_iPKfiiiSE_SE_iiiii,@function
_ZN4vllm22paged_attention_kernelI14__hip_bfloat16hLi128ELi32ELi128ELNS_18Fp8KVCacheDataTypeE1ELb0ELi0EEEvPfS3_PT_PKS4_PKT0_SA_ifPKiSC_iPKfiiiSE_SE_iiiii: ; @_ZN4vllm22paged_attention_kernelI14__hip_bfloat16hLi128ELi32ELi128ELNS_18Fp8KVCacheDataTypeE1ELb0ELi0EEEvPfS3_PT_PKS4_PKT0_SA_ifPKiSC_iPKfiiiSE_SE_iiiii
; %bb.0:
	s_waitcnt vmcnt(0) expcnt(0) lgkmcnt(0)
	buffer_store_dword v40, off, s[0:3], s32 offset:188 ; 4-byte Folded Spill
	buffer_store_dword v41, off, s[0:3], s32 offset:184 ; 4-byte Folded Spill
	;; [unrolled: 1-line block ×47, first 2 shown]
	buffer_store_dword v127, off, s[0:3], s32 ; 4-byte Folded Spill
	s_mov_b32 s10, s13
	s_ashr_i32 s11, s13, 31
	buffer_store_dword v20, off, s[0:3], s32 offset:304 ; 4-byte Folded Spill
	buffer_store_dword v21, off, s[0:3], s32 offset:308 ; 4-byte Folded Spill
	;; [unrolled: 1-line block ×4, first 2 shown]
	s_lshl_b64 s[4:5], s[10:11], 2
	buffer_store_dword v1, off, s[0:3], s32 offset:856 ; 4-byte Folded Spill
	buffer_store_dword v0, off, s[0:3], s32 offset:860 ; 4-byte Folded Spill
	v_add_co_u32 v0, vcc_lo, v12, s4
	v_add_co_ci_u32_e64 v1, null, s5, v13, vcc_lo
	s_clause 0x1
	s_load_dword s4, s[8:9], 0x10
	s_load_dword s5, s[8:9], 0x0
	v_mov_b32_e32 v21, v6
	flat_load_dword v0, v[0:1]
	v_mov_b32_e32 v20, v7
	s_mov_b32 s16, s15
	s_waitcnt lgkmcnt(0)
	s_lshr_b32 s4, s4, 16
	s_cmp_lg_u32 s4, 0
	s_cselect_b32 s4, -1, 0
	s_cmp_lg_u32 s4, 0
	s_addc_u32 s11, s5, 0
	s_mov_b32 s5, exec_lo
	s_abs_i32 s4, s11
	s_waitcnt vmcnt(0)
	buffer_store_dword v0, off, s[0:3], s32 offset:192 ; 4-byte Folded Spill
	v_sub_nc_u32_e32 v0, 0, v8
	v_max_i32_e32 v0, v8, v0
	v_cvt_f32_u32_e32 v1, v0
	v_sub_nc_u32_e32 v6, 0, v0
	v_rcp_iflag_f32_e32 v1, v1
	v_mul_f32_e32 v1, 0x4f7ffffe, v1
	v_cvt_u32_f32_e32 v1, v1
	v_mul_lo_u32 v6, v6, v1
	v_mul_hi_u32 v6, v1, v6
	v_add_nc_u32_e32 v1, v1, v6
	v_mul_hi_u32 v1, s4, v1
	v_mul_lo_u32 v6, v1, v0
	v_add_nc_u32_e32 v7, 1, v1
	v_sub_nc_u32_e32 v6, s4, v6
	s_abs_i32 s4, s12
	v_sub_nc_u32_e32 v9, v6, v0
	v_cmp_ge_u32_e32 vcc_lo, v6, v0
	v_cndmask_b32_e32 v1, v1, v7, vcc_lo
	v_cndmask_b32_e32 v6, v6, v9, vcc_lo
	v_xor_b32_e32 v7, s11, v8
	v_add_nc_u32_e32 v8, 1, v1
	v_cmp_ge_u32_e32 vcc_lo, v6, v0
	v_ashrrev_i32_e32 v7, 31, v7
	v_cndmask_b32_e32 v0, v1, v8, vcc_lo
	v_xor_b32_e32 v0, v0, v7
	v_sub_nc_u32_e32 v1, v0, v7
	v_sub_nc_u32_e32 v0, 0, v1
	v_max_i32_e32 v0, v1, v0
	v_cvt_f32_u32_e32 v6, v0
	v_sub_nc_u32_e32 v7, 0, v0
	v_rcp_iflag_f32_e32 v6, v6
	v_mul_f32_e32 v6, 0x4f7ffffe, v6
	v_cvt_u32_f32_e32 v6, v6
	v_mul_lo_u32 v7, v7, v6
	v_mul_hi_u32 v7, v6, v7
	v_add_nc_u32_e32 v6, v6, v7
	v_mad_u64_u32 v[12:13], null, s4, v6, 0
	v_mov_b32_e32 v6, 0
	buffer_store_dword v6, off, s[0:3], s32 offset:300 ; 4-byte Folded Spill
	v_cmpx_ne_u64_e32 0, v[15:16]
	s_cbranch_execz .LBB368_2
; %bb.1:
	s_ashr_i32 s13, s12, 31
	s_lshl_b64 s[6:7], s[12:13], 2
	v_add_co_u32 v6, vcc_lo, v15, s6
	v_add_co_ci_u32_e64 v7, null, s7, v16, vcc_lo
	flat_load_dword v6, v[6:7]
	s_waitcnt vmcnt(0) lgkmcnt(0)
	buffer_store_dword v6, off, s[0:3], s32 offset:300 ; 4-byte Folded Spill
.LBB368_2:
	s_or_b32 exec_lo, exec_lo, s5
	v_and_b32_e32 v12, 0x3ff, v31
	v_ashrrev_i32_e32 v1, 31, v1
	s_ashr_i32 s5, s12, 31
	s_lshl_b32 s12, s12, 7
	s_mov_b32 s6, exec_lo
	v_cmpx_gt_u32_e32 16, v12
	s_cbranch_execz .LBB368_4
; %bb.3:
	v_mul_lo_u32 v6, v17, s10
	s_ashr_i32 s13, s12, 31
	v_lshlrev_b32_e32 v15, 4, v12
	s_lshl_b64 s[18:19], s[12:13], 1
	v_ashrrev_i32_e32 v7, 31, v6
	v_lshlrev_b64 v[6:7], 1, v[6:7]
	v_add_co_u32 v2, vcc_lo, v2, v6
	v_add_co_ci_u32_e64 v3, null, v3, v7, vcc_lo
	v_add_co_u32 v2, vcc_lo, v2, s18
	v_add_co_ci_u32_e64 v3, null, s19, v3, vcc_lo
	;; [unrolled: 2-line block ×3, first 2 shown]
	flat_load_dwordx4 v[6:9], v[2:3]
	s_waitcnt vmcnt(0) lgkmcnt(0)
	ds_write_b128 v15, v[6:9]
.LBB368_4:
	s_or_b32 exec_lo, exec_lo, s6
	buffer_load_dword v7, off, s[0:3], s32 offset:192 ; 4-byte Folded Reload
	v_mul_lo_u32 v2, v13, v0
	v_add_nc_u32_e32 v3, 1, v13
	v_xor_b32_e32 v1, s5, v1
	s_clause 0x1
	s_load_dword s7, s[8:9], 0x14
	s_load_dword s13, s[8:9], 0x8
	v_lshrrev_b32_e32 v26, 3, v12
	v_sub_nc_u32_e32 v2, s4, v2
	v_sub_nc_u32_e32 v6, v2, v0
	v_cmp_ge_u32_e32 vcc_lo, v2, v0
	v_cndmask_b32_e32 v3, v13, v3, vcc_lo
	v_cndmask_b32_e32 v2, v2, v6, vcc_lo
	v_add_nc_u32_e32 v6, 1, v3
	v_cmp_ge_u32_e32 vcc_lo, v2, v0
	v_mul_lo_u32 v0, v14, s10
	v_cndmask_b32_e32 v2, v3, v6, vcc_lo
	v_lshrrev_b32_e32 v6, 5, v12
	v_xor_b32_e32 v2, v2, v1
	v_sub_nc_u32_e32 v2, v2, v1
	v_ashrrev_i32_e32 v1, 31, v0
	v_mul_lo_u32 v28, v2, v19
	v_and_b32_e32 v2, 31, v12
	v_lshlrev_b64 v[24:25], 2, v[0:1]
	v_lshlrev_b32_e32 v27, 2, v2
	v_ashrrev_i32_e32 v29, 31, v28
	s_waitcnt vmcnt(0)
	v_add_nc_u32_e32 v7, 31, v7
	v_ashrrev_i32_e32 v3, 31, v7
	v_lshrrev_b32_e32 v3, 27, v3
	v_add_nc_u32_e32 v3, v7, v3
	v_mov_b32_e32 v7, 0xff7fffff
	v_ashrrev_i32_e32 v3, 5, v3
	buffer_store_dword v6, off, s[0:3], s32 offset:852 ; 4-byte Folded Spill
	buffer_store_dword v3, off, s[0:3], s32 offset:196 ; 4-byte Folded Spill
	v_cmp_ge_i32_e64 s4, v6, v3
	v_cmp_lt_i32_e32 vcc_lo, v6, v3
	buffer_store_dword v2, off, s[0:3], s32 offset:848 ; 4-byte Folded Spill
	s_waitcnt lgkmcnt(0)
	s_waitcnt_vscnt null, 0x0
	s_barrier
	buffer_gl0_inv
	s_mov_b32 s15, exec_lo
	s_and_b32 s5, s15, vcc_lo
	buffer_store_dword v12, off, s[0:3], s32 offset:844 ; 4-byte Folded Spill
	s_mov_b32 exec_lo, s5
	s_cbranch_execz .LBB368_1032
; %bb.5:
	v_mov_b32_e32 v13, 0
	buffer_store_dword v22, off, s[0:3], s32 offset:880 ; 4-byte Folded Spill
	buffer_store_dword v23, off, s[0:3], s32 offset:884 ; 4-byte Folded Spill
	;; [unrolled: 1-line block ×4, first 2 shown]
	s_getpc_b64 s[8:9]
	s_add_u32 s8, s8, llvm.amdgcn.dynlds.offset.table@rel32@lo+4
	s_addc_u32 s9, s9, llvm.amdgcn.dynlds.offset.table@rel32@hi+12
	s_ashr_i32 s17, s16, 31
	ds_read_b128 v[0:3], v13
	ds_read_b128 v[6:9], v13 offset:16
	ds_read_b128 v[14:17], v13 offset:32
	;; [unrolled: 1-line block ×3, first 2 shown]
	s_lshl_b64 s[18:19], s[16:17], 2
	s_mov_b32 s17, 0
	s_add_u32 s8, s8, s18
	s_addc_u32 s9, s9, s19
	s_waitcnt lgkmcnt(3)
	v_lshlrev_b32_e32 v12, 16, v0
	v_and_b32_e32 v0, 0xffff0000, v0
	buffer_store_dword v12, off, s[0:3], s32 offset:316 ; 4-byte Folded Spill
	buffer_store_dword v0, off, s[0:3], s32 offset:320 ; 4-byte Folded Spill
	v_lshlrev_b32_e32 v0, 16, v1
	buffer_store_dword v0, off, s[0:3], s32 offset:324 ; 4-byte Folded Spill
	v_and_b32_e32 v0, 0xffff0000, v1
	buffer_store_dword v0, off, s[0:3], s32 offset:328 ; 4-byte Folded Spill
	v_lshlrev_b32_e32 v0, 16, v2
	buffer_store_dword v0, off, s[0:3], s32 offset:332 ; 4-byte Folded Spill
	v_and_b32_e32 v0, 0xffff0000, v2
	;; [unrolled: 4-line block ×3, first 2 shown]
	buffer_store_dword v0, off, s[0:3], s32 offset:344 ; 4-byte Folded Spill
	s_waitcnt lgkmcnt(2)
	v_lshlrev_b32_e32 v0, 16, v6
	buffer_store_dword v0, off, s[0:3], s32 offset:348 ; 4-byte Folded Spill
	v_and_b32_e32 v0, 0xffff0000, v6
	buffer_store_dword v0, off, s[0:3], s32 offset:352 ; 4-byte Folded Spill
	v_lshlrev_b32_e32 v0, 16, v7
	buffer_store_dword v0, off, s[0:3], s32 offset:356 ; 4-byte Folded Spill
	v_and_b32_e32 v0, 0xffff0000, v7
	v_mov_b32_e32 v7, 0xff7fffff
	buffer_store_dword v0, off, s[0:3], s32 offset:360 ; 4-byte Folded Spill
	v_lshlrev_b32_e32 v0, 16, v8
	buffer_store_dword v0, off, s[0:3], s32 offset:364 ; 4-byte Folded Spill
	v_and_b32_e32 v0, 0xffff0000, v8
	buffer_store_dword v0, off, s[0:3], s32 offset:368 ; 4-byte Folded Spill
	v_lshlrev_b32_e32 v0, 16, v9
	buffer_store_dword v0, off, s[0:3], s32 offset:372 ; 4-byte Folded Spill
	v_and_b32_e32 v0, 0xffff0000, v9
	buffer_store_dword v0, off, s[0:3], s32 offset:376 ; 4-byte Folded Spill
	s_waitcnt lgkmcnt(1)
	v_lshlrev_b32_e32 v0, 16, v14
	buffer_store_dword v0, off, s[0:3], s32 offset:380 ; 4-byte Folded Spill
	v_and_b32_e32 v0, 0xffff0000, v14
	buffer_store_dword v0, off, s[0:3], s32 offset:384 ; 4-byte Folded Spill
	v_lshlrev_b32_e32 v0, 16, v15
	buffer_store_dword v0, off, s[0:3], s32 offset:388 ; 4-byte Folded Spill
	v_and_b32_e32 v0, 0xffff0000, v15
	buffer_store_dword v0, off, s[0:3], s32 offset:392 ; 4-byte Folded Spill
	;; [unrolled: 4-line block ×4, first 2 shown]
	s_waitcnt lgkmcnt(0)
	v_lshlrev_b32_e32 v0, 16, v18
	buffer_store_dword v0, off, s[0:3], s32 offset:420 ; 4-byte Folded Spill
	v_and_b32_e32 v0, 0xffff0000, v18
	buffer_store_dword v0, off, s[0:3], s32 offset:424 ; 4-byte Folded Spill
	v_lshlrev_b32_e32 v0, 16, v19
	buffer_store_dword v0, off, s[0:3], s32 offset:428 ; 4-byte Folded Spill
	v_and_b32_e32 v0, 0xffff0000, v19
	buffer_store_dword v0, off, s[0:3], s32 offset:432 ; 4-byte Folded Spill
	;; [unrolled: 4-line block ×4, first 2 shown]
	ds_read_b128 v[0:3], v13 offset:64
	s_waitcnt lgkmcnt(0)
	v_lshlrev_b32_e32 v6, 16, v0
	v_and_b32_e32 v0, 0xffff0000, v0
	buffer_store_dword v6, off, s[0:3], s32 offset:452 ; 4-byte Folded Spill
	buffer_store_dword v0, off, s[0:3], s32 offset:456 ; 4-byte Folded Spill
	v_lshlrev_b32_e32 v0, 16, v1
	buffer_store_dword v0, off, s[0:3], s32 offset:460 ; 4-byte Folded Spill
	v_and_b32_e32 v0, 0xffff0000, v1
	buffer_store_dword v0, off, s[0:3], s32 offset:464 ; 4-byte Folded Spill
	v_lshlrev_b32_e32 v0, 16, v2
	buffer_store_dword v0, off, s[0:3], s32 offset:468 ; 4-byte Folded Spill
	v_and_b32_e32 v0, 0xffff0000, v2
	buffer_store_dword v0, off, s[0:3], s32 offset:472 ; 4-byte Folded Spill
	v_lshlrev_b32_e32 v0, 16, v3
	buffer_store_dword v0, off, s[0:3], s32 offset:476 ; 4-byte Folded Spill
	v_and_b32_e32 v0, 0xffff0000, v3
	buffer_store_dword v0, off, s[0:3], s32 offset:480 ; 4-byte Folded Spill
	ds_read_b128 v[0:3], v13 offset:80
	s_waitcnt lgkmcnt(0)
	v_lshlrev_b32_e32 v6, 16, v0
	v_and_b32_e32 v0, 0xffff0000, v0
	buffer_store_dword v6, off, s[0:3], s32 offset:484 ; 4-byte Folded Spill
	buffer_store_dword v0, off, s[0:3], s32 offset:488 ; 4-byte Folded Spill
	v_lshlrev_b32_e32 v0, 16, v1
	buffer_store_dword v0, off, s[0:3], s32 offset:492 ; 4-byte Folded Spill
	v_and_b32_e32 v0, 0xffff0000, v1
	buffer_store_dword v0, off, s[0:3], s32 offset:496 ; 4-byte Folded Spill
	v_lshlrev_b32_e32 v0, 16, v2
	buffer_store_dword v0, off, s[0:3], s32 offset:500 ; 4-byte Folded Spill
	v_and_b32_e32 v0, 0xffff0000, v2
	buffer_store_dword v0, off, s[0:3], s32 offset:504 ; 4-byte Folded Spill
	v_lshlrev_b32_e32 v0, 16, v3
	buffer_store_dword v0, off, s[0:3], s32 offset:508 ; 4-byte Folded Spill
	v_and_b32_e32 v0, 0xffff0000, v3
	buffer_store_dword v0, off, s[0:3], s32 offset:512 ; 4-byte Folded Spill
	;; [unrolled: 18-line block ×12, first 2 shown]
	buffer_store_dword v28, off, s[0:3], s32 offset:900 ; 4-byte Folded Spill
	buffer_load_dword v3, off, s[0:3], s32 offset:848 ; 4-byte Folded Reload
	v_add_co_u32 v0, vcc_lo, v4, v28
	v_add_co_ci_u32_e64 v1, null, v5, v29, vcc_lo
	buffer_store_dword v29, off, s[0:3], s32 offset:904 ; 4-byte Folded Spill
	s_waitcnt vmcnt(0)
	v_lshlrev_b32_e32 v2, 4, v3
	v_add_co_u32 v0, vcc_lo, v0, v2
	v_add_co_ci_u32_e64 v1, null, 0, v1, vcc_lo
	buffer_store_dword v0, off, s[0:3], s32 offset:836 ; 4-byte Folded Spill
	buffer_store_dword v1, off, s[0:3], s32 offset:840 ; 4-byte Folded Spill
	;; [unrolled: 1-line block ×3, first 2 shown]
	v_and_b32_e32 v0, 0x7c, v26
	v_add_co_u32 v0, vcc_lo, v0, v24
	buffer_store_dword v24, off, s[0:3], s32 offset:888 ; 4-byte Folded Spill
	buffer_store_dword v25, off, s[0:3], s32 offset:892 ; 4-byte Folded Spill
	s_load_dword s5, s[8:9], 0x0
	s_mov_b32 s8, -1
	s_mov_b32 s9, 0xffffff
	buffer_store_dword v10, off, s[0:3], s32 offset:868 ; 4-byte Folded Spill
	buffer_store_dword v11, off, s[0:3], s32 offset:864 ; 4-byte Folded Spill
	;; [unrolled: 1-line block ×3, first 2 shown]
	buffer_load_dword v100, off, s[0:3], s32 offset:852 ; 4-byte Folded Reload
	v_add_co_ci_u32_e64 v1, null, 0, v25, vcc_lo
	v_add_co_u32 v4, vcc_lo, v10, v0
	buffer_load_dword v0, off, s[0:3], s32 offset:300 ; 4-byte Folded Reload
	v_add_co_ci_u32_e64 v5, null, v11, v1, vcc_lo
	s_waitcnt vmcnt(1)
	v_lshl_or_b32 v103, v100, 5, v3
	s_waitcnt vmcnt(0)
	v_cmp_neq_f32_e32 vcc_lo, 0, v0
	v_lshl_or_b32 v0, v100, 7, v27
	s_waitcnt lgkmcnt(0)
	v_add_nc_u32_e32 v101, s5, v0
	s_branch .LBB368_10
.LBB368_6:                              ;   in Loop: Header=BB368_10 Depth=1
	s_or_b32 exec_lo, exec_lo, s20
	v_mov_b32_e32 v12, 24
	v_lshl_add_u32 v16, v16, 23, 0x3c000000
	v_lshlrev_b32_sdwa v12, v12, v17 dst_sel:DWORD dst_unused:UNUSED_PAD src0_sel:DWORD src1_sel:BYTE_3
	v_lshlrev_b32_e32 v17, 20, v24
	v_and_b32_e32 v12, 0x80000000, v12
	v_or3_b32 v118, v17, v12, v16
.LBB368_7:                              ;   in Loop: Header=BB368_10 Depth=1
	s_or_b32 exec_lo, exec_lo, s19
.LBB368_8:                              ;   in Loop: Header=BB368_10 Depth=1
	s_or_b32 exec_lo, exec_lo, s18
	v_mov_b32_e32 v101, v81
	v_mov_b32_e32 v103, v84
	;; [unrolled: 1-line block ×3, first 2 shown]
.LBB368_9:                              ;   in Loop: Header=BB368_10 Depth=1
	s_or_b32 exec_lo, exec_lo, s6
	v_mul_f32_e32 v12, v87, v41
	v_mul_f32_e32 v21, v87, v21
	v_mul_f32_e32 v5, v87, v5
	v_mul_f32_e32 v34, v87, v34
	v_mul_f32_e32 v68, v87, v68
	v_bfe_u32 v16, v12, 16, 1
	v_or_b32_e32 v17, 0x400000, v12
	v_cmp_u_f32_e64 s5, v12, v12
	v_mul_f32_e32 v67, v87, v67
	v_mul_f32_e32 v66, v87, v66
	v_add3_u32 v16, v16, v12, 0x7fff
	v_mul_f32_e32 v64, v87, v64
	v_mul_f32_e32 v55, v87, v55
	v_mul_f32_e32 v4, v87, v4
	v_mul_f32_e32 v53, v87, v53
	v_cndmask_b32_e64 v12, v16, v17, s5
	v_mul_f32_e32 v16, v87, v119
	v_mul_f32_e32 v51, v87, v51
	v_mul_f32_e32 v50, v87, v50
	v_mul_f32_e32 v49, v87, v49
	buffer_store_dword v12, off, s[0:3], s32 offset:272 ; 4-byte Folded Spill
	v_bfe_u32 v17, v16, 16, 1
	v_or_b32_e32 v24, 0x400000, v16
	v_cmp_u_f32_e64 s5, v16, v16
	v_mul_f32_e32 v48, v87, v48
	v_mul_f32_e32 v39, v87, v39
	v_add3_u32 v17, v17, v16, 0x7fff
	v_mul_f32_e32 v37, v87, v37
	v_mul_f32_e32 v22, v87, v22
	v_mul_f32_e32 v23, v87, v23
	v_mul_f32_e32 v18, v87, v18
	v_cndmask_b32_e64 v12, v17, v24, s5
	v_mul_f32_e32 v17, v87, v115
	v_mul_f32_e32 v35, v87, v35
	v_mul_f32_e32 v28, v87, v28
	v_mul_f32_e32 v3, v87, v3
	buffer_store_dword v12, off, s[0:3], s32 offset:276 ; 4-byte Folded Spill
	;; [unrolled: 16-line block ×3, first 2 shown]
	v_bfe_u32 v25, v24, 16, 1
	v_or_b32_e32 v71, 0x400000, v24
	v_cmp_u_f32_e64 s5, v24, v24
	v_mul_f32_e32 v31, v87, v31
	v_mul_f32_e32 v9, v87, v9
	v_add3_u32 v25, v25, v24, 0x7fff
	v_add_nc_u32_e32 v100, 4, v100
	v_cndmask_b32_e64 v12, v25, v71, s5
	v_mul_f32_e32 v25, v87, v102
	buffer_store_dword v12, off, s[0:3], s32 offset:284 ; 4-byte Folded Spill
	v_bfe_u32 v71, v25, 16, 1
	v_or_b32_e32 v82, 0x400000, v25
	v_cmp_u_f32_e64 s5, v25, v25
	v_add3_u32 v71, v71, v25, 0x7fff
	v_mul_f32_e32 v25, v87, v85
	v_cndmask_b32_e64 v12, v71, v82, s5
	v_bfe_u32 v71, v25, 16, 1
	v_or_b32_e32 v82, 0x400000, v25
	v_cmp_u_f32_e64 s5, v25, v25
	buffer_store_dword v12, off, s[0:3], s32 offset:292 ; 4-byte Folded Spill
	v_add3_u32 v71, v71, v25, 0x7fff
	v_mul_f32_e32 v25, v87, v40
	v_cndmask_b32_e64 v112, v71, v82, s5
	v_bfe_u32 v71, v25, 16, 1
	v_or_b32_e32 v82, 0x400000, v25
	v_cmp_u_f32_e64 s5, v25, v25
	v_add3_u32 v71, v71, v25, 0x7fff
	v_cndmask_b32_e64 v12, v71, v82, s5
	v_mul_f32_e32 v71, v87, v42
	buffer_store_dword v12, off, s[0:3], s32 offset:288 ; 4-byte Folded Spill
	v_bfe_u32 v82, v71, 16, 1
	v_or_b32_e32 v84, 0x400000, v71
	v_cmp_u_f32_e64 s5, v71, v71
	v_add3_u32 v82, v82, v71, 0x7fff
	v_mul_f32_e32 v71, v87, v80
	v_cndmask_b32_e64 v12, v82, v84, s5
	v_bfe_u32 v82, v71, 16, 1
	v_or_b32_e32 v84, 0x400000, v71
	v_cmp_u_f32_e64 s5, v71, v71
	buffer_store_dword v12, off, s[0:3], s32 offset:296 ; 4-byte Folded Spill
	v_add3_u32 v82, v82, v71, 0x7fff
	v_mul_f32_e32 v71, v87, v70
	v_cndmask_b32_e64 v102, v82, v84, s5
	v_bfe_u32 v82, v71, 16, 1
	v_or_b32_e32 v84, 0x400000, v71
	v_cmp_u_f32_e64 s5, v71, v71
	v_add3_u32 v82, v82, v71, 0x7fff
	v_mul_f32_e32 v71, v87, v15
	v_cndmask_b32_e64 v25, v82, v84, s5
	v_bfe_u32 v82, v71, 16, 1
	v_or_b32_e32 v84, 0x400000, v71
	v_cmp_u_f32_e64 s5, v71, v71
	v_add3_u32 v82, v82, v71, 0x7fff
	v_bfe_u32 v71, v21, 16, 1
	v_cndmask_b32_e64 v24, v82, v84, s5
	v_add3_u32 v71, v71, v21, 0x7fff
	v_or_b32_e32 v82, 0x400000, v21
	v_cmp_u_f32_e64 s5, v21, v21
	v_cndmask_b32_e64 v21, v71, v82, s5
	v_mul_f32_e32 v71, v87, v14
	buffer_load_dword v14, off, s[0:3], s32 offset:252 ; 4-byte Folded Reload
	v_bfe_u32 v82, v71, 16, 1
	v_or_b32_e32 v84, 0x400000, v71
	v_cmp_u_f32_e64 s5, v71, v71
	v_add3_u32 v82, v82, v71, 0x7fff
	v_bfe_u32 v71, v5, 16, 1
	v_cndmask_b32_e64 v16, v82, v84, s5
	v_add3_u32 v71, v71, v5, 0x7fff
	v_or_b32_e32 v82, 0x400000, v5
	v_cmp_u_f32_e64 s5, v5, v5
	v_mul_f32_e32 v5, v87, v32
	v_cndmask_b32_e64 v115, v71, v82, s5
	v_bfe_u32 v71, v5, 16, 1
	v_or_b32_e32 v82, 0x400000, v5
	v_cmp_u_f32_e64 s5, v5, v5
	v_add3_u32 v71, v71, v5, 0x7fff
	v_cndmask_b32_e64 v17, v71, v82, s5
	v_mul_f32_e32 v71, v87, v83
	v_bfe_u32 v82, v71, 16, 1
	v_or_b32_e32 v84, 0x400000, v71
	v_cmp_u_f32_e64 s5, v71, v71
	v_add3_u32 v82, v82, v71, 0x7fff
	v_bfe_u32 v71, v34, 16, 1
	v_cndmask_b32_e64 v12, v82, v84, s5
	v_add3_u32 v71, v71, v34, 0x7fff
	v_or_b32_e32 v82, 0x400000, v34
	v_cmp_u_f32_e64 s5, v34, v34
	v_cndmask_b32_e64 v34, v71, v82, s5
	v_bfe_u32 v71, v68, 16, 1
	v_or_b32_e32 v82, 0x400000, v68
	v_cmp_u_f32_e64 s5, v68, v68
	v_add3_u32 v71, v71, v68, 0x7fff
	v_cndmask_b32_e64 v68, v71, v82, s5
	v_bfe_u32 v71, v67, 16, 1
	v_or_b32_e32 v82, 0x400000, v67
	v_cmp_u_f32_e64 s5, v67, v67
	v_add3_u32 v71, v71, v67, 0x7fff
	;; [unrolled: 5-line block ×5, first 2 shown]
	v_mul_f32_e32 v55, v87, v69
	v_cndmask_b32_e64 v5, v71, v82, s5
	v_bfe_u32 v69, v55, 16, 1
	v_or_b32_e32 v71, 0x400000, v55
	v_cmp_u_f32_e64 s5, v55, v55
	v_add3_u32 v69, v69, v55, 0x7fff
	v_cndmask_b32_e64 v55, v69, v71, s5
	v_bfe_u32 v69, v4, 16, 1
	v_or_b32_e32 v71, 0x400000, v4
	v_cmp_u_f32_e64 s5, v4, v4
	v_add3_u32 v69, v69, v4, 0x7fff
	;; [unrolled: 5-line block ×8, first 2 shown]
	v_mul_f32_e32 v39, v87, v52
	v_cndmask_b32_e64 v69, v69, v71, s5
	v_bfe_u32 v52, v39, 16, 1
	v_or_b32_e32 v71, 0x400000, v39
	v_cmp_u_f32_e64 s5, v39, v39
	v_add3_u32 v52, v52, v39, 0x7fff
	v_cndmask_b32_e64 v39, v52, v71, s5
	v_mul_f32_e32 v52, v87, v54
	v_bfe_u32 v54, v52, 16, 1
	v_or_b32_e32 v71, 0x400000, v52
	v_cmp_u_f32_e64 s5, v52, v52
	v_add3_u32 v54, v54, v52, 0x7fff
	v_cndmask_b32_e64 v52, v54, v71, s5
	v_bfe_u32 v54, v37, 16, 1
	v_or_b32_e32 v71, 0x400000, v37
	v_cmp_u_f32_e64 s5, v37, v37
	v_add3_u32 v54, v54, v37, 0x7fff
	v_cndmask_b32_e64 v37, v54, v71, s5
	;; [unrolled: 5-line block ×6, first 2 shown]
	v_bfe_u32 v54, v28, 16, 1
	v_or_b32_e32 v71, 0x400000, v28
	v_cmp_u_f32_e64 s5, v28, v28
	v_add3_u32 v54, v54, v28, 0x7fff
	v_mul_f32_e32 v28, v87, v36
	v_cndmask_b32_e64 v54, v54, v71, s5
	v_bfe_u32 v36, v28, 16, 1
	v_or_b32_e32 v71, 0x400000, v28
	v_cmp_u_f32_e64 s5, v28, v28
	v_add3_u32 v36, v36, v28, 0x7fff
	v_cndmask_b32_e64 v28, v36, v71, s5
	v_mul_f32_e32 v36, v87, v38
	v_bfe_u32 v38, v36, 16, 1
	v_or_b32_e32 v71, 0x400000, v36
	v_cmp_u_f32_e64 s5, v36, v36
	v_add3_u32 v38, v38, v36, 0x7fff
	v_cndmask_b32_e64 v36, v38, v71, s5
	v_bfe_u32 v38, v3, 16, 1
	v_or_b32_e32 v71, 0x400000, v3
	v_cmp_u_f32_e64 s5, v3, v3
	v_add3_u32 v38, v38, v3, 0x7fff
	v_cndmask_b32_e64 v3, v38, v71, s5
	v_mul_f32_e32 v38, v87, v65
	v_bfe_u32 v65, v38, 16, 1
	v_or_b32_e32 v71, 0x400000, v38
	v_cmp_u_f32_e64 s5, v38, v38
	v_add3_u32 v65, v65, v38, 0x7fff
	v_cndmask_b32_e64 v38, v65, v71, s5
	v_bfe_u32 v65, v10, 16, 1
	v_or_b32_e32 v71, 0x400000, v10
	v_cmp_u_f32_e64 s5, v10, v10
	v_add3_u32 v65, v65, v10, 0x7fff
	v_cndmask_b32_e64 v10, v65, v71, s5
	;; [unrolled: 5-line block ×4, first 2 shown]
	v_bfe_u32 v65, v7, 16, 1
	v_or_b32_e32 v71, 0x400000, v7
	v_cmp_u_f32_e64 s5, v7, v7
	v_add3_u32 v65, v65, v7, 0x7fff
	v_bfe_u32 v7, v2, 16, 1
	v_cndmask_b32_e64 v65, v65, v71, s5
	v_add3_u32 v7, v7, v2, 0x7fff
	v_or_b32_e32 v71, 0x400000, v2
	v_cmp_u_f32_e64 s5, v2, v2
	v_cndmask_b32_e64 v2, v7, v71, s5
	v_mul_f32_e32 v7, v87, v19
	v_bfe_u32 v19, v7, 16, 1
	v_or_b32_e32 v71, 0x400000, v7
	v_cmp_u_f32_e64 s5, v7, v7
	v_add3_u32 v19, v19, v7, 0x7fff
	v_cndmask_b32_e64 v7, v19, v71, s5
	v_mul_f32_e32 v19, v87, v29
	v_bfe_u32 v29, v19, 16, 1
	v_or_b32_e32 v71, 0x400000, v19
	v_cmp_u_f32_e64 s5, v19, v19
	v_add3_u32 v29, v29, v19, 0x7fff
	v_cndmask_b32_e64 v19, v29, v71, s5
	v_bfe_u32 v29, v0, 16, 1
	v_or_b32_e32 v71, 0x400000, v0
	v_cmp_u_f32_e64 s5, v0, v0
	v_add3_u32 v29, v29, v0, 0x7fff
	v_cndmask_b32_e64 v0, v29, v71, s5
	v_bfe_u32 v29, v1, 16, 1
	v_or_b32_e32 v71, 0x400000, v1
	v_cmp_u_f32_e64 s5, v1, v1
	v_and_b32_e32 v0, 0xffff0000, v0
	v_add3_u32 v29, v29, v1, 0x7fff
	v_cndmask_b32_e64 v1, v29, v71, s5
	v_mul_f32_e32 v29, v87, v33
	v_and_b32_e32 v1, 0xffff0000, v1
	v_bfe_u32 v33, v29, 16, 1
	v_or_b32_e32 v71, 0x400000, v29
	v_cmp_u_f32_e64 s5, v29, v29
	v_add3_u32 v33, v33, v29, 0x7fff
	v_cndmask_b32_e64 v29, v33, v71, s5
	v_mul_f32_e32 v33, v87, v127
	v_bfe_u32 v71, v33, 16, 1
	v_or_b32_e32 v82, 0x400000, v33
	v_cmp_u_f32_e64 s5, v33, v33
	v_add3_u32 v71, v71, v33, 0x7fff
	v_cndmask_b32_e64 v33, v71, v82, s5
	v_mul_f32_e32 v71, v87, v126
	v_bfe_u32 v82, v71, 16, 1
	v_or_b32_e32 v84, 0x400000, v71
	v_cmp_u_f32_e64 s5, v71, v71
	v_add3_u32 v82, v82, v71, 0x7fff
	v_bfe_u32 v71, v30, 16, 1
	v_cndmask_b32_e64 v119, v82, v84, s5
	v_add3_u32 v71, v71, v30, 0x7fff
	v_or_b32_e32 v82, 0x400000, v30
	v_cmp_u_f32_e64 s5, v30, v30
	v_cndmask_b32_e64 v30, v71, v82, s5
	v_bfe_u32 v71, v8, 16, 1
	v_or_b32_e32 v82, 0x400000, v8
	v_cmp_u_f32_e64 s5, v8, v8
	v_add3_u32 v71, v71, v8, 0x7fff
	v_cndmask_b32_e64 v8, v71, v82, s5
	v_mul_f32_e32 v71, v87, v124
	v_bfe_u32 v82, v71, 16, 1
	v_or_b32_e32 v84, 0x400000, v71
	v_cmp_u_f32_e64 s5, v71, v71
	v_add3_u32 v82, v82, v71, 0x7fff
	v_mul_f32_e32 v71, v87, v122
	v_cndmask_b32_e64 v40, v82, v84, s5
	v_bfe_u32 v82, v71, 16, 1
	v_or_b32_e32 v84, 0x400000, v71
	v_cmp_u_f32_e64 s5, v71, v71
	v_add3_u32 v82, v82, v71, 0x7fff
	v_mul_f32_e32 v71, v87, v121
	v_cndmask_b32_e64 v41, v82, v84, s5
	;; [unrolled: 6-line block ×26, first 2 shown]
	v_bfe_u32 v82, v71, 16, 1
	v_or_b32_e32 v84, 0x400000, v71
	v_cmp_u_f32_e64 s5, v71, v71
	v_add3_u32 v82, v82, v71, 0x7fff
	v_bfe_u32 v71, v31, 16, 1
	v_cndmask_b32_e64 v73, v82, v84, s5
	v_add3_u32 v71, v71, v31, 0x7fff
	v_or_b32_e32 v82, 0x400000, v31
	v_cmp_u_f32_e64 s5, v31, v31
	v_mul_f32_e32 v31, v87, v72
	v_cndmask_b32_e64 v93, v71, v82, s5
	v_bfe_u32 v71, v31, 16, 1
	v_or_b32_e32 v82, 0x400000, v31
	v_cmp_u_f32_e64 s5, v31, v31
	v_add3_u32 v71, v71, v31, 0x7fff
	v_mul_f32_e32 v31, v87, v63
	v_cndmask_b32_e64 v72, v71, v82, s5
	v_bfe_u32 v71, v31, 16, 1
	v_or_b32_e32 v82, 0x400000, v31
	v_cmp_u_f32_e64 s5, v31, v31
	v_add3_u32 v71, v71, v31, 0x7fff
	;; [unrolled: 6-line block ×15, first 2 shown]
	s_waitcnt vmcnt(0)
	v_mul_f32_e32 v31, v87, v14
	buffer_load_dword v14, off, s[0:3], s32 offset:248 ; 4-byte Folded Reload
	v_cndmask_b32_e64 v127, v71, v82, s5
	v_bfe_u32 v71, v31, 16, 1
	v_or_b32_e32 v82, 0x400000, v31
	v_cmp_u_f32_e64 s5, v31, v31
	v_add3_u32 v71, v71, v31, 0x7fff
	v_cndmask_b32_e64 v82, v71, v82, s5
	s_waitcnt vmcnt(0)
	v_mul_f32_e32 v31, v87, v14
	buffer_load_dword v14, off, s[0:3], s32 offset:244 ; 4-byte Folded Reload
	v_bfe_u32 v71, v31, 16, 1
	v_or_b32_e32 v84, 0x400000, v31
	v_cmp_u_f32_e64 s5, v31, v31
	v_add3_u32 v71, v71, v31, 0x7fff
	v_cndmask_b32_e64 v85, v71, v84, s5
	s_waitcnt vmcnt(0)
	v_mul_f32_e32 v31, v87, v14
	v_bfe_u32 v71, v31, 16, 1
	v_or_b32_e32 v84, 0x400000, v31
	v_cmp_u_f32_e64 s5, v31, v31
	v_add3_u32 v71, v71, v31, 0x7fff
	v_bfe_u32 v31, v9, 16, 1
	v_cndmask_b32_e64 v86, v71, v84, s5
	v_add3_u32 v31, v31, v9, 0x7fff
	v_or_b32_e32 v71, 0x400000, v9
	v_cmp_u_f32_e64 s5, v9, v9
	v_mul_f32_e32 v9, v87, v46
	v_cndmask_b32_e64 v84, v31, v71, s5
	v_bfe_u32 v31, v9, 16, 1
	v_or_b32_e32 v71, 0x400000, v9
	v_cmp_u_f32_e64 s5, v9, v9
	v_add3_u32 v31, v31, v9, 0x7fff
	buffer_load_dword v9, off, s[0:3], s32 offset:236 ; 4-byte Folded Reload
	v_cndmask_b32_e64 v71, v31, v71, s5
	s_waitcnt vmcnt(0)
	v_mul_f32_e32 v9, v87, v9
	v_bfe_u32 v31, v9, 16, 1
	v_or_b32_e32 v43, 0x400000, v9
	v_cmp_u_f32_e64 s5, v9, v9
	v_add3_u32 v31, v31, v9, 0x7fff
	buffer_load_dword v9, off, s[0:3], s32 offset:228 ; 4-byte Folded Reload
	v_cndmask_b32_e64 v45, v31, v43, s5
	s_waitcnt vmcnt(0)
	v_mul_f32_e32 v9, v87, v9
	;; [unrolled: 8-line block ×6, first 2 shown]
	v_bfe_u32 v31, v9, 16, 1
	v_or_b32_e32 v70, 0x400000, v9
	v_cmp_u_f32_e64 s5, v9, v9
	v_add3_u32 v31, v31, v9, 0x7fff
	buffer_load_dword v9, off, s[0:3], s32 offset:232 ; 4-byte Folded Reload
	v_cndmask_b32_e64 v70, v31, v70, s5
	v_and_b32_e32 v70, 0xffff0000, v70
	s_waitcnt vmcnt(0)
	v_mul_f32_e32 v9, v87, v9
	v_bfe_u32 v31, v9, 16, 1
	v_or_b32_e32 v80, 0x400000, v9
	v_cmp_u_f32_e64 s5, v9, v9
	v_add3_u32 v31, v31, v9, 0x7fff
	buffer_load_dword v9, off, s[0:3], s32 offset:240 ; 4-byte Folded Reload
	v_cndmask_b32_e64 v80, v31, v80, s5
	s_waitcnt vmcnt(0)
	v_mul_f32_e32 v9, v87, v9
	v_bfe_u32 v31, v9, 16, 1
	v_or_b32_e32 v14, 0x400000, v9
	v_cmp_u_f32_e64 s5, v9, v9
	v_add3_u32 v31, v31, v9, 0x7fff
	buffer_load_dword v9, off, s[0:3], s32 offset:204 ; 4-byte Folded Reload
	v_cndmask_b32_e64 v14, v31, v14, s5
	v_and_b32_e32 v14, 0xffff0000, v14
	s_waitcnt vmcnt(0)
	v_mul_f32_e32 v9, v87, v9
	v_bfe_u32 v15, v9, 16, 1
	v_or_b32_e32 v31, 0x400000, v9
	v_cmp_u_f32_e64 s5, v9, v9
	v_add3_u32 v15, v15, v9, 0x7fff
	v_mul_f32_e32 v9, v87, v20
	v_cndmask_b32_e64 v15, v15, v31, s5
	v_bfe_u32 v31, v9, 16, 1
	v_or_b32_e32 v83, 0x400000, v9
	v_cmp_u_f32_e64 s5, v9, v9
	v_and_b32_e32 v15, 0xffff0000, v15
	v_add3_u32 v31, v31, v9, 0x7fff
	v_mul_f32_e32 v9, v87, v96
	v_cndmask_b32_e64 v83, v31, v83, s5
	v_bfe_u32 v31, v9, 16, 1
	v_or_b32_e32 v20, 0x400000, v9
	v_cmp_u_f32_e64 s5, v9, v9
	v_add3_u32 v31, v31, v9, 0x7fff
	v_mul_f32_e32 v9, v87, v99
	v_cndmask_b32_e64 v96, v31, v20, s5
	v_bfe_u32 v20, v9, 16, 1
	v_or_b32_e32 v31, 0x400000, v9
	v_cmp_u_f32_e64 s5, v9, v9
	v_add3_u32 v20, v20, v9, 0x7fff
	v_mul_f32_e32 v9, v87, v97
	v_cndmask_b32_e64 v32, v20, v31, s5
	v_bfe_u32 v20, v9, 16, 1
	v_or_b32_e32 v31, 0x400000, v9
	v_cmp_u_f32_e64 s5, v9, v9
	v_and_b32_e32 v32, 0xffff0000, v32
	v_add3_u32 v20, v20, v9, 0x7fff
	v_mul_f32_e32 v9, v87, v98
	v_cndmask_b32_e64 v97, v20, v31, s5
	v_bfe_u32 v20, v9, 16, 1
	v_or_b32_e32 v31, 0x400000, v9
	v_cmp_u_f32_e64 s5, v9, v9
	v_and_b32_e32 v97, 0xffff0000, v97
	v_add3_u32 v20, v20, v9, 0x7fff
	buffer_load_dword v9, off, s[0:3], s32 offset:200 ; 4-byte Folded Reload
	v_cndmask_b32_e64 v99, v20, v31, s5
	v_and_b32_e32 v99, 0xffff0000, v99
	s_waitcnt vmcnt(0)
	v_mul_f32_e32 v9, v87, v9
	v_bfe_u32 v20, v9, 16, 1
	v_or_b32_e32 v31, 0x400000, v9
	v_cmp_u_f32_e64 s5, v9, v9
	v_add3_u32 v20, v20, v9, 0x7fff
	buffer_load_dword v9, off, s[0:3], s32 offset:208 ; 4-byte Folded Reload
	v_cndmask_b32_e64 v81, v20, v31, s5
	s_waitcnt vmcnt(0)
	v_mul_f32_e32 v9, v87, v9
	v_bfe_u32 v20, v9, 16, 1
	v_or_b32_e32 v31, 0x400000, v9
	v_cmp_u_f32_e64 s5, v9, v9
	v_add3_u32 v20, v20, v9, 0x7fff
	v_mul_f32_e32 v9, v87, v117
	v_cndmask_b32_e64 v98, v20, v31, s5
	v_bfe_u32 v20, v9, 16, 1
	v_or_b32_e32 v31, 0x400000, v9
	v_cmp_u_f32_e64 s5, v9, v9
	v_add3_u32 v20, v20, v9, 0x7fff
	v_cndmask_b32_e64 v9, v20, v31, s5
	v_mul_f32_e32 v20, v87, v113
	v_bfe_u32 v31, v20, 16, 1
	v_or_b32_e32 v113, 0x400000, v20
	v_cmp_u_f32_e64 s5, v20, v20
	v_add3_u32 v31, v31, v20, 0x7fff
	v_mul_f32_e32 v20, v87, v114
	v_cndmask_b32_e64 v31, v31, v113, s5
	v_bfe_u32 v113, v20, 16, 1
	v_or_b32_e32 v114, 0x400000, v20
	v_cmp_u_f32_e64 s5, v20, v20
	v_add3_u32 v113, v113, v20, 0x7fff
	v_mul_f32_e32 v20, v87, v27
	v_cndmask_b32_e64 v113, v113, v114, s5
	;; [unrolled: 6-line block ×3, first 2 shown]
	v_bfe_u32 v26, v20, 16, 1
	v_or_b32_e32 v114, 0x400000, v20
	v_cmp_u_f32_e64 s5, v20, v20
	v_add3_u32 v26, v26, v20, 0x7fff
	buffer_load_dword v20, off, s[0:3], s32 offset:256 ; 4-byte Folded Reload
	v_cndmask_b32_e64 v114, v26, v114, s5
	s_waitcnt vmcnt(0)
	v_mul_f32_e32 v20, v87, v20
	v_bfe_u32 v26, v20, 16, 1
	v_or_b32_e32 v117, 0x400000, v20
	v_cmp_u_f32_e64 s5, v20, v20
	v_add3_u32 v26, v26, v20, 0x7fff
	v_mul_f32_e32 v20, v87, v116
	v_cndmask_b32_e64 v117, v26, v117, s5
	v_mul_f32_e32 v26, v87, v118
	v_bfe_u32 v87, v20, 16, 1
	v_or_b32_e32 v116, 0x400000, v20
	v_cmp_u_f32_e64 s5, v20, v20
	v_add3_u32 v87, v87, v20, 0x7fff
	v_cndmask_b32_e64 v20, v87, v116, s5
	v_bfe_u32 v87, v26, 16, 1
	v_or_b32_e32 v116, 0x400000, v26
	v_cmp_u_f32_e64 s5, v26, v26
	v_add3_u32 v87, v87, v26, 0x7fff
	v_cndmask_b32_e64 v26, v87, v116, s5
	buffer_load_dword v87, off, s[0:3], s32 offset:348 ; 4-byte Folded Reload
	s_waitcnt vmcnt(0)
	v_mul_f32_e32 v87, v87, v70
	buffer_load_dword v70, off, s[0:3], s32 offset:316 ; 4-byte Folded Reload
	s_waitcnt vmcnt(0)
	v_fmac_f32_e32 v87, v70, v99
	buffer_load_dword v99, off, s[0:3], s32 offset:352 ; 4-byte Folded Reload
	v_and_b32_e32 v70, 0xffff0000, v47
	s_waitcnt vmcnt(0)
	v_mul_f32_e32 v116, v99, v70
	buffer_load_dword v70, off, s[0:3], s32 offset:320 ; 4-byte Folded Reload
	s_waitcnt vmcnt(0)
	v_fmac_f32_e32 v116, v70, v97
	buffer_load_dword v97, off, s[0:3], s32 offset:356 ; 4-byte Folded Reload
	v_and_b32_e32 v70, 0xffff0000, v46
	s_waitcnt vmcnt(0)
	v_mul_f32_e32 v118, v97, v70
	buffer_load_dword v70, off, s[0:3], s32 offset:324 ; 4-byte Folded Reload
	s_waitcnt vmcnt(0)
	v_fmac_f32_e32 v118, v70, v32
	v_and_b32_e32 v70, 0xffff0000, v96
	buffer_load_dword v96, off, s[0:3], s32 offset:360 ; 4-byte Folded Reload
	v_and_b32_e32 v32, 0xffff0000, v43
	s_waitcnt vmcnt(0)
	v_mul_f32_e32 v43, v96, v32
	buffer_load_dword v32, off, s[0:3], s32 offset:328 ; 4-byte Folded Reload
	s_waitcnt vmcnt(0)
	v_fmac_f32_e32 v43, v32, v70
	v_and_b32_e32 v70, 0xffff0000, v83
	buffer_load_dword v83, off, s[0:3], s32 offset:364 ; 4-byte Folded Reload
	v_and_b32_e32 v32, 0xffff0000, v44
	s_waitcnt vmcnt(0)
	v_mul_f32_e32 v44, v83, v32
	buffer_load_dword v32, off, s[0:3], s32 offset:332 ; 4-byte Folded Reload
	s_waitcnt vmcnt(0)
	v_fmac_f32_e32 v44, v32, v70
	buffer_load_dword v70, off, s[0:3], s32 offset:368 ; 4-byte Folded Reload
	v_and_b32_e32 v32, 0xffff0000, v45
	s_waitcnt vmcnt(0)
	v_mul_f32_e32 v45, v70, v32
	s_clause 0x1
	buffer_load_dword v32, off, s[0:3], s32 offset:336
	buffer_load_dword v70, off, s[0:3], s32 offset:372
	s_waitcnt vmcnt(1)
	v_fmac_f32_e32 v45, v32, v15
	v_and_b32_e32 v15, 0xffff0000, v80
	v_and_b32_e32 v32, 0xffff0000, v81
	s_waitcnt vmcnt(0)
	v_mul_f32_e32 v46, v70, v15
	buffer_load_dword v15, off, s[0:3], s32 offset:340 ; 4-byte Folded Reload
	s_waitcnt vmcnt(0)
	v_fmac_f32_e32 v46, v15, v32
	buffer_load_dword v32, off, s[0:3], s32 offset:376 ; 4-byte Folded Reload
	v_and_b32_e32 v15, 0xffff0000, v98
	s_waitcnt vmcnt(0)
	v_mul_f32_e32 v47, v32, v14
	buffer_load_dword v14, off, s[0:3], s32 offset:344 ; 4-byte Folded Reload
	s_waitcnt vmcnt(0)
	v_fmac_f32_e32 v47, v14, v15
	buffer_load_dword v15, off, s[0:3], s32 offset:380 ; 4-byte Folded Reload
	v_and_b32_e32 v14, 0xffff0000, v86
	s_waitcnt vmcnt(0)
	v_fmac_f32_e32 v87, v15, v14
	buffer_load_dword v15, off, s[0:3], s32 offset:384 ; 4-byte Folded Reload
	v_and_b32_e32 v14, 0xffff0000, v85
	;; [unrolled: 4-line block ×51, first 2 shown]
	s_waitcnt vmcnt(0)
	v_fmac_f32_e32 v118, v15, v14
	buffer_load_dword v14, off, s[0:3], s32 offset:592 ; 4-byte Folded Reload
	s_waitcnt vmcnt(0)
	v_fmac_f32_e32 v43, v14, v1
	buffer_load_dword v1, off, s[0:3], s32 offset:596 ; 4-byte Folded Reload
	;; [unrolled: 3-line block ×3, first 2 shown]
	v_and_b32_e32 v0, 0xffff0000, v19
	s_waitcnt vmcnt(0)
	v_fmac_f32_e32 v45, v1, v0
	buffer_load_dword v1, off, s[0:3], s32 offset:604 ; 4-byte Folded Reload
	v_and_b32_e32 v0, 0xffff0000, v30
	s_waitcnt vmcnt(0)
	v_fmac_f32_e32 v46, v1, v0
	buffer_load_dword v1, off, s[0:3], s32 offset:608 ; 4-byte Folded Reload
	;; [unrolled: 4-line block ×8, first 2 shown]
	v_and_b32_e32 v0, 0xffff0000, v3
	buffer_load_dword v3, off, s[0:3], s32 offset:300 ; 4-byte Folded Reload
	s_waitcnt vmcnt(1)
	v_fmac_f32_e32 v45, v1, v0
	buffer_load_dword v1, off, s[0:3], s32 offset:636 ; 4-byte Folded Reload
	v_and_b32_e32 v0, 0xffff0000, v2
	buffer_load_dword v2, off, s[0:3], s32 offset:816 ; 4-byte Folded Reload
	s_waitcnt vmcnt(1)
	v_fmac_f32_e32 v46, v1, v0
	buffer_load_dword v1, off, s[0:3], s32 offset:640 ; 4-byte Folded Reload
	;; [unrolled: 5-line block ×3, first 2 shown]
	v_and_b32_e32 v0, 0xffff0000, v54
	s_waitcnt vmcnt(0)
	v_fmac_f32_e32 v87, v1, v0
	buffer_load_dword v1, off, s[0:3], s32 offset:648 ; 4-byte Folded Reload
	v_and_b32_e32 v0, 0xffff0000, v35
	s_waitcnt vmcnt(0)
	v_fmac_f32_e32 v116, v1, v0
	buffer_load_dword v1, off, s[0:3], s32 offset:652 ; 4-byte Folded Reload
	;; [unrolled: 4-line block ×32, first 2 shown]
	v_and_b32_e32 v0, 0xffff0000, v112
	s_waitcnt vmcnt(0)
	v_fmac_f32_e32 v87, v1, v0
	s_clause 0x1
	buffer_load_dword v0, off, s[0:3], s32 offset:292
	buffer_load_dword v1, off, s[0:3], s32 offset:776
	s_waitcnt vmcnt(1)
	v_and_b32_e32 v0, 0xffff0000, v0
	s_waitcnt vmcnt(0)
	v_fmac_f32_e32 v116, v1, v0
	s_clause 0x1
	buffer_load_dword v0, off, s[0:3], s32 offset:284
	buffer_load_dword v1, off, s[0:3], s32 offset:780
	s_waitcnt vmcnt(1)
	;; [unrolled: 7-line block ×7, first 2 shown]
	v_and_b32_e32 v0, 0xffff0000, v0
	s_waitcnt vmcnt(0)
	v_fmac_f32_e32 v47, v1, v0
	buffer_load_dword v1, off, s[0:3], s32 offset:804 ; 4-byte Folded Reload
	v_and_b32_e32 v0, 0xffff0000, v117
	s_waitcnt vmcnt(0)
	v_fmac_f32_e32 v87, v1, v0
	buffer_load_dword v1, off, s[0:3], s32 offset:808 ; 4-byte Folded Reload
	;; [unrolled: 4-line block ×3, first 2 shown]
	v_and_b32_e32 v0, 0xffff0000, v27
	s_waitcnt vmcnt(0)
	v_fmac_f32_e32 v118, v1, v0
	v_and_b32_e32 v1, 0xffff0000, v113
	v_add_f32_e32 v0, v87, v116
	v_fmac_f32_e32 v43, v2, v1
	buffer_load_dword v2, off, s[0:3], s32 offset:820 ; 4-byte Folded Reload
	v_and_b32_e32 v1, 0xffff0000, v31
	v_add_f32_e32 v0, v0, v118
	v_add_f32_e32 v0, v43, v0
	s_waitcnt vmcnt(0)
	v_fmac_f32_e32 v44, v2, v1
	buffer_load_dword v2, off, s[0:3], s32 offset:824 ; 4-byte Folded Reload
	v_and_b32_e32 v1, 0xffff0000, v9
	v_add_f32_e32 v0, v44, v0
	s_waitcnt vmcnt(0)
	v_fmac_f32_e32 v45, v2, v1
	buffer_load_dword v2, off, s[0:3], s32 offset:828 ; 4-byte Folded Reload
	v_and_b32_e32 v1, 0xffff0000, v20
	;; [unrolled: 5-line block ×3, first 2 shown]
	v_add_f32_e32 v0, v46, v0
	s_waitcnt vmcnt(0)
	v_fmac_f32_e32 v47, v2, v1
	buffer_load_dword v2, off, s[0:3], s32 offset:192 ; 4-byte Folded Reload
	v_add_f32_e32 v0, v47, v0
	s_waitcnt vmcnt(0)
	v_sub_nc_u32_e32 v1, 1, v2
	v_cmp_lt_i32_e64 s5, v103, v2
	v_add_nc_u32_e32 v1, v1, v103
	v_add_nc_u32_e32 v103, 0x80, v103
	v_cvt_f32_i32_e32 v1, v1
	v_mul_f32_e32 v1, v3, v1
	buffer_load_dword v3, off, s[0:3], s32 offset:312 ; 4-byte Folded Reload
	v_cndmask_b32_e32 v1, 0, v1, vcc_lo
	s_waitcnt vmcnt(0)
	v_fmac_f32_e32 v1, v3, v0
	v_max_f32_e32 v0, v7, v7
	v_max_f32_e32 v0, v0, v1
	v_cndmask_b32_e64 v1, 0, v1, s5
	v_cndmask_b32_e64 v7, v7, v0, s5
	ds_write_b32 v101, v1
	s_clause 0x2
	buffer_load_dword v0, off, s[0:3], s32 offset:196
	buffer_load_dword v4, off, s[0:3], s32 offset:264
	;; [unrolled: 1-line block ×3, first 2 shown]
	v_add_nc_u32_e32 v101, 0x200, v101
	s_waitcnt vmcnt(2)
	v_cmp_ge_i32_e64 s5, v100, v0
	s_waitcnt vmcnt(1)
	v_add_co_u32 v4, s6, v4, 16
	s_waitcnt vmcnt(0)
	v_add_co_ci_u32_e64 v5, null, 0, v5, s6
	s_or_b32 s17, s5, s17
	s_andn2_b32 exec_lo, exec_lo, s17
	s_cbranch_execz .LBB368_1031
.LBB368_10:                             ; =>This Inner Loop Header: Depth=1
	buffer_store_dword v7, off, s[0:3], s32 offset:260 ; 4-byte Folded Spill
	buffer_store_dword v4, off, s[0:3], s32 offset:264 ; 4-byte Folded Spill
	;; [unrolled: 1-line block ×3, first 2 shown]
	v_mov_b32_e32 v86, v100
	v_mov_b32_e32 v84, v103
	;; [unrolled: 1-line block ×4, first 2 shown]
	flat_load_dword v0, v[4:5]
	s_clause 0x2
	buffer_load_dword v1, off, s[0:3], s32 offset:396
	buffer_load_dword v2, off, s[0:3], s32 offset:836
	;; [unrolled: 1-line block ×3, first 2 shown]
	s_waitcnt vmcnt(0) lgkmcnt(0)
	v_mad_i64_i32 v[16:17], null, v0, v1, v[2:3]
	flat_load_dwordx2 v[24:25], v[16:17]
	s_clause 0x1
	buffer_load_dword v0, off, s[0:3], s32 offset:304
	buffer_load_dword v1, off, s[0:3], s32 offset:308
	s_waitcnt vmcnt(2) lgkmcnt(0)
	v_cmp_ne_u16_sdwa s5, v24, v13 src0_sel:BYTE_0 src1_sel:DWORD
	s_waitcnt vmcnt(0)
	flat_load_dword v87, v[0:1]
	s_and_saveexec_b32 s6, s5
	s_cbranch_execz .LBB368_18
; %bb.11:                               ;   in Loop: Header=BB368_10 Depth=1
	v_mov_b32_e32 v0, 0x80
	v_bfrev_b32_e32 v98, 1
	v_cmp_ne_u16_sdwa s5, v24, v0 src0_sel:BYTE_0 src1_sel:DWORD
	s_and_saveexec_b32 s18, s5
	s_cbranch_execz .LBB368_17
; %bb.12:                               ;   in Loop: Header=BB368_10 Depth=1
	v_and_b32_e32 v1, 0x7f, v24
	v_mov_b32_e32 v98, 0x7f800001
	s_mov_b32 s19, exec_lo
	v_cmpx_ne_u32_e32 0x7f, v1
	s_cbranch_execz .LBB368_16
; %bb.13:                               ;   in Loop: Header=BB368_10 Depth=1
	v_mov_b32_e32 v27, v25
	v_lshrrev_b32_e32 v0, 3, v1
	v_mov_b32_e32 v26, v24
	s_mov_b32 s20, exec_lo
	v_cmpx_gt_u32_e32 8, v1
; %bb.14:                               ;   in Loop: Header=BB368_10 Depth=1
	v_and_b32_e32 v0, 7, v24
	v_ffbh_u32_e32 v0, v0
	v_min_u32_e32 v0, 32, v0
	v_subrev_nc_u32_e32 v1, 28, v0
	v_sub_nc_u32_e32 v0, 29, v0
	v_lshlrev_b64 v[26:27], v1, v[24:25]
; %bb.15:                               ;   in Loop: Header=BB368_10 Depth=1
	s_or_b32 exec_lo, exec_lo, s20
	v_lshlrev_b32_e32 v1, 20, v26
	v_lshlrev_b32_e32 v2, 24, v24
	v_lshl_add_u32 v0, v0, 23, 0x3c000000
	v_and_b32_e32 v1, 0x700000, v1
	v_and_b32_e32 v2, 0x80000000, v2
	v_or3_b32 v98, v1, v2, v0
.LBB368_16:                             ;   in Loop: Header=BB368_10 Depth=1
	s_or_b32 exec_lo, exec_lo, s19
.LBB368_17:                             ;   in Loop: Header=BB368_10 Depth=1
	s_or_b32 exec_lo, exec_lo, s18
.LBB368_18:                             ;   in Loop: Header=BB368_10 Depth=1
	s_or_b32 exec_lo, exec_lo, s6
	v_cmp_ne_u16_sdwa s5, v24, v13 src0_sel:BYTE_1 src1_sel:DWORD
	v_mov_b32_e32 v99, 0
	v_mov_b32_e32 v97, 0
	s_and_saveexec_b32 s6, s5
	s_cbranch_execz .LBB368_26
; %bb.19:                               ;   in Loop: Header=BB368_10 Depth=1
	v_mov_b32_e32 v0, 0x80
	v_bfrev_b32_e32 v97, 1
	v_cmp_ne_u16_sdwa s5, v24, v0 src0_sel:BYTE_1 src1_sel:DWORD
	s_and_saveexec_b32 s18, s5
	s_cbranch_execz .LBB368_25
; %bb.20:                               ;   in Loop: Header=BB368_10 Depth=1
	v_mov_b32_e32 v0, 0xffff
	v_mov_b32_e32 v97, 0x7f800001
	s_mov_b32 s19, exec_lo
	v_and_b32_sdwa v0, v0, v24 dst_sel:DWORD dst_unused:UNUSED_PAD src0_sel:DWORD src1_sel:BYTE_1
	v_and_b32_e32 v1, 0x7f, v0
	v_cmpx_ne_u32_e32 0x7f, v1
	s_cbranch_execz .LBB368_24
; %bb.21:                               ;   in Loop: Header=BB368_10 Depth=1
	v_and_b32_e32 v12, 7, v0
	v_mov_b32_e32 v27, v13
	v_lshrrev_b32_e32 v0, 3, v1
	s_mov_b32 s20, exec_lo
	v_mov_b32_e32 v26, v12
	v_cmpx_gt_u32_e32 8, v1
; %bb.22:                               ;   in Loop: Header=BB368_10 Depth=1
	v_ffbh_u32_e32 v0, v12
	v_min_u32_e32 v0, 32, v0
	v_subrev_nc_u32_e32 v1, 28, v0
	v_sub_nc_u32_e32 v0, 29, v0
	v_lshlrev_b64 v[1:2], v1, v[12:13]
	v_and_b32_e32 v26, 7, v1
; %bb.23:                               ;   in Loop: Header=BB368_10 Depth=1
	s_or_b32 exec_lo, exec_lo, s20
	v_lshlrev_b32_e32 v1, 16, v24
	v_lshlrev_b32_e32 v2, 20, v26
	v_lshl_add_u32 v0, v0, 23, 0x3c000000
	v_and_b32_e32 v1, 0x80000000, v1
	v_or3_b32 v97, v2, v1, v0
.LBB368_24:                             ;   in Loop: Header=BB368_10 Depth=1
	s_or_b32 exec_lo, exec_lo, s19
.LBB368_25:                             ;   in Loop: Header=BB368_10 Depth=1
	s_or_b32 exec_lo, exec_lo, s18
.LBB368_26:                             ;   in Loop: Header=BB368_10 Depth=1
	s_or_b32 exec_lo, exec_lo, s6
	v_mov_b32_e32 v0, 0xff
	s_mov_b32 s6, exec_lo
	v_and_b32_sdwa v0, v24, v0 dst_sel:DWORD dst_unused:UNUSED_PAD src0_sel:WORD_1 src1_sel:DWORD
	v_cmpx_ne_u16_e32 0, v0
	s_cbranch_execz .LBB368_34
; %bb.27:                               ;   in Loop: Header=BB368_10 Depth=1
	v_bfrev_b32_e32 v99, 1
	s_mov_b32 s18, exec_lo
	v_cmpx_ne_u16_e32 0x80, v0
	s_cbranch_execz .LBB368_33
; %bb.28:                               ;   in Loop: Header=BB368_10 Depth=1
	v_bfe_u32 v1, v24, 16, 7
	v_mov_b32_e32 v99, 0x7f800001
	s_mov_b32 s19, exec_lo
	v_cmpx_ne_u32_e32 0x7f, v1
	s_cbranch_execz .LBB368_32
; %bb.29:                               ;   in Loop: Header=BB368_10 Depth=1
	v_mov_b32_e32 v0, 7
	s_mov_b32 s20, exec_lo
	v_and_b32_sdwa v12, v24, v0 dst_sel:DWORD dst_unused:UNUSED_PAD src0_sel:WORD_1 src1_sel:DWORD
	v_mov_b32_e32 v27, v13
	v_lshrrev_b32_e32 v0, 3, v1
	v_mov_b32_e32 v26, v12
	v_cmpx_gt_u32_e32 8, v1
; %bb.30:                               ;   in Loop: Header=BB368_10 Depth=1
	v_ffbh_u32_e32 v0, v12
	v_min_u32_e32 v0, 32, v0
	v_subrev_nc_u32_e32 v1, 28, v0
	v_sub_nc_u32_e32 v0, 29, v0
	v_lshlrev_b64 v[1:2], v1, v[12:13]
	v_and_b32_e32 v26, 7, v1
; %bb.31:                               ;   in Loop: Header=BB368_10 Depth=1
	s_or_b32 exec_lo, exec_lo, s20
	v_mov_b32_e32 v1, 24
	v_lshlrev_b32_e32 v2, 20, v26
	v_lshl_add_u32 v0, v0, 23, 0x3c000000
	v_lshlrev_b32_sdwa v1, v1, v24 dst_sel:DWORD dst_unused:UNUSED_PAD src0_sel:DWORD src1_sel:WORD_1
	v_and_b32_e32 v1, 0x80000000, v1
	v_or3_b32 v99, v2, v1, v0
.LBB368_32:                             ;   in Loop: Header=BB368_10 Depth=1
	s_or_b32 exec_lo, exec_lo, s19
.LBB368_33:                             ;   in Loop: Header=BB368_10 Depth=1
	s_or_b32 exec_lo, exec_lo, s18
.LBB368_34:                             ;   in Loop: Header=BB368_10 Depth=1
	s_or_b32 exec_lo, exec_lo, s6
	v_mov_b32_e32 v82, 0
	v_mov_b32_e32 v96, 0
	s_mov_b32 s6, exec_lo
	v_cmpx_lt_u32_e32 0xffffff, v24
	s_cbranch_execz .LBB368_42
; %bb.35:                               ;   in Loop: Header=BB368_10 Depth=1
	v_mov_b32_e32 v0, 0x80
	v_bfrev_b32_e32 v96, 1
	v_cmp_ne_u32_sdwa s5, v24, v0 src0_sel:BYTE_3 src1_sel:DWORD
	s_and_saveexec_b32 s18, s5
	s_cbranch_execz .LBB368_41
; %bb.36:                               ;   in Loop: Header=BB368_10 Depth=1
	v_bfe_u32 v1, v24, 24, 7
	v_mov_b32_e32 v96, 0x7f800001
	s_mov_b32 s19, exec_lo
	v_cmpx_ne_u32_e32 0x7f, v1
	s_cbranch_execz .LBB368_40
; %bb.37:                               ;   in Loop: Header=BB368_10 Depth=1
	v_mov_b32_e32 v0, 7
	s_mov_b32 s20, exec_lo
	v_and_b32_sdwa v12, v24, v0 dst_sel:DWORD dst_unused:UNUSED_PAD src0_sel:BYTE_3 src1_sel:DWORD
	v_mov_b32_e32 v27, v13
	v_lshrrev_b32_e32 v0, 3, v1
	v_mov_b32_e32 v26, v12
	v_cmpx_gt_u32_e32 8, v1
; %bb.38:                               ;   in Loop: Header=BB368_10 Depth=1
	v_ffbh_u32_e32 v0, v12
	v_min_u32_e32 v0, 32, v0
	v_subrev_nc_u32_e32 v1, 28, v0
	v_sub_nc_u32_e32 v0, 29, v0
	v_lshlrev_b64 v[1:2], v1, v[12:13]
	v_and_b32_e32 v26, 7, v1
; %bb.39:                               ;   in Loop: Header=BB368_10 Depth=1
	s_or_b32 exec_lo, exec_lo, s20
	v_mov_b32_e32 v1, 24
	v_lshlrev_b32_e32 v2, 20, v26
	v_lshl_add_u32 v0, v0, 23, 0x3c000000
	v_lshlrev_b32_sdwa v1, v1, v24 dst_sel:DWORD dst_unused:UNUSED_PAD src0_sel:DWORD src1_sel:BYTE_3
	v_and_b32_e32 v1, 0x80000000, v1
	v_or3_b32 v96, v2, v1, v0
.LBB368_40:                             ;   in Loop: Header=BB368_10 Depth=1
	s_or_b32 exec_lo, exec_lo, s19
.LBB368_41:                             ;   in Loop: Header=BB368_10 Depth=1
	s_or_b32 exec_lo, exec_lo, s18
.LBB368_42:                             ;   in Loop: Header=BB368_10 Depth=1
	s_or_b32 exec_lo, exec_lo, s6
	v_mov_b32_e32 v12, v25
	v_cmp_ne_u16_sdwa s5, v25, v13 src0_sel:BYTE_0 src1_sel:DWORD
	s_and_saveexec_b32 s6, s5
	s_cbranch_execz .LBB368_50
; %bb.43:                               ;   in Loop: Header=BB368_10 Depth=1
	v_mov_b32_e32 v0, 0x80
	v_bfrev_b32_e32 v82, 1
	v_cmp_ne_u16_sdwa s5, v25, v0 src0_sel:BYTE_0 src1_sel:DWORD
	s_and_saveexec_b32 s18, s5
	s_cbranch_execz .LBB368_49
; %bb.44:                               ;   in Loop: Header=BB368_10 Depth=1
	v_and_b32_e32 v1, 0x7f, v25
	v_mov_b32_e32 v82, 0x7f800001
	s_mov_b32 s19, exec_lo
	v_cmpx_ne_u32_e32 0x7f, v1
	s_cbranch_execz .LBB368_48
; %bb.45:                               ;   in Loop: Header=BB368_10 Depth=1
	v_mov_b32_e32 v27, v13
	v_lshrrev_b32_e32 v0, 3, v1
	v_mov_b32_e32 v26, v12
	s_mov_b32 s20, exec_lo
	v_cmpx_gt_u32_e32 8, v1
; %bb.46:                               ;   in Loop: Header=BB368_10 Depth=1
	v_and_b32_e32 v0, 7, v25
	v_ffbh_u32_e32 v0, v0
	v_min_u32_e32 v0, 32, v0
	v_subrev_nc_u32_e32 v1, 28, v0
	v_sub_nc_u32_e32 v0, 29, v0
	v_lshlrev_b64 v[26:27], v1, v[12:13]
; %bb.47:                               ;   in Loop: Header=BB368_10 Depth=1
	s_or_b32 exec_lo, exec_lo, s20
	v_lshlrev_b32_e32 v1, 20, v26
	v_lshlrev_b32_e32 v2, 24, v12
	v_lshl_add_u32 v0, v0, 23, 0x3c000000
	v_and_b32_e32 v1, 0x700000, v1
	v_and_b32_e32 v2, 0x80000000, v2
	v_or3_b32 v82, v1, v2, v0
.LBB368_48:                             ;   in Loop: Header=BB368_10 Depth=1
	s_or_b32 exec_lo, exec_lo, s19
.LBB368_49:                             ;   in Loop: Header=BB368_10 Depth=1
	s_or_b32 exec_lo, exec_lo, s18
.LBB368_50:                             ;   in Loop: Header=BB368_10 Depth=1
	s_or_b32 exec_lo, exec_lo, s6
	v_mov_b32_e32 v0, 0
	v_cmp_ne_u16_sdwa s5, v12, v13 src0_sel:BYTE_1 src1_sel:DWORD
	buffer_store_dword v0, off, s[0:3], s32 offset:200 ; 4-byte Folded Spill
	v_mov_b32_e32 v0, 0
	buffer_store_dword v0, off, s[0:3], s32 offset:204 ; 4-byte Folded Spill
	s_and_saveexec_b32 s6, s5
	s_cbranch_execz .LBB368_58
; %bb.51:                               ;   in Loop: Header=BB368_10 Depth=1
	v_mov_b32_e32 v0, 0x80
	v_cmp_ne_u16_sdwa s5, v12, v0 src0_sel:BYTE_1 src1_sel:DWORD
	v_bfrev_b32_e32 v0, 1
	buffer_store_dword v0, off, s[0:3], s32 offset:204 ; 4-byte Folded Spill
	s_and_saveexec_b32 s18, s5
	s_cbranch_execz .LBB368_57
; %bb.52:                               ;   in Loop: Header=BB368_10 Depth=1
	v_mov_b32_e32 v0, 0xffff
	v_mov_b32_e32 v2, 0x7f800001
	s_mov_b32 s19, exec_lo
	v_and_b32_sdwa v0, v0, v12 dst_sel:DWORD dst_unused:UNUSED_PAD src0_sel:DWORD src1_sel:BYTE_1
	buffer_store_dword v2, off, s[0:3], s32 offset:204 ; 4-byte Folded Spill
	v_and_b32_e32 v1, 0x7f, v0
	v_cmpx_ne_u32_e32 0x7f, v1
	s_cbranch_execz .LBB368_56
; %bb.53:                               ;   in Loop: Header=BB368_10 Depth=1
	v_and_b32_e32 v26, 7, v0
	v_mov_b32_e32 v27, v13
	v_lshrrev_b32_e32 v0, 3, v1
	s_mov_b32 s20, exec_lo
	v_cmpx_gt_u32_e32 8, v1
; %bb.54:                               ;   in Loop: Header=BB368_10 Depth=1
	v_ffbh_u32_e32 v0, v26
	v_min_u32_e32 v0, 32, v0
	v_subrev_nc_u32_e32 v1, 28, v0
	v_sub_nc_u32_e32 v0, 29, v0
	v_lshlrev_b64 v[1:2], v1, v[26:27]
	v_and_b32_e32 v26, 7, v1
; %bb.55:                               ;   in Loop: Header=BB368_10 Depth=1
	s_or_b32 exec_lo, exec_lo, s20
	v_lshlrev_b32_e32 v1, 16, v12
	v_lshlrev_b32_e32 v2, 20, v26
	v_lshl_add_u32 v0, v0, 23, 0x3c000000
	v_and_b32_e32 v1, 0x80000000, v1
	v_or3_b32 v0, v2, v1, v0
	buffer_store_dword v0, off, s[0:3], s32 offset:204 ; 4-byte Folded Spill
.LBB368_56:                             ;   in Loop: Header=BB368_10 Depth=1
	s_or_b32 exec_lo, exec_lo, s19
.LBB368_57:                             ;   in Loop: Header=BB368_10 Depth=1
	s_or_b32 exec_lo, exec_lo, s18
.LBB368_58:                             ;   in Loop: Header=BB368_10 Depth=1
	s_or_b32 exec_lo, exec_lo, s6
	v_mov_b32_e32 v0, 0xff
	s_mov_b32 s6, exec_lo
	v_and_b32_sdwa v0, v25, v0 dst_sel:DWORD dst_unused:UNUSED_PAD src0_sel:WORD_1 src1_sel:DWORD
	v_cmpx_ne_u16_e32 0, v0
	s_cbranch_execz .LBB368_66
; %bb.59:                               ;   in Loop: Header=BB368_10 Depth=1
	v_cmp_ne_u16_e64 s5, 0x80, v0
	v_bfrev_b32_e32 v0, 1
	buffer_store_dword v0, off, s[0:3], s32 offset:200 ; 4-byte Folded Spill
	s_and_saveexec_b32 s18, s5
	s_cbranch_execz .LBB368_65
; %bb.60:                               ;   in Loop: Header=BB368_10 Depth=1
	v_bfe_u32 v1, v25, 16, 7
	v_mov_b32_e32 v0, 0x7f800001
	s_mov_b32 s19, exec_lo
	buffer_store_dword v0, off, s[0:3], s32 offset:200 ; 4-byte Folded Spill
	v_cmpx_ne_u32_e32 0x7f, v1
	s_cbranch_execz .LBB368_64
; %bb.61:                               ;   in Loop: Header=BB368_10 Depth=1
	v_mov_b32_e32 v0, 7
	s_mov_b32 s20, exec_lo
	v_and_b32_sdwa v12, v25, v0 dst_sel:DWORD dst_unused:UNUSED_PAD src0_sel:WORD_1 src1_sel:DWORD
	v_mov_b32_e32 v27, v13
	v_lshrrev_b32_e32 v0, 3, v1
	v_mov_b32_e32 v26, v12
	v_cmpx_gt_u32_e32 8, v1
; %bb.62:                               ;   in Loop: Header=BB368_10 Depth=1
	v_ffbh_u32_e32 v0, v12
	v_min_u32_e32 v0, 32, v0
	v_subrev_nc_u32_e32 v1, 28, v0
	v_sub_nc_u32_e32 v0, 29, v0
	v_lshlrev_b64 v[1:2], v1, v[12:13]
	v_and_b32_e32 v26, 7, v1
; %bb.63:                               ;   in Loop: Header=BB368_10 Depth=1
	s_or_b32 exec_lo, exec_lo, s20
	v_mov_b32_e32 v1, 24
	v_lshlrev_b32_e32 v2, 20, v26
	v_lshl_add_u32 v0, v0, 23, 0x3c000000
	v_lshlrev_b32_sdwa v1, v1, v25 dst_sel:DWORD dst_unused:UNUSED_PAD src0_sel:DWORD src1_sel:WORD_1
	v_and_b32_e32 v1, 0x80000000, v1
	v_or3_b32 v0, v2, v1, v0
	buffer_store_dword v0, off, s[0:3], s32 offset:200 ; 4-byte Folded Spill
.LBB368_64:                             ;   in Loop: Header=BB368_10 Depth=1
	s_or_b32 exec_lo, exec_lo, s19
.LBB368_65:                             ;   in Loop: Header=BB368_10 Depth=1
	s_or_b32 exec_lo, exec_lo, s18
.LBB368_66:                             ;   in Loop: Header=BB368_10 Depth=1
	s_or_b32 exec_lo, exec_lo, s6
	v_mov_b32_e32 v0, 0
	s_mov_b32 s6, exec_lo
	buffer_store_dword v0, off, s[0:3], s32 offset:212 ; 4-byte Folded Spill
	v_mov_b32_e32 v0, 0
	buffer_store_dword v0, off, s[0:3], s32 offset:208 ; 4-byte Folded Spill
	v_cmpx_lt_u64_e64 s[8:9], v[24:25]
	s_cbranch_execz .LBB368_74
; %bb.67:                               ;   in Loop: Header=BB368_10 Depth=1
	v_mov_b32_e32 v0, 0x80
	v_cmp_ne_u32_sdwa s5, v25, v0 src0_sel:BYTE_3 src1_sel:DWORD
	v_bfrev_b32_e32 v0, 1
	buffer_store_dword v0, off, s[0:3], s32 offset:208 ; 4-byte Folded Spill
	s_and_saveexec_b32 s18, s5
	s_cbranch_execz .LBB368_73
; %bb.68:                               ;   in Loop: Header=BB368_10 Depth=1
	v_bfe_u32 v1, v25, 24, 7
	v_mov_b32_e32 v0, 0x7f800001
	s_mov_b32 s19, exec_lo
	buffer_store_dword v0, off, s[0:3], s32 offset:208 ; 4-byte Folded Spill
	v_cmpx_ne_u32_e32 0x7f, v1
	s_cbranch_execz .LBB368_72
; %bb.69:                               ;   in Loop: Header=BB368_10 Depth=1
	v_mov_b32_e32 v0, 7
	s_mov_b32 s20, exec_lo
	v_and_b32_sdwa v12, v25, v0 dst_sel:DWORD dst_unused:UNUSED_PAD src0_sel:BYTE_3 src1_sel:DWORD
	v_mov_b32_e32 v27, v13
	v_lshrrev_b32_e32 v0, 3, v1
	v_mov_b32_e32 v26, v12
	v_cmpx_gt_u32_e32 8, v1
; %bb.70:                               ;   in Loop: Header=BB368_10 Depth=1
	v_ffbh_u32_e32 v0, v12
	v_min_u32_e32 v0, 32, v0
	v_subrev_nc_u32_e32 v1, 28, v0
	v_sub_nc_u32_e32 v0, 29, v0
	v_lshlrev_b64 v[1:2], v1, v[12:13]
	v_and_b32_e32 v26, 7, v1
; %bb.71:                               ;   in Loop: Header=BB368_10 Depth=1
	s_or_b32 exec_lo, exec_lo, s20
	v_mov_b32_e32 v1, 24
	v_lshlrev_b32_e32 v2, 20, v26
	v_lshl_add_u32 v0, v0, 23, 0x3c000000
	v_lshlrev_b32_sdwa v1, v1, v25 dst_sel:DWORD dst_unused:UNUSED_PAD src0_sel:DWORD src1_sel:BYTE_3
	v_and_b32_e32 v1, 0x80000000, v1
	v_or3_b32 v0, v2, v1, v0
	buffer_store_dword v0, off, s[0:3], s32 offset:208 ; 4-byte Folded Spill
.LBB368_72:                             ;   in Loop: Header=BB368_10 Depth=1
	s_or_b32 exec_lo, exec_lo, s19
.LBB368_73:                             ;   in Loop: Header=BB368_10 Depth=1
	s_or_b32 exec_lo, exec_lo, s18
.LBB368_74:                             ;   in Loop: Header=BB368_10 Depth=1
	s_or_b32 exec_lo, exec_lo, s6
	flat_load_dwordx2 v[24:25], v[16:17] offset:8
	s_waitcnt vmcnt(0) lgkmcnt(0)
	v_cmp_ne_u16_sdwa s5, v24, v13 src0_sel:BYTE_0 src1_sel:DWORD
	s_and_saveexec_b32 s6, s5
	s_cbranch_execz .LBB368_82
; %bb.75:                               ;   in Loop: Header=BB368_10 Depth=1
	v_mov_b32_e32 v0, 0x80
	v_cmp_ne_u16_sdwa s5, v24, v0 src0_sel:BYTE_0 src1_sel:DWORD
	v_bfrev_b32_e32 v0, 1
	buffer_store_dword v0, off, s[0:3], s32 offset:212 ; 4-byte Folded Spill
	s_and_saveexec_b32 s18, s5
	s_cbranch_execz .LBB368_81
; %bb.76:                               ;   in Loop: Header=BB368_10 Depth=1
	v_and_b32_e32 v1, 0x7f, v24
	v_mov_b32_e32 v0, 0x7f800001
	s_mov_b32 s19, exec_lo
	buffer_store_dword v0, off, s[0:3], s32 offset:212 ; 4-byte Folded Spill
	v_cmpx_ne_u32_e32 0x7f, v1
	s_cbranch_execz .LBB368_80
; %bb.77:                               ;   in Loop: Header=BB368_10 Depth=1
	v_mov_b32_e32 v27, v25
	v_lshrrev_b32_e32 v0, 3, v1
	v_mov_b32_e32 v26, v24
	s_mov_b32 s20, exec_lo
	v_cmpx_gt_u32_e32 8, v1
; %bb.78:                               ;   in Loop: Header=BB368_10 Depth=1
	v_and_b32_e32 v0, 7, v24
	v_ffbh_u32_e32 v0, v0
	v_min_u32_e32 v0, 32, v0
	v_subrev_nc_u32_e32 v1, 28, v0
	v_sub_nc_u32_e32 v0, 29, v0
	v_lshlrev_b64 v[26:27], v1, v[24:25]
; %bb.79:                               ;   in Loop: Header=BB368_10 Depth=1
	s_or_b32 exec_lo, exec_lo, s20
	v_lshlrev_b32_e32 v1, 20, v26
	v_lshlrev_b32_e32 v2, 24, v24
	v_lshl_add_u32 v0, v0, 23, 0x3c000000
	v_and_b32_e32 v1, 0x700000, v1
	v_and_b32_e32 v2, 0x80000000, v2
	v_or3_b32 v0, v1, v2, v0
	buffer_store_dword v0, off, s[0:3], s32 offset:212 ; 4-byte Folded Spill
.LBB368_80:                             ;   in Loop: Header=BB368_10 Depth=1
	s_or_b32 exec_lo, exec_lo, s19
.LBB368_81:                             ;   in Loop: Header=BB368_10 Depth=1
	s_or_b32 exec_lo, exec_lo, s18
.LBB368_82:                             ;   in Loop: Header=BB368_10 Depth=1
	s_or_b32 exec_lo, exec_lo, s6
	v_mov_b32_e32 v0, 0
	v_cmp_ne_u16_sdwa s5, v24, v13 src0_sel:BYTE_1 src1_sel:DWORD
	buffer_store_dword v0, off, s[0:3], s32 offset:220 ; 4-byte Folded Spill
	v_mov_b32_e32 v0, 0
	buffer_store_dword v0, off, s[0:3], s32 offset:216 ; 4-byte Folded Spill
	s_and_saveexec_b32 s6, s5
	s_cbranch_execz .LBB368_90
; %bb.83:                               ;   in Loop: Header=BB368_10 Depth=1
	v_mov_b32_e32 v0, 0x80
	v_cmp_ne_u16_sdwa s5, v24, v0 src0_sel:BYTE_1 src1_sel:DWORD
	v_bfrev_b32_e32 v0, 1
	buffer_store_dword v0, off, s[0:3], s32 offset:216 ; 4-byte Folded Spill
	s_and_saveexec_b32 s18, s5
	s_cbranch_execz .LBB368_89
; %bb.84:                               ;   in Loop: Header=BB368_10 Depth=1
	v_mov_b32_e32 v0, 0xffff
	v_mov_b32_e32 v2, 0x7f800001
	s_mov_b32 s19, exec_lo
	v_and_b32_sdwa v0, v0, v24 dst_sel:DWORD dst_unused:UNUSED_PAD src0_sel:DWORD src1_sel:BYTE_1
	buffer_store_dword v2, off, s[0:3], s32 offset:216 ; 4-byte Folded Spill
	v_and_b32_e32 v1, 0x7f, v0
	v_cmpx_ne_u32_e32 0x7f, v1
	s_cbranch_execz .LBB368_88
; %bb.85:                               ;   in Loop: Header=BB368_10 Depth=1
	v_and_b32_e32 v12, 7, v0
	v_mov_b32_e32 v27, v13
	v_lshrrev_b32_e32 v0, 3, v1
	s_mov_b32 s20, exec_lo
	v_mov_b32_e32 v26, v12
	v_cmpx_gt_u32_e32 8, v1
; %bb.86:                               ;   in Loop: Header=BB368_10 Depth=1
	v_ffbh_u32_e32 v0, v12
	v_min_u32_e32 v0, 32, v0
	v_subrev_nc_u32_e32 v1, 28, v0
	v_sub_nc_u32_e32 v0, 29, v0
	v_lshlrev_b64 v[1:2], v1, v[12:13]
	v_and_b32_e32 v26, 7, v1
; %bb.87:                               ;   in Loop: Header=BB368_10 Depth=1
	s_or_b32 exec_lo, exec_lo, s20
	v_lshlrev_b32_e32 v1, 16, v24
	v_lshlrev_b32_e32 v2, 20, v26
	v_lshl_add_u32 v0, v0, 23, 0x3c000000
	v_and_b32_e32 v1, 0x80000000, v1
	v_or3_b32 v0, v2, v1, v0
	buffer_store_dword v0, off, s[0:3], s32 offset:216 ; 4-byte Folded Spill
.LBB368_88:                             ;   in Loop: Header=BB368_10 Depth=1
	s_or_b32 exec_lo, exec_lo, s19
.LBB368_89:                             ;   in Loop: Header=BB368_10 Depth=1
	s_or_b32 exec_lo, exec_lo, s18
.LBB368_90:                             ;   in Loop: Header=BB368_10 Depth=1
	s_or_b32 exec_lo, exec_lo, s6
	v_mov_b32_e32 v0, 0xff
	s_mov_b32 s6, exec_lo
	v_and_b32_sdwa v0, v24, v0 dst_sel:DWORD dst_unused:UNUSED_PAD src0_sel:WORD_1 src1_sel:DWORD
	v_cmpx_ne_u16_e32 0, v0
	s_cbranch_execz .LBB368_98
; %bb.91:                               ;   in Loop: Header=BB368_10 Depth=1
	v_cmp_ne_u16_e64 s5, 0x80, v0
	v_bfrev_b32_e32 v0, 1
	buffer_store_dword v0, off, s[0:3], s32 offset:220 ; 4-byte Folded Spill
	s_and_saveexec_b32 s18, s5
	s_cbranch_execz .LBB368_97
; %bb.92:                               ;   in Loop: Header=BB368_10 Depth=1
	v_bfe_u32 v1, v24, 16, 7
	v_mov_b32_e32 v0, 0x7f800001
	s_mov_b32 s19, exec_lo
	buffer_store_dword v0, off, s[0:3], s32 offset:220 ; 4-byte Folded Spill
	v_cmpx_ne_u32_e32 0x7f, v1
	s_cbranch_execz .LBB368_96
; %bb.93:                               ;   in Loop: Header=BB368_10 Depth=1
	v_mov_b32_e32 v0, 7
	s_mov_b32 s20, exec_lo
	v_and_b32_sdwa v12, v24, v0 dst_sel:DWORD dst_unused:UNUSED_PAD src0_sel:WORD_1 src1_sel:DWORD
	v_mov_b32_e32 v27, v13
	v_lshrrev_b32_e32 v0, 3, v1
	v_mov_b32_e32 v26, v12
	v_cmpx_gt_u32_e32 8, v1
; %bb.94:                               ;   in Loop: Header=BB368_10 Depth=1
	v_ffbh_u32_e32 v0, v12
	v_min_u32_e32 v0, 32, v0
	v_subrev_nc_u32_e32 v1, 28, v0
	v_sub_nc_u32_e32 v0, 29, v0
	v_lshlrev_b64 v[1:2], v1, v[12:13]
	v_and_b32_e32 v26, 7, v1
; %bb.95:                               ;   in Loop: Header=BB368_10 Depth=1
	s_or_b32 exec_lo, exec_lo, s20
	v_mov_b32_e32 v1, 24
	v_lshlrev_b32_e32 v2, 20, v26
	v_lshl_add_u32 v0, v0, 23, 0x3c000000
	v_lshlrev_b32_sdwa v1, v1, v24 dst_sel:DWORD dst_unused:UNUSED_PAD src0_sel:DWORD src1_sel:WORD_1
	v_and_b32_e32 v1, 0x80000000, v1
	v_or3_b32 v0, v2, v1, v0
	buffer_store_dword v0, off, s[0:3], s32 offset:220 ; 4-byte Folded Spill
.LBB368_96:                             ;   in Loop: Header=BB368_10 Depth=1
	s_or_b32 exec_lo, exec_lo, s19
.LBB368_97:                             ;   in Loop: Header=BB368_10 Depth=1
	s_or_b32 exec_lo, exec_lo, s18
.LBB368_98:                             ;   in Loop: Header=BB368_10 Depth=1
	s_or_b32 exec_lo, exec_lo, s6
	v_mov_b32_e32 v0, 0
	s_mov_b32 s6, exec_lo
	buffer_store_dword v0, off, s[0:3], s32 offset:228 ; 4-byte Folded Spill
	v_mov_b32_e32 v0, 0
	buffer_store_dword v0, off, s[0:3], s32 offset:224 ; 4-byte Folded Spill
	v_cmpx_lt_u32_e32 0xffffff, v24
	s_cbranch_execz .LBB368_106
; %bb.99:                               ;   in Loop: Header=BB368_10 Depth=1
	v_mov_b32_e32 v0, 0x80
	v_cmp_ne_u32_sdwa s5, v24, v0 src0_sel:BYTE_3 src1_sel:DWORD
	v_bfrev_b32_e32 v0, 1
	buffer_store_dword v0, off, s[0:3], s32 offset:224 ; 4-byte Folded Spill
	s_and_saveexec_b32 s18, s5
	s_cbranch_execz .LBB368_105
; %bb.100:                              ;   in Loop: Header=BB368_10 Depth=1
	v_bfe_u32 v1, v24, 24, 7
	v_mov_b32_e32 v0, 0x7f800001
	s_mov_b32 s19, exec_lo
	buffer_store_dword v0, off, s[0:3], s32 offset:224 ; 4-byte Folded Spill
	v_cmpx_ne_u32_e32 0x7f, v1
	s_cbranch_execz .LBB368_104
; %bb.101:                              ;   in Loop: Header=BB368_10 Depth=1
	v_mov_b32_e32 v0, 7
	s_mov_b32 s20, exec_lo
	v_and_b32_sdwa v12, v24, v0 dst_sel:DWORD dst_unused:UNUSED_PAD src0_sel:BYTE_3 src1_sel:DWORD
	v_mov_b32_e32 v27, v13
	v_lshrrev_b32_e32 v0, 3, v1
	v_mov_b32_e32 v26, v12
	v_cmpx_gt_u32_e32 8, v1
; %bb.102:                              ;   in Loop: Header=BB368_10 Depth=1
	v_ffbh_u32_e32 v0, v12
	v_min_u32_e32 v0, 32, v0
	v_subrev_nc_u32_e32 v1, 28, v0
	v_sub_nc_u32_e32 v0, 29, v0
	v_lshlrev_b64 v[1:2], v1, v[12:13]
	v_and_b32_e32 v26, 7, v1
; %bb.103:                              ;   in Loop: Header=BB368_10 Depth=1
	s_or_b32 exec_lo, exec_lo, s20
	v_mov_b32_e32 v1, 24
	v_lshlrev_b32_e32 v2, 20, v26
	v_lshl_add_u32 v0, v0, 23, 0x3c000000
	v_lshlrev_b32_sdwa v1, v1, v24 dst_sel:DWORD dst_unused:UNUSED_PAD src0_sel:DWORD src1_sel:BYTE_3
	v_and_b32_e32 v1, 0x80000000, v1
	v_or3_b32 v0, v2, v1, v0
	buffer_store_dword v0, off, s[0:3], s32 offset:224 ; 4-byte Folded Spill
.LBB368_104:                            ;   in Loop: Header=BB368_10 Depth=1
	s_or_b32 exec_lo, exec_lo, s19
.LBB368_105:                            ;   in Loop: Header=BB368_10 Depth=1
	s_or_b32 exec_lo, exec_lo, s18
.LBB368_106:                            ;   in Loop: Header=BB368_10 Depth=1
	s_or_b32 exec_lo, exec_lo, s6
	v_mov_b32_e32 v12, v25
	v_cmp_ne_u16_sdwa s5, v25, v13 src0_sel:BYTE_0 src1_sel:DWORD
	s_and_saveexec_b32 s6, s5
	s_cbranch_execz .LBB368_114
; %bb.107:                              ;   in Loop: Header=BB368_10 Depth=1
	v_mov_b32_e32 v0, 0x80
	v_cmp_ne_u16_sdwa s5, v25, v0 src0_sel:BYTE_0 src1_sel:DWORD
	v_bfrev_b32_e32 v0, 1
	buffer_store_dword v0, off, s[0:3], s32 offset:228 ; 4-byte Folded Spill
	s_and_saveexec_b32 s18, s5
	s_cbranch_execz .LBB368_113
; %bb.108:                              ;   in Loop: Header=BB368_10 Depth=1
	v_and_b32_e32 v1, 0x7f, v25
	v_mov_b32_e32 v0, 0x7f800001
	s_mov_b32 s19, exec_lo
	buffer_store_dword v0, off, s[0:3], s32 offset:228 ; 4-byte Folded Spill
	v_cmpx_ne_u32_e32 0x7f, v1
	s_cbranch_execz .LBB368_112
; %bb.109:                              ;   in Loop: Header=BB368_10 Depth=1
	v_mov_b32_e32 v27, v13
	v_lshrrev_b32_e32 v0, 3, v1
	v_mov_b32_e32 v26, v12
	s_mov_b32 s20, exec_lo
	v_cmpx_gt_u32_e32 8, v1
; %bb.110:                              ;   in Loop: Header=BB368_10 Depth=1
	v_and_b32_e32 v0, 7, v25
	v_ffbh_u32_e32 v0, v0
	v_min_u32_e32 v0, 32, v0
	v_subrev_nc_u32_e32 v1, 28, v0
	v_sub_nc_u32_e32 v0, 29, v0
	v_lshlrev_b64 v[26:27], v1, v[12:13]
; %bb.111:                              ;   in Loop: Header=BB368_10 Depth=1
	s_or_b32 exec_lo, exec_lo, s20
	v_lshlrev_b32_e32 v1, 20, v26
	v_lshlrev_b32_e32 v2, 24, v12
	v_lshl_add_u32 v0, v0, 23, 0x3c000000
	v_and_b32_e32 v1, 0x700000, v1
	v_and_b32_e32 v2, 0x80000000, v2
	v_or3_b32 v0, v1, v2, v0
	buffer_store_dword v0, off, s[0:3], s32 offset:228 ; 4-byte Folded Spill
.LBB368_112:                            ;   in Loop: Header=BB368_10 Depth=1
	s_or_b32 exec_lo, exec_lo, s19
.LBB368_113:                            ;   in Loop: Header=BB368_10 Depth=1
	s_or_b32 exec_lo, exec_lo, s18
.LBB368_114:                            ;   in Loop: Header=BB368_10 Depth=1
	s_or_b32 exec_lo, exec_lo, s6
	v_mov_b32_e32 v0, 0
	v_cmp_ne_u16_sdwa s5, v12, v13 src0_sel:BYTE_1 src1_sel:DWORD
	buffer_store_dword v0, off, s[0:3], s32 offset:232 ; 4-byte Folded Spill
	v_mov_b32_e32 v0, 0
	buffer_store_dword v0, off, s[0:3], s32 offset:236 ; 4-byte Folded Spill
	s_and_saveexec_b32 s6, s5
	s_cbranch_execz .LBB368_122
; %bb.115:                              ;   in Loop: Header=BB368_10 Depth=1
	v_mov_b32_e32 v0, 0x80
	v_cmp_ne_u16_sdwa s5, v12, v0 src0_sel:BYTE_1 src1_sel:DWORD
	v_bfrev_b32_e32 v0, 1
	buffer_store_dword v0, off, s[0:3], s32 offset:236 ; 4-byte Folded Spill
	s_and_saveexec_b32 s18, s5
	s_cbranch_execz .LBB368_121
; %bb.116:                              ;   in Loop: Header=BB368_10 Depth=1
	v_mov_b32_e32 v0, 0xffff
	v_mov_b32_e32 v2, 0x7f800001
	s_mov_b32 s19, exec_lo
	v_and_b32_sdwa v0, v0, v12 dst_sel:DWORD dst_unused:UNUSED_PAD src0_sel:DWORD src1_sel:BYTE_1
	buffer_store_dword v2, off, s[0:3], s32 offset:236 ; 4-byte Folded Spill
	v_and_b32_e32 v1, 0x7f, v0
	v_cmpx_ne_u32_e32 0x7f, v1
	s_cbranch_execz .LBB368_120
; %bb.117:                              ;   in Loop: Header=BB368_10 Depth=1
	v_and_b32_e32 v26, 7, v0
	v_mov_b32_e32 v27, v13
	v_lshrrev_b32_e32 v0, 3, v1
	s_mov_b32 s20, exec_lo
	v_cmpx_gt_u32_e32 8, v1
; %bb.118:                              ;   in Loop: Header=BB368_10 Depth=1
	v_ffbh_u32_e32 v0, v26
	v_min_u32_e32 v0, 32, v0
	v_subrev_nc_u32_e32 v1, 28, v0
	v_sub_nc_u32_e32 v0, 29, v0
	v_lshlrev_b64 v[1:2], v1, v[26:27]
	v_and_b32_e32 v26, 7, v1
; %bb.119:                              ;   in Loop: Header=BB368_10 Depth=1
	s_or_b32 exec_lo, exec_lo, s20
	v_lshlrev_b32_e32 v1, 16, v12
	v_lshlrev_b32_e32 v2, 20, v26
	v_lshl_add_u32 v0, v0, 23, 0x3c000000
	v_and_b32_e32 v1, 0x80000000, v1
	v_or3_b32 v0, v2, v1, v0
	buffer_store_dword v0, off, s[0:3], s32 offset:236 ; 4-byte Folded Spill
.LBB368_120:                            ;   in Loop: Header=BB368_10 Depth=1
	s_or_b32 exec_lo, exec_lo, s19
.LBB368_121:                            ;   in Loop: Header=BB368_10 Depth=1
	s_or_b32 exec_lo, exec_lo, s18
.LBB368_122:                            ;   in Loop: Header=BB368_10 Depth=1
	s_or_b32 exec_lo, exec_lo, s6
	v_mov_b32_e32 v0, 0xff
	s_mov_b32 s6, exec_lo
	v_and_b32_sdwa v0, v25, v0 dst_sel:DWORD dst_unused:UNUSED_PAD src0_sel:WORD_1 src1_sel:DWORD
	v_cmpx_ne_u16_e32 0, v0
	s_cbranch_execz .LBB368_130
; %bb.123:                              ;   in Loop: Header=BB368_10 Depth=1
	v_cmp_ne_u16_e64 s5, 0x80, v0
	v_bfrev_b32_e32 v0, 1
	buffer_store_dword v0, off, s[0:3], s32 offset:232 ; 4-byte Folded Spill
	s_and_saveexec_b32 s18, s5
	s_cbranch_execz .LBB368_129
; %bb.124:                              ;   in Loop: Header=BB368_10 Depth=1
	v_bfe_u32 v1, v25, 16, 7
	v_mov_b32_e32 v0, 0x7f800001
	s_mov_b32 s19, exec_lo
	buffer_store_dword v0, off, s[0:3], s32 offset:232 ; 4-byte Folded Spill
	v_cmpx_ne_u32_e32 0x7f, v1
	s_cbranch_execz .LBB368_128
; %bb.125:                              ;   in Loop: Header=BB368_10 Depth=1
	v_mov_b32_e32 v0, 7
	s_mov_b32 s20, exec_lo
	v_and_b32_sdwa v12, v25, v0 dst_sel:DWORD dst_unused:UNUSED_PAD src0_sel:WORD_1 src1_sel:DWORD
	v_mov_b32_e32 v27, v13
	v_lshrrev_b32_e32 v0, 3, v1
	v_mov_b32_e32 v26, v12
	v_cmpx_gt_u32_e32 8, v1
; %bb.126:                              ;   in Loop: Header=BB368_10 Depth=1
	v_ffbh_u32_e32 v0, v12
	v_min_u32_e32 v0, 32, v0
	v_subrev_nc_u32_e32 v1, 28, v0
	v_sub_nc_u32_e32 v0, 29, v0
	v_lshlrev_b64 v[1:2], v1, v[12:13]
	v_and_b32_e32 v26, 7, v1
; %bb.127:                              ;   in Loop: Header=BB368_10 Depth=1
	s_or_b32 exec_lo, exec_lo, s20
	v_mov_b32_e32 v1, 24
	v_lshlrev_b32_e32 v2, 20, v26
	v_lshl_add_u32 v0, v0, 23, 0x3c000000
	v_lshlrev_b32_sdwa v1, v1, v25 dst_sel:DWORD dst_unused:UNUSED_PAD src0_sel:DWORD src1_sel:WORD_1
	v_and_b32_e32 v1, 0x80000000, v1
	v_or3_b32 v0, v2, v1, v0
	buffer_store_dword v0, off, s[0:3], s32 offset:232 ; 4-byte Folded Spill
.LBB368_128:                            ;   in Loop: Header=BB368_10 Depth=1
	s_or_b32 exec_lo, exec_lo, s19
.LBB368_129:                            ;   in Loop: Header=BB368_10 Depth=1
	s_or_b32 exec_lo, exec_lo, s18
.LBB368_130:                            ;   in Loop: Header=BB368_10 Depth=1
	s_or_b32 exec_lo, exec_lo, s6
	v_mov_b32_e32 v0, 0
	s_mov_b32 s6, exec_lo
	buffer_store_dword v0, off, s[0:3], s32 offset:244 ; 4-byte Folded Spill
	v_mov_b32_e32 v0, 0
	buffer_store_dword v0, off, s[0:3], s32 offset:240 ; 4-byte Folded Spill
	v_cmpx_lt_u64_e64 s[8:9], v[24:25]
	s_cbranch_execz .LBB368_138
; %bb.131:                              ;   in Loop: Header=BB368_10 Depth=1
	v_mov_b32_e32 v0, 0x80
	v_cmp_ne_u32_sdwa s5, v25, v0 src0_sel:BYTE_3 src1_sel:DWORD
	v_bfrev_b32_e32 v0, 1
	buffer_store_dword v0, off, s[0:3], s32 offset:240 ; 4-byte Folded Spill
	s_and_saveexec_b32 s18, s5
	s_cbranch_execz .LBB368_137
; %bb.132:                              ;   in Loop: Header=BB368_10 Depth=1
	v_bfe_u32 v1, v25, 24, 7
	v_mov_b32_e32 v0, 0x7f800001
	s_mov_b32 s19, exec_lo
	buffer_store_dword v0, off, s[0:3], s32 offset:240 ; 4-byte Folded Spill
	v_cmpx_ne_u32_e32 0x7f, v1
	s_cbranch_execz .LBB368_136
; %bb.133:                              ;   in Loop: Header=BB368_10 Depth=1
	v_mov_b32_e32 v0, 7
	s_mov_b32 s20, exec_lo
	v_and_b32_sdwa v12, v25, v0 dst_sel:DWORD dst_unused:UNUSED_PAD src0_sel:BYTE_3 src1_sel:DWORD
	v_mov_b32_e32 v27, v13
	v_lshrrev_b32_e32 v0, 3, v1
	v_mov_b32_e32 v26, v12
	v_cmpx_gt_u32_e32 8, v1
; %bb.134:                              ;   in Loop: Header=BB368_10 Depth=1
	v_ffbh_u32_e32 v0, v12
	v_min_u32_e32 v0, 32, v0
	v_subrev_nc_u32_e32 v1, 28, v0
	v_sub_nc_u32_e32 v0, 29, v0
	v_lshlrev_b64 v[1:2], v1, v[12:13]
	v_and_b32_e32 v26, 7, v1
; %bb.135:                              ;   in Loop: Header=BB368_10 Depth=1
	s_or_b32 exec_lo, exec_lo, s20
	v_mov_b32_e32 v1, 24
	v_lshlrev_b32_e32 v2, 20, v26
	v_lshl_add_u32 v0, v0, 23, 0x3c000000
	v_lshlrev_b32_sdwa v1, v1, v25 dst_sel:DWORD dst_unused:UNUSED_PAD src0_sel:DWORD src1_sel:BYTE_3
	v_and_b32_e32 v1, 0x80000000, v1
	v_or3_b32 v0, v2, v1, v0
	buffer_store_dword v0, off, s[0:3], s32 offset:240 ; 4-byte Folded Spill
.LBB368_136:                            ;   in Loop: Header=BB368_10 Depth=1
	s_or_b32 exec_lo, exec_lo, s19
.LBB368_137:                            ;   in Loop: Header=BB368_10 Depth=1
	s_or_b32 exec_lo, exec_lo, s18
.LBB368_138:                            ;   in Loop: Header=BB368_10 Depth=1
	s_or_b32 exec_lo, exec_lo, s6
	flat_load_dwordx2 v[24:25], v[16:17] offset:512
	s_waitcnt vmcnt(0) lgkmcnt(0)
	v_cmp_ne_u16_sdwa s5, v24, v13 src0_sel:BYTE_0 src1_sel:DWORD
	s_and_saveexec_b32 s6, s5
	s_cbranch_execz .LBB368_146
; %bb.139:                              ;   in Loop: Header=BB368_10 Depth=1
	v_mov_b32_e32 v0, 0x80
	v_cmp_ne_u16_sdwa s5, v24, v0 src0_sel:BYTE_0 src1_sel:DWORD
	v_bfrev_b32_e32 v0, 1
	buffer_store_dword v0, off, s[0:3], s32 offset:244 ; 4-byte Folded Spill
	s_and_saveexec_b32 s18, s5
	s_cbranch_execz .LBB368_145
; %bb.140:                              ;   in Loop: Header=BB368_10 Depth=1
	v_and_b32_e32 v1, 0x7f, v24
	v_mov_b32_e32 v0, 0x7f800001
	s_mov_b32 s19, exec_lo
	buffer_store_dword v0, off, s[0:3], s32 offset:244 ; 4-byte Folded Spill
	v_cmpx_ne_u32_e32 0x7f, v1
	s_cbranch_execz .LBB368_144
; %bb.141:                              ;   in Loop: Header=BB368_10 Depth=1
	v_mov_b32_e32 v27, v25
	v_lshrrev_b32_e32 v0, 3, v1
	v_mov_b32_e32 v26, v24
	s_mov_b32 s20, exec_lo
	v_cmpx_gt_u32_e32 8, v1
; %bb.142:                              ;   in Loop: Header=BB368_10 Depth=1
	v_and_b32_e32 v0, 7, v24
	v_ffbh_u32_e32 v0, v0
	v_min_u32_e32 v0, 32, v0
	v_subrev_nc_u32_e32 v1, 28, v0
	v_sub_nc_u32_e32 v0, 29, v0
	v_lshlrev_b64 v[26:27], v1, v[24:25]
; %bb.143:                              ;   in Loop: Header=BB368_10 Depth=1
	s_or_b32 exec_lo, exec_lo, s20
	v_lshlrev_b32_e32 v1, 20, v26
	v_lshlrev_b32_e32 v2, 24, v24
	v_lshl_add_u32 v0, v0, 23, 0x3c000000
	v_and_b32_e32 v1, 0x700000, v1
	v_and_b32_e32 v2, 0x80000000, v2
	v_or3_b32 v0, v1, v2, v0
	buffer_store_dword v0, off, s[0:3], s32 offset:244 ; 4-byte Folded Spill
.LBB368_144:                            ;   in Loop: Header=BB368_10 Depth=1
	s_or_b32 exec_lo, exec_lo, s19
.LBB368_145:                            ;   in Loop: Header=BB368_10 Depth=1
	s_or_b32 exec_lo, exec_lo, s18
.LBB368_146:                            ;   in Loop: Header=BB368_10 Depth=1
	s_or_b32 exec_lo, exec_lo, s6
	v_mov_b32_e32 v0, 0
	v_cmp_ne_u16_sdwa s5, v24, v13 src0_sel:BYTE_1 src1_sel:DWORD
	buffer_store_dword v0, off, s[0:3], s32 offset:252 ; 4-byte Folded Spill
	v_mov_b32_e32 v0, 0
	buffer_store_dword v0, off, s[0:3], s32 offset:248 ; 4-byte Folded Spill
	s_and_saveexec_b32 s6, s5
	s_cbranch_execz .LBB368_154
; %bb.147:                              ;   in Loop: Header=BB368_10 Depth=1
	v_mov_b32_e32 v0, 0x80
	v_cmp_ne_u16_sdwa s5, v24, v0 src0_sel:BYTE_1 src1_sel:DWORD
	v_bfrev_b32_e32 v0, 1
	buffer_store_dword v0, off, s[0:3], s32 offset:248 ; 4-byte Folded Spill
	s_and_saveexec_b32 s18, s5
	s_cbranch_execz .LBB368_153
; %bb.148:                              ;   in Loop: Header=BB368_10 Depth=1
	v_mov_b32_e32 v0, 0xffff
	v_mov_b32_e32 v2, 0x7f800001
	s_mov_b32 s19, exec_lo
	v_and_b32_sdwa v0, v0, v24 dst_sel:DWORD dst_unused:UNUSED_PAD src0_sel:DWORD src1_sel:BYTE_1
	buffer_store_dword v2, off, s[0:3], s32 offset:248 ; 4-byte Folded Spill
	v_and_b32_e32 v1, 0x7f, v0
	v_cmpx_ne_u32_e32 0x7f, v1
	s_cbranch_execz .LBB368_152
; %bb.149:                              ;   in Loop: Header=BB368_10 Depth=1
	v_and_b32_e32 v12, 7, v0
	v_mov_b32_e32 v27, v13
	v_lshrrev_b32_e32 v0, 3, v1
	s_mov_b32 s20, exec_lo
	v_mov_b32_e32 v26, v12
	v_cmpx_gt_u32_e32 8, v1
; %bb.150:                              ;   in Loop: Header=BB368_10 Depth=1
	v_ffbh_u32_e32 v0, v12
	v_min_u32_e32 v0, 32, v0
	v_subrev_nc_u32_e32 v1, 28, v0
	v_sub_nc_u32_e32 v0, 29, v0
	v_lshlrev_b64 v[1:2], v1, v[12:13]
	v_and_b32_e32 v26, 7, v1
; %bb.151:                              ;   in Loop: Header=BB368_10 Depth=1
	s_or_b32 exec_lo, exec_lo, s20
	v_lshlrev_b32_e32 v1, 16, v24
	v_lshlrev_b32_e32 v2, 20, v26
	v_lshl_add_u32 v0, v0, 23, 0x3c000000
	v_and_b32_e32 v1, 0x80000000, v1
	v_or3_b32 v0, v2, v1, v0
	buffer_store_dword v0, off, s[0:3], s32 offset:248 ; 4-byte Folded Spill
.LBB368_152:                            ;   in Loop: Header=BB368_10 Depth=1
	s_or_b32 exec_lo, exec_lo, s19
.LBB368_153:                            ;   in Loop: Header=BB368_10 Depth=1
	s_or_b32 exec_lo, exec_lo, s18
.LBB368_154:                            ;   in Loop: Header=BB368_10 Depth=1
	s_or_b32 exec_lo, exec_lo, s6
	v_mov_b32_e32 v0, 0xff
	s_mov_b32 s6, exec_lo
	v_and_b32_sdwa v0, v24, v0 dst_sel:DWORD dst_unused:UNUSED_PAD src0_sel:WORD_1 src1_sel:DWORD
	v_cmpx_ne_u16_e32 0, v0
	s_cbranch_execz .LBB368_162
; %bb.155:                              ;   in Loop: Header=BB368_10 Depth=1
	v_cmp_ne_u16_e64 s5, 0x80, v0
	v_bfrev_b32_e32 v0, 1
	buffer_store_dword v0, off, s[0:3], s32 offset:252 ; 4-byte Folded Spill
	s_and_saveexec_b32 s18, s5
	s_cbranch_execz .LBB368_161
; %bb.156:                              ;   in Loop: Header=BB368_10 Depth=1
	v_bfe_u32 v1, v24, 16, 7
	v_mov_b32_e32 v0, 0x7f800001
	s_mov_b32 s19, exec_lo
	buffer_store_dword v0, off, s[0:3], s32 offset:252 ; 4-byte Folded Spill
	v_cmpx_ne_u32_e32 0x7f, v1
	s_cbranch_execz .LBB368_160
; %bb.157:                              ;   in Loop: Header=BB368_10 Depth=1
	v_mov_b32_e32 v0, 7
	s_mov_b32 s20, exec_lo
	v_and_b32_sdwa v12, v24, v0 dst_sel:DWORD dst_unused:UNUSED_PAD src0_sel:WORD_1 src1_sel:DWORD
	v_mov_b32_e32 v27, v13
	v_lshrrev_b32_e32 v0, 3, v1
	v_mov_b32_e32 v26, v12
	v_cmpx_gt_u32_e32 8, v1
; %bb.158:                              ;   in Loop: Header=BB368_10 Depth=1
	v_ffbh_u32_e32 v0, v12
	v_min_u32_e32 v0, 32, v0
	v_subrev_nc_u32_e32 v1, 28, v0
	v_sub_nc_u32_e32 v0, 29, v0
	v_lshlrev_b64 v[1:2], v1, v[12:13]
	v_and_b32_e32 v26, 7, v1
; %bb.159:                              ;   in Loop: Header=BB368_10 Depth=1
	s_or_b32 exec_lo, exec_lo, s20
	v_mov_b32_e32 v1, 24
	v_lshlrev_b32_e32 v2, 20, v26
	v_lshl_add_u32 v0, v0, 23, 0x3c000000
	v_lshlrev_b32_sdwa v1, v1, v24 dst_sel:DWORD dst_unused:UNUSED_PAD src0_sel:DWORD src1_sel:WORD_1
	v_and_b32_e32 v1, 0x80000000, v1
	v_or3_b32 v0, v2, v1, v0
	buffer_store_dword v0, off, s[0:3], s32 offset:252 ; 4-byte Folded Spill
.LBB368_160:                            ;   in Loop: Header=BB368_10 Depth=1
	s_or_b32 exec_lo, exec_lo, s19
.LBB368_161:                            ;   in Loop: Header=BB368_10 Depth=1
	s_or_b32 exec_lo, exec_lo, s18
.LBB368_162:                            ;   in Loop: Header=BB368_10 Depth=1
	s_or_b32 exec_lo, exec_lo, s6
	v_mov_b32_e32 v44, 0
	v_mov_b32_e32 v43, 0
	s_mov_b32 s6, exec_lo
	v_cmpx_lt_u32_e32 0xffffff, v24
	s_cbranch_execz .LBB368_170
; %bb.163:                              ;   in Loop: Header=BB368_10 Depth=1
	v_mov_b32_e32 v0, 0x80
	v_bfrev_b32_e32 v43, 1
	v_cmp_ne_u32_sdwa s5, v24, v0 src0_sel:BYTE_3 src1_sel:DWORD
	s_and_saveexec_b32 s18, s5
	s_cbranch_execz .LBB368_169
; %bb.164:                              ;   in Loop: Header=BB368_10 Depth=1
	v_bfe_u32 v1, v24, 24, 7
	v_mov_b32_e32 v43, 0x7f800001
	s_mov_b32 s19, exec_lo
	v_cmpx_ne_u32_e32 0x7f, v1
	s_cbranch_execz .LBB368_168
; %bb.165:                              ;   in Loop: Header=BB368_10 Depth=1
	v_mov_b32_e32 v0, 7
	s_mov_b32 s20, exec_lo
	v_and_b32_sdwa v12, v24, v0 dst_sel:DWORD dst_unused:UNUSED_PAD src0_sel:BYTE_3 src1_sel:DWORD
	v_mov_b32_e32 v27, v13
	v_lshrrev_b32_e32 v0, 3, v1
	v_mov_b32_e32 v26, v12
	v_cmpx_gt_u32_e32 8, v1
; %bb.166:                              ;   in Loop: Header=BB368_10 Depth=1
	v_ffbh_u32_e32 v0, v12
	v_min_u32_e32 v0, 32, v0
	v_subrev_nc_u32_e32 v1, 28, v0
	v_sub_nc_u32_e32 v0, 29, v0
	v_lshlrev_b64 v[1:2], v1, v[12:13]
	v_and_b32_e32 v26, 7, v1
; %bb.167:                              ;   in Loop: Header=BB368_10 Depth=1
	s_or_b32 exec_lo, exec_lo, s20
	v_mov_b32_e32 v1, 24
	v_lshlrev_b32_e32 v2, 20, v26
	v_lshl_add_u32 v0, v0, 23, 0x3c000000
	v_lshlrev_b32_sdwa v1, v1, v24 dst_sel:DWORD dst_unused:UNUSED_PAD src0_sel:DWORD src1_sel:BYTE_3
	v_and_b32_e32 v1, 0x80000000, v1
	v_or3_b32 v43, v2, v1, v0
.LBB368_168:                            ;   in Loop: Header=BB368_10 Depth=1
	s_or_b32 exec_lo, exec_lo, s19
.LBB368_169:                            ;   in Loop: Header=BB368_10 Depth=1
	s_or_b32 exec_lo, exec_lo, s18
.LBB368_170:                            ;   in Loop: Header=BB368_10 Depth=1
	s_or_b32 exec_lo, exec_lo, s6
	v_mov_b32_e32 v12, v25
	v_cmp_ne_u16_sdwa s5, v25, v13 src0_sel:BYTE_0 src1_sel:DWORD
	s_and_saveexec_b32 s6, s5
	s_cbranch_execz .LBB368_178
; %bb.171:                              ;   in Loop: Header=BB368_10 Depth=1
	v_mov_b32_e32 v0, 0x80
	v_bfrev_b32_e32 v44, 1
	v_cmp_ne_u16_sdwa s5, v25, v0 src0_sel:BYTE_0 src1_sel:DWORD
	s_and_saveexec_b32 s18, s5
	s_cbranch_execz .LBB368_177
; %bb.172:                              ;   in Loop: Header=BB368_10 Depth=1
	v_and_b32_e32 v1, 0x7f, v25
	v_mov_b32_e32 v44, 0x7f800001
	s_mov_b32 s19, exec_lo
	v_cmpx_ne_u32_e32 0x7f, v1
	s_cbranch_execz .LBB368_176
; %bb.173:                              ;   in Loop: Header=BB368_10 Depth=1
	v_mov_b32_e32 v27, v13
	v_lshrrev_b32_e32 v0, 3, v1
	v_mov_b32_e32 v26, v12
	s_mov_b32 s20, exec_lo
	v_cmpx_gt_u32_e32 8, v1
; %bb.174:                              ;   in Loop: Header=BB368_10 Depth=1
	v_and_b32_e32 v0, 7, v25
	v_ffbh_u32_e32 v0, v0
	v_min_u32_e32 v0, 32, v0
	v_subrev_nc_u32_e32 v1, 28, v0
	v_sub_nc_u32_e32 v0, 29, v0
	v_lshlrev_b64 v[26:27], v1, v[12:13]
; %bb.175:                              ;   in Loop: Header=BB368_10 Depth=1
	s_or_b32 exec_lo, exec_lo, s20
	v_lshlrev_b32_e32 v1, 20, v26
	v_lshlrev_b32_e32 v2, 24, v12
	v_lshl_add_u32 v0, v0, 23, 0x3c000000
	v_and_b32_e32 v1, 0x700000, v1
	v_and_b32_e32 v2, 0x80000000, v2
	v_or3_b32 v44, v1, v2, v0
.LBB368_176:                            ;   in Loop: Header=BB368_10 Depth=1
	s_or_b32 exec_lo, exec_lo, s19
.LBB368_177:                            ;   in Loop: Header=BB368_10 Depth=1
	s_or_b32 exec_lo, exec_lo, s18
.LBB368_178:                            ;   in Loop: Header=BB368_10 Depth=1
	s_or_b32 exec_lo, exec_lo, s6
	v_cmp_ne_u16_sdwa s5, v12, v13 src0_sel:BYTE_1 src1_sel:DWORD
	v_mov_b32_e32 v9, 0
	v_mov_b32_e32 v45, 0
	s_and_saveexec_b32 s6, s5
	s_cbranch_execz .LBB368_186
; %bb.179:                              ;   in Loop: Header=BB368_10 Depth=1
	v_mov_b32_e32 v0, 0x80
	v_bfrev_b32_e32 v45, 1
	v_cmp_ne_u16_sdwa s5, v12, v0 src0_sel:BYTE_1 src1_sel:DWORD
	s_and_saveexec_b32 s18, s5
	s_cbranch_execz .LBB368_185
; %bb.180:                              ;   in Loop: Header=BB368_10 Depth=1
	v_mov_b32_e32 v0, 0xffff
	v_mov_b32_e32 v45, 0x7f800001
	s_mov_b32 s19, exec_lo
	v_and_b32_sdwa v0, v0, v12 dst_sel:DWORD dst_unused:UNUSED_PAD src0_sel:DWORD src1_sel:BYTE_1
	v_and_b32_e32 v1, 0x7f, v0
	v_cmpx_ne_u32_e32 0x7f, v1
	s_cbranch_execz .LBB368_184
; %bb.181:                              ;   in Loop: Header=BB368_10 Depth=1
	v_and_b32_e32 v26, 7, v0
	v_mov_b32_e32 v27, v13
	v_lshrrev_b32_e32 v0, 3, v1
	s_mov_b32 s20, exec_lo
	v_cmpx_gt_u32_e32 8, v1
; %bb.182:                              ;   in Loop: Header=BB368_10 Depth=1
	v_ffbh_u32_e32 v0, v26
	v_min_u32_e32 v0, 32, v0
	v_subrev_nc_u32_e32 v1, 28, v0
	v_sub_nc_u32_e32 v0, 29, v0
	v_lshlrev_b64 v[1:2], v1, v[26:27]
	v_and_b32_e32 v26, 7, v1
; %bb.183:                              ;   in Loop: Header=BB368_10 Depth=1
	s_or_b32 exec_lo, exec_lo, s20
	v_lshlrev_b32_e32 v1, 16, v12
	v_lshlrev_b32_e32 v2, 20, v26
	v_lshl_add_u32 v0, v0, 23, 0x3c000000
	v_and_b32_e32 v1, 0x80000000, v1
	v_or3_b32 v45, v2, v1, v0
.LBB368_184:                            ;   in Loop: Header=BB368_10 Depth=1
	s_or_b32 exec_lo, exec_lo, s19
.LBB368_185:                            ;   in Loop: Header=BB368_10 Depth=1
	s_or_b32 exec_lo, exec_lo, s18
.LBB368_186:                            ;   in Loop: Header=BB368_10 Depth=1
	s_or_b32 exec_lo, exec_lo, s6
	v_mov_b32_e32 v0, 0xff
	s_mov_b32 s6, exec_lo
	v_and_b32_sdwa v0, v25, v0 dst_sel:DWORD dst_unused:UNUSED_PAD src0_sel:WORD_1 src1_sel:DWORD
	v_cmpx_ne_u16_e32 0, v0
	s_cbranch_execz .LBB368_194
; %bb.187:                              ;   in Loop: Header=BB368_10 Depth=1
	v_bfrev_b32_e32 v9, 1
	s_mov_b32 s18, exec_lo
	v_cmpx_ne_u16_e32 0x80, v0
	s_cbranch_execz .LBB368_193
; %bb.188:                              ;   in Loop: Header=BB368_10 Depth=1
	v_bfe_u32 v1, v25, 16, 7
	v_mov_b32_e32 v9, 0x7f800001
	s_mov_b32 s19, exec_lo
	v_cmpx_ne_u32_e32 0x7f, v1
	s_cbranch_execz .LBB368_192
; %bb.189:                              ;   in Loop: Header=BB368_10 Depth=1
	v_mov_b32_e32 v0, 7
	s_mov_b32 s20, exec_lo
	v_and_b32_sdwa v12, v25, v0 dst_sel:DWORD dst_unused:UNUSED_PAD src0_sel:WORD_1 src1_sel:DWORD
	v_mov_b32_e32 v27, v13
	v_lshrrev_b32_e32 v0, 3, v1
	v_mov_b32_e32 v26, v12
	v_cmpx_gt_u32_e32 8, v1
; %bb.190:                              ;   in Loop: Header=BB368_10 Depth=1
	v_ffbh_u32_e32 v0, v12
	v_min_u32_e32 v0, 32, v0
	v_subrev_nc_u32_e32 v1, 28, v0
	v_sub_nc_u32_e32 v0, 29, v0
	v_lshlrev_b64 v[1:2], v1, v[12:13]
	v_and_b32_e32 v26, 7, v1
; %bb.191:                              ;   in Loop: Header=BB368_10 Depth=1
	s_or_b32 exec_lo, exec_lo, s20
	v_mov_b32_e32 v1, 24
	v_lshlrev_b32_e32 v2, 20, v26
	v_lshl_add_u32 v0, v0, 23, 0x3c000000
	v_lshlrev_b32_sdwa v1, v1, v25 dst_sel:DWORD dst_unused:UNUSED_PAD src0_sel:DWORD src1_sel:WORD_1
	v_and_b32_e32 v1, 0x80000000, v1
	v_or3_b32 v9, v2, v1, v0
.LBB368_192:                            ;   in Loop: Header=BB368_10 Depth=1
	s_or_b32 exec_lo, exec_lo, s19
.LBB368_193:                            ;   in Loop: Header=BB368_10 Depth=1
	s_or_b32 exec_lo, exec_lo, s18
.LBB368_194:                            ;   in Loop: Header=BB368_10 Depth=1
	s_or_b32 exec_lo, exec_lo, s6
	v_mov_b32_e32 v47, 0
	v_mov_b32_e32 v46, 0
	s_mov_b32 s6, exec_lo
	v_cmpx_lt_u64_e64 s[8:9], v[24:25]
	s_cbranch_execz .LBB368_202
; %bb.195:                              ;   in Loop: Header=BB368_10 Depth=1
	v_mov_b32_e32 v0, 0x80
	v_bfrev_b32_e32 v46, 1
	v_cmp_ne_u32_sdwa s5, v25, v0 src0_sel:BYTE_3 src1_sel:DWORD
	s_and_saveexec_b32 s18, s5
	s_cbranch_execz .LBB368_201
; %bb.196:                              ;   in Loop: Header=BB368_10 Depth=1
	v_bfe_u32 v1, v25, 24, 7
	v_mov_b32_e32 v46, 0x7f800001
	s_mov_b32 s19, exec_lo
	v_cmpx_ne_u32_e32 0x7f, v1
	s_cbranch_execz .LBB368_200
; %bb.197:                              ;   in Loop: Header=BB368_10 Depth=1
	v_mov_b32_e32 v0, 7
	s_mov_b32 s20, exec_lo
	v_and_b32_sdwa v12, v25, v0 dst_sel:DWORD dst_unused:UNUSED_PAD src0_sel:BYTE_3 src1_sel:DWORD
	v_mov_b32_e32 v27, v13
	v_lshrrev_b32_e32 v0, 3, v1
	v_mov_b32_e32 v26, v12
	v_cmpx_gt_u32_e32 8, v1
; %bb.198:                              ;   in Loop: Header=BB368_10 Depth=1
	v_ffbh_u32_e32 v0, v12
	v_min_u32_e32 v0, 32, v0
	v_subrev_nc_u32_e32 v1, 28, v0
	v_sub_nc_u32_e32 v0, 29, v0
	v_lshlrev_b64 v[1:2], v1, v[12:13]
	v_and_b32_e32 v26, 7, v1
; %bb.199:                              ;   in Loop: Header=BB368_10 Depth=1
	s_or_b32 exec_lo, exec_lo, s20
	v_mov_b32_e32 v1, 24
	v_lshlrev_b32_e32 v2, 20, v26
	v_lshl_add_u32 v0, v0, 23, 0x3c000000
	v_lshlrev_b32_sdwa v1, v1, v25 dst_sel:DWORD dst_unused:UNUSED_PAD src0_sel:DWORD src1_sel:BYTE_3
	v_and_b32_e32 v1, 0x80000000, v1
	v_or3_b32 v46, v2, v1, v0
.LBB368_200:                            ;   in Loop: Header=BB368_10 Depth=1
	s_or_b32 exec_lo, exec_lo, s19
.LBB368_201:                            ;   in Loop: Header=BB368_10 Depth=1
	s_or_b32 exec_lo, exec_lo, s18
.LBB368_202:                            ;   in Loop: Header=BB368_10 Depth=1
	s_or_b32 exec_lo, exec_lo, s6
	flat_load_dwordx2 v[24:25], v[16:17] offset:520
	s_waitcnt vmcnt(0) lgkmcnt(0)
	v_cmp_ne_u16_sdwa s5, v24, v13 src0_sel:BYTE_0 src1_sel:DWORD
	s_and_saveexec_b32 s6, s5
	s_cbranch_execz .LBB368_210
; %bb.203:                              ;   in Loop: Header=BB368_10 Depth=1
	v_mov_b32_e32 v0, 0x80
	v_bfrev_b32_e32 v47, 1
	v_cmp_ne_u16_sdwa s5, v24, v0 src0_sel:BYTE_0 src1_sel:DWORD
	s_and_saveexec_b32 s18, s5
	s_cbranch_execz .LBB368_209
; %bb.204:                              ;   in Loop: Header=BB368_10 Depth=1
	v_and_b32_e32 v1, 0x7f, v24
	v_mov_b32_e32 v47, 0x7f800001
	s_mov_b32 s19, exec_lo
	v_cmpx_ne_u32_e32 0x7f, v1
	s_cbranch_execz .LBB368_208
; %bb.205:                              ;   in Loop: Header=BB368_10 Depth=1
	v_mov_b32_e32 v27, v25
	v_lshrrev_b32_e32 v0, 3, v1
	v_mov_b32_e32 v26, v24
	s_mov_b32 s20, exec_lo
	v_cmpx_gt_u32_e32 8, v1
; %bb.206:                              ;   in Loop: Header=BB368_10 Depth=1
	v_and_b32_e32 v0, 7, v24
	v_ffbh_u32_e32 v0, v0
	v_min_u32_e32 v0, 32, v0
	v_subrev_nc_u32_e32 v1, 28, v0
	v_sub_nc_u32_e32 v0, 29, v0
	v_lshlrev_b64 v[26:27], v1, v[24:25]
; %bb.207:                              ;   in Loop: Header=BB368_10 Depth=1
	s_or_b32 exec_lo, exec_lo, s20
	v_lshlrev_b32_e32 v1, 20, v26
	v_lshlrev_b32_e32 v2, 24, v24
	v_lshl_add_u32 v0, v0, 23, 0x3c000000
	v_and_b32_e32 v1, 0x700000, v1
	v_and_b32_e32 v2, 0x80000000, v2
	v_or3_b32 v47, v1, v2, v0
.LBB368_208:                            ;   in Loop: Header=BB368_10 Depth=1
	s_or_b32 exec_lo, exec_lo, s19
.LBB368_209:                            ;   in Loop: Header=BB368_10 Depth=1
	s_or_b32 exec_lo, exec_lo, s18
.LBB368_210:                            ;   in Loop: Header=BB368_10 Depth=1
	s_or_b32 exec_lo, exec_lo, s6
	v_cmp_ne_u16_sdwa s5, v24, v13 src0_sel:BYTE_1 src1_sel:DWORD
	v_mov_b32_e32 v57, 0
	v_mov_b32_e32 v56, 0
	s_and_saveexec_b32 s6, s5
	s_cbranch_execz .LBB368_218
; %bb.211:                              ;   in Loop: Header=BB368_10 Depth=1
	v_mov_b32_e32 v0, 0x80
	v_bfrev_b32_e32 v56, 1
	v_cmp_ne_u16_sdwa s5, v24, v0 src0_sel:BYTE_1 src1_sel:DWORD
	s_and_saveexec_b32 s18, s5
	s_cbranch_execz .LBB368_217
; %bb.212:                              ;   in Loop: Header=BB368_10 Depth=1
	v_mov_b32_e32 v0, 0xffff
	v_mov_b32_e32 v56, 0x7f800001
	s_mov_b32 s19, exec_lo
	v_and_b32_sdwa v0, v0, v24 dst_sel:DWORD dst_unused:UNUSED_PAD src0_sel:DWORD src1_sel:BYTE_1
	v_and_b32_e32 v1, 0x7f, v0
	v_cmpx_ne_u32_e32 0x7f, v1
	s_cbranch_execz .LBB368_216
; %bb.213:                              ;   in Loop: Header=BB368_10 Depth=1
	v_and_b32_e32 v12, 7, v0
	v_mov_b32_e32 v27, v13
	v_lshrrev_b32_e32 v0, 3, v1
	s_mov_b32 s20, exec_lo
	v_mov_b32_e32 v26, v12
	v_cmpx_gt_u32_e32 8, v1
; %bb.214:                              ;   in Loop: Header=BB368_10 Depth=1
	v_ffbh_u32_e32 v0, v12
	v_min_u32_e32 v0, 32, v0
	v_subrev_nc_u32_e32 v1, 28, v0
	v_sub_nc_u32_e32 v0, 29, v0
	v_lshlrev_b64 v[1:2], v1, v[12:13]
	v_and_b32_e32 v26, 7, v1
; %bb.215:                              ;   in Loop: Header=BB368_10 Depth=1
	s_or_b32 exec_lo, exec_lo, s20
	v_lshlrev_b32_e32 v1, 16, v24
	v_lshlrev_b32_e32 v2, 20, v26
	v_lshl_add_u32 v0, v0, 23, 0x3c000000
	v_and_b32_e32 v1, 0x80000000, v1
	v_or3_b32 v56, v2, v1, v0
.LBB368_216:                            ;   in Loop: Header=BB368_10 Depth=1
	s_or_b32 exec_lo, exec_lo, s19
.LBB368_217:                            ;   in Loop: Header=BB368_10 Depth=1
	s_or_b32 exec_lo, exec_lo, s18
.LBB368_218:                            ;   in Loop: Header=BB368_10 Depth=1
	s_or_b32 exec_lo, exec_lo, s6
	v_mov_b32_e32 v0, 0xff
	s_mov_b32 s6, exec_lo
	v_and_b32_sdwa v0, v24, v0 dst_sel:DWORD dst_unused:UNUSED_PAD src0_sel:WORD_1 src1_sel:DWORD
	v_cmpx_ne_u16_e32 0, v0
	s_cbranch_execz .LBB368_226
; %bb.219:                              ;   in Loop: Header=BB368_10 Depth=1
	v_bfrev_b32_e32 v57, 1
	s_mov_b32 s18, exec_lo
	v_cmpx_ne_u16_e32 0x80, v0
	s_cbranch_execz .LBB368_225
; %bb.220:                              ;   in Loop: Header=BB368_10 Depth=1
	v_bfe_u32 v1, v24, 16, 7
	v_mov_b32_e32 v57, 0x7f800001
	s_mov_b32 s19, exec_lo
	v_cmpx_ne_u32_e32 0x7f, v1
	s_cbranch_execz .LBB368_224
; %bb.221:                              ;   in Loop: Header=BB368_10 Depth=1
	v_mov_b32_e32 v0, 7
	s_mov_b32 s20, exec_lo
	v_and_b32_sdwa v12, v24, v0 dst_sel:DWORD dst_unused:UNUSED_PAD src0_sel:WORD_1 src1_sel:DWORD
	v_mov_b32_e32 v27, v13
	v_lshrrev_b32_e32 v0, 3, v1
	v_mov_b32_e32 v26, v12
	v_cmpx_gt_u32_e32 8, v1
; %bb.222:                              ;   in Loop: Header=BB368_10 Depth=1
	v_ffbh_u32_e32 v0, v12
	v_min_u32_e32 v0, 32, v0
	v_subrev_nc_u32_e32 v1, 28, v0
	v_sub_nc_u32_e32 v0, 29, v0
	v_lshlrev_b64 v[1:2], v1, v[12:13]
	v_and_b32_e32 v26, 7, v1
; %bb.223:                              ;   in Loop: Header=BB368_10 Depth=1
	s_or_b32 exec_lo, exec_lo, s20
	v_mov_b32_e32 v1, 24
	v_lshlrev_b32_e32 v2, 20, v26
	v_lshl_add_u32 v0, v0, 23, 0x3c000000
	v_lshlrev_b32_sdwa v1, v1, v24 dst_sel:DWORD dst_unused:UNUSED_PAD src0_sel:DWORD src1_sel:WORD_1
	v_and_b32_e32 v1, 0x80000000, v1
	v_or3_b32 v57, v2, v1, v0
.LBB368_224:                            ;   in Loop: Header=BB368_10 Depth=1
	s_or_b32 exec_lo, exec_lo, s19
.LBB368_225:                            ;   in Loop: Header=BB368_10 Depth=1
	s_or_b32 exec_lo, exec_lo, s18
.LBB368_226:                            ;   in Loop: Header=BB368_10 Depth=1
	s_or_b32 exec_lo, exec_lo, s6
	v_mov_b32_e32 v59, 0
	v_mov_b32_e32 v58, 0
	s_mov_b32 s6, exec_lo
	v_cmpx_lt_u32_e32 0xffffff, v24
	s_cbranch_execz .LBB368_234
; %bb.227:                              ;   in Loop: Header=BB368_10 Depth=1
	v_mov_b32_e32 v0, 0x80
	v_bfrev_b32_e32 v58, 1
	v_cmp_ne_u32_sdwa s5, v24, v0 src0_sel:BYTE_3 src1_sel:DWORD
	s_and_saveexec_b32 s18, s5
	s_cbranch_execz .LBB368_233
; %bb.228:                              ;   in Loop: Header=BB368_10 Depth=1
	v_bfe_u32 v1, v24, 24, 7
	v_mov_b32_e32 v58, 0x7f800001
	s_mov_b32 s19, exec_lo
	v_cmpx_ne_u32_e32 0x7f, v1
	s_cbranch_execz .LBB368_232
; %bb.229:                              ;   in Loop: Header=BB368_10 Depth=1
	v_mov_b32_e32 v0, 7
	s_mov_b32 s20, exec_lo
	v_and_b32_sdwa v12, v24, v0 dst_sel:DWORD dst_unused:UNUSED_PAD src0_sel:BYTE_3 src1_sel:DWORD
	v_mov_b32_e32 v27, v13
	v_lshrrev_b32_e32 v0, 3, v1
	v_mov_b32_e32 v26, v12
	v_cmpx_gt_u32_e32 8, v1
; %bb.230:                              ;   in Loop: Header=BB368_10 Depth=1
	v_ffbh_u32_e32 v0, v12
	v_min_u32_e32 v0, 32, v0
	v_subrev_nc_u32_e32 v1, 28, v0
	v_sub_nc_u32_e32 v0, 29, v0
	v_lshlrev_b64 v[1:2], v1, v[12:13]
	v_and_b32_e32 v26, 7, v1
; %bb.231:                              ;   in Loop: Header=BB368_10 Depth=1
	s_or_b32 exec_lo, exec_lo, s20
	v_mov_b32_e32 v1, 24
	v_lshlrev_b32_e32 v2, 20, v26
	v_lshl_add_u32 v0, v0, 23, 0x3c000000
	v_lshlrev_b32_sdwa v1, v1, v24 dst_sel:DWORD dst_unused:UNUSED_PAD src0_sel:DWORD src1_sel:BYTE_3
	v_and_b32_e32 v1, 0x80000000, v1
	v_or3_b32 v58, v2, v1, v0
.LBB368_232:                            ;   in Loop: Header=BB368_10 Depth=1
	s_or_b32 exec_lo, exec_lo, s19
.LBB368_233:                            ;   in Loop: Header=BB368_10 Depth=1
	s_or_b32 exec_lo, exec_lo, s18
.LBB368_234:                            ;   in Loop: Header=BB368_10 Depth=1
	s_or_b32 exec_lo, exec_lo, s6
	v_mov_b32_e32 v12, v25
	v_cmp_ne_u16_sdwa s5, v25, v13 src0_sel:BYTE_0 src1_sel:DWORD
	s_and_saveexec_b32 s6, s5
	s_cbranch_execz .LBB368_242
; %bb.235:                              ;   in Loop: Header=BB368_10 Depth=1
	v_mov_b32_e32 v0, 0x80
	v_bfrev_b32_e32 v59, 1
	v_cmp_ne_u16_sdwa s5, v25, v0 src0_sel:BYTE_0 src1_sel:DWORD
	s_and_saveexec_b32 s18, s5
	s_cbranch_execz .LBB368_241
; %bb.236:                              ;   in Loop: Header=BB368_10 Depth=1
	v_and_b32_e32 v1, 0x7f, v25
	v_mov_b32_e32 v59, 0x7f800001
	s_mov_b32 s19, exec_lo
	v_cmpx_ne_u32_e32 0x7f, v1
	s_cbranch_execz .LBB368_240
; %bb.237:                              ;   in Loop: Header=BB368_10 Depth=1
	v_mov_b32_e32 v27, v13
	v_lshrrev_b32_e32 v0, 3, v1
	v_mov_b32_e32 v26, v12
	s_mov_b32 s20, exec_lo
	v_cmpx_gt_u32_e32 8, v1
; %bb.238:                              ;   in Loop: Header=BB368_10 Depth=1
	v_and_b32_e32 v0, 7, v25
	v_ffbh_u32_e32 v0, v0
	v_min_u32_e32 v0, 32, v0
	v_subrev_nc_u32_e32 v1, 28, v0
	v_sub_nc_u32_e32 v0, 29, v0
	v_lshlrev_b64 v[26:27], v1, v[12:13]
; %bb.239:                              ;   in Loop: Header=BB368_10 Depth=1
	s_or_b32 exec_lo, exec_lo, s20
	v_lshlrev_b32_e32 v1, 20, v26
	v_lshlrev_b32_e32 v2, 24, v12
	v_lshl_add_u32 v0, v0, 23, 0x3c000000
	v_and_b32_e32 v1, 0x700000, v1
	v_and_b32_e32 v2, 0x80000000, v2
	v_or3_b32 v59, v1, v2, v0
.LBB368_240:                            ;   in Loop: Header=BB368_10 Depth=1
	s_or_b32 exec_lo, exec_lo, s19
.LBB368_241:                            ;   in Loop: Header=BB368_10 Depth=1
	s_or_b32 exec_lo, exec_lo, s18
.LBB368_242:                            ;   in Loop: Header=BB368_10 Depth=1
	s_or_b32 exec_lo, exec_lo, s6
	v_cmp_ne_u16_sdwa s5, v12, v13 src0_sel:BYTE_1 src1_sel:DWORD
	v_mov_b32_e32 v60, 0
	v_mov_b32_e32 v61, 0
	s_and_saveexec_b32 s6, s5
	s_cbranch_execz .LBB368_250
; %bb.243:                              ;   in Loop: Header=BB368_10 Depth=1
	v_mov_b32_e32 v0, 0x80
	v_bfrev_b32_e32 v61, 1
	v_cmp_ne_u16_sdwa s5, v12, v0 src0_sel:BYTE_1 src1_sel:DWORD
	s_and_saveexec_b32 s18, s5
	s_cbranch_execz .LBB368_249
; %bb.244:                              ;   in Loop: Header=BB368_10 Depth=1
	v_mov_b32_e32 v0, 0xffff
	v_mov_b32_e32 v61, 0x7f800001
	s_mov_b32 s19, exec_lo
	v_and_b32_sdwa v0, v0, v12 dst_sel:DWORD dst_unused:UNUSED_PAD src0_sel:DWORD src1_sel:BYTE_1
	v_and_b32_e32 v1, 0x7f, v0
	v_cmpx_ne_u32_e32 0x7f, v1
	s_cbranch_execz .LBB368_248
; %bb.245:                              ;   in Loop: Header=BB368_10 Depth=1
	v_and_b32_e32 v26, 7, v0
	v_mov_b32_e32 v27, v13
	v_lshrrev_b32_e32 v0, 3, v1
	s_mov_b32 s20, exec_lo
	v_cmpx_gt_u32_e32 8, v1
; %bb.246:                              ;   in Loop: Header=BB368_10 Depth=1
	v_ffbh_u32_e32 v0, v26
	v_min_u32_e32 v0, 32, v0
	v_subrev_nc_u32_e32 v1, 28, v0
	v_sub_nc_u32_e32 v0, 29, v0
	v_lshlrev_b64 v[1:2], v1, v[26:27]
	v_and_b32_e32 v26, 7, v1
; %bb.247:                              ;   in Loop: Header=BB368_10 Depth=1
	s_or_b32 exec_lo, exec_lo, s20
	v_lshlrev_b32_e32 v1, 16, v12
	v_lshlrev_b32_e32 v2, 20, v26
	v_lshl_add_u32 v0, v0, 23, 0x3c000000
	v_and_b32_e32 v1, 0x80000000, v1
	v_or3_b32 v61, v2, v1, v0
.LBB368_248:                            ;   in Loop: Header=BB368_10 Depth=1
	s_or_b32 exec_lo, exec_lo, s19
.LBB368_249:                            ;   in Loop: Header=BB368_10 Depth=1
	s_or_b32 exec_lo, exec_lo, s18
.LBB368_250:                            ;   in Loop: Header=BB368_10 Depth=1
	s_or_b32 exec_lo, exec_lo, s6
	v_mov_b32_e32 v0, 0xff
	s_mov_b32 s6, exec_lo
	v_and_b32_sdwa v0, v25, v0 dst_sel:DWORD dst_unused:UNUSED_PAD src0_sel:WORD_1 src1_sel:DWORD
	v_cmpx_ne_u16_e32 0, v0
	s_cbranch_execz .LBB368_258
; %bb.251:                              ;   in Loop: Header=BB368_10 Depth=1
	v_bfrev_b32_e32 v60, 1
	s_mov_b32 s18, exec_lo
	v_cmpx_ne_u16_e32 0x80, v0
	s_cbranch_execz .LBB368_257
; %bb.252:                              ;   in Loop: Header=BB368_10 Depth=1
	v_bfe_u32 v1, v25, 16, 7
	v_mov_b32_e32 v60, 0x7f800001
	s_mov_b32 s19, exec_lo
	v_cmpx_ne_u32_e32 0x7f, v1
	s_cbranch_execz .LBB368_256
; %bb.253:                              ;   in Loop: Header=BB368_10 Depth=1
	v_mov_b32_e32 v0, 7
	s_mov_b32 s20, exec_lo
	v_and_b32_sdwa v12, v25, v0 dst_sel:DWORD dst_unused:UNUSED_PAD src0_sel:WORD_1 src1_sel:DWORD
	v_mov_b32_e32 v27, v13
	v_lshrrev_b32_e32 v0, 3, v1
	v_mov_b32_e32 v26, v12
	v_cmpx_gt_u32_e32 8, v1
; %bb.254:                              ;   in Loop: Header=BB368_10 Depth=1
	v_ffbh_u32_e32 v0, v12
	v_min_u32_e32 v0, 32, v0
	v_subrev_nc_u32_e32 v1, 28, v0
	v_sub_nc_u32_e32 v0, 29, v0
	v_lshlrev_b64 v[1:2], v1, v[12:13]
	v_and_b32_e32 v26, 7, v1
; %bb.255:                              ;   in Loop: Header=BB368_10 Depth=1
	s_or_b32 exec_lo, exec_lo, s20
	v_mov_b32_e32 v1, 24
	v_lshlrev_b32_e32 v2, 20, v26
	v_lshl_add_u32 v0, v0, 23, 0x3c000000
	v_lshlrev_b32_sdwa v1, v1, v25 dst_sel:DWORD dst_unused:UNUSED_PAD src0_sel:DWORD src1_sel:WORD_1
	v_and_b32_e32 v1, 0x80000000, v1
	v_or3_b32 v60, v2, v1, v0
.LBB368_256:                            ;   in Loop: Header=BB368_10 Depth=1
	s_or_b32 exec_lo, exec_lo, s19
.LBB368_257:                            ;   in Loop: Header=BB368_10 Depth=1
	s_or_b32 exec_lo, exec_lo, s18
.LBB368_258:                            ;   in Loop: Header=BB368_10 Depth=1
	s_or_b32 exec_lo, exec_lo, s6
	v_mov_b32_e32 v63, 0
	v_mov_b32_e32 v62, 0
	s_mov_b32 s6, exec_lo
	v_cmpx_lt_u64_e64 s[8:9], v[24:25]
	s_cbranch_execz .LBB368_266
; %bb.259:                              ;   in Loop: Header=BB368_10 Depth=1
	v_mov_b32_e32 v0, 0x80
	v_bfrev_b32_e32 v62, 1
	v_cmp_ne_u32_sdwa s5, v25, v0 src0_sel:BYTE_3 src1_sel:DWORD
	s_and_saveexec_b32 s18, s5
	s_cbranch_execz .LBB368_265
; %bb.260:                              ;   in Loop: Header=BB368_10 Depth=1
	v_bfe_u32 v1, v25, 24, 7
	v_mov_b32_e32 v62, 0x7f800001
	s_mov_b32 s19, exec_lo
	v_cmpx_ne_u32_e32 0x7f, v1
	s_cbranch_execz .LBB368_264
; %bb.261:                              ;   in Loop: Header=BB368_10 Depth=1
	v_mov_b32_e32 v0, 7
	s_mov_b32 s20, exec_lo
	v_and_b32_sdwa v12, v25, v0 dst_sel:DWORD dst_unused:UNUSED_PAD src0_sel:BYTE_3 src1_sel:DWORD
	v_mov_b32_e32 v27, v13
	v_lshrrev_b32_e32 v0, 3, v1
	v_mov_b32_e32 v26, v12
	v_cmpx_gt_u32_e32 8, v1
; %bb.262:                              ;   in Loop: Header=BB368_10 Depth=1
	v_ffbh_u32_e32 v0, v12
	v_min_u32_e32 v0, 32, v0
	v_subrev_nc_u32_e32 v1, 28, v0
	v_sub_nc_u32_e32 v0, 29, v0
	v_lshlrev_b64 v[1:2], v1, v[12:13]
	v_and_b32_e32 v26, 7, v1
; %bb.263:                              ;   in Loop: Header=BB368_10 Depth=1
	s_or_b32 exec_lo, exec_lo, s20
	v_mov_b32_e32 v1, 24
	v_lshlrev_b32_e32 v2, 20, v26
	v_lshl_add_u32 v0, v0, 23, 0x3c000000
	v_lshlrev_b32_sdwa v1, v1, v25 dst_sel:DWORD dst_unused:UNUSED_PAD src0_sel:DWORD src1_sel:BYTE_3
	v_and_b32_e32 v1, 0x80000000, v1
	v_or3_b32 v62, v2, v1, v0
.LBB368_264:                            ;   in Loop: Header=BB368_10 Depth=1
	s_or_b32 exec_lo, exec_lo, s19
.LBB368_265:                            ;   in Loop: Header=BB368_10 Depth=1
	s_or_b32 exec_lo, exec_lo, s18
.LBB368_266:                            ;   in Loop: Header=BB368_10 Depth=1
	s_or_b32 exec_lo, exec_lo, s6
	flat_load_dwordx2 v[24:25], v[16:17] offset:1024
	s_waitcnt vmcnt(0) lgkmcnt(0)
	v_cmp_ne_u16_sdwa s5, v24, v13 src0_sel:BYTE_0 src1_sel:DWORD
	s_and_saveexec_b32 s6, s5
	s_cbranch_execz .LBB368_274
; %bb.267:                              ;   in Loop: Header=BB368_10 Depth=1
	v_mov_b32_e32 v0, 0x80
	v_bfrev_b32_e32 v63, 1
	v_cmp_ne_u16_sdwa s5, v24, v0 src0_sel:BYTE_0 src1_sel:DWORD
	s_and_saveexec_b32 s18, s5
	s_cbranch_execz .LBB368_273
; %bb.268:                              ;   in Loop: Header=BB368_10 Depth=1
	v_and_b32_e32 v1, 0x7f, v24
	v_mov_b32_e32 v63, 0x7f800001
	s_mov_b32 s19, exec_lo
	v_cmpx_ne_u32_e32 0x7f, v1
	s_cbranch_execz .LBB368_272
; %bb.269:                              ;   in Loop: Header=BB368_10 Depth=1
	v_mov_b32_e32 v27, v25
	v_lshrrev_b32_e32 v0, 3, v1
	v_mov_b32_e32 v26, v24
	s_mov_b32 s20, exec_lo
	v_cmpx_gt_u32_e32 8, v1
; %bb.270:                              ;   in Loop: Header=BB368_10 Depth=1
	v_and_b32_e32 v0, 7, v24
	v_ffbh_u32_e32 v0, v0
	v_min_u32_e32 v0, 32, v0
	v_subrev_nc_u32_e32 v1, 28, v0
	v_sub_nc_u32_e32 v0, 29, v0
	v_lshlrev_b64 v[26:27], v1, v[24:25]
; %bb.271:                              ;   in Loop: Header=BB368_10 Depth=1
	s_or_b32 exec_lo, exec_lo, s20
	v_lshlrev_b32_e32 v1, 20, v26
	v_lshlrev_b32_e32 v2, 24, v24
	v_lshl_add_u32 v0, v0, 23, 0x3c000000
	v_and_b32_e32 v1, 0x700000, v1
	v_and_b32_e32 v2, 0x80000000, v2
	v_or3_b32 v63, v1, v2, v0
.LBB368_272:                            ;   in Loop: Header=BB368_10 Depth=1
	s_or_b32 exec_lo, exec_lo, s19
.LBB368_273:                            ;   in Loop: Header=BB368_10 Depth=1
	s_or_b32 exec_lo, exec_lo, s18
.LBB368_274:                            ;   in Loop: Header=BB368_10 Depth=1
	s_or_b32 exec_lo, exec_lo, s6
	v_cmp_ne_u16_sdwa s5, v24, v13 src0_sel:BYTE_1 src1_sel:DWORD
	v_mov_b32_e32 v31, 0
	v_mov_b32_e32 v72, 0
	s_and_saveexec_b32 s6, s5
	s_cbranch_execz .LBB368_282
; %bb.275:                              ;   in Loop: Header=BB368_10 Depth=1
	v_mov_b32_e32 v0, 0x80
	v_bfrev_b32_e32 v72, 1
	v_cmp_ne_u16_sdwa s5, v24, v0 src0_sel:BYTE_1 src1_sel:DWORD
	s_and_saveexec_b32 s18, s5
	s_cbranch_execz .LBB368_281
; %bb.276:                              ;   in Loop: Header=BB368_10 Depth=1
	v_mov_b32_e32 v0, 0xffff
	v_mov_b32_e32 v72, 0x7f800001
	s_mov_b32 s19, exec_lo
	v_and_b32_sdwa v0, v0, v24 dst_sel:DWORD dst_unused:UNUSED_PAD src0_sel:DWORD src1_sel:BYTE_1
	v_and_b32_e32 v1, 0x7f, v0
	v_cmpx_ne_u32_e32 0x7f, v1
	s_cbranch_execz .LBB368_280
; %bb.277:                              ;   in Loop: Header=BB368_10 Depth=1
	v_and_b32_e32 v12, 7, v0
	v_mov_b32_e32 v27, v13
	v_lshrrev_b32_e32 v0, 3, v1
	s_mov_b32 s20, exec_lo
	v_mov_b32_e32 v26, v12
	v_cmpx_gt_u32_e32 8, v1
; %bb.278:                              ;   in Loop: Header=BB368_10 Depth=1
	v_ffbh_u32_e32 v0, v12
	v_min_u32_e32 v0, 32, v0
	v_subrev_nc_u32_e32 v1, 28, v0
	v_sub_nc_u32_e32 v0, 29, v0
	v_lshlrev_b64 v[1:2], v1, v[12:13]
	v_and_b32_e32 v26, 7, v1
; %bb.279:                              ;   in Loop: Header=BB368_10 Depth=1
	s_or_b32 exec_lo, exec_lo, s20
	v_lshlrev_b32_e32 v1, 16, v24
	v_lshlrev_b32_e32 v2, 20, v26
	v_lshl_add_u32 v0, v0, 23, 0x3c000000
	v_and_b32_e32 v1, 0x80000000, v1
	v_or3_b32 v72, v2, v1, v0
.LBB368_280:                            ;   in Loop: Header=BB368_10 Depth=1
	s_or_b32 exec_lo, exec_lo, s19
.LBB368_281:                            ;   in Loop: Header=BB368_10 Depth=1
	s_or_b32 exec_lo, exec_lo, s18
.LBB368_282:                            ;   in Loop: Header=BB368_10 Depth=1
	s_or_b32 exec_lo, exec_lo, s6
	v_mov_b32_e32 v0, 0xff
	s_mov_b32 s6, exec_lo
	v_and_b32_sdwa v0, v24, v0 dst_sel:DWORD dst_unused:UNUSED_PAD src0_sel:WORD_1 src1_sel:DWORD
	v_cmpx_ne_u16_e32 0, v0
	s_cbranch_execz .LBB368_290
; %bb.283:                              ;   in Loop: Header=BB368_10 Depth=1
	v_bfrev_b32_e32 v31, 1
	s_mov_b32 s18, exec_lo
	v_cmpx_ne_u16_e32 0x80, v0
	s_cbranch_execz .LBB368_289
; %bb.284:                              ;   in Loop: Header=BB368_10 Depth=1
	v_bfe_u32 v1, v24, 16, 7
	v_mov_b32_e32 v31, 0x7f800001
	s_mov_b32 s19, exec_lo
	v_cmpx_ne_u32_e32 0x7f, v1
	s_cbranch_execz .LBB368_288
; %bb.285:                              ;   in Loop: Header=BB368_10 Depth=1
	v_mov_b32_e32 v0, 7
	s_mov_b32 s20, exec_lo
	v_and_b32_sdwa v12, v24, v0 dst_sel:DWORD dst_unused:UNUSED_PAD src0_sel:WORD_1 src1_sel:DWORD
	v_mov_b32_e32 v27, v13
	v_lshrrev_b32_e32 v0, 3, v1
	v_mov_b32_e32 v26, v12
	v_cmpx_gt_u32_e32 8, v1
; %bb.286:                              ;   in Loop: Header=BB368_10 Depth=1
	v_ffbh_u32_e32 v0, v12
	v_min_u32_e32 v0, 32, v0
	v_subrev_nc_u32_e32 v1, 28, v0
	v_sub_nc_u32_e32 v0, 29, v0
	v_lshlrev_b64 v[1:2], v1, v[12:13]
	v_and_b32_e32 v26, 7, v1
; %bb.287:                              ;   in Loop: Header=BB368_10 Depth=1
	s_or_b32 exec_lo, exec_lo, s20
	v_mov_b32_e32 v1, 24
	v_lshlrev_b32_e32 v2, 20, v26
	v_lshl_add_u32 v0, v0, 23, 0x3c000000
	v_lshlrev_b32_sdwa v1, v1, v24 dst_sel:DWORD dst_unused:UNUSED_PAD src0_sel:DWORD src1_sel:WORD_1
	v_and_b32_e32 v1, 0x80000000, v1
	v_or3_b32 v31, v2, v1, v0
.LBB368_288:                            ;   in Loop: Header=BB368_10 Depth=1
	s_or_b32 exec_lo, exec_lo, s19
.LBB368_289:                            ;   in Loop: Header=BB368_10 Depth=1
	s_or_b32 exec_lo, exec_lo, s18
.LBB368_290:                            ;   in Loop: Header=BB368_10 Depth=1
	s_or_b32 exec_lo, exec_lo, s6
	v_mov_b32_e32 v74, 0
	v_mov_b32_e32 v73, 0
	s_mov_b32 s6, exec_lo
	v_cmpx_lt_u32_e32 0xffffff, v24
	s_cbranch_execz .LBB368_298
; %bb.291:                              ;   in Loop: Header=BB368_10 Depth=1
	v_mov_b32_e32 v0, 0x80
	v_bfrev_b32_e32 v73, 1
	v_cmp_ne_u32_sdwa s5, v24, v0 src0_sel:BYTE_3 src1_sel:DWORD
	s_and_saveexec_b32 s18, s5
	s_cbranch_execz .LBB368_297
; %bb.292:                              ;   in Loop: Header=BB368_10 Depth=1
	v_bfe_u32 v1, v24, 24, 7
	v_mov_b32_e32 v73, 0x7f800001
	s_mov_b32 s19, exec_lo
	v_cmpx_ne_u32_e32 0x7f, v1
	s_cbranch_execz .LBB368_296
; %bb.293:                              ;   in Loop: Header=BB368_10 Depth=1
	v_mov_b32_e32 v0, 7
	s_mov_b32 s20, exec_lo
	v_and_b32_sdwa v12, v24, v0 dst_sel:DWORD dst_unused:UNUSED_PAD src0_sel:BYTE_3 src1_sel:DWORD
	v_mov_b32_e32 v27, v13
	v_lshrrev_b32_e32 v0, 3, v1
	v_mov_b32_e32 v26, v12
	v_cmpx_gt_u32_e32 8, v1
; %bb.294:                              ;   in Loop: Header=BB368_10 Depth=1
	v_ffbh_u32_e32 v0, v12
	v_min_u32_e32 v0, 32, v0
	v_subrev_nc_u32_e32 v1, 28, v0
	v_sub_nc_u32_e32 v0, 29, v0
	v_lshlrev_b64 v[1:2], v1, v[12:13]
	v_and_b32_e32 v26, 7, v1
; %bb.295:                              ;   in Loop: Header=BB368_10 Depth=1
	s_or_b32 exec_lo, exec_lo, s20
	v_mov_b32_e32 v1, 24
	v_lshlrev_b32_e32 v2, 20, v26
	v_lshl_add_u32 v0, v0, 23, 0x3c000000
	v_lshlrev_b32_sdwa v1, v1, v24 dst_sel:DWORD dst_unused:UNUSED_PAD src0_sel:DWORD src1_sel:BYTE_3
	v_and_b32_e32 v1, 0x80000000, v1
	v_or3_b32 v73, v2, v1, v0
.LBB368_296:                            ;   in Loop: Header=BB368_10 Depth=1
	s_or_b32 exec_lo, exec_lo, s19
.LBB368_297:                            ;   in Loop: Header=BB368_10 Depth=1
	s_or_b32 exec_lo, exec_lo, s18
.LBB368_298:                            ;   in Loop: Header=BB368_10 Depth=1
	s_or_b32 exec_lo, exec_lo, s6
	v_mov_b32_e32 v12, v25
	v_cmp_ne_u16_sdwa s5, v25, v13 src0_sel:BYTE_0 src1_sel:DWORD
	s_and_saveexec_b32 s6, s5
	s_cbranch_execz .LBB368_306
; %bb.299:                              ;   in Loop: Header=BB368_10 Depth=1
	v_mov_b32_e32 v0, 0x80
	v_bfrev_b32_e32 v74, 1
	v_cmp_ne_u16_sdwa s5, v25, v0 src0_sel:BYTE_0 src1_sel:DWORD
	s_and_saveexec_b32 s18, s5
	s_cbranch_execz .LBB368_305
; %bb.300:                              ;   in Loop: Header=BB368_10 Depth=1
	v_and_b32_e32 v1, 0x7f, v25
	v_mov_b32_e32 v74, 0x7f800001
	s_mov_b32 s19, exec_lo
	v_cmpx_ne_u32_e32 0x7f, v1
	s_cbranch_execz .LBB368_304
; %bb.301:                              ;   in Loop: Header=BB368_10 Depth=1
	v_mov_b32_e32 v27, v13
	v_lshrrev_b32_e32 v0, 3, v1
	v_mov_b32_e32 v26, v12
	s_mov_b32 s20, exec_lo
	v_cmpx_gt_u32_e32 8, v1
; %bb.302:                              ;   in Loop: Header=BB368_10 Depth=1
	v_and_b32_e32 v0, 7, v25
	v_ffbh_u32_e32 v0, v0
	v_min_u32_e32 v0, 32, v0
	v_subrev_nc_u32_e32 v1, 28, v0
	v_sub_nc_u32_e32 v0, 29, v0
	v_lshlrev_b64 v[26:27], v1, v[12:13]
; %bb.303:                              ;   in Loop: Header=BB368_10 Depth=1
	s_or_b32 exec_lo, exec_lo, s20
	v_lshlrev_b32_e32 v1, 20, v26
	v_lshlrev_b32_e32 v2, 24, v12
	v_lshl_add_u32 v0, v0, 23, 0x3c000000
	v_and_b32_e32 v1, 0x700000, v1
	v_and_b32_e32 v2, 0x80000000, v2
	v_or3_b32 v74, v1, v2, v0
.LBB368_304:                            ;   in Loop: Header=BB368_10 Depth=1
	s_or_b32 exec_lo, exec_lo, s19
.LBB368_305:                            ;   in Loop: Header=BB368_10 Depth=1
	s_or_b32 exec_lo, exec_lo, s18
.LBB368_306:                            ;   in Loop: Header=BB368_10 Depth=1
	s_or_b32 exec_lo, exec_lo, s6
	v_cmp_ne_u16_sdwa s5, v12, v13 src0_sel:BYTE_1 src1_sel:DWORD
	v_mov_b32_e32 v75, 0
	v_mov_b32_e32 v76, 0
	s_and_saveexec_b32 s6, s5
	s_cbranch_execz .LBB368_314
; %bb.307:                              ;   in Loop: Header=BB368_10 Depth=1
	v_mov_b32_e32 v0, 0x80
	v_bfrev_b32_e32 v76, 1
	v_cmp_ne_u16_sdwa s5, v12, v0 src0_sel:BYTE_1 src1_sel:DWORD
	s_and_saveexec_b32 s18, s5
	s_cbranch_execz .LBB368_313
; %bb.308:                              ;   in Loop: Header=BB368_10 Depth=1
	v_mov_b32_e32 v0, 0xffff
	v_mov_b32_e32 v76, 0x7f800001
	s_mov_b32 s19, exec_lo
	v_and_b32_sdwa v0, v0, v12 dst_sel:DWORD dst_unused:UNUSED_PAD src0_sel:DWORD src1_sel:BYTE_1
	v_and_b32_e32 v1, 0x7f, v0
	v_cmpx_ne_u32_e32 0x7f, v1
	s_cbranch_execz .LBB368_312
; %bb.309:                              ;   in Loop: Header=BB368_10 Depth=1
	v_and_b32_e32 v26, 7, v0
	v_mov_b32_e32 v27, v13
	v_lshrrev_b32_e32 v0, 3, v1
	s_mov_b32 s20, exec_lo
	v_cmpx_gt_u32_e32 8, v1
; %bb.310:                              ;   in Loop: Header=BB368_10 Depth=1
	v_ffbh_u32_e32 v0, v26
	v_min_u32_e32 v0, 32, v0
	v_subrev_nc_u32_e32 v1, 28, v0
	v_sub_nc_u32_e32 v0, 29, v0
	v_lshlrev_b64 v[1:2], v1, v[26:27]
	v_and_b32_e32 v26, 7, v1
; %bb.311:                              ;   in Loop: Header=BB368_10 Depth=1
	s_or_b32 exec_lo, exec_lo, s20
	v_lshlrev_b32_e32 v1, 16, v12
	v_lshlrev_b32_e32 v2, 20, v26
	v_lshl_add_u32 v0, v0, 23, 0x3c000000
	v_and_b32_e32 v1, 0x80000000, v1
	v_or3_b32 v76, v2, v1, v0
.LBB368_312:                            ;   in Loop: Header=BB368_10 Depth=1
	s_or_b32 exec_lo, exec_lo, s19
.LBB368_313:                            ;   in Loop: Header=BB368_10 Depth=1
	s_or_b32 exec_lo, exec_lo, s18
.LBB368_314:                            ;   in Loop: Header=BB368_10 Depth=1
	s_or_b32 exec_lo, exec_lo, s6
	v_mov_b32_e32 v0, 0xff
	s_mov_b32 s6, exec_lo
	v_and_b32_sdwa v0, v25, v0 dst_sel:DWORD dst_unused:UNUSED_PAD src0_sel:WORD_1 src1_sel:DWORD
	v_cmpx_ne_u16_e32 0, v0
	s_cbranch_execz .LBB368_322
; %bb.315:                              ;   in Loop: Header=BB368_10 Depth=1
	v_bfrev_b32_e32 v75, 1
	s_mov_b32 s18, exec_lo
	v_cmpx_ne_u16_e32 0x80, v0
	s_cbranch_execz .LBB368_321
; %bb.316:                              ;   in Loop: Header=BB368_10 Depth=1
	v_bfe_u32 v1, v25, 16, 7
	v_mov_b32_e32 v75, 0x7f800001
	s_mov_b32 s19, exec_lo
	v_cmpx_ne_u32_e32 0x7f, v1
	s_cbranch_execz .LBB368_320
; %bb.317:                              ;   in Loop: Header=BB368_10 Depth=1
	v_mov_b32_e32 v0, 7
	s_mov_b32 s20, exec_lo
	v_and_b32_sdwa v12, v25, v0 dst_sel:DWORD dst_unused:UNUSED_PAD src0_sel:WORD_1 src1_sel:DWORD
	v_mov_b32_e32 v27, v13
	v_lshrrev_b32_e32 v0, 3, v1
	v_mov_b32_e32 v26, v12
	v_cmpx_gt_u32_e32 8, v1
; %bb.318:                              ;   in Loop: Header=BB368_10 Depth=1
	v_ffbh_u32_e32 v0, v12
	v_min_u32_e32 v0, 32, v0
	v_subrev_nc_u32_e32 v1, 28, v0
	v_sub_nc_u32_e32 v0, 29, v0
	v_lshlrev_b64 v[1:2], v1, v[12:13]
	v_and_b32_e32 v26, 7, v1
; %bb.319:                              ;   in Loop: Header=BB368_10 Depth=1
	s_or_b32 exec_lo, exec_lo, s20
	v_mov_b32_e32 v1, 24
	v_lshlrev_b32_e32 v2, 20, v26
	v_lshl_add_u32 v0, v0, 23, 0x3c000000
	v_lshlrev_b32_sdwa v1, v1, v25 dst_sel:DWORD dst_unused:UNUSED_PAD src0_sel:DWORD src1_sel:WORD_1
	v_and_b32_e32 v1, 0x80000000, v1
	v_or3_b32 v75, v2, v1, v0
.LBB368_320:                            ;   in Loop: Header=BB368_10 Depth=1
	s_or_b32 exec_lo, exec_lo, s19
.LBB368_321:                            ;   in Loop: Header=BB368_10 Depth=1
	s_or_b32 exec_lo, exec_lo, s18
.LBB368_322:                            ;   in Loop: Header=BB368_10 Depth=1
	s_or_b32 exec_lo, exec_lo, s6
	v_mov_b32_e32 v78, 0
	v_mov_b32_e32 v77, 0
	s_mov_b32 s6, exec_lo
	v_cmpx_lt_u64_e64 s[8:9], v[24:25]
	s_cbranch_execz .LBB368_330
; %bb.323:                              ;   in Loop: Header=BB368_10 Depth=1
	v_mov_b32_e32 v0, 0x80
	v_bfrev_b32_e32 v77, 1
	v_cmp_ne_u32_sdwa s5, v25, v0 src0_sel:BYTE_3 src1_sel:DWORD
	s_and_saveexec_b32 s18, s5
	s_cbranch_execz .LBB368_329
; %bb.324:                              ;   in Loop: Header=BB368_10 Depth=1
	v_bfe_u32 v1, v25, 24, 7
	v_mov_b32_e32 v77, 0x7f800001
	s_mov_b32 s19, exec_lo
	v_cmpx_ne_u32_e32 0x7f, v1
	s_cbranch_execz .LBB368_328
; %bb.325:                              ;   in Loop: Header=BB368_10 Depth=1
	v_mov_b32_e32 v0, 7
	s_mov_b32 s20, exec_lo
	v_and_b32_sdwa v12, v25, v0 dst_sel:DWORD dst_unused:UNUSED_PAD src0_sel:BYTE_3 src1_sel:DWORD
	v_mov_b32_e32 v27, v13
	v_lshrrev_b32_e32 v0, 3, v1
	v_mov_b32_e32 v26, v12
	v_cmpx_gt_u32_e32 8, v1
; %bb.326:                              ;   in Loop: Header=BB368_10 Depth=1
	v_ffbh_u32_e32 v0, v12
	v_min_u32_e32 v0, 32, v0
	v_subrev_nc_u32_e32 v1, 28, v0
	v_sub_nc_u32_e32 v0, 29, v0
	v_lshlrev_b64 v[1:2], v1, v[12:13]
	v_and_b32_e32 v26, 7, v1
; %bb.327:                              ;   in Loop: Header=BB368_10 Depth=1
	s_or_b32 exec_lo, exec_lo, s20
	v_mov_b32_e32 v1, 24
	v_lshlrev_b32_e32 v2, 20, v26
	v_lshl_add_u32 v0, v0, 23, 0x3c000000
	v_lshlrev_b32_sdwa v1, v1, v25 dst_sel:DWORD dst_unused:UNUSED_PAD src0_sel:DWORD src1_sel:BYTE_3
	v_and_b32_e32 v1, 0x80000000, v1
	v_or3_b32 v77, v2, v1, v0
.LBB368_328:                            ;   in Loop: Header=BB368_10 Depth=1
	s_or_b32 exec_lo, exec_lo, s19
.LBB368_329:                            ;   in Loop: Header=BB368_10 Depth=1
	s_or_b32 exec_lo, exec_lo, s18
.LBB368_330:                            ;   in Loop: Header=BB368_10 Depth=1
	s_or_b32 exec_lo, exec_lo, s6
	flat_load_dwordx2 v[24:25], v[16:17] offset:1032
	s_waitcnt vmcnt(0) lgkmcnt(0)
	v_cmp_ne_u16_sdwa s5, v24, v13 src0_sel:BYTE_0 src1_sel:DWORD
	s_and_saveexec_b32 s6, s5
	s_cbranch_execz .LBB368_338
; %bb.331:                              ;   in Loop: Header=BB368_10 Depth=1
	v_mov_b32_e32 v0, 0x80
	v_bfrev_b32_e32 v78, 1
	v_cmp_ne_u16_sdwa s5, v24, v0 src0_sel:BYTE_0 src1_sel:DWORD
	s_and_saveexec_b32 s18, s5
	s_cbranch_execz .LBB368_337
; %bb.332:                              ;   in Loop: Header=BB368_10 Depth=1
	v_and_b32_e32 v1, 0x7f, v24
	v_mov_b32_e32 v78, 0x7f800001
	s_mov_b32 s19, exec_lo
	v_cmpx_ne_u32_e32 0x7f, v1
	s_cbranch_execz .LBB368_336
; %bb.333:                              ;   in Loop: Header=BB368_10 Depth=1
	v_mov_b32_e32 v27, v25
	v_lshrrev_b32_e32 v0, 3, v1
	v_mov_b32_e32 v26, v24
	s_mov_b32 s20, exec_lo
	v_cmpx_gt_u32_e32 8, v1
; %bb.334:                              ;   in Loop: Header=BB368_10 Depth=1
	v_and_b32_e32 v0, 7, v24
	v_ffbh_u32_e32 v0, v0
	v_min_u32_e32 v0, 32, v0
	v_subrev_nc_u32_e32 v1, 28, v0
	v_sub_nc_u32_e32 v0, 29, v0
	v_lshlrev_b64 v[26:27], v1, v[24:25]
; %bb.335:                              ;   in Loop: Header=BB368_10 Depth=1
	s_or_b32 exec_lo, exec_lo, s20
	v_lshlrev_b32_e32 v1, 20, v26
	v_lshlrev_b32_e32 v2, 24, v24
	v_lshl_add_u32 v0, v0, 23, 0x3c000000
	v_and_b32_e32 v1, 0x700000, v1
	v_and_b32_e32 v2, 0x80000000, v2
	v_or3_b32 v78, v1, v2, v0
.LBB368_336:                            ;   in Loop: Header=BB368_10 Depth=1
	s_or_b32 exec_lo, exec_lo, s19
.LBB368_337:                            ;   in Loop: Header=BB368_10 Depth=1
	s_or_b32 exec_lo, exec_lo, s18
.LBB368_338:                            ;   in Loop: Header=BB368_10 Depth=1
	s_or_b32 exec_lo, exec_lo, s6
	v_cmp_ne_u16_sdwa s5, v24, v13 src0_sel:BYTE_1 src1_sel:DWORD
	v_mov_b32_e32 v88, 0
	v_mov_b32_e32 v79, 0
	s_and_saveexec_b32 s6, s5
	s_cbranch_execz .LBB368_346
; %bb.339:                              ;   in Loop: Header=BB368_10 Depth=1
	v_mov_b32_e32 v0, 0x80
	v_bfrev_b32_e32 v79, 1
	v_cmp_ne_u16_sdwa s5, v24, v0 src0_sel:BYTE_1 src1_sel:DWORD
	s_and_saveexec_b32 s18, s5
	s_cbranch_execz .LBB368_345
; %bb.340:                              ;   in Loop: Header=BB368_10 Depth=1
	v_mov_b32_e32 v0, 0xffff
	v_mov_b32_e32 v79, 0x7f800001
	s_mov_b32 s19, exec_lo
	v_and_b32_sdwa v0, v0, v24 dst_sel:DWORD dst_unused:UNUSED_PAD src0_sel:DWORD src1_sel:BYTE_1
	v_and_b32_e32 v1, 0x7f, v0
	v_cmpx_ne_u32_e32 0x7f, v1
	s_cbranch_execz .LBB368_344
; %bb.341:                              ;   in Loop: Header=BB368_10 Depth=1
	v_and_b32_e32 v12, 7, v0
	v_mov_b32_e32 v27, v13
	v_lshrrev_b32_e32 v0, 3, v1
	s_mov_b32 s20, exec_lo
	v_mov_b32_e32 v26, v12
	v_cmpx_gt_u32_e32 8, v1
; %bb.342:                              ;   in Loop: Header=BB368_10 Depth=1
	v_ffbh_u32_e32 v0, v12
	v_min_u32_e32 v0, 32, v0
	v_subrev_nc_u32_e32 v1, 28, v0
	v_sub_nc_u32_e32 v0, 29, v0
	v_lshlrev_b64 v[1:2], v1, v[12:13]
	v_and_b32_e32 v26, 7, v1
; %bb.343:                              ;   in Loop: Header=BB368_10 Depth=1
	s_or_b32 exec_lo, exec_lo, s20
	v_lshlrev_b32_e32 v1, 16, v24
	v_lshlrev_b32_e32 v2, 20, v26
	v_lshl_add_u32 v0, v0, 23, 0x3c000000
	v_and_b32_e32 v1, 0x80000000, v1
	v_or3_b32 v79, v2, v1, v0
.LBB368_344:                            ;   in Loop: Header=BB368_10 Depth=1
	s_or_b32 exec_lo, exec_lo, s19
.LBB368_345:                            ;   in Loop: Header=BB368_10 Depth=1
	s_or_b32 exec_lo, exec_lo, s18
.LBB368_346:                            ;   in Loop: Header=BB368_10 Depth=1
	s_or_b32 exec_lo, exec_lo, s6
	v_mov_b32_e32 v0, 0xff
	s_mov_b32 s6, exec_lo
	v_and_b32_sdwa v0, v24, v0 dst_sel:DWORD dst_unused:UNUSED_PAD src0_sel:WORD_1 src1_sel:DWORD
	v_cmpx_ne_u16_e32 0, v0
	s_cbranch_execz .LBB368_354
; %bb.347:                              ;   in Loop: Header=BB368_10 Depth=1
	v_bfrev_b32_e32 v88, 1
	s_mov_b32 s18, exec_lo
	v_cmpx_ne_u16_e32 0x80, v0
	s_cbranch_execz .LBB368_353
; %bb.348:                              ;   in Loop: Header=BB368_10 Depth=1
	v_bfe_u32 v1, v24, 16, 7
	v_mov_b32_e32 v88, 0x7f800001
	s_mov_b32 s19, exec_lo
	v_cmpx_ne_u32_e32 0x7f, v1
	s_cbranch_execz .LBB368_352
; %bb.349:                              ;   in Loop: Header=BB368_10 Depth=1
	v_mov_b32_e32 v0, 7
	s_mov_b32 s20, exec_lo
	v_and_b32_sdwa v12, v24, v0 dst_sel:DWORD dst_unused:UNUSED_PAD src0_sel:WORD_1 src1_sel:DWORD
	v_mov_b32_e32 v27, v13
	v_lshrrev_b32_e32 v0, 3, v1
	v_mov_b32_e32 v26, v12
	v_cmpx_gt_u32_e32 8, v1
; %bb.350:                              ;   in Loop: Header=BB368_10 Depth=1
	v_ffbh_u32_e32 v0, v12
	v_min_u32_e32 v0, 32, v0
	v_subrev_nc_u32_e32 v1, 28, v0
	v_sub_nc_u32_e32 v0, 29, v0
	v_lshlrev_b64 v[1:2], v1, v[12:13]
	v_and_b32_e32 v26, 7, v1
; %bb.351:                              ;   in Loop: Header=BB368_10 Depth=1
	s_or_b32 exec_lo, exec_lo, s20
	v_mov_b32_e32 v1, 24
	v_lshlrev_b32_e32 v2, 20, v26
	v_lshl_add_u32 v0, v0, 23, 0x3c000000
	v_lshlrev_b32_sdwa v1, v1, v24 dst_sel:DWORD dst_unused:UNUSED_PAD src0_sel:DWORD src1_sel:WORD_1
	v_and_b32_e32 v1, 0x80000000, v1
	v_or3_b32 v88, v2, v1, v0
.LBB368_352:                            ;   in Loop: Header=BB368_10 Depth=1
	s_or_b32 exec_lo, exec_lo, s19
.LBB368_353:                            ;   in Loop: Header=BB368_10 Depth=1
	s_or_b32 exec_lo, exec_lo, s18
.LBB368_354:                            ;   in Loop: Header=BB368_10 Depth=1
	s_or_b32 exec_lo, exec_lo, s6
	v_mov_b32_e32 v90, 0
	v_mov_b32_e32 v89, 0
	s_mov_b32 s6, exec_lo
	v_cmpx_lt_u32_e32 0xffffff, v24
	s_cbranch_execz .LBB368_362
; %bb.355:                              ;   in Loop: Header=BB368_10 Depth=1
	v_mov_b32_e32 v0, 0x80
	v_bfrev_b32_e32 v89, 1
	v_cmp_ne_u32_sdwa s5, v24, v0 src0_sel:BYTE_3 src1_sel:DWORD
	s_and_saveexec_b32 s18, s5
	s_cbranch_execz .LBB368_361
; %bb.356:                              ;   in Loop: Header=BB368_10 Depth=1
	v_bfe_u32 v1, v24, 24, 7
	v_mov_b32_e32 v89, 0x7f800001
	s_mov_b32 s19, exec_lo
	v_cmpx_ne_u32_e32 0x7f, v1
	s_cbranch_execz .LBB368_360
; %bb.357:                              ;   in Loop: Header=BB368_10 Depth=1
	v_mov_b32_e32 v0, 7
	s_mov_b32 s20, exec_lo
	v_and_b32_sdwa v12, v24, v0 dst_sel:DWORD dst_unused:UNUSED_PAD src0_sel:BYTE_3 src1_sel:DWORD
	v_mov_b32_e32 v27, v13
	v_lshrrev_b32_e32 v0, 3, v1
	v_mov_b32_e32 v26, v12
	v_cmpx_gt_u32_e32 8, v1
; %bb.358:                              ;   in Loop: Header=BB368_10 Depth=1
	v_ffbh_u32_e32 v0, v12
	v_min_u32_e32 v0, 32, v0
	v_subrev_nc_u32_e32 v1, 28, v0
	v_sub_nc_u32_e32 v0, 29, v0
	v_lshlrev_b64 v[1:2], v1, v[12:13]
	v_and_b32_e32 v26, 7, v1
; %bb.359:                              ;   in Loop: Header=BB368_10 Depth=1
	s_or_b32 exec_lo, exec_lo, s20
	v_mov_b32_e32 v1, 24
	v_lshlrev_b32_e32 v2, 20, v26
	v_lshl_add_u32 v0, v0, 23, 0x3c000000
	v_lshlrev_b32_sdwa v1, v1, v24 dst_sel:DWORD dst_unused:UNUSED_PAD src0_sel:DWORD src1_sel:BYTE_3
	v_and_b32_e32 v1, 0x80000000, v1
	v_or3_b32 v89, v2, v1, v0
.LBB368_360:                            ;   in Loop: Header=BB368_10 Depth=1
	s_or_b32 exec_lo, exec_lo, s19
.LBB368_361:                            ;   in Loop: Header=BB368_10 Depth=1
	s_or_b32 exec_lo, exec_lo, s18
.LBB368_362:                            ;   in Loop: Header=BB368_10 Depth=1
	s_or_b32 exec_lo, exec_lo, s6
	v_mov_b32_e32 v12, v25
	v_cmp_ne_u16_sdwa s5, v25, v13 src0_sel:BYTE_0 src1_sel:DWORD
	s_and_saveexec_b32 s6, s5
	s_cbranch_execz .LBB368_370
; %bb.363:                              ;   in Loop: Header=BB368_10 Depth=1
	v_mov_b32_e32 v0, 0x80
	v_bfrev_b32_e32 v90, 1
	v_cmp_ne_u16_sdwa s5, v25, v0 src0_sel:BYTE_0 src1_sel:DWORD
	s_and_saveexec_b32 s18, s5
	s_cbranch_execz .LBB368_369
; %bb.364:                              ;   in Loop: Header=BB368_10 Depth=1
	v_and_b32_e32 v1, 0x7f, v25
	v_mov_b32_e32 v90, 0x7f800001
	s_mov_b32 s19, exec_lo
	v_cmpx_ne_u32_e32 0x7f, v1
	s_cbranch_execz .LBB368_368
; %bb.365:                              ;   in Loop: Header=BB368_10 Depth=1
	v_mov_b32_e32 v27, v13
	v_lshrrev_b32_e32 v0, 3, v1
	v_mov_b32_e32 v26, v12
	s_mov_b32 s20, exec_lo
	v_cmpx_gt_u32_e32 8, v1
; %bb.366:                              ;   in Loop: Header=BB368_10 Depth=1
	v_and_b32_e32 v0, 7, v25
	v_ffbh_u32_e32 v0, v0
	v_min_u32_e32 v0, 32, v0
	v_subrev_nc_u32_e32 v1, 28, v0
	v_sub_nc_u32_e32 v0, 29, v0
	v_lshlrev_b64 v[26:27], v1, v[12:13]
; %bb.367:                              ;   in Loop: Header=BB368_10 Depth=1
	s_or_b32 exec_lo, exec_lo, s20
	v_lshlrev_b32_e32 v1, 20, v26
	v_lshlrev_b32_e32 v2, 24, v12
	v_lshl_add_u32 v0, v0, 23, 0x3c000000
	v_and_b32_e32 v1, 0x700000, v1
	v_and_b32_e32 v2, 0x80000000, v2
	v_or3_b32 v90, v1, v2, v0
.LBB368_368:                            ;   in Loop: Header=BB368_10 Depth=1
	s_or_b32 exec_lo, exec_lo, s19
.LBB368_369:                            ;   in Loop: Header=BB368_10 Depth=1
	s_or_b32 exec_lo, exec_lo, s18
.LBB368_370:                            ;   in Loop: Header=BB368_10 Depth=1
	s_or_b32 exec_lo, exec_lo, s6
	v_cmp_ne_u16_sdwa s5, v12, v13 src0_sel:BYTE_1 src1_sel:DWORD
	v_mov_b32_e32 v91, 0
	v_mov_b32_e32 v92, 0
	s_and_saveexec_b32 s6, s5
	s_cbranch_execz .LBB368_378
; %bb.371:                              ;   in Loop: Header=BB368_10 Depth=1
	v_mov_b32_e32 v0, 0x80
	v_bfrev_b32_e32 v92, 1
	v_cmp_ne_u16_sdwa s5, v12, v0 src0_sel:BYTE_1 src1_sel:DWORD
	s_and_saveexec_b32 s18, s5
	s_cbranch_execz .LBB368_377
; %bb.372:                              ;   in Loop: Header=BB368_10 Depth=1
	v_mov_b32_e32 v0, 0xffff
	v_mov_b32_e32 v92, 0x7f800001
	s_mov_b32 s19, exec_lo
	v_and_b32_sdwa v0, v0, v12 dst_sel:DWORD dst_unused:UNUSED_PAD src0_sel:DWORD src1_sel:BYTE_1
	v_and_b32_e32 v1, 0x7f, v0
	v_cmpx_ne_u32_e32 0x7f, v1
	s_cbranch_execz .LBB368_376
; %bb.373:                              ;   in Loop: Header=BB368_10 Depth=1
	v_and_b32_e32 v26, 7, v0
	v_mov_b32_e32 v27, v13
	v_lshrrev_b32_e32 v0, 3, v1
	s_mov_b32 s20, exec_lo
	v_cmpx_gt_u32_e32 8, v1
; %bb.374:                              ;   in Loop: Header=BB368_10 Depth=1
	v_ffbh_u32_e32 v0, v26
	v_min_u32_e32 v0, 32, v0
	v_subrev_nc_u32_e32 v1, 28, v0
	v_sub_nc_u32_e32 v0, 29, v0
	v_lshlrev_b64 v[1:2], v1, v[26:27]
	v_and_b32_e32 v26, 7, v1
; %bb.375:                              ;   in Loop: Header=BB368_10 Depth=1
	s_or_b32 exec_lo, exec_lo, s20
	v_lshlrev_b32_e32 v1, 16, v12
	v_lshlrev_b32_e32 v2, 20, v26
	v_lshl_add_u32 v0, v0, 23, 0x3c000000
	v_and_b32_e32 v1, 0x80000000, v1
	v_or3_b32 v92, v2, v1, v0
.LBB368_376:                            ;   in Loop: Header=BB368_10 Depth=1
	s_or_b32 exec_lo, exec_lo, s19
.LBB368_377:                            ;   in Loop: Header=BB368_10 Depth=1
	s_or_b32 exec_lo, exec_lo, s18
.LBB368_378:                            ;   in Loop: Header=BB368_10 Depth=1
	s_or_b32 exec_lo, exec_lo, s6
	v_mov_b32_e32 v0, 0xff
	s_mov_b32 s6, exec_lo
	v_and_b32_sdwa v0, v25, v0 dst_sel:DWORD dst_unused:UNUSED_PAD src0_sel:WORD_1 src1_sel:DWORD
	v_cmpx_ne_u16_e32 0, v0
	s_cbranch_execz .LBB368_386
; %bb.379:                              ;   in Loop: Header=BB368_10 Depth=1
	v_bfrev_b32_e32 v91, 1
	s_mov_b32 s18, exec_lo
	v_cmpx_ne_u16_e32 0x80, v0
	s_cbranch_execz .LBB368_385
; %bb.380:                              ;   in Loop: Header=BB368_10 Depth=1
	v_bfe_u32 v1, v25, 16, 7
	v_mov_b32_e32 v91, 0x7f800001
	s_mov_b32 s19, exec_lo
	v_cmpx_ne_u32_e32 0x7f, v1
	s_cbranch_execz .LBB368_384
; %bb.381:                              ;   in Loop: Header=BB368_10 Depth=1
	v_mov_b32_e32 v0, 7
	s_mov_b32 s20, exec_lo
	v_and_b32_sdwa v12, v25, v0 dst_sel:DWORD dst_unused:UNUSED_PAD src0_sel:WORD_1 src1_sel:DWORD
	v_mov_b32_e32 v27, v13
	v_lshrrev_b32_e32 v0, 3, v1
	v_mov_b32_e32 v26, v12
	v_cmpx_gt_u32_e32 8, v1
; %bb.382:                              ;   in Loop: Header=BB368_10 Depth=1
	v_ffbh_u32_e32 v0, v12
	v_min_u32_e32 v0, 32, v0
	v_subrev_nc_u32_e32 v1, 28, v0
	v_sub_nc_u32_e32 v0, 29, v0
	v_lshlrev_b64 v[1:2], v1, v[12:13]
	v_and_b32_e32 v26, 7, v1
; %bb.383:                              ;   in Loop: Header=BB368_10 Depth=1
	s_or_b32 exec_lo, exec_lo, s20
	v_mov_b32_e32 v1, 24
	v_lshlrev_b32_e32 v2, 20, v26
	v_lshl_add_u32 v0, v0, 23, 0x3c000000
	v_lshlrev_b32_sdwa v1, v1, v25 dst_sel:DWORD dst_unused:UNUSED_PAD src0_sel:DWORD src1_sel:WORD_1
	v_and_b32_e32 v1, 0x80000000, v1
	v_or3_b32 v91, v2, v1, v0
.LBB368_384:                            ;   in Loop: Header=BB368_10 Depth=1
	s_or_b32 exec_lo, exec_lo, s19
.LBB368_385:                            ;   in Loop: Header=BB368_10 Depth=1
	s_or_b32 exec_lo, exec_lo, s18
.LBB368_386:                            ;   in Loop: Header=BB368_10 Depth=1
	s_or_b32 exec_lo, exec_lo, s6
	v_mov_b32_e32 v94, 0
	v_mov_b32_e32 v93, 0
	s_mov_b32 s6, exec_lo
	v_cmpx_lt_u64_e64 s[8:9], v[24:25]
	s_cbranch_execz .LBB368_394
; %bb.387:                              ;   in Loop: Header=BB368_10 Depth=1
	v_mov_b32_e32 v0, 0x80
	v_bfrev_b32_e32 v93, 1
	v_cmp_ne_u32_sdwa s5, v25, v0 src0_sel:BYTE_3 src1_sel:DWORD
	s_and_saveexec_b32 s18, s5
	s_cbranch_execz .LBB368_393
; %bb.388:                              ;   in Loop: Header=BB368_10 Depth=1
	v_bfe_u32 v1, v25, 24, 7
	v_mov_b32_e32 v93, 0x7f800001
	s_mov_b32 s19, exec_lo
	v_cmpx_ne_u32_e32 0x7f, v1
	s_cbranch_execz .LBB368_392
; %bb.389:                              ;   in Loop: Header=BB368_10 Depth=1
	v_mov_b32_e32 v0, 7
	s_mov_b32 s20, exec_lo
	v_and_b32_sdwa v12, v25, v0 dst_sel:DWORD dst_unused:UNUSED_PAD src0_sel:BYTE_3 src1_sel:DWORD
	v_mov_b32_e32 v27, v13
	v_lshrrev_b32_e32 v0, 3, v1
	v_mov_b32_e32 v26, v12
	v_cmpx_gt_u32_e32 8, v1
; %bb.390:                              ;   in Loop: Header=BB368_10 Depth=1
	v_ffbh_u32_e32 v0, v12
	v_min_u32_e32 v0, 32, v0
	v_subrev_nc_u32_e32 v1, 28, v0
	v_sub_nc_u32_e32 v0, 29, v0
	v_lshlrev_b64 v[1:2], v1, v[12:13]
	v_and_b32_e32 v26, 7, v1
; %bb.391:                              ;   in Loop: Header=BB368_10 Depth=1
	s_or_b32 exec_lo, exec_lo, s20
	v_mov_b32_e32 v1, 24
	v_lshlrev_b32_e32 v2, 20, v26
	v_lshl_add_u32 v0, v0, 23, 0x3c000000
	v_lshlrev_b32_sdwa v1, v1, v25 dst_sel:DWORD dst_unused:UNUSED_PAD src0_sel:DWORD src1_sel:BYTE_3
	v_and_b32_e32 v1, 0x80000000, v1
	v_or3_b32 v93, v2, v1, v0
.LBB368_392:                            ;   in Loop: Header=BB368_10 Depth=1
	s_or_b32 exec_lo, exec_lo, s19
.LBB368_393:                            ;   in Loop: Header=BB368_10 Depth=1
	s_or_b32 exec_lo, exec_lo, s18
.LBB368_394:                            ;   in Loop: Header=BB368_10 Depth=1
	s_or_b32 exec_lo, exec_lo, s6
	flat_load_dwordx2 v[24:25], v[16:17] offset:1536
	s_waitcnt vmcnt(0) lgkmcnt(0)
	v_cmp_ne_u16_sdwa s5, v24, v13 src0_sel:BYTE_0 src1_sel:DWORD
	s_and_saveexec_b32 s6, s5
	s_cbranch_execz .LBB368_402
; %bb.395:                              ;   in Loop: Header=BB368_10 Depth=1
	v_mov_b32_e32 v0, 0x80
	v_bfrev_b32_e32 v94, 1
	v_cmp_ne_u16_sdwa s5, v24, v0 src0_sel:BYTE_0 src1_sel:DWORD
	s_and_saveexec_b32 s18, s5
	s_cbranch_execz .LBB368_401
; %bb.396:                              ;   in Loop: Header=BB368_10 Depth=1
	v_and_b32_e32 v1, 0x7f, v24
	v_mov_b32_e32 v94, 0x7f800001
	s_mov_b32 s19, exec_lo
	v_cmpx_ne_u32_e32 0x7f, v1
	s_cbranch_execz .LBB368_400
; %bb.397:                              ;   in Loop: Header=BB368_10 Depth=1
	v_mov_b32_e32 v27, v25
	v_lshrrev_b32_e32 v0, 3, v1
	v_mov_b32_e32 v26, v24
	s_mov_b32 s20, exec_lo
	v_cmpx_gt_u32_e32 8, v1
; %bb.398:                              ;   in Loop: Header=BB368_10 Depth=1
	v_and_b32_e32 v0, 7, v24
	v_ffbh_u32_e32 v0, v0
	v_min_u32_e32 v0, 32, v0
	v_subrev_nc_u32_e32 v1, 28, v0
	v_sub_nc_u32_e32 v0, 29, v0
	v_lshlrev_b64 v[26:27], v1, v[24:25]
; %bb.399:                              ;   in Loop: Header=BB368_10 Depth=1
	s_or_b32 exec_lo, exec_lo, s20
	v_lshlrev_b32_e32 v1, 20, v26
	v_lshlrev_b32_e32 v2, 24, v24
	v_lshl_add_u32 v0, v0, 23, 0x3c000000
	v_and_b32_e32 v1, 0x700000, v1
	v_and_b32_e32 v2, 0x80000000, v2
	v_or3_b32 v94, v1, v2, v0
.LBB368_400:                            ;   in Loop: Header=BB368_10 Depth=1
	s_or_b32 exec_lo, exec_lo, s19
.LBB368_401:                            ;   in Loop: Header=BB368_10 Depth=1
	s_or_b32 exec_lo, exec_lo, s18
.LBB368_402:                            ;   in Loop: Header=BB368_10 Depth=1
	s_or_b32 exec_lo, exec_lo, s6
	v_cmp_ne_u16_sdwa s5, v24, v13 src0_sel:BYTE_1 src1_sel:DWORD
	v_mov_b32_e32 v104, 0
	v_mov_b32_e32 v95, 0
	s_and_saveexec_b32 s6, s5
	s_cbranch_execz .LBB368_410
; %bb.403:                              ;   in Loop: Header=BB368_10 Depth=1
	v_mov_b32_e32 v0, 0x80
	v_bfrev_b32_e32 v95, 1
	v_cmp_ne_u16_sdwa s5, v24, v0 src0_sel:BYTE_1 src1_sel:DWORD
	s_and_saveexec_b32 s18, s5
	s_cbranch_execz .LBB368_409
; %bb.404:                              ;   in Loop: Header=BB368_10 Depth=1
	v_mov_b32_e32 v0, 0xffff
	v_mov_b32_e32 v95, 0x7f800001
	s_mov_b32 s19, exec_lo
	v_and_b32_sdwa v0, v0, v24 dst_sel:DWORD dst_unused:UNUSED_PAD src0_sel:DWORD src1_sel:BYTE_1
	v_and_b32_e32 v1, 0x7f, v0
	v_cmpx_ne_u32_e32 0x7f, v1
	s_cbranch_execz .LBB368_408
; %bb.405:                              ;   in Loop: Header=BB368_10 Depth=1
	v_and_b32_e32 v12, 7, v0
	v_mov_b32_e32 v27, v13
	v_lshrrev_b32_e32 v0, 3, v1
	s_mov_b32 s20, exec_lo
	v_mov_b32_e32 v26, v12
	v_cmpx_gt_u32_e32 8, v1
; %bb.406:                              ;   in Loop: Header=BB368_10 Depth=1
	v_ffbh_u32_e32 v0, v12
	v_min_u32_e32 v0, 32, v0
	v_subrev_nc_u32_e32 v1, 28, v0
	v_sub_nc_u32_e32 v0, 29, v0
	v_lshlrev_b64 v[1:2], v1, v[12:13]
	v_and_b32_e32 v26, 7, v1
; %bb.407:                              ;   in Loop: Header=BB368_10 Depth=1
	s_or_b32 exec_lo, exec_lo, s20
	v_lshlrev_b32_e32 v1, 16, v24
	v_lshlrev_b32_e32 v2, 20, v26
	v_lshl_add_u32 v0, v0, 23, 0x3c000000
	v_and_b32_e32 v1, 0x80000000, v1
	v_or3_b32 v95, v2, v1, v0
.LBB368_408:                            ;   in Loop: Header=BB368_10 Depth=1
	s_or_b32 exec_lo, exec_lo, s19
.LBB368_409:                            ;   in Loop: Header=BB368_10 Depth=1
	s_or_b32 exec_lo, exec_lo, s18
.LBB368_410:                            ;   in Loop: Header=BB368_10 Depth=1
	s_or_b32 exec_lo, exec_lo, s6
	v_mov_b32_e32 v0, 0xff
	s_mov_b32 s6, exec_lo
	v_and_b32_sdwa v0, v24, v0 dst_sel:DWORD dst_unused:UNUSED_PAD src0_sel:WORD_1 src1_sel:DWORD
	v_cmpx_ne_u16_e32 0, v0
	s_cbranch_execz .LBB368_418
; %bb.411:                              ;   in Loop: Header=BB368_10 Depth=1
	v_bfrev_b32_e32 v104, 1
	s_mov_b32 s18, exec_lo
	v_cmpx_ne_u16_e32 0x80, v0
	s_cbranch_execz .LBB368_417
; %bb.412:                              ;   in Loop: Header=BB368_10 Depth=1
	v_bfe_u32 v1, v24, 16, 7
	v_mov_b32_e32 v104, 0x7f800001
	s_mov_b32 s19, exec_lo
	v_cmpx_ne_u32_e32 0x7f, v1
	s_cbranch_execz .LBB368_416
; %bb.413:                              ;   in Loop: Header=BB368_10 Depth=1
	v_mov_b32_e32 v0, 7
	s_mov_b32 s20, exec_lo
	v_and_b32_sdwa v12, v24, v0 dst_sel:DWORD dst_unused:UNUSED_PAD src0_sel:WORD_1 src1_sel:DWORD
	v_mov_b32_e32 v27, v13
	v_lshrrev_b32_e32 v0, 3, v1
	v_mov_b32_e32 v26, v12
	v_cmpx_gt_u32_e32 8, v1
; %bb.414:                              ;   in Loop: Header=BB368_10 Depth=1
	v_ffbh_u32_e32 v0, v12
	v_min_u32_e32 v0, 32, v0
	v_subrev_nc_u32_e32 v1, 28, v0
	v_sub_nc_u32_e32 v0, 29, v0
	v_lshlrev_b64 v[1:2], v1, v[12:13]
	v_and_b32_e32 v26, 7, v1
; %bb.415:                              ;   in Loop: Header=BB368_10 Depth=1
	s_or_b32 exec_lo, exec_lo, s20
	v_mov_b32_e32 v1, 24
	v_lshlrev_b32_e32 v2, 20, v26
	v_lshl_add_u32 v0, v0, 23, 0x3c000000
	v_lshlrev_b32_sdwa v1, v1, v24 dst_sel:DWORD dst_unused:UNUSED_PAD src0_sel:DWORD src1_sel:WORD_1
	v_and_b32_e32 v1, 0x80000000, v1
	v_or3_b32 v104, v2, v1, v0
.LBB368_416:                            ;   in Loop: Header=BB368_10 Depth=1
	s_or_b32 exec_lo, exec_lo, s19
.LBB368_417:                            ;   in Loop: Header=BB368_10 Depth=1
	s_or_b32 exec_lo, exec_lo, s18
.LBB368_418:                            ;   in Loop: Header=BB368_10 Depth=1
	s_or_b32 exec_lo, exec_lo, s6
	v_mov_b32_e32 v106, 0
	v_mov_b32_e32 v105, 0
	s_mov_b32 s6, exec_lo
	v_cmpx_lt_u32_e32 0xffffff, v24
	s_cbranch_execz .LBB368_426
; %bb.419:                              ;   in Loop: Header=BB368_10 Depth=1
	v_mov_b32_e32 v0, 0x80
	v_bfrev_b32_e32 v105, 1
	v_cmp_ne_u32_sdwa s5, v24, v0 src0_sel:BYTE_3 src1_sel:DWORD
	s_and_saveexec_b32 s18, s5
	s_cbranch_execz .LBB368_425
; %bb.420:                              ;   in Loop: Header=BB368_10 Depth=1
	v_bfe_u32 v1, v24, 24, 7
	v_mov_b32_e32 v105, 0x7f800001
	s_mov_b32 s19, exec_lo
	v_cmpx_ne_u32_e32 0x7f, v1
	s_cbranch_execz .LBB368_424
; %bb.421:                              ;   in Loop: Header=BB368_10 Depth=1
	v_mov_b32_e32 v0, 7
	s_mov_b32 s20, exec_lo
	v_and_b32_sdwa v12, v24, v0 dst_sel:DWORD dst_unused:UNUSED_PAD src0_sel:BYTE_3 src1_sel:DWORD
	v_mov_b32_e32 v27, v13
	v_lshrrev_b32_e32 v0, 3, v1
	v_mov_b32_e32 v26, v12
	v_cmpx_gt_u32_e32 8, v1
; %bb.422:                              ;   in Loop: Header=BB368_10 Depth=1
	v_ffbh_u32_e32 v0, v12
	v_min_u32_e32 v0, 32, v0
	v_subrev_nc_u32_e32 v1, 28, v0
	v_sub_nc_u32_e32 v0, 29, v0
	v_lshlrev_b64 v[1:2], v1, v[12:13]
	v_and_b32_e32 v26, 7, v1
; %bb.423:                              ;   in Loop: Header=BB368_10 Depth=1
	s_or_b32 exec_lo, exec_lo, s20
	v_mov_b32_e32 v1, 24
	v_lshlrev_b32_e32 v2, 20, v26
	v_lshl_add_u32 v0, v0, 23, 0x3c000000
	v_lshlrev_b32_sdwa v1, v1, v24 dst_sel:DWORD dst_unused:UNUSED_PAD src0_sel:DWORD src1_sel:BYTE_3
	v_and_b32_e32 v1, 0x80000000, v1
	v_or3_b32 v105, v2, v1, v0
.LBB368_424:                            ;   in Loop: Header=BB368_10 Depth=1
	s_or_b32 exec_lo, exec_lo, s19
.LBB368_425:                            ;   in Loop: Header=BB368_10 Depth=1
	s_or_b32 exec_lo, exec_lo, s18
.LBB368_426:                            ;   in Loop: Header=BB368_10 Depth=1
	s_or_b32 exec_lo, exec_lo, s6
	v_mov_b32_e32 v12, v25
	v_cmp_ne_u16_sdwa s5, v25, v13 src0_sel:BYTE_0 src1_sel:DWORD
	s_and_saveexec_b32 s6, s5
	s_cbranch_execz .LBB368_434
; %bb.427:                              ;   in Loop: Header=BB368_10 Depth=1
	v_mov_b32_e32 v0, 0x80
	v_bfrev_b32_e32 v106, 1
	v_cmp_ne_u16_sdwa s5, v25, v0 src0_sel:BYTE_0 src1_sel:DWORD
	s_and_saveexec_b32 s18, s5
	s_cbranch_execz .LBB368_433
; %bb.428:                              ;   in Loop: Header=BB368_10 Depth=1
	v_and_b32_e32 v1, 0x7f, v25
	v_mov_b32_e32 v106, 0x7f800001
	s_mov_b32 s19, exec_lo
	v_cmpx_ne_u32_e32 0x7f, v1
	s_cbranch_execz .LBB368_432
; %bb.429:                              ;   in Loop: Header=BB368_10 Depth=1
	v_mov_b32_e32 v27, v13
	v_lshrrev_b32_e32 v0, 3, v1
	v_mov_b32_e32 v26, v12
	s_mov_b32 s20, exec_lo
	v_cmpx_gt_u32_e32 8, v1
; %bb.430:                              ;   in Loop: Header=BB368_10 Depth=1
	v_and_b32_e32 v0, 7, v25
	v_ffbh_u32_e32 v0, v0
	v_min_u32_e32 v0, 32, v0
	v_subrev_nc_u32_e32 v1, 28, v0
	v_sub_nc_u32_e32 v0, 29, v0
	v_lshlrev_b64 v[26:27], v1, v[12:13]
; %bb.431:                              ;   in Loop: Header=BB368_10 Depth=1
	s_or_b32 exec_lo, exec_lo, s20
	v_lshlrev_b32_e32 v1, 20, v26
	v_lshlrev_b32_e32 v2, 24, v12
	v_lshl_add_u32 v0, v0, 23, 0x3c000000
	v_and_b32_e32 v1, 0x700000, v1
	v_and_b32_e32 v2, 0x80000000, v2
	v_or3_b32 v106, v1, v2, v0
.LBB368_432:                            ;   in Loop: Header=BB368_10 Depth=1
	s_or_b32 exec_lo, exec_lo, s19
.LBB368_433:                            ;   in Loop: Header=BB368_10 Depth=1
	s_or_b32 exec_lo, exec_lo, s18
.LBB368_434:                            ;   in Loop: Header=BB368_10 Depth=1
	s_or_b32 exec_lo, exec_lo, s6
	v_cmp_ne_u16_sdwa s5, v12, v13 src0_sel:BYTE_1 src1_sel:DWORD
	v_mov_b32_e32 v107, 0
	v_mov_b32_e32 v108, 0
	s_and_saveexec_b32 s6, s5
	s_cbranch_execz .LBB368_442
; %bb.435:                              ;   in Loop: Header=BB368_10 Depth=1
	v_mov_b32_e32 v0, 0x80
	v_bfrev_b32_e32 v108, 1
	v_cmp_ne_u16_sdwa s5, v12, v0 src0_sel:BYTE_1 src1_sel:DWORD
	s_and_saveexec_b32 s18, s5
	s_cbranch_execz .LBB368_441
; %bb.436:                              ;   in Loop: Header=BB368_10 Depth=1
	v_mov_b32_e32 v0, 0xffff
	v_mov_b32_e32 v108, 0x7f800001
	s_mov_b32 s19, exec_lo
	v_and_b32_sdwa v0, v0, v12 dst_sel:DWORD dst_unused:UNUSED_PAD src0_sel:DWORD src1_sel:BYTE_1
	v_and_b32_e32 v1, 0x7f, v0
	v_cmpx_ne_u32_e32 0x7f, v1
	s_cbranch_execz .LBB368_440
; %bb.437:                              ;   in Loop: Header=BB368_10 Depth=1
	v_and_b32_e32 v26, 7, v0
	v_mov_b32_e32 v27, v13
	v_lshrrev_b32_e32 v0, 3, v1
	s_mov_b32 s20, exec_lo
	v_cmpx_gt_u32_e32 8, v1
; %bb.438:                              ;   in Loop: Header=BB368_10 Depth=1
	v_ffbh_u32_e32 v0, v26
	v_min_u32_e32 v0, 32, v0
	v_subrev_nc_u32_e32 v1, 28, v0
	v_sub_nc_u32_e32 v0, 29, v0
	v_lshlrev_b64 v[1:2], v1, v[26:27]
	v_and_b32_e32 v26, 7, v1
; %bb.439:                              ;   in Loop: Header=BB368_10 Depth=1
	s_or_b32 exec_lo, exec_lo, s20
	v_lshlrev_b32_e32 v1, 16, v12
	v_lshlrev_b32_e32 v2, 20, v26
	v_lshl_add_u32 v0, v0, 23, 0x3c000000
	v_and_b32_e32 v1, 0x80000000, v1
	v_or3_b32 v108, v2, v1, v0
.LBB368_440:                            ;   in Loop: Header=BB368_10 Depth=1
	s_or_b32 exec_lo, exec_lo, s19
.LBB368_441:                            ;   in Loop: Header=BB368_10 Depth=1
	s_or_b32 exec_lo, exec_lo, s18
.LBB368_442:                            ;   in Loop: Header=BB368_10 Depth=1
	s_or_b32 exec_lo, exec_lo, s6
	v_mov_b32_e32 v0, 0xff
	s_mov_b32 s6, exec_lo
	v_and_b32_sdwa v0, v25, v0 dst_sel:DWORD dst_unused:UNUSED_PAD src0_sel:WORD_1 src1_sel:DWORD
	v_cmpx_ne_u16_e32 0, v0
	s_cbranch_execz .LBB368_450
; %bb.443:                              ;   in Loop: Header=BB368_10 Depth=1
	v_bfrev_b32_e32 v107, 1
	s_mov_b32 s18, exec_lo
	v_cmpx_ne_u16_e32 0x80, v0
	s_cbranch_execz .LBB368_449
; %bb.444:                              ;   in Loop: Header=BB368_10 Depth=1
	v_bfe_u32 v1, v25, 16, 7
	v_mov_b32_e32 v107, 0x7f800001
	s_mov_b32 s19, exec_lo
	v_cmpx_ne_u32_e32 0x7f, v1
	s_cbranch_execz .LBB368_448
; %bb.445:                              ;   in Loop: Header=BB368_10 Depth=1
	v_mov_b32_e32 v0, 7
	s_mov_b32 s20, exec_lo
	v_and_b32_sdwa v12, v25, v0 dst_sel:DWORD dst_unused:UNUSED_PAD src0_sel:WORD_1 src1_sel:DWORD
	v_mov_b32_e32 v27, v13
	v_lshrrev_b32_e32 v0, 3, v1
	v_mov_b32_e32 v26, v12
	v_cmpx_gt_u32_e32 8, v1
; %bb.446:                              ;   in Loop: Header=BB368_10 Depth=1
	v_ffbh_u32_e32 v0, v12
	v_min_u32_e32 v0, 32, v0
	v_subrev_nc_u32_e32 v1, 28, v0
	v_sub_nc_u32_e32 v0, 29, v0
	v_lshlrev_b64 v[1:2], v1, v[12:13]
	v_and_b32_e32 v26, 7, v1
; %bb.447:                              ;   in Loop: Header=BB368_10 Depth=1
	s_or_b32 exec_lo, exec_lo, s20
	v_mov_b32_e32 v1, 24
	v_lshlrev_b32_e32 v2, 20, v26
	v_lshl_add_u32 v0, v0, 23, 0x3c000000
	v_lshlrev_b32_sdwa v1, v1, v25 dst_sel:DWORD dst_unused:UNUSED_PAD src0_sel:DWORD src1_sel:WORD_1
	v_and_b32_e32 v1, 0x80000000, v1
	v_or3_b32 v107, v2, v1, v0
.LBB368_448:                            ;   in Loop: Header=BB368_10 Depth=1
	s_or_b32 exec_lo, exec_lo, s19
.LBB368_449:                            ;   in Loop: Header=BB368_10 Depth=1
	s_or_b32 exec_lo, exec_lo, s18
.LBB368_450:                            ;   in Loop: Header=BB368_10 Depth=1
	s_or_b32 exec_lo, exec_lo, s6
	v_mov_b32_e32 v110, 0
	v_mov_b32_e32 v109, 0
	s_mov_b32 s6, exec_lo
	v_cmpx_lt_u64_e64 s[8:9], v[24:25]
	s_cbranch_execz .LBB368_458
; %bb.451:                              ;   in Loop: Header=BB368_10 Depth=1
	v_mov_b32_e32 v0, 0x80
	v_bfrev_b32_e32 v109, 1
	v_cmp_ne_u32_sdwa s5, v25, v0 src0_sel:BYTE_3 src1_sel:DWORD
	s_and_saveexec_b32 s18, s5
	s_cbranch_execz .LBB368_457
; %bb.452:                              ;   in Loop: Header=BB368_10 Depth=1
	v_bfe_u32 v1, v25, 24, 7
	v_mov_b32_e32 v109, 0x7f800001
	s_mov_b32 s19, exec_lo
	v_cmpx_ne_u32_e32 0x7f, v1
	s_cbranch_execz .LBB368_456
; %bb.453:                              ;   in Loop: Header=BB368_10 Depth=1
	v_mov_b32_e32 v0, 7
	s_mov_b32 s20, exec_lo
	v_and_b32_sdwa v12, v25, v0 dst_sel:DWORD dst_unused:UNUSED_PAD src0_sel:BYTE_3 src1_sel:DWORD
	v_mov_b32_e32 v27, v13
	v_lshrrev_b32_e32 v0, 3, v1
	v_mov_b32_e32 v26, v12
	v_cmpx_gt_u32_e32 8, v1
; %bb.454:                              ;   in Loop: Header=BB368_10 Depth=1
	v_ffbh_u32_e32 v0, v12
	v_min_u32_e32 v0, 32, v0
	v_subrev_nc_u32_e32 v1, 28, v0
	v_sub_nc_u32_e32 v0, 29, v0
	v_lshlrev_b64 v[1:2], v1, v[12:13]
	v_and_b32_e32 v26, 7, v1
; %bb.455:                              ;   in Loop: Header=BB368_10 Depth=1
	s_or_b32 exec_lo, exec_lo, s20
	v_mov_b32_e32 v1, 24
	v_lshlrev_b32_e32 v2, 20, v26
	v_lshl_add_u32 v0, v0, 23, 0x3c000000
	v_lshlrev_b32_sdwa v1, v1, v25 dst_sel:DWORD dst_unused:UNUSED_PAD src0_sel:DWORD src1_sel:BYTE_3
	v_and_b32_e32 v1, 0x80000000, v1
	v_or3_b32 v109, v2, v1, v0
.LBB368_456:                            ;   in Loop: Header=BB368_10 Depth=1
	s_or_b32 exec_lo, exec_lo, s19
.LBB368_457:                            ;   in Loop: Header=BB368_10 Depth=1
	s_or_b32 exec_lo, exec_lo, s18
.LBB368_458:                            ;   in Loop: Header=BB368_10 Depth=1
	s_or_b32 exec_lo, exec_lo, s6
	flat_load_dwordx2 v[24:25], v[16:17] offset:1544
	s_waitcnt vmcnt(0) lgkmcnt(0)
	v_cmp_ne_u16_sdwa s5, v24, v13 src0_sel:BYTE_0 src1_sel:DWORD
	s_and_saveexec_b32 s6, s5
	s_cbranch_execz .LBB368_466
; %bb.459:                              ;   in Loop: Header=BB368_10 Depth=1
	v_mov_b32_e32 v0, 0x80
	v_bfrev_b32_e32 v110, 1
	v_cmp_ne_u16_sdwa s5, v24, v0 src0_sel:BYTE_0 src1_sel:DWORD
	s_and_saveexec_b32 s18, s5
	s_cbranch_execz .LBB368_465
; %bb.460:                              ;   in Loop: Header=BB368_10 Depth=1
	v_and_b32_e32 v1, 0x7f, v24
	v_mov_b32_e32 v110, 0x7f800001
	s_mov_b32 s19, exec_lo
	v_cmpx_ne_u32_e32 0x7f, v1
	s_cbranch_execz .LBB368_464
; %bb.461:                              ;   in Loop: Header=BB368_10 Depth=1
	v_mov_b32_e32 v27, v25
	v_lshrrev_b32_e32 v0, 3, v1
	v_mov_b32_e32 v26, v24
	s_mov_b32 s20, exec_lo
	v_cmpx_gt_u32_e32 8, v1
; %bb.462:                              ;   in Loop: Header=BB368_10 Depth=1
	v_and_b32_e32 v0, 7, v24
	v_ffbh_u32_e32 v0, v0
	v_min_u32_e32 v0, 32, v0
	v_subrev_nc_u32_e32 v1, 28, v0
	v_sub_nc_u32_e32 v0, 29, v0
	v_lshlrev_b64 v[26:27], v1, v[24:25]
; %bb.463:                              ;   in Loop: Header=BB368_10 Depth=1
	s_or_b32 exec_lo, exec_lo, s20
	v_lshlrev_b32_e32 v1, 20, v26
	v_lshlrev_b32_e32 v2, 24, v24
	v_lshl_add_u32 v0, v0, 23, 0x3c000000
	v_and_b32_e32 v1, 0x700000, v1
	v_and_b32_e32 v2, 0x80000000, v2
	v_or3_b32 v110, v1, v2, v0
.LBB368_464:                            ;   in Loop: Header=BB368_10 Depth=1
	s_or_b32 exec_lo, exec_lo, s19
.LBB368_465:                            ;   in Loop: Header=BB368_10 Depth=1
	s_or_b32 exec_lo, exec_lo, s18
.LBB368_466:                            ;   in Loop: Header=BB368_10 Depth=1
	s_or_b32 exec_lo, exec_lo, s6
	v_cmp_ne_u16_sdwa s5, v24, v13 src0_sel:BYTE_1 src1_sel:DWORD
	v_mov_b32_e32 v120, 0
	v_mov_b32_e32 v111, 0
	s_and_saveexec_b32 s6, s5
	s_cbranch_execz .LBB368_474
; %bb.467:                              ;   in Loop: Header=BB368_10 Depth=1
	v_mov_b32_e32 v0, 0x80
	v_bfrev_b32_e32 v111, 1
	v_cmp_ne_u16_sdwa s5, v24, v0 src0_sel:BYTE_1 src1_sel:DWORD
	s_and_saveexec_b32 s18, s5
	s_cbranch_execz .LBB368_473
; %bb.468:                              ;   in Loop: Header=BB368_10 Depth=1
	v_mov_b32_e32 v0, 0xffff
	v_mov_b32_e32 v111, 0x7f800001
	s_mov_b32 s19, exec_lo
	v_and_b32_sdwa v0, v0, v24 dst_sel:DWORD dst_unused:UNUSED_PAD src0_sel:DWORD src1_sel:BYTE_1
	v_and_b32_e32 v1, 0x7f, v0
	v_cmpx_ne_u32_e32 0x7f, v1
	s_cbranch_execz .LBB368_472
; %bb.469:                              ;   in Loop: Header=BB368_10 Depth=1
	v_and_b32_e32 v12, 7, v0
	v_mov_b32_e32 v27, v13
	v_lshrrev_b32_e32 v0, 3, v1
	s_mov_b32 s20, exec_lo
	v_mov_b32_e32 v26, v12
	v_cmpx_gt_u32_e32 8, v1
; %bb.470:                              ;   in Loop: Header=BB368_10 Depth=1
	v_ffbh_u32_e32 v0, v12
	v_min_u32_e32 v0, 32, v0
	v_subrev_nc_u32_e32 v1, 28, v0
	v_sub_nc_u32_e32 v0, 29, v0
	v_lshlrev_b64 v[1:2], v1, v[12:13]
	v_and_b32_e32 v26, 7, v1
; %bb.471:                              ;   in Loop: Header=BB368_10 Depth=1
	s_or_b32 exec_lo, exec_lo, s20
	v_lshlrev_b32_e32 v1, 16, v24
	v_lshlrev_b32_e32 v2, 20, v26
	v_lshl_add_u32 v0, v0, 23, 0x3c000000
	v_and_b32_e32 v1, 0x80000000, v1
	v_or3_b32 v111, v2, v1, v0
.LBB368_472:                            ;   in Loop: Header=BB368_10 Depth=1
	s_or_b32 exec_lo, exec_lo, s19
.LBB368_473:                            ;   in Loop: Header=BB368_10 Depth=1
	s_or_b32 exec_lo, exec_lo, s18
.LBB368_474:                            ;   in Loop: Header=BB368_10 Depth=1
	s_or_b32 exec_lo, exec_lo, s6
	v_mov_b32_e32 v0, 0xff
	s_mov_b32 s6, exec_lo
	v_and_b32_sdwa v0, v24, v0 dst_sel:DWORD dst_unused:UNUSED_PAD src0_sel:WORD_1 src1_sel:DWORD
	v_cmpx_ne_u16_e32 0, v0
	s_cbranch_execz .LBB368_482
; %bb.475:                              ;   in Loop: Header=BB368_10 Depth=1
	v_bfrev_b32_e32 v120, 1
	s_mov_b32 s18, exec_lo
	v_cmpx_ne_u16_e32 0x80, v0
	s_cbranch_execz .LBB368_481
; %bb.476:                              ;   in Loop: Header=BB368_10 Depth=1
	v_bfe_u32 v1, v24, 16, 7
	v_mov_b32_e32 v120, 0x7f800001
	s_mov_b32 s19, exec_lo
	v_cmpx_ne_u32_e32 0x7f, v1
	s_cbranch_execz .LBB368_480
; %bb.477:                              ;   in Loop: Header=BB368_10 Depth=1
	v_mov_b32_e32 v0, 7
	s_mov_b32 s20, exec_lo
	v_and_b32_sdwa v12, v24, v0 dst_sel:DWORD dst_unused:UNUSED_PAD src0_sel:WORD_1 src1_sel:DWORD
	v_mov_b32_e32 v27, v13
	v_lshrrev_b32_e32 v0, 3, v1
	v_mov_b32_e32 v26, v12
	v_cmpx_gt_u32_e32 8, v1
; %bb.478:                              ;   in Loop: Header=BB368_10 Depth=1
	v_ffbh_u32_e32 v0, v12
	v_min_u32_e32 v0, 32, v0
	v_subrev_nc_u32_e32 v1, 28, v0
	v_sub_nc_u32_e32 v0, 29, v0
	v_lshlrev_b64 v[1:2], v1, v[12:13]
	v_and_b32_e32 v26, 7, v1
; %bb.479:                              ;   in Loop: Header=BB368_10 Depth=1
	s_or_b32 exec_lo, exec_lo, s20
	v_mov_b32_e32 v1, 24
	v_lshlrev_b32_e32 v2, 20, v26
	v_lshl_add_u32 v0, v0, 23, 0x3c000000
	v_lshlrev_b32_sdwa v1, v1, v24 dst_sel:DWORD dst_unused:UNUSED_PAD src0_sel:DWORD src1_sel:WORD_1
	v_and_b32_e32 v1, 0x80000000, v1
	v_or3_b32 v120, v2, v1, v0
.LBB368_480:                            ;   in Loop: Header=BB368_10 Depth=1
	s_or_b32 exec_lo, exec_lo, s19
.LBB368_481:                            ;   in Loop: Header=BB368_10 Depth=1
	s_or_b32 exec_lo, exec_lo, s18
.LBB368_482:                            ;   in Loop: Header=BB368_10 Depth=1
	s_or_b32 exec_lo, exec_lo, s6
	v_mov_b32_e32 v122, 0
	v_mov_b32_e32 v121, 0
	s_mov_b32 s6, exec_lo
	v_cmpx_lt_u32_e32 0xffffff, v24
	s_cbranch_execz .LBB368_490
; %bb.483:                              ;   in Loop: Header=BB368_10 Depth=1
	v_mov_b32_e32 v0, 0x80
	v_bfrev_b32_e32 v121, 1
	v_cmp_ne_u32_sdwa s5, v24, v0 src0_sel:BYTE_3 src1_sel:DWORD
	s_and_saveexec_b32 s18, s5
	s_cbranch_execz .LBB368_489
; %bb.484:                              ;   in Loop: Header=BB368_10 Depth=1
	v_bfe_u32 v1, v24, 24, 7
	v_mov_b32_e32 v121, 0x7f800001
	s_mov_b32 s19, exec_lo
	v_cmpx_ne_u32_e32 0x7f, v1
	s_cbranch_execz .LBB368_488
; %bb.485:                              ;   in Loop: Header=BB368_10 Depth=1
	v_mov_b32_e32 v0, 7
	s_mov_b32 s20, exec_lo
	v_and_b32_sdwa v12, v24, v0 dst_sel:DWORD dst_unused:UNUSED_PAD src0_sel:BYTE_3 src1_sel:DWORD
	v_mov_b32_e32 v27, v13
	v_lshrrev_b32_e32 v0, 3, v1
	v_mov_b32_e32 v26, v12
	v_cmpx_gt_u32_e32 8, v1
; %bb.486:                              ;   in Loop: Header=BB368_10 Depth=1
	v_ffbh_u32_e32 v0, v12
	v_min_u32_e32 v0, 32, v0
	v_subrev_nc_u32_e32 v1, 28, v0
	v_sub_nc_u32_e32 v0, 29, v0
	v_lshlrev_b64 v[1:2], v1, v[12:13]
	v_and_b32_e32 v26, 7, v1
; %bb.487:                              ;   in Loop: Header=BB368_10 Depth=1
	s_or_b32 exec_lo, exec_lo, s20
	v_mov_b32_e32 v1, 24
	v_lshlrev_b32_e32 v2, 20, v26
	v_lshl_add_u32 v0, v0, 23, 0x3c000000
	v_lshlrev_b32_sdwa v1, v1, v24 dst_sel:DWORD dst_unused:UNUSED_PAD src0_sel:DWORD src1_sel:BYTE_3
	v_and_b32_e32 v1, 0x80000000, v1
	v_or3_b32 v121, v2, v1, v0
.LBB368_488:                            ;   in Loop: Header=BB368_10 Depth=1
	s_or_b32 exec_lo, exec_lo, s19
.LBB368_489:                            ;   in Loop: Header=BB368_10 Depth=1
	s_or_b32 exec_lo, exec_lo, s18
.LBB368_490:                            ;   in Loop: Header=BB368_10 Depth=1
	s_or_b32 exec_lo, exec_lo, s6
	v_mov_b32_e32 v12, v25
	v_cmp_ne_u16_sdwa s5, v25, v13 src0_sel:BYTE_0 src1_sel:DWORD
	s_and_saveexec_b32 s6, s5
	s_cbranch_execz .LBB368_498
; %bb.491:                              ;   in Loop: Header=BB368_10 Depth=1
	v_mov_b32_e32 v0, 0x80
	v_bfrev_b32_e32 v122, 1
	v_cmp_ne_u16_sdwa s5, v25, v0 src0_sel:BYTE_0 src1_sel:DWORD
	s_and_saveexec_b32 s18, s5
	s_cbranch_execz .LBB368_497
; %bb.492:                              ;   in Loop: Header=BB368_10 Depth=1
	v_and_b32_e32 v1, 0x7f, v25
	v_mov_b32_e32 v122, 0x7f800001
	s_mov_b32 s19, exec_lo
	v_cmpx_ne_u32_e32 0x7f, v1
	s_cbranch_execz .LBB368_496
; %bb.493:                              ;   in Loop: Header=BB368_10 Depth=1
	v_mov_b32_e32 v27, v13
	v_lshrrev_b32_e32 v0, 3, v1
	v_mov_b32_e32 v26, v12
	s_mov_b32 s20, exec_lo
	v_cmpx_gt_u32_e32 8, v1
; %bb.494:                              ;   in Loop: Header=BB368_10 Depth=1
	v_and_b32_e32 v0, 7, v25
	v_ffbh_u32_e32 v0, v0
	v_min_u32_e32 v0, 32, v0
	v_subrev_nc_u32_e32 v1, 28, v0
	v_sub_nc_u32_e32 v0, 29, v0
	v_lshlrev_b64 v[26:27], v1, v[12:13]
; %bb.495:                              ;   in Loop: Header=BB368_10 Depth=1
	s_or_b32 exec_lo, exec_lo, s20
	v_lshlrev_b32_e32 v1, 20, v26
	v_lshlrev_b32_e32 v2, 24, v12
	v_lshl_add_u32 v0, v0, 23, 0x3c000000
	v_and_b32_e32 v1, 0x700000, v1
	v_and_b32_e32 v2, 0x80000000, v2
	v_or3_b32 v122, v1, v2, v0
.LBB368_496:                            ;   in Loop: Header=BB368_10 Depth=1
	s_or_b32 exec_lo, exec_lo, s19
.LBB368_497:                            ;   in Loop: Header=BB368_10 Depth=1
	s_or_b32 exec_lo, exec_lo, s18
.LBB368_498:                            ;   in Loop: Header=BB368_10 Depth=1
	s_or_b32 exec_lo, exec_lo, s6
	v_cmp_ne_u16_sdwa s5, v12, v13 src0_sel:BYTE_1 src1_sel:DWORD
	v_mov_b32_e32 v123, 0
	v_mov_b32_e32 v124, 0
	s_and_saveexec_b32 s6, s5
	s_cbranch_execz .LBB368_506
; %bb.499:                              ;   in Loop: Header=BB368_10 Depth=1
	v_mov_b32_e32 v0, 0x80
	v_bfrev_b32_e32 v124, 1
	v_cmp_ne_u16_sdwa s5, v12, v0 src0_sel:BYTE_1 src1_sel:DWORD
	s_and_saveexec_b32 s18, s5
	s_cbranch_execz .LBB368_505
; %bb.500:                              ;   in Loop: Header=BB368_10 Depth=1
	v_mov_b32_e32 v0, 0xffff
	v_mov_b32_e32 v124, 0x7f800001
	s_mov_b32 s19, exec_lo
	v_and_b32_sdwa v0, v0, v12 dst_sel:DWORD dst_unused:UNUSED_PAD src0_sel:DWORD src1_sel:BYTE_1
	v_and_b32_e32 v1, 0x7f, v0
	v_cmpx_ne_u32_e32 0x7f, v1
	s_cbranch_execz .LBB368_504
; %bb.501:                              ;   in Loop: Header=BB368_10 Depth=1
	v_and_b32_e32 v26, 7, v0
	v_mov_b32_e32 v27, v13
	v_lshrrev_b32_e32 v0, 3, v1
	s_mov_b32 s20, exec_lo
	v_cmpx_gt_u32_e32 8, v1
; %bb.502:                              ;   in Loop: Header=BB368_10 Depth=1
	v_ffbh_u32_e32 v0, v26
	v_min_u32_e32 v0, 32, v0
	v_subrev_nc_u32_e32 v1, 28, v0
	v_sub_nc_u32_e32 v0, 29, v0
	v_lshlrev_b64 v[1:2], v1, v[26:27]
	v_and_b32_e32 v26, 7, v1
; %bb.503:                              ;   in Loop: Header=BB368_10 Depth=1
	s_or_b32 exec_lo, exec_lo, s20
	v_lshlrev_b32_e32 v1, 16, v12
	v_lshlrev_b32_e32 v2, 20, v26
	v_lshl_add_u32 v0, v0, 23, 0x3c000000
	v_and_b32_e32 v1, 0x80000000, v1
	v_or3_b32 v124, v2, v1, v0
.LBB368_504:                            ;   in Loop: Header=BB368_10 Depth=1
	s_or_b32 exec_lo, exec_lo, s19
.LBB368_505:                            ;   in Loop: Header=BB368_10 Depth=1
	s_or_b32 exec_lo, exec_lo, s18
.LBB368_506:                            ;   in Loop: Header=BB368_10 Depth=1
	s_or_b32 exec_lo, exec_lo, s6
	v_mov_b32_e32 v0, 0xff
	s_mov_b32 s6, exec_lo
	v_and_b32_sdwa v0, v25, v0 dst_sel:DWORD dst_unused:UNUSED_PAD src0_sel:WORD_1 src1_sel:DWORD
	v_cmpx_ne_u16_e32 0, v0
	s_cbranch_execz .LBB368_514
; %bb.507:                              ;   in Loop: Header=BB368_10 Depth=1
	v_bfrev_b32_e32 v123, 1
	s_mov_b32 s18, exec_lo
	v_cmpx_ne_u16_e32 0x80, v0
	s_cbranch_execz .LBB368_513
; %bb.508:                              ;   in Loop: Header=BB368_10 Depth=1
	v_bfe_u32 v1, v25, 16, 7
	v_mov_b32_e32 v123, 0x7f800001
	s_mov_b32 s19, exec_lo
	v_cmpx_ne_u32_e32 0x7f, v1
	s_cbranch_execz .LBB368_512
; %bb.509:                              ;   in Loop: Header=BB368_10 Depth=1
	v_mov_b32_e32 v0, 7
	s_mov_b32 s20, exec_lo
	v_and_b32_sdwa v12, v25, v0 dst_sel:DWORD dst_unused:UNUSED_PAD src0_sel:WORD_1 src1_sel:DWORD
	v_mov_b32_e32 v27, v13
	v_lshrrev_b32_e32 v0, 3, v1
	v_mov_b32_e32 v26, v12
	v_cmpx_gt_u32_e32 8, v1
; %bb.510:                              ;   in Loop: Header=BB368_10 Depth=1
	v_ffbh_u32_e32 v0, v12
	v_min_u32_e32 v0, 32, v0
	v_subrev_nc_u32_e32 v1, 28, v0
	v_sub_nc_u32_e32 v0, 29, v0
	v_lshlrev_b64 v[1:2], v1, v[12:13]
	v_and_b32_e32 v26, 7, v1
; %bb.511:                              ;   in Loop: Header=BB368_10 Depth=1
	s_or_b32 exec_lo, exec_lo, s20
	v_mov_b32_e32 v1, 24
	v_lshlrev_b32_e32 v2, 20, v26
	v_lshl_add_u32 v0, v0, 23, 0x3c000000
	v_lshlrev_b32_sdwa v1, v1, v25 dst_sel:DWORD dst_unused:UNUSED_PAD src0_sel:DWORD src1_sel:WORD_1
	v_and_b32_e32 v1, 0x80000000, v1
	v_or3_b32 v123, v2, v1, v0
.LBB368_512:                            ;   in Loop: Header=BB368_10 Depth=1
	s_or_b32 exec_lo, exec_lo, s19
.LBB368_513:                            ;   in Loop: Header=BB368_10 Depth=1
	s_or_b32 exec_lo, exec_lo, s18
.LBB368_514:                            ;   in Loop: Header=BB368_10 Depth=1
	s_or_b32 exec_lo, exec_lo, s6
	v_mov_b32_e32 v126, 0
	v_mov_b32_e32 v125, 0
	s_mov_b32 s6, exec_lo
	v_cmpx_lt_u64_e64 s[8:9], v[24:25]
	s_cbranch_execz .LBB368_522
; %bb.515:                              ;   in Loop: Header=BB368_10 Depth=1
	v_mov_b32_e32 v0, 0x80
	v_bfrev_b32_e32 v125, 1
	v_cmp_ne_u32_sdwa s5, v25, v0 src0_sel:BYTE_3 src1_sel:DWORD
	s_and_saveexec_b32 s18, s5
	s_cbranch_execz .LBB368_521
; %bb.516:                              ;   in Loop: Header=BB368_10 Depth=1
	v_bfe_u32 v1, v25, 24, 7
	v_mov_b32_e32 v125, 0x7f800001
	s_mov_b32 s19, exec_lo
	v_cmpx_ne_u32_e32 0x7f, v1
	s_cbranch_execz .LBB368_520
; %bb.517:                              ;   in Loop: Header=BB368_10 Depth=1
	v_mov_b32_e32 v0, 7
	s_mov_b32 s20, exec_lo
	v_and_b32_sdwa v12, v25, v0 dst_sel:DWORD dst_unused:UNUSED_PAD src0_sel:BYTE_3 src1_sel:DWORD
	v_mov_b32_e32 v27, v13
	v_lshrrev_b32_e32 v0, 3, v1
	v_mov_b32_e32 v26, v12
	v_cmpx_gt_u32_e32 8, v1
; %bb.518:                              ;   in Loop: Header=BB368_10 Depth=1
	v_ffbh_u32_e32 v0, v12
	v_min_u32_e32 v0, 32, v0
	v_subrev_nc_u32_e32 v1, 28, v0
	v_sub_nc_u32_e32 v0, 29, v0
	v_lshlrev_b64 v[1:2], v1, v[12:13]
	v_and_b32_e32 v26, 7, v1
; %bb.519:                              ;   in Loop: Header=BB368_10 Depth=1
	s_or_b32 exec_lo, exec_lo, s20
	v_mov_b32_e32 v1, 24
	v_lshlrev_b32_e32 v2, 20, v26
	v_lshl_add_u32 v0, v0, 23, 0x3c000000
	v_lshlrev_b32_sdwa v1, v1, v25 dst_sel:DWORD dst_unused:UNUSED_PAD src0_sel:DWORD src1_sel:BYTE_3
	v_and_b32_e32 v1, 0x80000000, v1
	v_or3_b32 v125, v2, v1, v0
.LBB368_520:                            ;   in Loop: Header=BB368_10 Depth=1
	s_or_b32 exec_lo, exec_lo, s19
.LBB368_521:                            ;   in Loop: Header=BB368_10 Depth=1
	s_or_b32 exec_lo, exec_lo, s18
.LBB368_522:                            ;   in Loop: Header=BB368_10 Depth=1
	s_or_b32 exec_lo, exec_lo, s6
	v_add_co_u32 v16, s5, 0x800, v16
	v_add_co_ci_u32_e64 v17, null, 0, v17, s5
	flat_load_dwordx2 v[24:25], v[16:17]
	s_waitcnt vmcnt(0) lgkmcnt(0)
	v_cmp_ne_u16_sdwa s5, v24, v13 src0_sel:BYTE_0 src1_sel:DWORD
	s_and_saveexec_b32 s6, s5
	s_cbranch_execz .LBB368_530
; %bb.523:                              ;   in Loop: Header=BB368_10 Depth=1
	v_mov_b32_e32 v0, 0x80
	v_bfrev_b32_e32 v126, 1
	v_cmp_ne_u16_sdwa s5, v24, v0 src0_sel:BYTE_0 src1_sel:DWORD
	s_and_saveexec_b32 s18, s5
	s_cbranch_execz .LBB368_529
; %bb.524:                              ;   in Loop: Header=BB368_10 Depth=1
	v_and_b32_e32 v1, 0x7f, v24
	v_mov_b32_e32 v126, 0x7f800001
	s_mov_b32 s19, exec_lo
	v_cmpx_ne_u32_e32 0x7f, v1
	s_cbranch_execz .LBB368_528
; %bb.525:                              ;   in Loop: Header=BB368_10 Depth=1
	v_mov_b32_e32 v27, v25
	v_lshrrev_b32_e32 v0, 3, v1
	v_mov_b32_e32 v26, v24
	s_mov_b32 s20, exec_lo
	v_cmpx_gt_u32_e32 8, v1
; %bb.526:                              ;   in Loop: Header=BB368_10 Depth=1
	v_and_b32_e32 v0, 7, v24
	v_ffbh_u32_e32 v0, v0
	v_min_u32_e32 v0, 32, v0
	v_subrev_nc_u32_e32 v1, 28, v0
	v_sub_nc_u32_e32 v0, 29, v0
	v_lshlrev_b64 v[26:27], v1, v[24:25]
; %bb.527:                              ;   in Loop: Header=BB368_10 Depth=1
	s_or_b32 exec_lo, exec_lo, s20
	v_lshlrev_b32_e32 v1, 20, v26
	v_lshlrev_b32_e32 v2, 24, v24
	v_lshl_add_u32 v0, v0, 23, 0x3c000000
	v_and_b32_e32 v1, 0x700000, v1
	v_and_b32_e32 v2, 0x80000000, v2
	v_or3_b32 v126, v1, v2, v0
.LBB368_528:                            ;   in Loop: Header=BB368_10 Depth=1
	s_or_b32 exec_lo, exec_lo, s19
.LBB368_529:                            ;   in Loop: Header=BB368_10 Depth=1
	s_or_b32 exec_lo, exec_lo, s18
.LBB368_530:                            ;   in Loop: Header=BB368_10 Depth=1
	s_or_b32 exec_lo, exec_lo, s6
	v_cmp_ne_u16_sdwa s5, v24, v13 src0_sel:BYTE_1 src1_sel:DWORD
	v_mov_b32_e32 v33, 0
	v_mov_b32_e32 v127, 0
	s_and_saveexec_b32 s6, s5
	s_cbranch_execz .LBB368_538
; %bb.531:                              ;   in Loop: Header=BB368_10 Depth=1
	v_mov_b32_e32 v0, 0x80
	v_bfrev_b32_e32 v127, 1
	v_cmp_ne_u16_sdwa s5, v24, v0 src0_sel:BYTE_1 src1_sel:DWORD
	s_and_saveexec_b32 s18, s5
	s_cbranch_execz .LBB368_537
; %bb.532:                              ;   in Loop: Header=BB368_10 Depth=1
	v_mov_b32_e32 v0, 0xffff
	v_mov_b32_e32 v127, 0x7f800001
	s_mov_b32 s19, exec_lo
	v_and_b32_sdwa v0, v0, v24 dst_sel:DWORD dst_unused:UNUSED_PAD src0_sel:DWORD src1_sel:BYTE_1
	v_and_b32_e32 v1, 0x7f, v0
	v_cmpx_ne_u32_e32 0x7f, v1
	s_cbranch_execz .LBB368_536
; %bb.533:                              ;   in Loop: Header=BB368_10 Depth=1
	v_and_b32_e32 v12, 7, v0
	v_mov_b32_e32 v27, v13
	v_lshrrev_b32_e32 v0, 3, v1
	s_mov_b32 s20, exec_lo
	v_mov_b32_e32 v26, v12
	v_cmpx_gt_u32_e32 8, v1
; %bb.534:                              ;   in Loop: Header=BB368_10 Depth=1
	v_ffbh_u32_e32 v0, v12
	v_min_u32_e32 v0, 32, v0
	v_subrev_nc_u32_e32 v1, 28, v0
	v_sub_nc_u32_e32 v0, 29, v0
	v_lshlrev_b64 v[1:2], v1, v[12:13]
	v_and_b32_e32 v26, 7, v1
; %bb.535:                              ;   in Loop: Header=BB368_10 Depth=1
	s_or_b32 exec_lo, exec_lo, s20
	v_lshlrev_b32_e32 v1, 16, v24
	v_lshlrev_b32_e32 v2, 20, v26
	v_lshl_add_u32 v0, v0, 23, 0x3c000000
	v_and_b32_e32 v1, 0x80000000, v1
	v_or3_b32 v127, v2, v1, v0
.LBB368_536:                            ;   in Loop: Header=BB368_10 Depth=1
	s_or_b32 exec_lo, exec_lo, s19
.LBB368_537:                            ;   in Loop: Header=BB368_10 Depth=1
	s_or_b32 exec_lo, exec_lo, s18
.LBB368_538:                            ;   in Loop: Header=BB368_10 Depth=1
	s_or_b32 exec_lo, exec_lo, s6
	v_mov_b32_e32 v0, 0xff
	s_mov_b32 s6, exec_lo
	v_and_b32_sdwa v0, v24, v0 dst_sel:DWORD dst_unused:UNUSED_PAD src0_sel:WORD_1 src1_sel:DWORD
	v_cmpx_ne_u16_e32 0, v0
	s_cbranch_execz .LBB368_546
; %bb.539:                              ;   in Loop: Header=BB368_10 Depth=1
	v_bfrev_b32_e32 v33, 1
	s_mov_b32 s18, exec_lo
	v_cmpx_ne_u16_e32 0x80, v0
	s_cbranch_execz .LBB368_545
; %bb.540:                              ;   in Loop: Header=BB368_10 Depth=1
	v_bfe_u32 v1, v24, 16, 7
	v_mov_b32_e32 v33, 0x7f800001
	s_mov_b32 s19, exec_lo
	v_cmpx_ne_u32_e32 0x7f, v1
	s_cbranch_execz .LBB368_544
; %bb.541:                              ;   in Loop: Header=BB368_10 Depth=1
	v_mov_b32_e32 v0, 7
	s_mov_b32 s20, exec_lo
	v_and_b32_sdwa v12, v24, v0 dst_sel:DWORD dst_unused:UNUSED_PAD src0_sel:WORD_1 src1_sel:DWORD
	v_mov_b32_e32 v27, v13
	v_lshrrev_b32_e32 v0, 3, v1
	v_mov_b32_e32 v26, v12
	v_cmpx_gt_u32_e32 8, v1
; %bb.542:                              ;   in Loop: Header=BB368_10 Depth=1
	v_ffbh_u32_e32 v0, v12
	v_min_u32_e32 v0, 32, v0
	v_subrev_nc_u32_e32 v1, 28, v0
	v_sub_nc_u32_e32 v0, 29, v0
	v_lshlrev_b64 v[1:2], v1, v[12:13]
	v_and_b32_e32 v26, 7, v1
; %bb.543:                              ;   in Loop: Header=BB368_10 Depth=1
	s_or_b32 exec_lo, exec_lo, s20
	v_mov_b32_e32 v1, 24
	v_lshlrev_b32_e32 v2, 20, v26
	v_lshl_add_u32 v0, v0, 23, 0x3c000000
	v_lshlrev_b32_sdwa v1, v1, v24 dst_sel:DWORD dst_unused:UNUSED_PAD src0_sel:DWORD src1_sel:WORD_1
	v_and_b32_e32 v1, 0x80000000, v1
	v_or3_b32 v33, v2, v1, v0
.LBB368_544:                            ;   in Loop: Header=BB368_10 Depth=1
	s_or_b32 exec_lo, exec_lo, s19
.LBB368_545:                            ;   in Loop: Header=BB368_10 Depth=1
	s_or_b32 exec_lo, exec_lo, s18
.LBB368_546:                            ;   in Loop: Header=BB368_10 Depth=1
	s_or_b32 exec_lo, exec_lo, s6
	v_mov_b32_e32 v0, 0
	v_mov_b32_e32 v1, 0
	s_mov_b32 s6, exec_lo
	v_cmpx_lt_u32_e32 0xffffff, v24
	s_cbranch_execz .LBB368_554
; %bb.547:                              ;   in Loop: Header=BB368_10 Depth=1
	v_mov_b32_e32 v1, 0x80
	v_cmp_ne_u32_sdwa s5, v24, v1 src0_sel:BYTE_3 src1_sel:DWORD
	v_bfrev_b32_e32 v1, 1
	s_and_saveexec_b32 s18, s5
	s_cbranch_execz .LBB368_553
; %bb.548:                              ;   in Loop: Header=BB368_10 Depth=1
	v_bfe_u32 v2, v24, 24, 7
	v_mov_b32_e32 v1, 0x7f800001
	s_mov_b32 s19, exec_lo
	v_cmpx_ne_u32_e32 0x7f, v2
	s_cbranch_execz .LBB368_552
; %bb.549:                              ;   in Loop: Header=BB368_10 Depth=1
	v_mov_b32_e32 v1, 7
	s_mov_b32 s20, exec_lo
	v_and_b32_sdwa v12, v24, v1 dst_sel:DWORD dst_unused:UNUSED_PAD src0_sel:BYTE_3 src1_sel:DWORD
	v_mov_b32_e32 v27, v13
	v_lshrrev_b32_e32 v1, 3, v2
	v_mov_b32_e32 v26, v12
	v_cmpx_gt_u32_e32 8, v2
; %bb.550:                              ;   in Loop: Header=BB368_10 Depth=1
	v_ffbh_u32_e32 v1, v12
	v_min_u32_e32 v1, 32, v1
	v_subrev_nc_u32_e32 v2, 28, v1
	v_sub_nc_u32_e32 v1, 29, v1
	v_lshlrev_b64 v[2:3], v2, v[12:13]
	v_and_b32_e32 v26, 7, v2
; %bb.551:                              ;   in Loop: Header=BB368_10 Depth=1
	s_or_b32 exec_lo, exec_lo, s20
	v_mov_b32_e32 v2, 24
	v_lshlrev_b32_e32 v3, 20, v26
	v_lshl_add_u32 v1, v1, 23, 0x3c000000
	v_lshlrev_b32_sdwa v2, v2, v24 dst_sel:DWORD dst_unused:UNUSED_PAD src0_sel:DWORD src1_sel:BYTE_3
	v_and_b32_e32 v2, 0x80000000, v2
	v_or3_b32 v1, v3, v2, v1
.LBB368_552:                            ;   in Loop: Header=BB368_10 Depth=1
	s_or_b32 exec_lo, exec_lo, s19
.LBB368_553:                            ;   in Loop: Header=BB368_10 Depth=1
	s_or_b32 exec_lo, exec_lo, s18
.LBB368_554:                            ;   in Loop: Header=BB368_10 Depth=1
	s_or_b32 exec_lo, exec_lo, s6
	v_mov_b32_e32 v12, v25
	v_cmp_ne_u16_sdwa s5, v25, v13 src0_sel:BYTE_0 src1_sel:DWORD
	s_and_saveexec_b32 s6, s5
	s_cbranch_execz .LBB368_562
; %bb.555:                              ;   in Loop: Header=BB368_10 Depth=1
	v_mov_b32_e32 v0, 0x80
	v_cmp_ne_u16_sdwa s5, v25, v0 src0_sel:BYTE_0 src1_sel:DWORD
	v_bfrev_b32_e32 v0, 1
	s_and_saveexec_b32 s18, s5
	s_cbranch_execz .LBB368_561
; %bb.556:                              ;   in Loop: Header=BB368_10 Depth=1
	v_and_b32_e32 v2, 0x7f, v25
	v_mov_b32_e32 v0, 0x7f800001
	s_mov_b32 s19, exec_lo
	v_cmpx_ne_u32_e32 0x7f, v2
	s_cbranch_execz .LBB368_560
; %bb.557:                              ;   in Loop: Header=BB368_10 Depth=1
	v_mov_b32_e32 v27, v13
	v_lshrrev_b32_e32 v0, 3, v2
	v_mov_b32_e32 v26, v12
	s_mov_b32 s20, exec_lo
	v_cmpx_gt_u32_e32 8, v2
; %bb.558:                              ;   in Loop: Header=BB368_10 Depth=1
	v_and_b32_e32 v0, 7, v25
	v_ffbh_u32_e32 v0, v0
	v_min_u32_e32 v0, 32, v0
	v_subrev_nc_u32_e32 v2, 28, v0
	v_sub_nc_u32_e32 v0, 29, v0
	v_lshlrev_b64 v[26:27], v2, v[12:13]
; %bb.559:                              ;   in Loop: Header=BB368_10 Depth=1
	s_or_b32 exec_lo, exec_lo, s20
	v_lshlrev_b32_e32 v2, 20, v26
	v_lshlrev_b32_e32 v3, 24, v12
	v_lshl_add_u32 v0, v0, 23, 0x3c000000
	v_and_b32_e32 v2, 0x700000, v2
	v_and_b32_e32 v3, 0x80000000, v3
	v_or3_b32 v0, v2, v3, v0
.LBB368_560:                            ;   in Loop: Header=BB368_10 Depth=1
	s_or_b32 exec_lo, exec_lo, s19
.LBB368_561:                            ;   in Loop: Header=BB368_10 Depth=1
	s_or_b32 exec_lo, exec_lo, s18
.LBB368_562:                            ;   in Loop: Header=BB368_10 Depth=1
	s_or_b32 exec_lo, exec_lo, s6
	v_cmp_ne_u16_sdwa s5, v12, v13 src0_sel:BYTE_1 src1_sel:DWORD
	v_mov_b32_e32 v30, 0
	v_mov_b32_e32 v29, 0
	s_and_saveexec_b32 s6, s5
	s_cbranch_execz .LBB368_570
; %bb.563:                              ;   in Loop: Header=BB368_10 Depth=1
	v_mov_b32_e32 v2, 0x80
	v_bfrev_b32_e32 v29, 1
	v_cmp_ne_u16_sdwa s5, v12, v2 src0_sel:BYTE_1 src1_sel:DWORD
	s_and_saveexec_b32 s18, s5
	s_cbranch_execz .LBB368_569
; %bb.564:                              ;   in Loop: Header=BB368_10 Depth=1
	v_mov_b32_e32 v2, 0xffff
	v_mov_b32_e32 v29, 0x7f800001
	s_mov_b32 s19, exec_lo
	v_and_b32_sdwa v2, v2, v12 dst_sel:DWORD dst_unused:UNUSED_PAD src0_sel:DWORD src1_sel:BYTE_1
	v_and_b32_e32 v3, 0x7f, v2
	v_cmpx_ne_u32_e32 0x7f, v3
	s_cbranch_execz .LBB368_568
; %bb.565:                              ;   in Loop: Header=BB368_10 Depth=1
	v_and_b32_e32 v26, 7, v2
	v_mov_b32_e32 v27, v13
	v_lshrrev_b32_e32 v2, 3, v3
	s_mov_b32 s20, exec_lo
	v_cmpx_gt_u32_e32 8, v3
; %bb.566:                              ;   in Loop: Header=BB368_10 Depth=1
	v_ffbh_u32_e32 v2, v26
	v_min_u32_e32 v2, 32, v2
	v_subrev_nc_u32_e32 v3, 28, v2
	v_sub_nc_u32_e32 v2, 29, v2
	v_lshlrev_b64 v[3:4], v3, v[26:27]
	v_and_b32_e32 v26, 7, v3
; %bb.567:                              ;   in Loop: Header=BB368_10 Depth=1
	s_or_b32 exec_lo, exec_lo, s20
	v_lshlrev_b32_e32 v3, 16, v12
	v_lshlrev_b32_e32 v4, 20, v26
	v_lshl_add_u32 v2, v2, 23, 0x3c000000
	v_and_b32_e32 v3, 0x80000000, v3
	v_or3_b32 v29, v4, v3, v2
.LBB368_568:                            ;   in Loop: Header=BB368_10 Depth=1
	s_or_b32 exec_lo, exec_lo, s19
.LBB368_569:                            ;   in Loop: Header=BB368_10 Depth=1
	s_or_b32 exec_lo, exec_lo, s18
.LBB368_570:                            ;   in Loop: Header=BB368_10 Depth=1
	s_or_b32 exec_lo, exec_lo, s6
	v_mov_b32_e32 v2, 0xff
	s_mov_b32 s6, exec_lo
	v_and_b32_sdwa v2, v25, v2 dst_sel:DWORD dst_unused:UNUSED_PAD src0_sel:WORD_1 src1_sel:DWORD
	v_cmpx_ne_u16_e32 0, v2
	s_cbranch_execz .LBB368_578
; %bb.571:                              ;   in Loop: Header=BB368_10 Depth=1
	v_bfrev_b32_e32 v30, 1
	s_mov_b32 s18, exec_lo
	v_cmpx_ne_u16_e32 0x80, v2
	s_cbranch_execz .LBB368_577
; %bb.572:                              ;   in Loop: Header=BB368_10 Depth=1
	v_bfe_u32 v3, v25, 16, 7
	v_mov_b32_e32 v30, 0x7f800001
	s_mov_b32 s19, exec_lo
	v_cmpx_ne_u32_e32 0x7f, v3
	s_cbranch_execz .LBB368_576
; %bb.573:                              ;   in Loop: Header=BB368_10 Depth=1
	v_mov_b32_e32 v2, 7
	s_mov_b32 s20, exec_lo
	v_and_b32_sdwa v12, v25, v2 dst_sel:DWORD dst_unused:UNUSED_PAD src0_sel:WORD_1 src1_sel:DWORD
	v_mov_b32_e32 v27, v13
	v_lshrrev_b32_e32 v2, 3, v3
	v_mov_b32_e32 v26, v12
	v_cmpx_gt_u32_e32 8, v3
; %bb.574:                              ;   in Loop: Header=BB368_10 Depth=1
	v_ffbh_u32_e32 v2, v12
	v_min_u32_e32 v2, 32, v2
	v_subrev_nc_u32_e32 v3, 28, v2
	v_sub_nc_u32_e32 v2, 29, v2
	v_lshlrev_b64 v[3:4], v3, v[12:13]
	v_and_b32_e32 v26, 7, v3
; %bb.575:                              ;   in Loop: Header=BB368_10 Depth=1
	s_or_b32 exec_lo, exec_lo, s20
	v_mov_b32_e32 v3, 24
	v_lshlrev_b32_e32 v4, 20, v26
	v_lshl_add_u32 v2, v2, 23, 0x3c000000
	v_lshlrev_b32_sdwa v3, v3, v25 dst_sel:DWORD dst_unused:UNUSED_PAD src0_sel:DWORD src1_sel:WORD_1
	v_and_b32_e32 v3, 0x80000000, v3
	v_or3_b32 v30, v4, v3, v2
.LBB368_576:                            ;   in Loop: Header=BB368_10 Depth=1
	s_or_b32 exec_lo, exec_lo, s19
.LBB368_577:                            ;   in Loop: Header=BB368_10 Depth=1
	s_or_b32 exec_lo, exec_lo, s18
.LBB368_578:                            ;   in Loop: Header=BB368_10 Depth=1
	s_or_b32 exec_lo, exec_lo, s6
	v_mov_b32_e32 v7, 0
	v_mov_b32_e32 v8, 0
	s_mov_b32 s6, exec_lo
	v_cmpx_lt_u64_e64 s[8:9], v[24:25]
	s_cbranch_execz .LBB368_586
; %bb.579:                              ;   in Loop: Header=BB368_10 Depth=1
	v_mov_b32_e32 v2, 0x80
	v_bfrev_b32_e32 v8, 1
	v_cmp_ne_u32_sdwa s5, v25, v2 src0_sel:BYTE_3 src1_sel:DWORD
	s_and_saveexec_b32 s18, s5
	s_cbranch_execz .LBB368_585
; %bb.580:                              ;   in Loop: Header=BB368_10 Depth=1
	v_bfe_u32 v3, v25, 24, 7
	v_mov_b32_e32 v8, 0x7f800001
	s_mov_b32 s19, exec_lo
	v_cmpx_ne_u32_e32 0x7f, v3
	s_cbranch_execz .LBB368_584
; %bb.581:                              ;   in Loop: Header=BB368_10 Depth=1
	v_mov_b32_e32 v2, 7
	s_mov_b32 s20, exec_lo
	v_and_b32_sdwa v12, v25, v2 dst_sel:DWORD dst_unused:UNUSED_PAD src0_sel:BYTE_3 src1_sel:DWORD
	v_mov_b32_e32 v27, v13
	v_lshrrev_b32_e32 v2, 3, v3
	v_mov_b32_e32 v26, v12
	v_cmpx_gt_u32_e32 8, v3
; %bb.582:                              ;   in Loop: Header=BB368_10 Depth=1
	v_ffbh_u32_e32 v2, v12
	v_min_u32_e32 v2, 32, v2
	v_subrev_nc_u32_e32 v3, 28, v2
	v_sub_nc_u32_e32 v2, 29, v2
	v_lshlrev_b64 v[3:4], v3, v[12:13]
	v_and_b32_e32 v26, 7, v3
; %bb.583:                              ;   in Loop: Header=BB368_10 Depth=1
	s_or_b32 exec_lo, exec_lo, s20
	v_mov_b32_e32 v3, 24
	v_lshlrev_b32_e32 v4, 20, v26
	v_lshl_add_u32 v2, v2, 23, 0x3c000000
	v_lshlrev_b32_sdwa v3, v3, v25 dst_sel:DWORD dst_unused:UNUSED_PAD src0_sel:DWORD src1_sel:BYTE_3
	v_and_b32_e32 v3, 0x80000000, v3
	v_or3_b32 v8, v4, v3, v2
.LBB368_584:                            ;   in Loop: Header=BB368_10 Depth=1
	s_or_b32 exec_lo, exec_lo, s19
.LBB368_585:                            ;   in Loop: Header=BB368_10 Depth=1
	s_or_b32 exec_lo, exec_lo, s18
.LBB368_586:                            ;   in Loop: Header=BB368_10 Depth=1
	s_or_b32 exec_lo, exec_lo, s6
	flat_load_dwordx2 v[24:25], v[16:17] offset:8
	s_waitcnt vmcnt(0) lgkmcnt(0)
	v_cmp_ne_u16_sdwa s5, v24, v13 src0_sel:BYTE_0 src1_sel:DWORD
	s_and_saveexec_b32 s6, s5
	s_cbranch_execz .LBB368_594
; %bb.587:                              ;   in Loop: Header=BB368_10 Depth=1
	v_mov_b32_e32 v2, 0x80
	v_bfrev_b32_e32 v7, 1
	v_cmp_ne_u16_sdwa s5, v24, v2 src0_sel:BYTE_0 src1_sel:DWORD
	s_and_saveexec_b32 s18, s5
	s_cbranch_execz .LBB368_593
; %bb.588:                              ;   in Loop: Header=BB368_10 Depth=1
	v_and_b32_e32 v3, 0x7f, v24
	v_mov_b32_e32 v7, 0x7f800001
	s_mov_b32 s19, exec_lo
	v_cmpx_ne_u32_e32 0x7f, v3
	s_cbranch_execz .LBB368_592
; %bb.589:                              ;   in Loop: Header=BB368_10 Depth=1
	v_mov_b32_e32 v27, v25
	v_lshrrev_b32_e32 v2, 3, v3
	v_mov_b32_e32 v26, v24
	s_mov_b32 s20, exec_lo
	v_cmpx_gt_u32_e32 8, v3
; %bb.590:                              ;   in Loop: Header=BB368_10 Depth=1
	v_and_b32_e32 v2, 7, v24
	v_ffbh_u32_e32 v2, v2
	v_min_u32_e32 v2, 32, v2
	v_subrev_nc_u32_e32 v3, 28, v2
	v_sub_nc_u32_e32 v2, 29, v2
	v_lshlrev_b64 v[26:27], v3, v[24:25]
; %bb.591:                              ;   in Loop: Header=BB368_10 Depth=1
	s_or_b32 exec_lo, exec_lo, s20
	v_lshlrev_b32_e32 v3, 20, v26
	v_lshlrev_b32_e32 v4, 24, v24
	v_lshl_add_u32 v2, v2, 23, 0x3c000000
	v_and_b32_e32 v3, 0x700000, v3
	v_and_b32_e32 v4, 0x80000000, v4
	v_or3_b32 v7, v3, v4, v2
.LBB368_592:                            ;   in Loop: Header=BB368_10 Depth=1
	s_or_b32 exec_lo, exec_lo, s19
.LBB368_593:                            ;   in Loop: Header=BB368_10 Depth=1
	s_or_b32 exec_lo, exec_lo, s18
.LBB368_594:                            ;   in Loop: Header=BB368_10 Depth=1
	s_or_b32 exec_lo, exec_lo, s6
	v_cmp_ne_u16_sdwa s5, v24, v13 src0_sel:BYTE_1 src1_sel:DWORD
	v_mov_b32_e32 v11, 0
	v_mov_b32_e32 v6, 0
	s_and_saveexec_b32 s6, s5
	s_cbranch_execz .LBB368_602
; %bb.595:                              ;   in Loop: Header=BB368_10 Depth=1
	v_mov_b32_e32 v2, 0x80
	v_bfrev_b32_e32 v6, 1
	v_cmp_ne_u16_sdwa s5, v24, v2 src0_sel:BYTE_1 src1_sel:DWORD
	s_and_saveexec_b32 s18, s5
	s_cbranch_execz .LBB368_601
; %bb.596:                              ;   in Loop: Header=BB368_10 Depth=1
	v_mov_b32_e32 v2, 0xffff
	v_mov_b32_e32 v6, 0x7f800001
	s_mov_b32 s19, exec_lo
	v_and_b32_sdwa v2, v2, v24 dst_sel:DWORD dst_unused:UNUSED_PAD src0_sel:DWORD src1_sel:BYTE_1
	v_and_b32_e32 v3, 0x7f, v2
	v_cmpx_ne_u32_e32 0x7f, v3
	s_cbranch_execz .LBB368_600
; %bb.597:                              ;   in Loop: Header=BB368_10 Depth=1
	v_and_b32_e32 v12, 7, v2
	v_mov_b32_e32 v27, v13
	v_lshrrev_b32_e32 v2, 3, v3
	s_mov_b32 s20, exec_lo
	v_mov_b32_e32 v26, v12
	v_cmpx_gt_u32_e32 8, v3
; %bb.598:                              ;   in Loop: Header=BB368_10 Depth=1
	v_ffbh_u32_e32 v2, v12
	v_min_u32_e32 v2, 32, v2
	v_subrev_nc_u32_e32 v3, 28, v2
	v_sub_nc_u32_e32 v2, 29, v2
	v_lshlrev_b64 v[3:4], v3, v[12:13]
	v_and_b32_e32 v26, 7, v3
; %bb.599:                              ;   in Loop: Header=BB368_10 Depth=1
	s_or_b32 exec_lo, exec_lo, s20
	v_lshlrev_b32_e32 v3, 16, v24
	v_lshlrev_b32_e32 v4, 20, v26
	v_lshl_add_u32 v2, v2, 23, 0x3c000000
	v_and_b32_e32 v3, 0x80000000, v3
	v_or3_b32 v6, v4, v3, v2
.LBB368_600:                            ;   in Loop: Header=BB368_10 Depth=1
	s_or_b32 exec_lo, exec_lo, s19
.LBB368_601:                            ;   in Loop: Header=BB368_10 Depth=1
	s_or_b32 exec_lo, exec_lo, s18
.LBB368_602:                            ;   in Loop: Header=BB368_10 Depth=1
	s_or_b32 exec_lo, exec_lo, s6
	v_mov_b32_e32 v2, 0xff
	s_mov_b32 s6, exec_lo
	v_and_b32_sdwa v2, v24, v2 dst_sel:DWORD dst_unused:UNUSED_PAD src0_sel:WORD_1 src1_sel:DWORD
	v_cmpx_ne_u16_e32 0, v2
	s_cbranch_execz .LBB368_610
; %bb.603:                              ;   in Loop: Header=BB368_10 Depth=1
	v_bfrev_b32_e32 v11, 1
	s_mov_b32 s18, exec_lo
	v_cmpx_ne_u16_e32 0x80, v2
	s_cbranch_execz .LBB368_609
; %bb.604:                              ;   in Loop: Header=BB368_10 Depth=1
	v_bfe_u32 v3, v24, 16, 7
	v_mov_b32_e32 v11, 0x7f800001
	s_mov_b32 s19, exec_lo
	v_cmpx_ne_u32_e32 0x7f, v3
	s_cbranch_execz .LBB368_608
; %bb.605:                              ;   in Loop: Header=BB368_10 Depth=1
	v_mov_b32_e32 v2, 7
	s_mov_b32 s20, exec_lo
	v_and_b32_sdwa v12, v24, v2 dst_sel:DWORD dst_unused:UNUSED_PAD src0_sel:WORD_1 src1_sel:DWORD
	v_mov_b32_e32 v27, v13
	v_lshrrev_b32_e32 v2, 3, v3
	v_mov_b32_e32 v26, v12
	v_cmpx_gt_u32_e32 8, v3
; %bb.606:                              ;   in Loop: Header=BB368_10 Depth=1
	v_ffbh_u32_e32 v2, v12
	v_min_u32_e32 v2, 32, v2
	v_subrev_nc_u32_e32 v3, 28, v2
	v_sub_nc_u32_e32 v2, 29, v2
	v_lshlrev_b64 v[3:4], v3, v[12:13]
	v_and_b32_e32 v26, 7, v3
; %bb.607:                              ;   in Loop: Header=BB368_10 Depth=1
	s_or_b32 exec_lo, exec_lo, s20
	v_mov_b32_e32 v3, 24
	v_lshlrev_b32_e32 v4, 20, v26
	v_lshl_add_u32 v2, v2, 23, 0x3c000000
	v_lshlrev_b32_sdwa v3, v3, v24 dst_sel:DWORD dst_unused:UNUSED_PAD src0_sel:DWORD src1_sel:WORD_1
	v_and_b32_e32 v3, 0x80000000, v3
	v_or3_b32 v11, v4, v3, v2
.LBB368_608:                            ;   in Loop: Header=BB368_10 Depth=1
	s_or_b32 exec_lo, exec_lo, s19
.LBB368_609:                            ;   in Loop: Header=BB368_10 Depth=1
	s_or_b32 exec_lo, exec_lo, s18
.LBB368_610:                            ;   in Loop: Header=BB368_10 Depth=1
	s_or_b32 exec_lo, exec_lo, s6
	v_mov_b32_e32 v65, 0
	v_mov_b32_e32 v10, 0
	s_mov_b32 s6, exec_lo
	v_cmpx_lt_u32_e32 0xffffff, v24
	s_cbranch_execz .LBB368_618
; %bb.611:                              ;   in Loop: Header=BB368_10 Depth=1
	v_mov_b32_e32 v2, 0x80
	v_bfrev_b32_e32 v10, 1
	v_cmp_ne_u32_sdwa s5, v24, v2 src0_sel:BYTE_3 src1_sel:DWORD
	s_and_saveexec_b32 s18, s5
	s_cbranch_execz .LBB368_617
; %bb.612:                              ;   in Loop: Header=BB368_10 Depth=1
	v_bfe_u32 v3, v24, 24, 7
	v_mov_b32_e32 v10, 0x7f800001
	s_mov_b32 s19, exec_lo
	v_cmpx_ne_u32_e32 0x7f, v3
	s_cbranch_execz .LBB368_616
; %bb.613:                              ;   in Loop: Header=BB368_10 Depth=1
	v_mov_b32_e32 v2, 7
	s_mov_b32 s20, exec_lo
	v_and_b32_sdwa v12, v24, v2 dst_sel:DWORD dst_unused:UNUSED_PAD src0_sel:BYTE_3 src1_sel:DWORD
	v_mov_b32_e32 v27, v13
	v_lshrrev_b32_e32 v2, 3, v3
	v_mov_b32_e32 v26, v12
	v_cmpx_gt_u32_e32 8, v3
; %bb.614:                              ;   in Loop: Header=BB368_10 Depth=1
	v_ffbh_u32_e32 v2, v12
	v_min_u32_e32 v2, 32, v2
	v_subrev_nc_u32_e32 v3, 28, v2
	v_sub_nc_u32_e32 v2, 29, v2
	v_lshlrev_b64 v[3:4], v3, v[12:13]
	v_and_b32_e32 v26, 7, v3
; %bb.615:                              ;   in Loop: Header=BB368_10 Depth=1
	s_or_b32 exec_lo, exec_lo, s20
	v_mov_b32_e32 v3, 24
	v_lshlrev_b32_e32 v4, 20, v26
	v_lshl_add_u32 v2, v2, 23, 0x3c000000
	v_lshlrev_b32_sdwa v3, v3, v24 dst_sel:DWORD dst_unused:UNUSED_PAD src0_sel:DWORD src1_sel:BYTE_3
	v_and_b32_e32 v3, 0x80000000, v3
	v_or3_b32 v10, v4, v3, v2
.LBB368_616:                            ;   in Loop: Header=BB368_10 Depth=1
	s_or_b32 exec_lo, exec_lo, s19
.LBB368_617:                            ;   in Loop: Header=BB368_10 Depth=1
	s_or_b32 exec_lo, exec_lo, s18
.LBB368_618:                            ;   in Loop: Header=BB368_10 Depth=1
	s_or_b32 exec_lo, exec_lo, s6
	v_mov_b32_e32 v12, v25
	v_cmp_ne_u16_sdwa s5, v25, v13 src0_sel:BYTE_0 src1_sel:DWORD
	s_and_saveexec_b32 s6, s5
	s_cbranch_execz .LBB368_626
; %bb.619:                              ;   in Loop: Header=BB368_10 Depth=1
	v_mov_b32_e32 v2, 0x80
	v_bfrev_b32_e32 v65, 1
	v_cmp_ne_u16_sdwa s5, v25, v2 src0_sel:BYTE_0 src1_sel:DWORD
	s_and_saveexec_b32 s18, s5
	s_cbranch_execz .LBB368_625
; %bb.620:                              ;   in Loop: Header=BB368_10 Depth=1
	v_and_b32_e32 v3, 0x7f, v25
	v_mov_b32_e32 v65, 0x7f800001
	s_mov_b32 s19, exec_lo
	v_cmpx_ne_u32_e32 0x7f, v3
	s_cbranch_execz .LBB368_624
; %bb.621:                              ;   in Loop: Header=BB368_10 Depth=1
	v_mov_b32_e32 v27, v13
	v_lshrrev_b32_e32 v2, 3, v3
	v_mov_b32_e32 v26, v12
	s_mov_b32 s20, exec_lo
	v_cmpx_gt_u32_e32 8, v3
; %bb.622:                              ;   in Loop: Header=BB368_10 Depth=1
	v_and_b32_e32 v2, 7, v25
	v_ffbh_u32_e32 v2, v2
	v_min_u32_e32 v2, 32, v2
	v_subrev_nc_u32_e32 v3, 28, v2
	v_sub_nc_u32_e32 v2, 29, v2
	v_lshlrev_b64 v[26:27], v3, v[12:13]
; %bb.623:                              ;   in Loop: Header=BB368_10 Depth=1
	s_or_b32 exec_lo, exec_lo, s20
	v_lshlrev_b32_e32 v3, 20, v26
	v_lshlrev_b32_e32 v4, 24, v12
	v_lshl_add_u32 v2, v2, 23, 0x3c000000
	v_and_b32_e32 v3, 0x700000, v3
	v_and_b32_e32 v4, 0x80000000, v4
	v_or3_b32 v65, v3, v4, v2
.LBB368_624:                            ;   in Loop: Header=BB368_10 Depth=1
	s_or_b32 exec_lo, exec_lo, s19
.LBB368_625:                            ;   in Loop: Header=BB368_10 Depth=1
	s_or_b32 exec_lo, exec_lo, s18
.LBB368_626:                            ;   in Loop: Header=BB368_10 Depth=1
	s_or_b32 exec_lo, exec_lo, s6
	v_cmp_ne_u16_sdwa s5, v12, v13 src0_sel:BYTE_1 src1_sel:DWORD
	v_mov_b32_e32 v2, 0
	v_mov_b32_e32 v3, 0
	s_and_saveexec_b32 s6, s5
	s_cbranch_execz .LBB368_634
; %bb.627:                              ;   in Loop: Header=BB368_10 Depth=1
	v_mov_b32_e32 v3, 0x80
	v_cmp_ne_u16_sdwa s5, v12, v3 src0_sel:BYTE_1 src1_sel:DWORD
	v_bfrev_b32_e32 v3, 1
	s_and_saveexec_b32 s18, s5
	s_cbranch_execz .LBB368_633
; %bb.628:                              ;   in Loop: Header=BB368_10 Depth=1
	v_mov_b32_e32 v3, 0xffff
	s_mov_b32 s19, exec_lo
	v_and_b32_sdwa v5, v3, v12 dst_sel:DWORD dst_unused:UNUSED_PAD src0_sel:DWORD src1_sel:BYTE_1
	v_mov_b32_e32 v3, 0x7f800001
	v_and_b32_e32 v4, 0x7f, v5
	v_cmpx_ne_u32_e32 0x7f, v4
	s_cbranch_execz .LBB368_632
; %bb.629:                              ;   in Loop: Header=BB368_10 Depth=1
	v_and_b32_e32 v26, 7, v5
	v_mov_b32_e32 v27, v13
	v_lshrrev_b32_e32 v3, 3, v4
	s_mov_b32 s20, exec_lo
	v_cmpx_gt_u32_e32 8, v4
; %bb.630:                              ;   in Loop: Header=BB368_10 Depth=1
	v_ffbh_u32_e32 v3, v26
	v_min_u32_e32 v3, 32, v3
	v_subrev_nc_u32_e32 v4, 28, v3
	v_sub_nc_u32_e32 v3, 29, v3
	v_lshlrev_b64 v[4:5], v4, v[26:27]
	v_and_b32_e32 v26, 7, v4
; %bb.631:                              ;   in Loop: Header=BB368_10 Depth=1
	s_or_b32 exec_lo, exec_lo, s20
	v_lshlrev_b32_e32 v4, 16, v12
	v_lshlrev_b32_e32 v5, 20, v26
	v_lshl_add_u32 v3, v3, 23, 0x3c000000
	v_and_b32_e32 v4, 0x80000000, v4
	v_or3_b32 v3, v5, v4, v3
.LBB368_632:                            ;   in Loop: Header=BB368_10 Depth=1
	s_or_b32 exec_lo, exec_lo, s19
.LBB368_633:                            ;   in Loop: Header=BB368_10 Depth=1
	s_or_b32 exec_lo, exec_lo, s18
.LBB368_634:                            ;   in Loop: Header=BB368_10 Depth=1
	s_or_b32 exec_lo, exec_lo, s6
	v_mov_b32_e32 v4, 0xff
	s_mov_b32 s6, exec_lo
	v_and_b32_sdwa v4, v25, v4 dst_sel:DWORD dst_unused:UNUSED_PAD src0_sel:WORD_1 src1_sel:DWORD
	v_cmpx_ne_u16_e32 0, v4
	s_cbranch_execz .LBB368_642
; %bb.635:                              ;   in Loop: Header=BB368_10 Depth=1
	v_bfrev_b32_e32 v2, 1
	s_mov_b32 s18, exec_lo
	v_cmpx_ne_u16_e32 0x80, v4
	s_cbranch_execz .LBB368_641
; %bb.636:                              ;   in Loop: Header=BB368_10 Depth=1
	v_bfe_u32 v4, v25, 16, 7
	v_mov_b32_e32 v2, 0x7f800001
	s_mov_b32 s19, exec_lo
	v_cmpx_ne_u32_e32 0x7f, v4
	s_cbranch_execz .LBB368_640
; %bb.637:                              ;   in Loop: Header=BB368_10 Depth=1
	v_mov_b32_e32 v2, 7
	s_mov_b32 s20, exec_lo
	v_and_b32_sdwa v12, v25, v2 dst_sel:DWORD dst_unused:UNUSED_PAD src0_sel:WORD_1 src1_sel:DWORD
	v_mov_b32_e32 v27, v13
	v_lshrrev_b32_e32 v2, 3, v4
	v_mov_b32_e32 v26, v12
	v_cmpx_gt_u32_e32 8, v4
; %bb.638:                              ;   in Loop: Header=BB368_10 Depth=1
	v_ffbh_u32_e32 v2, v12
	v_min_u32_e32 v2, 32, v2
	v_subrev_nc_u32_e32 v4, 28, v2
	v_sub_nc_u32_e32 v2, 29, v2
	v_lshlrev_b64 v[4:5], v4, v[12:13]
	v_and_b32_e32 v26, 7, v4
; %bb.639:                              ;   in Loop: Header=BB368_10 Depth=1
	s_or_b32 exec_lo, exec_lo, s20
	v_mov_b32_e32 v4, 24
	v_lshlrev_b32_e32 v5, 20, v26
	v_lshl_add_u32 v2, v2, 23, 0x3c000000
	v_lshlrev_b32_sdwa v4, v4, v25 dst_sel:DWORD dst_unused:UNUSED_PAD src0_sel:DWORD src1_sel:WORD_1
	v_and_b32_e32 v4, 0x80000000, v4
	v_or3_b32 v2, v5, v4, v2
.LBB368_640:                            ;   in Loop: Header=BB368_10 Depth=1
	s_or_b32 exec_lo, exec_lo, s19
.LBB368_641:                            ;   in Loop: Header=BB368_10 Depth=1
	s_or_b32 exec_lo, exec_lo, s18
.LBB368_642:                            ;   in Loop: Header=BB368_10 Depth=1
	s_or_b32 exec_lo, exec_lo, s6
	v_mov_b32_e32 v28, 0
	v_mov_b32_e32 v19, 0
	s_mov_b32 s6, exec_lo
	v_cmpx_lt_u64_e64 s[8:9], v[24:25]
	s_cbranch_execz .LBB368_650
; %bb.643:                              ;   in Loop: Header=BB368_10 Depth=1
	v_mov_b32_e32 v4, 0x80
	v_bfrev_b32_e32 v19, 1
	v_cmp_ne_u32_sdwa s5, v25, v4 src0_sel:BYTE_3 src1_sel:DWORD
	s_and_saveexec_b32 s18, s5
	s_cbranch_execz .LBB368_649
; %bb.644:                              ;   in Loop: Header=BB368_10 Depth=1
	v_bfe_u32 v5, v25, 24, 7
	v_mov_b32_e32 v19, 0x7f800001
	s_mov_b32 s19, exec_lo
	v_cmpx_ne_u32_e32 0x7f, v5
	s_cbranch_execz .LBB368_648
; %bb.645:                              ;   in Loop: Header=BB368_10 Depth=1
	v_mov_b32_e32 v4, 7
	s_mov_b32 s20, exec_lo
	v_and_b32_sdwa v12, v25, v4 dst_sel:DWORD dst_unused:UNUSED_PAD src0_sel:BYTE_3 src1_sel:DWORD
	v_mov_b32_e32 v27, v13
	v_lshrrev_b32_e32 v4, 3, v5
	v_mov_b32_e32 v26, v12
	v_cmpx_gt_u32_e32 8, v5
; %bb.646:                              ;   in Loop: Header=BB368_10 Depth=1
	v_ffbh_u32_e32 v4, v12
	v_min_u32_e32 v4, 32, v4
	v_subrev_nc_u32_e32 v5, 28, v4
	v_sub_nc_u32_e32 v4, 29, v4
	v_lshlrev_b64 v[18:19], v5, v[12:13]
	v_and_b32_e32 v26, 7, v18
; %bb.647:                              ;   in Loop: Header=BB368_10 Depth=1
	s_or_b32 exec_lo, exec_lo, s20
	v_mov_b32_e32 v5, 24
	v_lshlrev_b32_e32 v12, 20, v26
	v_lshl_add_u32 v4, v4, 23, 0x3c000000
	v_lshlrev_b32_sdwa v5, v5, v25 dst_sel:DWORD dst_unused:UNUSED_PAD src0_sel:DWORD src1_sel:BYTE_3
	v_and_b32_e32 v5, 0x80000000, v5
	v_or3_b32 v19, v12, v5, v4
.LBB368_648:                            ;   in Loop: Header=BB368_10 Depth=1
	s_or_b32 exec_lo, exec_lo, s19
.LBB368_649:                            ;   in Loop: Header=BB368_10 Depth=1
	s_or_b32 exec_lo, exec_lo, s18
.LBB368_650:                            ;   in Loop: Header=BB368_10 Depth=1
	s_or_b32 exec_lo, exec_lo, s6
	flat_load_dwordx2 v[24:25], v[16:17] offset:512
	s_waitcnt vmcnt(0) lgkmcnt(0)
	v_cmp_ne_u16_sdwa s5, v24, v13 src0_sel:BYTE_0 src1_sel:DWORD
	s_and_saveexec_b32 s6, s5
	s_cbranch_execz .LBB368_658
; %bb.651:                              ;   in Loop: Header=BB368_10 Depth=1
	v_mov_b32_e32 v4, 0x80
	v_bfrev_b32_e32 v28, 1
	v_cmp_ne_u16_sdwa s5, v24, v4 src0_sel:BYTE_0 src1_sel:DWORD
	s_and_saveexec_b32 s18, s5
	s_cbranch_execz .LBB368_657
; %bb.652:                              ;   in Loop: Header=BB368_10 Depth=1
	v_and_b32_e32 v5, 0x7f, v24
	v_mov_b32_e32 v28, 0x7f800001
	s_mov_b32 s19, exec_lo
	v_cmpx_ne_u32_e32 0x7f, v5
	s_cbranch_execz .LBB368_656
; %bb.653:                              ;   in Loop: Header=BB368_10 Depth=1
	v_mov_b32_e32 v27, v25
	v_lshrrev_b32_e32 v4, 3, v5
	v_mov_b32_e32 v26, v24
	s_mov_b32 s20, exec_lo
	v_cmpx_gt_u32_e32 8, v5
; %bb.654:                              ;   in Loop: Header=BB368_10 Depth=1
	v_and_b32_e32 v4, 7, v24
	v_ffbh_u32_e32 v4, v4
	v_min_u32_e32 v4, 32, v4
	v_subrev_nc_u32_e32 v5, 28, v4
	v_sub_nc_u32_e32 v4, 29, v4
	v_lshlrev_b64 v[26:27], v5, v[24:25]
; %bb.655:                              ;   in Loop: Header=BB368_10 Depth=1
	s_or_b32 exec_lo, exec_lo, s20
	v_lshlrev_b32_e32 v5, 20, v26
	v_lshlrev_b32_e32 v12, 24, v24
	v_lshl_add_u32 v4, v4, 23, 0x3c000000
	v_and_b32_e32 v5, 0x700000, v5
	v_and_b32_e32 v12, 0x80000000, v12
	v_or3_b32 v28, v5, v12, v4
.LBB368_656:                            ;   in Loop: Header=BB368_10 Depth=1
	s_or_b32 exec_lo, exec_lo, s19
.LBB368_657:                            ;   in Loop: Header=BB368_10 Depth=1
	s_or_b32 exec_lo, exec_lo, s18
.LBB368_658:                            ;   in Loop: Header=BB368_10 Depth=1
	s_or_b32 exec_lo, exec_lo, s6
	v_cmp_ne_u16_sdwa s5, v24, v13 src0_sel:BYTE_1 src1_sel:DWORD
	v_mov_b32_e32 v18, 0
	v_mov_b32_e32 v35, 0
	s_and_saveexec_b32 s6, s5
	s_cbranch_execz .LBB368_666
; %bb.659:                              ;   in Loop: Header=BB368_10 Depth=1
	v_mov_b32_e32 v4, 0x80
	v_bfrev_b32_e32 v35, 1
	v_cmp_ne_u16_sdwa s5, v24, v4 src0_sel:BYTE_1 src1_sel:DWORD
	s_and_saveexec_b32 s18, s5
	s_cbranch_execz .LBB368_665
; %bb.660:                              ;   in Loop: Header=BB368_10 Depth=1
	v_mov_b32_e32 v4, 0xffff
	v_mov_b32_e32 v35, 0x7f800001
	s_mov_b32 s19, exec_lo
	v_and_b32_sdwa v4, v4, v24 dst_sel:DWORD dst_unused:UNUSED_PAD src0_sel:DWORD src1_sel:BYTE_1
	v_and_b32_e32 v5, 0x7f, v4
	v_cmpx_ne_u32_e32 0x7f, v5
	s_cbranch_execz .LBB368_664
; %bb.661:                              ;   in Loop: Header=BB368_10 Depth=1
	v_and_b32_e32 v12, 7, v4
	v_mov_b32_e32 v27, v13
	v_lshrrev_b32_e32 v4, 3, v5
	s_mov_b32 s20, exec_lo
	v_mov_b32_e32 v26, v12
	v_cmpx_gt_u32_e32 8, v5
; %bb.662:                              ;   in Loop: Header=BB368_10 Depth=1
	v_ffbh_u32_e32 v4, v12
	v_min_u32_e32 v4, 32, v4
	v_subrev_nc_u32_e32 v5, 28, v4
	v_sub_nc_u32_e32 v4, 29, v4
	v_lshlrev_b64 v[20:21], v5, v[12:13]
	v_and_b32_e32 v26, 7, v20
; %bb.663:                              ;   in Loop: Header=BB368_10 Depth=1
	s_or_b32 exec_lo, exec_lo, s20
	v_lshlrev_b32_e32 v5, 16, v24
	v_lshlrev_b32_e32 v12, 20, v26
	v_lshl_add_u32 v4, v4, 23, 0x3c000000
	v_and_b32_e32 v5, 0x80000000, v5
	v_or3_b32 v35, v12, v5, v4
.LBB368_664:                            ;   in Loop: Header=BB368_10 Depth=1
	s_or_b32 exec_lo, exec_lo, s19
.LBB368_665:                            ;   in Loop: Header=BB368_10 Depth=1
	s_or_b32 exec_lo, exec_lo, s18
.LBB368_666:                            ;   in Loop: Header=BB368_10 Depth=1
	s_or_b32 exec_lo, exec_lo, s6
	v_mov_b32_e32 v4, 0xff
	s_mov_b32 s6, exec_lo
	v_and_b32_sdwa v4, v24, v4 dst_sel:DWORD dst_unused:UNUSED_PAD src0_sel:WORD_1 src1_sel:DWORD
	v_cmpx_ne_u16_e32 0, v4
	s_cbranch_execz .LBB368_674
; %bb.667:                              ;   in Loop: Header=BB368_10 Depth=1
	v_bfrev_b32_e32 v18, 1
	s_mov_b32 s18, exec_lo
	v_cmpx_ne_u16_e32 0x80, v4
	s_cbranch_execz .LBB368_673
; %bb.668:                              ;   in Loop: Header=BB368_10 Depth=1
	v_bfe_u32 v5, v24, 16, 7
	v_mov_b32_e32 v18, 0x7f800001
	s_mov_b32 s19, exec_lo
	v_cmpx_ne_u32_e32 0x7f, v5
	s_cbranch_execz .LBB368_672
; %bb.669:                              ;   in Loop: Header=BB368_10 Depth=1
	v_mov_b32_e32 v4, 7
	s_mov_b32 s20, exec_lo
	v_and_b32_sdwa v12, v24, v4 dst_sel:DWORD dst_unused:UNUSED_PAD src0_sel:WORD_1 src1_sel:DWORD
	v_mov_b32_e32 v27, v13
	v_lshrrev_b32_e32 v4, 3, v5
	v_mov_b32_e32 v26, v12
	v_cmpx_gt_u32_e32 8, v5
; %bb.670:                              ;   in Loop: Header=BB368_10 Depth=1
	v_ffbh_u32_e32 v4, v12
	v_min_u32_e32 v4, 32, v4
	v_subrev_nc_u32_e32 v5, 28, v4
	v_sub_nc_u32_e32 v4, 29, v4
	v_lshlrev_b64 v[20:21], v5, v[12:13]
	v_and_b32_e32 v26, 7, v20
; %bb.671:                              ;   in Loop: Header=BB368_10 Depth=1
	s_or_b32 exec_lo, exec_lo, s20
	v_mov_b32_e32 v5, 24
	v_lshlrev_b32_e32 v12, 20, v26
	v_lshl_add_u32 v4, v4, 23, 0x3c000000
	v_lshlrev_b32_sdwa v5, v5, v24 dst_sel:DWORD dst_unused:UNUSED_PAD src0_sel:DWORD src1_sel:WORD_1
	v_and_b32_e32 v5, 0x80000000, v5
	v_or3_b32 v18, v12, v5, v4
.LBB368_672:                            ;   in Loop: Header=BB368_10 Depth=1
	s_or_b32 exec_lo, exec_lo, s19
.LBB368_673:                            ;   in Loop: Header=BB368_10 Depth=1
	s_or_b32 exec_lo, exec_lo, s18
.LBB368_674:                            ;   in Loop: Header=BB368_10 Depth=1
	s_or_b32 exec_lo, exec_lo, s6
	v_mov_b32_e32 v22, 0
	v_mov_b32_e32 v23, 0
	s_mov_b32 s6, exec_lo
	v_cmpx_lt_u32_e32 0xffffff, v24
	s_cbranch_execz .LBB368_682
; %bb.675:                              ;   in Loop: Header=BB368_10 Depth=1
	v_mov_b32_e32 v4, 0x80
	v_bfrev_b32_e32 v23, 1
	v_cmp_ne_u32_sdwa s5, v24, v4 src0_sel:BYTE_3 src1_sel:DWORD
	s_and_saveexec_b32 s18, s5
	s_cbranch_execz .LBB368_681
; %bb.676:                              ;   in Loop: Header=BB368_10 Depth=1
	v_bfe_u32 v5, v24, 24, 7
	v_mov_b32_e32 v23, 0x7f800001
	s_mov_b32 s19, exec_lo
	v_cmpx_ne_u32_e32 0x7f, v5
	s_cbranch_execz .LBB368_680
; %bb.677:                              ;   in Loop: Header=BB368_10 Depth=1
	v_mov_b32_e32 v4, 7
	s_mov_b32 s20, exec_lo
	v_and_b32_sdwa v12, v24, v4 dst_sel:DWORD dst_unused:UNUSED_PAD src0_sel:BYTE_3 src1_sel:DWORD
	v_mov_b32_e32 v27, v13
	v_lshrrev_b32_e32 v4, 3, v5
	v_mov_b32_e32 v26, v12
	v_cmpx_gt_u32_e32 8, v5
; %bb.678:                              ;   in Loop: Header=BB368_10 Depth=1
	v_ffbh_u32_e32 v4, v12
	v_min_u32_e32 v4, 32, v4
	v_subrev_nc_u32_e32 v5, 28, v4
	v_sub_nc_u32_e32 v4, 29, v4
	v_lshlrev_b64 v[20:21], v5, v[12:13]
	v_and_b32_e32 v26, 7, v20
; %bb.679:                              ;   in Loop: Header=BB368_10 Depth=1
	s_or_b32 exec_lo, exec_lo, s20
	v_mov_b32_e32 v5, 24
	v_lshlrev_b32_e32 v12, 20, v26
	v_lshl_add_u32 v4, v4, 23, 0x3c000000
	v_lshlrev_b32_sdwa v5, v5, v24 dst_sel:DWORD dst_unused:UNUSED_PAD src0_sel:DWORD src1_sel:BYTE_3
	v_and_b32_e32 v5, 0x80000000, v5
	v_or3_b32 v23, v12, v5, v4
.LBB368_680:                            ;   in Loop: Header=BB368_10 Depth=1
	s_or_b32 exec_lo, exec_lo, s19
.LBB368_681:                            ;   in Loop: Header=BB368_10 Depth=1
	s_or_b32 exec_lo, exec_lo, s18
.LBB368_682:                            ;   in Loop: Header=BB368_10 Depth=1
	s_or_b32 exec_lo, exec_lo, s6
	v_mov_b32_e32 v12, v25
	v_cmp_ne_u16_sdwa s5, v25, v13 src0_sel:BYTE_0 src1_sel:DWORD
	s_and_saveexec_b32 s6, s5
	s_cbranch_execz .LBB368_690
; %bb.683:                              ;   in Loop: Header=BB368_10 Depth=1
	v_mov_b32_e32 v4, 0x80
	v_bfrev_b32_e32 v22, 1
	v_cmp_ne_u16_sdwa s5, v25, v4 src0_sel:BYTE_0 src1_sel:DWORD
	s_and_saveexec_b32 s18, s5
	s_cbranch_execz .LBB368_689
; %bb.684:                              ;   in Loop: Header=BB368_10 Depth=1
	v_and_b32_e32 v5, 0x7f, v25
	v_mov_b32_e32 v22, 0x7f800001
	s_mov_b32 s19, exec_lo
	v_cmpx_ne_u32_e32 0x7f, v5
	s_cbranch_execz .LBB368_688
; %bb.685:                              ;   in Loop: Header=BB368_10 Depth=1
	v_mov_b32_e32 v27, v13
	v_lshrrev_b32_e32 v4, 3, v5
	v_mov_b32_e32 v26, v12
	s_mov_b32 s20, exec_lo
	v_cmpx_gt_u32_e32 8, v5
; %bb.686:                              ;   in Loop: Header=BB368_10 Depth=1
	v_and_b32_e32 v4, 7, v25
	v_ffbh_u32_e32 v4, v4
	v_min_u32_e32 v4, 32, v4
	v_subrev_nc_u32_e32 v5, 28, v4
	v_sub_nc_u32_e32 v4, 29, v4
	v_lshlrev_b64 v[26:27], v5, v[12:13]
; %bb.687:                              ;   in Loop: Header=BB368_10 Depth=1
	s_or_b32 exec_lo, exec_lo, s20
	v_lshlrev_b32_e32 v5, 20, v26
	v_lshlrev_b32_e32 v20, 24, v12
	v_lshl_add_u32 v4, v4, 23, 0x3c000000
	v_and_b32_e32 v5, 0x700000, v5
	v_and_b32_e32 v20, 0x80000000, v20
	v_or3_b32 v22, v5, v20, v4
.LBB368_688:                            ;   in Loop: Header=BB368_10 Depth=1
	s_or_b32 exec_lo, exec_lo, s19
.LBB368_689:                            ;   in Loop: Header=BB368_10 Depth=1
	s_or_b32 exec_lo, exec_lo, s18
.LBB368_690:                            ;   in Loop: Header=BB368_10 Depth=1
	s_or_b32 exec_lo, exec_lo, s6
	v_cmp_ne_u16_sdwa s5, v12, v13 src0_sel:BYTE_1 src1_sel:DWORD
	v_mov_b32_e32 v36, 0
	v_mov_b32_e32 v37, 0
	s_and_saveexec_b32 s6, s5
	s_cbranch_execz .LBB368_698
; %bb.691:                              ;   in Loop: Header=BB368_10 Depth=1
	v_mov_b32_e32 v4, 0x80
	v_bfrev_b32_e32 v37, 1
	v_cmp_ne_u16_sdwa s5, v12, v4 src0_sel:BYTE_1 src1_sel:DWORD
	s_and_saveexec_b32 s18, s5
	s_cbranch_execz .LBB368_697
; %bb.692:                              ;   in Loop: Header=BB368_10 Depth=1
	v_mov_b32_e32 v4, 0xffff
	v_mov_b32_e32 v37, 0x7f800001
	s_mov_b32 s19, exec_lo
	v_and_b32_sdwa v4, v4, v12 dst_sel:DWORD dst_unused:UNUSED_PAD src0_sel:DWORD src1_sel:BYTE_1
	v_and_b32_e32 v5, 0x7f, v4
	v_cmpx_ne_u32_e32 0x7f, v5
	s_cbranch_execz .LBB368_696
; %bb.693:                              ;   in Loop: Header=BB368_10 Depth=1
	v_and_b32_e32 v26, 7, v4
	v_mov_b32_e32 v27, v13
	v_lshrrev_b32_e32 v4, 3, v5
	s_mov_b32 s20, exec_lo
	v_cmpx_gt_u32_e32 8, v5
; %bb.694:                              ;   in Loop: Header=BB368_10 Depth=1
	v_ffbh_u32_e32 v4, v26
	v_min_u32_e32 v4, 32, v4
	v_subrev_nc_u32_e32 v5, 28, v4
	v_sub_nc_u32_e32 v4, 29, v4
	v_lshlrev_b64 v[20:21], v5, v[26:27]
	v_and_b32_e32 v26, 7, v20
; %bb.695:                              ;   in Loop: Header=BB368_10 Depth=1
	s_or_b32 exec_lo, exec_lo, s20
	v_lshlrev_b32_e32 v5, 16, v12
	v_lshlrev_b32_e32 v12, 20, v26
	v_lshl_add_u32 v4, v4, 23, 0x3c000000
	v_and_b32_e32 v5, 0x80000000, v5
	v_or3_b32 v37, v12, v5, v4
.LBB368_696:                            ;   in Loop: Header=BB368_10 Depth=1
	s_or_b32 exec_lo, exec_lo, s19
.LBB368_697:                            ;   in Loop: Header=BB368_10 Depth=1
	s_or_b32 exec_lo, exec_lo, s18
.LBB368_698:                            ;   in Loop: Header=BB368_10 Depth=1
	s_or_b32 exec_lo, exec_lo, s6
	v_mov_b32_e32 v4, 0xff
	s_mov_b32 s6, exec_lo
	v_and_b32_sdwa v4, v25, v4 dst_sel:DWORD dst_unused:UNUSED_PAD src0_sel:WORD_1 src1_sel:DWORD
	v_cmpx_ne_u16_e32 0, v4
	s_cbranch_execz .LBB368_706
; %bb.699:                              ;   in Loop: Header=BB368_10 Depth=1
	v_bfrev_b32_e32 v36, 1
	s_mov_b32 s18, exec_lo
	v_cmpx_ne_u16_e32 0x80, v4
	s_cbranch_execz .LBB368_705
; %bb.700:                              ;   in Loop: Header=BB368_10 Depth=1
	v_bfe_u32 v5, v25, 16, 7
	v_mov_b32_e32 v36, 0x7f800001
	s_mov_b32 s19, exec_lo
	v_cmpx_ne_u32_e32 0x7f, v5
	s_cbranch_execz .LBB368_704
; %bb.701:                              ;   in Loop: Header=BB368_10 Depth=1
	v_mov_b32_e32 v4, 7
	s_mov_b32 s20, exec_lo
	v_and_b32_sdwa v12, v25, v4 dst_sel:DWORD dst_unused:UNUSED_PAD src0_sel:WORD_1 src1_sel:DWORD
	v_mov_b32_e32 v27, v13
	v_lshrrev_b32_e32 v4, 3, v5
	v_mov_b32_e32 v26, v12
	v_cmpx_gt_u32_e32 8, v5
; %bb.702:                              ;   in Loop: Header=BB368_10 Depth=1
	v_ffbh_u32_e32 v4, v12
	v_min_u32_e32 v4, 32, v4
	v_subrev_nc_u32_e32 v5, 28, v4
	v_sub_nc_u32_e32 v4, 29, v4
	v_lshlrev_b64 v[20:21], v5, v[12:13]
	v_and_b32_e32 v26, 7, v20
; %bb.703:                              ;   in Loop: Header=BB368_10 Depth=1
	s_or_b32 exec_lo, exec_lo, s20
	v_mov_b32_e32 v5, 24
	v_lshlrev_b32_e32 v12, 20, v26
	v_lshl_add_u32 v4, v4, 23, 0x3c000000
	v_lshlrev_b32_sdwa v5, v5, v25 dst_sel:DWORD dst_unused:UNUSED_PAD src0_sel:DWORD src1_sel:WORD_1
	v_and_b32_e32 v5, 0x80000000, v5
	v_or3_b32 v36, v12, v5, v4
.LBB368_704:                            ;   in Loop: Header=BB368_10 Depth=1
	s_or_b32 exec_lo, exec_lo, s19
.LBB368_705:                            ;   in Loop: Header=BB368_10 Depth=1
	s_or_b32 exec_lo, exec_lo, s18
.LBB368_706:                            ;   in Loop: Header=BB368_10 Depth=1
	s_or_b32 exec_lo, exec_lo, s6
	v_mov_b32_e32 v39, 0
	v_mov_b32_e32 v38, 0
	s_mov_b32 s6, exec_lo
	v_cmpx_lt_u64_e64 s[8:9], v[24:25]
	s_cbranch_execz .LBB368_714
; %bb.707:                              ;   in Loop: Header=BB368_10 Depth=1
	v_mov_b32_e32 v4, 0x80
	v_bfrev_b32_e32 v38, 1
	v_cmp_ne_u32_sdwa s5, v25, v4 src0_sel:BYTE_3 src1_sel:DWORD
	s_and_saveexec_b32 s18, s5
	s_cbranch_execz .LBB368_713
; %bb.708:                              ;   in Loop: Header=BB368_10 Depth=1
	v_bfe_u32 v5, v25, 24, 7
	v_mov_b32_e32 v38, 0x7f800001
	s_mov_b32 s19, exec_lo
	v_cmpx_ne_u32_e32 0x7f, v5
	s_cbranch_execz .LBB368_712
; %bb.709:                              ;   in Loop: Header=BB368_10 Depth=1
	v_mov_b32_e32 v4, 7
	s_mov_b32 s20, exec_lo
	v_and_b32_sdwa v12, v25, v4 dst_sel:DWORD dst_unused:UNUSED_PAD src0_sel:BYTE_3 src1_sel:DWORD
	v_mov_b32_e32 v27, v13
	v_lshrrev_b32_e32 v4, 3, v5
	v_mov_b32_e32 v26, v12
	v_cmpx_gt_u32_e32 8, v5
; %bb.710:                              ;   in Loop: Header=BB368_10 Depth=1
	v_ffbh_u32_e32 v4, v12
	v_min_u32_e32 v4, 32, v4
	v_subrev_nc_u32_e32 v5, 28, v4
	v_sub_nc_u32_e32 v4, 29, v4
	v_lshlrev_b64 v[20:21], v5, v[12:13]
	v_and_b32_e32 v26, 7, v20
; %bb.711:                              ;   in Loop: Header=BB368_10 Depth=1
	s_or_b32 exec_lo, exec_lo, s20
	v_mov_b32_e32 v5, 24
	v_lshlrev_b32_e32 v12, 20, v26
	v_lshl_add_u32 v4, v4, 23, 0x3c000000
	v_lshlrev_b32_sdwa v5, v5, v25 dst_sel:DWORD dst_unused:UNUSED_PAD src0_sel:DWORD src1_sel:BYTE_3
	v_and_b32_e32 v5, 0x80000000, v5
	v_or3_b32 v38, v12, v5, v4
.LBB368_712:                            ;   in Loop: Header=BB368_10 Depth=1
	s_or_b32 exec_lo, exec_lo, s19
.LBB368_713:                            ;   in Loop: Header=BB368_10 Depth=1
	s_or_b32 exec_lo, exec_lo, s18
.LBB368_714:                            ;   in Loop: Header=BB368_10 Depth=1
	s_or_b32 exec_lo, exec_lo, s6
	flat_load_dwordx2 v[24:25], v[16:17] offset:520
	s_waitcnt vmcnt(0) lgkmcnt(0)
	v_cmp_ne_u16_sdwa s5, v24, v13 src0_sel:BYTE_0 src1_sel:DWORD
	s_and_saveexec_b32 s6, s5
	s_cbranch_execz .LBB368_722
; %bb.715:                              ;   in Loop: Header=BB368_10 Depth=1
	v_mov_b32_e32 v4, 0x80
	v_bfrev_b32_e32 v39, 1
	v_cmp_ne_u16_sdwa s5, v24, v4 src0_sel:BYTE_0 src1_sel:DWORD
	s_and_saveexec_b32 s18, s5
	s_cbranch_execz .LBB368_721
; %bb.716:                              ;   in Loop: Header=BB368_10 Depth=1
	v_and_b32_e32 v5, 0x7f, v24
	v_mov_b32_e32 v39, 0x7f800001
	s_mov_b32 s19, exec_lo
	v_cmpx_ne_u32_e32 0x7f, v5
	s_cbranch_execz .LBB368_720
; %bb.717:                              ;   in Loop: Header=BB368_10 Depth=1
	v_mov_b32_e32 v27, v25
	v_lshrrev_b32_e32 v4, 3, v5
	v_mov_b32_e32 v26, v24
	s_mov_b32 s20, exec_lo
	v_cmpx_gt_u32_e32 8, v5
; %bb.718:                              ;   in Loop: Header=BB368_10 Depth=1
	v_and_b32_e32 v4, 7, v24
	v_ffbh_u32_e32 v4, v4
	v_min_u32_e32 v4, 32, v4
	v_subrev_nc_u32_e32 v5, 28, v4
	v_sub_nc_u32_e32 v4, 29, v4
	v_lshlrev_b64 v[26:27], v5, v[24:25]
; %bb.719:                              ;   in Loop: Header=BB368_10 Depth=1
	s_or_b32 exec_lo, exec_lo, s20
	v_lshlrev_b32_e32 v5, 20, v26
	v_lshlrev_b32_e32 v12, 24, v24
	v_lshl_add_u32 v4, v4, 23, 0x3c000000
	v_and_b32_e32 v5, 0x700000, v5
	v_and_b32_e32 v12, 0x80000000, v12
	v_or3_b32 v39, v5, v12, v4
.LBB368_720:                            ;   in Loop: Header=BB368_10 Depth=1
	s_or_b32 exec_lo, exec_lo, s19
.LBB368_721:                            ;   in Loop: Header=BB368_10 Depth=1
	s_or_b32 exec_lo, exec_lo, s18
.LBB368_722:                            ;   in Loop: Header=BB368_10 Depth=1
	s_or_b32 exec_lo, exec_lo, s6
	v_cmp_ne_u16_sdwa s5, v24, v13 src0_sel:BYTE_1 src1_sel:DWORD
	v_mov_b32_e32 v49, 0
	v_mov_b32_e32 v48, 0
	s_and_saveexec_b32 s6, s5
	s_cbranch_execz .LBB368_730
; %bb.723:                              ;   in Loop: Header=BB368_10 Depth=1
	v_mov_b32_e32 v4, 0x80
	v_bfrev_b32_e32 v48, 1
	v_cmp_ne_u16_sdwa s5, v24, v4 src0_sel:BYTE_1 src1_sel:DWORD
	s_and_saveexec_b32 s18, s5
	s_cbranch_execz .LBB368_729
; %bb.724:                              ;   in Loop: Header=BB368_10 Depth=1
	v_mov_b32_e32 v4, 0xffff
	v_mov_b32_e32 v48, 0x7f800001
	s_mov_b32 s19, exec_lo
	v_and_b32_sdwa v4, v4, v24 dst_sel:DWORD dst_unused:UNUSED_PAD src0_sel:DWORD src1_sel:BYTE_1
	v_and_b32_e32 v5, 0x7f, v4
	v_cmpx_ne_u32_e32 0x7f, v5
	s_cbranch_execz .LBB368_728
; %bb.725:                              ;   in Loop: Header=BB368_10 Depth=1
	v_and_b32_e32 v12, 7, v4
	v_mov_b32_e32 v27, v13
	v_lshrrev_b32_e32 v4, 3, v5
	s_mov_b32 s20, exec_lo
	v_mov_b32_e32 v26, v12
	v_cmpx_gt_u32_e32 8, v5
; %bb.726:                              ;   in Loop: Header=BB368_10 Depth=1
	v_ffbh_u32_e32 v4, v12
	v_min_u32_e32 v4, 32, v4
	v_subrev_nc_u32_e32 v5, 28, v4
	v_sub_nc_u32_e32 v4, 29, v4
	v_lshlrev_b64 v[20:21], v5, v[12:13]
	v_and_b32_e32 v26, 7, v20
; %bb.727:                              ;   in Loop: Header=BB368_10 Depth=1
	s_or_b32 exec_lo, exec_lo, s20
	v_lshlrev_b32_e32 v5, 16, v24
	v_lshlrev_b32_e32 v12, 20, v26
	v_lshl_add_u32 v4, v4, 23, 0x3c000000
	v_and_b32_e32 v5, 0x80000000, v5
	v_or3_b32 v48, v12, v5, v4
.LBB368_728:                            ;   in Loop: Header=BB368_10 Depth=1
	s_or_b32 exec_lo, exec_lo, s19
.LBB368_729:                            ;   in Loop: Header=BB368_10 Depth=1
	s_or_b32 exec_lo, exec_lo, s18
.LBB368_730:                            ;   in Loop: Header=BB368_10 Depth=1
	s_or_b32 exec_lo, exec_lo, s6
	v_mov_b32_e32 v4, 0xff
	s_mov_b32 s6, exec_lo
	v_and_b32_sdwa v4, v24, v4 dst_sel:DWORD dst_unused:UNUSED_PAD src0_sel:WORD_1 src1_sel:DWORD
	v_cmpx_ne_u16_e32 0, v4
	s_cbranch_execz .LBB368_738
; %bb.731:                              ;   in Loop: Header=BB368_10 Depth=1
	v_bfrev_b32_e32 v49, 1
	s_mov_b32 s18, exec_lo
	v_cmpx_ne_u16_e32 0x80, v4
	s_cbranch_execz .LBB368_737
; %bb.732:                              ;   in Loop: Header=BB368_10 Depth=1
	v_bfe_u32 v5, v24, 16, 7
	v_mov_b32_e32 v49, 0x7f800001
	s_mov_b32 s19, exec_lo
	v_cmpx_ne_u32_e32 0x7f, v5
	s_cbranch_execz .LBB368_736
; %bb.733:                              ;   in Loop: Header=BB368_10 Depth=1
	v_mov_b32_e32 v4, 7
	s_mov_b32 s20, exec_lo
	v_and_b32_sdwa v12, v24, v4 dst_sel:DWORD dst_unused:UNUSED_PAD src0_sel:WORD_1 src1_sel:DWORD
	v_mov_b32_e32 v27, v13
	v_lshrrev_b32_e32 v4, 3, v5
	v_mov_b32_e32 v26, v12
	v_cmpx_gt_u32_e32 8, v5
; %bb.734:                              ;   in Loop: Header=BB368_10 Depth=1
	v_ffbh_u32_e32 v4, v12
	v_min_u32_e32 v4, 32, v4
	v_subrev_nc_u32_e32 v5, 28, v4
	v_sub_nc_u32_e32 v4, 29, v4
	v_lshlrev_b64 v[20:21], v5, v[12:13]
	v_and_b32_e32 v26, 7, v20
; %bb.735:                              ;   in Loop: Header=BB368_10 Depth=1
	s_or_b32 exec_lo, exec_lo, s20
	v_mov_b32_e32 v5, 24
	v_lshlrev_b32_e32 v12, 20, v26
	v_lshl_add_u32 v4, v4, 23, 0x3c000000
	v_lshlrev_b32_sdwa v5, v5, v24 dst_sel:DWORD dst_unused:UNUSED_PAD src0_sel:DWORD src1_sel:WORD_1
	v_and_b32_e32 v5, 0x80000000, v5
	v_or3_b32 v49, v12, v5, v4
.LBB368_736:                            ;   in Loop: Header=BB368_10 Depth=1
	s_or_b32 exec_lo, exec_lo, s19
.LBB368_737:                            ;   in Loop: Header=BB368_10 Depth=1
	s_or_b32 exec_lo, exec_lo, s18
.LBB368_738:                            ;   in Loop: Header=BB368_10 Depth=1
	s_or_b32 exec_lo, exec_lo, s6
	v_mov_b32_e32 v51, 0
	v_mov_b32_e32 v50, 0
	s_mov_b32 s6, exec_lo
	v_cmpx_lt_u32_e32 0xffffff, v24
	s_cbranch_execz .LBB368_746
; %bb.739:                              ;   in Loop: Header=BB368_10 Depth=1
	v_mov_b32_e32 v4, 0x80
	v_bfrev_b32_e32 v50, 1
	v_cmp_ne_u32_sdwa s5, v24, v4 src0_sel:BYTE_3 src1_sel:DWORD
	s_and_saveexec_b32 s18, s5
	s_cbranch_execz .LBB368_745
; %bb.740:                              ;   in Loop: Header=BB368_10 Depth=1
	v_bfe_u32 v5, v24, 24, 7
	v_mov_b32_e32 v50, 0x7f800001
	s_mov_b32 s19, exec_lo
	v_cmpx_ne_u32_e32 0x7f, v5
	s_cbranch_execz .LBB368_744
; %bb.741:                              ;   in Loop: Header=BB368_10 Depth=1
	v_mov_b32_e32 v4, 7
	s_mov_b32 s20, exec_lo
	v_and_b32_sdwa v12, v24, v4 dst_sel:DWORD dst_unused:UNUSED_PAD src0_sel:BYTE_3 src1_sel:DWORD
	v_mov_b32_e32 v27, v13
	v_lshrrev_b32_e32 v4, 3, v5
	v_mov_b32_e32 v26, v12
	v_cmpx_gt_u32_e32 8, v5
; %bb.742:                              ;   in Loop: Header=BB368_10 Depth=1
	v_ffbh_u32_e32 v4, v12
	v_min_u32_e32 v4, 32, v4
	v_subrev_nc_u32_e32 v5, 28, v4
	v_sub_nc_u32_e32 v4, 29, v4
	v_lshlrev_b64 v[20:21], v5, v[12:13]
	v_and_b32_e32 v26, 7, v20
; %bb.743:                              ;   in Loop: Header=BB368_10 Depth=1
	s_or_b32 exec_lo, exec_lo, s20
	v_mov_b32_e32 v5, 24
	v_lshlrev_b32_e32 v12, 20, v26
	v_lshl_add_u32 v4, v4, 23, 0x3c000000
	v_lshlrev_b32_sdwa v5, v5, v24 dst_sel:DWORD dst_unused:UNUSED_PAD src0_sel:DWORD src1_sel:BYTE_3
	v_and_b32_e32 v5, 0x80000000, v5
	v_or3_b32 v50, v12, v5, v4
.LBB368_744:                            ;   in Loop: Header=BB368_10 Depth=1
	s_or_b32 exec_lo, exec_lo, s19
.LBB368_745:                            ;   in Loop: Header=BB368_10 Depth=1
	s_or_b32 exec_lo, exec_lo, s18
.LBB368_746:                            ;   in Loop: Header=BB368_10 Depth=1
	s_or_b32 exec_lo, exec_lo, s6
	v_mov_b32_e32 v12, v25
	v_cmp_ne_u16_sdwa s5, v25, v13 src0_sel:BYTE_0 src1_sel:DWORD
	s_and_saveexec_b32 s6, s5
	s_cbranch_execz .LBB368_754
; %bb.747:                              ;   in Loop: Header=BB368_10 Depth=1
	v_mov_b32_e32 v4, 0x80
	v_bfrev_b32_e32 v51, 1
	v_cmp_ne_u16_sdwa s5, v25, v4 src0_sel:BYTE_0 src1_sel:DWORD
	s_and_saveexec_b32 s18, s5
	s_cbranch_execz .LBB368_753
; %bb.748:                              ;   in Loop: Header=BB368_10 Depth=1
	v_and_b32_e32 v5, 0x7f, v25
	v_mov_b32_e32 v51, 0x7f800001
	s_mov_b32 s19, exec_lo
	v_cmpx_ne_u32_e32 0x7f, v5
	s_cbranch_execz .LBB368_752
; %bb.749:                              ;   in Loop: Header=BB368_10 Depth=1
	v_mov_b32_e32 v27, v13
	v_lshrrev_b32_e32 v4, 3, v5
	v_mov_b32_e32 v26, v12
	s_mov_b32 s20, exec_lo
	v_cmpx_gt_u32_e32 8, v5
; %bb.750:                              ;   in Loop: Header=BB368_10 Depth=1
	v_and_b32_e32 v4, 7, v25
	v_ffbh_u32_e32 v4, v4
	v_min_u32_e32 v4, 32, v4
	v_subrev_nc_u32_e32 v5, 28, v4
	v_sub_nc_u32_e32 v4, 29, v4
	v_lshlrev_b64 v[26:27], v5, v[12:13]
; %bb.751:                              ;   in Loop: Header=BB368_10 Depth=1
	s_or_b32 exec_lo, exec_lo, s20
	v_lshlrev_b32_e32 v5, 20, v26
	v_lshlrev_b32_e32 v20, 24, v12
	v_lshl_add_u32 v4, v4, 23, 0x3c000000
	v_and_b32_e32 v5, 0x700000, v5
	v_and_b32_e32 v20, 0x80000000, v20
	v_or3_b32 v51, v5, v20, v4
.LBB368_752:                            ;   in Loop: Header=BB368_10 Depth=1
	s_or_b32 exec_lo, exec_lo, s19
.LBB368_753:                            ;   in Loop: Header=BB368_10 Depth=1
	s_or_b32 exec_lo, exec_lo, s18
.LBB368_754:                            ;   in Loop: Header=BB368_10 Depth=1
	s_or_b32 exec_lo, exec_lo, s6
	v_cmp_ne_u16_sdwa s5, v12, v13 src0_sel:BYTE_1 src1_sel:DWORD
	v_mov_b32_e32 v52, 0
	v_mov_b32_e32 v53, 0
	s_and_saveexec_b32 s6, s5
	s_cbranch_execz .LBB368_762
; %bb.755:                              ;   in Loop: Header=BB368_10 Depth=1
	v_mov_b32_e32 v4, 0x80
	v_bfrev_b32_e32 v53, 1
	v_cmp_ne_u16_sdwa s5, v12, v4 src0_sel:BYTE_1 src1_sel:DWORD
	s_and_saveexec_b32 s18, s5
	s_cbranch_execz .LBB368_761
; %bb.756:                              ;   in Loop: Header=BB368_10 Depth=1
	v_mov_b32_e32 v4, 0xffff
	v_mov_b32_e32 v53, 0x7f800001
	s_mov_b32 s19, exec_lo
	v_and_b32_sdwa v4, v4, v12 dst_sel:DWORD dst_unused:UNUSED_PAD src0_sel:DWORD src1_sel:BYTE_1
	v_and_b32_e32 v5, 0x7f, v4
	v_cmpx_ne_u32_e32 0x7f, v5
	s_cbranch_execz .LBB368_760
; %bb.757:                              ;   in Loop: Header=BB368_10 Depth=1
	v_and_b32_e32 v26, 7, v4
	v_mov_b32_e32 v27, v13
	v_lshrrev_b32_e32 v4, 3, v5
	s_mov_b32 s20, exec_lo
	v_cmpx_gt_u32_e32 8, v5
; %bb.758:                              ;   in Loop: Header=BB368_10 Depth=1
	v_ffbh_u32_e32 v4, v26
	v_min_u32_e32 v4, 32, v4
	v_subrev_nc_u32_e32 v5, 28, v4
	v_sub_nc_u32_e32 v4, 29, v4
	v_lshlrev_b64 v[20:21], v5, v[26:27]
	v_and_b32_e32 v26, 7, v20
; %bb.759:                              ;   in Loop: Header=BB368_10 Depth=1
	s_or_b32 exec_lo, exec_lo, s20
	v_lshlrev_b32_e32 v5, 16, v12
	v_lshlrev_b32_e32 v12, 20, v26
	v_lshl_add_u32 v4, v4, 23, 0x3c000000
	v_and_b32_e32 v5, 0x80000000, v5
	v_or3_b32 v53, v12, v5, v4
.LBB368_760:                            ;   in Loop: Header=BB368_10 Depth=1
	s_or_b32 exec_lo, exec_lo, s19
.LBB368_761:                            ;   in Loop: Header=BB368_10 Depth=1
	s_or_b32 exec_lo, exec_lo, s18
.LBB368_762:                            ;   in Loop: Header=BB368_10 Depth=1
	s_or_b32 exec_lo, exec_lo, s6
	v_mov_b32_e32 v4, 0xff
	s_mov_b32 s6, exec_lo
	v_and_b32_sdwa v4, v25, v4 dst_sel:DWORD dst_unused:UNUSED_PAD src0_sel:WORD_1 src1_sel:DWORD
	v_cmpx_ne_u16_e32 0, v4
	s_cbranch_execz .LBB368_770
; %bb.763:                              ;   in Loop: Header=BB368_10 Depth=1
	v_bfrev_b32_e32 v52, 1
	s_mov_b32 s18, exec_lo
	v_cmpx_ne_u16_e32 0x80, v4
	s_cbranch_execz .LBB368_769
; %bb.764:                              ;   in Loop: Header=BB368_10 Depth=1
	v_bfe_u32 v5, v25, 16, 7
	v_mov_b32_e32 v52, 0x7f800001
	s_mov_b32 s19, exec_lo
	v_cmpx_ne_u32_e32 0x7f, v5
	s_cbranch_execz .LBB368_768
; %bb.765:                              ;   in Loop: Header=BB368_10 Depth=1
	v_mov_b32_e32 v4, 7
	s_mov_b32 s20, exec_lo
	v_and_b32_sdwa v12, v25, v4 dst_sel:DWORD dst_unused:UNUSED_PAD src0_sel:WORD_1 src1_sel:DWORD
	v_mov_b32_e32 v27, v13
	v_lshrrev_b32_e32 v4, 3, v5
	v_mov_b32_e32 v26, v12
	v_cmpx_gt_u32_e32 8, v5
; %bb.766:                              ;   in Loop: Header=BB368_10 Depth=1
	v_ffbh_u32_e32 v4, v12
	v_min_u32_e32 v4, 32, v4
	v_subrev_nc_u32_e32 v5, 28, v4
	v_sub_nc_u32_e32 v4, 29, v4
	v_lshlrev_b64 v[20:21], v5, v[12:13]
	v_and_b32_e32 v26, 7, v20
; %bb.767:                              ;   in Loop: Header=BB368_10 Depth=1
	s_or_b32 exec_lo, exec_lo, s20
	v_mov_b32_e32 v5, 24
	v_lshlrev_b32_e32 v12, 20, v26
	v_lshl_add_u32 v4, v4, 23, 0x3c000000
	v_lshlrev_b32_sdwa v5, v5, v25 dst_sel:DWORD dst_unused:UNUSED_PAD src0_sel:DWORD src1_sel:WORD_1
	v_and_b32_e32 v5, 0x80000000, v5
	v_or3_b32 v52, v12, v5, v4
.LBB368_768:                            ;   in Loop: Header=BB368_10 Depth=1
	s_or_b32 exec_lo, exec_lo, s19
.LBB368_769:                            ;   in Loop: Header=BB368_10 Depth=1
	s_or_b32 exec_lo, exec_lo, s18
.LBB368_770:                            ;   in Loop: Header=BB368_10 Depth=1
	s_or_b32 exec_lo, exec_lo, s6
	v_mov_b32_e32 v55, 0
	v_mov_b32_e32 v54, 0
	s_mov_b32 s6, exec_lo
	v_cmpx_lt_u64_e64 s[8:9], v[24:25]
	s_cbranch_execz .LBB368_778
; %bb.771:                              ;   in Loop: Header=BB368_10 Depth=1
	v_mov_b32_e32 v4, 0x80
	v_bfrev_b32_e32 v54, 1
	v_cmp_ne_u32_sdwa s5, v25, v4 src0_sel:BYTE_3 src1_sel:DWORD
	s_and_saveexec_b32 s18, s5
	s_cbranch_execz .LBB368_777
; %bb.772:                              ;   in Loop: Header=BB368_10 Depth=1
	v_bfe_u32 v5, v25, 24, 7
	v_mov_b32_e32 v54, 0x7f800001
	s_mov_b32 s19, exec_lo
	v_cmpx_ne_u32_e32 0x7f, v5
	s_cbranch_execz .LBB368_776
; %bb.773:                              ;   in Loop: Header=BB368_10 Depth=1
	v_mov_b32_e32 v4, 7
	s_mov_b32 s20, exec_lo
	v_and_b32_sdwa v12, v25, v4 dst_sel:DWORD dst_unused:UNUSED_PAD src0_sel:BYTE_3 src1_sel:DWORD
	v_mov_b32_e32 v27, v13
	v_lshrrev_b32_e32 v4, 3, v5
	v_mov_b32_e32 v26, v12
	v_cmpx_gt_u32_e32 8, v5
; %bb.774:                              ;   in Loop: Header=BB368_10 Depth=1
	v_ffbh_u32_e32 v4, v12
	v_min_u32_e32 v4, 32, v4
	v_subrev_nc_u32_e32 v5, 28, v4
	v_sub_nc_u32_e32 v4, 29, v4
	v_lshlrev_b64 v[20:21], v5, v[12:13]
	v_and_b32_e32 v26, 7, v20
; %bb.775:                              ;   in Loop: Header=BB368_10 Depth=1
	s_or_b32 exec_lo, exec_lo, s20
	v_mov_b32_e32 v5, 24
	v_lshlrev_b32_e32 v12, 20, v26
	v_lshl_add_u32 v4, v4, 23, 0x3c000000
	v_lshlrev_b32_sdwa v5, v5, v25 dst_sel:DWORD dst_unused:UNUSED_PAD src0_sel:DWORD src1_sel:BYTE_3
	v_and_b32_e32 v5, 0x80000000, v5
	v_or3_b32 v54, v12, v5, v4
.LBB368_776:                            ;   in Loop: Header=BB368_10 Depth=1
	s_or_b32 exec_lo, exec_lo, s19
.LBB368_777:                            ;   in Loop: Header=BB368_10 Depth=1
	s_or_b32 exec_lo, exec_lo, s18
.LBB368_778:                            ;   in Loop: Header=BB368_10 Depth=1
	s_or_b32 exec_lo, exec_lo, s6
	flat_load_dwordx2 v[24:25], v[16:17] offset:1024
	s_waitcnt vmcnt(0) lgkmcnt(0)
	v_cmp_ne_u16_sdwa s5, v24, v13 src0_sel:BYTE_0 src1_sel:DWORD
	s_and_saveexec_b32 s6, s5
	s_cbranch_execz .LBB368_786
; %bb.779:                              ;   in Loop: Header=BB368_10 Depth=1
	v_mov_b32_e32 v4, 0x80
	v_bfrev_b32_e32 v55, 1
	v_cmp_ne_u16_sdwa s5, v24, v4 src0_sel:BYTE_0 src1_sel:DWORD
	s_and_saveexec_b32 s18, s5
	s_cbranch_execz .LBB368_785
; %bb.780:                              ;   in Loop: Header=BB368_10 Depth=1
	v_and_b32_e32 v5, 0x7f, v24
	v_mov_b32_e32 v55, 0x7f800001
	s_mov_b32 s19, exec_lo
	v_cmpx_ne_u32_e32 0x7f, v5
	s_cbranch_execz .LBB368_784
; %bb.781:                              ;   in Loop: Header=BB368_10 Depth=1
	v_mov_b32_e32 v27, v25
	v_lshrrev_b32_e32 v4, 3, v5
	v_mov_b32_e32 v26, v24
	s_mov_b32 s20, exec_lo
	v_cmpx_gt_u32_e32 8, v5
; %bb.782:                              ;   in Loop: Header=BB368_10 Depth=1
	v_and_b32_e32 v4, 7, v24
	v_ffbh_u32_e32 v4, v4
	v_min_u32_e32 v4, 32, v4
	v_subrev_nc_u32_e32 v5, 28, v4
	v_sub_nc_u32_e32 v4, 29, v4
	v_lshlrev_b64 v[26:27], v5, v[24:25]
; %bb.783:                              ;   in Loop: Header=BB368_10 Depth=1
	s_or_b32 exec_lo, exec_lo, s20
	v_lshlrev_b32_e32 v5, 20, v26
	v_lshlrev_b32_e32 v12, 24, v24
	v_lshl_add_u32 v4, v4, 23, 0x3c000000
	v_and_b32_e32 v5, 0x700000, v5
	v_and_b32_e32 v12, 0x80000000, v12
	v_or3_b32 v55, v5, v12, v4
.LBB368_784:                            ;   in Loop: Header=BB368_10 Depth=1
	s_or_b32 exec_lo, exec_lo, s19
.LBB368_785:                            ;   in Loop: Header=BB368_10 Depth=1
	s_or_b32 exec_lo, exec_lo, s18
.LBB368_786:                            ;   in Loop: Header=BB368_10 Depth=1
	s_or_b32 exec_lo, exec_lo, s6
	v_cmp_ne_u16_sdwa s5, v24, v13 src0_sel:BYTE_1 src1_sel:DWORD
	v_mov_b32_e32 v66, 0
	v_mov_b32_e32 v64, 0
	s_and_saveexec_b32 s6, s5
	s_cbranch_execz .LBB368_794
; %bb.787:                              ;   in Loop: Header=BB368_10 Depth=1
	v_mov_b32_e32 v4, 0x80
	v_bfrev_b32_e32 v64, 1
	v_cmp_ne_u16_sdwa s5, v24, v4 src0_sel:BYTE_1 src1_sel:DWORD
	s_and_saveexec_b32 s18, s5
	s_cbranch_execz .LBB368_793
; %bb.788:                              ;   in Loop: Header=BB368_10 Depth=1
	v_mov_b32_e32 v4, 0xffff
	v_mov_b32_e32 v64, 0x7f800001
	s_mov_b32 s19, exec_lo
	v_and_b32_sdwa v4, v4, v24 dst_sel:DWORD dst_unused:UNUSED_PAD src0_sel:DWORD src1_sel:BYTE_1
	v_and_b32_e32 v5, 0x7f, v4
	v_cmpx_ne_u32_e32 0x7f, v5
	s_cbranch_execz .LBB368_792
; %bb.789:                              ;   in Loop: Header=BB368_10 Depth=1
	v_and_b32_e32 v12, 7, v4
	v_mov_b32_e32 v27, v13
	v_lshrrev_b32_e32 v4, 3, v5
	s_mov_b32 s20, exec_lo
	v_mov_b32_e32 v26, v12
	v_cmpx_gt_u32_e32 8, v5
; %bb.790:                              ;   in Loop: Header=BB368_10 Depth=1
	v_ffbh_u32_e32 v4, v12
	v_min_u32_e32 v4, 32, v4
	v_subrev_nc_u32_e32 v5, 28, v4
	v_sub_nc_u32_e32 v4, 29, v4
	v_lshlrev_b64 v[20:21], v5, v[12:13]
	v_and_b32_e32 v26, 7, v20
; %bb.791:                              ;   in Loop: Header=BB368_10 Depth=1
	s_or_b32 exec_lo, exec_lo, s20
	v_lshlrev_b32_e32 v5, 16, v24
	v_lshlrev_b32_e32 v12, 20, v26
	v_lshl_add_u32 v4, v4, 23, 0x3c000000
	v_and_b32_e32 v5, 0x80000000, v5
	v_or3_b32 v64, v12, v5, v4
.LBB368_792:                            ;   in Loop: Header=BB368_10 Depth=1
	s_or_b32 exec_lo, exec_lo, s19
.LBB368_793:                            ;   in Loop: Header=BB368_10 Depth=1
	s_or_b32 exec_lo, exec_lo, s18
.LBB368_794:                            ;   in Loop: Header=BB368_10 Depth=1
	s_or_b32 exec_lo, exec_lo, s6
	v_mov_b32_e32 v4, 0xff
	s_mov_b32 s6, exec_lo
	v_and_b32_sdwa v4, v24, v4 dst_sel:DWORD dst_unused:UNUSED_PAD src0_sel:WORD_1 src1_sel:DWORD
	v_cmpx_ne_u16_e32 0, v4
	s_cbranch_execz .LBB368_802
; %bb.795:                              ;   in Loop: Header=BB368_10 Depth=1
	v_bfrev_b32_e32 v66, 1
	s_mov_b32 s18, exec_lo
	v_cmpx_ne_u16_e32 0x80, v4
	s_cbranch_execz .LBB368_801
; %bb.796:                              ;   in Loop: Header=BB368_10 Depth=1
	v_bfe_u32 v5, v24, 16, 7
	v_mov_b32_e32 v66, 0x7f800001
	s_mov_b32 s19, exec_lo
	v_cmpx_ne_u32_e32 0x7f, v5
	s_cbranch_execz .LBB368_800
; %bb.797:                              ;   in Loop: Header=BB368_10 Depth=1
	v_mov_b32_e32 v4, 7
	s_mov_b32 s20, exec_lo
	v_and_b32_sdwa v12, v24, v4 dst_sel:DWORD dst_unused:UNUSED_PAD src0_sel:WORD_1 src1_sel:DWORD
	v_mov_b32_e32 v27, v13
	v_lshrrev_b32_e32 v4, 3, v5
	v_mov_b32_e32 v26, v12
	v_cmpx_gt_u32_e32 8, v5
; %bb.798:                              ;   in Loop: Header=BB368_10 Depth=1
	v_ffbh_u32_e32 v4, v12
	v_min_u32_e32 v4, 32, v4
	v_subrev_nc_u32_e32 v5, 28, v4
	v_sub_nc_u32_e32 v4, 29, v4
	v_lshlrev_b64 v[20:21], v5, v[12:13]
	v_and_b32_e32 v26, 7, v20
; %bb.799:                              ;   in Loop: Header=BB368_10 Depth=1
	s_or_b32 exec_lo, exec_lo, s20
	v_mov_b32_e32 v5, 24
	v_lshlrev_b32_e32 v12, 20, v26
	v_lshl_add_u32 v4, v4, 23, 0x3c000000
	v_lshlrev_b32_sdwa v5, v5, v24 dst_sel:DWORD dst_unused:UNUSED_PAD src0_sel:DWORD src1_sel:WORD_1
	v_and_b32_e32 v5, 0x80000000, v5
	v_or3_b32 v66, v12, v5, v4
.LBB368_800:                            ;   in Loop: Header=BB368_10 Depth=1
	s_or_b32 exec_lo, exec_lo, s19
.LBB368_801:                            ;   in Loop: Header=BB368_10 Depth=1
	s_or_b32 exec_lo, exec_lo, s18
.LBB368_802:                            ;   in Loop: Header=BB368_10 Depth=1
	s_or_b32 exec_lo, exec_lo, s6
	v_mov_b32_e32 v68, 0
	v_mov_b32_e32 v67, 0
	s_mov_b32 s6, exec_lo
	v_cmpx_lt_u32_e32 0xffffff, v24
	s_cbranch_execz .LBB368_810
; %bb.803:                              ;   in Loop: Header=BB368_10 Depth=1
	v_mov_b32_e32 v4, 0x80
	v_bfrev_b32_e32 v67, 1
	v_cmp_ne_u32_sdwa s5, v24, v4 src0_sel:BYTE_3 src1_sel:DWORD
	s_and_saveexec_b32 s18, s5
	s_cbranch_execz .LBB368_809
; %bb.804:                              ;   in Loop: Header=BB368_10 Depth=1
	v_bfe_u32 v5, v24, 24, 7
	v_mov_b32_e32 v67, 0x7f800001
	s_mov_b32 s19, exec_lo
	v_cmpx_ne_u32_e32 0x7f, v5
	s_cbranch_execz .LBB368_808
; %bb.805:                              ;   in Loop: Header=BB368_10 Depth=1
	v_mov_b32_e32 v4, 7
	s_mov_b32 s20, exec_lo
	v_and_b32_sdwa v12, v24, v4 dst_sel:DWORD dst_unused:UNUSED_PAD src0_sel:BYTE_3 src1_sel:DWORD
	v_mov_b32_e32 v27, v13
	v_lshrrev_b32_e32 v4, 3, v5
	v_mov_b32_e32 v26, v12
	v_cmpx_gt_u32_e32 8, v5
; %bb.806:                              ;   in Loop: Header=BB368_10 Depth=1
	v_ffbh_u32_e32 v4, v12
	v_min_u32_e32 v4, 32, v4
	v_subrev_nc_u32_e32 v5, 28, v4
	v_sub_nc_u32_e32 v4, 29, v4
	v_lshlrev_b64 v[20:21], v5, v[12:13]
	v_and_b32_e32 v26, 7, v20
; %bb.807:                              ;   in Loop: Header=BB368_10 Depth=1
	s_or_b32 exec_lo, exec_lo, s20
	v_mov_b32_e32 v5, 24
	v_lshlrev_b32_e32 v12, 20, v26
	v_lshl_add_u32 v4, v4, 23, 0x3c000000
	v_lshlrev_b32_sdwa v5, v5, v24 dst_sel:DWORD dst_unused:UNUSED_PAD src0_sel:DWORD src1_sel:BYTE_3
	v_and_b32_e32 v5, 0x80000000, v5
	v_or3_b32 v67, v12, v5, v4
.LBB368_808:                            ;   in Loop: Header=BB368_10 Depth=1
	s_or_b32 exec_lo, exec_lo, s19
.LBB368_809:                            ;   in Loop: Header=BB368_10 Depth=1
	s_or_b32 exec_lo, exec_lo, s18
.LBB368_810:                            ;   in Loop: Header=BB368_10 Depth=1
	s_or_b32 exec_lo, exec_lo, s6
	v_mov_b32_e32 v12, v25
	v_cmp_ne_u16_sdwa s5, v25, v13 src0_sel:BYTE_0 src1_sel:DWORD
	s_and_saveexec_b32 s6, s5
	s_cbranch_execz .LBB368_818
; %bb.811:                              ;   in Loop: Header=BB368_10 Depth=1
	v_mov_b32_e32 v4, 0x80
	v_bfrev_b32_e32 v68, 1
	v_cmp_ne_u16_sdwa s5, v25, v4 src0_sel:BYTE_0 src1_sel:DWORD
	s_and_saveexec_b32 s18, s5
	s_cbranch_execz .LBB368_817
; %bb.812:                              ;   in Loop: Header=BB368_10 Depth=1
	v_and_b32_e32 v5, 0x7f, v25
	v_mov_b32_e32 v68, 0x7f800001
	s_mov_b32 s19, exec_lo
	v_cmpx_ne_u32_e32 0x7f, v5
	s_cbranch_execz .LBB368_816
; %bb.813:                              ;   in Loop: Header=BB368_10 Depth=1
	v_mov_b32_e32 v27, v13
	v_lshrrev_b32_e32 v4, 3, v5
	v_mov_b32_e32 v26, v12
	s_mov_b32 s20, exec_lo
	v_cmpx_gt_u32_e32 8, v5
; %bb.814:                              ;   in Loop: Header=BB368_10 Depth=1
	v_and_b32_e32 v4, 7, v25
	v_ffbh_u32_e32 v4, v4
	v_min_u32_e32 v4, 32, v4
	v_subrev_nc_u32_e32 v5, 28, v4
	v_sub_nc_u32_e32 v4, 29, v4
	v_lshlrev_b64 v[26:27], v5, v[12:13]
; %bb.815:                              ;   in Loop: Header=BB368_10 Depth=1
	s_or_b32 exec_lo, exec_lo, s20
	v_lshlrev_b32_e32 v5, 20, v26
	v_lshlrev_b32_e32 v20, 24, v12
	v_lshl_add_u32 v4, v4, 23, 0x3c000000
	v_and_b32_e32 v5, 0x700000, v5
	v_and_b32_e32 v20, 0x80000000, v20
	v_or3_b32 v68, v5, v20, v4
.LBB368_816:                            ;   in Loop: Header=BB368_10 Depth=1
	s_or_b32 exec_lo, exec_lo, s19
.LBB368_817:                            ;   in Loop: Header=BB368_10 Depth=1
	s_or_b32 exec_lo, exec_lo, s18
.LBB368_818:                            ;   in Loop: Header=BB368_10 Depth=1
	s_or_b32 exec_lo, exec_lo, s6
	v_cmp_ne_u16_sdwa s5, v12, v13 src0_sel:BYTE_1 src1_sel:DWORD
	v_mov_b32_e32 v69, 0
	v_mov_b32_e32 v34, 0
	s_and_saveexec_b32 s6, s5
	s_cbranch_execz .LBB368_826
; %bb.819:                              ;   in Loop: Header=BB368_10 Depth=1
	v_mov_b32_e32 v4, 0x80
	v_bfrev_b32_e32 v34, 1
	v_cmp_ne_u16_sdwa s5, v12, v4 src0_sel:BYTE_1 src1_sel:DWORD
	s_and_saveexec_b32 s18, s5
	s_cbranch_execz .LBB368_825
; %bb.820:                              ;   in Loop: Header=BB368_10 Depth=1
	v_mov_b32_e32 v4, 0xffff
	v_mov_b32_e32 v34, 0x7f800001
	s_mov_b32 s19, exec_lo
	v_and_b32_sdwa v4, v4, v12 dst_sel:DWORD dst_unused:UNUSED_PAD src0_sel:DWORD src1_sel:BYTE_1
	v_and_b32_e32 v5, 0x7f, v4
	v_cmpx_ne_u32_e32 0x7f, v5
	s_cbranch_execz .LBB368_824
; %bb.821:                              ;   in Loop: Header=BB368_10 Depth=1
	v_and_b32_e32 v26, 7, v4
	v_mov_b32_e32 v27, v13
	v_lshrrev_b32_e32 v4, 3, v5
	s_mov_b32 s20, exec_lo
	v_cmpx_gt_u32_e32 8, v5
; %bb.822:                              ;   in Loop: Header=BB368_10 Depth=1
	v_ffbh_u32_e32 v4, v26
	v_min_u32_e32 v4, 32, v4
	v_subrev_nc_u32_e32 v5, 28, v4
	v_sub_nc_u32_e32 v4, 29, v4
	v_lshlrev_b64 v[20:21], v5, v[26:27]
	v_and_b32_e32 v26, 7, v20
; %bb.823:                              ;   in Loop: Header=BB368_10 Depth=1
	s_or_b32 exec_lo, exec_lo, s20
	v_lshlrev_b32_e32 v5, 16, v12
	v_lshlrev_b32_e32 v12, 20, v26
	v_lshl_add_u32 v4, v4, 23, 0x3c000000
	v_and_b32_e32 v5, 0x80000000, v5
	v_or3_b32 v34, v12, v5, v4
.LBB368_824:                            ;   in Loop: Header=BB368_10 Depth=1
	s_or_b32 exec_lo, exec_lo, s19
.LBB368_825:                            ;   in Loop: Header=BB368_10 Depth=1
	s_or_b32 exec_lo, exec_lo, s18
.LBB368_826:                            ;   in Loop: Header=BB368_10 Depth=1
	s_or_b32 exec_lo, exec_lo, s6
	v_mov_b32_e32 v4, 0xff
	s_mov_b32 s6, exec_lo
	v_and_b32_sdwa v4, v25, v4 dst_sel:DWORD dst_unused:UNUSED_PAD src0_sel:WORD_1 src1_sel:DWORD
	v_cmpx_ne_u16_e32 0, v4
	s_cbranch_execz .LBB368_834
; %bb.827:                              ;   in Loop: Header=BB368_10 Depth=1
	v_bfrev_b32_e32 v69, 1
	s_mov_b32 s18, exec_lo
	v_cmpx_ne_u16_e32 0x80, v4
	s_cbranch_execz .LBB368_833
; %bb.828:                              ;   in Loop: Header=BB368_10 Depth=1
	v_bfe_u32 v5, v25, 16, 7
	v_mov_b32_e32 v69, 0x7f800001
	s_mov_b32 s19, exec_lo
	v_cmpx_ne_u32_e32 0x7f, v5
	s_cbranch_execz .LBB368_832
; %bb.829:                              ;   in Loop: Header=BB368_10 Depth=1
	v_mov_b32_e32 v4, 7
	s_mov_b32 s20, exec_lo
	v_and_b32_sdwa v12, v25, v4 dst_sel:DWORD dst_unused:UNUSED_PAD src0_sel:WORD_1 src1_sel:DWORD
	v_mov_b32_e32 v27, v13
	v_lshrrev_b32_e32 v4, 3, v5
	v_mov_b32_e32 v26, v12
	v_cmpx_gt_u32_e32 8, v5
; %bb.830:                              ;   in Loop: Header=BB368_10 Depth=1
	v_ffbh_u32_e32 v4, v12
	v_min_u32_e32 v4, 32, v4
	v_subrev_nc_u32_e32 v5, 28, v4
	v_sub_nc_u32_e32 v4, 29, v4
	v_lshlrev_b64 v[20:21], v5, v[12:13]
	v_and_b32_e32 v26, 7, v20
; %bb.831:                              ;   in Loop: Header=BB368_10 Depth=1
	s_or_b32 exec_lo, exec_lo, s20
	v_mov_b32_e32 v5, 24
	v_lshlrev_b32_e32 v12, 20, v26
	v_lshl_add_u32 v4, v4, 23, 0x3c000000
	v_lshlrev_b32_sdwa v5, v5, v25 dst_sel:DWORD dst_unused:UNUSED_PAD src0_sel:DWORD src1_sel:WORD_1
	v_and_b32_e32 v5, 0x80000000, v5
	v_or3_b32 v69, v12, v5, v4
.LBB368_832:                            ;   in Loop: Header=BB368_10 Depth=1
	s_or_b32 exec_lo, exec_lo, s19
.LBB368_833:                            ;   in Loop: Header=BB368_10 Depth=1
	s_or_b32 exec_lo, exec_lo, s18
.LBB368_834:                            ;   in Loop: Header=BB368_10 Depth=1
	s_or_b32 exec_lo, exec_lo, s6
	v_mov_b32_e32 v5, 0
	v_mov_b32_e32 v4, 0
	s_mov_b32 s6, exec_lo
	v_cmpx_lt_u64_e64 s[8:9], v[24:25]
	s_cbranch_execz .LBB368_842
; %bb.835:                              ;   in Loop: Header=BB368_10 Depth=1
	v_mov_b32_e32 v4, 0x80
	v_cmp_ne_u32_sdwa s5, v25, v4 src0_sel:BYTE_3 src1_sel:DWORD
	v_bfrev_b32_e32 v4, 1
	s_and_saveexec_b32 s18, s5
	s_cbranch_execz .LBB368_841
; %bb.836:                              ;   in Loop: Header=BB368_10 Depth=1
	v_bfe_u32 v20, v25, 24, 7
	v_mov_b32_e32 v4, 0x7f800001
	s_mov_b32 s19, exec_lo
	v_cmpx_ne_u32_e32 0x7f, v20
	s_cbranch_execz .LBB368_840
; %bb.837:                              ;   in Loop: Header=BB368_10 Depth=1
	v_mov_b32_e32 v4, 7
	s_mov_b32 s20, exec_lo
	v_and_b32_sdwa v12, v25, v4 dst_sel:DWORD dst_unused:UNUSED_PAD src0_sel:BYTE_3 src1_sel:DWORD
	v_mov_b32_e32 v27, v13
	v_lshrrev_b32_e32 v4, 3, v20
	v_mov_b32_e32 v26, v12
	v_cmpx_gt_u32_e32 8, v20
; %bb.838:                              ;   in Loop: Header=BB368_10 Depth=1
	v_ffbh_u32_e32 v4, v12
	v_min_u32_e32 v4, 32, v4
	v_subrev_nc_u32_e32 v20, 28, v4
	v_sub_nc_u32_e32 v4, 29, v4
	v_lshlrev_b64 v[20:21], v20, v[12:13]
	v_and_b32_e32 v26, 7, v20
; %bb.839:                              ;   in Loop: Header=BB368_10 Depth=1
	s_or_b32 exec_lo, exec_lo, s20
	v_mov_b32_e32 v12, 24
	v_lshlrev_b32_e32 v20, 20, v26
	v_lshl_add_u32 v4, v4, 23, 0x3c000000
	v_lshlrev_b32_sdwa v12, v12, v25 dst_sel:DWORD dst_unused:UNUSED_PAD src0_sel:DWORD src1_sel:BYTE_3
	v_and_b32_e32 v12, 0x80000000, v12
	v_or3_b32 v4, v20, v12, v4
.LBB368_840:                            ;   in Loop: Header=BB368_10 Depth=1
	s_or_b32 exec_lo, exec_lo, s19
.LBB368_841:                            ;   in Loop: Header=BB368_10 Depth=1
	s_or_b32 exec_lo, exec_lo, s18
.LBB368_842:                            ;   in Loop: Header=BB368_10 Depth=1
	s_or_b32 exec_lo, exec_lo, s6
	flat_load_dwordx2 v[24:25], v[16:17] offset:1032
	s_waitcnt vmcnt(0) lgkmcnt(0)
	v_cmp_ne_u16_sdwa s5, v24, v13 src0_sel:BYTE_0 src1_sel:DWORD
	s_and_saveexec_b32 s6, s5
	s_cbranch_execz .LBB368_850
; %bb.843:                              ;   in Loop: Header=BB368_10 Depth=1
	v_mov_b32_e32 v5, 0x80
	v_cmp_ne_u16_sdwa s5, v24, v5 src0_sel:BYTE_0 src1_sel:DWORD
	v_bfrev_b32_e32 v5, 1
	s_and_saveexec_b32 s18, s5
	s_cbranch_execz .LBB368_849
; %bb.844:                              ;   in Loop: Header=BB368_10 Depth=1
	v_and_b32_e32 v12, 0x7f, v24
	v_mov_b32_e32 v5, 0x7f800001
	s_mov_b32 s19, exec_lo
	v_cmpx_ne_u32_e32 0x7f, v12
	s_cbranch_execz .LBB368_848
; %bb.845:                              ;   in Loop: Header=BB368_10 Depth=1
	v_mov_b32_e32 v27, v25
	v_lshrrev_b32_e32 v5, 3, v12
	v_mov_b32_e32 v26, v24
	s_mov_b32 s20, exec_lo
	v_cmpx_gt_u32_e32 8, v12
; %bb.846:                              ;   in Loop: Header=BB368_10 Depth=1
	v_and_b32_e32 v5, 7, v24
	v_ffbh_u32_e32 v5, v5
	v_min_u32_e32 v5, 32, v5
	v_subrev_nc_u32_e32 v12, 28, v5
	v_sub_nc_u32_e32 v5, 29, v5
	v_lshlrev_b64 v[26:27], v12, v[24:25]
; %bb.847:                              ;   in Loop: Header=BB368_10 Depth=1
	s_or_b32 exec_lo, exec_lo, s20
	v_lshlrev_b32_e32 v12, 20, v26
	v_lshlrev_b32_e32 v20, 24, v24
	v_lshl_add_u32 v5, v5, 23, 0x3c000000
	v_and_b32_e32 v12, 0x700000, v12
	v_and_b32_e32 v20, 0x80000000, v20
	v_or3_b32 v5, v12, v20, v5
.LBB368_848:                            ;   in Loop: Header=BB368_10 Depth=1
	s_or_b32 exec_lo, exec_lo, s19
.LBB368_849:                            ;   in Loop: Header=BB368_10 Depth=1
	s_or_b32 exec_lo, exec_lo, s18
.LBB368_850:                            ;   in Loop: Header=BB368_10 Depth=1
	s_or_b32 exec_lo, exec_lo, s6
	v_cmp_ne_u16_sdwa s5, v24, v13 src0_sel:BYTE_1 src1_sel:DWORD
	v_mov_b32_e32 v21, 0
	v_mov_b32_e32 v14, 0
	s_and_saveexec_b32 s6, s5
	s_cbranch_execz .LBB368_858
; %bb.851:                              ;   in Loop: Header=BB368_10 Depth=1
	v_mov_b32_e32 v12, 0x80
	v_bfrev_b32_e32 v14, 1
	v_cmp_ne_u16_sdwa s5, v24, v12 src0_sel:BYTE_1 src1_sel:DWORD
	s_and_saveexec_b32 s18, s5
	s_cbranch_execz .LBB368_857
; %bb.852:                              ;   in Loop: Header=BB368_10 Depth=1
	v_mov_b32_e32 v12, 0xffff
	v_mov_b32_e32 v14, 0x7f800001
	s_mov_b32 s19, exec_lo
	v_and_b32_sdwa v12, v12, v24 dst_sel:DWORD dst_unused:UNUSED_PAD src0_sel:DWORD src1_sel:BYTE_1
	v_and_b32_e32 v26, 0x7f, v12
	v_cmpx_ne_u32_e32 0x7f, v26
	s_cbranch_execz .LBB368_856
; %bb.853:                              ;   in Loop: Header=BB368_10 Depth=1
	v_and_b32_e32 v12, 7, v12
	v_lshrrev_b32_e32 v20, 3, v26
	v_cmp_gt_u32_e64 s5, 8, v26
	v_mov_b32_e32 v27, v13
	v_mov_b32_e32 v26, v12
	s_and_saveexec_b32 s20, s5
; %bb.854:                              ;   in Loop: Header=BB368_10 Depth=1
	v_ffbh_u32_e32 v20, v12
	v_min_u32_e32 v20, 32, v20
	v_subrev_nc_u32_e32 v26, 28, v20
	v_sub_nc_u32_e32 v20, 29, v20
	v_lshlrev_b64 v[26:27], v26, v[12:13]
	v_and_b32_e32 v26, 7, v26
; %bb.855:                              ;   in Loop: Header=BB368_10 Depth=1
	s_or_b32 exec_lo, exec_lo, s20
	v_lshlrev_b32_e32 v12, 16, v24
	v_lshlrev_b32_e32 v26, 20, v26
	v_lshl_add_u32 v20, v20, 23, 0x3c000000
	v_and_b32_e32 v12, 0x80000000, v12
	v_or3_b32 v14, v26, v12, v20
.LBB368_856:                            ;   in Loop: Header=BB368_10 Depth=1
	s_or_b32 exec_lo, exec_lo, s19
.LBB368_857:                            ;   in Loop: Header=BB368_10 Depth=1
	s_or_b32 exec_lo, exec_lo, s18
.LBB368_858:                            ;   in Loop: Header=BB368_10 Depth=1
	s_or_b32 exec_lo, exec_lo, s6
	v_mov_b32_e32 v12, 0xff
	s_mov_b32 s6, exec_lo
	v_and_b32_sdwa v12, v24, v12 dst_sel:DWORD dst_unused:UNUSED_PAD src0_sel:WORD_1 src1_sel:DWORD
	v_cmpx_ne_u16_e32 0, v12
	s_cbranch_execz .LBB368_866
; %bb.859:                              ;   in Loop: Header=BB368_10 Depth=1
	v_bfrev_b32_e32 v21, 1
	s_mov_b32 s18, exec_lo
	v_cmpx_ne_u16_e32 0x80, v12
	s_cbranch_execz .LBB368_865
; %bb.860:                              ;   in Loop: Header=BB368_10 Depth=1
	v_bfe_u32 v26, v24, 16, 7
	v_mov_b32_e32 v21, 0x7f800001
	s_mov_b32 s19, exec_lo
	v_cmpx_ne_u32_e32 0x7f, v26
	s_cbranch_execz .LBB368_864
; %bb.861:                              ;   in Loop: Header=BB368_10 Depth=1
	v_mov_b32_e32 v12, 7
	v_lshrrev_b32_e32 v20, 3, v26
	v_cmp_gt_u32_e64 s5, 8, v26
	v_and_b32_sdwa v12, v24, v12 dst_sel:DWORD dst_unused:UNUSED_PAD src0_sel:WORD_1 src1_sel:DWORD
	v_mov_b32_e32 v27, v13
	v_mov_b32_e32 v26, v12
	s_and_saveexec_b32 s20, s5
; %bb.862:                              ;   in Loop: Header=BB368_10 Depth=1
	v_ffbh_u32_e32 v20, v12
	v_min_u32_e32 v20, 32, v20
	v_subrev_nc_u32_e32 v21, 28, v20
	v_sub_nc_u32_e32 v20, 29, v20
	v_lshlrev_b64 v[26:27], v21, v[12:13]
	v_and_b32_e32 v26, 7, v26
; %bb.863:                              ;   in Loop: Header=BB368_10 Depth=1
	s_or_b32 exec_lo, exec_lo, s20
	v_mov_b32_e32 v12, 24
	v_lshlrev_b32_e32 v21, 20, v26
	v_lshl_add_u32 v20, v20, 23, 0x3c000000
	v_lshlrev_b32_sdwa v12, v12, v24 dst_sel:DWORD dst_unused:UNUSED_PAD src0_sel:DWORD src1_sel:WORD_1
	v_and_b32_e32 v12, 0x80000000, v12
	v_or3_b32 v21, v21, v12, v20
.LBB368_864:                            ;   in Loop: Header=BB368_10 Depth=1
	s_or_b32 exec_lo, exec_lo, s19
.LBB368_865:                            ;   in Loop: Header=BB368_10 Depth=1
	s_or_b32 exec_lo, exec_lo, s18
.LBB368_866:                            ;   in Loop: Header=BB368_10 Depth=1
	s_or_b32 exec_lo, exec_lo, s6
	v_mov_b32_e32 v70, 0
	v_mov_b32_e32 v15, 0
	s_mov_b32 s6, exec_lo
	v_cmpx_lt_u32_e32 0xffffff, v24
	s_cbranch_execz .LBB368_874
; %bb.867:                              ;   in Loop: Header=BB368_10 Depth=1
	v_mov_b32_e32 v12, 0x80
	v_bfrev_b32_e32 v15, 1
	v_cmp_ne_u32_sdwa s5, v24, v12 src0_sel:BYTE_3 src1_sel:DWORD
	s_and_saveexec_b32 s18, s5
	s_cbranch_execz .LBB368_873
; %bb.868:                              ;   in Loop: Header=BB368_10 Depth=1
	v_bfe_u32 v26, v24, 24, 7
	v_mov_b32_e32 v15, 0x7f800001
	s_mov_b32 s19, exec_lo
	v_cmpx_ne_u32_e32 0x7f, v26
	s_cbranch_execz .LBB368_872
; %bb.869:                              ;   in Loop: Header=BB368_10 Depth=1
	v_mov_b32_e32 v12, 7
	v_lshrrev_b32_e32 v20, 3, v26
	v_cmp_gt_u32_e64 s5, 8, v26
	v_and_b32_sdwa v12, v24, v12 dst_sel:DWORD dst_unused:UNUSED_PAD src0_sel:BYTE_3 src1_sel:DWORD
	v_mov_b32_e32 v27, v13
	v_mov_b32_e32 v26, v12
	s_and_saveexec_b32 s20, s5
; %bb.870:                              ;   in Loop: Header=BB368_10 Depth=1
	v_ffbh_u32_e32 v20, v12
	v_min_u32_e32 v20, 32, v20
	v_subrev_nc_u32_e32 v26, 28, v20
	v_sub_nc_u32_e32 v20, 29, v20
	v_lshlrev_b64 v[26:27], v26, v[12:13]
	v_and_b32_e32 v26, 7, v26
; %bb.871:                              ;   in Loop: Header=BB368_10 Depth=1
	s_or_b32 exec_lo, exec_lo, s20
	v_mov_b32_e32 v12, 24
	v_lshlrev_b32_e32 v26, 20, v26
	v_lshl_add_u32 v20, v20, 23, 0x3c000000
	v_lshlrev_b32_sdwa v12, v12, v24 dst_sel:DWORD dst_unused:UNUSED_PAD src0_sel:DWORD src1_sel:BYTE_3
	v_and_b32_e32 v12, 0x80000000, v12
	v_or3_b32 v15, v26, v12, v20
.LBB368_872:                            ;   in Loop: Header=BB368_10 Depth=1
	s_or_b32 exec_lo, exec_lo, s19
.LBB368_873:                            ;   in Loop: Header=BB368_10 Depth=1
	s_or_b32 exec_lo, exec_lo, s18
.LBB368_874:                            ;   in Loop: Header=BB368_10 Depth=1
	s_or_b32 exec_lo, exec_lo, s6
	v_mov_b32_e32 v12, v25
	v_cmp_ne_u16_sdwa s5, v25, v13 src0_sel:BYTE_0 src1_sel:DWORD
	s_and_saveexec_b32 s6, s5
	s_cbranch_execz .LBB368_882
; %bb.875:                              ;   in Loop: Header=BB368_10 Depth=1
	v_mov_b32_e32 v20, 0x80
	v_bfrev_b32_e32 v70, 1
	v_cmp_ne_u16_sdwa s5, v25, v20 src0_sel:BYTE_0 src1_sel:DWORD
	s_and_saveexec_b32 s18, s5
	s_cbranch_execz .LBB368_881
; %bb.876:                              ;   in Loop: Header=BB368_10 Depth=1
	v_and_b32_e32 v26, 0x7f, v25
	v_mov_b32_e32 v70, 0x7f800001
	s_mov_b32 s19, exec_lo
	v_cmpx_ne_u32_e32 0x7f, v26
	s_cbranch_execz .LBB368_880
; %bb.877:                              ;   in Loop: Header=BB368_10 Depth=1
	v_lshrrev_b32_e32 v20, 3, v26
	v_cmp_gt_u32_e64 s5, 8, v26
	v_mov_b32_e32 v27, v13
	v_mov_b32_e32 v26, v12
	s_and_saveexec_b32 s20, s5
; %bb.878:                              ;   in Loop: Header=BB368_10 Depth=1
	v_and_b32_e32 v20, 7, v25
	v_ffbh_u32_e32 v20, v20
	v_min_u32_e32 v20, 32, v20
	v_subrev_nc_u32_e32 v26, 28, v20
	v_sub_nc_u32_e32 v20, 29, v20
	v_lshlrev_b64 v[26:27], v26, v[12:13]
; %bb.879:                              ;   in Loop: Header=BB368_10 Depth=1
	s_or_b32 exec_lo, exec_lo, s20
	v_lshlrev_b32_e32 v26, 20, v26
	v_lshlrev_b32_e32 v27, 24, v12
	v_lshl_add_u32 v20, v20, 23, 0x3c000000
	v_and_b32_e32 v26, 0x700000, v26
	v_and_b32_e32 v27, 0x80000000, v27
	v_or3_b32 v70, v26, v27, v20
.LBB368_880:                            ;   in Loop: Header=BB368_10 Depth=1
	s_or_b32 exec_lo, exec_lo, s19
.LBB368_881:                            ;   in Loop: Header=BB368_10 Depth=1
	s_or_b32 exec_lo, exec_lo, s18
.LBB368_882:                            ;   in Loop: Header=BB368_10 Depth=1
	s_or_b32 exec_lo, exec_lo, s6
	v_cmp_ne_u16_sdwa s5, v12, v13 src0_sel:BYTE_1 src1_sel:DWORD
	v_mov_b32_e32 v32, 0
	v_mov_b32_e32 v80, 0
	s_and_saveexec_b32 s6, s5
	s_cbranch_execz .LBB368_890
; %bb.883:                              ;   in Loop: Header=BB368_10 Depth=1
	v_mov_b32_e32 v20, 0x80
	v_bfrev_b32_e32 v80, 1
	v_cmp_ne_u16_sdwa s5, v12, v20 src0_sel:BYTE_1 src1_sel:DWORD
	s_and_saveexec_b32 s18, s5
	s_cbranch_execz .LBB368_889
; %bb.884:                              ;   in Loop: Header=BB368_10 Depth=1
	v_mov_b32_e32 v20, 0xffff
	v_mov_b32_e32 v80, 0x7f800001
	s_mov_b32 s19, exec_lo
	v_and_b32_sdwa v20, v20, v12 dst_sel:DWORD dst_unused:UNUSED_PAD src0_sel:DWORD src1_sel:BYTE_1
	v_and_b32_e32 v71, 0x7f, v20
	v_cmpx_ne_u32_e32 0x7f, v71
	s_cbranch_execz .LBB368_888
; %bb.885:                              ;   in Loop: Header=BB368_10 Depth=1
	v_and_b32_e32 v26, 7, v20
	v_mov_b32_e32 v27, v13
	v_lshrrev_b32_e32 v20, 3, v71
	s_mov_b32 s20, exec_lo
	v_cmpx_gt_u32_e32 8, v71
; %bb.886:                              ;   in Loop: Header=BB368_10 Depth=1
	v_ffbh_u32_e32 v20, v26
	v_min_u32_e32 v20, 32, v20
	v_subrev_nc_u32_e32 v71, 28, v20
	v_sub_nc_u32_e32 v20, 29, v20
	v_lshlrev_b64 v[26:27], v71, v[26:27]
	v_and_b32_e32 v26, 7, v26
; %bb.887:                              ;   in Loop: Header=BB368_10 Depth=1
	s_or_b32 exec_lo, exec_lo, s20
	v_lshlrev_b32_e32 v12, 16, v12
	v_lshlrev_b32_e32 v26, 20, v26
	v_lshl_add_u32 v20, v20, 23, 0x3c000000
	v_and_b32_e32 v12, 0x80000000, v12
	v_or3_b32 v80, v26, v12, v20
.LBB368_888:                            ;   in Loop: Header=BB368_10 Depth=1
	s_or_b32 exec_lo, exec_lo, s19
.LBB368_889:                            ;   in Loop: Header=BB368_10 Depth=1
	s_or_b32 exec_lo, exec_lo, s18
.LBB368_890:                            ;   in Loop: Header=BB368_10 Depth=1
	s_or_b32 exec_lo, exec_lo, s6
	v_mov_b32_e32 v12, 0xff
	s_mov_b32 s6, exec_lo
	v_and_b32_sdwa v12, v25, v12 dst_sel:DWORD dst_unused:UNUSED_PAD src0_sel:WORD_1 src1_sel:DWORD
	v_cmpx_ne_u16_e32 0, v12
	s_cbranch_execz .LBB368_898
; %bb.891:                              ;   in Loop: Header=BB368_10 Depth=1
	v_bfrev_b32_e32 v32, 1
	s_mov_b32 s18, exec_lo
	v_cmpx_ne_u16_e32 0x80, v12
	s_cbranch_execz .LBB368_897
; %bb.892:                              ;   in Loop: Header=BB368_10 Depth=1
	v_bfe_u32 v26, v25, 16, 7
	v_mov_b32_e32 v32, 0x7f800001
	s_mov_b32 s19, exec_lo
	v_cmpx_ne_u32_e32 0x7f, v26
	s_cbranch_execz .LBB368_896
; %bb.893:                              ;   in Loop: Header=BB368_10 Depth=1
	v_mov_b32_e32 v12, 7
	v_lshrrev_b32_e32 v20, 3, v26
	v_cmp_gt_u32_e64 s5, 8, v26
	v_and_b32_sdwa v12, v25, v12 dst_sel:DWORD dst_unused:UNUSED_PAD src0_sel:WORD_1 src1_sel:DWORD
	v_mov_b32_e32 v27, v13
	v_mov_b32_e32 v26, v12
	s_and_saveexec_b32 s20, s5
; %bb.894:                              ;   in Loop: Header=BB368_10 Depth=1
	v_ffbh_u32_e32 v20, v12
	v_min_u32_e32 v20, 32, v20
	v_subrev_nc_u32_e32 v26, 28, v20
	v_sub_nc_u32_e32 v20, 29, v20
	v_lshlrev_b64 v[26:27], v26, v[12:13]
	v_and_b32_e32 v26, 7, v26
; %bb.895:                              ;   in Loop: Header=BB368_10 Depth=1
	s_or_b32 exec_lo, exec_lo, s20
	v_mov_b32_e32 v12, 24
	v_lshlrev_b32_e32 v26, 20, v26
	v_lshl_add_u32 v20, v20, 23, 0x3c000000
	v_lshlrev_b32_sdwa v12, v12, v25 dst_sel:DWORD dst_unused:UNUSED_PAD src0_sel:DWORD src1_sel:WORD_1
	v_and_b32_e32 v12, 0x80000000, v12
	v_or3_b32 v32, v26, v12, v20
.LBB368_896:                            ;   in Loop: Header=BB368_10 Depth=1
	s_or_b32 exec_lo, exec_lo, s19
.LBB368_897:                            ;   in Loop: Header=BB368_10 Depth=1
	s_or_b32 exec_lo, exec_lo, s18
.LBB368_898:                            ;   in Loop: Header=BB368_10 Depth=1
	s_or_b32 exec_lo, exec_lo, s6
	v_mov_b32_e32 v85, 0
	v_mov_b32_e32 v83, 0
	s_mov_b32 s6, exec_lo
	v_cmpx_lt_u64_e64 s[8:9], v[24:25]
	s_cbranch_execz .LBB368_906
; %bb.899:                              ;   in Loop: Header=BB368_10 Depth=1
	v_mov_b32_e32 v12, 0x80
	v_bfrev_b32_e32 v83, 1
	v_cmp_ne_u32_sdwa s5, v25, v12 src0_sel:BYTE_3 src1_sel:DWORD
	s_and_saveexec_b32 s18, s5
	s_cbranch_execz .LBB368_905
; %bb.900:                              ;   in Loop: Header=BB368_10 Depth=1
	v_bfe_u32 v24, v25, 24, 7
	v_mov_b32_e32 v83, 0x7f800001
	s_mov_b32 s19, exec_lo
	v_cmpx_ne_u32_e32 0x7f, v24
	s_cbranch_execz .LBB368_904
; %bb.901:                              ;   in Loop: Header=BB368_10 Depth=1
	v_mov_b32_e32 v12, 7
	v_lshrrev_b32_e32 v20, 3, v24
	s_mov_b32 s20, exec_lo
	v_and_b32_sdwa v12, v25, v12 dst_sel:DWORD dst_unused:UNUSED_PAD src0_sel:BYTE_3 src1_sel:DWORD
	v_mov_b32_e32 v27, v13
	v_mov_b32_e32 v26, v12
	v_cmpx_gt_u32_e32 8, v24
; %bb.902:                              ;   in Loop: Header=BB368_10 Depth=1
	v_ffbh_u32_e32 v20, v12
	v_min_u32_e32 v20, 32, v20
	v_subrev_nc_u32_e32 v24, 28, v20
	v_sub_nc_u32_e32 v20, 29, v20
	v_lshlrev_b64 v[26:27], v24, v[12:13]
	v_and_b32_e32 v26, 7, v26
; %bb.903:                              ;   in Loop: Header=BB368_10 Depth=1
	s_or_b32 exec_lo, exec_lo, s20
	v_mov_b32_e32 v12, 24
	v_lshlrev_b32_e32 v24, 20, v26
	v_lshl_add_u32 v20, v20, 23, 0x3c000000
	v_lshlrev_b32_sdwa v12, v12, v25 dst_sel:DWORD dst_unused:UNUSED_PAD src0_sel:DWORD src1_sel:BYTE_3
	v_and_b32_e32 v12, 0x80000000, v12
	v_or3_b32 v83, v24, v12, v20
.LBB368_904:                            ;   in Loop: Header=BB368_10 Depth=1
	s_or_b32 exec_lo, exec_lo, s19
.LBB368_905:                            ;   in Loop: Header=BB368_10 Depth=1
	s_or_b32 exec_lo, exec_lo, s18
.LBB368_906:                            ;   in Loop: Header=BB368_10 Depth=1
	s_or_b32 exec_lo, exec_lo, s6
	flat_load_dwordx2 v[24:25], v[16:17] offset:1536
	s_waitcnt vmcnt(0) lgkmcnt(0)
	v_cmp_ne_u16_sdwa s5, v24, v13 src0_sel:BYTE_0 src1_sel:DWORD
	s_and_saveexec_b32 s6, s5
	s_cbranch_execz .LBB368_914
; %bb.907:                              ;   in Loop: Header=BB368_10 Depth=1
	v_mov_b32_e32 v12, 0x80
	v_bfrev_b32_e32 v85, 1
	v_cmp_ne_u16_sdwa s5, v24, v12 src0_sel:BYTE_0 src1_sel:DWORD
	s_and_saveexec_b32 s18, s5
	s_cbranch_execz .LBB368_913
; %bb.908:                              ;   in Loop: Header=BB368_10 Depth=1
	v_and_b32_e32 v20, 0x7f, v24
	v_mov_b32_e32 v85, 0x7f800001
	s_mov_b32 s19, exec_lo
	v_cmpx_ne_u32_e32 0x7f, v20
	s_cbranch_execz .LBB368_912
; %bb.909:                              ;   in Loop: Header=BB368_10 Depth=1
	v_mov_b32_e32 v27, v25
	v_lshrrev_b32_e32 v12, 3, v20
	v_mov_b32_e32 v26, v24
	s_mov_b32 s20, exec_lo
	v_cmpx_gt_u32_e32 8, v20
; %bb.910:                              ;   in Loop: Header=BB368_10 Depth=1
	v_and_b32_e32 v12, 7, v24
	v_ffbh_u32_e32 v12, v12
	v_min_u32_e32 v12, 32, v12
	v_subrev_nc_u32_e32 v20, 28, v12
	v_sub_nc_u32_e32 v12, 29, v12
	v_lshlrev_b64 v[26:27], v20, v[24:25]
; %bb.911:                              ;   in Loop: Header=BB368_10 Depth=1
	s_or_b32 exec_lo, exec_lo, s20
	v_lshlrev_b32_e32 v20, 20, v26
	v_lshlrev_b32_e32 v26, 24, v24
	v_lshl_add_u32 v12, v12, 23, 0x3c000000
	v_and_b32_e32 v20, 0x700000, v20
	v_and_b32_e32 v26, 0x80000000, v26
	v_or3_b32 v85, v20, v26, v12
.LBB368_912:                            ;   in Loop: Header=BB368_10 Depth=1
	s_or_b32 exec_lo, exec_lo, s19
.LBB368_913:                            ;   in Loop: Header=BB368_10 Depth=1
	s_or_b32 exec_lo, exec_lo, s18
.LBB368_914:                            ;   in Loop: Header=BB368_10 Depth=1
	s_or_b32 exec_lo, exec_lo, s6
	v_cmp_ne_u16_sdwa s5, v24, v13 src0_sel:BYTE_1 src1_sel:DWORD
	v_mov_b32_e32 v112, 0
	v_mov_b32_e32 v102, 0
	s_and_saveexec_b32 s6, s5
	s_cbranch_execz .LBB368_922
; %bb.915:                              ;   in Loop: Header=BB368_10 Depth=1
	v_mov_b32_e32 v12, 0x80
	v_bfrev_b32_e32 v102, 1
	v_cmp_ne_u16_sdwa s5, v24, v12 src0_sel:BYTE_1 src1_sel:DWORD
	s_and_saveexec_b32 s18, s5
	s_cbranch_execz .LBB368_921
; %bb.916:                              ;   in Loop: Header=BB368_10 Depth=1
	v_mov_b32_e32 v12, 0xffff
	v_mov_b32_e32 v102, 0x7f800001
	s_mov_b32 s19, exec_lo
	v_and_b32_sdwa v12, v12, v24 dst_sel:DWORD dst_unused:UNUSED_PAD src0_sel:DWORD src1_sel:BYTE_1
	v_and_b32_e32 v26, 0x7f, v12
	v_cmpx_ne_u32_e32 0x7f, v26
	s_cbranch_execz .LBB368_920
; %bb.917:                              ;   in Loop: Header=BB368_10 Depth=1
	v_and_b32_e32 v12, 7, v12
	v_lshrrev_b32_e32 v20, 3, v26
	v_cmp_gt_u32_e64 s5, 8, v26
	v_mov_b32_e32 v27, v13
	v_mov_b32_e32 v26, v12
	s_and_saveexec_b32 s20, s5
; %bb.918:                              ;   in Loop: Header=BB368_10 Depth=1
	v_ffbh_u32_e32 v20, v12
	v_min_u32_e32 v20, 32, v20
	v_subrev_nc_u32_e32 v26, 28, v20
	v_sub_nc_u32_e32 v20, 29, v20
	v_lshlrev_b64 v[26:27], v26, v[12:13]
	v_and_b32_e32 v26, 7, v26
; %bb.919:                              ;   in Loop: Header=BB368_10 Depth=1
	s_or_b32 exec_lo, exec_lo, s20
	v_lshlrev_b32_e32 v12, 16, v24
	v_lshlrev_b32_e32 v26, 20, v26
	v_lshl_add_u32 v20, v20, 23, 0x3c000000
	v_and_b32_e32 v12, 0x80000000, v12
	v_or3_b32 v102, v26, v12, v20
.LBB368_920:                            ;   in Loop: Header=BB368_10 Depth=1
	s_or_b32 exec_lo, exec_lo, s19
.LBB368_921:                            ;   in Loop: Header=BB368_10 Depth=1
	s_or_b32 exec_lo, exec_lo, s18
.LBB368_922:                            ;   in Loop: Header=BB368_10 Depth=1
	s_or_b32 exec_lo, exec_lo, s6
	v_mov_b32_e32 v12, 0xff
	s_mov_b32 s6, exec_lo
	v_and_b32_sdwa v12, v24, v12 dst_sel:DWORD dst_unused:UNUSED_PAD src0_sel:WORD_1 src1_sel:DWORD
	v_cmpx_ne_u16_e32 0, v12
	s_cbranch_execz .LBB368_930
; %bb.923:                              ;   in Loop: Header=BB368_10 Depth=1
	v_bfrev_b32_e32 v112, 1
	s_mov_b32 s18, exec_lo
	v_cmpx_ne_u16_e32 0x80, v12
	s_cbranch_execz .LBB368_929
; %bb.924:                              ;   in Loop: Header=BB368_10 Depth=1
	v_bfe_u32 v26, v24, 16, 7
	v_mov_b32_e32 v112, 0x7f800001
	s_mov_b32 s19, exec_lo
	v_cmpx_ne_u32_e32 0x7f, v26
	s_cbranch_execz .LBB368_928
; %bb.925:                              ;   in Loop: Header=BB368_10 Depth=1
	v_mov_b32_e32 v12, 7
	v_lshrrev_b32_e32 v20, 3, v26
	v_cmp_gt_u32_e64 s5, 8, v26
	v_and_b32_sdwa v12, v24, v12 dst_sel:DWORD dst_unused:UNUSED_PAD src0_sel:WORD_1 src1_sel:DWORD
	v_mov_b32_e32 v27, v13
	v_mov_b32_e32 v26, v12
	s_and_saveexec_b32 s20, s5
; %bb.926:                              ;   in Loop: Header=BB368_10 Depth=1
	v_ffbh_u32_e32 v20, v12
	v_min_u32_e32 v20, 32, v20
	v_subrev_nc_u32_e32 v26, 28, v20
	v_sub_nc_u32_e32 v20, 29, v20
	v_lshlrev_b64 v[26:27], v26, v[12:13]
	v_and_b32_e32 v26, 7, v26
; %bb.927:                              ;   in Loop: Header=BB368_10 Depth=1
	s_or_b32 exec_lo, exec_lo, s20
	v_mov_b32_e32 v12, 24
	v_lshlrev_b32_e32 v26, 20, v26
	v_lshl_add_u32 v20, v20, 23, 0x3c000000
	v_lshlrev_b32_sdwa v12, v12, v24 dst_sel:DWORD dst_unused:UNUSED_PAD src0_sel:DWORD src1_sel:WORD_1
	v_and_b32_e32 v12, 0x80000000, v12
	v_or3_b32 v112, v26, v12, v20
.LBB368_928:                            ;   in Loop: Header=BB368_10 Depth=1
	s_or_b32 exec_lo, exec_lo, s19
.LBB368_929:                            ;   in Loop: Header=BB368_10 Depth=1
	s_or_b32 exec_lo, exec_lo, s18
.LBB368_930:                            ;   in Loop: Header=BB368_10 Depth=1
	s_or_b32 exec_lo, exec_lo, s6
	v_mov_b32_e32 v119, 0
	v_mov_b32_e32 v115, 0
	s_mov_b32 s6, exec_lo
	v_cmpx_lt_u32_e32 0xffffff, v24
	s_cbranch_execz .LBB368_938
; %bb.931:                              ;   in Loop: Header=BB368_10 Depth=1
	v_mov_b32_e32 v12, 0x80
	v_bfrev_b32_e32 v115, 1
	v_cmp_ne_u32_sdwa s5, v24, v12 src0_sel:BYTE_3 src1_sel:DWORD
	s_and_saveexec_b32 s18, s5
	s_cbranch_execz .LBB368_937
; %bb.932:                              ;   in Loop: Header=BB368_10 Depth=1
	v_bfe_u32 v26, v24, 24, 7
	v_mov_b32_e32 v115, 0x7f800001
	s_mov_b32 s19, exec_lo
	v_cmpx_ne_u32_e32 0x7f, v26
	s_cbranch_execz .LBB368_936
; %bb.933:                              ;   in Loop: Header=BB368_10 Depth=1
	v_mov_b32_e32 v12, 7
	v_lshrrev_b32_e32 v20, 3, v26
	v_cmp_gt_u32_e64 s5, 8, v26
	v_and_b32_sdwa v12, v24, v12 dst_sel:DWORD dst_unused:UNUSED_PAD src0_sel:BYTE_3 src1_sel:DWORD
	v_mov_b32_e32 v27, v13
	v_mov_b32_e32 v26, v12
	s_and_saveexec_b32 s20, s5
; %bb.934:                              ;   in Loop: Header=BB368_10 Depth=1
	v_ffbh_u32_e32 v20, v12
	v_min_u32_e32 v20, 32, v20
	v_subrev_nc_u32_e32 v26, 28, v20
	v_sub_nc_u32_e32 v20, 29, v20
	v_lshlrev_b64 v[26:27], v26, v[12:13]
	v_and_b32_e32 v26, 7, v26
; %bb.935:                              ;   in Loop: Header=BB368_10 Depth=1
	s_or_b32 exec_lo, exec_lo, s20
	v_mov_b32_e32 v12, 24
	v_lshlrev_b32_e32 v26, 20, v26
	v_lshl_add_u32 v20, v20, 23, 0x3c000000
	v_lshlrev_b32_sdwa v12, v12, v24 dst_sel:DWORD dst_unused:UNUSED_PAD src0_sel:DWORD src1_sel:BYTE_3
	v_and_b32_e32 v12, 0x80000000, v12
	v_or3_b32 v115, v26, v12, v20
.LBB368_936:                            ;   in Loop: Header=BB368_10 Depth=1
	s_or_b32 exec_lo, exec_lo, s19
.LBB368_937:                            ;   in Loop: Header=BB368_10 Depth=1
	s_or_b32 exec_lo, exec_lo, s18
.LBB368_938:                            ;   in Loop: Header=BB368_10 Depth=1
	s_or_b32 exec_lo, exec_lo, s6
	v_mov_b32_e32 v12, v25
	v_cmp_ne_u16_sdwa s5, v25, v13 src0_sel:BYTE_0 src1_sel:DWORD
	s_and_saveexec_b32 s6, s5
	s_cbranch_execz .LBB368_946
; %bb.939:                              ;   in Loop: Header=BB368_10 Depth=1
	v_mov_b32_e32 v20, 0x80
	v_bfrev_b32_e32 v119, 1
	v_cmp_ne_u16_sdwa s5, v25, v20 src0_sel:BYTE_0 src1_sel:DWORD
	s_and_saveexec_b32 s18, s5
	s_cbranch_execz .LBB368_945
; %bb.940:                              ;   in Loop: Header=BB368_10 Depth=1
	v_and_b32_e32 v26, 0x7f, v25
	v_mov_b32_e32 v119, 0x7f800001
	s_mov_b32 s19, exec_lo
	v_cmpx_ne_u32_e32 0x7f, v26
	s_cbranch_execz .LBB368_944
; %bb.941:                              ;   in Loop: Header=BB368_10 Depth=1
	v_lshrrev_b32_e32 v20, 3, v26
	v_cmp_gt_u32_e64 s5, 8, v26
	v_mov_b32_e32 v27, v13
	v_mov_b32_e32 v26, v12
	s_and_saveexec_b32 s20, s5
; %bb.942:                              ;   in Loop: Header=BB368_10 Depth=1
	v_and_b32_e32 v20, 7, v25
	v_ffbh_u32_e32 v20, v20
	v_min_u32_e32 v20, 32, v20
	v_subrev_nc_u32_e32 v26, 28, v20
	v_sub_nc_u32_e32 v20, 29, v20
	v_lshlrev_b64 v[26:27], v26, v[12:13]
; %bb.943:                              ;   in Loop: Header=BB368_10 Depth=1
	s_or_b32 exec_lo, exec_lo, s20
	v_lshlrev_b32_e32 v26, 20, v26
	v_lshlrev_b32_e32 v27, 24, v12
	v_lshl_add_u32 v20, v20, 23, 0x3c000000
	v_and_b32_e32 v26, 0x700000, v26
	v_and_b32_e32 v27, 0x80000000, v27
	v_or3_b32 v119, v26, v27, v20
.LBB368_944:                            ;   in Loop: Header=BB368_10 Depth=1
	s_or_b32 exec_lo, exec_lo, s19
.LBB368_945:                            ;   in Loop: Header=BB368_10 Depth=1
	s_or_b32 exec_lo, exec_lo, s18
.LBB368_946:                            ;   in Loop: Header=BB368_10 Depth=1
	s_or_b32 exec_lo, exec_lo, s6
	v_cmp_ne_u16_sdwa s5, v12, v13 src0_sel:BYTE_1 src1_sel:DWORD
	v_mov_b32_e32 v40, 0
	v_mov_b32_e32 v41, 0
	s_and_saveexec_b32 s6, s5
	s_cbranch_execz .LBB368_954
; %bb.947:                              ;   in Loop: Header=BB368_10 Depth=1
	v_mov_b32_e32 v20, 0x80
	v_bfrev_b32_e32 v41, 1
	v_cmp_ne_u16_sdwa s5, v12, v20 src0_sel:BYTE_1 src1_sel:DWORD
	s_and_saveexec_b32 s18, s5
	s_cbranch_execz .LBB368_953
; %bb.948:                              ;   in Loop: Header=BB368_10 Depth=1
	v_mov_b32_e32 v20, 0xffff
	v_mov_b32_e32 v41, 0x7f800001
	s_mov_b32 s19, exec_lo
	v_and_b32_sdwa v20, v20, v12 dst_sel:DWORD dst_unused:UNUSED_PAD src0_sel:DWORD src1_sel:BYTE_1
	v_and_b32_e32 v71, 0x7f, v20
	v_cmpx_ne_u32_e32 0x7f, v71
	s_cbranch_execz .LBB368_952
; %bb.949:                              ;   in Loop: Header=BB368_10 Depth=1
	v_and_b32_e32 v26, 7, v20
	v_mov_b32_e32 v27, v13
	v_lshrrev_b32_e32 v20, 3, v71
	s_mov_b32 s20, exec_lo
	v_cmpx_gt_u32_e32 8, v71
; %bb.950:                              ;   in Loop: Header=BB368_10 Depth=1
	v_ffbh_u32_e32 v20, v26
	v_min_u32_e32 v20, 32, v20
	v_subrev_nc_u32_e32 v71, 28, v20
	v_sub_nc_u32_e32 v20, 29, v20
	v_lshlrev_b64 v[26:27], v71, v[26:27]
	v_and_b32_e32 v26, 7, v26
; %bb.951:                              ;   in Loop: Header=BB368_10 Depth=1
	s_or_b32 exec_lo, exec_lo, s20
	v_lshlrev_b32_e32 v12, 16, v12
	v_lshlrev_b32_e32 v26, 20, v26
	v_lshl_add_u32 v20, v20, 23, 0x3c000000
	v_and_b32_e32 v12, 0x80000000, v12
	v_or3_b32 v41, v26, v12, v20
.LBB368_952:                            ;   in Loop: Header=BB368_10 Depth=1
	s_or_b32 exec_lo, exec_lo, s19
.LBB368_953:                            ;   in Loop: Header=BB368_10 Depth=1
	s_or_b32 exec_lo, exec_lo, s18
.LBB368_954:                            ;   in Loop: Header=BB368_10 Depth=1
	s_or_b32 exec_lo, exec_lo, s6
	v_mov_b32_e32 v12, 0xff
	s_mov_b32 s6, exec_lo
	v_and_b32_sdwa v12, v25, v12 dst_sel:DWORD dst_unused:UNUSED_PAD src0_sel:WORD_1 src1_sel:DWORD
	v_cmpx_ne_u16_e32 0, v12
	s_cbranch_execz .LBB368_962
; %bb.955:                              ;   in Loop: Header=BB368_10 Depth=1
	v_bfrev_b32_e32 v40, 1
	s_mov_b32 s18, exec_lo
	v_cmpx_ne_u16_e32 0x80, v12
	s_cbranch_execz .LBB368_961
; %bb.956:                              ;   in Loop: Header=BB368_10 Depth=1
	v_bfe_u32 v26, v25, 16, 7
	v_mov_b32_e32 v40, 0x7f800001
	s_mov_b32 s19, exec_lo
	v_cmpx_ne_u32_e32 0x7f, v26
	s_cbranch_execz .LBB368_960
; %bb.957:                              ;   in Loop: Header=BB368_10 Depth=1
	v_mov_b32_e32 v12, 7
	v_lshrrev_b32_e32 v20, 3, v26
	v_cmp_gt_u32_e64 s5, 8, v26
	v_and_b32_sdwa v12, v25, v12 dst_sel:DWORD dst_unused:UNUSED_PAD src0_sel:WORD_1 src1_sel:DWORD
	v_mov_b32_e32 v27, v13
	v_mov_b32_e32 v26, v12
	s_and_saveexec_b32 s20, s5
; %bb.958:                              ;   in Loop: Header=BB368_10 Depth=1
	v_ffbh_u32_e32 v20, v12
	v_min_u32_e32 v20, 32, v20
	v_subrev_nc_u32_e32 v26, 28, v20
	v_sub_nc_u32_e32 v20, 29, v20
	v_lshlrev_b64 v[26:27], v26, v[12:13]
	v_and_b32_e32 v26, 7, v26
; %bb.959:                              ;   in Loop: Header=BB368_10 Depth=1
	s_or_b32 exec_lo, exec_lo, s20
	v_mov_b32_e32 v12, 24
	v_lshlrev_b32_e32 v26, 20, v26
	v_lshl_add_u32 v20, v20, 23, 0x3c000000
	v_lshlrev_b32_sdwa v12, v12, v25 dst_sel:DWORD dst_unused:UNUSED_PAD src0_sel:DWORD src1_sel:WORD_1
	v_and_b32_e32 v12, 0x80000000, v12
	v_or3_b32 v40, v26, v12, v20
.LBB368_960:                            ;   in Loop: Header=BB368_10 Depth=1
	s_or_b32 exec_lo, exec_lo, s19
.LBB368_961:                            ;   in Loop: Header=BB368_10 Depth=1
	s_or_b32 exec_lo, exec_lo, s18
.LBB368_962:                            ;   in Loop: Header=BB368_10 Depth=1
	s_or_b32 exec_lo, exec_lo, s6
	v_mov_b32_e32 v12, 0
	v_mov_b32_e32 v42, 0
	s_mov_b32 s6, exec_lo
	buffer_store_dword v12, off, s[0:3], s32 offset:256 ; 4-byte Folded Spill
	v_cmpx_lt_u64_e64 s[8:9], v[24:25]
	s_cbranch_execz .LBB368_970
; %bb.963:                              ;   in Loop: Header=BB368_10 Depth=1
	v_mov_b32_e32 v12, 0x80
	v_bfrev_b32_e32 v42, 1
	v_cmp_ne_u32_sdwa s5, v25, v12 src0_sel:BYTE_3 src1_sel:DWORD
	s_and_saveexec_b32 s18, s5
	s_cbranch_execz .LBB368_969
; %bb.964:                              ;   in Loop: Header=BB368_10 Depth=1
	v_bfe_u32 v26, v25, 24, 7
	v_mov_b32_e32 v42, 0x7f800001
	s_mov_b32 s19, exec_lo
	v_cmpx_ne_u32_e32 0x7f, v26
	s_cbranch_execz .LBB368_968
; %bb.965:                              ;   in Loop: Header=BB368_10 Depth=1
	v_mov_b32_e32 v12, 7
	v_lshrrev_b32_e32 v24, 3, v26
	v_cmp_gt_u32_e64 s5, 8, v26
	v_and_b32_sdwa v12, v25, v12 dst_sel:DWORD dst_unused:UNUSED_PAD src0_sel:BYTE_3 src1_sel:DWORD
	v_mov_b32_e32 v27, v13
	v_mov_b32_e32 v26, v12
	s_and_saveexec_b32 s20, s5
; %bb.966:                              ;   in Loop: Header=BB368_10 Depth=1
	v_ffbh_u32_e32 v24, v12
	v_min_u32_e32 v24, 32, v24
	v_subrev_nc_u32_e32 v26, 28, v24
	v_sub_nc_u32_e32 v24, 29, v24
	v_lshlrev_b64 v[26:27], v26, v[12:13]
	v_and_b32_e32 v26, 7, v26
; %bb.967:                              ;   in Loop: Header=BB368_10 Depth=1
	s_or_b32 exec_lo, exec_lo, s20
	v_mov_b32_e32 v12, 24
	v_lshl_add_u32 v24, v24, 23, 0x3c000000
	v_lshlrev_b32_sdwa v12, v12, v25 dst_sel:DWORD dst_unused:UNUSED_PAD src0_sel:DWORD src1_sel:BYTE_3
	v_lshlrev_b32_e32 v25, 20, v26
	v_and_b32_e32 v12, 0x80000000, v12
	v_or3_b32 v42, v25, v12, v24
.LBB368_968:                            ;   in Loop: Header=BB368_10 Depth=1
	s_or_b32 exec_lo, exec_lo, s19
.LBB368_969:                            ;   in Loop: Header=BB368_10 Depth=1
	s_or_b32 exec_lo, exec_lo, s18
.LBB368_970:                            ;   in Loop: Header=BB368_10 Depth=1
	s_or_b32 exec_lo, exec_lo, s6
	flat_load_dwordx2 v[16:17], v[16:17] offset:1544
	s_waitcnt vmcnt(0) lgkmcnt(0)
	v_cmp_ne_u16_sdwa s5, v16, v13 src0_sel:BYTE_0 src1_sel:DWORD
	s_and_saveexec_b32 s6, s5
	s_cbranch_execz .LBB368_978
; %bb.971:                              ;   in Loop: Header=BB368_10 Depth=1
	v_mov_b32_e32 v12, 0x80
	v_cmp_ne_u16_sdwa s5, v16, v12 src0_sel:BYTE_0 src1_sel:DWORD
	v_bfrev_b32_e32 v12, 1
	buffer_store_dword v12, off, s[0:3], s32 offset:256 ; 4-byte Folded Spill
	s_and_saveexec_b32 s18, s5
	s_cbranch_execz .LBB368_977
; %bb.972:                              ;   in Loop: Header=BB368_10 Depth=1
	v_and_b32_e32 v24, 0x7f, v16
	v_mov_b32_e32 v12, 0x7f800001
	s_mov_b32 s19, exec_lo
	buffer_store_dword v12, off, s[0:3], s32 offset:256 ; 4-byte Folded Spill
	v_cmpx_ne_u32_e32 0x7f, v24
	s_cbranch_execz .LBB368_976
; %bb.973:                              ;   in Loop: Header=BB368_10 Depth=1
	v_lshrrev_b32_e32 v12, 3, v24
	v_cmp_gt_u32_e64 s5, 8, v24
	v_mov_b32_e32 v25, v17
	v_mov_b32_e32 v24, v16
	s_and_saveexec_b32 s20, s5
; %bb.974:                              ;   in Loop: Header=BB368_10 Depth=1
	v_and_b32_e32 v12, 7, v16
	v_ffbh_u32_e32 v12, v12
	v_min_u32_e32 v12, 32, v12
	v_subrev_nc_u32_e32 v20, 28, v12
	v_sub_nc_u32_e32 v12, 29, v12
	v_lshlrev_b64 v[24:25], v20, v[16:17]
; %bb.975:                              ;   in Loop: Header=BB368_10 Depth=1
	s_or_b32 exec_lo, exec_lo, s20
	v_lshlrev_b32_e32 v20, 20, v24
	v_lshlrev_b32_e32 v24, 24, v16
	v_lshl_add_u32 v12, v12, 23, 0x3c000000
	v_and_b32_e32 v20, 0x700000, v20
	v_and_b32_e32 v24, 0x80000000, v24
	v_or3_b32 v12, v20, v24, v12
	buffer_store_dword v12, off, s[0:3], s32 offset:256 ; 4-byte Folded Spill
.LBB368_976:                            ;   in Loop: Header=BB368_10 Depth=1
	s_or_b32 exec_lo, exec_lo, s19
.LBB368_977:                            ;   in Loop: Header=BB368_10 Depth=1
	s_or_b32 exec_lo, exec_lo, s18
.LBB368_978:                            ;   in Loop: Header=BB368_10 Depth=1
	s_or_b32 exec_lo, exec_lo, s6
	v_cmp_ne_u16_sdwa s5, v16, v13 src0_sel:BYTE_1 src1_sel:DWORD
	v_mov_b32_e32 v27, 0
	v_mov_b32_e32 v26, 0
	s_and_saveexec_b32 s6, s5
	s_cbranch_execz .LBB368_986
; %bb.979:                              ;   in Loop: Header=BB368_10 Depth=1
	v_mov_b32_e32 v12, 0x80
	v_bfrev_b32_e32 v26, 1
	v_cmp_ne_u16_sdwa s5, v16, v12 src0_sel:BYTE_1 src1_sel:DWORD
	s_and_saveexec_b32 s18, s5
	s_cbranch_execz .LBB368_985
; %bb.980:                              ;   in Loop: Header=BB368_10 Depth=1
	v_mov_b32_e32 v12, 0xffff
	v_mov_b32_e32 v26, 0x7f800001
	s_mov_b32 s19, exec_lo
	v_and_b32_sdwa v12, v12, v16 dst_sel:DWORD dst_unused:UNUSED_PAD src0_sel:DWORD src1_sel:BYTE_1
	v_and_b32_e32 v71, 0x7f, v12
	v_cmpx_ne_u32_e32 0x7f, v71
	s_cbranch_execz .LBB368_984
; %bb.981:                              ;   in Loop: Header=BB368_10 Depth=1
	v_and_b32_e32 v12, 7, v12
	v_mov_b32_e32 v25, v13
	v_lshrrev_b32_e32 v25, 3, v71
	s_mov_b32 s20, exec_lo
	v_mov_b32_e32 v24, v12
	v_cmpx_gt_u32_e32 8, v71
; %bb.982:                              ;   in Loop: Header=BB368_10 Depth=1
	v_ffbh_u32_e32 v24, v12
	v_min_u32_e32 v26, 32, v24
	v_subrev_nc_u32_e32 v24, 28, v26
	v_lshlrev_b64 v[24:25], v24, v[12:13]
	v_sub_nc_u32_e32 v25, 29, v26
	v_and_b32_e32 v24, 7, v24
; %bb.983:                              ;   in Loop: Header=BB368_10 Depth=1
	s_or_b32 exec_lo, exec_lo, s20
	v_lshlrev_b32_e32 v12, 16, v16
	v_lshlrev_b32_e32 v24, 20, v24
	v_lshl_add_u32 v25, v25, 23, 0x3c000000
	v_and_b32_e32 v12, 0x80000000, v12
	v_or3_b32 v26, v24, v12, v25
.LBB368_984:                            ;   in Loop: Header=BB368_10 Depth=1
	s_or_b32 exec_lo, exec_lo, s19
.LBB368_985:                            ;   in Loop: Header=BB368_10 Depth=1
	s_or_b32 exec_lo, exec_lo, s18
.LBB368_986:                            ;   in Loop: Header=BB368_10 Depth=1
	s_or_b32 exec_lo, exec_lo, s6
	v_mov_b32_e32 v12, 0xff
	s_mov_b32 s6, exec_lo
	v_and_b32_sdwa v12, v16, v12 dst_sel:DWORD dst_unused:UNUSED_PAD src0_sel:WORD_1 src1_sel:DWORD
	v_cmpx_ne_u16_e32 0, v12
	s_cbranch_execz .LBB368_994
; %bb.987:                              ;   in Loop: Header=BB368_10 Depth=1
	v_bfrev_b32_e32 v27, 1
	s_mov_b32 s18, exec_lo
	v_cmpx_ne_u16_e32 0x80, v12
	s_cbranch_execz .LBB368_993
; %bb.988:                              ;   in Loop: Header=BB368_10 Depth=1
	v_bfe_u32 v71, v16, 16, 7
	v_mov_b32_e32 v27, 0x7f800001
	s_mov_b32 s19, exec_lo
	v_cmpx_ne_u32_e32 0x7f, v71
	s_cbranch_execz .LBB368_992
; %bb.989:                              ;   in Loop: Header=BB368_10 Depth=1
	v_mov_b32_e32 v12, 7
	s_mov_b32 s20, exec_lo
	v_and_b32_sdwa v12, v16, v12 dst_sel:DWORD dst_unused:UNUSED_PAD src0_sel:WORD_1 src1_sel:DWORD
	v_mov_b32_e32 v25, v13
	v_lshrrev_b32_e32 v25, 3, v71
	v_mov_b32_e32 v24, v12
	v_cmpx_gt_u32_e32 8, v71
; %bb.990:                              ;   in Loop: Header=BB368_10 Depth=1
	v_ffbh_u32_e32 v24, v12
	v_min_u32_e32 v27, 32, v24
	v_subrev_nc_u32_e32 v24, 28, v27
	v_lshlrev_b64 v[24:25], v24, v[12:13]
	v_sub_nc_u32_e32 v25, 29, v27
	v_and_b32_e32 v24, 7, v24
; %bb.991:                              ;   in Loop: Header=BB368_10 Depth=1
	s_or_b32 exec_lo, exec_lo, s20
	v_mov_b32_e32 v12, 24
	v_lshlrev_b32_e32 v24, 20, v24
	v_lshl_add_u32 v25, v25, 23, 0x3c000000
	v_lshlrev_b32_sdwa v12, v12, v16 dst_sel:DWORD dst_unused:UNUSED_PAD src0_sel:DWORD src1_sel:WORD_1
	v_and_b32_e32 v12, 0x80000000, v12
	v_or3_b32 v27, v24, v12, v25
.LBB368_992:                            ;   in Loop: Header=BB368_10 Depth=1
	s_or_b32 exec_lo, exec_lo, s19
.LBB368_993:                            ;   in Loop: Header=BB368_10 Depth=1
	s_or_b32 exec_lo, exec_lo, s18
.LBB368_994:                            ;   in Loop: Header=BB368_10 Depth=1
	s_or_b32 exec_lo, exec_lo, s6
	v_mov_b32_e32 v113, 0
	v_mov_b32_e32 v114, 0
	s_mov_b32 s6, exec_lo
	v_cmpx_lt_u32_e32 0xffffff, v16
	s_cbranch_execz .LBB368_1002
; %bb.995:                              ;   in Loop: Header=BB368_10 Depth=1
	v_mov_b32_e32 v12, 0x80
	v_bfrev_b32_e32 v114, 1
	v_cmp_ne_u32_sdwa s5, v16, v12 src0_sel:BYTE_3 src1_sel:DWORD
	s_and_saveexec_b32 s18, s5
	s_cbranch_execz .LBB368_1001
; %bb.996:                              ;   in Loop: Header=BB368_10 Depth=1
	v_bfe_u32 v71, v16, 24, 7
	v_mov_b32_e32 v114, 0x7f800001
	s_mov_b32 s19, exec_lo
	v_cmpx_ne_u32_e32 0x7f, v71
	s_cbranch_execz .LBB368_1000
; %bb.997:                              ;   in Loop: Header=BB368_10 Depth=1
	v_mov_b32_e32 v12, 7
	s_mov_b32 s20, exec_lo
	v_and_b32_sdwa v12, v16, v12 dst_sel:DWORD dst_unused:UNUSED_PAD src0_sel:BYTE_3 src1_sel:DWORD
	v_mov_b32_e32 v25, v13
	v_lshrrev_b32_e32 v25, 3, v71
	v_mov_b32_e32 v24, v12
	v_cmpx_gt_u32_e32 8, v71
; %bb.998:                              ;   in Loop: Header=BB368_10 Depth=1
	v_ffbh_u32_e32 v24, v12
	v_min_u32_e32 v71, 32, v24
	v_subrev_nc_u32_e32 v24, 28, v71
	v_lshlrev_b64 v[24:25], v24, v[12:13]
	v_sub_nc_u32_e32 v25, 29, v71
	v_and_b32_e32 v24, 7, v24
; %bb.999:                              ;   in Loop: Header=BB368_10 Depth=1
	s_or_b32 exec_lo, exec_lo, s20
	v_mov_b32_e32 v12, 24
	v_lshlrev_b32_e32 v24, 20, v24
	v_lshl_add_u32 v25, v25, 23, 0x3c000000
	v_lshlrev_b32_sdwa v12, v12, v16 dst_sel:DWORD dst_unused:UNUSED_PAD src0_sel:DWORD src1_sel:BYTE_3
	v_and_b32_e32 v12, 0x80000000, v12
	v_or3_b32 v114, v24, v12, v25
.LBB368_1000:                           ;   in Loop: Header=BB368_10 Depth=1
	s_or_b32 exec_lo, exec_lo, s19
.LBB368_1001:                           ;   in Loop: Header=BB368_10 Depth=1
	s_or_b32 exec_lo, exec_lo, s18
.LBB368_1002:                           ;   in Loop: Header=BB368_10 Depth=1
	s_or_b32 exec_lo, exec_lo, s6
	v_mov_b32_e32 v12, v17
	v_cmp_ne_u16_sdwa s5, v17, v13 src0_sel:BYTE_0 src1_sel:DWORD
	s_and_saveexec_b32 s6, s5
	s_cbranch_execz .LBB368_1010
; %bb.1003:                             ;   in Loop: Header=BB368_10 Depth=1
	v_mov_b32_e32 v20, 0x80
	v_bfrev_b32_e32 v113, 1
	v_cmp_ne_u16_sdwa s5, v17, v20 src0_sel:BYTE_0 src1_sel:DWORD
	s_and_saveexec_b32 s18, s5
	s_cbranch_execz .LBB368_1009
; %bb.1004:                             ;   in Loop: Header=BB368_10 Depth=1
	v_and_b32_e32 v71, 0x7f, v17
	v_mov_b32_e32 v113, 0x7f800001
	s_mov_b32 s19, exec_lo
	v_cmpx_ne_u32_e32 0x7f, v71
	s_cbranch_execz .LBB368_1008
; %bb.1005:                             ;   in Loop: Header=BB368_10 Depth=1
	v_mov_b32_e32 v25, v13
	v_mov_b32_e32 v24, v12
	v_lshrrev_b32_e32 v25, 3, v71
	s_mov_b32 s20, exec_lo
	v_cmpx_gt_u32_e32 8, v71
; %bb.1006:                             ;   in Loop: Header=BB368_10 Depth=1
	v_and_b32_e32 v24, 7, v17
	v_ffbh_u32_e32 v24, v24
	v_min_u32_e32 v71, 32, v24
	v_subrev_nc_u32_e32 v24, 28, v71
	v_lshlrev_b64 v[24:25], v24, v[12:13]
	v_sub_nc_u32_e32 v25, 29, v71
; %bb.1007:                             ;   in Loop: Header=BB368_10 Depth=1
	s_or_b32 exec_lo, exec_lo, s20
	v_lshlrev_b32_e32 v24, 20, v24
	v_lshlrev_b32_e32 v71, 24, v12
	v_lshl_add_u32 v25, v25, 23, 0x3c000000
	v_and_b32_e32 v24, 0x700000, v24
	v_and_b32_e32 v71, 0x80000000, v71
	v_or3_b32 v113, v24, v71, v25
.LBB368_1008:                           ;   in Loop: Header=BB368_10 Depth=1
	s_or_b32 exec_lo, exec_lo, s19
.LBB368_1009:                           ;   in Loop: Header=BB368_10 Depth=1
	s_or_b32 exec_lo, exec_lo, s18
.LBB368_1010:                           ;   in Loop: Header=BB368_10 Depth=1
	s_or_b32 exec_lo, exec_lo, s6
	v_cmp_ne_u16_sdwa s5, v12, v13 src0_sel:BYTE_1 src1_sel:DWORD
	v_mov_b32_e32 v116, 0
	v_mov_b32_e32 v117, 0
	s_and_saveexec_b32 s6, s5
	s_cbranch_execz .LBB368_1018
; %bb.1011:                             ;   in Loop: Header=BB368_10 Depth=1
	v_mov_b32_e32 v20, 0x80
	v_bfrev_b32_e32 v117, 1
	v_cmp_ne_u16_sdwa s5, v12, v20 src0_sel:BYTE_1 src1_sel:DWORD
	s_and_saveexec_b32 s18, s5
	s_cbranch_execz .LBB368_1017
; %bb.1012:                             ;   in Loop: Header=BB368_10 Depth=1
	v_mov_b32_e32 v20, 0xffff
	v_mov_b32_e32 v100, v82
	;; [unrolled: 1-line block ×3, first 2 shown]
	s_mov_b32 s19, exec_lo
	v_and_b32_sdwa v24, v20, v12 dst_sel:DWORD dst_unused:UNUSED_PAD src0_sel:DWORD src1_sel:BYTE_1
	v_and_b32_e32 v82, 0x7f, v24
	v_cmpx_ne_u32_e32 0x7f, v82
	s_cbranch_execz .LBB368_1016
; %bb.1013:                             ;   in Loop: Header=BB368_10 Depth=1
	v_and_b32_e32 v24, 7, v24
	v_mov_b32_e32 v25, v13
	v_lshrrev_b32_e32 v71, 3, v82
	s_mov_b32 s20, exec_lo
	v_cmpx_gt_u32_e32 8, v82
; %bb.1014:                             ;   in Loop: Header=BB368_10 Depth=1
	v_ffbh_u32_e32 v71, v24
	v_min_u32_e32 v71, 32, v71
	v_subrev_nc_u32_e32 v82, 28, v71
	v_sub_nc_u32_e32 v71, 29, v71
	v_lshlrev_b64 v[24:25], v82, v[24:25]
	v_and_b32_e32 v24, 7, v24
; %bb.1015:                             ;   in Loop: Header=BB368_10 Depth=1
	s_or_b32 exec_lo, exec_lo, s20
	v_lshlrev_b32_e32 v12, 16, v12
	v_lshlrev_b32_e32 v24, 20, v24
	v_lshl_add_u32 v25, v71, 23, 0x3c000000
	v_and_b32_e32 v12, 0x80000000, v12
	v_or3_b32 v117, v24, v12, v25
.LBB368_1016:                           ;   in Loop: Header=BB368_10 Depth=1
	s_or_b32 exec_lo, exec_lo, s19
	v_mov_b32_e32 v82, v100
.LBB368_1017:                           ;   in Loop: Header=BB368_10 Depth=1
	s_or_b32 exec_lo, exec_lo, s18
.LBB368_1018:                           ;   in Loop: Header=BB368_10 Depth=1
	s_or_b32 exec_lo, exec_lo, s6
	v_mov_b32_e32 v12, 0xff
	s_mov_b32 s6, exec_lo
	v_and_b32_sdwa v12, v17, v12 dst_sel:DWORD dst_unused:UNUSED_PAD src0_sel:WORD_1 src1_sel:DWORD
	v_cmpx_ne_u16_e32 0, v12
	s_cbranch_execz .LBB368_1026
; %bb.1019:                             ;   in Loop: Header=BB368_10 Depth=1
	v_bfrev_b32_e32 v116, 1
	s_mov_b32 s18, exec_lo
	v_cmpx_ne_u16_e32 0x80, v12
	s_cbranch_execz .LBB368_1025
; %bb.1020:                             ;   in Loop: Header=BB368_10 Depth=1
	v_bfe_u32 v71, v17, 16, 7
	v_mov_b32_e32 v116, 0x7f800001
	s_mov_b32 s19, exec_lo
	v_cmpx_ne_u32_e32 0x7f, v71
	s_cbranch_execz .LBB368_1024
; %bb.1021:                             ;   in Loop: Header=BB368_10 Depth=1
	v_mov_b32_e32 v12, 7
	s_mov_b32 s20, exec_lo
	v_and_b32_sdwa v12, v17, v12 dst_sel:DWORD dst_unused:UNUSED_PAD src0_sel:WORD_1 src1_sel:DWORD
	v_mov_b32_e32 v25, v13
	v_lshrrev_b32_e32 v25, 3, v71
	v_mov_b32_e32 v24, v12
	v_cmpx_gt_u32_e32 8, v71
; %bb.1022:                             ;   in Loop: Header=BB368_10 Depth=1
	v_ffbh_u32_e32 v24, v12
	v_min_u32_e32 v71, 32, v24
	v_subrev_nc_u32_e32 v24, 28, v71
	v_lshlrev_b64 v[24:25], v24, v[12:13]
	v_sub_nc_u32_e32 v25, 29, v71
	v_and_b32_e32 v24, 7, v24
; %bb.1023:                             ;   in Loop: Header=BB368_10 Depth=1
	s_or_b32 exec_lo, exec_lo, s20
	v_mov_b32_e32 v12, 24
	v_lshlrev_b32_e32 v24, 20, v24
	v_lshl_add_u32 v25, v25, 23, 0x3c000000
	v_lshlrev_b32_sdwa v12, v12, v17 dst_sel:DWORD dst_unused:UNUSED_PAD src0_sel:DWORD src1_sel:WORD_1
	v_and_b32_e32 v12, 0x80000000, v12
	v_or3_b32 v116, v24, v12, v25
.LBB368_1024:                           ;   in Loop: Header=BB368_10 Depth=1
	s_or_b32 exec_lo, exec_lo, s19
.LBB368_1025:                           ;   in Loop: Header=BB368_10 Depth=1
	s_or_b32 exec_lo, exec_lo, s18
.LBB368_1026:                           ;   in Loop: Header=BB368_10 Depth=1
	s_or_b32 exec_lo, exec_lo, s6
	v_mov_b32_e32 v20, v82
	v_mov_b32_e32 v118, 0
	v_cmp_lt_u64_e64 s5, s[8:9], v[16:17]
	s_mov_b32 s6, exec_lo
	v_mov_b32_e32 v101, v81
	v_mov_b32_e32 v103, v84
	;; [unrolled: 1-line block ×3, first 2 shown]
	s_and_b32 s5, s6, s5
	s_mov_b32 exec_lo, s5
	s_cbranch_execz .LBB368_9
; %bb.1027:                             ;   in Loop: Header=BB368_10 Depth=1
	v_mov_b32_e32 v12, 0x80
	v_bfrev_b32_e32 v118, 1
	v_cmp_ne_u32_sdwa s5, v17, v12 src0_sel:BYTE_3 src1_sel:DWORD
	s_and_saveexec_b32 s18, s5
	s_cbranch_execz .LBB368_8
; %bb.1028:                             ;   in Loop: Header=BB368_10 Depth=1
	v_bfe_u32 v71, v17, 24, 7
	v_mov_b32_e32 v118, 0x7f800001
	s_mov_b32 s19, exec_lo
	v_cmpx_ne_u32_e32 0x7f, v71
	s_cbranch_execz .LBB368_7
; %bb.1029:                             ;   in Loop: Header=BB368_10 Depth=1
	v_mov_b32_e32 v12, 7
	v_lshrrev_b32_e32 v16, 3, v71
	s_mov_b32 s20, exec_lo
	v_and_b32_sdwa v12, v17, v12 dst_sel:DWORD dst_unused:UNUSED_PAD src0_sel:BYTE_3 src1_sel:DWORD
	v_mov_b32_e32 v25, v13
	v_mov_b32_e32 v24, v12
	v_cmpx_gt_u32_e32 8, v71
	s_cbranch_execz .LBB368_6
; %bb.1030:                             ;   in Loop: Header=BB368_10 Depth=1
	v_ffbh_u32_e32 v16, v12
	v_min_u32_e32 v16, 32, v16
	v_subrev_nc_u32_e32 v24, 28, v16
	v_sub_nc_u32_e32 v16, 29, v16
	v_lshlrev_b64 v[24:25], v24, v[12:13]
	v_and_b32_e32 v24, 7, v24
	s_branch .LBB368_6
.LBB368_1031:
	s_or_b32 exec_lo, exec_lo, s17
	s_clause 0xc
	buffer_load_dword v12, off, s[0:3], s32 offset:844
	buffer_load_dword v11, off, s[0:3], s32 offset:864
	;; [unrolled: 1-line block ×13, first 2 shown]
.LBB368_1032:
	s_or_b32 exec_lo, exec_lo, s15
	v_mbcnt_lo_u32_b32 v0, -1, 0
	v_max_f32_e32 v4, v7, v7
	s_lshr_b32 s8, s7, 16
	v_xor_b32_e32 v1, 16, v0
	v_xor_b32_e32 v3, 8, v0
	v_cmp_gt_i32_e32 vcc_lo, 32, v1
	v_cndmask_b32_e32 v1, v0, v1, vcc_lo
	v_cmp_gt_i32_e32 vcc_lo, 32, v3
	v_lshlrev_b32_e32 v1, 2, v1
	v_cndmask_b32_e32 v3, v0, v3, vcc_lo
	ds_bpermute_b32 v2, v1, v7
	s_waitcnt lgkmcnt(0)
	v_max_f32_e32 v5, v2, v2
	v_lshlrev_b32_e32 v2, 2, v3
	v_max_f32_e32 v4, v4, v5
	v_xor_b32_e32 v5, 4, v0
	ds_bpermute_b32 v3, v2, v4
	v_cmp_gt_i32_e32 vcc_lo, 32, v5
	v_cndmask_b32_e32 v5, v0, v5, vcc_lo
	s_waitcnt lgkmcnt(0)
	v_max_f32_e32 v6, v3, v3
	v_lshlrev_b32_e32 v3, 2, v5
	v_max_f32_e32 v4, v4, v6
	v_xor_b32_e32 v6, 2, v0
	ds_bpermute_b32 v5, v3, v4
	v_cmp_gt_i32_e32 vcc_lo, 32, v6
	v_cndmask_b32_e32 v6, v0, v6, vcc_lo
	v_lshlrev_b32_e32 v15, 2, v6
	v_xor_b32_e32 v6, 1, v0
	v_cmp_gt_i32_e32 vcc_lo, 32, v6
	s_waitcnt lgkmcnt(0)
	v_max_f32_e32 v5, v5, v5
	v_cndmask_b32_e32 v6, v0, v6, vcc_lo
	v_max_f32_e32 v4, v4, v5
	v_lshlrev_b32_e32 v18, 2, v6
	ds_bpermute_b32 v5, v15, v4
	s_waitcnt lgkmcnt(0)
	v_max_f32_e32 v5, v5, v5
	v_max_f32_e32 v0, v4, v5
	buffer_load_dword v4, off, s[0:3], s32 offset:848 ; 4-byte Folded Reload
	ds_bpermute_b32 v5, v18, v0
	s_waitcnt vmcnt(0)
	v_cmp_eq_u32_e32 vcc_lo, 0, v4
	buffer_load_dword v4, off, s[0:3], s32 offset:852 ; 4-byte Folded Reload
	s_waitcnt vmcnt(0)
	v_lshlrev_b32_e32 v4, 2, v4
	s_and_saveexec_b32 s5, vcc_lo
	s_cbranch_execz .LBB368_1034
; %bb.1033:
	s_waitcnt lgkmcnt(0)
	v_max_f32_e32 v5, v5, v5
	v_max_f32_e32 v0, v0, v0
	;; [unrolled: 1-line block ×3, first 2 shown]
	ds_write_b32 v4, v0 offset:256
.LBB368_1034:
	s_or_b32 exec_lo, exec_lo, s5
	buffer_load_dword v0, off, s[0:3], s32 offset:848 ; 4-byte Folded Reload
	s_waitcnt vmcnt(0) lgkmcnt(0)
	s_waitcnt_vscnt null, 0x0
	s_barrier
	buffer_gl0_inv
	v_cmp_gt_u32_e64 s5, 4, v0
	v_mov_b32_e32 v0, 0xff7fffff
	s_and_saveexec_b32 s6, s5
; %bb.1035:
	ds_read_b32 v0, v27 offset:256
; %bb.1036:
	s_or_b32 exec_lo, exec_lo, s6
	s_waitcnt lgkmcnt(0)
	ds_bpermute_b32 v5, v15, v0
	v_max_f32_e32 v0, v0, v0
	v_mov_b32_e32 v6, 0
	buffer_load_dword v7, off, s[0:3], s32 offset:192 ; 4-byte Folded Reload
	s_waitcnt lgkmcnt(0)
	v_max_f32_e32 v5, v5, v5
	v_max_f32_e32 v0, v0, v5
	ds_bpermute_b32 v5, v18, v0
	s_waitcnt lgkmcnt(0)
	v_max_f32_e32 v5, v5, v5
	v_max_f32_e32 v0, v0, v5
	ds_bpermute_b32 v5, v6, v0
	buffer_load_dword v0, off, s[0:3], s32 offset:196 ; 4-byte Folded Reload
	s_waitcnt vmcnt(0)
	v_lshlrev_b32_e32 v0, 5, v0
	v_min_i32_e32 v0, v0, v7
	v_cmp_lt_i32_e64 s6, v12, v0
	s_and_saveexec_b32 s9, s6
	s_cbranch_execz .LBB368_1040
; %bb.1037:
	s_getpc_b64 s[18:19]
	s_add_u32 s18, s18, llvm.amdgcn.dynlds.offset.table@rel32@lo+4
	s_addc_u32 s19, s19, llvm.amdgcn.dynlds.offset.table@rel32@hi+12
	s_ashr_i32 s17, s16, 31
	v_mov_b32_e32 v6, 0
	s_lshl_b64 s[20:21], s[16:17], 2
	v_mov_b32_e32 v8, v12
	s_add_u32 s18, s18, s20
	s_addc_u32 s19, s19, s21
	s_mov_b32 s15, 0
	s_load_dword s7, s[18:19], 0x0
	s_waitcnt lgkmcnt(0)
	v_lshl_add_u32 v7, v12, 2, s7
	.p2align	6
.LBB368_1038:                           ; =>This Inner Loop Header: Depth=1
	ds_read_b32 v9, v7
	v_add_nc_u32_e32 v8, 0x80, v8
	v_cmp_ge_i32_e64 s7, v8, v0
	s_or_b32 s15, s7, s15
	s_waitcnt lgkmcnt(0)
	v_sub_f32_e32 v9, v9, v5
	v_mul_f32_e32 v9, 0x3fb8aa3b, v9
	v_exp_f32_e32 v9, v9
	ds_write_b32 v7, v9
	v_add_f32_e32 v6, v6, v9
	v_add_nc_u32_e32 v7, 0x200, v7
	s_andn2_b32 exec_lo, exec_lo, s15
	s_cbranch_execnz .LBB368_1038
; %bb.1039:
	s_or_b32 exec_lo, exec_lo, s15
.LBB368_1040:
	s_or_b32 exec_lo, exec_lo, s9
	ds_bpermute_b32 v1, v1, v6
	s_waitcnt lgkmcnt(0)
	v_add_f32_e32 v1, v6, v1
	ds_bpermute_b32 v2, v2, v1
	s_waitcnt lgkmcnt(0)
	v_add_f32_e32 v1, v1, v2
	;; [unrolled: 3-line block ×5, first 2 shown]
	s_and_saveexec_b32 s7, vcc_lo
; %bb.1041:
	ds_write_b32 v4, v1 offset:272
; %bb.1042:
	s_or_b32 exec_lo, exec_lo, s7
	s_waitcnt lgkmcnt(0)
	s_barrier
	buffer_gl0_inv
	s_and_saveexec_b32 s7, s5
; %bb.1043:
	ds_read_b32 v1, v27 offset:272
; %bb.1044:
	s_or_b32 exec_lo, exec_lo, s7
	s_waitcnt lgkmcnt(0)
	ds_bpermute_b32 v2, v15, v1
	s_waitcnt lgkmcnt(0)
	v_add_f32_e32 v1, v1, v2
	ds_bpermute_b32 v2, v18, v1
	s_waitcnt lgkmcnt(0)
	v_add_f32_e32 v1, v1, v2
	v_mov_b32_e32 v2, 0
	ds_bpermute_b32 v1, v2, v1
	s_and_saveexec_b32 s5, s6
	s_cbranch_execz .LBB368_1047
; %bb.1045:
	s_waitcnt lgkmcnt(0)
	v_add_f32_e32 v2, 0x358637bd, v1
	s_getpc_b64 s[6:7]
	s_add_u32 s6, s6, llvm.amdgcn.dynlds.offset.table@rel32@lo+4
	s_addc_u32 s7, s7, llvm.amdgcn.dynlds.offset.table@rel32@hi+12
	s_ashr_i32 s17, s16, 31
	s_lshl_b64 s[18:19], s[16:17], 2
	v_div_scale_f32 v1, null, v2, v2, 1.0
	v_div_scale_f32 v5, vcc_lo, 1.0, v2, 1.0
	s_add_u32 s6, s6, s18
	v_rcp_f32_e32 v3, v1
	s_addc_u32 s7, s7, s19
	s_load_dword s6, s[6:7], 0x0
	v_fma_f32 v4, -v1, v3, 1.0
	v_fmac_f32_e32 v3, v4, v3
	v_mul_f32_e32 v4, v5, v3
	v_fma_f32 v6, -v1, v4, v5
	v_fmac_f32_e32 v4, v6, v3
	v_fma_f32 v1, -v1, v4, v5
	v_div_fmas_f32 v3, v1, v3, v4
	s_waitcnt lgkmcnt(0)
	v_lshl_add_u32 v1, v12, 2, s6
	s_mov_b32 s6, 0
	v_div_fixup_f32 v2, v3, v2, 1.0
	v_mov_b32_e32 v3, v12
.LBB368_1046:                           ; =>This Inner Loop Header: Depth=1
	ds_read_b32 v4, v1
	v_add_nc_u32_e32 v3, 0x80, v3
	v_cmp_ge_i32_e32 vcc_lo, v3, v0
	s_or_b32 s6, vcc_lo, s6
	s_waitcnt lgkmcnt(0)
	v_mul_f32_e32 v4, v2, v4
	ds_write_b32 v1, v4
	v_add_nc_u32_e32 v1, 0x200, v1
	s_andn2_b32 exec_lo, exec_lo, s6
	s_cbranch_execnz .LBB368_1046
.LBB368_1047:
	s_or_b32 exec_lo, exec_lo, s5
	s_waitcnt lgkmcnt(0)
	s_barrier
	buffer_gl0_inv
	s_and_saveexec_b32 s5, s4
	s_xor_b32 s4, exec_lo, s5
; %bb.1048:
	s_ashr_i32 s17, s16, 31
                                        ; implicit-def: $vgpr0
                                        ; kill: killed $vgpr0
                                        ; implicit-def: $vgpr0
                                        ; kill: killed $vgpr0
                                        ; implicit-def: $vgpr21
                                        ; implicit-def: $vgpr20
                                        ; implicit-def: $vgpr10
                                        ; implicit-def: $vgpr11
                                        ; implicit-def: $vgpr0
                                        ; kill: killed $vgpr0
                                        ; implicit-def: $vgpr22_vgpr23
                                        ; implicit-def: $vgpr28
                                        ; implicit-def: $vgpr29
                                        ; implicit-def: $vgpr26
                                        ; implicit-def: $vgpr24_vgpr25
; %bb.1049:
	s_or_saveexec_b32 s5, s4
	v_mov_b32_e32 v4, s16
	v_mov_b32_e32 v52, 0
	;; [unrolled: 1-line block ×3, first 2 shown]
	v_and_b32_e32 v65, 3, v12
	v_mov_b32_e32 v55, 0
	v_mov_b32_e32 v54, 0
	;; [unrolled: 1-line block ×15, first 2 shown]
	s_xor_b32 exec_lo, exec_lo, s5
	s_cbranch_execz .LBB368_2109
; %bb.1050:
	v_lshlrev_b32_e32 v0, 3, v12
	v_add_co_u32 v2, vcc_lo, v21, v28
	v_add_co_ci_u32_e64 v3, null, v20, v29, vcc_lo
	v_and_b32_e32 v1, 24, v0
	v_and_b32_e32 v0, 0xf8, v0
	s_getpc_b64 s[6:7]
	s_add_u32 s6, s6, llvm.amdgcn.dynlds.offset.table@rel32@lo+4
	s_addc_u32 s7, s7, llvm.amdgcn.dynlds.offset.table@rel32@hi+12
	s_ashr_i32 s17, s16, 31
	buffer_store_dword v15, off, s[0:3], s32 offset:412 ; 4-byte Folded Spill
	buffer_store_dword v18, off, s[0:3], s32 offset:408 ; 4-byte Folded Spill
	s_lshl_b64 s[18:19], s[16:17], 2
	v_add_co_u32 v2, vcc_lo, v2, v0
	v_add_co_ci_u32_e64 v3, null, 0, v3, vcc_lo
	s_add_u32 s6, s6, s18
	s_addc_u32 s7, s7, s19
	flat_load_dword v64, v[22:23]
	s_load_dword s4, s[6:7], 0x0
	buffer_store_dword v2, off, s[0:3], s32 offset:400 ; 4-byte Folded Spill
	buffer_store_dword v3, off, s[0:3], s32 offset:404 ; 4-byte Folded Spill
	;; [unrolled: 1-line block ×3, first 2 shown]
	buffer_load_dword v80, off, s[0:3], s32 offset:852 ; 4-byte Folded Reload
	v_and_b32_e32 v4, 0x7c, v26
	v_lshlrev_b32_e32 v0, 5, v65
	v_mov_b32_e32 v12, 0
	v_mov_b32_e32 v67, 0x80
	;; [unrolled: 1-line block ×3, first 2 shown]
	v_add_co_u32 v2, vcc_lo, v4, v24
	v_add_co_ci_u32_e64 v3, null, 0, v25, vcc_lo
	v_mov_b32_e32 v69, 0xff
	v_add_co_u32 v15, vcc_lo, v10, v2
	v_add_co_ci_u32_e64 v16, null, v11, v3, vcc_lo
	v_mov_b32_e32 v27, 0
	v_mov_b32_e32 v33, 0
	;; [unrolled: 1-line block ×16, first 2 shown]
	s_mov_b32 s6, -1
	s_mov_b32 s7, 0xffffff
	s_mov_b32 s9, 0
	s_waitcnt vmcnt(0)
	v_lshlrev_b32_e32 v4, 5, v80
	v_lshl_or_b32 v0, v80, 7, v0
	v_or3_b32 v65, v4, v1, 7
	s_waitcnt lgkmcnt(0)
	v_add_nc_u32_e32 v66, s4, v0
	s_branch .LBB368_1052
.LBB368_1051:                           ;   in Loop: Header=BB368_1052 Depth=1
	s_or_b32 exec_lo, exec_lo, s4
	v_bfe_u32 v99, v6, 16, 1
	v_or_b32_e32 v57, 0x400000, v6
	v_cmp_u_f32_e32 vcc_lo, v6, v6
	v_lshlrev_b32_e32 v44, 16, v44
	v_lshlrev_b32_e32 v45, 16, v45
	v_add3_u32 v99, v99, v6, 0x7fff
	v_lshlrev_b32_e32 v42, 16, v42
	v_lshlrev_b32_e32 v43, 16, v43
	;; [unrolled: 1-line block ×4, first 2 shown]
	v_cndmask_b32_e32 v6, v99, v57, vcc_lo
	v_bfe_u32 v99, v7, 16, 1
	v_or_b32_e32 v57, 0x400000, v7
	v_cmp_u_f32_e32 vcc_lo, v7, v7
	v_lshlrev_b32_e32 v71, 16, v71
	v_lshlrev_b32_e32 v117, 16, v117
	v_add3_u32 v99, v99, v7, 0x7fff
	v_lshlrev_b32_e32 v118, 16, v118
	v_lshlrev_b32_e32 v70, 16, v70
	;; [unrolled: 1-line block ×4, first 2 shown]
	v_cndmask_b32_e32 v7, v99, v57, vcc_lo
	v_bfe_u32 v99, v8, 16, 1
	v_or_b32_e32 v57, 0x400000, v8
	v_cmp_u_f32_e32 vcc_lo, v8, v8
	v_lshlrev_b32_e32 v32, 16, v32
	v_lshlrev_b32_e32 v85, 16, v85
	v_add3_u32 v99, v99, v8, 0x7fff
	v_bfe_u32 v8, v9, 16, 1
	v_lshlrev_b32_e32 v86, 16, v86
	v_lshlrev_b32_e32 v25, 16, v25
	;; [unrolled: 1-line block ×3, first 2 shown]
	v_cndmask_b32_e32 v99, v99, v57, vcc_lo
	v_add3_u32 v8, v8, v9, 0x7fff
	v_or_b32_e32 v57, 0x400000, v9
	v_cmp_u_f32_e32 vcc_lo, v9, v9
	v_or_b32_e32 v9, 0x400000, v2
	v_lshlrev_b32_e32 v14, 16, v14
	v_lshlrev_b32_e32 v17, 16, v17
	;; [unrolled: 1-line block ×3, first 2 shown]
	v_cndmask_b32_e32 v57, v8, v57, vcc_lo
	v_bfe_u32 v8, v2, 16, 1
	v_cmp_u_f32_e32 vcc_lo, v2, v2
	v_lshlrev_b32_e32 v18, 16, v18
	v_lshlrev_b32_e32 v1, 16, v1
	v_lshlrev_b32_e32 v0, 16, v0
	v_add3_u32 v8, v8, v2, 0x7fff
	v_add_nc_u32_e32 v80, 4, v80
	v_add_nc_u32_e32 v65, 0x80, v65
	;; [unrolled: 1-line block ×3, first 2 shown]
	v_cndmask_b32_e32 v2, v8, v9, vcc_lo
	v_bfe_u32 v8, v3, 16, 1
	v_or_b32_e32 v9, 0x400000, v3
	v_cmp_u_f32_e32 vcc_lo, v3, v3
	v_add3_u32 v8, v8, v3, 0x7fff
	v_cndmask_b32_e32 v3, v8, v9, vcc_lo
	v_bfe_u32 v8, v4, 16, 1
	v_or_b32_e32 v9, 0x400000, v4
	v_cmp_u_f32_e32 vcc_lo, v4, v4
	v_add3_u32 v8, v8, v4, 0x7fff
	v_bfe_u32 v4, v5, 16, 1
	v_cndmask_b32_e32 v58, v8, v9, vcc_lo
	v_add3_u32 v4, v4, v5, 0x7fff
	v_or_b32_e32 v8, 0x400000, v5
	v_cmp_u_f32_e32 vcc_lo, v5, v5
	v_and_b32_e32 v9, 0xffff0000, v6
	v_cndmask_b32_e32 v59, v4, v8, vcc_lo
	v_and_b32_e32 v8, 0xffff0000, v7
	v_lshlrev_b32_e32 v4, 16, v77
	v_mul_f32_e32 v71, v9, v71
	v_mul_f32_e32 v0, v9, v0
	;; [unrolled: 1-line block ×6, first 2 shown]
	v_bfe_u32 v5, v4, 16, 1
	v_or_b32_e32 v7, 0x400000, v4
	v_cmp_u_f32_e32 vcc_lo, v4, v4
	v_add3_u32 v5, v5, v4, 0x7fff
	v_lshlrev_b32_e32 v4, 16, v79
	v_cndmask_b32_e32 v60, v5, v7, vcc_lo
	v_mul_f32_e32 v4, v9, v4
	v_and_b32_e32 v60, 0xffff0000, v60
	v_bfe_u32 v5, v4, 16, 1
	v_or_b32_e32 v6, 0x400000, v4
	v_cmp_u_f32_e32 vcc_lo, v4, v4
	v_add3_u32 v5, v5, v4, 0x7fff
	v_lshlrev_b32_e32 v4, 16, v75
	v_cndmask_b32_e32 v61, v5, v6, vcc_lo
	v_and_b32_e32 v6, 0xffff0000, v57
	v_and_b32_e32 v61, 0xffff0000, v61
	v_mul_f32_e32 v4, v6, v4
	v_mul_f32_e32 v44, v6, v44
	v_mul_f32_e32 v25, v6, v25
	v_add_f32_e32 v60, v61, v60
	v_bfe_u32 v5, v4, 16, 1
	v_or_b32_e32 v7, 0x400000, v4
	v_cmp_u_f32_e32 vcc_lo, v4, v4
	v_add3_u32 v5, v5, v4, 0x7fff
	v_lshlrev_b32_e32 v4, 16, v76
	v_cndmask_b32_e32 v57, v5, v7, vcc_lo
	v_and_b32_e32 v7, 0xffff0000, v99
	v_and_b32_e32 v57, 0xffff0000, v57
	v_mul_f32_e32 v4, v7, v4
	v_mul_f32_e32 v45, v7, v45
	;; [unrolled: 1-line block ×3, first 2 shown]
	v_bfe_u32 v5, v4, 16, 1
	v_or_b32_e32 v99, 0x400000, v4
	v_cmp_u_f32_e32 vcc_lo, v4, v4
	v_add3_u32 v5, v5, v4, 0x7fff
	v_and_b32_e32 v4, 0xffff0000, v3
	v_lshlrev_b32_e32 v3, 16, v73
	v_cndmask_b32_e32 v99, v5, v99, vcc_lo
	v_mul_f32_e32 v42, v4, v42
	v_mul_f32_e32 v3, v4, v3
	;; [unrolled: 1-line block ×4, first 2 shown]
	v_and_b32_e32 v99, 0xffff0000, v99
	v_mul_f32_e32 v85, v4, v85
	v_bfe_u32 v5, v3, 16, 1
	v_or_b32_e32 v62, 0x400000, v3
	v_cmp_u_f32_e32 vcc_lo, v3, v3
	v_add_f32_e32 v99, v99, v57
	v_mul_f32_e32 v14, v4, v14
	v_add3_u32 v5, v5, v3, 0x7fff
	v_mul_f32_e32 v18, v4, v18
	v_add_f32_e32 v99, v60, v99
	v_cndmask_b32_e32 v62, v5, v62, vcc_lo
	v_and_b32_e32 v5, 0xffff0000, v2
	v_lshlrev_b32_e32 v2, 16, v74
	v_and_b32_e32 v60, 0xffff0000, v62
	v_mul_f32_e32 v43, v5, v43
	v_mul_f32_e32 v2, v5, v2
	;; [unrolled: 1-line block ×6, first 2 shown]
	v_bfe_u32 v3, v2, 16, 1
	v_or_b32_e32 v63, 0x400000, v2
	v_cmp_u_f32_e32 vcc_lo, v2, v2
	v_add3_u32 v3, v3, v2, 0x7fff
	v_and_b32_e32 v2, 0xffff0000, v59
	v_cndmask_b32_e32 v63, v3, v63, vcc_lo
	v_lshlrev_b32_e32 v3, 16, v88
	v_mul_f32_e32 v13, v2, v13
	v_and_b32_e32 v57, 0xffff0000, v63
	v_mul_f32_e32 v3, v2, v3
	v_add_f32_e32 v57, v57, v60
	v_bfe_u32 v59, v3, 16, 1
	v_or_b32_e32 v73, 0x400000, v3
	v_cmp_u_f32_e32 vcc_lo, v3, v3
	v_add_f32_e32 v99, v99, v57
	v_add3_u32 v59, v59, v3, 0x7fff
	v_and_b32_e32 v3, 0xffff0000, v58
	v_lshlrev_b32_e32 v58, 16, v78
	v_cndmask_b32_e32 v59, v59, v73, vcc_lo
	v_mul_f32_e32 v47, v3, v47
	v_mul_f32_e32 v58, v3, v58
	;; [unrolled: 1-line block ×3, first 2 shown]
	v_bfe_u32 v73, v58, 16, 1
	v_or_b32_e32 v74, 0x400000, v58
	v_cmp_u_f32_e32 vcc_lo, v58, v58
	v_add3_u32 v73, v73, v58, 0x7fff
	v_cndmask_b32_e32 v58, v73, v74, vcc_lo
	v_and_b32_e32 v57, 0xffff0000, v58
	v_and_b32_e32 v58, 0xffff0000, v59
	v_add_f32_e32 v57, v57, v58
	v_add_f32_e32 v99, v99, v57
	;; [unrolled: 1-line block ×3, first 2 shown]
	v_lshlrev_b32_e32 v99, 16, v46
	v_mul_f32_e32 v99, v8, v99
	v_bfe_u32 v46, v99, 16, 1
	v_or_b32_e32 v57, 0x400000, v99
	v_cmp_u_f32_e32 vcc_lo, v99, v99
	v_add3_u32 v46, v46, v99, 0x7fff
	v_cndmask_b32_e32 v99, v46, v57, vcc_lo
	v_lshlrev_b32_e32 v46, 16, v56
	v_and_b32_e32 v99, 0xffff0000, v99
	v_mul_f32_e32 v46, v9, v46
	v_bfe_u32 v56, v46, 16, 1
	v_or_b32_e32 v57, 0x400000, v46
	v_cmp_u_f32_e32 vcc_lo, v46, v46
	v_add3_u32 v56, v56, v46, 0x7fff
	v_cndmask_b32_e32 v46, v56, v57, vcc_lo
	v_bfe_u32 v56, v44, 16, 1
	v_or_b32_e32 v57, 0x400000, v44
	v_cmp_u_f32_e32 vcc_lo, v44, v44
	v_and_b32_e32 v46, 0xffff0000, v46
	v_add3_u32 v56, v56, v44, 0x7fff
	v_add_f32_e32 v99, v46, v99
	v_cndmask_b32_e32 v44, v56, v57, vcc_lo
	v_bfe_u32 v56, v45, 16, 1
	v_or_b32_e32 v57, 0x400000, v45
	v_cmp_u_f32_e32 vcc_lo, v45, v45
	v_and_b32_e32 v44, 0xffff0000, v44
	v_add3_u32 v56, v56, v45, 0x7fff
	v_cndmask_b32_e32 v45, v56, v57, vcc_lo
	v_bfe_u32 v56, v42, 16, 1
	v_or_b32_e32 v57, 0x400000, v42
	v_cmp_u_f32_e32 vcc_lo, v42, v42
	v_and_b32_e32 v45, 0xffff0000, v45
	v_add3_u32 v56, v56, v42, 0x7fff
	v_add_f32_e32 v44, v45, v44
	v_cndmask_b32_e32 v42, v56, v57, vcc_lo
	v_bfe_u32 v56, v43, 16, 1
	v_or_b32_e32 v57, 0x400000, v43
	v_cmp_u_f32_e32 vcc_lo, v43, v43
	v_add_f32_e32 v99, v99, v44
	v_and_b32_e32 v42, 0xffff0000, v42
	v_add3_u32 v56, v56, v43, 0x7fff
	v_cndmask_b32_e32 v43, v56, v57, vcc_lo
	v_lshlrev_b32_e32 v56, 16, v72
	v_and_b32_e32 v43, 0xffff0000, v43
	v_mul_f32_e32 v56, v2, v56
	v_add_f32_e32 v42, v43, v42
	v_bfe_u32 v57, v56, 16, 1
	v_or_b32_e32 v58, 0x400000, v56
	v_cmp_u_f32_e32 vcc_lo, v56, v56
	v_add_f32_e32 v99, v99, v42
	v_add3_u32 v57, v57, v56, 0x7fff
	v_cndmask_b32_e32 v56, v57, v58, vcc_lo
	v_bfe_u32 v57, v47, 16, 1
	v_or_b32_e32 v58, 0x400000, v47
	v_cmp_u_f32_e32 vcc_lo, v47, v47
	v_and_b32_e32 v43, 0xffff0000, v56
	v_add3_u32 v57, v57, v47, 0x7fff
	v_cndmask_b32_e32 v47, v57, v58, vcc_lo
	v_cmp_u_f32_e32 vcc_lo, v68, v68
	v_and_b32_e32 v42, 0xffff0000, v47
	v_add_f32_e32 v42, v42, v43
	v_add_f32_e32 v99, v99, v42
	v_or_b32_e32 v42, 0x400000, v68
	v_add_f32_e32 v34, v34, v99
	v_bfe_u32 v99, v68, 16, 1
	v_add3_u32 v99, v99, v68, 0x7fff
	v_cndmask_b32_e32 v68, v99, v42, vcc_lo
	v_bfe_u32 v99, v71, 16, 1
	v_or_b32_e32 v42, 0x400000, v71
	v_cmp_u_f32_e32 vcc_lo, v71, v71
	v_and_b32_e32 v68, 0xffff0000, v68
	v_add3_u32 v99, v99, v71, 0x7fff
	v_cndmask_b32_e32 v71, v99, v42, vcc_lo
	v_lshlrev_b32_e32 v99, 16, v119
	v_and_b32_e32 v71, 0xffff0000, v71
	v_mul_f32_e32 v99, v6, v99
	v_add_f32_e32 v68, v71, v68
	v_bfe_u32 v119, v99, 16, 1
	v_or_b32_e32 v42, 0x400000, v99
	v_cmp_u_f32_e32 vcc_lo, v99, v99
	v_add3_u32 v119, v119, v99, 0x7fff
	v_cndmask_b32_e32 v99, v119, v42, vcc_lo
	v_lshlrev_b32_e32 v119, 16, v40
	v_and_b32_e32 v99, 0xffff0000, v99
	v_mul_f32_e32 v119, v7, v119
	v_bfe_u32 v40, v119, 16, 1
	v_or_b32_e32 v42, 0x400000, v119
	v_cmp_u_f32_e32 vcc_lo, v119, v119
	v_add3_u32 v40, v40, v119, 0x7fff
	v_cndmask_b32_e32 v119, v40, v42, vcc_lo
	v_bfe_u32 v40, v117, 16, 1
	v_or_b32_e32 v42, 0x400000, v117
	v_cmp_u_f32_e32 vcc_lo, v117, v117
	v_and_b32_e32 v71, 0xffff0000, v119
	v_add3_u32 v40, v40, v117, 0x7fff
	v_add_f32_e32 v71, v71, v99
	v_cndmask_b32_e32 v117, v40, v42, vcc_lo
	v_bfe_u32 v40, v118, 16, 1
	v_or_b32_e32 v42, 0x400000, v118
	v_cmp_u_f32_e32 vcc_lo, v118, v118
	v_add_f32_e32 v68, v68, v71
	v_and_b32_e32 v99, 0xffff0000, v117
	v_add3_u32 v40, v40, v118, 0x7fff
	v_cndmask_b32_e32 v118, v40, v42, vcc_lo
	v_lshlrev_b32_e32 v40, 16, v41
	v_and_b32_e32 v71, 0xffff0000, v118
	v_mul_f32_e32 v40, v2, v40
	v_add_f32_e32 v71, v71, v99
	v_bfe_u32 v41, v40, 16, 1
	v_or_b32_e32 v42, 0x400000, v40
	v_cmp_u_f32_e32 vcc_lo, v40, v40
	v_add_f32_e32 v68, v68, v71
	v_add3_u32 v41, v41, v40, 0x7fff
	v_cndmask_b32_e32 v40, v41, v42, vcc_lo
	v_bfe_u32 v41, v70, 16, 1
	v_or_b32_e32 v42, 0x400000, v70
	v_cmp_u_f32_e32 vcc_lo, v70, v70
	v_and_b32_e32 v71, 0xffff0000, v40
	v_add3_u32 v41, v41, v70, 0x7fff
	v_cndmask_b32_e32 v70, v41, v42, vcc_lo
	v_and_b32_e32 v70, 0xffff0000, v70
	v_add_f32_e32 v70, v70, v71
	v_add_f32_e32 v68, v68, v70
	v_add_f32_e32 v35, v35, v68
	v_lshlrev_b32_e32 v68, 16, v113
	v_mul_f32_e32 v68, v8, v68
	v_bfe_u32 v70, v68, 16, 1
	v_or_b32_e32 v71, 0x400000, v68
	v_cmp_u_f32_e32 vcc_lo, v68, v68
	v_add3_u32 v70, v70, v68, 0x7fff
	v_cndmask_b32_e32 v68, v70, v71, vcc_lo
	v_lshlrev_b32_e32 v70, 16, v115
	v_and_b32_e32 v68, 0xffff0000, v68
	v_mul_f32_e32 v70, v9, v70
	v_bfe_u32 v71, v70, 16, 1
	v_or_b32_e32 v99, 0x400000, v70
	v_cmp_u_f32_e32 vcc_lo, v70, v70
	v_add3_u32 v71, v71, v70, 0x7fff
	v_cndmask_b32_e32 v70, v71, v99, vcc_lo
	v_lshlrev_b32_e32 v71, 16, v103
	v_and_b32_e32 v70, 0xffff0000, v70
	v_mul_f32_e32 v71, v6, v71
	v_add_f32_e32 v68, v70, v68
	v_bfe_u32 v99, v71, 16, 1
	v_or_b32_e32 v103, 0x400000, v71
	v_cmp_u_f32_e32 vcc_lo, v71, v71
	v_add3_u32 v99, v99, v71, 0x7fff
	v_cndmask_b32_e32 v71, v99, v103, vcc_lo
	v_lshlrev_b32_e32 v99, 16, v112
	v_and_b32_e32 v71, 0xffff0000, v71
	v_mul_f32_e32 v99, v7, v99
	v_bfe_u32 v103, v99, 16, 1
	v_or_b32_e32 v112, 0x400000, v99
	v_cmp_u_f32_e32 vcc_lo, v99, v99
	v_add3_u32 v103, v103, v99, 0x7fff
	v_cndmask_b32_e32 v99, v103, v112, vcc_lo
	v_bfe_u32 v103, v101, 16, 1
	v_or_b32_e32 v112, 0x400000, v101
	v_cmp_u_f32_e32 vcc_lo, v101, v101
	v_and_b32_e32 v70, 0xffff0000, v99
	v_add3_u32 v103, v103, v101, 0x7fff
	v_add_f32_e32 v70, v70, v71
	v_cndmask_b32_e32 v101, v103, v112, vcc_lo
	v_bfe_u32 v103, v102, 16, 1
	v_or_b32_e32 v112, 0x400000, v102
	v_cmp_u_f32_e32 vcc_lo, v102, v102
	v_add_f32_e32 v68, v68, v70
	v_and_b32_e32 v71, 0xffff0000, v101
	v_add3_u32 v103, v103, v102, 0x7fff
	v_cndmask_b32_e32 v102, v103, v112, vcc_lo
	v_lshlrev_b32_e32 v103, 16, v116
	v_and_b32_e32 v70, 0xffff0000, v102
	v_mul_f32_e32 v103, v2, v103
	v_add_f32_e32 v70, v70, v71
	v_bfe_u32 v112, v103, 16, 1
	v_or_b32_e32 v113, 0x400000, v103
	v_cmp_u_f32_e32 vcc_lo, v103, v103
	v_add_f32_e32 v68, v68, v70
	v_add3_u32 v112, v112, v103, 0x7fff
	v_cndmask_b32_e32 v103, v112, v113, vcc_lo
	v_lshlrev_b32_e32 v112, 16, v114
	v_and_b32_e32 v71, 0xffff0000, v103
	v_mul_f32_e32 v112, v3, v112
	v_bfe_u32 v113, v112, 16, 1
	v_or_b32_e32 v114, 0x400000, v112
	v_cmp_u_f32_e32 vcc_lo, v112, v112
	v_add3_u32 v113, v113, v112, 0x7fff
	v_cndmask_b32_e32 v112, v113, v114, vcc_lo
	v_cmp_u_f32_e32 vcc_lo, v32, v32
	v_and_b32_e32 v70, 0xffff0000, v112
	v_add_f32_e32 v70, v70, v71
	v_add_f32_e32 v68, v68, v70
	v_or_b32_e32 v70, 0x400000, v32
	v_add_f32_e32 v36, v36, v68
	v_bfe_u32 v68, v32, 16, 1
	v_add3_u32 v68, v68, v32, 0x7fff
	v_cndmask_b32_e32 v32, v68, v70, vcc_lo
	v_lshlrev_b32_e32 v68, 16, v97
	v_and_b32_e32 v32, 0xffff0000, v32
	v_mul_f32_e32 v68, v9, v68
	v_bfe_u32 v70, v68, 16, 1
	v_or_b32_e32 v71, 0x400000, v68
	v_cmp_u_f32_e32 vcc_lo, v68, v68
	v_add3_u32 v70, v70, v68, 0x7fff
	v_cndmask_b32_e32 v68, v70, v71, vcc_lo
	v_lshlrev_b32_e32 v70, 16, v87
	v_and_b32_e32 v68, 0xffff0000, v68
	v_mul_f32_e32 v70, v6, v70
	v_add_f32_e32 v32, v68, v32
	v_bfe_u32 v71, v70, 16, 1
	v_or_b32_e32 v87, 0x400000, v70
	v_cmp_u_f32_e32 vcc_lo, v70, v70
	v_add3_u32 v71, v71, v70, 0x7fff
	v_cndmask_b32_e32 v70, v71, v87, vcc_lo
	v_lshlrev_b32_e32 v71, 16, v96
	v_and_b32_e32 v70, 0xffff0000, v70
	v_mul_f32_e32 v71, v7, v71
	v_bfe_u32 v87, v71, 16, 1
	v_or_b32_e32 v96, 0x400000, v71
	v_cmp_u_f32_e32 vcc_lo, v71, v71
	v_add3_u32 v87, v87, v71, 0x7fff
	v_cndmask_b32_e32 v71, v87, v96, vcc_lo
	v_bfe_u32 v87, v85, 16, 1
	v_or_b32_e32 v96, 0x400000, v85
	v_cmp_u_f32_e32 vcc_lo, v85, v85
	v_and_b32_e32 v68, 0xffff0000, v71
	v_add3_u32 v87, v87, v85, 0x7fff
	v_add_f32_e32 v68, v68, v70
	v_cndmask_b32_e32 v85, v87, v96, vcc_lo
	v_bfe_u32 v87, v86, 16, 1
	v_or_b32_e32 v96, 0x400000, v86
	v_cmp_u_f32_e32 vcc_lo, v86, v86
	v_add_f32_e32 v32, v32, v68
	v_and_b32_e32 v70, 0xffff0000, v85
	v_add3_u32 v87, v87, v86, 0x7fff
	v_cndmask_b32_e32 v86, v87, v96, vcc_lo
	v_lshlrev_b32_e32 v87, 16, v100
	v_and_b32_e32 v68, 0xffff0000, v86
	v_mul_f32_e32 v87, v2, v87
	v_add_f32_e32 v68, v68, v70
	v_bfe_u32 v96, v87, 16, 1
	v_or_b32_e32 v97, 0x400000, v87
	v_cmp_u_f32_e32 vcc_lo, v87, v87
	v_add_f32_e32 v32, v32, v68
	v_add3_u32 v96, v96, v87, 0x7fff
	v_cndmask_b32_e32 v87, v96, v97, vcc_lo
	v_lshlrev_b32_e32 v96, 16, v98
	v_and_b32_e32 v70, 0xffff0000, v87
	v_mul_f32_e32 v96, v3, v96
	v_bfe_u32 v97, v96, 16, 1
	v_or_b32_e32 v98, 0x400000, v96
	v_cmp_u_f32_e32 vcc_lo, v96, v96
	v_add3_u32 v97, v97, v96, 0x7fff
	v_cndmask_b32_e32 v96, v97, v98, vcc_lo
	v_and_b32_e32 v68, 0xffff0000, v96
	v_add_f32_e32 v68, v68, v70
	v_add_f32_e32 v32, v32, v68
	;; [unrolled: 1-line block ×3, first 2 shown]
	v_lshlrev_b32_e32 v32, 16, v82
	v_mul_f32_e32 v32, v8, v32
	v_bfe_u32 v68, v32, 16, 1
	v_or_b32_e32 v70, 0x400000, v32
	v_cmp_u_f32_e32 vcc_lo, v32, v32
	v_add3_u32 v68, v68, v32, 0x7fff
	v_cndmask_b32_e32 v32, v68, v70, vcc_lo
	v_lshlrev_b32_e32 v68, 16, v83
	v_and_b32_e32 v32, 0xffff0000, v32
	v_mul_f32_e32 v68, v9, v68
	v_bfe_u32 v70, v68, 16, 1
	v_or_b32_e32 v71, 0x400000, v68
	v_cmp_u_f32_e32 vcc_lo, v68, v68
	v_add3_u32 v70, v70, v68, 0x7fff
	v_cndmask_b32_e32 v68, v70, v71, vcc_lo
	v_bfe_u32 v70, v25, 16, 1
	v_or_b32_e32 v71, 0x400000, v25
	v_cmp_u_f32_e32 vcc_lo, v25, v25
	v_and_b32_e32 v68, 0xffff0000, v68
	v_add3_u32 v70, v70, v25, 0x7fff
	v_add_f32_e32 v32, v68, v32
	v_cndmask_b32_e32 v25, v70, v71, vcc_lo
	v_bfe_u32 v70, v31, 16, 1
	v_or_b32_e32 v71, 0x400000, v31
	v_cmp_u_f32_e32 vcc_lo, v31, v31
	v_and_b32_e32 v25, 0xffff0000, v25
	v_add3_u32 v70, v70, v31, 0x7fff
	v_cndmask_b32_e32 v31, v70, v71, vcc_lo
	v_bfe_u32 v70, v14, 16, 1
	v_or_b32_e32 v71, 0x400000, v14
	v_cmp_u_f32_e32 vcc_lo, v14, v14
	v_and_b32_e32 v31, 0xffff0000, v31
	v_add3_u32 v70, v70, v14, 0x7fff
	v_add_f32_e32 v25, v31, v25
	v_cndmask_b32_e32 v14, v70, v71, vcc_lo
	v_bfe_u32 v70, v17, 16, 1
	v_or_b32_e32 v71, 0x400000, v17
	v_cmp_u_f32_e32 vcc_lo, v17, v17
	v_add_f32_e32 v25, v32, v25
	v_and_b32_e32 v14, 0xffff0000, v14
	v_add3_u32 v70, v70, v17, 0x7fff
	v_cndmask_b32_e32 v17, v70, v71, vcc_lo
	v_lshlrev_b32_e32 v70, 16, v84
	v_and_b32_e32 v17, 0xffff0000, v17
	v_mul_f32_e32 v70, v2, v70
	v_add_f32_e32 v14, v17, v14
	v_bfe_u32 v71, v70, 16, 1
	v_or_b32_e32 v82, 0x400000, v70
	v_cmp_u_f32_e32 vcc_lo, v70, v70
	v_add_f32_e32 v14, v25, v14
	v_add3_u32 v71, v71, v70, 0x7fff
	v_cndmask_b32_e32 v70, v71, v82, vcc_lo
	v_lshlrev_b32_e32 v71, 16, v81
	v_and_b32_e32 v25, 0xffff0000, v70
	v_mul_f32_e32 v71, v3, v71
	v_bfe_u32 v81, v71, 16, 1
	v_or_b32_e32 v82, 0x400000, v71
	v_cmp_u_f32_e32 vcc_lo, v71, v71
	v_add3_u32 v81, v81, v71, 0x7fff
	v_cndmask_b32_e32 v71, v81, v82, vcc_lo
	v_and_b32_e32 v17, 0xffff0000, v71
	v_add_f32_e32 v17, v17, v25
	v_add_f32_e32 v14, v14, v17
	;; [unrolled: 1-line block ×3, first 2 shown]
	v_lshlrev_b32_e32 v14, 16, v127
	v_mul_f32_e32 v14, v8, v14
	v_bfe_u32 v17, v14, 16, 1
	v_or_b32_e32 v25, 0x400000, v14
	v_cmp_u_f32_e32 vcc_lo, v14, v14
	v_add3_u32 v17, v17, v14, 0x7fff
	v_cndmask_b32_e32 v14, v17, v25, vcc_lo
	v_lshlrev_b32_e32 v17, 16, v26
	v_and_b32_e32 v14, 0xffff0000, v14
	v_mul_f32_e32 v17, v9, v17
	v_bfe_u32 v25, v17, 16, 1
	v_or_b32_e32 v26, 0x400000, v17
	v_cmp_u_f32_e32 vcc_lo, v17, v17
	v_add3_u32 v25, v25, v17, 0x7fff
	v_cndmask_b32_e32 v17, v25, v26, vcc_lo
	v_lshlrev_b32_e32 v25, 16, v124
	v_and_b32_e32 v17, 0xffff0000, v17
	v_mul_f32_e32 v25, v6, v25
	v_add_f32_e32 v14, v17, v14
	v_bfe_u32 v26, v25, 16, 1
	v_or_b32_e32 v31, 0x400000, v25
	v_cmp_u_f32_e32 vcc_lo, v25, v25
	v_add3_u32 v26, v26, v25, 0x7fff
	v_cndmask_b32_e32 v25, v26, v31, vcc_lo
	v_lshlrev_b32_e32 v26, 16, v125
	v_and_b32_e32 v25, 0xffff0000, v25
	v_mul_f32_e32 v26, v7, v26
	v_bfe_u32 v31, v26, 16, 1
	v_or_b32_e32 v32, 0x400000, v26
	v_cmp_u_f32_e32 vcc_lo, v26, v26
	v_add3_u32 v31, v31, v26, 0x7fff
	v_cndmask_b32_e32 v26, v31, v32, vcc_lo
	v_lshlrev_b32_e32 v31, 16, v122
	v_and_b32_e32 v17, 0xffff0000, v26
	v_mul_f32_e32 v31, v4, v31
	v_add_f32_e32 v17, v17, v25
	v_bfe_u32 v32, v31, 16, 1
	v_or_b32_e32 v68, 0x400000, v31
	v_cmp_u_f32_e32 vcc_lo, v31, v31
	v_add_f32_e32 v14, v14, v17
	v_add3_u32 v32, v32, v31, 0x7fff
	v_cndmask_b32_e32 v31, v32, v68, vcc_lo
	v_lshlrev_b32_e32 v32, 16, v123
	v_and_b32_e32 v25, 0xffff0000, v31
	v_mul_f32_e32 v32, v5, v32
	v_bfe_u32 v68, v32, 16, 1
	v_or_b32_e32 v70, 0x400000, v32
	v_cmp_u_f32_e32 vcc_lo, v32, v32
	v_add3_u32 v68, v68, v32, 0x7fff
	v_cndmask_b32_e32 v32, v68, v70, vcc_lo
	v_bfe_u32 v68, v13, 16, 1
	v_or_b32_e32 v70, 0x400000, v13
	v_cmp_u_f32_e32 vcc_lo, v13, v13
	v_and_b32_e32 v17, 0xffff0000, v32
	v_add3_u32 v68, v68, v13, 0x7fff
	v_add_f32_e32 v17, v17, v25
	v_cndmask_b32_e32 v13, v68, v70, vcc_lo
	v_lshlrev_b32_e32 v68, 16, v126
	v_add_f32_e32 v14, v14, v17
	v_and_b32_e32 v13, 0xffff0000, v13
	v_mul_f32_e32 v68, v3, v68
	v_bfe_u32 v70, v68, 16, 1
	v_or_b32_e32 v71, 0x400000, v68
	v_cmp_u_f32_e32 vcc_lo, v68, v68
	v_add3_u32 v70, v70, v68, 0x7fff
	v_cndmask_b32_e32 v68, v70, v71, vcc_lo
	v_and_b32_e32 v17, 0xffff0000, v68
	v_add_f32_e32 v13, v17, v13
	v_add_f32_e32 v13, v14, v13
	;; [unrolled: 1-line block ×3, first 2 shown]
	v_lshlrev_b32_e32 v13, 16, v111
	v_mul_f32_e32 v13, v8, v13
	v_bfe_u32 v14, v13, 16, 1
	v_or_b32_e32 v17, 0x400000, v13
	v_cmp_u_f32_e32 vcc_lo, v13, v13
	v_add3_u32 v14, v14, v13, 0x7fff
	v_cndmask_b32_e32 v13, v14, v17, vcc_lo
	v_lshlrev_b32_e32 v14, 16, v120
	v_and_b32_e32 v13, 0xffff0000, v13
	v_mul_f32_e32 v14, v9, v14
	v_bfe_u32 v17, v14, 16, 1
	v_or_b32_e32 v25, 0x400000, v14
	v_cmp_u_f32_e32 vcc_lo, v14, v14
	v_add3_u32 v17, v17, v14, 0x7fff
	v_cndmask_b32_e32 v14, v17, v25, vcc_lo
	v_lshlrev_b32_e32 v17, 16, v29
	v_and_b32_e32 v14, 0xffff0000, v14
	v_mul_f32_e32 v17, v6, v17
	v_add_f32_e32 v13, v14, v13
	v_bfe_u32 v25, v17, 16, 1
	v_or_b32_e32 v26, 0x400000, v17
	v_cmp_u_f32_e32 vcc_lo, v17, v17
	v_add3_u32 v25, v25, v17, 0x7fff
	v_cndmask_b32_e32 v17, v25, v26, vcc_lo
	v_lshlrev_b32_e32 v25, 16, v30
	v_and_b32_e32 v17, 0xffff0000, v17
	v_mul_f32_e32 v25, v7, v25
	v_bfe_u32 v26, v25, 16, 1
	v_or_b32_e32 v29, 0x400000, v25
	v_cmp_u_f32_e32 vcc_lo, v25, v25
	v_add3_u32 v26, v26, v25, 0x7fff
	v_cndmask_b32_e32 v25, v26, v29, vcc_lo
	v_bfe_u32 v26, v18, 16, 1
	v_or_b32_e32 v29, 0x400000, v18
	v_cmp_u_f32_e32 vcc_lo, v18, v18
	v_and_b32_e32 v14, 0xffff0000, v25
	v_add3_u32 v26, v26, v18, 0x7fff
	v_add_f32_e32 v14, v14, v17
	v_cndmask_b32_e32 v18, v26, v29, vcc_lo
	v_lshlrev_b32_e32 v26, 16, v28
	v_add_f32_e32 v13, v13, v14
	v_and_b32_e32 v17, 0xffff0000, v18
	v_mul_f32_e32 v26, v5, v26
	v_bfe_u32 v28, v26, 16, 1
	v_or_b32_e32 v29, 0x400000, v26
	v_cmp_u_f32_e32 vcc_lo, v26, v26
	v_add3_u32 v28, v28, v26, 0x7fff
	v_cndmask_b32_e32 v26, v28, v29, vcc_lo
	v_lshlrev_b32_e32 v28, 16, v121
	v_and_b32_e32 v14, 0xffff0000, v26
	v_mul_f32_e32 v28, v2, v28
	v_add_f32_e32 v14, v14, v17
	v_bfe_u32 v29, v28, 16, 1
	v_or_b32_e32 v30, 0x400000, v28
	v_cmp_u_f32_e32 vcc_lo, v28, v28
	v_add_f32_e32 v13, v13, v14
	v_add3_u32 v29, v29, v28, 0x7fff
	v_cndmask_b32_e32 v28, v29, v30, vcc_lo
	v_lshlrev_b32_e32 v29, 16, v110
	v_and_b32_e32 v17, 0xffff0000, v28
	v_mul_f32_e32 v29, v3, v29
	v_bfe_u32 v30, v29, 16, 1
	v_or_b32_e32 v31, 0x400000, v29
	v_cmp_u_f32_e32 vcc_lo, v29, v29
	v_add3_u32 v30, v30, v29, 0x7fff
	v_cndmask_b32_e32 v29, v30, v31, vcc_lo
	v_cmp_u_f32_e32 vcc_lo, v1, v1
	v_and_b32_e32 v14, 0xffff0000, v29
	v_add_f32_e32 v14, v14, v17
	v_add_f32_e32 v13, v13, v14
	v_or_b32_e32 v14, 0x400000, v1
	v_add_f32_e32 v48, v48, v13
	v_bfe_u32 v13, v1, 16, 1
	v_add3_u32 v13, v13, v1, 0x7fff
	v_cndmask_b32_e32 v1, v13, v14, vcc_lo
	v_bfe_u32 v13, v0, 16, 1
	v_or_b32_e32 v14, 0x400000, v0
	v_cmp_u_f32_e32 vcc_lo, v0, v0
	v_and_b32_e32 v1, 0xffff0000, v1
	v_add3_u32 v13, v13, v0, 0x7fff
	v_cndmask_b32_e32 v0, v13, v14, vcc_lo
	v_lshlrev_b32_e32 v13, 16, v108
	v_and_b32_e32 v0, 0xffff0000, v0
	v_mul_f32_e32 v13, v6, v13
	v_add_f32_e32 v0, v0, v1
	v_bfe_u32 v14, v13, 16, 1
	v_or_b32_e32 v17, 0x400000, v13
	v_cmp_u_f32_e32 vcc_lo, v13, v13
	v_add3_u32 v14, v14, v13, 0x7fff
	v_cndmask_b32_e32 v13, v14, v17, vcc_lo
	v_lshlrev_b32_e32 v14, 16, v109
	v_and_b32_e32 v13, 0xffff0000, v13
	v_mul_f32_e32 v14, v7, v14
	v_bfe_u32 v17, v14, 16, 1
	v_or_b32_e32 v18, 0x400000, v14
	v_cmp_u_f32_e32 vcc_lo, v14, v14
	v_add3_u32 v17, v17, v14, 0x7fff
	v_cndmask_b32_e32 v14, v17, v18, vcc_lo
	v_lshlrev_b32_e32 v17, 16, v105
	v_and_b32_e32 v1, 0xffff0000, v14
	v_mul_f32_e32 v17, v4, v17
	v_add_f32_e32 v1, v1, v13
	v_bfe_u32 v18, v17, 16, 1
	v_or_b32_e32 v25, 0x400000, v17
	v_cmp_u_f32_e32 vcc_lo, v17, v17
	v_add_f32_e32 v0, v0, v1
	v_add3_u32 v18, v18, v17, 0x7fff
	v_cndmask_b32_e32 v17, v18, v25, vcc_lo
	v_lshlrev_b32_e32 v18, 16, v104
	v_and_b32_e32 v13, 0xffff0000, v17
	v_mul_f32_e32 v18, v5, v18
	v_bfe_u32 v25, v18, 16, 1
	v_or_b32_e32 v26, 0x400000, v18
	v_cmp_u_f32_e32 vcc_lo, v18, v18
	v_add3_u32 v25, v25, v18, 0x7fff
	v_cndmask_b32_e32 v18, v25, v26, vcc_lo
	v_lshlrev_b32_e32 v25, 16, v107
	v_and_b32_e32 v1, 0xffff0000, v18
	v_mul_f32_e32 v25, v2, v25
	v_add_f32_e32 v1, v1, v13
	v_bfe_u32 v26, v25, 16, 1
	v_or_b32_e32 v28, 0x400000, v25
	v_cmp_u_f32_e32 vcc_lo, v25, v25
	v_add_f32_e32 v0, v0, v1
	v_add3_u32 v26, v26, v25, 0x7fff
	v_cndmask_b32_e32 v25, v26, v28, vcc_lo
	v_lshlrev_b32_e32 v26, 16, v106
	v_and_b32_e32 v13, 0xffff0000, v25
	v_mul_f32_e32 v26, v3, v26
	v_bfe_u32 v28, v26, 16, 1
	v_or_b32_e32 v29, 0x400000, v26
	v_cmp_u_f32_e32 vcc_lo, v26, v26
	v_add3_u32 v28, v28, v26, 0x7fff
	v_cndmask_b32_e32 v26, v28, v29, vcc_lo
	v_and_b32_e32 v1, 0xffff0000, v26
	v_add_f32_e32 v1, v1, v13
	v_add_f32_e32 v0, v0, v1
	;; [unrolled: 1-line block ×3, first 2 shown]
	v_lshlrev_b32_e32 v0, 16, v95
	v_mul_f32_e32 v0, v8, v0
	v_bfe_u32 v1, v0, 16, 1
	v_or_b32_e32 v13, 0x400000, v0
	v_cmp_u_f32_e32 vcc_lo, v0, v0
	v_add3_u32 v1, v1, v0, 0x7fff
	v_cndmask_b32_e32 v0, v1, v13, vcc_lo
	buffer_load_dword v1, off, s[0:3], s32 offset:392 ; 4-byte Folded Reload
	v_and_b32_e32 v0, 0xffff0000, v0
	s_waitcnt vmcnt(0)
	v_lshlrev_b32_e32 v1, 16, v1
	v_mul_f32_e32 v1, v9, v1
	v_bfe_u32 v13, v1, 16, 1
	v_or_b32_e32 v14, 0x400000, v1
	v_cmp_u_f32_e32 vcc_lo, v1, v1
	v_add3_u32 v13, v13, v1, 0x7fff
	v_cndmask_b32_e32 v1, v13, v14, vcc_lo
	buffer_load_dword v13, off, s[0:3], s32 offset:384 ; 4-byte Folded Reload
	v_and_b32_e32 v1, 0xffff0000, v1
	v_add_f32_e32 v0, v1, v0
	s_waitcnt vmcnt(0)
	v_lshlrev_b32_e32 v13, 16, v13
	v_mul_f32_e32 v13, v6, v13
	v_bfe_u32 v14, v13, 16, 1
	v_or_b32_e32 v17, 0x400000, v13
	v_cmp_u_f32_e32 vcc_lo, v13, v13
	v_add3_u32 v14, v14, v13, 0x7fff
	v_cndmask_b32_e32 v13, v14, v17, vcc_lo
	buffer_load_dword v14, off, s[0:3], s32 offset:388 ; 4-byte Folded Reload
	v_and_b32_e32 v13, 0xffff0000, v13
	s_waitcnt vmcnt(0)
	v_lshlrev_b32_e32 v14, 16, v14
	v_mul_f32_e32 v14, v7, v14
	v_bfe_u32 v17, v14, 16, 1
	v_or_b32_e32 v18, 0x400000, v14
	v_cmp_u_f32_e32 vcc_lo, v14, v14
	v_add3_u32 v17, v17, v14, 0x7fff
	v_cndmask_b32_e32 v14, v17, v18, vcc_lo
	buffer_load_dword v17, off, s[0:3], s32 offset:372 ; 4-byte Folded Reload
	v_and_b32_e32 v1, 0xffff0000, v14
	v_add_f32_e32 v1, v1, v13
	v_add_f32_e32 v0, v0, v1
	s_waitcnt vmcnt(0)
	v_lshlrev_b32_e32 v17, 16, v17
	v_mul_f32_e32 v17, v4, v17
	v_bfe_u32 v18, v17, 16, 1
	v_or_b32_e32 v25, 0x400000, v17
	v_cmp_u_f32_e32 vcc_lo, v17, v17
	v_add3_u32 v18, v18, v17, 0x7fff
	v_cndmask_b32_e32 v17, v18, v25, vcc_lo
	buffer_load_dword v18, off, s[0:3], s32 offset:368 ; 4-byte Folded Reload
	v_and_b32_e32 v13, 0xffff0000, v17
	s_waitcnt vmcnt(0)
	v_lshlrev_b32_e32 v18, 16, v18
	v_mul_f32_e32 v18, v5, v18
	v_bfe_u32 v25, v18, 16, 1
	v_or_b32_e32 v26, 0x400000, v18
	v_cmp_u_f32_e32 vcc_lo, v18, v18
	v_add3_u32 v25, v25, v18, 0x7fff
	v_cndmask_b32_e32 v18, v25, v26, vcc_lo
	buffer_load_dword v25, off, s[0:3], s32 offset:380 ; 4-byte Folded Reload
	v_and_b32_e32 v1, 0xffff0000, v18
	v_add_f32_e32 v1, v1, v13
	v_add_f32_e32 v0, v0, v1
	s_waitcnt vmcnt(0)
	v_lshlrev_b32_e32 v25, 16, v25
	v_mul_f32_e32 v25, v2, v25
	v_bfe_u32 v26, v25, 16, 1
	v_or_b32_e32 v28, 0x400000, v25
	v_cmp_u_f32_e32 vcc_lo, v25, v25
	v_add3_u32 v26, v26, v25, 0x7fff
	v_cndmask_b32_e32 v25, v26, v28, vcc_lo
	buffer_load_dword v26, off, s[0:3], s32 offset:376 ; 4-byte Folded Reload
	v_and_b32_e32 v13, 0xffff0000, v25
	s_waitcnt vmcnt(0)
	v_lshlrev_b32_e32 v26, 16, v26
	v_mul_f32_e32 v26, v3, v26
	v_bfe_u32 v28, v26, 16, 1
	v_or_b32_e32 v29, 0x400000, v26
	v_cmp_u_f32_e32 vcc_lo, v26, v26
	v_add3_u32 v28, v28, v26, 0x7fff
	v_cndmask_b32_e32 v26, v28, v29, vcc_lo
	v_and_b32_e32 v1, 0xffff0000, v26
	v_add_f32_e32 v1, v1, v13
	v_add_f32_e32 v0, v0, v1
	;; [unrolled: 1-line block ×3, first 2 shown]
	buffer_load_dword v0, off, s[0:3], s32 offset:364 ; 4-byte Folded Reload
	s_waitcnt vmcnt(0)
	v_lshlrev_b32_e32 v0, 16, v0
	v_mul_f32_e32 v0, v8, v0
	v_bfe_u32 v1, v0, 16, 1
	v_or_b32_e32 v13, 0x400000, v0
	v_cmp_u_f32_e32 vcc_lo, v0, v0
	v_add3_u32 v1, v1, v0, 0x7fff
	v_cndmask_b32_e32 v0, v1, v13, vcc_lo
	buffer_load_dword v1, off, s[0:3], s32 offset:360 ; 4-byte Folded Reload
	v_and_b32_e32 v0, 0xffff0000, v0
	s_waitcnt vmcnt(0)
	v_lshlrev_b32_e32 v1, 16, v1
	v_mul_f32_e32 v1, v9, v1
	v_bfe_u32 v13, v1, 16, 1
	v_or_b32_e32 v14, 0x400000, v1
	v_cmp_u_f32_e32 vcc_lo, v1, v1
	v_add3_u32 v13, v13, v1, 0x7fff
	v_cndmask_b32_e32 v1, v13, v14, vcc_lo
	buffer_load_dword v13, off, s[0:3], s32 offset:352 ; 4-byte Folded Reload
	v_and_b32_e32 v1, 0xffff0000, v1
	v_add_f32_e32 v0, v1, v0
	s_waitcnt vmcnt(0)
	v_lshlrev_b32_e32 v13, 16, v13
	v_mul_f32_e32 v13, v6, v13
	v_bfe_u32 v14, v13, 16, 1
	v_or_b32_e32 v17, 0x400000, v13
	v_cmp_u_f32_e32 vcc_lo, v13, v13
	v_add3_u32 v14, v14, v13, 0x7fff
	v_cndmask_b32_e32 v13, v14, v17, vcc_lo
	buffer_load_dword v14, off, s[0:3], s32 offset:356 ; 4-byte Folded Reload
	v_and_b32_e32 v13, 0xffff0000, v13
	s_waitcnt vmcnt(0)
	v_lshlrev_b32_e32 v14, 16, v14
	v_mul_f32_e32 v14, v7, v14
	v_bfe_u32 v17, v14, 16, 1
	v_or_b32_e32 v18, 0x400000, v14
	v_cmp_u_f32_e32 vcc_lo, v14, v14
	v_add3_u32 v17, v17, v14, 0x7fff
	v_cndmask_b32_e32 v14, v17, v18, vcc_lo
	buffer_load_dword v17, off, s[0:3], s32 offset:340 ; 4-byte Folded Reload
	v_and_b32_e32 v1, 0xffff0000, v14
	v_add_f32_e32 v1, v1, v13
	v_add_f32_e32 v0, v0, v1
	s_waitcnt vmcnt(0)
	v_lshlrev_b32_e32 v17, 16, v17
	v_mul_f32_e32 v17, v4, v17
	v_bfe_u32 v18, v17, 16, 1
	v_or_b32_e32 v25, 0x400000, v17
	v_cmp_u_f32_e32 vcc_lo, v17, v17
	v_add3_u32 v18, v18, v17, 0x7fff
	v_cndmask_b32_e32 v17, v18, v25, vcc_lo
	buffer_load_dword v18, off, s[0:3], s32 offset:336 ; 4-byte Folded Reload
	v_and_b32_e32 v13, 0xffff0000, v17
	s_waitcnt vmcnt(0)
	v_lshlrev_b32_e32 v18, 16, v18
	v_mul_f32_e32 v18, v5, v18
	v_bfe_u32 v25, v18, 16, 1
	v_or_b32_e32 v26, 0x400000, v18
	v_cmp_u_f32_e32 vcc_lo, v18, v18
	v_add3_u32 v25, v25, v18, 0x7fff
	v_cndmask_b32_e32 v18, v25, v26, vcc_lo
	buffer_load_dword v25, off, s[0:3], s32 offset:348 ; 4-byte Folded Reload
	v_and_b32_e32 v1, 0xffff0000, v18
	v_add_f32_e32 v1, v1, v13
	v_add_f32_e32 v0, v0, v1
	s_waitcnt vmcnt(0)
	v_lshlrev_b32_e32 v25, 16, v25
	v_mul_f32_e32 v25, v2, v25
	v_bfe_u32 v26, v25, 16, 1
	v_or_b32_e32 v28, 0x400000, v25
	v_cmp_u_f32_e32 vcc_lo, v25, v25
	v_add3_u32 v26, v26, v25, 0x7fff
	v_cndmask_b32_e32 v25, v26, v28, vcc_lo
	buffer_load_dword v26, off, s[0:3], s32 offset:344 ; 4-byte Folded Reload
	v_and_b32_e32 v13, 0xffff0000, v25
	s_waitcnt vmcnt(0)
	v_lshlrev_b32_e32 v26, 16, v26
	v_mul_f32_e32 v26, v3, v26
	v_bfe_u32 v28, v26, 16, 1
	v_or_b32_e32 v29, 0x400000, v26
	v_cmp_u_f32_e32 vcc_lo, v26, v26
	v_add3_u32 v28, v28, v26, 0x7fff
	v_cndmask_b32_e32 v26, v28, v29, vcc_lo
	v_and_b32_e32 v1, 0xffff0000, v26
	v_add_f32_e32 v1, v1, v13
	v_add_f32_e32 v0, v0, v1
	;; [unrolled: 1-line block ×3, first 2 shown]
	buffer_load_dword v0, off, s[0:3], s32 offset:332 ; 4-byte Folded Reload
	s_waitcnt vmcnt(0)
	v_lshlrev_b32_e32 v0, 16, v0
	v_mul_f32_e32 v0, v8, v0
	v_bfe_u32 v1, v0, 16, 1
	v_or_b32_e32 v13, 0x400000, v0
	v_cmp_u_f32_e32 vcc_lo, v0, v0
	v_add3_u32 v1, v1, v0, 0x7fff
	v_cndmask_b32_e32 v0, v1, v13, vcc_lo
	buffer_load_dword v1, off, s[0:3], s32 offset:328 ; 4-byte Folded Reload
	v_and_b32_e32 v0, 0xffff0000, v0
	s_waitcnt vmcnt(0)
	v_lshlrev_b32_e32 v1, 16, v1
	v_mul_f32_e32 v1, v9, v1
	v_bfe_u32 v13, v1, 16, 1
	v_or_b32_e32 v14, 0x400000, v1
	v_cmp_u_f32_e32 vcc_lo, v1, v1
	v_add3_u32 v13, v13, v1, 0x7fff
	v_cndmask_b32_e32 v1, v13, v14, vcc_lo
	buffer_load_dword v13, off, s[0:3], s32 offset:320 ; 4-byte Folded Reload
	v_and_b32_e32 v1, 0xffff0000, v1
	v_add_f32_e32 v0, v1, v0
	s_waitcnt vmcnt(0)
	v_lshlrev_b32_e32 v13, 16, v13
	v_mul_f32_e32 v13, v6, v13
	v_bfe_u32 v14, v13, 16, 1
	v_or_b32_e32 v17, 0x400000, v13
	v_cmp_u_f32_e32 vcc_lo, v13, v13
	v_add3_u32 v14, v14, v13, 0x7fff
	v_cndmask_b32_e32 v13, v14, v17, vcc_lo
	buffer_load_dword v14, off, s[0:3], s32 offset:324 ; 4-byte Folded Reload
	v_and_b32_e32 v13, 0xffff0000, v13
	s_waitcnt vmcnt(0)
	v_lshlrev_b32_e32 v14, 16, v14
	v_mul_f32_e32 v14, v7, v14
	v_bfe_u32 v17, v14, 16, 1
	v_or_b32_e32 v18, 0x400000, v14
	v_cmp_u_f32_e32 vcc_lo, v14, v14
	v_add3_u32 v17, v17, v14, 0x7fff
	v_cndmask_b32_e32 v14, v17, v18, vcc_lo
	buffer_load_dword v17, off, s[0:3], s32 offset:316 ; 4-byte Folded Reload
	v_and_b32_e32 v1, 0xffff0000, v14
	v_add_f32_e32 v1, v1, v13
	v_add_f32_e32 v0, v0, v1
	s_waitcnt vmcnt(0)
	v_lshlrev_b32_e32 v17, 16, v17
	v_mul_f32_e32 v17, v4, v17
	v_bfe_u32 v18, v17, 16, 1
	v_or_b32_e32 v25, 0x400000, v17
	v_cmp_u_f32_e32 vcc_lo, v17, v17
	v_add3_u32 v18, v18, v17, 0x7fff
	v_cndmask_b32_e32 v17, v18, v25, vcc_lo
	buffer_load_dword v18, off, s[0:3], s32 offset:304 ; 4-byte Folded Reload
	v_and_b32_e32 v13, 0xffff0000, v17
	s_waitcnt vmcnt(0)
	v_lshlrev_b32_e32 v18, 16, v18
	v_mul_f32_e32 v18, v5, v18
	v_bfe_u32 v25, v18, 16, 1
	v_or_b32_e32 v26, 0x400000, v18
	v_cmp_u_f32_e32 vcc_lo, v18, v18
	v_add3_u32 v25, v25, v18, 0x7fff
	v_cndmask_b32_e32 v18, v25, v26, vcc_lo
	buffer_load_dword v25, off, s[0:3], s32 offset:312 ; 4-byte Folded Reload
	v_and_b32_e32 v1, 0xffff0000, v18
	v_add_f32_e32 v1, v1, v13
	v_add_f32_e32 v0, v0, v1
	s_waitcnt vmcnt(0)
	v_lshlrev_b32_e32 v25, 16, v25
	v_mul_f32_e32 v25, v2, v25
	v_bfe_u32 v26, v25, 16, 1
	v_or_b32_e32 v28, 0x400000, v25
	v_cmp_u_f32_e32 vcc_lo, v25, v25
	v_add3_u32 v26, v26, v25, 0x7fff
	v_cndmask_b32_e32 v25, v26, v28, vcc_lo
	buffer_load_dword v26, off, s[0:3], s32 offset:300 ; 4-byte Folded Reload
	v_and_b32_e32 v13, 0xffff0000, v25
	s_waitcnt vmcnt(0)
	v_lshlrev_b32_e32 v26, 16, v26
	v_mul_f32_e32 v26, v3, v26
	v_bfe_u32 v28, v26, 16, 1
	v_or_b32_e32 v29, 0x400000, v26
	v_cmp_u_f32_e32 vcc_lo, v26, v26
	v_add3_u32 v28, v28, v26, 0x7fff
	v_cndmask_b32_e32 v26, v28, v29, vcc_lo
	v_and_b32_e32 v1, 0xffff0000, v26
	v_add_f32_e32 v1, v1, v13
	v_add_f32_e32 v0, v0, v1
	;; [unrolled: 1-line block ×3, first 2 shown]
	buffer_load_dword v0, off, s[0:3], s32 offset:296 ; 4-byte Folded Reload
	s_waitcnt vmcnt(0)
	v_lshlrev_b32_e32 v0, 16, v0
	v_mul_f32_e32 v0, v8, v0
	v_bfe_u32 v1, v0, 16, 1
	v_or_b32_e32 v13, 0x400000, v0
	v_cmp_u_f32_e32 vcc_lo, v0, v0
	v_add3_u32 v1, v1, v0, 0x7fff
	v_cndmask_b32_e32 v0, v1, v13, vcc_lo
	buffer_load_dword v1, off, s[0:3], s32 offset:292 ; 4-byte Folded Reload
	v_and_b32_e32 v0, 0xffff0000, v0
	s_waitcnt vmcnt(0)
	v_lshlrev_b32_e32 v1, 16, v1
	v_mul_f32_e32 v1, v9, v1
	v_bfe_u32 v13, v1, 16, 1
	v_or_b32_e32 v14, 0x400000, v1
	v_cmp_u_f32_e32 vcc_lo, v1, v1
	v_add3_u32 v13, v13, v1, 0x7fff
	v_cndmask_b32_e32 v1, v13, v14, vcc_lo
	buffer_load_dword v13, off, s[0:3], s32 offset:288 ; 4-byte Folded Reload
	v_and_b32_e32 v1, 0xffff0000, v1
	v_add_f32_e32 v0, v1, v0
	s_waitcnt vmcnt(0)
	v_lshlrev_b32_e32 v13, 16, v13
	v_mul_f32_e32 v13, v6, v13
	v_bfe_u32 v14, v13, 16, 1
	v_or_b32_e32 v17, 0x400000, v13
	v_cmp_u_f32_e32 vcc_lo, v13, v13
	v_add3_u32 v14, v14, v13, 0x7fff
	v_cndmask_b32_e32 v13, v14, v17, vcc_lo
	buffer_load_dword v14, off, s[0:3], s32 offset:284 ; 4-byte Folded Reload
	v_and_b32_e32 v13, 0xffff0000, v13
	s_waitcnt vmcnt(0)
	v_lshlrev_b32_e32 v14, 16, v14
	v_mul_f32_e32 v14, v7, v14
	v_bfe_u32 v17, v14, 16, 1
	v_or_b32_e32 v18, 0x400000, v14
	v_cmp_u_f32_e32 vcc_lo, v14, v14
	v_add3_u32 v17, v17, v14, 0x7fff
	v_cndmask_b32_e32 v14, v17, v18, vcc_lo
	buffer_load_dword v17, off, s[0:3], s32 offset:280 ; 4-byte Folded Reload
	v_and_b32_e32 v1, 0xffff0000, v14
	v_add_f32_e32 v1, v1, v13
	v_add_f32_e32 v0, v0, v1
	s_waitcnt vmcnt(0)
	v_lshlrev_b32_e32 v17, 16, v17
	v_mul_f32_e32 v17, v4, v17
	v_bfe_u32 v18, v17, 16, 1
	v_or_b32_e32 v25, 0x400000, v17
	v_cmp_u_f32_e32 vcc_lo, v17, v17
	v_add3_u32 v18, v18, v17, 0x7fff
	v_cndmask_b32_e32 v17, v18, v25, vcc_lo
	buffer_load_dword v18, off, s[0:3], s32 offset:276 ; 4-byte Folded Reload
	v_and_b32_e32 v13, 0xffff0000, v17
	s_waitcnt vmcnt(0)
	v_lshlrev_b32_e32 v18, 16, v18
	v_mul_f32_e32 v18, v5, v18
	v_bfe_u32 v25, v18, 16, 1
	v_or_b32_e32 v26, 0x400000, v18
	v_cmp_u_f32_e32 vcc_lo, v18, v18
	v_add3_u32 v25, v25, v18, 0x7fff
	v_cndmask_b32_e32 v18, v25, v26, vcc_lo
	buffer_load_dword v25, off, s[0:3], s32 offset:272 ; 4-byte Folded Reload
	v_and_b32_e32 v1, 0xffff0000, v18
	v_add_f32_e32 v1, v1, v13
	v_add_f32_e32 v0, v0, v1
	s_waitcnt vmcnt(0)
	v_lshlrev_b32_e32 v25, 16, v25
	v_mul_f32_e32 v25, v2, v25
	v_bfe_u32 v26, v25, 16, 1
	v_or_b32_e32 v28, 0x400000, v25
	v_cmp_u_f32_e32 vcc_lo, v25, v25
	v_add3_u32 v26, v26, v25, 0x7fff
	v_cndmask_b32_e32 v25, v26, v28, vcc_lo
	buffer_load_dword v26, off, s[0:3], s32 offset:264 ; 4-byte Folded Reload
	v_and_b32_e32 v13, 0xffff0000, v25
	s_waitcnt vmcnt(0)
	v_lshlrev_b32_e32 v26, 16, v26
	v_mul_f32_e32 v26, v3, v26
	v_bfe_u32 v28, v26, 16, 1
	v_or_b32_e32 v29, 0x400000, v26
	v_cmp_u_f32_e32 vcc_lo, v26, v26
	v_add3_u32 v28, v28, v26, 0x7fff
	v_cndmask_b32_e32 v26, v28, v29, vcc_lo
	v_and_b32_e32 v1, 0xffff0000, v26
	v_add_f32_e32 v1, v1, v13
	v_add_f32_e32 v0, v0, v1
	;; [unrolled: 1-line block ×3, first 2 shown]
	buffer_load_dword v0, off, s[0:3], s32 offset:260 ; 4-byte Folded Reload
	s_waitcnt vmcnt(0)
	v_lshlrev_b32_e32 v0, 16, v0
	v_mul_f32_e32 v0, v8, v0
	v_bfe_u32 v1, v0, 16, 1
	v_or_b32_e32 v13, 0x400000, v0
	v_cmp_u_f32_e32 vcc_lo, v0, v0
	v_add3_u32 v1, v1, v0, 0x7fff
	v_cndmask_b32_e32 v0, v1, v13, vcc_lo
	buffer_load_dword v1, off, s[0:3], s32 offset:256 ; 4-byte Folded Reload
	v_and_b32_e32 v0, 0xffff0000, v0
	s_waitcnt vmcnt(0)
	v_lshlrev_b32_e32 v1, 16, v1
	v_mul_f32_e32 v1, v9, v1
	v_bfe_u32 v13, v1, 16, 1
	v_or_b32_e32 v14, 0x400000, v1
	v_cmp_u_f32_e32 vcc_lo, v1, v1
	v_add3_u32 v13, v13, v1, 0x7fff
	v_cndmask_b32_e32 v1, v13, v14, vcc_lo
	buffer_load_dword v13, off, s[0:3], s32 offset:252 ; 4-byte Folded Reload
	v_and_b32_e32 v1, 0xffff0000, v1
	v_add_f32_e32 v0, v1, v0
	s_waitcnt vmcnt(0)
	v_lshlrev_b32_e32 v13, 16, v13
	v_mul_f32_e32 v13, v6, v13
	v_bfe_u32 v14, v13, 16, 1
	v_or_b32_e32 v17, 0x400000, v13
	v_cmp_u_f32_e32 vcc_lo, v13, v13
	v_add3_u32 v14, v14, v13, 0x7fff
	v_cndmask_b32_e32 v13, v14, v17, vcc_lo
	buffer_load_dword v14, off, s[0:3], s32 offset:248 ; 4-byte Folded Reload
	v_and_b32_e32 v13, 0xffff0000, v13
	s_waitcnt vmcnt(0)
	v_lshlrev_b32_e32 v14, 16, v14
	v_mul_f32_e32 v14, v7, v14
	v_bfe_u32 v17, v14, 16, 1
	v_or_b32_e32 v18, 0x400000, v14
	v_cmp_u_f32_e32 vcc_lo, v14, v14
	v_add3_u32 v17, v17, v14, 0x7fff
	v_cndmask_b32_e32 v14, v17, v18, vcc_lo
	buffer_load_dword v17, off, s[0:3], s32 offset:244 ; 4-byte Folded Reload
	v_and_b32_e32 v1, 0xffff0000, v14
	v_add_f32_e32 v1, v1, v13
	v_add_f32_e32 v0, v0, v1
	s_waitcnt vmcnt(0)
	v_lshlrev_b32_e32 v17, 16, v17
	v_mul_f32_e32 v17, v4, v17
	v_bfe_u32 v18, v17, 16, 1
	v_or_b32_e32 v25, 0x400000, v17
	v_cmp_u_f32_e32 vcc_lo, v17, v17
	v_add3_u32 v18, v18, v17, 0x7fff
	v_cndmask_b32_e32 v17, v18, v25, vcc_lo
	buffer_load_dword v18, off, s[0:3], s32 offset:240 ; 4-byte Folded Reload
	v_and_b32_e32 v13, 0xffff0000, v17
	s_waitcnt vmcnt(0)
	v_lshlrev_b32_e32 v18, 16, v18
	v_mul_f32_e32 v18, v5, v18
	v_bfe_u32 v25, v18, 16, 1
	v_or_b32_e32 v26, 0x400000, v18
	v_cmp_u_f32_e32 vcc_lo, v18, v18
	v_add3_u32 v25, v25, v18, 0x7fff
	v_cndmask_b32_e32 v18, v25, v26, vcc_lo
	buffer_load_dword v25, off, s[0:3], s32 offset:236 ; 4-byte Folded Reload
	v_and_b32_e32 v1, 0xffff0000, v18
	v_add_f32_e32 v1, v1, v13
	v_add_f32_e32 v0, v0, v1
	s_waitcnt vmcnt(0)
	v_lshlrev_b32_e32 v25, 16, v25
	v_mul_f32_e32 v25, v2, v25
	v_bfe_u32 v26, v25, 16, 1
	v_or_b32_e32 v28, 0x400000, v25
	v_cmp_u_f32_e32 vcc_lo, v25, v25
	v_add3_u32 v26, v26, v25, 0x7fff
	v_cndmask_b32_e32 v25, v26, v28, vcc_lo
	buffer_load_dword v26, off, s[0:3], s32 offset:232 ; 4-byte Folded Reload
	v_and_b32_e32 v13, 0xffff0000, v25
	s_waitcnt vmcnt(0)
	v_lshlrev_b32_e32 v26, 16, v26
	v_mul_f32_e32 v26, v3, v26
	v_bfe_u32 v28, v26, 16, 1
	v_or_b32_e32 v29, 0x400000, v26
	v_cmp_u_f32_e32 vcc_lo, v26, v26
	v_add3_u32 v28, v28, v26, 0x7fff
	v_cndmask_b32_e32 v26, v28, v29, vcc_lo
	v_and_b32_e32 v1, 0xffff0000, v26
	v_add_f32_e32 v1, v1, v13
	v_add_f32_e32 v0, v0, v1
	v_add_f32_e32 v55, v55, v0
	buffer_load_dword v0, off, s[0:3], s32 offset:228 ; 4-byte Folded Reload
	s_waitcnt vmcnt(0)
	v_lshlrev_b32_e32 v0, 16, v0
	v_mul_f32_e32 v0, v8, v0
	v_bfe_u32 v1, v0, 16, 1
	v_or_b32_e32 v13, 0x400000, v0
	v_cmp_u_f32_e32 vcc_lo, v0, v0
	v_add3_u32 v1, v1, v0, 0x7fff
	v_cndmask_b32_e32 v0, v1, v13, vcc_lo
	buffer_load_dword v1, off, s[0:3], s32 offset:224 ; 4-byte Folded Reload
	v_and_b32_e32 v0, 0xffff0000, v0
	s_waitcnt vmcnt(0)
	v_lshlrev_b32_e32 v1, 16, v1
	v_mul_f32_e32 v1, v9, v1
	v_bfe_u32 v13, v1, 16, 1
	v_or_b32_e32 v14, 0x400000, v1
	v_cmp_u_f32_e32 vcc_lo, v1, v1
	v_add3_u32 v13, v13, v1, 0x7fff
	v_cndmask_b32_e32 v1, v13, v14, vcc_lo
	buffer_load_dword v13, off, s[0:3], s32 offset:220 ; 4-byte Folded Reload
	v_and_b32_e32 v1, 0xffff0000, v1
	v_add_f32_e32 v0, v1, v0
	s_waitcnt vmcnt(0)
	v_lshlrev_b32_e32 v13, 16, v13
	v_mul_f32_e32 v13, v6, v13
	v_bfe_u32 v14, v13, 16, 1
	v_or_b32_e32 v17, 0x400000, v13
	v_cmp_u_f32_e32 vcc_lo, v13, v13
	v_add3_u32 v14, v14, v13, 0x7fff
	v_cndmask_b32_e32 v13, v14, v17, vcc_lo
	buffer_load_dword v14, off, s[0:3], s32 offset:216 ; 4-byte Folded Reload
	v_and_b32_e32 v13, 0xffff0000, v13
	s_waitcnt vmcnt(0)
	v_lshlrev_b32_e32 v14, 16, v14
	v_mul_f32_e32 v14, v7, v14
	v_bfe_u32 v17, v14, 16, 1
	v_or_b32_e32 v18, 0x400000, v14
	v_cmp_u_f32_e32 vcc_lo, v14, v14
	v_add3_u32 v17, v17, v14, 0x7fff
	v_cndmask_b32_e32 v14, v17, v18, vcc_lo
	buffer_load_dword v17, off, s[0:3], s32 offset:212 ; 4-byte Folded Reload
	v_and_b32_e32 v1, 0xffff0000, v14
	v_add_f32_e32 v1, v1, v13
	v_add_f32_e32 v0, v0, v1
	s_waitcnt vmcnt(0)
	v_lshlrev_b32_e32 v17, 16, v17
	v_mul_f32_e32 v17, v4, v17
	v_bfe_u32 v18, v17, 16, 1
	v_or_b32_e32 v25, 0x400000, v17
	v_cmp_u_f32_e32 vcc_lo, v17, v17
	v_add3_u32 v18, v18, v17, 0x7fff
	v_cndmask_b32_e32 v17, v18, v25, vcc_lo
	buffer_load_dword v18, off, s[0:3], s32 offset:204 ; 4-byte Folded Reload
	v_and_b32_e32 v13, 0xffff0000, v17
	s_waitcnt vmcnt(0)
	v_lshlrev_b32_e32 v18, 16, v18
	v_mul_f32_e32 v18, v5, v18
	v_bfe_u32 v25, v18, 16, 1
	v_or_b32_e32 v26, 0x400000, v18
	v_cmp_u_f32_e32 vcc_lo, v18, v18
	v_add3_u32 v25, v25, v18, 0x7fff
	v_cndmask_b32_e32 v18, v25, v26, vcc_lo
	buffer_load_dword v25, off, s[0:3], s32 offset:208 ; 4-byte Folded Reload
	v_and_b32_e32 v1, 0xffff0000, v18
	v_add_f32_e32 v1, v1, v13
	v_add_f32_e32 v0, v0, v1
	s_waitcnt vmcnt(0)
	v_lshlrev_b32_e32 v25, 16, v25
	v_mul_f32_e32 v25, v2, v25
	v_bfe_u32 v26, v25, 16, 1
	v_or_b32_e32 v28, 0x400000, v25
	v_cmp_u_f32_e32 vcc_lo, v25, v25
	v_add3_u32 v26, v26, v25, 0x7fff
	v_cndmask_b32_e32 v25, v26, v28, vcc_lo
	buffer_load_dword v26, off, s[0:3], s32 offset:200 ; 4-byte Folded Reload
	v_and_b32_e32 v13, 0xffff0000, v25
	s_waitcnt vmcnt(0)
	v_lshlrev_b32_e32 v26, 16, v26
	v_mul_f32_e32 v26, v3, v26
	v_bfe_u32 v28, v26, 16, 1
	v_or_b32_e32 v29, 0x400000, v26
	v_cmp_u_f32_e32 vcc_lo, v26, v26
	v_add3_u32 v28, v28, v26, 0x7fff
	v_cndmask_b32_e32 v26, v28, v29, vcc_lo
	v_and_b32_e32 v1, 0xffff0000, v26
	v_add_f32_e32 v1, v1, v13
	v_add_f32_e32 v0, v0, v1
	v_add_f32_e32 v52, v52, v0
	v_lshlrev_b32_e32 v0, 16, v24
	v_mul_f32_e32 v0, v9, v0
	v_bfe_u32 v1, v0, 16, 1
	v_or_b32_e32 v9, 0x400000, v0
	v_cmp_u_f32_e32 vcc_lo, v0, v0
	v_add3_u32 v1, v1, v0, 0x7fff
	v_cndmask_b32_e32 v0, v1, v9, vcc_lo
	v_lshlrev_b32_e32 v1, 16, v23
	v_and_b32_e32 v0, 0xffff0000, v0
	v_mul_f32_e32 v1, v8, v1
	v_bfe_u32 v8, v1, 16, 1
	v_or_b32_e32 v9, 0x400000, v1
	v_cmp_u_f32_e32 vcc_lo, v1, v1
	v_add3_u32 v8, v8, v1, 0x7fff
	v_cndmask_b32_e32 v1, v8, v9, vcc_lo
	v_lshlrev_b32_e32 v8, 16, v21
	v_and_b32_e32 v1, 0xffff0000, v1
	v_mul_f32_e32 v7, v7, v8
	v_add_f32_e32 v0, v0, v1
	v_bfe_u32 v8, v7, 16, 1
	v_or_b32_e32 v9, 0x400000, v7
	v_cmp_u_f32_e32 vcc_lo, v7, v7
	v_add3_u32 v8, v8, v7, 0x7fff
	v_cndmask_b32_e32 v7, v8, v9, vcc_lo
	v_lshlrev_b32_e32 v8, 16, v19
	v_mul_f32_e32 v6, v6, v8
	v_bfe_u32 v8, v6, 16, 1
	v_or_b32_e32 v9, 0x400000, v6
	v_cmp_u_f32_e32 vcc_lo, v6, v6
	v_add3_u32 v8, v8, v6, 0x7fff
	v_cndmask_b32_e32 v6, v8, v9, vcc_lo
	v_lshlrev_b32_e32 v8, 16, v11
	v_and_b32_e32 v1, 0xffff0000, v6
	v_mul_f32_e32 v5, v5, v8
	v_and_b32_e32 v6, 0xffff0000, v7
	v_bfe_u32 v8, v5, 16, 1
	v_or_b32_e32 v9, 0x400000, v5
	v_cmp_u_f32_e32 vcc_lo, v5, v5
	v_add_f32_e32 v1, v6, v1
	v_add3_u32 v8, v8, v5, 0x7fff
	v_add_f32_e32 v0, v0, v1
	v_cndmask_b32_e32 v5, v8, v9, vcc_lo
	v_lshlrev_b32_e32 v8, 16, v10
	v_mul_f32_e32 v4, v4, v8
	v_bfe_u32 v8, v4, 16, 1
	v_or_b32_e32 v9, 0x400000, v4
	v_cmp_u_f32_e32 vcc_lo, v4, v4
	v_add3_u32 v8, v8, v4, 0x7fff
	v_cndmask_b32_e32 v4, v8, v9, vcc_lo
	v_lshlrev_b32_e32 v8, 16, v20
	v_and_b32_e32 v1, 0xffff0000, v4
	v_mul_f32_e32 v3, v3, v8
	v_and_b32_e32 v4, 0xffff0000, v5
	v_bfe_u32 v8, v3, 16, 1
	v_or_b32_e32 v9, 0x400000, v3
	v_cmp_u_f32_e32 vcc_lo, v3, v3
	v_add_f32_e32 v1, v4, v1
	v_add3_u32 v8, v8, v3, 0x7fff
	v_add_f32_e32 v0, v0, v1
	v_cndmask_b32_e32 v3, v8, v9, vcc_lo
	v_lshlrev_b32_e32 v8, 16, v22
	v_mul_f32_e32 v2, v2, v8
	v_bfe_u32 v8, v2, 16, 1
	v_or_b32_e32 v9, 0x400000, v2
	v_cmp_u_f32_e32 vcc_lo, v2, v2
	v_add3_u32 v8, v8, v2, 0x7fff
	v_cndmask_b32_e32 v2, v8, v9, vcc_lo
	v_add_co_u32 v15, vcc_lo, v15, 16
	v_add_co_ci_u32_e64 v16, null, 0, v16, vcc_lo
	v_and_b32_e32 v1, 0xffff0000, v2
	v_and_b32_e32 v2, 0xffff0000, v3
	v_add_f32_e32 v1, v2, v1
	v_add_f32_e32 v0, v0, v1
	;; [unrolled: 1-line block ×3, first 2 shown]
	buffer_load_dword v0, off, s[0:3], s32 offset:196 ; 4-byte Folded Reload
	s_waitcnt vmcnt(0)
	v_cmp_ge_i32_e32 vcc_lo, v80, v0
	s_or_b32 s9, vcc_lo, s9
	s_andn2_b32 exec_lo, exec_lo, s9
	s_cbranch_execz .LBB368_2108
.LBB368_1052:                           ; =>This Inner Loop Header: Depth=1
	flat_load_dword v0, v[15:16]
	s_clause 0x2
	buffer_load_dword v1, off, s[0:3], s32 offset:396
	buffer_load_dword v2, off, s[0:3], s32 offset:400
	;; [unrolled: 1-line block ×3, first 2 shown]
	s_waitcnt vmcnt(0) lgkmcnt(0)
	v_mad_i64_i32 v[19:20], null, v0, v1, v[2:3]
	v_mov_b32_e32 v0, 0
	flat_load_dwordx2 v[21:22], v[19:20]
	ds_read2_b64 v[6:9], v66 offset1:1
	ds_read2_b64 v[2:5], v66 offset0:2 offset1:3
	s_waitcnt vmcnt(0) lgkmcnt(2)
	v_cmp_ne_u16_sdwa s15, v21, v12 src0_sel:BYTE_0 src1_sel:DWORD
	s_and_saveexec_b32 s4, s15
	s_cbranch_execz .LBB368_1060
; %bb.1053:                             ;   in Loop: Header=BB368_1052 Depth=1
	v_cmp_ne_u16_sdwa s18, v21, v67 src0_sel:BYTE_0 src1_sel:DWORD
	v_bfrev_b32_e32 v0, 1
	s_and_saveexec_b32 s15, s18
	s_cbranch_execz .LBB368_1059
; %bb.1054:                             ;   in Loop: Header=BB368_1052 Depth=1
	v_and_b32_e32 v1, 0x7f, v21
	v_mov_b32_e32 v0, 0x7f800001
	s_mov_b32 s18, exec_lo
	v_cmpx_ne_u32_e32 0x7f, v1
	s_cbranch_execz .LBB368_1058
; %bb.1055:                             ;   in Loop: Header=BB368_1052 Depth=1
	v_lshrrev_b32_e32 v0, 3, v1
	v_mov_b32_e32 v10, v21
	s_mov_b32 s19, exec_lo
	v_mov_b32_e32 v11, v22
	v_cmpx_gt_u32_e32 8, v1
; %bb.1056:                             ;   in Loop: Header=BB368_1052 Depth=1
	v_and_b32_e32 v0, 7, v21
	v_ffbh_u32_e32 v0, v0
	v_min_u32_e32 v0, 32, v0
	v_subrev_nc_u32_e32 v1, 28, v0
	v_sub_nc_u32_e32 v0, 29, v0
	v_lshlrev_b64 v[10:11], v1, v[21:22]
; %bb.1057:                             ;   in Loop: Header=BB368_1052 Depth=1
	s_or_b32 exec_lo, exec_lo, s19
	v_lshlrev_b32_e32 v1, 20, v10
	v_lshlrev_b32_e32 v10, 24, v21
	v_lshl_add_u32 v0, v0, 23, 0x3c000000
	v_and_b32_e32 v1, 0x700000, v1
	v_and_b32_e32 v10, 0x80000000, v10
	v_or3_b32 v0, v1, v10, v0
.LBB368_1058:                           ;   in Loop: Header=BB368_1052 Depth=1
	s_or_b32 exec_lo, exec_lo, s18
.LBB368_1059:                           ;   in Loop: Header=BB368_1052 Depth=1
	s_or_b32 exec_lo, exec_lo, s15
.LBB368_1060:                           ;   in Loop: Header=BB368_1052 Depth=1
	s_or_b32 exec_lo, exec_lo, s4
	v_cmp_ne_u16_sdwa s15, v21, v12 src0_sel:BYTE_1 src1_sel:DWORD
	v_mov_b32_e32 v10, 0
	v_mov_b32_e32 v1, 0
	s_and_saveexec_b32 s4, s15
	s_cbranch_execz .LBB368_1068
; %bb.1061:                             ;   in Loop: Header=BB368_1052 Depth=1
	v_cmp_ne_u16_sdwa s18, v21, v67 src0_sel:BYTE_1 src1_sel:DWORD
	v_bfrev_b32_e32 v1, 1
	s_and_saveexec_b32 s15, s18
	s_cbranch_execz .LBB368_1067
; %bb.1062:                             ;   in Loop: Header=BB368_1052 Depth=1
	v_and_b32_sdwa v11, v94, v21 dst_sel:DWORD dst_unused:UNUSED_PAD src0_sel:DWORD src1_sel:BYTE_1
	v_mov_b32_e32 v1, 0x7f800001
	s_mov_b32 s18, exec_lo
	v_and_b32_e32 v13, 0x7f, v11
	v_cmpx_ne_u32_e32 0x7f, v13
	s_cbranch_execz .LBB368_1066
; %bb.1063:                             ;   in Loop: Header=BB368_1052 Depth=1
	v_and_b32_e32 v11, 7, v11
	v_mov_b32_e32 v24, v12
	v_lshrrev_b32_e32 v1, 3, v13
	s_mov_b32 s19, exec_lo
	v_mov_b32_e32 v23, v11
	v_cmpx_gt_u32_e32 8, v13
; %bb.1064:                             ;   in Loop: Header=BB368_1052 Depth=1
	v_ffbh_u32_e32 v1, v11
	v_min_u32_e32 v1, 32, v1
	v_subrev_nc_u32_e32 v13, 28, v1
	v_sub_nc_u32_e32 v1, 29, v1
	v_lshlrev_b64 v[13:14], v13, v[11:12]
	v_and_b32_e32 v23, 7, v13
; %bb.1065:                             ;   in Loop: Header=BB368_1052 Depth=1
	s_or_b32 exec_lo, exec_lo, s19
	v_lshlrev_b32_e32 v11, 16, v21
	v_lshlrev_b32_e32 v13, 20, v23
	v_lshl_add_u32 v1, v1, 23, 0x3c000000
	v_and_b32_e32 v11, 0x80000000, v11
	v_or3_b32 v1, v13, v11, v1
.LBB368_1066:                           ;   in Loop: Header=BB368_1052 Depth=1
	s_or_b32 exec_lo, exec_lo, s18
.LBB368_1067:                           ;   in Loop: Header=BB368_1052 Depth=1
	s_or_b32 exec_lo, exec_lo, s15
.LBB368_1068:                           ;   in Loop: Header=BB368_1052 Depth=1
	s_or_b32 exec_lo, exec_lo, s4
	v_and_b32_sdwa v11, v21, v69 dst_sel:DWORD dst_unused:UNUSED_PAD src0_sel:WORD_1 src1_sel:DWORD
	s_mov_b32 s4, exec_lo
	v_cmpx_ne_u16_e32 0, v11
	s_cbranch_execz .LBB368_1076
; %bb.1069:                             ;   in Loop: Header=BB368_1052 Depth=1
	v_bfrev_b32_e32 v10, 1
	s_mov_b32 s15, exec_lo
	v_cmpx_ne_u16_e32 0x80, v11
	s_cbranch_execz .LBB368_1075
; %bb.1070:                             ;   in Loop: Header=BB368_1052 Depth=1
	v_bfe_u32 v13, v21, 16, 7
	v_mov_b32_e32 v10, 0x7f800001
	s_mov_b32 s18, exec_lo
	v_cmpx_ne_u32_e32 0x7f, v13
	s_cbranch_execz .LBB368_1074
; %bb.1071:                             ;   in Loop: Header=BB368_1052 Depth=1
	v_mov_b32_e32 v10, 7
	s_mov_b32 s19, exec_lo
	v_and_b32_sdwa v11, v21, v10 dst_sel:DWORD dst_unused:UNUSED_PAD src0_sel:WORD_1 src1_sel:DWORD
	v_mov_b32_e32 v24, v12
	v_lshrrev_b32_e32 v10, 3, v13
	v_mov_b32_e32 v23, v11
	v_cmpx_gt_u32_e32 8, v13
; %bb.1072:                             ;   in Loop: Header=BB368_1052 Depth=1
	v_ffbh_u32_e32 v10, v11
	v_min_u32_e32 v10, 32, v10
	v_subrev_nc_u32_e32 v13, 28, v10
	v_sub_nc_u32_e32 v10, 29, v10
	v_lshlrev_b64 v[13:14], v13, v[11:12]
	v_and_b32_e32 v23, 7, v13
; %bb.1073:                             ;   in Loop: Header=BB368_1052 Depth=1
	s_or_b32 exec_lo, exec_lo, s19
	v_mov_b32_e32 v11, 24
	v_lshlrev_b32_e32 v13, 20, v23
	v_lshl_add_u32 v10, v10, 23, 0x3c000000
	v_lshlrev_b32_sdwa v11, v11, v21 dst_sel:DWORD dst_unused:UNUSED_PAD src0_sel:DWORD src1_sel:WORD_1
	v_and_b32_e32 v11, 0x80000000, v11
	v_or3_b32 v10, v13, v11, v10
.LBB368_1074:                           ;   in Loop: Header=BB368_1052 Depth=1
	s_or_b32 exec_lo, exec_lo, s18
.LBB368_1075:                           ;   in Loop: Header=BB368_1052 Depth=1
	s_or_b32 exec_lo, exec_lo, s15
.LBB368_1076:                           ;   in Loop: Header=BB368_1052 Depth=1
	s_or_b32 exec_lo, exec_lo, s4
	v_mov_b32_e32 v14, 0
	v_mov_b32_e32 v13, 0
	s_mov_b32 s4, exec_lo
	v_cmpx_lt_u32_e32 0xffffff, v21
	s_cbranch_execz .LBB368_1084
; %bb.1077:                             ;   in Loop: Header=BB368_1052 Depth=1
	v_cmp_ne_u32_sdwa s18, v21, v67 src0_sel:BYTE_3 src1_sel:DWORD
	v_bfrev_b32_e32 v13, 1
	s_and_saveexec_b32 s15, s18
	s_cbranch_execz .LBB368_1083
; %bb.1078:                             ;   in Loop: Header=BB368_1052 Depth=1
	v_bfe_u32 v17, v21, 24, 7
	v_mov_b32_e32 v13, 0x7f800001
	s_mov_b32 s18, exec_lo
	v_cmpx_ne_u32_e32 0x7f, v17
	s_cbranch_execz .LBB368_1082
; %bb.1079:                             ;   in Loop: Header=BB368_1052 Depth=1
	v_mov_b32_e32 v11, 7
	v_lshrrev_b32_e32 v13, 3, v17
	s_mov_b32 s19, exec_lo
	v_and_b32_sdwa v11, v21, v11 dst_sel:DWORD dst_unused:UNUSED_PAD src0_sel:BYTE_3 src1_sel:DWORD
	v_mov_b32_e32 v24, v12
	v_mov_b32_e32 v23, v11
	v_cmpx_gt_u32_e32 8, v17
; %bb.1080:                             ;   in Loop: Header=BB368_1052 Depth=1
	v_ffbh_u32_e32 v13, v11
	v_min_u32_e32 v13, 32, v13
	v_subrev_nc_u32_e32 v17, 28, v13
	v_sub_nc_u32_e32 v13, 29, v13
	v_lshlrev_b64 v[17:18], v17, v[11:12]
	v_and_b32_e32 v23, 7, v17
; %bb.1081:                             ;   in Loop: Header=BB368_1052 Depth=1
	s_or_b32 exec_lo, exec_lo, s19
	v_mov_b32_e32 v11, 24
	v_lshlrev_b32_e32 v17, 20, v23
	v_lshl_add_u32 v13, v13, 23, 0x3c000000
	v_lshlrev_b32_sdwa v11, v11, v21 dst_sel:DWORD dst_unused:UNUSED_PAD src0_sel:DWORD src1_sel:BYTE_3
	v_and_b32_e32 v11, 0x80000000, v11
	v_or3_b32 v13, v17, v11, v13
.LBB368_1082:                           ;   in Loop: Header=BB368_1052 Depth=1
	s_or_b32 exec_lo, exec_lo, s18
.LBB368_1083:                           ;   in Loop: Header=BB368_1052 Depth=1
	s_or_b32 exec_lo, exec_lo, s15
.LBB368_1084:                           ;   in Loop: Header=BB368_1052 Depth=1
	s_or_b32 exec_lo, exec_lo, s4
	v_mov_b32_e32 v11, v22
	v_cmp_ne_u16_sdwa s15, v22, v12 src0_sel:BYTE_0 src1_sel:DWORD
	s_and_saveexec_b32 s4, s15
	s_cbranch_execz .LBB368_1092
; %bb.1085:                             ;   in Loop: Header=BB368_1052 Depth=1
	v_cmp_ne_u16_sdwa s18, v22, v67 src0_sel:BYTE_0 src1_sel:DWORD
	v_bfrev_b32_e32 v14, 1
	s_and_saveexec_b32 s15, s18
	s_cbranch_execz .LBB368_1091
; %bb.1086:                             ;   in Loop: Header=BB368_1052 Depth=1
	v_and_b32_e32 v17, 0x7f, v22
	v_mov_b32_e32 v14, 0x7f800001
	s_mov_b32 s18, exec_lo
	v_cmpx_ne_u32_e32 0x7f, v17
	s_cbranch_execz .LBB368_1090
; %bb.1087:                             ;   in Loop: Header=BB368_1052 Depth=1
	v_mov_b32_e32 v24, v12
	v_lshrrev_b32_e32 v14, 3, v17
	v_mov_b32_e32 v23, v11
	s_mov_b32 s19, exec_lo
	v_cmpx_gt_u32_e32 8, v17
; %bb.1088:                             ;   in Loop: Header=BB368_1052 Depth=1
	v_and_b32_e32 v14, 7, v22
	v_ffbh_u32_e32 v14, v14
	v_min_u32_e32 v14, 32, v14
	v_subrev_nc_u32_e32 v17, 28, v14
	v_sub_nc_u32_e32 v14, 29, v14
	v_lshlrev_b64 v[23:24], v17, v[11:12]
; %bb.1089:                             ;   in Loop: Header=BB368_1052 Depth=1
	s_or_b32 exec_lo, exec_lo, s19
	v_lshlrev_b32_e32 v17, 20, v23
	v_lshlrev_b32_e32 v18, 24, v11
	v_lshl_add_u32 v14, v14, 23, 0x3c000000
	v_and_b32_e32 v17, 0x700000, v17
	v_and_b32_e32 v18, 0x80000000, v18
	v_or3_b32 v14, v17, v18, v14
.LBB368_1090:                           ;   in Loop: Header=BB368_1052 Depth=1
	s_or_b32 exec_lo, exec_lo, s18
.LBB368_1091:                           ;   in Loop: Header=BB368_1052 Depth=1
	s_or_b32 exec_lo, exec_lo, s15
.LBB368_1092:                           ;   in Loop: Header=BB368_1052 Depth=1
	s_or_b32 exec_lo, exec_lo, s4
	v_cmp_ne_u16_sdwa s15, v11, v12 src0_sel:BYTE_1 src1_sel:DWORD
	v_mov_b32_e32 v17, 0
	v_mov_b32_e32 v18, 0
	s_and_saveexec_b32 s4, s15
	s_cbranch_execz .LBB368_1100
; %bb.1093:                             ;   in Loop: Header=BB368_1052 Depth=1
	v_cmp_ne_u16_sdwa s18, v11, v67 src0_sel:BYTE_1 src1_sel:DWORD
	v_bfrev_b32_e32 v18, 1
	s_and_saveexec_b32 s15, s18
	s_cbranch_execz .LBB368_1099
; %bb.1094:                             ;   in Loop: Header=BB368_1052 Depth=1
	v_and_b32_sdwa v23, v94, v11 dst_sel:DWORD dst_unused:UNUSED_PAD src0_sel:DWORD src1_sel:BYTE_1
	v_mov_b32_e32 v18, 0x7f800001
	s_mov_b32 s18, exec_lo
	v_and_b32_e32 v25, 0x7f, v23
	v_cmpx_ne_u32_e32 0x7f, v25
	s_cbranch_execz .LBB368_1098
; %bb.1095:                             ;   in Loop: Header=BB368_1052 Depth=1
	v_and_b32_e32 v23, 7, v23
	v_mov_b32_e32 v24, v12
	v_lshrrev_b32_e32 v18, 3, v25
	s_mov_b32 s19, exec_lo
	v_cmpx_gt_u32_e32 8, v25
; %bb.1096:                             ;   in Loop: Header=BB368_1052 Depth=1
	v_ffbh_u32_e32 v18, v23
	v_min_u32_e32 v18, 32, v18
	v_subrev_nc_u32_e32 v25, 28, v18
	v_sub_nc_u32_e32 v18, 29, v18
	v_lshlrev_b64 v[23:24], v25, v[23:24]
	v_and_b32_e32 v23, 7, v23
; %bb.1097:                             ;   in Loop: Header=BB368_1052 Depth=1
	s_or_b32 exec_lo, exec_lo, s19
	v_lshlrev_b32_e32 v11, 16, v11
	v_lshlrev_b32_e32 v23, 20, v23
	v_lshl_add_u32 v18, v18, 23, 0x3c000000
	v_and_b32_e32 v11, 0x80000000, v11
	v_or3_b32 v18, v23, v11, v18
.LBB368_1098:                           ;   in Loop: Header=BB368_1052 Depth=1
	s_or_b32 exec_lo, exec_lo, s18
.LBB368_1099:                           ;   in Loop: Header=BB368_1052 Depth=1
	s_or_b32 exec_lo, exec_lo, s15
.LBB368_1100:                           ;   in Loop: Header=BB368_1052 Depth=1
	s_or_b32 exec_lo, exec_lo, s4
	v_and_b32_sdwa v11, v22, v69 dst_sel:DWORD dst_unused:UNUSED_PAD src0_sel:WORD_1 src1_sel:DWORD
	s_mov_b32 s4, exec_lo
	v_cmpx_ne_u16_e32 0, v11
	s_cbranch_execz .LBB368_1108
; %bb.1101:                             ;   in Loop: Header=BB368_1052 Depth=1
	v_bfrev_b32_e32 v17, 1
	s_mov_b32 s15, exec_lo
	v_cmpx_ne_u16_e32 0x80, v11
	s_cbranch_execz .LBB368_1107
; %bb.1102:                             ;   in Loop: Header=BB368_1052 Depth=1
	v_bfe_u32 v23, v22, 16, 7
	v_mov_b32_e32 v17, 0x7f800001
	s_mov_b32 s18, exec_lo
	v_cmpx_ne_u32_e32 0x7f, v23
	s_cbranch_execz .LBB368_1106
; %bb.1103:                             ;   in Loop: Header=BB368_1052 Depth=1
	v_mov_b32_e32 v11, 7
	v_lshrrev_b32_e32 v17, 3, v23
	v_cmp_gt_u32_e32 vcc_lo, 8, v23
	v_and_b32_sdwa v11, v22, v11 dst_sel:DWORD dst_unused:UNUSED_PAD src0_sel:WORD_1 src1_sel:DWORD
	v_mov_b32_e32 v24, v12
	v_mov_b32_e32 v23, v11
	s_and_saveexec_b32 s19, vcc_lo
; %bb.1104:                             ;   in Loop: Header=BB368_1052 Depth=1
	v_ffbh_u32_e32 v17, v11
	v_min_u32_e32 v17, 32, v17
	v_subrev_nc_u32_e32 v23, 28, v17
	v_sub_nc_u32_e32 v17, 29, v17
	v_lshlrev_b64 v[23:24], v23, v[11:12]
	v_and_b32_e32 v23, 7, v23
; %bb.1105:                             ;   in Loop: Header=BB368_1052 Depth=1
	s_or_b32 exec_lo, exec_lo, s19
	v_mov_b32_e32 v11, 24
	v_lshlrev_b32_e32 v23, 20, v23
	v_lshl_add_u32 v17, v17, 23, 0x3c000000
	v_lshlrev_b32_sdwa v11, v11, v22 dst_sel:DWORD dst_unused:UNUSED_PAD src0_sel:DWORD src1_sel:WORD_1
	v_and_b32_e32 v11, 0x80000000, v11
	v_or3_b32 v17, v23, v11, v17
.LBB368_1106:                           ;   in Loop: Header=BB368_1052 Depth=1
	s_or_b32 exec_lo, exec_lo, s18
.LBB368_1107:                           ;   in Loop: Header=BB368_1052 Depth=1
	s_or_b32 exec_lo, exec_lo, s15
.LBB368_1108:                           ;   in Loop: Header=BB368_1052 Depth=1
	s_or_b32 exec_lo, exec_lo, s4
	v_mov_b32_e32 v11, 0
	s_mov_b32 s4, exec_lo
	v_cmpx_lt_u64_e64 s[6:7], v[21:22]
	s_cbranch_execz .LBB368_1116
; %bb.1109:                             ;   in Loop: Header=BB368_1052 Depth=1
	v_cmp_ne_u32_sdwa s18, v22, v67 src0_sel:BYTE_3 src1_sel:DWORD
	v_bfrev_b32_e32 v11, 1
	s_and_saveexec_b32 s15, s18
	s_cbranch_execz .LBB368_1115
; %bb.1110:                             ;   in Loop: Header=BB368_1052 Depth=1
	v_bfe_u32 v23, v22, 24, 7
	v_mov_b32_e32 v11, 0x7f800001
	s_mov_b32 s18, exec_lo
	v_cmpx_ne_u32_e32 0x7f, v23
	s_cbranch_execz .LBB368_1114
; %bb.1111:                             ;   in Loop: Header=BB368_1052 Depth=1
	v_mov_b32_e32 v11, 7
	v_lshrrev_b32_e32 v21, 3, v23
	v_cmp_gt_u32_e32 vcc_lo, 8, v23
	v_and_b32_sdwa v11, v22, v11 dst_sel:DWORD dst_unused:UNUSED_PAD src0_sel:BYTE_3 src1_sel:DWORD
	v_mov_b32_e32 v24, v12
	v_mov_b32_e32 v23, v11
	s_and_saveexec_b32 s19, vcc_lo
; %bb.1112:                             ;   in Loop: Header=BB368_1052 Depth=1
	v_ffbh_u32_e32 v21, v11
	v_min_u32_e32 v21, 32, v21
	v_subrev_nc_u32_e32 v23, 28, v21
	v_sub_nc_u32_e32 v21, 29, v21
	v_lshlrev_b64 v[23:24], v23, v[11:12]
	v_and_b32_e32 v23, 7, v23
; %bb.1113:                             ;   in Loop: Header=BB368_1052 Depth=1
	s_or_b32 exec_lo, exec_lo, s19
	v_mov_b32_e32 v11, 24
	v_lshl_add_u32 v21, v21, 23, 0x3c000000
	v_lshlrev_b32_sdwa v11, v11, v22 dst_sel:DWORD dst_unused:UNUSED_PAD src0_sel:DWORD src1_sel:BYTE_3
	v_lshlrev_b32_e32 v22, 20, v23
	v_and_b32_e32 v11, 0x80000000, v11
	v_or3_b32 v11, v22, v11, v21
.LBB368_1114:                           ;   in Loop: Header=BB368_1052 Depth=1
	s_or_b32 exec_lo, exec_lo, s18
.LBB368_1115:                           ;   in Loop: Header=BB368_1052 Depth=1
	s_or_b32 exec_lo, exec_lo, s15
.LBB368_1116:                           ;   in Loop: Header=BB368_1052 Depth=1
	s_or_b32 exec_lo, exec_lo, s4
	buffer_load_dword v21, off, s[0:3], s32 offset:196 ; 4-byte Folded Reload
	v_mul_f32_e32 v18, v64, v18
	v_mul_f32_e32 v14, v64, v14
	;; [unrolled: 1-line block ×5, first 2 shown]
	v_or_b32_e32 v22, 0x400000, v18
	v_bfe_u32 v23, v14, 16, 1
	v_cmp_u_f32_e64 s4, v18, v18
	v_or_b32_e32 v24, 0x400000, v14
	v_bfe_u32 v25, v13, 16, 1
	v_or_b32_e32 v26, 0x400000, v13
	v_add3_u32 v23, v23, v14, 0x7fff
	v_mul_f32_e32 v0, v64, v0
	v_mul_f32_e32 v11, v64, v11
	v_add_nc_u32_e32 v57, -7, v65
	v_add_nc_u32_e32 v63, -6, v65
	;; [unrolled: 1-line block ×7, first 2 shown]
	s_waitcnt vmcnt(0)
	v_add_nc_u32_e32 v21, -1, v21
	v_cmp_eq_u32_e32 vcc_lo, v21, v80
	v_bfe_u32 v21, v18, 16, 1
	v_add3_u32 v21, v21, v18, 0x7fff
	v_cndmask_b32_e64 v18, v21, v22, s4
	v_cmp_u_f32_e64 s4, v14, v14
	v_add3_u32 v22, v25, v13, 0x7fff
	v_bfe_u32 v21, v10, 16, 1
	v_lshrrev_b32_e32 v18, 16, v18
	v_cndmask_b32_e64 v14, v23, v24, s4
	v_cmp_u_f32_e64 s4, v13, v13
	v_or_b32_e32 v23, 0x400000, v11
	buffer_store_dword v18, off, s[0:3], s32 offset:212 ; 4-byte Folded Spill
	v_add3_u32 v18, v21, v10, 0x7fff
	v_cndmask_b32_e64 v13, v22, v26, s4
	v_or_b32_e32 v21, 0x400000, v10
	v_lshrrev_b32_e32 v14, 16, v14
	v_cmp_u_f32_e64 s4, v10, v10
	v_lshrrev_b32_e32 v13, 16, v13
	buffer_store_dword v14, off, s[0:3], s32 offset:204 ; 4-byte Folded Spill
	v_cndmask_b32_e64 v10, v18, v21, s4
	v_mul_f32_e32 v14, v64, v17
	buffer_store_dword v13, off, s[0:3], s32 offset:220 ; 4-byte Folded Spill
	v_bfe_u32 v13, v1, 16, 1
	v_or_b32_e32 v17, 0x400000, v1
	v_bfe_u32 v18, v0, 16, 1
	v_cmp_u_f32_e64 s4, v1, v1
	v_bfe_u32 v21, v14, 16, 1
	v_add3_u32 v13, v13, v1, 0x7fff
	v_or_b32_e32 v22, 0x400000, v14
	v_lshrrev_b32_e32 v10, 16, v10
	v_add3_u32 v21, v21, v14, 0x7fff
	v_cndmask_b32_e64 v1, v13, v17, s4
	v_add3_u32 v17, v18, v0, 0x7fff
	v_or_b32_e32 v18, 0x400000, v0
	v_cmp_u_f32_e64 s4, v0, v0
	v_bfe_u32 v13, v11, 16, 1
	v_lshrrev_b32_e32 v1, 16, v1
	buffer_store_dword v10, off, s[0:3], s32 offset:216 ; 4-byte Folded Spill
	v_cndmask_b32_e64 v0, v17, v18, s4
	v_cmp_u_f32_e64 s4, v14, v14
	v_add3_u32 v13, v13, v11, 0x7fff
	buffer_store_dword v1, off, s[0:3], s32 offset:228 ; 4-byte Folded Spill
	v_lshrrev_b32_e32 v0, 16, v0
	v_cndmask_b32_e64 v14, v21, v22, s4
	v_cmp_u_f32_e64 s4, v11, v11
	buffer_store_dword v0, off, s[0:3], s32 offset:224 ; 4-byte Folded Spill
	v_lshrrev_b32_e32 v0, 16, v14
	v_cndmask_b32_e64 v11, v13, v23, s4
	buffer_store_dword v0, off, s[0:3], s32 offset:200 ; 4-byte Folded Spill
	v_lshrrev_b32_e32 v0, 16, v11
	buffer_store_dword v0, off, s[0:3], s32 offset:208 ; 4-byte Folded Spill
	s_and_saveexec_b32 s15, vcc_lo
	s_cbranch_execz .LBB368_1118
; %bb.1117:                             ;   in Loop: Header=BB368_1052 Depth=1
	s_clause 0x1
	buffer_load_dword v0, off, s[0:3], s32 offset:192
	buffer_load_dword v1, off, s[0:3], s32 offset:224
	s_waitcnt vmcnt(1)
	v_cmp_lt_i32_e64 s4, v57, v0
	s_waitcnt vmcnt(0)
	v_cndmask_b32_e64 v1, 0, v1, s4
	v_cmp_lt_i32_e64 s4, v63, v0
	buffer_store_dword v1, off, s[0:3], s32 offset:224 ; 4-byte Folded Spill
	buffer_load_dword v1, off, s[0:3], s32 offset:228 ; 4-byte Folded Reload
	s_waitcnt vmcnt(0)
	v_cndmask_b32_e64 v1, 0, v1, s4
	v_cmp_lt_i32_e64 s4, v62, v0
	buffer_store_dword v1, off, s[0:3], s32 offset:228 ; 4-byte Folded Spill
	buffer_load_dword v1, off, s[0:3], s32 offset:216 ; 4-byte Folded Reload
	;; [unrolled: 5-line block ×6, first 2 shown]
	s_waitcnt vmcnt(0)
	v_cndmask_b32_e64 v1, 0, v1, s4
	v_cmp_lt_i32_e64 s4, v65, v0
	buffer_load_dword v0, off, s[0:3], s32 offset:208 ; 4-byte Folded Reload
	buffer_store_dword v1, off, s[0:3], s32 offset:200 ; 4-byte Folded Spill
	s_waitcnt vmcnt(0)
	v_cndmask_b32_e64 v0, 0, v0, s4
	buffer_store_dword v0, off, s[0:3], s32 offset:208 ; 4-byte Folded Spill
.LBB368_1118:                           ;   in Loop: Header=BB368_1052 Depth=1
	s_or_b32 exec_lo, exec_lo, s15
	flat_load_dwordx2 v[21:22], v[19:20] offset:256
	v_mov_b32_e32 v1, 0
	v_mov_b32_e32 v0, 0
	s_waitcnt vmcnt(0) lgkmcnt(0)
	v_cmp_ne_u16_sdwa s4, v21, v12 src0_sel:BYTE_0 src1_sel:DWORD
	s_and_saveexec_b32 s15, s4
	s_cbranch_execz .LBB368_1126
; %bb.1119:                             ;   in Loop: Header=BB368_1052 Depth=1
	v_cmp_ne_u16_sdwa s4, v21, v67 src0_sel:BYTE_0 src1_sel:DWORD
	v_bfrev_b32_e32 v0, 1
	s_and_saveexec_b32 s18, s4
	s_cbranch_execz .LBB368_1125
; %bb.1120:                             ;   in Loop: Header=BB368_1052 Depth=1
	v_and_b32_e32 v10, 0x7f, v21
	v_mov_b32_e32 v0, 0x7f800001
	s_mov_b32 s19, exec_lo
	v_cmpx_ne_u32_e32 0x7f, v10
	s_cbranch_execz .LBB368_1124
; %bb.1121:                             ;   in Loop: Header=BB368_1052 Depth=1
	v_lshrrev_b32_e32 v0, 3, v10
	v_cmp_gt_u32_e64 s4, 8, v10
	v_mov_b32_e32 v10, v21
	v_mov_b32_e32 v11, v22
	s_and_saveexec_b32 s20, s4
; %bb.1122:                             ;   in Loop: Header=BB368_1052 Depth=1
	v_and_b32_e32 v0, 7, v21
	v_ffbh_u32_e32 v0, v0
	v_min_u32_e32 v0, 32, v0
	v_subrev_nc_u32_e32 v10, 28, v0
	v_sub_nc_u32_e32 v0, 29, v0
	v_lshlrev_b64 v[10:11], v10, v[21:22]
; %bb.1123:                             ;   in Loop: Header=BB368_1052 Depth=1
	s_or_b32 exec_lo, exec_lo, s20
	v_lshlrev_b32_e32 v10, 20, v10
	v_lshlrev_b32_e32 v11, 24, v21
	v_lshl_add_u32 v0, v0, 23, 0x3c000000
	v_and_b32_e32 v10, 0x700000, v10
	v_and_b32_e32 v11, 0x80000000, v11
	v_or3_b32 v0, v10, v11, v0
.LBB368_1124:                           ;   in Loop: Header=BB368_1052 Depth=1
	s_or_b32 exec_lo, exec_lo, s19
.LBB368_1125:                           ;   in Loop: Header=BB368_1052 Depth=1
	s_or_b32 exec_lo, exec_lo, s18
.LBB368_1126:                           ;   in Loop: Header=BB368_1052 Depth=1
	s_or_b32 exec_lo, exec_lo, s15
	v_cmp_ne_u16_sdwa s4, v21, v12 src0_sel:BYTE_1 src1_sel:DWORD
	s_and_saveexec_b32 s15, s4
	s_cbranch_execz .LBB368_1134
; %bb.1127:                             ;   in Loop: Header=BB368_1052 Depth=1
	v_cmp_ne_u16_sdwa s4, v21, v67 src0_sel:BYTE_1 src1_sel:DWORD
	v_bfrev_b32_e32 v1, 1
	s_and_saveexec_b32 s18, s4
	s_cbranch_execz .LBB368_1133
; %bb.1128:                             ;   in Loop: Header=BB368_1052 Depth=1
	v_and_b32_sdwa v11, v94, v21 dst_sel:DWORD dst_unused:UNUSED_PAD src0_sel:DWORD src1_sel:BYTE_1
	v_mov_b32_e32 v1, 0x7f800001
	s_mov_b32 s19, exec_lo
	v_and_b32_e32 v10, 0x7f, v11
	v_cmpx_ne_u32_e32 0x7f, v10
	s_cbranch_execz .LBB368_1132
; %bb.1129:                             ;   in Loop: Header=BB368_1052 Depth=1
	v_and_b32_e32 v11, 7, v11
	v_mov_b32_e32 v24, v12
	v_lshrrev_b32_e32 v1, 3, v10
	s_mov_b32 s20, exec_lo
	v_mov_b32_e32 v23, v11
	v_cmpx_gt_u32_e32 8, v10
; %bb.1130:                             ;   in Loop: Header=BB368_1052 Depth=1
	v_ffbh_u32_e32 v1, v11
	v_min_u32_e32 v1, 32, v1
	v_subrev_nc_u32_e32 v10, 28, v1
	v_sub_nc_u32_e32 v1, 29, v1
	v_lshlrev_b64 v[10:11], v10, v[11:12]
	v_and_b32_e32 v23, 7, v10
; %bb.1131:                             ;   in Loop: Header=BB368_1052 Depth=1
	s_or_b32 exec_lo, exec_lo, s20
	v_lshlrev_b32_e32 v10, 16, v21
	v_lshlrev_b32_e32 v11, 20, v23
	v_lshl_add_u32 v1, v1, 23, 0x3c000000
	v_and_b32_e32 v10, 0x80000000, v10
	v_or3_b32 v1, v11, v10, v1
.LBB368_1132:                           ;   in Loop: Header=BB368_1052 Depth=1
	s_or_b32 exec_lo, exec_lo, s19
.LBB368_1133:                           ;   in Loop: Header=BB368_1052 Depth=1
	s_or_b32 exec_lo, exec_lo, s18
.LBB368_1134:                           ;   in Loop: Header=BB368_1052 Depth=1
	s_or_b32 exec_lo, exec_lo, s15
	v_and_b32_sdwa v11, v21, v69 dst_sel:DWORD dst_unused:UNUSED_PAD src0_sel:WORD_1 src1_sel:DWORD
	v_mov_b32_e32 v13, 0
	v_mov_b32_e32 v10, 0
	s_mov_b32 s15, exec_lo
	v_cmpx_ne_u16_e32 0, v11
	s_cbranch_execz .LBB368_1142
; %bb.1135:                             ;   in Loop: Header=BB368_1052 Depth=1
	v_bfrev_b32_e32 v10, 1
	s_mov_b32 s18, exec_lo
	v_cmpx_ne_u16_e32 0x80, v11
	s_cbranch_execz .LBB368_1141
; %bb.1136:                             ;   in Loop: Header=BB368_1052 Depth=1
	v_bfe_u32 v14, v21, 16, 7
	v_mov_b32_e32 v10, 0x7f800001
	s_mov_b32 s19, exec_lo
	v_cmpx_ne_u32_e32 0x7f, v14
	s_cbranch_execz .LBB368_1140
; %bb.1137:                             ;   in Loop: Header=BB368_1052 Depth=1
	v_mov_b32_e32 v10, 7
	s_mov_b32 s20, exec_lo
	v_and_b32_sdwa v11, v21, v10 dst_sel:DWORD dst_unused:UNUSED_PAD src0_sel:WORD_1 src1_sel:DWORD
	v_mov_b32_e32 v24, v12
	v_lshrrev_b32_e32 v10, 3, v14
	v_mov_b32_e32 v23, v11
	v_cmpx_gt_u32_e32 8, v14
; %bb.1138:                             ;   in Loop: Header=BB368_1052 Depth=1
	v_ffbh_u32_e32 v10, v11
	v_min_u32_e32 v10, 32, v10
	v_subrev_nc_u32_e32 v14, 28, v10
	v_sub_nc_u32_e32 v10, 29, v10
	v_lshlrev_b64 v[17:18], v14, v[11:12]
	v_and_b32_e32 v23, 7, v17
; %bb.1139:                             ;   in Loop: Header=BB368_1052 Depth=1
	s_or_b32 exec_lo, exec_lo, s20
	v_mov_b32_e32 v11, 24
	v_lshlrev_b32_e32 v14, 20, v23
	v_lshl_add_u32 v10, v10, 23, 0x3c000000
	v_lshlrev_b32_sdwa v11, v11, v21 dst_sel:DWORD dst_unused:UNUSED_PAD src0_sel:DWORD src1_sel:WORD_1
	v_and_b32_e32 v11, 0x80000000, v11
	v_or3_b32 v10, v14, v11, v10
.LBB368_1140:                           ;   in Loop: Header=BB368_1052 Depth=1
	s_or_b32 exec_lo, exec_lo, s19
.LBB368_1141:                           ;   in Loop: Header=BB368_1052 Depth=1
	s_or_b32 exec_lo, exec_lo, s18
.LBB368_1142:                           ;   in Loop: Header=BB368_1052 Depth=1
	s_or_b32 exec_lo, exec_lo, s15
	s_mov_b32 s15, exec_lo
	v_cmpx_lt_u32_e32 0xffffff, v21
	s_cbranch_execz .LBB368_1150
; %bb.1143:                             ;   in Loop: Header=BB368_1052 Depth=1
	v_cmp_ne_u32_sdwa s4, v21, v67 src0_sel:BYTE_3 src1_sel:DWORD
	v_bfrev_b32_e32 v13, 1
	s_and_saveexec_b32 s18, s4
	s_cbranch_execz .LBB368_1149
; %bb.1144:                             ;   in Loop: Header=BB368_1052 Depth=1
	v_bfe_u32 v14, v21, 24, 7
	v_mov_b32_e32 v13, 0x7f800001
	s_mov_b32 s19, exec_lo
	v_cmpx_ne_u32_e32 0x7f, v14
	s_cbranch_execz .LBB368_1148
; %bb.1145:                             ;   in Loop: Header=BB368_1052 Depth=1
	v_mov_b32_e32 v11, 7
	v_lshrrev_b32_e32 v13, 3, v14
	s_mov_b32 s20, exec_lo
	v_and_b32_sdwa v11, v21, v11 dst_sel:DWORD dst_unused:UNUSED_PAD src0_sel:BYTE_3 src1_sel:DWORD
	v_mov_b32_e32 v24, v12
	v_mov_b32_e32 v23, v11
	v_cmpx_gt_u32_e32 8, v14
; %bb.1146:                             ;   in Loop: Header=BB368_1052 Depth=1
	v_ffbh_u32_e32 v13, v11
	v_min_u32_e32 v13, 32, v13
	v_subrev_nc_u32_e32 v14, 28, v13
	v_sub_nc_u32_e32 v13, 29, v13
	v_lshlrev_b64 v[17:18], v14, v[11:12]
	v_and_b32_e32 v23, 7, v17
; %bb.1147:                             ;   in Loop: Header=BB368_1052 Depth=1
	s_or_b32 exec_lo, exec_lo, s20
	v_mov_b32_e32 v11, 24
	v_lshlrev_b32_e32 v14, 20, v23
	v_lshl_add_u32 v13, v13, 23, 0x3c000000
	v_lshlrev_b32_sdwa v11, v11, v21 dst_sel:DWORD dst_unused:UNUSED_PAD src0_sel:DWORD src1_sel:BYTE_3
	v_and_b32_e32 v11, 0x80000000, v11
	v_or3_b32 v13, v14, v11, v13
.LBB368_1148:                           ;   in Loop: Header=BB368_1052 Depth=1
	s_or_b32 exec_lo, exec_lo, s19
.LBB368_1149:                           ;   in Loop: Header=BB368_1052 Depth=1
	s_or_b32 exec_lo, exec_lo, s18
.LBB368_1150:                           ;   in Loop: Header=BB368_1052 Depth=1
	s_or_b32 exec_lo, exec_lo, s15
	v_mov_b32_e32 v11, v22
	v_cmp_ne_u16_sdwa s4, v22, v12 src0_sel:BYTE_0 src1_sel:DWORD
	v_mov_b32_e32 v17, 0
	v_mov_b32_e32 v14, 0
	s_and_saveexec_b32 s15, s4
	s_cbranch_execz .LBB368_1158
; %bb.1151:                             ;   in Loop: Header=BB368_1052 Depth=1
	v_cmp_ne_u16_sdwa s4, v22, v67 src0_sel:BYTE_0 src1_sel:DWORD
	v_bfrev_b32_e32 v14, 1
	s_and_saveexec_b32 s18, s4
	s_cbranch_execz .LBB368_1157
; %bb.1152:                             ;   in Loop: Header=BB368_1052 Depth=1
	v_and_b32_e32 v18, 0x7f, v22
	v_mov_b32_e32 v14, 0x7f800001
	s_mov_b32 s19, exec_lo
	v_cmpx_ne_u32_e32 0x7f, v18
	s_cbranch_execz .LBB368_1156
; %bb.1153:                             ;   in Loop: Header=BB368_1052 Depth=1
	v_mov_b32_e32 v24, v12
	v_lshrrev_b32_e32 v14, 3, v18
	v_mov_b32_e32 v23, v11
	s_mov_b32 s20, exec_lo
	v_cmpx_gt_u32_e32 8, v18
; %bb.1154:                             ;   in Loop: Header=BB368_1052 Depth=1
	v_and_b32_e32 v14, 7, v22
	v_ffbh_u32_e32 v14, v14
	v_min_u32_e32 v14, 32, v14
	v_subrev_nc_u32_e32 v18, 28, v14
	v_sub_nc_u32_e32 v14, 29, v14
	v_lshlrev_b64 v[23:24], v18, v[11:12]
; %bb.1155:                             ;   in Loop: Header=BB368_1052 Depth=1
	s_or_b32 exec_lo, exec_lo, s20
	v_lshlrev_b32_e32 v18, 20, v23
	v_lshlrev_b32_e32 v23, 24, v11
	v_lshl_add_u32 v14, v14, 23, 0x3c000000
	v_and_b32_e32 v18, 0x700000, v18
	v_and_b32_e32 v23, 0x80000000, v23
	v_or3_b32 v14, v18, v23, v14
.LBB368_1156:                           ;   in Loop: Header=BB368_1052 Depth=1
	s_or_b32 exec_lo, exec_lo, s19
.LBB368_1157:                           ;   in Loop: Header=BB368_1052 Depth=1
	s_or_b32 exec_lo, exec_lo, s18
.LBB368_1158:                           ;   in Loop: Header=BB368_1052 Depth=1
	s_or_b32 exec_lo, exec_lo, s15
	v_cmp_ne_u16_sdwa s4, v11, v12 src0_sel:BYTE_1 src1_sel:DWORD
	s_and_saveexec_b32 s15, s4
	s_cbranch_execz .LBB368_1166
; %bb.1159:                             ;   in Loop: Header=BB368_1052 Depth=1
	v_cmp_ne_u16_sdwa s4, v11, v67 src0_sel:BYTE_1 src1_sel:DWORD
	v_bfrev_b32_e32 v17, 1
	s_and_saveexec_b32 s18, s4
	s_cbranch_execz .LBB368_1165
; %bb.1160:                             ;   in Loop: Header=BB368_1052 Depth=1
	v_and_b32_sdwa v23, v94, v11 dst_sel:DWORD dst_unused:UNUSED_PAD src0_sel:DWORD src1_sel:BYTE_1
	v_mov_b32_e32 v17, 0x7f800001
	s_mov_b32 s19, exec_lo
	v_and_b32_e32 v18, 0x7f, v23
	v_cmpx_ne_u32_e32 0x7f, v18
	s_cbranch_execz .LBB368_1164
; %bb.1161:                             ;   in Loop: Header=BB368_1052 Depth=1
	v_and_b32_e32 v23, 7, v23
	v_mov_b32_e32 v24, v12
	v_lshrrev_b32_e32 v17, 3, v18
	s_mov_b32 s20, exec_lo
	v_cmpx_gt_u32_e32 8, v18
; %bb.1162:                             ;   in Loop: Header=BB368_1052 Depth=1
	v_ffbh_u32_e32 v17, v23
	v_min_u32_e32 v17, 32, v17
	v_subrev_nc_u32_e32 v18, 28, v17
	v_sub_nc_u32_e32 v17, 29, v17
	v_lshlrev_b64 v[23:24], v18, v[23:24]
	v_and_b32_e32 v23, 7, v23
; %bb.1163:                             ;   in Loop: Header=BB368_1052 Depth=1
	s_or_b32 exec_lo, exec_lo, s20
	v_lshlrev_b32_e32 v11, 16, v11
	v_lshlrev_b32_e32 v18, 20, v23
	v_lshl_add_u32 v17, v17, 23, 0x3c000000
	v_and_b32_e32 v11, 0x80000000, v11
	v_or3_b32 v17, v18, v11, v17
.LBB368_1164:                           ;   in Loop: Header=BB368_1052 Depth=1
	s_or_b32 exec_lo, exec_lo, s19
.LBB368_1165:                           ;   in Loop: Header=BB368_1052 Depth=1
	s_or_b32 exec_lo, exec_lo, s18
.LBB368_1166:                           ;   in Loop: Header=BB368_1052 Depth=1
	s_or_b32 exec_lo, exec_lo, s15
	v_and_b32_sdwa v11, v22, v69 dst_sel:DWORD dst_unused:UNUSED_PAD src0_sel:WORD_1 src1_sel:DWORD
	v_mov_b32_e32 v18, 0
	v_mov_b32_e32 v25, 0
	s_mov_b32 s15, exec_lo
	v_cmpx_ne_u16_e32 0, v11
	s_cbranch_execz .LBB368_1174
; %bb.1167:                             ;   in Loop: Header=BB368_1052 Depth=1
	v_bfrev_b32_e32 v25, 1
	s_mov_b32 s18, exec_lo
	v_cmpx_ne_u16_e32 0x80, v11
	s_cbranch_execz .LBB368_1173
; %bb.1168:                             ;   in Loop: Header=BB368_1052 Depth=1
	v_bfe_u32 v23, v22, 16, 7
	v_mov_b32_e32 v25, 0x7f800001
	s_mov_b32 s19, exec_lo
	v_cmpx_ne_u32_e32 0x7f, v23
	s_cbranch_execz .LBB368_1172
; %bb.1169:                             ;   in Loop: Header=BB368_1052 Depth=1
	v_mov_b32_e32 v11, 7
	v_lshrrev_b32_e32 v25, 3, v23
	v_cmp_gt_u32_e64 s4, 8, v23
	v_and_b32_sdwa v11, v22, v11 dst_sel:DWORD dst_unused:UNUSED_PAD src0_sel:WORD_1 src1_sel:DWORD
	v_mov_b32_e32 v24, v12
	v_mov_b32_e32 v23, v11
	s_and_saveexec_b32 s20, s4
; %bb.1170:                             ;   in Loop: Header=BB368_1052 Depth=1
	v_ffbh_u32_e32 v23, v11
	v_min_u32_e32 v25, 32, v23
	v_subrev_nc_u32_e32 v23, 28, v25
	v_sub_nc_u32_e32 v25, 29, v25
	v_lshlrev_b64 v[23:24], v23, v[11:12]
	v_and_b32_e32 v23, 7, v23
; %bb.1171:                             ;   in Loop: Header=BB368_1052 Depth=1
	s_or_b32 exec_lo, exec_lo, s20
	v_mov_b32_e32 v11, 24
	v_lshlrev_b32_e32 v23, 20, v23
	v_lshl_add_u32 v24, v25, 23, 0x3c000000
	v_lshlrev_b32_sdwa v11, v11, v22 dst_sel:DWORD dst_unused:UNUSED_PAD src0_sel:DWORD src1_sel:WORD_1
	v_and_b32_e32 v11, 0x80000000, v11
	v_or3_b32 v25, v23, v11, v24
.LBB368_1172:                           ;   in Loop: Header=BB368_1052 Depth=1
	s_or_b32 exec_lo, exec_lo, s19
.LBB368_1173:                           ;   in Loop: Header=BB368_1052 Depth=1
	s_or_b32 exec_lo, exec_lo, s18
.LBB368_1174:                           ;   in Loop: Header=BB368_1052 Depth=1
	s_or_b32 exec_lo, exec_lo, s15
	s_mov_b32 s15, exec_lo
	v_cmpx_lt_u64_e64 s[6:7], v[21:22]
	s_cbranch_execz .LBB368_1182
; %bb.1175:                             ;   in Loop: Header=BB368_1052 Depth=1
	v_cmp_ne_u32_sdwa s4, v22, v67 src0_sel:BYTE_3 src1_sel:DWORD
	v_bfrev_b32_e32 v18, 1
	s_and_saveexec_b32 s18, s4
	s_cbranch_execz .LBB368_1181
; %bb.1176:                             ;   in Loop: Header=BB368_1052 Depth=1
	v_bfe_u32 v21, v22, 24, 7
	v_mov_b32_e32 v18, 0x7f800001
	s_mov_b32 s19, exec_lo
	v_cmpx_ne_u32_e32 0x7f, v21
	s_cbranch_execz .LBB368_1180
; %bb.1177:                             ;   in Loop: Header=BB368_1052 Depth=1
	v_mov_b32_e32 v11, 7
	v_lshrrev_b32_e32 v18, 3, v21
	s_mov_b32 s20, exec_lo
	v_and_b32_sdwa v11, v22, v11 dst_sel:DWORD dst_unused:UNUSED_PAD src0_sel:BYTE_3 src1_sel:DWORD
	v_mov_b32_e32 v24, v12
	v_mov_b32_e32 v23, v11
	v_cmpx_gt_u32_e32 8, v21
; %bb.1178:                             ;   in Loop: Header=BB368_1052 Depth=1
	v_ffbh_u32_e32 v18, v11
	v_min_u32_e32 v18, 32, v18
	v_subrev_nc_u32_e32 v21, 28, v18
	v_sub_nc_u32_e32 v18, 29, v18
	v_lshlrev_b64 v[23:24], v21, v[11:12]
	v_and_b32_e32 v23, 7, v23
; %bb.1179:                             ;   in Loop: Header=BB368_1052 Depth=1
	s_or_b32 exec_lo, exec_lo, s20
	v_mov_b32_e32 v11, 24
	v_lshlrev_b32_e32 v21, 20, v23
	v_lshl_add_u32 v18, v18, 23, 0x3c000000
	v_lshlrev_b32_sdwa v11, v11, v22 dst_sel:DWORD dst_unused:UNUSED_PAD src0_sel:DWORD src1_sel:BYTE_3
	v_and_b32_e32 v11, 0x80000000, v11
	v_or3_b32 v18, v21, v11, v18
.LBB368_1180:                           ;   in Loop: Header=BB368_1052 Depth=1
	s_or_b32 exec_lo, exec_lo, s19
.LBB368_1181:                           ;   in Loop: Header=BB368_1052 Depth=1
	s_or_b32 exec_lo, exec_lo, s18
.LBB368_1182:                           ;   in Loop: Header=BB368_1052 Depth=1
	s_or_b32 exec_lo, exec_lo, s15
	v_mul_f32_e32 v11, v64, v17
	v_mul_f32_e32 v14, v64, v14
	;; [unrolled: 1-line block ×5, first 2 shown]
	v_bfe_u32 v17, v11, 16, 1
	v_or_b32_e32 v21, 0x400000, v11
	v_bfe_u32 v22, v14, 16, 1
	v_cmp_u_f32_e64 s4, v11, v11
	v_or_b32_e32 v23, 0x400000, v14
	v_add3_u32 v17, v17, v11, 0x7fff
	v_bfe_u32 v24, v13, 16, 1
	v_add3_u32 v22, v22, v14, 0x7fff
	v_or_b32_e32 v26, 0x400000, v13
	v_bfe_u32 v28, v10, 16, 1
	v_cndmask_b32_e64 v11, v17, v21, s4
	v_cmp_u_f32_e64 s4, v14, v14
	v_add3_u32 v24, v24, v13, 0x7fff
	v_or_b32_e32 v17, 0x400000, v10
	v_mul_f32_e32 v0, v64, v0
	v_lshrrev_b32_e32 v11, 16, v11
	v_cndmask_b32_e64 v14, v22, v23, s4
	v_cmp_u_f32_e64 s4, v13, v13
	buffer_store_dword v11, off, s[0:3], s32 offset:244 ; 4-byte Folded Spill
	v_add3_u32 v11, v28, v10, 0x7fff
	v_cndmask_b32_e64 v13, v24, v26, s4
	v_lshrrev_b32_e32 v14, 16, v14
	v_cmp_u_f32_e64 s4, v10, v10
	v_lshrrev_b32_e32 v13, 16, v13
	buffer_store_dword v14, off, s[0:3], s32 offset:240 ; 4-byte Folded Spill
	v_cndmask_b32_e64 v10, v11, v17, s4
	v_mul_f32_e32 v11, v64, v25
	v_or_b32_e32 v14, 0x400000, v1
	buffer_store_dword v13, off, s[0:3], s32 offset:252 ; 4-byte Folded Spill
	v_bfe_u32 v13, v1, 16, 1
	v_mul_f32_e32 v17, v64, v18
	v_bfe_u32 v18, v0, 16, 1
	v_cmp_u_f32_e64 s4, v1, v1
	v_bfe_u32 v21, v11, 16, 1
	v_add3_u32 v13, v13, v1, 0x7fff
	v_or_b32_e32 v22, 0x400000, v11
	v_or_b32_e32 v23, 0x400000, v17
	v_lshrrev_b32_e32 v10, 16, v10
	v_add3_u32 v21, v21, v11, 0x7fff
	v_cndmask_b32_e64 v1, v13, v14, s4
	v_add3_u32 v14, v18, v0, 0x7fff
	v_or_b32_e32 v18, 0x400000, v0
	v_cmp_u_f32_e64 s4, v0, v0
	v_bfe_u32 v13, v17, 16, 1
	v_lshrrev_b32_e32 v1, 16, v1
	buffer_store_dword v10, off, s[0:3], s32 offset:248 ; 4-byte Folded Spill
	v_cndmask_b32_e64 v0, v14, v18, s4
	v_cmp_u_f32_e64 s4, v11, v11
	v_add3_u32 v13, v13, v17, 0x7fff
	buffer_store_dword v1, off, s[0:3], s32 offset:260 ; 4-byte Folded Spill
	v_lshrrev_b32_e32 v0, 16, v0
	v_cndmask_b32_e64 v11, v21, v22, s4
	v_cmp_u_f32_e64 s4, v17, v17
	buffer_store_dword v0, off, s[0:3], s32 offset:256 ; 4-byte Folded Spill
	v_lshrrev_b32_e32 v0, 16, v11
	v_cndmask_b32_e64 v13, v13, v23, s4
	buffer_store_dword v0, off, s[0:3], s32 offset:232 ; 4-byte Folded Spill
	v_lshrrev_b32_e32 v0, 16, v13
	buffer_store_dword v0, off, s[0:3], s32 offset:236 ; 4-byte Folded Spill
	s_and_saveexec_b32 s15, vcc_lo
	s_cbranch_execz .LBB368_1184
; %bb.1183:                             ;   in Loop: Header=BB368_1052 Depth=1
	s_clause 0x1
	buffer_load_dword v0, off, s[0:3], s32 offset:192
	buffer_load_dword v1, off, s[0:3], s32 offset:256
	s_waitcnt vmcnt(1)
	v_cmp_lt_i32_e64 s4, v57, v0
	s_waitcnt vmcnt(0)
	v_cndmask_b32_e64 v1, 0, v1, s4
	v_cmp_lt_i32_e64 s4, v63, v0
	buffer_store_dword v1, off, s[0:3], s32 offset:256 ; 4-byte Folded Spill
	buffer_load_dword v1, off, s[0:3], s32 offset:260 ; 4-byte Folded Reload
	s_waitcnt vmcnt(0)
	v_cndmask_b32_e64 v1, 0, v1, s4
	v_cmp_lt_i32_e64 s4, v62, v0
	buffer_store_dword v1, off, s[0:3], s32 offset:260 ; 4-byte Folded Spill
	buffer_load_dword v1, off, s[0:3], s32 offset:248 ; 4-byte Folded Reload
	;; [unrolled: 5-line block ×6, first 2 shown]
	s_waitcnt vmcnt(0)
	v_cndmask_b32_e64 v1, 0, v1, s4
	v_cmp_lt_i32_e64 s4, v65, v0
	buffer_load_dword v0, off, s[0:3], s32 offset:236 ; 4-byte Folded Reload
	buffer_store_dword v1, off, s[0:3], s32 offset:232 ; 4-byte Folded Spill
	s_waitcnt vmcnt(0)
	v_cndmask_b32_e64 v0, 0, v0, s4
	buffer_store_dword v0, off, s[0:3], s32 offset:236 ; 4-byte Folded Spill
.LBB368_1184:                           ;   in Loop: Header=BB368_1052 Depth=1
	s_or_b32 exec_lo, exec_lo, s15
	flat_load_dwordx2 v[21:22], v[19:20] offset:512
	v_mov_b32_e32 v1, 0
	v_mov_b32_e32 v0, 0
	s_waitcnt vmcnt(0) lgkmcnt(0)
	v_cmp_ne_u16_sdwa s4, v21, v12 src0_sel:BYTE_0 src1_sel:DWORD
	s_and_saveexec_b32 s15, s4
	s_cbranch_execz .LBB368_1192
; %bb.1185:                             ;   in Loop: Header=BB368_1052 Depth=1
	v_cmp_ne_u16_sdwa s4, v21, v67 src0_sel:BYTE_0 src1_sel:DWORD
	v_bfrev_b32_e32 v0, 1
	s_and_saveexec_b32 s18, s4
	s_cbranch_execz .LBB368_1191
; %bb.1186:                             ;   in Loop: Header=BB368_1052 Depth=1
	v_and_b32_e32 v10, 0x7f, v21
	v_mov_b32_e32 v0, 0x7f800001
	s_mov_b32 s19, exec_lo
	v_cmpx_ne_u32_e32 0x7f, v10
	s_cbranch_execz .LBB368_1190
; %bb.1187:                             ;   in Loop: Header=BB368_1052 Depth=1
	v_lshrrev_b32_e32 v0, 3, v10
	v_cmp_gt_u32_e64 s4, 8, v10
	v_mov_b32_e32 v10, v21
	v_mov_b32_e32 v11, v22
	s_and_saveexec_b32 s20, s4
; %bb.1188:                             ;   in Loop: Header=BB368_1052 Depth=1
	v_and_b32_e32 v0, 7, v21
	v_ffbh_u32_e32 v0, v0
	v_min_u32_e32 v0, 32, v0
	v_subrev_nc_u32_e32 v10, 28, v0
	v_sub_nc_u32_e32 v0, 29, v0
	v_lshlrev_b64 v[10:11], v10, v[21:22]
; %bb.1189:                             ;   in Loop: Header=BB368_1052 Depth=1
	s_or_b32 exec_lo, exec_lo, s20
	v_lshlrev_b32_e32 v10, 20, v10
	v_lshlrev_b32_e32 v11, 24, v21
	v_lshl_add_u32 v0, v0, 23, 0x3c000000
	v_and_b32_e32 v10, 0x700000, v10
	v_and_b32_e32 v11, 0x80000000, v11
	v_or3_b32 v0, v10, v11, v0
.LBB368_1190:                           ;   in Loop: Header=BB368_1052 Depth=1
	s_or_b32 exec_lo, exec_lo, s19
.LBB368_1191:                           ;   in Loop: Header=BB368_1052 Depth=1
	s_or_b32 exec_lo, exec_lo, s18
.LBB368_1192:                           ;   in Loop: Header=BB368_1052 Depth=1
	s_or_b32 exec_lo, exec_lo, s15
	v_cmp_ne_u16_sdwa s4, v21, v12 src0_sel:BYTE_1 src1_sel:DWORD
	s_and_saveexec_b32 s15, s4
	s_cbranch_execz .LBB368_1200
; %bb.1193:                             ;   in Loop: Header=BB368_1052 Depth=1
	v_cmp_ne_u16_sdwa s4, v21, v67 src0_sel:BYTE_1 src1_sel:DWORD
	v_bfrev_b32_e32 v1, 1
	s_and_saveexec_b32 s18, s4
	s_cbranch_execz .LBB368_1199
; %bb.1194:                             ;   in Loop: Header=BB368_1052 Depth=1
	v_and_b32_sdwa v11, v94, v21 dst_sel:DWORD dst_unused:UNUSED_PAD src0_sel:DWORD src1_sel:BYTE_1
	v_mov_b32_e32 v1, 0x7f800001
	s_mov_b32 s19, exec_lo
	v_and_b32_e32 v10, 0x7f, v11
	v_cmpx_ne_u32_e32 0x7f, v10
	s_cbranch_execz .LBB368_1198
; %bb.1195:                             ;   in Loop: Header=BB368_1052 Depth=1
	v_and_b32_e32 v11, 7, v11
	v_mov_b32_e32 v24, v12
	v_lshrrev_b32_e32 v1, 3, v10
	s_mov_b32 s20, exec_lo
	v_mov_b32_e32 v23, v11
	v_cmpx_gt_u32_e32 8, v10
; %bb.1196:                             ;   in Loop: Header=BB368_1052 Depth=1
	v_ffbh_u32_e32 v1, v11
	v_min_u32_e32 v1, 32, v1
	v_subrev_nc_u32_e32 v10, 28, v1
	v_sub_nc_u32_e32 v1, 29, v1
	v_lshlrev_b64 v[10:11], v10, v[11:12]
	v_and_b32_e32 v23, 7, v10
; %bb.1197:                             ;   in Loop: Header=BB368_1052 Depth=1
	s_or_b32 exec_lo, exec_lo, s20
	v_lshlrev_b32_e32 v10, 16, v21
	v_lshlrev_b32_e32 v11, 20, v23
	v_lshl_add_u32 v1, v1, 23, 0x3c000000
	v_and_b32_e32 v10, 0x80000000, v10
	v_or3_b32 v1, v11, v10, v1
.LBB368_1198:                           ;   in Loop: Header=BB368_1052 Depth=1
	s_or_b32 exec_lo, exec_lo, s19
.LBB368_1199:                           ;   in Loop: Header=BB368_1052 Depth=1
	s_or_b32 exec_lo, exec_lo, s18
.LBB368_1200:                           ;   in Loop: Header=BB368_1052 Depth=1
	s_or_b32 exec_lo, exec_lo, s15
	v_and_b32_sdwa v11, v21, v69 dst_sel:DWORD dst_unused:UNUSED_PAD src0_sel:WORD_1 src1_sel:DWORD
	v_mov_b32_e32 v13, 0
	v_mov_b32_e32 v10, 0
	s_mov_b32 s15, exec_lo
	v_cmpx_ne_u16_e32 0, v11
	s_cbranch_execz .LBB368_1208
; %bb.1201:                             ;   in Loop: Header=BB368_1052 Depth=1
	v_bfrev_b32_e32 v10, 1
	s_mov_b32 s18, exec_lo
	v_cmpx_ne_u16_e32 0x80, v11
	s_cbranch_execz .LBB368_1207
; %bb.1202:                             ;   in Loop: Header=BB368_1052 Depth=1
	v_bfe_u32 v14, v21, 16, 7
	v_mov_b32_e32 v10, 0x7f800001
	s_mov_b32 s19, exec_lo
	v_cmpx_ne_u32_e32 0x7f, v14
	s_cbranch_execz .LBB368_1206
; %bb.1203:                             ;   in Loop: Header=BB368_1052 Depth=1
	v_mov_b32_e32 v10, 7
	s_mov_b32 s20, exec_lo
	v_and_b32_sdwa v11, v21, v10 dst_sel:DWORD dst_unused:UNUSED_PAD src0_sel:WORD_1 src1_sel:DWORD
	v_mov_b32_e32 v24, v12
	v_lshrrev_b32_e32 v10, 3, v14
	v_mov_b32_e32 v23, v11
	v_cmpx_gt_u32_e32 8, v14
; %bb.1204:                             ;   in Loop: Header=BB368_1052 Depth=1
	v_ffbh_u32_e32 v10, v11
	v_min_u32_e32 v10, 32, v10
	v_subrev_nc_u32_e32 v14, 28, v10
	v_sub_nc_u32_e32 v10, 29, v10
	v_lshlrev_b64 v[17:18], v14, v[11:12]
	v_and_b32_e32 v23, 7, v17
; %bb.1205:                             ;   in Loop: Header=BB368_1052 Depth=1
	s_or_b32 exec_lo, exec_lo, s20
	v_mov_b32_e32 v11, 24
	v_lshlrev_b32_e32 v14, 20, v23
	v_lshl_add_u32 v10, v10, 23, 0x3c000000
	v_lshlrev_b32_sdwa v11, v11, v21 dst_sel:DWORD dst_unused:UNUSED_PAD src0_sel:DWORD src1_sel:WORD_1
	v_and_b32_e32 v11, 0x80000000, v11
	v_or3_b32 v10, v14, v11, v10
.LBB368_1206:                           ;   in Loop: Header=BB368_1052 Depth=1
	s_or_b32 exec_lo, exec_lo, s19
.LBB368_1207:                           ;   in Loop: Header=BB368_1052 Depth=1
	s_or_b32 exec_lo, exec_lo, s18
.LBB368_1208:                           ;   in Loop: Header=BB368_1052 Depth=1
	s_or_b32 exec_lo, exec_lo, s15
	s_mov_b32 s15, exec_lo
	v_cmpx_lt_u32_e32 0xffffff, v21
	s_cbranch_execz .LBB368_1216
; %bb.1209:                             ;   in Loop: Header=BB368_1052 Depth=1
	v_cmp_ne_u32_sdwa s4, v21, v67 src0_sel:BYTE_3 src1_sel:DWORD
	v_bfrev_b32_e32 v13, 1
	s_and_saveexec_b32 s18, s4
	s_cbranch_execz .LBB368_1215
; %bb.1210:                             ;   in Loop: Header=BB368_1052 Depth=1
	v_bfe_u32 v14, v21, 24, 7
	v_mov_b32_e32 v13, 0x7f800001
	s_mov_b32 s19, exec_lo
	v_cmpx_ne_u32_e32 0x7f, v14
	s_cbranch_execz .LBB368_1214
; %bb.1211:                             ;   in Loop: Header=BB368_1052 Depth=1
	v_mov_b32_e32 v11, 7
	v_lshrrev_b32_e32 v13, 3, v14
	s_mov_b32 s20, exec_lo
	v_and_b32_sdwa v11, v21, v11 dst_sel:DWORD dst_unused:UNUSED_PAD src0_sel:BYTE_3 src1_sel:DWORD
	v_mov_b32_e32 v24, v12
	v_mov_b32_e32 v23, v11
	v_cmpx_gt_u32_e32 8, v14
; %bb.1212:                             ;   in Loop: Header=BB368_1052 Depth=1
	v_ffbh_u32_e32 v13, v11
	v_min_u32_e32 v13, 32, v13
	v_subrev_nc_u32_e32 v14, 28, v13
	v_sub_nc_u32_e32 v13, 29, v13
	v_lshlrev_b64 v[17:18], v14, v[11:12]
	v_and_b32_e32 v23, 7, v17
; %bb.1213:                             ;   in Loop: Header=BB368_1052 Depth=1
	s_or_b32 exec_lo, exec_lo, s20
	v_mov_b32_e32 v11, 24
	v_lshlrev_b32_e32 v14, 20, v23
	v_lshl_add_u32 v13, v13, 23, 0x3c000000
	v_lshlrev_b32_sdwa v11, v11, v21 dst_sel:DWORD dst_unused:UNUSED_PAD src0_sel:DWORD src1_sel:BYTE_3
	v_and_b32_e32 v11, 0x80000000, v11
	v_or3_b32 v13, v14, v11, v13
.LBB368_1214:                           ;   in Loop: Header=BB368_1052 Depth=1
	s_or_b32 exec_lo, exec_lo, s19
.LBB368_1215:                           ;   in Loop: Header=BB368_1052 Depth=1
	s_or_b32 exec_lo, exec_lo, s18
.LBB368_1216:                           ;   in Loop: Header=BB368_1052 Depth=1
	s_or_b32 exec_lo, exec_lo, s15
	v_mov_b32_e32 v11, v22
	v_cmp_ne_u16_sdwa s4, v22, v12 src0_sel:BYTE_0 src1_sel:DWORD
	v_mov_b32_e32 v17, 0
	v_mov_b32_e32 v14, 0
	s_and_saveexec_b32 s15, s4
	s_cbranch_execz .LBB368_1224
; %bb.1217:                             ;   in Loop: Header=BB368_1052 Depth=1
	v_cmp_ne_u16_sdwa s4, v22, v67 src0_sel:BYTE_0 src1_sel:DWORD
	v_bfrev_b32_e32 v14, 1
	s_and_saveexec_b32 s18, s4
	s_cbranch_execz .LBB368_1223
; %bb.1218:                             ;   in Loop: Header=BB368_1052 Depth=1
	v_and_b32_e32 v18, 0x7f, v22
	v_mov_b32_e32 v14, 0x7f800001
	s_mov_b32 s19, exec_lo
	v_cmpx_ne_u32_e32 0x7f, v18
	s_cbranch_execz .LBB368_1222
; %bb.1219:                             ;   in Loop: Header=BB368_1052 Depth=1
	v_mov_b32_e32 v24, v12
	v_lshrrev_b32_e32 v14, 3, v18
	v_mov_b32_e32 v23, v11
	s_mov_b32 s20, exec_lo
	v_cmpx_gt_u32_e32 8, v18
; %bb.1220:                             ;   in Loop: Header=BB368_1052 Depth=1
	v_and_b32_e32 v14, 7, v22
	v_ffbh_u32_e32 v14, v14
	v_min_u32_e32 v14, 32, v14
	v_subrev_nc_u32_e32 v18, 28, v14
	v_sub_nc_u32_e32 v14, 29, v14
	v_lshlrev_b64 v[23:24], v18, v[11:12]
; %bb.1221:                             ;   in Loop: Header=BB368_1052 Depth=1
	s_or_b32 exec_lo, exec_lo, s20
	v_lshlrev_b32_e32 v18, 20, v23
	v_lshlrev_b32_e32 v23, 24, v11
	v_lshl_add_u32 v14, v14, 23, 0x3c000000
	v_and_b32_e32 v18, 0x700000, v18
	v_and_b32_e32 v23, 0x80000000, v23
	v_or3_b32 v14, v18, v23, v14
.LBB368_1222:                           ;   in Loop: Header=BB368_1052 Depth=1
	s_or_b32 exec_lo, exec_lo, s19
.LBB368_1223:                           ;   in Loop: Header=BB368_1052 Depth=1
	s_or_b32 exec_lo, exec_lo, s18
.LBB368_1224:                           ;   in Loop: Header=BB368_1052 Depth=1
	s_or_b32 exec_lo, exec_lo, s15
	v_cmp_ne_u16_sdwa s4, v11, v12 src0_sel:BYTE_1 src1_sel:DWORD
	s_and_saveexec_b32 s15, s4
	s_cbranch_execz .LBB368_1232
; %bb.1225:                             ;   in Loop: Header=BB368_1052 Depth=1
	v_cmp_ne_u16_sdwa s4, v11, v67 src0_sel:BYTE_1 src1_sel:DWORD
	v_bfrev_b32_e32 v17, 1
	s_and_saveexec_b32 s18, s4
	s_cbranch_execz .LBB368_1231
; %bb.1226:                             ;   in Loop: Header=BB368_1052 Depth=1
	v_and_b32_sdwa v23, v94, v11 dst_sel:DWORD dst_unused:UNUSED_PAD src0_sel:DWORD src1_sel:BYTE_1
	v_mov_b32_e32 v17, 0x7f800001
	s_mov_b32 s19, exec_lo
	v_and_b32_e32 v18, 0x7f, v23
	v_cmpx_ne_u32_e32 0x7f, v18
	s_cbranch_execz .LBB368_1230
; %bb.1227:                             ;   in Loop: Header=BB368_1052 Depth=1
	v_and_b32_e32 v23, 7, v23
	v_mov_b32_e32 v24, v12
	v_lshrrev_b32_e32 v17, 3, v18
	s_mov_b32 s20, exec_lo
	v_cmpx_gt_u32_e32 8, v18
; %bb.1228:                             ;   in Loop: Header=BB368_1052 Depth=1
	v_ffbh_u32_e32 v17, v23
	v_min_u32_e32 v17, 32, v17
	v_subrev_nc_u32_e32 v18, 28, v17
	v_sub_nc_u32_e32 v17, 29, v17
	v_lshlrev_b64 v[23:24], v18, v[23:24]
	v_and_b32_e32 v23, 7, v23
; %bb.1229:                             ;   in Loop: Header=BB368_1052 Depth=1
	s_or_b32 exec_lo, exec_lo, s20
	v_lshlrev_b32_e32 v11, 16, v11
	v_lshlrev_b32_e32 v18, 20, v23
	v_lshl_add_u32 v17, v17, 23, 0x3c000000
	v_and_b32_e32 v11, 0x80000000, v11
	v_or3_b32 v17, v18, v11, v17
.LBB368_1230:                           ;   in Loop: Header=BB368_1052 Depth=1
	s_or_b32 exec_lo, exec_lo, s19
.LBB368_1231:                           ;   in Loop: Header=BB368_1052 Depth=1
	s_or_b32 exec_lo, exec_lo, s18
.LBB368_1232:                           ;   in Loop: Header=BB368_1052 Depth=1
	s_or_b32 exec_lo, exec_lo, s15
	v_and_b32_sdwa v11, v22, v69 dst_sel:DWORD dst_unused:UNUSED_PAD src0_sel:WORD_1 src1_sel:DWORD
	v_mov_b32_e32 v18, 0
	v_mov_b32_e32 v25, 0
	s_mov_b32 s15, exec_lo
	v_cmpx_ne_u16_e32 0, v11
	s_cbranch_execz .LBB368_1240
; %bb.1233:                             ;   in Loop: Header=BB368_1052 Depth=1
	v_bfrev_b32_e32 v25, 1
	s_mov_b32 s18, exec_lo
	v_cmpx_ne_u16_e32 0x80, v11
	s_cbranch_execz .LBB368_1239
; %bb.1234:                             ;   in Loop: Header=BB368_1052 Depth=1
	v_bfe_u32 v23, v22, 16, 7
	v_mov_b32_e32 v25, 0x7f800001
	s_mov_b32 s19, exec_lo
	v_cmpx_ne_u32_e32 0x7f, v23
	s_cbranch_execz .LBB368_1238
; %bb.1235:                             ;   in Loop: Header=BB368_1052 Depth=1
	v_mov_b32_e32 v11, 7
	v_lshrrev_b32_e32 v25, 3, v23
	v_cmp_gt_u32_e64 s4, 8, v23
	v_and_b32_sdwa v11, v22, v11 dst_sel:DWORD dst_unused:UNUSED_PAD src0_sel:WORD_1 src1_sel:DWORD
	v_mov_b32_e32 v24, v12
	v_mov_b32_e32 v23, v11
	s_and_saveexec_b32 s20, s4
; %bb.1236:                             ;   in Loop: Header=BB368_1052 Depth=1
	v_ffbh_u32_e32 v23, v11
	v_min_u32_e32 v25, 32, v23
	v_subrev_nc_u32_e32 v23, 28, v25
	v_sub_nc_u32_e32 v25, 29, v25
	v_lshlrev_b64 v[23:24], v23, v[11:12]
	v_and_b32_e32 v23, 7, v23
; %bb.1237:                             ;   in Loop: Header=BB368_1052 Depth=1
	s_or_b32 exec_lo, exec_lo, s20
	v_mov_b32_e32 v11, 24
	v_lshlrev_b32_e32 v23, 20, v23
	v_lshl_add_u32 v24, v25, 23, 0x3c000000
	v_lshlrev_b32_sdwa v11, v11, v22 dst_sel:DWORD dst_unused:UNUSED_PAD src0_sel:DWORD src1_sel:WORD_1
	v_and_b32_e32 v11, 0x80000000, v11
	v_or3_b32 v25, v23, v11, v24
.LBB368_1238:                           ;   in Loop: Header=BB368_1052 Depth=1
	s_or_b32 exec_lo, exec_lo, s19
.LBB368_1239:                           ;   in Loop: Header=BB368_1052 Depth=1
	s_or_b32 exec_lo, exec_lo, s18
.LBB368_1240:                           ;   in Loop: Header=BB368_1052 Depth=1
	s_or_b32 exec_lo, exec_lo, s15
	s_mov_b32 s15, exec_lo
	v_cmpx_lt_u64_e64 s[6:7], v[21:22]
	s_cbranch_execz .LBB368_1248
; %bb.1241:                             ;   in Loop: Header=BB368_1052 Depth=1
	v_cmp_ne_u32_sdwa s4, v22, v67 src0_sel:BYTE_3 src1_sel:DWORD
	v_bfrev_b32_e32 v18, 1
	s_and_saveexec_b32 s18, s4
	s_cbranch_execz .LBB368_1247
; %bb.1242:                             ;   in Loop: Header=BB368_1052 Depth=1
	v_bfe_u32 v21, v22, 24, 7
	v_mov_b32_e32 v18, 0x7f800001
	s_mov_b32 s19, exec_lo
	v_cmpx_ne_u32_e32 0x7f, v21
	s_cbranch_execz .LBB368_1246
; %bb.1243:                             ;   in Loop: Header=BB368_1052 Depth=1
	v_mov_b32_e32 v11, 7
	v_lshrrev_b32_e32 v18, 3, v21
	s_mov_b32 s20, exec_lo
	v_and_b32_sdwa v11, v22, v11 dst_sel:DWORD dst_unused:UNUSED_PAD src0_sel:BYTE_3 src1_sel:DWORD
	v_mov_b32_e32 v24, v12
	v_mov_b32_e32 v23, v11
	v_cmpx_gt_u32_e32 8, v21
; %bb.1244:                             ;   in Loop: Header=BB368_1052 Depth=1
	v_ffbh_u32_e32 v18, v11
	v_min_u32_e32 v18, 32, v18
	v_subrev_nc_u32_e32 v21, 28, v18
	v_sub_nc_u32_e32 v18, 29, v18
	v_lshlrev_b64 v[23:24], v21, v[11:12]
	v_and_b32_e32 v23, 7, v23
; %bb.1245:                             ;   in Loop: Header=BB368_1052 Depth=1
	s_or_b32 exec_lo, exec_lo, s20
	v_mov_b32_e32 v11, 24
	v_lshlrev_b32_e32 v21, 20, v23
	v_lshl_add_u32 v18, v18, 23, 0x3c000000
	v_lshlrev_b32_sdwa v11, v11, v22 dst_sel:DWORD dst_unused:UNUSED_PAD src0_sel:DWORD src1_sel:BYTE_3
	v_and_b32_e32 v11, 0x80000000, v11
	v_or3_b32 v18, v21, v11, v18
.LBB368_1246:                           ;   in Loop: Header=BB368_1052 Depth=1
	s_or_b32 exec_lo, exec_lo, s19
.LBB368_1247:                           ;   in Loop: Header=BB368_1052 Depth=1
	s_or_b32 exec_lo, exec_lo, s18
.LBB368_1248:                           ;   in Loop: Header=BB368_1052 Depth=1
	s_or_b32 exec_lo, exec_lo, s15
	v_mul_f32_e32 v11, v64, v17
	v_mul_f32_e32 v14, v64, v14
	;; [unrolled: 1-line block ×5, first 2 shown]
	v_bfe_u32 v17, v11, 16, 1
	v_or_b32_e32 v21, 0x400000, v11
	v_bfe_u32 v22, v14, 16, 1
	v_cmp_u_f32_e64 s4, v11, v11
	v_or_b32_e32 v23, 0x400000, v14
	v_add3_u32 v17, v17, v11, 0x7fff
	v_bfe_u32 v24, v13, 16, 1
	v_add3_u32 v22, v22, v14, 0x7fff
	v_or_b32_e32 v26, 0x400000, v13
	v_bfe_u32 v28, v10, 16, 1
	v_cndmask_b32_e64 v11, v17, v21, s4
	v_cmp_u_f32_e64 s4, v14, v14
	v_add3_u32 v24, v24, v13, 0x7fff
	v_or_b32_e32 v17, 0x400000, v10
	v_mul_f32_e32 v0, v64, v0
	v_lshrrev_b32_e32 v11, 16, v11
	v_cndmask_b32_e64 v14, v22, v23, s4
	v_cmp_u_f32_e64 s4, v13, v13
	buffer_store_dword v11, off, s[0:3], s32 offset:280 ; 4-byte Folded Spill
	v_add3_u32 v11, v28, v10, 0x7fff
	v_cndmask_b32_e64 v13, v24, v26, s4
	v_lshrrev_b32_e32 v14, 16, v14
	v_cmp_u_f32_e64 s4, v10, v10
	v_lshrrev_b32_e32 v13, 16, v13
	buffer_store_dword v14, off, s[0:3], s32 offset:276 ; 4-byte Folded Spill
	v_cndmask_b32_e64 v10, v11, v17, s4
	v_mul_f32_e32 v11, v64, v25
	v_or_b32_e32 v14, 0x400000, v1
	buffer_store_dword v13, off, s[0:3], s32 offset:288 ; 4-byte Folded Spill
	v_bfe_u32 v13, v1, 16, 1
	v_mul_f32_e32 v17, v64, v18
	v_bfe_u32 v18, v0, 16, 1
	v_cmp_u_f32_e64 s4, v1, v1
	v_bfe_u32 v21, v11, 16, 1
	v_add3_u32 v13, v13, v1, 0x7fff
	v_or_b32_e32 v22, 0x400000, v11
	v_or_b32_e32 v23, 0x400000, v17
	v_lshrrev_b32_e32 v10, 16, v10
	v_add3_u32 v21, v21, v11, 0x7fff
	v_cndmask_b32_e64 v1, v13, v14, s4
	v_add3_u32 v14, v18, v0, 0x7fff
	v_or_b32_e32 v18, 0x400000, v0
	v_cmp_u_f32_e64 s4, v0, v0
	v_bfe_u32 v13, v17, 16, 1
	v_lshrrev_b32_e32 v1, 16, v1
	buffer_store_dword v10, off, s[0:3], s32 offset:284 ; 4-byte Folded Spill
	v_cndmask_b32_e64 v0, v14, v18, s4
	v_cmp_u_f32_e64 s4, v11, v11
	v_add3_u32 v13, v13, v17, 0x7fff
	buffer_store_dword v1, off, s[0:3], s32 offset:296 ; 4-byte Folded Spill
	v_lshrrev_b32_e32 v0, 16, v0
	v_cndmask_b32_e64 v11, v21, v22, s4
	v_cmp_u_f32_e64 s4, v17, v17
	buffer_store_dword v0, off, s[0:3], s32 offset:292 ; 4-byte Folded Spill
	v_lshrrev_b32_e32 v0, 16, v11
	v_cndmask_b32_e64 v13, v13, v23, s4
	buffer_store_dword v0, off, s[0:3], s32 offset:264 ; 4-byte Folded Spill
	v_lshrrev_b32_e32 v0, 16, v13
	buffer_store_dword v0, off, s[0:3], s32 offset:272 ; 4-byte Folded Spill
	s_and_saveexec_b32 s15, vcc_lo
	s_cbranch_execz .LBB368_1250
; %bb.1249:                             ;   in Loop: Header=BB368_1052 Depth=1
	s_clause 0x1
	buffer_load_dword v0, off, s[0:3], s32 offset:192
	buffer_load_dword v1, off, s[0:3], s32 offset:292
	s_waitcnt vmcnt(1)
	v_cmp_lt_i32_e64 s4, v57, v0
	s_waitcnt vmcnt(0)
	v_cndmask_b32_e64 v1, 0, v1, s4
	v_cmp_lt_i32_e64 s4, v63, v0
	buffer_store_dword v1, off, s[0:3], s32 offset:292 ; 4-byte Folded Spill
	buffer_load_dword v1, off, s[0:3], s32 offset:296 ; 4-byte Folded Reload
	s_waitcnt vmcnt(0)
	v_cndmask_b32_e64 v1, 0, v1, s4
	v_cmp_lt_i32_e64 s4, v62, v0
	buffer_store_dword v1, off, s[0:3], s32 offset:296 ; 4-byte Folded Spill
	buffer_load_dword v1, off, s[0:3], s32 offset:284 ; 4-byte Folded Reload
	;; [unrolled: 5-line block ×6, first 2 shown]
	s_waitcnt vmcnt(0)
	v_cndmask_b32_e64 v1, 0, v1, s4
	v_cmp_lt_i32_e64 s4, v65, v0
	buffer_load_dword v0, off, s[0:3], s32 offset:272 ; 4-byte Folded Reload
	buffer_store_dword v1, off, s[0:3], s32 offset:264 ; 4-byte Folded Spill
	s_waitcnt vmcnt(0)
	v_cndmask_b32_e64 v0, 0, v0, s4
	buffer_store_dword v0, off, s[0:3], s32 offset:272 ; 4-byte Folded Spill
.LBB368_1250:                           ;   in Loop: Header=BB368_1052 Depth=1
	s_or_b32 exec_lo, exec_lo, s15
	flat_load_dwordx2 v[21:22], v[19:20] offset:768
	v_mov_b32_e32 v1, 0
	v_mov_b32_e32 v0, 0
	s_waitcnt vmcnt(0) lgkmcnt(0)
	v_cmp_ne_u16_sdwa s4, v21, v12 src0_sel:BYTE_0 src1_sel:DWORD
	s_and_saveexec_b32 s15, s4
	s_cbranch_execz .LBB368_1258
; %bb.1251:                             ;   in Loop: Header=BB368_1052 Depth=1
	v_cmp_ne_u16_sdwa s4, v21, v67 src0_sel:BYTE_0 src1_sel:DWORD
	v_bfrev_b32_e32 v0, 1
	s_and_saveexec_b32 s18, s4
	s_cbranch_execz .LBB368_1257
; %bb.1252:                             ;   in Loop: Header=BB368_1052 Depth=1
	v_and_b32_e32 v10, 0x7f, v21
	v_mov_b32_e32 v0, 0x7f800001
	s_mov_b32 s19, exec_lo
	v_cmpx_ne_u32_e32 0x7f, v10
	s_cbranch_execz .LBB368_1256
; %bb.1253:                             ;   in Loop: Header=BB368_1052 Depth=1
	v_lshrrev_b32_e32 v0, 3, v10
	v_cmp_gt_u32_e64 s4, 8, v10
	v_mov_b32_e32 v10, v21
	v_mov_b32_e32 v11, v22
	s_and_saveexec_b32 s20, s4
; %bb.1254:                             ;   in Loop: Header=BB368_1052 Depth=1
	v_and_b32_e32 v0, 7, v21
	v_ffbh_u32_e32 v0, v0
	v_min_u32_e32 v0, 32, v0
	v_subrev_nc_u32_e32 v10, 28, v0
	v_sub_nc_u32_e32 v0, 29, v0
	v_lshlrev_b64 v[10:11], v10, v[21:22]
; %bb.1255:                             ;   in Loop: Header=BB368_1052 Depth=1
	s_or_b32 exec_lo, exec_lo, s20
	v_lshlrev_b32_e32 v10, 20, v10
	v_lshlrev_b32_e32 v11, 24, v21
	v_lshl_add_u32 v0, v0, 23, 0x3c000000
	v_and_b32_e32 v10, 0x700000, v10
	v_and_b32_e32 v11, 0x80000000, v11
	v_or3_b32 v0, v10, v11, v0
.LBB368_1256:                           ;   in Loop: Header=BB368_1052 Depth=1
	s_or_b32 exec_lo, exec_lo, s19
.LBB368_1257:                           ;   in Loop: Header=BB368_1052 Depth=1
	s_or_b32 exec_lo, exec_lo, s18
.LBB368_1258:                           ;   in Loop: Header=BB368_1052 Depth=1
	s_or_b32 exec_lo, exec_lo, s15
	v_cmp_ne_u16_sdwa s4, v21, v12 src0_sel:BYTE_1 src1_sel:DWORD
	s_and_saveexec_b32 s15, s4
	s_cbranch_execz .LBB368_1266
; %bb.1259:                             ;   in Loop: Header=BB368_1052 Depth=1
	v_cmp_ne_u16_sdwa s4, v21, v67 src0_sel:BYTE_1 src1_sel:DWORD
	v_bfrev_b32_e32 v1, 1
	s_and_saveexec_b32 s18, s4
	s_cbranch_execz .LBB368_1265
; %bb.1260:                             ;   in Loop: Header=BB368_1052 Depth=1
	v_and_b32_sdwa v11, v94, v21 dst_sel:DWORD dst_unused:UNUSED_PAD src0_sel:DWORD src1_sel:BYTE_1
	v_mov_b32_e32 v1, 0x7f800001
	s_mov_b32 s19, exec_lo
	v_and_b32_e32 v10, 0x7f, v11
	v_cmpx_ne_u32_e32 0x7f, v10
	s_cbranch_execz .LBB368_1264
; %bb.1261:                             ;   in Loop: Header=BB368_1052 Depth=1
	v_and_b32_e32 v11, 7, v11
	v_mov_b32_e32 v24, v12
	v_lshrrev_b32_e32 v1, 3, v10
	s_mov_b32 s20, exec_lo
	v_mov_b32_e32 v23, v11
	v_cmpx_gt_u32_e32 8, v10
; %bb.1262:                             ;   in Loop: Header=BB368_1052 Depth=1
	v_ffbh_u32_e32 v1, v11
	v_min_u32_e32 v1, 32, v1
	v_subrev_nc_u32_e32 v10, 28, v1
	v_sub_nc_u32_e32 v1, 29, v1
	v_lshlrev_b64 v[10:11], v10, v[11:12]
	v_and_b32_e32 v23, 7, v10
; %bb.1263:                             ;   in Loop: Header=BB368_1052 Depth=1
	s_or_b32 exec_lo, exec_lo, s20
	v_lshlrev_b32_e32 v10, 16, v21
	v_lshlrev_b32_e32 v11, 20, v23
	v_lshl_add_u32 v1, v1, 23, 0x3c000000
	v_and_b32_e32 v10, 0x80000000, v10
	v_or3_b32 v1, v11, v10, v1
.LBB368_1264:                           ;   in Loop: Header=BB368_1052 Depth=1
	s_or_b32 exec_lo, exec_lo, s19
.LBB368_1265:                           ;   in Loop: Header=BB368_1052 Depth=1
	s_or_b32 exec_lo, exec_lo, s18
.LBB368_1266:                           ;   in Loop: Header=BB368_1052 Depth=1
	s_or_b32 exec_lo, exec_lo, s15
	v_and_b32_sdwa v11, v21, v69 dst_sel:DWORD dst_unused:UNUSED_PAD src0_sel:WORD_1 src1_sel:DWORD
	v_mov_b32_e32 v13, 0
	v_mov_b32_e32 v10, 0
	s_mov_b32 s15, exec_lo
	v_cmpx_ne_u16_e32 0, v11
	s_cbranch_execz .LBB368_1274
; %bb.1267:                             ;   in Loop: Header=BB368_1052 Depth=1
	v_bfrev_b32_e32 v10, 1
	s_mov_b32 s18, exec_lo
	v_cmpx_ne_u16_e32 0x80, v11
	s_cbranch_execz .LBB368_1273
; %bb.1268:                             ;   in Loop: Header=BB368_1052 Depth=1
	v_bfe_u32 v14, v21, 16, 7
	v_mov_b32_e32 v10, 0x7f800001
	s_mov_b32 s19, exec_lo
	v_cmpx_ne_u32_e32 0x7f, v14
	s_cbranch_execz .LBB368_1272
; %bb.1269:                             ;   in Loop: Header=BB368_1052 Depth=1
	v_mov_b32_e32 v10, 7
	s_mov_b32 s20, exec_lo
	v_and_b32_sdwa v11, v21, v10 dst_sel:DWORD dst_unused:UNUSED_PAD src0_sel:WORD_1 src1_sel:DWORD
	v_mov_b32_e32 v24, v12
	v_lshrrev_b32_e32 v10, 3, v14
	v_mov_b32_e32 v23, v11
	v_cmpx_gt_u32_e32 8, v14
; %bb.1270:                             ;   in Loop: Header=BB368_1052 Depth=1
	v_ffbh_u32_e32 v10, v11
	v_min_u32_e32 v10, 32, v10
	v_subrev_nc_u32_e32 v14, 28, v10
	v_sub_nc_u32_e32 v10, 29, v10
	v_lshlrev_b64 v[17:18], v14, v[11:12]
	v_and_b32_e32 v23, 7, v17
; %bb.1271:                             ;   in Loop: Header=BB368_1052 Depth=1
	s_or_b32 exec_lo, exec_lo, s20
	v_mov_b32_e32 v11, 24
	v_lshlrev_b32_e32 v14, 20, v23
	v_lshl_add_u32 v10, v10, 23, 0x3c000000
	v_lshlrev_b32_sdwa v11, v11, v21 dst_sel:DWORD dst_unused:UNUSED_PAD src0_sel:DWORD src1_sel:WORD_1
	v_and_b32_e32 v11, 0x80000000, v11
	v_or3_b32 v10, v14, v11, v10
.LBB368_1272:                           ;   in Loop: Header=BB368_1052 Depth=1
	s_or_b32 exec_lo, exec_lo, s19
.LBB368_1273:                           ;   in Loop: Header=BB368_1052 Depth=1
	s_or_b32 exec_lo, exec_lo, s18
.LBB368_1274:                           ;   in Loop: Header=BB368_1052 Depth=1
	s_or_b32 exec_lo, exec_lo, s15
	s_mov_b32 s15, exec_lo
	v_cmpx_lt_u32_e32 0xffffff, v21
	s_cbranch_execz .LBB368_1282
; %bb.1275:                             ;   in Loop: Header=BB368_1052 Depth=1
	v_cmp_ne_u32_sdwa s4, v21, v67 src0_sel:BYTE_3 src1_sel:DWORD
	v_bfrev_b32_e32 v13, 1
	s_and_saveexec_b32 s18, s4
	s_cbranch_execz .LBB368_1281
; %bb.1276:                             ;   in Loop: Header=BB368_1052 Depth=1
	v_bfe_u32 v14, v21, 24, 7
	v_mov_b32_e32 v13, 0x7f800001
	s_mov_b32 s19, exec_lo
	v_cmpx_ne_u32_e32 0x7f, v14
	s_cbranch_execz .LBB368_1280
; %bb.1277:                             ;   in Loop: Header=BB368_1052 Depth=1
	v_mov_b32_e32 v11, 7
	v_lshrrev_b32_e32 v13, 3, v14
	s_mov_b32 s20, exec_lo
	v_and_b32_sdwa v11, v21, v11 dst_sel:DWORD dst_unused:UNUSED_PAD src0_sel:BYTE_3 src1_sel:DWORD
	v_mov_b32_e32 v24, v12
	v_mov_b32_e32 v23, v11
	v_cmpx_gt_u32_e32 8, v14
; %bb.1278:                             ;   in Loop: Header=BB368_1052 Depth=1
	v_ffbh_u32_e32 v13, v11
	v_min_u32_e32 v13, 32, v13
	v_subrev_nc_u32_e32 v14, 28, v13
	v_sub_nc_u32_e32 v13, 29, v13
	v_lshlrev_b64 v[17:18], v14, v[11:12]
	v_and_b32_e32 v23, 7, v17
; %bb.1279:                             ;   in Loop: Header=BB368_1052 Depth=1
	s_or_b32 exec_lo, exec_lo, s20
	v_mov_b32_e32 v11, 24
	v_lshlrev_b32_e32 v14, 20, v23
	v_lshl_add_u32 v13, v13, 23, 0x3c000000
	v_lshlrev_b32_sdwa v11, v11, v21 dst_sel:DWORD dst_unused:UNUSED_PAD src0_sel:DWORD src1_sel:BYTE_3
	v_and_b32_e32 v11, 0x80000000, v11
	v_or3_b32 v13, v14, v11, v13
.LBB368_1280:                           ;   in Loop: Header=BB368_1052 Depth=1
	s_or_b32 exec_lo, exec_lo, s19
.LBB368_1281:                           ;   in Loop: Header=BB368_1052 Depth=1
	s_or_b32 exec_lo, exec_lo, s18
.LBB368_1282:                           ;   in Loop: Header=BB368_1052 Depth=1
	s_or_b32 exec_lo, exec_lo, s15
	v_mov_b32_e32 v11, v22
	v_cmp_ne_u16_sdwa s4, v22, v12 src0_sel:BYTE_0 src1_sel:DWORD
	v_mov_b32_e32 v17, 0
	v_mov_b32_e32 v14, 0
	s_and_saveexec_b32 s15, s4
	s_cbranch_execz .LBB368_1290
; %bb.1283:                             ;   in Loop: Header=BB368_1052 Depth=1
	v_cmp_ne_u16_sdwa s4, v22, v67 src0_sel:BYTE_0 src1_sel:DWORD
	v_bfrev_b32_e32 v14, 1
	s_and_saveexec_b32 s18, s4
	s_cbranch_execz .LBB368_1289
; %bb.1284:                             ;   in Loop: Header=BB368_1052 Depth=1
	v_and_b32_e32 v18, 0x7f, v22
	v_mov_b32_e32 v14, 0x7f800001
	s_mov_b32 s19, exec_lo
	v_cmpx_ne_u32_e32 0x7f, v18
	s_cbranch_execz .LBB368_1288
; %bb.1285:                             ;   in Loop: Header=BB368_1052 Depth=1
	v_mov_b32_e32 v24, v12
	v_lshrrev_b32_e32 v14, 3, v18
	v_mov_b32_e32 v23, v11
	s_mov_b32 s20, exec_lo
	v_cmpx_gt_u32_e32 8, v18
; %bb.1286:                             ;   in Loop: Header=BB368_1052 Depth=1
	v_and_b32_e32 v14, 7, v22
	v_ffbh_u32_e32 v14, v14
	v_min_u32_e32 v14, 32, v14
	v_subrev_nc_u32_e32 v18, 28, v14
	v_sub_nc_u32_e32 v14, 29, v14
	v_lshlrev_b64 v[23:24], v18, v[11:12]
; %bb.1287:                             ;   in Loop: Header=BB368_1052 Depth=1
	s_or_b32 exec_lo, exec_lo, s20
	v_lshlrev_b32_e32 v18, 20, v23
	v_lshlrev_b32_e32 v23, 24, v11
	v_lshl_add_u32 v14, v14, 23, 0x3c000000
	v_and_b32_e32 v18, 0x700000, v18
	v_and_b32_e32 v23, 0x80000000, v23
	v_or3_b32 v14, v18, v23, v14
.LBB368_1288:                           ;   in Loop: Header=BB368_1052 Depth=1
	s_or_b32 exec_lo, exec_lo, s19
.LBB368_1289:                           ;   in Loop: Header=BB368_1052 Depth=1
	s_or_b32 exec_lo, exec_lo, s18
.LBB368_1290:                           ;   in Loop: Header=BB368_1052 Depth=1
	s_or_b32 exec_lo, exec_lo, s15
	v_cmp_ne_u16_sdwa s4, v11, v12 src0_sel:BYTE_1 src1_sel:DWORD
	s_and_saveexec_b32 s15, s4
	s_cbranch_execz .LBB368_1298
; %bb.1291:                             ;   in Loop: Header=BB368_1052 Depth=1
	v_cmp_ne_u16_sdwa s4, v11, v67 src0_sel:BYTE_1 src1_sel:DWORD
	v_bfrev_b32_e32 v17, 1
	s_and_saveexec_b32 s18, s4
	s_cbranch_execz .LBB368_1297
; %bb.1292:                             ;   in Loop: Header=BB368_1052 Depth=1
	v_and_b32_sdwa v23, v94, v11 dst_sel:DWORD dst_unused:UNUSED_PAD src0_sel:DWORD src1_sel:BYTE_1
	v_mov_b32_e32 v17, 0x7f800001
	s_mov_b32 s19, exec_lo
	v_and_b32_e32 v18, 0x7f, v23
	v_cmpx_ne_u32_e32 0x7f, v18
	s_cbranch_execz .LBB368_1296
; %bb.1293:                             ;   in Loop: Header=BB368_1052 Depth=1
	v_and_b32_e32 v23, 7, v23
	v_mov_b32_e32 v24, v12
	v_lshrrev_b32_e32 v17, 3, v18
	s_mov_b32 s20, exec_lo
	v_cmpx_gt_u32_e32 8, v18
; %bb.1294:                             ;   in Loop: Header=BB368_1052 Depth=1
	v_ffbh_u32_e32 v17, v23
	v_min_u32_e32 v17, 32, v17
	v_subrev_nc_u32_e32 v18, 28, v17
	v_sub_nc_u32_e32 v17, 29, v17
	v_lshlrev_b64 v[23:24], v18, v[23:24]
	v_and_b32_e32 v23, 7, v23
; %bb.1295:                             ;   in Loop: Header=BB368_1052 Depth=1
	s_or_b32 exec_lo, exec_lo, s20
	v_lshlrev_b32_e32 v11, 16, v11
	v_lshlrev_b32_e32 v18, 20, v23
	v_lshl_add_u32 v17, v17, 23, 0x3c000000
	v_and_b32_e32 v11, 0x80000000, v11
	v_or3_b32 v17, v18, v11, v17
.LBB368_1296:                           ;   in Loop: Header=BB368_1052 Depth=1
	s_or_b32 exec_lo, exec_lo, s19
.LBB368_1297:                           ;   in Loop: Header=BB368_1052 Depth=1
	s_or_b32 exec_lo, exec_lo, s18
.LBB368_1298:                           ;   in Loop: Header=BB368_1052 Depth=1
	s_or_b32 exec_lo, exec_lo, s15
	v_and_b32_sdwa v11, v22, v69 dst_sel:DWORD dst_unused:UNUSED_PAD src0_sel:WORD_1 src1_sel:DWORD
	v_mov_b32_e32 v18, 0
	v_mov_b32_e32 v25, 0
	s_mov_b32 s15, exec_lo
	v_cmpx_ne_u16_e32 0, v11
	s_cbranch_execz .LBB368_1306
; %bb.1299:                             ;   in Loop: Header=BB368_1052 Depth=1
	v_bfrev_b32_e32 v25, 1
	s_mov_b32 s18, exec_lo
	v_cmpx_ne_u16_e32 0x80, v11
	s_cbranch_execz .LBB368_1305
; %bb.1300:                             ;   in Loop: Header=BB368_1052 Depth=1
	v_bfe_u32 v23, v22, 16, 7
	v_mov_b32_e32 v25, 0x7f800001
	s_mov_b32 s19, exec_lo
	v_cmpx_ne_u32_e32 0x7f, v23
	s_cbranch_execz .LBB368_1304
; %bb.1301:                             ;   in Loop: Header=BB368_1052 Depth=1
	v_mov_b32_e32 v11, 7
	v_lshrrev_b32_e32 v25, 3, v23
	v_cmp_gt_u32_e64 s4, 8, v23
	v_and_b32_sdwa v11, v22, v11 dst_sel:DWORD dst_unused:UNUSED_PAD src0_sel:WORD_1 src1_sel:DWORD
	v_mov_b32_e32 v24, v12
	v_mov_b32_e32 v23, v11
	s_and_saveexec_b32 s20, s4
; %bb.1302:                             ;   in Loop: Header=BB368_1052 Depth=1
	v_ffbh_u32_e32 v23, v11
	v_min_u32_e32 v25, 32, v23
	v_subrev_nc_u32_e32 v23, 28, v25
	v_sub_nc_u32_e32 v25, 29, v25
	v_lshlrev_b64 v[23:24], v23, v[11:12]
	v_and_b32_e32 v23, 7, v23
; %bb.1303:                             ;   in Loop: Header=BB368_1052 Depth=1
	s_or_b32 exec_lo, exec_lo, s20
	v_mov_b32_e32 v11, 24
	v_lshlrev_b32_e32 v23, 20, v23
	v_lshl_add_u32 v24, v25, 23, 0x3c000000
	v_lshlrev_b32_sdwa v11, v11, v22 dst_sel:DWORD dst_unused:UNUSED_PAD src0_sel:DWORD src1_sel:WORD_1
	v_and_b32_e32 v11, 0x80000000, v11
	v_or3_b32 v25, v23, v11, v24
.LBB368_1304:                           ;   in Loop: Header=BB368_1052 Depth=1
	s_or_b32 exec_lo, exec_lo, s19
.LBB368_1305:                           ;   in Loop: Header=BB368_1052 Depth=1
	s_or_b32 exec_lo, exec_lo, s18
.LBB368_1306:                           ;   in Loop: Header=BB368_1052 Depth=1
	s_or_b32 exec_lo, exec_lo, s15
	s_mov_b32 s15, exec_lo
	v_cmpx_lt_u64_e64 s[6:7], v[21:22]
	s_cbranch_execz .LBB368_1314
; %bb.1307:                             ;   in Loop: Header=BB368_1052 Depth=1
	v_cmp_ne_u32_sdwa s4, v22, v67 src0_sel:BYTE_3 src1_sel:DWORD
	v_bfrev_b32_e32 v18, 1
	s_and_saveexec_b32 s18, s4
	s_cbranch_execz .LBB368_1313
; %bb.1308:                             ;   in Loop: Header=BB368_1052 Depth=1
	v_bfe_u32 v21, v22, 24, 7
	v_mov_b32_e32 v18, 0x7f800001
	s_mov_b32 s19, exec_lo
	v_cmpx_ne_u32_e32 0x7f, v21
	s_cbranch_execz .LBB368_1312
; %bb.1309:                             ;   in Loop: Header=BB368_1052 Depth=1
	v_mov_b32_e32 v11, 7
	v_lshrrev_b32_e32 v18, 3, v21
	s_mov_b32 s20, exec_lo
	v_and_b32_sdwa v11, v22, v11 dst_sel:DWORD dst_unused:UNUSED_PAD src0_sel:BYTE_3 src1_sel:DWORD
	v_mov_b32_e32 v24, v12
	v_mov_b32_e32 v23, v11
	v_cmpx_gt_u32_e32 8, v21
; %bb.1310:                             ;   in Loop: Header=BB368_1052 Depth=1
	v_ffbh_u32_e32 v18, v11
	v_min_u32_e32 v18, 32, v18
	v_subrev_nc_u32_e32 v21, 28, v18
	v_sub_nc_u32_e32 v18, 29, v18
	v_lshlrev_b64 v[23:24], v21, v[11:12]
	v_and_b32_e32 v23, 7, v23
; %bb.1311:                             ;   in Loop: Header=BB368_1052 Depth=1
	s_or_b32 exec_lo, exec_lo, s20
	v_mov_b32_e32 v11, 24
	v_lshlrev_b32_e32 v21, 20, v23
	v_lshl_add_u32 v18, v18, 23, 0x3c000000
	v_lshlrev_b32_sdwa v11, v11, v22 dst_sel:DWORD dst_unused:UNUSED_PAD src0_sel:DWORD src1_sel:BYTE_3
	v_and_b32_e32 v11, 0x80000000, v11
	v_or3_b32 v18, v21, v11, v18
.LBB368_1312:                           ;   in Loop: Header=BB368_1052 Depth=1
	s_or_b32 exec_lo, exec_lo, s19
.LBB368_1313:                           ;   in Loop: Header=BB368_1052 Depth=1
	s_or_b32 exec_lo, exec_lo, s18
.LBB368_1314:                           ;   in Loop: Header=BB368_1052 Depth=1
	s_or_b32 exec_lo, exec_lo, s15
	v_mul_f32_e32 v11, v64, v17
	v_mul_f32_e32 v14, v64, v14
	;; [unrolled: 1-line block ×5, first 2 shown]
	v_bfe_u32 v17, v11, 16, 1
	v_or_b32_e32 v21, 0x400000, v11
	v_bfe_u32 v22, v14, 16, 1
	v_cmp_u_f32_e64 s4, v11, v11
	v_or_b32_e32 v23, 0x400000, v14
	v_add3_u32 v17, v17, v11, 0x7fff
	v_bfe_u32 v24, v13, 16, 1
	v_add3_u32 v22, v22, v14, 0x7fff
	v_or_b32_e32 v26, 0x400000, v13
	v_bfe_u32 v28, v10, 16, 1
	v_cndmask_b32_e64 v11, v17, v21, s4
	v_cmp_u_f32_e64 s4, v14, v14
	v_add3_u32 v24, v24, v13, 0x7fff
	v_or_b32_e32 v17, 0x400000, v10
	v_mul_f32_e32 v0, v64, v0
	v_lshrrev_b32_e32 v11, 16, v11
	v_cndmask_b32_e64 v14, v22, v23, s4
	v_cmp_u_f32_e64 s4, v13, v13
	buffer_store_dword v11, off, s[0:3], s32 offset:316 ; 4-byte Folded Spill
	v_add3_u32 v11, v28, v10, 0x7fff
	v_cndmask_b32_e64 v13, v24, v26, s4
	v_lshrrev_b32_e32 v14, 16, v14
	v_cmp_u_f32_e64 s4, v10, v10
	v_lshrrev_b32_e32 v13, 16, v13
	buffer_store_dword v14, off, s[0:3], s32 offset:304 ; 4-byte Folded Spill
	v_cndmask_b32_e64 v10, v11, v17, s4
	v_mul_f32_e32 v11, v64, v25
	v_or_b32_e32 v14, 0x400000, v1
	buffer_store_dword v13, off, s[0:3], s32 offset:320 ; 4-byte Folded Spill
	v_bfe_u32 v13, v1, 16, 1
	v_mul_f32_e32 v17, v64, v18
	v_bfe_u32 v18, v0, 16, 1
	v_cmp_u_f32_e64 s4, v1, v1
	v_bfe_u32 v21, v11, 16, 1
	v_add3_u32 v13, v13, v1, 0x7fff
	v_or_b32_e32 v22, 0x400000, v11
	v_or_b32_e32 v23, 0x400000, v17
	v_lshrrev_b32_e32 v10, 16, v10
	v_add3_u32 v21, v21, v11, 0x7fff
	v_cndmask_b32_e64 v1, v13, v14, s4
	v_add3_u32 v14, v18, v0, 0x7fff
	v_or_b32_e32 v18, 0x400000, v0
	v_cmp_u_f32_e64 s4, v0, v0
	v_bfe_u32 v13, v17, 16, 1
	v_lshrrev_b32_e32 v1, 16, v1
	buffer_store_dword v10, off, s[0:3], s32 offset:324 ; 4-byte Folded Spill
	v_cndmask_b32_e64 v0, v14, v18, s4
	v_cmp_u_f32_e64 s4, v11, v11
	v_add3_u32 v13, v13, v17, 0x7fff
	buffer_store_dword v1, off, s[0:3], s32 offset:332 ; 4-byte Folded Spill
	v_lshrrev_b32_e32 v0, 16, v0
	v_cndmask_b32_e64 v11, v21, v22, s4
	v_cmp_u_f32_e64 s4, v17, v17
	buffer_store_dword v0, off, s[0:3], s32 offset:328 ; 4-byte Folded Spill
	v_lshrrev_b32_e32 v0, 16, v11
	v_cndmask_b32_e64 v13, v13, v23, s4
	buffer_store_dword v0, off, s[0:3], s32 offset:300 ; 4-byte Folded Spill
	v_lshrrev_b32_e32 v0, 16, v13
	buffer_store_dword v0, off, s[0:3], s32 offset:312 ; 4-byte Folded Spill
	s_and_saveexec_b32 s15, vcc_lo
	s_cbranch_execz .LBB368_1316
; %bb.1315:                             ;   in Loop: Header=BB368_1052 Depth=1
	s_clause 0x1
	buffer_load_dword v0, off, s[0:3], s32 offset:192
	buffer_load_dword v1, off, s[0:3], s32 offset:328
	s_waitcnt vmcnt(1)
	v_cmp_lt_i32_e64 s4, v57, v0
	s_waitcnt vmcnt(0)
	v_cndmask_b32_e64 v1, 0, v1, s4
	v_cmp_lt_i32_e64 s4, v63, v0
	buffer_store_dword v1, off, s[0:3], s32 offset:328 ; 4-byte Folded Spill
	buffer_load_dword v1, off, s[0:3], s32 offset:332 ; 4-byte Folded Reload
	s_waitcnt vmcnt(0)
	v_cndmask_b32_e64 v1, 0, v1, s4
	v_cmp_lt_i32_e64 s4, v62, v0
	buffer_store_dword v1, off, s[0:3], s32 offset:332 ; 4-byte Folded Spill
	buffer_load_dword v1, off, s[0:3], s32 offset:324 ; 4-byte Folded Reload
	;; [unrolled: 5-line block ×6, first 2 shown]
	s_waitcnt vmcnt(0)
	v_cndmask_b32_e64 v1, 0, v1, s4
	v_cmp_lt_i32_e64 s4, v65, v0
	buffer_load_dword v0, off, s[0:3], s32 offset:312 ; 4-byte Folded Reload
	buffer_store_dword v1, off, s[0:3], s32 offset:300 ; 4-byte Folded Spill
	s_waitcnt vmcnt(0)
	v_cndmask_b32_e64 v0, 0, v0, s4
	buffer_store_dword v0, off, s[0:3], s32 offset:312 ; 4-byte Folded Spill
.LBB368_1316:                           ;   in Loop: Header=BB368_1052 Depth=1
	s_or_b32 exec_lo, exec_lo, s15
	flat_load_dwordx2 v[21:22], v[19:20] offset:1024
	v_mov_b32_e32 v1, 0
	v_mov_b32_e32 v0, 0
	s_waitcnt vmcnt(0) lgkmcnt(0)
	v_cmp_ne_u16_sdwa s4, v21, v12 src0_sel:BYTE_0 src1_sel:DWORD
	s_and_saveexec_b32 s15, s4
	s_cbranch_execz .LBB368_1324
; %bb.1317:                             ;   in Loop: Header=BB368_1052 Depth=1
	v_cmp_ne_u16_sdwa s4, v21, v67 src0_sel:BYTE_0 src1_sel:DWORD
	v_bfrev_b32_e32 v0, 1
	s_and_saveexec_b32 s18, s4
	s_cbranch_execz .LBB368_1323
; %bb.1318:                             ;   in Loop: Header=BB368_1052 Depth=1
	v_and_b32_e32 v10, 0x7f, v21
	v_mov_b32_e32 v0, 0x7f800001
	s_mov_b32 s19, exec_lo
	v_cmpx_ne_u32_e32 0x7f, v10
	s_cbranch_execz .LBB368_1322
; %bb.1319:                             ;   in Loop: Header=BB368_1052 Depth=1
	v_lshrrev_b32_e32 v0, 3, v10
	v_cmp_gt_u32_e64 s4, 8, v10
	v_mov_b32_e32 v10, v21
	v_mov_b32_e32 v11, v22
	s_and_saveexec_b32 s20, s4
; %bb.1320:                             ;   in Loop: Header=BB368_1052 Depth=1
	v_and_b32_e32 v0, 7, v21
	v_ffbh_u32_e32 v0, v0
	v_min_u32_e32 v0, 32, v0
	v_subrev_nc_u32_e32 v10, 28, v0
	v_sub_nc_u32_e32 v0, 29, v0
	v_lshlrev_b64 v[10:11], v10, v[21:22]
; %bb.1321:                             ;   in Loop: Header=BB368_1052 Depth=1
	s_or_b32 exec_lo, exec_lo, s20
	v_lshlrev_b32_e32 v10, 20, v10
	v_lshlrev_b32_e32 v11, 24, v21
	v_lshl_add_u32 v0, v0, 23, 0x3c000000
	v_and_b32_e32 v10, 0x700000, v10
	v_and_b32_e32 v11, 0x80000000, v11
	v_or3_b32 v0, v10, v11, v0
.LBB368_1322:                           ;   in Loop: Header=BB368_1052 Depth=1
	s_or_b32 exec_lo, exec_lo, s19
.LBB368_1323:                           ;   in Loop: Header=BB368_1052 Depth=1
	s_or_b32 exec_lo, exec_lo, s18
.LBB368_1324:                           ;   in Loop: Header=BB368_1052 Depth=1
	s_or_b32 exec_lo, exec_lo, s15
	v_cmp_ne_u16_sdwa s4, v21, v12 src0_sel:BYTE_1 src1_sel:DWORD
	s_and_saveexec_b32 s15, s4
	s_cbranch_execz .LBB368_1332
; %bb.1325:                             ;   in Loop: Header=BB368_1052 Depth=1
	v_cmp_ne_u16_sdwa s4, v21, v67 src0_sel:BYTE_1 src1_sel:DWORD
	v_bfrev_b32_e32 v1, 1
	s_and_saveexec_b32 s18, s4
	s_cbranch_execz .LBB368_1331
; %bb.1326:                             ;   in Loop: Header=BB368_1052 Depth=1
	v_and_b32_sdwa v11, v94, v21 dst_sel:DWORD dst_unused:UNUSED_PAD src0_sel:DWORD src1_sel:BYTE_1
	v_mov_b32_e32 v1, 0x7f800001
	s_mov_b32 s19, exec_lo
	v_and_b32_e32 v10, 0x7f, v11
	v_cmpx_ne_u32_e32 0x7f, v10
	s_cbranch_execz .LBB368_1330
; %bb.1327:                             ;   in Loop: Header=BB368_1052 Depth=1
	v_and_b32_e32 v11, 7, v11
	v_mov_b32_e32 v24, v12
	v_lshrrev_b32_e32 v1, 3, v10
	s_mov_b32 s20, exec_lo
	v_mov_b32_e32 v23, v11
	v_cmpx_gt_u32_e32 8, v10
; %bb.1328:                             ;   in Loop: Header=BB368_1052 Depth=1
	v_ffbh_u32_e32 v1, v11
	v_min_u32_e32 v1, 32, v1
	v_subrev_nc_u32_e32 v10, 28, v1
	v_sub_nc_u32_e32 v1, 29, v1
	v_lshlrev_b64 v[10:11], v10, v[11:12]
	v_and_b32_e32 v23, 7, v10
; %bb.1329:                             ;   in Loop: Header=BB368_1052 Depth=1
	s_or_b32 exec_lo, exec_lo, s20
	v_lshlrev_b32_e32 v10, 16, v21
	v_lshlrev_b32_e32 v11, 20, v23
	v_lshl_add_u32 v1, v1, 23, 0x3c000000
	v_and_b32_e32 v10, 0x80000000, v10
	v_or3_b32 v1, v11, v10, v1
.LBB368_1330:                           ;   in Loop: Header=BB368_1052 Depth=1
	s_or_b32 exec_lo, exec_lo, s19
.LBB368_1331:                           ;   in Loop: Header=BB368_1052 Depth=1
	s_or_b32 exec_lo, exec_lo, s18
.LBB368_1332:                           ;   in Loop: Header=BB368_1052 Depth=1
	s_or_b32 exec_lo, exec_lo, s15
	v_and_b32_sdwa v11, v21, v69 dst_sel:DWORD dst_unused:UNUSED_PAD src0_sel:WORD_1 src1_sel:DWORD
	v_mov_b32_e32 v13, 0
	v_mov_b32_e32 v10, 0
	s_mov_b32 s15, exec_lo
	v_cmpx_ne_u16_e32 0, v11
	s_cbranch_execz .LBB368_1340
; %bb.1333:                             ;   in Loop: Header=BB368_1052 Depth=1
	v_bfrev_b32_e32 v10, 1
	s_mov_b32 s18, exec_lo
	v_cmpx_ne_u16_e32 0x80, v11
	s_cbranch_execz .LBB368_1339
; %bb.1334:                             ;   in Loop: Header=BB368_1052 Depth=1
	v_bfe_u32 v14, v21, 16, 7
	v_mov_b32_e32 v10, 0x7f800001
	s_mov_b32 s19, exec_lo
	v_cmpx_ne_u32_e32 0x7f, v14
	s_cbranch_execz .LBB368_1338
; %bb.1335:                             ;   in Loop: Header=BB368_1052 Depth=1
	v_mov_b32_e32 v10, 7
	s_mov_b32 s20, exec_lo
	v_and_b32_sdwa v11, v21, v10 dst_sel:DWORD dst_unused:UNUSED_PAD src0_sel:WORD_1 src1_sel:DWORD
	v_mov_b32_e32 v24, v12
	v_lshrrev_b32_e32 v10, 3, v14
	v_mov_b32_e32 v23, v11
	v_cmpx_gt_u32_e32 8, v14
; %bb.1336:                             ;   in Loop: Header=BB368_1052 Depth=1
	v_ffbh_u32_e32 v10, v11
	v_min_u32_e32 v10, 32, v10
	v_subrev_nc_u32_e32 v14, 28, v10
	v_sub_nc_u32_e32 v10, 29, v10
	v_lshlrev_b64 v[17:18], v14, v[11:12]
	v_and_b32_e32 v23, 7, v17
; %bb.1337:                             ;   in Loop: Header=BB368_1052 Depth=1
	s_or_b32 exec_lo, exec_lo, s20
	v_mov_b32_e32 v11, 24
	v_lshlrev_b32_e32 v14, 20, v23
	v_lshl_add_u32 v10, v10, 23, 0x3c000000
	v_lshlrev_b32_sdwa v11, v11, v21 dst_sel:DWORD dst_unused:UNUSED_PAD src0_sel:DWORD src1_sel:WORD_1
	v_and_b32_e32 v11, 0x80000000, v11
	v_or3_b32 v10, v14, v11, v10
.LBB368_1338:                           ;   in Loop: Header=BB368_1052 Depth=1
	s_or_b32 exec_lo, exec_lo, s19
.LBB368_1339:                           ;   in Loop: Header=BB368_1052 Depth=1
	s_or_b32 exec_lo, exec_lo, s18
.LBB368_1340:                           ;   in Loop: Header=BB368_1052 Depth=1
	s_or_b32 exec_lo, exec_lo, s15
	s_mov_b32 s15, exec_lo
	v_cmpx_lt_u32_e32 0xffffff, v21
	s_cbranch_execz .LBB368_1348
; %bb.1341:                             ;   in Loop: Header=BB368_1052 Depth=1
	v_cmp_ne_u32_sdwa s4, v21, v67 src0_sel:BYTE_3 src1_sel:DWORD
	v_bfrev_b32_e32 v13, 1
	s_and_saveexec_b32 s18, s4
	s_cbranch_execz .LBB368_1347
; %bb.1342:                             ;   in Loop: Header=BB368_1052 Depth=1
	v_bfe_u32 v14, v21, 24, 7
	v_mov_b32_e32 v13, 0x7f800001
	s_mov_b32 s19, exec_lo
	v_cmpx_ne_u32_e32 0x7f, v14
	s_cbranch_execz .LBB368_1346
; %bb.1343:                             ;   in Loop: Header=BB368_1052 Depth=1
	v_mov_b32_e32 v11, 7
	v_lshrrev_b32_e32 v13, 3, v14
	s_mov_b32 s20, exec_lo
	v_and_b32_sdwa v11, v21, v11 dst_sel:DWORD dst_unused:UNUSED_PAD src0_sel:BYTE_3 src1_sel:DWORD
	v_mov_b32_e32 v24, v12
	v_mov_b32_e32 v23, v11
	v_cmpx_gt_u32_e32 8, v14
; %bb.1344:                             ;   in Loop: Header=BB368_1052 Depth=1
	v_ffbh_u32_e32 v13, v11
	v_min_u32_e32 v13, 32, v13
	v_subrev_nc_u32_e32 v14, 28, v13
	v_sub_nc_u32_e32 v13, 29, v13
	v_lshlrev_b64 v[17:18], v14, v[11:12]
	v_and_b32_e32 v23, 7, v17
; %bb.1345:                             ;   in Loop: Header=BB368_1052 Depth=1
	s_or_b32 exec_lo, exec_lo, s20
	v_mov_b32_e32 v11, 24
	v_lshlrev_b32_e32 v14, 20, v23
	v_lshl_add_u32 v13, v13, 23, 0x3c000000
	v_lshlrev_b32_sdwa v11, v11, v21 dst_sel:DWORD dst_unused:UNUSED_PAD src0_sel:DWORD src1_sel:BYTE_3
	v_and_b32_e32 v11, 0x80000000, v11
	v_or3_b32 v13, v14, v11, v13
.LBB368_1346:                           ;   in Loop: Header=BB368_1052 Depth=1
	s_or_b32 exec_lo, exec_lo, s19
.LBB368_1347:                           ;   in Loop: Header=BB368_1052 Depth=1
	s_or_b32 exec_lo, exec_lo, s18
.LBB368_1348:                           ;   in Loop: Header=BB368_1052 Depth=1
	s_or_b32 exec_lo, exec_lo, s15
	v_mov_b32_e32 v11, v22
	v_cmp_ne_u16_sdwa s4, v22, v12 src0_sel:BYTE_0 src1_sel:DWORD
	v_mov_b32_e32 v17, 0
	v_mov_b32_e32 v14, 0
	s_and_saveexec_b32 s15, s4
	s_cbranch_execz .LBB368_1356
; %bb.1349:                             ;   in Loop: Header=BB368_1052 Depth=1
	v_cmp_ne_u16_sdwa s4, v22, v67 src0_sel:BYTE_0 src1_sel:DWORD
	v_bfrev_b32_e32 v14, 1
	s_and_saveexec_b32 s18, s4
	s_cbranch_execz .LBB368_1355
; %bb.1350:                             ;   in Loop: Header=BB368_1052 Depth=1
	v_and_b32_e32 v18, 0x7f, v22
	v_mov_b32_e32 v14, 0x7f800001
	s_mov_b32 s19, exec_lo
	v_cmpx_ne_u32_e32 0x7f, v18
	s_cbranch_execz .LBB368_1354
; %bb.1351:                             ;   in Loop: Header=BB368_1052 Depth=1
	v_mov_b32_e32 v24, v12
	v_lshrrev_b32_e32 v14, 3, v18
	v_mov_b32_e32 v23, v11
	s_mov_b32 s20, exec_lo
	v_cmpx_gt_u32_e32 8, v18
; %bb.1352:                             ;   in Loop: Header=BB368_1052 Depth=1
	v_and_b32_e32 v14, 7, v22
	v_ffbh_u32_e32 v14, v14
	v_min_u32_e32 v14, 32, v14
	v_subrev_nc_u32_e32 v18, 28, v14
	v_sub_nc_u32_e32 v14, 29, v14
	v_lshlrev_b64 v[23:24], v18, v[11:12]
; %bb.1353:                             ;   in Loop: Header=BB368_1052 Depth=1
	s_or_b32 exec_lo, exec_lo, s20
	v_lshlrev_b32_e32 v18, 20, v23
	v_lshlrev_b32_e32 v23, 24, v11
	v_lshl_add_u32 v14, v14, 23, 0x3c000000
	v_and_b32_e32 v18, 0x700000, v18
	v_and_b32_e32 v23, 0x80000000, v23
	v_or3_b32 v14, v18, v23, v14
.LBB368_1354:                           ;   in Loop: Header=BB368_1052 Depth=1
	s_or_b32 exec_lo, exec_lo, s19
.LBB368_1355:                           ;   in Loop: Header=BB368_1052 Depth=1
	s_or_b32 exec_lo, exec_lo, s18
.LBB368_1356:                           ;   in Loop: Header=BB368_1052 Depth=1
	s_or_b32 exec_lo, exec_lo, s15
	v_cmp_ne_u16_sdwa s4, v11, v12 src0_sel:BYTE_1 src1_sel:DWORD
	s_and_saveexec_b32 s15, s4
	s_cbranch_execz .LBB368_1364
; %bb.1357:                             ;   in Loop: Header=BB368_1052 Depth=1
	v_cmp_ne_u16_sdwa s4, v11, v67 src0_sel:BYTE_1 src1_sel:DWORD
	v_bfrev_b32_e32 v17, 1
	s_and_saveexec_b32 s18, s4
	s_cbranch_execz .LBB368_1363
; %bb.1358:                             ;   in Loop: Header=BB368_1052 Depth=1
	v_and_b32_sdwa v23, v94, v11 dst_sel:DWORD dst_unused:UNUSED_PAD src0_sel:DWORD src1_sel:BYTE_1
	v_mov_b32_e32 v17, 0x7f800001
	s_mov_b32 s19, exec_lo
	v_and_b32_e32 v18, 0x7f, v23
	v_cmpx_ne_u32_e32 0x7f, v18
	s_cbranch_execz .LBB368_1362
; %bb.1359:                             ;   in Loop: Header=BB368_1052 Depth=1
	v_and_b32_e32 v23, 7, v23
	v_mov_b32_e32 v24, v12
	v_lshrrev_b32_e32 v17, 3, v18
	s_mov_b32 s20, exec_lo
	v_cmpx_gt_u32_e32 8, v18
; %bb.1360:                             ;   in Loop: Header=BB368_1052 Depth=1
	v_ffbh_u32_e32 v17, v23
	v_min_u32_e32 v17, 32, v17
	v_subrev_nc_u32_e32 v18, 28, v17
	v_sub_nc_u32_e32 v17, 29, v17
	v_lshlrev_b64 v[23:24], v18, v[23:24]
	v_and_b32_e32 v23, 7, v23
; %bb.1361:                             ;   in Loop: Header=BB368_1052 Depth=1
	s_or_b32 exec_lo, exec_lo, s20
	v_lshlrev_b32_e32 v11, 16, v11
	v_lshlrev_b32_e32 v18, 20, v23
	v_lshl_add_u32 v17, v17, 23, 0x3c000000
	v_and_b32_e32 v11, 0x80000000, v11
	v_or3_b32 v17, v18, v11, v17
.LBB368_1362:                           ;   in Loop: Header=BB368_1052 Depth=1
	s_or_b32 exec_lo, exec_lo, s19
.LBB368_1363:                           ;   in Loop: Header=BB368_1052 Depth=1
	s_or_b32 exec_lo, exec_lo, s18
.LBB368_1364:                           ;   in Loop: Header=BB368_1052 Depth=1
	s_or_b32 exec_lo, exec_lo, s15
	v_and_b32_sdwa v11, v22, v69 dst_sel:DWORD dst_unused:UNUSED_PAD src0_sel:WORD_1 src1_sel:DWORD
	v_mov_b32_e32 v18, 0
	v_mov_b32_e32 v25, 0
	s_mov_b32 s15, exec_lo
	v_cmpx_ne_u16_e32 0, v11
	s_cbranch_execz .LBB368_1372
; %bb.1365:                             ;   in Loop: Header=BB368_1052 Depth=1
	v_bfrev_b32_e32 v25, 1
	s_mov_b32 s18, exec_lo
	v_cmpx_ne_u16_e32 0x80, v11
	s_cbranch_execz .LBB368_1371
; %bb.1366:                             ;   in Loop: Header=BB368_1052 Depth=1
	v_bfe_u32 v23, v22, 16, 7
	v_mov_b32_e32 v25, 0x7f800001
	s_mov_b32 s19, exec_lo
	v_cmpx_ne_u32_e32 0x7f, v23
	s_cbranch_execz .LBB368_1370
; %bb.1367:                             ;   in Loop: Header=BB368_1052 Depth=1
	v_mov_b32_e32 v11, 7
	v_lshrrev_b32_e32 v25, 3, v23
	v_cmp_gt_u32_e64 s4, 8, v23
	v_and_b32_sdwa v11, v22, v11 dst_sel:DWORD dst_unused:UNUSED_PAD src0_sel:WORD_1 src1_sel:DWORD
	v_mov_b32_e32 v24, v12
	v_mov_b32_e32 v23, v11
	s_and_saveexec_b32 s20, s4
; %bb.1368:                             ;   in Loop: Header=BB368_1052 Depth=1
	v_ffbh_u32_e32 v23, v11
	v_min_u32_e32 v25, 32, v23
	v_subrev_nc_u32_e32 v23, 28, v25
	v_sub_nc_u32_e32 v25, 29, v25
	v_lshlrev_b64 v[23:24], v23, v[11:12]
	v_and_b32_e32 v23, 7, v23
; %bb.1369:                             ;   in Loop: Header=BB368_1052 Depth=1
	s_or_b32 exec_lo, exec_lo, s20
	v_mov_b32_e32 v11, 24
	v_lshlrev_b32_e32 v23, 20, v23
	v_lshl_add_u32 v24, v25, 23, 0x3c000000
	v_lshlrev_b32_sdwa v11, v11, v22 dst_sel:DWORD dst_unused:UNUSED_PAD src0_sel:DWORD src1_sel:WORD_1
	v_and_b32_e32 v11, 0x80000000, v11
	v_or3_b32 v25, v23, v11, v24
.LBB368_1370:                           ;   in Loop: Header=BB368_1052 Depth=1
	s_or_b32 exec_lo, exec_lo, s19
.LBB368_1371:                           ;   in Loop: Header=BB368_1052 Depth=1
	s_or_b32 exec_lo, exec_lo, s18
.LBB368_1372:                           ;   in Loop: Header=BB368_1052 Depth=1
	s_or_b32 exec_lo, exec_lo, s15
	s_mov_b32 s15, exec_lo
	v_cmpx_lt_u64_e64 s[6:7], v[21:22]
	s_cbranch_execz .LBB368_1380
; %bb.1373:                             ;   in Loop: Header=BB368_1052 Depth=1
	v_cmp_ne_u32_sdwa s4, v22, v67 src0_sel:BYTE_3 src1_sel:DWORD
	v_bfrev_b32_e32 v18, 1
	s_and_saveexec_b32 s18, s4
	s_cbranch_execz .LBB368_1379
; %bb.1374:                             ;   in Loop: Header=BB368_1052 Depth=1
	v_bfe_u32 v21, v22, 24, 7
	v_mov_b32_e32 v18, 0x7f800001
	s_mov_b32 s19, exec_lo
	v_cmpx_ne_u32_e32 0x7f, v21
	s_cbranch_execz .LBB368_1378
; %bb.1375:                             ;   in Loop: Header=BB368_1052 Depth=1
	v_mov_b32_e32 v11, 7
	v_lshrrev_b32_e32 v18, 3, v21
	s_mov_b32 s20, exec_lo
	v_and_b32_sdwa v11, v22, v11 dst_sel:DWORD dst_unused:UNUSED_PAD src0_sel:BYTE_3 src1_sel:DWORD
	v_mov_b32_e32 v24, v12
	v_mov_b32_e32 v23, v11
	v_cmpx_gt_u32_e32 8, v21
; %bb.1376:                             ;   in Loop: Header=BB368_1052 Depth=1
	v_ffbh_u32_e32 v18, v11
	v_min_u32_e32 v18, 32, v18
	v_subrev_nc_u32_e32 v21, 28, v18
	v_sub_nc_u32_e32 v18, 29, v18
	v_lshlrev_b64 v[23:24], v21, v[11:12]
	v_and_b32_e32 v23, 7, v23
; %bb.1377:                             ;   in Loop: Header=BB368_1052 Depth=1
	s_or_b32 exec_lo, exec_lo, s20
	v_mov_b32_e32 v11, 24
	v_lshlrev_b32_e32 v21, 20, v23
	v_lshl_add_u32 v18, v18, 23, 0x3c000000
	v_lshlrev_b32_sdwa v11, v11, v22 dst_sel:DWORD dst_unused:UNUSED_PAD src0_sel:DWORD src1_sel:BYTE_3
	v_and_b32_e32 v11, 0x80000000, v11
	v_or3_b32 v18, v21, v11, v18
.LBB368_1378:                           ;   in Loop: Header=BB368_1052 Depth=1
	s_or_b32 exec_lo, exec_lo, s19
.LBB368_1379:                           ;   in Loop: Header=BB368_1052 Depth=1
	s_or_b32 exec_lo, exec_lo, s18
.LBB368_1380:                           ;   in Loop: Header=BB368_1052 Depth=1
	s_or_b32 exec_lo, exec_lo, s15
	v_mul_f32_e32 v11, v64, v17
	v_mul_f32_e32 v14, v64, v14
	v_mul_f32_e32 v13, v64, v13
	v_mul_f32_e32 v10, v64, v10
	v_mul_f32_e32 v1, v64, v1
	v_bfe_u32 v17, v11, 16, 1
	v_or_b32_e32 v21, 0x400000, v11
	v_bfe_u32 v22, v14, 16, 1
	v_cmp_u_f32_e64 s4, v11, v11
	v_or_b32_e32 v23, 0x400000, v14
	v_add3_u32 v17, v17, v11, 0x7fff
	v_bfe_u32 v24, v13, 16, 1
	v_add3_u32 v22, v22, v14, 0x7fff
	v_or_b32_e32 v26, 0x400000, v13
	v_bfe_u32 v28, v10, 16, 1
	v_cndmask_b32_e64 v11, v17, v21, s4
	v_cmp_u_f32_e64 s4, v14, v14
	v_add3_u32 v24, v24, v13, 0x7fff
	v_or_b32_e32 v17, 0x400000, v10
	v_mul_f32_e32 v0, v64, v0
	v_lshrrev_b32_e32 v11, 16, v11
	v_cndmask_b32_e64 v14, v22, v23, s4
	v_cmp_u_f32_e64 s4, v13, v13
	buffer_store_dword v11, off, s[0:3], s32 offset:340 ; 4-byte Folded Spill
	v_add3_u32 v11, v28, v10, 0x7fff
	v_cndmask_b32_e64 v13, v24, v26, s4
	v_lshrrev_b32_e32 v14, 16, v14
	v_cmp_u_f32_e64 s4, v10, v10
	v_lshrrev_b32_e32 v13, 16, v13
	buffer_store_dword v14, off, s[0:3], s32 offset:336 ; 4-byte Folded Spill
	v_cndmask_b32_e64 v10, v11, v17, s4
	v_mul_f32_e32 v11, v64, v25
	v_or_b32_e32 v14, 0x400000, v1
	buffer_store_dword v13, off, s[0:3], s32 offset:352 ; 4-byte Folded Spill
	v_bfe_u32 v13, v1, 16, 1
	v_mul_f32_e32 v17, v64, v18
	v_bfe_u32 v18, v0, 16, 1
	v_cmp_u_f32_e64 s4, v1, v1
	v_bfe_u32 v21, v11, 16, 1
	v_add3_u32 v13, v13, v1, 0x7fff
	v_or_b32_e32 v22, 0x400000, v11
	v_or_b32_e32 v23, 0x400000, v17
	v_lshrrev_b32_e32 v10, 16, v10
	v_add3_u32 v21, v21, v11, 0x7fff
	v_cndmask_b32_e64 v1, v13, v14, s4
	v_add3_u32 v14, v18, v0, 0x7fff
	v_or_b32_e32 v18, 0x400000, v0
	v_cmp_u_f32_e64 s4, v0, v0
	v_bfe_u32 v13, v17, 16, 1
	v_lshrrev_b32_e32 v1, 16, v1
	buffer_store_dword v10, off, s[0:3], s32 offset:356 ; 4-byte Folded Spill
	v_cndmask_b32_e64 v0, v14, v18, s4
	v_cmp_u_f32_e64 s4, v11, v11
	v_add3_u32 v13, v13, v17, 0x7fff
	buffer_store_dword v1, off, s[0:3], s32 offset:364 ; 4-byte Folded Spill
	v_lshrrev_b32_e32 v0, 16, v0
	v_cndmask_b32_e64 v11, v21, v22, s4
	v_cmp_u_f32_e64 s4, v17, v17
	buffer_store_dword v0, off, s[0:3], s32 offset:360 ; 4-byte Folded Spill
	v_lshrrev_b32_e32 v0, 16, v11
	v_cndmask_b32_e64 v13, v13, v23, s4
	buffer_store_dword v0, off, s[0:3], s32 offset:344 ; 4-byte Folded Spill
	v_lshrrev_b32_e32 v0, 16, v13
	buffer_store_dword v0, off, s[0:3], s32 offset:348 ; 4-byte Folded Spill
	s_and_saveexec_b32 s15, vcc_lo
	s_cbranch_execz .LBB368_1382
; %bb.1381:                             ;   in Loop: Header=BB368_1052 Depth=1
	s_clause 0x1
	buffer_load_dword v0, off, s[0:3], s32 offset:192
	buffer_load_dword v1, off, s[0:3], s32 offset:360
	s_waitcnt vmcnt(1)
	v_cmp_lt_i32_e64 s4, v57, v0
	s_waitcnt vmcnt(0)
	v_cndmask_b32_e64 v1, 0, v1, s4
	v_cmp_lt_i32_e64 s4, v63, v0
	buffer_store_dword v1, off, s[0:3], s32 offset:360 ; 4-byte Folded Spill
	buffer_load_dword v1, off, s[0:3], s32 offset:364 ; 4-byte Folded Reload
	s_waitcnt vmcnt(0)
	v_cndmask_b32_e64 v1, 0, v1, s4
	v_cmp_lt_i32_e64 s4, v62, v0
	buffer_store_dword v1, off, s[0:3], s32 offset:364 ; 4-byte Folded Spill
	buffer_load_dword v1, off, s[0:3], s32 offset:356 ; 4-byte Folded Reload
	;; [unrolled: 5-line block ×6, first 2 shown]
	s_waitcnt vmcnt(0)
	v_cndmask_b32_e64 v1, 0, v1, s4
	v_cmp_lt_i32_e64 s4, v65, v0
	buffer_load_dword v0, off, s[0:3], s32 offset:348 ; 4-byte Folded Reload
	buffer_store_dword v1, off, s[0:3], s32 offset:344 ; 4-byte Folded Spill
	s_waitcnt vmcnt(0)
	v_cndmask_b32_e64 v0, 0, v0, s4
	buffer_store_dword v0, off, s[0:3], s32 offset:348 ; 4-byte Folded Spill
.LBB368_1382:                           ;   in Loop: Header=BB368_1052 Depth=1
	s_or_b32 exec_lo, exec_lo, s15
	flat_load_dwordx2 v[21:22], v[19:20] offset:1280
	v_mov_b32_e32 v1, 0
	v_mov_b32_e32 v0, 0
	s_waitcnt vmcnt(0) lgkmcnt(0)
	v_cmp_ne_u16_sdwa s4, v21, v12 src0_sel:BYTE_0 src1_sel:DWORD
	s_and_saveexec_b32 s15, s4
	s_cbranch_execz .LBB368_1390
; %bb.1383:                             ;   in Loop: Header=BB368_1052 Depth=1
	v_cmp_ne_u16_sdwa s4, v21, v67 src0_sel:BYTE_0 src1_sel:DWORD
	v_bfrev_b32_e32 v0, 1
	s_and_saveexec_b32 s18, s4
	s_cbranch_execz .LBB368_1389
; %bb.1384:                             ;   in Loop: Header=BB368_1052 Depth=1
	v_and_b32_e32 v10, 0x7f, v21
	v_mov_b32_e32 v0, 0x7f800001
	s_mov_b32 s19, exec_lo
	v_cmpx_ne_u32_e32 0x7f, v10
	s_cbranch_execz .LBB368_1388
; %bb.1385:                             ;   in Loop: Header=BB368_1052 Depth=1
	v_lshrrev_b32_e32 v0, 3, v10
	v_cmp_gt_u32_e64 s4, 8, v10
	v_mov_b32_e32 v10, v21
	v_mov_b32_e32 v11, v22
	s_and_saveexec_b32 s20, s4
; %bb.1386:                             ;   in Loop: Header=BB368_1052 Depth=1
	v_and_b32_e32 v0, 7, v21
	v_ffbh_u32_e32 v0, v0
	v_min_u32_e32 v0, 32, v0
	v_subrev_nc_u32_e32 v10, 28, v0
	v_sub_nc_u32_e32 v0, 29, v0
	v_lshlrev_b64 v[10:11], v10, v[21:22]
; %bb.1387:                             ;   in Loop: Header=BB368_1052 Depth=1
	s_or_b32 exec_lo, exec_lo, s20
	v_lshlrev_b32_e32 v10, 20, v10
	v_lshlrev_b32_e32 v11, 24, v21
	v_lshl_add_u32 v0, v0, 23, 0x3c000000
	v_and_b32_e32 v10, 0x700000, v10
	v_and_b32_e32 v11, 0x80000000, v11
	v_or3_b32 v0, v10, v11, v0
.LBB368_1388:                           ;   in Loop: Header=BB368_1052 Depth=1
	s_or_b32 exec_lo, exec_lo, s19
.LBB368_1389:                           ;   in Loop: Header=BB368_1052 Depth=1
	s_or_b32 exec_lo, exec_lo, s18
.LBB368_1390:                           ;   in Loop: Header=BB368_1052 Depth=1
	s_or_b32 exec_lo, exec_lo, s15
	v_cmp_ne_u16_sdwa s4, v21, v12 src0_sel:BYTE_1 src1_sel:DWORD
	s_and_saveexec_b32 s15, s4
	s_cbranch_execz .LBB368_1398
; %bb.1391:                             ;   in Loop: Header=BB368_1052 Depth=1
	v_cmp_ne_u16_sdwa s4, v21, v67 src0_sel:BYTE_1 src1_sel:DWORD
	v_bfrev_b32_e32 v1, 1
	s_and_saveexec_b32 s18, s4
	s_cbranch_execz .LBB368_1397
; %bb.1392:                             ;   in Loop: Header=BB368_1052 Depth=1
	v_and_b32_sdwa v11, v94, v21 dst_sel:DWORD dst_unused:UNUSED_PAD src0_sel:DWORD src1_sel:BYTE_1
	v_mov_b32_e32 v1, 0x7f800001
	s_mov_b32 s19, exec_lo
	v_and_b32_e32 v10, 0x7f, v11
	v_cmpx_ne_u32_e32 0x7f, v10
	s_cbranch_execz .LBB368_1396
; %bb.1393:                             ;   in Loop: Header=BB368_1052 Depth=1
	v_and_b32_e32 v11, 7, v11
	v_mov_b32_e32 v24, v12
	v_lshrrev_b32_e32 v1, 3, v10
	s_mov_b32 s20, exec_lo
	v_mov_b32_e32 v23, v11
	v_cmpx_gt_u32_e32 8, v10
; %bb.1394:                             ;   in Loop: Header=BB368_1052 Depth=1
	v_ffbh_u32_e32 v1, v11
	v_min_u32_e32 v1, 32, v1
	v_subrev_nc_u32_e32 v10, 28, v1
	v_sub_nc_u32_e32 v1, 29, v1
	v_lshlrev_b64 v[10:11], v10, v[11:12]
	v_and_b32_e32 v23, 7, v10
; %bb.1395:                             ;   in Loop: Header=BB368_1052 Depth=1
	s_or_b32 exec_lo, exec_lo, s20
	v_lshlrev_b32_e32 v10, 16, v21
	v_lshlrev_b32_e32 v11, 20, v23
	v_lshl_add_u32 v1, v1, 23, 0x3c000000
	v_and_b32_e32 v10, 0x80000000, v10
	v_or3_b32 v1, v11, v10, v1
.LBB368_1396:                           ;   in Loop: Header=BB368_1052 Depth=1
	s_or_b32 exec_lo, exec_lo, s19
.LBB368_1397:                           ;   in Loop: Header=BB368_1052 Depth=1
	s_or_b32 exec_lo, exec_lo, s18
.LBB368_1398:                           ;   in Loop: Header=BB368_1052 Depth=1
	s_or_b32 exec_lo, exec_lo, s15
	v_and_b32_sdwa v11, v21, v69 dst_sel:DWORD dst_unused:UNUSED_PAD src0_sel:WORD_1 src1_sel:DWORD
	v_mov_b32_e32 v13, 0
	v_mov_b32_e32 v10, 0
	s_mov_b32 s15, exec_lo
	v_cmpx_ne_u16_e32 0, v11
	s_cbranch_execz .LBB368_1406
; %bb.1399:                             ;   in Loop: Header=BB368_1052 Depth=1
	v_bfrev_b32_e32 v10, 1
	s_mov_b32 s18, exec_lo
	v_cmpx_ne_u16_e32 0x80, v11
	s_cbranch_execz .LBB368_1405
; %bb.1400:                             ;   in Loop: Header=BB368_1052 Depth=1
	v_bfe_u32 v14, v21, 16, 7
	v_mov_b32_e32 v10, 0x7f800001
	s_mov_b32 s19, exec_lo
	v_cmpx_ne_u32_e32 0x7f, v14
	s_cbranch_execz .LBB368_1404
; %bb.1401:                             ;   in Loop: Header=BB368_1052 Depth=1
	v_mov_b32_e32 v10, 7
	s_mov_b32 s20, exec_lo
	v_and_b32_sdwa v11, v21, v10 dst_sel:DWORD dst_unused:UNUSED_PAD src0_sel:WORD_1 src1_sel:DWORD
	v_mov_b32_e32 v24, v12
	v_lshrrev_b32_e32 v10, 3, v14
	v_mov_b32_e32 v23, v11
	v_cmpx_gt_u32_e32 8, v14
; %bb.1402:                             ;   in Loop: Header=BB368_1052 Depth=1
	v_ffbh_u32_e32 v10, v11
	v_min_u32_e32 v10, 32, v10
	v_subrev_nc_u32_e32 v14, 28, v10
	v_sub_nc_u32_e32 v10, 29, v10
	v_lshlrev_b64 v[17:18], v14, v[11:12]
	v_and_b32_e32 v23, 7, v17
; %bb.1403:                             ;   in Loop: Header=BB368_1052 Depth=1
	s_or_b32 exec_lo, exec_lo, s20
	v_mov_b32_e32 v11, 24
	v_lshlrev_b32_e32 v14, 20, v23
	v_lshl_add_u32 v10, v10, 23, 0x3c000000
	v_lshlrev_b32_sdwa v11, v11, v21 dst_sel:DWORD dst_unused:UNUSED_PAD src0_sel:DWORD src1_sel:WORD_1
	v_and_b32_e32 v11, 0x80000000, v11
	v_or3_b32 v10, v14, v11, v10
.LBB368_1404:                           ;   in Loop: Header=BB368_1052 Depth=1
	s_or_b32 exec_lo, exec_lo, s19
.LBB368_1405:                           ;   in Loop: Header=BB368_1052 Depth=1
	s_or_b32 exec_lo, exec_lo, s18
.LBB368_1406:                           ;   in Loop: Header=BB368_1052 Depth=1
	s_or_b32 exec_lo, exec_lo, s15
	s_mov_b32 s15, exec_lo
	v_cmpx_lt_u32_e32 0xffffff, v21
	s_cbranch_execz .LBB368_1414
; %bb.1407:                             ;   in Loop: Header=BB368_1052 Depth=1
	v_cmp_ne_u32_sdwa s4, v21, v67 src0_sel:BYTE_3 src1_sel:DWORD
	v_bfrev_b32_e32 v13, 1
	s_and_saveexec_b32 s18, s4
	s_cbranch_execz .LBB368_1413
; %bb.1408:                             ;   in Loop: Header=BB368_1052 Depth=1
	v_bfe_u32 v14, v21, 24, 7
	v_mov_b32_e32 v13, 0x7f800001
	s_mov_b32 s19, exec_lo
	v_cmpx_ne_u32_e32 0x7f, v14
	s_cbranch_execz .LBB368_1412
; %bb.1409:                             ;   in Loop: Header=BB368_1052 Depth=1
	v_mov_b32_e32 v11, 7
	v_lshrrev_b32_e32 v13, 3, v14
	s_mov_b32 s20, exec_lo
	v_and_b32_sdwa v11, v21, v11 dst_sel:DWORD dst_unused:UNUSED_PAD src0_sel:BYTE_3 src1_sel:DWORD
	v_mov_b32_e32 v24, v12
	v_mov_b32_e32 v23, v11
	v_cmpx_gt_u32_e32 8, v14
; %bb.1410:                             ;   in Loop: Header=BB368_1052 Depth=1
	v_ffbh_u32_e32 v13, v11
	v_min_u32_e32 v13, 32, v13
	v_subrev_nc_u32_e32 v14, 28, v13
	v_sub_nc_u32_e32 v13, 29, v13
	v_lshlrev_b64 v[17:18], v14, v[11:12]
	v_and_b32_e32 v23, 7, v17
; %bb.1411:                             ;   in Loop: Header=BB368_1052 Depth=1
	s_or_b32 exec_lo, exec_lo, s20
	v_mov_b32_e32 v11, 24
	v_lshlrev_b32_e32 v14, 20, v23
	v_lshl_add_u32 v13, v13, 23, 0x3c000000
	v_lshlrev_b32_sdwa v11, v11, v21 dst_sel:DWORD dst_unused:UNUSED_PAD src0_sel:DWORD src1_sel:BYTE_3
	v_and_b32_e32 v11, 0x80000000, v11
	v_or3_b32 v13, v14, v11, v13
.LBB368_1412:                           ;   in Loop: Header=BB368_1052 Depth=1
	s_or_b32 exec_lo, exec_lo, s19
.LBB368_1413:                           ;   in Loop: Header=BB368_1052 Depth=1
	s_or_b32 exec_lo, exec_lo, s18
.LBB368_1414:                           ;   in Loop: Header=BB368_1052 Depth=1
	s_or_b32 exec_lo, exec_lo, s15
	v_mov_b32_e32 v11, v22
	v_cmp_ne_u16_sdwa s4, v22, v12 src0_sel:BYTE_0 src1_sel:DWORD
	v_mov_b32_e32 v17, 0
	v_mov_b32_e32 v14, 0
	s_and_saveexec_b32 s15, s4
	s_cbranch_execz .LBB368_1422
; %bb.1415:                             ;   in Loop: Header=BB368_1052 Depth=1
	v_cmp_ne_u16_sdwa s4, v22, v67 src0_sel:BYTE_0 src1_sel:DWORD
	v_bfrev_b32_e32 v14, 1
	s_and_saveexec_b32 s18, s4
	s_cbranch_execz .LBB368_1421
; %bb.1416:                             ;   in Loop: Header=BB368_1052 Depth=1
	v_and_b32_e32 v18, 0x7f, v22
	v_mov_b32_e32 v14, 0x7f800001
	s_mov_b32 s19, exec_lo
	v_cmpx_ne_u32_e32 0x7f, v18
	s_cbranch_execz .LBB368_1420
; %bb.1417:                             ;   in Loop: Header=BB368_1052 Depth=1
	v_mov_b32_e32 v24, v12
	v_lshrrev_b32_e32 v14, 3, v18
	v_mov_b32_e32 v23, v11
	s_mov_b32 s20, exec_lo
	v_cmpx_gt_u32_e32 8, v18
; %bb.1418:                             ;   in Loop: Header=BB368_1052 Depth=1
	v_and_b32_e32 v14, 7, v22
	v_ffbh_u32_e32 v14, v14
	v_min_u32_e32 v14, 32, v14
	v_subrev_nc_u32_e32 v18, 28, v14
	v_sub_nc_u32_e32 v14, 29, v14
	v_lshlrev_b64 v[23:24], v18, v[11:12]
; %bb.1419:                             ;   in Loop: Header=BB368_1052 Depth=1
	s_or_b32 exec_lo, exec_lo, s20
	v_lshlrev_b32_e32 v18, 20, v23
	v_lshlrev_b32_e32 v23, 24, v11
	v_lshl_add_u32 v14, v14, 23, 0x3c000000
	v_and_b32_e32 v18, 0x700000, v18
	v_and_b32_e32 v23, 0x80000000, v23
	v_or3_b32 v14, v18, v23, v14
.LBB368_1420:                           ;   in Loop: Header=BB368_1052 Depth=1
	s_or_b32 exec_lo, exec_lo, s19
.LBB368_1421:                           ;   in Loop: Header=BB368_1052 Depth=1
	s_or_b32 exec_lo, exec_lo, s18
.LBB368_1422:                           ;   in Loop: Header=BB368_1052 Depth=1
	s_or_b32 exec_lo, exec_lo, s15
	v_cmp_ne_u16_sdwa s4, v11, v12 src0_sel:BYTE_1 src1_sel:DWORD
	s_and_saveexec_b32 s15, s4
	s_cbranch_execz .LBB368_1430
; %bb.1423:                             ;   in Loop: Header=BB368_1052 Depth=1
	v_cmp_ne_u16_sdwa s4, v11, v67 src0_sel:BYTE_1 src1_sel:DWORD
	v_bfrev_b32_e32 v17, 1
	s_and_saveexec_b32 s18, s4
	s_cbranch_execz .LBB368_1429
; %bb.1424:                             ;   in Loop: Header=BB368_1052 Depth=1
	v_and_b32_sdwa v23, v94, v11 dst_sel:DWORD dst_unused:UNUSED_PAD src0_sel:DWORD src1_sel:BYTE_1
	v_mov_b32_e32 v17, 0x7f800001
	s_mov_b32 s19, exec_lo
	v_and_b32_e32 v18, 0x7f, v23
	v_cmpx_ne_u32_e32 0x7f, v18
	s_cbranch_execz .LBB368_1428
; %bb.1425:                             ;   in Loop: Header=BB368_1052 Depth=1
	v_and_b32_e32 v23, 7, v23
	v_mov_b32_e32 v24, v12
	v_lshrrev_b32_e32 v17, 3, v18
	s_mov_b32 s20, exec_lo
	v_cmpx_gt_u32_e32 8, v18
; %bb.1426:                             ;   in Loop: Header=BB368_1052 Depth=1
	v_ffbh_u32_e32 v17, v23
	v_min_u32_e32 v17, 32, v17
	v_subrev_nc_u32_e32 v18, 28, v17
	v_sub_nc_u32_e32 v17, 29, v17
	v_lshlrev_b64 v[23:24], v18, v[23:24]
	v_and_b32_e32 v23, 7, v23
; %bb.1427:                             ;   in Loop: Header=BB368_1052 Depth=1
	s_or_b32 exec_lo, exec_lo, s20
	v_lshlrev_b32_e32 v11, 16, v11
	v_lshlrev_b32_e32 v18, 20, v23
	v_lshl_add_u32 v17, v17, 23, 0x3c000000
	v_and_b32_e32 v11, 0x80000000, v11
	v_or3_b32 v17, v18, v11, v17
.LBB368_1428:                           ;   in Loop: Header=BB368_1052 Depth=1
	s_or_b32 exec_lo, exec_lo, s19
.LBB368_1429:                           ;   in Loop: Header=BB368_1052 Depth=1
	s_or_b32 exec_lo, exec_lo, s18
.LBB368_1430:                           ;   in Loop: Header=BB368_1052 Depth=1
	s_or_b32 exec_lo, exec_lo, s15
	v_and_b32_sdwa v11, v22, v69 dst_sel:DWORD dst_unused:UNUSED_PAD src0_sel:WORD_1 src1_sel:DWORD
	v_mov_b32_e32 v18, 0
	v_mov_b32_e32 v25, 0
	s_mov_b32 s15, exec_lo
	v_cmpx_ne_u16_e32 0, v11
	s_cbranch_execz .LBB368_1438
; %bb.1431:                             ;   in Loop: Header=BB368_1052 Depth=1
	v_bfrev_b32_e32 v25, 1
	s_mov_b32 s18, exec_lo
	v_cmpx_ne_u16_e32 0x80, v11
	s_cbranch_execz .LBB368_1437
; %bb.1432:                             ;   in Loop: Header=BB368_1052 Depth=1
	v_bfe_u32 v23, v22, 16, 7
	v_mov_b32_e32 v25, 0x7f800001
	s_mov_b32 s19, exec_lo
	v_cmpx_ne_u32_e32 0x7f, v23
	s_cbranch_execz .LBB368_1436
; %bb.1433:                             ;   in Loop: Header=BB368_1052 Depth=1
	v_mov_b32_e32 v11, 7
	v_lshrrev_b32_e32 v25, 3, v23
	v_cmp_gt_u32_e64 s4, 8, v23
	v_and_b32_sdwa v11, v22, v11 dst_sel:DWORD dst_unused:UNUSED_PAD src0_sel:WORD_1 src1_sel:DWORD
	v_mov_b32_e32 v24, v12
	v_mov_b32_e32 v23, v11
	s_and_saveexec_b32 s20, s4
; %bb.1434:                             ;   in Loop: Header=BB368_1052 Depth=1
	v_ffbh_u32_e32 v23, v11
	v_min_u32_e32 v25, 32, v23
	v_subrev_nc_u32_e32 v23, 28, v25
	v_sub_nc_u32_e32 v25, 29, v25
	v_lshlrev_b64 v[23:24], v23, v[11:12]
	v_and_b32_e32 v23, 7, v23
; %bb.1435:                             ;   in Loop: Header=BB368_1052 Depth=1
	s_or_b32 exec_lo, exec_lo, s20
	v_mov_b32_e32 v11, 24
	v_lshlrev_b32_e32 v23, 20, v23
	v_lshl_add_u32 v24, v25, 23, 0x3c000000
	v_lshlrev_b32_sdwa v11, v11, v22 dst_sel:DWORD dst_unused:UNUSED_PAD src0_sel:DWORD src1_sel:WORD_1
	v_and_b32_e32 v11, 0x80000000, v11
	v_or3_b32 v25, v23, v11, v24
.LBB368_1436:                           ;   in Loop: Header=BB368_1052 Depth=1
	s_or_b32 exec_lo, exec_lo, s19
.LBB368_1437:                           ;   in Loop: Header=BB368_1052 Depth=1
	s_or_b32 exec_lo, exec_lo, s18
.LBB368_1438:                           ;   in Loop: Header=BB368_1052 Depth=1
	s_or_b32 exec_lo, exec_lo, s15
	s_mov_b32 s15, exec_lo
	v_cmpx_lt_u64_e64 s[6:7], v[21:22]
	s_cbranch_execz .LBB368_1446
; %bb.1439:                             ;   in Loop: Header=BB368_1052 Depth=1
	v_cmp_ne_u32_sdwa s4, v22, v67 src0_sel:BYTE_3 src1_sel:DWORD
	v_bfrev_b32_e32 v18, 1
	s_and_saveexec_b32 s18, s4
	s_cbranch_execz .LBB368_1445
; %bb.1440:                             ;   in Loop: Header=BB368_1052 Depth=1
	v_bfe_u32 v21, v22, 24, 7
	v_mov_b32_e32 v18, 0x7f800001
	s_mov_b32 s19, exec_lo
	v_cmpx_ne_u32_e32 0x7f, v21
	s_cbranch_execz .LBB368_1444
; %bb.1441:                             ;   in Loop: Header=BB368_1052 Depth=1
	v_mov_b32_e32 v11, 7
	v_lshrrev_b32_e32 v18, 3, v21
	s_mov_b32 s20, exec_lo
	v_and_b32_sdwa v11, v22, v11 dst_sel:DWORD dst_unused:UNUSED_PAD src0_sel:BYTE_3 src1_sel:DWORD
	v_mov_b32_e32 v24, v12
	v_mov_b32_e32 v23, v11
	v_cmpx_gt_u32_e32 8, v21
; %bb.1442:                             ;   in Loop: Header=BB368_1052 Depth=1
	v_ffbh_u32_e32 v18, v11
	v_min_u32_e32 v18, 32, v18
	v_subrev_nc_u32_e32 v21, 28, v18
	v_sub_nc_u32_e32 v18, 29, v18
	v_lshlrev_b64 v[23:24], v21, v[11:12]
	v_and_b32_e32 v23, 7, v23
; %bb.1443:                             ;   in Loop: Header=BB368_1052 Depth=1
	s_or_b32 exec_lo, exec_lo, s20
	v_mov_b32_e32 v11, 24
	v_lshlrev_b32_e32 v21, 20, v23
	v_lshl_add_u32 v18, v18, 23, 0x3c000000
	v_lshlrev_b32_sdwa v11, v11, v22 dst_sel:DWORD dst_unused:UNUSED_PAD src0_sel:DWORD src1_sel:BYTE_3
	v_and_b32_e32 v11, 0x80000000, v11
	v_or3_b32 v18, v21, v11, v18
.LBB368_1444:                           ;   in Loop: Header=BB368_1052 Depth=1
	s_or_b32 exec_lo, exec_lo, s19
.LBB368_1445:                           ;   in Loop: Header=BB368_1052 Depth=1
	s_or_b32 exec_lo, exec_lo, s18
.LBB368_1446:                           ;   in Loop: Header=BB368_1052 Depth=1
	s_or_b32 exec_lo, exec_lo, s15
	v_mul_f32_e32 v11, v64, v17
	v_mul_f32_e32 v14, v64, v14
	;; [unrolled: 1-line block ×5, first 2 shown]
	v_bfe_u32 v17, v11, 16, 1
	v_or_b32_e32 v21, 0x400000, v11
	v_bfe_u32 v22, v14, 16, 1
	v_cmp_u_f32_e64 s4, v11, v11
	v_or_b32_e32 v23, 0x400000, v14
	v_add3_u32 v17, v17, v11, 0x7fff
	v_bfe_u32 v24, v13, 16, 1
	v_add3_u32 v22, v22, v14, 0x7fff
	v_or_b32_e32 v26, 0x400000, v13
	v_bfe_u32 v28, v10, 16, 1
	v_cndmask_b32_e64 v11, v17, v21, s4
	v_cmp_u_f32_e64 s4, v14, v14
	v_add3_u32 v24, v24, v13, 0x7fff
	v_or_b32_e32 v17, 0x400000, v10
	v_mul_f32_e32 v0, v64, v0
	v_lshrrev_b32_e32 v11, 16, v11
	v_cndmask_b32_e64 v14, v22, v23, s4
	v_cmp_u_f32_e64 s4, v13, v13
	buffer_store_dword v11, off, s[0:3], s32 offset:372 ; 4-byte Folded Spill
	v_add3_u32 v11, v28, v10, 0x7fff
	v_cndmask_b32_e64 v13, v24, v26, s4
	v_lshrrev_b32_e32 v14, 16, v14
	v_cmp_u_f32_e64 s4, v10, v10
	v_lshrrev_b32_e32 v13, 16, v13
	buffer_store_dword v14, off, s[0:3], s32 offset:368 ; 4-byte Folded Spill
	v_cndmask_b32_e64 v10, v11, v17, s4
	v_mul_f32_e32 v11, v64, v25
	v_or_b32_e32 v14, 0x400000, v1
	buffer_store_dword v13, off, s[0:3], s32 offset:384 ; 4-byte Folded Spill
	v_bfe_u32 v13, v1, 16, 1
	v_mul_f32_e32 v17, v64, v18
	v_bfe_u32 v18, v0, 16, 1
	v_cmp_u_f32_e64 s4, v1, v1
	v_bfe_u32 v21, v11, 16, 1
	v_add3_u32 v13, v13, v1, 0x7fff
	v_or_b32_e32 v22, 0x400000, v11
	v_or_b32_e32 v23, 0x400000, v17
	v_lshrrev_b32_e32 v10, 16, v10
	v_add3_u32 v21, v21, v11, 0x7fff
	v_cndmask_b32_e64 v1, v13, v14, s4
	v_add3_u32 v14, v18, v0, 0x7fff
	v_or_b32_e32 v18, 0x400000, v0
	v_cmp_u_f32_e64 s4, v0, v0
	v_bfe_u32 v13, v17, 16, 1
	v_lshrrev_b32_e32 v95, 16, v1
	buffer_store_dword v10, off, s[0:3], s32 offset:388 ; 4-byte Folded Spill
	v_cndmask_b32_e64 v0, v14, v18, s4
	v_cmp_u_f32_e64 s4, v11, v11
	v_add3_u32 v13, v13, v17, 0x7fff
	v_lshrrev_b32_e32 v0, 16, v0
	v_cndmask_b32_e64 v11, v21, v22, s4
	v_cmp_u_f32_e64 s4, v17, v17
	buffer_store_dword v0, off, s[0:3], s32 offset:392 ; 4-byte Folded Spill
	v_lshrrev_b32_e32 v0, 16, v11
	v_cndmask_b32_e64 v13, v13, v23, s4
	buffer_store_dword v0, off, s[0:3], s32 offset:376 ; 4-byte Folded Spill
	v_lshrrev_b32_e32 v0, 16, v13
	buffer_store_dword v0, off, s[0:3], s32 offset:380 ; 4-byte Folded Spill
	s_and_saveexec_b32 s15, vcc_lo
	s_cbranch_execz .LBB368_1448
; %bb.1447:                             ;   in Loop: Header=BB368_1052 Depth=1
	s_clause 0x1
	buffer_load_dword v0, off, s[0:3], s32 offset:192
	buffer_load_dword v1, off, s[0:3], s32 offset:392
	s_waitcnt vmcnt(1)
	v_cmp_lt_i32_e64 s4, v57, v0
	s_waitcnt vmcnt(0)
	v_cndmask_b32_e64 v1, 0, v1, s4
	v_cmp_lt_i32_e64 s4, v63, v0
	buffer_store_dword v1, off, s[0:3], s32 offset:392 ; 4-byte Folded Spill
	buffer_load_dword v1, off, s[0:3], s32 offset:388 ; 4-byte Folded Reload
	v_cndmask_b32_e64 v95, 0, v95, s4
	v_cmp_lt_i32_e64 s4, v62, v0
	s_waitcnt vmcnt(0)
	v_cndmask_b32_e64 v1, 0, v1, s4
	v_cmp_lt_i32_e64 s4, v61, v0
	buffer_store_dword v1, off, s[0:3], s32 offset:388 ; 4-byte Folded Spill
	buffer_load_dword v1, off, s[0:3], s32 offset:384 ; 4-byte Folded Reload
	s_waitcnt vmcnt(0)
	v_cndmask_b32_e64 v1, 0, v1, s4
	v_cmp_lt_i32_e64 s4, v60, v0
	buffer_store_dword v1, off, s[0:3], s32 offset:384 ; 4-byte Folded Spill
	buffer_load_dword v1, off, s[0:3], s32 offset:368 ; 4-byte Folded Reload
	;; [unrolled: 5-line block ×4, first 2 shown]
	s_waitcnt vmcnt(0)
	v_cndmask_b32_e64 v1, 0, v1, s4
	v_cmp_lt_i32_e64 s4, v65, v0
	buffer_load_dword v0, off, s[0:3], s32 offset:380 ; 4-byte Folded Reload
	buffer_store_dword v1, off, s[0:3], s32 offset:376 ; 4-byte Folded Spill
	s_waitcnt vmcnt(0)
	v_cndmask_b32_e64 v0, 0, v0, s4
	buffer_store_dword v0, off, s[0:3], s32 offset:380 ; 4-byte Folded Spill
.LBB368_1448:                           ;   in Loop: Header=BB368_1052 Depth=1
	s_or_b32 exec_lo, exec_lo, s15
	flat_load_dwordx2 v[21:22], v[19:20] offset:1536
	v_mov_b32_e32 v1, 0
	v_mov_b32_e32 v0, 0
	s_waitcnt vmcnt(0) lgkmcnt(0)
	v_cmp_ne_u16_sdwa s4, v21, v12 src0_sel:BYTE_0 src1_sel:DWORD
	s_and_saveexec_b32 s15, s4
	s_cbranch_execz .LBB368_1456
; %bb.1449:                             ;   in Loop: Header=BB368_1052 Depth=1
	v_cmp_ne_u16_sdwa s4, v21, v67 src0_sel:BYTE_0 src1_sel:DWORD
	v_bfrev_b32_e32 v0, 1
	s_and_saveexec_b32 s18, s4
	s_cbranch_execz .LBB368_1455
; %bb.1450:                             ;   in Loop: Header=BB368_1052 Depth=1
	v_and_b32_e32 v10, 0x7f, v21
	v_mov_b32_e32 v0, 0x7f800001
	s_mov_b32 s19, exec_lo
	v_cmpx_ne_u32_e32 0x7f, v10
	s_cbranch_execz .LBB368_1454
; %bb.1451:                             ;   in Loop: Header=BB368_1052 Depth=1
	v_lshrrev_b32_e32 v0, 3, v10
	v_cmp_gt_u32_e64 s4, 8, v10
	v_mov_b32_e32 v10, v21
	v_mov_b32_e32 v11, v22
	s_and_saveexec_b32 s20, s4
; %bb.1452:                             ;   in Loop: Header=BB368_1052 Depth=1
	v_and_b32_e32 v0, 7, v21
	v_ffbh_u32_e32 v0, v0
	v_min_u32_e32 v0, 32, v0
	v_subrev_nc_u32_e32 v10, 28, v0
	v_sub_nc_u32_e32 v0, 29, v0
	v_lshlrev_b64 v[10:11], v10, v[21:22]
; %bb.1453:                             ;   in Loop: Header=BB368_1052 Depth=1
	s_or_b32 exec_lo, exec_lo, s20
	v_lshlrev_b32_e32 v10, 20, v10
	v_lshlrev_b32_e32 v11, 24, v21
	v_lshl_add_u32 v0, v0, 23, 0x3c000000
	v_and_b32_e32 v10, 0x700000, v10
	v_and_b32_e32 v11, 0x80000000, v11
	v_or3_b32 v0, v10, v11, v0
.LBB368_1454:                           ;   in Loop: Header=BB368_1052 Depth=1
	s_or_b32 exec_lo, exec_lo, s19
.LBB368_1455:                           ;   in Loop: Header=BB368_1052 Depth=1
	s_or_b32 exec_lo, exec_lo, s18
.LBB368_1456:                           ;   in Loop: Header=BB368_1052 Depth=1
	s_or_b32 exec_lo, exec_lo, s15
	v_cmp_ne_u16_sdwa s4, v21, v12 src0_sel:BYTE_1 src1_sel:DWORD
	s_and_saveexec_b32 s15, s4
	s_cbranch_execz .LBB368_1464
; %bb.1457:                             ;   in Loop: Header=BB368_1052 Depth=1
	v_cmp_ne_u16_sdwa s4, v21, v67 src0_sel:BYTE_1 src1_sel:DWORD
	v_bfrev_b32_e32 v1, 1
	s_and_saveexec_b32 s18, s4
	s_cbranch_execz .LBB368_1463
; %bb.1458:                             ;   in Loop: Header=BB368_1052 Depth=1
	v_and_b32_sdwa v11, v94, v21 dst_sel:DWORD dst_unused:UNUSED_PAD src0_sel:DWORD src1_sel:BYTE_1
	v_mov_b32_e32 v1, 0x7f800001
	s_mov_b32 s19, exec_lo
	v_and_b32_e32 v10, 0x7f, v11
	v_cmpx_ne_u32_e32 0x7f, v10
	s_cbranch_execz .LBB368_1462
; %bb.1459:                             ;   in Loop: Header=BB368_1052 Depth=1
	v_and_b32_e32 v11, 7, v11
	v_mov_b32_e32 v24, v12
	v_lshrrev_b32_e32 v1, 3, v10
	s_mov_b32 s20, exec_lo
	v_mov_b32_e32 v23, v11
	v_cmpx_gt_u32_e32 8, v10
; %bb.1460:                             ;   in Loop: Header=BB368_1052 Depth=1
	v_ffbh_u32_e32 v1, v11
	v_min_u32_e32 v1, 32, v1
	v_subrev_nc_u32_e32 v10, 28, v1
	v_sub_nc_u32_e32 v1, 29, v1
	v_lshlrev_b64 v[10:11], v10, v[11:12]
	v_and_b32_e32 v23, 7, v10
; %bb.1461:                             ;   in Loop: Header=BB368_1052 Depth=1
	s_or_b32 exec_lo, exec_lo, s20
	v_lshlrev_b32_e32 v10, 16, v21
	v_lshlrev_b32_e32 v11, 20, v23
	v_lshl_add_u32 v1, v1, 23, 0x3c000000
	v_and_b32_e32 v10, 0x80000000, v10
	v_or3_b32 v1, v11, v10, v1
.LBB368_1462:                           ;   in Loop: Header=BB368_1052 Depth=1
	s_or_b32 exec_lo, exec_lo, s19
.LBB368_1463:                           ;   in Loop: Header=BB368_1052 Depth=1
	s_or_b32 exec_lo, exec_lo, s18
.LBB368_1464:                           ;   in Loop: Header=BB368_1052 Depth=1
	s_or_b32 exec_lo, exec_lo, s15
	v_and_b32_sdwa v11, v21, v69 dst_sel:DWORD dst_unused:UNUSED_PAD src0_sel:WORD_1 src1_sel:DWORD
	v_mov_b32_e32 v13, 0
	v_mov_b32_e32 v10, 0
	s_mov_b32 s15, exec_lo
	v_cmpx_ne_u16_e32 0, v11
	s_cbranch_execz .LBB368_1472
; %bb.1465:                             ;   in Loop: Header=BB368_1052 Depth=1
	v_bfrev_b32_e32 v10, 1
	s_mov_b32 s18, exec_lo
	v_cmpx_ne_u16_e32 0x80, v11
	s_cbranch_execz .LBB368_1471
; %bb.1466:                             ;   in Loop: Header=BB368_1052 Depth=1
	v_bfe_u32 v14, v21, 16, 7
	v_mov_b32_e32 v10, 0x7f800001
	s_mov_b32 s19, exec_lo
	v_cmpx_ne_u32_e32 0x7f, v14
	s_cbranch_execz .LBB368_1470
; %bb.1467:                             ;   in Loop: Header=BB368_1052 Depth=1
	v_mov_b32_e32 v10, 7
	s_mov_b32 s20, exec_lo
	v_and_b32_sdwa v11, v21, v10 dst_sel:DWORD dst_unused:UNUSED_PAD src0_sel:WORD_1 src1_sel:DWORD
	v_mov_b32_e32 v24, v12
	v_lshrrev_b32_e32 v10, 3, v14
	v_mov_b32_e32 v23, v11
	v_cmpx_gt_u32_e32 8, v14
; %bb.1468:                             ;   in Loop: Header=BB368_1052 Depth=1
	v_ffbh_u32_e32 v10, v11
	v_min_u32_e32 v10, 32, v10
	v_subrev_nc_u32_e32 v14, 28, v10
	v_sub_nc_u32_e32 v10, 29, v10
	v_lshlrev_b64 v[17:18], v14, v[11:12]
	v_and_b32_e32 v23, 7, v17
; %bb.1469:                             ;   in Loop: Header=BB368_1052 Depth=1
	s_or_b32 exec_lo, exec_lo, s20
	v_mov_b32_e32 v11, 24
	v_lshlrev_b32_e32 v14, 20, v23
	v_lshl_add_u32 v10, v10, 23, 0x3c000000
	v_lshlrev_b32_sdwa v11, v11, v21 dst_sel:DWORD dst_unused:UNUSED_PAD src0_sel:DWORD src1_sel:WORD_1
	v_and_b32_e32 v11, 0x80000000, v11
	v_or3_b32 v10, v14, v11, v10
.LBB368_1470:                           ;   in Loop: Header=BB368_1052 Depth=1
	s_or_b32 exec_lo, exec_lo, s19
.LBB368_1471:                           ;   in Loop: Header=BB368_1052 Depth=1
	s_or_b32 exec_lo, exec_lo, s18
.LBB368_1472:                           ;   in Loop: Header=BB368_1052 Depth=1
	s_or_b32 exec_lo, exec_lo, s15
	s_mov_b32 s15, exec_lo
	v_cmpx_lt_u32_e32 0xffffff, v21
	s_cbranch_execz .LBB368_1480
; %bb.1473:                             ;   in Loop: Header=BB368_1052 Depth=1
	v_cmp_ne_u32_sdwa s4, v21, v67 src0_sel:BYTE_3 src1_sel:DWORD
	v_bfrev_b32_e32 v13, 1
	s_and_saveexec_b32 s18, s4
	s_cbranch_execz .LBB368_1479
; %bb.1474:                             ;   in Loop: Header=BB368_1052 Depth=1
	v_bfe_u32 v14, v21, 24, 7
	v_mov_b32_e32 v13, 0x7f800001
	s_mov_b32 s19, exec_lo
	v_cmpx_ne_u32_e32 0x7f, v14
	s_cbranch_execz .LBB368_1478
; %bb.1475:                             ;   in Loop: Header=BB368_1052 Depth=1
	v_mov_b32_e32 v11, 7
	v_lshrrev_b32_e32 v13, 3, v14
	s_mov_b32 s20, exec_lo
	v_and_b32_sdwa v11, v21, v11 dst_sel:DWORD dst_unused:UNUSED_PAD src0_sel:BYTE_3 src1_sel:DWORD
	v_mov_b32_e32 v24, v12
	v_mov_b32_e32 v23, v11
	v_cmpx_gt_u32_e32 8, v14
; %bb.1476:                             ;   in Loop: Header=BB368_1052 Depth=1
	v_ffbh_u32_e32 v13, v11
	v_min_u32_e32 v13, 32, v13
	v_subrev_nc_u32_e32 v14, 28, v13
	v_sub_nc_u32_e32 v13, 29, v13
	v_lshlrev_b64 v[17:18], v14, v[11:12]
	v_and_b32_e32 v23, 7, v17
; %bb.1477:                             ;   in Loop: Header=BB368_1052 Depth=1
	s_or_b32 exec_lo, exec_lo, s20
	v_mov_b32_e32 v11, 24
	v_lshlrev_b32_e32 v14, 20, v23
	v_lshl_add_u32 v13, v13, 23, 0x3c000000
	v_lshlrev_b32_sdwa v11, v11, v21 dst_sel:DWORD dst_unused:UNUSED_PAD src0_sel:DWORD src1_sel:BYTE_3
	v_and_b32_e32 v11, 0x80000000, v11
	v_or3_b32 v13, v14, v11, v13
.LBB368_1478:                           ;   in Loop: Header=BB368_1052 Depth=1
	s_or_b32 exec_lo, exec_lo, s19
.LBB368_1479:                           ;   in Loop: Header=BB368_1052 Depth=1
	s_or_b32 exec_lo, exec_lo, s18
.LBB368_1480:                           ;   in Loop: Header=BB368_1052 Depth=1
	s_or_b32 exec_lo, exec_lo, s15
	v_mov_b32_e32 v11, v22
	v_cmp_ne_u16_sdwa s4, v22, v12 src0_sel:BYTE_0 src1_sel:DWORD
	v_mov_b32_e32 v17, 0
	v_mov_b32_e32 v14, 0
	s_and_saveexec_b32 s15, s4
	s_cbranch_execz .LBB368_1488
; %bb.1481:                             ;   in Loop: Header=BB368_1052 Depth=1
	v_cmp_ne_u16_sdwa s4, v22, v67 src0_sel:BYTE_0 src1_sel:DWORD
	v_bfrev_b32_e32 v14, 1
	s_and_saveexec_b32 s18, s4
	s_cbranch_execz .LBB368_1487
; %bb.1482:                             ;   in Loop: Header=BB368_1052 Depth=1
	v_and_b32_e32 v18, 0x7f, v22
	v_mov_b32_e32 v14, 0x7f800001
	s_mov_b32 s19, exec_lo
	v_cmpx_ne_u32_e32 0x7f, v18
	s_cbranch_execz .LBB368_1486
; %bb.1483:                             ;   in Loop: Header=BB368_1052 Depth=1
	v_mov_b32_e32 v24, v12
	v_lshrrev_b32_e32 v14, 3, v18
	v_mov_b32_e32 v23, v11
	s_mov_b32 s20, exec_lo
	v_cmpx_gt_u32_e32 8, v18
; %bb.1484:                             ;   in Loop: Header=BB368_1052 Depth=1
	v_and_b32_e32 v14, 7, v22
	v_ffbh_u32_e32 v14, v14
	v_min_u32_e32 v14, 32, v14
	v_subrev_nc_u32_e32 v18, 28, v14
	v_sub_nc_u32_e32 v14, 29, v14
	v_lshlrev_b64 v[23:24], v18, v[11:12]
; %bb.1485:                             ;   in Loop: Header=BB368_1052 Depth=1
	s_or_b32 exec_lo, exec_lo, s20
	v_lshlrev_b32_e32 v18, 20, v23
	v_lshlrev_b32_e32 v23, 24, v11
	v_lshl_add_u32 v14, v14, 23, 0x3c000000
	v_and_b32_e32 v18, 0x700000, v18
	v_and_b32_e32 v23, 0x80000000, v23
	v_or3_b32 v14, v18, v23, v14
.LBB368_1486:                           ;   in Loop: Header=BB368_1052 Depth=1
	s_or_b32 exec_lo, exec_lo, s19
.LBB368_1487:                           ;   in Loop: Header=BB368_1052 Depth=1
	s_or_b32 exec_lo, exec_lo, s18
.LBB368_1488:                           ;   in Loop: Header=BB368_1052 Depth=1
	s_or_b32 exec_lo, exec_lo, s15
	v_cmp_ne_u16_sdwa s4, v11, v12 src0_sel:BYTE_1 src1_sel:DWORD
	s_and_saveexec_b32 s15, s4
	s_cbranch_execz .LBB368_1496
; %bb.1489:                             ;   in Loop: Header=BB368_1052 Depth=1
	v_cmp_ne_u16_sdwa s4, v11, v67 src0_sel:BYTE_1 src1_sel:DWORD
	v_bfrev_b32_e32 v17, 1
	s_and_saveexec_b32 s18, s4
	s_cbranch_execz .LBB368_1495
; %bb.1490:                             ;   in Loop: Header=BB368_1052 Depth=1
	v_and_b32_sdwa v23, v94, v11 dst_sel:DWORD dst_unused:UNUSED_PAD src0_sel:DWORD src1_sel:BYTE_1
	v_mov_b32_e32 v17, 0x7f800001
	s_mov_b32 s19, exec_lo
	v_and_b32_e32 v18, 0x7f, v23
	v_cmpx_ne_u32_e32 0x7f, v18
	s_cbranch_execz .LBB368_1494
; %bb.1491:                             ;   in Loop: Header=BB368_1052 Depth=1
	v_and_b32_e32 v23, 7, v23
	v_mov_b32_e32 v24, v12
	v_lshrrev_b32_e32 v17, 3, v18
	s_mov_b32 s20, exec_lo
	v_cmpx_gt_u32_e32 8, v18
; %bb.1492:                             ;   in Loop: Header=BB368_1052 Depth=1
	v_ffbh_u32_e32 v17, v23
	v_min_u32_e32 v17, 32, v17
	v_subrev_nc_u32_e32 v18, 28, v17
	v_sub_nc_u32_e32 v17, 29, v17
	v_lshlrev_b64 v[23:24], v18, v[23:24]
	v_and_b32_e32 v23, 7, v23
; %bb.1493:                             ;   in Loop: Header=BB368_1052 Depth=1
	s_or_b32 exec_lo, exec_lo, s20
	v_lshlrev_b32_e32 v11, 16, v11
	v_lshlrev_b32_e32 v18, 20, v23
	v_lshl_add_u32 v17, v17, 23, 0x3c000000
	v_and_b32_e32 v11, 0x80000000, v11
	v_or3_b32 v17, v18, v11, v17
.LBB368_1494:                           ;   in Loop: Header=BB368_1052 Depth=1
	s_or_b32 exec_lo, exec_lo, s19
.LBB368_1495:                           ;   in Loop: Header=BB368_1052 Depth=1
	s_or_b32 exec_lo, exec_lo, s18
.LBB368_1496:                           ;   in Loop: Header=BB368_1052 Depth=1
	s_or_b32 exec_lo, exec_lo, s15
	v_and_b32_sdwa v11, v22, v69 dst_sel:DWORD dst_unused:UNUSED_PAD src0_sel:WORD_1 src1_sel:DWORD
	v_mov_b32_e32 v18, 0
	v_mov_b32_e32 v25, 0
	s_mov_b32 s15, exec_lo
	v_cmpx_ne_u16_e32 0, v11
	s_cbranch_execz .LBB368_1504
; %bb.1497:                             ;   in Loop: Header=BB368_1052 Depth=1
	v_bfrev_b32_e32 v25, 1
	s_mov_b32 s18, exec_lo
	v_cmpx_ne_u16_e32 0x80, v11
	s_cbranch_execz .LBB368_1503
; %bb.1498:                             ;   in Loop: Header=BB368_1052 Depth=1
	v_bfe_u32 v23, v22, 16, 7
	v_mov_b32_e32 v25, 0x7f800001
	s_mov_b32 s19, exec_lo
	v_cmpx_ne_u32_e32 0x7f, v23
	s_cbranch_execz .LBB368_1502
; %bb.1499:                             ;   in Loop: Header=BB368_1052 Depth=1
	v_mov_b32_e32 v11, 7
	v_lshrrev_b32_e32 v25, 3, v23
	v_cmp_gt_u32_e64 s4, 8, v23
	v_and_b32_sdwa v11, v22, v11 dst_sel:DWORD dst_unused:UNUSED_PAD src0_sel:WORD_1 src1_sel:DWORD
	v_mov_b32_e32 v24, v12
	v_mov_b32_e32 v23, v11
	s_and_saveexec_b32 s20, s4
; %bb.1500:                             ;   in Loop: Header=BB368_1052 Depth=1
	v_ffbh_u32_e32 v23, v11
	v_min_u32_e32 v25, 32, v23
	v_subrev_nc_u32_e32 v23, 28, v25
	v_sub_nc_u32_e32 v25, 29, v25
	v_lshlrev_b64 v[23:24], v23, v[11:12]
	v_and_b32_e32 v23, 7, v23
; %bb.1501:                             ;   in Loop: Header=BB368_1052 Depth=1
	s_or_b32 exec_lo, exec_lo, s20
	v_mov_b32_e32 v11, 24
	v_lshlrev_b32_e32 v23, 20, v23
	v_lshl_add_u32 v24, v25, 23, 0x3c000000
	v_lshlrev_b32_sdwa v11, v11, v22 dst_sel:DWORD dst_unused:UNUSED_PAD src0_sel:DWORD src1_sel:WORD_1
	v_and_b32_e32 v11, 0x80000000, v11
	v_or3_b32 v25, v23, v11, v24
.LBB368_1502:                           ;   in Loop: Header=BB368_1052 Depth=1
	s_or_b32 exec_lo, exec_lo, s19
.LBB368_1503:                           ;   in Loop: Header=BB368_1052 Depth=1
	s_or_b32 exec_lo, exec_lo, s18
.LBB368_1504:                           ;   in Loop: Header=BB368_1052 Depth=1
	s_or_b32 exec_lo, exec_lo, s15
	s_mov_b32 s15, exec_lo
	v_cmpx_lt_u64_e64 s[6:7], v[21:22]
	s_cbranch_execz .LBB368_1512
; %bb.1505:                             ;   in Loop: Header=BB368_1052 Depth=1
	v_cmp_ne_u32_sdwa s4, v22, v67 src0_sel:BYTE_3 src1_sel:DWORD
	v_bfrev_b32_e32 v18, 1
	s_and_saveexec_b32 s18, s4
	s_cbranch_execz .LBB368_1511
; %bb.1506:                             ;   in Loop: Header=BB368_1052 Depth=1
	v_bfe_u32 v21, v22, 24, 7
	v_mov_b32_e32 v18, 0x7f800001
	s_mov_b32 s19, exec_lo
	v_cmpx_ne_u32_e32 0x7f, v21
	s_cbranch_execz .LBB368_1510
; %bb.1507:                             ;   in Loop: Header=BB368_1052 Depth=1
	v_mov_b32_e32 v11, 7
	v_lshrrev_b32_e32 v18, 3, v21
	s_mov_b32 s20, exec_lo
	v_and_b32_sdwa v11, v22, v11 dst_sel:DWORD dst_unused:UNUSED_PAD src0_sel:BYTE_3 src1_sel:DWORD
	v_mov_b32_e32 v24, v12
	v_mov_b32_e32 v23, v11
	v_cmpx_gt_u32_e32 8, v21
; %bb.1508:                             ;   in Loop: Header=BB368_1052 Depth=1
	v_ffbh_u32_e32 v18, v11
	v_min_u32_e32 v18, 32, v18
	v_subrev_nc_u32_e32 v21, 28, v18
	v_sub_nc_u32_e32 v18, 29, v18
	v_lshlrev_b64 v[23:24], v21, v[11:12]
	v_and_b32_e32 v23, 7, v23
; %bb.1509:                             ;   in Loop: Header=BB368_1052 Depth=1
	s_or_b32 exec_lo, exec_lo, s20
	v_mov_b32_e32 v11, 24
	v_lshlrev_b32_e32 v21, 20, v23
	v_lshl_add_u32 v18, v18, 23, 0x3c000000
	v_lshlrev_b32_sdwa v11, v11, v22 dst_sel:DWORD dst_unused:UNUSED_PAD src0_sel:DWORD src1_sel:BYTE_3
	v_and_b32_e32 v11, 0x80000000, v11
	v_or3_b32 v18, v21, v11, v18
.LBB368_1510:                           ;   in Loop: Header=BB368_1052 Depth=1
	s_or_b32 exec_lo, exec_lo, s19
.LBB368_1511:                           ;   in Loop: Header=BB368_1052 Depth=1
	s_or_b32 exec_lo, exec_lo, s18
.LBB368_1512:                           ;   in Loop: Header=BB368_1052 Depth=1
	s_or_b32 exec_lo, exec_lo, s15
	v_mul_f32_e32 v11, v64, v17
	v_mul_f32_e32 v14, v64, v14
	;; [unrolled: 1-line block ×5, first 2 shown]
	v_bfe_u32 v17, v11, 16, 1
	v_or_b32_e32 v21, 0x400000, v11
	v_bfe_u32 v22, v14, 16, 1
	v_cmp_u_f32_e64 s4, v11, v11
	v_or_b32_e32 v23, 0x400000, v14
	v_add3_u32 v17, v17, v11, 0x7fff
	v_bfe_u32 v24, v13, 16, 1
	v_add3_u32 v22, v22, v14, 0x7fff
	v_or_b32_e32 v26, 0x400000, v13
	v_bfe_u32 v28, v10, 16, 1
	v_cndmask_b32_e64 v11, v17, v21, s4
	v_cmp_u_f32_e64 s4, v14, v14
	v_add3_u32 v24, v24, v13, 0x7fff
	v_or_b32_e32 v17, 0x400000, v10
	v_mul_f32_e32 v0, v64, v0
	v_lshrrev_b32_e32 v105, 16, v11
	v_cndmask_b32_e64 v14, v22, v23, s4
	v_cmp_u_f32_e64 s4, v13, v13
	v_add3_u32 v11, v28, v10, 0x7fff
	v_lshrrev_b32_e32 v104, 16, v14
	v_cndmask_b32_e64 v13, v24, v26, s4
	v_cmp_u_f32_e64 s4, v10, v10
	v_or_b32_e32 v14, 0x400000, v1
	v_lshrrev_b32_e32 v108, 16, v13
	v_bfe_u32 v13, v1, 16, 1
	v_cndmask_b32_e64 v10, v11, v17, s4
	v_mul_f32_e32 v11, v64, v25
	v_mul_f32_e32 v17, v64, v18
	v_bfe_u32 v18, v0, 16, 1
	v_add3_u32 v13, v13, v1, 0x7fff
	v_cmp_u_f32_e64 s4, v1, v1
	v_bfe_u32 v21, v11, 16, 1
	v_or_b32_e32 v22, 0x400000, v11
	v_or_b32_e32 v23, 0x400000, v17
	v_lshrrev_b32_e32 v109, 16, v10
	v_cndmask_b32_e64 v1, v13, v14, s4
	v_add3_u32 v14, v18, v0, 0x7fff
	v_or_b32_e32 v18, 0x400000, v0
	v_cmp_u_f32_e64 s4, v0, v0
	v_bfe_u32 v13, v17, 16, 1
	v_add3_u32 v21, v21, v11, 0x7fff
	v_lshrrev_b32_e32 v1, 16, v1
	v_cndmask_b32_e64 v0, v14, v18, s4
	v_cmp_u_f32_e64 s4, v11, v11
	v_add3_u32 v13, v13, v17, 0x7fff
	v_lshrrev_b32_e32 v0, 16, v0
	v_cndmask_b32_e64 v11, v21, v22, s4
	v_cmp_u_f32_e64 s4, v17, v17
	v_lshrrev_b32_e32 v106, 16, v11
	v_cndmask_b32_e64 v13, v13, v23, s4
	v_lshrrev_b32_e32 v107, 16, v13
	s_and_saveexec_b32 s15, vcc_lo
	s_cbranch_execz .LBB368_1514
; %bb.1513:                             ;   in Loop: Header=BB368_1052 Depth=1
	buffer_load_dword v10, off, s[0:3], s32 offset:192 ; 4-byte Folded Reload
	s_waitcnt vmcnt(0)
	v_cmp_lt_i32_e64 s4, v57, v10
	v_cndmask_b32_e64 v0, 0, v0, s4
	v_cmp_lt_i32_e64 s4, v63, v10
	v_cndmask_b32_e64 v1, 0, v1, s4
	v_cmp_lt_i32_e64 s4, v62, v10
	v_cndmask_b32_e64 v109, 0, v109, s4
	v_cmp_lt_i32_e64 s4, v61, v10
	v_cndmask_b32_e64 v108, 0, v108, s4
	v_cmp_lt_i32_e64 s4, v60, v10
	v_cndmask_b32_e64 v104, 0, v104, s4
	v_cmp_lt_i32_e64 s4, v59, v10
	v_cndmask_b32_e64 v105, 0, v105, s4
	v_cmp_lt_i32_e64 s4, v58, v10
	v_cndmask_b32_e64 v106, 0, v106, s4
	v_cmp_lt_i32_e64 s4, v65, v10
	v_cndmask_b32_e64 v107, 0, v107, s4
.LBB368_1514:                           ;   in Loop: Header=BB368_1052 Depth=1
	s_or_b32 exec_lo, exec_lo, s15
	flat_load_dwordx2 v[21:22], v[19:20] offset:1792
	v_mov_b32_e32 v13, 0
	v_mov_b32_e32 v10, 0
	s_waitcnt vmcnt(0) lgkmcnt(0)
	v_cmp_ne_u16_sdwa s4, v21, v12 src0_sel:BYTE_0 src1_sel:DWORD
	s_and_saveexec_b32 s15, s4
	s_cbranch_execz .LBB368_1522
; %bb.1515:                             ;   in Loop: Header=BB368_1052 Depth=1
	v_cmp_ne_u16_sdwa s4, v21, v67 src0_sel:BYTE_0 src1_sel:DWORD
	v_bfrev_b32_e32 v10, 1
	s_and_saveexec_b32 s18, s4
	s_cbranch_execz .LBB368_1521
; %bb.1516:                             ;   in Loop: Header=BB368_1052 Depth=1
	v_and_b32_e32 v11, 0x7f, v21
	v_mov_b32_e32 v10, 0x7f800001
	s_mov_b32 s19, exec_lo
	v_cmpx_ne_u32_e32 0x7f, v11
	s_cbranch_execz .LBB368_1520
; %bb.1517:                             ;   in Loop: Header=BB368_1052 Depth=1
	v_lshrrev_b32_e32 v14, 3, v11
	v_cmp_gt_u32_e64 s4, 8, v11
	v_mov_b32_e32 v10, v21
	v_mov_b32_e32 v11, v22
	s_and_saveexec_b32 s20, s4
; %bb.1518:                             ;   in Loop: Header=BB368_1052 Depth=1
	v_and_b32_e32 v10, 7, v21
	v_ffbh_u32_e32 v10, v10
	v_min_u32_e32 v14, 32, v10
	v_subrev_nc_u32_e32 v10, 28, v14
	v_sub_nc_u32_e32 v14, 29, v14
	v_lshlrev_b64 v[10:11], v10, v[21:22]
; %bb.1519:                             ;   in Loop: Header=BB368_1052 Depth=1
	s_or_b32 exec_lo, exec_lo, s20
	v_lshlrev_b32_e32 v10, 20, v10
	v_lshlrev_b32_e32 v11, 24, v21
	v_lshl_add_u32 v14, v14, 23, 0x3c000000
	v_and_b32_e32 v10, 0x700000, v10
	v_and_b32_e32 v11, 0x80000000, v11
	v_or3_b32 v10, v10, v11, v14
.LBB368_1520:                           ;   in Loop: Header=BB368_1052 Depth=1
	s_or_b32 exec_lo, exec_lo, s19
.LBB368_1521:                           ;   in Loop: Header=BB368_1052 Depth=1
	s_or_b32 exec_lo, exec_lo, s18
.LBB368_1522:                           ;   in Loop: Header=BB368_1052 Depth=1
	s_or_b32 exec_lo, exec_lo, s15
	v_cmp_ne_u16_sdwa s4, v21, v12 src0_sel:BYTE_1 src1_sel:DWORD
	s_and_saveexec_b32 s15, s4
	s_cbranch_execz .LBB368_1530
; %bb.1523:                             ;   in Loop: Header=BB368_1052 Depth=1
	v_cmp_ne_u16_sdwa s4, v21, v67 src0_sel:BYTE_1 src1_sel:DWORD
	v_bfrev_b32_e32 v13, 1
	s_and_saveexec_b32 s18, s4
	s_cbranch_execz .LBB368_1529
; %bb.1524:                             ;   in Loop: Header=BB368_1052 Depth=1
	v_and_b32_sdwa v11, v94, v21 dst_sel:DWORD dst_unused:UNUSED_PAD src0_sel:DWORD src1_sel:BYTE_1
	v_mov_b32_e32 v13, 0x7f800001
	s_mov_b32 s19, exec_lo
	v_and_b32_e32 v14, 0x7f, v11
	v_cmpx_ne_u32_e32 0x7f, v14
	s_cbranch_execz .LBB368_1528
; %bb.1525:                             ;   in Loop: Header=BB368_1052 Depth=1
	v_and_b32_e32 v11, 7, v11
	v_mov_b32_e32 v24, v12
	v_lshrrev_b32_e32 v13, 3, v14
	s_mov_b32 s20, exec_lo
	v_mov_b32_e32 v23, v11
	v_cmpx_gt_u32_e32 8, v14
; %bb.1526:                             ;   in Loop: Header=BB368_1052 Depth=1
	v_ffbh_u32_e32 v13, v11
	v_min_u32_e32 v13, 32, v13
	v_subrev_nc_u32_e32 v14, 28, v13
	v_sub_nc_u32_e32 v13, 29, v13
	v_lshlrev_b64 v[17:18], v14, v[11:12]
	v_and_b32_e32 v23, 7, v17
; %bb.1527:                             ;   in Loop: Header=BB368_1052 Depth=1
	s_or_b32 exec_lo, exec_lo, s20
	v_lshlrev_b32_e32 v11, 16, v21
	v_lshlrev_b32_e32 v14, 20, v23
	v_lshl_add_u32 v13, v13, 23, 0x3c000000
	v_and_b32_e32 v11, 0x80000000, v11
	v_or3_b32 v13, v14, v11, v13
.LBB368_1528:                           ;   in Loop: Header=BB368_1052 Depth=1
	s_or_b32 exec_lo, exec_lo, s19
.LBB368_1529:                           ;   in Loop: Header=BB368_1052 Depth=1
	s_or_b32 exec_lo, exec_lo, s18
.LBB368_1530:                           ;   in Loop: Header=BB368_1052 Depth=1
	s_or_b32 exec_lo, exec_lo, s15
	v_and_b32_sdwa v11, v21, v69 dst_sel:DWORD dst_unused:UNUSED_PAD src0_sel:WORD_1 src1_sel:DWORD
	v_mov_b32_e32 v17, 0
	v_mov_b32_e32 v14, 0
	s_mov_b32 s15, exec_lo
	v_cmpx_ne_u16_e32 0, v11
	s_cbranch_execz .LBB368_1538
; %bb.1531:                             ;   in Loop: Header=BB368_1052 Depth=1
	v_bfrev_b32_e32 v14, 1
	s_mov_b32 s18, exec_lo
	v_cmpx_ne_u16_e32 0x80, v11
	s_cbranch_execz .LBB368_1537
; %bb.1532:                             ;   in Loop: Header=BB368_1052 Depth=1
	v_bfe_u32 v18, v21, 16, 7
	v_mov_b32_e32 v14, 0x7f800001
	s_mov_b32 s19, exec_lo
	v_cmpx_ne_u32_e32 0x7f, v18
	s_cbranch_execz .LBB368_1536
; %bb.1533:                             ;   in Loop: Header=BB368_1052 Depth=1
	v_mov_b32_e32 v11, 7
	v_lshrrev_b32_e32 v14, 3, v18
	s_mov_b32 s20, exec_lo
	v_and_b32_sdwa v11, v21, v11 dst_sel:DWORD dst_unused:UNUSED_PAD src0_sel:WORD_1 src1_sel:DWORD
	v_mov_b32_e32 v24, v12
	v_mov_b32_e32 v23, v11
	v_cmpx_gt_u32_e32 8, v18
; %bb.1534:                             ;   in Loop: Header=BB368_1052 Depth=1
	v_ffbh_u32_e32 v14, v11
	v_min_u32_e32 v14, 32, v14
	v_subrev_nc_u32_e32 v18, 28, v14
	v_sub_nc_u32_e32 v14, 29, v14
	v_lshlrev_b64 v[23:24], v18, v[11:12]
	v_and_b32_e32 v23, 7, v23
; %bb.1535:                             ;   in Loop: Header=BB368_1052 Depth=1
	s_or_b32 exec_lo, exec_lo, s20
	v_mov_b32_e32 v11, 24
	v_lshlrev_b32_e32 v18, 20, v23
	v_lshl_add_u32 v14, v14, 23, 0x3c000000
	v_lshlrev_b32_sdwa v11, v11, v21 dst_sel:DWORD dst_unused:UNUSED_PAD src0_sel:DWORD src1_sel:WORD_1
	v_and_b32_e32 v11, 0x80000000, v11
	v_or3_b32 v14, v18, v11, v14
.LBB368_1536:                           ;   in Loop: Header=BB368_1052 Depth=1
	s_or_b32 exec_lo, exec_lo, s19
.LBB368_1537:                           ;   in Loop: Header=BB368_1052 Depth=1
	s_or_b32 exec_lo, exec_lo, s18
.LBB368_1538:                           ;   in Loop: Header=BB368_1052 Depth=1
	s_or_b32 exec_lo, exec_lo, s15
	s_mov_b32 s15, exec_lo
	v_cmpx_lt_u32_e32 0xffffff, v21
	s_cbranch_execz .LBB368_1546
; %bb.1539:                             ;   in Loop: Header=BB368_1052 Depth=1
	v_cmp_ne_u32_sdwa s4, v21, v67 src0_sel:BYTE_3 src1_sel:DWORD
	v_bfrev_b32_e32 v17, 1
	s_and_saveexec_b32 s18, s4
	s_cbranch_execz .LBB368_1545
; %bb.1540:                             ;   in Loop: Header=BB368_1052 Depth=1
	v_bfe_u32 v18, v21, 24, 7
	v_mov_b32_e32 v17, 0x7f800001
	s_mov_b32 s19, exec_lo
	v_cmpx_ne_u32_e32 0x7f, v18
	s_cbranch_execz .LBB368_1544
; %bb.1541:                             ;   in Loop: Header=BB368_1052 Depth=1
	v_mov_b32_e32 v11, 7
	v_lshrrev_b32_e32 v17, 3, v18
	s_mov_b32 s20, exec_lo
	v_and_b32_sdwa v11, v21, v11 dst_sel:DWORD dst_unused:UNUSED_PAD src0_sel:BYTE_3 src1_sel:DWORD
	v_mov_b32_e32 v24, v12
	v_mov_b32_e32 v23, v11
	v_cmpx_gt_u32_e32 8, v18
; %bb.1542:                             ;   in Loop: Header=BB368_1052 Depth=1
	v_ffbh_u32_e32 v17, v11
	v_min_u32_e32 v17, 32, v17
	v_subrev_nc_u32_e32 v18, 28, v17
	v_sub_nc_u32_e32 v17, 29, v17
	v_lshlrev_b64 v[23:24], v18, v[11:12]
	v_and_b32_e32 v23, 7, v23
; %bb.1543:                             ;   in Loop: Header=BB368_1052 Depth=1
	s_or_b32 exec_lo, exec_lo, s20
	v_mov_b32_e32 v11, 24
	v_lshlrev_b32_e32 v18, 20, v23
	v_lshl_add_u32 v17, v17, 23, 0x3c000000
	v_lshlrev_b32_sdwa v11, v11, v21 dst_sel:DWORD dst_unused:UNUSED_PAD src0_sel:DWORD src1_sel:BYTE_3
	v_and_b32_e32 v11, 0x80000000, v11
	v_or3_b32 v17, v18, v11, v17
.LBB368_1544:                           ;   in Loop: Header=BB368_1052 Depth=1
	s_or_b32 exec_lo, exec_lo, s19
.LBB368_1545:                           ;   in Loop: Header=BB368_1052 Depth=1
	s_or_b32 exec_lo, exec_lo, s18
.LBB368_1546:                           ;   in Loop: Header=BB368_1052 Depth=1
	s_or_b32 exec_lo, exec_lo, s15
	v_mov_b32_e32 v11, v22
	v_cmp_ne_u16_sdwa s4, v22, v12 src0_sel:BYTE_0 src1_sel:DWORD
	v_mov_b32_e32 v18, 0
	v_mov_b32_e32 v28, 0
	s_and_saveexec_b32 s15, s4
	s_cbranch_execz .LBB368_1554
; %bb.1547:                             ;   in Loop: Header=BB368_1052 Depth=1
	v_cmp_ne_u16_sdwa s4, v22, v67 src0_sel:BYTE_0 src1_sel:DWORD
	v_bfrev_b32_e32 v28, 1
	s_and_saveexec_b32 s18, s4
	s_cbranch_execz .LBB368_1553
; %bb.1548:                             ;   in Loop: Header=BB368_1052 Depth=1
	v_and_b32_e32 v23, 0x7f, v22
	v_mov_b32_e32 v28, 0x7f800001
	s_mov_b32 s19, exec_lo
	v_cmpx_ne_u32_e32 0x7f, v23
	s_cbranch_execz .LBB368_1552
; %bb.1549:                             ;   in Loop: Header=BB368_1052 Depth=1
	v_lshrrev_b32_e32 v25, 3, v23
	v_cmp_gt_u32_e64 s4, 8, v23
	v_mov_b32_e32 v24, v12
	v_mov_b32_e32 v23, v11
	s_and_saveexec_b32 s20, s4
; %bb.1550:                             ;   in Loop: Header=BB368_1052 Depth=1
	v_and_b32_e32 v23, 7, v22
	v_ffbh_u32_e32 v23, v23
	v_min_u32_e32 v25, 32, v23
	v_subrev_nc_u32_e32 v23, 28, v25
	v_sub_nc_u32_e32 v25, 29, v25
	v_lshlrev_b64 v[23:24], v23, v[11:12]
; %bb.1551:                             ;   in Loop: Header=BB368_1052 Depth=1
	s_or_b32 exec_lo, exec_lo, s20
	v_lshlrev_b32_e32 v23, 20, v23
	v_lshlrev_b32_e32 v24, 24, v11
	v_lshl_add_u32 v25, v25, 23, 0x3c000000
	v_and_b32_e32 v23, 0x700000, v23
	v_and_b32_e32 v24, 0x80000000, v24
	v_or3_b32 v28, v23, v24, v25
.LBB368_1552:                           ;   in Loop: Header=BB368_1052 Depth=1
	s_or_b32 exec_lo, exec_lo, s19
.LBB368_1553:                           ;   in Loop: Header=BB368_1052 Depth=1
	s_or_b32 exec_lo, exec_lo, s18
.LBB368_1554:                           ;   in Loop: Header=BB368_1052 Depth=1
	s_or_b32 exec_lo, exec_lo, s15
	v_cmp_ne_u16_sdwa s4, v11, v12 src0_sel:BYTE_1 src1_sel:DWORD
	s_and_saveexec_b32 s15, s4
	s_cbranch_execz .LBB368_1562
; %bb.1555:                             ;   in Loop: Header=BB368_1052 Depth=1
	v_cmp_ne_u16_sdwa s4, v11, v67 src0_sel:BYTE_1 src1_sel:DWORD
	v_bfrev_b32_e32 v18, 1
	s_and_saveexec_b32 s18, s4
	s_cbranch_execz .LBB368_1561
; %bb.1556:                             ;   in Loop: Header=BB368_1052 Depth=1
	v_and_b32_sdwa v23, v94, v11 dst_sel:DWORD dst_unused:UNUSED_PAD src0_sel:DWORD src1_sel:BYTE_1
	v_mov_b32_e32 v18, 0x7f800001
	s_mov_b32 s19, exec_lo
	v_and_b32_e32 v25, 0x7f, v23
	v_cmpx_ne_u32_e32 0x7f, v25
	s_cbranch_execz .LBB368_1560
; %bb.1557:                             ;   in Loop: Header=BB368_1052 Depth=1
	v_and_b32_e32 v23, 7, v23
	v_mov_b32_e32 v24, v12
	v_lshrrev_b32_e32 v18, 3, v25
	s_mov_b32 s20, exec_lo
	v_cmpx_gt_u32_e32 8, v25
; %bb.1558:                             ;   in Loop: Header=BB368_1052 Depth=1
	v_ffbh_u32_e32 v18, v23
	v_min_u32_e32 v18, 32, v18
	v_subrev_nc_u32_e32 v25, 28, v18
	v_sub_nc_u32_e32 v18, 29, v18
	v_lshlrev_b64 v[23:24], v25, v[23:24]
	v_and_b32_e32 v23, 7, v23
; %bb.1559:                             ;   in Loop: Header=BB368_1052 Depth=1
	s_or_b32 exec_lo, exec_lo, s20
	v_lshlrev_b32_e32 v11, 16, v11
	v_lshlrev_b32_e32 v23, 20, v23
	v_lshl_add_u32 v18, v18, 23, 0x3c000000
	v_and_b32_e32 v11, 0x80000000, v11
	v_or3_b32 v18, v23, v11, v18
.LBB368_1560:                           ;   in Loop: Header=BB368_1052 Depth=1
	s_or_b32 exec_lo, exec_lo, s19
.LBB368_1561:                           ;   in Loop: Header=BB368_1052 Depth=1
	s_or_b32 exec_lo, exec_lo, s18
.LBB368_1562:                           ;   in Loop: Header=BB368_1052 Depth=1
	s_or_b32 exec_lo, exec_lo, s15
	v_and_b32_sdwa v11, v22, v69 dst_sel:DWORD dst_unused:UNUSED_PAD src0_sel:WORD_1 src1_sel:DWORD
	v_mov_b32_e32 v25, 0
	v_mov_b32_e32 v26, 0
	s_mov_b32 s15, exec_lo
	v_cmpx_ne_u16_e32 0, v11
	s_cbranch_execz .LBB368_1570
; %bb.1563:                             ;   in Loop: Header=BB368_1052 Depth=1
	v_bfrev_b32_e32 v26, 1
	s_mov_b32 s18, exec_lo
	v_cmpx_ne_u16_e32 0x80, v11
	s_cbranch_execz .LBB368_1569
; %bb.1564:                             ;   in Loop: Header=BB368_1052 Depth=1
	v_bfe_u32 v23, v22, 16, 7
	v_mov_b32_e32 v26, 0x7f800001
	s_mov_b32 s19, exec_lo
	v_cmpx_ne_u32_e32 0x7f, v23
	s_cbranch_execz .LBB368_1568
; %bb.1565:                             ;   in Loop: Header=BB368_1052 Depth=1
	v_mov_b32_e32 v11, 7
	v_lshrrev_b32_e32 v26, 3, v23
	v_cmp_gt_u32_e64 s4, 8, v23
	v_and_b32_sdwa v11, v22, v11 dst_sel:DWORD dst_unused:UNUSED_PAD src0_sel:WORD_1 src1_sel:DWORD
	v_mov_b32_e32 v24, v12
	v_mov_b32_e32 v23, v11
	s_and_saveexec_b32 s20, s4
; %bb.1566:                             ;   in Loop: Header=BB368_1052 Depth=1
	v_ffbh_u32_e32 v23, v11
	v_min_u32_e32 v26, 32, v23
	v_subrev_nc_u32_e32 v23, 28, v26
	v_sub_nc_u32_e32 v26, 29, v26
	v_lshlrev_b64 v[23:24], v23, v[11:12]
	v_and_b32_e32 v23, 7, v23
; %bb.1567:                             ;   in Loop: Header=BB368_1052 Depth=1
	s_or_b32 exec_lo, exec_lo, s20
	v_mov_b32_e32 v11, 24
	v_lshlrev_b32_e32 v23, 20, v23
	v_lshl_add_u32 v24, v26, 23, 0x3c000000
	v_lshlrev_b32_sdwa v11, v11, v22 dst_sel:DWORD dst_unused:UNUSED_PAD src0_sel:DWORD src1_sel:WORD_1
	v_and_b32_e32 v11, 0x80000000, v11
	v_or3_b32 v26, v23, v11, v24
.LBB368_1568:                           ;   in Loop: Header=BB368_1052 Depth=1
	s_or_b32 exec_lo, exec_lo, s19
.LBB368_1569:                           ;   in Loop: Header=BB368_1052 Depth=1
	s_or_b32 exec_lo, exec_lo, s18
.LBB368_1570:                           ;   in Loop: Header=BB368_1052 Depth=1
	s_or_b32 exec_lo, exec_lo, s15
	s_mov_b32 s15, exec_lo
	v_cmpx_lt_u64_e64 s[6:7], v[21:22]
	s_cbranch_execz .LBB368_1578
; %bb.1571:                             ;   in Loop: Header=BB368_1052 Depth=1
	v_cmp_ne_u32_sdwa s4, v22, v67 src0_sel:BYTE_3 src1_sel:DWORD
	v_bfrev_b32_e32 v25, 1
	s_and_saveexec_b32 s18, s4
	s_cbranch_execz .LBB368_1577
; %bb.1572:                             ;   in Loop: Header=BB368_1052 Depth=1
	v_bfe_u32 v23, v22, 24, 7
	v_mov_b32_e32 v25, 0x7f800001
	s_mov_b32 s19, exec_lo
	v_cmpx_ne_u32_e32 0x7f, v23
	s_cbranch_execz .LBB368_1576
; %bb.1573:                             ;   in Loop: Header=BB368_1052 Depth=1
	v_mov_b32_e32 v11, 7
	v_lshrrev_b32_e32 v21, 3, v23
	v_cmp_gt_u32_e64 s4, 8, v23
	v_and_b32_sdwa v11, v22, v11 dst_sel:DWORD dst_unused:UNUSED_PAD src0_sel:BYTE_3 src1_sel:DWORD
	v_mov_b32_e32 v24, v12
	v_mov_b32_e32 v23, v11
	s_and_saveexec_b32 s20, s4
; %bb.1574:                             ;   in Loop: Header=BB368_1052 Depth=1
	v_ffbh_u32_e32 v21, v11
	v_min_u32_e32 v21, 32, v21
	v_subrev_nc_u32_e32 v23, 28, v21
	v_sub_nc_u32_e32 v21, 29, v21
	v_lshlrev_b64 v[23:24], v23, v[11:12]
	v_and_b32_e32 v23, 7, v23
; %bb.1575:                             ;   in Loop: Header=BB368_1052 Depth=1
	s_or_b32 exec_lo, exec_lo, s20
	v_mov_b32_e32 v11, 24
	v_lshl_add_u32 v21, v21, 23, 0x3c000000
	v_lshlrev_b32_sdwa v11, v11, v22 dst_sel:DWORD dst_unused:UNUSED_PAD src0_sel:DWORD src1_sel:BYTE_3
	v_lshlrev_b32_e32 v22, 20, v23
	v_and_b32_e32 v11, 0x80000000, v11
	v_or3_b32 v25, v22, v11, v21
.LBB368_1576:                           ;   in Loop: Header=BB368_1052 Depth=1
	s_or_b32 exec_lo, exec_lo, s19
.LBB368_1577:                           ;   in Loop: Header=BB368_1052 Depth=1
	s_or_b32 exec_lo, exec_lo, s18
.LBB368_1578:                           ;   in Loop: Header=BB368_1052 Depth=1
	s_or_b32 exec_lo, exec_lo, s15
	v_mul_f32_e32 v11, v64, v18
	v_mul_f32_e32 v10, v64, v10
	v_bfe_u32 v18, v11, 16, 1
	v_or_b32_e32 v21, 0x400000, v11
	v_cmp_u_f32_e64 s4, v11, v11
	v_add3_u32 v18, v18, v11, 0x7fff
	v_cndmask_b32_e64 v11, v18, v21, s4
	v_lshrrev_b32_e32 v18, 16, v11
	v_mul_f32_e32 v11, v64, v28
	v_bfe_u32 v21, v11, 16, 1
	v_or_b32_e32 v22, 0x400000, v11
	v_cmp_u_f32_e64 s4, v11, v11
	v_add3_u32 v21, v21, v11, 0x7fff
	v_cndmask_b32_e64 v11, v21, v22, s4
	v_lshrrev_b32_e32 v28, 16, v11
	v_mul_f32_e32 v11, v64, v17
	v_bfe_u32 v17, v11, 16, 1
	v_or_b32_e32 v21, 0x400000, v11
	v_cmp_u_f32_e64 s4, v11, v11
	v_add3_u32 v17, v17, v11, 0x7fff
	v_cndmask_b32_e64 v11, v17, v21, s4
	v_lshrrev_b32_e32 v29, 16, v11
	v_mul_f32_e32 v11, v64, v14
	v_bfe_u32 v14, v11, 16, 1
	v_or_b32_e32 v17, 0x400000, v11
	v_cmp_u_f32_e64 s4, v11, v11
	v_add3_u32 v14, v14, v11, 0x7fff
	v_cndmask_b32_e64 v11, v14, v17, s4
	v_lshrrev_b32_e32 v30, 16, v11
	v_mul_f32_e32 v11, v64, v13
	v_bfe_u32 v13, v11, 16, 1
	v_or_b32_e32 v14, 0x400000, v11
	v_cmp_u_f32_e64 s4, v11, v11
	v_add3_u32 v13, v13, v11, 0x7fff
	v_cndmask_b32_e64 v11, v13, v14, s4
	v_or_b32_e32 v13, 0x400000, v10
	v_cmp_u_f32_e64 s4, v10, v10
	v_lshrrev_b32_e32 v111, 16, v11
	v_bfe_u32 v11, v10, 16, 1
	v_add3_u32 v11, v11, v10, 0x7fff
	v_cndmask_b32_e64 v10, v11, v13, s4
	v_lshrrev_b32_e32 v120, 16, v10
	v_mul_f32_e32 v10, v64, v26
	v_bfe_u32 v11, v10, 16, 1
	v_or_b32_e32 v13, 0x400000, v10
	v_cmp_u_f32_e64 s4, v10, v10
	v_add3_u32 v11, v11, v10, 0x7fff
	v_cndmask_b32_e64 v10, v11, v13, s4
	v_lshrrev_b32_e32 v110, 16, v10
	v_mul_f32_e32 v10, v64, v25
	v_bfe_u32 v11, v10, 16, 1
	v_or_b32_e32 v13, 0x400000, v10
	v_cmp_u_f32_e64 s4, v10, v10
	v_add3_u32 v11, v11, v10, 0x7fff
	v_cndmask_b32_e64 v10, v11, v13, s4
	v_lshrrev_b32_e32 v121, 16, v10
	s_and_saveexec_b32 s15, vcc_lo
	s_cbranch_execz .LBB368_1580
; %bb.1579:                             ;   in Loop: Header=BB368_1052 Depth=1
	buffer_load_dword v10, off, s[0:3], s32 offset:192 ; 4-byte Folded Reload
	s_waitcnt vmcnt(0)
	v_cmp_lt_i32_e64 s4, v57, v10
	v_cndmask_b32_e64 v120, 0, v120, s4
	v_cmp_lt_i32_e64 s4, v63, v10
	v_cndmask_b32_e64 v111, 0, v111, s4
	;; [unrolled: 2-line block ×8, first 2 shown]
.LBB368_1580:                           ;   in Loop: Header=BB368_1052 Depth=1
	s_or_b32 exec_lo, exec_lo, s15
	v_add_co_u32 v19, s4, 0x800, v19
	v_add_co_ci_u32_e64 v20, null, 0, v20, s4
	v_mov_b32_e32 v13, 0
	v_mov_b32_e32 v10, 0
	flat_load_dwordx2 v[21:22], v[19:20]
	s_waitcnt vmcnt(0) lgkmcnt(0)
	v_cmp_ne_u16_sdwa s4, v21, v12 src0_sel:BYTE_0 src1_sel:DWORD
	s_and_saveexec_b32 s15, s4
	s_cbranch_execz .LBB368_1588
; %bb.1581:                             ;   in Loop: Header=BB368_1052 Depth=1
	v_cmp_ne_u16_sdwa s4, v21, v67 src0_sel:BYTE_0 src1_sel:DWORD
	v_bfrev_b32_e32 v10, 1
	s_and_saveexec_b32 s18, s4
	s_cbranch_execz .LBB368_1587
; %bb.1582:                             ;   in Loop: Header=BB368_1052 Depth=1
	v_and_b32_e32 v11, 0x7f, v21
	v_mov_b32_e32 v10, 0x7f800001
	s_mov_b32 s19, exec_lo
	v_cmpx_ne_u32_e32 0x7f, v11
	s_cbranch_execz .LBB368_1586
; %bb.1583:                             ;   in Loop: Header=BB368_1052 Depth=1
	v_lshrrev_b32_e32 v14, 3, v11
	v_cmp_gt_u32_e64 s4, 8, v11
	v_mov_b32_e32 v10, v21
	v_mov_b32_e32 v11, v22
	s_and_saveexec_b32 s20, s4
; %bb.1584:                             ;   in Loop: Header=BB368_1052 Depth=1
	v_and_b32_e32 v10, 7, v21
	v_ffbh_u32_e32 v10, v10
	v_min_u32_e32 v14, 32, v10
	v_subrev_nc_u32_e32 v10, 28, v14
	v_sub_nc_u32_e32 v14, 29, v14
	v_lshlrev_b64 v[10:11], v10, v[21:22]
; %bb.1585:                             ;   in Loop: Header=BB368_1052 Depth=1
	s_or_b32 exec_lo, exec_lo, s20
	v_lshlrev_b32_e32 v10, 20, v10
	v_lshlrev_b32_e32 v11, 24, v21
	v_lshl_add_u32 v14, v14, 23, 0x3c000000
	v_and_b32_e32 v10, 0x700000, v10
	v_and_b32_e32 v11, 0x80000000, v11
	v_or3_b32 v10, v10, v11, v14
.LBB368_1586:                           ;   in Loop: Header=BB368_1052 Depth=1
	s_or_b32 exec_lo, exec_lo, s19
.LBB368_1587:                           ;   in Loop: Header=BB368_1052 Depth=1
	s_or_b32 exec_lo, exec_lo, s18
.LBB368_1588:                           ;   in Loop: Header=BB368_1052 Depth=1
	s_or_b32 exec_lo, exec_lo, s15
	v_cmp_ne_u16_sdwa s4, v21, v12 src0_sel:BYTE_1 src1_sel:DWORD
	s_and_saveexec_b32 s15, s4
	s_cbranch_execz .LBB368_1596
; %bb.1589:                             ;   in Loop: Header=BB368_1052 Depth=1
	v_cmp_ne_u16_sdwa s4, v21, v67 src0_sel:BYTE_1 src1_sel:DWORD
	v_bfrev_b32_e32 v13, 1
	s_and_saveexec_b32 s18, s4
	s_cbranch_execz .LBB368_1595
; %bb.1590:                             ;   in Loop: Header=BB368_1052 Depth=1
	v_and_b32_sdwa v11, v94, v21 dst_sel:DWORD dst_unused:UNUSED_PAD src0_sel:DWORD src1_sel:BYTE_1
	v_mov_b32_e32 v13, 0x7f800001
	s_mov_b32 s19, exec_lo
	v_and_b32_e32 v14, 0x7f, v11
	v_cmpx_ne_u32_e32 0x7f, v14
	s_cbranch_execz .LBB368_1594
; %bb.1591:                             ;   in Loop: Header=BB368_1052 Depth=1
	v_and_b32_e32 v11, 7, v11
	v_mov_b32_e32 v24, v12
	v_lshrrev_b32_e32 v13, 3, v14
	s_mov_b32 s20, exec_lo
	v_mov_b32_e32 v23, v11
	v_cmpx_gt_u32_e32 8, v14
; %bb.1592:                             ;   in Loop: Header=BB368_1052 Depth=1
	v_ffbh_u32_e32 v13, v11
	v_min_u32_e32 v13, 32, v13
	v_subrev_nc_u32_e32 v14, 28, v13
	v_sub_nc_u32_e32 v13, 29, v13
	v_lshlrev_b64 v[23:24], v14, v[11:12]
	v_and_b32_e32 v23, 7, v23
; %bb.1593:                             ;   in Loop: Header=BB368_1052 Depth=1
	s_or_b32 exec_lo, exec_lo, s20
	v_lshlrev_b32_e32 v11, 16, v21
	v_lshlrev_b32_e32 v14, 20, v23
	v_lshl_add_u32 v13, v13, 23, 0x3c000000
	v_and_b32_e32 v11, 0x80000000, v11
	v_or3_b32 v13, v14, v11, v13
.LBB368_1594:                           ;   in Loop: Header=BB368_1052 Depth=1
	s_or_b32 exec_lo, exec_lo, s19
.LBB368_1595:                           ;   in Loop: Header=BB368_1052 Depth=1
	s_or_b32 exec_lo, exec_lo, s18
.LBB368_1596:                           ;   in Loop: Header=BB368_1052 Depth=1
	s_or_b32 exec_lo, exec_lo, s15
	v_and_b32_sdwa v11, v21, v69 dst_sel:DWORD dst_unused:UNUSED_PAD src0_sel:WORD_1 src1_sel:DWORD
	v_mov_b32_e32 v17, 0
	v_mov_b32_e32 v14, 0
	s_mov_b32 s15, exec_lo
	v_cmpx_ne_u16_e32 0, v11
	s_cbranch_execz .LBB368_1604
; %bb.1597:                             ;   in Loop: Header=BB368_1052 Depth=1
	v_bfrev_b32_e32 v14, 1
	s_mov_b32 s18, exec_lo
	v_cmpx_ne_u16_e32 0x80, v11
	s_cbranch_execz .LBB368_1603
; %bb.1598:                             ;   in Loop: Header=BB368_1052 Depth=1
	v_bfe_u32 v23, v21, 16, 7
	v_mov_b32_e32 v14, 0x7f800001
	s_mov_b32 s19, exec_lo
	v_cmpx_ne_u32_e32 0x7f, v23
	s_cbranch_execz .LBB368_1602
; %bb.1599:                             ;   in Loop: Header=BB368_1052 Depth=1
	v_mov_b32_e32 v11, 7
	v_lshrrev_b32_e32 v14, 3, v23
	v_cmp_gt_u32_e64 s4, 8, v23
	v_and_b32_sdwa v11, v21, v11 dst_sel:DWORD dst_unused:UNUSED_PAD src0_sel:WORD_1 src1_sel:DWORD
	v_mov_b32_e32 v24, v12
	v_mov_b32_e32 v23, v11
	s_and_saveexec_b32 s20, s4
; %bb.1600:                             ;   in Loop: Header=BB368_1052 Depth=1
	v_ffbh_u32_e32 v14, v11
	v_min_u32_e32 v14, 32, v14
	v_subrev_nc_u32_e32 v23, 28, v14
	v_sub_nc_u32_e32 v14, 29, v14
	v_lshlrev_b64 v[23:24], v23, v[11:12]
	v_and_b32_e32 v23, 7, v23
; %bb.1601:                             ;   in Loop: Header=BB368_1052 Depth=1
	s_or_b32 exec_lo, exec_lo, s20
	v_mov_b32_e32 v11, 24
	v_lshlrev_b32_e32 v23, 20, v23
	v_lshl_add_u32 v14, v14, 23, 0x3c000000
	v_lshlrev_b32_sdwa v11, v11, v21 dst_sel:DWORD dst_unused:UNUSED_PAD src0_sel:DWORD src1_sel:WORD_1
	v_and_b32_e32 v11, 0x80000000, v11
	v_or3_b32 v14, v23, v11, v14
.LBB368_1602:                           ;   in Loop: Header=BB368_1052 Depth=1
	s_or_b32 exec_lo, exec_lo, s19
.LBB368_1603:                           ;   in Loop: Header=BB368_1052 Depth=1
	s_or_b32 exec_lo, exec_lo, s18
.LBB368_1604:                           ;   in Loop: Header=BB368_1052 Depth=1
	s_or_b32 exec_lo, exec_lo, s15
	s_mov_b32 s15, exec_lo
	v_cmpx_lt_u32_e32 0xffffff, v21
	s_cbranch_execz .LBB368_1612
; %bb.1605:                             ;   in Loop: Header=BB368_1052 Depth=1
	v_cmp_ne_u32_sdwa s4, v21, v67 src0_sel:BYTE_3 src1_sel:DWORD
	v_bfrev_b32_e32 v17, 1
	s_and_saveexec_b32 s18, s4
	s_cbranch_execz .LBB368_1611
; %bb.1606:                             ;   in Loop: Header=BB368_1052 Depth=1
	v_bfe_u32 v23, v21, 24, 7
	v_mov_b32_e32 v17, 0x7f800001
	s_mov_b32 s19, exec_lo
	v_cmpx_ne_u32_e32 0x7f, v23
	s_cbranch_execz .LBB368_1610
; %bb.1607:                             ;   in Loop: Header=BB368_1052 Depth=1
	v_mov_b32_e32 v11, 7
	v_lshrrev_b32_e32 v17, 3, v23
	v_cmp_gt_u32_e64 s4, 8, v23
	v_and_b32_sdwa v11, v21, v11 dst_sel:DWORD dst_unused:UNUSED_PAD src0_sel:BYTE_3 src1_sel:DWORD
	v_mov_b32_e32 v24, v12
	v_mov_b32_e32 v23, v11
	s_and_saveexec_b32 s20, s4
; %bb.1608:                             ;   in Loop: Header=BB368_1052 Depth=1
	v_ffbh_u32_e32 v17, v11
	v_min_u32_e32 v17, 32, v17
	v_subrev_nc_u32_e32 v23, 28, v17
	v_sub_nc_u32_e32 v17, 29, v17
	v_lshlrev_b64 v[23:24], v23, v[11:12]
	v_and_b32_e32 v23, 7, v23
; %bb.1609:                             ;   in Loop: Header=BB368_1052 Depth=1
	s_or_b32 exec_lo, exec_lo, s20
	v_mov_b32_e32 v11, 24
	v_lshlrev_b32_e32 v23, 20, v23
	v_lshl_add_u32 v17, v17, 23, 0x3c000000
	v_lshlrev_b32_sdwa v11, v11, v21 dst_sel:DWORD dst_unused:UNUSED_PAD src0_sel:DWORD src1_sel:BYTE_3
	v_and_b32_e32 v11, 0x80000000, v11
	v_or3_b32 v17, v23, v11, v17
.LBB368_1610:                           ;   in Loop: Header=BB368_1052 Depth=1
	s_or_b32 exec_lo, exec_lo, s19
.LBB368_1611:                           ;   in Loop: Header=BB368_1052 Depth=1
	s_or_b32 exec_lo, exec_lo, s18
.LBB368_1612:                           ;   in Loop: Header=BB368_1052 Depth=1
	s_or_b32 exec_lo, exec_lo, s15
	v_mov_b32_e32 v11, v22
	v_cmp_ne_u16_sdwa s4, v22, v12 src0_sel:BYTE_0 src1_sel:DWORD
	v_mov_b32_e32 v68, 0
	v_mov_b32_e32 v26, 0
	s_and_saveexec_b32 s15, s4
	s_cbranch_execz .LBB368_1620
; %bb.1613:                             ;   in Loop: Header=BB368_1052 Depth=1
	v_cmp_ne_u16_sdwa s4, v22, v67 src0_sel:BYTE_0 src1_sel:DWORD
	v_bfrev_b32_e32 v26, 1
	s_and_saveexec_b32 s18, s4
	s_cbranch_execz .LBB368_1619
; %bb.1614:                             ;   in Loop: Header=BB368_1052 Depth=1
	v_and_b32_e32 v23, 0x7f, v22
	v_mov_b32_e32 v26, 0x7f800001
	s_mov_b32 s19, exec_lo
	v_cmpx_ne_u32_e32 0x7f, v23
	s_cbranch_execz .LBB368_1618
; %bb.1615:                             ;   in Loop: Header=BB368_1052 Depth=1
	v_lshrrev_b32_e32 v25, 3, v23
	v_cmp_gt_u32_e64 s4, 8, v23
	v_mov_b32_e32 v24, v12
	v_mov_b32_e32 v23, v11
	s_and_saveexec_b32 s20, s4
; %bb.1616:                             ;   in Loop: Header=BB368_1052 Depth=1
	v_and_b32_e32 v23, 7, v22
	v_ffbh_u32_e32 v23, v23
	v_min_u32_e32 v25, 32, v23
	v_subrev_nc_u32_e32 v23, 28, v25
	v_sub_nc_u32_e32 v25, 29, v25
	v_lshlrev_b64 v[23:24], v23, v[11:12]
; %bb.1617:                             ;   in Loop: Header=BB368_1052 Depth=1
	s_or_b32 exec_lo, exec_lo, s20
	v_lshlrev_b32_e32 v23, 20, v23
	v_lshlrev_b32_e32 v24, 24, v11
	v_lshl_add_u32 v25, v25, 23, 0x3c000000
	v_and_b32_e32 v23, 0x700000, v23
	v_and_b32_e32 v24, 0x80000000, v24
	v_or3_b32 v26, v23, v24, v25
.LBB368_1618:                           ;   in Loop: Header=BB368_1052 Depth=1
	s_or_b32 exec_lo, exec_lo, s19
.LBB368_1619:                           ;   in Loop: Header=BB368_1052 Depth=1
	s_or_b32 exec_lo, exec_lo, s18
.LBB368_1620:                           ;   in Loop: Header=BB368_1052 Depth=1
	s_or_b32 exec_lo, exec_lo, s15
	v_cmp_ne_u16_sdwa s4, v11, v12 src0_sel:BYTE_1 src1_sel:DWORD
	s_and_saveexec_b32 s15, s4
	s_cbranch_execz .LBB368_1628
; %bb.1621:                             ;   in Loop: Header=BB368_1052 Depth=1
	v_cmp_ne_u16_sdwa s4, v11, v67 src0_sel:BYTE_1 src1_sel:DWORD
	v_bfrev_b32_e32 v68, 1
	s_and_saveexec_b32 s18, s4
	s_cbranch_execz .LBB368_1627
; %bb.1622:                             ;   in Loop: Header=BB368_1052 Depth=1
	v_and_b32_sdwa v23, v94, v11 dst_sel:DWORD dst_unused:UNUSED_PAD src0_sel:DWORD src1_sel:BYTE_1
	v_mov_b32_e32 v68, 0x7f800001
	s_mov_b32 s19, exec_lo
	v_and_b32_e32 v31, 0x7f, v23
	v_cmpx_ne_u32_e32 0x7f, v31
	s_cbranch_execz .LBB368_1626
; %bb.1623:                             ;   in Loop: Header=BB368_1052 Depth=1
	v_and_b32_e32 v23, 7, v23
	v_mov_b32_e32 v24, v12
	v_lshrrev_b32_e32 v25, 3, v31
	s_mov_b32 s20, exec_lo
	v_cmpx_gt_u32_e32 8, v31
; %bb.1624:                             ;   in Loop: Header=BB368_1052 Depth=1
	v_ffbh_u32_e32 v25, v23
	v_min_u32_e32 v25, 32, v25
	v_subrev_nc_u32_e32 v31, 28, v25
	v_sub_nc_u32_e32 v25, 29, v25
	v_lshlrev_b64 v[23:24], v31, v[23:24]
	v_and_b32_e32 v23, 7, v23
; %bb.1625:                             ;   in Loop: Header=BB368_1052 Depth=1
	s_or_b32 exec_lo, exec_lo, s20
	v_lshlrev_b32_e32 v11, 16, v11
	v_lshlrev_b32_e32 v23, 20, v23
	v_lshl_add_u32 v24, v25, 23, 0x3c000000
	v_and_b32_e32 v11, 0x80000000, v11
	v_or3_b32 v68, v23, v11, v24
.LBB368_1626:                           ;   in Loop: Header=BB368_1052 Depth=1
	s_or_b32 exec_lo, exec_lo, s19
.LBB368_1627:                           ;   in Loop: Header=BB368_1052 Depth=1
	s_or_b32 exec_lo, exec_lo, s18
.LBB368_1628:                           ;   in Loop: Header=BB368_1052 Depth=1
	s_or_b32 exec_lo, exec_lo, s15
	v_and_b32_sdwa v11, v22, v69 dst_sel:DWORD dst_unused:UNUSED_PAD src0_sel:WORD_1 src1_sel:DWORD
	v_mov_b32_e32 v25, 0
	v_mov_b32_e32 v31, 0
	s_mov_b32 s15, exec_lo
	v_cmpx_ne_u16_e32 0, v11
	s_cbranch_execz .LBB368_1636
; %bb.1629:                             ;   in Loop: Header=BB368_1052 Depth=1
	v_bfrev_b32_e32 v31, 1
	s_mov_b32 s18, exec_lo
	v_cmpx_ne_u16_e32 0x80, v11
	s_cbranch_execz .LBB368_1635
; %bb.1630:                             ;   in Loop: Header=BB368_1052 Depth=1
	v_bfe_u32 v23, v22, 16, 7
	v_mov_b32_e32 v31, 0x7f800001
	s_mov_b32 s19, exec_lo
	v_cmpx_ne_u32_e32 0x7f, v23
	s_cbranch_execz .LBB368_1634
; %bb.1631:                             ;   in Loop: Header=BB368_1052 Depth=1
	v_mov_b32_e32 v11, 7
	v_lshrrev_b32_e32 v31, 3, v23
	v_cmp_gt_u32_e64 s4, 8, v23
	v_and_b32_sdwa v11, v22, v11 dst_sel:DWORD dst_unused:UNUSED_PAD src0_sel:WORD_1 src1_sel:DWORD
	v_mov_b32_e32 v24, v12
	v_mov_b32_e32 v23, v11
	s_and_saveexec_b32 s20, s4
; %bb.1632:                             ;   in Loop: Header=BB368_1052 Depth=1
	v_ffbh_u32_e32 v23, v11
	v_min_u32_e32 v31, 32, v23
	v_subrev_nc_u32_e32 v23, 28, v31
	v_sub_nc_u32_e32 v31, 29, v31
	v_lshlrev_b64 v[23:24], v23, v[11:12]
	v_and_b32_e32 v23, 7, v23
; %bb.1633:                             ;   in Loop: Header=BB368_1052 Depth=1
	s_or_b32 exec_lo, exec_lo, s20
	v_mov_b32_e32 v11, 24
	v_lshlrev_b32_e32 v23, 20, v23
	v_lshl_add_u32 v24, v31, 23, 0x3c000000
	v_lshlrev_b32_sdwa v11, v11, v22 dst_sel:DWORD dst_unused:UNUSED_PAD src0_sel:DWORD src1_sel:WORD_1
	v_and_b32_e32 v11, 0x80000000, v11
	v_or3_b32 v31, v23, v11, v24
.LBB368_1634:                           ;   in Loop: Header=BB368_1052 Depth=1
	s_or_b32 exec_lo, exec_lo, s19
.LBB368_1635:                           ;   in Loop: Header=BB368_1052 Depth=1
	s_or_b32 exec_lo, exec_lo, s18
.LBB368_1636:                           ;   in Loop: Header=BB368_1052 Depth=1
	s_or_b32 exec_lo, exec_lo, s15
	s_mov_b32 s15, exec_lo
	v_cmpx_lt_u64_e64 s[6:7], v[21:22]
	s_cbranch_execz .LBB368_1644
; %bb.1637:                             ;   in Loop: Header=BB368_1052 Depth=1
	v_cmp_ne_u32_sdwa s4, v22, v67 src0_sel:BYTE_3 src1_sel:DWORD
	v_bfrev_b32_e32 v25, 1
	s_and_saveexec_b32 s18, s4
	s_cbranch_execz .LBB368_1643
; %bb.1638:                             ;   in Loop: Header=BB368_1052 Depth=1
	v_bfe_u32 v23, v22, 24, 7
	v_mov_b32_e32 v25, 0x7f800001
	s_mov_b32 s19, exec_lo
	v_cmpx_ne_u32_e32 0x7f, v23
	s_cbranch_execz .LBB368_1642
; %bb.1639:                             ;   in Loop: Header=BB368_1052 Depth=1
	v_mov_b32_e32 v11, 7
	v_lshrrev_b32_e32 v21, 3, v23
	v_cmp_gt_u32_e64 s4, 8, v23
	v_and_b32_sdwa v11, v22, v11 dst_sel:DWORD dst_unused:UNUSED_PAD src0_sel:BYTE_3 src1_sel:DWORD
	v_mov_b32_e32 v24, v12
	v_mov_b32_e32 v23, v11
	s_and_saveexec_b32 s20, s4
; %bb.1640:                             ;   in Loop: Header=BB368_1052 Depth=1
	v_ffbh_u32_e32 v21, v11
	v_min_u32_e32 v21, 32, v21
	v_subrev_nc_u32_e32 v23, 28, v21
	v_sub_nc_u32_e32 v21, 29, v21
	v_lshlrev_b64 v[23:24], v23, v[11:12]
	v_and_b32_e32 v23, 7, v23
; %bb.1641:                             ;   in Loop: Header=BB368_1052 Depth=1
	s_or_b32 exec_lo, exec_lo, s20
	v_mov_b32_e32 v11, 24
	v_lshl_add_u32 v21, v21, 23, 0x3c000000
	v_lshlrev_b32_sdwa v11, v11, v22 dst_sel:DWORD dst_unused:UNUSED_PAD src0_sel:DWORD src1_sel:BYTE_3
	v_lshlrev_b32_e32 v22, 20, v23
	v_and_b32_e32 v11, 0x80000000, v11
	v_or3_b32 v25, v22, v11, v21
.LBB368_1642:                           ;   in Loop: Header=BB368_1052 Depth=1
	s_or_b32 exec_lo, exec_lo, s19
.LBB368_1643:                           ;   in Loop: Header=BB368_1052 Depth=1
	s_or_b32 exec_lo, exec_lo, s18
.LBB368_1644:                           ;   in Loop: Header=BB368_1052 Depth=1
	s_or_b32 exec_lo, exec_lo, s15
	v_mul_f32_e32 v11, v64, v68
	v_mul_f32_e32 v10, v64, v10
	v_bfe_u32 v21, v11, 16, 1
	v_or_b32_e32 v22, 0x400000, v11
	v_cmp_u_f32_e64 s4, v11, v11
	v_add3_u32 v21, v21, v11, 0x7fff
	v_cndmask_b32_e64 v11, v21, v22, s4
	v_lshrrev_b32_e32 v122, 16, v11
	v_mul_f32_e32 v11, v64, v26
	v_bfe_u32 v21, v11, 16, 1
	v_or_b32_e32 v22, 0x400000, v11
	v_cmp_u_f32_e64 s4, v11, v11
	v_add3_u32 v21, v21, v11, 0x7fff
	v_cndmask_b32_e64 v11, v21, v22, s4
	v_lshrrev_b32_e32 v123, 16, v11
	;; [unrolled: 7-line block ×4, first 2 shown]
	v_mul_f32_e32 v11, v64, v13
	v_bfe_u32 v13, v11, 16, 1
	v_or_b32_e32 v14, 0x400000, v11
	v_cmp_u_f32_e64 s4, v11, v11
	v_add3_u32 v13, v13, v11, 0x7fff
	v_cndmask_b32_e64 v11, v13, v14, s4
	v_or_b32_e32 v13, 0x400000, v10
	v_cmp_u_f32_e64 s4, v10, v10
	v_lshrrev_b32_e32 v127, 16, v11
	v_bfe_u32 v11, v10, 16, 1
	v_add3_u32 v11, v11, v10, 0x7fff
	v_cndmask_b32_e64 v10, v11, v13, s4
	v_lshrrev_b32_e32 v26, 16, v10
	v_mul_f32_e32 v10, v64, v31
	v_bfe_u32 v11, v10, 16, 1
	v_or_b32_e32 v13, 0x400000, v10
	v_cmp_u_f32_e64 s4, v10, v10
	v_add3_u32 v11, v11, v10, 0x7fff
	v_cndmask_b32_e64 v10, v11, v13, s4
	v_lshrrev_b32_e32 v126, 16, v10
	v_mul_f32_e32 v10, v64, v25
	v_bfe_u32 v11, v10, 16, 1
	v_or_b32_e32 v13, 0x400000, v10
	v_cmp_u_f32_e64 s4, v10, v10
	v_add3_u32 v11, v11, v10, 0x7fff
	v_cndmask_b32_e64 v10, v11, v13, s4
	v_lshrrev_b32_e32 v13, 16, v10
	s_and_saveexec_b32 s15, vcc_lo
	s_cbranch_execz .LBB368_1646
; %bb.1645:                             ;   in Loop: Header=BB368_1052 Depth=1
	buffer_load_dword v10, off, s[0:3], s32 offset:192 ; 4-byte Folded Reload
	s_waitcnt vmcnt(0)
	v_cmp_lt_i32_e64 s4, v57, v10
	v_cndmask_b32_e64 v26, 0, v26, s4
	v_cmp_lt_i32_e64 s4, v63, v10
	v_cndmask_b32_e64 v127, 0, v127, s4
	;; [unrolled: 2-line block ×8, first 2 shown]
.LBB368_1646:                           ;   in Loop: Header=BB368_1052 Depth=1
	s_or_b32 exec_lo, exec_lo, s15
	flat_load_dwordx2 v[21:22], v[19:20] offset:256
	v_mov_b32_e32 v68, 0
	v_mov_b32_e32 v10, 0
	s_waitcnt vmcnt(0) lgkmcnt(0)
	v_cmp_ne_u16_sdwa s4, v21, v12 src0_sel:BYTE_0 src1_sel:DWORD
	s_and_saveexec_b32 s15, s4
	s_cbranch_execz .LBB368_1654
; %bb.1647:                             ;   in Loop: Header=BB368_1052 Depth=1
	v_cmp_ne_u16_sdwa s4, v21, v67 src0_sel:BYTE_0 src1_sel:DWORD
	v_bfrev_b32_e32 v10, 1
	s_and_saveexec_b32 s18, s4
	s_cbranch_execz .LBB368_1653
; %bb.1648:                             ;   in Loop: Header=BB368_1052 Depth=1
	v_and_b32_e32 v11, 0x7f, v21
	v_mov_b32_e32 v10, 0x7f800001
	s_mov_b32 s19, exec_lo
	v_cmpx_ne_u32_e32 0x7f, v11
	s_cbranch_execz .LBB368_1652
; %bb.1649:                             ;   in Loop: Header=BB368_1052 Depth=1
	v_lshrrev_b32_e32 v14, 3, v11
	v_cmp_gt_u32_e64 s4, 8, v11
	v_mov_b32_e32 v10, v21
	v_mov_b32_e32 v11, v22
	s_and_saveexec_b32 s20, s4
; %bb.1650:                             ;   in Loop: Header=BB368_1052 Depth=1
	v_and_b32_e32 v10, 7, v21
	v_ffbh_u32_e32 v10, v10
	v_min_u32_e32 v14, 32, v10
	v_subrev_nc_u32_e32 v10, 28, v14
	v_sub_nc_u32_e32 v14, 29, v14
	v_lshlrev_b64 v[10:11], v10, v[21:22]
; %bb.1651:                             ;   in Loop: Header=BB368_1052 Depth=1
	s_or_b32 exec_lo, exec_lo, s20
	v_lshlrev_b32_e32 v10, 20, v10
	v_lshlrev_b32_e32 v11, 24, v21
	v_lshl_add_u32 v14, v14, 23, 0x3c000000
	v_and_b32_e32 v10, 0x700000, v10
	v_and_b32_e32 v11, 0x80000000, v11
	v_or3_b32 v10, v10, v11, v14
.LBB368_1652:                           ;   in Loop: Header=BB368_1052 Depth=1
	s_or_b32 exec_lo, exec_lo, s19
.LBB368_1653:                           ;   in Loop: Header=BB368_1052 Depth=1
	s_or_b32 exec_lo, exec_lo, s18
.LBB368_1654:                           ;   in Loop: Header=BB368_1052 Depth=1
	s_or_b32 exec_lo, exec_lo, s15
	v_cmp_ne_u16_sdwa s4, v21, v12 src0_sel:BYTE_1 src1_sel:DWORD
	s_and_saveexec_b32 s15, s4
	s_cbranch_execz .LBB368_1662
; %bb.1655:                             ;   in Loop: Header=BB368_1052 Depth=1
	v_cmp_ne_u16_sdwa s4, v21, v67 src0_sel:BYTE_1 src1_sel:DWORD
	v_bfrev_b32_e32 v68, 1
	s_and_saveexec_b32 s18, s4
	s_cbranch_execz .LBB368_1661
; %bb.1656:                             ;   in Loop: Header=BB368_1052 Depth=1
	v_and_b32_sdwa v11, v94, v21 dst_sel:DWORD dst_unused:UNUSED_PAD src0_sel:DWORD src1_sel:BYTE_1
	v_mov_b32_e32 v68, 0x7f800001
	s_mov_b32 s19, exec_lo
	v_and_b32_e32 v17, 0x7f, v11
	v_cmpx_ne_u32_e32 0x7f, v17
	s_cbranch_execz .LBB368_1660
; %bb.1657:                             ;   in Loop: Header=BB368_1052 Depth=1
	v_and_b32_e32 v11, 7, v11
	v_mov_b32_e32 v24, v12
	v_lshrrev_b32_e32 v14, 3, v17
	s_mov_b32 s20, exec_lo
	v_mov_b32_e32 v23, v11
	v_cmpx_gt_u32_e32 8, v17
; %bb.1658:                             ;   in Loop: Header=BB368_1052 Depth=1
	v_ffbh_u32_e32 v14, v11
	v_min_u32_e32 v14, 32, v14
	v_subrev_nc_u32_e32 v17, 28, v14
	v_sub_nc_u32_e32 v14, 29, v14
	v_lshlrev_b64 v[23:24], v17, v[11:12]
	v_and_b32_e32 v23, 7, v23
; %bb.1659:                             ;   in Loop: Header=BB368_1052 Depth=1
	s_or_b32 exec_lo, exec_lo, s20
	v_lshlrev_b32_e32 v11, 16, v21
	v_lshlrev_b32_e32 v17, 20, v23
	v_lshl_add_u32 v14, v14, 23, 0x3c000000
	v_and_b32_e32 v11, 0x80000000, v11
	v_or3_b32 v68, v17, v11, v14
.LBB368_1660:                           ;   in Loop: Header=BB368_1052 Depth=1
	s_or_b32 exec_lo, exec_lo, s19
.LBB368_1661:                           ;   in Loop: Header=BB368_1052 Depth=1
	s_or_b32 exec_lo, exec_lo, s18
.LBB368_1662:                           ;   in Loop: Header=BB368_1052 Depth=1
	s_or_b32 exec_lo, exec_lo, s15
	v_and_b32_sdwa v11, v21, v69 dst_sel:DWORD dst_unused:UNUSED_PAD src0_sel:WORD_1 src1_sel:DWORD
	v_mov_b32_e32 v25, 0
	v_mov_b32_e32 v31, 0
	s_mov_b32 s15, exec_lo
	v_cmpx_ne_u16_e32 0, v11
	s_cbranch_execz .LBB368_1670
; %bb.1663:                             ;   in Loop: Header=BB368_1052 Depth=1
	v_bfrev_b32_e32 v31, 1
	s_mov_b32 s18, exec_lo
	v_cmpx_ne_u16_e32 0x80, v11
	s_cbranch_execz .LBB368_1669
; %bb.1664:                             ;   in Loop: Header=BB368_1052 Depth=1
	v_bfe_u32 v17, v21, 16, 7
	v_mov_b32_e32 v31, 0x7f800001
	s_mov_b32 s19, exec_lo
	v_cmpx_ne_u32_e32 0x7f, v17
	s_cbranch_execz .LBB368_1668
; %bb.1665:                             ;   in Loop: Header=BB368_1052 Depth=1
	v_mov_b32_e32 v11, 7
	v_lshrrev_b32_e32 v14, 3, v17
	s_mov_b32 s20, exec_lo
	v_and_b32_sdwa v11, v21, v11 dst_sel:DWORD dst_unused:UNUSED_PAD src0_sel:WORD_1 src1_sel:DWORD
	v_mov_b32_e32 v24, v12
	v_mov_b32_e32 v23, v11
	v_cmpx_gt_u32_e32 8, v17
; %bb.1666:                             ;   in Loop: Header=BB368_1052 Depth=1
	v_ffbh_u32_e32 v14, v11
	v_min_u32_e32 v14, 32, v14
	v_subrev_nc_u32_e32 v17, 28, v14
	v_sub_nc_u32_e32 v14, 29, v14
	v_lshlrev_b64 v[23:24], v17, v[11:12]
	v_and_b32_e32 v23, 7, v23
; %bb.1667:                             ;   in Loop: Header=BB368_1052 Depth=1
	s_or_b32 exec_lo, exec_lo, s20
	v_mov_b32_e32 v11, 24
	v_lshlrev_b32_e32 v17, 20, v23
	v_lshl_add_u32 v14, v14, 23, 0x3c000000
	v_lshlrev_b32_sdwa v11, v11, v21 dst_sel:DWORD dst_unused:UNUSED_PAD src0_sel:DWORD src1_sel:WORD_1
	v_and_b32_e32 v11, 0x80000000, v11
	v_or3_b32 v31, v17, v11, v14
.LBB368_1668:                           ;   in Loop: Header=BB368_1052 Depth=1
	s_or_b32 exec_lo, exec_lo, s19
.LBB368_1669:                           ;   in Loop: Header=BB368_1052 Depth=1
	s_or_b32 exec_lo, exec_lo, s18
.LBB368_1670:                           ;   in Loop: Header=BB368_1052 Depth=1
	s_or_b32 exec_lo, exec_lo, s15
	s_mov_b32 s15, exec_lo
	v_cmpx_lt_u32_e32 0xffffff, v21
	s_cbranch_execz .LBB368_1678
; %bb.1671:                             ;   in Loop: Header=BB368_1052 Depth=1
	v_cmp_ne_u32_sdwa s4, v21, v67 src0_sel:BYTE_3 src1_sel:DWORD
	v_bfrev_b32_e32 v25, 1
	s_and_saveexec_b32 s18, s4
	s_cbranch_execz .LBB368_1677
; %bb.1672:                             ;   in Loop: Header=BB368_1052 Depth=1
	v_bfe_u32 v17, v21, 24, 7
	v_mov_b32_e32 v25, 0x7f800001
	s_mov_b32 s19, exec_lo
	v_cmpx_ne_u32_e32 0x7f, v17
	s_cbranch_execz .LBB368_1676
; %bb.1673:                             ;   in Loop: Header=BB368_1052 Depth=1
	v_mov_b32_e32 v11, 7
	v_lshrrev_b32_e32 v14, 3, v17
	s_mov_b32 s20, exec_lo
	v_and_b32_sdwa v11, v21, v11 dst_sel:DWORD dst_unused:UNUSED_PAD src0_sel:BYTE_3 src1_sel:DWORD
	v_mov_b32_e32 v24, v12
	v_mov_b32_e32 v23, v11
	v_cmpx_gt_u32_e32 8, v17
; %bb.1674:                             ;   in Loop: Header=BB368_1052 Depth=1
	v_ffbh_u32_e32 v14, v11
	v_min_u32_e32 v14, 32, v14
	v_subrev_nc_u32_e32 v17, 28, v14
	v_sub_nc_u32_e32 v14, 29, v14
	v_lshlrev_b64 v[23:24], v17, v[11:12]
	v_and_b32_e32 v23, 7, v23
; %bb.1675:                             ;   in Loop: Header=BB368_1052 Depth=1
	s_or_b32 exec_lo, exec_lo, s20
	v_mov_b32_e32 v11, 24
	v_lshlrev_b32_e32 v17, 20, v23
	v_lshl_add_u32 v14, v14, 23, 0x3c000000
	v_lshlrev_b32_sdwa v11, v11, v21 dst_sel:DWORD dst_unused:UNUSED_PAD src0_sel:DWORD src1_sel:BYTE_3
	v_and_b32_e32 v11, 0x80000000, v11
	v_or3_b32 v25, v17, v11, v14
.LBB368_1676:                           ;   in Loop: Header=BB368_1052 Depth=1
	s_or_b32 exec_lo, exec_lo, s19
.LBB368_1677:                           ;   in Loop: Header=BB368_1052 Depth=1
	s_or_b32 exec_lo, exec_lo, s18
.LBB368_1678:                           ;   in Loop: Header=BB368_1052 Depth=1
	s_or_b32 exec_lo, exec_lo, s15
	v_mov_b32_e32 v11, v22
	v_cmp_ne_u16_sdwa s4, v22, v12 src0_sel:BYTE_0 src1_sel:DWORD
	v_mov_b32_e32 v14, 0
	v_mov_b32_e32 v17, 0
	s_and_saveexec_b32 s15, s4
	s_cbranch_execz .LBB368_1686
; %bb.1679:                             ;   in Loop: Header=BB368_1052 Depth=1
	v_cmp_ne_u16_sdwa s4, v22, v67 src0_sel:BYTE_0 src1_sel:DWORD
	v_bfrev_b32_e32 v17, 1
	s_and_saveexec_b32 s18, s4
	s_cbranch_execz .LBB368_1685
; %bb.1680:                             ;   in Loop: Header=BB368_1052 Depth=1
	v_and_b32_e32 v23, 0x7f, v22
	v_mov_b32_e32 v17, 0x7f800001
	s_mov_b32 s19, exec_lo
	v_cmpx_ne_u32_e32 0x7f, v23
	s_cbranch_execz .LBB368_1684
; %bb.1681:                             ;   in Loop: Header=BB368_1052 Depth=1
	v_lshrrev_b32_e32 v17, 3, v23
	v_cmp_gt_u32_e64 s4, 8, v23
	v_mov_b32_e32 v24, v12
	v_mov_b32_e32 v23, v11
	s_and_saveexec_b32 s20, s4
; %bb.1682:                             ;   in Loop: Header=BB368_1052 Depth=1
	v_and_b32_e32 v17, 7, v22
	v_ffbh_u32_e32 v17, v17
	v_min_u32_e32 v17, 32, v17
	v_subrev_nc_u32_e32 v23, 28, v17
	v_sub_nc_u32_e32 v17, 29, v17
	v_lshlrev_b64 v[23:24], v23, v[11:12]
; %bb.1683:                             ;   in Loop: Header=BB368_1052 Depth=1
	s_or_b32 exec_lo, exec_lo, s20
	v_lshlrev_b32_e32 v23, 20, v23
	v_lshlrev_b32_e32 v24, 24, v11
	v_lshl_add_u32 v17, v17, 23, 0x3c000000
	v_and_b32_e32 v23, 0x700000, v23
	v_and_b32_e32 v24, 0x80000000, v24
	v_or3_b32 v17, v23, v24, v17
.LBB368_1684:                           ;   in Loop: Header=BB368_1052 Depth=1
	s_or_b32 exec_lo, exec_lo, s19
.LBB368_1685:                           ;   in Loop: Header=BB368_1052 Depth=1
	s_or_b32 exec_lo, exec_lo, s18
.LBB368_1686:                           ;   in Loop: Header=BB368_1052 Depth=1
	s_or_b32 exec_lo, exec_lo, s15
	v_cmp_ne_u16_sdwa s4, v11, v12 src0_sel:BYTE_1 src1_sel:DWORD
	s_and_saveexec_b32 s15, s4
	s_cbranch_execz .LBB368_1694
; %bb.1687:                             ;   in Loop: Header=BB368_1052 Depth=1
	v_cmp_ne_u16_sdwa s4, v11, v67 src0_sel:BYTE_1 src1_sel:DWORD
	v_bfrev_b32_e32 v14, 1
	s_and_saveexec_b32 s18, s4
	s_cbranch_execz .LBB368_1693
; %bb.1688:                             ;   in Loop: Header=BB368_1052 Depth=1
	v_and_b32_sdwa v23, v94, v11 dst_sel:DWORD dst_unused:UNUSED_PAD src0_sel:DWORD src1_sel:BYTE_1
	v_mov_b32_e32 v14, 0x7f800001
	s_mov_b32 s19, exec_lo
	v_and_b32_e32 v70, 0x7f, v23
	v_cmpx_ne_u32_e32 0x7f, v70
	s_cbranch_execz .LBB368_1692
; %bb.1689:                             ;   in Loop: Header=BB368_1052 Depth=1
	v_and_b32_e32 v23, 7, v23
	v_mov_b32_e32 v24, v12
	v_lshrrev_b32_e32 v14, 3, v70
	s_mov_b32 s20, exec_lo
	v_cmpx_gt_u32_e32 8, v70
; %bb.1690:                             ;   in Loop: Header=BB368_1052 Depth=1
	v_ffbh_u32_e32 v14, v23
	v_min_u32_e32 v14, 32, v14
	v_subrev_nc_u32_e32 v32, 28, v14
	v_sub_nc_u32_e32 v14, 29, v14
	v_lshlrev_b64 v[23:24], v32, v[23:24]
	v_and_b32_e32 v23, 7, v23
; %bb.1691:                             ;   in Loop: Header=BB368_1052 Depth=1
	s_or_b32 exec_lo, exec_lo, s20
	v_lshlrev_b32_e32 v11, 16, v11
	v_lshlrev_b32_e32 v23, 20, v23
	v_lshl_add_u32 v14, v14, 23, 0x3c000000
	v_and_b32_e32 v11, 0x80000000, v11
	v_or3_b32 v14, v23, v11, v14
.LBB368_1692:                           ;   in Loop: Header=BB368_1052 Depth=1
	s_or_b32 exec_lo, exec_lo, s19
.LBB368_1693:                           ;   in Loop: Header=BB368_1052 Depth=1
	s_or_b32 exec_lo, exec_lo, s18
.LBB368_1694:                           ;   in Loop: Header=BB368_1052 Depth=1
	s_or_b32 exec_lo, exec_lo, s15
	v_and_b32_sdwa v11, v22, v69 dst_sel:DWORD dst_unused:UNUSED_PAD src0_sel:WORD_1 src1_sel:DWORD
	v_mov_b32_e32 v70, 0
	v_mov_b32_e32 v71, 0
	s_mov_b32 s15, exec_lo
	v_cmpx_ne_u16_e32 0, v11
	s_cbranch_execz .LBB368_1702
; %bb.1695:                             ;   in Loop: Header=BB368_1052 Depth=1
	v_bfrev_b32_e32 v71, 1
	s_mov_b32 s18, exec_lo
	v_cmpx_ne_u16_e32 0x80, v11
	s_cbranch_execz .LBB368_1701
; %bb.1696:                             ;   in Loop: Header=BB368_1052 Depth=1
	v_bfe_u32 v23, v22, 16, 7
	v_mov_b32_e32 v71, 0x7f800001
	s_mov_b32 s19, exec_lo
	v_cmpx_ne_u32_e32 0x7f, v23
	s_cbranch_execz .LBB368_1700
; %bb.1697:                             ;   in Loop: Header=BB368_1052 Depth=1
	v_mov_b32_e32 v11, 7
	v_lshrrev_b32_e32 v71, 3, v23
	v_cmp_gt_u32_e64 s4, 8, v23
	v_and_b32_sdwa v11, v22, v11 dst_sel:DWORD dst_unused:UNUSED_PAD src0_sel:WORD_1 src1_sel:DWORD
	v_mov_b32_e32 v24, v12
	v_mov_b32_e32 v23, v11
	s_and_saveexec_b32 s20, s4
; %bb.1698:                             ;   in Loop: Header=BB368_1052 Depth=1
	v_ffbh_u32_e32 v23, v11
	v_min_u32_e32 v32, 32, v23
	v_subrev_nc_u32_e32 v23, 28, v32
	v_sub_nc_u32_e32 v71, 29, v32
	v_lshlrev_b64 v[23:24], v23, v[11:12]
	v_and_b32_e32 v23, 7, v23
; %bb.1699:                             ;   in Loop: Header=BB368_1052 Depth=1
	s_or_b32 exec_lo, exec_lo, s20
	v_mov_b32_e32 v11, 24
	v_lshlrev_b32_e32 v23, 20, v23
	v_lshl_add_u32 v24, v71, 23, 0x3c000000
	v_lshlrev_b32_sdwa v11, v11, v22 dst_sel:DWORD dst_unused:UNUSED_PAD src0_sel:DWORD src1_sel:WORD_1
	v_and_b32_e32 v11, 0x80000000, v11
	v_or3_b32 v71, v23, v11, v24
.LBB368_1700:                           ;   in Loop: Header=BB368_1052 Depth=1
	s_or_b32 exec_lo, exec_lo, s19
.LBB368_1701:                           ;   in Loop: Header=BB368_1052 Depth=1
	s_or_b32 exec_lo, exec_lo, s18
.LBB368_1702:                           ;   in Loop: Header=BB368_1052 Depth=1
	s_or_b32 exec_lo, exec_lo, s15
	s_mov_b32 s15, exec_lo
	v_cmpx_lt_u64_e64 s[6:7], v[21:22]
	s_cbranch_execz .LBB368_1710
; %bb.1703:                             ;   in Loop: Header=BB368_1052 Depth=1
	v_cmp_ne_u32_sdwa s4, v22, v67 src0_sel:BYTE_3 src1_sel:DWORD
	v_bfrev_b32_e32 v70, 1
	s_and_saveexec_b32 s18, s4
	s_cbranch_execz .LBB368_1709
; %bb.1704:                             ;   in Loop: Header=BB368_1052 Depth=1
	v_bfe_u32 v23, v22, 24, 7
	v_mov_b32_e32 v70, 0x7f800001
	s_mov_b32 s19, exec_lo
	v_cmpx_ne_u32_e32 0x7f, v23
	s_cbranch_execz .LBB368_1708
; %bb.1705:                             ;   in Loop: Header=BB368_1052 Depth=1
	v_mov_b32_e32 v11, 7
	v_lshrrev_b32_e32 v21, 3, v23
	v_cmp_gt_u32_e64 s4, 8, v23
	v_and_b32_sdwa v11, v22, v11 dst_sel:DWORD dst_unused:UNUSED_PAD src0_sel:BYTE_3 src1_sel:DWORD
	v_mov_b32_e32 v24, v12
	v_mov_b32_e32 v23, v11
	s_and_saveexec_b32 s20, s4
; %bb.1706:                             ;   in Loop: Header=BB368_1052 Depth=1
	v_ffbh_u32_e32 v21, v11
	v_min_u32_e32 v21, 32, v21
	v_subrev_nc_u32_e32 v23, 28, v21
	v_sub_nc_u32_e32 v21, 29, v21
	v_lshlrev_b64 v[23:24], v23, v[11:12]
	v_and_b32_e32 v23, 7, v23
; %bb.1707:                             ;   in Loop: Header=BB368_1052 Depth=1
	s_or_b32 exec_lo, exec_lo, s20
	v_mov_b32_e32 v11, 24
	v_lshl_add_u32 v21, v21, 23, 0x3c000000
	v_lshlrev_b32_sdwa v11, v11, v22 dst_sel:DWORD dst_unused:UNUSED_PAD src0_sel:DWORD src1_sel:BYTE_3
	v_lshlrev_b32_e32 v22, 20, v23
	v_and_b32_e32 v11, 0x80000000, v11
	v_or3_b32 v70, v22, v11, v21
.LBB368_1708:                           ;   in Loop: Header=BB368_1052 Depth=1
	s_or_b32 exec_lo, exec_lo, s19
.LBB368_1709:                           ;   in Loop: Header=BB368_1052 Depth=1
	s_or_b32 exec_lo, exec_lo, s18
.LBB368_1710:                           ;   in Loop: Header=BB368_1052 Depth=1
	s_or_b32 exec_lo, exec_lo, s15
	v_mul_f32_e32 v11, v64, v14
	v_mul_f32_e32 v10, v64, v10
	v_bfe_u32 v14, v11, 16, 1
	v_or_b32_e32 v21, 0x400000, v11
	v_cmp_u_f32_e64 s4, v11, v11
	v_add3_u32 v14, v14, v11, 0x7fff
	v_cndmask_b32_e64 v11, v14, v21, s4
	v_lshrrev_b32_e32 v14, 16, v11
	v_mul_f32_e32 v11, v64, v17
	v_bfe_u32 v17, v11, 16, 1
	v_or_b32_e32 v21, 0x400000, v11
	v_cmp_u_f32_e64 s4, v11, v11
	v_add3_u32 v17, v17, v11, 0x7fff
	v_cndmask_b32_e64 v11, v17, v21, s4
	v_lshrrev_b32_e32 v17, 16, v11
	;; [unrolled: 7-line block ×4, first 2 shown]
	v_mul_f32_e32 v11, v64, v68
	v_bfe_u32 v21, v11, 16, 1
	v_or_b32_e32 v22, 0x400000, v11
	v_cmp_u_f32_e64 s4, v11, v11
	v_add3_u32 v21, v21, v11, 0x7fff
	v_cndmask_b32_e64 v11, v21, v22, s4
	v_or_b32_e32 v21, 0x400000, v10
	v_cmp_u_f32_e64 s4, v10, v10
	v_lshrrev_b32_e32 v82, 16, v11
	v_bfe_u32 v11, v10, 16, 1
	v_add3_u32 v11, v11, v10, 0x7fff
	v_cndmask_b32_e64 v10, v11, v21, s4
	v_lshrrev_b32_e32 v83, 16, v10
	v_mul_f32_e32 v10, v64, v71
	v_bfe_u32 v11, v10, 16, 1
	v_or_b32_e32 v21, 0x400000, v10
	v_cmp_u_f32_e64 s4, v10, v10
	v_add3_u32 v11, v11, v10, 0x7fff
	v_cndmask_b32_e64 v10, v11, v21, s4
	v_lshrrev_b32_e32 v81, 16, v10
	v_mul_f32_e32 v10, v64, v70
	v_bfe_u32 v11, v10, 16, 1
	v_or_b32_e32 v21, 0x400000, v10
	v_cmp_u_f32_e64 s4, v10, v10
	v_add3_u32 v11, v11, v10, 0x7fff
	v_cndmask_b32_e64 v10, v11, v21, s4
	v_lshrrev_b32_e32 v84, 16, v10
	s_and_saveexec_b32 s15, vcc_lo
	s_cbranch_execz .LBB368_1712
; %bb.1711:                             ;   in Loop: Header=BB368_1052 Depth=1
	buffer_load_dword v10, off, s[0:3], s32 offset:192 ; 4-byte Folded Reload
	s_waitcnt vmcnt(0)
	v_cmp_lt_i32_e64 s4, v57, v10
	v_cndmask_b32_e64 v83, 0, v83, s4
	v_cmp_lt_i32_e64 s4, v63, v10
	v_cndmask_b32_e64 v82, 0, v82, s4
	;; [unrolled: 2-line block ×8, first 2 shown]
.LBB368_1712:                           ;   in Loop: Header=BB368_1052 Depth=1
	s_or_b32 exec_lo, exec_lo, s15
	flat_load_dwordx2 v[21:22], v[19:20] offset:512
	v_mov_b32_e32 v68, 0
	v_mov_b32_e32 v10, 0
	s_waitcnt vmcnt(0) lgkmcnt(0)
	v_cmp_ne_u16_sdwa s4, v21, v12 src0_sel:BYTE_0 src1_sel:DWORD
	s_and_saveexec_b32 s15, s4
	s_cbranch_execz .LBB368_1720
; %bb.1713:                             ;   in Loop: Header=BB368_1052 Depth=1
	v_cmp_ne_u16_sdwa s4, v21, v67 src0_sel:BYTE_0 src1_sel:DWORD
	v_bfrev_b32_e32 v10, 1
	s_and_saveexec_b32 s18, s4
	s_cbranch_execz .LBB368_1719
; %bb.1714:                             ;   in Loop: Header=BB368_1052 Depth=1
	v_and_b32_e32 v11, 0x7f, v21
	v_mov_b32_e32 v10, 0x7f800001
	s_mov_b32 s19, exec_lo
	v_cmpx_ne_u32_e32 0x7f, v11
	s_cbranch_execz .LBB368_1718
; %bb.1715:                             ;   in Loop: Header=BB368_1052 Depth=1
	v_lshrrev_b32_e32 v23, 3, v11
	v_cmp_gt_u32_e64 s4, 8, v11
	v_mov_b32_e32 v10, v21
	v_mov_b32_e32 v11, v22
	s_and_saveexec_b32 s20, s4
; %bb.1716:                             ;   in Loop: Header=BB368_1052 Depth=1
	v_and_b32_e32 v10, 7, v21
	v_ffbh_u32_e32 v10, v10
	v_min_u32_e32 v23, 32, v10
	v_subrev_nc_u32_e32 v10, 28, v23
	v_sub_nc_u32_e32 v23, 29, v23
	v_lshlrev_b64 v[10:11], v10, v[21:22]
; %bb.1717:                             ;   in Loop: Header=BB368_1052 Depth=1
	s_or_b32 exec_lo, exec_lo, s20
	v_lshlrev_b32_e32 v10, 20, v10
	v_lshlrev_b32_e32 v11, 24, v21
	v_lshl_add_u32 v23, v23, 23, 0x3c000000
	v_and_b32_e32 v10, 0x700000, v10
	v_and_b32_e32 v11, 0x80000000, v11
	v_or3_b32 v10, v10, v11, v23
.LBB368_1718:                           ;   in Loop: Header=BB368_1052 Depth=1
	s_or_b32 exec_lo, exec_lo, s19
.LBB368_1719:                           ;   in Loop: Header=BB368_1052 Depth=1
	s_or_b32 exec_lo, exec_lo, s18
.LBB368_1720:                           ;   in Loop: Header=BB368_1052 Depth=1
	s_or_b32 exec_lo, exec_lo, s15
	v_cmp_ne_u16_sdwa s4, v21, v12 src0_sel:BYTE_1 src1_sel:DWORD
	s_and_saveexec_b32 s15, s4
	s_cbranch_execz .LBB368_1728
; %bb.1721:                             ;   in Loop: Header=BB368_1052 Depth=1
	v_cmp_ne_u16_sdwa s4, v21, v67 src0_sel:BYTE_1 src1_sel:DWORD
	v_bfrev_b32_e32 v68, 1
	s_and_saveexec_b32 s18, s4
	s_cbranch_execz .LBB368_1727
; %bb.1722:                             ;   in Loop: Header=BB368_1052 Depth=1
	v_and_b32_sdwa v11, v94, v21 dst_sel:DWORD dst_unused:UNUSED_PAD src0_sel:DWORD src1_sel:BYTE_1
	v_mov_b32_e32 v68, 0x7f800001
	s_mov_b32 s19, exec_lo
	v_and_b32_e32 v23, 0x7f, v11
	v_cmpx_ne_u32_e32 0x7f, v23
	s_cbranch_execz .LBB368_1726
; %bb.1723:                             ;   in Loop: Header=BB368_1052 Depth=1
	v_and_b32_e32 v11, 7, v11
	v_lshrrev_b32_e32 v68, 3, v23
	v_cmp_gt_u32_e64 s4, 8, v23
	v_mov_b32_e32 v24, v12
	v_mov_b32_e32 v23, v11
	s_and_saveexec_b32 s20, s4
; %bb.1724:                             ;   in Loop: Header=BB368_1052 Depth=1
	v_ffbh_u32_e32 v23, v11
	v_min_u32_e32 v32, 32, v23
	v_subrev_nc_u32_e32 v23, 28, v32
	v_sub_nc_u32_e32 v68, 29, v32
	v_lshlrev_b64 v[23:24], v23, v[11:12]
	v_and_b32_e32 v23, 7, v23
; %bb.1725:                             ;   in Loop: Header=BB368_1052 Depth=1
	s_or_b32 exec_lo, exec_lo, s20
	v_lshlrev_b32_e32 v11, 16, v21
	v_lshlrev_b32_e32 v23, 20, v23
	v_lshl_add_u32 v24, v68, 23, 0x3c000000
	v_and_b32_e32 v11, 0x80000000, v11
	v_or3_b32 v68, v23, v11, v24
.LBB368_1726:                           ;   in Loop: Header=BB368_1052 Depth=1
	s_or_b32 exec_lo, exec_lo, s19
.LBB368_1727:                           ;   in Loop: Header=BB368_1052 Depth=1
	s_or_b32 exec_lo, exec_lo, s18
.LBB368_1728:                           ;   in Loop: Header=BB368_1052 Depth=1
	s_or_b32 exec_lo, exec_lo, s15
	v_and_b32_sdwa v11, v21, v69 dst_sel:DWORD dst_unused:UNUSED_PAD src0_sel:WORD_1 src1_sel:DWORD
	v_mov_b32_e32 v71, 0
	v_mov_b32_e32 v70, 0
	s_mov_b32 s15, exec_lo
	v_cmpx_ne_u16_e32 0, v11
	s_cbranch_execz .LBB368_1736
; %bb.1729:                             ;   in Loop: Header=BB368_1052 Depth=1
	v_bfrev_b32_e32 v70, 1
	s_mov_b32 s18, exec_lo
	v_cmpx_ne_u16_e32 0x80, v11
	s_cbranch_execz .LBB368_1735
; %bb.1730:                             ;   in Loop: Header=BB368_1052 Depth=1
	v_bfe_u32 v23, v21, 16, 7
	v_mov_b32_e32 v70, 0x7f800001
	s_mov_b32 s19, exec_lo
	v_cmpx_ne_u32_e32 0x7f, v23
	s_cbranch_execz .LBB368_1734
; %bb.1731:                             ;   in Loop: Header=BB368_1052 Depth=1
	v_mov_b32_e32 v11, 7
	v_lshrrev_b32_e32 v70, 3, v23
	v_cmp_gt_u32_e64 s4, 8, v23
	v_and_b32_sdwa v11, v21, v11 dst_sel:DWORD dst_unused:UNUSED_PAD src0_sel:WORD_1 src1_sel:DWORD
	v_mov_b32_e32 v24, v12
	v_mov_b32_e32 v23, v11
	s_and_saveexec_b32 s20, s4
; %bb.1732:                             ;   in Loop: Header=BB368_1052 Depth=1
	v_ffbh_u32_e32 v23, v11
	v_min_u32_e32 v32, 32, v23
	v_subrev_nc_u32_e32 v23, 28, v32
	v_sub_nc_u32_e32 v70, 29, v32
	v_lshlrev_b64 v[23:24], v23, v[11:12]
	v_and_b32_e32 v23, 7, v23
; %bb.1733:                             ;   in Loop: Header=BB368_1052 Depth=1
	s_or_b32 exec_lo, exec_lo, s20
	v_mov_b32_e32 v11, 24
	v_lshlrev_b32_e32 v23, 20, v23
	v_lshl_add_u32 v24, v70, 23, 0x3c000000
	v_lshlrev_b32_sdwa v11, v11, v21 dst_sel:DWORD dst_unused:UNUSED_PAD src0_sel:DWORD src1_sel:WORD_1
	v_and_b32_e32 v11, 0x80000000, v11
	v_or3_b32 v70, v23, v11, v24
.LBB368_1734:                           ;   in Loop: Header=BB368_1052 Depth=1
	s_or_b32 exec_lo, exec_lo, s19
.LBB368_1735:                           ;   in Loop: Header=BB368_1052 Depth=1
	s_or_b32 exec_lo, exec_lo, s18
.LBB368_1736:                           ;   in Loop: Header=BB368_1052 Depth=1
	s_or_b32 exec_lo, exec_lo, s15
	s_mov_b32 s15, exec_lo
	v_cmpx_lt_u32_e32 0xffffff, v21
	s_cbranch_execz .LBB368_1744
; %bb.1737:                             ;   in Loop: Header=BB368_1052 Depth=1
	v_cmp_ne_u32_sdwa s4, v21, v67 src0_sel:BYTE_3 src1_sel:DWORD
	v_bfrev_b32_e32 v71, 1
	s_and_saveexec_b32 s18, s4
	s_cbranch_execz .LBB368_1743
; %bb.1738:                             ;   in Loop: Header=BB368_1052 Depth=1
	v_bfe_u32 v23, v21, 24, 7
	v_mov_b32_e32 v71, 0x7f800001
	s_mov_b32 s19, exec_lo
	v_cmpx_ne_u32_e32 0x7f, v23
	s_cbranch_execz .LBB368_1742
; %bb.1739:                             ;   in Loop: Header=BB368_1052 Depth=1
	v_mov_b32_e32 v11, 7
	v_lshrrev_b32_e32 v71, 3, v23
	v_cmp_gt_u32_e64 s4, 8, v23
	v_and_b32_sdwa v11, v21, v11 dst_sel:DWORD dst_unused:UNUSED_PAD src0_sel:BYTE_3 src1_sel:DWORD
	v_mov_b32_e32 v24, v12
	v_mov_b32_e32 v23, v11
	s_and_saveexec_b32 s20, s4
; %bb.1740:                             ;   in Loop: Header=BB368_1052 Depth=1
	v_ffbh_u32_e32 v23, v11
	v_min_u32_e32 v32, 32, v23
	v_subrev_nc_u32_e32 v23, 28, v32
	v_sub_nc_u32_e32 v71, 29, v32
	v_lshlrev_b64 v[23:24], v23, v[11:12]
	v_and_b32_e32 v23, 7, v23
; %bb.1741:                             ;   in Loop: Header=BB368_1052 Depth=1
	s_or_b32 exec_lo, exec_lo, s20
	v_mov_b32_e32 v11, 24
	v_lshlrev_b32_e32 v23, 20, v23
	v_lshl_add_u32 v24, v71, 23, 0x3c000000
	v_lshlrev_b32_sdwa v11, v11, v21 dst_sel:DWORD dst_unused:UNUSED_PAD src0_sel:DWORD src1_sel:BYTE_3
	v_and_b32_e32 v11, 0x80000000, v11
	v_or3_b32 v71, v23, v11, v24
.LBB368_1742:                           ;   in Loop: Header=BB368_1052 Depth=1
	s_or_b32 exec_lo, exec_lo, s19
.LBB368_1743:                           ;   in Loop: Header=BB368_1052 Depth=1
	s_or_b32 exec_lo, exec_lo, s18
.LBB368_1744:                           ;   in Loop: Header=BB368_1052 Depth=1
	s_or_b32 exec_lo, exec_lo, s15
	v_mov_b32_e32 v11, v22
	v_cmp_ne_u16_sdwa s4, v22, v12 src0_sel:BYTE_0 src1_sel:DWORD
	v_mov_b32_e32 v85, 0
	v_mov_b32_e32 v86, 0
	s_and_saveexec_b32 s15, s4
	s_cbranch_execz .LBB368_1752
; %bb.1745:                             ;   in Loop: Header=BB368_1052 Depth=1
	v_cmp_ne_u16_sdwa s4, v22, v67 src0_sel:BYTE_0 src1_sel:DWORD
	v_bfrev_b32_e32 v86, 1
	s_and_saveexec_b32 s18, s4
	s_cbranch_execz .LBB368_1751
; %bb.1746:                             ;   in Loop: Header=BB368_1052 Depth=1
	v_and_b32_e32 v23, 0x7f, v22
	v_mov_b32_e32 v86, 0x7f800001
	s_mov_b32 s19, exec_lo
	v_cmpx_ne_u32_e32 0x7f, v23
	s_cbranch_execz .LBB368_1750
; %bb.1747:                             ;   in Loop: Header=BB368_1052 Depth=1
	v_lshrrev_b32_e32 v86, 3, v23
	v_cmp_gt_u32_e64 s4, 8, v23
	v_mov_b32_e32 v24, v12
	v_mov_b32_e32 v23, v11
	s_and_saveexec_b32 s20, s4
; %bb.1748:                             ;   in Loop: Header=BB368_1052 Depth=1
	v_and_b32_e32 v23, 7, v22
	v_ffbh_u32_e32 v23, v23
	v_min_u32_e32 v32, 32, v23
	v_subrev_nc_u32_e32 v23, 28, v32
	v_sub_nc_u32_e32 v86, 29, v32
	v_lshlrev_b64 v[23:24], v23, v[11:12]
; %bb.1749:                             ;   in Loop: Header=BB368_1052 Depth=1
	s_or_b32 exec_lo, exec_lo, s20
	v_lshlrev_b32_e32 v23, 20, v23
	v_lshlrev_b32_e32 v24, 24, v11
	v_lshl_add_u32 v32, v86, 23, 0x3c000000
	v_and_b32_e32 v23, 0x700000, v23
	v_and_b32_e32 v24, 0x80000000, v24
	v_or3_b32 v86, v23, v24, v32
.LBB368_1750:                           ;   in Loop: Header=BB368_1052 Depth=1
	s_or_b32 exec_lo, exec_lo, s19
.LBB368_1751:                           ;   in Loop: Header=BB368_1052 Depth=1
	s_or_b32 exec_lo, exec_lo, s18
.LBB368_1752:                           ;   in Loop: Header=BB368_1052 Depth=1
	s_or_b32 exec_lo, exec_lo, s15
	v_cmp_ne_u16_sdwa s4, v11, v12 src0_sel:BYTE_1 src1_sel:DWORD
	s_and_saveexec_b32 s15, s4
	s_cbranch_execz .LBB368_1760
; %bb.1753:                             ;   in Loop: Header=BB368_1052 Depth=1
	v_cmp_ne_u16_sdwa s4, v11, v67 src0_sel:BYTE_1 src1_sel:DWORD
	v_bfrev_b32_e32 v85, 1
	s_and_saveexec_b32 s18, s4
	s_cbranch_execz .LBB368_1759
; %bb.1754:                             ;   in Loop: Header=BB368_1052 Depth=1
	v_and_b32_sdwa v23, v94, v11 dst_sel:DWORD dst_unused:UNUSED_PAD src0_sel:DWORD src1_sel:BYTE_1
	v_mov_b32_e32 v85, 0x7f800001
	s_mov_b32 s19, exec_lo
	v_and_b32_e32 v87, 0x7f, v23
	v_cmpx_ne_u32_e32 0x7f, v87
	s_cbranch_execz .LBB368_1758
; %bb.1755:                             ;   in Loop: Header=BB368_1052 Depth=1
	v_and_b32_e32 v23, 7, v23
	v_mov_b32_e32 v24, v12
	v_lshrrev_b32_e32 v85, 3, v87
	s_mov_b32 s20, exec_lo
	v_cmpx_gt_u32_e32 8, v87
; %bb.1756:                             ;   in Loop: Header=BB368_1052 Depth=1
	v_ffbh_u32_e32 v32, v23
	v_min_u32_e32 v32, 32, v32
	v_subrev_nc_u32_e32 v85, 28, v32
	v_lshlrev_b64 v[23:24], v85, v[23:24]
	v_sub_nc_u32_e32 v85, 29, v32
	v_and_b32_e32 v23, 7, v23
; %bb.1757:                             ;   in Loop: Header=BB368_1052 Depth=1
	s_or_b32 exec_lo, exec_lo, s20
	v_lshlrev_b32_e32 v11, 16, v11
	v_lshlrev_b32_e32 v23, 20, v23
	v_lshl_add_u32 v24, v85, 23, 0x3c000000
	v_and_b32_e32 v11, 0x80000000, v11
	v_or3_b32 v85, v23, v11, v24
.LBB368_1758:                           ;   in Loop: Header=BB368_1052 Depth=1
	s_or_b32 exec_lo, exec_lo, s19
.LBB368_1759:                           ;   in Loop: Header=BB368_1052 Depth=1
	s_or_b32 exec_lo, exec_lo, s18
.LBB368_1760:                           ;   in Loop: Header=BB368_1052 Depth=1
	s_or_b32 exec_lo, exec_lo, s15
	v_and_b32_sdwa v11, v22, v69 dst_sel:DWORD dst_unused:UNUSED_PAD src0_sel:WORD_1 src1_sel:DWORD
	v_mov_b32_e32 v100, 0
	v_mov_b32_e32 v98, 0
	s_mov_b32 s15, exec_lo
	v_cmpx_ne_u16_e32 0, v11
	s_cbranch_execz .LBB368_1768
; %bb.1761:                             ;   in Loop: Header=BB368_1052 Depth=1
	v_bfrev_b32_e32 v98, 1
	s_mov_b32 s18, exec_lo
	v_cmpx_ne_u16_e32 0x80, v11
	s_cbranch_execz .LBB368_1767
; %bb.1762:                             ;   in Loop: Header=BB368_1052 Depth=1
	v_bfe_u32 v23, v22, 16, 7
	v_mov_b32_e32 v98, 0x7f800001
	s_mov_b32 s19, exec_lo
	v_cmpx_ne_u32_e32 0x7f, v23
	s_cbranch_execz .LBB368_1766
; %bb.1763:                             ;   in Loop: Header=BB368_1052 Depth=1
	v_mov_b32_e32 v11, 7
	v_lshrrev_b32_e32 v87, 3, v23
	v_cmp_gt_u32_e64 s4, 8, v23
	v_and_b32_sdwa v11, v22, v11 dst_sel:DWORD dst_unused:UNUSED_PAD src0_sel:WORD_1 src1_sel:DWORD
	v_mov_b32_e32 v24, v12
	v_mov_b32_e32 v23, v11
	s_and_saveexec_b32 s20, s4
; %bb.1764:                             ;   in Loop: Header=BB368_1052 Depth=1
	v_ffbh_u32_e32 v23, v11
	v_min_u32_e32 v32, 32, v23
	v_subrev_nc_u32_e32 v23, 28, v32
	v_sub_nc_u32_e32 v87, 29, v32
	v_lshlrev_b64 v[23:24], v23, v[11:12]
	v_and_b32_e32 v23, 7, v23
; %bb.1765:                             ;   in Loop: Header=BB368_1052 Depth=1
	s_or_b32 exec_lo, exec_lo, s20
	v_mov_b32_e32 v11, 24
	v_lshlrev_b32_e32 v23, 20, v23
	v_lshl_add_u32 v24, v87, 23, 0x3c000000
	v_lshlrev_b32_sdwa v11, v11, v22 dst_sel:DWORD dst_unused:UNUSED_PAD src0_sel:DWORD src1_sel:WORD_1
	v_and_b32_e32 v11, 0x80000000, v11
	v_or3_b32 v98, v23, v11, v24
.LBB368_1766:                           ;   in Loop: Header=BB368_1052 Depth=1
	s_or_b32 exec_lo, exec_lo, s19
.LBB368_1767:                           ;   in Loop: Header=BB368_1052 Depth=1
	s_or_b32 exec_lo, exec_lo, s18
.LBB368_1768:                           ;   in Loop: Header=BB368_1052 Depth=1
	s_or_b32 exec_lo, exec_lo, s15
	s_mov_b32 s15, exec_lo
	v_cmpx_lt_u64_e64 s[6:7], v[21:22]
	s_cbranch_execz .LBB368_1776
; %bb.1769:                             ;   in Loop: Header=BB368_1052 Depth=1
	v_cmp_ne_u32_sdwa s4, v22, v67 src0_sel:BYTE_3 src1_sel:DWORD
	v_bfrev_b32_e32 v100, 1
	s_and_saveexec_b32 s18, s4
	s_cbranch_execz .LBB368_1775
; %bb.1770:                             ;   in Loop: Header=BB368_1052 Depth=1
	v_bfe_u32 v23, v22, 24, 7
	v_mov_b32_e32 v100, 0x7f800001
	s_mov_b32 s19, exec_lo
	v_cmpx_ne_u32_e32 0x7f, v23
	s_cbranch_execz .LBB368_1774
; %bb.1771:                             ;   in Loop: Header=BB368_1052 Depth=1
	v_mov_b32_e32 v11, 7
	v_lshrrev_b32_e32 v21, 3, v23
	v_cmp_gt_u32_e64 s4, 8, v23
	v_and_b32_sdwa v11, v22, v11 dst_sel:DWORD dst_unused:UNUSED_PAD src0_sel:BYTE_3 src1_sel:DWORD
	v_mov_b32_e32 v24, v12
	v_mov_b32_e32 v23, v11
	s_and_saveexec_b32 s20, s4
; %bb.1772:                             ;   in Loop: Header=BB368_1052 Depth=1
	v_ffbh_u32_e32 v21, v11
	v_min_u32_e32 v21, 32, v21
	v_subrev_nc_u32_e32 v23, 28, v21
	v_sub_nc_u32_e32 v21, 29, v21
	v_lshlrev_b64 v[23:24], v23, v[11:12]
	v_and_b32_e32 v23, 7, v23
; %bb.1773:                             ;   in Loop: Header=BB368_1052 Depth=1
	s_or_b32 exec_lo, exec_lo, s20
	v_mov_b32_e32 v11, 24
	v_lshl_add_u32 v21, v21, 23, 0x3c000000
	v_lshlrev_b32_sdwa v11, v11, v22 dst_sel:DWORD dst_unused:UNUSED_PAD src0_sel:DWORD src1_sel:BYTE_3
	v_lshlrev_b32_e32 v22, 20, v23
	v_and_b32_e32 v11, 0x80000000, v11
	v_or3_b32 v100, v22, v11, v21
.LBB368_1774:                           ;   in Loop: Header=BB368_1052 Depth=1
	s_or_b32 exec_lo, exec_lo, s19
.LBB368_1775:                           ;   in Loop: Header=BB368_1052 Depth=1
	s_or_b32 exec_lo, exec_lo, s18
.LBB368_1776:                           ;   in Loop: Header=BB368_1052 Depth=1
	s_or_b32 exec_lo, exec_lo, s15
	v_mul_f32_e32 v11, v64, v85
	v_mul_f32_e32 v10, v64, v10
	v_bfe_u32 v21, v11, 16, 1
	v_or_b32_e32 v22, 0x400000, v11
	v_cmp_u_f32_e64 s4, v11, v11
	v_add3_u32 v21, v21, v11, 0x7fff
	v_cndmask_b32_e64 v11, v21, v22, s4
	v_lshrrev_b32_e32 v85, 16, v11
	v_mul_f32_e32 v11, v64, v86
	v_bfe_u32 v21, v11, 16, 1
	v_or_b32_e32 v22, 0x400000, v11
	v_cmp_u_f32_e64 s4, v11, v11
	v_add3_u32 v21, v21, v11, 0x7fff
	v_cndmask_b32_e64 v11, v21, v22, s4
	v_lshrrev_b32_e32 v86, 16, v11
	;; [unrolled: 7-line block ×4, first 2 shown]
	v_mul_f32_e32 v11, v64, v68
	v_bfe_u32 v21, v11, 16, 1
	v_or_b32_e32 v22, 0x400000, v11
	v_cmp_u_f32_e64 s4, v11, v11
	v_add3_u32 v21, v21, v11, 0x7fff
	v_cndmask_b32_e64 v11, v21, v22, s4
	v_or_b32_e32 v21, 0x400000, v10
	v_cmp_u_f32_e64 s4, v10, v10
	v_lshrrev_b32_e32 v32, 16, v11
	v_bfe_u32 v11, v10, 16, 1
	v_add3_u32 v11, v11, v10, 0x7fff
	v_cndmask_b32_e64 v10, v11, v21, s4
	v_lshrrev_b32_e32 v97, 16, v10
	v_mul_f32_e32 v10, v64, v98
	v_bfe_u32 v11, v10, 16, 1
	v_or_b32_e32 v21, 0x400000, v10
	v_cmp_u_f32_e64 s4, v10, v10
	v_add3_u32 v11, v11, v10, 0x7fff
	v_cndmask_b32_e64 v10, v11, v21, s4
	v_lshrrev_b32_e32 v98, 16, v10
	v_mul_f32_e32 v10, v64, v100
	v_bfe_u32 v11, v10, 16, 1
	v_or_b32_e32 v21, 0x400000, v10
	v_cmp_u_f32_e64 s4, v10, v10
	v_add3_u32 v11, v11, v10, 0x7fff
	v_cndmask_b32_e64 v10, v11, v21, s4
	v_lshrrev_b32_e32 v100, 16, v10
	s_and_saveexec_b32 s15, vcc_lo
	s_cbranch_execz .LBB368_1778
; %bb.1777:                             ;   in Loop: Header=BB368_1052 Depth=1
	buffer_load_dword v10, off, s[0:3], s32 offset:192 ; 4-byte Folded Reload
	s_waitcnt vmcnt(0)
	v_cmp_lt_i32_e64 s4, v57, v10
	v_cndmask_b32_e64 v97, 0, v97, s4
	v_cmp_lt_i32_e64 s4, v63, v10
	v_cndmask_b32_e64 v32, 0, v32, s4
	v_cmp_lt_i32_e64 s4, v62, v10
	v_cndmask_b32_e64 v96, 0, v96, s4
	v_cmp_lt_i32_e64 s4, v61, v10
	v_cndmask_b32_e64 v87, 0, v87, s4
	v_cmp_lt_i32_e64 s4, v60, v10
	v_cndmask_b32_e64 v86, 0, v86, s4
	v_cmp_lt_i32_e64 s4, v59, v10
	v_cndmask_b32_e64 v85, 0, v85, s4
	v_cmp_lt_i32_e64 s4, v58, v10
	v_cndmask_b32_e64 v98, 0, v98, s4
	v_cmp_lt_i32_e64 s4, v65, v10
	v_cndmask_b32_e64 v100, 0, v100, s4
.LBB368_1778:                           ;   in Loop: Header=BB368_1052 Depth=1
	s_or_b32 exec_lo, exec_lo, s15
	flat_load_dwordx2 v[21:22], v[19:20] offset:768
	v_mov_b32_e32 v68, 0
	v_mov_b32_e32 v10, 0
	s_waitcnt vmcnt(0) lgkmcnt(0)
	v_cmp_ne_u16_sdwa s4, v21, v12 src0_sel:BYTE_0 src1_sel:DWORD
	s_and_saveexec_b32 s15, s4
	s_cbranch_execz .LBB368_1786
; %bb.1779:                             ;   in Loop: Header=BB368_1052 Depth=1
	v_cmp_ne_u16_sdwa s4, v21, v67 src0_sel:BYTE_0 src1_sel:DWORD
	v_bfrev_b32_e32 v10, 1
	s_and_saveexec_b32 s18, s4
	s_cbranch_execz .LBB368_1785
; %bb.1780:                             ;   in Loop: Header=BB368_1052 Depth=1
	v_and_b32_e32 v11, 0x7f, v21
	v_mov_b32_e32 v10, 0x7f800001
	s_mov_b32 s19, exec_lo
	v_cmpx_ne_u32_e32 0x7f, v11
	s_cbranch_execz .LBB368_1784
; %bb.1781:                             ;   in Loop: Header=BB368_1052 Depth=1
	v_lshrrev_b32_e32 v23, 3, v11
	v_cmp_gt_u32_e64 s4, 8, v11
	v_mov_b32_e32 v10, v21
	v_mov_b32_e32 v11, v22
	s_and_saveexec_b32 s20, s4
; %bb.1782:                             ;   in Loop: Header=BB368_1052 Depth=1
	v_and_b32_e32 v10, 7, v21
	v_ffbh_u32_e32 v10, v10
	v_min_u32_e32 v23, 32, v10
	v_subrev_nc_u32_e32 v10, 28, v23
	v_sub_nc_u32_e32 v23, 29, v23
	v_lshlrev_b64 v[10:11], v10, v[21:22]
; %bb.1783:                             ;   in Loop: Header=BB368_1052 Depth=1
	s_or_b32 exec_lo, exec_lo, s20
	v_lshlrev_b32_e32 v10, 20, v10
	v_lshlrev_b32_e32 v11, 24, v21
	v_lshl_add_u32 v23, v23, 23, 0x3c000000
	v_and_b32_e32 v10, 0x700000, v10
	v_and_b32_e32 v11, 0x80000000, v11
	v_or3_b32 v10, v10, v11, v23
.LBB368_1784:                           ;   in Loop: Header=BB368_1052 Depth=1
	s_or_b32 exec_lo, exec_lo, s19
.LBB368_1785:                           ;   in Loop: Header=BB368_1052 Depth=1
	s_or_b32 exec_lo, exec_lo, s18
.LBB368_1786:                           ;   in Loop: Header=BB368_1052 Depth=1
	s_or_b32 exec_lo, exec_lo, s15
	v_cmp_ne_u16_sdwa s4, v21, v12 src0_sel:BYTE_1 src1_sel:DWORD
	s_and_saveexec_b32 s15, s4
	s_cbranch_execz .LBB368_1794
; %bb.1787:                             ;   in Loop: Header=BB368_1052 Depth=1
	v_cmp_ne_u16_sdwa s4, v21, v67 src0_sel:BYTE_1 src1_sel:DWORD
	v_bfrev_b32_e32 v68, 1
	s_and_saveexec_b32 s18, s4
	s_cbranch_execz .LBB368_1793
; %bb.1788:                             ;   in Loop: Header=BB368_1052 Depth=1
	v_and_b32_sdwa v11, v94, v21 dst_sel:DWORD dst_unused:UNUSED_PAD src0_sel:DWORD src1_sel:BYTE_1
	v_mov_b32_e32 v68, 0x7f800001
	s_mov_b32 s19, exec_lo
	v_and_b32_e32 v23, 0x7f, v11
	v_cmpx_ne_u32_e32 0x7f, v23
	s_cbranch_execz .LBB368_1792
; %bb.1789:                             ;   in Loop: Header=BB368_1052 Depth=1
	v_and_b32_e32 v11, 7, v11
	v_lshrrev_b32_e32 v68, 3, v23
	v_cmp_gt_u32_e64 s4, 8, v23
	v_mov_b32_e32 v24, v12
	v_mov_b32_e32 v23, v11
	s_and_saveexec_b32 s20, s4
; %bb.1790:                             ;   in Loop: Header=BB368_1052 Depth=1
	v_ffbh_u32_e32 v23, v11
	v_min_u32_e32 v68, 32, v23
	v_subrev_nc_u32_e32 v23, 28, v68
	v_sub_nc_u32_e32 v68, 29, v68
	v_lshlrev_b64 v[23:24], v23, v[11:12]
	v_and_b32_e32 v23, 7, v23
; %bb.1791:                             ;   in Loop: Header=BB368_1052 Depth=1
	s_or_b32 exec_lo, exec_lo, s20
	v_lshlrev_b32_e32 v11, 16, v21
	v_lshlrev_b32_e32 v23, 20, v23
	v_lshl_add_u32 v24, v68, 23, 0x3c000000
	v_and_b32_e32 v11, 0x80000000, v11
	v_or3_b32 v68, v23, v11, v24
.LBB368_1792:                           ;   in Loop: Header=BB368_1052 Depth=1
	s_or_b32 exec_lo, exec_lo, s19
.LBB368_1793:                           ;   in Loop: Header=BB368_1052 Depth=1
	s_or_b32 exec_lo, exec_lo, s18
.LBB368_1794:                           ;   in Loop: Header=BB368_1052 Depth=1
	s_or_b32 exec_lo, exec_lo, s15
	v_and_b32_sdwa v11, v21, v69 dst_sel:DWORD dst_unused:UNUSED_PAD src0_sel:WORD_1 src1_sel:DWORD
	v_mov_b32_e32 v71, 0
	v_mov_b32_e32 v70, 0
	s_mov_b32 s15, exec_lo
	v_cmpx_ne_u16_e32 0, v11
	s_cbranch_execz .LBB368_1802
; %bb.1795:                             ;   in Loop: Header=BB368_1052 Depth=1
	v_bfrev_b32_e32 v70, 1
	s_mov_b32 s18, exec_lo
	v_cmpx_ne_u16_e32 0x80, v11
	s_cbranch_execz .LBB368_1801
; %bb.1796:                             ;   in Loop: Header=BB368_1052 Depth=1
	v_bfe_u32 v23, v21, 16, 7
	v_mov_b32_e32 v70, 0x7f800001
	s_mov_b32 s19, exec_lo
	v_cmpx_ne_u32_e32 0x7f, v23
	s_cbranch_execz .LBB368_1800
; %bb.1797:                             ;   in Loop: Header=BB368_1052 Depth=1
	v_mov_b32_e32 v11, 7
	v_lshrrev_b32_e32 v70, 3, v23
	v_cmp_gt_u32_e64 s4, 8, v23
	v_and_b32_sdwa v11, v21, v11 dst_sel:DWORD dst_unused:UNUSED_PAD src0_sel:WORD_1 src1_sel:DWORD
	v_mov_b32_e32 v24, v12
	v_mov_b32_e32 v23, v11
	s_and_saveexec_b32 s20, s4
; %bb.1798:                             ;   in Loop: Header=BB368_1052 Depth=1
	v_ffbh_u32_e32 v23, v11
	v_min_u32_e32 v70, 32, v23
	v_subrev_nc_u32_e32 v23, 28, v70
	v_sub_nc_u32_e32 v70, 29, v70
	v_lshlrev_b64 v[23:24], v23, v[11:12]
	v_and_b32_e32 v23, 7, v23
; %bb.1799:                             ;   in Loop: Header=BB368_1052 Depth=1
	s_or_b32 exec_lo, exec_lo, s20
	v_mov_b32_e32 v11, 24
	v_lshlrev_b32_e32 v23, 20, v23
	v_lshl_add_u32 v24, v70, 23, 0x3c000000
	v_lshlrev_b32_sdwa v11, v11, v21 dst_sel:DWORD dst_unused:UNUSED_PAD src0_sel:DWORD src1_sel:WORD_1
	v_and_b32_e32 v11, 0x80000000, v11
	v_or3_b32 v70, v23, v11, v24
.LBB368_1800:                           ;   in Loop: Header=BB368_1052 Depth=1
	s_or_b32 exec_lo, exec_lo, s19
.LBB368_1801:                           ;   in Loop: Header=BB368_1052 Depth=1
	s_or_b32 exec_lo, exec_lo, s18
.LBB368_1802:                           ;   in Loop: Header=BB368_1052 Depth=1
	s_or_b32 exec_lo, exec_lo, s15
	s_mov_b32 s15, exec_lo
	v_cmpx_lt_u32_e32 0xffffff, v21
	s_cbranch_execz .LBB368_1810
; %bb.1803:                             ;   in Loop: Header=BB368_1052 Depth=1
	v_cmp_ne_u32_sdwa s4, v21, v67 src0_sel:BYTE_3 src1_sel:DWORD
	v_bfrev_b32_e32 v71, 1
	s_and_saveexec_b32 s18, s4
	s_cbranch_execz .LBB368_1809
; %bb.1804:                             ;   in Loop: Header=BB368_1052 Depth=1
	v_bfe_u32 v23, v21, 24, 7
	v_mov_b32_e32 v71, 0x7f800001
	s_mov_b32 s19, exec_lo
	v_cmpx_ne_u32_e32 0x7f, v23
	s_cbranch_execz .LBB368_1808
; %bb.1805:                             ;   in Loop: Header=BB368_1052 Depth=1
	v_mov_b32_e32 v11, 7
	v_lshrrev_b32_e32 v71, 3, v23
	v_cmp_gt_u32_e64 s4, 8, v23
	v_and_b32_sdwa v11, v21, v11 dst_sel:DWORD dst_unused:UNUSED_PAD src0_sel:BYTE_3 src1_sel:DWORD
	v_mov_b32_e32 v24, v12
	v_mov_b32_e32 v23, v11
	s_and_saveexec_b32 s20, s4
; %bb.1806:                             ;   in Loop: Header=BB368_1052 Depth=1
	v_ffbh_u32_e32 v23, v11
	v_min_u32_e32 v71, 32, v23
	v_subrev_nc_u32_e32 v23, 28, v71
	v_sub_nc_u32_e32 v71, 29, v71
	v_lshlrev_b64 v[23:24], v23, v[11:12]
	v_and_b32_e32 v23, 7, v23
; %bb.1807:                             ;   in Loop: Header=BB368_1052 Depth=1
	s_or_b32 exec_lo, exec_lo, s20
	v_mov_b32_e32 v11, 24
	v_lshlrev_b32_e32 v23, 20, v23
	v_lshl_add_u32 v24, v71, 23, 0x3c000000
	v_lshlrev_b32_sdwa v11, v11, v21 dst_sel:DWORD dst_unused:UNUSED_PAD src0_sel:DWORD src1_sel:BYTE_3
	v_and_b32_e32 v11, 0x80000000, v11
	v_or3_b32 v71, v23, v11, v24
.LBB368_1808:                           ;   in Loop: Header=BB368_1052 Depth=1
	s_or_b32 exec_lo, exec_lo, s19
.LBB368_1809:                           ;   in Loop: Header=BB368_1052 Depth=1
	s_or_b32 exec_lo, exec_lo, s18
.LBB368_1810:                           ;   in Loop: Header=BB368_1052 Depth=1
	s_or_b32 exec_lo, exec_lo, s15
	v_mov_b32_e32 v11, v22
	v_cmp_ne_u16_sdwa s4, v22, v12 src0_sel:BYTE_0 src1_sel:DWORD
	v_mov_b32_e32 v101, 0
	v_mov_b32_e32 v102, 0
	s_and_saveexec_b32 s15, s4
	s_cbranch_execz .LBB368_1818
; %bb.1811:                             ;   in Loop: Header=BB368_1052 Depth=1
	v_cmp_ne_u16_sdwa s4, v22, v67 src0_sel:BYTE_0 src1_sel:DWORD
	v_bfrev_b32_e32 v102, 1
	s_and_saveexec_b32 s18, s4
	s_cbranch_execz .LBB368_1817
; %bb.1812:                             ;   in Loop: Header=BB368_1052 Depth=1
	v_and_b32_e32 v23, 0x7f, v22
	v_mov_b32_e32 v102, 0x7f800001
	s_mov_b32 s19, exec_lo
	v_cmpx_ne_u32_e32 0x7f, v23
	s_cbranch_execz .LBB368_1816
; %bb.1813:                             ;   in Loop: Header=BB368_1052 Depth=1
	v_lshrrev_b32_e32 v102, 3, v23
	v_cmp_gt_u32_e64 s4, 8, v23
	v_mov_b32_e32 v24, v12
	v_mov_b32_e32 v23, v11
	s_and_saveexec_b32 s20, s4
; %bb.1814:                             ;   in Loop: Header=BB368_1052 Depth=1
	v_and_b32_e32 v23, 7, v22
	v_ffbh_u32_e32 v23, v23
	v_min_u32_e32 v99, 32, v23
	v_subrev_nc_u32_e32 v23, 28, v99
	v_sub_nc_u32_e32 v102, 29, v99
	v_lshlrev_b64 v[23:24], v23, v[11:12]
; %bb.1815:                             ;   in Loop: Header=BB368_1052 Depth=1
	s_or_b32 exec_lo, exec_lo, s20
	v_lshlrev_b32_e32 v23, 20, v23
	v_lshlrev_b32_e32 v24, 24, v11
	v_lshl_add_u32 v99, v102, 23, 0x3c000000
	v_and_b32_e32 v23, 0x700000, v23
	v_and_b32_e32 v24, 0x80000000, v24
	v_or3_b32 v102, v23, v24, v99
.LBB368_1816:                           ;   in Loop: Header=BB368_1052 Depth=1
	s_or_b32 exec_lo, exec_lo, s19
.LBB368_1817:                           ;   in Loop: Header=BB368_1052 Depth=1
	s_or_b32 exec_lo, exec_lo, s18
.LBB368_1818:                           ;   in Loop: Header=BB368_1052 Depth=1
	s_or_b32 exec_lo, exec_lo, s15
	v_cmp_ne_u16_sdwa s4, v11, v12 src0_sel:BYTE_1 src1_sel:DWORD
	s_and_saveexec_b32 s15, s4
	s_cbranch_execz .LBB368_1826
; %bb.1819:                             ;   in Loop: Header=BB368_1052 Depth=1
	v_cmp_ne_u16_sdwa s4, v11, v67 src0_sel:BYTE_1 src1_sel:DWORD
	v_bfrev_b32_e32 v101, 1
	s_and_saveexec_b32 s18, s4
	s_cbranch_execz .LBB368_1825
; %bb.1820:                             ;   in Loop: Header=BB368_1052 Depth=1
	v_and_b32_sdwa v23, v94, v11 dst_sel:DWORD dst_unused:UNUSED_PAD src0_sel:DWORD src1_sel:BYTE_1
	v_mov_b32_e32 v101, 0x7f800001
	s_mov_b32 s19, exec_lo
	v_and_b32_e32 v103, 0x7f, v23
	v_cmpx_ne_u32_e32 0x7f, v103
	s_cbranch_execz .LBB368_1824
; %bb.1821:                             ;   in Loop: Header=BB368_1052 Depth=1
	v_and_b32_e32 v23, 7, v23
	v_mov_b32_e32 v24, v12
	v_lshrrev_b32_e32 v101, 3, v103
	s_mov_b32 s20, exec_lo
	v_cmpx_gt_u32_e32 8, v103
; %bb.1822:                             ;   in Loop: Header=BB368_1052 Depth=1
	v_ffbh_u32_e32 v99, v23
	v_min_u32_e32 v99, 32, v99
	v_subrev_nc_u32_e32 v101, 28, v99
	v_lshlrev_b64 v[23:24], v101, v[23:24]
	v_sub_nc_u32_e32 v101, 29, v99
	v_and_b32_e32 v23, 7, v23
; %bb.1823:                             ;   in Loop: Header=BB368_1052 Depth=1
	s_or_b32 exec_lo, exec_lo, s20
	v_lshlrev_b32_e32 v11, 16, v11
	v_lshlrev_b32_e32 v23, 20, v23
	v_lshl_add_u32 v24, v101, 23, 0x3c000000
	v_and_b32_e32 v11, 0x80000000, v11
	v_or3_b32 v101, v23, v11, v24
.LBB368_1824:                           ;   in Loop: Header=BB368_1052 Depth=1
	s_or_b32 exec_lo, exec_lo, s19
.LBB368_1825:                           ;   in Loop: Header=BB368_1052 Depth=1
	s_or_b32 exec_lo, exec_lo, s18
.LBB368_1826:                           ;   in Loop: Header=BB368_1052 Depth=1
	s_or_b32 exec_lo, exec_lo, s15
	v_and_b32_sdwa v11, v22, v69 dst_sel:DWORD dst_unused:UNUSED_PAD src0_sel:WORD_1 src1_sel:DWORD
	v_mov_b32_e32 v116, 0
	v_mov_b32_e32 v114, 0
	s_mov_b32 s15, exec_lo
	v_cmpx_ne_u16_e32 0, v11
	s_cbranch_execz .LBB368_1834
; %bb.1827:                             ;   in Loop: Header=BB368_1052 Depth=1
	v_bfrev_b32_e32 v114, 1
	s_mov_b32 s18, exec_lo
	v_cmpx_ne_u16_e32 0x80, v11
	s_cbranch_execz .LBB368_1833
; %bb.1828:                             ;   in Loop: Header=BB368_1052 Depth=1
	v_bfe_u32 v23, v22, 16, 7
	v_mov_b32_e32 v114, 0x7f800001
	s_mov_b32 s19, exec_lo
	v_cmpx_ne_u32_e32 0x7f, v23
	s_cbranch_execz .LBB368_1832
; %bb.1829:                             ;   in Loop: Header=BB368_1052 Depth=1
	v_mov_b32_e32 v11, 7
	v_lshrrev_b32_e32 v103, 3, v23
	v_cmp_gt_u32_e64 s4, 8, v23
	v_and_b32_sdwa v11, v22, v11 dst_sel:DWORD dst_unused:UNUSED_PAD src0_sel:WORD_1 src1_sel:DWORD
	v_mov_b32_e32 v24, v12
	v_mov_b32_e32 v23, v11
	s_and_saveexec_b32 s20, s4
; %bb.1830:                             ;   in Loop: Header=BB368_1052 Depth=1
	v_ffbh_u32_e32 v23, v11
	v_min_u32_e32 v99, 32, v23
	v_subrev_nc_u32_e32 v23, 28, v99
	v_sub_nc_u32_e32 v103, 29, v99
	v_lshlrev_b64 v[23:24], v23, v[11:12]
	v_and_b32_e32 v23, 7, v23
; %bb.1831:                             ;   in Loop: Header=BB368_1052 Depth=1
	s_or_b32 exec_lo, exec_lo, s20
	v_mov_b32_e32 v11, 24
	v_lshlrev_b32_e32 v23, 20, v23
	v_lshl_add_u32 v24, v103, 23, 0x3c000000
	v_lshlrev_b32_sdwa v11, v11, v22 dst_sel:DWORD dst_unused:UNUSED_PAD src0_sel:DWORD src1_sel:WORD_1
	v_and_b32_e32 v11, 0x80000000, v11
	v_or3_b32 v114, v23, v11, v24
.LBB368_1832:                           ;   in Loop: Header=BB368_1052 Depth=1
	s_or_b32 exec_lo, exec_lo, s19
.LBB368_1833:                           ;   in Loop: Header=BB368_1052 Depth=1
	s_or_b32 exec_lo, exec_lo, s18
.LBB368_1834:                           ;   in Loop: Header=BB368_1052 Depth=1
	s_or_b32 exec_lo, exec_lo, s15
	s_mov_b32 s15, exec_lo
	v_cmpx_lt_u64_e64 s[6:7], v[21:22]
	s_cbranch_execz .LBB368_1842
; %bb.1835:                             ;   in Loop: Header=BB368_1052 Depth=1
	v_cmp_ne_u32_sdwa s4, v22, v67 src0_sel:BYTE_3 src1_sel:DWORD
	v_bfrev_b32_e32 v116, 1
	s_and_saveexec_b32 s18, s4
	s_cbranch_execz .LBB368_1841
; %bb.1836:                             ;   in Loop: Header=BB368_1052 Depth=1
	v_bfe_u32 v23, v22, 24, 7
	v_mov_b32_e32 v116, 0x7f800001
	s_mov_b32 s19, exec_lo
	v_cmpx_ne_u32_e32 0x7f, v23
	s_cbranch_execz .LBB368_1840
; %bb.1837:                             ;   in Loop: Header=BB368_1052 Depth=1
	v_mov_b32_e32 v11, 7
	v_lshrrev_b32_e32 v21, 3, v23
	v_cmp_gt_u32_e64 s4, 8, v23
	v_and_b32_sdwa v11, v22, v11 dst_sel:DWORD dst_unused:UNUSED_PAD src0_sel:BYTE_3 src1_sel:DWORD
	v_mov_b32_e32 v24, v12
	v_mov_b32_e32 v23, v11
	s_and_saveexec_b32 s20, s4
; %bb.1838:                             ;   in Loop: Header=BB368_1052 Depth=1
	v_ffbh_u32_e32 v21, v11
	v_min_u32_e32 v21, 32, v21
	v_subrev_nc_u32_e32 v23, 28, v21
	v_sub_nc_u32_e32 v21, 29, v21
	v_lshlrev_b64 v[23:24], v23, v[11:12]
	v_and_b32_e32 v23, 7, v23
; %bb.1839:                             ;   in Loop: Header=BB368_1052 Depth=1
	s_or_b32 exec_lo, exec_lo, s20
	v_mov_b32_e32 v11, 24
	v_lshl_add_u32 v21, v21, 23, 0x3c000000
	v_lshlrev_b32_sdwa v11, v11, v22 dst_sel:DWORD dst_unused:UNUSED_PAD src0_sel:DWORD src1_sel:BYTE_3
	v_lshlrev_b32_e32 v22, 20, v23
	v_and_b32_e32 v11, 0x80000000, v11
	v_or3_b32 v116, v22, v11, v21
.LBB368_1840:                           ;   in Loop: Header=BB368_1052 Depth=1
	s_or_b32 exec_lo, exec_lo, s19
.LBB368_1841:                           ;   in Loop: Header=BB368_1052 Depth=1
	s_or_b32 exec_lo, exec_lo, s18
.LBB368_1842:                           ;   in Loop: Header=BB368_1052 Depth=1
	s_or_b32 exec_lo, exec_lo, s15
	v_mul_f32_e32 v11, v64, v101
	v_mul_f32_e32 v10, v64, v10
	v_bfe_u32 v21, v11, 16, 1
	v_or_b32_e32 v22, 0x400000, v11
	v_cmp_u_f32_e64 s4, v11, v11
	v_add3_u32 v21, v21, v11, 0x7fff
	v_cndmask_b32_e64 v11, v21, v22, s4
	v_lshrrev_b32_e32 v101, 16, v11
	v_mul_f32_e32 v11, v64, v102
	v_bfe_u32 v21, v11, 16, 1
	v_or_b32_e32 v22, 0x400000, v11
	v_cmp_u_f32_e64 s4, v11, v11
	v_add3_u32 v21, v21, v11, 0x7fff
	v_cndmask_b32_e64 v11, v21, v22, s4
	v_lshrrev_b32_e32 v102, 16, v11
	v_mul_f32_e32 v11, v64, v71
	v_bfe_u32 v21, v11, 16, 1
	v_or_b32_e32 v22, 0x400000, v11
	v_cmp_u_f32_e64 s4, v11, v11
	v_add3_u32 v21, v21, v11, 0x7fff
	v_cndmask_b32_e64 v11, v21, v22, s4
	v_lshrrev_b32_e32 v103, 16, v11
	v_mul_f32_e32 v11, v64, v70
	v_bfe_u32 v21, v11, 16, 1
	v_or_b32_e32 v22, 0x400000, v11
	v_cmp_u_f32_e64 s4, v11, v11
	v_add3_u32 v21, v21, v11, 0x7fff
	v_cndmask_b32_e64 v11, v21, v22, s4
	v_lshrrev_b32_e32 v112, 16, v11
	v_mul_f32_e32 v11, v64, v68
	v_bfe_u32 v21, v11, 16, 1
	v_or_b32_e32 v22, 0x400000, v11
	v_cmp_u_f32_e64 s4, v11, v11
	v_add3_u32 v21, v21, v11, 0x7fff
	v_cndmask_b32_e64 v11, v21, v22, s4
	v_or_b32_e32 v21, 0x400000, v10
	v_cmp_u_f32_e64 s4, v10, v10
	v_lshrrev_b32_e32 v113, 16, v11
	v_bfe_u32 v11, v10, 16, 1
	v_add3_u32 v11, v11, v10, 0x7fff
	v_cndmask_b32_e64 v10, v11, v21, s4
	v_lshrrev_b32_e32 v115, 16, v10
	v_mul_f32_e32 v10, v64, v114
	v_bfe_u32 v11, v10, 16, 1
	v_or_b32_e32 v21, 0x400000, v10
	v_cmp_u_f32_e64 s4, v10, v10
	v_add3_u32 v11, v11, v10, 0x7fff
	v_cndmask_b32_e64 v10, v11, v21, s4
	v_lshrrev_b32_e32 v114, 16, v10
	v_mul_f32_e32 v10, v64, v116
	v_bfe_u32 v11, v10, 16, 1
	v_or_b32_e32 v21, 0x400000, v10
	v_cmp_u_f32_e64 s4, v10, v10
	v_add3_u32 v11, v11, v10, 0x7fff
	v_cndmask_b32_e64 v10, v11, v21, s4
	v_lshrrev_b32_e32 v116, 16, v10
	s_and_saveexec_b32 s15, vcc_lo
	s_cbranch_execz .LBB368_1844
; %bb.1843:                             ;   in Loop: Header=BB368_1052 Depth=1
	buffer_load_dword v10, off, s[0:3], s32 offset:192 ; 4-byte Folded Reload
	s_waitcnt vmcnt(0)
	v_cmp_lt_i32_e64 s4, v57, v10
	v_cndmask_b32_e64 v115, 0, v115, s4
	v_cmp_lt_i32_e64 s4, v63, v10
	v_cndmask_b32_e64 v113, 0, v113, s4
	;; [unrolled: 2-line block ×8, first 2 shown]
.LBB368_1844:                           ;   in Loop: Header=BB368_1052 Depth=1
	s_or_b32 exec_lo, exec_lo, s15
	flat_load_dwordx2 v[21:22], v[19:20] offset:1024
	v_mov_b32_e32 v68, 0
	v_mov_b32_e32 v10, 0
	s_waitcnt vmcnt(0) lgkmcnt(0)
	v_cmp_ne_u16_sdwa s4, v21, v12 src0_sel:BYTE_0 src1_sel:DWORD
	s_and_saveexec_b32 s15, s4
	s_cbranch_execz .LBB368_1852
; %bb.1845:                             ;   in Loop: Header=BB368_1052 Depth=1
	v_cmp_ne_u16_sdwa s4, v21, v67 src0_sel:BYTE_0 src1_sel:DWORD
	v_bfrev_b32_e32 v10, 1
	s_and_saveexec_b32 s18, s4
	s_cbranch_execz .LBB368_1851
; %bb.1846:                             ;   in Loop: Header=BB368_1052 Depth=1
	v_and_b32_e32 v11, 0x7f, v21
	v_mov_b32_e32 v10, 0x7f800001
	s_mov_b32 s19, exec_lo
	v_cmpx_ne_u32_e32 0x7f, v11
	s_cbranch_execz .LBB368_1850
; %bb.1847:                             ;   in Loop: Header=BB368_1052 Depth=1
	v_lshrrev_b32_e32 v23, 3, v11
	v_cmp_gt_u32_e64 s4, 8, v11
	v_mov_b32_e32 v10, v21
	v_mov_b32_e32 v11, v22
	s_and_saveexec_b32 s20, s4
; %bb.1848:                             ;   in Loop: Header=BB368_1052 Depth=1
	v_and_b32_e32 v10, 7, v21
	v_ffbh_u32_e32 v10, v10
	v_min_u32_e32 v23, 32, v10
	v_subrev_nc_u32_e32 v10, 28, v23
	v_sub_nc_u32_e32 v23, 29, v23
	v_lshlrev_b64 v[10:11], v10, v[21:22]
; %bb.1849:                             ;   in Loop: Header=BB368_1052 Depth=1
	s_or_b32 exec_lo, exec_lo, s20
	v_lshlrev_b32_e32 v10, 20, v10
	v_lshlrev_b32_e32 v11, 24, v21
	v_lshl_add_u32 v23, v23, 23, 0x3c000000
	v_and_b32_e32 v10, 0x700000, v10
	v_and_b32_e32 v11, 0x80000000, v11
	v_or3_b32 v10, v10, v11, v23
.LBB368_1850:                           ;   in Loop: Header=BB368_1052 Depth=1
	s_or_b32 exec_lo, exec_lo, s19
.LBB368_1851:                           ;   in Loop: Header=BB368_1052 Depth=1
	s_or_b32 exec_lo, exec_lo, s18
.LBB368_1852:                           ;   in Loop: Header=BB368_1052 Depth=1
	s_or_b32 exec_lo, exec_lo, s15
	v_cmp_ne_u16_sdwa s4, v21, v12 src0_sel:BYTE_1 src1_sel:DWORD
	s_and_saveexec_b32 s15, s4
	s_cbranch_execz .LBB368_1860
; %bb.1853:                             ;   in Loop: Header=BB368_1052 Depth=1
	v_cmp_ne_u16_sdwa s4, v21, v67 src0_sel:BYTE_1 src1_sel:DWORD
	v_bfrev_b32_e32 v68, 1
	s_and_saveexec_b32 s18, s4
	s_cbranch_execz .LBB368_1859
; %bb.1854:                             ;   in Loop: Header=BB368_1052 Depth=1
	v_and_b32_sdwa v11, v94, v21 dst_sel:DWORD dst_unused:UNUSED_PAD src0_sel:DWORD src1_sel:BYTE_1
	v_mov_b32_e32 v68, 0x7f800001
	s_mov_b32 s19, exec_lo
	v_and_b32_e32 v23, 0x7f, v11
	v_cmpx_ne_u32_e32 0x7f, v23
	s_cbranch_execz .LBB368_1858
; %bb.1855:                             ;   in Loop: Header=BB368_1052 Depth=1
	v_and_b32_e32 v11, 7, v11
	v_lshrrev_b32_e32 v68, 3, v23
	v_cmp_gt_u32_e64 s4, 8, v23
	v_mov_b32_e32 v24, v12
	v_mov_b32_e32 v23, v11
	s_and_saveexec_b32 s20, s4
; %bb.1856:                             ;   in Loop: Header=BB368_1052 Depth=1
	v_ffbh_u32_e32 v23, v11
	v_min_u32_e32 v68, 32, v23
	v_subrev_nc_u32_e32 v23, 28, v68
	v_sub_nc_u32_e32 v68, 29, v68
	v_lshlrev_b64 v[23:24], v23, v[11:12]
	v_and_b32_e32 v23, 7, v23
; %bb.1857:                             ;   in Loop: Header=BB368_1052 Depth=1
	s_or_b32 exec_lo, exec_lo, s20
	v_lshlrev_b32_e32 v11, 16, v21
	v_lshlrev_b32_e32 v23, 20, v23
	v_lshl_add_u32 v24, v68, 23, 0x3c000000
	v_and_b32_e32 v11, 0x80000000, v11
	v_or3_b32 v68, v23, v11, v24
.LBB368_1858:                           ;   in Loop: Header=BB368_1052 Depth=1
	s_or_b32 exec_lo, exec_lo, s19
.LBB368_1859:                           ;   in Loop: Header=BB368_1052 Depth=1
	s_or_b32 exec_lo, exec_lo, s18
.LBB368_1860:                           ;   in Loop: Header=BB368_1052 Depth=1
	s_or_b32 exec_lo, exec_lo, s15
	v_and_b32_sdwa v11, v21, v69 dst_sel:DWORD dst_unused:UNUSED_PAD src0_sel:WORD_1 src1_sel:DWORD
	v_mov_b32_e32 v71, 0
	v_mov_b32_e32 v70, 0
	s_mov_b32 s15, exec_lo
	v_cmpx_ne_u16_e32 0, v11
	s_cbranch_execz .LBB368_1868
; %bb.1861:                             ;   in Loop: Header=BB368_1052 Depth=1
	v_bfrev_b32_e32 v70, 1
	s_mov_b32 s18, exec_lo
	v_cmpx_ne_u16_e32 0x80, v11
	s_cbranch_execz .LBB368_1867
; %bb.1862:                             ;   in Loop: Header=BB368_1052 Depth=1
	v_bfe_u32 v23, v21, 16, 7
	v_mov_b32_e32 v70, 0x7f800001
	s_mov_b32 s19, exec_lo
	v_cmpx_ne_u32_e32 0x7f, v23
	s_cbranch_execz .LBB368_1866
; %bb.1863:                             ;   in Loop: Header=BB368_1052 Depth=1
	v_mov_b32_e32 v11, 7
	v_lshrrev_b32_e32 v70, 3, v23
	v_cmp_gt_u32_e64 s4, 8, v23
	v_and_b32_sdwa v11, v21, v11 dst_sel:DWORD dst_unused:UNUSED_PAD src0_sel:WORD_1 src1_sel:DWORD
	v_mov_b32_e32 v24, v12
	v_mov_b32_e32 v23, v11
	s_and_saveexec_b32 s20, s4
; %bb.1864:                             ;   in Loop: Header=BB368_1052 Depth=1
	v_ffbh_u32_e32 v23, v11
	v_min_u32_e32 v70, 32, v23
	v_subrev_nc_u32_e32 v23, 28, v70
	v_sub_nc_u32_e32 v70, 29, v70
	v_lshlrev_b64 v[23:24], v23, v[11:12]
	v_and_b32_e32 v23, 7, v23
; %bb.1865:                             ;   in Loop: Header=BB368_1052 Depth=1
	s_or_b32 exec_lo, exec_lo, s20
	v_mov_b32_e32 v11, 24
	v_lshlrev_b32_e32 v23, 20, v23
	v_lshl_add_u32 v24, v70, 23, 0x3c000000
	v_lshlrev_b32_sdwa v11, v11, v21 dst_sel:DWORD dst_unused:UNUSED_PAD src0_sel:DWORD src1_sel:WORD_1
	v_and_b32_e32 v11, 0x80000000, v11
	v_or3_b32 v70, v23, v11, v24
.LBB368_1866:                           ;   in Loop: Header=BB368_1052 Depth=1
	s_or_b32 exec_lo, exec_lo, s19
.LBB368_1867:                           ;   in Loop: Header=BB368_1052 Depth=1
	s_or_b32 exec_lo, exec_lo, s18
.LBB368_1868:                           ;   in Loop: Header=BB368_1052 Depth=1
	s_or_b32 exec_lo, exec_lo, s15
	s_mov_b32 s15, exec_lo
	v_cmpx_lt_u32_e32 0xffffff, v21
	s_cbranch_execz .LBB368_1876
; %bb.1869:                             ;   in Loop: Header=BB368_1052 Depth=1
	v_cmp_ne_u32_sdwa s4, v21, v67 src0_sel:BYTE_3 src1_sel:DWORD
	v_bfrev_b32_e32 v71, 1
	s_and_saveexec_b32 s18, s4
	s_cbranch_execz .LBB368_1875
; %bb.1870:                             ;   in Loop: Header=BB368_1052 Depth=1
	v_bfe_u32 v23, v21, 24, 7
	v_mov_b32_e32 v71, 0x7f800001
	s_mov_b32 s19, exec_lo
	v_cmpx_ne_u32_e32 0x7f, v23
	s_cbranch_execz .LBB368_1874
; %bb.1871:                             ;   in Loop: Header=BB368_1052 Depth=1
	v_mov_b32_e32 v11, 7
	v_lshrrev_b32_e32 v71, 3, v23
	v_cmp_gt_u32_e64 s4, 8, v23
	v_and_b32_sdwa v11, v21, v11 dst_sel:DWORD dst_unused:UNUSED_PAD src0_sel:BYTE_3 src1_sel:DWORD
	v_mov_b32_e32 v24, v12
	v_mov_b32_e32 v23, v11
	s_and_saveexec_b32 s20, s4
; %bb.1872:                             ;   in Loop: Header=BB368_1052 Depth=1
	v_ffbh_u32_e32 v23, v11
	v_min_u32_e32 v71, 32, v23
	v_subrev_nc_u32_e32 v23, 28, v71
	v_sub_nc_u32_e32 v71, 29, v71
	v_lshlrev_b64 v[23:24], v23, v[11:12]
	v_and_b32_e32 v23, 7, v23
; %bb.1873:                             ;   in Loop: Header=BB368_1052 Depth=1
	s_or_b32 exec_lo, exec_lo, s20
	v_mov_b32_e32 v11, 24
	v_lshlrev_b32_e32 v23, 20, v23
	v_lshl_add_u32 v24, v71, 23, 0x3c000000
	v_lshlrev_b32_sdwa v11, v11, v21 dst_sel:DWORD dst_unused:UNUSED_PAD src0_sel:DWORD src1_sel:BYTE_3
	v_and_b32_e32 v11, 0x80000000, v11
	v_or3_b32 v71, v23, v11, v24
.LBB368_1874:                           ;   in Loop: Header=BB368_1052 Depth=1
	s_or_b32 exec_lo, exec_lo, s19
.LBB368_1875:                           ;   in Loop: Header=BB368_1052 Depth=1
	s_or_b32 exec_lo, exec_lo, s18
.LBB368_1876:                           ;   in Loop: Header=BB368_1052 Depth=1
	s_or_b32 exec_lo, exec_lo, s15
	v_mov_b32_e32 v11, v22
	v_cmp_ne_u16_sdwa s4, v22, v12 src0_sel:BYTE_0 src1_sel:DWORD
	v_mov_b32_e32 v117, 0
	v_mov_b32_e32 v118, 0
	s_and_saveexec_b32 s15, s4
	s_cbranch_execz .LBB368_1884
; %bb.1877:                             ;   in Loop: Header=BB368_1052 Depth=1
	v_cmp_ne_u16_sdwa s4, v22, v67 src0_sel:BYTE_0 src1_sel:DWORD
	v_bfrev_b32_e32 v118, 1
	s_and_saveexec_b32 s18, s4
	s_cbranch_execz .LBB368_1883
; %bb.1878:                             ;   in Loop: Header=BB368_1052 Depth=1
	v_and_b32_e32 v23, 0x7f, v22
	v_mov_b32_e32 v118, 0x7f800001
	s_mov_b32 s19, exec_lo
	v_cmpx_ne_u32_e32 0x7f, v23
	s_cbranch_execz .LBB368_1882
; %bb.1879:                             ;   in Loop: Header=BB368_1052 Depth=1
	v_lshrrev_b32_e32 v118, 3, v23
	v_cmp_gt_u32_e64 s4, 8, v23
	v_mov_b32_e32 v24, v12
	v_mov_b32_e32 v23, v11
	s_and_saveexec_b32 s20, s4
; %bb.1880:                             ;   in Loop: Header=BB368_1052 Depth=1
	v_and_b32_e32 v23, 7, v22
	v_ffbh_u32_e32 v23, v23
	v_min_u32_e32 v99, 32, v23
	v_subrev_nc_u32_e32 v23, 28, v99
	v_sub_nc_u32_e32 v118, 29, v99
	v_lshlrev_b64 v[23:24], v23, v[11:12]
; %bb.1881:                             ;   in Loop: Header=BB368_1052 Depth=1
	s_or_b32 exec_lo, exec_lo, s20
	v_lshlrev_b32_e32 v23, 20, v23
	v_lshlrev_b32_e32 v24, 24, v11
	v_lshl_add_u32 v99, v118, 23, 0x3c000000
	v_and_b32_e32 v23, 0x700000, v23
	v_and_b32_e32 v24, 0x80000000, v24
	v_or3_b32 v118, v23, v24, v99
.LBB368_1882:                           ;   in Loop: Header=BB368_1052 Depth=1
	s_or_b32 exec_lo, exec_lo, s19
.LBB368_1883:                           ;   in Loop: Header=BB368_1052 Depth=1
	s_or_b32 exec_lo, exec_lo, s18
.LBB368_1884:                           ;   in Loop: Header=BB368_1052 Depth=1
	s_or_b32 exec_lo, exec_lo, s15
	v_cmp_ne_u16_sdwa s4, v11, v12 src0_sel:BYTE_1 src1_sel:DWORD
	s_and_saveexec_b32 s15, s4
	s_cbranch_execz .LBB368_1892
; %bb.1885:                             ;   in Loop: Header=BB368_1052 Depth=1
	v_cmp_ne_u16_sdwa s4, v11, v67 src0_sel:BYTE_1 src1_sel:DWORD
	v_bfrev_b32_e32 v117, 1
	s_and_saveexec_b32 s18, s4
	s_cbranch_execz .LBB368_1891
; %bb.1886:                             ;   in Loop: Header=BB368_1052 Depth=1
	v_and_b32_sdwa v23, v94, v11 dst_sel:DWORD dst_unused:UNUSED_PAD src0_sel:DWORD src1_sel:BYTE_1
	v_mov_b32_e32 v117, 0x7f800001
	s_mov_b32 s19, exec_lo
	v_and_b32_e32 v119, 0x7f, v23
	v_cmpx_ne_u32_e32 0x7f, v119
	s_cbranch_execz .LBB368_1890
; %bb.1887:                             ;   in Loop: Header=BB368_1052 Depth=1
	v_and_b32_e32 v23, 7, v23
	v_mov_b32_e32 v24, v12
	v_lshrrev_b32_e32 v117, 3, v119
	s_mov_b32 s20, exec_lo
	v_cmpx_gt_u32_e32 8, v119
; %bb.1888:                             ;   in Loop: Header=BB368_1052 Depth=1
	v_ffbh_u32_e32 v99, v23
	v_min_u32_e32 v99, 32, v99
	v_subrev_nc_u32_e32 v117, 28, v99
	v_lshlrev_b64 v[23:24], v117, v[23:24]
	v_sub_nc_u32_e32 v117, 29, v99
	v_and_b32_e32 v23, 7, v23
; %bb.1889:                             ;   in Loop: Header=BB368_1052 Depth=1
	s_or_b32 exec_lo, exec_lo, s20
	v_lshlrev_b32_e32 v11, 16, v11
	v_lshlrev_b32_e32 v23, 20, v23
	v_lshl_add_u32 v24, v117, 23, 0x3c000000
	v_and_b32_e32 v11, 0x80000000, v11
	v_or3_b32 v117, v23, v11, v24
.LBB368_1890:                           ;   in Loop: Header=BB368_1052 Depth=1
	s_or_b32 exec_lo, exec_lo, s19
.LBB368_1891:                           ;   in Loop: Header=BB368_1052 Depth=1
	s_or_b32 exec_lo, exec_lo, s18
.LBB368_1892:                           ;   in Loop: Header=BB368_1052 Depth=1
	s_or_b32 exec_lo, exec_lo, s15
	v_and_b32_sdwa v11, v22, v69 dst_sel:DWORD dst_unused:UNUSED_PAD src0_sel:WORD_1 src1_sel:DWORD
	v_mov_b32_e32 v41, 0
	v_mov_b32_e32 v42, 0
	s_mov_b32 s15, exec_lo
	v_cmpx_ne_u16_e32 0, v11
	s_cbranch_execz .LBB368_1900
; %bb.1893:                             ;   in Loop: Header=BB368_1052 Depth=1
	v_bfrev_b32_e32 v42, 1
	s_mov_b32 s18, exec_lo
	v_cmpx_ne_u16_e32 0x80, v11
	s_cbranch_execz .LBB368_1899
; %bb.1894:                             ;   in Loop: Header=BB368_1052 Depth=1
	v_bfe_u32 v23, v22, 16, 7
	v_mov_b32_e32 v42, 0x7f800001
	s_mov_b32 s19, exec_lo
	v_cmpx_ne_u32_e32 0x7f, v23
	s_cbranch_execz .LBB368_1898
; %bb.1895:                             ;   in Loop: Header=BB368_1052 Depth=1
	v_mov_b32_e32 v11, 7
	v_lshrrev_b32_e32 v119, 3, v23
	v_cmp_gt_u32_e64 s4, 8, v23
	v_and_b32_sdwa v11, v22, v11 dst_sel:DWORD dst_unused:UNUSED_PAD src0_sel:WORD_1 src1_sel:DWORD
	v_mov_b32_e32 v24, v12
	v_mov_b32_e32 v23, v11
	s_and_saveexec_b32 s20, s4
; %bb.1896:                             ;   in Loop: Header=BB368_1052 Depth=1
	v_ffbh_u32_e32 v23, v11
	v_min_u32_e32 v99, 32, v23
	v_subrev_nc_u32_e32 v23, 28, v99
	v_sub_nc_u32_e32 v119, 29, v99
	v_lshlrev_b64 v[23:24], v23, v[11:12]
	v_and_b32_e32 v23, 7, v23
; %bb.1897:                             ;   in Loop: Header=BB368_1052 Depth=1
	s_or_b32 exec_lo, exec_lo, s20
	v_mov_b32_e32 v11, 24
	v_lshlrev_b32_e32 v23, 20, v23
	v_lshl_add_u32 v24, v119, 23, 0x3c000000
	v_lshlrev_b32_sdwa v11, v11, v22 dst_sel:DWORD dst_unused:UNUSED_PAD src0_sel:DWORD src1_sel:WORD_1
	v_and_b32_e32 v11, 0x80000000, v11
	v_or3_b32 v42, v23, v11, v24
.LBB368_1898:                           ;   in Loop: Header=BB368_1052 Depth=1
	s_or_b32 exec_lo, exec_lo, s19
.LBB368_1899:                           ;   in Loop: Header=BB368_1052 Depth=1
	s_or_b32 exec_lo, exec_lo, s18
.LBB368_1900:                           ;   in Loop: Header=BB368_1052 Depth=1
	s_or_b32 exec_lo, exec_lo, s15
	s_mov_b32 s15, exec_lo
	v_cmpx_lt_u64_e64 s[6:7], v[21:22]
	s_cbranch_execz .LBB368_1908
; %bb.1901:                             ;   in Loop: Header=BB368_1052 Depth=1
	v_cmp_ne_u32_sdwa s4, v22, v67 src0_sel:BYTE_3 src1_sel:DWORD
	v_bfrev_b32_e32 v41, 1
	s_and_saveexec_b32 s18, s4
	s_cbranch_execz .LBB368_1907
; %bb.1902:                             ;   in Loop: Header=BB368_1052 Depth=1
	v_bfe_u32 v23, v22, 24, 7
	v_mov_b32_e32 v41, 0x7f800001
	s_mov_b32 s19, exec_lo
	v_cmpx_ne_u32_e32 0x7f, v23
	s_cbranch_execz .LBB368_1906
; %bb.1903:                             ;   in Loop: Header=BB368_1052 Depth=1
	v_mov_b32_e32 v11, 7
	v_lshrrev_b32_e32 v21, 3, v23
	v_cmp_gt_u32_e64 s4, 8, v23
	v_and_b32_sdwa v11, v22, v11 dst_sel:DWORD dst_unused:UNUSED_PAD src0_sel:BYTE_3 src1_sel:DWORD
	v_mov_b32_e32 v24, v12
	v_mov_b32_e32 v23, v11
	s_and_saveexec_b32 s20, s4
; %bb.1904:                             ;   in Loop: Header=BB368_1052 Depth=1
	v_ffbh_u32_e32 v21, v11
	v_min_u32_e32 v21, 32, v21
	v_subrev_nc_u32_e32 v23, 28, v21
	v_sub_nc_u32_e32 v21, 29, v21
	v_lshlrev_b64 v[23:24], v23, v[11:12]
	v_and_b32_e32 v23, 7, v23
; %bb.1905:                             ;   in Loop: Header=BB368_1052 Depth=1
	s_or_b32 exec_lo, exec_lo, s20
	v_mov_b32_e32 v11, 24
	v_lshl_add_u32 v21, v21, 23, 0x3c000000
	v_lshlrev_b32_sdwa v11, v11, v22 dst_sel:DWORD dst_unused:UNUSED_PAD src0_sel:DWORD src1_sel:BYTE_3
	v_lshlrev_b32_e32 v22, 20, v23
	v_and_b32_e32 v11, 0x80000000, v11
	v_or3_b32 v41, v22, v11, v21
.LBB368_1906:                           ;   in Loop: Header=BB368_1052 Depth=1
	s_or_b32 exec_lo, exec_lo, s19
.LBB368_1907:                           ;   in Loop: Header=BB368_1052 Depth=1
	s_or_b32 exec_lo, exec_lo, s18
.LBB368_1908:                           ;   in Loop: Header=BB368_1052 Depth=1
	s_or_b32 exec_lo, exec_lo, s15
	v_mul_f32_e32 v11, v64, v117
	v_mul_f32_e32 v10, v64, v10
	v_bfe_u32 v21, v11, 16, 1
	v_or_b32_e32 v22, 0x400000, v11
	v_cmp_u_f32_e64 s4, v11, v11
	v_add3_u32 v21, v21, v11, 0x7fff
	v_cndmask_b32_e64 v11, v21, v22, s4
	v_lshrrev_b32_e32 v117, 16, v11
	v_mul_f32_e32 v11, v64, v118
	v_bfe_u32 v21, v11, 16, 1
	v_or_b32_e32 v22, 0x400000, v11
	v_cmp_u_f32_e64 s4, v11, v11
	v_add3_u32 v21, v21, v11, 0x7fff
	v_cndmask_b32_e64 v11, v21, v22, s4
	v_lshrrev_b32_e32 v118, 16, v11
	;; [unrolled: 7-line block ×4, first 2 shown]
	v_mul_f32_e32 v11, v64, v68
	v_bfe_u32 v21, v11, 16, 1
	v_or_b32_e32 v22, 0x400000, v11
	v_cmp_u_f32_e64 s4, v11, v11
	v_add3_u32 v21, v21, v11, 0x7fff
	v_cndmask_b32_e64 v11, v21, v22, s4
	v_or_b32_e32 v21, 0x400000, v10
	v_cmp_u_f32_e64 s4, v10, v10
	v_lshrrev_b32_e32 v68, 16, v11
	v_bfe_u32 v11, v10, 16, 1
	v_add3_u32 v11, v11, v10, 0x7fff
	v_cndmask_b32_e64 v10, v11, v21, s4
	v_lshrrev_b32_e32 v71, 16, v10
	v_mul_f32_e32 v10, v64, v42
	v_bfe_u32 v11, v10, 16, 1
	v_or_b32_e32 v21, 0x400000, v10
	v_cmp_u_f32_e64 s4, v10, v10
	v_add3_u32 v11, v11, v10, 0x7fff
	v_cndmask_b32_e64 v10, v11, v21, s4
	v_lshrrev_b32_e32 v70, 16, v10
	v_mul_f32_e32 v10, v64, v41
	v_bfe_u32 v11, v10, 16, 1
	v_or_b32_e32 v21, 0x400000, v10
	v_cmp_u_f32_e64 s4, v10, v10
	v_add3_u32 v11, v11, v10, 0x7fff
	v_cndmask_b32_e64 v10, v11, v21, s4
	v_lshrrev_b32_e32 v41, 16, v10
	s_and_saveexec_b32 s15, vcc_lo
	s_cbranch_execz .LBB368_1910
; %bb.1909:                             ;   in Loop: Header=BB368_1052 Depth=1
	buffer_load_dword v10, off, s[0:3], s32 offset:192 ; 4-byte Folded Reload
	s_waitcnt vmcnt(0)
	v_cmp_lt_i32_e64 s4, v57, v10
	v_cndmask_b32_e64 v71, 0, v71, s4
	v_cmp_lt_i32_e64 s4, v63, v10
	v_cndmask_b32_e64 v68, 0, v68, s4
	;; [unrolled: 2-line block ×8, first 2 shown]
.LBB368_1910:                           ;   in Loop: Header=BB368_1052 Depth=1
	s_or_b32 exec_lo, exec_lo, s15
	flat_load_dwordx2 v[21:22], v[19:20] offset:1280
	v_mov_b32_e32 v46, 0
	v_mov_b32_e32 v10, 0
	s_waitcnt vmcnt(0) lgkmcnt(0)
	v_cmp_ne_u16_sdwa s4, v21, v12 src0_sel:BYTE_0 src1_sel:DWORD
	s_and_saveexec_b32 s15, s4
	s_cbranch_execz .LBB368_1918
; %bb.1911:                             ;   in Loop: Header=BB368_1052 Depth=1
	v_cmp_ne_u16_sdwa s4, v21, v67 src0_sel:BYTE_0 src1_sel:DWORD
	v_bfrev_b32_e32 v10, 1
	s_and_saveexec_b32 s18, s4
	s_cbranch_execz .LBB368_1917
; %bb.1912:                             ;   in Loop: Header=BB368_1052 Depth=1
	v_and_b32_e32 v11, 0x7f, v21
	v_mov_b32_e32 v10, 0x7f800001
	s_mov_b32 s19, exec_lo
	v_cmpx_ne_u32_e32 0x7f, v11
	s_cbranch_execz .LBB368_1916
; %bb.1913:                             ;   in Loop: Header=BB368_1052 Depth=1
	v_lshrrev_b32_e32 v23, 3, v11
	v_cmp_gt_u32_e64 s4, 8, v11
	v_mov_b32_e32 v10, v21
	v_mov_b32_e32 v11, v22
	s_and_saveexec_b32 s20, s4
; %bb.1914:                             ;   in Loop: Header=BB368_1052 Depth=1
	v_and_b32_e32 v10, 7, v21
	v_ffbh_u32_e32 v10, v10
	v_min_u32_e32 v23, 32, v10
	v_subrev_nc_u32_e32 v10, 28, v23
	v_sub_nc_u32_e32 v23, 29, v23
	v_lshlrev_b64 v[10:11], v10, v[21:22]
; %bb.1915:                             ;   in Loop: Header=BB368_1052 Depth=1
	s_or_b32 exec_lo, exec_lo, s20
	v_lshlrev_b32_e32 v10, 20, v10
	v_lshlrev_b32_e32 v11, 24, v21
	v_lshl_add_u32 v23, v23, 23, 0x3c000000
	v_and_b32_e32 v10, 0x700000, v10
	v_and_b32_e32 v11, 0x80000000, v11
	v_or3_b32 v10, v10, v11, v23
.LBB368_1916:                           ;   in Loop: Header=BB368_1052 Depth=1
	s_or_b32 exec_lo, exec_lo, s19
.LBB368_1917:                           ;   in Loop: Header=BB368_1052 Depth=1
	s_or_b32 exec_lo, exec_lo, s18
.LBB368_1918:                           ;   in Loop: Header=BB368_1052 Depth=1
	s_or_b32 exec_lo, exec_lo, s15
	v_cmp_ne_u16_sdwa s4, v21, v12 src0_sel:BYTE_1 src1_sel:DWORD
	s_and_saveexec_b32 s15, s4
	s_cbranch_execz .LBB368_1926
; %bb.1919:                             ;   in Loop: Header=BB368_1052 Depth=1
	v_cmp_ne_u16_sdwa s4, v21, v67 src0_sel:BYTE_1 src1_sel:DWORD
	v_bfrev_b32_e32 v46, 1
	s_and_saveexec_b32 s18, s4
	s_cbranch_execz .LBB368_1925
; %bb.1920:                             ;   in Loop: Header=BB368_1052 Depth=1
	v_and_b32_sdwa v11, v94, v21 dst_sel:DWORD dst_unused:UNUSED_PAD src0_sel:DWORD src1_sel:BYTE_1
	v_mov_b32_e32 v46, 0x7f800001
	s_mov_b32 s19, exec_lo
	v_and_b32_e32 v23, 0x7f, v11
	v_cmpx_ne_u32_e32 0x7f, v23
	s_cbranch_execz .LBB368_1924
; %bb.1921:                             ;   in Loop: Header=BB368_1052 Depth=1
	v_and_b32_e32 v11, 7, v11
	v_lshrrev_b32_e32 v42, 3, v23
	v_cmp_gt_u32_e64 s4, 8, v23
	v_mov_b32_e32 v24, v12
	v_mov_b32_e32 v23, v11
	s_and_saveexec_b32 s20, s4
; %bb.1922:                             ;   in Loop: Header=BB368_1052 Depth=1
	v_ffbh_u32_e32 v23, v11
	v_min_u32_e32 v99, 32, v23
	v_subrev_nc_u32_e32 v23, 28, v99
	v_sub_nc_u32_e32 v42, 29, v99
	v_lshlrev_b64 v[23:24], v23, v[11:12]
	v_and_b32_e32 v23, 7, v23
; %bb.1923:                             ;   in Loop: Header=BB368_1052 Depth=1
	s_or_b32 exec_lo, exec_lo, s20
	v_lshlrev_b32_e32 v11, 16, v21
	v_lshlrev_b32_e32 v23, 20, v23
	v_lshl_add_u32 v24, v42, 23, 0x3c000000
	v_and_b32_e32 v11, 0x80000000, v11
	v_or3_b32 v46, v23, v11, v24
.LBB368_1924:                           ;   in Loop: Header=BB368_1052 Depth=1
	s_or_b32 exec_lo, exec_lo, s19
.LBB368_1925:                           ;   in Loop: Header=BB368_1052 Depth=1
	s_or_b32 exec_lo, exec_lo, s18
.LBB368_1926:                           ;   in Loop: Header=BB368_1052 Depth=1
	s_or_b32 exec_lo, exec_lo, s15
	v_and_b32_sdwa v11, v21, v69 dst_sel:DWORD dst_unused:UNUSED_PAD src0_sel:WORD_1 src1_sel:DWORD
	v_mov_b32_e32 v44, 0
	v_mov_b32_e32 v45, 0
	s_mov_b32 s15, exec_lo
	v_cmpx_ne_u16_e32 0, v11
	s_cbranch_execz .LBB368_1934
; %bb.1927:                             ;   in Loop: Header=BB368_1052 Depth=1
	v_bfrev_b32_e32 v45, 1
	s_mov_b32 s18, exec_lo
	v_cmpx_ne_u16_e32 0x80, v11
	s_cbranch_execz .LBB368_1933
; %bb.1928:                             ;   in Loop: Header=BB368_1052 Depth=1
	v_bfe_u32 v23, v21, 16, 7
	v_mov_b32_e32 v45, 0x7f800001
	s_mov_b32 s19, exec_lo
	v_cmpx_ne_u32_e32 0x7f, v23
	s_cbranch_execz .LBB368_1932
; %bb.1929:                             ;   in Loop: Header=BB368_1052 Depth=1
	v_mov_b32_e32 v11, 7
	v_lshrrev_b32_e32 v42, 3, v23
	v_cmp_gt_u32_e64 s4, 8, v23
	v_and_b32_sdwa v11, v21, v11 dst_sel:DWORD dst_unused:UNUSED_PAD src0_sel:WORD_1 src1_sel:DWORD
	v_mov_b32_e32 v24, v12
	v_mov_b32_e32 v23, v11
	s_and_saveexec_b32 s20, s4
; %bb.1930:                             ;   in Loop: Header=BB368_1052 Depth=1
	v_ffbh_u32_e32 v23, v11
	v_min_u32_e32 v99, 32, v23
	v_subrev_nc_u32_e32 v23, 28, v99
	v_sub_nc_u32_e32 v42, 29, v99
	v_lshlrev_b64 v[23:24], v23, v[11:12]
	v_and_b32_e32 v23, 7, v23
; %bb.1931:                             ;   in Loop: Header=BB368_1052 Depth=1
	s_or_b32 exec_lo, exec_lo, s20
	v_mov_b32_e32 v11, 24
	v_lshlrev_b32_e32 v23, 20, v23
	v_lshl_add_u32 v24, v42, 23, 0x3c000000
	v_lshlrev_b32_sdwa v11, v11, v21 dst_sel:DWORD dst_unused:UNUSED_PAD src0_sel:DWORD src1_sel:WORD_1
	v_and_b32_e32 v11, 0x80000000, v11
	v_or3_b32 v45, v23, v11, v24
.LBB368_1932:                           ;   in Loop: Header=BB368_1052 Depth=1
	s_or_b32 exec_lo, exec_lo, s19
.LBB368_1933:                           ;   in Loop: Header=BB368_1052 Depth=1
	s_or_b32 exec_lo, exec_lo, s18
.LBB368_1934:                           ;   in Loop: Header=BB368_1052 Depth=1
	s_or_b32 exec_lo, exec_lo, s15
	s_mov_b32 s15, exec_lo
	v_cmpx_lt_u32_e32 0xffffff, v21
	s_cbranch_execz .LBB368_1942
; %bb.1935:                             ;   in Loop: Header=BB368_1052 Depth=1
	v_cmp_ne_u32_sdwa s4, v21, v67 src0_sel:BYTE_3 src1_sel:DWORD
	v_bfrev_b32_e32 v44, 1
	s_and_saveexec_b32 s18, s4
	s_cbranch_execz .LBB368_1941
; %bb.1936:                             ;   in Loop: Header=BB368_1052 Depth=1
	v_bfe_u32 v23, v21, 24, 7
	v_mov_b32_e32 v44, 0x7f800001
	s_mov_b32 s19, exec_lo
	v_cmpx_ne_u32_e32 0x7f, v23
	s_cbranch_execz .LBB368_1940
; %bb.1937:                             ;   in Loop: Header=BB368_1052 Depth=1
	v_mov_b32_e32 v11, 7
	v_lshrrev_b32_e32 v42, 3, v23
	v_cmp_gt_u32_e64 s4, 8, v23
	v_and_b32_sdwa v11, v21, v11 dst_sel:DWORD dst_unused:UNUSED_PAD src0_sel:BYTE_3 src1_sel:DWORD
	v_mov_b32_e32 v24, v12
	v_mov_b32_e32 v23, v11
	s_and_saveexec_b32 s20, s4
; %bb.1938:                             ;   in Loop: Header=BB368_1052 Depth=1
	v_ffbh_u32_e32 v23, v11
	v_min_u32_e32 v99, 32, v23
	v_subrev_nc_u32_e32 v23, 28, v99
	v_sub_nc_u32_e32 v42, 29, v99
	v_lshlrev_b64 v[23:24], v23, v[11:12]
	v_and_b32_e32 v23, 7, v23
; %bb.1939:                             ;   in Loop: Header=BB368_1052 Depth=1
	s_or_b32 exec_lo, exec_lo, s20
	v_mov_b32_e32 v11, 24
	v_lshlrev_b32_e32 v23, 20, v23
	v_lshl_add_u32 v24, v42, 23, 0x3c000000
	v_lshlrev_b32_sdwa v11, v11, v21 dst_sel:DWORD dst_unused:UNUSED_PAD src0_sel:DWORD src1_sel:BYTE_3
	v_and_b32_e32 v11, 0x80000000, v11
	v_or3_b32 v44, v23, v11, v24
.LBB368_1940:                           ;   in Loop: Header=BB368_1052 Depth=1
	s_or_b32 exec_lo, exec_lo, s19
.LBB368_1941:                           ;   in Loop: Header=BB368_1052 Depth=1
	s_or_b32 exec_lo, exec_lo, s18
.LBB368_1942:                           ;   in Loop: Header=BB368_1052 Depth=1
	s_or_b32 exec_lo, exec_lo, s15
	v_mov_b32_e32 v11, v22
	v_cmp_ne_u16_sdwa s4, v22, v12 src0_sel:BYTE_0 src1_sel:DWORD
	v_mov_b32_e32 v42, 0
	v_mov_b32_e32 v43, 0
	s_and_saveexec_b32 s15, s4
	s_cbranch_execz .LBB368_1950
; %bb.1943:                             ;   in Loop: Header=BB368_1052 Depth=1
	v_cmp_ne_u16_sdwa s4, v22, v67 src0_sel:BYTE_0 src1_sel:DWORD
	v_bfrev_b32_e32 v43, 1
	s_and_saveexec_b32 s18, s4
	s_cbranch_execz .LBB368_1949
; %bb.1944:                             ;   in Loop: Header=BB368_1052 Depth=1
	v_and_b32_e32 v23, 0x7f, v22
	v_mov_b32_e32 v43, 0x7f800001
	s_mov_b32 s19, exec_lo
	v_cmpx_ne_u32_e32 0x7f, v23
	s_cbranch_execz .LBB368_1948
; %bb.1945:                             ;   in Loop: Header=BB368_1052 Depth=1
	v_lshrrev_b32_e32 v43, 3, v23
	v_cmp_gt_u32_e64 s4, 8, v23
	v_mov_b32_e32 v24, v12
	v_mov_b32_e32 v23, v11
	s_and_saveexec_b32 s20, s4
; %bb.1946:                             ;   in Loop: Header=BB368_1052 Depth=1
	v_and_b32_e32 v23, 7, v22
	v_ffbh_u32_e32 v23, v23
	v_min_u32_e32 v99, 32, v23
	v_subrev_nc_u32_e32 v23, 28, v99
	v_sub_nc_u32_e32 v43, 29, v99
	v_lshlrev_b64 v[23:24], v23, v[11:12]
; %bb.1947:                             ;   in Loop: Header=BB368_1052 Depth=1
	s_or_b32 exec_lo, exec_lo, s20
	v_lshlrev_b32_e32 v23, 20, v23
	v_lshlrev_b32_e32 v24, 24, v11
	v_lshl_add_u32 v99, v43, 23, 0x3c000000
	v_and_b32_e32 v23, 0x700000, v23
	v_and_b32_e32 v24, 0x80000000, v24
	v_or3_b32 v43, v23, v24, v99
.LBB368_1948:                           ;   in Loop: Header=BB368_1052 Depth=1
	s_or_b32 exec_lo, exec_lo, s19
.LBB368_1949:                           ;   in Loop: Header=BB368_1052 Depth=1
	s_or_b32 exec_lo, exec_lo, s18
.LBB368_1950:                           ;   in Loop: Header=BB368_1052 Depth=1
	s_or_b32 exec_lo, exec_lo, s15
	v_cmp_ne_u16_sdwa s4, v11, v12 src0_sel:BYTE_1 src1_sel:DWORD
	s_and_saveexec_b32 s15, s4
	s_cbranch_execz .LBB368_1958
; %bb.1951:                             ;   in Loop: Header=BB368_1052 Depth=1
	v_cmp_ne_u16_sdwa s4, v11, v67 src0_sel:BYTE_1 src1_sel:DWORD
	v_bfrev_b32_e32 v42, 1
	s_and_saveexec_b32 s18, s4
	s_cbranch_execz .LBB368_1957
; %bb.1952:                             ;   in Loop: Header=BB368_1052 Depth=1
	v_and_b32_sdwa v23, v94, v11 dst_sel:DWORD dst_unused:UNUSED_PAD src0_sel:DWORD src1_sel:BYTE_1
	v_mov_b32_e32 v42, 0x7f800001
	s_mov_b32 s19, exec_lo
	v_and_b32_e32 v47, 0x7f, v23
	v_cmpx_ne_u32_e32 0x7f, v47
	s_cbranch_execz .LBB368_1956
; %bb.1953:                             ;   in Loop: Header=BB368_1052 Depth=1
	v_and_b32_e32 v23, 7, v23
	v_mov_b32_e32 v24, v12
	v_lshrrev_b32_e32 v42, 3, v47
	s_mov_b32 s20, exec_lo
	v_cmpx_gt_u32_e32 8, v47
; %bb.1954:                             ;   in Loop: Header=BB368_1052 Depth=1
	v_ffbh_u32_e32 v99, v23
	v_min_u32_e32 v99, 32, v99
	v_subrev_nc_u32_e32 v42, 28, v99
	v_lshlrev_b64 v[23:24], v42, v[23:24]
	v_sub_nc_u32_e32 v42, 29, v99
	v_and_b32_e32 v23, 7, v23
; %bb.1955:                             ;   in Loop: Header=BB368_1052 Depth=1
	s_or_b32 exec_lo, exec_lo, s20
	v_lshlrev_b32_e32 v11, 16, v11
	v_lshlrev_b32_e32 v23, 20, v23
	v_lshl_add_u32 v24, v42, 23, 0x3c000000
	v_and_b32_e32 v11, 0x80000000, v11
	v_or3_b32 v42, v23, v11, v24
.LBB368_1956:                           ;   in Loop: Header=BB368_1052 Depth=1
	s_or_b32 exec_lo, exec_lo, s19
.LBB368_1957:                           ;   in Loop: Header=BB368_1052 Depth=1
	s_or_b32 exec_lo, exec_lo, s18
.LBB368_1958:                           ;   in Loop: Header=BB368_1052 Depth=1
	s_or_b32 exec_lo, exec_lo, s15
	v_and_b32_sdwa v11, v22, v69 dst_sel:DWORD dst_unused:UNUSED_PAD src0_sel:WORD_1 src1_sel:DWORD
	v_mov_b32_e32 v72, 0
	v_mov_b32_e32 v47, 0
	s_mov_b32 s15, exec_lo
	v_cmpx_ne_u16_e32 0, v11
	s_cbranch_execz .LBB368_1966
; %bb.1959:                             ;   in Loop: Header=BB368_1052 Depth=1
	v_bfrev_b32_e32 v47, 1
	s_mov_b32 s18, exec_lo
	v_cmpx_ne_u16_e32 0x80, v11
	s_cbranch_execz .LBB368_1965
; %bb.1960:                             ;   in Loop: Header=BB368_1052 Depth=1
	v_bfe_u32 v23, v22, 16, 7
	v_mov_b32_e32 v47, 0x7f800001
	s_mov_b32 s19, exec_lo
	v_cmpx_ne_u32_e32 0x7f, v23
	s_cbranch_execz .LBB368_1964
; %bb.1961:                             ;   in Loop: Header=BB368_1052 Depth=1
	v_mov_b32_e32 v11, 7
	v_lshrrev_b32_e32 v47, 3, v23
	v_cmp_gt_u32_e64 s4, 8, v23
	v_and_b32_sdwa v11, v22, v11 dst_sel:DWORD dst_unused:UNUSED_PAD src0_sel:WORD_1 src1_sel:DWORD
	v_mov_b32_e32 v24, v12
	v_mov_b32_e32 v23, v11
	s_and_saveexec_b32 s20, s4
; %bb.1962:                             ;   in Loop: Header=BB368_1052 Depth=1
	v_ffbh_u32_e32 v23, v11
	v_min_u32_e32 v99, 32, v23
	v_subrev_nc_u32_e32 v23, 28, v99
	v_sub_nc_u32_e32 v47, 29, v99
	v_lshlrev_b64 v[23:24], v23, v[11:12]
	v_and_b32_e32 v23, 7, v23
; %bb.1963:                             ;   in Loop: Header=BB368_1052 Depth=1
	s_or_b32 exec_lo, exec_lo, s20
	v_mov_b32_e32 v11, 24
	v_lshlrev_b32_e32 v23, 20, v23
	v_lshl_add_u32 v24, v47, 23, 0x3c000000
	v_lshlrev_b32_sdwa v11, v11, v22 dst_sel:DWORD dst_unused:UNUSED_PAD src0_sel:DWORD src1_sel:WORD_1
	v_and_b32_e32 v11, 0x80000000, v11
	v_or3_b32 v47, v23, v11, v24
.LBB368_1964:                           ;   in Loop: Header=BB368_1052 Depth=1
	s_or_b32 exec_lo, exec_lo, s19
.LBB368_1965:                           ;   in Loop: Header=BB368_1052 Depth=1
	s_or_b32 exec_lo, exec_lo, s18
.LBB368_1966:                           ;   in Loop: Header=BB368_1052 Depth=1
	s_or_b32 exec_lo, exec_lo, s15
	s_mov_b32 s15, exec_lo
	v_cmpx_lt_u64_e64 s[6:7], v[21:22]
	s_cbranch_execz .LBB368_1974
; %bb.1967:                             ;   in Loop: Header=BB368_1052 Depth=1
	v_cmp_ne_u32_sdwa s4, v22, v67 src0_sel:BYTE_3 src1_sel:DWORD
	v_bfrev_b32_e32 v72, 1
	s_and_saveexec_b32 s18, s4
	s_cbranch_execz .LBB368_1973
; %bb.1968:                             ;   in Loop: Header=BB368_1052 Depth=1
	v_bfe_u32 v23, v22, 24, 7
	v_mov_b32_e32 v72, 0x7f800001
	s_mov_b32 s19, exec_lo
	v_cmpx_ne_u32_e32 0x7f, v23
	s_cbranch_execz .LBB368_1972
; %bb.1969:                             ;   in Loop: Header=BB368_1052 Depth=1
	v_mov_b32_e32 v11, 7
	v_lshrrev_b32_e32 v21, 3, v23
	v_cmp_gt_u32_e64 s4, 8, v23
	v_and_b32_sdwa v11, v22, v11 dst_sel:DWORD dst_unused:UNUSED_PAD src0_sel:BYTE_3 src1_sel:DWORD
	v_mov_b32_e32 v24, v12
	v_mov_b32_e32 v23, v11
	s_and_saveexec_b32 s20, s4
; %bb.1970:                             ;   in Loop: Header=BB368_1052 Depth=1
	v_ffbh_u32_e32 v21, v11
	v_min_u32_e32 v21, 32, v21
	v_subrev_nc_u32_e32 v23, 28, v21
	v_sub_nc_u32_e32 v21, 29, v21
	v_lshlrev_b64 v[23:24], v23, v[11:12]
	v_and_b32_e32 v23, 7, v23
; %bb.1971:                             ;   in Loop: Header=BB368_1052 Depth=1
	s_or_b32 exec_lo, exec_lo, s20
	v_mov_b32_e32 v11, 24
	v_lshl_add_u32 v21, v21, 23, 0x3c000000
	v_lshlrev_b32_sdwa v11, v11, v22 dst_sel:DWORD dst_unused:UNUSED_PAD src0_sel:DWORD src1_sel:BYTE_3
	v_lshlrev_b32_e32 v22, 20, v23
	v_and_b32_e32 v11, 0x80000000, v11
	v_or3_b32 v72, v22, v11, v21
.LBB368_1972:                           ;   in Loop: Header=BB368_1052 Depth=1
	s_or_b32 exec_lo, exec_lo, s19
.LBB368_1973:                           ;   in Loop: Header=BB368_1052 Depth=1
	s_or_b32 exec_lo, exec_lo, s18
.LBB368_1974:                           ;   in Loop: Header=BB368_1052 Depth=1
	s_or_b32 exec_lo, exec_lo, s15
	v_mul_f32_e32 v11, v64, v42
	v_mul_f32_e32 v10, v64, v10
	v_bfe_u32 v21, v11, 16, 1
	v_or_b32_e32 v22, 0x400000, v11
	v_cmp_u_f32_e64 s4, v11, v11
	v_add3_u32 v21, v21, v11, 0x7fff
	v_cndmask_b32_e64 v11, v21, v22, s4
	v_lshrrev_b32_e32 v42, 16, v11
	v_mul_f32_e32 v11, v64, v43
	v_bfe_u32 v21, v11, 16, 1
	v_or_b32_e32 v22, 0x400000, v11
	v_cmp_u_f32_e64 s4, v11, v11
	v_add3_u32 v21, v21, v11, 0x7fff
	v_cndmask_b32_e64 v11, v21, v22, s4
	v_lshrrev_b32_e32 v43, 16, v11
	;; [unrolled: 7-line block ×4, first 2 shown]
	v_mul_f32_e32 v11, v64, v46
	v_bfe_u32 v21, v11, 16, 1
	v_or_b32_e32 v22, 0x400000, v11
	v_cmp_u_f32_e64 s4, v11, v11
	v_add3_u32 v21, v21, v11, 0x7fff
	v_cndmask_b32_e64 v11, v21, v22, s4
	v_or_b32_e32 v21, 0x400000, v10
	v_cmp_u_f32_e64 s4, v10, v10
	v_lshrrev_b32_e32 v46, 16, v11
	v_bfe_u32 v11, v10, 16, 1
	v_add3_u32 v11, v11, v10, 0x7fff
	v_cndmask_b32_e64 v10, v11, v21, s4
	v_lshrrev_b32_e32 v56, 16, v10
	v_mul_f32_e32 v10, v64, v47
	v_bfe_u32 v11, v10, 16, 1
	v_or_b32_e32 v21, 0x400000, v10
	v_cmp_u_f32_e64 s4, v10, v10
	v_add3_u32 v11, v11, v10, 0x7fff
	v_cndmask_b32_e64 v10, v11, v21, s4
	v_lshrrev_b32_e32 v47, 16, v10
	v_mul_f32_e32 v10, v64, v72
	v_bfe_u32 v11, v10, 16, 1
	v_or_b32_e32 v21, 0x400000, v10
	v_cmp_u_f32_e64 s4, v10, v10
	v_add3_u32 v11, v11, v10, 0x7fff
	v_cndmask_b32_e64 v10, v11, v21, s4
	v_lshrrev_b32_e32 v72, 16, v10
	s_and_saveexec_b32 s15, vcc_lo
	s_cbranch_execz .LBB368_1976
; %bb.1975:                             ;   in Loop: Header=BB368_1052 Depth=1
	buffer_load_dword v10, off, s[0:3], s32 offset:192 ; 4-byte Folded Reload
	s_waitcnt vmcnt(0)
	v_cmp_lt_i32_e64 s4, v57, v10
	v_cndmask_b32_e64 v56, 0, v56, s4
	v_cmp_lt_i32_e64 s4, v63, v10
	v_cndmask_b32_e64 v46, 0, v46, s4
	v_cmp_lt_i32_e64 s4, v62, v10
	v_cndmask_b32_e64 v45, 0, v45, s4
	v_cmp_lt_i32_e64 s4, v61, v10
	v_cndmask_b32_e64 v44, 0, v44, s4
	v_cmp_lt_i32_e64 s4, v60, v10
	v_cndmask_b32_e64 v43, 0, v43, s4
	v_cmp_lt_i32_e64 s4, v59, v10
	v_cndmask_b32_e64 v42, 0, v42, s4
	v_cmp_lt_i32_e64 s4, v58, v10
	v_cndmask_b32_e64 v47, 0, v47, s4
	v_cmp_lt_i32_e64 s4, v65, v10
	v_cndmask_b32_e64 v72, 0, v72, s4
.LBB368_1976:                           ;   in Loop: Header=BB368_1052 Depth=1
	s_or_b32 exec_lo, exec_lo, s15
	flat_load_dwordx2 v[21:22], v[19:20] offset:1536
	v_mov_b32_e32 v77, 0
	v_mov_b32_e32 v10, 0
	s_waitcnt vmcnt(0) lgkmcnt(0)
	v_cmp_ne_u16_sdwa s4, v21, v12 src0_sel:BYTE_0 src1_sel:DWORD
	s_and_saveexec_b32 s15, s4
	s_cbranch_execz .LBB368_1984
; %bb.1977:                             ;   in Loop: Header=BB368_1052 Depth=1
	v_cmp_ne_u16_sdwa s4, v21, v67 src0_sel:BYTE_0 src1_sel:DWORD
	v_bfrev_b32_e32 v10, 1
	s_and_saveexec_b32 s18, s4
	s_cbranch_execz .LBB368_1983
; %bb.1978:                             ;   in Loop: Header=BB368_1052 Depth=1
	v_and_b32_e32 v11, 0x7f, v21
	v_mov_b32_e32 v10, 0x7f800001
	s_mov_b32 s19, exec_lo
	v_cmpx_ne_u32_e32 0x7f, v11
	s_cbranch_execz .LBB368_1982
; %bb.1979:                             ;   in Loop: Header=BB368_1052 Depth=1
	v_lshrrev_b32_e32 v23, 3, v11
	v_cmp_gt_u32_e64 s4, 8, v11
	v_mov_b32_e32 v10, v21
	v_mov_b32_e32 v11, v22
	s_and_saveexec_b32 s20, s4
; %bb.1980:                             ;   in Loop: Header=BB368_1052 Depth=1
	v_and_b32_e32 v10, 7, v21
	v_ffbh_u32_e32 v10, v10
	v_min_u32_e32 v23, 32, v10
	v_subrev_nc_u32_e32 v10, 28, v23
	v_sub_nc_u32_e32 v23, 29, v23
	v_lshlrev_b64 v[10:11], v10, v[21:22]
; %bb.1981:                             ;   in Loop: Header=BB368_1052 Depth=1
	s_or_b32 exec_lo, exec_lo, s20
	v_lshlrev_b32_e32 v10, 20, v10
	v_lshlrev_b32_e32 v11, 24, v21
	v_lshl_add_u32 v23, v23, 23, 0x3c000000
	v_and_b32_e32 v10, 0x700000, v10
	v_and_b32_e32 v11, 0x80000000, v11
	v_or3_b32 v10, v10, v11, v23
.LBB368_1982:                           ;   in Loop: Header=BB368_1052 Depth=1
	s_or_b32 exec_lo, exec_lo, s19
.LBB368_1983:                           ;   in Loop: Header=BB368_1052 Depth=1
	s_or_b32 exec_lo, exec_lo, s18
.LBB368_1984:                           ;   in Loop: Header=BB368_1052 Depth=1
	s_or_b32 exec_lo, exec_lo, s15
	v_cmp_ne_u16_sdwa s4, v21, v12 src0_sel:BYTE_1 src1_sel:DWORD
	s_and_saveexec_b32 s15, s4
	s_cbranch_execz .LBB368_1992
; %bb.1985:                             ;   in Loop: Header=BB368_1052 Depth=1
	v_cmp_ne_u16_sdwa s4, v21, v67 src0_sel:BYTE_1 src1_sel:DWORD
	v_bfrev_b32_e32 v77, 1
	s_and_saveexec_b32 s18, s4
	s_cbranch_execz .LBB368_1991
; %bb.1986:                             ;   in Loop: Header=BB368_1052 Depth=1
	v_and_b32_sdwa v11, v94, v21 dst_sel:DWORD dst_unused:UNUSED_PAD src0_sel:DWORD src1_sel:BYTE_1
	v_mov_b32_e32 v77, 0x7f800001
	s_mov_b32 s19, exec_lo
	v_and_b32_e32 v23, 0x7f, v11
	v_cmpx_ne_u32_e32 0x7f, v23
	s_cbranch_execz .LBB368_1990
; %bb.1987:                             ;   in Loop: Header=BB368_1052 Depth=1
	v_and_b32_e32 v11, 7, v11
	v_lshrrev_b32_e32 v73, 3, v23
	v_cmp_gt_u32_e64 s4, 8, v23
	v_mov_b32_e32 v24, v12
	v_mov_b32_e32 v23, v11
	s_and_saveexec_b32 s20, s4
; %bb.1988:                             ;   in Loop: Header=BB368_1052 Depth=1
	v_ffbh_u32_e32 v23, v11
	v_min_u32_e32 v99, 32, v23
	v_subrev_nc_u32_e32 v23, 28, v99
	v_sub_nc_u32_e32 v73, 29, v99
	v_lshlrev_b64 v[23:24], v23, v[11:12]
	v_and_b32_e32 v23, 7, v23
; %bb.1989:                             ;   in Loop: Header=BB368_1052 Depth=1
	s_or_b32 exec_lo, exec_lo, s20
	v_lshlrev_b32_e32 v11, 16, v21
	v_lshlrev_b32_e32 v23, 20, v23
	v_lshl_add_u32 v24, v73, 23, 0x3c000000
	v_and_b32_e32 v11, 0x80000000, v11
	v_or3_b32 v77, v23, v11, v24
.LBB368_1990:                           ;   in Loop: Header=BB368_1052 Depth=1
	s_or_b32 exec_lo, exec_lo, s19
.LBB368_1991:                           ;   in Loop: Header=BB368_1052 Depth=1
	s_or_b32 exec_lo, exec_lo, s18
.LBB368_1992:                           ;   in Loop: Header=BB368_1052 Depth=1
	s_or_b32 exec_lo, exec_lo, s15
	v_and_b32_sdwa v11, v21, v69 dst_sel:DWORD dst_unused:UNUSED_PAD src0_sel:WORD_1 src1_sel:DWORD
	v_mov_b32_e32 v75, 0
	v_mov_b32_e32 v76, 0
	s_mov_b32 s15, exec_lo
	v_cmpx_ne_u16_e32 0, v11
	s_cbranch_execz .LBB368_2000
; %bb.1993:                             ;   in Loop: Header=BB368_1052 Depth=1
	v_bfrev_b32_e32 v76, 1
	s_mov_b32 s18, exec_lo
	v_cmpx_ne_u16_e32 0x80, v11
	s_cbranch_execz .LBB368_1999
; %bb.1994:                             ;   in Loop: Header=BB368_1052 Depth=1
	v_bfe_u32 v23, v21, 16, 7
	v_mov_b32_e32 v76, 0x7f800001
	s_mov_b32 s19, exec_lo
	v_cmpx_ne_u32_e32 0x7f, v23
	s_cbranch_execz .LBB368_1998
; %bb.1995:                             ;   in Loop: Header=BB368_1052 Depth=1
	v_mov_b32_e32 v11, 7
	v_lshrrev_b32_e32 v73, 3, v23
	v_cmp_gt_u32_e64 s4, 8, v23
	v_and_b32_sdwa v11, v21, v11 dst_sel:DWORD dst_unused:UNUSED_PAD src0_sel:WORD_1 src1_sel:DWORD
	v_mov_b32_e32 v24, v12
	v_mov_b32_e32 v23, v11
	s_and_saveexec_b32 s20, s4
; %bb.1996:                             ;   in Loop: Header=BB368_1052 Depth=1
	v_ffbh_u32_e32 v23, v11
	v_min_u32_e32 v99, 32, v23
	v_subrev_nc_u32_e32 v23, 28, v99
	v_sub_nc_u32_e32 v73, 29, v99
	v_lshlrev_b64 v[23:24], v23, v[11:12]
	v_and_b32_e32 v23, 7, v23
; %bb.1997:                             ;   in Loop: Header=BB368_1052 Depth=1
	s_or_b32 exec_lo, exec_lo, s20
	v_mov_b32_e32 v11, 24
	v_lshlrev_b32_e32 v23, 20, v23
	v_lshl_add_u32 v24, v73, 23, 0x3c000000
	v_lshlrev_b32_sdwa v11, v11, v21 dst_sel:DWORD dst_unused:UNUSED_PAD src0_sel:DWORD src1_sel:WORD_1
	v_and_b32_e32 v11, 0x80000000, v11
	v_or3_b32 v76, v23, v11, v24
.LBB368_1998:                           ;   in Loop: Header=BB368_1052 Depth=1
	s_or_b32 exec_lo, exec_lo, s19
.LBB368_1999:                           ;   in Loop: Header=BB368_1052 Depth=1
	s_or_b32 exec_lo, exec_lo, s18
.LBB368_2000:                           ;   in Loop: Header=BB368_1052 Depth=1
	s_or_b32 exec_lo, exec_lo, s15
	s_mov_b32 s15, exec_lo
	v_cmpx_lt_u32_e32 0xffffff, v21
	s_cbranch_execz .LBB368_2008
; %bb.2001:                             ;   in Loop: Header=BB368_1052 Depth=1
	v_cmp_ne_u32_sdwa s4, v21, v67 src0_sel:BYTE_3 src1_sel:DWORD
	v_bfrev_b32_e32 v75, 1
	s_and_saveexec_b32 s18, s4
	s_cbranch_execz .LBB368_2007
; %bb.2002:                             ;   in Loop: Header=BB368_1052 Depth=1
	v_bfe_u32 v23, v21, 24, 7
	v_mov_b32_e32 v75, 0x7f800001
	s_mov_b32 s19, exec_lo
	v_cmpx_ne_u32_e32 0x7f, v23
	s_cbranch_execz .LBB368_2006
; %bb.2003:                             ;   in Loop: Header=BB368_1052 Depth=1
	v_mov_b32_e32 v11, 7
	v_lshrrev_b32_e32 v73, 3, v23
	v_cmp_gt_u32_e64 s4, 8, v23
	v_and_b32_sdwa v11, v21, v11 dst_sel:DWORD dst_unused:UNUSED_PAD src0_sel:BYTE_3 src1_sel:DWORD
	v_mov_b32_e32 v24, v12
	v_mov_b32_e32 v23, v11
	s_and_saveexec_b32 s20, s4
; %bb.2004:                             ;   in Loop: Header=BB368_1052 Depth=1
	v_ffbh_u32_e32 v23, v11
	v_min_u32_e32 v99, 32, v23
	v_subrev_nc_u32_e32 v23, 28, v99
	v_sub_nc_u32_e32 v73, 29, v99
	v_lshlrev_b64 v[23:24], v23, v[11:12]
	v_and_b32_e32 v23, 7, v23
; %bb.2005:                             ;   in Loop: Header=BB368_1052 Depth=1
	s_or_b32 exec_lo, exec_lo, s20
	v_mov_b32_e32 v11, 24
	v_lshlrev_b32_e32 v23, 20, v23
	v_lshl_add_u32 v24, v73, 23, 0x3c000000
	v_lshlrev_b32_sdwa v11, v11, v21 dst_sel:DWORD dst_unused:UNUSED_PAD src0_sel:DWORD src1_sel:BYTE_3
	v_and_b32_e32 v11, 0x80000000, v11
	v_or3_b32 v75, v23, v11, v24
.LBB368_2006:                           ;   in Loop: Header=BB368_1052 Depth=1
	s_or_b32 exec_lo, exec_lo, s19
.LBB368_2007:                           ;   in Loop: Header=BB368_1052 Depth=1
	s_or_b32 exec_lo, exec_lo, s18
.LBB368_2008:                           ;   in Loop: Header=BB368_1052 Depth=1
	s_or_b32 exec_lo, exec_lo, s15
	v_mov_b32_e32 v11, v22
	v_cmp_ne_u16_sdwa s4, v22, v12 src0_sel:BYTE_0 src1_sel:DWORD
	v_mov_b32_e32 v73, 0
	v_mov_b32_e32 v74, 0
	s_and_saveexec_b32 s15, s4
	s_cbranch_execz .LBB368_2016
; %bb.2009:                             ;   in Loop: Header=BB368_1052 Depth=1
	v_cmp_ne_u16_sdwa s4, v22, v67 src0_sel:BYTE_0 src1_sel:DWORD
	v_bfrev_b32_e32 v74, 1
	s_and_saveexec_b32 s18, s4
	s_cbranch_execz .LBB368_2015
; %bb.2010:                             ;   in Loop: Header=BB368_1052 Depth=1
	v_and_b32_e32 v23, 0x7f, v22
	v_mov_b32_e32 v74, 0x7f800001
	s_mov_b32 s19, exec_lo
	v_cmpx_ne_u32_e32 0x7f, v23
	s_cbranch_execz .LBB368_2014
; %bb.2011:                             ;   in Loop: Header=BB368_1052 Depth=1
	v_lshrrev_b32_e32 v74, 3, v23
	v_cmp_gt_u32_e64 s4, 8, v23
	v_mov_b32_e32 v24, v12
	v_mov_b32_e32 v23, v11
	s_and_saveexec_b32 s20, s4
; %bb.2012:                             ;   in Loop: Header=BB368_1052 Depth=1
	v_and_b32_e32 v23, 7, v22
	v_ffbh_u32_e32 v23, v23
	v_min_u32_e32 v99, 32, v23
	v_subrev_nc_u32_e32 v23, 28, v99
	v_sub_nc_u32_e32 v74, 29, v99
	v_lshlrev_b64 v[23:24], v23, v[11:12]
; %bb.2013:                             ;   in Loop: Header=BB368_1052 Depth=1
	s_or_b32 exec_lo, exec_lo, s20
	v_lshlrev_b32_e32 v23, 20, v23
	v_lshlrev_b32_e32 v24, 24, v11
	v_lshl_add_u32 v99, v74, 23, 0x3c000000
	v_and_b32_e32 v23, 0x700000, v23
	v_and_b32_e32 v24, 0x80000000, v24
	v_or3_b32 v74, v23, v24, v99
.LBB368_2014:                           ;   in Loop: Header=BB368_1052 Depth=1
	s_or_b32 exec_lo, exec_lo, s19
.LBB368_2015:                           ;   in Loop: Header=BB368_1052 Depth=1
	s_or_b32 exec_lo, exec_lo, s18
.LBB368_2016:                           ;   in Loop: Header=BB368_1052 Depth=1
	s_or_b32 exec_lo, exec_lo, s15
	v_cmp_ne_u16_sdwa s4, v11, v12 src0_sel:BYTE_1 src1_sel:DWORD
	s_and_saveexec_b32 s15, s4
	s_cbranch_execz .LBB368_2024
; %bb.2017:                             ;   in Loop: Header=BB368_1052 Depth=1
	v_cmp_ne_u16_sdwa s4, v11, v67 src0_sel:BYTE_1 src1_sel:DWORD
	v_bfrev_b32_e32 v73, 1
	s_and_saveexec_b32 s18, s4
	s_cbranch_execz .LBB368_2023
; %bb.2018:                             ;   in Loop: Header=BB368_1052 Depth=1
	v_and_b32_sdwa v23, v94, v11 dst_sel:DWORD dst_unused:UNUSED_PAD src0_sel:DWORD src1_sel:BYTE_1
	v_mov_b32_e32 v73, 0x7f800001
	s_mov_b32 s19, exec_lo
	v_and_b32_e32 v78, 0x7f, v23
	v_cmpx_ne_u32_e32 0x7f, v78
	s_cbranch_execz .LBB368_2022
; %bb.2019:                             ;   in Loop: Header=BB368_1052 Depth=1
	v_and_b32_e32 v23, 7, v23
	v_mov_b32_e32 v24, v12
	v_lshrrev_b32_e32 v73, 3, v78
	s_mov_b32 s20, exec_lo
	v_cmpx_gt_u32_e32 8, v78
; %bb.2020:                             ;   in Loop: Header=BB368_1052 Depth=1
	v_ffbh_u32_e32 v99, v23
	v_min_u32_e32 v99, 32, v99
	v_subrev_nc_u32_e32 v73, 28, v99
	v_lshlrev_b64 v[23:24], v73, v[23:24]
	v_sub_nc_u32_e32 v73, 29, v99
	v_and_b32_e32 v23, 7, v23
; %bb.2021:                             ;   in Loop: Header=BB368_1052 Depth=1
	s_or_b32 exec_lo, exec_lo, s20
	v_lshlrev_b32_e32 v11, 16, v11
	v_lshlrev_b32_e32 v23, 20, v23
	v_lshl_add_u32 v24, v73, 23, 0x3c000000
	v_and_b32_e32 v11, 0x80000000, v11
	v_or3_b32 v73, v23, v11, v24
.LBB368_2022:                           ;   in Loop: Header=BB368_1052 Depth=1
	s_or_b32 exec_lo, exec_lo, s19
.LBB368_2023:                           ;   in Loop: Header=BB368_1052 Depth=1
	s_or_b32 exec_lo, exec_lo, s18
.LBB368_2024:                           ;   in Loop: Header=BB368_1052 Depth=1
	s_or_b32 exec_lo, exec_lo, s15
	v_and_b32_sdwa v11, v22, v69 dst_sel:DWORD dst_unused:UNUSED_PAD src0_sel:WORD_1 src1_sel:DWORD
	v_mov_b32_e32 v88, 0
	v_mov_b32_e32 v78, 0
	s_mov_b32 s15, exec_lo
	v_cmpx_ne_u16_e32 0, v11
	s_cbranch_execz .LBB368_2032
; %bb.2025:                             ;   in Loop: Header=BB368_1052 Depth=1
	v_bfrev_b32_e32 v78, 1
	s_mov_b32 s18, exec_lo
	v_cmpx_ne_u16_e32 0x80, v11
	s_cbranch_execz .LBB368_2031
; %bb.2026:                             ;   in Loop: Header=BB368_1052 Depth=1
	v_bfe_u32 v23, v22, 16, 7
	v_mov_b32_e32 v78, 0x7f800001
	s_mov_b32 s19, exec_lo
	v_cmpx_ne_u32_e32 0x7f, v23
	s_cbranch_execz .LBB368_2030
; %bb.2027:                             ;   in Loop: Header=BB368_1052 Depth=1
	v_mov_b32_e32 v11, 7
	v_lshrrev_b32_e32 v78, 3, v23
	v_cmp_gt_u32_e64 s4, 8, v23
	v_and_b32_sdwa v11, v22, v11 dst_sel:DWORD dst_unused:UNUSED_PAD src0_sel:WORD_1 src1_sel:DWORD
	v_mov_b32_e32 v24, v12
	v_mov_b32_e32 v23, v11
	s_and_saveexec_b32 s20, s4
; %bb.2028:                             ;   in Loop: Header=BB368_1052 Depth=1
	v_ffbh_u32_e32 v23, v11
	v_min_u32_e32 v99, 32, v23
	v_subrev_nc_u32_e32 v23, 28, v99
	v_sub_nc_u32_e32 v78, 29, v99
	v_lshlrev_b64 v[23:24], v23, v[11:12]
	v_and_b32_e32 v23, 7, v23
; %bb.2029:                             ;   in Loop: Header=BB368_1052 Depth=1
	s_or_b32 exec_lo, exec_lo, s20
	v_mov_b32_e32 v11, 24
	v_lshlrev_b32_e32 v23, 20, v23
	v_lshl_add_u32 v24, v78, 23, 0x3c000000
	v_lshlrev_b32_sdwa v11, v11, v22 dst_sel:DWORD dst_unused:UNUSED_PAD src0_sel:DWORD src1_sel:WORD_1
	v_and_b32_e32 v11, 0x80000000, v11
	v_or3_b32 v78, v23, v11, v24
.LBB368_2030:                           ;   in Loop: Header=BB368_1052 Depth=1
	s_or_b32 exec_lo, exec_lo, s19
.LBB368_2031:                           ;   in Loop: Header=BB368_1052 Depth=1
	s_or_b32 exec_lo, exec_lo, s18
.LBB368_2032:                           ;   in Loop: Header=BB368_1052 Depth=1
	s_or_b32 exec_lo, exec_lo, s15
	s_mov_b32 s15, exec_lo
	v_cmpx_lt_u64_e64 s[6:7], v[21:22]
	s_cbranch_execz .LBB368_2040
; %bb.2033:                             ;   in Loop: Header=BB368_1052 Depth=1
	v_cmp_ne_u32_sdwa s4, v22, v67 src0_sel:BYTE_3 src1_sel:DWORD
	v_bfrev_b32_e32 v88, 1
	s_and_saveexec_b32 s18, s4
	s_cbranch_execz .LBB368_2039
; %bb.2034:                             ;   in Loop: Header=BB368_1052 Depth=1
	v_bfe_u32 v23, v22, 24, 7
	v_mov_b32_e32 v88, 0x7f800001
	s_mov_b32 s19, exec_lo
	v_cmpx_ne_u32_e32 0x7f, v23
	s_cbranch_execz .LBB368_2038
; %bb.2035:                             ;   in Loop: Header=BB368_1052 Depth=1
	v_mov_b32_e32 v11, 7
	v_lshrrev_b32_e32 v21, 3, v23
	v_cmp_gt_u32_e64 s4, 8, v23
	v_and_b32_sdwa v11, v22, v11 dst_sel:DWORD dst_unused:UNUSED_PAD src0_sel:BYTE_3 src1_sel:DWORD
	v_mov_b32_e32 v24, v12
	v_mov_b32_e32 v23, v11
	s_and_saveexec_b32 s20, s4
; %bb.2036:                             ;   in Loop: Header=BB368_1052 Depth=1
	v_ffbh_u32_e32 v21, v11
	v_min_u32_e32 v21, 32, v21
	v_subrev_nc_u32_e32 v23, 28, v21
	v_sub_nc_u32_e32 v21, 29, v21
	v_lshlrev_b64 v[23:24], v23, v[11:12]
	v_and_b32_e32 v23, 7, v23
; %bb.2037:                             ;   in Loop: Header=BB368_1052 Depth=1
	s_or_b32 exec_lo, exec_lo, s20
	v_mov_b32_e32 v11, 24
	v_lshl_add_u32 v21, v21, 23, 0x3c000000
	v_lshlrev_b32_sdwa v11, v11, v22 dst_sel:DWORD dst_unused:UNUSED_PAD src0_sel:DWORD src1_sel:BYTE_3
	v_lshlrev_b32_e32 v22, 20, v23
	v_and_b32_e32 v11, 0x80000000, v11
	v_or3_b32 v88, v22, v11, v21
.LBB368_2038:                           ;   in Loop: Header=BB368_1052 Depth=1
	s_or_b32 exec_lo, exec_lo, s19
.LBB368_2039:                           ;   in Loop: Header=BB368_1052 Depth=1
	s_or_b32 exec_lo, exec_lo, s18
.LBB368_2040:                           ;   in Loop: Header=BB368_1052 Depth=1
	s_or_b32 exec_lo, exec_lo, s15
	v_mul_f32_e32 v11, v64, v73
	v_mul_f32_e32 v10, v64, v10
	v_bfe_u32 v21, v11, 16, 1
	v_or_b32_e32 v22, 0x400000, v11
	v_cmp_u_f32_e64 s4, v11, v11
	v_add3_u32 v21, v21, v11, 0x7fff
	v_cndmask_b32_e64 v11, v21, v22, s4
	v_lshrrev_b32_e32 v73, 16, v11
	v_mul_f32_e32 v11, v64, v74
	v_bfe_u32 v21, v11, 16, 1
	v_or_b32_e32 v22, 0x400000, v11
	v_cmp_u_f32_e64 s4, v11, v11
	v_add3_u32 v21, v21, v11, 0x7fff
	v_cndmask_b32_e64 v11, v21, v22, s4
	v_lshrrev_b32_e32 v74, 16, v11
	;; [unrolled: 7-line block ×4, first 2 shown]
	v_mul_f32_e32 v11, v64, v77
	v_bfe_u32 v21, v11, 16, 1
	v_or_b32_e32 v22, 0x400000, v11
	v_cmp_u_f32_e64 s4, v11, v11
	v_add3_u32 v21, v21, v11, 0x7fff
	v_cndmask_b32_e64 v11, v21, v22, s4
	v_or_b32_e32 v21, 0x400000, v10
	v_cmp_u_f32_e64 s4, v10, v10
	v_lshrrev_b32_e32 v77, 16, v11
	v_bfe_u32 v11, v10, 16, 1
	v_add3_u32 v11, v11, v10, 0x7fff
	v_cndmask_b32_e64 v10, v11, v21, s4
	v_lshrrev_b32_e32 v79, 16, v10
	v_mul_f32_e32 v10, v64, v78
	v_bfe_u32 v11, v10, 16, 1
	v_or_b32_e32 v21, 0x400000, v10
	v_cmp_u_f32_e64 s4, v10, v10
	v_add3_u32 v11, v11, v10, 0x7fff
	v_cndmask_b32_e64 v10, v11, v21, s4
	v_lshrrev_b32_e32 v78, 16, v10
	v_mul_f32_e32 v10, v64, v88
	v_bfe_u32 v11, v10, 16, 1
	v_or_b32_e32 v21, 0x400000, v10
	v_cmp_u_f32_e64 s4, v10, v10
	v_add3_u32 v11, v11, v10, 0x7fff
	v_cndmask_b32_e64 v10, v11, v21, s4
	v_lshrrev_b32_e32 v88, 16, v10
	s_and_saveexec_b32 s15, vcc_lo
	s_cbranch_execz .LBB368_2042
; %bb.2041:                             ;   in Loop: Header=BB368_1052 Depth=1
	buffer_load_dword v10, off, s[0:3], s32 offset:192 ; 4-byte Folded Reload
	s_waitcnt vmcnt(0)
	v_cmp_lt_i32_e64 s4, v57, v10
	v_cndmask_b32_e64 v79, 0, v79, s4
	v_cmp_lt_i32_e64 s4, v63, v10
	v_cndmask_b32_e64 v77, 0, v77, s4
	;; [unrolled: 2-line block ×8, first 2 shown]
.LBB368_2042:                           ;   in Loop: Header=BB368_1052 Depth=1
	s_or_b32 exec_lo, exec_lo, s15
	flat_load_dwordx2 v[19:20], v[19:20] offset:1792
	v_mov_b32_e32 v23, 0
	v_mov_b32_e32 v24, 0
	s_waitcnt vmcnt(0) lgkmcnt(0)
	v_cmp_ne_u16_sdwa s4, v19, v12 src0_sel:BYTE_0 src1_sel:DWORD
	s_and_saveexec_b32 s15, s4
	s_cbranch_execz .LBB368_2050
; %bb.2043:                             ;   in Loop: Header=BB368_1052 Depth=1
	v_cmp_ne_u16_sdwa s4, v19, v67 src0_sel:BYTE_0 src1_sel:DWORD
	v_bfrev_b32_e32 v24, 1
	s_and_saveexec_b32 s18, s4
	s_cbranch_execz .LBB368_2049
; %bb.2044:                             ;   in Loop: Header=BB368_1052 Depth=1
	v_and_b32_e32 v10, 0x7f, v19
	v_mov_b32_e32 v24, 0x7f800001
	s_mov_b32 s19, exec_lo
	v_cmpx_ne_u32_e32 0x7f, v10
	s_cbranch_execz .LBB368_2048
; %bb.2045:                             ;   in Loop: Header=BB368_1052 Depth=1
	v_lshrrev_b32_e32 v21, 3, v10
	v_cmp_gt_u32_e64 s4, 8, v10
	v_mov_b32_e32 v10, v19
	v_mov_b32_e32 v11, v20
	s_and_saveexec_b32 s20, s4
; %bb.2046:                             ;   in Loop: Header=BB368_1052 Depth=1
	v_and_b32_e32 v10, 7, v19
	v_ffbh_u32_e32 v10, v10
	v_min_u32_e32 v21, 32, v10
	v_subrev_nc_u32_e32 v10, 28, v21
	v_sub_nc_u32_e32 v21, 29, v21
	v_lshlrev_b64 v[10:11], v10, v[19:20]
; %bb.2047:                             ;   in Loop: Header=BB368_1052 Depth=1
	s_or_b32 exec_lo, exec_lo, s20
	v_lshlrev_b32_e32 v10, 20, v10
	v_lshlrev_b32_e32 v11, 24, v19
	v_lshl_add_u32 v21, v21, 23, 0x3c000000
	v_and_b32_e32 v10, 0x700000, v10
	v_and_b32_e32 v11, 0x80000000, v11
	v_or3_b32 v24, v10, v11, v21
.LBB368_2048:                           ;   in Loop: Header=BB368_1052 Depth=1
	s_or_b32 exec_lo, exec_lo, s19
.LBB368_2049:                           ;   in Loop: Header=BB368_1052 Depth=1
	s_or_b32 exec_lo, exec_lo, s18
.LBB368_2050:                           ;   in Loop: Header=BB368_1052 Depth=1
	s_or_b32 exec_lo, exec_lo, s15
	v_cmp_ne_u16_sdwa s4, v19, v12 src0_sel:BYTE_1 src1_sel:DWORD
	s_and_saveexec_b32 s15, s4
	s_cbranch_execz .LBB368_2058
; %bb.2051:                             ;   in Loop: Header=BB368_1052 Depth=1
	v_cmp_ne_u16_sdwa s4, v19, v67 src0_sel:BYTE_1 src1_sel:DWORD
	v_bfrev_b32_e32 v23, 1
	s_and_saveexec_b32 s18, s4
	s_cbranch_execz .LBB368_2057
; %bb.2052:                             ;   in Loop: Header=BB368_1052 Depth=1
	v_and_b32_sdwa v10, v94, v19 dst_sel:DWORD dst_unused:UNUSED_PAD src0_sel:DWORD src1_sel:BYTE_1
	v_mov_b32_e32 v23, 0x7f800001
	s_mov_b32 s19, exec_lo
	v_and_b32_e32 v89, 0x7f, v10
	v_cmpx_ne_u32_e32 0x7f, v89
	s_cbranch_execz .LBB368_2056
; %bb.2053:                             ;   in Loop: Header=BB368_1052 Depth=1
	v_and_b32_e32 v11, 7, v10
	v_mov_b32_e32 v22, v12
	v_lshrrev_b32_e32 v10, 3, v89
	s_mov_b32 s20, exec_lo
	v_mov_b32_e32 v21, v11
	v_cmpx_gt_u32_e32 8, v89
; %bb.2054:                             ;   in Loop: Header=BB368_1052 Depth=1
	v_ffbh_u32_e32 v10, v11
	v_min_u32_e32 v10, 32, v10
	v_subrev_nc_u32_e32 v21, 28, v10
	v_sub_nc_u32_e32 v10, 29, v10
	v_lshlrev_b64 v[21:22], v21, v[11:12]
	v_and_b32_e32 v21, 7, v21
; %bb.2055:                             ;   in Loop: Header=BB368_1052 Depth=1
	s_or_b32 exec_lo, exec_lo, s20
	v_lshlrev_b32_e32 v11, 16, v19
	v_lshlrev_b32_e32 v21, 20, v21
	v_lshl_add_u32 v10, v10, 23, 0x3c000000
	v_and_b32_e32 v11, 0x80000000, v11
	v_or3_b32 v23, v21, v11, v10
.LBB368_2056:                           ;   in Loop: Header=BB368_1052 Depth=1
	s_or_b32 exec_lo, exec_lo, s19
.LBB368_2057:                           ;   in Loop: Header=BB368_1052 Depth=1
	s_or_b32 exec_lo, exec_lo, s18
.LBB368_2058:                           ;   in Loop: Header=BB368_1052 Depth=1
	s_or_b32 exec_lo, exec_lo, s15
	v_and_b32_sdwa v10, v19, v69 dst_sel:DWORD dst_unused:UNUSED_PAD src0_sel:WORD_1 src1_sel:DWORD
	v_mov_b32_e32 v90, 0
	v_mov_b32_e32 v89, 0
	s_mov_b32 s15, exec_lo
	v_cmpx_ne_u16_e32 0, v10
	s_cbranch_execz .LBB368_2066
; %bb.2059:                             ;   in Loop: Header=BB368_1052 Depth=1
	v_bfrev_b32_e32 v89, 1
	s_mov_b32 s18, exec_lo
	v_cmpx_ne_u16_e32 0x80, v10
	s_cbranch_execz .LBB368_2065
; %bb.2060:                             ;   in Loop: Header=BB368_1052 Depth=1
	v_bfe_u32 v91, v19, 16, 7
	v_mov_b32_e32 v89, 0x7f800001
	s_mov_b32 s19, exec_lo
	v_cmpx_ne_u32_e32 0x7f, v91
	s_cbranch_execz .LBB368_2064
; %bb.2061:                             ;   in Loop: Header=BB368_1052 Depth=1
	v_mov_b32_e32 v10, 7
	s_mov_b32 s20, exec_lo
	v_and_b32_sdwa v11, v19, v10 dst_sel:DWORD dst_unused:UNUSED_PAD src0_sel:WORD_1 src1_sel:DWORD
	v_mov_b32_e32 v22, v12
	v_lshrrev_b32_e32 v10, 3, v91
	v_mov_b32_e32 v21, v11
	v_cmpx_gt_u32_e32 8, v91
; %bb.2062:                             ;   in Loop: Header=BB368_1052 Depth=1
	v_ffbh_u32_e32 v10, v11
	v_min_u32_e32 v10, 32, v10
	v_subrev_nc_u32_e32 v21, 28, v10
	v_sub_nc_u32_e32 v10, 29, v10
	v_lshlrev_b64 v[21:22], v21, v[11:12]
	v_and_b32_e32 v21, 7, v21
; %bb.2063:                             ;   in Loop: Header=BB368_1052 Depth=1
	s_or_b32 exec_lo, exec_lo, s20
	v_mov_b32_e32 v11, 24
	v_lshlrev_b32_e32 v21, 20, v21
	v_lshl_add_u32 v10, v10, 23, 0x3c000000
	v_lshlrev_b32_sdwa v11, v11, v19 dst_sel:DWORD dst_unused:UNUSED_PAD src0_sel:DWORD src1_sel:WORD_1
	v_and_b32_e32 v11, 0x80000000, v11
	v_or3_b32 v89, v21, v11, v10
.LBB368_2064:                           ;   in Loop: Header=BB368_1052 Depth=1
	s_or_b32 exec_lo, exec_lo, s19
.LBB368_2065:                           ;   in Loop: Header=BB368_1052 Depth=1
	s_or_b32 exec_lo, exec_lo, s18
.LBB368_2066:                           ;   in Loop: Header=BB368_1052 Depth=1
	s_or_b32 exec_lo, exec_lo, s15
	s_mov_b32 s15, exec_lo
	v_cmpx_lt_u32_e32 0xffffff, v19
	s_cbranch_execz .LBB368_2074
; %bb.2067:                             ;   in Loop: Header=BB368_1052 Depth=1
	v_cmp_ne_u32_sdwa s4, v19, v67 src0_sel:BYTE_3 src1_sel:DWORD
	v_bfrev_b32_e32 v90, 1
	s_and_saveexec_b32 s18, s4
	s_cbranch_execz .LBB368_2073
; %bb.2068:                             ;   in Loop: Header=BB368_1052 Depth=1
	v_bfe_u32 v91, v19, 24, 7
	v_mov_b32_e32 v90, 0x7f800001
	s_mov_b32 s19, exec_lo
	v_cmpx_ne_u32_e32 0x7f, v91
	s_cbranch_execz .LBB368_2072
; %bb.2069:                             ;   in Loop: Header=BB368_1052 Depth=1
	v_mov_b32_e32 v10, 7
	s_mov_b32 s20, exec_lo
	v_and_b32_sdwa v11, v19, v10 dst_sel:DWORD dst_unused:UNUSED_PAD src0_sel:BYTE_3 src1_sel:DWORD
	v_mov_b32_e32 v22, v12
	v_lshrrev_b32_e32 v10, 3, v91
	v_mov_b32_e32 v21, v11
	v_cmpx_gt_u32_e32 8, v91
; %bb.2070:                             ;   in Loop: Header=BB368_1052 Depth=1
	v_ffbh_u32_e32 v10, v11
	v_min_u32_e32 v10, 32, v10
	v_subrev_nc_u32_e32 v21, 28, v10
	v_sub_nc_u32_e32 v10, 29, v10
	v_lshlrev_b64 v[21:22], v21, v[11:12]
	v_and_b32_e32 v21, 7, v21
; %bb.2071:                             ;   in Loop: Header=BB368_1052 Depth=1
	s_or_b32 exec_lo, exec_lo, s20
	v_mov_b32_e32 v11, 24
	v_lshlrev_b32_e32 v21, 20, v21
	v_lshl_add_u32 v10, v10, 23, 0x3c000000
	v_lshlrev_b32_sdwa v11, v11, v19 dst_sel:DWORD dst_unused:UNUSED_PAD src0_sel:DWORD src1_sel:BYTE_3
	v_and_b32_e32 v11, 0x80000000, v11
	v_or3_b32 v90, v21, v11, v10
.LBB368_2072:                           ;   in Loop: Header=BB368_1052 Depth=1
	s_or_b32 exec_lo, exec_lo, s19
.LBB368_2073:                           ;   in Loop: Header=BB368_1052 Depth=1
	s_or_b32 exec_lo, exec_lo, s18
.LBB368_2074:                           ;   in Loop: Header=BB368_1052 Depth=1
	s_or_b32 exec_lo, exec_lo, s15
	v_mov_b32_e32 v11, v20
	v_cmp_ne_u16_sdwa s4, v20, v12 src0_sel:BYTE_0 src1_sel:DWORD
	v_mov_b32_e32 v10, 0
	v_mov_b32_e32 v93, 0
	s_and_saveexec_b32 s15, s4
	s_cbranch_execz .LBB368_2082
; %bb.2075:                             ;   in Loop: Header=BB368_1052 Depth=1
	v_cmp_ne_u16_sdwa s4, v20, v67 src0_sel:BYTE_0 src1_sel:DWORD
	v_bfrev_b32_e32 v93, 1
	s_and_saveexec_b32 s18, s4
	s_cbranch_execz .LBB368_2081
; %bb.2076:                             ;   in Loop: Header=BB368_1052 Depth=1
	v_and_b32_e32 v91, 0x7f, v20
	v_mov_b32_e32 v93, 0x7f800001
	s_mov_b32 s19, exec_lo
	v_cmpx_ne_u32_e32 0x7f, v91
	s_cbranch_execz .LBB368_2080
; %bb.2077:                             ;   in Loop: Header=BB368_1052 Depth=1
	v_mov_b32_e32 v22, v12
	v_mov_b32_e32 v21, v11
	v_lshrrev_b32_e32 v22, 3, v91
	s_mov_b32 s20, exec_lo
	v_cmpx_gt_u32_e32 8, v91
; %bb.2078:                             ;   in Loop: Header=BB368_1052 Depth=1
	v_and_b32_e32 v21, 7, v20
	v_ffbh_u32_e32 v21, v21
	v_min_u32_e32 v99, 32, v21
	v_subrev_nc_u32_e32 v21, 28, v99
	v_lshlrev_b64 v[21:22], v21, v[11:12]
	v_sub_nc_u32_e32 v22, 29, v99
; %bb.2079:                             ;   in Loop: Header=BB368_1052 Depth=1
	s_or_b32 exec_lo, exec_lo, s20
	v_lshlrev_b32_e32 v21, 20, v21
	v_lshlrev_b32_e32 v99, 24, v11
	v_lshl_add_u32 v22, v22, 23, 0x3c000000
	v_and_b32_e32 v21, 0x700000, v21
	v_and_b32_e32 v99, 0x80000000, v99
	v_or3_b32 v93, v21, v99, v22
.LBB368_2080:                           ;   in Loop: Header=BB368_1052 Depth=1
	s_or_b32 exec_lo, exec_lo, s19
.LBB368_2081:                           ;   in Loop: Header=BB368_1052 Depth=1
	s_or_b32 exec_lo, exec_lo, s18
.LBB368_2082:                           ;   in Loop: Header=BB368_1052 Depth=1
	s_or_b32 exec_lo, exec_lo, s15
	v_cmp_ne_u16_sdwa s4, v11, v12 src0_sel:BYTE_1 src1_sel:DWORD
	s_and_saveexec_b32 s15, s4
	s_cbranch_execz .LBB368_2090
; %bb.2083:                             ;   in Loop: Header=BB368_1052 Depth=1
	v_cmp_ne_u16_sdwa s4, v11, v67 src0_sel:BYTE_1 src1_sel:DWORD
	v_bfrev_b32_e32 v10, 1
	s_and_saveexec_b32 s18, s4
	s_cbranch_execz .LBB368_2089
; %bb.2084:                             ;   in Loop: Header=BB368_1052 Depth=1
	v_and_b32_sdwa v21, v94, v11 dst_sel:DWORD dst_unused:UNUSED_PAD src0_sel:DWORD src1_sel:BYTE_1
	v_mov_b32_e32 v10, 0x7f800001
	s_mov_b32 s19, exec_lo
	v_and_b32_e32 v91, 0x7f, v21
	v_cmpx_ne_u32_e32 0x7f, v91
	s_cbranch_execz .LBB368_2088
; %bb.2085:                             ;   in Loop: Header=BB368_1052 Depth=1
	v_and_b32_e32 v21, 7, v21
	v_mov_b32_e32 v22, v12
	v_lshrrev_b32_e32 v10, 3, v91
	s_mov_b32 s20, exec_lo
	v_cmpx_gt_u32_e32 8, v91
; %bb.2086:                             ;   in Loop: Header=BB368_1052 Depth=1
	v_ffbh_u32_e32 v10, v21
	v_min_u32_e32 v10, 32, v10
	v_subrev_nc_u32_e32 v99, 28, v10
	v_sub_nc_u32_e32 v10, 29, v10
	v_lshlrev_b64 v[21:22], v99, v[21:22]
	v_and_b32_e32 v21, 7, v21
; %bb.2087:                             ;   in Loop: Header=BB368_1052 Depth=1
	s_or_b32 exec_lo, exec_lo, s20
	v_lshlrev_b32_e32 v11, 16, v11
	v_lshlrev_b32_e32 v21, 20, v21
	v_lshl_add_u32 v10, v10, 23, 0x3c000000
	v_and_b32_e32 v11, 0x80000000, v11
	v_or3_b32 v10, v21, v11, v10
.LBB368_2088:                           ;   in Loop: Header=BB368_1052 Depth=1
	s_or_b32 exec_lo, exec_lo, s19
.LBB368_2089:                           ;   in Loop: Header=BB368_1052 Depth=1
	s_or_b32 exec_lo, exec_lo, s18
.LBB368_2090:                           ;   in Loop: Header=BB368_1052 Depth=1
	s_or_b32 exec_lo, exec_lo, s15
	v_and_b32_sdwa v11, v20, v69 dst_sel:DWORD dst_unused:UNUSED_PAD src0_sel:WORD_1 src1_sel:DWORD
	v_mov_b32_e32 v91, 0
	v_mov_b32_e32 v92, 0
	s_mov_b32 s15, exec_lo
	v_cmpx_ne_u16_e32 0, v11
	s_cbranch_execz .LBB368_2098
; %bb.2091:                             ;   in Loop: Header=BB368_1052 Depth=1
	v_bfrev_b32_e32 v92, 1
	s_mov_b32 s18, exec_lo
	v_cmpx_ne_u16_e32 0x80, v11
	s_cbranch_execz .LBB368_2097
; %bb.2092:                             ;   in Loop: Header=BB368_1052 Depth=1
	v_bfe_u32 v94, v20, 16, 7
	v_mov_b32_e32 v92, 0x7f800001
	s_mov_b32 s19, exec_lo
	v_cmpx_ne_u32_e32 0x7f, v94
	s_cbranch_execz .LBB368_2096
; %bb.2093:                             ;   in Loop: Header=BB368_1052 Depth=1
	v_mov_b32_e32 v11, 7
	s_mov_b32 s20, exec_lo
	v_and_b32_sdwa v11, v20, v11 dst_sel:DWORD dst_unused:UNUSED_PAD src0_sel:WORD_1 src1_sel:DWORD
	v_mov_b32_e32 v22, v12
	v_lshrrev_b32_e32 v22, 3, v94
	v_mov_b32_e32 v21, v11
	v_cmpx_gt_u32_e32 8, v94
; %bb.2094:                             ;   in Loop: Header=BB368_1052 Depth=1
	v_ffbh_u32_e32 v21, v11
	v_min_u32_e32 v99, 32, v21
	v_subrev_nc_u32_e32 v21, 28, v99
	v_lshlrev_b64 v[21:22], v21, v[11:12]
	v_sub_nc_u32_e32 v22, 29, v99
	v_and_b32_e32 v21, 7, v21
; %bb.2095:                             ;   in Loop: Header=BB368_1052 Depth=1
	s_or_b32 exec_lo, exec_lo, s20
	v_mov_b32_e32 v11, 24
	v_lshlrev_b32_e32 v21, 20, v21
	v_lshl_add_u32 v22, v22, 23, 0x3c000000
	v_lshlrev_b32_sdwa v11, v11, v20 dst_sel:DWORD dst_unused:UNUSED_PAD src0_sel:DWORD src1_sel:WORD_1
	v_and_b32_e32 v11, 0x80000000, v11
	v_or3_b32 v92, v21, v11, v22
.LBB368_2096:                           ;   in Loop: Header=BB368_1052 Depth=1
	s_or_b32 exec_lo, exec_lo, s19
	v_mov_b32_e32 v94, 0xffff
.LBB368_2097:                           ;   in Loop: Header=BB368_1052 Depth=1
	s_or_b32 exec_lo, exec_lo, s18
.LBB368_2098:                           ;   in Loop: Header=BB368_1052 Depth=1
	s_or_b32 exec_lo, exec_lo, s15
	s_mov_b32 s15, exec_lo
	v_cmpx_lt_u64_e64 s[6:7], v[19:20]
	s_cbranch_execz .LBB368_2106
; %bb.2099:                             ;   in Loop: Header=BB368_1052 Depth=1
	v_cmp_ne_u32_sdwa s4, v20, v67 src0_sel:BYTE_3 src1_sel:DWORD
	v_bfrev_b32_e32 v91, 1
	s_and_saveexec_b32 s18, s4
	s_cbranch_execz .LBB368_2105
; %bb.2100:                             ;   in Loop: Header=BB368_1052 Depth=1
	v_bfe_u32 v94, v20, 24, 7
	v_mov_b32_e32 v91, 0x7f800001
	s_mov_b32 s19, exec_lo
	v_cmpx_ne_u32_e32 0x7f, v94
	s_cbranch_execz .LBB368_2104
; %bb.2101:                             ;   in Loop: Header=BB368_1052 Depth=1
	v_mov_b32_e32 v11, 7
	v_lshrrev_b32_e32 v19, 3, v94
	s_mov_b32 s20, exec_lo
	v_and_b32_sdwa v11, v20, v11 dst_sel:DWORD dst_unused:UNUSED_PAD src0_sel:BYTE_3 src1_sel:DWORD
	v_mov_b32_e32 v22, v12
	v_mov_b32_e32 v21, v11
	v_cmpx_gt_u32_e32 8, v94
; %bb.2102:                             ;   in Loop: Header=BB368_1052 Depth=1
	v_ffbh_u32_e32 v19, v11
	v_min_u32_e32 v19, 32, v19
	v_subrev_nc_u32_e32 v21, 28, v19
	v_sub_nc_u32_e32 v19, 29, v19
	v_lshlrev_b64 v[21:22], v21, v[11:12]
	v_and_b32_e32 v21, 7, v21
; %bb.2103:                             ;   in Loop: Header=BB368_1052 Depth=1
	s_or_b32 exec_lo, exec_lo, s20
	v_mov_b32_e32 v11, 24
	v_lshl_add_u32 v19, v19, 23, 0x3c000000
	v_lshlrev_b32_sdwa v11, v11, v20 dst_sel:DWORD dst_unused:UNUSED_PAD src0_sel:DWORD src1_sel:BYTE_3
	v_lshlrev_b32_e32 v20, 20, v21
	v_and_b32_e32 v11, 0x80000000, v11
	v_or3_b32 v91, v20, v11, v19
.LBB368_2104:                           ;   in Loop: Header=BB368_1052 Depth=1
	s_or_b32 exec_lo, exec_lo, s19
	v_mov_b32_e32 v94, 0xffff
.LBB368_2105:                           ;   in Loop: Header=BB368_1052 Depth=1
	s_or_b32 exec_lo, exec_lo, s18
.LBB368_2106:                           ;   in Loop: Header=BB368_1052 Depth=1
	s_or_b32 exec_lo, exec_lo, s15
	v_mul_f32_e32 v10, v64, v10
	v_bfe_u32 v11, v10, 16, 1
	v_or_b32_e32 v19, 0x400000, v10
	v_cmp_u_f32_e64 s4, v10, v10
	v_add3_u32 v11, v11, v10, 0x7fff
	v_cndmask_b32_e64 v10, v11, v19, s4
	v_mul_f32_e32 v11, v64, v93
	v_lshrrev_b32_e32 v10, 16, v10
	v_bfe_u32 v19, v11, 16, 1
	v_or_b32_e32 v20, 0x400000, v11
	v_cmp_u_f32_e64 s4, v11, v11
	v_add3_u32 v19, v19, v11, 0x7fff
	v_cndmask_b32_e64 v11, v19, v20, s4
	v_mul_f32_e32 v19, v64, v90
	v_lshrrev_b32_e32 v11, 16, v11
	;; [unrolled: 7-line block ×3, first 2 shown]
	v_bfe_u32 v21, v20, 16, 1
	v_or_b32_e32 v22, 0x400000, v20
	v_cmp_u_f32_e64 s4, v20, v20
	v_add3_u32 v21, v21, v20, 0x7fff
	v_cndmask_b32_e64 v20, v21, v22, s4
	v_lshrrev_b32_e32 v21, 16, v20
	v_mul_f32_e32 v20, v64, v23
	v_bfe_u32 v22, v20, 16, 1
	v_or_b32_e32 v23, 0x400000, v20
	v_cmp_u_f32_e64 s4, v20, v20
	v_add3_u32 v22, v22, v20, 0x7fff
	v_cndmask_b32_e64 v20, v22, v23, s4
	v_lshrrev_b32_e32 v23, 16, v20
	v_mul_f32_e32 v20, v64, v24
	;; [unrolled: 7-line block ×3, first 2 shown]
	v_bfe_u32 v22, v20, 16, 1
	v_or_b32_e32 v99, 0x400000, v20
	v_cmp_u_f32_e64 s4, v20, v20
	v_add3_u32 v22, v22, v20, 0x7fff
	v_cndmask_b32_e64 v20, v22, v99, s4
	v_mul_f32_e32 v22, v64, v91
	v_lshrrev_b32_e32 v20, 16, v20
	v_bfe_u32 v99, v22, 16, 1
	v_or_b32_e32 v89, 0x400000, v22
	v_cmp_u_f32_e64 s4, v22, v22
	v_add3_u32 v99, v99, v22, 0x7fff
	v_cndmask_b32_e64 v22, v99, v89, s4
	v_lshrrev_b32_e32 v22, 16, v22
	s_and_saveexec_b32 s4, vcc_lo
	s_cbranch_execz .LBB368_1051
; %bb.2107:                             ;   in Loop: Header=BB368_1052 Depth=1
	buffer_load_dword v99, off, s[0:3], s32 offset:192 ; 4-byte Folded Reload
	s_waitcnt vmcnt(0)
	v_cmp_lt_i32_e32 vcc_lo, v57, v99
	v_cndmask_b32_e32 v24, 0, v24, vcc_lo
	v_cmp_lt_i32_e32 vcc_lo, v63, v99
	v_cndmask_b32_e32 v23, 0, v23, vcc_lo
	;; [unrolled: 2-line block ×8, first 2 shown]
	s_branch .LBB368_1051
.LBB368_2108:
	s_or_b32 exec_lo, exec_lo, s9
	s_clause 0x2
	buffer_load_dword v18, off, s[0:3], s32 offset:408
	buffer_load_dword v15, off, s[0:3], s32 offset:412
	;; [unrolled: 1-line block ×3, first 2 shown]
	v_mov_b32_e32 v4, s16
	v_mov_b32_e32 v5, s17
.LBB368_2109:
	s_or_b32 exec_lo, exec_lo, s5
	s_waitcnt vmcnt(1)
	ds_bpermute_b32 v12, v15, v35
	s_waitcnt vmcnt(0) lgkmcnt(0)
	s_waitcnt_vscnt null, 0x0
	s_barrier
	buffer_gl0_inv
	v_lshlrev_b64 v[0:1], 2, v[4:5]
	s_getpc_b64 s[4:5]
	s_add_u32 s4, s4, llvm.amdgcn.dynlds.offset.table@rel32@lo+4
	s_addc_u32 s5, s5, llvm.amdgcn.dynlds.offset.table@rel32@hi+12
	ds_bpermute_b32 v2, v15, v54
	ds_bpermute_b32 v3, v15, v53
	;; [unrolled: 1-line block ×4, first 2 shown]
	v_add_co_u32 v0, vcc_lo, s4, v0
	v_add_co_ci_u32_e64 v1, null, s5, v1, vcc_lo
	ds_bpermute_b32 v6, v15, v49
	ds_bpermute_b32 v7, v15, v48
	;; [unrolled: 1-line block ×3, first 2 shown]
	global_load_dword v16, v[0:1], off
	ds_bpermute_b32 v0, v15, v52
	ds_bpermute_b32 v1, v15, v55
	v_add_f32_e32 v23, v35, v12
	buffer_load_dword v12, off, s[0:3], s32 offset:848 ; 4-byte Folded Reload
	ds_bpermute_b32 v9, v15, v38
	ds_bpermute_b32 v10, v15, v37
	;; [unrolled: 1-line block ×6, first 2 shown]
	s_waitcnt lgkmcnt(14)
	v_add_f32_e32 v2, v54, v2
	s_waitcnt lgkmcnt(13)
	v_add_f32_e32 v3, v53, v3
	;; [unrolled: 2-line block ×4, first 2 shown]
	ds_bpermute_b32 v35, v18, v23
	s_mov_b32 s4, exec_lo
	s_waitcnt lgkmcnt(11)
	v_add_f32_e32 v6, v49, v6
	s_waitcnt lgkmcnt(10)
	v_add_f32_e32 v7, v48, v7
	;; [unrolled: 2-line block ×3, first 2 shown]
	ds_bpermute_b32 v28, v18, v5
	s_waitcnt lgkmcnt(9)
	v_add_f32_e32 v0, v52, v0
	s_waitcnt lgkmcnt(8)
	v_add_f32_e32 v1, v55, v1
	ds_bpermute_b32 v29, v18, v6
	ds_bpermute_b32 v30, v18, v7
	s_waitcnt lgkmcnt(9)
	v_add_f32_e32 v20, v38, v9
	s_waitcnt lgkmcnt(8)
	v_add_f32_e32 v21, v37, v10
	;; [unrolled: 2-line block ×6, first 2 shown]
	ds_bpermute_b32 v8, v18, v0
	ds_bpermute_b32 v9, v18, v1
	;; [unrolled: 1-line block ×12, first 2 shown]
	s_waitcnt lgkmcnt(11)
	v_add_f32_e32 v15, v0, v8
	s_waitcnt lgkmcnt(10)
	v_add_f32_e32 v14, v1, v9
	;; [unrolled: 2-line block ×3, first 2 shown]
	v_add_f32_e32 v10, v5, v28
	v_add_f32_e32 v9, v6, v29
	v_add_f32_e32 v8, v7, v30
	s_waitcnt lgkmcnt(6)
	v_add_f32_e32 v7, v17, v31
	s_waitcnt lgkmcnt(5)
	v_add_f32_e32 v6, v20, v32
	;; [unrolled: 2-line block ×6, first 2 shown]
	s_waitcnt vmcnt(0)
	v_lshrrev_b32_e32 v18, 2, v12
	v_and_b32_e32 v39, 28, v12
	buffer_load_dword v12, off, s[0:3], s32 offset:852 ; 4-byte Folded Reload
	v_add_nc_u32_e32 v17, v16, v39
	s_waitcnt vmcnt(0)
	v_lshlrev_b32_e32 v19, 9, v12
	buffer_load_dword v12, off, s[0:3], s32 offset:844 ; 4-byte Folded Reload
	s_waitcnt vmcnt(0)
	v_and_b32_e32 v48, 0x3c3, v12
	v_add_f32_e32 v12, v3, v11
	v_add_f32_e32 v11, v4, v27
	v_add_f32_e32 v4, v22, v34
	v_add_f32_e32 v3, v23, v35
	v_cmpx_eq_u32_e32 64, v48
	s_cbranch_execz .LBB368_2111
; %bb.2110:
	v_add_nc_u32_e32 v20, v17, v19
	v_add_nc_u32_e32 v21, 0xfffffc00, v20
	;; [unrolled: 1-line block ×7, first 2 shown]
	ds_write_b32 v21, v15
	ds_write_b32 v22, v14
	;; [unrolled: 1-line block ×6, first 2 shown]
	v_add_nc_u32_e32 v21, 0xfffffcc0, v20
	v_add_nc_u32_e32 v22, 0xfffffce0, v20
	;; [unrolled: 1-line block ×5, first 2 shown]
	ds_write_b32 v21, v9
	ds_write_b32 v22, v8
	;; [unrolled: 1-line block ×5, first 2 shown]
	v_add_nc_u32_e32 v21, 0xfffffd60, v20
	v_add_nc_u32_e32 v22, 0xfffffd80, v20
	;; [unrolled: 1-line block ×5, first 2 shown]
	ds_write_b32 v21, v4
	ds_write_b32 v22, v3
	;; [unrolled: 1-line block ×5, first 2 shown]
.LBB368_2111:
	s_or_b32 exec_lo, exec_lo, s4
	v_lshlrev_b32_e32 v18, 2, v18
	s_mov_b32 s5, exec_lo
	v_cmp_eq_u32_e32 vcc_lo, 0, v65
	v_add3_u32 v16, v16, v19, v18
	buffer_load_dword v18, off, s[0:3], s32 offset:844 ; 4-byte Folded Reload
	s_waitcnt vmcnt(0) lgkmcnt(0)
	s_barrier
	buffer_gl0_inv
	v_cmpx_gt_u32_e32 64, v18
	s_cbranch_execz .LBB368_2130
; %bb.2112:
	s_and_saveexec_b32 s4, vcc_lo
	s_cbranch_execnz .LBB368_2154
; %bb.2113:
	s_or_b32 exec_lo, exec_lo, s4
	s_and_saveexec_b32 s4, vcc_lo
	s_cbranch_execnz .LBB368_2155
.LBB368_2114:
	s_or_b32 exec_lo, exec_lo, s4
	s_and_saveexec_b32 s4, vcc_lo
	s_cbranch_execnz .LBB368_2156
.LBB368_2115:
	s_or_b32 exec_lo, exec_lo, s4
	s_and_saveexec_b32 s4, vcc_lo
	s_cbranch_execnz .LBB368_2157
.LBB368_2116:
	s_or_b32 exec_lo, exec_lo, s4
	s_and_saveexec_b32 s4, vcc_lo
	s_cbranch_execnz .LBB368_2158
.LBB368_2117:
	s_or_b32 exec_lo, exec_lo, s4
	s_and_saveexec_b32 s4, vcc_lo
	s_cbranch_execnz .LBB368_2159
.LBB368_2118:
	s_or_b32 exec_lo, exec_lo, s4
	s_and_saveexec_b32 s4, vcc_lo
	s_cbranch_execnz .LBB368_2160
.LBB368_2119:
	s_or_b32 exec_lo, exec_lo, s4
	s_and_saveexec_b32 s4, vcc_lo
	s_cbranch_execnz .LBB368_2161
.LBB368_2120:
	s_or_b32 exec_lo, exec_lo, s4
	s_and_saveexec_b32 s4, vcc_lo
	s_cbranch_execnz .LBB368_2162
.LBB368_2121:
	s_or_b32 exec_lo, exec_lo, s4
	s_and_saveexec_b32 s4, vcc_lo
	s_cbranch_execnz .LBB368_2163
.LBB368_2122:
	s_or_b32 exec_lo, exec_lo, s4
	s_and_saveexec_b32 s4, vcc_lo
	s_cbranch_execnz .LBB368_2164
.LBB368_2123:
	s_or_b32 exec_lo, exec_lo, s4
	s_and_saveexec_b32 s4, vcc_lo
	s_cbranch_execnz .LBB368_2165
.LBB368_2124:
	s_or_b32 exec_lo, exec_lo, s4
	s_and_saveexec_b32 s4, vcc_lo
	s_cbranch_execnz .LBB368_2166
.LBB368_2125:
	s_or_b32 exec_lo, exec_lo, s4
	s_and_saveexec_b32 s4, vcc_lo
	s_cbranch_execnz .LBB368_2167
.LBB368_2126:
	s_or_b32 exec_lo, exec_lo, s4
	s_and_saveexec_b32 s4, vcc_lo
	s_cbranch_execnz .LBB368_2168
.LBB368_2127:
	s_or_b32 exec_lo, exec_lo, s4
	s_and_saveexec_b32 s4, vcc_lo
	s_cbranch_execz .LBB368_2129
.LBB368_2128:
	ds_read_b32 v18, v16 offset:480
	s_waitcnt lgkmcnt(0)
	v_add_f32_e32 v0, v18, v0
.LBB368_2129:
	s_or_b32 exec_lo, exec_lo, s4
.LBB368_2130:
	s_or_b32 exec_lo, exec_lo, s5
	buffer_load_dword v18, off, s[0:3], s32 offset:844 ; 4-byte Folded Reload
	s_mov_b32 s5, exec_lo
	s_waitcnt vmcnt(0)
	s_barrier
	buffer_gl0_inv
	v_and_b32_e32 v18, 0x3e3, v18
	v_cmpx_eq_u32_e32 32, v18
	s_cbranch_execz .LBB368_2132
; %bb.2131:
	ds_write2_b32 v17, v15, v14 offset1:8
	ds_write2_b32 v17, v13, v12 offset0:16 offset1:24
	ds_write2_b32 v17, v11, v10 offset0:32 offset1:40
	;; [unrolled: 1-line block ×7, first 2 shown]
.LBB368_2132:
	s_or_b32 exec_lo, exec_lo, s5
	buffer_load_dword v17, off, s[0:3], s32 offset:844 ; 4-byte Folded Reload
	s_mov_b32 s5, exec_lo
	s_waitcnt vmcnt(0) lgkmcnt(0)
	s_barrier
	buffer_gl0_inv
	v_cmpx_gt_u32_e32 32, v17
	s_cbranch_execz .LBB368_2151
; %bb.2133:
	s_and_saveexec_b32 s4, vcc_lo
	s_cbranch_execnz .LBB368_2169
; %bb.2134:
	s_or_b32 exec_lo, exec_lo, s4
	s_and_saveexec_b32 s4, vcc_lo
	s_cbranch_execnz .LBB368_2170
.LBB368_2135:
	s_or_b32 exec_lo, exec_lo, s4
	s_and_saveexec_b32 s4, vcc_lo
	s_cbranch_execnz .LBB368_2171
.LBB368_2136:
	s_or_b32 exec_lo, exec_lo, s4
	s_and_saveexec_b32 s4, vcc_lo
	s_cbranch_execnz .LBB368_2172
.LBB368_2137:
	s_or_b32 exec_lo, exec_lo, s4
	s_and_saveexec_b32 s4, vcc_lo
	s_cbranch_execnz .LBB368_2173
.LBB368_2138:
	s_or_b32 exec_lo, exec_lo, s4
	s_and_saveexec_b32 s4, vcc_lo
	s_cbranch_execnz .LBB368_2174
.LBB368_2139:
	s_or_b32 exec_lo, exec_lo, s4
	s_and_saveexec_b32 s4, vcc_lo
	s_cbranch_execnz .LBB368_2175
.LBB368_2140:
	s_or_b32 exec_lo, exec_lo, s4
	s_and_saveexec_b32 s4, vcc_lo
	s_cbranch_execnz .LBB368_2176
.LBB368_2141:
	s_or_b32 exec_lo, exec_lo, s4
	s_and_saveexec_b32 s4, vcc_lo
	s_cbranch_execnz .LBB368_2177
.LBB368_2142:
	s_or_b32 exec_lo, exec_lo, s4
	s_and_saveexec_b32 s4, vcc_lo
	s_cbranch_execnz .LBB368_2178
.LBB368_2143:
	s_or_b32 exec_lo, exec_lo, s4
	s_and_saveexec_b32 s4, vcc_lo
	s_cbranch_execnz .LBB368_2179
.LBB368_2144:
	s_or_b32 exec_lo, exec_lo, s4
	s_and_saveexec_b32 s4, vcc_lo
	s_cbranch_execnz .LBB368_2180
.LBB368_2145:
	s_or_b32 exec_lo, exec_lo, s4
	s_and_saveexec_b32 s4, vcc_lo
	s_cbranch_execnz .LBB368_2181
.LBB368_2146:
	s_or_b32 exec_lo, exec_lo, s4
	s_and_saveexec_b32 s4, vcc_lo
	s_cbranch_execnz .LBB368_2182
.LBB368_2147:
	s_or_b32 exec_lo, exec_lo, s4
	s_and_saveexec_b32 s4, vcc_lo
	s_cbranch_execnz .LBB368_2183
.LBB368_2148:
	s_or_b32 exec_lo, exec_lo, s4
	s_and_saveexec_b32 s4, vcc_lo
	s_cbranch_execz .LBB368_2150
.LBB368_2149:
	ds_read_b32 v16, v16 offset:480
	s_waitcnt lgkmcnt(0)
	v_add_f32_e32 v0, v16, v0
.LBB368_2150:
	s_or_b32 exec_lo, exec_lo, s4
.LBB368_2151:
	s_or_b32 exec_lo, exec_lo, s5
	s_mov_b32 s4, exec_lo
	s_barrier
	buffer_gl0_inv
	v_cmpx_eq_u32_e32 0, v18
	s_cbranch_execz .LBB368_2153
; %bb.2152:
	s_clause 0x2
	buffer_load_dword v19, off, s[0:3], s32 offset:860
	buffer_load_dword v16, off, s[0:3], s32 offset:844
	;; [unrolled: 1-line block ×3, first 2 shown]
	s_and_b32 s5, 0xffff, s8
	v_bfe_u32 v17, v15, 16, 1
	s_cmp_lg_u32 s5, 0
	v_or_b32_e32 v18, 0x400000, v15
	s_cselect_b32 s5, -1, 0
	s_cmp_lg_u32 s5, 0
	v_add3_u32 v21, v17, v15, 0x7fff
	s_addc_u32 s5, s13, 0
	s_lshl_b32 s6, s14, 7
	s_mul_i32 s7, s10, s5
	s_mul_i32 s8, s12, s5
	;; [unrolled: 1-line block ×3, first 2 shown]
	s_ashr_i32 s9, s8, 31
	s_lshl_b32 s10, s7, 7
	s_lshl_b64 s[8:9], s[8:9], 1
	s_ashr_i32 s11, s10, 31
	s_ashr_i32 s7, s6, 31
	s_lshl_b64 s[10:11], s[10:11], 1
	s_lshl_b64 s[6:7], s[6:7], 1
	s_waitcnt vmcnt(2)
	v_add_co_u32 v19, vcc_lo, v19, s10
	s_waitcnt vmcnt(0)
	v_add_co_ci_u32_e64 v20, null, s11, v20, vcc_lo
	v_lshrrev_b32_e32 v16, 1, v16
	v_add_co_u32 v19, vcc_lo, v19, s8
	v_add_co_ci_u32_e64 v20, null, s9, v20, vcc_lo
	v_add_co_u32 v19, vcc_lo, v19, s6
	v_add_co_ci_u32_e64 v20, null, s7, v20, vcc_lo
	;; [unrolled: 2-line block ×3, first 2 shown]
	v_bfe_u32 v19, v14, 16, 1
	v_cmp_u_f32_e32 vcc_lo, v15, v15
	v_or_b32_e32 v20, 0x400000, v14
	v_add3_u32 v19, v19, v14, 0x7fff
	v_cndmask_b32_e32 v15, v21, v18, vcc_lo
	v_bfe_u32 v18, v13, 16, 1
	v_cmp_u_f32_e32 vcc_lo, v14, v14
	flat_store_short_d16_hi v[16:17], v15
	v_add3_u32 v15, v18, v13, 0x7fff
	v_or_b32_e32 v18, 0x400000, v13
	v_cndmask_b32_e32 v14, v19, v20, vcc_lo
	v_bfe_u32 v19, v12, 16, 1
	v_cmp_u_f32_e32 vcc_lo, v13, v13
	flat_store_short_d16_hi v[16:17], v14 offset:16
	v_add3_u32 v14, v19, v12, 0x7fff
	v_cndmask_b32_e32 v13, v15, v18, vcc_lo
	v_bfe_u32 v15, v11, 16, 1
	v_or_b32_e32 v18, 0x400000, v12
	v_cmp_u_f32_e32 vcc_lo, v12, v12
	flat_store_short_d16_hi v[16:17], v13 offset:32
	v_add3_u32 v13, v15, v11, 0x7fff
	v_or_b32_e32 v15, 0x400000, v11
	v_cndmask_b32_e32 v12, v14, v18, vcc_lo
	v_bfe_u32 v14, v10, 16, 1
	v_cmp_u_f32_e32 vcc_lo, v11, v11
	flat_store_short_d16_hi v[16:17], v12 offset:48
	v_add3_u32 v12, v14, v10, 0x7fff
	v_cndmask_b32_e32 v11, v13, v15, vcc_lo
	v_bfe_u32 v13, v9, 16, 1
	v_or_b32_e32 v14, 0x400000, v10
	v_cmp_u_f32_e32 vcc_lo, v10, v10
	flat_store_short_d16_hi v[16:17], v11 offset:64
	;; [unrolled: 12-line block ×4, first 2 shown]
	v_add3_u32 v7, v9, v5, 0x7fff
	v_or_b32_e32 v9, 0x400000, v5
	v_cndmask_b32_e32 v6, v8, v10, vcc_lo
	v_bfe_u32 v8, v4, 16, 1
	v_cmp_u_f32_e32 vcc_lo, v5, v5
	v_or_b32_e32 v10, 0x400000, v0
	flat_store_short_d16_hi v[16:17], v6 offset:144
	v_add3_u32 v6, v8, v4, 0x7fff
	v_cndmask_b32_e32 v5, v7, v9, vcc_lo
	v_bfe_u32 v7, v3, 16, 1
	v_or_b32_e32 v8, 0x400000, v4
	v_cmp_u_f32_e32 vcc_lo, v4, v4
	v_or_b32_e32 v9, 0x400000, v1
	flat_store_short_d16_hi v[16:17], v5 offset:160
	v_add3_u32 v5, v7, v3, 0x7fff
	v_or_b32_e32 v7, 0x400000, v3
	v_cndmask_b32_e32 v4, v6, v8, vcc_lo
	v_bfe_u32 v6, v2, 16, 1
	v_cmp_u_f32_e32 vcc_lo, v3, v3
	v_bfe_u32 v8, v1, 16, 1
	v_add3_u32 v6, v6, v2, 0x7fff
	v_cndmask_b32_e32 v3, v5, v7, vcc_lo
	v_or_b32_e32 v7, 0x400000, v2
	v_cmp_u_f32_e32 vcc_lo, v2, v2
	v_bfe_u32 v5, v0, 16, 1
	v_add3_u32 v8, v8, v1, 0x7fff
	v_cndmask_b32_e32 v2, v6, v7, vcc_lo
	v_cmp_u_f32_e32 vcc_lo, v1, v1
	v_add3_u32 v5, v5, v0, 0x7fff
	v_cndmask_b32_e32 v1, v8, v9, vcc_lo
	v_cmp_u_f32_e32 vcc_lo, v0, v0
	v_cndmask_b32_e32 v0, v5, v10, vcc_lo
	flat_store_short_d16_hi v[16:17], v4 offset:176
	flat_store_short_d16_hi v[16:17], v3 offset:192
	;; [unrolled: 1-line block ×5, first 2 shown]
.LBB368_2153:
	s_or_b32 exec_lo, exec_lo, s4
	s_clause 0x2f
	buffer_load_dword v127, off, s[0:3], s32
	buffer_load_dword v126, off, s[0:3], s32 offset:4
	buffer_load_dword v125, off, s[0:3], s32 offset:8
	;; [unrolled: 1-line block ×47, first 2 shown]
	s_waitcnt vmcnt(0) lgkmcnt(0)
	s_setpc_b64 s[30:31]
.LBB368_2154:
	ds_read_b32 v18, v16
	s_waitcnt lgkmcnt(0)
	v_add_f32_e32 v15, v18, v15
	s_or_b32 exec_lo, exec_lo, s4
	s_and_saveexec_b32 s4, vcc_lo
	s_cbranch_execz .LBB368_2114
.LBB368_2155:
	ds_read_b32 v18, v16 offset:32
	s_waitcnt lgkmcnt(0)
	v_add_f32_e32 v14, v18, v14
	s_or_b32 exec_lo, exec_lo, s4
	s_and_saveexec_b32 s4, vcc_lo
	s_cbranch_execz .LBB368_2115
.LBB368_2156:
	ds_read_b32 v18, v16 offset:64
	s_waitcnt lgkmcnt(0)
	v_add_f32_e32 v13, v18, v13
	s_or_b32 exec_lo, exec_lo, s4
	s_and_saveexec_b32 s4, vcc_lo
	s_cbranch_execz .LBB368_2116
.LBB368_2157:
	ds_read_b32 v18, v16 offset:96
	s_waitcnt lgkmcnt(0)
	v_add_f32_e32 v12, v18, v12
	s_or_b32 exec_lo, exec_lo, s4
	s_and_saveexec_b32 s4, vcc_lo
	s_cbranch_execz .LBB368_2117
.LBB368_2158:
	ds_read_b32 v18, v16 offset:128
	s_waitcnt lgkmcnt(0)
	v_add_f32_e32 v11, v18, v11
	s_or_b32 exec_lo, exec_lo, s4
	s_and_saveexec_b32 s4, vcc_lo
	s_cbranch_execz .LBB368_2118
.LBB368_2159:
	ds_read_b32 v18, v16 offset:160
	s_waitcnt lgkmcnt(0)
	v_add_f32_e32 v10, v18, v10
	s_or_b32 exec_lo, exec_lo, s4
	s_and_saveexec_b32 s4, vcc_lo
	s_cbranch_execz .LBB368_2119
.LBB368_2160:
	ds_read_b32 v18, v16 offset:192
	s_waitcnt lgkmcnt(0)
	v_add_f32_e32 v9, v18, v9
	s_or_b32 exec_lo, exec_lo, s4
	s_and_saveexec_b32 s4, vcc_lo
	s_cbranch_execz .LBB368_2120
.LBB368_2161:
	ds_read_b32 v18, v16 offset:224
	s_waitcnt lgkmcnt(0)
	v_add_f32_e32 v8, v18, v8
	s_or_b32 exec_lo, exec_lo, s4
	s_and_saveexec_b32 s4, vcc_lo
	s_cbranch_execz .LBB368_2121
.LBB368_2162:
	ds_read_b32 v18, v16 offset:256
	s_waitcnt lgkmcnt(0)
	v_add_f32_e32 v7, v18, v7
	s_or_b32 exec_lo, exec_lo, s4
	s_and_saveexec_b32 s4, vcc_lo
	s_cbranch_execz .LBB368_2122
.LBB368_2163:
	ds_read_b32 v18, v16 offset:288
	s_waitcnt lgkmcnt(0)
	v_add_f32_e32 v6, v18, v6
	s_or_b32 exec_lo, exec_lo, s4
	s_and_saveexec_b32 s4, vcc_lo
	s_cbranch_execz .LBB368_2123
.LBB368_2164:
	ds_read_b32 v18, v16 offset:320
	s_waitcnt lgkmcnt(0)
	v_add_f32_e32 v5, v18, v5
	s_or_b32 exec_lo, exec_lo, s4
	s_and_saveexec_b32 s4, vcc_lo
	s_cbranch_execz .LBB368_2124
.LBB368_2165:
	ds_read_b32 v18, v16 offset:352
	s_waitcnt lgkmcnt(0)
	v_add_f32_e32 v4, v18, v4
	s_or_b32 exec_lo, exec_lo, s4
	s_and_saveexec_b32 s4, vcc_lo
	s_cbranch_execz .LBB368_2125
.LBB368_2166:
	ds_read_b32 v18, v16 offset:384
	s_waitcnt lgkmcnt(0)
	v_add_f32_e32 v3, v18, v3
	s_or_b32 exec_lo, exec_lo, s4
	s_and_saveexec_b32 s4, vcc_lo
	s_cbranch_execz .LBB368_2126
.LBB368_2167:
	ds_read_b32 v18, v16 offset:416
	s_waitcnt lgkmcnt(0)
	v_add_f32_e32 v2, v18, v2
	s_or_b32 exec_lo, exec_lo, s4
	s_and_saveexec_b32 s4, vcc_lo
	s_cbranch_execz .LBB368_2127
.LBB368_2168:
	ds_read_b32 v18, v16 offset:448
	s_waitcnt lgkmcnt(0)
	v_add_f32_e32 v1, v18, v1
	s_or_b32 exec_lo, exec_lo, s4
	s_and_saveexec_b32 s4, vcc_lo
	s_cbranch_execnz .LBB368_2128
	s_branch .LBB368_2129
.LBB368_2169:
	ds_read_b32 v17, v16
	s_waitcnt lgkmcnt(0)
	v_add_f32_e32 v15, v17, v15
	s_or_b32 exec_lo, exec_lo, s4
	s_and_saveexec_b32 s4, vcc_lo
	s_cbranch_execz .LBB368_2135
.LBB368_2170:
	ds_read_b32 v17, v16 offset:32
	s_waitcnt lgkmcnt(0)
	v_add_f32_e32 v14, v17, v14
	s_or_b32 exec_lo, exec_lo, s4
	s_and_saveexec_b32 s4, vcc_lo
	s_cbranch_execz .LBB368_2136
.LBB368_2171:
	ds_read_b32 v17, v16 offset:64
	s_waitcnt lgkmcnt(0)
	v_add_f32_e32 v13, v17, v13
	s_or_b32 exec_lo, exec_lo, s4
	s_and_saveexec_b32 s4, vcc_lo
	s_cbranch_execz .LBB368_2137
.LBB368_2172:
	ds_read_b32 v17, v16 offset:96
	s_waitcnt lgkmcnt(0)
	v_add_f32_e32 v12, v17, v12
	s_or_b32 exec_lo, exec_lo, s4
	s_and_saveexec_b32 s4, vcc_lo
	s_cbranch_execz .LBB368_2138
.LBB368_2173:
	ds_read_b32 v17, v16 offset:128
	s_waitcnt lgkmcnt(0)
	v_add_f32_e32 v11, v17, v11
	s_or_b32 exec_lo, exec_lo, s4
	s_and_saveexec_b32 s4, vcc_lo
	s_cbranch_execz .LBB368_2139
.LBB368_2174:
	ds_read_b32 v17, v16 offset:160
	s_waitcnt lgkmcnt(0)
	v_add_f32_e32 v10, v17, v10
	s_or_b32 exec_lo, exec_lo, s4
	s_and_saveexec_b32 s4, vcc_lo
	s_cbranch_execz .LBB368_2140
.LBB368_2175:
	ds_read_b32 v17, v16 offset:192
	s_waitcnt lgkmcnt(0)
	v_add_f32_e32 v9, v17, v9
	s_or_b32 exec_lo, exec_lo, s4
	s_and_saveexec_b32 s4, vcc_lo
	s_cbranch_execz .LBB368_2141
.LBB368_2176:
	ds_read_b32 v17, v16 offset:224
	s_waitcnt lgkmcnt(0)
	v_add_f32_e32 v8, v17, v8
	s_or_b32 exec_lo, exec_lo, s4
	s_and_saveexec_b32 s4, vcc_lo
	s_cbranch_execz .LBB368_2142
.LBB368_2177:
	ds_read_b32 v17, v16 offset:256
	s_waitcnt lgkmcnt(0)
	v_add_f32_e32 v7, v17, v7
	s_or_b32 exec_lo, exec_lo, s4
	s_and_saveexec_b32 s4, vcc_lo
	s_cbranch_execz .LBB368_2143
.LBB368_2178:
	ds_read_b32 v17, v16 offset:288
	s_waitcnt lgkmcnt(0)
	v_add_f32_e32 v6, v17, v6
	s_or_b32 exec_lo, exec_lo, s4
	s_and_saveexec_b32 s4, vcc_lo
	s_cbranch_execz .LBB368_2144
.LBB368_2179:
	ds_read_b32 v17, v16 offset:320
	s_waitcnt lgkmcnt(0)
	v_add_f32_e32 v5, v17, v5
	s_or_b32 exec_lo, exec_lo, s4
	s_and_saveexec_b32 s4, vcc_lo
	s_cbranch_execz .LBB368_2145
.LBB368_2180:
	ds_read_b32 v17, v16 offset:352
	s_waitcnt lgkmcnt(0)
	v_add_f32_e32 v4, v17, v4
	s_or_b32 exec_lo, exec_lo, s4
	s_and_saveexec_b32 s4, vcc_lo
	s_cbranch_execz .LBB368_2146
.LBB368_2181:
	ds_read_b32 v17, v16 offset:384
	s_waitcnt lgkmcnt(0)
	v_add_f32_e32 v3, v17, v3
	s_or_b32 exec_lo, exec_lo, s4
	s_and_saveexec_b32 s4, vcc_lo
	s_cbranch_execz .LBB368_2147
.LBB368_2182:
	ds_read_b32 v17, v16 offset:416
	s_waitcnt lgkmcnt(0)
	v_add_f32_e32 v2, v17, v2
	s_or_b32 exec_lo, exec_lo, s4
	s_and_saveexec_b32 s4, vcc_lo
	s_cbranch_execz .LBB368_2148
.LBB368_2183:
	ds_read_b32 v17, v16 offset:448
	s_waitcnt lgkmcnt(0)
	v_add_f32_e32 v1, v17, v1
	s_or_b32 exec_lo, exec_lo, s4
	s_and_saveexec_b32 s4, vcc_lo
	s_cbranch_execnz .LBB368_2149
	s_branch .LBB368_2150
.Lfunc_end368:
	.size	_ZN4vllm22paged_attention_kernelI14__hip_bfloat16hLi128ELi32ELi128ELNS_18Fp8KVCacheDataTypeE1ELb0ELi0EEEvPfS3_PT_PKS4_PKT0_SA_ifPKiSC_iPKfiiiSE_SE_iiiii, .Lfunc_end368-_ZN4vllm22paged_attention_kernelI14__hip_bfloat16hLi128ELi32ELi128ELNS_18Fp8KVCacheDataTypeE1ELb0ELi0EEEvPfS3_PT_PKS4_PKT0_SA_ifPKiSC_iPKfiiiSE_SE_iiiii
                                        ; -- End function
	.set .L_ZN4vllm22paged_attention_kernelI14__hip_bfloat16hLi128ELi32ELi128ELNS_18Fp8KVCacheDataTypeE1ELb0ELi0EEEvPfS3_PT_PKS4_PKT0_SA_ifPKiSC_iPKfiiiSE_SE_iiiii.num_vgpr, 128
	.set .L_ZN4vllm22paged_attention_kernelI14__hip_bfloat16hLi128ELi32ELi128ELNS_18Fp8KVCacheDataTypeE1ELb0ELi0EEEvPfS3_PT_PKS4_PKT0_SA_ifPKiSC_iPKfiiiSE_SE_iiiii.num_agpr, 0
	.set .L_ZN4vllm22paged_attention_kernelI14__hip_bfloat16hLi128ELi32ELi128ELNS_18Fp8KVCacheDataTypeE1ELb0ELi0EEEvPfS3_PT_PKS4_PKT0_SA_ifPKiSC_iPKfiiiSE_SE_iiiii.numbered_sgpr, 33
	.set .L_ZN4vllm22paged_attention_kernelI14__hip_bfloat16hLi128ELi32ELi128ELNS_18Fp8KVCacheDataTypeE1ELb0ELi0EEEvPfS3_PT_PKS4_PKT0_SA_ifPKiSC_iPKfiiiSE_SE_iiiii.num_named_barrier, 0
	.set .L_ZN4vllm22paged_attention_kernelI14__hip_bfloat16hLi128ELi32ELi128ELNS_18Fp8KVCacheDataTypeE1ELb0ELi0EEEvPfS3_PT_PKS4_PKT0_SA_ifPKiSC_iPKfiiiSE_SE_iiiii.private_seg_size, 916
	.set .L_ZN4vllm22paged_attention_kernelI14__hip_bfloat16hLi128ELi32ELi128ELNS_18Fp8KVCacheDataTypeE1ELb0ELi0EEEvPfS3_PT_PKS4_PKT0_SA_ifPKiSC_iPKfiiiSE_SE_iiiii.uses_vcc, 1
	.set .L_ZN4vllm22paged_attention_kernelI14__hip_bfloat16hLi128ELi32ELi128ELNS_18Fp8KVCacheDataTypeE1ELb0ELi0EEEvPfS3_PT_PKS4_PKT0_SA_ifPKiSC_iPKfiiiSE_SE_iiiii.uses_flat_scratch, 0
	.set .L_ZN4vllm22paged_attention_kernelI14__hip_bfloat16hLi128ELi32ELi128ELNS_18Fp8KVCacheDataTypeE1ELb0ELi0EEEvPfS3_PT_PKS4_PKT0_SA_ifPKiSC_iPKfiiiSE_SE_iiiii.has_dyn_sized_stack, 0
	.set .L_ZN4vllm22paged_attention_kernelI14__hip_bfloat16hLi128ELi32ELi128ELNS_18Fp8KVCacheDataTypeE1ELb0ELi0EEEvPfS3_PT_PKS4_PKT0_SA_ifPKiSC_iPKfiiiSE_SE_iiiii.has_recursion, 0
	.set .L_ZN4vllm22paged_attention_kernelI14__hip_bfloat16hLi128ELi32ELi128ELNS_18Fp8KVCacheDataTypeE1ELb0ELi0EEEvPfS3_PT_PKS4_PKT0_SA_ifPKiSC_iPKfiiiSE_SE_iiiii.has_indirect_call, 0
	.section	.AMDGPU.csdata,"",@progbits
; Function info:
; codeLenInByte = 87996
; TotalNumSgprs: 35
; NumVgprs: 128
; ScratchSize: 916
; MemoryBound: 0
	.section	.text._ZN4vllm25paged_attention_v1_kernelI14__hip_bfloat16hLi128ELi32ELi128ELNS_18Fp8KVCacheDataTypeE1ELb0EEEvPT_PKS3_PKT0_S9_ifPKiSB_iPKfiiiSD_SD_iiiii,"axG",@progbits,_ZN4vllm25paged_attention_v1_kernelI14__hip_bfloat16hLi128ELi32ELi128ELNS_18Fp8KVCacheDataTypeE1ELb0EEEvPT_PKS3_PKT0_S9_ifPKiSB_iPKfiiiSD_SD_iiiii,comdat
	.protected	_ZN4vllm25paged_attention_v1_kernelI14__hip_bfloat16hLi128ELi32ELi128ELNS_18Fp8KVCacheDataTypeE1ELb0EEEvPT_PKS3_PKT0_S9_ifPKiSB_iPKfiiiSD_SD_iiiii ; -- Begin function _ZN4vllm25paged_attention_v1_kernelI14__hip_bfloat16hLi128ELi32ELi128ELNS_18Fp8KVCacheDataTypeE1ELb0EEEvPT_PKS3_PKT0_S9_ifPKiSB_iPKfiiiSD_SD_iiiii
	.globl	_ZN4vllm25paged_attention_v1_kernelI14__hip_bfloat16hLi128ELi32ELi128ELNS_18Fp8KVCacheDataTypeE1ELb0EEEvPT_PKS3_PKT0_S9_ifPKiSB_iPKfiiiSD_SD_iiiii
	.p2align	8
	.type	_ZN4vllm25paged_attention_v1_kernelI14__hip_bfloat16hLi128ELi32ELi128ELNS_18Fp8KVCacheDataTypeE1ELb0EEEvPT_PKS3_PKT0_S9_ifPKiSB_iPKfiiiSD_SD_iiiii,@function
_ZN4vllm25paged_attention_v1_kernelI14__hip_bfloat16hLi128ELi32ELi128ELNS_18Fp8KVCacheDataTypeE1ELb0EEEvPT_PKS3_PKT0_S9_ifPKiSB_iPKfiiiSD_SD_iiiii: ; @_ZN4vllm25paged_attention_v1_kernelI14__hip_bfloat16hLi128ELi32ELi128ELNS_18Fp8KVCacheDataTypeE1ELb0EEEvPT_PKS3_PKT0_S9_ifPKiSB_iPKfiiiSD_SD_iiiii
; %bb.0:
	s_clause 0x5
	s_load_dwordx8 s[16:23], s[4:5], 0x0
	s_load_dwordx4 s[36:39], s[4:5], 0x20
	s_load_dwordx2 s[10:11], s[4:5], 0x30
	s_load_dword s13, s[4:5], 0x38
	s_load_dwordx2 s[34:35], s[4:5], 0x40
	s_load_dwordx8 s[24:31], s[4:5], 0x48
	s_add_u32 s0, s0, s9
	s_addc_u32 s1, s1, 0
	v_mov_b32_e32 v31, v0
	s_mov_b32 s14, s8
	s_add_u32 s8, s4, 0x80
	s_addc_u32 s9, s5, 0
	s_getpc_b64 s[4:5]
	s_add_u32 s4, s4, _ZN4vllm22paged_attention_kernelI14__hip_bfloat16hLi128ELi32ELi128ELNS_18Fp8KVCacheDataTypeE1ELb0ELi0EEEvPfS3_PT_PKS4_PKT0_SA_ifPKiSC_iPKfiiiSE_SE_iiiii@rel32@lo+4
	s_addc_u32 s5, s5, _ZN4vllm22paged_attention_kernelI14__hip_bfloat16hLi128ELi32ELi128ELNS_18Fp8KVCacheDataTypeE1ELb0ELi0EEEvPfS3_PT_PKS4_PKT0_SA_ifPKiSC_iPKfiiiSE_SE_iiiii@rel32@hi+12
	s_mov_b32 s12, s6
	s_mov_b32 s15, 4
	s_mov_b32 s32, 0
	s_waitcnt lgkmcnt(0)
	v_mov_b32_e32 v0, s16
	v_mov_b32_e32 v1, s17
	;; [unrolled: 1-line block ×24, first 2 shown]
	s_mov_b32 s13, s7
	s_swappc_b64 s[30:31], s[4:5]
	s_endpgm
	.section	.rodata,"a",@progbits
	.p2align	6, 0x0
	.amdhsa_kernel _ZN4vllm25paged_attention_v1_kernelI14__hip_bfloat16hLi128ELi32ELi128ELNS_18Fp8KVCacheDataTypeE1ELb0EEEvPT_PKS3_PKT0_S9_ifPKiSB_iPKfiiiSD_SD_iiiii
		.amdhsa_group_segment_fixed_size 288
		.amdhsa_private_segment_fixed_size 916
		.amdhsa_kernarg_size 384
		.amdhsa_user_sgpr_count 6
		.amdhsa_user_sgpr_private_segment_buffer 1
		.amdhsa_user_sgpr_dispatch_ptr 0
		.amdhsa_user_sgpr_queue_ptr 0
		.amdhsa_user_sgpr_kernarg_segment_ptr 1
		.amdhsa_user_sgpr_dispatch_id 0
		.amdhsa_user_sgpr_flat_scratch_init 0
		.amdhsa_user_sgpr_private_segment_size 0
		.amdhsa_wavefront_size32 1
		.amdhsa_uses_dynamic_stack 0
		.amdhsa_system_sgpr_private_segment_wavefront_offset 1
		.amdhsa_system_sgpr_workgroup_id_x 1
		.amdhsa_system_sgpr_workgroup_id_y 1
		.amdhsa_system_sgpr_workgroup_id_z 1
		.amdhsa_system_sgpr_workgroup_info 0
		.amdhsa_system_vgpr_workitem_id 0
		.amdhsa_next_free_vgpr 128
		.amdhsa_next_free_sgpr 40
		.amdhsa_reserve_vcc 1
		.amdhsa_reserve_flat_scratch 0
		.amdhsa_float_round_mode_32 0
		.amdhsa_float_round_mode_16_64 0
		.amdhsa_float_denorm_mode_32 3
		.amdhsa_float_denorm_mode_16_64 3
		.amdhsa_dx10_clamp 1
		.amdhsa_ieee_mode 1
		.amdhsa_fp16_overflow 0
		.amdhsa_workgroup_processor_mode 1
		.amdhsa_memory_ordered 1
		.amdhsa_forward_progress 1
		.amdhsa_shared_vgpr_count 0
		.amdhsa_exception_fp_ieee_invalid_op 0
		.amdhsa_exception_fp_denorm_src 0
		.amdhsa_exception_fp_ieee_div_zero 0
		.amdhsa_exception_fp_ieee_overflow 0
		.amdhsa_exception_fp_ieee_underflow 0
		.amdhsa_exception_fp_ieee_inexact 0
		.amdhsa_exception_int_div_zero 0
	.end_amdhsa_kernel
	.section	.text._ZN4vllm25paged_attention_v1_kernelI14__hip_bfloat16hLi128ELi32ELi128ELNS_18Fp8KVCacheDataTypeE1ELb0EEEvPT_PKS3_PKT0_S9_ifPKiSB_iPKfiiiSD_SD_iiiii,"axG",@progbits,_ZN4vllm25paged_attention_v1_kernelI14__hip_bfloat16hLi128ELi32ELi128ELNS_18Fp8KVCacheDataTypeE1ELb0EEEvPT_PKS3_PKT0_S9_ifPKiSB_iPKfiiiSD_SD_iiiii,comdat
.Lfunc_end369:
	.size	_ZN4vllm25paged_attention_v1_kernelI14__hip_bfloat16hLi128ELi32ELi128ELNS_18Fp8KVCacheDataTypeE1ELb0EEEvPT_PKS3_PKT0_S9_ifPKiSB_iPKfiiiSD_SD_iiiii, .Lfunc_end369-_ZN4vllm25paged_attention_v1_kernelI14__hip_bfloat16hLi128ELi32ELi128ELNS_18Fp8KVCacheDataTypeE1ELb0EEEvPT_PKS3_PKT0_S9_ifPKiSB_iPKfiiiSD_SD_iiiii
                                        ; -- End function
	.set _ZN4vllm25paged_attention_v1_kernelI14__hip_bfloat16hLi128ELi32ELi128ELNS_18Fp8KVCacheDataTypeE1ELb0EEEvPT_PKS3_PKT0_S9_ifPKiSB_iPKfiiiSD_SD_iiiii.num_vgpr, max(32, .L_ZN4vllm22paged_attention_kernelI14__hip_bfloat16hLi128ELi32ELi128ELNS_18Fp8KVCacheDataTypeE1ELb0ELi0EEEvPfS3_PT_PKS4_PKT0_SA_ifPKiSC_iPKfiiiSE_SE_iiiii.num_vgpr)
	.set _ZN4vllm25paged_attention_v1_kernelI14__hip_bfloat16hLi128ELi32ELi128ELNS_18Fp8KVCacheDataTypeE1ELb0EEEvPT_PKS3_PKT0_S9_ifPKiSB_iPKfiiiSD_SD_iiiii.num_agpr, max(0, .L_ZN4vllm22paged_attention_kernelI14__hip_bfloat16hLi128ELi32ELi128ELNS_18Fp8KVCacheDataTypeE1ELb0ELi0EEEvPfS3_PT_PKS4_PKT0_SA_ifPKiSC_iPKfiiiSE_SE_iiiii.num_agpr)
	.set _ZN4vllm25paged_attention_v1_kernelI14__hip_bfloat16hLi128ELi32ELi128ELNS_18Fp8KVCacheDataTypeE1ELb0EEEvPT_PKS3_PKT0_S9_ifPKiSB_iPKfiiiSD_SD_iiiii.numbered_sgpr, max(40, .L_ZN4vllm22paged_attention_kernelI14__hip_bfloat16hLi128ELi32ELi128ELNS_18Fp8KVCacheDataTypeE1ELb0ELi0EEEvPfS3_PT_PKS4_PKT0_SA_ifPKiSC_iPKfiiiSE_SE_iiiii.numbered_sgpr)
	.set _ZN4vllm25paged_attention_v1_kernelI14__hip_bfloat16hLi128ELi32ELi128ELNS_18Fp8KVCacheDataTypeE1ELb0EEEvPT_PKS3_PKT0_S9_ifPKiSB_iPKfiiiSD_SD_iiiii.num_named_barrier, max(0, .L_ZN4vllm22paged_attention_kernelI14__hip_bfloat16hLi128ELi32ELi128ELNS_18Fp8KVCacheDataTypeE1ELb0ELi0EEEvPfS3_PT_PKS4_PKT0_SA_ifPKiSC_iPKfiiiSE_SE_iiiii.num_named_barrier)
	.set _ZN4vllm25paged_attention_v1_kernelI14__hip_bfloat16hLi128ELi32ELi128ELNS_18Fp8KVCacheDataTypeE1ELb0EEEvPT_PKS3_PKT0_S9_ifPKiSB_iPKfiiiSD_SD_iiiii.private_seg_size, 0+max(.L_ZN4vllm22paged_attention_kernelI14__hip_bfloat16hLi128ELi32ELi128ELNS_18Fp8KVCacheDataTypeE1ELb0ELi0EEEvPfS3_PT_PKS4_PKT0_SA_ifPKiSC_iPKfiiiSE_SE_iiiii.private_seg_size)
	.set _ZN4vllm25paged_attention_v1_kernelI14__hip_bfloat16hLi128ELi32ELi128ELNS_18Fp8KVCacheDataTypeE1ELb0EEEvPT_PKS3_PKT0_S9_ifPKiSB_iPKfiiiSD_SD_iiiii.uses_vcc, or(1, .L_ZN4vllm22paged_attention_kernelI14__hip_bfloat16hLi128ELi32ELi128ELNS_18Fp8KVCacheDataTypeE1ELb0ELi0EEEvPfS3_PT_PKS4_PKT0_SA_ifPKiSC_iPKfiiiSE_SE_iiiii.uses_vcc)
	.set _ZN4vllm25paged_attention_v1_kernelI14__hip_bfloat16hLi128ELi32ELi128ELNS_18Fp8KVCacheDataTypeE1ELb0EEEvPT_PKS3_PKT0_S9_ifPKiSB_iPKfiiiSD_SD_iiiii.uses_flat_scratch, or(0, .L_ZN4vllm22paged_attention_kernelI14__hip_bfloat16hLi128ELi32ELi128ELNS_18Fp8KVCacheDataTypeE1ELb0ELi0EEEvPfS3_PT_PKS4_PKT0_SA_ifPKiSC_iPKfiiiSE_SE_iiiii.uses_flat_scratch)
	.set _ZN4vllm25paged_attention_v1_kernelI14__hip_bfloat16hLi128ELi32ELi128ELNS_18Fp8KVCacheDataTypeE1ELb0EEEvPT_PKS3_PKT0_S9_ifPKiSB_iPKfiiiSD_SD_iiiii.has_dyn_sized_stack, or(0, .L_ZN4vllm22paged_attention_kernelI14__hip_bfloat16hLi128ELi32ELi128ELNS_18Fp8KVCacheDataTypeE1ELb0ELi0EEEvPfS3_PT_PKS4_PKT0_SA_ifPKiSC_iPKfiiiSE_SE_iiiii.has_dyn_sized_stack)
	.set _ZN4vllm25paged_attention_v1_kernelI14__hip_bfloat16hLi128ELi32ELi128ELNS_18Fp8KVCacheDataTypeE1ELb0EEEvPT_PKS3_PKT0_S9_ifPKiSB_iPKfiiiSD_SD_iiiii.has_recursion, or(0, .L_ZN4vllm22paged_attention_kernelI14__hip_bfloat16hLi128ELi32ELi128ELNS_18Fp8KVCacheDataTypeE1ELb0ELi0EEEvPfS3_PT_PKS4_PKT0_SA_ifPKiSC_iPKfiiiSE_SE_iiiii.has_recursion)
	.set _ZN4vllm25paged_attention_v1_kernelI14__hip_bfloat16hLi128ELi32ELi128ELNS_18Fp8KVCacheDataTypeE1ELb0EEEvPT_PKS3_PKT0_S9_ifPKiSB_iPKfiiiSD_SD_iiiii.has_indirect_call, or(0, .L_ZN4vllm22paged_attention_kernelI14__hip_bfloat16hLi128ELi32ELi128ELNS_18Fp8KVCacheDataTypeE1ELb0ELi0EEEvPfS3_PT_PKS4_PKT0_SA_ifPKiSC_iPKfiiiSE_SE_iiiii.has_indirect_call)
	.section	.AMDGPU.csdata,"",@progbits
; Kernel info:
; codeLenInByte = 224
; TotalNumSgprs: 42
; NumVgprs: 128
; ScratchSize: 916
; MemoryBound: 0
; FloatMode: 240
; IeeeMode: 1
; LDSByteSize: 288 bytes/workgroup (compile time only)
; SGPRBlocks: 0
; VGPRBlocks: 15
; NumSGPRsForWavesPerEU: 42
; NumVGPRsForWavesPerEU: 128
; Occupancy: 8
; WaveLimiterHint : 1
; COMPUTE_PGM_RSRC2:SCRATCH_EN: 1
; COMPUTE_PGM_RSRC2:USER_SGPR: 6
; COMPUTE_PGM_RSRC2:TRAP_HANDLER: 0
; COMPUTE_PGM_RSRC2:TGID_X_EN: 1
; COMPUTE_PGM_RSRC2:TGID_Y_EN: 1
; COMPUTE_PGM_RSRC2:TGID_Z_EN: 1
; COMPUTE_PGM_RSRC2:TIDIG_COMP_CNT: 0
	.text
	.p2align	2                               ; -- Begin function _ZN4vllm22paged_attention_kernelI14__hip_bfloat16hLi192ELi32ELi128ELNS_18Fp8KVCacheDataTypeE1ELb0ELi0EEEvPfS3_PT_PKS4_PKT0_SA_ifPKiSC_iPKfiiiSE_SE_iiiii
	.type	_ZN4vllm22paged_attention_kernelI14__hip_bfloat16hLi192ELi32ELi128ELNS_18Fp8KVCacheDataTypeE1ELb0ELi0EEEvPfS3_PT_PKS4_PKT0_SA_ifPKiSC_iPKfiiiSE_SE_iiiii,@function
_ZN4vllm22paged_attention_kernelI14__hip_bfloat16hLi192ELi32ELi128ELNS_18Fp8KVCacheDataTypeE1ELb0ELi0EEEvPfS3_PT_PKS4_PKT0_SA_ifPKiSC_iPKfiiiSE_SE_iiiii: ; @_ZN4vllm22paged_attention_kernelI14__hip_bfloat16hLi192ELi32ELi128ELNS_18Fp8KVCacheDataTypeE1ELb0ELi0EEEvPfS3_PT_PKS4_PKT0_SA_ifPKiSC_iPKfiiiSE_SE_iiiii
; %bb.0:
	s_waitcnt vmcnt(0) expcnt(0) lgkmcnt(0)
	buffer_store_dword v40, off, s[0:3], s32 offset:188 ; 4-byte Folded Spill
	buffer_store_dword v41, off, s[0:3], s32 offset:184 ; 4-byte Folded Spill
	;; [unrolled: 1-line block ×47, first 2 shown]
	buffer_store_dword v127, off, s[0:3], s32 ; 4-byte Folded Spill
	s_mov_b32 s10, s13
	s_ashr_i32 s11, s13, 31
	buffer_store_dword v20, off, s[0:3], s32 offset:832 ; 4-byte Folded Spill
	buffer_store_dword v21, off, s[0:3], s32 offset:836 ; 4-byte Folded Spill
	;; [unrolled: 1-line block ×4, first 2 shown]
	s_lshl_b64 s[4:5], s[10:11], 2
	buffer_store_dword v1, off, s[0:3], s32 offset:1632 ; 4-byte Folded Spill
	buffer_store_dword v0, off, s[0:3], s32 offset:1636 ; 4-byte Folded Spill
	v_add_co_u32 v0, vcc_lo, v12, s4
	v_add_co_ci_u32_e64 v1, null, s5, v13, vcc_lo
	s_clause 0x1
	s_load_dword s4, s[8:9], 0x10
	s_load_dword s5, s[8:9], 0x0
	v_mov_b32_e32 v20, v6
	flat_load_dword v88, v[0:1]
	v_sub_nc_u32_e32 v0, 0, v8
	v_mov_b32_e32 v18, v7
	s_mov_b32 s16, s15
	v_max_i32_e32 v0, v8, v0
	v_cvt_f32_u32_e32 v1, v0
	v_sub_nc_u32_e32 v6, 0, v0
	v_rcp_iflag_f32_e32 v1, v1
	s_waitcnt lgkmcnt(0)
	s_lshr_b32 s4, s4, 16
	s_cmp_lg_u32 s4, 0
	s_cselect_b32 s4, -1, 0
	s_cmp_lg_u32 s4, 0
	s_addc_u32 s11, s5, 0
	v_mul_f32_e32 v1, 0x4f7ffffe, v1
	s_abs_i32 s4, s11
	s_mov_b32 s5, exec_lo
	v_cvt_u32_f32_e32 v1, v1
	v_mul_lo_u32 v6, v6, v1
	v_mul_hi_u32 v6, v1, v6
	v_add_nc_u32_e32 v1, v1, v6
	v_mul_hi_u32 v1, s4, v1
	v_mul_lo_u32 v6, v1, v0
	v_add_nc_u32_e32 v7, 1, v1
	v_sub_nc_u32_e32 v6, s4, v6
	s_abs_i32 s4, s12
	v_sub_nc_u32_e32 v9, v6, v0
	v_cmp_ge_u32_e32 vcc_lo, v6, v0
	v_cndmask_b32_e32 v1, v1, v7, vcc_lo
	v_cndmask_b32_e32 v6, v6, v9, vcc_lo
	v_xor_b32_e32 v7, s11, v8
	v_add_nc_u32_e32 v8, 1, v1
	v_cmp_ge_u32_e32 vcc_lo, v6, v0
	v_ashrrev_i32_e32 v7, 31, v7
	v_cndmask_b32_e32 v0, v1, v8, vcc_lo
	v_xor_b32_e32 v0, v0, v7
	v_sub_nc_u32_e32 v1, v0, v7
	v_sub_nc_u32_e32 v0, 0, v1
	v_max_i32_e32 v0, v1, v0
	v_cvt_f32_u32_e32 v6, v0
	v_sub_nc_u32_e32 v7, 0, v0
	v_rcp_iflag_f32_e32 v6, v6
	v_mul_f32_e32 v6, 0x4f7ffffe, v6
	v_cvt_u32_f32_e32 v6, v6
	v_mul_lo_u32 v7, v7, v6
	v_mul_hi_u32 v7, v6, v7
	v_add_nc_u32_e32 v6, v6, v7
	v_mad_u64_u32 v[12:13], null, s4, v6, 0
	v_mov_b32_e32 v6, 0
	buffer_store_dword v6, off, s[0:3], s32 offset:828 ; 4-byte Folded Spill
	v_cmpx_ne_u64_e32 0, v[15:16]
	s_cbranch_execz .LBB370_2
; %bb.1:
	s_ashr_i32 s13, s12, 31
	s_lshl_b64 s[6:7], s[12:13], 2
	v_add_co_u32 v6, vcc_lo, v15, s6
	v_add_co_ci_u32_e64 v7, null, s7, v16, vcc_lo
	flat_load_dword v6, v[6:7]
	s_waitcnt vmcnt(0) lgkmcnt(0)
	buffer_store_dword v6, off, s[0:3], s32 offset:828 ; 4-byte Folded Spill
.LBB370_2:
	s_or_b32 exec_lo, exec_lo, s5
	v_and_b32_e32 v12, 0x3ff, v31
	v_ashrrev_i32_e32 v1, 31, v1
	s_ashr_i32 s5, s12, 31
	s_mulk_i32 s12, 0xc0
	s_mov_b32 s6, exec_lo
	v_cmpx_gt_u32_e32 24, v12
	s_cbranch_execz .LBB370_4
; %bb.3:
	v_mul_lo_u32 v6, v17, s10
	s_ashr_i32 s13, s12, 31
	v_lshlrev_b32_e32 v15, 4, v12
	s_lshl_b64 s[18:19], s[12:13], 1
	v_ashrrev_i32_e32 v7, 31, v6
	v_lshlrev_b64 v[6:7], 1, v[6:7]
	v_add_co_u32 v2, vcc_lo, v2, v6
	v_add_co_ci_u32_e64 v3, null, v3, v7, vcc_lo
	v_add_co_u32 v2, vcc_lo, v2, s18
	v_add_co_ci_u32_e64 v3, null, s19, v3, vcc_lo
	;; [unrolled: 2-line block ×3, first 2 shown]
	flat_load_dwordx4 v[6:9], v[2:3]
	s_waitcnt vmcnt(0) lgkmcnt(0)
	ds_write_b128 v15, v[6:9]
.LBB370_4:
	s_or_b32 exec_lo, exec_lo, s6
	v_mul_lo_u32 v2, v13, v0
	v_add_nc_u32_e32 v3, 1, v13
	s_waitcnt vmcnt(0)
	v_add_nc_u32_e32 v7, 31, v88
	v_xor_b32_e32 v1, s5, v1
	s_clause 0x1
	s_load_dword s7, s[8:9], 0x14
	s_load_dword s13, s[8:9], 0x8
	buffer_store_dword v12, off, s[0:3], s32 offset:1620 ; 4-byte Folded Spill
	s_mov_b32 s15, exec_lo
	v_sub_nc_u32_e32 v2, s4, v2
	v_sub_nc_u32_e32 v6, v2, v0
	v_cmp_ge_u32_e32 vcc_lo, v2, v0
	v_cndmask_b32_e32 v3, v13, v3, vcc_lo
	v_cndmask_b32_e32 v2, v2, v6, vcc_lo
	v_add_nc_u32_e32 v6, 1, v3
	v_cmp_ge_u32_e32 vcc_lo, v2, v0
	v_mul_lo_u32 v0, v14, s10
	v_cndmask_b32_e32 v2, v3, v6, vcc_lo
	v_ashrrev_i32_e32 v3, 31, v7
	v_lshrrev_b32_e32 v6, 5, v12
	v_xor_b32_e32 v2, v2, v1
	v_lshrrev_b32_e32 v3, 27, v3
	v_sub_nc_u32_e32 v2, v2, v1
	v_add_nc_u32_e32 v3, v7, v3
	v_ashrrev_i32_e32 v1, 31, v0
	v_mov_b32_e32 v7, 0xff7fffff
	v_mul_lo_u32 v13, v2, v19
	v_ashrrev_i32_e32 v3, 5, v3
	v_and_b32_e32 v2, 31, v12
	v_lshlrev_b64 v[26:27], 2, v[0:1]
	buffer_store_dword v6, off, s[0:3], s32 offset:1628 ; 4-byte Folded Spill
	buffer_store_dword v3, off, s[0:3], s32 offset:192 ; 4-byte Folded Spill
	v_cmp_ge_i32_e64 s4, v6, v3
	v_lshlrev_b32_e32 v24, 2, v2
	v_ashrrev_i32_e32 v12, 31, v13
	buffer_store_dword v2, off, s[0:3], s32 offset:1624 ; 4-byte Folded Spill
	s_waitcnt lgkmcnt(0)
	s_waitcnt_vscnt null, 0x0
	s_barrier
	buffer_gl0_inv
	v_cmpx_lt_i32_e64 v6, v3
	s_cbranch_execz .LBB370_1544
; %bb.5:
	buffer_store_dword v22, off, s[0:3], s32 offset:1648 ; 4-byte Folded Spill
	buffer_store_dword v23, off, s[0:3], s32 offset:1652 ; 4-byte Folded Spill
	;; [unrolled: 1-line block ×5, first 2 shown]
	v_add_co_u32 v0, vcc_lo, v4, v13
	buffer_load_dword v4, off, s[0:3], s32 offset:1624 ; 4-byte Folded Reload
	v_add_co_ci_u32_e64 v1, null, v5, v12, vcc_lo
	v_mov_b32_e32 v5, 0
	buffer_store_dword v12, off, s[0:3], s32 offset:1668 ; 4-byte Folded Spill
	s_ashr_i32 s17, s16, 31
	v_mov_b32_e32 v107, 0x80
	s_lshl_b64 s[8:9], s[16:17], 2
	s_getpc_b64 s[20:21]
	s_add_u32 s20, s20, llvm.amdgcn.dynlds.offset.table@rel32@lo+4
	s_addc_u32 s21, s21, llvm.amdgcn.dynlds.offset.table@rel32@hi+12
	s_add_u32 s8, s20, s8
	s_addc_u32 s9, s21, s9
	s_mov_b32 s18, 0
	s_waitcnt vmcnt(0)
	v_lshlrev_b32_e32 v2, 4, v4
	v_add_co_u32 v0, vcc_lo, v0, v2
	v_add_co_ci_u32_e64 v1, null, 0, v1, vcc_lo
	buffer_store_dword v0, off, s[0:3], s32 offset:844 ; 4-byte Folded Spill
	buffer_store_dword v1, off, s[0:3], s32 offset:848 ; 4-byte Folded Spill
	ds_read_b128 v[0:3], v5
	ds_read_b128 v[6:9], v5 offset:16
	ds_read_b128 v[18:21], v5 offset:32
	ds_read_b128 v[14:17], v5 offset:48
	s_load_dword s6, s[8:9], 0x0
	s_mov_b32 s8, -1
	s_mov_b32 s9, 0xffffff
	s_waitcnt lgkmcnt(0)
	v_lshlrev_b32_e32 v12, 16, v0
	v_and_b32_e32 v0, 0xffff0000, v0
	buffer_store_dword v12, off, s[0:3], s32 offset:852 ; 4-byte Folded Spill
	buffer_store_dword v0, off, s[0:3], s32 offset:856 ; 4-byte Folded Spill
	v_lshlrev_b32_e32 v0, 16, v1
	buffer_store_dword v0, off, s[0:3], s32 offset:860 ; 4-byte Folded Spill
	v_and_b32_e32 v0, 0xffff0000, v1
	buffer_store_dword v0, off, s[0:3], s32 offset:864 ; 4-byte Folded Spill
	v_lshlrev_b32_e32 v0, 16, v2
	buffer_store_dword v0, off, s[0:3], s32 offset:868 ; 4-byte Folded Spill
	v_and_b32_e32 v0, 0xffff0000, v2
	;; [unrolled: 4-line block ×5, first 2 shown]
	v_mov_b32_e32 v7, 0xff7fffff
	buffer_store_dword v0, off, s[0:3], s32 offset:896 ; 4-byte Folded Spill
	v_lshlrev_b32_e32 v0, 16, v8
	buffer_store_dword v0, off, s[0:3], s32 offset:900 ; 4-byte Folded Spill
	v_and_b32_e32 v0, 0xffff0000, v8
	buffer_store_dword v0, off, s[0:3], s32 offset:904 ; 4-byte Folded Spill
	v_lshlrev_b32_e32 v0, 16, v9
	buffer_store_dword v0, off, s[0:3], s32 offset:908 ; 4-byte Folded Spill
	v_and_b32_e32 v0, 0xffff0000, v9
	;; [unrolled: 4-line block ×10, first 2 shown]
	buffer_store_dword v0, off, s[0:3], s32 offset:976 ; 4-byte Folded Spill
	ds_read_b128 v[0:3], v5 offset:64
	s_waitcnt lgkmcnt(0)
	v_lshlrev_b32_e32 v6, 16, v0
	v_and_b32_e32 v0, 0xffff0000, v0
	buffer_store_dword v6, off, s[0:3], s32 offset:980 ; 4-byte Folded Spill
	buffer_store_dword v0, off, s[0:3], s32 offset:984 ; 4-byte Folded Spill
	v_lshlrev_b32_e32 v0, 16, v1
	buffer_store_dword v0, off, s[0:3], s32 offset:988 ; 4-byte Folded Spill
	v_and_b32_e32 v0, 0xffff0000, v1
	buffer_store_dword v0, off, s[0:3], s32 offset:992 ; 4-byte Folded Spill
	v_lshlrev_b32_e32 v0, 16, v2
	buffer_store_dword v0, off, s[0:3], s32 offset:996 ; 4-byte Folded Spill
	v_and_b32_e32 v0, 0xffff0000, v2
	buffer_store_dword v0, off, s[0:3], s32 offset:1000 ; 4-byte Folded Spill
	v_lshlrev_b32_e32 v0, 16, v3
	buffer_store_dword v0, off, s[0:3], s32 offset:1004 ; 4-byte Folded Spill
	v_and_b32_e32 v0, 0xffff0000, v3
	buffer_store_dword v0, off, s[0:3], s32 offset:1008 ; 4-byte Folded Spill
	ds_read_b128 v[0:3], v5 offset:80
	s_waitcnt lgkmcnt(0)
	v_lshlrev_b32_e32 v6, 16, v0
	v_and_b32_e32 v0, 0xffff0000, v0
	buffer_store_dword v6, off, s[0:3], s32 offset:1012 ; 4-byte Folded Spill
	buffer_store_dword v0, off, s[0:3], s32 offset:1016 ; 4-byte Folded Spill
	v_lshlrev_b32_e32 v0, 16, v1
	buffer_store_dword v0, off, s[0:3], s32 offset:1020 ; 4-byte Folded Spill
	v_and_b32_e32 v0, 0xffff0000, v1
	buffer_store_dword v0, off, s[0:3], s32 offset:1024 ; 4-byte Folded Spill
	v_lshlrev_b32_e32 v0, 16, v2
	buffer_store_dword v0, off, s[0:3], s32 offset:1028 ; 4-byte Folded Spill
	v_and_b32_e32 v0, 0xffff0000, v2
	buffer_store_dword v0, off, s[0:3], s32 offset:1032 ; 4-byte Folded Spill
	v_lshlrev_b32_e32 v0, 16, v3
	buffer_store_dword v0, off, s[0:3], s32 offset:1036 ; 4-byte Folded Spill
	v_and_b32_e32 v0, 0xffff0000, v3
	;; [unrolled: 18-line block ×8, first 2 shown]
	buffer_store_dword v0, off, s[0:3], s32 offset:1232 ; 4-byte Folded Spill
	ds_read_b128 v[0:3], v5 offset:192
	s_waitcnt lgkmcnt(0)
	v_lshlrev_b32_e32 v6, 16, v0
	v_and_b32_e32 v0, 0xffff0000, v0
	buffer_store_dword v6, off, s[0:3], s32 offset:1236 ; 4-byte Folded Spill
	buffer_store_dword v0, off, s[0:3], s32 offset:1240 ; 4-byte Folded Spill
	buffer_load_dword v0, off, s[0:3], s32 offset:828 ; 4-byte Folded Reload
	s_waitcnt vmcnt(0)
	v_cmp_neq_f32_e32 vcc_lo, 0, v0
	v_lshlrev_b32_e32 v0, 16, v1
	buffer_store_dword v0, off, s[0:3], s32 offset:1244 ; 4-byte Folded Spill
	v_and_b32_e32 v0, 0xffff0000, v1
	buffer_store_dword v0, off, s[0:3], s32 offset:1248 ; 4-byte Folded Spill
	v_lshlrev_b32_e32 v0, 16, v2
	buffer_store_dword v0, off, s[0:3], s32 offset:1252 ; 4-byte Folded Spill
	v_and_b32_e32 v0, 0xffff0000, v2
	buffer_store_dword v0, off, s[0:3], s32 offset:1256 ; 4-byte Folded Spill
	v_lshlrev_b32_e32 v0, 16, v3
	buffer_store_dword v0, off, s[0:3], s32 offset:1260 ; 4-byte Folded Spill
	v_and_b32_e32 v0, 0xffff0000, v3
	buffer_store_dword v0, off, s[0:3], s32 offset:1264 ; 4-byte Folded Spill
	ds_read_b128 v[0:3], v5 offset:208
	s_waitcnt lgkmcnt(0)
	v_lshlrev_b32_e32 v6, 16, v0
	v_and_b32_e32 v0, 0xffff0000, v0
	buffer_store_dword v6, off, s[0:3], s32 offset:1268 ; 4-byte Folded Spill
	buffer_store_dword v0, off, s[0:3], s32 offset:1272 ; 4-byte Folded Spill
	v_lshlrev_b32_e32 v0, 16, v1
	buffer_store_dword v0, off, s[0:3], s32 offset:1276 ; 4-byte Folded Spill
	v_and_b32_e32 v0, 0xffff0000, v1
	buffer_store_dword v0, off, s[0:3], s32 offset:1280 ; 4-byte Folded Spill
	v_lshlrev_b32_e32 v0, 16, v2
	buffer_store_dword v0, off, s[0:3], s32 offset:1284 ; 4-byte Folded Spill
	v_and_b32_e32 v0, 0xffff0000, v2
	buffer_store_dword v0, off, s[0:3], s32 offset:1288 ; 4-byte Folded Spill
	v_lshlrev_b32_e32 v0, 16, v3
	buffer_store_dword v0, off, s[0:3], s32 offset:1292 ; 4-byte Folded Spill
	v_and_b32_e32 v0, 0xffff0000, v3
	buffer_store_dword v0, off, s[0:3], s32 offset:1296 ; 4-byte Folded Spill
	ds_read_b128 v[0:3], v5 offset:224
	s_waitcnt lgkmcnt(0)
	v_lshlrev_b32_e32 v6, 16, v0
	v_and_b32_e32 v0, 0xffff0000, v0
	buffer_store_dword v6, off, s[0:3], s32 offset:1300 ; 4-byte Folded Spill
	buffer_store_dword v0, off, s[0:3], s32 offset:1304 ; 4-byte Folded Spill
	;; [unrolled: 18-line block ×11, first 2 shown]
	v_lshlrev_b32_e32 v0, 16, v1
	buffer_store_dword v0, off, s[0:3], s32 offset:1596 ; 4-byte Folded Spill
	v_and_b32_e32 v0, 0xffff0000, v1
	buffer_store_dword v0, off, s[0:3], s32 offset:1600 ; 4-byte Folded Spill
	v_lshlrev_b32_e32 v0, 16, v2
	buffer_store_dword v0, off, s[0:3], s32 offset:1604 ; 4-byte Folded Spill
	v_and_b32_e32 v0, 0xffff0000, v2
	buffer_store_dword v0, off, s[0:3], s32 offset:1608 ; 4-byte Folded Spill
	;; [unrolled: 4-line block ×3, first 2 shown]
	buffer_load_dword v0, off, s[0:3], s32 offset:1620 ; 4-byte Folded Reload
	s_waitcnt vmcnt(0)
	v_lshrrev_b32_e32 v0, 3, v0
	v_and_b32_e32 v0, 0x7c, v0
	v_add_co_u32 v0, s5, v0, v26
	buffer_store_dword v26, off, s[0:3], s32 offset:1672 ; 4-byte Folded Spill
	buffer_store_dword v27, off, s[0:3], s32 offset:1676 ; 4-byte Folded Spill
	;; [unrolled: 1-line block ×5, first 2 shown]
	v_add_co_ci_u32_e64 v1, null, 0, v27, s5
	buffer_load_dword v27, off, s[0:3], s32 offset:1628 ; 4-byte Folded Reload
	v_add_co_u32 v2, s5, v10, v0
	v_add_co_ci_u32_e64 v3, null, v11, v1, s5
	s_waitcnt vmcnt(0)
	v_lshl_or_b32 v0, v27, 7, v24
	v_lshl_or_b32 v110, v27, 5, v4
	v_add_nc_u32_e32 v120, s6, v0
	s_branch .LBB370_10
.LBB370_6:                              ;   in Loop: Header=BB370_10 Depth=1
	s_or_b32 exec_lo, exec_lo, s20
	v_mov_b32_e32 v4, 24
	v_lshl_add_u32 v16, v16, 23, 0x3c000000
	v_lshlrev_b32_sdwa v4, v4, v17 dst_sel:DWORD dst_unused:UNUSED_PAD src0_sel:DWORD src1_sel:BYTE_3
	v_lshlrev_b32_e32 v17, 20, v24
	v_and_b32_e32 v4, 0x80000000, v4
	v_or3_b32 v24, v17, v4, v16
.LBB370_7:                              ;   in Loop: Header=BB370_10 Depth=1
	s_or_b32 exec_lo, exec_lo, s19
.LBB370_8:                              ;   in Loop: Header=BB370_10 Depth=1
	s_or_b32 exec_lo, exec_lo, s17
	v_mov_b32_e32 v110, v111
	v_mov_b32_e32 v120, v123
	;; [unrolled: 1-line block ×3, first 2 shown]
.LBB370_9:                              ;   in Loop: Header=BB370_10 Depth=1
	s_or_b32 exec_lo, exec_lo, s6
	v_mul_f32_e32 v4, v121, v14
	v_mul_f32_e32 v3, v121, v3
	;; [unrolled: 1-line block ×5, first 2 shown]
	v_bfe_u32 v14, v4, 16, 1
	v_or_b32_e32 v16, 0x400000, v4
	v_cmp_u_f32_e64 s5, v4, v4
	v_mul_f32_e32 v20, v121, v20
	v_mul_f32_e32 v24, v121, v24
	v_add3_u32 v14, v14, v4, 0x7fff
	v_add_nc_u32_e32 v27, 4, v27
	buffer_load_dword v25, off, s[0:3], s32 offset:268 ; 4-byte Folded Reload
	v_cndmask_b32_e64 v4, v14, v16, s5
	buffer_store_dword v4, off, s[0:3], s32 offset:524 ; 4-byte Folded Spill
	v_mul_f32_e32 v4, v121, v61
	v_bfe_u32 v14, v4, 16, 1
	v_or_b32_e32 v16, 0x400000, v4
	v_cmp_u_f32_e64 s5, v4, v4
	v_add3_u32 v14, v14, v4, 0x7fff
	v_cndmask_b32_e64 v4, v14, v16, s5
	buffer_store_dword v4, off, s[0:3], s32 offset:528 ; 4-byte Folded Spill
	v_mul_f32_e32 v4, v121, v62
	v_bfe_u32 v14, v4, 16, 1
	v_or_b32_e32 v16, 0x400000, v4
	v_cmp_u_f32_e64 s5, v4, v4
	v_add3_u32 v14, v14, v4, 0x7fff
	;; [unrolled: 7-line block ×61, first 2 shown]
	v_cndmask_b32_e64 v4, v14, v15, s5
	v_or_b32_e32 v14, 0x400000, v3
	v_cmp_u_f32_e64 s5, v3, v3
	buffer_store_dword v4, off, s[0:3], s32 offset:788 ; 4-byte Folded Spill
	v_bfe_u32 v4, v3, 16, 1
	v_add3_u32 v4, v4, v3, 0x7fff
	v_cndmask_b32_e64 v3, v4, v14, s5
	buffer_store_dword v3, off, s[0:3], s32 offset:776 ; 4-byte Folded Spill
	v_mul_f32_e32 v3, v121, v10
	v_bfe_u32 v4, v3, 16, 1
	v_or_b32_e32 v10, 0x400000, v3
	v_cmp_u_f32_e64 s5, v3, v3
	v_add3_u32 v4, v4, v3, 0x7fff
	v_cndmask_b32_e64 v3, v4, v10, s5
	buffer_store_dword v3, off, s[0:3], s32 offset:784 ; 4-byte Folded Spill
	v_mul_f32_e32 v3, v121, v49
	v_bfe_u32 v4, v3, 16, 1
	v_or_b32_e32 v10, 0x400000, v3
	v_cmp_u_f32_e64 s5, v3, v3
	v_add3_u32 v4, v4, v3, 0x7fff
	v_cndmask_b32_e64 v3, v4, v10, s5
	v_or_b32_e32 v4, 0x400000, v2
	v_cmp_u_f32_e64 s5, v2, v2
	buffer_store_dword v3, off, s[0:3], s32 offset:792 ; 4-byte Folded Spill
	v_bfe_u32 v3, v2, 16, 1
	v_add3_u32 v3, v3, v2, 0x7fff
	v_cndmask_b32_e64 v2, v3, v4, s5
	buffer_store_dword v2, off, s[0:3], s32 offset:796 ; 4-byte Folded Spill
	v_mul_f32_e32 v2, v121, v11
	v_bfe_u32 v3, v2, 16, 1
	v_or_b32_e32 v4, 0x400000, v2
	v_cmp_u_f32_e64 s5, v2, v2
	v_add3_u32 v3, v3, v2, 0x7fff
	v_cndmask_b32_e64 v2, v3, v4, s5
	buffer_store_dword v2, off, s[0:3], s32 offset:800 ; 4-byte Folded Spill
	v_mul_f32_e32 v2, v121, v6
	v_bfe_u32 v3, v2, 16, 1
	v_or_b32_e32 v4, 0x400000, v2
	v_cmp_u_f32_e64 s5, v2, v2
	;; [unrolled: 7-line block ×3, first 2 shown]
	v_add3_u32 v3, v3, v2, 0x7fff
	v_cndmask_b32_e64 v2, v3, v4, s5
	v_or_b32_e32 v3, 0x400000, v1
	v_cmp_u_f32_e64 s5, v1, v1
	buffer_store_dword v2, off, s[0:3], s32 offset:812 ; 4-byte Folded Spill
	v_bfe_u32 v2, v1, 16, 1
	v_add3_u32 v2, v2, v1, 0x7fff
	v_cndmask_b32_e64 v1, v2, v3, s5
	v_or_b32_e32 v2, 0x400000, v0
	v_cmp_u_f32_e64 s5, v0, v0
	buffer_store_dword v1, off, s[0:3], s32 offset:820 ; 4-byte Folded Spill
	v_bfe_u32 v1, v0, 16, 1
	v_add3_u32 v1, v1, v0, 0x7fff
	v_cndmask_b32_e64 v0, v1, v2, s5
	buffer_store_dword v0, off, s[0:3], s32 offset:808 ; 4-byte Folded Spill
	v_mul_f32_e32 v0, v121, v126
	v_bfe_u32 v1, v0, 16, 1
	v_or_b32_e32 v2, 0x400000, v0
	v_cmp_u_f32_e64 s5, v0, v0
	v_add3_u32 v1, v1, v0, 0x7fff
	v_cndmask_b32_e64 v0, v1, v2, s5
	buffer_store_dword v0, off, s[0:3], s32 offset:816 ; 4-byte Folded Spill
	v_mul_f32_e32 v0, v121, v106
	v_bfe_u32 v1, v0, 16, 1
	v_or_b32_e32 v2, 0x400000, v0
	v_cmp_u_f32_e64 s5, v0, v0
	;; [unrolled: 7-line block ×3, first 2 shown]
	v_add3_u32 v1, v1, v0, 0x7fff
	v_mul_f32_e32 v0, v121, v43
	v_cndmask_b32_e64 v46, v1, v2, s5
	v_bfe_u32 v1, v0, 16, 1
	v_or_b32_e32 v2, 0x400000, v0
	v_cmp_u_f32_e64 s5, v0, v0
	v_add3_u32 v1, v1, v0, 0x7fff
	v_mul_f32_e32 v0, v121, v104
	v_cndmask_b32_e64 v45, v1, v2, s5
	v_bfe_u32 v1, v0, 16, 1
	v_or_b32_e32 v2, 0x400000, v0
	v_cmp_u_f32_e64 s5, v0, v0
	;; [unrolled: 6-line block ×26, first 2 shown]
	v_add3_u32 v2, v2, v0, 0x7fff
	buffer_load_dword v0, off, s[0:3], s32 offset:504 ; 4-byte Folded Reload
	v_cndmask_b32_e64 v61, v2, v3, s5
	s_waitcnt vmcnt(0)
	v_mul_f32_e32 v0, v121, v0
	v_bfe_u32 v2, v0, 16, 1
	v_or_b32_e32 v3, 0x400000, v0
	v_cmp_u_f32_e64 s5, v0, v0
	v_add3_u32 v2, v2, v0, 0x7fff
	buffer_load_dword v0, off, s[0:3], s32 offset:500 ; 4-byte Folded Reload
	v_cndmask_b32_e64 v63, v2, v3, s5
	s_waitcnt vmcnt(0)
	v_mul_f32_e32 v0, v121, v0
	v_bfe_u32 v2, v0, 16, 1
	v_or_b32_e32 v3, 0x400000, v0
	v_cmp_u_f32_e64 s5, v0, v0
	v_add3_u32 v2, v2, v0, 0x7fff
	v_mul_f32_e32 v0, v121, v74
	v_cndmask_b32_e64 v89, v2, v3, s5
	v_bfe_u32 v2, v0, 16, 1
	v_or_b32_e32 v3, 0x400000, v0
	v_cmp_u_f32_e64 s5, v0, v0
	v_add3_u32 v2, v2, v0, 0x7fff
	v_mul_f32_e32 v0, v121, v76
	v_cndmask_b32_e64 v62, v2, v3, s5
	v_bfe_u32 v2, v0, 16, 1
	v_or_b32_e32 v3, 0x400000, v0
	v_cmp_u_f32_e64 s5, v0, v0
	v_add3_u32 v2, v2, v0, 0x7fff
	buffer_load_dword v0, off, s[0:3], s32 offset:492 ; 4-byte Folded Reload
	v_cndmask_b32_e64 v74, v2, v3, s5
	s_waitcnt vmcnt(0)
	v_mul_f32_e32 v0, v121, v0
	v_bfe_u32 v2, v0, 16, 1
	v_or_b32_e32 v3, 0x400000, v0
	v_cmp_u_f32_e64 s5, v0, v0
	v_add3_u32 v2, v2, v0, 0x7fff
	buffer_load_dword v0, off, s[0:3], s32 offset:484 ; 4-byte Folded Reload
	v_cndmask_b32_e64 v76, v2, v3, s5
	s_waitcnt vmcnt(0)
	v_mul_f32_e32 v0, v121, v0
	v_bfe_u32 v2, v0, 16, 1
	v_or_b32_e32 v3, 0x400000, v0
	v_cmp_u_f32_e64 s5, v0, v0
	v_add3_u32 v2, v2, v0, 0x7fff
	buffer_load_dword v0, off, s[0:3], s32 offset:480 ; 4-byte Folded Reload
	v_cndmask_b32_e64 v122, v2, v3, s5
	s_waitcnt vmcnt(0)
	v_mul_f32_e32 v0, v121, v0
	v_bfe_u32 v2, v0, 16, 1
	v_or_b32_e32 v3, 0x400000, v0
	v_cmp_u_f32_e64 s5, v0, v0
	v_add3_u32 v2, v2, v0, 0x7fff
	buffer_load_dword v0, off, s[0:3], s32 offset:476 ; 4-byte Folded Reload
	v_cndmask_b32_e64 v108, v2, v3, s5
	s_waitcnt vmcnt(0)
	v_mul_f32_e32 v0, v121, v0
	v_bfe_u32 v2, v0, 16, 1
	v_or_b32_e32 v3, 0x400000, v0
	v_cmp_u_f32_e64 s5, v0, v0
	v_add3_u32 v2, v2, v0, 0x7fff
	buffer_load_dword v0, off, s[0:3], s32 offset:472 ; 4-byte Folded Reload
	v_cndmask_b32_e64 v1, v2, v3, s5
	s_waitcnt vmcnt(0)
	v_mul_f32_e32 v0, v121, v0
	v_bfe_u32 v2, v0, 16, 1
	v_or_b32_e32 v3, 0x400000, v0
	v_cmp_u_f32_e64 s5, v0, v0
	v_add3_u32 v2, v2, v0, 0x7fff
	buffer_load_dword v0, off, s[0:3], s32 offset:468 ; 4-byte Folded Reload
	v_cndmask_b32_e64 v106, v2, v3, s5
	s_waitcnt vmcnt(0)
	v_mul_f32_e32 v0, v121, v0
	v_bfe_u32 v2, v0, 16, 1
	v_or_b32_e32 v3, 0x400000, v0
	v_cmp_u_f32_e64 s5, v0, v0
	v_add3_u32 v2, v2, v0, 0x7fff
	buffer_load_dword v0, off, s[0:3], s32 offset:488 ; 4-byte Folded Reload
	v_cndmask_b32_e64 v105, v2, v3, s5
	s_waitcnt vmcnt(0)
	v_mul_f32_e32 v0, v121, v0
	v_bfe_u32 v2, v0, 16, 1
	v_or_b32_e32 v3, 0x400000, v0
	v_cmp_u_f32_e64 s5, v0, v0
	v_add3_u32 v2, v2, v0, 0x7fff
	buffer_load_dword v0, off, s[0:3], s32 offset:496 ; 4-byte Folded Reload
	v_cndmask_b32_e64 v111, v2, v3, s5
	s_waitcnt vmcnt(0)
	v_mul_f32_e32 v0, v121, v0
	v_bfe_u32 v2, v0, 16, 1
	v_or_b32_e32 v3, 0x400000, v0
	v_cmp_u_f32_e64 s5, v0, v0
	v_add3_u32 v2, v2, v0, 0x7fff
	buffer_load_dword v0, off, s[0:3], s32 offset:460 ; 4-byte Folded Reload
	v_cndmask_b32_e64 v126, v2, v3, s5
	s_waitcnt vmcnt(0)
	v_mul_f32_e32 v0, v121, v0
	v_bfe_u32 v2, v0, 16, 1
	v_or_b32_e32 v3, 0x400000, v0
	v_cmp_u_f32_e64 s5, v0, v0
	v_add3_u32 v2, v2, v0, 0x7fff
	buffer_load_dword v0, off, s[0:3], s32 offset:452 ; 4-byte Folded Reload
	v_cndmask_b32_e64 v104, v2, v3, s5
	s_waitcnt vmcnt(0)
	v_mul_f32_e32 v0, v121, v0
	v_bfe_u32 v2, v0, 16, 1
	v_or_b32_e32 v3, 0x400000, v0
	v_cmp_u_f32_e64 s5, v0, v0
	v_add3_u32 v2, v2, v0, 0x7fff
	buffer_load_dword v0, off, s[0:3], s32 offset:448 ; 4-byte Folded Reload
	v_cndmask_b32_e64 v14, v2, v3, s5
	s_waitcnt vmcnt(0)
	v_mul_f32_e32 v0, v121, v0
	v_bfe_u32 v2, v0, 16, 1
	v_or_b32_e32 v3, 0x400000, v0
	v_cmp_u_f32_e64 s5, v0, v0
	v_add3_u32 v2, v2, v0, 0x7fff
	buffer_load_dword v0, off, s[0:3], s32 offset:444 ; 4-byte Folded Reload
	v_cndmask_b32_e64 v15, v2, v3, s5
	s_waitcnt vmcnt(0)
	v_mul_f32_e32 v0, v121, v0
	v_bfe_u32 v2, v0, 16, 1
	v_or_b32_e32 v3, 0x400000, v0
	v_cmp_u_f32_e64 s5, v0, v0
	v_add3_u32 v2, v2, v0, 0x7fff
	buffer_load_dword v0, off, s[0:3], s32 offset:440 ; 4-byte Folded Reload
	v_cndmask_b32_e64 v113, v2, v3, s5
	s_waitcnt vmcnt(0)
	v_mul_f32_e32 v0, v121, v0
	v_bfe_u32 v2, v0, 16, 1
	v_or_b32_e32 v3, 0x400000, v0
	v_cmp_u_f32_e64 s5, v0, v0
	v_add3_u32 v2, v2, v0, 0x7fff
	buffer_load_dword v0, off, s[0:3], s32 offset:436 ; 4-byte Folded Reload
	v_cndmask_b32_e64 v96, v2, v3, s5
	s_waitcnt vmcnt(0)
	v_mul_f32_e32 v0, v121, v0
	v_bfe_u32 v2, v0, 16, 1
	v_or_b32_e32 v3, 0x400000, v0
	v_cmp_u_f32_e64 s5, v0, v0
	v_add3_u32 v2, v2, v0, 0x7fff
	buffer_load_dword v0, off, s[0:3], s32 offset:456 ; 4-byte Folded Reload
	v_cndmask_b32_e64 v86, v2, v3, s5
	s_waitcnt vmcnt(0)
	v_mul_f32_e32 v0, v121, v0
	v_bfe_u32 v2, v0, 16, 1
	v_or_b32_e32 v3, 0x400000, v0
	v_cmp_u_f32_e64 s5, v0, v0
	v_add3_u32 v2, v2, v0, 0x7fff
	buffer_load_dword v0, off, s[0:3], s32 offset:464 ; 4-byte Folded Reload
	v_cndmask_b32_e64 v98, v2, v3, s5
	s_waitcnt vmcnt(0)
	v_mul_f32_e32 v0, v121, v0
	v_bfe_u32 v2, v0, 16, 1
	v_or_b32_e32 v3, 0x400000, v0
	v_cmp_u_f32_e64 s5, v0, v0
	v_add3_u32 v2, v2, v0, 0x7fff
	buffer_load_dword v0, off, s[0:3], s32 offset:428 ; 4-byte Folded Reload
	v_cndmask_b32_e64 v85, v2, v3, s5
	s_waitcnt vmcnt(0)
	v_mul_f32_e32 v0, v121, v0
	v_bfe_u32 v2, v0, 16, 1
	v_or_b32_e32 v3, 0x400000, v0
	v_cmp_u_f32_e64 s5, v0, v0
	v_add3_u32 v2, v2, v0, 0x7fff
	buffer_load_dword v0, off, s[0:3], s32 offset:420 ; 4-byte Folded Reload
	v_cndmask_b32_e64 v84, v2, v3, s5
	s_waitcnt vmcnt(0)
	v_mul_f32_e32 v0, v121, v0
	v_bfe_u32 v2, v0, 16, 1
	v_or_b32_e32 v3, 0x400000, v0
	v_cmp_u_f32_e64 s5, v0, v0
	v_add3_u32 v2, v2, v0, 0x7fff
	buffer_load_dword v0, off, s[0:3], s32 offset:416 ; 4-byte Folded Reload
	v_cndmask_b32_e64 v82, v2, v3, s5
	s_waitcnt vmcnt(0)
	v_mul_f32_e32 v0, v121, v0
	v_bfe_u32 v2, v0, 16, 1
	v_or_b32_e32 v3, 0x400000, v0
	v_cmp_u_f32_e64 s5, v0, v0
	v_add3_u32 v2, v2, v0, 0x7fff
	buffer_load_dword v0, off, s[0:3], s32 offset:412 ; 4-byte Folded Reload
	v_cndmask_b32_e64 v83, v2, v3, s5
	s_waitcnt vmcnt(0)
	v_mul_f32_e32 v0, v121, v0
	v_bfe_u32 v2, v0, 16, 1
	v_or_b32_e32 v3, 0x400000, v0
	v_cmp_u_f32_e64 s5, v0, v0
	v_add3_u32 v2, v2, v0, 0x7fff
	buffer_load_dword v0, off, s[0:3], s32 offset:408 ; 4-byte Folded Reload
	v_cndmask_b32_e64 v87, v2, v3, s5
	s_waitcnt vmcnt(0)
	v_mul_f32_e32 v0, v121, v0
	v_bfe_u32 v2, v0, 16, 1
	v_or_b32_e32 v3, 0x400000, v0
	v_cmp_u_f32_e64 s5, v0, v0
	v_add3_u32 v2, v2, v0, 0x7fff
	buffer_load_dword v0, off, s[0:3], s32 offset:404 ; 4-byte Folded Reload
	v_cndmask_b32_e64 v100, v2, v3, s5
	s_waitcnt vmcnt(0)
	v_mul_f32_e32 v0, v121, v0
	v_bfe_u32 v2, v0, 16, 1
	v_or_b32_e32 v3, 0x400000, v0
	v_cmp_u_f32_e64 s5, v0, v0
	v_add3_u32 v2, v2, v0, 0x7fff
	buffer_load_dword v0, off, s[0:3], s32 offset:424 ; 4-byte Folded Reload
	v_cndmask_b32_e64 v69, v2, v3, s5
	s_waitcnt vmcnt(0)
	v_mul_f32_e32 v0, v121, v0
	v_bfe_u32 v2, v0, 16, 1
	v_or_b32_e32 v3, 0x400000, v0
	v_cmp_u_f32_e64 s5, v0, v0
	v_add3_u32 v2, v2, v0, 0x7fff
	buffer_load_dword v0, off, s[0:3], s32 offset:432 ; 4-byte Folded Reload
	v_cndmask_b32_e64 v99, v2, v3, s5
	s_waitcnt vmcnt(0)
	v_mul_f32_e32 v0, v121, v0
	v_bfe_u32 v2, v0, 16, 1
	v_or_b32_e32 v3, 0x400000, v0
	v_cmp_u_f32_e64 s5, v0, v0
	v_add3_u32 v2, v2, v0, 0x7fff
	buffer_load_dword v0, off, s[0:3], s32 offset:396 ; 4-byte Folded Reload
	v_cndmask_b32_e64 v80, v2, v3, s5
	s_waitcnt vmcnt(0)
	v_mul_f32_e32 v0, v121, v0
	v_bfe_u32 v2, v0, 16, 1
	v_or_b32_e32 v3, 0x400000, v0
	v_cmp_u_f32_e64 s5, v0, v0
	v_add3_u32 v2, v2, v0, 0x7fff
	buffer_load_dword v0, off, s[0:3], s32 offset:388 ; 4-byte Folded Reload
	v_cndmask_b32_e64 v70, v2, v3, s5
	s_waitcnt vmcnt(0)
	v_mul_f32_e32 v0, v121, v0
	v_bfe_u32 v2, v0, 16, 1
	v_or_b32_e32 v3, 0x400000, v0
	v_cmp_u_f32_e64 s5, v0, v0
	v_add3_u32 v2, v2, v0, 0x7fff
	buffer_load_dword v0, off, s[0:3], s32 offset:384 ; 4-byte Folded Reload
	v_cndmask_b32_e64 v68, v2, v3, s5
	s_waitcnt vmcnt(0)
	v_mul_f32_e32 v0, v121, v0
	v_bfe_u32 v2, v0, 16, 1
	v_or_b32_e32 v3, 0x400000, v0
	v_cmp_u_f32_e64 s5, v0, v0
	v_add3_u32 v2, v2, v0, 0x7fff
	buffer_load_dword v0, off, s[0:3], s32 offset:380 ; 4-byte Folded Reload
	v_cndmask_b32_e64 v67, v2, v3, s5
	s_waitcnt vmcnt(0)
	v_mul_f32_e32 v0, v121, v0
	v_bfe_u32 v2, v0, 16, 1
	v_or_b32_e32 v3, 0x400000, v0
	v_cmp_u_f32_e64 s5, v0, v0
	v_add3_u32 v2, v2, v0, 0x7fff
	buffer_load_dword v0, off, s[0:3], s32 offset:376 ; 4-byte Folded Reload
	v_cndmask_b32_e64 v97, v2, v3, s5
	s_waitcnt vmcnt(0)
	v_mul_f32_e32 v0, v121, v0
	v_bfe_u32 v2, v0, 16, 1
	v_or_b32_e32 v3, 0x400000, v0
	v_cmp_u_f32_e64 s5, v0, v0
	v_add3_u32 v2, v2, v0, 0x7fff
	buffer_load_dword v0, off, s[0:3], s32 offset:372 ; 4-byte Folded Reload
	v_cndmask_b32_e64 v102, v2, v3, s5
	s_waitcnt vmcnt(0)
	v_mul_f32_e32 v0, v121, v0
	v_bfe_u32 v2, v0, 16, 1
	v_or_b32_e32 v3, 0x400000, v0
	v_cmp_u_f32_e64 s5, v0, v0
	v_add3_u32 v2, v2, v0, 0x7fff
	buffer_load_dword v0, off, s[0:3], s32 offset:392 ; 4-byte Folded Reload
	v_cndmask_b32_e64 v52, v2, v3, s5
	s_waitcnt vmcnt(0)
	v_mul_f32_e32 v0, v121, v0
	v_bfe_u32 v2, v0, 16, 1
	v_or_b32_e32 v3, 0x400000, v0
	v_cmp_u_f32_e64 s5, v0, v0
	v_add3_u32 v2, v2, v0, 0x7fff
	buffer_load_dword v0, off, s[0:3], s32 offset:400 ; 4-byte Folded Reload
	v_cndmask_b32_e64 v101, v2, v3, s5
	s_waitcnt vmcnt(0)
	v_mul_f32_e32 v0, v121, v0
	v_bfe_u32 v2, v0, 16, 1
	v_or_b32_e32 v3, 0x400000, v0
	v_cmp_u_f32_e64 s5, v0, v0
	v_add3_u32 v2, v2, v0, 0x7fff
	buffer_load_dword v0, off, s[0:3], s32 offset:364 ; 4-byte Folded Reload
	v_cndmask_b32_e64 v64, v2, v3, s5
	s_waitcnt vmcnt(0)
	v_mul_f32_e32 v0, v121, v0
	v_bfe_u32 v2, v0, 16, 1
	v_or_b32_e32 v3, 0x400000, v0
	v_cmp_u_f32_e64 s5, v0, v0
	v_add3_u32 v2, v2, v0, 0x7fff
	buffer_load_dword v0, off, s[0:3], s32 offset:356 ; 4-byte Folded Reload
	v_cndmask_b32_e64 v81, v2, v3, s5
	s_waitcnt vmcnt(0)
	v_mul_f32_e32 v0, v121, v0
	v_bfe_u32 v2, v0, 16, 1
	v_or_b32_e32 v3, 0x400000, v0
	v_cmp_u_f32_e64 s5, v0, v0
	v_add3_u32 v2, v2, v0, 0x7fff
	buffer_load_dword v0, off, s[0:3], s32 offset:352 ; 4-byte Folded Reload
	v_cndmask_b32_e64 v103, v2, v3, s5
	s_waitcnt vmcnt(0)
	v_mul_f32_e32 v0, v121, v0
	v_bfe_u32 v2, v0, 16, 1
	v_or_b32_e32 v3, 0x400000, v0
	v_cmp_u_f32_e64 s5, v0, v0
	v_add3_u32 v2, v2, v0, 0x7fff
	buffer_load_dword v0, off, s[0:3], s32 offset:348 ; 4-byte Folded Reload
	v_cndmask_b32_e64 v48, v2, v3, s5
	s_waitcnt vmcnt(0)
	v_mul_f32_e32 v0, v121, v0
	v_bfe_u32 v2, v0, 16, 1
	v_or_b32_e32 v3, 0x400000, v0
	v_cmp_u_f32_e64 s5, v0, v0
	v_add3_u32 v2, v2, v0, 0x7fff
	buffer_load_dword v0, off, s[0:3], s32 offset:344 ; 4-byte Folded Reload
	v_cndmask_b32_e64 v37, v2, v3, s5
	s_waitcnt vmcnt(0)
	v_mul_f32_e32 v0, v121, v0
	v_bfe_u32 v2, v0, 16, 1
	v_or_b32_e32 v3, 0x400000, v0
	v_cmp_u_f32_e64 s5, v0, v0
	v_add3_u32 v2, v2, v0, 0x7fff
	buffer_load_dword v0, off, s[0:3], s32 offset:340 ; 4-byte Folded Reload
	v_cndmask_b32_e64 v112, v2, v3, s5
	s_waitcnt vmcnt(0)
	v_mul_f32_e32 v0, v121, v0
	v_bfe_u32 v2, v0, 16, 1
	v_or_b32_e32 v3, 0x400000, v0
	v_cmp_u_f32_e64 s5, v0, v0
	v_add3_u32 v2, v2, v0, 0x7fff
	buffer_load_dword v0, off, s[0:3], s32 offset:360 ; 4-byte Folded Reload
	v_cndmask_b32_e64 v34, v2, v3, s5
	s_waitcnt vmcnt(0)
	v_mul_f32_e32 v0, v121, v0
	v_bfe_u32 v2, v0, 16, 1
	v_or_b32_e32 v3, 0x400000, v0
	v_cmp_u_f32_e64 s5, v0, v0
	v_add3_u32 v2, v2, v0, 0x7fff
	buffer_load_dword v0, off, s[0:3], s32 offset:368 ; 4-byte Folded Reload
	v_cndmask_b32_e64 v38, v2, v3, s5
	s_waitcnt vmcnt(0)
	v_mul_f32_e32 v0, v121, v0
	v_bfe_u32 v2, v0, 16, 1
	v_or_b32_e32 v3, 0x400000, v0
	v_cmp_u_f32_e64 s5, v0, v0
	v_add3_u32 v2, v2, v0, 0x7fff
	buffer_load_dword v0, off, s[0:3], s32 offset:332 ; 4-byte Folded Reload
	v_cndmask_b32_e64 v36, v2, v3, s5
	s_waitcnt vmcnt(0)
	v_mul_f32_e32 v0, v121, v0
	v_bfe_u32 v2, v0, 16, 1
	v_or_b32_e32 v3, 0x400000, v0
	v_cmp_u_f32_e64 s5, v0, v0
	v_add3_u32 v2, v2, v0, 0x7fff
	buffer_load_dword v0, off, s[0:3], s32 offset:324 ; 4-byte Folded Reload
	v_cndmask_b32_e64 v35, v2, v3, s5
	s_waitcnt vmcnt(0)
	v_mul_f32_e32 v0, v121, v0
	v_bfe_u32 v2, v0, 16, 1
	v_or_b32_e32 v3, 0x400000, v0
	v_cmp_u_f32_e64 s5, v0, v0
	v_add3_u32 v2, v2, v0, 0x7fff
	buffer_load_dword v0, off, s[0:3], s32 offset:320 ; 4-byte Folded Reload
	v_cndmask_b32_e64 v39, v2, v3, s5
	s_waitcnt vmcnt(0)
	v_mul_f32_e32 v0, v121, v0
	v_bfe_u32 v2, v0, 16, 1
	v_or_b32_e32 v3, 0x400000, v0
	v_cmp_u_f32_e64 s5, v0, v0
	v_add3_u32 v2, v2, v0, 0x7fff
	buffer_load_dword v0, off, s[0:3], s32 offset:316 ; 4-byte Folded Reload
	v_cndmask_b32_e64 v65, v2, v3, s5
	s_waitcnt vmcnt(0)
	v_mul_f32_e32 v0, v121, v0
	v_bfe_u32 v2, v0, 16, 1
	v_or_b32_e32 v3, 0x400000, v0
	v_cmp_u_f32_e64 s5, v0, v0
	v_add3_u32 v2, v2, v0, 0x7fff
	buffer_load_dword v0, off, s[0:3], s32 offset:312 ; 4-byte Folded Reload
	v_cndmask_b32_e64 v31, v2, v3, s5
	s_waitcnt vmcnt(0)
	v_mul_f32_e32 v0, v121, v0
	v_bfe_u32 v2, v0, 16, 1
	v_or_b32_e32 v3, 0x400000, v0
	v_cmp_u_f32_e64 s5, v0, v0
	v_add3_u32 v2, v2, v0, 0x7fff
	buffer_load_dword v0, off, s[0:3], s32 offset:308 ; 4-byte Folded Reload
	v_cndmask_b32_e64 v23, v2, v3, s5
	s_waitcnt vmcnt(0)
	v_mul_f32_e32 v0, v121, v0
	v_bfe_u32 v2, v0, 16, 1
	v_or_b32_e32 v3, 0x400000, v0
	v_cmp_u_f32_e64 s5, v0, v0
	v_add3_u32 v2, v2, v0, 0x7fff
	buffer_load_dword v0, off, s[0:3], s32 offset:328 ; 4-byte Folded Reload
	v_cndmask_b32_e64 v19, v2, v3, s5
	s_waitcnt vmcnt(0)
	v_mul_f32_e32 v0, v121, v0
	v_bfe_u32 v2, v0, 16, 1
	v_or_b32_e32 v3, 0x400000, v0
	v_cmp_u_f32_e64 s5, v0, v0
	v_add3_u32 v2, v2, v0, 0x7fff
	buffer_load_dword v0, off, s[0:3], s32 offset:336 ; 4-byte Folded Reload
	v_cndmask_b32_e64 v114, v2, v3, s5
	s_waitcnt vmcnt(0)
	v_mul_f32_e32 v0, v121, v0
	v_bfe_u32 v2, v0, 16, 1
	v_or_b32_e32 v3, 0x400000, v0
	v_cmp_u_f32_e64 s5, v0, v0
	v_add3_u32 v2, v2, v0, 0x7fff
	buffer_load_dword v0, off, s[0:3], s32 offset:300 ; 4-byte Folded Reload
	v_cndmask_b32_e64 v22, v2, v3, s5
	s_waitcnt vmcnt(0)
	v_mul_f32_e32 v0, v121, v0
	v_bfe_u32 v2, v0, 16, 1
	v_or_b32_e32 v3, 0x400000, v0
	v_cmp_u_f32_e64 s5, v0, v0
	v_add3_u32 v2, v2, v0, 0x7fff
	buffer_load_dword v0, off, s[0:3], s32 offset:292 ; 4-byte Folded Reload
	v_cndmask_b32_e64 v3, v2, v3, s5
	v_and_b32_e32 v3, 0xffff0000, v3
	s_waitcnt vmcnt(0)
	v_mul_f32_e32 v0, v121, v0
	v_bfe_u32 v2, v0, 16, 1
	v_or_b32_e32 v10, 0x400000, v0
	v_cmp_u_f32_e64 s5, v0, v0
	v_add3_u32 v2, v2, v0, 0x7fff
	buffer_load_dword v0, off, s[0:3], s32 offset:288 ; 4-byte Folded Reload
	v_cndmask_b32_e64 v30, v2, v10, s5
	s_waitcnt vmcnt(0)
	v_mul_f32_e32 v0, v121, v0
	v_bfe_u32 v2, v0, 16, 1
	v_or_b32_e32 v10, 0x400000, v0
	v_cmp_u_f32_e64 s5, v0, v0
	v_add3_u32 v2, v2, v0, 0x7fff
	buffer_load_dword v0, off, s[0:3], s32 offset:284 ; 4-byte Folded Reload
	v_cndmask_b32_e64 v115, v2, v10, s5
	;; [unrolled: 8-line block ×4, first 2 shown]
	v_and_b32_e32 v10, 0xffff0000, v10
	s_waitcnt vmcnt(0)
	v_mul_f32_e32 v0, v121, v0
	v_bfe_u32 v2, v0, 16, 1
	v_or_b32_e32 v32, 0x400000, v0
	v_cmp_u_f32_e64 s5, v0, v0
	v_add3_u32 v2, v2, v0, 0x7fff
	buffer_load_dword v0, off, s[0:3], s32 offset:296 ; 4-byte Folded Reload
	v_cndmask_b32_e64 v33, v2, v32, s5
	s_waitcnt vmcnt(0)
	v_mul_f32_e32 v0, v121, v0
	v_bfe_u32 v2, v0, 16, 1
	v_or_b32_e32 v32, 0x400000, v0
	v_cmp_u_f32_e64 s5, v0, v0
	v_add3_u32 v2, v2, v0, 0x7fff
	buffer_load_dword v0, off, s[0:3], s32 offset:304 ; 4-byte Folded Reload
	v_cndmask_b32_e64 v2, v2, v32, s5
	v_and_b32_e32 v2, 0xffff0000, v2
	s_waitcnt vmcnt(0)
	v_mul_f32_e32 v0, v121, v0
	v_bfe_u32 v32, v0, 16, 1
	v_or_b32_e32 v50, 0x400000, v0
	v_cmp_u_f32_e64 s5, v0, v0
	v_add3_u32 v32, v32, v0, 0x7fff
	v_cndmask_b32_e64 v0, v32, v50, s5
	v_mul_f32_e32 v32, v121, v25
	buffer_load_dword v25, off, s[0:3], s32 offset:260 ; 4-byte Folded Reload
	v_and_b32_e32 v0, 0xffff0000, v0
	v_bfe_u32 v50, v32, 16, 1
	v_or_b32_e32 v51, 0x400000, v32
	v_cmp_u_f32_e64 s5, v32, v32
	v_add3_u32 v50, v50, v32, 0x7fff
	v_cndmask_b32_e64 v32, v50, v51, s5
	s_waitcnt vmcnt(0)
	v_mul_f32_e32 v50, v121, v25
	buffer_load_dword v25, off, s[0:3], s32 offset:256 ; 4-byte Folded Reload
	v_bfe_u32 v51, v50, 16, 1
	v_or_b32_e32 v53, 0x400000, v50
	v_cmp_u_f32_e64 s5, v50, v50
	v_add3_u32 v51, v51, v50, 0x7fff
	v_cndmask_b32_e64 v43, v51, v53, s5
	s_waitcnt vmcnt(0)
	v_mul_f32_e32 v50, v121, v25
	buffer_load_dword v25, off, s[0:3], s32 offset:252 ; 4-byte Folded Reload
	;; [unrolled: 8-line block ×16, first 2 shown]
	v_bfe_u32 v71, v66, 16, 1
	v_or_b32_e32 v109, 0x400000, v66
	v_cmp_u_f32_e64 s5, v66, v66
	v_add3_u32 v71, v71, v66, 0x7fff
	v_mul_f32_e32 v66, v121, v59
	v_cndmask_b32_e64 v119, v71, v109, s5
	v_bfe_u32 v71, v66, 16, 1
	v_or_b32_e32 v109, 0x400000, v66
	v_cmp_u_f32_e64 s5, v66, v66
	v_add3_u32 v71, v71, v66, 0x7fff
	v_mul_f32_e32 v66, v121, v40
	v_cndmask_b32_e64 v90, v71, v109, s5
	;; [unrolled: 6-line block ×3, first 2 shown]
	v_bfe_u32 v71, v66, 16, 1
	v_or_b32_e32 v109, 0x400000, v66
	v_cmp_u_f32_e64 s5, v66, v66
	v_add3_u32 v71, v71, v66, 0x7fff
	v_cndmask_b32_e64 v92, v71, v109, s5
	s_waitcnt vmcnt(0)
	v_mul_f32_e32 v66, v121, v25
	buffer_load_dword v25, off, s[0:3], s32 offset:200 ; 4-byte Folded Reload
	v_bfe_u32 v71, v66, 16, 1
	v_or_b32_e32 v109, 0x400000, v66
	v_cmp_u_f32_e64 s5, v66, v66
	v_add3_u32 v71, v71, v66, 0x7fff
	v_mul_f32_e32 v66, v121, v29
	v_cndmask_b32_e64 v59, v71, v109, s5
	v_bfe_u32 v71, v66, 16, 1
	v_or_b32_e32 v109, 0x400000, v66
	v_cmp_u_f32_e64 s5, v66, v66
	v_add3_u32 v71, v71, v66, 0x7fff
	v_cndmask_b32_e64 v29, v71, v109, s5
	s_waitcnt vmcnt(0)
	v_mul_f32_e32 v66, v121, v25
	buffer_load_dword v25, off, s[0:3], s32 offset:208 ; 4-byte Folded Reload
	v_bfe_u32 v71, v66, 16, 1
	v_or_b32_e32 v109, 0x400000, v66
	v_cmp_u_f32_e64 s5, v66, v66
	v_add3_u32 v71, v71, v66, 0x7fff
	v_cndmask_b32_e64 v28, v71, v109, s5
	s_waitcnt vmcnt(0)
	v_mul_f32_e32 v66, v121, v25
	v_bfe_u32 v71, v66, 16, 1
	v_or_b32_e32 v109, 0x400000, v66
	v_cmp_u_f32_e64 s5, v66, v66
	v_add3_u32 v71, v71, v66, 0x7fff
	v_mul_f32_e32 v66, v121, v58
	v_cndmask_b32_e64 v25, v71, v109, s5
	v_bfe_u32 v71, v66, 16, 1
	v_or_b32_e32 v58, 0x400000, v66
	v_cmp_u_f32_e64 s5, v66, v66
	v_add3_u32 v71, v71, v66, 0x7fff
	v_mul_f32_e32 v66, v121, v47
	v_cndmask_b32_e64 v58, v71, v58, s5
	;; [unrolled: 6-line block ×4, first 2 shown]
	v_bfe_u32 v71, v66, 16, 1
	v_or_b32_e32 v42, 0x400000, v66
	v_cmp_u_f32_e64 s5, v66, v66
	v_add3_u32 v71, v71, v66, 0x7fff
	buffer_load_dword v66, off, s[0:3], s32 offset:568 ; 4-byte Folded Reload
	v_cndmask_b32_e64 v42, v71, v42, s5
	s_waitcnt vmcnt(0)
	v_mul_f32_e32 v66, v121, v66
	v_bfe_u32 v71, v66, 16, 1
	v_or_b32_e32 v109, 0x400000, v66
	v_cmp_u_f32_e64 s5, v66, v66
	v_add3_u32 v71, v71, v66, 0x7fff
	buffer_load_dword v66, off, s[0:3], s32 offset:520 ; 4-byte Folded Reload
	v_cndmask_b32_e64 v109, v71, v109, s5
	s_waitcnt vmcnt(0)
	v_mul_f32_e32 v66, v121, v66
	v_bfe_u32 v71, v66, 16, 1
	v_or_b32_e32 v40, 0x400000, v66
	v_cmp_u_f32_e64 s5, v66, v66
	v_add3_u32 v71, v71, v66, 0x7fff
	v_bfe_u32 v66, v20, 16, 1
	v_cndmask_b32_e64 v71, v71, v40, s5
	v_add3_u32 v66, v66, v20, 0x7fff
	v_or_b32_e32 v40, 0x400000, v20
	v_cmp_u_f32_e64 s5, v20, v20
	v_bfe_u32 v20, v24, 16, 1
	v_cndmask_b32_e64 v66, v66, v40, s5
	v_add3_u32 v20, v20, v24, 0x7fff
	v_or_b32_e32 v40, 0x400000, v24
	v_cmp_u_f32_e64 s5, v24, v24
	v_and_b32_e32 v24, 0xffff0000, v29
	buffer_load_dword v29, off, s[0:3], s32 offset:884 ; 4-byte Folded Reload
	v_cndmask_b32_e64 v40, v20, v40, s5
	v_and_b32_e32 v20, 0xffff0000, v57
	v_cmp_lt_i32_e64 s5, v110, v88
	s_waitcnt vmcnt(0)
	v_mul_f32_e32 v57, v29, v20
	s_clause 0x1
	buffer_load_dword v20, off, s[0:3], s32 offset:852
	buffer_load_dword v29, off, s[0:3], s32 offset:888
	s_waitcnt vmcnt(1)
	v_fmac_f32_e32 v57, v20, v24
	v_and_b32_e32 v20, 0xffff0000, v55
	v_and_b32_e32 v24, 0xffff0000, v59
	s_waitcnt vmcnt(0)
	v_mul_f32_e32 v59, v29, v20
	s_clause 0x1
	buffer_load_dword v20, off, s[0:3], s32 offset:856
	buffer_load_dword v29, off, s[0:3], s32 offset:892
	s_waitcnt vmcnt(1)
	v_fmac_f32_e32 v59, v20, v24
	v_and_b32_e32 v20, 0xffff0000, v54
	v_and_b32_e32 v24, 0xffff0000, v92
	;; [unrolled: 9-line block ×5, first 2 shown]
	s_waitcnt vmcnt(0)
	v_mul_f32_e32 v50, v29, v20
	buffer_load_dword v20, off, s[0:3], s32 offset:872 ; 4-byte Folded Reload
	s_waitcnt vmcnt(0)
	v_fmac_f32_e32 v50, v20, v24
	v_and_b32_e32 v24, 0xffff0000, v28
	buffer_load_dword v28, off, s[0:3], s32 offset:908 ; 4-byte Folded Reload
	v_and_b32_e32 v20, 0xffff0000, v93
	s_waitcnt vmcnt(0)
	v_mul_f32_e32 v51, v28, v20
	buffer_load_dword v20, off, s[0:3], s32 offset:876 ; 4-byte Folded Reload
	s_waitcnt vmcnt(0)
	v_fmac_f32_e32 v51, v20, v24
	v_and_b32_e32 v24, 0xffff0000, v25
	buffer_load_dword v25, off, s[0:3], s32 offset:912 ; 4-byte Folded Reload
	v_and_b32_e32 v20, 0xffff0000, v118
	s_waitcnt vmcnt(0)
	v_mul_f32_e32 v55, v25, v20
	buffer_load_dword v20, off, s[0:3], s32 offset:880 ; 4-byte Folded Reload
	s_waitcnt vmcnt(0)
	v_fmac_f32_e32 v55, v20, v24
	buffer_load_dword v24, off, s[0:3], s32 offset:916 ; 4-byte Folded Reload
	v_and_b32_e32 v20, 0xffff0000, v94
	s_waitcnt vmcnt(0)
	v_fmac_f32_e32 v57, v24, v20
	buffer_load_dword v24, off, s[0:3], s32 offset:920 ; 4-byte Folded Reload
	v_and_b32_e32 v20, 0xffff0000, v123
	;; [unrolled: 4-line block ×9, first 2 shown]
	s_waitcnt vmcnt(0)
	v_fmac_f32_e32 v57, v24, v20
	buffer_load_dword v20, off, s[0:3], s32 offset:952 ; 4-byte Folded Reload
	s_waitcnt vmcnt(0)
	v_fmac_f32_e32 v59, v20, v10
	buffer_load_dword v20, off, s[0:3], s32 offset:956 ; 4-byte Folded Reload
	v_and_b32_e32 v10, 0xffff0000, v49
	s_waitcnt vmcnt(0)
	v_fmac_f32_e32 v121, v20, v10
	buffer_load_dword v20, off, s[0:3], s32 offset:960 ; 4-byte Folded Reload
	v_and_b32_e32 v10, 0xffff0000, v115
	;; [unrolled: 4-line block ×3, first 2 shown]
	s_waitcnt vmcnt(0)
	v_fmac_f32_e32 v54, v20, v10
	buffer_load_dword v10, off, s[0:3], s32 offset:968 ; 4-byte Folded Reload
	s_waitcnt vmcnt(0)
	v_fmac_f32_e32 v50, v10, v3
	buffer_load_dword v3, off, s[0:3], s32 offset:972 ; 4-byte Folded Reload
	;; [unrolled: 3-line block ×4, first 2 shown]
	v_and_b32_e32 v0, 0xffff0000, v19
	s_waitcnt vmcnt(0)
	v_fmac_f32_e32 v57, v2, v0
	buffer_load_dword v2, off, s[0:3], s32 offset:984 ; 4-byte Folded Reload
	v_and_b32_e32 v0, 0xffff0000, v23
	s_waitcnt vmcnt(0)
	v_fmac_f32_e32 v59, v2, v0
	buffer_load_dword v2, off, s[0:3], s32 offset:988 ; 4-byte Folded Reload
	;; [unrolled: 4-line block ×42, first 2 shown]
	v_and_b32_e32 v0, 0xffff0000, v1
	buffer_load_dword v1, off, s[0:3], s32 offset:1236 ; 4-byte Folded Reload
	s_waitcnt vmcnt(1)
	v_fmac_f32_e32 v121, v2, v0
	buffer_load_dword v2, off, s[0:3], s32 offset:1152 ; 4-byte Folded Reload
	v_and_b32_e32 v0, 0xffff0000, v108
	s_waitcnt vmcnt(0)
	v_fmac_f32_e32 v53, v2, v0
	buffer_load_dword v2, off, s[0:3], s32 offset:1156 ; 4-byte Folded Reload
	v_and_b32_e32 v0, 0xffff0000, v122
	;; [unrolled: 4-line block ×21, first 2 shown]
	s_waitcnt vmcnt(0)
	v_fmac_f32_e32 v55, v2, v0
	v_and_b32_e32 v0, 0xffff0000, v6
	buffer_load_dword v2, off, s[0:3], s32 offset:1600 ; 4-byte Folded Reload
	v_fmac_f32_e32 v57, v1, v0
	buffer_load_dword v1, off, s[0:3], s32 offset:1240 ; 4-byte Folded Reload
	v_and_b32_e32 v0, 0xffff0000, v8
	s_waitcnt vmcnt(0)
	v_fmac_f32_e32 v59, v1, v0
	buffer_load_dword v1, off, s[0:3], s32 offset:1244 ; 4-byte Folded Reload
	v_and_b32_e32 v0, 0xffff0000, v60
	s_waitcnt vmcnt(0)
	;; [unrolled: 4-line block ×12, first 2 shown]
	v_fmac_f32_e32 v54, v1, v0
	s_clause 0x1
	buffer_load_dword v0, off, s[0:3], s32 offset:824
	buffer_load_dword v1, off, s[0:3], s32 offset:1288
	s_waitcnt vmcnt(1)
	v_and_b32_e32 v0, 0xffff0000, v0
	s_waitcnt vmcnt(0)
	v_fmac_f32_e32 v50, v1, v0
	buffer_load_dword v1, off, s[0:3], s32 offset:1292 ; 4-byte Folded Reload
	v_and_b32_e32 v0, 0xffff0000, v117
	s_waitcnt vmcnt(0)
	v_fmac_f32_e32 v51, v1, v0
	buffer_load_dword v1, off, s[0:3], s32 offset:1296 ; 4-byte Folded Reload
	v_and_b32_e32 v0, 0xffff0000, v26
	s_waitcnt vmcnt(0)
	v_fmac_f32_e32 v55, v1, v0
	s_clause 0x1
	buffer_load_dword v0, off, s[0:3], s32 offset:820
	buffer_load_dword v1, off, s[0:3], s32 offset:1300
	s_waitcnt vmcnt(1)
	v_and_b32_e32 v0, 0xffff0000, v0
	s_waitcnt vmcnt(0)
	v_fmac_f32_e32 v57, v1, v0
	s_clause 0x1
	buffer_load_dword v0, off, s[0:3], s32 offset:812
	buffer_load_dword v1, off, s[0:3], s32 offset:1304
	s_waitcnt vmcnt(1)
	;; [unrolled: 7-line block ×69, first 2 shown]
	v_and_b32_e32 v0, 0xffff0000, v0
	s_waitcnt vmcnt(0)
	v_fmac_f32_e32 v54, v1, v0
	s_clause 0x2
	buffer_load_dword v0, off, s[0:3], s32 offset:524
	buffer_load_dword v1, off, s[0:3], s32 offset:1576
	;; [unrolled: 1-line block ×3, first 2 shown]
	s_waitcnt vmcnt(2)
	v_and_b32_e32 v0, 0xffff0000, v0
	s_waitcnt vmcnt(1)
	v_fmac_f32_e32 v50, v1, v0
	s_clause 0x1
	buffer_load_dword v0, off, s[0:3], s32 offset:540
	buffer_load_dword v1, off, s[0:3], s32 offset:1580
	s_waitcnt vmcnt(1)
	v_and_b32_e32 v0, 0xffff0000, v0
	s_waitcnt vmcnt(0)
	v_fmac_f32_e32 v51, v1, v0
	s_clause 0x1
	buffer_load_dword v0, off, s[0:3], s32 offset:548
	buffer_load_dword v1, off, s[0:3], s32 offset:1584
	s_waitcnt vmcnt(1)
	v_and_b32_e32 v0, 0xffff0000, v0
	s_waitcnt vmcnt(0)
	v_fmac_f32_e32 v55, v1, v0
	buffer_load_dword v1, off, s[0:3], s32 offset:1588 ; 4-byte Folded Reload
	v_and_b32_e32 v0, 0xffff0000, v71
	s_waitcnt vmcnt(0)
	v_fmac_f32_e32 v57, v1, v0
	buffer_load_dword v1, off, s[0:3], s32 offset:1592 ; 4-byte Folded Reload
	v_and_b32_e32 v0, 0xffff0000, v109
	s_waitcnt vmcnt(0)
	v_fmac_f32_e32 v59, v1, v0
	buffer_load_dword v1, off, s[0:3], s32 offset:1596 ; 4-byte Folded Reload
	v_and_b32_e32 v0, 0xffff0000, v42
	s_waitcnt vmcnt(0)
	v_fmac_f32_e32 v121, v1, v0
	v_and_b32_e32 v1, 0xffff0000, v56
	v_add_f32_e32 v0, v57, v59
	v_fmac_f32_e32 v53, v2, v1
	buffer_load_dword v2, off, s[0:3], s32 offset:1604 ; 4-byte Folded Reload
	v_and_b32_e32 v1, 0xffff0000, v47
	v_add_f32_e32 v0, v0, v121
	v_add_f32_e32 v0, v53, v0
	s_waitcnt vmcnt(0)
	v_fmac_f32_e32 v54, v2, v1
	buffer_load_dword v2, off, s[0:3], s32 offset:1608 ; 4-byte Folded Reload
	v_and_b32_e32 v1, 0xffff0000, v58
	v_add_f32_e32 v0, v54, v0
	s_waitcnt vmcnt(0)
	v_fmac_f32_e32 v50, v2, v1
	buffer_load_dword v2, off, s[0:3], s32 offset:1612 ; 4-byte Folded Reload
	v_and_b32_e32 v1, 0xffff0000, v66
	;; [unrolled: 5-line block ×3, first 2 shown]
	v_add_f32_e32 v0, v51, v0
	s_waitcnt vmcnt(0)
	v_fmac_f32_e32 v55, v2, v1
	buffer_load_dword v2, off, s[0:3], s32 offset:828 ; 4-byte Folded Reload
	v_sub_nc_u32_e32 v1, 1, v88
	v_add_f32_e32 v0, v55, v0
	v_add_nc_u32_e32 v1, v1, v110
	v_add_nc_u32_e32 v110, 0x80, v110
	v_cvt_f32_i32_e32 v1, v1
	s_waitcnt vmcnt(0)
	v_mul_f32_e32 v1, v2, v1
	buffer_load_dword v2, off, s[0:3], s32 offset:840 ; 4-byte Folded Reload
	v_cndmask_b32_e32 v1, 0, v1, vcc_lo
	s_waitcnt vmcnt(0)
	v_fmac_f32_e32 v1, v2, v0
	v_max_f32_e32 v0, v7, v7
	v_max_f32_e32 v0, v0, v1
	v_cndmask_b32_e64 v1, 0, v1, s5
	v_cndmask_b32_e64 v7, v7, v0, s5
	ds_write_b32 v120, v1
	s_clause 0x2
	buffer_load_dword v0, off, s[0:3], s32 offset:192
	buffer_load_dword v2, off, s[0:3], s32 offset:508
	;; [unrolled: 1-line block ×3, first 2 shown]
	v_add_nc_u32_e32 v120, 0x200, v120
	s_waitcnt vmcnt(2)
	v_cmp_ge_i32_e64 s5, v27, v0
	s_waitcnt vmcnt(1)
	v_add_co_u32 v2, s6, v2, 16
	s_waitcnt vmcnt(0)
	v_add_co_ci_u32_e64 v3, null, 0, v3, s6
	s_or_b32 s18, s5, s18
	s_andn2_b32 exec_lo, exec_lo, s18
	s_cbranch_execz .LBB370_1543
.LBB370_10:                             ; =>This Inner Loop Header: Depth=1
	buffer_store_dword v7, off, s[0:3], s32 offset:516 ; 4-byte Folded Spill
	buffer_store_dword v2, off, s[0:3], s32 offset:508 ; 4-byte Folded Spill
	;; [unrolled: 1-line block ×3, first 2 shown]
	v_mov_b32_e32 v125, v27
	v_mov_b32_e32 v123, v120
	;; [unrolled: 1-line block ×4, first 2 shown]
	flat_load_dword v0, v[2:3]
	s_clause 0x2
	buffer_load_dword v1, off, s[0:3], s32 offset:584
	buffer_load_dword v2, off, s[0:3], s32 offset:844
	;; [unrolled: 1-line block ×3, first 2 shown]
	s_waitcnt vmcnt(0) lgkmcnt(0)
	v_mad_i64_i32 v[16:17], null, v0, v1, v[2:3]
	flat_load_dwordx2 v[24:25], v[16:17]
	s_clause 0x1
	buffer_load_dword v0, off, s[0:3], s32 offset:832
	buffer_load_dword v1, off, s[0:3], s32 offset:836
	s_waitcnt vmcnt(2) lgkmcnt(0)
	v_cmp_ne_u16_sdwa s5, v24, v5 src0_sel:BYTE_0 src1_sel:DWORD
	s_waitcnt vmcnt(0)
	flat_load_dword v121, v[0:1]
	s_and_saveexec_b32 s6, s5
	s_cbranch_execz .LBB370_18
; %bb.11:                               ;   in Loop: Header=BB370_10 Depth=1
	v_cmp_ne_u16_sdwa s5, v24, v107 src0_sel:BYTE_0 src1_sel:DWORD
	v_bfrev_b32_e32 v40, 1
	s_and_saveexec_b32 s17, s5
	s_cbranch_execz .LBB370_17
; %bb.12:                               ;   in Loop: Header=BB370_10 Depth=1
	v_and_b32_e32 v1, 0x7f, v24
	v_mov_b32_e32 v40, 0x7f800001
	s_mov_b32 s19, exec_lo
	v_cmpx_ne_u32_e32 0x7f, v1
	s_cbranch_execz .LBB370_16
; %bb.13:                               ;   in Loop: Header=BB370_10 Depth=1
	v_mov_b32_e32 v27, v25
	v_lshrrev_b32_e32 v0, 3, v1
	v_mov_b32_e32 v26, v24
	s_mov_b32 s20, exec_lo
	v_cmpx_gt_u32_e32 8, v1
; %bb.14:                               ;   in Loop: Header=BB370_10 Depth=1
	v_and_b32_e32 v0, 7, v24
	v_ffbh_u32_e32 v0, v0
	v_min_u32_e32 v0, 32, v0
	v_subrev_nc_u32_e32 v1, 28, v0
	v_sub_nc_u32_e32 v0, 29, v0
	v_lshlrev_b64 v[26:27], v1, v[24:25]
; %bb.15:                               ;   in Loop: Header=BB370_10 Depth=1
	s_or_b32 exec_lo, exec_lo, s20
	v_lshlrev_b32_e32 v1, 20, v26
	v_lshlrev_b32_e32 v2, 24, v24
	v_lshl_add_u32 v0, v0, 23, 0x3c000000
	v_and_b32_e32 v1, 0x700000, v1
	v_and_b32_e32 v2, 0x80000000, v2
	v_or3_b32 v40, v1, v2, v0
.LBB370_16:                             ;   in Loop: Header=BB370_10 Depth=1
	s_or_b32 exec_lo, exec_lo, s19
.LBB370_17:                             ;   in Loop: Header=BB370_10 Depth=1
	s_or_b32 exec_lo, exec_lo, s17
.LBB370_18:                             ;   in Loop: Header=BB370_10 Depth=1
	s_or_b32 exec_lo, exec_lo, s6
	v_cmp_ne_u16_sdwa s5, v24, v5 src0_sel:BYTE_1 src1_sel:DWORD
	v_mov_b32_e32 v110, 0
	v_mov_b32_e32 v0, 0
	buffer_store_dword v0, off, s[0:3], s32 offset:196 ; 4-byte Folded Spill
	s_and_saveexec_b32 s6, s5
	s_cbranch_execz .LBB370_26
; %bb.19:                               ;   in Loop: Header=BB370_10 Depth=1
	v_cmp_ne_u16_sdwa s5, v24, v107 src0_sel:BYTE_1 src1_sel:DWORD
	v_bfrev_b32_e32 v0, 1
	buffer_store_dword v0, off, s[0:3], s32 offset:196 ; 4-byte Folded Spill
	s_and_saveexec_b32 s17, s5
	s_cbranch_execz .LBB370_25
; %bb.20:                               ;   in Loop: Header=BB370_10 Depth=1
	v_mov_b32_e32 v0, 0xffff
	v_mov_b32_e32 v2, 0x7f800001
	s_mov_b32 s19, exec_lo
	v_and_b32_sdwa v0, v0, v24 dst_sel:DWORD dst_unused:UNUSED_PAD src0_sel:DWORD src1_sel:BYTE_1
	buffer_store_dword v2, off, s[0:3], s32 offset:196 ; 4-byte Folded Spill
	v_and_b32_e32 v1, 0x7f, v0
	v_cmpx_ne_u32_e32 0x7f, v1
	s_cbranch_execz .LBB370_24
; %bb.21:                               ;   in Loop: Header=BB370_10 Depth=1
	v_and_b32_e32 v4, 7, v0
	v_mov_b32_e32 v27, v5
	v_lshrrev_b32_e32 v0, 3, v1
	s_mov_b32 s20, exec_lo
	v_mov_b32_e32 v26, v4
	v_cmpx_gt_u32_e32 8, v1
; %bb.22:                               ;   in Loop: Header=BB370_10 Depth=1
	v_ffbh_u32_e32 v0, v4
	v_min_u32_e32 v0, 32, v0
	v_subrev_nc_u32_e32 v1, 28, v0
	v_sub_nc_u32_e32 v0, 29, v0
	v_lshlrev_b64 v[1:2], v1, v[4:5]
	v_and_b32_e32 v26, 7, v1
; %bb.23:                               ;   in Loop: Header=BB370_10 Depth=1
	s_or_b32 exec_lo, exec_lo, s20
	v_lshlrev_b32_e32 v1, 16, v24
	v_lshlrev_b32_e32 v2, 20, v26
	v_lshl_add_u32 v0, v0, 23, 0x3c000000
	v_and_b32_e32 v1, 0x80000000, v1
	v_or3_b32 v0, v2, v1, v0
	buffer_store_dword v0, off, s[0:3], s32 offset:196 ; 4-byte Folded Spill
.LBB370_24:                             ;   in Loop: Header=BB370_10 Depth=1
	s_or_b32 exec_lo, exec_lo, s19
.LBB370_25:                             ;   in Loop: Header=BB370_10 Depth=1
	s_or_b32 exec_lo, exec_lo, s17
.LBB370_26:                             ;   in Loop: Header=BB370_10 Depth=1
	s_or_b32 exec_lo, exec_lo, s6
	v_mov_b32_e32 v0, 0xff
	s_mov_b32 s6, exec_lo
	v_and_b32_sdwa v0, v24, v0 dst_sel:DWORD dst_unused:UNUSED_PAD src0_sel:WORD_1 src1_sel:DWORD
	v_cmpx_ne_u16_e32 0, v0
	s_cbranch_execz .LBB370_34
; %bb.27:                               ;   in Loop: Header=BB370_10 Depth=1
	v_bfrev_b32_e32 v110, 1
	s_mov_b32 s17, exec_lo
	v_cmpx_ne_u16_e32 0x80, v0
	s_cbranch_execz .LBB370_33
; %bb.28:                               ;   in Loop: Header=BB370_10 Depth=1
	v_bfe_u32 v1, v24, 16, 7
	v_mov_b32_e32 v110, 0x7f800001
	s_mov_b32 s19, exec_lo
	v_cmpx_ne_u32_e32 0x7f, v1
	s_cbranch_execz .LBB370_32
; %bb.29:                               ;   in Loop: Header=BB370_10 Depth=1
	v_mov_b32_e32 v0, 7
	s_mov_b32 s20, exec_lo
	v_and_b32_sdwa v4, v24, v0 dst_sel:DWORD dst_unused:UNUSED_PAD src0_sel:WORD_1 src1_sel:DWORD
	v_mov_b32_e32 v27, v5
	v_lshrrev_b32_e32 v0, 3, v1
	v_mov_b32_e32 v26, v4
	v_cmpx_gt_u32_e32 8, v1
; %bb.30:                               ;   in Loop: Header=BB370_10 Depth=1
	v_ffbh_u32_e32 v0, v4
	v_min_u32_e32 v0, 32, v0
	v_subrev_nc_u32_e32 v1, 28, v0
	v_sub_nc_u32_e32 v0, 29, v0
	v_lshlrev_b64 v[1:2], v1, v[4:5]
	v_and_b32_e32 v26, 7, v1
; %bb.31:                               ;   in Loop: Header=BB370_10 Depth=1
	s_or_b32 exec_lo, exec_lo, s20
	v_mov_b32_e32 v1, 24
	v_lshlrev_b32_e32 v2, 20, v26
	v_lshl_add_u32 v0, v0, 23, 0x3c000000
	v_lshlrev_b32_sdwa v1, v1, v24 dst_sel:DWORD dst_unused:UNUSED_PAD src0_sel:DWORD src1_sel:WORD_1
	v_and_b32_e32 v1, 0x80000000, v1
	v_or3_b32 v110, v2, v1, v0
.LBB370_32:                             ;   in Loop: Header=BB370_10 Depth=1
	s_or_b32 exec_lo, exec_lo, s19
.LBB370_33:                             ;   in Loop: Header=BB370_10 Depth=1
	s_or_b32 exec_lo, exec_lo, s17
.LBB370_34:                             ;   in Loop: Header=BB370_10 Depth=1
	s_or_b32 exec_lo, exec_lo, s6
	v_mov_b32_e32 v127, 0
	v_mov_b32_e32 v120, 0
	s_mov_b32 s6, exec_lo
	v_cmpx_lt_u32_e32 0xffffff, v24
	s_cbranch_execz .LBB370_42
; %bb.35:                               ;   in Loop: Header=BB370_10 Depth=1
	v_cmp_ne_u32_sdwa s5, v24, v107 src0_sel:BYTE_3 src1_sel:DWORD
	v_bfrev_b32_e32 v120, 1
	s_and_saveexec_b32 s17, s5
	s_cbranch_execz .LBB370_41
; %bb.36:                               ;   in Loop: Header=BB370_10 Depth=1
	v_bfe_u32 v1, v24, 24, 7
	v_mov_b32_e32 v120, 0x7f800001
	s_mov_b32 s19, exec_lo
	v_cmpx_ne_u32_e32 0x7f, v1
	s_cbranch_execz .LBB370_40
; %bb.37:                               ;   in Loop: Header=BB370_10 Depth=1
	v_mov_b32_e32 v0, 7
	s_mov_b32 s20, exec_lo
	v_and_b32_sdwa v4, v24, v0 dst_sel:DWORD dst_unused:UNUSED_PAD src0_sel:BYTE_3 src1_sel:DWORD
	v_mov_b32_e32 v27, v5
	v_lshrrev_b32_e32 v0, 3, v1
	v_mov_b32_e32 v26, v4
	v_cmpx_gt_u32_e32 8, v1
; %bb.38:                               ;   in Loop: Header=BB370_10 Depth=1
	v_ffbh_u32_e32 v0, v4
	v_min_u32_e32 v0, 32, v0
	v_subrev_nc_u32_e32 v1, 28, v0
	v_sub_nc_u32_e32 v0, 29, v0
	v_lshlrev_b64 v[1:2], v1, v[4:5]
	v_and_b32_e32 v26, 7, v1
; %bb.39:                               ;   in Loop: Header=BB370_10 Depth=1
	s_or_b32 exec_lo, exec_lo, s20
	v_mov_b32_e32 v1, 24
	v_lshlrev_b32_e32 v2, 20, v26
	v_lshl_add_u32 v0, v0, 23, 0x3c000000
	v_lshlrev_b32_sdwa v1, v1, v24 dst_sel:DWORD dst_unused:UNUSED_PAD src0_sel:DWORD src1_sel:BYTE_3
	v_and_b32_e32 v1, 0x80000000, v1
	v_or3_b32 v120, v2, v1, v0
.LBB370_40:                             ;   in Loop: Header=BB370_10 Depth=1
	s_or_b32 exec_lo, exec_lo, s19
.LBB370_41:                             ;   in Loop: Header=BB370_10 Depth=1
	s_or_b32 exec_lo, exec_lo, s17
.LBB370_42:                             ;   in Loop: Header=BB370_10 Depth=1
	s_or_b32 exec_lo, exec_lo, s6
	v_mov_b32_e32 v4, v25
	v_cmp_ne_u16_sdwa s5, v25, v5 src0_sel:BYTE_0 src1_sel:DWORD
	s_and_saveexec_b32 s6, s5
	s_cbranch_execz .LBB370_50
; %bb.43:                               ;   in Loop: Header=BB370_10 Depth=1
	v_cmp_ne_u16_sdwa s5, v25, v107 src0_sel:BYTE_0 src1_sel:DWORD
	v_bfrev_b32_e32 v127, 1
	s_and_saveexec_b32 s17, s5
	s_cbranch_execz .LBB370_49
; %bb.44:                               ;   in Loop: Header=BB370_10 Depth=1
	v_and_b32_e32 v1, 0x7f, v25
	v_mov_b32_e32 v127, 0x7f800001
	s_mov_b32 s19, exec_lo
	v_cmpx_ne_u32_e32 0x7f, v1
	s_cbranch_execz .LBB370_48
; %bb.45:                               ;   in Loop: Header=BB370_10 Depth=1
	v_mov_b32_e32 v27, v5
	v_lshrrev_b32_e32 v0, 3, v1
	v_mov_b32_e32 v26, v4
	s_mov_b32 s20, exec_lo
	v_cmpx_gt_u32_e32 8, v1
; %bb.46:                               ;   in Loop: Header=BB370_10 Depth=1
	v_and_b32_e32 v0, 7, v25
	v_ffbh_u32_e32 v0, v0
	v_min_u32_e32 v0, 32, v0
	v_subrev_nc_u32_e32 v1, 28, v0
	v_sub_nc_u32_e32 v0, 29, v0
	v_lshlrev_b64 v[26:27], v1, v[4:5]
; %bb.47:                               ;   in Loop: Header=BB370_10 Depth=1
	s_or_b32 exec_lo, exec_lo, s20
	v_lshlrev_b32_e32 v1, 20, v26
	v_lshlrev_b32_e32 v2, 24, v4
	v_lshl_add_u32 v0, v0, 23, 0x3c000000
	v_and_b32_e32 v1, 0x700000, v1
	v_and_b32_e32 v2, 0x80000000, v2
	v_or3_b32 v127, v1, v2, v0
.LBB370_48:                             ;   in Loop: Header=BB370_10 Depth=1
	s_or_b32 exec_lo, exec_lo, s19
.LBB370_49:                             ;   in Loop: Header=BB370_10 Depth=1
	s_or_b32 exec_lo, exec_lo, s17
.LBB370_50:                             ;   in Loop: Header=BB370_10 Depth=1
	s_or_b32 exec_lo, exec_lo, s6
	v_mov_b32_e32 v0, 0
	v_cmp_ne_u16_sdwa s5, v4, v5 src0_sel:BYTE_1 src1_sel:DWORD
	buffer_store_dword v0, off, s[0:3], s32 offset:200 ; 4-byte Folded Spill
	v_mov_b32_e32 v0, 0
	buffer_store_dword v0, off, s[0:3], s32 offset:204 ; 4-byte Folded Spill
	s_and_saveexec_b32 s6, s5
	s_cbranch_execz .LBB370_58
; %bb.51:                               ;   in Loop: Header=BB370_10 Depth=1
	v_cmp_ne_u16_sdwa s5, v4, v107 src0_sel:BYTE_1 src1_sel:DWORD
	v_bfrev_b32_e32 v0, 1
	buffer_store_dword v0, off, s[0:3], s32 offset:204 ; 4-byte Folded Spill
	s_and_saveexec_b32 s17, s5
	s_cbranch_execz .LBB370_57
; %bb.52:                               ;   in Loop: Header=BB370_10 Depth=1
	v_mov_b32_e32 v0, 0xffff
	v_mov_b32_e32 v2, 0x7f800001
	s_mov_b32 s19, exec_lo
	v_and_b32_sdwa v0, v0, v4 dst_sel:DWORD dst_unused:UNUSED_PAD src0_sel:DWORD src1_sel:BYTE_1
	buffer_store_dword v2, off, s[0:3], s32 offset:204 ; 4-byte Folded Spill
	v_and_b32_e32 v1, 0x7f, v0
	v_cmpx_ne_u32_e32 0x7f, v1
	s_cbranch_execz .LBB370_56
; %bb.53:                               ;   in Loop: Header=BB370_10 Depth=1
	v_and_b32_e32 v26, 7, v0
	v_mov_b32_e32 v27, v5
	v_lshrrev_b32_e32 v0, 3, v1
	s_mov_b32 s20, exec_lo
	v_cmpx_gt_u32_e32 8, v1
; %bb.54:                               ;   in Loop: Header=BB370_10 Depth=1
	v_ffbh_u32_e32 v0, v26
	v_min_u32_e32 v0, 32, v0
	v_subrev_nc_u32_e32 v1, 28, v0
	v_sub_nc_u32_e32 v0, 29, v0
	v_lshlrev_b64 v[1:2], v1, v[26:27]
	v_and_b32_e32 v26, 7, v1
; %bb.55:                               ;   in Loop: Header=BB370_10 Depth=1
	s_or_b32 exec_lo, exec_lo, s20
	v_lshlrev_b32_e32 v1, 16, v4
	v_lshlrev_b32_e32 v2, 20, v26
	v_lshl_add_u32 v0, v0, 23, 0x3c000000
	v_and_b32_e32 v1, 0x80000000, v1
	v_or3_b32 v0, v2, v1, v0
	buffer_store_dword v0, off, s[0:3], s32 offset:204 ; 4-byte Folded Spill
.LBB370_56:                             ;   in Loop: Header=BB370_10 Depth=1
	s_or_b32 exec_lo, exec_lo, s19
.LBB370_57:                             ;   in Loop: Header=BB370_10 Depth=1
	s_or_b32 exec_lo, exec_lo, s17
.LBB370_58:                             ;   in Loop: Header=BB370_10 Depth=1
	s_or_b32 exec_lo, exec_lo, s6
	v_mov_b32_e32 v0, 0xff
	s_mov_b32 s6, exec_lo
	v_and_b32_sdwa v0, v25, v0 dst_sel:DWORD dst_unused:UNUSED_PAD src0_sel:WORD_1 src1_sel:DWORD
	v_cmpx_ne_u16_e32 0, v0
	s_cbranch_execz .LBB370_66
; %bb.59:                               ;   in Loop: Header=BB370_10 Depth=1
	v_cmp_ne_u16_e64 s5, 0x80, v0
	v_bfrev_b32_e32 v0, 1
	buffer_store_dword v0, off, s[0:3], s32 offset:200 ; 4-byte Folded Spill
	s_and_saveexec_b32 s17, s5
	s_cbranch_execz .LBB370_65
; %bb.60:                               ;   in Loop: Header=BB370_10 Depth=1
	v_bfe_u32 v1, v25, 16, 7
	v_mov_b32_e32 v0, 0x7f800001
	s_mov_b32 s19, exec_lo
	buffer_store_dword v0, off, s[0:3], s32 offset:200 ; 4-byte Folded Spill
	v_cmpx_ne_u32_e32 0x7f, v1
	s_cbranch_execz .LBB370_64
; %bb.61:                               ;   in Loop: Header=BB370_10 Depth=1
	v_mov_b32_e32 v0, 7
	s_mov_b32 s20, exec_lo
	v_and_b32_sdwa v4, v25, v0 dst_sel:DWORD dst_unused:UNUSED_PAD src0_sel:WORD_1 src1_sel:DWORD
	v_mov_b32_e32 v27, v5
	v_lshrrev_b32_e32 v0, 3, v1
	v_mov_b32_e32 v26, v4
	v_cmpx_gt_u32_e32 8, v1
; %bb.62:                               ;   in Loop: Header=BB370_10 Depth=1
	v_ffbh_u32_e32 v0, v4
	v_min_u32_e32 v0, 32, v0
	v_subrev_nc_u32_e32 v1, 28, v0
	v_sub_nc_u32_e32 v0, 29, v0
	v_lshlrev_b64 v[1:2], v1, v[4:5]
	v_and_b32_e32 v26, 7, v1
; %bb.63:                               ;   in Loop: Header=BB370_10 Depth=1
	s_or_b32 exec_lo, exec_lo, s20
	v_mov_b32_e32 v1, 24
	v_lshlrev_b32_e32 v2, 20, v26
	v_lshl_add_u32 v0, v0, 23, 0x3c000000
	v_lshlrev_b32_sdwa v1, v1, v25 dst_sel:DWORD dst_unused:UNUSED_PAD src0_sel:DWORD src1_sel:WORD_1
	v_and_b32_e32 v1, 0x80000000, v1
	v_or3_b32 v0, v2, v1, v0
	buffer_store_dword v0, off, s[0:3], s32 offset:200 ; 4-byte Folded Spill
.LBB370_64:                             ;   in Loop: Header=BB370_10 Depth=1
	s_or_b32 exec_lo, exec_lo, s19
.LBB370_65:                             ;   in Loop: Header=BB370_10 Depth=1
	s_or_b32 exec_lo, exec_lo, s17
.LBB370_66:                             ;   in Loop: Header=BB370_10 Depth=1
	s_or_b32 exec_lo, exec_lo, s6
	v_mov_b32_e32 v0, 0
	s_mov_b32 s6, exec_lo
	buffer_store_dword v0, off, s[0:3], s32 offset:212 ; 4-byte Folded Spill
	v_mov_b32_e32 v0, 0
	buffer_store_dword v0, off, s[0:3], s32 offset:208 ; 4-byte Folded Spill
	v_cmpx_lt_u64_e64 s[8:9], v[24:25]
	s_cbranch_execz .LBB370_74
; %bb.67:                               ;   in Loop: Header=BB370_10 Depth=1
	v_cmp_ne_u32_sdwa s5, v25, v107 src0_sel:BYTE_3 src1_sel:DWORD
	v_bfrev_b32_e32 v0, 1
	buffer_store_dword v0, off, s[0:3], s32 offset:208 ; 4-byte Folded Spill
	s_and_saveexec_b32 s17, s5
	s_cbranch_execz .LBB370_73
; %bb.68:                               ;   in Loop: Header=BB370_10 Depth=1
	v_bfe_u32 v1, v25, 24, 7
	v_mov_b32_e32 v0, 0x7f800001
	s_mov_b32 s19, exec_lo
	buffer_store_dword v0, off, s[0:3], s32 offset:208 ; 4-byte Folded Spill
	v_cmpx_ne_u32_e32 0x7f, v1
	s_cbranch_execz .LBB370_72
; %bb.69:                               ;   in Loop: Header=BB370_10 Depth=1
	v_mov_b32_e32 v0, 7
	s_mov_b32 s20, exec_lo
	v_and_b32_sdwa v4, v25, v0 dst_sel:DWORD dst_unused:UNUSED_PAD src0_sel:BYTE_3 src1_sel:DWORD
	v_mov_b32_e32 v27, v5
	v_lshrrev_b32_e32 v0, 3, v1
	v_mov_b32_e32 v26, v4
	v_cmpx_gt_u32_e32 8, v1
; %bb.70:                               ;   in Loop: Header=BB370_10 Depth=1
	v_ffbh_u32_e32 v0, v4
	v_min_u32_e32 v0, 32, v0
	v_subrev_nc_u32_e32 v1, 28, v0
	v_sub_nc_u32_e32 v0, 29, v0
	v_lshlrev_b64 v[1:2], v1, v[4:5]
	v_and_b32_e32 v26, 7, v1
; %bb.71:                               ;   in Loop: Header=BB370_10 Depth=1
	s_or_b32 exec_lo, exec_lo, s20
	v_mov_b32_e32 v1, 24
	v_lshlrev_b32_e32 v2, 20, v26
	v_lshl_add_u32 v0, v0, 23, 0x3c000000
	v_lshlrev_b32_sdwa v1, v1, v25 dst_sel:DWORD dst_unused:UNUSED_PAD src0_sel:DWORD src1_sel:BYTE_3
	v_and_b32_e32 v1, 0x80000000, v1
	v_or3_b32 v0, v2, v1, v0
	buffer_store_dword v0, off, s[0:3], s32 offset:208 ; 4-byte Folded Spill
.LBB370_72:                             ;   in Loop: Header=BB370_10 Depth=1
	s_or_b32 exec_lo, exec_lo, s19
.LBB370_73:                             ;   in Loop: Header=BB370_10 Depth=1
	s_or_b32 exec_lo, exec_lo, s17
.LBB370_74:                             ;   in Loop: Header=BB370_10 Depth=1
	s_or_b32 exec_lo, exec_lo, s6
	flat_load_dwordx2 v[24:25], v[16:17] offset:8
	s_waitcnt vmcnt(0) lgkmcnt(0)
	v_cmp_ne_u16_sdwa s5, v24, v5 src0_sel:BYTE_0 src1_sel:DWORD
	s_and_saveexec_b32 s6, s5
	s_cbranch_execz .LBB370_82
; %bb.75:                               ;   in Loop: Header=BB370_10 Depth=1
	v_cmp_ne_u16_sdwa s5, v24, v107 src0_sel:BYTE_0 src1_sel:DWORD
	v_bfrev_b32_e32 v0, 1
	buffer_store_dword v0, off, s[0:3], s32 offset:212 ; 4-byte Folded Spill
	s_and_saveexec_b32 s17, s5
	s_cbranch_execz .LBB370_81
; %bb.76:                               ;   in Loop: Header=BB370_10 Depth=1
	v_and_b32_e32 v1, 0x7f, v24
	v_mov_b32_e32 v0, 0x7f800001
	s_mov_b32 s19, exec_lo
	buffer_store_dword v0, off, s[0:3], s32 offset:212 ; 4-byte Folded Spill
	v_cmpx_ne_u32_e32 0x7f, v1
	s_cbranch_execz .LBB370_80
; %bb.77:                               ;   in Loop: Header=BB370_10 Depth=1
	v_mov_b32_e32 v27, v25
	v_lshrrev_b32_e32 v0, 3, v1
	v_mov_b32_e32 v26, v24
	s_mov_b32 s20, exec_lo
	v_cmpx_gt_u32_e32 8, v1
; %bb.78:                               ;   in Loop: Header=BB370_10 Depth=1
	v_and_b32_e32 v0, 7, v24
	v_ffbh_u32_e32 v0, v0
	v_min_u32_e32 v0, 32, v0
	v_subrev_nc_u32_e32 v1, 28, v0
	v_sub_nc_u32_e32 v0, 29, v0
	v_lshlrev_b64 v[26:27], v1, v[24:25]
; %bb.79:                               ;   in Loop: Header=BB370_10 Depth=1
	s_or_b32 exec_lo, exec_lo, s20
	v_lshlrev_b32_e32 v1, 20, v26
	v_lshlrev_b32_e32 v2, 24, v24
	v_lshl_add_u32 v0, v0, 23, 0x3c000000
	v_and_b32_e32 v1, 0x700000, v1
	v_and_b32_e32 v2, 0x80000000, v2
	v_or3_b32 v0, v1, v2, v0
	buffer_store_dword v0, off, s[0:3], s32 offset:212 ; 4-byte Folded Spill
.LBB370_80:                             ;   in Loop: Header=BB370_10 Depth=1
	s_or_b32 exec_lo, exec_lo, s19
.LBB370_81:                             ;   in Loop: Header=BB370_10 Depth=1
	s_or_b32 exec_lo, exec_lo, s17
.LBB370_82:                             ;   in Loop: Header=BB370_10 Depth=1
	s_or_b32 exec_lo, exec_lo, s6
	v_mov_b32_e32 v0, 0
	v_cmp_ne_u16_sdwa s5, v24, v5 src0_sel:BYTE_1 src1_sel:DWORD
	buffer_store_dword v0, off, s[0:3], s32 offset:220 ; 4-byte Folded Spill
	v_mov_b32_e32 v0, 0
	buffer_store_dword v0, off, s[0:3], s32 offset:216 ; 4-byte Folded Spill
	s_and_saveexec_b32 s6, s5
	s_cbranch_execz .LBB370_90
; %bb.83:                               ;   in Loop: Header=BB370_10 Depth=1
	v_cmp_ne_u16_sdwa s5, v24, v107 src0_sel:BYTE_1 src1_sel:DWORD
	v_bfrev_b32_e32 v0, 1
	buffer_store_dword v0, off, s[0:3], s32 offset:216 ; 4-byte Folded Spill
	s_and_saveexec_b32 s17, s5
	s_cbranch_execz .LBB370_89
; %bb.84:                               ;   in Loop: Header=BB370_10 Depth=1
	v_mov_b32_e32 v0, 0xffff
	v_mov_b32_e32 v2, 0x7f800001
	s_mov_b32 s19, exec_lo
	v_and_b32_sdwa v0, v0, v24 dst_sel:DWORD dst_unused:UNUSED_PAD src0_sel:DWORD src1_sel:BYTE_1
	buffer_store_dword v2, off, s[0:3], s32 offset:216 ; 4-byte Folded Spill
	v_and_b32_e32 v1, 0x7f, v0
	v_cmpx_ne_u32_e32 0x7f, v1
	s_cbranch_execz .LBB370_88
; %bb.85:                               ;   in Loop: Header=BB370_10 Depth=1
	v_and_b32_e32 v4, 7, v0
	v_mov_b32_e32 v27, v5
	v_lshrrev_b32_e32 v0, 3, v1
	s_mov_b32 s20, exec_lo
	v_mov_b32_e32 v26, v4
	v_cmpx_gt_u32_e32 8, v1
; %bb.86:                               ;   in Loop: Header=BB370_10 Depth=1
	v_ffbh_u32_e32 v0, v4
	v_min_u32_e32 v0, 32, v0
	v_subrev_nc_u32_e32 v1, 28, v0
	v_sub_nc_u32_e32 v0, 29, v0
	v_lshlrev_b64 v[1:2], v1, v[4:5]
	v_and_b32_e32 v26, 7, v1
; %bb.87:                               ;   in Loop: Header=BB370_10 Depth=1
	s_or_b32 exec_lo, exec_lo, s20
	v_lshlrev_b32_e32 v1, 16, v24
	v_lshlrev_b32_e32 v2, 20, v26
	v_lshl_add_u32 v0, v0, 23, 0x3c000000
	v_and_b32_e32 v1, 0x80000000, v1
	v_or3_b32 v0, v2, v1, v0
	buffer_store_dword v0, off, s[0:3], s32 offset:216 ; 4-byte Folded Spill
.LBB370_88:                             ;   in Loop: Header=BB370_10 Depth=1
	s_or_b32 exec_lo, exec_lo, s19
.LBB370_89:                             ;   in Loop: Header=BB370_10 Depth=1
	s_or_b32 exec_lo, exec_lo, s17
.LBB370_90:                             ;   in Loop: Header=BB370_10 Depth=1
	s_or_b32 exec_lo, exec_lo, s6
	v_mov_b32_e32 v0, 0xff
	s_mov_b32 s6, exec_lo
	v_and_b32_sdwa v0, v24, v0 dst_sel:DWORD dst_unused:UNUSED_PAD src0_sel:WORD_1 src1_sel:DWORD
	v_cmpx_ne_u16_e32 0, v0
	s_cbranch_execz .LBB370_98
; %bb.91:                               ;   in Loop: Header=BB370_10 Depth=1
	v_cmp_ne_u16_e64 s5, 0x80, v0
	v_bfrev_b32_e32 v0, 1
	buffer_store_dword v0, off, s[0:3], s32 offset:220 ; 4-byte Folded Spill
	s_and_saveexec_b32 s17, s5
	s_cbranch_execz .LBB370_97
; %bb.92:                               ;   in Loop: Header=BB370_10 Depth=1
	v_bfe_u32 v1, v24, 16, 7
	v_mov_b32_e32 v0, 0x7f800001
	s_mov_b32 s19, exec_lo
	buffer_store_dword v0, off, s[0:3], s32 offset:220 ; 4-byte Folded Spill
	v_cmpx_ne_u32_e32 0x7f, v1
	s_cbranch_execz .LBB370_96
; %bb.93:                               ;   in Loop: Header=BB370_10 Depth=1
	v_mov_b32_e32 v0, 7
	s_mov_b32 s20, exec_lo
	v_and_b32_sdwa v4, v24, v0 dst_sel:DWORD dst_unused:UNUSED_PAD src0_sel:WORD_1 src1_sel:DWORD
	v_mov_b32_e32 v27, v5
	v_lshrrev_b32_e32 v0, 3, v1
	v_mov_b32_e32 v26, v4
	v_cmpx_gt_u32_e32 8, v1
; %bb.94:                               ;   in Loop: Header=BB370_10 Depth=1
	v_ffbh_u32_e32 v0, v4
	v_min_u32_e32 v0, 32, v0
	v_subrev_nc_u32_e32 v1, 28, v0
	v_sub_nc_u32_e32 v0, 29, v0
	v_lshlrev_b64 v[1:2], v1, v[4:5]
	v_and_b32_e32 v26, 7, v1
; %bb.95:                               ;   in Loop: Header=BB370_10 Depth=1
	s_or_b32 exec_lo, exec_lo, s20
	v_mov_b32_e32 v1, 24
	v_lshlrev_b32_e32 v2, 20, v26
	v_lshl_add_u32 v0, v0, 23, 0x3c000000
	v_lshlrev_b32_sdwa v1, v1, v24 dst_sel:DWORD dst_unused:UNUSED_PAD src0_sel:DWORD src1_sel:WORD_1
	v_and_b32_e32 v1, 0x80000000, v1
	v_or3_b32 v0, v2, v1, v0
	buffer_store_dword v0, off, s[0:3], s32 offset:220 ; 4-byte Folded Spill
.LBB370_96:                             ;   in Loop: Header=BB370_10 Depth=1
	s_or_b32 exec_lo, exec_lo, s19
.LBB370_97:                             ;   in Loop: Header=BB370_10 Depth=1
	s_or_b32 exec_lo, exec_lo, s17
.LBB370_98:                             ;   in Loop: Header=BB370_10 Depth=1
	s_or_b32 exec_lo, exec_lo, s6
	v_mov_b32_e32 v0, 0
	s_mov_b32 s6, exec_lo
	buffer_store_dword v0, off, s[0:3], s32 offset:228 ; 4-byte Folded Spill
	v_mov_b32_e32 v0, 0
	buffer_store_dword v0, off, s[0:3], s32 offset:224 ; 4-byte Folded Spill
	v_cmpx_lt_u32_e32 0xffffff, v24
	s_cbranch_execz .LBB370_106
; %bb.99:                               ;   in Loop: Header=BB370_10 Depth=1
	v_cmp_ne_u32_sdwa s5, v24, v107 src0_sel:BYTE_3 src1_sel:DWORD
	v_bfrev_b32_e32 v0, 1
	buffer_store_dword v0, off, s[0:3], s32 offset:224 ; 4-byte Folded Spill
	s_and_saveexec_b32 s17, s5
	s_cbranch_execz .LBB370_105
; %bb.100:                              ;   in Loop: Header=BB370_10 Depth=1
	v_bfe_u32 v1, v24, 24, 7
	v_mov_b32_e32 v0, 0x7f800001
	s_mov_b32 s19, exec_lo
	buffer_store_dword v0, off, s[0:3], s32 offset:224 ; 4-byte Folded Spill
	v_cmpx_ne_u32_e32 0x7f, v1
	s_cbranch_execz .LBB370_104
; %bb.101:                              ;   in Loop: Header=BB370_10 Depth=1
	v_mov_b32_e32 v0, 7
	s_mov_b32 s20, exec_lo
	v_and_b32_sdwa v4, v24, v0 dst_sel:DWORD dst_unused:UNUSED_PAD src0_sel:BYTE_3 src1_sel:DWORD
	v_mov_b32_e32 v27, v5
	v_lshrrev_b32_e32 v0, 3, v1
	v_mov_b32_e32 v26, v4
	v_cmpx_gt_u32_e32 8, v1
; %bb.102:                              ;   in Loop: Header=BB370_10 Depth=1
	v_ffbh_u32_e32 v0, v4
	v_min_u32_e32 v0, 32, v0
	v_subrev_nc_u32_e32 v1, 28, v0
	v_sub_nc_u32_e32 v0, 29, v0
	v_lshlrev_b64 v[1:2], v1, v[4:5]
	v_and_b32_e32 v26, 7, v1
; %bb.103:                              ;   in Loop: Header=BB370_10 Depth=1
	s_or_b32 exec_lo, exec_lo, s20
	v_mov_b32_e32 v1, 24
	v_lshlrev_b32_e32 v2, 20, v26
	v_lshl_add_u32 v0, v0, 23, 0x3c000000
	v_lshlrev_b32_sdwa v1, v1, v24 dst_sel:DWORD dst_unused:UNUSED_PAD src0_sel:DWORD src1_sel:BYTE_3
	v_and_b32_e32 v1, 0x80000000, v1
	v_or3_b32 v0, v2, v1, v0
	buffer_store_dword v0, off, s[0:3], s32 offset:224 ; 4-byte Folded Spill
.LBB370_104:                            ;   in Loop: Header=BB370_10 Depth=1
	s_or_b32 exec_lo, exec_lo, s19
.LBB370_105:                            ;   in Loop: Header=BB370_10 Depth=1
	s_or_b32 exec_lo, exec_lo, s17
.LBB370_106:                            ;   in Loop: Header=BB370_10 Depth=1
	s_or_b32 exec_lo, exec_lo, s6
	v_mov_b32_e32 v4, v25
	v_cmp_ne_u16_sdwa s5, v25, v5 src0_sel:BYTE_0 src1_sel:DWORD
	s_and_saveexec_b32 s6, s5
	s_cbranch_execz .LBB370_114
; %bb.107:                              ;   in Loop: Header=BB370_10 Depth=1
	v_cmp_ne_u16_sdwa s5, v25, v107 src0_sel:BYTE_0 src1_sel:DWORD
	v_bfrev_b32_e32 v0, 1
	buffer_store_dword v0, off, s[0:3], s32 offset:228 ; 4-byte Folded Spill
	s_and_saveexec_b32 s17, s5
	s_cbranch_execz .LBB370_113
; %bb.108:                              ;   in Loop: Header=BB370_10 Depth=1
	v_and_b32_e32 v1, 0x7f, v25
	v_mov_b32_e32 v0, 0x7f800001
	s_mov_b32 s19, exec_lo
	buffer_store_dword v0, off, s[0:3], s32 offset:228 ; 4-byte Folded Spill
	v_cmpx_ne_u32_e32 0x7f, v1
	s_cbranch_execz .LBB370_112
; %bb.109:                              ;   in Loop: Header=BB370_10 Depth=1
	v_mov_b32_e32 v27, v5
	v_lshrrev_b32_e32 v0, 3, v1
	v_mov_b32_e32 v26, v4
	s_mov_b32 s20, exec_lo
	v_cmpx_gt_u32_e32 8, v1
; %bb.110:                              ;   in Loop: Header=BB370_10 Depth=1
	v_and_b32_e32 v0, 7, v25
	v_ffbh_u32_e32 v0, v0
	v_min_u32_e32 v0, 32, v0
	v_subrev_nc_u32_e32 v1, 28, v0
	v_sub_nc_u32_e32 v0, 29, v0
	v_lshlrev_b64 v[26:27], v1, v[4:5]
; %bb.111:                              ;   in Loop: Header=BB370_10 Depth=1
	s_or_b32 exec_lo, exec_lo, s20
	v_lshlrev_b32_e32 v1, 20, v26
	v_lshlrev_b32_e32 v2, 24, v4
	v_lshl_add_u32 v0, v0, 23, 0x3c000000
	v_and_b32_e32 v1, 0x700000, v1
	v_and_b32_e32 v2, 0x80000000, v2
	v_or3_b32 v0, v1, v2, v0
	buffer_store_dword v0, off, s[0:3], s32 offset:228 ; 4-byte Folded Spill
.LBB370_112:                            ;   in Loop: Header=BB370_10 Depth=1
	s_or_b32 exec_lo, exec_lo, s19
.LBB370_113:                            ;   in Loop: Header=BB370_10 Depth=1
	s_or_b32 exec_lo, exec_lo, s17
.LBB370_114:                            ;   in Loop: Header=BB370_10 Depth=1
	s_or_b32 exec_lo, exec_lo, s6
	v_mov_b32_e32 v0, 0
	v_cmp_ne_u16_sdwa s5, v4, v5 src0_sel:BYTE_1 src1_sel:DWORD
	buffer_store_dword v0, off, s[0:3], s32 offset:232 ; 4-byte Folded Spill
	v_mov_b32_e32 v0, 0
	buffer_store_dword v0, off, s[0:3], s32 offset:236 ; 4-byte Folded Spill
	s_and_saveexec_b32 s6, s5
	s_cbranch_execz .LBB370_122
; %bb.115:                              ;   in Loop: Header=BB370_10 Depth=1
	v_cmp_ne_u16_sdwa s5, v4, v107 src0_sel:BYTE_1 src1_sel:DWORD
	v_bfrev_b32_e32 v0, 1
	buffer_store_dword v0, off, s[0:3], s32 offset:236 ; 4-byte Folded Spill
	s_and_saveexec_b32 s17, s5
	s_cbranch_execz .LBB370_121
; %bb.116:                              ;   in Loop: Header=BB370_10 Depth=1
	v_mov_b32_e32 v0, 0xffff
	v_mov_b32_e32 v2, 0x7f800001
	s_mov_b32 s19, exec_lo
	v_and_b32_sdwa v0, v0, v4 dst_sel:DWORD dst_unused:UNUSED_PAD src0_sel:DWORD src1_sel:BYTE_1
	buffer_store_dword v2, off, s[0:3], s32 offset:236 ; 4-byte Folded Spill
	v_and_b32_e32 v1, 0x7f, v0
	v_cmpx_ne_u32_e32 0x7f, v1
	s_cbranch_execz .LBB370_120
; %bb.117:                              ;   in Loop: Header=BB370_10 Depth=1
	v_and_b32_e32 v26, 7, v0
	v_mov_b32_e32 v27, v5
	v_lshrrev_b32_e32 v0, 3, v1
	s_mov_b32 s20, exec_lo
	v_cmpx_gt_u32_e32 8, v1
; %bb.118:                              ;   in Loop: Header=BB370_10 Depth=1
	v_ffbh_u32_e32 v0, v26
	v_min_u32_e32 v0, 32, v0
	v_subrev_nc_u32_e32 v1, 28, v0
	v_sub_nc_u32_e32 v0, 29, v0
	v_lshlrev_b64 v[1:2], v1, v[26:27]
	v_and_b32_e32 v26, 7, v1
; %bb.119:                              ;   in Loop: Header=BB370_10 Depth=1
	s_or_b32 exec_lo, exec_lo, s20
	v_lshlrev_b32_e32 v1, 16, v4
	v_lshlrev_b32_e32 v2, 20, v26
	v_lshl_add_u32 v0, v0, 23, 0x3c000000
	v_and_b32_e32 v1, 0x80000000, v1
	v_or3_b32 v0, v2, v1, v0
	buffer_store_dword v0, off, s[0:3], s32 offset:236 ; 4-byte Folded Spill
.LBB370_120:                            ;   in Loop: Header=BB370_10 Depth=1
	s_or_b32 exec_lo, exec_lo, s19
.LBB370_121:                            ;   in Loop: Header=BB370_10 Depth=1
	s_or_b32 exec_lo, exec_lo, s17
.LBB370_122:                            ;   in Loop: Header=BB370_10 Depth=1
	s_or_b32 exec_lo, exec_lo, s6
	v_mov_b32_e32 v0, 0xff
	s_mov_b32 s6, exec_lo
	v_and_b32_sdwa v0, v25, v0 dst_sel:DWORD dst_unused:UNUSED_PAD src0_sel:WORD_1 src1_sel:DWORD
	v_cmpx_ne_u16_e32 0, v0
	s_cbranch_execz .LBB370_130
; %bb.123:                              ;   in Loop: Header=BB370_10 Depth=1
	v_cmp_ne_u16_e64 s5, 0x80, v0
	v_bfrev_b32_e32 v0, 1
	buffer_store_dword v0, off, s[0:3], s32 offset:232 ; 4-byte Folded Spill
	s_and_saveexec_b32 s17, s5
	s_cbranch_execz .LBB370_129
; %bb.124:                              ;   in Loop: Header=BB370_10 Depth=1
	v_bfe_u32 v1, v25, 16, 7
	v_mov_b32_e32 v0, 0x7f800001
	s_mov_b32 s19, exec_lo
	buffer_store_dword v0, off, s[0:3], s32 offset:232 ; 4-byte Folded Spill
	v_cmpx_ne_u32_e32 0x7f, v1
	s_cbranch_execz .LBB370_128
; %bb.125:                              ;   in Loop: Header=BB370_10 Depth=1
	v_mov_b32_e32 v0, 7
	s_mov_b32 s20, exec_lo
	v_and_b32_sdwa v4, v25, v0 dst_sel:DWORD dst_unused:UNUSED_PAD src0_sel:WORD_1 src1_sel:DWORD
	v_mov_b32_e32 v27, v5
	v_lshrrev_b32_e32 v0, 3, v1
	v_mov_b32_e32 v26, v4
	v_cmpx_gt_u32_e32 8, v1
; %bb.126:                              ;   in Loop: Header=BB370_10 Depth=1
	v_ffbh_u32_e32 v0, v4
	v_min_u32_e32 v0, 32, v0
	v_subrev_nc_u32_e32 v1, 28, v0
	v_sub_nc_u32_e32 v0, 29, v0
	v_lshlrev_b64 v[1:2], v1, v[4:5]
	v_and_b32_e32 v26, 7, v1
; %bb.127:                              ;   in Loop: Header=BB370_10 Depth=1
	s_or_b32 exec_lo, exec_lo, s20
	v_mov_b32_e32 v1, 24
	v_lshlrev_b32_e32 v2, 20, v26
	v_lshl_add_u32 v0, v0, 23, 0x3c000000
	v_lshlrev_b32_sdwa v1, v1, v25 dst_sel:DWORD dst_unused:UNUSED_PAD src0_sel:DWORD src1_sel:WORD_1
	v_and_b32_e32 v1, 0x80000000, v1
	v_or3_b32 v0, v2, v1, v0
	buffer_store_dword v0, off, s[0:3], s32 offset:232 ; 4-byte Folded Spill
.LBB370_128:                            ;   in Loop: Header=BB370_10 Depth=1
	s_or_b32 exec_lo, exec_lo, s19
.LBB370_129:                            ;   in Loop: Header=BB370_10 Depth=1
	s_or_b32 exec_lo, exec_lo, s17
.LBB370_130:                            ;   in Loop: Header=BB370_10 Depth=1
	s_or_b32 exec_lo, exec_lo, s6
	v_mov_b32_e32 v0, 0
	s_mov_b32 s6, exec_lo
	buffer_store_dword v0, off, s[0:3], s32 offset:244 ; 4-byte Folded Spill
	v_mov_b32_e32 v0, 0
	buffer_store_dword v0, off, s[0:3], s32 offset:240 ; 4-byte Folded Spill
	v_cmpx_lt_u64_e64 s[8:9], v[24:25]
	s_cbranch_execz .LBB370_138
; %bb.131:                              ;   in Loop: Header=BB370_10 Depth=1
	v_cmp_ne_u32_sdwa s5, v25, v107 src0_sel:BYTE_3 src1_sel:DWORD
	v_bfrev_b32_e32 v0, 1
	buffer_store_dword v0, off, s[0:3], s32 offset:240 ; 4-byte Folded Spill
	s_and_saveexec_b32 s17, s5
	s_cbranch_execz .LBB370_137
; %bb.132:                              ;   in Loop: Header=BB370_10 Depth=1
	v_bfe_u32 v1, v25, 24, 7
	v_mov_b32_e32 v0, 0x7f800001
	s_mov_b32 s19, exec_lo
	buffer_store_dword v0, off, s[0:3], s32 offset:240 ; 4-byte Folded Spill
	v_cmpx_ne_u32_e32 0x7f, v1
	s_cbranch_execz .LBB370_136
; %bb.133:                              ;   in Loop: Header=BB370_10 Depth=1
	v_mov_b32_e32 v0, 7
	s_mov_b32 s20, exec_lo
	v_and_b32_sdwa v4, v25, v0 dst_sel:DWORD dst_unused:UNUSED_PAD src0_sel:BYTE_3 src1_sel:DWORD
	v_mov_b32_e32 v27, v5
	v_lshrrev_b32_e32 v0, 3, v1
	v_mov_b32_e32 v26, v4
	v_cmpx_gt_u32_e32 8, v1
; %bb.134:                              ;   in Loop: Header=BB370_10 Depth=1
	v_ffbh_u32_e32 v0, v4
	v_min_u32_e32 v0, 32, v0
	v_subrev_nc_u32_e32 v1, 28, v0
	v_sub_nc_u32_e32 v0, 29, v0
	v_lshlrev_b64 v[1:2], v1, v[4:5]
	v_and_b32_e32 v26, 7, v1
; %bb.135:                              ;   in Loop: Header=BB370_10 Depth=1
	s_or_b32 exec_lo, exec_lo, s20
	v_mov_b32_e32 v1, 24
	v_lshlrev_b32_e32 v2, 20, v26
	v_lshl_add_u32 v0, v0, 23, 0x3c000000
	v_lshlrev_b32_sdwa v1, v1, v25 dst_sel:DWORD dst_unused:UNUSED_PAD src0_sel:DWORD src1_sel:BYTE_3
	v_and_b32_e32 v1, 0x80000000, v1
	v_or3_b32 v0, v2, v1, v0
	buffer_store_dword v0, off, s[0:3], s32 offset:240 ; 4-byte Folded Spill
.LBB370_136:                            ;   in Loop: Header=BB370_10 Depth=1
	s_or_b32 exec_lo, exec_lo, s19
.LBB370_137:                            ;   in Loop: Header=BB370_10 Depth=1
	s_or_b32 exec_lo, exec_lo, s17
.LBB370_138:                            ;   in Loop: Header=BB370_10 Depth=1
	s_or_b32 exec_lo, exec_lo, s6
	flat_load_dwordx2 v[24:25], v[16:17] offset:512
	s_waitcnt vmcnt(0) lgkmcnt(0)
	v_cmp_ne_u16_sdwa s5, v24, v5 src0_sel:BYTE_0 src1_sel:DWORD
	s_and_saveexec_b32 s6, s5
	s_cbranch_execz .LBB370_146
; %bb.139:                              ;   in Loop: Header=BB370_10 Depth=1
	v_cmp_ne_u16_sdwa s5, v24, v107 src0_sel:BYTE_0 src1_sel:DWORD
	v_bfrev_b32_e32 v0, 1
	buffer_store_dword v0, off, s[0:3], s32 offset:244 ; 4-byte Folded Spill
	s_and_saveexec_b32 s17, s5
	s_cbranch_execz .LBB370_145
; %bb.140:                              ;   in Loop: Header=BB370_10 Depth=1
	v_and_b32_e32 v1, 0x7f, v24
	v_mov_b32_e32 v0, 0x7f800001
	s_mov_b32 s19, exec_lo
	buffer_store_dword v0, off, s[0:3], s32 offset:244 ; 4-byte Folded Spill
	v_cmpx_ne_u32_e32 0x7f, v1
	s_cbranch_execz .LBB370_144
; %bb.141:                              ;   in Loop: Header=BB370_10 Depth=1
	v_mov_b32_e32 v27, v25
	v_lshrrev_b32_e32 v0, 3, v1
	v_mov_b32_e32 v26, v24
	s_mov_b32 s20, exec_lo
	v_cmpx_gt_u32_e32 8, v1
; %bb.142:                              ;   in Loop: Header=BB370_10 Depth=1
	v_and_b32_e32 v0, 7, v24
	v_ffbh_u32_e32 v0, v0
	v_min_u32_e32 v0, 32, v0
	v_subrev_nc_u32_e32 v1, 28, v0
	v_sub_nc_u32_e32 v0, 29, v0
	v_lshlrev_b64 v[26:27], v1, v[24:25]
; %bb.143:                              ;   in Loop: Header=BB370_10 Depth=1
	s_or_b32 exec_lo, exec_lo, s20
	v_lshlrev_b32_e32 v1, 20, v26
	v_lshlrev_b32_e32 v2, 24, v24
	v_lshl_add_u32 v0, v0, 23, 0x3c000000
	v_and_b32_e32 v1, 0x700000, v1
	v_and_b32_e32 v2, 0x80000000, v2
	v_or3_b32 v0, v1, v2, v0
	buffer_store_dword v0, off, s[0:3], s32 offset:244 ; 4-byte Folded Spill
.LBB370_144:                            ;   in Loop: Header=BB370_10 Depth=1
	s_or_b32 exec_lo, exec_lo, s19
.LBB370_145:                            ;   in Loop: Header=BB370_10 Depth=1
	s_or_b32 exec_lo, exec_lo, s17
.LBB370_146:                            ;   in Loop: Header=BB370_10 Depth=1
	s_or_b32 exec_lo, exec_lo, s6
	v_mov_b32_e32 v0, 0
	v_cmp_ne_u16_sdwa s5, v24, v5 src0_sel:BYTE_1 src1_sel:DWORD
	buffer_store_dword v0, off, s[0:3], s32 offset:252 ; 4-byte Folded Spill
	v_mov_b32_e32 v0, 0
	buffer_store_dword v0, off, s[0:3], s32 offset:248 ; 4-byte Folded Spill
	s_and_saveexec_b32 s6, s5
	s_cbranch_execz .LBB370_154
; %bb.147:                              ;   in Loop: Header=BB370_10 Depth=1
	v_cmp_ne_u16_sdwa s5, v24, v107 src0_sel:BYTE_1 src1_sel:DWORD
	v_bfrev_b32_e32 v0, 1
	buffer_store_dword v0, off, s[0:3], s32 offset:248 ; 4-byte Folded Spill
	s_and_saveexec_b32 s17, s5
	s_cbranch_execz .LBB370_153
; %bb.148:                              ;   in Loop: Header=BB370_10 Depth=1
	v_mov_b32_e32 v0, 0xffff
	v_mov_b32_e32 v2, 0x7f800001
	s_mov_b32 s19, exec_lo
	v_and_b32_sdwa v0, v0, v24 dst_sel:DWORD dst_unused:UNUSED_PAD src0_sel:DWORD src1_sel:BYTE_1
	buffer_store_dword v2, off, s[0:3], s32 offset:248 ; 4-byte Folded Spill
	v_and_b32_e32 v1, 0x7f, v0
	v_cmpx_ne_u32_e32 0x7f, v1
	s_cbranch_execz .LBB370_152
; %bb.149:                              ;   in Loop: Header=BB370_10 Depth=1
	v_and_b32_e32 v4, 7, v0
	v_mov_b32_e32 v27, v5
	v_lshrrev_b32_e32 v0, 3, v1
	s_mov_b32 s20, exec_lo
	v_mov_b32_e32 v26, v4
	v_cmpx_gt_u32_e32 8, v1
; %bb.150:                              ;   in Loop: Header=BB370_10 Depth=1
	v_ffbh_u32_e32 v0, v4
	v_min_u32_e32 v0, 32, v0
	v_subrev_nc_u32_e32 v1, 28, v0
	v_sub_nc_u32_e32 v0, 29, v0
	v_lshlrev_b64 v[1:2], v1, v[4:5]
	v_and_b32_e32 v26, 7, v1
; %bb.151:                              ;   in Loop: Header=BB370_10 Depth=1
	s_or_b32 exec_lo, exec_lo, s20
	v_lshlrev_b32_e32 v1, 16, v24
	v_lshlrev_b32_e32 v2, 20, v26
	v_lshl_add_u32 v0, v0, 23, 0x3c000000
	v_and_b32_e32 v1, 0x80000000, v1
	v_or3_b32 v0, v2, v1, v0
	buffer_store_dword v0, off, s[0:3], s32 offset:248 ; 4-byte Folded Spill
.LBB370_152:                            ;   in Loop: Header=BB370_10 Depth=1
	s_or_b32 exec_lo, exec_lo, s19
.LBB370_153:                            ;   in Loop: Header=BB370_10 Depth=1
	s_or_b32 exec_lo, exec_lo, s17
.LBB370_154:                            ;   in Loop: Header=BB370_10 Depth=1
	s_or_b32 exec_lo, exec_lo, s6
	v_mov_b32_e32 v0, 0xff
	s_mov_b32 s6, exec_lo
	v_and_b32_sdwa v0, v24, v0 dst_sel:DWORD dst_unused:UNUSED_PAD src0_sel:WORD_1 src1_sel:DWORD
	v_cmpx_ne_u16_e32 0, v0
	s_cbranch_execz .LBB370_162
; %bb.155:                              ;   in Loop: Header=BB370_10 Depth=1
	v_cmp_ne_u16_e64 s5, 0x80, v0
	v_bfrev_b32_e32 v0, 1
	buffer_store_dword v0, off, s[0:3], s32 offset:252 ; 4-byte Folded Spill
	s_and_saveexec_b32 s17, s5
	s_cbranch_execz .LBB370_161
; %bb.156:                              ;   in Loop: Header=BB370_10 Depth=1
	v_bfe_u32 v1, v24, 16, 7
	v_mov_b32_e32 v0, 0x7f800001
	s_mov_b32 s19, exec_lo
	buffer_store_dword v0, off, s[0:3], s32 offset:252 ; 4-byte Folded Spill
	v_cmpx_ne_u32_e32 0x7f, v1
	s_cbranch_execz .LBB370_160
; %bb.157:                              ;   in Loop: Header=BB370_10 Depth=1
	v_mov_b32_e32 v0, 7
	s_mov_b32 s20, exec_lo
	v_and_b32_sdwa v4, v24, v0 dst_sel:DWORD dst_unused:UNUSED_PAD src0_sel:WORD_1 src1_sel:DWORD
	v_mov_b32_e32 v27, v5
	v_lshrrev_b32_e32 v0, 3, v1
	v_mov_b32_e32 v26, v4
	v_cmpx_gt_u32_e32 8, v1
; %bb.158:                              ;   in Loop: Header=BB370_10 Depth=1
	v_ffbh_u32_e32 v0, v4
	v_min_u32_e32 v0, 32, v0
	v_subrev_nc_u32_e32 v1, 28, v0
	v_sub_nc_u32_e32 v0, 29, v0
	v_lshlrev_b64 v[1:2], v1, v[4:5]
	v_and_b32_e32 v26, 7, v1
; %bb.159:                              ;   in Loop: Header=BB370_10 Depth=1
	s_or_b32 exec_lo, exec_lo, s20
	v_mov_b32_e32 v1, 24
	v_lshlrev_b32_e32 v2, 20, v26
	v_lshl_add_u32 v0, v0, 23, 0x3c000000
	v_lshlrev_b32_sdwa v1, v1, v24 dst_sel:DWORD dst_unused:UNUSED_PAD src0_sel:DWORD src1_sel:WORD_1
	v_and_b32_e32 v1, 0x80000000, v1
	v_or3_b32 v0, v2, v1, v0
	buffer_store_dword v0, off, s[0:3], s32 offset:252 ; 4-byte Folded Spill
.LBB370_160:                            ;   in Loop: Header=BB370_10 Depth=1
	s_or_b32 exec_lo, exec_lo, s19
.LBB370_161:                            ;   in Loop: Header=BB370_10 Depth=1
	s_or_b32 exec_lo, exec_lo, s17
.LBB370_162:                            ;   in Loop: Header=BB370_10 Depth=1
	s_or_b32 exec_lo, exec_lo, s6
	v_mov_b32_e32 v0, 0
	s_mov_b32 s6, exec_lo
	buffer_store_dword v0, off, s[0:3], s32 offset:260 ; 4-byte Folded Spill
	v_mov_b32_e32 v0, 0
	buffer_store_dword v0, off, s[0:3], s32 offset:256 ; 4-byte Folded Spill
	v_cmpx_lt_u32_e32 0xffffff, v24
	s_cbranch_execz .LBB370_170
; %bb.163:                              ;   in Loop: Header=BB370_10 Depth=1
	v_cmp_ne_u32_sdwa s5, v24, v107 src0_sel:BYTE_3 src1_sel:DWORD
	v_bfrev_b32_e32 v0, 1
	buffer_store_dword v0, off, s[0:3], s32 offset:256 ; 4-byte Folded Spill
	s_and_saveexec_b32 s17, s5
	s_cbranch_execz .LBB370_169
; %bb.164:                              ;   in Loop: Header=BB370_10 Depth=1
	v_bfe_u32 v1, v24, 24, 7
	v_mov_b32_e32 v0, 0x7f800001
	s_mov_b32 s19, exec_lo
	buffer_store_dword v0, off, s[0:3], s32 offset:256 ; 4-byte Folded Spill
	v_cmpx_ne_u32_e32 0x7f, v1
	s_cbranch_execz .LBB370_168
; %bb.165:                              ;   in Loop: Header=BB370_10 Depth=1
	v_mov_b32_e32 v0, 7
	s_mov_b32 s20, exec_lo
	v_and_b32_sdwa v4, v24, v0 dst_sel:DWORD dst_unused:UNUSED_PAD src0_sel:BYTE_3 src1_sel:DWORD
	v_mov_b32_e32 v27, v5
	v_lshrrev_b32_e32 v0, 3, v1
	v_mov_b32_e32 v26, v4
	v_cmpx_gt_u32_e32 8, v1
; %bb.166:                              ;   in Loop: Header=BB370_10 Depth=1
	v_ffbh_u32_e32 v0, v4
	v_min_u32_e32 v0, 32, v0
	v_subrev_nc_u32_e32 v1, 28, v0
	v_sub_nc_u32_e32 v0, 29, v0
	v_lshlrev_b64 v[1:2], v1, v[4:5]
	v_and_b32_e32 v26, 7, v1
; %bb.167:                              ;   in Loop: Header=BB370_10 Depth=1
	s_or_b32 exec_lo, exec_lo, s20
	v_mov_b32_e32 v1, 24
	v_lshlrev_b32_e32 v2, 20, v26
	v_lshl_add_u32 v0, v0, 23, 0x3c000000
	v_lshlrev_b32_sdwa v1, v1, v24 dst_sel:DWORD dst_unused:UNUSED_PAD src0_sel:DWORD src1_sel:BYTE_3
	v_and_b32_e32 v1, 0x80000000, v1
	v_or3_b32 v0, v2, v1, v0
	buffer_store_dword v0, off, s[0:3], s32 offset:256 ; 4-byte Folded Spill
.LBB370_168:                            ;   in Loop: Header=BB370_10 Depth=1
	s_or_b32 exec_lo, exec_lo, s19
.LBB370_169:                            ;   in Loop: Header=BB370_10 Depth=1
	s_or_b32 exec_lo, exec_lo, s17
.LBB370_170:                            ;   in Loop: Header=BB370_10 Depth=1
	s_or_b32 exec_lo, exec_lo, s6
	v_mov_b32_e32 v4, v25
	v_cmp_ne_u16_sdwa s5, v25, v5 src0_sel:BYTE_0 src1_sel:DWORD
	s_and_saveexec_b32 s6, s5
	s_cbranch_execz .LBB370_178
; %bb.171:                              ;   in Loop: Header=BB370_10 Depth=1
	v_cmp_ne_u16_sdwa s5, v25, v107 src0_sel:BYTE_0 src1_sel:DWORD
	v_bfrev_b32_e32 v0, 1
	buffer_store_dword v0, off, s[0:3], s32 offset:260 ; 4-byte Folded Spill
	s_and_saveexec_b32 s17, s5
	s_cbranch_execz .LBB370_177
; %bb.172:                              ;   in Loop: Header=BB370_10 Depth=1
	v_and_b32_e32 v1, 0x7f, v25
	v_mov_b32_e32 v0, 0x7f800001
	s_mov_b32 s19, exec_lo
	buffer_store_dword v0, off, s[0:3], s32 offset:260 ; 4-byte Folded Spill
	v_cmpx_ne_u32_e32 0x7f, v1
	s_cbranch_execz .LBB370_176
; %bb.173:                              ;   in Loop: Header=BB370_10 Depth=1
	v_mov_b32_e32 v27, v5
	v_lshrrev_b32_e32 v0, 3, v1
	v_mov_b32_e32 v26, v4
	s_mov_b32 s20, exec_lo
	v_cmpx_gt_u32_e32 8, v1
; %bb.174:                              ;   in Loop: Header=BB370_10 Depth=1
	v_and_b32_e32 v0, 7, v25
	v_ffbh_u32_e32 v0, v0
	v_min_u32_e32 v0, 32, v0
	v_subrev_nc_u32_e32 v1, 28, v0
	v_sub_nc_u32_e32 v0, 29, v0
	v_lshlrev_b64 v[26:27], v1, v[4:5]
; %bb.175:                              ;   in Loop: Header=BB370_10 Depth=1
	s_or_b32 exec_lo, exec_lo, s20
	v_lshlrev_b32_e32 v1, 20, v26
	v_lshlrev_b32_e32 v2, 24, v4
	v_lshl_add_u32 v0, v0, 23, 0x3c000000
	v_and_b32_e32 v1, 0x700000, v1
	v_and_b32_e32 v2, 0x80000000, v2
	v_or3_b32 v0, v1, v2, v0
	buffer_store_dword v0, off, s[0:3], s32 offset:260 ; 4-byte Folded Spill
.LBB370_176:                            ;   in Loop: Header=BB370_10 Depth=1
	s_or_b32 exec_lo, exec_lo, s19
.LBB370_177:                            ;   in Loop: Header=BB370_10 Depth=1
	s_or_b32 exec_lo, exec_lo, s17
.LBB370_178:                            ;   in Loop: Header=BB370_10 Depth=1
	s_or_b32 exec_lo, exec_lo, s6
	v_mov_b32_e32 v0, 0
	v_cmp_ne_u16_sdwa s5, v4, v5 src0_sel:BYTE_1 src1_sel:DWORD
	buffer_store_dword v0, off, s[0:3], s32 offset:264 ; 4-byte Folded Spill
	v_mov_b32_e32 v0, 0
	buffer_store_dword v0, off, s[0:3], s32 offset:268 ; 4-byte Folded Spill
	s_and_saveexec_b32 s6, s5
	s_cbranch_execz .LBB370_186
; %bb.179:                              ;   in Loop: Header=BB370_10 Depth=1
	v_cmp_ne_u16_sdwa s5, v4, v107 src0_sel:BYTE_1 src1_sel:DWORD
	v_bfrev_b32_e32 v0, 1
	buffer_store_dword v0, off, s[0:3], s32 offset:268 ; 4-byte Folded Spill
	s_and_saveexec_b32 s17, s5
	s_cbranch_execz .LBB370_185
; %bb.180:                              ;   in Loop: Header=BB370_10 Depth=1
	v_mov_b32_e32 v0, 0xffff
	v_mov_b32_e32 v2, 0x7f800001
	s_mov_b32 s19, exec_lo
	v_and_b32_sdwa v0, v0, v4 dst_sel:DWORD dst_unused:UNUSED_PAD src0_sel:DWORD src1_sel:BYTE_1
	buffer_store_dword v2, off, s[0:3], s32 offset:268 ; 4-byte Folded Spill
	v_and_b32_e32 v1, 0x7f, v0
	v_cmpx_ne_u32_e32 0x7f, v1
	s_cbranch_execz .LBB370_184
; %bb.181:                              ;   in Loop: Header=BB370_10 Depth=1
	v_and_b32_e32 v26, 7, v0
	v_mov_b32_e32 v27, v5
	v_lshrrev_b32_e32 v0, 3, v1
	s_mov_b32 s20, exec_lo
	v_cmpx_gt_u32_e32 8, v1
; %bb.182:                              ;   in Loop: Header=BB370_10 Depth=1
	v_ffbh_u32_e32 v0, v26
	v_min_u32_e32 v0, 32, v0
	v_subrev_nc_u32_e32 v1, 28, v0
	v_sub_nc_u32_e32 v0, 29, v0
	v_lshlrev_b64 v[1:2], v1, v[26:27]
	v_and_b32_e32 v26, 7, v1
; %bb.183:                              ;   in Loop: Header=BB370_10 Depth=1
	s_or_b32 exec_lo, exec_lo, s20
	v_lshlrev_b32_e32 v1, 16, v4
	v_lshlrev_b32_e32 v2, 20, v26
	v_lshl_add_u32 v0, v0, 23, 0x3c000000
	v_and_b32_e32 v1, 0x80000000, v1
	v_or3_b32 v0, v2, v1, v0
	buffer_store_dword v0, off, s[0:3], s32 offset:268 ; 4-byte Folded Spill
.LBB370_184:                            ;   in Loop: Header=BB370_10 Depth=1
	s_or_b32 exec_lo, exec_lo, s19
.LBB370_185:                            ;   in Loop: Header=BB370_10 Depth=1
	s_or_b32 exec_lo, exec_lo, s17
.LBB370_186:                            ;   in Loop: Header=BB370_10 Depth=1
	s_or_b32 exec_lo, exec_lo, s6
	v_mov_b32_e32 v0, 0xff
	s_mov_b32 s6, exec_lo
	v_and_b32_sdwa v0, v25, v0 dst_sel:DWORD dst_unused:UNUSED_PAD src0_sel:WORD_1 src1_sel:DWORD
	v_cmpx_ne_u16_e32 0, v0
	s_cbranch_execz .LBB370_194
; %bb.187:                              ;   in Loop: Header=BB370_10 Depth=1
	v_cmp_ne_u16_e64 s5, 0x80, v0
	v_bfrev_b32_e32 v0, 1
	buffer_store_dword v0, off, s[0:3], s32 offset:264 ; 4-byte Folded Spill
	s_and_saveexec_b32 s17, s5
	s_cbranch_execz .LBB370_193
; %bb.188:                              ;   in Loop: Header=BB370_10 Depth=1
	v_bfe_u32 v1, v25, 16, 7
	v_mov_b32_e32 v0, 0x7f800001
	s_mov_b32 s19, exec_lo
	buffer_store_dword v0, off, s[0:3], s32 offset:264 ; 4-byte Folded Spill
	v_cmpx_ne_u32_e32 0x7f, v1
	s_cbranch_execz .LBB370_192
; %bb.189:                              ;   in Loop: Header=BB370_10 Depth=1
	v_mov_b32_e32 v0, 7
	s_mov_b32 s20, exec_lo
	v_and_b32_sdwa v4, v25, v0 dst_sel:DWORD dst_unused:UNUSED_PAD src0_sel:WORD_1 src1_sel:DWORD
	v_mov_b32_e32 v27, v5
	v_lshrrev_b32_e32 v0, 3, v1
	v_mov_b32_e32 v26, v4
	v_cmpx_gt_u32_e32 8, v1
; %bb.190:                              ;   in Loop: Header=BB370_10 Depth=1
	v_ffbh_u32_e32 v0, v4
	v_min_u32_e32 v0, 32, v0
	v_subrev_nc_u32_e32 v1, 28, v0
	v_sub_nc_u32_e32 v0, 29, v0
	v_lshlrev_b64 v[1:2], v1, v[4:5]
	v_and_b32_e32 v26, 7, v1
; %bb.191:                              ;   in Loop: Header=BB370_10 Depth=1
	s_or_b32 exec_lo, exec_lo, s20
	v_mov_b32_e32 v1, 24
	v_lshlrev_b32_e32 v2, 20, v26
	v_lshl_add_u32 v0, v0, 23, 0x3c000000
	v_lshlrev_b32_sdwa v1, v1, v25 dst_sel:DWORD dst_unused:UNUSED_PAD src0_sel:DWORD src1_sel:WORD_1
	v_and_b32_e32 v1, 0x80000000, v1
	v_or3_b32 v0, v2, v1, v0
	buffer_store_dword v0, off, s[0:3], s32 offset:264 ; 4-byte Folded Spill
.LBB370_192:                            ;   in Loop: Header=BB370_10 Depth=1
	s_or_b32 exec_lo, exec_lo, s19
.LBB370_193:                            ;   in Loop: Header=BB370_10 Depth=1
	s_or_b32 exec_lo, exec_lo, s17
.LBB370_194:                            ;   in Loop: Header=BB370_10 Depth=1
	s_or_b32 exec_lo, exec_lo, s6
	v_mov_b32_e32 v0, 0
	s_mov_b32 s6, exec_lo
	buffer_store_dword v0, off, s[0:3], s32 offset:276 ; 4-byte Folded Spill
	v_mov_b32_e32 v0, 0
	buffer_store_dword v0, off, s[0:3], s32 offset:272 ; 4-byte Folded Spill
	v_cmpx_lt_u64_e64 s[8:9], v[24:25]
	s_cbranch_execz .LBB370_202
; %bb.195:                              ;   in Loop: Header=BB370_10 Depth=1
	v_cmp_ne_u32_sdwa s5, v25, v107 src0_sel:BYTE_3 src1_sel:DWORD
	v_bfrev_b32_e32 v0, 1
	buffer_store_dword v0, off, s[0:3], s32 offset:272 ; 4-byte Folded Spill
	s_and_saveexec_b32 s17, s5
	s_cbranch_execz .LBB370_201
; %bb.196:                              ;   in Loop: Header=BB370_10 Depth=1
	v_bfe_u32 v1, v25, 24, 7
	v_mov_b32_e32 v0, 0x7f800001
	s_mov_b32 s19, exec_lo
	buffer_store_dword v0, off, s[0:3], s32 offset:272 ; 4-byte Folded Spill
	v_cmpx_ne_u32_e32 0x7f, v1
	s_cbranch_execz .LBB370_200
; %bb.197:                              ;   in Loop: Header=BB370_10 Depth=1
	v_mov_b32_e32 v0, 7
	s_mov_b32 s20, exec_lo
	v_and_b32_sdwa v4, v25, v0 dst_sel:DWORD dst_unused:UNUSED_PAD src0_sel:BYTE_3 src1_sel:DWORD
	v_mov_b32_e32 v27, v5
	v_lshrrev_b32_e32 v0, 3, v1
	v_mov_b32_e32 v26, v4
	v_cmpx_gt_u32_e32 8, v1
; %bb.198:                              ;   in Loop: Header=BB370_10 Depth=1
	v_ffbh_u32_e32 v0, v4
	v_min_u32_e32 v0, 32, v0
	v_subrev_nc_u32_e32 v1, 28, v0
	v_sub_nc_u32_e32 v0, 29, v0
	v_lshlrev_b64 v[1:2], v1, v[4:5]
	v_and_b32_e32 v26, 7, v1
; %bb.199:                              ;   in Loop: Header=BB370_10 Depth=1
	s_or_b32 exec_lo, exec_lo, s20
	v_mov_b32_e32 v1, 24
	v_lshlrev_b32_e32 v2, 20, v26
	v_lshl_add_u32 v0, v0, 23, 0x3c000000
	v_lshlrev_b32_sdwa v1, v1, v25 dst_sel:DWORD dst_unused:UNUSED_PAD src0_sel:DWORD src1_sel:BYTE_3
	v_and_b32_e32 v1, 0x80000000, v1
	v_or3_b32 v0, v2, v1, v0
	buffer_store_dword v0, off, s[0:3], s32 offset:272 ; 4-byte Folded Spill
.LBB370_200:                            ;   in Loop: Header=BB370_10 Depth=1
	s_or_b32 exec_lo, exec_lo, s19
.LBB370_201:                            ;   in Loop: Header=BB370_10 Depth=1
	s_or_b32 exec_lo, exec_lo, s17
.LBB370_202:                            ;   in Loop: Header=BB370_10 Depth=1
	s_or_b32 exec_lo, exec_lo, s6
	flat_load_dwordx2 v[24:25], v[16:17] offset:520
	s_waitcnt vmcnt(0) lgkmcnt(0)
	v_cmp_ne_u16_sdwa s5, v24, v5 src0_sel:BYTE_0 src1_sel:DWORD
	s_and_saveexec_b32 s6, s5
	s_cbranch_execz .LBB370_210
; %bb.203:                              ;   in Loop: Header=BB370_10 Depth=1
	v_cmp_ne_u16_sdwa s5, v24, v107 src0_sel:BYTE_0 src1_sel:DWORD
	v_bfrev_b32_e32 v0, 1
	buffer_store_dword v0, off, s[0:3], s32 offset:276 ; 4-byte Folded Spill
	s_and_saveexec_b32 s17, s5
	s_cbranch_execz .LBB370_209
; %bb.204:                              ;   in Loop: Header=BB370_10 Depth=1
	v_and_b32_e32 v1, 0x7f, v24
	v_mov_b32_e32 v0, 0x7f800001
	s_mov_b32 s19, exec_lo
	buffer_store_dword v0, off, s[0:3], s32 offset:276 ; 4-byte Folded Spill
	v_cmpx_ne_u32_e32 0x7f, v1
	s_cbranch_execz .LBB370_208
; %bb.205:                              ;   in Loop: Header=BB370_10 Depth=1
	v_mov_b32_e32 v27, v25
	v_lshrrev_b32_e32 v0, 3, v1
	v_mov_b32_e32 v26, v24
	s_mov_b32 s20, exec_lo
	v_cmpx_gt_u32_e32 8, v1
; %bb.206:                              ;   in Loop: Header=BB370_10 Depth=1
	v_and_b32_e32 v0, 7, v24
	v_ffbh_u32_e32 v0, v0
	v_min_u32_e32 v0, 32, v0
	v_subrev_nc_u32_e32 v1, 28, v0
	v_sub_nc_u32_e32 v0, 29, v0
	v_lshlrev_b64 v[26:27], v1, v[24:25]
; %bb.207:                              ;   in Loop: Header=BB370_10 Depth=1
	s_or_b32 exec_lo, exec_lo, s20
	v_lshlrev_b32_e32 v1, 20, v26
	v_lshlrev_b32_e32 v2, 24, v24
	v_lshl_add_u32 v0, v0, 23, 0x3c000000
	v_and_b32_e32 v1, 0x700000, v1
	v_and_b32_e32 v2, 0x80000000, v2
	v_or3_b32 v0, v1, v2, v0
	buffer_store_dword v0, off, s[0:3], s32 offset:276 ; 4-byte Folded Spill
.LBB370_208:                            ;   in Loop: Header=BB370_10 Depth=1
	s_or_b32 exec_lo, exec_lo, s19
.LBB370_209:                            ;   in Loop: Header=BB370_10 Depth=1
	s_or_b32 exec_lo, exec_lo, s17
.LBB370_210:                            ;   in Loop: Header=BB370_10 Depth=1
	s_or_b32 exec_lo, exec_lo, s6
	v_mov_b32_e32 v0, 0
	v_cmp_ne_u16_sdwa s5, v24, v5 src0_sel:BYTE_1 src1_sel:DWORD
	buffer_store_dword v0, off, s[0:3], s32 offset:284 ; 4-byte Folded Spill
	v_mov_b32_e32 v0, 0
	buffer_store_dword v0, off, s[0:3], s32 offset:280 ; 4-byte Folded Spill
	s_and_saveexec_b32 s6, s5
	s_cbranch_execz .LBB370_218
; %bb.211:                              ;   in Loop: Header=BB370_10 Depth=1
	v_cmp_ne_u16_sdwa s5, v24, v107 src0_sel:BYTE_1 src1_sel:DWORD
	v_bfrev_b32_e32 v0, 1
	buffer_store_dword v0, off, s[0:3], s32 offset:280 ; 4-byte Folded Spill
	s_and_saveexec_b32 s17, s5
	s_cbranch_execz .LBB370_217
; %bb.212:                              ;   in Loop: Header=BB370_10 Depth=1
	v_mov_b32_e32 v0, 0xffff
	v_mov_b32_e32 v2, 0x7f800001
	s_mov_b32 s19, exec_lo
	v_and_b32_sdwa v0, v0, v24 dst_sel:DWORD dst_unused:UNUSED_PAD src0_sel:DWORD src1_sel:BYTE_1
	buffer_store_dword v2, off, s[0:3], s32 offset:280 ; 4-byte Folded Spill
	v_and_b32_e32 v1, 0x7f, v0
	v_cmpx_ne_u32_e32 0x7f, v1
	s_cbranch_execz .LBB370_216
; %bb.213:                              ;   in Loop: Header=BB370_10 Depth=1
	v_and_b32_e32 v4, 7, v0
	v_mov_b32_e32 v27, v5
	v_lshrrev_b32_e32 v0, 3, v1
	s_mov_b32 s20, exec_lo
	v_mov_b32_e32 v26, v4
	v_cmpx_gt_u32_e32 8, v1
; %bb.214:                              ;   in Loop: Header=BB370_10 Depth=1
	v_ffbh_u32_e32 v0, v4
	v_min_u32_e32 v0, 32, v0
	v_subrev_nc_u32_e32 v1, 28, v0
	v_sub_nc_u32_e32 v0, 29, v0
	v_lshlrev_b64 v[1:2], v1, v[4:5]
	v_and_b32_e32 v26, 7, v1
; %bb.215:                              ;   in Loop: Header=BB370_10 Depth=1
	s_or_b32 exec_lo, exec_lo, s20
	v_lshlrev_b32_e32 v1, 16, v24
	v_lshlrev_b32_e32 v2, 20, v26
	v_lshl_add_u32 v0, v0, 23, 0x3c000000
	v_and_b32_e32 v1, 0x80000000, v1
	v_or3_b32 v0, v2, v1, v0
	buffer_store_dword v0, off, s[0:3], s32 offset:280 ; 4-byte Folded Spill
.LBB370_216:                            ;   in Loop: Header=BB370_10 Depth=1
	s_or_b32 exec_lo, exec_lo, s19
.LBB370_217:                            ;   in Loop: Header=BB370_10 Depth=1
	s_or_b32 exec_lo, exec_lo, s17
.LBB370_218:                            ;   in Loop: Header=BB370_10 Depth=1
	s_or_b32 exec_lo, exec_lo, s6
	v_mov_b32_e32 v0, 0xff
	s_mov_b32 s6, exec_lo
	v_and_b32_sdwa v0, v24, v0 dst_sel:DWORD dst_unused:UNUSED_PAD src0_sel:WORD_1 src1_sel:DWORD
	v_cmpx_ne_u16_e32 0, v0
	s_cbranch_execz .LBB370_226
; %bb.219:                              ;   in Loop: Header=BB370_10 Depth=1
	v_cmp_ne_u16_e64 s5, 0x80, v0
	v_bfrev_b32_e32 v0, 1
	buffer_store_dword v0, off, s[0:3], s32 offset:284 ; 4-byte Folded Spill
	s_and_saveexec_b32 s17, s5
	s_cbranch_execz .LBB370_225
; %bb.220:                              ;   in Loop: Header=BB370_10 Depth=1
	v_bfe_u32 v1, v24, 16, 7
	v_mov_b32_e32 v0, 0x7f800001
	s_mov_b32 s19, exec_lo
	buffer_store_dword v0, off, s[0:3], s32 offset:284 ; 4-byte Folded Spill
	v_cmpx_ne_u32_e32 0x7f, v1
	s_cbranch_execz .LBB370_224
; %bb.221:                              ;   in Loop: Header=BB370_10 Depth=1
	v_mov_b32_e32 v0, 7
	s_mov_b32 s20, exec_lo
	v_and_b32_sdwa v4, v24, v0 dst_sel:DWORD dst_unused:UNUSED_PAD src0_sel:WORD_1 src1_sel:DWORD
	v_mov_b32_e32 v27, v5
	v_lshrrev_b32_e32 v0, 3, v1
	v_mov_b32_e32 v26, v4
	v_cmpx_gt_u32_e32 8, v1
; %bb.222:                              ;   in Loop: Header=BB370_10 Depth=1
	v_ffbh_u32_e32 v0, v4
	v_min_u32_e32 v0, 32, v0
	v_subrev_nc_u32_e32 v1, 28, v0
	v_sub_nc_u32_e32 v0, 29, v0
	v_lshlrev_b64 v[1:2], v1, v[4:5]
	v_and_b32_e32 v26, 7, v1
; %bb.223:                              ;   in Loop: Header=BB370_10 Depth=1
	s_or_b32 exec_lo, exec_lo, s20
	v_mov_b32_e32 v1, 24
	v_lshlrev_b32_e32 v2, 20, v26
	v_lshl_add_u32 v0, v0, 23, 0x3c000000
	v_lshlrev_b32_sdwa v1, v1, v24 dst_sel:DWORD dst_unused:UNUSED_PAD src0_sel:DWORD src1_sel:WORD_1
	v_and_b32_e32 v1, 0x80000000, v1
	v_or3_b32 v0, v2, v1, v0
	buffer_store_dword v0, off, s[0:3], s32 offset:284 ; 4-byte Folded Spill
.LBB370_224:                            ;   in Loop: Header=BB370_10 Depth=1
	s_or_b32 exec_lo, exec_lo, s19
.LBB370_225:                            ;   in Loop: Header=BB370_10 Depth=1
	s_or_b32 exec_lo, exec_lo, s17
.LBB370_226:                            ;   in Loop: Header=BB370_10 Depth=1
	s_or_b32 exec_lo, exec_lo, s6
	v_mov_b32_e32 v0, 0
	s_mov_b32 s6, exec_lo
	buffer_store_dword v0, off, s[0:3], s32 offset:292 ; 4-byte Folded Spill
	v_mov_b32_e32 v0, 0
	buffer_store_dword v0, off, s[0:3], s32 offset:288 ; 4-byte Folded Spill
	v_cmpx_lt_u32_e32 0xffffff, v24
	s_cbranch_execz .LBB370_234
; %bb.227:                              ;   in Loop: Header=BB370_10 Depth=1
	v_cmp_ne_u32_sdwa s5, v24, v107 src0_sel:BYTE_3 src1_sel:DWORD
	v_bfrev_b32_e32 v0, 1
	buffer_store_dword v0, off, s[0:3], s32 offset:288 ; 4-byte Folded Spill
	s_and_saveexec_b32 s17, s5
	s_cbranch_execz .LBB370_233
; %bb.228:                              ;   in Loop: Header=BB370_10 Depth=1
	v_bfe_u32 v1, v24, 24, 7
	v_mov_b32_e32 v0, 0x7f800001
	s_mov_b32 s19, exec_lo
	buffer_store_dword v0, off, s[0:3], s32 offset:288 ; 4-byte Folded Spill
	v_cmpx_ne_u32_e32 0x7f, v1
	s_cbranch_execz .LBB370_232
; %bb.229:                              ;   in Loop: Header=BB370_10 Depth=1
	v_mov_b32_e32 v0, 7
	s_mov_b32 s20, exec_lo
	v_and_b32_sdwa v4, v24, v0 dst_sel:DWORD dst_unused:UNUSED_PAD src0_sel:BYTE_3 src1_sel:DWORD
	v_mov_b32_e32 v27, v5
	v_lshrrev_b32_e32 v0, 3, v1
	v_mov_b32_e32 v26, v4
	v_cmpx_gt_u32_e32 8, v1
; %bb.230:                              ;   in Loop: Header=BB370_10 Depth=1
	v_ffbh_u32_e32 v0, v4
	v_min_u32_e32 v0, 32, v0
	v_subrev_nc_u32_e32 v1, 28, v0
	v_sub_nc_u32_e32 v0, 29, v0
	v_lshlrev_b64 v[1:2], v1, v[4:5]
	v_and_b32_e32 v26, 7, v1
; %bb.231:                              ;   in Loop: Header=BB370_10 Depth=1
	s_or_b32 exec_lo, exec_lo, s20
	v_mov_b32_e32 v1, 24
	v_lshlrev_b32_e32 v2, 20, v26
	v_lshl_add_u32 v0, v0, 23, 0x3c000000
	v_lshlrev_b32_sdwa v1, v1, v24 dst_sel:DWORD dst_unused:UNUSED_PAD src0_sel:DWORD src1_sel:BYTE_3
	v_and_b32_e32 v1, 0x80000000, v1
	v_or3_b32 v0, v2, v1, v0
	buffer_store_dword v0, off, s[0:3], s32 offset:288 ; 4-byte Folded Spill
.LBB370_232:                            ;   in Loop: Header=BB370_10 Depth=1
	s_or_b32 exec_lo, exec_lo, s19
.LBB370_233:                            ;   in Loop: Header=BB370_10 Depth=1
	s_or_b32 exec_lo, exec_lo, s17
.LBB370_234:                            ;   in Loop: Header=BB370_10 Depth=1
	s_or_b32 exec_lo, exec_lo, s6
	v_mov_b32_e32 v4, v25
	v_cmp_ne_u16_sdwa s5, v25, v5 src0_sel:BYTE_0 src1_sel:DWORD
	s_and_saveexec_b32 s6, s5
	s_cbranch_execz .LBB370_242
; %bb.235:                              ;   in Loop: Header=BB370_10 Depth=1
	v_cmp_ne_u16_sdwa s5, v25, v107 src0_sel:BYTE_0 src1_sel:DWORD
	v_bfrev_b32_e32 v0, 1
	buffer_store_dword v0, off, s[0:3], s32 offset:292 ; 4-byte Folded Spill
	s_and_saveexec_b32 s17, s5
	s_cbranch_execz .LBB370_241
; %bb.236:                              ;   in Loop: Header=BB370_10 Depth=1
	v_and_b32_e32 v1, 0x7f, v25
	v_mov_b32_e32 v0, 0x7f800001
	s_mov_b32 s19, exec_lo
	buffer_store_dword v0, off, s[0:3], s32 offset:292 ; 4-byte Folded Spill
	v_cmpx_ne_u32_e32 0x7f, v1
	s_cbranch_execz .LBB370_240
; %bb.237:                              ;   in Loop: Header=BB370_10 Depth=1
	v_mov_b32_e32 v27, v5
	v_lshrrev_b32_e32 v0, 3, v1
	v_mov_b32_e32 v26, v4
	s_mov_b32 s20, exec_lo
	v_cmpx_gt_u32_e32 8, v1
; %bb.238:                              ;   in Loop: Header=BB370_10 Depth=1
	v_and_b32_e32 v0, 7, v25
	v_ffbh_u32_e32 v0, v0
	v_min_u32_e32 v0, 32, v0
	v_subrev_nc_u32_e32 v1, 28, v0
	v_sub_nc_u32_e32 v0, 29, v0
	v_lshlrev_b64 v[26:27], v1, v[4:5]
; %bb.239:                              ;   in Loop: Header=BB370_10 Depth=1
	s_or_b32 exec_lo, exec_lo, s20
	v_lshlrev_b32_e32 v1, 20, v26
	v_lshlrev_b32_e32 v2, 24, v4
	v_lshl_add_u32 v0, v0, 23, 0x3c000000
	v_and_b32_e32 v1, 0x700000, v1
	v_and_b32_e32 v2, 0x80000000, v2
	v_or3_b32 v0, v1, v2, v0
	buffer_store_dword v0, off, s[0:3], s32 offset:292 ; 4-byte Folded Spill
.LBB370_240:                            ;   in Loop: Header=BB370_10 Depth=1
	s_or_b32 exec_lo, exec_lo, s19
.LBB370_241:                            ;   in Loop: Header=BB370_10 Depth=1
	s_or_b32 exec_lo, exec_lo, s17
.LBB370_242:                            ;   in Loop: Header=BB370_10 Depth=1
	s_or_b32 exec_lo, exec_lo, s6
	v_mov_b32_e32 v0, 0
	v_cmp_ne_u16_sdwa s5, v4, v5 src0_sel:BYTE_1 src1_sel:DWORD
	buffer_store_dword v0, off, s[0:3], s32 offset:296 ; 4-byte Folded Spill
	v_mov_b32_e32 v0, 0
	buffer_store_dword v0, off, s[0:3], s32 offset:300 ; 4-byte Folded Spill
	s_and_saveexec_b32 s6, s5
	s_cbranch_execz .LBB370_250
; %bb.243:                              ;   in Loop: Header=BB370_10 Depth=1
	v_cmp_ne_u16_sdwa s5, v4, v107 src0_sel:BYTE_1 src1_sel:DWORD
	v_bfrev_b32_e32 v0, 1
	buffer_store_dword v0, off, s[0:3], s32 offset:300 ; 4-byte Folded Spill
	s_and_saveexec_b32 s17, s5
	s_cbranch_execz .LBB370_249
; %bb.244:                              ;   in Loop: Header=BB370_10 Depth=1
	v_mov_b32_e32 v0, 0xffff
	v_mov_b32_e32 v2, 0x7f800001
	s_mov_b32 s19, exec_lo
	v_and_b32_sdwa v0, v0, v4 dst_sel:DWORD dst_unused:UNUSED_PAD src0_sel:DWORD src1_sel:BYTE_1
	buffer_store_dword v2, off, s[0:3], s32 offset:300 ; 4-byte Folded Spill
	v_and_b32_e32 v1, 0x7f, v0
	v_cmpx_ne_u32_e32 0x7f, v1
	s_cbranch_execz .LBB370_248
; %bb.245:                              ;   in Loop: Header=BB370_10 Depth=1
	v_and_b32_e32 v26, 7, v0
	v_mov_b32_e32 v27, v5
	v_lshrrev_b32_e32 v0, 3, v1
	s_mov_b32 s20, exec_lo
	v_cmpx_gt_u32_e32 8, v1
; %bb.246:                              ;   in Loop: Header=BB370_10 Depth=1
	v_ffbh_u32_e32 v0, v26
	v_min_u32_e32 v0, 32, v0
	v_subrev_nc_u32_e32 v1, 28, v0
	v_sub_nc_u32_e32 v0, 29, v0
	v_lshlrev_b64 v[1:2], v1, v[26:27]
	v_and_b32_e32 v26, 7, v1
; %bb.247:                              ;   in Loop: Header=BB370_10 Depth=1
	s_or_b32 exec_lo, exec_lo, s20
	v_lshlrev_b32_e32 v1, 16, v4
	v_lshlrev_b32_e32 v2, 20, v26
	v_lshl_add_u32 v0, v0, 23, 0x3c000000
	v_and_b32_e32 v1, 0x80000000, v1
	v_or3_b32 v0, v2, v1, v0
	buffer_store_dword v0, off, s[0:3], s32 offset:300 ; 4-byte Folded Spill
.LBB370_248:                            ;   in Loop: Header=BB370_10 Depth=1
	s_or_b32 exec_lo, exec_lo, s19
.LBB370_249:                            ;   in Loop: Header=BB370_10 Depth=1
	s_or_b32 exec_lo, exec_lo, s17
.LBB370_250:                            ;   in Loop: Header=BB370_10 Depth=1
	s_or_b32 exec_lo, exec_lo, s6
	v_mov_b32_e32 v0, 0xff
	s_mov_b32 s6, exec_lo
	v_and_b32_sdwa v0, v25, v0 dst_sel:DWORD dst_unused:UNUSED_PAD src0_sel:WORD_1 src1_sel:DWORD
	v_cmpx_ne_u16_e32 0, v0
	s_cbranch_execz .LBB370_258
; %bb.251:                              ;   in Loop: Header=BB370_10 Depth=1
	v_cmp_ne_u16_e64 s5, 0x80, v0
	v_bfrev_b32_e32 v0, 1
	buffer_store_dword v0, off, s[0:3], s32 offset:296 ; 4-byte Folded Spill
	s_and_saveexec_b32 s17, s5
	s_cbranch_execz .LBB370_257
; %bb.252:                              ;   in Loop: Header=BB370_10 Depth=1
	v_bfe_u32 v1, v25, 16, 7
	v_mov_b32_e32 v0, 0x7f800001
	s_mov_b32 s19, exec_lo
	buffer_store_dword v0, off, s[0:3], s32 offset:296 ; 4-byte Folded Spill
	v_cmpx_ne_u32_e32 0x7f, v1
	s_cbranch_execz .LBB370_256
; %bb.253:                              ;   in Loop: Header=BB370_10 Depth=1
	v_mov_b32_e32 v0, 7
	s_mov_b32 s20, exec_lo
	v_and_b32_sdwa v4, v25, v0 dst_sel:DWORD dst_unused:UNUSED_PAD src0_sel:WORD_1 src1_sel:DWORD
	v_mov_b32_e32 v27, v5
	v_lshrrev_b32_e32 v0, 3, v1
	v_mov_b32_e32 v26, v4
	v_cmpx_gt_u32_e32 8, v1
; %bb.254:                              ;   in Loop: Header=BB370_10 Depth=1
	v_ffbh_u32_e32 v0, v4
	v_min_u32_e32 v0, 32, v0
	v_subrev_nc_u32_e32 v1, 28, v0
	v_sub_nc_u32_e32 v0, 29, v0
	v_lshlrev_b64 v[1:2], v1, v[4:5]
	v_and_b32_e32 v26, 7, v1
; %bb.255:                              ;   in Loop: Header=BB370_10 Depth=1
	s_or_b32 exec_lo, exec_lo, s20
	v_mov_b32_e32 v1, 24
	v_lshlrev_b32_e32 v2, 20, v26
	v_lshl_add_u32 v0, v0, 23, 0x3c000000
	v_lshlrev_b32_sdwa v1, v1, v25 dst_sel:DWORD dst_unused:UNUSED_PAD src0_sel:DWORD src1_sel:WORD_1
	v_and_b32_e32 v1, 0x80000000, v1
	v_or3_b32 v0, v2, v1, v0
	buffer_store_dword v0, off, s[0:3], s32 offset:296 ; 4-byte Folded Spill
.LBB370_256:                            ;   in Loop: Header=BB370_10 Depth=1
	s_or_b32 exec_lo, exec_lo, s19
.LBB370_257:                            ;   in Loop: Header=BB370_10 Depth=1
	s_or_b32 exec_lo, exec_lo, s17
.LBB370_258:                            ;   in Loop: Header=BB370_10 Depth=1
	s_or_b32 exec_lo, exec_lo, s6
	v_mov_b32_e32 v0, 0
	s_mov_b32 s6, exec_lo
	buffer_store_dword v0, off, s[0:3], s32 offset:308 ; 4-byte Folded Spill
	v_mov_b32_e32 v0, 0
	buffer_store_dword v0, off, s[0:3], s32 offset:304 ; 4-byte Folded Spill
	v_cmpx_lt_u64_e64 s[8:9], v[24:25]
	s_cbranch_execz .LBB370_266
; %bb.259:                              ;   in Loop: Header=BB370_10 Depth=1
	v_cmp_ne_u32_sdwa s5, v25, v107 src0_sel:BYTE_3 src1_sel:DWORD
	v_bfrev_b32_e32 v0, 1
	buffer_store_dword v0, off, s[0:3], s32 offset:304 ; 4-byte Folded Spill
	s_and_saveexec_b32 s17, s5
	s_cbranch_execz .LBB370_265
; %bb.260:                              ;   in Loop: Header=BB370_10 Depth=1
	v_bfe_u32 v1, v25, 24, 7
	v_mov_b32_e32 v0, 0x7f800001
	s_mov_b32 s19, exec_lo
	buffer_store_dword v0, off, s[0:3], s32 offset:304 ; 4-byte Folded Spill
	v_cmpx_ne_u32_e32 0x7f, v1
	s_cbranch_execz .LBB370_264
; %bb.261:                              ;   in Loop: Header=BB370_10 Depth=1
	v_mov_b32_e32 v0, 7
	s_mov_b32 s20, exec_lo
	v_and_b32_sdwa v4, v25, v0 dst_sel:DWORD dst_unused:UNUSED_PAD src0_sel:BYTE_3 src1_sel:DWORD
	v_mov_b32_e32 v27, v5
	v_lshrrev_b32_e32 v0, 3, v1
	v_mov_b32_e32 v26, v4
	v_cmpx_gt_u32_e32 8, v1
; %bb.262:                              ;   in Loop: Header=BB370_10 Depth=1
	v_ffbh_u32_e32 v0, v4
	v_min_u32_e32 v0, 32, v0
	v_subrev_nc_u32_e32 v1, 28, v0
	v_sub_nc_u32_e32 v0, 29, v0
	v_lshlrev_b64 v[1:2], v1, v[4:5]
	v_and_b32_e32 v26, 7, v1
; %bb.263:                              ;   in Loop: Header=BB370_10 Depth=1
	s_or_b32 exec_lo, exec_lo, s20
	v_mov_b32_e32 v1, 24
	v_lshlrev_b32_e32 v2, 20, v26
	v_lshl_add_u32 v0, v0, 23, 0x3c000000
	v_lshlrev_b32_sdwa v1, v1, v25 dst_sel:DWORD dst_unused:UNUSED_PAD src0_sel:DWORD src1_sel:BYTE_3
	v_and_b32_e32 v1, 0x80000000, v1
	v_or3_b32 v0, v2, v1, v0
	buffer_store_dword v0, off, s[0:3], s32 offset:304 ; 4-byte Folded Spill
.LBB370_264:                            ;   in Loop: Header=BB370_10 Depth=1
	s_or_b32 exec_lo, exec_lo, s19
.LBB370_265:                            ;   in Loop: Header=BB370_10 Depth=1
	s_or_b32 exec_lo, exec_lo, s17
.LBB370_266:                            ;   in Loop: Header=BB370_10 Depth=1
	s_or_b32 exec_lo, exec_lo, s6
	flat_load_dwordx2 v[24:25], v[16:17] offset:1024
	s_waitcnt vmcnt(0) lgkmcnt(0)
	v_cmp_ne_u16_sdwa s5, v24, v5 src0_sel:BYTE_0 src1_sel:DWORD
	s_and_saveexec_b32 s6, s5
	s_cbranch_execz .LBB370_274
; %bb.267:                              ;   in Loop: Header=BB370_10 Depth=1
	v_cmp_ne_u16_sdwa s5, v24, v107 src0_sel:BYTE_0 src1_sel:DWORD
	v_bfrev_b32_e32 v0, 1
	buffer_store_dword v0, off, s[0:3], s32 offset:308 ; 4-byte Folded Spill
	s_and_saveexec_b32 s17, s5
	s_cbranch_execz .LBB370_273
; %bb.268:                              ;   in Loop: Header=BB370_10 Depth=1
	v_and_b32_e32 v1, 0x7f, v24
	v_mov_b32_e32 v0, 0x7f800001
	s_mov_b32 s19, exec_lo
	buffer_store_dword v0, off, s[0:3], s32 offset:308 ; 4-byte Folded Spill
	v_cmpx_ne_u32_e32 0x7f, v1
	s_cbranch_execz .LBB370_272
; %bb.269:                              ;   in Loop: Header=BB370_10 Depth=1
	v_mov_b32_e32 v27, v25
	v_lshrrev_b32_e32 v0, 3, v1
	v_mov_b32_e32 v26, v24
	s_mov_b32 s20, exec_lo
	v_cmpx_gt_u32_e32 8, v1
; %bb.270:                              ;   in Loop: Header=BB370_10 Depth=1
	v_and_b32_e32 v0, 7, v24
	v_ffbh_u32_e32 v0, v0
	v_min_u32_e32 v0, 32, v0
	v_subrev_nc_u32_e32 v1, 28, v0
	v_sub_nc_u32_e32 v0, 29, v0
	v_lshlrev_b64 v[26:27], v1, v[24:25]
; %bb.271:                              ;   in Loop: Header=BB370_10 Depth=1
	s_or_b32 exec_lo, exec_lo, s20
	v_lshlrev_b32_e32 v1, 20, v26
	v_lshlrev_b32_e32 v2, 24, v24
	v_lshl_add_u32 v0, v0, 23, 0x3c000000
	v_and_b32_e32 v1, 0x700000, v1
	v_and_b32_e32 v2, 0x80000000, v2
	v_or3_b32 v0, v1, v2, v0
	buffer_store_dword v0, off, s[0:3], s32 offset:308 ; 4-byte Folded Spill
.LBB370_272:                            ;   in Loop: Header=BB370_10 Depth=1
	s_or_b32 exec_lo, exec_lo, s19
.LBB370_273:                            ;   in Loop: Header=BB370_10 Depth=1
	s_or_b32 exec_lo, exec_lo, s17
.LBB370_274:                            ;   in Loop: Header=BB370_10 Depth=1
	s_or_b32 exec_lo, exec_lo, s6
	v_mov_b32_e32 v0, 0
	v_cmp_ne_u16_sdwa s5, v24, v5 src0_sel:BYTE_1 src1_sel:DWORD
	buffer_store_dword v0, off, s[0:3], s32 offset:316 ; 4-byte Folded Spill
	v_mov_b32_e32 v0, 0
	buffer_store_dword v0, off, s[0:3], s32 offset:312 ; 4-byte Folded Spill
	s_and_saveexec_b32 s6, s5
	s_cbranch_execz .LBB370_282
; %bb.275:                              ;   in Loop: Header=BB370_10 Depth=1
	v_cmp_ne_u16_sdwa s5, v24, v107 src0_sel:BYTE_1 src1_sel:DWORD
	v_bfrev_b32_e32 v0, 1
	buffer_store_dword v0, off, s[0:3], s32 offset:312 ; 4-byte Folded Spill
	s_and_saveexec_b32 s17, s5
	s_cbranch_execz .LBB370_281
; %bb.276:                              ;   in Loop: Header=BB370_10 Depth=1
	v_mov_b32_e32 v0, 0xffff
	v_mov_b32_e32 v2, 0x7f800001
	s_mov_b32 s19, exec_lo
	v_and_b32_sdwa v0, v0, v24 dst_sel:DWORD dst_unused:UNUSED_PAD src0_sel:DWORD src1_sel:BYTE_1
	buffer_store_dword v2, off, s[0:3], s32 offset:312 ; 4-byte Folded Spill
	v_and_b32_e32 v1, 0x7f, v0
	v_cmpx_ne_u32_e32 0x7f, v1
	s_cbranch_execz .LBB370_280
; %bb.277:                              ;   in Loop: Header=BB370_10 Depth=1
	v_and_b32_e32 v4, 7, v0
	v_mov_b32_e32 v27, v5
	v_lshrrev_b32_e32 v0, 3, v1
	s_mov_b32 s20, exec_lo
	v_mov_b32_e32 v26, v4
	v_cmpx_gt_u32_e32 8, v1
; %bb.278:                              ;   in Loop: Header=BB370_10 Depth=1
	v_ffbh_u32_e32 v0, v4
	v_min_u32_e32 v0, 32, v0
	v_subrev_nc_u32_e32 v1, 28, v0
	v_sub_nc_u32_e32 v0, 29, v0
	v_lshlrev_b64 v[1:2], v1, v[4:5]
	v_and_b32_e32 v26, 7, v1
; %bb.279:                              ;   in Loop: Header=BB370_10 Depth=1
	s_or_b32 exec_lo, exec_lo, s20
	v_lshlrev_b32_e32 v1, 16, v24
	v_lshlrev_b32_e32 v2, 20, v26
	v_lshl_add_u32 v0, v0, 23, 0x3c000000
	v_and_b32_e32 v1, 0x80000000, v1
	v_or3_b32 v0, v2, v1, v0
	buffer_store_dword v0, off, s[0:3], s32 offset:312 ; 4-byte Folded Spill
.LBB370_280:                            ;   in Loop: Header=BB370_10 Depth=1
	s_or_b32 exec_lo, exec_lo, s19
.LBB370_281:                            ;   in Loop: Header=BB370_10 Depth=1
	s_or_b32 exec_lo, exec_lo, s17
.LBB370_282:                            ;   in Loop: Header=BB370_10 Depth=1
	s_or_b32 exec_lo, exec_lo, s6
	v_mov_b32_e32 v0, 0xff
	s_mov_b32 s6, exec_lo
	v_and_b32_sdwa v0, v24, v0 dst_sel:DWORD dst_unused:UNUSED_PAD src0_sel:WORD_1 src1_sel:DWORD
	v_cmpx_ne_u16_e32 0, v0
	s_cbranch_execz .LBB370_290
; %bb.283:                              ;   in Loop: Header=BB370_10 Depth=1
	v_cmp_ne_u16_e64 s5, 0x80, v0
	v_bfrev_b32_e32 v0, 1
	buffer_store_dword v0, off, s[0:3], s32 offset:316 ; 4-byte Folded Spill
	s_and_saveexec_b32 s17, s5
	s_cbranch_execz .LBB370_289
; %bb.284:                              ;   in Loop: Header=BB370_10 Depth=1
	v_bfe_u32 v1, v24, 16, 7
	v_mov_b32_e32 v0, 0x7f800001
	s_mov_b32 s19, exec_lo
	buffer_store_dword v0, off, s[0:3], s32 offset:316 ; 4-byte Folded Spill
	v_cmpx_ne_u32_e32 0x7f, v1
	s_cbranch_execz .LBB370_288
; %bb.285:                              ;   in Loop: Header=BB370_10 Depth=1
	v_mov_b32_e32 v0, 7
	s_mov_b32 s20, exec_lo
	v_and_b32_sdwa v4, v24, v0 dst_sel:DWORD dst_unused:UNUSED_PAD src0_sel:WORD_1 src1_sel:DWORD
	v_mov_b32_e32 v27, v5
	v_lshrrev_b32_e32 v0, 3, v1
	v_mov_b32_e32 v26, v4
	v_cmpx_gt_u32_e32 8, v1
; %bb.286:                              ;   in Loop: Header=BB370_10 Depth=1
	v_ffbh_u32_e32 v0, v4
	v_min_u32_e32 v0, 32, v0
	v_subrev_nc_u32_e32 v1, 28, v0
	v_sub_nc_u32_e32 v0, 29, v0
	v_lshlrev_b64 v[1:2], v1, v[4:5]
	v_and_b32_e32 v26, 7, v1
; %bb.287:                              ;   in Loop: Header=BB370_10 Depth=1
	s_or_b32 exec_lo, exec_lo, s20
	v_mov_b32_e32 v1, 24
	v_lshlrev_b32_e32 v2, 20, v26
	v_lshl_add_u32 v0, v0, 23, 0x3c000000
	v_lshlrev_b32_sdwa v1, v1, v24 dst_sel:DWORD dst_unused:UNUSED_PAD src0_sel:DWORD src1_sel:WORD_1
	v_and_b32_e32 v1, 0x80000000, v1
	v_or3_b32 v0, v2, v1, v0
	buffer_store_dword v0, off, s[0:3], s32 offset:316 ; 4-byte Folded Spill
.LBB370_288:                            ;   in Loop: Header=BB370_10 Depth=1
	s_or_b32 exec_lo, exec_lo, s19
.LBB370_289:                            ;   in Loop: Header=BB370_10 Depth=1
	s_or_b32 exec_lo, exec_lo, s17
.LBB370_290:                            ;   in Loop: Header=BB370_10 Depth=1
	s_or_b32 exec_lo, exec_lo, s6
	v_mov_b32_e32 v0, 0
	s_mov_b32 s6, exec_lo
	buffer_store_dword v0, off, s[0:3], s32 offset:324 ; 4-byte Folded Spill
	v_mov_b32_e32 v0, 0
	buffer_store_dword v0, off, s[0:3], s32 offset:320 ; 4-byte Folded Spill
	v_cmpx_lt_u32_e32 0xffffff, v24
	s_cbranch_execz .LBB370_298
; %bb.291:                              ;   in Loop: Header=BB370_10 Depth=1
	v_cmp_ne_u32_sdwa s5, v24, v107 src0_sel:BYTE_3 src1_sel:DWORD
	v_bfrev_b32_e32 v0, 1
	buffer_store_dword v0, off, s[0:3], s32 offset:320 ; 4-byte Folded Spill
	s_and_saveexec_b32 s17, s5
	s_cbranch_execz .LBB370_297
; %bb.292:                              ;   in Loop: Header=BB370_10 Depth=1
	v_bfe_u32 v1, v24, 24, 7
	v_mov_b32_e32 v0, 0x7f800001
	s_mov_b32 s19, exec_lo
	buffer_store_dword v0, off, s[0:3], s32 offset:320 ; 4-byte Folded Spill
	v_cmpx_ne_u32_e32 0x7f, v1
	s_cbranch_execz .LBB370_296
; %bb.293:                              ;   in Loop: Header=BB370_10 Depth=1
	v_mov_b32_e32 v0, 7
	s_mov_b32 s20, exec_lo
	v_and_b32_sdwa v4, v24, v0 dst_sel:DWORD dst_unused:UNUSED_PAD src0_sel:BYTE_3 src1_sel:DWORD
	v_mov_b32_e32 v27, v5
	v_lshrrev_b32_e32 v0, 3, v1
	v_mov_b32_e32 v26, v4
	v_cmpx_gt_u32_e32 8, v1
; %bb.294:                              ;   in Loop: Header=BB370_10 Depth=1
	v_ffbh_u32_e32 v0, v4
	v_min_u32_e32 v0, 32, v0
	v_subrev_nc_u32_e32 v1, 28, v0
	v_sub_nc_u32_e32 v0, 29, v0
	v_lshlrev_b64 v[1:2], v1, v[4:5]
	v_and_b32_e32 v26, 7, v1
; %bb.295:                              ;   in Loop: Header=BB370_10 Depth=1
	s_or_b32 exec_lo, exec_lo, s20
	v_mov_b32_e32 v1, 24
	v_lshlrev_b32_e32 v2, 20, v26
	v_lshl_add_u32 v0, v0, 23, 0x3c000000
	v_lshlrev_b32_sdwa v1, v1, v24 dst_sel:DWORD dst_unused:UNUSED_PAD src0_sel:DWORD src1_sel:BYTE_3
	v_and_b32_e32 v1, 0x80000000, v1
	v_or3_b32 v0, v2, v1, v0
	buffer_store_dword v0, off, s[0:3], s32 offset:320 ; 4-byte Folded Spill
.LBB370_296:                            ;   in Loop: Header=BB370_10 Depth=1
	s_or_b32 exec_lo, exec_lo, s19
.LBB370_297:                            ;   in Loop: Header=BB370_10 Depth=1
	s_or_b32 exec_lo, exec_lo, s17
.LBB370_298:                            ;   in Loop: Header=BB370_10 Depth=1
	s_or_b32 exec_lo, exec_lo, s6
	v_mov_b32_e32 v4, v25
	v_cmp_ne_u16_sdwa s5, v25, v5 src0_sel:BYTE_0 src1_sel:DWORD
	s_and_saveexec_b32 s6, s5
	s_cbranch_execz .LBB370_306
; %bb.299:                              ;   in Loop: Header=BB370_10 Depth=1
	v_cmp_ne_u16_sdwa s5, v25, v107 src0_sel:BYTE_0 src1_sel:DWORD
	v_bfrev_b32_e32 v0, 1
	buffer_store_dword v0, off, s[0:3], s32 offset:324 ; 4-byte Folded Spill
	s_and_saveexec_b32 s17, s5
	s_cbranch_execz .LBB370_305
; %bb.300:                              ;   in Loop: Header=BB370_10 Depth=1
	v_and_b32_e32 v1, 0x7f, v25
	v_mov_b32_e32 v0, 0x7f800001
	s_mov_b32 s19, exec_lo
	buffer_store_dword v0, off, s[0:3], s32 offset:324 ; 4-byte Folded Spill
	v_cmpx_ne_u32_e32 0x7f, v1
	s_cbranch_execz .LBB370_304
; %bb.301:                              ;   in Loop: Header=BB370_10 Depth=1
	v_mov_b32_e32 v27, v5
	v_lshrrev_b32_e32 v0, 3, v1
	v_mov_b32_e32 v26, v4
	s_mov_b32 s20, exec_lo
	v_cmpx_gt_u32_e32 8, v1
; %bb.302:                              ;   in Loop: Header=BB370_10 Depth=1
	v_and_b32_e32 v0, 7, v25
	v_ffbh_u32_e32 v0, v0
	v_min_u32_e32 v0, 32, v0
	v_subrev_nc_u32_e32 v1, 28, v0
	v_sub_nc_u32_e32 v0, 29, v0
	v_lshlrev_b64 v[26:27], v1, v[4:5]
; %bb.303:                              ;   in Loop: Header=BB370_10 Depth=1
	s_or_b32 exec_lo, exec_lo, s20
	v_lshlrev_b32_e32 v1, 20, v26
	v_lshlrev_b32_e32 v2, 24, v4
	v_lshl_add_u32 v0, v0, 23, 0x3c000000
	v_and_b32_e32 v1, 0x700000, v1
	v_and_b32_e32 v2, 0x80000000, v2
	v_or3_b32 v0, v1, v2, v0
	buffer_store_dword v0, off, s[0:3], s32 offset:324 ; 4-byte Folded Spill
.LBB370_304:                            ;   in Loop: Header=BB370_10 Depth=1
	s_or_b32 exec_lo, exec_lo, s19
.LBB370_305:                            ;   in Loop: Header=BB370_10 Depth=1
	s_or_b32 exec_lo, exec_lo, s17
.LBB370_306:                            ;   in Loop: Header=BB370_10 Depth=1
	s_or_b32 exec_lo, exec_lo, s6
	v_mov_b32_e32 v0, 0
	v_cmp_ne_u16_sdwa s5, v4, v5 src0_sel:BYTE_1 src1_sel:DWORD
	buffer_store_dword v0, off, s[0:3], s32 offset:328 ; 4-byte Folded Spill
	v_mov_b32_e32 v0, 0
	buffer_store_dword v0, off, s[0:3], s32 offset:332 ; 4-byte Folded Spill
	s_and_saveexec_b32 s6, s5
	s_cbranch_execz .LBB370_314
; %bb.307:                              ;   in Loop: Header=BB370_10 Depth=1
	v_cmp_ne_u16_sdwa s5, v4, v107 src0_sel:BYTE_1 src1_sel:DWORD
	v_bfrev_b32_e32 v0, 1
	buffer_store_dword v0, off, s[0:3], s32 offset:332 ; 4-byte Folded Spill
	s_and_saveexec_b32 s17, s5
	s_cbranch_execz .LBB370_313
; %bb.308:                              ;   in Loop: Header=BB370_10 Depth=1
	v_mov_b32_e32 v0, 0xffff
	v_mov_b32_e32 v2, 0x7f800001
	s_mov_b32 s19, exec_lo
	v_and_b32_sdwa v0, v0, v4 dst_sel:DWORD dst_unused:UNUSED_PAD src0_sel:DWORD src1_sel:BYTE_1
	buffer_store_dword v2, off, s[0:3], s32 offset:332 ; 4-byte Folded Spill
	v_and_b32_e32 v1, 0x7f, v0
	v_cmpx_ne_u32_e32 0x7f, v1
	s_cbranch_execz .LBB370_312
; %bb.309:                              ;   in Loop: Header=BB370_10 Depth=1
	v_and_b32_e32 v26, 7, v0
	v_mov_b32_e32 v27, v5
	v_lshrrev_b32_e32 v0, 3, v1
	s_mov_b32 s20, exec_lo
	v_cmpx_gt_u32_e32 8, v1
; %bb.310:                              ;   in Loop: Header=BB370_10 Depth=1
	v_ffbh_u32_e32 v0, v26
	v_min_u32_e32 v0, 32, v0
	v_subrev_nc_u32_e32 v1, 28, v0
	v_sub_nc_u32_e32 v0, 29, v0
	v_lshlrev_b64 v[1:2], v1, v[26:27]
	v_and_b32_e32 v26, 7, v1
; %bb.311:                              ;   in Loop: Header=BB370_10 Depth=1
	s_or_b32 exec_lo, exec_lo, s20
	v_lshlrev_b32_e32 v1, 16, v4
	v_lshlrev_b32_e32 v2, 20, v26
	v_lshl_add_u32 v0, v0, 23, 0x3c000000
	v_and_b32_e32 v1, 0x80000000, v1
	v_or3_b32 v0, v2, v1, v0
	buffer_store_dword v0, off, s[0:3], s32 offset:332 ; 4-byte Folded Spill
.LBB370_312:                            ;   in Loop: Header=BB370_10 Depth=1
	s_or_b32 exec_lo, exec_lo, s19
.LBB370_313:                            ;   in Loop: Header=BB370_10 Depth=1
	s_or_b32 exec_lo, exec_lo, s17
.LBB370_314:                            ;   in Loop: Header=BB370_10 Depth=1
	s_or_b32 exec_lo, exec_lo, s6
	v_mov_b32_e32 v0, 0xff
	s_mov_b32 s6, exec_lo
	v_and_b32_sdwa v0, v25, v0 dst_sel:DWORD dst_unused:UNUSED_PAD src0_sel:WORD_1 src1_sel:DWORD
	v_cmpx_ne_u16_e32 0, v0
	s_cbranch_execz .LBB370_322
; %bb.315:                              ;   in Loop: Header=BB370_10 Depth=1
	v_cmp_ne_u16_e64 s5, 0x80, v0
	v_bfrev_b32_e32 v0, 1
	buffer_store_dword v0, off, s[0:3], s32 offset:328 ; 4-byte Folded Spill
	s_and_saveexec_b32 s17, s5
	s_cbranch_execz .LBB370_321
; %bb.316:                              ;   in Loop: Header=BB370_10 Depth=1
	v_bfe_u32 v1, v25, 16, 7
	v_mov_b32_e32 v0, 0x7f800001
	s_mov_b32 s19, exec_lo
	buffer_store_dword v0, off, s[0:3], s32 offset:328 ; 4-byte Folded Spill
	v_cmpx_ne_u32_e32 0x7f, v1
	s_cbranch_execz .LBB370_320
; %bb.317:                              ;   in Loop: Header=BB370_10 Depth=1
	v_mov_b32_e32 v0, 7
	s_mov_b32 s20, exec_lo
	v_and_b32_sdwa v4, v25, v0 dst_sel:DWORD dst_unused:UNUSED_PAD src0_sel:WORD_1 src1_sel:DWORD
	v_mov_b32_e32 v27, v5
	v_lshrrev_b32_e32 v0, 3, v1
	v_mov_b32_e32 v26, v4
	v_cmpx_gt_u32_e32 8, v1
; %bb.318:                              ;   in Loop: Header=BB370_10 Depth=1
	v_ffbh_u32_e32 v0, v4
	v_min_u32_e32 v0, 32, v0
	v_subrev_nc_u32_e32 v1, 28, v0
	v_sub_nc_u32_e32 v0, 29, v0
	v_lshlrev_b64 v[1:2], v1, v[4:5]
	v_and_b32_e32 v26, 7, v1
; %bb.319:                              ;   in Loop: Header=BB370_10 Depth=1
	s_or_b32 exec_lo, exec_lo, s20
	v_mov_b32_e32 v1, 24
	v_lshlrev_b32_e32 v2, 20, v26
	v_lshl_add_u32 v0, v0, 23, 0x3c000000
	v_lshlrev_b32_sdwa v1, v1, v25 dst_sel:DWORD dst_unused:UNUSED_PAD src0_sel:DWORD src1_sel:WORD_1
	v_and_b32_e32 v1, 0x80000000, v1
	v_or3_b32 v0, v2, v1, v0
	buffer_store_dword v0, off, s[0:3], s32 offset:328 ; 4-byte Folded Spill
.LBB370_320:                            ;   in Loop: Header=BB370_10 Depth=1
	s_or_b32 exec_lo, exec_lo, s19
.LBB370_321:                            ;   in Loop: Header=BB370_10 Depth=1
	s_or_b32 exec_lo, exec_lo, s17
.LBB370_322:                            ;   in Loop: Header=BB370_10 Depth=1
	s_or_b32 exec_lo, exec_lo, s6
	v_mov_b32_e32 v0, 0
	s_mov_b32 s6, exec_lo
	buffer_store_dword v0, off, s[0:3], s32 offset:340 ; 4-byte Folded Spill
	v_mov_b32_e32 v0, 0
	buffer_store_dword v0, off, s[0:3], s32 offset:336 ; 4-byte Folded Spill
	v_cmpx_lt_u64_e64 s[8:9], v[24:25]
	s_cbranch_execz .LBB370_330
; %bb.323:                              ;   in Loop: Header=BB370_10 Depth=1
	v_cmp_ne_u32_sdwa s5, v25, v107 src0_sel:BYTE_3 src1_sel:DWORD
	v_bfrev_b32_e32 v0, 1
	buffer_store_dword v0, off, s[0:3], s32 offset:336 ; 4-byte Folded Spill
	s_and_saveexec_b32 s17, s5
	s_cbranch_execz .LBB370_329
; %bb.324:                              ;   in Loop: Header=BB370_10 Depth=1
	v_bfe_u32 v1, v25, 24, 7
	v_mov_b32_e32 v0, 0x7f800001
	s_mov_b32 s19, exec_lo
	buffer_store_dword v0, off, s[0:3], s32 offset:336 ; 4-byte Folded Spill
	v_cmpx_ne_u32_e32 0x7f, v1
	s_cbranch_execz .LBB370_328
; %bb.325:                              ;   in Loop: Header=BB370_10 Depth=1
	v_mov_b32_e32 v0, 7
	s_mov_b32 s20, exec_lo
	v_and_b32_sdwa v4, v25, v0 dst_sel:DWORD dst_unused:UNUSED_PAD src0_sel:BYTE_3 src1_sel:DWORD
	v_mov_b32_e32 v27, v5
	v_lshrrev_b32_e32 v0, 3, v1
	v_mov_b32_e32 v26, v4
	v_cmpx_gt_u32_e32 8, v1
; %bb.326:                              ;   in Loop: Header=BB370_10 Depth=1
	v_ffbh_u32_e32 v0, v4
	v_min_u32_e32 v0, 32, v0
	v_subrev_nc_u32_e32 v1, 28, v0
	v_sub_nc_u32_e32 v0, 29, v0
	v_lshlrev_b64 v[1:2], v1, v[4:5]
	v_and_b32_e32 v26, 7, v1
; %bb.327:                              ;   in Loop: Header=BB370_10 Depth=1
	s_or_b32 exec_lo, exec_lo, s20
	v_mov_b32_e32 v1, 24
	v_lshlrev_b32_e32 v2, 20, v26
	v_lshl_add_u32 v0, v0, 23, 0x3c000000
	v_lshlrev_b32_sdwa v1, v1, v25 dst_sel:DWORD dst_unused:UNUSED_PAD src0_sel:DWORD src1_sel:BYTE_3
	v_and_b32_e32 v1, 0x80000000, v1
	v_or3_b32 v0, v2, v1, v0
	buffer_store_dword v0, off, s[0:3], s32 offset:336 ; 4-byte Folded Spill
.LBB370_328:                            ;   in Loop: Header=BB370_10 Depth=1
	s_or_b32 exec_lo, exec_lo, s19
.LBB370_329:                            ;   in Loop: Header=BB370_10 Depth=1
	s_or_b32 exec_lo, exec_lo, s17
.LBB370_330:                            ;   in Loop: Header=BB370_10 Depth=1
	s_or_b32 exec_lo, exec_lo, s6
	flat_load_dwordx2 v[24:25], v[16:17] offset:1032
	s_waitcnt vmcnt(0) lgkmcnt(0)
	v_cmp_ne_u16_sdwa s5, v24, v5 src0_sel:BYTE_0 src1_sel:DWORD
	s_and_saveexec_b32 s6, s5
	s_cbranch_execz .LBB370_338
; %bb.331:                              ;   in Loop: Header=BB370_10 Depth=1
	v_cmp_ne_u16_sdwa s5, v24, v107 src0_sel:BYTE_0 src1_sel:DWORD
	v_bfrev_b32_e32 v0, 1
	buffer_store_dword v0, off, s[0:3], s32 offset:340 ; 4-byte Folded Spill
	s_and_saveexec_b32 s17, s5
	s_cbranch_execz .LBB370_337
; %bb.332:                              ;   in Loop: Header=BB370_10 Depth=1
	v_and_b32_e32 v1, 0x7f, v24
	v_mov_b32_e32 v0, 0x7f800001
	s_mov_b32 s19, exec_lo
	buffer_store_dword v0, off, s[0:3], s32 offset:340 ; 4-byte Folded Spill
	v_cmpx_ne_u32_e32 0x7f, v1
	s_cbranch_execz .LBB370_336
; %bb.333:                              ;   in Loop: Header=BB370_10 Depth=1
	v_mov_b32_e32 v27, v25
	v_lshrrev_b32_e32 v0, 3, v1
	v_mov_b32_e32 v26, v24
	s_mov_b32 s20, exec_lo
	v_cmpx_gt_u32_e32 8, v1
; %bb.334:                              ;   in Loop: Header=BB370_10 Depth=1
	v_and_b32_e32 v0, 7, v24
	v_ffbh_u32_e32 v0, v0
	v_min_u32_e32 v0, 32, v0
	v_subrev_nc_u32_e32 v1, 28, v0
	v_sub_nc_u32_e32 v0, 29, v0
	v_lshlrev_b64 v[26:27], v1, v[24:25]
; %bb.335:                              ;   in Loop: Header=BB370_10 Depth=1
	s_or_b32 exec_lo, exec_lo, s20
	v_lshlrev_b32_e32 v1, 20, v26
	v_lshlrev_b32_e32 v2, 24, v24
	v_lshl_add_u32 v0, v0, 23, 0x3c000000
	v_and_b32_e32 v1, 0x700000, v1
	v_and_b32_e32 v2, 0x80000000, v2
	v_or3_b32 v0, v1, v2, v0
	buffer_store_dword v0, off, s[0:3], s32 offset:340 ; 4-byte Folded Spill
.LBB370_336:                            ;   in Loop: Header=BB370_10 Depth=1
	s_or_b32 exec_lo, exec_lo, s19
.LBB370_337:                            ;   in Loop: Header=BB370_10 Depth=1
	s_or_b32 exec_lo, exec_lo, s17
.LBB370_338:                            ;   in Loop: Header=BB370_10 Depth=1
	s_or_b32 exec_lo, exec_lo, s6
	v_mov_b32_e32 v0, 0
	v_cmp_ne_u16_sdwa s5, v24, v5 src0_sel:BYTE_1 src1_sel:DWORD
	buffer_store_dword v0, off, s[0:3], s32 offset:348 ; 4-byte Folded Spill
	v_mov_b32_e32 v0, 0
	buffer_store_dword v0, off, s[0:3], s32 offset:344 ; 4-byte Folded Spill
	s_and_saveexec_b32 s6, s5
	s_cbranch_execz .LBB370_346
; %bb.339:                              ;   in Loop: Header=BB370_10 Depth=1
	v_cmp_ne_u16_sdwa s5, v24, v107 src0_sel:BYTE_1 src1_sel:DWORD
	v_bfrev_b32_e32 v0, 1
	buffer_store_dword v0, off, s[0:3], s32 offset:344 ; 4-byte Folded Spill
	s_and_saveexec_b32 s17, s5
	s_cbranch_execz .LBB370_345
; %bb.340:                              ;   in Loop: Header=BB370_10 Depth=1
	v_mov_b32_e32 v0, 0xffff
	v_mov_b32_e32 v2, 0x7f800001
	s_mov_b32 s19, exec_lo
	v_and_b32_sdwa v0, v0, v24 dst_sel:DWORD dst_unused:UNUSED_PAD src0_sel:DWORD src1_sel:BYTE_1
	buffer_store_dword v2, off, s[0:3], s32 offset:344 ; 4-byte Folded Spill
	v_and_b32_e32 v1, 0x7f, v0
	v_cmpx_ne_u32_e32 0x7f, v1
	s_cbranch_execz .LBB370_344
; %bb.341:                              ;   in Loop: Header=BB370_10 Depth=1
	v_and_b32_e32 v4, 7, v0
	v_mov_b32_e32 v27, v5
	v_lshrrev_b32_e32 v0, 3, v1
	s_mov_b32 s20, exec_lo
	v_mov_b32_e32 v26, v4
	v_cmpx_gt_u32_e32 8, v1
; %bb.342:                              ;   in Loop: Header=BB370_10 Depth=1
	v_ffbh_u32_e32 v0, v4
	v_min_u32_e32 v0, 32, v0
	v_subrev_nc_u32_e32 v1, 28, v0
	v_sub_nc_u32_e32 v0, 29, v0
	v_lshlrev_b64 v[1:2], v1, v[4:5]
	v_and_b32_e32 v26, 7, v1
; %bb.343:                              ;   in Loop: Header=BB370_10 Depth=1
	s_or_b32 exec_lo, exec_lo, s20
	v_lshlrev_b32_e32 v1, 16, v24
	v_lshlrev_b32_e32 v2, 20, v26
	v_lshl_add_u32 v0, v0, 23, 0x3c000000
	v_and_b32_e32 v1, 0x80000000, v1
	v_or3_b32 v0, v2, v1, v0
	buffer_store_dword v0, off, s[0:3], s32 offset:344 ; 4-byte Folded Spill
.LBB370_344:                            ;   in Loop: Header=BB370_10 Depth=1
	s_or_b32 exec_lo, exec_lo, s19
.LBB370_345:                            ;   in Loop: Header=BB370_10 Depth=1
	s_or_b32 exec_lo, exec_lo, s17
.LBB370_346:                            ;   in Loop: Header=BB370_10 Depth=1
	s_or_b32 exec_lo, exec_lo, s6
	v_mov_b32_e32 v0, 0xff
	s_mov_b32 s6, exec_lo
	v_and_b32_sdwa v0, v24, v0 dst_sel:DWORD dst_unused:UNUSED_PAD src0_sel:WORD_1 src1_sel:DWORD
	v_cmpx_ne_u16_e32 0, v0
	s_cbranch_execz .LBB370_354
; %bb.347:                              ;   in Loop: Header=BB370_10 Depth=1
	v_cmp_ne_u16_e64 s5, 0x80, v0
	v_bfrev_b32_e32 v0, 1
	buffer_store_dword v0, off, s[0:3], s32 offset:348 ; 4-byte Folded Spill
	s_and_saveexec_b32 s17, s5
	s_cbranch_execz .LBB370_353
; %bb.348:                              ;   in Loop: Header=BB370_10 Depth=1
	v_bfe_u32 v1, v24, 16, 7
	v_mov_b32_e32 v0, 0x7f800001
	s_mov_b32 s19, exec_lo
	buffer_store_dword v0, off, s[0:3], s32 offset:348 ; 4-byte Folded Spill
	v_cmpx_ne_u32_e32 0x7f, v1
	s_cbranch_execz .LBB370_352
; %bb.349:                              ;   in Loop: Header=BB370_10 Depth=1
	v_mov_b32_e32 v0, 7
	s_mov_b32 s20, exec_lo
	v_and_b32_sdwa v4, v24, v0 dst_sel:DWORD dst_unused:UNUSED_PAD src0_sel:WORD_1 src1_sel:DWORD
	v_mov_b32_e32 v27, v5
	v_lshrrev_b32_e32 v0, 3, v1
	v_mov_b32_e32 v26, v4
	v_cmpx_gt_u32_e32 8, v1
; %bb.350:                              ;   in Loop: Header=BB370_10 Depth=1
	v_ffbh_u32_e32 v0, v4
	v_min_u32_e32 v0, 32, v0
	v_subrev_nc_u32_e32 v1, 28, v0
	v_sub_nc_u32_e32 v0, 29, v0
	v_lshlrev_b64 v[1:2], v1, v[4:5]
	v_and_b32_e32 v26, 7, v1
; %bb.351:                              ;   in Loop: Header=BB370_10 Depth=1
	s_or_b32 exec_lo, exec_lo, s20
	v_mov_b32_e32 v1, 24
	v_lshlrev_b32_e32 v2, 20, v26
	v_lshl_add_u32 v0, v0, 23, 0x3c000000
	v_lshlrev_b32_sdwa v1, v1, v24 dst_sel:DWORD dst_unused:UNUSED_PAD src0_sel:DWORD src1_sel:WORD_1
	v_and_b32_e32 v1, 0x80000000, v1
	v_or3_b32 v0, v2, v1, v0
	buffer_store_dword v0, off, s[0:3], s32 offset:348 ; 4-byte Folded Spill
.LBB370_352:                            ;   in Loop: Header=BB370_10 Depth=1
	s_or_b32 exec_lo, exec_lo, s19
.LBB370_353:                            ;   in Loop: Header=BB370_10 Depth=1
	s_or_b32 exec_lo, exec_lo, s17
.LBB370_354:                            ;   in Loop: Header=BB370_10 Depth=1
	s_or_b32 exec_lo, exec_lo, s6
	v_mov_b32_e32 v0, 0
	s_mov_b32 s6, exec_lo
	buffer_store_dword v0, off, s[0:3], s32 offset:356 ; 4-byte Folded Spill
	v_mov_b32_e32 v0, 0
	buffer_store_dword v0, off, s[0:3], s32 offset:352 ; 4-byte Folded Spill
	v_cmpx_lt_u32_e32 0xffffff, v24
	s_cbranch_execz .LBB370_362
; %bb.355:                              ;   in Loop: Header=BB370_10 Depth=1
	v_cmp_ne_u32_sdwa s5, v24, v107 src0_sel:BYTE_3 src1_sel:DWORD
	v_bfrev_b32_e32 v0, 1
	buffer_store_dword v0, off, s[0:3], s32 offset:352 ; 4-byte Folded Spill
	s_and_saveexec_b32 s17, s5
	s_cbranch_execz .LBB370_361
; %bb.356:                              ;   in Loop: Header=BB370_10 Depth=1
	v_bfe_u32 v1, v24, 24, 7
	v_mov_b32_e32 v0, 0x7f800001
	s_mov_b32 s19, exec_lo
	buffer_store_dword v0, off, s[0:3], s32 offset:352 ; 4-byte Folded Spill
	v_cmpx_ne_u32_e32 0x7f, v1
	s_cbranch_execz .LBB370_360
; %bb.357:                              ;   in Loop: Header=BB370_10 Depth=1
	v_mov_b32_e32 v0, 7
	s_mov_b32 s20, exec_lo
	v_and_b32_sdwa v4, v24, v0 dst_sel:DWORD dst_unused:UNUSED_PAD src0_sel:BYTE_3 src1_sel:DWORD
	v_mov_b32_e32 v27, v5
	v_lshrrev_b32_e32 v0, 3, v1
	v_mov_b32_e32 v26, v4
	v_cmpx_gt_u32_e32 8, v1
; %bb.358:                              ;   in Loop: Header=BB370_10 Depth=1
	v_ffbh_u32_e32 v0, v4
	v_min_u32_e32 v0, 32, v0
	v_subrev_nc_u32_e32 v1, 28, v0
	v_sub_nc_u32_e32 v0, 29, v0
	v_lshlrev_b64 v[1:2], v1, v[4:5]
	v_and_b32_e32 v26, 7, v1
; %bb.359:                              ;   in Loop: Header=BB370_10 Depth=1
	s_or_b32 exec_lo, exec_lo, s20
	v_mov_b32_e32 v1, 24
	v_lshlrev_b32_e32 v2, 20, v26
	v_lshl_add_u32 v0, v0, 23, 0x3c000000
	v_lshlrev_b32_sdwa v1, v1, v24 dst_sel:DWORD dst_unused:UNUSED_PAD src0_sel:DWORD src1_sel:BYTE_3
	v_and_b32_e32 v1, 0x80000000, v1
	v_or3_b32 v0, v2, v1, v0
	buffer_store_dword v0, off, s[0:3], s32 offset:352 ; 4-byte Folded Spill
.LBB370_360:                            ;   in Loop: Header=BB370_10 Depth=1
	s_or_b32 exec_lo, exec_lo, s19
.LBB370_361:                            ;   in Loop: Header=BB370_10 Depth=1
	s_or_b32 exec_lo, exec_lo, s17
.LBB370_362:                            ;   in Loop: Header=BB370_10 Depth=1
	s_or_b32 exec_lo, exec_lo, s6
	v_mov_b32_e32 v4, v25
	v_cmp_ne_u16_sdwa s5, v25, v5 src0_sel:BYTE_0 src1_sel:DWORD
	s_and_saveexec_b32 s6, s5
	s_cbranch_execz .LBB370_370
; %bb.363:                              ;   in Loop: Header=BB370_10 Depth=1
	v_cmp_ne_u16_sdwa s5, v25, v107 src0_sel:BYTE_0 src1_sel:DWORD
	v_bfrev_b32_e32 v0, 1
	buffer_store_dword v0, off, s[0:3], s32 offset:356 ; 4-byte Folded Spill
	s_and_saveexec_b32 s17, s5
	s_cbranch_execz .LBB370_369
; %bb.364:                              ;   in Loop: Header=BB370_10 Depth=1
	v_and_b32_e32 v1, 0x7f, v25
	v_mov_b32_e32 v0, 0x7f800001
	s_mov_b32 s19, exec_lo
	buffer_store_dword v0, off, s[0:3], s32 offset:356 ; 4-byte Folded Spill
	v_cmpx_ne_u32_e32 0x7f, v1
	s_cbranch_execz .LBB370_368
; %bb.365:                              ;   in Loop: Header=BB370_10 Depth=1
	v_mov_b32_e32 v27, v5
	v_lshrrev_b32_e32 v0, 3, v1
	v_mov_b32_e32 v26, v4
	s_mov_b32 s20, exec_lo
	v_cmpx_gt_u32_e32 8, v1
; %bb.366:                              ;   in Loop: Header=BB370_10 Depth=1
	v_and_b32_e32 v0, 7, v25
	v_ffbh_u32_e32 v0, v0
	v_min_u32_e32 v0, 32, v0
	v_subrev_nc_u32_e32 v1, 28, v0
	v_sub_nc_u32_e32 v0, 29, v0
	v_lshlrev_b64 v[26:27], v1, v[4:5]
; %bb.367:                              ;   in Loop: Header=BB370_10 Depth=1
	s_or_b32 exec_lo, exec_lo, s20
	v_lshlrev_b32_e32 v1, 20, v26
	v_lshlrev_b32_e32 v2, 24, v4
	v_lshl_add_u32 v0, v0, 23, 0x3c000000
	v_and_b32_e32 v1, 0x700000, v1
	v_and_b32_e32 v2, 0x80000000, v2
	v_or3_b32 v0, v1, v2, v0
	buffer_store_dword v0, off, s[0:3], s32 offset:356 ; 4-byte Folded Spill
.LBB370_368:                            ;   in Loop: Header=BB370_10 Depth=1
	s_or_b32 exec_lo, exec_lo, s19
.LBB370_369:                            ;   in Loop: Header=BB370_10 Depth=1
	s_or_b32 exec_lo, exec_lo, s17
.LBB370_370:                            ;   in Loop: Header=BB370_10 Depth=1
	s_or_b32 exec_lo, exec_lo, s6
	v_mov_b32_e32 v0, 0
	v_cmp_ne_u16_sdwa s5, v4, v5 src0_sel:BYTE_1 src1_sel:DWORD
	buffer_store_dword v0, off, s[0:3], s32 offset:360 ; 4-byte Folded Spill
	v_mov_b32_e32 v0, 0
	buffer_store_dword v0, off, s[0:3], s32 offset:364 ; 4-byte Folded Spill
	s_and_saveexec_b32 s6, s5
	s_cbranch_execz .LBB370_378
; %bb.371:                              ;   in Loop: Header=BB370_10 Depth=1
	v_cmp_ne_u16_sdwa s5, v4, v107 src0_sel:BYTE_1 src1_sel:DWORD
	v_bfrev_b32_e32 v0, 1
	buffer_store_dword v0, off, s[0:3], s32 offset:364 ; 4-byte Folded Spill
	s_and_saveexec_b32 s17, s5
	s_cbranch_execz .LBB370_377
; %bb.372:                              ;   in Loop: Header=BB370_10 Depth=1
	v_mov_b32_e32 v0, 0xffff
	v_mov_b32_e32 v2, 0x7f800001
	s_mov_b32 s19, exec_lo
	v_and_b32_sdwa v0, v0, v4 dst_sel:DWORD dst_unused:UNUSED_PAD src0_sel:DWORD src1_sel:BYTE_1
	buffer_store_dword v2, off, s[0:3], s32 offset:364 ; 4-byte Folded Spill
	v_and_b32_e32 v1, 0x7f, v0
	v_cmpx_ne_u32_e32 0x7f, v1
	s_cbranch_execz .LBB370_376
; %bb.373:                              ;   in Loop: Header=BB370_10 Depth=1
	v_and_b32_e32 v26, 7, v0
	v_mov_b32_e32 v27, v5
	v_lshrrev_b32_e32 v0, 3, v1
	s_mov_b32 s20, exec_lo
	v_cmpx_gt_u32_e32 8, v1
; %bb.374:                              ;   in Loop: Header=BB370_10 Depth=1
	v_ffbh_u32_e32 v0, v26
	v_min_u32_e32 v0, 32, v0
	v_subrev_nc_u32_e32 v1, 28, v0
	v_sub_nc_u32_e32 v0, 29, v0
	v_lshlrev_b64 v[1:2], v1, v[26:27]
	v_and_b32_e32 v26, 7, v1
; %bb.375:                              ;   in Loop: Header=BB370_10 Depth=1
	s_or_b32 exec_lo, exec_lo, s20
	v_lshlrev_b32_e32 v1, 16, v4
	v_lshlrev_b32_e32 v2, 20, v26
	v_lshl_add_u32 v0, v0, 23, 0x3c000000
	v_and_b32_e32 v1, 0x80000000, v1
	v_or3_b32 v0, v2, v1, v0
	buffer_store_dword v0, off, s[0:3], s32 offset:364 ; 4-byte Folded Spill
.LBB370_376:                            ;   in Loop: Header=BB370_10 Depth=1
	s_or_b32 exec_lo, exec_lo, s19
.LBB370_377:                            ;   in Loop: Header=BB370_10 Depth=1
	s_or_b32 exec_lo, exec_lo, s17
.LBB370_378:                            ;   in Loop: Header=BB370_10 Depth=1
	s_or_b32 exec_lo, exec_lo, s6
	v_mov_b32_e32 v0, 0xff
	s_mov_b32 s6, exec_lo
	v_and_b32_sdwa v0, v25, v0 dst_sel:DWORD dst_unused:UNUSED_PAD src0_sel:WORD_1 src1_sel:DWORD
	v_cmpx_ne_u16_e32 0, v0
	s_cbranch_execz .LBB370_386
; %bb.379:                              ;   in Loop: Header=BB370_10 Depth=1
	v_cmp_ne_u16_e64 s5, 0x80, v0
	v_bfrev_b32_e32 v0, 1
	buffer_store_dword v0, off, s[0:3], s32 offset:360 ; 4-byte Folded Spill
	s_and_saveexec_b32 s17, s5
	s_cbranch_execz .LBB370_385
; %bb.380:                              ;   in Loop: Header=BB370_10 Depth=1
	v_bfe_u32 v1, v25, 16, 7
	v_mov_b32_e32 v0, 0x7f800001
	s_mov_b32 s19, exec_lo
	buffer_store_dword v0, off, s[0:3], s32 offset:360 ; 4-byte Folded Spill
	v_cmpx_ne_u32_e32 0x7f, v1
	s_cbranch_execz .LBB370_384
; %bb.381:                              ;   in Loop: Header=BB370_10 Depth=1
	v_mov_b32_e32 v0, 7
	s_mov_b32 s20, exec_lo
	v_and_b32_sdwa v4, v25, v0 dst_sel:DWORD dst_unused:UNUSED_PAD src0_sel:WORD_1 src1_sel:DWORD
	v_mov_b32_e32 v27, v5
	v_lshrrev_b32_e32 v0, 3, v1
	v_mov_b32_e32 v26, v4
	v_cmpx_gt_u32_e32 8, v1
; %bb.382:                              ;   in Loop: Header=BB370_10 Depth=1
	v_ffbh_u32_e32 v0, v4
	v_min_u32_e32 v0, 32, v0
	v_subrev_nc_u32_e32 v1, 28, v0
	v_sub_nc_u32_e32 v0, 29, v0
	v_lshlrev_b64 v[1:2], v1, v[4:5]
	v_and_b32_e32 v26, 7, v1
; %bb.383:                              ;   in Loop: Header=BB370_10 Depth=1
	s_or_b32 exec_lo, exec_lo, s20
	v_mov_b32_e32 v1, 24
	v_lshlrev_b32_e32 v2, 20, v26
	v_lshl_add_u32 v0, v0, 23, 0x3c000000
	v_lshlrev_b32_sdwa v1, v1, v25 dst_sel:DWORD dst_unused:UNUSED_PAD src0_sel:DWORD src1_sel:WORD_1
	v_and_b32_e32 v1, 0x80000000, v1
	v_or3_b32 v0, v2, v1, v0
	buffer_store_dword v0, off, s[0:3], s32 offset:360 ; 4-byte Folded Spill
.LBB370_384:                            ;   in Loop: Header=BB370_10 Depth=1
	s_or_b32 exec_lo, exec_lo, s19
.LBB370_385:                            ;   in Loop: Header=BB370_10 Depth=1
	s_or_b32 exec_lo, exec_lo, s17
.LBB370_386:                            ;   in Loop: Header=BB370_10 Depth=1
	s_or_b32 exec_lo, exec_lo, s6
	v_mov_b32_e32 v0, 0
	s_mov_b32 s6, exec_lo
	buffer_store_dword v0, off, s[0:3], s32 offset:372 ; 4-byte Folded Spill
	v_mov_b32_e32 v0, 0
	buffer_store_dword v0, off, s[0:3], s32 offset:368 ; 4-byte Folded Spill
	v_cmpx_lt_u64_e64 s[8:9], v[24:25]
	s_cbranch_execz .LBB370_394
; %bb.387:                              ;   in Loop: Header=BB370_10 Depth=1
	v_cmp_ne_u32_sdwa s5, v25, v107 src0_sel:BYTE_3 src1_sel:DWORD
	v_bfrev_b32_e32 v0, 1
	buffer_store_dword v0, off, s[0:3], s32 offset:368 ; 4-byte Folded Spill
	s_and_saveexec_b32 s17, s5
	s_cbranch_execz .LBB370_393
; %bb.388:                              ;   in Loop: Header=BB370_10 Depth=1
	v_bfe_u32 v1, v25, 24, 7
	v_mov_b32_e32 v0, 0x7f800001
	s_mov_b32 s19, exec_lo
	buffer_store_dword v0, off, s[0:3], s32 offset:368 ; 4-byte Folded Spill
	v_cmpx_ne_u32_e32 0x7f, v1
	s_cbranch_execz .LBB370_392
; %bb.389:                              ;   in Loop: Header=BB370_10 Depth=1
	v_mov_b32_e32 v0, 7
	s_mov_b32 s20, exec_lo
	v_and_b32_sdwa v4, v25, v0 dst_sel:DWORD dst_unused:UNUSED_PAD src0_sel:BYTE_3 src1_sel:DWORD
	v_mov_b32_e32 v27, v5
	v_lshrrev_b32_e32 v0, 3, v1
	v_mov_b32_e32 v26, v4
	v_cmpx_gt_u32_e32 8, v1
; %bb.390:                              ;   in Loop: Header=BB370_10 Depth=1
	v_ffbh_u32_e32 v0, v4
	v_min_u32_e32 v0, 32, v0
	v_subrev_nc_u32_e32 v1, 28, v0
	v_sub_nc_u32_e32 v0, 29, v0
	v_lshlrev_b64 v[1:2], v1, v[4:5]
	v_and_b32_e32 v26, 7, v1
; %bb.391:                              ;   in Loop: Header=BB370_10 Depth=1
	s_or_b32 exec_lo, exec_lo, s20
	v_mov_b32_e32 v1, 24
	v_lshlrev_b32_e32 v2, 20, v26
	v_lshl_add_u32 v0, v0, 23, 0x3c000000
	v_lshlrev_b32_sdwa v1, v1, v25 dst_sel:DWORD dst_unused:UNUSED_PAD src0_sel:DWORD src1_sel:BYTE_3
	v_and_b32_e32 v1, 0x80000000, v1
	v_or3_b32 v0, v2, v1, v0
	buffer_store_dword v0, off, s[0:3], s32 offset:368 ; 4-byte Folded Spill
.LBB370_392:                            ;   in Loop: Header=BB370_10 Depth=1
	s_or_b32 exec_lo, exec_lo, s19
.LBB370_393:                            ;   in Loop: Header=BB370_10 Depth=1
	s_or_b32 exec_lo, exec_lo, s17
.LBB370_394:                            ;   in Loop: Header=BB370_10 Depth=1
	s_or_b32 exec_lo, exec_lo, s6
	flat_load_dwordx2 v[24:25], v[16:17] offset:1536
	s_waitcnt vmcnt(0) lgkmcnt(0)
	v_cmp_ne_u16_sdwa s5, v24, v5 src0_sel:BYTE_0 src1_sel:DWORD
	s_and_saveexec_b32 s6, s5
	s_cbranch_execz .LBB370_402
; %bb.395:                              ;   in Loop: Header=BB370_10 Depth=1
	v_cmp_ne_u16_sdwa s5, v24, v107 src0_sel:BYTE_0 src1_sel:DWORD
	v_bfrev_b32_e32 v0, 1
	buffer_store_dword v0, off, s[0:3], s32 offset:372 ; 4-byte Folded Spill
	s_and_saveexec_b32 s17, s5
	s_cbranch_execz .LBB370_401
; %bb.396:                              ;   in Loop: Header=BB370_10 Depth=1
	v_and_b32_e32 v1, 0x7f, v24
	v_mov_b32_e32 v0, 0x7f800001
	s_mov_b32 s19, exec_lo
	buffer_store_dword v0, off, s[0:3], s32 offset:372 ; 4-byte Folded Spill
	v_cmpx_ne_u32_e32 0x7f, v1
	s_cbranch_execz .LBB370_400
; %bb.397:                              ;   in Loop: Header=BB370_10 Depth=1
	v_mov_b32_e32 v27, v25
	v_lshrrev_b32_e32 v0, 3, v1
	v_mov_b32_e32 v26, v24
	s_mov_b32 s20, exec_lo
	v_cmpx_gt_u32_e32 8, v1
; %bb.398:                              ;   in Loop: Header=BB370_10 Depth=1
	v_and_b32_e32 v0, 7, v24
	v_ffbh_u32_e32 v0, v0
	v_min_u32_e32 v0, 32, v0
	v_subrev_nc_u32_e32 v1, 28, v0
	v_sub_nc_u32_e32 v0, 29, v0
	v_lshlrev_b64 v[26:27], v1, v[24:25]
; %bb.399:                              ;   in Loop: Header=BB370_10 Depth=1
	s_or_b32 exec_lo, exec_lo, s20
	v_lshlrev_b32_e32 v1, 20, v26
	v_lshlrev_b32_e32 v2, 24, v24
	v_lshl_add_u32 v0, v0, 23, 0x3c000000
	v_and_b32_e32 v1, 0x700000, v1
	v_and_b32_e32 v2, 0x80000000, v2
	v_or3_b32 v0, v1, v2, v0
	buffer_store_dword v0, off, s[0:3], s32 offset:372 ; 4-byte Folded Spill
.LBB370_400:                            ;   in Loop: Header=BB370_10 Depth=1
	s_or_b32 exec_lo, exec_lo, s19
.LBB370_401:                            ;   in Loop: Header=BB370_10 Depth=1
	s_or_b32 exec_lo, exec_lo, s17
.LBB370_402:                            ;   in Loop: Header=BB370_10 Depth=1
	s_or_b32 exec_lo, exec_lo, s6
	v_mov_b32_e32 v0, 0
	v_cmp_ne_u16_sdwa s5, v24, v5 src0_sel:BYTE_1 src1_sel:DWORD
	buffer_store_dword v0, off, s[0:3], s32 offset:380 ; 4-byte Folded Spill
	v_mov_b32_e32 v0, 0
	buffer_store_dword v0, off, s[0:3], s32 offset:376 ; 4-byte Folded Spill
	s_and_saveexec_b32 s6, s5
	s_cbranch_execz .LBB370_410
; %bb.403:                              ;   in Loop: Header=BB370_10 Depth=1
	v_cmp_ne_u16_sdwa s5, v24, v107 src0_sel:BYTE_1 src1_sel:DWORD
	v_bfrev_b32_e32 v0, 1
	buffer_store_dword v0, off, s[0:3], s32 offset:376 ; 4-byte Folded Spill
	s_and_saveexec_b32 s17, s5
	s_cbranch_execz .LBB370_409
; %bb.404:                              ;   in Loop: Header=BB370_10 Depth=1
	v_mov_b32_e32 v0, 0xffff
	v_mov_b32_e32 v2, 0x7f800001
	s_mov_b32 s19, exec_lo
	v_and_b32_sdwa v0, v0, v24 dst_sel:DWORD dst_unused:UNUSED_PAD src0_sel:DWORD src1_sel:BYTE_1
	buffer_store_dword v2, off, s[0:3], s32 offset:376 ; 4-byte Folded Spill
	v_and_b32_e32 v1, 0x7f, v0
	v_cmpx_ne_u32_e32 0x7f, v1
	s_cbranch_execz .LBB370_408
; %bb.405:                              ;   in Loop: Header=BB370_10 Depth=1
	v_and_b32_e32 v4, 7, v0
	v_mov_b32_e32 v27, v5
	v_lshrrev_b32_e32 v0, 3, v1
	s_mov_b32 s20, exec_lo
	v_mov_b32_e32 v26, v4
	v_cmpx_gt_u32_e32 8, v1
; %bb.406:                              ;   in Loop: Header=BB370_10 Depth=1
	v_ffbh_u32_e32 v0, v4
	v_min_u32_e32 v0, 32, v0
	v_subrev_nc_u32_e32 v1, 28, v0
	v_sub_nc_u32_e32 v0, 29, v0
	v_lshlrev_b64 v[1:2], v1, v[4:5]
	v_and_b32_e32 v26, 7, v1
; %bb.407:                              ;   in Loop: Header=BB370_10 Depth=1
	s_or_b32 exec_lo, exec_lo, s20
	v_lshlrev_b32_e32 v1, 16, v24
	v_lshlrev_b32_e32 v2, 20, v26
	v_lshl_add_u32 v0, v0, 23, 0x3c000000
	v_and_b32_e32 v1, 0x80000000, v1
	v_or3_b32 v0, v2, v1, v0
	buffer_store_dword v0, off, s[0:3], s32 offset:376 ; 4-byte Folded Spill
.LBB370_408:                            ;   in Loop: Header=BB370_10 Depth=1
	s_or_b32 exec_lo, exec_lo, s19
.LBB370_409:                            ;   in Loop: Header=BB370_10 Depth=1
	s_or_b32 exec_lo, exec_lo, s17
.LBB370_410:                            ;   in Loop: Header=BB370_10 Depth=1
	s_or_b32 exec_lo, exec_lo, s6
	v_mov_b32_e32 v0, 0xff
	s_mov_b32 s6, exec_lo
	v_and_b32_sdwa v0, v24, v0 dst_sel:DWORD dst_unused:UNUSED_PAD src0_sel:WORD_1 src1_sel:DWORD
	v_cmpx_ne_u16_e32 0, v0
	s_cbranch_execz .LBB370_418
; %bb.411:                              ;   in Loop: Header=BB370_10 Depth=1
	v_cmp_ne_u16_e64 s5, 0x80, v0
	v_bfrev_b32_e32 v0, 1
	buffer_store_dword v0, off, s[0:3], s32 offset:380 ; 4-byte Folded Spill
	s_and_saveexec_b32 s17, s5
	s_cbranch_execz .LBB370_417
; %bb.412:                              ;   in Loop: Header=BB370_10 Depth=1
	v_bfe_u32 v1, v24, 16, 7
	v_mov_b32_e32 v0, 0x7f800001
	s_mov_b32 s19, exec_lo
	buffer_store_dword v0, off, s[0:3], s32 offset:380 ; 4-byte Folded Spill
	v_cmpx_ne_u32_e32 0x7f, v1
	s_cbranch_execz .LBB370_416
; %bb.413:                              ;   in Loop: Header=BB370_10 Depth=1
	v_mov_b32_e32 v0, 7
	s_mov_b32 s20, exec_lo
	v_and_b32_sdwa v4, v24, v0 dst_sel:DWORD dst_unused:UNUSED_PAD src0_sel:WORD_1 src1_sel:DWORD
	v_mov_b32_e32 v27, v5
	v_lshrrev_b32_e32 v0, 3, v1
	v_mov_b32_e32 v26, v4
	v_cmpx_gt_u32_e32 8, v1
; %bb.414:                              ;   in Loop: Header=BB370_10 Depth=1
	v_ffbh_u32_e32 v0, v4
	v_min_u32_e32 v0, 32, v0
	v_subrev_nc_u32_e32 v1, 28, v0
	v_sub_nc_u32_e32 v0, 29, v0
	v_lshlrev_b64 v[1:2], v1, v[4:5]
	v_and_b32_e32 v26, 7, v1
; %bb.415:                              ;   in Loop: Header=BB370_10 Depth=1
	s_or_b32 exec_lo, exec_lo, s20
	v_mov_b32_e32 v1, 24
	v_lshlrev_b32_e32 v2, 20, v26
	v_lshl_add_u32 v0, v0, 23, 0x3c000000
	v_lshlrev_b32_sdwa v1, v1, v24 dst_sel:DWORD dst_unused:UNUSED_PAD src0_sel:DWORD src1_sel:WORD_1
	v_and_b32_e32 v1, 0x80000000, v1
	v_or3_b32 v0, v2, v1, v0
	buffer_store_dword v0, off, s[0:3], s32 offset:380 ; 4-byte Folded Spill
.LBB370_416:                            ;   in Loop: Header=BB370_10 Depth=1
	s_or_b32 exec_lo, exec_lo, s19
.LBB370_417:                            ;   in Loop: Header=BB370_10 Depth=1
	s_or_b32 exec_lo, exec_lo, s17
.LBB370_418:                            ;   in Loop: Header=BB370_10 Depth=1
	s_or_b32 exec_lo, exec_lo, s6
	v_mov_b32_e32 v0, 0
	s_mov_b32 s6, exec_lo
	buffer_store_dword v0, off, s[0:3], s32 offset:388 ; 4-byte Folded Spill
	v_mov_b32_e32 v0, 0
	buffer_store_dword v0, off, s[0:3], s32 offset:384 ; 4-byte Folded Spill
	v_cmpx_lt_u32_e32 0xffffff, v24
	s_cbranch_execz .LBB370_426
; %bb.419:                              ;   in Loop: Header=BB370_10 Depth=1
	v_cmp_ne_u32_sdwa s5, v24, v107 src0_sel:BYTE_3 src1_sel:DWORD
	v_bfrev_b32_e32 v0, 1
	buffer_store_dword v0, off, s[0:3], s32 offset:384 ; 4-byte Folded Spill
	s_and_saveexec_b32 s17, s5
	s_cbranch_execz .LBB370_425
; %bb.420:                              ;   in Loop: Header=BB370_10 Depth=1
	v_bfe_u32 v1, v24, 24, 7
	v_mov_b32_e32 v0, 0x7f800001
	s_mov_b32 s19, exec_lo
	buffer_store_dword v0, off, s[0:3], s32 offset:384 ; 4-byte Folded Spill
	v_cmpx_ne_u32_e32 0x7f, v1
	s_cbranch_execz .LBB370_424
; %bb.421:                              ;   in Loop: Header=BB370_10 Depth=1
	v_mov_b32_e32 v0, 7
	s_mov_b32 s20, exec_lo
	v_and_b32_sdwa v4, v24, v0 dst_sel:DWORD dst_unused:UNUSED_PAD src0_sel:BYTE_3 src1_sel:DWORD
	v_mov_b32_e32 v27, v5
	v_lshrrev_b32_e32 v0, 3, v1
	v_mov_b32_e32 v26, v4
	v_cmpx_gt_u32_e32 8, v1
; %bb.422:                              ;   in Loop: Header=BB370_10 Depth=1
	v_ffbh_u32_e32 v0, v4
	v_min_u32_e32 v0, 32, v0
	v_subrev_nc_u32_e32 v1, 28, v0
	v_sub_nc_u32_e32 v0, 29, v0
	v_lshlrev_b64 v[1:2], v1, v[4:5]
	v_and_b32_e32 v26, 7, v1
; %bb.423:                              ;   in Loop: Header=BB370_10 Depth=1
	s_or_b32 exec_lo, exec_lo, s20
	v_mov_b32_e32 v1, 24
	v_lshlrev_b32_e32 v2, 20, v26
	v_lshl_add_u32 v0, v0, 23, 0x3c000000
	v_lshlrev_b32_sdwa v1, v1, v24 dst_sel:DWORD dst_unused:UNUSED_PAD src0_sel:DWORD src1_sel:BYTE_3
	v_and_b32_e32 v1, 0x80000000, v1
	v_or3_b32 v0, v2, v1, v0
	buffer_store_dword v0, off, s[0:3], s32 offset:384 ; 4-byte Folded Spill
.LBB370_424:                            ;   in Loop: Header=BB370_10 Depth=1
	s_or_b32 exec_lo, exec_lo, s19
.LBB370_425:                            ;   in Loop: Header=BB370_10 Depth=1
	s_or_b32 exec_lo, exec_lo, s17
.LBB370_426:                            ;   in Loop: Header=BB370_10 Depth=1
	s_or_b32 exec_lo, exec_lo, s6
	v_mov_b32_e32 v4, v25
	v_cmp_ne_u16_sdwa s5, v25, v5 src0_sel:BYTE_0 src1_sel:DWORD
	s_and_saveexec_b32 s6, s5
	s_cbranch_execz .LBB370_434
; %bb.427:                              ;   in Loop: Header=BB370_10 Depth=1
	v_cmp_ne_u16_sdwa s5, v25, v107 src0_sel:BYTE_0 src1_sel:DWORD
	v_bfrev_b32_e32 v0, 1
	buffer_store_dword v0, off, s[0:3], s32 offset:388 ; 4-byte Folded Spill
	s_and_saveexec_b32 s17, s5
	s_cbranch_execz .LBB370_433
; %bb.428:                              ;   in Loop: Header=BB370_10 Depth=1
	v_and_b32_e32 v1, 0x7f, v25
	v_mov_b32_e32 v0, 0x7f800001
	s_mov_b32 s19, exec_lo
	buffer_store_dword v0, off, s[0:3], s32 offset:388 ; 4-byte Folded Spill
	v_cmpx_ne_u32_e32 0x7f, v1
	s_cbranch_execz .LBB370_432
; %bb.429:                              ;   in Loop: Header=BB370_10 Depth=1
	v_mov_b32_e32 v27, v5
	v_lshrrev_b32_e32 v0, 3, v1
	v_mov_b32_e32 v26, v4
	s_mov_b32 s20, exec_lo
	v_cmpx_gt_u32_e32 8, v1
; %bb.430:                              ;   in Loop: Header=BB370_10 Depth=1
	v_and_b32_e32 v0, 7, v25
	v_ffbh_u32_e32 v0, v0
	v_min_u32_e32 v0, 32, v0
	v_subrev_nc_u32_e32 v1, 28, v0
	v_sub_nc_u32_e32 v0, 29, v0
	v_lshlrev_b64 v[26:27], v1, v[4:5]
; %bb.431:                              ;   in Loop: Header=BB370_10 Depth=1
	s_or_b32 exec_lo, exec_lo, s20
	v_lshlrev_b32_e32 v1, 20, v26
	v_lshlrev_b32_e32 v2, 24, v4
	v_lshl_add_u32 v0, v0, 23, 0x3c000000
	v_and_b32_e32 v1, 0x700000, v1
	v_and_b32_e32 v2, 0x80000000, v2
	v_or3_b32 v0, v1, v2, v0
	buffer_store_dword v0, off, s[0:3], s32 offset:388 ; 4-byte Folded Spill
.LBB370_432:                            ;   in Loop: Header=BB370_10 Depth=1
	s_or_b32 exec_lo, exec_lo, s19
.LBB370_433:                            ;   in Loop: Header=BB370_10 Depth=1
	s_or_b32 exec_lo, exec_lo, s17
.LBB370_434:                            ;   in Loop: Header=BB370_10 Depth=1
	s_or_b32 exec_lo, exec_lo, s6
	v_mov_b32_e32 v0, 0
	v_cmp_ne_u16_sdwa s5, v4, v5 src0_sel:BYTE_1 src1_sel:DWORD
	buffer_store_dword v0, off, s[0:3], s32 offset:392 ; 4-byte Folded Spill
	v_mov_b32_e32 v0, 0
	buffer_store_dword v0, off, s[0:3], s32 offset:396 ; 4-byte Folded Spill
	s_and_saveexec_b32 s6, s5
	s_cbranch_execz .LBB370_442
; %bb.435:                              ;   in Loop: Header=BB370_10 Depth=1
	v_cmp_ne_u16_sdwa s5, v4, v107 src0_sel:BYTE_1 src1_sel:DWORD
	v_bfrev_b32_e32 v0, 1
	buffer_store_dword v0, off, s[0:3], s32 offset:396 ; 4-byte Folded Spill
	s_and_saveexec_b32 s17, s5
	s_cbranch_execz .LBB370_441
; %bb.436:                              ;   in Loop: Header=BB370_10 Depth=1
	v_mov_b32_e32 v0, 0xffff
	v_mov_b32_e32 v2, 0x7f800001
	s_mov_b32 s19, exec_lo
	v_and_b32_sdwa v0, v0, v4 dst_sel:DWORD dst_unused:UNUSED_PAD src0_sel:DWORD src1_sel:BYTE_1
	buffer_store_dword v2, off, s[0:3], s32 offset:396 ; 4-byte Folded Spill
	v_and_b32_e32 v1, 0x7f, v0
	v_cmpx_ne_u32_e32 0x7f, v1
	s_cbranch_execz .LBB370_440
; %bb.437:                              ;   in Loop: Header=BB370_10 Depth=1
	v_and_b32_e32 v26, 7, v0
	v_mov_b32_e32 v27, v5
	v_lshrrev_b32_e32 v0, 3, v1
	s_mov_b32 s20, exec_lo
	v_cmpx_gt_u32_e32 8, v1
; %bb.438:                              ;   in Loop: Header=BB370_10 Depth=1
	v_ffbh_u32_e32 v0, v26
	v_min_u32_e32 v0, 32, v0
	v_subrev_nc_u32_e32 v1, 28, v0
	v_sub_nc_u32_e32 v0, 29, v0
	v_lshlrev_b64 v[1:2], v1, v[26:27]
	v_and_b32_e32 v26, 7, v1
; %bb.439:                              ;   in Loop: Header=BB370_10 Depth=1
	s_or_b32 exec_lo, exec_lo, s20
	v_lshlrev_b32_e32 v1, 16, v4
	v_lshlrev_b32_e32 v2, 20, v26
	v_lshl_add_u32 v0, v0, 23, 0x3c000000
	v_and_b32_e32 v1, 0x80000000, v1
	v_or3_b32 v0, v2, v1, v0
	buffer_store_dword v0, off, s[0:3], s32 offset:396 ; 4-byte Folded Spill
.LBB370_440:                            ;   in Loop: Header=BB370_10 Depth=1
	s_or_b32 exec_lo, exec_lo, s19
.LBB370_441:                            ;   in Loop: Header=BB370_10 Depth=1
	s_or_b32 exec_lo, exec_lo, s17
.LBB370_442:                            ;   in Loop: Header=BB370_10 Depth=1
	s_or_b32 exec_lo, exec_lo, s6
	v_mov_b32_e32 v0, 0xff
	s_mov_b32 s6, exec_lo
	v_and_b32_sdwa v0, v25, v0 dst_sel:DWORD dst_unused:UNUSED_PAD src0_sel:WORD_1 src1_sel:DWORD
	v_cmpx_ne_u16_e32 0, v0
	s_cbranch_execz .LBB370_450
; %bb.443:                              ;   in Loop: Header=BB370_10 Depth=1
	v_cmp_ne_u16_e64 s5, 0x80, v0
	v_bfrev_b32_e32 v0, 1
	buffer_store_dword v0, off, s[0:3], s32 offset:392 ; 4-byte Folded Spill
	s_and_saveexec_b32 s17, s5
	s_cbranch_execz .LBB370_449
; %bb.444:                              ;   in Loop: Header=BB370_10 Depth=1
	v_bfe_u32 v1, v25, 16, 7
	v_mov_b32_e32 v0, 0x7f800001
	s_mov_b32 s19, exec_lo
	buffer_store_dword v0, off, s[0:3], s32 offset:392 ; 4-byte Folded Spill
	v_cmpx_ne_u32_e32 0x7f, v1
	s_cbranch_execz .LBB370_448
; %bb.445:                              ;   in Loop: Header=BB370_10 Depth=1
	v_mov_b32_e32 v0, 7
	s_mov_b32 s20, exec_lo
	v_and_b32_sdwa v4, v25, v0 dst_sel:DWORD dst_unused:UNUSED_PAD src0_sel:WORD_1 src1_sel:DWORD
	v_mov_b32_e32 v27, v5
	v_lshrrev_b32_e32 v0, 3, v1
	v_mov_b32_e32 v26, v4
	v_cmpx_gt_u32_e32 8, v1
; %bb.446:                              ;   in Loop: Header=BB370_10 Depth=1
	v_ffbh_u32_e32 v0, v4
	v_min_u32_e32 v0, 32, v0
	v_subrev_nc_u32_e32 v1, 28, v0
	v_sub_nc_u32_e32 v0, 29, v0
	v_lshlrev_b64 v[1:2], v1, v[4:5]
	v_and_b32_e32 v26, 7, v1
; %bb.447:                              ;   in Loop: Header=BB370_10 Depth=1
	s_or_b32 exec_lo, exec_lo, s20
	v_mov_b32_e32 v1, 24
	v_lshlrev_b32_e32 v2, 20, v26
	v_lshl_add_u32 v0, v0, 23, 0x3c000000
	v_lshlrev_b32_sdwa v1, v1, v25 dst_sel:DWORD dst_unused:UNUSED_PAD src0_sel:DWORD src1_sel:WORD_1
	v_and_b32_e32 v1, 0x80000000, v1
	v_or3_b32 v0, v2, v1, v0
	buffer_store_dword v0, off, s[0:3], s32 offset:392 ; 4-byte Folded Spill
.LBB370_448:                            ;   in Loop: Header=BB370_10 Depth=1
	s_or_b32 exec_lo, exec_lo, s19
.LBB370_449:                            ;   in Loop: Header=BB370_10 Depth=1
	s_or_b32 exec_lo, exec_lo, s17
.LBB370_450:                            ;   in Loop: Header=BB370_10 Depth=1
	s_or_b32 exec_lo, exec_lo, s6
	v_mov_b32_e32 v0, 0
	s_mov_b32 s6, exec_lo
	buffer_store_dword v0, off, s[0:3], s32 offset:404 ; 4-byte Folded Spill
	v_mov_b32_e32 v0, 0
	buffer_store_dword v0, off, s[0:3], s32 offset:400 ; 4-byte Folded Spill
	v_cmpx_lt_u64_e64 s[8:9], v[24:25]
	s_cbranch_execz .LBB370_458
; %bb.451:                              ;   in Loop: Header=BB370_10 Depth=1
	v_cmp_ne_u32_sdwa s5, v25, v107 src0_sel:BYTE_3 src1_sel:DWORD
	v_bfrev_b32_e32 v0, 1
	buffer_store_dword v0, off, s[0:3], s32 offset:400 ; 4-byte Folded Spill
	s_and_saveexec_b32 s17, s5
	s_cbranch_execz .LBB370_457
; %bb.452:                              ;   in Loop: Header=BB370_10 Depth=1
	v_bfe_u32 v1, v25, 24, 7
	v_mov_b32_e32 v0, 0x7f800001
	s_mov_b32 s19, exec_lo
	buffer_store_dword v0, off, s[0:3], s32 offset:400 ; 4-byte Folded Spill
	v_cmpx_ne_u32_e32 0x7f, v1
	s_cbranch_execz .LBB370_456
; %bb.453:                              ;   in Loop: Header=BB370_10 Depth=1
	v_mov_b32_e32 v0, 7
	s_mov_b32 s20, exec_lo
	v_and_b32_sdwa v4, v25, v0 dst_sel:DWORD dst_unused:UNUSED_PAD src0_sel:BYTE_3 src1_sel:DWORD
	v_mov_b32_e32 v27, v5
	v_lshrrev_b32_e32 v0, 3, v1
	v_mov_b32_e32 v26, v4
	v_cmpx_gt_u32_e32 8, v1
; %bb.454:                              ;   in Loop: Header=BB370_10 Depth=1
	v_ffbh_u32_e32 v0, v4
	v_min_u32_e32 v0, 32, v0
	v_subrev_nc_u32_e32 v1, 28, v0
	v_sub_nc_u32_e32 v0, 29, v0
	v_lshlrev_b64 v[1:2], v1, v[4:5]
	v_and_b32_e32 v26, 7, v1
; %bb.455:                              ;   in Loop: Header=BB370_10 Depth=1
	s_or_b32 exec_lo, exec_lo, s20
	v_mov_b32_e32 v1, 24
	v_lshlrev_b32_e32 v2, 20, v26
	v_lshl_add_u32 v0, v0, 23, 0x3c000000
	v_lshlrev_b32_sdwa v1, v1, v25 dst_sel:DWORD dst_unused:UNUSED_PAD src0_sel:DWORD src1_sel:BYTE_3
	v_and_b32_e32 v1, 0x80000000, v1
	v_or3_b32 v0, v2, v1, v0
	buffer_store_dword v0, off, s[0:3], s32 offset:400 ; 4-byte Folded Spill
.LBB370_456:                            ;   in Loop: Header=BB370_10 Depth=1
	s_or_b32 exec_lo, exec_lo, s19
.LBB370_457:                            ;   in Loop: Header=BB370_10 Depth=1
	s_or_b32 exec_lo, exec_lo, s17
.LBB370_458:                            ;   in Loop: Header=BB370_10 Depth=1
	s_or_b32 exec_lo, exec_lo, s6
	flat_load_dwordx2 v[24:25], v[16:17] offset:1544
	s_waitcnt vmcnt(0) lgkmcnt(0)
	v_cmp_ne_u16_sdwa s5, v24, v5 src0_sel:BYTE_0 src1_sel:DWORD
	s_and_saveexec_b32 s6, s5
	s_cbranch_execz .LBB370_466
; %bb.459:                              ;   in Loop: Header=BB370_10 Depth=1
	v_cmp_ne_u16_sdwa s5, v24, v107 src0_sel:BYTE_0 src1_sel:DWORD
	v_bfrev_b32_e32 v0, 1
	buffer_store_dword v0, off, s[0:3], s32 offset:404 ; 4-byte Folded Spill
	s_and_saveexec_b32 s17, s5
	s_cbranch_execz .LBB370_465
; %bb.460:                              ;   in Loop: Header=BB370_10 Depth=1
	v_and_b32_e32 v1, 0x7f, v24
	v_mov_b32_e32 v0, 0x7f800001
	s_mov_b32 s19, exec_lo
	buffer_store_dword v0, off, s[0:3], s32 offset:404 ; 4-byte Folded Spill
	v_cmpx_ne_u32_e32 0x7f, v1
	s_cbranch_execz .LBB370_464
; %bb.461:                              ;   in Loop: Header=BB370_10 Depth=1
	v_mov_b32_e32 v27, v25
	v_lshrrev_b32_e32 v0, 3, v1
	v_mov_b32_e32 v26, v24
	s_mov_b32 s20, exec_lo
	v_cmpx_gt_u32_e32 8, v1
; %bb.462:                              ;   in Loop: Header=BB370_10 Depth=1
	v_and_b32_e32 v0, 7, v24
	v_ffbh_u32_e32 v0, v0
	v_min_u32_e32 v0, 32, v0
	v_subrev_nc_u32_e32 v1, 28, v0
	v_sub_nc_u32_e32 v0, 29, v0
	v_lshlrev_b64 v[26:27], v1, v[24:25]
; %bb.463:                              ;   in Loop: Header=BB370_10 Depth=1
	s_or_b32 exec_lo, exec_lo, s20
	v_lshlrev_b32_e32 v1, 20, v26
	v_lshlrev_b32_e32 v2, 24, v24
	v_lshl_add_u32 v0, v0, 23, 0x3c000000
	v_and_b32_e32 v1, 0x700000, v1
	v_and_b32_e32 v2, 0x80000000, v2
	v_or3_b32 v0, v1, v2, v0
	buffer_store_dword v0, off, s[0:3], s32 offset:404 ; 4-byte Folded Spill
.LBB370_464:                            ;   in Loop: Header=BB370_10 Depth=1
	s_or_b32 exec_lo, exec_lo, s19
.LBB370_465:                            ;   in Loop: Header=BB370_10 Depth=1
	s_or_b32 exec_lo, exec_lo, s17
.LBB370_466:                            ;   in Loop: Header=BB370_10 Depth=1
	s_or_b32 exec_lo, exec_lo, s6
	v_mov_b32_e32 v0, 0
	v_cmp_ne_u16_sdwa s5, v24, v5 src0_sel:BYTE_1 src1_sel:DWORD
	buffer_store_dword v0, off, s[0:3], s32 offset:412 ; 4-byte Folded Spill
	v_mov_b32_e32 v0, 0
	buffer_store_dword v0, off, s[0:3], s32 offset:408 ; 4-byte Folded Spill
	s_and_saveexec_b32 s6, s5
	s_cbranch_execz .LBB370_474
; %bb.467:                              ;   in Loop: Header=BB370_10 Depth=1
	v_cmp_ne_u16_sdwa s5, v24, v107 src0_sel:BYTE_1 src1_sel:DWORD
	v_bfrev_b32_e32 v0, 1
	buffer_store_dword v0, off, s[0:3], s32 offset:408 ; 4-byte Folded Spill
	s_and_saveexec_b32 s17, s5
	s_cbranch_execz .LBB370_473
; %bb.468:                              ;   in Loop: Header=BB370_10 Depth=1
	v_mov_b32_e32 v0, 0xffff
	v_mov_b32_e32 v2, 0x7f800001
	s_mov_b32 s19, exec_lo
	v_and_b32_sdwa v0, v0, v24 dst_sel:DWORD dst_unused:UNUSED_PAD src0_sel:DWORD src1_sel:BYTE_1
	buffer_store_dword v2, off, s[0:3], s32 offset:408 ; 4-byte Folded Spill
	v_and_b32_e32 v1, 0x7f, v0
	v_cmpx_ne_u32_e32 0x7f, v1
	s_cbranch_execz .LBB370_472
; %bb.469:                              ;   in Loop: Header=BB370_10 Depth=1
	v_and_b32_e32 v4, 7, v0
	v_mov_b32_e32 v27, v5
	v_lshrrev_b32_e32 v0, 3, v1
	s_mov_b32 s20, exec_lo
	v_mov_b32_e32 v26, v4
	v_cmpx_gt_u32_e32 8, v1
; %bb.470:                              ;   in Loop: Header=BB370_10 Depth=1
	v_ffbh_u32_e32 v0, v4
	v_min_u32_e32 v0, 32, v0
	v_subrev_nc_u32_e32 v1, 28, v0
	v_sub_nc_u32_e32 v0, 29, v0
	v_lshlrev_b64 v[1:2], v1, v[4:5]
	v_and_b32_e32 v26, 7, v1
; %bb.471:                              ;   in Loop: Header=BB370_10 Depth=1
	s_or_b32 exec_lo, exec_lo, s20
	v_lshlrev_b32_e32 v1, 16, v24
	v_lshlrev_b32_e32 v2, 20, v26
	v_lshl_add_u32 v0, v0, 23, 0x3c000000
	v_and_b32_e32 v1, 0x80000000, v1
	v_or3_b32 v0, v2, v1, v0
	buffer_store_dword v0, off, s[0:3], s32 offset:408 ; 4-byte Folded Spill
.LBB370_472:                            ;   in Loop: Header=BB370_10 Depth=1
	s_or_b32 exec_lo, exec_lo, s19
.LBB370_473:                            ;   in Loop: Header=BB370_10 Depth=1
	s_or_b32 exec_lo, exec_lo, s17
.LBB370_474:                            ;   in Loop: Header=BB370_10 Depth=1
	s_or_b32 exec_lo, exec_lo, s6
	v_mov_b32_e32 v0, 0xff
	s_mov_b32 s6, exec_lo
	v_and_b32_sdwa v0, v24, v0 dst_sel:DWORD dst_unused:UNUSED_PAD src0_sel:WORD_1 src1_sel:DWORD
	v_cmpx_ne_u16_e32 0, v0
	s_cbranch_execz .LBB370_482
; %bb.475:                              ;   in Loop: Header=BB370_10 Depth=1
	v_cmp_ne_u16_e64 s5, 0x80, v0
	v_bfrev_b32_e32 v0, 1
	buffer_store_dword v0, off, s[0:3], s32 offset:412 ; 4-byte Folded Spill
	s_and_saveexec_b32 s17, s5
	s_cbranch_execz .LBB370_481
; %bb.476:                              ;   in Loop: Header=BB370_10 Depth=1
	v_bfe_u32 v1, v24, 16, 7
	v_mov_b32_e32 v0, 0x7f800001
	s_mov_b32 s19, exec_lo
	buffer_store_dword v0, off, s[0:3], s32 offset:412 ; 4-byte Folded Spill
	v_cmpx_ne_u32_e32 0x7f, v1
	s_cbranch_execz .LBB370_480
; %bb.477:                              ;   in Loop: Header=BB370_10 Depth=1
	v_mov_b32_e32 v0, 7
	s_mov_b32 s20, exec_lo
	v_and_b32_sdwa v4, v24, v0 dst_sel:DWORD dst_unused:UNUSED_PAD src0_sel:WORD_1 src1_sel:DWORD
	v_mov_b32_e32 v27, v5
	v_lshrrev_b32_e32 v0, 3, v1
	v_mov_b32_e32 v26, v4
	v_cmpx_gt_u32_e32 8, v1
; %bb.478:                              ;   in Loop: Header=BB370_10 Depth=1
	v_ffbh_u32_e32 v0, v4
	v_min_u32_e32 v0, 32, v0
	v_subrev_nc_u32_e32 v1, 28, v0
	v_sub_nc_u32_e32 v0, 29, v0
	v_lshlrev_b64 v[1:2], v1, v[4:5]
	v_and_b32_e32 v26, 7, v1
; %bb.479:                              ;   in Loop: Header=BB370_10 Depth=1
	s_or_b32 exec_lo, exec_lo, s20
	v_mov_b32_e32 v1, 24
	v_lshlrev_b32_e32 v2, 20, v26
	v_lshl_add_u32 v0, v0, 23, 0x3c000000
	v_lshlrev_b32_sdwa v1, v1, v24 dst_sel:DWORD dst_unused:UNUSED_PAD src0_sel:DWORD src1_sel:WORD_1
	v_and_b32_e32 v1, 0x80000000, v1
	v_or3_b32 v0, v2, v1, v0
	buffer_store_dword v0, off, s[0:3], s32 offset:412 ; 4-byte Folded Spill
.LBB370_480:                            ;   in Loop: Header=BB370_10 Depth=1
	s_or_b32 exec_lo, exec_lo, s19
.LBB370_481:                            ;   in Loop: Header=BB370_10 Depth=1
	s_or_b32 exec_lo, exec_lo, s17
.LBB370_482:                            ;   in Loop: Header=BB370_10 Depth=1
	s_or_b32 exec_lo, exec_lo, s6
	v_mov_b32_e32 v0, 0
	s_mov_b32 s6, exec_lo
	buffer_store_dword v0, off, s[0:3], s32 offset:420 ; 4-byte Folded Spill
	v_mov_b32_e32 v0, 0
	buffer_store_dword v0, off, s[0:3], s32 offset:416 ; 4-byte Folded Spill
	v_cmpx_lt_u32_e32 0xffffff, v24
	s_cbranch_execz .LBB370_490
; %bb.483:                              ;   in Loop: Header=BB370_10 Depth=1
	v_cmp_ne_u32_sdwa s5, v24, v107 src0_sel:BYTE_3 src1_sel:DWORD
	v_bfrev_b32_e32 v0, 1
	buffer_store_dword v0, off, s[0:3], s32 offset:416 ; 4-byte Folded Spill
	s_and_saveexec_b32 s17, s5
	s_cbranch_execz .LBB370_489
; %bb.484:                              ;   in Loop: Header=BB370_10 Depth=1
	v_bfe_u32 v1, v24, 24, 7
	v_mov_b32_e32 v0, 0x7f800001
	s_mov_b32 s19, exec_lo
	buffer_store_dword v0, off, s[0:3], s32 offset:416 ; 4-byte Folded Spill
	v_cmpx_ne_u32_e32 0x7f, v1
	s_cbranch_execz .LBB370_488
; %bb.485:                              ;   in Loop: Header=BB370_10 Depth=1
	v_mov_b32_e32 v0, 7
	s_mov_b32 s20, exec_lo
	v_and_b32_sdwa v4, v24, v0 dst_sel:DWORD dst_unused:UNUSED_PAD src0_sel:BYTE_3 src1_sel:DWORD
	v_mov_b32_e32 v27, v5
	v_lshrrev_b32_e32 v0, 3, v1
	v_mov_b32_e32 v26, v4
	v_cmpx_gt_u32_e32 8, v1
; %bb.486:                              ;   in Loop: Header=BB370_10 Depth=1
	v_ffbh_u32_e32 v0, v4
	v_min_u32_e32 v0, 32, v0
	v_subrev_nc_u32_e32 v1, 28, v0
	v_sub_nc_u32_e32 v0, 29, v0
	v_lshlrev_b64 v[1:2], v1, v[4:5]
	v_and_b32_e32 v26, 7, v1
; %bb.487:                              ;   in Loop: Header=BB370_10 Depth=1
	s_or_b32 exec_lo, exec_lo, s20
	v_mov_b32_e32 v1, 24
	v_lshlrev_b32_e32 v2, 20, v26
	v_lshl_add_u32 v0, v0, 23, 0x3c000000
	v_lshlrev_b32_sdwa v1, v1, v24 dst_sel:DWORD dst_unused:UNUSED_PAD src0_sel:DWORD src1_sel:BYTE_3
	v_and_b32_e32 v1, 0x80000000, v1
	v_or3_b32 v0, v2, v1, v0
	buffer_store_dword v0, off, s[0:3], s32 offset:416 ; 4-byte Folded Spill
.LBB370_488:                            ;   in Loop: Header=BB370_10 Depth=1
	s_or_b32 exec_lo, exec_lo, s19
.LBB370_489:                            ;   in Loop: Header=BB370_10 Depth=1
	s_or_b32 exec_lo, exec_lo, s17
.LBB370_490:                            ;   in Loop: Header=BB370_10 Depth=1
	s_or_b32 exec_lo, exec_lo, s6
	v_mov_b32_e32 v4, v25
	v_cmp_ne_u16_sdwa s5, v25, v5 src0_sel:BYTE_0 src1_sel:DWORD
	s_and_saveexec_b32 s6, s5
	s_cbranch_execz .LBB370_498
; %bb.491:                              ;   in Loop: Header=BB370_10 Depth=1
	v_cmp_ne_u16_sdwa s5, v25, v107 src0_sel:BYTE_0 src1_sel:DWORD
	v_bfrev_b32_e32 v0, 1
	buffer_store_dword v0, off, s[0:3], s32 offset:420 ; 4-byte Folded Spill
	s_and_saveexec_b32 s17, s5
	s_cbranch_execz .LBB370_497
; %bb.492:                              ;   in Loop: Header=BB370_10 Depth=1
	v_and_b32_e32 v1, 0x7f, v25
	v_mov_b32_e32 v0, 0x7f800001
	s_mov_b32 s19, exec_lo
	buffer_store_dword v0, off, s[0:3], s32 offset:420 ; 4-byte Folded Spill
	v_cmpx_ne_u32_e32 0x7f, v1
	s_cbranch_execz .LBB370_496
; %bb.493:                              ;   in Loop: Header=BB370_10 Depth=1
	v_mov_b32_e32 v27, v5
	v_lshrrev_b32_e32 v0, 3, v1
	v_mov_b32_e32 v26, v4
	s_mov_b32 s20, exec_lo
	v_cmpx_gt_u32_e32 8, v1
; %bb.494:                              ;   in Loop: Header=BB370_10 Depth=1
	v_and_b32_e32 v0, 7, v25
	v_ffbh_u32_e32 v0, v0
	v_min_u32_e32 v0, 32, v0
	v_subrev_nc_u32_e32 v1, 28, v0
	v_sub_nc_u32_e32 v0, 29, v0
	v_lshlrev_b64 v[26:27], v1, v[4:5]
; %bb.495:                              ;   in Loop: Header=BB370_10 Depth=1
	s_or_b32 exec_lo, exec_lo, s20
	v_lshlrev_b32_e32 v1, 20, v26
	v_lshlrev_b32_e32 v2, 24, v4
	v_lshl_add_u32 v0, v0, 23, 0x3c000000
	v_and_b32_e32 v1, 0x700000, v1
	v_and_b32_e32 v2, 0x80000000, v2
	v_or3_b32 v0, v1, v2, v0
	buffer_store_dword v0, off, s[0:3], s32 offset:420 ; 4-byte Folded Spill
.LBB370_496:                            ;   in Loop: Header=BB370_10 Depth=1
	s_or_b32 exec_lo, exec_lo, s19
.LBB370_497:                            ;   in Loop: Header=BB370_10 Depth=1
	s_or_b32 exec_lo, exec_lo, s17
.LBB370_498:                            ;   in Loop: Header=BB370_10 Depth=1
	s_or_b32 exec_lo, exec_lo, s6
	v_mov_b32_e32 v0, 0
	v_cmp_ne_u16_sdwa s5, v4, v5 src0_sel:BYTE_1 src1_sel:DWORD
	buffer_store_dword v0, off, s[0:3], s32 offset:424 ; 4-byte Folded Spill
	v_mov_b32_e32 v0, 0
	buffer_store_dword v0, off, s[0:3], s32 offset:428 ; 4-byte Folded Spill
	s_and_saveexec_b32 s6, s5
	s_cbranch_execz .LBB370_506
; %bb.499:                              ;   in Loop: Header=BB370_10 Depth=1
	v_cmp_ne_u16_sdwa s5, v4, v107 src0_sel:BYTE_1 src1_sel:DWORD
	v_bfrev_b32_e32 v0, 1
	buffer_store_dword v0, off, s[0:3], s32 offset:428 ; 4-byte Folded Spill
	s_and_saveexec_b32 s17, s5
	s_cbranch_execz .LBB370_505
; %bb.500:                              ;   in Loop: Header=BB370_10 Depth=1
	v_mov_b32_e32 v0, 0xffff
	v_mov_b32_e32 v2, 0x7f800001
	s_mov_b32 s19, exec_lo
	v_and_b32_sdwa v0, v0, v4 dst_sel:DWORD dst_unused:UNUSED_PAD src0_sel:DWORD src1_sel:BYTE_1
	buffer_store_dword v2, off, s[0:3], s32 offset:428 ; 4-byte Folded Spill
	v_and_b32_e32 v1, 0x7f, v0
	v_cmpx_ne_u32_e32 0x7f, v1
	s_cbranch_execz .LBB370_504
; %bb.501:                              ;   in Loop: Header=BB370_10 Depth=1
	v_and_b32_e32 v26, 7, v0
	v_mov_b32_e32 v27, v5
	v_lshrrev_b32_e32 v0, 3, v1
	s_mov_b32 s20, exec_lo
	v_cmpx_gt_u32_e32 8, v1
; %bb.502:                              ;   in Loop: Header=BB370_10 Depth=1
	v_ffbh_u32_e32 v0, v26
	v_min_u32_e32 v0, 32, v0
	v_subrev_nc_u32_e32 v1, 28, v0
	v_sub_nc_u32_e32 v0, 29, v0
	v_lshlrev_b64 v[1:2], v1, v[26:27]
	v_and_b32_e32 v26, 7, v1
; %bb.503:                              ;   in Loop: Header=BB370_10 Depth=1
	s_or_b32 exec_lo, exec_lo, s20
	v_lshlrev_b32_e32 v1, 16, v4
	v_lshlrev_b32_e32 v2, 20, v26
	v_lshl_add_u32 v0, v0, 23, 0x3c000000
	v_and_b32_e32 v1, 0x80000000, v1
	v_or3_b32 v0, v2, v1, v0
	buffer_store_dword v0, off, s[0:3], s32 offset:428 ; 4-byte Folded Spill
.LBB370_504:                            ;   in Loop: Header=BB370_10 Depth=1
	s_or_b32 exec_lo, exec_lo, s19
.LBB370_505:                            ;   in Loop: Header=BB370_10 Depth=1
	s_or_b32 exec_lo, exec_lo, s17
.LBB370_506:                            ;   in Loop: Header=BB370_10 Depth=1
	s_or_b32 exec_lo, exec_lo, s6
	v_mov_b32_e32 v0, 0xff
	s_mov_b32 s6, exec_lo
	v_and_b32_sdwa v0, v25, v0 dst_sel:DWORD dst_unused:UNUSED_PAD src0_sel:WORD_1 src1_sel:DWORD
	v_cmpx_ne_u16_e32 0, v0
	s_cbranch_execz .LBB370_514
; %bb.507:                              ;   in Loop: Header=BB370_10 Depth=1
	v_cmp_ne_u16_e64 s5, 0x80, v0
	v_bfrev_b32_e32 v0, 1
	buffer_store_dword v0, off, s[0:3], s32 offset:424 ; 4-byte Folded Spill
	s_and_saveexec_b32 s17, s5
	s_cbranch_execz .LBB370_513
; %bb.508:                              ;   in Loop: Header=BB370_10 Depth=1
	v_bfe_u32 v1, v25, 16, 7
	v_mov_b32_e32 v0, 0x7f800001
	s_mov_b32 s19, exec_lo
	buffer_store_dword v0, off, s[0:3], s32 offset:424 ; 4-byte Folded Spill
	v_cmpx_ne_u32_e32 0x7f, v1
	s_cbranch_execz .LBB370_512
; %bb.509:                              ;   in Loop: Header=BB370_10 Depth=1
	v_mov_b32_e32 v0, 7
	s_mov_b32 s20, exec_lo
	v_and_b32_sdwa v4, v25, v0 dst_sel:DWORD dst_unused:UNUSED_PAD src0_sel:WORD_1 src1_sel:DWORD
	v_mov_b32_e32 v27, v5
	v_lshrrev_b32_e32 v0, 3, v1
	v_mov_b32_e32 v26, v4
	v_cmpx_gt_u32_e32 8, v1
; %bb.510:                              ;   in Loop: Header=BB370_10 Depth=1
	v_ffbh_u32_e32 v0, v4
	v_min_u32_e32 v0, 32, v0
	v_subrev_nc_u32_e32 v1, 28, v0
	v_sub_nc_u32_e32 v0, 29, v0
	v_lshlrev_b64 v[1:2], v1, v[4:5]
	v_and_b32_e32 v26, 7, v1
; %bb.511:                              ;   in Loop: Header=BB370_10 Depth=1
	s_or_b32 exec_lo, exec_lo, s20
	v_mov_b32_e32 v1, 24
	v_lshlrev_b32_e32 v2, 20, v26
	v_lshl_add_u32 v0, v0, 23, 0x3c000000
	v_lshlrev_b32_sdwa v1, v1, v25 dst_sel:DWORD dst_unused:UNUSED_PAD src0_sel:DWORD src1_sel:WORD_1
	v_and_b32_e32 v1, 0x80000000, v1
	v_or3_b32 v0, v2, v1, v0
	buffer_store_dword v0, off, s[0:3], s32 offset:424 ; 4-byte Folded Spill
.LBB370_512:                            ;   in Loop: Header=BB370_10 Depth=1
	s_or_b32 exec_lo, exec_lo, s19
.LBB370_513:                            ;   in Loop: Header=BB370_10 Depth=1
	s_or_b32 exec_lo, exec_lo, s17
.LBB370_514:                            ;   in Loop: Header=BB370_10 Depth=1
	s_or_b32 exec_lo, exec_lo, s6
	v_mov_b32_e32 v0, 0
	s_mov_b32 s6, exec_lo
	buffer_store_dword v0, off, s[0:3], s32 offset:436 ; 4-byte Folded Spill
	v_mov_b32_e32 v0, 0
	buffer_store_dword v0, off, s[0:3], s32 offset:432 ; 4-byte Folded Spill
	v_cmpx_lt_u64_e64 s[8:9], v[24:25]
	s_cbranch_execz .LBB370_522
; %bb.515:                              ;   in Loop: Header=BB370_10 Depth=1
	v_cmp_ne_u32_sdwa s5, v25, v107 src0_sel:BYTE_3 src1_sel:DWORD
	v_bfrev_b32_e32 v0, 1
	buffer_store_dword v0, off, s[0:3], s32 offset:432 ; 4-byte Folded Spill
	s_and_saveexec_b32 s17, s5
	s_cbranch_execz .LBB370_521
; %bb.516:                              ;   in Loop: Header=BB370_10 Depth=1
	v_bfe_u32 v1, v25, 24, 7
	v_mov_b32_e32 v0, 0x7f800001
	s_mov_b32 s19, exec_lo
	buffer_store_dword v0, off, s[0:3], s32 offset:432 ; 4-byte Folded Spill
	v_cmpx_ne_u32_e32 0x7f, v1
	s_cbranch_execz .LBB370_520
; %bb.517:                              ;   in Loop: Header=BB370_10 Depth=1
	v_mov_b32_e32 v0, 7
	s_mov_b32 s20, exec_lo
	v_and_b32_sdwa v4, v25, v0 dst_sel:DWORD dst_unused:UNUSED_PAD src0_sel:BYTE_3 src1_sel:DWORD
	v_mov_b32_e32 v27, v5
	v_lshrrev_b32_e32 v0, 3, v1
	v_mov_b32_e32 v26, v4
	v_cmpx_gt_u32_e32 8, v1
; %bb.518:                              ;   in Loop: Header=BB370_10 Depth=1
	v_ffbh_u32_e32 v0, v4
	v_min_u32_e32 v0, 32, v0
	v_subrev_nc_u32_e32 v1, 28, v0
	v_sub_nc_u32_e32 v0, 29, v0
	v_lshlrev_b64 v[1:2], v1, v[4:5]
	v_and_b32_e32 v26, 7, v1
; %bb.519:                              ;   in Loop: Header=BB370_10 Depth=1
	s_or_b32 exec_lo, exec_lo, s20
	v_mov_b32_e32 v1, 24
	v_lshlrev_b32_e32 v2, 20, v26
	v_lshl_add_u32 v0, v0, 23, 0x3c000000
	v_lshlrev_b32_sdwa v1, v1, v25 dst_sel:DWORD dst_unused:UNUSED_PAD src0_sel:DWORD src1_sel:BYTE_3
	v_and_b32_e32 v1, 0x80000000, v1
	v_or3_b32 v0, v2, v1, v0
	buffer_store_dword v0, off, s[0:3], s32 offset:432 ; 4-byte Folded Spill
.LBB370_520:                            ;   in Loop: Header=BB370_10 Depth=1
	s_or_b32 exec_lo, exec_lo, s19
.LBB370_521:                            ;   in Loop: Header=BB370_10 Depth=1
	s_or_b32 exec_lo, exec_lo, s17
.LBB370_522:                            ;   in Loop: Header=BB370_10 Depth=1
	s_or_b32 exec_lo, exec_lo, s6
	v_add_co_u32 v24, s5, 0x800, v16
	v_add_co_ci_u32_e64 v25, null, 0, v17, s5
	flat_load_dwordx2 v[26:27], v[24:25]
	s_waitcnt vmcnt(0) lgkmcnt(0)
	v_cmp_ne_u16_sdwa s5, v26, v5 src0_sel:BYTE_0 src1_sel:DWORD
	s_and_saveexec_b32 s6, s5
	s_cbranch_execz .LBB370_530
; %bb.523:                              ;   in Loop: Header=BB370_10 Depth=1
	v_cmp_ne_u16_sdwa s5, v26, v107 src0_sel:BYTE_0 src1_sel:DWORD
	v_bfrev_b32_e32 v0, 1
	buffer_store_dword v0, off, s[0:3], s32 offset:436 ; 4-byte Folded Spill
	s_and_saveexec_b32 s17, s5
	s_cbranch_execz .LBB370_529
; %bb.524:                              ;   in Loop: Header=BB370_10 Depth=1
	v_and_b32_e32 v1, 0x7f, v26
	v_mov_b32_e32 v0, 0x7f800001
	s_mov_b32 s19, exec_lo
	buffer_store_dword v0, off, s[0:3], s32 offset:436 ; 4-byte Folded Spill
	v_cmpx_ne_u32_e32 0x7f, v1
	s_cbranch_execz .LBB370_528
; %bb.525:                              ;   in Loop: Header=BB370_10 Depth=1
	v_mov_b32_e32 v29, v27
	v_lshrrev_b32_e32 v0, 3, v1
	v_mov_b32_e32 v28, v26
	s_mov_b32 s20, exec_lo
	v_cmpx_gt_u32_e32 8, v1
; %bb.526:                              ;   in Loop: Header=BB370_10 Depth=1
	v_and_b32_e32 v0, 7, v26
	v_ffbh_u32_e32 v0, v0
	v_min_u32_e32 v0, 32, v0
	v_subrev_nc_u32_e32 v1, 28, v0
	v_sub_nc_u32_e32 v0, 29, v0
	v_lshlrev_b64 v[28:29], v1, v[26:27]
; %bb.527:                              ;   in Loop: Header=BB370_10 Depth=1
	s_or_b32 exec_lo, exec_lo, s20
	v_lshlrev_b32_e32 v1, 20, v28
	v_lshlrev_b32_e32 v2, 24, v26
	v_lshl_add_u32 v0, v0, 23, 0x3c000000
	v_and_b32_e32 v1, 0x700000, v1
	v_and_b32_e32 v2, 0x80000000, v2
	v_or3_b32 v0, v1, v2, v0
	buffer_store_dword v0, off, s[0:3], s32 offset:436 ; 4-byte Folded Spill
.LBB370_528:                            ;   in Loop: Header=BB370_10 Depth=1
	s_or_b32 exec_lo, exec_lo, s19
.LBB370_529:                            ;   in Loop: Header=BB370_10 Depth=1
	s_or_b32 exec_lo, exec_lo, s17
.LBB370_530:                            ;   in Loop: Header=BB370_10 Depth=1
	s_or_b32 exec_lo, exec_lo, s6
	v_mov_b32_e32 v0, 0
	v_cmp_ne_u16_sdwa s5, v26, v5 src0_sel:BYTE_1 src1_sel:DWORD
	buffer_store_dword v0, off, s[0:3], s32 offset:444 ; 4-byte Folded Spill
	v_mov_b32_e32 v0, 0
	buffer_store_dword v0, off, s[0:3], s32 offset:440 ; 4-byte Folded Spill
	s_and_saveexec_b32 s6, s5
	s_cbranch_execz .LBB370_538
; %bb.531:                              ;   in Loop: Header=BB370_10 Depth=1
	v_cmp_ne_u16_sdwa s5, v26, v107 src0_sel:BYTE_1 src1_sel:DWORD
	v_bfrev_b32_e32 v0, 1
	buffer_store_dword v0, off, s[0:3], s32 offset:440 ; 4-byte Folded Spill
	s_and_saveexec_b32 s17, s5
	s_cbranch_execz .LBB370_537
; %bb.532:                              ;   in Loop: Header=BB370_10 Depth=1
	v_mov_b32_e32 v0, 0xffff
	v_mov_b32_e32 v2, 0x7f800001
	s_mov_b32 s19, exec_lo
	v_and_b32_sdwa v0, v0, v26 dst_sel:DWORD dst_unused:UNUSED_PAD src0_sel:DWORD src1_sel:BYTE_1
	buffer_store_dword v2, off, s[0:3], s32 offset:440 ; 4-byte Folded Spill
	v_and_b32_e32 v1, 0x7f, v0
	v_cmpx_ne_u32_e32 0x7f, v1
	s_cbranch_execz .LBB370_536
; %bb.533:                              ;   in Loop: Header=BB370_10 Depth=1
	v_and_b32_e32 v4, 7, v0
	v_mov_b32_e32 v29, v5
	v_lshrrev_b32_e32 v0, 3, v1
	s_mov_b32 s20, exec_lo
	v_mov_b32_e32 v28, v4
	v_cmpx_gt_u32_e32 8, v1
; %bb.534:                              ;   in Loop: Header=BB370_10 Depth=1
	v_ffbh_u32_e32 v0, v4
	v_min_u32_e32 v0, 32, v0
	v_subrev_nc_u32_e32 v1, 28, v0
	v_sub_nc_u32_e32 v0, 29, v0
	v_lshlrev_b64 v[1:2], v1, v[4:5]
	v_and_b32_e32 v28, 7, v1
; %bb.535:                              ;   in Loop: Header=BB370_10 Depth=1
	s_or_b32 exec_lo, exec_lo, s20
	v_lshlrev_b32_e32 v1, 16, v26
	v_lshlrev_b32_e32 v2, 20, v28
	v_lshl_add_u32 v0, v0, 23, 0x3c000000
	v_and_b32_e32 v1, 0x80000000, v1
	v_or3_b32 v0, v2, v1, v0
	buffer_store_dword v0, off, s[0:3], s32 offset:440 ; 4-byte Folded Spill
.LBB370_536:                            ;   in Loop: Header=BB370_10 Depth=1
	s_or_b32 exec_lo, exec_lo, s19
.LBB370_537:                            ;   in Loop: Header=BB370_10 Depth=1
	s_or_b32 exec_lo, exec_lo, s17
.LBB370_538:                            ;   in Loop: Header=BB370_10 Depth=1
	s_or_b32 exec_lo, exec_lo, s6
	v_mov_b32_e32 v0, 0xff
	s_mov_b32 s6, exec_lo
	v_and_b32_sdwa v0, v26, v0 dst_sel:DWORD dst_unused:UNUSED_PAD src0_sel:WORD_1 src1_sel:DWORD
	v_cmpx_ne_u16_e32 0, v0
	s_cbranch_execz .LBB370_546
; %bb.539:                              ;   in Loop: Header=BB370_10 Depth=1
	v_cmp_ne_u16_e64 s5, 0x80, v0
	v_bfrev_b32_e32 v0, 1
	buffer_store_dword v0, off, s[0:3], s32 offset:444 ; 4-byte Folded Spill
	s_and_saveexec_b32 s17, s5
	s_cbranch_execz .LBB370_545
; %bb.540:                              ;   in Loop: Header=BB370_10 Depth=1
	v_bfe_u32 v1, v26, 16, 7
	v_mov_b32_e32 v0, 0x7f800001
	s_mov_b32 s19, exec_lo
	buffer_store_dword v0, off, s[0:3], s32 offset:444 ; 4-byte Folded Spill
	v_cmpx_ne_u32_e32 0x7f, v1
	s_cbranch_execz .LBB370_544
; %bb.541:                              ;   in Loop: Header=BB370_10 Depth=1
	v_mov_b32_e32 v0, 7
	s_mov_b32 s20, exec_lo
	v_and_b32_sdwa v4, v26, v0 dst_sel:DWORD dst_unused:UNUSED_PAD src0_sel:WORD_1 src1_sel:DWORD
	v_mov_b32_e32 v29, v5
	v_lshrrev_b32_e32 v0, 3, v1
	v_mov_b32_e32 v28, v4
	v_cmpx_gt_u32_e32 8, v1
; %bb.542:                              ;   in Loop: Header=BB370_10 Depth=1
	v_ffbh_u32_e32 v0, v4
	v_min_u32_e32 v0, 32, v0
	v_subrev_nc_u32_e32 v1, 28, v0
	v_sub_nc_u32_e32 v0, 29, v0
	v_lshlrev_b64 v[1:2], v1, v[4:5]
	v_and_b32_e32 v28, 7, v1
; %bb.543:                              ;   in Loop: Header=BB370_10 Depth=1
	s_or_b32 exec_lo, exec_lo, s20
	v_mov_b32_e32 v1, 24
	v_lshlrev_b32_e32 v2, 20, v28
	v_lshl_add_u32 v0, v0, 23, 0x3c000000
	v_lshlrev_b32_sdwa v1, v1, v26 dst_sel:DWORD dst_unused:UNUSED_PAD src0_sel:DWORD src1_sel:WORD_1
	v_and_b32_e32 v1, 0x80000000, v1
	v_or3_b32 v0, v2, v1, v0
	buffer_store_dword v0, off, s[0:3], s32 offset:444 ; 4-byte Folded Spill
.LBB370_544:                            ;   in Loop: Header=BB370_10 Depth=1
	s_or_b32 exec_lo, exec_lo, s19
.LBB370_545:                            ;   in Loop: Header=BB370_10 Depth=1
	s_or_b32 exec_lo, exec_lo, s17
.LBB370_546:                            ;   in Loop: Header=BB370_10 Depth=1
	s_or_b32 exec_lo, exec_lo, s6
	v_mov_b32_e32 v0, 0
	s_mov_b32 s6, exec_lo
	buffer_store_dword v0, off, s[0:3], s32 offset:452 ; 4-byte Folded Spill
	v_mov_b32_e32 v0, 0
	buffer_store_dword v0, off, s[0:3], s32 offset:448 ; 4-byte Folded Spill
	v_cmpx_lt_u32_e32 0xffffff, v26
	s_cbranch_execz .LBB370_554
; %bb.547:                              ;   in Loop: Header=BB370_10 Depth=1
	v_cmp_ne_u32_sdwa s5, v26, v107 src0_sel:BYTE_3 src1_sel:DWORD
	v_bfrev_b32_e32 v0, 1
	buffer_store_dword v0, off, s[0:3], s32 offset:448 ; 4-byte Folded Spill
	s_and_saveexec_b32 s17, s5
	s_cbranch_execz .LBB370_553
; %bb.548:                              ;   in Loop: Header=BB370_10 Depth=1
	v_bfe_u32 v1, v26, 24, 7
	v_mov_b32_e32 v0, 0x7f800001
	s_mov_b32 s19, exec_lo
	buffer_store_dword v0, off, s[0:3], s32 offset:448 ; 4-byte Folded Spill
	v_cmpx_ne_u32_e32 0x7f, v1
	s_cbranch_execz .LBB370_552
; %bb.549:                              ;   in Loop: Header=BB370_10 Depth=1
	v_mov_b32_e32 v0, 7
	s_mov_b32 s20, exec_lo
	v_and_b32_sdwa v4, v26, v0 dst_sel:DWORD dst_unused:UNUSED_PAD src0_sel:BYTE_3 src1_sel:DWORD
	v_mov_b32_e32 v29, v5
	v_lshrrev_b32_e32 v0, 3, v1
	v_mov_b32_e32 v28, v4
	v_cmpx_gt_u32_e32 8, v1
; %bb.550:                              ;   in Loop: Header=BB370_10 Depth=1
	v_ffbh_u32_e32 v0, v4
	v_min_u32_e32 v0, 32, v0
	v_subrev_nc_u32_e32 v1, 28, v0
	v_sub_nc_u32_e32 v0, 29, v0
	v_lshlrev_b64 v[1:2], v1, v[4:5]
	v_and_b32_e32 v28, 7, v1
; %bb.551:                              ;   in Loop: Header=BB370_10 Depth=1
	s_or_b32 exec_lo, exec_lo, s20
	v_mov_b32_e32 v1, 24
	v_lshlrev_b32_e32 v2, 20, v28
	v_lshl_add_u32 v0, v0, 23, 0x3c000000
	v_lshlrev_b32_sdwa v1, v1, v26 dst_sel:DWORD dst_unused:UNUSED_PAD src0_sel:DWORD src1_sel:BYTE_3
	v_and_b32_e32 v1, 0x80000000, v1
	v_or3_b32 v0, v2, v1, v0
	buffer_store_dword v0, off, s[0:3], s32 offset:448 ; 4-byte Folded Spill
.LBB370_552:                            ;   in Loop: Header=BB370_10 Depth=1
	s_or_b32 exec_lo, exec_lo, s19
.LBB370_553:                            ;   in Loop: Header=BB370_10 Depth=1
	s_or_b32 exec_lo, exec_lo, s17
.LBB370_554:                            ;   in Loop: Header=BB370_10 Depth=1
	s_or_b32 exec_lo, exec_lo, s6
	v_mov_b32_e32 v4, v27
	v_cmp_ne_u16_sdwa s5, v27, v5 src0_sel:BYTE_0 src1_sel:DWORD
	s_and_saveexec_b32 s6, s5
	s_cbranch_execz .LBB370_562
; %bb.555:                              ;   in Loop: Header=BB370_10 Depth=1
	v_cmp_ne_u16_sdwa s5, v27, v107 src0_sel:BYTE_0 src1_sel:DWORD
	v_bfrev_b32_e32 v0, 1
	buffer_store_dword v0, off, s[0:3], s32 offset:452 ; 4-byte Folded Spill
	s_and_saveexec_b32 s17, s5
	s_cbranch_execz .LBB370_561
; %bb.556:                              ;   in Loop: Header=BB370_10 Depth=1
	v_and_b32_e32 v1, 0x7f, v27
	v_mov_b32_e32 v0, 0x7f800001
	s_mov_b32 s19, exec_lo
	buffer_store_dword v0, off, s[0:3], s32 offset:452 ; 4-byte Folded Spill
	v_cmpx_ne_u32_e32 0x7f, v1
	s_cbranch_execz .LBB370_560
; %bb.557:                              ;   in Loop: Header=BB370_10 Depth=1
	v_mov_b32_e32 v29, v5
	v_lshrrev_b32_e32 v0, 3, v1
	v_mov_b32_e32 v28, v4
	s_mov_b32 s20, exec_lo
	v_cmpx_gt_u32_e32 8, v1
; %bb.558:                              ;   in Loop: Header=BB370_10 Depth=1
	v_and_b32_e32 v0, 7, v27
	v_ffbh_u32_e32 v0, v0
	v_min_u32_e32 v0, 32, v0
	v_subrev_nc_u32_e32 v1, 28, v0
	v_sub_nc_u32_e32 v0, 29, v0
	v_lshlrev_b64 v[28:29], v1, v[4:5]
; %bb.559:                              ;   in Loop: Header=BB370_10 Depth=1
	s_or_b32 exec_lo, exec_lo, s20
	v_lshlrev_b32_e32 v1, 20, v28
	v_lshlrev_b32_e32 v2, 24, v4
	v_lshl_add_u32 v0, v0, 23, 0x3c000000
	v_and_b32_e32 v1, 0x700000, v1
	v_and_b32_e32 v2, 0x80000000, v2
	v_or3_b32 v0, v1, v2, v0
	buffer_store_dword v0, off, s[0:3], s32 offset:452 ; 4-byte Folded Spill
.LBB370_560:                            ;   in Loop: Header=BB370_10 Depth=1
	s_or_b32 exec_lo, exec_lo, s19
.LBB370_561:                            ;   in Loop: Header=BB370_10 Depth=1
	s_or_b32 exec_lo, exec_lo, s17
.LBB370_562:                            ;   in Loop: Header=BB370_10 Depth=1
	s_or_b32 exec_lo, exec_lo, s6
	v_mov_b32_e32 v0, 0
	v_cmp_ne_u16_sdwa s5, v4, v5 src0_sel:BYTE_1 src1_sel:DWORD
	buffer_store_dword v0, off, s[0:3], s32 offset:456 ; 4-byte Folded Spill
	v_mov_b32_e32 v0, 0
	buffer_store_dword v0, off, s[0:3], s32 offset:460 ; 4-byte Folded Spill
	s_and_saveexec_b32 s6, s5
	s_cbranch_execz .LBB370_570
; %bb.563:                              ;   in Loop: Header=BB370_10 Depth=1
	v_cmp_ne_u16_sdwa s5, v4, v107 src0_sel:BYTE_1 src1_sel:DWORD
	v_bfrev_b32_e32 v0, 1
	buffer_store_dword v0, off, s[0:3], s32 offset:460 ; 4-byte Folded Spill
	s_and_saveexec_b32 s17, s5
	s_cbranch_execz .LBB370_569
; %bb.564:                              ;   in Loop: Header=BB370_10 Depth=1
	v_mov_b32_e32 v0, 0xffff
	v_mov_b32_e32 v2, 0x7f800001
	s_mov_b32 s19, exec_lo
	v_and_b32_sdwa v0, v0, v4 dst_sel:DWORD dst_unused:UNUSED_PAD src0_sel:DWORD src1_sel:BYTE_1
	buffer_store_dword v2, off, s[0:3], s32 offset:460 ; 4-byte Folded Spill
	v_and_b32_e32 v1, 0x7f, v0
	v_cmpx_ne_u32_e32 0x7f, v1
	s_cbranch_execz .LBB370_568
; %bb.565:                              ;   in Loop: Header=BB370_10 Depth=1
	v_and_b32_e32 v28, 7, v0
	v_mov_b32_e32 v29, v5
	v_lshrrev_b32_e32 v0, 3, v1
	s_mov_b32 s20, exec_lo
	v_cmpx_gt_u32_e32 8, v1
; %bb.566:                              ;   in Loop: Header=BB370_10 Depth=1
	v_ffbh_u32_e32 v0, v28
	v_min_u32_e32 v0, 32, v0
	v_subrev_nc_u32_e32 v1, 28, v0
	v_sub_nc_u32_e32 v0, 29, v0
	v_lshlrev_b64 v[1:2], v1, v[28:29]
	v_and_b32_e32 v28, 7, v1
; %bb.567:                              ;   in Loop: Header=BB370_10 Depth=1
	s_or_b32 exec_lo, exec_lo, s20
	v_lshlrev_b32_e32 v1, 16, v4
	v_lshlrev_b32_e32 v2, 20, v28
	v_lshl_add_u32 v0, v0, 23, 0x3c000000
	v_and_b32_e32 v1, 0x80000000, v1
	v_or3_b32 v0, v2, v1, v0
	buffer_store_dword v0, off, s[0:3], s32 offset:460 ; 4-byte Folded Spill
.LBB370_568:                            ;   in Loop: Header=BB370_10 Depth=1
	s_or_b32 exec_lo, exec_lo, s19
.LBB370_569:                            ;   in Loop: Header=BB370_10 Depth=1
	s_or_b32 exec_lo, exec_lo, s17
.LBB370_570:                            ;   in Loop: Header=BB370_10 Depth=1
	s_or_b32 exec_lo, exec_lo, s6
	v_mov_b32_e32 v0, 0xff
	s_mov_b32 s6, exec_lo
	v_and_b32_sdwa v0, v27, v0 dst_sel:DWORD dst_unused:UNUSED_PAD src0_sel:WORD_1 src1_sel:DWORD
	v_cmpx_ne_u16_e32 0, v0
	s_cbranch_execz .LBB370_578
; %bb.571:                              ;   in Loop: Header=BB370_10 Depth=1
	v_cmp_ne_u16_e64 s5, 0x80, v0
	v_bfrev_b32_e32 v0, 1
	buffer_store_dword v0, off, s[0:3], s32 offset:456 ; 4-byte Folded Spill
	s_and_saveexec_b32 s17, s5
	s_cbranch_execz .LBB370_577
; %bb.572:                              ;   in Loop: Header=BB370_10 Depth=1
	v_bfe_u32 v1, v27, 16, 7
	v_mov_b32_e32 v0, 0x7f800001
	s_mov_b32 s19, exec_lo
	buffer_store_dword v0, off, s[0:3], s32 offset:456 ; 4-byte Folded Spill
	v_cmpx_ne_u32_e32 0x7f, v1
	s_cbranch_execz .LBB370_576
; %bb.573:                              ;   in Loop: Header=BB370_10 Depth=1
	v_mov_b32_e32 v0, 7
	s_mov_b32 s20, exec_lo
	v_and_b32_sdwa v4, v27, v0 dst_sel:DWORD dst_unused:UNUSED_PAD src0_sel:WORD_1 src1_sel:DWORD
	v_mov_b32_e32 v29, v5
	v_lshrrev_b32_e32 v0, 3, v1
	v_mov_b32_e32 v28, v4
	v_cmpx_gt_u32_e32 8, v1
; %bb.574:                              ;   in Loop: Header=BB370_10 Depth=1
	v_ffbh_u32_e32 v0, v4
	v_min_u32_e32 v0, 32, v0
	v_subrev_nc_u32_e32 v1, 28, v0
	v_sub_nc_u32_e32 v0, 29, v0
	v_lshlrev_b64 v[1:2], v1, v[4:5]
	v_and_b32_e32 v28, 7, v1
; %bb.575:                              ;   in Loop: Header=BB370_10 Depth=1
	s_or_b32 exec_lo, exec_lo, s20
	v_mov_b32_e32 v1, 24
	v_lshlrev_b32_e32 v2, 20, v28
	v_lshl_add_u32 v0, v0, 23, 0x3c000000
	v_lshlrev_b32_sdwa v1, v1, v27 dst_sel:DWORD dst_unused:UNUSED_PAD src0_sel:DWORD src1_sel:WORD_1
	v_and_b32_e32 v1, 0x80000000, v1
	v_or3_b32 v0, v2, v1, v0
	buffer_store_dword v0, off, s[0:3], s32 offset:456 ; 4-byte Folded Spill
.LBB370_576:                            ;   in Loop: Header=BB370_10 Depth=1
	s_or_b32 exec_lo, exec_lo, s19
.LBB370_577:                            ;   in Loop: Header=BB370_10 Depth=1
	s_or_b32 exec_lo, exec_lo, s17
.LBB370_578:                            ;   in Loop: Header=BB370_10 Depth=1
	s_or_b32 exec_lo, exec_lo, s6
	v_mov_b32_e32 v0, 0
	s_mov_b32 s6, exec_lo
	buffer_store_dword v0, off, s[0:3], s32 offset:468 ; 4-byte Folded Spill
	v_mov_b32_e32 v0, 0
	buffer_store_dword v0, off, s[0:3], s32 offset:464 ; 4-byte Folded Spill
	v_cmpx_lt_u64_e64 s[8:9], v[26:27]
	s_cbranch_execz .LBB370_586
; %bb.579:                              ;   in Loop: Header=BB370_10 Depth=1
	v_cmp_ne_u32_sdwa s5, v27, v107 src0_sel:BYTE_3 src1_sel:DWORD
	v_bfrev_b32_e32 v0, 1
	buffer_store_dword v0, off, s[0:3], s32 offset:464 ; 4-byte Folded Spill
	s_and_saveexec_b32 s17, s5
	s_cbranch_execz .LBB370_585
; %bb.580:                              ;   in Loop: Header=BB370_10 Depth=1
	v_bfe_u32 v1, v27, 24, 7
	v_mov_b32_e32 v0, 0x7f800001
	s_mov_b32 s19, exec_lo
	buffer_store_dword v0, off, s[0:3], s32 offset:464 ; 4-byte Folded Spill
	v_cmpx_ne_u32_e32 0x7f, v1
	s_cbranch_execz .LBB370_584
; %bb.581:                              ;   in Loop: Header=BB370_10 Depth=1
	v_mov_b32_e32 v0, 7
	s_mov_b32 s20, exec_lo
	v_and_b32_sdwa v4, v27, v0 dst_sel:DWORD dst_unused:UNUSED_PAD src0_sel:BYTE_3 src1_sel:DWORD
	v_mov_b32_e32 v29, v5
	v_lshrrev_b32_e32 v0, 3, v1
	v_mov_b32_e32 v28, v4
	v_cmpx_gt_u32_e32 8, v1
; %bb.582:                              ;   in Loop: Header=BB370_10 Depth=1
	v_ffbh_u32_e32 v0, v4
	v_min_u32_e32 v0, 32, v0
	v_subrev_nc_u32_e32 v1, 28, v0
	v_sub_nc_u32_e32 v0, 29, v0
	v_lshlrev_b64 v[1:2], v1, v[4:5]
	v_and_b32_e32 v28, 7, v1
; %bb.583:                              ;   in Loop: Header=BB370_10 Depth=1
	s_or_b32 exec_lo, exec_lo, s20
	v_mov_b32_e32 v1, 24
	v_lshlrev_b32_e32 v2, 20, v28
	v_lshl_add_u32 v0, v0, 23, 0x3c000000
	v_lshlrev_b32_sdwa v1, v1, v27 dst_sel:DWORD dst_unused:UNUSED_PAD src0_sel:DWORD src1_sel:BYTE_3
	v_and_b32_e32 v1, 0x80000000, v1
	v_or3_b32 v0, v2, v1, v0
	buffer_store_dword v0, off, s[0:3], s32 offset:464 ; 4-byte Folded Spill
.LBB370_584:                            ;   in Loop: Header=BB370_10 Depth=1
	s_or_b32 exec_lo, exec_lo, s19
.LBB370_585:                            ;   in Loop: Header=BB370_10 Depth=1
	s_or_b32 exec_lo, exec_lo, s17
.LBB370_586:                            ;   in Loop: Header=BB370_10 Depth=1
	s_or_b32 exec_lo, exec_lo, s6
	flat_load_dwordx2 v[26:27], v[24:25] offset:8
	s_waitcnt vmcnt(0) lgkmcnt(0)
	v_cmp_ne_u16_sdwa s5, v26, v5 src0_sel:BYTE_0 src1_sel:DWORD
	s_and_saveexec_b32 s6, s5
	s_cbranch_execz .LBB370_594
; %bb.587:                              ;   in Loop: Header=BB370_10 Depth=1
	v_cmp_ne_u16_sdwa s5, v26, v107 src0_sel:BYTE_0 src1_sel:DWORD
	v_bfrev_b32_e32 v0, 1
	buffer_store_dword v0, off, s[0:3], s32 offset:468 ; 4-byte Folded Spill
	s_and_saveexec_b32 s17, s5
	s_cbranch_execz .LBB370_593
; %bb.588:                              ;   in Loop: Header=BB370_10 Depth=1
	v_and_b32_e32 v1, 0x7f, v26
	v_mov_b32_e32 v0, 0x7f800001
	s_mov_b32 s19, exec_lo
	buffer_store_dword v0, off, s[0:3], s32 offset:468 ; 4-byte Folded Spill
	v_cmpx_ne_u32_e32 0x7f, v1
	s_cbranch_execz .LBB370_592
; %bb.589:                              ;   in Loop: Header=BB370_10 Depth=1
	v_mov_b32_e32 v29, v27
	v_lshrrev_b32_e32 v0, 3, v1
	v_mov_b32_e32 v28, v26
	s_mov_b32 s20, exec_lo
	v_cmpx_gt_u32_e32 8, v1
; %bb.590:                              ;   in Loop: Header=BB370_10 Depth=1
	v_and_b32_e32 v0, 7, v26
	v_ffbh_u32_e32 v0, v0
	v_min_u32_e32 v0, 32, v0
	v_subrev_nc_u32_e32 v1, 28, v0
	v_sub_nc_u32_e32 v0, 29, v0
	v_lshlrev_b64 v[28:29], v1, v[26:27]
; %bb.591:                              ;   in Loop: Header=BB370_10 Depth=1
	s_or_b32 exec_lo, exec_lo, s20
	v_lshlrev_b32_e32 v1, 20, v28
	v_lshlrev_b32_e32 v2, 24, v26
	v_lshl_add_u32 v0, v0, 23, 0x3c000000
	v_and_b32_e32 v1, 0x700000, v1
	v_and_b32_e32 v2, 0x80000000, v2
	v_or3_b32 v0, v1, v2, v0
	buffer_store_dword v0, off, s[0:3], s32 offset:468 ; 4-byte Folded Spill
.LBB370_592:                            ;   in Loop: Header=BB370_10 Depth=1
	s_or_b32 exec_lo, exec_lo, s19
.LBB370_593:                            ;   in Loop: Header=BB370_10 Depth=1
	s_or_b32 exec_lo, exec_lo, s17
.LBB370_594:                            ;   in Loop: Header=BB370_10 Depth=1
	s_or_b32 exec_lo, exec_lo, s6
	v_mov_b32_e32 v0, 0
	v_cmp_ne_u16_sdwa s5, v26, v5 src0_sel:BYTE_1 src1_sel:DWORD
	buffer_store_dword v0, off, s[0:3], s32 offset:476 ; 4-byte Folded Spill
	v_mov_b32_e32 v0, 0
	buffer_store_dword v0, off, s[0:3], s32 offset:472 ; 4-byte Folded Spill
	s_and_saveexec_b32 s6, s5
	s_cbranch_execz .LBB370_602
; %bb.595:                              ;   in Loop: Header=BB370_10 Depth=1
	v_cmp_ne_u16_sdwa s5, v26, v107 src0_sel:BYTE_1 src1_sel:DWORD
	v_bfrev_b32_e32 v0, 1
	buffer_store_dword v0, off, s[0:3], s32 offset:472 ; 4-byte Folded Spill
	s_and_saveexec_b32 s17, s5
	s_cbranch_execz .LBB370_601
; %bb.596:                              ;   in Loop: Header=BB370_10 Depth=1
	v_mov_b32_e32 v0, 0xffff
	v_mov_b32_e32 v2, 0x7f800001
	s_mov_b32 s19, exec_lo
	v_and_b32_sdwa v0, v0, v26 dst_sel:DWORD dst_unused:UNUSED_PAD src0_sel:DWORD src1_sel:BYTE_1
	buffer_store_dword v2, off, s[0:3], s32 offset:472 ; 4-byte Folded Spill
	v_and_b32_e32 v1, 0x7f, v0
	v_cmpx_ne_u32_e32 0x7f, v1
	s_cbranch_execz .LBB370_600
; %bb.597:                              ;   in Loop: Header=BB370_10 Depth=1
	v_and_b32_e32 v4, 7, v0
	v_mov_b32_e32 v29, v5
	v_lshrrev_b32_e32 v0, 3, v1
	s_mov_b32 s20, exec_lo
	v_mov_b32_e32 v28, v4
	v_cmpx_gt_u32_e32 8, v1
; %bb.598:                              ;   in Loop: Header=BB370_10 Depth=1
	v_ffbh_u32_e32 v0, v4
	v_min_u32_e32 v0, 32, v0
	v_subrev_nc_u32_e32 v1, 28, v0
	v_sub_nc_u32_e32 v0, 29, v0
	v_lshlrev_b64 v[1:2], v1, v[4:5]
	v_and_b32_e32 v28, 7, v1
; %bb.599:                              ;   in Loop: Header=BB370_10 Depth=1
	s_or_b32 exec_lo, exec_lo, s20
	v_lshlrev_b32_e32 v1, 16, v26
	v_lshlrev_b32_e32 v2, 20, v28
	v_lshl_add_u32 v0, v0, 23, 0x3c000000
	v_and_b32_e32 v1, 0x80000000, v1
	v_or3_b32 v0, v2, v1, v0
	buffer_store_dword v0, off, s[0:3], s32 offset:472 ; 4-byte Folded Spill
.LBB370_600:                            ;   in Loop: Header=BB370_10 Depth=1
	s_or_b32 exec_lo, exec_lo, s19
.LBB370_601:                            ;   in Loop: Header=BB370_10 Depth=1
	s_or_b32 exec_lo, exec_lo, s17
.LBB370_602:                            ;   in Loop: Header=BB370_10 Depth=1
	s_or_b32 exec_lo, exec_lo, s6
	v_mov_b32_e32 v0, 0xff
	s_mov_b32 s6, exec_lo
	v_and_b32_sdwa v0, v26, v0 dst_sel:DWORD dst_unused:UNUSED_PAD src0_sel:WORD_1 src1_sel:DWORD
	v_cmpx_ne_u16_e32 0, v0
	s_cbranch_execz .LBB370_610
; %bb.603:                              ;   in Loop: Header=BB370_10 Depth=1
	v_cmp_ne_u16_e64 s5, 0x80, v0
	v_bfrev_b32_e32 v0, 1
	buffer_store_dword v0, off, s[0:3], s32 offset:476 ; 4-byte Folded Spill
	s_and_saveexec_b32 s17, s5
	s_cbranch_execz .LBB370_609
; %bb.604:                              ;   in Loop: Header=BB370_10 Depth=1
	v_bfe_u32 v1, v26, 16, 7
	v_mov_b32_e32 v0, 0x7f800001
	s_mov_b32 s19, exec_lo
	buffer_store_dword v0, off, s[0:3], s32 offset:476 ; 4-byte Folded Spill
	v_cmpx_ne_u32_e32 0x7f, v1
	s_cbranch_execz .LBB370_608
; %bb.605:                              ;   in Loop: Header=BB370_10 Depth=1
	v_mov_b32_e32 v0, 7
	s_mov_b32 s20, exec_lo
	v_and_b32_sdwa v4, v26, v0 dst_sel:DWORD dst_unused:UNUSED_PAD src0_sel:WORD_1 src1_sel:DWORD
	v_mov_b32_e32 v29, v5
	v_lshrrev_b32_e32 v0, 3, v1
	v_mov_b32_e32 v28, v4
	v_cmpx_gt_u32_e32 8, v1
; %bb.606:                              ;   in Loop: Header=BB370_10 Depth=1
	v_ffbh_u32_e32 v0, v4
	v_min_u32_e32 v0, 32, v0
	v_subrev_nc_u32_e32 v1, 28, v0
	v_sub_nc_u32_e32 v0, 29, v0
	v_lshlrev_b64 v[1:2], v1, v[4:5]
	v_and_b32_e32 v28, 7, v1
; %bb.607:                              ;   in Loop: Header=BB370_10 Depth=1
	s_or_b32 exec_lo, exec_lo, s20
	v_mov_b32_e32 v1, 24
	v_lshlrev_b32_e32 v2, 20, v28
	v_lshl_add_u32 v0, v0, 23, 0x3c000000
	v_lshlrev_b32_sdwa v1, v1, v26 dst_sel:DWORD dst_unused:UNUSED_PAD src0_sel:DWORD src1_sel:WORD_1
	v_and_b32_e32 v1, 0x80000000, v1
	v_or3_b32 v0, v2, v1, v0
	buffer_store_dword v0, off, s[0:3], s32 offset:476 ; 4-byte Folded Spill
.LBB370_608:                            ;   in Loop: Header=BB370_10 Depth=1
	s_or_b32 exec_lo, exec_lo, s19
.LBB370_609:                            ;   in Loop: Header=BB370_10 Depth=1
	s_or_b32 exec_lo, exec_lo, s17
.LBB370_610:                            ;   in Loop: Header=BB370_10 Depth=1
	s_or_b32 exec_lo, exec_lo, s6
	v_mov_b32_e32 v0, 0
	s_mov_b32 s6, exec_lo
	buffer_store_dword v0, off, s[0:3], s32 offset:484 ; 4-byte Folded Spill
	v_mov_b32_e32 v0, 0
	buffer_store_dword v0, off, s[0:3], s32 offset:480 ; 4-byte Folded Spill
	v_cmpx_lt_u32_e32 0xffffff, v26
	s_cbranch_execz .LBB370_618
; %bb.611:                              ;   in Loop: Header=BB370_10 Depth=1
	v_cmp_ne_u32_sdwa s5, v26, v107 src0_sel:BYTE_3 src1_sel:DWORD
	v_bfrev_b32_e32 v0, 1
	buffer_store_dword v0, off, s[0:3], s32 offset:480 ; 4-byte Folded Spill
	s_and_saveexec_b32 s17, s5
	s_cbranch_execz .LBB370_617
; %bb.612:                              ;   in Loop: Header=BB370_10 Depth=1
	v_bfe_u32 v1, v26, 24, 7
	v_mov_b32_e32 v0, 0x7f800001
	s_mov_b32 s19, exec_lo
	buffer_store_dword v0, off, s[0:3], s32 offset:480 ; 4-byte Folded Spill
	v_cmpx_ne_u32_e32 0x7f, v1
	s_cbranch_execz .LBB370_616
; %bb.613:                              ;   in Loop: Header=BB370_10 Depth=1
	v_mov_b32_e32 v0, 7
	s_mov_b32 s20, exec_lo
	v_and_b32_sdwa v4, v26, v0 dst_sel:DWORD dst_unused:UNUSED_PAD src0_sel:BYTE_3 src1_sel:DWORD
	v_mov_b32_e32 v29, v5
	v_lshrrev_b32_e32 v0, 3, v1
	v_mov_b32_e32 v28, v4
	v_cmpx_gt_u32_e32 8, v1
; %bb.614:                              ;   in Loop: Header=BB370_10 Depth=1
	v_ffbh_u32_e32 v0, v4
	v_min_u32_e32 v0, 32, v0
	v_subrev_nc_u32_e32 v1, 28, v0
	v_sub_nc_u32_e32 v0, 29, v0
	v_lshlrev_b64 v[1:2], v1, v[4:5]
	v_and_b32_e32 v28, 7, v1
; %bb.615:                              ;   in Loop: Header=BB370_10 Depth=1
	s_or_b32 exec_lo, exec_lo, s20
	v_mov_b32_e32 v1, 24
	v_lshlrev_b32_e32 v2, 20, v28
	v_lshl_add_u32 v0, v0, 23, 0x3c000000
	v_lshlrev_b32_sdwa v1, v1, v26 dst_sel:DWORD dst_unused:UNUSED_PAD src0_sel:DWORD src1_sel:BYTE_3
	v_and_b32_e32 v1, 0x80000000, v1
	v_or3_b32 v0, v2, v1, v0
	buffer_store_dword v0, off, s[0:3], s32 offset:480 ; 4-byte Folded Spill
.LBB370_616:                            ;   in Loop: Header=BB370_10 Depth=1
	s_or_b32 exec_lo, exec_lo, s19
.LBB370_617:                            ;   in Loop: Header=BB370_10 Depth=1
	s_or_b32 exec_lo, exec_lo, s17
.LBB370_618:                            ;   in Loop: Header=BB370_10 Depth=1
	s_or_b32 exec_lo, exec_lo, s6
	v_mov_b32_e32 v4, v27
	v_cmp_ne_u16_sdwa s5, v27, v5 src0_sel:BYTE_0 src1_sel:DWORD
	s_and_saveexec_b32 s6, s5
	s_cbranch_execz .LBB370_626
; %bb.619:                              ;   in Loop: Header=BB370_10 Depth=1
	v_cmp_ne_u16_sdwa s5, v27, v107 src0_sel:BYTE_0 src1_sel:DWORD
	v_bfrev_b32_e32 v0, 1
	buffer_store_dword v0, off, s[0:3], s32 offset:484 ; 4-byte Folded Spill
	s_and_saveexec_b32 s17, s5
	s_cbranch_execz .LBB370_625
; %bb.620:                              ;   in Loop: Header=BB370_10 Depth=1
	v_and_b32_e32 v1, 0x7f, v27
	v_mov_b32_e32 v0, 0x7f800001
	s_mov_b32 s19, exec_lo
	buffer_store_dword v0, off, s[0:3], s32 offset:484 ; 4-byte Folded Spill
	v_cmpx_ne_u32_e32 0x7f, v1
	s_cbranch_execz .LBB370_624
; %bb.621:                              ;   in Loop: Header=BB370_10 Depth=1
	v_mov_b32_e32 v29, v5
	v_lshrrev_b32_e32 v0, 3, v1
	v_mov_b32_e32 v28, v4
	s_mov_b32 s20, exec_lo
	v_cmpx_gt_u32_e32 8, v1
; %bb.622:                              ;   in Loop: Header=BB370_10 Depth=1
	v_and_b32_e32 v0, 7, v27
	v_ffbh_u32_e32 v0, v0
	v_min_u32_e32 v0, 32, v0
	v_subrev_nc_u32_e32 v1, 28, v0
	v_sub_nc_u32_e32 v0, 29, v0
	v_lshlrev_b64 v[28:29], v1, v[4:5]
; %bb.623:                              ;   in Loop: Header=BB370_10 Depth=1
	s_or_b32 exec_lo, exec_lo, s20
	v_lshlrev_b32_e32 v1, 20, v28
	v_lshlrev_b32_e32 v2, 24, v4
	v_lshl_add_u32 v0, v0, 23, 0x3c000000
	v_and_b32_e32 v1, 0x700000, v1
	v_and_b32_e32 v2, 0x80000000, v2
	v_or3_b32 v0, v1, v2, v0
	buffer_store_dword v0, off, s[0:3], s32 offset:484 ; 4-byte Folded Spill
.LBB370_624:                            ;   in Loop: Header=BB370_10 Depth=1
	s_or_b32 exec_lo, exec_lo, s19
.LBB370_625:                            ;   in Loop: Header=BB370_10 Depth=1
	s_or_b32 exec_lo, exec_lo, s17
.LBB370_626:                            ;   in Loop: Header=BB370_10 Depth=1
	s_or_b32 exec_lo, exec_lo, s6
	v_mov_b32_e32 v0, 0
	v_cmp_ne_u16_sdwa s5, v4, v5 src0_sel:BYTE_1 src1_sel:DWORD
	buffer_store_dword v0, off, s[0:3], s32 offset:488 ; 4-byte Folded Spill
	v_mov_b32_e32 v0, 0
	buffer_store_dword v0, off, s[0:3], s32 offset:492 ; 4-byte Folded Spill
	s_and_saveexec_b32 s6, s5
	s_cbranch_execz .LBB370_634
; %bb.627:                              ;   in Loop: Header=BB370_10 Depth=1
	v_cmp_ne_u16_sdwa s5, v4, v107 src0_sel:BYTE_1 src1_sel:DWORD
	v_bfrev_b32_e32 v0, 1
	buffer_store_dword v0, off, s[0:3], s32 offset:492 ; 4-byte Folded Spill
	s_and_saveexec_b32 s17, s5
	s_cbranch_execz .LBB370_633
; %bb.628:                              ;   in Loop: Header=BB370_10 Depth=1
	v_mov_b32_e32 v0, 0xffff
	v_mov_b32_e32 v2, 0x7f800001
	s_mov_b32 s19, exec_lo
	v_and_b32_sdwa v0, v0, v4 dst_sel:DWORD dst_unused:UNUSED_PAD src0_sel:DWORD src1_sel:BYTE_1
	buffer_store_dword v2, off, s[0:3], s32 offset:492 ; 4-byte Folded Spill
	v_and_b32_e32 v1, 0x7f, v0
	v_cmpx_ne_u32_e32 0x7f, v1
	s_cbranch_execz .LBB370_632
; %bb.629:                              ;   in Loop: Header=BB370_10 Depth=1
	v_and_b32_e32 v28, 7, v0
	v_mov_b32_e32 v29, v5
	v_lshrrev_b32_e32 v0, 3, v1
	s_mov_b32 s20, exec_lo
	v_cmpx_gt_u32_e32 8, v1
; %bb.630:                              ;   in Loop: Header=BB370_10 Depth=1
	v_ffbh_u32_e32 v0, v28
	v_min_u32_e32 v0, 32, v0
	v_subrev_nc_u32_e32 v1, 28, v0
	v_sub_nc_u32_e32 v0, 29, v0
	v_lshlrev_b64 v[1:2], v1, v[28:29]
	v_and_b32_e32 v28, 7, v1
; %bb.631:                              ;   in Loop: Header=BB370_10 Depth=1
	s_or_b32 exec_lo, exec_lo, s20
	v_lshlrev_b32_e32 v1, 16, v4
	v_lshlrev_b32_e32 v2, 20, v28
	v_lshl_add_u32 v0, v0, 23, 0x3c000000
	v_and_b32_e32 v1, 0x80000000, v1
	v_or3_b32 v0, v2, v1, v0
	buffer_store_dword v0, off, s[0:3], s32 offset:492 ; 4-byte Folded Spill
.LBB370_632:                            ;   in Loop: Header=BB370_10 Depth=1
	s_or_b32 exec_lo, exec_lo, s19
.LBB370_633:                            ;   in Loop: Header=BB370_10 Depth=1
	s_or_b32 exec_lo, exec_lo, s17
.LBB370_634:                            ;   in Loop: Header=BB370_10 Depth=1
	s_or_b32 exec_lo, exec_lo, s6
	v_mov_b32_e32 v0, 0xff
	s_mov_b32 s6, exec_lo
	v_and_b32_sdwa v0, v27, v0 dst_sel:DWORD dst_unused:UNUSED_PAD src0_sel:WORD_1 src1_sel:DWORD
	v_cmpx_ne_u16_e32 0, v0
	s_cbranch_execz .LBB370_642
; %bb.635:                              ;   in Loop: Header=BB370_10 Depth=1
	v_cmp_ne_u16_e64 s5, 0x80, v0
	v_bfrev_b32_e32 v0, 1
	buffer_store_dword v0, off, s[0:3], s32 offset:488 ; 4-byte Folded Spill
	s_and_saveexec_b32 s17, s5
	s_cbranch_execz .LBB370_641
; %bb.636:                              ;   in Loop: Header=BB370_10 Depth=1
	v_bfe_u32 v1, v27, 16, 7
	v_mov_b32_e32 v0, 0x7f800001
	s_mov_b32 s19, exec_lo
	buffer_store_dword v0, off, s[0:3], s32 offset:488 ; 4-byte Folded Spill
	v_cmpx_ne_u32_e32 0x7f, v1
	s_cbranch_execz .LBB370_640
; %bb.637:                              ;   in Loop: Header=BB370_10 Depth=1
	v_mov_b32_e32 v0, 7
	s_mov_b32 s20, exec_lo
	v_and_b32_sdwa v4, v27, v0 dst_sel:DWORD dst_unused:UNUSED_PAD src0_sel:WORD_1 src1_sel:DWORD
	v_mov_b32_e32 v29, v5
	v_lshrrev_b32_e32 v0, 3, v1
	v_mov_b32_e32 v28, v4
	v_cmpx_gt_u32_e32 8, v1
; %bb.638:                              ;   in Loop: Header=BB370_10 Depth=1
	v_ffbh_u32_e32 v0, v4
	v_min_u32_e32 v0, 32, v0
	v_subrev_nc_u32_e32 v1, 28, v0
	v_sub_nc_u32_e32 v0, 29, v0
	v_lshlrev_b64 v[1:2], v1, v[4:5]
	v_and_b32_e32 v28, 7, v1
; %bb.639:                              ;   in Loop: Header=BB370_10 Depth=1
	s_or_b32 exec_lo, exec_lo, s20
	v_mov_b32_e32 v1, 24
	v_lshlrev_b32_e32 v2, 20, v28
	v_lshl_add_u32 v0, v0, 23, 0x3c000000
	v_lshlrev_b32_sdwa v1, v1, v27 dst_sel:DWORD dst_unused:UNUSED_PAD src0_sel:DWORD src1_sel:WORD_1
	v_and_b32_e32 v1, 0x80000000, v1
	v_or3_b32 v0, v2, v1, v0
	buffer_store_dword v0, off, s[0:3], s32 offset:488 ; 4-byte Folded Spill
.LBB370_640:                            ;   in Loop: Header=BB370_10 Depth=1
	s_or_b32 exec_lo, exec_lo, s19
.LBB370_641:                            ;   in Loop: Header=BB370_10 Depth=1
	s_or_b32 exec_lo, exec_lo, s17
.LBB370_642:                            ;   in Loop: Header=BB370_10 Depth=1
	s_or_b32 exec_lo, exec_lo, s6
	v_mov_b32_e32 v0, 0
	s_mov_b32 s6, exec_lo
	buffer_store_dword v0, off, s[0:3], s32 offset:500 ; 4-byte Folded Spill
	v_mov_b32_e32 v0, 0
	buffer_store_dword v0, off, s[0:3], s32 offset:496 ; 4-byte Folded Spill
	v_cmpx_lt_u64_e64 s[8:9], v[26:27]
	s_cbranch_execz .LBB370_650
; %bb.643:                              ;   in Loop: Header=BB370_10 Depth=1
	v_cmp_ne_u32_sdwa s5, v27, v107 src0_sel:BYTE_3 src1_sel:DWORD
	v_bfrev_b32_e32 v0, 1
	buffer_store_dword v0, off, s[0:3], s32 offset:496 ; 4-byte Folded Spill
	s_and_saveexec_b32 s17, s5
	s_cbranch_execz .LBB370_649
; %bb.644:                              ;   in Loop: Header=BB370_10 Depth=1
	v_bfe_u32 v1, v27, 24, 7
	v_mov_b32_e32 v0, 0x7f800001
	s_mov_b32 s19, exec_lo
	buffer_store_dword v0, off, s[0:3], s32 offset:496 ; 4-byte Folded Spill
	v_cmpx_ne_u32_e32 0x7f, v1
	s_cbranch_execz .LBB370_648
; %bb.645:                              ;   in Loop: Header=BB370_10 Depth=1
	v_mov_b32_e32 v0, 7
	s_mov_b32 s20, exec_lo
	v_and_b32_sdwa v4, v27, v0 dst_sel:DWORD dst_unused:UNUSED_PAD src0_sel:BYTE_3 src1_sel:DWORD
	v_mov_b32_e32 v29, v5
	v_lshrrev_b32_e32 v0, 3, v1
	v_mov_b32_e32 v28, v4
	v_cmpx_gt_u32_e32 8, v1
; %bb.646:                              ;   in Loop: Header=BB370_10 Depth=1
	v_ffbh_u32_e32 v0, v4
	v_min_u32_e32 v0, 32, v0
	v_subrev_nc_u32_e32 v1, 28, v0
	v_sub_nc_u32_e32 v0, 29, v0
	v_lshlrev_b64 v[1:2], v1, v[4:5]
	v_and_b32_e32 v28, 7, v1
; %bb.647:                              ;   in Loop: Header=BB370_10 Depth=1
	s_or_b32 exec_lo, exec_lo, s20
	v_mov_b32_e32 v1, 24
	v_lshlrev_b32_e32 v2, 20, v28
	v_lshl_add_u32 v0, v0, 23, 0x3c000000
	v_lshlrev_b32_sdwa v1, v1, v27 dst_sel:DWORD dst_unused:UNUSED_PAD src0_sel:DWORD src1_sel:BYTE_3
	v_and_b32_e32 v1, 0x80000000, v1
	v_or3_b32 v0, v2, v1, v0
	buffer_store_dword v0, off, s[0:3], s32 offset:496 ; 4-byte Folded Spill
.LBB370_648:                            ;   in Loop: Header=BB370_10 Depth=1
	s_or_b32 exec_lo, exec_lo, s19
.LBB370_649:                            ;   in Loop: Header=BB370_10 Depth=1
	s_or_b32 exec_lo, exec_lo, s17
.LBB370_650:                            ;   in Loop: Header=BB370_10 Depth=1
	s_or_b32 exec_lo, exec_lo, s6
	flat_load_dwordx2 v[26:27], v[24:25] offset:512
	s_waitcnt vmcnt(0) lgkmcnt(0)
	v_cmp_ne_u16_sdwa s5, v26, v5 src0_sel:BYTE_0 src1_sel:DWORD
	s_and_saveexec_b32 s6, s5
	s_cbranch_execz .LBB370_658
; %bb.651:                              ;   in Loop: Header=BB370_10 Depth=1
	v_cmp_ne_u16_sdwa s5, v26, v107 src0_sel:BYTE_0 src1_sel:DWORD
	v_bfrev_b32_e32 v0, 1
	buffer_store_dword v0, off, s[0:3], s32 offset:500 ; 4-byte Folded Spill
	s_and_saveexec_b32 s17, s5
	s_cbranch_execz .LBB370_657
; %bb.652:                              ;   in Loop: Header=BB370_10 Depth=1
	v_and_b32_e32 v1, 0x7f, v26
	v_mov_b32_e32 v0, 0x7f800001
	s_mov_b32 s19, exec_lo
	buffer_store_dword v0, off, s[0:3], s32 offset:500 ; 4-byte Folded Spill
	v_cmpx_ne_u32_e32 0x7f, v1
	s_cbranch_execz .LBB370_656
; %bb.653:                              ;   in Loop: Header=BB370_10 Depth=1
	v_mov_b32_e32 v29, v27
	v_lshrrev_b32_e32 v0, 3, v1
	v_mov_b32_e32 v28, v26
	s_mov_b32 s20, exec_lo
	v_cmpx_gt_u32_e32 8, v1
; %bb.654:                              ;   in Loop: Header=BB370_10 Depth=1
	v_and_b32_e32 v0, 7, v26
	v_ffbh_u32_e32 v0, v0
	v_min_u32_e32 v0, 32, v0
	v_subrev_nc_u32_e32 v1, 28, v0
	v_sub_nc_u32_e32 v0, 29, v0
	v_lshlrev_b64 v[28:29], v1, v[26:27]
; %bb.655:                              ;   in Loop: Header=BB370_10 Depth=1
	s_or_b32 exec_lo, exec_lo, s20
	v_lshlrev_b32_e32 v1, 20, v28
	v_lshlrev_b32_e32 v2, 24, v26
	v_lshl_add_u32 v0, v0, 23, 0x3c000000
	v_and_b32_e32 v1, 0x700000, v1
	v_and_b32_e32 v2, 0x80000000, v2
	v_or3_b32 v0, v1, v2, v0
	buffer_store_dword v0, off, s[0:3], s32 offset:500 ; 4-byte Folded Spill
.LBB370_656:                            ;   in Loop: Header=BB370_10 Depth=1
	s_or_b32 exec_lo, exec_lo, s19
.LBB370_657:                            ;   in Loop: Header=BB370_10 Depth=1
	s_or_b32 exec_lo, exec_lo, s17
.LBB370_658:                            ;   in Loop: Header=BB370_10 Depth=1
	s_or_b32 exec_lo, exec_lo, s6
	v_cmp_ne_u16_sdwa s5, v26, v5 src0_sel:BYTE_1 src1_sel:DWORD
	v_mov_b32_e32 v63, 0
	v_mov_b32_e32 v0, 0
	buffer_store_dword v0, off, s[0:3], s32 offset:504 ; 4-byte Folded Spill
	s_and_saveexec_b32 s6, s5
	s_cbranch_execz .LBB370_666
; %bb.659:                              ;   in Loop: Header=BB370_10 Depth=1
	v_cmp_ne_u16_sdwa s5, v26, v107 src0_sel:BYTE_1 src1_sel:DWORD
	v_bfrev_b32_e32 v0, 1
	buffer_store_dword v0, off, s[0:3], s32 offset:504 ; 4-byte Folded Spill
	s_and_saveexec_b32 s17, s5
	s_cbranch_execz .LBB370_665
; %bb.660:                              ;   in Loop: Header=BB370_10 Depth=1
	v_mov_b32_e32 v0, 0xffff
	v_mov_b32_e32 v2, 0x7f800001
	s_mov_b32 s19, exec_lo
	v_and_b32_sdwa v0, v0, v26 dst_sel:DWORD dst_unused:UNUSED_PAD src0_sel:DWORD src1_sel:BYTE_1
	buffer_store_dword v2, off, s[0:3], s32 offset:504 ; 4-byte Folded Spill
	v_and_b32_e32 v1, 0x7f, v0
	v_cmpx_ne_u32_e32 0x7f, v1
	s_cbranch_execz .LBB370_664
; %bb.661:                              ;   in Loop: Header=BB370_10 Depth=1
	v_and_b32_e32 v4, 7, v0
	v_mov_b32_e32 v29, v5
	v_lshrrev_b32_e32 v0, 3, v1
	s_mov_b32 s20, exec_lo
	v_mov_b32_e32 v28, v4
	v_cmpx_gt_u32_e32 8, v1
; %bb.662:                              ;   in Loop: Header=BB370_10 Depth=1
	v_ffbh_u32_e32 v0, v4
	v_min_u32_e32 v0, 32, v0
	v_subrev_nc_u32_e32 v1, 28, v0
	v_sub_nc_u32_e32 v0, 29, v0
	v_lshlrev_b64 v[1:2], v1, v[4:5]
	v_and_b32_e32 v28, 7, v1
; %bb.663:                              ;   in Loop: Header=BB370_10 Depth=1
	s_or_b32 exec_lo, exec_lo, s20
	v_lshlrev_b32_e32 v1, 16, v26
	v_lshlrev_b32_e32 v2, 20, v28
	v_lshl_add_u32 v0, v0, 23, 0x3c000000
	v_and_b32_e32 v1, 0x80000000, v1
	v_or3_b32 v0, v2, v1, v0
	buffer_store_dword v0, off, s[0:3], s32 offset:504 ; 4-byte Folded Spill
.LBB370_664:                            ;   in Loop: Header=BB370_10 Depth=1
	s_or_b32 exec_lo, exec_lo, s19
.LBB370_665:                            ;   in Loop: Header=BB370_10 Depth=1
	s_or_b32 exec_lo, exec_lo, s17
.LBB370_666:                            ;   in Loop: Header=BB370_10 Depth=1
	s_or_b32 exec_lo, exec_lo, s6
	v_mov_b32_e32 v0, 0xff
	s_mov_b32 s6, exec_lo
	v_and_b32_sdwa v0, v26, v0 dst_sel:DWORD dst_unused:UNUSED_PAD src0_sel:WORD_1 src1_sel:DWORD
	v_cmpx_ne_u16_e32 0, v0
	s_cbranch_execz .LBB370_674
; %bb.667:                              ;   in Loop: Header=BB370_10 Depth=1
	v_bfrev_b32_e32 v63, 1
	s_mov_b32 s17, exec_lo
	v_cmpx_ne_u16_e32 0x80, v0
	s_cbranch_execz .LBB370_673
; %bb.668:                              ;   in Loop: Header=BB370_10 Depth=1
	v_bfe_u32 v1, v26, 16, 7
	v_mov_b32_e32 v63, 0x7f800001
	s_mov_b32 s19, exec_lo
	v_cmpx_ne_u32_e32 0x7f, v1
	s_cbranch_execz .LBB370_672
; %bb.669:                              ;   in Loop: Header=BB370_10 Depth=1
	v_mov_b32_e32 v0, 7
	s_mov_b32 s20, exec_lo
	v_and_b32_sdwa v4, v26, v0 dst_sel:DWORD dst_unused:UNUSED_PAD src0_sel:WORD_1 src1_sel:DWORD
	v_mov_b32_e32 v29, v5
	v_lshrrev_b32_e32 v0, 3, v1
	v_mov_b32_e32 v28, v4
	v_cmpx_gt_u32_e32 8, v1
; %bb.670:                              ;   in Loop: Header=BB370_10 Depth=1
	v_ffbh_u32_e32 v0, v4
	v_min_u32_e32 v0, 32, v0
	v_subrev_nc_u32_e32 v1, 28, v0
	v_sub_nc_u32_e32 v0, 29, v0
	v_lshlrev_b64 v[1:2], v1, v[4:5]
	v_and_b32_e32 v28, 7, v1
; %bb.671:                              ;   in Loop: Header=BB370_10 Depth=1
	s_or_b32 exec_lo, exec_lo, s20
	v_mov_b32_e32 v1, 24
	v_lshlrev_b32_e32 v2, 20, v28
	v_lshl_add_u32 v0, v0, 23, 0x3c000000
	v_lshlrev_b32_sdwa v1, v1, v26 dst_sel:DWORD dst_unused:UNUSED_PAD src0_sel:DWORD src1_sel:WORD_1
	v_and_b32_e32 v1, 0x80000000, v1
	v_or3_b32 v63, v2, v1, v0
.LBB370_672:                            ;   in Loop: Header=BB370_10 Depth=1
	s_or_b32 exec_lo, exec_lo, s19
.LBB370_673:                            ;   in Loop: Header=BB370_10 Depth=1
	s_or_b32 exec_lo, exec_lo, s17
.LBB370_674:                            ;   in Loop: Header=BB370_10 Depth=1
	s_or_b32 exec_lo, exec_lo, s6
	v_mov_b32_e32 v73, 0
	v_mov_b32_e32 v72, 0
	s_mov_b32 s6, exec_lo
	v_cmpx_lt_u32_e32 0xffffff, v26
	s_cbranch_execz .LBB370_682
; %bb.675:                              ;   in Loop: Header=BB370_10 Depth=1
	v_cmp_ne_u32_sdwa s5, v26, v107 src0_sel:BYTE_3 src1_sel:DWORD
	v_bfrev_b32_e32 v72, 1
	s_and_saveexec_b32 s17, s5
	s_cbranch_execz .LBB370_681
; %bb.676:                              ;   in Loop: Header=BB370_10 Depth=1
	v_bfe_u32 v1, v26, 24, 7
	v_mov_b32_e32 v72, 0x7f800001
	s_mov_b32 s19, exec_lo
	v_cmpx_ne_u32_e32 0x7f, v1
	s_cbranch_execz .LBB370_680
; %bb.677:                              ;   in Loop: Header=BB370_10 Depth=1
	v_mov_b32_e32 v0, 7
	s_mov_b32 s20, exec_lo
	v_and_b32_sdwa v4, v26, v0 dst_sel:DWORD dst_unused:UNUSED_PAD src0_sel:BYTE_3 src1_sel:DWORD
	v_mov_b32_e32 v29, v5
	v_lshrrev_b32_e32 v0, 3, v1
	v_mov_b32_e32 v28, v4
	v_cmpx_gt_u32_e32 8, v1
; %bb.678:                              ;   in Loop: Header=BB370_10 Depth=1
	v_ffbh_u32_e32 v0, v4
	v_min_u32_e32 v0, 32, v0
	v_subrev_nc_u32_e32 v1, 28, v0
	v_sub_nc_u32_e32 v0, 29, v0
	v_lshlrev_b64 v[1:2], v1, v[4:5]
	v_and_b32_e32 v28, 7, v1
; %bb.679:                              ;   in Loop: Header=BB370_10 Depth=1
	s_or_b32 exec_lo, exec_lo, s20
	v_mov_b32_e32 v1, 24
	v_lshlrev_b32_e32 v2, 20, v28
	v_lshl_add_u32 v0, v0, 23, 0x3c000000
	v_lshlrev_b32_sdwa v1, v1, v26 dst_sel:DWORD dst_unused:UNUSED_PAD src0_sel:DWORD src1_sel:BYTE_3
	v_and_b32_e32 v1, 0x80000000, v1
	v_or3_b32 v72, v2, v1, v0
.LBB370_680:                            ;   in Loop: Header=BB370_10 Depth=1
	s_or_b32 exec_lo, exec_lo, s19
.LBB370_681:                            ;   in Loop: Header=BB370_10 Depth=1
	s_or_b32 exec_lo, exec_lo, s17
.LBB370_682:                            ;   in Loop: Header=BB370_10 Depth=1
	s_or_b32 exec_lo, exec_lo, s6
	v_mov_b32_e32 v4, v27
	v_cmp_ne_u16_sdwa s5, v27, v5 src0_sel:BYTE_0 src1_sel:DWORD
	s_and_saveexec_b32 s6, s5
	s_cbranch_execz .LBB370_690
; %bb.683:                              ;   in Loop: Header=BB370_10 Depth=1
	v_cmp_ne_u16_sdwa s5, v27, v107 src0_sel:BYTE_0 src1_sel:DWORD
	v_bfrev_b32_e32 v73, 1
	s_and_saveexec_b32 s17, s5
	s_cbranch_execz .LBB370_689
; %bb.684:                              ;   in Loop: Header=BB370_10 Depth=1
	v_and_b32_e32 v1, 0x7f, v27
	v_mov_b32_e32 v73, 0x7f800001
	s_mov_b32 s19, exec_lo
	v_cmpx_ne_u32_e32 0x7f, v1
	s_cbranch_execz .LBB370_688
; %bb.685:                              ;   in Loop: Header=BB370_10 Depth=1
	v_mov_b32_e32 v29, v5
	v_lshrrev_b32_e32 v0, 3, v1
	v_mov_b32_e32 v28, v4
	s_mov_b32 s20, exec_lo
	v_cmpx_gt_u32_e32 8, v1
; %bb.686:                              ;   in Loop: Header=BB370_10 Depth=1
	v_and_b32_e32 v0, 7, v27
	v_ffbh_u32_e32 v0, v0
	v_min_u32_e32 v0, 32, v0
	v_subrev_nc_u32_e32 v1, 28, v0
	v_sub_nc_u32_e32 v0, 29, v0
	v_lshlrev_b64 v[28:29], v1, v[4:5]
; %bb.687:                              ;   in Loop: Header=BB370_10 Depth=1
	s_or_b32 exec_lo, exec_lo, s20
	v_lshlrev_b32_e32 v1, 20, v28
	v_lshlrev_b32_e32 v2, 24, v4
	v_lshl_add_u32 v0, v0, 23, 0x3c000000
	v_and_b32_e32 v1, 0x700000, v1
	v_and_b32_e32 v2, 0x80000000, v2
	v_or3_b32 v73, v1, v2, v0
.LBB370_688:                            ;   in Loop: Header=BB370_10 Depth=1
	s_or_b32 exec_lo, exec_lo, s19
.LBB370_689:                            ;   in Loop: Header=BB370_10 Depth=1
	s_or_b32 exec_lo, exec_lo, s17
.LBB370_690:                            ;   in Loop: Header=BB370_10 Depth=1
	s_or_b32 exec_lo, exec_lo, s6
	v_cmp_ne_u16_sdwa s5, v4, v5 src0_sel:BYTE_1 src1_sel:DWORD
	v_mov_b32_e32 v74, 0
	v_mov_b32_e32 v75, 0
	s_and_saveexec_b32 s6, s5
	s_cbranch_execz .LBB370_698
; %bb.691:                              ;   in Loop: Header=BB370_10 Depth=1
	v_cmp_ne_u16_sdwa s5, v4, v107 src0_sel:BYTE_1 src1_sel:DWORD
	v_bfrev_b32_e32 v75, 1
	s_and_saveexec_b32 s17, s5
	s_cbranch_execz .LBB370_697
; %bb.692:                              ;   in Loop: Header=BB370_10 Depth=1
	v_mov_b32_e32 v0, 0xffff
	v_mov_b32_e32 v75, 0x7f800001
	s_mov_b32 s19, exec_lo
	v_and_b32_sdwa v0, v0, v4 dst_sel:DWORD dst_unused:UNUSED_PAD src0_sel:DWORD src1_sel:BYTE_1
	v_and_b32_e32 v1, 0x7f, v0
	v_cmpx_ne_u32_e32 0x7f, v1
	s_cbranch_execz .LBB370_696
; %bb.693:                              ;   in Loop: Header=BB370_10 Depth=1
	v_and_b32_e32 v28, 7, v0
	v_mov_b32_e32 v29, v5
	v_lshrrev_b32_e32 v0, 3, v1
	s_mov_b32 s20, exec_lo
	v_cmpx_gt_u32_e32 8, v1
; %bb.694:                              ;   in Loop: Header=BB370_10 Depth=1
	v_ffbh_u32_e32 v0, v28
	v_min_u32_e32 v0, 32, v0
	v_subrev_nc_u32_e32 v1, 28, v0
	v_sub_nc_u32_e32 v0, 29, v0
	v_lshlrev_b64 v[1:2], v1, v[28:29]
	v_and_b32_e32 v28, 7, v1
; %bb.695:                              ;   in Loop: Header=BB370_10 Depth=1
	s_or_b32 exec_lo, exec_lo, s20
	v_lshlrev_b32_e32 v1, 16, v4
	v_lshlrev_b32_e32 v2, 20, v28
	v_lshl_add_u32 v0, v0, 23, 0x3c000000
	v_and_b32_e32 v1, 0x80000000, v1
	v_or3_b32 v75, v2, v1, v0
.LBB370_696:                            ;   in Loop: Header=BB370_10 Depth=1
	s_or_b32 exec_lo, exec_lo, s19
.LBB370_697:                            ;   in Loop: Header=BB370_10 Depth=1
	s_or_b32 exec_lo, exec_lo, s17
.LBB370_698:                            ;   in Loop: Header=BB370_10 Depth=1
	s_or_b32 exec_lo, exec_lo, s6
	v_mov_b32_e32 v0, 0xff
	s_mov_b32 s6, exec_lo
	v_and_b32_sdwa v0, v27, v0 dst_sel:DWORD dst_unused:UNUSED_PAD src0_sel:WORD_1 src1_sel:DWORD
	v_cmpx_ne_u16_e32 0, v0
	s_cbranch_execz .LBB370_706
; %bb.699:                              ;   in Loop: Header=BB370_10 Depth=1
	v_bfrev_b32_e32 v74, 1
	s_mov_b32 s17, exec_lo
	v_cmpx_ne_u16_e32 0x80, v0
	s_cbranch_execz .LBB370_705
; %bb.700:                              ;   in Loop: Header=BB370_10 Depth=1
	v_bfe_u32 v1, v27, 16, 7
	v_mov_b32_e32 v74, 0x7f800001
	s_mov_b32 s19, exec_lo
	v_cmpx_ne_u32_e32 0x7f, v1
	s_cbranch_execz .LBB370_704
; %bb.701:                              ;   in Loop: Header=BB370_10 Depth=1
	v_mov_b32_e32 v0, 7
	s_mov_b32 s20, exec_lo
	v_and_b32_sdwa v4, v27, v0 dst_sel:DWORD dst_unused:UNUSED_PAD src0_sel:WORD_1 src1_sel:DWORD
	v_mov_b32_e32 v29, v5
	v_lshrrev_b32_e32 v0, 3, v1
	v_mov_b32_e32 v28, v4
	v_cmpx_gt_u32_e32 8, v1
; %bb.702:                              ;   in Loop: Header=BB370_10 Depth=1
	v_ffbh_u32_e32 v0, v4
	v_min_u32_e32 v0, 32, v0
	v_subrev_nc_u32_e32 v1, 28, v0
	v_sub_nc_u32_e32 v0, 29, v0
	v_lshlrev_b64 v[1:2], v1, v[4:5]
	v_and_b32_e32 v28, 7, v1
; %bb.703:                              ;   in Loop: Header=BB370_10 Depth=1
	s_or_b32 exec_lo, exec_lo, s20
	v_mov_b32_e32 v1, 24
	v_lshlrev_b32_e32 v2, 20, v28
	v_lshl_add_u32 v0, v0, 23, 0x3c000000
	v_lshlrev_b32_sdwa v1, v1, v27 dst_sel:DWORD dst_unused:UNUSED_PAD src0_sel:DWORD src1_sel:WORD_1
	v_and_b32_e32 v1, 0x80000000, v1
	v_or3_b32 v74, v2, v1, v0
.LBB370_704:                            ;   in Loop: Header=BB370_10 Depth=1
	s_or_b32 exec_lo, exec_lo, s19
.LBB370_705:                            ;   in Loop: Header=BB370_10 Depth=1
	s_or_b32 exec_lo, exec_lo, s17
.LBB370_706:                            ;   in Loop: Header=BB370_10 Depth=1
	s_or_b32 exec_lo, exec_lo, s6
	v_mov_b32_e32 v77, 0
	v_mov_b32_e32 v76, 0
	s_mov_b32 s6, exec_lo
	v_cmpx_lt_u64_e64 s[8:9], v[26:27]
	s_cbranch_execz .LBB370_714
; %bb.707:                              ;   in Loop: Header=BB370_10 Depth=1
	v_cmp_ne_u32_sdwa s5, v27, v107 src0_sel:BYTE_3 src1_sel:DWORD
	v_bfrev_b32_e32 v76, 1
	s_and_saveexec_b32 s17, s5
	s_cbranch_execz .LBB370_713
; %bb.708:                              ;   in Loop: Header=BB370_10 Depth=1
	v_bfe_u32 v1, v27, 24, 7
	v_mov_b32_e32 v76, 0x7f800001
	s_mov_b32 s19, exec_lo
	v_cmpx_ne_u32_e32 0x7f, v1
	s_cbranch_execz .LBB370_712
; %bb.709:                              ;   in Loop: Header=BB370_10 Depth=1
	v_mov_b32_e32 v0, 7
	s_mov_b32 s20, exec_lo
	v_and_b32_sdwa v4, v27, v0 dst_sel:DWORD dst_unused:UNUSED_PAD src0_sel:BYTE_3 src1_sel:DWORD
	v_mov_b32_e32 v29, v5
	v_lshrrev_b32_e32 v0, 3, v1
	v_mov_b32_e32 v28, v4
	v_cmpx_gt_u32_e32 8, v1
; %bb.710:                              ;   in Loop: Header=BB370_10 Depth=1
	v_ffbh_u32_e32 v0, v4
	v_min_u32_e32 v0, 32, v0
	v_subrev_nc_u32_e32 v1, 28, v0
	v_sub_nc_u32_e32 v0, 29, v0
	v_lshlrev_b64 v[1:2], v1, v[4:5]
	v_and_b32_e32 v28, 7, v1
; %bb.711:                              ;   in Loop: Header=BB370_10 Depth=1
	s_or_b32 exec_lo, exec_lo, s20
	v_mov_b32_e32 v1, 24
	v_lshlrev_b32_e32 v2, 20, v28
	v_lshl_add_u32 v0, v0, 23, 0x3c000000
	v_lshlrev_b32_sdwa v1, v1, v27 dst_sel:DWORD dst_unused:UNUSED_PAD src0_sel:DWORD src1_sel:BYTE_3
	v_and_b32_e32 v1, 0x80000000, v1
	v_or3_b32 v76, v2, v1, v0
.LBB370_712:                            ;   in Loop: Header=BB370_10 Depth=1
	s_or_b32 exec_lo, exec_lo, s19
.LBB370_713:                            ;   in Loop: Header=BB370_10 Depth=1
	s_or_b32 exec_lo, exec_lo, s17
.LBB370_714:                            ;   in Loop: Header=BB370_10 Depth=1
	s_or_b32 exec_lo, exec_lo, s6
	flat_load_dwordx2 v[26:27], v[24:25] offset:520
	s_waitcnt vmcnt(0) lgkmcnt(0)
	v_cmp_ne_u16_sdwa s5, v26, v5 src0_sel:BYTE_0 src1_sel:DWORD
	s_and_saveexec_b32 s6, s5
	s_cbranch_execz .LBB370_722
; %bb.715:                              ;   in Loop: Header=BB370_10 Depth=1
	v_cmp_ne_u16_sdwa s5, v26, v107 src0_sel:BYTE_0 src1_sel:DWORD
	v_bfrev_b32_e32 v77, 1
	s_and_saveexec_b32 s17, s5
	s_cbranch_execz .LBB370_721
; %bb.716:                              ;   in Loop: Header=BB370_10 Depth=1
	v_and_b32_e32 v1, 0x7f, v26
	v_mov_b32_e32 v77, 0x7f800001
	s_mov_b32 s19, exec_lo
	v_cmpx_ne_u32_e32 0x7f, v1
	s_cbranch_execz .LBB370_720
; %bb.717:                              ;   in Loop: Header=BB370_10 Depth=1
	v_mov_b32_e32 v29, v27
	v_lshrrev_b32_e32 v0, 3, v1
	v_mov_b32_e32 v28, v26
	s_mov_b32 s20, exec_lo
	v_cmpx_gt_u32_e32 8, v1
; %bb.718:                              ;   in Loop: Header=BB370_10 Depth=1
	v_and_b32_e32 v0, 7, v26
	v_ffbh_u32_e32 v0, v0
	v_min_u32_e32 v0, 32, v0
	v_subrev_nc_u32_e32 v1, 28, v0
	v_sub_nc_u32_e32 v0, 29, v0
	v_lshlrev_b64 v[28:29], v1, v[26:27]
; %bb.719:                              ;   in Loop: Header=BB370_10 Depth=1
	s_or_b32 exec_lo, exec_lo, s20
	v_lshlrev_b32_e32 v1, 20, v28
	v_lshlrev_b32_e32 v2, 24, v26
	v_lshl_add_u32 v0, v0, 23, 0x3c000000
	v_and_b32_e32 v1, 0x700000, v1
	v_and_b32_e32 v2, 0x80000000, v2
	v_or3_b32 v77, v1, v2, v0
.LBB370_720:                            ;   in Loop: Header=BB370_10 Depth=1
	s_or_b32 exec_lo, exec_lo, s19
.LBB370_721:                            ;   in Loop: Header=BB370_10 Depth=1
	s_or_b32 exec_lo, exec_lo, s17
.LBB370_722:                            ;   in Loop: Header=BB370_10 Depth=1
	s_or_b32 exec_lo, exec_lo, s6
	v_cmp_ne_u16_sdwa s5, v26, v5 src0_sel:BYTE_1 src1_sel:DWORD
	v_mov_b32_e32 v9, 0
	v_mov_b32_e32 v78, 0
	s_and_saveexec_b32 s6, s5
	s_cbranch_execz .LBB370_730
; %bb.723:                              ;   in Loop: Header=BB370_10 Depth=1
	v_cmp_ne_u16_sdwa s5, v26, v107 src0_sel:BYTE_1 src1_sel:DWORD
	v_bfrev_b32_e32 v78, 1
	s_and_saveexec_b32 s17, s5
	s_cbranch_execz .LBB370_729
; %bb.724:                              ;   in Loop: Header=BB370_10 Depth=1
	v_mov_b32_e32 v0, 0xffff
	v_mov_b32_e32 v78, 0x7f800001
	s_mov_b32 s19, exec_lo
	v_and_b32_sdwa v0, v0, v26 dst_sel:DWORD dst_unused:UNUSED_PAD src0_sel:DWORD src1_sel:BYTE_1
	v_and_b32_e32 v1, 0x7f, v0
	v_cmpx_ne_u32_e32 0x7f, v1
	s_cbranch_execz .LBB370_728
; %bb.725:                              ;   in Loop: Header=BB370_10 Depth=1
	v_and_b32_e32 v4, 7, v0
	v_mov_b32_e32 v29, v5
	v_lshrrev_b32_e32 v0, 3, v1
	s_mov_b32 s20, exec_lo
	v_mov_b32_e32 v28, v4
	v_cmpx_gt_u32_e32 8, v1
; %bb.726:                              ;   in Loop: Header=BB370_10 Depth=1
	v_ffbh_u32_e32 v0, v4
	v_min_u32_e32 v0, 32, v0
	v_subrev_nc_u32_e32 v1, 28, v0
	v_sub_nc_u32_e32 v0, 29, v0
	v_lshlrev_b64 v[1:2], v1, v[4:5]
	v_and_b32_e32 v28, 7, v1
; %bb.727:                              ;   in Loop: Header=BB370_10 Depth=1
	s_or_b32 exec_lo, exec_lo, s20
	v_lshlrev_b32_e32 v1, 16, v26
	v_lshlrev_b32_e32 v2, 20, v28
	v_lshl_add_u32 v0, v0, 23, 0x3c000000
	v_and_b32_e32 v1, 0x80000000, v1
	v_or3_b32 v78, v2, v1, v0
.LBB370_728:                            ;   in Loop: Header=BB370_10 Depth=1
	s_or_b32 exec_lo, exec_lo, s19
.LBB370_729:                            ;   in Loop: Header=BB370_10 Depth=1
	s_or_b32 exec_lo, exec_lo, s17
.LBB370_730:                            ;   in Loop: Header=BB370_10 Depth=1
	s_or_b32 exec_lo, exec_lo, s6
	v_mov_b32_e32 v0, 0xff
	s_mov_b32 s6, exec_lo
	v_and_b32_sdwa v0, v26, v0 dst_sel:DWORD dst_unused:UNUSED_PAD src0_sel:WORD_1 src1_sel:DWORD
	v_cmpx_ne_u16_e32 0, v0
	s_cbranch_execz .LBB370_738
; %bb.731:                              ;   in Loop: Header=BB370_10 Depth=1
	v_bfrev_b32_e32 v9, 1
	s_mov_b32 s17, exec_lo
	v_cmpx_ne_u16_e32 0x80, v0
	s_cbranch_execz .LBB370_737
; %bb.732:                              ;   in Loop: Header=BB370_10 Depth=1
	v_bfe_u32 v1, v26, 16, 7
	v_mov_b32_e32 v9, 0x7f800001
	s_mov_b32 s19, exec_lo
	v_cmpx_ne_u32_e32 0x7f, v1
	s_cbranch_execz .LBB370_736
; %bb.733:                              ;   in Loop: Header=BB370_10 Depth=1
	v_mov_b32_e32 v0, 7
	s_mov_b32 s20, exec_lo
	v_and_b32_sdwa v4, v26, v0 dst_sel:DWORD dst_unused:UNUSED_PAD src0_sel:WORD_1 src1_sel:DWORD
	v_mov_b32_e32 v29, v5
	v_lshrrev_b32_e32 v0, 3, v1
	v_mov_b32_e32 v28, v4
	v_cmpx_gt_u32_e32 8, v1
; %bb.734:                              ;   in Loop: Header=BB370_10 Depth=1
	v_ffbh_u32_e32 v0, v4
	v_min_u32_e32 v0, 32, v0
	v_subrev_nc_u32_e32 v1, 28, v0
	v_sub_nc_u32_e32 v0, 29, v0
	v_lshlrev_b64 v[1:2], v1, v[4:5]
	v_and_b32_e32 v28, 7, v1
; %bb.735:                              ;   in Loop: Header=BB370_10 Depth=1
	s_or_b32 exec_lo, exec_lo, s20
	v_mov_b32_e32 v1, 24
	v_lshlrev_b32_e32 v2, 20, v28
	v_lshl_add_u32 v0, v0, 23, 0x3c000000
	v_lshlrev_b32_sdwa v1, v1, v26 dst_sel:DWORD dst_unused:UNUSED_PAD src0_sel:DWORD src1_sel:WORD_1
	v_and_b32_e32 v1, 0x80000000, v1
	v_or3_b32 v9, v2, v1, v0
.LBB370_736:                            ;   in Loop: Header=BB370_10 Depth=1
	s_or_b32 exec_lo, exec_lo, s19
.LBB370_737:                            ;   in Loop: Header=BB370_10 Depth=1
	s_or_b32 exec_lo, exec_lo, s17
.LBB370_738:                            ;   in Loop: Header=BB370_10 Depth=1
	s_or_b32 exec_lo, exec_lo, s6
	v_mov_b32_e32 v12, 0
	v_mov_b32_e32 v79, 0
	s_mov_b32 s6, exec_lo
	v_cmpx_lt_u32_e32 0xffffff, v26
	s_cbranch_execz .LBB370_746
; %bb.739:                              ;   in Loop: Header=BB370_10 Depth=1
	v_cmp_ne_u32_sdwa s5, v26, v107 src0_sel:BYTE_3 src1_sel:DWORD
	v_bfrev_b32_e32 v79, 1
	s_and_saveexec_b32 s17, s5
	s_cbranch_execz .LBB370_745
; %bb.740:                              ;   in Loop: Header=BB370_10 Depth=1
	v_bfe_u32 v1, v26, 24, 7
	v_mov_b32_e32 v79, 0x7f800001
	s_mov_b32 s19, exec_lo
	v_cmpx_ne_u32_e32 0x7f, v1
	s_cbranch_execz .LBB370_744
; %bb.741:                              ;   in Loop: Header=BB370_10 Depth=1
	v_mov_b32_e32 v0, 7
	s_mov_b32 s20, exec_lo
	v_and_b32_sdwa v4, v26, v0 dst_sel:DWORD dst_unused:UNUSED_PAD src0_sel:BYTE_3 src1_sel:DWORD
	v_mov_b32_e32 v29, v5
	v_lshrrev_b32_e32 v0, 3, v1
	v_mov_b32_e32 v28, v4
	v_cmpx_gt_u32_e32 8, v1
; %bb.742:                              ;   in Loop: Header=BB370_10 Depth=1
	v_ffbh_u32_e32 v0, v4
	v_min_u32_e32 v0, 32, v0
	v_subrev_nc_u32_e32 v1, 28, v0
	v_sub_nc_u32_e32 v0, 29, v0
	v_lshlrev_b64 v[1:2], v1, v[4:5]
	v_and_b32_e32 v28, 7, v1
; %bb.743:                              ;   in Loop: Header=BB370_10 Depth=1
	s_or_b32 exec_lo, exec_lo, s20
	v_mov_b32_e32 v1, 24
	v_lshlrev_b32_e32 v2, 20, v28
	v_lshl_add_u32 v0, v0, 23, 0x3c000000
	v_lshlrev_b32_sdwa v1, v1, v26 dst_sel:DWORD dst_unused:UNUSED_PAD src0_sel:DWORD src1_sel:BYTE_3
	v_and_b32_e32 v1, 0x80000000, v1
	v_or3_b32 v79, v2, v1, v0
.LBB370_744:                            ;   in Loop: Header=BB370_10 Depth=1
	s_or_b32 exec_lo, exec_lo, s19
.LBB370_745:                            ;   in Loop: Header=BB370_10 Depth=1
	s_or_b32 exec_lo, exec_lo, s17
.LBB370_746:                            ;   in Loop: Header=BB370_10 Depth=1
	s_or_b32 exec_lo, exec_lo, s6
	v_mov_b32_e32 v4, v27
	v_cmp_ne_u16_sdwa s5, v27, v5 src0_sel:BYTE_0 src1_sel:DWORD
	s_and_saveexec_b32 s6, s5
	s_cbranch_execz .LBB370_754
; %bb.747:                              ;   in Loop: Header=BB370_10 Depth=1
	v_cmp_ne_u16_sdwa s5, v27, v107 src0_sel:BYTE_0 src1_sel:DWORD
	v_bfrev_b32_e32 v12, 1
	s_and_saveexec_b32 s17, s5
	s_cbranch_execz .LBB370_753
; %bb.748:                              ;   in Loop: Header=BB370_10 Depth=1
	v_and_b32_e32 v1, 0x7f, v27
	v_mov_b32_e32 v12, 0x7f800001
	s_mov_b32 s19, exec_lo
	v_cmpx_ne_u32_e32 0x7f, v1
	s_cbranch_execz .LBB370_752
; %bb.749:                              ;   in Loop: Header=BB370_10 Depth=1
	v_mov_b32_e32 v29, v5
	v_lshrrev_b32_e32 v0, 3, v1
	v_mov_b32_e32 v28, v4
	s_mov_b32 s20, exec_lo
	v_cmpx_gt_u32_e32 8, v1
; %bb.750:                              ;   in Loop: Header=BB370_10 Depth=1
	v_and_b32_e32 v0, 7, v27
	v_ffbh_u32_e32 v0, v0
	v_min_u32_e32 v0, 32, v0
	v_subrev_nc_u32_e32 v1, 28, v0
	v_sub_nc_u32_e32 v0, 29, v0
	v_lshlrev_b64 v[28:29], v1, v[4:5]
; %bb.751:                              ;   in Loop: Header=BB370_10 Depth=1
	s_or_b32 exec_lo, exec_lo, s20
	v_lshlrev_b32_e32 v1, 20, v28
	v_lshlrev_b32_e32 v2, 24, v4
	v_lshl_add_u32 v0, v0, 23, 0x3c000000
	v_and_b32_e32 v1, 0x700000, v1
	v_and_b32_e32 v2, 0x80000000, v2
	v_or3_b32 v12, v1, v2, v0
.LBB370_752:                            ;   in Loop: Header=BB370_10 Depth=1
	s_or_b32 exec_lo, exec_lo, s19
.LBB370_753:                            ;   in Loop: Header=BB370_10 Depth=1
	s_or_b32 exec_lo, exec_lo, s17
.LBB370_754:                            ;   in Loop: Header=BB370_10 Depth=1
	s_or_b32 exec_lo, exec_lo, s6
	v_cmp_ne_u16_sdwa s5, v4, v5 src0_sel:BYTE_1 src1_sel:DWORD
	v_mov_b32_e32 v13, 0
	v_mov_b32_e32 v124, 0
	s_and_saveexec_b32 s6, s5
	s_cbranch_execz .LBB370_762
; %bb.755:                              ;   in Loop: Header=BB370_10 Depth=1
	v_cmp_ne_u16_sdwa s5, v4, v107 src0_sel:BYTE_1 src1_sel:DWORD
	v_bfrev_b32_e32 v124, 1
	s_and_saveexec_b32 s17, s5
	s_cbranch_execz .LBB370_761
; %bb.756:                              ;   in Loop: Header=BB370_10 Depth=1
	v_mov_b32_e32 v0, 0xffff
	v_mov_b32_e32 v124, 0x7f800001
	s_mov_b32 s19, exec_lo
	v_and_b32_sdwa v0, v0, v4 dst_sel:DWORD dst_unused:UNUSED_PAD src0_sel:DWORD src1_sel:BYTE_1
	v_and_b32_e32 v1, 0x7f, v0
	v_cmpx_ne_u32_e32 0x7f, v1
	s_cbranch_execz .LBB370_760
; %bb.757:                              ;   in Loop: Header=BB370_10 Depth=1
	v_and_b32_e32 v28, 7, v0
	v_mov_b32_e32 v29, v5
	v_lshrrev_b32_e32 v0, 3, v1
	s_mov_b32 s20, exec_lo
	v_cmpx_gt_u32_e32 8, v1
; %bb.758:                              ;   in Loop: Header=BB370_10 Depth=1
	v_ffbh_u32_e32 v0, v28
	v_min_u32_e32 v0, 32, v0
	v_subrev_nc_u32_e32 v1, 28, v0
	v_sub_nc_u32_e32 v0, 29, v0
	v_lshlrev_b64 v[1:2], v1, v[28:29]
	v_and_b32_e32 v28, 7, v1
; %bb.759:                              ;   in Loop: Header=BB370_10 Depth=1
	s_or_b32 exec_lo, exec_lo, s20
	v_lshlrev_b32_e32 v1, 16, v4
	v_lshlrev_b32_e32 v2, 20, v28
	v_lshl_add_u32 v0, v0, 23, 0x3c000000
	v_and_b32_e32 v1, 0x80000000, v1
	v_or3_b32 v124, v2, v1, v0
.LBB370_760:                            ;   in Loop: Header=BB370_10 Depth=1
	s_or_b32 exec_lo, exec_lo, s19
.LBB370_761:                            ;   in Loop: Header=BB370_10 Depth=1
	s_or_b32 exec_lo, exec_lo, s17
.LBB370_762:                            ;   in Loop: Header=BB370_10 Depth=1
	s_or_b32 exec_lo, exec_lo, s6
	v_mov_b32_e32 v0, 0xff
	s_mov_b32 s6, exec_lo
	v_and_b32_sdwa v0, v27, v0 dst_sel:DWORD dst_unused:UNUSED_PAD src0_sel:WORD_1 src1_sel:DWORD
	v_cmpx_ne_u16_e32 0, v0
	s_cbranch_execz .LBB370_770
; %bb.763:                              ;   in Loop: Header=BB370_10 Depth=1
	v_bfrev_b32_e32 v13, 1
	s_mov_b32 s17, exec_lo
	v_cmpx_ne_u16_e32 0x80, v0
	s_cbranch_execz .LBB370_769
; %bb.764:                              ;   in Loop: Header=BB370_10 Depth=1
	v_bfe_u32 v1, v27, 16, 7
	v_mov_b32_e32 v13, 0x7f800001
	s_mov_b32 s19, exec_lo
	v_cmpx_ne_u32_e32 0x7f, v1
	s_cbranch_execz .LBB370_768
; %bb.765:                              ;   in Loop: Header=BB370_10 Depth=1
	v_mov_b32_e32 v0, 7
	s_mov_b32 s20, exec_lo
	v_and_b32_sdwa v4, v27, v0 dst_sel:DWORD dst_unused:UNUSED_PAD src0_sel:WORD_1 src1_sel:DWORD
	v_mov_b32_e32 v29, v5
	v_lshrrev_b32_e32 v0, 3, v1
	v_mov_b32_e32 v28, v4
	v_cmpx_gt_u32_e32 8, v1
; %bb.766:                              ;   in Loop: Header=BB370_10 Depth=1
	v_ffbh_u32_e32 v0, v4
	v_min_u32_e32 v0, 32, v0
	v_subrev_nc_u32_e32 v1, 28, v0
	v_sub_nc_u32_e32 v0, 29, v0
	v_lshlrev_b64 v[1:2], v1, v[4:5]
	v_and_b32_e32 v28, 7, v1
; %bb.767:                              ;   in Loop: Header=BB370_10 Depth=1
	s_or_b32 exec_lo, exec_lo, s20
	v_mov_b32_e32 v1, 24
	v_lshlrev_b32_e32 v2, 20, v28
	v_lshl_add_u32 v0, v0, 23, 0x3c000000
	v_lshlrev_b32_sdwa v1, v1, v27 dst_sel:DWORD dst_unused:UNUSED_PAD src0_sel:DWORD src1_sel:WORD_1
	v_and_b32_e32 v1, 0x80000000, v1
	v_or3_b32 v13, v2, v1, v0
.LBB370_768:                            ;   in Loop: Header=BB370_10 Depth=1
	s_or_b32 exec_lo, exec_lo, s19
.LBB370_769:                            ;   in Loop: Header=BB370_10 Depth=1
	s_or_b32 exec_lo, exec_lo, s17
.LBB370_770:                            ;   in Loop: Header=BB370_10 Depth=1
	s_or_b32 exec_lo, exec_lo, s6
	v_mov_b32_e32 v119, 0
	v_mov_b32_e32 v89, 0
	s_mov_b32 s6, exec_lo
	v_cmpx_lt_u64_e64 s[8:9], v[26:27]
	s_cbranch_execz .LBB370_778
; %bb.771:                              ;   in Loop: Header=BB370_10 Depth=1
	v_cmp_ne_u32_sdwa s5, v27, v107 src0_sel:BYTE_3 src1_sel:DWORD
	v_bfrev_b32_e32 v89, 1
	s_and_saveexec_b32 s17, s5
	s_cbranch_execz .LBB370_777
; %bb.772:                              ;   in Loop: Header=BB370_10 Depth=1
	v_bfe_u32 v1, v27, 24, 7
	v_mov_b32_e32 v89, 0x7f800001
	s_mov_b32 s19, exec_lo
	v_cmpx_ne_u32_e32 0x7f, v1
	s_cbranch_execz .LBB370_776
; %bb.773:                              ;   in Loop: Header=BB370_10 Depth=1
	v_mov_b32_e32 v0, 7
	s_mov_b32 s20, exec_lo
	v_and_b32_sdwa v4, v27, v0 dst_sel:DWORD dst_unused:UNUSED_PAD src0_sel:BYTE_3 src1_sel:DWORD
	v_mov_b32_e32 v29, v5
	v_lshrrev_b32_e32 v0, 3, v1
	v_mov_b32_e32 v28, v4
	v_cmpx_gt_u32_e32 8, v1
; %bb.774:                              ;   in Loop: Header=BB370_10 Depth=1
	v_ffbh_u32_e32 v0, v4
	v_min_u32_e32 v0, 32, v0
	v_subrev_nc_u32_e32 v1, 28, v0
	v_sub_nc_u32_e32 v0, 29, v0
	v_lshlrev_b64 v[1:2], v1, v[4:5]
	v_and_b32_e32 v28, 7, v1
; %bb.775:                              ;   in Loop: Header=BB370_10 Depth=1
	s_or_b32 exec_lo, exec_lo, s20
	v_mov_b32_e32 v1, 24
	v_lshlrev_b32_e32 v2, 20, v28
	v_lshl_add_u32 v0, v0, 23, 0x3c000000
	v_lshlrev_b32_sdwa v1, v1, v27 dst_sel:DWORD dst_unused:UNUSED_PAD src0_sel:DWORD src1_sel:BYTE_3
	v_and_b32_e32 v1, 0x80000000, v1
	v_or3_b32 v89, v2, v1, v0
.LBB370_776:                            ;   in Loop: Header=BB370_10 Depth=1
	s_or_b32 exec_lo, exec_lo, s19
.LBB370_777:                            ;   in Loop: Header=BB370_10 Depth=1
	s_or_b32 exec_lo, exec_lo, s17
.LBB370_778:                            ;   in Loop: Header=BB370_10 Depth=1
	s_or_b32 exec_lo, exec_lo, s6
	flat_load_dwordx2 v[26:27], v[24:25] offset:1024
	s_waitcnt vmcnt(0) lgkmcnt(0)
	v_cmp_ne_u16_sdwa s5, v26, v5 src0_sel:BYTE_0 src1_sel:DWORD
	s_and_saveexec_b32 s6, s5
	s_cbranch_execz .LBB370_786
; %bb.779:                              ;   in Loop: Header=BB370_10 Depth=1
	v_cmp_ne_u16_sdwa s5, v26, v107 src0_sel:BYTE_0 src1_sel:DWORD
	v_bfrev_b32_e32 v119, 1
	s_and_saveexec_b32 s17, s5
	s_cbranch_execz .LBB370_785
; %bb.780:                              ;   in Loop: Header=BB370_10 Depth=1
	v_and_b32_e32 v1, 0x7f, v26
	v_mov_b32_e32 v119, 0x7f800001
	s_mov_b32 s19, exec_lo
	v_cmpx_ne_u32_e32 0x7f, v1
	s_cbranch_execz .LBB370_784
; %bb.781:                              ;   in Loop: Header=BB370_10 Depth=1
	v_mov_b32_e32 v29, v27
	v_lshrrev_b32_e32 v0, 3, v1
	v_mov_b32_e32 v28, v26
	s_mov_b32 s20, exec_lo
	v_cmpx_gt_u32_e32 8, v1
; %bb.782:                              ;   in Loop: Header=BB370_10 Depth=1
	v_and_b32_e32 v0, 7, v26
	v_ffbh_u32_e32 v0, v0
	v_min_u32_e32 v0, 32, v0
	v_subrev_nc_u32_e32 v1, 28, v0
	v_sub_nc_u32_e32 v0, 29, v0
	v_lshlrev_b64 v[28:29], v1, v[26:27]
; %bb.783:                              ;   in Loop: Header=BB370_10 Depth=1
	s_or_b32 exec_lo, exec_lo, s20
	v_lshlrev_b32_e32 v1, 20, v28
	v_lshlrev_b32_e32 v2, 24, v26
	v_lshl_add_u32 v0, v0, 23, 0x3c000000
	v_and_b32_e32 v1, 0x700000, v1
	v_and_b32_e32 v2, 0x80000000, v2
	v_or3_b32 v119, v1, v2, v0
.LBB370_784:                            ;   in Loop: Header=BB370_10 Depth=1
	s_or_b32 exec_lo, exec_lo, s19
.LBB370_785:                            ;   in Loop: Header=BB370_10 Depth=1
	s_or_b32 exec_lo, exec_lo, s17
.LBB370_786:                            ;   in Loop: Header=BB370_10 Depth=1
	s_or_b32 exec_lo, exec_lo, s6
	v_cmp_ne_u16_sdwa s5, v26, v5 src0_sel:BYTE_1 src1_sel:DWORD
	v_mov_b32_e32 v91, 0
	v_mov_b32_e32 v90, 0
	s_and_saveexec_b32 s6, s5
	s_cbranch_execz .LBB370_794
; %bb.787:                              ;   in Loop: Header=BB370_10 Depth=1
	v_cmp_ne_u16_sdwa s5, v26, v107 src0_sel:BYTE_1 src1_sel:DWORD
	v_bfrev_b32_e32 v90, 1
	s_and_saveexec_b32 s17, s5
	s_cbranch_execz .LBB370_793
; %bb.788:                              ;   in Loop: Header=BB370_10 Depth=1
	v_mov_b32_e32 v0, 0xffff
	v_mov_b32_e32 v90, 0x7f800001
	s_mov_b32 s19, exec_lo
	v_and_b32_sdwa v0, v0, v26 dst_sel:DWORD dst_unused:UNUSED_PAD src0_sel:DWORD src1_sel:BYTE_1
	v_and_b32_e32 v1, 0x7f, v0
	v_cmpx_ne_u32_e32 0x7f, v1
	s_cbranch_execz .LBB370_792
; %bb.789:                              ;   in Loop: Header=BB370_10 Depth=1
	v_and_b32_e32 v4, 7, v0
	v_mov_b32_e32 v29, v5
	v_lshrrev_b32_e32 v0, 3, v1
	s_mov_b32 s20, exec_lo
	v_mov_b32_e32 v28, v4
	v_cmpx_gt_u32_e32 8, v1
; %bb.790:                              ;   in Loop: Header=BB370_10 Depth=1
	v_ffbh_u32_e32 v0, v4
	v_min_u32_e32 v0, 32, v0
	v_subrev_nc_u32_e32 v1, 28, v0
	v_sub_nc_u32_e32 v0, 29, v0
	v_lshlrev_b64 v[1:2], v1, v[4:5]
	v_and_b32_e32 v28, 7, v1
; %bb.791:                              ;   in Loop: Header=BB370_10 Depth=1
	s_or_b32 exec_lo, exec_lo, s20
	v_lshlrev_b32_e32 v1, 16, v26
	v_lshlrev_b32_e32 v2, 20, v28
	v_lshl_add_u32 v0, v0, 23, 0x3c000000
	v_and_b32_e32 v1, 0x80000000, v1
	v_or3_b32 v90, v2, v1, v0
.LBB370_792:                            ;   in Loop: Header=BB370_10 Depth=1
	s_or_b32 exec_lo, exec_lo, s19
.LBB370_793:                            ;   in Loop: Header=BB370_10 Depth=1
	s_or_b32 exec_lo, exec_lo, s17
.LBB370_794:                            ;   in Loop: Header=BB370_10 Depth=1
	s_or_b32 exec_lo, exec_lo, s6
	v_mov_b32_e32 v0, 0xff
	s_mov_b32 s6, exec_lo
	v_and_b32_sdwa v0, v26, v0 dst_sel:DWORD dst_unused:UNUSED_PAD src0_sel:WORD_1 src1_sel:DWORD
	v_cmpx_ne_u16_e32 0, v0
	s_cbranch_execz .LBB370_802
; %bb.795:                              ;   in Loop: Header=BB370_10 Depth=1
	v_bfrev_b32_e32 v91, 1
	s_mov_b32 s17, exec_lo
	v_cmpx_ne_u16_e32 0x80, v0
	s_cbranch_execz .LBB370_801
; %bb.796:                              ;   in Loop: Header=BB370_10 Depth=1
	v_bfe_u32 v1, v26, 16, 7
	v_mov_b32_e32 v91, 0x7f800001
	s_mov_b32 s19, exec_lo
	v_cmpx_ne_u32_e32 0x7f, v1
	s_cbranch_execz .LBB370_800
; %bb.797:                              ;   in Loop: Header=BB370_10 Depth=1
	v_mov_b32_e32 v0, 7
	s_mov_b32 s20, exec_lo
	v_and_b32_sdwa v4, v26, v0 dst_sel:DWORD dst_unused:UNUSED_PAD src0_sel:WORD_1 src1_sel:DWORD
	v_mov_b32_e32 v29, v5
	v_lshrrev_b32_e32 v0, 3, v1
	v_mov_b32_e32 v28, v4
	v_cmpx_gt_u32_e32 8, v1
; %bb.798:                              ;   in Loop: Header=BB370_10 Depth=1
	v_ffbh_u32_e32 v0, v4
	v_min_u32_e32 v0, 32, v0
	v_subrev_nc_u32_e32 v1, 28, v0
	v_sub_nc_u32_e32 v0, 29, v0
	v_lshlrev_b64 v[1:2], v1, v[4:5]
	v_and_b32_e32 v28, 7, v1
; %bb.799:                              ;   in Loop: Header=BB370_10 Depth=1
	s_or_b32 exec_lo, exec_lo, s20
	v_mov_b32_e32 v1, 24
	v_lshlrev_b32_e32 v2, 20, v28
	v_lshl_add_u32 v0, v0, 23, 0x3c000000
	v_lshlrev_b32_sdwa v1, v1, v26 dst_sel:DWORD dst_unused:UNUSED_PAD src0_sel:DWORD src1_sel:WORD_1
	v_and_b32_e32 v1, 0x80000000, v1
	v_or3_b32 v91, v2, v1, v0
.LBB370_800:                            ;   in Loop: Header=BB370_10 Depth=1
	s_or_b32 exec_lo, exec_lo, s19
.LBB370_801:                            ;   in Loop: Header=BB370_10 Depth=1
	s_or_b32 exec_lo, exec_lo, s17
.LBB370_802:                            ;   in Loop: Header=BB370_10 Depth=1
	s_or_b32 exec_lo, exec_lo, s6
	v_mov_b32_e32 v108, 0
	v_mov_b32_e32 v94, 0
	s_mov_b32 s6, exec_lo
	v_cmpx_lt_u32_e32 0xffffff, v26
	s_cbranch_execz .LBB370_810
; %bb.803:                              ;   in Loop: Header=BB370_10 Depth=1
	v_cmp_ne_u32_sdwa s5, v26, v107 src0_sel:BYTE_3 src1_sel:DWORD
	v_bfrev_b32_e32 v94, 1
	s_and_saveexec_b32 s17, s5
	s_cbranch_execz .LBB370_809
; %bb.804:                              ;   in Loop: Header=BB370_10 Depth=1
	v_bfe_u32 v1, v26, 24, 7
	v_mov_b32_e32 v94, 0x7f800001
	s_mov_b32 s19, exec_lo
	v_cmpx_ne_u32_e32 0x7f, v1
	s_cbranch_execz .LBB370_808
; %bb.805:                              ;   in Loop: Header=BB370_10 Depth=1
	v_mov_b32_e32 v0, 7
	s_mov_b32 s20, exec_lo
	v_and_b32_sdwa v4, v26, v0 dst_sel:DWORD dst_unused:UNUSED_PAD src0_sel:BYTE_3 src1_sel:DWORD
	v_mov_b32_e32 v29, v5
	v_lshrrev_b32_e32 v0, 3, v1
	v_mov_b32_e32 v28, v4
	v_cmpx_gt_u32_e32 8, v1
; %bb.806:                              ;   in Loop: Header=BB370_10 Depth=1
	v_ffbh_u32_e32 v0, v4
	v_min_u32_e32 v0, 32, v0
	v_subrev_nc_u32_e32 v1, 28, v0
	v_sub_nc_u32_e32 v0, 29, v0
	v_lshlrev_b64 v[1:2], v1, v[4:5]
	v_and_b32_e32 v28, 7, v1
; %bb.807:                              ;   in Loop: Header=BB370_10 Depth=1
	s_or_b32 exec_lo, exec_lo, s20
	v_mov_b32_e32 v1, 24
	v_lshlrev_b32_e32 v2, 20, v28
	v_lshl_add_u32 v0, v0, 23, 0x3c000000
	v_lshlrev_b32_sdwa v1, v1, v26 dst_sel:DWORD dst_unused:UNUSED_PAD src0_sel:DWORD src1_sel:BYTE_3
	v_and_b32_e32 v1, 0x80000000, v1
	v_or3_b32 v94, v2, v1, v0
.LBB370_808:                            ;   in Loop: Header=BB370_10 Depth=1
	s_or_b32 exec_lo, exec_lo, s19
.LBB370_809:                            ;   in Loop: Header=BB370_10 Depth=1
	s_or_b32 exec_lo, exec_lo, s17
.LBB370_810:                            ;   in Loop: Header=BB370_10 Depth=1
	s_or_b32 exec_lo, exec_lo, s6
	v_mov_b32_e32 v4, v27
	v_cmp_ne_u16_sdwa s5, v27, v5 src0_sel:BYTE_0 src1_sel:DWORD
	s_and_saveexec_b32 s6, s5
	s_cbranch_execz .LBB370_818
; %bb.811:                              ;   in Loop: Header=BB370_10 Depth=1
	v_cmp_ne_u16_sdwa s5, v27, v107 src0_sel:BYTE_0 src1_sel:DWORD
	v_bfrev_b32_e32 v108, 1
	s_and_saveexec_b32 s17, s5
	s_cbranch_execz .LBB370_817
; %bb.812:                              ;   in Loop: Header=BB370_10 Depth=1
	v_and_b32_e32 v1, 0x7f, v27
	v_mov_b32_e32 v108, 0x7f800001
	s_mov_b32 s19, exec_lo
	v_cmpx_ne_u32_e32 0x7f, v1
	s_cbranch_execz .LBB370_816
; %bb.813:                              ;   in Loop: Header=BB370_10 Depth=1
	v_mov_b32_e32 v29, v5
	v_lshrrev_b32_e32 v0, 3, v1
	v_mov_b32_e32 v28, v4
	s_mov_b32 s20, exec_lo
	v_cmpx_gt_u32_e32 8, v1
; %bb.814:                              ;   in Loop: Header=BB370_10 Depth=1
	v_and_b32_e32 v0, 7, v27
	v_ffbh_u32_e32 v0, v0
	v_min_u32_e32 v0, 32, v0
	v_subrev_nc_u32_e32 v1, 28, v0
	v_sub_nc_u32_e32 v0, 29, v0
	v_lshlrev_b64 v[28:29], v1, v[4:5]
; %bb.815:                              ;   in Loop: Header=BB370_10 Depth=1
	s_or_b32 exec_lo, exec_lo, s20
	v_lshlrev_b32_e32 v1, 20, v28
	v_lshlrev_b32_e32 v2, 24, v4
	v_lshl_add_u32 v0, v0, 23, 0x3c000000
	v_and_b32_e32 v1, 0x700000, v1
	v_and_b32_e32 v2, 0x80000000, v2
	v_or3_b32 v108, v1, v2, v0
.LBB370_816:                            ;   in Loop: Header=BB370_10 Depth=1
	s_or_b32 exec_lo, exec_lo, s19
.LBB370_817:                            ;   in Loop: Header=BB370_10 Depth=1
	s_or_b32 exec_lo, exec_lo, s17
.LBB370_818:                            ;   in Loop: Header=BB370_10 Depth=1
	s_or_b32 exec_lo, exec_lo, s6
	v_cmp_ne_u16_sdwa s5, v4, v5 src0_sel:BYTE_1 src1_sel:DWORD
	v_mov_b32_e32 v95, 0
	v_mov_b32_e32 v18, 0
	s_and_saveexec_b32 s6, s5
	s_cbranch_execz .LBB370_826
; %bb.819:                              ;   in Loop: Header=BB370_10 Depth=1
	v_cmp_ne_u16_sdwa s5, v4, v107 src0_sel:BYTE_1 src1_sel:DWORD
	v_bfrev_b32_e32 v18, 1
	s_and_saveexec_b32 s17, s5
	s_cbranch_execz .LBB370_825
; %bb.820:                              ;   in Loop: Header=BB370_10 Depth=1
	v_mov_b32_e32 v0, 0xffff
	v_mov_b32_e32 v18, 0x7f800001
	s_mov_b32 s19, exec_lo
	v_and_b32_sdwa v0, v0, v4 dst_sel:DWORD dst_unused:UNUSED_PAD src0_sel:DWORD src1_sel:BYTE_1
	v_and_b32_e32 v1, 0x7f, v0
	v_cmpx_ne_u32_e32 0x7f, v1
	s_cbranch_execz .LBB370_824
; %bb.821:                              ;   in Loop: Header=BB370_10 Depth=1
	v_and_b32_e32 v28, 7, v0
	v_mov_b32_e32 v29, v5
	v_lshrrev_b32_e32 v0, 3, v1
	s_mov_b32 s20, exec_lo
	v_cmpx_gt_u32_e32 8, v1
; %bb.822:                              ;   in Loop: Header=BB370_10 Depth=1
	v_ffbh_u32_e32 v0, v28
	v_min_u32_e32 v0, 32, v0
	v_subrev_nc_u32_e32 v1, 28, v0
	v_sub_nc_u32_e32 v0, 29, v0
	v_lshlrev_b64 v[1:2], v1, v[28:29]
	v_and_b32_e32 v28, 7, v1
; %bb.823:                              ;   in Loop: Header=BB370_10 Depth=1
	s_or_b32 exec_lo, exec_lo, s20
	v_lshlrev_b32_e32 v1, 16, v4
	v_lshlrev_b32_e32 v2, 20, v28
	v_lshl_add_u32 v0, v0, 23, 0x3c000000
	v_and_b32_e32 v1, 0x80000000, v1
	v_or3_b32 v18, v2, v1, v0
.LBB370_824:                            ;   in Loop: Header=BB370_10 Depth=1
	s_or_b32 exec_lo, exec_lo, s19
.LBB370_825:                            ;   in Loop: Header=BB370_10 Depth=1
	s_or_b32 exec_lo, exec_lo, s17
.LBB370_826:                            ;   in Loop: Header=BB370_10 Depth=1
	s_or_b32 exec_lo, exec_lo, s6
	v_mov_b32_e32 v0, 0xff
	s_mov_b32 s6, exec_lo
	v_and_b32_sdwa v0, v27, v0 dst_sel:DWORD dst_unused:UNUSED_PAD src0_sel:WORD_1 src1_sel:DWORD
	v_cmpx_ne_u16_e32 0, v0
	s_cbranch_execz .LBB370_834
; %bb.827:                              ;   in Loop: Header=BB370_10 Depth=1
	v_bfrev_b32_e32 v95, 1
	s_mov_b32 s17, exec_lo
	v_cmpx_ne_u16_e32 0x80, v0
	s_cbranch_execz .LBB370_833
; %bb.828:                              ;   in Loop: Header=BB370_10 Depth=1
	v_bfe_u32 v1, v27, 16, 7
	v_mov_b32_e32 v95, 0x7f800001
	s_mov_b32 s19, exec_lo
	v_cmpx_ne_u32_e32 0x7f, v1
	s_cbranch_execz .LBB370_832
; %bb.829:                              ;   in Loop: Header=BB370_10 Depth=1
	v_mov_b32_e32 v0, 7
	s_mov_b32 s20, exec_lo
	v_and_b32_sdwa v4, v27, v0 dst_sel:DWORD dst_unused:UNUSED_PAD src0_sel:WORD_1 src1_sel:DWORD
	v_mov_b32_e32 v29, v5
	v_lshrrev_b32_e32 v0, 3, v1
	v_mov_b32_e32 v28, v4
	v_cmpx_gt_u32_e32 8, v1
; %bb.830:                              ;   in Loop: Header=BB370_10 Depth=1
	v_ffbh_u32_e32 v0, v4
	v_min_u32_e32 v0, 32, v0
	v_subrev_nc_u32_e32 v1, 28, v0
	v_sub_nc_u32_e32 v0, 29, v0
	v_lshlrev_b64 v[1:2], v1, v[4:5]
	v_and_b32_e32 v28, 7, v1
; %bb.831:                              ;   in Loop: Header=BB370_10 Depth=1
	s_or_b32 exec_lo, exec_lo, s20
	v_mov_b32_e32 v1, 24
	v_lshlrev_b32_e32 v2, 20, v28
	v_lshl_add_u32 v0, v0, 23, 0x3c000000
	v_lshlrev_b32_sdwa v1, v1, v27 dst_sel:DWORD dst_unused:UNUSED_PAD src0_sel:DWORD src1_sel:WORD_1
	v_and_b32_e32 v1, 0x80000000, v1
	v_or3_b32 v95, v2, v1, v0
.LBB370_832:                            ;   in Loop: Header=BB370_10 Depth=1
	s_or_b32 exec_lo, exec_lo, s19
.LBB370_833:                            ;   in Loop: Header=BB370_10 Depth=1
	s_or_b32 exec_lo, exec_lo, s17
.LBB370_834:                            ;   in Loop: Header=BB370_10 Depth=1
	s_or_b32 exec_lo, exec_lo, s6
	v_mov_b32_e32 v21, 0
	v_mov_b32_e32 v122, 0
	s_mov_b32 s6, exec_lo
	v_cmpx_lt_u64_e64 s[8:9], v[26:27]
	s_cbranch_execz .LBB370_842
; %bb.835:                              ;   in Loop: Header=BB370_10 Depth=1
	v_cmp_ne_u32_sdwa s5, v27, v107 src0_sel:BYTE_3 src1_sel:DWORD
	v_bfrev_b32_e32 v122, 1
	s_and_saveexec_b32 s17, s5
	s_cbranch_execz .LBB370_841
; %bb.836:                              ;   in Loop: Header=BB370_10 Depth=1
	v_bfe_u32 v1, v27, 24, 7
	v_mov_b32_e32 v122, 0x7f800001
	s_mov_b32 s19, exec_lo
	v_cmpx_ne_u32_e32 0x7f, v1
	s_cbranch_execz .LBB370_840
; %bb.837:                              ;   in Loop: Header=BB370_10 Depth=1
	v_mov_b32_e32 v0, 7
	s_mov_b32 s20, exec_lo
	v_and_b32_sdwa v4, v27, v0 dst_sel:DWORD dst_unused:UNUSED_PAD src0_sel:BYTE_3 src1_sel:DWORD
	v_mov_b32_e32 v29, v5
	v_lshrrev_b32_e32 v0, 3, v1
	v_mov_b32_e32 v28, v4
	v_cmpx_gt_u32_e32 8, v1
; %bb.838:                              ;   in Loop: Header=BB370_10 Depth=1
	v_ffbh_u32_e32 v0, v4
	v_min_u32_e32 v0, 32, v0
	v_subrev_nc_u32_e32 v1, 28, v0
	v_sub_nc_u32_e32 v0, 29, v0
	v_lshlrev_b64 v[1:2], v1, v[4:5]
	v_and_b32_e32 v28, 7, v1
; %bb.839:                              ;   in Loop: Header=BB370_10 Depth=1
	s_or_b32 exec_lo, exec_lo, s20
	v_mov_b32_e32 v1, 24
	v_lshlrev_b32_e32 v2, 20, v28
	v_lshl_add_u32 v0, v0, 23, 0x3c000000
	v_lshlrev_b32_sdwa v1, v1, v27 dst_sel:DWORD dst_unused:UNUSED_PAD src0_sel:DWORD src1_sel:BYTE_3
	v_and_b32_e32 v1, 0x80000000, v1
	v_or3_b32 v122, v2, v1, v0
.LBB370_840:                            ;   in Loop: Header=BB370_10 Depth=1
	s_or_b32 exec_lo, exec_lo, s19
.LBB370_841:                            ;   in Loop: Header=BB370_10 Depth=1
	s_or_b32 exec_lo, exec_lo, s17
.LBB370_842:                            ;   in Loop: Header=BB370_10 Depth=1
	s_or_b32 exec_lo, exec_lo, s6
	flat_load_dwordx2 v[26:27], v[24:25] offset:1032
	s_waitcnt vmcnt(0) lgkmcnt(0)
	v_cmp_ne_u16_sdwa s5, v26, v5 src0_sel:BYTE_0 src1_sel:DWORD
	s_and_saveexec_b32 s6, s5
	s_cbranch_execz .LBB370_850
; %bb.843:                              ;   in Loop: Header=BB370_10 Depth=1
	v_cmp_ne_u16_sdwa s5, v26, v107 src0_sel:BYTE_0 src1_sel:DWORD
	v_bfrev_b32_e32 v21, 1
	s_and_saveexec_b32 s17, s5
	s_cbranch_execz .LBB370_849
; %bb.844:                              ;   in Loop: Header=BB370_10 Depth=1
	v_and_b32_e32 v1, 0x7f, v26
	v_mov_b32_e32 v21, 0x7f800001
	s_mov_b32 s19, exec_lo
	v_cmpx_ne_u32_e32 0x7f, v1
	s_cbranch_execz .LBB370_848
; %bb.845:                              ;   in Loop: Header=BB370_10 Depth=1
	v_mov_b32_e32 v29, v27
	v_lshrrev_b32_e32 v0, 3, v1
	v_mov_b32_e32 v28, v26
	s_mov_b32 s20, exec_lo
	v_cmpx_gt_u32_e32 8, v1
; %bb.846:                              ;   in Loop: Header=BB370_10 Depth=1
	v_and_b32_e32 v0, 7, v26
	v_ffbh_u32_e32 v0, v0
	v_min_u32_e32 v0, 32, v0
	v_subrev_nc_u32_e32 v1, 28, v0
	v_sub_nc_u32_e32 v0, 29, v0
	v_lshlrev_b64 v[28:29], v1, v[26:27]
; %bb.847:                              ;   in Loop: Header=BB370_10 Depth=1
	s_or_b32 exec_lo, exec_lo, s20
	v_lshlrev_b32_e32 v1, 20, v28
	v_lshlrev_b32_e32 v2, 24, v26
	v_lshl_add_u32 v0, v0, 23, 0x3c000000
	v_and_b32_e32 v1, 0x700000, v1
	v_and_b32_e32 v2, 0x80000000, v2
	v_or3_b32 v21, v1, v2, v0
.LBB370_848:                            ;   in Loop: Header=BB370_10 Depth=1
	s_or_b32 exec_lo, exec_lo, s19
.LBB370_849:                            ;   in Loop: Header=BB370_10 Depth=1
	s_or_b32 exec_lo, exec_lo, s17
.LBB370_850:                            ;   in Loop: Header=BB370_10 Depth=1
	s_or_b32 exec_lo, exec_lo, s6
	v_cmp_ne_u16_sdwa s5, v26, v5 src0_sel:BYTE_1 src1_sel:DWORD
	v_mov_b32_e32 v104, 0
	v_mov_b32_e32 v109, 0
	s_and_saveexec_b32 s6, s5
	s_cbranch_execz .LBB370_858
; %bb.851:                              ;   in Loop: Header=BB370_10 Depth=1
	v_cmp_ne_u16_sdwa s5, v26, v107 src0_sel:BYTE_1 src1_sel:DWORD
	v_bfrev_b32_e32 v109, 1
	s_and_saveexec_b32 s17, s5
	s_cbranch_execz .LBB370_857
; %bb.852:                              ;   in Loop: Header=BB370_10 Depth=1
	v_mov_b32_e32 v0, 0xffff
	v_mov_b32_e32 v109, 0x7f800001
	s_mov_b32 s19, exec_lo
	v_and_b32_sdwa v0, v0, v26 dst_sel:DWORD dst_unused:UNUSED_PAD src0_sel:DWORD src1_sel:BYTE_1
	v_and_b32_e32 v1, 0x7f, v0
	v_cmpx_ne_u32_e32 0x7f, v1
	s_cbranch_execz .LBB370_856
; %bb.853:                              ;   in Loop: Header=BB370_10 Depth=1
	v_and_b32_e32 v4, 7, v0
	v_mov_b32_e32 v29, v5
	v_lshrrev_b32_e32 v0, 3, v1
	s_mov_b32 s20, exec_lo
	v_mov_b32_e32 v28, v4
	v_cmpx_gt_u32_e32 8, v1
; %bb.854:                              ;   in Loop: Header=BB370_10 Depth=1
	v_ffbh_u32_e32 v0, v4
	v_min_u32_e32 v0, 32, v0
	v_subrev_nc_u32_e32 v1, 28, v0
	v_sub_nc_u32_e32 v0, 29, v0
	v_lshlrev_b64 v[1:2], v1, v[4:5]
	v_and_b32_e32 v28, 7, v1
; %bb.855:                              ;   in Loop: Header=BB370_10 Depth=1
	s_or_b32 exec_lo, exec_lo, s20
	v_lshlrev_b32_e32 v1, 16, v26
	v_lshlrev_b32_e32 v2, 20, v28
	v_lshl_add_u32 v0, v0, 23, 0x3c000000
	v_and_b32_e32 v1, 0x80000000, v1
	v_or3_b32 v109, v2, v1, v0
.LBB370_856:                            ;   in Loop: Header=BB370_10 Depth=1
	s_or_b32 exec_lo, exec_lo, s19
.LBB370_857:                            ;   in Loop: Header=BB370_10 Depth=1
	s_or_b32 exec_lo, exec_lo, s17
.LBB370_858:                            ;   in Loop: Header=BB370_10 Depth=1
	s_or_b32 exec_lo, exec_lo, s6
	v_mov_b32_e32 v0, 0xff
	s_mov_b32 s6, exec_lo
	v_and_b32_sdwa v0, v26, v0 dst_sel:DWORD dst_unused:UNUSED_PAD src0_sel:WORD_1 src1_sel:DWORD
	v_cmpx_ne_u16_e32 0, v0
	s_cbranch_execz .LBB370_866
; %bb.859:                              ;   in Loop: Header=BB370_10 Depth=1
	v_bfrev_b32_e32 v104, 1
	s_mov_b32 s17, exec_lo
	v_cmpx_ne_u16_e32 0x80, v0
	s_cbranch_execz .LBB370_865
; %bb.860:                              ;   in Loop: Header=BB370_10 Depth=1
	v_bfe_u32 v1, v26, 16, 7
	v_mov_b32_e32 v104, 0x7f800001
	s_mov_b32 s19, exec_lo
	v_cmpx_ne_u32_e32 0x7f, v1
	s_cbranch_execz .LBB370_864
; %bb.861:                              ;   in Loop: Header=BB370_10 Depth=1
	v_mov_b32_e32 v0, 7
	s_mov_b32 s20, exec_lo
	v_and_b32_sdwa v4, v26, v0 dst_sel:DWORD dst_unused:UNUSED_PAD src0_sel:WORD_1 src1_sel:DWORD
	v_mov_b32_e32 v29, v5
	v_lshrrev_b32_e32 v0, 3, v1
	v_mov_b32_e32 v28, v4
	v_cmpx_gt_u32_e32 8, v1
; %bb.862:                              ;   in Loop: Header=BB370_10 Depth=1
	v_ffbh_u32_e32 v0, v4
	v_min_u32_e32 v0, 32, v0
	v_subrev_nc_u32_e32 v1, 28, v0
	v_sub_nc_u32_e32 v0, 29, v0
	v_lshlrev_b64 v[1:2], v1, v[4:5]
	v_and_b32_e32 v28, 7, v1
; %bb.863:                              ;   in Loop: Header=BB370_10 Depth=1
	s_or_b32 exec_lo, exec_lo, s20
	v_mov_b32_e32 v1, 24
	v_lshlrev_b32_e32 v2, 20, v28
	v_lshl_add_u32 v0, v0, 23, 0x3c000000
	v_lshlrev_b32_sdwa v1, v1, v26 dst_sel:DWORD dst_unused:UNUSED_PAD src0_sel:DWORD src1_sel:WORD_1
	v_and_b32_e32 v1, 0x80000000, v1
	v_or3_b32 v104, v2, v1, v0
.LBB370_864:                            ;   in Loop: Header=BB370_10 Depth=1
	s_or_b32 exec_lo, exec_lo, s19
.LBB370_865:                            ;   in Loop: Header=BB370_10 Depth=1
	s_or_b32 exec_lo, exec_lo, s17
.LBB370_866:                            ;   in Loop: Header=BB370_10 Depth=1
	s_or_b32 exec_lo, exec_lo, s6
	v_mov_b32_e32 v41, 0
	v_mov_b32_e32 v43, 0
	s_mov_b32 s6, exec_lo
	v_cmpx_lt_u32_e32 0xffffff, v26
	s_cbranch_execz .LBB370_874
; %bb.867:                              ;   in Loop: Header=BB370_10 Depth=1
	v_cmp_ne_u32_sdwa s5, v26, v107 src0_sel:BYTE_3 src1_sel:DWORD
	v_bfrev_b32_e32 v43, 1
	s_and_saveexec_b32 s17, s5
	s_cbranch_execz .LBB370_873
; %bb.868:                              ;   in Loop: Header=BB370_10 Depth=1
	v_bfe_u32 v1, v26, 24, 7
	v_mov_b32_e32 v43, 0x7f800001
	s_mov_b32 s19, exec_lo
	v_cmpx_ne_u32_e32 0x7f, v1
	s_cbranch_execz .LBB370_872
; %bb.869:                              ;   in Loop: Header=BB370_10 Depth=1
	v_mov_b32_e32 v0, 7
	s_mov_b32 s20, exec_lo
	v_and_b32_sdwa v4, v26, v0 dst_sel:DWORD dst_unused:UNUSED_PAD src0_sel:BYTE_3 src1_sel:DWORD
	v_mov_b32_e32 v29, v5
	v_lshrrev_b32_e32 v0, 3, v1
	v_mov_b32_e32 v28, v4
	v_cmpx_gt_u32_e32 8, v1
; %bb.870:                              ;   in Loop: Header=BB370_10 Depth=1
	v_ffbh_u32_e32 v0, v4
	v_min_u32_e32 v0, 32, v0
	v_subrev_nc_u32_e32 v1, 28, v0
	v_sub_nc_u32_e32 v0, 29, v0
	v_lshlrev_b64 v[1:2], v1, v[4:5]
	v_and_b32_e32 v28, 7, v1
; %bb.871:                              ;   in Loop: Header=BB370_10 Depth=1
	s_or_b32 exec_lo, exec_lo, s20
	v_mov_b32_e32 v1, 24
	v_lshlrev_b32_e32 v2, 20, v28
	v_lshl_add_u32 v0, v0, 23, 0x3c000000
	v_lshlrev_b32_sdwa v1, v1, v26 dst_sel:DWORD dst_unused:UNUSED_PAD src0_sel:DWORD src1_sel:BYTE_3
	v_and_b32_e32 v1, 0x80000000, v1
	v_or3_b32 v43, v2, v1, v0
.LBB370_872:                            ;   in Loop: Header=BB370_10 Depth=1
	s_or_b32 exec_lo, exec_lo, s19
.LBB370_873:                            ;   in Loop: Header=BB370_10 Depth=1
	s_or_b32 exec_lo, exec_lo, s17
.LBB370_874:                            ;   in Loop: Header=BB370_10 Depth=1
	s_or_b32 exec_lo, exec_lo, s6
	v_mov_b32_e32 v4, v27
	v_cmp_ne_u16_sdwa s5, v27, v5 src0_sel:BYTE_0 src1_sel:DWORD
	s_and_saveexec_b32 s6, s5
	s_cbranch_execz .LBB370_882
; %bb.875:                              ;   in Loop: Header=BB370_10 Depth=1
	v_cmp_ne_u16_sdwa s5, v27, v107 src0_sel:BYTE_0 src1_sel:DWORD
	v_bfrev_b32_e32 v41, 1
	s_and_saveexec_b32 s17, s5
	s_cbranch_execz .LBB370_881
; %bb.876:                              ;   in Loop: Header=BB370_10 Depth=1
	v_and_b32_e32 v1, 0x7f, v27
	v_mov_b32_e32 v41, 0x7f800001
	s_mov_b32 s19, exec_lo
	v_cmpx_ne_u32_e32 0x7f, v1
	s_cbranch_execz .LBB370_880
; %bb.877:                              ;   in Loop: Header=BB370_10 Depth=1
	v_mov_b32_e32 v29, v5
	v_lshrrev_b32_e32 v0, 3, v1
	v_mov_b32_e32 v28, v4
	s_mov_b32 s20, exec_lo
	v_cmpx_gt_u32_e32 8, v1
; %bb.878:                              ;   in Loop: Header=BB370_10 Depth=1
	v_and_b32_e32 v0, 7, v27
	v_ffbh_u32_e32 v0, v0
	v_min_u32_e32 v0, 32, v0
	v_subrev_nc_u32_e32 v1, 28, v0
	v_sub_nc_u32_e32 v0, 29, v0
	v_lshlrev_b64 v[28:29], v1, v[4:5]
; %bb.879:                              ;   in Loop: Header=BB370_10 Depth=1
	s_or_b32 exec_lo, exec_lo, s20
	v_lshlrev_b32_e32 v1, 20, v28
	v_lshlrev_b32_e32 v2, 24, v4
	v_lshl_add_u32 v0, v0, 23, 0x3c000000
	v_and_b32_e32 v1, 0x700000, v1
	v_and_b32_e32 v2, 0x80000000, v2
	v_or3_b32 v41, v1, v2, v0
.LBB370_880:                            ;   in Loop: Header=BB370_10 Depth=1
	s_or_b32 exec_lo, exec_lo, s19
.LBB370_881:                            ;   in Loop: Header=BB370_10 Depth=1
	s_or_b32 exec_lo, exec_lo, s17
.LBB370_882:                            ;   in Loop: Header=BB370_10 Depth=1
	s_or_b32 exec_lo, exec_lo, s6
	v_cmp_ne_u16_sdwa s5, v4, v5 src0_sel:BYTE_1 src1_sel:DWORD
	v_mov_b32_e32 v92, 0
	v_mov_b32_e32 v106, 0
	s_and_saveexec_b32 s6, s5
	s_cbranch_execz .LBB370_890
; %bb.883:                              ;   in Loop: Header=BB370_10 Depth=1
	v_cmp_ne_u16_sdwa s5, v4, v107 src0_sel:BYTE_1 src1_sel:DWORD
	v_bfrev_b32_e32 v106, 1
	s_and_saveexec_b32 s17, s5
	s_cbranch_execz .LBB370_889
; %bb.884:                              ;   in Loop: Header=BB370_10 Depth=1
	v_mov_b32_e32 v0, 0xffff
	v_mov_b32_e32 v106, 0x7f800001
	s_mov_b32 s19, exec_lo
	v_and_b32_sdwa v0, v0, v4 dst_sel:DWORD dst_unused:UNUSED_PAD src0_sel:DWORD src1_sel:BYTE_1
	v_and_b32_e32 v1, 0x7f, v0
	v_cmpx_ne_u32_e32 0x7f, v1
	s_cbranch_execz .LBB370_888
; %bb.885:                              ;   in Loop: Header=BB370_10 Depth=1
	v_and_b32_e32 v28, 7, v0
	v_mov_b32_e32 v29, v5
	v_lshrrev_b32_e32 v0, 3, v1
	s_mov_b32 s20, exec_lo
	v_cmpx_gt_u32_e32 8, v1
; %bb.886:                              ;   in Loop: Header=BB370_10 Depth=1
	v_ffbh_u32_e32 v0, v28
	v_min_u32_e32 v0, 32, v0
	v_subrev_nc_u32_e32 v1, 28, v0
	v_sub_nc_u32_e32 v0, 29, v0
	v_lshlrev_b64 v[1:2], v1, v[28:29]
	v_and_b32_e32 v28, 7, v1
; %bb.887:                              ;   in Loop: Header=BB370_10 Depth=1
	s_or_b32 exec_lo, exec_lo, s20
	v_lshlrev_b32_e32 v1, 16, v4
	v_lshlrev_b32_e32 v2, 20, v28
	v_lshl_add_u32 v0, v0, 23, 0x3c000000
	v_and_b32_e32 v1, 0x80000000, v1
	v_or3_b32 v106, v2, v1, v0
.LBB370_888:                            ;   in Loop: Header=BB370_10 Depth=1
	s_or_b32 exec_lo, exec_lo, s19
.LBB370_889:                            ;   in Loop: Header=BB370_10 Depth=1
	s_or_b32 exec_lo, exec_lo, s17
.LBB370_890:                            ;   in Loop: Header=BB370_10 Depth=1
	s_or_b32 exec_lo, exec_lo, s6
	v_mov_b32_e32 v0, 0xff
	s_mov_b32 s6, exec_lo
	v_and_b32_sdwa v0, v27, v0 dst_sel:DWORD dst_unused:UNUSED_PAD src0_sel:WORD_1 src1_sel:DWORD
	v_cmpx_ne_u16_e32 0, v0
	s_cbranch_execz .LBB370_898
; %bb.891:                              ;   in Loop: Header=BB370_10 Depth=1
	v_bfrev_b32_e32 v92, 1
	s_mov_b32 s17, exec_lo
	v_cmpx_ne_u16_e32 0x80, v0
	s_cbranch_execz .LBB370_897
; %bb.892:                              ;   in Loop: Header=BB370_10 Depth=1
	v_bfe_u32 v1, v27, 16, 7
	v_mov_b32_e32 v92, 0x7f800001
	s_mov_b32 s19, exec_lo
	v_cmpx_ne_u32_e32 0x7f, v1
	s_cbranch_execz .LBB370_896
; %bb.893:                              ;   in Loop: Header=BB370_10 Depth=1
	v_mov_b32_e32 v0, 7
	s_mov_b32 s20, exec_lo
	v_and_b32_sdwa v4, v27, v0 dst_sel:DWORD dst_unused:UNUSED_PAD src0_sel:WORD_1 src1_sel:DWORD
	v_mov_b32_e32 v29, v5
	v_lshrrev_b32_e32 v0, 3, v1
	v_mov_b32_e32 v28, v4
	v_cmpx_gt_u32_e32 8, v1
; %bb.894:                              ;   in Loop: Header=BB370_10 Depth=1
	v_ffbh_u32_e32 v0, v4
	v_min_u32_e32 v0, 32, v0
	v_subrev_nc_u32_e32 v1, 28, v0
	v_sub_nc_u32_e32 v0, 29, v0
	v_lshlrev_b64 v[1:2], v1, v[4:5]
	v_and_b32_e32 v28, 7, v1
; %bb.895:                              ;   in Loop: Header=BB370_10 Depth=1
	s_or_b32 exec_lo, exec_lo, s20
	v_mov_b32_e32 v1, 24
	v_lshlrev_b32_e32 v2, 20, v28
	v_lshl_add_u32 v0, v0, 23, 0x3c000000
	v_lshlrev_b32_sdwa v1, v1, v27 dst_sel:DWORD dst_unused:UNUSED_PAD src0_sel:DWORD src1_sel:WORD_1
	v_and_b32_e32 v1, 0x80000000, v1
	v_or3_b32 v92, v2, v1, v0
.LBB370_896:                            ;   in Loop: Header=BB370_10 Depth=1
	s_or_b32 exec_lo, exec_lo, s19
.LBB370_897:                            ;   in Loop: Header=BB370_10 Depth=1
	s_or_b32 exec_lo, exec_lo, s17
.LBB370_898:                            ;   in Loop: Header=BB370_10 Depth=1
	s_or_b32 exec_lo, exec_lo, s6
	v_mov_b32_e32 v1, 0
	v_mov_b32_e32 v8, 0
	s_mov_b32 s6, exec_lo
	v_cmpx_lt_u64_e64 s[8:9], v[26:27]
	s_cbranch_execz .LBB370_906
; %bb.899:                              ;   in Loop: Header=BB370_10 Depth=1
	v_cmp_ne_u32_sdwa s5, v27, v107 src0_sel:BYTE_3 src1_sel:DWORD
	v_bfrev_b32_e32 v8, 1
	s_and_saveexec_b32 s17, s5
	s_cbranch_execz .LBB370_905
; %bb.900:                              ;   in Loop: Header=BB370_10 Depth=1
	v_bfe_u32 v2, v27, 24, 7
	v_mov_b32_e32 v8, 0x7f800001
	s_mov_b32 s19, exec_lo
	v_cmpx_ne_u32_e32 0x7f, v2
	s_cbranch_execz .LBB370_904
; %bb.901:                              ;   in Loop: Header=BB370_10 Depth=1
	v_mov_b32_e32 v0, 7
	s_mov_b32 s20, exec_lo
	v_and_b32_sdwa v4, v27, v0 dst_sel:DWORD dst_unused:UNUSED_PAD src0_sel:BYTE_3 src1_sel:DWORD
	v_mov_b32_e32 v29, v5
	v_lshrrev_b32_e32 v0, 3, v2
	v_mov_b32_e32 v28, v4
	v_cmpx_gt_u32_e32 8, v2
; %bb.902:                              ;   in Loop: Header=BB370_10 Depth=1
	v_ffbh_u32_e32 v0, v4
	v_min_u32_e32 v0, 32, v0
	v_subrev_nc_u32_e32 v2, 28, v0
	v_sub_nc_u32_e32 v0, 29, v0
	v_lshlrev_b64 v[2:3], v2, v[4:5]
	v_and_b32_e32 v28, 7, v2
; %bb.903:                              ;   in Loop: Header=BB370_10 Depth=1
	s_or_b32 exec_lo, exec_lo, s20
	v_mov_b32_e32 v2, 24
	v_lshlrev_b32_e32 v3, 20, v28
	v_lshl_add_u32 v0, v0, 23, 0x3c000000
	v_lshlrev_b32_sdwa v2, v2, v27 dst_sel:DWORD dst_unused:UNUSED_PAD src0_sel:DWORD src1_sel:BYTE_3
	v_and_b32_e32 v2, 0x80000000, v2
	v_or3_b32 v8, v3, v2, v0
.LBB370_904:                            ;   in Loop: Header=BB370_10 Depth=1
	s_or_b32 exec_lo, exec_lo, s19
.LBB370_905:                            ;   in Loop: Header=BB370_10 Depth=1
	s_or_b32 exec_lo, exec_lo, s17
.LBB370_906:                            ;   in Loop: Header=BB370_10 Depth=1
	s_or_b32 exec_lo, exec_lo, s6
	flat_load_dwordx2 v[26:27], v[24:25] offset:1536
	s_waitcnt vmcnt(0) lgkmcnt(0)
	v_cmp_ne_u16_sdwa s5, v26, v5 src0_sel:BYTE_0 src1_sel:DWORD
	s_and_saveexec_b32 s6, s5
	s_cbranch_execz .LBB370_914
; %bb.907:                              ;   in Loop: Header=BB370_10 Depth=1
	v_cmp_ne_u16_sdwa s5, v26, v107 src0_sel:BYTE_0 src1_sel:DWORD
	v_bfrev_b32_e32 v1, 1
	s_and_saveexec_b32 s17, s5
	s_cbranch_execz .LBB370_913
; %bb.908:                              ;   in Loop: Header=BB370_10 Depth=1
	v_and_b32_e32 v2, 0x7f, v26
	v_mov_b32_e32 v1, 0x7f800001
	s_mov_b32 s19, exec_lo
	v_cmpx_ne_u32_e32 0x7f, v2
	s_cbranch_execz .LBB370_912
; %bb.909:                              ;   in Loop: Header=BB370_10 Depth=1
	v_mov_b32_e32 v29, v27
	v_lshrrev_b32_e32 v0, 3, v2
	v_mov_b32_e32 v28, v26
	s_mov_b32 s20, exec_lo
	v_cmpx_gt_u32_e32 8, v2
; %bb.910:                              ;   in Loop: Header=BB370_10 Depth=1
	v_and_b32_e32 v0, 7, v26
	v_ffbh_u32_e32 v0, v0
	v_min_u32_e32 v0, 32, v0
	v_subrev_nc_u32_e32 v1, 28, v0
	v_sub_nc_u32_e32 v0, 29, v0
	v_lshlrev_b64 v[28:29], v1, v[26:27]
; %bb.911:                              ;   in Loop: Header=BB370_10 Depth=1
	s_or_b32 exec_lo, exec_lo, s20
	v_lshlrev_b32_e32 v1, 20, v28
	v_lshlrev_b32_e32 v2, 24, v26
	v_lshl_add_u32 v0, v0, 23, 0x3c000000
	v_and_b32_e32 v1, 0x700000, v1
	v_and_b32_e32 v2, 0x80000000, v2
	v_or3_b32 v1, v1, v2, v0
.LBB370_912:                            ;   in Loop: Header=BB370_10 Depth=1
	s_or_b32 exec_lo, exec_lo, s19
.LBB370_913:                            ;   in Loop: Header=BB370_10 Depth=1
	s_or_b32 exec_lo, exec_lo, s17
.LBB370_914:                            ;   in Loop: Header=BB370_10 Depth=1
	s_or_b32 exec_lo, exec_lo, s6
	v_cmp_ne_u16_sdwa s5, v26, v5 src0_sel:BYTE_1 src1_sel:DWORD
	v_mov_b32_e32 v6, 0
	v_mov_b32_e32 v7, 0
	s_and_saveexec_b32 s6, s5
	s_cbranch_execz .LBB370_922
; %bb.915:                              ;   in Loop: Header=BB370_10 Depth=1
	v_cmp_ne_u16_sdwa s5, v26, v107 src0_sel:BYTE_1 src1_sel:DWORD
	v_bfrev_b32_e32 v7, 1
	s_and_saveexec_b32 s17, s5
	s_cbranch_execz .LBB370_921
; %bb.916:                              ;   in Loop: Header=BB370_10 Depth=1
	v_mov_b32_e32 v0, 0xffff
	v_mov_b32_e32 v7, 0x7f800001
	s_mov_b32 s19, exec_lo
	v_and_b32_sdwa v0, v0, v26 dst_sel:DWORD dst_unused:UNUSED_PAD src0_sel:DWORD src1_sel:BYTE_1
	v_and_b32_e32 v2, 0x7f, v0
	v_cmpx_ne_u32_e32 0x7f, v2
	s_cbranch_execz .LBB370_920
; %bb.917:                              ;   in Loop: Header=BB370_10 Depth=1
	v_and_b32_e32 v4, 7, v0
	v_mov_b32_e32 v29, v5
	v_lshrrev_b32_e32 v0, 3, v2
	s_mov_b32 s20, exec_lo
	v_mov_b32_e32 v28, v4
	v_cmpx_gt_u32_e32 8, v2
; %bb.918:                              ;   in Loop: Header=BB370_10 Depth=1
	v_ffbh_u32_e32 v0, v4
	v_min_u32_e32 v0, 32, v0
	v_subrev_nc_u32_e32 v2, 28, v0
	v_sub_nc_u32_e32 v0, 29, v0
	v_lshlrev_b64 v[2:3], v2, v[4:5]
	v_and_b32_e32 v28, 7, v2
; %bb.919:                              ;   in Loop: Header=BB370_10 Depth=1
	s_or_b32 exec_lo, exec_lo, s20
	v_lshlrev_b32_e32 v2, 16, v26
	v_lshlrev_b32_e32 v3, 20, v28
	v_lshl_add_u32 v0, v0, 23, 0x3c000000
	v_and_b32_e32 v2, 0x80000000, v2
	v_or3_b32 v7, v3, v2, v0
.LBB370_920:                            ;   in Loop: Header=BB370_10 Depth=1
	s_or_b32 exec_lo, exec_lo, s19
.LBB370_921:                            ;   in Loop: Header=BB370_10 Depth=1
	s_or_b32 exec_lo, exec_lo, s17
.LBB370_922:                            ;   in Loop: Header=BB370_10 Depth=1
	s_or_b32 exec_lo, exec_lo, s6
	v_mov_b32_e32 v0, 0xff
	s_mov_b32 s6, exec_lo
	v_and_b32_sdwa v0, v26, v0 dst_sel:DWORD dst_unused:UNUSED_PAD src0_sel:WORD_1 src1_sel:DWORD
	v_cmpx_ne_u16_e32 0, v0
	s_cbranch_execz .LBB370_930
; %bb.923:                              ;   in Loop: Header=BB370_10 Depth=1
	v_bfrev_b32_e32 v6, 1
	s_mov_b32 s17, exec_lo
	v_cmpx_ne_u16_e32 0x80, v0
	s_cbranch_execz .LBB370_929
; %bb.924:                              ;   in Loop: Header=BB370_10 Depth=1
	v_bfe_u32 v2, v26, 16, 7
	v_mov_b32_e32 v6, 0x7f800001
	s_mov_b32 s19, exec_lo
	v_cmpx_ne_u32_e32 0x7f, v2
	s_cbranch_execz .LBB370_928
; %bb.925:                              ;   in Loop: Header=BB370_10 Depth=1
	v_mov_b32_e32 v0, 7
	s_mov_b32 s20, exec_lo
	v_and_b32_sdwa v4, v26, v0 dst_sel:DWORD dst_unused:UNUSED_PAD src0_sel:WORD_1 src1_sel:DWORD
	v_mov_b32_e32 v29, v5
	v_lshrrev_b32_e32 v0, 3, v2
	v_mov_b32_e32 v28, v4
	v_cmpx_gt_u32_e32 8, v2
; %bb.926:                              ;   in Loop: Header=BB370_10 Depth=1
	v_ffbh_u32_e32 v0, v4
	v_min_u32_e32 v0, 32, v0
	v_subrev_nc_u32_e32 v2, 28, v0
	v_sub_nc_u32_e32 v0, 29, v0
	v_lshlrev_b64 v[2:3], v2, v[4:5]
	v_and_b32_e32 v28, 7, v2
; %bb.927:                              ;   in Loop: Header=BB370_10 Depth=1
	s_or_b32 exec_lo, exec_lo, s20
	v_mov_b32_e32 v2, 24
	v_lshlrev_b32_e32 v3, 20, v28
	v_lshl_add_u32 v0, v0, 23, 0x3c000000
	v_lshlrev_b32_sdwa v2, v2, v26 dst_sel:DWORD dst_unused:UNUSED_PAD src0_sel:DWORD src1_sel:WORD_1
	v_and_b32_e32 v2, 0x80000000, v2
	v_or3_b32 v6, v3, v2, v0
.LBB370_928:                            ;   in Loop: Header=BB370_10 Depth=1
	s_or_b32 exec_lo, exec_lo, s19
.LBB370_929:                            ;   in Loop: Header=BB370_10 Depth=1
	s_or_b32 exec_lo, exec_lo, s17
.LBB370_930:                            ;   in Loop: Header=BB370_10 Depth=1
	s_or_b32 exec_lo, exec_lo, s6
	v_mov_b32_e32 v2, 0
	v_mov_b32_e32 v11, 0
	s_mov_b32 s6, exec_lo
	v_cmpx_lt_u32_e32 0xffffff, v26
	s_cbranch_execz .LBB370_938
; %bb.931:                              ;   in Loop: Header=BB370_10 Depth=1
	v_cmp_ne_u32_sdwa s5, v26, v107 src0_sel:BYTE_3 src1_sel:DWORD
	v_bfrev_b32_e32 v11, 1
	s_and_saveexec_b32 s17, s5
	s_cbranch_execz .LBB370_937
; %bb.932:                              ;   in Loop: Header=BB370_10 Depth=1
	v_bfe_u32 v3, v26, 24, 7
	v_mov_b32_e32 v11, 0x7f800001
	s_mov_b32 s19, exec_lo
	v_cmpx_ne_u32_e32 0x7f, v3
	s_cbranch_execz .LBB370_936
; %bb.933:                              ;   in Loop: Header=BB370_10 Depth=1
	v_mov_b32_e32 v0, 7
	s_mov_b32 s20, exec_lo
	v_and_b32_sdwa v4, v26, v0 dst_sel:DWORD dst_unused:UNUSED_PAD src0_sel:BYTE_3 src1_sel:DWORD
	v_mov_b32_e32 v29, v5
	v_lshrrev_b32_e32 v0, 3, v3
	v_mov_b32_e32 v28, v4
	v_cmpx_gt_u32_e32 8, v3
; %bb.934:                              ;   in Loop: Header=BB370_10 Depth=1
	v_ffbh_u32_e32 v0, v4
	v_min_u32_e32 v0, 32, v0
	v_subrev_nc_u32_e32 v3, 28, v0
	v_sub_nc_u32_e32 v0, 29, v0
	v_lshlrev_b64 v[3:4], v3, v[4:5]
	v_and_b32_e32 v28, 7, v3
; %bb.935:                              ;   in Loop: Header=BB370_10 Depth=1
	s_or_b32 exec_lo, exec_lo, s20
	v_mov_b32_e32 v3, 24
	v_lshlrev_b32_e32 v4, 20, v28
	v_lshl_add_u32 v0, v0, 23, 0x3c000000
	v_lshlrev_b32_sdwa v3, v3, v26 dst_sel:DWORD dst_unused:UNUSED_PAD src0_sel:DWORD src1_sel:BYTE_3
	v_and_b32_e32 v3, 0x80000000, v3
	v_or3_b32 v11, v4, v3, v0
.LBB370_936:                            ;   in Loop: Header=BB370_10 Depth=1
	s_or_b32 exec_lo, exec_lo, s19
.LBB370_937:                            ;   in Loop: Header=BB370_10 Depth=1
	s_or_b32 exec_lo, exec_lo, s17
.LBB370_938:                            ;   in Loop: Header=BB370_10 Depth=1
	s_or_b32 exec_lo, exec_lo, s6
	v_mov_b32_e32 v4, v27
	v_cmp_ne_u16_sdwa s5, v27, v5 src0_sel:BYTE_0 src1_sel:DWORD
	s_and_saveexec_b32 s6, s5
	s_cbranch_execz .LBB370_946
; %bb.939:                              ;   in Loop: Header=BB370_10 Depth=1
	v_cmp_ne_u16_sdwa s5, v27, v107 src0_sel:BYTE_0 src1_sel:DWORD
	v_bfrev_b32_e32 v2, 1
	s_and_saveexec_b32 s17, s5
	s_cbranch_execz .LBB370_945
; %bb.940:                              ;   in Loop: Header=BB370_10 Depth=1
	v_and_b32_e32 v3, 0x7f, v27
	v_mov_b32_e32 v2, 0x7f800001
	s_mov_b32 s19, exec_lo
	v_cmpx_ne_u32_e32 0x7f, v3
	s_cbranch_execz .LBB370_944
; %bb.941:                              ;   in Loop: Header=BB370_10 Depth=1
	v_mov_b32_e32 v29, v5
	v_lshrrev_b32_e32 v0, 3, v3
	v_mov_b32_e32 v28, v4
	s_mov_b32 s20, exec_lo
	v_cmpx_gt_u32_e32 8, v3
; %bb.942:                              ;   in Loop: Header=BB370_10 Depth=1
	v_and_b32_e32 v0, 7, v27
	v_ffbh_u32_e32 v0, v0
	v_min_u32_e32 v0, 32, v0
	v_subrev_nc_u32_e32 v2, 28, v0
	v_sub_nc_u32_e32 v0, 29, v0
	v_lshlrev_b64 v[28:29], v2, v[4:5]
; %bb.943:                              ;   in Loop: Header=BB370_10 Depth=1
	s_or_b32 exec_lo, exec_lo, s20
	v_lshlrev_b32_e32 v2, 20, v28
	v_lshlrev_b32_e32 v3, 24, v4
	v_lshl_add_u32 v0, v0, 23, 0x3c000000
	v_and_b32_e32 v2, 0x700000, v2
	v_and_b32_e32 v3, 0x80000000, v3
	v_or3_b32 v2, v2, v3, v0
.LBB370_944:                            ;   in Loop: Header=BB370_10 Depth=1
	s_or_b32 exec_lo, exec_lo, s19
.LBB370_945:                            ;   in Loop: Header=BB370_10 Depth=1
	s_or_b32 exec_lo, exec_lo, s17
.LBB370_946:                            ;   in Loop: Header=BB370_10 Depth=1
	s_or_b32 exec_lo, exec_lo, s6
	v_cmp_ne_u16_sdwa s5, v4, v5 src0_sel:BYTE_1 src1_sel:DWORD
	v_mov_b32_e32 v0, 0
	v_mov_b32_e32 v49, 0
	s_and_saveexec_b32 s6, s5
	s_cbranch_execz .LBB370_954
; %bb.947:                              ;   in Loop: Header=BB370_10 Depth=1
	v_cmp_ne_u16_sdwa s5, v4, v107 src0_sel:BYTE_1 src1_sel:DWORD
	v_bfrev_b32_e32 v49, 1
	s_and_saveexec_b32 s17, s5
	s_cbranch_execz .LBB370_953
; %bb.948:                              ;   in Loop: Header=BB370_10 Depth=1
	v_mov_b32_e32 v3, 0xffff
	v_mov_b32_e32 v49, 0x7f800001
	s_mov_b32 s19, exec_lo
	v_and_b32_sdwa v3, v3, v4 dst_sel:DWORD dst_unused:UNUSED_PAD src0_sel:DWORD src1_sel:BYTE_1
	v_and_b32_e32 v10, 0x7f, v3
	v_cmpx_ne_u32_e32 0x7f, v10
	s_cbranch_execz .LBB370_952
; %bb.949:                              ;   in Loop: Header=BB370_10 Depth=1
	v_and_b32_e32 v28, 7, v3
	v_mov_b32_e32 v29, v5
	v_lshrrev_b32_e32 v3, 3, v10
	s_mov_b32 s20, exec_lo
	v_cmpx_gt_u32_e32 8, v10
; %bb.950:                              ;   in Loop: Header=BB370_10 Depth=1
	v_ffbh_u32_e32 v3, v28
	v_min_u32_e32 v3, 32, v3
	v_subrev_nc_u32_e32 v10, 28, v3
	v_sub_nc_u32_e32 v3, 29, v3
	v_lshlrev_b64 v[14:15], v10, v[28:29]
	v_and_b32_e32 v28, 7, v14
; %bb.951:                              ;   in Loop: Header=BB370_10 Depth=1
	s_or_b32 exec_lo, exec_lo, s20
	v_lshlrev_b32_e32 v4, 16, v4
	v_lshlrev_b32_e32 v10, 20, v28
	v_lshl_add_u32 v3, v3, 23, 0x3c000000
	v_and_b32_e32 v4, 0x80000000, v4
	v_or3_b32 v49, v10, v4, v3
.LBB370_952:                            ;   in Loop: Header=BB370_10 Depth=1
	s_or_b32 exec_lo, exec_lo, s19
.LBB370_953:                            ;   in Loop: Header=BB370_10 Depth=1
	s_or_b32 exec_lo, exec_lo, s17
.LBB370_954:                            ;   in Loop: Header=BB370_10 Depth=1
	s_or_b32 exec_lo, exec_lo, s6
	v_mov_b32_e32 v3, 0xff
	s_mov_b32 s6, exec_lo
	v_and_b32_sdwa v3, v27, v3 dst_sel:DWORD dst_unused:UNUSED_PAD src0_sel:WORD_1 src1_sel:DWORD
	v_cmpx_ne_u16_e32 0, v3
	s_cbranch_execz .LBB370_962
; %bb.955:                              ;   in Loop: Header=BB370_10 Depth=1
	v_bfrev_b32_e32 v0, 1
	s_mov_b32 s17, exec_lo
	v_cmpx_ne_u16_e32 0x80, v3
	s_cbranch_execz .LBB370_961
; %bb.956:                              ;   in Loop: Header=BB370_10 Depth=1
	v_bfe_u32 v3, v27, 16, 7
	v_mov_b32_e32 v0, 0x7f800001
	s_mov_b32 s19, exec_lo
	v_cmpx_ne_u32_e32 0x7f, v3
	s_cbranch_execz .LBB370_960
; %bb.957:                              ;   in Loop: Header=BB370_10 Depth=1
	v_mov_b32_e32 v0, 7
	s_mov_b32 s20, exec_lo
	v_and_b32_sdwa v4, v27, v0 dst_sel:DWORD dst_unused:UNUSED_PAD src0_sel:WORD_1 src1_sel:DWORD
	v_mov_b32_e32 v29, v5
	v_lshrrev_b32_e32 v0, 3, v3
	v_mov_b32_e32 v28, v4
	v_cmpx_gt_u32_e32 8, v3
; %bb.958:                              ;   in Loop: Header=BB370_10 Depth=1
	v_ffbh_u32_e32 v0, v4
	v_min_u32_e32 v0, 32, v0
	v_subrev_nc_u32_e32 v3, 28, v0
	v_sub_nc_u32_e32 v0, 29, v0
	v_lshlrev_b64 v[3:4], v3, v[4:5]
	v_and_b32_e32 v28, 7, v3
; %bb.959:                              ;   in Loop: Header=BB370_10 Depth=1
	s_or_b32 exec_lo, exec_lo, s20
	v_mov_b32_e32 v3, 24
	v_lshlrev_b32_e32 v4, 20, v28
	v_lshl_add_u32 v0, v0, 23, 0x3c000000
	v_lshlrev_b32_sdwa v3, v3, v27 dst_sel:DWORD dst_unused:UNUSED_PAD src0_sel:DWORD src1_sel:WORD_1
	v_and_b32_e32 v3, 0x80000000, v3
	v_or3_b32 v0, v4, v3, v0
.LBB370_960:                            ;   in Loop: Header=BB370_10 Depth=1
	s_or_b32 exec_lo, exec_lo, s19
.LBB370_961:                            ;   in Loop: Header=BB370_10 Depth=1
	s_or_b32 exec_lo, exec_lo, s17
.LBB370_962:                            ;   in Loop: Header=BB370_10 Depth=1
	s_or_b32 exec_lo, exec_lo, s6
	v_mov_b32_e32 v19, 0
	v_mov_b32_e32 v126, 0
	s_mov_b32 s6, exec_lo
	v_cmpx_lt_u64_e64 s[8:9], v[26:27]
	s_cbranch_execz .LBB370_970
; %bb.963:                              ;   in Loop: Header=BB370_10 Depth=1
	v_cmp_ne_u32_sdwa s5, v27, v107 src0_sel:BYTE_3 src1_sel:DWORD
	v_bfrev_b32_e32 v126, 1
	s_and_saveexec_b32 s17, s5
	s_cbranch_execz .LBB370_969
; %bb.964:                              ;   in Loop: Header=BB370_10 Depth=1
	v_bfe_u32 v10, v27, 24, 7
	v_mov_b32_e32 v126, 0x7f800001
	s_mov_b32 s19, exec_lo
	v_cmpx_ne_u32_e32 0x7f, v10
	s_cbranch_execz .LBB370_968
; %bb.965:                              ;   in Loop: Header=BB370_10 Depth=1
	v_mov_b32_e32 v3, 7
	s_mov_b32 s20, exec_lo
	v_and_b32_sdwa v4, v27, v3 dst_sel:DWORD dst_unused:UNUSED_PAD src0_sel:BYTE_3 src1_sel:DWORD
	v_mov_b32_e32 v29, v5
	v_lshrrev_b32_e32 v3, 3, v10
	v_mov_b32_e32 v28, v4
	v_cmpx_gt_u32_e32 8, v10
; %bb.966:                              ;   in Loop: Header=BB370_10 Depth=1
	v_ffbh_u32_e32 v3, v4
	v_min_u32_e32 v3, 32, v3
	v_subrev_nc_u32_e32 v10, 28, v3
	v_sub_nc_u32_e32 v3, 29, v3
	v_lshlrev_b64 v[14:15], v10, v[4:5]
	v_and_b32_e32 v28, 7, v14
; %bb.967:                              ;   in Loop: Header=BB370_10 Depth=1
	s_or_b32 exec_lo, exec_lo, s20
	v_mov_b32_e32 v4, 24
	v_lshlrev_b32_e32 v10, 20, v28
	v_lshl_add_u32 v3, v3, 23, 0x3c000000
	v_lshlrev_b32_sdwa v4, v4, v27 dst_sel:DWORD dst_unused:UNUSED_PAD src0_sel:DWORD src1_sel:BYTE_3
	v_and_b32_e32 v4, 0x80000000, v4
	v_or3_b32 v126, v10, v4, v3
.LBB370_968:                            ;   in Loop: Header=BB370_10 Depth=1
	s_or_b32 exec_lo, exec_lo, s19
.LBB370_969:                            ;   in Loop: Header=BB370_10 Depth=1
	s_or_b32 exec_lo, exec_lo, s17
.LBB370_970:                            ;   in Loop: Header=BB370_10 Depth=1
	s_or_b32 exec_lo, exec_lo, s6
	flat_load_dwordx2 v[24:25], v[24:25] offset:1544
	s_waitcnt vmcnt(0) lgkmcnt(0)
	v_cmp_ne_u16_sdwa s5, v24, v5 src0_sel:BYTE_0 src1_sel:DWORD
	s_and_saveexec_b32 s6, s5
	s_cbranch_execz .LBB370_978
; %bb.971:                              ;   in Loop: Header=BB370_10 Depth=1
	v_cmp_ne_u16_sdwa s5, v24, v107 src0_sel:BYTE_0 src1_sel:DWORD
	v_bfrev_b32_e32 v19, 1
	s_and_saveexec_b32 s17, s5
	s_cbranch_execz .LBB370_977
; %bb.972:                              ;   in Loop: Header=BB370_10 Depth=1
	v_and_b32_e32 v4, 0x7f, v24
	v_mov_b32_e32 v19, 0x7f800001
	s_mov_b32 s19, exec_lo
	v_cmpx_ne_u32_e32 0x7f, v4
	s_cbranch_execz .LBB370_976
; %bb.973:                              ;   in Loop: Header=BB370_10 Depth=1
	v_mov_b32_e32 v27, v25
	v_lshrrev_b32_e32 v3, 3, v4
	v_mov_b32_e32 v26, v24
	s_mov_b32 s20, exec_lo
	v_cmpx_gt_u32_e32 8, v4
; %bb.974:                              ;   in Loop: Header=BB370_10 Depth=1
	v_and_b32_e32 v3, 7, v24
	v_ffbh_u32_e32 v3, v3
	v_min_u32_e32 v3, 32, v3
	v_subrev_nc_u32_e32 v4, 28, v3
	v_sub_nc_u32_e32 v3, 29, v3
	v_lshlrev_b64 v[26:27], v4, v[24:25]
; %bb.975:                              ;   in Loop: Header=BB370_10 Depth=1
	s_or_b32 exec_lo, exec_lo, s20
	v_lshlrev_b32_e32 v4, 20, v26
	v_lshlrev_b32_e32 v10, 24, v24
	v_lshl_add_u32 v3, v3, 23, 0x3c000000
	v_and_b32_e32 v4, 0x700000, v4
	v_and_b32_e32 v10, 0x80000000, v10
	v_or3_b32 v19, v4, v10, v3
.LBB370_976:                            ;   in Loop: Header=BB370_10 Depth=1
	s_or_b32 exec_lo, exec_lo, s19
.LBB370_977:                            ;   in Loop: Header=BB370_10 Depth=1
	s_or_b32 exec_lo, exec_lo, s17
.LBB370_978:                            ;   in Loop: Header=BB370_10 Depth=1
	s_or_b32 exec_lo, exec_lo, s6
	v_cmp_ne_u16_sdwa s5, v24, v5 src0_sel:BYTE_1 src1_sel:DWORD
	v_mov_b32_e32 v22, 0
	v_mov_b32_e32 v93, 0
	s_and_saveexec_b32 s6, s5
	s_cbranch_execz .LBB370_986
; %bb.979:                              ;   in Loop: Header=BB370_10 Depth=1
	v_cmp_ne_u16_sdwa s5, v24, v107 src0_sel:BYTE_1 src1_sel:DWORD
	v_bfrev_b32_e32 v93, 1
	s_and_saveexec_b32 s17, s5
	s_cbranch_execz .LBB370_985
; %bb.980:                              ;   in Loop: Header=BB370_10 Depth=1
	v_mov_b32_e32 v3, 0xffff
	v_mov_b32_e32 v93, 0x7f800001
	s_mov_b32 s19, exec_lo
	v_and_b32_sdwa v3, v3, v24 dst_sel:DWORD dst_unused:UNUSED_PAD src0_sel:DWORD src1_sel:BYTE_1
	v_and_b32_e32 v10, 0x7f, v3
	v_cmpx_ne_u32_e32 0x7f, v10
	s_cbranch_execz .LBB370_984
; %bb.981:                              ;   in Loop: Header=BB370_10 Depth=1
	v_and_b32_e32 v4, 7, v3
	v_mov_b32_e32 v27, v5
	v_lshrrev_b32_e32 v3, 3, v10
	s_mov_b32 s20, exec_lo
	v_mov_b32_e32 v26, v4
	v_cmpx_gt_u32_e32 8, v10
; %bb.982:                              ;   in Loop: Header=BB370_10 Depth=1
	v_ffbh_u32_e32 v3, v4
	v_min_u32_e32 v3, 32, v3
	v_subrev_nc_u32_e32 v10, 28, v3
	v_sub_nc_u32_e32 v3, 29, v3
	v_lshlrev_b64 v[14:15], v10, v[4:5]
	v_and_b32_e32 v26, 7, v14
; %bb.983:                              ;   in Loop: Header=BB370_10 Depth=1
	s_or_b32 exec_lo, exec_lo, s20
	v_lshlrev_b32_e32 v4, 16, v24
	v_lshlrev_b32_e32 v10, 20, v26
	v_lshl_add_u32 v3, v3, 23, 0x3c000000
	v_and_b32_e32 v4, 0x80000000, v4
	v_or3_b32 v93, v10, v4, v3
.LBB370_984:                            ;   in Loop: Header=BB370_10 Depth=1
	s_or_b32 exec_lo, exec_lo, s19
.LBB370_985:                            ;   in Loop: Header=BB370_10 Depth=1
	s_or_b32 exec_lo, exec_lo, s17
.LBB370_986:                            ;   in Loop: Header=BB370_10 Depth=1
	s_or_b32 exec_lo, exec_lo, s6
	v_mov_b32_e32 v3, 0xff
	s_mov_b32 s6, exec_lo
	v_and_b32_sdwa v3, v24, v3 dst_sel:DWORD dst_unused:UNUSED_PAD src0_sel:WORD_1 src1_sel:DWORD
	v_cmpx_ne_u16_e32 0, v3
	s_cbranch_execz .LBB370_994
; %bb.987:                              ;   in Loop: Header=BB370_10 Depth=1
	v_bfrev_b32_e32 v22, 1
	s_mov_b32 s17, exec_lo
	v_cmpx_ne_u16_e32 0x80, v3
	s_cbranch_execz .LBB370_993
; %bb.988:                              ;   in Loop: Header=BB370_10 Depth=1
	v_bfe_u32 v10, v24, 16, 7
	v_mov_b32_e32 v22, 0x7f800001
	s_mov_b32 s19, exec_lo
	v_cmpx_ne_u32_e32 0x7f, v10
	s_cbranch_execz .LBB370_992
; %bb.989:                              ;   in Loop: Header=BB370_10 Depth=1
	v_mov_b32_e32 v3, 7
	s_mov_b32 s20, exec_lo
	v_and_b32_sdwa v4, v24, v3 dst_sel:DWORD dst_unused:UNUSED_PAD src0_sel:WORD_1 src1_sel:DWORD
	v_mov_b32_e32 v27, v5
	v_lshrrev_b32_e32 v3, 3, v10
	v_mov_b32_e32 v26, v4
	v_cmpx_gt_u32_e32 8, v10
; %bb.990:                              ;   in Loop: Header=BB370_10 Depth=1
	v_ffbh_u32_e32 v3, v4
	v_min_u32_e32 v3, 32, v3
	v_subrev_nc_u32_e32 v10, 28, v3
	v_sub_nc_u32_e32 v3, 29, v3
	v_lshlrev_b64 v[14:15], v10, v[4:5]
	v_and_b32_e32 v26, 7, v14
; %bb.991:                              ;   in Loop: Header=BB370_10 Depth=1
	s_or_b32 exec_lo, exec_lo, s20
	v_mov_b32_e32 v4, 24
	v_lshlrev_b32_e32 v10, 20, v26
	v_lshl_add_u32 v3, v3, 23, 0x3c000000
	v_lshlrev_b32_sdwa v4, v4, v24 dst_sel:DWORD dst_unused:UNUSED_PAD src0_sel:DWORD src1_sel:WORD_1
	v_and_b32_e32 v4, 0x80000000, v4
	v_or3_b32 v22, v10, v4, v3
.LBB370_992:                            ;   in Loop: Header=BB370_10 Depth=1
	s_or_b32 exec_lo, exec_lo, s19
.LBB370_993:                            ;   in Loop: Header=BB370_10 Depth=1
	s_or_b32 exec_lo, exec_lo, s17
.LBB370_994:                            ;   in Loop: Header=BB370_10 Depth=1
	s_or_b32 exec_lo, exec_lo, s6
	v_mov_b32_e32 v114, 0
	v_mov_b32_e32 v23, 0
	s_mov_b32 s6, exec_lo
	v_cmpx_lt_u32_e32 0xffffff, v24
	s_cbranch_execz .LBB370_1002
; %bb.995:                              ;   in Loop: Header=BB370_10 Depth=1
	v_cmp_ne_u32_sdwa s5, v24, v107 src0_sel:BYTE_3 src1_sel:DWORD
	v_bfrev_b32_e32 v23, 1
	s_and_saveexec_b32 s17, s5
	s_cbranch_execz .LBB370_1001
; %bb.996:                              ;   in Loop: Header=BB370_10 Depth=1
	v_bfe_u32 v10, v24, 24, 7
	v_mov_b32_e32 v23, 0x7f800001
	s_mov_b32 s19, exec_lo
	v_cmpx_ne_u32_e32 0x7f, v10
	s_cbranch_execz .LBB370_1000
; %bb.997:                              ;   in Loop: Header=BB370_10 Depth=1
	v_mov_b32_e32 v3, 7
	s_mov_b32 s20, exec_lo
	v_and_b32_sdwa v4, v24, v3 dst_sel:DWORD dst_unused:UNUSED_PAD src0_sel:BYTE_3 src1_sel:DWORD
	v_mov_b32_e32 v27, v5
	v_lshrrev_b32_e32 v3, 3, v10
	v_mov_b32_e32 v26, v4
	v_cmpx_gt_u32_e32 8, v10
; %bb.998:                              ;   in Loop: Header=BB370_10 Depth=1
	v_ffbh_u32_e32 v3, v4
	v_min_u32_e32 v3, 32, v3
	v_subrev_nc_u32_e32 v10, 28, v3
	v_sub_nc_u32_e32 v3, 29, v3
	v_lshlrev_b64 v[14:15], v10, v[4:5]
	v_and_b32_e32 v26, 7, v14
; %bb.999:                              ;   in Loop: Header=BB370_10 Depth=1
	s_or_b32 exec_lo, exec_lo, s20
	v_mov_b32_e32 v4, 24
	v_lshlrev_b32_e32 v10, 20, v26
	v_lshl_add_u32 v3, v3, 23, 0x3c000000
	v_lshlrev_b32_sdwa v4, v4, v24 dst_sel:DWORD dst_unused:UNUSED_PAD src0_sel:DWORD src1_sel:BYTE_3
	v_and_b32_e32 v4, 0x80000000, v4
	v_or3_b32 v23, v10, v4, v3
.LBB370_1000:                           ;   in Loop: Header=BB370_10 Depth=1
	s_or_b32 exec_lo, exec_lo, s19
.LBB370_1001:                           ;   in Loop: Header=BB370_10 Depth=1
	s_or_b32 exec_lo, exec_lo, s17
.LBB370_1002:                           ;   in Loop: Header=BB370_10 Depth=1
	s_or_b32 exec_lo, exec_lo, s6
	v_mov_b32_e32 v4, v25
	v_cmp_ne_u16_sdwa s5, v25, v5 src0_sel:BYTE_0 src1_sel:DWORD
	s_and_saveexec_b32 s6, s5
	s_cbranch_execz .LBB370_1010
; %bb.1003:                             ;   in Loop: Header=BB370_10 Depth=1
	v_cmp_ne_u16_sdwa s5, v25, v107 src0_sel:BYTE_0 src1_sel:DWORD
	v_bfrev_b32_e32 v114, 1
	s_and_saveexec_b32 s17, s5
	s_cbranch_execz .LBB370_1009
; %bb.1004:                             ;   in Loop: Header=BB370_10 Depth=1
	v_and_b32_e32 v10, 0x7f, v25
	v_mov_b32_e32 v114, 0x7f800001
	s_mov_b32 s19, exec_lo
	v_cmpx_ne_u32_e32 0x7f, v10
	s_cbranch_execz .LBB370_1008
; %bb.1005:                             ;   in Loop: Header=BB370_10 Depth=1
	v_mov_b32_e32 v27, v5
	v_mov_b32_e32 v26, v4
	v_lshrrev_b32_e32 v3, 3, v10
	s_mov_b32 s20, exec_lo
	v_cmpx_gt_u32_e32 8, v10
; %bb.1006:                             ;   in Loop: Header=BB370_10 Depth=1
	v_and_b32_e32 v3, 7, v25
	v_ffbh_u32_e32 v3, v3
	v_min_u32_e32 v3, 32, v3
	v_subrev_nc_u32_e32 v10, 28, v3
	v_sub_nc_u32_e32 v3, 29, v3
	v_lshlrev_b64 v[26:27], v10, v[4:5]
; %bb.1007:                             ;   in Loop: Header=BB370_10 Depth=1
	s_or_b32 exec_lo, exec_lo, s20
	v_lshlrev_b32_e32 v10, 20, v26
	v_lshlrev_b32_e32 v14, 24, v4
	v_lshl_add_u32 v3, v3, 23, 0x3c000000
	v_and_b32_e32 v10, 0x700000, v10
	v_and_b32_e32 v14, 0x80000000, v14
	v_or3_b32 v114, v10, v14, v3
.LBB370_1008:                           ;   in Loop: Header=BB370_10 Depth=1
	s_or_b32 exec_lo, exec_lo, s19
.LBB370_1009:                           ;   in Loop: Header=BB370_10 Depth=1
	s_or_b32 exec_lo, exec_lo, s17
.LBB370_1010:                           ;   in Loop: Header=BB370_10 Depth=1
	s_or_b32 exec_lo, exec_lo, s6
	v_cmp_ne_u16_sdwa s5, v4, v5 src0_sel:BYTE_1 src1_sel:DWORD
	v_mov_b32_e32 v3, 0
	v_mov_b32_e32 v65, 0
	s_and_saveexec_b32 s6, s5
	s_cbranch_execz .LBB370_1018
; %bb.1011:                             ;   in Loop: Header=BB370_10 Depth=1
	v_cmp_ne_u16_sdwa s5, v4, v107 src0_sel:BYTE_1 src1_sel:DWORD
	v_bfrev_b32_e32 v65, 1
	s_and_saveexec_b32 s17, s5
	s_cbranch_execz .LBB370_1017
; %bb.1012:                             ;   in Loop: Header=BB370_10 Depth=1
	v_mov_b32_e32 v10, 0xffff
	v_mov_b32_e32 v65, 0x7f800001
	s_mov_b32 s19, exec_lo
	v_and_b32_sdwa v10, v10, v4 dst_sel:DWORD dst_unused:UNUSED_PAD src0_sel:DWORD src1_sel:BYTE_1
	v_and_b32_e32 v14, 0x7f, v10
	v_cmpx_ne_u32_e32 0x7f, v14
	s_cbranch_execz .LBB370_1016
; %bb.1013:                             ;   in Loop: Header=BB370_10 Depth=1
	v_and_b32_e32 v26, 7, v10
	v_mov_b32_e32 v27, v5
	v_lshrrev_b32_e32 v10, 3, v14
	s_mov_b32 s20, exec_lo
	v_cmpx_gt_u32_e32 8, v14
; %bb.1014:                             ;   in Loop: Header=BB370_10 Depth=1
	v_ffbh_u32_e32 v10, v26
	v_min_u32_e32 v10, 32, v10
	v_subrev_nc_u32_e32 v14, 28, v10
	v_sub_nc_u32_e32 v10, 29, v10
	v_lshlrev_b64 v[14:15], v14, v[26:27]
	v_and_b32_e32 v26, 7, v14
; %bb.1015:                             ;   in Loop: Header=BB370_10 Depth=1
	s_or_b32 exec_lo, exec_lo, s20
	v_lshlrev_b32_e32 v4, 16, v4
	v_lshlrev_b32_e32 v14, 20, v26
	v_lshl_add_u32 v10, v10, 23, 0x3c000000
	v_and_b32_e32 v4, 0x80000000, v4
	v_or3_b32 v65, v14, v4, v10
.LBB370_1016:                           ;   in Loop: Header=BB370_10 Depth=1
	s_or_b32 exec_lo, exec_lo, s19
.LBB370_1017:                           ;   in Loop: Header=BB370_10 Depth=1
	s_or_b32 exec_lo, exec_lo, s17
.LBB370_1018:                           ;   in Loop: Header=BB370_10 Depth=1
	s_or_b32 exec_lo, exec_lo, s6
	v_mov_b32_e32 v4, 0xff
	s_mov_b32 s6, exec_lo
	v_and_b32_sdwa v4, v25, v4 dst_sel:DWORD dst_unused:UNUSED_PAD src0_sel:WORD_1 src1_sel:DWORD
	v_cmpx_ne_u16_e32 0, v4
	s_cbranch_execz .LBB370_1026
; %bb.1019:                             ;   in Loop: Header=BB370_10 Depth=1
	v_bfrev_b32_e32 v3, 1
	s_mov_b32 s17, exec_lo
	v_cmpx_ne_u16_e32 0x80, v4
	s_cbranch_execz .LBB370_1025
; %bb.1020:                             ;   in Loop: Header=BB370_10 Depth=1
	v_bfe_u32 v10, v25, 16, 7
	v_mov_b32_e32 v3, 0x7f800001
	s_mov_b32 s19, exec_lo
	v_cmpx_ne_u32_e32 0x7f, v10
	s_cbranch_execz .LBB370_1024
; %bb.1021:                             ;   in Loop: Header=BB370_10 Depth=1
	v_mov_b32_e32 v3, 7
	s_mov_b32 s20, exec_lo
	v_and_b32_sdwa v4, v25, v3 dst_sel:DWORD dst_unused:UNUSED_PAD src0_sel:WORD_1 src1_sel:DWORD
	v_mov_b32_e32 v27, v5
	v_lshrrev_b32_e32 v3, 3, v10
	v_mov_b32_e32 v26, v4
	v_cmpx_gt_u32_e32 8, v10
; %bb.1022:                             ;   in Loop: Header=BB370_10 Depth=1
	v_ffbh_u32_e32 v3, v4
	v_min_u32_e32 v3, 32, v3
	v_subrev_nc_u32_e32 v10, 28, v3
	v_sub_nc_u32_e32 v3, 29, v3
	v_lshlrev_b64 v[14:15], v10, v[4:5]
	v_and_b32_e32 v26, 7, v14
; %bb.1023:                             ;   in Loop: Header=BB370_10 Depth=1
	s_or_b32 exec_lo, exec_lo, s20
	v_mov_b32_e32 v4, 24
	v_lshlrev_b32_e32 v10, 20, v26
	v_lshl_add_u32 v3, v3, 23, 0x3c000000
	v_lshlrev_b32_sdwa v4, v4, v25 dst_sel:DWORD dst_unused:UNUSED_PAD src0_sel:DWORD src1_sel:WORD_1
	v_and_b32_e32 v4, 0x80000000, v4
	v_or3_b32 v3, v10, v4, v3
.LBB370_1024:                           ;   in Loop: Header=BB370_10 Depth=1
	s_or_b32 exec_lo, exec_lo, s19
.LBB370_1025:                           ;   in Loop: Header=BB370_10 Depth=1
	s_or_b32 exec_lo, exec_lo, s17
.LBB370_1026:                           ;   in Loop: Header=BB370_10 Depth=1
	s_or_b32 exec_lo, exec_lo, s6
	v_mov_b32_e32 v36, 0
	v_mov_b32_e32 v10, 0
	s_mov_b32 s6, exec_lo
	v_cmpx_lt_u64_e64 s[8:9], v[24:25]
	s_cbranch_execz .LBB370_1034
; %bb.1027:                             ;   in Loop: Header=BB370_10 Depth=1
	v_cmp_ne_u32_sdwa s5, v25, v107 src0_sel:BYTE_3 src1_sel:DWORD
	v_bfrev_b32_e32 v10, 1
	s_and_saveexec_b32 s17, s5
	s_cbranch_execz .LBB370_1033
; %bb.1028:                             ;   in Loop: Header=BB370_10 Depth=1
	v_bfe_u32 v14, v25, 24, 7
	v_mov_b32_e32 v10, 0x7f800001
	s_mov_b32 s19, exec_lo
	v_cmpx_ne_u32_e32 0x7f, v14
	s_cbranch_execz .LBB370_1032
; %bb.1029:                             ;   in Loop: Header=BB370_10 Depth=1
	v_mov_b32_e32 v4, 7
	v_lshrrev_b32_e32 v10, 3, v14
	s_mov_b32 s20, exec_lo
	v_and_b32_sdwa v4, v25, v4 dst_sel:DWORD dst_unused:UNUSED_PAD src0_sel:BYTE_3 src1_sel:DWORD
	v_mov_b32_e32 v27, v5
	v_mov_b32_e32 v26, v4
	v_cmpx_gt_u32_e32 8, v14
; %bb.1030:                             ;   in Loop: Header=BB370_10 Depth=1
	v_ffbh_u32_e32 v10, v4
	v_min_u32_e32 v10, 32, v10
	v_subrev_nc_u32_e32 v14, 28, v10
	v_sub_nc_u32_e32 v10, 29, v10
	v_lshlrev_b64 v[14:15], v14, v[4:5]
	v_and_b32_e32 v26, 7, v14
; %bb.1031:                             ;   in Loop: Header=BB370_10 Depth=1
	s_or_b32 exec_lo, exec_lo, s20
	v_mov_b32_e32 v4, 24
	v_lshlrev_b32_e32 v14, 20, v26
	v_lshl_add_u32 v10, v10, 23, 0x3c000000
	v_lshlrev_b32_sdwa v4, v4, v25 dst_sel:DWORD dst_unused:UNUSED_PAD src0_sel:DWORD src1_sel:BYTE_3
	v_and_b32_e32 v4, 0x80000000, v4
	v_or3_b32 v10, v14, v4, v10
.LBB370_1032:                           ;   in Loop: Header=BB370_10 Depth=1
	s_or_b32 exec_lo, exec_lo, s19
.LBB370_1033:                           ;   in Loop: Header=BB370_10 Depth=1
	s_or_b32 exec_lo, exec_lo, s17
.LBB370_1034:                           ;   in Loop: Header=BB370_10 Depth=1
	s_or_b32 exec_lo, exec_lo, s6
	v_add_co_u32 v16, s5, 0x1000, v16
	v_add_co_ci_u32_e64 v17, null, 0, v17, s5
	flat_load_dwordx2 v[24:25], v[16:17]
	s_waitcnt vmcnt(0) lgkmcnt(0)
	v_cmp_ne_u16_sdwa s5, v24, v5 src0_sel:BYTE_0 src1_sel:DWORD
	s_and_saveexec_b32 s6, s5
	s_cbranch_execz .LBB370_1042
; %bb.1035:                             ;   in Loop: Header=BB370_10 Depth=1
	v_cmp_ne_u16_sdwa s5, v24, v107 src0_sel:BYTE_0 src1_sel:DWORD
	v_bfrev_b32_e32 v36, 1
	s_and_saveexec_b32 s17, s5
	s_cbranch_execz .LBB370_1041
; %bb.1036:                             ;   in Loop: Header=BB370_10 Depth=1
	v_and_b32_e32 v14, 0x7f, v24
	v_mov_b32_e32 v36, 0x7f800001
	s_mov_b32 s19, exec_lo
	v_cmpx_ne_u32_e32 0x7f, v14
	s_cbranch_execz .LBB370_1040
; %bb.1037:                             ;   in Loop: Header=BB370_10 Depth=1
	v_mov_b32_e32 v27, v25
	v_lshrrev_b32_e32 v4, 3, v14
	v_mov_b32_e32 v26, v24
	s_mov_b32 s20, exec_lo
	v_cmpx_gt_u32_e32 8, v14
; %bb.1038:                             ;   in Loop: Header=BB370_10 Depth=1
	v_and_b32_e32 v4, 7, v24
	v_ffbh_u32_e32 v4, v4
	v_min_u32_e32 v4, 32, v4
	v_subrev_nc_u32_e32 v14, 28, v4
	v_sub_nc_u32_e32 v4, 29, v4
	v_lshlrev_b64 v[26:27], v14, v[24:25]
; %bb.1039:                             ;   in Loop: Header=BB370_10 Depth=1
	s_or_b32 exec_lo, exec_lo, s20
	v_lshlrev_b32_e32 v14, 20, v26
	v_lshlrev_b32_e32 v15, 24, v24
	v_lshl_add_u32 v4, v4, 23, 0x3c000000
	v_and_b32_e32 v14, 0x700000, v14
	v_and_b32_e32 v15, 0x80000000, v15
	v_or3_b32 v36, v14, v15, v4
.LBB370_1040:                           ;   in Loop: Header=BB370_10 Depth=1
	s_or_b32 exec_lo, exec_lo, s19
.LBB370_1041:                           ;   in Loop: Header=BB370_10 Depth=1
	s_or_b32 exec_lo, exec_lo, s17
.LBB370_1042:                           ;   in Loop: Header=BB370_10 Depth=1
	s_or_b32 exec_lo, exec_lo, s6
	v_cmp_ne_u16_sdwa s5, v24, v5 src0_sel:BYTE_1 src1_sel:DWORD
	v_mov_b32_e32 v112, 0
	v_mov_b32_e32 v34, 0
	s_and_saveexec_b32 s6, s5
	s_cbranch_execz .LBB370_1050
; %bb.1043:                             ;   in Loop: Header=BB370_10 Depth=1
	v_cmp_ne_u16_sdwa s5, v24, v107 src0_sel:BYTE_1 src1_sel:DWORD
	v_bfrev_b32_e32 v34, 1
	s_and_saveexec_b32 s17, s5
	s_cbranch_execz .LBB370_1049
; %bb.1044:                             ;   in Loop: Header=BB370_10 Depth=1
	v_mov_b32_e32 v4, 0xffff
	v_mov_b32_e32 v34, 0x7f800001
	s_mov_b32 s19, exec_lo
	v_and_b32_sdwa v4, v4, v24 dst_sel:DWORD dst_unused:UNUSED_PAD src0_sel:DWORD src1_sel:BYTE_1
	v_and_b32_e32 v15, 0x7f, v4
	v_cmpx_ne_u32_e32 0x7f, v15
	s_cbranch_execz .LBB370_1048
; %bb.1045:                             ;   in Loop: Header=BB370_10 Depth=1
	v_and_b32_e32 v4, 7, v4
	v_mov_b32_e32 v27, v5
	v_lshrrev_b32_e32 v14, 3, v15
	s_mov_b32 s20, exec_lo
	v_mov_b32_e32 v26, v4
	v_cmpx_gt_u32_e32 8, v15
; %bb.1046:                             ;   in Loop: Header=BB370_10 Depth=1
	v_ffbh_u32_e32 v14, v4
	v_min_u32_e32 v14, 32, v14
	v_subrev_nc_u32_e32 v15, 28, v14
	v_sub_nc_u32_e32 v14, 29, v14
	v_lshlrev_b64 v[26:27], v15, v[4:5]
	v_and_b32_e32 v26, 7, v26
; %bb.1047:                             ;   in Loop: Header=BB370_10 Depth=1
	s_or_b32 exec_lo, exec_lo, s20
	v_lshlrev_b32_e32 v4, 16, v24
	v_lshlrev_b32_e32 v15, 20, v26
	v_lshl_add_u32 v14, v14, 23, 0x3c000000
	v_and_b32_e32 v4, 0x80000000, v4
	v_or3_b32 v34, v15, v4, v14
.LBB370_1048:                           ;   in Loop: Header=BB370_10 Depth=1
	s_or_b32 exec_lo, exec_lo, s19
.LBB370_1049:                           ;   in Loop: Header=BB370_10 Depth=1
	s_or_b32 exec_lo, exec_lo, s17
.LBB370_1050:                           ;   in Loop: Header=BB370_10 Depth=1
	s_or_b32 exec_lo, exec_lo, s6
	v_mov_b32_e32 v4, 0xff
	s_mov_b32 s6, exec_lo
	v_and_b32_sdwa v4, v24, v4 dst_sel:DWORD dst_unused:UNUSED_PAD src0_sel:WORD_1 src1_sel:DWORD
	v_cmpx_ne_u16_e32 0, v4
	s_cbranch_execz .LBB370_1058
; %bb.1051:                             ;   in Loop: Header=BB370_10 Depth=1
	v_bfrev_b32_e32 v112, 1
	s_mov_b32 s17, exec_lo
	v_cmpx_ne_u16_e32 0x80, v4
	s_cbranch_execz .LBB370_1057
; %bb.1052:                             ;   in Loop: Header=BB370_10 Depth=1
	v_bfe_u32 v15, v24, 16, 7
	v_mov_b32_e32 v112, 0x7f800001
	s_mov_b32 s19, exec_lo
	v_cmpx_ne_u32_e32 0x7f, v15
	s_cbranch_execz .LBB370_1056
; %bb.1053:                             ;   in Loop: Header=BB370_10 Depth=1
	v_mov_b32_e32 v4, 7
	v_lshrrev_b32_e32 v14, 3, v15
	s_mov_b32 s20, exec_lo
	v_and_b32_sdwa v4, v24, v4 dst_sel:DWORD dst_unused:UNUSED_PAD src0_sel:WORD_1 src1_sel:DWORD
	v_mov_b32_e32 v27, v5
	v_mov_b32_e32 v26, v4
	v_cmpx_gt_u32_e32 8, v15
; %bb.1054:                             ;   in Loop: Header=BB370_10 Depth=1
	v_ffbh_u32_e32 v14, v4
	v_min_u32_e32 v14, 32, v14
	v_subrev_nc_u32_e32 v15, 28, v14
	v_sub_nc_u32_e32 v14, 29, v14
	v_lshlrev_b64 v[26:27], v15, v[4:5]
	v_and_b32_e32 v26, 7, v26
; %bb.1055:                             ;   in Loop: Header=BB370_10 Depth=1
	s_or_b32 exec_lo, exec_lo, s20
	v_mov_b32_e32 v4, 24
	v_lshlrev_b32_e32 v15, 20, v26
	v_lshl_add_u32 v14, v14, 23, 0x3c000000
	v_lshlrev_b32_sdwa v4, v4, v24 dst_sel:DWORD dst_unused:UNUSED_PAD src0_sel:DWORD src1_sel:WORD_1
	v_and_b32_e32 v4, 0x80000000, v4
	v_or3_b32 v112, v15, v4, v14
.LBB370_1056:                           ;   in Loop: Header=BB370_10 Depth=1
	s_or_b32 exec_lo, exec_lo, s19
.LBB370_1057:                           ;   in Loop: Header=BB370_10 Depth=1
	s_or_b32 exec_lo, exec_lo, s17
.LBB370_1058:                           ;   in Loop: Header=BB370_10 Depth=1
	s_or_b32 exec_lo, exec_lo, s6
	v_mov_b32_e32 v48, 0
	v_mov_b32_e32 v37, 0
	s_mov_b32 s6, exec_lo
	v_cmpx_lt_u32_e32 0xffffff, v24
	s_cbranch_execz .LBB370_1066
; %bb.1059:                             ;   in Loop: Header=BB370_10 Depth=1
	v_cmp_ne_u32_sdwa s5, v24, v107 src0_sel:BYTE_3 src1_sel:DWORD
	v_bfrev_b32_e32 v37, 1
	s_and_saveexec_b32 s17, s5
	s_cbranch_execz .LBB370_1065
; %bb.1060:                             ;   in Loop: Header=BB370_10 Depth=1
	v_bfe_u32 v15, v24, 24, 7
	v_mov_b32_e32 v37, 0x7f800001
	s_mov_b32 s19, exec_lo
	v_cmpx_ne_u32_e32 0x7f, v15
	s_cbranch_execz .LBB370_1064
; %bb.1061:                             ;   in Loop: Header=BB370_10 Depth=1
	v_mov_b32_e32 v4, 7
	v_lshrrev_b32_e32 v14, 3, v15
	s_mov_b32 s20, exec_lo
	v_and_b32_sdwa v4, v24, v4 dst_sel:DWORD dst_unused:UNUSED_PAD src0_sel:BYTE_3 src1_sel:DWORD
	v_mov_b32_e32 v27, v5
	v_mov_b32_e32 v26, v4
	v_cmpx_gt_u32_e32 8, v15
; %bb.1062:                             ;   in Loop: Header=BB370_10 Depth=1
	v_ffbh_u32_e32 v14, v4
	v_min_u32_e32 v14, 32, v14
	v_subrev_nc_u32_e32 v15, 28, v14
	v_sub_nc_u32_e32 v14, 29, v14
	v_lshlrev_b64 v[26:27], v15, v[4:5]
	v_and_b32_e32 v26, 7, v26
; %bb.1063:                             ;   in Loop: Header=BB370_10 Depth=1
	s_or_b32 exec_lo, exec_lo, s20
	v_mov_b32_e32 v4, 24
	v_lshlrev_b32_e32 v15, 20, v26
	v_lshl_add_u32 v14, v14, 23, 0x3c000000
	v_lshlrev_b32_sdwa v4, v4, v24 dst_sel:DWORD dst_unused:UNUSED_PAD src0_sel:DWORD src1_sel:BYTE_3
	v_and_b32_e32 v4, 0x80000000, v4
	v_or3_b32 v37, v15, v4, v14
.LBB370_1064:                           ;   in Loop: Header=BB370_10 Depth=1
	s_or_b32 exec_lo, exec_lo, s19
.LBB370_1065:                           ;   in Loop: Header=BB370_10 Depth=1
	s_or_b32 exec_lo, exec_lo, s17
.LBB370_1066:                           ;   in Loop: Header=BB370_10 Depth=1
	s_or_b32 exec_lo, exec_lo, s6
	v_mov_b32_e32 v4, v25
	v_cmp_ne_u16_sdwa s5, v25, v5 src0_sel:BYTE_0 src1_sel:DWORD
	s_and_saveexec_b32 s6, s5
	s_cbranch_execz .LBB370_1074
; %bb.1067:                             ;   in Loop: Header=BB370_10 Depth=1
	v_cmp_ne_u16_sdwa s5, v25, v107 src0_sel:BYTE_0 src1_sel:DWORD
	v_bfrev_b32_e32 v48, 1
	s_and_saveexec_b32 s17, s5
	s_cbranch_execz .LBB370_1073
; %bb.1068:                             ;   in Loop: Header=BB370_10 Depth=1
	v_and_b32_e32 v15, 0x7f, v25
	v_mov_b32_e32 v48, 0x7f800001
	s_mov_b32 s19, exec_lo
	v_cmpx_ne_u32_e32 0x7f, v15
	s_cbranch_execz .LBB370_1072
; %bb.1069:                             ;   in Loop: Header=BB370_10 Depth=1
	v_mov_b32_e32 v27, v5
	v_mov_b32_e32 v26, v4
	v_lshrrev_b32_e32 v14, 3, v15
	s_mov_b32 s20, exec_lo
	v_cmpx_gt_u32_e32 8, v15
; %bb.1070:                             ;   in Loop: Header=BB370_10 Depth=1
	v_and_b32_e32 v14, 7, v25
	v_ffbh_u32_e32 v14, v14
	v_min_u32_e32 v14, 32, v14
	v_subrev_nc_u32_e32 v15, 28, v14
	v_sub_nc_u32_e32 v14, 29, v14
	v_lshlrev_b64 v[26:27], v15, v[4:5]
; %bb.1071:                             ;   in Loop: Header=BB370_10 Depth=1
	s_or_b32 exec_lo, exec_lo, s20
	v_lshlrev_b32_e32 v15, 20, v26
	v_lshlrev_b32_e32 v26, 24, v4
	v_lshl_add_u32 v14, v14, 23, 0x3c000000
	v_and_b32_e32 v15, 0x700000, v15
	v_and_b32_e32 v26, 0x80000000, v26
	v_or3_b32 v48, v15, v26, v14
.LBB370_1072:                           ;   in Loop: Header=BB370_10 Depth=1
	s_or_b32 exec_lo, exec_lo, s19
.LBB370_1073:                           ;   in Loop: Header=BB370_10 Depth=1
	s_or_b32 exec_lo, exec_lo, s17
.LBB370_1074:                           ;   in Loop: Header=BB370_10 Depth=1
	s_or_b32 exec_lo, exec_lo, s6
	v_cmp_ne_u16_sdwa s5, v4, v5 src0_sel:BYTE_1 src1_sel:DWORD
	v_mov_b32_e32 v35, 0
	v_mov_b32_e32 v103, 0
	s_and_saveexec_b32 s6, s5
	s_cbranch_execz .LBB370_1082
; %bb.1075:                             ;   in Loop: Header=BB370_10 Depth=1
	v_cmp_ne_u16_sdwa s5, v4, v107 src0_sel:BYTE_1 src1_sel:DWORD
	v_bfrev_b32_e32 v103, 1
	s_and_saveexec_b32 s17, s5
	s_cbranch_execz .LBB370_1081
; %bb.1076:                             ;   in Loop: Header=BB370_10 Depth=1
	v_mov_b32_e32 v14, 0xffff
	v_mov_b32_e32 v103, 0x7f800001
	s_mov_b32 s19, exec_lo
	v_and_b32_sdwa v14, v14, v4 dst_sel:DWORD dst_unused:UNUSED_PAD src0_sel:DWORD src1_sel:BYTE_1
	v_and_b32_e32 v15, 0x7f, v14
	v_cmpx_ne_u32_e32 0x7f, v15
	s_cbranch_execz .LBB370_1080
; %bb.1077:                             ;   in Loop: Header=BB370_10 Depth=1
	v_and_b32_e32 v26, 7, v14
	v_mov_b32_e32 v27, v5
	v_lshrrev_b32_e32 v14, 3, v15
	s_mov_b32 s20, exec_lo
	v_cmpx_gt_u32_e32 8, v15
; %bb.1078:                             ;   in Loop: Header=BB370_10 Depth=1
	v_ffbh_u32_e32 v14, v26
	v_min_u32_e32 v14, 32, v14
	v_subrev_nc_u32_e32 v15, 28, v14
	v_sub_nc_u32_e32 v14, 29, v14
	v_lshlrev_b64 v[26:27], v15, v[26:27]
	v_and_b32_e32 v26, 7, v26
; %bb.1079:                             ;   in Loop: Header=BB370_10 Depth=1
	s_or_b32 exec_lo, exec_lo, s20
	v_lshlrev_b32_e32 v4, 16, v4
	v_lshlrev_b32_e32 v15, 20, v26
	v_lshl_add_u32 v14, v14, 23, 0x3c000000
	v_and_b32_e32 v4, 0x80000000, v4
	v_or3_b32 v103, v15, v4, v14
.LBB370_1080:                           ;   in Loop: Header=BB370_10 Depth=1
	s_or_b32 exec_lo, exec_lo, s19
.LBB370_1081:                           ;   in Loop: Header=BB370_10 Depth=1
	s_or_b32 exec_lo, exec_lo, s17
.LBB370_1082:                           ;   in Loop: Header=BB370_10 Depth=1
	s_or_b32 exec_lo, exec_lo, s6
	v_mov_b32_e32 v4, 0xff
	s_mov_b32 s6, exec_lo
	v_and_b32_sdwa v4, v25, v4 dst_sel:DWORD dst_unused:UNUSED_PAD src0_sel:WORD_1 src1_sel:DWORD
	v_cmpx_ne_u16_e32 0, v4
	s_cbranch_execz .LBB370_1090
; %bb.1083:                             ;   in Loop: Header=BB370_10 Depth=1
	v_bfrev_b32_e32 v35, 1
	s_mov_b32 s17, exec_lo
	v_cmpx_ne_u16_e32 0x80, v4
	s_cbranch_execz .LBB370_1089
; %bb.1084:                             ;   in Loop: Header=BB370_10 Depth=1
	v_bfe_u32 v15, v25, 16, 7
	v_mov_b32_e32 v35, 0x7f800001
	s_mov_b32 s19, exec_lo
	v_cmpx_ne_u32_e32 0x7f, v15
	s_cbranch_execz .LBB370_1088
; %bb.1085:                             ;   in Loop: Header=BB370_10 Depth=1
	v_mov_b32_e32 v4, 7
	v_lshrrev_b32_e32 v14, 3, v15
	s_mov_b32 s20, exec_lo
	v_and_b32_sdwa v4, v25, v4 dst_sel:DWORD dst_unused:UNUSED_PAD src0_sel:WORD_1 src1_sel:DWORD
	v_mov_b32_e32 v27, v5
	v_mov_b32_e32 v26, v4
	v_cmpx_gt_u32_e32 8, v15
; %bb.1086:                             ;   in Loop: Header=BB370_10 Depth=1
	v_ffbh_u32_e32 v14, v4
	v_min_u32_e32 v14, 32, v14
	v_subrev_nc_u32_e32 v15, 28, v14
	v_sub_nc_u32_e32 v14, 29, v14
	v_lshlrev_b64 v[26:27], v15, v[4:5]
	v_and_b32_e32 v26, 7, v26
; %bb.1087:                             ;   in Loop: Header=BB370_10 Depth=1
	s_or_b32 exec_lo, exec_lo, s20
	v_mov_b32_e32 v4, 24
	v_lshlrev_b32_e32 v15, 20, v26
	v_lshl_add_u32 v14, v14, 23, 0x3c000000
	v_lshlrev_b32_sdwa v4, v4, v25 dst_sel:DWORD dst_unused:UNUSED_PAD src0_sel:DWORD src1_sel:WORD_1
	v_and_b32_e32 v4, 0x80000000, v4
	v_or3_b32 v35, v15, v4, v14
.LBB370_1088:                           ;   in Loop: Header=BB370_10 Depth=1
	s_or_b32 exec_lo, exec_lo, s19
.LBB370_1089:                           ;   in Loop: Header=BB370_10 Depth=1
	s_or_b32 exec_lo, exec_lo, s17
.LBB370_1090:                           ;   in Loop: Header=BB370_10 Depth=1
	s_or_b32 exec_lo, exec_lo, s6
	v_mov_b32_e32 v52, 0
	v_mov_b32_e32 v115, 0
	s_mov_b32 s6, exec_lo
	v_cmpx_lt_u64_e64 s[8:9], v[24:25]
	s_cbranch_execz .LBB370_1098
; %bb.1091:                             ;   in Loop: Header=BB370_10 Depth=1
	v_cmp_ne_u32_sdwa s5, v25, v107 src0_sel:BYTE_3 src1_sel:DWORD
	v_bfrev_b32_e32 v115, 1
	s_and_saveexec_b32 s17, s5
	s_cbranch_execz .LBB370_1097
; %bb.1092:                             ;   in Loop: Header=BB370_10 Depth=1
	v_bfe_u32 v15, v25, 24, 7
	v_mov_b32_e32 v115, 0x7f800001
	s_mov_b32 s19, exec_lo
	v_cmpx_ne_u32_e32 0x7f, v15
	s_cbranch_execz .LBB370_1096
; %bb.1093:                             ;   in Loop: Header=BB370_10 Depth=1
	v_mov_b32_e32 v4, 7
	v_lshrrev_b32_e32 v14, 3, v15
	s_mov_b32 s20, exec_lo
	v_and_b32_sdwa v4, v25, v4 dst_sel:DWORD dst_unused:UNUSED_PAD src0_sel:BYTE_3 src1_sel:DWORD
	v_mov_b32_e32 v27, v5
	v_mov_b32_e32 v26, v4
	v_cmpx_gt_u32_e32 8, v15
; %bb.1094:                             ;   in Loop: Header=BB370_10 Depth=1
	v_ffbh_u32_e32 v14, v4
	v_min_u32_e32 v14, 32, v14
	v_subrev_nc_u32_e32 v15, 28, v14
	v_sub_nc_u32_e32 v14, 29, v14
	v_lshlrev_b64 v[26:27], v15, v[4:5]
	v_and_b32_e32 v26, 7, v26
; %bb.1095:                             ;   in Loop: Header=BB370_10 Depth=1
	s_or_b32 exec_lo, exec_lo, s20
	v_mov_b32_e32 v4, 24
	v_lshlrev_b32_e32 v15, 20, v26
	v_lshl_add_u32 v14, v14, 23, 0x3c000000
	v_lshlrev_b32_sdwa v4, v4, v25 dst_sel:DWORD dst_unused:UNUSED_PAD src0_sel:DWORD src1_sel:BYTE_3
	v_and_b32_e32 v4, 0x80000000, v4
	v_or3_b32 v115, v15, v4, v14
.LBB370_1096:                           ;   in Loop: Header=BB370_10 Depth=1
	s_or_b32 exec_lo, exec_lo, s19
.LBB370_1097:                           ;   in Loop: Header=BB370_10 Depth=1
	s_or_b32 exec_lo, exec_lo, s17
.LBB370_1098:                           ;   in Loop: Header=BB370_10 Depth=1
	s_or_b32 exec_lo, exec_lo, s6
	flat_load_dwordx2 v[24:25], v[16:17] offset:8
	s_waitcnt vmcnt(0) lgkmcnt(0)
	v_cmp_ne_u16_sdwa s5, v24, v5 src0_sel:BYTE_0 src1_sel:DWORD
	s_and_saveexec_b32 s6, s5
	s_cbranch_execz .LBB370_1106
; %bb.1099:                             ;   in Loop: Header=BB370_10 Depth=1
	v_cmp_ne_u16_sdwa s5, v24, v107 src0_sel:BYTE_0 src1_sel:DWORD
	v_bfrev_b32_e32 v52, 1
	s_and_saveexec_b32 s17, s5
	s_cbranch_execz .LBB370_1105
; %bb.1100:                             ;   in Loop: Header=BB370_10 Depth=1
	v_and_b32_e32 v14, 0x7f, v24
	v_mov_b32_e32 v52, 0x7f800001
	s_mov_b32 s19, exec_lo
	v_cmpx_ne_u32_e32 0x7f, v14
	s_cbranch_execz .LBB370_1104
; %bb.1101:                             ;   in Loop: Header=BB370_10 Depth=1
	v_mov_b32_e32 v27, v25
	v_lshrrev_b32_e32 v4, 3, v14
	v_mov_b32_e32 v26, v24
	s_mov_b32 s20, exec_lo
	v_cmpx_gt_u32_e32 8, v14
; %bb.1102:                             ;   in Loop: Header=BB370_10 Depth=1
	v_and_b32_e32 v4, 7, v24
	v_ffbh_u32_e32 v4, v4
	v_min_u32_e32 v4, 32, v4
	v_subrev_nc_u32_e32 v14, 28, v4
	v_sub_nc_u32_e32 v4, 29, v4
	v_lshlrev_b64 v[26:27], v14, v[24:25]
; %bb.1103:                             ;   in Loop: Header=BB370_10 Depth=1
	s_or_b32 exec_lo, exec_lo, s20
	v_lshlrev_b32_e32 v14, 20, v26
	v_lshlrev_b32_e32 v15, 24, v24
	v_lshl_add_u32 v4, v4, 23, 0x3c000000
	v_and_b32_e32 v14, 0x700000, v14
	v_and_b32_e32 v15, 0x80000000, v15
	v_or3_b32 v52, v14, v15, v4
.LBB370_1104:                           ;   in Loop: Header=BB370_10 Depth=1
	s_or_b32 exec_lo, exec_lo, s19
.LBB370_1105:                           ;   in Loop: Header=BB370_10 Depth=1
	s_or_b32 exec_lo, exec_lo, s17
.LBB370_1106:                           ;   in Loop: Header=BB370_10 Depth=1
	s_or_b32 exec_lo, exec_lo, s6
	v_cmp_ne_u16_sdwa s5, v24, v5 src0_sel:BYTE_1 src1_sel:DWORD
	v_mov_b32_e32 v54, 0
	v_mov_b32_e32 v50, 0
	s_and_saveexec_b32 s6, s5
	s_cbranch_execz .LBB370_1114
; %bb.1107:                             ;   in Loop: Header=BB370_10 Depth=1
	v_cmp_ne_u16_sdwa s5, v24, v107 src0_sel:BYTE_1 src1_sel:DWORD
	v_bfrev_b32_e32 v50, 1
	s_and_saveexec_b32 s17, s5
	s_cbranch_execz .LBB370_1113
; %bb.1108:                             ;   in Loop: Header=BB370_10 Depth=1
	v_mov_b32_e32 v4, 0xffff
	v_mov_b32_e32 v50, 0x7f800001
	s_mov_b32 s19, exec_lo
	v_and_b32_sdwa v4, v4, v24 dst_sel:DWORD dst_unused:UNUSED_PAD src0_sel:DWORD src1_sel:BYTE_1
	v_and_b32_e32 v15, 0x7f, v4
	v_cmpx_ne_u32_e32 0x7f, v15
	s_cbranch_execz .LBB370_1112
; %bb.1109:                             ;   in Loop: Header=BB370_10 Depth=1
	v_and_b32_e32 v4, 7, v4
	v_mov_b32_e32 v27, v5
	v_lshrrev_b32_e32 v14, 3, v15
	s_mov_b32 s20, exec_lo
	v_mov_b32_e32 v26, v4
	v_cmpx_gt_u32_e32 8, v15
; %bb.1110:                             ;   in Loop: Header=BB370_10 Depth=1
	v_ffbh_u32_e32 v14, v4
	v_min_u32_e32 v14, 32, v14
	v_subrev_nc_u32_e32 v15, 28, v14
	v_sub_nc_u32_e32 v14, 29, v14
	v_lshlrev_b64 v[26:27], v15, v[4:5]
	v_and_b32_e32 v26, 7, v26
; %bb.1111:                             ;   in Loop: Header=BB370_10 Depth=1
	s_or_b32 exec_lo, exec_lo, s20
	v_lshlrev_b32_e32 v4, 16, v24
	v_lshlrev_b32_e32 v15, 20, v26
	v_lshl_add_u32 v14, v14, 23, 0x3c000000
	v_and_b32_e32 v4, 0x80000000, v4
	v_or3_b32 v50, v15, v4, v14
.LBB370_1112:                           ;   in Loop: Header=BB370_10 Depth=1
	s_or_b32 exec_lo, exec_lo, s19
.LBB370_1113:                           ;   in Loop: Header=BB370_10 Depth=1
	s_or_b32 exec_lo, exec_lo, s17
.LBB370_1114:                           ;   in Loop: Header=BB370_10 Depth=1
	s_or_b32 exec_lo, exec_lo, s6
	v_mov_b32_e32 v4, 0xff
	s_mov_b32 s6, exec_lo
	v_and_b32_sdwa v4, v24, v4 dst_sel:DWORD dst_unused:UNUSED_PAD src0_sel:WORD_1 src1_sel:DWORD
	v_cmpx_ne_u16_e32 0, v4
	s_cbranch_execz .LBB370_1122
; %bb.1115:                             ;   in Loop: Header=BB370_10 Depth=1
	v_bfrev_b32_e32 v54, 1
	s_mov_b32 s17, exec_lo
	v_cmpx_ne_u16_e32 0x80, v4
	s_cbranch_execz .LBB370_1121
; %bb.1116:                             ;   in Loop: Header=BB370_10 Depth=1
	v_bfe_u32 v15, v24, 16, 7
	v_mov_b32_e32 v54, 0x7f800001
	s_mov_b32 s19, exec_lo
	v_cmpx_ne_u32_e32 0x7f, v15
	s_cbranch_execz .LBB370_1120
; %bb.1117:                             ;   in Loop: Header=BB370_10 Depth=1
	v_mov_b32_e32 v4, 7
	v_lshrrev_b32_e32 v14, 3, v15
	s_mov_b32 s20, exec_lo
	v_and_b32_sdwa v4, v24, v4 dst_sel:DWORD dst_unused:UNUSED_PAD src0_sel:WORD_1 src1_sel:DWORD
	v_mov_b32_e32 v27, v5
	v_mov_b32_e32 v26, v4
	v_cmpx_gt_u32_e32 8, v15
; %bb.1118:                             ;   in Loop: Header=BB370_10 Depth=1
	v_ffbh_u32_e32 v14, v4
	v_min_u32_e32 v14, 32, v14
	v_subrev_nc_u32_e32 v15, 28, v14
	v_sub_nc_u32_e32 v14, 29, v14
	v_lshlrev_b64 v[26:27], v15, v[4:5]
	v_and_b32_e32 v26, 7, v26
; %bb.1119:                             ;   in Loop: Header=BB370_10 Depth=1
	s_or_b32 exec_lo, exec_lo, s20
	v_mov_b32_e32 v4, 24
	v_lshlrev_b32_e32 v15, 20, v26
	v_lshl_add_u32 v14, v14, 23, 0x3c000000
	v_lshlrev_b32_sdwa v4, v4, v24 dst_sel:DWORD dst_unused:UNUSED_PAD src0_sel:DWORD src1_sel:WORD_1
	v_and_b32_e32 v4, 0x80000000, v4
	v_or3_b32 v54, v15, v4, v14
.LBB370_1120:                           ;   in Loop: Header=BB370_10 Depth=1
	s_or_b32 exec_lo, exec_lo, s19
.LBB370_1121:                           ;   in Loop: Header=BB370_10 Depth=1
	s_or_b32 exec_lo, exec_lo, s17
.LBB370_1122:                           ;   in Loop: Header=BB370_10 Depth=1
	s_or_b32 exec_lo, exec_lo, s6
	v_mov_b32_e32 v64, 0
	v_mov_b32_e32 v53, 0
	s_mov_b32 s6, exec_lo
	v_cmpx_lt_u32_e32 0xffffff, v24
	s_cbranch_execz .LBB370_1130
; %bb.1123:                             ;   in Loop: Header=BB370_10 Depth=1
	v_cmp_ne_u32_sdwa s5, v24, v107 src0_sel:BYTE_3 src1_sel:DWORD
	v_bfrev_b32_e32 v53, 1
	s_and_saveexec_b32 s17, s5
	s_cbranch_execz .LBB370_1129
; %bb.1124:                             ;   in Loop: Header=BB370_10 Depth=1
	v_bfe_u32 v15, v24, 24, 7
	v_mov_b32_e32 v53, 0x7f800001
	s_mov_b32 s19, exec_lo
	v_cmpx_ne_u32_e32 0x7f, v15
	s_cbranch_execz .LBB370_1128
; %bb.1125:                             ;   in Loop: Header=BB370_10 Depth=1
	v_mov_b32_e32 v4, 7
	v_lshrrev_b32_e32 v14, 3, v15
	s_mov_b32 s20, exec_lo
	v_and_b32_sdwa v4, v24, v4 dst_sel:DWORD dst_unused:UNUSED_PAD src0_sel:BYTE_3 src1_sel:DWORD
	v_mov_b32_e32 v27, v5
	v_mov_b32_e32 v26, v4
	v_cmpx_gt_u32_e32 8, v15
; %bb.1126:                             ;   in Loop: Header=BB370_10 Depth=1
	v_ffbh_u32_e32 v14, v4
	v_min_u32_e32 v14, 32, v14
	v_subrev_nc_u32_e32 v15, 28, v14
	v_sub_nc_u32_e32 v14, 29, v14
	v_lshlrev_b64 v[26:27], v15, v[4:5]
	v_and_b32_e32 v26, 7, v26
; %bb.1127:                             ;   in Loop: Header=BB370_10 Depth=1
	s_or_b32 exec_lo, exec_lo, s20
	v_mov_b32_e32 v4, 24
	v_lshlrev_b32_e32 v15, 20, v26
	v_lshl_add_u32 v14, v14, 23, 0x3c000000
	v_lshlrev_b32_sdwa v4, v4, v24 dst_sel:DWORD dst_unused:UNUSED_PAD src0_sel:DWORD src1_sel:BYTE_3
	v_and_b32_e32 v4, 0x80000000, v4
	v_or3_b32 v53, v15, v4, v14
.LBB370_1128:                           ;   in Loop: Header=BB370_10 Depth=1
	s_or_b32 exec_lo, exec_lo, s19
.LBB370_1129:                           ;   in Loop: Header=BB370_10 Depth=1
	s_or_b32 exec_lo, exec_lo, s17
.LBB370_1130:                           ;   in Loop: Header=BB370_10 Depth=1
	s_or_b32 exec_lo, exec_lo, s6
	v_mov_b32_e32 v4, v25
	v_cmp_ne_u16_sdwa s5, v25, v5 src0_sel:BYTE_0 src1_sel:DWORD
	s_and_saveexec_b32 s6, s5
	s_cbranch_execz .LBB370_1138
; %bb.1131:                             ;   in Loop: Header=BB370_10 Depth=1
	v_cmp_ne_u16_sdwa s5, v25, v107 src0_sel:BYTE_0 src1_sel:DWORD
	v_bfrev_b32_e32 v64, 1
	s_and_saveexec_b32 s17, s5
	s_cbranch_execz .LBB370_1137
; %bb.1132:                             ;   in Loop: Header=BB370_10 Depth=1
	v_and_b32_e32 v15, 0x7f, v25
	v_mov_b32_e32 v64, 0x7f800001
	s_mov_b32 s19, exec_lo
	v_cmpx_ne_u32_e32 0x7f, v15
	s_cbranch_execz .LBB370_1136
; %bb.1133:                             ;   in Loop: Header=BB370_10 Depth=1
	v_mov_b32_e32 v27, v5
	v_mov_b32_e32 v26, v4
	v_lshrrev_b32_e32 v14, 3, v15
	s_mov_b32 s20, exec_lo
	v_cmpx_gt_u32_e32 8, v15
; %bb.1134:                             ;   in Loop: Header=BB370_10 Depth=1
	v_and_b32_e32 v14, 7, v25
	v_ffbh_u32_e32 v14, v14
	v_min_u32_e32 v14, 32, v14
	v_subrev_nc_u32_e32 v15, 28, v14
	v_sub_nc_u32_e32 v14, 29, v14
	v_lshlrev_b64 v[26:27], v15, v[4:5]
; %bb.1135:                             ;   in Loop: Header=BB370_10 Depth=1
	s_or_b32 exec_lo, exec_lo, s20
	v_lshlrev_b32_e32 v15, 20, v26
	v_lshlrev_b32_e32 v26, 24, v4
	v_lshl_add_u32 v14, v14, 23, 0x3c000000
	v_and_b32_e32 v15, 0x700000, v15
	v_and_b32_e32 v26, 0x80000000, v26
	v_or3_b32 v64, v15, v26, v14
.LBB370_1136:                           ;   in Loop: Header=BB370_10 Depth=1
	s_or_b32 exec_lo, exec_lo, s19
.LBB370_1137:                           ;   in Loop: Header=BB370_10 Depth=1
	s_or_b32 exec_lo, exec_lo, s17
.LBB370_1138:                           ;   in Loop: Header=BB370_10 Depth=1
	s_or_b32 exec_lo, exec_lo, s6
	v_cmp_ne_u16_sdwa s5, v4, v5 src0_sel:BYTE_1 src1_sel:DWORD
	v_mov_b32_e32 v51, 0
	v_mov_b32_e32 v102, 0
	s_and_saveexec_b32 s6, s5
	s_cbranch_execz .LBB370_1146
; %bb.1139:                             ;   in Loop: Header=BB370_10 Depth=1
	v_cmp_ne_u16_sdwa s5, v4, v107 src0_sel:BYTE_1 src1_sel:DWORD
	v_bfrev_b32_e32 v102, 1
	s_and_saveexec_b32 s17, s5
	s_cbranch_execz .LBB370_1145
; %bb.1140:                             ;   in Loop: Header=BB370_10 Depth=1
	v_mov_b32_e32 v14, 0xffff
	v_mov_b32_e32 v102, 0x7f800001
	s_mov_b32 s19, exec_lo
	v_and_b32_sdwa v14, v14, v4 dst_sel:DWORD dst_unused:UNUSED_PAD src0_sel:DWORD src1_sel:BYTE_1
	v_and_b32_e32 v15, 0x7f, v14
	v_cmpx_ne_u32_e32 0x7f, v15
	s_cbranch_execz .LBB370_1144
; %bb.1141:                             ;   in Loop: Header=BB370_10 Depth=1
	v_and_b32_e32 v26, 7, v14
	v_mov_b32_e32 v27, v5
	v_lshrrev_b32_e32 v14, 3, v15
	s_mov_b32 s20, exec_lo
	v_cmpx_gt_u32_e32 8, v15
; %bb.1142:                             ;   in Loop: Header=BB370_10 Depth=1
	v_ffbh_u32_e32 v14, v26
	v_min_u32_e32 v14, 32, v14
	v_subrev_nc_u32_e32 v15, 28, v14
	v_sub_nc_u32_e32 v14, 29, v14
	v_lshlrev_b64 v[26:27], v15, v[26:27]
	v_and_b32_e32 v26, 7, v26
; %bb.1143:                             ;   in Loop: Header=BB370_10 Depth=1
	s_or_b32 exec_lo, exec_lo, s20
	v_lshlrev_b32_e32 v4, 16, v4
	v_lshlrev_b32_e32 v15, 20, v26
	v_lshl_add_u32 v14, v14, 23, 0x3c000000
	v_and_b32_e32 v4, 0x80000000, v4
	v_or3_b32 v102, v15, v4, v14
.LBB370_1144:                           ;   in Loop: Header=BB370_10 Depth=1
	s_or_b32 exec_lo, exec_lo, s19
.LBB370_1145:                           ;   in Loop: Header=BB370_10 Depth=1
	s_or_b32 exec_lo, exec_lo, s17
.LBB370_1146:                           ;   in Loop: Header=BB370_10 Depth=1
	s_or_b32 exec_lo, exec_lo, s6
	v_mov_b32_e32 v4, 0xff
	s_mov_b32 s6, exec_lo
	v_and_b32_sdwa v4, v25, v4 dst_sel:DWORD dst_unused:UNUSED_PAD src0_sel:WORD_1 src1_sel:DWORD
	v_cmpx_ne_u16_e32 0, v4
	s_cbranch_execz .LBB370_1154
; %bb.1147:                             ;   in Loop: Header=BB370_10 Depth=1
	v_bfrev_b32_e32 v51, 1
	s_mov_b32 s17, exec_lo
	v_cmpx_ne_u16_e32 0x80, v4
	s_cbranch_execz .LBB370_1153
; %bb.1148:                             ;   in Loop: Header=BB370_10 Depth=1
	v_bfe_u32 v15, v25, 16, 7
	v_mov_b32_e32 v51, 0x7f800001
	s_mov_b32 s19, exec_lo
	v_cmpx_ne_u32_e32 0x7f, v15
	s_cbranch_execz .LBB370_1152
; %bb.1149:                             ;   in Loop: Header=BB370_10 Depth=1
	v_mov_b32_e32 v4, 7
	v_lshrrev_b32_e32 v14, 3, v15
	s_mov_b32 s20, exec_lo
	v_and_b32_sdwa v4, v25, v4 dst_sel:DWORD dst_unused:UNUSED_PAD src0_sel:WORD_1 src1_sel:DWORD
	v_mov_b32_e32 v27, v5
	v_mov_b32_e32 v26, v4
	v_cmpx_gt_u32_e32 8, v15
; %bb.1150:                             ;   in Loop: Header=BB370_10 Depth=1
	v_ffbh_u32_e32 v14, v4
	v_min_u32_e32 v14, 32, v14
	v_subrev_nc_u32_e32 v15, 28, v14
	v_sub_nc_u32_e32 v14, 29, v14
	v_lshlrev_b64 v[26:27], v15, v[4:5]
	v_and_b32_e32 v26, 7, v26
; %bb.1151:                             ;   in Loop: Header=BB370_10 Depth=1
	s_or_b32 exec_lo, exec_lo, s20
	v_mov_b32_e32 v4, 24
	v_lshlrev_b32_e32 v15, 20, v26
	v_lshl_add_u32 v14, v14, 23, 0x3c000000
	v_lshlrev_b32_sdwa v4, v4, v25 dst_sel:DWORD dst_unused:UNUSED_PAD src0_sel:DWORD src1_sel:WORD_1
	v_and_b32_e32 v4, 0x80000000, v4
	v_or3_b32 v51, v15, v4, v14
.LBB370_1152:                           ;   in Loop: Header=BB370_10 Depth=1
	s_or_b32 exec_lo, exec_lo, s19
.LBB370_1153:                           ;   in Loop: Header=BB370_10 Depth=1
	s_or_b32 exec_lo, exec_lo, s17
.LBB370_1154:                           ;   in Loop: Header=BB370_10 Depth=1
	s_or_b32 exec_lo, exec_lo, s6
	v_mov_b32_e32 v68, 0
	v_mov_b32_e32 v39, 0
	s_mov_b32 s6, exec_lo
	v_cmpx_lt_u64_e64 s[8:9], v[24:25]
	s_cbranch_execz .LBB370_1162
; %bb.1155:                             ;   in Loop: Header=BB370_10 Depth=1
	v_cmp_ne_u32_sdwa s5, v25, v107 src0_sel:BYTE_3 src1_sel:DWORD
	v_bfrev_b32_e32 v39, 1
	s_and_saveexec_b32 s17, s5
	s_cbranch_execz .LBB370_1161
; %bb.1156:                             ;   in Loop: Header=BB370_10 Depth=1
	v_bfe_u32 v15, v25, 24, 7
	v_mov_b32_e32 v39, 0x7f800001
	s_mov_b32 s19, exec_lo
	v_cmpx_ne_u32_e32 0x7f, v15
	s_cbranch_execz .LBB370_1160
; %bb.1157:                             ;   in Loop: Header=BB370_10 Depth=1
	v_mov_b32_e32 v4, 7
	v_lshrrev_b32_e32 v14, 3, v15
	s_mov_b32 s20, exec_lo
	v_and_b32_sdwa v4, v25, v4 dst_sel:DWORD dst_unused:UNUSED_PAD src0_sel:BYTE_3 src1_sel:DWORD
	v_mov_b32_e32 v27, v5
	v_mov_b32_e32 v26, v4
	v_cmpx_gt_u32_e32 8, v15
; %bb.1158:                             ;   in Loop: Header=BB370_10 Depth=1
	v_ffbh_u32_e32 v14, v4
	v_min_u32_e32 v14, 32, v14
	v_subrev_nc_u32_e32 v15, 28, v14
	v_sub_nc_u32_e32 v14, 29, v14
	v_lshlrev_b64 v[26:27], v15, v[4:5]
	v_and_b32_e32 v26, 7, v26
; %bb.1159:                             ;   in Loop: Header=BB370_10 Depth=1
	s_or_b32 exec_lo, exec_lo, s20
	v_mov_b32_e32 v4, 24
	v_lshlrev_b32_e32 v15, 20, v26
	v_lshl_add_u32 v14, v14, 23, 0x3c000000
	v_lshlrev_b32_sdwa v4, v4, v25 dst_sel:DWORD dst_unused:UNUSED_PAD src0_sel:DWORD src1_sel:BYTE_3
	v_and_b32_e32 v4, 0x80000000, v4
	v_or3_b32 v39, v15, v4, v14
.LBB370_1160:                           ;   in Loop: Header=BB370_10 Depth=1
	s_or_b32 exec_lo, exec_lo, s19
.LBB370_1161:                           ;   in Loop: Header=BB370_10 Depth=1
	s_or_b32 exec_lo, exec_lo, s17
.LBB370_1162:                           ;   in Loop: Header=BB370_10 Depth=1
	s_or_b32 exec_lo, exec_lo, s6
	flat_load_dwordx2 v[24:25], v[16:17] offset:512
	s_waitcnt vmcnt(0) lgkmcnt(0)
	v_cmp_ne_u16_sdwa s5, v24, v5 src0_sel:BYTE_0 src1_sel:DWORD
	s_and_saveexec_b32 s6, s5
	s_cbranch_execz .LBB370_1170
; %bb.1163:                             ;   in Loop: Header=BB370_10 Depth=1
	v_cmp_ne_u16_sdwa s5, v24, v107 src0_sel:BYTE_0 src1_sel:DWORD
	v_bfrev_b32_e32 v68, 1
	s_and_saveexec_b32 s17, s5
	s_cbranch_execz .LBB370_1169
; %bb.1164:                             ;   in Loop: Header=BB370_10 Depth=1
	v_and_b32_e32 v14, 0x7f, v24
	v_mov_b32_e32 v68, 0x7f800001
	s_mov_b32 s19, exec_lo
	v_cmpx_ne_u32_e32 0x7f, v14
	s_cbranch_execz .LBB370_1168
; %bb.1165:                             ;   in Loop: Header=BB370_10 Depth=1
	v_mov_b32_e32 v27, v25
	v_lshrrev_b32_e32 v4, 3, v14
	v_mov_b32_e32 v26, v24
	s_mov_b32 s20, exec_lo
	v_cmpx_gt_u32_e32 8, v14
; %bb.1166:                             ;   in Loop: Header=BB370_10 Depth=1
	v_and_b32_e32 v4, 7, v24
	v_ffbh_u32_e32 v4, v4
	v_min_u32_e32 v4, 32, v4
	v_subrev_nc_u32_e32 v14, 28, v4
	v_sub_nc_u32_e32 v4, 29, v4
	v_lshlrev_b64 v[26:27], v14, v[24:25]
; %bb.1167:                             ;   in Loop: Header=BB370_10 Depth=1
	s_or_b32 exec_lo, exec_lo, s20
	v_lshlrev_b32_e32 v14, 20, v26
	v_lshlrev_b32_e32 v15, 24, v24
	v_lshl_add_u32 v4, v4, 23, 0x3c000000
	v_and_b32_e32 v14, 0x700000, v14
	v_and_b32_e32 v15, 0x80000000, v15
	v_or3_b32 v68, v14, v15, v4
.LBB370_1168:                           ;   in Loop: Header=BB370_10 Depth=1
	s_or_b32 exec_lo, exec_lo, s19
.LBB370_1169:                           ;   in Loop: Header=BB370_10 Depth=1
	s_or_b32 exec_lo, exec_lo, s17
.LBB370_1170:                           ;   in Loop: Header=BB370_10 Depth=1
	s_or_b32 exec_lo, exec_lo, s6
	v_cmp_ne_u16_sdwa s5, v24, v5 src0_sel:BYTE_1 src1_sel:DWORD
	v_mov_b32_e32 v70, 0
	v_mov_b32_e32 v113, 0
	s_and_saveexec_b32 s6, s5
	s_cbranch_execz .LBB370_1178
; %bb.1171:                             ;   in Loop: Header=BB370_10 Depth=1
	v_cmp_ne_u16_sdwa s5, v24, v107 src0_sel:BYTE_1 src1_sel:DWORD
	v_bfrev_b32_e32 v113, 1
	s_and_saveexec_b32 s17, s5
	s_cbranch_execz .LBB370_1177
; %bb.1172:                             ;   in Loop: Header=BB370_10 Depth=1
	v_mov_b32_e32 v4, 0xffff
	v_mov_b32_e32 v113, 0x7f800001
	s_mov_b32 s19, exec_lo
	v_and_b32_sdwa v4, v4, v24 dst_sel:DWORD dst_unused:UNUSED_PAD src0_sel:DWORD src1_sel:BYTE_1
	v_and_b32_e32 v15, 0x7f, v4
	v_cmpx_ne_u32_e32 0x7f, v15
	s_cbranch_execz .LBB370_1176
; %bb.1173:                             ;   in Loop: Header=BB370_10 Depth=1
	v_and_b32_e32 v4, 7, v4
	v_mov_b32_e32 v27, v5
	v_lshrrev_b32_e32 v14, 3, v15
	s_mov_b32 s20, exec_lo
	v_mov_b32_e32 v26, v4
	v_cmpx_gt_u32_e32 8, v15
; %bb.1174:                             ;   in Loop: Header=BB370_10 Depth=1
	v_ffbh_u32_e32 v14, v4
	v_min_u32_e32 v14, 32, v14
	v_subrev_nc_u32_e32 v15, 28, v14
	v_sub_nc_u32_e32 v14, 29, v14
	v_lshlrev_b64 v[26:27], v15, v[4:5]
	v_and_b32_e32 v26, 7, v26
; %bb.1175:                             ;   in Loop: Header=BB370_10 Depth=1
	s_or_b32 exec_lo, exec_lo, s20
	v_lshlrev_b32_e32 v4, 16, v24
	v_lshlrev_b32_e32 v15, 20, v26
	v_lshl_add_u32 v14, v14, 23, 0x3c000000
	v_and_b32_e32 v4, 0x80000000, v4
	v_or3_b32 v113, v15, v4, v14
.LBB370_1176:                           ;   in Loop: Header=BB370_10 Depth=1
	s_or_b32 exec_lo, exec_lo, s19
.LBB370_1177:                           ;   in Loop: Header=BB370_10 Depth=1
	s_or_b32 exec_lo, exec_lo, s17
.LBB370_1178:                           ;   in Loop: Header=BB370_10 Depth=1
	s_or_b32 exec_lo, exec_lo, s6
	v_mov_b32_e32 v4, 0xff
	s_mov_b32 s6, exec_lo
	v_and_b32_sdwa v4, v24, v4 dst_sel:DWORD dst_unused:UNUSED_PAD src0_sel:WORD_1 src1_sel:DWORD
	v_cmpx_ne_u16_e32 0, v4
	s_cbranch_execz .LBB370_1186
; %bb.1179:                             ;   in Loop: Header=BB370_10 Depth=1
	v_bfrev_b32_e32 v70, 1
	s_mov_b32 s17, exec_lo
	v_cmpx_ne_u16_e32 0x80, v4
	s_cbranch_execz .LBB370_1185
; %bb.1180:                             ;   in Loop: Header=BB370_10 Depth=1
	v_bfe_u32 v15, v24, 16, 7
	v_mov_b32_e32 v70, 0x7f800001
	s_mov_b32 s19, exec_lo
	v_cmpx_ne_u32_e32 0x7f, v15
	s_cbranch_execz .LBB370_1184
; %bb.1181:                             ;   in Loop: Header=BB370_10 Depth=1
	v_mov_b32_e32 v4, 7
	v_lshrrev_b32_e32 v14, 3, v15
	s_mov_b32 s20, exec_lo
	v_and_b32_sdwa v4, v24, v4 dst_sel:DWORD dst_unused:UNUSED_PAD src0_sel:WORD_1 src1_sel:DWORD
	v_mov_b32_e32 v27, v5
	v_mov_b32_e32 v26, v4
	v_cmpx_gt_u32_e32 8, v15
; %bb.1182:                             ;   in Loop: Header=BB370_10 Depth=1
	v_ffbh_u32_e32 v14, v4
	v_min_u32_e32 v14, 32, v14
	v_subrev_nc_u32_e32 v15, 28, v14
	v_sub_nc_u32_e32 v14, 29, v14
	v_lshlrev_b64 v[26:27], v15, v[4:5]
	v_and_b32_e32 v26, 7, v26
; %bb.1183:                             ;   in Loop: Header=BB370_10 Depth=1
	s_or_b32 exec_lo, exec_lo, s20
	v_mov_b32_e32 v4, 24
	v_lshlrev_b32_e32 v15, 20, v26
	v_lshl_add_u32 v14, v14, 23, 0x3c000000
	v_lshlrev_b32_sdwa v4, v4, v24 dst_sel:DWORD dst_unused:UNUSED_PAD src0_sel:DWORD src1_sel:WORD_1
	v_and_b32_e32 v4, 0x80000000, v4
	v_or3_b32 v70, v15, v4, v14
.LBB370_1184:                           ;   in Loop: Header=BB370_10 Depth=1
	s_or_b32 exec_lo, exec_lo, s19
.LBB370_1185:                           ;   in Loop: Header=BB370_10 Depth=1
	s_or_b32 exec_lo, exec_lo, s17
.LBB370_1186:                           ;   in Loop: Header=BB370_10 Depth=1
	s_or_b32 exec_lo, exec_lo, s6
	v_mov_b32_e32 v80, 0
	v_mov_b32_e32 v69, 0
	s_mov_b32 s6, exec_lo
	v_cmpx_lt_u32_e32 0xffffff, v24
	s_cbranch_execz .LBB370_1194
; %bb.1187:                             ;   in Loop: Header=BB370_10 Depth=1
	v_cmp_ne_u32_sdwa s5, v24, v107 src0_sel:BYTE_3 src1_sel:DWORD
	v_bfrev_b32_e32 v69, 1
	s_and_saveexec_b32 s17, s5
	s_cbranch_execz .LBB370_1193
; %bb.1188:                             ;   in Loop: Header=BB370_10 Depth=1
	v_bfe_u32 v15, v24, 24, 7
	v_mov_b32_e32 v69, 0x7f800001
	s_mov_b32 s19, exec_lo
	v_cmpx_ne_u32_e32 0x7f, v15
	s_cbranch_execz .LBB370_1192
; %bb.1189:                             ;   in Loop: Header=BB370_10 Depth=1
	v_mov_b32_e32 v4, 7
	v_lshrrev_b32_e32 v14, 3, v15
	s_mov_b32 s20, exec_lo
	v_and_b32_sdwa v4, v24, v4 dst_sel:DWORD dst_unused:UNUSED_PAD src0_sel:BYTE_3 src1_sel:DWORD
	v_mov_b32_e32 v27, v5
	v_mov_b32_e32 v26, v4
	v_cmpx_gt_u32_e32 8, v15
; %bb.1190:                             ;   in Loop: Header=BB370_10 Depth=1
	v_ffbh_u32_e32 v14, v4
	v_min_u32_e32 v14, 32, v14
	v_subrev_nc_u32_e32 v15, 28, v14
	v_sub_nc_u32_e32 v14, 29, v14
	v_lshlrev_b64 v[26:27], v15, v[4:5]
	v_and_b32_e32 v26, 7, v26
; %bb.1191:                             ;   in Loop: Header=BB370_10 Depth=1
	s_or_b32 exec_lo, exec_lo, s20
	v_mov_b32_e32 v4, 24
	v_lshlrev_b32_e32 v15, 20, v26
	v_lshl_add_u32 v14, v14, 23, 0x3c000000
	v_lshlrev_b32_sdwa v4, v4, v24 dst_sel:DWORD dst_unused:UNUSED_PAD src0_sel:DWORD src1_sel:BYTE_3
	v_and_b32_e32 v4, 0x80000000, v4
	v_or3_b32 v69, v15, v4, v14
.LBB370_1192:                           ;   in Loop: Header=BB370_10 Depth=1
	s_or_b32 exec_lo, exec_lo, s19
.LBB370_1193:                           ;   in Loop: Header=BB370_10 Depth=1
	s_or_b32 exec_lo, exec_lo, s17
.LBB370_1194:                           ;   in Loop: Header=BB370_10 Depth=1
	s_or_b32 exec_lo, exec_lo, s6
	v_mov_b32_e32 v4, v25
	v_cmp_ne_u16_sdwa s5, v25, v5 src0_sel:BYTE_0 src1_sel:DWORD
	s_and_saveexec_b32 s6, s5
	s_cbranch_execz .LBB370_1202
; %bb.1195:                             ;   in Loop: Header=BB370_10 Depth=1
	v_cmp_ne_u16_sdwa s5, v25, v107 src0_sel:BYTE_0 src1_sel:DWORD
	v_bfrev_b32_e32 v80, 1
	s_and_saveexec_b32 s17, s5
	s_cbranch_execz .LBB370_1201
; %bb.1196:                             ;   in Loop: Header=BB370_10 Depth=1
	v_and_b32_e32 v15, 0x7f, v25
	v_mov_b32_e32 v80, 0x7f800001
	s_mov_b32 s19, exec_lo
	v_cmpx_ne_u32_e32 0x7f, v15
	s_cbranch_execz .LBB370_1200
; %bb.1197:                             ;   in Loop: Header=BB370_10 Depth=1
	v_mov_b32_e32 v27, v5
	v_mov_b32_e32 v26, v4
	v_lshrrev_b32_e32 v14, 3, v15
	s_mov_b32 s20, exec_lo
	v_cmpx_gt_u32_e32 8, v15
; %bb.1198:                             ;   in Loop: Header=BB370_10 Depth=1
	v_and_b32_e32 v14, 7, v25
	v_ffbh_u32_e32 v14, v14
	v_min_u32_e32 v14, 32, v14
	v_subrev_nc_u32_e32 v15, 28, v14
	v_sub_nc_u32_e32 v14, 29, v14
	v_lshlrev_b64 v[26:27], v15, v[4:5]
; %bb.1199:                             ;   in Loop: Header=BB370_10 Depth=1
	s_or_b32 exec_lo, exec_lo, s20
	v_lshlrev_b32_e32 v15, 20, v26
	v_lshlrev_b32_e32 v26, 24, v4
	v_lshl_add_u32 v14, v14, 23, 0x3c000000
	v_and_b32_e32 v15, 0x700000, v15
	v_and_b32_e32 v26, 0x80000000, v26
	v_or3_b32 v80, v15, v26, v14
.LBB370_1200:                           ;   in Loop: Header=BB370_10 Depth=1
	s_or_b32 exec_lo, exec_lo, s19
.LBB370_1201:                           ;   in Loop: Header=BB370_10 Depth=1
	s_or_b32 exec_lo, exec_lo, s17
.LBB370_1202:                           ;   in Loop: Header=BB370_10 Depth=1
	s_or_b32 exec_lo, exec_lo, s6
	v_cmp_ne_u16_sdwa s5, v4, v5 src0_sel:BYTE_1 src1_sel:DWORD
	v_mov_b32_e32 v67, 0
	v_mov_b32_e32 v100, 0
	s_and_saveexec_b32 s6, s5
	s_cbranch_execz .LBB370_1210
; %bb.1203:                             ;   in Loop: Header=BB370_10 Depth=1
	v_cmp_ne_u16_sdwa s5, v4, v107 src0_sel:BYTE_1 src1_sel:DWORD
	v_bfrev_b32_e32 v100, 1
	s_and_saveexec_b32 s17, s5
	s_cbranch_execz .LBB370_1209
; %bb.1204:                             ;   in Loop: Header=BB370_10 Depth=1
	v_mov_b32_e32 v14, 0xffff
	v_mov_b32_e32 v100, 0x7f800001
	s_mov_b32 s19, exec_lo
	v_and_b32_sdwa v14, v14, v4 dst_sel:DWORD dst_unused:UNUSED_PAD src0_sel:DWORD src1_sel:BYTE_1
	v_and_b32_e32 v15, 0x7f, v14
	v_cmpx_ne_u32_e32 0x7f, v15
	s_cbranch_execz .LBB370_1208
; %bb.1205:                             ;   in Loop: Header=BB370_10 Depth=1
	v_and_b32_e32 v26, 7, v14
	v_mov_b32_e32 v27, v5
	v_lshrrev_b32_e32 v14, 3, v15
	s_mov_b32 s20, exec_lo
	v_cmpx_gt_u32_e32 8, v15
; %bb.1206:                             ;   in Loop: Header=BB370_10 Depth=1
	v_ffbh_u32_e32 v14, v26
	v_min_u32_e32 v14, 32, v14
	v_subrev_nc_u32_e32 v15, 28, v14
	v_sub_nc_u32_e32 v14, 29, v14
	v_lshlrev_b64 v[26:27], v15, v[26:27]
	v_and_b32_e32 v26, 7, v26
; %bb.1207:                             ;   in Loop: Header=BB370_10 Depth=1
	s_or_b32 exec_lo, exec_lo, s20
	v_lshlrev_b32_e32 v4, 16, v4
	v_lshlrev_b32_e32 v15, 20, v26
	v_lshl_add_u32 v14, v14, 23, 0x3c000000
	v_and_b32_e32 v4, 0x80000000, v4
	v_or3_b32 v100, v15, v4, v14
.LBB370_1208:                           ;   in Loop: Header=BB370_10 Depth=1
	s_or_b32 exec_lo, exec_lo, s19
.LBB370_1209:                           ;   in Loop: Header=BB370_10 Depth=1
	s_or_b32 exec_lo, exec_lo, s17
.LBB370_1210:                           ;   in Loop: Header=BB370_10 Depth=1
	s_or_b32 exec_lo, exec_lo, s6
	v_mov_b32_e32 v4, 0xff
	s_mov_b32 s6, exec_lo
	v_and_b32_sdwa v4, v25, v4 dst_sel:DWORD dst_unused:UNUSED_PAD src0_sel:WORD_1 src1_sel:DWORD
	v_cmpx_ne_u16_e32 0, v4
	s_cbranch_execz .LBB370_1218
; %bb.1211:                             ;   in Loop: Header=BB370_10 Depth=1
	v_bfrev_b32_e32 v67, 1
	s_mov_b32 s17, exec_lo
	v_cmpx_ne_u16_e32 0x80, v4
	s_cbranch_execz .LBB370_1217
; %bb.1212:                             ;   in Loop: Header=BB370_10 Depth=1
	v_bfe_u32 v15, v25, 16, 7
	v_mov_b32_e32 v67, 0x7f800001
	s_mov_b32 s19, exec_lo
	v_cmpx_ne_u32_e32 0x7f, v15
	s_cbranch_execz .LBB370_1216
; %bb.1213:                             ;   in Loop: Header=BB370_10 Depth=1
	v_mov_b32_e32 v4, 7
	v_lshrrev_b32_e32 v14, 3, v15
	s_mov_b32 s20, exec_lo
	v_and_b32_sdwa v4, v25, v4 dst_sel:DWORD dst_unused:UNUSED_PAD src0_sel:WORD_1 src1_sel:DWORD
	v_mov_b32_e32 v27, v5
	v_mov_b32_e32 v26, v4
	v_cmpx_gt_u32_e32 8, v15
; %bb.1214:                             ;   in Loop: Header=BB370_10 Depth=1
	v_ffbh_u32_e32 v14, v4
	v_min_u32_e32 v14, 32, v14
	v_subrev_nc_u32_e32 v15, 28, v14
	v_sub_nc_u32_e32 v14, 29, v14
	v_lshlrev_b64 v[26:27], v15, v[4:5]
	v_and_b32_e32 v26, 7, v26
; %bb.1215:                             ;   in Loop: Header=BB370_10 Depth=1
	s_or_b32 exec_lo, exec_lo, s20
	v_mov_b32_e32 v4, 24
	v_lshlrev_b32_e32 v15, 20, v26
	v_lshl_add_u32 v14, v14, 23, 0x3c000000
	v_lshlrev_b32_sdwa v4, v4, v25 dst_sel:DWORD dst_unused:UNUSED_PAD src0_sel:DWORD src1_sel:WORD_1
	v_and_b32_e32 v4, 0x80000000, v4
	v_or3_b32 v67, v15, v4, v14
.LBB370_1216:                           ;   in Loop: Header=BB370_10 Depth=1
	s_or_b32 exec_lo, exec_lo, s19
.LBB370_1217:                           ;   in Loop: Header=BB370_10 Depth=1
	s_or_b32 exec_lo, exec_lo, s17
.LBB370_1218:                           ;   in Loop: Header=BB370_10 Depth=1
	s_or_b32 exec_lo, exec_lo, s6
	v_mov_b32_e32 v84, 0
	v_mov_b32_e32 v55, 0
	s_mov_b32 s6, exec_lo
	v_cmpx_lt_u64_e64 s[8:9], v[24:25]
	s_cbranch_execz .LBB370_1226
; %bb.1219:                             ;   in Loop: Header=BB370_10 Depth=1
	v_cmp_ne_u32_sdwa s5, v25, v107 src0_sel:BYTE_3 src1_sel:DWORD
	v_bfrev_b32_e32 v55, 1
	s_and_saveexec_b32 s17, s5
	s_cbranch_execz .LBB370_1225
; %bb.1220:                             ;   in Loop: Header=BB370_10 Depth=1
	v_bfe_u32 v15, v25, 24, 7
	v_mov_b32_e32 v55, 0x7f800001
	s_mov_b32 s19, exec_lo
	v_cmpx_ne_u32_e32 0x7f, v15
	s_cbranch_execz .LBB370_1224
; %bb.1221:                             ;   in Loop: Header=BB370_10 Depth=1
	v_mov_b32_e32 v4, 7
	v_lshrrev_b32_e32 v14, 3, v15
	s_mov_b32 s20, exec_lo
	v_and_b32_sdwa v4, v25, v4 dst_sel:DWORD dst_unused:UNUSED_PAD src0_sel:BYTE_3 src1_sel:DWORD
	v_mov_b32_e32 v27, v5
	v_mov_b32_e32 v26, v4
	v_cmpx_gt_u32_e32 8, v15
; %bb.1222:                             ;   in Loop: Header=BB370_10 Depth=1
	v_ffbh_u32_e32 v14, v4
	v_min_u32_e32 v14, 32, v14
	v_subrev_nc_u32_e32 v15, 28, v14
	v_sub_nc_u32_e32 v14, 29, v14
	v_lshlrev_b64 v[26:27], v15, v[4:5]
	v_and_b32_e32 v26, 7, v26
; %bb.1223:                             ;   in Loop: Header=BB370_10 Depth=1
	s_or_b32 exec_lo, exec_lo, s20
	v_mov_b32_e32 v4, 24
	v_lshlrev_b32_e32 v15, 20, v26
	v_lshl_add_u32 v14, v14, 23, 0x3c000000
	v_lshlrev_b32_sdwa v4, v4, v25 dst_sel:DWORD dst_unused:UNUSED_PAD src0_sel:DWORD src1_sel:BYTE_3
	v_and_b32_e32 v4, 0x80000000, v4
	v_or3_b32 v55, v15, v4, v14
.LBB370_1224:                           ;   in Loop: Header=BB370_10 Depth=1
	s_or_b32 exec_lo, exec_lo, s19
.LBB370_1225:                           ;   in Loop: Header=BB370_10 Depth=1
	s_or_b32 exec_lo, exec_lo, s17
.LBB370_1226:                           ;   in Loop: Header=BB370_10 Depth=1
	s_or_b32 exec_lo, exec_lo, s6
	flat_load_dwordx2 v[24:25], v[16:17] offset:520
	s_waitcnt vmcnt(0) lgkmcnt(0)
	v_cmp_ne_u16_sdwa s5, v24, v5 src0_sel:BYTE_0 src1_sel:DWORD
	s_and_saveexec_b32 s6, s5
	s_cbranch_execz .LBB370_1234
; %bb.1227:                             ;   in Loop: Header=BB370_10 Depth=1
	v_cmp_ne_u16_sdwa s5, v24, v107 src0_sel:BYTE_0 src1_sel:DWORD
	v_bfrev_b32_e32 v84, 1
	s_and_saveexec_b32 s17, s5
	s_cbranch_execz .LBB370_1233
; %bb.1228:                             ;   in Loop: Header=BB370_10 Depth=1
	v_and_b32_e32 v14, 0x7f, v24
	v_mov_b32_e32 v84, 0x7f800001
	s_mov_b32 s19, exec_lo
	v_cmpx_ne_u32_e32 0x7f, v14
	s_cbranch_execz .LBB370_1232
; %bb.1229:                             ;   in Loop: Header=BB370_10 Depth=1
	v_mov_b32_e32 v27, v25
	v_lshrrev_b32_e32 v4, 3, v14
	v_mov_b32_e32 v26, v24
	s_mov_b32 s20, exec_lo
	v_cmpx_gt_u32_e32 8, v14
; %bb.1230:                             ;   in Loop: Header=BB370_10 Depth=1
	v_and_b32_e32 v4, 7, v24
	v_ffbh_u32_e32 v4, v4
	v_min_u32_e32 v4, 32, v4
	v_subrev_nc_u32_e32 v14, 28, v4
	v_sub_nc_u32_e32 v4, 29, v4
	v_lshlrev_b64 v[26:27], v14, v[24:25]
; %bb.1231:                             ;   in Loop: Header=BB370_10 Depth=1
	s_or_b32 exec_lo, exec_lo, s20
	v_lshlrev_b32_e32 v14, 20, v26
	v_lshlrev_b32_e32 v15, 24, v24
	v_lshl_add_u32 v4, v4, 23, 0x3c000000
	v_and_b32_e32 v14, 0x700000, v14
	v_and_b32_e32 v15, 0x80000000, v15
	v_or3_b32 v84, v14, v15, v4
.LBB370_1232:                           ;   in Loop: Header=BB370_10 Depth=1
	s_or_b32 exec_lo, exec_lo, s19
.LBB370_1233:                           ;   in Loop: Header=BB370_10 Depth=1
	s_or_b32 exec_lo, exec_lo, s17
.LBB370_1234:                           ;   in Loop: Header=BB370_10 Depth=1
	s_or_b32 exec_lo, exec_lo, s6
	v_cmp_ne_u16_sdwa s5, v24, v5 src0_sel:BYTE_1 src1_sel:DWORD
	v_mov_b32_e32 v86, 0
	v_mov_b32_e32 v82, 0
	s_and_saveexec_b32 s6, s5
	s_cbranch_execz .LBB370_1242
; %bb.1235:                             ;   in Loop: Header=BB370_10 Depth=1
	v_cmp_ne_u16_sdwa s5, v24, v107 src0_sel:BYTE_1 src1_sel:DWORD
	v_bfrev_b32_e32 v82, 1
	s_and_saveexec_b32 s17, s5
	s_cbranch_execz .LBB370_1241
; %bb.1236:                             ;   in Loop: Header=BB370_10 Depth=1
	v_mov_b32_e32 v4, 0xffff
	v_mov_b32_e32 v82, 0x7f800001
	s_mov_b32 s19, exec_lo
	v_and_b32_sdwa v4, v4, v24 dst_sel:DWORD dst_unused:UNUSED_PAD src0_sel:DWORD src1_sel:BYTE_1
	v_and_b32_e32 v15, 0x7f, v4
	v_cmpx_ne_u32_e32 0x7f, v15
	s_cbranch_execz .LBB370_1240
; %bb.1237:                             ;   in Loop: Header=BB370_10 Depth=1
	v_and_b32_e32 v4, 7, v4
	v_mov_b32_e32 v27, v5
	v_lshrrev_b32_e32 v14, 3, v15
	s_mov_b32 s20, exec_lo
	v_mov_b32_e32 v26, v4
	v_cmpx_gt_u32_e32 8, v15
; %bb.1238:                             ;   in Loop: Header=BB370_10 Depth=1
	v_ffbh_u32_e32 v14, v4
	v_min_u32_e32 v14, 32, v14
	v_subrev_nc_u32_e32 v15, 28, v14
	v_sub_nc_u32_e32 v14, 29, v14
	v_lshlrev_b64 v[26:27], v15, v[4:5]
	v_and_b32_e32 v26, 7, v26
; %bb.1239:                             ;   in Loop: Header=BB370_10 Depth=1
	s_or_b32 exec_lo, exec_lo, s20
	v_lshlrev_b32_e32 v4, 16, v24
	v_lshlrev_b32_e32 v15, 20, v26
	v_lshl_add_u32 v14, v14, 23, 0x3c000000
	v_and_b32_e32 v4, 0x80000000, v4
	v_or3_b32 v82, v15, v4, v14
.LBB370_1240:                           ;   in Loop: Header=BB370_10 Depth=1
	s_or_b32 exec_lo, exec_lo, s19
.LBB370_1241:                           ;   in Loop: Header=BB370_10 Depth=1
	s_or_b32 exec_lo, exec_lo, s17
.LBB370_1242:                           ;   in Loop: Header=BB370_10 Depth=1
	s_or_b32 exec_lo, exec_lo, s6
	v_mov_b32_e32 v4, 0xff
	s_mov_b32 s6, exec_lo
	v_and_b32_sdwa v4, v24, v4 dst_sel:DWORD dst_unused:UNUSED_PAD src0_sel:WORD_1 src1_sel:DWORD
	v_cmpx_ne_u16_e32 0, v4
	s_cbranch_execz .LBB370_1250
; %bb.1243:                             ;   in Loop: Header=BB370_10 Depth=1
	v_bfrev_b32_e32 v86, 1
	s_mov_b32 s17, exec_lo
	v_cmpx_ne_u16_e32 0x80, v4
	s_cbranch_execz .LBB370_1249
; %bb.1244:                             ;   in Loop: Header=BB370_10 Depth=1
	v_bfe_u32 v15, v24, 16, 7
	v_mov_b32_e32 v86, 0x7f800001
	s_mov_b32 s19, exec_lo
	v_cmpx_ne_u32_e32 0x7f, v15
	s_cbranch_execz .LBB370_1248
; %bb.1245:                             ;   in Loop: Header=BB370_10 Depth=1
	v_mov_b32_e32 v4, 7
	v_lshrrev_b32_e32 v14, 3, v15
	s_mov_b32 s20, exec_lo
	v_and_b32_sdwa v4, v24, v4 dst_sel:DWORD dst_unused:UNUSED_PAD src0_sel:WORD_1 src1_sel:DWORD
	v_mov_b32_e32 v27, v5
	v_mov_b32_e32 v26, v4
	v_cmpx_gt_u32_e32 8, v15
; %bb.1246:                             ;   in Loop: Header=BB370_10 Depth=1
	v_ffbh_u32_e32 v14, v4
	v_min_u32_e32 v14, 32, v14
	v_subrev_nc_u32_e32 v15, 28, v14
	v_sub_nc_u32_e32 v14, 29, v14
	v_lshlrev_b64 v[26:27], v15, v[4:5]
	v_and_b32_e32 v26, 7, v26
; %bb.1247:                             ;   in Loop: Header=BB370_10 Depth=1
	s_or_b32 exec_lo, exec_lo, s20
	v_mov_b32_e32 v4, 24
	v_lshlrev_b32_e32 v15, 20, v26
	v_lshl_add_u32 v14, v14, 23, 0x3c000000
	v_lshlrev_b32_sdwa v4, v4, v24 dst_sel:DWORD dst_unused:UNUSED_PAD src0_sel:DWORD src1_sel:WORD_1
	v_and_b32_e32 v4, 0x80000000, v4
	v_or3_b32 v86, v15, v4, v14
.LBB370_1248:                           ;   in Loop: Header=BB370_10 Depth=1
	s_or_b32 exec_lo, exec_lo, s19
.LBB370_1249:                           ;   in Loop: Header=BB370_10 Depth=1
	s_or_b32 exec_lo, exec_lo, s17
.LBB370_1250:                           ;   in Loop: Header=BB370_10 Depth=1
	s_or_b32 exec_lo, exec_lo, s6
	v_mov_b32_e32 v96, 0
	v_mov_b32_e32 v85, 0
	s_mov_b32 s6, exec_lo
	v_cmpx_lt_u32_e32 0xffffff, v24
	s_cbranch_execz .LBB370_1258
; %bb.1251:                             ;   in Loop: Header=BB370_10 Depth=1
	v_cmp_ne_u32_sdwa s5, v24, v107 src0_sel:BYTE_3 src1_sel:DWORD
	v_bfrev_b32_e32 v85, 1
	s_and_saveexec_b32 s17, s5
	s_cbranch_execz .LBB370_1257
; %bb.1252:                             ;   in Loop: Header=BB370_10 Depth=1
	v_bfe_u32 v15, v24, 24, 7
	v_mov_b32_e32 v85, 0x7f800001
	s_mov_b32 s19, exec_lo
	v_cmpx_ne_u32_e32 0x7f, v15
	s_cbranch_execz .LBB370_1256
; %bb.1253:                             ;   in Loop: Header=BB370_10 Depth=1
	v_mov_b32_e32 v4, 7
	v_lshrrev_b32_e32 v14, 3, v15
	s_mov_b32 s20, exec_lo
	v_and_b32_sdwa v4, v24, v4 dst_sel:DWORD dst_unused:UNUSED_PAD src0_sel:BYTE_3 src1_sel:DWORD
	v_mov_b32_e32 v27, v5
	v_mov_b32_e32 v26, v4
	v_cmpx_gt_u32_e32 8, v15
; %bb.1254:                             ;   in Loop: Header=BB370_10 Depth=1
	v_ffbh_u32_e32 v14, v4
	v_min_u32_e32 v14, 32, v14
	v_subrev_nc_u32_e32 v15, 28, v14
	v_sub_nc_u32_e32 v14, 29, v14
	v_lshlrev_b64 v[26:27], v15, v[4:5]
	v_and_b32_e32 v26, 7, v26
; %bb.1255:                             ;   in Loop: Header=BB370_10 Depth=1
	s_or_b32 exec_lo, exec_lo, s20
	v_mov_b32_e32 v4, 24
	v_lshlrev_b32_e32 v15, 20, v26
	v_lshl_add_u32 v14, v14, 23, 0x3c000000
	v_lshlrev_b32_sdwa v4, v4, v24 dst_sel:DWORD dst_unused:UNUSED_PAD src0_sel:DWORD src1_sel:BYTE_3
	v_and_b32_e32 v4, 0x80000000, v4
	v_or3_b32 v85, v15, v4, v14
.LBB370_1256:                           ;   in Loop: Header=BB370_10 Depth=1
	s_or_b32 exec_lo, exec_lo, s19
.LBB370_1257:                           ;   in Loop: Header=BB370_10 Depth=1
	s_or_b32 exec_lo, exec_lo, s17
.LBB370_1258:                           ;   in Loop: Header=BB370_10 Depth=1
	s_or_b32 exec_lo, exec_lo, s6
	v_mov_b32_e32 v4, v25
	v_cmp_ne_u16_sdwa s5, v25, v5 src0_sel:BYTE_0 src1_sel:DWORD
	s_and_saveexec_b32 s6, s5
	s_cbranch_execz .LBB370_1266
; %bb.1259:                             ;   in Loop: Header=BB370_10 Depth=1
	v_cmp_ne_u16_sdwa s5, v25, v107 src0_sel:BYTE_0 src1_sel:DWORD
	v_bfrev_b32_e32 v96, 1
	s_and_saveexec_b32 s17, s5
	s_cbranch_execz .LBB370_1265
; %bb.1260:                             ;   in Loop: Header=BB370_10 Depth=1
	v_and_b32_e32 v15, 0x7f, v25
	v_mov_b32_e32 v96, 0x7f800001
	s_mov_b32 s19, exec_lo
	v_cmpx_ne_u32_e32 0x7f, v15
	s_cbranch_execz .LBB370_1264
; %bb.1261:                             ;   in Loop: Header=BB370_10 Depth=1
	v_mov_b32_e32 v27, v5
	v_mov_b32_e32 v26, v4
	v_lshrrev_b32_e32 v14, 3, v15
	s_mov_b32 s20, exec_lo
	v_cmpx_gt_u32_e32 8, v15
; %bb.1262:                             ;   in Loop: Header=BB370_10 Depth=1
	v_and_b32_e32 v14, 7, v25
	v_ffbh_u32_e32 v14, v14
	v_min_u32_e32 v14, 32, v14
	v_subrev_nc_u32_e32 v15, 28, v14
	v_sub_nc_u32_e32 v14, 29, v14
	v_lshlrev_b64 v[26:27], v15, v[4:5]
; %bb.1263:                             ;   in Loop: Header=BB370_10 Depth=1
	s_or_b32 exec_lo, exec_lo, s20
	v_lshlrev_b32_e32 v15, 20, v26
	v_lshlrev_b32_e32 v26, 24, v4
	v_lshl_add_u32 v14, v14, 23, 0x3c000000
	v_and_b32_e32 v15, 0x700000, v15
	v_and_b32_e32 v26, 0x80000000, v26
	v_or3_b32 v96, v15, v26, v14
.LBB370_1264:                           ;   in Loop: Header=BB370_10 Depth=1
	s_or_b32 exec_lo, exec_lo, s19
.LBB370_1265:                           ;   in Loop: Header=BB370_10 Depth=1
	s_or_b32 exec_lo, exec_lo, s17
.LBB370_1266:                           ;   in Loop: Header=BB370_10 Depth=1
	s_or_b32 exec_lo, exec_lo, s6
	v_cmp_ne_u16_sdwa s5, v4, v5 src0_sel:BYTE_1 src1_sel:DWORD
	v_mov_b32_e32 v83, 0
	v_mov_b32_e32 v98, 0
	s_and_saveexec_b32 s6, s5
	s_cbranch_execz .LBB370_1274
; %bb.1267:                             ;   in Loop: Header=BB370_10 Depth=1
	v_cmp_ne_u16_sdwa s5, v4, v107 src0_sel:BYTE_1 src1_sel:DWORD
	v_bfrev_b32_e32 v98, 1
	s_and_saveexec_b32 s17, s5
	s_cbranch_execz .LBB370_1273
; %bb.1268:                             ;   in Loop: Header=BB370_10 Depth=1
	v_mov_b32_e32 v14, 0xffff
	v_mov_b32_e32 v98, 0x7f800001
	s_mov_b32 s19, exec_lo
	v_and_b32_sdwa v14, v14, v4 dst_sel:DWORD dst_unused:UNUSED_PAD src0_sel:DWORD src1_sel:BYTE_1
	v_and_b32_e32 v15, 0x7f, v14
	v_cmpx_ne_u32_e32 0x7f, v15
	s_cbranch_execz .LBB370_1272
; %bb.1269:                             ;   in Loop: Header=BB370_10 Depth=1
	v_and_b32_e32 v26, 7, v14
	v_mov_b32_e32 v27, v5
	v_lshrrev_b32_e32 v14, 3, v15
	s_mov_b32 s20, exec_lo
	v_cmpx_gt_u32_e32 8, v15
; %bb.1270:                             ;   in Loop: Header=BB370_10 Depth=1
	v_ffbh_u32_e32 v14, v26
	v_min_u32_e32 v14, 32, v14
	v_subrev_nc_u32_e32 v15, 28, v14
	v_sub_nc_u32_e32 v14, 29, v14
	v_lshlrev_b64 v[26:27], v15, v[26:27]
	v_and_b32_e32 v26, 7, v26
; %bb.1271:                             ;   in Loop: Header=BB370_10 Depth=1
	s_or_b32 exec_lo, exec_lo, s20
	v_lshlrev_b32_e32 v4, 16, v4
	v_lshlrev_b32_e32 v15, 20, v26
	v_lshl_add_u32 v14, v14, 23, 0x3c000000
	v_and_b32_e32 v4, 0x80000000, v4
	v_or3_b32 v98, v15, v4, v14
.LBB370_1272:                           ;   in Loop: Header=BB370_10 Depth=1
	s_or_b32 exec_lo, exec_lo, s19
.LBB370_1273:                           ;   in Loop: Header=BB370_10 Depth=1
	s_or_b32 exec_lo, exec_lo, s17
.LBB370_1274:                           ;   in Loop: Header=BB370_10 Depth=1
	s_or_b32 exec_lo, exec_lo, s6
	v_mov_b32_e32 v4, 0xff
	s_mov_b32 s6, exec_lo
	v_and_b32_sdwa v4, v25, v4 dst_sel:DWORD dst_unused:UNUSED_PAD src0_sel:WORD_1 src1_sel:DWORD
	v_cmpx_ne_u16_e32 0, v4
	s_cbranch_execz .LBB370_1282
; %bb.1275:                             ;   in Loop: Header=BB370_10 Depth=1
	v_bfrev_b32_e32 v83, 1
	s_mov_b32 s17, exec_lo
	v_cmpx_ne_u16_e32 0x80, v4
	s_cbranch_execz .LBB370_1281
; %bb.1276:                             ;   in Loop: Header=BB370_10 Depth=1
	v_bfe_u32 v15, v25, 16, 7
	v_mov_b32_e32 v83, 0x7f800001
	s_mov_b32 s19, exec_lo
	v_cmpx_ne_u32_e32 0x7f, v15
	s_cbranch_execz .LBB370_1280
; %bb.1277:                             ;   in Loop: Header=BB370_10 Depth=1
	v_mov_b32_e32 v4, 7
	v_lshrrev_b32_e32 v14, 3, v15
	s_mov_b32 s20, exec_lo
	v_and_b32_sdwa v4, v25, v4 dst_sel:DWORD dst_unused:UNUSED_PAD src0_sel:WORD_1 src1_sel:DWORD
	v_mov_b32_e32 v27, v5
	v_mov_b32_e32 v26, v4
	v_cmpx_gt_u32_e32 8, v15
; %bb.1278:                             ;   in Loop: Header=BB370_10 Depth=1
	v_ffbh_u32_e32 v14, v4
	v_min_u32_e32 v14, 32, v14
	v_subrev_nc_u32_e32 v15, 28, v14
	v_sub_nc_u32_e32 v14, 29, v14
	v_lshlrev_b64 v[26:27], v15, v[4:5]
	v_and_b32_e32 v26, 7, v26
; %bb.1279:                             ;   in Loop: Header=BB370_10 Depth=1
	s_or_b32 exec_lo, exec_lo, s20
	v_mov_b32_e32 v4, 24
	v_lshlrev_b32_e32 v15, 20, v26
	v_lshl_add_u32 v14, v14, 23, 0x3c000000
	v_lshlrev_b32_sdwa v4, v4, v25 dst_sel:DWORD dst_unused:UNUSED_PAD src0_sel:DWORD src1_sel:WORD_1
	v_and_b32_e32 v4, 0x80000000, v4
	v_or3_b32 v83, v15, v4, v14
.LBB370_1280:                           ;   in Loop: Header=BB370_10 Depth=1
	s_or_b32 exec_lo, exec_lo, s19
.LBB370_1281:                           ;   in Loop: Header=BB370_10 Depth=1
	s_or_b32 exec_lo, exec_lo, s17
.LBB370_1282:                           ;   in Loop: Header=BB370_10 Depth=1
	s_or_b32 exec_lo, exec_lo, s6
	v_mov_b32_e32 v15, 0
	v_mov_b32_e32 v71, 0
	s_mov_b32 s6, exec_lo
	v_cmpx_lt_u64_e64 s[8:9], v[24:25]
	s_cbranch_execz .LBB370_1290
; %bb.1283:                             ;   in Loop: Header=BB370_10 Depth=1
	v_cmp_ne_u32_sdwa s5, v25, v107 src0_sel:BYTE_3 src1_sel:DWORD
	v_bfrev_b32_e32 v71, 1
	s_and_saveexec_b32 s17, s5
	s_cbranch_execz .LBB370_1289
; %bb.1284:                             ;   in Loop: Header=BB370_10 Depth=1
	v_bfe_u32 v24, v25, 24, 7
	v_mov_b32_e32 v71, 0x7f800001
	s_mov_b32 s19, exec_lo
	v_cmpx_ne_u32_e32 0x7f, v24
	s_cbranch_execz .LBB370_1288
; %bb.1285:                             ;   in Loop: Header=BB370_10 Depth=1
	v_mov_b32_e32 v4, 7
	v_lshrrev_b32_e32 v14, 3, v24
	s_mov_b32 s20, exec_lo
	v_and_b32_sdwa v4, v25, v4 dst_sel:DWORD dst_unused:UNUSED_PAD src0_sel:BYTE_3 src1_sel:DWORD
	v_mov_b32_e32 v27, v5
	v_mov_b32_e32 v26, v4
	v_cmpx_gt_u32_e32 8, v24
; %bb.1286:                             ;   in Loop: Header=BB370_10 Depth=1
	v_ffbh_u32_e32 v14, v4
	v_min_u32_e32 v14, 32, v14
	v_subrev_nc_u32_e32 v24, 28, v14
	v_sub_nc_u32_e32 v14, 29, v14
	v_lshlrev_b64 v[26:27], v24, v[4:5]
	v_and_b32_e32 v26, 7, v26
; %bb.1287:                             ;   in Loop: Header=BB370_10 Depth=1
	s_or_b32 exec_lo, exec_lo, s20
	v_mov_b32_e32 v4, 24
	v_lshlrev_b32_e32 v24, 20, v26
	v_lshl_add_u32 v14, v14, 23, 0x3c000000
	v_lshlrev_b32_sdwa v4, v4, v25 dst_sel:DWORD dst_unused:UNUSED_PAD src0_sel:DWORD src1_sel:BYTE_3
	v_and_b32_e32 v4, 0x80000000, v4
	v_or3_b32 v71, v24, v4, v14
.LBB370_1288:                           ;   in Loop: Header=BB370_10 Depth=1
	s_or_b32 exec_lo, exec_lo, s19
.LBB370_1289:                           ;   in Loop: Header=BB370_10 Depth=1
	s_or_b32 exec_lo, exec_lo, s17
.LBB370_1290:                           ;   in Loop: Header=BB370_10 Depth=1
	s_or_b32 exec_lo, exec_lo, s6
	flat_load_dwordx2 v[24:25], v[16:17] offset:1024
	s_waitcnt vmcnt(0) lgkmcnt(0)
	v_cmp_ne_u16_sdwa s5, v24, v5 src0_sel:BYTE_0 src1_sel:DWORD
	s_and_saveexec_b32 s6, s5
	s_cbranch_execz .LBB370_1298
; %bb.1291:                             ;   in Loop: Header=BB370_10 Depth=1
	v_cmp_ne_u16_sdwa s5, v24, v107 src0_sel:BYTE_0 src1_sel:DWORD
	v_bfrev_b32_e32 v15, 1
	s_and_saveexec_b32 s17, s5
	s_cbranch_execz .LBB370_1297
; %bb.1292:                             ;   in Loop: Header=BB370_10 Depth=1
	v_and_b32_e32 v14, 0x7f, v24
	v_mov_b32_e32 v15, 0x7f800001
	s_mov_b32 s19, exec_lo
	v_cmpx_ne_u32_e32 0x7f, v14
	s_cbranch_execz .LBB370_1296
; %bb.1293:                             ;   in Loop: Header=BB370_10 Depth=1
	v_mov_b32_e32 v27, v25
	v_lshrrev_b32_e32 v4, 3, v14
	v_mov_b32_e32 v26, v24
	s_mov_b32 s20, exec_lo
	v_cmpx_gt_u32_e32 8, v14
; %bb.1294:                             ;   in Loop: Header=BB370_10 Depth=1
	v_and_b32_e32 v4, 7, v24
	v_ffbh_u32_e32 v4, v4
	v_min_u32_e32 v4, 32, v4
	v_subrev_nc_u32_e32 v14, 28, v4
	v_sub_nc_u32_e32 v4, 29, v4
	v_lshlrev_b64 v[26:27], v14, v[24:25]
; %bb.1295:                             ;   in Loop: Header=BB370_10 Depth=1
	s_or_b32 exec_lo, exec_lo, s20
	v_lshlrev_b32_e32 v14, 20, v26
	v_lshlrev_b32_e32 v15, 24, v24
	v_lshl_add_u32 v4, v4, 23, 0x3c000000
	v_and_b32_e32 v14, 0x700000, v14
	v_and_b32_e32 v15, 0x80000000, v15
	v_or3_b32 v15, v14, v15, v4
.LBB370_1296:                           ;   in Loop: Header=BB370_10 Depth=1
	s_or_b32 exec_lo, exec_lo, s19
.LBB370_1297:                           ;   in Loop: Header=BB370_10 Depth=1
	s_or_b32 exec_lo, exec_lo, s17
.LBB370_1298:                           ;   in Loop: Header=BB370_10 Depth=1
	s_or_b32 exec_lo, exec_lo, s6
	v_cmp_ne_u16_sdwa s5, v24, v5 src0_sel:BYTE_1 src1_sel:DWORD
	v_mov_b32_e32 v99, 0
	v_mov_b32_e32 v87, 0
	s_and_saveexec_b32 s6, s5
	s_cbranch_execz .LBB370_1306
; %bb.1299:                             ;   in Loop: Header=BB370_10 Depth=1
	v_cmp_ne_u16_sdwa s5, v24, v107 src0_sel:BYTE_1 src1_sel:DWORD
	v_bfrev_b32_e32 v87, 1
	s_and_saveexec_b32 s17, s5
	s_cbranch_execz .LBB370_1305
; %bb.1300:                             ;   in Loop: Header=BB370_10 Depth=1
	v_mov_b32_e32 v4, 0xffff
	v_mov_b32_e32 v87, 0x7f800001
	s_mov_b32 s19, exec_lo
	v_and_b32_sdwa v4, v4, v24 dst_sel:DWORD dst_unused:UNUSED_PAD src0_sel:DWORD src1_sel:BYTE_1
	v_and_b32_e32 v30, 0x7f, v4
	v_cmpx_ne_u32_e32 0x7f, v30
	s_cbranch_execz .LBB370_1304
; %bb.1301:                             ;   in Loop: Header=BB370_10 Depth=1
	v_and_b32_e32 v4, 7, v4
	v_mov_b32_e32 v27, v5
	v_lshrrev_b32_e32 v14, 3, v30
	s_mov_b32 s20, exec_lo
	v_mov_b32_e32 v26, v4
	v_cmpx_gt_u32_e32 8, v30
; %bb.1302:                             ;   in Loop: Header=BB370_10 Depth=1
	v_ffbh_u32_e32 v14, v4
	v_min_u32_e32 v14, 32, v14
	v_subrev_nc_u32_e32 v26, 28, v14
	v_sub_nc_u32_e32 v14, 29, v14
	v_lshlrev_b64 v[26:27], v26, v[4:5]
	v_and_b32_e32 v26, 7, v26
; %bb.1303:                             ;   in Loop: Header=BB370_10 Depth=1
	s_or_b32 exec_lo, exec_lo, s20
	v_lshlrev_b32_e32 v4, 16, v24
	v_lshlrev_b32_e32 v26, 20, v26
	v_lshl_add_u32 v14, v14, 23, 0x3c000000
	v_and_b32_e32 v4, 0x80000000, v4
	v_or3_b32 v87, v26, v4, v14
.LBB370_1304:                           ;   in Loop: Header=BB370_10 Depth=1
	s_or_b32 exec_lo, exec_lo, s19
.LBB370_1305:                           ;   in Loop: Header=BB370_10 Depth=1
	s_or_b32 exec_lo, exec_lo, s17
.LBB370_1306:                           ;   in Loop: Header=BB370_10 Depth=1
	s_or_b32 exec_lo, exec_lo, s6
	v_mov_b32_e32 v4, 0xff
	s_mov_b32 s6, exec_lo
	v_and_b32_sdwa v4, v24, v4 dst_sel:DWORD dst_unused:UNUSED_PAD src0_sel:WORD_1 src1_sel:DWORD
	v_cmpx_ne_u16_e32 0, v4
	s_cbranch_execz .LBB370_1314
; %bb.1307:                             ;   in Loop: Header=BB370_10 Depth=1
	v_bfrev_b32_e32 v99, 1
	s_mov_b32 s17, exec_lo
	v_cmpx_ne_u16_e32 0x80, v4
	s_cbranch_execz .LBB370_1313
; %bb.1308:                             ;   in Loop: Header=BB370_10 Depth=1
	v_bfe_u32 v30, v24, 16, 7
	v_mov_b32_e32 v99, 0x7f800001
	s_mov_b32 s19, exec_lo
	v_cmpx_ne_u32_e32 0x7f, v30
	s_cbranch_execz .LBB370_1312
; %bb.1309:                             ;   in Loop: Header=BB370_10 Depth=1
	v_mov_b32_e32 v4, 7
	v_lshrrev_b32_e32 v14, 3, v30
	s_mov_b32 s20, exec_lo
	v_and_b32_sdwa v4, v24, v4 dst_sel:DWORD dst_unused:UNUSED_PAD src0_sel:WORD_1 src1_sel:DWORD
	v_mov_b32_e32 v27, v5
	v_mov_b32_e32 v26, v4
	v_cmpx_gt_u32_e32 8, v30
; %bb.1310:                             ;   in Loop: Header=BB370_10 Depth=1
	v_ffbh_u32_e32 v14, v4
	v_min_u32_e32 v14, 32, v14
	v_subrev_nc_u32_e32 v26, 28, v14
	v_sub_nc_u32_e32 v14, 29, v14
	v_lshlrev_b64 v[26:27], v26, v[4:5]
	v_and_b32_e32 v26, 7, v26
; %bb.1311:                             ;   in Loop: Header=BB370_10 Depth=1
	s_or_b32 exec_lo, exec_lo, s20
	v_mov_b32_e32 v4, 24
	v_lshlrev_b32_e32 v26, 20, v26
	v_lshl_add_u32 v14, v14, 23, 0x3c000000
	v_lshlrev_b32_sdwa v4, v4, v24 dst_sel:DWORD dst_unused:UNUSED_PAD src0_sel:DWORD src1_sel:WORD_1
	v_and_b32_e32 v4, 0x80000000, v4
	v_or3_b32 v99, v26, v4, v14
.LBB370_1312:                           ;   in Loop: Header=BB370_10 Depth=1
	s_or_b32 exec_lo, exec_lo, s19
.LBB370_1313:                           ;   in Loop: Header=BB370_10 Depth=1
	s_or_b32 exec_lo, exec_lo, s17
.LBB370_1314:                           ;   in Loop: Header=BB370_10 Depth=1
	s_or_b32 exec_lo, exec_lo, s6
	v_mov_b32_e32 v97, 0
	v_mov_b32_e32 v101, 0
	s_mov_b32 s6, exec_lo
	v_cmpx_lt_u32_e32 0xffffff, v24
	s_cbranch_execz .LBB370_1322
; %bb.1315:                             ;   in Loop: Header=BB370_10 Depth=1
	v_cmp_ne_u32_sdwa s5, v24, v107 src0_sel:BYTE_3 src1_sel:DWORD
	v_bfrev_b32_e32 v101, 1
	s_and_saveexec_b32 s17, s5
	s_cbranch_execz .LBB370_1321
; %bb.1316:                             ;   in Loop: Header=BB370_10 Depth=1
	v_bfe_u32 v30, v24, 24, 7
	v_mov_b32_e32 v101, 0x7f800001
	s_mov_b32 s19, exec_lo
	v_cmpx_ne_u32_e32 0x7f, v30
	s_cbranch_execz .LBB370_1320
; %bb.1317:                             ;   in Loop: Header=BB370_10 Depth=1
	v_mov_b32_e32 v4, 7
	v_lshrrev_b32_e32 v14, 3, v30
	s_mov_b32 s20, exec_lo
	v_and_b32_sdwa v4, v24, v4 dst_sel:DWORD dst_unused:UNUSED_PAD src0_sel:BYTE_3 src1_sel:DWORD
	v_mov_b32_e32 v27, v5
	v_mov_b32_e32 v26, v4
	v_cmpx_gt_u32_e32 8, v30
; %bb.1318:                             ;   in Loop: Header=BB370_10 Depth=1
	v_ffbh_u32_e32 v14, v4
	v_min_u32_e32 v14, 32, v14
	v_subrev_nc_u32_e32 v26, 28, v14
	v_sub_nc_u32_e32 v14, 29, v14
	v_lshlrev_b64 v[26:27], v26, v[4:5]
	v_and_b32_e32 v26, 7, v26
; %bb.1319:                             ;   in Loop: Header=BB370_10 Depth=1
	s_or_b32 exec_lo, exec_lo, s20
	v_mov_b32_e32 v4, 24
	v_lshlrev_b32_e32 v26, 20, v26
	v_lshl_add_u32 v14, v14, 23, 0x3c000000
	v_lshlrev_b32_sdwa v4, v4, v24 dst_sel:DWORD dst_unused:UNUSED_PAD src0_sel:DWORD src1_sel:BYTE_3
	v_and_b32_e32 v4, 0x80000000, v4
	v_or3_b32 v101, v26, v4, v14
.LBB370_1320:                           ;   in Loop: Header=BB370_10 Depth=1
	s_or_b32 exec_lo, exec_lo, s19
.LBB370_1321:                           ;   in Loop: Header=BB370_10 Depth=1
	s_or_b32 exec_lo, exec_lo, s17
.LBB370_1322:                           ;   in Loop: Header=BB370_10 Depth=1
	s_or_b32 exec_lo, exec_lo, s6
	v_mov_b32_e32 v4, v25
	v_cmp_ne_u16_sdwa s5, v25, v5 src0_sel:BYTE_0 src1_sel:DWORD
	s_and_saveexec_b32 s6, s5
	s_cbranch_execz .LBB370_1330
; %bb.1323:                             ;   in Loop: Header=BB370_10 Depth=1
	v_cmp_ne_u16_sdwa s5, v25, v107 src0_sel:BYTE_0 src1_sel:DWORD
	v_bfrev_b32_e32 v97, 1
	s_and_saveexec_b32 s17, s5
	s_cbranch_execz .LBB370_1329
; %bb.1324:                             ;   in Loop: Header=BB370_10 Depth=1
	v_and_b32_e32 v30, 0x7f, v25
	v_mov_b32_e32 v97, 0x7f800001
	s_mov_b32 s19, exec_lo
	v_cmpx_ne_u32_e32 0x7f, v30
	s_cbranch_execz .LBB370_1328
; %bb.1325:                             ;   in Loop: Header=BB370_10 Depth=1
	v_mov_b32_e32 v27, v5
	v_mov_b32_e32 v26, v4
	v_lshrrev_b32_e32 v14, 3, v30
	s_mov_b32 s20, exec_lo
	v_cmpx_gt_u32_e32 8, v30
; %bb.1326:                             ;   in Loop: Header=BB370_10 Depth=1
	v_and_b32_e32 v14, 7, v25
	v_ffbh_u32_e32 v14, v14
	v_min_u32_e32 v14, 32, v14
	v_subrev_nc_u32_e32 v26, 28, v14
	v_sub_nc_u32_e32 v14, 29, v14
	v_lshlrev_b64 v[26:27], v26, v[4:5]
; %bb.1327:                             ;   in Loop: Header=BB370_10 Depth=1
	s_or_b32 exec_lo, exec_lo, s20
	v_lshlrev_b32_e32 v26, 20, v26
	v_lshlrev_b32_e32 v27, 24, v4
	v_lshl_add_u32 v14, v14, 23, 0x3c000000
	v_and_b32_e32 v26, 0x700000, v26
	v_and_b32_e32 v27, 0x80000000, v27
	v_or3_b32 v97, v26, v27, v14
.LBB370_1328:                           ;   in Loop: Header=BB370_10 Depth=1
	s_or_b32 exec_lo, exec_lo, s19
.LBB370_1329:                           ;   in Loop: Header=BB370_10 Depth=1
	s_or_b32 exec_lo, exec_lo, s17
.LBB370_1330:                           ;   in Loop: Header=BB370_10 Depth=1
	s_or_b32 exec_lo, exec_lo, s6
	v_cmp_ne_u16_sdwa s5, v4, v5 src0_sel:BYTE_1 src1_sel:DWORD
	v_mov_b32_e32 v81, 0
	v_mov_b32_e32 v38, 0
	s_and_saveexec_b32 s6, s5
	s_cbranch_execz .LBB370_1338
; %bb.1331:                             ;   in Loop: Header=BB370_10 Depth=1
	v_cmp_ne_u16_sdwa s5, v4, v107 src0_sel:BYTE_1 src1_sel:DWORD
	v_bfrev_b32_e32 v38, 1
	s_and_saveexec_b32 s17, s5
	s_cbranch_execz .LBB370_1337
; %bb.1332:                             ;   in Loop: Header=BB370_10 Depth=1
	v_mov_b32_e32 v14, 0xffff
	v_mov_b32_e32 v38, 0x7f800001
	s_mov_b32 s19, exec_lo
	v_and_b32_sdwa v14, v14, v4 dst_sel:DWORD dst_unused:UNUSED_PAD src0_sel:DWORD src1_sel:BYTE_1
	v_and_b32_e32 v30, 0x7f, v14
	v_cmpx_ne_u32_e32 0x7f, v30
	s_cbranch_execz .LBB370_1336
; %bb.1333:                             ;   in Loop: Header=BB370_10 Depth=1
	v_and_b32_e32 v26, 7, v14
	v_mov_b32_e32 v27, v5
	v_lshrrev_b32_e32 v14, 3, v30
	s_mov_b32 s20, exec_lo
	v_cmpx_gt_u32_e32 8, v30
; %bb.1334:                             ;   in Loop: Header=BB370_10 Depth=1
	v_ffbh_u32_e32 v14, v26
	v_min_u32_e32 v14, 32, v14
	v_subrev_nc_u32_e32 v30, 28, v14
	v_sub_nc_u32_e32 v14, 29, v14
	v_lshlrev_b64 v[26:27], v30, v[26:27]
	v_and_b32_e32 v26, 7, v26
; %bb.1335:                             ;   in Loop: Header=BB370_10 Depth=1
	s_or_b32 exec_lo, exec_lo, s20
	v_lshlrev_b32_e32 v4, 16, v4
	v_lshlrev_b32_e32 v26, 20, v26
	v_lshl_add_u32 v14, v14, 23, 0x3c000000
	v_and_b32_e32 v4, 0x80000000, v4
	v_or3_b32 v38, v26, v4, v14
.LBB370_1336:                           ;   in Loop: Header=BB370_10 Depth=1
	s_or_b32 exec_lo, exec_lo, s19
.LBB370_1337:                           ;   in Loop: Header=BB370_10 Depth=1
	s_or_b32 exec_lo, exec_lo, s17
.LBB370_1338:                           ;   in Loop: Header=BB370_10 Depth=1
	s_or_b32 exec_lo, exec_lo, s6
	v_mov_b32_e32 v4, 0xff
	s_mov_b32 s6, exec_lo
	v_and_b32_sdwa v4, v25, v4 dst_sel:DWORD dst_unused:UNUSED_PAD src0_sel:WORD_1 src1_sel:DWORD
	v_cmpx_ne_u16_e32 0, v4
	s_cbranch_execz .LBB370_1346
; %bb.1339:                             ;   in Loop: Header=BB370_10 Depth=1
	v_bfrev_b32_e32 v81, 1
	s_mov_b32 s17, exec_lo
	v_cmpx_ne_u16_e32 0x80, v4
	s_cbranch_execz .LBB370_1345
; %bb.1340:                             ;   in Loop: Header=BB370_10 Depth=1
	v_bfe_u32 v30, v25, 16, 7
	v_mov_b32_e32 v81, 0x7f800001
	s_mov_b32 s19, exec_lo
	v_cmpx_ne_u32_e32 0x7f, v30
	s_cbranch_execz .LBB370_1344
; %bb.1341:                             ;   in Loop: Header=BB370_10 Depth=1
	v_mov_b32_e32 v4, 7
	v_lshrrev_b32_e32 v14, 3, v30
	s_mov_b32 s20, exec_lo
	v_and_b32_sdwa v4, v25, v4 dst_sel:DWORD dst_unused:UNUSED_PAD src0_sel:WORD_1 src1_sel:DWORD
	v_mov_b32_e32 v27, v5
	v_mov_b32_e32 v26, v4
	v_cmpx_gt_u32_e32 8, v30
; %bb.1342:                             ;   in Loop: Header=BB370_10 Depth=1
	v_ffbh_u32_e32 v14, v4
	v_min_u32_e32 v14, 32, v14
	v_subrev_nc_u32_e32 v26, 28, v14
	v_sub_nc_u32_e32 v14, 29, v14
	v_lshlrev_b64 v[26:27], v26, v[4:5]
	v_and_b32_e32 v26, 7, v26
; %bb.1343:                             ;   in Loop: Header=BB370_10 Depth=1
	s_or_b32 exec_lo, exec_lo, s20
	v_mov_b32_e32 v4, 24
	v_lshlrev_b32_e32 v26, 20, v26
	v_lshl_add_u32 v14, v14, 23, 0x3c000000
	v_lshlrev_b32_sdwa v4, v4, v25 dst_sel:DWORD dst_unused:UNUSED_PAD src0_sel:DWORD src1_sel:WORD_1
	v_and_b32_e32 v4, 0x80000000, v4
	v_or3_b32 v81, v26, v4, v14
.LBB370_1344:                           ;   in Loop: Header=BB370_10 Depth=1
	s_or_b32 exec_lo, exec_lo, s19
.LBB370_1345:                           ;   in Loop: Header=BB370_10 Depth=1
	s_or_b32 exec_lo, exec_lo, s17
.LBB370_1346:                           ;   in Loop: Header=BB370_10 Depth=1
	s_or_b32 exec_lo, exec_lo, s6
	v_mov_b32_e32 v30, 0
	v_mov_b32_e32 v31, 0
	s_mov_b32 s6, exec_lo
	v_cmpx_lt_u64_e64 s[8:9], v[24:25]
	s_cbranch_execz .LBB370_1354
; %bb.1347:                             ;   in Loop: Header=BB370_10 Depth=1
	v_cmp_ne_u32_sdwa s5, v25, v107 src0_sel:BYTE_3 src1_sel:DWORD
	v_bfrev_b32_e32 v31, 1
	s_and_saveexec_b32 s17, s5
	s_cbranch_execz .LBB370_1353
; %bb.1348:                             ;   in Loop: Header=BB370_10 Depth=1
	v_bfe_u32 v24, v25, 24, 7
	v_mov_b32_e32 v31, 0x7f800001
	s_mov_b32 s19, exec_lo
	v_cmpx_ne_u32_e32 0x7f, v24
	s_cbranch_execz .LBB370_1352
; %bb.1349:                             ;   in Loop: Header=BB370_10 Depth=1
	v_mov_b32_e32 v4, 7
	v_lshrrev_b32_e32 v14, 3, v24
	s_mov_b32 s20, exec_lo
	v_and_b32_sdwa v4, v25, v4 dst_sel:DWORD dst_unused:UNUSED_PAD src0_sel:BYTE_3 src1_sel:DWORD
	v_mov_b32_e32 v27, v5
	v_mov_b32_e32 v26, v4
	v_cmpx_gt_u32_e32 8, v24
; %bb.1350:                             ;   in Loop: Header=BB370_10 Depth=1
	v_ffbh_u32_e32 v14, v4
	v_min_u32_e32 v14, 32, v14
	v_subrev_nc_u32_e32 v24, 28, v14
	v_sub_nc_u32_e32 v14, 29, v14
	v_lshlrev_b64 v[26:27], v24, v[4:5]
	v_and_b32_e32 v26, 7, v26
; %bb.1351:                             ;   in Loop: Header=BB370_10 Depth=1
	s_or_b32 exec_lo, exec_lo, s20
	v_mov_b32_e32 v4, 24
	v_lshlrev_b32_e32 v24, 20, v26
	v_lshl_add_u32 v14, v14, 23, 0x3c000000
	v_lshlrev_b32_sdwa v4, v4, v25 dst_sel:DWORD dst_unused:UNUSED_PAD src0_sel:DWORD src1_sel:BYTE_3
	v_and_b32_e32 v4, 0x80000000, v4
	v_or3_b32 v31, v24, v4, v14
.LBB370_1352:                           ;   in Loop: Header=BB370_10 Depth=1
	s_or_b32 exec_lo, exec_lo, s19
.LBB370_1353:                           ;   in Loop: Header=BB370_10 Depth=1
	s_or_b32 exec_lo, exec_lo, s17
.LBB370_1354:                           ;   in Loop: Header=BB370_10 Depth=1
	s_or_b32 exec_lo, exec_lo, s6
	flat_load_dwordx2 v[24:25], v[16:17] offset:1032
	s_waitcnt vmcnt(0) lgkmcnt(0)
	v_cmp_ne_u16_sdwa s5, v24, v5 src0_sel:BYTE_0 src1_sel:DWORD
	s_and_saveexec_b32 s6, s5
	s_cbranch_execz .LBB370_1362
; %bb.1355:                             ;   in Loop: Header=BB370_10 Depth=1
	v_cmp_ne_u16_sdwa s5, v24, v107 src0_sel:BYTE_0 src1_sel:DWORD
	v_bfrev_b32_e32 v30, 1
	s_and_saveexec_b32 s17, s5
	s_cbranch_execz .LBB370_1361
; %bb.1356:                             ;   in Loop: Header=BB370_10 Depth=1
	v_and_b32_e32 v14, 0x7f, v24
	v_mov_b32_e32 v30, 0x7f800001
	s_mov_b32 s19, exec_lo
	v_cmpx_ne_u32_e32 0x7f, v14
	s_cbranch_execz .LBB370_1360
; %bb.1357:                             ;   in Loop: Header=BB370_10 Depth=1
	v_mov_b32_e32 v27, v25
	v_lshrrev_b32_e32 v4, 3, v14
	v_mov_b32_e32 v26, v24
	s_mov_b32 s20, exec_lo
	v_cmpx_gt_u32_e32 8, v14
; %bb.1358:                             ;   in Loop: Header=BB370_10 Depth=1
	v_and_b32_e32 v4, 7, v24
	v_ffbh_u32_e32 v4, v4
	v_min_u32_e32 v4, 32, v4
	v_subrev_nc_u32_e32 v14, 28, v4
	v_sub_nc_u32_e32 v4, 29, v4
	v_lshlrev_b64 v[26:27], v14, v[24:25]
; %bb.1359:                             ;   in Loop: Header=BB370_10 Depth=1
	s_or_b32 exec_lo, exec_lo, s20
	v_lshlrev_b32_e32 v14, 20, v26
	v_lshlrev_b32_e32 v26, 24, v24
	v_lshl_add_u32 v4, v4, 23, 0x3c000000
	v_and_b32_e32 v14, 0x700000, v14
	v_and_b32_e32 v26, 0x80000000, v26
	v_or3_b32 v30, v14, v26, v4
.LBB370_1360:                           ;   in Loop: Header=BB370_10 Depth=1
	s_or_b32 exec_lo, exec_lo, s19
.LBB370_1361:                           ;   in Loop: Header=BB370_10 Depth=1
	s_or_b32 exec_lo, exec_lo, s17
.LBB370_1362:                           ;   in Loop: Header=BB370_10 Depth=1
	s_or_b32 exec_lo, exec_lo, s6
	v_cmp_ne_u16_sdwa s5, v24, v5 src0_sel:BYTE_1 src1_sel:DWORD
	v_mov_b32_e32 v33, 0
	v_mov_b32_e32 v32, 0
	s_and_saveexec_b32 s6, s5
	s_cbranch_execz .LBB370_1370
; %bb.1363:                             ;   in Loop: Header=BB370_10 Depth=1
	v_cmp_ne_u16_sdwa s5, v24, v107 src0_sel:BYTE_1 src1_sel:DWORD
	v_bfrev_b32_e32 v32, 1
	s_and_saveexec_b32 s17, s5
	s_cbranch_execz .LBB370_1369
; %bb.1364:                             ;   in Loop: Header=BB370_10 Depth=1
	v_mov_b32_e32 v4, 0xffff
	v_mov_b32_e32 v32, 0x7f800001
	s_mov_b32 s19, exec_lo
	v_and_b32_sdwa v4, v4, v24 dst_sel:DWORD dst_unused:UNUSED_PAD src0_sel:DWORD src1_sel:BYTE_1
	v_and_b32_e32 v66, 0x7f, v4
	v_cmpx_ne_u32_e32 0x7f, v66
	s_cbranch_execz .LBB370_1368
; %bb.1365:                             ;   in Loop: Header=BB370_10 Depth=1
	v_and_b32_e32 v4, 7, v4
	v_mov_b32_e32 v27, v5
	v_lshrrev_b32_e32 v14, 3, v66
	s_mov_b32 s20, exec_lo
	v_mov_b32_e32 v26, v4
	v_cmpx_gt_u32_e32 8, v66
; %bb.1366:                             ;   in Loop: Header=BB370_10 Depth=1
	v_ffbh_u32_e32 v14, v4
	v_min_u32_e32 v14, 32, v14
	v_subrev_nc_u32_e32 v26, 28, v14
	v_sub_nc_u32_e32 v14, 29, v14
	v_lshlrev_b64 v[26:27], v26, v[4:5]
	v_and_b32_e32 v26, 7, v26
; %bb.1367:                             ;   in Loop: Header=BB370_10 Depth=1
	s_or_b32 exec_lo, exec_lo, s20
	v_lshlrev_b32_e32 v4, 16, v24
	v_lshlrev_b32_e32 v26, 20, v26
	v_lshl_add_u32 v14, v14, 23, 0x3c000000
	v_and_b32_e32 v4, 0x80000000, v4
	v_or3_b32 v32, v26, v4, v14
.LBB370_1368:                           ;   in Loop: Header=BB370_10 Depth=1
	s_or_b32 exec_lo, exec_lo, s19
.LBB370_1369:                           ;   in Loop: Header=BB370_10 Depth=1
	s_or_b32 exec_lo, exec_lo, s17
.LBB370_1370:                           ;   in Loop: Header=BB370_10 Depth=1
	s_or_b32 exec_lo, exec_lo, s6
	v_mov_b32_e32 v4, 0xff
	s_mov_b32 s6, exec_lo
	v_and_b32_sdwa v4, v24, v4 dst_sel:DWORD dst_unused:UNUSED_PAD src0_sel:WORD_1 src1_sel:DWORD
	v_cmpx_ne_u16_e32 0, v4
	s_cbranch_execz .LBB370_1378
; %bb.1371:                             ;   in Loop: Header=BB370_10 Depth=1
	v_bfrev_b32_e32 v33, 1
	s_mov_b32 s17, exec_lo
	v_cmpx_ne_u16_e32 0x80, v4
	s_cbranch_execz .LBB370_1377
; %bb.1372:                             ;   in Loop: Header=BB370_10 Depth=1
	v_bfe_u32 v66, v24, 16, 7
	v_mov_b32_e32 v33, 0x7f800001
	s_mov_b32 s19, exec_lo
	v_cmpx_ne_u32_e32 0x7f, v66
	s_cbranch_execz .LBB370_1376
; %bb.1373:                             ;   in Loop: Header=BB370_10 Depth=1
	v_mov_b32_e32 v4, 7
	v_lshrrev_b32_e32 v14, 3, v66
	s_mov_b32 s20, exec_lo
	v_and_b32_sdwa v4, v24, v4 dst_sel:DWORD dst_unused:UNUSED_PAD src0_sel:WORD_1 src1_sel:DWORD
	v_mov_b32_e32 v27, v5
	v_mov_b32_e32 v26, v4
	v_cmpx_gt_u32_e32 8, v66
; %bb.1374:                             ;   in Loop: Header=BB370_10 Depth=1
	v_ffbh_u32_e32 v14, v4
	v_min_u32_e32 v14, 32, v14
	v_subrev_nc_u32_e32 v26, 28, v14
	v_sub_nc_u32_e32 v14, 29, v14
	v_lshlrev_b64 v[26:27], v26, v[4:5]
	v_and_b32_e32 v26, 7, v26
; %bb.1375:                             ;   in Loop: Header=BB370_10 Depth=1
	s_or_b32 exec_lo, exec_lo, s20
	v_mov_b32_e32 v4, 24
	v_lshlrev_b32_e32 v26, 20, v26
	v_lshl_add_u32 v14, v14, 23, 0x3c000000
	v_lshlrev_b32_sdwa v4, v4, v24 dst_sel:DWORD dst_unused:UNUSED_PAD src0_sel:DWORD src1_sel:WORD_1
	v_and_b32_e32 v4, 0x80000000, v4
	v_or3_b32 v33, v26, v4, v14
.LBB370_1376:                           ;   in Loop: Header=BB370_10 Depth=1
	s_or_b32 exec_lo, exec_lo, s19
.LBB370_1377:                           ;   in Loop: Header=BB370_10 Depth=1
	s_or_b32 exec_lo, exec_lo, s17
.LBB370_1378:                           ;   in Loop: Header=BB370_10 Depth=1
	s_or_b32 exec_lo, exec_lo, s6
	v_mov_b32_e32 v57, 0
	v_mov_b32_e32 v118, 0
	s_mov_b32 s6, exec_lo
	v_cmpx_lt_u32_e32 0xffffff, v24
	s_cbranch_execz .LBB370_1386
; %bb.1379:                             ;   in Loop: Header=BB370_10 Depth=1
	v_cmp_ne_u32_sdwa s5, v24, v107 src0_sel:BYTE_3 src1_sel:DWORD
	v_bfrev_b32_e32 v118, 1
	s_and_saveexec_b32 s17, s5
	s_cbranch_execz .LBB370_1385
; %bb.1380:                             ;   in Loop: Header=BB370_10 Depth=1
	v_bfe_u32 v66, v24, 24, 7
	v_mov_b32_e32 v118, 0x7f800001
	s_mov_b32 s19, exec_lo
	v_cmpx_ne_u32_e32 0x7f, v66
	s_cbranch_execz .LBB370_1384
; %bb.1381:                             ;   in Loop: Header=BB370_10 Depth=1
	v_mov_b32_e32 v4, 7
	v_lshrrev_b32_e32 v14, 3, v66
	s_mov_b32 s20, exec_lo
	v_and_b32_sdwa v4, v24, v4 dst_sel:DWORD dst_unused:UNUSED_PAD src0_sel:BYTE_3 src1_sel:DWORD
	v_mov_b32_e32 v27, v5
	v_mov_b32_e32 v26, v4
	v_cmpx_gt_u32_e32 8, v66
; %bb.1382:                             ;   in Loop: Header=BB370_10 Depth=1
	v_ffbh_u32_e32 v14, v4
	v_min_u32_e32 v14, 32, v14
	v_subrev_nc_u32_e32 v26, 28, v14
	v_sub_nc_u32_e32 v14, 29, v14
	v_lshlrev_b64 v[26:27], v26, v[4:5]
	v_and_b32_e32 v26, 7, v26
; %bb.1383:                             ;   in Loop: Header=BB370_10 Depth=1
	s_or_b32 exec_lo, exec_lo, s20
	v_mov_b32_e32 v4, 24
	v_lshlrev_b32_e32 v26, 20, v26
	v_lshl_add_u32 v14, v14, 23, 0x3c000000
	v_lshlrev_b32_sdwa v4, v4, v24 dst_sel:DWORD dst_unused:UNUSED_PAD src0_sel:DWORD src1_sel:BYTE_3
	v_and_b32_e32 v4, 0x80000000, v4
	v_or3_b32 v118, v26, v4, v14
.LBB370_1384:                           ;   in Loop: Header=BB370_10 Depth=1
	s_or_b32 exec_lo, exec_lo, s19
.LBB370_1385:                           ;   in Loop: Header=BB370_10 Depth=1
	s_or_b32 exec_lo, exec_lo, s17
.LBB370_1386:                           ;   in Loop: Header=BB370_10 Depth=1
	s_or_b32 exec_lo, exec_lo, s6
	v_mov_b32_e32 v4, v25
	v_cmp_ne_u16_sdwa s5, v25, v5 src0_sel:BYTE_0 src1_sel:DWORD
	s_and_saveexec_b32 s6, s5
	s_cbranch_execz .LBB370_1394
; %bb.1387:                             ;   in Loop: Header=BB370_10 Depth=1
	v_cmp_ne_u16_sdwa s5, v25, v107 src0_sel:BYTE_0 src1_sel:DWORD
	v_bfrev_b32_e32 v57, 1
	s_and_saveexec_b32 s17, s5
	s_cbranch_execz .LBB370_1393
; %bb.1388:                             ;   in Loop: Header=BB370_10 Depth=1
	v_and_b32_e32 v66, 0x7f, v25
	v_mov_b32_e32 v57, 0x7f800001
	s_mov_b32 s19, exec_lo
	v_cmpx_ne_u32_e32 0x7f, v66
	s_cbranch_execz .LBB370_1392
; %bb.1389:                             ;   in Loop: Header=BB370_10 Depth=1
	v_mov_b32_e32 v27, v5
	v_mov_b32_e32 v26, v4
	v_lshrrev_b32_e32 v14, 3, v66
	s_mov_b32 s20, exec_lo
	v_cmpx_gt_u32_e32 8, v66
; %bb.1390:                             ;   in Loop: Header=BB370_10 Depth=1
	v_and_b32_e32 v14, 7, v25
	v_ffbh_u32_e32 v14, v14
	v_min_u32_e32 v14, 32, v14
	v_subrev_nc_u32_e32 v26, 28, v14
	v_sub_nc_u32_e32 v14, 29, v14
	v_lshlrev_b64 v[26:27], v26, v[4:5]
; %bb.1391:                             ;   in Loop: Header=BB370_10 Depth=1
	s_or_b32 exec_lo, exec_lo, s20
	v_lshlrev_b32_e32 v26, 20, v26
	v_lshlrev_b32_e32 v27, 24, v4
	v_lshl_add_u32 v14, v14, 23, 0x3c000000
	v_and_b32_e32 v26, 0x700000, v26
	v_and_b32_e32 v27, 0x80000000, v27
	v_or3_b32 v57, v26, v27, v14
.LBB370_1392:                           ;   in Loop: Header=BB370_10 Depth=1
	s_or_b32 exec_lo, exec_lo, s19
.LBB370_1393:                           ;   in Loop: Header=BB370_10 Depth=1
	s_or_b32 exec_lo, exec_lo, s17
.LBB370_1394:                           ;   in Loop: Header=BB370_10 Depth=1
	s_or_b32 exec_lo, exec_lo, s6
	v_cmp_ne_u16_sdwa s5, v4, v5 src0_sel:BYTE_1 src1_sel:DWORD
	v_mov_b32_e32 v44, 0
	v_mov_b32_e32 v117, 0
	s_and_saveexec_b32 s6, s5
	s_cbranch_execz .LBB370_1402
; %bb.1395:                             ;   in Loop: Header=BB370_10 Depth=1
	v_cmp_ne_u16_sdwa s5, v4, v107 src0_sel:BYTE_1 src1_sel:DWORD
	v_bfrev_b32_e32 v117, 1
	s_and_saveexec_b32 s17, s5
	s_cbranch_execz .LBB370_1401
; %bb.1396:                             ;   in Loop: Header=BB370_10 Depth=1
	v_mov_b32_e32 v14, 0xffff
	v_mov_b32_e32 v117, 0x7f800001
	s_mov_b32 s19, exec_lo
	v_and_b32_sdwa v14, v14, v4 dst_sel:DWORD dst_unused:UNUSED_PAD src0_sel:DWORD src1_sel:BYTE_1
	v_and_b32_e32 v66, 0x7f, v14
	v_cmpx_ne_u32_e32 0x7f, v66
	s_cbranch_execz .LBB370_1400
; %bb.1397:                             ;   in Loop: Header=BB370_10 Depth=1
	v_and_b32_e32 v26, 7, v14
	v_mov_b32_e32 v27, v5
	v_lshrrev_b32_e32 v14, 3, v66
	s_mov_b32 s20, exec_lo
	v_cmpx_gt_u32_e32 8, v66
; %bb.1398:                             ;   in Loop: Header=BB370_10 Depth=1
	v_ffbh_u32_e32 v14, v26
	v_min_u32_e32 v14, 32, v14
	v_subrev_nc_u32_e32 v66, 28, v14
	v_sub_nc_u32_e32 v14, 29, v14
	v_lshlrev_b64 v[26:27], v66, v[26:27]
	v_and_b32_e32 v26, 7, v26
; %bb.1399:                             ;   in Loop: Header=BB370_10 Depth=1
	s_or_b32 exec_lo, exec_lo, s20
	v_lshlrev_b32_e32 v4, 16, v4
	v_lshlrev_b32_e32 v26, 20, v26
	v_lshl_add_u32 v14, v14, 23, 0x3c000000
	v_and_b32_e32 v4, 0x80000000, v4
	v_or3_b32 v117, v26, v4, v14
.LBB370_1400:                           ;   in Loop: Header=BB370_10 Depth=1
	s_or_b32 exec_lo, exec_lo, s19
.LBB370_1401:                           ;   in Loop: Header=BB370_10 Depth=1
	s_or_b32 exec_lo, exec_lo, s17
.LBB370_1402:                           ;   in Loop: Header=BB370_10 Depth=1
	s_or_b32 exec_lo, exec_lo, s6
	v_mov_b32_e32 v4, 0xff
	s_mov_b32 s6, exec_lo
	v_and_b32_sdwa v4, v25, v4 dst_sel:DWORD dst_unused:UNUSED_PAD src0_sel:WORD_1 src1_sel:DWORD
	v_cmpx_ne_u16_e32 0, v4
	s_cbranch_execz .LBB370_1410
; %bb.1403:                             ;   in Loop: Header=BB370_10 Depth=1
	v_bfrev_b32_e32 v44, 1
	s_mov_b32 s17, exec_lo
	v_cmpx_ne_u16_e32 0x80, v4
	s_cbranch_execz .LBB370_1409
; %bb.1404:                             ;   in Loop: Header=BB370_10 Depth=1
	v_bfe_u32 v66, v25, 16, 7
	v_mov_b32_e32 v44, 0x7f800001
	s_mov_b32 s19, exec_lo
	v_cmpx_ne_u32_e32 0x7f, v66
	s_cbranch_execz .LBB370_1408
; %bb.1405:                             ;   in Loop: Header=BB370_10 Depth=1
	v_mov_b32_e32 v4, 7
	v_lshrrev_b32_e32 v14, 3, v66
	s_mov_b32 s20, exec_lo
	v_and_b32_sdwa v4, v25, v4 dst_sel:DWORD dst_unused:UNUSED_PAD src0_sel:WORD_1 src1_sel:DWORD
	v_mov_b32_e32 v27, v5
	v_mov_b32_e32 v26, v4
	v_cmpx_gt_u32_e32 8, v66
; %bb.1406:                             ;   in Loop: Header=BB370_10 Depth=1
	v_ffbh_u32_e32 v14, v4
	v_min_u32_e32 v14, 32, v14
	v_subrev_nc_u32_e32 v26, 28, v14
	v_sub_nc_u32_e32 v14, 29, v14
	v_lshlrev_b64 v[26:27], v26, v[4:5]
	v_and_b32_e32 v26, 7, v26
; %bb.1407:                             ;   in Loop: Header=BB370_10 Depth=1
	s_or_b32 exec_lo, exec_lo, s20
	v_mov_b32_e32 v4, 24
	v_lshlrev_b32_e32 v26, 20, v26
	v_lshl_add_u32 v14, v14, 23, 0x3c000000
	v_lshlrev_b32_sdwa v4, v4, v25 dst_sel:DWORD dst_unused:UNUSED_PAD src0_sel:DWORD src1_sel:WORD_1
	v_and_b32_e32 v4, 0x80000000, v4
	v_or3_b32 v44, v26, v4, v14
.LBB370_1408:                           ;   in Loop: Header=BB370_10 Depth=1
	s_or_b32 exec_lo, exec_lo, s19
.LBB370_1409:                           ;   in Loop: Header=BB370_10 Depth=1
	s_or_b32 exec_lo, exec_lo, s17
.LBB370_1410:                           ;   in Loop: Header=BB370_10 Depth=1
	s_or_b32 exec_lo, exec_lo, s6
	v_mov_b32_e32 v116, 0
	v_mov_b32_e32 v46, 0
	s_mov_b32 s6, exec_lo
	v_cmpx_lt_u64_e64 s[8:9], v[24:25]
	s_cbranch_execz .LBB370_1418
; %bb.1411:                             ;   in Loop: Header=BB370_10 Depth=1
	v_cmp_ne_u32_sdwa s5, v25, v107 src0_sel:BYTE_3 src1_sel:DWORD
	v_bfrev_b32_e32 v46, 1
	s_and_saveexec_b32 s17, s5
	s_cbranch_execz .LBB370_1417
; %bb.1412:                             ;   in Loop: Header=BB370_10 Depth=1
	v_bfe_u32 v24, v25, 24, 7
	v_mov_b32_e32 v46, 0x7f800001
	s_mov_b32 s19, exec_lo
	v_cmpx_ne_u32_e32 0x7f, v24
	s_cbranch_execz .LBB370_1416
; %bb.1413:                             ;   in Loop: Header=BB370_10 Depth=1
	v_mov_b32_e32 v4, 7
	v_lshrrev_b32_e32 v14, 3, v24
	s_mov_b32 s20, exec_lo
	v_and_b32_sdwa v4, v25, v4 dst_sel:DWORD dst_unused:UNUSED_PAD src0_sel:BYTE_3 src1_sel:DWORD
	v_mov_b32_e32 v27, v5
	v_mov_b32_e32 v26, v4
	v_cmpx_gt_u32_e32 8, v24
; %bb.1414:                             ;   in Loop: Header=BB370_10 Depth=1
	v_ffbh_u32_e32 v14, v4
	v_min_u32_e32 v14, 32, v14
	v_subrev_nc_u32_e32 v24, 28, v14
	v_sub_nc_u32_e32 v14, 29, v14
	v_lshlrev_b64 v[26:27], v24, v[4:5]
	v_and_b32_e32 v26, 7, v26
; %bb.1415:                             ;   in Loop: Header=BB370_10 Depth=1
	s_or_b32 exec_lo, exec_lo, s20
	v_mov_b32_e32 v4, 24
	v_lshlrev_b32_e32 v24, 20, v26
	v_lshl_add_u32 v14, v14, 23, 0x3c000000
	v_lshlrev_b32_sdwa v4, v4, v25 dst_sel:DWORD dst_unused:UNUSED_PAD src0_sel:DWORD src1_sel:BYTE_3
	v_and_b32_e32 v4, 0x80000000, v4
	v_or3_b32 v46, v24, v4, v14
.LBB370_1416:                           ;   in Loop: Header=BB370_10 Depth=1
	s_or_b32 exec_lo, exec_lo, s19
.LBB370_1417:                           ;   in Loop: Header=BB370_10 Depth=1
	s_or_b32 exec_lo, exec_lo, s17
.LBB370_1418:                           ;   in Loop: Header=BB370_10 Depth=1
	s_or_b32 exec_lo, exec_lo, s6
	flat_load_dwordx2 v[24:25], v[16:17] offset:1536
	s_waitcnt vmcnt(0) lgkmcnt(0)
	v_cmp_ne_u16_sdwa s5, v24, v5 src0_sel:BYTE_0 src1_sel:DWORD
	s_and_saveexec_b32 s6, s5
	s_cbranch_execz .LBB370_1426
; %bb.1419:                             ;   in Loop: Header=BB370_10 Depth=1
	v_cmp_ne_u16_sdwa s5, v24, v107 src0_sel:BYTE_0 src1_sel:DWORD
	v_bfrev_b32_e32 v116, 1
	s_and_saveexec_b32 s17, s5
	s_cbranch_execz .LBB370_1425
; %bb.1420:                             ;   in Loop: Header=BB370_10 Depth=1
	v_and_b32_e32 v14, 0x7f, v24
	v_mov_b32_e32 v116, 0x7f800001
	s_mov_b32 s19, exec_lo
	v_cmpx_ne_u32_e32 0x7f, v14
	s_cbranch_execz .LBB370_1424
; %bb.1421:                             ;   in Loop: Header=BB370_10 Depth=1
	v_mov_b32_e32 v27, v25
	v_lshrrev_b32_e32 v4, 3, v14
	v_mov_b32_e32 v26, v24
	s_mov_b32 s20, exec_lo
	v_cmpx_gt_u32_e32 8, v14
; %bb.1422:                             ;   in Loop: Header=BB370_10 Depth=1
	v_and_b32_e32 v4, 7, v24
	v_ffbh_u32_e32 v4, v4
	v_min_u32_e32 v4, 32, v4
	v_subrev_nc_u32_e32 v14, 28, v4
	v_sub_nc_u32_e32 v4, 29, v4
	v_lshlrev_b64 v[26:27], v14, v[24:25]
; %bb.1423:                             ;   in Loop: Header=BB370_10 Depth=1
	s_or_b32 exec_lo, exec_lo, s20
	v_lshlrev_b32_e32 v14, 20, v26
	v_lshlrev_b32_e32 v26, 24, v24
	v_lshl_add_u32 v4, v4, 23, 0x3c000000
	v_and_b32_e32 v14, 0x700000, v14
	v_and_b32_e32 v26, 0x80000000, v26
	v_or3_b32 v116, v14, v26, v4
.LBB370_1424:                           ;   in Loop: Header=BB370_10 Depth=1
	s_or_b32 exec_lo, exec_lo, s19
.LBB370_1425:                           ;   in Loop: Header=BB370_10 Depth=1
	s_or_b32 exec_lo, exec_lo, s17
.LBB370_1426:                           ;   in Loop: Header=BB370_10 Depth=1
	s_or_b32 exec_lo, exec_lo, s6
	v_cmp_ne_u16_sdwa s5, v24, v5 src0_sel:BYTE_1 src1_sel:DWORD
	v_mov_b32_e32 v60, 0
	v_mov_b32_e32 v45, 0
	s_and_saveexec_b32 s6, s5
	s_cbranch_execz .LBB370_1434
; %bb.1427:                             ;   in Loop: Header=BB370_10 Depth=1
	v_cmp_ne_u16_sdwa s5, v24, v107 src0_sel:BYTE_1 src1_sel:DWORD
	v_bfrev_b32_e32 v45, 1
	s_and_saveexec_b32 s17, s5
	s_cbranch_execz .LBB370_1433
; %bb.1428:                             ;   in Loop: Header=BB370_10 Depth=1
	v_mov_b32_e32 v4, 0xffff
	v_mov_b32_e32 v45, 0x7f800001
	s_mov_b32 s19, exec_lo
	v_and_b32_sdwa v4, v4, v24 dst_sel:DWORD dst_unused:UNUSED_PAD src0_sel:DWORD src1_sel:BYTE_1
	v_and_b32_e32 v66, 0x7f, v4
	v_cmpx_ne_u32_e32 0x7f, v66
	s_cbranch_execz .LBB370_1432
; %bb.1429:                             ;   in Loop: Header=BB370_10 Depth=1
	v_and_b32_e32 v4, 7, v4
	v_mov_b32_e32 v27, v5
	v_lshrrev_b32_e32 v14, 3, v66
	s_mov_b32 s20, exec_lo
	v_mov_b32_e32 v26, v4
	v_cmpx_gt_u32_e32 8, v66
; %bb.1430:                             ;   in Loop: Header=BB370_10 Depth=1
	v_ffbh_u32_e32 v14, v4
	v_min_u32_e32 v14, 32, v14
	v_subrev_nc_u32_e32 v26, 28, v14
	v_sub_nc_u32_e32 v14, 29, v14
	v_lshlrev_b64 v[26:27], v26, v[4:5]
	v_and_b32_e32 v26, 7, v26
; %bb.1431:                             ;   in Loop: Header=BB370_10 Depth=1
	s_or_b32 exec_lo, exec_lo, s20
	v_lshlrev_b32_e32 v4, 16, v24
	v_lshlrev_b32_e32 v26, 20, v26
	v_lshl_add_u32 v14, v14, 23, 0x3c000000
	v_and_b32_e32 v4, 0x80000000, v4
	v_or3_b32 v45, v26, v4, v14
.LBB370_1432:                           ;   in Loop: Header=BB370_10 Depth=1
	s_or_b32 exec_lo, exec_lo, s19
.LBB370_1433:                           ;   in Loop: Header=BB370_10 Depth=1
	s_or_b32 exec_lo, exec_lo, s17
.LBB370_1434:                           ;   in Loop: Header=BB370_10 Depth=1
	s_or_b32 exec_lo, exec_lo, s6
	v_mov_b32_e32 v4, 0xff
	s_mov_b32 s6, exec_lo
	v_and_b32_sdwa v4, v24, v4 dst_sel:DWORD dst_unused:UNUSED_PAD src0_sel:WORD_1 src1_sel:DWORD
	v_cmpx_ne_u16_e32 0, v4
	s_cbranch_execz .LBB370_1442
; %bb.1435:                             ;   in Loop: Header=BB370_10 Depth=1
	v_bfrev_b32_e32 v60, 1
	s_mov_b32 s17, exec_lo
	v_cmpx_ne_u16_e32 0x80, v4
	s_cbranch_execz .LBB370_1441
; %bb.1436:                             ;   in Loop: Header=BB370_10 Depth=1
	v_bfe_u32 v66, v24, 16, 7
	v_mov_b32_e32 v60, 0x7f800001
	s_mov_b32 s19, exec_lo
	v_cmpx_ne_u32_e32 0x7f, v66
	s_cbranch_execz .LBB370_1440
; %bb.1437:                             ;   in Loop: Header=BB370_10 Depth=1
	v_mov_b32_e32 v4, 7
	v_lshrrev_b32_e32 v14, 3, v66
	s_mov_b32 s20, exec_lo
	v_and_b32_sdwa v4, v24, v4 dst_sel:DWORD dst_unused:UNUSED_PAD src0_sel:WORD_1 src1_sel:DWORD
	v_mov_b32_e32 v27, v5
	v_mov_b32_e32 v26, v4
	v_cmpx_gt_u32_e32 8, v66
; %bb.1438:                             ;   in Loop: Header=BB370_10 Depth=1
	v_ffbh_u32_e32 v14, v4
	v_min_u32_e32 v14, 32, v14
	v_subrev_nc_u32_e32 v26, 28, v14
	v_sub_nc_u32_e32 v14, 29, v14
	v_lshlrev_b64 v[26:27], v26, v[4:5]
	v_and_b32_e32 v26, 7, v26
; %bb.1439:                             ;   in Loop: Header=BB370_10 Depth=1
	s_or_b32 exec_lo, exec_lo, s20
	v_mov_b32_e32 v4, 24
	v_lshlrev_b32_e32 v26, 20, v26
	v_lshl_add_u32 v14, v14, 23, 0x3c000000
	v_lshlrev_b32_sdwa v4, v4, v24 dst_sel:DWORD dst_unused:UNUSED_PAD src0_sel:DWORD src1_sel:WORD_1
	v_and_b32_e32 v4, 0x80000000, v4
	v_or3_b32 v60, v26, v4, v14
.LBB370_1440:                           ;   in Loop: Header=BB370_10 Depth=1
	s_or_b32 exec_lo, exec_lo, s19
.LBB370_1441:                           ;   in Loop: Header=BB370_10 Depth=1
	s_or_b32 exec_lo, exec_lo, s17
.LBB370_1442:                           ;   in Loop: Header=BB370_10 Depth=1
	s_or_b32 exec_lo, exec_lo, s6
	v_mov_b32_e32 v61, 0
	v_mov_b32_e32 v62, 0
	s_mov_b32 s6, exec_lo
	v_cmpx_lt_u32_e32 0xffffff, v24
	s_cbranch_execz .LBB370_1450
; %bb.1443:                             ;   in Loop: Header=BB370_10 Depth=1
	v_cmp_ne_u32_sdwa s5, v24, v107 src0_sel:BYTE_3 src1_sel:DWORD
	v_bfrev_b32_e32 v62, 1
	s_and_saveexec_b32 s17, s5
	s_cbranch_execz .LBB370_1449
; %bb.1444:                             ;   in Loop: Header=BB370_10 Depth=1
	v_bfe_u32 v66, v24, 24, 7
	v_mov_b32_e32 v62, 0x7f800001
	s_mov_b32 s19, exec_lo
	v_cmpx_ne_u32_e32 0x7f, v66
	s_cbranch_execz .LBB370_1448
; %bb.1445:                             ;   in Loop: Header=BB370_10 Depth=1
	v_mov_b32_e32 v4, 7
	v_lshrrev_b32_e32 v14, 3, v66
	s_mov_b32 s20, exec_lo
	v_and_b32_sdwa v4, v24, v4 dst_sel:DWORD dst_unused:UNUSED_PAD src0_sel:BYTE_3 src1_sel:DWORD
	v_mov_b32_e32 v27, v5
	v_mov_b32_e32 v26, v4
	v_cmpx_gt_u32_e32 8, v66
; %bb.1446:                             ;   in Loop: Header=BB370_10 Depth=1
	v_ffbh_u32_e32 v14, v4
	v_min_u32_e32 v14, 32, v14
	v_subrev_nc_u32_e32 v26, 28, v14
	v_sub_nc_u32_e32 v14, 29, v14
	v_lshlrev_b64 v[26:27], v26, v[4:5]
	v_and_b32_e32 v26, 7, v26
; %bb.1447:                             ;   in Loop: Header=BB370_10 Depth=1
	s_or_b32 exec_lo, exec_lo, s20
	v_mov_b32_e32 v4, 24
	v_lshlrev_b32_e32 v26, 20, v26
	v_lshl_add_u32 v14, v14, 23, 0x3c000000
	v_lshlrev_b32_sdwa v4, v4, v24 dst_sel:DWORD dst_unused:UNUSED_PAD src0_sel:DWORD src1_sel:BYTE_3
	v_and_b32_e32 v4, 0x80000000, v4
	v_or3_b32 v62, v26, v4, v14
.LBB370_1448:                           ;   in Loop: Header=BB370_10 Depth=1
	s_or_b32 exec_lo, exec_lo, s19
.LBB370_1449:                           ;   in Loop: Header=BB370_10 Depth=1
	s_or_b32 exec_lo, exec_lo, s17
.LBB370_1450:                           ;   in Loop: Header=BB370_10 Depth=1
	s_or_b32 exec_lo, exec_lo, s6
	v_mov_b32_e32 v4, v25
	v_cmp_ne_u16_sdwa s5, v25, v5 src0_sel:BYTE_0 src1_sel:DWORD
	s_and_saveexec_b32 s6, s5
	s_cbranch_execz .LBB370_1458
; %bb.1451:                             ;   in Loop: Header=BB370_10 Depth=1
	v_cmp_ne_u16_sdwa s5, v25, v107 src0_sel:BYTE_0 src1_sel:DWORD
	v_bfrev_b32_e32 v61, 1
	s_and_saveexec_b32 s17, s5
	s_cbranch_execz .LBB370_1457
; %bb.1452:                             ;   in Loop: Header=BB370_10 Depth=1
	v_and_b32_e32 v66, 0x7f, v25
	v_mov_b32_e32 v61, 0x7f800001
	s_mov_b32 s19, exec_lo
	v_cmpx_ne_u32_e32 0x7f, v66
	s_cbranch_execz .LBB370_1456
; %bb.1453:                             ;   in Loop: Header=BB370_10 Depth=1
	v_mov_b32_e32 v27, v5
	v_mov_b32_e32 v26, v4
	v_lshrrev_b32_e32 v14, 3, v66
	s_mov_b32 s20, exec_lo
	v_cmpx_gt_u32_e32 8, v66
; %bb.1454:                             ;   in Loop: Header=BB370_10 Depth=1
	v_and_b32_e32 v14, 7, v25
	v_ffbh_u32_e32 v14, v14
	v_min_u32_e32 v14, 32, v14
	v_subrev_nc_u32_e32 v26, 28, v14
	v_sub_nc_u32_e32 v14, 29, v14
	v_lshlrev_b64 v[26:27], v26, v[4:5]
; %bb.1455:                             ;   in Loop: Header=BB370_10 Depth=1
	s_or_b32 exec_lo, exec_lo, s20
	v_lshlrev_b32_e32 v26, 20, v26
	v_lshlrev_b32_e32 v27, 24, v4
	v_lshl_add_u32 v14, v14, 23, 0x3c000000
	v_and_b32_e32 v26, 0x700000, v26
	v_and_b32_e32 v27, 0x80000000, v27
	v_or3_b32 v61, v26, v27, v14
.LBB370_1456:                           ;   in Loop: Header=BB370_10 Depth=1
	s_or_b32 exec_lo, exec_lo, s19
.LBB370_1457:                           ;   in Loop: Header=BB370_10 Depth=1
	s_or_b32 exec_lo, exec_lo, s17
.LBB370_1458:                           ;   in Loop: Header=BB370_10 Depth=1
	s_or_b32 exec_lo, exec_lo, s6
	v_cmp_ne_u16_sdwa s5, v4, v5 src0_sel:BYTE_1 src1_sel:DWORD
	v_mov_b32_e32 v105, 0
	v_mov_b32_e32 v14, 0
	s_and_saveexec_b32 s6, s5
	s_cbranch_execz .LBB370_1466
; %bb.1459:                             ;   in Loop: Header=BB370_10 Depth=1
	v_cmp_ne_u16_sdwa s5, v4, v107 src0_sel:BYTE_1 src1_sel:DWORD
	v_bfrev_b32_e32 v14, 1
	s_and_saveexec_b32 s17, s5
	s_cbranch_execz .LBB370_1465
; %bb.1460:                             ;   in Loop: Header=BB370_10 Depth=1
	v_mov_b32_e32 v14, 0xffff
	s_mov_b32 s19, exec_lo
	v_and_b32_sdwa v26, v14, v4 dst_sel:DWORD dst_unused:UNUSED_PAD src0_sel:DWORD src1_sel:BYTE_1
	v_mov_b32_e32 v14, 0x7f800001
	v_and_b32_e32 v66, 0x7f, v26
	v_cmpx_ne_u32_e32 0x7f, v66
	s_cbranch_execz .LBB370_1464
; %bb.1461:                             ;   in Loop: Header=BB370_10 Depth=1
	v_and_b32_e32 v26, 7, v26
	v_mov_b32_e32 v27, v5
	v_lshrrev_b32_e32 v14, 3, v66
	s_mov_b32 s20, exec_lo
	v_cmpx_gt_u32_e32 8, v66
; %bb.1462:                             ;   in Loop: Header=BB370_10 Depth=1
	v_ffbh_u32_e32 v14, v26
	v_min_u32_e32 v14, 32, v14
	v_subrev_nc_u32_e32 v66, 28, v14
	v_sub_nc_u32_e32 v14, 29, v14
	v_lshlrev_b64 v[26:27], v66, v[26:27]
	v_and_b32_e32 v26, 7, v26
; %bb.1463:                             ;   in Loop: Header=BB370_10 Depth=1
	s_or_b32 exec_lo, exec_lo, s20
	v_lshlrev_b32_e32 v4, 16, v4
	v_lshlrev_b32_e32 v26, 20, v26
	v_lshl_add_u32 v14, v14, 23, 0x3c000000
	v_and_b32_e32 v4, 0x80000000, v4
	v_or3_b32 v14, v26, v4, v14
.LBB370_1464:                           ;   in Loop: Header=BB370_10 Depth=1
	s_or_b32 exec_lo, exec_lo, s19
.LBB370_1465:                           ;   in Loop: Header=BB370_10 Depth=1
	s_or_b32 exec_lo, exec_lo, s17
.LBB370_1466:                           ;   in Loop: Header=BB370_10 Depth=1
	s_or_b32 exec_lo, exec_lo, s6
	v_mov_b32_e32 v4, 0xff
	s_mov_b32 s6, exec_lo
	v_and_b32_sdwa v4, v25, v4 dst_sel:DWORD dst_unused:UNUSED_PAD src0_sel:WORD_1 src1_sel:DWORD
	v_cmpx_ne_u16_e32 0, v4
	s_cbranch_execz .LBB370_1474
; %bb.1467:                             ;   in Loop: Header=BB370_10 Depth=1
	v_bfrev_b32_e32 v105, 1
	s_mov_b32 s17, exec_lo
	v_cmpx_ne_u16_e32 0x80, v4
	s_cbranch_execz .LBB370_1473
; %bb.1468:                             ;   in Loop: Header=BB370_10 Depth=1
	v_bfe_u32 v66, v25, 16, 7
	v_mov_b32_e32 v105, 0x7f800001
	s_mov_b32 s19, exec_lo
	v_cmpx_ne_u32_e32 0x7f, v66
	s_cbranch_execz .LBB370_1472
; %bb.1469:                             ;   in Loop: Header=BB370_10 Depth=1
	v_mov_b32_e32 v4, 7
	s_mov_b32 s20, exec_lo
	v_and_b32_sdwa v4, v25, v4 dst_sel:DWORD dst_unused:UNUSED_PAD src0_sel:WORD_1 src1_sel:DWORD
	v_mov_b32_e32 v27, v5
	v_lshrrev_b32_e32 v27, 3, v66
	v_mov_b32_e32 v26, v4
	v_cmpx_gt_u32_e32 8, v66
; %bb.1470:                             ;   in Loop: Header=BB370_10 Depth=1
	v_ffbh_u32_e32 v26, v4
	v_min_u32_e32 v66, 32, v26
	v_subrev_nc_u32_e32 v26, 28, v66
	v_lshlrev_b64 v[26:27], v26, v[4:5]
	v_sub_nc_u32_e32 v27, 29, v66
	v_and_b32_e32 v26, 7, v26
; %bb.1471:                             ;   in Loop: Header=BB370_10 Depth=1
	s_or_b32 exec_lo, exec_lo, s20
	v_mov_b32_e32 v4, 24
	v_lshlrev_b32_e32 v26, 20, v26
	v_lshl_add_u32 v27, v27, 23, 0x3c000000
	v_lshlrev_b32_sdwa v4, v4, v25 dst_sel:DWORD dst_unused:UNUSED_PAD src0_sel:DWORD src1_sel:WORD_1
	v_and_b32_e32 v4, 0x80000000, v4
	v_or3_b32 v105, v26, v4, v27
.LBB370_1472:                           ;   in Loop: Header=BB370_10 Depth=1
	s_or_b32 exec_lo, exec_lo, s19
.LBB370_1473:                           ;   in Loop: Header=BB370_10 Depth=1
	s_or_b32 exec_lo, exec_lo, s17
.LBB370_1474:                           ;   in Loop: Header=BB370_10 Depth=1
	s_or_b32 exec_lo, exec_lo, s6
	v_mov_b32_e32 v28, 0
	v_mov_b32_e32 v26, 0
	s_mov_b32 s6, exec_lo
	v_cmpx_lt_u64_e64 s[8:9], v[24:25]
	s_cbranch_execz .LBB370_1482
; %bb.1475:                             ;   in Loop: Header=BB370_10 Depth=1
	v_cmp_ne_u32_sdwa s5, v25, v107 src0_sel:BYTE_3 src1_sel:DWORD
	v_bfrev_b32_e32 v26, 1
	s_and_saveexec_b32 s17, s5
	s_cbranch_execz .LBB370_1481
; %bb.1476:                             ;   in Loop: Header=BB370_10 Depth=1
	v_mov_b32_e32 v20, v40
	v_bfe_u32 v40, v25, 24, 7
	v_mov_b32_e32 v26, 0x7f800001
	s_mov_b32 s19, exec_lo
	v_cmpx_ne_u32_e32 0x7f, v40
	s_cbranch_execz .LBB370_1480
; %bb.1477:                             ;   in Loop: Header=BB370_10 Depth=1
	v_mov_b32_e32 v4, 7
	v_lshrrev_b32_e32 v24, 3, v40
	s_mov_b32 s20, exec_lo
	v_and_b32_sdwa v4, v25, v4 dst_sel:DWORD dst_unused:UNUSED_PAD src0_sel:BYTE_3 src1_sel:DWORD
	v_mov_b32_e32 v27, v5
	v_mov_b32_e32 v26, v4
	v_cmpx_gt_u32_e32 8, v40
; %bb.1478:                             ;   in Loop: Header=BB370_10 Depth=1
	v_ffbh_u32_e32 v24, v4
	v_min_u32_e32 v24, 32, v24
	v_subrev_nc_u32_e32 v26, 28, v24
	v_sub_nc_u32_e32 v24, 29, v24
	v_lshlrev_b64 v[26:27], v26, v[4:5]
	v_and_b32_e32 v26, 7, v26
; %bb.1479:                             ;   in Loop: Header=BB370_10 Depth=1
	s_or_b32 exec_lo, exec_lo, s20
	v_mov_b32_e32 v4, 24
	v_lshl_add_u32 v24, v24, 23, 0x3c000000
	v_lshlrev_b32_sdwa v4, v4, v25 dst_sel:DWORD dst_unused:UNUSED_PAD src0_sel:DWORD src1_sel:BYTE_3
	v_lshlrev_b32_e32 v25, 20, v26
	v_and_b32_e32 v4, 0x80000000, v4
	v_or3_b32 v26, v25, v4, v24
.LBB370_1480:                           ;   in Loop: Header=BB370_10 Depth=1
	s_or_b32 exec_lo, exec_lo, s19
	v_mov_b32_e32 v40, v20
.LBB370_1481:                           ;   in Loop: Header=BB370_10 Depth=1
	s_or_b32 exec_lo, exec_lo, s17
.LBB370_1482:                           ;   in Loop: Header=BB370_10 Depth=1
	s_or_b32 exec_lo, exec_lo, s6
	flat_load_dwordx2 v[16:17], v[16:17] offset:1544
	s_waitcnt vmcnt(0) lgkmcnt(0)
	v_cmp_ne_u16_sdwa s5, v16, v5 src0_sel:BYTE_0 src1_sel:DWORD
	s_and_saveexec_b32 s6, s5
	s_cbranch_execz .LBB370_1490
; %bb.1483:                             ;   in Loop: Header=BB370_10 Depth=1
	v_cmp_ne_u16_sdwa s5, v16, v107 src0_sel:BYTE_0 src1_sel:DWORD
	v_bfrev_b32_e32 v28, 1
	s_and_saveexec_b32 s17, s5
	s_cbranch_execz .LBB370_1489
; %bb.1484:                             ;   in Loop: Header=BB370_10 Depth=1
	v_and_b32_e32 v24, 0x7f, v16
	v_mov_b32_e32 v28, 0x7f800001
	s_mov_b32 s19, exec_lo
	v_cmpx_ne_u32_e32 0x7f, v24
	s_cbranch_execz .LBB370_1488
; %bb.1485:                             ;   in Loop: Header=BB370_10 Depth=1
	v_lshrrev_b32_e32 v4, 3, v24
	v_cmp_gt_u32_e64 s5, 8, v24
	v_mov_b32_e32 v25, v17
	v_mov_b32_e32 v24, v16
	s_and_saveexec_b32 s20, s5
; %bb.1486:                             ;   in Loop: Header=BB370_10 Depth=1
	v_and_b32_e32 v4, 7, v16
	v_ffbh_u32_e32 v4, v4
	v_min_u32_e32 v4, 32, v4
	v_subrev_nc_u32_e32 v24, 28, v4
	v_sub_nc_u32_e32 v4, 29, v4
	v_lshlrev_b64 v[24:25], v24, v[16:17]
; %bb.1487:                             ;   in Loop: Header=BB370_10 Depth=1
	s_or_b32 exec_lo, exec_lo, s20
	v_lshlrev_b32_e32 v24, 20, v24
	v_lshlrev_b32_e32 v25, 24, v16
	v_lshl_add_u32 v4, v4, 23, 0x3c000000
	v_and_b32_e32 v24, 0x700000, v24
	v_and_b32_e32 v25, 0x80000000, v25
	v_or3_b32 v28, v24, v25, v4
.LBB370_1488:                           ;   in Loop: Header=BB370_10 Depth=1
	s_or_b32 exec_lo, exec_lo, s19
.LBB370_1489:                           ;   in Loop: Header=BB370_10 Depth=1
	s_or_b32 exec_lo, exec_lo, s17
.LBB370_1490:                           ;   in Loop: Header=BB370_10 Depth=1
	s_or_b32 exec_lo, exec_lo, s6
	v_cmp_ne_u16_sdwa s5, v16, v5 src0_sel:BYTE_1 src1_sel:DWORD
	v_mov_b32_e32 v42, 0
	v_mov_b32_e32 v29, 0
	s_and_saveexec_b32 s6, s5
	s_cbranch_execz .LBB370_1498
; %bb.1491:                             ;   in Loop: Header=BB370_10 Depth=1
	v_cmp_ne_u16_sdwa s5, v16, v107 src0_sel:BYTE_1 src1_sel:DWORD
	v_bfrev_b32_e32 v29, 1
	s_and_saveexec_b32 s17, s5
	s_cbranch_execz .LBB370_1497
; %bb.1492:                             ;   in Loop: Header=BB370_10 Depth=1
	v_mov_b32_e32 v4, 0xffff
	v_mov_b32_e32 v29, 0x7f800001
	s_mov_b32 s19, exec_lo
	v_and_b32_sdwa v4, v4, v16 dst_sel:DWORD dst_unused:UNUSED_PAD src0_sel:DWORD src1_sel:BYTE_1
	v_and_b32_e32 v27, 0x7f, v4
	v_cmpx_ne_u32_e32 0x7f, v27
	s_cbranch_execz .LBB370_1496
; %bb.1493:                             ;   in Loop: Header=BB370_10 Depth=1
	v_and_b32_e32 v4, 7, v4
	v_mov_b32_e32 v25, v5
	v_lshrrev_b32_e32 v25, 3, v27
	s_mov_b32 s20, exec_lo
	v_mov_b32_e32 v24, v4
	v_cmpx_gt_u32_e32 8, v27
; %bb.1494:                             ;   in Loop: Header=BB370_10 Depth=1
	v_ffbh_u32_e32 v24, v4
	v_min_u32_e32 v27, 32, v24
	v_subrev_nc_u32_e32 v24, 28, v27
	v_lshlrev_b64 v[24:25], v24, v[4:5]
	v_sub_nc_u32_e32 v25, 29, v27
	v_and_b32_e32 v24, 7, v24
; %bb.1495:                             ;   in Loop: Header=BB370_10 Depth=1
	s_or_b32 exec_lo, exec_lo, s20
	v_lshlrev_b32_e32 v4, 16, v16
	v_lshlrev_b32_e32 v24, 20, v24
	v_lshl_add_u32 v25, v25, 23, 0x3c000000
	v_and_b32_e32 v4, 0x80000000, v4
	v_or3_b32 v29, v24, v4, v25
.LBB370_1496:                           ;   in Loop: Header=BB370_10 Depth=1
	s_or_b32 exec_lo, exec_lo, s19
.LBB370_1497:                           ;   in Loop: Header=BB370_10 Depth=1
	s_or_b32 exec_lo, exec_lo, s17
.LBB370_1498:                           ;   in Loop: Header=BB370_10 Depth=1
	s_or_b32 exec_lo, exec_lo, s6
	v_mov_b32_e32 v4, 0xff
	s_mov_b32 s6, exec_lo
	v_and_b32_sdwa v4, v16, v4 dst_sel:DWORD dst_unused:UNUSED_PAD src0_sel:WORD_1 src1_sel:DWORD
	v_cmpx_ne_u16_e32 0, v4
	s_cbranch_execz .LBB370_1506
; %bb.1499:                             ;   in Loop: Header=BB370_10 Depth=1
	v_bfrev_b32_e32 v42, 1
	s_mov_b32 s17, exec_lo
	v_cmpx_ne_u16_e32 0x80, v4
	s_cbranch_execz .LBB370_1505
; %bb.1500:                             ;   in Loop: Header=BB370_10 Depth=1
	v_bfe_u32 v27, v16, 16, 7
	v_mov_b32_e32 v42, 0x7f800001
	s_mov_b32 s19, exec_lo
	v_cmpx_ne_u32_e32 0x7f, v27
	s_cbranch_execz .LBB370_1504
; %bb.1501:                             ;   in Loop: Header=BB370_10 Depth=1
	v_mov_b32_e32 v4, 7
	s_mov_b32 s20, exec_lo
	v_and_b32_sdwa v4, v16, v4 dst_sel:DWORD dst_unused:UNUSED_PAD src0_sel:WORD_1 src1_sel:DWORD
	v_mov_b32_e32 v25, v5
	v_lshrrev_b32_e32 v25, 3, v27
	v_mov_b32_e32 v24, v4
	v_cmpx_gt_u32_e32 8, v27
; %bb.1502:                             ;   in Loop: Header=BB370_10 Depth=1
	v_ffbh_u32_e32 v24, v4
	v_min_u32_e32 v27, 32, v24
	v_subrev_nc_u32_e32 v24, 28, v27
	v_lshlrev_b64 v[24:25], v24, v[4:5]
	v_sub_nc_u32_e32 v25, 29, v27
	v_and_b32_e32 v24, 7, v24
; %bb.1503:                             ;   in Loop: Header=BB370_10 Depth=1
	s_or_b32 exec_lo, exec_lo, s20
	v_mov_b32_e32 v4, 24
	v_lshlrev_b32_e32 v24, 20, v24
	v_lshl_add_u32 v25, v25, 23, 0x3c000000
	v_lshlrev_b32_sdwa v4, v4, v16 dst_sel:DWORD dst_unused:UNUSED_PAD src0_sel:DWORD src1_sel:WORD_1
	v_and_b32_e32 v4, 0x80000000, v4
	v_or3_b32 v42, v24, v4, v25
.LBB370_1504:                           ;   in Loop: Header=BB370_10 Depth=1
	s_or_b32 exec_lo, exec_lo, s19
.LBB370_1505:                           ;   in Loop: Header=BB370_10 Depth=1
	s_or_b32 exec_lo, exec_lo, s17
.LBB370_1506:                           ;   in Loop: Header=BB370_10 Depth=1
	s_or_b32 exec_lo, exec_lo, s6
	v_mov_b32_e32 v47, 0
	v_mov_b32_e32 v56, 0
	s_mov_b32 s6, exec_lo
	v_cmpx_lt_u32_e32 0xffffff, v16
	s_cbranch_execz .LBB370_1514
; %bb.1507:                             ;   in Loop: Header=BB370_10 Depth=1
	v_cmp_ne_u32_sdwa s5, v16, v107 src0_sel:BYTE_3 src1_sel:DWORD
	v_bfrev_b32_e32 v56, 1
	s_and_saveexec_b32 s17, s5
	s_cbranch_execz .LBB370_1513
; %bb.1508:                             ;   in Loop: Header=BB370_10 Depth=1
	v_bfe_u32 v27, v16, 24, 7
	v_mov_b32_e32 v56, 0x7f800001
	s_mov_b32 s19, exec_lo
	v_cmpx_ne_u32_e32 0x7f, v27
	s_cbranch_execz .LBB370_1512
; %bb.1509:                             ;   in Loop: Header=BB370_10 Depth=1
	v_mov_b32_e32 v4, 7
	s_mov_b32 s20, exec_lo
	v_and_b32_sdwa v4, v16, v4 dst_sel:DWORD dst_unused:UNUSED_PAD src0_sel:BYTE_3 src1_sel:DWORD
	v_mov_b32_e32 v25, v5
	v_lshrrev_b32_e32 v25, 3, v27
	v_mov_b32_e32 v24, v4
	v_cmpx_gt_u32_e32 8, v27
; %bb.1510:                             ;   in Loop: Header=BB370_10 Depth=1
	v_ffbh_u32_e32 v24, v4
	v_min_u32_e32 v27, 32, v24
	v_subrev_nc_u32_e32 v24, 28, v27
	v_lshlrev_b64 v[24:25], v24, v[4:5]
	v_sub_nc_u32_e32 v25, 29, v27
	v_and_b32_e32 v24, 7, v24
; %bb.1511:                             ;   in Loop: Header=BB370_10 Depth=1
	s_or_b32 exec_lo, exec_lo, s20
	v_mov_b32_e32 v4, 24
	v_lshlrev_b32_e32 v24, 20, v24
	v_lshl_add_u32 v25, v25, 23, 0x3c000000
	v_lshlrev_b32_sdwa v4, v4, v16 dst_sel:DWORD dst_unused:UNUSED_PAD src0_sel:DWORD src1_sel:BYTE_3
	v_and_b32_e32 v4, 0x80000000, v4
	v_or3_b32 v56, v24, v4, v25
.LBB370_1512:                           ;   in Loop: Header=BB370_10 Depth=1
	s_or_b32 exec_lo, exec_lo, s19
.LBB370_1513:                           ;   in Loop: Header=BB370_10 Depth=1
	s_or_b32 exec_lo, exec_lo, s17
.LBB370_1514:                           ;   in Loop: Header=BB370_10 Depth=1
	s_or_b32 exec_lo, exec_lo, s6
	v_mov_b32_e32 v4, v17
	v_cmp_ne_u16_sdwa s5, v17, v5 src0_sel:BYTE_0 src1_sel:DWORD
	s_and_saveexec_b32 s6, s5
	s_cbranch_execz .LBB370_1522
; %bb.1515:                             ;   in Loop: Header=BB370_10 Depth=1
	v_cmp_ne_u16_sdwa s5, v17, v107 src0_sel:BYTE_0 src1_sel:DWORD
	v_bfrev_b32_e32 v47, 1
	s_and_saveexec_b32 s17, s5
	s_cbranch_execz .LBB370_1521
; %bb.1516:                             ;   in Loop: Header=BB370_10 Depth=1
	v_and_b32_e32 v27, 0x7f, v17
	v_mov_b32_e32 v47, 0x7f800001
	s_mov_b32 s19, exec_lo
	v_cmpx_ne_u32_e32 0x7f, v27
	s_cbranch_execz .LBB370_1520
; %bb.1517:                             ;   in Loop: Header=BB370_10 Depth=1
	v_mov_b32_e32 v25, v5
	v_mov_b32_e32 v24, v4
	v_lshrrev_b32_e32 v25, 3, v27
	s_mov_b32 s20, exec_lo
	v_cmpx_gt_u32_e32 8, v27
; %bb.1518:                             ;   in Loop: Header=BB370_10 Depth=1
	v_and_b32_e32 v24, 7, v17
	v_ffbh_u32_e32 v24, v24
	v_min_u32_e32 v27, 32, v24
	v_subrev_nc_u32_e32 v24, 28, v27
	v_lshlrev_b64 v[24:25], v24, v[4:5]
	v_sub_nc_u32_e32 v25, 29, v27
; %bb.1519:                             ;   in Loop: Header=BB370_10 Depth=1
	s_or_b32 exec_lo, exec_lo, s20
	v_lshlrev_b32_e32 v24, 20, v24
	v_lshlrev_b32_e32 v27, 24, v4
	v_lshl_add_u32 v25, v25, 23, 0x3c000000
	v_and_b32_e32 v24, 0x700000, v24
	v_and_b32_e32 v27, 0x80000000, v27
	v_or3_b32 v47, v24, v27, v25
.LBB370_1520:                           ;   in Loop: Header=BB370_10 Depth=1
	s_or_b32 exec_lo, exec_lo, s19
.LBB370_1521:                           ;   in Loop: Header=BB370_10 Depth=1
	s_or_b32 exec_lo, exec_lo, s17
.LBB370_1522:                           ;   in Loop: Header=BB370_10 Depth=1
	s_or_b32 exec_lo, exec_lo, s6
	v_cmp_ne_u16_sdwa s5, v4, v5 src0_sel:BYTE_1 src1_sel:DWORD
	v_mov_b32_e32 v20, 0
	v_mov_b32_e32 v58, 0
	s_and_saveexec_b32 s6, s5
	s_cbranch_execz .LBB370_1530
; %bb.1523:                             ;   in Loop: Header=BB370_10 Depth=1
	v_cmp_ne_u16_sdwa s5, v4, v107 src0_sel:BYTE_1 src1_sel:DWORD
	v_bfrev_b32_e32 v58, 1
	s_and_saveexec_b32 s17, s5
	s_cbranch_execz .LBB370_1529
; %bb.1524:                             ;   in Loop: Header=BB370_10 Depth=1
	buffer_load_dword v24, off, s[0:3], s32 offset:196 ; 4-byte Folded Reload
	s_waitcnt vmcnt(0)
	v_mov_b32_e32 v24, 0xffff
	v_mov_b32_e32 v58, 0x7f800001
	s_mov_b32 s19, exec_lo
	v_and_b32_sdwa v24, v24, v4 dst_sel:DWORD dst_unused:UNUSED_PAD src0_sel:DWORD src1_sel:BYTE_1
	v_and_b32_e32 v59, 0x7f, v24
	v_cmpx_ne_u32_e32 0x7f, v59
	s_cbranch_execz .LBB370_1528
; %bb.1525:                             ;   in Loop: Header=BB370_10 Depth=1
	v_and_b32_e32 v24, 7, v24
	v_mov_b32_e32 v25, v5
	v_lshrrev_b32_e32 v27, 3, v59
	s_mov_b32 s20, exec_lo
	v_cmpx_gt_u32_e32 8, v59
; %bb.1526:                             ;   in Loop: Header=BB370_10 Depth=1
	v_ffbh_u32_e32 v27, v24
	v_min_u32_e32 v27, 32, v27
	v_subrev_nc_u32_e32 v58, 28, v27
	v_sub_nc_u32_e32 v27, 29, v27
	v_lshlrev_b64 v[24:25], v58, v[24:25]
	v_and_b32_e32 v24, 7, v24
; %bb.1527:                             ;   in Loop: Header=BB370_10 Depth=1
	s_or_b32 exec_lo, exec_lo, s20
	v_lshlrev_b32_e32 v4, 16, v4
	v_lshlrev_b32_e32 v24, 20, v24
	v_lshl_add_u32 v25, v27, 23, 0x3c000000
	v_and_b32_e32 v4, 0x80000000, v4
	v_or3_b32 v58, v24, v4, v25
.LBB370_1528:                           ;   in Loop: Header=BB370_10 Depth=1
	s_or_b32 exec_lo, exec_lo, s19
.LBB370_1529:                           ;   in Loop: Header=BB370_10 Depth=1
	s_or_b32 exec_lo, exec_lo, s17
.LBB370_1530:                           ;   in Loop: Header=BB370_10 Depth=1
	s_or_b32 exec_lo, exec_lo, s6
	v_mov_b32_e32 v4, 0xff
	s_mov_b32 s6, exec_lo
	v_and_b32_sdwa v4, v17, v4 dst_sel:DWORD dst_unused:UNUSED_PAD src0_sel:WORD_1 src1_sel:DWORD
	v_cmpx_ne_u16_e32 0, v4
	s_cbranch_execz .LBB370_1538
; %bb.1531:                             ;   in Loop: Header=BB370_10 Depth=1
	v_bfrev_b32_e32 v20, 1
	s_mov_b32 s17, exec_lo
	v_cmpx_ne_u16_e32 0x80, v4
	s_cbranch_execz .LBB370_1537
; %bb.1532:                             ;   in Loop: Header=BB370_10 Depth=1
	v_bfe_u32 v27, v17, 16, 7
	v_mov_b32_e32 v20, 0x7f800001
	s_mov_b32 s19, exec_lo
	v_cmpx_ne_u32_e32 0x7f, v27
	s_cbranch_execz .LBB370_1536
; %bb.1533:                             ;   in Loop: Header=BB370_10 Depth=1
	v_mov_b32_e32 v4, 7
	s_mov_b32 s20, exec_lo
	v_and_b32_sdwa v4, v17, v4 dst_sel:DWORD dst_unused:UNUSED_PAD src0_sel:WORD_1 src1_sel:DWORD
	v_mov_b32_e32 v25, v5
	v_lshrrev_b32_e32 v25, 3, v27
	v_mov_b32_e32 v24, v4
	v_cmpx_gt_u32_e32 8, v27
; %bb.1534:                             ;   in Loop: Header=BB370_10 Depth=1
	v_ffbh_u32_e32 v24, v4
	v_min_u32_e32 v27, 32, v24
	v_subrev_nc_u32_e32 v24, 28, v27
	v_lshlrev_b64 v[24:25], v24, v[4:5]
	v_sub_nc_u32_e32 v25, 29, v27
	v_and_b32_e32 v24, 7, v24
; %bb.1535:                             ;   in Loop: Header=BB370_10 Depth=1
	s_or_b32 exec_lo, exec_lo, s20
	v_mov_b32_e32 v4, 24
	v_lshlrev_b32_e32 v24, 20, v24
	v_lshl_add_u32 v25, v25, 23, 0x3c000000
	v_lshlrev_b32_sdwa v4, v4, v17 dst_sel:DWORD dst_unused:UNUSED_PAD src0_sel:DWORD src1_sel:WORD_1
	v_and_b32_e32 v4, 0x80000000, v4
	v_or3_b32 v20, v24, v4, v25
.LBB370_1536:                           ;   in Loop: Header=BB370_10 Depth=1
	s_or_b32 exec_lo, exec_lo, s19
.LBB370_1537:                           ;   in Loop: Header=BB370_10 Depth=1
	s_or_b32 exec_lo, exec_lo, s17
.LBB370_1538:                           ;   in Loop: Header=BB370_10 Depth=1
	s_or_b32 exec_lo, exec_lo, s6
	buffer_store_dword v29, off, s[0:3], s32 offset:568 ; 4-byte Folded Spill
	buffer_store_dword v28, off, s[0:3], s32 offset:520 ; 4-byte Folded Spill
	v_mov_b32_e32 v59, v127
	v_mov_b32_e32 v29, v40
	;; [unrolled: 1-line block ×5, first 2 shown]
	v_cmp_lt_u64_e64 s5, s[8:9], v[16:17]
	s_mov_b32 s6, exec_lo
	v_mov_b32_e32 v110, v111
	v_mov_b32_e32 v120, v123
	;; [unrolled: 1-line block ×3, first 2 shown]
	s_and_b32 s5, s6, s5
	s_mov_b32 exec_lo, s5
	s_cbranch_execz .LBB370_9
; %bb.1539:                             ;   in Loop: Header=BB370_10 Depth=1
	v_cmp_ne_u32_sdwa s5, v17, v107 src0_sel:BYTE_3 src1_sel:DWORD
	v_bfrev_b32_e32 v24, 1
	s_and_saveexec_b32 s17, s5
	s_cbranch_execz .LBB370_8
; %bb.1540:                             ;   in Loop: Header=BB370_10 Depth=1
	v_bfe_u32 v27, v17, 24, 7
	v_mov_b32_e32 v24, 0x7f800001
	s_mov_b32 s19, exec_lo
	v_cmpx_ne_u32_e32 0x7f, v27
	s_cbranch_execz .LBB370_7
; %bb.1541:                             ;   in Loop: Header=BB370_10 Depth=1
	v_mov_b32_e32 v4, 7
	v_lshrrev_b32_e32 v16, 3, v27
	s_mov_b32 s20, exec_lo
	v_and_b32_sdwa v4, v17, v4 dst_sel:DWORD dst_unused:UNUSED_PAD src0_sel:BYTE_3 src1_sel:DWORD
	v_mov_b32_e32 v25, v5
	v_mov_b32_e32 v24, v4
	v_cmpx_gt_u32_e32 8, v27
	s_cbranch_execz .LBB370_6
; %bb.1542:                             ;   in Loop: Header=BB370_10 Depth=1
	v_ffbh_u32_e32 v16, v4
	v_min_u32_e32 v16, 32, v16
	v_subrev_nc_u32_e32 v24, 28, v16
	v_sub_nc_u32_e32 v16, 29, v16
	v_lshlrev_b64 v[24:25], v24, v[4:5]
	v_and_b32_e32 v24, 7, v24
	s_branch .LBB370_6
.LBB370_1543:
	s_or_b32 exec_lo, exec_lo, s18
	s_clause 0xa
	buffer_load_dword v18, off, s[0:3], s32 offset:1640
	buffer_load_dword v20, off, s[0:3], s32 offset:1644
	;; [unrolled: 1-line block ×11, first 2 shown]
.LBB370_1544:
	s_or_b32 exec_lo, exec_lo, s15
	v_mbcnt_lo_u32_b32 v0, -1, 0
	v_max_f32_e32 v4, v7, v7
	s_lshr_b32 s8, s7, 16
	v_xor_b32_e32 v1, 16, v0
	v_xor_b32_e32 v3, 8, v0
	v_cmp_gt_i32_e32 vcc_lo, 32, v1
	v_cndmask_b32_e32 v1, v0, v1, vcc_lo
	v_cmp_gt_i32_e32 vcc_lo, 32, v3
	v_lshlrev_b32_e32 v1, 2, v1
	v_cndmask_b32_e32 v3, v0, v3, vcc_lo
	ds_bpermute_b32 v2, v1, v7
	s_waitcnt lgkmcnt(0)
	v_max_f32_e32 v5, v2, v2
	v_lshlrev_b32_e32 v2, 2, v3
	v_max_f32_e32 v4, v4, v5
	v_xor_b32_e32 v5, 4, v0
	ds_bpermute_b32 v3, v2, v4
	v_cmp_gt_i32_e32 vcc_lo, 32, v5
	v_cndmask_b32_e32 v5, v0, v5, vcc_lo
	s_waitcnt lgkmcnt(0)
	v_max_f32_e32 v6, v3, v3
	v_lshlrev_b32_e32 v3, 2, v5
	v_max_f32_e32 v4, v4, v6
	v_xor_b32_e32 v6, 2, v0
	ds_bpermute_b32 v5, v3, v4
	v_cmp_gt_i32_e32 vcc_lo, 32, v6
	v_cndmask_b32_e32 v6, v0, v6, vcc_lo
	v_lshlrev_b32_e32 v25, 2, v6
	v_xor_b32_e32 v6, 1, v0
	v_cmp_gt_i32_e32 vcc_lo, 32, v6
	s_waitcnt lgkmcnt(0)
	v_max_f32_e32 v5, v5, v5
	v_cndmask_b32_e32 v6, v0, v6, vcc_lo
	v_max_f32_e32 v4, v4, v5
	v_lshlrev_b32_e32 v82, 2, v6
	ds_bpermute_b32 v5, v25, v4
	s_waitcnt lgkmcnt(0)
	v_max_f32_e32 v5, v5, v5
	v_max_f32_e32 v0, v4, v5
	buffer_load_dword v4, off, s[0:3], s32 offset:1624 ; 4-byte Folded Reload
	ds_bpermute_b32 v5, v82, v0
	s_waitcnt vmcnt(0)
	v_cmp_eq_u32_e32 vcc_lo, 0, v4
	buffer_load_dword v4, off, s[0:3], s32 offset:1628 ; 4-byte Folded Reload
	s_waitcnt vmcnt(0)
	v_lshlrev_b32_e32 v4, 2, v4
	s_and_saveexec_b32 s5, vcc_lo
	s_cbranch_execz .LBB370_1546
; %bb.1545:
	s_waitcnt lgkmcnt(0)
	v_max_f32_e32 v5, v5, v5
	v_max_f32_e32 v0, v0, v0
	;; [unrolled: 1-line block ×3, first 2 shown]
	ds_write_b32 v4, v0 offset:384
.LBB370_1546:
	s_or_b32 exec_lo, exec_lo, s5
	buffer_load_dword v0, off, s[0:3], s32 offset:1624 ; 4-byte Folded Reload
	s_waitcnt vmcnt(0) lgkmcnt(0)
	s_waitcnt_vscnt null, 0x0
	s_barrier
	buffer_gl0_inv
	v_cmp_gt_u32_e64 s5, 4, v0
	v_mov_b32_e32 v0, 0xff7fffff
	s_and_saveexec_b32 s6, s5
; %bb.1547:
	ds_read_b32 v0, v24 offset:384
; %bb.1548:
	s_or_b32 exec_lo, exec_lo, s6
	s_waitcnt lgkmcnt(0)
	ds_bpermute_b32 v5, v25, v0
	v_max_f32_e32 v0, v0, v0
	v_mov_b32_e32 v6, 0
	buffer_load_dword v7, off, s[0:3], s32 offset:1620 ; 4-byte Folded Reload
	s_waitcnt lgkmcnt(0)
	v_max_f32_e32 v5, v5, v5
	v_max_f32_e32 v0, v0, v5
	ds_bpermute_b32 v5, v82, v0
	s_waitcnt lgkmcnt(0)
	v_max_f32_e32 v5, v5, v5
	v_max_f32_e32 v0, v0, v5
	ds_bpermute_b32 v5, v6, v0
	buffer_load_dword v0, off, s[0:3], s32 offset:192 ; 4-byte Folded Reload
	s_waitcnt vmcnt(0)
	v_lshlrev_b32_e32 v0, 5, v0
	v_min_i32_e32 v0, v0, v88
	v_cmp_lt_i32_e64 s6, v7, v0
	s_and_saveexec_b32 s9, s6
	s_cbranch_execz .LBB370_1552
; %bb.1549:
	buffer_load_dword v8, off, s[0:3], s32 offset:1620 ; 4-byte Folded Reload
	s_getpc_b64 s[18:19]
	s_add_u32 s18, s18, llvm.amdgcn.dynlds.offset.table@rel32@lo+4
	s_addc_u32 s19, s19, llvm.amdgcn.dynlds.offset.table@rel32@hi+12
	s_ashr_i32 s17, s16, 31
	v_mov_b32_e32 v6, 0
	s_lshl_b64 s[20:21], s[16:17], 2
	s_mov_b32 s15, 0
	s_add_u32 s18, s18, s20
	s_addc_u32 s19, s19, s21
	s_load_dword s7, s[18:19], 0x0
	s_waitcnt vmcnt(0) lgkmcnt(0)
	v_lshl_add_u32 v7, v8, 2, s7
	.p2align	6
.LBB370_1550:                           ; =>This Inner Loop Header: Depth=1
	ds_read_b32 v9, v7
	v_add_nc_u32_e32 v8, 0x80, v8
	v_cmp_ge_i32_e64 s7, v8, v0
	s_or_b32 s15, s7, s15
	s_waitcnt lgkmcnt(0)
	v_sub_f32_e32 v9, v9, v5
	v_mul_f32_e32 v9, 0x3fb8aa3b, v9
	v_exp_f32_e32 v9, v9
	ds_write_b32 v7, v9
	v_add_f32_e32 v6, v6, v9
	v_add_nc_u32_e32 v7, 0x200, v7
	s_andn2_b32 exec_lo, exec_lo, s15
	s_cbranch_execnz .LBB370_1550
; %bb.1551:
	s_or_b32 exec_lo, exec_lo, s15
.LBB370_1552:
	s_or_b32 exec_lo, exec_lo, s9
	ds_bpermute_b32 v1, v1, v6
	s_waitcnt lgkmcnt(0)
	v_add_f32_e32 v1, v6, v1
	ds_bpermute_b32 v2, v2, v1
	s_waitcnt lgkmcnt(0)
	v_add_f32_e32 v1, v1, v2
	;; [unrolled: 3-line block ×5, first 2 shown]
	s_and_saveexec_b32 s7, vcc_lo
; %bb.1553:
	ds_write_b32 v4, v1 offset:400
; %bb.1554:
	s_or_b32 exec_lo, exec_lo, s7
	s_waitcnt lgkmcnt(0)
	s_barrier
	buffer_gl0_inv
	s_and_saveexec_b32 s7, s5
; %bb.1555:
	ds_read_b32 v1, v24 offset:400
; %bb.1556:
	s_or_b32 exec_lo, exec_lo, s7
	s_waitcnt lgkmcnt(0)
	ds_bpermute_b32 v2, v25, v1
	s_waitcnt lgkmcnt(0)
	v_add_f32_e32 v1, v1, v2
	ds_bpermute_b32 v2, v82, v1
	s_waitcnt lgkmcnt(0)
	v_add_f32_e32 v1, v1, v2
	v_mov_b32_e32 v2, 0
	ds_bpermute_b32 v1, v2, v1
	s_and_saveexec_b32 s5, s6
	s_cbranch_execz .LBB370_1559
; %bb.1557:
	s_waitcnt lgkmcnt(0)
	v_add_f32_e32 v2, 0x358637bd, v1
	s_getpc_b64 s[6:7]
	s_add_u32 s6, s6, llvm.amdgcn.dynlds.offset.table@rel32@lo+4
	s_addc_u32 s7, s7, llvm.amdgcn.dynlds.offset.table@rel32@hi+12
	s_ashr_i32 s17, s16, 31
	s_lshl_b64 s[18:19], s[16:17], 2
	v_div_scale_f32 v1, null, v2, v2, 1.0
	v_div_scale_f32 v5, vcc_lo, 1.0, v2, 1.0
	s_add_u32 s6, s6, s18
	v_rcp_f32_e32 v3, v1
	s_addc_u32 s7, s7, s19
	s_load_dword s6, s[6:7], 0x0
	v_fma_f32 v4, -v1, v3, 1.0
	v_fmac_f32_e32 v3, v4, v3
	v_mul_f32_e32 v4, v5, v3
	v_fma_f32 v6, -v1, v4, v5
	v_fmac_f32_e32 v4, v6, v3
	v_fma_f32 v1, -v1, v4, v5
	v_div_fmas_f32 v3, v1, v3, v4
	buffer_load_dword v4, off, s[0:3], s32 offset:1620 ; 4-byte Folded Reload
	v_div_fixup_f32 v2, v3, v2, 1.0
	s_waitcnt vmcnt(0) lgkmcnt(0)
	v_lshl_add_u32 v1, v4, 2, s6
	v_mov_b32_e32 v3, v4
	s_mov_b32 s6, 0
.LBB370_1558:                           ; =>This Inner Loop Header: Depth=1
	ds_read_b32 v4, v1
	v_add_nc_u32_e32 v3, 0x80, v3
	v_cmp_ge_i32_e32 vcc_lo, v3, v0
	s_or_b32 s6, vcc_lo, s6
	s_waitcnt lgkmcnt(0)
	v_mul_f32_e32 v4, v2, v4
	ds_write_b32 v1, v4
	v_add_nc_u32_e32 v1, 0x200, v1
	s_andn2_b32 exec_lo, exec_lo, s6
	s_cbranch_execnz .LBB370_1558
.LBB370_1559:
	s_or_b32 exec_lo, exec_lo, s5
	s_waitcnt lgkmcnt(0)
	s_barrier
	buffer_gl0_inv
	s_and_saveexec_b32 s5, s4
	s_xor_b32 s4, exec_lo, s5
; %bb.1560:
	s_ashr_i32 s17, s16, 31
                                        ; implicit-def: $vgpr0
                                        ; implicit-def: $vgpr88
                                        ; kill: killed $vgpr0
                                        ; implicit-def: $vgpr20
                                        ; implicit-def: $vgpr18
                                        ; implicit-def: $vgpr10
                                        ; implicit-def: $vgpr11
                                        ; implicit-def: $vgpr0
                                        ; kill: killed $vgpr0
                                        ; implicit-def: $vgpr22_vgpr23
                                        ; implicit-def: $vgpr13
                                        ; implicit-def: $vgpr12
                                        ; implicit-def: $vgpr26_vgpr27
; %bb.1561:
	s_or_saveexec_b32 s5, s4
	v_mov_b32_e32 v4, s16
	v_mov_b32_e32 v68, 0
	;; [unrolled: 1-line block ×26, first 2 shown]
	s_xor_b32 exec_lo, exec_lo, s5
	s_cbranch_execz .LBB370_3149
; %bb.1562:
	buffer_store_dword v25, off, s[0:3], s32 offset:692 ; 4-byte Folded Spill
	buffer_store_dword v82, off, s[0:3], s32 offset:688 ; 4-byte Folded Spill
	buffer_load_dword v0, off, s[0:3], s32 offset:1620 ; 4-byte Folded Reload
	v_add_co_u32 v1, vcc_lo, v10, v26
	s_getpc_b64 s[6:7]
	s_add_u32 s6, s6, llvm.amdgcn.dynlds.offset.table@rel32@lo+4
	s_addc_u32 s7, s7, llvm.amdgcn.dynlds.offset.table@rel32@hi+12
	s_ashr_i32 s17, s16, 31
	flat_load_dword v71, v[22:23]
	buffer_store_dword v1, off, s[0:3], s32 offset:668 ; 4-byte Folded Spill
	v_add_co_ci_u32_e64 v1, null, v11, v27, vcc_lo
	s_lshl_b64 s[18:19], s[16:17], 2
	v_mov_b32_e32 v11, 0
	s_add_u32 s6, s6, s18
	buffer_store_dword v1, off, s[0:3], s32 offset:672 ; 4-byte Folded Spill
	s_addc_u32 s7, s7, s19
	v_mov_b32_e32 v83, 0x80
	s_load_dword s9, s[6:7], 0x0
	v_mov_b32_e32 v85, 0xff
	v_mov_b32_e32 v67, 0
	;; [unrolled: 1-line block ×5, first 2 shown]
	s_mov_b32 s6, -1
	s_mov_b32 s7, 0xffffff
	s_mov_b32 s15, 0
	s_waitcnt vmcnt(1)
	v_lshlrev_b32_e32 v0, 3, v0
	v_and_b32_e32 v1, 24, v0
	v_and_b32_e32 v0, 0xf8, v0
	buffer_store_dword v1, off, s[0:3], s32 offset:676 ; 4-byte Folded Spill
	v_add_co_u32 v1, vcc_lo, v20, v13
	v_add_co_ci_u32_e64 v2, null, v18, v12, vcc_lo
	v_add_co_u32 v0, vcc_lo, v1, v0
	v_add_co_ci_u32_e64 v1, null, 0, v2, vcc_lo
	buffer_store_dword v0, off, s[0:3], s32 offset:680 ; 4-byte Folded Spill
	buffer_store_dword v1, off, s[0:3], s32 offset:684 ; 4-byte Folded Spill
	buffer_load_dword v14, off, s[0:3], s32 offset:1628 ; 4-byte Folded Reload
	v_mov_b32_e32 v0, 0
	buffer_store_dword v0, off, s[0:3], s32 offset:588 ; 4-byte Folded Spill
	v_mov_b32_e32 v0, 0
	buffer_store_dword v0, off, s[0:3], s32 offset:592 ; 4-byte Folded Spill
	;; [unrolled: 2-line block ×20, first 2 shown]
	s_branch .LBB370_1564
.LBB370_1563:                           ;   in Loop: Header=BB370_1564 Depth=1
	s_or_b32 exec_lo, exec_lo, s4
	v_bfe_u32 v53, v6, 16, 1
	v_or_b32_e32 v54, 0x400000, v6
	v_cmp_u_f32_e32 vcc_lo, v6, v6
	v_lshlrev_b32_e32 v50, 16, v50
	v_lshlrev_b32_e32 v28, 16, v28
	v_add3_u32 v53, v53, v6, 0x7fff
	v_lshlrev_b32_e32 v35, 16, v35
	v_lshlrev_b32_e32 v26, 16, v26
	;; [unrolled: 1-line block ×4, first 2 shown]
	v_cndmask_b32_e32 v6, v53, v54, vcc_lo
	v_bfe_u32 v53, v7, 16, 1
	v_or_b32_e32 v54, 0x400000, v7
	v_cmp_u_f32_e32 vcc_lo, v7, v7
	v_lshlrev_b32_e32 v29, 16, v29
	v_lshlrev_b32_e32 v32, 16, v32
	v_add3_u32 v53, v53, v7, 0x7fff
	v_lshlrev_b32_e32 v25, 16, v25
	v_lshlrev_b32_e32 v17, 16, v17
	;; [unrolled: 1-line block ×4, first 2 shown]
	v_cndmask_b32_e32 v7, v53, v54, vcc_lo
	v_bfe_u32 v53, v8, 16, 1
	v_or_b32_e32 v54, 0x400000, v8
	v_cmp_u_f32_e32 vcc_lo, v8, v8
	v_lshlrev_b32_e32 v13, 16, v13
	v_lshlrev_b32_e32 v0, 16, v0
	v_add3_u32 v53, v53, v8, 0x7fff
	v_bfe_u32 v8, v9, 16, 1
	v_lshlrev_b32_e32 v1, 16, v1
	v_add_nc_u32_e32 v14, 4, v14
	v_cndmask_b32_e32 v53, v53, v54, vcc_lo
	v_add3_u32 v8, v8, v9, 0x7fff
	v_or_b32_e32 v54, 0x400000, v9
	v_cmp_u_f32_e32 vcc_lo, v9, v9
	v_or_b32_e32 v9, 0x400000, v2
	v_cndmask_b32_e32 v54, v8, v54, vcc_lo
	v_bfe_u32 v8, v2, 16, 1
	v_cmp_u_f32_e32 vcc_lo, v2, v2
	v_add3_u32 v8, v8, v2, 0x7fff
	v_cndmask_b32_e32 v2, v8, v9, vcc_lo
	v_bfe_u32 v8, v3, 16, 1
	v_or_b32_e32 v9, 0x400000, v3
	v_cmp_u_f32_e32 vcc_lo, v3, v3
	v_add3_u32 v8, v8, v3, 0x7fff
	v_cndmask_b32_e32 v3, v8, v9, vcc_lo
	v_bfe_u32 v8, v4, 16, 1
	v_or_b32_e32 v9, 0x400000, v4
	v_cmp_u_f32_e32 vcc_lo, v4, v4
	v_add3_u32 v8, v8, v4, 0x7fff
	v_bfe_u32 v4, v5, 16, 1
	v_cndmask_b32_e32 v55, v8, v9, vcc_lo
	v_add3_u32 v4, v4, v5, 0x7fff
	v_or_b32_e32 v8, 0x400000, v5
	v_cmp_u_f32_e32 vcc_lo, v5, v5
	v_and_b32_e32 v9, 0xffff0000, v6
	v_cndmask_b32_e32 v64, v4, v8, vcc_lo
	v_and_b32_e32 v8, 0xffff0000, v7
	v_lshlrev_b32_e32 v4, 16, v49
	v_mul_f32_e32 v35, v9, v35
	v_mul_f32_e32 v28, v8, v28
	;; [unrolled: 1-line block ×4, first 2 shown]
	v_bfe_u32 v5, v4, 16, 1
	v_or_b32_e32 v7, 0x400000, v4
	v_cmp_u_f32_e32 vcc_lo, v4, v4
	v_add3_u32 v5, v5, v4, 0x7fff
	v_lshlrev_b32_e32 v4, 16, v51
	v_cndmask_b32_e32 v49, v5, v7, vcc_lo
	v_mul_f32_e32 v4, v9, v4
	v_and_b32_e32 v49, 0xffff0000, v49
	v_bfe_u32 v5, v4, 16, 1
	v_or_b32_e32 v6, 0x400000, v4
	v_cmp_u_f32_e32 vcc_lo, v4, v4
	v_add3_u32 v5, v5, v4, 0x7fff
	v_lshlrev_b32_e32 v4, 16, v39
	v_cndmask_b32_e32 v51, v5, v6, vcc_lo
	v_and_b32_e32 v6, 0xffff0000, v54
	v_and_b32_e32 v51, 0xffff0000, v51
	v_mul_f32_e32 v4, v6, v4
	v_mul_f32_e32 v26, v6, v26
	;; [unrolled: 1-line block ×4, first 2 shown]
	v_add_f32_e32 v49, v51, v49
	v_bfe_u32 v5, v4, 16, 1
	v_or_b32_e32 v7, 0x400000, v4
	v_cmp_u_f32_e32 vcc_lo, v4, v4
	v_add3_u32 v5, v5, v4, 0x7fff
	v_lshlrev_b32_e32 v4, 16, v48
	v_cndmask_b32_e32 v39, v5, v7, vcc_lo
	v_and_b32_e32 v7, 0xffff0000, v53
	v_and_b32_e32 v39, 0xffff0000, v39
	v_mul_f32_e32 v4, v7, v4
	v_mul_f32_e32 v27, v7, v27
	;; [unrolled: 1-line block ×3, first 2 shown]
	v_bfe_u32 v5, v4, 16, 1
	v_or_b32_e32 v48, 0x400000, v4
	v_cmp_u_f32_e32 vcc_lo, v4, v4
	v_add3_u32 v5, v5, v4, 0x7fff
	v_and_b32_e32 v4, 0xffff0000, v3
	v_lshlrev_b32_e32 v3, 16, v37
	v_cndmask_b32_e32 v48, v5, v48, vcc_lo
	v_mul_f32_e32 v32, v4, v32
	v_mul_f32_e32 v3, v4, v3
	;; [unrolled: 1-line block ×3, first 2 shown]
	v_and_b32_e32 v48, 0xffff0000, v48
	v_bfe_u32 v5, v3, 16, 1
	v_or_b32_e32 v37, 0x400000, v3
	v_cmp_u_f32_e32 vcc_lo, v3, v3
	v_add_f32_e32 v39, v48, v39
	v_add3_u32 v5, v5, v3, 0x7fff
	v_add_f32_e32 v39, v49, v39
	v_cndmask_b32_e32 v37, v5, v37, vcc_lo
	v_and_b32_e32 v5, 0xffff0000, v2
	v_lshlrev_b32_e32 v2, 16, v38
	v_and_b32_e32 v37, 0xffff0000, v37
	v_mul_f32_e32 v13, v5, v13
	v_mul_f32_e32 v2, v5, v2
	;; [unrolled: 1-line block ×3, first 2 shown]
	v_bfe_u32 v3, v2, 16, 1
	v_or_b32_e32 v38, 0x400000, v2
	v_cmp_u_f32_e32 vcc_lo, v2, v2
	v_add3_u32 v3, v3, v2, 0x7fff
	v_and_b32_e32 v2, 0xffff0000, v64
	v_cndmask_b32_e32 v38, v3, v38, vcc_lo
	v_lshlrev_b32_e32 v3, 16, v52
	v_mul_f32_e32 v36, v2, v36
	v_and_b32_e32 v38, 0xffff0000, v38
	v_mul_f32_e32 v3, v2, v3
	v_add_f32_e32 v37, v38, v37
	v_bfe_u32 v52, v3, 16, 1
	v_or_b32_e32 v53, 0x400000, v3
	v_cmp_u_f32_e32 vcc_lo, v3, v3
	v_add_f32_e32 v37, v39, v37
	v_add3_u32 v52, v52, v3, 0x7fff
	v_and_b32_e32 v3, 0xffff0000, v55
	v_cndmask_b32_e32 v52, v52, v53, vcc_lo
	v_mul_f32_e32 v50, v3, v50
	v_mul_f32_e32 v29, v3, v29
	v_and_b32_e32 v39, 0xffff0000, v52
	v_bfe_u32 v53, v50, 16, 1
	v_or_b32_e32 v54, 0x400000, v50
	v_cmp_u_f32_e32 vcc_lo, v50, v50
	v_add3_u32 v53, v53, v50, 0x7fff
	v_cndmask_b32_e32 v50, v53, v54, vcc_lo
	v_cmp_u_f32_e32 vcc_lo, v28, v28
	v_and_b32_e32 v38, 0xffff0000, v50
	v_add_f32_e32 v38, v38, v39
	v_add_f32_e32 v37, v37, v38
	buffer_load_dword v38, off, s[0:3], s32 offset:588 ; 4-byte Folded Reload
	s_waitcnt vmcnt(0)
	v_add_f32_e32 v38, v38, v37
	v_bfe_u32 v37, v28, 16, 1
	buffer_store_dword v38, off, s[0:3], s32 offset:588 ; 4-byte Folded Spill
	v_add3_u32 v37, v37, v28, 0x7fff
	v_or_b32_e32 v38, 0x400000, v28
	v_cndmask_b32_e32 v28, v37, v38, vcc_lo
	v_bfe_u32 v37, v35, 16, 1
	v_or_b32_e32 v38, 0x400000, v35
	v_cmp_u_f32_e32 vcc_lo, v35, v35
	v_and_b32_e32 v28, 0xffff0000, v28
	v_add3_u32 v37, v37, v35, 0x7fff
	v_cndmask_b32_e32 v35, v37, v38, vcc_lo
	v_bfe_u32 v37, v26, 16, 1
	v_or_b32_e32 v38, 0x400000, v26
	v_cmp_u_f32_e32 vcc_lo, v26, v26
	v_and_b32_e32 v35, 0xffff0000, v35
	v_add3_u32 v37, v37, v26, 0x7fff
	v_add_f32_e32 v28, v35, v28
	v_cndmask_b32_e32 v26, v37, v38, vcc_lo
	v_bfe_u32 v37, v27, 16, 1
	v_or_b32_e32 v38, 0x400000, v27
	v_cmp_u_f32_e32 vcc_lo, v27, v27
	v_and_b32_e32 v26, 0xffff0000, v26
	v_add3_u32 v37, v37, v27, 0x7fff
	v_cndmask_b32_e32 v27, v37, v38, vcc_lo
	v_lshlrev_b32_e32 v37, 16, v56
	v_and_b32_e32 v27, 0xffff0000, v27
	v_mul_f32_e32 v37, v4, v37
	v_add_f32_e32 v26, v27, v26
	v_bfe_u32 v38, v37, 16, 1
	v_or_b32_e32 v39, 0x400000, v37
	v_cmp_u_f32_e32 vcc_lo, v37, v37
	v_add_f32_e32 v26, v28, v26
	v_add3_u32 v38, v38, v37, 0x7fff
	v_cndmask_b32_e32 v37, v38, v39, vcc_lo
	v_lshlrev_b32_e32 v38, 16, v57
	v_and_b32_e32 v28, 0xffff0000, v37
	v_mul_f32_e32 v38, v5, v38
	v_bfe_u32 v39, v38, 16, 1
	v_or_b32_e32 v48, 0x400000, v38
	v_cmp_u_f32_e32 vcc_lo, v38, v38
	v_add3_u32 v39, v39, v38, 0x7fff
	v_cndmask_b32_e32 v38, v39, v48, vcc_lo
	v_bfe_u32 v39, v36, 16, 1
	v_or_b32_e32 v48, 0x400000, v36
	v_cmp_u_f32_e32 vcc_lo, v36, v36
	v_and_b32_e32 v27, 0xffff0000, v38
	v_add3_u32 v39, v39, v36, 0x7fff
	v_add_f32_e32 v27, v27, v28
	v_cndmask_b32_e32 v36, v39, v48, vcc_lo
	v_bfe_u32 v39, v29, 16, 1
	v_or_b32_e32 v48, 0x400000, v29
	v_cmp_u_f32_e32 vcc_lo, v29, v29
	v_add_f32_e32 v26, v26, v27
	v_and_b32_e32 v28, 0xffff0000, v36
	v_add3_u32 v39, v39, v29, 0x7fff
	v_cndmask_b32_e32 v29, v39, v48, vcc_lo
	v_and_b32_e32 v27, 0xffff0000, v29
	v_add_f32_e32 v27, v27, v28
	v_add_f32_e32 v26, v26, v27
	buffer_load_dword v27, off, s[0:3], s32 offset:592 ; 4-byte Folded Reload
	s_waitcnt vmcnt(0)
	v_add_f32_e32 v27, v27, v26
	v_lshlrev_b32_e32 v26, 16, v86
	buffer_store_dword v27, off, s[0:3], s32 offset:592 ; 4-byte Folded Spill
	v_mul_f32_e32 v26, v8, v26
	v_bfe_u32 v27, v26, 16, 1
	v_or_b32_e32 v28, 0x400000, v26
	v_cmp_u_f32_e32 vcc_lo, v26, v26
	v_add3_u32 v27, v27, v26, 0x7fff
	v_cndmask_b32_e32 v26, v27, v28, vcc_lo
	v_lshlrev_b32_e32 v27, 16, v46
	v_and_b32_e32 v26, 0xffff0000, v26
	v_mul_f32_e32 v27, v9, v27
	v_bfe_u32 v28, v27, 16, 1
	v_or_b32_e32 v29, 0x400000, v27
	v_cmp_u_f32_e32 vcc_lo, v27, v27
	v_add3_u32 v28, v28, v27, 0x7fff
	v_cndmask_b32_e32 v27, v28, v29, vcc_lo
	v_lshlrev_b32_e32 v28, 16, v45
	v_and_b32_e32 v27, 0xffff0000, v27
	v_mul_f32_e32 v28, v6, v28
	v_add_f32_e32 v26, v27, v26
	v_bfe_u32 v29, v28, 16, 1
	v_or_b32_e32 v35, 0x400000, v28
	v_cmp_u_f32_e32 vcc_lo, v28, v28
	v_add3_u32 v29, v29, v28, 0x7fff
	v_cndmask_b32_e32 v28, v29, v35, vcc_lo
	v_lshlrev_b32_e32 v29, 16, v84
	v_and_b32_e32 v28, 0xffff0000, v28
	v_mul_f32_e32 v29, v7, v29
	v_bfe_u32 v35, v29, 16, 1
	v_or_b32_e32 v36, 0x400000, v29
	v_cmp_u_f32_e32 vcc_lo, v29, v29
	v_add3_u32 v35, v35, v29, 0x7fff
	v_cndmask_b32_e32 v29, v35, v36, vcc_lo
	v_bfe_u32 v35, v32, 16, 1
	v_or_b32_e32 v36, 0x400000, v32
	v_cmp_u_f32_e32 vcc_lo, v32, v32
	v_and_b32_e32 v27, 0xffff0000, v29
	v_add3_u32 v35, v35, v32, 0x7fff
	v_add_f32_e32 v27, v27, v28
	v_cndmask_b32_e32 v32, v35, v36, vcc_lo
	v_lshlrev_b32_e32 v35, 16, v44
	v_add_f32_e32 v26, v26, v27
	v_and_b32_e32 v28, 0xffff0000, v32
	v_mul_f32_e32 v35, v5, v35
	v_bfe_u32 v36, v35, 16, 1
	v_or_b32_e32 v37, 0x400000, v35
	v_cmp_u_f32_e32 vcc_lo, v35, v35
	v_add3_u32 v36, v36, v35, 0x7fff
	v_cndmask_b32_e32 v35, v36, v37, vcc_lo
	v_lshlrev_b32_e32 v36, 16, v47
	v_and_b32_e32 v27, 0xffff0000, v35
	v_mul_f32_e32 v36, v2, v36
	v_add_f32_e32 v27, v27, v28
	v_bfe_u32 v37, v36, 16, 1
	v_or_b32_e32 v38, 0x400000, v36
	v_cmp_u_f32_e32 vcc_lo, v36, v36
	v_add_f32_e32 v26, v26, v27
	v_add3_u32 v37, v37, v36, 0x7fff
	v_cndmask_b32_e32 v36, v37, v38, vcc_lo
	v_lshlrev_b32_e32 v37, 16, v87
	v_and_b32_e32 v28, 0xffff0000, v36
	v_mul_f32_e32 v37, v3, v37
	v_bfe_u32 v38, v37, 16, 1
	v_or_b32_e32 v39, 0x400000, v37
	v_cmp_u_f32_e32 vcc_lo, v37, v37
	v_add3_u32 v38, v38, v37, 0x7fff
	v_cndmask_b32_e32 v37, v38, v39, vcc_lo
	v_and_b32_e32 v27, 0xffff0000, v37
	v_add_f32_e32 v27, v27, v28
	v_add_f32_e32 v26, v26, v27
	buffer_load_dword v27, off, s[0:3], s32 offset:596 ; 4-byte Folded Reload
	s_waitcnt vmcnt(0)
	v_add_f32_e32 v27, v27, v26
	v_lshlrev_b32_e32 v26, 16, v118
	buffer_store_dword v27, off, s[0:3], s32 offset:596 ; 4-byte Folded Spill
	v_mul_f32_e32 v26, v8, v26
	v_bfe_u32 v27, v26, 16, 1
	v_or_b32_e32 v28, 0x400000, v26
	v_cmp_u_f32_e32 vcc_lo, v26, v26
	v_add3_u32 v27, v27, v26, 0x7fff
	v_cndmask_b32_e32 v26, v27, v28, vcc_lo
	v_lshlrev_b32_e32 v27, 16, v43
	v_and_b32_e32 v26, 0xffff0000, v26
	v_mul_f32_e32 v27, v9, v27
	v_bfe_u32 v28, v27, 16, 1
	v_or_b32_e32 v29, 0x400000, v27
	v_cmp_u_f32_e32 vcc_lo, v27, v27
	v_add3_u32 v28, v28, v27, 0x7fff
	v_cndmask_b32_e32 v27, v28, v29, vcc_lo
	v_lshlrev_b32_e32 v28, 16, v117
	v_and_b32_e32 v27, 0xffff0000, v27
	v_mul_f32_e32 v28, v6, v28
	v_add_f32_e32 v26, v27, v26
	v_bfe_u32 v29, v28, 16, 1
	v_or_b32_e32 v32, 0x400000, v28
	v_cmp_u_f32_e32 vcc_lo, v28, v28
	v_add3_u32 v29, v29, v28, 0x7fff
	v_cndmask_b32_e32 v28, v29, v32, vcc_lo
	v_lshlrev_b32_e32 v29, 16, v93
	v_and_b32_e32 v28, 0xffff0000, v28
	v_mul_f32_e32 v29, v7, v29
	v_bfe_u32 v32, v29, 16, 1
	v_or_b32_e32 v35, 0x400000, v29
	v_cmp_u_f32_e32 vcc_lo, v29, v29
	v_add3_u32 v32, v32, v29, 0x7fff
	v_cndmask_b32_e32 v29, v32, v35, vcc_lo
	v_lshlrev_b32_e32 v32, 16, v115
	v_and_b32_e32 v27, 0xffff0000, v29
	v_mul_f32_e32 v32, v4, v32
	v_add_f32_e32 v27, v27, v28
	v_bfe_u32 v35, v32, 16, 1
	v_or_b32_e32 v36, 0x400000, v32
	v_cmp_u_f32_e32 vcc_lo, v32, v32
	v_add_f32_e32 v26, v26, v27
	v_add3_u32 v35, v35, v32, 0x7fff
	v_cndmask_b32_e32 v32, v35, v36, vcc_lo
	v_lshlrev_b32_e32 v35, 16, v116
	v_and_b32_e32 v28, 0xffff0000, v32
	v_mul_f32_e32 v35, v5, v35
	v_bfe_u32 v36, v35, 16, 1
	v_or_b32_e32 v37, 0x400000, v35
	v_cmp_u_f32_e32 vcc_lo, v35, v35
	v_add3_u32 v36, v36, v35, 0x7fff
	v_cndmask_b32_e32 v35, v36, v37, vcc_lo
	v_lshlrev_b32_e32 v36, 16, v42
	v_and_b32_e32 v27, 0xffff0000, v35
	v_mul_f32_e32 v36, v2, v36
	v_add_f32_e32 v27, v27, v28
	v_bfe_u32 v37, v36, 16, 1
	v_or_b32_e32 v38, 0x400000, v36
	v_cmp_u_f32_e32 vcc_lo, v36, v36
	v_add_f32_e32 v26, v26, v27
	v_add3_u32 v37, v37, v36, 0x7fff
	v_cndmask_b32_e32 v36, v37, v38, vcc_lo
	v_lshlrev_b32_e32 v37, 16, v40
	v_and_b32_e32 v28, 0xffff0000, v36
	v_mul_f32_e32 v37, v3, v37
	v_bfe_u32 v38, v37, 16, 1
	v_or_b32_e32 v39, 0x400000, v37
	v_cmp_u_f32_e32 vcc_lo, v37, v37
	v_add3_u32 v38, v38, v37, 0x7fff
	v_cndmask_b32_e32 v37, v38, v39, vcc_lo
	v_and_b32_e32 v27, 0xffff0000, v37
	v_add_f32_e32 v27, v27, v28
	v_add_f32_e32 v26, v26, v27
	buffer_load_dword v27, off, s[0:3], s32 offset:600 ; 4-byte Folded Reload
	s_waitcnt vmcnt(0)
	v_add_f32_e32 v27, v27, v26
	v_lshlrev_b32_e32 v26, 16, v103
	buffer_store_dword v27, off, s[0:3], s32 offset:600 ; 4-byte Folded Spill
	v_mul_f32_e32 v26, v8, v26
	v_bfe_u32 v27, v26, 16, 1
	v_or_b32_e32 v28, 0x400000, v26
	v_cmp_u_f32_e32 vcc_lo, v26, v26
	v_add3_u32 v27, v27, v26, 0x7fff
	v_cndmask_b32_e32 v26, v27, v28, vcc_lo
	v_lshlrev_b32_e32 v27, 16, v113
	v_and_b32_e32 v26, 0xffff0000, v26
	v_mul_f32_e32 v27, v9, v27
	v_bfe_u32 v28, v27, 16, 1
	v_or_b32_e32 v29, 0x400000, v27
	v_cmp_u_f32_e32 vcc_lo, v27, v27
	v_add3_u32 v28, v28, v27, 0x7fff
	v_cndmask_b32_e32 v27, v28, v29, vcc_lo
	v_lshlrev_b32_e32 v28, 16, v101
	v_and_b32_e32 v27, 0xffff0000, v27
	v_mul_f32_e32 v28, v6, v28
	v_add_f32_e32 v26, v27, v26
	v_bfe_u32 v29, v28, 16, 1
	v_or_b32_e32 v32, 0x400000, v28
	v_cmp_u_f32_e32 vcc_lo, v28, v28
	v_add3_u32 v29, v29, v28, 0x7fff
	v_cndmask_b32_e32 v28, v29, v32, vcc_lo
	v_lshlrev_b32_e32 v29, 16, v102
	v_and_b32_e32 v28, 0xffff0000, v28
	v_mul_f32_e32 v29, v7, v29
	v_bfe_u32 v32, v29, 16, 1
	v_or_b32_e32 v35, 0x400000, v29
	v_cmp_u_f32_e32 vcc_lo, v29, v29
	v_add3_u32 v32, v32, v29, 0x7fff
	v_cndmask_b32_e32 v29, v32, v35, vcc_lo
	v_lshlrev_b32_e32 v32, 16, v99
	v_and_b32_e32 v27, 0xffff0000, v29
	v_mul_f32_e32 v32, v4, v32
	v_add_f32_e32 v27, v27, v28
	v_bfe_u32 v35, v32, 16, 1
	v_or_b32_e32 v36, 0x400000, v32
	v_cmp_u_f32_e32 vcc_lo, v32, v32
	v_add_f32_e32 v26, v26, v27
	v_add3_u32 v35, v35, v32, 0x7fff
	v_cndmask_b32_e32 v32, v35, v36, vcc_lo
	v_lshlrev_b32_e32 v35, 16, v100
	v_and_b32_e32 v28, 0xffff0000, v32
	v_mul_f32_e32 v35, v5, v35
	v_bfe_u32 v36, v35, 16, 1
	v_or_b32_e32 v37, 0x400000, v35
	v_cmp_u_f32_e32 vcc_lo, v35, v35
	v_add3_u32 v36, v36, v35, 0x7fff
	v_cndmask_b32_e32 v35, v36, v37, vcc_lo
	v_lshlrev_b32_e32 v36, 16, v114
	v_and_b32_e32 v27, 0xffff0000, v35
	v_mul_f32_e32 v36, v2, v36
	v_add_f32_e32 v27, v27, v28
	v_bfe_u32 v37, v36, 16, 1
	v_or_b32_e32 v38, 0x400000, v36
	v_cmp_u_f32_e32 vcc_lo, v36, v36
	v_add_f32_e32 v26, v26, v27
	v_add3_u32 v37, v37, v36, 0x7fff
	v_cndmask_b32_e32 v36, v37, v38, vcc_lo
	v_lshlrev_b32_e32 v37, 16, v112
	v_and_b32_e32 v28, 0xffff0000, v36
	v_mul_f32_e32 v37, v3, v37
	v_bfe_u32 v38, v37, 16, 1
	v_or_b32_e32 v39, 0x400000, v37
	v_cmp_u_f32_e32 vcc_lo, v37, v37
	v_add3_u32 v38, v38, v37, 0x7fff
	v_cndmask_b32_e32 v37, v38, v39, vcc_lo
	v_cmp_u_f32_e32 vcc_lo, v25, v25
	v_and_b32_e32 v27, 0xffff0000, v37
	v_add_f32_e32 v27, v27, v28
	v_add_f32_e32 v26, v26, v27
	buffer_load_dword v27, off, s[0:3], s32 offset:604 ; 4-byte Folded Reload
	s_waitcnt vmcnt(0)
	v_add_f32_e32 v27, v27, v26
	v_bfe_u32 v26, v25, 16, 1
	buffer_store_dword v27, off, s[0:3], s32 offset:604 ; 4-byte Folded Spill
	v_add3_u32 v26, v26, v25, 0x7fff
	v_or_b32_e32 v27, 0x400000, v25
	v_cndmask_b32_e32 v25, v26, v27, vcc_lo
	v_lshlrev_b32_e32 v26, 16, v96
	v_and_b32_e32 v25, 0xffff0000, v25
	v_mul_f32_e32 v26, v9, v26
	v_bfe_u32 v27, v26, 16, 1
	v_or_b32_e32 v28, 0x400000, v26
	v_cmp_u_f32_e32 vcc_lo, v26, v26
	v_add3_u32 v27, v27, v26, 0x7fff
	v_cndmask_b32_e32 v26, v27, v28, vcc_lo
	v_bfe_u32 v27, v17, 16, 1
	v_or_b32_e32 v28, 0x400000, v17
	v_cmp_u_f32_e32 vcc_lo, v17, v17
	v_and_b32_e32 v26, 0xffff0000, v26
	v_add3_u32 v27, v27, v17, 0x7fff
	v_add_f32_e32 v25, v26, v25
	v_cndmask_b32_e32 v17, v27, v28, vcc_lo
	v_bfe_u32 v27, v18, 16, 1
	v_or_b32_e32 v28, 0x400000, v18
	v_cmp_u_f32_e32 vcc_lo, v18, v18
	v_and_b32_e32 v17, 0xffff0000, v17
	v_add3_u32 v27, v27, v18, 0x7fff
	v_cndmask_b32_e32 v18, v27, v28, vcc_lo
	v_bfe_u32 v27, v12, 16, 1
	v_or_b32_e32 v28, 0x400000, v12
	v_cmp_u_f32_e32 vcc_lo, v12, v12
	v_and_b32_e32 v18, 0xffff0000, v18
	v_add3_u32 v27, v27, v12, 0x7fff
	v_add_f32_e32 v17, v18, v17
	v_cndmask_b32_e32 v12, v27, v28, vcc_lo
	v_bfe_u32 v27, v13, 16, 1
	v_or_b32_e32 v28, 0x400000, v13
	v_cmp_u_f32_e32 vcc_lo, v13, v13
	v_add_f32_e32 v17, v25, v17
	v_and_b32_e32 v12, 0xffff0000, v12
	v_add3_u32 v27, v27, v13, 0x7fff
	v_cndmask_b32_e32 v13, v27, v28, vcc_lo
	v_lshlrev_b32_e32 v27, 16, v97
	v_and_b32_e32 v13, 0xffff0000, v13
	v_mul_f32_e32 v27, v2, v27
	v_add_f32_e32 v12, v13, v12
	v_bfe_u32 v28, v27, 16, 1
	v_or_b32_e32 v29, 0x400000, v27
	v_cmp_u_f32_e32 vcc_lo, v27, v27
	v_add_f32_e32 v12, v17, v12
	v_add3_u32 v28, v28, v27, 0x7fff
	v_cndmask_b32_e32 v27, v28, v29, vcc_lo
	v_lshlrev_b32_e32 v28, 16, v34
	v_and_b32_e32 v17, 0xffff0000, v27
	v_mul_f32_e32 v28, v3, v28
	v_bfe_u32 v29, v28, 16, 1
	v_or_b32_e32 v32, 0x400000, v28
	v_cmp_u_f32_e32 vcc_lo, v28, v28
	v_add3_u32 v29, v29, v28, 0x7fff
	v_cndmask_b32_e32 v28, v29, v32, vcc_lo
	v_and_b32_e32 v13, 0xffff0000, v28
	v_add_f32_e32 v13, v13, v17
	v_add_f32_e32 v12, v12, v13
	buffer_load_dword v13, off, s[0:3], s32 offset:608 ; 4-byte Folded Reload
	s_waitcnt vmcnt(0)
	v_add_f32_e32 v13, v13, v12
	v_lshlrev_b32_e32 v12, 16, v30
	buffer_store_dword v13, off, s[0:3], s32 offset:608 ; 4-byte Folded Spill
	v_mul_f32_e32 v12, v8, v12
	v_bfe_u32 v13, v12, 16, 1
	v_or_b32_e32 v17, 0x400000, v12
	v_cmp_u_f32_e32 vcc_lo, v12, v12
	v_add3_u32 v13, v13, v12, 0x7fff
	v_cndmask_b32_e32 v12, v13, v17, vcc_lo
	v_lshlrev_b32_e32 v13, 16, v81
	v_and_b32_e32 v12, 0xffff0000, v12
	v_mul_f32_e32 v13, v9, v13
	v_bfe_u32 v17, v13, 16, 1
	v_or_b32_e32 v18, 0x400000, v13
	v_cmp_u_f32_e32 vcc_lo, v13, v13
	v_add3_u32 v17, v17, v13, 0x7fff
	v_cndmask_b32_e32 v13, v17, v18, vcc_lo
	v_bfe_u32 v17, v0, 16, 1
	v_or_b32_e32 v18, 0x400000, v0
	v_cmp_u_f32_e32 vcc_lo, v0, v0
	v_and_b32_e32 v13, 0xffff0000, v13
	v_add3_u32 v17, v17, v0, 0x7fff
	v_add_f32_e32 v12, v13, v12
	v_cndmask_b32_e32 v0, v17, v18, vcc_lo
	v_lshlrev_b32_e32 v17, 16, v31
	v_and_b32_e32 v0, 0xffff0000, v0
	v_mul_f32_e32 v17, v7, v17
	v_bfe_u32 v18, v17, 16, 1
	v_or_b32_e32 v25, 0x400000, v17
	v_cmp_u_f32_e32 vcc_lo, v17, v17
	v_add3_u32 v18, v18, v17, 0x7fff
	v_cndmask_b32_e32 v17, v18, v25, vcc_lo
	v_lshlrev_b32_e32 v18, 16, v33
	v_and_b32_e32 v13, 0xffff0000, v17
	v_mul_f32_e32 v18, v4, v18
	v_add_f32_e32 v0, v13, v0
	v_bfe_u32 v25, v18, 16, 1
	v_or_b32_e32 v26, 0x400000, v18
	v_cmp_u_f32_e32 vcc_lo, v18, v18
	v_add_f32_e32 v0, v12, v0
	v_add3_u32 v25, v25, v18, 0x7fff
	v_cndmask_b32_e32 v18, v25, v26, vcc_lo
	v_bfe_u32 v25, v1, 16, 1
	v_or_b32_e32 v26, 0x400000, v1
	v_cmp_u_f32_e32 vcc_lo, v1, v1
	v_and_b32_e32 v12, 0xffff0000, v18
	v_add3_u32 v25, v25, v1, 0x7fff
	v_cndmask_b32_e32 v1, v25, v26, vcc_lo
	v_lshlrev_b32_e32 v25, 16, v82
	v_and_b32_e32 v1, 0xffff0000, v1
	v_mul_f32_e32 v25, v2, v25
	v_add_f32_e32 v1, v1, v12
	v_bfe_u32 v26, v25, 16, 1
	v_or_b32_e32 v27, 0x400000, v25
	v_cmp_u_f32_e32 vcc_lo, v25, v25
	v_add_f32_e32 v0, v0, v1
	v_add3_u32 v26, v26, v25, 0x7fff
	v_cndmask_b32_e32 v25, v26, v27, vcc_lo
	v_lshlrev_b32_e32 v26, 16, v80
	v_and_b32_e32 v12, 0xffff0000, v25
	v_mul_f32_e32 v26, v3, v26
	v_bfe_u32 v27, v26, 16, 1
	v_or_b32_e32 v28, 0x400000, v26
	v_cmp_u_f32_e32 vcc_lo, v26, v26
	v_add3_u32 v27, v27, v26, 0x7fff
	v_cndmask_b32_e32 v26, v27, v28, vcc_lo
	v_and_b32_e32 v1, 0xffff0000, v26
	v_add_f32_e32 v1, v1, v12
	v_add_f32_e32 v0, v0, v1
	buffer_load_dword v1, off, s[0:3], s32 offset:612 ; 4-byte Folded Reload
	s_waitcnt vmcnt(0)
	v_add_f32_e32 v1, v1, v0
	v_lshlrev_b32_e32 v0, 16, v125
	buffer_store_dword v1, off, s[0:3], s32 offset:612 ; 4-byte Folded Spill
	v_mul_f32_e32 v0, v8, v0
	v_bfe_u32 v1, v0, 16, 1
	v_or_b32_e32 v12, 0x400000, v0
	v_cmp_u_f32_e32 vcc_lo, v0, v0
	v_add3_u32 v1, v1, v0, 0x7fff
	v_cndmask_b32_e32 v0, v1, v12, vcc_lo
	v_lshlrev_b32_e32 v1, 16, v92
	v_and_b32_e32 v0, 0xffff0000, v0
	v_mul_f32_e32 v1, v9, v1
	v_bfe_u32 v12, v1, 16, 1
	v_or_b32_e32 v13, 0x400000, v1
	v_cmp_u_f32_e32 vcc_lo, v1, v1
	v_add3_u32 v12, v12, v1, 0x7fff
	v_cndmask_b32_e32 v1, v12, v13, vcc_lo
	v_lshlrev_b32_e32 v12, 16, v122
	v_and_b32_e32 v1, 0xffff0000, v1
	v_mul_f32_e32 v12, v6, v12
	v_add_f32_e32 v0, v1, v0
	v_bfe_u32 v13, v12, 16, 1
	v_or_b32_e32 v17, 0x400000, v12
	v_cmp_u_f32_e32 vcc_lo, v12, v12
	v_add3_u32 v13, v13, v12, 0x7fff
	v_cndmask_b32_e32 v12, v13, v17, vcc_lo
	v_lshlrev_b32_e32 v13, 16, v124
	v_and_b32_e32 v12, 0xffff0000, v12
	v_mul_f32_e32 v13, v7, v13
	v_bfe_u32 v17, v13, 16, 1
	v_or_b32_e32 v18, 0x400000, v13
	v_cmp_u_f32_e32 vcc_lo, v13, v13
	v_add3_u32 v17, v17, v13, 0x7fff
	v_cndmask_b32_e32 v13, v17, v18, vcc_lo
	v_lshlrev_b32_e32 v17, 16, v120
	v_and_b32_e32 v1, 0xffff0000, v13
	v_mul_f32_e32 v17, v4, v17
	v_add_f32_e32 v1, v1, v12
	v_bfe_u32 v18, v17, 16, 1
	v_or_b32_e32 v25, 0x400000, v17
	v_cmp_u_f32_e32 vcc_lo, v17, v17
	v_add_f32_e32 v0, v0, v1
	v_add3_u32 v18, v18, v17, 0x7fff
	v_cndmask_b32_e32 v17, v18, v25, vcc_lo
	v_lshlrev_b32_e32 v18, 16, v121
	v_and_b32_e32 v12, 0xffff0000, v17
	v_mul_f32_e32 v18, v5, v18
	v_bfe_u32 v25, v18, 16, 1
	v_or_b32_e32 v26, 0x400000, v18
	v_cmp_u_f32_e32 vcc_lo, v18, v18
	v_add3_u32 v25, v25, v18, 0x7fff
	v_cndmask_b32_e32 v18, v25, v26, vcc_lo
	v_lshlrev_b32_e32 v25, 16, v123
	v_and_b32_e32 v1, 0xffff0000, v18
	v_mul_f32_e32 v25, v2, v25
	v_add_f32_e32 v1, v1, v12
	v_bfe_u32 v26, v25, 16, 1
	v_or_b32_e32 v27, 0x400000, v25
	v_cmp_u_f32_e32 vcc_lo, v25, v25
	v_add_f32_e32 v0, v0, v1
	v_add3_u32 v26, v26, v25, 0x7fff
	v_cndmask_b32_e32 v25, v26, v27, vcc_lo
	v_lshlrev_b32_e32 v26, 16, v41
	v_and_b32_e32 v12, 0xffff0000, v25
	v_mul_f32_e32 v26, v3, v26
	v_bfe_u32 v27, v26, 16, 1
	v_or_b32_e32 v28, 0x400000, v26
	v_cmp_u_f32_e32 vcc_lo, v26, v26
	v_add3_u32 v27, v27, v26, 0x7fff
	v_cndmask_b32_e32 v26, v27, v28, vcc_lo
	v_and_b32_e32 v1, 0xffff0000, v26
	v_add_f32_e32 v1, v1, v12
	v_add_f32_e32 v0, v0, v1
	buffer_load_dword v1, off, s[0:3], s32 offset:616 ; 4-byte Folded Reload
	s_waitcnt vmcnt(0)
	v_add_f32_e32 v1, v1, v0
	v_lshlrev_b32_e32 v0, 16, v94
	buffer_store_dword v1, off, s[0:3], s32 offset:616 ; 4-byte Folded Spill
	v_mul_f32_e32 v0, v8, v0
	v_bfe_u32 v1, v0, 16, 1
	v_or_b32_e32 v12, 0x400000, v0
	v_cmp_u_f32_e32 vcc_lo, v0, v0
	v_add3_u32 v1, v1, v0, 0x7fff
	v_cndmask_b32_e32 v0, v1, v12, vcc_lo
	v_lshlrev_b32_e32 v1, 16, v95
	v_and_b32_e32 v0, 0xffff0000, v0
	v_mul_f32_e32 v1, v9, v1
	v_bfe_u32 v12, v1, 16, 1
	v_or_b32_e32 v13, 0x400000, v1
	v_cmp_u_f32_e32 vcc_lo, v1, v1
	v_add3_u32 v12, v12, v1, 0x7fff
	v_cndmask_b32_e32 v1, v12, v13, vcc_lo
	v_lshlrev_b32_e32 v12, 16, v119
	v_and_b32_e32 v1, 0xffff0000, v1
	v_mul_f32_e32 v12, v6, v12
	v_add_f32_e32 v0, v1, v0
	v_bfe_u32 v13, v12, 16, 1
	v_or_b32_e32 v17, 0x400000, v12
	v_cmp_u_f32_e32 vcc_lo, v12, v12
	v_add3_u32 v13, v13, v12, 0x7fff
	v_cndmask_b32_e32 v12, v13, v17, vcc_lo
	v_lshlrev_b32_e32 v13, 16, v90
	v_and_b32_e32 v12, 0xffff0000, v12
	v_mul_f32_e32 v13, v7, v13
	v_bfe_u32 v17, v13, 16, 1
	v_or_b32_e32 v18, 0x400000, v13
	v_cmp_u_f32_e32 vcc_lo, v13, v13
	v_add3_u32 v17, v17, v13, 0x7fff
	v_cndmask_b32_e32 v13, v17, v18, vcc_lo
	v_lshlrev_b32_e32 v17, 16, v23
	v_and_b32_e32 v1, 0xffff0000, v13
	v_mul_f32_e32 v17, v4, v17
	v_add_f32_e32 v1, v1, v12
	v_bfe_u32 v18, v17, 16, 1
	v_or_b32_e32 v23, 0x400000, v17
	v_cmp_u_f32_e32 vcc_lo, v17, v17
	v_add_f32_e32 v0, v0, v1
	v_add3_u32 v18, v18, v17, 0x7fff
	v_cndmask_b32_e32 v17, v18, v23, vcc_lo
	v_lshlrev_b32_e32 v18, 16, v24
	v_and_b32_e32 v12, 0xffff0000, v17
	v_mul_f32_e32 v18, v5, v18
	v_bfe_u32 v23, v18, 16, 1
	v_or_b32_e32 v24, 0x400000, v18
	v_cmp_u_f32_e32 vcc_lo, v18, v18
	v_add3_u32 v23, v23, v18, 0x7fff
	v_cndmask_b32_e32 v18, v23, v24, vcc_lo
	v_lshlrev_b32_e32 v23, 16, v104
	v_and_b32_e32 v1, 0xffff0000, v18
	v_mul_f32_e32 v23, v2, v23
	v_add_f32_e32 v1, v1, v12
	v_bfe_u32 v24, v23, 16, 1
	v_or_b32_e32 v25, 0x400000, v23
	v_cmp_u_f32_e32 vcc_lo, v23, v23
	v_add_f32_e32 v0, v0, v1
	v_add3_u32 v24, v24, v23, 0x7fff
	v_cndmask_b32_e32 v23, v24, v25, vcc_lo
	v_lshlrev_b32_e32 v24, 16, v127
	v_and_b32_e32 v12, 0xffff0000, v23
	v_mul_f32_e32 v24, v3, v24
	v_bfe_u32 v25, v24, 16, 1
	v_or_b32_e32 v26, 0x400000, v24
	v_cmp_u_f32_e32 vcc_lo, v24, v24
	v_add3_u32 v25, v25, v24, 0x7fff
	v_cndmask_b32_e32 v24, v25, v26, vcc_lo
	v_and_b32_e32 v1, 0xffff0000, v24
	v_add_f32_e32 v1, v1, v12
	v_add_f32_e32 v0, v0, v1
	buffer_load_dword v1, off, s[0:3], s32 offset:620 ; 4-byte Folded Reload
	s_waitcnt vmcnt(0)
	v_add_f32_e32 v1, v1, v0
	v_lshlrev_b32_e32 v0, 16, v78
	buffer_store_dword v1, off, s[0:3], s32 offset:620 ; 4-byte Folded Spill
	v_mul_f32_e32 v0, v8, v0
	v_bfe_u32 v1, v0, 16, 1
	v_or_b32_e32 v12, 0x400000, v0
	v_cmp_u_f32_e32 vcc_lo, v0, v0
	v_add3_u32 v1, v1, v0, 0x7fff
	v_cndmask_b32_e32 v0, v1, v12, vcc_lo
	v_lshlrev_b32_e32 v1, 16, v126
	v_and_b32_e32 v0, 0xffff0000, v0
	v_mul_f32_e32 v1, v9, v1
	v_bfe_u32 v12, v1, 16, 1
	v_or_b32_e32 v13, 0x400000, v1
	v_cmp_u_f32_e32 vcc_lo, v1, v1
	v_add3_u32 v12, v12, v1, 0x7fff
	v_cndmask_b32_e32 v1, v12, v13, vcc_lo
	v_lshlrev_b32_e32 v12, 16, v76
	v_and_b32_e32 v1, 0xffff0000, v1
	v_mul_f32_e32 v12, v6, v12
	v_add_f32_e32 v0, v1, v0
	v_bfe_u32 v13, v12, 16, 1
	v_or_b32_e32 v17, 0x400000, v12
	v_cmp_u_f32_e32 vcc_lo, v12, v12
	v_add3_u32 v13, v13, v12, 0x7fff
	v_cndmask_b32_e32 v12, v13, v17, vcc_lo
	v_lshlrev_b32_e32 v13, 16, v77
	v_and_b32_e32 v12, 0xffff0000, v12
	v_mul_f32_e32 v13, v7, v13
	v_bfe_u32 v17, v13, 16, 1
	v_or_b32_e32 v18, 0x400000, v13
	v_cmp_u_f32_e32 vcc_lo, v13, v13
	v_add3_u32 v17, v17, v13, 0x7fff
	v_cndmask_b32_e32 v13, v17, v18, vcc_lo
	v_lshlrev_b32_e32 v17, 16, v74
	v_and_b32_e32 v1, 0xffff0000, v13
	v_mul_f32_e32 v17, v4, v17
	v_add_f32_e32 v1, v1, v12
	v_bfe_u32 v18, v17, 16, 1
	v_or_b32_e32 v23, 0x400000, v17
	v_cmp_u_f32_e32 vcc_lo, v17, v17
	v_add_f32_e32 v0, v0, v1
	v_add3_u32 v18, v18, v17, 0x7fff
	v_cndmask_b32_e32 v17, v18, v23, vcc_lo
	v_lshlrev_b32_e32 v18, 16, v75
	v_and_b32_e32 v12, 0xffff0000, v17
	v_mul_f32_e32 v18, v5, v18
	v_bfe_u32 v23, v18, 16, 1
	v_or_b32_e32 v24, 0x400000, v18
	v_cmp_u_f32_e32 vcc_lo, v18, v18
	v_add3_u32 v23, v23, v18, 0x7fff
	v_cndmask_b32_e32 v18, v23, v24, vcc_lo
	v_lshlrev_b32_e32 v23, 16, v89
	v_and_b32_e32 v1, 0xffff0000, v18
	v_mul_f32_e32 v23, v2, v23
	v_add_f32_e32 v1, v1, v12
	v_bfe_u32 v24, v23, 16, 1
	v_or_b32_e32 v25, 0x400000, v23
	v_cmp_u_f32_e32 vcc_lo, v23, v23
	v_add_f32_e32 v0, v0, v1
	v_add3_u32 v24, v24, v23, 0x7fff
	v_cndmask_b32_e32 v23, v24, v25, vcc_lo
	v_lshlrev_b32_e32 v24, 16, v79
	v_and_b32_e32 v12, 0xffff0000, v23
	v_mul_f32_e32 v24, v3, v24
	v_bfe_u32 v25, v24, 16, 1
	v_or_b32_e32 v26, 0x400000, v24
	v_cmp_u_f32_e32 vcc_lo, v24, v24
	v_add3_u32 v25, v25, v24, 0x7fff
	v_cndmask_b32_e32 v24, v25, v26, vcc_lo
	v_and_b32_e32 v1, 0xffff0000, v24
	v_add_f32_e32 v1, v1, v12
	v_add_f32_e32 v0, v0, v1
	buffer_load_dword v1, off, s[0:3], s32 offset:624 ; 4-byte Folded Reload
	s_waitcnt vmcnt(0)
	v_add_f32_e32 v1, v1, v0
	v_lshlrev_b32_e32 v0, 16, v62
	buffer_store_dword v1, off, s[0:3], s32 offset:624 ; 4-byte Folded Spill
	v_mul_f32_e32 v0, v8, v0
	v_bfe_u32 v1, v0, 16, 1
	v_or_b32_e32 v12, 0x400000, v0
	v_cmp_u_f32_e32 vcc_lo, v0, v0
	v_add3_u32 v1, v1, v0, 0x7fff
	v_cndmask_b32_e32 v0, v1, v12, vcc_lo
	v_lshlrev_b32_e32 v1, 16, v72
	v_and_b32_e32 v0, 0xffff0000, v0
	v_mul_f32_e32 v1, v9, v1
	v_bfe_u32 v12, v1, 16, 1
	v_or_b32_e32 v13, 0x400000, v1
	v_cmp_u_f32_e32 vcc_lo, v1, v1
	v_add3_u32 v12, v12, v1, 0x7fff
	v_cndmask_b32_e32 v1, v12, v13, vcc_lo
	v_lshlrev_b32_e32 v12, 16, v60
	v_and_b32_e32 v1, 0xffff0000, v1
	v_mul_f32_e32 v12, v6, v12
	v_add_f32_e32 v0, v1, v0
	v_bfe_u32 v13, v12, 16, 1
	v_or_b32_e32 v17, 0x400000, v12
	v_cmp_u_f32_e32 vcc_lo, v12, v12
	v_add3_u32 v13, v13, v12, 0x7fff
	v_cndmask_b32_e32 v12, v13, v17, vcc_lo
	v_lshlrev_b32_e32 v13, 16, v61
	v_and_b32_e32 v12, 0xffff0000, v12
	v_mul_f32_e32 v13, v7, v13
	v_bfe_u32 v17, v13, 16, 1
	v_or_b32_e32 v18, 0x400000, v13
	v_cmp_u_f32_e32 vcc_lo, v13, v13
	v_add3_u32 v17, v17, v13, 0x7fff
	v_cndmask_b32_e32 v13, v17, v18, vcc_lo
	v_lshlrev_b32_e32 v17, 16, v58
	v_and_b32_e32 v1, 0xffff0000, v13
	v_mul_f32_e32 v17, v4, v17
	v_add_f32_e32 v1, v1, v12
	v_bfe_u32 v18, v17, 16, 1
	v_or_b32_e32 v23, 0x400000, v17
	v_cmp_u_f32_e32 vcc_lo, v17, v17
	v_add_f32_e32 v0, v0, v1
	v_add3_u32 v18, v18, v17, 0x7fff
	v_cndmask_b32_e32 v17, v18, v23, vcc_lo
	v_lshlrev_b32_e32 v18, 16, v59
	v_and_b32_e32 v12, 0xffff0000, v17
	v_mul_f32_e32 v18, v5, v18
	v_bfe_u32 v23, v18, 16, 1
	v_or_b32_e32 v24, 0x400000, v18
	v_cmp_u_f32_e32 vcc_lo, v18, v18
	v_add3_u32 v23, v23, v18, 0x7fff
	v_cndmask_b32_e32 v18, v23, v24, vcc_lo
	v_lshlrev_b32_e32 v23, 16, v73
	v_and_b32_e32 v1, 0xffff0000, v18
	v_mul_f32_e32 v23, v2, v23
	v_add_f32_e32 v1, v1, v12
	v_bfe_u32 v24, v23, 16, 1
	v_or_b32_e32 v25, 0x400000, v23
	v_cmp_u_f32_e32 vcc_lo, v23, v23
	v_add_f32_e32 v0, v0, v1
	v_add3_u32 v24, v24, v23, 0x7fff
	v_cndmask_b32_e32 v23, v24, v25, vcc_lo
	v_lshlrev_b32_e32 v24, 16, v63
	v_and_b32_e32 v12, 0xffff0000, v23
	v_mul_f32_e32 v24, v3, v24
	v_bfe_u32 v25, v24, 16, 1
	v_or_b32_e32 v26, 0x400000, v24
	v_cmp_u_f32_e32 vcc_lo, v24, v24
	v_add3_u32 v25, v25, v24, 0x7fff
	v_cndmask_b32_e32 v24, v25, v26, vcc_lo
	v_and_b32_e32 v1, 0xffff0000, v24
	v_add_f32_e32 v1, v1, v12
	v_add_f32_e32 v0, v0, v1
	buffer_load_dword v1, off, s[0:3], s32 offset:628 ; 4-byte Folded Reload
	s_waitcnt vmcnt(0)
	v_add_f32_e32 v1, v1, v0
	buffer_load_dword v0, off, s[0:3], s32 offset:568 ; 4-byte Folded Reload
	buffer_store_dword v1, off, s[0:3], s32 offset:628 ; 4-byte Folded Spill
	s_waitcnt vmcnt(0)
	v_lshlrev_b32_e32 v0, 16, v0
	v_mul_f32_e32 v0, v8, v0
	v_bfe_u32 v1, v0, 16, 1
	v_or_b32_e32 v12, 0x400000, v0
	v_cmp_u_f32_e32 vcc_lo, v0, v0
	v_add3_u32 v1, v1, v0, 0x7fff
	v_cndmask_b32_e32 v0, v1, v12, vcc_lo
	buffer_load_dword v1, off, s[0:3], s32 offset:576 ; 4-byte Folded Reload
	v_and_b32_e32 v0, 0xffff0000, v0
	s_waitcnt vmcnt(0)
	v_lshlrev_b32_e32 v1, 16, v1
	v_mul_f32_e32 v1, v9, v1
	v_bfe_u32 v12, v1, 16, 1
	v_or_b32_e32 v13, 0x400000, v1
	v_cmp_u_f32_e32 vcc_lo, v1, v1
	v_add3_u32 v12, v12, v1, 0x7fff
	v_cndmask_b32_e32 v1, v12, v13, vcc_lo
	buffer_load_dword v12, off, s[0:3], s32 offset:560 ; 4-byte Folded Reload
	v_and_b32_e32 v1, 0xffff0000, v1
	v_add_f32_e32 v0, v1, v0
	s_waitcnt vmcnt(0)
	v_lshlrev_b32_e32 v12, 16, v12
	v_mul_f32_e32 v12, v6, v12
	v_bfe_u32 v13, v12, 16, 1
	v_or_b32_e32 v17, 0x400000, v12
	v_cmp_u_f32_e32 vcc_lo, v12, v12
	v_add3_u32 v13, v13, v12, 0x7fff
	v_cndmask_b32_e32 v12, v13, v17, vcc_lo
	buffer_load_dword v13, off, s[0:3], s32 offset:564 ; 4-byte Folded Reload
	v_and_b32_e32 v12, 0xffff0000, v12
	s_waitcnt vmcnt(0)
	v_lshlrev_b32_e32 v13, 16, v13
	v_mul_f32_e32 v13, v7, v13
	v_bfe_u32 v17, v13, 16, 1
	v_or_b32_e32 v18, 0x400000, v13
	v_cmp_u_f32_e32 vcc_lo, v13, v13
	v_add3_u32 v17, v17, v13, 0x7fff
	v_cndmask_b32_e32 v13, v17, v18, vcc_lo
	buffer_load_dword v17, off, s[0:3], s32 offset:552 ; 4-byte Folded Reload
	v_and_b32_e32 v1, 0xffff0000, v13
	v_add_f32_e32 v1, v1, v12
	v_add_f32_e32 v0, v0, v1
	s_waitcnt vmcnt(0)
	v_lshlrev_b32_e32 v17, 16, v17
	v_mul_f32_e32 v17, v4, v17
	v_bfe_u32 v18, v17, 16, 1
	v_or_b32_e32 v23, 0x400000, v17
	v_cmp_u_f32_e32 vcc_lo, v17, v17
	v_add3_u32 v18, v18, v17, 0x7fff
	v_cndmask_b32_e32 v17, v18, v23, vcc_lo
	buffer_load_dword v18, off, s[0:3], s32 offset:556 ; 4-byte Folded Reload
	v_and_b32_e32 v12, 0xffff0000, v17
	s_waitcnt vmcnt(0)
	v_lshlrev_b32_e32 v18, 16, v18
	v_mul_f32_e32 v18, v5, v18
	v_bfe_u32 v23, v18, 16, 1
	v_or_b32_e32 v24, 0x400000, v18
	v_cmp_u_f32_e32 vcc_lo, v18, v18
	v_add3_u32 v23, v23, v18, 0x7fff
	v_cndmask_b32_e32 v18, v23, v24, vcc_lo
	buffer_load_dword v23, off, s[0:3], s32 offset:580 ; 4-byte Folded Reload
	v_and_b32_e32 v1, 0xffff0000, v18
	v_add_f32_e32 v1, v1, v12
	v_add_f32_e32 v0, v0, v1
	s_waitcnt vmcnt(0)
	v_lshlrev_b32_e32 v23, 16, v23
	v_mul_f32_e32 v23, v2, v23
	v_bfe_u32 v24, v23, 16, 1
	v_or_b32_e32 v25, 0x400000, v23
	v_cmp_u_f32_e32 vcc_lo, v23, v23
	v_add3_u32 v24, v24, v23, 0x7fff
	v_cndmask_b32_e32 v23, v24, v25, vcc_lo
	buffer_load_dword v24, off, s[0:3], s32 offset:572 ; 4-byte Folded Reload
	v_and_b32_e32 v12, 0xffff0000, v23
	s_waitcnt vmcnt(0)
	v_lshlrev_b32_e32 v24, 16, v24
	v_mul_f32_e32 v24, v3, v24
	v_bfe_u32 v25, v24, 16, 1
	v_or_b32_e32 v26, 0x400000, v24
	v_cmp_u_f32_e32 vcc_lo, v24, v24
	v_add3_u32 v25, v25, v24, 0x7fff
	v_cndmask_b32_e32 v24, v25, v26, vcc_lo
	v_and_b32_e32 v1, 0xffff0000, v24
	v_add_f32_e32 v1, v1, v12
	v_add_f32_e32 v0, v0, v1
	buffer_load_dword v1, off, s[0:3], s32 offset:632 ; 4-byte Folded Reload
	s_waitcnt vmcnt(0)
	v_add_f32_e32 v1, v1, v0
	buffer_load_dword v0, off, s[0:3], s32 offset:536 ; 4-byte Folded Reload
	buffer_store_dword v1, off, s[0:3], s32 offset:632 ; 4-byte Folded Spill
	s_waitcnt vmcnt(0)
	v_lshlrev_b32_e32 v0, 16, v0
	v_mul_f32_e32 v0, v8, v0
	v_bfe_u32 v1, v0, 16, 1
	v_or_b32_e32 v12, 0x400000, v0
	v_cmp_u_f32_e32 vcc_lo, v0, v0
	v_add3_u32 v1, v1, v0, 0x7fff
	v_cndmask_b32_e32 v0, v1, v12, vcc_lo
	buffer_load_dword v1, off, s[0:3], s32 offset:544 ; 4-byte Folded Reload
	v_and_b32_e32 v0, 0xffff0000, v0
	s_waitcnt vmcnt(0)
	v_lshlrev_b32_e32 v1, 16, v1
	v_mul_f32_e32 v1, v9, v1
	v_bfe_u32 v12, v1, 16, 1
	v_or_b32_e32 v13, 0x400000, v1
	v_cmp_u_f32_e32 vcc_lo, v1, v1
	v_add3_u32 v12, v12, v1, 0x7fff
	v_cndmask_b32_e32 v1, v12, v13, vcc_lo
	buffer_load_dword v12, off, s[0:3], s32 offset:528 ; 4-byte Folded Reload
	v_and_b32_e32 v1, 0xffff0000, v1
	v_add_f32_e32 v0, v1, v0
	s_waitcnt vmcnt(0)
	v_lshlrev_b32_e32 v12, 16, v12
	v_mul_f32_e32 v12, v6, v12
	v_bfe_u32 v13, v12, 16, 1
	v_or_b32_e32 v17, 0x400000, v12
	v_cmp_u_f32_e32 vcc_lo, v12, v12
	v_add3_u32 v13, v13, v12, 0x7fff
	v_cndmask_b32_e32 v12, v13, v17, vcc_lo
	buffer_load_dword v13, off, s[0:3], s32 offset:532 ; 4-byte Folded Reload
	v_and_b32_e32 v12, 0xffff0000, v12
	s_waitcnt vmcnt(0)
	v_lshlrev_b32_e32 v13, 16, v13
	v_mul_f32_e32 v13, v7, v13
	v_bfe_u32 v17, v13, 16, 1
	v_or_b32_e32 v18, 0x400000, v13
	v_cmp_u_f32_e32 vcc_lo, v13, v13
	v_add3_u32 v17, v17, v13, 0x7fff
	v_cndmask_b32_e32 v13, v17, v18, vcc_lo
	buffer_load_dword v17, off, s[0:3], s32 offset:520 ; 4-byte Folded Reload
	v_and_b32_e32 v1, 0xffff0000, v13
	v_add_f32_e32 v1, v1, v12
	v_add_f32_e32 v0, v0, v1
	s_waitcnt vmcnt(0)
	v_lshlrev_b32_e32 v17, 16, v17
	v_mul_f32_e32 v17, v4, v17
	v_bfe_u32 v18, v17, 16, 1
	v_or_b32_e32 v23, 0x400000, v17
	v_cmp_u_f32_e32 vcc_lo, v17, v17
	v_add3_u32 v18, v18, v17, 0x7fff
	v_cndmask_b32_e32 v17, v18, v23, vcc_lo
	buffer_load_dword v18, off, s[0:3], s32 offset:524 ; 4-byte Folded Reload
	v_and_b32_e32 v12, 0xffff0000, v17
	s_waitcnt vmcnt(0)
	v_lshlrev_b32_e32 v18, 16, v18
	v_mul_f32_e32 v18, v5, v18
	v_bfe_u32 v23, v18, 16, 1
	v_or_b32_e32 v24, 0x400000, v18
	v_cmp_u_f32_e32 vcc_lo, v18, v18
	v_add3_u32 v23, v23, v18, 0x7fff
	v_cndmask_b32_e32 v18, v23, v24, vcc_lo
	buffer_load_dword v23, off, s[0:3], s32 offset:548 ; 4-byte Folded Reload
	v_and_b32_e32 v1, 0xffff0000, v18
	v_add_f32_e32 v1, v1, v12
	v_add_f32_e32 v0, v0, v1
	s_waitcnt vmcnt(0)
	v_lshlrev_b32_e32 v23, 16, v23
	v_mul_f32_e32 v23, v2, v23
	v_bfe_u32 v24, v23, 16, 1
	v_or_b32_e32 v25, 0x400000, v23
	v_cmp_u_f32_e32 vcc_lo, v23, v23
	v_add3_u32 v24, v24, v23, 0x7fff
	v_cndmask_b32_e32 v23, v24, v25, vcc_lo
	buffer_load_dword v24, off, s[0:3], s32 offset:540 ; 4-byte Folded Reload
	v_and_b32_e32 v12, 0xffff0000, v23
	s_waitcnt vmcnt(0)
	v_lshlrev_b32_e32 v24, 16, v24
	v_mul_f32_e32 v24, v3, v24
	v_bfe_u32 v25, v24, 16, 1
	v_or_b32_e32 v26, 0x400000, v24
	v_cmp_u_f32_e32 vcc_lo, v24, v24
	v_add3_u32 v25, v25, v24, 0x7fff
	v_cndmask_b32_e32 v24, v25, v26, vcc_lo
	v_and_b32_e32 v1, 0xffff0000, v24
	v_add_f32_e32 v1, v1, v12
	v_add_f32_e32 v0, v0, v1
	buffer_load_dword v1, off, s[0:3], s32 offset:636 ; 4-byte Folded Reload
	s_waitcnt vmcnt(0)
	v_add_f32_e32 v1, v1, v0
	buffer_load_dword v0, off, s[0:3], s32 offset:500 ; 4-byte Folded Reload
	buffer_store_dword v1, off, s[0:3], s32 offset:636 ; 4-byte Folded Spill
	s_waitcnt vmcnt(0)
	v_lshlrev_b32_e32 v0, 16, v0
	v_mul_f32_e32 v0, v8, v0
	v_bfe_u32 v1, v0, 16, 1
	v_or_b32_e32 v12, 0x400000, v0
	v_cmp_u_f32_e32 vcc_lo, v0, v0
	v_add3_u32 v1, v1, v0, 0x7fff
	v_cndmask_b32_e32 v0, v1, v12, vcc_lo
	buffer_load_dword v1, off, s[0:3], s32 offset:508 ; 4-byte Folded Reload
	v_and_b32_e32 v0, 0xffff0000, v0
	s_waitcnt vmcnt(0)
	v_lshlrev_b32_e32 v1, 16, v1
	v_mul_f32_e32 v1, v9, v1
	v_bfe_u32 v12, v1, 16, 1
	v_or_b32_e32 v13, 0x400000, v1
	v_cmp_u_f32_e32 vcc_lo, v1, v1
	v_add3_u32 v12, v12, v1, 0x7fff
	v_cndmask_b32_e32 v1, v12, v13, vcc_lo
	buffer_load_dword v12, off, s[0:3], s32 offset:492 ; 4-byte Folded Reload
	v_and_b32_e32 v1, 0xffff0000, v1
	v_add_f32_e32 v0, v1, v0
	s_waitcnt vmcnt(0)
	v_lshlrev_b32_e32 v12, 16, v12
	v_mul_f32_e32 v12, v6, v12
	v_bfe_u32 v13, v12, 16, 1
	v_or_b32_e32 v17, 0x400000, v12
	v_cmp_u_f32_e32 vcc_lo, v12, v12
	v_add3_u32 v13, v13, v12, 0x7fff
	v_cndmask_b32_e32 v12, v13, v17, vcc_lo
	buffer_load_dword v13, off, s[0:3], s32 offset:496 ; 4-byte Folded Reload
	v_and_b32_e32 v12, 0xffff0000, v12
	s_waitcnt vmcnt(0)
	v_lshlrev_b32_e32 v13, 16, v13
	v_mul_f32_e32 v13, v7, v13
	v_bfe_u32 v17, v13, 16, 1
	v_or_b32_e32 v18, 0x400000, v13
	v_cmp_u_f32_e32 vcc_lo, v13, v13
	v_add3_u32 v17, v17, v13, 0x7fff
	v_cndmask_b32_e32 v13, v17, v18, vcc_lo
	buffer_load_dword v17, off, s[0:3], s32 offset:484 ; 4-byte Folded Reload
	v_and_b32_e32 v1, 0xffff0000, v13
	v_add_f32_e32 v1, v1, v12
	v_add_f32_e32 v0, v0, v1
	s_waitcnt vmcnt(0)
	v_lshlrev_b32_e32 v17, 16, v17
	v_mul_f32_e32 v17, v4, v17
	v_bfe_u32 v18, v17, 16, 1
	v_or_b32_e32 v23, 0x400000, v17
	v_cmp_u_f32_e32 vcc_lo, v17, v17
	v_add3_u32 v18, v18, v17, 0x7fff
	v_cndmask_b32_e32 v17, v18, v23, vcc_lo
	buffer_load_dword v18, off, s[0:3], s32 offset:488 ; 4-byte Folded Reload
	v_and_b32_e32 v12, 0xffff0000, v17
	s_waitcnt vmcnt(0)
	v_lshlrev_b32_e32 v18, 16, v18
	v_mul_f32_e32 v18, v5, v18
	v_bfe_u32 v23, v18, 16, 1
	v_or_b32_e32 v24, 0x400000, v18
	v_cmp_u_f32_e32 vcc_lo, v18, v18
	v_add3_u32 v23, v23, v18, 0x7fff
	v_cndmask_b32_e32 v18, v23, v24, vcc_lo
	buffer_load_dword v23, off, s[0:3], s32 offset:516 ; 4-byte Folded Reload
	v_and_b32_e32 v1, 0xffff0000, v18
	v_add_f32_e32 v1, v1, v12
	v_add_f32_e32 v0, v0, v1
	s_waitcnt vmcnt(0)
	v_lshlrev_b32_e32 v23, 16, v23
	v_mul_f32_e32 v23, v2, v23
	v_bfe_u32 v24, v23, 16, 1
	v_or_b32_e32 v25, 0x400000, v23
	v_cmp_u_f32_e32 vcc_lo, v23, v23
	v_add3_u32 v24, v24, v23, 0x7fff
	v_cndmask_b32_e32 v23, v24, v25, vcc_lo
	buffer_load_dword v24, off, s[0:3], s32 offset:504 ; 4-byte Folded Reload
	v_and_b32_e32 v12, 0xffff0000, v23
	s_waitcnt vmcnt(0)
	v_lshlrev_b32_e32 v24, 16, v24
	v_mul_f32_e32 v24, v3, v24
	v_bfe_u32 v25, v24, 16, 1
	v_or_b32_e32 v26, 0x400000, v24
	v_cmp_u_f32_e32 vcc_lo, v24, v24
	v_add3_u32 v25, v25, v24, 0x7fff
	v_cndmask_b32_e32 v24, v25, v26, vcc_lo
	v_and_b32_e32 v1, 0xffff0000, v24
	v_add_f32_e32 v1, v1, v12
	v_add_f32_e32 v0, v0, v1
	buffer_load_dword v1, off, s[0:3], s32 offset:640 ; 4-byte Folded Reload
	s_waitcnt vmcnt(0)
	v_add_f32_e32 v1, v1, v0
	buffer_load_dword v0, off, s[0:3], s32 offset:476 ; 4-byte Folded Reload
	buffer_store_dword v1, off, s[0:3], s32 offset:640 ; 4-byte Folded Spill
	s_waitcnt vmcnt(0)
	v_lshlrev_b32_e32 v0, 16, v0
	v_mul_f32_e32 v0, v8, v0
	v_bfe_u32 v1, v0, 16, 1
	v_or_b32_e32 v12, 0x400000, v0
	v_cmp_u_f32_e32 vcc_lo, v0, v0
	v_add3_u32 v1, v1, v0, 0x7fff
	v_cndmask_b32_e32 v0, v1, v12, vcc_lo
	buffer_load_dword v1, off, s[0:3], s32 offset:480 ; 4-byte Folded Reload
	v_and_b32_e32 v0, 0xffff0000, v0
	s_waitcnt vmcnt(0)
	v_lshlrev_b32_e32 v1, 16, v1
	v_mul_f32_e32 v1, v9, v1
	v_bfe_u32 v12, v1, 16, 1
	v_or_b32_e32 v13, 0x400000, v1
	v_cmp_u_f32_e32 vcc_lo, v1, v1
	v_add3_u32 v12, v12, v1, 0x7fff
	v_cndmask_b32_e32 v1, v12, v13, vcc_lo
	buffer_load_dword v12, off, s[0:3], s32 offset:468 ; 4-byte Folded Reload
	v_and_b32_e32 v1, 0xffff0000, v1
	v_add_f32_e32 v0, v1, v0
	s_waitcnt vmcnt(0)
	v_lshlrev_b32_e32 v12, 16, v12
	v_mul_f32_e32 v12, v6, v12
	v_bfe_u32 v13, v12, 16, 1
	v_or_b32_e32 v17, 0x400000, v12
	v_cmp_u_f32_e32 vcc_lo, v12, v12
	v_add3_u32 v13, v13, v12, 0x7fff
	v_cndmask_b32_e32 v12, v13, v17, vcc_lo
	buffer_load_dword v13, off, s[0:3], s32 offset:464 ; 4-byte Folded Reload
	v_and_b32_e32 v12, 0xffff0000, v12
	s_waitcnt vmcnt(0)
	v_lshlrev_b32_e32 v13, 16, v13
	v_mul_f32_e32 v13, v7, v13
	v_bfe_u32 v17, v13, 16, 1
	v_or_b32_e32 v18, 0x400000, v13
	v_cmp_u_f32_e32 vcc_lo, v13, v13
	v_add3_u32 v17, v17, v13, 0x7fff
	v_cndmask_b32_e32 v13, v17, v18, vcc_lo
	buffer_load_dword v17, off, s[0:3], s32 offset:456 ; 4-byte Folded Reload
	v_and_b32_e32 v1, 0xffff0000, v13
	v_add_f32_e32 v1, v1, v12
	v_add_f32_e32 v0, v0, v1
	s_waitcnt vmcnt(0)
	v_lshlrev_b32_e32 v17, 16, v17
	v_mul_f32_e32 v17, v4, v17
	v_bfe_u32 v18, v17, 16, 1
	v_or_b32_e32 v23, 0x400000, v17
	v_cmp_u_f32_e32 vcc_lo, v17, v17
	v_add3_u32 v18, v18, v17, 0x7fff
	v_cndmask_b32_e32 v17, v18, v23, vcc_lo
	buffer_load_dword v18, off, s[0:3], s32 offset:452 ; 4-byte Folded Reload
	v_and_b32_e32 v12, 0xffff0000, v17
	s_waitcnt vmcnt(0)
	v_lshlrev_b32_e32 v18, 16, v18
	v_mul_f32_e32 v18, v5, v18
	v_bfe_u32 v23, v18, 16, 1
	v_or_b32_e32 v24, 0x400000, v18
	v_cmp_u_f32_e32 vcc_lo, v18, v18
	v_add3_u32 v23, v23, v18, 0x7fff
	v_cndmask_b32_e32 v18, v23, v24, vcc_lo
	buffer_load_dword v23, off, s[0:3], s32 offset:472 ; 4-byte Folded Reload
	v_and_b32_e32 v1, 0xffff0000, v18
	v_add_f32_e32 v1, v1, v12
	v_add_f32_e32 v0, v0, v1
	s_waitcnt vmcnt(0)
	v_lshlrev_b32_e32 v23, 16, v23
	v_mul_f32_e32 v23, v2, v23
	v_bfe_u32 v24, v23, 16, 1
	v_or_b32_e32 v25, 0x400000, v23
	v_cmp_u_f32_e32 vcc_lo, v23, v23
	v_add3_u32 v24, v24, v23, 0x7fff
	v_cndmask_b32_e32 v23, v24, v25, vcc_lo
	buffer_load_dword v24, off, s[0:3], s32 offset:460 ; 4-byte Folded Reload
	v_and_b32_e32 v12, 0xffff0000, v23
	s_waitcnt vmcnt(0)
	v_lshlrev_b32_e32 v24, 16, v24
	v_mul_f32_e32 v24, v3, v24
	v_bfe_u32 v25, v24, 16, 1
	v_or_b32_e32 v26, 0x400000, v24
	v_cmp_u_f32_e32 vcc_lo, v24, v24
	v_add3_u32 v25, v25, v24, 0x7fff
	v_cndmask_b32_e32 v24, v25, v26, vcc_lo
	v_and_b32_e32 v1, 0xffff0000, v24
	v_add_f32_e32 v1, v1, v12
	v_add_f32_e32 v0, v0, v1
	buffer_load_dword v1, off, s[0:3], s32 offset:644 ; 4-byte Folded Reload
	s_waitcnt vmcnt(0)
	v_add_f32_e32 v1, v1, v0
	buffer_load_dword v0, off, s[0:3], s32 offset:448 ; 4-byte Folded Reload
	buffer_store_dword v1, off, s[0:3], s32 offset:644 ; 4-byte Folded Spill
	s_waitcnt vmcnt(0)
	v_lshlrev_b32_e32 v0, 16, v0
	v_mul_f32_e32 v0, v8, v0
	v_bfe_u32 v1, v0, 16, 1
	v_or_b32_e32 v12, 0x400000, v0
	v_cmp_u_f32_e32 vcc_lo, v0, v0
	v_add3_u32 v1, v1, v0, 0x7fff
	v_cndmask_b32_e32 v0, v1, v12, vcc_lo
	buffer_load_dword v1, off, s[0:3], s32 offset:444 ; 4-byte Folded Reload
	v_and_b32_e32 v0, 0xffff0000, v0
	s_waitcnt vmcnt(0)
	v_lshlrev_b32_e32 v1, 16, v1
	v_mul_f32_e32 v1, v9, v1
	v_bfe_u32 v12, v1, 16, 1
	v_or_b32_e32 v13, 0x400000, v1
	v_cmp_u_f32_e32 vcc_lo, v1, v1
	v_add3_u32 v12, v12, v1, 0x7fff
	v_cndmask_b32_e32 v1, v12, v13, vcc_lo
	buffer_load_dword v12, off, s[0:3], s32 offset:432 ; 4-byte Folded Reload
	v_and_b32_e32 v1, 0xffff0000, v1
	v_add_f32_e32 v0, v1, v0
	s_waitcnt vmcnt(0)
	v_lshlrev_b32_e32 v12, 16, v12
	v_mul_f32_e32 v12, v6, v12
	v_bfe_u32 v13, v12, 16, 1
	v_or_b32_e32 v17, 0x400000, v12
	v_cmp_u_f32_e32 vcc_lo, v12, v12
	v_add3_u32 v13, v13, v12, 0x7fff
	v_cndmask_b32_e32 v12, v13, v17, vcc_lo
	buffer_load_dword v13, off, s[0:3], s32 offset:436 ; 4-byte Folded Reload
	v_and_b32_e32 v12, 0xffff0000, v12
	s_waitcnt vmcnt(0)
	v_lshlrev_b32_e32 v13, 16, v13
	v_mul_f32_e32 v13, v7, v13
	v_bfe_u32 v17, v13, 16, 1
	v_or_b32_e32 v18, 0x400000, v13
	v_cmp_u_f32_e32 vcc_lo, v13, v13
	v_add3_u32 v17, v17, v13, 0x7fff
	v_cndmask_b32_e32 v13, v17, v18, vcc_lo
	buffer_load_dword v17, off, s[0:3], s32 offset:424 ; 4-byte Folded Reload
	v_and_b32_e32 v1, 0xffff0000, v13
	v_add_f32_e32 v1, v1, v12
	v_add_f32_e32 v0, v0, v1
	s_waitcnt vmcnt(0)
	v_lshlrev_b32_e32 v17, 16, v17
	v_mul_f32_e32 v17, v4, v17
	v_bfe_u32 v18, v17, 16, 1
	v_or_b32_e32 v23, 0x400000, v17
	v_cmp_u_f32_e32 vcc_lo, v17, v17
	v_add3_u32 v18, v18, v17, 0x7fff
	v_cndmask_b32_e32 v17, v18, v23, vcc_lo
	buffer_load_dword v18, off, s[0:3], s32 offset:420 ; 4-byte Folded Reload
	v_and_b32_e32 v12, 0xffff0000, v17
	s_waitcnt vmcnt(0)
	v_lshlrev_b32_e32 v18, 16, v18
	v_mul_f32_e32 v18, v5, v18
	v_bfe_u32 v23, v18, 16, 1
	v_or_b32_e32 v24, 0x400000, v18
	v_cmp_u_f32_e32 vcc_lo, v18, v18
	v_add3_u32 v23, v23, v18, 0x7fff
	v_cndmask_b32_e32 v18, v23, v24, vcc_lo
	buffer_load_dword v23, off, s[0:3], s32 offset:440 ; 4-byte Folded Reload
	v_and_b32_e32 v1, 0xffff0000, v18
	v_add_f32_e32 v1, v1, v12
	v_add_f32_e32 v0, v0, v1
	s_waitcnt vmcnt(0)
	v_lshlrev_b32_e32 v23, 16, v23
	v_mul_f32_e32 v23, v2, v23
	v_bfe_u32 v24, v23, 16, 1
	v_or_b32_e32 v25, 0x400000, v23
	v_cmp_u_f32_e32 vcc_lo, v23, v23
	v_add3_u32 v24, v24, v23, 0x7fff
	v_cndmask_b32_e32 v23, v24, v25, vcc_lo
	buffer_load_dword v24, off, s[0:3], s32 offset:428 ; 4-byte Folded Reload
	v_and_b32_e32 v12, 0xffff0000, v23
	s_waitcnt vmcnt(0)
	v_lshlrev_b32_e32 v24, 16, v24
	v_mul_f32_e32 v24, v3, v24
	v_bfe_u32 v25, v24, 16, 1
	v_or_b32_e32 v26, 0x400000, v24
	v_cmp_u_f32_e32 vcc_lo, v24, v24
	v_add3_u32 v25, v25, v24, 0x7fff
	v_cndmask_b32_e32 v24, v25, v26, vcc_lo
	v_and_b32_e32 v1, 0xffff0000, v24
	v_add_f32_e32 v1, v1, v12
	v_add_f32_e32 v0, v0, v1
	buffer_load_dword v1, off, s[0:3], s32 offset:648 ; 4-byte Folded Reload
	s_waitcnt vmcnt(0)
	v_add_f32_e32 v1, v1, v0
	buffer_load_dword v0, off, s[0:3], s32 offset:416 ; 4-byte Folded Reload
	buffer_store_dword v1, off, s[0:3], s32 offset:648 ; 4-byte Folded Spill
	s_waitcnt vmcnt(0)
	v_lshlrev_b32_e32 v0, 16, v0
	v_mul_f32_e32 v0, v8, v0
	v_bfe_u32 v1, v0, 16, 1
	v_or_b32_e32 v12, 0x400000, v0
	v_cmp_u_f32_e32 vcc_lo, v0, v0
	v_add3_u32 v1, v1, v0, 0x7fff
	v_cndmask_b32_e32 v0, v1, v12, vcc_lo
	buffer_load_dword v1, off, s[0:3], s32 offset:412 ; 4-byte Folded Reload
	v_and_b32_e32 v0, 0xffff0000, v0
	s_waitcnt vmcnt(0)
	v_lshlrev_b32_e32 v1, 16, v1
	v_mul_f32_e32 v1, v9, v1
	v_bfe_u32 v12, v1, 16, 1
	v_or_b32_e32 v13, 0x400000, v1
	v_cmp_u_f32_e32 vcc_lo, v1, v1
	v_add3_u32 v12, v12, v1, 0x7fff
	v_cndmask_b32_e32 v1, v12, v13, vcc_lo
	buffer_load_dword v12, off, s[0:3], s32 offset:400 ; 4-byte Folded Reload
	v_and_b32_e32 v1, 0xffff0000, v1
	v_add_f32_e32 v0, v1, v0
	s_waitcnt vmcnt(0)
	v_lshlrev_b32_e32 v12, 16, v12
	v_mul_f32_e32 v12, v6, v12
	v_bfe_u32 v13, v12, 16, 1
	v_or_b32_e32 v17, 0x400000, v12
	v_cmp_u_f32_e32 vcc_lo, v12, v12
	v_add3_u32 v13, v13, v12, 0x7fff
	v_cndmask_b32_e32 v12, v13, v17, vcc_lo
	buffer_load_dword v13, off, s[0:3], s32 offset:404 ; 4-byte Folded Reload
	v_and_b32_e32 v12, 0xffff0000, v12
	s_waitcnt vmcnt(0)
	v_lshlrev_b32_e32 v13, 16, v13
	v_mul_f32_e32 v13, v7, v13
	v_bfe_u32 v17, v13, 16, 1
	v_or_b32_e32 v18, 0x400000, v13
	v_cmp_u_f32_e32 vcc_lo, v13, v13
	v_add3_u32 v17, v17, v13, 0x7fff
	v_cndmask_b32_e32 v13, v17, v18, vcc_lo
	buffer_load_dword v17, off, s[0:3], s32 offset:392 ; 4-byte Folded Reload
	v_and_b32_e32 v1, 0xffff0000, v13
	v_add_f32_e32 v1, v1, v12
	v_add_f32_e32 v0, v0, v1
	s_waitcnt vmcnt(0)
	v_lshlrev_b32_e32 v17, 16, v17
	v_mul_f32_e32 v17, v4, v17
	v_bfe_u32 v18, v17, 16, 1
	v_or_b32_e32 v23, 0x400000, v17
	v_cmp_u_f32_e32 vcc_lo, v17, v17
	v_add3_u32 v18, v18, v17, 0x7fff
	v_cndmask_b32_e32 v17, v18, v23, vcc_lo
	buffer_load_dword v18, off, s[0:3], s32 offset:388 ; 4-byte Folded Reload
	v_and_b32_e32 v12, 0xffff0000, v17
	s_waitcnt vmcnt(0)
	v_lshlrev_b32_e32 v18, 16, v18
	v_mul_f32_e32 v18, v5, v18
	v_bfe_u32 v23, v18, 16, 1
	v_or_b32_e32 v24, 0x400000, v18
	v_cmp_u_f32_e32 vcc_lo, v18, v18
	v_add3_u32 v23, v23, v18, 0x7fff
	v_cndmask_b32_e32 v18, v23, v24, vcc_lo
	buffer_load_dword v23, off, s[0:3], s32 offset:408 ; 4-byte Folded Reload
	v_and_b32_e32 v1, 0xffff0000, v18
	v_add_f32_e32 v1, v1, v12
	v_add_f32_e32 v0, v0, v1
	s_waitcnt vmcnt(0)
	v_lshlrev_b32_e32 v23, 16, v23
	v_mul_f32_e32 v23, v2, v23
	v_bfe_u32 v24, v23, 16, 1
	v_or_b32_e32 v25, 0x400000, v23
	v_cmp_u_f32_e32 vcc_lo, v23, v23
	v_add3_u32 v24, v24, v23, 0x7fff
	v_cndmask_b32_e32 v23, v24, v25, vcc_lo
	buffer_load_dword v24, off, s[0:3], s32 offset:396 ; 4-byte Folded Reload
	v_and_b32_e32 v12, 0xffff0000, v23
	s_waitcnt vmcnt(0)
	v_lshlrev_b32_e32 v24, 16, v24
	v_mul_f32_e32 v24, v3, v24
	v_bfe_u32 v25, v24, 16, 1
	v_or_b32_e32 v26, 0x400000, v24
	v_cmp_u_f32_e32 vcc_lo, v24, v24
	v_add3_u32 v25, v25, v24, 0x7fff
	v_cndmask_b32_e32 v24, v25, v26, vcc_lo
	v_and_b32_e32 v1, 0xffff0000, v24
	v_add_f32_e32 v1, v1, v12
	v_add_f32_e32 v0, v0, v1
	buffer_load_dword v1, off, s[0:3], s32 offset:652 ; 4-byte Folded Reload
	s_waitcnt vmcnt(0)
	v_add_f32_e32 v1, v1, v0
	buffer_load_dword v0, off, s[0:3], s32 offset:384 ; 4-byte Folded Reload
	buffer_store_dword v1, off, s[0:3], s32 offset:652 ; 4-byte Folded Spill
	s_waitcnt vmcnt(0)
	v_lshlrev_b32_e32 v0, 16, v0
	v_mul_f32_e32 v0, v8, v0
	v_bfe_u32 v1, v0, 16, 1
	v_or_b32_e32 v12, 0x400000, v0
	v_cmp_u_f32_e32 vcc_lo, v0, v0
	v_add3_u32 v1, v1, v0, 0x7fff
	v_cndmask_b32_e32 v0, v1, v12, vcc_lo
	buffer_load_dword v1, off, s[0:3], s32 offset:380 ; 4-byte Folded Reload
	v_and_b32_e32 v0, 0xffff0000, v0
	s_waitcnt vmcnt(0)
	v_lshlrev_b32_e32 v1, 16, v1
	v_mul_f32_e32 v1, v9, v1
	v_bfe_u32 v12, v1, 16, 1
	v_or_b32_e32 v13, 0x400000, v1
	v_cmp_u_f32_e32 vcc_lo, v1, v1
	v_add3_u32 v12, v12, v1, 0x7fff
	v_cndmask_b32_e32 v1, v12, v13, vcc_lo
	buffer_load_dword v12, off, s[0:3], s32 offset:372 ; 4-byte Folded Reload
	v_and_b32_e32 v1, 0xffff0000, v1
	v_add_f32_e32 v0, v1, v0
	s_waitcnt vmcnt(0)
	v_lshlrev_b32_e32 v12, 16, v12
	v_mul_f32_e32 v12, v6, v12
	v_bfe_u32 v13, v12, 16, 1
	v_or_b32_e32 v17, 0x400000, v12
	v_cmp_u_f32_e32 vcc_lo, v12, v12
	v_add3_u32 v13, v13, v12, 0x7fff
	v_cndmask_b32_e32 v12, v13, v17, vcc_lo
	buffer_load_dword v13, off, s[0:3], s32 offset:376 ; 4-byte Folded Reload
	v_and_b32_e32 v12, 0xffff0000, v12
	s_waitcnt vmcnt(0)
	v_lshlrev_b32_e32 v13, 16, v13
	v_mul_f32_e32 v13, v7, v13
	v_bfe_u32 v17, v13, 16, 1
	v_or_b32_e32 v18, 0x400000, v13
	v_cmp_u_f32_e32 vcc_lo, v13, v13
	v_add3_u32 v17, v17, v13, 0x7fff
	v_cndmask_b32_e32 v13, v17, v18, vcc_lo
	buffer_load_dword v17, off, s[0:3], s32 offset:368 ; 4-byte Folded Reload
	v_and_b32_e32 v1, 0xffff0000, v13
	v_add_f32_e32 v1, v1, v12
	v_add_f32_e32 v0, v0, v1
	s_waitcnt vmcnt(0)
	v_lshlrev_b32_e32 v17, 16, v17
	v_mul_f32_e32 v17, v4, v17
	v_bfe_u32 v18, v17, 16, 1
	v_or_b32_e32 v23, 0x400000, v17
	v_cmp_u_f32_e32 vcc_lo, v17, v17
	v_add3_u32 v18, v18, v17, 0x7fff
	v_cndmask_b32_e32 v17, v18, v23, vcc_lo
	buffer_load_dword v18, off, s[0:3], s32 offset:360 ; 4-byte Folded Reload
	v_and_b32_e32 v12, 0xffff0000, v17
	s_waitcnt vmcnt(0)
	v_lshlrev_b32_e32 v18, 16, v18
	v_mul_f32_e32 v18, v5, v18
	v_bfe_u32 v23, v18, 16, 1
	v_or_b32_e32 v24, 0x400000, v18
	v_cmp_u_f32_e32 vcc_lo, v18, v18
	v_add3_u32 v23, v23, v18, 0x7fff
	v_cndmask_b32_e32 v18, v23, v24, vcc_lo
	buffer_load_dword v23, off, s[0:3], s32 offset:364 ; 4-byte Folded Reload
	v_and_b32_e32 v1, 0xffff0000, v18
	v_add_f32_e32 v1, v1, v12
	v_add_f32_e32 v0, v0, v1
	s_waitcnt vmcnt(0)
	v_lshlrev_b32_e32 v23, 16, v23
	v_mul_f32_e32 v23, v2, v23
	v_bfe_u32 v24, v23, 16, 1
	v_or_b32_e32 v25, 0x400000, v23
	v_cmp_u_f32_e32 vcc_lo, v23, v23
	v_add3_u32 v24, v24, v23, 0x7fff
	v_cndmask_b32_e32 v23, v24, v25, vcc_lo
	buffer_load_dword v24, off, s[0:3], s32 offset:356 ; 4-byte Folded Reload
	v_and_b32_e32 v12, 0xffff0000, v23
	s_waitcnt vmcnt(0)
	v_lshlrev_b32_e32 v24, 16, v24
	v_mul_f32_e32 v24, v3, v24
	v_bfe_u32 v25, v24, 16, 1
	v_or_b32_e32 v26, 0x400000, v24
	v_cmp_u_f32_e32 vcc_lo, v24, v24
	v_add3_u32 v25, v25, v24, 0x7fff
	v_cndmask_b32_e32 v24, v25, v26, vcc_lo
	v_and_b32_e32 v1, 0xffff0000, v24
	v_add_f32_e32 v1, v1, v12
	v_add_f32_e32 v0, v0, v1
	buffer_load_dword v1, off, s[0:3], s32 offset:656 ; 4-byte Folded Reload
	s_waitcnt vmcnt(0)
	v_add_f32_e32 v1, v1, v0
	buffer_load_dword v0, off, s[0:3], s32 offset:352 ; 4-byte Folded Reload
	buffer_store_dword v1, off, s[0:3], s32 offset:656 ; 4-byte Folded Spill
	s_waitcnt vmcnt(0)
	v_lshlrev_b32_e32 v0, 16, v0
	v_mul_f32_e32 v0, v8, v0
	v_bfe_u32 v1, v0, 16, 1
	v_or_b32_e32 v12, 0x400000, v0
	v_cmp_u_f32_e32 vcc_lo, v0, v0
	v_add3_u32 v1, v1, v0, 0x7fff
	v_cndmask_b32_e32 v0, v1, v12, vcc_lo
	buffer_load_dword v1, off, s[0:3], s32 offset:348 ; 4-byte Folded Reload
	v_and_b32_e32 v0, 0xffff0000, v0
	s_waitcnt vmcnt(0)
	v_lshlrev_b32_e32 v1, 16, v1
	v_mul_f32_e32 v1, v9, v1
	v_bfe_u32 v12, v1, 16, 1
	v_or_b32_e32 v13, 0x400000, v1
	v_cmp_u_f32_e32 vcc_lo, v1, v1
	v_add3_u32 v12, v12, v1, 0x7fff
	v_cndmask_b32_e32 v1, v12, v13, vcc_lo
	buffer_load_dword v12, off, s[0:3], s32 offset:344 ; 4-byte Folded Reload
	v_and_b32_e32 v1, 0xffff0000, v1
	v_add_f32_e32 v0, v1, v0
	s_waitcnt vmcnt(0)
	v_lshlrev_b32_e32 v12, 16, v12
	v_mul_f32_e32 v12, v6, v12
	v_bfe_u32 v13, v12, 16, 1
	v_or_b32_e32 v17, 0x400000, v12
	v_cmp_u_f32_e32 vcc_lo, v12, v12
	v_add3_u32 v13, v13, v12, 0x7fff
	v_cndmask_b32_e32 v12, v13, v17, vcc_lo
	buffer_load_dword v13, off, s[0:3], s32 offset:340 ; 4-byte Folded Reload
	v_and_b32_e32 v12, 0xffff0000, v12
	s_waitcnt vmcnt(0)
	v_lshlrev_b32_e32 v13, 16, v13
	v_mul_f32_e32 v13, v7, v13
	v_bfe_u32 v17, v13, 16, 1
	v_or_b32_e32 v18, 0x400000, v13
	v_cmp_u_f32_e32 vcc_lo, v13, v13
	v_add3_u32 v17, v17, v13, 0x7fff
	v_cndmask_b32_e32 v13, v17, v18, vcc_lo
	buffer_load_dword v17, off, s[0:3], s32 offset:336 ; 4-byte Folded Reload
	v_and_b32_e32 v1, 0xffff0000, v13
	v_add_f32_e32 v1, v1, v12
	v_add_f32_e32 v0, v0, v1
	s_waitcnt vmcnt(0)
	v_lshlrev_b32_e32 v17, 16, v17
	v_mul_f32_e32 v17, v4, v17
	v_bfe_u32 v18, v17, 16, 1
	v_or_b32_e32 v23, 0x400000, v17
	v_cmp_u_f32_e32 vcc_lo, v17, v17
	v_add3_u32 v18, v18, v17, 0x7fff
	v_cndmask_b32_e32 v17, v18, v23, vcc_lo
	buffer_load_dword v18, off, s[0:3], s32 offset:328 ; 4-byte Folded Reload
	v_and_b32_e32 v12, 0xffff0000, v17
	s_waitcnt vmcnt(0)
	v_lshlrev_b32_e32 v18, 16, v18
	v_mul_f32_e32 v18, v5, v18
	v_bfe_u32 v23, v18, 16, 1
	v_or_b32_e32 v24, 0x400000, v18
	v_cmp_u_f32_e32 vcc_lo, v18, v18
	v_add3_u32 v23, v23, v18, 0x7fff
	v_cndmask_b32_e32 v18, v23, v24, vcc_lo
	buffer_load_dword v23, off, s[0:3], s32 offset:332 ; 4-byte Folded Reload
	v_and_b32_e32 v1, 0xffff0000, v18
	v_add_f32_e32 v1, v1, v12
	v_add_f32_e32 v0, v0, v1
	s_waitcnt vmcnt(0)
	v_lshlrev_b32_e32 v23, 16, v23
	v_mul_f32_e32 v23, v2, v23
	v_bfe_u32 v24, v23, 16, 1
	v_or_b32_e32 v25, 0x400000, v23
	v_cmp_u_f32_e32 vcc_lo, v23, v23
	v_add3_u32 v24, v24, v23, 0x7fff
	v_cndmask_b32_e32 v23, v24, v25, vcc_lo
	buffer_load_dword v24, off, s[0:3], s32 offset:324 ; 4-byte Folded Reload
	v_and_b32_e32 v12, 0xffff0000, v23
	s_waitcnt vmcnt(0)
	v_lshlrev_b32_e32 v24, 16, v24
	v_mul_f32_e32 v24, v3, v24
	v_bfe_u32 v25, v24, 16, 1
	v_or_b32_e32 v26, 0x400000, v24
	v_cmp_u_f32_e32 vcc_lo, v24, v24
	v_add3_u32 v25, v25, v24, 0x7fff
	v_cndmask_b32_e32 v24, v25, v26, vcc_lo
	v_and_b32_e32 v1, 0xffff0000, v24
	v_add_f32_e32 v1, v1, v12
	v_add_f32_e32 v0, v0, v1
	buffer_load_dword v1, off, s[0:3], s32 offset:660 ; 4-byte Folded Reload
	s_waitcnt vmcnt(0)
	v_add_f32_e32 v1, v1, v0
	buffer_load_dword v0, off, s[0:3], s32 offset:320 ; 4-byte Folded Reload
	buffer_store_dword v1, off, s[0:3], s32 offset:660 ; 4-byte Folded Spill
	s_waitcnt vmcnt(0)
	v_lshlrev_b32_e32 v0, 16, v0
	v_mul_f32_e32 v0, v8, v0
	v_bfe_u32 v1, v0, 16, 1
	v_or_b32_e32 v12, 0x400000, v0
	v_cmp_u_f32_e32 vcc_lo, v0, v0
	v_add3_u32 v1, v1, v0, 0x7fff
	v_cndmask_b32_e32 v0, v1, v12, vcc_lo
	buffer_load_dword v1, off, s[0:3], s32 offset:316 ; 4-byte Folded Reload
	v_and_b32_e32 v0, 0xffff0000, v0
	s_waitcnt vmcnt(0)
	v_lshlrev_b32_e32 v1, 16, v1
	v_mul_f32_e32 v1, v9, v1
	v_bfe_u32 v12, v1, 16, 1
	v_or_b32_e32 v13, 0x400000, v1
	v_cmp_u_f32_e32 vcc_lo, v1, v1
	v_add3_u32 v12, v12, v1, 0x7fff
	v_cndmask_b32_e32 v1, v12, v13, vcc_lo
	buffer_load_dword v12, off, s[0:3], s32 offset:308 ; 4-byte Folded Reload
	v_and_b32_e32 v1, 0xffff0000, v1
	v_add_f32_e32 v0, v1, v0
	s_waitcnt vmcnt(0)
	v_lshlrev_b32_e32 v12, 16, v12
	v_mul_f32_e32 v12, v6, v12
	v_bfe_u32 v13, v12, 16, 1
	v_or_b32_e32 v17, 0x400000, v12
	v_cmp_u_f32_e32 vcc_lo, v12, v12
	v_add3_u32 v13, v13, v12, 0x7fff
	v_cndmask_b32_e32 v12, v13, v17, vcc_lo
	buffer_load_dword v13, off, s[0:3], s32 offset:312 ; 4-byte Folded Reload
	v_and_b32_e32 v12, 0xffff0000, v12
	s_waitcnt vmcnt(0)
	v_lshlrev_b32_e32 v13, 16, v13
	v_mul_f32_e32 v13, v7, v13
	v_bfe_u32 v17, v13, 16, 1
	v_or_b32_e32 v18, 0x400000, v13
	v_cmp_u_f32_e32 vcc_lo, v13, v13
	v_add3_u32 v17, v17, v13, 0x7fff
	v_cndmask_b32_e32 v13, v17, v18, vcc_lo
	buffer_load_dword v17, off, s[0:3], s32 offset:304 ; 4-byte Folded Reload
	v_and_b32_e32 v1, 0xffff0000, v13
	v_add_f32_e32 v1, v1, v12
	v_add_f32_e32 v0, v0, v1
	s_waitcnt vmcnt(0)
	v_lshlrev_b32_e32 v17, 16, v17
	v_mul_f32_e32 v17, v4, v17
	v_bfe_u32 v18, v17, 16, 1
	v_or_b32_e32 v23, 0x400000, v17
	v_cmp_u_f32_e32 vcc_lo, v17, v17
	v_add3_u32 v18, v18, v17, 0x7fff
	v_cndmask_b32_e32 v17, v18, v23, vcc_lo
	buffer_load_dword v18, off, s[0:3], s32 offset:296 ; 4-byte Folded Reload
	v_and_b32_e32 v12, 0xffff0000, v17
	s_waitcnt vmcnt(0)
	v_lshlrev_b32_e32 v18, 16, v18
	v_mul_f32_e32 v18, v5, v18
	v_bfe_u32 v23, v18, 16, 1
	v_or_b32_e32 v24, 0x400000, v18
	v_cmp_u_f32_e32 vcc_lo, v18, v18
	v_add3_u32 v23, v23, v18, 0x7fff
	v_cndmask_b32_e32 v18, v23, v24, vcc_lo
	buffer_load_dword v23, off, s[0:3], s32 offset:300 ; 4-byte Folded Reload
	v_and_b32_e32 v1, 0xffff0000, v18
	v_add_f32_e32 v1, v1, v12
	v_add_f32_e32 v0, v0, v1
	s_waitcnt vmcnt(0)
	v_lshlrev_b32_e32 v23, 16, v23
	v_mul_f32_e32 v23, v2, v23
	v_bfe_u32 v24, v23, 16, 1
	v_or_b32_e32 v25, 0x400000, v23
	v_cmp_u_f32_e32 vcc_lo, v23, v23
	v_add3_u32 v24, v24, v23, 0x7fff
	v_cndmask_b32_e32 v23, v24, v25, vcc_lo
	buffer_load_dword v24, off, s[0:3], s32 offset:292 ; 4-byte Folded Reload
	v_and_b32_e32 v12, 0xffff0000, v23
	s_waitcnt vmcnt(0)
	v_lshlrev_b32_e32 v24, 16, v24
	v_mul_f32_e32 v24, v3, v24
	v_bfe_u32 v25, v24, 16, 1
	v_or_b32_e32 v26, 0x400000, v24
	v_cmp_u_f32_e32 vcc_lo, v24, v24
	v_add3_u32 v25, v25, v24, 0x7fff
	v_cndmask_b32_e32 v24, v25, v26, vcc_lo
	v_and_b32_e32 v1, 0xffff0000, v24
	v_add_f32_e32 v1, v1, v12
	v_add_f32_e32 v0, v0, v1
	buffer_load_dword v1, off, s[0:3], s32 offset:664 ; 4-byte Folded Reload
	s_waitcnt vmcnt(0)
	v_add_f32_e32 v1, v1, v0
	buffer_load_dword v0, off, s[0:3], s32 offset:288 ; 4-byte Folded Reload
	buffer_store_dword v1, off, s[0:3], s32 offset:664 ; 4-byte Folded Spill
	s_waitcnt vmcnt(0)
	v_lshlrev_b32_e32 v0, 16, v0
	v_mul_f32_e32 v0, v8, v0
	v_bfe_u32 v1, v0, 16, 1
	v_or_b32_e32 v12, 0x400000, v0
	v_cmp_u_f32_e32 vcc_lo, v0, v0
	v_add3_u32 v1, v1, v0, 0x7fff
	v_cndmask_b32_e32 v0, v1, v12, vcc_lo
	buffer_load_dword v1, off, s[0:3], s32 offset:284 ; 4-byte Folded Reload
	v_and_b32_e32 v0, 0xffff0000, v0
	s_waitcnt vmcnt(0)
	v_lshlrev_b32_e32 v1, 16, v1
	v_mul_f32_e32 v1, v9, v1
	v_bfe_u32 v12, v1, 16, 1
	v_or_b32_e32 v13, 0x400000, v1
	v_cmp_u_f32_e32 vcc_lo, v1, v1
	v_add3_u32 v12, v12, v1, 0x7fff
	v_cndmask_b32_e32 v1, v12, v13, vcc_lo
	buffer_load_dword v12, off, s[0:3], s32 offset:280 ; 4-byte Folded Reload
	v_and_b32_e32 v1, 0xffff0000, v1
	v_add_f32_e32 v0, v1, v0
	s_waitcnt vmcnt(0)
	v_lshlrev_b32_e32 v12, 16, v12
	v_mul_f32_e32 v12, v6, v12
	v_bfe_u32 v13, v12, 16, 1
	v_or_b32_e32 v17, 0x400000, v12
	v_cmp_u_f32_e32 vcc_lo, v12, v12
	v_add3_u32 v13, v13, v12, 0x7fff
	v_cndmask_b32_e32 v12, v13, v17, vcc_lo
	buffer_load_dword v13, off, s[0:3], s32 offset:276 ; 4-byte Folded Reload
	v_and_b32_e32 v12, 0xffff0000, v12
	s_waitcnt vmcnt(0)
	v_lshlrev_b32_e32 v13, 16, v13
	v_mul_f32_e32 v13, v7, v13
	v_bfe_u32 v17, v13, 16, 1
	v_or_b32_e32 v18, 0x400000, v13
	v_cmp_u_f32_e32 vcc_lo, v13, v13
	v_add3_u32 v17, v17, v13, 0x7fff
	v_cndmask_b32_e32 v13, v17, v18, vcc_lo
	buffer_load_dword v17, off, s[0:3], s32 offset:272 ; 4-byte Folded Reload
	v_and_b32_e32 v1, 0xffff0000, v13
	v_add_f32_e32 v1, v1, v12
	v_add_f32_e32 v0, v0, v1
	s_waitcnt vmcnt(0)
	v_lshlrev_b32_e32 v17, 16, v17
	v_mul_f32_e32 v17, v4, v17
	v_bfe_u32 v18, v17, 16, 1
	v_or_b32_e32 v23, 0x400000, v17
	v_cmp_u_f32_e32 vcc_lo, v17, v17
	v_add3_u32 v18, v18, v17, 0x7fff
	v_cndmask_b32_e32 v17, v18, v23, vcc_lo
	buffer_load_dword v18, off, s[0:3], s32 offset:268 ; 4-byte Folded Reload
	v_and_b32_e32 v12, 0xffff0000, v17
	s_waitcnt vmcnt(0)
	v_lshlrev_b32_e32 v18, 16, v18
	v_mul_f32_e32 v18, v5, v18
	v_bfe_u32 v23, v18, 16, 1
	v_or_b32_e32 v24, 0x400000, v18
	v_cmp_u_f32_e32 vcc_lo, v18, v18
	v_add3_u32 v23, v23, v18, 0x7fff
	v_cndmask_b32_e32 v18, v23, v24, vcc_lo
	buffer_load_dword v23, off, s[0:3], s32 offset:264 ; 4-byte Folded Reload
	v_and_b32_e32 v1, 0xffff0000, v18
	v_add_f32_e32 v1, v1, v12
	v_add_f32_e32 v0, v0, v1
	s_waitcnt vmcnt(0)
	v_lshlrev_b32_e32 v23, 16, v23
	v_mul_f32_e32 v23, v2, v23
	v_bfe_u32 v24, v23, 16, 1
	v_or_b32_e32 v25, 0x400000, v23
	v_cmp_u_f32_e32 vcc_lo, v23, v23
	v_add3_u32 v24, v24, v23, 0x7fff
	v_cndmask_b32_e32 v23, v24, v25, vcc_lo
	buffer_load_dword v24, off, s[0:3], s32 offset:260 ; 4-byte Folded Reload
	v_and_b32_e32 v12, 0xffff0000, v23
	s_waitcnt vmcnt(0)
	v_lshlrev_b32_e32 v24, 16, v24
	v_mul_f32_e32 v24, v3, v24
	v_bfe_u32 v25, v24, 16, 1
	v_or_b32_e32 v26, 0x400000, v24
	v_cmp_u_f32_e32 vcc_lo, v24, v24
	v_add3_u32 v25, v25, v24, 0x7fff
	v_cndmask_b32_e32 v24, v25, v26, vcc_lo
	v_and_b32_e32 v1, 0xffff0000, v24
	v_add_f32_e32 v1, v1, v12
	v_add_f32_e32 v0, v0, v1
	;; [unrolled: 1-line block ×3, first 2 shown]
	buffer_load_dword v0, off, s[0:3], s32 offset:256 ; 4-byte Folded Reload
	s_waitcnt vmcnt(0)
	v_lshlrev_b32_e32 v0, 16, v0
	v_mul_f32_e32 v0, v8, v0
	v_bfe_u32 v1, v0, 16, 1
	v_or_b32_e32 v12, 0x400000, v0
	v_cmp_u_f32_e32 vcc_lo, v0, v0
	v_add3_u32 v1, v1, v0, 0x7fff
	v_cndmask_b32_e32 v0, v1, v12, vcc_lo
	buffer_load_dword v1, off, s[0:3], s32 offset:252 ; 4-byte Folded Reload
	v_and_b32_e32 v0, 0xffff0000, v0
	s_waitcnt vmcnt(0)
	v_lshlrev_b32_e32 v1, 16, v1
	v_mul_f32_e32 v1, v9, v1
	v_bfe_u32 v12, v1, 16, 1
	v_or_b32_e32 v13, 0x400000, v1
	v_cmp_u_f32_e32 vcc_lo, v1, v1
	v_add3_u32 v12, v12, v1, 0x7fff
	v_cndmask_b32_e32 v1, v12, v13, vcc_lo
	buffer_load_dword v12, off, s[0:3], s32 offset:248 ; 4-byte Folded Reload
	v_and_b32_e32 v1, 0xffff0000, v1
	v_add_f32_e32 v0, v1, v0
	s_waitcnt vmcnt(0)
	v_lshlrev_b32_e32 v12, 16, v12
	v_mul_f32_e32 v12, v6, v12
	v_bfe_u32 v13, v12, 16, 1
	v_or_b32_e32 v17, 0x400000, v12
	v_cmp_u_f32_e32 vcc_lo, v12, v12
	v_add3_u32 v13, v13, v12, 0x7fff
	v_cndmask_b32_e32 v12, v13, v17, vcc_lo
	buffer_load_dword v13, off, s[0:3], s32 offset:244 ; 4-byte Folded Reload
	v_and_b32_e32 v12, 0xffff0000, v12
	s_waitcnt vmcnt(0)
	v_lshlrev_b32_e32 v13, 16, v13
	v_mul_f32_e32 v13, v7, v13
	v_bfe_u32 v17, v13, 16, 1
	v_or_b32_e32 v18, 0x400000, v13
	v_cmp_u_f32_e32 vcc_lo, v13, v13
	v_add3_u32 v17, v17, v13, 0x7fff
	v_cndmask_b32_e32 v13, v17, v18, vcc_lo
	buffer_load_dword v17, off, s[0:3], s32 offset:240 ; 4-byte Folded Reload
	v_and_b32_e32 v1, 0xffff0000, v13
	v_add_f32_e32 v1, v1, v12
	v_add_f32_e32 v0, v0, v1
	s_waitcnt vmcnt(0)
	v_lshlrev_b32_e32 v17, 16, v17
	v_mul_f32_e32 v17, v4, v17
	v_bfe_u32 v18, v17, 16, 1
	v_or_b32_e32 v23, 0x400000, v17
	v_cmp_u_f32_e32 vcc_lo, v17, v17
	v_add3_u32 v18, v18, v17, 0x7fff
	v_cndmask_b32_e32 v17, v18, v23, vcc_lo
	buffer_load_dword v18, off, s[0:3], s32 offset:236 ; 4-byte Folded Reload
	v_and_b32_e32 v12, 0xffff0000, v17
	s_waitcnt vmcnt(0)
	v_lshlrev_b32_e32 v18, 16, v18
	v_mul_f32_e32 v18, v5, v18
	v_bfe_u32 v23, v18, 16, 1
	v_or_b32_e32 v24, 0x400000, v18
	v_cmp_u_f32_e32 vcc_lo, v18, v18
	v_add3_u32 v23, v23, v18, 0x7fff
	v_cndmask_b32_e32 v18, v23, v24, vcc_lo
	buffer_load_dword v23, off, s[0:3], s32 offset:232 ; 4-byte Folded Reload
	v_and_b32_e32 v1, 0xffff0000, v18
	v_add_f32_e32 v1, v1, v12
	v_add_f32_e32 v0, v0, v1
	s_waitcnt vmcnt(0)
	v_lshlrev_b32_e32 v23, 16, v23
	v_mul_f32_e32 v23, v2, v23
	v_bfe_u32 v24, v23, 16, 1
	v_or_b32_e32 v25, 0x400000, v23
	v_cmp_u_f32_e32 vcc_lo, v23, v23
	v_add3_u32 v24, v24, v23, 0x7fff
	v_cndmask_b32_e32 v23, v24, v25, vcc_lo
	buffer_load_dword v24, off, s[0:3], s32 offset:228 ; 4-byte Folded Reload
	v_and_b32_e32 v12, 0xffff0000, v23
	s_waitcnt vmcnt(0)
	v_lshlrev_b32_e32 v24, 16, v24
	v_mul_f32_e32 v24, v3, v24
	v_bfe_u32 v25, v24, 16, 1
	v_or_b32_e32 v26, 0x400000, v24
	v_cmp_u_f32_e32 vcc_lo, v24, v24
	v_add3_u32 v25, v25, v24, 0x7fff
	v_cndmask_b32_e32 v24, v25, v26, vcc_lo
	v_and_b32_e32 v1, 0xffff0000, v24
	v_add_f32_e32 v1, v1, v12
	v_add_f32_e32 v0, v0, v1
	;; [unrolled: 1-line block ×3, first 2 shown]
	buffer_load_dword v0, off, s[0:3], s32 offset:224 ; 4-byte Folded Reload
	s_waitcnt vmcnt(0)
	v_lshlrev_b32_e32 v0, 16, v0
	v_mul_f32_e32 v0, v8, v0
	v_bfe_u32 v1, v0, 16, 1
	v_or_b32_e32 v12, 0x400000, v0
	v_cmp_u_f32_e32 vcc_lo, v0, v0
	v_add3_u32 v1, v1, v0, 0x7fff
	v_cndmask_b32_e32 v0, v1, v12, vcc_lo
	buffer_load_dword v1, off, s[0:3], s32 offset:220 ; 4-byte Folded Reload
	v_and_b32_e32 v0, 0xffff0000, v0
	s_waitcnt vmcnt(0)
	v_lshlrev_b32_e32 v1, 16, v1
	v_mul_f32_e32 v1, v9, v1
	v_bfe_u32 v12, v1, 16, 1
	v_or_b32_e32 v13, 0x400000, v1
	v_cmp_u_f32_e32 vcc_lo, v1, v1
	v_add3_u32 v12, v12, v1, 0x7fff
	v_cndmask_b32_e32 v1, v12, v13, vcc_lo
	buffer_load_dword v12, off, s[0:3], s32 offset:216 ; 4-byte Folded Reload
	v_and_b32_e32 v1, 0xffff0000, v1
	v_add_f32_e32 v0, v1, v0
	s_waitcnt vmcnt(0)
	v_lshlrev_b32_e32 v12, 16, v12
	v_mul_f32_e32 v12, v6, v12
	v_bfe_u32 v13, v12, 16, 1
	v_or_b32_e32 v17, 0x400000, v12
	v_cmp_u_f32_e32 vcc_lo, v12, v12
	v_add3_u32 v13, v13, v12, 0x7fff
	v_cndmask_b32_e32 v12, v13, v17, vcc_lo
	buffer_load_dword v13, off, s[0:3], s32 offset:212 ; 4-byte Folded Reload
	v_and_b32_e32 v12, 0xffff0000, v12
	s_waitcnt vmcnt(0)
	v_lshlrev_b32_e32 v13, 16, v13
	v_mul_f32_e32 v13, v7, v13
	v_bfe_u32 v17, v13, 16, 1
	v_or_b32_e32 v18, 0x400000, v13
	v_cmp_u_f32_e32 vcc_lo, v13, v13
	v_add3_u32 v17, v17, v13, 0x7fff
	v_cndmask_b32_e32 v13, v17, v18, vcc_lo
	buffer_load_dword v17, off, s[0:3], s32 offset:208 ; 4-byte Folded Reload
	v_and_b32_e32 v1, 0xffff0000, v13
	v_add_f32_e32 v1, v1, v12
	v_add_f32_e32 v0, v0, v1
	s_waitcnt vmcnt(0)
	v_lshlrev_b32_e32 v17, 16, v17
	v_mul_f32_e32 v17, v4, v17
	v_bfe_u32 v18, v17, 16, 1
	v_or_b32_e32 v23, 0x400000, v17
	v_cmp_u_f32_e32 vcc_lo, v17, v17
	v_add3_u32 v18, v18, v17, 0x7fff
	v_cndmask_b32_e32 v17, v18, v23, vcc_lo
	buffer_load_dword v18, off, s[0:3], s32 offset:200 ; 4-byte Folded Reload
	v_and_b32_e32 v12, 0xffff0000, v17
	s_waitcnt vmcnt(0)
	v_lshlrev_b32_e32 v18, 16, v18
	v_mul_f32_e32 v18, v5, v18
	v_bfe_u32 v23, v18, 16, 1
	v_or_b32_e32 v24, 0x400000, v18
	v_cmp_u_f32_e32 vcc_lo, v18, v18
	v_add3_u32 v23, v23, v18, 0x7fff
	v_cndmask_b32_e32 v18, v23, v24, vcc_lo
	buffer_load_dword v23, off, s[0:3], s32 offset:204 ; 4-byte Folded Reload
	v_and_b32_e32 v1, 0xffff0000, v18
	v_add_f32_e32 v1, v1, v12
	v_add_f32_e32 v0, v0, v1
	s_waitcnt vmcnt(0)
	v_lshlrev_b32_e32 v23, 16, v23
	v_mul_f32_e32 v23, v2, v23
	v_bfe_u32 v24, v23, 16, 1
	v_or_b32_e32 v25, 0x400000, v23
	v_cmp_u_f32_e32 vcc_lo, v23, v23
	v_add3_u32 v24, v24, v23, 0x7fff
	v_cndmask_b32_e32 v23, v24, v25, vcc_lo
	buffer_load_dword v24, off, s[0:3], s32 offset:196 ; 4-byte Folded Reload
	v_and_b32_e32 v12, 0xffff0000, v23
	s_waitcnt vmcnt(0)
	v_lshlrev_b32_e32 v24, 16, v24
	v_mul_f32_e32 v24, v3, v24
	v_bfe_u32 v25, v24, 16, 1
	v_or_b32_e32 v26, 0x400000, v24
	v_cmp_u_f32_e32 vcc_lo, v24, v24
	v_add3_u32 v25, v25, v24, 0x7fff
	v_cndmask_b32_e32 v24, v25, v26, vcc_lo
	v_and_b32_e32 v1, 0xffff0000, v24
	v_add_f32_e32 v1, v1, v12
	v_add_f32_e32 v0, v0, v1
	;; [unrolled: 1-line block ×3, first 2 shown]
	v_lshlrev_b32_e32 v0, 16, v98
	v_mul_f32_e32 v0, v9, v0
	v_bfe_u32 v1, v0, 16, 1
	v_or_b32_e32 v9, 0x400000, v0
	v_cmp_u_f32_e32 vcc_lo, v0, v0
	v_add3_u32 v1, v1, v0, 0x7fff
	v_cndmask_b32_e32 v0, v1, v9, vcc_lo
	v_lshlrev_b32_e32 v1, 16, v22
	v_and_b32_e32 v0, 0xffff0000, v0
	v_mul_f32_e32 v1, v8, v1
	v_bfe_u32 v8, v1, 16, 1
	v_or_b32_e32 v9, 0x400000, v1
	v_cmp_u_f32_e32 vcc_lo, v1, v1
	v_add3_u32 v8, v8, v1, 0x7fff
	v_cndmask_b32_e32 v1, v8, v9, vcc_lo
	v_lshlrev_b32_e32 v8, 16, v20
	v_and_b32_e32 v1, 0xffff0000, v1
	v_mul_f32_e32 v7, v7, v8
	v_add_f32_e32 v0, v0, v1
	v_bfe_u32 v8, v7, 16, 1
	v_or_b32_e32 v9, 0x400000, v7
	v_cmp_u_f32_e32 vcc_lo, v7, v7
	v_add3_u32 v8, v8, v7, 0x7fff
	v_cndmask_b32_e32 v7, v8, v9, vcc_lo
	v_lshlrev_b32_e32 v8, 16, v16
	v_mul_f32_e32 v6, v6, v8
	v_bfe_u32 v8, v6, 16, 1
	v_or_b32_e32 v9, 0x400000, v6
	v_cmp_u_f32_e32 vcc_lo, v6, v6
	v_add3_u32 v8, v8, v6, 0x7fff
	v_cndmask_b32_e32 v6, v8, v9, vcc_lo
	v_lshlrev_b32_e32 v8, 16, v15
	v_and_b32_e32 v1, 0xffff0000, v6
	v_mul_f32_e32 v5, v5, v8
	v_and_b32_e32 v6, 0xffff0000, v7
	v_bfe_u32 v8, v5, 16, 1
	v_or_b32_e32 v9, 0x400000, v5
	v_cmp_u_f32_e32 vcc_lo, v5, v5
	v_add_f32_e32 v1, v6, v1
	v_add3_u32 v8, v8, v5, 0x7fff
	v_add_f32_e32 v0, v0, v1
	v_cndmask_b32_e32 v5, v8, v9, vcc_lo
	v_lshlrev_b32_e32 v8, 16, v10
	v_mul_f32_e32 v4, v4, v8
	v_bfe_u32 v8, v4, 16, 1
	v_or_b32_e32 v9, 0x400000, v4
	v_cmp_u_f32_e32 vcc_lo, v4, v4
	v_add3_u32 v8, v8, v4, 0x7fff
	v_cndmask_b32_e32 v4, v8, v9, vcc_lo
	v_lshlrev_b32_e32 v8, 16, v19
	v_and_b32_e32 v1, 0xffff0000, v4
	v_mul_f32_e32 v3, v3, v8
	v_and_b32_e32 v4, 0xffff0000, v5
	v_bfe_u32 v8, v3, 16, 1
	v_or_b32_e32 v9, 0x400000, v3
	v_cmp_u_f32_e32 vcc_lo, v3, v3
	v_add_f32_e32 v1, v4, v1
	v_add3_u32 v8, v8, v3, 0x7fff
	v_add_f32_e32 v0, v0, v1
	v_cndmask_b32_e32 v3, v8, v9, vcc_lo
	v_lshlrev_b32_e32 v8, 16, v21
	v_mul_f32_e32 v2, v2, v8
	v_bfe_u32 v8, v2, 16, 1
	v_or_b32_e32 v9, 0x400000, v2
	v_cmp_u_f32_e32 vcc_lo, v2, v2
	v_add3_u32 v8, v8, v2, 0x7fff
	v_cndmask_b32_e32 v2, v8, v9, vcc_lo
	v_and_b32_e32 v1, 0xffff0000, v2
	v_and_b32_e32 v2, 0xffff0000, v3
	v_add_f32_e32 v1, v2, v1
	v_add_f32_e32 v0, v0, v1
	;; [unrolled: 1-line block ×3, first 2 shown]
	buffer_load_dword v0, off, s[0:3], s32 offset:192 ; 4-byte Folded Reload
	s_waitcnt vmcnt(0)
	v_cmp_ge_i32_e32 vcc_lo, v14, v0
	s_or_b32 s15, vcc_lo, s15
	s_andn2_b32 exec_lo, exec_lo, s15
	s_cbranch_execz .LBB370_3148
.LBB370_1564:                           ; =>This Inner Loop Header: Depth=1
	buffer_load_dword v2, off, s[0:3], s32 offset:668 ; 4-byte Folded Reload
	v_mov_b32_e32 v15, v11
	s_waitcnt vmcnt(1)
	v_lshlrev_b64 v[0:1], 2, v[14:15]
	s_waitcnt vmcnt(0)
	v_add_co_u32 v0, vcc_lo, v2, v0
	buffer_load_dword v2, off, s[0:3], s32 offset:672 ; 4-byte Folded Reload
	s_waitcnt vmcnt(0)
	v_add_co_ci_u32_e64 v1, null, v2, v1, vcc_lo
	flat_load_dword v0, v[0:1]
	s_clause 0x2
	buffer_load_dword v1, off, s[0:3], s32 offset:584
	buffer_load_dword v2, off, s[0:3], s32 offset:680
	;; [unrolled: 1-line block ×3, first 2 shown]
	s_waitcnt vmcnt(0) lgkmcnt(0)
	v_mad_i64_i32 v[15:16], null, v0, v1, v[2:3]
	buffer_load_dword v0, off, s[0:3], s32 offset:676 ; 4-byte Folded Reload
	flat_load_dwordx2 v[19:20], v[15:16]
	s_waitcnt vmcnt(1)
	v_lshl_or_b32 v91, v14, 5, v0
	v_lshl_add_u32 v0, v91, 2, s9
	ds_read2_b64 v[6:9], v0 offset1:1
	ds_read2_b64 v[2:5], v0 offset0:2 offset1:3
	s_waitcnt vmcnt(0) lgkmcnt(2)
	v_cmp_ne_u16_sdwa s18, v19, v11 src0_sel:BYTE_0 src1_sel:DWORD
	v_mov_b32_e32 v0, 0
	s_and_saveexec_b32 s4, s18
	s_cbranch_execz .LBB370_1572
; %bb.1565:                             ;   in Loop: Header=BB370_1564 Depth=1
	v_cmp_ne_u16_sdwa s19, v19, v83 src0_sel:BYTE_0 src1_sel:DWORD
	v_bfrev_b32_e32 v0, 1
	s_and_saveexec_b32 s18, s19
	s_cbranch_execz .LBB370_1571
; %bb.1566:                             ;   in Loop: Header=BB370_1564 Depth=1
	v_and_b32_e32 v1, 0x7f, v19
	v_mov_b32_e32 v0, 0x7f800001
	s_mov_b32 s19, exec_lo
	v_cmpx_ne_u32_e32 0x7f, v1
	s_cbranch_execz .LBB370_1570
; %bb.1567:                             ;   in Loop: Header=BB370_1564 Depth=1
	v_mov_b32_e32 v22, v20
	v_lshrrev_b32_e32 v0, 3, v1
	v_mov_b32_e32 v21, v19
	s_mov_b32 s20, exec_lo
	v_cmpx_gt_u32_e32 8, v1
; %bb.1568:                             ;   in Loop: Header=BB370_1564 Depth=1
	v_and_b32_e32 v0, 7, v19
	v_ffbh_u32_e32 v0, v0
	v_min_u32_e32 v0, 32, v0
	v_subrev_nc_u32_e32 v1, 28, v0
	v_sub_nc_u32_e32 v0, 29, v0
	v_lshlrev_b64 v[21:22], v1, v[19:20]
; %bb.1569:                             ;   in Loop: Header=BB370_1564 Depth=1
	s_or_b32 exec_lo, exec_lo, s20
	v_lshlrev_b32_e32 v1, 20, v21
	v_lshlrev_b32_e32 v10, 24, v19
	v_lshl_add_u32 v0, v0, 23, 0x3c000000
	v_and_b32_e32 v1, 0x700000, v1
	v_and_b32_e32 v10, 0x80000000, v10
	v_or3_b32 v0, v1, v10, v0
.LBB370_1570:                           ;   in Loop: Header=BB370_1564 Depth=1
	s_or_b32 exec_lo, exec_lo, s19
.LBB370_1571:                           ;   in Loop: Header=BB370_1564 Depth=1
	s_or_b32 exec_lo, exec_lo, s18
.LBB370_1572:                           ;   in Loop: Header=BB370_1564 Depth=1
	s_or_b32 exec_lo, exec_lo, s4
	v_cmp_ne_u16_sdwa s18, v19, v11 src0_sel:BYTE_1 src1_sel:DWORD
	v_mov_b32_e32 v12, 0
	v_mov_b32_e32 v1, 0
	s_and_saveexec_b32 s4, s18
	s_cbranch_execz .LBB370_1580
; %bb.1573:                             ;   in Loop: Header=BB370_1564 Depth=1
	v_cmp_ne_u16_sdwa s19, v19, v83 src0_sel:BYTE_1 src1_sel:DWORD
	v_bfrev_b32_e32 v1, 1
	s_and_saveexec_b32 s18, s19
	s_cbranch_execz .LBB370_1579
; %bb.1574:                             ;   in Loop: Header=BB370_1564 Depth=1
	v_mov_b32_e32 v1, 0xffff
	s_mov_b32 s19, exec_lo
	v_and_b32_sdwa v10, v1, v19 dst_sel:DWORD dst_unused:UNUSED_PAD src0_sel:DWORD src1_sel:BYTE_1
	v_mov_b32_e32 v1, 0x7f800001
	v_and_b32_e32 v13, 0x7f, v10
	v_cmpx_ne_u32_e32 0x7f, v13
	s_cbranch_execz .LBB370_1578
; %bb.1575:                             ;   in Loop: Header=BB370_1564 Depth=1
	v_and_b32_e32 v10, 7, v10
	v_mov_b32_e32 v22, v11
	v_lshrrev_b32_e32 v1, 3, v13
	s_mov_b32 s20, exec_lo
	v_mov_b32_e32 v21, v10
	v_cmpx_gt_u32_e32 8, v13
; %bb.1576:                             ;   in Loop: Header=BB370_1564 Depth=1
	v_ffbh_u32_e32 v1, v10
	v_min_u32_e32 v1, 32, v1
	v_subrev_nc_u32_e32 v13, 28, v1
	v_sub_nc_u32_e32 v1, 29, v1
	v_lshlrev_b64 v[17:18], v13, v[10:11]
	v_and_b32_e32 v21, 7, v17
; %bb.1577:                             ;   in Loop: Header=BB370_1564 Depth=1
	s_or_b32 exec_lo, exec_lo, s20
	v_lshlrev_b32_e32 v10, 16, v19
	v_lshlrev_b32_e32 v13, 20, v21
	v_lshl_add_u32 v1, v1, 23, 0x3c000000
	v_and_b32_e32 v10, 0x80000000, v10
	v_or3_b32 v1, v13, v10, v1
.LBB370_1578:                           ;   in Loop: Header=BB370_1564 Depth=1
	s_or_b32 exec_lo, exec_lo, s19
.LBB370_1579:                           ;   in Loop: Header=BB370_1564 Depth=1
	s_or_b32 exec_lo, exec_lo, s18
.LBB370_1580:                           ;   in Loop: Header=BB370_1564 Depth=1
	s_or_b32 exec_lo, exec_lo, s4
	v_and_b32_sdwa v10, v19, v85 dst_sel:DWORD dst_unused:UNUSED_PAD src0_sel:WORD_1 src1_sel:DWORD
	s_mov_b32 s4, exec_lo
	v_cmpx_ne_u16_e32 0, v10
	s_cbranch_execz .LBB370_1588
; %bb.1581:                             ;   in Loop: Header=BB370_1564 Depth=1
	v_bfrev_b32_e32 v12, 1
	s_mov_b32 s18, exec_lo
	v_cmpx_ne_u16_e32 0x80, v10
	s_cbranch_execz .LBB370_1587
; %bb.1582:                             ;   in Loop: Header=BB370_1564 Depth=1
	v_bfe_u32 v13, v19, 16, 7
	v_mov_b32_e32 v12, 0x7f800001
	s_mov_b32 s19, exec_lo
	v_cmpx_ne_u32_e32 0x7f, v13
	s_cbranch_execz .LBB370_1586
; %bb.1583:                             ;   in Loop: Header=BB370_1564 Depth=1
	v_mov_b32_e32 v10, 7
	v_lshrrev_b32_e32 v12, 3, v13
	s_mov_b32 s20, exec_lo
	v_and_b32_sdwa v10, v19, v10 dst_sel:DWORD dst_unused:UNUSED_PAD src0_sel:WORD_1 src1_sel:DWORD
	v_mov_b32_e32 v22, v11
	v_mov_b32_e32 v21, v10
	v_cmpx_gt_u32_e32 8, v13
; %bb.1584:                             ;   in Loop: Header=BB370_1564 Depth=1
	v_ffbh_u32_e32 v12, v10
	v_min_u32_e32 v12, 32, v12
	v_subrev_nc_u32_e32 v13, 28, v12
	v_sub_nc_u32_e32 v12, 29, v12
	v_lshlrev_b64 v[17:18], v13, v[10:11]
	v_and_b32_e32 v21, 7, v17
; %bb.1585:                             ;   in Loop: Header=BB370_1564 Depth=1
	s_or_b32 exec_lo, exec_lo, s20
	v_mov_b32_e32 v10, 24
	v_lshlrev_b32_e32 v13, 20, v21
	v_lshl_add_u32 v12, v12, 23, 0x3c000000
	v_lshlrev_b32_sdwa v10, v10, v19 dst_sel:DWORD dst_unused:UNUSED_PAD src0_sel:DWORD src1_sel:WORD_1
	v_and_b32_e32 v10, 0x80000000, v10
	v_or3_b32 v12, v13, v10, v12
.LBB370_1586:                           ;   in Loop: Header=BB370_1564 Depth=1
	s_or_b32 exec_lo, exec_lo, s19
.LBB370_1587:                           ;   in Loop: Header=BB370_1564 Depth=1
	s_or_b32 exec_lo, exec_lo, s18
.LBB370_1588:                           ;   in Loop: Header=BB370_1564 Depth=1
	s_or_b32 exec_lo, exec_lo, s4
	v_mov_b32_e32 v17, 0
	v_mov_b32_e32 v13, 0
	s_mov_b32 s4, exec_lo
	v_cmpx_lt_u32_e32 0xffffff, v19
	s_cbranch_execz .LBB370_1596
; %bb.1589:                             ;   in Loop: Header=BB370_1564 Depth=1
	v_cmp_ne_u32_sdwa s19, v19, v83 src0_sel:BYTE_3 src1_sel:DWORD
	v_bfrev_b32_e32 v13, 1
	s_and_saveexec_b32 s18, s19
	s_cbranch_execz .LBB370_1595
; %bb.1590:                             ;   in Loop: Header=BB370_1564 Depth=1
	v_bfe_u32 v18, v19, 24, 7
	v_mov_b32_e32 v13, 0x7f800001
	s_mov_b32 s19, exec_lo
	v_cmpx_ne_u32_e32 0x7f, v18
	s_cbranch_execz .LBB370_1594
; %bb.1591:                             ;   in Loop: Header=BB370_1564 Depth=1
	v_mov_b32_e32 v10, 7
	v_lshrrev_b32_e32 v13, 3, v18
	s_mov_b32 s20, exec_lo
	v_and_b32_sdwa v10, v19, v10 dst_sel:DWORD dst_unused:UNUSED_PAD src0_sel:BYTE_3 src1_sel:DWORD
	v_mov_b32_e32 v22, v11
	v_mov_b32_e32 v21, v10
	v_cmpx_gt_u32_e32 8, v18
; %bb.1592:                             ;   in Loop: Header=BB370_1564 Depth=1
	v_ffbh_u32_e32 v13, v10
	v_min_u32_e32 v13, 32, v13
	v_subrev_nc_u32_e32 v18, 28, v13
	v_sub_nc_u32_e32 v13, 29, v13
	v_lshlrev_b64 v[21:22], v18, v[10:11]
	v_and_b32_e32 v21, 7, v21
; %bb.1593:                             ;   in Loop: Header=BB370_1564 Depth=1
	s_or_b32 exec_lo, exec_lo, s20
	v_mov_b32_e32 v10, 24
	v_lshlrev_b32_e32 v18, 20, v21
	v_lshl_add_u32 v13, v13, 23, 0x3c000000
	v_lshlrev_b32_sdwa v10, v10, v19 dst_sel:DWORD dst_unused:UNUSED_PAD src0_sel:DWORD src1_sel:BYTE_3
	v_and_b32_e32 v10, 0x80000000, v10
	v_or3_b32 v13, v18, v10, v13
.LBB370_1594:                           ;   in Loop: Header=BB370_1564 Depth=1
	s_or_b32 exec_lo, exec_lo, s19
.LBB370_1595:                           ;   in Loop: Header=BB370_1564 Depth=1
	s_or_b32 exec_lo, exec_lo, s18
.LBB370_1596:                           ;   in Loop: Header=BB370_1564 Depth=1
	s_or_b32 exec_lo, exec_lo, s4
	v_mov_b32_e32 v10, v20
	v_cmp_ne_u16_sdwa s18, v20, v11 src0_sel:BYTE_0 src1_sel:DWORD
	s_and_saveexec_b32 s4, s18
	s_cbranch_execz .LBB370_1604
; %bb.1597:                             ;   in Loop: Header=BB370_1564 Depth=1
	v_cmp_ne_u16_sdwa s19, v20, v83 src0_sel:BYTE_0 src1_sel:DWORD
	v_bfrev_b32_e32 v17, 1
	s_and_saveexec_b32 s18, s19
	s_cbranch_execz .LBB370_1603
; %bb.1598:                             ;   in Loop: Header=BB370_1564 Depth=1
	v_and_b32_e32 v18, 0x7f, v20
	v_mov_b32_e32 v17, 0x7f800001
	s_mov_b32 s19, exec_lo
	v_cmpx_ne_u32_e32 0x7f, v18
	s_cbranch_execz .LBB370_1602
; %bb.1599:                             ;   in Loop: Header=BB370_1564 Depth=1
	v_mov_b32_e32 v22, v11
	v_lshrrev_b32_e32 v17, 3, v18
	v_mov_b32_e32 v21, v10
	s_mov_b32 s20, exec_lo
	v_cmpx_gt_u32_e32 8, v18
; %bb.1600:                             ;   in Loop: Header=BB370_1564 Depth=1
	v_and_b32_e32 v17, 7, v20
	v_ffbh_u32_e32 v17, v17
	v_min_u32_e32 v17, 32, v17
	v_subrev_nc_u32_e32 v18, 28, v17
	v_sub_nc_u32_e32 v17, 29, v17
	v_lshlrev_b64 v[21:22], v18, v[10:11]
; %bb.1601:                             ;   in Loop: Header=BB370_1564 Depth=1
	s_or_b32 exec_lo, exec_lo, s20
	v_lshlrev_b32_e32 v18, 20, v21
	v_lshlrev_b32_e32 v21, 24, v10
	v_lshl_add_u32 v17, v17, 23, 0x3c000000
	v_and_b32_e32 v18, 0x700000, v18
	v_and_b32_e32 v21, 0x80000000, v21
	v_or3_b32 v17, v18, v21, v17
.LBB370_1602:                           ;   in Loop: Header=BB370_1564 Depth=1
	s_or_b32 exec_lo, exec_lo, s19
.LBB370_1603:                           ;   in Loop: Header=BB370_1564 Depth=1
	s_or_b32 exec_lo, exec_lo, s18
.LBB370_1604:                           ;   in Loop: Header=BB370_1564 Depth=1
	s_or_b32 exec_lo, exec_lo, s4
	v_cmp_ne_u16_sdwa s18, v10, v11 src0_sel:BYTE_1 src1_sel:DWORD
	v_mov_b32_e32 v18, 0
	v_mov_b32_e32 v23, 0
	s_and_saveexec_b32 s4, s18
	s_cbranch_execz .LBB370_1612
; %bb.1605:                             ;   in Loop: Header=BB370_1564 Depth=1
	v_cmp_ne_u16_sdwa s19, v10, v83 src0_sel:BYTE_1 src1_sel:DWORD
	v_bfrev_b32_e32 v23, 1
	s_and_saveexec_b32 s18, s19
	s_cbranch_execz .LBB370_1611
; %bb.1606:                             ;   in Loop: Header=BB370_1564 Depth=1
	v_mov_b32_e32 v21, 0xffff
	v_mov_b32_e32 v23, 0x7f800001
	s_mov_b32 s19, exec_lo
	v_and_b32_sdwa v21, v21, v10 dst_sel:DWORD dst_unused:UNUSED_PAD src0_sel:DWORD src1_sel:BYTE_1
	v_and_b32_e32 v24, 0x7f, v21
	v_cmpx_ne_u32_e32 0x7f, v24
	s_cbranch_execz .LBB370_1610
; %bb.1607:                             ;   in Loop: Header=BB370_1564 Depth=1
	v_and_b32_e32 v21, 7, v21
	v_mov_b32_e32 v22, v11
	v_lshrrev_b32_e32 v23, 3, v24
	s_mov_b32 s20, exec_lo
	v_cmpx_gt_u32_e32 8, v24
; %bb.1608:                             ;   in Loop: Header=BB370_1564 Depth=1
	v_ffbh_u32_e32 v23, v21
	v_min_u32_e32 v23, 32, v23
	v_subrev_nc_u32_e32 v24, 28, v23
	v_sub_nc_u32_e32 v23, 29, v23
	v_lshlrev_b64 v[21:22], v24, v[21:22]
	v_and_b32_e32 v21, 7, v21
; %bb.1609:                             ;   in Loop: Header=BB370_1564 Depth=1
	s_or_b32 exec_lo, exec_lo, s20
	v_lshlrev_b32_e32 v10, 16, v10
	v_lshlrev_b32_e32 v21, 20, v21
	v_lshl_add_u32 v22, v23, 23, 0x3c000000
	v_and_b32_e32 v10, 0x80000000, v10
	v_or3_b32 v23, v21, v10, v22
.LBB370_1610:                           ;   in Loop: Header=BB370_1564 Depth=1
	s_or_b32 exec_lo, exec_lo, s19
.LBB370_1611:                           ;   in Loop: Header=BB370_1564 Depth=1
	s_or_b32 exec_lo, exec_lo, s18
.LBB370_1612:                           ;   in Loop: Header=BB370_1564 Depth=1
	s_or_b32 exec_lo, exec_lo, s4
	v_and_b32_sdwa v10, v20, v85 dst_sel:DWORD dst_unused:UNUSED_PAD src0_sel:WORD_1 src1_sel:DWORD
	s_mov_b32 s4, exec_lo
	v_cmpx_ne_u16_e32 0, v10
	s_cbranch_execz .LBB370_1620
; %bb.1613:                             ;   in Loop: Header=BB370_1564 Depth=1
	v_bfrev_b32_e32 v18, 1
	s_mov_b32 s18, exec_lo
	v_cmpx_ne_u16_e32 0x80, v10
	s_cbranch_execz .LBB370_1619
; %bb.1614:                             ;   in Loop: Header=BB370_1564 Depth=1
	v_bfe_u32 v21, v20, 16, 7
	v_mov_b32_e32 v18, 0x7f800001
	s_mov_b32 s19, exec_lo
	v_cmpx_ne_u32_e32 0x7f, v21
	s_cbranch_execz .LBB370_1618
; %bb.1615:                             ;   in Loop: Header=BB370_1564 Depth=1
	v_mov_b32_e32 v10, 7
	v_lshrrev_b32_e32 v18, 3, v21
	v_cmp_gt_u32_e32 vcc_lo, 8, v21
	v_and_b32_sdwa v10, v20, v10 dst_sel:DWORD dst_unused:UNUSED_PAD src0_sel:WORD_1 src1_sel:DWORD
	v_mov_b32_e32 v22, v11
	v_mov_b32_e32 v21, v10
	s_and_saveexec_b32 s20, vcc_lo
; %bb.1616:                             ;   in Loop: Header=BB370_1564 Depth=1
	v_ffbh_u32_e32 v18, v10
	v_min_u32_e32 v18, 32, v18
	v_subrev_nc_u32_e32 v21, 28, v18
	v_sub_nc_u32_e32 v18, 29, v18
	v_lshlrev_b64 v[21:22], v21, v[10:11]
	v_and_b32_e32 v21, 7, v21
; %bb.1617:                             ;   in Loop: Header=BB370_1564 Depth=1
	s_or_b32 exec_lo, exec_lo, s20
	v_mov_b32_e32 v10, 24
	v_lshlrev_b32_e32 v21, 20, v21
	v_lshl_add_u32 v18, v18, 23, 0x3c000000
	v_lshlrev_b32_sdwa v10, v10, v20 dst_sel:DWORD dst_unused:UNUSED_PAD src0_sel:DWORD src1_sel:WORD_1
	v_and_b32_e32 v10, 0x80000000, v10
	v_or3_b32 v18, v21, v10, v18
.LBB370_1618:                           ;   in Loop: Header=BB370_1564 Depth=1
	s_or_b32 exec_lo, exec_lo, s19
.LBB370_1619:                           ;   in Loop: Header=BB370_1564 Depth=1
	s_or_b32 exec_lo, exec_lo, s18
.LBB370_1620:                           ;   in Loop: Header=BB370_1564 Depth=1
	s_or_b32 exec_lo, exec_lo, s4
	v_mov_b32_e32 v10, 0
	s_mov_b32 s4, exec_lo
	v_cmpx_lt_u64_e64 s[6:7], v[19:20]
	s_cbranch_execz .LBB370_1628
; %bb.1621:                             ;   in Loop: Header=BB370_1564 Depth=1
	v_cmp_ne_u32_sdwa s19, v20, v83 src0_sel:BYTE_3 src1_sel:DWORD
	v_bfrev_b32_e32 v10, 1
	s_and_saveexec_b32 s18, s19
	s_cbranch_execz .LBB370_1627
; %bb.1622:                             ;   in Loop: Header=BB370_1564 Depth=1
	v_bfe_u32 v21, v20, 24, 7
	v_mov_b32_e32 v10, 0x7f800001
	s_mov_b32 s19, exec_lo
	v_cmpx_ne_u32_e32 0x7f, v21
	s_cbranch_execz .LBB370_1626
; %bb.1623:                             ;   in Loop: Header=BB370_1564 Depth=1
	v_mov_b32_e32 v10, 7
	v_lshrrev_b32_e32 v19, 3, v21
	v_cmp_gt_u32_e32 vcc_lo, 8, v21
	v_and_b32_sdwa v10, v20, v10 dst_sel:DWORD dst_unused:UNUSED_PAD src0_sel:BYTE_3 src1_sel:DWORD
	v_mov_b32_e32 v22, v11
	v_mov_b32_e32 v21, v10
	s_and_saveexec_b32 s20, vcc_lo
; %bb.1624:                             ;   in Loop: Header=BB370_1564 Depth=1
	v_ffbh_u32_e32 v19, v10
	v_min_u32_e32 v19, 32, v19
	v_subrev_nc_u32_e32 v21, 28, v19
	v_sub_nc_u32_e32 v19, 29, v19
	v_lshlrev_b64 v[21:22], v21, v[10:11]
	v_and_b32_e32 v21, 7, v21
; %bb.1625:                             ;   in Loop: Header=BB370_1564 Depth=1
	s_or_b32 exec_lo, exec_lo, s20
	v_mov_b32_e32 v10, 24
	v_lshl_add_u32 v19, v19, 23, 0x3c000000
	v_lshlrev_b32_sdwa v10, v10, v20 dst_sel:DWORD dst_unused:UNUSED_PAD src0_sel:DWORD src1_sel:BYTE_3
	v_lshlrev_b32_e32 v20, 20, v21
	v_and_b32_e32 v10, 0x80000000, v10
	v_or3_b32 v10, v20, v10, v19
.LBB370_1626:                           ;   in Loop: Header=BB370_1564 Depth=1
	s_or_b32 exec_lo, exec_lo, s19
.LBB370_1627:                           ;   in Loop: Header=BB370_1564 Depth=1
	s_or_b32 exec_lo, exec_lo, s18
.LBB370_1628:                           ;   in Loop: Header=BB370_1564 Depth=1
	s_or_b32 exec_lo, exec_lo, s4
	buffer_load_dword v20, off, s[0:3], s32 offset:192 ; 4-byte Folded Reload
	v_mul_f32_e32 v19, v71, v23
	v_mul_f32_e32 v17, v71, v17
	;; [unrolled: 1-line block ×5, first 2 shown]
	v_bfe_u32 v21, v19, 16, 1
	v_bfe_u32 v22, v17, 16, 1
	v_cmp_u_f32_e64 s4, v19, v19
	v_or_b32_e32 v23, 0x400000, v17
	v_bfe_u32 v24, v13, 16, 1
	v_add3_u32 v21, v21, v19, 0x7fff
	v_add3_u32 v22, v22, v17, 0x7fff
	v_or_b32_e32 v25, 0x400000, v13
	v_mul_f32_e32 v0, v71, v0
	v_mul_f32_e32 v10, v71, v10
	v_or_b32_e32 v111, 1, v91
	v_or_b32_e32 v110, 2, v91
	;; [unrolled: 1-line block ×7, first 2 shown]
	s_waitcnt vmcnt(0)
	v_add_nc_u32_e32 v20, -1, v20
	v_cmp_eq_u32_e32 vcc_lo, v14, v20
	v_or_b32_e32 v20, 0x400000, v19
	v_cndmask_b32_e64 v19, v21, v20, s4
	v_cmp_u_f32_e64 s4, v17, v17
	v_add3_u32 v21, v24, v13, 0x7fff
	v_bfe_u32 v20, v12, 16, 1
	v_lshrrev_b32_e32 v19, 16, v19
	v_cndmask_b32_e64 v17, v22, v23, s4
	v_cmp_u_f32_e64 s4, v13, v13
	v_or_b32_e32 v22, 0x400000, v10
	buffer_store_dword v19, off, s[0:3], s32 offset:208 ; 4-byte Folded Spill
	v_add3_u32 v19, v20, v12, 0x7fff
	v_cndmask_b32_e64 v13, v21, v25, s4
	v_or_b32_e32 v20, 0x400000, v12
	v_lshrrev_b32_e32 v17, 16, v17
	v_cmp_u_f32_e64 s4, v12, v12
	v_lshrrev_b32_e32 v13, 16, v13
	buffer_store_dword v17, off, s[0:3], s32 offset:200 ; 4-byte Folded Spill
	v_cndmask_b32_e64 v12, v19, v20, s4
	v_mul_f32_e32 v17, v71, v18
	buffer_store_dword v13, off, s[0:3], s32 offset:216 ; 4-byte Folded Spill
	v_bfe_u32 v13, v1, 16, 1
	v_or_b32_e32 v18, 0x400000, v1
	v_bfe_u32 v19, v0, 16, 1
	v_cmp_u_f32_e64 s4, v1, v1
	v_bfe_u32 v20, v17, 16, 1
	v_add3_u32 v13, v13, v1, 0x7fff
	v_or_b32_e32 v21, 0x400000, v17
	v_lshrrev_b32_e32 v12, 16, v12
	v_add3_u32 v20, v20, v17, 0x7fff
	v_cndmask_b32_e64 v1, v13, v18, s4
	v_add3_u32 v18, v19, v0, 0x7fff
	v_or_b32_e32 v19, 0x400000, v0
	v_cmp_u_f32_e64 s4, v0, v0
	v_bfe_u32 v13, v10, 16, 1
	v_lshrrev_b32_e32 v1, 16, v1
	buffer_store_dword v12, off, s[0:3], s32 offset:212 ; 4-byte Folded Spill
	v_cndmask_b32_e64 v0, v18, v19, s4
	v_cmp_u_f32_e64 s4, v17, v17
	v_add3_u32 v13, v13, v10, 0x7fff
	buffer_store_dword v1, off, s[0:3], s32 offset:224 ; 4-byte Folded Spill
	v_lshrrev_b32_e32 v0, 16, v0
	v_cndmask_b32_e64 v17, v20, v21, s4
	v_cmp_u_f32_e64 s4, v10, v10
	buffer_store_dword v0, off, s[0:3], s32 offset:220 ; 4-byte Folded Spill
	v_lshrrev_b32_e32 v0, 16, v17
	v_cndmask_b32_e64 v10, v13, v22, s4
	buffer_store_dword v0, off, s[0:3], s32 offset:196 ; 4-byte Folded Spill
	v_lshrrev_b32_e32 v0, 16, v10
	buffer_store_dword v0, off, s[0:3], s32 offset:204 ; 4-byte Folded Spill
	s_and_saveexec_b32 s18, vcc_lo
	s_cbranch_execz .LBB370_1630
; %bb.1629:                             ;   in Loop: Header=BB370_1564 Depth=1
	buffer_load_dword v0, off, s[0:3], s32 offset:220 ; 4-byte Folded Reload
	v_cmp_lt_i32_e64 s4, v91, v88
	s_waitcnt vmcnt(0)
	v_cndmask_b32_e64 v0, 0, v0, s4
	v_cmp_lt_i32_e64 s4, v111, v88
	buffer_store_dword v0, off, s[0:3], s32 offset:220 ; 4-byte Folded Spill
	buffer_load_dword v0, off, s[0:3], s32 offset:224 ; 4-byte Folded Reload
	s_waitcnt vmcnt(0)
	v_cndmask_b32_e64 v0, 0, v0, s4
	v_cmp_lt_i32_e64 s4, v110, v88
	buffer_store_dword v0, off, s[0:3], s32 offset:224 ; 4-byte Folded Spill
	buffer_load_dword v0, off, s[0:3], s32 offset:212 ; 4-byte Folded Reload
	s_waitcnt vmcnt(0)
	v_cndmask_b32_e64 v0, 0, v0, s4
	v_cmp_lt_i32_e64 s4, v109, v88
	buffer_store_dword v0, off, s[0:3], s32 offset:212 ; 4-byte Folded Spill
	buffer_load_dword v0, off, s[0:3], s32 offset:216 ; 4-byte Folded Reload
	s_waitcnt vmcnt(0)
	v_cndmask_b32_e64 v0, 0, v0, s4
	v_cmp_lt_i32_e64 s4, v108, v88
	buffer_store_dword v0, off, s[0:3], s32 offset:216 ; 4-byte Folded Spill
	buffer_load_dword v0, off, s[0:3], s32 offset:200 ; 4-byte Folded Reload
	s_waitcnt vmcnt(0)
	v_cndmask_b32_e64 v0, 0, v0, s4
	v_cmp_lt_i32_e64 s4, v107, v88
	buffer_store_dword v0, off, s[0:3], s32 offset:200 ; 4-byte Folded Spill
	buffer_load_dword v0, off, s[0:3], s32 offset:208 ; 4-byte Folded Reload
	s_waitcnt vmcnt(0)
	v_cndmask_b32_e64 v0, 0, v0, s4
	v_cmp_lt_i32_e64 s4, v106, v88
	buffer_store_dword v0, off, s[0:3], s32 offset:208 ; 4-byte Folded Spill
	buffer_load_dword v0, off, s[0:3], s32 offset:196 ; 4-byte Folded Reload
	s_waitcnt vmcnt(0)
	v_cndmask_b32_e64 v0, 0, v0, s4
	v_cmp_lt_i32_e64 s4, v105, v88
	buffer_store_dword v0, off, s[0:3], s32 offset:196 ; 4-byte Folded Spill
	buffer_load_dword v0, off, s[0:3], s32 offset:204 ; 4-byte Folded Reload
	s_waitcnt vmcnt(0)
	v_cndmask_b32_e64 v0, 0, v0, s4
	buffer_store_dword v0, off, s[0:3], s32 offset:204 ; 4-byte Folded Spill
.LBB370_1630:                           ;   in Loop: Header=BB370_1564 Depth=1
	s_or_b32 exec_lo, exec_lo, s18
	flat_load_dwordx2 v[19:20], v[15:16] offset:256
	v_mov_b32_e32 v1, 0
	v_mov_b32_e32 v0, 0
	s_waitcnt vmcnt(0) lgkmcnt(0)
	v_cmp_ne_u16_sdwa s4, v19, v11 src0_sel:BYTE_0 src1_sel:DWORD
	s_and_saveexec_b32 s18, s4
	s_cbranch_execz .LBB370_1638
; %bb.1631:                             ;   in Loop: Header=BB370_1564 Depth=1
	v_cmp_ne_u16_sdwa s4, v19, v83 src0_sel:BYTE_0 src1_sel:DWORD
	v_bfrev_b32_e32 v0, 1
	s_and_saveexec_b32 s19, s4
	s_cbranch_execz .LBB370_1637
; %bb.1632:                             ;   in Loop: Header=BB370_1564 Depth=1
	v_and_b32_e32 v10, 0x7f, v19
	v_mov_b32_e32 v0, 0x7f800001
	s_mov_b32 s20, exec_lo
	v_cmpx_ne_u32_e32 0x7f, v10
	s_cbranch_execz .LBB370_1636
; %bb.1633:                             ;   in Loop: Header=BB370_1564 Depth=1
	v_mov_b32_e32 v22, v20
	v_lshrrev_b32_e32 v0, 3, v10
	v_mov_b32_e32 v21, v19
	s_mov_b32 s21, exec_lo
	v_cmpx_gt_u32_e32 8, v10
; %bb.1634:                             ;   in Loop: Header=BB370_1564 Depth=1
	v_and_b32_e32 v0, 7, v19
	v_ffbh_u32_e32 v0, v0
	v_min_u32_e32 v0, 32, v0
	v_subrev_nc_u32_e32 v10, 28, v0
	v_sub_nc_u32_e32 v0, 29, v0
	v_lshlrev_b64 v[21:22], v10, v[19:20]
; %bb.1635:                             ;   in Loop: Header=BB370_1564 Depth=1
	s_or_b32 exec_lo, exec_lo, s21
	v_lshlrev_b32_e32 v10, 20, v21
	v_lshlrev_b32_e32 v12, 24, v19
	v_lshl_add_u32 v0, v0, 23, 0x3c000000
	v_and_b32_e32 v10, 0x700000, v10
	v_and_b32_e32 v12, 0x80000000, v12
	v_or3_b32 v0, v10, v12, v0
.LBB370_1636:                           ;   in Loop: Header=BB370_1564 Depth=1
	s_or_b32 exec_lo, exec_lo, s20
.LBB370_1637:                           ;   in Loop: Header=BB370_1564 Depth=1
	s_or_b32 exec_lo, exec_lo, s19
.LBB370_1638:                           ;   in Loop: Header=BB370_1564 Depth=1
	s_or_b32 exec_lo, exec_lo, s18
	v_cmp_ne_u16_sdwa s4, v19, v11 src0_sel:BYTE_1 src1_sel:DWORD
	s_and_saveexec_b32 s18, s4
	s_cbranch_execz .LBB370_1646
; %bb.1639:                             ;   in Loop: Header=BB370_1564 Depth=1
	v_cmp_ne_u16_sdwa s4, v19, v83 src0_sel:BYTE_1 src1_sel:DWORD
	v_bfrev_b32_e32 v1, 1
	s_and_saveexec_b32 s19, s4
	s_cbranch_execz .LBB370_1645
; %bb.1640:                             ;   in Loop: Header=BB370_1564 Depth=1
	v_mov_b32_e32 v1, 0xffff
	s_mov_b32 s20, exec_lo
	v_and_b32_sdwa v10, v1, v19 dst_sel:DWORD dst_unused:UNUSED_PAD src0_sel:DWORD src1_sel:BYTE_1
	v_mov_b32_e32 v1, 0x7f800001
	v_and_b32_e32 v12, 0x7f, v10
	v_cmpx_ne_u32_e32 0x7f, v12
	s_cbranch_execz .LBB370_1644
; %bb.1641:                             ;   in Loop: Header=BB370_1564 Depth=1
	v_and_b32_e32 v10, 7, v10
	v_mov_b32_e32 v22, v11
	v_lshrrev_b32_e32 v1, 3, v12
	s_mov_b32 s21, exec_lo
	v_mov_b32_e32 v21, v10
	v_cmpx_gt_u32_e32 8, v12
; %bb.1642:                             ;   in Loop: Header=BB370_1564 Depth=1
	v_ffbh_u32_e32 v1, v10
	v_min_u32_e32 v1, 32, v1
	v_subrev_nc_u32_e32 v12, 28, v1
	v_sub_nc_u32_e32 v1, 29, v1
	v_lshlrev_b64 v[12:13], v12, v[10:11]
	v_and_b32_e32 v21, 7, v12
; %bb.1643:                             ;   in Loop: Header=BB370_1564 Depth=1
	s_or_b32 exec_lo, exec_lo, s21
	v_lshlrev_b32_e32 v10, 16, v19
	v_lshlrev_b32_e32 v12, 20, v21
	v_lshl_add_u32 v1, v1, 23, 0x3c000000
	v_and_b32_e32 v10, 0x80000000, v10
	v_or3_b32 v1, v12, v10, v1
.LBB370_1644:                           ;   in Loop: Header=BB370_1564 Depth=1
	s_or_b32 exec_lo, exec_lo, s20
.LBB370_1645:                           ;   in Loop: Header=BB370_1564 Depth=1
	s_or_b32 exec_lo, exec_lo, s19
.LBB370_1646:                           ;   in Loop: Header=BB370_1564 Depth=1
	s_or_b32 exec_lo, exec_lo, s18
	v_and_b32_sdwa v10, v19, v85 dst_sel:DWORD dst_unused:UNUSED_PAD src0_sel:WORD_1 src1_sel:DWORD
	v_mov_b32_e32 v13, 0
	v_mov_b32_e32 v12, 0
	s_mov_b32 s18, exec_lo
	v_cmpx_ne_u16_e32 0, v10
	s_cbranch_execz .LBB370_1654
; %bb.1647:                             ;   in Loop: Header=BB370_1564 Depth=1
	v_bfrev_b32_e32 v12, 1
	s_mov_b32 s19, exec_lo
	v_cmpx_ne_u16_e32 0x80, v10
	s_cbranch_execz .LBB370_1653
; %bb.1648:                             ;   in Loop: Header=BB370_1564 Depth=1
	v_bfe_u32 v17, v19, 16, 7
	v_mov_b32_e32 v12, 0x7f800001
	s_mov_b32 s20, exec_lo
	v_cmpx_ne_u32_e32 0x7f, v17
	s_cbranch_execz .LBB370_1652
; %bb.1649:                             ;   in Loop: Header=BB370_1564 Depth=1
	v_mov_b32_e32 v10, 7
	v_lshrrev_b32_e32 v12, 3, v17
	s_mov_b32 s21, exec_lo
	v_and_b32_sdwa v10, v19, v10 dst_sel:DWORD dst_unused:UNUSED_PAD src0_sel:WORD_1 src1_sel:DWORD
	v_mov_b32_e32 v22, v11
	v_mov_b32_e32 v21, v10
	v_cmpx_gt_u32_e32 8, v17
; %bb.1650:                             ;   in Loop: Header=BB370_1564 Depth=1
	v_ffbh_u32_e32 v12, v10
	v_min_u32_e32 v12, 32, v12
	v_subrev_nc_u32_e32 v17, 28, v12
	v_sub_nc_u32_e32 v12, 29, v12
	v_lshlrev_b64 v[17:18], v17, v[10:11]
	v_and_b32_e32 v21, 7, v17
; %bb.1651:                             ;   in Loop: Header=BB370_1564 Depth=1
	s_or_b32 exec_lo, exec_lo, s21
	v_mov_b32_e32 v10, 24
	v_lshlrev_b32_e32 v17, 20, v21
	v_lshl_add_u32 v12, v12, 23, 0x3c000000
	v_lshlrev_b32_sdwa v10, v10, v19 dst_sel:DWORD dst_unused:UNUSED_PAD src0_sel:DWORD src1_sel:WORD_1
	v_and_b32_e32 v10, 0x80000000, v10
	v_or3_b32 v12, v17, v10, v12
.LBB370_1652:                           ;   in Loop: Header=BB370_1564 Depth=1
	s_or_b32 exec_lo, exec_lo, s20
.LBB370_1653:                           ;   in Loop: Header=BB370_1564 Depth=1
	s_or_b32 exec_lo, exec_lo, s19
.LBB370_1654:                           ;   in Loop: Header=BB370_1564 Depth=1
	s_or_b32 exec_lo, exec_lo, s18
	s_mov_b32 s18, exec_lo
	v_cmpx_lt_u32_e32 0xffffff, v19
	s_cbranch_execz .LBB370_1662
; %bb.1655:                             ;   in Loop: Header=BB370_1564 Depth=1
	v_cmp_ne_u32_sdwa s4, v19, v83 src0_sel:BYTE_3 src1_sel:DWORD
	v_bfrev_b32_e32 v13, 1
	s_and_saveexec_b32 s19, s4
	s_cbranch_execz .LBB370_1661
; %bb.1656:                             ;   in Loop: Header=BB370_1564 Depth=1
	v_bfe_u32 v17, v19, 24, 7
	v_mov_b32_e32 v13, 0x7f800001
	s_mov_b32 s20, exec_lo
	v_cmpx_ne_u32_e32 0x7f, v17
	s_cbranch_execz .LBB370_1660
; %bb.1657:                             ;   in Loop: Header=BB370_1564 Depth=1
	v_mov_b32_e32 v10, 7
	v_lshrrev_b32_e32 v13, 3, v17
	s_mov_b32 s21, exec_lo
	v_and_b32_sdwa v10, v19, v10 dst_sel:DWORD dst_unused:UNUSED_PAD src0_sel:BYTE_3 src1_sel:DWORD
	v_mov_b32_e32 v22, v11
	v_mov_b32_e32 v21, v10
	v_cmpx_gt_u32_e32 8, v17
; %bb.1658:                             ;   in Loop: Header=BB370_1564 Depth=1
	v_ffbh_u32_e32 v13, v10
	v_min_u32_e32 v13, 32, v13
	v_subrev_nc_u32_e32 v17, 28, v13
	v_sub_nc_u32_e32 v13, 29, v13
	v_lshlrev_b64 v[17:18], v17, v[10:11]
	v_and_b32_e32 v21, 7, v17
; %bb.1659:                             ;   in Loop: Header=BB370_1564 Depth=1
	s_or_b32 exec_lo, exec_lo, s21
	v_mov_b32_e32 v10, 24
	v_lshlrev_b32_e32 v17, 20, v21
	v_lshl_add_u32 v13, v13, 23, 0x3c000000
	v_lshlrev_b32_sdwa v10, v10, v19 dst_sel:DWORD dst_unused:UNUSED_PAD src0_sel:DWORD src1_sel:BYTE_3
	v_and_b32_e32 v10, 0x80000000, v10
	v_or3_b32 v13, v17, v10, v13
.LBB370_1660:                           ;   in Loop: Header=BB370_1564 Depth=1
	s_or_b32 exec_lo, exec_lo, s20
.LBB370_1661:                           ;   in Loop: Header=BB370_1564 Depth=1
	s_or_b32 exec_lo, exec_lo, s19
.LBB370_1662:                           ;   in Loop: Header=BB370_1564 Depth=1
	s_or_b32 exec_lo, exec_lo, s18
	v_mov_b32_e32 v10, v20
	v_cmp_ne_u16_sdwa s4, v20, v11 src0_sel:BYTE_0 src1_sel:DWORD
	v_mov_b32_e32 v18, 0
	v_mov_b32_e32 v17, 0
	s_and_saveexec_b32 s18, s4
	s_cbranch_execz .LBB370_1670
; %bb.1663:                             ;   in Loop: Header=BB370_1564 Depth=1
	v_cmp_ne_u16_sdwa s4, v20, v83 src0_sel:BYTE_0 src1_sel:DWORD
	v_bfrev_b32_e32 v17, 1
	s_and_saveexec_b32 s19, s4
	s_cbranch_execz .LBB370_1669
; %bb.1664:                             ;   in Loop: Header=BB370_1564 Depth=1
	v_and_b32_e32 v21, 0x7f, v20
	v_mov_b32_e32 v17, 0x7f800001
	s_mov_b32 s20, exec_lo
	v_cmpx_ne_u32_e32 0x7f, v21
	s_cbranch_execz .LBB370_1668
; %bb.1665:                             ;   in Loop: Header=BB370_1564 Depth=1
	v_lshrrev_b32_e32 v17, 3, v21
	v_cmp_gt_u32_e64 s4, 8, v21
	v_mov_b32_e32 v22, v11
	v_mov_b32_e32 v21, v10
	s_and_saveexec_b32 s21, s4
; %bb.1666:                             ;   in Loop: Header=BB370_1564 Depth=1
	v_and_b32_e32 v17, 7, v20
	v_ffbh_u32_e32 v17, v17
	v_min_u32_e32 v17, 32, v17
	v_subrev_nc_u32_e32 v21, 28, v17
	v_sub_nc_u32_e32 v17, 29, v17
	v_lshlrev_b64 v[21:22], v21, v[10:11]
; %bb.1667:                             ;   in Loop: Header=BB370_1564 Depth=1
	s_or_b32 exec_lo, exec_lo, s21
	v_lshlrev_b32_e32 v21, 20, v21
	v_lshlrev_b32_e32 v22, 24, v10
	v_lshl_add_u32 v17, v17, 23, 0x3c000000
	v_and_b32_e32 v21, 0x700000, v21
	v_and_b32_e32 v22, 0x80000000, v22
	v_or3_b32 v17, v21, v22, v17
.LBB370_1668:                           ;   in Loop: Header=BB370_1564 Depth=1
	s_or_b32 exec_lo, exec_lo, s20
.LBB370_1669:                           ;   in Loop: Header=BB370_1564 Depth=1
	s_or_b32 exec_lo, exec_lo, s19
.LBB370_1670:                           ;   in Loop: Header=BB370_1564 Depth=1
	s_or_b32 exec_lo, exec_lo, s18
	v_cmp_ne_u16_sdwa s4, v10, v11 src0_sel:BYTE_1 src1_sel:DWORD
	s_and_saveexec_b32 s18, s4
	s_cbranch_execz .LBB370_1678
; %bb.1671:                             ;   in Loop: Header=BB370_1564 Depth=1
	v_cmp_ne_u16_sdwa s4, v10, v83 src0_sel:BYTE_1 src1_sel:DWORD
	v_bfrev_b32_e32 v18, 1
	s_and_saveexec_b32 s19, s4
	s_cbranch_execz .LBB370_1677
; %bb.1672:                             ;   in Loop: Header=BB370_1564 Depth=1
	v_mov_b32_e32 v18, 0xffff
	s_mov_b32 s20, exec_lo
	v_and_b32_sdwa v21, v18, v10 dst_sel:DWORD dst_unused:UNUSED_PAD src0_sel:DWORD src1_sel:BYTE_1
	v_mov_b32_e32 v18, 0x7f800001
	v_and_b32_e32 v23, 0x7f, v21
	v_cmpx_ne_u32_e32 0x7f, v23
	s_cbranch_execz .LBB370_1676
; %bb.1673:                             ;   in Loop: Header=BB370_1564 Depth=1
	v_and_b32_e32 v21, 7, v21
	v_mov_b32_e32 v22, v11
	v_lshrrev_b32_e32 v18, 3, v23
	s_mov_b32 s21, exec_lo
	v_cmpx_gt_u32_e32 8, v23
; %bb.1674:                             ;   in Loop: Header=BB370_1564 Depth=1
	v_ffbh_u32_e32 v18, v21
	v_min_u32_e32 v18, 32, v18
	v_subrev_nc_u32_e32 v23, 28, v18
	v_sub_nc_u32_e32 v18, 29, v18
	v_lshlrev_b64 v[21:22], v23, v[21:22]
	v_and_b32_e32 v21, 7, v21
; %bb.1675:                             ;   in Loop: Header=BB370_1564 Depth=1
	s_or_b32 exec_lo, exec_lo, s21
	v_lshlrev_b32_e32 v10, 16, v10
	v_lshlrev_b32_e32 v21, 20, v21
	v_lshl_add_u32 v18, v18, 23, 0x3c000000
	v_and_b32_e32 v10, 0x80000000, v10
	v_or3_b32 v18, v21, v10, v18
.LBB370_1676:                           ;   in Loop: Header=BB370_1564 Depth=1
	s_or_b32 exec_lo, exec_lo, s20
.LBB370_1677:                           ;   in Loop: Header=BB370_1564 Depth=1
	s_or_b32 exec_lo, exec_lo, s19
.LBB370_1678:                           ;   in Loop: Header=BB370_1564 Depth=1
	s_or_b32 exec_lo, exec_lo, s18
	v_and_b32_sdwa v10, v20, v85 dst_sel:DWORD dst_unused:UNUSED_PAD src0_sel:WORD_1 src1_sel:DWORD
	v_mov_b32_e32 v23, 0
	v_mov_b32_e32 v24, 0
	s_mov_b32 s18, exec_lo
	v_cmpx_ne_u16_e32 0, v10
	s_cbranch_execz .LBB370_1686
; %bb.1679:                             ;   in Loop: Header=BB370_1564 Depth=1
	v_bfrev_b32_e32 v24, 1
	s_mov_b32 s19, exec_lo
	v_cmpx_ne_u16_e32 0x80, v10
	s_cbranch_execz .LBB370_1685
; %bb.1680:                             ;   in Loop: Header=BB370_1564 Depth=1
	v_bfe_u32 v21, v20, 16, 7
	v_mov_b32_e32 v24, 0x7f800001
	s_mov_b32 s20, exec_lo
	v_cmpx_ne_u32_e32 0x7f, v21
	s_cbranch_execz .LBB370_1684
; %bb.1681:                             ;   in Loop: Header=BB370_1564 Depth=1
	v_mov_b32_e32 v10, 7
	v_lshrrev_b32_e32 v24, 3, v21
	v_cmp_gt_u32_e64 s4, 8, v21
	v_and_b32_sdwa v10, v20, v10 dst_sel:DWORD dst_unused:UNUSED_PAD src0_sel:WORD_1 src1_sel:DWORD
	v_mov_b32_e32 v22, v11
	v_mov_b32_e32 v21, v10
	s_and_saveexec_b32 s21, s4
; %bb.1682:                             ;   in Loop: Header=BB370_1564 Depth=1
	v_ffbh_u32_e32 v21, v10
	v_min_u32_e32 v24, 32, v21
	v_subrev_nc_u32_e32 v21, 28, v24
	v_sub_nc_u32_e32 v24, 29, v24
	v_lshlrev_b64 v[21:22], v21, v[10:11]
	v_and_b32_e32 v21, 7, v21
; %bb.1683:                             ;   in Loop: Header=BB370_1564 Depth=1
	s_or_b32 exec_lo, exec_lo, s21
	v_mov_b32_e32 v10, 24
	v_lshlrev_b32_e32 v21, 20, v21
	v_lshl_add_u32 v22, v24, 23, 0x3c000000
	v_lshlrev_b32_sdwa v10, v10, v20 dst_sel:DWORD dst_unused:UNUSED_PAD src0_sel:DWORD src1_sel:WORD_1
	v_and_b32_e32 v10, 0x80000000, v10
	v_or3_b32 v24, v21, v10, v22
.LBB370_1684:                           ;   in Loop: Header=BB370_1564 Depth=1
	s_or_b32 exec_lo, exec_lo, s20
.LBB370_1685:                           ;   in Loop: Header=BB370_1564 Depth=1
	s_or_b32 exec_lo, exec_lo, s19
.LBB370_1686:                           ;   in Loop: Header=BB370_1564 Depth=1
	s_or_b32 exec_lo, exec_lo, s18
	s_mov_b32 s18, exec_lo
	v_cmpx_lt_u64_e64 s[6:7], v[19:20]
	s_cbranch_execz .LBB370_1694
; %bb.1687:                             ;   in Loop: Header=BB370_1564 Depth=1
	v_cmp_ne_u32_sdwa s4, v20, v83 src0_sel:BYTE_3 src1_sel:DWORD
	v_bfrev_b32_e32 v23, 1
	s_and_saveexec_b32 s19, s4
	s_cbranch_execz .LBB370_1693
; %bb.1688:                             ;   in Loop: Header=BB370_1564 Depth=1
	v_bfe_u32 v21, v20, 24, 7
	v_mov_b32_e32 v23, 0x7f800001
	s_mov_b32 s20, exec_lo
	v_cmpx_ne_u32_e32 0x7f, v21
	s_cbranch_execz .LBB370_1692
; %bb.1689:                             ;   in Loop: Header=BB370_1564 Depth=1
	v_mov_b32_e32 v10, 7
	v_lshrrev_b32_e32 v19, 3, v21
	v_cmp_gt_u32_e64 s4, 8, v21
	v_and_b32_sdwa v10, v20, v10 dst_sel:DWORD dst_unused:UNUSED_PAD src0_sel:BYTE_3 src1_sel:DWORD
	v_mov_b32_e32 v22, v11
	v_mov_b32_e32 v21, v10
	s_and_saveexec_b32 s21, s4
; %bb.1690:                             ;   in Loop: Header=BB370_1564 Depth=1
	v_ffbh_u32_e32 v19, v10
	v_min_u32_e32 v19, 32, v19
	v_subrev_nc_u32_e32 v21, 28, v19
	v_sub_nc_u32_e32 v19, 29, v19
	v_lshlrev_b64 v[21:22], v21, v[10:11]
	v_and_b32_e32 v21, 7, v21
; %bb.1691:                             ;   in Loop: Header=BB370_1564 Depth=1
	s_or_b32 exec_lo, exec_lo, s21
	v_mov_b32_e32 v10, 24
	v_lshl_add_u32 v19, v19, 23, 0x3c000000
	v_lshlrev_b32_sdwa v10, v10, v20 dst_sel:DWORD dst_unused:UNUSED_PAD src0_sel:DWORD src1_sel:BYTE_3
	v_lshlrev_b32_e32 v20, 20, v21
	v_and_b32_e32 v10, 0x80000000, v10
	v_or3_b32 v23, v20, v10, v19
.LBB370_1692:                           ;   in Loop: Header=BB370_1564 Depth=1
	s_or_b32 exec_lo, exec_lo, s20
.LBB370_1693:                           ;   in Loop: Header=BB370_1564 Depth=1
	s_or_b32 exec_lo, exec_lo, s19
.LBB370_1694:                           ;   in Loop: Header=BB370_1564 Depth=1
	s_or_b32 exec_lo, exec_lo, s18
	v_mul_f32_e32 v10, v71, v18
	v_mul_f32_e32 v17, v71, v17
	;; [unrolled: 1-line block ×5, first 2 shown]
	v_bfe_u32 v18, v10, 16, 1
	v_or_b32_e32 v19, 0x400000, v10
	v_bfe_u32 v20, v17, 16, 1
	v_cmp_u_f32_e64 s4, v10, v10
	v_or_b32_e32 v21, 0x400000, v17
	v_add3_u32 v18, v18, v10, 0x7fff
	v_bfe_u32 v22, v13, 16, 1
	v_add3_u32 v20, v20, v17, 0x7fff
	v_or_b32_e32 v25, 0x400000, v13
	v_bfe_u32 v26, v12, 16, 1
	v_cndmask_b32_e64 v10, v18, v19, s4
	v_cmp_u_f32_e64 s4, v17, v17
	v_add3_u32 v22, v22, v13, 0x7fff
	v_or_b32_e32 v18, 0x400000, v12
	v_mul_f32_e32 v0, v71, v0
	v_lshrrev_b32_e32 v10, 16, v10
	v_cndmask_b32_e64 v17, v20, v21, s4
	v_cmp_u_f32_e64 s4, v13, v13
	v_bfe_u32 v19, v0, 16, 1
	buffer_store_dword v10, off, s[0:3], s32 offset:240 ; 4-byte Folded Spill
	v_add3_u32 v10, v26, v12, 0x7fff
	v_cndmask_b32_e64 v13, v22, v25, s4
	v_lshrrev_b32_e32 v17, 16, v17
	v_cmp_u_f32_e64 s4, v12, v12
	v_mul_f32_e32 v12, v71, v24
	v_lshrrev_b32_e32 v13, 16, v13
	buffer_store_dword v17, off, s[0:3], s32 offset:236 ; 4-byte Folded Spill
	v_cndmask_b32_e64 v10, v10, v18, s4
	v_or_b32_e32 v17, 0x400000, v1
	v_cmp_u_f32_e64 s4, v1, v1
	buffer_store_dword v13, off, s[0:3], s32 offset:248 ; 4-byte Folded Spill
	v_bfe_u32 v13, v1, 16, 1
	v_mul_f32_e32 v18, v71, v23
	v_bfe_u32 v20, v12, 16, 1
	v_or_b32_e32 v21, 0x400000, v12
	v_lshrrev_b32_e32 v10, 16, v10
	v_add3_u32 v13, v13, v1, 0x7fff
	v_or_b32_e32 v22, 0x400000, v18
	v_add3_u32 v20, v20, v12, 0x7fff
	buffer_store_dword v10, off, s[0:3], s32 offset:244 ; 4-byte Folded Spill
	v_cndmask_b32_e64 v1, v13, v17, s4
	v_add3_u32 v17, v19, v0, 0x7fff
	v_or_b32_e32 v19, 0x400000, v0
	v_cmp_u_f32_e64 s4, v0, v0
	v_bfe_u32 v13, v18, 16, 1
	v_lshrrev_b32_e32 v1, 16, v1
	v_cndmask_b32_e64 v0, v17, v19, s4
	v_cmp_u_f32_e64 s4, v12, v12
	v_add3_u32 v13, v13, v18, 0x7fff
	buffer_store_dword v1, off, s[0:3], s32 offset:256 ; 4-byte Folded Spill
	v_lshrrev_b32_e32 v0, 16, v0
	v_cndmask_b32_e64 v12, v20, v21, s4
	v_cmp_u_f32_e64 s4, v18, v18
	buffer_store_dword v0, off, s[0:3], s32 offset:252 ; 4-byte Folded Spill
	v_lshrrev_b32_e32 v0, 16, v12
	v_cndmask_b32_e64 v13, v13, v22, s4
	buffer_store_dword v0, off, s[0:3], s32 offset:228 ; 4-byte Folded Spill
	v_lshrrev_b32_e32 v0, 16, v13
	buffer_store_dword v0, off, s[0:3], s32 offset:232 ; 4-byte Folded Spill
	s_and_saveexec_b32 s18, vcc_lo
	s_cbranch_execz .LBB370_1696
; %bb.1695:                             ;   in Loop: Header=BB370_1564 Depth=1
	buffer_load_dword v0, off, s[0:3], s32 offset:252 ; 4-byte Folded Reload
	v_cmp_lt_i32_e64 s4, v91, v88
	s_waitcnt vmcnt(0)
	v_cndmask_b32_e64 v0, 0, v0, s4
	v_cmp_lt_i32_e64 s4, v111, v88
	buffer_store_dword v0, off, s[0:3], s32 offset:252 ; 4-byte Folded Spill
	buffer_load_dword v0, off, s[0:3], s32 offset:256 ; 4-byte Folded Reload
	s_waitcnt vmcnt(0)
	v_cndmask_b32_e64 v0, 0, v0, s4
	v_cmp_lt_i32_e64 s4, v110, v88
	buffer_store_dword v0, off, s[0:3], s32 offset:256 ; 4-byte Folded Spill
	buffer_load_dword v0, off, s[0:3], s32 offset:244 ; 4-byte Folded Reload
	;; [unrolled: 5-line block ×7, first 2 shown]
	s_waitcnt vmcnt(0)
	v_cndmask_b32_e64 v0, 0, v0, s4
	buffer_store_dword v0, off, s[0:3], s32 offset:232 ; 4-byte Folded Spill
.LBB370_1696:                           ;   in Loop: Header=BB370_1564 Depth=1
	s_or_b32 exec_lo, exec_lo, s18
	flat_load_dwordx2 v[19:20], v[15:16] offset:512
	v_mov_b32_e32 v1, 0
	v_mov_b32_e32 v0, 0
	s_waitcnt vmcnt(0) lgkmcnt(0)
	v_cmp_ne_u16_sdwa s4, v19, v11 src0_sel:BYTE_0 src1_sel:DWORD
	s_and_saveexec_b32 s18, s4
	s_cbranch_execz .LBB370_1704
; %bb.1697:                             ;   in Loop: Header=BB370_1564 Depth=1
	v_cmp_ne_u16_sdwa s4, v19, v83 src0_sel:BYTE_0 src1_sel:DWORD
	v_bfrev_b32_e32 v0, 1
	s_and_saveexec_b32 s19, s4
	s_cbranch_execz .LBB370_1703
; %bb.1698:                             ;   in Loop: Header=BB370_1564 Depth=1
	v_and_b32_e32 v10, 0x7f, v19
	v_mov_b32_e32 v0, 0x7f800001
	s_mov_b32 s20, exec_lo
	v_cmpx_ne_u32_e32 0x7f, v10
	s_cbranch_execz .LBB370_1702
; %bb.1699:                             ;   in Loop: Header=BB370_1564 Depth=1
	v_mov_b32_e32 v22, v20
	v_lshrrev_b32_e32 v0, 3, v10
	v_mov_b32_e32 v21, v19
	s_mov_b32 s21, exec_lo
	v_cmpx_gt_u32_e32 8, v10
; %bb.1700:                             ;   in Loop: Header=BB370_1564 Depth=1
	v_and_b32_e32 v0, 7, v19
	v_ffbh_u32_e32 v0, v0
	v_min_u32_e32 v0, 32, v0
	v_subrev_nc_u32_e32 v10, 28, v0
	v_sub_nc_u32_e32 v0, 29, v0
	v_lshlrev_b64 v[21:22], v10, v[19:20]
; %bb.1701:                             ;   in Loop: Header=BB370_1564 Depth=1
	s_or_b32 exec_lo, exec_lo, s21
	v_lshlrev_b32_e32 v10, 20, v21
	v_lshlrev_b32_e32 v12, 24, v19
	v_lshl_add_u32 v0, v0, 23, 0x3c000000
	v_and_b32_e32 v10, 0x700000, v10
	v_and_b32_e32 v12, 0x80000000, v12
	v_or3_b32 v0, v10, v12, v0
.LBB370_1702:                           ;   in Loop: Header=BB370_1564 Depth=1
	s_or_b32 exec_lo, exec_lo, s20
.LBB370_1703:                           ;   in Loop: Header=BB370_1564 Depth=1
	s_or_b32 exec_lo, exec_lo, s19
.LBB370_1704:                           ;   in Loop: Header=BB370_1564 Depth=1
	s_or_b32 exec_lo, exec_lo, s18
	v_cmp_ne_u16_sdwa s4, v19, v11 src0_sel:BYTE_1 src1_sel:DWORD
	s_and_saveexec_b32 s18, s4
	s_cbranch_execz .LBB370_1712
; %bb.1705:                             ;   in Loop: Header=BB370_1564 Depth=1
	v_cmp_ne_u16_sdwa s4, v19, v83 src0_sel:BYTE_1 src1_sel:DWORD
	v_bfrev_b32_e32 v1, 1
	s_and_saveexec_b32 s19, s4
	s_cbranch_execz .LBB370_1711
; %bb.1706:                             ;   in Loop: Header=BB370_1564 Depth=1
	v_mov_b32_e32 v1, 0xffff
	s_mov_b32 s20, exec_lo
	v_and_b32_sdwa v10, v1, v19 dst_sel:DWORD dst_unused:UNUSED_PAD src0_sel:DWORD src1_sel:BYTE_1
	v_mov_b32_e32 v1, 0x7f800001
	v_and_b32_e32 v12, 0x7f, v10
	v_cmpx_ne_u32_e32 0x7f, v12
	s_cbranch_execz .LBB370_1710
; %bb.1707:                             ;   in Loop: Header=BB370_1564 Depth=1
	v_and_b32_e32 v10, 7, v10
	v_mov_b32_e32 v22, v11
	v_lshrrev_b32_e32 v1, 3, v12
	s_mov_b32 s21, exec_lo
	v_mov_b32_e32 v21, v10
	v_cmpx_gt_u32_e32 8, v12
; %bb.1708:                             ;   in Loop: Header=BB370_1564 Depth=1
	v_ffbh_u32_e32 v1, v10
	v_min_u32_e32 v1, 32, v1
	v_subrev_nc_u32_e32 v12, 28, v1
	v_sub_nc_u32_e32 v1, 29, v1
	v_lshlrev_b64 v[12:13], v12, v[10:11]
	v_and_b32_e32 v21, 7, v12
; %bb.1709:                             ;   in Loop: Header=BB370_1564 Depth=1
	s_or_b32 exec_lo, exec_lo, s21
	v_lshlrev_b32_e32 v10, 16, v19
	v_lshlrev_b32_e32 v12, 20, v21
	v_lshl_add_u32 v1, v1, 23, 0x3c000000
	v_and_b32_e32 v10, 0x80000000, v10
	v_or3_b32 v1, v12, v10, v1
.LBB370_1710:                           ;   in Loop: Header=BB370_1564 Depth=1
	s_or_b32 exec_lo, exec_lo, s20
.LBB370_1711:                           ;   in Loop: Header=BB370_1564 Depth=1
	s_or_b32 exec_lo, exec_lo, s19
.LBB370_1712:                           ;   in Loop: Header=BB370_1564 Depth=1
	s_or_b32 exec_lo, exec_lo, s18
	v_and_b32_sdwa v10, v19, v85 dst_sel:DWORD dst_unused:UNUSED_PAD src0_sel:WORD_1 src1_sel:DWORD
	v_mov_b32_e32 v13, 0
	v_mov_b32_e32 v12, 0
	s_mov_b32 s18, exec_lo
	v_cmpx_ne_u16_e32 0, v10
	s_cbranch_execz .LBB370_1720
; %bb.1713:                             ;   in Loop: Header=BB370_1564 Depth=1
	v_bfrev_b32_e32 v12, 1
	s_mov_b32 s19, exec_lo
	v_cmpx_ne_u16_e32 0x80, v10
	s_cbranch_execz .LBB370_1719
; %bb.1714:                             ;   in Loop: Header=BB370_1564 Depth=1
	v_bfe_u32 v17, v19, 16, 7
	v_mov_b32_e32 v12, 0x7f800001
	s_mov_b32 s20, exec_lo
	v_cmpx_ne_u32_e32 0x7f, v17
	s_cbranch_execz .LBB370_1718
; %bb.1715:                             ;   in Loop: Header=BB370_1564 Depth=1
	v_mov_b32_e32 v10, 7
	v_lshrrev_b32_e32 v12, 3, v17
	s_mov_b32 s21, exec_lo
	v_and_b32_sdwa v10, v19, v10 dst_sel:DWORD dst_unused:UNUSED_PAD src0_sel:WORD_1 src1_sel:DWORD
	v_mov_b32_e32 v22, v11
	v_mov_b32_e32 v21, v10
	v_cmpx_gt_u32_e32 8, v17
; %bb.1716:                             ;   in Loop: Header=BB370_1564 Depth=1
	v_ffbh_u32_e32 v12, v10
	v_min_u32_e32 v12, 32, v12
	v_subrev_nc_u32_e32 v17, 28, v12
	v_sub_nc_u32_e32 v12, 29, v12
	v_lshlrev_b64 v[17:18], v17, v[10:11]
	v_and_b32_e32 v21, 7, v17
; %bb.1717:                             ;   in Loop: Header=BB370_1564 Depth=1
	s_or_b32 exec_lo, exec_lo, s21
	v_mov_b32_e32 v10, 24
	v_lshlrev_b32_e32 v17, 20, v21
	v_lshl_add_u32 v12, v12, 23, 0x3c000000
	v_lshlrev_b32_sdwa v10, v10, v19 dst_sel:DWORD dst_unused:UNUSED_PAD src0_sel:DWORD src1_sel:WORD_1
	v_and_b32_e32 v10, 0x80000000, v10
	v_or3_b32 v12, v17, v10, v12
.LBB370_1718:                           ;   in Loop: Header=BB370_1564 Depth=1
	s_or_b32 exec_lo, exec_lo, s20
.LBB370_1719:                           ;   in Loop: Header=BB370_1564 Depth=1
	s_or_b32 exec_lo, exec_lo, s19
.LBB370_1720:                           ;   in Loop: Header=BB370_1564 Depth=1
	s_or_b32 exec_lo, exec_lo, s18
	s_mov_b32 s18, exec_lo
	v_cmpx_lt_u32_e32 0xffffff, v19
	s_cbranch_execz .LBB370_1728
; %bb.1721:                             ;   in Loop: Header=BB370_1564 Depth=1
	v_cmp_ne_u32_sdwa s4, v19, v83 src0_sel:BYTE_3 src1_sel:DWORD
	v_bfrev_b32_e32 v13, 1
	s_and_saveexec_b32 s19, s4
	s_cbranch_execz .LBB370_1727
; %bb.1722:                             ;   in Loop: Header=BB370_1564 Depth=1
	v_bfe_u32 v17, v19, 24, 7
	v_mov_b32_e32 v13, 0x7f800001
	s_mov_b32 s20, exec_lo
	v_cmpx_ne_u32_e32 0x7f, v17
	s_cbranch_execz .LBB370_1726
; %bb.1723:                             ;   in Loop: Header=BB370_1564 Depth=1
	v_mov_b32_e32 v10, 7
	v_lshrrev_b32_e32 v13, 3, v17
	s_mov_b32 s21, exec_lo
	v_and_b32_sdwa v10, v19, v10 dst_sel:DWORD dst_unused:UNUSED_PAD src0_sel:BYTE_3 src1_sel:DWORD
	v_mov_b32_e32 v22, v11
	v_mov_b32_e32 v21, v10
	v_cmpx_gt_u32_e32 8, v17
; %bb.1724:                             ;   in Loop: Header=BB370_1564 Depth=1
	v_ffbh_u32_e32 v13, v10
	v_min_u32_e32 v13, 32, v13
	v_subrev_nc_u32_e32 v17, 28, v13
	v_sub_nc_u32_e32 v13, 29, v13
	v_lshlrev_b64 v[17:18], v17, v[10:11]
	v_and_b32_e32 v21, 7, v17
; %bb.1725:                             ;   in Loop: Header=BB370_1564 Depth=1
	s_or_b32 exec_lo, exec_lo, s21
	v_mov_b32_e32 v10, 24
	v_lshlrev_b32_e32 v17, 20, v21
	v_lshl_add_u32 v13, v13, 23, 0x3c000000
	v_lshlrev_b32_sdwa v10, v10, v19 dst_sel:DWORD dst_unused:UNUSED_PAD src0_sel:DWORD src1_sel:BYTE_3
	v_and_b32_e32 v10, 0x80000000, v10
	v_or3_b32 v13, v17, v10, v13
.LBB370_1726:                           ;   in Loop: Header=BB370_1564 Depth=1
	s_or_b32 exec_lo, exec_lo, s20
.LBB370_1727:                           ;   in Loop: Header=BB370_1564 Depth=1
	s_or_b32 exec_lo, exec_lo, s19
.LBB370_1728:                           ;   in Loop: Header=BB370_1564 Depth=1
	s_or_b32 exec_lo, exec_lo, s18
	v_mov_b32_e32 v10, v20
	v_cmp_ne_u16_sdwa s4, v20, v11 src0_sel:BYTE_0 src1_sel:DWORD
	v_mov_b32_e32 v18, 0
	v_mov_b32_e32 v17, 0
	s_and_saveexec_b32 s18, s4
	s_cbranch_execz .LBB370_1736
; %bb.1729:                             ;   in Loop: Header=BB370_1564 Depth=1
	v_cmp_ne_u16_sdwa s4, v20, v83 src0_sel:BYTE_0 src1_sel:DWORD
	v_bfrev_b32_e32 v17, 1
	s_and_saveexec_b32 s19, s4
	s_cbranch_execz .LBB370_1735
; %bb.1730:                             ;   in Loop: Header=BB370_1564 Depth=1
	v_and_b32_e32 v21, 0x7f, v20
	v_mov_b32_e32 v17, 0x7f800001
	s_mov_b32 s20, exec_lo
	v_cmpx_ne_u32_e32 0x7f, v21
	s_cbranch_execz .LBB370_1734
; %bb.1731:                             ;   in Loop: Header=BB370_1564 Depth=1
	v_lshrrev_b32_e32 v17, 3, v21
	v_cmp_gt_u32_e64 s4, 8, v21
	v_mov_b32_e32 v22, v11
	v_mov_b32_e32 v21, v10
	s_and_saveexec_b32 s21, s4
; %bb.1732:                             ;   in Loop: Header=BB370_1564 Depth=1
	v_and_b32_e32 v17, 7, v20
	v_ffbh_u32_e32 v17, v17
	v_min_u32_e32 v17, 32, v17
	v_subrev_nc_u32_e32 v21, 28, v17
	v_sub_nc_u32_e32 v17, 29, v17
	v_lshlrev_b64 v[21:22], v21, v[10:11]
; %bb.1733:                             ;   in Loop: Header=BB370_1564 Depth=1
	s_or_b32 exec_lo, exec_lo, s21
	v_lshlrev_b32_e32 v21, 20, v21
	v_lshlrev_b32_e32 v22, 24, v10
	v_lshl_add_u32 v17, v17, 23, 0x3c000000
	v_and_b32_e32 v21, 0x700000, v21
	v_and_b32_e32 v22, 0x80000000, v22
	v_or3_b32 v17, v21, v22, v17
.LBB370_1734:                           ;   in Loop: Header=BB370_1564 Depth=1
	s_or_b32 exec_lo, exec_lo, s20
.LBB370_1735:                           ;   in Loop: Header=BB370_1564 Depth=1
	s_or_b32 exec_lo, exec_lo, s19
.LBB370_1736:                           ;   in Loop: Header=BB370_1564 Depth=1
	s_or_b32 exec_lo, exec_lo, s18
	v_cmp_ne_u16_sdwa s4, v10, v11 src0_sel:BYTE_1 src1_sel:DWORD
	s_and_saveexec_b32 s18, s4
	s_cbranch_execz .LBB370_1744
; %bb.1737:                             ;   in Loop: Header=BB370_1564 Depth=1
	v_cmp_ne_u16_sdwa s4, v10, v83 src0_sel:BYTE_1 src1_sel:DWORD
	v_bfrev_b32_e32 v18, 1
	s_and_saveexec_b32 s19, s4
	s_cbranch_execz .LBB370_1743
; %bb.1738:                             ;   in Loop: Header=BB370_1564 Depth=1
	v_mov_b32_e32 v18, 0xffff
	s_mov_b32 s20, exec_lo
	v_and_b32_sdwa v21, v18, v10 dst_sel:DWORD dst_unused:UNUSED_PAD src0_sel:DWORD src1_sel:BYTE_1
	v_mov_b32_e32 v18, 0x7f800001
	v_and_b32_e32 v23, 0x7f, v21
	v_cmpx_ne_u32_e32 0x7f, v23
	s_cbranch_execz .LBB370_1742
; %bb.1739:                             ;   in Loop: Header=BB370_1564 Depth=1
	v_and_b32_e32 v21, 7, v21
	v_mov_b32_e32 v22, v11
	v_lshrrev_b32_e32 v18, 3, v23
	s_mov_b32 s21, exec_lo
	v_cmpx_gt_u32_e32 8, v23
; %bb.1740:                             ;   in Loop: Header=BB370_1564 Depth=1
	v_ffbh_u32_e32 v18, v21
	v_min_u32_e32 v18, 32, v18
	v_subrev_nc_u32_e32 v23, 28, v18
	v_sub_nc_u32_e32 v18, 29, v18
	v_lshlrev_b64 v[21:22], v23, v[21:22]
	v_and_b32_e32 v21, 7, v21
; %bb.1741:                             ;   in Loop: Header=BB370_1564 Depth=1
	s_or_b32 exec_lo, exec_lo, s21
	v_lshlrev_b32_e32 v10, 16, v10
	v_lshlrev_b32_e32 v21, 20, v21
	v_lshl_add_u32 v18, v18, 23, 0x3c000000
	v_and_b32_e32 v10, 0x80000000, v10
	v_or3_b32 v18, v21, v10, v18
.LBB370_1742:                           ;   in Loop: Header=BB370_1564 Depth=1
	s_or_b32 exec_lo, exec_lo, s20
.LBB370_1743:                           ;   in Loop: Header=BB370_1564 Depth=1
	s_or_b32 exec_lo, exec_lo, s19
.LBB370_1744:                           ;   in Loop: Header=BB370_1564 Depth=1
	s_or_b32 exec_lo, exec_lo, s18
	v_and_b32_sdwa v10, v20, v85 dst_sel:DWORD dst_unused:UNUSED_PAD src0_sel:WORD_1 src1_sel:DWORD
	v_mov_b32_e32 v23, 0
	v_mov_b32_e32 v24, 0
	s_mov_b32 s18, exec_lo
	v_cmpx_ne_u16_e32 0, v10
	s_cbranch_execz .LBB370_1752
; %bb.1745:                             ;   in Loop: Header=BB370_1564 Depth=1
	v_bfrev_b32_e32 v24, 1
	s_mov_b32 s19, exec_lo
	v_cmpx_ne_u16_e32 0x80, v10
	s_cbranch_execz .LBB370_1751
; %bb.1746:                             ;   in Loop: Header=BB370_1564 Depth=1
	v_bfe_u32 v21, v20, 16, 7
	v_mov_b32_e32 v24, 0x7f800001
	s_mov_b32 s20, exec_lo
	v_cmpx_ne_u32_e32 0x7f, v21
	s_cbranch_execz .LBB370_1750
; %bb.1747:                             ;   in Loop: Header=BB370_1564 Depth=1
	v_mov_b32_e32 v10, 7
	v_lshrrev_b32_e32 v24, 3, v21
	v_cmp_gt_u32_e64 s4, 8, v21
	v_and_b32_sdwa v10, v20, v10 dst_sel:DWORD dst_unused:UNUSED_PAD src0_sel:WORD_1 src1_sel:DWORD
	v_mov_b32_e32 v22, v11
	v_mov_b32_e32 v21, v10
	s_and_saveexec_b32 s21, s4
; %bb.1748:                             ;   in Loop: Header=BB370_1564 Depth=1
	v_ffbh_u32_e32 v21, v10
	v_min_u32_e32 v24, 32, v21
	v_subrev_nc_u32_e32 v21, 28, v24
	v_sub_nc_u32_e32 v24, 29, v24
	v_lshlrev_b64 v[21:22], v21, v[10:11]
	v_and_b32_e32 v21, 7, v21
; %bb.1749:                             ;   in Loop: Header=BB370_1564 Depth=1
	s_or_b32 exec_lo, exec_lo, s21
	v_mov_b32_e32 v10, 24
	v_lshlrev_b32_e32 v21, 20, v21
	v_lshl_add_u32 v22, v24, 23, 0x3c000000
	v_lshlrev_b32_sdwa v10, v10, v20 dst_sel:DWORD dst_unused:UNUSED_PAD src0_sel:DWORD src1_sel:WORD_1
	v_and_b32_e32 v10, 0x80000000, v10
	v_or3_b32 v24, v21, v10, v22
.LBB370_1750:                           ;   in Loop: Header=BB370_1564 Depth=1
	s_or_b32 exec_lo, exec_lo, s20
.LBB370_1751:                           ;   in Loop: Header=BB370_1564 Depth=1
	s_or_b32 exec_lo, exec_lo, s19
.LBB370_1752:                           ;   in Loop: Header=BB370_1564 Depth=1
	s_or_b32 exec_lo, exec_lo, s18
	s_mov_b32 s18, exec_lo
	v_cmpx_lt_u64_e64 s[6:7], v[19:20]
	s_cbranch_execz .LBB370_1760
; %bb.1753:                             ;   in Loop: Header=BB370_1564 Depth=1
	v_cmp_ne_u32_sdwa s4, v20, v83 src0_sel:BYTE_3 src1_sel:DWORD
	v_bfrev_b32_e32 v23, 1
	s_and_saveexec_b32 s19, s4
	s_cbranch_execz .LBB370_1759
; %bb.1754:                             ;   in Loop: Header=BB370_1564 Depth=1
	v_bfe_u32 v21, v20, 24, 7
	v_mov_b32_e32 v23, 0x7f800001
	s_mov_b32 s20, exec_lo
	v_cmpx_ne_u32_e32 0x7f, v21
	s_cbranch_execz .LBB370_1758
; %bb.1755:                             ;   in Loop: Header=BB370_1564 Depth=1
	v_mov_b32_e32 v10, 7
	v_lshrrev_b32_e32 v19, 3, v21
	v_cmp_gt_u32_e64 s4, 8, v21
	v_and_b32_sdwa v10, v20, v10 dst_sel:DWORD dst_unused:UNUSED_PAD src0_sel:BYTE_3 src1_sel:DWORD
	v_mov_b32_e32 v22, v11
	v_mov_b32_e32 v21, v10
	s_and_saveexec_b32 s21, s4
; %bb.1756:                             ;   in Loop: Header=BB370_1564 Depth=1
	v_ffbh_u32_e32 v19, v10
	v_min_u32_e32 v19, 32, v19
	v_subrev_nc_u32_e32 v21, 28, v19
	v_sub_nc_u32_e32 v19, 29, v19
	v_lshlrev_b64 v[21:22], v21, v[10:11]
	v_and_b32_e32 v21, 7, v21
; %bb.1757:                             ;   in Loop: Header=BB370_1564 Depth=1
	s_or_b32 exec_lo, exec_lo, s21
	v_mov_b32_e32 v10, 24
	v_lshl_add_u32 v19, v19, 23, 0x3c000000
	v_lshlrev_b32_sdwa v10, v10, v20 dst_sel:DWORD dst_unused:UNUSED_PAD src0_sel:DWORD src1_sel:BYTE_3
	v_lshlrev_b32_e32 v20, 20, v21
	v_and_b32_e32 v10, 0x80000000, v10
	v_or3_b32 v23, v20, v10, v19
.LBB370_1758:                           ;   in Loop: Header=BB370_1564 Depth=1
	s_or_b32 exec_lo, exec_lo, s20
.LBB370_1759:                           ;   in Loop: Header=BB370_1564 Depth=1
	s_or_b32 exec_lo, exec_lo, s19
.LBB370_1760:                           ;   in Loop: Header=BB370_1564 Depth=1
	s_or_b32 exec_lo, exec_lo, s18
	v_mul_f32_e32 v10, v71, v18
	v_mul_f32_e32 v17, v71, v17
	;; [unrolled: 1-line block ×5, first 2 shown]
	v_bfe_u32 v18, v10, 16, 1
	v_or_b32_e32 v19, 0x400000, v10
	v_bfe_u32 v20, v17, 16, 1
	v_cmp_u_f32_e64 s4, v10, v10
	v_or_b32_e32 v21, 0x400000, v17
	v_add3_u32 v18, v18, v10, 0x7fff
	v_bfe_u32 v22, v13, 16, 1
	v_add3_u32 v20, v20, v17, 0x7fff
	v_or_b32_e32 v25, 0x400000, v13
	v_bfe_u32 v26, v12, 16, 1
	v_cndmask_b32_e64 v10, v18, v19, s4
	v_cmp_u_f32_e64 s4, v17, v17
	v_add3_u32 v22, v22, v13, 0x7fff
	v_or_b32_e32 v18, 0x400000, v12
	v_mul_f32_e32 v0, v71, v0
	v_lshrrev_b32_e32 v10, 16, v10
	v_cndmask_b32_e64 v17, v20, v21, s4
	v_cmp_u_f32_e64 s4, v13, v13
	v_bfe_u32 v19, v0, 16, 1
	buffer_store_dword v10, off, s[0:3], s32 offset:272 ; 4-byte Folded Spill
	v_add3_u32 v10, v26, v12, 0x7fff
	v_cndmask_b32_e64 v13, v22, v25, s4
	v_lshrrev_b32_e32 v17, 16, v17
	v_cmp_u_f32_e64 s4, v12, v12
	v_mul_f32_e32 v12, v71, v24
	v_lshrrev_b32_e32 v13, 16, v13
	buffer_store_dword v17, off, s[0:3], s32 offset:268 ; 4-byte Folded Spill
	v_cndmask_b32_e64 v10, v10, v18, s4
	v_or_b32_e32 v17, 0x400000, v1
	v_cmp_u_f32_e64 s4, v1, v1
	buffer_store_dword v13, off, s[0:3], s32 offset:280 ; 4-byte Folded Spill
	v_bfe_u32 v13, v1, 16, 1
	v_mul_f32_e32 v18, v71, v23
	v_bfe_u32 v20, v12, 16, 1
	v_or_b32_e32 v21, 0x400000, v12
	v_lshrrev_b32_e32 v10, 16, v10
	v_add3_u32 v13, v13, v1, 0x7fff
	v_or_b32_e32 v22, 0x400000, v18
	v_add3_u32 v20, v20, v12, 0x7fff
	buffer_store_dword v10, off, s[0:3], s32 offset:276 ; 4-byte Folded Spill
	v_cndmask_b32_e64 v1, v13, v17, s4
	v_add3_u32 v17, v19, v0, 0x7fff
	v_or_b32_e32 v19, 0x400000, v0
	v_cmp_u_f32_e64 s4, v0, v0
	v_bfe_u32 v13, v18, 16, 1
	v_lshrrev_b32_e32 v1, 16, v1
	v_cndmask_b32_e64 v0, v17, v19, s4
	v_cmp_u_f32_e64 s4, v12, v12
	v_add3_u32 v13, v13, v18, 0x7fff
	buffer_store_dword v1, off, s[0:3], s32 offset:288 ; 4-byte Folded Spill
	v_lshrrev_b32_e32 v0, 16, v0
	v_cndmask_b32_e64 v12, v20, v21, s4
	v_cmp_u_f32_e64 s4, v18, v18
	buffer_store_dword v0, off, s[0:3], s32 offset:284 ; 4-byte Folded Spill
	v_lshrrev_b32_e32 v0, 16, v12
	v_cndmask_b32_e64 v13, v13, v22, s4
	buffer_store_dword v0, off, s[0:3], s32 offset:260 ; 4-byte Folded Spill
	v_lshrrev_b32_e32 v0, 16, v13
	buffer_store_dword v0, off, s[0:3], s32 offset:264 ; 4-byte Folded Spill
	s_and_saveexec_b32 s18, vcc_lo
	s_cbranch_execz .LBB370_1762
; %bb.1761:                             ;   in Loop: Header=BB370_1564 Depth=1
	buffer_load_dword v0, off, s[0:3], s32 offset:284 ; 4-byte Folded Reload
	v_cmp_lt_i32_e64 s4, v91, v88
	s_waitcnt vmcnt(0)
	v_cndmask_b32_e64 v0, 0, v0, s4
	v_cmp_lt_i32_e64 s4, v111, v88
	buffer_store_dword v0, off, s[0:3], s32 offset:284 ; 4-byte Folded Spill
	buffer_load_dword v0, off, s[0:3], s32 offset:288 ; 4-byte Folded Reload
	s_waitcnt vmcnt(0)
	v_cndmask_b32_e64 v0, 0, v0, s4
	v_cmp_lt_i32_e64 s4, v110, v88
	buffer_store_dword v0, off, s[0:3], s32 offset:288 ; 4-byte Folded Spill
	buffer_load_dword v0, off, s[0:3], s32 offset:276 ; 4-byte Folded Reload
	;; [unrolled: 5-line block ×7, first 2 shown]
	s_waitcnt vmcnt(0)
	v_cndmask_b32_e64 v0, 0, v0, s4
	buffer_store_dword v0, off, s[0:3], s32 offset:264 ; 4-byte Folded Spill
.LBB370_1762:                           ;   in Loop: Header=BB370_1564 Depth=1
	s_or_b32 exec_lo, exec_lo, s18
	flat_load_dwordx2 v[19:20], v[15:16] offset:768
	v_mov_b32_e32 v1, 0
	v_mov_b32_e32 v0, 0
	s_waitcnt vmcnt(0) lgkmcnt(0)
	v_cmp_ne_u16_sdwa s4, v19, v11 src0_sel:BYTE_0 src1_sel:DWORD
	s_and_saveexec_b32 s18, s4
	s_cbranch_execz .LBB370_1770
; %bb.1763:                             ;   in Loop: Header=BB370_1564 Depth=1
	v_cmp_ne_u16_sdwa s4, v19, v83 src0_sel:BYTE_0 src1_sel:DWORD
	v_bfrev_b32_e32 v0, 1
	s_and_saveexec_b32 s19, s4
	s_cbranch_execz .LBB370_1769
; %bb.1764:                             ;   in Loop: Header=BB370_1564 Depth=1
	v_and_b32_e32 v10, 0x7f, v19
	v_mov_b32_e32 v0, 0x7f800001
	s_mov_b32 s20, exec_lo
	v_cmpx_ne_u32_e32 0x7f, v10
	s_cbranch_execz .LBB370_1768
; %bb.1765:                             ;   in Loop: Header=BB370_1564 Depth=1
	v_mov_b32_e32 v22, v20
	v_lshrrev_b32_e32 v0, 3, v10
	v_mov_b32_e32 v21, v19
	s_mov_b32 s21, exec_lo
	v_cmpx_gt_u32_e32 8, v10
; %bb.1766:                             ;   in Loop: Header=BB370_1564 Depth=1
	v_and_b32_e32 v0, 7, v19
	v_ffbh_u32_e32 v0, v0
	v_min_u32_e32 v0, 32, v0
	v_subrev_nc_u32_e32 v10, 28, v0
	v_sub_nc_u32_e32 v0, 29, v0
	v_lshlrev_b64 v[21:22], v10, v[19:20]
; %bb.1767:                             ;   in Loop: Header=BB370_1564 Depth=1
	s_or_b32 exec_lo, exec_lo, s21
	v_lshlrev_b32_e32 v10, 20, v21
	v_lshlrev_b32_e32 v12, 24, v19
	v_lshl_add_u32 v0, v0, 23, 0x3c000000
	v_and_b32_e32 v10, 0x700000, v10
	v_and_b32_e32 v12, 0x80000000, v12
	v_or3_b32 v0, v10, v12, v0
.LBB370_1768:                           ;   in Loop: Header=BB370_1564 Depth=1
	s_or_b32 exec_lo, exec_lo, s20
.LBB370_1769:                           ;   in Loop: Header=BB370_1564 Depth=1
	s_or_b32 exec_lo, exec_lo, s19
.LBB370_1770:                           ;   in Loop: Header=BB370_1564 Depth=1
	s_or_b32 exec_lo, exec_lo, s18
	v_cmp_ne_u16_sdwa s4, v19, v11 src0_sel:BYTE_1 src1_sel:DWORD
	s_and_saveexec_b32 s18, s4
	s_cbranch_execz .LBB370_1778
; %bb.1771:                             ;   in Loop: Header=BB370_1564 Depth=1
	v_cmp_ne_u16_sdwa s4, v19, v83 src0_sel:BYTE_1 src1_sel:DWORD
	v_bfrev_b32_e32 v1, 1
	s_and_saveexec_b32 s19, s4
	s_cbranch_execz .LBB370_1777
; %bb.1772:                             ;   in Loop: Header=BB370_1564 Depth=1
	v_mov_b32_e32 v1, 0xffff
	s_mov_b32 s20, exec_lo
	v_and_b32_sdwa v10, v1, v19 dst_sel:DWORD dst_unused:UNUSED_PAD src0_sel:DWORD src1_sel:BYTE_1
	v_mov_b32_e32 v1, 0x7f800001
	v_and_b32_e32 v12, 0x7f, v10
	v_cmpx_ne_u32_e32 0x7f, v12
	s_cbranch_execz .LBB370_1776
; %bb.1773:                             ;   in Loop: Header=BB370_1564 Depth=1
	v_and_b32_e32 v10, 7, v10
	v_mov_b32_e32 v22, v11
	v_lshrrev_b32_e32 v1, 3, v12
	s_mov_b32 s21, exec_lo
	v_mov_b32_e32 v21, v10
	v_cmpx_gt_u32_e32 8, v12
; %bb.1774:                             ;   in Loop: Header=BB370_1564 Depth=1
	v_ffbh_u32_e32 v1, v10
	v_min_u32_e32 v1, 32, v1
	v_subrev_nc_u32_e32 v12, 28, v1
	v_sub_nc_u32_e32 v1, 29, v1
	v_lshlrev_b64 v[12:13], v12, v[10:11]
	v_and_b32_e32 v21, 7, v12
; %bb.1775:                             ;   in Loop: Header=BB370_1564 Depth=1
	s_or_b32 exec_lo, exec_lo, s21
	v_lshlrev_b32_e32 v10, 16, v19
	v_lshlrev_b32_e32 v12, 20, v21
	v_lshl_add_u32 v1, v1, 23, 0x3c000000
	v_and_b32_e32 v10, 0x80000000, v10
	v_or3_b32 v1, v12, v10, v1
.LBB370_1776:                           ;   in Loop: Header=BB370_1564 Depth=1
	s_or_b32 exec_lo, exec_lo, s20
.LBB370_1777:                           ;   in Loop: Header=BB370_1564 Depth=1
	s_or_b32 exec_lo, exec_lo, s19
.LBB370_1778:                           ;   in Loop: Header=BB370_1564 Depth=1
	s_or_b32 exec_lo, exec_lo, s18
	v_and_b32_sdwa v10, v19, v85 dst_sel:DWORD dst_unused:UNUSED_PAD src0_sel:WORD_1 src1_sel:DWORD
	v_mov_b32_e32 v13, 0
	v_mov_b32_e32 v12, 0
	s_mov_b32 s18, exec_lo
	v_cmpx_ne_u16_e32 0, v10
	s_cbranch_execz .LBB370_1786
; %bb.1779:                             ;   in Loop: Header=BB370_1564 Depth=1
	v_bfrev_b32_e32 v12, 1
	s_mov_b32 s19, exec_lo
	v_cmpx_ne_u16_e32 0x80, v10
	s_cbranch_execz .LBB370_1785
; %bb.1780:                             ;   in Loop: Header=BB370_1564 Depth=1
	v_bfe_u32 v17, v19, 16, 7
	v_mov_b32_e32 v12, 0x7f800001
	s_mov_b32 s20, exec_lo
	v_cmpx_ne_u32_e32 0x7f, v17
	s_cbranch_execz .LBB370_1784
; %bb.1781:                             ;   in Loop: Header=BB370_1564 Depth=1
	v_mov_b32_e32 v10, 7
	v_lshrrev_b32_e32 v12, 3, v17
	s_mov_b32 s21, exec_lo
	v_and_b32_sdwa v10, v19, v10 dst_sel:DWORD dst_unused:UNUSED_PAD src0_sel:WORD_1 src1_sel:DWORD
	v_mov_b32_e32 v22, v11
	v_mov_b32_e32 v21, v10
	v_cmpx_gt_u32_e32 8, v17
; %bb.1782:                             ;   in Loop: Header=BB370_1564 Depth=1
	v_ffbh_u32_e32 v12, v10
	v_min_u32_e32 v12, 32, v12
	v_subrev_nc_u32_e32 v17, 28, v12
	v_sub_nc_u32_e32 v12, 29, v12
	v_lshlrev_b64 v[17:18], v17, v[10:11]
	v_and_b32_e32 v21, 7, v17
; %bb.1783:                             ;   in Loop: Header=BB370_1564 Depth=1
	s_or_b32 exec_lo, exec_lo, s21
	v_mov_b32_e32 v10, 24
	v_lshlrev_b32_e32 v17, 20, v21
	v_lshl_add_u32 v12, v12, 23, 0x3c000000
	v_lshlrev_b32_sdwa v10, v10, v19 dst_sel:DWORD dst_unused:UNUSED_PAD src0_sel:DWORD src1_sel:WORD_1
	v_and_b32_e32 v10, 0x80000000, v10
	v_or3_b32 v12, v17, v10, v12
.LBB370_1784:                           ;   in Loop: Header=BB370_1564 Depth=1
	s_or_b32 exec_lo, exec_lo, s20
.LBB370_1785:                           ;   in Loop: Header=BB370_1564 Depth=1
	s_or_b32 exec_lo, exec_lo, s19
.LBB370_1786:                           ;   in Loop: Header=BB370_1564 Depth=1
	s_or_b32 exec_lo, exec_lo, s18
	s_mov_b32 s18, exec_lo
	v_cmpx_lt_u32_e32 0xffffff, v19
	s_cbranch_execz .LBB370_1794
; %bb.1787:                             ;   in Loop: Header=BB370_1564 Depth=1
	v_cmp_ne_u32_sdwa s4, v19, v83 src0_sel:BYTE_3 src1_sel:DWORD
	v_bfrev_b32_e32 v13, 1
	s_and_saveexec_b32 s19, s4
	s_cbranch_execz .LBB370_1793
; %bb.1788:                             ;   in Loop: Header=BB370_1564 Depth=1
	v_bfe_u32 v17, v19, 24, 7
	v_mov_b32_e32 v13, 0x7f800001
	s_mov_b32 s20, exec_lo
	v_cmpx_ne_u32_e32 0x7f, v17
	s_cbranch_execz .LBB370_1792
; %bb.1789:                             ;   in Loop: Header=BB370_1564 Depth=1
	v_mov_b32_e32 v10, 7
	v_lshrrev_b32_e32 v13, 3, v17
	s_mov_b32 s21, exec_lo
	v_and_b32_sdwa v10, v19, v10 dst_sel:DWORD dst_unused:UNUSED_PAD src0_sel:BYTE_3 src1_sel:DWORD
	v_mov_b32_e32 v22, v11
	v_mov_b32_e32 v21, v10
	v_cmpx_gt_u32_e32 8, v17
; %bb.1790:                             ;   in Loop: Header=BB370_1564 Depth=1
	v_ffbh_u32_e32 v13, v10
	v_min_u32_e32 v13, 32, v13
	v_subrev_nc_u32_e32 v17, 28, v13
	v_sub_nc_u32_e32 v13, 29, v13
	v_lshlrev_b64 v[17:18], v17, v[10:11]
	v_and_b32_e32 v21, 7, v17
; %bb.1791:                             ;   in Loop: Header=BB370_1564 Depth=1
	s_or_b32 exec_lo, exec_lo, s21
	v_mov_b32_e32 v10, 24
	v_lshlrev_b32_e32 v17, 20, v21
	v_lshl_add_u32 v13, v13, 23, 0x3c000000
	v_lshlrev_b32_sdwa v10, v10, v19 dst_sel:DWORD dst_unused:UNUSED_PAD src0_sel:DWORD src1_sel:BYTE_3
	v_and_b32_e32 v10, 0x80000000, v10
	v_or3_b32 v13, v17, v10, v13
.LBB370_1792:                           ;   in Loop: Header=BB370_1564 Depth=1
	s_or_b32 exec_lo, exec_lo, s20
.LBB370_1793:                           ;   in Loop: Header=BB370_1564 Depth=1
	s_or_b32 exec_lo, exec_lo, s19
.LBB370_1794:                           ;   in Loop: Header=BB370_1564 Depth=1
	s_or_b32 exec_lo, exec_lo, s18
	v_mov_b32_e32 v10, v20
	v_cmp_ne_u16_sdwa s4, v20, v11 src0_sel:BYTE_0 src1_sel:DWORD
	v_mov_b32_e32 v18, 0
	v_mov_b32_e32 v17, 0
	s_and_saveexec_b32 s18, s4
	s_cbranch_execz .LBB370_1802
; %bb.1795:                             ;   in Loop: Header=BB370_1564 Depth=1
	v_cmp_ne_u16_sdwa s4, v20, v83 src0_sel:BYTE_0 src1_sel:DWORD
	v_bfrev_b32_e32 v17, 1
	s_and_saveexec_b32 s19, s4
	s_cbranch_execz .LBB370_1801
; %bb.1796:                             ;   in Loop: Header=BB370_1564 Depth=1
	v_and_b32_e32 v21, 0x7f, v20
	v_mov_b32_e32 v17, 0x7f800001
	s_mov_b32 s20, exec_lo
	v_cmpx_ne_u32_e32 0x7f, v21
	s_cbranch_execz .LBB370_1800
; %bb.1797:                             ;   in Loop: Header=BB370_1564 Depth=1
	v_lshrrev_b32_e32 v17, 3, v21
	v_cmp_gt_u32_e64 s4, 8, v21
	v_mov_b32_e32 v22, v11
	v_mov_b32_e32 v21, v10
	s_and_saveexec_b32 s21, s4
; %bb.1798:                             ;   in Loop: Header=BB370_1564 Depth=1
	v_and_b32_e32 v17, 7, v20
	v_ffbh_u32_e32 v17, v17
	v_min_u32_e32 v17, 32, v17
	v_subrev_nc_u32_e32 v21, 28, v17
	v_sub_nc_u32_e32 v17, 29, v17
	v_lshlrev_b64 v[21:22], v21, v[10:11]
; %bb.1799:                             ;   in Loop: Header=BB370_1564 Depth=1
	s_or_b32 exec_lo, exec_lo, s21
	v_lshlrev_b32_e32 v21, 20, v21
	v_lshlrev_b32_e32 v22, 24, v10
	v_lshl_add_u32 v17, v17, 23, 0x3c000000
	v_and_b32_e32 v21, 0x700000, v21
	v_and_b32_e32 v22, 0x80000000, v22
	v_or3_b32 v17, v21, v22, v17
.LBB370_1800:                           ;   in Loop: Header=BB370_1564 Depth=1
	s_or_b32 exec_lo, exec_lo, s20
.LBB370_1801:                           ;   in Loop: Header=BB370_1564 Depth=1
	s_or_b32 exec_lo, exec_lo, s19
.LBB370_1802:                           ;   in Loop: Header=BB370_1564 Depth=1
	s_or_b32 exec_lo, exec_lo, s18
	v_cmp_ne_u16_sdwa s4, v10, v11 src0_sel:BYTE_1 src1_sel:DWORD
	s_and_saveexec_b32 s18, s4
	s_cbranch_execz .LBB370_1810
; %bb.1803:                             ;   in Loop: Header=BB370_1564 Depth=1
	v_cmp_ne_u16_sdwa s4, v10, v83 src0_sel:BYTE_1 src1_sel:DWORD
	v_bfrev_b32_e32 v18, 1
	s_and_saveexec_b32 s19, s4
	s_cbranch_execz .LBB370_1809
; %bb.1804:                             ;   in Loop: Header=BB370_1564 Depth=1
	v_mov_b32_e32 v18, 0xffff
	s_mov_b32 s20, exec_lo
	v_and_b32_sdwa v21, v18, v10 dst_sel:DWORD dst_unused:UNUSED_PAD src0_sel:DWORD src1_sel:BYTE_1
	v_mov_b32_e32 v18, 0x7f800001
	v_and_b32_e32 v23, 0x7f, v21
	v_cmpx_ne_u32_e32 0x7f, v23
	s_cbranch_execz .LBB370_1808
; %bb.1805:                             ;   in Loop: Header=BB370_1564 Depth=1
	v_and_b32_e32 v21, 7, v21
	v_mov_b32_e32 v22, v11
	v_lshrrev_b32_e32 v18, 3, v23
	s_mov_b32 s21, exec_lo
	v_cmpx_gt_u32_e32 8, v23
; %bb.1806:                             ;   in Loop: Header=BB370_1564 Depth=1
	v_ffbh_u32_e32 v18, v21
	v_min_u32_e32 v18, 32, v18
	v_subrev_nc_u32_e32 v23, 28, v18
	v_sub_nc_u32_e32 v18, 29, v18
	v_lshlrev_b64 v[21:22], v23, v[21:22]
	v_and_b32_e32 v21, 7, v21
; %bb.1807:                             ;   in Loop: Header=BB370_1564 Depth=1
	s_or_b32 exec_lo, exec_lo, s21
	v_lshlrev_b32_e32 v10, 16, v10
	v_lshlrev_b32_e32 v21, 20, v21
	v_lshl_add_u32 v18, v18, 23, 0x3c000000
	v_and_b32_e32 v10, 0x80000000, v10
	v_or3_b32 v18, v21, v10, v18
.LBB370_1808:                           ;   in Loop: Header=BB370_1564 Depth=1
	s_or_b32 exec_lo, exec_lo, s20
.LBB370_1809:                           ;   in Loop: Header=BB370_1564 Depth=1
	s_or_b32 exec_lo, exec_lo, s19
.LBB370_1810:                           ;   in Loop: Header=BB370_1564 Depth=1
	s_or_b32 exec_lo, exec_lo, s18
	v_and_b32_sdwa v10, v20, v85 dst_sel:DWORD dst_unused:UNUSED_PAD src0_sel:WORD_1 src1_sel:DWORD
	v_mov_b32_e32 v23, 0
	v_mov_b32_e32 v24, 0
	s_mov_b32 s18, exec_lo
	v_cmpx_ne_u16_e32 0, v10
	s_cbranch_execz .LBB370_1818
; %bb.1811:                             ;   in Loop: Header=BB370_1564 Depth=1
	v_bfrev_b32_e32 v24, 1
	s_mov_b32 s19, exec_lo
	v_cmpx_ne_u16_e32 0x80, v10
	s_cbranch_execz .LBB370_1817
; %bb.1812:                             ;   in Loop: Header=BB370_1564 Depth=1
	v_bfe_u32 v21, v20, 16, 7
	v_mov_b32_e32 v24, 0x7f800001
	s_mov_b32 s20, exec_lo
	v_cmpx_ne_u32_e32 0x7f, v21
	s_cbranch_execz .LBB370_1816
; %bb.1813:                             ;   in Loop: Header=BB370_1564 Depth=1
	v_mov_b32_e32 v10, 7
	v_lshrrev_b32_e32 v24, 3, v21
	v_cmp_gt_u32_e64 s4, 8, v21
	v_and_b32_sdwa v10, v20, v10 dst_sel:DWORD dst_unused:UNUSED_PAD src0_sel:WORD_1 src1_sel:DWORD
	v_mov_b32_e32 v22, v11
	v_mov_b32_e32 v21, v10
	s_and_saveexec_b32 s21, s4
; %bb.1814:                             ;   in Loop: Header=BB370_1564 Depth=1
	v_ffbh_u32_e32 v21, v10
	v_min_u32_e32 v24, 32, v21
	v_subrev_nc_u32_e32 v21, 28, v24
	v_sub_nc_u32_e32 v24, 29, v24
	v_lshlrev_b64 v[21:22], v21, v[10:11]
	v_and_b32_e32 v21, 7, v21
; %bb.1815:                             ;   in Loop: Header=BB370_1564 Depth=1
	s_or_b32 exec_lo, exec_lo, s21
	v_mov_b32_e32 v10, 24
	v_lshlrev_b32_e32 v21, 20, v21
	v_lshl_add_u32 v22, v24, 23, 0x3c000000
	v_lshlrev_b32_sdwa v10, v10, v20 dst_sel:DWORD dst_unused:UNUSED_PAD src0_sel:DWORD src1_sel:WORD_1
	v_and_b32_e32 v10, 0x80000000, v10
	v_or3_b32 v24, v21, v10, v22
.LBB370_1816:                           ;   in Loop: Header=BB370_1564 Depth=1
	s_or_b32 exec_lo, exec_lo, s20
.LBB370_1817:                           ;   in Loop: Header=BB370_1564 Depth=1
	s_or_b32 exec_lo, exec_lo, s19
.LBB370_1818:                           ;   in Loop: Header=BB370_1564 Depth=1
	s_or_b32 exec_lo, exec_lo, s18
	s_mov_b32 s18, exec_lo
	v_cmpx_lt_u64_e64 s[6:7], v[19:20]
	s_cbranch_execz .LBB370_1826
; %bb.1819:                             ;   in Loop: Header=BB370_1564 Depth=1
	v_cmp_ne_u32_sdwa s4, v20, v83 src0_sel:BYTE_3 src1_sel:DWORD
	v_bfrev_b32_e32 v23, 1
	s_and_saveexec_b32 s19, s4
	s_cbranch_execz .LBB370_1825
; %bb.1820:                             ;   in Loop: Header=BB370_1564 Depth=1
	v_bfe_u32 v21, v20, 24, 7
	v_mov_b32_e32 v23, 0x7f800001
	s_mov_b32 s20, exec_lo
	v_cmpx_ne_u32_e32 0x7f, v21
	s_cbranch_execz .LBB370_1824
; %bb.1821:                             ;   in Loop: Header=BB370_1564 Depth=1
	v_mov_b32_e32 v10, 7
	v_lshrrev_b32_e32 v19, 3, v21
	v_cmp_gt_u32_e64 s4, 8, v21
	v_and_b32_sdwa v10, v20, v10 dst_sel:DWORD dst_unused:UNUSED_PAD src0_sel:BYTE_3 src1_sel:DWORD
	v_mov_b32_e32 v22, v11
	v_mov_b32_e32 v21, v10
	s_and_saveexec_b32 s21, s4
; %bb.1822:                             ;   in Loop: Header=BB370_1564 Depth=1
	v_ffbh_u32_e32 v19, v10
	v_min_u32_e32 v19, 32, v19
	v_subrev_nc_u32_e32 v21, 28, v19
	v_sub_nc_u32_e32 v19, 29, v19
	v_lshlrev_b64 v[21:22], v21, v[10:11]
	v_and_b32_e32 v21, 7, v21
; %bb.1823:                             ;   in Loop: Header=BB370_1564 Depth=1
	s_or_b32 exec_lo, exec_lo, s21
	v_mov_b32_e32 v10, 24
	v_lshl_add_u32 v19, v19, 23, 0x3c000000
	v_lshlrev_b32_sdwa v10, v10, v20 dst_sel:DWORD dst_unused:UNUSED_PAD src0_sel:DWORD src1_sel:BYTE_3
	v_lshlrev_b32_e32 v20, 20, v21
	v_and_b32_e32 v10, 0x80000000, v10
	v_or3_b32 v23, v20, v10, v19
.LBB370_1824:                           ;   in Loop: Header=BB370_1564 Depth=1
	s_or_b32 exec_lo, exec_lo, s20
.LBB370_1825:                           ;   in Loop: Header=BB370_1564 Depth=1
	s_or_b32 exec_lo, exec_lo, s19
.LBB370_1826:                           ;   in Loop: Header=BB370_1564 Depth=1
	s_or_b32 exec_lo, exec_lo, s18
	v_mul_f32_e32 v10, v71, v18
	v_mul_f32_e32 v17, v71, v17
	;; [unrolled: 1-line block ×5, first 2 shown]
	v_bfe_u32 v18, v10, 16, 1
	v_or_b32_e32 v19, 0x400000, v10
	v_bfe_u32 v20, v17, 16, 1
	v_cmp_u_f32_e64 s4, v10, v10
	v_or_b32_e32 v21, 0x400000, v17
	v_add3_u32 v18, v18, v10, 0x7fff
	v_bfe_u32 v22, v13, 16, 1
	v_add3_u32 v20, v20, v17, 0x7fff
	v_or_b32_e32 v25, 0x400000, v13
	v_bfe_u32 v26, v12, 16, 1
	v_cndmask_b32_e64 v10, v18, v19, s4
	v_cmp_u_f32_e64 s4, v17, v17
	v_add3_u32 v22, v22, v13, 0x7fff
	v_or_b32_e32 v18, 0x400000, v12
	v_mul_f32_e32 v0, v71, v0
	v_lshrrev_b32_e32 v10, 16, v10
	v_cndmask_b32_e64 v17, v20, v21, s4
	v_cmp_u_f32_e64 s4, v13, v13
	v_bfe_u32 v19, v0, 16, 1
	buffer_store_dword v10, off, s[0:3], s32 offset:304 ; 4-byte Folded Spill
	v_add3_u32 v10, v26, v12, 0x7fff
	v_cndmask_b32_e64 v13, v22, v25, s4
	v_lshrrev_b32_e32 v17, 16, v17
	v_cmp_u_f32_e64 s4, v12, v12
	v_mul_f32_e32 v12, v71, v24
	v_lshrrev_b32_e32 v13, 16, v13
	buffer_store_dword v17, off, s[0:3], s32 offset:296 ; 4-byte Folded Spill
	v_cndmask_b32_e64 v10, v10, v18, s4
	v_or_b32_e32 v17, 0x400000, v1
	v_cmp_u_f32_e64 s4, v1, v1
	buffer_store_dword v13, off, s[0:3], s32 offset:308 ; 4-byte Folded Spill
	v_bfe_u32 v13, v1, 16, 1
	v_mul_f32_e32 v18, v71, v23
	v_bfe_u32 v20, v12, 16, 1
	v_or_b32_e32 v21, 0x400000, v12
	v_lshrrev_b32_e32 v10, 16, v10
	v_add3_u32 v13, v13, v1, 0x7fff
	v_or_b32_e32 v22, 0x400000, v18
	v_add3_u32 v20, v20, v12, 0x7fff
	buffer_store_dword v10, off, s[0:3], s32 offset:312 ; 4-byte Folded Spill
	v_cndmask_b32_e64 v1, v13, v17, s4
	v_add3_u32 v17, v19, v0, 0x7fff
	v_or_b32_e32 v19, 0x400000, v0
	v_cmp_u_f32_e64 s4, v0, v0
	v_bfe_u32 v13, v18, 16, 1
	v_lshrrev_b32_e32 v1, 16, v1
	v_cndmask_b32_e64 v0, v17, v19, s4
	v_cmp_u_f32_e64 s4, v12, v12
	v_add3_u32 v13, v13, v18, 0x7fff
	buffer_store_dword v1, off, s[0:3], s32 offset:320 ; 4-byte Folded Spill
	v_lshrrev_b32_e32 v0, 16, v0
	v_cndmask_b32_e64 v12, v20, v21, s4
	v_cmp_u_f32_e64 s4, v18, v18
	buffer_store_dword v0, off, s[0:3], s32 offset:316 ; 4-byte Folded Spill
	v_lshrrev_b32_e32 v0, 16, v12
	v_cndmask_b32_e64 v13, v13, v22, s4
	buffer_store_dword v0, off, s[0:3], s32 offset:292 ; 4-byte Folded Spill
	v_lshrrev_b32_e32 v0, 16, v13
	buffer_store_dword v0, off, s[0:3], s32 offset:300 ; 4-byte Folded Spill
	s_and_saveexec_b32 s18, vcc_lo
	s_cbranch_execz .LBB370_1828
; %bb.1827:                             ;   in Loop: Header=BB370_1564 Depth=1
	buffer_load_dword v0, off, s[0:3], s32 offset:316 ; 4-byte Folded Reload
	v_cmp_lt_i32_e64 s4, v91, v88
	s_waitcnt vmcnt(0)
	v_cndmask_b32_e64 v0, 0, v0, s4
	v_cmp_lt_i32_e64 s4, v111, v88
	buffer_store_dword v0, off, s[0:3], s32 offset:316 ; 4-byte Folded Spill
	buffer_load_dword v0, off, s[0:3], s32 offset:320 ; 4-byte Folded Reload
	s_waitcnt vmcnt(0)
	v_cndmask_b32_e64 v0, 0, v0, s4
	v_cmp_lt_i32_e64 s4, v110, v88
	buffer_store_dword v0, off, s[0:3], s32 offset:320 ; 4-byte Folded Spill
	buffer_load_dword v0, off, s[0:3], s32 offset:312 ; 4-byte Folded Reload
	s_waitcnt vmcnt(0)
	v_cndmask_b32_e64 v0, 0, v0, s4
	v_cmp_lt_i32_e64 s4, v109, v88
	buffer_store_dword v0, off, s[0:3], s32 offset:312 ; 4-byte Folded Spill
	buffer_load_dword v0, off, s[0:3], s32 offset:308 ; 4-byte Folded Reload
	s_waitcnt vmcnt(0)
	v_cndmask_b32_e64 v0, 0, v0, s4
	v_cmp_lt_i32_e64 s4, v108, v88
	buffer_store_dword v0, off, s[0:3], s32 offset:308 ; 4-byte Folded Spill
	buffer_load_dword v0, off, s[0:3], s32 offset:296 ; 4-byte Folded Reload
	s_waitcnt vmcnt(0)
	v_cndmask_b32_e64 v0, 0, v0, s4
	v_cmp_lt_i32_e64 s4, v107, v88
	buffer_store_dword v0, off, s[0:3], s32 offset:296 ; 4-byte Folded Spill
	buffer_load_dword v0, off, s[0:3], s32 offset:304 ; 4-byte Folded Reload
	s_waitcnt vmcnt(0)
	v_cndmask_b32_e64 v0, 0, v0, s4
	v_cmp_lt_i32_e64 s4, v106, v88
	buffer_store_dword v0, off, s[0:3], s32 offset:304 ; 4-byte Folded Spill
	buffer_load_dword v0, off, s[0:3], s32 offset:292 ; 4-byte Folded Reload
	s_waitcnt vmcnt(0)
	v_cndmask_b32_e64 v0, 0, v0, s4
	v_cmp_lt_i32_e64 s4, v105, v88
	buffer_store_dword v0, off, s[0:3], s32 offset:292 ; 4-byte Folded Spill
	buffer_load_dword v0, off, s[0:3], s32 offset:300 ; 4-byte Folded Reload
	s_waitcnt vmcnt(0)
	v_cndmask_b32_e64 v0, 0, v0, s4
	buffer_store_dword v0, off, s[0:3], s32 offset:300 ; 4-byte Folded Spill
.LBB370_1828:                           ;   in Loop: Header=BB370_1564 Depth=1
	s_or_b32 exec_lo, exec_lo, s18
	flat_load_dwordx2 v[19:20], v[15:16] offset:1024
	v_mov_b32_e32 v1, 0
	v_mov_b32_e32 v0, 0
	s_waitcnt vmcnt(0) lgkmcnt(0)
	v_cmp_ne_u16_sdwa s4, v19, v11 src0_sel:BYTE_0 src1_sel:DWORD
	s_and_saveexec_b32 s18, s4
	s_cbranch_execz .LBB370_1836
; %bb.1829:                             ;   in Loop: Header=BB370_1564 Depth=1
	v_cmp_ne_u16_sdwa s4, v19, v83 src0_sel:BYTE_0 src1_sel:DWORD
	v_bfrev_b32_e32 v0, 1
	s_and_saveexec_b32 s19, s4
	s_cbranch_execz .LBB370_1835
; %bb.1830:                             ;   in Loop: Header=BB370_1564 Depth=1
	v_and_b32_e32 v10, 0x7f, v19
	v_mov_b32_e32 v0, 0x7f800001
	s_mov_b32 s20, exec_lo
	v_cmpx_ne_u32_e32 0x7f, v10
	s_cbranch_execz .LBB370_1834
; %bb.1831:                             ;   in Loop: Header=BB370_1564 Depth=1
	v_mov_b32_e32 v22, v20
	v_lshrrev_b32_e32 v0, 3, v10
	v_mov_b32_e32 v21, v19
	s_mov_b32 s21, exec_lo
	v_cmpx_gt_u32_e32 8, v10
; %bb.1832:                             ;   in Loop: Header=BB370_1564 Depth=1
	v_and_b32_e32 v0, 7, v19
	v_ffbh_u32_e32 v0, v0
	v_min_u32_e32 v0, 32, v0
	v_subrev_nc_u32_e32 v10, 28, v0
	v_sub_nc_u32_e32 v0, 29, v0
	v_lshlrev_b64 v[21:22], v10, v[19:20]
; %bb.1833:                             ;   in Loop: Header=BB370_1564 Depth=1
	s_or_b32 exec_lo, exec_lo, s21
	v_lshlrev_b32_e32 v10, 20, v21
	v_lshlrev_b32_e32 v12, 24, v19
	v_lshl_add_u32 v0, v0, 23, 0x3c000000
	v_and_b32_e32 v10, 0x700000, v10
	v_and_b32_e32 v12, 0x80000000, v12
	v_or3_b32 v0, v10, v12, v0
.LBB370_1834:                           ;   in Loop: Header=BB370_1564 Depth=1
	s_or_b32 exec_lo, exec_lo, s20
.LBB370_1835:                           ;   in Loop: Header=BB370_1564 Depth=1
	s_or_b32 exec_lo, exec_lo, s19
.LBB370_1836:                           ;   in Loop: Header=BB370_1564 Depth=1
	s_or_b32 exec_lo, exec_lo, s18
	v_cmp_ne_u16_sdwa s4, v19, v11 src0_sel:BYTE_1 src1_sel:DWORD
	s_and_saveexec_b32 s18, s4
	s_cbranch_execz .LBB370_1844
; %bb.1837:                             ;   in Loop: Header=BB370_1564 Depth=1
	v_cmp_ne_u16_sdwa s4, v19, v83 src0_sel:BYTE_1 src1_sel:DWORD
	v_bfrev_b32_e32 v1, 1
	s_and_saveexec_b32 s19, s4
	s_cbranch_execz .LBB370_1843
; %bb.1838:                             ;   in Loop: Header=BB370_1564 Depth=1
	v_mov_b32_e32 v1, 0xffff
	s_mov_b32 s20, exec_lo
	v_and_b32_sdwa v10, v1, v19 dst_sel:DWORD dst_unused:UNUSED_PAD src0_sel:DWORD src1_sel:BYTE_1
	v_mov_b32_e32 v1, 0x7f800001
	v_and_b32_e32 v12, 0x7f, v10
	v_cmpx_ne_u32_e32 0x7f, v12
	s_cbranch_execz .LBB370_1842
; %bb.1839:                             ;   in Loop: Header=BB370_1564 Depth=1
	v_and_b32_e32 v10, 7, v10
	v_mov_b32_e32 v22, v11
	v_lshrrev_b32_e32 v1, 3, v12
	s_mov_b32 s21, exec_lo
	v_mov_b32_e32 v21, v10
	v_cmpx_gt_u32_e32 8, v12
; %bb.1840:                             ;   in Loop: Header=BB370_1564 Depth=1
	v_ffbh_u32_e32 v1, v10
	v_min_u32_e32 v1, 32, v1
	v_subrev_nc_u32_e32 v12, 28, v1
	v_sub_nc_u32_e32 v1, 29, v1
	v_lshlrev_b64 v[12:13], v12, v[10:11]
	v_and_b32_e32 v21, 7, v12
; %bb.1841:                             ;   in Loop: Header=BB370_1564 Depth=1
	s_or_b32 exec_lo, exec_lo, s21
	v_lshlrev_b32_e32 v10, 16, v19
	v_lshlrev_b32_e32 v12, 20, v21
	v_lshl_add_u32 v1, v1, 23, 0x3c000000
	v_and_b32_e32 v10, 0x80000000, v10
	v_or3_b32 v1, v12, v10, v1
.LBB370_1842:                           ;   in Loop: Header=BB370_1564 Depth=1
	s_or_b32 exec_lo, exec_lo, s20
.LBB370_1843:                           ;   in Loop: Header=BB370_1564 Depth=1
	s_or_b32 exec_lo, exec_lo, s19
.LBB370_1844:                           ;   in Loop: Header=BB370_1564 Depth=1
	s_or_b32 exec_lo, exec_lo, s18
	v_and_b32_sdwa v10, v19, v85 dst_sel:DWORD dst_unused:UNUSED_PAD src0_sel:WORD_1 src1_sel:DWORD
	v_mov_b32_e32 v13, 0
	v_mov_b32_e32 v12, 0
	s_mov_b32 s18, exec_lo
	v_cmpx_ne_u16_e32 0, v10
	s_cbranch_execz .LBB370_1852
; %bb.1845:                             ;   in Loop: Header=BB370_1564 Depth=1
	v_bfrev_b32_e32 v12, 1
	s_mov_b32 s19, exec_lo
	v_cmpx_ne_u16_e32 0x80, v10
	s_cbranch_execz .LBB370_1851
; %bb.1846:                             ;   in Loop: Header=BB370_1564 Depth=1
	v_bfe_u32 v17, v19, 16, 7
	v_mov_b32_e32 v12, 0x7f800001
	s_mov_b32 s20, exec_lo
	v_cmpx_ne_u32_e32 0x7f, v17
	s_cbranch_execz .LBB370_1850
; %bb.1847:                             ;   in Loop: Header=BB370_1564 Depth=1
	v_mov_b32_e32 v10, 7
	v_lshrrev_b32_e32 v12, 3, v17
	s_mov_b32 s21, exec_lo
	v_and_b32_sdwa v10, v19, v10 dst_sel:DWORD dst_unused:UNUSED_PAD src0_sel:WORD_1 src1_sel:DWORD
	v_mov_b32_e32 v22, v11
	v_mov_b32_e32 v21, v10
	v_cmpx_gt_u32_e32 8, v17
; %bb.1848:                             ;   in Loop: Header=BB370_1564 Depth=1
	v_ffbh_u32_e32 v12, v10
	v_min_u32_e32 v12, 32, v12
	v_subrev_nc_u32_e32 v17, 28, v12
	v_sub_nc_u32_e32 v12, 29, v12
	v_lshlrev_b64 v[17:18], v17, v[10:11]
	v_and_b32_e32 v21, 7, v17
; %bb.1849:                             ;   in Loop: Header=BB370_1564 Depth=1
	s_or_b32 exec_lo, exec_lo, s21
	v_mov_b32_e32 v10, 24
	v_lshlrev_b32_e32 v17, 20, v21
	v_lshl_add_u32 v12, v12, 23, 0x3c000000
	v_lshlrev_b32_sdwa v10, v10, v19 dst_sel:DWORD dst_unused:UNUSED_PAD src0_sel:DWORD src1_sel:WORD_1
	v_and_b32_e32 v10, 0x80000000, v10
	v_or3_b32 v12, v17, v10, v12
.LBB370_1850:                           ;   in Loop: Header=BB370_1564 Depth=1
	s_or_b32 exec_lo, exec_lo, s20
.LBB370_1851:                           ;   in Loop: Header=BB370_1564 Depth=1
	s_or_b32 exec_lo, exec_lo, s19
.LBB370_1852:                           ;   in Loop: Header=BB370_1564 Depth=1
	s_or_b32 exec_lo, exec_lo, s18
	s_mov_b32 s18, exec_lo
	v_cmpx_lt_u32_e32 0xffffff, v19
	s_cbranch_execz .LBB370_1860
; %bb.1853:                             ;   in Loop: Header=BB370_1564 Depth=1
	v_cmp_ne_u32_sdwa s4, v19, v83 src0_sel:BYTE_3 src1_sel:DWORD
	v_bfrev_b32_e32 v13, 1
	s_and_saveexec_b32 s19, s4
	s_cbranch_execz .LBB370_1859
; %bb.1854:                             ;   in Loop: Header=BB370_1564 Depth=1
	v_bfe_u32 v17, v19, 24, 7
	v_mov_b32_e32 v13, 0x7f800001
	s_mov_b32 s20, exec_lo
	v_cmpx_ne_u32_e32 0x7f, v17
	s_cbranch_execz .LBB370_1858
; %bb.1855:                             ;   in Loop: Header=BB370_1564 Depth=1
	v_mov_b32_e32 v10, 7
	v_lshrrev_b32_e32 v13, 3, v17
	s_mov_b32 s21, exec_lo
	v_and_b32_sdwa v10, v19, v10 dst_sel:DWORD dst_unused:UNUSED_PAD src0_sel:BYTE_3 src1_sel:DWORD
	v_mov_b32_e32 v22, v11
	v_mov_b32_e32 v21, v10
	v_cmpx_gt_u32_e32 8, v17
; %bb.1856:                             ;   in Loop: Header=BB370_1564 Depth=1
	v_ffbh_u32_e32 v13, v10
	v_min_u32_e32 v13, 32, v13
	v_subrev_nc_u32_e32 v17, 28, v13
	v_sub_nc_u32_e32 v13, 29, v13
	v_lshlrev_b64 v[17:18], v17, v[10:11]
	v_and_b32_e32 v21, 7, v17
; %bb.1857:                             ;   in Loop: Header=BB370_1564 Depth=1
	s_or_b32 exec_lo, exec_lo, s21
	v_mov_b32_e32 v10, 24
	v_lshlrev_b32_e32 v17, 20, v21
	v_lshl_add_u32 v13, v13, 23, 0x3c000000
	v_lshlrev_b32_sdwa v10, v10, v19 dst_sel:DWORD dst_unused:UNUSED_PAD src0_sel:DWORD src1_sel:BYTE_3
	v_and_b32_e32 v10, 0x80000000, v10
	v_or3_b32 v13, v17, v10, v13
.LBB370_1858:                           ;   in Loop: Header=BB370_1564 Depth=1
	s_or_b32 exec_lo, exec_lo, s20
.LBB370_1859:                           ;   in Loop: Header=BB370_1564 Depth=1
	s_or_b32 exec_lo, exec_lo, s19
.LBB370_1860:                           ;   in Loop: Header=BB370_1564 Depth=1
	s_or_b32 exec_lo, exec_lo, s18
	v_mov_b32_e32 v10, v20
	v_cmp_ne_u16_sdwa s4, v20, v11 src0_sel:BYTE_0 src1_sel:DWORD
	v_mov_b32_e32 v18, 0
	v_mov_b32_e32 v17, 0
	s_and_saveexec_b32 s18, s4
	s_cbranch_execz .LBB370_1868
; %bb.1861:                             ;   in Loop: Header=BB370_1564 Depth=1
	v_cmp_ne_u16_sdwa s4, v20, v83 src0_sel:BYTE_0 src1_sel:DWORD
	v_bfrev_b32_e32 v17, 1
	s_and_saveexec_b32 s19, s4
	s_cbranch_execz .LBB370_1867
; %bb.1862:                             ;   in Loop: Header=BB370_1564 Depth=1
	v_and_b32_e32 v21, 0x7f, v20
	v_mov_b32_e32 v17, 0x7f800001
	s_mov_b32 s20, exec_lo
	v_cmpx_ne_u32_e32 0x7f, v21
	s_cbranch_execz .LBB370_1866
; %bb.1863:                             ;   in Loop: Header=BB370_1564 Depth=1
	v_lshrrev_b32_e32 v17, 3, v21
	v_cmp_gt_u32_e64 s4, 8, v21
	v_mov_b32_e32 v22, v11
	v_mov_b32_e32 v21, v10
	s_and_saveexec_b32 s21, s4
; %bb.1864:                             ;   in Loop: Header=BB370_1564 Depth=1
	v_and_b32_e32 v17, 7, v20
	v_ffbh_u32_e32 v17, v17
	v_min_u32_e32 v17, 32, v17
	v_subrev_nc_u32_e32 v21, 28, v17
	v_sub_nc_u32_e32 v17, 29, v17
	v_lshlrev_b64 v[21:22], v21, v[10:11]
; %bb.1865:                             ;   in Loop: Header=BB370_1564 Depth=1
	s_or_b32 exec_lo, exec_lo, s21
	v_lshlrev_b32_e32 v21, 20, v21
	v_lshlrev_b32_e32 v22, 24, v10
	v_lshl_add_u32 v17, v17, 23, 0x3c000000
	v_and_b32_e32 v21, 0x700000, v21
	v_and_b32_e32 v22, 0x80000000, v22
	v_or3_b32 v17, v21, v22, v17
.LBB370_1866:                           ;   in Loop: Header=BB370_1564 Depth=1
	s_or_b32 exec_lo, exec_lo, s20
.LBB370_1867:                           ;   in Loop: Header=BB370_1564 Depth=1
	s_or_b32 exec_lo, exec_lo, s19
.LBB370_1868:                           ;   in Loop: Header=BB370_1564 Depth=1
	s_or_b32 exec_lo, exec_lo, s18
	v_cmp_ne_u16_sdwa s4, v10, v11 src0_sel:BYTE_1 src1_sel:DWORD
	s_and_saveexec_b32 s18, s4
	s_cbranch_execz .LBB370_1876
; %bb.1869:                             ;   in Loop: Header=BB370_1564 Depth=1
	v_cmp_ne_u16_sdwa s4, v10, v83 src0_sel:BYTE_1 src1_sel:DWORD
	v_bfrev_b32_e32 v18, 1
	s_and_saveexec_b32 s19, s4
	s_cbranch_execz .LBB370_1875
; %bb.1870:                             ;   in Loop: Header=BB370_1564 Depth=1
	v_mov_b32_e32 v18, 0xffff
	s_mov_b32 s20, exec_lo
	v_and_b32_sdwa v21, v18, v10 dst_sel:DWORD dst_unused:UNUSED_PAD src0_sel:DWORD src1_sel:BYTE_1
	v_mov_b32_e32 v18, 0x7f800001
	v_and_b32_e32 v23, 0x7f, v21
	v_cmpx_ne_u32_e32 0x7f, v23
	s_cbranch_execz .LBB370_1874
; %bb.1871:                             ;   in Loop: Header=BB370_1564 Depth=1
	v_and_b32_e32 v21, 7, v21
	v_mov_b32_e32 v22, v11
	v_lshrrev_b32_e32 v18, 3, v23
	s_mov_b32 s21, exec_lo
	v_cmpx_gt_u32_e32 8, v23
; %bb.1872:                             ;   in Loop: Header=BB370_1564 Depth=1
	v_ffbh_u32_e32 v18, v21
	v_min_u32_e32 v18, 32, v18
	v_subrev_nc_u32_e32 v23, 28, v18
	v_sub_nc_u32_e32 v18, 29, v18
	v_lshlrev_b64 v[21:22], v23, v[21:22]
	v_and_b32_e32 v21, 7, v21
; %bb.1873:                             ;   in Loop: Header=BB370_1564 Depth=1
	s_or_b32 exec_lo, exec_lo, s21
	v_lshlrev_b32_e32 v10, 16, v10
	v_lshlrev_b32_e32 v21, 20, v21
	v_lshl_add_u32 v18, v18, 23, 0x3c000000
	v_and_b32_e32 v10, 0x80000000, v10
	v_or3_b32 v18, v21, v10, v18
.LBB370_1874:                           ;   in Loop: Header=BB370_1564 Depth=1
	s_or_b32 exec_lo, exec_lo, s20
.LBB370_1875:                           ;   in Loop: Header=BB370_1564 Depth=1
	s_or_b32 exec_lo, exec_lo, s19
.LBB370_1876:                           ;   in Loop: Header=BB370_1564 Depth=1
	s_or_b32 exec_lo, exec_lo, s18
	v_and_b32_sdwa v10, v20, v85 dst_sel:DWORD dst_unused:UNUSED_PAD src0_sel:WORD_1 src1_sel:DWORD
	v_mov_b32_e32 v23, 0
	v_mov_b32_e32 v24, 0
	s_mov_b32 s18, exec_lo
	v_cmpx_ne_u16_e32 0, v10
	s_cbranch_execz .LBB370_1884
; %bb.1877:                             ;   in Loop: Header=BB370_1564 Depth=1
	v_bfrev_b32_e32 v24, 1
	s_mov_b32 s19, exec_lo
	v_cmpx_ne_u16_e32 0x80, v10
	s_cbranch_execz .LBB370_1883
; %bb.1878:                             ;   in Loop: Header=BB370_1564 Depth=1
	v_bfe_u32 v21, v20, 16, 7
	v_mov_b32_e32 v24, 0x7f800001
	s_mov_b32 s20, exec_lo
	v_cmpx_ne_u32_e32 0x7f, v21
	s_cbranch_execz .LBB370_1882
; %bb.1879:                             ;   in Loop: Header=BB370_1564 Depth=1
	v_mov_b32_e32 v10, 7
	v_lshrrev_b32_e32 v24, 3, v21
	v_cmp_gt_u32_e64 s4, 8, v21
	v_and_b32_sdwa v10, v20, v10 dst_sel:DWORD dst_unused:UNUSED_PAD src0_sel:WORD_1 src1_sel:DWORD
	v_mov_b32_e32 v22, v11
	v_mov_b32_e32 v21, v10
	s_and_saveexec_b32 s21, s4
; %bb.1880:                             ;   in Loop: Header=BB370_1564 Depth=1
	v_ffbh_u32_e32 v21, v10
	v_min_u32_e32 v24, 32, v21
	v_subrev_nc_u32_e32 v21, 28, v24
	v_sub_nc_u32_e32 v24, 29, v24
	v_lshlrev_b64 v[21:22], v21, v[10:11]
	v_and_b32_e32 v21, 7, v21
; %bb.1881:                             ;   in Loop: Header=BB370_1564 Depth=1
	s_or_b32 exec_lo, exec_lo, s21
	v_mov_b32_e32 v10, 24
	v_lshlrev_b32_e32 v21, 20, v21
	v_lshl_add_u32 v22, v24, 23, 0x3c000000
	v_lshlrev_b32_sdwa v10, v10, v20 dst_sel:DWORD dst_unused:UNUSED_PAD src0_sel:DWORD src1_sel:WORD_1
	v_and_b32_e32 v10, 0x80000000, v10
	v_or3_b32 v24, v21, v10, v22
.LBB370_1882:                           ;   in Loop: Header=BB370_1564 Depth=1
	s_or_b32 exec_lo, exec_lo, s20
.LBB370_1883:                           ;   in Loop: Header=BB370_1564 Depth=1
	s_or_b32 exec_lo, exec_lo, s19
.LBB370_1884:                           ;   in Loop: Header=BB370_1564 Depth=1
	s_or_b32 exec_lo, exec_lo, s18
	s_mov_b32 s18, exec_lo
	v_cmpx_lt_u64_e64 s[6:7], v[19:20]
	s_cbranch_execz .LBB370_1892
; %bb.1885:                             ;   in Loop: Header=BB370_1564 Depth=1
	v_cmp_ne_u32_sdwa s4, v20, v83 src0_sel:BYTE_3 src1_sel:DWORD
	v_bfrev_b32_e32 v23, 1
	s_and_saveexec_b32 s19, s4
	s_cbranch_execz .LBB370_1891
; %bb.1886:                             ;   in Loop: Header=BB370_1564 Depth=1
	v_bfe_u32 v21, v20, 24, 7
	v_mov_b32_e32 v23, 0x7f800001
	s_mov_b32 s20, exec_lo
	v_cmpx_ne_u32_e32 0x7f, v21
	s_cbranch_execz .LBB370_1890
; %bb.1887:                             ;   in Loop: Header=BB370_1564 Depth=1
	v_mov_b32_e32 v10, 7
	v_lshrrev_b32_e32 v19, 3, v21
	v_cmp_gt_u32_e64 s4, 8, v21
	v_and_b32_sdwa v10, v20, v10 dst_sel:DWORD dst_unused:UNUSED_PAD src0_sel:BYTE_3 src1_sel:DWORD
	v_mov_b32_e32 v22, v11
	v_mov_b32_e32 v21, v10
	s_and_saveexec_b32 s21, s4
; %bb.1888:                             ;   in Loop: Header=BB370_1564 Depth=1
	v_ffbh_u32_e32 v19, v10
	v_min_u32_e32 v19, 32, v19
	v_subrev_nc_u32_e32 v21, 28, v19
	v_sub_nc_u32_e32 v19, 29, v19
	v_lshlrev_b64 v[21:22], v21, v[10:11]
	v_and_b32_e32 v21, 7, v21
; %bb.1889:                             ;   in Loop: Header=BB370_1564 Depth=1
	s_or_b32 exec_lo, exec_lo, s21
	v_mov_b32_e32 v10, 24
	v_lshl_add_u32 v19, v19, 23, 0x3c000000
	v_lshlrev_b32_sdwa v10, v10, v20 dst_sel:DWORD dst_unused:UNUSED_PAD src0_sel:DWORD src1_sel:BYTE_3
	v_lshlrev_b32_e32 v20, 20, v21
	v_and_b32_e32 v10, 0x80000000, v10
	v_or3_b32 v23, v20, v10, v19
.LBB370_1890:                           ;   in Loop: Header=BB370_1564 Depth=1
	s_or_b32 exec_lo, exec_lo, s20
.LBB370_1891:                           ;   in Loop: Header=BB370_1564 Depth=1
	s_or_b32 exec_lo, exec_lo, s19
.LBB370_1892:                           ;   in Loop: Header=BB370_1564 Depth=1
	s_or_b32 exec_lo, exec_lo, s18
	v_mul_f32_e32 v10, v71, v18
	v_mul_f32_e32 v17, v71, v17
	v_mul_f32_e32 v13, v71, v13
	v_mul_f32_e32 v12, v71, v12
	v_mul_f32_e32 v1, v71, v1
	v_bfe_u32 v18, v10, 16, 1
	v_or_b32_e32 v19, 0x400000, v10
	v_bfe_u32 v20, v17, 16, 1
	v_cmp_u_f32_e64 s4, v10, v10
	v_or_b32_e32 v21, 0x400000, v17
	v_add3_u32 v18, v18, v10, 0x7fff
	v_bfe_u32 v22, v13, 16, 1
	v_add3_u32 v20, v20, v17, 0x7fff
	v_or_b32_e32 v25, 0x400000, v13
	v_bfe_u32 v26, v12, 16, 1
	v_cndmask_b32_e64 v10, v18, v19, s4
	v_cmp_u_f32_e64 s4, v17, v17
	v_add3_u32 v22, v22, v13, 0x7fff
	v_or_b32_e32 v18, 0x400000, v12
	v_mul_f32_e32 v0, v71, v0
	v_lshrrev_b32_e32 v10, 16, v10
	v_cndmask_b32_e64 v17, v20, v21, s4
	v_cmp_u_f32_e64 s4, v13, v13
	v_bfe_u32 v19, v0, 16, 1
	buffer_store_dword v10, off, s[0:3], s32 offset:336 ; 4-byte Folded Spill
	v_add3_u32 v10, v26, v12, 0x7fff
	v_cndmask_b32_e64 v13, v22, v25, s4
	v_lshrrev_b32_e32 v17, 16, v17
	v_cmp_u_f32_e64 s4, v12, v12
	v_mul_f32_e32 v12, v71, v24
	v_lshrrev_b32_e32 v13, 16, v13
	buffer_store_dword v17, off, s[0:3], s32 offset:328 ; 4-byte Folded Spill
	v_cndmask_b32_e64 v10, v10, v18, s4
	v_or_b32_e32 v17, 0x400000, v1
	v_cmp_u_f32_e64 s4, v1, v1
	buffer_store_dword v13, off, s[0:3], s32 offset:344 ; 4-byte Folded Spill
	v_bfe_u32 v13, v1, 16, 1
	v_mul_f32_e32 v18, v71, v23
	v_bfe_u32 v20, v12, 16, 1
	v_or_b32_e32 v21, 0x400000, v12
	v_lshrrev_b32_e32 v10, 16, v10
	v_add3_u32 v13, v13, v1, 0x7fff
	v_or_b32_e32 v22, 0x400000, v18
	v_add3_u32 v20, v20, v12, 0x7fff
	buffer_store_dword v10, off, s[0:3], s32 offset:340 ; 4-byte Folded Spill
	v_cndmask_b32_e64 v1, v13, v17, s4
	v_add3_u32 v17, v19, v0, 0x7fff
	v_or_b32_e32 v19, 0x400000, v0
	v_cmp_u_f32_e64 s4, v0, v0
	v_bfe_u32 v13, v18, 16, 1
	v_lshrrev_b32_e32 v1, 16, v1
	v_cndmask_b32_e64 v0, v17, v19, s4
	v_cmp_u_f32_e64 s4, v12, v12
	v_add3_u32 v13, v13, v18, 0x7fff
	buffer_store_dword v1, off, s[0:3], s32 offset:352 ; 4-byte Folded Spill
	v_lshrrev_b32_e32 v0, 16, v0
	v_cndmask_b32_e64 v12, v20, v21, s4
	v_cmp_u_f32_e64 s4, v18, v18
	buffer_store_dword v0, off, s[0:3], s32 offset:348 ; 4-byte Folded Spill
	v_lshrrev_b32_e32 v0, 16, v12
	v_cndmask_b32_e64 v13, v13, v22, s4
	buffer_store_dword v0, off, s[0:3], s32 offset:324 ; 4-byte Folded Spill
	v_lshrrev_b32_e32 v0, 16, v13
	buffer_store_dword v0, off, s[0:3], s32 offset:332 ; 4-byte Folded Spill
	s_and_saveexec_b32 s18, vcc_lo
	s_cbranch_execz .LBB370_1894
; %bb.1893:                             ;   in Loop: Header=BB370_1564 Depth=1
	buffer_load_dword v0, off, s[0:3], s32 offset:348 ; 4-byte Folded Reload
	v_cmp_lt_i32_e64 s4, v91, v88
	s_waitcnt vmcnt(0)
	v_cndmask_b32_e64 v0, 0, v0, s4
	v_cmp_lt_i32_e64 s4, v111, v88
	buffer_store_dword v0, off, s[0:3], s32 offset:348 ; 4-byte Folded Spill
	buffer_load_dword v0, off, s[0:3], s32 offset:352 ; 4-byte Folded Reload
	s_waitcnt vmcnt(0)
	v_cndmask_b32_e64 v0, 0, v0, s4
	v_cmp_lt_i32_e64 s4, v110, v88
	buffer_store_dword v0, off, s[0:3], s32 offset:352 ; 4-byte Folded Spill
	buffer_load_dword v0, off, s[0:3], s32 offset:340 ; 4-byte Folded Reload
	;; [unrolled: 5-line block ×7, first 2 shown]
	s_waitcnt vmcnt(0)
	v_cndmask_b32_e64 v0, 0, v0, s4
	buffer_store_dword v0, off, s[0:3], s32 offset:332 ; 4-byte Folded Spill
.LBB370_1894:                           ;   in Loop: Header=BB370_1564 Depth=1
	s_or_b32 exec_lo, exec_lo, s18
	flat_load_dwordx2 v[19:20], v[15:16] offset:1280
	v_mov_b32_e32 v1, 0
	v_mov_b32_e32 v0, 0
	s_waitcnt vmcnt(0) lgkmcnt(0)
	v_cmp_ne_u16_sdwa s4, v19, v11 src0_sel:BYTE_0 src1_sel:DWORD
	s_and_saveexec_b32 s18, s4
	s_cbranch_execz .LBB370_1902
; %bb.1895:                             ;   in Loop: Header=BB370_1564 Depth=1
	v_cmp_ne_u16_sdwa s4, v19, v83 src0_sel:BYTE_0 src1_sel:DWORD
	v_bfrev_b32_e32 v0, 1
	s_and_saveexec_b32 s19, s4
	s_cbranch_execz .LBB370_1901
; %bb.1896:                             ;   in Loop: Header=BB370_1564 Depth=1
	v_and_b32_e32 v10, 0x7f, v19
	v_mov_b32_e32 v0, 0x7f800001
	s_mov_b32 s20, exec_lo
	v_cmpx_ne_u32_e32 0x7f, v10
	s_cbranch_execz .LBB370_1900
; %bb.1897:                             ;   in Loop: Header=BB370_1564 Depth=1
	v_mov_b32_e32 v22, v20
	v_lshrrev_b32_e32 v0, 3, v10
	v_mov_b32_e32 v21, v19
	s_mov_b32 s21, exec_lo
	v_cmpx_gt_u32_e32 8, v10
; %bb.1898:                             ;   in Loop: Header=BB370_1564 Depth=1
	v_and_b32_e32 v0, 7, v19
	v_ffbh_u32_e32 v0, v0
	v_min_u32_e32 v0, 32, v0
	v_subrev_nc_u32_e32 v10, 28, v0
	v_sub_nc_u32_e32 v0, 29, v0
	v_lshlrev_b64 v[21:22], v10, v[19:20]
; %bb.1899:                             ;   in Loop: Header=BB370_1564 Depth=1
	s_or_b32 exec_lo, exec_lo, s21
	v_lshlrev_b32_e32 v10, 20, v21
	v_lshlrev_b32_e32 v12, 24, v19
	v_lshl_add_u32 v0, v0, 23, 0x3c000000
	v_and_b32_e32 v10, 0x700000, v10
	v_and_b32_e32 v12, 0x80000000, v12
	v_or3_b32 v0, v10, v12, v0
.LBB370_1900:                           ;   in Loop: Header=BB370_1564 Depth=1
	s_or_b32 exec_lo, exec_lo, s20
.LBB370_1901:                           ;   in Loop: Header=BB370_1564 Depth=1
	s_or_b32 exec_lo, exec_lo, s19
.LBB370_1902:                           ;   in Loop: Header=BB370_1564 Depth=1
	s_or_b32 exec_lo, exec_lo, s18
	v_cmp_ne_u16_sdwa s4, v19, v11 src0_sel:BYTE_1 src1_sel:DWORD
	s_and_saveexec_b32 s18, s4
	s_cbranch_execz .LBB370_1910
; %bb.1903:                             ;   in Loop: Header=BB370_1564 Depth=1
	v_cmp_ne_u16_sdwa s4, v19, v83 src0_sel:BYTE_1 src1_sel:DWORD
	v_bfrev_b32_e32 v1, 1
	s_and_saveexec_b32 s19, s4
	s_cbranch_execz .LBB370_1909
; %bb.1904:                             ;   in Loop: Header=BB370_1564 Depth=1
	v_mov_b32_e32 v1, 0xffff
	s_mov_b32 s20, exec_lo
	v_and_b32_sdwa v10, v1, v19 dst_sel:DWORD dst_unused:UNUSED_PAD src0_sel:DWORD src1_sel:BYTE_1
	v_mov_b32_e32 v1, 0x7f800001
	v_and_b32_e32 v12, 0x7f, v10
	v_cmpx_ne_u32_e32 0x7f, v12
	s_cbranch_execz .LBB370_1908
; %bb.1905:                             ;   in Loop: Header=BB370_1564 Depth=1
	v_and_b32_e32 v10, 7, v10
	v_mov_b32_e32 v22, v11
	v_lshrrev_b32_e32 v1, 3, v12
	s_mov_b32 s21, exec_lo
	v_mov_b32_e32 v21, v10
	v_cmpx_gt_u32_e32 8, v12
; %bb.1906:                             ;   in Loop: Header=BB370_1564 Depth=1
	v_ffbh_u32_e32 v1, v10
	v_min_u32_e32 v1, 32, v1
	v_subrev_nc_u32_e32 v12, 28, v1
	v_sub_nc_u32_e32 v1, 29, v1
	v_lshlrev_b64 v[12:13], v12, v[10:11]
	v_and_b32_e32 v21, 7, v12
; %bb.1907:                             ;   in Loop: Header=BB370_1564 Depth=1
	s_or_b32 exec_lo, exec_lo, s21
	v_lshlrev_b32_e32 v10, 16, v19
	v_lshlrev_b32_e32 v12, 20, v21
	v_lshl_add_u32 v1, v1, 23, 0x3c000000
	v_and_b32_e32 v10, 0x80000000, v10
	v_or3_b32 v1, v12, v10, v1
.LBB370_1908:                           ;   in Loop: Header=BB370_1564 Depth=1
	s_or_b32 exec_lo, exec_lo, s20
.LBB370_1909:                           ;   in Loop: Header=BB370_1564 Depth=1
	s_or_b32 exec_lo, exec_lo, s19
.LBB370_1910:                           ;   in Loop: Header=BB370_1564 Depth=1
	s_or_b32 exec_lo, exec_lo, s18
	v_and_b32_sdwa v10, v19, v85 dst_sel:DWORD dst_unused:UNUSED_PAD src0_sel:WORD_1 src1_sel:DWORD
	v_mov_b32_e32 v13, 0
	v_mov_b32_e32 v12, 0
	s_mov_b32 s18, exec_lo
	v_cmpx_ne_u16_e32 0, v10
	s_cbranch_execz .LBB370_1918
; %bb.1911:                             ;   in Loop: Header=BB370_1564 Depth=1
	v_bfrev_b32_e32 v12, 1
	s_mov_b32 s19, exec_lo
	v_cmpx_ne_u16_e32 0x80, v10
	s_cbranch_execz .LBB370_1917
; %bb.1912:                             ;   in Loop: Header=BB370_1564 Depth=1
	v_bfe_u32 v17, v19, 16, 7
	v_mov_b32_e32 v12, 0x7f800001
	s_mov_b32 s20, exec_lo
	v_cmpx_ne_u32_e32 0x7f, v17
	s_cbranch_execz .LBB370_1916
; %bb.1913:                             ;   in Loop: Header=BB370_1564 Depth=1
	v_mov_b32_e32 v10, 7
	v_lshrrev_b32_e32 v12, 3, v17
	s_mov_b32 s21, exec_lo
	v_and_b32_sdwa v10, v19, v10 dst_sel:DWORD dst_unused:UNUSED_PAD src0_sel:WORD_1 src1_sel:DWORD
	v_mov_b32_e32 v22, v11
	v_mov_b32_e32 v21, v10
	v_cmpx_gt_u32_e32 8, v17
; %bb.1914:                             ;   in Loop: Header=BB370_1564 Depth=1
	v_ffbh_u32_e32 v12, v10
	v_min_u32_e32 v12, 32, v12
	v_subrev_nc_u32_e32 v17, 28, v12
	v_sub_nc_u32_e32 v12, 29, v12
	v_lshlrev_b64 v[17:18], v17, v[10:11]
	v_and_b32_e32 v21, 7, v17
; %bb.1915:                             ;   in Loop: Header=BB370_1564 Depth=1
	s_or_b32 exec_lo, exec_lo, s21
	v_mov_b32_e32 v10, 24
	v_lshlrev_b32_e32 v17, 20, v21
	v_lshl_add_u32 v12, v12, 23, 0x3c000000
	v_lshlrev_b32_sdwa v10, v10, v19 dst_sel:DWORD dst_unused:UNUSED_PAD src0_sel:DWORD src1_sel:WORD_1
	v_and_b32_e32 v10, 0x80000000, v10
	v_or3_b32 v12, v17, v10, v12
.LBB370_1916:                           ;   in Loop: Header=BB370_1564 Depth=1
	s_or_b32 exec_lo, exec_lo, s20
.LBB370_1917:                           ;   in Loop: Header=BB370_1564 Depth=1
	s_or_b32 exec_lo, exec_lo, s19
.LBB370_1918:                           ;   in Loop: Header=BB370_1564 Depth=1
	s_or_b32 exec_lo, exec_lo, s18
	s_mov_b32 s18, exec_lo
	v_cmpx_lt_u32_e32 0xffffff, v19
	s_cbranch_execz .LBB370_1926
; %bb.1919:                             ;   in Loop: Header=BB370_1564 Depth=1
	v_cmp_ne_u32_sdwa s4, v19, v83 src0_sel:BYTE_3 src1_sel:DWORD
	v_bfrev_b32_e32 v13, 1
	s_and_saveexec_b32 s19, s4
	s_cbranch_execz .LBB370_1925
; %bb.1920:                             ;   in Loop: Header=BB370_1564 Depth=1
	v_bfe_u32 v17, v19, 24, 7
	v_mov_b32_e32 v13, 0x7f800001
	s_mov_b32 s20, exec_lo
	v_cmpx_ne_u32_e32 0x7f, v17
	s_cbranch_execz .LBB370_1924
; %bb.1921:                             ;   in Loop: Header=BB370_1564 Depth=1
	v_mov_b32_e32 v10, 7
	v_lshrrev_b32_e32 v13, 3, v17
	s_mov_b32 s21, exec_lo
	v_and_b32_sdwa v10, v19, v10 dst_sel:DWORD dst_unused:UNUSED_PAD src0_sel:BYTE_3 src1_sel:DWORD
	v_mov_b32_e32 v22, v11
	v_mov_b32_e32 v21, v10
	v_cmpx_gt_u32_e32 8, v17
; %bb.1922:                             ;   in Loop: Header=BB370_1564 Depth=1
	v_ffbh_u32_e32 v13, v10
	v_min_u32_e32 v13, 32, v13
	v_subrev_nc_u32_e32 v17, 28, v13
	v_sub_nc_u32_e32 v13, 29, v13
	v_lshlrev_b64 v[17:18], v17, v[10:11]
	v_and_b32_e32 v21, 7, v17
; %bb.1923:                             ;   in Loop: Header=BB370_1564 Depth=1
	s_or_b32 exec_lo, exec_lo, s21
	v_mov_b32_e32 v10, 24
	v_lshlrev_b32_e32 v17, 20, v21
	v_lshl_add_u32 v13, v13, 23, 0x3c000000
	v_lshlrev_b32_sdwa v10, v10, v19 dst_sel:DWORD dst_unused:UNUSED_PAD src0_sel:DWORD src1_sel:BYTE_3
	v_and_b32_e32 v10, 0x80000000, v10
	v_or3_b32 v13, v17, v10, v13
.LBB370_1924:                           ;   in Loop: Header=BB370_1564 Depth=1
	s_or_b32 exec_lo, exec_lo, s20
.LBB370_1925:                           ;   in Loop: Header=BB370_1564 Depth=1
	s_or_b32 exec_lo, exec_lo, s19
.LBB370_1926:                           ;   in Loop: Header=BB370_1564 Depth=1
	s_or_b32 exec_lo, exec_lo, s18
	v_mov_b32_e32 v10, v20
	v_cmp_ne_u16_sdwa s4, v20, v11 src0_sel:BYTE_0 src1_sel:DWORD
	v_mov_b32_e32 v18, 0
	v_mov_b32_e32 v17, 0
	s_and_saveexec_b32 s18, s4
	s_cbranch_execz .LBB370_1934
; %bb.1927:                             ;   in Loop: Header=BB370_1564 Depth=1
	v_cmp_ne_u16_sdwa s4, v20, v83 src0_sel:BYTE_0 src1_sel:DWORD
	v_bfrev_b32_e32 v17, 1
	s_and_saveexec_b32 s19, s4
	s_cbranch_execz .LBB370_1933
; %bb.1928:                             ;   in Loop: Header=BB370_1564 Depth=1
	v_and_b32_e32 v21, 0x7f, v20
	v_mov_b32_e32 v17, 0x7f800001
	s_mov_b32 s20, exec_lo
	v_cmpx_ne_u32_e32 0x7f, v21
	s_cbranch_execz .LBB370_1932
; %bb.1929:                             ;   in Loop: Header=BB370_1564 Depth=1
	v_lshrrev_b32_e32 v17, 3, v21
	v_cmp_gt_u32_e64 s4, 8, v21
	v_mov_b32_e32 v22, v11
	v_mov_b32_e32 v21, v10
	s_and_saveexec_b32 s21, s4
; %bb.1930:                             ;   in Loop: Header=BB370_1564 Depth=1
	v_and_b32_e32 v17, 7, v20
	v_ffbh_u32_e32 v17, v17
	v_min_u32_e32 v17, 32, v17
	v_subrev_nc_u32_e32 v21, 28, v17
	v_sub_nc_u32_e32 v17, 29, v17
	v_lshlrev_b64 v[21:22], v21, v[10:11]
; %bb.1931:                             ;   in Loop: Header=BB370_1564 Depth=1
	s_or_b32 exec_lo, exec_lo, s21
	v_lshlrev_b32_e32 v21, 20, v21
	v_lshlrev_b32_e32 v22, 24, v10
	v_lshl_add_u32 v17, v17, 23, 0x3c000000
	v_and_b32_e32 v21, 0x700000, v21
	v_and_b32_e32 v22, 0x80000000, v22
	v_or3_b32 v17, v21, v22, v17
.LBB370_1932:                           ;   in Loop: Header=BB370_1564 Depth=1
	s_or_b32 exec_lo, exec_lo, s20
.LBB370_1933:                           ;   in Loop: Header=BB370_1564 Depth=1
	s_or_b32 exec_lo, exec_lo, s19
.LBB370_1934:                           ;   in Loop: Header=BB370_1564 Depth=1
	s_or_b32 exec_lo, exec_lo, s18
	v_cmp_ne_u16_sdwa s4, v10, v11 src0_sel:BYTE_1 src1_sel:DWORD
	s_and_saveexec_b32 s18, s4
	s_cbranch_execz .LBB370_1942
; %bb.1935:                             ;   in Loop: Header=BB370_1564 Depth=1
	v_cmp_ne_u16_sdwa s4, v10, v83 src0_sel:BYTE_1 src1_sel:DWORD
	v_bfrev_b32_e32 v18, 1
	s_and_saveexec_b32 s19, s4
	s_cbranch_execz .LBB370_1941
; %bb.1936:                             ;   in Loop: Header=BB370_1564 Depth=1
	v_mov_b32_e32 v18, 0xffff
	s_mov_b32 s20, exec_lo
	v_and_b32_sdwa v21, v18, v10 dst_sel:DWORD dst_unused:UNUSED_PAD src0_sel:DWORD src1_sel:BYTE_1
	v_mov_b32_e32 v18, 0x7f800001
	v_and_b32_e32 v23, 0x7f, v21
	v_cmpx_ne_u32_e32 0x7f, v23
	s_cbranch_execz .LBB370_1940
; %bb.1937:                             ;   in Loop: Header=BB370_1564 Depth=1
	v_and_b32_e32 v21, 7, v21
	v_mov_b32_e32 v22, v11
	v_lshrrev_b32_e32 v18, 3, v23
	s_mov_b32 s21, exec_lo
	v_cmpx_gt_u32_e32 8, v23
; %bb.1938:                             ;   in Loop: Header=BB370_1564 Depth=1
	v_ffbh_u32_e32 v18, v21
	v_min_u32_e32 v18, 32, v18
	v_subrev_nc_u32_e32 v23, 28, v18
	v_sub_nc_u32_e32 v18, 29, v18
	v_lshlrev_b64 v[21:22], v23, v[21:22]
	v_and_b32_e32 v21, 7, v21
; %bb.1939:                             ;   in Loop: Header=BB370_1564 Depth=1
	s_or_b32 exec_lo, exec_lo, s21
	v_lshlrev_b32_e32 v10, 16, v10
	v_lshlrev_b32_e32 v21, 20, v21
	v_lshl_add_u32 v18, v18, 23, 0x3c000000
	v_and_b32_e32 v10, 0x80000000, v10
	v_or3_b32 v18, v21, v10, v18
.LBB370_1940:                           ;   in Loop: Header=BB370_1564 Depth=1
	s_or_b32 exec_lo, exec_lo, s20
.LBB370_1941:                           ;   in Loop: Header=BB370_1564 Depth=1
	s_or_b32 exec_lo, exec_lo, s19
.LBB370_1942:                           ;   in Loop: Header=BB370_1564 Depth=1
	s_or_b32 exec_lo, exec_lo, s18
	v_and_b32_sdwa v10, v20, v85 dst_sel:DWORD dst_unused:UNUSED_PAD src0_sel:WORD_1 src1_sel:DWORD
	v_mov_b32_e32 v23, 0
	v_mov_b32_e32 v24, 0
	s_mov_b32 s18, exec_lo
	v_cmpx_ne_u16_e32 0, v10
	s_cbranch_execz .LBB370_1950
; %bb.1943:                             ;   in Loop: Header=BB370_1564 Depth=1
	v_bfrev_b32_e32 v24, 1
	s_mov_b32 s19, exec_lo
	v_cmpx_ne_u16_e32 0x80, v10
	s_cbranch_execz .LBB370_1949
; %bb.1944:                             ;   in Loop: Header=BB370_1564 Depth=1
	v_bfe_u32 v21, v20, 16, 7
	v_mov_b32_e32 v24, 0x7f800001
	s_mov_b32 s20, exec_lo
	v_cmpx_ne_u32_e32 0x7f, v21
	s_cbranch_execz .LBB370_1948
; %bb.1945:                             ;   in Loop: Header=BB370_1564 Depth=1
	v_mov_b32_e32 v10, 7
	v_lshrrev_b32_e32 v24, 3, v21
	v_cmp_gt_u32_e64 s4, 8, v21
	v_and_b32_sdwa v10, v20, v10 dst_sel:DWORD dst_unused:UNUSED_PAD src0_sel:WORD_1 src1_sel:DWORD
	v_mov_b32_e32 v22, v11
	v_mov_b32_e32 v21, v10
	s_and_saveexec_b32 s21, s4
; %bb.1946:                             ;   in Loop: Header=BB370_1564 Depth=1
	v_ffbh_u32_e32 v21, v10
	v_min_u32_e32 v24, 32, v21
	v_subrev_nc_u32_e32 v21, 28, v24
	v_sub_nc_u32_e32 v24, 29, v24
	v_lshlrev_b64 v[21:22], v21, v[10:11]
	v_and_b32_e32 v21, 7, v21
; %bb.1947:                             ;   in Loop: Header=BB370_1564 Depth=1
	s_or_b32 exec_lo, exec_lo, s21
	v_mov_b32_e32 v10, 24
	v_lshlrev_b32_e32 v21, 20, v21
	v_lshl_add_u32 v22, v24, 23, 0x3c000000
	v_lshlrev_b32_sdwa v10, v10, v20 dst_sel:DWORD dst_unused:UNUSED_PAD src0_sel:DWORD src1_sel:WORD_1
	v_and_b32_e32 v10, 0x80000000, v10
	v_or3_b32 v24, v21, v10, v22
.LBB370_1948:                           ;   in Loop: Header=BB370_1564 Depth=1
	s_or_b32 exec_lo, exec_lo, s20
.LBB370_1949:                           ;   in Loop: Header=BB370_1564 Depth=1
	s_or_b32 exec_lo, exec_lo, s19
.LBB370_1950:                           ;   in Loop: Header=BB370_1564 Depth=1
	s_or_b32 exec_lo, exec_lo, s18
	s_mov_b32 s18, exec_lo
	v_cmpx_lt_u64_e64 s[6:7], v[19:20]
	s_cbranch_execz .LBB370_1958
; %bb.1951:                             ;   in Loop: Header=BB370_1564 Depth=1
	v_cmp_ne_u32_sdwa s4, v20, v83 src0_sel:BYTE_3 src1_sel:DWORD
	v_bfrev_b32_e32 v23, 1
	s_and_saveexec_b32 s19, s4
	s_cbranch_execz .LBB370_1957
; %bb.1952:                             ;   in Loop: Header=BB370_1564 Depth=1
	v_bfe_u32 v21, v20, 24, 7
	v_mov_b32_e32 v23, 0x7f800001
	s_mov_b32 s20, exec_lo
	v_cmpx_ne_u32_e32 0x7f, v21
	s_cbranch_execz .LBB370_1956
; %bb.1953:                             ;   in Loop: Header=BB370_1564 Depth=1
	v_mov_b32_e32 v10, 7
	v_lshrrev_b32_e32 v19, 3, v21
	v_cmp_gt_u32_e64 s4, 8, v21
	v_and_b32_sdwa v10, v20, v10 dst_sel:DWORD dst_unused:UNUSED_PAD src0_sel:BYTE_3 src1_sel:DWORD
	v_mov_b32_e32 v22, v11
	v_mov_b32_e32 v21, v10
	s_and_saveexec_b32 s21, s4
; %bb.1954:                             ;   in Loop: Header=BB370_1564 Depth=1
	v_ffbh_u32_e32 v19, v10
	v_min_u32_e32 v19, 32, v19
	v_subrev_nc_u32_e32 v21, 28, v19
	v_sub_nc_u32_e32 v19, 29, v19
	v_lshlrev_b64 v[21:22], v21, v[10:11]
	v_and_b32_e32 v21, 7, v21
; %bb.1955:                             ;   in Loop: Header=BB370_1564 Depth=1
	s_or_b32 exec_lo, exec_lo, s21
	v_mov_b32_e32 v10, 24
	v_lshl_add_u32 v19, v19, 23, 0x3c000000
	v_lshlrev_b32_sdwa v10, v10, v20 dst_sel:DWORD dst_unused:UNUSED_PAD src0_sel:DWORD src1_sel:BYTE_3
	v_lshlrev_b32_e32 v20, 20, v21
	v_and_b32_e32 v10, 0x80000000, v10
	v_or3_b32 v23, v20, v10, v19
.LBB370_1956:                           ;   in Loop: Header=BB370_1564 Depth=1
	s_or_b32 exec_lo, exec_lo, s20
.LBB370_1957:                           ;   in Loop: Header=BB370_1564 Depth=1
	s_or_b32 exec_lo, exec_lo, s19
.LBB370_1958:                           ;   in Loop: Header=BB370_1564 Depth=1
	s_or_b32 exec_lo, exec_lo, s18
	v_mul_f32_e32 v10, v71, v18
	v_mul_f32_e32 v17, v71, v17
	;; [unrolled: 1-line block ×5, first 2 shown]
	v_bfe_u32 v18, v10, 16, 1
	v_or_b32_e32 v19, 0x400000, v10
	v_bfe_u32 v20, v17, 16, 1
	v_cmp_u_f32_e64 s4, v10, v10
	v_or_b32_e32 v21, 0x400000, v17
	v_add3_u32 v18, v18, v10, 0x7fff
	v_bfe_u32 v22, v13, 16, 1
	v_add3_u32 v20, v20, v17, 0x7fff
	v_or_b32_e32 v25, 0x400000, v13
	v_bfe_u32 v26, v12, 16, 1
	v_cndmask_b32_e64 v10, v18, v19, s4
	v_cmp_u_f32_e64 s4, v17, v17
	v_add3_u32 v22, v22, v13, 0x7fff
	v_or_b32_e32 v18, 0x400000, v12
	v_mul_f32_e32 v0, v71, v0
	v_lshrrev_b32_e32 v10, 16, v10
	v_cndmask_b32_e64 v17, v20, v21, s4
	v_cmp_u_f32_e64 s4, v13, v13
	v_bfe_u32 v19, v0, 16, 1
	buffer_store_dword v10, off, s[0:3], s32 offset:368 ; 4-byte Folded Spill
	v_add3_u32 v10, v26, v12, 0x7fff
	v_cndmask_b32_e64 v13, v22, v25, s4
	v_lshrrev_b32_e32 v17, 16, v17
	v_cmp_u_f32_e64 s4, v12, v12
	v_mul_f32_e32 v12, v71, v24
	v_lshrrev_b32_e32 v13, 16, v13
	buffer_store_dword v17, off, s[0:3], s32 offset:360 ; 4-byte Folded Spill
	v_cndmask_b32_e64 v10, v10, v18, s4
	v_or_b32_e32 v17, 0x400000, v1
	v_cmp_u_f32_e64 s4, v1, v1
	buffer_store_dword v13, off, s[0:3], s32 offset:372 ; 4-byte Folded Spill
	v_bfe_u32 v13, v1, 16, 1
	v_mul_f32_e32 v18, v71, v23
	v_bfe_u32 v20, v12, 16, 1
	v_or_b32_e32 v21, 0x400000, v12
	v_lshrrev_b32_e32 v10, 16, v10
	v_add3_u32 v13, v13, v1, 0x7fff
	v_or_b32_e32 v22, 0x400000, v18
	v_add3_u32 v20, v20, v12, 0x7fff
	buffer_store_dword v10, off, s[0:3], s32 offset:376 ; 4-byte Folded Spill
	v_cndmask_b32_e64 v1, v13, v17, s4
	v_add3_u32 v17, v19, v0, 0x7fff
	v_or_b32_e32 v19, 0x400000, v0
	v_cmp_u_f32_e64 s4, v0, v0
	v_bfe_u32 v13, v18, 16, 1
	v_lshrrev_b32_e32 v1, 16, v1
	v_cndmask_b32_e64 v0, v17, v19, s4
	v_cmp_u_f32_e64 s4, v12, v12
	v_add3_u32 v13, v13, v18, 0x7fff
	buffer_store_dword v1, off, s[0:3], s32 offset:384 ; 4-byte Folded Spill
	v_lshrrev_b32_e32 v0, 16, v0
	v_cndmask_b32_e64 v12, v20, v21, s4
	v_cmp_u_f32_e64 s4, v18, v18
	buffer_store_dword v0, off, s[0:3], s32 offset:380 ; 4-byte Folded Spill
	v_lshrrev_b32_e32 v0, 16, v12
	v_cndmask_b32_e64 v13, v13, v22, s4
	buffer_store_dword v0, off, s[0:3], s32 offset:356 ; 4-byte Folded Spill
	v_lshrrev_b32_e32 v0, 16, v13
	buffer_store_dword v0, off, s[0:3], s32 offset:364 ; 4-byte Folded Spill
	s_and_saveexec_b32 s18, vcc_lo
	s_cbranch_execz .LBB370_1960
; %bb.1959:                             ;   in Loop: Header=BB370_1564 Depth=1
	buffer_load_dword v0, off, s[0:3], s32 offset:380 ; 4-byte Folded Reload
	v_cmp_lt_i32_e64 s4, v91, v88
	s_waitcnt vmcnt(0)
	v_cndmask_b32_e64 v0, 0, v0, s4
	v_cmp_lt_i32_e64 s4, v111, v88
	buffer_store_dword v0, off, s[0:3], s32 offset:380 ; 4-byte Folded Spill
	buffer_load_dword v0, off, s[0:3], s32 offset:384 ; 4-byte Folded Reload
	s_waitcnt vmcnt(0)
	v_cndmask_b32_e64 v0, 0, v0, s4
	v_cmp_lt_i32_e64 s4, v110, v88
	buffer_store_dword v0, off, s[0:3], s32 offset:384 ; 4-byte Folded Spill
	buffer_load_dword v0, off, s[0:3], s32 offset:376 ; 4-byte Folded Reload
	;; [unrolled: 5-line block ×7, first 2 shown]
	s_waitcnt vmcnt(0)
	v_cndmask_b32_e64 v0, 0, v0, s4
	buffer_store_dword v0, off, s[0:3], s32 offset:364 ; 4-byte Folded Spill
.LBB370_1960:                           ;   in Loop: Header=BB370_1564 Depth=1
	s_or_b32 exec_lo, exec_lo, s18
	flat_load_dwordx2 v[19:20], v[15:16] offset:1536
	v_mov_b32_e32 v1, 0
	v_mov_b32_e32 v0, 0
	s_waitcnt vmcnt(0) lgkmcnt(0)
	v_cmp_ne_u16_sdwa s4, v19, v11 src0_sel:BYTE_0 src1_sel:DWORD
	s_and_saveexec_b32 s18, s4
	s_cbranch_execz .LBB370_1968
; %bb.1961:                             ;   in Loop: Header=BB370_1564 Depth=1
	v_cmp_ne_u16_sdwa s4, v19, v83 src0_sel:BYTE_0 src1_sel:DWORD
	v_bfrev_b32_e32 v0, 1
	s_and_saveexec_b32 s19, s4
	s_cbranch_execz .LBB370_1967
; %bb.1962:                             ;   in Loop: Header=BB370_1564 Depth=1
	v_and_b32_e32 v10, 0x7f, v19
	v_mov_b32_e32 v0, 0x7f800001
	s_mov_b32 s20, exec_lo
	v_cmpx_ne_u32_e32 0x7f, v10
	s_cbranch_execz .LBB370_1966
; %bb.1963:                             ;   in Loop: Header=BB370_1564 Depth=1
	v_mov_b32_e32 v22, v20
	v_lshrrev_b32_e32 v0, 3, v10
	v_mov_b32_e32 v21, v19
	s_mov_b32 s21, exec_lo
	v_cmpx_gt_u32_e32 8, v10
; %bb.1964:                             ;   in Loop: Header=BB370_1564 Depth=1
	v_and_b32_e32 v0, 7, v19
	v_ffbh_u32_e32 v0, v0
	v_min_u32_e32 v0, 32, v0
	v_subrev_nc_u32_e32 v10, 28, v0
	v_sub_nc_u32_e32 v0, 29, v0
	v_lshlrev_b64 v[21:22], v10, v[19:20]
; %bb.1965:                             ;   in Loop: Header=BB370_1564 Depth=1
	s_or_b32 exec_lo, exec_lo, s21
	v_lshlrev_b32_e32 v10, 20, v21
	v_lshlrev_b32_e32 v12, 24, v19
	v_lshl_add_u32 v0, v0, 23, 0x3c000000
	v_and_b32_e32 v10, 0x700000, v10
	v_and_b32_e32 v12, 0x80000000, v12
	v_or3_b32 v0, v10, v12, v0
.LBB370_1966:                           ;   in Loop: Header=BB370_1564 Depth=1
	s_or_b32 exec_lo, exec_lo, s20
.LBB370_1967:                           ;   in Loop: Header=BB370_1564 Depth=1
	s_or_b32 exec_lo, exec_lo, s19
.LBB370_1968:                           ;   in Loop: Header=BB370_1564 Depth=1
	s_or_b32 exec_lo, exec_lo, s18
	v_cmp_ne_u16_sdwa s4, v19, v11 src0_sel:BYTE_1 src1_sel:DWORD
	s_and_saveexec_b32 s18, s4
	s_cbranch_execz .LBB370_1976
; %bb.1969:                             ;   in Loop: Header=BB370_1564 Depth=1
	v_cmp_ne_u16_sdwa s4, v19, v83 src0_sel:BYTE_1 src1_sel:DWORD
	v_bfrev_b32_e32 v1, 1
	s_and_saveexec_b32 s19, s4
	s_cbranch_execz .LBB370_1975
; %bb.1970:                             ;   in Loop: Header=BB370_1564 Depth=1
	v_mov_b32_e32 v1, 0xffff
	s_mov_b32 s20, exec_lo
	v_and_b32_sdwa v10, v1, v19 dst_sel:DWORD dst_unused:UNUSED_PAD src0_sel:DWORD src1_sel:BYTE_1
	v_mov_b32_e32 v1, 0x7f800001
	v_and_b32_e32 v12, 0x7f, v10
	v_cmpx_ne_u32_e32 0x7f, v12
	s_cbranch_execz .LBB370_1974
; %bb.1971:                             ;   in Loop: Header=BB370_1564 Depth=1
	v_and_b32_e32 v10, 7, v10
	v_mov_b32_e32 v22, v11
	v_lshrrev_b32_e32 v1, 3, v12
	s_mov_b32 s21, exec_lo
	v_mov_b32_e32 v21, v10
	v_cmpx_gt_u32_e32 8, v12
; %bb.1972:                             ;   in Loop: Header=BB370_1564 Depth=1
	v_ffbh_u32_e32 v1, v10
	v_min_u32_e32 v1, 32, v1
	v_subrev_nc_u32_e32 v12, 28, v1
	v_sub_nc_u32_e32 v1, 29, v1
	v_lshlrev_b64 v[12:13], v12, v[10:11]
	v_and_b32_e32 v21, 7, v12
; %bb.1973:                             ;   in Loop: Header=BB370_1564 Depth=1
	s_or_b32 exec_lo, exec_lo, s21
	v_lshlrev_b32_e32 v10, 16, v19
	v_lshlrev_b32_e32 v12, 20, v21
	v_lshl_add_u32 v1, v1, 23, 0x3c000000
	v_and_b32_e32 v10, 0x80000000, v10
	v_or3_b32 v1, v12, v10, v1
.LBB370_1974:                           ;   in Loop: Header=BB370_1564 Depth=1
	s_or_b32 exec_lo, exec_lo, s20
.LBB370_1975:                           ;   in Loop: Header=BB370_1564 Depth=1
	s_or_b32 exec_lo, exec_lo, s19
.LBB370_1976:                           ;   in Loop: Header=BB370_1564 Depth=1
	s_or_b32 exec_lo, exec_lo, s18
	v_and_b32_sdwa v10, v19, v85 dst_sel:DWORD dst_unused:UNUSED_PAD src0_sel:WORD_1 src1_sel:DWORD
	v_mov_b32_e32 v13, 0
	v_mov_b32_e32 v12, 0
	s_mov_b32 s18, exec_lo
	v_cmpx_ne_u16_e32 0, v10
	s_cbranch_execz .LBB370_1984
; %bb.1977:                             ;   in Loop: Header=BB370_1564 Depth=1
	v_bfrev_b32_e32 v12, 1
	s_mov_b32 s19, exec_lo
	v_cmpx_ne_u16_e32 0x80, v10
	s_cbranch_execz .LBB370_1983
; %bb.1978:                             ;   in Loop: Header=BB370_1564 Depth=1
	v_bfe_u32 v17, v19, 16, 7
	v_mov_b32_e32 v12, 0x7f800001
	s_mov_b32 s20, exec_lo
	v_cmpx_ne_u32_e32 0x7f, v17
	s_cbranch_execz .LBB370_1982
; %bb.1979:                             ;   in Loop: Header=BB370_1564 Depth=1
	v_mov_b32_e32 v10, 7
	v_lshrrev_b32_e32 v12, 3, v17
	s_mov_b32 s21, exec_lo
	v_and_b32_sdwa v10, v19, v10 dst_sel:DWORD dst_unused:UNUSED_PAD src0_sel:WORD_1 src1_sel:DWORD
	v_mov_b32_e32 v22, v11
	v_mov_b32_e32 v21, v10
	v_cmpx_gt_u32_e32 8, v17
; %bb.1980:                             ;   in Loop: Header=BB370_1564 Depth=1
	v_ffbh_u32_e32 v12, v10
	v_min_u32_e32 v12, 32, v12
	v_subrev_nc_u32_e32 v17, 28, v12
	v_sub_nc_u32_e32 v12, 29, v12
	v_lshlrev_b64 v[17:18], v17, v[10:11]
	v_and_b32_e32 v21, 7, v17
; %bb.1981:                             ;   in Loop: Header=BB370_1564 Depth=1
	s_or_b32 exec_lo, exec_lo, s21
	v_mov_b32_e32 v10, 24
	v_lshlrev_b32_e32 v17, 20, v21
	v_lshl_add_u32 v12, v12, 23, 0x3c000000
	v_lshlrev_b32_sdwa v10, v10, v19 dst_sel:DWORD dst_unused:UNUSED_PAD src0_sel:DWORD src1_sel:WORD_1
	v_and_b32_e32 v10, 0x80000000, v10
	v_or3_b32 v12, v17, v10, v12
.LBB370_1982:                           ;   in Loop: Header=BB370_1564 Depth=1
	s_or_b32 exec_lo, exec_lo, s20
.LBB370_1983:                           ;   in Loop: Header=BB370_1564 Depth=1
	s_or_b32 exec_lo, exec_lo, s19
.LBB370_1984:                           ;   in Loop: Header=BB370_1564 Depth=1
	s_or_b32 exec_lo, exec_lo, s18
	s_mov_b32 s18, exec_lo
	v_cmpx_lt_u32_e32 0xffffff, v19
	s_cbranch_execz .LBB370_1992
; %bb.1985:                             ;   in Loop: Header=BB370_1564 Depth=1
	v_cmp_ne_u32_sdwa s4, v19, v83 src0_sel:BYTE_3 src1_sel:DWORD
	v_bfrev_b32_e32 v13, 1
	s_and_saveexec_b32 s19, s4
	s_cbranch_execz .LBB370_1991
; %bb.1986:                             ;   in Loop: Header=BB370_1564 Depth=1
	v_bfe_u32 v17, v19, 24, 7
	v_mov_b32_e32 v13, 0x7f800001
	s_mov_b32 s20, exec_lo
	v_cmpx_ne_u32_e32 0x7f, v17
	s_cbranch_execz .LBB370_1990
; %bb.1987:                             ;   in Loop: Header=BB370_1564 Depth=1
	v_mov_b32_e32 v10, 7
	v_lshrrev_b32_e32 v13, 3, v17
	s_mov_b32 s21, exec_lo
	v_and_b32_sdwa v10, v19, v10 dst_sel:DWORD dst_unused:UNUSED_PAD src0_sel:BYTE_3 src1_sel:DWORD
	v_mov_b32_e32 v22, v11
	v_mov_b32_e32 v21, v10
	v_cmpx_gt_u32_e32 8, v17
; %bb.1988:                             ;   in Loop: Header=BB370_1564 Depth=1
	v_ffbh_u32_e32 v13, v10
	v_min_u32_e32 v13, 32, v13
	v_subrev_nc_u32_e32 v17, 28, v13
	v_sub_nc_u32_e32 v13, 29, v13
	v_lshlrev_b64 v[17:18], v17, v[10:11]
	v_and_b32_e32 v21, 7, v17
; %bb.1989:                             ;   in Loop: Header=BB370_1564 Depth=1
	s_or_b32 exec_lo, exec_lo, s21
	v_mov_b32_e32 v10, 24
	v_lshlrev_b32_e32 v17, 20, v21
	v_lshl_add_u32 v13, v13, 23, 0x3c000000
	v_lshlrev_b32_sdwa v10, v10, v19 dst_sel:DWORD dst_unused:UNUSED_PAD src0_sel:DWORD src1_sel:BYTE_3
	v_and_b32_e32 v10, 0x80000000, v10
	v_or3_b32 v13, v17, v10, v13
.LBB370_1990:                           ;   in Loop: Header=BB370_1564 Depth=1
	s_or_b32 exec_lo, exec_lo, s20
.LBB370_1991:                           ;   in Loop: Header=BB370_1564 Depth=1
	s_or_b32 exec_lo, exec_lo, s19
.LBB370_1992:                           ;   in Loop: Header=BB370_1564 Depth=1
	s_or_b32 exec_lo, exec_lo, s18
	v_mov_b32_e32 v10, v20
	v_cmp_ne_u16_sdwa s4, v20, v11 src0_sel:BYTE_0 src1_sel:DWORD
	v_mov_b32_e32 v24, 0
	v_mov_b32_e32 v23, 0
	s_and_saveexec_b32 s18, s4
	s_cbranch_execz .LBB370_2000
; %bb.1993:                             ;   in Loop: Header=BB370_1564 Depth=1
	v_cmp_ne_u16_sdwa s4, v20, v83 src0_sel:BYTE_0 src1_sel:DWORD
	v_bfrev_b32_e32 v23, 1
	s_and_saveexec_b32 s19, s4
	s_cbranch_execz .LBB370_1999
; %bb.1994:                             ;   in Loop: Header=BB370_1564 Depth=1
	v_and_b32_e32 v18, 0x7f, v20
	v_mov_b32_e32 v23, 0x7f800001
	s_mov_b32 s20, exec_lo
	v_cmpx_ne_u32_e32 0x7f, v18
	s_cbranch_execz .LBB370_1998
; %bb.1995:                             ;   in Loop: Header=BB370_1564 Depth=1
	v_mov_b32_e32 v22, v11
	v_lshrrev_b32_e32 v17, 3, v18
	v_mov_b32_e32 v21, v10
	s_mov_b32 s21, exec_lo
	v_cmpx_gt_u32_e32 8, v18
; %bb.1996:                             ;   in Loop: Header=BB370_1564 Depth=1
	v_and_b32_e32 v17, 7, v20
	v_ffbh_u32_e32 v17, v17
	v_min_u32_e32 v17, 32, v17
	v_subrev_nc_u32_e32 v18, 28, v17
	v_sub_nc_u32_e32 v17, 29, v17
	v_lshlrev_b64 v[21:22], v18, v[10:11]
; %bb.1997:                             ;   in Loop: Header=BB370_1564 Depth=1
	s_or_b32 exec_lo, exec_lo, s21
	v_lshlrev_b32_e32 v18, 20, v21
	v_lshlrev_b32_e32 v21, 24, v10
	v_lshl_add_u32 v17, v17, 23, 0x3c000000
	v_and_b32_e32 v18, 0x700000, v18
	v_and_b32_e32 v21, 0x80000000, v21
	v_or3_b32 v23, v18, v21, v17
.LBB370_1998:                           ;   in Loop: Header=BB370_1564 Depth=1
	s_or_b32 exec_lo, exec_lo, s20
.LBB370_1999:                           ;   in Loop: Header=BB370_1564 Depth=1
	s_or_b32 exec_lo, exec_lo, s19
.LBB370_2000:                           ;   in Loop: Header=BB370_1564 Depth=1
	s_or_b32 exec_lo, exec_lo, s18
	v_cmp_ne_u16_sdwa s4, v10, v11 src0_sel:BYTE_1 src1_sel:DWORD
	s_and_saveexec_b32 s18, s4
	s_cbranch_execz .LBB370_2008
; %bb.2001:                             ;   in Loop: Header=BB370_1564 Depth=1
	v_cmp_ne_u16_sdwa s4, v10, v83 src0_sel:BYTE_1 src1_sel:DWORD
	v_bfrev_b32_e32 v24, 1
	s_and_saveexec_b32 s19, s4
	s_cbranch_execz .LBB370_2007
; %bb.2002:                             ;   in Loop: Header=BB370_1564 Depth=1
	v_mov_b32_e32 v17, 0xffff
	v_mov_b32_e32 v24, 0x7f800001
	s_mov_b32 s20, exec_lo
	v_and_b32_sdwa v17, v17, v10 dst_sel:DWORD dst_unused:UNUSED_PAD src0_sel:DWORD src1_sel:BYTE_1
	v_and_b32_e32 v18, 0x7f, v17
	v_cmpx_ne_u32_e32 0x7f, v18
	s_cbranch_execz .LBB370_2006
; %bb.2003:                             ;   in Loop: Header=BB370_1564 Depth=1
	v_and_b32_e32 v21, 7, v17
	v_mov_b32_e32 v22, v11
	v_lshrrev_b32_e32 v17, 3, v18
	s_mov_b32 s21, exec_lo
	v_cmpx_gt_u32_e32 8, v18
; %bb.2004:                             ;   in Loop: Header=BB370_1564 Depth=1
	v_ffbh_u32_e32 v17, v21
	v_min_u32_e32 v17, 32, v17
	v_subrev_nc_u32_e32 v18, 28, v17
	v_sub_nc_u32_e32 v17, 29, v17
	v_lshlrev_b64 v[21:22], v18, v[21:22]
	v_and_b32_e32 v21, 7, v21
; %bb.2005:                             ;   in Loop: Header=BB370_1564 Depth=1
	s_or_b32 exec_lo, exec_lo, s21
	v_lshlrev_b32_e32 v10, 16, v10
	v_lshlrev_b32_e32 v18, 20, v21
	v_lshl_add_u32 v17, v17, 23, 0x3c000000
	v_and_b32_e32 v10, 0x80000000, v10
	v_or3_b32 v24, v18, v10, v17
.LBB370_2006:                           ;   in Loop: Header=BB370_1564 Depth=1
	s_or_b32 exec_lo, exec_lo, s20
.LBB370_2007:                           ;   in Loop: Header=BB370_1564 Depth=1
	s_or_b32 exec_lo, exec_lo, s19
.LBB370_2008:                           ;   in Loop: Header=BB370_1564 Depth=1
	s_or_b32 exec_lo, exec_lo, s18
	v_and_b32_sdwa v10, v20, v85 dst_sel:DWORD dst_unused:UNUSED_PAD src0_sel:WORD_1 src1_sel:DWORD
	v_mov_b32_e32 v17, 0
	v_mov_b32_e32 v18, 0
	s_mov_b32 s18, exec_lo
	v_cmpx_ne_u16_e32 0, v10
	s_cbranch_execz .LBB370_2016
; %bb.2009:                             ;   in Loop: Header=BB370_1564 Depth=1
	v_bfrev_b32_e32 v18, 1
	s_mov_b32 s19, exec_lo
	v_cmpx_ne_u16_e32 0x80, v10
	s_cbranch_execz .LBB370_2015
; %bb.2010:                             ;   in Loop: Header=BB370_1564 Depth=1
	v_bfe_u32 v21, v20, 16, 7
	v_mov_b32_e32 v18, 0x7f800001
	s_mov_b32 s20, exec_lo
	v_cmpx_ne_u32_e32 0x7f, v21
	s_cbranch_execz .LBB370_2014
; %bb.2011:                             ;   in Loop: Header=BB370_1564 Depth=1
	v_mov_b32_e32 v10, 7
	v_lshrrev_b32_e32 v18, 3, v21
	v_cmp_gt_u32_e64 s4, 8, v21
	v_and_b32_sdwa v10, v20, v10 dst_sel:DWORD dst_unused:UNUSED_PAD src0_sel:WORD_1 src1_sel:DWORD
	v_mov_b32_e32 v22, v11
	v_mov_b32_e32 v21, v10
	s_and_saveexec_b32 s21, s4
; %bb.2012:                             ;   in Loop: Header=BB370_1564 Depth=1
	v_ffbh_u32_e32 v18, v10
	v_min_u32_e32 v18, 32, v18
	v_subrev_nc_u32_e32 v21, 28, v18
	v_sub_nc_u32_e32 v18, 29, v18
	v_lshlrev_b64 v[21:22], v21, v[10:11]
	v_and_b32_e32 v21, 7, v21
; %bb.2013:                             ;   in Loop: Header=BB370_1564 Depth=1
	s_or_b32 exec_lo, exec_lo, s21
	v_mov_b32_e32 v10, 24
	v_lshlrev_b32_e32 v21, 20, v21
	v_lshl_add_u32 v18, v18, 23, 0x3c000000
	v_lshlrev_b32_sdwa v10, v10, v20 dst_sel:DWORD dst_unused:UNUSED_PAD src0_sel:DWORD src1_sel:WORD_1
	v_and_b32_e32 v10, 0x80000000, v10
	v_or3_b32 v18, v21, v10, v18
.LBB370_2014:                           ;   in Loop: Header=BB370_1564 Depth=1
	s_or_b32 exec_lo, exec_lo, s20
.LBB370_2015:                           ;   in Loop: Header=BB370_1564 Depth=1
	s_or_b32 exec_lo, exec_lo, s19
.LBB370_2016:                           ;   in Loop: Header=BB370_1564 Depth=1
	s_or_b32 exec_lo, exec_lo, s18
	s_mov_b32 s18, exec_lo
	v_cmpx_lt_u64_e64 s[6:7], v[19:20]
	s_cbranch_execz .LBB370_2024
; %bb.2017:                             ;   in Loop: Header=BB370_1564 Depth=1
	v_cmp_ne_u32_sdwa s4, v20, v83 src0_sel:BYTE_3 src1_sel:DWORD
	v_bfrev_b32_e32 v17, 1
	s_and_saveexec_b32 s19, s4
	s_cbranch_execz .LBB370_2023
; %bb.2018:                             ;   in Loop: Header=BB370_1564 Depth=1
	v_bfe_u32 v19, v20, 24, 7
	v_mov_b32_e32 v17, 0x7f800001
	s_mov_b32 s20, exec_lo
	v_cmpx_ne_u32_e32 0x7f, v19
	s_cbranch_execz .LBB370_2022
; %bb.2019:                             ;   in Loop: Header=BB370_1564 Depth=1
	v_mov_b32_e32 v10, 7
	v_lshrrev_b32_e32 v17, 3, v19
	s_mov_b32 s21, exec_lo
	v_and_b32_sdwa v10, v20, v10 dst_sel:DWORD dst_unused:UNUSED_PAD src0_sel:BYTE_3 src1_sel:DWORD
	v_mov_b32_e32 v22, v11
	v_mov_b32_e32 v21, v10
	v_cmpx_gt_u32_e32 8, v19
; %bb.2020:                             ;   in Loop: Header=BB370_1564 Depth=1
	v_ffbh_u32_e32 v17, v10
	v_min_u32_e32 v17, 32, v17
	v_subrev_nc_u32_e32 v19, 28, v17
	v_sub_nc_u32_e32 v17, 29, v17
	v_lshlrev_b64 v[21:22], v19, v[10:11]
	v_and_b32_e32 v21, 7, v21
; %bb.2021:                             ;   in Loop: Header=BB370_1564 Depth=1
	s_or_b32 exec_lo, exec_lo, s21
	v_mov_b32_e32 v10, 24
	v_lshlrev_b32_e32 v19, 20, v21
	v_lshl_add_u32 v17, v17, 23, 0x3c000000
	v_lshlrev_b32_sdwa v10, v10, v20 dst_sel:DWORD dst_unused:UNUSED_PAD src0_sel:DWORD src1_sel:BYTE_3
	v_and_b32_e32 v10, 0x80000000, v10
	v_or3_b32 v17, v19, v10, v17
.LBB370_2022:                           ;   in Loop: Header=BB370_1564 Depth=1
	s_or_b32 exec_lo, exec_lo, s20
.LBB370_2023:                           ;   in Loop: Header=BB370_1564 Depth=1
	s_or_b32 exec_lo, exec_lo, s19
.LBB370_2024:                           ;   in Loop: Header=BB370_1564 Depth=1
	s_or_b32 exec_lo, exec_lo, s18
	v_mul_f32_e32 v10, v71, v24
	v_mul_f32_e32 v1, v71, v1
	;; [unrolled: 1-line block ×3, first 2 shown]
	v_bfe_u32 v19, v10, 16, 1
	v_or_b32_e32 v20, 0x400000, v10
	v_cmp_u_f32_e64 s4, v10, v10
	v_add3_u32 v19, v19, v10, 0x7fff
	v_cndmask_b32_e64 v10, v19, v20, s4
	v_lshrrev_b32_e32 v10, 16, v10
	buffer_store_dword v10, off, s[0:3], s32 offset:392 ; 4-byte Folded Spill
	v_mul_f32_e32 v10, v71, v23
	v_bfe_u32 v19, v10, 16, 1
	v_or_b32_e32 v20, 0x400000, v10
	v_cmp_u_f32_e64 s4, v10, v10
	v_add3_u32 v19, v19, v10, 0x7fff
	v_cndmask_b32_e64 v10, v19, v20, s4
	v_lshrrev_b32_e32 v10, 16, v10
	buffer_store_dword v10, off, s[0:3], s32 offset:388 ; 4-byte Folded Spill
	v_mul_f32_e32 v10, v71, v13
	;; [unrolled: 8-line block ×3, first 2 shown]
	v_bfe_u32 v12, v10, 16, 1
	v_or_b32_e32 v13, 0x400000, v10
	v_cmp_u_f32_e64 s4, v10, v10
	v_add3_u32 v12, v12, v10, 0x7fff
	v_cndmask_b32_e64 v10, v12, v13, s4
	v_or_b32_e32 v12, 0x400000, v1
	v_cmp_u_f32_e64 s4, v1, v1
	v_lshrrev_b32_e32 v10, 16, v10
	buffer_store_dword v10, off, s[0:3], s32 offset:404 ; 4-byte Folded Spill
	v_bfe_u32 v10, v1, 16, 1
	v_add3_u32 v10, v10, v1, 0x7fff
	v_cndmask_b32_e64 v1, v10, v12, s4
	v_or_b32_e32 v10, 0x400000, v0
	v_cmp_u_f32_e64 s4, v0, v0
	v_lshrrev_b32_e32 v1, 16, v1
	buffer_store_dword v1, off, s[0:3], s32 offset:416 ; 4-byte Folded Spill
	v_bfe_u32 v1, v0, 16, 1
	v_add3_u32 v1, v1, v0, 0x7fff
	v_cndmask_b32_e64 v0, v1, v10, s4
	v_lshrrev_b32_e32 v0, 16, v0
	buffer_store_dword v0, off, s[0:3], s32 offset:412 ; 4-byte Folded Spill
	v_mul_f32_e32 v0, v71, v18
	v_bfe_u32 v1, v0, 16, 1
	v_or_b32_e32 v10, 0x400000, v0
	v_cmp_u_f32_e64 s4, v0, v0
	v_add3_u32 v1, v1, v0, 0x7fff
	v_cndmask_b32_e64 v0, v1, v10, s4
	v_lshrrev_b32_e32 v0, 16, v0
	buffer_store_dword v0, off, s[0:3], s32 offset:396 ; 4-byte Folded Spill
	v_mul_f32_e32 v0, v71, v17
	v_bfe_u32 v1, v0, 16, 1
	v_or_b32_e32 v10, 0x400000, v0
	v_cmp_u_f32_e64 s4, v0, v0
	v_add3_u32 v1, v1, v0, 0x7fff
	v_cndmask_b32_e64 v0, v1, v10, s4
	v_lshrrev_b32_e32 v0, 16, v0
	buffer_store_dword v0, off, s[0:3], s32 offset:408 ; 4-byte Folded Spill
	s_and_saveexec_b32 s18, vcc_lo
	s_cbranch_execz .LBB370_2026
; %bb.2025:                             ;   in Loop: Header=BB370_1564 Depth=1
	buffer_load_dword v0, off, s[0:3], s32 offset:412 ; 4-byte Folded Reload
	v_cmp_lt_i32_e64 s4, v91, v88
	s_waitcnt vmcnt(0)
	v_cndmask_b32_e64 v0, 0, v0, s4
	v_cmp_lt_i32_e64 s4, v111, v88
	buffer_store_dword v0, off, s[0:3], s32 offset:412 ; 4-byte Folded Spill
	buffer_load_dword v0, off, s[0:3], s32 offset:416 ; 4-byte Folded Reload
	s_waitcnt vmcnt(0)
	v_cndmask_b32_e64 v0, 0, v0, s4
	v_cmp_lt_i32_e64 s4, v110, v88
	buffer_store_dword v0, off, s[0:3], s32 offset:416 ; 4-byte Folded Spill
	buffer_load_dword v0, off, s[0:3], s32 offset:404 ; 4-byte Folded Reload
	;; [unrolled: 5-line block ×7, first 2 shown]
	s_waitcnt vmcnt(0)
	v_cndmask_b32_e64 v0, 0, v0, s4
	buffer_store_dword v0, off, s[0:3], s32 offset:408 ; 4-byte Folded Spill
.LBB370_2026:                           ;   in Loop: Header=BB370_1564 Depth=1
	s_or_b32 exec_lo, exec_lo, s18
	flat_load_dwordx2 v[19:20], v[15:16] offset:1792
	v_mov_b32_e32 v1, 0
	v_mov_b32_e32 v0, 0
	s_waitcnt vmcnt(0) lgkmcnt(0)
	v_cmp_ne_u16_sdwa s4, v19, v11 src0_sel:BYTE_0 src1_sel:DWORD
	s_and_saveexec_b32 s18, s4
	s_cbranch_execz .LBB370_2034
; %bb.2027:                             ;   in Loop: Header=BB370_1564 Depth=1
	v_cmp_ne_u16_sdwa s4, v19, v83 src0_sel:BYTE_0 src1_sel:DWORD
	v_bfrev_b32_e32 v0, 1
	s_and_saveexec_b32 s19, s4
	s_cbranch_execz .LBB370_2033
; %bb.2028:                             ;   in Loop: Header=BB370_1564 Depth=1
	v_and_b32_e32 v10, 0x7f, v19
	v_mov_b32_e32 v0, 0x7f800001
	s_mov_b32 s20, exec_lo
	v_cmpx_ne_u32_e32 0x7f, v10
	s_cbranch_execz .LBB370_2032
; %bb.2029:                             ;   in Loop: Header=BB370_1564 Depth=1
	v_mov_b32_e32 v22, v20
	v_lshrrev_b32_e32 v0, 3, v10
	v_mov_b32_e32 v21, v19
	s_mov_b32 s21, exec_lo
	v_cmpx_gt_u32_e32 8, v10
; %bb.2030:                             ;   in Loop: Header=BB370_1564 Depth=1
	v_and_b32_e32 v0, 7, v19
	v_ffbh_u32_e32 v0, v0
	v_min_u32_e32 v0, 32, v0
	v_subrev_nc_u32_e32 v10, 28, v0
	v_sub_nc_u32_e32 v0, 29, v0
	v_lshlrev_b64 v[21:22], v10, v[19:20]
; %bb.2031:                             ;   in Loop: Header=BB370_1564 Depth=1
	s_or_b32 exec_lo, exec_lo, s21
	v_lshlrev_b32_e32 v10, 20, v21
	v_lshlrev_b32_e32 v12, 24, v19
	v_lshl_add_u32 v0, v0, 23, 0x3c000000
	v_and_b32_e32 v10, 0x700000, v10
	v_and_b32_e32 v12, 0x80000000, v12
	v_or3_b32 v0, v10, v12, v0
.LBB370_2032:                           ;   in Loop: Header=BB370_1564 Depth=1
	s_or_b32 exec_lo, exec_lo, s20
.LBB370_2033:                           ;   in Loop: Header=BB370_1564 Depth=1
	s_or_b32 exec_lo, exec_lo, s19
.LBB370_2034:                           ;   in Loop: Header=BB370_1564 Depth=1
	s_or_b32 exec_lo, exec_lo, s18
	v_cmp_ne_u16_sdwa s4, v19, v11 src0_sel:BYTE_1 src1_sel:DWORD
	s_and_saveexec_b32 s18, s4
	s_cbranch_execz .LBB370_2042
; %bb.2035:                             ;   in Loop: Header=BB370_1564 Depth=1
	v_cmp_ne_u16_sdwa s4, v19, v83 src0_sel:BYTE_1 src1_sel:DWORD
	v_bfrev_b32_e32 v1, 1
	s_and_saveexec_b32 s19, s4
	s_cbranch_execz .LBB370_2041
; %bb.2036:                             ;   in Loop: Header=BB370_1564 Depth=1
	v_mov_b32_e32 v1, 0xffff
	s_mov_b32 s20, exec_lo
	v_and_b32_sdwa v10, v1, v19 dst_sel:DWORD dst_unused:UNUSED_PAD src0_sel:DWORD src1_sel:BYTE_1
	v_mov_b32_e32 v1, 0x7f800001
	v_and_b32_e32 v12, 0x7f, v10
	v_cmpx_ne_u32_e32 0x7f, v12
	s_cbranch_execz .LBB370_2040
; %bb.2037:                             ;   in Loop: Header=BB370_1564 Depth=1
	v_and_b32_e32 v10, 7, v10
	v_mov_b32_e32 v22, v11
	v_lshrrev_b32_e32 v1, 3, v12
	s_mov_b32 s21, exec_lo
	v_mov_b32_e32 v21, v10
	v_cmpx_gt_u32_e32 8, v12
; %bb.2038:                             ;   in Loop: Header=BB370_1564 Depth=1
	v_ffbh_u32_e32 v1, v10
	v_min_u32_e32 v1, 32, v1
	v_subrev_nc_u32_e32 v12, 28, v1
	v_sub_nc_u32_e32 v1, 29, v1
	v_lshlrev_b64 v[12:13], v12, v[10:11]
	v_and_b32_e32 v21, 7, v12
; %bb.2039:                             ;   in Loop: Header=BB370_1564 Depth=1
	s_or_b32 exec_lo, exec_lo, s21
	v_lshlrev_b32_e32 v10, 16, v19
	v_lshlrev_b32_e32 v12, 20, v21
	v_lshl_add_u32 v1, v1, 23, 0x3c000000
	v_and_b32_e32 v10, 0x80000000, v10
	v_or3_b32 v1, v12, v10, v1
.LBB370_2040:                           ;   in Loop: Header=BB370_1564 Depth=1
	s_or_b32 exec_lo, exec_lo, s20
.LBB370_2041:                           ;   in Loop: Header=BB370_1564 Depth=1
	s_or_b32 exec_lo, exec_lo, s19
.LBB370_2042:                           ;   in Loop: Header=BB370_1564 Depth=1
	s_or_b32 exec_lo, exec_lo, s18
	v_and_b32_sdwa v10, v19, v85 dst_sel:DWORD dst_unused:UNUSED_PAD src0_sel:WORD_1 src1_sel:DWORD
	v_mov_b32_e32 v13, 0
	v_mov_b32_e32 v12, 0
	s_mov_b32 s18, exec_lo
	v_cmpx_ne_u16_e32 0, v10
	s_cbranch_execz .LBB370_2050
; %bb.2043:                             ;   in Loop: Header=BB370_1564 Depth=1
	v_bfrev_b32_e32 v12, 1
	s_mov_b32 s19, exec_lo
	v_cmpx_ne_u16_e32 0x80, v10
	s_cbranch_execz .LBB370_2049
; %bb.2044:                             ;   in Loop: Header=BB370_1564 Depth=1
	v_bfe_u32 v17, v19, 16, 7
	v_mov_b32_e32 v12, 0x7f800001
	s_mov_b32 s20, exec_lo
	v_cmpx_ne_u32_e32 0x7f, v17
	s_cbranch_execz .LBB370_2048
; %bb.2045:                             ;   in Loop: Header=BB370_1564 Depth=1
	v_mov_b32_e32 v10, 7
	v_lshrrev_b32_e32 v12, 3, v17
	s_mov_b32 s21, exec_lo
	v_and_b32_sdwa v10, v19, v10 dst_sel:DWORD dst_unused:UNUSED_PAD src0_sel:WORD_1 src1_sel:DWORD
	v_mov_b32_e32 v22, v11
	v_mov_b32_e32 v21, v10
	v_cmpx_gt_u32_e32 8, v17
; %bb.2046:                             ;   in Loop: Header=BB370_1564 Depth=1
	v_ffbh_u32_e32 v12, v10
	v_min_u32_e32 v12, 32, v12
	v_subrev_nc_u32_e32 v17, 28, v12
	v_sub_nc_u32_e32 v12, 29, v12
	v_lshlrev_b64 v[17:18], v17, v[10:11]
	v_and_b32_e32 v21, 7, v17
; %bb.2047:                             ;   in Loop: Header=BB370_1564 Depth=1
	s_or_b32 exec_lo, exec_lo, s21
	v_mov_b32_e32 v10, 24
	v_lshlrev_b32_e32 v17, 20, v21
	v_lshl_add_u32 v12, v12, 23, 0x3c000000
	v_lshlrev_b32_sdwa v10, v10, v19 dst_sel:DWORD dst_unused:UNUSED_PAD src0_sel:DWORD src1_sel:WORD_1
	v_and_b32_e32 v10, 0x80000000, v10
	v_or3_b32 v12, v17, v10, v12
.LBB370_2048:                           ;   in Loop: Header=BB370_1564 Depth=1
	s_or_b32 exec_lo, exec_lo, s20
.LBB370_2049:                           ;   in Loop: Header=BB370_1564 Depth=1
	s_or_b32 exec_lo, exec_lo, s19
.LBB370_2050:                           ;   in Loop: Header=BB370_1564 Depth=1
	s_or_b32 exec_lo, exec_lo, s18
	s_mov_b32 s18, exec_lo
	v_cmpx_lt_u32_e32 0xffffff, v19
	s_cbranch_execz .LBB370_2058
; %bb.2051:                             ;   in Loop: Header=BB370_1564 Depth=1
	v_cmp_ne_u32_sdwa s4, v19, v83 src0_sel:BYTE_3 src1_sel:DWORD
	v_bfrev_b32_e32 v13, 1
	s_and_saveexec_b32 s19, s4
	s_cbranch_execz .LBB370_2057
; %bb.2052:                             ;   in Loop: Header=BB370_1564 Depth=1
	v_bfe_u32 v17, v19, 24, 7
	v_mov_b32_e32 v13, 0x7f800001
	s_mov_b32 s20, exec_lo
	v_cmpx_ne_u32_e32 0x7f, v17
	s_cbranch_execz .LBB370_2056
; %bb.2053:                             ;   in Loop: Header=BB370_1564 Depth=1
	v_mov_b32_e32 v10, 7
	v_lshrrev_b32_e32 v13, 3, v17
	s_mov_b32 s21, exec_lo
	v_and_b32_sdwa v10, v19, v10 dst_sel:DWORD dst_unused:UNUSED_PAD src0_sel:BYTE_3 src1_sel:DWORD
	v_mov_b32_e32 v22, v11
	v_mov_b32_e32 v21, v10
	v_cmpx_gt_u32_e32 8, v17
; %bb.2054:                             ;   in Loop: Header=BB370_1564 Depth=1
	v_ffbh_u32_e32 v13, v10
	v_min_u32_e32 v13, 32, v13
	v_subrev_nc_u32_e32 v17, 28, v13
	v_sub_nc_u32_e32 v13, 29, v13
	v_lshlrev_b64 v[17:18], v17, v[10:11]
	v_and_b32_e32 v21, 7, v17
; %bb.2055:                             ;   in Loop: Header=BB370_1564 Depth=1
	s_or_b32 exec_lo, exec_lo, s21
	v_mov_b32_e32 v10, 24
	v_lshlrev_b32_e32 v17, 20, v21
	v_lshl_add_u32 v13, v13, 23, 0x3c000000
	v_lshlrev_b32_sdwa v10, v10, v19 dst_sel:DWORD dst_unused:UNUSED_PAD src0_sel:DWORD src1_sel:BYTE_3
	v_and_b32_e32 v10, 0x80000000, v10
	v_or3_b32 v13, v17, v10, v13
.LBB370_2056:                           ;   in Loop: Header=BB370_1564 Depth=1
	s_or_b32 exec_lo, exec_lo, s20
.LBB370_2057:                           ;   in Loop: Header=BB370_1564 Depth=1
	s_or_b32 exec_lo, exec_lo, s19
.LBB370_2058:                           ;   in Loop: Header=BB370_1564 Depth=1
	s_or_b32 exec_lo, exec_lo, s18
	v_mov_b32_e32 v10, v20
	v_cmp_ne_u16_sdwa s4, v20, v11 src0_sel:BYTE_0 src1_sel:DWORD
	v_mov_b32_e32 v24, 0
	v_mov_b32_e32 v23, 0
	s_and_saveexec_b32 s18, s4
	s_cbranch_execz .LBB370_2066
; %bb.2059:                             ;   in Loop: Header=BB370_1564 Depth=1
	v_cmp_ne_u16_sdwa s4, v20, v83 src0_sel:BYTE_0 src1_sel:DWORD
	v_bfrev_b32_e32 v23, 1
	s_and_saveexec_b32 s19, s4
	s_cbranch_execz .LBB370_2065
; %bb.2060:                             ;   in Loop: Header=BB370_1564 Depth=1
	v_and_b32_e32 v18, 0x7f, v20
	v_mov_b32_e32 v23, 0x7f800001
	s_mov_b32 s20, exec_lo
	v_cmpx_ne_u32_e32 0x7f, v18
	s_cbranch_execz .LBB370_2064
; %bb.2061:                             ;   in Loop: Header=BB370_1564 Depth=1
	v_mov_b32_e32 v22, v11
	v_lshrrev_b32_e32 v17, 3, v18
	v_mov_b32_e32 v21, v10
	s_mov_b32 s21, exec_lo
	v_cmpx_gt_u32_e32 8, v18
; %bb.2062:                             ;   in Loop: Header=BB370_1564 Depth=1
	v_and_b32_e32 v17, 7, v20
	v_ffbh_u32_e32 v17, v17
	v_min_u32_e32 v17, 32, v17
	v_subrev_nc_u32_e32 v18, 28, v17
	v_sub_nc_u32_e32 v17, 29, v17
	v_lshlrev_b64 v[21:22], v18, v[10:11]
; %bb.2063:                             ;   in Loop: Header=BB370_1564 Depth=1
	s_or_b32 exec_lo, exec_lo, s21
	v_lshlrev_b32_e32 v18, 20, v21
	v_lshlrev_b32_e32 v21, 24, v10
	v_lshl_add_u32 v17, v17, 23, 0x3c000000
	v_and_b32_e32 v18, 0x700000, v18
	v_and_b32_e32 v21, 0x80000000, v21
	v_or3_b32 v23, v18, v21, v17
.LBB370_2064:                           ;   in Loop: Header=BB370_1564 Depth=1
	s_or_b32 exec_lo, exec_lo, s20
.LBB370_2065:                           ;   in Loop: Header=BB370_1564 Depth=1
	s_or_b32 exec_lo, exec_lo, s19
.LBB370_2066:                           ;   in Loop: Header=BB370_1564 Depth=1
	s_or_b32 exec_lo, exec_lo, s18
	v_cmp_ne_u16_sdwa s4, v10, v11 src0_sel:BYTE_1 src1_sel:DWORD
	s_and_saveexec_b32 s18, s4
	s_cbranch_execz .LBB370_2074
; %bb.2067:                             ;   in Loop: Header=BB370_1564 Depth=1
	v_cmp_ne_u16_sdwa s4, v10, v83 src0_sel:BYTE_1 src1_sel:DWORD
	v_bfrev_b32_e32 v24, 1
	s_and_saveexec_b32 s19, s4
	s_cbranch_execz .LBB370_2073
; %bb.2068:                             ;   in Loop: Header=BB370_1564 Depth=1
	v_mov_b32_e32 v17, 0xffff
	v_mov_b32_e32 v24, 0x7f800001
	s_mov_b32 s20, exec_lo
	v_and_b32_sdwa v17, v17, v10 dst_sel:DWORD dst_unused:UNUSED_PAD src0_sel:DWORD src1_sel:BYTE_1
	v_and_b32_e32 v18, 0x7f, v17
	v_cmpx_ne_u32_e32 0x7f, v18
	s_cbranch_execz .LBB370_2072
; %bb.2069:                             ;   in Loop: Header=BB370_1564 Depth=1
	v_and_b32_e32 v21, 7, v17
	v_mov_b32_e32 v22, v11
	v_lshrrev_b32_e32 v17, 3, v18
	s_mov_b32 s21, exec_lo
	v_cmpx_gt_u32_e32 8, v18
; %bb.2070:                             ;   in Loop: Header=BB370_1564 Depth=1
	v_ffbh_u32_e32 v17, v21
	v_min_u32_e32 v17, 32, v17
	v_subrev_nc_u32_e32 v18, 28, v17
	v_sub_nc_u32_e32 v17, 29, v17
	v_lshlrev_b64 v[21:22], v18, v[21:22]
	v_and_b32_e32 v21, 7, v21
; %bb.2071:                             ;   in Loop: Header=BB370_1564 Depth=1
	s_or_b32 exec_lo, exec_lo, s21
	v_lshlrev_b32_e32 v10, 16, v10
	v_lshlrev_b32_e32 v18, 20, v21
	v_lshl_add_u32 v17, v17, 23, 0x3c000000
	v_and_b32_e32 v10, 0x80000000, v10
	v_or3_b32 v24, v18, v10, v17
.LBB370_2072:                           ;   in Loop: Header=BB370_1564 Depth=1
	s_or_b32 exec_lo, exec_lo, s20
.LBB370_2073:                           ;   in Loop: Header=BB370_1564 Depth=1
	s_or_b32 exec_lo, exec_lo, s19
.LBB370_2074:                           ;   in Loop: Header=BB370_1564 Depth=1
	s_or_b32 exec_lo, exec_lo, s18
	v_and_b32_sdwa v10, v20, v85 dst_sel:DWORD dst_unused:UNUSED_PAD src0_sel:WORD_1 src1_sel:DWORD
	v_mov_b32_e32 v17, 0
	v_mov_b32_e32 v18, 0
	s_mov_b32 s18, exec_lo
	v_cmpx_ne_u16_e32 0, v10
	s_cbranch_execz .LBB370_2082
; %bb.2075:                             ;   in Loop: Header=BB370_1564 Depth=1
	v_bfrev_b32_e32 v18, 1
	s_mov_b32 s19, exec_lo
	v_cmpx_ne_u16_e32 0x80, v10
	s_cbranch_execz .LBB370_2081
; %bb.2076:                             ;   in Loop: Header=BB370_1564 Depth=1
	v_bfe_u32 v21, v20, 16, 7
	v_mov_b32_e32 v18, 0x7f800001
	s_mov_b32 s20, exec_lo
	v_cmpx_ne_u32_e32 0x7f, v21
	s_cbranch_execz .LBB370_2080
; %bb.2077:                             ;   in Loop: Header=BB370_1564 Depth=1
	v_mov_b32_e32 v10, 7
	v_lshrrev_b32_e32 v18, 3, v21
	v_cmp_gt_u32_e64 s4, 8, v21
	v_and_b32_sdwa v10, v20, v10 dst_sel:DWORD dst_unused:UNUSED_PAD src0_sel:WORD_1 src1_sel:DWORD
	v_mov_b32_e32 v22, v11
	v_mov_b32_e32 v21, v10
	s_and_saveexec_b32 s21, s4
; %bb.2078:                             ;   in Loop: Header=BB370_1564 Depth=1
	v_ffbh_u32_e32 v18, v10
	v_min_u32_e32 v18, 32, v18
	v_subrev_nc_u32_e32 v21, 28, v18
	v_sub_nc_u32_e32 v18, 29, v18
	v_lshlrev_b64 v[21:22], v21, v[10:11]
	v_and_b32_e32 v21, 7, v21
; %bb.2079:                             ;   in Loop: Header=BB370_1564 Depth=1
	s_or_b32 exec_lo, exec_lo, s21
	v_mov_b32_e32 v10, 24
	v_lshlrev_b32_e32 v21, 20, v21
	v_lshl_add_u32 v18, v18, 23, 0x3c000000
	v_lshlrev_b32_sdwa v10, v10, v20 dst_sel:DWORD dst_unused:UNUSED_PAD src0_sel:DWORD src1_sel:WORD_1
	v_and_b32_e32 v10, 0x80000000, v10
	v_or3_b32 v18, v21, v10, v18
.LBB370_2080:                           ;   in Loop: Header=BB370_1564 Depth=1
	s_or_b32 exec_lo, exec_lo, s20
.LBB370_2081:                           ;   in Loop: Header=BB370_1564 Depth=1
	s_or_b32 exec_lo, exec_lo, s19
.LBB370_2082:                           ;   in Loop: Header=BB370_1564 Depth=1
	s_or_b32 exec_lo, exec_lo, s18
	s_mov_b32 s18, exec_lo
	v_cmpx_lt_u64_e64 s[6:7], v[19:20]
	s_cbranch_execz .LBB370_2090
; %bb.2083:                             ;   in Loop: Header=BB370_1564 Depth=1
	v_cmp_ne_u32_sdwa s4, v20, v83 src0_sel:BYTE_3 src1_sel:DWORD
	v_bfrev_b32_e32 v17, 1
	s_and_saveexec_b32 s19, s4
	s_cbranch_execz .LBB370_2089
; %bb.2084:                             ;   in Loop: Header=BB370_1564 Depth=1
	v_bfe_u32 v19, v20, 24, 7
	v_mov_b32_e32 v17, 0x7f800001
	s_mov_b32 s20, exec_lo
	v_cmpx_ne_u32_e32 0x7f, v19
	s_cbranch_execz .LBB370_2088
; %bb.2085:                             ;   in Loop: Header=BB370_1564 Depth=1
	v_mov_b32_e32 v10, 7
	v_lshrrev_b32_e32 v17, 3, v19
	s_mov_b32 s21, exec_lo
	v_and_b32_sdwa v10, v20, v10 dst_sel:DWORD dst_unused:UNUSED_PAD src0_sel:BYTE_3 src1_sel:DWORD
	v_mov_b32_e32 v22, v11
	v_mov_b32_e32 v21, v10
	v_cmpx_gt_u32_e32 8, v19
; %bb.2086:                             ;   in Loop: Header=BB370_1564 Depth=1
	v_ffbh_u32_e32 v17, v10
	v_min_u32_e32 v17, 32, v17
	v_subrev_nc_u32_e32 v19, 28, v17
	v_sub_nc_u32_e32 v17, 29, v17
	v_lshlrev_b64 v[21:22], v19, v[10:11]
	v_and_b32_e32 v21, 7, v21
; %bb.2087:                             ;   in Loop: Header=BB370_1564 Depth=1
	s_or_b32 exec_lo, exec_lo, s21
	v_mov_b32_e32 v10, 24
	v_lshlrev_b32_e32 v19, 20, v21
	v_lshl_add_u32 v17, v17, 23, 0x3c000000
	v_lshlrev_b32_sdwa v10, v10, v20 dst_sel:DWORD dst_unused:UNUSED_PAD src0_sel:DWORD src1_sel:BYTE_3
	v_and_b32_e32 v10, 0x80000000, v10
	v_or3_b32 v17, v19, v10, v17
.LBB370_2088:                           ;   in Loop: Header=BB370_1564 Depth=1
	s_or_b32 exec_lo, exec_lo, s20
.LBB370_2089:                           ;   in Loop: Header=BB370_1564 Depth=1
	s_or_b32 exec_lo, exec_lo, s19
.LBB370_2090:                           ;   in Loop: Header=BB370_1564 Depth=1
	s_or_b32 exec_lo, exec_lo, s18
	v_mul_f32_e32 v10, v71, v24
	v_mul_f32_e32 v1, v71, v1
	;; [unrolled: 1-line block ×3, first 2 shown]
	v_bfe_u32 v19, v10, 16, 1
	v_or_b32_e32 v20, 0x400000, v10
	v_cmp_u_f32_e64 s4, v10, v10
	v_add3_u32 v19, v19, v10, 0x7fff
	v_cndmask_b32_e64 v10, v19, v20, s4
	v_lshrrev_b32_e32 v10, 16, v10
	buffer_store_dword v10, off, s[0:3], s32 offset:424 ; 4-byte Folded Spill
	v_mul_f32_e32 v10, v71, v23
	v_bfe_u32 v19, v10, 16, 1
	v_or_b32_e32 v20, 0x400000, v10
	v_cmp_u_f32_e64 s4, v10, v10
	v_add3_u32 v19, v19, v10, 0x7fff
	v_cndmask_b32_e64 v10, v19, v20, s4
	v_lshrrev_b32_e32 v10, 16, v10
	buffer_store_dword v10, off, s[0:3], s32 offset:420 ; 4-byte Folded Spill
	v_mul_f32_e32 v10, v71, v13
	;; [unrolled: 8-line block ×3, first 2 shown]
	v_bfe_u32 v12, v10, 16, 1
	v_or_b32_e32 v13, 0x400000, v10
	v_cmp_u_f32_e64 s4, v10, v10
	v_add3_u32 v12, v12, v10, 0x7fff
	v_cndmask_b32_e64 v10, v12, v13, s4
	v_or_b32_e32 v12, 0x400000, v1
	v_cmp_u_f32_e64 s4, v1, v1
	v_lshrrev_b32_e32 v10, 16, v10
	buffer_store_dword v10, off, s[0:3], s32 offset:436 ; 4-byte Folded Spill
	v_bfe_u32 v10, v1, 16, 1
	v_add3_u32 v10, v10, v1, 0x7fff
	v_cndmask_b32_e64 v1, v10, v12, s4
	v_or_b32_e32 v10, 0x400000, v0
	v_cmp_u_f32_e64 s4, v0, v0
	v_lshrrev_b32_e32 v1, 16, v1
	buffer_store_dword v1, off, s[0:3], s32 offset:448 ; 4-byte Folded Spill
	v_bfe_u32 v1, v0, 16, 1
	v_add3_u32 v1, v1, v0, 0x7fff
	v_cndmask_b32_e64 v0, v1, v10, s4
	v_lshrrev_b32_e32 v0, 16, v0
	buffer_store_dword v0, off, s[0:3], s32 offset:444 ; 4-byte Folded Spill
	v_mul_f32_e32 v0, v71, v18
	v_bfe_u32 v1, v0, 16, 1
	v_or_b32_e32 v10, 0x400000, v0
	v_cmp_u_f32_e64 s4, v0, v0
	v_add3_u32 v1, v1, v0, 0x7fff
	v_cndmask_b32_e64 v0, v1, v10, s4
	v_lshrrev_b32_e32 v0, 16, v0
	buffer_store_dword v0, off, s[0:3], s32 offset:428 ; 4-byte Folded Spill
	v_mul_f32_e32 v0, v71, v17
	v_bfe_u32 v1, v0, 16, 1
	v_or_b32_e32 v10, 0x400000, v0
	v_cmp_u_f32_e64 s4, v0, v0
	v_add3_u32 v1, v1, v0, 0x7fff
	v_cndmask_b32_e64 v0, v1, v10, s4
	v_lshrrev_b32_e32 v0, 16, v0
	buffer_store_dword v0, off, s[0:3], s32 offset:440 ; 4-byte Folded Spill
	s_and_saveexec_b32 s18, vcc_lo
	s_cbranch_execz .LBB370_2092
; %bb.2091:                             ;   in Loop: Header=BB370_1564 Depth=1
	buffer_load_dword v0, off, s[0:3], s32 offset:444 ; 4-byte Folded Reload
	v_cmp_lt_i32_e64 s4, v91, v88
	s_waitcnt vmcnt(0)
	v_cndmask_b32_e64 v0, 0, v0, s4
	v_cmp_lt_i32_e64 s4, v111, v88
	buffer_store_dword v0, off, s[0:3], s32 offset:444 ; 4-byte Folded Spill
	buffer_load_dword v0, off, s[0:3], s32 offset:448 ; 4-byte Folded Reload
	s_waitcnt vmcnt(0)
	v_cndmask_b32_e64 v0, 0, v0, s4
	v_cmp_lt_i32_e64 s4, v110, v88
	buffer_store_dword v0, off, s[0:3], s32 offset:448 ; 4-byte Folded Spill
	buffer_load_dword v0, off, s[0:3], s32 offset:436 ; 4-byte Folded Reload
	;; [unrolled: 5-line block ×7, first 2 shown]
	s_waitcnt vmcnt(0)
	v_cndmask_b32_e64 v0, 0, v0, s4
	buffer_store_dword v0, off, s[0:3], s32 offset:440 ; 4-byte Folded Spill
.LBB370_2092:                           ;   in Loop: Header=BB370_1564 Depth=1
	s_or_b32 exec_lo, exec_lo, s18
	v_add_co_u32 v19, s4, 0x800, v15
	v_add_co_ci_u32_e64 v20, null, 0, v16, s4
	v_mov_b32_e32 v1, 0
	v_mov_b32_e32 v0, 0
	flat_load_dwordx2 v[21:22], v[19:20]
	s_waitcnt vmcnt(0) lgkmcnt(0)
	v_cmp_ne_u16_sdwa s4, v21, v11 src0_sel:BYTE_0 src1_sel:DWORD
	s_and_saveexec_b32 s18, s4
	s_cbranch_execz .LBB370_2100
; %bb.2093:                             ;   in Loop: Header=BB370_1564 Depth=1
	v_cmp_ne_u16_sdwa s4, v21, v83 src0_sel:BYTE_0 src1_sel:DWORD
	v_bfrev_b32_e32 v0, 1
	s_and_saveexec_b32 s19, s4
	s_cbranch_execz .LBB370_2099
; %bb.2094:                             ;   in Loop: Header=BB370_1564 Depth=1
	v_and_b32_e32 v10, 0x7f, v21
	v_mov_b32_e32 v0, 0x7f800001
	s_mov_b32 s20, exec_lo
	v_cmpx_ne_u32_e32 0x7f, v10
	s_cbranch_execz .LBB370_2098
; %bb.2095:                             ;   in Loop: Header=BB370_1564 Depth=1
	v_mov_b32_e32 v24, v22
	v_lshrrev_b32_e32 v0, 3, v10
	v_mov_b32_e32 v23, v21
	s_mov_b32 s21, exec_lo
	v_cmpx_gt_u32_e32 8, v10
; %bb.2096:                             ;   in Loop: Header=BB370_1564 Depth=1
	v_and_b32_e32 v0, 7, v21
	v_ffbh_u32_e32 v0, v0
	v_min_u32_e32 v0, 32, v0
	v_subrev_nc_u32_e32 v10, 28, v0
	v_sub_nc_u32_e32 v0, 29, v0
	v_lshlrev_b64 v[23:24], v10, v[21:22]
; %bb.2097:                             ;   in Loop: Header=BB370_1564 Depth=1
	s_or_b32 exec_lo, exec_lo, s21
	v_lshlrev_b32_e32 v10, 20, v23
	v_lshlrev_b32_e32 v12, 24, v21
	v_lshl_add_u32 v0, v0, 23, 0x3c000000
	v_and_b32_e32 v10, 0x700000, v10
	v_and_b32_e32 v12, 0x80000000, v12
	v_or3_b32 v0, v10, v12, v0
.LBB370_2098:                           ;   in Loop: Header=BB370_1564 Depth=1
	s_or_b32 exec_lo, exec_lo, s20
.LBB370_2099:                           ;   in Loop: Header=BB370_1564 Depth=1
	s_or_b32 exec_lo, exec_lo, s19
.LBB370_2100:                           ;   in Loop: Header=BB370_1564 Depth=1
	s_or_b32 exec_lo, exec_lo, s18
	v_cmp_ne_u16_sdwa s4, v21, v11 src0_sel:BYTE_1 src1_sel:DWORD
	s_and_saveexec_b32 s18, s4
	s_cbranch_execz .LBB370_2108
; %bb.2101:                             ;   in Loop: Header=BB370_1564 Depth=1
	v_cmp_ne_u16_sdwa s4, v21, v83 src0_sel:BYTE_1 src1_sel:DWORD
	v_bfrev_b32_e32 v1, 1
	s_and_saveexec_b32 s19, s4
	s_cbranch_execz .LBB370_2107
; %bb.2102:                             ;   in Loop: Header=BB370_1564 Depth=1
	v_mov_b32_e32 v1, 0xffff
	s_mov_b32 s20, exec_lo
	v_and_b32_sdwa v10, v1, v21 dst_sel:DWORD dst_unused:UNUSED_PAD src0_sel:DWORD src1_sel:BYTE_1
	v_mov_b32_e32 v1, 0x7f800001
	v_and_b32_e32 v12, 0x7f, v10
	v_cmpx_ne_u32_e32 0x7f, v12
	s_cbranch_execz .LBB370_2106
; %bb.2103:                             ;   in Loop: Header=BB370_1564 Depth=1
	v_and_b32_e32 v10, 7, v10
	v_mov_b32_e32 v24, v11
	v_lshrrev_b32_e32 v1, 3, v12
	s_mov_b32 s21, exec_lo
	v_mov_b32_e32 v23, v10
	v_cmpx_gt_u32_e32 8, v12
; %bb.2104:                             ;   in Loop: Header=BB370_1564 Depth=1
	v_ffbh_u32_e32 v1, v10
	v_min_u32_e32 v1, 32, v1
	v_subrev_nc_u32_e32 v12, 28, v1
	v_sub_nc_u32_e32 v1, 29, v1
	v_lshlrev_b64 v[12:13], v12, v[10:11]
	v_and_b32_e32 v23, 7, v12
; %bb.2105:                             ;   in Loop: Header=BB370_1564 Depth=1
	s_or_b32 exec_lo, exec_lo, s21
	v_lshlrev_b32_e32 v10, 16, v21
	v_lshlrev_b32_e32 v12, 20, v23
	v_lshl_add_u32 v1, v1, 23, 0x3c000000
	v_and_b32_e32 v10, 0x80000000, v10
	v_or3_b32 v1, v12, v10, v1
.LBB370_2106:                           ;   in Loop: Header=BB370_1564 Depth=1
	s_or_b32 exec_lo, exec_lo, s20
.LBB370_2107:                           ;   in Loop: Header=BB370_1564 Depth=1
	s_or_b32 exec_lo, exec_lo, s19
.LBB370_2108:                           ;   in Loop: Header=BB370_1564 Depth=1
	s_or_b32 exec_lo, exec_lo, s18
	v_and_b32_sdwa v10, v21, v85 dst_sel:DWORD dst_unused:UNUSED_PAD src0_sel:WORD_1 src1_sel:DWORD
	v_mov_b32_e32 v13, 0
	v_mov_b32_e32 v12, 0
	s_mov_b32 s18, exec_lo
	v_cmpx_ne_u16_e32 0, v10
	s_cbranch_execz .LBB370_2116
; %bb.2109:                             ;   in Loop: Header=BB370_1564 Depth=1
	v_bfrev_b32_e32 v12, 1
	s_mov_b32 s19, exec_lo
	v_cmpx_ne_u16_e32 0x80, v10
	s_cbranch_execz .LBB370_2115
; %bb.2110:                             ;   in Loop: Header=BB370_1564 Depth=1
	v_bfe_u32 v17, v21, 16, 7
	v_mov_b32_e32 v12, 0x7f800001
	s_mov_b32 s20, exec_lo
	v_cmpx_ne_u32_e32 0x7f, v17
	s_cbranch_execz .LBB370_2114
; %bb.2111:                             ;   in Loop: Header=BB370_1564 Depth=1
	v_mov_b32_e32 v10, 7
	v_lshrrev_b32_e32 v12, 3, v17
	s_mov_b32 s21, exec_lo
	v_and_b32_sdwa v10, v21, v10 dst_sel:DWORD dst_unused:UNUSED_PAD src0_sel:WORD_1 src1_sel:DWORD
	v_mov_b32_e32 v24, v11
	v_mov_b32_e32 v23, v10
	v_cmpx_gt_u32_e32 8, v17
; %bb.2112:                             ;   in Loop: Header=BB370_1564 Depth=1
	v_ffbh_u32_e32 v12, v10
	v_min_u32_e32 v12, 32, v12
	v_subrev_nc_u32_e32 v17, 28, v12
	v_sub_nc_u32_e32 v12, 29, v12
	v_lshlrev_b64 v[17:18], v17, v[10:11]
	v_and_b32_e32 v23, 7, v17
; %bb.2113:                             ;   in Loop: Header=BB370_1564 Depth=1
	s_or_b32 exec_lo, exec_lo, s21
	v_mov_b32_e32 v10, 24
	v_lshlrev_b32_e32 v17, 20, v23
	v_lshl_add_u32 v12, v12, 23, 0x3c000000
	v_lshlrev_b32_sdwa v10, v10, v21 dst_sel:DWORD dst_unused:UNUSED_PAD src0_sel:DWORD src1_sel:WORD_1
	v_and_b32_e32 v10, 0x80000000, v10
	v_or3_b32 v12, v17, v10, v12
.LBB370_2114:                           ;   in Loop: Header=BB370_1564 Depth=1
	s_or_b32 exec_lo, exec_lo, s20
.LBB370_2115:                           ;   in Loop: Header=BB370_1564 Depth=1
	s_or_b32 exec_lo, exec_lo, s19
.LBB370_2116:                           ;   in Loop: Header=BB370_1564 Depth=1
	s_or_b32 exec_lo, exec_lo, s18
	s_mov_b32 s18, exec_lo
	v_cmpx_lt_u32_e32 0xffffff, v21
	s_cbranch_execz .LBB370_2124
; %bb.2117:                             ;   in Loop: Header=BB370_1564 Depth=1
	v_cmp_ne_u32_sdwa s4, v21, v83 src0_sel:BYTE_3 src1_sel:DWORD
	v_bfrev_b32_e32 v13, 1
	s_and_saveexec_b32 s19, s4
	s_cbranch_execz .LBB370_2123
; %bb.2118:                             ;   in Loop: Header=BB370_1564 Depth=1
	v_bfe_u32 v17, v21, 24, 7
	v_mov_b32_e32 v13, 0x7f800001
	s_mov_b32 s20, exec_lo
	v_cmpx_ne_u32_e32 0x7f, v17
	s_cbranch_execz .LBB370_2122
; %bb.2119:                             ;   in Loop: Header=BB370_1564 Depth=1
	v_mov_b32_e32 v10, 7
	v_lshrrev_b32_e32 v13, 3, v17
	s_mov_b32 s21, exec_lo
	v_and_b32_sdwa v10, v21, v10 dst_sel:DWORD dst_unused:UNUSED_PAD src0_sel:BYTE_3 src1_sel:DWORD
	v_mov_b32_e32 v24, v11
	v_mov_b32_e32 v23, v10
	v_cmpx_gt_u32_e32 8, v17
; %bb.2120:                             ;   in Loop: Header=BB370_1564 Depth=1
	v_ffbh_u32_e32 v13, v10
	v_min_u32_e32 v13, 32, v13
	v_subrev_nc_u32_e32 v17, 28, v13
	v_sub_nc_u32_e32 v13, 29, v13
	v_lshlrev_b64 v[17:18], v17, v[10:11]
	v_and_b32_e32 v23, 7, v17
; %bb.2121:                             ;   in Loop: Header=BB370_1564 Depth=1
	s_or_b32 exec_lo, exec_lo, s21
	v_mov_b32_e32 v10, 24
	v_lshlrev_b32_e32 v17, 20, v23
	v_lshl_add_u32 v13, v13, 23, 0x3c000000
	v_lshlrev_b32_sdwa v10, v10, v21 dst_sel:DWORD dst_unused:UNUSED_PAD src0_sel:DWORD src1_sel:BYTE_3
	v_and_b32_e32 v10, 0x80000000, v10
	v_or3_b32 v13, v17, v10, v13
.LBB370_2122:                           ;   in Loop: Header=BB370_1564 Depth=1
	s_or_b32 exec_lo, exec_lo, s20
.LBB370_2123:                           ;   in Loop: Header=BB370_1564 Depth=1
	s_or_b32 exec_lo, exec_lo, s19
.LBB370_2124:                           ;   in Loop: Header=BB370_1564 Depth=1
	s_or_b32 exec_lo, exec_lo, s18
	v_mov_b32_e32 v10, v22
	v_cmp_ne_u16_sdwa s4, v22, v11 src0_sel:BYTE_0 src1_sel:DWORD
	v_mov_b32_e32 v26, 0
	v_mov_b32_e32 v25, 0
	s_and_saveexec_b32 s18, s4
	s_cbranch_execz .LBB370_2132
; %bb.2125:                             ;   in Loop: Header=BB370_1564 Depth=1
	v_cmp_ne_u16_sdwa s4, v22, v83 src0_sel:BYTE_0 src1_sel:DWORD
	v_bfrev_b32_e32 v25, 1
	s_and_saveexec_b32 s19, s4
	s_cbranch_execz .LBB370_2131
; %bb.2126:                             ;   in Loop: Header=BB370_1564 Depth=1
	v_and_b32_e32 v18, 0x7f, v22
	v_mov_b32_e32 v25, 0x7f800001
	s_mov_b32 s20, exec_lo
	v_cmpx_ne_u32_e32 0x7f, v18
	s_cbranch_execz .LBB370_2130
; %bb.2127:                             ;   in Loop: Header=BB370_1564 Depth=1
	v_mov_b32_e32 v24, v11
	v_lshrrev_b32_e32 v17, 3, v18
	v_mov_b32_e32 v23, v10
	s_mov_b32 s21, exec_lo
	v_cmpx_gt_u32_e32 8, v18
; %bb.2128:                             ;   in Loop: Header=BB370_1564 Depth=1
	v_and_b32_e32 v17, 7, v22
	v_ffbh_u32_e32 v17, v17
	v_min_u32_e32 v17, 32, v17
	v_subrev_nc_u32_e32 v18, 28, v17
	v_sub_nc_u32_e32 v17, 29, v17
	v_lshlrev_b64 v[23:24], v18, v[10:11]
; %bb.2129:                             ;   in Loop: Header=BB370_1564 Depth=1
	s_or_b32 exec_lo, exec_lo, s21
	v_lshlrev_b32_e32 v18, 20, v23
	v_lshlrev_b32_e32 v23, 24, v10
	v_lshl_add_u32 v17, v17, 23, 0x3c000000
	v_and_b32_e32 v18, 0x700000, v18
	v_and_b32_e32 v23, 0x80000000, v23
	v_or3_b32 v25, v18, v23, v17
.LBB370_2130:                           ;   in Loop: Header=BB370_1564 Depth=1
	s_or_b32 exec_lo, exec_lo, s20
.LBB370_2131:                           ;   in Loop: Header=BB370_1564 Depth=1
	s_or_b32 exec_lo, exec_lo, s19
.LBB370_2132:                           ;   in Loop: Header=BB370_1564 Depth=1
	s_or_b32 exec_lo, exec_lo, s18
	v_cmp_ne_u16_sdwa s4, v10, v11 src0_sel:BYTE_1 src1_sel:DWORD
	s_and_saveexec_b32 s18, s4
	s_cbranch_execz .LBB370_2140
; %bb.2133:                             ;   in Loop: Header=BB370_1564 Depth=1
	v_cmp_ne_u16_sdwa s4, v10, v83 src0_sel:BYTE_1 src1_sel:DWORD
	v_bfrev_b32_e32 v26, 1
	s_and_saveexec_b32 s19, s4
	s_cbranch_execz .LBB370_2139
; %bb.2134:                             ;   in Loop: Header=BB370_1564 Depth=1
	v_mov_b32_e32 v17, 0xffff
	v_mov_b32_e32 v26, 0x7f800001
	s_mov_b32 s20, exec_lo
	v_and_b32_sdwa v17, v17, v10 dst_sel:DWORD dst_unused:UNUSED_PAD src0_sel:DWORD src1_sel:BYTE_1
	v_and_b32_e32 v18, 0x7f, v17
	v_cmpx_ne_u32_e32 0x7f, v18
	s_cbranch_execz .LBB370_2138
; %bb.2135:                             ;   in Loop: Header=BB370_1564 Depth=1
	v_and_b32_e32 v23, 7, v17
	v_mov_b32_e32 v24, v11
	v_lshrrev_b32_e32 v17, 3, v18
	s_mov_b32 s21, exec_lo
	v_cmpx_gt_u32_e32 8, v18
; %bb.2136:                             ;   in Loop: Header=BB370_1564 Depth=1
	v_ffbh_u32_e32 v17, v23
	v_min_u32_e32 v17, 32, v17
	v_subrev_nc_u32_e32 v18, 28, v17
	v_sub_nc_u32_e32 v17, 29, v17
	v_lshlrev_b64 v[23:24], v18, v[23:24]
	v_and_b32_e32 v23, 7, v23
; %bb.2137:                             ;   in Loop: Header=BB370_1564 Depth=1
	s_or_b32 exec_lo, exec_lo, s21
	v_lshlrev_b32_e32 v10, 16, v10
	v_lshlrev_b32_e32 v18, 20, v23
	v_lshl_add_u32 v17, v17, 23, 0x3c000000
	v_and_b32_e32 v10, 0x80000000, v10
	v_or3_b32 v26, v18, v10, v17
.LBB370_2138:                           ;   in Loop: Header=BB370_1564 Depth=1
	s_or_b32 exec_lo, exec_lo, s20
.LBB370_2139:                           ;   in Loop: Header=BB370_1564 Depth=1
	s_or_b32 exec_lo, exec_lo, s19
.LBB370_2140:                           ;   in Loop: Header=BB370_1564 Depth=1
	s_or_b32 exec_lo, exec_lo, s18
	v_and_b32_sdwa v10, v22, v85 dst_sel:DWORD dst_unused:UNUSED_PAD src0_sel:WORD_1 src1_sel:DWORD
	v_mov_b32_e32 v17, 0
	v_mov_b32_e32 v18, 0
	s_mov_b32 s18, exec_lo
	v_cmpx_ne_u16_e32 0, v10
	s_cbranch_execz .LBB370_2148
; %bb.2141:                             ;   in Loop: Header=BB370_1564 Depth=1
	v_bfrev_b32_e32 v18, 1
	s_mov_b32 s19, exec_lo
	v_cmpx_ne_u16_e32 0x80, v10
	s_cbranch_execz .LBB370_2147
; %bb.2142:                             ;   in Loop: Header=BB370_1564 Depth=1
	v_bfe_u32 v23, v22, 16, 7
	v_mov_b32_e32 v18, 0x7f800001
	s_mov_b32 s20, exec_lo
	v_cmpx_ne_u32_e32 0x7f, v23
	s_cbranch_execz .LBB370_2146
; %bb.2143:                             ;   in Loop: Header=BB370_1564 Depth=1
	v_mov_b32_e32 v10, 7
	v_lshrrev_b32_e32 v18, 3, v23
	v_cmp_gt_u32_e64 s4, 8, v23
	v_and_b32_sdwa v10, v22, v10 dst_sel:DWORD dst_unused:UNUSED_PAD src0_sel:WORD_1 src1_sel:DWORD
	v_mov_b32_e32 v24, v11
	v_mov_b32_e32 v23, v10
	s_and_saveexec_b32 s21, s4
; %bb.2144:                             ;   in Loop: Header=BB370_1564 Depth=1
	v_ffbh_u32_e32 v18, v10
	v_min_u32_e32 v18, 32, v18
	v_subrev_nc_u32_e32 v23, 28, v18
	v_sub_nc_u32_e32 v18, 29, v18
	v_lshlrev_b64 v[23:24], v23, v[10:11]
	v_and_b32_e32 v23, 7, v23
; %bb.2145:                             ;   in Loop: Header=BB370_1564 Depth=1
	s_or_b32 exec_lo, exec_lo, s21
	v_mov_b32_e32 v10, 24
	v_lshlrev_b32_e32 v23, 20, v23
	v_lshl_add_u32 v18, v18, 23, 0x3c000000
	v_lshlrev_b32_sdwa v10, v10, v22 dst_sel:DWORD dst_unused:UNUSED_PAD src0_sel:DWORD src1_sel:WORD_1
	v_and_b32_e32 v10, 0x80000000, v10
	v_or3_b32 v18, v23, v10, v18
.LBB370_2146:                           ;   in Loop: Header=BB370_1564 Depth=1
	s_or_b32 exec_lo, exec_lo, s20
.LBB370_2147:                           ;   in Loop: Header=BB370_1564 Depth=1
	s_or_b32 exec_lo, exec_lo, s19
.LBB370_2148:                           ;   in Loop: Header=BB370_1564 Depth=1
	s_or_b32 exec_lo, exec_lo, s18
	s_mov_b32 s18, exec_lo
	v_cmpx_lt_u64_e64 s[6:7], v[21:22]
	s_cbranch_execz .LBB370_2156
; %bb.2149:                             ;   in Loop: Header=BB370_1564 Depth=1
	v_cmp_ne_u32_sdwa s4, v22, v83 src0_sel:BYTE_3 src1_sel:DWORD
	v_bfrev_b32_e32 v17, 1
	s_and_saveexec_b32 s19, s4
	s_cbranch_execz .LBB370_2155
; %bb.2150:                             ;   in Loop: Header=BB370_1564 Depth=1
	v_bfe_u32 v21, v22, 24, 7
	v_mov_b32_e32 v17, 0x7f800001
	s_mov_b32 s20, exec_lo
	v_cmpx_ne_u32_e32 0x7f, v21
	s_cbranch_execz .LBB370_2154
; %bb.2151:                             ;   in Loop: Header=BB370_1564 Depth=1
	v_mov_b32_e32 v10, 7
	v_lshrrev_b32_e32 v17, 3, v21
	s_mov_b32 s21, exec_lo
	v_and_b32_sdwa v10, v22, v10 dst_sel:DWORD dst_unused:UNUSED_PAD src0_sel:BYTE_3 src1_sel:DWORD
	v_mov_b32_e32 v24, v11
	v_mov_b32_e32 v23, v10
	v_cmpx_gt_u32_e32 8, v21
; %bb.2152:                             ;   in Loop: Header=BB370_1564 Depth=1
	v_ffbh_u32_e32 v17, v10
	v_min_u32_e32 v17, 32, v17
	v_subrev_nc_u32_e32 v21, 28, v17
	v_sub_nc_u32_e32 v17, 29, v17
	v_lshlrev_b64 v[23:24], v21, v[10:11]
	v_and_b32_e32 v23, 7, v23
; %bb.2153:                             ;   in Loop: Header=BB370_1564 Depth=1
	s_or_b32 exec_lo, exec_lo, s21
	v_mov_b32_e32 v10, 24
	v_lshlrev_b32_e32 v21, 20, v23
	v_lshl_add_u32 v17, v17, 23, 0x3c000000
	v_lshlrev_b32_sdwa v10, v10, v22 dst_sel:DWORD dst_unused:UNUSED_PAD src0_sel:DWORD src1_sel:BYTE_3
	v_and_b32_e32 v10, 0x80000000, v10
	v_or3_b32 v17, v21, v10, v17
.LBB370_2154:                           ;   in Loop: Header=BB370_1564 Depth=1
	s_or_b32 exec_lo, exec_lo, s20
.LBB370_2155:                           ;   in Loop: Header=BB370_1564 Depth=1
	s_or_b32 exec_lo, exec_lo, s19
.LBB370_2156:                           ;   in Loop: Header=BB370_1564 Depth=1
	s_or_b32 exec_lo, exec_lo, s18
	v_mul_f32_e32 v10, v71, v26
	v_mul_f32_e32 v1, v71, v1
	;; [unrolled: 1-line block ×3, first 2 shown]
	v_bfe_u32 v21, v10, 16, 1
	v_or_b32_e32 v22, 0x400000, v10
	v_cmp_u_f32_e64 s4, v10, v10
	v_add3_u32 v21, v21, v10, 0x7fff
	v_cndmask_b32_e64 v10, v21, v22, s4
	v_lshrrev_b32_e32 v10, 16, v10
	buffer_store_dword v10, off, s[0:3], s32 offset:456 ; 4-byte Folded Spill
	v_mul_f32_e32 v10, v71, v25
	v_bfe_u32 v21, v10, 16, 1
	v_or_b32_e32 v22, 0x400000, v10
	v_cmp_u_f32_e64 s4, v10, v10
	v_add3_u32 v21, v21, v10, 0x7fff
	v_cndmask_b32_e64 v10, v21, v22, s4
	v_lshrrev_b32_e32 v10, 16, v10
	buffer_store_dword v10, off, s[0:3], s32 offset:452 ; 4-byte Folded Spill
	v_mul_f32_e32 v10, v71, v13
	;; [unrolled: 8-line block ×3, first 2 shown]
	v_bfe_u32 v12, v10, 16, 1
	v_or_b32_e32 v13, 0x400000, v10
	v_cmp_u_f32_e64 s4, v10, v10
	v_add3_u32 v12, v12, v10, 0x7fff
	v_cndmask_b32_e64 v10, v12, v13, s4
	v_or_b32_e32 v12, 0x400000, v1
	v_cmp_u_f32_e64 s4, v1, v1
	v_lshrrev_b32_e32 v10, 16, v10
	buffer_store_dword v10, off, s[0:3], s32 offset:464 ; 4-byte Folded Spill
	v_bfe_u32 v10, v1, 16, 1
	v_add3_u32 v10, v10, v1, 0x7fff
	v_cndmask_b32_e64 v1, v10, v12, s4
	v_or_b32_e32 v10, 0x400000, v0
	v_cmp_u_f32_e64 s4, v0, v0
	v_lshrrev_b32_e32 v1, 16, v1
	buffer_store_dword v1, off, s[0:3], s32 offset:476 ; 4-byte Folded Spill
	v_bfe_u32 v1, v0, 16, 1
	v_add3_u32 v1, v1, v0, 0x7fff
	v_cndmask_b32_e64 v0, v1, v10, s4
	v_lshrrev_b32_e32 v0, 16, v0
	buffer_store_dword v0, off, s[0:3], s32 offset:480 ; 4-byte Folded Spill
	v_mul_f32_e32 v0, v71, v18
	v_bfe_u32 v1, v0, 16, 1
	v_or_b32_e32 v10, 0x400000, v0
	v_cmp_u_f32_e64 s4, v0, v0
	v_add3_u32 v1, v1, v0, 0x7fff
	v_cndmask_b32_e64 v0, v1, v10, s4
	v_lshrrev_b32_e32 v0, 16, v0
	buffer_store_dword v0, off, s[0:3], s32 offset:460 ; 4-byte Folded Spill
	v_mul_f32_e32 v0, v71, v17
	v_bfe_u32 v1, v0, 16, 1
	v_or_b32_e32 v10, 0x400000, v0
	v_cmp_u_f32_e64 s4, v0, v0
	v_add3_u32 v1, v1, v0, 0x7fff
	v_cndmask_b32_e64 v0, v1, v10, s4
	v_lshrrev_b32_e32 v0, 16, v0
	buffer_store_dword v0, off, s[0:3], s32 offset:472 ; 4-byte Folded Spill
	s_and_saveexec_b32 s18, vcc_lo
	s_cbranch_execz .LBB370_2158
; %bb.2157:                             ;   in Loop: Header=BB370_1564 Depth=1
	buffer_load_dword v0, off, s[0:3], s32 offset:480 ; 4-byte Folded Reload
	v_cmp_lt_i32_e64 s4, v91, v88
	s_waitcnt vmcnt(0)
	v_cndmask_b32_e64 v0, 0, v0, s4
	v_cmp_lt_i32_e64 s4, v111, v88
	buffer_store_dword v0, off, s[0:3], s32 offset:480 ; 4-byte Folded Spill
	buffer_load_dword v0, off, s[0:3], s32 offset:476 ; 4-byte Folded Reload
	s_waitcnt vmcnt(0)
	v_cndmask_b32_e64 v0, 0, v0, s4
	v_cmp_lt_i32_e64 s4, v110, v88
	buffer_store_dword v0, off, s[0:3], s32 offset:476 ; 4-byte Folded Spill
	buffer_load_dword v0, off, s[0:3], s32 offset:464 ; 4-byte Folded Reload
	;; [unrolled: 5-line block ×7, first 2 shown]
	s_waitcnt vmcnt(0)
	v_cndmask_b32_e64 v0, 0, v0, s4
	buffer_store_dword v0, off, s[0:3], s32 offset:472 ; 4-byte Folded Spill
.LBB370_2158:                           ;   in Loop: Header=BB370_1564 Depth=1
	s_or_b32 exec_lo, exec_lo, s18
	flat_load_dwordx2 v[21:22], v[19:20] offset:256
	v_mov_b32_e32 v1, 0
	v_mov_b32_e32 v0, 0
	s_waitcnt vmcnt(0) lgkmcnt(0)
	v_cmp_ne_u16_sdwa s4, v21, v11 src0_sel:BYTE_0 src1_sel:DWORD
	s_and_saveexec_b32 s18, s4
	s_cbranch_execz .LBB370_2166
; %bb.2159:                             ;   in Loop: Header=BB370_1564 Depth=1
	v_cmp_ne_u16_sdwa s4, v21, v83 src0_sel:BYTE_0 src1_sel:DWORD
	v_bfrev_b32_e32 v0, 1
	s_and_saveexec_b32 s19, s4
	s_cbranch_execz .LBB370_2165
; %bb.2160:                             ;   in Loop: Header=BB370_1564 Depth=1
	v_and_b32_e32 v10, 0x7f, v21
	v_mov_b32_e32 v0, 0x7f800001
	s_mov_b32 s20, exec_lo
	v_cmpx_ne_u32_e32 0x7f, v10
	s_cbranch_execz .LBB370_2164
; %bb.2161:                             ;   in Loop: Header=BB370_1564 Depth=1
	v_mov_b32_e32 v24, v22
	v_lshrrev_b32_e32 v0, 3, v10
	v_mov_b32_e32 v23, v21
	s_mov_b32 s21, exec_lo
	v_cmpx_gt_u32_e32 8, v10
; %bb.2162:                             ;   in Loop: Header=BB370_1564 Depth=1
	v_and_b32_e32 v0, 7, v21
	v_ffbh_u32_e32 v0, v0
	v_min_u32_e32 v0, 32, v0
	v_subrev_nc_u32_e32 v10, 28, v0
	v_sub_nc_u32_e32 v0, 29, v0
	v_lshlrev_b64 v[23:24], v10, v[21:22]
; %bb.2163:                             ;   in Loop: Header=BB370_1564 Depth=1
	s_or_b32 exec_lo, exec_lo, s21
	v_lshlrev_b32_e32 v10, 20, v23
	v_lshlrev_b32_e32 v12, 24, v21
	v_lshl_add_u32 v0, v0, 23, 0x3c000000
	v_and_b32_e32 v10, 0x700000, v10
	v_and_b32_e32 v12, 0x80000000, v12
	v_or3_b32 v0, v10, v12, v0
.LBB370_2164:                           ;   in Loop: Header=BB370_1564 Depth=1
	s_or_b32 exec_lo, exec_lo, s20
.LBB370_2165:                           ;   in Loop: Header=BB370_1564 Depth=1
	s_or_b32 exec_lo, exec_lo, s19
.LBB370_2166:                           ;   in Loop: Header=BB370_1564 Depth=1
	s_or_b32 exec_lo, exec_lo, s18
	v_cmp_ne_u16_sdwa s4, v21, v11 src0_sel:BYTE_1 src1_sel:DWORD
	s_and_saveexec_b32 s18, s4
	s_cbranch_execz .LBB370_2174
; %bb.2167:                             ;   in Loop: Header=BB370_1564 Depth=1
	v_cmp_ne_u16_sdwa s4, v21, v83 src0_sel:BYTE_1 src1_sel:DWORD
	v_bfrev_b32_e32 v1, 1
	s_and_saveexec_b32 s19, s4
	s_cbranch_execz .LBB370_2173
; %bb.2168:                             ;   in Loop: Header=BB370_1564 Depth=1
	v_mov_b32_e32 v1, 0xffff
	s_mov_b32 s20, exec_lo
	v_and_b32_sdwa v10, v1, v21 dst_sel:DWORD dst_unused:UNUSED_PAD src0_sel:DWORD src1_sel:BYTE_1
	v_mov_b32_e32 v1, 0x7f800001
	v_and_b32_e32 v12, 0x7f, v10
	v_cmpx_ne_u32_e32 0x7f, v12
	s_cbranch_execz .LBB370_2172
; %bb.2169:                             ;   in Loop: Header=BB370_1564 Depth=1
	v_and_b32_e32 v10, 7, v10
	v_mov_b32_e32 v24, v11
	v_lshrrev_b32_e32 v1, 3, v12
	s_mov_b32 s21, exec_lo
	v_mov_b32_e32 v23, v10
	v_cmpx_gt_u32_e32 8, v12
; %bb.2170:                             ;   in Loop: Header=BB370_1564 Depth=1
	v_ffbh_u32_e32 v1, v10
	v_min_u32_e32 v1, 32, v1
	v_subrev_nc_u32_e32 v12, 28, v1
	v_sub_nc_u32_e32 v1, 29, v1
	v_lshlrev_b64 v[12:13], v12, v[10:11]
	v_and_b32_e32 v23, 7, v12
; %bb.2171:                             ;   in Loop: Header=BB370_1564 Depth=1
	s_or_b32 exec_lo, exec_lo, s21
	v_lshlrev_b32_e32 v10, 16, v21
	v_lshlrev_b32_e32 v12, 20, v23
	v_lshl_add_u32 v1, v1, 23, 0x3c000000
	v_and_b32_e32 v10, 0x80000000, v10
	v_or3_b32 v1, v12, v10, v1
.LBB370_2172:                           ;   in Loop: Header=BB370_1564 Depth=1
	s_or_b32 exec_lo, exec_lo, s20
.LBB370_2173:                           ;   in Loop: Header=BB370_1564 Depth=1
	s_or_b32 exec_lo, exec_lo, s19
.LBB370_2174:                           ;   in Loop: Header=BB370_1564 Depth=1
	s_or_b32 exec_lo, exec_lo, s18
	v_and_b32_sdwa v10, v21, v85 dst_sel:DWORD dst_unused:UNUSED_PAD src0_sel:WORD_1 src1_sel:DWORD
	v_mov_b32_e32 v13, 0
	v_mov_b32_e32 v12, 0
	s_mov_b32 s18, exec_lo
	v_cmpx_ne_u16_e32 0, v10
	s_cbranch_execz .LBB370_2182
; %bb.2175:                             ;   in Loop: Header=BB370_1564 Depth=1
	v_bfrev_b32_e32 v12, 1
	s_mov_b32 s19, exec_lo
	v_cmpx_ne_u16_e32 0x80, v10
	s_cbranch_execz .LBB370_2181
; %bb.2176:                             ;   in Loop: Header=BB370_1564 Depth=1
	v_bfe_u32 v17, v21, 16, 7
	v_mov_b32_e32 v12, 0x7f800001
	s_mov_b32 s20, exec_lo
	v_cmpx_ne_u32_e32 0x7f, v17
	s_cbranch_execz .LBB370_2180
; %bb.2177:                             ;   in Loop: Header=BB370_1564 Depth=1
	v_mov_b32_e32 v10, 7
	v_lshrrev_b32_e32 v12, 3, v17
	s_mov_b32 s21, exec_lo
	v_and_b32_sdwa v10, v21, v10 dst_sel:DWORD dst_unused:UNUSED_PAD src0_sel:WORD_1 src1_sel:DWORD
	v_mov_b32_e32 v24, v11
	v_mov_b32_e32 v23, v10
	v_cmpx_gt_u32_e32 8, v17
; %bb.2178:                             ;   in Loop: Header=BB370_1564 Depth=1
	v_ffbh_u32_e32 v12, v10
	v_min_u32_e32 v12, 32, v12
	v_subrev_nc_u32_e32 v17, 28, v12
	v_sub_nc_u32_e32 v12, 29, v12
	v_lshlrev_b64 v[17:18], v17, v[10:11]
	v_and_b32_e32 v23, 7, v17
; %bb.2179:                             ;   in Loop: Header=BB370_1564 Depth=1
	s_or_b32 exec_lo, exec_lo, s21
	v_mov_b32_e32 v10, 24
	v_lshlrev_b32_e32 v17, 20, v23
	v_lshl_add_u32 v12, v12, 23, 0x3c000000
	v_lshlrev_b32_sdwa v10, v10, v21 dst_sel:DWORD dst_unused:UNUSED_PAD src0_sel:DWORD src1_sel:WORD_1
	v_and_b32_e32 v10, 0x80000000, v10
	v_or3_b32 v12, v17, v10, v12
.LBB370_2180:                           ;   in Loop: Header=BB370_1564 Depth=1
	s_or_b32 exec_lo, exec_lo, s20
.LBB370_2181:                           ;   in Loop: Header=BB370_1564 Depth=1
	s_or_b32 exec_lo, exec_lo, s19
.LBB370_2182:                           ;   in Loop: Header=BB370_1564 Depth=1
	s_or_b32 exec_lo, exec_lo, s18
	s_mov_b32 s18, exec_lo
	v_cmpx_lt_u32_e32 0xffffff, v21
	s_cbranch_execz .LBB370_2190
; %bb.2183:                             ;   in Loop: Header=BB370_1564 Depth=1
	v_cmp_ne_u32_sdwa s4, v21, v83 src0_sel:BYTE_3 src1_sel:DWORD
	v_bfrev_b32_e32 v13, 1
	s_and_saveexec_b32 s19, s4
	s_cbranch_execz .LBB370_2189
; %bb.2184:                             ;   in Loop: Header=BB370_1564 Depth=1
	v_bfe_u32 v17, v21, 24, 7
	v_mov_b32_e32 v13, 0x7f800001
	s_mov_b32 s20, exec_lo
	v_cmpx_ne_u32_e32 0x7f, v17
	s_cbranch_execz .LBB370_2188
; %bb.2185:                             ;   in Loop: Header=BB370_1564 Depth=1
	v_mov_b32_e32 v10, 7
	v_lshrrev_b32_e32 v13, 3, v17
	s_mov_b32 s21, exec_lo
	v_and_b32_sdwa v10, v21, v10 dst_sel:DWORD dst_unused:UNUSED_PAD src0_sel:BYTE_3 src1_sel:DWORD
	v_mov_b32_e32 v24, v11
	v_mov_b32_e32 v23, v10
	v_cmpx_gt_u32_e32 8, v17
; %bb.2186:                             ;   in Loop: Header=BB370_1564 Depth=1
	v_ffbh_u32_e32 v13, v10
	v_min_u32_e32 v13, 32, v13
	v_subrev_nc_u32_e32 v17, 28, v13
	v_sub_nc_u32_e32 v13, 29, v13
	v_lshlrev_b64 v[17:18], v17, v[10:11]
	v_and_b32_e32 v23, 7, v17
; %bb.2187:                             ;   in Loop: Header=BB370_1564 Depth=1
	s_or_b32 exec_lo, exec_lo, s21
	v_mov_b32_e32 v10, 24
	v_lshlrev_b32_e32 v17, 20, v23
	v_lshl_add_u32 v13, v13, 23, 0x3c000000
	v_lshlrev_b32_sdwa v10, v10, v21 dst_sel:DWORD dst_unused:UNUSED_PAD src0_sel:DWORD src1_sel:BYTE_3
	v_and_b32_e32 v10, 0x80000000, v10
	v_or3_b32 v13, v17, v10, v13
.LBB370_2188:                           ;   in Loop: Header=BB370_1564 Depth=1
	s_or_b32 exec_lo, exec_lo, s20
.LBB370_2189:                           ;   in Loop: Header=BB370_1564 Depth=1
	s_or_b32 exec_lo, exec_lo, s19
.LBB370_2190:                           ;   in Loop: Header=BB370_1564 Depth=1
	s_or_b32 exec_lo, exec_lo, s18
	v_mov_b32_e32 v10, v22
	v_cmp_ne_u16_sdwa s4, v22, v11 src0_sel:BYTE_0 src1_sel:DWORD
	v_mov_b32_e32 v26, 0
	v_mov_b32_e32 v25, 0
	s_and_saveexec_b32 s18, s4
	s_cbranch_execz .LBB370_2198
; %bb.2191:                             ;   in Loop: Header=BB370_1564 Depth=1
	v_cmp_ne_u16_sdwa s4, v22, v83 src0_sel:BYTE_0 src1_sel:DWORD
	v_bfrev_b32_e32 v25, 1
	s_and_saveexec_b32 s19, s4
	s_cbranch_execz .LBB370_2197
; %bb.2192:                             ;   in Loop: Header=BB370_1564 Depth=1
	v_and_b32_e32 v18, 0x7f, v22
	v_mov_b32_e32 v25, 0x7f800001
	s_mov_b32 s20, exec_lo
	v_cmpx_ne_u32_e32 0x7f, v18
	s_cbranch_execz .LBB370_2196
; %bb.2193:                             ;   in Loop: Header=BB370_1564 Depth=1
	v_mov_b32_e32 v24, v11
	v_lshrrev_b32_e32 v17, 3, v18
	v_mov_b32_e32 v23, v10
	s_mov_b32 s21, exec_lo
	v_cmpx_gt_u32_e32 8, v18
; %bb.2194:                             ;   in Loop: Header=BB370_1564 Depth=1
	v_and_b32_e32 v17, 7, v22
	v_ffbh_u32_e32 v17, v17
	v_min_u32_e32 v17, 32, v17
	v_subrev_nc_u32_e32 v18, 28, v17
	v_sub_nc_u32_e32 v17, 29, v17
	v_lshlrev_b64 v[23:24], v18, v[10:11]
; %bb.2195:                             ;   in Loop: Header=BB370_1564 Depth=1
	s_or_b32 exec_lo, exec_lo, s21
	v_lshlrev_b32_e32 v18, 20, v23
	v_lshlrev_b32_e32 v23, 24, v10
	v_lshl_add_u32 v17, v17, 23, 0x3c000000
	v_and_b32_e32 v18, 0x700000, v18
	v_and_b32_e32 v23, 0x80000000, v23
	v_or3_b32 v25, v18, v23, v17
.LBB370_2196:                           ;   in Loop: Header=BB370_1564 Depth=1
	s_or_b32 exec_lo, exec_lo, s20
.LBB370_2197:                           ;   in Loop: Header=BB370_1564 Depth=1
	s_or_b32 exec_lo, exec_lo, s19
.LBB370_2198:                           ;   in Loop: Header=BB370_1564 Depth=1
	s_or_b32 exec_lo, exec_lo, s18
	v_cmp_ne_u16_sdwa s4, v10, v11 src0_sel:BYTE_1 src1_sel:DWORD
	s_and_saveexec_b32 s18, s4
	s_cbranch_execz .LBB370_2206
; %bb.2199:                             ;   in Loop: Header=BB370_1564 Depth=1
	v_cmp_ne_u16_sdwa s4, v10, v83 src0_sel:BYTE_1 src1_sel:DWORD
	v_bfrev_b32_e32 v26, 1
	s_and_saveexec_b32 s19, s4
	s_cbranch_execz .LBB370_2205
; %bb.2200:                             ;   in Loop: Header=BB370_1564 Depth=1
	v_mov_b32_e32 v17, 0xffff
	v_mov_b32_e32 v26, 0x7f800001
	s_mov_b32 s20, exec_lo
	v_and_b32_sdwa v17, v17, v10 dst_sel:DWORD dst_unused:UNUSED_PAD src0_sel:DWORD src1_sel:BYTE_1
	v_and_b32_e32 v18, 0x7f, v17
	v_cmpx_ne_u32_e32 0x7f, v18
	s_cbranch_execz .LBB370_2204
; %bb.2201:                             ;   in Loop: Header=BB370_1564 Depth=1
	v_and_b32_e32 v23, 7, v17
	v_mov_b32_e32 v24, v11
	v_lshrrev_b32_e32 v17, 3, v18
	s_mov_b32 s21, exec_lo
	v_cmpx_gt_u32_e32 8, v18
; %bb.2202:                             ;   in Loop: Header=BB370_1564 Depth=1
	v_ffbh_u32_e32 v17, v23
	v_min_u32_e32 v17, 32, v17
	v_subrev_nc_u32_e32 v18, 28, v17
	v_sub_nc_u32_e32 v17, 29, v17
	v_lshlrev_b64 v[23:24], v18, v[23:24]
	v_and_b32_e32 v23, 7, v23
; %bb.2203:                             ;   in Loop: Header=BB370_1564 Depth=1
	s_or_b32 exec_lo, exec_lo, s21
	v_lshlrev_b32_e32 v10, 16, v10
	v_lshlrev_b32_e32 v18, 20, v23
	v_lshl_add_u32 v17, v17, 23, 0x3c000000
	v_and_b32_e32 v10, 0x80000000, v10
	v_or3_b32 v26, v18, v10, v17
.LBB370_2204:                           ;   in Loop: Header=BB370_1564 Depth=1
	s_or_b32 exec_lo, exec_lo, s20
.LBB370_2205:                           ;   in Loop: Header=BB370_1564 Depth=1
	s_or_b32 exec_lo, exec_lo, s19
.LBB370_2206:                           ;   in Loop: Header=BB370_1564 Depth=1
	s_or_b32 exec_lo, exec_lo, s18
	v_and_b32_sdwa v10, v22, v85 dst_sel:DWORD dst_unused:UNUSED_PAD src0_sel:WORD_1 src1_sel:DWORD
	v_mov_b32_e32 v17, 0
	v_mov_b32_e32 v18, 0
	s_mov_b32 s18, exec_lo
	v_cmpx_ne_u16_e32 0, v10
	s_cbranch_execz .LBB370_2214
; %bb.2207:                             ;   in Loop: Header=BB370_1564 Depth=1
	v_bfrev_b32_e32 v18, 1
	s_mov_b32 s19, exec_lo
	v_cmpx_ne_u16_e32 0x80, v10
	s_cbranch_execz .LBB370_2213
; %bb.2208:                             ;   in Loop: Header=BB370_1564 Depth=1
	v_bfe_u32 v23, v22, 16, 7
	v_mov_b32_e32 v18, 0x7f800001
	s_mov_b32 s20, exec_lo
	v_cmpx_ne_u32_e32 0x7f, v23
	s_cbranch_execz .LBB370_2212
; %bb.2209:                             ;   in Loop: Header=BB370_1564 Depth=1
	v_mov_b32_e32 v10, 7
	v_lshrrev_b32_e32 v18, 3, v23
	v_cmp_gt_u32_e64 s4, 8, v23
	v_and_b32_sdwa v10, v22, v10 dst_sel:DWORD dst_unused:UNUSED_PAD src0_sel:WORD_1 src1_sel:DWORD
	v_mov_b32_e32 v24, v11
	v_mov_b32_e32 v23, v10
	s_and_saveexec_b32 s21, s4
; %bb.2210:                             ;   in Loop: Header=BB370_1564 Depth=1
	v_ffbh_u32_e32 v18, v10
	v_min_u32_e32 v18, 32, v18
	v_subrev_nc_u32_e32 v23, 28, v18
	v_sub_nc_u32_e32 v18, 29, v18
	v_lshlrev_b64 v[23:24], v23, v[10:11]
	v_and_b32_e32 v23, 7, v23
; %bb.2211:                             ;   in Loop: Header=BB370_1564 Depth=1
	s_or_b32 exec_lo, exec_lo, s21
	v_mov_b32_e32 v10, 24
	v_lshlrev_b32_e32 v23, 20, v23
	v_lshl_add_u32 v18, v18, 23, 0x3c000000
	v_lshlrev_b32_sdwa v10, v10, v22 dst_sel:DWORD dst_unused:UNUSED_PAD src0_sel:DWORD src1_sel:WORD_1
	v_and_b32_e32 v10, 0x80000000, v10
	v_or3_b32 v18, v23, v10, v18
.LBB370_2212:                           ;   in Loop: Header=BB370_1564 Depth=1
	s_or_b32 exec_lo, exec_lo, s20
.LBB370_2213:                           ;   in Loop: Header=BB370_1564 Depth=1
	s_or_b32 exec_lo, exec_lo, s19
.LBB370_2214:                           ;   in Loop: Header=BB370_1564 Depth=1
	s_or_b32 exec_lo, exec_lo, s18
	s_mov_b32 s18, exec_lo
	v_cmpx_lt_u64_e64 s[6:7], v[21:22]
	s_cbranch_execz .LBB370_2222
; %bb.2215:                             ;   in Loop: Header=BB370_1564 Depth=1
	v_cmp_ne_u32_sdwa s4, v22, v83 src0_sel:BYTE_3 src1_sel:DWORD
	v_bfrev_b32_e32 v17, 1
	s_and_saveexec_b32 s19, s4
	s_cbranch_execz .LBB370_2221
; %bb.2216:                             ;   in Loop: Header=BB370_1564 Depth=1
	v_bfe_u32 v21, v22, 24, 7
	v_mov_b32_e32 v17, 0x7f800001
	s_mov_b32 s20, exec_lo
	v_cmpx_ne_u32_e32 0x7f, v21
	s_cbranch_execz .LBB370_2220
; %bb.2217:                             ;   in Loop: Header=BB370_1564 Depth=1
	v_mov_b32_e32 v10, 7
	v_lshrrev_b32_e32 v17, 3, v21
	s_mov_b32 s21, exec_lo
	v_and_b32_sdwa v10, v22, v10 dst_sel:DWORD dst_unused:UNUSED_PAD src0_sel:BYTE_3 src1_sel:DWORD
	v_mov_b32_e32 v24, v11
	v_mov_b32_e32 v23, v10
	v_cmpx_gt_u32_e32 8, v21
; %bb.2218:                             ;   in Loop: Header=BB370_1564 Depth=1
	v_ffbh_u32_e32 v17, v10
	v_min_u32_e32 v17, 32, v17
	v_subrev_nc_u32_e32 v21, 28, v17
	v_sub_nc_u32_e32 v17, 29, v17
	v_lshlrev_b64 v[23:24], v21, v[10:11]
	v_and_b32_e32 v23, 7, v23
; %bb.2219:                             ;   in Loop: Header=BB370_1564 Depth=1
	s_or_b32 exec_lo, exec_lo, s21
	v_mov_b32_e32 v10, 24
	v_lshlrev_b32_e32 v21, 20, v23
	v_lshl_add_u32 v17, v17, 23, 0x3c000000
	v_lshlrev_b32_sdwa v10, v10, v22 dst_sel:DWORD dst_unused:UNUSED_PAD src0_sel:DWORD src1_sel:BYTE_3
	v_and_b32_e32 v10, 0x80000000, v10
	v_or3_b32 v17, v21, v10, v17
.LBB370_2220:                           ;   in Loop: Header=BB370_1564 Depth=1
	s_or_b32 exec_lo, exec_lo, s20
.LBB370_2221:                           ;   in Loop: Header=BB370_1564 Depth=1
	s_or_b32 exec_lo, exec_lo, s19
.LBB370_2222:                           ;   in Loop: Header=BB370_1564 Depth=1
	s_or_b32 exec_lo, exec_lo, s18
	v_mul_f32_e32 v10, v71, v26
	v_mul_f32_e32 v1, v71, v1
	;; [unrolled: 1-line block ×3, first 2 shown]
	v_bfe_u32 v21, v10, 16, 1
	v_or_b32_e32 v22, 0x400000, v10
	v_cmp_u_f32_e64 s4, v10, v10
	v_add3_u32 v21, v21, v10, 0x7fff
	v_cndmask_b32_e64 v10, v21, v22, s4
	v_lshrrev_b32_e32 v10, 16, v10
	buffer_store_dword v10, off, s[0:3], s32 offset:484 ; 4-byte Folded Spill
	v_mul_f32_e32 v10, v71, v25
	v_bfe_u32 v21, v10, 16, 1
	v_or_b32_e32 v22, 0x400000, v10
	v_cmp_u_f32_e64 s4, v10, v10
	v_add3_u32 v21, v21, v10, 0x7fff
	v_cndmask_b32_e64 v10, v21, v22, s4
	v_lshrrev_b32_e32 v10, 16, v10
	buffer_store_dword v10, off, s[0:3], s32 offset:488 ; 4-byte Folded Spill
	v_mul_f32_e32 v10, v71, v13
	v_bfe_u32 v13, v10, 16, 1
	v_or_b32_e32 v21, 0x400000, v10
	v_cmp_u_f32_e64 s4, v10, v10
	v_add3_u32 v13, v13, v10, 0x7fff
	v_cndmask_b32_e64 v10, v13, v21, s4
	v_lshrrev_b32_e32 v10, 16, v10
	buffer_store_dword v10, off, s[0:3], s32 offset:492 ; 4-byte Folded Spill
	v_mul_f32_e32 v10, v71, v12
	v_bfe_u32 v12, v10, 16, 1
	v_or_b32_e32 v13, 0x400000, v10
	v_cmp_u_f32_e64 s4, v10, v10
	v_add3_u32 v12, v12, v10, 0x7fff
	v_cndmask_b32_e64 v10, v12, v13, s4
	v_or_b32_e32 v12, 0x400000, v1
	v_cmp_u_f32_e64 s4, v1, v1
	v_lshrrev_b32_e32 v10, 16, v10
	buffer_store_dword v10, off, s[0:3], s32 offset:496 ; 4-byte Folded Spill
	v_bfe_u32 v10, v1, 16, 1
	v_add3_u32 v10, v10, v1, 0x7fff
	v_cndmask_b32_e64 v1, v10, v12, s4
	v_or_b32_e32 v10, 0x400000, v0
	v_cmp_u_f32_e64 s4, v0, v0
	v_lshrrev_b32_e32 v1, 16, v1
	buffer_store_dword v1, off, s[0:3], s32 offset:500 ; 4-byte Folded Spill
	v_bfe_u32 v1, v0, 16, 1
	v_add3_u32 v1, v1, v0, 0x7fff
	v_cndmask_b32_e64 v0, v1, v10, s4
	v_lshrrev_b32_e32 v0, 16, v0
	buffer_store_dword v0, off, s[0:3], s32 offset:508 ; 4-byte Folded Spill
	v_mul_f32_e32 v0, v71, v18
	v_bfe_u32 v1, v0, 16, 1
	v_or_b32_e32 v10, 0x400000, v0
	v_cmp_u_f32_e64 s4, v0, v0
	v_add3_u32 v1, v1, v0, 0x7fff
	v_cndmask_b32_e64 v0, v1, v10, s4
	v_lshrrev_b32_e32 v0, 16, v0
	buffer_store_dword v0, off, s[0:3], s32 offset:504 ; 4-byte Folded Spill
	v_mul_f32_e32 v0, v71, v17
	v_bfe_u32 v1, v0, 16, 1
	v_or_b32_e32 v10, 0x400000, v0
	v_cmp_u_f32_e64 s4, v0, v0
	v_add3_u32 v1, v1, v0, 0x7fff
	v_cndmask_b32_e64 v0, v1, v10, s4
	v_lshrrev_b32_e32 v0, 16, v0
	buffer_store_dword v0, off, s[0:3], s32 offset:516 ; 4-byte Folded Spill
	s_and_saveexec_b32 s18, vcc_lo
	s_cbranch_execz .LBB370_2224
; %bb.2223:                             ;   in Loop: Header=BB370_1564 Depth=1
	buffer_load_dword v0, off, s[0:3], s32 offset:508 ; 4-byte Folded Reload
	v_cmp_lt_i32_e64 s4, v91, v88
	s_waitcnt vmcnt(0)
	v_cndmask_b32_e64 v0, 0, v0, s4
	v_cmp_lt_i32_e64 s4, v111, v88
	buffer_store_dword v0, off, s[0:3], s32 offset:508 ; 4-byte Folded Spill
	buffer_load_dword v0, off, s[0:3], s32 offset:500 ; 4-byte Folded Reload
	s_waitcnt vmcnt(0)
	v_cndmask_b32_e64 v0, 0, v0, s4
	v_cmp_lt_i32_e64 s4, v110, v88
	buffer_store_dword v0, off, s[0:3], s32 offset:500 ; 4-byte Folded Spill
	buffer_load_dword v0, off, s[0:3], s32 offset:496 ; 4-byte Folded Reload
	;; [unrolled: 5-line block ×7, first 2 shown]
	s_waitcnt vmcnt(0)
	v_cndmask_b32_e64 v0, 0, v0, s4
	buffer_store_dword v0, off, s[0:3], s32 offset:516 ; 4-byte Folded Spill
.LBB370_2224:                           ;   in Loop: Header=BB370_1564 Depth=1
	s_or_b32 exec_lo, exec_lo, s18
	flat_load_dwordx2 v[21:22], v[19:20] offset:512
	v_mov_b32_e32 v1, 0
	v_mov_b32_e32 v0, 0
	s_waitcnt vmcnt(0) lgkmcnt(0)
	v_cmp_ne_u16_sdwa s4, v21, v11 src0_sel:BYTE_0 src1_sel:DWORD
	s_and_saveexec_b32 s18, s4
	s_cbranch_execz .LBB370_2232
; %bb.2225:                             ;   in Loop: Header=BB370_1564 Depth=1
	v_cmp_ne_u16_sdwa s4, v21, v83 src0_sel:BYTE_0 src1_sel:DWORD
	v_bfrev_b32_e32 v0, 1
	s_and_saveexec_b32 s19, s4
	s_cbranch_execz .LBB370_2231
; %bb.2226:                             ;   in Loop: Header=BB370_1564 Depth=1
	v_and_b32_e32 v10, 0x7f, v21
	v_mov_b32_e32 v0, 0x7f800001
	s_mov_b32 s20, exec_lo
	v_cmpx_ne_u32_e32 0x7f, v10
	s_cbranch_execz .LBB370_2230
; %bb.2227:                             ;   in Loop: Header=BB370_1564 Depth=1
	v_mov_b32_e32 v24, v22
	v_lshrrev_b32_e32 v0, 3, v10
	v_mov_b32_e32 v23, v21
	s_mov_b32 s21, exec_lo
	v_cmpx_gt_u32_e32 8, v10
; %bb.2228:                             ;   in Loop: Header=BB370_1564 Depth=1
	v_and_b32_e32 v0, 7, v21
	v_ffbh_u32_e32 v0, v0
	v_min_u32_e32 v0, 32, v0
	v_subrev_nc_u32_e32 v10, 28, v0
	v_sub_nc_u32_e32 v0, 29, v0
	v_lshlrev_b64 v[23:24], v10, v[21:22]
; %bb.2229:                             ;   in Loop: Header=BB370_1564 Depth=1
	s_or_b32 exec_lo, exec_lo, s21
	v_lshlrev_b32_e32 v10, 20, v23
	v_lshlrev_b32_e32 v12, 24, v21
	v_lshl_add_u32 v0, v0, 23, 0x3c000000
	v_and_b32_e32 v10, 0x700000, v10
	v_and_b32_e32 v12, 0x80000000, v12
	v_or3_b32 v0, v10, v12, v0
.LBB370_2230:                           ;   in Loop: Header=BB370_1564 Depth=1
	s_or_b32 exec_lo, exec_lo, s20
.LBB370_2231:                           ;   in Loop: Header=BB370_1564 Depth=1
	s_or_b32 exec_lo, exec_lo, s19
.LBB370_2232:                           ;   in Loop: Header=BB370_1564 Depth=1
	s_or_b32 exec_lo, exec_lo, s18
	v_cmp_ne_u16_sdwa s4, v21, v11 src0_sel:BYTE_1 src1_sel:DWORD
	s_and_saveexec_b32 s18, s4
	s_cbranch_execz .LBB370_2240
; %bb.2233:                             ;   in Loop: Header=BB370_1564 Depth=1
	v_cmp_ne_u16_sdwa s4, v21, v83 src0_sel:BYTE_1 src1_sel:DWORD
	v_bfrev_b32_e32 v1, 1
	s_and_saveexec_b32 s19, s4
	s_cbranch_execz .LBB370_2239
; %bb.2234:                             ;   in Loop: Header=BB370_1564 Depth=1
	v_mov_b32_e32 v1, 0xffff
	s_mov_b32 s20, exec_lo
	v_and_b32_sdwa v10, v1, v21 dst_sel:DWORD dst_unused:UNUSED_PAD src0_sel:DWORD src1_sel:BYTE_1
	v_mov_b32_e32 v1, 0x7f800001
	v_and_b32_e32 v12, 0x7f, v10
	v_cmpx_ne_u32_e32 0x7f, v12
	s_cbranch_execz .LBB370_2238
; %bb.2235:                             ;   in Loop: Header=BB370_1564 Depth=1
	v_and_b32_e32 v10, 7, v10
	v_mov_b32_e32 v24, v11
	v_lshrrev_b32_e32 v1, 3, v12
	s_mov_b32 s21, exec_lo
	v_mov_b32_e32 v23, v10
	v_cmpx_gt_u32_e32 8, v12
; %bb.2236:                             ;   in Loop: Header=BB370_1564 Depth=1
	v_ffbh_u32_e32 v1, v10
	v_min_u32_e32 v1, 32, v1
	v_subrev_nc_u32_e32 v12, 28, v1
	v_sub_nc_u32_e32 v1, 29, v1
	v_lshlrev_b64 v[12:13], v12, v[10:11]
	v_and_b32_e32 v23, 7, v12
; %bb.2237:                             ;   in Loop: Header=BB370_1564 Depth=1
	s_or_b32 exec_lo, exec_lo, s21
	v_lshlrev_b32_e32 v10, 16, v21
	v_lshlrev_b32_e32 v12, 20, v23
	v_lshl_add_u32 v1, v1, 23, 0x3c000000
	v_and_b32_e32 v10, 0x80000000, v10
	v_or3_b32 v1, v12, v10, v1
.LBB370_2238:                           ;   in Loop: Header=BB370_1564 Depth=1
	s_or_b32 exec_lo, exec_lo, s20
.LBB370_2239:                           ;   in Loop: Header=BB370_1564 Depth=1
	s_or_b32 exec_lo, exec_lo, s19
.LBB370_2240:                           ;   in Loop: Header=BB370_1564 Depth=1
	s_or_b32 exec_lo, exec_lo, s18
	v_and_b32_sdwa v10, v21, v85 dst_sel:DWORD dst_unused:UNUSED_PAD src0_sel:WORD_1 src1_sel:DWORD
	v_mov_b32_e32 v13, 0
	v_mov_b32_e32 v12, 0
	s_mov_b32 s18, exec_lo
	v_cmpx_ne_u16_e32 0, v10
	s_cbranch_execz .LBB370_2248
; %bb.2241:                             ;   in Loop: Header=BB370_1564 Depth=1
	v_bfrev_b32_e32 v12, 1
	s_mov_b32 s19, exec_lo
	v_cmpx_ne_u16_e32 0x80, v10
	s_cbranch_execz .LBB370_2247
; %bb.2242:                             ;   in Loop: Header=BB370_1564 Depth=1
	v_bfe_u32 v17, v21, 16, 7
	v_mov_b32_e32 v12, 0x7f800001
	s_mov_b32 s20, exec_lo
	v_cmpx_ne_u32_e32 0x7f, v17
	s_cbranch_execz .LBB370_2246
; %bb.2243:                             ;   in Loop: Header=BB370_1564 Depth=1
	v_mov_b32_e32 v10, 7
	v_lshrrev_b32_e32 v12, 3, v17
	s_mov_b32 s21, exec_lo
	v_and_b32_sdwa v10, v21, v10 dst_sel:DWORD dst_unused:UNUSED_PAD src0_sel:WORD_1 src1_sel:DWORD
	v_mov_b32_e32 v24, v11
	v_mov_b32_e32 v23, v10
	v_cmpx_gt_u32_e32 8, v17
; %bb.2244:                             ;   in Loop: Header=BB370_1564 Depth=1
	v_ffbh_u32_e32 v12, v10
	v_min_u32_e32 v12, 32, v12
	v_subrev_nc_u32_e32 v17, 28, v12
	v_sub_nc_u32_e32 v12, 29, v12
	v_lshlrev_b64 v[17:18], v17, v[10:11]
	v_and_b32_e32 v23, 7, v17
; %bb.2245:                             ;   in Loop: Header=BB370_1564 Depth=1
	s_or_b32 exec_lo, exec_lo, s21
	v_mov_b32_e32 v10, 24
	v_lshlrev_b32_e32 v17, 20, v23
	v_lshl_add_u32 v12, v12, 23, 0x3c000000
	v_lshlrev_b32_sdwa v10, v10, v21 dst_sel:DWORD dst_unused:UNUSED_PAD src0_sel:DWORD src1_sel:WORD_1
	v_and_b32_e32 v10, 0x80000000, v10
	v_or3_b32 v12, v17, v10, v12
.LBB370_2246:                           ;   in Loop: Header=BB370_1564 Depth=1
	s_or_b32 exec_lo, exec_lo, s20
.LBB370_2247:                           ;   in Loop: Header=BB370_1564 Depth=1
	s_or_b32 exec_lo, exec_lo, s19
.LBB370_2248:                           ;   in Loop: Header=BB370_1564 Depth=1
	s_or_b32 exec_lo, exec_lo, s18
	s_mov_b32 s18, exec_lo
	v_cmpx_lt_u32_e32 0xffffff, v21
	s_cbranch_execz .LBB370_2256
; %bb.2249:                             ;   in Loop: Header=BB370_1564 Depth=1
	v_cmp_ne_u32_sdwa s4, v21, v83 src0_sel:BYTE_3 src1_sel:DWORD
	v_bfrev_b32_e32 v13, 1
	s_and_saveexec_b32 s19, s4
	s_cbranch_execz .LBB370_2255
; %bb.2250:                             ;   in Loop: Header=BB370_1564 Depth=1
	v_bfe_u32 v17, v21, 24, 7
	v_mov_b32_e32 v13, 0x7f800001
	s_mov_b32 s20, exec_lo
	v_cmpx_ne_u32_e32 0x7f, v17
	s_cbranch_execz .LBB370_2254
; %bb.2251:                             ;   in Loop: Header=BB370_1564 Depth=1
	v_mov_b32_e32 v10, 7
	v_lshrrev_b32_e32 v13, 3, v17
	s_mov_b32 s21, exec_lo
	v_and_b32_sdwa v10, v21, v10 dst_sel:DWORD dst_unused:UNUSED_PAD src0_sel:BYTE_3 src1_sel:DWORD
	v_mov_b32_e32 v24, v11
	v_mov_b32_e32 v23, v10
	v_cmpx_gt_u32_e32 8, v17
; %bb.2252:                             ;   in Loop: Header=BB370_1564 Depth=1
	v_ffbh_u32_e32 v13, v10
	v_min_u32_e32 v13, 32, v13
	v_subrev_nc_u32_e32 v17, 28, v13
	v_sub_nc_u32_e32 v13, 29, v13
	v_lshlrev_b64 v[17:18], v17, v[10:11]
	v_and_b32_e32 v23, 7, v17
; %bb.2253:                             ;   in Loop: Header=BB370_1564 Depth=1
	s_or_b32 exec_lo, exec_lo, s21
	v_mov_b32_e32 v10, 24
	v_lshlrev_b32_e32 v17, 20, v23
	v_lshl_add_u32 v13, v13, 23, 0x3c000000
	v_lshlrev_b32_sdwa v10, v10, v21 dst_sel:DWORD dst_unused:UNUSED_PAD src0_sel:DWORD src1_sel:BYTE_3
	v_and_b32_e32 v10, 0x80000000, v10
	v_or3_b32 v13, v17, v10, v13
.LBB370_2254:                           ;   in Loop: Header=BB370_1564 Depth=1
	s_or_b32 exec_lo, exec_lo, s20
.LBB370_2255:                           ;   in Loop: Header=BB370_1564 Depth=1
	s_or_b32 exec_lo, exec_lo, s19
.LBB370_2256:                           ;   in Loop: Header=BB370_1564 Depth=1
	s_or_b32 exec_lo, exec_lo, s18
	v_mov_b32_e32 v10, v22
	v_cmp_ne_u16_sdwa s4, v22, v11 src0_sel:BYTE_0 src1_sel:DWORD
	v_mov_b32_e32 v26, 0
	v_mov_b32_e32 v25, 0
	s_and_saveexec_b32 s18, s4
	s_cbranch_execz .LBB370_2264
; %bb.2257:                             ;   in Loop: Header=BB370_1564 Depth=1
	v_cmp_ne_u16_sdwa s4, v22, v83 src0_sel:BYTE_0 src1_sel:DWORD
	v_bfrev_b32_e32 v25, 1
	s_and_saveexec_b32 s19, s4
	s_cbranch_execz .LBB370_2263
; %bb.2258:                             ;   in Loop: Header=BB370_1564 Depth=1
	v_and_b32_e32 v18, 0x7f, v22
	v_mov_b32_e32 v25, 0x7f800001
	s_mov_b32 s20, exec_lo
	v_cmpx_ne_u32_e32 0x7f, v18
	s_cbranch_execz .LBB370_2262
; %bb.2259:                             ;   in Loop: Header=BB370_1564 Depth=1
	v_mov_b32_e32 v24, v11
	v_lshrrev_b32_e32 v17, 3, v18
	v_mov_b32_e32 v23, v10
	s_mov_b32 s21, exec_lo
	v_cmpx_gt_u32_e32 8, v18
; %bb.2260:                             ;   in Loop: Header=BB370_1564 Depth=1
	v_and_b32_e32 v17, 7, v22
	v_ffbh_u32_e32 v17, v17
	v_min_u32_e32 v17, 32, v17
	v_subrev_nc_u32_e32 v18, 28, v17
	v_sub_nc_u32_e32 v17, 29, v17
	v_lshlrev_b64 v[23:24], v18, v[10:11]
; %bb.2261:                             ;   in Loop: Header=BB370_1564 Depth=1
	s_or_b32 exec_lo, exec_lo, s21
	v_lshlrev_b32_e32 v18, 20, v23
	v_lshlrev_b32_e32 v23, 24, v10
	v_lshl_add_u32 v17, v17, 23, 0x3c000000
	v_and_b32_e32 v18, 0x700000, v18
	v_and_b32_e32 v23, 0x80000000, v23
	v_or3_b32 v25, v18, v23, v17
.LBB370_2262:                           ;   in Loop: Header=BB370_1564 Depth=1
	s_or_b32 exec_lo, exec_lo, s20
.LBB370_2263:                           ;   in Loop: Header=BB370_1564 Depth=1
	s_or_b32 exec_lo, exec_lo, s19
.LBB370_2264:                           ;   in Loop: Header=BB370_1564 Depth=1
	s_or_b32 exec_lo, exec_lo, s18
	v_cmp_ne_u16_sdwa s4, v10, v11 src0_sel:BYTE_1 src1_sel:DWORD
	s_and_saveexec_b32 s18, s4
	s_cbranch_execz .LBB370_2272
; %bb.2265:                             ;   in Loop: Header=BB370_1564 Depth=1
	v_cmp_ne_u16_sdwa s4, v10, v83 src0_sel:BYTE_1 src1_sel:DWORD
	v_bfrev_b32_e32 v26, 1
	s_and_saveexec_b32 s19, s4
	s_cbranch_execz .LBB370_2271
; %bb.2266:                             ;   in Loop: Header=BB370_1564 Depth=1
	v_mov_b32_e32 v17, 0xffff
	v_mov_b32_e32 v26, 0x7f800001
	s_mov_b32 s20, exec_lo
	v_and_b32_sdwa v17, v17, v10 dst_sel:DWORD dst_unused:UNUSED_PAD src0_sel:DWORD src1_sel:BYTE_1
	v_and_b32_e32 v18, 0x7f, v17
	v_cmpx_ne_u32_e32 0x7f, v18
	s_cbranch_execz .LBB370_2270
; %bb.2267:                             ;   in Loop: Header=BB370_1564 Depth=1
	v_and_b32_e32 v23, 7, v17
	v_mov_b32_e32 v24, v11
	v_lshrrev_b32_e32 v17, 3, v18
	s_mov_b32 s21, exec_lo
	v_cmpx_gt_u32_e32 8, v18
; %bb.2268:                             ;   in Loop: Header=BB370_1564 Depth=1
	v_ffbh_u32_e32 v17, v23
	v_min_u32_e32 v17, 32, v17
	v_subrev_nc_u32_e32 v18, 28, v17
	v_sub_nc_u32_e32 v17, 29, v17
	v_lshlrev_b64 v[23:24], v18, v[23:24]
	v_and_b32_e32 v23, 7, v23
; %bb.2269:                             ;   in Loop: Header=BB370_1564 Depth=1
	s_or_b32 exec_lo, exec_lo, s21
	v_lshlrev_b32_e32 v10, 16, v10
	v_lshlrev_b32_e32 v18, 20, v23
	v_lshl_add_u32 v17, v17, 23, 0x3c000000
	v_and_b32_e32 v10, 0x80000000, v10
	v_or3_b32 v26, v18, v10, v17
.LBB370_2270:                           ;   in Loop: Header=BB370_1564 Depth=1
	s_or_b32 exec_lo, exec_lo, s20
.LBB370_2271:                           ;   in Loop: Header=BB370_1564 Depth=1
	s_or_b32 exec_lo, exec_lo, s19
.LBB370_2272:                           ;   in Loop: Header=BB370_1564 Depth=1
	s_or_b32 exec_lo, exec_lo, s18
	v_and_b32_sdwa v10, v22, v85 dst_sel:DWORD dst_unused:UNUSED_PAD src0_sel:WORD_1 src1_sel:DWORD
	v_mov_b32_e32 v17, 0
	v_mov_b32_e32 v18, 0
	s_mov_b32 s18, exec_lo
	v_cmpx_ne_u16_e32 0, v10
	s_cbranch_execz .LBB370_2280
; %bb.2273:                             ;   in Loop: Header=BB370_1564 Depth=1
	v_bfrev_b32_e32 v18, 1
	s_mov_b32 s19, exec_lo
	v_cmpx_ne_u16_e32 0x80, v10
	s_cbranch_execz .LBB370_2279
; %bb.2274:                             ;   in Loop: Header=BB370_1564 Depth=1
	v_bfe_u32 v23, v22, 16, 7
	v_mov_b32_e32 v18, 0x7f800001
	s_mov_b32 s20, exec_lo
	v_cmpx_ne_u32_e32 0x7f, v23
	s_cbranch_execz .LBB370_2278
; %bb.2275:                             ;   in Loop: Header=BB370_1564 Depth=1
	v_mov_b32_e32 v10, 7
	v_lshrrev_b32_e32 v18, 3, v23
	v_cmp_gt_u32_e64 s4, 8, v23
	v_and_b32_sdwa v10, v22, v10 dst_sel:DWORD dst_unused:UNUSED_PAD src0_sel:WORD_1 src1_sel:DWORD
	v_mov_b32_e32 v24, v11
	v_mov_b32_e32 v23, v10
	s_and_saveexec_b32 s21, s4
; %bb.2276:                             ;   in Loop: Header=BB370_1564 Depth=1
	v_ffbh_u32_e32 v18, v10
	v_min_u32_e32 v18, 32, v18
	v_subrev_nc_u32_e32 v23, 28, v18
	v_sub_nc_u32_e32 v18, 29, v18
	v_lshlrev_b64 v[23:24], v23, v[10:11]
	v_and_b32_e32 v23, 7, v23
; %bb.2277:                             ;   in Loop: Header=BB370_1564 Depth=1
	s_or_b32 exec_lo, exec_lo, s21
	v_mov_b32_e32 v10, 24
	v_lshlrev_b32_e32 v23, 20, v23
	v_lshl_add_u32 v18, v18, 23, 0x3c000000
	v_lshlrev_b32_sdwa v10, v10, v22 dst_sel:DWORD dst_unused:UNUSED_PAD src0_sel:DWORD src1_sel:WORD_1
	v_and_b32_e32 v10, 0x80000000, v10
	v_or3_b32 v18, v23, v10, v18
.LBB370_2278:                           ;   in Loop: Header=BB370_1564 Depth=1
	s_or_b32 exec_lo, exec_lo, s20
.LBB370_2279:                           ;   in Loop: Header=BB370_1564 Depth=1
	s_or_b32 exec_lo, exec_lo, s19
.LBB370_2280:                           ;   in Loop: Header=BB370_1564 Depth=1
	s_or_b32 exec_lo, exec_lo, s18
	s_mov_b32 s18, exec_lo
	v_cmpx_lt_u64_e64 s[6:7], v[21:22]
	s_cbranch_execz .LBB370_2288
; %bb.2281:                             ;   in Loop: Header=BB370_1564 Depth=1
	v_cmp_ne_u32_sdwa s4, v22, v83 src0_sel:BYTE_3 src1_sel:DWORD
	v_bfrev_b32_e32 v17, 1
	s_and_saveexec_b32 s19, s4
	s_cbranch_execz .LBB370_2287
; %bb.2282:                             ;   in Loop: Header=BB370_1564 Depth=1
	v_bfe_u32 v21, v22, 24, 7
	v_mov_b32_e32 v17, 0x7f800001
	s_mov_b32 s20, exec_lo
	v_cmpx_ne_u32_e32 0x7f, v21
	s_cbranch_execz .LBB370_2286
; %bb.2283:                             ;   in Loop: Header=BB370_1564 Depth=1
	v_mov_b32_e32 v10, 7
	v_lshrrev_b32_e32 v17, 3, v21
	s_mov_b32 s21, exec_lo
	v_and_b32_sdwa v10, v22, v10 dst_sel:DWORD dst_unused:UNUSED_PAD src0_sel:BYTE_3 src1_sel:DWORD
	v_mov_b32_e32 v24, v11
	v_mov_b32_e32 v23, v10
	v_cmpx_gt_u32_e32 8, v21
; %bb.2284:                             ;   in Loop: Header=BB370_1564 Depth=1
	v_ffbh_u32_e32 v17, v10
	v_min_u32_e32 v17, 32, v17
	v_subrev_nc_u32_e32 v21, 28, v17
	v_sub_nc_u32_e32 v17, 29, v17
	v_lshlrev_b64 v[23:24], v21, v[10:11]
	v_and_b32_e32 v23, 7, v23
; %bb.2285:                             ;   in Loop: Header=BB370_1564 Depth=1
	s_or_b32 exec_lo, exec_lo, s21
	v_mov_b32_e32 v10, 24
	v_lshlrev_b32_e32 v21, 20, v23
	v_lshl_add_u32 v17, v17, 23, 0x3c000000
	v_lshlrev_b32_sdwa v10, v10, v22 dst_sel:DWORD dst_unused:UNUSED_PAD src0_sel:DWORD src1_sel:BYTE_3
	v_and_b32_e32 v10, 0x80000000, v10
	v_or3_b32 v17, v21, v10, v17
.LBB370_2286:                           ;   in Loop: Header=BB370_1564 Depth=1
	s_or_b32 exec_lo, exec_lo, s20
.LBB370_2287:                           ;   in Loop: Header=BB370_1564 Depth=1
	s_or_b32 exec_lo, exec_lo, s19
.LBB370_2288:                           ;   in Loop: Header=BB370_1564 Depth=1
	s_or_b32 exec_lo, exec_lo, s18
	v_mul_f32_e32 v10, v71, v26
	v_mul_f32_e32 v1, v71, v1
	;; [unrolled: 1-line block ×3, first 2 shown]
	v_bfe_u32 v21, v10, 16, 1
	v_or_b32_e32 v22, 0x400000, v10
	v_cmp_u_f32_e64 s4, v10, v10
	v_add3_u32 v21, v21, v10, 0x7fff
	v_cndmask_b32_e64 v10, v21, v22, s4
	v_lshrrev_b32_e32 v10, 16, v10
	buffer_store_dword v10, off, s[0:3], s32 offset:520 ; 4-byte Folded Spill
	v_mul_f32_e32 v10, v71, v25
	v_bfe_u32 v21, v10, 16, 1
	v_or_b32_e32 v22, 0x400000, v10
	v_cmp_u_f32_e64 s4, v10, v10
	v_add3_u32 v21, v21, v10, 0x7fff
	v_cndmask_b32_e64 v10, v21, v22, s4
	v_lshrrev_b32_e32 v10, 16, v10
	buffer_store_dword v10, off, s[0:3], s32 offset:524 ; 4-byte Folded Spill
	v_mul_f32_e32 v10, v71, v13
	;; [unrolled: 8-line block ×3, first 2 shown]
	v_bfe_u32 v12, v10, 16, 1
	v_or_b32_e32 v13, 0x400000, v10
	v_cmp_u_f32_e64 s4, v10, v10
	v_add3_u32 v12, v12, v10, 0x7fff
	v_cndmask_b32_e64 v10, v12, v13, s4
	v_or_b32_e32 v12, 0x400000, v1
	v_cmp_u_f32_e64 s4, v1, v1
	v_lshrrev_b32_e32 v10, 16, v10
	buffer_store_dword v10, off, s[0:3], s32 offset:532 ; 4-byte Folded Spill
	v_bfe_u32 v10, v1, 16, 1
	v_add3_u32 v10, v10, v1, 0x7fff
	v_cndmask_b32_e64 v1, v10, v12, s4
	v_or_b32_e32 v10, 0x400000, v0
	v_cmp_u_f32_e64 s4, v0, v0
	v_lshrrev_b32_e32 v1, 16, v1
	buffer_store_dword v1, off, s[0:3], s32 offset:536 ; 4-byte Folded Spill
	v_bfe_u32 v1, v0, 16, 1
	v_add3_u32 v1, v1, v0, 0x7fff
	v_cndmask_b32_e64 v0, v1, v10, s4
	v_lshrrev_b32_e32 v0, 16, v0
	buffer_store_dword v0, off, s[0:3], s32 offset:544 ; 4-byte Folded Spill
	v_mul_f32_e32 v0, v71, v18
	v_bfe_u32 v1, v0, 16, 1
	v_or_b32_e32 v10, 0x400000, v0
	v_cmp_u_f32_e64 s4, v0, v0
	v_add3_u32 v1, v1, v0, 0x7fff
	v_cndmask_b32_e64 v0, v1, v10, s4
	v_lshrrev_b32_e32 v0, 16, v0
	buffer_store_dword v0, off, s[0:3], s32 offset:540 ; 4-byte Folded Spill
	v_mul_f32_e32 v0, v71, v17
	v_bfe_u32 v1, v0, 16, 1
	v_or_b32_e32 v10, 0x400000, v0
	v_cmp_u_f32_e64 s4, v0, v0
	v_add3_u32 v1, v1, v0, 0x7fff
	v_cndmask_b32_e64 v0, v1, v10, s4
	v_lshrrev_b32_e32 v0, 16, v0
	buffer_store_dword v0, off, s[0:3], s32 offset:548 ; 4-byte Folded Spill
	s_and_saveexec_b32 s18, vcc_lo
	s_cbranch_execz .LBB370_2290
; %bb.2289:                             ;   in Loop: Header=BB370_1564 Depth=1
	buffer_load_dword v0, off, s[0:3], s32 offset:544 ; 4-byte Folded Reload
	v_cmp_lt_i32_e64 s4, v91, v88
	s_waitcnt vmcnt(0)
	v_cndmask_b32_e64 v0, 0, v0, s4
	v_cmp_lt_i32_e64 s4, v111, v88
	buffer_store_dword v0, off, s[0:3], s32 offset:544 ; 4-byte Folded Spill
	buffer_load_dword v0, off, s[0:3], s32 offset:536 ; 4-byte Folded Reload
	s_waitcnt vmcnt(0)
	v_cndmask_b32_e64 v0, 0, v0, s4
	v_cmp_lt_i32_e64 s4, v110, v88
	buffer_store_dword v0, off, s[0:3], s32 offset:536 ; 4-byte Folded Spill
	buffer_load_dword v0, off, s[0:3], s32 offset:532 ; 4-byte Folded Reload
	s_waitcnt vmcnt(0)
	v_cndmask_b32_e64 v0, 0, v0, s4
	v_cmp_lt_i32_e64 s4, v109, v88
	buffer_store_dword v0, off, s[0:3], s32 offset:532 ; 4-byte Folded Spill
	buffer_load_dword v0, off, s[0:3], s32 offset:528 ; 4-byte Folded Reload
	s_waitcnt vmcnt(0)
	v_cndmask_b32_e64 v0, 0, v0, s4
	v_cmp_lt_i32_e64 s4, v108, v88
	buffer_store_dword v0, off, s[0:3], s32 offset:528 ; 4-byte Folded Spill
	buffer_load_dword v0, off, s[0:3], s32 offset:524 ; 4-byte Folded Reload
	s_waitcnt vmcnt(0)
	v_cndmask_b32_e64 v0, 0, v0, s4
	v_cmp_lt_i32_e64 s4, v107, v88
	buffer_store_dword v0, off, s[0:3], s32 offset:524 ; 4-byte Folded Spill
	buffer_load_dword v0, off, s[0:3], s32 offset:520 ; 4-byte Folded Reload
	s_waitcnt vmcnt(0)
	v_cndmask_b32_e64 v0, 0, v0, s4
	v_cmp_lt_i32_e64 s4, v106, v88
	buffer_store_dword v0, off, s[0:3], s32 offset:520 ; 4-byte Folded Spill
	buffer_load_dword v0, off, s[0:3], s32 offset:540 ; 4-byte Folded Reload
	s_waitcnt vmcnt(0)
	v_cndmask_b32_e64 v0, 0, v0, s4
	v_cmp_lt_i32_e64 s4, v105, v88
	buffer_store_dword v0, off, s[0:3], s32 offset:540 ; 4-byte Folded Spill
	buffer_load_dword v0, off, s[0:3], s32 offset:548 ; 4-byte Folded Reload
	s_waitcnt vmcnt(0)
	v_cndmask_b32_e64 v0, 0, v0, s4
	buffer_store_dword v0, off, s[0:3], s32 offset:548 ; 4-byte Folded Spill
.LBB370_2290:                           ;   in Loop: Header=BB370_1564 Depth=1
	s_or_b32 exec_lo, exec_lo, s18
	flat_load_dwordx2 v[21:22], v[19:20] offset:768
	v_mov_b32_e32 v1, 0
	v_mov_b32_e32 v0, 0
	s_waitcnt vmcnt(0) lgkmcnt(0)
	v_cmp_ne_u16_sdwa s4, v21, v11 src0_sel:BYTE_0 src1_sel:DWORD
	s_and_saveexec_b32 s18, s4
	s_cbranch_execz .LBB370_2298
; %bb.2291:                             ;   in Loop: Header=BB370_1564 Depth=1
	v_cmp_ne_u16_sdwa s4, v21, v83 src0_sel:BYTE_0 src1_sel:DWORD
	v_bfrev_b32_e32 v0, 1
	s_and_saveexec_b32 s19, s4
	s_cbranch_execz .LBB370_2297
; %bb.2292:                             ;   in Loop: Header=BB370_1564 Depth=1
	v_and_b32_e32 v10, 0x7f, v21
	v_mov_b32_e32 v0, 0x7f800001
	s_mov_b32 s20, exec_lo
	v_cmpx_ne_u32_e32 0x7f, v10
	s_cbranch_execz .LBB370_2296
; %bb.2293:                             ;   in Loop: Header=BB370_1564 Depth=1
	v_mov_b32_e32 v24, v22
	v_lshrrev_b32_e32 v0, 3, v10
	v_mov_b32_e32 v23, v21
	s_mov_b32 s21, exec_lo
	v_cmpx_gt_u32_e32 8, v10
; %bb.2294:                             ;   in Loop: Header=BB370_1564 Depth=1
	v_and_b32_e32 v0, 7, v21
	v_ffbh_u32_e32 v0, v0
	v_min_u32_e32 v0, 32, v0
	v_subrev_nc_u32_e32 v10, 28, v0
	v_sub_nc_u32_e32 v0, 29, v0
	v_lshlrev_b64 v[23:24], v10, v[21:22]
; %bb.2295:                             ;   in Loop: Header=BB370_1564 Depth=1
	s_or_b32 exec_lo, exec_lo, s21
	v_lshlrev_b32_e32 v10, 20, v23
	v_lshlrev_b32_e32 v12, 24, v21
	v_lshl_add_u32 v0, v0, 23, 0x3c000000
	v_and_b32_e32 v10, 0x700000, v10
	v_and_b32_e32 v12, 0x80000000, v12
	v_or3_b32 v0, v10, v12, v0
.LBB370_2296:                           ;   in Loop: Header=BB370_1564 Depth=1
	s_or_b32 exec_lo, exec_lo, s20
.LBB370_2297:                           ;   in Loop: Header=BB370_1564 Depth=1
	s_or_b32 exec_lo, exec_lo, s19
.LBB370_2298:                           ;   in Loop: Header=BB370_1564 Depth=1
	s_or_b32 exec_lo, exec_lo, s18
	v_cmp_ne_u16_sdwa s4, v21, v11 src0_sel:BYTE_1 src1_sel:DWORD
	s_and_saveexec_b32 s18, s4
	s_cbranch_execz .LBB370_2306
; %bb.2299:                             ;   in Loop: Header=BB370_1564 Depth=1
	v_cmp_ne_u16_sdwa s4, v21, v83 src0_sel:BYTE_1 src1_sel:DWORD
	v_bfrev_b32_e32 v1, 1
	s_and_saveexec_b32 s19, s4
	s_cbranch_execz .LBB370_2305
; %bb.2300:                             ;   in Loop: Header=BB370_1564 Depth=1
	v_mov_b32_e32 v1, 0xffff
	s_mov_b32 s20, exec_lo
	v_and_b32_sdwa v10, v1, v21 dst_sel:DWORD dst_unused:UNUSED_PAD src0_sel:DWORD src1_sel:BYTE_1
	v_mov_b32_e32 v1, 0x7f800001
	v_and_b32_e32 v12, 0x7f, v10
	v_cmpx_ne_u32_e32 0x7f, v12
	s_cbranch_execz .LBB370_2304
; %bb.2301:                             ;   in Loop: Header=BB370_1564 Depth=1
	v_and_b32_e32 v10, 7, v10
	v_mov_b32_e32 v24, v11
	v_lshrrev_b32_e32 v1, 3, v12
	s_mov_b32 s21, exec_lo
	v_mov_b32_e32 v23, v10
	v_cmpx_gt_u32_e32 8, v12
; %bb.2302:                             ;   in Loop: Header=BB370_1564 Depth=1
	v_ffbh_u32_e32 v1, v10
	v_min_u32_e32 v1, 32, v1
	v_subrev_nc_u32_e32 v12, 28, v1
	v_sub_nc_u32_e32 v1, 29, v1
	v_lshlrev_b64 v[12:13], v12, v[10:11]
	v_and_b32_e32 v23, 7, v12
; %bb.2303:                             ;   in Loop: Header=BB370_1564 Depth=1
	s_or_b32 exec_lo, exec_lo, s21
	v_lshlrev_b32_e32 v10, 16, v21
	v_lshlrev_b32_e32 v12, 20, v23
	v_lshl_add_u32 v1, v1, 23, 0x3c000000
	v_and_b32_e32 v10, 0x80000000, v10
	v_or3_b32 v1, v12, v10, v1
.LBB370_2304:                           ;   in Loop: Header=BB370_1564 Depth=1
	s_or_b32 exec_lo, exec_lo, s20
.LBB370_2305:                           ;   in Loop: Header=BB370_1564 Depth=1
	s_or_b32 exec_lo, exec_lo, s19
.LBB370_2306:                           ;   in Loop: Header=BB370_1564 Depth=1
	s_or_b32 exec_lo, exec_lo, s18
	v_and_b32_sdwa v10, v21, v85 dst_sel:DWORD dst_unused:UNUSED_PAD src0_sel:WORD_1 src1_sel:DWORD
	v_mov_b32_e32 v13, 0
	v_mov_b32_e32 v12, 0
	s_mov_b32 s18, exec_lo
	v_cmpx_ne_u16_e32 0, v10
	s_cbranch_execz .LBB370_2314
; %bb.2307:                             ;   in Loop: Header=BB370_1564 Depth=1
	v_bfrev_b32_e32 v12, 1
	s_mov_b32 s19, exec_lo
	v_cmpx_ne_u16_e32 0x80, v10
	s_cbranch_execz .LBB370_2313
; %bb.2308:                             ;   in Loop: Header=BB370_1564 Depth=1
	v_bfe_u32 v17, v21, 16, 7
	v_mov_b32_e32 v12, 0x7f800001
	s_mov_b32 s20, exec_lo
	v_cmpx_ne_u32_e32 0x7f, v17
	s_cbranch_execz .LBB370_2312
; %bb.2309:                             ;   in Loop: Header=BB370_1564 Depth=1
	v_mov_b32_e32 v10, 7
	v_lshrrev_b32_e32 v12, 3, v17
	s_mov_b32 s21, exec_lo
	v_and_b32_sdwa v10, v21, v10 dst_sel:DWORD dst_unused:UNUSED_PAD src0_sel:WORD_1 src1_sel:DWORD
	v_mov_b32_e32 v24, v11
	v_mov_b32_e32 v23, v10
	v_cmpx_gt_u32_e32 8, v17
; %bb.2310:                             ;   in Loop: Header=BB370_1564 Depth=1
	v_ffbh_u32_e32 v12, v10
	v_min_u32_e32 v12, 32, v12
	v_subrev_nc_u32_e32 v17, 28, v12
	v_sub_nc_u32_e32 v12, 29, v12
	v_lshlrev_b64 v[17:18], v17, v[10:11]
	v_and_b32_e32 v23, 7, v17
; %bb.2311:                             ;   in Loop: Header=BB370_1564 Depth=1
	s_or_b32 exec_lo, exec_lo, s21
	v_mov_b32_e32 v10, 24
	v_lshlrev_b32_e32 v17, 20, v23
	v_lshl_add_u32 v12, v12, 23, 0x3c000000
	v_lshlrev_b32_sdwa v10, v10, v21 dst_sel:DWORD dst_unused:UNUSED_PAD src0_sel:DWORD src1_sel:WORD_1
	v_and_b32_e32 v10, 0x80000000, v10
	v_or3_b32 v12, v17, v10, v12
.LBB370_2312:                           ;   in Loop: Header=BB370_1564 Depth=1
	s_or_b32 exec_lo, exec_lo, s20
.LBB370_2313:                           ;   in Loop: Header=BB370_1564 Depth=1
	s_or_b32 exec_lo, exec_lo, s19
.LBB370_2314:                           ;   in Loop: Header=BB370_1564 Depth=1
	s_or_b32 exec_lo, exec_lo, s18
	s_mov_b32 s18, exec_lo
	v_cmpx_lt_u32_e32 0xffffff, v21
	s_cbranch_execz .LBB370_2322
; %bb.2315:                             ;   in Loop: Header=BB370_1564 Depth=1
	v_cmp_ne_u32_sdwa s4, v21, v83 src0_sel:BYTE_3 src1_sel:DWORD
	v_bfrev_b32_e32 v13, 1
	s_and_saveexec_b32 s19, s4
	s_cbranch_execz .LBB370_2321
; %bb.2316:                             ;   in Loop: Header=BB370_1564 Depth=1
	v_bfe_u32 v17, v21, 24, 7
	v_mov_b32_e32 v13, 0x7f800001
	s_mov_b32 s20, exec_lo
	v_cmpx_ne_u32_e32 0x7f, v17
	s_cbranch_execz .LBB370_2320
; %bb.2317:                             ;   in Loop: Header=BB370_1564 Depth=1
	v_mov_b32_e32 v10, 7
	v_lshrrev_b32_e32 v13, 3, v17
	s_mov_b32 s21, exec_lo
	v_and_b32_sdwa v10, v21, v10 dst_sel:DWORD dst_unused:UNUSED_PAD src0_sel:BYTE_3 src1_sel:DWORD
	v_mov_b32_e32 v24, v11
	v_mov_b32_e32 v23, v10
	v_cmpx_gt_u32_e32 8, v17
; %bb.2318:                             ;   in Loop: Header=BB370_1564 Depth=1
	v_ffbh_u32_e32 v13, v10
	v_min_u32_e32 v13, 32, v13
	v_subrev_nc_u32_e32 v17, 28, v13
	v_sub_nc_u32_e32 v13, 29, v13
	v_lshlrev_b64 v[17:18], v17, v[10:11]
	v_and_b32_e32 v23, 7, v17
; %bb.2319:                             ;   in Loop: Header=BB370_1564 Depth=1
	s_or_b32 exec_lo, exec_lo, s21
	v_mov_b32_e32 v10, 24
	v_lshlrev_b32_e32 v17, 20, v23
	v_lshl_add_u32 v13, v13, 23, 0x3c000000
	v_lshlrev_b32_sdwa v10, v10, v21 dst_sel:DWORD dst_unused:UNUSED_PAD src0_sel:DWORD src1_sel:BYTE_3
	v_and_b32_e32 v10, 0x80000000, v10
	v_or3_b32 v13, v17, v10, v13
.LBB370_2320:                           ;   in Loop: Header=BB370_1564 Depth=1
	s_or_b32 exec_lo, exec_lo, s20
.LBB370_2321:                           ;   in Loop: Header=BB370_1564 Depth=1
	s_or_b32 exec_lo, exec_lo, s19
.LBB370_2322:                           ;   in Loop: Header=BB370_1564 Depth=1
	s_or_b32 exec_lo, exec_lo, s18
	v_mov_b32_e32 v10, v22
	v_cmp_ne_u16_sdwa s4, v22, v11 src0_sel:BYTE_0 src1_sel:DWORD
	v_mov_b32_e32 v26, 0
	v_mov_b32_e32 v25, 0
	s_and_saveexec_b32 s18, s4
	s_cbranch_execz .LBB370_2330
; %bb.2323:                             ;   in Loop: Header=BB370_1564 Depth=1
	v_cmp_ne_u16_sdwa s4, v22, v83 src0_sel:BYTE_0 src1_sel:DWORD
	v_bfrev_b32_e32 v25, 1
	s_and_saveexec_b32 s19, s4
	s_cbranch_execz .LBB370_2329
; %bb.2324:                             ;   in Loop: Header=BB370_1564 Depth=1
	v_and_b32_e32 v18, 0x7f, v22
	v_mov_b32_e32 v25, 0x7f800001
	s_mov_b32 s20, exec_lo
	v_cmpx_ne_u32_e32 0x7f, v18
	s_cbranch_execz .LBB370_2328
; %bb.2325:                             ;   in Loop: Header=BB370_1564 Depth=1
	v_mov_b32_e32 v24, v11
	v_lshrrev_b32_e32 v17, 3, v18
	v_mov_b32_e32 v23, v10
	s_mov_b32 s21, exec_lo
	v_cmpx_gt_u32_e32 8, v18
; %bb.2326:                             ;   in Loop: Header=BB370_1564 Depth=1
	v_and_b32_e32 v17, 7, v22
	v_ffbh_u32_e32 v17, v17
	v_min_u32_e32 v17, 32, v17
	v_subrev_nc_u32_e32 v18, 28, v17
	v_sub_nc_u32_e32 v17, 29, v17
	v_lshlrev_b64 v[23:24], v18, v[10:11]
; %bb.2327:                             ;   in Loop: Header=BB370_1564 Depth=1
	s_or_b32 exec_lo, exec_lo, s21
	v_lshlrev_b32_e32 v18, 20, v23
	v_lshlrev_b32_e32 v23, 24, v10
	v_lshl_add_u32 v17, v17, 23, 0x3c000000
	v_and_b32_e32 v18, 0x700000, v18
	v_and_b32_e32 v23, 0x80000000, v23
	v_or3_b32 v25, v18, v23, v17
.LBB370_2328:                           ;   in Loop: Header=BB370_1564 Depth=1
	s_or_b32 exec_lo, exec_lo, s20
.LBB370_2329:                           ;   in Loop: Header=BB370_1564 Depth=1
	s_or_b32 exec_lo, exec_lo, s19
.LBB370_2330:                           ;   in Loop: Header=BB370_1564 Depth=1
	s_or_b32 exec_lo, exec_lo, s18
	v_cmp_ne_u16_sdwa s4, v10, v11 src0_sel:BYTE_1 src1_sel:DWORD
	s_and_saveexec_b32 s18, s4
	s_cbranch_execz .LBB370_2338
; %bb.2331:                             ;   in Loop: Header=BB370_1564 Depth=1
	v_cmp_ne_u16_sdwa s4, v10, v83 src0_sel:BYTE_1 src1_sel:DWORD
	v_bfrev_b32_e32 v26, 1
	s_and_saveexec_b32 s19, s4
	s_cbranch_execz .LBB370_2337
; %bb.2332:                             ;   in Loop: Header=BB370_1564 Depth=1
	v_mov_b32_e32 v17, 0xffff
	v_mov_b32_e32 v26, 0x7f800001
	s_mov_b32 s20, exec_lo
	v_and_b32_sdwa v17, v17, v10 dst_sel:DWORD dst_unused:UNUSED_PAD src0_sel:DWORD src1_sel:BYTE_1
	v_and_b32_e32 v18, 0x7f, v17
	v_cmpx_ne_u32_e32 0x7f, v18
	s_cbranch_execz .LBB370_2336
; %bb.2333:                             ;   in Loop: Header=BB370_1564 Depth=1
	v_and_b32_e32 v23, 7, v17
	v_mov_b32_e32 v24, v11
	v_lshrrev_b32_e32 v17, 3, v18
	s_mov_b32 s21, exec_lo
	v_cmpx_gt_u32_e32 8, v18
; %bb.2334:                             ;   in Loop: Header=BB370_1564 Depth=1
	v_ffbh_u32_e32 v17, v23
	v_min_u32_e32 v17, 32, v17
	v_subrev_nc_u32_e32 v18, 28, v17
	v_sub_nc_u32_e32 v17, 29, v17
	v_lshlrev_b64 v[23:24], v18, v[23:24]
	v_and_b32_e32 v23, 7, v23
; %bb.2335:                             ;   in Loop: Header=BB370_1564 Depth=1
	s_or_b32 exec_lo, exec_lo, s21
	v_lshlrev_b32_e32 v10, 16, v10
	v_lshlrev_b32_e32 v18, 20, v23
	v_lshl_add_u32 v17, v17, 23, 0x3c000000
	v_and_b32_e32 v10, 0x80000000, v10
	v_or3_b32 v26, v18, v10, v17
.LBB370_2336:                           ;   in Loop: Header=BB370_1564 Depth=1
	s_or_b32 exec_lo, exec_lo, s20
.LBB370_2337:                           ;   in Loop: Header=BB370_1564 Depth=1
	s_or_b32 exec_lo, exec_lo, s19
.LBB370_2338:                           ;   in Loop: Header=BB370_1564 Depth=1
	s_or_b32 exec_lo, exec_lo, s18
	v_and_b32_sdwa v10, v22, v85 dst_sel:DWORD dst_unused:UNUSED_PAD src0_sel:WORD_1 src1_sel:DWORD
	v_mov_b32_e32 v17, 0
	v_mov_b32_e32 v18, 0
	s_mov_b32 s18, exec_lo
	v_cmpx_ne_u16_e32 0, v10
	s_cbranch_execz .LBB370_2346
; %bb.2339:                             ;   in Loop: Header=BB370_1564 Depth=1
	v_bfrev_b32_e32 v18, 1
	s_mov_b32 s19, exec_lo
	v_cmpx_ne_u16_e32 0x80, v10
	s_cbranch_execz .LBB370_2345
; %bb.2340:                             ;   in Loop: Header=BB370_1564 Depth=1
	v_bfe_u32 v23, v22, 16, 7
	v_mov_b32_e32 v18, 0x7f800001
	s_mov_b32 s20, exec_lo
	v_cmpx_ne_u32_e32 0x7f, v23
	s_cbranch_execz .LBB370_2344
; %bb.2341:                             ;   in Loop: Header=BB370_1564 Depth=1
	v_mov_b32_e32 v10, 7
	v_lshrrev_b32_e32 v18, 3, v23
	v_cmp_gt_u32_e64 s4, 8, v23
	v_and_b32_sdwa v10, v22, v10 dst_sel:DWORD dst_unused:UNUSED_PAD src0_sel:WORD_1 src1_sel:DWORD
	v_mov_b32_e32 v24, v11
	v_mov_b32_e32 v23, v10
	s_and_saveexec_b32 s21, s4
; %bb.2342:                             ;   in Loop: Header=BB370_1564 Depth=1
	v_ffbh_u32_e32 v18, v10
	v_min_u32_e32 v18, 32, v18
	v_subrev_nc_u32_e32 v23, 28, v18
	v_sub_nc_u32_e32 v18, 29, v18
	v_lshlrev_b64 v[23:24], v23, v[10:11]
	v_and_b32_e32 v23, 7, v23
; %bb.2343:                             ;   in Loop: Header=BB370_1564 Depth=1
	s_or_b32 exec_lo, exec_lo, s21
	v_mov_b32_e32 v10, 24
	v_lshlrev_b32_e32 v23, 20, v23
	v_lshl_add_u32 v18, v18, 23, 0x3c000000
	v_lshlrev_b32_sdwa v10, v10, v22 dst_sel:DWORD dst_unused:UNUSED_PAD src0_sel:DWORD src1_sel:WORD_1
	v_and_b32_e32 v10, 0x80000000, v10
	v_or3_b32 v18, v23, v10, v18
.LBB370_2344:                           ;   in Loop: Header=BB370_1564 Depth=1
	s_or_b32 exec_lo, exec_lo, s20
.LBB370_2345:                           ;   in Loop: Header=BB370_1564 Depth=1
	s_or_b32 exec_lo, exec_lo, s19
.LBB370_2346:                           ;   in Loop: Header=BB370_1564 Depth=1
	s_or_b32 exec_lo, exec_lo, s18
	s_mov_b32 s18, exec_lo
	v_cmpx_lt_u64_e64 s[6:7], v[21:22]
	s_cbranch_execz .LBB370_2354
; %bb.2347:                             ;   in Loop: Header=BB370_1564 Depth=1
	v_cmp_ne_u32_sdwa s4, v22, v83 src0_sel:BYTE_3 src1_sel:DWORD
	v_bfrev_b32_e32 v17, 1
	s_and_saveexec_b32 s19, s4
	s_cbranch_execz .LBB370_2353
; %bb.2348:                             ;   in Loop: Header=BB370_1564 Depth=1
	v_bfe_u32 v21, v22, 24, 7
	v_mov_b32_e32 v17, 0x7f800001
	s_mov_b32 s20, exec_lo
	v_cmpx_ne_u32_e32 0x7f, v21
	s_cbranch_execz .LBB370_2352
; %bb.2349:                             ;   in Loop: Header=BB370_1564 Depth=1
	v_mov_b32_e32 v10, 7
	v_lshrrev_b32_e32 v17, 3, v21
	s_mov_b32 s21, exec_lo
	v_and_b32_sdwa v10, v22, v10 dst_sel:DWORD dst_unused:UNUSED_PAD src0_sel:BYTE_3 src1_sel:DWORD
	v_mov_b32_e32 v24, v11
	v_mov_b32_e32 v23, v10
	v_cmpx_gt_u32_e32 8, v21
; %bb.2350:                             ;   in Loop: Header=BB370_1564 Depth=1
	v_ffbh_u32_e32 v17, v10
	v_min_u32_e32 v17, 32, v17
	v_subrev_nc_u32_e32 v21, 28, v17
	v_sub_nc_u32_e32 v17, 29, v17
	v_lshlrev_b64 v[23:24], v21, v[10:11]
	v_and_b32_e32 v23, 7, v23
; %bb.2351:                             ;   in Loop: Header=BB370_1564 Depth=1
	s_or_b32 exec_lo, exec_lo, s21
	v_mov_b32_e32 v10, 24
	v_lshlrev_b32_e32 v21, 20, v23
	v_lshl_add_u32 v17, v17, 23, 0x3c000000
	v_lshlrev_b32_sdwa v10, v10, v22 dst_sel:DWORD dst_unused:UNUSED_PAD src0_sel:DWORD src1_sel:BYTE_3
	v_and_b32_e32 v10, 0x80000000, v10
	v_or3_b32 v17, v21, v10, v17
.LBB370_2352:                           ;   in Loop: Header=BB370_1564 Depth=1
	s_or_b32 exec_lo, exec_lo, s20
.LBB370_2353:                           ;   in Loop: Header=BB370_1564 Depth=1
	s_or_b32 exec_lo, exec_lo, s19
.LBB370_2354:                           ;   in Loop: Header=BB370_1564 Depth=1
	s_or_b32 exec_lo, exec_lo, s18
	v_mul_f32_e32 v10, v71, v26
	v_mul_f32_e32 v1, v71, v1
	;; [unrolled: 1-line block ×3, first 2 shown]
	v_bfe_u32 v21, v10, 16, 1
	v_or_b32_e32 v22, 0x400000, v10
	v_cmp_u_f32_e64 s4, v10, v10
	v_add3_u32 v21, v21, v10, 0x7fff
	v_cndmask_b32_e64 v10, v21, v22, s4
	v_lshrrev_b32_e32 v10, 16, v10
	buffer_store_dword v10, off, s[0:3], s32 offset:552 ; 4-byte Folded Spill
	v_mul_f32_e32 v10, v71, v25
	v_bfe_u32 v21, v10, 16, 1
	v_or_b32_e32 v22, 0x400000, v10
	v_cmp_u_f32_e64 s4, v10, v10
	v_add3_u32 v21, v21, v10, 0x7fff
	v_cndmask_b32_e64 v10, v21, v22, s4
	v_lshrrev_b32_e32 v10, 16, v10
	buffer_store_dword v10, off, s[0:3], s32 offset:556 ; 4-byte Folded Spill
	v_mul_f32_e32 v10, v71, v13
	;; [unrolled: 8-line block ×3, first 2 shown]
	v_bfe_u32 v12, v10, 16, 1
	v_or_b32_e32 v13, 0x400000, v10
	v_cmp_u_f32_e64 s4, v10, v10
	v_add3_u32 v12, v12, v10, 0x7fff
	v_cndmask_b32_e64 v10, v12, v13, s4
	v_or_b32_e32 v12, 0x400000, v1
	v_cmp_u_f32_e64 s4, v1, v1
	v_lshrrev_b32_e32 v10, 16, v10
	buffer_store_dword v10, off, s[0:3], s32 offset:564 ; 4-byte Folded Spill
	v_bfe_u32 v10, v1, 16, 1
	v_add3_u32 v10, v10, v1, 0x7fff
	v_cndmask_b32_e64 v1, v10, v12, s4
	v_or_b32_e32 v10, 0x400000, v0
	v_cmp_u_f32_e64 s4, v0, v0
	v_lshrrev_b32_e32 v1, 16, v1
	buffer_store_dword v1, off, s[0:3], s32 offset:568 ; 4-byte Folded Spill
	v_bfe_u32 v1, v0, 16, 1
	v_add3_u32 v1, v1, v0, 0x7fff
	v_cndmask_b32_e64 v0, v1, v10, s4
	v_lshrrev_b32_e32 v0, 16, v0
	buffer_store_dword v0, off, s[0:3], s32 offset:576 ; 4-byte Folded Spill
	v_mul_f32_e32 v0, v71, v18
	v_bfe_u32 v1, v0, 16, 1
	v_or_b32_e32 v10, 0x400000, v0
	v_cmp_u_f32_e64 s4, v0, v0
	v_add3_u32 v1, v1, v0, 0x7fff
	v_cndmask_b32_e64 v0, v1, v10, s4
	v_lshrrev_b32_e32 v0, 16, v0
	buffer_store_dword v0, off, s[0:3], s32 offset:572 ; 4-byte Folded Spill
	v_mul_f32_e32 v0, v71, v17
	v_bfe_u32 v1, v0, 16, 1
	v_or_b32_e32 v10, 0x400000, v0
	v_cmp_u_f32_e64 s4, v0, v0
	v_add3_u32 v1, v1, v0, 0x7fff
	v_cndmask_b32_e64 v0, v1, v10, s4
	v_lshrrev_b32_e32 v0, 16, v0
	buffer_store_dword v0, off, s[0:3], s32 offset:580 ; 4-byte Folded Spill
	s_and_saveexec_b32 s18, vcc_lo
	s_cbranch_execz .LBB370_2356
; %bb.2355:                             ;   in Loop: Header=BB370_1564 Depth=1
	buffer_load_dword v0, off, s[0:3], s32 offset:576 ; 4-byte Folded Reload
	v_cmp_lt_i32_e64 s4, v91, v88
	s_waitcnt vmcnt(0)
	v_cndmask_b32_e64 v0, 0, v0, s4
	v_cmp_lt_i32_e64 s4, v111, v88
	buffer_store_dword v0, off, s[0:3], s32 offset:576 ; 4-byte Folded Spill
	buffer_load_dword v0, off, s[0:3], s32 offset:568 ; 4-byte Folded Reload
	s_waitcnt vmcnt(0)
	v_cndmask_b32_e64 v0, 0, v0, s4
	v_cmp_lt_i32_e64 s4, v110, v88
	buffer_store_dword v0, off, s[0:3], s32 offset:568 ; 4-byte Folded Spill
	buffer_load_dword v0, off, s[0:3], s32 offset:564 ; 4-byte Folded Reload
	;; [unrolled: 5-line block ×7, first 2 shown]
	s_waitcnt vmcnt(0)
	v_cndmask_b32_e64 v0, 0, v0, s4
	buffer_store_dword v0, off, s[0:3], s32 offset:580 ; 4-byte Folded Spill
.LBB370_2356:                           ;   in Loop: Header=BB370_1564 Depth=1
	s_or_b32 exec_lo, exec_lo, s18
	flat_load_dwordx2 v[21:22], v[19:20] offset:1024
	v_mov_b32_e32 v1, 0
	v_mov_b32_e32 v0, 0
	s_waitcnt vmcnt(0) lgkmcnt(0)
	v_cmp_ne_u16_sdwa s4, v21, v11 src0_sel:BYTE_0 src1_sel:DWORD
	s_and_saveexec_b32 s18, s4
	s_cbranch_execz .LBB370_2364
; %bb.2357:                             ;   in Loop: Header=BB370_1564 Depth=1
	v_cmp_ne_u16_sdwa s4, v21, v83 src0_sel:BYTE_0 src1_sel:DWORD
	v_bfrev_b32_e32 v0, 1
	s_and_saveexec_b32 s19, s4
	s_cbranch_execz .LBB370_2363
; %bb.2358:                             ;   in Loop: Header=BB370_1564 Depth=1
	v_and_b32_e32 v10, 0x7f, v21
	v_mov_b32_e32 v0, 0x7f800001
	s_mov_b32 s20, exec_lo
	v_cmpx_ne_u32_e32 0x7f, v10
	s_cbranch_execz .LBB370_2362
; %bb.2359:                             ;   in Loop: Header=BB370_1564 Depth=1
	v_mov_b32_e32 v24, v22
	v_lshrrev_b32_e32 v0, 3, v10
	v_mov_b32_e32 v23, v21
	s_mov_b32 s21, exec_lo
	v_cmpx_gt_u32_e32 8, v10
; %bb.2360:                             ;   in Loop: Header=BB370_1564 Depth=1
	v_and_b32_e32 v0, 7, v21
	v_ffbh_u32_e32 v0, v0
	v_min_u32_e32 v0, 32, v0
	v_subrev_nc_u32_e32 v10, 28, v0
	v_sub_nc_u32_e32 v0, 29, v0
	v_lshlrev_b64 v[23:24], v10, v[21:22]
; %bb.2361:                             ;   in Loop: Header=BB370_1564 Depth=1
	s_or_b32 exec_lo, exec_lo, s21
	v_lshlrev_b32_e32 v10, 20, v23
	v_lshlrev_b32_e32 v12, 24, v21
	v_lshl_add_u32 v0, v0, 23, 0x3c000000
	v_and_b32_e32 v10, 0x700000, v10
	v_and_b32_e32 v12, 0x80000000, v12
	v_or3_b32 v0, v10, v12, v0
.LBB370_2362:                           ;   in Loop: Header=BB370_1564 Depth=1
	s_or_b32 exec_lo, exec_lo, s20
.LBB370_2363:                           ;   in Loop: Header=BB370_1564 Depth=1
	s_or_b32 exec_lo, exec_lo, s19
.LBB370_2364:                           ;   in Loop: Header=BB370_1564 Depth=1
	s_or_b32 exec_lo, exec_lo, s18
	v_cmp_ne_u16_sdwa s4, v21, v11 src0_sel:BYTE_1 src1_sel:DWORD
	s_and_saveexec_b32 s18, s4
	s_cbranch_execz .LBB370_2372
; %bb.2365:                             ;   in Loop: Header=BB370_1564 Depth=1
	v_cmp_ne_u16_sdwa s4, v21, v83 src0_sel:BYTE_1 src1_sel:DWORD
	v_bfrev_b32_e32 v1, 1
	s_and_saveexec_b32 s19, s4
	s_cbranch_execz .LBB370_2371
; %bb.2366:                             ;   in Loop: Header=BB370_1564 Depth=1
	v_mov_b32_e32 v1, 0xffff
	s_mov_b32 s20, exec_lo
	v_and_b32_sdwa v10, v1, v21 dst_sel:DWORD dst_unused:UNUSED_PAD src0_sel:DWORD src1_sel:BYTE_1
	v_mov_b32_e32 v1, 0x7f800001
	v_and_b32_e32 v12, 0x7f, v10
	v_cmpx_ne_u32_e32 0x7f, v12
	s_cbranch_execz .LBB370_2370
; %bb.2367:                             ;   in Loop: Header=BB370_1564 Depth=1
	v_and_b32_e32 v10, 7, v10
	v_mov_b32_e32 v24, v11
	v_lshrrev_b32_e32 v1, 3, v12
	s_mov_b32 s21, exec_lo
	v_mov_b32_e32 v23, v10
	v_cmpx_gt_u32_e32 8, v12
; %bb.2368:                             ;   in Loop: Header=BB370_1564 Depth=1
	v_ffbh_u32_e32 v1, v10
	v_min_u32_e32 v1, 32, v1
	v_subrev_nc_u32_e32 v12, 28, v1
	v_sub_nc_u32_e32 v1, 29, v1
	v_lshlrev_b64 v[12:13], v12, v[10:11]
	v_and_b32_e32 v23, 7, v12
; %bb.2369:                             ;   in Loop: Header=BB370_1564 Depth=1
	s_or_b32 exec_lo, exec_lo, s21
	v_lshlrev_b32_e32 v10, 16, v21
	v_lshlrev_b32_e32 v12, 20, v23
	v_lshl_add_u32 v1, v1, 23, 0x3c000000
	v_and_b32_e32 v10, 0x80000000, v10
	v_or3_b32 v1, v12, v10, v1
.LBB370_2370:                           ;   in Loop: Header=BB370_1564 Depth=1
	s_or_b32 exec_lo, exec_lo, s20
.LBB370_2371:                           ;   in Loop: Header=BB370_1564 Depth=1
	s_or_b32 exec_lo, exec_lo, s19
.LBB370_2372:                           ;   in Loop: Header=BB370_1564 Depth=1
	s_or_b32 exec_lo, exec_lo, s18
	v_and_b32_sdwa v10, v21, v85 dst_sel:DWORD dst_unused:UNUSED_PAD src0_sel:WORD_1 src1_sel:DWORD
	v_mov_b32_e32 v13, 0
	v_mov_b32_e32 v12, 0
	s_mov_b32 s18, exec_lo
	v_cmpx_ne_u16_e32 0, v10
	s_cbranch_execz .LBB370_2380
; %bb.2373:                             ;   in Loop: Header=BB370_1564 Depth=1
	v_bfrev_b32_e32 v12, 1
	s_mov_b32 s19, exec_lo
	v_cmpx_ne_u16_e32 0x80, v10
	s_cbranch_execz .LBB370_2379
; %bb.2374:                             ;   in Loop: Header=BB370_1564 Depth=1
	v_bfe_u32 v17, v21, 16, 7
	v_mov_b32_e32 v12, 0x7f800001
	s_mov_b32 s20, exec_lo
	v_cmpx_ne_u32_e32 0x7f, v17
	s_cbranch_execz .LBB370_2378
; %bb.2375:                             ;   in Loop: Header=BB370_1564 Depth=1
	v_mov_b32_e32 v10, 7
	v_lshrrev_b32_e32 v12, 3, v17
	s_mov_b32 s21, exec_lo
	v_and_b32_sdwa v10, v21, v10 dst_sel:DWORD dst_unused:UNUSED_PAD src0_sel:WORD_1 src1_sel:DWORD
	v_mov_b32_e32 v24, v11
	v_mov_b32_e32 v23, v10
	v_cmpx_gt_u32_e32 8, v17
; %bb.2376:                             ;   in Loop: Header=BB370_1564 Depth=1
	v_ffbh_u32_e32 v12, v10
	v_min_u32_e32 v12, 32, v12
	v_subrev_nc_u32_e32 v17, 28, v12
	v_sub_nc_u32_e32 v12, 29, v12
	v_lshlrev_b64 v[17:18], v17, v[10:11]
	v_and_b32_e32 v23, 7, v17
; %bb.2377:                             ;   in Loop: Header=BB370_1564 Depth=1
	s_or_b32 exec_lo, exec_lo, s21
	v_mov_b32_e32 v10, 24
	v_lshlrev_b32_e32 v17, 20, v23
	v_lshl_add_u32 v12, v12, 23, 0x3c000000
	v_lshlrev_b32_sdwa v10, v10, v21 dst_sel:DWORD dst_unused:UNUSED_PAD src0_sel:DWORD src1_sel:WORD_1
	v_and_b32_e32 v10, 0x80000000, v10
	v_or3_b32 v12, v17, v10, v12
.LBB370_2378:                           ;   in Loop: Header=BB370_1564 Depth=1
	s_or_b32 exec_lo, exec_lo, s20
.LBB370_2379:                           ;   in Loop: Header=BB370_1564 Depth=1
	s_or_b32 exec_lo, exec_lo, s19
.LBB370_2380:                           ;   in Loop: Header=BB370_1564 Depth=1
	s_or_b32 exec_lo, exec_lo, s18
	s_mov_b32 s18, exec_lo
	v_cmpx_lt_u32_e32 0xffffff, v21
	s_cbranch_execz .LBB370_2388
; %bb.2381:                             ;   in Loop: Header=BB370_1564 Depth=1
	v_cmp_ne_u32_sdwa s4, v21, v83 src0_sel:BYTE_3 src1_sel:DWORD
	v_bfrev_b32_e32 v13, 1
	s_and_saveexec_b32 s19, s4
	s_cbranch_execz .LBB370_2387
; %bb.2382:                             ;   in Loop: Header=BB370_1564 Depth=1
	v_bfe_u32 v17, v21, 24, 7
	v_mov_b32_e32 v13, 0x7f800001
	s_mov_b32 s20, exec_lo
	v_cmpx_ne_u32_e32 0x7f, v17
	s_cbranch_execz .LBB370_2386
; %bb.2383:                             ;   in Loop: Header=BB370_1564 Depth=1
	v_mov_b32_e32 v10, 7
	v_lshrrev_b32_e32 v13, 3, v17
	s_mov_b32 s21, exec_lo
	v_and_b32_sdwa v10, v21, v10 dst_sel:DWORD dst_unused:UNUSED_PAD src0_sel:BYTE_3 src1_sel:DWORD
	v_mov_b32_e32 v24, v11
	v_mov_b32_e32 v23, v10
	v_cmpx_gt_u32_e32 8, v17
; %bb.2384:                             ;   in Loop: Header=BB370_1564 Depth=1
	v_ffbh_u32_e32 v13, v10
	v_min_u32_e32 v13, 32, v13
	v_subrev_nc_u32_e32 v17, 28, v13
	v_sub_nc_u32_e32 v13, 29, v13
	v_lshlrev_b64 v[17:18], v17, v[10:11]
	v_and_b32_e32 v23, 7, v17
; %bb.2385:                             ;   in Loop: Header=BB370_1564 Depth=1
	s_or_b32 exec_lo, exec_lo, s21
	v_mov_b32_e32 v10, 24
	v_lshlrev_b32_e32 v17, 20, v23
	v_lshl_add_u32 v13, v13, 23, 0x3c000000
	v_lshlrev_b32_sdwa v10, v10, v21 dst_sel:DWORD dst_unused:UNUSED_PAD src0_sel:DWORD src1_sel:BYTE_3
	v_and_b32_e32 v10, 0x80000000, v10
	v_or3_b32 v13, v17, v10, v13
.LBB370_2386:                           ;   in Loop: Header=BB370_1564 Depth=1
	s_or_b32 exec_lo, exec_lo, s20
.LBB370_2387:                           ;   in Loop: Header=BB370_1564 Depth=1
	s_or_b32 exec_lo, exec_lo, s19
.LBB370_2388:                           ;   in Loop: Header=BB370_1564 Depth=1
	s_or_b32 exec_lo, exec_lo, s18
	v_mov_b32_e32 v10, v22
	v_cmp_ne_u16_sdwa s4, v22, v11 src0_sel:BYTE_0 src1_sel:DWORD
	v_mov_b32_e32 v26, 0
	v_mov_b32_e32 v25, 0
	s_and_saveexec_b32 s18, s4
	s_cbranch_execz .LBB370_2396
; %bb.2389:                             ;   in Loop: Header=BB370_1564 Depth=1
	v_cmp_ne_u16_sdwa s4, v22, v83 src0_sel:BYTE_0 src1_sel:DWORD
	v_bfrev_b32_e32 v25, 1
	s_and_saveexec_b32 s19, s4
	s_cbranch_execz .LBB370_2395
; %bb.2390:                             ;   in Loop: Header=BB370_1564 Depth=1
	v_and_b32_e32 v18, 0x7f, v22
	v_mov_b32_e32 v25, 0x7f800001
	s_mov_b32 s20, exec_lo
	v_cmpx_ne_u32_e32 0x7f, v18
	s_cbranch_execz .LBB370_2394
; %bb.2391:                             ;   in Loop: Header=BB370_1564 Depth=1
	v_mov_b32_e32 v24, v11
	v_lshrrev_b32_e32 v17, 3, v18
	v_mov_b32_e32 v23, v10
	s_mov_b32 s21, exec_lo
	v_cmpx_gt_u32_e32 8, v18
; %bb.2392:                             ;   in Loop: Header=BB370_1564 Depth=1
	v_and_b32_e32 v17, 7, v22
	v_ffbh_u32_e32 v17, v17
	v_min_u32_e32 v17, 32, v17
	v_subrev_nc_u32_e32 v18, 28, v17
	v_sub_nc_u32_e32 v17, 29, v17
	v_lshlrev_b64 v[23:24], v18, v[10:11]
; %bb.2393:                             ;   in Loop: Header=BB370_1564 Depth=1
	s_or_b32 exec_lo, exec_lo, s21
	v_lshlrev_b32_e32 v18, 20, v23
	v_lshlrev_b32_e32 v23, 24, v10
	v_lshl_add_u32 v17, v17, 23, 0x3c000000
	v_and_b32_e32 v18, 0x700000, v18
	v_and_b32_e32 v23, 0x80000000, v23
	v_or3_b32 v25, v18, v23, v17
.LBB370_2394:                           ;   in Loop: Header=BB370_1564 Depth=1
	s_or_b32 exec_lo, exec_lo, s20
.LBB370_2395:                           ;   in Loop: Header=BB370_1564 Depth=1
	s_or_b32 exec_lo, exec_lo, s19
.LBB370_2396:                           ;   in Loop: Header=BB370_1564 Depth=1
	s_or_b32 exec_lo, exec_lo, s18
	v_cmp_ne_u16_sdwa s4, v10, v11 src0_sel:BYTE_1 src1_sel:DWORD
	s_and_saveexec_b32 s18, s4
	s_cbranch_execz .LBB370_2404
; %bb.2397:                             ;   in Loop: Header=BB370_1564 Depth=1
	v_cmp_ne_u16_sdwa s4, v10, v83 src0_sel:BYTE_1 src1_sel:DWORD
	v_bfrev_b32_e32 v26, 1
	s_and_saveexec_b32 s19, s4
	s_cbranch_execz .LBB370_2403
; %bb.2398:                             ;   in Loop: Header=BB370_1564 Depth=1
	v_mov_b32_e32 v17, 0xffff
	v_mov_b32_e32 v26, 0x7f800001
	s_mov_b32 s20, exec_lo
	v_and_b32_sdwa v17, v17, v10 dst_sel:DWORD dst_unused:UNUSED_PAD src0_sel:DWORD src1_sel:BYTE_1
	v_and_b32_e32 v18, 0x7f, v17
	v_cmpx_ne_u32_e32 0x7f, v18
	s_cbranch_execz .LBB370_2402
; %bb.2399:                             ;   in Loop: Header=BB370_1564 Depth=1
	v_and_b32_e32 v23, 7, v17
	v_mov_b32_e32 v24, v11
	v_lshrrev_b32_e32 v17, 3, v18
	s_mov_b32 s21, exec_lo
	v_cmpx_gt_u32_e32 8, v18
; %bb.2400:                             ;   in Loop: Header=BB370_1564 Depth=1
	v_ffbh_u32_e32 v17, v23
	v_min_u32_e32 v17, 32, v17
	v_subrev_nc_u32_e32 v18, 28, v17
	v_sub_nc_u32_e32 v17, 29, v17
	v_lshlrev_b64 v[23:24], v18, v[23:24]
	v_and_b32_e32 v23, 7, v23
; %bb.2401:                             ;   in Loop: Header=BB370_1564 Depth=1
	s_or_b32 exec_lo, exec_lo, s21
	v_lshlrev_b32_e32 v10, 16, v10
	v_lshlrev_b32_e32 v18, 20, v23
	v_lshl_add_u32 v17, v17, 23, 0x3c000000
	v_and_b32_e32 v10, 0x80000000, v10
	v_or3_b32 v26, v18, v10, v17
.LBB370_2402:                           ;   in Loop: Header=BB370_1564 Depth=1
	s_or_b32 exec_lo, exec_lo, s20
.LBB370_2403:                           ;   in Loop: Header=BB370_1564 Depth=1
	s_or_b32 exec_lo, exec_lo, s19
.LBB370_2404:                           ;   in Loop: Header=BB370_1564 Depth=1
	s_or_b32 exec_lo, exec_lo, s18
	v_and_b32_sdwa v10, v22, v85 dst_sel:DWORD dst_unused:UNUSED_PAD src0_sel:WORD_1 src1_sel:DWORD
	v_mov_b32_e32 v17, 0
	v_mov_b32_e32 v18, 0
	s_mov_b32 s18, exec_lo
	v_cmpx_ne_u16_e32 0, v10
	s_cbranch_execz .LBB370_2412
; %bb.2405:                             ;   in Loop: Header=BB370_1564 Depth=1
	v_bfrev_b32_e32 v18, 1
	s_mov_b32 s19, exec_lo
	v_cmpx_ne_u16_e32 0x80, v10
	s_cbranch_execz .LBB370_2411
; %bb.2406:                             ;   in Loop: Header=BB370_1564 Depth=1
	v_bfe_u32 v23, v22, 16, 7
	v_mov_b32_e32 v18, 0x7f800001
	s_mov_b32 s20, exec_lo
	v_cmpx_ne_u32_e32 0x7f, v23
	s_cbranch_execz .LBB370_2410
; %bb.2407:                             ;   in Loop: Header=BB370_1564 Depth=1
	v_mov_b32_e32 v10, 7
	v_lshrrev_b32_e32 v18, 3, v23
	v_cmp_gt_u32_e64 s4, 8, v23
	v_and_b32_sdwa v10, v22, v10 dst_sel:DWORD dst_unused:UNUSED_PAD src0_sel:WORD_1 src1_sel:DWORD
	v_mov_b32_e32 v24, v11
	v_mov_b32_e32 v23, v10
	s_and_saveexec_b32 s21, s4
; %bb.2408:                             ;   in Loop: Header=BB370_1564 Depth=1
	v_ffbh_u32_e32 v18, v10
	v_min_u32_e32 v18, 32, v18
	v_subrev_nc_u32_e32 v23, 28, v18
	v_sub_nc_u32_e32 v18, 29, v18
	v_lshlrev_b64 v[23:24], v23, v[10:11]
	v_and_b32_e32 v23, 7, v23
; %bb.2409:                             ;   in Loop: Header=BB370_1564 Depth=1
	s_or_b32 exec_lo, exec_lo, s21
	v_mov_b32_e32 v10, 24
	v_lshlrev_b32_e32 v23, 20, v23
	v_lshl_add_u32 v18, v18, 23, 0x3c000000
	v_lshlrev_b32_sdwa v10, v10, v22 dst_sel:DWORD dst_unused:UNUSED_PAD src0_sel:DWORD src1_sel:WORD_1
	v_and_b32_e32 v10, 0x80000000, v10
	v_or3_b32 v18, v23, v10, v18
.LBB370_2410:                           ;   in Loop: Header=BB370_1564 Depth=1
	s_or_b32 exec_lo, exec_lo, s20
.LBB370_2411:                           ;   in Loop: Header=BB370_1564 Depth=1
	s_or_b32 exec_lo, exec_lo, s19
.LBB370_2412:                           ;   in Loop: Header=BB370_1564 Depth=1
	s_or_b32 exec_lo, exec_lo, s18
	s_mov_b32 s18, exec_lo
	v_cmpx_lt_u64_e64 s[6:7], v[21:22]
	s_cbranch_execz .LBB370_2420
; %bb.2413:                             ;   in Loop: Header=BB370_1564 Depth=1
	v_cmp_ne_u32_sdwa s4, v22, v83 src0_sel:BYTE_3 src1_sel:DWORD
	v_bfrev_b32_e32 v17, 1
	s_and_saveexec_b32 s19, s4
	s_cbranch_execz .LBB370_2419
; %bb.2414:                             ;   in Loop: Header=BB370_1564 Depth=1
	v_bfe_u32 v21, v22, 24, 7
	v_mov_b32_e32 v17, 0x7f800001
	s_mov_b32 s20, exec_lo
	v_cmpx_ne_u32_e32 0x7f, v21
	s_cbranch_execz .LBB370_2418
; %bb.2415:                             ;   in Loop: Header=BB370_1564 Depth=1
	v_mov_b32_e32 v10, 7
	v_lshrrev_b32_e32 v17, 3, v21
	s_mov_b32 s21, exec_lo
	v_and_b32_sdwa v10, v22, v10 dst_sel:DWORD dst_unused:UNUSED_PAD src0_sel:BYTE_3 src1_sel:DWORD
	v_mov_b32_e32 v24, v11
	v_mov_b32_e32 v23, v10
	v_cmpx_gt_u32_e32 8, v21
; %bb.2416:                             ;   in Loop: Header=BB370_1564 Depth=1
	v_ffbh_u32_e32 v17, v10
	v_min_u32_e32 v17, 32, v17
	v_subrev_nc_u32_e32 v21, 28, v17
	v_sub_nc_u32_e32 v17, 29, v17
	v_lshlrev_b64 v[23:24], v21, v[10:11]
	v_and_b32_e32 v23, 7, v23
; %bb.2417:                             ;   in Loop: Header=BB370_1564 Depth=1
	s_or_b32 exec_lo, exec_lo, s21
	v_mov_b32_e32 v10, 24
	v_lshlrev_b32_e32 v21, 20, v23
	v_lshl_add_u32 v17, v17, 23, 0x3c000000
	v_lshlrev_b32_sdwa v10, v10, v22 dst_sel:DWORD dst_unused:UNUSED_PAD src0_sel:DWORD src1_sel:BYTE_3
	v_and_b32_e32 v10, 0x80000000, v10
	v_or3_b32 v17, v21, v10, v17
.LBB370_2418:                           ;   in Loop: Header=BB370_1564 Depth=1
	s_or_b32 exec_lo, exec_lo, s20
.LBB370_2419:                           ;   in Loop: Header=BB370_1564 Depth=1
	s_or_b32 exec_lo, exec_lo, s19
.LBB370_2420:                           ;   in Loop: Header=BB370_1564 Depth=1
	s_or_b32 exec_lo, exec_lo, s18
	v_mul_f32_e32 v10, v71, v26
	v_mul_f32_e32 v1, v71, v1
	;; [unrolled: 1-line block ×3, first 2 shown]
	v_bfe_u32 v21, v10, 16, 1
	v_or_b32_e32 v22, 0x400000, v10
	v_cmp_u_f32_e64 s4, v10, v10
	v_add3_u32 v21, v21, v10, 0x7fff
	v_cndmask_b32_e64 v10, v21, v22, s4
	v_lshrrev_b32_e32 v58, 16, v10
	v_mul_f32_e32 v10, v71, v25
	v_bfe_u32 v21, v10, 16, 1
	v_or_b32_e32 v22, 0x400000, v10
	v_cmp_u_f32_e64 s4, v10, v10
	v_add3_u32 v21, v21, v10, 0x7fff
	v_cndmask_b32_e64 v10, v21, v22, s4
	v_lshrrev_b32_e32 v59, 16, v10
	v_mul_f32_e32 v10, v71, v13
	;; [unrolled: 7-line block ×3, first 2 shown]
	v_bfe_u32 v12, v10, 16, 1
	v_or_b32_e32 v13, 0x400000, v10
	v_cmp_u_f32_e64 s4, v10, v10
	v_add3_u32 v12, v12, v10, 0x7fff
	v_cndmask_b32_e64 v10, v12, v13, s4
	v_or_b32_e32 v12, 0x400000, v1
	v_cmp_u_f32_e64 s4, v1, v1
	v_lshrrev_b32_e32 v61, 16, v10
	v_bfe_u32 v10, v1, 16, 1
	v_add3_u32 v10, v10, v1, 0x7fff
	v_cndmask_b32_e64 v1, v10, v12, s4
	v_or_b32_e32 v10, 0x400000, v0
	v_cmp_u_f32_e64 s4, v0, v0
	v_lshrrev_b32_e32 v62, 16, v1
	v_bfe_u32 v1, v0, 16, 1
	v_add3_u32 v1, v1, v0, 0x7fff
	v_cndmask_b32_e64 v0, v1, v10, s4
	v_lshrrev_b32_e32 v72, 16, v0
	v_mul_f32_e32 v0, v71, v18
	v_bfe_u32 v1, v0, 16, 1
	v_or_b32_e32 v10, 0x400000, v0
	v_cmp_u_f32_e64 s4, v0, v0
	v_add3_u32 v1, v1, v0, 0x7fff
	v_cndmask_b32_e64 v0, v1, v10, s4
	v_lshrrev_b32_e32 v63, 16, v0
	v_mul_f32_e32 v0, v71, v17
	v_bfe_u32 v1, v0, 16, 1
	v_or_b32_e32 v10, 0x400000, v0
	v_cmp_u_f32_e64 s4, v0, v0
	v_add3_u32 v1, v1, v0, 0x7fff
	v_cndmask_b32_e64 v0, v1, v10, s4
	v_lshrrev_b32_e32 v73, 16, v0
	s_and_saveexec_b32 s18, vcc_lo
	s_cbranch_execz .LBB370_2422
; %bb.2421:                             ;   in Loop: Header=BB370_1564 Depth=1
	v_cmp_lt_i32_e64 s4, v91, v88
	v_cndmask_b32_e64 v72, 0, v72, s4
	v_cmp_lt_i32_e64 s4, v111, v88
	v_cndmask_b32_e64 v62, 0, v62, s4
	;; [unrolled: 2-line block ×8, first 2 shown]
.LBB370_2422:                           ;   in Loop: Header=BB370_1564 Depth=1
	s_or_b32 exec_lo, exec_lo, s18
	flat_load_dwordx2 v[21:22], v[19:20] offset:1280
	v_mov_b32_e32 v1, 0
	v_mov_b32_e32 v0, 0
	s_waitcnt vmcnt(0) lgkmcnt(0)
	v_cmp_ne_u16_sdwa s4, v21, v11 src0_sel:BYTE_0 src1_sel:DWORD
	s_and_saveexec_b32 s18, s4
	s_cbranch_execz .LBB370_2430
; %bb.2423:                             ;   in Loop: Header=BB370_1564 Depth=1
	v_cmp_ne_u16_sdwa s4, v21, v83 src0_sel:BYTE_0 src1_sel:DWORD
	v_bfrev_b32_e32 v0, 1
	s_and_saveexec_b32 s19, s4
	s_cbranch_execz .LBB370_2429
; %bb.2424:                             ;   in Loop: Header=BB370_1564 Depth=1
	v_and_b32_e32 v10, 0x7f, v21
	v_mov_b32_e32 v0, 0x7f800001
	s_mov_b32 s20, exec_lo
	v_cmpx_ne_u32_e32 0x7f, v10
	s_cbranch_execz .LBB370_2428
; %bb.2425:                             ;   in Loop: Header=BB370_1564 Depth=1
	v_mov_b32_e32 v24, v22
	v_lshrrev_b32_e32 v0, 3, v10
	v_mov_b32_e32 v23, v21
	s_mov_b32 s21, exec_lo
	v_cmpx_gt_u32_e32 8, v10
; %bb.2426:                             ;   in Loop: Header=BB370_1564 Depth=1
	v_and_b32_e32 v0, 7, v21
	v_ffbh_u32_e32 v0, v0
	v_min_u32_e32 v0, 32, v0
	v_subrev_nc_u32_e32 v10, 28, v0
	v_sub_nc_u32_e32 v0, 29, v0
	v_lshlrev_b64 v[23:24], v10, v[21:22]
; %bb.2427:                             ;   in Loop: Header=BB370_1564 Depth=1
	s_or_b32 exec_lo, exec_lo, s21
	v_lshlrev_b32_e32 v10, 20, v23
	v_lshlrev_b32_e32 v12, 24, v21
	v_lshl_add_u32 v0, v0, 23, 0x3c000000
	v_and_b32_e32 v10, 0x700000, v10
	v_and_b32_e32 v12, 0x80000000, v12
	v_or3_b32 v0, v10, v12, v0
.LBB370_2428:                           ;   in Loop: Header=BB370_1564 Depth=1
	s_or_b32 exec_lo, exec_lo, s20
.LBB370_2429:                           ;   in Loop: Header=BB370_1564 Depth=1
	s_or_b32 exec_lo, exec_lo, s19
.LBB370_2430:                           ;   in Loop: Header=BB370_1564 Depth=1
	s_or_b32 exec_lo, exec_lo, s18
	v_cmp_ne_u16_sdwa s4, v21, v11 src0_sel:BYTE_1 src1_sel:DWORD
	s_and_saveexec_b32 s18, s4
	s_cbranch_execz .LBB370_2438
; %bb.2431:                             ;   in Loop: Header=BB370_1564 Depth=1
	v_cmp_ne_u16_sdwa s4, v21, v83 src0_sel:BYTE_1 src1_sel:DWORD
	v_bfrev_b32_e32 v1, 1
	s_and_saveexec_b32 s19, s4
	s_cbranch_execz .LBB370_2437
; %bb.2432:                             ;   in Loop: Header=BB370_1564 Depth=1
	v_mov_b32_e32 v1, 0xffff
	s_mov_b32 s20, exec_lo
	v_and_b32_sdwa v10, v1, v21 dst_sel:DWORD dst_unused:UNUSED_PAD src0_sel:DWORD src1_sel:BYTE_1
	v_mov_b32_e32 v1, 0x7f800001
	v_and_b32_e32 v12, 0x7f, v10
	v_cmpx_ne_u32_e32 0x7f, v12
	s_cbranch_execz .LBB370_2436
; %bb.2433:                             ;   in Loop: Header=BB370_1564 Depth=1
	v_and_b32_e32 v10, 7, v10
	v_mov_b32_e32 v24, v11
	v_lshrrev_b32_e32 v1, 3, v12
	s_mov_b32 s21, exec_lo
	v_mov_b32_e32 v23, v10
	v_cmpx_gt_u32_e32 8, v12
; %bb.2434:                             ;   in Loop: Header=BB370_1564 Depth=1
	v_ffbh_u32_e32 v1, v10
	v_min_u32_e32 v1, 32, v1
	v_subrev_nc_u32_e32 v12, 28, v1
	v_sub_nc_u32_e32 v1, 29, v1
	v_lshlrev_b64 v[12:13], v12, v[10:11]
	v_and_b32_e32 v23, 7, v12
; %bb.2435:                             ;   in Loop: Header=BB370_1564 Depth=1
	s_or_b32 exec_lo, exec_lo, s21
	v_lshlrev_b32_e32 v10, 16, v21
	v_lshlrev_b32_e32 v12, 20, v23
	v_lshl_add_u32 v1, v1, 23, 0x3c000000
	v_and_b32_e32 v10, 0x80000000, v10
	v_or3_b32 v1, v12, v10, v1
.LBB370_2436:                           ;   in Loop: Header=BB370_1564 Depth=1
	s_or_b32 exec_lo, exec_lo, s20
.LBB370_2437:                           ;   in Loop: Header=BB370_1564 Depth=1
	s_or_b32 exec_lo, exec_lo, s19
.LBB370_2438:                           ;   in Loop: Header=BB370_1564 Depth=1
	s_or_b32 exec_lo, exec_lo, s18
	v_and_b32_sdwa v10, v21, v85 dst_sel:DWORD dst_unused:UNUSED_PAD src0_sel:WORD_1 src1_sel:DWORD
	v_mov_b32_e32 v13, 0
	v_mov_b32_e32 v12, 0
	s_mov_b32 s18, exec_lo
	v_cmpx_ne_u16_e32 0, v10
	s_cbranch_execz .LBB370_2446
; %bb.2439:                             ;   in Loop: Header=BB370_1564 Depth=1
	v_bfrev_b32_e32 v12, 1
	s_mov_b32 s19, exec_lo
	v_cmpx_ne_u16_e32 0x80, v10
	s_cbranch_execz .LBB370_2445
; %bb.2440:                             ;   in Loop: Header=BB370_1564 Depth=1
	v_bfe_u32 v17, v21, 16, 7
	v_mov_b32_e32 v12, 0x7f800001
	s_mov_b32 s20, exec_lo
	v_cmpx_ne_u32_e32 0x7f, v17
	s_cbranch_execz .LBB370_2444
; %bb.2441:                             ;   in Loop: Header=BB370_1564 Depth=1
	v_mov_b32_e32 v10, 7
	v_lshrrev_b32_e32 v12, 3, v17
	s_mov_b32 s21, exec_lo
	v_and_b32_sdwa v10, v21, v10 dst_sel:DWORD dst_unused:UNUSED_PAD src0_sel:WORD_1 src1_sel:DWORD
	v_mov_b32_e32 v24, v11
	v_mov_b32_e32 v23, v10
	v_cmpx_gt_u32_e32 8, v17
; %bb.2442:                             ;   in Loop: Header=BB370_1564 Depth=1
	v_ffbh_u32_e32 v12, v10
	v_min_u32_e32 v12, 32, v12
	v_subrev_nc_u32_e32 v17, 28, v12
	v_sub_nc_u32_e32 v12, 29, v12
	v_lshlrev_b64 v[17:18], v17, v[10:11]
	v_and_b32_e32 v23, 7, v17
; %bb.2443:                             ;   in Loop: Header=BB370_1564 Depth=1
	s_or_b32 exec_lo, exec_lo, s21
	v_mov_b32_e32 v10, 24
	v_lshlrev_b32_e32 v17, 20, v23
	v_lshl_add_u32 v12, v12, 23, 0x3c000000
	v_lshlrev_b32_sdwa v10, v10, v21 dst_sel:DWORD dst_unused:UNUSED_PAD src0_sel:DWORD src1_sel:WORD_1
	v_and_b32_e32 v10, 0x80000000, v10
	v_or3_b32 v12, v17, v10, v12
.LBB370_2444:                           ;   in Loop: Header=BB370_1564 Depth=1
	s_or_b32 exec_lo, exec_lo, s20
.LBB370_2445:                           ;   in Loop: Header=BB370_1564 Depth=1
	s_or_b32 exec_lo, exec_lo, s19
.LBB370_2446:                           ;   in Loop: Header=BB370_1564 Depth=1
	s_or_b32 exec_lo, exec_lo, s18
	s_mov_b32 s18, exec_lo
	v_cmpx_lt_u32_e32 0xffffff, v21
	s_cbranch_execz .LBB370_2454
; %bb.2447:                             ;   in Loop: Header=BB370_1564 Depth=1
	v_cmp_ne_u32_sdwa s4, v21, v83 src0_sel:BYTE_3 src1_sel:DWORD
	v_bfrev_b32_e32 v13, 1
	s_and_saveexec_b32 s19, s4
	s_cbranch_execz .LBB370_2453
; %bb.2448:                             ;   in Loop: Header=BB370_1564 Depth=1
	v_bfe_u32 v17, v21, 24, 7
	v_mov_b32_e32 v13, 0x7f800001
	s_mov_b32 s20, exec_lo
	v_cmpx_ne_u32_e32 0x7f, v17
	s_cbranch_execz .LBB370_2452
; %bb.2449:                             ;   in Loop: Header=BB370_1564 Depth=1
	v_mov_b32_e32 v10, 7
	v_lshrrev_b32_e32 v13, 3, v17
	s_mov_b32 s21, exec_lo
	v_and_b32_sdwa v10, v21, v10 dst_sel:DWORD dst_unused:UNUSED_PAD src0_sel:BYTE_3 src1_sel:DWORD
	v_mov_b32_e32 v24, v11
	v_mov_b32_e32 v23, v10
	v_cmpx_gt_u32_e32 8, v17
; %bb.2450:                             ;   in Loop: Header=BB370_1564 Depth=1
	v_ffbh_u32_e32 v13, v10
	v_min_u32_e32 v13, 32, v13
	v_subrev_nc_u32_e32 v17, 28, v13
	v_sub_nc_u32_e32 v13, 29, v13
	v_lshlrev_b64 v[17:18], v17, v[10:11]
	v_and_b32_e32 v23, 7, v17
; %bb.2451:                             ;   in Loop: Header=BB370_1564 Depth=1
	s_or_b32 exec_lo, exec_lo, s21
	v_mov_b32_e32 v10, 24
	v_lshlrev_b32_e32 v17, 20, v23
	v_lshl_add_u32 v13, v13, 23, 0x3c000000
	v_lshlrev_b32_sdwa v10, v10, v21 dst_sel:DWORD dst_unused:UNUSED_PAD src0_sel:DWORD src1_sel:BYTE_3
	v_and_b32_e32 v10, 0x80000000, v10
	v_or3_b32 v13, v17, v10, v13
.LBB370_2452:                           ;   in Loop: Header=BB370_1564 Depth=1
	s_or_b32 exec_lo, exec_lo, s20
.LBB370_2453:                           ;   in Loop: Header=BB370_1564 Depth=1
	s_or_b32 exec_lo, exec_lo, s19
.LBB370_2454:                           ;   in Loop: Header=BB370_1564 Depth=1
	s_or_b32 exec_lo, exec_lo, s18
	v_mov_b32_e32 v10, v22
	v_cmp_ne_u16_sdwa s4, v22, v11 src0_sel:BYTE_0 src1_sel:DWORD
	v_mov_b32_e32 v26, 0
	v_mov_b32_e32 v25, 0
	s_and_saveexec_b32 s18, s4
	s_cbranch_execz .LBB370_2462
; %bb.2455:                             ;   in Loop: Header=BB370_1564 Depth=1
	v_cmp_ne_u16_sdwa s4, v22, v83 src0_sel:BYTE_0 src1_sel:DWORD
	v_bfrev_b32_e32 v25, 1
	s_and_saveexec_b32 s19, s4
	s_cbranch_execz .LBB370_2461
; %bb.2456:                             ;   in Loop: Header=BB370_1564 Depth=1
	v_and_b32_e32 v18, 0x7f, v22
	v_mov_b32_e32 v25, 0x7f800001
	s_mov_b32 s20, exec_lo
	v_cmpx_ne_u32_e32 0x7f, v18
	s_cbranch_execz .LBB370_2460
; %bb.2457:                             ;   in Loop: Header=BB370_1564 Depth=1
	v_mov_b32_e32 v24, v11
	v_lshrrev_b32_e32 v17, 3, v18
	v_mov_b32_e32 v23, v10
	s_mov_b32 s21, exec_lo
	v_cmpx_gt_u32_e32 8, v18
; %bb.2458:                             ;   in Loop: Header=BB370_1564 Depth=1
	v_and_b32_e32 v17, 7, v22
	v_ffbh_u32_e32 v17, v17
	v_min_u32_e32 v17, 32, v17
	v_subrev_nc_u32_e32 v18, 28, v17
	v_sub_nc_u32_e32 v17, 29, v17
	v_lshlrev_b64 v[23:24], v18, v[10:11]
; %bb.2459:                             ;   in Loop: Header=BB370_1564 Depth=1
	s_or_b32 exec_lo, exec_lo, s21
	v_lshlrev_b32_e32 v18, 20, v23
	v_lshlrev_b32_e32 v23, 24, v10
	v_lshl_add_u32 v17, v17, 23, 0x3c000000
	v_and_b32_e32 v18, 0x700000, v18
	v_and_b32_e32 v23, 0x80000000, v23
	v_or3_b32 v25, v18, v23, v17
.LBB370_2460:                           ;   in Loop: Header=BB370_1564 Depth=1
	s_or_b32 exec_lo, exec_lo, s20
.LBB370_2461:                           ;   in Loop: Header=BB370_1564 Depth=1
	s_or_b32 exec_lo, exec_lo, s19
.LBB370_2462:                           ;   in Loop: Header=BB370_1564 Depth=1
	s_or_b32 exec_lo, exec_lo, s18
	v_cmp_ne_u16_sdwa s4, v10, v11 src0_sel:BYTE_1 src1_sel:DWORD
	s_and_saveexec_b32 s18, s4
	s_cbranch_execz .LBB370_2470
; %bb.2463:                             ;   in Loop: Header=BB370_1564 Depth=1
	v_cmp_ne_u16_sdwa s4, v10, v83 src0_sel:BYTE_1 src1_sel:DWORD
	v_bfrev_b32_e32 v26, 1
	s_and_saveexec_b32 s19, s4
	s_cbranch_execz .LBB370_2469
; %bb.2464:                             ;   in Loop: Header=BB370_1564 Depth=1
	v_mov_b32_e32 v17, 0xffff
	v_mov_b32_e32 v26, 0x7f800001
	s_mov_b32 s20, exec_lo
	v_and_b32_sdwa v17, v17, v10 dst_sel:DWORD dst_unused:UNUSED_PAD src0_sel:DWORD src1_sel:BYTE_1
	v_and_b32_e32 v18, 0x7f, v17
	v_cmpx_ne_u32_e32 0x7f, v18
	s_cbranch_execz .LBB370_2468
; %bb.2465:                             ;   in Loop: Header=BB370_1564 Depth=1
	v_and_b32_e32 v23, 7, v17
	v_mov_b32_e32 v24, v11
	v_lshrrev_b32_e32 v17, 3, v18
	s_mov_b32 s21, exec_lo
	v_cmpx_gt_u32_e32 8, v18
; %bb.2466:                             ;   in Loop: Header=BB370_1564 Depth=1
	v_ffbh_u32_e32 v17, v23
	v_min_u32_e32 v17, 32, v17
	v_subrev_nc_u32_e32 v18, 28, v17
	v_sub_nc_u32_e32 v17, 29, v17
	v_lshlrev_b64 v[23:24], v18, v[23:24]
	v_and_b32_e32 v23, 7, v23
; %bb.2467:                             ;   in Loop: Header=BB370_1564 Depth=1
	s_or_b32 exec_lo, exec_lo, s21
	v_lshlrev_b32_e32 v10, 16, v10
	v_lshlrev_b32_e32 v18, 20, v23
	v_lshl_add_u32 v17, v17, 23, 0x3c000000
	v_and_b32_e32 v10, 0x80000000, v10
	v_or3_b32 v26, v18, v10, v17
.LBB370_2468:                           ;   in Loop: Header=BB370_1564 Depth=1
	s_or_b32 exec_lo, exec_lo, s20
.LBB370_2469:                           ;   in Loop: Header=BB370_1564 Depth=1
	s_or_b32 exec_lo, exec_lo, s19
.LBB370_2470:                           ;   in Loop: Header=BB370_1564 Depth=1
	s_or_b32 exec_lo, exec_lo, s18
	v_and_b32_sdwa v10, v22, v85 dst_sel:DWORD dst_unused:UNUSED_PAD src0_sel:WORD_1 src1_sel:DWORD
	v_mov_b32_e32 v17, 0
	v_mov_b32_e32 v18, 0
	s_mov_b32 s18, exec_lo
	v_cmpx_ne_u16_e32 0, v10
	s_cbranch_execz .LBB370_2478
; %bb.2471:                             ;   in Loop: Header=BB370_1564 Depth=1
	v_bfrev_b32_e32 v18, 1
	s_mov_b32 s19, exec_lo
	v_cmpx_ne_u16_e32 0x80, v10
	s_cbranch_execz .LBB370_2477
; %bb.2472:                             ;   in Loop: Header=BB370_1564 Depth=1
	v_bfe_u32 v23, v22, 16, 7
	v_mov_b32_e32 v18, 0x7f800001
	s_mov_b32 s20, exec_lo
	v_cmpx_ne_u32_e32 0x7f, v23
	s_cbranch_execz .LBB370_2476
; %bb.2473:                             ;   in Loop: Header=BB370_1564 Depth=1
	v_mov_b32_e32 v10, 7
	v_lshrrev_b32_e32 v18, 3, v23
	v_cmp_gt_u32_e64 s4, 8, v23
	v_and_b32_sdwa v10, v22, v10 dst_sel:DWORD dst_unused:UNUSED_PAD src0_sel:WORD_1 src1_sel:DWORD
	v_mov_b32_e32 v24, v11
	v_mov_b32_e32 v23, v10
	s_and_saveexec_b32 s21, s4
; %bb.2474:                             ;   in Loop: Header=BB370_1564 Depth=1
	v_ffbh_u32_e32 v18, v10
	v_min_u32_e32 v18, 32, v18
	v_subrev_nc_u32_e32 v23, 28, v18
	v_sub_nc_u32_e32 v18, 29, v18
	v_lshlrev_b64 v[23:24], v23, v[10:11]
	v_and_b32_e32 v23, 7, v23
; %bb.2475:                             ;   in Loop: Header=BB370_1564 Depth=1
	s_or_b32 exec_lo, exec_lo, s21
	v_mov_b32_e32 v10, 24
	v_lshlrev_b32_e32 v23, 20, v23
	v_lshl_add_u32 v18, v18, 23, 0x3c000000
	v_lshlrev_b32_sdwa v10, v10, v22 dst_sel:DWORD dst_unused:UNUSED_PAD src0_sel:DWORD src1_sel:WORD_1
	v_and_b32_e32 v10, 0x80000000, v10
	v_or3_b32 v18, v23, v10, v18
.LBB370_2476:                           ;   in Loop: Header=BB370_1564 Depth=1
	s_or_b32 exec_lo, exec_lo, s20
.LBB370_2477:                           ;   in Loop: Header=BB370_1564 Depth=1
	s_or_b32 exec_lo, exec_lo, s19
.LBB370_2478:                           ;   in Loop: Header=BB370_1564 Depth=1
	s_or_b32 exec_lo, exec_lo, s18
	s_mov_b32 s18, exec_lo
	v_cmpx_lt_u64_e64 s[6:7], v[21:22]
	s_cbranch_execz .LBB370_2486
; %bb.2479:                             ;   in Loop: Header=BB370_1564 Depth=1
	v_cmp_ne_u32_sdwa s4, v22, v83 src0_sel:BYTE_3 src1_sel:DWORD
	v_bfrev_b32_e32 v17, 1
	s_and_saveexec_b32 s19, s4
	s_cbranch_execz .LBB370_2485
; %bb.2480:                             ;   in Loop: Header=BB370_1564 Depth=1
	v_bfe_u32 v21, v22, 24, 7
	v_mov_b32_e32 v17, 0x7f800001
	s_mov_b32 s20, exec_lo
	v_cmpx_ne_u32_e32 0x7f, v21
	s_cbranch_execz .LBB370_2484
; %bb.2481:                             ;   in Loop: Header=BB370_1564 Depth=1
	v_mov_b32_e32 v10, 7
	v_lshrrev_b32_e32 v17, 3, v21
	s_mov_b32 s21, exec_lo
	v_and_b32_sdwa v10, v22, v10 dst_sel:DWORD dst_unused:UNUSED_PAD src0_sel:BYTE_3 src1_sel:DWORD
	v_mov_b32_e32 v24, v11
	v_mov_b32_e32 v23, v10
	v_cmpx_gt_u32_e32 8, v21
; %bb.2482:                             ;   in Loop: Header=BB370_1564 Depth=1
	v_ffbh_u32_e32 v17, v10
	v_min_u32_e32 v17, 32, v17
	v_subrev_nc_u32_e32 v21, 28, v17
	v_sub_nc_u32_e32 v17, 29, v17
	v_lshlrev_b64 v[23:24], v21, v[10:11]
	v_and_b32_e32 v23, 7, v23
; %bb.2483:                             ;   in Loop: Header=BB370_1564 Depth=1
	s_or_b32 exec_lo, exec_lo, s21
	v_mov_b32_e32 v10, 24
	v_lshlrev_b32_e32 v21, 20, v23
	v_lshl_add_u32 v17, v17, 23, 0x3c000000
	v_lshlrev_b32_sdwa v10, v10, v22 dst_sel:DWORD dst_unused:UNUSED_PAD src0_sel:DWORD src1_sel:BYTE_3
	v_and_b32_e32 v10, 0x80000000, v10
	v_or3_b32 v17, v21, v10, v17
.LBB370_2484:                           ;   in Loop: Header=BB370_1564 Depth=1
	s_or_b32 exec_lo, exec_lo, s20
.LBB370_2485:                           ;   in Loop: Header=BB370_1564 Depth=1
	s_or_b32 exec_lo, exec_lo, s19
.LBB370_2486:                           ;   in Loop: Header=BB370_1564 Depth=1
	s_or_b32 exec_lo, exec_lo, s18
	v_mul_f32_e32 v10, v71, v26
	v_mul_f32_e32 v1, v71, v1
	v_mul_f32_e32 v0, v71, v0
	v_bfe_u32 v21, v10, 16, 1
	v_or_b32_e32 v22, 0x400000, v10
	v_cmp_u_f32_e64 s4, v10, v10
	v_add3_u32 v21, v21, v10, 0x7fff
	v_cndmask_b32_e64 v10, v21, v22, s4
	v_lshrrev_b32_e32 v74, 16, v10
	v_mul_f32_e32 v10, v71, v25
	v_bfe_u32 v21, v10, 16, 1
	v_or_b32_e32 v22, 0x400000, v10
	v_cmp_u_f32_e64 s4, v10, v10
	v_add3_u32 v21, v21, v10, 0x7fff
	v_cndmask_b32_e64 v10, v21, v22, s4
	v_lshrrev_b32_e32 v75, 16, v10
	v_mul_f32_e32 v10, v71, v13
	;; [unrolled: 7-line block ×3, first 2 shown]
	v_bfe_u32 v12, v10, 16, 1
	v_or_b32_e32 v13, 0x400000, v10
	v_cmp_u_f32_e64 s4, v10, v10
	v_add3_u32 v12, v12, v10, 0x7fff
	v_cndmask_b32_e64 v10, v12, v13, s4
	v_or_b32_e32 v12, 0x400000, v1
	v_cmp_u_f32_e64 s4, v1, v1
	v_lshrrev_b32_e32 v77, 16, v10
	v_bfe_u32 v10, v1, 16, 1
	v_add3_u32 v10, v10, v1, 0x7fff
	v_cndmask_b32_e64 v1, v10, v12, s4
	v_or_b32_e32 v10, 0x400000, v0
	v_cmp_u_f32_e64 s4, v0, v0
	v_lshrrev_b32_e32 v78, 16, v1
	v_bfe_u32 v1, v0, 16, 1
	v_add3_u32 v1, v1, v0, 0x7fff
	v_cndmask_b32_e64 v0, v1, v10, s4
	v_lshrrev_b32_e32 v126, 16, v0
	v_mul_f32_e32 v0, v71, v18
	v_bfe_u32 v1, v0, 16, 1
	v_or_b32_e32 v10, 0x400000, v0
	v_cmp_u_f32_e64 s4, v0, v0
	v_add3_u32 v1, v1, v0, 0x7fff
	v_cndmask_b32_e64 v0, v1, v10, s4
	v_lshrrev_b32_e32 v79, 16, v0
	v_mul_f32_e32 v0, v71, v17
	v_bfe_u32 v1, v0, 16, 1
	v_or_b32_e32 v10, 0x400000, v0
	v_cmp_u_f32_e64 s4, v0, v0
	v_add3_u32 v1, v1, v0, 0x7fff
	v_cndmask_b32_e64 v0, v1, v10, s4
	v_lshrrev_b32_e32 v89, 16, v0
	s_and_saveexec_b32 s18, vcc_lo
	s_cbranch_execz .LBB370_2488
; %bb.2487:                             ;   in Loop: Header=BB370_1564 Depth=1
	v_cmp_lt_i32_e64 s4, v91, v88
	v_cndmask_b32_e64 v126, 0, v126, s4
	v_cmp_lt_i32_e64 s4, v111, v88
	v_cndmask_b32_e64 v78, 0, v78, s4
	;; [unrolled: 2-line block ×8, first 2 shown]
.LBB370_2488:                           ;   in Loop: Header=BB370_1564 Depth=1
	s_or_b32 exec_lo, exec_lo, s18
	flat_load_dwordx2 v[21:22], v[19:20] offset:1536
	v_mov_b32_e32 v1, 0
	v_mov_b32_e32 v0, 0
	s_waitcnt vmcnt(0) lgkmcnt(0)
	v_cmp_ne_u16_sdwa s4, v21, v11 src0_sel:BYTE_0 src1_sel:DWORD
	s_and_saveexec_b32 s18, s4
	s_cbranch_execz .LBB370_2496
; %bb.2489:                             ;   in Loop: Header=BB370_1564 Depth=1
	v_cmp_ne_u16_sdwa s4, v21, v83 src0_sel:BYTE_0 src1_sel:DWORD
	v_bfrev_b32_e32 v0, 1
	s_and_saveexec_b32 s19, s4
	s_cbranch_execz .LBB370_2495
; %bb.2490:                             ;   in Loop: Header=BB370_1564 Depth=1
	v_and_b32_e32 v10, 0x7f, v21
	v_mov_b32_e32 v0, 0x7f800001
	s_mov_b32 s20, exec_lo
	v_cmpx_ne_u32_e32 0x7f, v10
	s_cbranch_execz .LBB370_2494
; %bb.2491:                             ;   in Loop: Header=BB370_1564 Depth=1
	v_mov_b32_e32 v24, v22
	v_lshrrev_b32_e32 v0, 3, v10
	v_mov_b32_e32 v23, v21
	s_mov_b32 s21, exec_lo
	v_cmpx_gt_u32_e32 8, v10
; %bb.2492:                             ;   in Loop: Header=BB370_1564 Depth=1
	v_and_b32_e32 v0, 7, v21
	v_ffbh_u32_e32 v0, v0
	v_min_u32_e32 v0, 32, v0
	v_subrev_nc_u32_e32 v10, 28, v0
	v_sub_nc_u32_e32 v0, 29, v0
	v_lshlrev_b64 v[23:24], v10, v[21:22]
; %bb.2493:                             ;   in Loop: Header=BB370_1564 Depth=1
	s_or_b32 exec_lo, exec_lo, s21
	v_lshlrev_b32_e32 v10, 20, v23
	v_lshlrev_b32_e32 v12, 24, v21
	v_lshl_add_u32 v0, v0, 23, 0x3c000000
	v_and_b32_e32 v10, 0x700000, v10
	v_and_b32_e32 v12, 0x80000000, v12
	v_or3_b32 v0, v10, v12, v0
.LBB370_2494:                           ;   in Loop: Header=BB370_1564 Depth=1
	s_or_b32 exec_lo, exec_lo, s20
.LBB370_2495:                           ;   in Loop: Header=BB370_1564 Depth=1
	s_or_b32 exec_lo, exec_lo, s19
.LBB370_2496:                           ;   in Loop: Header=BB370_1564 Depth=1
	s_or_b32 exec_lo, exec_lo, s18
	v_cmp_ne_u16_sdwa s4, v21, v11 src0_sel:BYTE_1 src1_sel:DWORD
	s_and_saveexec_b32 s18, s4
	s_cbranch_execz .LBB370_2504
; %bb.2497:                             ;   in Loop: Header=BB370_1564 Depth=1
	v_cmp_ne_u16_sdwa s4, v21, v83 src0_sel:BYTE_1 src1_sel:DWORD
	v_bfrev_b32_e32 v1, 1
	s_and_saveexec_b32 s19, s4
	s_cbranch_execz .LBB370_2503
; %bb.2498:                             ;   in Loop: Header=BB370_1564 Depth=1
	v_mov_b32_e32 v1, 0xffff
	s_mov_b32 s20, exec_lo
	v_and_b32_sdwa v10, v1, v21 dst_sel:DWORD dst_unused:UNUSED_PAD src0_sel:DWORD src1_sel:BYTE_1
	v_mov_b32_e32 v1, 0x7f800001
	v_and_b32_e32 v12, 0x7f, v10
	v_cmpx_ne_u32_e32 0x7f, v12
	s_cbranch_execz .LBB370_2502
; %bb.2499:                             ;   in Loop: Header=BB370_1564 Depth=1
	v_and_b32_e32 v10, 7, v10
	v_mov_b32_e32 v24, v11
	v_lshrrev_b32_e32 v1, 3, v12
	s_mov_b32 s21, exec_lo
	v_mov_b32_e32 v23, v10
	v_cmpx_gt_u32_e32 8, v12
; %bb.2500:                             ;   in Loop: Header=BB370_1564 Depth=1
	v_ffbh_u32_e32 v1, v10
	v_min_u32_e32 v1, 32, v1
	v_subrev_nc_u32_e32 v12, 28, v1
	v_sub_nc_u32_e32 v1, 29, v1
	v_lshlrev_b64 v[12:13], v12, v[10:11]
	v_and_b32_e32 v23, 7, v12
; %bb.2501:                             ;   in Loop: Header=BB370_1564 Depth=1
	s_or_b32 exec_lo, exec_lo, s21
	v_lshlrev_b32_e32 v10, 16, v21
	v_lshlrev_b32_e32 v12, 20, v23
	v_lshl_add_u32 v1, v1, 23, 0x3c000000
	v_and_b32_e32 v10, 0x80000000, v10
	v_or3_b32 v1, v12, v10, v1
.LBB370_2502:                           ;   in Loop: Header=BB370_1564 Depth=1
	s_or_b32 exec_lo, exec_lo, s20
.LBB370_2503:                           ;   in Loop: Header=BB370_1564 Depth=1
	s_or_b32 exec_lo, exec_lo, s19
.LBB370_2504:                           ;   in Loop: Header=BB370_1564 Depth=1
	s_or_b32 exec_lo, exec_lo, s18
	v_and_b32_sdwa v10, v21, v85 dst_sel:DWORD dst_unused:UNUSED_PAD src0_sel:WORD_1 src1_sel:DWORD
	v_mov_b32_e32 v13, 0
	v_mov_b32_e32 v12, 0
	s_mov_b32 s18, exec_lo
	v_cmpx_ne_u16_e32 0, v10
	s_cbranch_execz .LBB370_2512
; %bb.2505:                             ;   in Loop: Header=BB370_1564 Depth=1
	v_bfrev_b32_e32 v12, 1
	s_mov_b32 s19, exec_lo
	v_cmpx_ne_u16_e32 0x80, v10
	s_cbranch_execz .LBB370_2511
; %bb.2506:                             ;   in Loop: Header=BB370_1564 Depth=1
	v_bfe_u32 v17, v21, 16, 7
	v_mov_b32_e32 v12, 0x7f800001
	s_mov_b32 s20, exec_lo
	v_cmpx_ne_u32_e32 0x7f, v17
	s_cbranch_execz .LBB370_2510
; %bb.2507:                             ;   in Loop: Header=BB370_1564 Depth=1
	v_mov_b32_e32 v10, 7
	v_lshrrev_b32_e32 v12, 3, v17
	s_mov_b32 s21, exec_lo
	v_and_b32_sdwa v10, v21, v10 dst_sel:DWORD dst_unused:UNUSED_PAD src0_sel:WORD_1 src1_sel:DWORD
	v_mov_b32_e32 v24, v11
	v_mov_b32_e32 v23, v10
	v_cmpx_gt_u32_e32 8, v17
; %bb.2508:                             ;   in Loop: Header=BB370_1564 Depth=1
	v_ffbh_u32_e32 v12, v10
	v_min_u32_e32 v12, 32, v12
	v_subrev_nc_u32_e32 v17, 28, v12
	v_sub_nc_u32_e32 v12, 29, v12
	v_lshlrev_b64 v[17:18], v17, v[10:11]
	v_and_b32_e32 v23, 7, v17
; %bb.2509:                             ;   in Loop: Header=BB370_1564 Depth=1
	s_or_b32 exec_lo, exec_lo, s21
	v_mov_b32_e32 v10, 24
	v_lshlrev_b32_e32 v17, 20, v23
	v_lshl_add_u32 v12, v12, 23, 0x3c000000
	v_lshlrev_b32_sdwa v10, v10, v21 dst_sel:DWORD dst_unused:UNUSED_PAD src0_sel:DWORD src1_sel:WORD_1
	v_and_b32_e32 v10, 0x80000000, v10
	v_or3_b32 v12, v17, v10, v12
.LBB370_2510:                           ;   in Loop: Header=BB370_1564 Depth=1
	s_or_b32 exec_lo, exec_lo, s20
.LBB370_2511:                           ;   in Loop: Header=BB370_1564 Depth=1
	s_or_b32 exec_lo, exec_lo, s19
.LBB370_2512:                           ;   in Loop: Header=BB370_1564 Depth=1
	s_or_b32 exec_lo, exec_lo, s18
	s_mov_b32 s18, exec_lo
	v_cmpx_lt_u32_e32 0xffffff, v21
	s_cbranch_execz .LBB370_2520
; %bb.2513:                             ;   in Loop: Header=BB370_1564 Depth=1
	v_cmp_ne_u32_sdwa s4, v21, v83 src0_sel:BYTE_3 src1_sel:DWORD
	v_bfrev_b32_e32 v13, 1
	s_and_saveexec_b32 s19, s4
	s_cbranch_execz .LBB370_2519
; %bb.2514:                             ;   in Loop: Header=BB370_1564 Depth=1
	v_bfe_u32 v17, v21, 24, 7
	v_mov_b32_e32 v13, 0x7f800001
	s_mov_b32 s20, exec_lo
	v_cmpx_ne_u32_e32 0x7f, v17
	s_cbranch_execz .LBB370_2518
; %bb.2515:                             ;   in Loop: Header=BB370_1564 Depth=1
	v_mov_b32_e32 v10, 7
	v_lshrrev_b32_e32 v13, 3, v17
	s_mov_b32 s21, exec_lo
	v_and_b32_sdwa v10, v21, v10 dst_sel:DWORD dst_unused:UNUSED_PAD src0_sel:BYTE_3 src1_sel:DWORD
	v_mov_b32_e32 v24, v11
	v_mov_b32_e32 v23, v10
	v_cmpx_gt_u32_e32 8, v17
; %bb.2516:                             ;   in Loop: Header=BB370_1564 Depth=1
	v_ffbh_u32_e32 v13, v10
	v_min_u32_e32 v13, 32, v13
	v_subrev_nc_u32_e32 v17, 28, v13
	v_sub_nc_u32_e32 v13, 29, v13
	v_lshlrev_b64 v[17:18], v17, v[10:11]
	v_and_b32_e32 v23, 7, v17
; %bb.2517:                             ;   in Loop: Header=BB370_1564 Depth=1
	s_or_b32 exec_lo, exec_lo, s21
	v_mov_b32_e32 v10, 24
	v_lshlrev_b32_e32 v17, 20, v23
	v_lshl_add_u32 v13, v13, 23, 0x3c000000
	v_lshlrev_b32_sdwa v10, v10, v21 dst_sel:DWORD dst_unused:UNUSED_PAD src0_sel:DWORD src1_sel:BYTE_3
	v_and_b32_e32 v10, 0x80000000, v10
	v_or3_b32 v13, v17, v10, v13
.LBB370_2518:                           ;   in Loop: Header=BB370_1564 Depth=1
	s_or_b32 exec_lo, exec_lo, s20
.LBB370_2519:                           ;   in Loop: Header=BB370_1564 Depth=1
	s_or_b32 exec_lo, exec_lo, s19
.LBB370_2520:                           ;   in Loop: Header=BB370_1564 Depth=1
	s_or_b32 exec_lo, exec_lo, s18
	v_mov_b32_e32 v10, v22
	v_cmp_ne_u16_sdwa s4, v22, v11 src0_sel:BYTE_0 src1_sel:DWORD
	v_mov_b32_e32 v26, 0
	v_mov_b32_e32 v25, 0
	s_and_saveexec_b32 s18, s4
	s_cbranch_execz .LBB370_2528
; %bb.2521:                             ;   in Loop: Header=BB370_1564 Depth=1
	v_cmp_ne_u16_sdwa s4, v22, v83 src0_sel:BYTE_0 src1_sel:DWORD
	v_bfrev_b32_e32 v25, 1
	s_and_saveexec_b32 s19, s4
	s_cbranch_execz .LBB370_2527
; %bb.2522:                             ;   in Loop: Header=BB370_1564 Depth=1
	v_and_b32_e32 v18, 0x7f, v22
	v_mov_b32_e32 v25, 0x7f800001
	s_mov_b32 s20, exec_lo
	v_cmpx_ne_u32_e32 0x7f, v18
	s_cbranch_execz .LBB370_2526
; %bb.2523:                             ;   in Loop: Header=BB370_1564 Depth=1
	v_mov_b32_e32 v24, v11
	v_lshrrev_b32_e32 v17, 3, v18
	v_mov_b32_e32 v23, v10
	s_mov_b32 s21, exec_lo
	v_cmpx_gt_u32_e32 8, v18
; %bb.2524:                             ;   in Loop: Header=BB370_1564 Depth=1
	v_and_b32_e32 v17, 7, v22
	v_ffbh_u32_e32 v17, v17
	v_min_u32_e32 v17, 32, v17
	v_subrev_nc_u32_e32 v18, 28, v17
	v_sub_nc_u32_e32 v17, 29, v17
	v_lshlrev_b64 v[23:24], v18, v[10:11]
; %bb.2525:                             ;   in Loop: Header=BB370_1564 Depth=1
	s_or_b32 exec_lo, exec_lo, s21
	v_lshlrev_b32_e32 v18, 20, v23
	v_lshlrev_b32_e32 v23, 24, v10
	v_lshl_add_u32 v17, v17, 23, 0x3c000000
	v_and_b32_e32 v18, 0x700000, v18
	v_and_b32_e32 v23, 0x80000000, v23
	v_or3_b32 v25, v18, v23, v17
.LBB370_2526:                           ;   in Loop: Header=BB370_1564 Depth=1
	s_or_b32 exec_lo, exec_lo, s20
.LBB370_2527:                           ;   in Loop: Header=BB370_1564 Depth=1
	s_or_b32 exec_lo, exec_lo, s19
.LBB370_2528:                           ;   in Loop: Header=BB370_1564 Depth=1
	s_or_b32 exec_lo, exec_lo, s18
	v_cmp_ne_u16_sdwa s4, v10, v11 src0_sel:BYTE_1 src1_sel:DWORD
	s_and_saveexec_b32 s18, s4
	s_cbranch_execz .LBB370_2536
; %bb.2529:                             ;   in Loop: Header=BB370_1564 Depth=1
	v_cmp_ne_u16_sdwa s4, v10, v83 src0_sel:BYTE_1 src1_sel:DWORD
	v_bfrev_b32_e32 v26, 1
	s_and_saveexec_b32 s19, s4
	s_cbranch_execz .LBB370_2535
; %bb.2530:                             ;   in Loop: Header=BB370_1564 Depth=1
	v_mov_b32_e32 v17, 0xffff
	v_mov_b32_e32 v26, 0x7f800001
	s_mov_b32 s20, exec_lo
	v_and_b32_sdwa v17, v17, v10 dst_sel:DWORD dst_unused:UNUSED_PAD src0_sel:DWORD src1_sel:BYTE_1
	v_and_b32_e32 v18, 0x7f, v17
	v_cmpx_ne_u32_e32 0x7f, v18
	s_cbranch_execz .LBB370_2534
; %bb.2531:                             ;   in Loop: Header=BB370_1564 Depth=1
	v_and_b32_e32 v23, 7, v17
	v_mov_b32_e32 v24, v11
	v_lshrrev_b32_e32 v17, 3, v18
	s_mov_b32 s21, exec_lo
	v_cmpx_gt_u32_e32 8, v18
; %bb.2532:                             ;   in Loop: Header=BB370_1564 Depth=1
	v_ffbh_u32_e32 v17, v23
	v_min_u32_e32 v17, 32, v17
	v_subrev_nc_u32_e32 v18, 28, v17
	v_sub_nc_u32_e32 v17, 29, v17
	v_lshlrev_b64 v[23:24], v18, v[23:24]
	v_and_b32_e32 v23, 7, v23
; %bb.2533:                             ;   in Loop: Header=BB370_1564 Depth=1
	s_or_b32 exec_lo, exec_lo, s21
	v_lshlrev_b32_e32 v10, 16, v10
	v_lshlrev_b32_e32 v18, 20, v23
	v_lshl_add_u32 v17, v17, 23, 0x3c000000
	v_and_b32_e32 v10, 0x80000000, v10
	v_or3_b32 v26, v18, v10, v17
.LBB370_2534:                           ;   in Loop: Header=BB370_1564 Depth=1
	s_or_b32 exec_lo, exec_lo, s20
.LBB370_2535:                           ;   in Loop: Header=BB370_1564 Depth=1
	s_or_b32 exec_lo, exec_lo, s19
.LBB370_2536:                           ;   in Loop: Header=BB370_1564 Depth=1
	s_or_b32 exec_lo, exec_lo, s18
	v_and_b32_sdwa v10, v22, v85 dst_sel:DWORD dst_unused:UNUSED_PAD src0_sel:WORD_1 src1_sel:DWORD
	v_mov_b32_e32 v17, 0
	v_mov_b32_e32 v18, 0
	s_mov_b32 s18, exec_lo
	v_cmpx_ne_u16_e32 0, v10
	s_cbranch_execz .LBB370_2544
; %bb.2537:                             ;   in Loop: Header=BB370_1564 Depth=1
	v_bfrev_b32_e32 v18, 1
	s_mov_b32 s19, exec_lo
	v_cmpx_ne_u16_e32 0x80, v10
	s_cbranch_execz .LBB370_2543
; %bb.2538:                             ;   in Loop: Header=BB370_1564 Depth=1
	v_bfe_u32 v23, v22, 16, 7
	v_mov_b32_e32 v18, 0x7f800001
	s_mov_b32 s20, exec_lo
	v_cmpx_ne_u32_e32 0x7f, v23
	s_cbranch_execz .LBB370_2542
; %bb.2539:                             ;   in Loop: Header=BB370_1564 Depth=1
	v_mov_b32_e32 v10, 7
	v_lshrrev_b32_e32 v18, 3, v23
	v_cmp_gt_u32_e64 s4, 8, v23
	v_and_b32_sdwa v10, v22, v10 dst_sel:DWORD dst_unused:UNUSED_PAD src0_sel:WORD_1 src1_sel:DWORD
	v_mov_b32_e32 v24, v11
	v_mov_b32_e32 v23, v10
	s_and_saveexec_b32 s21, s4
; %bb.2540:                             ;   in Loop: Header=BB370_1564 Depth=1
	v_ffbh_u32_e32 v18, v10
	v_min_u32_e32 v18, 32, v18
	v_subrev_nc_u32_e32 v23, 28, v18
	v_sub_nc_u32_e32 v18, 29, v18
	v_lshlrev_b64 v[23:24], v23, v[10:11]
	v_and_b32_e32 v23, 7, v23
; %bb.2541:                             ;   in Loop: Header=BB370_1564 Depth=1
	s_or_b32 exec_lo, exec_lo, s21
	v_mov_b32_e32 v10, 24
	v_lshlrev_b32_e32 v23, 20, v23
	v_lshl_add_u32 v18, v18, 23, 0x3c000000
	v_lshlrev_b32_sdwa v10, v10, v22 dst_sel:DWORD dst_unused:UNUSED_PAD src0_sel:DWORD src1_sel:WORD_1
	v_and_b32_e32 v10, 0x80000000, v10
	v_or3_b32 v18, v23, v10, v18
.LBB370_2542:                           ;   in Loop: Header=BB370_1564 Depth=1
	s_or_b32 exec_lo, exec_lo, s20
.LBB370_2543:                           ;   in Loop: Header=BB370_1564 Depth=1
	s_or_b32 exec_lo, exec_lo, s19
.LBB370_2544:                           ;   in Loop: Header=BB370_1564 Depth=1
	s_or_b32 exec_lo, exec_lo, s18
	s_mov_b32 s18, exec_lo
	v_cmpx_lt_u64_e64 s[6:7], v[21:22]
	s_cbranch_execz .LBB370_2552
; %bb.2545:                             ;   in Loop: Header=BB370_1564 Depth=1
	v_cmp_ne_u32_sdwa s4, v22, v83 src0_sel:BYTE_3 src1_sel:DWORD
	v_bfrev_b32_e32 v17, 1
	s_and_saveexec_b32 s19, s4
	s_cbranch_execz .LBB370_2551
; %bb.2546:                             ;   in Loop: Header=BB370_1564 Depth=1
	v_bfe_u32 v21, v22, 24, 7
	v_mov_b32_e32 v17, 0x7f800001
	s_mov_b32 s20, exec_lo
	v_cmpx_ne_u32_e32 0x7f, v21
	s_cbranch_execz .LBB370_2550
; %bb.2547:                             ;   in Loop: Header=BB370_1564 Depth=1
	v_mov_b32_e32 v10, 7
	v_lshrrev_b32_e32 v17, 3, v21
	s_mov_b32 s21, exec_lo
	v_and_b32_sdwa v10, v22, v10 dst_sel:DWORD dst_unused:UNUSED_PAD src0_sel:BYTE_3 src1_sel:DWORD
	v_mov_b32_e32 v24, v11
	v_mov_b32_e32 v23, v10
	v_cmpx_gt_u32_e32 8, v21
; %bb.2548:                             ;   in Loop: Header=BB370_1564 Depth=1
	v_ffbh_u32_e32 v17, v10
	v_min_u32_e32 v17, 32, v17
	v_subrev_nc_u32_e32 v21, 28, v17
	v_sub_nc_u32_e32 v17, 29, v17
	v_lshlrev_b64 v[23:24], v21, v[10:11]
	v_and_b32_e32 v23, 7, v23
; %bb.2549:                             ;   in Loop: Header=BB370_1564 Depth=1
	s_or_b32 exec_lo, exec_lo, s21
	v_mov_b32_e32 v10, 24
	v_lshlrev_b32_e32 v21, 20, v23
	v_lshl_add_u32 v17, v17, 23, 0x3c000000
	v_lshlrev_b32_sdwa v10, v10, v22 dst_sel:DWORD dst_unused:UNUSED_PAD src0_sel:DWORD src1_sel:BYTE_3
	v_and_b32_e32 v10, 0x80000000, v10
	v_or3_b32 v17, v21, v10, v17
.LBB370_2550:                           ;   in Loop: Header=BB370_1564 Depth=1
	s_or_b32 exec_lo, exec_lo, s20
.LBB370_2551:                           ;   in Loop: Header=BB370_1564 Depth=1
	s_or_b32 exec_lo, exec_lo, s19
.LBB370_2552:                           ;   in Loop: Header=BB370_1564 Depth=1
	s_or_b32 exec_lo, exec_lo, s18
	v_mul_f32_e32 v10, v71, v26
	v_mul_f32_e32 v1, v71, v1
	;; [unrolled: 1-line block ×3, first 2 shown]
	v_bfe_u32 v21, v10, 16, 1
	v_or_b32_e32 v22, 0x400000, v10
	v_cmp_u_f32_e64 s4, v10, v10
	v_add3_u32 v21, v21, v10, 0x7fff
	v_cndmask_b32_e64 v10, v21, v22, s4
	v_lshrrev_b32_e32 v23, 16, v10
	v_mul_f32_e32 v10, v71, v25
	v_bfe_u32 v21, v10, 16, 1
	v_or_b32_e32 v22, 0x400000, v10
	v_cmp_u_f32_e64 s4, v10, v10
	v_add3_u32 v21, v21, v10, 0x7fff
	v_cndmask_b32_e64 v10, v21, v22, s4
	v_lshrrev_b32_e32 v24, 16, v10
	v_mul_f32_e32 v10, v71, v13
	;; [unrolled: 7-line block ×3, first 2 shown]
	v_bfe_u32 v12, v10, 16, 1
	v_or_b32_e32 v13, 0x400000, v10
	v_cmp_u_f32_e64 s4, v10, v10
	v_add3_u32 v12, v12, v10, 0x7fff
	v_cndmask_b32_e64 v10, v12, v13, s4
	v_or_b32_e32 v12, 0x400000, v1
	v_cmp_u_f32_e64 s4, v1, v1
	v_lshrrev_b32_e32 v90, 16, v10
	v_bfe_u32 v10, v1, 16, 1
	v_add3_u32 v10, v10, v1, 0x7fff
	v_cndmask_b32_e64 v1, v10, v12, s4
	v_or_b32_e32 v10, 0x400000, v0
	v_cmp_u_f32_e64 s4, v0, v0
	v_lshrrev_b32_e32 v94, 16, v1
	v_bfe_u32 v1, v0, 16, 1
	v_add3_u32 v1, v1, v0, 0x7fff
	v_cndmask_b32_e64 v0, v1, v10, s4
	v_lshrrev_b32_e32 v95, 16, v0
	v_mul_f32_e32 v0, v71, v18
	v_bfe_u32 v1, v0, 16, 1
	v_or_b32_e32 v10, 0x400000, v0
	v_cmp_u_f32_e64 s4, v0, v0
	v_add3_u32 v1, v1, v0, 0x7fff
	v_cndmask_b32_e64 v0, v1, v10, s4
	v_lshrrev_b32_e32 v127, 16, v0
	v_mul_f32_e32 v0, v71, v17
	v_bfe_u32 v1, v0, 16, 1
	v_or_b32_e32 v10, 0x400000, v0
	v_cmp_u_f32_e64 s4, v0, v0
	v_add3_u32 v1, v1, v0, 0x7fff
	v_cndmask_b32_e64 v0, v1, v10, s4
	v_lshrrev_b32_e32 v104, 16, v0
	s_and_saveexec_b32 s18, vcc_lo
	s_cbranch_execz .LBB370_2554
; %bb.2553:                             ;   in Loop: Header=BB370_1564 Depth=1
	v_cmp_lt_i32_e64 s4, v91, v88
	v_cndmask_b32_e64 v95, 0, v95, s4
	v_cmp_lt_i32_e64 s4, v111, v88
	v_cndmask_b32_e64 v94, 0, v94, s4
	;; [unrolled: 2-line block ×8, first 2 shown]
.LBB370_2554:                           ;   in Loop: Header=BB370_1564 Depth=1
	s_or_b32 exec_lo, exec_lo, s18
	flat_load_dwordx2 v[19:20], v[19:20] offset:1792
	v_mov_b32_e32 v1, 0
	v_mov_b32_e32 v0, 0
	s_waitcnt vmcnt(0) lgkmcnt(0)
	v_cmp_ne_u16_sdwa s4, v19, v11 src0_sel:BYTE_0 src1_sel:DWORD
	s_and_saveexec_b32 s18, s4
	s_cbranch_execz .LBB370_2562
; %bb.2555:                             ;   in Loop: Header=BB370_1564 Depth=1
	v_cmp_ne_u16_sdwa s4, v19, v83 src0_sel:BYTE_0 src1_sel:DWORD
	v_bfrev_b32_e32 v0, 1
	s_and_saveexec_b32 s19, s4
	s_cbranch_execz .LBB370_2561
; %bb.2556:                             ;   in Loop: Header=BB370_1564 Depth=1
	v_and_b32_e32 v10, 0x7f, v19
	v_mov_b32_e32 v0, 0x7f800001
	s_mov_b32 s20, exec_lo
	v_cmpx_ne_u32_e32 0x7f, v10
	s_cbranch_execz .LBB370_2560
; %bb.2557:                             ;   in Loop: Header=BB370_1564 Depth=1
	v_mov_b32_e32 v22, v20
	v_lshrrev_b32_e32 v0, 3, v10
	v_mov_b32_e32 v21, v19
	s_mov_b32 s21, exec_lo
	v_cmpx_gt_u32_e32 8, v10
; %bb.2558:                             ;   in Loop: Header=BB370_1564 Depth=1
	v_and_b32_e32 v0, 7, v19
	v_ffbh_u32_e32 v0, v0
	v_min_u32_e32 v0, 32, v0
	v_subrev_nc_u32_e32 v10, 28, v0
	v_sub_nc_u32_e32 v0, 29, v0
	v_lshlrev_b64 v[21:22], v10, v[19:20]
; %bb.2559:                             ;   in Loop: Header=BB370_1564 Depth=1
	s_or_b32 exec_lo, exec_lo, s21
	v_lshlrev_b32_e32 v10, 20, v21
	v_lshlrev_b32_e32 v12, 24, v19
	v_lshl_add_u32 v0, v0, 23, 0x3c000000
	v_and_b32_e32 v10, 0x700000, v10
	v_and_b32_e32 v12, 0x80000000, v12
	v_or3_b32 v0, v10, v12, v0
.LBB370_2560:                           ;   in Loop: Header=BB370_1564 Depth=1
	s_or_b32 exec_lo, exec_lo, s20
.LBB370_2561:                           ;   in Loop: Header=BB370_1564 Depth=1
	s_or_b32 exec_lo, exec_lo, s19
.LBB370_2562:                           ;   in Loop: Header=BB370_1564 Depth=1
	s_or_b32 exec_lo, exec_lo, s18
	v_cmp_ne_u16_sdwa s4, v19, v11 src0_sel:BYTE_1 src1_sel:DWORD
	s_and_saveexec_b32 s18, s4
	s_cbranch_execz .LBB370_2570
; %bb.2563:                             ;   in Loop: Header=BB370_1564 Depth=1
	v_cmp_ne_u16_sdwa s4, v19, v83 src0_sel:BYTE_1 src1_sel:DWORD
	v_bfrev_b32_e32 v1, 1
	s_and_saveexec_b32 s19, s4
	s_cbranch_execz .LBB370_2569
; %bb.2564:                             ;   in Loop: Header=BB370_1564 Depth=1
	v_mov_b32_e32 v1, 0xffff
	s_mov_b32 s20, exec_lo
	v_and_b32_sdwa v10, v1, v19 dst_sel:DWORD dst_unused:UNUSED_PAD src0_sel:DWORD src1_sel:BYTE_1
	v_mov_b32_e32 v1, 0x7f800001
	v_and_b32_e32 v12, 0x7f, v10
	v_cmpx_ne_u32_e32 0x7f, v12
	s_cbranch_execz .LBB370_2568
; %bb.2565:                             ;   in Loop: Header=BB370_1564 Depth=1
	v_and_b32_e32 v10, 7, v10
	v_mov_b32_e32 v22, v11
	v_lshrrev_b32_e32 v1, 3, v12
	s_mov_b32 s21, exec_lo
	v_mov_b32_e32 v21, v10
	v_cmpx_gt_u32_e32 8, v12
; %bb.2566:                             ;   in Loop: Header=BB370_1564 Depth=1
	v_ffbh_u32_e32 v1, v10
	v_min_u32_e32 v1, 32, v1
	v_subrev_nc_u32_e32 v12, 28, v1
	v_sub_nc_u32_e32 v1, 29, v1
	v_lshlrev_b64 v[12:13], v12, v[10:11]
	v_and_b32_e32 v21, 7, v12
; %bb.2567:                             ;   in Loop: Header=BB370_1564 Depth=1
	s_or_b32 exec_lo, exec_lo, s21
	v_lshlrev_b32_e32 v10, 16, v19
	v_lshlrev_b32_e32 v12, 20, v21
	v_lshl_add_u32 v1, v1, 23, 0x3c000000
	v_and_b32_e32 v10, 0x80000000, v10
	v_or3_b32 v1, v12, v10, v1
.LBB370_2568:                           ;   in Loop: Header=BB370_1564 Depth=1
	s_or_b32 exec_lo, exec_lo, s20
.LBB370_2569:                           ;   in Loop: Header=BB370_1564 Depth=1
	s_or_b32 exec_lo, exec_lo, s19
.LBB370_2570:                           ;   in Loop: Header=BB370_1564 Depth=1
	s_or_b32 exec_lo, exec_lo, s18
	v_and_b32_sdwa v10, v19, v85 dst_sel:DWORD dst_unused:UNUSED_PAD src0_sel:WORD_1 src1_sel:DWORD
	v_mov_b32_e32 v13, 0
	v_mov_b32_e32 v12, 0
	s_mov_b32 s18, exec_lo
	v_cmpx_ne_u16_e32 0, v10
	s_cbranch_execz .LBB370_2578
; %bb.2571:                             ;   in Loop: Header=BB370_1564 Depth=1
	v_bfrev_b32_e32 v12, 1
	s_mov_b32 s19, exec_lo
	v_cmpx_ne_u16_e32 0x80, v10
	s_cbranch_execz .LBB370_2577
; %bb.2572:                             ;   in Loop: Header=BB370_1564 Depth=1
	v_bfe_u32 v17, v19, 16, 7
	v_mov_b32_e32 v12, 0x7f800001
	s_mov_b32 s20, exec_lo
	v_cmpx_ne_u32_e32 0x7f, v17
	s_cbranch_execz .LBB370_2576
; %bb.2573:                             ;   in Loop: Header=BB370_1564 Depth=1
	v_mov_b32_e32 v10, 7
	v_lshrrev_b32_e32 v12, 3, v17
	s_mov_b32 s21, exec_lo
	v_and_b32_sdwa v10, v19, v10 dst_sel:DWORD dst_unused:UNUSED_PAD src0_sel:WORD_1 src1_sel:DWORD
	v_mov_b32_e32 v22, v11
	v_mov_b32_e32 v21, v10
	v_cmpx_gt_u32_e32 8, v17
; %bb.2574:                             ;   in Loop: Header=BB370_1564 Depth=1
	v_ffbh_u32_e32 v12, v10
	v_min_u32_e32 v12, 32, v12
	v_subrev_nc_u32_e32 v17, 28, v12
	v_sub_nc_u32_e32 v12, 29, v12
	v_lshlrev_b64 v[17:18], v17, v[10:11]
	v_and_b32_e32 v21, 7, v17
; %bb.2575:                             ;   in Loop: Header=BB370_1564 Depth=1
	s_or_b32 exec_lo, exec_lo, s21
	v_mov_b32_e32 v10, 24
	v_lshlrev_b32_e32 v17, 20, v21
	v_lshl_add_u32 v12, v12, 23, 0x3c000000
	v_lshlrev_b32_sdwa v10, v10, v19 dst_sel:DWORD dst_unused:UNUSED_PAD src0_sel:DWORD src1_sel:WORD_1
	v_and_b32_e32 v10, 0x80000000, v10
	v_or3_b32 v12, v17, v10, v12
.LBB370_2576:                           ;   in Loop: Header=BB370_1564 Depth=1
	s_or_b32 exec_lo, exec_lo, s20
.LBB370_2577:                           ;   in Loop: Header=BB370_1564 Depth=1
	s_or_b32 exec_lo, exec_lo, s19
.LBB370_2578:                           ;   in Loop: Header=BB370_1564 Depth=1
	s_or_b32 exec_lo, exec_lo, s18
	s_mov_b32 s18, exec_lo
	v_cmpx_lt_u32_e32 0xffffff, v19
	s_cbranch_execz .LBB370_2586
; %bb.2579:                             ;   in Loop: Header=BB370_1564 Depth=1
	v_cmp_ne_u32_sdwa s4, v19, v83 src0_sel:BYTE_3 src1_sel:DWORD
	v_bfrev_b32_e32 v13, 1
	s_and_saveexec_b32 s19, s4
	s_cbranch_execz .LBB370_2585
; %bb.2580:                             ;   in Loop: Header=BB370_1564 Depth=1
	v_bfe_u32 v17, v19, 24, 7
	v_mov_b32_e32 v13, 0x7f800001
	s_mov_b32 s20, exec_lo
	v_cmpx_ne_u32_e32 0x7f, v17
	s_cbranch_execz .LBB370_2584
; %bb.2581:                             ;   in Loop: Header=BB370_1564 Depth=1
	v_mov_b32_e32 v10, 7
	v_lshrrev_b32_e32 v13, 3, v17
	s_mov_b32 s21, exec_lo
	v_and_b32_sdwa v10, v19, v10 dst_sel:DWORD dst_unused:UNUSED_PAD src0_sel:BYTE_3 src1_sel:DWORD
	v_mov_b32_e32 v22, v11
	v_mov_b32_e32 v21, v10
	v_cmpx_gt_u32_e32 8, v17
; %bb.2582:                             ;   in Loop: Header=BB370_1564 Depth=1
	v_ffbh_u32_e32 v13, v10
	v_min_u32_e32 v13, 32, v13
	v_subrev_nc_u32_e32 v17, 28, v13
	v_sub_nc_u32_e32 v13, 29, v13
	v_lshlrev_b64 v[17:18], v17, v[10:11]
	v_and_b32_e32 v21, 7, v17
; %bb.2583:                             ;   in Loop: Header=BB370_1564 Depth=1
	s_or_b32 exec_lo, exec_lo, s21
	v_mov_b32_e32 v10, 24
	v_lshlrev_b32_e32 v17, 20, v21
	v_lshl_add_u32 v13, v13, 23, 0x3c000000
	v_lshlrev_b32_sdwa v10, v10, v19 dst_sel:DWORD dst_unused:UNUSED_PAD src0_sel:DWORD src1_sel:BYTE_3
	v_and_b32_e32 v10, 0x80000000, v10
	v_or3_b32 v13, v17, v10, v13
.LBB370_2584:                           ;   in Loop: Header=BB370_1564 Depth=1
	s_or_b32 exec_lo, exec_lo, s20
.LBB370_2585:                           ;   in Loop: Header=BB370_1564 Depth=1
	s_or_b32 exec_lo, exec_lo, s19
.LBB370_2586:                           ;   in Loop: Header=BB370_1564 Depth=1
	s_or_b32 exec_lo, exec_lo, s18
	v_mov_b32_e32 v10, v20
	v_cmp_ne_u16_sdwa s4, v20, v11 src0_sel:BYTE_0 src1_sel:DWORD
	v_mov_b32_e32 v26, 0
	v_mov_b32_e32 v25, 0
	s_and_saveexec_b32 s18, s4
	s_cbranch_execz .LBB370_2594
; %bb.2587:                             ;   in Loop: Header=BB370_1564 Depth=1
	v_cmp_ne_u16_sdwa s4, v20, v83 src0_sel:BYTE_0 src1_sel:DWORD
	v_bfrev_b32_e32 v25, 1
	s_and_saveexec_b32 s19, s4
	s_cbranch_execz .LBB370_2593
; %bb.2588:                             ;   in Loop: Header=BB370_1564 Depth=1
	v_and_b32_e32 v18, 0x7f, v20
	v_mov_b32_e32 v25, 0x7f800001
	s_mov_b32 s20, exec_lo
	v_cmpx_ne_u32_e32 0x7f, v18
	s_cbranch_execz .LBB370_2592
; %bb.2589:                             ;   in Loop: Header=BB370_1564 Depth=1
	v_mov_b32_e32 v22, v11
	v_mov_b32_e32 v21, v10
	v_lshrrev_b32_e32 v17, 3, v18
	s_mov_b32 s21, exec_lo
	v_cmpx_gt_u32_e32 8, v18
; %bb.2590:                             ;   in Loop: Header=BB370_1564 Depth=1
	v_and_b32_e32 v17, 7, v20
	v_ffbh_u32_e32 v17, v17
	v_min_u32_e32 v17, 32, v17
	v_subrev_nc_u32_e32 v18, 28, v17
	v_sub_nc_u32_e32 v17, 29, v17
	v_lshlrev_b64 v[21:22], v18, v[10:11]
; %bb.2591:                             ;   in Loop: Header=BB370_1564 Depth=1
	s_or_b32 exec_lo, exec_lo, s21
	v_lshlrev_b32_e32 v18, 20, v21
	v_lshlrev_b32_e32 v21, 24, v10
	v_lshl_add_u32 v17, v17, 23, 0x3c000000
	v_and_b32_e32 v18, 0x700000, v18
	v_and_b32_e32 v21, 0x80000000, v21
	v_or3_b32 v25, v18, v21, v17
.LBB370_2592:                           ;   in Loop: Header=BB370_1564 Depth=1
	s_or_b32 exec_lo, exec_lo, s20
.LBB370_2593:                           ;   in Loop: Header=BB370_1564 Depth=1
	s_or_b32 exec_lo, exec_lo, s19
.LBB370_2594:                           ;   in Loop: Header=BB370_1564 Depth=1
	s_or_b32 exec_lo, exec_lo, s18
	v_cmp_ne_u16_sdwa s4, v10, v11 src0_sel:BYTE_1 src1_sel:DWORD
	s_and_saveexec_b32 s18, s4
	s_cbranch_execz .LBB370_2602
; %bb.2595:                             ;   in Loop: Header=BB370_1564 Depth=1
	v_cmp_ne_u16_sdwa s4, v10, v83 src0_sel:BYTE_1 src1_sel:DWORD
	v_bfrev_b32_e32 v26, 1
	s_and_saveexec_b32 s19, s4
	s_cbranch_execz .LBB370_2601
; %bb.2596:                             ;   in Loop: Header=BB370_1564 Depth=1
	v_mov_b32_e32 v17, 0xffff
	v_mov_b32_e32 v26, 0x7f800001
	s_mov_b32 s20, exec_lo
	v_and_b32_sdwa v17, v17, v10 dst_sel:DWORD dst_unused:UNUSED_PAD src0_sel:DWORD src1_sel:BYTE_1
	v_and_b32_e32 v18, 0x7f, v17
	v_cmpx_ne_u32_e32 0x7f, v18
	s_cbranch_execz .LBB370_2600
; %bb.2597:                             ;   in Loop: Header=BB370_1564 Depth=1
	v_and_b32_e32 v21, 7, v17
	v_mov_b32_e32 v22, v11
	v_lshrrev_b32_e32 v17, 3, v18
	s_mov_b32 s21, exec_lo
	v_cmpx_gt_u32_e32 8, v18
; %bb.2598:                             ;   in Loop: Header=BB370_1564 Depth=1
	v_ffbh_u32_e32 v17, v21
	v_min_u32_e32 v17, 32, v17
	v_subrev_nc_u32_e32 v18, 28, v17
	v_sub_nc_u32_e32 v17, 29, v17
	v_lshlrev_b64 v[21:22], v18, v[21:22]
	v_and_b32_e32 v21, 7, v21
; %bb.2599:                             ;   in Loop: Header=BB370_1564 Depth=1
	s_or_b32 exec_lo, exec_lo, s21
	v_lshlrev_b32_e32 v10, 16, v10
	v_lshlrev_b32_e32 v18, 20, v21
	v_lshl_add_u32 v17, v17, 23, 0x3c000000
	v_and_b32_e32 v10, 0x80000000, v10
	v_or3_b32 v26, v18, v10, v17
.LBB370_2600:                           ;   in Loop: Header=BB370_1564 Depth=1
	s_or_b32 exec_lo, exec_lo, s20
.LBB370_2601:                           ;   in Loop: Header=BB370_1564 Depth=1
	s_or_b32 exec_lo, exec_lo, s19
.LBB370_2602:                           ;   in Loop: Header=BB370_1564 Depth=1
	s_or_b32 exec_lo, exec_lo, s18
	v_and_b32_sdwa v10, v20, v85 dst_sel:DWORD dst_unused:UNUSED_PAD src0_sel:WORD_1 src1_sel:DWORD
	v_mov_b32_e32 v17, 0
	v_mov_b32_e32 v18, 0
	s_mov_b32 s18, exec_lo
	v_cmpx_ne_u16_e32 0, v10
	s_cbranch_execz .LBB370_2610
; %bb.2603:                             ;   in Loop: Header=BB370_1564 Depth=1
	v_bfrev_b32_e32 v18, 1
	s_mov_b32 s19, exec_lo
	v_cmpx_ne_u16_e32 0x80, v10
	s_cbranch_execz .LBB370_2609
; %bb.2604:                             ;   in Loop: Header=BB370_1564 Depth=1
	v_bfe_u32 v27, v20, 16, 7
	v_mov_b32_e32 v18, 0x7f800001
	s_mov_b32 s20, exec_lo
	v_cmpx_ne_u32_e32 0x7f, v27
	s_cbranch_execz .LBB370_2608
; %bb.2605:                             ;   in Loop: Header=BB370_1564 Depth=1
	v_mov_b32_e32 v10, 7
	v_lshrrev_b32_e32 v18, 3, v27
	s_mov_b32 s21, exec_lo
	v_and_b32_sdwa v10, v20, v10 dst_sel:DWORD dst_unused:UNUSED_PAD src0_sel:WORD_1 src1_sel:DWORD
	v_mov_b32_e32 v22, v11
	v_mov_b32_e32 v21, v10
	v_cmpx_gt_u32_e32 8, v27
; %bb.2606:                             ;   in Loop: Header=BB370_1564 Depth=1
	v_ffbh_u32_e32 v18, v10
	v_min_u32_e32 v18, 32, v18
	v_subrev_nc_u32_e32 v21, 28, v18
	v_sub_nc_u32_e32 v18, 29, v18
	v_lshlrev_b64 v[21:22], v21, v[10:11]
	v_and_b32_e32 v21, 7, v21
; %bb.2607:                             ;   in Loop: Header=BB370_1564 Depth=1
	s_or_b32 exec_lo, exec_lo, s21
	v_mov_b32_e32 v10, 24
	v_lshlrev_b32_e32 v21, 20, v21
	v_lshl_add_u32 v18, v18, 23, 0x3c000000
	v_lshlrev_b32_sdwa v10, v10, v20 dst_sel:DWORD dst_unused:UNUSED_PAD src0_sel:DWORD src1_sel:WORD_1
	v_and_b32_e32 v10, 0x80000000, v10
	v_or3_b32 v18, v21, v10, v18
.LBB370_2608:                           ;   in Loop: Header=BB370_1564 Depth=1
	s_or_b32 exec_lo, exec_lo, s20
.LBB370_2609:                           ;   in Loop: Header=BB370_1564 Depth=1
	s_or_b32 exec_lo, exec_lo, s19
.LBB370_2610:                           ;   in Loop: Header=BB370_1564 Depth=1
	s_or_b32 exec_lo, exec_lo, s18
	s_mov_b32 s18, exec_lo
	v_cmpx_lt_u64_e64 s[6:7], v[19:20]
	s_cbranch_execz .LBB370_2618
; %bb.2611:                             ;   in Loop: Header=BB370_1564 Depth=1
	v_cmp_ne_u32_sdwa s4, v20, v83 src0_sel:BYTE_3 src1_sel:DWORD
	v_bfrev_b32_e32 v17, 1
	s_and_saveexec_b32 s19, s4
	s_cbranch_execz .LBB370_2617
; %bb.2612:                             ;   in Loop: Header=BB370_1564 Depth=1
	v_bfe_u32 v19, v20, 24, 7
	v_mov_b32_e32 v17, 0x7f800001
	s_mov_b32 s20, exec_lo
	v_cmpx_ne_u32_e32 0x7f, v19
	s_cbranch_execz .LBB370_2616
; %bb.2613:                             ;   in Loop: Header=BB370_1564 Depth=1
	v_mov_b32_e32 v10, 7
	v_lshrrev_b32_e32 v17, 3, v19
	s_mov_b32 s21, exec_lo
	v_and_b32_sdwa v10, v20, v10 dst_sel:DWORD dst_unused:UNUSED_PAD src0_sel:BYTE_3 src1_sel:DWORD
	v_mov_b32_e32 v22, v11
	v_mov_b32_e32 v21, v10
	v_cmpx_gt_u32_e32 8, v19
; %bb.2614:                             ;   in Loop: Header=BB370_1564 Depth=1
	v_ffbh_u32_e32 v17, v10
	v_min_u32_e32 v17, 32, v17
	v_subrev_nc_u32_e32 v19, 28, v17
	v_sub_nc_u32_e32 v17, 29, v17
	v_lshlrev_b64 v[21:22], v19, v[10:11]
	v_and_b32_e32 v21, 7, v21
; %bb.2615:                             ;   in Loop: Header=BB370_1564 Depth=1
	s_or_b32 exec_lo, exec_lo, s21
	v_mov_b32_e32 v10, 24
	v_lshlrev_b32_e32 v19, 20, v21
	v_lshl_add_u32 v17, v17, 23, 0x3c000000
	v_lshlrev_b32_sdwa v10, v10, v20 dst_sel:DWORD dst_unused:UNUSED_PAD src0_sel:DWORD src1_sel:BYTE_3
	v_and_b32_e32 v10, 0x80000000, v10
	v_or3_b32 v17, v19, v10, v17
.LBB370_2616:                           ;   in Loop: Header=BB370_1564 Depth=1
	s_or_b32 exec_lo, exec_lo, s20
.LBB370_2617:                           ;   in Loop: Header=BB370_1564 Depth=1
	s_or_b32 exec_lo, exec_lo, s19
.LBB370_2618:                           ;   in Loop: Header=BB370_1564 Depth=1
	s_or_b32 exec_lo, exec_lo, s18
	v_mul_f32_e32 v10, v71, v26
	v_mul_f32_e32 v1, v71, v1
	;; [unrolled: 1-line block ×3, first 2 shown]
	v_bfe_u32 v19, v10, 16, 1
	v_or_b32_e32 v20, 0x400000, v10
	v_cmp_u_f32_e64 s4, v10, v10
	v_add3_u32 v19, v19, v10, 0x7fff
	v_cndmask_b32_e64 v10, v19, v20, s4
	v_lshrrev_b32_e32 v120, 16, v10
	v_mul_f32_e32 v10, v71, v25
	v_bfe_u32 v19, v10, 16, 1
	v_or_b32_e32 v20, 0x400000, v10
	v_cmp_u_f32_e64 s4, v10, v10
	v_add3_u32 v19, v19, v10, 0x7fff
	v_cndmask_b32_e64 v10, v19, v20, s4
	v_lshrrev_b32_e32 v121, 16, v10
	v_mul_f32_e32 v10, v71, v13
	;; [unrolled: 7-line block ×3, first 2 shown]
	v_bfe_u32 v12, v10, 16, 1
	v_or_b32_e32 v13, 0x400000, v10
	v_cmp_u_f32_e64 s4, v10, v10
	v_add3_u32 v12, v12, v10, 0x7fff
	v_cndmask_b32_e64 v10, v12, v13, s4
	v_or_b32_e32 v12, 0x400000, v1
	v_cmp_u_f32_e64 s4, v1, v1
	v_lshrrev_b32_e32 v124, 16, v10
	v_bfe_u32 v10, v1, 16, 1
	v_add3_u32 v10, v10, v1, 0x7fff
	v_cndmask_b32_e64 v1, v10, v12, s4
	v_or_b32_e32 v10, 0x400000, v0
	v_cmp_u_f32_e64 s4, v0, v0
	v_lshrrev_b32_e32 v125, 16, v1
	v_bfe_u32 v1, v0, 16, 1
	v_add3_u32 v1, v1, v0, 0x7fff
	v_cndmask_b32_e64 v0, v1, v10, s4
	v_lshrrev_b32_e32 v92, 16, v0
	v_mul_f32_e32 v0, v71, v18
	v_bfe_u32 v1, v0, 16, 1
	v_or_b32_e32 v10, 0x400000, v0
	v_cmp_u_f32_e64 s4, v0, v0
	v_add3_u32 v1, v1, v0, 0x7fff
	v_cndmask_b32_e64 v0, v1, v10, s4
	v_lshrrev_b32_e32 v41, 16, v0
	v_mul_f32_e32 v0, v71, v17
	v_bfe_u32 v1, v0, 16, 1
	v_or_b32_e32 v10, 0x400000, v0
	v_cmp_u_f32_e64 s4, v0, v0
	v_add3_u32 v1, v1, v0, 0x7fff
	v_cndmask_b32_e64 v0, v1, v10, s4
	v_lshrrev_b32_e32 v123, 16, v0
	s_and_saveexec_b32 s18, vcc_lo
	s_cbranch_execz .LBB370_2620
; %bb.2619:                             ;   in Loop: Header=BB370_1564 Depth=1
	v_cmp_lt_i32_e64 s4, v91, v88
	v_cndmask_b32_e64 v92, 0, v92, s4
	v_cmp_lt_i32_e64 s4, v111, v88
	v_cndmask_b32_e64 v125, 0, v125, s4
	;; [unrolled: 2-line block ×8, first 2 shown]
.LBB370_2620:                           ;   in Loop: Header=BB370_1564 Depth=1
	s_or_b32 exec_lo, exec_lo, s18
	v_add_co_u32 v15, s4, 0x1000, v15
	v_add_co_ci_u32_e64 v16, null, 0, v16, s4
	v_mov_b32_e32 v13, 0
	v_mov_b32_e32 v12, 0
	flat_load_dwordx2 v[19:20], v[15:16]
	s_waitcnt vmcnt(0) lgkmcnt(0)
	v_cmp_ne_u16_sdwa s4, v19, v11 src0_sel:BYTE_0 src1_sel:DWORD
	s_and_saveexec_b32 s18, s4
	s_cbranch_execz .LBB370_2628
; %bb.2621:                             ;   in Loop: Header=BB370_1564 Depth=1
	v_cmp_ne_u16_sdwa s4, v19, v83 src0_sel:BYTE_0 src1_sel:DWORD
	v_bfrev_b32_e32 v12, 1
	s_and_saveexec_b32 s19, s4
	s_cbranch_execz .LBB370_2627
; %bb.2622:                             ;   in Loop: Header=BB370_1564 Depth=1
	v_and_b32_e32 v1, 0x7f, v19
	v_mov_b32_e32 v12, 0x7f800001
	s_mov_b32 s20, exec_lo
	v_cmpx_ne_u32_e32 0x7f, v1
	s_cbranch_execz .LBB370_2626
; %bb.2623:                             ;   in Loop: Header=BB370_1564 Depth=1
	v_mov_b32_e32 v22, v20
	v_lshrrev_b32_e32 v0, 3, v1
	v_mov_b32_e32 v21, v19
	s_mov_b32 s21, exec_lo
	v_cmpx_gt_u32_e32 8, v1
; %bb.2624:                             ;   in Loop: Header=BB370_1564 Depth=1
	v_and_b32_e32 v0, 7, v19
	v_ffbh_u32_e32 v0, v0
	v_min_u32_e32 v0, 32, v0
	v_subrev_nc_u32_e32 v1, 28, v0
	v_sub_nc_u32_e32 v0, 29, v0
	v_lshlrev_b64 v[21:22], v1, v[19:20]
; %bb.2625:                             ;   in Loop: Header=BB370_1564 Depth=1
	s_or_b32 exec_lo, exec_lo, s21
	v_lshlrev_b32_e32 v1, 20, v21
	v_lshlrev_b32_e32 v10, 24, v19
	v_lshl_add_u32 v0, v0, 23, 0x3c000000
	v_and_b32_e32 v1, 0x700000, v1
	v_and_b32_e32 v10, 0x80000000, v10
	v_or3_b32 v12, v1, v10, v0
.LBB370_2626:                           ;   in Loop: Header=BB370_1564 Depth=1
	s_or_b32 exec_lo, exec_lo, s20
.LBB370_2627:                           ;   in Loop: Header=BB370_1564 Depth=1
	s_or_b32 exec_lo, exec_lo, s19
.LBB370_2628:                           ;   in Loop: Header=BB370_1564 Depth=1
	s_or_b32 exec_lo, exec_lo, s18
	v_cmp_ne_u16_sdwa s4, v19, v11 src0_sel:BYTE_1 src1_sel:DWORD
	s_and_saveexec_b32 s18, s4
	s_cbranch_execz .LBB370_2636
; %bb.2629:                             ;   in Loop: Header=BB370_1564 Depth=1
	v_cmp_ne_u16_sdwa s4, v19, v83 src0_sel:BYTE_1 src1_sel:DWORD
	v_bfrev_b32_e32 v13, 1
	s_and_saveexec_b32 s19, s4
	s_cbranch_execz .LBB370_2635
; %bb.2630:                             ;   in Loop: Header=BB370_1564 Depth=1
	v_mov_b32_e32 v0, 0xffff
	v_mov_b32_e32 v13, 0x7f800001
	s_mov_b32 s20, exec_lo
	v_and_b32_sdwa v0, v0, v19 dst_sel:DWORD dst_unused:UNUSED_PAD src0_sel:DWORD src1_sel:BYTE_1
	v_and_b32_e32 v1, 0x7f, v0
	v_cmpx_ne_u32_e32 0x7f, v1
	s_cbranch_execz .LBB370_2634
; %bb.2631:                             ;   in Loop: Header=BB370_1564 Depth=1
	v_and_b32_e32 v10, 7, v0
	v_mov_b32_e32 v22, v11
	v_lshrrev_b32_e32 v0, 3, v1
	s_mov_b32 s21, exec_lo
	v_mov_b32_e32 v21, v10
	v_cmpx_gt_u32_e32 8, v1
; %bb.2632:                             ;   in Loop: Header=BB370_1564 Depth=1
	v_ffbh_u32_e32 v0, v10
	v_min_u32_e32 v0, 32, v0
	v_subrev_nc_u32_e32 v1, 28, v0
	v_sub_nc_u32_e32 v0, 29, v0
	v_lshlrev_b64 v[17:18], v1, v[10:11]
	v_and_b32_e32 v21, 7, v17
; %bb.2633:                             ;   in Loop: Header=BB370_1564 Depth=1
	s_or_b32 exec_lo, exec_lo, s21
	v_lshlrev_b32_e32 v1, 16, v19
	v_lshlrev_b32_e32 v10, 20, v21
	v_lshl_add_u32 v0, v0, 23, 0x3c000000
	v_and_b32_e32 v1, 0x80000000, v1
	v_or3_b32 v13, v10, v1, v0
.LBB370_2634:                           ;   in Loop: Header=BB370_1564 Depth=1
	s_or_b32 exec_lo, exec_lo, s20
.LBB370_2635:                           ;   in Loop: Header=BB370_1564 Depth=1
	s_or_b32 exec_lo, exec_lo, s19
.LBB370_2636:                           ;   in Loop: Header=BB370_1564 Depth=1
	s_or_b32 exec_lo, exec_lo, s18
	v_and_b32_sdwa v1, v19, v85 dst_sel:DWORD dst_unused:UNUSED_PAD src0_sel:WORD_1 src1_sel:DWORD
	v_mov_b32_e32 v0, 0
	v_mov_b32_e32 v17, 0
	s_mov_b32 s18, exec_lo
	v_cmpx_ne_u16_e32 0, v1
	s_cbranch_execz .LBB370_2644
; %bb.2637:                             ;   in Loop: Header=BB370_1564 Depth=1
	v_bfrev_b32_e32 v17, 1
	s_mov_b32 s19, exec_lo
	v_cmpx_ne_u16_e32 0x80, v1
	s_cbranch_execz .LBB370_2643
; %bb.2638:                             ;   in Loop: Header=BB370_1564 Depth=1
	v_bfe_u32 v18, v19, 16, 7
	v_mov_b32_e32 v17, 0x7f800001
	s_mov_b32 s20, exec_lo
	v_cmpx_ne_u32_e32 0x7f, v18
	s_cbranch_execz .LBB370_2642
; %bb.2639:                             ;   in Loop: Header=BB370_1564 Depth=1
	v_mov_b32_e32 v1, 7
	s_mov_b32 s21, exec_lo
	v_and_b32_sdwa v10, v19, v1 dst_sel:DWORD dst_unused:UNUSED_PAD src0_sel:WORD_1 src1_sel:DWORD
	v_mov_b32_e32 v22, v11
	v_lshrrev_b32_e32 v1, 3, v18
	v_mov_b32_e32 v21, v10
	v_cmpx_gt_u32_e32 8, v18
; %bb.2640:                             ;   in Loop: Header=BB370_1564 Depth=1
	v_ffbh_u32_e32 v1, v10
	v_min_u32_e32 v1, 32, v1
	v_subrev_nc_u32_e32 v17, 28, v1
	v_sub_nc_u32_e32 v1, 29, v1
	v_lshlrev_b64 v[17:18], v17, v[10:11]
	v_and_b32_e32 v21, 7, v17
; %bb.2641:                             ;   in Loop: Header=BB370_1564 Depth=1
	s_or_b32 exec_lo, exec_lo, s21
	v_mov_b32_e32 v10, 24
	v_lshlrev_b32_e32 v17, 20, v21
	v_lshl_add_u32 v1, v1, 23, 0x3c000000
	v_lshlrev_b32_sdwa v10, v10, v19 dst_sel:DWORD dst_unused:UNUSED_PAD src0_sel:DWORD src1_sel:WORD_1
	v_and_b32_e32 v10, 0x80000000, v10
	v_or3_b32 v17, v17, v10, v1
.LBB370_2642:                           ;   in Loop: Header=BB370_1564 Depth=1
	s_or_b32 exec_lo, exec_lo, s20
.LBB370_2643:                           ;   in Loop: Header=BB370_1564 Depth=1
	s_or_b32 exec_lo, exec_lo, s19
.LBB370_2644:                           ;   in Loop: Header=BB370_1564 Depth=1
	s_or_b32 exec_lo, exec_lo, s18
	s_mov_b32 s18, exec_lo
	v_cmpx_lt_u32_e32 0xffffff, v19
	s_cbranch_execz .LBB370_2652
; %bb.2645:                             ;   in Loop: Header=BB370_1564 Depth=1
	v_cmp_ne_u32_sdwa s4, v19, v83 src0_sel:BYTE_3 src1_sel:DWORD
	v_bfrev_b32_e32 v0, 1
	s_and_saveexec_b32 s19, s4
	s_cbranch_execz .LBB370_2651
; %bb.2646:                             ;   in Loop: Header=BB370_1564 Depth=1
	v_bfe_u32 v1, v19, 24, 7
	v_mov_b32_e32 v0, 0x7f800001
	s_mov_b32 s20, exec_lo
	v_cmpx_ne_u32_e32 0x7f, v1
	s_cbranch_execz .LBB370_2650
; %bb.2647:                             ;   in Loop: Header=BB370_1564 Depth=1
	v_mov_b32_e32 v0, 7
	s_mov_b32 s21, exec_lo
	v_and_b32_sdwa v10, v19, v0 dst_sel:DWORD dst_unused:UNUSED_PAD src0_sel:BYTE_3 src1_sel:DWORD
	v_mov_b32_e32 v22, v11
	v_lshrrev_b32_e32 v0, 3, v1
	v_mov_b32_e32 v21, v10
	v_cmpx_gt_u32_e32 8, v1
; %bb.2648:                             ;   in Loop: Header=BB370_1564 Depth=1
	v_ffbh_u32_e32 v0, v10
	v_min_u32_e32 v0, 32, v0
	v_subrev_nc_u32_e32 v1, 28, v0
	v_sub_nc_u32_e32 v0, 29, v0
	v_lshlrev_b64 v[21:22], v1, v[10:11]
	v_and_b32_e32 v21, 7, v21
; %bb.2649:                             ;   in Loop: Header=BB370_1564 Depth=1
	s_or_b32 exec_lo, exec_lo, s21
	v_mov_b32_e32 v1, 24
	v_lshlrev_b32_e32 v10, 20, v21
	v_lshl_add_u32 v0, v0, 23, 0x3c000000
	v_lshlrev_b32_sdwa v1, v1, v19 dst_sel:DWORD dst_unused:UNUSED_PAD src0_sel:DWORD src1_sel:BYTE_3
	v_and_b32_e32 v1, 0x80000000, v1
	v_or3_b32 v0, v10, v1, v0
.LBB370_2650:                           ;   in Loop: Header=BB370_1564 Depth=1
	s_or_b32 exec_lo, exec_lo, s20
.LBB370_2651:                           ;   in Loop: Header=BB370_1564 Depth=1
	s_or_b32 exec_lo, exec_lo, s19
.LBB370_2652:                           ;   in Loop: Header=BB370_1564 Depth=1
	s_or_b32 exec_lo, exec_lo, s18
	v_mov_b32_e32 v10, v20
	v_cmp_ne_u16_sdwa s4, v20, v11 src0_sel:BYTE_0 src1_sel:DWORD
	v_mov_b32_e32 v26, 0
	v_mov_b32_e32 v1, 0
	s_and_saveexec_b32 s18, s4
	s_cbranch_execz .LBB370_2660
; %bb.2653:                             ;   in Loop: Header=BB370_1564 Depth=1
	v_cmp_ne_u16_sdwa s4, v20, v83 src0_sel:BYTE_0 src1_sel:DWORD
	v_bfrev_b32_e32 v1, 1
	s_and_saveexec_b32 s19, s4
	s_cbranch_execz .LBB370_2659
; %bb.2654:                             ;   in Loop: Header=BB370_1564 Depth=1
	v_and_b32_e32 v18, 0x7f, v20
	v_mov_b32_e32 v1, 0x7f800001
	s_mov_b32 s20, exec_lo
	v_cmpx_ne_u32_e32 0x7f, v18
	s_cbranch_execz .LBB370_2658
; %bb.2655:                             ;   in Loop: Header=BB370_1564 Depth=1
	v_mov_b32_e32 v22, v11
	v_mov_b32_e32 v21, v10
	v_lshrrev_b32_e32 v1, 3, v18
	s_mov_b32 s21, exec_lo
	v_cmpx_gt_u32_e32 8, v18
; %bb.2656:                             ;   in Loop: Header=BB370_1564 Depth=1
	v_and_b32_e32 v1, 7, v20
	v_ffbh_u32_e32 v1, v1
	v_min_u32_e32 v1, 32, v1
	v_subrev_nc_u32_e32 v18, 28, v1
	v_sub_nc_u32_e32 v1, 29, v1
	v_lshlrev_b64 v[21:22], v18, v[10:11]
; %bb.2657:                             ;   in Loop: Header=BB370_1564 Depth=1
	s_or_b32 exec_lo, exec_lo, s21
	v_lshlrev_b32_e32 v18, 20, v21
	v_lshlrev_b32_e32 v21, 24, v10
	v_lshl_add_u32 v1, v1, 23, 0x3c000000
	v_and_b32_e32 v18, 0x700000, v18
	v_and_b32_e32 v21, 0x80000000, v21
	v_or3_b32 v1, v18, v21, v1
.LBB370_2658:                           ;   in Loop: Header=BB370_1564 Depth=1
	s_or_b32 exec_lo, exec_lo, s20
.LBB370_2659:                           ;   in Loop: Header=BB370_1564 Depth=1
	s_or_b32 exec_lo, exec_lo, s19
.LBB370_2660:                           ;   in Loop: Header=BB370_1564 Depth=1
	s_or_b32 exec_lo, exec_lo, s18
	v_cmp_ne_u16_sdwa s4, v10, v11 src0_sel:BYTE_1 src1_sel:DWORD
	s_and_saveexec_b32 s18, s4
	s_cbranch_execz .LBB370_2668
; %bb.2661:                             ;   in Loop: Header=BB370_1564 Depth=1
	v_cmp_ne_u16_sdwa s4, v10, v83 src0_sel:BYTE_1 src1_sel:DWORD
	v_bfrev_b32_e32 v26, 1
	s_and_saveexec_b32 s19, s4
	s_cbranch_execz .LBB370_2667
; %bb.2662:                             ;   in Loop: Header=BB370_1564 Depth=1
	v_mov_b32_e32 v18, 0xffff
	v_mov_b32_e32 v26, 0x7f800001
	s_mov_b32 s20, exec_lo
	v_and_b32_sdwa v18, v18, v10 dst_sel:DWORD dst_unused:UNUSED_PAD src0_sel:DWORD src1_sel:BYTE_1
	v_and_b32_e32 v25, 0x7f, v18
	v_cmpx_ne_u32_e32 0x7f, v25
	s_cbranch_execz .LBB370_2666
; %bb.2663:                             ;   in Loop: Header=BB370_1564 Depth=1
	v_and_b32_e32 v21, 7, v18
	v_mov_b32_e32 v22, v11
	v_lshrrev_b32_e32 v18, 3, v25
	s_mov_b32 s21, exec_lo
	v_cmpx_gt_u32_e32 8, v25
; %bb.2664:                             ;   in Loop: Header=BB370_1564 Depth=1
	v_ffbh_u32_e32 v18, v21
	v_min_u32_e32 v18, 32, v18
	v_subrev_nc_u32_e32 v25, 28, v18
	v_sub_nc_u32_e32 v18, 29, v18
	v_lshlrev_b64 v[21:22], v25, v[21:22]
	v_and_b32_e32 v21, 7, v21
; %bb.2665:                             ;   in Loop: Header=BB370_1564 Depth=1
	s_or_b32 exec_lo, exec_lo, s21
	v_lshlrev_b32_e32 v10, 16, v10
	v_lshlrev_b32_e32 v21, 20, v21
	v_lshl_add_u32 v18, v18, 23, 0x3c000000
	v_and_b32_e32 v10, 0x80000000, v10
	v_or3_b32 v26, v21, v10, v18
.LBB370_2666:                           ;   in Loop: Header=BB370_1564 Depth=1
	s_or_b32 exec_lo, exec_lo, s20
.LBB370_2667:                           ;   in Loop: Header=BB370_1564 Depth=1
	s_or_b32 exec_lo, exec_lo, s19
.LBB370_2668:                           ;   in Loop: Header=BB370_1564 Depth=1
	s_or_b32 exec_lo, exec_lo, s18
	v_and_b32_sdwa v10, v20, v85 dst_sel:DWORD dst_unused:UNUSED_PAD src0_sel:WORD_1 src1_sel:DWORD
	v_mov_b32_e32 v18, 0
	v_mov_b32_e32 v25, 0
	s_mov_b32 s18, exec_lo
	v_cmpx_ne_u16_e32 0, v10
	s_cbranch_execz .LBB370_2676
; %bb.2669:                             ;   in Loop: Header=BB370_1564 Depth=1
	v_bfrev_b32_e32 v25, 1
	s_mov_b32 s19, exec_lo
	v_cmpx_ne_u16_e32 0x80, v10
	s_cbranch_execz .LBB370_2675
; %bb.2670:                             ;   in Loop: Header=BB370_1564 Depth=1
	v_bfe_u32 v27, v20, 16, 7
	v_mov_b32_e32 v25, 0x7f800001
	s_mov_b32 s20, exec_lo
	v_cmpx_ne_u32_e32 0x7f, v27
	s_cbranch_execz .LBB370_2674
; %bb.2671:                             ;   in Loop: Header=BB370_1564 Depth=1
	v_mov_b32_e32 v10, 7
	s_mov_b32 s21, exec_lo
	v_and_b32_sdwa v10, v20, v10 dst_sel:DWORD dst_unused:UNUSED_PAD src0_sel:WORD_1 src1_sel:DWORD
	v_mov_b32_e32 v22, v11
	v_lshrrev_b32_e32 v22, 3, v27
	v_mov_b32_e32 v21, v10
	v_cmpx_gt_u32_e32 8, v27
; %bb.2672:                             ;   in Loop: Header=BB370_1564 Depth=1
	v_ffbh_u32_e32 v21, v10
	v_min_u32_e32 v25, 32, v21
	v_subrev_nc_u32_e32 v21, 28, v25
	v_lshlrev_b64 v[21:22], v21, v[10:11]
	v_sub_nc_u32_e32 v22, 29, v25
	v_and_b32_e32 v21, 7, v21
; %bb.2673:                             ;   in Loop: Header=BB370_1564 Depth=1
	s_or_b32 exec_lo, exec_lo, s21
	v_mov_b32_e32 v10, 24
	v_lshlrev_b32_e32 v21, 20, v21
	v_lshl_add_u32 v22, v22, 23, 0x3c000000
	v_lshlrev_b32_sdwa v10, v10, v20 dst_sel:DWORD dst_unused:UNUSED_PAD src0_sel:DWORD src1_sel:WORD_1
	v_and_b32_e32 v10, 0x80000000, v10
	v_or3_b32 v25, v21, v10, v22
.LBB370_2674:                           ;   in Loop: Header=BB370_1564 Depth=1
	s_or_b32 exec_lo, exec_lo, s20
.LBB370_2675:                           ;   in Loop: Header=BB370_1564 Depth=1
	s_or_b32 exec_lo, exec_lo, s19
.LBB370_2676:                           ;   in Loop: Header=BB370_1564 Depth=1
	s_or_b32 exec_lo, exec_lo, s18
	s_mov_b32 s18, exec_lo
	v_cmpx_lt_u64_e64 s[6:7], v[19:20]
	s_cbranch_execz .LBB370_2684
; %bb.2677:                             ;   in Loop: Header=BB370_1564 Depth=1
	v_cmp_ne_u32_sdwa s4, v20, v83 src0_sel:BYTE_3 src1_sel:DWORD
	v_bfrev_b32_e32 v18, 1
	s_and_saveexec_b32 s19, s4
	s_cbranch_execz .LBB370_2683
; %bb.2678:                             ;   in Loop: Header=BB370_1564 Depth=1
	v_bfe_u32 v19, v20, 24, 7
	v_mov_b32_e32 v18, 0x7f800001
	s_mov_b32 s20, exec_lo
	v_cmpx_ne_u32_e32 0x7f, v19
	s_cbranch_execz .LBB370_2682
; %bb.2679:                             ;   in Loop: Header=BB370_1564 Depth=1
	v_mov_b32_e32 v10, 7
	v_lshrrev_b32_e32 v18, 3, v19
	s_mov_b32 s21, exec_lo
	v_and_b32_sdwa v10, v20, v10 dst_sel:DWORD dst_unused:UNUSED_PAD src0_sel:BYTE_3 src1_sel:DWORD
	v_mov_b32_e32 v22, v11
	v_mov_b32_e32 v21, v10
	v_cmpx_gt_u32_e32 8, v19
; %bb.2680:                             ;   in Loop: Header=BB370_1564 Depth=1
	v_ffbh_u32_e32 v18, v10
	v_min_u32_e32 v18, 32, v18
	v_subrev_nc_u32_e32 v19, 28, v18
	v_sub_nc_u32_e32 v18, 29, v18
	v_lshlrev_b64 v[21:22], v19, v[10:11]
	v_and_b32_e32 v21, 7, v21
; %bb.2681:                             ;   in Loop: Header=BB370_1564 Depth=1
	s_or_b32 exec_lo, exec_lo, s21
	v_mov_b32_e32 v10, 24
	v_lshlrev_b32_e32 v19, 20, v21
	v_lshl_add_u32 v18, v18, 23, 0x3c000000
	v_lshlrev_b32_sdwa v10, v10, v20 dst_sel:DWORD dst_unused:UNUSED_PAD src0_sel:DWORD src1_sel:BYTE_3
	v_and_b32_e32 v10, 0x80000000, v10
	v_or3_b32 v18, v19, v10, v18
.LBB370_2682:                           ;   in Loop: Header=BB370_1564 Depth=1
	s_or_b32 exec_lo, exec_lo, s20
.LBB370_2683:                           ;   in Loop: Header=BB370_1564 Depth=1
	s_or_b32 exec_lo, exec_lo, s19
.LBB370_2684:                           ;   in Loop: Header=BB370_1564 Depth=1
	s_or_b32 exec_lo, exec_lo, s18
	v_mul_f32_e32 v10, v71, v26
	v_mul_f32_e32 v1, v71, v1
	;; [unrolled: 1-line block ×3, first 2 shown]
	v_bfe_u32 v19, v10, 16, 1
	v_or_b32_e32 v20, 0x400000, v10
	v_cmp_u_f32_e64 s4, v10, v10
	v_add3_u32 v19, v19, v10, 0x7fff
	v_cndmask_b32_e64 v10, v19, v20, s4
	v_or_b32_e32 v19, 0x400000, v1
	v_cmp_u_f32_e64 s4, v1, v1
	v_lshrrev_b32_e32 v33, 16, v10
	v_bfe_u32 v10, v1, 16, 1
	v_add3_u32 v10, v10, v1, 0x7fff
	v_cndmask_b32_e64 v1, v10, v19, s4
	v_bfe_u32 v10, v0, 16, 1
	v_or_b32_e32 v19, 0x400000, v0
	v_cmp_u_f32_e64 s4, v0, v0
	v_lshrrev_b32_e32 v1, 16, v1
	v_add3_u32 v10, v10, v0, 0x7fff
	v_cndmask_b32_e64 v0, v10, v19, s4
	v_mul_f32_e32 v10, v71, v17
	v_lshrrev_b32_e32 v0, 16, v0
	v_bfe_u32 v17, v10, 16, 1
	v_or_b32_e32 v19, 0x400000, v10
	v_cmp_u_f32_e64 s4, v10, v10
	v_add3_u32 v17, v17, v10, 0x7fff
	v_cndmask_b32_e64 v10, v17, v19, s4
	v_lshrrev_b32_e32 v31, 16, v10
	v_mul_f32_e32 v10, v71, v13
	v_bfe_u32 v13, v10, 16, 1
	v_or_b32_e32 v17, 0x400000, v10
	v_cmp_u_f32_e64 s4, v10, v10
	v_add3_u32 v13, v13, v10, 0x7fff
	v_cndmask_b32_e64 v10, v13, v17, s4
	v_lshrrev_b32_e32 v30, 16, v10
	v_mul_f32_e32 v10, v71, v12
	;; [unrolled: 7-line block ×4, first 2 shown]
	v_bfe_u32 v12, v10, 16, 1
	v_or_b32_e32 v13, 0x400000, v10
	v_cmp_u_f32_e64 s4, v10, v10
	v_add3_u32 v12, v12, v10, 0x7fff
	v_cndmask_b32_e64 v10, v12, v13, s4
	v_lshrrev_b32_e32 v82, 16, v10
	s_and_saveexec_b32 s18, vcc_lo
	s_cbranch_execz .LBB370_2686
; %bb.2685:                             ;   in Loop: Header=BB370_1564 Depth=1
	v_cmp_lt_i32_e64 s4, v91, v88
	v_cndmask_b32_e64 v81, 0, v81, s4
	v_cmp_lt_i32_e64 s4, v111, v88
	v_cndmask_b32_e64 v30, 0, v30, s4
	;; [unrolled: 2-line block ×8, first 2 shown]
.LBB370_2686:                           ;   in Loop: Header=BB370_1564 Depth=1
	s_or_b32 exec_lo, exec_lo, s18
	flat_load_dwordx2 v[19:20], v[15:16] offset:256
	v_mov_b32_e32 v25, 0
	v_mov_b32_e32 v26, 0
	s_waitcnt vmcnt(0) lgkmcnt(0)
	v_cmp_ne_u16_sdwa s4, v19, v11 src0_sel:BYTE_0 src1_sel:DWORD
	s_and_saveexec_b32 s18, s4
	s_cbranch_execz .LBB370_2694
; %bb.2687:                             ;   in Loop: Header=BB370_1564 Depth=1
	v_cmp_ne_u16_sdwa s4, v19, v83 src0_sel:BYTE_0 src1_sel:DWORD
	v_bfrev_b32_e32 v26, 1
	s_and_saveexec_b32 s19, s4
	s_cbranch_execz .LBB370_2693
; %bb.2688:                             ;   in Loop: Header=BB370_1564 Depth=1
	v_and_b32_e32 v12, 0x7f, v19
	v_mov_b32_e32 v26, 0x7f800001
	s_mov_b32 s20, exec_lo
	v_cmpx_ne_u32_e32 0x7f, v12
	s_cbranch_execz .LBB370_2692
; %bb.2689:                             ;   in Loop: Header=BB370_1564 Depth=1
	v_mov_b32_e32 v22, v20
	v_lshrrev_b32_e32 v10, 3, v12
	v_mov_b32_e32 v21, v19
	s_mov_b32 s21, exec_lo
	v_cmpx_gt_u32_e32 8, v12
; %bb.2690:                             ;   in Loop: Header=BB370_1564 Depth=1
	v_and_b32_e32 v10, 7, v19
	v_ffbh_u32_e32 v10, v10
	v_min_u32_e32 v10, 32, v10
	v_subrev_nc_u32_e32 v12, 28, v10
	v_sub_nc_u32_e32 v10, 29, v10
	v_lshlrev_b64 v[21:22], v12, v[19:20]
; %bb.2691:                             ;   in Loop: Header=BB370_1564 Depth=1
	s_or_b32 exec_lo, exec_lo, s21
	v_lshlrev_b32_e32 v12, 20, v21
	v_lshlrev_b32_e32 v13, 24, v19
	v_lshl_add_u32 v10, v10, 23, 0x3c000000
	v_and_b32_e32 v12, 0x700000, v12
	v_and_b32_e32 v13, 0x80000000, v13
	v_or3_b32 v26, v12, v13, v10
.LBB370_2692:                           ;   in Loop: Header=BB370_1564 Depth=1
	s_or_b32 exec_lo, exec_lo, s20
.LBB370_2693:                           ;   in Loop: Header=BB370_1564 Depth=1
	s_or_b32 exec_lo, exec_lo, s19
.LBB370_2694:                           ;   in Loop: Header=BB370_1564 Depth=1
	s_or_b32 exec_lo, exec_lo, s18
	v_cmp_ne_u16_sdwa s4, v19, v11 src0_sel:BYTE_1 src1_sel:DWORD
	s_and_saveexec_b32 s18, s4
	s_cbranch_execz .LBB370_2702
; %bb.2695:                             ;   in Loop: Header=BB370_1564 Depth=1
	v_cmp_ne_u16_sdwa s4, v19, v83 src0_sel:BYTE_1 src1_sel:DWORD
	v_bfrev_b32_e32 v25, 1
	s_and_saveexec_b32 s19, s4
	s_cbranch_execz .LBB370_2701
; %bb.2696:                             ;   in Loop: Header=BB370_1564 Depth=1
	v_mov_b32_e32 v10, 0xffff
	v_mov_b32_e32 v25, 0x7f800001
	s_mov_b32 s20, exec_lo
	v_and_b32_sdwa v10, v10, v19 dst_sel:DWORD dst_unused:UNUSED_PAD src0_sel:DWORD src1_sel:BYTE_1
	v_and_b32_e32 v13, 0x7f, v10
	v_cmpx_ne_u32_e32 0x7f, v13
	s_cbranch_execz .LBB370_2700
; %bb.2697:                             ;   in Loop: Header=BB370_1564 Depth=1
	v_and_b32_e32 v10, 7, v10
	v_mov_b32_e32 v22, v11
	v_lshrrev_b32_e32 v12, 3, v13
	s_mov_b32 s21, exec_lo
	v_mov_b32_e32 v21, v10
	v_cmpx_gt_u32_e32 8, v13
; %bb.2698:                             ;   in Loop: Header=BB370_1564 Depth=1
	v_ffbh_u32_e32 v12, v10
	v_min_u32_e32 v12, 32, v12
	v_subrev_nc_u32_e32 v13, 28, v12
	v_sub_nc_u32_e32 v12, 29, v12
	v_lshlrev_b64 v[17:18], v13, v[10:11]
	v_and_b32_e32 v21, 7, v17
; %bb.2699:                             ;   in Loop: Header=BB370_1564 Depth=1
	s_or_b32 exec_lo, exec_lo, s21
	v_lshlrev_b32_e32 v10, 16, v19
	v_lshlrev_b32_e32 v13, 20, v21
	v_lshl_add_u32 v12, v12, 23, 0x3c000000
	v_and_b32_e32 v10, 0x80000000, v10
	v_or3_b32 v25, v13, v10, v12
.LBB370_2700:                           ;   in Loop: Header=BB370_1564 Depth=1
	s_or_b32 exec_lo, exec_lo, s20
.LBB370_2701:                           ;   in Loop: Header=BB370_1564 Depth=1
	s_or_b32 exec_lo, exec_lo, s19
.LBB370_2702:                           ;   in Loop: Header=BB370_1564 Depth=1
	s_or_b32 exec_lo, exec_lo, s18
	v_and_b32_sdwa v10, v19, v85 dst_sel:DWORD dst_unused:UNUSED_PAD src0_sel:WORD_1 src1_sel:DWORD
	v_mov_b32_e32 v17, 0
	v_mov_b32_e32 v18, 0
	s_mov_b32 s18, exec_lo
	v_cmpx_ne_u16_e32 0, v10
	s_cbranch_execz .LBB370_2710
; %bb.2703:                             ;   in Loop: Header=BB370_1564 Depth=1
	v_bfrev_b32_e32 v18, 1
	s_mov_b32 s19, exec_lo
	v_cmpx_ne_u16_e32 0x80, v10
	s_cbranch_execz .LBB370_2709
; %bb.2704:                             ;   in Loop: Header=BB370_1564 Depth=1
	v_bfe_u32 v13, v19, 16, 7
	v_mov_b32_e32 v18, 0x7f800001
	s_mov_b32 s20, exec_lo
	v_cmpx_ne_u32_e32 0x7f, v13
	s_cbranch_execz .LBB370_2708
; %bb.2705:                             ;   in Loop: Header=BB370_1564 Depth=1
	v_mov_b32_e32 v10, 7
	v_lshrrev_b32_e32 v12, 3, v13
	s_mov_b32 s21, exec_lo
	v_and_b32_sdwa v10, v19, v10 dst_sel:DWORD dst_unused:UNUSED_PAD src0_sel:WORD_1 src1_sel:DWORD
	v_mov_b32_e32 v22, v11
	v_mov_b32_e32 v21, v10
	v_cmpx_gt_u32_e32 8, v13
; %bb.2706:                             ;   in Loop: Header=BB370_1564 Depth=1
	v_ffbh_u32_e32 v12, v10
	v_min_u32_e32 v12, 32, v12
	v_subrev_nc_u32_e32 v13, 28, v12
	v_sub_nc_u32_e32 v12, 29, v12
	v_lshlrev_b64 v[21:22], v13, v[10:11]
	v_and_b32_e32 v21, 7, v21
; %bb.2707:                             ;   in Loop: Header=BB370_1564 Depth=1
	s_or_b32 exec_lo, exec_lo, s21
	v_mov_b32_e32 v10, 24
	v_lshlrev_b32_e32 v13, 20, v21
	v_lshl_add_u32 v12, v12, 23, 0x3c000000
	v_lshlrev_b32_sdwa v10, v10, v19 dst_sel:DWORD dst_unused:UNUSED_PAD src0_sel:DWORD src1_sel:WORD_1
	v_and_b32_e32 v10, 0x80000000, v10
	v_or3_b32 v18, v13, v10, v12
.LBB370_2708:                           ;   in Loop: Header=BB370_1564 Depth=1
	s_or_b32 exec_lo, exec_lo, s20
.LBB370_2709:                           ;   in Loop: Header=BB370_1564 Depth=1
	s_or_b32 exec_lo, exec_lo, s19
.LBB370_2710:                           ;   in Loop: Header=BB370_1564 Depth=1
	s_or_b32 exec_lo, exec_lo, s18
	s_mov_b32 s18, exec_lo
	v_cmpx_lt_u32_e32 0xffffff, v19
	s_cbranch_execz .LBB370_2718
; %bb.2711:                             ;   in Loop: Header=BB370_1564 Depth=1
	v_cmp_ne_u32_sdwa s4, v19, v83 src0_sel:BYTE_3 src1_sel:DWORD
	v_bfrev_b32_e32 v17, 1
	s_and_saveexec_b32 s19, s4
	s_cbranch_execz .LBB370_2717
; %bb.2712:                             ;   in Loop: Header=BB370_1564 Depth=1
	v_bfe_u32 v13, v19, 24, 7
	v_mov_b32_e32 v17, 0x7f800001
	s_mov_b32 s20, exec_lo
	v_cmpx_ne_u32_e32 0x7f, v13
	s_cbranch_execz .LBB370_2716
; %bb.2713:                             ;   in Loop: Header=BB370_1564 Depth=1
	v_mov_b32_e32 v10, 7
	v_lshrrev_b32_e32 v12, 3, v13
	s_mov_b32 s21, exec_lo
	v_and_b32_sdwa v10, v19, v10 dst_sel:DWORD dst_unused:UNUSED_PAD src0_sel:BYTE_3 src1_sel:DWORD
	v_mov_b32_e32 v22, v11
	v_mov_b32_e32 v21, v10
	v_cmpx_gt_u32_e32 8, v13
; %bb.2714:                             ;   in Loop: Header=BB370_1564 Depth=1
	v_ffbh_u32_e32 v12, v10
	v_min_u32_e32 v12, 32, v12
	v_subrev_nc_u32_e32 v13, 28, v12
	v_sub_nc_u32_e32 v12, 29, v12
	v_lshlrev_b64 v[21:22], v13, v[10:11]
	v_and_b32_e32 v21, 7, v21
; %bb.2715:                             ;   in Loop: Header=BB370_1564 Depth=1
	s_or_b32 exec_lo, exec_lo, s21
	v_mov_b32_e32 v10, 24
	v_lshlrev_b32_e32 v13, 20, v21
	v_lshl_add_u32 v12, v12, 23, 0x3c000000
	v_lshlrev_b32_sdwa v10, v10, v19 dst_sel:DWORD dst_unused:UNUSED_PAD src0_sel:DWORD src1_sel:BYTE_3
	v_and_b32_e32 v10, 0x80000000, v10
	v_or3_b32 v17, v13, v10, v12
.LBB370_2716:                           ;   in Loop: Header=BB370_1564 Depth=1
	s_or_b32 exec_lo, exec_lo, s20
.LBB370_2717:                           ;   in Loop: Header=BB370_1564 Depth=1
	s_or_b32 exec_lo, exec_lo, s19
.LBB370_2718:                           ;   in Loop: Header=BB370_1564 Depth=1
	s_or_b32 exec_lo, exec_lo, s18
	v_mov_b32_e32 v10, v20
	v_cmp_ne_u16_sdwa s4, v20, v11 src0_sel:BYTE_0 src1_sel:DWORD
	v_mov_b32_e32 v12, 0
	v_mov_b32_e32 v13, 0
	s_and_saveexec_b32 s18, s4
	s_cbranch_execz .LBB370_2726
; %bb.2719:                             ;   in Loop: Header=BB370_1564 Depth=1
	v_cmp_ne_u16_sdwa s4, v20, v83 src0_sel:BYTE_0 src1_sel:DWORD
	v_bfrev_b32_e32 v13, 1
	s_and_saveexec_b32 s19, s4
	s_cbranch_execz .LBB370_2725
; %bb.2720:                             ;   in Loop: Header=BB370_1564 Depth=1
	v_and_b32_e32 v27, 0x7f, v20
	v_mov_b32_e32 v13, 0x7f800001
	s_mov_b32 s20, exec_lo
	v_cmpx_ne_u32_e32 0x7f, v27
	s_cbranch_execz .LBB370_2724
; %bb.2721:                             ;   in Loop: Header=BB370_1564 Depth=1
	v_mov_b32_e32 v22, v11
	v_mov_b32_e32 v21, v10
	v_lshrrev_b32_e32 v13, 3, v27
	s_mov_b32 s21, exec_lo
	v_cmpx_gt_u32_e32 8, v27
; %bb.2722:                             ;   in Loop: Header=BB370_1564 Depth=1
	v_and_b32_e32 v13, 7, v20
	v_ffbh_u32_e32 v13, v13
	v_min_u32_e32 v13, 32, v13
	v_subrev_nc_u32_e32 v21, 28, v13
	v_sub_nc_u32_e32 v13, 29, v13
	v_lshlrev_b64 v[21:22], v21, v[10:11]
; %bb.2723:                             ;   in Loop: Header=BB370_1564 Depth=1
	s_or_b32 exec_lo, exec_lo, s21
	v_lshlrev_b32_e32 v21, 20, v21
	v_lshlrev_b32_e32 v22, 24, v10
	v_lshl_add_u32 v13, v13, 23, 0x3c000000
	v_and_b32_e32 v21, 0x700000, v21
	v_and_b32_e32 v22, 0x80000000, v22
	v_or3_b32 v13, v21, v22, v13
.LBB370_2724:                           ;   in Loop: Header=BB370_1564 Depth=1
	s_or_b32 exec_lo, exec_lo, s20
.LBB370_2725:                           ;   in Loop: Header=BB370_1564 Depth=1
	s_or_b32 exec_lo, exec_lo, s19
.LBB370_2726:                           ;   in Loop: Header=BB370_1564 Depth=1
	s_or_b32 exec_lo, exec_lo, s18
	v_cmp_ne_u16_sdwa s4, v10, v11 src0_sel:BYTE_1 src1_sel:DWORD
	s_and_saveexec_b32 s18, s4
	s_cbranch_execz .LBB370_2734
; %bb.2727:                             ;   in Loop: Header=BB370_1564 Depth=1
	v_cmp_ne_u16_sdwa s4, v10, v83 src0_sel:BYTE_1 src1_sel:DWORD
	v_bfrev_b32_e32 v12, 1
	s_and_saveexec_b32 s19, s4
	s_cbranch_execz .LBB370_2733
; %bb.2728:                             ;   in Loop: Header=BB370_1564 Depth=1
	v_mov_b32_e32 v12, 0xffff
	s_mov_b32 s20, exec_lo
	v_and_b32_sdwa v21, v12, v10 dst_sel:DWORD dst_unused:UNUSED_PAD src0_sel:DWORD src1_sel:BYTE_1
	v_mov_b32_e32 v12, 0x7f800001
	v_and_b32_e32 v27, 0x7f, v21
	v_cmpx_ne_u32_e32 0x7f, v27
	s_cbranch_execz .LBB370_2732
; %bb.2729:                             ;   in Loop: Header=BB370_1564 Depth=1
	v_and_b32_e32 v21, 7, v21
	v_mov_b32_e32 v22, v11
	v_lshrrev_b32_e32 v12, 3, v27
	s_mov_b32 s21, exec_lo
	v_cmpx_gt_u32_e32 8, v27
; %bb.2730:                             ;   in Loop: Header=BB370_1564 Depth=1
	v_ffbh_u32_e32 v12, v21
	v_min_u32_e32 v12, 32, v12
	v_subrev_nc_u32_e32 v27, 28, v12
	v_sub_nc_u32_e32 v12, 29, v12
	v_lshlrev_b64 v[21:22], v27, v[21:22]
	v_and_b32_e32 v21, 7, v21
; %bb.2731:                             ;   in Loop: Header=BB370_1564 Depth=1
	s_or_b32 exec_lo, exec_lo, s21
	v_lshlrev_b32_e32 v10, 16, v10
	v_lshlrev_b32_e32 v21, 20, v21
	v_lshl_add_u32 v12, v12, 23, 0x3c000000
	v_and_b32_e32 v10, 0x80000000, v10
	v_or3_b32 v12, v21, v10, v12
.LBB370_2732:                           ;   in Loop: Header=BB370_1564 Depth=1
	s_or_b32 exec_lo, exec_lo, s20
.LBB370_2733:                           ;   in Loop: Header=BB370_1564 Depth=1
	s_or_b32 exec_lo, exec_lo, s19
.LBB370_2734:                           ;   in Loop: Header=BB370_1564 Depth=1
	s_or_b32 exec_lo, exec_lo, s18
	v_and_b32_sdwa v10, v20, v85 dst_sel:DWORD dst_unused:UNUSED_PAD src0_sel:WORD_1 src1_sel:DWORD
	v_mov_b32_e32 v27, 0
	v_mov_b32_e32 v28, 0
	s_mov_b32 s18, exec_lo
	v_cmpx_ne_u16_e32 0, v10
	s_cbranch_execz .LBB370_2742
; %bb.2735:                             ;   in Loop: Header=BB370_1564 Depth=1
	v_bfrev_b32_e32 v28, 1
	s_mov_b32 s19, exec_lo
	v_cmpx_ne_u16_e32 0x80, v10
	s_cbranch_execz .LBB370_2741
; %bb.2736:                             ;   in Loop: Header=BB370_1564 Depth=1
	v_bfe_u32 v29, v20, 16, 7
	v_mov_b32_e32 v28, 0x7f800001
	s_mov_b32 s20, exec_lo
	v_cmpx_ne_u32_e32 0x7f, v29
	s_cbranch_execz .LBB370_2740
; %bb.2737:                             ;   in Loop: Header=BB370_1564 Depth=1
	v_mov_b32_e32 v10, 7
	s_mov_b32 s21, exec_lo
	v_and_b32_sdwa v10, v20, v10 dst_sel:DWORD dst_unused:UNUSED_PAD src0_sel:WORD_1 src1_sel:DWORD
	v_mov_b32_e32 v22, v11
	v_lshrrev_b32_e32 v22, 3, v29
	v_mov_b32_e32 v21, v10
	v_cmpx_gt_u32_e32 8, v29
; %bb.2738:                             ;   in Loop: Header=BB370_1564 Depth=1
	v_ffbh_u32_e32 v21, v10
	v_min_u32_e32 v28, 32, v21
	v_subrev_nc_u32_e32 v21, 28, v28
	v_lshlrev_b64 v[21:22], v21, v[10:11]
	v_sub_nc_u32_e32 v22, 29, v28
	v_and_b32_e32 v21, 7, v21
; %bb.2739:                             ;   in Loop: Header=BB370_1564 Depth=1
	s_or_b32 exec_lo, exec_lo, s21
	v_mov_b32_e32 v10, 24
	v_lshlrev_b32_e32 v21, 20, v21
	v_lshl_add_u32 v22, v22, 23, 0x3c000000
	v_lshlrev_b32_sdwa v10, v10, v20 dst_sel:DWORD dst_unused:UNUSED_PAD src0_sel:DWORD src1_sel:WORD_1
	v_and_b32_e32 v10, 0x80000000, v10
	v_or3_b32 v28, v21, v10, v22
.LBB370_2740:                           ;   in Loop: Header=BB370_1564 Depth=1
	s_or_b32 exec_lo, exec_lo, s20
.LBB370_2741:                           ;   in Loop: Header=BB370_1564 Depth=1
	s_or_b32 exec_lo, exec_lo, s19
.LBB370_2742:                           ;   in Loop: Header=BB370_1564 Depth=1
	s_or_b32 exec_lo, exec_lo, s18
	s_mov_b32 s18, exec_lo
	v_cmpx_lt_u64_e64 s[6:7], v[19:20]
	s_cbranch_execz .LBB370_2750
; %bb.2743:                             ;   in Loop: Header=BB370_1564 Depth=1
	v_cmp_ne_u32_sdwa s4, v20, v83 src0_sel:BYTE_3 src1_sel:DWORD
	v_bfrev_b32_e32 v27, 1
	s_and_saveexec_b32 s19, s4
	s_cbranch_execz .LBB370_2749
; %bb.2744:                             ;   in Loop: Header=BB370_1564 Depth=1
	v_bfe_u32 v29, v20, 24, 7
	v_mov_b32_e32 v27, 0x7f800001
	s_mov_b32 s20, exec_lo
	v_cmpx_ne_u32_e32 0x7f, v29
	s_cbranch_execz .LBB370_2748
; %bb.2745:                             ;   in Loop: Header=BB370_1564 Depth=1
	v_mov_b32_e32 v10, 7
	v_lshrrev_b32_e32 v19, 3, v29
	s_mov_b32 s21, exec_lo
	v_and_b32_sdwa v10, v20, v10 dst_sel:DWORD dst_unused:UNUSED_PAD src0_sel:BYTE_3 src1_sel:DWORD
	v_mov_b32_e32 v22, v11
	v_mov_b32_e32 v21, v10
	v_cmpx_gt_u32_e32 8, v29
; %bb.2746:                             ;   in Loop: Header=BB370_1564 Depth=1
	v_ffbh_u32_e32 v19, v10
	v_min_u32_e32 v19, 32, v19
	v_subrev_nc_u32_e32 v21, 28, v19
	v_sub_nc_u32_e32 v19, 29, v19
	v_lshlrev_b64 v[21:22], v21, v[10:11]
	v_and_b32_e32 v21, 7, v21
; %bb.2747:                             ;   in Loop: Header=BB370_1564 Depth=1
	s_or_b32 exec_lo, exec_lo, s21
	v_mov_b32_e32 v10, 24
	v_lshl_add_u32 v19, v19, 23, 0x3c000000
	v_lshlrev_b32_sdwa v10, v10, v20 dst_sel:DWORD dst_unused:UNUSED_PAD src0_sel:DWORD src1_sel:BYTE_3
	v_lshlrev_b32_e32 v20, 20, v21
	v_and_b32_e32 v10, 0x80000000, v10
	v_or3_b32 v27, v20, v10, v19
.LBB370_2748:                           ;   in Loop: Header=BB370_1564 Depth=1
	s_or_b32 exec_lo, exec_lo, s20
.LBB370_2749:                           ;   in Loop: Header=BB370_1564 Depth=1
	s_or_b32 exec_lo, exec_lo, s19
.LBB370_2750:                           ;   in Loop: Header=BB370_1564 Depth=1
	s_or_b32 exec_lo, exec_lo, s18
	v_mul_f32_e32 v10, v71, v12
	v_bfe_u32 v12, v10, 16, 1
	v_or_b32_e32 v19, 0x400000, v10
	v_cmp_u_f32_e64 s4, v10, v10
	v_add3_u32 v12, v12, v10, 0x7fff
	v_cndmask_b32_e64 v10, v12, v19, s4
	v_lshrrev_b32_e32 v12, 16, v10
	v_mul_f32_e32 v10, v71, v13
	v_bfe_u32 v13, v10, 16, 1
	v_or_b32_e32 v19, 0x400000, v10
	v_cmp_u_f32_e64 s4, v10, v10
	v_add3_u32 v13, v13, v10, 0x7fff
	v_cndmask_b32_e64 v10, v13, v19, s4
	v_lshrrev_b32_e32 v13, 16, v10
	;; [unrolled: 7-line block ×8, first 2 shown]
	s_and_saveexec_b32 s18, vcc_lo
	s_cbranch_execz .LBB370_2752
; %bb.2751:                             ;   in Loop: Header=BB370_1564 Depth=1
	v_cmp_lt_i32_e64 s4, v91, v88
	v_cndmask_b32_e64 v96, 0, v96, s4
	v_cmp_lt_i32_e64 s4, v111, v88
	v_cndmask_b32_e64 v25, 0, v25, s4
	;; [unrolled: 2-line block ×8, first 2 shown]
.LBB370_2752:                           ;   in Loop: Header=BB370_1564 Depth=1
	s_or_b32 exec_lo, exec_lo, s18
	flat_load_dwordx2 v[19:20], v[15:16] offset:512
	v_mov_b32_e32 v27, 0
	v_mov_b32_e32 v26, 0
	s_waitcnt vmcnt(0) lgkmcnt(0)
	v_cmp_ne_u16_sdwa s4, v19, v11 src0_sel:BYTE_0 src1_sel:DWORD
	s_and_saveexec_b32 s18, s4
	s_cbranch_execz .LBB370_2760
; %bb.2753:                             ;   in Loop: Header=BB370_1564 Depth=1
	v_cmp_ne_u16_sdwa s4, v19, v83 src0_sel:BYTE_0 src1_sel:DWORD
	v_bfrev_b32_e32 v26, 1
	s_and_saveexec_b32 s19, s4
	s_cbranch_execz .LBB370_2759
; %bb.2754:                             ;   in Loop: Header=BB370_1564 Depth=1
	v_and_b32_e32 v21, 0x7f, v19
	v_mov_b32_e32 v26, 0x7f800001
	s_mov_b32 s20, exec_lo
	v_cmpx_ne_u32_e32 0x7f, v21
	s_cbranch_execz .LBB370_2758
; %bb.2755:                             ;   in Loop: Header=BB370_1564 Depth=1
	v_lshrrev_b32_e32 v10, 3, v21
	v_cmp_gt_u32_e64 s4, 8, v21
	v_mov_b32_e32 v22, v20
	v_mov_b32_e32 v21, v19
	s_and_saveexec_b32 s21, s4
; %bb.2756:                             ;   in Loop: Header=BB370_1564 Depth=1
	v_and_b32_e32 v10, 7, v19
	v_ffbh_u32_e32 v10, v10
	v_min_u32_e32 v10, 32, v10
	v_subrev_nc_u32_e32 v21, 28, v10
	v_sub_nc_u32_e32 v10, 29, v10
	v_lshlrev_b64 v[21:22], v21, v[19:20]
; %bb.2757:                             ;   in Loop: Header=BB370_1564 Depth=1
	s_or_b32 exec_lo, exec_lo, s21
	v_lshlrev_b32_e32 v21, 20, v21
	v_lshlrev_b32_e32 v22, 24, v19
	v_lshl_add_u32 v10, v10, 23, 0x3c000000
	v_and_b32_e32 v21, 0x700000, v21
	v_and_b32_e32 v22, 0x80000000, v22
	v_or3_b32 v26, v21, v22, v10
.LBB370_2758:                           ;   in Loop: Header=BB370_1564 Depth=1
	s_or_b32 exec_lo, exec_lo, s20
.LBB370_2759:                           ;   in Loop: Header=BB370_1564 Depth=1
	s_or_b32 exec_lo, exec_lo, s19
.LBB370_2760:                           ;   in Loop: Header=BB370_1564 Depth=1
	s_or_b32 exec_lo, exec_lo, s18
	v_cmp_ne_u16_sdwa s4, v19, v11 src0_sel:BYTE_1 src1_sel:DWORD
	s_and_saveexec_b32 s18, s4
	s_cbranch_execz .LBB370_2768
; %bb.2761:                             ;   in Loop: Header=BB370_1564 Depth=1
	v_cmp_ne_u16_sdwa s4, v19, v83 src0_sel:BYTE_1 src1_sel:DWORD
	v_bfrev_b32_e32 v27, 1
	s_and_saveexec_b32 s19, s4
	s_cbranch_execz .LBB370_2767
; %bb.2762:                             ;   in Loop: Header=BB370_1564 Depth=1
	v_mov_b32_e32 v10, 0xffff
	v_mov_b32_e32 v27, 0x7f800001
	s_mov_b32 s20, exec_lo
	v_and_b32_sdwa v10, v10, v19 dst_sel:DWORD dst_unused:UNUSED_PAD src0_sel:DWORD src1_sel:BYTE_1
	v_and_b32_e32 v28, 0x7f, v10
	v_cmpx_ne_u32_e32 0x7f, v28
	s_cbranch_execz .LBB370_2766
; %bb.2763:                             ;   in Loop: Header=BB370_1564 Depth=1
	v_and_b32_e32 v10, 7, v10
	v_mov_b32_e32 v22, v11
	v_lshrrev_b32_e32 v22, 3, v28
	s_mov_b32 s21, exec_lo
	v_mov_b32_e32 v21, v10
	v_cmpx_gt_u32_e32 8, v28
; %bb.2764:                             ;   in Loop: Header=BB370_1564 Depth=1
	v_ffbh_u32_e32 v21, v10
	v_min_u32_e32 v27, 32, v21
	v_subrev_nc_u32_e32 v21, 28, v27
	v_lshlrev_b64 v[21:22], v21, v[10:11]
	v_sub_nc_u32_e32 v22, 29, v27
	v_and_b32_e32 v21, 7, v21
; %bb.2765:                             ;   in Loop: Header=BB370_1564 Depth=1
	s_or_b32 exec_lo, exec_lo, s21
	v_lshlrev_b32_e32 v10, 16, v19
	v_lshlrev_b32_e32 v21, 20, v21
	v_lshl_add_u32 v22, v22, 23, 0x3c000000
	v_and_b32_e32 v10, 0x80000000, v10
	v_or3_b32 v27, v21, v10, v22
.LBB370_2766:                           ;   in Loop: Header=BB370_1564 Depth=1
	s_or_b32 exec_lo, exec_lo, s20
.LBB370_2767:                           ;   in Loop: Header=BB370_1564 Depth=1
	s_or_b32 exec_lo, exec_lo, s19
.LBB370_2768:                           ;   in Loop: Header=BB370_1564 Depth=1
	s_or_b32 exec_lo, exec_lo, s18
	v_and_b32_sdwa v10, v19, v85 dst_sel:DWORD dst_unused:UNUSED_PAD src0_sel:WORD_1 src1_sel:DWORD
	v_mov_b32_e32 v29, 0
	v_mov_b32_e32 v28, 0
	s_mov_b32 s18, exec_lo
	v_cmpx_ne_u16_e32 0, v10
	s_cbranch_execz .LBB370_2776
; %bb.2769:                             ;   in Loop: Header=BB370_1564 Depth=1
	v_bfrev_b32_e32 v28, 1
	s_mov_b32 s19, exec_lo
	v_cmpx_ne_u16_e32 0x80, v10
	s_cbranch_execz .LBB370_2775
; %bb.2770:                             ;   in Loop: Header=BB370_1564 Depth=1
	v_bfe_u32 v32, v19, 16, 7
	v_mov_b32_e32 v28, 0x7f800001
	s_mov_b32 s20, exec_lo
	v_cmpx_ne_u32_e32 0x7f, v32
	s_cbranch_execz .LBB370_2774
; %bb.2771:                             ;   in Loop: Header=BB370_1564 Depth=1
	v_mov_b32_e32 v10, 7
	s_mov_b32 s21, exec_lo
	v_and_b32_sdwa v10, v19, v10 dst_sel:DWORD dst_unused:UNUSED_PAD src0_sel:WORD_1 src1_sel:DWORD
	v_mov_b32_e32 v22, v11
	v_lshrrev_b32_e32 v22, 3, v32
	v_mov_b32_e32 v21, v10
	v_cmpx_gt_u32_e32 8, v32
; %bb.2772:                             ;   in Loop: Header=BB370_1564 Depth=1
	v_ffbh_u32_e32 v21, v10
	v_min_u32_e32 v28, 32, v21
	v_subrev_nc_u32_e32 v21, 28, v28
	v_lshlrev_b64 v[21:22], v21, v[10:11]
	v_sub_nc_u32_e32 v22, 29, v28
	v_and_b32_e32 v21, 7, v21
; %bb.2773:                             ;   in Loop: Header=BB370_1564 Depth=1
	s_or_b32 exec_lo, exec_lo, s21
	v_mov_b32_e32 v10, 24
	v_lshlrev_b32_e32 v21, 20, v21
	v_lshl_add_u32 v22, v22, 23, 0x3c000000
	v_lshlrev_b32_sdwa v10, v10, v19 dst_sel:DWORD dst_unused:UNUSED_PAD src0_sel:DWORD src1_sel:WORD_1
	v_and_b32_e32 v10, 0x80000000, v10
	v_or3_b32 v28, v21, v10, v22
.LBB370_2774:                           ;   in Loop: Header=BB370_1564 Depth=1
	s_or_b32 exec_lo, exec_lo, s20
.LBB370_2775:                           ;   in Loop: Header=BB370_1564 Depth=1
	s_or_b32 exec_lo, exec_lo, s19
.LBB370_2776:                           ;   in Loop: Header=BB370_1564 Depth=1
	s_or_b32 exec_lo, exec_lo, s18
	s_mov_b32 s18, exec_lo
	v_cmpx_lt_u32_e32 0xffffff, v19
	s_cbranch_execz .LBB370_2784
; %bb.2777:                             ;   in Loop: Header=BB370_1564 Depth=1
	v_cmp_ne_u32_sdwa s4, v19, v83 src0_sel:BYTE_3 src1_sel:DWORD
	v_bfrev_b32_e32 v29, 1
	s_and_saveexec_b32 s19, s4
	s_cbranch_execz .LBB370_2783
; %bb.2778:                             ;   in Loop: Header=BB370_1564 Depth=1
	v_bfe_u32 v32, v19, 24, 7
	v_mov_b32_e32 v29, 0x7f800001
	s_mov_b32 s20, exec_lo
	v_cmpx_ne_u32_e32 0x7f, v32
	s_cbranch_execz .LBB370_2782
; %bb.2779:                             ;   in Loop: Header=BB370_1564 Depth=1
	v_mov_b32_e32 v10, 7
	s_mov_b32 s21, exec_lo
	v_and_b32_sdwa v10, v19, v10 dst_sel:DWORD dst_unused:UNUSED_PAD src0_sel:BYTE_3 src1_sel:DWORD
	v_mov_b32_e32 v22, v11
	v_lshrrev_b32_e32 v22, 3, v32
	v_mov_b32_e32 v21, v10
	v_cmpx_gt_u32_e32 8, v32
; %bb.2780:                             ;   in Loop: Header=BB370_1564 Depth=1
	v_ffbh_u32_e32 v21, v10
	v_min_u32_e32 v29, 32, v21
	v_subrev_nc_u32_e32 v21, 28, v29
	v_lshlrev_b64 v[21:22], v21, v[10:11]
	v_sub_nc_u32_e32 v22, 29, v29
	v_and_b32_e32 v21, 7, v21
; %bb.2781:                             ;   in Loop: Header=BB370_1564 Depth=1
	s_or_b32 exec_lo, exec_lo, s21
	v_mov_b32_e32 v10, 24
	v_lshlrev_b32_e32 v21, 20, v21
	v_lshl_add_u32 v22, v22, 23, 0x3c000000
	v_lshlrev_b32_sdwa v10, v10, v19 dst_sel:DWORD dst_unused:UNUSED_PAD src0_sel:DWORD src1_sel:BYTE_3
	v_and_b32_e32 v10, 0x80000000, v10
	v_or3_b32 v29, v21, v10, v22
.LBB370_2782:                           ;   in Loop: Header=BB370_1564 Depth=1
	s_or_b32 exec_lo, exec_lo, s20
.LBB370_2783:                           ;   in Loop: Header=BB370_1564 Depth=1
	s_or_b32 exec_lo, exec_lo, s19
.LBB370_2784:                           ;   in Loop: Header=BB370_1564 Depth=1
	s_or_b32 exec_lo, exec_lo, s18
	v_mov_b32_e32 v10, v20
	v_cmp_ne_u16_sdwa s4, v20, v11 src0_sel:BYTE_0 src1_sel:DWORD
	v_mov_b32_e32 v37, 0
	v_mov_b32_e32 v32, 0
	s_and_saveexec_b32 s18, s4
	s_cbranch_execz .LBB370_2792
; %bb.2785:                             ;   in Loop: Header=BB370_1564 Depth=1
	v_cmp_ne_u16_sdwa s4, v20, v83 src0_sel:BYTE_0 src1_sel:DWORD
	v_bfrev_b32_e32 v32, 1
	s_and_saveexec_b32 s19, s4
	s_cbranch_execz .LBB370_2791
; %bb.2786:                             ;   in Loop: Header=BB370_1564 Depth=1
	v_and_b32_e32 v35, 0x7f, v20
	v_mov_b32_e32 v32, 0x7f800001
	s_mov_b32 s20, exec_lo
	v_cmpx_ne_u32_e32 0x7f, v35
	s_cbranch_execz .LBB370_2790
; %bb.2787:                             ;   in Loop: Header=BB370_1564 Depth=1
	v_mov_b32_e32 v22, v11
	v_mov_b32_e32 v21, v10
	v_lshrrev_b32_e32 v22, 3, v35
	s_mov_b32 s21, exec_lo
	v_cmpx_gt_u32_e32 8, v35
; %bb.2788:                             ;   in Loop: Header=BB370_1564 Depth=1
	v_and_b32_e32 v21, 7, v20
	v_ffbh_u32_e32 v21, v21
	v_min_u32_e32 v32, 32, v21
	v_subrev_nc_u32_e32 v21, 28, v32
	v_lshlrev_b64 v[21:22], v21, v[10:11]
	v_sub_nc_u32_e32 v22, 29, v32
; %bb.2789:                             ;   in Loop: Header=BB370_1564 Depth=1
	s_or_b32 exec_lo, exec_lo, s21
	v_lshlrev_b32_e32 v21, 20, v21
	v_lshlrev_b32_e32 v32, 24, v10
	v_lshl_add_u32 v22, v22, 23, 0x3c000000
	v_and_b32_e32 v21, 0x700000, v21
	v_and_b32_e32 v32, 0x80000000, v32
	v_or3_b32 v32, v21, v32, v22
.LBB370_2790:                           ;   in Loop: Header=BB370_1564 Depth=1
	s_or_b32 exec_lo, exec_lo, s20
.LBB370_2791:                           ;   in Loop: Header=BB370_1564 Depth=1
	s_or_b32 exec_lo, exec_lo, s19
.LBB370_2792:                           ;   in Loop: Header=BB370_1564 Depth=1
	s_or_b32 exec_lo, exec_lo, s18
	v_cmp_ne_u16_sdwa s4, v10, v11 src0_sel:BYTE_1 src1_sel:DWORD
	s_and_saveexec_b32 s18, s4
	s_cbranch_execz .LBB370_2800
; %bb.2793:                             ;   in Loop: Header=BB370_1564 Depth=1
	v_cmp_ne_u16_sdwa s4, v10, v83 src0_sel:BYTE_1 src1_sel:DWORD
	v_bfrev_b32_e32 v37, 1
	s_and_saveexec_b32 s19, s4
	s_cbranch_execz .LBB370_2799
; %bb.2794:                             ;   in Loop: Header=BB370_1564 Depth=1
	v_mov_b32_e32 v21, 0xffff
	v_mov_b32_e32 v37, 0x7f800001
	s_mov_b32 s20, exec_lo
	v_and_b32_sdwa v21, v21, v10 dst_sel:DWORD dst_unused:UNUSED_PAD src0_sel:DWORD src1_sel:BYTE_1
	v_and_b32_e32 v36, 0x7f, v21
	v_cmpx_ne_u32_e32 0x7f, v36
	s_cbranch_execz .LBB370_2798
; %bb.2795:                             ;   in Loop: Header=BB370_1564 Depth=1
	v_and_b32_e32 v21, 7, v21
	v_mov_b32_e32 v22, v11
	v_lshrrev_b32_e32 v35, 3, v36
	s_mov_b32 s21, exec_lo
	v_cmpx_gt_u32_e32 8, v36
; %bb.2796:                             ;   in Loop: Header=BB370_1564 Depth=1
	v_ffbh_u32_e32 v35, v21
	v_min_u32_e32 v35, 32, v35
	v_subrev_nc_u32_e32 v36, 28, v35
	v_sub_nc_u32_e32 v35, 29, v35
	v_lshlrev_b64 v[21:22], v36, v[21:22]
	v_and_b32_e32 v21, 7, v21
; %bb.2797:                             ;   in Loop: Header=BB370_1564 Depth=1
	s_or_b32 exec_lo, exec_lo, s21
	v_lshlrev_b32_e32 v10, 16, v10
	v_lshlrev_b32_e32 v21, 20, v21
	v_lshl_add_u32 v22, v35, 23, 0x3c000000
	v_and_b32_e32 v10, 0x80000000, v10
	v_or3_b32 v37, v21, v10, v22
.LBB370_2798:                           ;   in Loop: Header=BB370_1564 Depth=1
	s_or_b32 exec_lo, exec_lo, s20
.LBB370_2799:                           ;   in Loop: Header=BB370_1564 Depth=1
	s_or_b32 exec_lo, exec_lo, s19
.LBB370_2800:                           ;   in Loop: Header=BB370_1564 Depth=1
	s_or_b32 exec_lo, exec_lo, s18
	v_and_b32_sdwa v10, v20, v85 dst_sel:DWORD dst_unused:UNUSED_PAD src0_sel:WORD_1 src1_sel:DWORD
	v_mov_b32_e32 v35, 0
	v_mov_b32_e32 v36, 0
	s_mov_b32 s18, exec_lo
	v_cmpx_ne_u16_e32 0, v10
	s_cbranch_execz .LBB370_2808
; %bb.2801:                             ;   in Loop: Header=BB370_1564 Depth=1
	v_bfrev_b32_e32 v36, 1
	s_mov_b32 s19, exec_lo
	v_cmpx_ne_u16_e32 0x80, v10
	s_cbranch_execz .LBB370_2807
; %bb.2802:                             ;   in Loop: Header=BB370_1564 Depth=1
	v_bfe_u32 v38, v20, 16, 7
	v_mov_b32_e32 v36, 0x7f800001
	s_mov_b32 s20, exec_lo
	v_cmpx_ne_u32_e32 0x7f, v38
	s_cbranch_execz .LBB370_2806
; %bb.2803:                             ;   in Loop: Header=BB370_1564 Depth=1
	v_mov_b32_e32 v10, 7
	s_mov_b32 s21, exec_lo
	v_and_b32_sdwa v10, v20, v10 dst_sel:DWORD dst_unused:UNUSED_PAD src0_sel:WORD_1 src1_sel:DWORD
	v_mov_b32_e32 v22, v11
	v_lshrrev_b32_e32 v22, 3, v38
	v_mov_b32_e32 v21, v10
	v_cmpx_gt_u32_e32 8, v38
; %bb.2804:                             ;   in Loop: Header=BB370_1564 Depth=1
	v_ffbh_u32_e32 v21, v10
	v_min_u32_e32 v36, 32, v21
	v_subrev_nc_u32_e32 v21, 28, v36
	v_lshlrev_b64 v[21:22], v21, v[10:11]
	v_sub_nc_u32_e32 v22, 29, v36
	v_and_b32_e32 v21, 7, v21
; %bb.2805:                             ;   in Loop: Header=BB370_1564 Depth=1
	s_or_b32 exec_lo, exec_lo, s21
	v_mov_b32_e32 v10, 24
	v_lshlrev_b32_e32 v21, 20, v21
	v_lshl_add_u32 v22, v22, 23, 0x3c000000
	v_lshlrev_b32_sdwa v10, v10, v20 dst_sel:DWORD dst_unused:UNUSED_PAD src0_sel:DWORD src1_sel:WORD_1
	v_and_b32_e32 v10, 0x80000000, v10
	v_or3_b32 v36, v21, v10, v22
.LBB370_2806:                           ;   in Loop: Header=BB370_1564 Depth=1
	s_or_b32 exec_lo, exec_lo, s20
.LBB370_2807:                           ;   in Loop: Header=BB370_1564 Depth=1
	s_or_b32 exec_lo, exec_lo, s19
.LBB370_2808:                           ;   in Loop: Header=BB370_1564 Depth=1
	s_or_b32 exec_lo, exec_lo, s18
	s_mov_b32 s18, exec_lo
	v_cmpx_lt_u64_e64 s[6:7], v[19:20]
	s_cbranch_execz .LBB370_2816
; %bb.2809:                             ;   in Loop: Header=BB370_1564 Depth=1
	v_cmp_ne_u32_sdwa s4, v20, v83 src0_sel:BYTE_3 src1_sel:DWORD
	v_bfrev_b32_e32 v35, 1
	s_and_saveexec_b32 s19, s4
	s_cbranch_execz .LBB370_2815
; %bb.2810:                             ;   in Loop: Header=BB370_1564 Depth=1
	v_bfe_u32 v38, v20, 24, 7
	v_mov_b32_e32 v35, 0x7f800001
	s_mov_b32 s20, exec_lo
	v_cmpx_ne_u32_e32 0x7f, v38
	s_cbranch_execz .LBB370_2814
; %bb.2811:                             ;   in Loop: Header=BB370_1564 Depth=1
	v_mov_b32_e32 v10, 7
	v_lshrrev_b32_e32 v19, 3, v38
	s_mov_b32 s21, exec_lo
	v_and_b32_sdwa v10, v20, v10 dst_sel:DWORD dst_unused:UNUSED_PAD src0_sel:BYTE_3 src1_sel:DWORD
	v_mov_b32_e32 v22, v11
	v_mov_b32_e32 v21, v10
	v_cmpx_gt_u32_e32 8, v38
; %bb.2812:                             ;   in Loop: Header=BB370_1564 Depth=1
	v_ffbh_u32_e32 v19, v10
	v_min_u32_e32 v19, 32, v19
	v_subrev_nc_u32_e32 v21, 28, v19
	v_sub_nc_u32_e32 v19, 29, v19
	v_lshlrev_b64 v[21:22], v21, v[10:11]
	v_and_b32_e32 v21, 7, v21
; %bb.2813:                             ;   in Loop: Header=BB370_1564 Depth=1
	s_or_b32 exec_lo, exec_lo, s21
	v_mov_b32_e32 v10, 24
	v_lshl_add_u32 v19, v19, 23, 0x3c000000
	v_lshlrev_b32_sdwa v10, v10, v20 dst_sel:DWORD dst_unused:UNUSED_PAD src0_sel:DWORD src1_sel:BYTE_3
	v_lshlrev_b32_e32 v20, 20, v21
	v_and_b32_e32 v10, 0x80000000, v10
	v_or3_b32 v35, v20, v10, v19
.LBB370_2814:                           ;   in Loop: Header=BB370_1564 Depth=1
	s_or_b32 exec_lo, exec_lo, s20
.LBB370_2815:                           ;   in Loop: Header=BB370_1564 Depth=1
	s_or_b32 exec_lo, exec_lo, s19
.LBB370_2816:                           ;   in Loop: Header=BB370_1564 Depth=1
	s_or_b32 exec_lo, exec_lo, s18
	v_mul_f32_e32 v10, v71, v37
	v_bfe_u32 v19, v10, 16, 1
	v_or_b32_e32 v20, 0x400000, v10
	v_cmp_u_f32_e64 s4, v10, v10
	v_add3_u32 v19, v19, v10, 0x7fff
	v_cndmask_b32_e64 v10, v19, v20, s4
	v_lshrrev_b32_e32 v99, 16, v10
	v_mul_f32_e32 v10, v71, v32
	v_bfe_u32 v19, v10, 16, 1
	v_or_b32_e32 v20, 0x400000, v10
	v_cmp_u_f32_e64 s4, v10, v10
	v_add3_u32 v19, v19, v10, 0x7fff
	v_cndmask_b32_e64 v10, v19, v20, s4
	v_lshrrev_b32_e32 v100, 16, v10
	;; [unrolled: 7-line block ×8, first 2 shown]
	s_and_saveexec_b32 s18, vcc_lo
	s_cbranch_execz .LBB370_2818
; %bb.2817:                             ;   in Loop: Header=BB370_1564 Depth=1
	v_cmp_lt_i32_e64 s4, v91, v88
	v_cndmask_b32_e64 v113, 0, v113, s4
	v_cmp_lt_i32_e64 s4, v111, v88
	v_cndmask_b32_e64 v103, 0, v103, s4
	;; [unrolled: 2-line block ×8, first 2 shown]
.LBB370_2818:                           ;   in Loop: Header=BB370_1564 Depth=1
	s_or_b32 exec_lo, exec_lo, s18
	flat_load_dwordx2 v[19:20], v[15:16] offset:768
	v_mov_b32_e32 v27, 0
	v_mov_b32_e32 v26, 0
	s_waitcnt vmcnt(0) lgkmcnt(0)
	v_cmp_ne_u16_sdwa s4, v19, v11 src0_sel:BYTE_0 src1_sel:DWORD
	s_and_saveexec_b32 s18, s4
	s_cbranch_execz .LBB370_2826
; %bb.2819:                             ;   in Loop: Header=BB370_1564 Depth=1
	v_cmp_ne_u16_sdwa s4, v19, v83 src0_sel:BYTE_0 src1_sel:DWORD
	v_bfrev_b32_e32 v26, 1
	s_and_saveexec_b32 s19, s4
	s_cbranch_execz .LBB370_2825
; %bb.2820:                             ;   in Loop: Header=BB370_1564 Depth=1
	v_and_b32_e32 v21, 0x7f, v19
	v_mov_b32_e32 v26, 0x7f800001
	s_mov_b32 s20, exec_lo
	v_cmpx_ne_u32_e32 0x7f, v21
	s_cbranch_execz .LBB370_2824
; %bb.2821:                             ;   in Loop: Header=BB370_1564 Depth=1
	v_lshrrev_b32_e32 v10, 3, v21
	v_cmp_gt_u32_e64 s4, 8, v21
	v_mov_b32_e32 v22, v20
	v_mov_b32_e32 v21, v19
	s_and_saveexec_b32 s21, s4
; %bb.2822:                             ;   in Loop: Header=BB370_1564 Depth=1
	v_and_b32_e32 v10, 7, v19
	v_ffbh_u32_e32 v10, v10
	v_min_u32_e32 v10, 32, v10
	v_subrev_nc_u32_e32 v21, 28, v10
	v_sub_nc_u32_e32 v10, 29, v10
	v_lshlrev_b64 v[21:22], v21, v[19:20]
; %bb.2823:                             ;   in Loop: Header=BB370_1564 Depth=1
	s_or_b32 exec_lo, exec_lo, s21
	v_lshlrev_b32_e32 v21, 20, v21
	v_lshlrev_b32_e32 v22, 24, v19
	v_lshl_add_u32 v10, v10, 23, 0x3c000000
	v_and_b32_e32 v21, 0x700000, v21
	v_and_b32_e32 v22, 0x80000000, v22
	v_or3_b32 v26, v21, v22, v10
.LBB370_2824:                           ;   in Loop: Header=BB370_1564 Depth=1
	s_or_b32 exec_lo, exec_lo, s20
.LBB370_2825:                           ;   in Loop: Header=BB370_1564 Depth=1
	s_or_b32 exec_lo, exec_lo, s19
.LBB370_2826:                           ;   in Loop: Header=BB370_1564 Depth=1
	s_or_b32 exec_lo, exec_lo, s18
	v_cmp_ne_u16_sdwa s4, v19, v11 src0_sel:BYTE_1 src1_sel:DWORD
	s_and_saveexec_b32 s18, s4
	s_cbranch_execz .LBB370_2834
; %bb.2827:                             ;   in Loop: Header=BB370_1564 Depth=1
	v_cmp_ne_u16_sdwa s4, v19, v83 src0_sel:BYTE_1 src1_sel:DWORD
	v_bfrev_b32_e32 v27, 1
	s_and_saveexec_b32 s19, s4
	s_cbranch_execz .LBB370_2833
; %bb.2828:                             ;   in Loop: Header=BB370_1564 Depth=1
	v_mov_b32_e32 v10, 0xffff
	v_mov_b32_e32 v27, 0x7f800001
	s_mov_b32 s20, exec_lo
	v_and_b32_sdwa v10, v10, v19 dst_sel:DWORD dst_unused:UNUSED_PAD src0_sel:DWORD src1_sel:BYTE_1
	v_and_b32_e32 v28, 0x7f, v10
	v_cmpx_ne_u32_e32 0x7f, v28
	s_cbranch_execz .LBB370_2832
; %bb.2829:                             ;   in Loop: Header=BB370_1564 Depth=1
	v_and_b32_e32 v10, 7, v10
	v_mov_b32_e32 v22, v11
	v_lshrrev_b32_e32 v22, 3, v28
	s_mov_b32 s21, exec_lo
	v_mov_b32_e32 v21, v10
	v_cmpx_gt_u32_e32 8, v28
; %bb.2830:                             ;   in Loop: Header=BB370_1564 Depth=1
	v_ffbh_u32_e32 v21, v10
	v_min_u32_e32 v27, 32, v21
	v_subrev_nc_u32_e32 v21, 28, v27
	v_lshlrev_b64 v[21:22], v21, v[10:11]
	v_sub_nc_u32_e32 v22, 29, v27
	v_and_b32_e32 v21, 7, v21
; %bb.2831:                             ;   in Loop: Header=BB370_1564 Depth=1
	s_or_b32 exec_lo, exec_lo, s21
	v_lshlrev_b32_e32 v10, 16, v19
	v_lshlrev_b32_e32 v21, 20, v21
	v_lshl_add_u32 v22, v22, 23, 0x3c000000
	v_and_b32_e32 v10, 0x80000000, v10
	v_or3_b32 v27, v21, v10, v22
.LBB370_2832:                           ;   in Loop: Header=BB370_1564 Depth=1
	s_or_b32 exec_lo, exec_lo, s20
.LBB370_2833:                           ;   in Loop: Header=BB370_1564 Depth=1
	s_or_b32 exec_lo, exec_lo, s19
.LBB370_2834:                           ;   in Loop: Header=BB370_1564 Depth=1
	s_or_b32 exec_lo, exec_lo, s18
	v_and_b32_sdwa v10, v19, v85 dst_sel:DWORD dst_unused:UNUSED_PAD src0_sel:WORD_1 src1_sel:DWORD
	v_mov_b32_e32 v29, 0
	v_mov_b32_e32 v28, 0
	s_mov_b32 s18, exec_lo
	v_cmpx_ne_u16_e32 0, v10
	s_cbranch_execz .LBB370_2842
; %bb.2835:                             ;   in Loop: Header=BB370_1564 Depth=1
	v_bfrev_b32_e32 v28, 1
	s_mov_b32 s19, exec_lo
	v_cmpx_ne_u16_e32 0x80, v10
	s_cbranch_execz .LBB370_2841
; %bb.2836:                             ;   in Loop: Header=BB370_1564 Depth=1
	v_bfe_u32 v32, v19, 16, 7
	v_mov_b32_e32 v28, 0x7f800001
	s_mov_b32 s20, exec_lo
	v_cmpx_ne_u32_e32 0x7f, v32
	s_cbranch_execz .LBB370_2840
; %bb.2837:                             ;   in Loop: Header=BB370_1564 Depth=1
	v_mov_b32_e32 v10, 7
	s_mov_b32 s21, exec_lo
	v_and_b32_sdwa v10, v19, v10 dst_sel:DWORD dst_unused:UNUSED_PAD src0_sel:WORD_1 src1_sel:DWORD
	v_mov_b32_e32 v22, v11
	v_lshrrev_b32_e32 v22, 3, v32
	v_mov_b32_e32 v21, v10
	v_cmpx_gt_u32_e32 8, v32
; %bb.2838:                             ;   in Loop: Header=BB370_1564 Depth=1
	v_ffbh_u32_e32 v21, v10
	v_min_u32_e32 v28, 32, v21
	v_subrev_nc_u32_e32 v21, 28, v28
	v_lshlrev_b64 v[21:22], v21, v[10:11]
	v_sub_nc_u32_e32 v22, 29, v28
	v_and_b32_e32 v21, 7, v21
; %bb.2839:                             ;   in Loop: Header=BB370_1564 Depth=1
	s_or_b32 exec_lo, exec_lo, s21
	v_mov_b32_e32 v10, 24
	v_lshlrev_b32_e32 v21, 20, v21
	v_lshl_add_u32 v22, v22, 23, 0x3c000000
	v_lshlrev_b32_sdwa v10, v10, v19 dst_sel:DWORD dst_unused:UNUSED_PAD src0_sel:DWORD src1_sel:WORD_1
	v_and_b32_e32 v10, 0x80000000, v10
	v_or3_b32 v28, v21, v10, v22
.LBB370_2840:                           ;   in Loop: Header=BB370_1564 Depth=1
	s_or_b32 exec_lo, exec_lo, s20
.LBB370_2841:                           ;   in Loop: Header=BB370_1564 Depth=1
	s_or_b32 exec_lo, exec_lo, s19
.LBB370_2842:                           ;   in Loop: Header=BB370_1564 Depth=1
	s_or_b32 exec_lo, exec_lo, s18
	s_mov_b32 s18, exec_lo
	v_cmpx_lt_u32_e32 0xffffff, v19
	s_cbranch_execz .LBB370_2850
; %bb.2843:                             ;   in Loop: Header=BB370_1564 Depth=1
	v_cmp_ne_u32_sdwa s4, v19, v83 src0_sel:BYTE_3 src1_sel:DWORD
	v_bfrev_b32_e32 v29, 1
	s_and_saveexec_b32 s19, s4
	s_cbranch_execz .LBB370_2849
; %bb.2844:                             ;   in Loop: Header=BB370_1564 Depth=1
	v_bfe_u32 v32, v19, 24, 7
	v_mov_b32_e32 v29, 0x7f800001
	s_mov_b32 s20, exec_lo
	v_cmpx_ne_u32_e32 0x7f, v32
	s_cbranch_execz .LBB370_2848
; %bb.2845:                             ;   in Loop: Header=BB370_1564 Depth=1
	v_mov_b32_e32 v10, 7
	s_mov_b32 s21, exec_lo
	v_and_b32_sdwa v10, v19, v10 dst_sel:DWORD dst_unused:UNUSED_PAD src0_sel:BYTE_3 src1_sel:DWORD
	v_mov_b32_e32 v22, v11
	v_lshrrev_b32_e32 v22, 3, v32
	v_mov_b32_e32 v21, v10
	v_cmpx_gt_u32_e32 8, v32
; %bb.2846:                             ;   in Loop: Header=BB370_1564 Depth=1
	v_ffbh_u32_e32 v21, v10
	v_min_u32_e32 v29, 32, v21
	v_subrev_nc_u32_e32 v21, 28, v29
	v_lshlrev_b64 v[21:22], v21, v[10:11]
	v_sub_nc_u32_e32 v22, 29, v29
	v_and_b32_e32 v21, 7, v21
; %bb.2847:                             ;   in Loop: Header=BB370_1564 Depth=1
	s_or_b32 exec_lo, exec_lo, s21
	v_mov_b32_e32 v10, 24
	v_lshlrev_b32_e32 v21, 20, v21
	v_lshl_add_u32 v22, v22, 23, 0x3c000000
	v_lshlrev_b32_sdwa v10, v10, v19 dst_sel:DWORD dst_unused:UNUSED_PAD src0_sel:DWORD src1_sel:BYTE_3
	v_and_b32_e32 v10, 0x80000000, v10
	v_or3_b32 v29, v21, v10, v22
.LBB370_2848:                           ;   in Loop: Header=BB370_1564 Depth=1
	s_or_b32 exec_lo, exec_lo, s20
.LBB370_2849:                           ;   in Loop: Header=BB370_1564 Depth=1
	s_or_b32 exec_lo, exec_lo, s19
.LBB370_2850:                           ;   in Loop: Header=BB370_1564 Depth=1
	s_or_b32 exec_lo, exec_lo, s18
	v_mov_b32_e32 v10, v20
	v_cmp_ne_u16_sdwa s4, v20, v11 src0_sel:BYTE_0 src1_sel:DWORD
	v_mov_b32_e32 v37, 0
	v_mov_b32_e32 v32, 0
	s_and_saveexec_b32 s18, s4
	s_cbranch_execz .LBB370_2858
; %bb.2851:                             ;   in Loop: Header=BB370_1564 Depth=1
	v_cmp_ne_u16_sdwa s4, v20, v83 src0_sel:BYTE_0 src1_sel:DWORD
	v_bfrev_b32_e32 v32, 1
	s_and_saveexec_b32 s19, s4
	s_cbranch_execz .LBB370_2857
; %bb.2852:                             ;   in Loop: Header=BB370_1564 Depth=1
	v_and_b32_e32 v35, 0x7f, v20
	v_mov_b32_e32 v32, 0x7f800001
	s_mov_b32 s20, exec_lo
	v_cmpx_ne_u32_e32 0x7f, v35
	s_cbranch_execz .LBB370_2856
; %bb.2853:                             ;   in Loop: Header=BB370_1564 Depth=1
	v_mov_b32_e32 v22, v11
	v_mov_b32_e32 v21, v10
	v_lshrrev_b32_e32 v22, 3, v35
	s_mov_b32 s21, exec_lo
	v_cmpx_gt_u32_e32 8, v35
; %bb.2854:                             ;   in Loop: Header=BB370_1564 Depth=1
	v_and_b32_e32 v21, 7, v20
	v_ffbh_u32_e32 v21, v21
	v_min_u32_e32 v32, 32, v21
	v_subrev_nc_u32_e32 v21, 28, v32
	v_lshlrev_b64 v[21:22], v21, v[10:11]
	v_sub_nc_u32_e32 v22, 29, v32
; %bb.2855:                             ;   in Loop: Header=BB370_1564 Depth=1
	s_or_b32 exec_lo, exec_lo, s21
	v_lshlrev_b32_e32 v21, 20, v21
	v_lshlrev_b32_e32 v32, 24, v10
	v_lshl_add_u32 v22, v22, 23, 0x3c000000
	v_and_b32_e32 v21, 0x700000, v21
	v_and_b32_e32 v32, 0x80000000, v32
	v_or3_b32 v32, v21, v32, v22
.LBB370_2856:                           ;   in Loop: Header=BB370_1564 Depth=1
	s_or_b32 exec_lo, exec_lo, s20
.LBB370_2857:                           ;   in Loop: Header=BB370_1564 Depth=1
	s_or_b32 exec_lo, exec_lo, s19
.LBB370_2858:                           ;   in Loop: Header=BB370_1564 Depth=1
	s_or_b32 exec_lo, exec_lo, s18
	v_cmp_ne_u16_sdwa s4, v10, v11 src0_sel:BYTE_1 src1_sel:DWORD
	s_and_saveexec_b32 s18, s4
	s_cbranch_execz .LBB370_2866
; %bb.2859:                             ;   in Loop: Header=BB370_1564 Depth=1
	v_cmp_ne_u16_sdwa s4, v10, v83 src0_sel:BYTE_1 src1_sel:DWORD
	v_bfrev_b32_e32 v37, 1
	s_and_saveexec_b32 s19, s4
	s_cbranch_execz .LBB370_2865
; %bb.2860:                             ;   in Loop: Header=BB370_1564 Depth=1
	v_mov_b32_e32 v21, 0xffff
	v_mov_b32_e32 v37, 0x7f800001
	s_mov_b32 s20, exec_lo
	v_and_b32_sdwa v21, v21, v10 dst_sel:DWORD dst_unused:UNUSED_PAD src0_sel:DWORD src1_sel:BYTE_1
	v_and_b32_e32 v36, 0x7f, v21
	v_cmpx_ne_u32_e32 0x7f, v36
	s_cbranch_execz .LBB370_2864
; %bb.2861:                             ;   in Loop: Header=BB370_1564 Depth=1
	v_and_b32_e32 v21, 7, v21
	v_mov_b32_e32 v22, v11
	v_lshrrev_b32_e32 v35, 3, v36
	s_mov_b32 s21, exec_lo
	v_cmpx_gt_u32_e32 8, v36
; %bb.2862:                             ;   in Loop: Header=BB370_1564 Depth=1
	v_ffbh_u32_e32 v35, v21
	v_min_u32_e32 v35, 32, v35
	v_subrev_nc_u32_e32 v36, 28, v35
	v_sub_nc_u32_e32 v35, 29, v35
	v_lshlrev_b64 v[21:22], v36, v[21:22]
	v_and_b32_e32 v21, 7, v21
; %bb.2863:                             ;   in Loop: Header=BB370_1564 Depth=1
	s_or_b32 exec_lo, exec_lo, s21
	v_lshlrev_b32_e32 v10, 16, v10
	v_lshlrev_b32_e32 v21, 20, v21
	v_lshl_add_u32 v22, v35, 23, 0x3c000000
	v_and_b32_e32 v10, 0x80000000, v10
	v_or3_b32 v37, v21, v10, v22
.LBB370_2864:                           ;   in Loop: Header=BB370_1564 Depth=1
	s_or_b32 exec_lo, exec_lo, s20
.LBB370_2865:                           ;   in Loop: Header=BB370_1564 Depth=1
	s_or_b32 exec_lo, exec_lo, s19
.LBB370_2866:                           ;   in Loop: Header=BB370_1564 Depth=1
	s_or_b32 exec_lo, exec_lo, s18
	v_and_b32_sdwa v10, v20, v85 dst_sel:DWORD dst_unused:UNUSED_PAD src0_sel:WORD_1 src1_sel:DWORD
	v_mov_b32_e32 v35, 0
	v_mov_b32_e32 v36, 0
	s_mov_b32 s18, exec_lo
	v_cmpx_ne_u16_e32 0, v10
	s_cbranch_execz .LBB370_2874
; %bb.2867:                             ;   in Loop: Header=BB370_1564 Depth=1
	v_bfrev_b32_e32 v36, 1
	s_mov_b32 s19, exec_lo
	v_cmpx_ne_u16_e32 0x80, v10
	s_cbranch_execz .LBB370_2873
; %bb.2868:                             ;   in Loop: Header=BB370_1564 Depth=1
	v_bfe_u32 v38, v20, 16, 7
	v_mov_b32_e32 v36, 0x7f800001
	s_mov_b32 s20, exec_lo
	v_cmpx_ne_u32_e32 0x7f, v38
	s_cbranch_execz .LBB370_2872
; %bb.2869:                             ;   in Loop: Header=BB370_1564 Depth=1
	v_mov_b32_e32 v10, 7
	s_mov_b32 s21, exec_lo
	v_and_b32_sdwa v10, v20, v10 dst_sel:DWORD dst_unused:UNUSED_PAD src0_sel:WORD_1 src1_sel:DWORD
	v_mov_b32_e32 v22, v11
	v_lshrrev_b32_e32 v22, 3, v38
	v_mov_b32_e32 v21, v10
	v_cmpx_gt_u32_e32 8, v38
; %bb.2870:                             ;   in Loop: Header=BB370_1564 Depth=1
	v_ffbh_u32_e32 v21, v10
	v_min_u32_e32 v36, 32, v21
	v_subrev_nc_u32_e32 v21, 28, v36
	v_lshlrev_b64 v[21:22], v21, v[10:11]
	v_sub_nc_u32_e32 v22, 29, v36
	v_and_b32_e32 v21, 7, v21
; %bb.2871:                             ;   in Loop: Header=BB370_1564 Depth=1
	s_or_b32 exec_lo, exec_lo, s21
	v_mov_b32_e32 v10, 24
	v_lshlrev_b32_e32 v21, 20, v21
	v_lshl_add_u32 v22, v22, 23, 0x3c000000
	v_lshlrev_b32_sdwa v10, v10, v20 dst_sel:DWORD dst_unused:UNUSED_PAD src0_sel:DWORD src1_sel:WORD_1
	v_and_b32_e32 v10, 0x80000000, v10
	v_or3_b32 v36, v21, v10, v22
.LBB370_2872:                           ;   in Loop: Header=BB370_1564 Depth=1
	s_or_b32 exec_lo, exec_lo, s20
.LBB370_2873:                           ;   in Loop: Header=BB370_1564 Depth=1
	s_or_b32 exec_lo, exec_lo, s19
.LBB370_2874:                           ;   in Loop: Header=BB370_1564 Depth=1
	s_or_b32 exec_lo, exec_lo, s18
	s_mov_b32 s18, exec_lo
	v_cmpx_lt_u64_e64 s[6:7], v[19:20]
	s_cbranch_execz .LBB370_2882
; %bb.2875:                             ;   in Loop: Header=BB370_1564 Depth=1
	v_cmp_ne_u32_sdwa s4, v20, v83 src0_sel:BYTE_3 src1_sel:DWORD
	v_bfrev_b32_e32 v35, 1
	s_and_saveexec_b32 s19, s4
	s_cbranch_execz .LBB370_2881
; %bb.2876:                             ;   in Loop: Header=BB370_1564 Depth=1
	v_bfe_u32 v38, v20, 24, 7
	v_mov_b32_e32 v35, 0x7f800001
	s_mov_b32 s20, exec_lo
	v_cmpx_ne_u32_e32 0x7f, v38
	s_cbranch_execz .LBB370_2880
; %bb.2877:                             ;   in Loop: Header=BB370_1564 Depth=1
	v_mov_b32_e32 v10, 7
	v_lshrrev_b32_e32 v19, 3, v38
	s_mov_b32 s21, exec_lo
	v_and_b32_sdwa v10, v20, v10 dst_sel:DWORD dst_unused:UNUSED_PAD src0_sel:BYTE_3 src1_sel:DWORD
	v_mov_b32_e32 v22, v11
	v_mov_b32_e32 v21, v10
	v_cmpx_gt_u32_e32 8, v38
; %bb.2878:                             ;   in Loop: Header=BB370_1564 Depth=1
	v_ffbh_u32_e32 v19, v10
	v_min_u32_e32 v19, 32, v19
	v_subrev_nc_u32_e32 v21, 28, v19
	v_sub_nc_u32_e32 v19, 29, v19
	v_lshlrev_b64 v[21:22], v21, v[10:11]
	v_and_b32_e32 v21, 7, v21
; %bb.2879:                             ;   in Loop: Header=BB370_1564 Depth=1
	s_or_b32 exec_lo, exec_lo, s21
	v_mov_b32_e32 v10, 24
	v_lshl_add_u32 v19, v19, 23, 0x3c000000
	v_lshlrev_b32_sdwa v10, v10, v20 dst_sel:DWORD dst_unused:UNUSED_PAD src0_sel:DWORD src1_sel:BYTE_3
	v_lshlrev_b32_e32 v20, 20, v21
	v_and_b32_e32 v10, 0x80000000, v10
	v_or3_b32 v35, v20, v10, v19
.LBB370_2880:                           ;   in Loop: Header=BB370_1564 Depth=1
	s_or_b32 exec_lo, exec_lo, s20
.LBB370_2881:                           ;   in Loop: Header=BB370_1564 Depth=1
	s_or_b32 exec_lo, exec_lo, s19
.LBB370_2882:                           ;   in Loop: Header=BB370_1564 Depth=1
	s_or_b32 exec_lo, exec_lo, s18
	v_mul_f32_e32 v10, v71, v37
	v_bfe_u32 v19, v10, 16, 1
	v_or_b32_e32 v20, 0x400000, v10
	v_cmp_u_f32_e64 s4, v10, v10
	v_add3_u32 v19, v19, v10, 0x7fff
	v_cndmask_b32_e64 v10, v19, v20, s4
	v_lshrrev_b32_e32 v115, 16, v10
	v_mul_f32_e32 v10, v71, v32
	v_bfe_u32 v19, v10, 16, 1
	v_or_b32_e32 v20, 0x400000, v10
	v_cmp_u_f32_e64 s4, v10, v10
	v_add3_u32 v19, v19, v10, 0x7fff
	v_cndmask_b32_e64 v10, v19, v20, s4
	v_lshrrev_b32_e32 v116, 16, v10
	;; [unrolled: 7-line block ×8, first 2 shown]
	s_and_saveexec_b32 s18, vcc_lo
	s_cbranch_execz .LBB370_2884
; %bb.2883:                             ;   in Loop: Header=BB370_1564 Depth=1
	v_cmp_lt_i32_e64 s4, v91, v88
	v_cndmask_b32_e64 v43, 0, v43, s4
	v_cmp_lt_i32_e64 s4, v111, v88
	v_cndmask_b32_e64 v118, 0, v118, s4
	;; [unrolled: 2-line block ×8, first 2 shown]
.LBB370_2884:                           ;   in Loop: Header=BB370_1564 Depth=1
	s_or_b32 exec_lo, exec_lo, s18
	flat_load_dwordx2 v[19:20], v[15:16] offset:1024
	v_mov_b32_e32 v27, 0
	v_mov_b32_e32 v26, 0
	s_waitcnt vmcnt(0) lgkmcnt(0)
	v_cmp_ne_u16_sdwa s4, v19, v11 src0_sel:BYTE_0 src1_sel:DWORD
	s_and_saveexec_b32 s18, s4
	s_cbranch_execz .LBB370_2892
; %bb.2885:                             ;   in Loop: Header=BB370_1564 Depth=1
	v_cmp_ne_u16_sdwa s4, v19, v83 src0_sel:BYTE_0 src1_sel:DWORD
	v_bfrev_b32_e32 v26, 1
	s_and_saveexec_b32 s19, s4
	s_cbranch_execz .LBB370_2891
; %bb.2886:                             ;   in Loop: Header=BB370_1564 Depth=1
	v_and_b32_e32 v21, 0x7f, v19
	v_mov_b32_e32 v26, 0x7f800001
	s_mov_b32 s20, exec_lo
	v_cmpx_ne_u32_e32 0x7f, v21
	s_cbranch_execz .LBB370_2890
; %bb.2887:                             ;   in Loop: Header=BB370_1564 Depth=1
	v_lshrrev_b32_e32 v10, 3, v21
	v_cmp_gt_u32_e64 s4, 8, v21
	v_mov_b32_e32 v22, v20
	v_mov_b32_e32 v21, v19
	s_and_saveexec_b32 s21, s4
; %bb.2888:                             ;   in Loop: Header=BB370_1564 Depth=1
	v_and_b32_e32 v10, 7, v19
	v_ffbh_u32_e32 v10, v10
	v_min_u32_e32 v10, 32, v10
	v_subrev_nc_u32_e32 v21, 28, v10
	v_sub_nc_u32_e32 v10, 29, v10
	v_lshlrev_b64 v[21:22], v21, v[19:20]
; %bb.2889:                             ;   in Loop: Header=BB370_1564 Depth=1
	s_or_b32 exec_lo, exec_lo, s21
	v_lshlrev_b32_e32 v21, 20, v21
	v_lshlrev_b32_e32 v22, 24, v19
	v_lshl_add_u32 v10, v10, 23, 0x3c000000
	v_and_b32_e32 v21, 0x700000, v21
	v_and_b32_e32 v22, 0x80000000, v22
	v_or3_b32 v26, v21, v22, v10
.LBB370_2890:                           ;   in Loop: Header=BB370_1564 Depth=1
	s_or_b32 exec_lo, exec_lo, s20
.LBB370_2891:                           ;   in Loop: Header=BB370_1564 Depth=1
	s_or_b32 exec_lo, exec_lo, s19
.LBB370_2892:                           ;   in Loop: Header=BB370_1564 Depth=1
	s_or_b32 exec_lo, exec_lo, s18
	v_cmp_ne_u16_sdwa s4, v19, v11 src0_sel:BYTE_1 src1_sel:DWORD
	s_and_saveexec_b32 s18, s4
	s_cbranch_execz .LBB370_2900
; %bb.2893:                             ;   in Loop: Header=BB370_1564 Depth=1
	v_cmp_ne_u16_sdwa s4, v19, v83 src0_sel:BYTE_1 src1_sel:DWORD
	v_bfrev_b32_e32 v27, 1
	s_and_saveexec_b32 s19, s4
	s_cbranch_execz .LBB370_2899
; %bb.2894:                             ;   in Loop: Header=BB370_1564 Depth=1
	v_mov_b32_e32 v10, 0xffff
	v_mov_b32_e32 v27, 0x7f800001
	s_mov_b32 s20, exec_lo
	v_and_b32_sdwa v10, v10, v19 dst_sel:DWORD dst_unused:UNUSED_PAD src0_sel:DWORD src1_sel:BYTE_1
	v_and_b32_e32 v28, 0x7f, v10
	v_cmpx_ne_u32_e32 0x7f, v28
	s_cbranch_execz .LBB370_2898
; %bb.2895:                             ;   in Loop: Header=BB370_1564 Depth=1
	v_and_b32_e32 v10, 7, v10
	v_mov_b32_e32 v22, v11
	v_lshrrev_b32_e32 v22, 3, v28
	s_mov_b32 s21, exec_lo
	v_mov_b32_e32 v21, v10
	v_cmpx_gt_u32_e32 8, v28
; %bb.2896:                             ;   in Loop: Header=BB370_1564 Depth=1
	v_ffbh_u32_e32 v21, v10
	v_min_u32_e32 v27, 32, v21
	v_subrev_nc_u32_e32 v21, 28, v27
	v_lshlrev_b64 v[21:22], v21, v[10:11]
	v_sub_nc_u32_e32 v22, 29, v27
	v_and_b32_e32 v21, 7, v21
; %bb.2897:                             ;   in Loop: Header=BB370_1564 Depth=1
	s_or_b32 exec_lo, exec_lo, s21
	v_lshlrev_b32_e32 v10, 16, v19
	v_lshlrev_b32_e32 v21, 20, v21
	v_lshl_add_u32 v22, v22, 23, 0x3c000000
	v_and_b32_e32 v10, 0x80000000, v10
	v_or3_b32 v27, v21, v10, v22
.LBB370_2898:                           ;   in Loop: Header=BB370_1564 Depth=1
	s_or_b32 exec_lo, exec_lo, s20
.LBB370_2899:                           ;   in Loop: Header=BB370_1564 Depth=1
	s_or_b32 exec_lo, exec_lo, s19
.LBB370_2900:                           ;   in Loop: Header=BB370_1564 Depth=1
	s_or_b32 exec_lo, exec_lo, s18
	v_and_b32_sdwa v10, v19, v85 dst_sel:DWORD dst_unused:UNUSED_PAD src0_sel:WORD_1 src1_sel:DWORD
	v_mov_b32_e32 v29, 0
	v_mov_b32_e32 v28, 0
	s_mov_b32 s18, exec_lo
	v_cmpx_ne_u16_e32 0, v10
	s_cbranch_execz .LBB370_2908
; %bb.2901:                             ;   in Loop: Header=BB370_1564 Depth=1
	v_bfrev_b32_e32 v28, 1
	s_mov_b32 s19, exec_lo
	v_cmpx_ne_u16_e32 0x80, v10
	s_cbranch_execz .LBB370_2907
; %bb.2902:                             ;   in Loop: Header=BB370_1564 Depth=1
	v_bfe_u32 v32, v19, 16, 7
	v_mov_b32_e32 v28, 0x7f800001
	s_mov_b32 s20, exec_lo
	v_cmpx_ne_u32_e32 0x7f, v32
	s_cbranch_execz .LBB370_2906
; %bb.2903:                             ;   in Loop: Header=BB370_1564 Depth=1
	v_mov_b32_e32 v10, 7
	s_mov_b32 s21, exec_lo
	v_and_b32_sdwa v10, v19, v10 dst_sel:DWORD dst_unused:UNUSED_PAD src0_sel:WORD_1 src1_sel:DWORD
	v_mov_b32_e32 v22, v11
	v_lshrrev_b32_e32 v22, 3, v32
	v_mov_b32_e32 v21, v10
	v_cmpx_gt_u32_e32 8, v32
; %bb.2904:                             ;   in Loop: Header=BB370_1564 Depth=1
	v_ffbh_u32_e32 v21, v10
	v_min_u32_e32 v28, 32, v21
	v_subrev_nc_u32_e32 v21, 28, v28
	v_lshlrev_b64 v[21:22], v21, v[10:11]
	v_sub_nc_u32_e32 v22, 29, v28
	v_and_b32_e32 v21, 7, v21
; %bb.2905:                             ;   in Loop: Header=BB370_1564 Depth=1
	s_or_b32 exec_lo, exec_lo, s21
	v_mov_b32_e32 v10, 24
	v_lshlrev_b32_e32 v21, 20, v21
	v_lshl_add_u32 v22, v22, 23, 0x3c000000
	v_lshlrev_b32_sdwa v10, v10, v19 dst_sel:DWORD dst_unused:UNUSED_PAD src0_sel:DWORD src1_sel:WORD_1
	v_and_b32_e32 v10, 0x80000000, v10
	v_or3_b32 v28, v21, v10, v22
.LBB370_2906:                           ;   in Loop: Header=BB370_1564 Depth=1
	s_or_b32 exec_lo, exec_lo, s20
.LBB370_2907:                           ;   in Loop: Header=BB370_1564 Depth=1
	s_or_b32 exec_lo, exec_lo, s19
.LBB370_2908:                           ;   in Loop: Header=BB370_1564 Depth=1
	s_or_b32 exec_lo, exec_lo, s18
	s_mov_b32 s18, exec_lo
	v_cmpx_lt_u32_e32 0xffffff, v19
	s_cbranch_execz .LBB370_2916
; %bb.2909:                             ;   in Loop: Header=BB370_1564 Depth=1
	v_cmp_ne_u32_sdwa s4, v19, v83 src0_sel:BYTE_3 src1_sel:DWORD
	v_bfrev_b32_e32 v29, 1
	s_and_saveexec_b32 s19, s4
	s_cbranch_execz .LBB370_2915
; %bb.2910:                             ;   in Loop: Header=BB370_1564 Depth=1
	v_bfe_u32 v32, v19, 24, 7
	v_mov_b32_e32 v29, 0x7f800001
	s_mov_b32 s20, exec_lo
	v_cmpx_ne_u32_e32 0x7f, v32
	s_cbranch_execz .LBB370_2914
; %bb.2911:                             ;   in Loop: Header=BB370_1564 Depth=1
	v_mov_b32_e32 v10, 7
	s_mov_b32 s21, exec_lo
	v_and_b32_sdwa v10, v19, v10 dst_sel:DWORD dst_unused:UNUSED_PAD src0_sel:BYTE_3 src1_sel:DWORD
	v_mov_b32_e32 v22, v11
	v_lshrrev_b32_e32 v22, 3, v32
	v_mov_b32_e32 v21, v10
	v_cmpx_gt_u32_e32 8, v32
; %bb.2912:                             ;   in Loop: Header=BB370_1564 Depth=1
	v_ffbh_u32_e32 v21, v10
	v_min_u32_e32 v29, 32, v21
	v_subrev_nc_u32_e32 v21, 28, v29
	v_lshlrev_b64 v[21:22], v21, v[10:11]
	v_sub_nc_u32_e32 v22, 29, v29
	v_and_b32_e32 v21, 7, v21
; %bb.2913:                             ;   in Loop: Header=BB370_1564 Depth=1
	s_or_b32 exec_lo, exec_lo, s21
	v_mov_b32_e32 v10, 24
	v_lshlrev_b32_e32 v21, 20, v21
	v_lshl_add_u32 v22, v22, 23, 0x3c000000
	v_lshlrev_b32_sdwa v10, v10, v19 dst_sel:DWORD dst_unused:UNUSED_PAD src0_sel:DWORD src1_sel:BYTE_3
	v_and_b32_e32 v10, 0x80000000, v10
	v_or3_b32 v29, v21, v10, v22
.LBB370_2914:                           ;   in Loop: Header=BB370_1564 Depth=1
	s_or_b32 exec_lo, exec_lo, s20
.LBB370_2915:                           ;   in Loop: Header=BB370_1564 Depth=1
	s_or_b32 exec_lo, exec_lo, s19
.LBB370_2916:                           ;   in Loop: Header=BB370_1564 Depth=1
	s_or_b32 exec_lo, exec_lo, s18
	v_mov_b32_e32 v10, v20
	v_cmp_ne_u16_sdwa s4, v20, v11 src0_sel:BYTE_0 src1_sel:DWORD
	v_mov_b32_e32 v32, 0
	v_mov_b32_e32 v37, 0
	s_and_saveexec_b32 s18, s4
	s_cbranch_execz .LBB370_2924
; %bb.2917:                             ;   in Loop: Header=BB370_1564 Depth=1
	v_cmp_ne_u16_sdwa s4, v20, v83 src0_sel:BYTE_0 src1_sel:DWORD
	v_bfrev_b32_e32 v37, 1
	s_and_saveexec_b32 s19, s4
	s_cbranch_execz .LBB370_2923
; %bb.2918:                             ;   in Loop: Header=BB370_1564 Depth=1
	v_and_b32_e32 v35, 0x7f, v20
	v_mov_b32_e32 v37, 0x7f800001
	s_mov_b32 s20, exec_lo
	v_cmpx_ne_u32_e32 0x7f, v35
	s_cbranch_execz .LBB370_2922
; %bb.2919:                             ;   in Loop: Header=BB370_1564 Depth=1
	v_mov_b32_e32 v22, v11
	v_mov_b32_e32 v21, v10
	v_lshrrev_b32_e32 v22, 3, v35
	s_mov_b32 s21, exec_lo
	v_cmpx_gt_u32_e32 8, v35
; %bb.2920:                             ;   in Loop: Header=BB370_1564 Depth=1
	v_and_b32_e32 v21, 7, v20
	v_ffbh_u32_e32 v21, v21
	v_min_u32_e32 v35, 32, v21
	v_subrev_nc_u32_e32 v21, 28, v35
	v_lshlrev_b64 v[21:22], v21, v[10:11]
	v_sub_nc_u32_e32 v22, 29, v35
; %bb.2921:                             ;   in Loop: Header=BB370_1564 Depth=1
	s_or_b32 exec_lo, exec_lo, s21
	v_lshlrev_b32_e32 v21, 20, v21
	v_lshlrev_b32_e32 v35, 24, v10
	v_lshl_add_u32 v22, v22, 23, 0x3c000000
	v_and_b32_e32 v21, 0x700000, v21
	v_and_b32_e32 v35, 0x80000000, v35
	v_or3_b32 v37, v21, v35, v22
.LBB370_2922:                           ;   in Loop: Header=BB370_1564 Depth=1
	s_or_b32 exec_lo, exec_lo, s20
.LBB370_2923:                           ;   in Loop: Header=BB370_1564 Depth=1
	s_or_b32 exec_lo, exec_lo, s19
.LBB370_2924:                           ;   in Loop: Header=BB370_1564 Depth=1
	s_or_b32 exec_lo, exec_lo, s18
	v_cmp_ne_u16_sdwa s4, v10, v11 src0_sel:BYTE_1 src1_sel:DWORD
	s_and_saveexec_b32 s18, s4
	s_cbranch_execz .LBB370_2932
; %bb.2925:                             ;   in Loop: Header=BB370_1564 Depth=1
	v_cmp_ne_u16_sdwa s4, v10, v83 src0_sel:BYTE_1 src1_sel:DWORD
	v_bfrev_b32_e32 v32, 1
	s_and_saveexec_b32 s19, s4
	s_cbranch_execz .LBB370_2931
; %bb.2926:                             ;   in Loop: Header=BB370_1564 Depth=1
	v_mov_b32_e32 v21, 0xffff
	v_mov_b32_e32 v32, 0x7f800001
	s_mov_b32 s20, exec_lo
	v_and_b32_sdwa v21, v21, v10 dst_sel:DWORD dst_unused:UNUSED_PAD src0_sel:DWORD src1_sel:BYTE_1
	v_and_b32_e32 v35, 0x7f, v21
	v_cmpx_ne_u32_e32 0x7f, v35
	s_cbranch_execz .LBB370_2930
; %bb.2927:                             ;   in Loop: Header=BB370_1564 Depth=1
	v_and_b32_e32 v21, 7, v21
	v_mov_b32_e32 v22, v11
	v_lshrrev_b32_e32 v32, 3, v35
	s_mov_b32 s21, exec_lo
	v_cmpx_gt_u32_e32 8, v35
; %bb.2928:                             ;   in Loop: Header=BB370_1564 Depth=1
	v_ffbh_u32_e32 v32, v21
	v_min_u32_e32 v32, 32, v32
	v_subrev_nc_u32_e32 v35, 28, v32
	v_sub_nc_u32_e32 v32, 29, v32
	v_lshlrev_b64 v[21:22], v35, v[21:22]
	v_and_b32_e32 v21, 7, v21
; %bb.2929:                             ;   in Loop: Header=BB370_1564 Depth=1
	s_or_b32 exec_lo, exec_lo, s21
	v_lshlrev_b32_e32 v10, 16, v10
	v_lshlrev_b32_e32 v21, 20, v21
	v_lshl_add_u32 v22, v32, 23, 0x3c000000
	v_and_b32_e32 v10, 0x80000000, v10
	v_or3_b32 v32, v21, v10, v22
.LBB370_2930:                           ;   in Loop: Header=BB370_1564 Depth=1
	s_or_b32 exec_lo, exec_lo, s20
.LBB370_2931:                           ;   in Loop: Header=BB370_1564 Depth=1
	s_or_b32 exec_lo, exec_lo, s19
.LBB370_2932:                           ;   in Loop: Header=BB370_1564 Depth=1
	s_or_b32 exec_lo, exec_lo, s18
	v_and_b32_sdwa v10, v20, v85 dst_sel:DWORD dst_unused:UNUSED_PAD src0_sel:WORD_1 src1_sel:DWORD
	v_mov_b32_e32 v35, 0
	v_mov_b32_e32 v36, 0
	s_mov_b32 s18, exec_lo
	v_cmpx_ne_u16_e32 0, v10
	s_cbranch_execz .LBB370_2940
; %bb.2933:                             ;   in Loop: Header=BB370_1564 Depth=1
	v_bfrev_b32_e32 v36, 1
	s_mov_b32 s19, exec_lo
	v_cmpx_ne_u16_e32 0x80, v10
	s_cbranch_execz .LBB370_2939
; %bb.2934:                             ;   in Loop: Header=BB370_1564 Depth=1
	v_bfe_u32 v38, v20, 16, 7
	v_mov_b32_e32 v36, 0x7f800001
	s_mov_b32 s20, exec_lo
	v_cmpx_ne_u32_e32 0x7f, v38
	s_cbranch_execz .LBB370_2938
; %bb.2935:                             ;   in Loop: Header=BB370_1564 Depth=1
	v_mov_b32_e32 v10, 7
	s_mov_b32 s21, exec_lo
	v_and_b32_sdwa v10, v20, v10 dst_sel:DWORD dst_unused:UNUSED_PAD src0_sel:WORD_1 src1_sel:DWORD
	v_mov_b32_e32 v22, v11
	v_lshrrev_b32_e32 v22, 3, v38
	v_mov_b32_e32 v21, v10
	v_cmpx_gt_u32_e32 8, v38
; %bb.2936:                             ;   in Loop: Header=BB370_1564 Depth=1
	v_ffbh_u32_e32 v21, v10
	v_min_u32_e32 v36, 32, v21
	v_subrev_nc_u32_e32 v21, 28, v36
	v_lshlrev_b64 v[21:22], v21, v[10:11]
	v_sub_nc_u32_e32 v22, 29, v36
	v_and_b32_e32 v21, 7, v21
; %bb.2937:                             ;   in Loop: Header=BB370_1564 Depth=1
	s_or_b32 exec_lo, exec_lo, s21
	v_mov_b32_e32 v10, 24
	v_lshlrev_b32_e32 v21, 20, v21
	v_lshl_add_u32 v22, v22, 23, 0x3c000000
	v_lshlrev_b32_sdwa v10, v10, v20 dst_sel:DWORD dst_unused:UNUSED_PAD src0_sel:DWORD src1_sel:WORD_1
	v_and_b32_e32 v10, 0x80000000, v10
	v_or3_b32 v36, v21, v10, v22
.LBB370_2938:                           ;   in Loop: Header=BB370_1564 Depth=1
	s_or_b32 exec_lo, exec_lo, s20
.LBB370_2939:                           ;   in Loop: Header=BB370_1564 Depth=1
	s_or_b32 exec_lo, exec_lo, s19
.LBB370_2940:                           ;   in Loop: Header=BB370_1564 Depth=1
	s_or_b32 exec_lo, exec_lo, s18
	s_mov_b32 s18, exec_lo
	v_cmpx_lt_u64_e64 s[6:7], v[19:20]
	s_cbranch_execz .LBB370_2948
; %bb.2941:                             ;   in Loop: Header=BB370_1564 Depth=1
	v_cmp_ne_u32_sdwa s4, v20, v83 src0_sel:BYTE_3 src1_sel:DWORD
	v_bfrev_b32_e32 v35, 1
	s_and_saveexec_b32 s19, s4
	s_cbranch_execz .LBB370_2947
; %bb.2942:                             ;   in Loop: Header=BB370_1564 Depth=1
	v_bfe_u32 v38, v20, 24, 7
	v_mov_b32_e32 v35, 0x7f800001
	s_mov_b32 s20, exec_lo
	v_cmpx_ne_u32_e32 0x7f, v38
	s_cbranch_execz .LBB370_2946
; %bb.2943:                             ;   in Loop: Header=BB370_1564 Depth=1
	v_mov_b32_e32 v10, 7
	v_lshrrev_b32_e32 v19, 3, v38
	s_mov_b32 s21, exec_lo
	v_and_b32_sdwa v10, v20, v10 dst_sel:DWORD dst_unused:UNUSED_PAD src0_sel:BYTE_3 src1_sel:DWORD
	v_mov_b32_e32 v22, v11
	v_mov_b32_e32 v21, v10
	v_cmpx_gt_u32_e32 8, v38
; %bb.2944:                             ;   in Loop: Header=BB370_1564 Depth=1
	v_ffbh_u32_e32 v19, v10
	v_min_u32_e32 v19, 32, v19
	v_subrev_nc_u32_e32 v21, 28, v19
	v_sub_nc_u32_e32 v19, 29, v19
	v_lshlrev_b64 v[21:22], v21, v[10:11]
	v_and_b32_e32 v21, 7, v21
; %bb.2945:                             ;   in Loop: Header=BB370_1564 Depth=1
	s_or_b32 exec_lo, exec_lo, s21
	v_mov_b32_e32 v10, 24
	v_lshl_add_u32 v19, v19, 23, 0x3c000000
	v_lshlrev_b32_sdwa v10, v10, v20 dst_sel:DWORD dst_unused:UNUSED_PAD src0_sel:DWORD src1_sel:BYTE_3
	v_lshlrev_b32_e32 v20, 20, v21
	v_and_b32_e32 v10, 0x80000000, v10
	v_or3_b32 v35, v20, v10, v19
.LBB370_2946:                           ;   in Loop: Header=BB370_1564 Depth=1
	s_or_b32 exec_lo, exec_lo, s20
.LBB370_2947:                           ;   in Loop: Header=BB370_1564 Depth=1
	s_or_b32 exec_lo, exec_lo, s19
.LBB370_2948:                           ;   in Loop: Header=BB370_1564 Depth=1
	s_or_b32 exec_lo, exec_lo, s18
	v_mul_f32_e32 v10, v71, v32
	v_bfe_u32 v19, v10, 16, 1
	v_or_b32_e32 v20, 0x400000, v10
	v_cmp_u_f32_e64 s4, v10, v10
	v_add3_u32 v19, v19, v10, 0x7fff
	v_cndmask_b32_e64 v10, v19, v20, s4
	v_lshrrev_b32_e32 v32, 16, v10
	v_mul_f32_e32 v10, v71, v37
	v_bfe_u32 v19, v10, 16, 1
	v_or_b32_e32 v20, 0x400000, v10
	v_cmp_u_f32_e64 s4, v10, v10
	v_add3_u32 v19, v19, v10, 0x7fff
	v_cndmask_b32_e64 v10, v19, v20, s4
	v_lshrrev_b32_e32 v44, 16, v10
	;; [unrolled: 7-line block ×8, first 2 shown]
	s_and_saveexec_b32 s18, vcc_lo
	s_cbranch_execz .LBB370_2950
; %bb.2949:                             ;   in Loop: Header=BB370_1564 Depth=1
	v_cmp_lt_i32_e64 s4, v91, v88
	v_cndmask_b32_e64 v46, 0, v46, s4
	v_cmp_lt_i32_e64 s4, v111, v88
	v_cndmask_b32_e64 v86, 0, v86, s4
	;; [unrolled: 2-line block ×8, first 2 shown]
.LBB370_2950:                           ;   in Loop: Header=BB370_1564 Depth=1
	s_or_b32 exec_lo, exec_lo, s18
	flat_load_dwordx2 v[19:20], v[15:16] offset:1280
	v_mov_b32_e32 v28, 0
	v_mov_b32_e32 v29, 0
	s_waitcnt vmcnt(0) lgkmcnt(0)
	v_cmp_ne_u16_sdwa s4, v19, v11 src0_sel:BYTE_0 src1_sel:DWORD
	s_and_saveexec_b32 s18, s4
	s_cbranch_execz .LBB370_2958
; %bb.2951:                             ;   in Loop: Header=BB370_1564 Depth=1
	v_cmp_ne_u16_sdwa s4, v19, v83 src0_sel:BYTE_0 src1_sel:DWORD
	v_bfrev_b32_e32 v29, 1
	s_and_saveexec_b32 s19, s4
	s_cbranch_execz .LBB370_2957
; %bb.2952:                             ;   in Loop: Header=BB370_1564 Depth=1
	v_and_b32_e32 v21, 0x7f, v19
	v_mov_b32_e32 v29, 0x7f800001
	s_mov_b32 s20, exec_lo
	v_cmpx_ne_u32_e32 0x7f, v21
	s_cbranch_execz .LBB370_2956
; %bb.2953:                             ;   in Loop: Header=BB370_1564 Depth=1
	v_lshrrev_b32_e32 v10, 3, v21
	v_cmp_gt_u32_e64 s4, 8, v21
	v_mov_b32_e32 v22, v20
	v_mov_b32_e32 v21, v19
	s_and_saveexec_b32 s21, s4
; %bb.2954:                             ;   in Loop: Header=BB370_1564 Depth=1
	v_and_b32_e32 v10, 7, v19
	v_ffbh_u32_e32 v10, v10
	v_min_u32_e32 v10, 32, v10
	v_subrev_nc_u32_e32 v21, 28, v10
	v_sub_nc_u32_e32 v10, 29, v10
	v_lshlrev_b64 v[21:22], v21, v[19:20]
; %bb.2955:                             ;   in Loop: Header=BB370_1564 Depth=1
	s_or_b32 exec_lo, exec_lo, s21
	v_lshlrev_b32_e32 v21, 20, v21
	v_lshlrev_b32_e32 v22, 24, v19
	v_lshl_add_u32 v10, v10, 23, 0x3c000000
	v_and_b32_e32 v21, 0x700000, v21
	v_and_b32_e32 v22, 0x80000000, v22
	v_or3_b32 v29, v21, v22, v10
.LBB370_2956:                           ;   in Loop: Header=BB370_1564 Depth=1
	s_or_b32 exec_lo, exec_lo, s20
.LBB370_2957:                           ;   in Loop: Header=BB370_1564 Depth=1
	s_or_b32 exec_lo, exec_lo, s19
.LBB370_2958:                           ;   in Loop: Header=BB370_1564 Depth=1
	s_or_b32 exec_lo, exec_lo, s18
	v_cmp_ne_u16_sdwa s4, v19, v11 src0_sel:BYTE_1 src1_sel:DWORD
	s_and_saveexec_b32 s18, s4
	s_cbranch_execz .LBB370_2966
; %bb.2959:                             ;   in Loop: Header=BB370_1564 Depth=1
	v_cmp_ne_u16_sdwa s4, v19, v83 src0_sel:BYTE_1 src1_sel:DWORD
	v_bfrev_b32_e32 v28, 1
	s_and_saveexec_b32 s19, s4
	s_cbranch_execz .LBB370_2965
; %bb.2960:                             ;   in Loop: Header=BB370_1564 Depth=1
	v_mov_b32_e32 v10, 0xffff
	v_mov_b32_e32 v28, 0x7f800001
	s_mov_b32 s20, exec_lo
	v_and_b32_sdwa v10, v10, v19 dst_sel:DWORD dst_unused:UNUSED_PAD src0_sel:DWORD src1_sel:BYTE_1
	v_and_b32_e32 v26, 0x7f, v10
	v_cmpx_ne_u32_e32 0x7f, v26
	s_cbranch_execz .LBB370_2964
; %bb.2961:                             ;   in Loop: Header=BB370_1564 Depth=1
	v_and_b32_e32 v10, 7, v10
	v_mov_b32_e32 v22, v11
	v_lshrrev_b32_e32 v22, 3, v26
	s_mov_b32 s21, exec_lo
	v_mov_b32_e32 v21, v10
	v_cmpx_gt_u32_e32 8, v26
; %bb.2962:                             ;   in Loop: Header=BB370_1564 Depth=1
	v_ffbh_u32_e32 v21, v10
	v_min_u32_e32 v26, 32, v21
	v_subrev_nc_u32_e32 v21, 28, v26
	v_lshlrev_b64 v[21:22], v21, v[10:11]
	v_sub_nc_u32_e32 v22, 29, v26
	v_and_b32_e32 v21, 7, v21
; %bb.2963:                             ;   in Loop: Header=BB370_1564 Depth=1
	s_or_b32 exec_lo, exec_lo, s21
	v_lshlrev_b32_e32 v10, 16, v19
	v_lshlrev_b32_e32 v21, 20, v21
	v_lshl_add_u32 v22, v22, 23, 0x3c000000
	v_and_b32_e32 v10, 0x80000000, v10
	v_or3_b32 v28, v21, v10, v22
.LBB370_2964:                           ;   in Loop: Header=BB370_1564 Depth=1
	s_or_b32 exec_lo, exec_lo, s20
.LBB370_2965:                           ;   in Loop: Header=BB370_1564 Depth=1
	s_or_b32 exec_lo, exec_lo, s19
.LBB370_2966:                           ;   in Loop: Header=BB370_1564 Depth=1
	s_or_b32 exec_lo, exec_lo, s18
	v_and_b32_sdwa v10, v19, v85 dst_sel:DWORD dst_unused:UNUSED_PAD src0_sel:WORD_1 src1_sel:DWORD
	v_mov_b32_e32 v26, 0
	v_mov_b32_e32 v27, 0
	s_mov_b32 s18, exec_lo
	v_cmpx_ne_u16_e32 0, v10
	s_cbranch_execz .LBB370_2974
; %bb.2967:                             ;   in Loop: Header=BB370_1564 Depth=1
	v_bfrev_b32_e32 v27, 1
	s_mov_b32 s19, exec_lo
	v_cmpx_ne_u16_e32 0x80, v10
	s_cbranch_execz .LBB370_2973
; %bb.2968:                             ;   in Loop: Header=BB370_1564 Depth=1
	v_bfe_u32 v35, v19, 16, 7
	v_mov_b32_e32 v27, 0x7f800001
	s_mov_b32 s20, exec_lo
	v_cmpx_ne_u32_e32 0x7f, v35
	s_cbranch_execz .LBB370_2972
; %bb.2969:                             ;   in Loop: Header=BB370_1564 Depth=1
	v_mov_b32_e32 v10, 7
	s_mov_b32 s21, exec_lo
	v_and_b32_sdwa v10, v19, v10 dst_sel:DWORD dst_unused:UNUSED_PAD src0_sel:WORD_1 src1_sel:DWORD
	v_mov_b32_e32 v22, v11
	v_lshrrev_b32_e32 v22, 3, v35
	v_mov_b32_e32 v21, v10
	v_cmpx_gt_u32_e32 8, v35
; %bb.2970:                             ;   in Loop: Header=BB370_1564 Depth=1
	v_ffbh_u32_e32 v21, v10
	v_min_u32_e32 v27, 32, v21
	v_subrev_nc_u32_e32 v21, 28, v27
	v_lshlrev_b64 v[21:22], v21, v[10:11]
	v_sub_nc_u32_e32 v22, 29, v27
	v_and_b32_e32 v21, 7, v21
; %bb.2971:                             ;   in Loop: Header=BB370_1564 Depth=1
	s_or_b32 exec_lo, exec_lo, s21
	v_mov_b32_e32 v10, 24
	v_lshlrev_b32_e32 v21, 20, v21
	v_lshl_add_u32 v22, v22, 23, 0x3c000000
	v_lshlrev_b32_sdwa v10, v10, v19 dst_sel:DWORD dst_unused:UNUSED_PAD src0_sel:DWORD src1_sel:WORD_1
	v_and_b32_e32 v10, 0x80000000, v10
	v_or3_b32 v27, v21, v10, v22
.LBB370_2972:                           ;   in Loop: Header=BB370_1564 Depth=1
	s_or_b32 exec_lo, exec_lo, s20
.LBB370_2973:                           ;   in Loop: Header=BB370_1564 Depth=1
	s_or_b32 exec_lo, exec_lo, s19
.LBB370_2974:                           ;   in Loop: Header=BB370_1564 Depth=1
	s_or_b32 exec_lo, exec_lo, s18
	s_mov_b32 s18, exec_lo
	v_cmpx_lt_u32_e32 0xffffff, v19
	s_cbranch_execz .LBB370_2982
; %bb.2975:                             ;   in Loop: Header=BB370_1564 Depth=1
	v_cmp_ne_u32_sdwa s4, v19, v83 src0_sel:BYTE_3 src1_sel:DWORD
	v_bfrev_b32_e32 v26, 1
	s_and_saveexec_b32 s19, s4
	s_cbranch_execz .LBB370_2981
; %bb.2976:                             ;   in Loop: Header=BB370_1564 Depth=1
	v_bfe_u32 v35, v19, 24, 7
	v_mov_b32_e32 v26, 0x7f800001
	s_mov_b32 s20, exec_lo
	v_cmpx_ne_u32_e32 0x7f, v35
	s_cbranch_execz .LBB370_2980
; %bb.2977:                             ;   in Loop: Header=BB370_1564 Depth=1
	v_mov_b32_e32 v10, 7
	s_mov_b32 s21, exec_lo
	v_and_b32_sdwa v10, v19, v10 dst_sel:DWORD dst_unused:UNUSED_PAD src0_sel:BYTE_3 src1_sel:DWORD
	v_mov_b32_e32 v22, v11
	v_lshrrev_b32_e32 v22, 3, v35
	v_mov_b32_e32 v21, v10
	v_cmpx_gt_u32_e32 8, v35
; %bb.2978:                             ;   in Loop: Header=BB370_1564 Depth=1
	v_ffbh_u32_e32 v21, v10
	v_min_u32_e32 v26, 32, v21
	v_subrev_nc_u32_e32 v21, 28, v26
	v_lshlrev_b64 v[21:22], v21, v[10:11]
	v_sub_nc_u32_e32 v22, 29, v26
	v_and_b32_e32 v21, 7, v21
; %bb.2979:                             ;   in Loop: Header=BB370_1564 Depth=1
	s_or_b32 exec_lo, exec_lo, s21
	v_mov_b32_e32 v10, 24
	v_lshlrev_b32_e32 v21, 20, v21
	v_lshl_add_u32 v22, v22, 23, 0x3c000000
	v_lshlrev_b32_sdwa v10, v10, v19 dst_sel:DWORD dst_unused:UNUSED_PAD src0_sel:DWORD src1_sel:BYTE_3
	v_and_b32_e32 v10, 0x80000000, v10
	v_or3_b32 v26, v21, v10, v22
.LBB370_2980:                           ;   in Loop: Header=BB370_1564 Depth=1
	s_or_b32 exec_lo, exec_lo, s20
.LBB370_2981:                           ;   in Loop: Header=BB370_1564 Depth=1
	s_or_b32 exec_lo, exec_lo, s19
.LBB370_2982:                           ;   in Loop: Header=BB370_1564 Depth=1
	s_or_b32 exec_lo, exec_lo, s18
	v_mov_b32_e32 v10, v20
	v_cmp_ne_u16_sdwa s4, v20, v11 src0_sel:BYTE_0 src1_sel:DWORD
	v_mov_b32_e32 v38, 0
	v_mov_b32_e32 v35, 0
	s_and_saveexec_b32 s18, s4
	s_cbranch_execz .LBB370_2990
; %bb.2983:                             ;   in Loop: Header=BB370_1564 Depth=1
	v_cmp_ne_u16_sdwa s4, v20, v83 src0_sel:BYTE_0 src1_sel:DWORD
	v_bfrev_b32_e32 v35, 1
	s_and_saveexec_b32 s19, s4
	s_cbranch_execz .LBB370_2989
; %bb.2984:                             ;   in Loop: Header=BB370_1564 Depth=1
	v_and_b32_e32 v36, 0x7f, v20
	v_mov_b32_e32 v35, 0x7f800001
	s_mov_b32 s20, exec_lo
	v_cmpx_ne_u32_e32 0x7f, v36
	s_cbranch_execz .LBB370_2988
; %bb.2985:                             ;   in Loop: Header=BB370_1564 Depth=1
	v_mov_b32_e32 v22, v11
	v_mov_b32_e32 v21, v10
	v_lshrrev_b32_e32 v22, 3, v36
	s_mov_b32 s21, exec_lo
	v_cmpx_gt_u32_e32 8, v36
; %bb.2986:                             ;   in Loop: Header=BB370_1564 Depth=1
	v_and_b32_e32 v21, 7, v20
	v_ffbh_u32_e32 v21, v21
	v_min_u32_e32 v35, 32, v21
	v_subrev_nc_u32_e32 v21, 28, v35
	v_lshlrev_b64 v[21:22], v21, v[10:11]
	v_sub_nc_u32_e32 v22, 29, v35
; %bb.2987:                             ;   in Loop: Header=BB370_1564 Depth=1
	s_or_b32 exec_lo, exec_lo, s21
	v_lshlrev_b32_e32 v21, 20, v21
	v_lshlrev_b32_e32 v35, 24, v10
	v_lshl_add_u32 v22, v22, 23, 0x3c000000
	v_and_b32_e32 v21, 0x700000, v21
	v_and_b32_e32 v35, 0x80000000, v35
	v_or3_b32 v35, v21, v35, v22
.LBB370_2988:                           ;   in Loop: Header=BB370_1564 Depth=1
	s_or_b32 exec_lo, exec_lo, s20
.LBB370_2989:                           ;   in Loop: Header=BB370_1564 Depth=1
	s_or_b32 exec_lo, exec_lo, s19
.LBB370_2990:                           ;   in Loop: Header=BB370_1564 Depth=1
	s_or_b32 exec_lo, exec_lo, s18
	v_cmp_ne_u16_sdwa s4, v10, v11 src0_sel:BYTE_1 src1_sel:DWORD
	s_and_saveexec_b32 s18, s4
	s_cbranch_execz .LBB370_2998
; %bb.2991:                             ;   in Loop: Header=BB370_1564 Depth=1
	v_cmp_ne_u16_sdwa s4, v10, v83 src0_sel:BYTE_1 src1_sel:DWORD
	v_bfrev_b32_e32 v38, 1
	s_and_saveexec_b32 s19, s4
	s_cbranch_execz .LBB370_2997
; %bb.2992:                             ;   in Loop: Header=BB370_1564 Depth=1
	v_mov_b32_e32 v21, 0xffff
	v_mov_b32_e32 v38, 0x7f800001
	s_mov_b32 s20, exec_lo
	v_and_b32_sdwa v21, v21, v10 dst_sel:DWORD dst_unused:UNUSED_PAD src0_sel:DWORD src1_sel:BYTE_1
	v_and_b32_e32 v37, 0x7f, v21
	v_cmpx_ne_u32_e32 0x7f, v37
	s_cbranch_execz .LBB370_2996
; %bb.2993:                             ;   in Loop: Header=BB370_1564 Depth=1
	v_and_b32_e32 v21, 7, v21
	v_mov_b32_e32 v22, v11
	v_lshrrev_b32_e32 v36, 3, v37
	s_mov_b32 s21, exec_lo
	v_cmpx_gt_u32_e32 8, v37
; %bb.2994:                             ;   in Loop: Header=BB370_1564 Depth=1
	v_ffbh_u32_e32 v36, v21
	v_min_u32_e32 v36, 32, v36
	v_subrev_nc_u32_e32 v37, 28, v36
	v_sub_nc_u32_e32 v36, 29, v36
	v_lshlrev_b64 v[21:22], v37, v[21:22]
	v_and_b32_e32 v21, 7, v21
; %bb.2995:                             ;   in Loop: Header=BB370_1564 Depth=1
	s_or_b32 exec_lo, exec_lo, s21
	v_lshlrev_b32_e32 v10, 16, v10
	v_lshlrev_b32_e32 v21, 20, v21
	v_lshl_add_u32 v22, v36, 23, 0x3c000000
	v_and_b32_e32 v10, 0x80000000, v10
	v_or3_b32 v38, v21, v10, v22
.LBB370_2996:                           ;   in Loop: Header=BB370_1564 Depth=1
	s_or_b32 exec_lo, exec_lo, s20
.LBB370_2997:                           ;   in Loop: Header=BB370_1564 Depth=1
	s_or_b32 exec_lo, exec_lo, s19
.LBB370_2998:                           ;   in Loop: Header=BB370_1564 Depth=1
	s_or_b32 exec_lo, exec_lo, s18
	v_and_b32_sdwa v10, v20, v85 dst_sel:DWORD dst_unused:UNUSED_PAD src0_sel:WORD_1 src1_sel:DWORD
	v_mov_b32_e32 v36, 0
	v_mov_b32_e32 v37, 0
	s_mov_b32 s18, exec_lo
	v_cmpx_ne_u16_e32 0, v10
	s_cbranch_execz .LBB370_3006
; %bb.2999:                             ;   in Loop: Header=BB370_1564 Depth=1
	v_bfrev_b32_e32 v37, 1
	s_mov_b32 s19, exec_lo
	v_cmpx_ne_u16_e32 0x80, v10
	s_cbranch_execz .LBB370_3005
; %bb.3000:                             ;   in Loop: Header=BB370_1564 Depth=1
	v_bfe_u32 v39, v20, 16, 7
	v_mov_b32_e32 v37, 0x7f800001
	s_mov_b32 s20, exec_lo
	v_cmpx_ne_u32_e32 0x7f, v39
	s_cbranch_execz .LBB370_3004
; %bb.3001:                             ;   in Loop: Header=BB370_1564 Depth=1
	v_mov_b32_e32 v10, 7
	s_mov_b32 s21, exec_lo
	v_and_b32_sdwa v10, v20, v10 dst_sel:DWORD dst_unused:UNUSED_PAD src0_sel:WORD_1 src1_sel:DWORD
	v_mov_b32_e32 v22, v11
	v_lshrrev_b32_e32 v22, 3, v39
	v_mov_b32_e32 v21, v10
	v_cmpx_gt_u32_e32 8, v39
; %bb.3002:                             ;   in Loop: Header=BB370_1564 Depth=1
	v_ffbh_u32_e32 v21, v10
	v_min_u32_e32 v37, 32, v21
	v_subrev_nc_u32_e32 v21, 28, v37
	v_lshlrev_b64 v[21:22], v21, v[10:11]
	v_sub_nc_u32_e32 v22, 29, v37
	v_and_b32_e32 v21, 7, v21
; %bb.3003:                             ;   in Loop: Header=BB370_1564 Depth=1
	s_or_b32 exec_lo, exec_lo, s21
	v_mov_b32_e32 v10, 24
	v_lshlrev_b32_e32 v21, 20, v21
	v_lshl_add_u32 v22, v22, 23, 0x3c000000
	v_lshlrev_b32_sdwa v10, v10, v20 dst_sel:DWORD dst_unused:UNUSED_PAD src0_sel:DWORD src1_sel:WORD_1
	v_and_b32_e32 v10, 0x80000000, v10
	v_or3_b32 v37, v21, v10, v22
.LBB370_3004:                           ;   in Loop: Header=BB370_1564 Depth=1
	s_or_b32 exec_lo, exec_lo, s20
.LBB370_3005:                           ;   in Loop: Header=BB370_1564 Depth=1
	s_or_b32 exec_lo, exec_lo, s19
.LBB370_3006:                           ;   in Loop: Header=BB370_1564 Depth=1
	s_or_b32 exec_lo, exec_lo, s18
	s_mov_b32 s18, exec_lo
	v_cmpx_lt_u64_e64 s[6:7], v[19:20]
	s_cbranch_execz .LBB370_3014
; %bb.3007:                             ;   in Loop: Header=BB370_1564 Depth=1
	v_cmp_ne_u32_sdwa s4, v20, v83 src0_sel:BYTE_3 src1_sel:DWORD
	v_bfrev_b32_e32 v36, 1
	s_and_saveexec_b32 s19, s4
	s_cbranch_execz .LBB370_3013
; %bb.3008:                             ;   in Loop: Header=BB370_1564 Depth=1
	v_bfe_u32 v39, v20, 24, 7
	v_mov_b32_e32 v36, 0x7f800001
	s_mov_b32 s20, exec_lo
	v_cmpx_ne_u32_e32 0x7f, v39
	s_cbranch_execz .LBB370_3012
; %bb.3009:                             ;   in Loop: Header=BB370_1564 Depth=1
	v_mov_b32_e32 v10, 7
	v_lshrrev_b32_e32 v19, 3, v39
	s_mov_b32 s21, exec_lo
	v_and_b32_sdwa v10, v20, v10 dst_sel:DWORD dst_unused:UNUSED_PAD src0_sel:BYTE_3 src1_sel:DWORD
	v_mov_b32_e32 v22, v11
	v_mov_b32_e32 v21, v10
	v_cmpx_gt_u32_e32 8, v39
; %bb.3010:                             ;   in Loop: Header=BB370_1564 Depth=1
	v_ffbh_u32_e32 v19, v10
	v_min_u32_e32 v19, 32, v19
	v_subrev_nc_u32_e32 v21, 28, v19
	v_sub_nc_u32_e32 v19, 29, v19
	v_lshlrev_b64 v[21:22], v21, v[10:11]
	v_and_b32_e32 v21, 7, v21
; %bb.3011:                             ;   in Loop: Header=BB370_1564 Depth=1
	s_or_b32 exec_lo, exec_lo, s21
	v_mov_b32_e32 v10, 24
	v_lshl_add_u32 v19, v19, 23, 0x3c000000
	v_lshlrev_b32_sdwa v10, v10, v20 dst_sel:DWORD dst_unused:UNUSED_PAD src0_sel:DWORD src1_sel:BYTE_3
	v_lshlrev_b32_e32 v20, 20, v21
	v_and_b32_e32 v10, 0x80000000, v10
	v_or3_b32 v36, v20, v10, v19
.LBB370_3012:                           ;   in Loop: Header=BB370_1564 Depth=1
	s_or_b32 exec_lo, exec_lo, s20
.LBB370_3013:                           ;   in Loop: Header=BB370_1564 Depth=1
	s_or_b32 exec_lo, exec_lo, s19
.LBB370_3014:                           ;   in Loop: Header=BB370_1564 Depth=1
	s_or_b32 exec_lo, exec_lo, s18
	v_mul_f32_e32 v10, v71, v38
	v_bfe_u32 v19, v10, 16, 1
	v_or_b32_e32 v20, 0x400000, v10
	v_cmp_u_f32_e64 s4, v10, v10
	v_add3_u32 v19, v19, v10, 0x7fff
	v_cndmask_b32_e64 v10, v19, v20, s4
	v_lshrrev_b32_e32 v56, 16, v10
	v_mul_f32_e32 v10, v71, v35
	v_bfe_u32 v19, v10, 16, 1
	v_or_b32_e32 v20, 0x400000, v10
	v_cmp_u_f32_e64 s4, v10, v10
	v_add3_u32 v19, v19, v10, 0x7fff
	v_cndmask_b32_e64 v10, v19, v20, s4
	v_lshrrev_b32_e32 v57, 16, v10
	;; [unrolled: 7-line block ×8, first 2 shown]
	s_and_saveexec_b32 s18, vcc_lo
	s_cbranch_execz .LBB370_3016
; %bb.3015:                             ;   in Loop: Header=BB370_1564 Depth=1
	v_cmp_lt_i32_e64 s4, v91, v88
	v_cndmask_b32_e64 v35, 0, v35, s4
	v_cmp_lt_i32_e64 s4, v111, v88
	v_cndmask_b32_e64 v28, 0, v28, s4
	;; [unrolled: 2-line block ×8, first 2 shown]
.LBB370_3016:                           ;   in Loop: Header=BB370_1564 Depth=1
	s_or_b32 exec_lo, exec_lo, s18
	flat_load_dwordx2 v[19:20], v[15:16] offset:1536
	v_mov_b32_e32 v49, 0
	v_mov_b32_e32 v50, 0
	s_waitcnt vmcnt(0) lgkmcnt(0)
	v_cmp_ne_u16_sdwa s4, v19, v11 src0_sel:BYTE_0 src1_sel:DWORD
	s_and_saveexec_b32 s18, s4
	s_cbranch_execz .LBB370_3024
; %bb.3017:                             ;   in Loop: Header=BB370_1564 Depth=1
	v_cmp_ne_u16_sdwa s4, v19, v83 src0_sel:BYTE_0 src1_sel:DWORD
	v_bfrev_b32_e32 v50, 1
	s_and_saveexec_b32 s19, s4
	s_cbranch_execz .LBB370_3023
; %bb.3018:                             ;   in Loop: Header=BB370_1564 Depth=1
	v_and_b32_e32 v21, 0x7f, v19
	v_mov_b32_e32 v50, 0x7f800001
	s_mov_b32 s20, exec_lo
	v_cmpx_ne_u32_e32 0x7f, v21
	s_cbranch_execz .LBB370_3022
; %bb.3019:                             ;   in Loop: Header=BB370_1564 Depth=1
	v_lshrrev_b32_e32 v10, 3, v21
	v_cmp_gt_u32_e64 s4, 8, v21
	v_mov_b32_e32 v22, v20
	v_mov_b32_e32 v21, v19
	s_and_saveexec_b32 s21, s4
; %bb.3020:                             ;   in Loop: Header=BB370_1564 Depth=1
	v_and_b32_e32 v10, 7, v19
	v_ffbh_u32_e32 v10, v10
	v_min_u32_e32 v10, 32, v10
	v_subrev_nc_u32_e32 v21, 28, v10
	v_sub_nc_u32_e32 v10, 29, v10
	v_lshlrev_b64 v[21:22], v21, v[19:20]
; %bb.3021:                             ;   in Loop: Header=BB370_1564 Depth=1
	s_or_b32 exec_lo, exec_lo, s21
	v_lshlrev_b32_e32 v21, 20, v21
	v_lshlrev_b32_e32 v22, 24, v19
	v_lshl_add_u32 v10, v10, 23, 0x3c000000
	v_and_b32_e32 v21, 0x700000, v21
	v_and_b32_e32 v22, 0x80000000, v22
	v_or3_b32 v50, v21, v22, v10
.LBB370_3022:                           ;   in Loop: Header=BB370_1564 Depth=1
	s_or_b32 exec_lo, exec_lo, s20
.LBB370_3023:                           ;   in Loop: Header=BB370_1564 Depth=1
	s_or_b32 exec_lo, exec_lo, s19
.LBB370_3024:                           ;   in Loop: Header=BB370_1564 Depth=1
	s_or_b32 exec_lo, exec_lo, s18
	v_cmp_ne_u16_sdwa s4, v19, v11 src0_sel:BYTE_1 src1_sel:DWORD
	s_and_saveexec_b32 s18, s4
	s_cbranch_execz .LBB370_3032
; %bb.3025:                             ;   in Loop: Header=BB370_1564 Depth=1
	v_cmp_ne_u16_sdwa s4, v19, v83 src0_sel:BYTE_1 src1_sel:DWORD
	v_bfrev_b32_e32 v49, 1
	s_and_saveexec_b32 s19, s4
	s_cbranch_execz .LBB370_3031
; %bb.3026:                             ;   in Loop: Header=BB370_1564 Depth=1
	v_mov_b32_e32 v10, 0xffff
	v_mov_b32_e32 v49, 0x7f800001
	s_mov_b32 s20, exec_lo
	v_and_b32_sdwa v10, v10, v19 dst_sel:DWORD dst_unused:UNUSED_PAD src0_sel:DWORD src1_sel:BYTE_1
	v_and_b32_e32 v37, 0x7f, v10
	v_cmpx_ne_u32_e32 0x7f, v37
	s_cbranch_execz .LBB370_3030
; %bb.3027:                             ;   in Loop: Header=BB370_1564 Depth=1
	v_and_b32_e32 v10, 7, v10
	v_mov_b32_e32 v22, v11
	v_lshrrev_b32_e32 v22, 3, v37
	s_mov_b32 s21, exec_lo
	v_mov_b32_e32 v21, v10
	v_cmpx_gt_u32_e32 8, v37
; %bb.3028:                             ;   in Loop: Header=BB370_1564 Depth=1
	v_ffbh_u32_e32 v21, v10
	v_min_u32_e32 v37, 32, v21
	v_subrev_nc_u32_e32 v21, 28, v37
	v_lshlrev_b64 v[21:22], v21, v[10:11]
	v_sub_nc_u32_e32 v22, 29, v37
	v_and_b32_e32 v21, 7, v21
; %bb.3029:                             ;   in Loop: Header=BB370_1564 Depth=1
	s_or_b32 exec_lo, exec_lo, s21
	v_lshlrev_b32_e32 v10, 16, v19
	v_lshlrev_b32_e32 v21, 20, v21
	v_lshl_add_u32 v22, v22, 23, 0x3c000000
	v_and_b32_e32 v10, 0x80000000, v10
	v_or3_b32 v49, v21, v10, v22
.LBB370_3030:                           ;   in Loop: Header=BB370_1564 Depth=1
	s_or_b32 exec_lo, exec_lo, s20
.LBB370_3031:                           ;   in Loop: Header=BB370_1564 Depth=1
	s_or_b32 exec_lo, exec_lo, s19
.LBB370_3032:                           ;   in Loop: Header=BB370_1564 Depth=1
	s_or_b32 exec_lo, exec_lo, s18
	v_and_b32_sdwa v10, v19, v85 dst_sel:DWORD dst_unused:UNUSED_PAD src0_sel:WORD_1 src1_sel:DWORD
	v_mov_b32_e32 v39, 0
	v_mov_b32_e32 v48, 0
	s_mov_b32 s18, exec_lo
	v_cmpx_ne_u16_e32 0, v10
	s_cbranch_execz .LBB370_3040
; %bb.3033:                             ;   in Loop: Header=BB370_1564 Depth=1
	v_bfrev_b32_e32 v48, 1
	s_mov_b32 s19, exec_lo
	v_cmpx_ne_u16_e32 0x80, v10
	s_cbranch_execz .LBB370_3039
; %bb.3034:                             ;   in Loop: Header=BB370_1564 Depth=1
	v_bfe_u32 v37, v19, 16, 7
	v_mov_b32_e32 v48, 0x7f800001
	s_mov_b32 s20, exec_lo
	v_cmpx_ne_u32_e32 0x7f, v37
	s_cbranch_execz .LBB370_3038
; %bb.3035:                             ;   in Loop: Header=BB370_1564 Depth=1
	v_mov_b32_e32 v10, 7
	s_mov_b32 s21, exec_lo
	v_and_b32_sdwa v10, v19, v10 dst_sel:DWORD dst_unused:UNUSED_PAD src0_sel:WORD_1 src1_sel:DWORD
	v_mov_b32_e32 v22, v11
	v_lshrrev_b32_e32 v22, 3, v37
	v_mov_b32_e32 v21, v10
	v_cmpx_gt_u32_e32 8, v37
; %bb.3036:                             ;   in Loop: Header=BB370_1564 Depth=1
	v_ffbh_u32_e32 v21, v10
	v_min_u32_e32 v37, 32, v21
	v_subrev_nc_u32_e32 v21, 28, v37
	v_lshlrev_b64 v[21:22], v21, v[10:11]
	v_sub_nc_u32_e32 v22, 29, v37
	v_and_b32_e32 v21, 7, v21
; %bb.3037:                             ;   in Loop: Header=BB370_1564 Depth=1
	s_or_b32 exec_lo, exec_lo, s21
	v_mov_b32_e32 v10, 24
	v_lshlrev_b32_e32 v21, 20, v21
	v_lshl_add_u32 v22, v22, 23, 0x3c000000
	v_lshlrev_b32_sdwa v10, v10, v19 dst_sel:DWORD dst_unused:UNUSED_PAD src0_sel:DWORD src1_sel:WORD_1
	v_and_b32_e32 v10, 0x80000000, v10
	v_or3_b32 v48, v21, v10, v22
.LBB370_3038:                           ;   in Loop: Header=BB370_1564 Depth=1
	s_or_b32 exec_lo, exec_lo, s20
.LBB370_3039:                           ;   in Loop: Header=BB370_1564 Depth=1
	s_or_b32 exec_lo, exec_lo, s19
.LBB370_3040:                           ;   in Loop: Header=BB370_1564 Depth=1
	s_or_b32 exec_lo, exec_lo, s18
	s_mov_b32 s18, exec_lo
	v_cmpx_lt_u32_e32 0xffffff, v19
	s_cbranch_execz .LBB370_3048
; %bb.3041:                             ;   in Loop: Header=BB370_1564 Depth=1
	v_cmp_ne_u32_sdwa s4, v19, v83 src0_sel:BYTE_3 src1_sel:DWORD
	v_bfrev_b32_e32 v39, 1
	s_and_saveexec_b32 s19, s4
	s_cbranch_execz .LBB370_3047
; %bb.3042:                             ;   in Loop: Header=BB370_1564 Depth=1
	v_bfe_u32 v37, v19, 24, 7
	v_mov_b32_e32 v39, 0x7f800001
	s_mov_b32 s20, exec_lo
	v_cmpx_ne_u32_e32 0x7f, v37
	s_cbranch_execz .LBB370_3046
; %bb.3043:                             ;   in Loop: Header=BB370_1564 Depth=1
	v_mov_b32_e32 v10, 7
	s_mov_b32 s21, exec_lo
	v_and_b32_sdwa v10, v19, v10 dst_sel:DWORD dst_unused:UNUSED_PAD src0_sel:BYTE_3 src1_sel:DWORD
	v_mov_b32_e32 v22, v11
	v_lshrrev_b32_e32 v22, 3, v37
	v_mov_b32_e32 v21, v10
	v_cmpx_gt_u32_e32 8, v37
; %bb.3044:                             ;   in Loop: Header=BB370_1564 Depth=1
	v_ffbh_u32_e32 v21, v10
	v_min_u32_e32 v37, 32, v21
	v_subrev_nc_u32_e32 v21, 28, v37
	v_lshlrev_b64 v[21:22], v21, v[10:11]
	v_sub_nc_u32_e32 v22, 29, v37
	v_and_b32_e32 v21, 7, v21
; %bb.3045:                             ;   in Loop: Header=BB370_1564 Depth=1
	s_or_b32 exec_lo, exec_lo, s21
	v_mov_b32_e32 v10, 24
	v_lshlrev_b32_e32 v21, 20, v21
	v_lshl_add_u32 v22, v22, 23, 0x3c000000
	v_lshlrev_b32_sdwa v10, v10, v19 dst_sel:DWORD dst_unused:UNUSED_PAD src0_sel:DWORD src1_sel:BYTE_3
	v_and_b32_e32 v10, 0x80000000, v10
	v_or3_b32 v39, v21, v10, v22
.LBB370_3046:                           ;   in Loop: Header=BB370_1564 Depth=1
	s_or_b32 exec_lo, exec_lo, s20
.LBB370_3047:                           ;   in Loop: Header=BB370_1564 Depth=1
	s_or_b32 exec_lo, exec_lo, s19
.LBB370_3048:                           ;   in Loop: Header=BB370_1564 Depth=1
	s_or_b32 exec_lo, exec_lo, s18
	v_mov_b32_e32 v10, v20
	v_cmp_ne_u16_sdwa s4, v20, v11 src0_sel:BYTE_0 src1_sel:DWORD
	v_mov_b32_e32 v37, 0
	v_mov_b32_e32 v38, 0
	s_and_saveexec_b32 s18, s4
	s_cbranch_execz .LBB370_3056
; %bb.3049:                             ;   in Loop: Header=BB370_1564 Depth=1
	v_cmp_ne_u16_sdwa s4, v20, v83 src0_sel:BYTE_0 src1_sel:DWORD
	v_bfrev_b32_e32 v38, 1
	s_and_saveexec_b32 s19, s4
	s_cbranch_execz .LBB370_3055
; %bb.3050:                             ;   in Loop: Header=BB370_1564 Depth=1
	v_and_b32_e32 v51, 0x7f, v20
	v_mov_b32_e32 v38, 0x7f800001
	s_mov_b32 s20, exec_lo
	v_cmpx_ne_u32_e32 0x7f, v51
	s_cbranch_execz .LBB370_3054
; %bb.3051:                             ;   in Loop: Header=BB370_1564 Depth=1
	v_mov_b32_e32 v22, v11
	v_mov_b32_e32 v21, v10
	v_lshrrev_b32_e32 v22, 3, v51
	s_mov_b32 s21, exec_lo
	v_cmpx_gt_u32_e32 8, v51
; %bb.3052:                             ;   in Loop: Header=BB370_1564 Depth=1
	v_and_b32_e32 v21, 7, v20
	v_ffbh_u32_e32 v21, v21
	v_min_u32_e32 v38, 32, v21
	v_subrev_nc_u32_e32 v21, 28, v38
	v_lshlrev_b64 v[21:22], v21, v[10:11]
	v_sub_nc_u32_e32 v22, 29, v38
; %bb.3053:                             ;   in Loop: Header=BB370_1564 Depth=1
	s_or_b32 exec_lo, exec_lo, s21
	v_lshlrev_b32_e32 v21, 20, v21
	v_lshlrev_b32_e32 v38, 24, v10
	v_lshl_add_u32 v22, v22, 23, 0x3c000000
	v_and_b32_e32 v21, 0x700000, v21
	v_and_b32_e32 v38, 0x80000000, v38
	v_or3_b32 v38, v21, v38, v22
.LBB370_3054:                           ;   in Loop: Header=BB370_1564 Depth=1
	s_or_b32 exec_lo, exec_lo, s20
.LBB370_3055:                           ;   in Loop: Header=BB370_1564 Depth=1
	s_or_b32 exec_lo, exec_lo, s19
.LBB370_3056:                           ;   in Loop: Header=BB370_1564 Depth=1
	s_or_b32 exec_lo, exec_lo, s18
	v_cmp_ne_u16_sdwa s4, v10, v11 src0_sel:BYTE_1 src1_sel:DWORD
	s_and_saveexec_b32 s18, s4
	s_cbranch_execz .LBB370_3064
; %bb.3057:                             ;   in Loop: Header=BB370_1564 Depth=1
	v_cmp_ne_u16_sdwa s4, v10, v83 src0_sel:BYTE_1 src1_sel:DWORD
	v_bfrev_b32_e32 v37, 1
	s_and_saveexec_b32 s19, s4
	s_cbranch_execz .LBB370_3063
; %bb.3058:                             ;   in Loop: Header=BB370_1564 Depth=1
	v_mov_b32_e32 v21, 0xffff
	v_mov_b32_e32 v37, 0x7f800001
	s_mov_b32 s20, exec_lo
	v_and_b32_sdwa v21, v21, v10 dst_sel:DWORD dst_unused:UNUSED_PAD src0_sel:DWORD src1_sel:BYTE_1
	v_and_b32_e32 v51, 0x7f, v21
	v_cmpx_ne_u32_e32 0x7f, v51
	s_cbranch_execz .LBB370_3062
; %bb.3059:                             ;   in Loop: Header=BB370_1564 Depth=1
	v_and_b32_e32 v21, 7, v21
	v_mov_b32_e32 v22, v11
	v_lshrrev_b32_e32 v37, 3, v51
	s_mov_b32 s21, exec_lo
	v_cmpx_gt_u32_e32 8, v51
; %bb.3060:                             ;   in Loop: Header=BB370_1564 Depth=1
	v_ffbh_u32_e32 v37, v21
	v_min_u32_e32 v37, 32, v37
	v_subrev_nc_u32_e32 v51, 28, v37
	v_sub_nc_u32_e32 v37, 29, v37
	v_lshlrev_b64 v[21:22], v51, v[21:22]
	v_and_b32_e32 v21, 7, v21
; %bb.3061:                             ;   in Loop: Header=BB370_1564 Depth=1
	s_or_b32 exec_lo, exec_lo, s21
	v_lshlrev_b32_e32 v10, 16, v10
	v_lshlrev_b32_e32 v21, 20, v21
	v_lshl_add_u32 v22, v37, 23, 0x3c000000
	v_and_b32_e32 v10, 0x80000000, v10
	v_or3_b32 v37, v21, v10, v22
.LBB370_3062:                           ;   in Loop: Header=BB370_1564 Depth=1
	s_or_b32 exec_lo, exec_lo, s20
.LBB370_3063:                           ;   in Loop: Header=BB370_1564 Depth=1
	s_or_b32 exec_lo, exec_lo, s19
.LBB370_3064:                           ;   in Loop: Header=BB370_1564 Depth=1
	s_or_b32 exec_lo, exec_lo, s18
	v_and_b32_sdwa v10, v20, v85 dst_sel:DWORD dst_unused:UNUSED_PAD src0_sel:WORD_1 src1_sel:DWORD
	v_mov_b32_e32 v52, 0
	v_mov_b32_e32 v53, 0
	s_mov_b32 s18, exec_lo
	v_cmpx_ne_u16_e32 0, v10
	s_cbranch_execz .LBB370_3072
; %bb.3065:                             ;   in Loop: Header=BB370_1564 Depth=1
	v_bfrev_b32_e32 v53, 1
	s_mov_b32 s19, exec_lo
	v_cmpx_ne_u16_e32 0x80, v10
	s_cbranch_execz .LBB370_3071
; %bb.3066:                             ;   in Loop: Header=BB370_1564 Depth=1
	v_bfe_u32 v51, v20, 16, 7
	v_mov_b32_e32 v53, 0x7f800001
	s_mov_b32 s20, exec_lo
	v_cmpx_ne_u32_e32 0x7f, v51
	s_cbranch_execz .LBB370_3070
; %bb.3067:                             ;   in Loop: Header=BB370_1564 Depth=1
	v_mov_b32_e32 v10, 7
	s_mov_b32 s21, exec_lo
	v_and_b32_sdwa v10, v20, v10 dst_sel:DWORD dst_unused:UNUSED_PAD src0_sel:WORD_1 src1_sel:DWORD
	v_mov_b32_e32 v22, v11
	v_lshrrev_b32_e32 v22, 3, v51
	v_mov_b32_e32 v21, v10
	v_cmpx_gt_u32_e32 8, v51
; %bb.3068:                             ;   in Loop: Header=BB370_1564 Depth=1
	v_ffbh_u32_e32 v21, v10
	v_min_u32_e32 v51, 32, v21
	v_subrev_nc_u32_e32 v21, 28, v51
	v_lshlrev_b64 v[21:22], v21, v[10:11]
	v_sub_nc_u32_e32 v22, 29, v51
	v_and_b32_e32 v21, 7, v21
; %bb.3069:                             ;   in Loop: Header=BB370_1564 Depth=1
	s_or_b32 exec_lo, exec_lo, s21
	v_mov_b32_e32 v10, 24
	v_lshlrev_b32_e32 v21, 20, v21
	v_lshl_add_u32 v22, v22, 23, 0x3c000000
	v_lshlrev_b32_sdwa v10, v10, v20 dst_sel:DWORD dst_unused:UNUSED_PAD src0_sel:DWORD src1_sel:WORD_1
	v_and_b32_e32 v10, 0x80000000, v10
	v_or3_b32 v53, v21, v10, v22
.LBB370_3070:                           ;   in Loop: Header=BB370_1564 Depth=1
	s_or_b32 exec_lo, exec_lo, s20
.LBB370_3071:                           ;   in Loop: Header=BB370_1564 Depth=1
	s_or_b32 exec_lo, exec_lo, s19
.LBB370_3072:                           ;   in Loop: Header=BB370_1564 Depth=1
	s_or_b32 exec_lo, exec_lo, s18
	s_mov_b32 s18, exec_lo
	v_cmpx_lt_u64_e64 s[6:7], v[19:20]
	s_cbranch_execz .LBB370_3080
; %bb.3073:                             ;   in Loop: Header=BB370_1564 Depth=1
	v_cmp_ne_u32_sdwa s4, v20, v83 src0_sel:BYTE_3 src1_sel:DWORD
	v_bfrev_b32_e32 v52, 1
	s_and_saveexec_b32 s19, s4
	s_cbranch_execz .LBB370_3079
; %bb.3074:                             ;   in Loop: Header=BB370_1564 Depth=1
	v_bfe_u32 v51, v20, 24, 7
	v_mov_b32_e32 v52, 0x7f800001
	s_mov_b32 s20, exec_lo
	v_cmpx_ne_u32_e32 0x7f, v51
	s_cbranch_execz .LBB370_3078
; %bb.3075:                             ;   in Loop: Header=BB370_1564 Depth=1
	v_mov_b32_e32 v10, 7
	v_lshrrev_b32_e32 v19, 3, v51
	s_mov_b32 s21, exec_lo
	v_and_b32_sdwa v10, v20, v10 dst_sel:DWORD dst_unused:UNUSED_PAD src0_sel:BYTE_3 src1_sel:DWORD
	v_mov_b32_e32 v22, v11
	v_mov_b32_e32 v21, v10
	v_cmpx_gt_u32_e32 8, v51
; %bb.3076:                             ;   in Loop: Header=BB370_1564 Depth=1
	v_ffbh_u32_e32 v19, v10
	v_min_u32_e32 v19, 32, v19
	v_subrev_nc_u32_e32 v21, 28, v19
	v_sub_nc_u32_e32 v19, 29, v19
	v_lshlrev_b64 v[21:22], v21, v[10:11]
	v_and_b32_e32 v21, 7, v21
; %bb.3077:                             ;   in Loop: Header=BB370_1564 Depth=1
	s_or_b32 exec_lo, exec_lo, s21
	v_mov_b32_e32 v10, 24
	v_lshl_add_u32 v19, v19, 23, 0x3c000000
	v_lshlrev_b32_sdwa v10, v10, v20 dst_sel:DWORD dst_unused:UNUSED_PAD src0_sel:DWORD src1_sel:BYTE_3
	v_lshlrev_b32_e32 v20, 20, v21
	v_and_b32_e32 v10, 0x80000000, v10
	v_or3_b32 v52, v20, v10, v19
.LBB370_3078:                           ;   in Loop: Header=BB370_1564 Depth=1
	s_or_b32 exec_lo, exec_lo, s20
.LBB370_3079:                           ;   in Loop: Header=BB370_1564 Depth=1
	s_or_b32 exec_lo, exec_lo, s19
.LBB370_3080:                           ;   in Loop: Header=BB370_1564 Depth=1
	s_or_b32 exec_lo, exec_lo, s18
	v_mul_f32_e32 v10, v71, v37
	v_bfe_u32 v19, v10, 16, 1
	v_or_b32_e32 v20, 0x400000, v10
	v_cmp_u_f32_e64 s4, v10, v10
	v_add3_u32 v19, v19, v10, 0x7fff
	v_cndmask_b32_e64 v10, v19, v20, s4
	v_lshrrev_b32_e32 v37, 16, v10
	v_mul_f32_e32 v10, v71, v38
	v_bfe_u32 v19, v10, 16, 1
	v_or_b32_e32 v20, 0x400000, v10
	v_cmp_u_f32_e64 s4, v10, v10
	v_add3_u32 v19, v19, v10, 0x7fff
	v_cndmask_b32_e64 v10, v19, v20, s4
	v_lshrrev_b32_e32 v38, 16, v10
	;; [unrolled: 7-line block ×8, first 2 shown]
	s_and_saveexec_b32 s18, vcc_lo
	s_cbranch_execz .LBB370_3082
; %bb.3081:                             ;   in Loop: Header=BB370_1564 Depth=1
	v_cmp_lt_i32_e64 s4, v91, v88
	v_cndmask_b32_e64 v51, 0, v51, s4
	v_cmp_lt_i32_e64 s4, v111, v88
	v_cndmask_b32_e64 v49, 0, v49, s4
	;; [unrolled: 2-line block ×8, first 2 shown]
.LBB370_3082:                           ;   in Loop: Header=BB370_1564 Depth=1
	s_or_b32 exec_lo, exec_lo, s18
	flat_load_dwordx2 v[15:16], v[15:16] offset:1792
	v_mov_b32_e32 v22, 0
	v_mov_b32_e32 v21, 0
	s_waitcnt vmcnt(0) lgkmcnt(0)
	v_cmp_ne_u16_sdwa s4, v15, v11 src0_sel:BYTE_0 src1_sel:DWORD
	s_and_saveexec_b32 s18, s4
	s_cbranch_execz .LBB370_3090
; %bb.3083:                             ;   in Loop: Header=BB370_1564 Depth=1
	v_cmp_ne_u16_sdwa s4, v15, v83 src0_sel:BYTE_0 src1_sel:DWORD
	v_bfrev_b32_e32 v21, 1
	s_and_saveexec_b32 s19, s4
	s_cbranch_execz .LBB370_3089
; %bb.3084:                             ;   in Loop: Header=BB370_1564 Depth=1
	v_and_b32_e32 v19, 0x7f, v15
	v_mov_b32_e32 v21, 0x7f800001
	s_mov_b32 s20, exec_lo
	v_cmpx_ne_u32_e32 0x7f, v19
	s_cbranch_execz .LBB370_3088
; %bb.3085:                             ;   in Loop: Header=BB370_1564 Depth=1
	v_lshrrev_b32_e32 v10, 3, v19
	v_cmp_gt_u32_e64 s4, 8, v19
	v_mov_b32_e32 v20, v16
	v_mov_b32_e32 v19, v15
	s_and_saveexec_b32 s21, s4
; %bb.3086:                             ;   in Loop: Header=BB370_1564 Depth=1
	v_and_b32_e32 v10, 7, v15
	v_ffbh_u32_e32 v10, v10
	v_min_u32_e32 v10, 32, v10
	v_subrev_nc_u32_e32 v19, 28, v10
	v_sub_nc_u32_e32 v10, 29, v10
	v_lshlrev_b64 v[19:20], v19, v[15:16]
; %bb.3087:                             ;   in Loop: Header=BB370_1564 Depth=1
	s_or_b32 exec_lo, exec_lo, s21
	v_lshlrev_b32_e32 v19, 20, v19
	v_lshlrev_b32_e32 v20, 24, v15
	v_lshl_add_u32 v10, v10, 23, 0x3c000000
	v_and_b32_e32 v19, 0x700000, v19
	v_and_b32_e32 v20, 0x80000000, v20
	v_or3_b32 v21, v19, v20, v10
.LBB370_3088:                           ;   in Loop: Header=BB370_1564 Depth=1
	s_or_b32 exec_lo, exec_lo, s20
.LBB370_3089:                           ;   in Loop: Header=BB370_1564 Depth=1
	s_or_b32 exec_lo, exec_lo, s19
.LBB370_3090:                           ;   in Loop: Header=BB370_1564 Depth=1
	s_or_b32 exec_lo, exec_lo, s18
	v_cmp_ne_u16_sdwa s4, v15, v11 src0_sel:BYTE_1 src1_sel:DWORD
	s_and_saveexec_b32 s18, s4
	s_cbranch_execz .LBB370_3098
; %bb.3091:                             ;   in Loop: Header=BB370_1564 Depth=1
	v_cmp_ne_u16_sdwa s4, v15, v83 src0_sel:BYTE_1 src1_sel:DWORD
	v_bfrev_b32_e32 v22, 1
	s_and_saveexec_b32 s19, s4
	s_cbranch_execz .LBB370_3097
; %bb.3092:                             ;   in Loop: Header=BB370_1564 Depth=1
	v_mov_b32_e32 v10, 0xffff
	v_mov_b32_e32 v22, 0x7f800001
	s_mov_b32 s20, exec_lo
	v_and_b32_sdwa v10, v10, v15 dst_sel:DWORD dst_unused:UNUSED_PAD src0_sel:DWORD src1_sel:BYTE_1
	v_and_b32_e32 v53, 0x7f, v10
	v_cmpx_ne_u32_e32 0x7f, v53
	s_cbranch_execz .LBB370_3096
; %bb.3093:                             ;   in Loop: Header=BB370_1564 Depth=1
	v_and_b32_e32 v10, 7, v10
	v_mov_b32_e32 v20, v11
	v_lshrrev_b32_e32 v20, 3, v53
	s_mov_b32 s21, exec_lo
	v_mov_b32_e32 v19, v10
	v_cmpx_gt_u32_e32 8, v53
; %bb.3094:                             ;   in Loop: Header=BB370_1564 Depth=1
	v_ffbh_u32_e32 v19, v10
	v_min_u32_e32 v22, 32, v19
	v_subrev_nc_u32_e32 v19, 28, v22
	v_lshlrev_b64 v[19:20], v19, v[10:11]
	v_sub_nc_u32_e32 v20, 29, v22
	v_and_b32_e32 v19, 7, v19
; %bb.3095:                             ;   in Loop: Header=BB370_1564 Depth=1
	s_or_b32 exec_lo, exec_lo, s21
	v_lshlrev_b32_e32 v10, 16, v15
	v_lshlrev_b32_e32 v19, 20, v19
	v_lshl_add_u32 v20, v20, 23, 0x3c000000
	v_and_b32_e32 v10, 0x80000000, v10
	v_or3_b32 v22, v19, v10, v20
.LBB370_3096:                           ;   in Loop: Header=BB370_1564 Depth=1
	s_or_b32 exec_lo, exec_lo, s20
.LBB370_3097:                           ;   in Loop: Header=BB370_1564 Depth=1
	s_or_b32 exec_lo, exec_lo, s19
.LBB370_3098:                           ;   in Loop: Header=BB370_1564 Depth=1
	s_or_b32 exec_lo, exec_lo, s18
	v_and_b32_sdwa v10, v15, v85 dst_sel:DWORD dst_unused:UNUSED_PAD src0_sel:WORD_1 src1_sel:DWORD
	v_mov_b32_e32 v53, 0
	v_mov_b32_e32 v98, 0
	s_mov_b32 s18, exec_lo
	v_cmpx_ne_u16_e32 0, v10
	s_cbranch_execz .LBB370_3106
; %bb.3099:                             ;   in Loop: Header=BB370_1564 Depth=1
	v_bfrev_b32_e32 v98, 1
	s_mov_b32 s19, exec_lo
	v_cmpx_ne_u16_e32 0x80, v10
	s_cbranch_execz .LBB370_3105
; %bb.3100:                             ;   in Loop: Header=BB370_1564 Depth=1
	v_bfe_u32 v54, v15, 16, 7
	v_mov_b32_e32 v98, 0x7f800001
	s_mov_b32 s20, exec_lo
	v_cmpx_ne_u32_e32 0x7f, v54
	s_cbranch_execz .LBB370_3104
; %bb.3101:                             ;   in Loop: Header=BB370_1564 Depth=1
	v_mov_b32_e32 v10, 7
	s_mov_b32 s21, exec_lo
	v_and_b32_sdwa v10, v15, v10 dst_sel:DWORD dst_unused:UNUSED_PAD src0_sel:WORD_1 src1_sel:DWORD
	v_mov_b32_e32 v20, v11
	v_lshrrev_b32_e32 v20, 3, v54
	v_mov_b32_e32 v19, v10
	v_cmpx_gt_u32_e32 8, v54
; %bb.3102:                             ;   in Loop: Header=BB370_1564 Depth=1
	v_ffbh_u32_e32 v19, v10
	v_min_u32_e32 v54, 32, v19
	v_subrev_nc_u32_e32 v19, 28, v54
	v_lshlrev_b64 v[19:20], v19, v[10:11]
	v_sub_nc_u32_e32 v20, 29, v54
	v_and_b32_e32 v19, 7, v19
; %bb.3103:                             ;   in Loop: Header=BB370_1564 Depth=1
	s_or_b32 exec_lo, exec_lo, s21
	v_mov_b32_e32 v10, 24
	v_lshlrev_b32_e32 v19, 20, v19
	v_lshl_add_u32 v20, v20, 23, 0x3c000000
	v_lshlrev_b32_sdwa v10, v10, v15 dst_sel:DWORD dst_unused:UNUSED_PAD src0_sel:DWORD src1_sel:WORD_1
	v_and_b32_e32 v10, 0x80000000, v10
	v_or3_b32 v98, v19, v10, v20
.LBB370_3104:                           ;   in Loop: Header=BB370_1564 Depth=1
	s_or_b32 exec_lo, exec_lo, s20
.LBB370_3105:                           ;   in Loop: Header=BB370_1564 Depth=1
	s_or_b32 exec_lo, exec_lo, s19
.LBB370_3106:                           ;   in Loop: Header=BB370_1564 Depth=1
	s_or_b32 exec_lo, exec_lo, s18
	s_mov_b32 s18, exec_lo
	v_cmpx_lt_u32_e32 0xffffff, v15
	s_cbranch_execz .LBB370_3114
; %bb.3107:                             ;   in Loop: Header=BB370_1564 Depth=1
	v_cmp_ne_u32_sdwa s4, v15, v83 src0_sel:BYTE_3 src1_sel:DWORD
	v_bfrev_b32_e32 v53, 1
	s_and_saveexec_b32 s19, s4
	s_cbranch_execz .LBB370_3113
; %bb.3108:                             ;   in Loop: Header=BB370_1564 Depth=1
	v_bfe_u32 v54, v15, 24, 7
	v_mov_b32_e32 v53, 0x7f800001
	s_mov_b32 s20, exec_lo
	v_cmpx_ne_u32_e32 0x7f, v54
	s_cbranch_execz .LBB370_3112
; %bb.3109:                             ;   in Loop: Header=BB370_1564 Depth=1
	v_mov_b32_e32 v10, 7
	s_mov_b32 s21, exec_lo
	v_and_b32_sdwa v10, v15, v10 dst_sel:DWORD dst_unused:UNUSED_PAD src0_sel:BYTE_3 src1_sel:DWORD
	v_mov_b32_e32 v20, v11
	v_lshrrev_b32_e32 v20, 3, v54
	v_mov_b32_e32 v19, v10
	v_cmpx_gt_u32_e32 8, v54
; %bb.3110:                             ;   in Loop: Header=BB370_1564 Depth=1
	v_ffbh_u32_e32 v19, v10
	v_min_u32_e32 v53, 32, v19
	v_subrev_nc_u32_e32 v19, 28, v53
	v_lshlrev_b64 v[19:20], v19, v[10:11]
	v_sub_nc_u32_e32 v20, 29, v53
	v_and_b32_e32 v19, 7, v19
; %bb.3111:                             ;   in Loop: Header=BB370_1564 Depth=1
	s_or_b32 exec_lo, exec_lo, s21
	v_mov_b32_e32 v10, 24
	v_lshlrev_b32_e32 v19, 20, v19
	v_lshl_add_u32 v20, v20, 23, 0x3c000000
	v_lshlrev_b32_sdwa v10, v10, v15 dst_sel:DWORD dst_unused:UNUSED_PAD src0_sel:DWORD src1_sel:BYTE_3
	v_and_b32_e32 v10, 0x80000000, v10
	v_or3_b32 v53, v19, v10, v20
.LBB370_3112:                           ;   in Loop: Header=BB370_1564 Depth=1
	s_or_b32 exec_lo, exec_lo, s20
.LBB370_3113:                           ;   in Loop: Header=BB370_1564 Depth=1
	s_or_b32 exec_lo, exec_lo, s19
.LBB370_3114:                           ;   in Loop: Header=BB370_1564 Depth=1
	s_or_b32 exec_lo, exec_lo, s18
	v_mov_b32_e32 v10, v16
	v_cmp_ne_u16_sdwa s4, v16, v11 src0_sel:BYTE_0 src1_sel:DWORD
	v_mov_b32_e32 v65, 0
	v_mov_b32_e32 v64, 0
	s_and_saveexec_b32 s18, s4
	s_cbranch_execz .LBB370_3122
; %bb.3115:                             ;   in Loop: Header=BB370_1564 Depth=1
	v_cmp_ne_u16_sdwa s4, v16, v83 src0_sel:BYTE_0 src1_sel:DWORD
	v_bfrev_b32_e32 v64, 1
	s_and_saveexec_b32 s19, s4
	s_cbranch_execz .LBB370_3121
; %bb.3116:                             ;   in Loop: Header=BB370_1564 Depth=1
	v_and_b32_e32 v54, 0x7f, v16
	v_mov_b32_e32 v64, 0x7f800001
	s_mov_b32 s20, exec_lo
	v_cmpx_ne_u32_e32 0x7f, v54
	s_cbranch_execz .LBB370_3120
; %bb.3117:                             ;   in Loop: Header=BB370_1564 Depth=1
	v_mov_b32_e32 v20, v11
	v_mov_b32_e32 v19, v10
	v_lshrrev_b32_e32 v20, 3, v54
	s_mov_b32 s21, exec_lo
	v_cmpx_gt_u32_e32 8, v54
; %bb.3118:                             ;   in Loop: Header=BB370_1564 Depth=1
	v_and_b32_e32 v19, 7, v16
	v_ffbh_u32_e32 v19, v19
	v_min_u32_e32 v54, 32, v19
	v_subrev_nc_u32_e32 v19, 28, v54
	v_lshlrev_b64 v[19:20], v19, v[10:11]
	v_sub_nc_u32_e32 v20, 29, v54
; %bb.3119:                             ;   in Loop: Header=BB370_1564 Depth=1
	s_or_b32 exec_lo, exec_lo, s21
	v_lshlrev_b32_e32 v19, 20, v19
	v_lshlrev_b32_e32 v54, 24, v10
	v_lshl_add_u32 v20, v20, 23, 0x3c000000
	v_and_b32_e32 v19, 0x700000, v19
	v_and_b32_e32 v54, 0x80000000, v54
	v_or3_b32 v64, v19, v54, v20
.LBB370_3120:                           ;   in Loop: Header=BB370_1564 Depth=1
	s_or_b32 exec_lo, exec_lo, s20
.LBB370_3121:                           ;   in Loop: Header=BB370_1564 Depth=1
	s_or_b32 exec_lo, exec_lo, s19
.LBB370_3122:                           ;   in Loop: Header=BB370_1564 Depth=1
	s_or_b32 exec_lo, exec_lo, s18
	v_cmp_ne_u16_sdwa s4, v10, v11 src0_sel:BYTE_1 src1_sel:DWORD
	s_and_saveexec_b32 s18, s4
	s_cbranch_execz .LBB370_3130
; %bb.3123:                             ;   in Loop: Header=BB370_1564 Depth=1
	v_cmp_ne_u16_sdwa s4, v10, v83 src0_sel:BYTE_1 src1_sel:DWORD
	v_bfrev_b32_e32 v65, 1
	s_and_saveexec_b32 s19, s4
	s_cbranch_execz .LBB370_3129
; %bb.3124:                             ;   in Loop: Header=BB370_1564 Depth=1
	v_mov_b32_e32 v19, 0xffff
	v_mov_b32_e32 v65, 0x7f800001
	s_mov_b32 s20, exec_lo
	v_and_b32_sdwa v19, v19, v10 dst_sel:DWORD dst_unused:UNUSED_PAD src0_sel:DWORD src1_sel:BYTE_1
	v_and_b32_e32 v55, 0x7f, v19
	v_cmpx_ne_u32_e32 0x7f, v55
	s_cbranch_execz .LBB370_3128
; %bb.3125:                             ;   in Loop: Header=BB370_1564 Depth=1
	v_and_b32_e32 v19, 7, v19
	v_mov_b32_e32 v20, v11
	v_lshrrev_b32_e32 v54, 3, v55
	s_mov_b32 s21, exec_lo
	v_cmpx_gt_u32_e32 8, v55
; %bb.3126:                             ;   in Loop: Header=BB370_1564 Depth=1
	v_ffbh_u32_e32 v54, v19
	v_min_u32_e32 v54, 32, v54
	v_subrev_nc_u32_e32 v55, 28, v54
	v_sub_nc_u32_e32 v54, 29, v54
	v_lshlrev_b64 v[19:20], v55, v[19:20]
	v_and_b32_e32 v19, 7, v19
; %bb.3127:                             ;   in Loop: Header=BB370_1564 Depth=1
	s_or_b32 exec_lo, exec_lo, s21
	v_lshlrev_b32_e32 v10, 16, v10
	v_lshlrev_b32_e32 v19, 20, v19
	v_lshl_add_u32 v20, v54, 23, 0x3c000000
	v_and_b32_e32 v10, 0x80000000, v10
	v_or3_b32 v65, v19, v10, v20
.LBB370_3128:                           ;   in Loop: Header=BB370_1564 Depth=1
	s_or_b32 exec_lo, exec_lo, s20
.LBB370_3129:                           ;   in Loop: Header=BB370_1564 Depth=1
	s_or_b32 exec_lo, exec_lo, s19
.LBB370_3130:                           ;   in Loop: Header=BB370_1564 Depth=1
	s_or_b32 exec_lo, exec_lo, s18
	v_and_b32_sdwa v10, v16, v85 dst_sel:DWORD dst_unused:UNUSED_PAD src0_sel:WORD_1 src1_sel:DWORD
	v_mov_b32_e32 v54, 0
	v_mov_b32_e32 v55, 0
	s_mov_b32 s18, exec_lo
	v_cmpx_ne_u16_e32 0, v10
	s_cbranch_execz .LBB370_3138
; %bb.3131:                             ;   in Loop: Header=BB370_1564 Depth=1
	v_bfrev_b32_e32 v55, 1
	s_mov_b32 s19, exec_lo
	v_cmpx_ne_u16_e32 0x80, v10
	s_cbranch_execz .LBB370_3137
; %bb.3132:                             ;   in Loop: Header=BB370_1564 Depth=1
	v_bfe_u32 v66, v16, 16, 7
	v_mov_b32_e32 v55, 0x7f800001
	s_mov_b32 s20, exec_lo
	v_cmpx_ne_u32_e32 0x7f, v66
	s_cbranch_execz .LBB370_3136
; %bb.3133:                             ;   in Loop: Header=BB370_1564 Depth=1
	v_mov_b32_e32 v10, 7
	s_mov_b32 s21, exec_lo
	v_and_b32_sdwa v10, v16, v10 dst_sel:DWORD dst_unused:UNUSED_PAD src0_sel:WORD_1 src1_sel:DWORD
	v_mov_b32_e32 v20, v11
	v_lshrrev_b32_e32 v20, 3, v66
	v_mov_b32_e32 v19, v10
	v_cmpx_gt_u32_e32 8, v66
; %bb.3134:                             ;   in Loop: Header=BB370_1564 Depth=1
	v_ffbh_u32_e32 v19, v10
	v_min_u32_e32 v55, 32, v19
	v_subrev_nc_u32_e32 v19, 28, v55
	v_lshlrev_b64 v[19:20], v19, v[10:11]
	v_sub_nc_u32_e32 v20, 29, v55
	v_and_b32_e32 v19, 7, v19
; %bb.3135:                             ;   in Loop: Header=BB370_1564 Depth=1
	s_or_b32 exec_lo, exec_lo, s21
	v_mov_b32_e32 v10, 24
	v_lshlrev_b32_e32 v19, 20, v19
	v_lshl_add_u32 v20, v20, 23, 0x3c000000
	v_lshlrev_b32_sdwa v10, v10, v16 dst_sel:DWORD dst_unused:UNUSED_PAD src0_sel:DWORD src1_sel:WORD_1
	v_and_b32_e32 v10, 0x80000000, v10
	v_or3_b32 v55, v19, v10, v20
.LBB370_3136:                           ;   in Loop: Header=BB370_1564 Depth=1
	s_or_b32 exec_lo, exec_lo, s20
.LBB370_3137:                           ;   in Loop: Header=BB370_1564 Depth=1
	s_or_b32 exec_lo, exec_lo, s19
.LBB370_3138:                           ;   in Loop: Header=BB370_1564 Depth=1
	s_or_b32 exec_lo, exec_lo, s18
	s_mov_b32 s18, exec_lo
	v_cmpx_lt_u64_e64 s[6:7], v[15:16]
	s_cbranch_execz .LBB370_3146
; %bb.3139:                             ;   in Loop: Header=BB370_1564 Depth=1
	v_cmp_ne_u32_sdwa s4, v16, v83 src0_sel:BYTE_3 src1_sel:DWORD
	v_bfrev_b32_e32 v54, 1
	s_and_saveexec_b32 s19, s4
	s_cbranch_execz .LBB370_3145
; %bb.3140:                             ;   in Loop: Header=BB370_1564 Depth=1
	v_bfe_u32 v66, v16, 24, 7
	v_mov_b32_e32 v54, 0x7f800001
	s_mov_b32 s20, exec_lo
	v_cmpx_ne_u32_e32 0x7f, v66
	s_cbranch_execz .LBB370_3144
; %bb.3141:                             ;   in Loop: Header=BB370_1564 Depth=1
	v_mov_b32_e32 v10, 7
	v_lshrrev_b32_e32 v15, 3, v66
	s_mov_b32 s21, exec_lo
	v_and_b32_sdwa v10, v16, v10 dst_sel:DWORD dst_unused:UNUSED_PAD src0_sel:BYTE_3 src1_sel:DWORD
	v_mov_b32_e32 v20, v11
	v_mov_b32_e32 v19, v10
	v_cmpx_gt_u32_e32 8, v66
; %bb.3142:                             ;   in Loop: Header=BB370_1564 Depth=1
	v_ffbh_u32_e32 v15, v10
	v_min_u32_e32 v15, 32, v15
	v_subrev_nc_u32_e32 v19, 28, v15
	v_sub_nc_u32_e32 v15, 29, v15
	v_lshlrev_b64 v[19:20], v19, v[10:11]
	v_and_b32_e32 v19, 7, v19
; %bb.3143:                             ;   in Loop: Header=BB370_1564 Depth=1
	s_or_b32 exec_lo, exec_lo, s21
	v_mov_b32_e32 v10, 24
	v_lshl_add_u32 v15, v15, 23, 0x3c000000
	v_lshlrev_b32_sdwa v10, v10, v16 dst_sel:DWORD dst_unused:UNUSED_PAD src0_sel:DWORD src1_sel:BYTE_3
	v_lshlrev_b32_e32 v16, 20, v19
	v_and_b32_e32 v10, 0x80000000, v10
	v_or3_b32 v54, v16, v10, v15
.LBB370_3144:                           ;   in Loop: Header=BB370_1564 Depth=1
	s_or_b32 exec_lo, exec_lo, s20
.LBB370_3145:                           ;   in Loop: Header=BB370_1564 Depth=1
	s_or_b32 exec_lo, exec_lo, s19
.LBB370_3146:                           ;   in Loop: Header=BB370_1564 Depth=1
	s_or_b32 exec_lo, exec_lo, s18
	v_mul_f32_e32 v10, v71, v65
	v_bfe_u32 v15, v10, 16, 1
	v_or_b32_e32 v16, 0x400000, v10
	v_cmp_u_f32_e64 s4, v10, v10
	v_add3_u32 v15, v15, v10, 0x7fff
	v_cndmask_b32_e64 v10, v15, v16, s4
	v_mul_f32_e32 v15, v71, v64
	v_lshrrev_b32_e32 v10, 16, v10
	v_bfe_u32 v16, v15, 16, 1
	v_or_b32_e32 v19, 0x400000, v15
	v_cmp_u_f32_e64 s4, v15, v15
	v_add3_u32 v16, v16, v15, 0x7fff
	v_cndmask_b32_e64 v15, v16, v19, s4
	v_mul_f32_e32 v16, v71, v53
	v_lshrrev_b32_e32 v15, 16, v15
	;; [unrolled: 7-line block ×3, first 2 shown]
	v_bfe_u32 v20, v19, 16, 1
	v_or_b32_e32 v53, 0x400000, v19
	v_cmp_u_f32_e64 s4, v19, v19
	v_add3_u32 v20, v20, v19, 0x7fff
	v_cndmask_b32_e64 v19, v20, v53, s4
	v_lshrrev_b32_e32 v20, 16, v19
	v_mul_f32_e32 v19, v71, v22
	v_bfe_u32 v22, v19, 16, 1
	v_or_b32_e32 v53, 0x400000, v19
	v_cmp_u_f32_e64 s4, v19, v19
	v_add3_u32 v22, v22, v19, 0x7fff
	v_cndmask_b32_e64 v19, v22, v53, s4
	v_lshrrev_b32_e32 v22, 16, v19
	v_mul_f32_e32 v19, v71, v21
	;; [unrolled: 7-line block ×3, first 2 shown]
	v_bfe_u32 v21, v19, 16, 1
	v_or_b32_e32 v53, 0x400000, v19
	v_cmp_u_f32_e64 s4, v19, v19
	v_add3_u32 v21, v21, v19, 0x7fff
	v_cndmask_b32_e64 v19, v21, v53, s4
	v_mul_f32_e32 v21, v71, v54
	v_lshrrev_b32_e32 v19, 16, v19
	v_bfe_u32 v53, v21, 16, 1
	v_or_b32_e32 v54, 0x400000, v21
	v_cmp_u_f32_e64 s4, v21, v21
	v_add3_u32 v53, v53, v21, 0x7fff
	v_cndmask_b32_e64 v21, v53, v54, s4
	v_lshrrev_b32_e32 v21, 16, v21
	s_and_saveexec_b32 s4, vcc_lo
	s_cbranch_execz .LBB370_1563
; %bb.3147:                             ;   in Loop: Header=BB370_1564 Depth=1
	v_cmp_lt_i32_e32 vcc_lo, v91, v88
	v_cndmask_b32_e32 v98, 0, v98, vcc_lo
	v_cmp_lt_i32_e32 vcc_lo, v111, v88
	v_cndmask_b32_e32 v22, 0, v22, vcc_lo
	;; [unrolled: 2-line block ×8, first 2 shown]
	s_branch .LBB370_1563
.LBB370_3148:
	s_or_b32 exec_lo, exec_lo, s15
	s_clause 0x15
	buffer_load_dword v82, off, s[0:3], s32 offset:688
	buffer_load_dword v25, off, s[0:3], s32 offset:692
	;; [unrolled: 1-line block ×22, first 2 shown]
	v_mov_b32_e32 v4, s16
	v_mov_b32_e32 v5, s17
.LBB370_3149:
	s_or_b32 exec_lo, exec_lo, s5
	v_lshlrev_b64 v[0:1], 2, v[4:5]
	s_getpc_b64 s[4:5]
	s_add_u32 s4, s4, llvm.amdgcn.dynlds.offset.table@rel32@lo+4
	s_addc_u32 s5, s5, llvm.amdgcn.dynlds.offset.table@rel32@hi+12
	s_waitcnt vmcnt(0)
	s_waitcnt_vscnt null, 0x0
	s_barrier
	buffer_gl0_inv
	ds_bpermute_b32 v2, v25, v69
	v_add_co_u32 v0, vcc_lo, s4, v0
	v_add_co_ci_u32_e64 v1, null, s5, v1, vcc_lo
	ds_bpermute_b32 v3, v25, v64
	ds_bpermute_b32 v4, v25, v55
	;; [unrolled: 1-line block ×3, first 2 shown]
	global_load_dword v24, v[0:1], off
	ds_bpermute_b32 v0, v25, v68
	ds_bpermute_b32 v1, v25, v70
	;; [unrolled: 1-line block ×20, first 2 shown]
	s_clause 0x2
	buffer_load_dword v25, off, s[0:3], s32 offset:1624
	buffer_load_dword v27, off, s[0:3], s32 offset:1628
	;; [unrolled: 1-line block ×3, first 2 shown]
	s_waitcnt lgkmcnt(19)
	v_add_f32_e32 v0, v68, v0
	s_waitcnt lgkmcnt(18)
	v_add_f32_e32 v1, v70, v1
	v_add_f32_e32 v2, v69, v2
	;; [unrolled: 1-line block ×5, first 2 shown]
	s_waitcnt lgkmcnt(17)
	v_add_f32_e32 v6, v53, v6
	s_waitcnt lgkmcnt(16)
	v_add_f32_e32 v7, v52, v7
	;; [unrolled: 2-line block ×18, first 2 shown]
	ds_bpermute_b32 v12, v82, v0
	ds_bpermute_b32 v13, v82, v1
	;; [unrolled: 1-line block ×24, first 2 shown]
	s_waitcnt lgkmcnt(23)
	v_add_f32_e32 v23, v0, v12
	s_waitcnt lgkmcnt(22)
	v_add_f32_e32 v22, v1, v13
	s_waitcnt lgkmcnt(21)
	v_add_f32_e32 v21, v2, v14
	s_waitcnt lgkmcnt(20)
	v_add_f32_e32 v20, v3, v15
	s_waitcnt lgkmcnt(19)
	v_add_f32_e32 v19, v4, v16
	s_waitcnt lgkmcnt(18)
	v_add_f32_e32 v18, v5, v17
	s_waitcnt lgkmcnt(17)
	v_add_f32_e32 v17, v6, v49
	s_waitcnt lgkmcnt(16)
	v_add_f32_e32 v16, v7, v50
	s_waitcnt lgkmcnt(15)
	v_add_f32_e32 v15, v8, v51
	s_waitcnt lgkmcnt(14)
	v_add_f32_e32 v14, v9, v52
	s_waitcnt lgkmcnt(13)
	v_add_f32_e32 v13, v10, v53
	s_waitcnt lgkmcnt(12)
	v_add_f32_e32 v12, v11, v54
	s_waitcnt lgkmcnt(11)
	v_add_f32_e32 v11, v29, v55
	s_waitcnt lgkmcnt(10)
	v_add_f32_e32 v10, v30, v64
	s_waitcnt lgkmcnt(9)
	v_add_f32_e32 v9, v31, v65
	s_waitcnt lgkmcnt(8)
	v_add_f32_e32 v8, v32, v66
	s_waitcnt lgkmcnt(7)
	v_add_f32_e32 v7, v33, v67
	s_waitcnt lgkmcnt(6)
	v_add_f32_e32 v6, v34, v68
	s_waitcnt lgkmcnt(5)
	v_add_f32_e32 v5, v35, v69
	s_waitcnt lgkmcnt(4)
	v_add_f32_e32 v4, v36, v70
	s_waitcnt lgkmcnt(3)
	v_add_f32_e32 v3, v37, v71
	s_waitcnt lgkmcnt(2)
	v_add_f32_e32 v2, v38, v80
	s_waitcnt lgkmcnt(1)
	v_add_f32_e32 v1, v39, v81
	s_waitcnt lgkmcnt(0)
	v_add_f32_e32 v0, v48, v82
	s_mov_b32 s4, exec_lo
	s_waitcnt vmcnt(2)
	v_lshrrev_b32_e32 v26, 2, v25
	v_and_b32_e32 v25, 28, v25
	s_waitcnt vmcnt(1)
	v_mul_u32_u24_e32 v27, 0x300, v27
	s_waitcnt vmcnt(0)
	v_and_b32_e32 v28, 0x3c3, v83
	v_add_nc_u32_e32 v25, v24, v25
	v_cmpx_eq_u32_e32 64, v28
	s_cbranch_execz .LBB370_3151
; %bb.3150:
	v_add_nc_u32_e32 v28, v25, v27
	v_add_nc_u32_e32 v29, 0xfffffa00, v28
	;; [unrolled: 1-line block ×7, first 2 shown]
	ds_write_b32 v29, v23
	ds_write_b32 v30, v22
	;; [unrolled: 1-line block ×4, first 2 shown]
	v_add_nc_u32_e32 v29, 0xfffffac0, v28
	v_add_nc_u32_e32 v30, 0xfffffae0, v28
	v_add_nc_u32_e32 v31, 0xfffffb00, v28
	ds_write_b32 v33, v19
	ds_write_b32 v34, v18
	ds_write_b32 v29, v17
	ds_write_b32 v30, v16
	ds_write_b32 v31, v15
	v_add_nc_u32_e32 v29, 0xfffffb20, v28
	v_add_nc_u32_e32 v30, 0xfffffb40, v28
	v_add_nc_u32_e32 v31, 0xfffffb60, v28
	v_add_nc_u32_e32 v32, 0xfffffb80, v28
	v_add_nc_u32_e32 v33, 0xfffffba0, v28
	ds_write_b32 v29, v14
	ds_write_b32 v30, v13
	ds_write_b32 v31, v12
	ds_write_b32 v32, v11
	ds_write_b32 v33, v10
	v_add_nc_u32_e32 v29, 0xfffffbc0, v28
	v_add_nc_u32_e32 v30, 0xfffffbe0, v28
	;; [unrolled: 10-line block ×3, first 2 shown]
	v_add_nc_u32_e32 v31, 0xfffffca0, v28
	v_add_nc_u32_e32 v32, 0xfffffcc0, v28
	;; [unrolled: 1-line block ×3, first 2 shown]
	ds_write_b32 v29, v4
	ds_write_b32 v30, v3
	;; [unrolled: 1-line block ×5, first 2 shown]
.LBB370_3151:
	s_or_b32 exec_lo, exec_lo, s4
	v_lshlrev_b32_e32 v26, 2, v26
	v_and_b32_e32 v28, 3, v83
	s_mov_b32 s5, exec_lo
	s_waitcnt lgkmcnt(0)
	s_barrier
	v_add3_u32 v24, v24, v27, v26
	v_cmp_eq_u32_e32 vcc_lo, 0, v28
	buffer_gl0_inv
	v_cmpx_gt_u32_e32 64, v83
	s_cbranch_execz .LBB370_3178
; %bb.3152:
	s_and_saveexec_b32 s4, vcc_lo
	s_cbranch_execnz .LBB370_3210
; %bb.3153:
	s_or_b32 exec_lo, exec_lo, s4
	s_and_saveexec_b32 s4, vcc_lo
	s_cbranch_execnz .LBB370_3211
.LBB370_3154:
	s_or_b32 exec_lo, exec_lo, s4
	s_and_saveexec_b32 s4, vcc_lo
	s_cbranch_execnz .LBB370_3212
.LBB370_3155:
	s_or_b32 exec_lo, exec_lo, s4
	s_and_saveexec_b32 s4, vcc_lo
	s_cbranch_execnz .LBB370_3213
.LBB370_3156:
	s_or_b32 exec_lo, exec_lo, s4
	s_and_saveexec_b32 s4, vcc_lo
	s_cbranch_execnz .LBB370_3214
.LBB370_3157:
	s_or_b32 exec_lo, exec_lo, s4
	s_and_saveexec_b32 s4, vcc_lo
	s_cbranch_execnz .LBB370_3215
.LBB370_3158:
	s_or_b32 exec_lo, exec_lo, s4
	s_and_saveexec_b32 s4, vcc_lo
	s_cbranch_execnz .LBB370_3216
.LBB370_3159:
	s_or_b32 exec_lo, exec_lo, s4
	s_and_saveexec_b32 s4, vcc_lo
	s_cbranch_execnz .LBB370_3217
.LBB370_3160:
	s_or_b32 exec_lo, exec_lo, s4
	s_and_saveexec_b32 s4, vcc_lo
	s_cbranch_execnz .LBB370_3218
.LBB370_3161:
	s_or_b32 exec_lo, exec_lo, s4
	s_and_saveexec_b32 s4, vcc_lo
	s_cbranch_execnz .LBB370_3219
.LBB370_3162:
	s_or_b32 exec_lo, exec_lo, s4
	s_and_saveexec_b32 s4, vcc_lo
	s_cbranch_execnz .LBB370_3220
.LBB370_3163:
	s_or_b32 exec_lo, exec_lo, s4
	s_and_saveexec_b32 s4, vcc_lo
	s_cbranch_execnz .LBB370_3221
.LBB370_3164:
	s_or_b32 exec_lo, exec_lo, s4
	s_and_saveexec_b32 s4, vcc_lo
	s_cbranch_execnz .LBB370_3222
.LBB370_3165:
	s_or_b32 exec_lo, exec_lo, s4
	s_and_saveexec_b32 s4, vcc_lo
	s_cbranch_execnz .LBB370_3223
.LBB370_3166:
	s_or_b32 exec_lo, exec_lo, s4
	s_and_saveexec_b32 s4, vcc_lo
	s_cbranch_execnz .LBB370_3224
.LBB370_3167:
	s_or_b32 exec_lo, exec_lo, s4
	s_and_saveexec_b32 s4, vcc_lo
	s_cbranch_execnz .LBB370_3225
.LBB370_3168:
	s_or_b32 exec_lo, exec_lo, s4
	s_and_saveexec_b32 s4, vcc_lo
	s_cbranch_execnz .LBB370_3226
.LBB370_3169:
	s_or_b32 exec_lo, exec_lo, s4
	s_and_saveexec_b32 s4, vcc_lo
	s_cbranch_execnz .LBB370_3227
.LBB370_3170:
	s_or_b32 exec_lo, exec_lo, s4
	s_and_saveexec_b32 s4, vcc_lo
	s_cbranch_execnz .LBB370_3228
.LBB370_3171:
	s_or_b32 exec_lo, exec_lo, s4
	s_and_saveexec_b32 s4, vcc_lo
	s_cbranch_execnz .LBB370_3229
.LBB370_3172:
	s_or_b32 exec_lo, exec_lo, s4
	s_and_saveexec_b32 s4, vcc_lo
	s_cbranch_execnz .LBB370_3230
.LBB370_3173:
	s_or_b32 exec_lo, exec_lo, s4
	s_and_saveexec_b32 s4, vcc_lo
	s_cbranch_execnz .LBB370_3231
.LBB370_3174:
	s_or_b32 exec_lo, exec_lo, s4
	s_and_saveexec_b32 s4, vcc_lo
	s_cbranch_execnz .LBB370_3232
.LBB370_3175:
	s_or_b32 exec_lo, exec_lo, s4
	s_and_saveexec_b32 s4, vcc_lo
	s_cbranch_execz .LBB370_3177
.LBB370_3176:
	ds_read_b32 v26, v24 offset:736
	s_waitcnt lgkmcnt(0)
	v_add_f32_e32 v0, v26, v0
.LBB370_3177:
	s_or_b32 exec_lo, exec_lo, s4
.LBB370_3178:
	s_or_b32 exec_lo, exec_lo, s5
	v_and_b32_e32 v26, 0x3e3, v83
	s_mov_b32 s5, exec_lo
	s_barrier
	buffer_gl0_inv
	v_cmpx_eq_u32_e32 32, v26
	s_cbranch_execz .LBB370_3180
; %bb.3179:
	ds_write2_b32 v25, v23, v22 offset1:8
	ds_write2_b32 v25, v21, v20 offset0:16 offset1:24
	ds_write2_b32 v25, v19, v18 offset0:32 offset1:40
	;; [unrolled: 1-line block ×11, first 2 shown]
.LBB370_3180:
	s_or_b32 exec_lo, exec_lo, s5
	s_mov_b32 s5, exec_lo
	s_waitcnt lgkmcnt(0)
	s_barrier
	buffer_gl0_inv
	v_cmpx_gt_u32_e32 32, v83
	s_cbranch_execz .LBB370_3207
; %bb.3181:
	s_and_saveexec_b32 s4, vcc_lo
	s_cbranch_execnz .LBB370_3233
; %bb.3182:
	s_or_b32 exec_lo, exec_lo, s4
	s_and_saveexec_b32 s4, vcc_lo
	s_cbranch_execnz .LBB370_3234
.LBB370_3183:
	s_or_b32 exec_lo, exec_lo, s4
	s_and_saveexec_b32 s4, vcc_lo
	s_cbranch_execnz .LBB370_3235
.LBB370_3184:
	s_or_b32 exec_lo, exec_lo, s4
	s_and_saveexec_b32 s4, vcc_lo
	s_cbranch_execnz .LBB370_3236
.LBB370_3185:
	s_or_b32 exec_lo, exec_lo, s4
	s_and_saveexec_b32 s4, vcc_lo
	s_cbranch_execnz .LBB370_3237
.LBB370_3186:
	s_or_b32 exec_lo, exec_lo, s4
	s_and_saveexec_b32 s4, vcc_lo
	s_cbranch_execnz .LBB370_3238
.LBB370_3187:
	s_or_b32 exec_lo, exec_lo, s4
	s_and_saveexec_b32 s4, vcc_lo
	s_cbranch_execnz .LBB370_3239
.LBB370_3188:
	s_or_b32 exec_lo, exec_lo, s4
	s_and_saveexec_b32 s4, vcc_lo
	s_cbranch_execnz .LBB370_3240
.LBB370_3189:
	s_or_b32 exec_lo, exec_lo, s4
	s_and_saveexec_b32 s4, vcc_lo
	s_cbranch_execnz .LBB370_3241
.LBB370_3190:
	s_or_b32 exec_lo, exec_lo, s4
	s_and_saveexec_b32 s4, vcc_lo
	s_cbranch_execnz .LBB370_3242
.LBB370_3191:
	s_or_b32 exec_lo, exec_lo, s4
	s_and_saveexec_b32 s4, vcc_lo
	s_cbranch_execnz .LBB370_3243
.LBB370_3192:
	s_or_b32 exec_lo, exec_lo, s4
	s_and_saveexec_b32 s4, vcc_lo
	s_cbranch_execnz .LBB370_3244
.LBB370_3193:
	s_or_b32 exec_lo, exec_lo, s4
	s_and_saveexec_b32 s4, vcc_lo
	s_cbranch_execnz .LBB370_3245
.LBB370_3194:
	s_or_b32 exec_lo, exec_lo, s4
	s_and_saveexec_b32 s4, vcc_lo
	s_cbranch_execnz .LBB370_3246
.LBB370_3195:
	s_or_b32 exec_lo, exec_lo, s4
	s_and_saveexec_b32 s4, vcc_lo
	s_cbranch_execnz .LBB370_3247
.LBB370_3196:
	s_or_b32 exec_lo, exec_lo, s4
	s_and_saveexec_b32 s4, vcc_lo
	s_cbranch_execnz .LBB370_3248
.LBB370_3197:
	s_or_b32 exec_lo, exec_lo, s4
	s_and_saveexec_b32 s4, vcc_lo
	s_cbranch_execnz .LBB370_3249
.LBB370_3198:
	s_or_b32 exec_lo, exec_lo, s4
	s_and_saveexec_b32 s4, vcc_lo
	s_cbranch_execnz .LBB370_3250
.LBB370_3199:
	s_or_b32 exec_lo, exec_lo, s4
	s_and_saveexec_b32 s4, vcc_lo
	s_cbranch_execnz .LBB370_3251
.LBB370_3200:
	s_or_b32 exec_lo, exec_lo, s4
	s_and_saveexec_b32 s4, vcc_lo
	s_cbranch_execnz .LBB370_3252
.LBB370_3201:
	s_or_b32 exec_lo, exec_lo, s4
	s_and_saveexec_b32 s4, vcc_lo
	s_cbranch_execnz .LBB370_3253
.LBB370_3202:
	s_or_b32 exec_lo, exec_lo, s4
	s_and_saveexec_b32 s4, vcc_lo
	s_cbranch_execnz .LBB370_3254
.LBB370_3203:
	s_or_b32 exec_lo, exec_lo, s4
	s_and_saveexec_b32 s4, vcc_lo
	s_cbranch_execnz .LBB370_3255
.LBB370_3204:
	s_or_b32 exec_lo, exec_lo, s4
	s_and_saveexec_b32 s4, vcc_lo
	s_cbranch_execz .LBB370_3206
.LBB370_3205:
	ds_read_b32 v24, v24 offset:736
	s_waitcnt lgkmcnt(0)
	v_add_f32_e32 v0, v24, v0
.LBB370_3206:
	s_or_b32 exec_lo, exec_lo, s4
.LBB370_3207:
	s_or_b32 exec_lo, exec_lo, s5
	s_mov_b32 s4, exec_lo
	s_barrier
	buffer_gl0_inv
	v_cmpx_eq_u32_e32 0, v26
	s_cbranch_execz .LBB370_3209
; %bb.3208:
	s_clause 0x1
	buffer_load_dword v27, off, s[0:3], s32 offset:1636
	buffer_load_dword v28, off, s[0:3], s32 offset:1632
	s_and_b32 s5, 0xffff, s8
	s_mul_i32 s6, s14, 0xc0
	s_cmp_lg_u32 s5, 0
	v_lshrrev_b32_e32 v24, 1, v83
	s_cselect_b32 s5, -1, 0
	v_bfe_u32 v25, v23, 16, 1
	s_cmp_lg_u32 s5, 0
	v_or_b32_e32 v26, 0x400000, v23
	s_addc_u32 s5, s13, 0
	s_mul_i32 s7, s5, s10
	s_mul_i32 s10, s12, s5
	;; [unrolled: 1-line block ×3, first 2 shown]
	s_ashr_i32 s11, s10, 31
	s_mulk_i32 s8, 0xc0
	s_ashr_i32 s7, s6, 31
	s_ashr_i32 s9, s8, 31
	s_lshl_b64 s[6:7], s[6:7], 1
	s_lshl_b64 s[8:9], s[8:9], 1
	v_add3_u32 v29, v25, v23, 0x7fff
	s_waitcnt vmcnt(1)
	v_add_co_u32 v27, vcc_lo, v27, s8
	s_waitcnt vmcnt(0)
	v_add_co_ci_u32_e64 v28, null, s9, v28, vcc_lo
	s_lshl_b64 s[8:9], s[10:11], 1
	v_add_co_u32 v27, vcc_lo, v27, s8
	v_add_co_ci_u32_e64 v28, null, s9, v28, vcc_lo
	v_add_co_u32 v27, vcc_lo, v27, s6
	v_add_co_ci_u32_e64 v28, null, s7, v28, vcc_lo
	;; [unrolled: 2-line block ×3, first 2 shown]
	v_bfe_u32 v27, v22, 16, 1
	v_cmp_u_f32_e32 vcc_lo, v23, v23
	v_or_b32_e32 v28, 0x400000, v22
	v_add3_u32 v27, v27, v22, 0x7fff
	v_cndmask_b32_e32 v23, v29, v26, vcc_lo
	v_bfe_u32 v26, v21, 16, 1
	v_cmp_u_f32_e32 vcc_lo, v22, v22
	flat_store_short_d16_hi v[24:25], v23
	v_add3_u32 v23, v26, v21, 0x7fff
	v_or_b32_e32 v26, 0x400000, v21
	v_cndmask_b32_e32 v22, v27, v28, vcc_lo
	v_bfe_u32 v27, v20, 16, 1
	v_cmp_u_f32_e32 vcc_lo, v21, v21
	flat_store_short_d16_hi v[24:25], v22 offset:16
	v_add3_u32 v22, v27, v20, 0x7fff
	v_cndmask_b32_e32 v21, v23, v26, vcc_lo
	v_bfe_u32 v23, v19, 16, 1
	v_or_b32_e32 v26, 0x400000, v20
	v_cmp_u_f32_e32 vcc_lo, v20, v20
	flat_store_short_d16_hi v[24:25], v21 offset:32
	v_add3_u32 v21, v23, v19, 0x7fff
	v_or_b32_e32 v23, 0x400000, v19
	v_cndmask_b32_e32 v20, v22, v26, vcc_lo
	v_bfe_u32 v22, v18, 16, 1
	v_cmp_u_f32_e32 vcc_lo, v19, v19
	flat_store_short_d16_hi v[24:25], v20 offset:48
	v_add3_u32 v20, v22, v18, 0x7fff
	v_cndmask_b32_e32 v19, v21, v23, vcc_lo
	v_bfe_u32 v21, v17, 16, 1
	v_or_b32_e32 v22, 0x400000, v18
	v_cmp_u_f32_e32 vcc_lo, v18, v18
	flat_store_short_d16_hi v[24:25], v19 offset:64
	;; [unrolled: 12-line block ×8, first 2 shown]
	v_add3_u32 v7, v9, v5, 0x7fff
	v_or_b32_e32 v9, 0x400000, v5
	v_cndmask_b32_e32 v6, v8, v10, vcc_lo
	v_bfe_u32 v8, v4, 16, 1
	v_cmp_u_f32_e32 vcc_lo, v5, v5
	v_or_b32_e32 v10, 0x400000, v0
	flat_store_short_d16_hi v[24:25], v6 offset:272
	v_add3_u32 v6, v8, v4, 0x7fff
	v_cndmask_b32_e32 v5, v7, v9, vcc_lo
	v_bfe_u32 v7, v3, 16, 1
	v_or_b32_e32 v8, 0x400000, v4
	v_cmp_u_f32_e32 vcc_lo, v4, v4
	v_or_b32_e32 v9, 0x400000, v1
	flat_store_short_d16_hi v[24:25], v5 offset:288
	v_add3_u32 v5, v7, v3, 0x7fff
	v_or_b32_e32 v7, 0x400000, v3
	v_cndmask_b32_e32 v4, v6, v8, vcc_lo
	v_bfe_u32 v6, v2, 16, 1
	v_cmp_u_f32_e32 vcc_lo, v3, v3
	v_bfe_u32 v8, v1, 16, 1
	v_add3_u32 v6, v6, v2, 0x7fff
	v_cndmask_b32_e32 v3, v5, v7, vcc_lo
	v_or_b32_e32 v7, 0x400000, v2
	v_cmp_u_f32_e32 vcc_lo, v2, v2
	v_bfe_u32 v5, v0, 16, 1
	v_add3_u32 v8, v8, v1, 0x7fff
	v_cndmask_b32_e32 v2, v6, v7, vcc_lo
	v_cmp_u_f32_e32 vcc_lo, v1, v1
	v_add3_u32 v5, v5, v0, 0x7fff
	v_cndmask_b32_e32 v1, v8, v9, vcc_lo
	v_cmp_u_f32_e32 vcc_lo, v0, v0
	v_cndmask_b32_e32 v0, v5, v10, vcc_lo
	flat_store_short_d16_hi v[24:25], v4 offset:304
	flat_store_short_d16_hi v[24:25], v3 offset:320
	;; [unrolled: 1-line block ×5, first 2 shown]
.LBB370_3209:
	s_or_b32 exec_lo, exec_lo, s4
	s_clause 0x2f
	buffer_load_dword v127, off, s[0:3], s32
	buffer_load_dword v126, off, s[0:3], s32 offset:4
	buffer_load_dword v125, off, s[0:3], s32 offset:8
	;; [unrolled: 1-line block ×47, first 2 shown]
	s_waitcnt vmcnt(0) lgkmcnt(0)
	s_setpc_b64 s[30:31]
.LBB370_3210:
	ds_read_b32 v26, v24
	s_waitcnt lgkmcnt(0)
	v_add_f32_e32 v23, v26, v23
	s_or_b32 exec_lo, exec_lo, s4
	s_and_saveexec_b32 s4, vcc_lo
	s_cbranch_execz .LBB370_3154
.LBB370_3211:
	ds_read_b32 v26, v24 offset:32
	s_waitcnt lgkmcnt(0)
	v_add_f32_e32 v22, v26, v22
	s_or_b32 exec_lo, exec_lo, s4
	s_and_saveexec_b32 s4, vcc_lo
	s_cbranch_execz .LBB370_3155
.LBB370_3212:
	ds_read_b32 v26, v24 offset:64
	s_waitcnt lgkmcnt(0)
	v_add_f32_e32 v21, v26, v21
	s_or_b32 exec_lo, exec_lo, s4
	s_and_saveexec_b32 s4, vcc_lo
	s_cbranch_execz .LBB370_3156
.LBB370_3213:
	ds_read_b32 v26, v24 offset:96
	s_waitcnt lgkmcnt(0)
	v_add_f32_e32 v20, v26, v20
	s_or_b32 exec_lo, exec_lo, s4
	s_and_saveexec_b32 s4, vcc_lo
	s_cbranch_execz .LBB370_3157
.LBB370_3214:
	ds_read_b32 v26, v24 offset:128
	s_waitcnt lgkmcnt(0)
	v_add_f32_e32 v19, v26, v19
	s_or_b32 exec_lo, exec_lo, s4
	s_and_saveexec_b32 s4, vcc_lo
	s_cbranch_execz .LBB370_3158
.LBB370_3215:
	ds_read_b32 v26, v24 offset:160
	s_waitcnt lgkmcnt(0)
	v_add_f32_e32 v18, v26, v18
	s_or_b32 exec_lo, exec_lo, s4
	s_and_saveexec_b32 s4, vcc_lo
	s_cbranch_execz .LBB370_3159
.LBB370_3216:
	ds_read_b32 v26, v24 offset:192
	s_waitcnt lgkmcnt(0)
	v_add_f32_e32 v17, v26, v17
	s_or_b32 exec_lo, exec_lo, s4
	s_and_saveexec_b32 s4, vcc_lo
	s_cbranch_execz .LBB370_3160
.LBB370_3217:
	ds_read_b32 v26, v24 offset:224
	s_waitcnt lgkmcnt(0)
	v_add_f32_e32 v16, v26, v16
	s_or_b32 exec_lo, exec_lo, s4
	s_and_saveexec_b32 s4, vcc_lo
	s_cbranch_execz .LBB370_3161
.LBB370_3218:
	ds_read_b32 v26, v24 offset:256
	s_waitcnt lgkmcnt(0)
	v_add_f32_e32 v15, v26, v15
	s_or_b32 exec_lo, exec_lo, s4
	s_and_saveexec_b32 s4, vcc_lo
	s_cbranch_execz .LBB370_3162
.LBB370_3219:
	ds_read_b32 v26, v24 offset:288
	s_waitcnt lgkmcnt(0)
	v_add_f32_e32 v14, v26, v14
	s_or_b32 exec_lo, exec_lo, s4
	s_and_saveexec_b32 s4, vcc_lo
	s_cbranch_execz .LBB370_3163
.LBB370_3220:
	ds_read_b32 v26, v24 offset:320
	s_waitcnt lgkmcnt(0)
	v_add_f32_e32 v13, v26, v13
	s_or_b32 exec_lo, exec_lo, s4
	s_and_saveexec_b32 s4, vcc_lo
	s_cbranch_execz .LBB370_3164
.LBB370_3221:
	ds_read_b32 v26, v24 offset:352
	s_waitcnt lgkmcnt(0)
	v_add_f32_e32 v12, v26, v12
	s_or_b32 exec_lo, exec_lo, s4
	s_and_saveexec_b32 s4, vcc_lo
	s_cbranch_execz .LBB370_3165
.LBB370_3222:
	ds_read_b32 v26, v24 offset:384
	s_waitcnt lgkmcnt(0)
	v_add_f32_e32 v11, v26, v11
	s_or_b32 exec_lo, exec_lo, s4
	s_and_saveexec_b32 s4, vcc_lo
	s_cbranch_execz .LBB370_3166
.LBB370_3223:
	ds_read_b32 v26, v24 offset:416
	s_waitcnt lgkmcnt(0)
	v_add_f32_e32 v10, v26, v10
	s_or_b32 exec_lo, exec_lo, s4
	s_and_saveexec_b32 s4, vcc_lo
	s_cbranch_execz .LBB370_3167
.LBB370_3224:
	ds_read_b32 v26, v24 offset:448
	s_waitcnt lgkmcnt(0)
	v_add_f32_e32 v9, v26, v9
	s_or_b32 exec_lo, exec_lo, s4
	s_and_saveexec_b32 s4, vcc_lo
	s_cbranch_execz .LBB370_3168
.LBB370_3225:
	ds_read_b32 v26, v24 offset:480
	s_waitcnt lgkmcnt(0)
	v_add_f32_e32 v8, v26, v8
	s_or_b32 exec_lo, exec_lo, s4
	s_and_saveexec_b32 s4, vcc_lo
	s_cbranch_execz .LBB370_3169
.LBB370_3226:
	ds_read_b32 v26, v24 offset:512
	s_waitcnt lgkmcnt(0)
	v_add_f32_e32 v7, v26, v7
	s_or_b32 exec_lo, exec_lo, s4
	s_and_saveexec_b32 s4, vcc_lo
	s_cbranch_execz .LBB370_3170
.LBB370_3227:
	ds_read_b32 v26, v24 offset:544
	s_waitcnt lgkmcnt(0)
	v_add_f32_e32 v6, v26, v6
	s_or_b32 exec_lo, exec_lo, s4
	s_and_saveexec_b32 s4, vcc_lo
	s_cbranch_execz .LBB370_3171
.LBB370_3228:
	ds_read_b32 v26, v24 offset:576
	s_waitcnt lgkmcnt(0)
	v_add_f32_e32 v5, v26, v5
	s_or_b32 exec_lo, exec_lo, s4
	s_and_saveexec_b32 s4, vcc_lo
	s_cbranch_execz .LBB370_3172
.LBB370_3229:
	ds_read_b32 v26, v24 offset:608
	s_waitcnt lgkmcnt(0)
	v_add_f32_e32 v4, v26, v4
	s_or_b32 exec_lo, exec_lo, s4
	s_and_saveexec_b32 s4, vcc_lo
	s_cbranch_execz .LBB370_3173
.LBB370_3230:
	ds_read_b32 v26, v24 offset:640
	s_waitcnt lgkmcnt(0)
	v_add_f32_e32 v3, v26, v3
	s_or_b32 exec_lo, exec_lo, s4
	s_and_saveexec_b32 s4, vcc_lo
	s_cbranch_execz .LBB370_3174
.LBB370_3231:
	ds_read_b32 v26, v24 offset:672
	s_waitcnt lgkmcnt(0)
	v_add_f32_e32 v2, v26, v2
	s_or_b32 exec_lo, exec_lo, s4
	s_and_saveexec_b32 s4, vcc_lo
	s_cbranch_execz .LBB370_3175
.LBB370_3232:
	ds_read_b32 v26, v24 offset:704
	s_waitcnt lgkmcnt(0)
	v_add_f32_e32 v1, v26, v1
	s_or_b32 exec_lo, exec_lo, s4
	s_and_saveexec_b32 s4, vcc_lo
	s_cbranch_execnz .LBB370_3176
	s_branch .LBB370_3177
.LBB370_3233:
	ds_read_b32 v25, v24
	s_waitcnt lgkmcnt(0)
	v_add_f32_e32 v23, v25, v23
	s_or_b32 exec_lo, exec_lo, s4
	s_and_saveexec_b32 s4, vcc_lo
	s_cbranch_execz .LBB370_3183
.LBB370_3234:
	ds_read_b32 v25, v24 offset:32
	s_waitcnt lgkmcnt(0)
	v_add_f32_e32 v22, v25, v22
	s_or_b32 exec_lo, exec_lo, s4
	s_and_saveexec_b32 s4, vcc_lo
	s_cbranch_execz .LBB370_3184
.LBB370_3235:
	ds_read_b32 v25, v24 offset:64
	s_waitcnt lgkmcnt(0)
	v_add_f32_e32 v21, v25, v21
	s_or_b32 exec_lo, exec_lo, s4
	s_and_saveexec_b32 s4, vcc_lo
	s_cbranch_execz .LBB370_3185
.LBB370_3236:
	ds_read_b32 v25, v24 offset:96
	s_waitcnt lgkmcnt(0)
	v_add_f32_e32 v20, v25, v20
	s_or_b32 exec_lo, exec_lo, s4
	s_and_saveexec_b32 s4, vcc_lo
	s_cbranch_execz .LBB370_3186
.LBB370_3237:
	ds_read_b32 v25, v24 offset:128
	s_waitcnt lgkmcnt(0)
	v_add_f32_e32 v19, v25, v19
	s_or_b32 exec_lo, exec_lo, s4
	s_and_saveexec_b32 s4, vcc_lo
	s_cbranch_execz .LBB370_3187
.LBB370_3238:
	ds_read_b32 v25, v24 offset:160
	s_waitcnt lgkmcnt(0)
	v_add_f32_e32 v18, v25, v18
	s_or_b32 exec_lo, exec_lo, s4
	s_and_saveexec_b32 s4, vcc_lo
	s_cbranch_execz .LBB370_3188
.LBB370_3239:
	ds_read_b32 v25, v24 offset:192
	s_waitcnt lgkmcnt(0)
	v_add_f32_e32 v17, v25, v17
	s_or_b32 exec_lo, exec_lo, s4
	s_and_saveexec_b32 s4, vcc_lo
	s_cbranch_execz .LBB370_3189
.LBB370_3240:
	ds_read_b32 v25, v24 offset:224
	s_waitcnt lgkmcnt(0)
	v_add_f32_e32 v16, v25, v16
	s_or_b32 exec_lo, exec_lo, s4
	s_and_saveexec_b32 s4, vcc_lo
	s_cbranch_execz .LBB370_3190
.LBB370_3241:
	ds_read_b32 v25, v24 offset:256
	s_waitcnt lgkmcnt(0)
	v_add_f32_e32 v15, v25, v15
	s_or_b32 exec_lo, exec_lo, s4
	s_and_saveexec_b32 s4, vcc_lo
	s_cbranch_execz .LBB370_3191
.LBB370_3242:
	ds_read_b32 v25, v24 offset:288
	s_waitcnt lgkmcnt(0)
	v_add_f32_e32 v14, v25, v14
	s_or_b32 exec_lo, exec_lo, s4
	s_and_saveexec_b32 s4, vcc_lo
	s_cbranch_execz .LBB370_3192
.LBB370_3243:
	ds_read_b32 v25, v24 offset:320
	s_waitcnt lgkmcnt(0)
	v_add_f32_e32 v13, v25, v13
	s_or_b32 exec_lo, exec_lo, s4
	s_and_saveexec_b32 s4, vcc_lo
	s_cbranch_execz .LBB370_3193
.LBB370_3244:
	ds_read_b32 v25, v24 offset:352
	s_waitcnt lgkmcnt(0)
	v_add_f32_e32 v12, v25, v12
	s_or_b32 exec_lo, exec_lo, s4
	s_and_saveexec_b32 s4, vcc_lo
	s_cbranch_execz .LBB370_3194
.LBB370_3245:
	ds_read_b32 v25, v24 offset:384
	s_waitcnt lgkmcnt(0)
	v_add_f32_e32 v11, v25, v11
	s_or_b32 exec_lo, exec_lo, s4
	s_and_saveexec_b32 s4, vcc_lo
	s_cbranch_execz .LBB370_3195
.LBB370_3246:
	ds_read_b32 v25, v24 offset:416
	s_waitcnt lgkmcnt(0)
	v_add_f32_e32 v10, v25, v10
	s_or_b32 exec_lo, exec_lo, s4
	s_and_saveexec_b32 s4, vcc_lo
	s_cbranch_execz .LBB370_3196
.LBB370_3247:
	ds_read_b32 v25, v24 offset:448
	s_waitcnt lgkmcnt(0)
	v_add_f32_e32 v9, v25, v9
	s_or_b32 exec_lo, exec_lo, s4
	s_and_saveexec_b32 s4, vcc_lo
	s_cbranch_execz .LBB370_3197
.LBB370_3248:
	ds_read_b32 v25, v24 offset:480
	s_waitcnt lgkmcnt(0)
	v_add_f32_e32 v8, v25, v8
	s_or_b32 exec_lo, exec_lo, s4
	s_and_saveexec_b32 s4, vcc_lo
	s_cbranch_execz .LBB370_3198
.LBB370_3249:
	ds_read_b32 v25, v24 offset:512
	s_waitcnt lgkmcnt(0)
	v_add_f32_e32 v7, v25, v7
	s_or_b32 exec_lo, exec_lo, s4
	s_and_saveexec_b32 s4, vcc_lo
	s_cbranch_execz .LBB370_3199
.LBB370_3250:
	ds_read_b32 v25, v24 offset:544
	s_waitcnt lgkmcnt(0)
	v_add_f32_e32 v6, v25, v6
	s_or_b32 exec_lo, exec_lo, s4
	s_and_saveexec_b32 s4, vcc_lo
	s_cbranch_execz .LBB370_3200
.LBB370_3251:
	ds_read_b32 v25, v24 offset:576
	s_waitcnt lgkmcnt(0)
	v_add_f32_e32 v5, v25, v5
	s_or_b32 exec_lo, exec_lo, s4
	s_and_saveexec_b32 s4, vcc_lo
	s_cbranch_execz .LBB370_3201
.LBB370_3252:
	ds_read_b32 v25, v24 offset:608
	s_waitcnt lgkmcnt(0)
	v_add_f32_e32 v4, v25, v4
	s_or_b32 exec_lo, exec_lo, s4
	s_and_saveexec_b32 s4, vcc_lo
	s_cbranch_execz .LBB370_3202
.LBB370_3253:
	ds_read_b32 v25, v24 offset:640
	s_waitcnt lgkmcnt(0)
	v_add_f32_e32 v3, v25, v3
	s_or_b32 exec_lo, exec_lo, s4
	s_and_saveexec_b32 s4, vcc_lo
	s_cbranch_execz .LBB370_3203
.LBB370_3254:
	ds_read_b32 v25, v24 offset:672
	s_waitcnt lgkmcnt(0)
	v_add_f32_e32 v2, v25, v2
	s_or_b32 exec_lo, exec_lo, s4
	s_and_saveexec_b32 s4, vcc_lo
	s_cbranch_execz .LBB370_3204
.LBB370_3255:
	ds_read_b32 v25, v24 offset:704
	s_waitcnt lgkmcnt(0)
	v_add_f32_e32 v1, v25, v1
	s_or_b32 exec_lo, exec_lo, s4
	s_and_saveexec_b32 s4, vcc_lo
	s_cbranch_execnz .LBB370_3205
	s_branch .LBB370_3206
.Lfunc_end370:
	.size	_ZN4vllm22paged_attention_kernelI14__hip_bfloat16hLi192ELi32ELi128ELNS_18Fp8KVCacheDataTypeE1ELb0ELi0EEEvPfS3_PT_PKS4_PKT0_SA_ifPKiSC_iPKfiiiSE_SE_iiiii, .Lfunc_end370-_ZN4vllm22paged_attention_kernelI14__hip_bfloat16hLi192ELi32ELi128ELNS_18Fp8KVCacheDataTypeE1ELb0ELi0EEEvPfS3_PT_PKS4_PKT0_SA_ifPKiSC_iPKfiiiSE_SE_iiiii
                                        ; -- End function
	.set .L_ZN4vllm22paged_attention_kernelI14__hip_bfloat16hLi192ELi32ELi128ELNS_18Fp8KVCacheDataTypeE1ELb0ELi0EEEvPfS3_PT_PKS4_PKT0_SA_ifPKiSC_iPKfiiiSE_SE_iiiii.num_vgpr, 128
	.set .L_ZN4vllm22paged_attention_kernelI14__hip_bfloat16hLi192ELi32ELi128ELNS_18Fp8KVCacheDataTypeE1ELb0ELi0EEEvPfS3_PT_PKS4_PKT0_SA_ifPKiSC_iPKfiiiSE_SE_iiiii.num_agpr, 0
	.set .L_ZN4vllm22paged_attention_kernelI14__hip_bfloat16hLi192ELi32ELi128ELNS_18Fp8KVCacheDataTypeE1ELb0ELi0EEEvPfS3_PT_PKS4_PKT0_SA_ifPKiSC_iPKfiiiSE_SE_iiiii.numbered_sgpr, 33
	.set .L_ZN4vllm22paged_attention_kernelI14__hip_bfloat16hLi192ELi32ELi128ELNS_18Fp8KVCacheDataTypeE1ELb0ELi0EEEvPfS3_PT_PKS4_PKT0_SA_ifPKiSC_iPKfiiiSE_SE_iiiii.num_named_barrier, 0
	.set .L_ZN4vllm22paged_attention_kernelI14__hip_bfloat16hLi192ELi32ELi128ELNS_18Fp8KVCacheDataTypeE1ELb0ELi0EEEvPfS3_PT_PKS4_PKT0_SA_ifPKiSC_iPKfiiiSE_SE_iiiii.private_seg_size, 1688
	.set .L_ZN4vllm22paged_attention_kernelI14__hip_bfloat16hLi192ELi32ELi128ELNS_18Fp8KVCacheDataTypeE1ELb0ELi0EEEvPfS3_PT_PKS4_PKT0_SA_ifPKiSC_iPKfiiiSE_SE_iiiii.uses_vcc, 1
	.set .L_ZN4vllm22paged_attention_kernelI14__hip_bfloat16hLi192ELi32ELi128ELNS_18Fp8KVCacheDataTypeE1ELb0ELi0EEEvPfS3_PT_PKS4_PKT0_SA_ifPKiSC_iPKfiiiSE_SE_iiiii.uses_flat_scratch, 0
	.set .L_ZN4vllm22paged_attention_kernelI14__hip_bfloat16hLi192ELi32ELi128ELNS_18Fp8KVCacheDataTypeE1ELb0ELi0EEEvPfS3_PT_PKS4_PKT0_SA_ifPKiSC_iPKfiiiSE_SE_iiiii.has_dyn_sized_stack, 0
	.set .L_ZN4vllm22paged_attention_kernelI14__hip_bfloat16hLi192ELi32ELi128ELNS_18Fp8KVCacheDataTypeE1ELb0ELi0EEEvPfS3_PT_PKS4_PKT0_SA_ifPKiSC_iPKfiiiSE_SE_iiiii.has_recursion, 0
	.set .L_ZN4vllm22paged_attention_kernelI14__hip_bfloat16hLi192ELi32ELi128ELNS_18Fp8KVCacheDataTypeE1ELb0ELi0EEEvPfS3_PT_PKS4_PKT0_SA_ifPKiSC_iPKfiiiSE_SE_iiiii.has_indirect_call, 0
	.section	.AMDGPU.csdata,"",@progbits
; Function info:
; codeLenInByte = 133984
; TotalNumSgprs: 35
; NumVgprs: 128
; ScratchSize: 1688
; MemoryBound: 0
	.section	.text._ZN4vllm25paged_attention_v1_kernelI14__hip_bfloat16hLi192ELi32ELi128ELNS_18Fp8KVCacheDataTypeE1ELb0EEEvPT_PKS3_PKT0_S9_ifPKiSB_iPKfiiiSD_SD_iiiii,"axG",@progbits,_ZN4vllm25paged_attention_v1_kernelI14__hip_bfloat16hLi192ELi32ELi128ELNS_18Fp8KVCacheDataTypeE1ELb0EEEvPT_PKS3_PKT0_S9_ifPKiSB_iPKfiiiSD_SD_iiiii,comdat
	.protected	_ZN4vllm25paged_attention_v1_kernelI14__hip_bfloat16hLi192ELi32ELi128ELNS_18Fp8KVCacheDataTypeE1ELb0EEEvPT_PKS3_PKT0_S9_ifPKiSB_iPKfiiiSD_SD_iiiii ; -- Begin function _ZN4vllm25paged_attention_v1_kernelI14__hip_bfloat16hLi192ELi32ELi128ELNS_18Fp8KVCacheDataTypeE1ELb0EEEvPT_PKS3_PKT0_S9_ifPKiSB_iPKfiiiSD_SD_iiiii
	.globl	_ZN4vllm25paged_attention_v1_kernelI14__hip_bfloat16hLi192ELi32ELi128ELNS_18Fp8KVCacheDataTypeE1ELb0EEEvPT_PKS3_PKT0_S9_ifPKiSB_iPKfiiiSD_SD_iiiii
	.p2align	8
	.type	_ZN4vllm25paged_attention_v1_kernelI14__hip_bfloat16hLi192ELi32ELi128ELNS_18Fp8KVCacheDataTypeE1ELb0EEEvPT_PKS3_PKT0_S9_ifPKiSB_iPKfiiiSD_SD_iiiii,@function
_ZN4vllm25paged_attention_v1_kernelI14__hip_bfloat16hLi192ELi32ELi128ELNS_18Fp8KVCacheDataTypeE1ELb0EEEvPT_PKS3_PKT0_S9_ifPKiSB_iPKfiiiSD_SD_iiiii: ; @_ZN4vllm25paged_attention_v1_kernelI14__hip_bfloat16hLi192ELi32ELi128ELNS_18Fp8KVCacheDataTypeE1ELb0EEEvPT_PKS3_PKT0_S9_ifPKiSB_iPKfiiiSD_SD_iiiii
; %bb.0:
	s_clause 0x5
	s_load_dwordx8 s[16:23], s[4:5], 0x0
	s_load_dwordx4 s[36:39], s[4:5], 0x20
	s_load_dwordx2 s[10:11], s[4:5], 0x30
	s_load_dword s13, s[4:5], 0x38
	s_load_dwordx2 s[34:35], s[4:5], 0x40
	s_load_dwordx8 s[24:31], s[4:5], 0x48
	s_add_u32 s0, s0, s9
	s_addc_u32 s1, s1, 0
	v_mov_b32_e32 v31, v0
	s_mov_b32 s14, s8
	s_add_u32 s8, s4, 0x80
	s_addc_u32 s9, s5, 0
	s_getpc_b64 s[4:5]
	s_add_u32 s4, s4, _ZN4vllm22paged_attention_kernelI14__hip_bfloat16hLi192ELi32ELi128ELNS_18Fp8KVCacheDataTypeE1ELb0ELi0EEEvPfS3_PT_PKS4_PKT0_SA_ifPKiSC_iPKfiiiSE_SE_iiiii@rel32@lo+4
	s_addc_u32 s5, s5, _ZN4vllm22paged_attention_kernelI14__hip_bfloat16hLi192ELi32ELi128ELNS_18Fp8KVCacheDataTypeE1ELb0ELi0EEEvPfS3_PT_PKS4_PKT0_SA_ifPKiSC_iPKfiiiSE_SE_iiiii@rel32@hi+12
	s_mov_b32 s12, s6
	s_mov_b32 s15, 8
	s_mov_b32 s32, 0
	s_waitcnt lgkmcnt(0)
	v_mov_b32_e32 v0, s16
	v_mov_b32_e32 v1, s17
	;; [unrolled: 1-line block ×24, first 2 shown]
	s_mov_b32 s13, s7
	s_swappc_b64 s[30:31], s[4:5]
	s_endpgm
	.section	.rodata,"a",@progbits
	.p2align	6, 0x0
	.amdhsa_kernel _ZN4vllm25paged_attention_v1_kernelI14__hip_bfloat16hLi192ELi32ELi128ELNS_18Fp8KVCacheDataTypeE1ELb0EEEvPT_PKS3_PKT0_S9_ifPKiSB_iPKfiiiSD_SD_iiiii
		.amdhsa_group_segment_fixed_size 416
		.amdhsa_private_segment_fixed_size 1688
		.amdhsa_kernarg_size 384
		.amdhsa_user_sgpr_count 6
		.amdhsa_user_sgpr_private_segment_buffer 1
		.amdhsa_user_sgpr_dispatch_ptr 0
		.amdhsa_user_sgpr_queue_ptr 0
		.amdhsa_user_sgpr_kernarg_segment_ptr 1
		.amdhsa_user_sgpr_dispatch_id 0
		.amdhsa_user_sgpr_flat_scratch_init 0
		.amdhsa_user_sgpr_private_segment_size 0
		.amdhsa_wavefront_size32 1
		.amdhsa_uses_dynamic_stack 0
		.amdhsa_system_sgpr_private_segment_wavefront_offset 1
		.amdhsa_system_sgpr_workgroup_id_x 1
		.amdhsa_system_sgpr_workgroup_id_y 1
		.amdhsa_system_sgpr_workgroup_id_z 1
		.amdhsa_system_sgpr_workgroup_info 0
		.amdhsa_system_vgpr_workitem_id 0
		.amdhsa_next_free_vgpr 128
		.amdhsa_next_free_sgpr 40
		.amdhsa_reserve_vcc 1
		.amdhsa_reserve_flat_scratch 0
		.amdhsa_float_round_mode_32 0
		.amdhsa_float_round_mode_16_64 0
		.amdhsa_float_denorm_mode_32 3
		.amdhsa_float_denorm_mode_16_64 3
		.amdhsa_dx10_clamp 1
		.amdhsa_ieee_mode 1
		.amdhsa_fp16_overflow 0
		.amdhsa_workgroup_processor_mode 1
		.amdhsa_memory_ordered 1
		.amdhsa_forward_progress 1
		.amdhsa_shared_vgpr_count 0
		.amdhsa_exception_fp_ieee_invalid_op 0
		.amdhsa_exception_fp_denorm_src 0
		.amdhsa_exception_fp_ieee_div_zero 0
		.amdhsa_exception_fp_ieee_overflow 0
		.amdhsa_exception_fp_ieee_underflow 0
		.amdhsa_exception_fp_ieee_inexact 0
		.amdhsa_exception_int_div_zero 0
	.end_amdhsa_kernel
	.section	.text._ZN4vllm25paged_attention_v1_kernelI14__hip_bfloat16hLi192ELi32ELi128ELNS_18Fp8KVCacheDataTypeE1ELb0EEEvPT_PKS3_PKT0_S9_ifPKiSB_iPKfiiiSD_SD_iiiii,"axG",@progbits,_ZN4vllm25paged_attention_v1_kernelI14__hip_bfloat16hLi192ELi32ELi128ELNS_18Fp8KVCacheDataTypeE1ELb0EEEvPT_PKS3_PKT0_S9_ifPKiSB_iPKfiiiSD_SD_iiiii,comdat
.Lfunc_end371:
	.size	_ZN4vllm25paged_attention_v1_kernelI14__hip_bfloat16hLi192ELi32ELi128ELNS_18Fp8KVCacheDataTypeE1ELb0EEEvPT_PKS3_PKT0_S9_ifPKiSB_iPKfiiiSD_SD_iiiii, .Lfunc_end371-_ZN4vllm25paged_attention_v1_kernelI14__hip_bfloat16hLi192ELi32ELi128ELNS_18Fp8KVCacheDataTypeE1ELb0EEEvPT_PKS3_PKT0_S9_ifPKiSB_iPKfiiiSD_SD_iiiii
                                        ; -- End function
	.set _ZN4vllm25paged_attention_v1_kernelI14__hip_bfloat16hLi192ELi32ELi128ELNS_18Fp8KVCacheDataTypeE1ELb0EEEvPT_PKS3_PKT0_S9_ifPKiSB_iPKfiiiSD_SD_iiiii.num_vgpr, max(32, .L_ZN4vllm22paged_attention_kernelI14__hip_bfloat16hLi192ELi32ELi128ELNS_18Fp8KVCacheDataTypeE1ELb0ELi0EEEvPfS3_PT_PKS4_PKT0_SA_ifPKiSC_iPKfiiiSE_SE_iiiii.num_vgpr)
	.set _ZN4vllm25paged_attention_v1_kernelI14__hip_bfloat16hLi192ELi32ELi128ELNS_18Fp8KVCacheDataTypeE1ELb0EEEvPT_PKS3_PKT0_S9_ifPKiSB_iPKfiiiSD_SD_iiiii.num_agpr, max(0, .L_ZN4vllm22paged_attention_kernelI14__hip_bfloat16hLi192ELi32ELi128ELNS_18Fp8KVCacheDataTypeE1ELb0ELi0EEEvPfS3_PT_PKS4_PKT0_SA_ifPKiSC_iPKfiiiSE_SE_iiiii.num_agpr)
	.set _ZN4vllm25paged_attention_v1_kernelI14__hip_bfloat16hLi192ELi32ELi128ELNS_18Fp8KVCacheDataTypeE1ELb0EEEvPT_PKS3_PKT0_S9_ifPKiSB_iPKfiiiSD_SD_iiiii.numbered_sgpr, max(40, .L_ZN4vllm22paged_attention_kernelI14__hip_bfloat16hLi192ELi32ELi128ELNS_18Fp8KVCacheDataTypeE1ELb0ELi0EEEvPfS3_PT_PKS4_PKT0_SA_ifPKiSC_iPKfiiiSE_SE_iiiii.numbered_sgpr)
	.set _ZN4vllm25paged_attention_v1_kernelI14__hip_bfloat16hLi192ELi32ELi128ELNS_18Fp8KVCacheDataTypeE1ELb0EEEvPT_PKS3_PKT0_S9_ifPKiSB_iPKfiiiSD_SD_iiiii.num_named_barrier, max(0, .L_ZN4vllm22paged_attention_kernelI14__hip_bfloat16hLi192ELi32ELi128ELNS_18Fp8KVCacheDataTypeE1ELb0ELi0EEEvPfS3_PT_PKS4_PKT0_SA_ifPKiSC_iPKfiiiSE_SE_iiiii.num_named_barrier)
	.set _ZN4vllm25paged_attention_v1_kernelI14__hip_bfloat16hLi192ELi32ELi128ELNS_18Fp8KVCacheDataTypeE1ELb0EEEvPT_PKS3_PKT0_S9_ifPKiSB_iPKfiiiSD_SD_iiiii.private_seg_size, 0+max(.L_ZN4vllm22paged_attention_kernelI14__hip_bfloat16hLi192ELi32ELi128ELNS_18Fp8KVCacheDataTypeE1ELb0ELi0EEEvPfS3_PT_PKS4_PKT0_SA_ifPKiSC_iPKfiiiSE_SE_iiiii.private_seg_size)
	.set _ZN4vllm25paged_attention_v1_kernelI14__hip_bfloat16hLi192ELi32ELi128ELNS_18Fp8KVCacheDataTypeE1ELb0EEEvPT_PKS3_PKT0_S9_ifPKiSB_iPKfiiiSD_SD_iiiii.uses_vcc, or(1, .L_ZN4vllm22paged_attention_kernelI14__hip_bfloat16hLi192ELi32ELi128ELNS_18Fp8KVCacheDataTypeE1ELb0ELi0EEEvPfS3_PT_PKS4_PKT0_SA_ifPKiSC_iPKfiiiSE_SE_iiiii.uses_vcc)
	.set _ZN4vllm25paged_attention_v1_kernelI14__hip_bfloat16hLi192ELi32ELi128ELNS_18Fp8KVCacheDataTypeE1ELb0EEEvPT_PKS3_PKT0_S9_ifPKiSB_iPKfiiiSD_SD_iiiii.uses_flat_scratch, or(0, .L_ZN4vllm22paged_attention_kernelI14__hip_bfloat16hLi192ELi32ELi128ELNS_18Fp8KVCacheDataTypeE1ELb0ELi0EEEvPfS3_PT_PKS4_PKT0_SA_ifPKiSC_iPKfiiiSE_SE_iiiii.uses_flat_scratch)
	.set _ZN4vllm25paged_attention_v1_kernelI14__hip_bfloat16hLi192ELi32ELi128ELNS_18Fp8KVCacheDataTypeE1ELb0EEEvPT_PKS3_PKT0_S9_ifPKiSB_iPKfiiiSD_SD_iiiii.has_dyn_sized_stack, or(0, .L_ZN4vllm22paged_attention_kernelI14__hip_bfloat16hLi192ELi32ELi128ELNS_18Fp8KVCacheDataTypeE1ELb0ELi0EEEvPfS3_PT_PKS4_PKT0_SA_ifPKiSC_iPKfiiiSE_SE_iiiii.has_dyn_sized_stack)
	.set _ZN4vllm25paged_attention_v1_kernelI14__hip_bfloat16hLi192ELi32ELi128ELNS_18Fp8KVCacheDataTypeE1ELb0EEEvPT_PKS3_PKT0_S9_ifPKiSB_iPKfiiiSD_SD_iiiii.has_recursion, or(0, .L_ZN4vllm22paged_attention_kernelI14__hip_bfloat16hLi192ELi32ELi128ELNS_18Fp8KVCacheDataTypeE1ELb0ELi0EEEvPfS3_PT_PKS4_PKT0_SA_ifPKiSC_iPKfiiiSE_SE_iiiii.has_recursion)
	.set _ZN4vllm25paged_attention_v1_kernelI14__hip_bfloat16hLi192ELi32ELi128ELNS_18Fp8KVCacheDataTypeE1ELb0EEEvPT_PKS3_PKT0_S9_ifPKiSB_iPKfiiiSD_SD_iiiii.has_indirect_call, or(0, .L_ZN4vllm22paged_attention_kernelI14__hip_bfloat16hLi192ELi32ELi128ELNS_18Fp8KVCacheDataTypeE1ELb0ELi0EEEvPfS3_PT_PKS4_PKT0_SA_ifPKiSC_iPKfiiiSE_SE_iiiii.has_indirect_call)
	.section	.AMDGPU.csdata,"",@progbits
; Kernel info:
; codeLenInByte = 224
; TotalNumSgprs: 42
; NumVgprs: 128
; ScratchSize: 1688
; MemoryBound: 0
; FloatMode: 240
; IeeeMode: 1
; LDSByteSize: 416 bytes/workgroup (compile time only)
; SGPRBlocks: 0
; VGPRBlocks: 15
; NumSGPRsForWavesPerEU: 42
; NumVGPRsForWavesPerEU: 128
; Occupancy: 8
; WaveLimiterHint : 1
; COMPUTE_PGM_RSRC2:SCRATCH_EN: 1
; COMPUTE_PGM_RSRC2:USER_SGPR: 6
; COMPUTE_PGM_RSRC2:TRAP_HANDLER: 0
; COMPUTE_PGM_RSRC2:TGID_X_EN: 1
; COMPUTE_PGM_RSRC2:TGID_Y_EN: 1
; COMPUTE_PGM_RSRC2:TGID_Z_EN: 1
; COMPUTE_PGM_RSRC2:TIDIG_COMP_CNT: 0
	.text
	.p2align	2                               ; -- Begin function _ZN4vllm22paged_attention_kernelI14__hip_bfloat16hLi256ELi32ELi128ELNS_18Fp8KVCacheDataTypeE1ELb0ELi0EEEvPfS3_PT_PKS4_PKT0_SA_ifPKiSC_iPKfiiiSE_SE_iiiii
	.type	_ZN4vllm22paged_attention_kernelI14__hip_bfloat16hLi256ELi32ELi128ELNS_18Fp8KVCacheDataTypeE1ELb0ELi0EEEvPfS3_PT_PKS4_PKT0_SA_ifPKiSC_iPKfiiiSE_SE_iiiii,@function
_ZN4vllm22paged_attention_kernelI14__hip_bfloat16hLi256ELi32ELi128ELNS_18Fp8KVCacheDataTypeE1ELb0ELi0EEEvPfS3_PT_PKS4_PKT0_SA_ifPKiSC_iPKfiiiSE_SE_iiiii: ; @_ZN4vllm22paged_attention_kernelI14__hip_bfloat16hLi256ELi32ELi128ELNS_18Fp8KVCacheDataTypeE1ELb0ELi0EEEvPfS3_PT_PKS4_PKT0_SA_ifPKiSC_iPKfiiiSE_SE_iiiii
; %bb.0:
	s_waitcnt vmcnt(0) expcnt(0) lgkmcnt(0)
	buffer_store_dword v40, off, s[0:3], s32 offset:188 ; 4-byte Folded Spill
	buffer_store_dword v41, off, s[0:3], s32 offset:184 ; 4-byte Folded Spill
	;; [unrolled: 1-line block ×47, first 2 shown]
	buffer_store_dword v127, off, s[0:3], s32 ; 4-byte Folded Spill
	s_mov_b32 s10, s13
	s_ashr_i32 s11, s13, 31
	buffer_store_dword v22, off, s[0:3], s32 offset:2300 ; 4-byte Folded Spill
	buffer_store_dword v23, off, s[0:3], s32 offset:2304 ; 4-byte Folded Spill
	;; [unrolled: 1-line block ×12, first 2 shown]
	s_lshl_b64 s[4:5], s[10:11], 2
	s_mov_b32 s16, s15
	v_add_co_u32 v0, vcc_lo, v12, s4
	v_add_co_ci_u32_e64 v1, null, s5, v13, vcc_lo
	s_clause 0x1
	s_load_dword s4, s[8:9], 0x10
	s_load_dword s5, s[8:9], 0x0
	flat_load_dword v0, v[0:1]
	s_waitcnt lgkmcnt(0)
	s_lshr_b32 s4, s4, 16
	s_cmp_lg_u32 s4, 0
	s_cselect_b32 s4, -1, 0
	s_cmp_lg_u32 s4, 0
	s_addc_u32 s11, s5, 0
	s_mov_b32 s5, exec_lo
	s_abs_i32 s4, s11
	s_waitcnt vmcnt(0)
	buffer_store_dword v0, off, s[0:3], s32 offset:192 ; 4-byte Folded Spill
	v_sub_nc_u32_e32 v0, 0, v8
	v_max_i32_e32 v0, v8, v0
	v_cvt_f32_u32_e32 v1, v0
	v_sub_nc_u32_e32 v6, 0, v0
	v_rcp_iflag_f32_e32 v1, v1
	v_mul_f32_e32 v1, 0x4f7ffffe, v1
	v_cvt_u32_f32_e32 v1, v1
	v_mul_lo_u32 v6, v6, v1
	v_mul_hi_u32 v6, v1, v6
	v_add_nc_u32_e32 v1, v1, v6
	v_mul_hi_u32 v1, s4, v1
	v_mul_lo_u32 v6, v1, v0
	v_add_nc_u32_e32 v7, 1, v1
	v_sub_nc_u32_e32 v6, s4, v6
	s_abs_i32 s4, s12
	v_sub_nc_u32_e32 v9, v6, v0
	v_cmp_ge_u32_e32 vcc_lo, v6, v0
	v_cndmask_b32_e32 v1, v1, v7, vcc_lo
	v_cndmask_b32_e32 v6, v6, v9, vcc_lo
	v_xor_b32_e32 v7, s11, v8
	v_add_nc_u32_e32 v8, 1, v1
	v_cmp_ge_u32_e32 vcc_lo, v6, v0
	v_ashrrev_i32_e32 v7, 31, v7
	v_cndmask_b32_e32 v0, v1, v8, vcc_lo
	v_xor_b32_e32 v0, v0, v7
	v_sub_nc_u32_e32 v1, v0, v7
	v_sub_nc_u32_e32 v0, 0, v1
	v_max_i32_e32 v0, v1, v0
	v_cvt_f32_u32_e32 v6, v0
	v_sub_nc_u32_e32 v7, 0, v0
	v_rcp_iflag_f32_e32 v6, v6
	v_mul_f32_e32 v6, 0x4f7ffffe, v6
	v_cvt_u32_f32_e32 v6, v6
	v_mul_lo_u32 v7, v7, v6
	v_mul_hi_u32 v7, v6, v7
	v_add_nc_u32_e32 v6, v6, v7
	v_mad_u64_u32 v[12:13], null, s4, v6, 0
	v_mov_b32_e32 v6, 0
	buffer_store_dword v6, off, s[0:3], s32 offset:1216 ; 4-byte Folded Spill
	v_cmpx_ne_u64_e32 0, v[15:16]
	s_cbranch_execz .LBB372_2
; %bb.1:
	s_ashr_i32 s13, s12, 31
	s_lshl_b64 s[6:7], s[12:13], 2
	v_add_co_u32 v6, vcc_lo, v15, s6
	v_add_co_ci_u32_e64 v7, null, s7, v16, vcc_lo
	flat_load_dword v6, v[6:7]
	s_waitcnt vmcnt(0) lgkmcnt(0)
	buffer_store_dword v6, off, s[0:3], s32 offset:1216 ; 4-byte Folded Spill
.LBB372_2:
	s_or_b32 exec_lo, exec_lo, s5
	v_and_b32_e32 v11, 0x3ff, v31
	v_ashrrev_i32_e32 v1, 31, v1
	s_ashr_i32 s5, s12, 31
	s_lshl_b32 s12, s12, 8
	s_mov_b32 s6, exec_lo
	v_cmpx_gt_u32_e32 32, v11
	s_cbranch_execz .LBB372_4
; %bb.3:
	v_mul_lo_u32 v6, v17, s10
	s_ashr_i32 s13, s12, 31
	v_lshlrev_b32_e32 v10, 4, v11
	s_lshl_b64 s[18:19], s[12:13], 1
	v_ashrrev_i32_e32 v7, 31, v6
	v_lshlrev_b64 v[6:7], 1, v[6:7]
	v_add_co_u32 v2, vcc_lo, v2, v6
	v_add_co_ci_u32_e64 v3, null, v3, v7, vcc_lo
	v_add_co_u32 v2, vcc_lo, v2, s18
	v_add_co_ci_u32_e64 v3, null, s19, v3, vcc_lo
	;; [unrolled: 2-line block ×3, first 2 shown]
	flat_load_dwordx4 v[6:9], v[2:3]
	s_waitcnt vmcnt(0) lgkmcnt(0)
	ds_write_b128 v10, v[6:9]
.LBB372_4:
	s_or_b32 exec_lo, exec_lo, s6
	buffer_load_dword v7, off, s[0:3], s32 offset:192 ; 4-byte Folded Reload
	v_mul_lo_u32 v2, v13, v0
	v_add_nc_u32_e32 v3, 1, v13
	v_xor_b32_e32 v1, s5, v1
	s_clause 0x1
	s_load_dword s7, s[8:9], 0x14
	s_load_dword s13, s[8:9], 0x8
	buffer_store_dword v11, off, s[0:3], s32 offset:2264 ; 4-byte Folded Spill
	s_mov_b32 s15, exec_lo
	v_sub_nc_u32_e32 v2, s4, v2
	v_sub_nc_u32_e32 v6, v2, v0
	v_cmp_ge_u32_e32 vcc_lo, v2, v0
	v_cndmask_b32_e32 v3, v13, v3, vcc_lo
	v_cndmask_b32_e32 v2, v2, v6, vcc_lo
	v_add_nc_u32_e32 v6, 1, v3
	v_cmp_ge_u32_e32 vcc_lo, v2, v0
	v_mul_lo_u32 v0, v14, s10
	v_cndmask_b32_e32 v2, v3, v6, vcc_lo
	v_lshrrev_b32_e32 v6, 5, v11
	v_xor_b32_e32 v2, v2, v1
	v_sub_nc_u32_e32 v2, v2, v1
	v_ashrrev_i32_e32 v1, 31, v0
	v_mul_lo_u32 v12, v2, v19
	v_and_b32_e32 v2, 31, v11
	v_lshlrev_b64 v[0:1], 2, v[0:1]
	buffer_store_dword v0, off, s[0:3], s32 offset:2284 ; 4-byte Folded Spill
	buffer_store_dword v1, off, s[0:3], s32 offset:2288 ; 4-byte Folded Spill
	v_ashrrev_i32_e32 v11, 31, v12
	v_lshlrev_b32_e32 v18, 2, v2
	s_waitcnt vmcnt(0)
	v_add_nc_u32_e32 v7, 31, v7
	v_ashrrev_i32_e32 v3, 31, v7
	v_lshrrev_b32_e32 v3, 27, v3
	v_add_nc_u32_e32 v3, v7, v3
	v_mov_b32_e32 v7, 0xff7fffff
	v_ashrrev_i32_e32 v3, 5, v3
	buffer_store_dword v6, off, s[0:3], s32 offset:2272 ; 4-byte Folded Spill
	buffer_store_dword v3, off, s[0:3], s32 offset:196 ; 4-byte Folded Spill
	v_cmp_ge_i32_e64 s4, v6, v3
	buffer_store_dword v2, off, s[0:3], s32 offset:2268 ; 4-byte Folded Spill
	s_waitcnt lgkmcnt(0)
	s_waitcnt_vscnt null, 0x0
	s_barrier
	buffer_gl0_inv
	v_cmpx_lt_i32_e64 v6, v3
	s_cbranch_execz .LBB372_2056
; %bb.5:
	v_add_co_u32 v0, vcc_lo, v4, v12
	buffer_load_dword v4, off, s[0:3], s32 offset:2268 ; 4-byte Folded Reload
	v_add_co_ci_u32_e64 v1, null, v5, v11, vcc_lo
	v_mov_b32_e32 v5, 0
	buffer_store_dword v12, off, s[0:3], s32 offset:2316 ; 4-byte Folded Spill
	buffer_store_dword v11, off, s[0:3], s32 offset:2320 ; 4-byte Folded Spill
	s_ashr_i32 s17, s16, 31
	v_mov_b32_e32 v71, 0x80
	s_lshl_b64 s[8:9], s[16:17], 2
	s_getpc_b64 s[20:21]
	s_add_u32 s20, s20, llvm.amdgcn.dynlds.offset.table@rel32@lo+4
	s_addc_u32 s21, s21, llvm.amdgcn.dynlds.offset.table@rel32@hi+12
	s_add_u32 s8, s20, s8
	s_addc_u32 s9, s21, s9
	s_mov_b32 s18, 0
	s_waitcnt vmcnt(0)
	v_lshlrev_b32_e32 v2, 4, v4
	v_add_co_u32 v0, vcc_lo, v0, v2
	v_add_co_ci_u32_e64 v1, null, 0, v1, vcc_lo
	buffer_store_dword v0, off, s[0:3], s32 offset:1232 ; 4-byte Folded Spill
	buffer_store_dword v1, off, s[0:3], s32 offset:1236 ; 4-byte Folded Spill
	ds_read_b128 v[0:3], v5
	ds_read_b128 v[6:9], v5 offset:16
	ds_read_b128 v[10:13], v5 offset:32
	;; [unrolled: 1-line block ×3, first 2 shown]
	s_load_dword s6, s[8:9], 0x0
	s_mov_b32 s8, -1
	s_mov_b32 s9, 0xffffff
	s_waitcnt lgkmcnt(0)
	v_lshlrev_b32_e32 v19, 16, v0
	v_and_b32_e32 v0, 0xffff0000, v0
	buffer_store_dword v19, off, s[0:3], s32 offset:1240 ; 4-byte Folded Spill
	buffer_store_dword v0, off, s[0:3], s32 offset:1244 ; 4-byte Folded Spill
	v_lshlrev_b32_e32 v0, 16, v1
	buffer_store_dword v0, off, s[0:3], s32 offset:1248 ; 4-byte Folded Spill
	v_and_b32_e32 v0, 0xffff0000, v1
	buffer_store_dword v0, off, s[0:3], s32 offset:1252 ; 4-byte Folded Spill
	v_lshlrev_b32_e32 v0, 16, v2
	buffer_store_dword v0, off, s[0:3], s32 offset:1256 ; 4-byte Folded Spill
	v_and_b32_e32 v0, 0xffff0000, v2
	;; [unrolled: 4-line block ×5, first 2 shown]
	v_mov_b32_e32 v7, 0xff7fffff
	buffer_store_dword v0, off, s[0:3], s32 offset:1284 ; 4-byte Folded Spill
	v_lshlrev_b32_e32 v0, 16, v8
	buffer_store_dword v0, off, s[0:3], s32 offset:1288 ; 4-byte Folded Spill
	v_and_b32_e32 v0, 0xffff0000, v8
	buffer_store_dword v0, off, s[0:3], s32 offset:1292 ; 4-byte Folded Spill
	v_lshlrev_b32_e32 v0, 16, v9
	buffer_store_dword v0, off, s[0:3], s32 offset:1296 ; 4-byte Folded Spill
	v_and_b32_e32 v0, 0xffff0000, v9
	;; [unrolled: 4-line block ×10, first 2 shown]
	buffer_store_dword v0, off, s[0:3], s32 offset:1364 ; 4-byte Folded Spill
	ds_read_b128 v[0:3], v5 offset:64
	s_waitcnt lgkmcnt(0)
	v_lshlrev_b32_e32 v6, 16, v0
	v_and_b32_e32 v0, 0xffff0000, v0
	buffer_store_dword v6, off, s[0:3], s32 offset:1368 ; 4-byte Folded Spill
	buffer_store_dword v0, off, s[0:3], s32 offset:1372 ; 4-byte Folded Spill
	v_lshlrev_b32_e32 v0, 16, v1
	buffer_store_dword v0, off, s[0:3], s32 offset:1376 ; 4-byte Folded Spill
	v_and_b32_e32 v0, 0xffff0000, v1
	buffer_store_dword v0, off, s[0:3], s32 offset:1380 ; 4-byte Folded Spill
	v_lshlrev_b32_e32 v0, 16, v2
	buffer_store_dword v0, off, s[0:3], s32 offset:1384 ; 4-byte Folded Spill
	v_and_b32_e32 v0, 0xffff0000, v2
	buffer_store_dword v0, off, s[0:3], s32 offset:1388 ; 4-byte Folded Spill
	v_lshlrev_b32_e32 v0, 16, v3
	buffer_store_dword v0, off, s[0:3], s32 offset:1392 ; 4-byte Folded Spill
	v_and_b32_e32 v0, 0xffff0000, v3
	buffer_store_dword v0, off, s[0:3], s32 offset:1396 ; 4-byte Folded Spill
	ds_read_b128 v[0:3], v5 offset:80
	s_waitcnt lgkmcnt(0)
	v_lshlrev_b32_e32 v6, 16, v0
	v_and_b32_e32 v0, 0xffff0000, v0
	buffer_store_dword v6, off, s[0:3], s32 offset:1400 ; 4-byte Folded Spill
	buffer_store_dword v0, off, s[0:3], s32 offset:1404 ; 4-byte Folded Spill
	v_lshlrev_b32_e32 v0, 16, v1
	buffer_store_dword v0, off, s[0:3], s32 offset:1408 ; 4-byte Folded Spill
	v_and_b32_e32 v0, 0xffff0000, v1
	buffer_store_dword v0, off, s[0:3], s32 offset:1412 ; 4-byte Folded Spill
	v_lshlrev_b32_e32 v0, 16, v2
	buffer_store_dword v0, off, s[0:3], s32 offset:1416 ; 4-byte Folded Spill
	v_and_b32_e32 v0, 0xffff0000, v2
	buffer_store_dword v0, off, s[0:3], s32 offset:1420 ; 4-byte Folded Spill
	v_lshlrev_b32_e32 v0, 16, v3
	buffer_store_dword v0, off, s[0:3], s32 offset:1424 ; 4-byte Folded Spill
	v_and_b32_e32 v0, 0xffff0000, v3
	buffer_store_dword v0, off, s[0:3], s32 offset:1428 ; 4-byte Folded Spill
	ds_read_b128 v[0:3], v5 offset:96
	s_waitcnt lgkmcnt(0)
	v_lshlrev_b32_e32 v6, 16, v0
	v_and_b32_e32 v0, 0xffff0000, v0
	buffer_store_dword v6, off, s[0:3], s32 offset:1432 ; 4-byte Folded Spill
	buffer_store_dword v0, off, s[0:3], s32 offset:1436 ; 4-byte Folded Spill
	v_lshlrev_b32_e32 v0, 16, v1
	buffer_store_dword v0, off, s[0:3], s32 offset:1440 ; 4-byte Folded Spill
	v_and_b32_e32 v0, 0xffff0000, v1
	buffer_store_dword v0, off, s[0:3], s32 offset:1444 ; 4-byte Folded Spill
	v_lshlrev_b32_e32 v0, 16, v2
	buffer_store_dword v0, off, s[0:3], s32 offset:1448 ; 4-byte Folded Spill
	v_and_b32_e32 v0, 0xffff0000, v2
	buffer_store_dword v0, off, s[0:3], s32 offset:1452 ; 4-byte Folded Spill
	v_lshlrev_b32_e32 v0, 16, v3
	buffer_store_dword v0, off, s[0:3], s32 offset:1456 ; 4-byte Folded Spill
	v_and_b32_e32 v0, 0xffff0000, v3
	buffer_store_dword v0, off, s[0:3], s32 offset:1460 ; 4-byte Folded Spill
	ds_read_b128 v[0:3], v5 offset:112
	s_waitcnt lgkmcnt(0)
	v_lshlrev_b32_e32 v6, 16, v0
	v_and_b32_e32 v0, 0xffff0000, v0
	buffer_store_dword v6, off, s[0:3], s32 offset:1464 ; 4-byte Folded Spill
	buffer_store_dword v0, off, s[0:3], s32 offset:1468 ; 4-byte Folded Spill
	v_lshlrev_b32_e32 v0, 16, v1
	buffer_store_dword v0, off, s[0:3], s32 offset:1472 ; 4-byte Folded Spill
	v_and_b32_e32 v0, 0xffff0000, v1
	buffer_store_dword v0, off, s[0:3], s32 offset:1476 ; 4-byte Folded Spill
	v_lshlrev_b32_e32 v0, 16, v2
	buffer_store_dword v0, off, s[0:3], s32 offset:1480 ; 4-byte Folded Spill
	v_and_b32_e32 v0, 0xffff0000, v2
	buffer_store_dword v0, off, s[0:3], s32 offset:1484 ; 4-byte Folded Spill
	v_lshlrev_b32_e32 v0, 16, v3
	buffer_store_dword v0, off, s[0:3], s32 offset:1488 ; 4-byte Folded Spill
	v_and_b32_e32 v0, 0xffff0000, v3
	buffer_store_dword v0, off, s[0:3], s32 offset:1492 ; 4-byte Folded Spill
	ds_read_b128 v[0:3], v5 offset:128
	s_waitcnt lgkmcnt(0)
	v_lshlrev_b32_e32 v6, 16, v0
	v_and_b32_e32 v0, 0xffff0000, v0
	buffer_store_dword v6, off, s[0:3], s32 offset:1496 ; 4-byte Folded Spill
	buffer_store_dword v0, off, s[0:3], s32 offset:1500 ; 4-byte Folded Spill
	v_lshlrev_b32_e32 v0, 16, v1
	buffer_store_dword v0, off, s[0:3], s32 offset:1504 ; 4-byte Folded Spill
	v_and_b32_e32 v0, 0xffff0000, v1
	buffer_store_dword v0, off, s[0:3], s32 offset:1508 ; 4-byte Folded Spill
	v_lshlrev_b32_e32 v0, 16, v2
	buffer_store_dword v0, off, s[0:3], s32 offset:1512 ; 4-byte Folded Spill
	v_and_b32_e32 v0, 0xffff0000, v2
	buffer_store_dword v0, off, s[0:3], s32 offset:1516 ; 4-byte Folded Spill
	v_lshlrev_b32_e32 v0, 16, v3
	buffer_store_dword v0, off, s[0:3], s32 offset:1520 ; 4-byte Folded Spill
	v_and_b32_e32 v0, 0xffff0000, v3
	buffer_store_dword v0, off, s[0:3], s32 offset:1524 ; 4-byte Folded Spill
	ds_read_b128 v[0:3], v5 offset:144
	s_waitcnt lgkmcnt(0)
	v_lshlrev_b32_e32 v6, 16, v0
	v_and_b32_e32 v0, 0xffff0000, v0
	buffer_store_dword v6, off, s[0:3], s32 offset:1528 ; 4-byte Folded Spill
	buffer_store_dword v0, off, s[0:3], s32 offset:1532 ; 4-byte Folded Spill
	v_lshlrev_b32_e32 v0, 16, v1
	buffer_store_dword v0, off, s[0:3], s32 offset:1536 ; 4-byte Folded Spill
	v_and_b32_e32 v0, 0xffff0000, v1
	buffer_store_dword v0, off, s[0:3], s32 offset:1540 ; 4-byte Folded Spill
	v_lshlrev_b32_e32 v0, 16, v2
	buffer_store_dword v0, off, s[0:3], s32 offset:1544 ; 4-byte Folded Spill
	v_and_b32_e32 v0, 0xffff0000, v2
	buffer_store_dword v0, off, s[0:3], s32 offset:1548 ; 4-byte Folded Spill
	v_lshlrev_b32_e32 v0, 16, v3
	buffer_store_dword v0, off, s[0:3], s32 offset:1552 ; 4-byte Folded Spill
	v_and_b32_e32 v0, 0xffff0000, v3
	buffer_store_dword v0, off, s[0:3], s32 offset:1556 ; 4-byte Folded Spill
	ds_read_b128 v[0:3], v5 offset:160
	s_waitcnt lgkmcnt(0)
	v_lshlrev_b32_e32 v6, 16, v0
	v_and_b32_e32 v0, 0xffff0000, v0
	buffer_store_dword v6, off, s[0:3], s32 offset:1560 ; 4-byte Folded Spill
	buffer_store_dword v0, off, s[0:3], s32 offset:1564 ; 4-byte Folded Spill
	v_lshlrev_b32_e32 v0, 16, v1
	buffer_store_dword v0, off, s[0:3], s32 offset:1568 ; 4-byte Folded Spill
	v_and_b32_e32 v0, 0xffff0000, v1
	buffer_store_dword v0, off, s[0:3], s32 offset:1572 ; 4-byte Folded Spill
	v_lshlrev_b32_e32 v0, 16, v2
	buffer_store_dword v0, off, s[0:3], s32 offset:1576 ; 4-byte Folded Spill
	v_and_b32_e32 v0, 0xffff0000, v2
	buffer_store_dword v0, off, s[0:3], s32 offset:1580 ; 4-byte Folded Spill
	v_lshlrev_b32_e32 v0, 16, v3
	buffer_store_dword v0, off, s[0:3], s32 offset:1584 ; 4-byte Folded Spill
	v_and_b32_e32 v0, 0xffff0000, v3
	buffer_store_dword v0, off, s[0:3], s32 offset:1588 ; 4-byte Folded Spill
	ds_read_b128 v[0:3], v5 offset:176
	s_waitcnt lgkmcnt(0)
	v_lshlrev_b32_e32 v6, 16, v0
	v_and_b32_e32 v0, 0xffff0000, v0
	buffer_store_dword v6, off, s[0:3], s32 offset:1592 ; 4-byte Folded Spill
	buffer_store_dword v0, off, s[0:3], s32 offset:1596 ; 4-byte Folded Spill
	v_lshlrev_b32_e32 v0, 16, v1
	buffer_store_dword v0, off, s[0:3], s32 offset:1600 ; 4-byte Folded Spill
	v_and_b32_e32 v0, 0xffff0000, v1
	buffer_store_dword v0, off, s[0:3], s32 offset:1604 ; 4-byte Folded Spill
	v_lshlrev_b32_e32 v0, 16, v2
	buffer_store_dword v0, off, s[0:3], s32 offset:1608 ; 4-byte Folded Spill
	v_and_b32_e32 v0, 0xffff0000, v2
	buffer_store_dword v0, off, s[0:3], s32 offset:1612 ; 4-byte Folded Spill
	v_lshlrev_b32_e32 v0, 16, v3
	buffer_store_dword v0, off, s[0:3], s32 offset:1616 ; 4-byte Folded Spill
	v_and_b32_e32 v0, 0xffff0000, v3
	buffer_store_dword v0, off, s[0:3], s32 offset:1620 ; 4-byte Folded Spill
	ds_read_b128 v[0:3], v5 offset:192
	s_waitcnt lgkmcnt(0)
	v_lshlrev_b32_e32 v6, 16, v0
	v_and_b32_e32 v0, 0xffff0000, v0
	buffer_store_dword v6, off, s[0:3], s32 offset:1624 ; 4-byte Folded Spill
	buffer_store_dword v0, off, s[0:3], s32 offset:1628 ; 4-byte Folded Spill
	buffer_load_dword v0, off, s[0:3], s32 offset:1216 ; 4-byte Folded Reload
	s_waitcnt vmcnt(0)
	v_cmp_neq_f32_e32 vcc_lo, 0, v0
	v_lshlrev_b32_e32 v0, 16, v1
	buffer_store_dword v0, off, s[0:3], s32 offset:1632 ; 4-byte Folded Spill
	v_and_b32_e32 v0, 0xffff0000, v1
	buffer_store_dword v0, off, s[0:3], s32 offset:1636 ; 4-byte Folded Spill
	v_lshlrev_b32_e32 v0, 16, v2
	buffer_store_dword v0, off, s[0:3], s32 offset:1640 ; 4-byte Folded Spill
	v_and_b32_e32 v0, 0xffff0000, v2
	buffer_store_dword v0, off, s[0:3], s32 offset:1644 ; 4-byte Folded Spill
	v_lshlrev_b32_e32 v0, 16, v3
	buffer_store_dword v0, off, s[0:3], s32 offset:1648 ; 4-byte Folded Spill
	v_and_b32_e32 v0, 0xffff0000, v3
	buffer_store_dword v0, off, s[0:3], s32 offset:1652 ; 4-byte Folded Spill
	ds_read_b128 v[0:3], v5 offset:208
	s_waitcnt lgkmcnt(0)
	v_lshlrev_b32_e32 v6, 16, v0
	v_and_b32_e32 v0, 0xffff0000, v0
	buffer_store_dword v6, off, s[0:3], s32 offset:1656 ; 4-byte Folded Spill
	buffer_store_dword v0, off, s[0:3], s32 offset:1660 ; 4-byte Folded Spill
	v_lshlrev_b32_e32 v0, 16, v1
	buffer_store_dword v0, off, s[0:3], s32 offset:1664 ; 4-byte Folded Spill
	v_and_b32_e32 v0, 0xffff0000, v1
	buffer_store_dword v0, off, s[0:3], s32 offset:1668 ; 4-byte Folded Spill
	v_lshlrev_b32_e32 v0, 16, v2
	buffer_store_dword v0, off, s[0:3], s32 offset:1672 ; 4-byte Folded Spill
	v_and_b32_e32 v0, 0xffff0000, v2
	buffer_store_dword v0, off, s[0:3], s32 offset:1676 ; 4-byte Folded Spill
	v_lshlrev_b32_e32 v0, 16, v3
	buffer_store_dword v0, off, s[0:3], s32 offset:1680 ; 4-byte Folded Spill
	v_and_b32_e32 v0, 0xffff0000, v3
	buffer_store_dword v0, off, s[0:3], s32 offset:1684 ; 4-byte Folded Spill
	ds_read_b128 v[0:3], v5 offset:224
	s_waitcnt lgkmcnt(0)
	v_lshlrev_b32_e32 v6, 16, v0
	v_and_b32_e32 v0, 0xffff0000, v0
	buffer_store_dword v6, off, s[0:3], s32 offset:1688 ; 4-byte Folded Spill
	buffer_store_dword v0, off, s[0:3], s32 offset:1692 ; 4-byte Folded Spill
	;; [unrolled: 18-line block ×19, first 2 shown]
	v_lshlrev_b32_e32 v0, 16, v1
	buffer_store_dword v0, off, s[0:3], s32 offset:2240 ; 4-byte Folded Spill
	v_and_b32_e32 v0, 0xffff0000, v1
	buffer_store_dword v0, off, s[0:3], s32 offset:2244 ; 4-byte Folded Spill
	v_lshlrev_b32_e32 v0, 16, v2
	buffer_store_dword v0, off, s[0:3], s32 offset:2248 ; 4-byte Folded Spill
	v_and_b32_e32 v0, 0xffff0000, v2
	buffer_store_dword v0, off, s[0:3], s32 offset:2252 ; 4-byte Folded Spill
	;; [unrolled: 4-line block ×3, first 2 shown]
	s_clause 0x2
	buffer_load_dword v0, off, s[0:3], s32 offset:2264
	buffer_load_dword v1, off, s[0:3], s32 offset:2284
	buffer_load_dword v2, off, s[0:3], s32 offset:2288
	buffer_store_dword v18, off, s[0:3], s32 offset:2324 ; 4-byte Folded Spill
	buffer_load_dword v80, off, s[0:3], s32 offset:2272 ; 4-byte Folded Reload
	s_waitcnt vmcnt(3)
	v_lshrrev_b32_e32 v0, 3, v0
	s_waitcnt vmcnt(0)
	v_lshl_or_b32 v72, v80, 5, v4
	v_and_b32_e32 v0, 0x7c, v0
	v_add_co_u32 v0, s5, v0, v1
	v_add_co_ci_u32_e64 v1, null, 0, v2, s5
	buffer_load_dword v2, off, s[0:3], s32 offset:2280 ; 4-byte Folded Reload
	s_waitcnt vmcnt(0)
	v_add_co_u32 v2, s5, v2, v0
	buffer_load_dword v0, off, s[0:3], s32 offset:2276 ; 4-byte Folded Reload
	s_waitcnt vmcnt(0)
	v_add_co_ci_u32_e64 v3, null, v0, v1, s5
	v_lshl_or_b32 v0, v80, 7, v18
	v_add_nc_u32_e32 v62, s6, v0
	s_branch .LBB372_10
.LBB372_6:                              ;   in Loop: Header=BB372_10 Depth=1
	s_or_b32 exec_lo, exec_lo, s20
	v_mov_b32_e32 v4, 24
	v_lshl_add_u32 v16, v16, 23, 0x3c000000
	v_lshlrev_b32_sdwa v4, v4, v17 dst_sel:DWORD dst_unused:UNUSED_PAD src0_sel:DWORD src1_sel:BYTE_3
	v_lshlrev_b32_e32 v17, 20, v24
	v_and_b32_e32 v4, 0x80000000, v4
	v_or3_b32 v4, v17, v4, v16
.LBB372_7:                              ;   in Loop: Header=BB372_10 Depth=1
	s_or_b32 exec_lo, exec_lo, s19
.LBB372_8:                              ;   in Loop: Header=BB372_10 Depth=1
	s_or_b32 exec_lo, exec_lo, s17
	s_clause 0x2
	buffer_load_dword v72, off, s[0:3], s32 offset:752
	buffer_load_dword v62, off, s[0:3], s32 offset:756
	;; [unrolled: 1-line block ×3, first 2 shown]
.LBB372_9:                              ;   in Loop: Header=BB372_10 Depth=1
	s_or_b32 exec_lo, exec_lo, s6
	buffer_store_dword v4, off, s[0:3], s32 offset:1108 ; 4-byte Folded Spill
	v_mul_f32_e32 v4, v116, v60
	v_mul_f32_e32 v3, v116, v3
	;; [unrolled: 1-line block ×3, first 2 shown]
	s_waitcnt vmcnt(0)
	v_add_nc_u32_e32 v80, 4, v80
	v_bfe_u32 v16, v4, 16, 1
	v_or_b32_e32 v17, 0x400000, v4
	v_cmp_u_f32_e64 s5, v4, v4
	v_add3_u32 v16, v16, v4, 0x7fff
	v_cndmask_b32_e64 v4, v16, v17, s5
	buffer_store_dword v4, off, s[0:3], s32 offset:780 ; 4-byte Folded Spill
	v_mul_f32_e32 v4, v116, v45
	v_bfe_u32 v16, v4, 16, 1
	v_or_b32_e32 v17, 0x400000, v4
	v_cmp_u_f32_e64 s5, v4, v4
	v_add3_u32 v16, v16, v4, 0x7fff
	v_cndmask_b32_e64 v4, v16, v17, s5
	buffer_store_dword v4, off, s[0:3], s32 offset:784 ; 4-byte Folded Spill
	v_mul_f32_e32 v4, v116, v46
	;; [unrolled: 7-line block ×20, first 2 shown]
	v_bfe_u32 v14, v4, 16, 1
	v_or_b32_e32 v15, 0x400000, v4
	v_cmp_u_f32_e64 s5, v4, v4
	v_add3_u32 v14, v14, v4, 0x7fff
	v_cndmask_b32_e64 v4, v14, v15, s5
	v_or_b32_e32 v14, 0x400000, v3
	v_cmp_u_f32_e64 s5, v3, v3
	buffer_store_dword v4, off, s[0:3], s32 offset:868 ; 4-byte Folded Spill
	v_bfe_u32 v4, v3, 16, 1
	v_add3_u32 v4, v4, v3, 0x7fff
	v_cndmask_b32_e64 v3, v4, v14, s5
	buffer_store_dword v3, off, s[0:3], s32 offset:876 ; 4-byte Folded Spill
	v_mul_f32_e32 v3, v116, v113
	v_bfe_u32 v4, v3, 16, 1
	v_or_b32_e32 v14, 0x400000, v3
	v_cmp_u_f32_e64 s5, v3, v3
	v_add3_u32 v4, v4, v3, 0x7fff
	v_cndmask_b32_e64 v3, v4, v14, s5
	buffer_store_dword v3, off, s[0:3], s32 offset:864 ; 4-byte Folded Spill
	v_mul_f32_e32 v3, v116, v117
	v_bfe_u32 v4, v3, 16, 1
	v_or_b32_e32 v14, 0x400000, v3
	v_cmp_u_f32_e64 s5, v3, v3
	;; [unrolled: 7-line block ×62, first 2 shown]
	v_add3_u32 v4, v4, v3, 0x7fff
	v_cndmask_b32_e64 v3, v4, v6, s5
	v_or_b32_e32 v4, 0x400000, v0
	v_cmp_u_f32_e64 s5, v0, v0
	buffer_store_dword v3, off, s[0:3], s32 offset:1128 ; 4-byte Folded Spill
	v_bfe_u32 v3, v0, 16, 1
	v_add3_u32 v3, v3, v0, 0x7fff
	v_cndmask_b32_e64 v0, v3, v4, s5
	buffer_store_dword v0, off, s[0:3], s32 offset:1136 ; 4-byte Folded Spill
	v_mul_f32_e32 v0, v116, v76
	v_bfe_u32 v3, v0, 16, 1
	v_or_b32_e32 v4, 0x400000, v0
	v_cmp_u_f32_e64 s5, v0, v0
	v_add3_u32 v3, v3, v0, 0x7fff
	v_cndmask_b32_e64 v0, v3, v4, s5
	buffer_store_dword v0, off, s[0:3], s32 offset:1144 ; 4-byte Folded Spill
	v_mul_f32_e32 v0, v116, v37
	v_bfe_u32 v3, v0, 16, 1
	v_or_b32_e32 v4, 0x400000, v0
	v_cmp_u_f32_e64 s5, v0, v0
	v_add3_u32 v3, v3, v0, 0x7fff
	v_cndmask_b32_e64 v0, v3, v4, s5
	buffer_store_dword v0, off, s[0:3], s32 offset:1132 ; 4-byte Folded Spill
	v_mul_f32_e32 v0, v116, v9
	v_bfe_u32 v3, v0, 16, 1
	v_or_b32_e32 v4, 0x400000, v0
	v_cmp_u_f32_e64 s5, v0, v0
	v_add3_u32 v3, v3, v0, 0x7fff
	v_cndmask_b32_e64 v0, v3, v4, s5
	buffer_store_dword v0, off, s[0:3], s32 offset:1140 ; 4-byte Folded Spill
	v_mul_f32_e32 v0, v116, v89
	v_bfe_u32 v3, v0, 16, 1
	v_or_b32_e32 v4, 0x400000, v0
	v_cmp_u_f32_e64 s5, v0, v0
	v_add3_u32 v3, v3, v0, 0x7fff
	v_cndmask_b32_e64 v0, v3, v4, s5
	buffer_store_dword v0, off, s[0:3], s32 offset:1148 ; 4-byte Folded Spill
	v_mul_f32_e32 v0, v116, v2
	v_bfe_u32 v2, v0, 16, 1
	v_or_b32_e32 v3, 0x400000, v0
	v_cmp_u_f32_e64 s5, v0, v0
	v_add3_u32 v2, v2, v0, 0x7fff
	v_cndmask_b32_e64 v0, v2, v3, s5
	buffer_store_dword v0, off, s[0:3], s32 offset:1152 ; 4-byte Folded Spill
	v_mul_f32_e32 v0, v116, v111
	v_bfe_u32 v2, v0, 16, 1
	v_or_b32_e32 v3, 0x400000, v0
	v_cmp_u_f32_e64 s5, v0, v0
	v_add3_u32 v2, v2, v0, 0x7fff
	v_cndmask_b32_e64 v0, v2, v3, s5
	buffer_store_dword v0, off, s[0:3], s32 offset:1156 ; 4-byte Folded Spill
	v_mul_f32_e32 v0, v116, v109
	v_bfe_u32 v2, v0, 16, 1
	v_or_b32_e32 v3, 0x400000, v0
	v_cmp_u_f32_e64 s5, v0, v0
	v_add3_u32 v2, v2, v0, 0x7fff
	v_cndmask_b32_e64 v0, v2, v3, s5
	buffer_store_dword v0, off, s[0:3], s32 offset:1160 ; 4-byte Folded Spill
	v_mul_f32_e32 v0, v116, v8
	v_bfe_u32 v2, v0, 16, 1
	v_or_b32_e32 v3, 0x400000, v0
	v_cmp_u_f32_e64 s5, v0, v0
	v_add3_u32 v2, v2, v0, 0x7fff
	v_cndmask_b32_e64 v0, v2, v3, s5
	buffer_store_dword v0, off, s[0:3], s32 offset:1168 ; 4-byte Folded Spill
	v_mul_f32_e32 v0, v116, v7
	v_bfe_u32 v2, v0, 16, 1
	v_or_b32_e32 v3, 0x400000, v0
	v_cmp_u_f32_e64 s5, v0, v0
	v_add3_u32 v2, v2, v0, 0x7fff
	v_cndmask_b32_e64 v0, v2, v3, s5
	buffer_store_dword v0, off, s[0:3], s32 offset:1176 ; 4-byte Folded Spill
	v_mul_f32_e32 v0, v116, v67
	v_bfe_u32 v2, v0, 16, 1
	v_or_b32_e32 v3, 0x400000, v0
	v_cmp_u_f32_e64 s5, v0, v0
	v_add3_u32 v2, v2, v0, 0x7fff
	v_cndmask_b32_e64 v0, v2, v3, s5
	buffer_store_dword v0, off, s[0:3], s32 offset:1164 ; 4-byte Folded Spill
	v_mul_f32_e32 v0, v116, v58
	v_bfe_u32 v2, v0, 16, 1
	v_or_b32_e32 v3, 0x400000, v0
	v_cmp_u_f32_e64 s5, v0, v0
	v_add3_u32 v2, v2, v0, 0x7fff
	v_cndmask_b32_e64 v0, v2, v3, s5
	buffer_store_dword v0, off, s[0:3], s32 offset:1172 ; 4-byte Folded Spill
	v_mul_f32_e32 v0, v116, v1
	v_bfe_u32 v1, v0, 16, 1
	v_or_b32_e32 v2, 0x400000, v0
	v_cmp_u_f32_e64 s5, v0, v0
	v_add3_u32 v1, v1, v0, 0x7fff
	v_cndmask_b32_e64 v0, v1, v2, s5
	buffer_store_dword v0, off, s[0:3], s32 offset:1180 ; 4-byte Folded Spill
	v_mul_f32_e32 v0, v116, v79
	v_bfe_u32 v1, v0, 16, 1
	v_or_b32_e32 v2, 0x400000, v0
	v_cmp_u_f32_e64 s5, v0, v0
	v_add3_u32 v1, v1, v0, 0x7fff
	v_cndmask_b32_e64 v0, v1, v2, s5
	buffer_store_dword v0, off, s[0:3], s32 offset:1184 ; 4-byte Folded Spill
	v_mul_f32_e32 v0, v116, v74
	v_bfe_u32 v1, v0, 16, 1
	v_or_b32_e32 v2, 0x400000, v0
	v_cmp_u_f32_e64 s5, v0, v0
	v_add3_u32 v1, v1, v0, 0x7fff
	v_cndmask_b32_e64 v0, v1, v2, s5
	buffer_store_dword v0, off, s[0:3], s32 offset:1188 ; 4-byte Folded Spill
	v_mul_f32_e32 v0, v116, v18
	v_bfe_u32 v1, v0, 16, 1
	v_or_b32_e32 v2, 0x400000, v0
	v_cmp_u_f32_e64 s5, v0, v0
	v_add3_u32 v1, v1, v0, 0x7fff
	v_cndmask_b32_e64 v0, v1, v2, s5
	buffer_store_dword v0, off, s[0:3], s32 offset:1192 ; 4-byte Folded Spill
	v_mul_f32_e32 v0, v116, v107
	v_bfe_u32 v1, v0, 16, 1
	v_or_b32_e32 v2, 0x400000, v0
	v_cmp_u_f32_e64 s5, v0, v0
	v_add3_u32 v1, v1, v0, 0x7fff
	v_cndmask_b32_e64 v0, v1, v2, s5
	buffer_store_dword v0, off, s[0:3], s32 offset:1200 ; 4-byte Folded Spill
	v_mul_f32_e32 v0, v116, v105
	v_bfe_u32 v1, v0, 16, 1
	v_or_b32_e32 v2, 0x400000, v0
	v_cmp_u_f32_e64 s5, v0, v0
	v_add3_u32 v1, v1, v0, 0x7fff
	v_cndmask_b32_e64 v0, v1, v2, s5
	buffer_store_dword v0, off, s[0:3], s32 offset:1208 ; 4-byte Folded Spill
	v_mul_f32_e32 v0, v116, v108
	v_bfe_u32 v1, v0, 16, 1
	v_or_b32_e32 v2, 0x400000, v0
	v_cmp_u_f32_e64 s5, v0, v0
	v_add3_u32 v1, v1, v0, 0x7fff
	v_cndmask_b32_e64 v0, v1, v2, s5
	buffer_store_dword v0, off, s[0:3], s32 offset:1196 ; 4-byte Folded Spill
	v_mul_f32_e32 v0, v116, v110
	v_bfe_u32 v1, v0, 16, 1
	v_or_b32_e32 v2, 0x400000, v0
	v_cmp_u_f32_e64 s5, v0, v0
	v_add3_u32 v1, v1, v0, 0x7fff
	v_cndmask_b32_e64 v0, v1, v2, s5
	buffer_store_dword v0, off, s[0:3], s32 offset:1204 ; 4-byte Folded Spill
	buffer_load_dword v0, off, s[0:3], s32 offset:732 ; 4-byte Folded Reload
	s_waitcnt vmcnt(0)
	v_mul_f32_e32 v0, v116, v0
	v_bfe_u32 v1, v0, 16, 1
	v_or_b32_e32 v2, 0x400000, v0
	v_cmp_u_f32_e64 s5, v0, v0
	v_add3_u32 v1, v1, v0, 0x7fff
	v_cndmask_b32_e64 v0, v1, v2, s5
	buffer_store_dword v0, off, s[0:3], s32 offset:732 ; 4-byte Folded Spill
	buffer_load_dword v0, off, s[0:3], s32 offset:720 ; 4-byte Folded Reload
	s_waitcnt vmcnt(0)
	v_mul_f32_e32 v0, v116, v0
	v_bfe_u32 v1, v0, 16, 1
	v_or_b32_e32 v2, 0x400000, v0
	v_cmp_u_f32_e64 s5, v0, v0
	;; [unrolled: 9-line block ×30, first 2 shown]
	v_add3_u32 v1, v1, v0, 0x7fff
	buffer_load_dword v0, off, s[0:3], s32 offset:632 ; 4-byte Folded Reload
	v_cndmask_b32_e64 v61, v1, v2, s5
	s_waitcnt vmcnt(0)
	v_mul_f32_e32 v0, v116, v0
	v_bfe_u32 v1, v0, 16, 1
	v_or_b32_e32 v2, 0x400000, v0
	v_cmp_u_f32_e64 s5, v0, v0
	v_add3_u32 v1, v1, v0, 0x7fff
	v_cndmask_b32_e64 v0, v1, v2, s5
	buffer_store_dword v0, off, s[0:3], s32 offset:612 ; 4-byte Folded Spill
	buffer_load_dword v0, off, s[0:3], s32 offset:640 ; 4-byte Folded Reload
	s_waitcnt vmcnt(0)
	v_mul_f32_e32 v0, v116, v0
	v_bfe_u32 v1, v0, 16, 1
	v_or_b32_e32 v2, 0x400000, v0
	v_cmp_u_f32_e64 s5, v0, v0
	v_add3_u32 v1, v1, v0, 0x7fff
	v_cndmask_b32_e64 v0, v1, v2, s5
	buffer_store_dword v0, off, s[0:3], s32 offset:632 ; 4-byte Folded Spill
	buffer_load_dword v0, off, s[0:3], s32 offset:604 ; 4-byte Folded Reload
	s_waitcnt vmcnt(0)
	v_mul_f32_e32 v0, v116, v0
	v_bfe_u32 v1, v0, 16, 1
	v_or_b32_e32 v2, 0x400000, v0
	v_cmp_u_f32_e64 s5, v0, v0
	v_add3_u32 v1, v1, v0, 0x7fff
	buffer_load_dword v0, off, s[0:3], s32 offset:596 ; 4-byte Folded Reload
	v_cndmask_b32_e64 v59, v1, v2, s5
	s_waitcnt vmcnt(0)
	v_mul_f32_e32 v0, v116, v0
	v_bfe_u32 v1, v0, 16, 1
	v_or_b32_e32 v2, 0x400000, v0
	v_cmp_u_f32_e64 s5, v0, v0
	v_add3_u32 v1, v1, v0, 0x7fff
	buffer_load_dword v0, off, s[0:3], s32 offset:592 ; 4-byte Folded Reload
	v_cndmask_b32_e64 v57, v1, v2, s5
	;; [unrolled: 8-line block ×76, first 2 shown]
	v_and_b32_e32 v1, 0xffff0000, v1
	s_waitcnt vmcnt(0)
	v_mul_f32_e32 v0, v116, v0
	v_bfe_u32 v3, v0, 16, 1
	v_or_b32_e32 v6, 0x400000, v0
	v_cmp_u_f32_e64 s5, v0, v0
	v_add3_u32 v3, v3, v0, 0x7fff
	buffer_load_dword v0, off, s[0:3], s32 offset:292 ; 4-byte Folded Reload
	v_cndmask_b32_e64 v58, v3, v6, s5
	s_waitcnt vmcnt(0)
	v_mul_f32_e32 v0, v116, v0
	v_bfe_u32 v3, v0, 16, 1
	v_or_b32_e32 v6, 0x400000, v0
	v_cmp_u_f32_e64 s5, v0, v0
	v_add3_u32 v3, v3, v0, 0x7fff
	buffer_load_dword v0, off, s[0:3], s32 offset:312 ; 4-byte Folded Reload
	v_cndmask_b32_e64 v75, v3, v6, s5
	;; [unrolled: 8-line block ×8, first 2 shown]
	v_and_b32_e32 v20, 0xffff0000, v20
	s_waitcnt vmcnt(0)
	v_mul_f32_e32 v0, v116, v0
	v_bfe_u32 v3, v0, 16, 1
	v_or_b32_e32 v6, 0x400000, v0
	v_cmp_u_f32_e64 s5, v0, v0
	v_add3_u32 v3, v3, v0, 0x7fff
	buffer_load_dword v0, off, s[0:3], s32 offset:260 ; 4-byte Folded Reload
	v_cndmask_b32_e64 v91, v3, v6, s5
	s_waitcnt vmcnt(0)
	v_mul_f32_e32 v0, v116, v0
	v_bfe_u32 v3, v0, 16, 1
	v_or_b32_e32 v6, 0x400000, v0
	v_cmp_u_f32_e64 s5, v0, v0
	v_add3_u32 v3, v3, v0, 0x7fff
	buffer_load_dword v0, off, s[0:3], s32 offset:280 ; 4-byte Folded Reload
	v_cndmask_b32_e64 v94, v3, v6, s5
	s_waitcnt vmcnt(0)
	v_mul_f32_e32 v0, v116, v0
	v_bfe_u32 v3, v0, 16, 1
	v_or_b32_e32 v6, 0x400000, v0
	v_cmp_u_f32_e64 s5, v0, v0
	v_add3_u32 v3, v3, v0, 0x7fff
	buffer_load_dword v0, off, s[0:3], s32 offset:288 ; 4-byte Folded Reload
	v_cndmask_b32_e64 v117, v3, v6, s5
	s_waitcnt vmcnt(0)
	v_mul_f32_e32 v0, v116, v0
	v_bfe_u32 v3, v0, 16, 1
	v_or_b32_e32 v6, 0x400000, v0
	v_cmp_u_f32_e64 s5, v0, v0
	v_add3_u32 v3, v3, v0, 0x7fff
	buffer_load_dword v0, off, s[0:3], s32 offset:252 ; 4-byte Folded Reload
	v_cndmask_b32_e64 v18, v3, v6, s5
	v_and_b32_e32 v18, 0xffff0000, v18
	s_waitcnt vmcnt(0)
	v_mul_f32_e32 v0, v116, v0
	v_bfe_u32 v3, v0, 16, 1
	v_or_b32_e32 v6, 0x400000, v0
	v_cmp_u_f32_e64 s5, v0, v0
	v_add3_u32 v3, v3, v0, 0x7fff
	buffer_load_dword v0, off, s[0:3], s32 offset:244 ; 4-byte Folded Reload
	v_cndmask_b32_e64 v63, v3, v6, s5
	s_waitcnt vmcnt(0)
	v_mul_f32_e32 v0, v116, v0
	v_bfe_u32 v3, v0, 16, 1
	v_or_b32_e32 v6, 0x400000, v0
	v_cmp_u_f32_e64 s5, v0, v0
	v_add3_u32 v3, v3, v0, 0x7fff
	buffer_load_dword v0, off, s[0:3], s32 offset:240 ; 4-byte Folded Reload
	v_cndmask_b32_e64 v96, v3, v6, s5
	s_waitcnt vmcnt(0)
	v_mul_f32_e32 v0, v116, v0
	v_bfe_u32 v3, v0, 16, 1
	v_or_b32_e32 v6, 0x400000, v0
	v_cmp_u_f32_e64 s5, v0, v0
	v_add3_u32 v3, v3, v0, 0x7fff
	buffer_load_dword v0, off, s[0:3], s32 offset:236 ; 4-byte Folded Reload
	v_cndmask_b32_e64 v85, v3, v6, s5
	s_waitcnt vmcnt(0)
	v_mul_f32_e32 v0, v116, v0
	v_bfe_u32 v3, v0, 16, 1
	v_or_b32_e32 v6, 0x400000, v0
	v_cmp_u_f32_e64 s5, v0, v0
	v_add3_u32 v3, v3, v0, 0x7fff
	buffer_load_dword v0, off, s[0:3], s32 offset:232 ; 4-byte Folded Reload
	v_cndmask_b32_e64 v33, v3, v6, s5
	;; [unrolled: 33-line block ×3, first 2 shown]
	s_waitcnt vmcnt(0)
	v_mul_f32_e32 v0, v116, v0
	v_bfe_u32 v3, v0, 16, 1
	v_or_b32_e32 v6, 0x400000, v0
	v_cmp_u_f32_e64 s5, v0, v0
	v_add3_u32 v3, v3, v0, 0x7fff
	buffer_load_dword v0, off, s[0:3], s32 offset:212 ; 4-byte Folded Reload
	v_cndmask_b32_e64 v6, v3, v6, s5
	v_and_b32_e32 v6, 0xffff0000, v6
	s_waitcnt vmcnt(0)
	v_mul_f32_e32 v0, v116, v0
	v_bfe_u32 v3, v0, 16, 1
	v_or_b32_e32 v9, 0x400000, v0
	v_cmp_u_f32_e64 s5, v0, v0
	v_add3_u32 v3, v3, v0, 0x7fff
	buffer_load_dword v0, off, s[0:3], s32 offset:208 ; 4-byte Folded Reload
	v_cndmask_b32_e64 v3, v3, v9, s5
	v_and_b32_e32 v3, 0xffff0000, v3
	;; [unrolled: 9-line block ×4, first 2 shown]
	s_waitcnt vmcnt(0)
	v_mul_f32_e32 v0, v116, v0
	v_bfe_u32 v37, v0, 16, 1
	v_or_b32_e32 v60, 0x400000, v0
	v_cmp_u_f32_e64 s5, v0, v0
	v_add3_u32 v37, v37, v0, 0x7fff
	v_mul_f32_e32 v0, v116, v19
	v_cndmask_b32_e64 v37, v37, v60, s5
	v_bfe_u32 v60, v0, 16, 1
	v_or_b32_e32 v19, 0x400000, v0
	v_cmp_u_f32_e64 s5, v0, v0
	v_and_b32_e32 v37, 0xffff0000, v37
	v_add3_u32 v60, v60, v0, 0x7fff
	buffer_load_dword v0, off, s[0:3], s32 offset:216 ; 4-byte Folded Reload
	v_cndmask_b32_e64 v60, v60, v19, s5
	s_waitcnt vmcnt(0)
	v_mul_f32_e32 v0, v116, v0
	v_bfe_u32 v19, v0, 16, 1
	v_or_b32_e32 v92, 0x400000, v0
	v_cmp_u_f32_e64 s5, v0, v0
	v_add3_u32 v19, v19, v0, 0x7fff
	buffer_load_dword v0, off, s[0:3], s32 offset:224 ; 4-byte Folded Reload
	v_cndmask_b32_e64 v43, v19, v92, s5
	s_waitcnt vmcnt(0)
	v_mul_f32_e32 v0, v116, v0
	v_bfe_u32 v19, v0, 16, 1
	v_or_b32_e32 v92, 0x400000, v0
	v_cmp_u_f32_e64 s5, v0, v0
	v_add3_u32 v19, v19, v0, 0x7fff
	v_mul_f32_e32 v0, v116, v98
	v_cndmask_b32_e64 v40, v19, v92, s5
	v_bfe_u32 v19, v0, 16, 1
	v_or_b32_e32 v92, 0x400000, v0
	v_cmp_u_f32_e64 s5, v0, v0
	v_add3_u32 v19, v19, v0, 0x7fff
	v_mul_f32_e32 v0, v116, v87
	v_cndmask_b32_e64 v49, v19, v92, s5
	v_bfe_u32 v19, v0, 16, 1
	v_or_b32_e32 v92, 0x400000, v0
	v_cmp_u_f32_e64 s5, v0, v0
	v_add3_u32 v19, v19, v0, 0x7fff
	v_mul_f32_e32 v0, v116, v82
	v_cndmask_b32_e64 v65, v19, v92, s5
	v_bfe_u32 v19, v0, 16, 1
	v_or_b32_e32 v92, 0x400000, v0
	v_cmp_u_f32_e64 s5, v0, v0
	v_add3_u32 v19, v19, v0, 0x7fff
	v_mul_f32_e32 v0, v116, v83
	v_cndmask_b32_e64 v98, v19, v92, s5
	v_bfe_u32 v19, v0, 16, 1
	v_or_b32_e32 v92, 0x400000, v0
	v_cmp_u_f32_e64 s5, v0, v0
	v_add3_u32 v19, v19, v0, 0x7fff
	v_mul_f32_e32 v0, v116, v86
	v_cndmask_b32_e64 v102, v19, v92, s5
	v_bfe_u32 v19, v0, 16, 1
	v_or_b32_e32 v92, 0x400000, v0
	v_cmp_u_f32_e64 s5, v0, v0
	v_add3_u32 v19, v19, v0, 0x7fff
	v_mul_f32_e32 v0, v116, v26
	v_cndmask_b32_e64 v86, v19, v92, s5
	v_bfe_u32 v19, v0, 16, 1
	v_or_b32_e32 v92, 0x400000, v0
	v_cmp_u_f32_e64 s5, v0, v0
	v_add3_u32 v19, v19, v0, 0x7fff
	buffer_load_dword v0, off, s[0:3], s32 offset:772 ; 4-byte Folded Reload
	v_cndmask_b32_e64 v24, v19, v92, s5
	s_waitcnt vmcnt(0)
	v_mul_f32_e32 v0, v116, v0
	v_bfe_u32 v19, v0, 16, 1
	v_or_b32_e32 v92, 0x400000, v0
	v_cmp_u_f32_e64 s5, v0, v0
	v_add3_u32 v19, v19, v0, 0x7fff
	buffer_load_dword v0, off, s[0:3], s32 offset:776 ; 4-byte Folded Reload
	v_cndmask_b32_e64 v87, v19, v92, s5
	s_waitcnt vmcnt(0)
	v_mul_f32_e32 v0, v116, v0
	v_bfe_u32 v19, v0, 16, 1
	v_or_b32_e32 v92, 0x400000, v0
	v_cmp_u_f32_e64 s5, v0, v0
	v_add3_u32 v19, v19, v0, 0x7fff
	v_mul_f32_e32 v0, v116, v106
	v_cndmask_b32_e64 v83, v19, v92, s5
	v_bfe_u32 v19, v0, 16, 1
	v_or_b32_e32 v92, 0x400000, v0
	v_cmp_u_f32_e64 s5, v0, v0
	v_add3_u32 v19, v19, v0, 0x7fff
	v_mul_f32_e32 v0, v116, v95
	v_cndmask_b32_e64 v106, v19, v92, s5
	;; [unrolled: 6-line block ×4, first 2 shown]
	v_bfe_u32 v19, v0, 16, 1
	v_or_b32_e32 v92, 0x400000, v0
	v_cmp_u_f32_e64 s5, v0, v0
	v_add3_u32 v19, v19, v0, 0x7fff
	buffer_load_dword v0, off, s[0:3], s32 offset:744 ; 4-byte Folded Reload
	v_cndmask_b32_e64 v93, v19, v92, s5
	s_waitcnt vmcnt(0)
	v_mul_f32_e32 v0, v116, v0
	v_bfe_u32 v19, v0, 16, 1
	v_or_b32_e32 v92, 0x400000, v0
	v_cmp_u_f32_e64 s5, v0, v0
	v_add3_u32 v19, v19, v0, 0x7fff
	buffer_load_dword v0, off, s[0:3], s32 offset:740 ; 4-byte Folded Reload
	v_cndmask_b32_e64 v92, v19, v92, s5
	s_waitcnt vmcnt(0)
	v_mul_f32_e32 v0, v116, v0
	v_bfe_u32 v19, v0, 16, 1
	v_or_b32_e32 v26, 0x400000, v0
	v_cmp_u_f32_e64 s5, v0, v0
	v_add3_u32 v19, v19, v0, 0x7fff
	v_cndmask_b32_e64 v0, v19, v26, s5
	s_clause 0x1
	buffer_load_dword v19, off, s[0:3], s32 offset:1028
	buffer_load_dword v26, off, s[0:3], s32 offset:1108
	v_and_b32_e32 v0, 0xffff0000, v0
	s_waitcnt vmcnt(1)
	v_mul_f32_e32 v19, v116, v19
	s_waitcnt vmcnt(0)
	v_mul_f32_e32 v26, v116, v26
	v_bfe_u32 v116, v19, 16, 1
	v_or_b32_e32 v82, 0x400000, v19
	v_cmp_u_f32_e64 s5, v19, v19
	v_add3_u32 v116, v116, v19, 0x7fff
	v_cndmask_b32_e64 v19, v116, v82, s5
	v_bfe_u32 v82, v26, 16, 1
	v_or_b32_e32 v116, 0x400000, v26
	v_cmp_u_f32_e64 s5, v26, v26
	v_add3_u32 v82, v82, v26, 0x7fff
	v_cndmask_b32_e64 v26, v82, v116, s5
	v_and_b32_e32 v116, 0xffff0000, v24
	buffer_load_dword v24, off, s[0:3], s32 offset:1272 ; 4-byte Folded Reload
	v_and_b32_e32 v82, 0xffff0000, v60
	s_waitcnt vmcnt(0)
	v_mul_f32_e32 v24, v24, v82
	buffer_load_dword v82, off, s[0:3], s32 offset:1240 ; 4-byte Folded Reload
	s_waitcnt vmcnt(0)
	v_fmac_f32_e32 v24, v82, v116
	v_and_b32_e32 v82, 0xffff0000, v86
	buffer_load_dword v86, off, s[0:3], s32 offset:1276 ; 4-byte Folded Reload
	s_waitcnt vmcnt(0)
	v_mul_f32_e32 v116, v86, v37
	buffer_load_dword v37, off, s[0:3], s32 offset:1244 ; 4-byte Folded Reload
	s_waitcnt vmcnt(0)
	v_fmac_f32_e32 v116, v37, v82
	buffer_load_dword v82, off, s[0:3], s32 offset:1280 ; 4-byte Folded Reload
	v_and_b32_e32 v37, 0xffff0000, v102
	s_waitcnt vmcnt(0)
	v_mul_f32_e32 v10, v82, v10
	buffer_load_dword v82, off, s[0:3], s32 offset:1248 ; 4-byte Folded Reload
	s_waitcnt vmcnt(0)
	v_fmac_f32_e32 v10, v82, v37
	buffer_load_dword v37, off, s[0:3], s32 offset:1284 ; 4-byte Folded Reload
	v_and_b32_e32 v82, 0xffff0000, v98
	s_waitcnt vmcnt(0)
	v_mul_f32_e32 v37, v37, v9
	buffer_load_dword v9, off, s[0:3], s32 offset:1252 ; 4-byte Folded Reload
	s_waitcnt vmcnt(0)
	v_fmac_f32_e32 v37, v9, v82
	v_and_b32_e32 v9, 0xffff0000, v65
	buffer_load_dword v65, off, s[0:3], s32 offset:1288 ; 4-byte Folded Reload
	s_waitcnt vmcnt(0)
	v_mul_f32_e32 v3, v65, v3
	buffer_load_dword v65, off, s[0:3], s32 offset:1256 ; 4-byte Folded Reload
	s_waitcnt vmcnt(0)
	v_fmac_f32_e32 v3, v65, v9
	v_and_b32_e32 v9, 0xffff0000, v49
	s_clause 0x1
	buffer_load_dword v49, off, s[0:3], s32 offset:1292
	buffer_load_dword v65, off, s[0:3], s32 offset:1300
	s_waitcnt vmcnt(1)
	v_mul_f32_e32 v60, v49, v6
	s_clause 0x1
	buffer_load_dword v6, off, s[0:3], s32 offset:1260
	buffer_load_dword v49, off, s[0:3], s32 offset:1296
	s_waitcnt vmcnt(1)
	v_fmac_f32_e32 v60, v6, v9
	v_and_b32_e32 v6, 0xffff0000, v43
	v_and_b32_e32 v9, 0xffff0000, v87
	s_waitcnt vmcnt(0)
	v_mul_f32_e32 v6, v49, v6
	buffer_load_dword v49, off, s[0:3], s32 offset:1264 ; 4-byte Folded Reload
	s_waitcnt vmcnt(0)
	v_fmac_f32_e32 v6, v49, v9
	v_and_b32_e32 v9, 0xffff0000, v40
	v_and_b32_e32 v49, 0xffff0000, v83
	v_mul_f32_e32 v9, v65, v9
	buffer_load_dword v65, off, s[0:3], s32 offset:1268 ; 4-byte Folded Reload
	s_waitcnt vmcnt(0)
	v_fmac_f32_e32 v9, v65, v49
	buffer_load_dword v65, off, s[0:3], s32 offset:1304 ; 4-byte Folded Reload
	v_and_b32_e32 v49, 0xffff0000, v42
	s_waitcnt vmcnt(0)
	v_fmac_f32_e32 v24, v65, v49
	buffer_load_dword v65, off, s[0:3], s32 offset:1308 ; 4-byte Folded Reload
	v_and_b32_e32 v49, 0xffff0000, v118
	s_waitcnt vmcnt(0)
	v_fmac_f32_e32 v116, v65, v49
	buffer_load_dword v49, off, s[0:3], s32 offset:1312 ; 4-byte Folded Reload
	s_waitcnt vmcnt(0)
	v_fmac_f32_e32 v10, v49, v33
	buffer_load_dword v49, off, s[0:3], s32 offset:1316 ; 4-byte Folded Reload
	v_and_b32_e32 v33, 0xffff0000, v85
	s_waitcnt vmcnt(0)
	v_fmac_f32_e32 v37, v49, v33
	buffer_load_dword v49, off, s[0:3], s32 offset:1320 ; 4-byte Folded Reload
	v_and_b32_e32 v33, 0xffff0000, v96
	;; [unrolled: 4-line block ×7, first 2 shown]
	s_waitcnt vmcnt(0)
	v_fmac_f32_e32 v116, v49, v33
	buffer_load_dword v33, off, s[0:3], s32 offset:1344 ; 4-byte Folded Reload
	s_waitcnt vmcnt(0)
	v_fmac_f32_e32 v10, v33, v20
	v_and_b32_e32 v20, 0xffff0000, v21
	buffer_load_dword v21, off, s[0:3], s32 offset:1348 ; 4-byte Folded Reload
	s_waitcnt vmcnt(0)
	v_fmac_f32_e32 v37, v21, v20
	buffer_load_dword v21, off, s[0:3], s32 offset:1352 ; 4-byte Folded Reload
	v_and_b32_e32 v20, 0xffff0000, v90
	s_waitcnt vmcnt(0)
	v_fmac_f32_e32 v3, v21, v20
	buffer_load_dword v21, off, s[0:3], s32 offset:1356 ; 4-byte Folded Reload
	v_and_b32_e32 v20, 0xffff0000, v74
	;; [unrolled: 4-line block ×3, first 2 shown]
	s_waitcnt vmcnt(0)
	v_fmac_f32_e32 v6, v21, v20
	buffer_load_dword v20, off, s[0:3], s32 offset:1364 ; 4-byte Folded Reload
	s_waitcnt vmcnt(0)
	v_fmac_f32_e32 v9, v20, v18
	buffer_load_dword v20, off, s[0:3], s32 offset:1368 ; 4-byte Folded Reload
	v_and_b32_e32 v18, 0xffff0000, v75
	s_waitcnt vmcnt(0)
	v_fmac_f32_e32 v24, v20, v18
	buffer_load_dword v20, off, s[0:3], s32 offset:1372 ; 4-byte Folded Reload
	v_and_b32_e32 v18, 0xffff0000, v58
	s_waitcnt vmcnt(0)
	v_fmac_f32_e32 v116, v20, v18
	buffer_load_dword v18, off, s[0:3], s32 offset:1376 ; 4-byte Folded Reload
	s_waitcnt vmcnt(0)
	v_fmac_f32_e32 v10, v18, v1
	buffer_load_dword v18, off, s[0:3], s32 offset:1380 ; 4-byte Folded Reload
	v_and_b32_e32 v1, 0xffff0000, v89
	s_waitcnt vmcnt(0)
	v_fmac_f32_e32 v37, v18, v1
	buffer_load_dword v18, off, s[0:3], s32 offset:1384 ; 4-byte Folded Reload
	v_and_b32_e32 v1, 0xffff0000, v113
	;; [unrolled: 4-line block ×24, first 2 shown]
	s_waitcnt vmcnt(0)
	v_fmac_f32_e32 v10, v18, v1
	v_and_b32_e32 v1, 0xffff0000, v8
	buffer_load_dword v8, off, s[0:3], s32 offset:1476 ; 4-byte Folded Reload
	s_waitcnt vmcnt(0)
	v_fmac_f32_e32 v37, v8, v1
	buffer_load_dword v8, off, s[0:3], s32 offset:1480 ; 4-byte Folded Reload
	v_and_b32_e32 v1, 0xffff0000, v67
	s_waitcnt vmcnt(0)
	v_fmac_f32_e32 v3, v8, v1
	buffer_load_dword v8, off, s[0:3], s32 offset:1484 ; 4-byte Folded Reload
	v_and_b32_e32 v1, 0xffff0000, v23
	s_waitcnt vmcnt(0)
	v_fmac_f32_e32 v60, v8, v1
	v_and_b32_e32 v1, 0xffff0000, v7
	buffer_load_dword v7, off, s[0:3], s32 offset:1488 ; 4-byte Folded Reload
	s_waitcnt vmcnt(0)
	v_fmac_f32_e32 v6, v7, v1
	buffer_load_dword v7, off, s[0:3], s32 offset:1492 ; 4-byte Folded Reload
	v_and_b32_e32 v1, 0xffff0000, v88
	s_waitcnt vmcnt(0)
	v_fmac_f32_e32 v9, v7, v1
	v_and_b32_e32 v1, 0xffff0000, v2
	s_clause 0x1
	buffer_load_dword v2, off, s[0:3], s32 offset:1496
	buffer_load_dword v7, off, s[0:3], s32 offset:768
	s_waitcnt vmcnt(1)
	v_fmac_f32_e32 v24, v2, v1
	buffer_load_dword v2, off, s[0:3], s32 offset:1500 ; 4-byte Folded Reload
	v_and_b32_e32 v1, 0xffff0000, v56
	s_waitcnt vmcnt(0)
	v_fmac_f32_e32 v116, v2, v1
	buffer_load_dword v2, off, s[0:3], s32 offset:1504 ; 4-byte Folded Reload
	v_and_b32_e32 v1, 0xffff0000, v25
	;; [unrolled: 4-line block ×48, first 2 shown]
	s_waitcnt vmcnt(0)
	v_fmac_f32_e32 v24, v2, v1
	s_clause 0x1
	buffer_load_dword v1, off, s[0:3], s32 offset:616
	buffer_load_dword v2, off, s[0:3], s32 offset:1692
	s_waitcnt vmcnt(1)
	v_and_b32_e32 v1, 0xffff0000, v1
	s_waitcnt vmcnt(0)
	v_fmac_f32_e32 v116, v2, v1
	s_clause 0x1
	buffer_load_dword v1, off, s[0:3], s32 offset:620
	buffer_load_dword v2, off, s[0:3], s32 offset:1696
	s_waitcnt vmcnt(1)
	v_and_b32_e32 v1, 0xffff0000, v1
	;; [unrolled: 7-line block ×135, first 2 shown]
	s_waitcnt vmcnt(0)
	v_fmac_f32_e32 v9, v2, v1
	s_clause 0x1
	buffer_load_dword v1, off, s[0:3], s32 offset:2232
	buffer_load_dword v2, off, s[0:3], s32 offset:2244
	s_waitcnt vmcnt(1)
	v_fmac_f32_e32 v24, v1, v0
	buffer_load_dword v1, off, s[0:3], s32 offset:2236 ; 4-byte Folded Reload
	v_and_b32_e32 v0, 0xffff0000, v92
	s_waitcnt vmcnt(0)
	v_fmac_f32_e32 v116, v1, v0
	buffer_load_dword v1, off, s[0:3], s32 offset:2240 ; 4-byte Folded Reload
	v_and_b32_e32 v0, 0xffff0000, v93
	s_waitcnt vmcnt(0)
	v_fmac_f32_e32 v10, v1, v0
	v_and_b32_e32 v1, 0xffff0000, v104
	v_add_f32_e32 v0, v24, v116
	v_fmac_f32_e32 v37, v2, v1
	buffer_load_dword v2, off, s[0:3], s32 offset:2248 ; 4-byte Folded Reload
	v_and_b32_e32 v1, 0xffff0000, v95
	v_add_f32_e32 v0, v0, v10
	v_add_f32_e32 v0, v37, v0
	s_waitcnt vmcnt(0)
	v_fmac_f32_e32 v3, v2, v1
	buffer_load_dword v2, off, s[0:3], s32 offset:2252 ; 4-byte Folded Reload
	v_and_b32_e32 v1, 0xffff0000, v106
	v_add_f32_e32 v0, v3, v0
	buffer_load_dword v3, off, s[0:3], s32 offset:1216 ; 4-byte Folded Reload
	s_waitcnt vmcnt(1)
	v_fmac_f32_e32 v60, v2, v1
	buffer_load_dword v2, off, s[0:3], s32 offset:2256 ; 4-byte Folded Reload
	v_and_b32_e32 v1, 0xffff0000, v19
	v_add_f32_e32 v0, v60, v0
	s_waitcnt vmcnt(0)
	v_fmac_f32_e32 v6, v2, v1
	buffer_load_dword v2, off, s[0:3], s32 offset:2260 ; 4-byte Folded Reload
	v_and_b32_e32 v1, 0xffff0000, v26
	v_add_f32_e32 v0, v6, v0
	s_waitcnt vmcnt(0)
	v_fmac_f32_e32 v9, v2, v1
	buffer_load_dword v2, off, s[0:3], s32 offset:192 ; 4-byte Folded Reload
	v_add_f32_e32 v0, v9, v0
	s_waitcnt vmcnt(0)
	v_sub_nc_u32_e32 v1, 1, v2
	v_cmp_lt_i32_e64 s5, v72, v2
	v_add_nc_u32_e32 v1, v1, v72
	v_add_nc_u32_e32 v72, 0x80, v72
	v_cvt_f32_i32_e32 v1, v1
	v_mul_f32_e32 v1, v3, v1
	buffer_load_dword v3, off, s[0:3], s32 offset:1228 ; 4-byte Folded Reload
	v_cndmask_b32_e32 v1, 0, v1, vcc_lo
	s_waitcnt vmcnt(0)
	v_fmac_f32_e32 v1, v3, v0
	v_max_f32_e32 v0, v7, v7
	v_max_f32_e32 v0, v0, v1
	v_cndmask_b32_e64 v1, 0, v1, s5
	v_cndmask_b32_e64 v7, v7, v0, s5
	ds_write_b32 v62, v1
	s_clause 0x2
	buffer_load_dword v0, off, s[0:3], s32 offset:196
	buffer_load_dword v2, off, s[0:3], s32 offset:760
	;; [unrolled: 1-line block ×3, first 2 shown]
	v_add_nc_u32_e32 v62, 0x200, v62
	s_waitcnt vmcnt(2)
	v_cmp_ge_i32_e64 s5, v80, v0
	s_waitcnt vmcnt(1)
	v_add_co_u32 v2, s6, v2, 16
	s_waitcnt vmcnt(0)
	v_add_co_ci_u32_e64 v3, null, 0, v3, s6
	s_or_b32 s18, s5, s18
	s_andn2_b32 exec_lo, exec_lo, s18
	s_cbranch_execz .LBB372_2055
.LBB372_10:                             ; =>This Inner Loop Header: Depth=1
	buffer_store_dword v62, off, s[0:3], s32 offset:756 ; 4-byte Folded Spill
	buffer_store_dword v72, off, s[0:3], s32 offset:752 ; 4-byte Folded Spill
	;; [unrolled: 1-line block ×6, first 2 shown]
	v_mov_b32_e32 v80, 0
	flat_load_dword v0, v[2:3]
	s_clause 0x2
	buffer_load_dword v1, off, s[0:3], s32 offset:840
	buffer_load_dword v2, off, s[0:3], s32 offset:1232
	;; [unrolled: 1-line block ×3, first 2 shown]
	s_waitcnt vmcnt(0) lgkmcnt(0)
	v_mad_i64_i32 v[16:17], null, v0, v1, v[2:3]
	flat_load_dwordx2 v[24:25], v[16:17]
	s_clause 0x1
	buffer_load_dword v0, off, s[0:3], s32 offset:1220
	buffer_load_dword v1, off, s[0:3], s32 offset:1224
	s_waitcnt vmcnt(2) lgkmcnt(0)
	v_cmp_ne_u16_sdwa s5, v24, v5 src0_sel:BYTE_0 src1_sel:DWORD
	s_waitcnt vmcnt(0)
	flat_load_dword v116, v[0:1]
	s_and_saveexec_b32 s6, s5
	s_cbranch_execz .LBB372_18
; %bb.11:                               ;   in Loop: Header=BB372_10 Depth=1
	v_cmp_ne_u16_sdwa s5, v24, v71 src0_sel:BYTE_0 src1_sel:DWORD
	v_bfrev_b32_e32 v80, 1
	s_and_saveexec_b32 s17, s5
	s_cbranch_execz .LBB372_17
; %bb.12:                               ;   in Loop: Header=BB372_10 Depth=1
	v_and_b32_e32 v1, 0x7f, v24
	v_mov_b32_e32 v80, 0x7f800001
	s_mov_b32 s19, exec_lo
	v_cmpx_ne_u32_e32 0x7f, v1
	s_cbranch_execz .LBB372_16
; %bb.13:                               ;   in Loop: Header=BB372_10 Depth=1
	v_mov_b32_e32 v27, v25
	v_lshrrev_b32_e32 v0, 3, v1
	v_mov_b32_e32 v26, v24
	s_mov_b32 s20, exec_lo
	v_cmpx_gt_u32_e32 8, v1
; %bb.14:                               ;   in Loop: Header=BB372_10 Depth=1
	v_and_b32_e32 v0, 7, v24
	v_ffbh_u32_e32 v0, v0
	v_min_u32_e32 v0, 32, v0
	v_subrev_nc_u32_e32 v1, 28, v0
	v_sub_nc_u32_e32 v0, 29, v0
	v_lshlrev_b64 v[26:27], v1, v[24:25]
; %bb.15:                               ;   in Loop: Header=BB372_10 Depth=1
	s_or_b32 exec_lo, exec_lo, s20
	v_lshlrev_b32_e32 v1, 20, v26
	v_lshlrev_b32_e32 v2, 24, v24
	v_lshl_add_u32 v0, v0, 23, 0x3c000000
	v_and_b32_e32 v1, 0x700000, v1
	v_and_b32_e32 v2, 0x80000000, v2
	v_or3_b32 v80, v1, v2, v0
.LBB372_16:                             ;   in Loop: Header=BB372_10 Depth=1
	s_or_b32 exec_lo, exec_lo, s19
.LBB372_17:                             ;   in Loop: Header=BB372_10 Depth=1
	s_or_b32 exec_lo, exec_lo, s17
.LBB372_18:                             ;   in Loop: Header=BB372_10 Depth=1
	s_or_b32 exec_lo, exec_lo, s6
	v_cmp_ne_u16_sdwa s5, v24, v5 src0_sel:BYTE_1 src1_sel:DWORD
	v_mov_b32_e32 v83, 0
	v_mov_b32_e32 v62, 0
	s_and_saveexec_b32 s6, s5
	s_cbranch_execz .LBB372_26
; %bb.19:                               ;   in Loop: Header=BB372_10 Depth=1
	v_cmp_ne_u16_sdwa s5, v24, v71 src0_sel:BYTE_1 src1_sel:DWORD
	v_bfrev_b32_e32 v62, 1
	s_and_saveexec_b32 s17, s5
	s_cbranch_execz .LBB372_25
; %bb.20:                               ;   in Loop: Header=BB372_10 Depth=1
	v_mov_b32_e32 v0, 0xffff
	v_mov_b32_e32 v62, 0x7f800001
	s_mov_b32 s19, exec_lo
	v_and_b32_sdwa v0, v0, v24 dst_sel:DWORD dst_unused:UNUSED_PAD src0_sel:DWORD src1_sel:BYTE_1
	v_and_b32_e32 v1, 0x7f, v0
	v_cmpx_ne_u32_e32 0x7f, v1
	s_cbranch_execz .LBB372_24
; %bb.21:                               ;   in Loop: Header=BB372_10 Depth=1
	v_and_b32_e32 v4, 7, v0
	v_mov_b32_e32 v27, v5
	v_lshrrev_b32_e32 v0, 3, v1
	s_mov_b32 s20, exec_lo
	v_mov_b32_e32 v26, v4
	v_cmpx_gt_u32_e32 8, v1
; %bb.22:                               ;   in Loop: Header=BB372_10 Depth=1
	v_ffbh_u32_e32 v0, v4
	v_min_u32_e32 v0, 32, v0
	v_subrev_nc_u32_e32 v1, 28, v0
	v_sub_nc_u32_e32 v0, 29, v0
	v_lshlrev_b64 v[1:2], v1, v[4:5]
	v_and_b32_e32 v26, 7, v1
; %bb.23:                               ;   in Loop: Header=BB372_10 Depth=1
	s_or_b32 exec_lo, exec_lo, s20
	v_lshlrev_b32_e32 v1, 16, v24
	v_lshlrev_b32_e32 v2, 20, v26
	v_lshl_add_u32 v0, v0, 23, 0x3c000000
	v_and_b32_e32 v1, 0x80000000, v1
	v_or3_b32 v62, v2, v1, v0
.LBB372_24:                             ;   in Loop: Header=BB372_10 Depth=1
	s_or_b32 exec_lo, exec_lo, s19
.LBB372_25:                             ;   in Loop: Header=BB372_10 Depth=1
	s_or_b32 exec_lo, exec_lo, s17
.LBB372_26:                             ;   in Loop: Header=BB372_10 Depth=1
	s_or_b32 exec_lo, exec_lo, s6
	v_mov_b32_e32 v0, 0xff
	s_mov_b32 s6, exec_lo
	v_and_b32_sdwa v0, v24, v0 dst_sel:DWORD dst_unused:UNUSED_PAD src0_sel:WORD_1 src1_sel:DWORD
	v_cmpx_ne_u16_e32 0, v0
	s_cbranch_execz .LBB372_34
; %bb.27:                               ;   in Loop: Header=BB372_10 Depth=1
	v_bfrev_b32_e32 v83, 1
	s_mov_b32 s17, exec_lo
	v_cmpx_ne_u16_e32 0x80, v0
	s_cbranch_execz .LBB372_33
; %bb.28:                               ;   in Loop: Header=BB372_10 Depth=1
	v_bfe_u32 v1, v24, 16, 7
	v_mov_b32_e32 v83, 0x7f800001
	s_mov_b32 s19, exec_lo
	v_cmpx_ne_u32_e32 0x7f, v1
	s_cbranch_execz .LBB372_32
; %bb.29:                               ;   in Loop: Header=BB372_10 Depth=1
	v_mov_b32_e32 v0, 7
	s_mov_b32 s20, exec_lo
	v_and_b32_sdwa v4, v24, v0 dst_sel:DWORD dst_unused:UNUSED_PAD src0_sel:WORD_1 src1_sel:DWORD
	v_mov_b32_e32 v27, v5
	v_lshrrev_b32_e32 v0, 3, v1
	v_mov_b32_e32 v26, v4
	v_cmpx_gt_u32_e32 8, v1
; %bb.30:                               ;   in Loop: Header=BB372_10 Depth=1
	v_ffbh_u32_e32 v0, v4
	v_min_u32_e32 v0, 32, v0
	v_subrev_nc_u32_e32 v1, 28, v0
	v_sub_nc_u32_e32 v0, 29, v0
	v_lshlrev_b64 v[1:2], v1, v[4:5]
	v_and_b32_e32 v26, 7, v1
; %bb.31:                               ;   in Loop: Header=BB372_10 Depth=1
	s_or_b32 exec_lo, exec_lo, s20
	v_mov_b32_e32 v1, 24
	v_lshlrev_b32_e32 v2, 20, v26
	v_lshl_add_u32 v0, v0, 23, 0x3c000000
	v_lshlrev_b32_sdwa v1, v1, v24 dst_sel:DWORD dst_unused:UNUSED_PAD src0_sel:DWORD src1_sel:WORD_1
	v_and_b32_e32 v1, 0x80000000, v1
	v_or3_b32 v83, v2, v1, v0
.LBB372_32:                             ;   in Loop: Header=BB372_10 Depth=1
	s_or_b32 exec_lo, exec_lo, s19
.LBB372_33:                             ;   in Loop: Header=BB372_10 Depth=1
	s_or_b32 exec_lo, exec_lo, s17
.LBB372_34:                             ;   in Loop: Header=BB372_10 Depth=1
	s_or_b32 exec_lo, exec_lo, s6
	v_mov_b32_e32 v87, 0
	v_mov_b32_e32 v82, 0
	s_mov_b32 s6, exec_lo
	v_cmpx_lt_u32_e32 0xffffff, v24
	s_cbranch_execz .LBB372_42
; %bb.35:                               ;   in Loop: Header=BB372_10 Depth=1
	v_cmp_ne_u32_sdwa s5, v24, v71 src0_sel:BYTE_3 src1_sel:DWORD
	v_bfrev_b32_e32 v82, 1
	s_and_saveexec_b32 s17, s5
	s_cbranch_execz .LBB372_41
; %bb.36:                               ;   in Loop: Header=BB372_10 Depth=1
	v_bfe_u32 v1, v24, 24, 7
	v_mov_b32_e32 v82, 0x7f800001
	s_mov_b32 s19, exec_lo
	v_cmpx_ne_u32_e32 0x7f, v1
	s_cbranch_execz .LBB372_40
; %bb.37:                               ;   in Loop: Header=BB372_10 Depth=1
	v_mov_b32_e32 v0, 7
	s_mov_b32 s20, exec_lo
	v_and_b32_sdwa v4, v24, v0 dst_sel:DWORD dst_unused:UNUSED_PAD src0_sel:BYTE_3 src1_sel:DWORD
	v_mov_b32_e32 v27, v5
	v_lshrrev_b32_e32 v0, 3, v1
	v_mov_b32_e32 v26, v4
	v_cmpx_gt_u32_e32 8, v1
; %bb.38:                               ;   in Loop: Header=BB372_10 Depth=1
	v_ffbh_u32_e32 v0, v4
	v_min_u32_e32 v0, 32, v0
	v_subrev_nc_u32_e32 v1, 28, v0
	v_sub_nc_u32_e32 v0, 29, v0
	v_lshlrev_b64 v[1:2], v1, v[4:5]
	v_and_b32_e32 v26, 7, v1
; %bb.39:                               ;   in Loop: Header=BB372_10 Depth=1
	s_or_b32 exec_lo, exec_lo, s20
	v_mov_b32_e32 v1, 24
	v_lshlrev_b32_e32 v2, 20, v26
	v_lshl_add_u32 v0, v0, 23, 0x3c000000
	v_lshlrev_b32_sdwa v1, v1, v24 dst_sel:DWORD dst_unused:UNUSED_PAD src0_sel:DWORD src1_sel:BYTE_3
	v_and_b32_e32 v1, 0x80000000, v1
	v_or3_b32 v82, v2, v1, v0
.LBB372_40:                             ;   in Loop: Header=BB372_10 Depth=1
	s_or_b32 exec_lo, exec_lo, s19
.LBB372_41:                             ;   in Loop: Header=BB372_10 Depth=1
	s_or_b32 exec_lo, exec_lo, s17
.LBB372_42:                             ;   in Loop: Header=BB372_10 Depth=1
	s_or_b32 exec_lo, exec_lo, s6
	v_mov_b32_e32 v4, v25
	v_cmp_ne_u16_sdwa s5, v25, v5 src0_sel:BYTE_0 src1_sel:DWORD
	s_and_saveexec_b32 s6, s5
	s_cbranch_execz .LBB372_50
; %bb.43:                               ;   in Loop: Header=BB372_10 Depth=1
	v_cmp_ne_u16_sdwa s5, v25, v71 src0_sel:BYTE_0 src1_sel:DWORD
	v_bfrev_b32_e32 v87, 1
	s_and_saveexec_b32 s17, s5
	s_cbranch_execz .LBB372_49
; %bb.44:                               ;   in Loop: Header=BB372_10 Depth=1
	v_and_b32_e32 v1, 0x7f, v25
	v_mov_b32_e32 v87, 0x7f800001
	s_mov_b32 s19, exec_lo
	v_cmpx_ne_u32_e32 0x7f, v1
	s_cbranch_execz .LBB372_48
; %bb.45:                               ;   in Loop: Header=BB372_10 Depth=1
	v_mov_b32_e32 v27, v5
	v_lshrrev_b32_e32 v0, 3, v1
	v_mov_b32_e32 v26, v4
	s_mov_b32 s20, exec_lo
	v_cmpx_gt_u32_e32 8, v1
; %bb.46:                               ;   in Loop: Header=BB372_10 Depth=1
	v_and_b32_e32 v0, 7, v25
	v_ffbh_u32_e32 v0, v0
	v_min_u32_e32 v0, 32, v0
	v_subrev_nc_u32_e32 v1, 28, v0
	v_sub_nc_u32_e32 v0, 29, v0
	v_lshlrev_b64 v[26:27], v1, v[4:5]
; %bb.47:                               ;   in Loop: Header=BB372_10 Depth=1
	s_or_b32 exec_lo, exec_lo, s20
	v_lshlrev_b32_e32 v1, 20, v26
	v_lshlrev_b32_e32 v2, 24, v4
	v_lshl_add_u32 v0, v0, 23, 0x3c000000
	v_and_b32_e32 v1, 0x700000, v1
	v_and_b32_e32 v2, 0x80000000, v2
	v_or3_b32 v87, v1, v2, v0
.LBB372_48:                             ;   in Loop: Header=BB372_10 Depth=1
	s_or_b32 exec_lo, exec_lo, s19
.LBB372_49:                             ;   in Loop: Header=BB372_10 Depth=1
	s_or_b32 exec_lo, exec_lo, s17
.LBB372_50:                             ;   in Loop: Header=BB372_10 Depth=1
	s_or_b32 exec_lo, exec_lo, s6
	v_cmp_ne_u16_sdwa s5, v4, v5 src0_sel:BYTE_1 src1_sel:DWORD
	v_mov_b32_e32 v86, 0
	v_mov_b32_e32 v72, 0
	s_and_saveexec_b32 s6, s5
	s_cbranch_execz .LBB372_58
; %bb.51:                               ;   in Loop: Header=BB372_10 Depth=1
	v_cmp_ne_u16_sdwa s5, v4, v71 src0_sel:BYTE_1 src1_sel:DWORD
	v_bfrev_b32_e32 v72, 1
	s_and_saveexec_b32 s17, s5
	s_cbranch_execz .LBB372_57
; %bb.52:                               ;   in Loop: Header=BB372_10 Depth=1
	v_mov_b32_e32 v0, 0xffff
	v_mov_b32_e32 v72, 0x7f800001
	s_mov_b32 s19, exec_lo
	v_and_b32_sdwa v0, v0, v4 dst_sel:DWORD dst_unused:UNUSED_PAD src0_sel:DWORD src1_sel:BYTE_1
	v_and_b32_e32 v1, 0x7f, v0
	v_cmpx_ne_u32_e32 0x7f, v1
	s_cbranch_execz .LBB372_56
; %bb.53:                               ;   in Loop: Header=BB372_10 Depth=1
	v_and_b32_e32 v26, 7, v0
	v_mov_b32_e32 v27, v5
	v_lshrrev_b32_e32 v0, 3, v1
	s_mov_b32 s20, exec_lo
	v_cmpx_gt_u32_e32 8, v1
; %bb.54:                               ;   in Loop: Header=BB372_10 Depth=1
	v_ffbh_u32_e32 v0, v26
	v_min_u32_e32 v0, 32, v0
	v_subrev_nc_u32_e32 v1, 28, v0
	v_sub_nc_u32_e32 v0, 29, v0
	v_lshlrev_b64 v[1:2], v1, v[26:27]
	v_and_b32_e32 v26, 7, v1
; %bb.55:                               ;   in Loop: Header=BB372_10 Depth=1
	s_or_b32 exec_lo, exec_lo, s20
	v_lshlrev_b32_e32 v1, 16, v4
	v_lshlrev_b32_e32 v2, 20, v26
	v_lshl_add_u32 v0, v0, 23, 0x3c000000
	v_and_b32_e32 v1, 0x80000000, v1
	v_or3_b32 v72, v2, v1, v0
.LBB372_56:                             ;   in Loop: Header=BB372_10 Depth=1
	s_or_b32 exec_lo, exec_lo, s19
.LBB372_57:                             ;   in Loop: Header=BB372_10 Depth=1
	s_or_b32 exec_lo, exec_lo, s17
.LBB372_58:                             ;   in Loop: Header=BB372_10 Depth=1
	s_or_b32 exec_lo, exec_lo, s6
	v_mov_b32_e32 v0, 0xff
	s_mov_b32 s6, exec_lo
	v_and_b32_sdwa v0, v25, v0 dst_sel:DWORD dst_unused:UNUSED_PAD src0_sel:WORD_1 src1_sel:DWORD
	v_cmpx_ne_u16_e32 0, v0
	s_cbranch_execz .LBB372_66
; %bb.59:                               ;   in Loop: Header=BB372_10 Depth=1
	v_bfrev_b32_e32 v86, 1
	s_mov_b32 s17, exec_lo
	v_cmpx_ne_u16_e32 0x80, v0
	s_cbranch_execz .LBB372_65
; %bb.60:                               ;   in Loop: Header=BB372_10 Depth=1
	v_bfe_u32 v1, v25, 16, 7
	v_mov_b32_e32 v86, 0x7f800001
	s_mov_b32 s19, exec_lo
	v_cmpx_ne_u32_e32 0x7f, v1
	s_cbranch_execz .LBB372_64
; %bb.61:                               ;   in Loop: Header=BB372_10 Depth=1
	v_mov_b32_e32 v0, 7
	s_mov_b32 s20, exec_lo
	v_and_b32_sdwa v4, v25, v0 dst_sel:DWORD dst_unused:UNUSED_PAD src0_sel:WORD_1 src1_sel:DWORD
	v_mov_b32_e32 v27, v5
	v_lshrrev_b32_e32 v0, 3, v1
	v_mov_b32_e32 v26, v4
	v_cmpx_gt_u32_e32 8, v1
; %bb.62:                               ;   in Loop: Header=BB372_10 Depth=1
	v_ffbh_u32_e32 v0, v4
	v_min_u32_e32 v0, 32, v0
	v_subrev_nc_u32_e32 v1, 28, v0
	v_sub_nc_u32_e32 v0, 29, v0
	v_lshlrev_b64 v[1:2], v1, v[4:5]
	v_and_b32_e32 v26, 7, v1
; %bb.63:                               ;   in Loop: Header=BB372_10 Depth=1
	s_or_b32 exec_lo, exec_lo, s20
	v_mov_b32_e32 v1, 24
	v_lshlrev_b32_e32 v2, 20, v26
	v_lshl_add_u32 v0, v0, 23, 0x3c000000
	v_lshlrev_b32_sdwa v1, v1, v25 dst_sel:DWORD dst_unused:UNUSED_PAD src0_sel:DWORD src1_sel:WORD_1
	v_and_b32_e32 v1, 0x80000000, v1
	v_or3_b32 v86, v2, v1, v0
.LBB372_64:                             ;   in Loop: Header=BB372_10 Depth=1
	s_or_b32 exec_lo, exec_lo, s19
.LBB372_65:                             ;   in Loop: Header=BB372_10 Depth=1
	s_or_b32 exec_lo, exec_lo, s17
.LBB372_66:                             ;   in Loop: Header=BB372_10 Depth=1
	s_or_b32 exec_lo, exec_lo, s6
	v_mov_b32_e32 v121, 0
	v_mov_b32_e32 v98, 0
	s_mov_b32 s6, exec_lo
	v_cmpx_lt_u64_e64 s[8:9], v[24:25]
	s_cbranch_execz .LBB372_74
; %bb.67:                               ;   in Loop: Header=BB372_10 Depth=1
	v_cmp_ne_u32_sdwa s5, v25, v71 src0_sel:BYTE_3 src1_sel:DWORD
	v_bfrev_b32_e32 v98, 1
	s_and_saveexec_b32 s17, s5
	s_cbranch_execz .LBB372_73
; %bb.68:                               ;   in Loop: Header=BB372_10 Depth=1
	v_bfe_u32 v1, v25, 24, 7
	v_mov_b32_e32 v98, 0x7f800001
	s_mov_b32 s19, exec_lo
	v_cmpx_ne_u32_e32 0x7f, v1
	s_cbranch_execz .LBB372_72
; %bb.69:                               ;   in Loop: Header=BB372_10 Depth=1
	v_mov_b32_e32 v0, 7
	s_mov_b32 s20, exec_lo
	v_and_b32_sdwa v4, v25, v0 dst_sel:DWORD dst_unused:UNUSED_PAD src0_sel:BYTE_3 src1_sel:DWORD
	v_mov_b32_e32 v27, v5
	v_lshrrev_b32_e32 v0, 3, v1
	v_mov_b32_e32 v26, v4
	v_cmpx_gt_u32_e32 8, v1
; %bb.70:                               ;   in Loop: Header=BB372_10 Depth=1
	v_ffbh_u32_e32 v0, v4
	v_min_u32_e32 v0, 32, v0
	v_subrev_nc_u32_e32 v1, 28, v0
	v_sub_nc_u32_e32 v0, 29, v0
	v_lshlrev_b64 v[1:2], v1, v[4:5]
	v_and_b32_e32 v26, 7, v1
; %bb.71:                               ;   in Loop: Header=BB372_10 Depth=1
	s_or_b32 exec_lo, exec_lo, s20
	v_mov_b32_e32 v1, 24
	v_lshlrev_b32_e32 v2, 20, v26
	v_lshl_add_u32 v0, v0, 23, 0x3c000000
	v_lshlrev_b32_sdwa v1, v1, v25 dst_sel:DWORD dst_unused:UNUSED_PAD src0_sel:DWORD src1_sel:BYTE_3
	v_and_b32_e32 v1, 0x80000000, v1
	v_or3_b32 v98, v2, v1, v0
.LBB372_72:                             ;   in Loop: Header=BB372_10 Depth=1
	s_or_b32 exec_lo, exec_lo, s19
.LBB372_73:                             ;   in Loop: Header=BB372_10 Depth=1
	s_or_b32 exec_lo, exec_lo, s17
.LBB372_74:                             ;   in Loop: Header=BB372_10 Depth=1
	s_or_b32 exec_lo, exec_lo, s6
	flat_load_dwordx2 v[24:25], v[16:17] offset:8
	s_waitcnt vmcnt(0) lgkmcnt(0)
	v_cmp_ne_u16_sdwa s5, v24, v5 src0_sel:BYTE_0 src1_sel:DWORD
	s_and_saveexec_b32 s6, s5
	s_cbranch_execz .LBB372_82
; %bb.75:                               ;   in Loop: Header=BB372_10 Depth=1
	v_cmp_ne_u16_sdwa s5, v24, v71 src0_sel:BYTE_0 src1_sel:DWORD
	v_bfrev_b32_e32 v121, 1
	s_and_saveexec_b32 s17, s5
	s_cbranch_execz .LBB372_81
; %bb.76:                               ;   in Loop: Header=BB372_10 Depth=1
	v_and_b32_e32 v1, 0x7f, v24
	v_mov_b32_e32 v121, 0x7f800001
	s_mov_b32 s19, exec_lo
	v_cmpx_ne_u32_e32 0x7f, v1
	s_cbranch_execz .LBB372_80
; %bb.77:                               ;   in Loop: Header=BB372_10 Depth=1
	v_mov_b32_e32 v27, v25
	v_lshrrev_b32_e32 v0, 3, v1
	v_mov_b32_e32 v26, v24
	s_mov_b32 s20, exec_lo
	v_cmpx_gt_u32_e32 8, v1
; %bb.78:                               ;   in Loop: Header=BB372_10 Depth=1
	v_and_b32_e32 v0, 7, v24
	v_ffbh_u32_e32 v0, v0
	v_min_u32_e32 v0, 32, v0
	v_subrev_nc_u32_e32 v1, 28, v0
	v_sub_nc_u32_e32 v0, 29, v0
	v_lshlrev_b64 v[26:27], v1, v[24:25]
; %bb.79:                               ;   in Loop: Header=BB372_10 Depth=1
	s_or_b32 exec_lo, exec_lo, s20
	v_lshlrev_b32_e32 v1, 20, v26
	v_lshlrev_b32_e32 v2, 24, v24
	v_lshl_add_u32 v0, v0, 23, 0x3c000000
	v_and_b32_e32 v1, 0x700000, v1
	v_and_b32_e32 v2, 0x80000000, v2
	v_or3_b32 v121, v1, v2, v0
.LBB372_80:                             ;   in Loop: Header=BB372_10 Depth=1
	s_or_b32 exec_lo, exec_lo, s19
.LBB372_81:                             ;   in Loop: Header=BB372_10 Depth=1
	s_or_b32 exec_lo, exec_lo, s17
.LBB372_82:                             ;   in Loop: Header=BB372_10 Depth=1
	s_or_b32 exec_lo, exec_lo, s6
	v_mov_b32_e32 v0, 0
	v_cmp_ne_u16_sdwa s5, v24, v5 src0_sel:BYTE_1 src1_sel:DWORD
	buffer_store_dword v0, off, s[0:3], s32 offset:204 ; 4-byte Folded Spill
	v_mov_b32_e32 v0, 0
	buffer_store_dword v0, off, s[0:3], s32 offset:200 ; 4-byte Folded Spill
	s_and_saveexec_b32 s6, s5
	s_cbranch_execz .LBB372_90
; %bb.83:                               ;   in Loop: Header=BB372_10 Depth=1
	v_cmp_ne_u16_sdwa s5, v24, v71 src0_sel:BYTE_1 src1_sel:DWORD
	v_bfrev_b32_e32 v0, 1
	buffer_store_dword v0, off, s[0:3], s32 offset:200 ; 4-byte Folded Spill
	s_and_saveexec_b32 s17, s5
	s_cbranch_execz .LBB372_89
; %bb.84:                               ;   in Loop: Header=BB372_10 Depth=1
	v_mov_b32_e32 v0, 0xffff
	v_mov_b32_e32 v2, 0x7f800001
	s_mov_b32 s19, exec_lo
	v_and_b32_sdwa v0, v0, v24 dst_sel:DWORD dst_unused:UNUSED_PAD src0_sel:DWORD src1_sel:BYTE_1
	buffer_store_dword v2, off, s[0:3], s32 offset:200 ; 4-byte Folded Spill
	v_and_b32_e32 v1, 0x7f, v0
	v_cmpx_ne_u32_e32 0x7f, v1
	s_cbranch_execz .LBB372_88
; %bb.85:                               ;   in Loop: Header=BB372_10 Depth=1
	v_and_b32_e32 v4, 7, v0
	v_mov_b32_e32 v27, v5
	v_lshrrev_b32_e32 v0, 3, v1
	s_mov_b32 s20, exec_lo
	v_mov_b32_e32 v26, v4
	v_cmpx_gt_u32_e32 8, v1
; %bb.86:                               ;   in Loop: Header=BB372_10 Depth=1
	v_ffbh_u32_e32 v0, v4
	v_min_u32_e32 v0, 32, v0
	v_subrev_nc_u32_e32 v1, 28, v0
	v_sub_nc_u32_e32 v0, 29, v0
	v_lshlrev_b64 v[1:2], v1, v[4:5]
	v_and_b32_e32 v26, 7, v1
; %bb.87:                               ;   in Loop: Header=BB372_10 Depth=1
	s_or_b32 exec_lo, exec_lo, s20
	v_lshlrev_b32_e32 v1, 16, v24
	v_lshlrev_b32_e32 v2, 20, v26
	v_lshl_add_u32 v0, v0, 23, 0x3c000000
	v_and_b32_e32 v1, 0x80000000, v1
	v_or3_b32 v0, v2, v1, v0
	buffer_store_dword v0, off, s[0:3], s32 offset:200 ; 4-byte Folded Spill
.LBB372_88:                             ;   in Loop: Header=BB372_10 Depth=1
	s_or_b32 exec_lo, exec_lo, s19
.LBB372_89:                             ;   in Loop: Header=BB372_10 Depth=1
	s_or_b32 exec_lo, exec_lo, s17
.LBB372_90:                             ;   in Loop: Header=BB372_10 Depth=1
	s_or_b32 exec_lo, exec_lo, s6
	v_mov_b32_e32 v0, 0xff
	s_mov_b32 s6, exec_lo
	v_and_b32_sdwa v0, v24, v0 dst_sel:DWORD dst_unused:UNUSED_PAD src0_sel:WORD_1 src1_sel:DWORD
	v_cmpx_ne_u16_e32 0, v0
	s_cbranch_execz .LBB372_98
; %bb.91:                               ;   in Loop: Header=BB372_10 Depth=1
	v_cmp_ne_u16_e64 s5, 0x80, v0
	v_bfrev_b32_e32 v0, 1
	buffer_store_dword v0, off, s[0:3], s32 offset:204 ; 4-byte Folded Spill
	s_and_saveexec_b32 s17, s5
	s_cbranch_execz .LBB372_97
; %bb.92:                               ;   in Loop: Header=BB372_10 Depth=1
	v_bfe_u32 v1, v24, 16, 7
	v_mov_b32_e32 v0, 0x7f800001
	s_mov_b32 s19, exec_lo
	buffer_store_dword v0, off, s[0:3], s32 offset:204 ; 4-byte Folded Spill
	v_cmpx_ne_u32_e32 0x7f, v1
	s_cbranch_execz .LBB372_96
; %bb.93:                               ;   in Loop: Header=BB372_10 Depth=1
	v_mov_b32_e32 v0, 7
	s_mov_b32 s20, exec_lo
	v_and_b32_sdwa v4, v24, v0 dst_sel:DWORD dst_unused:UNUSED_PAD src0_sel:WORD_1 src1_sel:DWORD
	v_mov_b32_e32 v27, v5
	v_lshrrev_b32_e32 v0, 3, v1
	v_mov_b32_e32 v26, v4
	v_cmpx_gt_u32_e32 8, v1
; %bb.94:                               ;   in Loop: Header=BB372_10 Depth=1
	v_ffbh_u32_e32 v0, v4
	v_min_u32_e32 v0, 32, v0
	v_subrev_nc_u32_e32 v1, 28, v0
	v_sub_nc_u32_e32 v0, 29, v0
	v_lshlrev_b64 v[1:2], v1, v[4:5]
	v_and_b32_e32 v26, 7, v1
; %bb.95:                               ;   in Loop: Header=BB372_10 Depth=1
	s_or_b32 exec_lo, exec_lo, s20
	v_mov_b32_e32 v1, 24
	v_lshlrev_b32_e32 v2, 20, v26
	v_lshl_add_u32 v0, v0, 23, 0x3c000000
	v_lshlrev_b32_sdwa v1, v1, v24 dst_sel:DWORD dst_unused:UNUSED_PAD src0_sel:DWORD src1_sel:WORD_1
	v_and_b32_e32 v1, 0x80000000, v1
	v_or3_b32 v0, v2, v1, v0
	buffer_store_dword v0, off, s[0:3], s32 offset:204 ; 4-byte Folded Spill
.LBB372_96:                             ;   in Loop: Header=BB372_10 Depth=1
	s_or_b32 exec_lo, exec_lo, s19
.LBB372_97:                             ;   in Loop: Header=BB372_10 Depth=1
	s_or_b32 exec_lo, exec_lo, s17
.LBB372_98:                             ;   in Loop: Header=BB372_10 Depth=1
	s_or_b32 exec_lo, exec_lo, s6
	v_mov_b32_e32 v0, 0
	s_mov_b32 s6, exec_lo
	buffer_store_dword v0, off, s[0:3], s32 offset:212 ; 4-byte Folded Spill
	v_mov_b32_e32 v0, 0
	buffer_store_dword v0, off, s[0:3], s32 offset:208 ; 4-byte Folded Spill
	v_cmpx_lt_u32_e32 0xffffff, v24
	s_cbranch_execz .LBB372_106
; %bb.99:                               ;   in Loop: Header=BB372_10 Depth=1
	v_cmp_ne_u32_sdwa s5, v24, v71 src0_sel:BYTE_3 src1_sel:DWORD
	v_bfrev_b32_e32 v0, 1
	buffer_store_dword v0, off, s[0:3], s32 offset:208 ; 4-byte Folded Spill
	s_and_saveexec_b32 s17, s5
	s_cbranch_execz .LBB372_105
; %bb.100:                              ;   in Loop: Header=BB372_10 Depth=1
	v_bfe_u32 v1, v24, 24, 7
	v_mov_b32_e32 v0, 0x7f800001
	s_mov_b32 s19, exec_lo
	buffer_store_dword v0, off, s[0:3], s32 offset:208 ; 4-byte Folded Spill
	v_cmpx_ne_u32_e32 0x7f, v1
	s_cbranch_execz .LBB372_104
; %bb.101:                              ;   in Loop: Header=BB372_10 Depth=1
	v_mov_b32_e32 v0, 7
	s_mov_b32 s20, exec_lo
	v_and_b32_sdwa v4, v24, v0 dst_sel:DWORD dst_unused:UNUSED_PAD src0_sel:BYTE_3 src1_sel:DWORD
	v_mov_b32_e32 v27, v5
	v_lshrrev_b32_e32 v0, 3, v1
	v_mov_b32_e32 v26, v4
	v_cmpx_gt_u32_e32 8, v1
; %bb.102:                              ;   in Loop: Header=BB372_10 Depth=1
	v_ffbh_u32_e32 v0, v4
	v_min_u32_e32 v0, 32, v0
	v_subrev_nc_u32_e32 v1, 28, v0
	v_sub_nc_u32_e32 v0, 29, v0
	v_lshlrev_b64 v[1:2], v1, v[4:5]
	v_and_b32_e32 v26, 7, v1
; %bb.103:                              ;   in Loop: Header=BB372_10 Depth=1
	s_or_b32 exec_lo, exec_lo, s20
	v_mov_b32_e32 v1, 24
	v_lshlrev_b32_e32 v2, 20, v26
	v_lshl_add_u32 v0, v0, 23, 0x3c000000
	v_lshlrev_b32_sdwa v1, v1, v24 dst_sel:DWORD dst_unused:UNUSED_PAD src0_sel:DWORD src1_sel:BYTE_3
	v_and_b32_e32 v1, 0x80000000, v1
	v_or3_b32 v0, v2, v1, v0
	buffer_store_dword v0, off, s[0:3], s32 offset:208 ; 4-byte Folded Spill
.LBB372_104:                            ;   in Loop: Header=BB372_10 Depth=1
	s_or_b32 exec_lo, exec_lo, s19
.LBB372_105:                            ;   in Loop: Header=BB372_10 Depth=1
	s_or_b32 exec_lo, exec_lo, s17
.LBB372_106:                            ;   in Loop: Header=BB372_10 Depth=1
	s_or_b32 exec_lo, exec_lo, s6
	v_mov_b32_e32 v4, v25
	v_cmp_ne_u16_sdwa s5, v25, v5 src0_sel:BYTE_0 src1_sel:DWORD
	s_and_saveexec_b32 s6, s5
	s_cbranch_execz .LBB372_114
; %bb.107:                              ;   in Loop: Header=BB372_10 Depth=1
	v_cmp_ne_u16_sdwa s5, v25, v71 src0_sel:BYTE_0 src1_sel:DWORD
	v_bfrev_b32_e32 v0, 1
	buffer_store_dword v0, off, s[0:3], s32 offset:212 ; 4-byte Folded Spill
	s_and_saveexec_b32 s17, s5
	s_cbranch_execz .LBB372_113
; %bb.108:                              ;   in Loop: Header=BB372_10 Depth=1
	v_and_b32_e32 v1, 0x7f, v25
	v_mov_b32_e32 v0, 0x7f800001
	s_mov_b32 s19, exec_lo
	buffer_store_dword v0, off, s[0:3], s32 offset:212 ; 4-byte Folded Spill
	v_cmpx_ne_u32_e32 0x7f, v1
	s_cbranch_execz .LBB372_112
; %bb.109:                              ;   in Loop: Header=BB372_10 Depth=1
	v_mov_b32_e32 v27, v5
	v_lshrrev_b32_e32 v0, 3, v1
	v_mov_b32_e32 v26, v4
	s_mov_b32 s20, exec_lo
	v_cmpx_gt_u32_e32 8, v1
; %bb.110:                              ;   in Loop: Header=BB372_10 Depth=1
	v_and_b32_e32 v0, 7, v25
	v_ffbh_u32_e32 v0, v0
	v_min_u32_e32 v0, 32, v0
	v_subrev_nc_u32_e32 v1, 28, v0
	v_sub_nc_u32_e32 v0, 29, v0
	v_lshlrev_b64 v[26:27], v1, v[4:5]
; %bb.111:                              ;   in Loop: Header=BB372_10 Depth=1
	s_or_b32 exec_lo, exec_lo, s20
	v_lshlrev_b32_e32 v1, 20, v26
	v_lshlrev_b32_e32 v2, 24, v4
	v_lshl_add_u32 v0, v0, 23, 0x3c000000
	v_and_b32_e32 v1, 0x700000, v1
	v_and_b32_e32 v2, 0x80000000, v2
	v_or3_b32 v0, v1, v2, v0
	buffer_store_dword v0, off, s[0:3], s32 offset:212 ; 4-byte Folded Spill
.LBB372_112:                            ;   in Loop: Header=BB372_10 Depth=1
	s_or_b32 exec_lo, exec_lo, s19
.LBB372_113:                            ;   in Loop: Header=BB372_10 Depth=1
	s_or_b32 exec_lo, exec_lo, s17
.LBB372_114:                            ;   in Loop: Header=BB372_10 Depth=1
	s_or_b32 exec_lo, exec_lo, s6
	v_mov_b32_e32 v0, 0
	v_cmp_ne_u16_sdwa s5, v4, v5 src0_sel:BYTE_1 src1_sel:DWORD
	buffer_store_dword v0, off, s[0:3], s32 offset:216 ; 4-byte Folded Spill
	v_mov_b32_e32 v0, 0
	buffer_store_dword v0, off, s[0:3], s32 offset:220 ; 4-byte Folded Spill
	s_and_saveexec_b32 s6, s5
	s_cbranch_execz .LBB372_122
; %bb.115:                              ;   in Loop: Header=BB372_10 Depth=1
	v_cmp_ne_u16_sdwa s5, v4, v71 src0_sel:BYTE_1 src1_sel:DWORD
	v_bfrev_b32_e32 v0, 1
	buffer_store_dword v0, off, s[0:3], s32 offset:220 ; 4-byte Folded Spill
	s_and_saveexec_b32 s17, s5
	s_cbranch_execz .LBB372_121
; %bb.116:                              ;   in Loop: Header=BB372_10 Depth=1
	v_mov_b32_e32 v0, 0xffff
	v_mov_b32_e32 v2, 0x7f800001
	s_mov_b32 s19, exec_lo
	v_and_b32_sdwa v0, v0, v4 dst_sel:DWORD dst_unused:UNUSED_PAD src0_sel:DWORD src1_sel:BYTE_1
	buffer_store_dword v2, off, s[0:3], s32 offset:220 ; 4-byte Folded Spill
	v_and_b32_e32 v1, 0x7f, v0
	v_cmpx_ne_u32_e32 0x7f, v1
	s_cbranch_execz .LBB372_120
; %bb.117:                              ;   in Loop: Header=BB372_10 Depth=1
	v_and_b32_e32 v26, 7, v0
	v_mov_b32_e32 v27, v5
	v_lshrrev_b32_e32 v0, 3, v1
	s_mov_b32 s20, exec_lo
	v_cmpx_gt_u32_e32 8, v1
; %bb.118:                              ;   in Loop: Header=BB372_10 Depth=1
	v_ffbh_u32_e32 v0, v26
	v_min_u32_e32 v0, 32, v0
	v_subrev_nc_u32_e32 v1, 28, v0
	v_sub_nc_u32_e32 v0, 29, v0
	v_lshlrev_b64 v[1:2], v1, v[26:27]
	v_and_b32_e32 v26, 7, v1
; %bb.119:                              ;   in Loop: Header=BB372_10 Depth=1
	s_or_b32 exec_lo, exec_lo, s20
	v_lshlrev_b32_e32 v1, 16, v4
	v_lshlrev_b32_e32 v2, 20, v26
	v_lshl_add_u32 v0, v0, 23, 0x3c000000
	v_and_b32_e32 v1, 0x80000000, v1
	v_or3_b32 v0, v2, v1, v0
	buffer_store_dword v0, off, s[0:3], s32 offset:220 ; 4-byte Folded Spill
.LBB372_120:                            ;   in Loop: Header=BB372_10 Depth=1
	s_or_b32 exec_lo, exec_lo, s19
.LBB372_121:                            ;   in Loop: Header=BB372_10 Depth=1
	s_or_b32 exec_lo, exec_lo, s17
.LBB372_122:                            ;   in Loop: Header=BB372_10 Depth=1
	s_or_b32 exec_lo, exec_lo, s6
	v_mov_b32_e32 v0, 0xff
	s_mov_b32 s6, exec_lo
	v_and_b32_sdwa v0, v25, v0 dst_sel:DWORD dst_unused:UNUSED_PAD src0_sel:WORD_1 src1_sel:DWORD
	v_cmpx_ne_u16_e32 0, v0
	s_cbranch_execz .LBB372_130
; %bb.123:                              ;   in Loop: Header=BB372_10 Depth=1
	v_cmp_ne_u16_e64 s5, 0x80, v0
	v_bfrev_b32_e32 v0, 1
	buffer_store_dword v0, off, s[0:3], s32 offset:216 ; 4-byte Folded Spill
	s_and_saveexec_b32 s17, s5
	s_cbranch_execz .LBB372_129
; %bb.124:                              ;   in Loop: Header=BB372_10 Depth=1
	v_bfe_u32 v1, v25, 16, 7
	v_mov_b32_e32 v0, 0x7f800001
	s_mov_b32 s19, exec_lo
	buffer_store_dword v0, off, s[0:3], s32 offset:216 ; 4-byte Folded Spill
	v_cmpx_ne_u32_e32 0x7f, v1
	s_cbranch_execz .LBB372_128
; %bb.125:                              ;   in Loop: Header=BB372_10 Depth=1
	v_mov_b32_e32 v0, 7
	s_mov_b32 s20, exec_lo
	v_and_b32_sdwa v4, v25, v0 dst_sel:DWORD dst_unused:UNUSED_PAD src0_sel:WORD_1 src1_sel:DWORD
	v_mov_b32_e32 v27, v5
	v_lshrrev_b32_e32 v0, 3, v1
	v_mov_b32_e32 v26, v4
	v_cmpx_gt_u32_e32 8, v1
; %bb.126:                              ;   in Loop: Header=BB372_10 Depth=1
	v_ffbh_u32_e32 v0, v4
	v_min_u32_e32 v0, 32, v0
	v_subrev_nc_u32_e32 v1, 28, v0
	v_sub_nc_u32_e32 v0, 29, v0
	v_lshlrev_b64 v[1:2], v1, v[4:5]
	v_and_b32_e32 v26, 7, v1
; %bb.127:                              ;   in Loop: Header=BB372_10 Depth=1
	s_or_b32 exec_lo, exec_lo, s20
	v_mov_b32_e32 v1, 24
	v_lshlrev_b32_e32 v2, 20, v26
	v_lshl_add_u32 v0, v0, 23, 0x3c000000
	v_lshlrev_b32_sdwa v1, v1, v25 dst_sel:DWORD dst_unused:UNUSED_PAD src0_sel:DWORD src1_sel:WORD_1
	v_and_b32_e32 v1, 0x80000000, v1
	v_or3_b32 v0, v2, v1, v0
	buffer_store_dword v0, off, s[0:3], s32 offset:216 ; 4-byte Folded Spill
.LBB372_128:                            ;   in Loop: Header=BB372_10 Depth=1
	s_or_b32 exec_lo, exec_lo, s19
.LBB372_129:                            ;   in Loop: Header=BB372_10 Depth=1
	s_or_b32 exec_lo, exec_lo, s17
.LBB372_130:                            ;   in Loop: Header=BB372_10 Depth=1
	s_or_b32 exec_lo, exec_lo, s6
	v_mov_b32_e32 v0, 0
	s_mov_b32 s6, exec_lo
	buffer_store_dword v0, off, s[0:3], s32 offset:228 ; 4-byte Folded Spill
	v_mov_b32_e32 v0, 0
	buffer_store_dword v0, off, s[0:3], s32 offset:224 ; 4-byte Folded Spill
	v_cmpx_lt_u64_e64 s[8:9], v[24:25]
	s_cbranch_execz .LBB372_138
; %bb.131:                              ;   in Loop: Header=BB372_10 Depth=1
	v_cmp_ne_u32_sdwa s5, v25, v71 src0_sel:BYTE_3 src1_sel:DWORD
	v_bfrev_b32_e32 v0, 1
	buffer_store_dword v0, off, s[0:3], s32 offset:224 ; 4-byte Folded Spill
	s_and_saveexec_b32 s17, s5
	s_cbranch_execz .LBB372_137
; %bb.132:                              ;   in Loop: Header=BB372_10 Depth=1
	v_bfe_u32 v1, v25, 24, 7
	v_mov_b32_e32 v0, 0x7f800001
	s_mov_b32 s19, exec_lo
	buffer_store_dword v0, off, s[0:3], s32 offset:224 ; 4-byte Folded Spill
	v_cmpx_ne_u32_e32 0x7f, v1
	s_cbranch_execz .LBB372_136
; %bb.133:                              ;   in Loop: Header=BB372_10 Depth=1
	v_mov_b32_e32 v0, 7
	s_mov_b32 s20, exec_lo
	v_and_b32_sdwa v4, v25, v0 dst_sel:DWORD dst_unused:UNUSED_PAD src0_sel:BYTE_3 src1_sel:DWORD
	v_mov_b32_e32 v27, v5
	v_lshrrev_b32_e32 v0, 3, v1
	v_mov_b32_e32 v26, v4
	v_cmpx_gt_u32_e32 8, v1
; %bb.134:                              ;   in Loop: Header=BB372_10 Depth=1
	v_ffbh_u32_e32 v0, v4
	v_min_u32_e32 v0, 32, v0
	v_subrev_nc_u32_e32 v1, 28, v0
	v_sub_nc_u32_e32 v0, 29, v0
	v_lshlrev_b64 v[1:2], v1, v[4:5]
	v_and_b32_e32 v26, 7, v1
; %bb.135:                              ;   in Loop: Header=BB372_10 Depth=1
	s_or_b32 exec_lo, exec_lo, s20
	v_mov_b32_e32 v1, 24
	v_lshlrev_b32_e32 v2, 20, v26
	v_lshl_add_u32 v0, v0, 23, 0x3c000000
	v_lshlrev_b32_sdwa v1, v1, v25 dst_sel:DWORD dst_unused:UNUSED_PAD src0_sel:DWORD src1_sel:BYTE_3
	v_and_b32_e32 v1, 0x80000000, v1
	v_or3_b32 v0, v2, v1, v0
	buffer_store_dword v0, off, s[0:3], s32 offset:224 ; 4-byte Folded Spill
.LBB372_136:                            ;   in Loop: Header=BB372_10 Depth=1
	s_or_b32 exec_lo, exec_lo, s19
.LBB372_137:                            ;   in Loop: Header=BB372_10 Depth=1
	s_or_b32 exec_lo, exec_lo, s17
.LBB372_138:                            ;   in Loop: Header=BB372_10 Depth=1
	s_or_b32 exec_lo, exec_lo, s6
	flat_load_dwordx2 v[24:25], v[16:17] offset:512
	s_waitcnt vmcnt(0) lgkmcnt(0)
	v_cmp_ne_u16_sdwa s5, v24, v5 src0_sel:BYTE_0 src1_sel:DWORD
	s_and_saveexec_b32 s6, s5
	s_cbranch_execz .LBB372_146
; %bb.139:                              ;   in Loop: Header=BB372_10 Depth=1
	v_cmp_ne_u16_sdwa s5, v24, v71 src0_sel:BYTE_0 src1_sel:DWORD
	v_bfrev_b32_e32 v0, 1
	buffer_store_dword v0, off, s[0:3], s32 offset:228 ; 4-byte Folded Spill
	s_and_saveexec_b32 s17, s5
	s_cbranch_execz .LBB372_145
; %bb.140:                              ;   in Loop: Header=BB372_10 Depth=1
	v_and_b32_e32 v1, 0x7f, v24
	v_mov_b32_e32 v0, 0x7f800001
	s_mov_b32 s19, exec_lo
	buffer_store_dword v0, off, s[0:3], s32 offset:228 ; 4-byte Folded Spill
	v_cmpx_ne_u32_e32 0x7f, v1
	s_cbranch_execz .LBB372_144
; %bb.141:                              ;   in Loop: Header=BB372_10 Depth=1
	v_mov_b32_e32 v27, v25
	v_lshrrev_b32_e32 v0, 3, v1
	v_mov_b32_e32 v26, v24
	s_mov_b32 s20, exec_lo
	v_cmpx_gt_u32_e32 8, v1
; %bb.142:                              ;   in Loop: Header=BB372_10 Depth=1
	v_and_b32_e32 v0, 7, v24
	v_ffbh_u32_e32 v0, v0
	v_min_u32_e32 v0, 32, v0
	v_subrev_nc_u32_e32 v1, 28, v0
	v_sub_nc_u32_e32 v0, 29, v0
	v_lshlrev_b64 v[26:27], v1, v[24:25]
; %bb.143:                              ;   in Loop: Header=BB372_10 Depth=1
	s_or_b32 exec_lo, exec_lo, s20
	v_lshlrev_b32_e32 v1, 20, v26
	v_lshlrev_b32_e32 v2, 24, v24
	v_lshl_add_u32 v0, v0, 23, 0x3c000000
	v_and_b32_e32 v1, 0x700000, v1
	v_and_b32_e32 v2, 0x80000000, v2
	v_or3_b32 v0, v1, v2, v0
	buffer_store_dword v0, off, s[0:3], s32 offset:228 ; 4-byte Folded Spill
.LBB372_144:                            ;   in Loop: Header=BB372_10 Depth=1
	s_or_b32 exec_lo, exec_lo, s19
.LBB372_145:                            ;   in Loop: Header=BB372_10 Depth=1
	s_or_b32 exec_lo, exec_lo, s17
.LBB372_146:                            ;   in Loop: Header=BB372_10 Depth=1
	s_or_b32 exec_lo, exec_lo, s6
	v_mov_b32_e32 v0, 0
	v_cmp_ne_u16_sdwa s5, v24, v5 src0_sel:BYTE_1 src1_sel:DWORD
	buffer_store_dword v0, off, s[0:3], s32 offset:236 ; 4-byte Folded Spill
	v_mov_b32_e32 v0, 0
	buffer_store_dword v0, off, s[0:3], s32 offset:232 ; 4-byte Folded Spill
	s_and_saveexec_b32 s6, s5
	s_cbranch_execz .LBB372_154
; %bb.147:                              ;   in Loop: Header=BB372_10 Depth=1
	v_cmp_ne_u16_sdwa s5, v24, v71 src0_sel:BYTE_1 src1_sel:DWORD
	v_bfrev_b32_e32 v0, 1
	buffer_store_dword v0, off, s[0:3], s32 offset:232 ; 4-byte Folded Spill
	s_and_saveexec_b32 s17, s5
	s_cbranch_execz .LBB372_153
; %bb.148:                              ;   in Loop: Header=BB372_10 Depth=1
	v_mov_b32_e32 v0, 0xffff
	v_mov_b32_e32 v2, 0x7f800001
	s_mov_b32 s19, exec_lo
	v_and_b32_sdwa v0, v0, v24 dst_sel:DWORD dst_unused:UNUSED_PAD src0_sel:DWORD src1_sel:BYTE_1
	buffer_store_dword v2, off, s[0:3], s32 offset:232 ; 4-byte Folded Spill
	v_and_b32_e32 v1, 0x7f, v0
	v_cmpx_ne_u32_e32 0x7f, v1
	s_cbranch_execz .LBB372_152
; %bb.149:                              ;   in Loop: Header=BB372_10 Depth=1
	v_and_b32_e32 v4, 7, v0
	v_mov_b32_e32 v27, v5
	v_lshrrev_b32_e32 v0, 3, v1
	s_mov_b32 s20, exec_lo
	v_mov_b32_e32 v26, v4
	v_cmpx_gt_u32_e32 8, v1
; %bb.150:                              ;   in Loop: Header=BB372_10 Depth=1
	v_ffbh_u32_e32 v0, v4
	v_min_u32_e32 v0, 32, v0
	v_subrev_nc_u32_e32 v1, 28, v0
	v_sub_nc_u32_e32 v0, 29, v0
	v_lshlrev_b64 v[1:2], v1, v[4:5]
	v_and_b32_e32 v26, 7, v1
; %bb.151:                              ;   in Loop: Header=BB372_10 Depth=1
	s_or_b32 exec_lo, exec_lo, s20
	v_lshlrev_b32_e32 v1, 16, v24
	v_lshlrev_b32_e32 v2, 20, v26
	v_lshl_add_u32 v0, v0, 23, 0x3c000000
	v_and_b32_e32 v1, 0x80000000, v1
	v_or3_b32 v0, v2, v1, v0
	buffer_store_dword v0, off, s[0:3], s32 offset:232 ; 4-byte Folded Spill
.LBB372_152:                            ;   in Loop: Header=BB372_10 Depth=1
	s_or_b32 exec_lo, exec_lo, s19
.LBB372_153:                            ;   in Loop: Header=BB372_10 Depth=1
	s_or_b32 exec_lo, exec_lo, s17
.LBB372_154:                            ;   in Loop: Header=BB372_10 Depth=1
	s_or_b32 exec_lo, exec_lo, s6
	v_mov_b32_e32 v0, 0xff
	s_mov_b32 s6, exec_lo
	v_and_b32_sdwa v0, v24, v0 dst_sel:DWORD dst_unused:UNUSED_PAD src0_sel:WORD_1 src1_sel:DWORD
	v_cmpx_ne_u16_e32 0, v0
	s_cbranch_execz .LBB372_162
; %bb.155:                              ;   in Loop: Header=BB372_10 Depth=1
	v_cmp_ne_u16_e64 s5, 0x80, v0
	v_bfrev_b32_e32 v0, 1
	buffer_store_dword v0, off, s[0:3], s32 offset:236 ; 4-byte Folded Spill
	s_and_saveexec_b32 s17, s5
	s_cbranch_execz .LBB372_161
; %bb.156:                              ;   in Loop: Header=BB372_10 Depth=1
	v_bfe_u32 v1, v24, 16, 7
	v_mov_b32_e32 v0, 0x7f800001
	s_mov_b32 s19, exec_lo
	buffer_store_dword v0, off, s[0:3], s32 offset:236 ; 4-byte Folded Spill
	v_cmpx_ne_u32_e32 0x7f, v1
	s_cbranch_execz .LBB372_160
; %bb.157:                              ;   in Loop: Header=BB372_10 Depth=1
	v_mov_b32_e32 v0, 7
	s_mov_b32 s20, exec_lo
	v_and_b32_sdwa v4, v24, v0 dst_sel:DWORD dst_unused:UNUSED_PAD src0_sel:WORD_1 src1_sel:DWORD
	v_mov_b32_e32 v27, v5
	v_lshrrev_b32_e32 v0, 3, v1
	v_mov_b32_e32 v26, v4
	v_cmpx_gt_u32_e32 8, v1
; %bb.158:                              ;   in Loop: Header=BB372_10 Depth=1
	v_ffbh_u32_e32 v0, v4
	v_min_u32_e32 v0, 32, v0
	v_subrev_nc_u32_e32 v1, 28, v0
	v_sub_nc_u32_e32 v0, 29, v0
	v_lshlrev_b64 v[1:2], v1, v[4:5]
	v_and_b32_e32 v26, 7, v1
; %bb.159:                              ;   in Loop: Header=BB372_10 Depth=1
	s_or_b32 exec_lo, exec_lo, s20
	v_mov_b32_e32 v1, 24
	v_lshlrev_b32_e32 v2, 20, v26
	v_lshl_add_u32 v0, v0, 23, 0x3c000000
	v_lshlrev_b32_sdwa v1, v1, v24 dst_sel:DWORD dst_unused:UNUSED_PAD src0_sel:DWORD src1_sel:WORD_1
	v_and_b32_e32 v1, 0x80000000, v1
	v_or3_b32 v0, v2, v1, v0
	buffer_store_dword v0, off, s[0:3], s32 offset:236 ; 4-byte Folded Spill
.LBB372_160:                            ;   in Loop: Header=BB372_10 Depth=1
	s_or_b32 exec_lo, exec_lo, s19
.LBB372_161:                            ;   in Loop: Header=BB372_10 Depth=1
	s_or_b32 exec_lo, exec_lo, s17
.LBB372_162:                            ;   in Loop: Header=BB372_10 Depth=1
	s_or_b32 exec_lo, exec_lo, s6
	v_mov_b32_e32 v0, 0
	s_mov_b32 s6, exec_lo
	buffer_store_dword v0, off, s[0:3], s32 offset:244 ; 4-byte Folded Spill
	v_mov_b32_e32 v0, 0
	buffer_store_dword v0, off, s[0:3], s32 offset:240 ; 4-byte Folded Spill
	v_cmpx_lt_u32_e32 0xffffff, v24
	s_cbranch_execz .LBB372_170
; %bb.163:                              ;   in Loop: Header=BB372_10 Depth=1
	v_cmp_ne_u32_sdwa s5, v24, v71 src0_sel:BYTE_3 src1_sel:DWORD
	v_bfrev_b32_e32 v0, 1
	buffer_store_dword v0, off, s[0:3], s32 offset:240 ; 4-byte Folded Spill
	s_and_saveexec_b32 s17, s5
	s_cbranch_execz .LBB372_169
; %bb.164:                              ;   in Loop: Header=BB372_10 Depth=1
	v_bfe_u32 v1, v24, 24, 7
	v_mov_b32_e32 v0, 0x7f800001
	s_mov_b32 s19, exec_lo
	buffer_store_dword v0, off, s[0:3], s32 offset:240 ; 4-byte Folded Spill
	v_cmpx_ne_u32_e32 0x7f, v1
	s_cbranch_execz .LBB372_168
; %bb.165:                              ;   in Loop: Header=BB372_10 Depth=1
	v_mov_b32_e32 v0, 7
	s_mov_b32 s20, exec_lo
	v_and_b32_sdwa v4, v24, v0 dst_sel:DWORD dst_unused:UNUSED_PAD src0_sel:BYTE_3 src1_sel:DWORD
	v_mov_b32_e32 v27, v5
	v_lshrrev_b32_e32 v0, 3, v1
	v_mov_b32_e32 v26, v4
	v_cmpx_gt_u32_e32 8, v1
; %bb.166:                              ;   in Loop: Header=BB372_10 Depth=1
	v_ffbh_u32_e32 v0, v4
	v_min_u32_e32 v0, 32, v0
	v_subrev_nc_u32_e32 v1, 28, v0
	v_sub_nc_u32_e32 v0, 29, v0
	v_lshlrev_b64 v[1:2], v1, v[4:5]
	v_and_b32_e32 v26, 7, v1
; %bb.167:                              ;   in Loop: Header=BB372_10 Depth=1
	s_or_b32 exec_lo, exec_lo, s20
	v_mov_b32_e32 v1, 24
	v_lshlrev_b32_e32 v2, 20, v26
	v_lshl_add_u32 v0, v0, 23, 0x3c000000
	v_lshlrev_b32_sdwa v1, v1, v24 dst_sel:DWORD dst_unused:UNUSED_PAD src0_sel:DWORD src1_sel:BYTE_3
	v_and_b32_e32 v1, 0x80000000, v1
	v_or3_b32 v0, v2, v1, v0
	buffer_store_dword v0, off, s[0:3], s32 offset:240 ; 4-byte Folded Spill
.LBB372_168:                            ;   in Loop: Header=BB372_10 Depth=1
	s_or_b32 exec_lo, exec_lo, s19
.LBB372_169:                            ;   in Loop: Header=BB372_10 Depth=1
	s_or_b32 exec_lo, exec_lo, s17
.LBB372_170:                            ;   in Loop: Header=BB372_10 Depth=1
	s_or_b32 exec_lo, exec_lo, s6
	v_mov_b32_e32 v4, v25
	v_cmp_ne_u16_sdwa s5, v25, v5 src0_sel:BYTE_0 src1_sel:DWORD
	s_and_saveexec_b32 s6, s5
	s_cbranch_execz .LBB372_178
; %bb.171:                              ;   in Loop: Header=BB372_10 Depth=1
	v_cmp_ne_u16_sdwa s5, v25, v71 src0_sel:BYTE_0 src1_sel:DWORD
	v_bfrev_b32_e32 v0, 1
	buffer_store_dword v0, off, s[0:3], s32 offset:244 ; 4-byte Folded Spill
	s_and_saveexec_b32 s17, s5
	s_cbranch_execz .LBB372_177
; %bb.172:                              ;   in Loop: Header=BB372_10 Depth=1
	v_and_b32_e32 v1, 0x7f, v25
	v_mov_b32_e32 v0, 0x7f800001
	s_mov_b32 s19, exec_lo
	buffer_store_dword v0, off, s[0:3], s32 offset:244 ; 4-byte Folded Spill
	v_cmpx_ne_u32_e32 0x7f, v1
	s_cbranch_execz .LBB372_176
; %bb.173:                              ;   in Loop: Header=BB372_10 Depth=1
	v_mov_b32_e32 v27, v5
	v_lshrrev_b32_e32 v0, 3, v1
	v_mov_b32_e32 v26, v4
	s_mov_b32 s20, exec_lo
	v_cmpx_gt_u32_e32 8, v1
; %bb.174:                              ;   in Loop: Header=BB372_10 Depth=1
	v_and_b32_e32 v0, 7, v25
	v_ffbh_u32_e32 v0, v0
	v_min_u32_e32 v0, 32, v0
	v_subrev_nc_u32_e32 v1, 28, v0
	v_sub_nc_u32_e32 v0, 29, v0
	v_lshlrev_b64 v[26:27], v1, v[4:5]
; %bb.175:                              ;   in Loop: Header=BB372_10 Depth=1
	s_or_b32 exec_lo, exec_lo, s20
	v_lshlrev_b32_e32 v1, 20, v26
	v_lshlrev_b32_e32 v2, 24, v4
	v_lshl_add_u32 v0, v0, 23, 0x3c000000
	v_and_b32_e32 v1, 0x700000, v1
	v_and_b32_e32 v2, 0x80000000, v2
	v_or3_b32 v0, v1, v2, v0
	buffer_store_dword v0, off, s[0:3], s32 offset:244 ; 4-byte Folded Spill
.LBB372_176:                            ;   in Loop: Header=BB372_10 Depth=1
	s_or_b32 exec_lo, exec_lo, s19
.LBB372_177:                            ;   in Loop: Header=BB372_10 Depth=1
	s_or_b32 exec_lo, exec_lo, s17
.LBB372_178:                            ;   in Loop: Header=BB372_10 Depth=1
	s_or_b32 exec_lo, exec_lo, s6
	v_mov_b32_e32 v0, 0
	v_cmp_ne_u16_sdwa s5, v4, v5 src0_sel:BYTE_1 src1_sel:DWORD
	buffer_store_dword v0, off, s[0:3], s32 offset:248 ; 4-byte Folded Spill
	v_mov_b32_e32 v0, 0
	buffer_store_dword v0, off, s[0:3], s32 offset:252 ; 4-byte Folded Spill
	s_and_saveexec_b32 s6, s5
	s_cbranch_execz .LBB372_186
; %bb.179:                              ;   in Loop: Header=BB372_10 Depth=1
	v_cmp_ne_u16_sdwa s5, v4, v71 src0_sel:BYTE_1 src1_sel:DWORD
	v_bfrev_b32_e32 v0, 1
	buffer_store_dword v0, off, s[0:3], s32 offset:252 ; 4-byte Folded Spill
	s_and_saveexec_b32 s17, s5
	s_cbranch_execz .LBB372_185
; %bb.180:                              ;   in Loop: Header=BB372_10 Depth=1
	v_mov_b32_e32 v0, 0xffff
	v_mov_b32_e32 v2, 0x7f800001
	s_mov_b32 s19, exec_lo
	v_and_b32_sdwa v0, v0, v4 dst_sel:DWORD dst_unused:UNUSED_PAD src0_sel:DWORD src1_sel:BYTE_1
	buffer_store_dword v2, off, s[0:3], s32 offset:252 ; 4-byte Folded Spill
	v_and_b32_e32 v1, 0x7f, v0
	v_cmpx_ne_u32_e32 0x7f, v1
	s_cbranch_execz .LBB372_184
; %bb.181:                              ;   in Loop: Header=BB372_10 Depth=1
	v_and_b32_e32 v26, 7, v0
	v_mov_b32_e32 v27, v5
	v_lshrrev_b32_e32 v0, 3, v1
	s_mov_b32 s20, exec_lo
	v_cmpx_gt_u32_e32 8, v1
; %bb.182:                              ;   in Loop: Header=BB372_10 Depth=1
	v_ffbh_u32_e32 v0, v26
	v_min_u32_e32 v0, 32, v0
	v_subrev_nc_u32_e32 v1, 28, v0
	v_sub_nc_u32_e32 v0, 29, v0
	v_lshlrev_b64 v[1:2], v1, v[26:27]
	v_and_b32_e32 v26, 7, v1
; %bb.183:                              ;   in Loop: Header=BB372_10 Depth=1
	s_or_b32 exec_lo, exec_lo, s20
	v_lshlrev_b32_e32 v1, 16, v4
	v_lshlrev_b32_e32 v2, 20, v26
	v_lshl_add_u32 v0, v0, 23, 0x3c000000
	v_and_b32_e32 v1, 0x80000000, v1
	v_or3_b32 v0, v2, v1, v0
	buffer_store_dword v0, off, s[0:3], s32 offset:252 ; 4-byte Folded Spill
.LBB372_184:                            ;   in Loop: Header=BB372_10 Depth=1
	s_or_b32 exec_lo, exec_lo, s19
.LBB372_185:                            ;   in Loop: Header=BB372_10 Depth=1
	s_or_b32 exec_lo, exec_lo, s17
.LBB372_186:                            ;   in Loop: Header=BB372_10 Depth=1
	s_or_b32 exec_lo, exec_lo, s6
	v_mov_b32_e32 v0, 0xff
	s_mov_b32 s6, exec_lo
	v_and_b32_sdwa v0, v25, v0 dst_sel:DWORD dst_unused:UNUSED_PAD src0_sel:WORD_1 src1_sel:DWORD
	v_cmpx_ne_u16_e32 0, v0
	s_cbranch_execz .LBB372_194
; %bb.187:                              ;   in Loop: Header=BB372_10 Depth=1
	v_cmp_ne_u16_e64 s5, 0x80, v0
	v_bfrev_b32_e32 v0, 1
	buffer_store_dword v0, off, s[0:3], s32 offset:248 ; 4-byte Folded Spill
	s_and_saveexec_b32 s17, s5
	s_cbranch_execz .LBB372_193
; %bb.188:                              ;   in Loop: Header=BB372_10 Depth=1
	v_bfe_u32 v1, v25, 16, 7
	v_mov_b32_e32 v0, 0x7f800001
	s_mov_b32 s19, exec_lo
	buffer_store_dword v0, off, s[0:3], s32 offset:248 ; 4-byte Folded Spill
	v_cmpx_ne_u32_e32 0x7f, v1
	s_cbranch_execz .LBB372_192
; %bb.189:                              ;   in Loop: Header=BB372_10 Depth=1
	v_mov_b32_e32 v0, 7
	s_mov_b32 s20, exec_lo
	v_and_b32_sdwa v4, v25, v0 dst_sel:DWORD dst_unused:UNUSED_PAD src0_sel:WORD_1 src1_sel:DWORD
	v_mov_b32_e32 v27, v5
	v_lshrrev_b32_e32 v0, 3, v1
	v_mov_b32_e32 v26, v4
	v_cmpx_gt_u32_e32 8, v1
; %bb.190:                              ;   in Loop: Header=BB372_10 Depth=1
	v_ffbh_u32_e32 v0, v4
	v_min_u32_e32 v0, 32, v0
	v_subrev_nc_u32_e32 v1, 28, v0
	v_sub_nc_u32_e32 v0, 29, v0
	v_lshlrev_b64 v[1:2], v1, v[4:5]
	v_and_b32_e32 v26, 7, v1
; %bb.191:                              ;   in Loop: Header=BB372_10 Depth=1
	s_or_b32 exec_lo, exec_lo, s20
	v_mov_b32_e32 v1, 24
	v_lshlrev_b32_e32 v2, 20, v26
	v_lshl_add_u32 v0, v0, 23, 0x3c000000
	v_lshlrev_b32_sdwa v1, v1, v25 dst_sel:DWORD dst_unused:UNUSED_PAD src0_sel:DWORD src1_sel:WORD_1
	v_and_b32_e32 v1, 0x80000000, v1
	v_or3_b32 v0, v2, v1, v0
	buffer_store_dword v0, off, s[0:3], s32 offset:248 ; 4-byte Folded Spill
.LBB372_192:                            ;   in Loop: Header=BB372_10 Depth=1
	s_or_b32 exec_lo, exec_lo, s19
.LBB372_193:                            ;   in Loop: Header=BB372_10 Depth=1
	s_or_b32 exec_lo, exec_lo, s17
.LBB372_194:                            ;   in Loop: Header=BB372_10 Depth=1
	s_or_b32 exec_lo, exec_lo, s6
	v_mov_b32_e32 v0, 0
	s_mov_b32 s6, exec_lo
	buffer_store_dword v0, off, s[0:3], s32 offset:260 ; 4-byte Folded Spill
	v_mov_b32_e32 v0, 0
	buffer_store_dword v0, off, s[0:3], s32 offset:256 ; 4-byte Folded Spill
	v_cmpx_lt_u64_e64 s[8:9], v[24:25]
	s_cbranch_execz .LBB372_202
; %bb.195:                              ;   in Loop: Header=BB372_10 Depth=1
	v_cmp_ne_u32_sdwa s5, v25, v71 src0_sel:BYTE_3 src1_sel:DWORD
	v_bfrev_b32_e32 v0, 1
	buffer_store_dword v0, off, s[0:3], s32 offset:256 ; 4-byte Folded Spill
	s_and_saveexec_b32 s17, s5
	s_cbranch_execz .LBB372_201
; %bb.196:                              ;   in Loop: Header=BB372_10 Depth=1
	v_bfe_u32 v1, v25, 24, 7
	v_mov_b32_e32 v0, 0x7f800001
	s_mov_b32 s19, exec_lo
	buffer_store_dword v0, off, s[0:3], s32 offset:256 ; 4-byte Folded Spill
	v_cmpx_ne_u32_e32 0x7f, v1
	s_cbranch_execz .LBB372_200
; %bb.197:                              ;   in Loop: Header=BB372_10 Depth=1
	v_mov_b32_e32 v0, 7
	s_mov_b32 s20, exec_lo
	v_and_b32_sdwa v4, v25, v0 dst_sel:DWORD dst_unused:UNUSED_PAD src0_sel:BYTE_3 src1_sel:DWORD
	v_mov_b32_e32 v27, v5
	v_lshrrev_b32_e32 v0, 3, v1
	v_mov_b32_e32 v26, v4
	v_cmpx_gt_u32_e32 8, v1
; %bb.198:                              ;   in Loop: Header=BB372_10 Depth=1
	v_ffbh_u32_e32 v0, v4
	v_min_u32_e32 v0, 32, v0
	v_subrev_nc_u32_e32 v1, 28, v0
	v_sub_nc_u32_e32 v0, 29, v0
	v_lshlrev_b64 v[1:2], v1, v[4:5]
	v_and_b32_e32 v26, 7, v1
; %bb.199:                              ;   in Loop: Header=BB372_10 Depth=1
	s_or_b32 exec_lo, exec_lo, s20
	v_mov_b32_e32 v1, 24
	v_lshlrev_b32_e32 v2, 20, v26
	v_lshl_add_u32 v0, v0, 23, 0x3c000000
	v_lshlrev_b32_sdwa v1, v1, v25 dst_sel:DWORD dst_unused:UNUSED_PAD src0_sel:DWORD src1_sel:BYTE_3
	v_and_b32_e32 v1, 0x80000000, v1
	v_or3_b32 v0, v2, v1, v0
	buffer_store_dword v0, off, s[0:3], s32 offset:256 ; 4-byte Folded Spill
.LBB372_200:                            ;   in Loop: Header=BB372_10 Depth=1
	s_or_b32 exec_lo, exec_lo, s19
.LBB372_201:                            ;   in Loop: Header=BB372_10 Depth=1
	s_or_b32 exec_lo, exec_lo, s17
.LBB372_202:                            ;   in Loop: Header=BB372_10 Depth=1
	s_or_b32 exec_lo, exec_lo, s6
	flat_load_dwordx2 v[24:25], v[16:17] offset:520
	s_waitcnt vmcnt(0) lgkmcnt(0)
	v_cmp_ne_u16_sdwa s5, v24, v5 src0_sel:BYTE_0 src1_sel:DWORD
	s_and_saveexec_b32 s6, s5
	s_cbranch_execz .LBB372_210
; %bb.203:                              ;   in Loop: Header=BB372_10 Depth=1
	v_cmp_ne_u16_sdwa s5, v24, v71 src0_sel:BYTE_0 src1_sel:DWORD
	v_bfrev_b32_e32 v0, 1
	buffer_store_dword v0, off, s[0:3], s32 offset:260 ; 4-byte Folded Spill
	s_and_saveexec_b32 s17, s5
	s_cbranch_execz .LBB372_209
; %bb.204:                              ;   in Loop: Header=BB372_10 Depth=1
	v_and_b32_e32 v1, 0x7f, v24
	v_mov_b32_e32 v0, 0x7f800001
	s_mov_b32 s19, exec_lo
	buffer_store_dword v0, off, s[0:3], s32 offset:260 ; 4-byte Folded Spill
	v_cmpx_ne_u32_e32 0x7f, v1
	s_cbranch_execz .LBB372_208
; %bb.205:                              ;   in Loop: Header=BB372_10 Depth=1
	v_mov_b32_e32 v27, v25
	v_lshrrev_b32_e32 v0, 3, v1
	v_mov_b32_e32 v26, v24
	s_mov_b32 s20, exec_lo
	v_cmpx_gt_u32_e32 8, v1
; %bb.206:                              ;   in Loop: Header=BB372_10 Depth=1
	v_and_b32_e32 v0, 7, v24
	v_ffbh_u32_e32 v0, v0
	v_min_u32_e32 v0, 32, v0
	v_subrev_nc_u32_e32 v1, 28, v0
	v_sub_nc_u32_e32 v0, 29, v0
	v_lshlrev_b64 v[26:27], v1, v[24:25]
; %bb.207:                              ;   in Loop: Header=BB372_10 Depth=1
	s_or_b32 exec_lo, exec_lo, s20
	v_lshlrev_b32_e32 v1, 20, v26
	v_lshlrev_b32_e32 v2, 24, v24
	v_lshl_add_u32 v0, v0, 23, 0x3c000000
	v_and_b32_e32 v1, 0x700000, v1
	v_and_b32_e32 v2, 0x80000000, v2
	v_or3_b32 v0, v1, v2, v0
	buffer_store_dword v0, off, s[0:3], s32 offset:260 ; 4-byte Folded Spill
.LBB372_208:                            ;   in Loop: Header=BB372_10 Depth=1
	s_or_b32 exec_lo, exec_lo, s19
.LBB372_209:                            ;   in Loop: Header=BB372_10 Depth=1
	s_or_b32 exec_lo, exec_lo, s17
.LBB372_210:                            ;   in Loop: Header=BB372_10 Depth=1
	s_or_b32 exec_lo, exec_lo, s6
	v_mov_b32_e32 v0, 0
	v_cmp_ne_u16_sdwa s5, v24, v5 src0_sel:BYTE_1 src1_sel:DWORD
	buffer_store_dword v0, off, s[0:3], s32 offset:268 ; 4-byte Folded Spill
	v_mov_b32_e32 v0, 0
	buffer_store_dword v0, off, s[0:3], s32 offset:264 ; 4-byte Folded Spill
	s_and_saveexec_b32 s6, s5
	s_cbranch_execz .LBB372_218
; %bb.211:                              ;   in Loop: Header=BB372_10 Depth=1
	v_cmp_ne_u16_sdwa s5, v24, v71 src0_sel:BYTE_1 src1_sel:DWORD
	v_bfrev_b32_e32 v0, 1
	buffer_store_dword v0, off, s[0:3], s32 offset:264 ; 4-byte Folded Spill
	s_and_saveexec_b32 s17, s5
	s_cbranch_execz .LBB372_217
; %bb.212:                              ;   in Loop: Header=BB372_10 Depth=1
	v_mov_b32_e32 v0, 0xffff
	v_mov_b32_e32 v2, 0x7f800001
	s_mov_b32 s19, exec_lo
	v_and_b32_sdwa v0, v0, v24 dst_sel:DWORD dst_unused:UNUSED_PAD src0_sel:DWORD src1_sel:BYTE_1
	buffer_store_dword v2, off, s[0:3], s32 offset:264 ; 4-byte Folded Spill
	v_and_b32_e32 v1, 0x7f, v0
	v_cmpx_ne_u32_e32 0x7f, v1
	s_cbranch_execz .LBB372_216
; %bb.213:                              ;   in Loop: Header=BB372_10 Depth=1
	v_and_b32_e32 v4, 7, v0
	v_mov_b32_e32 v27, v5
	v_lshrrev_b32_e32 v0, 3, v1
	s_mov_b32 s20, exec_lo
	v_mov_b32_e32 v26, v4
	v_cmpx_gt_u32_e32 8, v1
; %bb.214:                              ;   in Loop: Header=BB372_10 Depth=1
	v_ffbh_u32_e32 v0, v4
	v_min_u32_e32 v0, 32, v0
	v_subrev_nc_u32_e32 v1, 28, v0
	v_sub_nc_u32_e32 v0, 29, v0
	v_lshlrev_b64 v[1:2], v1, v[4:5]
	v_and_b32_e32 v26, 7, v1
; %bb.215:                              ;   in Loop: Header=BB372_10 Depth=1
	s_or_b32 exec_lo, exec_lo, s20
	v_lshlrev_b32_e32 v1, 16, v24
	v_lshlrev_b32_e32 v2, 20, v26
	v_lshl_add_u32 v0, v0, 23, 0x3c000000
	v_and_b32_e32 v1, 0x80000000, v1
	v_or3_b32 v0, v2, v1, v0
	buffer_store_dword v0, off, s[0:3], s32 offset:264 ; 4-byte Folded Spill
.LBB372_216:                            ;   in Loop: Header=BB372_10 Depth=1
	s_or_b32 exec_lo, exec_lo, s19
.LBB372_217:                            ;   in Loop: Header=BB372_10 Depth=1
	s_or_b32 exec_lo, exec_lo, s17
.LBB372_218:                            ;   in Loop: Header=BB372_10 Depth=1
	s_or_b32 exec_lo, exec_lo, s6
	v_mov_b32_e32 v0, 0xff
	s_mov_b32 s6, exec_lo
	v_and_b32_sdwa v0, v24, v0 dst_sel:DWORD dst_unused:UNUSED_PAD src0_sel:WORD_1 src1_sel:DWORD
	v_cmpx_ne_u16_e32 0, v0
	s_cbranch_execz .LBB372_226
; %bb.219:                              ;   in Loop: Header=BB372_10 Depth=1
	v_cmp_ne_u16_e64 s5, 0x80, v0
	v_bfrev_b32_e32 v0, 1
	buffer_store_dword v0, off, s[0:3], s32 offset:268 ; 4-byte Folded Spill
	s_and_saveexec_b32 s17, s5
	s_cbranch_execz .LBB372_225
; %bb.220:                              ;   in Loop: Header=BB372_10 Depth=1
	v_bfe_u32 v1, v24, 16, 7
	v_mov_b32_e32 v0, 0x7f800001
	s_mov_b32 s19, exec_lo
	buffer_store_dword v0, off, s[0:3], s32 offset:268 ; 4-byte Folded Spill
	v_cmpx_ne_u32_e32 0x7f, v1
	s_cbranch_execz .LBB372_224
; %bb.221:                              ;   in Loop: Header=BB372_10 Depth=1
	v_mov_b32_e32 v0, 7
	s_mov_b32 s20, exec_lo
	v_and_b32_sdwa v4, v24, v0 dst_sel:DWORD dst_unused:UNUSED_PAD src0_sel:WORD_1 src1_sel:DWORD
	v_mov_b32_e32 v27, v5
	v_lshrrev_b32_e32 v0, 3, v1
	v_mov_b32_e32 v26, v4
	v_cmpx_gt_u32_e32 8, v1
; %bb.222:                              ;   in Loop: Header=BB372_10 Depth=1
	v_ffbh_u32_e32 v0, v4
	v_min_u32_e32 v0, 32, v0
	v_subrev_nc_u32_e32 v1, 28, v0
	v_sub_nc_u32_e32 v0, 29, v0
	v_lshlrev_b64 v[1:2], v1, v[4:5]
	v_and_b32_e32 v26, 7, v1
; %bb.223:                              ;   in Loop: Header=BB372_10 Depth=1
	s_or_b32 exec_lo, exec_lo, s20
	v_mov_b32_e32 v1, 24
	v_lshlrev_b32_e32 v2, 20, v26
	v_lshl_add_u32 v0, v0, 23, 0x3c000000
	v_lshlrev_b32_sdwa v1, v1, v24 dst_sel:DWORD dst_unused:UNUSED_PAD src0_sel:DWORD src1_sel:WORD_1
	v_and_b32_e32 v1, 0x80000000, v1
	v_or3_b32 v0, v2, v1, v0
	buffer_store_dword v0, off, s[0:3], s32 offset:268 ; 4-byte Folded Spill
.LBB372_224:                            ;   in Loop: Header=BB372_10 Depth=1
	s_or_b32 exec_lo, exec_lo, s19
.LBB372_225:                            ;   in Loop: Header=BB372_10 Depth=1
	s_or_b32 exec_lo, exec_lo, s17
.LBB372_226:                            ;   in Loop: Header=BB372_10 Depth=1
	s_or_b32 exec_lo, exec_lo, s6
	v_mov_b32_e32 v0, 0
	s_mov_b32 s6, exec_lo
	buffer_store_dword v0, off, s[0:3], s32 offset:276 ; 4-byte Folded Spill
	v_mov_b32_e32 v0, 0
	buffer_store_dword v0, off, s[0:3], s32 offset:272 ; 4-byte Folded Spill
	v_cmpx_lt_u32_e32 0xffffff, v24
	s_cbranch_execz .LBB372_234
; %bb.227:                              ;   in Loop: Header=BB372_10 Depth=1
	v_cmp_ne_u32_sdwa s5, v24, v71 src0_sel:BYTE_3 src1_sel:DWORD
	v_bfrev_b32_e32 v0, 1
	buffer_store_dword v0, off, s[0:3], s32 offset:272 ; 4-byte Folded Spill
	s_and_saveexec_b32 s17, s5
	s_cbranch_execz .LBB372_233
; %bb.228:                              ;   in Loop: Header=BB372_10 Depth=1
	v_bfe_u32 v1, v24, 24, 7
	v_mov_b32_e32 v0, 0x7f800001
	s_mov_b32 s19, exec_lo
	buffer_store_dword v0, off, s[0:3], s32 offset:272 ; 4-byte Folded Spill
	v_cmpx_ne_u32_e32 0x7f, v1
	s_cbranch_execz .LBB372_232
; %bb.229:                              ;   in Loop: Header=BB372_10 Depth=1
	v_mov_b32_e32 v0, 7
	s_mov_b32 s20, exec_lo
	v_and_b32_sdwa v4, v24, v0 dst_sel:DWORD dst_unused:UNUSED_PAD src0_sel:BYTE_3 src1_sel:DWORD
	v_mov_b32_e32 v27, v5
	v_lshrrev_b32_e32 v0, 3, v1
	v_mov_b32_e32 v26, v4
	v_cmpx_gt_u32_e32 8, v1
; %bb.230:                              ;   in Loop: Header=BB372_10 Depth=1
	v_ffbh_u32_e32 v0, v4
	v_min_u32_e32 v0, 32, v0
	v_subrev_nc_u32_e32 v1, 28, v0
	v_sub_nc_u32_e32 v0, 29, v0
	v_lshlrev_b64 v[1:2], v1, v[4:5]
	v_and_b32_e32 v26, 7, v1
; %bb.231:                              ;   in Loop: Header=BB372_10 Depth=1
	s_or_b32 exec_lo, exec_lo, s20
	v_mov_b32_e32 v1, 24
	v_lshlrev_b32_e32 v2, 20, v26
	v_lshl_add_u32 v0, v0, 23, 0x3c000000
	v_lshlrev_b32_sdwa v1, v1, v24 dst_sel:DWORD dst_unused:UNUSED_PAD src0_sel:DWORD src1_sel:BYTE_3
	v_and_b32_e32 v1, 0x80000000, v1
	v_or3_b32 v0, v2, v1, v0
	buffer_store_dword v0, off, s[0:3], s32 offset:272 ; 4-byte Folded Spill
.LBB372_232:                            ;   in Loop: Header=BB372_10 Depth=1
	s_or_b32 exec_lo, exec_lo, s19
.LBB372_233:                            ;   in Loop: Header=BB372_10 Depth=1
	s_or_b32 exec_lo, exec_lo, s17
.LBB372_234:                            ;   in Loop: Header=BB372_10 Depth=1
	s_or_b32 exec_lo, exec_lo, s6
	v_mov_b32_e32 v4, v25
	v_cmp_ne_u16_sdwa s5, v25, v5 src0_sel:BYTE_0 src1_sel:DWORD
	s_and_saveexec_b32 s6, s5
	s_cbranch_execz .LBB372_242
; %bb.235:                              ;   in Loop: Header=BB372_10 Depth=1
	v_cmp_ne_u16_sdwa s5, v25, v71 src0_sel:BYTE_0 src1_sel:DWORD
	v_bfrev_b32_e32 v0, 1
	buffer_store_dword v0, off, s[0:3], s32 offset:276 ; 4-byte Folded Spill
	s_and_saveexec_b32 s17, s5
	s_cbranch_execz .LBB372_241
; %bb.236:                              ;   in Loop: Header=BB372_10 Depth=1
	v_and_b32_e32 v1, 0x7f, v25
	v_mov_b32_e32 v0, 0x7f800001
	s_mov_b32 s19, exec_lo
	buffer_store_dword v0, off, s[0:3], s32 offset:276 ; 4-byte Folded Spill
	v_cmpx_ne_u32_e32 0x7f, v1
	s_cbranch_execz .LBB372_240
; %bb.237:                              ;   in Loop: Header=BB372_10 Depth=1
	v_mov_b32_e32 v27, v5
	v_lshrrev_b32_e32 v0, 3, v1
	v_mov_b32_e32 v26, v4
	s_mov_b32 s20, exec_lo
	v_cmpx_gt_u32_e32 8, v1
; %bb.238:                              ;   in Loop: Header=BB372_10 Depth=1
	v_and_b32_e32 v0, 7, v25
	v_ffbh_u32_e32 v0, v0
	v_min_u32_e32 v0, 32, v0
	v_subrev_nc_u32_e32 v1, 28, v0
	v_sub_nc_u32_e32 v0, 29, v0
	v_lshlrev_b64 v[26:27], v1, v[4:5]
; %bb.239:                              ;   in Loop: Header=BB372_10 Depth=1
	s_or_b32 exec_lo, exec_lo, s20
	v_lshlrev_b32_e32 v1, 20, v26
	v_lshlrev_b32_e32 v2, 24, v4
	v_lshl_add_u32 v0, v0, 23, 0x3c000000
	v_and_b32_e32 v1, 0x700000, v1
	v_and_b32_e32 v2, 0x80000000, v2
	v_or3_b32 v0, v1, v2, v0
	buffer_store_dword v0, off, s[0:3], s32 offset:276 ; 4-byte Folded Spill
.LBB372_240:                            ;   in Loop: Header=BB372_10 Depth=1
	s_or_b32 exec_lo, exec_lo, s19
.LBB372_241:                            ;   in Loop: Header=BB372_10 Depth=1
	s_or_b32 exec_lo, exec_lo, s17
.LBB372_242:                            ;   in Loop: Header=BB372_10 Depth=1
	s_or_b32 exec_lo, exec_lo, s6
	v_mov_b32_e32 v0, 0
	v_cmp_ne_u16_sdwa s5, v4, v5 src0_sel:BYTE_1 src1_sel:DWORD
	buffer_store_dword v0, off, s[0:3], s32 offset:280 ; 4-byte Folded Spill
	v_mov_b32_e32 v0, 0
	buffer_store_dword v0, off, s[0:3], s32 offset:284 ; 4-byte Folded Spill
	s_and_saveexec_b32 s6, s5
	s_cbranch_execz .LBB372_250
; %bb.243:                              ;   in Loop: Header=BB372_10 Depth=1
	v_cmp_ne_u16_sdwa s5, v4, v71 src0_sel:BYTE_1 src1_sel:DWORD
	v_bfrev_b32_e32 v0, 1
	buffer_store_dword v0, off, s[0:3], s32 offset:284 ; 4-byte Folded Spill
	s_and_saveexec_b32 s17, s5
	s_cbranch_execz .LBB372_249
; %bb.244:                              ;   in Loop: Header=BB372_10 Depth=1
	v_mov_b32_e32 v0, 0xffff
	v_mov_b32_e32 v2, 0x7f800001
	s_mov_b32 s19, exec_lo
	v_and_b32_sdwa v0, v0, v4 dst_sel:DWORD dst_unused:UNUSED_PAD src0_sel:DWORD src1_sel:BYTE_1
	buffer_store_dword v2, off, s[0:3], s32 offset:284 ; 4-byte Folded Spill
	v_and_b32_e32 v1, 0x7f, v0
	v_cmpx_ne_u32_e32 0x7f, v1
	s_cbranch_execz .LBB372_248
; %bb.245:                              ;   in Loop: Header=BB372_10 Depth=1
	v_and_b32_e32 v26, 7, v0
	v_mov_b32_e32 v27, v5
	v_lshrrev_b32_e32 v0, 3, v1
	s_mov_b32 s20, exec_lo
	v_cmpx_gt_u32_e32 8, v1
; %bb.246:                              ;   in Loop: Header=BB372_10 Depth=1
	v_ffbh_u32_e32 v0, v26
	v_min_u32_e32 v0, 32, v0
	v_subrev_nc_u32_e32 v1, 28, v0
	v_sub_nc_u32_e32 v0, 29, v0
	v_lshlrev_b64 v[1:2], v1, v[26:27]
	v_and_b32_e32 v26, 7, v1
; %bb.247:                              ;   in Loop: Header=BB372_10 Depth=1
	s_or_b32 exec_lo, exec_lo, s20
	v_lshlrev_b32_e32 v1, 16, v4
	v_lshlrev_b32_e32 v2, 20, v26
	v_lshl_add_u32 v0, v0, 23, 0x3c000000
	v_and_b32_e32 v1, 0x80000000, v1
	v_or3_b32 v0, v2, v1, v0
	buffer_store_dword v0, off, s[0:3], s32 offset:284 ; 4-byte Folded Spill
.LBB372_248:                            ;   in Loop: Header=BB372_10 Depth=1
	s_or_b32 exec_lo, exec_lo, s19
.LBB372_249:                            ;   in Loop: Header=BB372_10 Depth=1
	s_or_b32 exec_lo, exec_lo, s17
.LBB372_250:                            ;   in Loop: Header=BB372_10 Depth=1
	s_or_b32 exec_lo, exec_lo, s6
	v_mov_b32_e32 v0, 0xff
	s_mov_b32 s6, exec_lo
	v_and_b32_sdwa v0, v25, v0 dst_sel:DWORD dst_unused:UNUSED_PAD src0_sel:WORD_1 src1_sel:DWORD
	v_cmpx_ne_u16_e32 0, v0
	s_cbranch_execz .LBB372_258
; %bb.251:                              ;   in Loop: Header=BB372_10 Depth=1
	v_cmp_ne_u16_e64 s5, 0x80, v0
	v_bfrev_b32_e32 v0, 1
	buffer_store_dword v0, off, s[0:3], s32 offset:280 ; 4-byte Folded Spill
	s_and_saveexec_b32 s17, s5
	s_cbranch_execz .LBB372_257
; %bb.252:                              ;   in Loop: Header=BB372_10 Depth=1
	v_bfe_u32 v1, v25, 16, 7
	v_mov_b32_e32 v0, 0x7f800001
	s_mov_b32 s19, exec_lo
	buffer_store_dword v0, off, s[0:3], s32 offset:280 ; 4-byte Folded Spill
	v_cmpx_ne_u32_e32 0x7f, v1
	s_cbranch_execz .LBB372_256
; %bb.253:                              ;   in Loop: Header=BB372_10 Depth=1
	v_mov_b32_e32 v0, 7
	s_mov_b32 s20, exec_lo
	v_and_b32_sdwa v4, v25, v0 dst_sel:DWORD dst_unused:UNUSED_PAD src0_sel:WORD_1 src1_sel:DWORD
	v_mov_b32_e32 v27, v5
	v_lshrrev_b32_e32 v0, 3, v1
	v_mov_b32_e32 v26, v4
	v_cmpx_gt_u32_e32 8, v1
; %bb.254:                              ;   in Loop: Header=BB372_10 Depth=1
	v_ffbh_u32_e32 v0, v4
	v_min_u32_e32 v0, 32, v0
	v_subrev_nc_u32_e32 v1, 28, v0
	v_sub_nc_u32_e32 v0, 29, v0
	v_lshlrev_b64 v[1:2], v1, v[4:5]
	v_and_b32_e32 v26, 7, v1
; %bb.255:                              ;   in Loop: Header=BB372_10 Depth=1
	s_or_b32 exec_lo, exec_lo, s20
	v_mov_b32_e32 v1, 24
	v_lshlrev_b32_e32 v2, 20, v26
	v_lshl_add_u32 v0, v0, 23, 0x3c000000
	v_lshlrev_b32_sdwa v1, v1, v25 dst_sel:DWORD dst_unused:UNUSED_PAD src0_sel:DWORD src1_sel:WORD_1
	v_and_b32_e32 v1, 0x80000000, v1
	v_or3_b32 v0, v2, v1, v0
	buffer_store_dword v0, off, s[0:3], s32 offset:280 ; 4-byte Folded Spill
.LBB372_256:                            ;   in Loop: Header=BB372_10 Depth=1
	s_or_b32 exec_lo, exec_lo, s19
.LBB372_257:                            ;   in Loop: Header=BB372_10 Depth=1
	s_or_b32 exec_lo, exec_lo, s17
.LBB372_258:                            ;   in Loop: Header=BB372_10 Depth=1
	s_or_b32 exec_lo, exec_lo, s6
	v_mov_b32_e32 v0, 0
	s_mov_b32 s6, exec_lo
	buffer_store_dword v0, off, s[0:3], s32 offset:292 ; 4-byte Folded Spill
	v_mov_b32_e32 v0, 0
	buffer_store_dword v0, off, s[0:3], s32 offset:288 ; 4-byte Folded Spill
	v_cmpx_lt_u64_e64 s[8:9], v[24:25]
	s_cbranch_execz .LBB372_266
; %bb.259:                              ;   in Loop: Header=BB372_10 Depth=1
	v_cmp_ne_u32_sdwa s5, v25, v71 src0_sel:BYTE_3 src1_sel:DWORD
	v_bfrev_b32_e32 v0, 1
	buffer_store_dword v0, off, s[0:3], s32 offset:288 ; 4-byte Folded Spill
	s_and_saveexec_b32 s17, s5
	s_cbranch_execz .LBB372_265
; %bb.260:                              ;   in Loop: Header=BB372_10 Depth=1
	v_bfe_u32 v1, v25, 24, 7
	v_mov_b32_e32 v0, 0x7f800001
	s_mov_b32 s19, exec_lo
	buffer_store_dword v0, off, s[0:3], s32 offset:288 ; 4-byte Folded Spill
	v_cmpx_ne_u32_e32 0x7f, v1
	s_cbranch_execz .LBB372_264
; %bb.261:                              ;   in Loop: Header=BB372_10 Depth=1
	v_mov_b32_e32 v0, 7
	s_mov_b32 s20, exec_lo
	v_and_b32_sdwa v4, v25, v0 dst_sel:DWORD dst_unused:UNUSED_PAD src0_sel:BYTE_3 src1_sel:DWORD
	v_mov_b32_e32 v27, v5
	v_lshrrev_b32_e32 v0, 3, v1
	v_mov_b32_e32 v26, v4
	v_cmpx_gt_u32_e32 8, v1
; %bb.262:                              ;   in Loop: Header=BB372_10 Depth=1
	v_ffbh_u32_e32 v0, v4
	v_min_u32_e32 v0, 32, v0
	v_subrev_nc_u32_e32 v1, 28, v0
	v_sub_nc_u32_e32 v0, 29, v0
	v_lshlrev_b64 v[1:2], v1, v[4:5]
	v_and_b32_e32 v26, 7, v1
; %bb.263:                              ;   in Loop: Header=BB372_10 Depth=1
	s_or_b32 exec_lo, exec_lo, s20
	v_mov_b32_e32 v1, 24
	v_lshlrev_b32_e32 v2, 20, v26
	v_lshl_add_u32 v0, v0, 23, 0x3c000000
	v_lshlrev_b32_sdwa v1, v1, v25 dst_sel:DWORD dst_unused:UNUSED_PAD src0_sel:DWORD src1_sel:BYTE_3
	v_and_b32_e32 v1, 0x80000000, v1
	v_or3_b32 v0, v2, v1, v0
	buffer_store_dword v0, off, s[0:3], s32 offset:288 ; 4-byte Folded Spill
.LBB372_264:                            ;   in Loop: Header=BB372_10 Depth=1
	s_or_b32 exec_lo, exec_lo, s19
.LBB372_265:                            ;   in Loop: Header=BB372_10 Depth=1
	s_or_b32 exec_lo, exec_lo, s17
.LBB372_266:                            ;   in Loop: Header=BB372_10 Depth=1
	s_or_b32 exec_lo, exec_lo, s6
	flat_load_dwordx2 v[24:25], v[16:17] offset:1024
	s_waitcnt vmcnt(0) lgkmcnt(0)
	v_cmp_ne_u16_sdwa s5, v24, v5 src0_sel:BYTE_0 src1_sel:DWORD
	s_and_saveexec_b32 s6, s5
	s_cbranch_execz .LBB372_274
; %bb.267:                              ;   in Loop: Header=BB372_10 Depth=1
	v_cmp_ne_u16_sdwa s5, v24, v71 src0_sel:BYTE_0 src1_sel:DWORD
	v_bfrev_b32_e32 v0, 1
	buffer_store_dword v0, off, s[0:3], s32 offset:292 ; 4-byte Folded Spill
	s_and_saveexec_b32 s17, s5
	s_cbranch_execz .LBB372_273
; %bb.268:                              ;   in Loop: Header=BB372_10 Depth=1
	v_and_b32_e32 v1, 0x7f, v24
	v_mov_b32_e32 v0, 0x7f800001
	s_mov_b32 s19, exec_lo
	buffer_store_dword v0, off, s[0:3], s32 offset:292 ; 4-byte Folded Spill
	v_cmpx_ne_u32_e32 0x7f, v1
	s_cbranch_execz .LBB372_272
; %bb.269:                              ;   in Loop: Header=BB372_10 Depth=1
	v_mov_b32_e32 v27, v25
	v_lshrrev_b32_e32 v0, 3, v1
	v_mov_b32_e32 v26, v24
	s_mov_b32 s20, exec_lo
	v_cmpx_gt_u32_e32 8, v1
; %bb.270:                              ;   in Loop: Header=BB372_10 Depth=1
	v_and_b32_e32 v0, 7, v24
	v_ffbh_u32_e32 v0, v0
	v_min_u32_e32 v0, 32, v0
	v_subrev_nc_u32_e32 v1, 28, v0
	v_sub_nc_u32_e32 v0, 29, v0
	v_lshlrev_b64 v[26:27], v1, v[24:25]
; %bb.271:                              ;   in Loop: Header=BB372_10 Depth=1
	s_or_b32 exec_lo, exec_lo, s20
	v_lshlrev_b32_e32 v1, 20, v26
	v_lshlrev_b32_e32 v2, 24, v24
	v_lshl_add_u32 v0, v0, 23, 0x3c000000
	v_and_b32_e32 v1, 0x700000, v1
	v_and_b32_e32 v2, 0x80000000, v2
	v_or3_b32 v0, v1, v2, v0
	buffer_store_dword v0, off, s[0:3], s32 offset:292 ; 4-byte Folded Spill
.LBB372_272:                            ;   in Loop: Header=BB372_10 Depth=1
	s_or_b32 exec_lo, exec_lo, s19
.LBB372_273:                            ;   in Loop: Header=BB372_10 Depth=1
	s_or_b32 exec_lo, exec_lo, s17
.LBB372_274:                            ;   in Loop: Header=BB372_10 Depth=1
	s_or_b32 exec_lo, exec_lo, s6
	v_mov_b32_e32 v0, 0
	v_cmp_ne_u16_sdwa s5, v24, v5 src0_sel:BYTE_1 src1_sel:DWORD
	buffer_store_dword v0, off, s[0:3], s32 offset:300 ; 4-byte Folded Spill
	v_mov_b32_e32 v0, 0
	buffer_store_dword v0, off, s[0:3], s32 offset:296 ; 4-byte Folded Spill
	s_and_saveexec_b32 s6, s5
	s_cbranch_execz .LBB372_282
; %bb.275:                              ;   in Loop: Header=BB372_10 Depth=1
	v_cmp_ne_u16_sdwa s5, v24, v71 src0_sel:BYTE_1 src1_sel:DWORD
	v_bfrev_b32_e32 v0, 1
	buffer_store_dword v0, off, s[0:3], s32 offset:296 ; 4-byte Folded Spill
	s_and_saveexec_b32 s17, s5
	s_cbranch_execz .LBB372_281
; %bb.276:                              ;   in Loop: Header=BB372_10 Depth=1
	v_mov_b32_e32 v0, 0xffff
	v_mov_b32_e32 v2, 0x7f800001
	s_mov_b32 s19, exec_lo
	v_and_b32_sdwa v0, v0, v24 dst_sel:DWORD dst_unused:UNUSED_PAD src0_sel:DWORD src1_sel:BYTE_1
	buffer_store_dword v2, off, s[0:3], s32 offset:296 ; 4-byte Folded Spill
	v_and_b32_e32 v1, 0x7f, v0
	v_cmpx_ne_u32_e32 0x7f, v1
	s_cbranch_execz .LBB372_280
; %bb.277:                              ;   in Loop: Header=BB372_10 Depth=1
	v_and_b32_e32 v4, 7, v0
	v_mov_b32_e32 v27, v5
	v_lshrrev_b32_e32 v0, 3, v1
	s_mov_b32 s20, exec_lo
	v_mov_b32_e32 v26, v4
	v_cmpx_gt_u32_e32 8, v1
; %bb.278:                              ;   in Loop: Header=BB372_10 Depth=1
	v_ffbh_u32_e32 v0, v4
	v_min_u32_e32 v0, 32, v0
	v_subrev_nc_u32_e32 v1, 28, v0
	v_sub_nc_u32_e32 v0, 29, v0
	v_lshlrev_b64 v[1:2], v1, v[4:5]
	v_and_b32_e32 v26, 7, v1
; %bb.279:                              ;   in Loop: Header=BB372_10 Depth=1
	s_or_b32 exec_lo, exec_lo, s20
	v_lshlrev_b32_e32 v1, 16, v24
	v_lshlrev_b32_e32 v2, 20, v26
	v_lshl_add_u32 v0, v0, 23, 0x3c000000
	v_and_b32_e32 v1, 0x80000000, v1
	v_or3_b32 v0, v2, v1, v0
	buffer_store_dword v0, off, s[0:3], s32 offset:296 ; 4-byte Folded Spill
.LBB372_280:                            ;   in Loop: Header=BB372_10 Depth=1
	s_or_b32 exec_lo, exec_lo, s19
.LBB372_281:                            ;   in Loop: Header=BB372_10 Depth=1
	s_or_b32 exec_lo, exec_lo, s17
.LBB372_282:                            ;   in Loop: Header=BB372_10 Depth=1
	s_or_b32 exec_lo, exec_lo, s6
	v_mov_b32_e32 v0, 0xff
	s_mov_b32 s6, exec_lo
	v_and_b32_sdwa v0, v24, v0 dst_sel:DWORD dst_unused:UNUSED_PAD src0_sel:WORD_1 src1_sel:DWORD
	v_cmpx_ne_u16_e32 0, v0
	s_cbranch_execz .LBB372_290
; %bb.283:                              ;   in Loop: Header=BB372_10 Depth=1
	v_cmp_ne_u16_e64 s5, 0x80, v0
	v_bfrev_b32_e32 v0, 1
	buffer_store_dword v0, off, s[0:3], s32 offset:300 ; 4-byte Folded Spill
	s_and_saveexec_b32 s17, s5
	s_cbranch_execz .LBB372_289
; %bb.284:                              ;   in Loop: Header=BB372_10 Depth=1
	v_bfe_u32 v1, v24, 16, 7
	v_mov_b32_e32 v0, 0x7f800001
	s_mov_b32 s19, exec_lo
	buffer_store_dword v0, off, s[0:3], s32 offset:300 ; 4-byte Folded Spill
	v_cmpx_ne_u32_e32 0x7f, v1
	s_cbranch_execz .LBB372_288
; %bb.285:                              ;   in Loop: Header=BB372_10 Depth=1
	v_mov_b32_e32 v0, 7
	s_mov_b32 s20, exec_lo
	v_and_b32_sdwa v4, v24, v0 dst_sel:DWORD dst_unused:UNUSED_PAD src0_sel:WORD_1 src1_sel:DWORD
	v_mov_b32_e32 v27, v5
	v_lshrrev_b32_e32 v0, 3, v1
	v_mov_b32_e32 v26, v4
	v_cmpx_gt_u32_e32 8, v1
; %bb.286:                              ;   in Loop: Header=BB372_10 Depth=1
	v_ffbh_u32_e32 v0, v4
	v_min_u32_e32 v0, 32, v0
	v_subrev_nc_u32_e32 v1, 28, v0
	v_sub_nc_u32_e32 v0, 29, v0
	v_lshlrev_b64 v[1:2], v1, v[4:5]
	v_and_b32_e32 v26, 7, v1
; %bb.287:                              ;   in Loop: Header=BB372_10 Depth=1
	s_or_b32 exec_lo, exec_lo, s20
	v_mov_b32_e32 v1, 24
	v_lshlrev_b32_e32 v2, 20, v26
	v_lshl_add_u32 v0, v0, 23, 0x3c000000
	v_lshlrev_b32_sdwa v1, v1, v24 dst_sel:DWORD dst_unused:UNUSED_PAD src0_sel:DWORD src1_sel:WORD_1
	v_and_b32_e32 v1, 0x80000000, v1
	v_or3_b32 v0, v2, v1, v0
	buffer_store_dword v0, off, s[0:3], s32 offset:300 ; 4-byte Folded Spill
.LBB372_288:                            ;   in Loop: Header=BB372_10 Depth=1
	s_or_b32 exec_lo, exec_lo, s19
.LBB372_289:                            ;   in Loop: Header=BB372_10 Depth=1
	s_or_b32 exec_lo, exec_lo, s17
.LBB372_290:                            ;   in Loop: Header=BB372_10 Depth=1
	s_or_b32 exec_lo, exec_lo, s6
	v_mov_b32_e32 v0, 0
	s_mov_b32 s6, exec_lo
	buffer_store_dword v0, off, s[0:3], s32 offset:308 ; 4-byte Folded Spill
	v_mov_b32_e32 v0, 0
	buffer_store_dword v0, off, s[0:3], s32 offset:304 ; 4-byte Folded Spill
	v_cmpx_lt_u32_e32 0xffffff, v24
	s_cbranch_execz .LBB372_298
; %bb.291:                              ;   in Loop: Header=BB372_10 Depth=1
	v_cmp_ne_u32_sdwa s5, v24, v71 src0_sel:BYTE_3 src1_sel:DWORD
	v_bfrev_b32_e32 v0, 1
	buffer_store_dword v0, off, s[0:3], s32 offset:304 ; 4-byte Folded Spill
	s_and_saveexec_b32 s17, s5
	s_cbranch_execz .LBB372_297
; %bb.292:                              ;   in Loop: Header=BB372_10 Depth=1
	v_bfe_u32 v1, v24, 24, 7
	v_mov_b32_e32 v0, 0x7f800001
	s_mov_b32 s19, exec_lo
	buffer_store_dword v0, off, s[0:3], s32 offset:304 ; 4-byte Folded Spill
	v_cmpx_ne_u32_e32 0x7f, v1
	s_cbranch_execz .LBB372_296
; %bb.293:                              ;   in Loop: Header=BB372_10 Depth=1
	v_mov_b32_e32 v0, 7
	s_mov_b32 s20, exec_lo
	v_and_b32_sdwa v4, v24, v0 dst_sel:DWORD dst_unused:UNUSED_PAD src0_sel:BYTE_3 src1_sel:DWORD
	v_mov_b32_e32 v27, v5
	v_lshrrev_b32_e32 v0, 3, v1
	v_mov_b32_e32 v26, v4
	v_cmpx_gt_u32_e32 8, v1
; %bb.294:                              ;   in Loop: Header=BB372_10 Depth=1
	v_ffbh_u32_e32 v0, v4
	v_min_u32_e32 v0, 32, v0
	v_subrev_nc_u32_e32 v1, 28, v0
	v_sub_nc_u32_e32 v0, 29, v0
	v_lshlrev_b64 v[1:2], v1, v[4:5]
	v_and_b32_e32 v26, 7, v1
; %bb.295:                              ;   in Loop: Header=BB372_10 Depth=1
	s_or_b32 exec_lo, exec_lo, s20
	v_mov_b32_e32 v1, 24
	v_lshlrev_b32_e32 v2, 20, v26
	v_lshl_add_u32 v0, v0, 23, 0x3c000000
	v_lshlrev_b32_sdwa v1, v1, v24 dst_sel:DWORD dst_unused:UNUSED_PAD src0_sel:DWORD src1_sel:BYTE_3
	v_and_b32_e32 v1, 0x80000000, v1
	v_or3_b32 v0, v2, v1, v0
	buffer_store_dword v0, off, s[0:3], s32 offset:304 ; 4-byte Folded Spill
.LBB372_296:                            ;   in Loop: Header=BB372_10 Depth=1
	s_or_b32 exec_lo, exec_lo, s19
.LBB372_297:                            ;   in Loop: Header=BB372_10 Depth=1
	s_or_b32 exec_lo, exec_lo, s17
.LBB372_298:                            ;   in Loop: Header=BB372_10 Depth=1
	s_or_b32 exec_lo, exec_lo, s6
	v_mov_b32_e32 v4, v25
	v_cmp_ne_u16_sdwa s5, v25, v5 src0_sel:BYTE_0 src1_sel:DWORD
	s_and_saveexec_b32 s6, s5
	s_cbranch_execz .LBB372_306
; %bb.299:                              ;   in Loop: Header=BB372_10 Depth=1
	v_cmp_ne_u16_sdwa s5, v25, v71 src0_sel:BYTE_0 src1_sel:DWORD
	v_bfrev_b32_e32 v0, 1
	buffer_store_dword v0, off, s[0:3], s32 offset:308 ; 4-byte Folded Spill
	s_and_saveexec_b32 s17, s5
	s_cbranch_execz .LBB372_305
; %bb.300:                              ;   in Loop: Header=BB372_10 Depth=1
	v_and_b32_e32 v1, 0x7f, v25
	v_mov_b32_e32 v0, 0x7f800001
	s_mov_b32 s19, exec_lo
	buffer_store_dword v0, off, s[0:3], s32 offset:308 ; 4-byte Folded Spill
	v_cmpx_ne_u32_e32 0x7f, v1
	s_cbranch_execz .LBB372_304
; %bb.301:                              ;   in Loop: Header=BB372_10 Depth=1
	v_mov_b32_e32 v27, v5
	v_lshrrev_b32_e32 v0, 3, v1
	v_mov_b32_e32 v26, v4
	s_mov_b32 s20, exec_lo
	v_cmpx_gt_u32_e32 8, v1
; %bb.302:                              ;   in Loop: Header=BB372_10 Depth=1
	v_and_b32_e32 v0, 7, v25
	v_ffbh_u32_e32 v0, v0
	v_min_u32_e32 v0, 32, v0
	v_subrev_nc_u32_e32 v1, 28, v0
	v_sub_nc_u32_e32 v0, 29, v0
	v_lshlrev_b64 v[26:27], v1, v[4:5]
; %bb.303:                              ;   in Loop: Header=BB372_10 Depth=1
	s_or_b32 exec_lo, exec_lo, s20
	v_lshlrev_b32_e32 v1, 20, v26
	v_lshlrev_b32_e32 v2, 24, v4
	v_lshl_add_u32 v0, v0, 23, 0x3c000000
	v_and_b32_e32 v1, 0x700000, v1
	v_and_b32_e32 v2, 0x80000000, v2
	v_or3_b32 v0, v1, v2, v0
	buffer_store_dword v0, off, s[0:3], s32 offset:308 ; 4-byte Folded Spill
.LBB372_304:                            ;   in Loop: Header=BB372_10 Depth=1
	s_or_b32 exec_lo, exec_lo, s19
.LBB372_305:                            ;   in Loop: Header=BB372_10 Depth=1
	s_or_b32 exec_lo, exec_lo, s17
.LBB372_306:                            ;   in Loop: Header=BB372_10 Depth=1
	s_or_b32 exec_lo, exec_lo, s6
	v_mov_b32_e32 v0, 0
	v_cmp_ne_u16_sdwa s5, v4, v5 src0_sel:BYTE_1 src1_sel:DWORD
	buffer_store_dword v0, off, s[0:3], s32 offset:312 ; 4-byte Folded Spill
	v_mov_b32_e32 v0, 0
	buffer_store_dword v0, off, s[0:3], s32 offset:316 ; 4-byte Folded Spill
	s_and_saveexec_b32 s6, s5
	s_cbranch_execz .LBB372_314
; %bb.307:                              ;   in Loop: Header=BB372_10 Depth=1
	v_cmp_ne_u16_sdwa s5, v4, v71 src0_sel:BYTE_1 src1_sel:DWORD
	v_bfrev_b32_e32 v0, 1
	buffer_store_dword v0, off, s[0:3], s32 offset:316 ; 4-byte Folded Spill
	s_and_saveexec_b32 s17, s5
	s_cbranch_execz .LBB372_313
; %bb.308:                              ;   in Loop: Header=BB372_10 Depth=1
	v_mov_b32_e32 v0, 0xffff
	v_mov_b32_e32 v2, 0x7f800001
	s_mov_b32 s19, exec_lo
	v_and_b32_sdwa v0, v0, v4 dst_sel:DWORD dst_unused:UNUSED_PAD src0_sel:DWORD src1_sel:BYTE_1
	buffer_store_dword v2, off, s[0:3], s32 offset:316 ; 4-byte Folded Spill
	v_and_b32_e32 v1, 0x7f, v0
	v_cmpx_ne_u32_e32 0x7f, v1
	s_cbranch_execz .LBB372_312
; %bb.309:                              ;   in Loop: Header=BB372_10 Depth=1
	v_and_b32_e32 v26, 7, v0
	v_mov_b32_e32 v27, v5
	v_lshrrev_b32_e32 v0, 3, v1
	s_mov_b32 s20, exec_lo
	v_cmpx_gt_u32_e32 8, v1
; %bb.310:                              ;   in Loop: Header=BB372_10 Depth=1
	v_ffbh_u32_e32 v0, v26
	v_min_u32_e32 v0, 32, v0
	v_subrev_nc_u32_e32 v1, 28, v0
	v_sub_nc_u32_e32 v0, 29, v0
	v_lshlrev_b64 v[1:2], v1, v[26:27]
	v_and_b32_e32 v26, 7, v1
; %bb.311:                              ;   in Loop: Header=BB372_10 Depth=1
	s_or_b32 exec_lo, exec_lo, s20
	v_lshlrev_b32_e32 v1, 16, v4
	v_lshlrev_b32_e32 v2, 20, v26
	v_lshl_add_u32 v0, v0, 23, 0x3c000000
	v_and_b32_e32 v1, 0x80000000, v1
	v_or3_b32 v0, v2, v1, v0
	buffer_store_dword v0, off, s[0:3], s32 offset:316 ; 4-byte Folded Spill
.LBB372_312:                            ;   in Loop: Header=BB372_10 Depth=1
	s_or_b32 exec_lo, exec_lo, s19
.LBB372_313:                            ;   in Loop: Header=BB372_10 Depth=1
	s_or_b32 exec_lo, exec_lo, s17
.LBB372_314:                            ;   in Loop: Header=BB372_10 Depth=1
	s_or_b32 exec_lo, exec_lo, s6
	v_mov_b32_e32 v0, 0xff
	s_mov_b32 s6, exec_lo
	v_and_b32_sdwa v0, v25, v0 dst_sel:DWORD dst_unused:UNUSED_PAD src0_sel:WORD_1 src1_sel:DWORD
	v_cmpx_ne_u16_e32 0, v0
	s_cbranch_execz .LBB372_322
; %bb.315:                              ;   in Loop: Header=BB372_10 Depth=1
	v_cmp_ne_u16_e64 s5, 0x80, v0
	v_bfrev_b32_e32 v0, 1
	buffer_store_dword v0, off, s[0:3], s32 offset:312 ; 4-byte Folded Spill
	s_and_saveexec_b32 s17, s5
	s_cbranch_execz .LBB372_321
; %bb.316:                              ;   in Loop: Header=BB372_10 Depth=1
	v_bfe_u32 v1, v25, 16, 7
	v_mov_b32_e32 v0, 0x7f800001
	s_mov_b32 s19, exec_lo
	buffer_store_dword v0, off, s[0:3], s32 offset:312 ; 4-byte Folded Spill
	v_cmpx_ne_u32_e32 0x7f, v1
	s_cbranch_execz .LBB372_320
; %bb.317:                              ;   in Loop: Header=BB372_10 Depth=1
	v_mov_b32_e32 v0, 7
	s_mov_b32 s20, exec_lo
	v_and_b32_sdwa v4, v25, v0 dst_sel:DWORD dst_unused:UNUSED_PAD src0_sel:WORD_1 src1_sel:DWORD
	v_mov_b32_e32 v27, v5
	v_lshrrev_b32_e32 v0, 3, v1
	v_mov_b32_e32 v26, v4
	v_cmpx_gt_u32_e32 8, v1
; %bb.318:                              ;   in Loop: Header=BB372_10 Depth=1
	v_ffbh_u32_e32 v0, v4
	v_min_u32_e32 v0, 32, v0
	v_subrev_nc_u32_e32 v1, 28, v0
	v_sub_nc_u32_e32 v0, 29, v0
	v_lshlrev_b64 v[1:2], v1, v[4:5]
	v_and_b32_e32 v26, 7, v1
; %bb.319:                              ;   in Loop: Header=BB372_10 Depth=1
	s_or_b32 exec_lo, exec_lo, s20
	v_mov_b32_e32 v1, 24
	v_lshlrev_b32_e32 v2, 20, v26
	v_lshl_add_u32 v0, v0, 23, 0x3c000000
	v_lshlrev_b32_sdwa v1, v1, v25 dst_sel:DWORD dst_unused:UNUSED_PAD src0_sel:DWORD src1_sel:WORD_1
	v_and_b32_e32 v1, 0x80000000, v1
	v_or3_b32 v0, v2, v1, v0
	buffer_store_dword v0, off, s[0:3], s32 offset:312 ; 4-byte Folded Spill
.LBB372_320:                            ;   in Loop: Header=BB372_10 Depth=1
	s_or_b32 exec_lo, exec_lo, s19
.LBB372_321:                            ;   in Loop: Header=BB372_10 Depth=1
	s_or_b32 exec_lo, exec_lo, s17
.LBB372_322:                            ;   in Loop: Header=BB372_10 Depth=1
	s_or_b32 exec_lo, exec_lo, s6
	v_mov_b32_e32 v0, 0
	s_mov_b32 s6, exec_lo
	buffer_store_dword v0, off, s[0:3], s32 offset:324 ; 4-byte Folded Spill
	v_mov_b32_e32 v0, 0
	buffer_store_dword v0, off, s[0:3], s32 offset:320 ; 4-byte Folded Spill
	v_cmpx_lt_u64_e64 s[8:9], v[24:25]
	s_cbranch_execz .LBB372_330
; %bb.323:                              ;   in Loop: Header=BB372_10 Depth=1
	v_cmp_ne_u32_sdwa s5, v25, v71 src0_sel:BYTE_3 src1_sel:DWORD
	v_bfrev_b32_e32 v0, 1
	buffer_store_dword v0, off, s[0:3], s32 offset:320 ; 4-byte Folded Spill
	s_and_saveexec_b32 s17, s5
	s_cbranch_execz .LBB372_329
; %bb.324:                              ;   in Loop: Header=BB372_10 Depth=1
	v_bfe_u32 v1, v25, 24, 7
	v_mov_b32_e32 v0, 0x7f800001
	s_mov_b32 s19, exec_lo
	buffer_store_dword v0, off, s[0:3], s32 offset:320 ; 4-byte Folded Spill
	v_cmpx_ne_u32_e32 0x7f, v1
	s_cbranch_execz .LBB372_328
; %bb.325:                              ;   in Loop: Header=BB372_10 Depth=1
	v_mov_b32_e32 v0, 7
	s_mov_b32 s20, exec_lo
	v_and_b32_sdwa v4, v25, v0 dst_sel:DWORD dst_unused:UNUSED_PAD src0_sel:BYTE_3 src1_sel:DWORD
	v_mov_b32_e32 v27, v5
	v_lshrrev_b32_e32 v0, 3, v1
	v_mov_b32_e32 v26, v4
	v_cmpx_gt_u32_e32 8, v1
; %bb.326:                              ;   in Loop: Header=BB372_10 Depth=1
	v_ffbh_u32_e32 v0, v4
	v_min_u32_e32 v0, 32, v0
	v_subrev_nc_u32_e32 v1, 28, v0
	v_sub_nc_u32_e32 v0, 29, v0
	v_lshlrev_b64 v[1:2], v1, v[4:5]
	v_and_b32_e32 v26, 7, v1
; %bb.327:                              ;   in Loop: Header=BB372_10 Depth=1
	s_or_b32 exec_lo, exec_lo, s20
	v_mov_b32_e32 v1, 24
	v_lshlrev_b32_e32 v2, 20, v26
	v_lshl_add_u32 v0, v0, 23, 0x3c000000
	v_lshlrev_b32_sdwa v1, v1, v25 dst_sel:DWORD dst_unused:UNUSED_PAD src0_sel:DWORD src1_sel:BYTE_3
	v_and_b32_e32 v1, 0x80000000, v1
	v_or3_b32 v0, v2, v1, v0
	buffer_store_dword v0, off, s[0:3], s32 offset:320 ; 4-byte Folded Spill
.LBB372_328:                            ;   in Loop: Header=BB372_10 Depth=1
	s_or_b32 exec_lo, exec_lo, s19
.LBB372_329:                            ;   in Loop: Header=BB372_10 Depth=1
	s_or_b32 exec_lo, exec_lo, s17
.LBB372_330:                            ;   in Loop: Header=BB372_10 Depth=1
	s_or_b32 exec_lo, exec_lo, s6
	flat_load_dwordx2 v[24:25], v[16:17] offset:1032
	s_waitcnt vmcnt(0) lgkmcnt(0)
	v_cmp_ne_u16_sdwa s5, v24, v5 src0_sel:BYTE_0 src1_sel:DWORD
	s_and_saveexec_b32 s6, s5
	s_cbranch_execz .LBB372_338
; %bb.331:                              ;   in Loop: Header=BB372_10 Depth=1
	v_cmp_ne_u16_sdwa s5, v24, v71 src0_sel:BYTE_0 src1_sel:DWORD
	v_bfrev_b32_e32 v0, 1
	buffer_store_dword v0, off, s[0:3], s32 offset:324 ; 4-byte Folded Spill
	s_and_saveexec_b32 s17, s5
	s_cbranch_execz .LBB372_337
; %bb.332:                              ;   in Loop: Header=BB372_10 Depth=1
	v_and_b32_e32 v1, 0x7f, v24
	v_mov_b32_e32 v0, 0x7f800001
	s_mov_b32 s19, exec_lo
	buffer_store_dword v0, off, s[0:3], s32 offset:324 ; 4-byte Folded Spill
	v_cmpx_ne_u32_e32 0x7f, v1
	s_cbranch_execz .LBB372_336
; %bb.333:                              ;   in Loop: Header=BB372_10 Depth=1
	v_mov_b32_e32 v27, v25
	v_lshrrev_b32_e32 v0, 3, v1
	v_mov_b32_e32 v26, v24
	s_mov_b32 s20, exec_lo
	v_cmpx_gt_u32_e32 8, v1
; %bb.334:                              ;   in Loop: Header=BB372_10 Depth=1
	v_and_b32_e32 v0, 7, v24
	v_ffbh_u32_e32 v0, v0
	v_min_u32_e32 v0, 32, v0
	v_subrev_nc_u32_e32 v1, 28, v0
	v_sub_nc_u32_e32 v0, 29, v0
	v_lshlrev_b64 v[26:27], v1, v[24:25]
; %bb.335:                              ;   in Loop: Header=BB372_10 Depth=1
	s_or_b32 exec_lo, exec_lo, s20
	v_lshlrev_b32_e32 v1, 20, v26
	v_lshlrev_b32_e32 v2, 24, v24
	v_lshl_add_u32 v0, v0, 23, 0x3c000000
	v_and_b32_e32 v1, 0x700000, v1
	v_and_b32_e32 v2, 0x80000000, v2
	v_or3_b32 v0, v1, v2, v0
	buffer_store_dword v0, off, s[0:3], s32 offset:324 ; 4-byte Folded Spill
.LBB372_336:                            ;   in Loop: Header=BB372_10 Depth=1
	s_or_b32 exec_lo, exec_lo, s19
.LBB372_337:                            ;   in Loop: Header=BB372_10 Depth=1
	s_or_b32 exec_lo, exec_lo, s17
.LBB372_338:                            ;   in Loop: Header=BB372_10 Depth=1
	s_or_b32 exec_lo, exec_lo, s6
	v_mov_b32_e32 v0, 0
	v_cmp_ne_u16_sdwa s5, v24, v5 src0_sel:BYTE_1 src1_sel:DWORD
	buffer_store_dword v0, off, s[0:3], s32 offset:332 ; 4-byte Folded Spill
	v_mov_b32_e32 v0, 0
	buffer_store_dword v0, off, s[0:3], s32 offset:328 ; 4-byte Folded Spill
	s_and_saveexec_b32 s6, s5
	s_cbranch_execz .LBB372_346
; %bb.339:                              ;   in Loop: Header=BB372_10 Depth=1
	v_cmp_ne_u16_sdwa s5, v24, v71 src0_sel:BYTE_1 src1_sel:DWORD
	v_bfrev_b32_e32 v0, 1
	buffer_store_dword v0, off, s[0:3], s32 offset:328 ; 4-byte Folded Spill
	s_and_saveexec_b32 s17, s5
	s_cbranch_execz .LBB372_345
; %bb.340:                              ;   in Loop: Header=BB372_10 Depth=1
	v_mov_b32_e32 v0, 0xffff
	v_mov_b32_e32 v2, 0x7f800001
	s_mov_b32 s19, exec_lo
	v_and_b32_sdwa v0, v0, v24 dst_sel:DWORD dst_unused:UNUSED_PAD src0_sel:DWORD src1_sel:BYTE_1
	buffer_store_dword v2, off, s[0:3], s32 offset:328 ; 4-byte Folded Spill
	v_and_b32_e32 v1, 0x7f, v0
	v_cmpx_ne_u32_e32 0x7f, v1
	s_cbranch_execz .LBB372_344
; %bb.341:                              ;   in Loop: Header=BB372_10 Depth=1
	v_and_b32_e32 v4, 7, v0
	v_mov_b32_e32 v27, v5
	v_lshrrev_b32_e32 v0, 3, v1
	s_mov_b32 s20, exec_lo
	v_mov_b32_e32 v26, v4
	v_cmpx_gt_u32_e32 8, v1
; %bb.342:                              ;   in Loop: Header=BB372_10 Depth=1
	v_ffbh_u32_e32 v0, v4
	v_min_u32_e32 v0, 32, v0
	v_subrev_nc_u32_e32 v1, 28, v0
	v_sub_nc_u32_e32 v0, 29, v0
	v_lshlrev_b64 v[1:2], v1, v[4:5]
	v_and_b32_e32 v26, 7, v1
; %bb.343:                              ;   in Loop: Header=BB372_10 Depth=1
	s_or_b32 exec_lo, exec_lo, s20
	v_lshlrev_b32_e32 v1, 16, v24
	v_lshlrev_b32_e32 v2, 20, v26
	v_lshl_add_u32 v0, v0, 23, 0x3c000000
	v_and_b32_e32 v1, 0x80000000, v1
	v_or3_b32 v0, v2, v1, v0
	buffer_store_dword v0, off, s[0:3], s32 offset:328 ; 4-byte Folded Spill
.LBB372_344:                            ;   in Loop: Header=BB372_10 Depth=1
	s_or_b32 exec_lo, exec_lo, s19
.LBB372_345:                            ;   in Loop: Header=BB372_10 Depth=1
	s_or_b32 exec_lo, exec_lo, s17
.LBB372_346:                            ;   in Loop: Header=BB372_10 Depth=1
	s_or_b32 exec_lo, exec_lo, s6
	v_mov_b32_e32 v0, 0xff
	s_mov_b32 s6, exec_lo
	v_and_b32_sdwa v0, v24, v0 dst_sel:DWORD dst_unused:UNUSED_PAD src0_sel:WORD_1 src1_sel:DWORD
	v_cmpx_ne_u16_e32 0, v0
	s_cbranch_execz .LBB372_354
; %bb.347:                              ;   in Loop: Header=BB372_10 Depth=1
	v_cmp_ne_u16_e64 s5, 0x80, v0
	v_bfrev_b32_e32 v0, 1
	buffer_store_dword v0, off, s[0:3], s32 offset:332 ; 4-byte Folded Spill
	s_and_saveexec_b32 s17, s5
	s_cbranch_execz .LBB372_353
; %bb.348:                              ;   in Loop: Header=BB372_10 Depth=1
	v_bfe_u32 v1, v24, 16, 7
	v_mov_b32_e32 v0, 0x7f800001
	s_mov_b32 s19, exec_lo
	buffer_store_dword v0, off, s[0:3], s32 offset:332 ; 4-byte Folded Spill
	v_cmpx_ne_u32_e32 0x7f, v1
	s_cbranch_execz .LBB372_352
; %bb.349:                              ;   in Loop: Header=BB372_10 Depth=1
	v_mov_b32_e32 v0, 7
	s_mov_b32 s20, exec_lo
	v_and_b32_sdwa v4, v24, v0 dst_sel:DWORD dst_unused:UNUSED_PAD src0_sel:WORD_1 src1_sel:DWORD
	v_mov_b32_e32 v27, v5
	v_lshrrev_b32_e32 v0, 3, v1
	v_mov_b32_e32 v26, v4
	v_cmpx_gt_u32_e32 8, v1
; %bb.350:                              ;   in Loop: Header=BB372_10 Depth=1
	v_ffbh_u32_e32 v0, v4
	v_min_u32_e32 v0, 32, v0
	v_subrev_nc_u32_e32 v1, 28, v0
	v_sub_nc_u32_e32 v0, 29, v0
	v_lshlrev_b64 v[1:2], v1, v[4:5]
	v_and_b32_e32 v26, 7, v1
; %bb.351:                              ;   in Loop: Header=BB372_10 Depth=1
	s_or_b32 exec_lo, exec_lo, s20
	v_mov_b32_e32 v1, 24
	v_lshlrev_b32_e32 v2, 20, v26
	v_lshl_add_u32 v0, v0, 23, 0x3c000000
	v_lshlrev_b32_sdwa v1, v1, v24 dst_sel:DWORD dst_unused:UNUSED_PAD src0_sel:DWORD src1_sel:WORD_1
	v_and_b32_e32 v1, 0x80000000, v1
	v_or3_b32 v0, v2, v1, v0
	buffer_store_dword v0, off, s[0:3], s32 offset:332 ; 4-byte Folded Spill
.LBB372_352:                            ;   in Loop: Header=BB372_10 Depth=1
	s_or_b32 exec_lo, exec_lo, s19
.LBB372_353:                            ;   in Loop: Header=BB372_10 Depth=1
	s_or_b32 exec_lo, exec_lo, s17
.LBB372_354:                            ;   in Loop: Header=BB372_10 Depth=1
	s_or_b32 exec_lo, exec_lo, s6
	v_mov_b32_e32 v0, 0
	s_mov_b32 s6, exec_lo
	buffer_store_dword v0, off, s[0:3], s32 offset:340 ; 4-byte Folded Spill
	v_mov_b32_e32 v0, 0
	buffer_store_dword v0, off, s[0:3], s32 offset:336 ; 4-byte Folded Spill
	v_cmpx_lt_u32_e32 0xffffff, v24
	s_cbranch_execz .LBB372_362
; %bb.355:                              ;   in Loop: Header=BB372_10 Depth=1
	v_cmp_ne_u32_sdwa s5, v24, v71 src0_sel:BYTE_3 src1_sel:DWORD
	v_bfrev_b32_e32 v0, 1
	buffer_store_dword v0, off, s[0:3], s32 offset:336 ; 4-byte Folded Spill
	s_and_saveexec_b32 s17, s5
	s_cbranch_execz .LBB372_361
; %bb.356:                              ;   in Loop: Header=BB372_10 Depth=1
	v_bfe_u32 v1, v24, 24, 7
	v_mov_b32_e32 v0, 0x7f800001
	s_mov_b32 s19, exec_lo
	buffer_store_dword v0, off, s[0:3], s32 offset:336 ; 4-byte Folded Spill
	v_cmpx_ne_u32_e32 0x7f, v1
	s_cbranch_execz .LBB372_360
; %bb.357:                              ;   in Loop: Header=BB372_10 Depth=1
	v_mov_b32_e32 v0, 7
	s_mov_b32 s20, exec_lo
	v_and_b32_sdwa v4, v24, v0 dst_sel:DWORD dst_unused:UNUSED_PAD src0_sel:BYTE_3 src1_sel:DWORD
	v_mov_b32_e32 v27, v5
	v_lshrrev_b32_e32 v0, 3, v1
	v_mov_b32_e32 v26, v4
	v_cmpx_gt_u32_e32 8, v1
; %bb.358:                              ;   in Loop: Header=BB372_10 Depth=1
	v_ffbh_u32_e32 v0, v4
	v_min_u32_e32 v0, 32, v0
	v_subrev_nc_u32_e32 v1, 28, v0
	v_sub_nc_u32_e32 v0, 29, v0
	v_lshlrev_b64 v[1:2], v1, v[4:5]
	v_and_b32_e32 v26, 7, v1
; %bb.359:                              ;   in Loop: Header=BB372_10 Depth=1
	s_or_b32 exec_lo, exec_lo, s20
	v_mov_b32_e32 v1, 24
	v_lshlrev_b32_e32 v2, 20, v26
	v_lshl_add_u32 v0, v0, 23, 0x3c000000
	v_lshlrev_b32_sdwa v1, v1, v24 dst_sel:DWORD dst_unused:UNUSED_PAD src0_sel:DWORD src1_sel:BYTE_3
	v_and_b32_e32 v1, 0x80000000, v1
	v_or3_b32 v0, v2, v1, v0
	buffer_store_dword v0, off, s[0:3], s32 offset:336 ; 4-byte Folded Spill
.LBB372_360:                            ;   in Loop: Header=BB372_10 Depth=1
	s_or_b32 exec_lo, exec_lo, s19
.LBB372_361:                            ;   in Loop: Header=BB372_10 Depth=1
	s_or_b32 exec_lo, exec_lo, s17
.LBB372_362:                            ;   in Loop: Header=BB372_10 Depth=1
	s_or_b32 exec_lo, exec_lo, s6
	v_mov_b32_e32 v4, v25
	v_cmp_ne_u16_sdwa s5, v25, v5 src0_sel:BYTE_0 src1_sel:DWORD
	s_and_saveexec_b32 s6, s5
	s_cbranch_execz .LBB372_370
; %bb.363:                              ;   in Loop: Header=BB372_10 Depth=1
	v_cmp_ne_u16_sdwa s5, v25, v71 src0_sel:BYTE_0 src1_sel:DWORD
	v_bfrev_b32_e32 v0, 1
	buffer_store_dword v0, off, s[0:3], s32 offset:340 ; 4-byte Folded Spill
	s_and_saveexec_b32 s17, s5
	s_cbranch_execz .LBB372_369
; %bb.364:                              ;   in Loop: Header=BB372_10 Depth=1
	v_and_b32_e32 v1, 0x7f, v25
	v_mov_b32_e32 v0, 0x7f800001
	s_mov_b32 s19, exec_lo
	buffer_store_dword v0, off, s[0:3], s32 offset:340 ; 4-byte Folded Spill
	v_cmpx_ne_u32_e32 0x7f, v1
	s_cbranch_execz .LBB372_368
; %bb.365:                              ;   in Loop: Header=BB372_10 Depth=1
	v_mov_b32_e32 v27, v5
	v_lshrrev_b32_e32 v0, 3, v1
	v_mov_b32_e32 v26, v4
	s_mov_b32 s20, exec_lo
	v_cmpx_gt_u32_e32 8, v1
; %bb.366:                              ;   in Loop: Header=BB372_10 Depth=1
	v_and_b32_e32 v0, 7, v25
	v_ffbh_u32_e32 v0, v0
	v_min_u32_e32 v0, 32, v0
	v_subrev_nc_u32_e32 v1, 28, v0
	v_sub_nc_u32_e32 v0, 29, v0
	v_lshlrev_b64 v[26:27], v1, v[4:5]
; %bb.367:                              ;   in Loop: Header=BB372_10 Depth=1
	s_or_b32 exec_lo, exec_lo, s20
	v_lshlrev_b32_e32 v1, 20, v26
	v_lshlrev_b32_e32 v2, 24, v4
	v_lshl_add_u32 v0, v0, 23, 0x3c000000
	v_and_b32_e32 v1, 0x700000, v1
	v_and_b32_e32 v2, 0x80000000, v2
	v_or3_b32 v0, v1, v2, v0
	buffer_store_dword v0, off, s[0:3], s32 offset:340 ; 4-byte Folded Spill
.LBB372_368:                            ;   in Loop: Header=BB372_10 Depth=1
	s_or_b32 exec_lo, exec_lo, s19
.LBB372_369:                            ;   in Loop: Header=BB372_10 Depth=1
	s_or_b32 exec_lo, exec_lo, s17
.LBB372_370:                            ;   in Loop: Header=BB372_10 Depth=1
	s_or_b32 exec_lo, exec_lo, s6
	v_mov_b32_e32 v0, 0
	v_cmp_ne_u16_sdwa s5, v4, v5 src0_sel:BYTE_1 src1_sel:DWORD
	buffer_store_dword v0, off, s[0:3], s32 offset:344 ; 4-byte Folded Spill
	v_mov_b32_e32 v0, 0
	buffer_store_dword v0, off, s[0:3], s32 offset:348 ; 4-byte Folded Spill
	s_and_saveexec_b32 s6, s5
	s_cbranch_execz .LBB372_378
; %bb.371:                              ;   in Loop: Header=BB372_10 Depth=1
	v_cmp_ne_u16_sdwa s5, v4, v71 src0_sel:BYTE_1 src1_sel:DWORD
	v_bfrev_b32_e32 v0, 1
	buffer_store_dword v0, off, s[0:3], s32 offset:348 ; 4-byte Folded Spill
	s_and_saveexec_b32 s17, s5
	s_cbranch_execz .LBB372_377
; %bb.372:                              ;   in Loop: Header=BB372_10 Depth=1
	v_mov_b32_e32 v0, 0xffff
	v_mov_b32_e32 v2, 0x7f800001
	s_mov_b32 s19, exec_lo
	v_and_b32_sdwa v0, v0, v4 dst_sel:DWORD dst_unused:UNUSED_PAD src0_sel:DWORD src1_sel:BYTE_1
	buffer_store_dword v2, off, s[0:3], s32 offset:348 ; 4-byte Folded Spill
	v_and_b32_e32 v1, 0x7f, v0
	v_cmpx_ne_u32_e32 0x7f, v1
	s_cbranch_execz .LBB372_376
; %bb.373:                              ;   in Loop: Header=BB372_10 Depth=1
	v_and_b32_e32 v26, 7, v0
	v_mov_b32_e32 v27, v5
	v_lshrrev_b32_e32 v0, 3, v1
	s_mov_b32 s20, exec_lo
	v_cmpx_gt_u32_e32 8, v1
; %bb.374:                              ;   in Loop: Header=BB372_10 Depth=1
	v_ffbh_u32_e32 v0, v26
	v_min_u32_e32 v0, 32, v0
	v_subrev_nc_u32_e32 v1, 28, v0
	v_sub_nc_u32_e32 v0, 29, v0
	v_lshlrev_b64 v[1:2], v1, v[26:27]
	v_and_b32_e32 v26, 7, v1
; %bb.375:                              ;   in Loop: Header=BB372_10 Depth=1
	s_or_b32 exec_lo, exec_lo, s20
	v_lshlrev_b32_e32 v1, 16, v4
	v_lshlrev_b32_e32 v2, 20, v26
	v_lshl_add_u32 v0, v0, 23, 0x3c000000
	v_and_b32_e32 v1, 0x80000000, v1
	v_or3_b32 v0, v2, v1, v0
	buffer_store_dword v0, off, s[0:3], s32 offset:348 ; 4-byte Folded Spill
.LBB372_376:                            ;   in Loop: Header=BB372_10 Depth=1
	s_or_b32 exec_lo, exec_lo, s19
.LBB372_377:                            ;   in Loop: Header=BB372_10 Depth=1
	s_or_b32 exec_lo, exec_lo, s17
.LBB372_378:                            ;   in Loop: Header=BB372_10 Depth=1
	s_or_b32 exec_lo, exec_lo, s6
	v_mov_b32_e32 v0, 0xff
	s_mov_b32 s6, exec_lo
	v_and_b32_sdwa v0, v25, v0 dst_sel:DWORD dst_unused:UNUSED_PAD src0_sel:WORD_1 src1_sel:DWORD
	v_cmpx_ne_u16_e32 0, v0
	s_cbranch_execz .LBB372_386
; %bb.379:                              ;   in Loop: Header=BB372_10 Depth=1
	v_cmp_ne_u16_e64 s5, 0x80, v0
	v_bfrev_b32_e32 v0, 1
	buffer_store_dword v0, off, s[0:3], s32 offset:344 ; 4-byte Folded Spill
	s_and_saveexec_b32 s17, s5
	s_cbranch_execz .LBB372_385
; %bb.380:                              ;   in Loop: Header=BB372_10 Depth=1
	v_bfe_u32 v1, v25, 16, 7
	v_mov_b32_e32 v0, 0x7f800001
	s_mov_b32 s19, exec_lo
	buffer_store_dword v0, off, s[0:3], s32 offset:344 ; 4-byte Folded Spill
	v_cmpx_ne_u32_e32 0x7f, v1
	s_cbranch_execz .LBB372_384
; %bb.381:                              ;   in Loop: Header=BB372_10 Depth=1
	v_mov_b32_e32 v0, 7
	s_mov_b32 s20, exec_lo
	v_and_b32_sdwa v4, v25, v0 dst_sel:DWORD dst_unused:UNUSED_PAD src0_sel:WORD_1 src1_sel:DWORD
	v_mov_b32_e32 v27, v5
	v_lshrrev_b32_e32 v0, 3, v1
	v_mov_b32_e32 v26, v4
	v_cmpx_gt_u32_e32 8, v1
; %bb.382:                              ;   in Loop: Header=BB372_10 Depth=1
	v_ffbh_u32_e32 v0, v4
	v_min_u32_e32 v0, 32, v0
	v_subrev_nc_u32_e32 v1, 28, v0
	v_sub_nc_u32_e32 v0, 29, v0
	v_lshlrev_b64 v[1:2], v1, v[4:5]
	v_and_b32_e32 v26, 7, v1
; %bb.383:                              ;   in Loop: Header=BB372_10 Depth=1
	s_or_b32 exec_lo, exec_lo, s20
	v_mov_b32_e32 v1, 24
	v_lshlrev_b32_e32 v2, 20, v26
	v_lshl_add_u32 v0, v0, 23, 0x3c000000
	v_lshlrev_b32_sdwa v1, v1, v25 dst_sel:DWORD dst_unused:UNUSED_PAD src0_sel:DWORD src1_sel:WORD_1
	v_and_b32_e32 v1, 0x80000000, v1
	v_or3_b32 v0, v2, v1, v0
	buffer_store_dword v0, off, s[0:3], s32 offset:344 ; 4-byte Folded Spill
.LBB372_384:                            ;   in Loop: Header=BB372_10 Depth=1
	s_or_b32 exec_lo, exec_lo, s19
.LBB372_385:                            ;   in Loop: Header=BB372_10 Depth=1
	s_or_b32 exec_lo, exec_lo, s17
.LBB372_386:                            ;   in Loop: Header=BB372_10 Depth=1
	s_or_b32 exec_lo, exec_lo, s6
	v_mov_b32_e32 v0, 0
	s_mov_b32 s6, exec_lo
	buffer_store_dword v0, off, s[0:3], s32 offset:356 ; 4-byte Folded Spill
	v_mov_b32_e32 v0, 0
	buffer_store_dword v0, off, s[0:3], s32 offset:352 ; 4-byte Folded Spill
	v_cmpx_lt_u64_e64 s[8:9], v[24:25]
	s_cbranch_execz .LBB372_394
; %bb.387:                              ;   in Loop: Header=BB372_10 Depth=1
	v_cmp_ne_u32_sdwa s5, v25, v71 src0_sel:BYTE_3 src1_sel:DWORD
	v_bfrev_b32_e32 v0, 1
	buffer_store_dword v0, off, s[0:3], s32 offset:352 ; 4-byte Folded Spill
	s_and_saveexec_b32 s17, s5
	s_cbranch_execz .LBB372_393
; %bb.388:                              ;   in Loop: Header=BB372_10 Depth=1
	v_bfe_u32 v1, v25, 24, 7
	v_mov_b32_e32 v0, 0x7f800001
	s_mov_b32 s19, exec_lo
	buffer_store_dword v0, off, s[0:3], s32 offset:352 ; 4-byte Folded Spill
	v_cmpx_ne_u32_e32 0x7f, v1
	s_cbranch_execz .LBB372_392
; %bb.389:                              ;   in Loop: Header=BB372_10 Depth=1
	v_mov_b32_e32 v0, 7
	s_mov_b32 s20, exec_lo
	v_and_b32_sdwa v4, v25, v0 dst_sel:DWORD dst_unused:UNUSED_PAD src0_sel:BYTE_3 src1_sel:DWORD
	v_mov_b32_e32 v27, v5
	v_lshrrev_b32_e32 v0, 3, v1
	v_mov_b32_e32 v26, v4
	v_cmpx_gt_u32_e32 8, v1
; %bb.390:                              ;   in Loop: Header=BB372_10 Depth=1
	v_ffbh_u32_e32 v0, v4
	v_min_u32_e32 v0, 32, v0
	v_subrev_nc_u32_e32 v1, 28, v0
	v_sub_nc_u32_e32 v0, 29, v0
	v_lshlrev_b64 v[1:2], v1, v[4:5]
	v_and_b32_e32 v26, 7, v1
; %bb.391:                              ;   in Loop: Header=BB372_10 Depth=1
	s_or_b32 exec_lo, exec_lo, s20
	v_mov_b32_e32 v1, 24
	v_lshlrev_b32_e32 v2, 20, v26
	v_lshl_add_u32 v0, v0, 23, 0x3c000000
	v_lshlrev_b32_sdwa v1, v1, v25 dst_sel:DWORD dst_unused:UNUSED_PAD src0_sel:DWORD src1_sel:BYTE_3
	v_and_b32_e32 v1, 0x80000000, v1
	v_or3_b32 v0, v2, v1, v0
	buffer_store_dword v0, off, s[0:3], s32 offset:352 ; 4-byte Folded Spill
.LBB372_392:                            ;   in Loop: Header=BB372_10 Depth=1
	s_or_b32 exec_lo, exec_lo, s19
.LBB372_393:                            ;   in Loop: Header=BB372_10 Depth=1
	s_or_b32 exec_lo, exec_lo, s17
.LBB372_394:                            ;   in Loop: Header=BB372_10 Depth=1
	s_or_b32 exec_lo, exec_lo, s6
	flat_load_dwordx2 v[24:25], v[16:17] offset:1536
	s_waitcnt vmcnt(0) lgkmcnt(0)
	v_cmp_ne_u16_sdwa s5, v24, v5 src0_sel:BYTE_0 src1_sel:DWORD
	s_and_saveexec_b32 s6, s5
	s_cbranch_execz .LBB372_402
; %bb.395:                              ;   in Loop: Header=BB372_10 Depth=1
	v_cmp_ne_u16_sdwa s5, v24, v71 src0_sel:BYTE_0 src1_sel:DWORD
	v_bfrev_b32_e32 v0, 1
	buffer_store_dword v0, off, s[0:3], s32 offset:356 ; 4-byte Folded Spill
	s_and_saveexec_b32 s17, s5
	s_cbranch_execz .LBB372_401
; %bb.396:                              ;   in Loop: Header=BB372_10 Depth=1
	v_and_b32_e32 v1, 0x7f, v24
	v_mov_b32_e32 v0, 0x7f800001
	s_mov_b32 s19, exec_lo
	buffer_store_dword v0, off, s[0:3], s32 offset:356 ; 4-byte Folded Spill
	v_cmpx_ne_u32_e32 0x7f, v1
	s_cbranch_execz .LBB372_400
; %bb.397:                              ;   in Loop: Header=BB372_10 Depth=1
	v_mov_b32_e32 v27, v25
	v_lshrrev_b32_e32 v0, 3, v1
	v_mov_b32_e32 v26, v24
	s_mov_b32 s20, exec_lo
	v_cmpx_gt_u32_e32 8, v1
; %bb.398:                              ;   in Loop: Header=BB372_10 Depth=1
	v_and_b32_e32 v0, 7, v24
	v_ffbh_u32_e32 v0, v0
	v_min_u32_e32 v0, 32, v0
	v_subrev_nc_u32_e32 v1, 28, v0
	v_sub_nc_u32_e32 v0, 29, v0
	v_lshlrev_b64 v[26:27], v1, v[24:25]
; %bb.399:                              ;   in Loop: Header=BB372_10 Depth=1
	s_or_b32 exec_lo, exec_lo, s20
	v_lshlrev_b32_e32 v1, 20, v26
	v_lshlrev_b32_e32 v2, 24, v24
	v_lshl_add_u32 v0, v0, 23, 0x3c000000
	v_and_b32_e32 v1, 0x700000, v1
	v_and_b32_e32 v2, 0x80000000, v2
	v_or3_b32 v0, v1, v2, v0
	buffer_store_dword v0, off, s[0:3], s32 offset:356 ; 4-byte Folded Spill
.LBB372_400:                            ;   in Loop: Header=BB372_10 Depth=1
	s_or_b32 exec_lo, exec_lo, s19
.LBB372_401:                            ;   in Loop: Header=BB372_10 Depth=1
	s_or_b32 exec_lo, exec_lo, s17
.LBB372_402:                            ;   in Loop: Header=BB372_10 Depth=1
	s_or_b32 exec_lo, exec_lo, s6
	v_mov_b32_e32 v0, 0
	v_cmp_ne_u16_sdwa s5, v24, v5 src0_sel:BYTE_1 src1_sel:DWORD
	buffer_store_dword v0, off, s[0:3], s32 offset:364 ; 4-byte Folded Spill
	v_mov_b32_e32 v0, 0
	buffer_store_dword v0, off, s[0:3], s32 offset:360 ; 4-byte Folded Spill
	s_and_saveexec_b32 s6, s5
	s_cbranch_execz .LBB372_410
; %bb.403:                              ;   in Loop: Header=BB372_10 Depth=1
	v_cmp_ne_u16_sdwa s5, v24, v71 src0_sel:BYTE_1 src1_sel:DWORD
	v_bfrev_b32_e32 v0, 1
	buffer_store_dword v0, off, s[0:3], s32 offset:360 ; 4-byte Folded Spill
	s_and_saveexec_b32 s17, s5
	s_cbranch_execz .LBB372_409
; %bb.404:                              ;   in Loop: Header=BB372_10 Depth=1
	v_mov_b32_e32 v0, 0xffff
	v_mov_b32_e32 v2, 0x7f800001
	s_mov_b32 s19, exec_lo
	v_and_b32_sdwa v0, v0, v24 dst_sel:DWORD dst_unused:UNUSED_PAD src0_sel:DWORD src1_sel:BYTE_1
	buffer_store_dword v2, off, s[0:3], s32 offset:360 ; 4-byte Folded Spill
	v_and_b32_e32 v1, 0x7f, v0
	v_cmpx_ne_u32_e32 0x7f, v1
	s_cbranch_execz .LBB372_408
; %bb.405:                              ;   in Loop: Header=BB372_10 Depth=1
	v_and_b32_e32 v4, 7, v0
	v_mov_b32_e32 v27, v5
	v_lshrrev_b32_e32 v0, 3, v1
	s_mov_b32 s20, exec_lo
	v_mov_b32_e32 v26, v4
	v_cmpx_gt_u32_e32 8, v1
; %bb.406:                              ;   in Loop: Header=BB372_10 Depth=1
	v_ffbh_u32_e32 v0, v4
	v_min_u32_e32 v0, 32, v0
	v_subrev_nc_u32_e32 v1, 28, v0
	v_sub_nc_u32_e32 v0, 29, v0
	v_lshlrev_b64 v[1:2], v1, v[4:5]
	v_and_b32_e32 v26, 7, v1
; %bb.407:                              ;   in Loop: Header=BB372_10 Depth=1
	s_or_b32 exec_lo, exec_lo, s20
	v_lshlrev_b32_e32 v1, 16, v24
	v_lshlrev_b32_e32 v2, 20, v26
	v_lshl_add_u32 v0, v0, 23, 0x3c000000
	v_and_b32_e32 v1, 0x80000000, v1
	v_or3_b32 v0, v2, v1, v0
	buffer_store_dword v0, off, s[0:3], s32 offset:360 ; 4-byte Folded Spill
.LBB372_408:                            ;   in Loop: Header=BB372_10 Depth=1
	s_or_b32 exec_lo, exec_lo, s19
.LBB372_409:                            ;   in Loop: Header=BB372_10 Depth=1
	s_or_b32 exec_lo, exec_lo, s17
.LBB372_410:                            ;   in Loop: Header=BB372_10 Depth=1
	s_or_b32 exec_lo, exec_lo, s6
	v_mov_b32_e32 v0, 0xff
	s_mov_b32 s6, exec_lo
	v_and_b32_sdwa v0, v24, v0 dst_sel:DWORD dst_unused:UNUSED_PAD src0_sel:WORD_1 src1_sel:DWORD
	v_cmpx_ne_u16_e32 0, v0
	s_cbranch_execz .LBB372_418
; %bb.411:                              ;   in Loop: Header=BB372_10 Depth=1
	v_cmp_ne_u16_e64 s5, 0x80, v0
	v_bfrev_b32_e32 v0, 1
	buffer_store_dword v0, off, s[0:3], s32 offset:364 ; 4-byte Folded Spill
	s_and_saveexec_b32 s17, s5
	s_cbranch_execz .LBB372_417
; %bb.412:                              ;   in Loop: Header=BB372_10 Depth=1
	v_bfe_u32 v1, v24, 16, 7
	v_mov_b32_e32 v0, 0x7f800001
	s_mov_b32 s19, exec_lo
	buffer_store_dword v0, off, s[0:3], s32 offset:364 ; 4-byte Folded Spill
	v_cmpx_ne_u32_e32 0x7f, v1
	s_cbranch_execz .LBB372_416
; %bb.413:                              ;   in Loop: Header=BB372_10 Depth=1
	v_mov_b32_e32 v0, 7
	s_mov_b32 s20, exec_lo
	v_and_b32_sdwa v4, v24, v0 dst_sel:DWORD dst_unused:UNUSED_PAD src0_sel:WORD_1 src1_sel:DWORD
	v_mov_b32_e32 v27, v5
	v_lshrrev_b32_e32 v0, 3, v1
	v_mov_b32_e32 v26, v4
	v_cmpx_gt_u32_e32 8, v1
; %bb.414:                              ;   in Loop: Header=BB372_10 Depth=1
	v_ffbh_u32_e32 v0, v4
	v_min_u32_e32 v0, 32, v0
	v_subrev_nc_u32_e32 v1, 28, v0
	v_sub_nc_u32_e32 v0, 29, v0
	v_lshlrev_b64 v[1:2], v1, v[4:5]
	v_and_b32_e32 v26, 7, v1
; %bb.415:                              ;   in Loop: Header=BB372_10 Depth=1
	s_or_b32 exec_lo, exec_lo, s20
	v_mov_b32_e32 v1, 24
	v_lshlrev_b32_e32 v2, 20, v26
	v_lshl_add_u32 v0, v0, 23, 0x3c000000
	v_lshlrev_b32_sdwa v1, v1, v24 dst_sel:DWORD dst_unused:UNUSED_PAD src0_sel:DWORD src1_sel:WORD_1
	v_and_b32_e32 v1, 0x80000000, v1
	v_or3_b32 v0, v2, v1, v0
	buffer_store_dword v0, off, s[0:3], s32 offset:364 ; 4-byte Folded Spill
.LBB372_416:                            ;   in Loop: Header=BB372_10 Depth=1
	s_or_b32 exec_lo, exec_lo, s19
.LBB372_417:                            ;   in Loop: Header=BB372_10 Depth=1
	s_or_b32 exec_lo, exec_lo, s17
.LBB372_418:                            ;   in Loop: Header=BB372_10 Depth=1
	s_or_b32 exec_lo, exec_lo, s6
	v_mov_b32_e32 v0, 0
	s_mov_b32 s6, exec_lo
	buffer_store_dword v0, off, s[0:3], s32 offset:372 ; 4-byte Folded Spill
	v_mov_b32_e32 v0, 0
	buffer_store_dword v0, off, s[0:3], s32 offset:368 ; 4-byte Folded Spill
	v_cmpx_lt_u32_e32 0xffffff, v24
	s_cbranch_execz .LBB372_426
; %bb.419:                              ;   in Loop: Header=BB372_10 Depth=1
	v_cmp_ne_u32_sdwa s5, v24, v71 src0_sel:BYTE_3 src1_sel:DWORD
	v_bfrev_b32_e32 v0, 1
	buffer_store_dword v0, off, s[0:3], s32 offset:368 ; 4-byte Folded Spill
	s_and_saveexec_b32 s17, s5
	s_cbranch_execz .LBB372_425
; %bb.420:                              ;   in Loop: Header=BB372_10 Depth=1
	v_bfe_u32 v1, v24, 24, 7
	v_mov_b32_e32 v0, 0x7f800001
	s_mov_b32 s19, exec_lo
	buffer_store_dword v0, off, s[0:3], s32 offset:368 ; 4-byte Folded Spill
	v_cmpx_ne_u32_e32 0x7f, v1
	s_cbranch_execz .LBB372_424
; %bb.421:                              ;   in Loop: Header=BB372_10 Depth=1
	v_mov_b32_e32 v0, 7
	s_mov_b32 s20, exec_lo
	v_and_b32_sdwa v4, v24, v0 dst_sel:DWORD dst_unused:UNUSED_PAD src0_sel:BYTE_3 src1_sel:DWORD
	v_mov_b32_e32 v27, v5
	v_lshrrev_b32_e32 v0, 3, v1
	v_mov_b32_e32 v26, v4
	v_cmpx_gt_u32_e32 8, v1
; %bb.422:                              ;   in Loop: Header=BB372_10 Depth=1
	v_ffbh_u32_e32 v0, v4
	v_min_u32_e32 v0, 32, v0
	v_subrev_nc_u32_e32 v1, 28, v0
	v_sub_nc_u32_e32 v0, 29, v0
	v_lshlrev_b64 v[1:2], v1, v[4:5]
	v_and_b32_e32 v26, 7, v1
; %bb.423:                              ;   in Loop: Header=BB372_10 Depth=1
	s_or_b32 exec_lo, exec_lo, s20
	v_mov_b32_e32 v1, 24
	v_lshlrev_b32_e32 v2, 20, v26
	v_lshl_add_u32 v0, v0, 23, 0x3c000000
	v_lshlrev_b32_sdwa v1, v1, v24 dst_sel:DWORD dst_unused:UNUSED_PAD src0_sel:DWORD src1_sel:BYTE_3
	v_and_b32_e32 v1, 0x80000000, v1
	v_or3_b32 v0, v2, v1, v0
	buffer_store_dword v0, off, s[0:3], s32 offset:368 ; 4-byte Folded Spill
.LBB372_424:                            ;   in Loop: Header=BB372_10 Depth=1
	s_or_b32 exec_lo, exec_lo, s19
.LBB372_425:                            ;   in Loop: Header=BB372_10 Depth=1
	s_or_b32 exec_lo, exec_lo, s17
.LBB372_426:                            ;   in Loop: Header=BB372_10 Depth=1
	s_or_b32 exec_lo, exec_lo, s6
	v_mov_b32_e32 v4, v25
	v_cmp_ne_u16_sdwa s5, v25, v5 src0_sel:BYTE_0 src1_sel:DWORD
	s_and_saveexec_b32 s6, s5
	s_cbranch_execz .LBB372_434
; %bb.427:                              ;   in Loop: Header=BB372_10 Depth=1
	v_cmp_ne_u16_sdwa s5, v25, v71 src0_sel:BYTE_0 src1_sel:DWORD
	v_bfrev_b32_e32 v0, 1
	buffer_store_dword v0, off, s[0:3], s32 offset:372 ; 4-byte Folded Spill
	s_and_saveexec_b32 s17, s5
	s_cbranch_execz .LBB372_433
; %bb.428:                              ;   in Loop: Header=BB372_10 Depth=1
	v_and_b32_e32 v1, 0x7f, v25
	v_mov_b32_e32 v0, 0x7f800001
	s_mov_b32 s19, exec_lo
	buffer_store_dword v0, off, s[0:3], s32 offset:372 ; 4-byte Folded Spill
	v_cmpx_ne_u32_e32 0x7f, v1
	s_cbranch_execz .LBB372_432
; %bb.429:                              ;   in Loop: Header=BB372_10 Depth=1
	v_mov_b32_e32 v27, v5
	v_lshrrev_b32_e32 v0, 3, v1
	v_mov_b32_e32 v26, v4
	s_mov_b32 s20, exec_lo
	v_cmpx_gt_u32_e32 8, v1
; %bb.430:                              ;   in Loop: Header=BB372_10 Depth=1
	v_and_b32_e32 v0, 7, v25
	v_ffbh_u32_e32 v0, v0
	v_min_u32_e32 v0, 32, v0
	v_subrev_nc_u32_e32 v1, 28, v0
	v_sub_nc_u32_e32 v0, 29, v0
	v_lshlrev_b64 v[26:27], v1, v[4:5]
; %bb.431:                              ;   in Loop: Header=BB372_10 Depth=1
	s_or_b32 exec_lo, exec_lo, s20
	v_lshlrev_b32_e32 v1, 20, v26
	v_lshlrev_b32_e32 v2, 24, v4
	v_lshl_add_u32 v0, v0, 23, 0x3c000000
	v_and_b32_e32 v1, 0x700000, v1
	v_and_b32_e32 v2, 0x80000000, v2
	v_or3_b32 v0, v1, v2, v0
	buffer_store_dword v0, off, s[0:3], s32 offset:372 ; 4-byte Folded Spill
.LBB372_432:                            ;   in Loop: Header=BB372_10 Depth=1
	s_or_b32 exec_lo, exec_lo, s19
.LBB372_433:                            ;   in Loop: Header=BB372_10 Depth=1
	s_or_b32 exec_lo, exec_lo, s17
.LBB372_434:                            ;   in Loop: Header=BB372_10 Depth=1
	s_or_b32 exec_lo, exec_lo, s6
	v_mov_b32_e32 v0, 0
	v_cmp_ne_u16_sdwa s5, v4, v5 src0_sel:BYTE_1 src1_sel:DWORD
	buffer_store_dword v0, off, s[0:3], s32 offset:376 ; 4-byte Folded Spill
	v_mov_b32_e32 v0, 0
	buffer_store_dword v0, off, s[0:3], s32 offset:380 ; 4-byte Folded Spill
	s_and_saveexec_b32 s6, s5
	s_cbranch_execz .LBB372_442
; %bb.435:                              ;   in Loop: Header=BB372_10 Depth=1
	v_cmp_ne_u16_sdwa s5, v4, v71 src0_sel:BYTE_1 src1_sel:DWORD
	v_bfrev_b32_e32 v0, 1
	buffer_store_dword v0, off, s[0:3], s32 offset:380 ; 4-byte Folded Spill
	s_and_saveexec_b32 s17, s5
	s_cbranch_execz .LBB372_441
; %bb.436:                              ;   in Loop: Header=BB372_10 Depth=1
	v_mov_b32_e32 v0, 0xffff
	v_mov_b32_e32 v2, 0x7f800001
	s_mov_b32 s19, exec_lo
	v_and_b32_sdwa v0, v0, v4 dst_sel:DWORD dst_unused:UNUSED_PAD src0_sel:DWORD src1_sel:BYTE_1
	buffer_store_dword v2, off, s[0:3], s32 offset:380 ; 4-byte Folded Spill
	v_and_b32_e32 v1, 0x7f, v0
	v_cmpx_ne_u32_e32 0x7f, v1
	s_cbranch_execz .LBB372_440
; %bb.437:                              ;   in Loop: Header=BB372_10 Depth=1
	v_and_b32_e32 v26, 7, v0
	v_mov_b32_e32 v27, v5
	v_lshrrev_b32_e32 v0, 3, v1
	s_mov_b32 s20, exec_lo
	v_cmpx_gt_u32_e32 8, v1
; %bb.438:                              ;   in Loop: Header=BB372_10 Depth=1
	v_ffbh_u32_e32 v0, v26
	v_min_u32_e32 v0, 32, v0
	v_subrev_nc_u32_e32 v1, 28, v0
	v_sub_nc_u32_e32 v0, 29, v0
	v_lshlrev_b64 v[1:2], v1, v[26:27]
	v_and_b32_e32 v26, 7, v1
; %bb.439:                              ;   in Loop: Header=BB372_10 Depth=1
	s_or_b32 exec_lo, exec_lo, s20
	v_lshlrev_b32_e32 v1, 16, v4
	v_lshlrev_b32_e32 v2, 20, v26
	v_lshl_add_u32 v0, v0, 23, 0x3c000000
	v_and_b32_e32 v1, 0x80000000, v1
	v_or3_b32 v0, v2, v1, v0
	buffer_store_dword v0, off, s[0:3], s32 offset:380 ; 4-byte Folded Spill
.LBB372_440:                            ;   in Loop: Header=BB372_10 Depth=1
	s_or_b32 exec_lo, exec_lo, s19
.LBB372_441:                            ;   in Loop: Header=BB372_10 Depth=1
	s_or_b32 exec_lo, exec_lo, s17
.LBB372_442:                            ;   in Loop: Header=BB372_10 Depth=1
	s_or_b32 exec_lo, exec_lo, s6
	v_mov_b32_e32 v0, 0xff
	s_mov_b32 s6, exec_lo
	v_and_b32_sdwa v0, v25, v0 dst_sel:DWORD dst_unused:UNUSED_PAD src0_sel:WORD_1 src1_sel:DWORD
	v_cmpx_ne_u16_e32 0, v0
	s_cbranch_execz .LBB372_450
; %bb.443:                              ;   in Loop: Header=BB372_10 Depth=1
	v_cmp_ne_u16_e64 s5, 0x80, v0
	v_bfrev_b32_e32 v0, 1
	buffer_store_dword v0, off, s[0:3], s32 offset:376 ; 4-byte Folded Spill
	s_and_saveexec_b32 s17, s5
	s_cbranch_execz .LBB372_449
; %bb.444:                              ;   in Loop: Header=BB372_10 Depth=1
	v_bfe_u32 v1, v25, 16, 7
	v_mov_b32_e32 v0, 0x7f800001
	s_mov_b32 s19, exec_lo
	buffer_store_dword v0, off, s[0:3], s32 offset:376 ; 4-byte Folded Spill
	v_cmpx_ne_u32_e32 0x7f, v1
	s_cbranch_execz .LBB372_448
; %bb.445:                              ;   in Loop: Header=BB372_10 Depth=1
	v_mov_b32_e32 v0, 7
	s_mov_b32 s20, exec_lo
	v_and_b32_sdwa v4, v25, v0 dst_sel:DWORD dst_unused:UNUSED_PAD src0_sel:WORD_1 src1_sel:DWORD
	v_mov_b32_e32 v27, v5
	v_lshrrev_b32_e32 v0, 3, v1
	v_mov_b32_e32 v26, v4
	v_cmpx_gt_u32_e32 8, v1
; %bb.446:                              ;   in Loop: Header=BB372_10 Depth=1
	v_ffbh_u32_e32 v0, v4
	v_min_u32_e32 v0, 32, v0
	v_subrev_nc_u32_e32 v1, 28, v0
	v_sub_nc_u32_e32 v0, 29, v0
	v_lshlrev_b64 v[1:2], v1, v[4:5]
	v_and_b32_e32 v26, 7, v1
; %bb.447:                              ;   in Loop: Header=BB372_10 Depth=1
	s_or_b32 exec_lo, exec_lo, s20
	v_mov_b32_e32 v1, 24
	v_lshlrev_b32_e32 v2, 20, v26
	v_lshl_add_u32 v0, v0, 23, 0x3c000000
	v_lshlrev_b32_sdwa v1, v1, v25 dst_sel:DWORD dst_unused:UNUSED_PAD src0_sel:DWORD src1_sel:WORD_1
	v_and_b32_e32 v1, 0x80000000, v1
	v_or3_b32 v0, v2, v1, v0
	buffer_store_dword v0, off, s[0:3], s32 offset:376 ; 4-byte Folded Spill
.LBB372_448:                            ;   in Loop: Header=BB372_10 Depth=1
	s_or_b32 exec_lo, exec_lo, s19
.LBB372_449:                            ;   in Loop: Header=BB372_10 Depth=1
	s_or_b32 exec_lo, exec_lo, s17
.LBB372_450:                            ;   in Loop: Header=BB372_10 Depth=1
	s_or_b32 exec_lo, exec_lo, s6
	v_mov_b32_e32 v0, 0
	s_mov_b32 s6, exec_lo
	buffer_store_dword v0, off, s[0:3], s32 offset:388 ; 4-byte Folded Spill
	v_mov_b32_e32 v0, 0
	buffer_store_dword v0, off, s[0:3], s32 offset:384 ; 4-byte Folded Spill
	v_cmpx_lt_u64_e64 s[8:9], v[24:25]
	s_cbranch_execz .LBB372_458
; %bb.451:                              ;   in Loop: Header=BB372_10 Depth=1
	v_cmp_ne_u32_sdwa s5, v25, v71 src0_sel:BYTE_3 src1_sel:DWORD
	v_bfrev_b32_e32 v0, 1
	buffer_store_dword v0, off, s[0:3], s32 offset:384 ; 4-byte Folded Spill
	s_and_saveexec_b32 s17, s5
	s_cbranch_execz .LBB372_457
; %bb.452:                              ;   in Loop: Header=BB372_10 Depth=1
	v_bfe_u32 v1, v25, 24, 7
	v_mov_b32_e32 v0, 0x7f800001
	s_mov_b32 s19, exec_lo
	buffer_store_dword v0, off, s[0:3], s32 offset:384 ; 4-byte Folded Spill
	v_cmpx_ne_u32_e32 0x7f, v1
	s_cbranch_execz .LBB372_456
; %bb.453:                              ;   in Loop: Header=BB372_10 Depth=1
	v_mov_b32_e32 v0, 7
	s_mov_b32 s20, exec_lo
	v_and_b32_sdwa v4, v25, v0 dst_sel:DWORD dst_unused:UNUSED_PAD src0_sel:BYTE_3 src1_sel:DWORD
	v_mov_b32_e32 v27, v5
	v_lshrrev_b32_e32 v0, 3, v1
	v_mov_b32_e32 v26, v4
	v_cmpx_gt_u32_e32 8, v1
; %bb.454:                              ;   in Loop: Header=BB372_10 Depth=1
	v_ffbh_u32_e32 v0, v4
	v_min_u32_e32 v0, 32, v0
	v_subrev_nc_u32_e32 v1, 28, v0
	v_sub_nc_u32_e32 v0, 29, v0
	v_lshlrev_b64 v[1:2], v1, v[4:5]
	v_and_b32_e32 v26, 7, v1
; %bb.455:                              ;   in Loop: Header=BB372_10 Depth=1
	s_or_b32 exec_lo, exec_lo, s20
	v_mov_b32_e32 v1, 24
	v_lshlrev_b32_e32 v2, 20, v26
	v_lshl_add_u32 v0, v0, 23, 0x3c000000
	v_lshlrev_b32_sdwa v1, v1, v25 dst_sel:DWORD dst_unused:UNUSED_PAD src0_sel:DWORD src1_sel:BYTE_3
	v_and_b32_e32 v1, 0x80000000, v1
	v_or3_b32 v0, v2, v1, v0
	buffer_store_dword v0, off, s[0:3], s32 offset:384 ; 4-byte Folded Spill
.LBB372_456:                            ;   in Loop: Header=BB372_10 Depth=1
	s_or_b32 exec_lo, exec_lo, s19
.LBB372_457:                            ;   in Loop: Header=BB372_10 Depth=1
	s_or_b32 exec_lo, exec_lo, s17
.LBB372_458:                            ;   in Loop: Header=BB372_10 Depth=1
	s_or_b32 exec_lo, exec_lo, s6
	flat_load_dwordx2 v[24:25], v[16:17] offset:1544
	s_waitcnt vmcnt(0) lgkmcnt(0)
	v_cmp_ne_u16_sdwa s5, v24, v5 src0_sel:BYTE_0 src1_sel:DWORD
	s_and_saveexec_b32 s6, s5
	s_cbranch_execz .LBB372_466
; %bb.459:                              ;   in Loop: Header=BB372_10 Depth=1
	v_cmp_ne_u16_sdwa s5, v24, v71 src0_sel:BYTE_0 src1_sel:DWORD
	v_bfrev_b32_e32 v0, 1
	buffer_store_dword v0, off, s[0:3], s32 offset:388 ; 4-byte Folded Spill
	s_and_saveexec_b32 s17, s5
	s_cbranch_execz .LBB372_465
; %bb.460:                              ;   in Loop: Header=BB372_10 Depth=1
	v_and_b32_e32 v1, 0x7f, v24
	v_mov_b32_e32 v0, 0x7f800001
	s_mov_b32 s19, exec_lo
	buffer_store_dword v0, off, s[0:3], s32 offset:388 ; 4-byte Folded Spill
	v_cmpx_ne_u32_e32 0x7f, v1
	s_cbranch_execz .LBB372_464
; %bb.461:                              ;   in Loop: Header=BB372_10 Depth=1
	v_mov_b32_e32 v27, v25
	v_lshrrev_b32_e32 v0, 3, v1
	v_mov_b32_e32 v26, v24
	s_mov_b32 s20, exec_lo
	v_cmpx_gt_u32_e32 8, v1
; %bb.462:                              ;   in Loop: Header=BB372_10 Depth=1
	v_and_b32_e32 v0, 7, v24
	v_ffbh_u32_e32 v0, v0
	v_min_u32_e32 v0, 32, v0
	v_subrev_nc_u32_e32 v1, 28, v0
	v_sub_nc_u32_e32 v0, 29, v0
	v_lshlrev_b64 v[26:27], v1, v[24:25]
; %bb.463:                              ;   in Loop: Header=BB372_10 Depth=1
	s_or_b32 exec_lo, exec_lo, s20
	v_lshlrev_b32_e32 v1, 20, v26
	v_lshlrev_b32_e32 v2, 24, v24
	v_lshl_add_u32 v0, v0, 23, 0x3c000000
	v_and_b32_e32 v1, 0x700000, v1
	v_and_b32_e32 v2, 0x80000000, v2
	v_or3_b32 v0, v1, v2, v0
	buffer_store_dword v0, off, s[0:3], s32 offset:388 ; 4-byte Folded Spill
.LBB372_464:                            ;   in Loop: Header=BB372_10 Depth=1
	s_or_b32 exec_lo, exec_lo, s19
.LBB372_465:                            ;   in Loop: Header=BB372_10 Depth=1
	s_or_b32 exec_lo, exec_lo, s17
.LBB372_466:                            ;   in Loop: Header=BB372_10 Depth=1
	s_or_b32 exec_lo, exec_lo, s6
	v_mov_b32_e32 v0, 0
	v_cmp_ne_u16_sdwa s5, v24, v5 src0_sel:BYTE_1 src1_sel:DWORD
	buffer_store_dword v0, off, s[0:3], s32 offset:396 ; 4-byte Folded Spill
	v_mov_b32_e32 v0, 0
	buffer_store_dword v0, off, s[0:3], s32 offset:392 ; 4-byte Folded Spill
	s_and_saveexec_b32 s6, s5
	s_cbranch_execz .LBB372_474
; %bb.467:                              ;   in Loop: Header=BB372_10 Depth=1
	v_cmp_ne_u16_sdwa s5, v24, v71 src0_sel:BYTE_1 src1_sel:DWORD
	v_bfrev_b32_e32 v0, 1
	buffer_store_dword v0, off, s[0:3], s32 offset:392 ; 4-byte Folded Spill
	s_and_saveexec_b32 s17, s5
	s_cbranch_execz .LBB372_473
; %bb.468:                              ;   in Loop: Header=BB372_10 Depth=1
	v_mov_b32_e32 v0, 0xffff
	v_mov_b32_e32 v2, 0x7f800001
	s_mov_b32 s19, exec_lo
	v_and_b32_sdwa v0, v0, v24 dst_sel:DWORD dst_unused:UNUSED_PAD src0_sel:DWORD src1_sel:BYTE_1
	buffer_store_dword v2, off, s[0:3], s32 offset:392 ; 4-byte Folded Spill
	v_and_b32_e32 v1, 0x7f, v0
	v_cmpx_ne_u32_e32 0x7f, v1
	s_cbranch_execz .LBB372_472
; %bb.469:                              ;   in Loop: Header=BB372_10 Depth=1
	v_and_b32_e32 v4, 7, v0
	v_mov_b32_e32 v27, v5
	v_lshrrev_b32_e32 v0, 3, v1
	s_mov_b32 s20, exec_lo
	v_mov_b32_e32 v26, v4
	v_cmpx_gt_u32_e32 8, v1
; %bb.470:                              ;   in Loop: Header=BB372_10 Depth=1
	v_ffbh_u32_e32 v0, v4
	v_min_u32_e32 v0, 32, v0
	v_subrev_nc_u32_e32 v1, 28, v0
	v_sub_nc_u32_e32 v0, 29, v0
	v_lshlrev_b64 v[1:2], v1, v[4:5]
	v_and_b32_e32 v26, 7, v1
; %bb.471:                              ;   in Loop: Header=BB372_10 Depth=1
	s_or_b32 exec_lo, exec_lo, s20
	v_lshlrev_b32_e32 v1, 16, v24
	v_lshlrev_b32_e32 v2, 20, v26
	v_lshl_add_u32 v0, v0, 23, 0x3c000000
	v_and_b32_e32 v1, 0x80000000, v1
	v_or3_b32 v0, v2, v1, v0
	buffer_store_dword v0, off, s[0:3], s32 offset:392 ; 4-byte Folded Spill
.LBB372_472:                            ;   in Loop: Header=BB372_10 Depth=1
	s_or_b32 exec_lo, exec_lo, s19
.LBB372_473:                            ;   in Loop: Header=BB372_10 Depth=1
	s_or_b32 exec_lo, exec_lo, s17
.LBB372_474:                            ;   in Loop: Header=BB372_10 Depth=1
	s_or_b32 exec_lo, exec_lo, s6
	v_mov_b32_e32 v0, 0xff
	s_mov_b32 s6, exec_lo
	v_and_b32_sdwa v0, v24, v0 dst_sel:DWORD dst_unused:UNUSED_PAD src0_sel:WORD_1 src1_sel:DWORD
	v_cmpx_ne_u16_e32 0, v0
	s_cbranch_execz .LBB372_482
; %bb.475:                              ;   in Loop: Header=BB372_10 Depth=1
	v_cmp_ne_u16_e64 s5, 0x80, v0
	v_bfrev_b32_e32 v0, 1
	buffer_store_dword v0, off, s[0:3], s32 offset:396 ; 4-byte Folded Spill
	s_and_saveexec_b32 s17, s5
	s_cbranch_execz .LBB372_481
; %bb.476:                              ;   in Loop: Header=BB372_10 Depth=1
	v_bfe_u32 v1, v24, 16, 7
	v_mov_b32_e32 v0, 0x7f800001
	s_mov_b32 s19, exec_lo
	buffer_store_dword v0, off, s[0:3], s32 offset:396 ; 4-byte Folded Spill
	v_cmpx_ne_u32_e32 0x7f, v1
	s_cbranch_execz .LBB372_480
; %bb.477:                              ;   in Loop: Header=BB372_10 Depth=1
	v_mov_b32_e32 v0, 7
	s_mov_b32 s20, exec_lo
	v_and_b32_sdwa v4, v24, v0 dst_sel:DWORD dst_unused:UNUSED_PAD src0_sel:WORD_1 src1_sel:DWORD
	v_mov_b32_e32 v27, v5
	v_lshrrev_b32_e32 v0, 3, v1
	v_mov_b32_e32 v26, v4
	v_cmpx_gt_u32_e32 8, v1
; %bb.478:                              ;   in Loop: Header=BB372_10 Depth=1
	v_ffbh_u32_e32 v0, v4
	v_min_u32_e32 v0, 32, v0
	v_subrev_nc_u32_e32 v1, 28, v0
	v_sub_nc_u32_e32 v0, 29, v0
	v_lshlrev_b64 v[1:2], v1, v[4:5]
	v_and_b32_e32 v26, 7, v1
; %bb.479:                              ;   in Loop: Header=BB372_10 Depth=1
	s_or_b32 exec_lo, exec_lo, s20
	v_mov_b32_e32 v1, 24
	v_lshlrev_b32_e32 v2, 20, v26
	v_lshl_add_u32 v0, v0, 23, 0x3c000000
	v_lshlrev_b32_sdwa v1, v1, v24 dst_sel:DWORD dst_unused:UNUSED_PAD src0_sel:DWORD src1_sel:WORD_1
	v_and_b32_e32 v1, 0x80000000, v1
	v_or3_b32 v0, v2, v1, v0
	buffer_store_dword v0, off, s[0:3], s32 offset:396 ; 4-byte Folded Spill
.LBB372_480:                            ;   in Loop: Header=BB372_10 Depth=1
	s_or_b32 exec_lo, exec_lo, s19
.LBB372_481:                            ;   in Loop: Header=BB372_10 Depth=1
	s_or_b32 exec_lo, exec_lo, s17
.LBB372_482:                            ;   in Loop: Header=BB372_10 Depth=1
	s_or_b32 exec_lo, exec_lo, s6
	v_mov_b32_e32 v0, 0
	s_mov_b32 s6, exec_lo
	buffer_store_dword v0, off, s[0:3], s32 offset:404 ; 4-byte Folded Spill
	v_mov_b32_e32 v0, 0
	buffer_store_dword v0, off, s[0:3], s32 offset:400 ; 4-byte Folded Spill
	v_cmpx_lt_u32_e32 0xffffff, v24
	s_cbranch_execz .LBB372_490
; %bb.483:                              ;   in Loop: Header=BB372_10 Depth=1
	v_cmp_ne_u32_sdwa s5, v24, v71 src0_sel:BYTE_3 src1_sel:DWORD
	v_bfrev_b32_e32 v0, 1
	buffer_store_dword v0, off, s[0:3], s32 offset:400 ; 4-byte Folded Spill
	s_and_saveexec_b32 s17, s5
	s_cbranch_execz .LBB372_489
; %bb.484:                              ;   in Loop: Header=BB372_10 Depth=1
	v_bfe_u32 v1, v24, 24, 7
	v_mov_b32_e32 v0, 0x7f800001
	s_mov_b32 s19, exec_lo
	buffer_store_dword v0, off, s[0:3], s32 offset:400 ; 4-byte Folded Spill
	v_cmpx_ne_u32_e32 0x7f, v1
	s_cbranch_execz .LBB372_488
; %bb.485:                              ;   in Loop: Header=BB372_10 Depth=1
	v_mov_b32_e32 v0, 7
	s_mov_b32 s20, exec_lo
	v_and_b32_sdwa v4, v24, v0 dst_sel:DWORD dst_unused:UNUSED_PAD src0_sel:BYTE_3 src1_sel:DWORD
	v_mov_b32_e32 v27, v5
	v_lshrrev_b32_e32 v0, 3, v1
	v_mov_b32_e32 v26, v4
	v_cmpx_gt_u32_e32 8, v1
; %bb.486:                              ;   in Loop: Header=BB372_10 Depth=1
	v_ffbh_u32_e32 v0, v4
	v_min_u32_e32 v0, 32, v0
	v_subrev_nc_u32_e32 v1, 28, v0
	v_sub_nc_u32_e32 v0, 29, v0
	v_lshlrev_b64 v[1:2], v1, v[4:5]
	v_and_b32_e32 v26, 7, v1
; %bb.487:                              ;   in Loop: Header=BB372_10 Depth=1
	s_or_b32 exec_lo, exec_lo, s20
	v_mov_b32_e32 v1, 24
	v_lshlrev_b32_e32 v2, 20, v26
	v_lshl_add_u32 v0, v0, 23, 0x3c000000
	v_lshlrev_b32_sdwa v1, v1, v24 dst_sel:DWORD dst_unused:UNUSED_PAD src0_sel:DWORD src1_sel:BYTE_3
	v_and_b32_e32 v1, 0x80000000, v1
	v_or3_b32 v0, v2, v1, v0
	buffer_store_dword v0, off, s[0:3], s32 offset:400 ; 4-byte Folded Spill
.LBB372_488:                            ;   in Loop: Header=BB372_10 Depth=1
	s_or_b32 exec_lo, exec_lo, s19
.LBB372_489:                            ;   in Loop: Header=BB372_10 Depth=1
	s_or_b32 exec_lo, exec_lo, s17
.LBB372_490:                            ;   in Loop: Header=BB372_10 Depth=1
	s_or_b32 exec_lo, exec_lo, s6
	v_mov_b32_e32 v4, v25
	v_cmp_ne_u16_sdwa s5, v25, v5 src0_sel:BYTE_0 src1_sel:DWORD
	s_and_saveexec_b32 s6, s5
	s_cbranch_execz .LBB372_498
; %bb.491:                              ;   in Loop: Header=BB372_10 Depth=1
	v_cmp_ne_u16_sdwa s5, v25, v71 src0_sel:BYTE_0 src1_sel:DWORD
	v_bfrev_b32_e32 v0, 1
	buffer_store_dword v0, off, s[0:3], s32 offset:404 ; 4-byte Folded Spill
	s_and_saveexec_b32 s17, s5
	s_cbranch_execz .LBB372_497
; %bb.492:                              ;   in Loop: Header=BB372_10 Depth=1
	v_and_b32_e32 v1, 0x7f, v25
	v_mov_b32_e32 v0, 0x7f800001
	s_mov_b32 s19, exec_lo
	buffer_store_dword v0, off, s[0:3], s32 offset:404 ; 4-byte Folded Spill
	v_cmpx_ne_u32_e32 0x7f, v1
	s_cbranch_execz .LBB372_496
; %bb.493:                              ;   in Loop: Header=BB372_10 Depth=1
	v_mov_b32_e32 v27, v5
	v_lshrrev_b32_e32 v0, 3, v1
	v_mov_b32_e32 v26, v4
	s_mov_b32 s20, exec_lo
	v_cmpx_gt_u32_e32 8, v1
; %bb.494:                              ;   in Loop: Header=BB372_10 Depth=1
	v_and_b32_e32 v0, 7, v25
	v_ffbh_u32_e32 v0, v0
	v_min_u32_e32 v0, 32, v0
	v_subrev_nc_u32_e32 v1, 28, v0
	v_sub_nc_u32_e32 v0, 29, v0
	v_lshlrev_b64 v[26:27], v1, v[4:5]
; %bb.495:                              ;   in Loop: Header=BB372_10 Depth=1
	s_or_b32 exec_lo, exec_lo, s20
	v_lshlrev_b32_e32 v1, 20, v26
	v_lshlrev_b32_e32 v2, 24, v4
	v_lshl_add_u32 v0, v0, 23, 0x3c000000
	v_and_b32_e32 v1, 0x700000, v1
	v_and_b32_e32 v2, 0x80000000, v2
	v_or3_b32 v0, v1, v2, v0
	buffer_store_dword v0, off, s[0:3], s32 offset:404 ; 4-byte Folded Spill
.LBB372_496:                            ;   in Loop: Header=BB372_10 Depth=1
	s_or_b32 exec_lo, exec_lo, s19
.LBB372_497:                            ;   in Loop: Header=BB372_10 Depth=1
	s_or_b32 exec_lo, exec_lo, s17
.LBB372_498:                            ;   in Loop: Header=BB372_10 Depth=1
	s_or_b32 exec_lo, exec_lo, s6
	v_mov_b32_e32 v0, 0
	v_cmp_ne_u16_sdwa s5, v4, v5 src0_sel:BYTE_1 src1_sel:DWORD
	buffer_store_dword v0, off, s[0:3], s32 offset:408 ; 4-byte Folded Spill
	v_mov_b32_e32 v0, 0
	buffer_store_dword v0, off, s[0:3], s32 offset:412 ; 4-byte Folded Spill
	s_and_saveexec_b32 s6, s5
	s_cbranch_execz .LBB372_506
; %bb.499:                              ;   in Loop: Header=BB372_10 Depth=1
	v_cmp_ne_u16_sdwa s5, v4, v71 src0_sel:BYTE_1 src1_sel:DWORD
	v_bfrev_b32_e32 v0, 1
	buffer_store_dword v0, off, s[0:3], s32 offset:412 ; 4-byte Folded Spill
	s_and_saveexec_b32 s17, s5
	s_cbranch_execz .LBB372_505
; %bb.500:                              ;   in Loop: Header=BB372_10 Depth=1
	v_mov_b32_e32 v0, 0xffff
	v_mov_b32_e32 v2, 0x7f800001
	s_mov_b32 s19, exec_lo
	v_and_b32_sdwa v0, v0, v4 dst_sel:DWORD dst_unused:UNUSED_PAD src0_sel:DWORD src1_sel:BYTE_1
	buffer_store_dword v2, off, s[0:3], s32 offset:412 ; 4-byte Folded Spill
	v_and_b32_e32 v1, 0x7f, v0
	v_cmpx_ne_u32_e32 0x7f, v1
	s_cbranch_execz .LBB372_504
; %bb.501:                              ;   in Loop: Header=BB372_10 Depth=1
	v_and_b32_e32 v26, 7, v0
	v_mov_b32_e32 v27, v5
	v_lshrrev_b32_e32 v0, 3, v1
	s_mov_b32 s20, exec_lo
	v_cmpx_gt_u32_e32 8, v1
; %bb.502:                              ;   in Loop: Header=BB372_10 Depth=1
	v_ffbh_u32_e32 v0, v26
	v_min_u32_e32 v0, 32, v0
	v_subrev_nc_u32_e32 v1, 28, v0
	v_sub_nc_u32_e32 v0, 29, v0
	v_lshlrev_b64 v[1:2], v1, v[26:27]
	v_and_b32_e32 v26, 7, v1
; %bb.503:                              ;   in Loop: Header=BB372_10 Depth=1
	s_or_b32 exec_lo, exec_lo, s20
	v_lshlrev_b32_e32 v1, 16, v4
	v_lshlrev_b32_e32 v2, 20, v26
	v_lshl_add_u32 v0, v0, 23, 0x3c000000
	v_and_b32_e32 v1, 0x80000000, v1
	v_or3_b32 v0, v2, v1, v0
	buffer_store_dword v0, off, s[0:3], s32 offset:412 ; 4-byte Folded Spill
.LBB372_504:                            ;   in Loop: Header=BB372_10 Depth=1
	s_or_b32 exec_lo, exec_lo, s19
.LBB372_505:                            ;   in Loop: Header=BB372_10 Depth=1
	s_or_b32 exec_lo, exec_lo, s17
.LBB372_506:                            ;   in Loop: Header=BB372_10 Depth=1
	s_or_b32 exec_lo, exec_lo, s6
	v_mov_b32_e32 v0, 0xff
	s_mov_b32 s6, exec_lo
	v_and_b32_sdwa v0, v25, v0 dst_sel:DWORD dst_unused:UNUSED_PAD src0_sel:WORD_1 src1_sel:DWORD
	v_cmpx_ne_u16_e32 0, v0
	s_cbranch_execz .LBB372_514
; %bb.507:                              ;   in Loop: Header=BB372_10 Depth=1
	v_cmp_ne_u16_e64 s5, 0x80, v0
	v_bfrev_b32_e32 v0, 1
	buffer_store_dword v0, off, s[0:3], s32 offset:408 ; 4-byte Folded Spill
	s_and_saveexec_b32 s17, s5
	s_cbranch_execz .LBB372_513
; %bb.508:                              ;   in Loop: Header=BB372_10 Depth=1
	v_bfe_u32 v1, v25, 16, 7
	v_mov_b32_e32 v0, 0x7f800001
	s_mov_b32 s19, exec_lo
	buffer_store_dword v0, off, s[0:3], s32 offset:408 ; 4-byte Folded Spill
	v_cmpx_ne_u32_e32 0x7f, v1
	s_cbranch_execz .LBB372_512
; %bb.509:                              ;   in Loop: Header=BB372_10 Depth=1
	v_mov_b32_e32 v0, 7
	s_mov_b32 s20, exec_lo
	v_and_b32_sdwa v4, v25, v0 dst_sel:DWORD dst_unused:UNUSED_PAD src0_sel:WORD_1 src1_sel:DWORD
	v_mov_b32_e32 v27, v5
	v_lshrrev_b32_e32 v0, 3, v1
	v_mov_b32_e32 v26, v4
	v_cmpx_gt_u32_e32 8, v1
; %bb.510:                              ;   in Loop: Header=BB372_10 Depth=1
	v_ffbh_u32_e32 v0, v4
	v_min_u32_e32 v0, 32, v0
	v_subrev_nc_u32_e32 v1, 28, v0
	v_sub_nc_u32_e32 v0, 29, v0
	v_lshlrev_b64 v[1:2], v1, v[4:5]
	v_and_b32_e32 v26, 7, v1
; %bb.511:                              ;   in Loop: Header=BB372_10 Depth=1
	s_or_b32 exec_lo, exec_lo, s20
	v_mov_b32_e32 v1, 24
	v_lshlrev_b32_e32 v2, 20, v26
	v_lshl_add_u32 v0, v0, 23, 0x3c000000
	v_lshlrev_b32_sdwa v1, v1, v25 dst_sel:DWORD dst_unused:UNUSED_PAD src0_sel:DWORD src1_sel:WORD_1
	v_and_b32_e32 v1, 0x80000000, v1
	v_or3_b32 v0, v2, v1, v0
	buffer_store_dword v0, off, s[0:3], s32 offset:408 ; 4-byte Folded Spill
.LBB372_512:                            ;   in Loop: Header=BB372_10 Depth=1
	s_or_b32 exec_lo, exec_lo, s19
.LBB372_513:                            ;   in Loop: Header=BB372_10 Depth=1
	s_or_b32 exec_lo, exec_lo, s17
.LBB372_514:                            ;   in Loop: Header=BB372_10 Depth=1
	s_or_b32 exec_lo, exec_lo, s6
	v_mov_b32_e32 v0, 0
	s_mov_b32 s6, exec_lo
	buffer_store_dword v0, off, s[0:3], s32 offset:420 ; 4-byte Folded Spill
	v_mov_b32_e32 v0, 0
	buffer_store_dword v0, off, s[0:3], s32 offset:416 ; 4-byte Folded Spill
	v_cmpx_lt_u64_e64 s[8:9], v[24:25]
	s_cbranch_execz .LBB372_522
; %bb.515:                              ;   in Loop: Header=BB372_10 Depth=1
	v_cmp_ne_u32_sdwa s5, v25, v71 src0_sel:BYTE_3 src1_sel:DWORD
	v_bfrev_b32_e32 v0, 1
	buffer_store_dword v0, off, s[0:3], s32 offset:416 ; 4-byte Folded Spill
	s_and_saveexec_b32 s17, s5
	s_cbranch_execz .LBB372_521
; %bb.516:                              ;   in Loop: Header=BB372_10 Depth=1
	v_bfe_u32 v1, v25, 24, 7
	v_mov_b32_e32 v0, 0x7f800001
	s_mov_b32 s19, exec_lo
	buffer_store_dword v0, off, s[0:3], s32 offset:416 ; 4-byte Folded Spill
	v_cmpx_ne_u32_e32 0x7f, v1
	s_cbranch_execz .LBB372_520
; %bb.517:                              ;   in Loop: Header=BB372_10 Depth=1
	v_mov_b32_e32 v0, 7
	s_mov_b32 s20, exec_lo
	v_and_b32_sdwa v4, v25, v0 dst_sel:DWORD dst_unused:UNUSED_PAD src0_sel:BYTE_3 src1_sel:DWORD
	v_mov_b32_e32 v27, v5
	v_lshrrev_b32_e32 v0, 3, v1
	v_mov_b32_e32 v26, v4
	v_cmpx_gt_u32_e32 8, v1
; %bb.518:                              ;   in Loop: Header=BB372_10 Depth=1
	v_ffbh_u32_e32 v0, v4
	v_min_u32_e32 v0, 32, v0
	v_subrev_nc_u32_e32 v1, 28, v0
	v_sub_nc_u32_e32 v0, 29, v0
	v_lshlrev_b64 v[1:2], v1, v[4:5]
	v_and_b32_e32 v26, 7, v1
; %bb.519:                              ;   in Loop: Header=BB372_10 Depth=1
	s_or_b32 exec_lo, exec_lo, s20
	v_mov_b32_e32 v1, 24
	v_lshlrev_b32_e32 v2, 20, v26
	v_lshl_add_u32 v0, v0, 23, 0x3c000000
	v_lshlrev_b32_sdwa v1, v1, v25 dst_sel:DWORD dst_unused:UNUSED_PAD src0_sel:DWORD src1_sel:BYTE_3
	v_and_b32_e32 v1, 0x80000000, v1
	v_or3_b32 v0, v2, v1, v0
	buffer_store_dword v0, off, s[0:3], s32 offset:416 ; 4-byte Folded Spill
.LBB372_520:                            ;   in Loop: Header=BB372_10 Depth=1
	s_or_b32 exec_lo, exec_lo, s19
.LBB372_521:                            ;   in Loop: Header=BB372_10 Depth=1
	s_or_b32 exec_lo, exec_lo, s17
.LBB372_522:                            ;   in Loop: Header=BB372_10 Depth=1
	s_or_b32 exec_lo, exec_lo, s6
	v_add_co_u32 v24, s5, 0x800, v16
	v_add_co_ci_u32_e64 v25, null, 0, v17, s5
	flat_load_dwordx2 v[26:27], v[24:25]
	s_waitcnt vmcnt(0) lgkmcnt(0)
	v_cmp_ne_u16_sdwa s5, v26, v5 src0_sel:BYTE_0 src1_sel:DWORD
	s_and_saveexec_b32 s6, s5
	s_cbranch_execz .LBB372_530
; %bb.523:                              ;   in Loop: Header=BB372_10 Depth=1
	v_cmp_ne_u16_sdwa s5, v26, v71 src0_sel:BYTE_0 src1_sel:DWORD
	v_bfrev_b32_e32 v0, 1
	buffer_store_dword v0, off, s[0:3], s32 offset:420 ; 4-byte Folded Spill
	s_and_saveexec_b32 s17, s5
	s_cbranch_execz .LBB372_529
; %bb.524:                              ;   in Loop: Header=BB372_10 Depth=1
	v_and_b32_e32 v1, 0x7f, v26
	v_mov_b32_e32 v0, 0x7f800001
	s_mov_b32 s19, exec_lo
	buffer_store_dword v0, off, s[0:3], s32 offset:420 ; 4-byte Folded Spill
	v_cmpx_ne_u32_e32 0x7f, v1
	s_cbranch_execz .LBB372_528
; %bb.525:                              ;   in Loop: Header=BB372_10 Depth=1
	v_mov_b32_e32 v29, v27
	v_lshrrev_b32_e32 v0, 3, v1
	v_mov_b32_e32 v28, v26
	s_mov_b32 s20, exec_lo
	v_cmpx_gt_u32_e32 8, v1
; %bb.526:                              ;   in Loop: Header=BB372_10 Depth=1
	v_and_b32_e32 v0, 7, v26
	v_ffbh_u32_e32 v0, v0
	v_min_u32_e32 v0, 32, v0
	v_subrev_nc_u32_e32 v1, 28, v0
	v_sub_nc_u32_e32 v0, 29, v0
	v_lshlrev_b64 v[28:29], v1, v[26:27]
; %bb.527:                              ;   in Loop: Header=BB372_10 Depth=1
	s_or_b32 exec_lo, exec_lo, s20
	v_lshlrev_b32_e32 v1, 20, v28
	v_lshlrev_b32_e32 v2, 24, v26
	v_lshl_add_u32 v0, v0, 23, 0x3c000000
	v_and_b32_e32 v1, 0x700000, v1
	v_and_b32_e32 v2, 0x80000000, v2
	v_or3_b32 v0, v1, v2, v0
	buffer_store_dword v0, off, s[0:3], s32 offset:420 ; 4-byte Folded Spill
.LBB372_528:                            ;   in Loop: Header=BB372_10 Depth=1
	s_or_b32 exec_lo, exec_lo, s19
.LBB372_529:                            ;   in Loop: Header=BB372_10 Depth=1
	s_or_b32 exec_lo, exec_lo, s17
.LBB372_530:                            ;   in Loop: Header=BB372_10 Depth=1
	s_or_b32 exec_lo, exec_lo, s6
	v_mov_b32_e32 v0, 0
	v_cmp_ne_u16_sdwa s5, v26, v5 src0_sel:BYTE_1 src1_sel:DWORD
	buffer_store_dword v0, off, s[0:3], s32 offset:428 ; 4-byte Folded Spill
	v_mov_b32_e32 v0, 0
	buffer_store_dword v0, off, s[0:3], s32 offset:424 ; 4-byte Folded Spill
	s_and_saveexec_b32 s6, s5
	s_cbranch_execz .LBB372_538
; %bb.531:                              ;   in Loop: Header=BB372_10 Depth=1
	v_cmp_ne_u16_sdwa s5, v26, v71 src0_sel:BYTE_1 src1_sel:DWORD
	v_bfrev_b32_e32 v0, 1
	buffer_store_dword v0, off, s[0:3], s32 offset:424 ; 4-byte Folded Spill
	s_and_saveexec_b32 s17, s5
	s_cbranch_execz .LBB372_537
; %bb.532:                              ;   in Loop: Header=BB372_10 Depth=1
	v_mov_b32_e32 v0, 0xffff
	v_mov_b32_e32 v2, 0x7f800001
	s_mov_b32 s19, exec_lo
	v_and_b32_sdwa v0, v0, v26 dst_sel:DWORD dst_unused:UNUSED_PAD src0_sel:DWORD src1_sel:BYTE_1
	buffer_store_dword v2, off, s[0:3], s32 offset:424 ; 4-byte Folded Spill
	v_and_b32_e32 v1, 0x7f, v0
	v_cmpx_ne_u32_e32 0x7f, v1
	s_cbranch_execz .LBB372_536
; %bb.533:                              ;   in Loop: Header=BB372_10 Depth=1
	v_and_b32_e32 v4, 7, v0
	v_mov_b32_e32 v29, v5
	v_lshrrev_b32_e32 v0, 3, v1
	s_mov_b32 s20, exec_lo
	v_mov_b32_e32 v28, v4
	v_cmpx_gt_u32_e32 8, v1
; %bb.534:                              ;   in Loop: Header=BB372_10 Depth=1
	v_ffbh_u32_e32 v0, v4
	v_min_u32_e32 v0, 32, v0
	v_subrev_nc_u32_e32 v1, 28, v0
	v_sub_nc_u32_e32 v0, 29, v0
	v_lshlrev_b64 v[1:2], v1, v[4:5]
	v_and_b32_e32 v28, 7, v1
; %bb.535:                              ;   in Loop: Header=BB372_10 Depth=1
	s_or_b32 exec_lo, exec_lo, s20
	v_lshlrev_b32_e32 v1, 16, v26
	v_lshlrev_b32_e32 v2, 20, v28
	v_lshl_add_u32 v0, v0, 23, 0x3c000000
	v_and_b32_e32 v1, 0x80000000, v1
	v_or3_b32 v0, v2, v1, v0
	buffer_store_dword v0, off, s[0:3], s32 offset:424 ; 4-byte Folded Spill
.LBB372_536:                            ;   in Loop: Header=BB372_10 Depth=1
	s_or_b32 exec_lo, exec_lo, s19
.LBB372_537:                            ;   in Loop: Header=BB372_10 Depth=1
	s_or_b32 exec_lo, exec_lo, s17
.LBB372_538:                            ;   in Loop: Header=BB372_10 Depth=1
	s_or_b32 exec_lo, exec_lo, s6
	v_mov_b32_e32 v0, 0xff
	s_mov_b32 s6, exec_lo
	v_and_b32_sdwa v0, v26, v0 dst_sel:DWORD dst_unused:UNUSED_PAD src0_sel:WORD_1 src1_sel:DWORD
	v_cmpx_ne_u16_e32 0, v0
	s_cbranch_execz .LBB372_546
; %bb.539:                              ;   in Loop: Header=BB372_10 Depth=1
	v_cmp_ne_u16_e64 s5, 0x80, v0
	v_bfrev_b32_e32 v0, 1
	buffer_store_dword v0, off, s[0:3], s32 offset:428 ; 4-byte Folded Spill
	s_and_saveexec_b32 s17, s5
	s_cbranch_execz .LBB372_545
; %bb.540:                              ;   in Loop: Header=BB372_10 Depth=1
	v_bfe_u32 v1, v26, 16, 7
	v_mov_b32_e32 v0, 0x7f800001
	s_mov_b32 s19, exec_lo
	buffer_store_dword v0, off, s[0:3], s32 offset:428 ; 4-byte Folded Spill
	v_cmpx_ne_u32_e32 0x7f, v1
	s_cbranch_execz .LBB372_544
; %bb.541:                              ;   in Loop: Header=BB372_10 Depth=1
	v_mov_b32_e32 v0, 7
	s_mov_b32 s20, exec_lo
	v_and_b32_sdwa v4, v26, v0 dst_sel:DWORD dst_unused:UNUSED_PAD src0_sel:WORD_1 src1_sel:DWORD
	v_mov_b32_e32 v29, v5
	v_lshrrev_b32_e32 v0, 3, v1
	v_mov_b32_e32 v28, v4
	v_cmpx_gt_u32_e32 8, v1
; %bb.542:                              ;   in Loop: Header=BB372_10 Depth=1
	v_ffbh_u32_e32 v0, v4
	v_min_u32_e32 v0, 32, v0
	v_subrev_nc_u32_e32 v1, 28, v0
	v_sub_nc_u32_e32 v0, 29, v0
	v_lshlrev_b64 v[1:2], v1, v[4:5]
	v_and_b32_e32 v28, 7, v1
; %bb.543:                              ;   in Loop: Header=BB372_10 Depth=1
	s_or_b32 exec_lo, exec_lo, s20
	v_mov_b32_e32 v1, 24
	v_lshlrev_b32_e32 v2, 20, v28
	v_lshl_add_u32 v0, v0, 23, 0x3c000000
	v_lshlrev_b32_sdwa v1, v1, v26 dst_sel:DWORD dst_unused:UNUSED_PAD src0_sel:DWORD src1_sel:WORD_1
	v_and_b32_e32 v1, 0x80000000, v1
	v_or3_b32 v0, v2, v1, v0
	buffer_store_dword v0, off, s[0:3], s32 offset:428 ; 4-byte Folded Spill
.LBB372_544:                            ;   in Loop: Header=BB372_10 Depth=1
	s_or_b32 exec_lo, exec_lo, s19
.LBB372_545:                            ;   in Loop: Header=BB372_10 Depth=1
	s_or_b32 exec_lo, exec_lo, s17
.LBB372_546:                            ;   in Loop: Header=BB372_10 Depth=1
	s_or_b32 exec_lo, exec_lo, s6
	v_mov_b32_e32 v0, 0
	s_mov_b32 s6, exec_lo
	buffer_store_dword v0, off, s[0:3], s32 offset:436 ; 4-byte Folded Spill
	v_mov_b32_e32 v0, 0
	buffer_store_dword v0, off, s[0:3], s32 offset:432 ; 4-byte Folded Spill
	v_cmpx_lt_u32_e32 0xffffff, v26
	s_cbranch_execz .LBB372_554
; %bb.547:                              ;   in Loop: Header=BB372_10 Depth=1
	v_cmp_ne_u32_sdwa s5, v26, v71 src0_sel:BYTE_3 src1_sel:DWORD
	v_bfrev_b32_e32 v0, 1
	buffer_store_dword v0, off, s[0:3], s32 offset:432 ; 4-byte Folded Spill
	s_and_saveexec_b32 s17, s5
	s_cbranch_execz .LBB372_553
; %bb.548:                              ;   in Loop: Header=BB372_10 Depth=1
	v_bfe_u32 v1, v26, 24, 7
	v_mov_b32_e32 v0, 0x7f800001
	s_mov_b32 s19, exec_lo
	buffer_store_dword v0, off, s[0:3], s32 offset:432 ; 4-byte Folded Spill
	v_cmpx_ne_u32_e32 0x7f, v1
	s_cbranch_execz .LBB372_552
; %bb.549:                              ;   in Loop: Header=BB372_10 Depth=1
	v_mov_b32_e32 v0, 7
	s_mov_b32 s20, exec_lo
	v_and_b32_sdwa v4, v26, v0 dst_sel:DWORD dst_unused:UNUSED_PAD src0_sel:BYTE_3 src1_sel:DWORD
	v_mov_b32_e32 v29, v5
	v_lshrrev_b32_e32 v0, 3, v1
	v_mov_b32_e32 v28, v4
	v_cmpx_gt_u32_e32 8, v1
; %bb.550:                              ;   in Loop: Header=BB372_10 Depth=1
	v_ffbh_u32_e32 v0, v4
	v_min_u32_e32 v0, 32, v0
	v_subrev_nc_u32_e32 v1, 28, v0
	v_sub_nc_u32_e32 v0, 29, v0
	v_lshlrev_b64 v[1:2], v1, v[4:5]
	v_and_b32_e32 v28, 7, v1
; %bb.551:                              ;   in Loop: Header=BB372_10 Depth=1
	s_or_b32 exec_lo, exec_lo, s20
	v_mov_b32_e32 v1, 24
	v_lshlrev_b32_e32 v2, 20, v28
	v_lshl_add_u32 v0, v0, 23, 0x3c000000
	v_lshlrev_b32_sdwa v1, v1, v26 dst_sel:DWORD dst_unused:UNUSED_PAD src0_sel:DWORD src1_sel:BYTE_3
	v_and_b32_e32 v1, 0x80000000, v1
	v_or3_b32 v0, v2, v1, v0
	buffer_store_dword v0, off, s[0:3], s32 offset:432 ; 4-byte Folded Spill
.LBB372_552:                            ;   in Loop: Header=BB372_10 Depth=1
	s_or_b32 exec_lo, exec_lo, s19
.LBB372_553:                            ;   in Loop: Header=BB372_10 Depth=1
	s_or_b32 exec_lo, exec_lo, s17
.LBB372_554:                            ;   in Loop: Header=BB372_10 Depth=1
	s_or_b32 exec_lo, exec_lo, s6
	v_mov_b32_e32 v4, v27
	v_cmp_ne_u16_sdwa s5, v27, v5 src0_sel:BYTE_0 src1_sel:DWORD
	s_and_saveexec_b32 s6, s5
	s_cbranch_execz .LBB372_562
; %bb.555:                              ;   in Loop: Header=BB372_10 Depth=1
	v_cmp_ne_u16_sdwa s5, v27, v71 src0_sel:BYTE_0 src1_sel:DWORD
	v_bfrev_b32_e32 v0, 1
	buffer_store_dword v0, off, s[0:3], s32 offset:436 ; 4-byte Folded Spill
	s_and_saveexec_b32 s17, s5
	s_cbranch_execz .LBB372_561
; %bb.556:                              ;   in Loop: Header=BB372_10 Depth=1
	v_and_b32_e32 v1, 0x7f, v27
	v_mov_b32_e32 v0, 0x7f800001
	s_mov_b32 s19, exec_lo
	buffer_store_dword v0, off, s[0:3], s32 offset:436 ; 4-byte Folded Spill
	v_cmpx_ne_u32_e32 0x7f, v1
	s_cbranch_execz .LBB372_560
; %bb.557:                              ;   in Loop: Header=BB372_10 Depth=1
	v_mov_b32_e32 v29, v5
	v_lshrrev_b32_e32 v0, 3, v1
	v_mov_b32_e32 v28, v4
	s_mov_b32 s20, exec_lo
	v_cmpx_gt_u32_e32 8, v1
; %bb.558:                              ;   in Loop: Header=BB372_10 Depth=1
	v_and_b32_e32 v0, 7, v27
	v_ffbh_u32_e32 v0, v0
	v_min_u32_e32 v0, 32, v0
	v_subrev_nc_u32_e32 v1, 28, v0
	v_sub_nc_u32_e32 v0, 29, v0
	v_lshlrev_b64 v[28:29], v1, v[4:5]
; %bb.559:                              ;   in Loop: Header=BB372_10 Depth=1
	s_or_b32 exec_lo, exec_lo, s20
	v_lshlrev_b32_e32 v1, 20, v28
	v_lshlrev_b32_e32 v2, 24, v4
	v_lshl_add_u32 v0, v0, 23, 0x3c000000
	v_and_b32_e32 v1, 0x700000, v1
	v_and_b32_e32 v2, 0x80000000, v2
	v_or3_b32 v0, v1, v2, v0
	buffer_store_dword v0, off, s[0:3], s32 offset:436 ; 4-byte Folded Spill
.LBB372_560:                            ;   in Loop: Header=BB372_10 Depth=1
	s_or_b32 exec_lo, exec_lo, s19
.LBB372_561:                            ;   in Loop: Header=BB372_10 Depth=1
	s_or_b32 exec_lo, exec_lo, s17
.LBB372_562:                            ;   in Loop: Header=BB372_10 Depth=1
	s_or_b32 exec_lo, exec_lo, s6
	v_mov_b32_e32 v0, 0
	v_cmp_ne_u16_sdwa s5, v4, v5 src0_sel:BYTE_1 src1_sel:DWORD
	buffer_store_dword v0, off, s[0:3], s32 offset:440 ; 4-byte Folded Spill
	v_mov_b32_e32 v0, 0
	buffer_store_dword v0, off, s[0:3], s32 offset:444 ; 4-byte Folded Spill
	s_and_saveexec_b32 s6, s5
	s_cbranch_execz .LBB372_570
; %bb.563:                              ;   in Loop: Header=BB372_10 Depth=1
	v_cmp_ne_u16_sdwa s5, v4, v71 src0_sel:BYTE_1 src1_sel:DWORD
	v_bfrev_b32_e32 v0, 1
	buffer_store_dword v0, off, s[0:3], s32 offset:444 ; 4-byte Folded Spill
	s_and_saveexec_b32 s17, s5
	s_cbranch_execz .LBB372_569
; %bb.564:                              ;   in Loop: Header=BB372_10 Depth=1
	v_mov_b32_e32 v0, 0xffff
	v_mov_b32_e32 v2, 0x7f800001
	s_mov_b32 s19, exec_lo
	v_and_b32_sdwa v0, v0, v4 dst_sel:DWORD dst_unused:UNUSED_PAD src0_sel:DWORD src1_sel:BYTE_1
	buffer_store_dword v2, off, s[0:3], s32 offset:444 ; 4-byte Folded Spill
	v_and_b32_e32 v1, 0x7f, v0
	v_cmpx_ne_u32_e32 0x7f, v1
	s_cbranch_execz .LBB372_568
; %bb.565:                              ;   in Loop: Header=BB372_10 Depth=1
	v_and_b32_e32 v28, 7, v0
	v_mov_b32_e32 v29, v5
	v_lshrrev_b32_e32 v0, 3, v1
	s_mov_b32 s20, exec_lo
	v_cmpx_gt_u32_e32 8, v1
; %bb.566:                              ;   in Loop: Header=BB372_10 Depth=1
	v_ffbh_u32_e32 v0, v28
	v_min_u32_e32 v0, 32, v0
	v_subrev_nc_u32_e32 v1, 28, v0
	v_sub_nc_u32_e32 v0, 29, v0
	v_lshlrev_b64 v[1:2], v1, v[28:29]
	v_and_b32_e32 v28, 7, v1
; %bb.567:                              ;   in Loop: Header=BB372_10 Depth=1
	s_or_b32 exec_lo, exec_lo, s20
	v_lshlrev_b32_e32 v1, 16, v4
	v_lshlrev_b32_e32 v2, 20, v28
	v_lshl_add_u32 v0, v0, 23, 0x3c000000
	v_and_b32_e32 v1, 0x80000000, v1
	v_or3_b32 v0, v2, v1, v0
	buffer_store_dword v0, off, s[0:3], s32 offset:444 ; 4-byte Folded Spill
.LBB372_568:                            ;   in Loop: Header=BB372_10 Depth=1
	s_or_b32 exec_lo, exec_lo, s19
.LBB372_569:                            ;   in Loop: Header=BB372_10 Depth=1
	s_or_b32 exec_lo, exec_lo, s17
.LBB372_570:                            ;   in Loop: Header=BB372_10 Depth=1
	s_or_b32 exec_lo, exec_lo, s6
	v_mov_b32_e32 v0, 0xff
	s_mov_b32 s6, exec_lo
	v_and_b32_sdwa v0, v27, v0 dst_sel:DWORD dst_unused:UNUSED_PAD src0_sel:WORD_1 src1_sel:DWORD
	v_cmpx_ne_u16_e32 0, v0
	s_cbranch_execz .LBB372_578
; %bb.571:                              ;   in Loop: Header=BB372_10 Depth=1
	v_cmp_ne_u16_e64 s5, 0x80, v0
	v_bfrev_b32_e32 v0, 1
	buffer_store_dword v0, off, s[0:3], s32 offset:440 ; 4-byte Folded Spill
	s_and_saveexec_b32 s17, s5
	s_cbranch_execz .LBB372_577
; %bb.572:                              ;   in Loop: Header=BB372_10 Depth=1
	v_bfe_u32 v1, v27, 16, 7
	v_mov_b32_e32 v0, 0x7f800001
	s_mov_b32 s19, exec_lo
	buffer_store_dword v0, off, s[0:3], s32 offset:440 ; 4-byte Folded Spill
	v_cmpx_ne_u32_e32 0x7f, v1
	s_cbranch_execz .LBB372_576
; %bb.573:                              ;   in Loop: Header=BB372_10 Depth=1
	v_mov_b32_e32 v0, 7
	s_mov_b32 s20, exec_lo
	v_and_b32_sdwa v4, v27, v0 dst_sel:DWORD dst_unused:UNUSED_PAD src0_sel:WORD_1 src1_sel:DWORD
	v_mov_b32_e32 v29, v5
	v_lshrrev_b32_e32 v0, 3, v1
	v_mov_b32_e32 v28, v4
	v_cmpx_gt_u32_e32 8, v1
; %bb.574:                              ;   in Loop: Header=BB372_10 Depth=1
	v_ffbh_u32_e32 v0, v4
	v_min_u32_e32 v0, 32, v0
	v_subrev_nc_u32_e32 v1, 28, v0
	v_sub_nc_u32_e32 v0, 29, v0
	v_lshlrev_b64 v[1:2], v1, v[4:5]
	v_and_b32_e32 v28, 7, v1
; %bb.575:                              ;   in Loop: Header=BB372_10 Depth=1
	s_or_b32 exec_lo, exec_lo, s20
	v_mov_b32_e32 v1, 24
	v_lshlrev_b32_e32 v2, 20, v28
	v_lshl_add_u32 v0, v0, 23, 0x3c000000
	v_lshlrev_b32_sdwa v1, v1, v27 dst_sel:DWORD dst_unused:UNUSED_PAD src0_sel:DWORD src1_sel:WORD_1
	v_and_b32_e32 v1, 0x80000000, v1
	v_or3_b32 v0, v2, v1, v0
	buffer_store_dword v0, off, s[0:3], s32 offset:440 ; 4-byte Folded Spill
.LBB372_576:                            ;   in Loop: Header=BB372_10 Depth=1
	s_or_b32 exec_lo, exec_lo, s19
.LBB372_577:                            ;   in Loop: Header=BB372_10 Depth=1
	s_or_b32 exec_lo, exec_lo, s17
.LBB372_578:                            ;   in Loop: Header=BB372_10 Depth=1
	s_or_b32 exec_lo, exec_lo, s6
	v_mov_b32_e32 v0, 0
	s_mov_b32 s6, exec_lo
	buffer_store_dword v0, off, s[0:3], s32 offset:452 ; 4-byte Folded Spill
	v_mov_b32_e32 v0, 0
	buffer_store_dword v0, off, s[0:3], s32 offset:448 ; 4-byte Folded Spill
	v_cmpx_lt_u64_e64 s[8:9], v[26:27]
	s_cbranch_execz .LBB372_586
; %bb.579:                              ;   in Loop: Header=BB372_10 Depth=1
	v_cmp_ne_u32_sdwa s5, v27, v71 src0_sel:BYTE_3 src1_sel:DWORD
	v_bfrev_b32_e32 v0, 1
	buffer_store_dword v0, off, s[0:3], s32 offset:448 ; 4-byte Folded Spill
	s_and_saveexec_b32 s17, s5
	s_cbranch_execz .LBB372_585
; %bb.580:                              ;   in Loop: Header=BB372_10 Depth=1
	v_bfe_u32 v1, v27, 24, 7
	v_mov_b32_e32 v0, 0x7f800001
	s_mov_b32 s19, exec_lo
	buffer_store_dword v0, off, s[0:3], s32 offset:448 ; 4-byte Folded Spill
	v_cmpx_ne_u32_e32 0x7f, v1
	s_cbranch_execz .LBB372_584
; %bb.581:                              ;   in Loop: Header=BB372_10 Depth=1
	v_mov_b32_e32 v0, 7
	s_mov_b32 s20, exec_lo
	v_and_b32_sdwa v4, v27, v0 dst_sel:DWORD dst_unused:UNUSED_PAD src0_sel:BYTE_3 src1_sel:DWORD
	v_mov_b32_e32 v29, v5
	v_lshrrev_b32_e32 v0, 3, v1
	v_mov_b32_e32 v28, v4
	v_cmpx_gt_u32_e32 8, v1
; %bb.582:                              ;   in Loop: Header=BB372_10 Depth=1
	v_ffbh_u32_e32 v0, v4
	v_min_u32_e32 v0, 32, v0
	v_subrev_nc_u32_e32 v1, 28, v0
	v_sub_nc_u32_e32 v0, 29, v0
	v_lshlrev_b64 v[1:2], v1, v[4:5]
	v_and_b32_e32 v28, 7, v1
; %bb.583:                              ;   in Loop: Header=BB372_10 Depth=1
	s_or_b32 exec_lo, exec_lo, s20
	v_mov_b32_e32 v1, 24
	v_lshlrev_b32_e32 v2, 20, v28
	v_lshl_add_u32 v0, v0, 23, 0x3c000000
	v_lshlrev_b32_sdwa v1, v1, v27 dst_sel:DWORD dst_unused:UNUSED_PAD src0_sel:DWORD src1_sel:BYTE_3
	v_and_b32_e32 v1, 0x80000000, v1
	v_or3_b32 v0, v2, v1, v0
	buffer_store_dword v0, off, s[0:3], s32 offset:448 ; 4-byte Folded Spill
.LBB372_584:                            ;   in Loop: Header=BB372_10 Depth=1
	s_or_b32 exec_lo, exec_lo, s19
.LBB372_585:                            ;   in Loop: Header=BB372_10 Depth=1
	s_or_b32 exec_lo, exec_lo, s17
.LBB372_586:                            ;   in Loop: Header=BB372_10 Depth=1
	s_or_b32 exec_lo, exec_lo, s6
	flat_load_dwordx2 v[26:27], v[24:25] offset:8
	s_waitcnt vmcnt(0) lgkmcnt(0)
	v_cmp_ne_u16_sdwa s5, v26, v5 src0_sel:BYTE_0 src1_sel:DWORD
	s_and_saveexec_b32 s6, s5
	s_cbranch_execz .LBB372_594
; %bb.587:                              ;   in Loop: Header=BB372_10 Depth=1
	v_cmp_ne_u16_sdwa s5, v26, v71 src0_sel:BYTE_0 src1_sel:DWORD
	v_bfrev_b32_e32 v0, 1
	buffer_store_dword v0, off, s[0:3], s32 offset:452 ; 4-byte Folded Spill
	s_and_saveexec_b32 s17, s5
	s_cbranch_execz .LBB372_593
; %bb.588:                              ;   in Loop: Header=BB372_10 Depth=1
	v_and_b32_e32 v1, 0x7f, v26
	v_mov_b32_e32 v0, 0x7f800001
	s_mov_b32 s19, exec_lo
	buffer_store_dword v0, off, s[0:3], s32 offset:452 ; 4-byte Folded Spill
	v_cmpx_ne_u32_e32 0x7f, v1
	s_cbranch_execz .LBB372_592
; %bb.589:                              ;   in Loop: Header=BB372_10 Depth=1
	v_mov_b32_e32 v29, v27
	v_lshrrev_b32_e32 v0, 3, v1
	v_mov_b32_e32 v28, v26
	s_mov_b32 s20, exec_lo
	v_cmpx_gt_u32_e32 8, v1
; %bb.590:                              ;   in Loop: Header=BB372_10 Depth=1
	v_and_b32_e32 v0, 7, v26
	v_ffbh_u32_e32 v0, v0
	v_min_u32_e32 v0, 32, v0
	v_subrev_nc_u32_e32 v1, 28, v0
	v_sub_nc_u32_e32 v0, 29, v0
	v_lshlrev_b64 v[28:29], v1, v[26:27]
; %bb.591:                              ;   in Loop: Header=BB372_10 Depth=1
	s_or_b32 exec_lo, exec_lo, s20
	v_lshlrev_b32_e32 v1, 20, v28
	v_lshlrev_b32_e32 v2, 24, v26
	v_lshl_add_u32 v0, v0, 23, 0x3c000000
	v_and_b32_e32 v1, 0x700000, v1
	v_and_b32_e32 v2, 0x80000000, v2
	v_or3_b32 v0, v1, v2, v0
	buffer_store_dword v0, off, s[0:3], s32 offset:452 ; 4-byte Folded Spill
.LBB372_592:                            ;   in Loop: Header=BB372_10 Depth=1
	s_or_b32 exec_lo, exec_lo, s19
.LBB372_593:                            ;   in Loop: Header=BB372_10 Depth=1
	s_or_b32 exec_lo, exec_lo, s17
.LBB372_594:                            ;   in Loop: Header=BB372_10 Depth=1
	s_or_b32 exec_lo, exec_lo, s6
	v_mov_b32_e32 v0, 0
	v_cmp_ne_u16_sdwa s5, v26, v5 src0_sel:BYTE_1 src1_sel:DWORD
	buffer_store_dword v0, off, s[0:3], s32 offset:460 ; 4-byte Folded Spill
	v_mov_b32_e32 v0, 0
	buffer_store_dword v0, off, s[0:3], s32 offset:456 ; 4-byte Folded Spill
	s_and_saveexec_b32 s6, s5
	s_cbranch_execz .LBB372_602
; %bb.595:                              ;   in Loop: Header=BB372_10 Depth=1
	v_cmp_ne_u16_sdwa s5, v26, v71 src0_sel:BYTE_1 src1_sel:DWORD
	v_bfrev_b32_e32 v0, 1
	buffer_store_dword v0, off, s[0:3], s32 offset:456 ; 4-byte Folded Spill
	s_and_saveexec_b32 s17, s5
	s_cbranch_execz .LBB372_601
; %bb.596:                              ;   in Loop: Header=BB372_10 Depth=1
	v_mov_b32_e32 v0, 0xffff
	v_mov_b32_e32 v2, 0x7f800001
	s_mov_b32 s19, exec_lo
	v_and_b32_sdwa v0, v0, v26 dst_sel:DWORD dst_unused:UNUSED_PAD src0_sel:DWORD src1_sel:BYTE_1
	buffer_store_dword v2, off, s[0:3], s32 offset:456 ; 4-byte Folded Spill
	v_and_b32_e32 v1, 0x7f, v0
	v_cmpx_ne_u32_e32 0x7f, v1
	s_cbranch_execz .LBB372_600
; %bb.597:                              ;   in Loop: Header=BB372_10 Depth=1
	v_and_b32_e32 v4, 7, v0
	v_mov_b32_e32 v29, v5
	v_lshrrev_b32_e32 v0, 3, v1
	s_mov_b32 s20, exec_lo
	v_mov_b32_e32 v28, v4
	v_cmpx_gt_u32_e32 8, v1
; %bb.598:                              ;   in Loop: Header=BB372_10 Depth=1
	v_ffbh_u32_e32 v0, v4
	v_min_u32_e32 v0, 32, v0
	v_subrev_nc_u32_e32 v1, 28, v0
	v_sub_nc_u32_e32 v0, 29, v0
	v_lshlrev_b64 v[1:2], v1, v[4:5]
	v_and_b32_e32 v28, 7, v1
; %bb.599:                              ;   in Loop: Header=BB372_10 Depth=1
	s_or_b32 exec_lo, exec_lo, s20
	v_lshlrev_b32_e32 v1, 16, v26
	v_lshlrev_b32_e32 v2, 20, v28
	v_lshl_add_u32 v0, v0, 23, 0x3c000000
	v_and_b32_e32 v1, 0x80000000, v1
	v_or3_b32 v0, v2, v1, v0
	buffer_store_dword v0, off, s[0:3], s32 offset:456 ; 4-byte Folded Spill
.LBB372_600:                            ;   in Loop: Header=BB372_10 Depth=1
	s_or_b32 exec_lo, exec_lo, s19
.LBB372_601:                            ;   in Loop: Header=BB372_10 Depth=1
	s_or_b32 exec_lo, exec_lo, s17
.LBB372_602:                            ;   in Loop: Header=BB372_10 Depth=1
	s_or_b32 exec_lo, exec_lo, s6
	v_mov_b32_e32 v0, 0xff
	s_mov_b32 s6, exec_lo
	v_and_b32_sdwa v0, v26, v0 dst_sel:DWORD dst_unused:UNUSED_PAD src0_sel:WORD_1 src1_sel:DWORD
	v_cmpx_ne_u16_e32 0, v0
	s_cbranch_execz .LBB372_610
; %bb.603:                              ;   in Loop: Header=BB372_10 Depth=1
	v_cmp_ne_u16_e64 s5, 0x80, v0
	v_bfrev_b32_e32 v0, 1
	buffer_store_dword v0, off, s[0:3], s32 offset:460 ; 4-byte Folded Spill
	s_and_saveexec_b32 s17, s5
	s_cbranch_execz .LBB372_609
; %bb.604:                              ;   in Loop: Header=BB372_10 Depth=1
	v_bfe_u32 v1, v26, 16, 7
	v_mov_b32_e32 v0, 0x7f800001
	s_mov_b32 s19, exec_lo
	buffer_store_dword v0, off, s[0:3], s32 offset:460 ; 4-byte Folded Spill
	v_cmpx_ne_u32_e32 0x7f, v1
	s_cbranch_execz .LBB372_608
; %bb.605:                              ;   in Loop: Header=BB372_10 Depth=1
	v_mov_b32_e32 v0, 7
	s_mov_b32 s20, exec_lo
	v_and_b32_sdwa v4, v26, v0 dst_sel:DWORD dst_unused:UNUSED_PAD src0_sel:WORD_1 src1_sel:DWORD
	v_mov_b32_e32 v29, v5
	v_lshrrev_b32_e32 v0, 3, v1
	v_mov_b32_e32 v28, v4
	v_cmpx_gt_u32_e32 8, v1
; %bb.606:                              ;   in Loop: Header=BB372_10 Depth=1
	v_ffbh_u32_e32 v0, v4
	v_min_u32_e32 v0, 32, v0
	v_subrev_nc_u32_e32 v1, 28, v0
	v_sub_nc_u32_e32 v0, 29, v0
	v_lshlrev_b64 v[1:2], v1, v[4:5]
	v_and_b32_e32 v28, 7, v1
; %bb.607:                              ;   in Loop: Header=BB372_10 Depth=1
	s_or_b32 exec_lo, exec_lo, s20
	v_mov_b32_e32 v1, 24
	v_lshlrev_b32_e32 v2, 20, v28
	v_lshl_add_u32 v0, v0, 23, 0x3c000000
	v_lshlrev_b32_sdwa v1, v1, v26 dst_sel:DWORD dst_unused:UNUSED_PAD src0_sel:DWORD src1_sel:WORD_1
	v_and_b32_e32 v1, 0x80000000, v1
	v_or3_b32 v0, v2, v1, v0
	buffer_store_dword v0, off, s[0:3], s32 offset:460 ; 4-byte Folded Spill
.LBB372_608:                            ;   in Loop: Header=BB372_10 Depth=1
	s_or_b32 exec_lo, exec_lo, s19
.LBB372_609:                            ;   in Loop: Header=BB372_10 Depth=1
	s_or_b32 exec_lo, exec_lo, s17
.LBB372_610:                            ;   in Loop: Header=BB372_10 Depth=1
	s_or_b32 exec_lo, exec_lo, s6
	v_mov_b32_e32 v0, 0
	s_mov_b32 s6, exec_lo
	buffer_store_dword v0, off, s[0:3], s32 offset:468 ; 4-byte Folded Spill
	v_mov_b32_e32 v0, 0
	buffer_store_dword v0, off, s[0:3], s32 offset:464 ; 4-byte Folded Spill
	v_cmpx_lt_u32_e32 0xffffff, v26
	s_cbranch_execz .LBB372_618
; %bb.611:                              ;   in Loop: Header=BB372_10 Depth=1
	v_cmp_ne_u32_sdwa s5, v26, v71 src0_sel:BYTE_3 src1_sel:DWORD
	v_bfrev_b32_e32 v0, 1
	buffer_store_dword v0, off, s[0:3], s32 offset:464 ; 4-byte Folded Spill
	s_and_saveexec_b32 s17, s5
	s_cbranch_execz .LBB372_617
; %bb.612:                              ;   in Loop: Header=BB372_10 Depth=1
	v_bfe_u32 v1, v26, 24, 7
	v_mov_b32_e32 v0, 0x7f800001
	s_mov_b32 s19, exec_lo
	buffer_store_dword v0, off, s[0:3], s32 offset:464 ; 4-byte Folded Spill
	v_cmpx_ne_u32_e32 0x7f, v1
	s_cbranch_execz .LBB372_616
; %bb.613:                              ;   in Loop: Header=BB372_10 Depth=1
	v_mov_b32_e32 v0, 7
	s_mov_b32 s20, exec_lo
	v_and_b32_sdwa v4, v26, v0 dst_sel:DWORD dst_unused:UNUSED_PAD src0_sel:BYTE_3 src1_sel:DWORD
	v_mov_b32_e32 v29, v5
	v_lshrrev_b32_e32 v0, 3, v1
	v_mov_b32_e32 v28, v4
	v_cmpx_gt_u32_e32 8, v1
; %bb.614:                              ;   in Loop: Header=BB372_10 Depth=1
	v_ffbh_u32_e32 v0, v4
	v_min_u32_e32 v0, 32, v0
	v_subrev_nc_u32_e32 v1, 28, v0
	v_sub_nc_u32_e32 v0, 29, v0
	v_lshlrev_b64 v[1:2], v1, v[4:5]
	v_and_b32_e32 v28, 7, v1
; %bb.615:                              ;   in Loop: Header=BB372_10 Depth=1
	s_or_b32 exec_lo, exec_lo, s20
	v_mov_b32_e32 v1, 24
	v_lshlrev_b32_e32 v2, 20, v28
	v_lshl_add_u32 v0, v0, 23, 0x3c000000
	v_lshlrev_b32_sdwa v1, v1, v26 dst_sel:DWORD dst_unused:UNUSED_PAD src0_sel:DWORD src1_sel:BYTE_3
	v_and_b32_e32 v1, 0x80000000, v1
	v_or3_b32 v0, v2, v1, v0
	buffer_store_dword v0, off, s[0:3], s32 offset:464 ; 4-byte Folded Spill
.LBB372_616:                            ;   in Loop: Header=BB372_10 Depth=1
	s_or_b32 exec_lo, exec_lo, s19
.LBB372_617:                            ;   in Loop: Header=BB372_10 Depth=1
	s_or_b32 exec_lo, exec_lo, s17
.LBB372_618:                            ;   in Loop: Header=BB372_10 Depth=1
	s_or_b32 exec_lo, exec_lo, s6
	v_mov_b32_e32 v4, v27
	v_cmp_ne_u16_sdwa s5, v27, v5 src0_sel:BYTE_0 src1_sel:DWORD
	s_and_saveexec_b32 s6, s5
	s_cbranch_execz .LBB372_626
; %bb.619:                              ;   in Loop: Header=BB372_10 Depth=1
	v_cmp_ne_u16_sdwa s5, v27, v71 src0_sel:BYTE_0 src1_sel:DWORD
	v_bfrev_b32_e32 v0, 1
	buffer_store_dword v0, off, s[0:3], s32 offset:468 ; 4-byte Folded Spill
	s_and_saveexec_b32 s17, s5
	s_cbranch_execz .LBB372_625
; %bb.620:                              ;   in Loop: Header=BB372_10 Depth=1
	v_and_b32_e32 v1, 0x7f, v27
	v_mov_b32_e32 v0, 0x7f800001
	s_mov_b32 s19, exec_lo
	buffer_store_dword v0, off, s[0:3], s32 offset:468 ; 4-byte Folded Spill
	v_cmpx_ne_u32_e32 0x7f, v1
	s_cbranch_execz .LBB372_624
; %bb.621:                              ;   in Loop: Header=BB372_10 Depth=1
	v_mov_b32_e32 v29, v5
	v_lshrrev_b32_e32 v0, 3, v1
	v_mov_b32_e32 v28, v4
	s_mov_b32 s20, exec_lo
	v_cmpx_gt_u32_e32 8, v1
; %bb.622:                              ;   in Loop: Header=BB372_10 Depth=1
	v_and_b32_e32 v0, 7, v27
	v_ffbh_u32_e32 v0, v0
	v_min_u32_e32 v0, 32, v0
	v_subrev_nc_u32_e32 v1, 28, v0
	v_sub_nc_u32_e32 v0, 29, v0
	v_lshlrev_b64 v[28:29], v1, v[4:5]
; %bb.623:                              ;   in Loop: Header=BB372_10 Depth=1
	s_or_b32 exec_lo, exec_lo, s20
	v_lshlrev_b32_e32 v1, 20, v28
	v_lshlrev_b32_e32 v2, 24, v4
	v_lshl_add_u32 v0, v0, 23, 0x3c000000
	v_and_b32_e32 v1, 0x700000, v1
	v_and_b32_e32 v2, 0x80000000, v2
	v_or3_b32 v0, v1, v2, v0
	buffer_store_dword v0, off, s[0:3], s32 offset:468 ; 4-byte Folded Spill
.LBB372_624:                            ;   in Loop: Header=BB372_10 Depth=1
	s_or_b32 exec_lo, exec_lo, s19
.LBB372_625:                            ;   in Loop: Header=BB372_10 Depth=1
	s_or_b32 exec_lo, exec_lo, s17
.LBB372_626:                            ;   in Loop: Header=BB372_10 Depth=1
	s_or_b32 exec_lo, exec_lo, s6
	v_mov_b32_e32 v0, 0
	v_cmp_ne_u16_sdwa s5, v4, v5 src0_sel:BYTE_1 src1_sel:DWORD
	buffer_store_dword v0, off, s[0:3], s32 offset:472 ; 4-byte Folded Spill
	v_mov_b32_e32 v0, 0
	buffer_store_dword v0, off, s[0:3], s32 offset:476 ; 4-byte Folded Spill
	s_and_saveexec_b32 s6, s5
	s_cbranch_execz .LBB372_634
; %bb.627:                              ;   in Loop: Header=BB372_10 Depth=1
	v_cmp_ne_u16_sdwa s5, v4, v71 src0_sel:BYTE_1 src1_sel:DWORD
	v_bfrev_b32_e32 v0, 1
	buffer_store_dword v0, off, s[0:3], s32 offset:476 ; 4-byte Folded Spill
	s_and_saveexec_b32 s17, s5
	s_cbranch_execz .LBB372_633
; %bb.628:                              ;   in Loop: Header=BB372_10 Depth=1
	v_mov_b32_e32 v0, 0xffff
	v_mov_b32_e32 v2, 0x7f800001
	s_mov_b32 s19, exec_lo
	v_and_b32_sdwa v0, v0, v4 dst_sel:DWORD dst_unused:UNUSED_PAD src0_sel:DWORD src1_sel:BYTE_1
	buffer_store_dword v2, off, s[0:3], s32 offset:476 ; 4-byte Folded Spill
	v_and_b32_e32 v1, 0x7f, v0
	v_cmpx_ne_u32_e32 0x7f, v1
	s_cbranch_execz .LBB372_632
; %bb.629:                              ;   in Loop: Header=BB372_10 Depth=1
	v_and_b32_e32 v28, 7, v0
	v_mov_b32_e32 v29, v5
	v_lshrrev_b32_e32 v0, 3, v1
	s_mov_b32 s20, exec_lo
	v_cmpx_gt_u32_e32 8, v1
; %bb.630:                              ;   in Loop: Header=BB372_10 Depth=1
	v_ffbh_u32_e32 v0, v28
	v_min_u32_e32 v0, 32, v0
	v_subrev_nc_u32_e32 v1, 28, v0
	v_sub_nc_u32_e32 v0, 29, v0
	v_lshlrev_b64 v[1:2], v1, v[28:29]
	v_and_b32_e32 v28, 7, v1
; %bb.631:                              ;   in Loop: Header=BB372_10 Depth=1
	s_or_b32 exec_lo, exec_lo, s20
	v_lshlrev_b32_e32 v1, 16, v4
	v_lshlrev_b32_e32 v2, 20, v28
	v_lshl_add_u32 v0, v0, 23, 0x3c000000
	v_and_b32_e32 v1, 0x80000000, v1
	v_or3_b32 v0, v2, v1, v0
	buffer_store_dword v0, off, s[0:3], s32 offset:476 ; 4-byte Folded Spill
.LBB372_632:                            ;   in Loop: Header=BB372_10 Depth=1
	s_or_b32 exec_lo, exec_lo, s19
.LBB372_633:                            ;   in Loop: Header=BB372_10 Depth=1
	s_or_b32 exec_lo, exec_lo, s17
.LBB372_634:                            ;   in Loop: Header=BB372_10 Depth=1
	s_or_b32 exec_lo, exec_lo, s6
	v_mov_b32_e32 v0, 0xff
	s_mov_b32 s6, exec_lo
	v_and_b32_sdwa v0, v27, v0 dst_sel:DWORD dst_unused:UNUSED_PAD src0_sel:WORD_1 src1_sel:DWORD
	v_cmpx_ne_u16_e32 0, v0
	s_cbranch_execz .LBB372_642
; %bb.635:                              ;   in Loop: Header=BB372_10 Depth=1
	v_cmp_ne_u16_e64 s5, 0x80, v0
	v_bfrev_b32_e32 v0, 1
	buffer_store_dword v0, off, s[0:3], s32 offset:472 ; 4-byte Folded Spill
	s_and_saveexec_b32 s17, s5
	s_cbranch_execz .LBB372_641
; %bb.636:                              ;   in Loop: Header=BB372_10 Depth=1
	v_bfe_u32 v1, v27, 16, 7
	v_mov_b32_e32 v0, 0x7f800001
	s_mov_b32 s19, exec_lo
	buffer_store_dword v0, off, s[0:3], s32 offset:472 ; 4-byte Folded Spill
	v_cmpx_ne_u32_e32 0x7f, v1
	s_cbranch_execz .LBB372_640
; %bb.637:                              ;   in Loop: Header=BB372_10 Depth=1
	v_mov_b32_e32 v0, 7
	s_mov_b32 s20, exec_lo
	v_and_b32_sdwa v4, v27, v0 dst_sel:DWORD dst_unused:UNUSED_PAD src0_sel:WORD_1 src1_sel:DWORD
	v_mov_b32_e32 v29, v5
	v_lshrrev_b32_e32 v0, 3, v1
	v_mov_b32_e32 v28, v4
	v_cmpx_gt_u32_e32 8, v1
; %bb.638:                              ;   in Loop: Header=BB372_10 Depth=1
	v_ffbh_u32_e32 v0, v4
	v_min_u32_e32 v0, 32, v0
	v_subrev_nc_u32_e32 v1, 28, v0
	v_sub_nc_u32_e32 v0, 29, v0
	v_lshlrev_b64 v[1:2], v1, v[4:5]
	v_and_b32_e32 v28, 7, v1
; %bb.639:                              ;   in Loop: Header=BB372_10 Depth=1
	s_or_b32 exec_lo, exec_lo, s20
	v_mov_b32_e32 v1, 24
	v_lshlrev_b32_e32 v2, 20, v28
	v_lshl_add_u32 v0, v0, 23, 0x3c000000
	v_lshlrev_b32_sdwa v1, v1, v27 dst_sel:DWORD dst_unused:UNUSED_PAD src0_sel:DWORD src1_sel:WORD_1
	v_and_b32_e32 v1, 0x80000000, v1
	v_or3_b32 v0, v2, v1, v0
	buffer_store_dword v0, off, s[0:3], s32 offset:472 ; 4-byte Folded Spill
.LBB372_640:                            ;   in Loop: Header=BB372_10 Depth=1
	s_or_b32 exec_lo, exec_lo, s19
.LBB372_641:                            ;   in Loop: Header=BB372_10 Depth=1
	s_or_b32 exec_lo, exec_lo, s17
.LBB372_642:                            ;   in Loop: Header=BB372_10 Depth=1
	s_or_b32 exec_lo, exec_lo, s6
	v_mov_b32_e32 v0, 0
	s_mov_b32 s6, exec_lo
	buffer_store_dword v0, off, s[0:3], s32 offset:484 ; 4-byte Folded Spill
	v_mov_b32_e32 v0, 0
	buffer_store_dword v0, off, s[0:3], s32 offset:480 ; 4-byte Folded Spill
	v_cmpx_lt_u64_e64 s[8:9], v[26:27]
	s_cbranch_execz .LBB372_650
; %bb.643:                              ;   in Loop: Header=BB372_10 Depth=1
	v_cmp_ne_u32_sdwa s5, v27, v71 src0_sel:BYTE_3 src1_sel:DWORD
	v_bfrev_b32_e32 v0, 1
	buffer_store_dword v0, off, s[0:3], s32 offset:480 ; 4-byte Folded Spill
	s_and_saveexec_b32 s17, s5
	s_cbranch_execz .LBB372_649
; %bb.644:                              ;   in Loop: Header=BB372_10 Depth=1
	v_bfe_u32 v1, v27, 24, 7
	v_mov_b32_e32 v0, 0x7f800001
	s_mov_b32 s19, exec_lo
	buffer_store_dword v0, off, s[0:3], s32 offset:480 ; 4-byte Folded Spill
	v_cmpx_ne_u32_e32 0x7f, v1
	s_cbranch_execz .LBB372_648
; %bb.645:                              ;   in Loop: Header=BB372_10 Depth=1
	v_mov_b32_e32 v0, 7
	s_mov_b32 s20, exec_lo
	v_and_b32_sdwa v4, v27, v0 dst_sel:DWORD dst_unused:UNUSED_PAD src0_sel:BYTE_3 src1_sel:DWORD
	v_mov_b32_e32 v29, v5
	v_lshrrev_b32_e32 v0, 3, v1
	v_mov_b32_e32 v28, v4
	v_cmpx_gt_u32_e32 8, v1
; %bb.646:                              ;   in Loop: Header=BB372_10 Depth=1
	v_ffbh_u32_e32 v0, v4
	v_min_u32_e32 v0, 32, v0
	v_subrev_nc_u32_e32 v1, 28, v0
	v_sub_nc_u32_e32 v0, 29, v0
	v_lshlrev_b64 v[1:2], v1, v[4:5]
	v_and_b32_e32 v28, 7, v1
; %bb.647:                              ;   in Loop: Header=BB372_10 Depth=1
	s_or_b32 exec_lo, exec_lo, s20
	v_mov_b32_e32 v1, 24
	v_lshlrev_b32_e32 v2, 20, v28
	v_lshl_add_u32 v0, v0, 23, 0x3c000000
	v_lshlrev_b32_sdwa v1, v1, v27 dst_sel:DWORD dst_unused:UNUSED_PAD src0_sel:DWORD src1_sel:BYTE_3
	v_and_b32_e32 v1, 0x80000000, v1
	v_or3_b32 v0, v2, v1, v0
	buffer_store_dword v0, off, s[0:3], s32 offset:480 ; 4-byte Folded Spill
.LBB372_648:                            ;   in Loop: Header=BB372_10 Depth=1
	s_or_b32 exec_lo, exec_lo, s19
.LBB372_649:                            ;   in Loop: Header=BB372_10 Depth=1
	s_or_b32 exec_lo, exec_lo, s17
.LBB372_650:                            ;   in Loop: Header=BB372_10 Depth=1
	s_or_b32 exec_lo, exec_lo, s6
	flat_load_dwordx2 v[26:27], v[24:25] offset:512
	s_waitcnt vmcnt(0) lgkmcnt(0)
	v_cmp_ne_u16_sdwa s5, v26, v5 src0_sel:BYTE_0 src1_sel:DWORD
	s_and_saveexec_b32 s6, s5
	s_cbranch_execz .LBB372_658
; %bb.651:                              ;   in Loop: Header=BB372_10 Depth=1
	v_cmp_ne_u16_sdwa s5, v26, v71 src0_sel:BYTE_0 src1_sel:DWORD
	v_bfrev_b32_e32 v0, 1
	buffer_store_dword v0, off, s[0:3], s32 offset:484 ; 4-byte Folded Spill
	s_and_saveexec_b32 s17, s5
	s_cbranch_execz .LBB372_657
; %bb.652:                              ;   in Loop: Header=BB372_10 Depth=1
	v_and_b32_e32 v1, 0x7f, v26
	v_mov_b32_e32 v0, 0x7f800001
	s_mov_b32 s19, exec_lo
	buffer_store_dword v0, off, s[0:3], s32 offset:484 ; 4-byte Folded Spill
	v_cmpx_ne_u32_e32 0x7f, v1
	s_cbranch_execz .LBB372_656
; %bb.653:                              ;   in Loop: Header=BB372_10 Depth=1
	v_mov_b32_e32 v29, v27
	v_lshrrev_b32_e32 v0, 3, v1
	v_mov_b32_e32 v28, v26
	s_mov_b32 s20, exec_lo
	v_cmpx_gt_u32_e32 8, v1
; %bb.654:                              ;   in Loop: Header=BB372_10 Depth=1
	v_and_b32_e32 v0, 7, v26
	v_ffbh_u32_e32 v0, v0
	v_min_u32_e32 v0, 32, v0
	v_subrev_nc_u32_e32 v1, 28, v0
	v_sub_nc_u32_e32 v0, 29, v0
	v_lshlrev_b64 v[28:29], v1, v[26:27]
; %bb.655:                              ;   in Loop: Header=BB372_10 Depth=1
	s_or_b32 exec_lo, exec_lo, s20
	v_lshlrev_b32_e32 v1, 20, v28
	v_lshlrev_b32_e32 v2, 24, v26
	v_lshl_add_u32 v0, v0, 23, 0x3c000000
	v_and_b32_e32 v1, 0x700000, v1
	v_and_b32_e32 v2, 0x80000000, v2
	v_or3_b32 v0, v1, v2, v0
	buffer_store_dword v0, off, s[0:3], s32 offset:484 ; 4-byte Folded Spill
.LBB372_656:                            ;   in Loop: Header=BB372_10 Depth=1
	s_or_b32 exec_lo, exec_lo, s19
.LBB372_657:                            ;   in Loop: Header=BB372_10 Depth=1
	s_or_b32 exec_lo, exec_lo, s17
.LBB372_658:                            ;   in Loop: Header=BB372_10 Depth=1
	s_or_b32 exec_lo, exec_lo, s6
	v_mov_b32_e32 v0, 0
	v_cmp_ne_u16_sdwa s5, v26, v5 src0_sel:BYTE_1 src1_sel:DWORD
	buffer_store_dword v0, off, s[0:3], s32 offset:492 ; 4-byte Folded Spill
	v_mov_b32_e32 v0, 0
	buffer_store_dword v0, off, s[0:3], s32 offset:488 ; 4-byte Folded Spill
	s_and_saveexec_b32 s6, s5
	s_cbranch_execz .LBB372_666
; %bb.659:                              ;   in Loop: Header=BB372_10 Depth=1
	v_cmp_ne_u16_sdwa s5, v26, v71 src0_sel:BYTE_1 src1_sel:DWORD
	v_bfrev_b32_e32 v0, 1
	buffer_store_dword v0, off, s[0:3], s32 offset:488 ; 4-byte Folded Spill
	s_and_saveexec_b32 s17, s5
	s_cbranch_execz .LBB372_665
; %bb.660:                              ;   in Loop: Header=BB372_10 Depth=1
	v_mov_b32_e32 v0, 0xffff
	v_mov_b32_e32 v2, 0x7f800001
	s_mov_b32 s19, exec_lo
	v_and_b32_sdwa v0, v0, v26 dst_sel:DWORD dst_unused:UNUSED_PAD src0_sel:DWORD src1_sel:BYTE_1
	buffer_store_dword v2, off, s[0:3], s32 offset:488 ; 4-byte Folded Spill
	v_and_b32_e32 v1, 0x7f, v0
	v_cmpx_ne_u32_e32 0x7f, v1
	s_cbranch_execz .LBB372_664
; %bb.661:                              ;   in Loop: Header=BB372_10 Depth=1
	v_and_b32_e32 v4, 7, v0
	v_mov_b32_e32 v29, v5
	v_lshrrev_b32_e32 v0, 3, v1
	s_mov_b32 s20, exec_lo
	v_mov_b32_e32 v28, v4
	v_cmpx_gt_u32_e32 8, v1
; %bb.662:                              ;   in Loop: Header=BB372_10 Depth=1
	v_ffbh_u32_e32 v0, v4
	v_min_u32_e32 v0, 32, v0
	v_subrev_nc_u32_e32 v1, 28, v0
	v_sub_nc_u32_e32 v0, 29, v0
	v_lshlrev_b64 v[1:2], v1, v[4:5]
	v_and_b32_e32 v28, 7, v1
; %bb.663:                              ;   in Loop: Header=BB372_10 Depth=1
	s_or_b32 exec_lo, exec_lo, s20
	v_lshlrev_b32_e32 v1, 16, v26
	v_lshlrev_b32_e32 v2, 20, v28
	v_lshl_add_u32 v0, v0, 23, 0x3c000000
	v_and_b32_e32 v1, 0x80000000, v1
	v_or3_b32 v0, v2, v1, v0
	buffer_store_dword v0, off, s[0:3], s32 offset:488 ; 4-byte Folded Spill
.LBB372_664:                            ;   in Loop: Header=BB372_10 Depth=1
	s_or_b32 exec_lo, exec_lo, s19
.LBB372_665:                            ;   in Loop: Header=BB372_10 Depth=1
	s_or_b32 exec_lo, exec_lo, s17
.LBB372_666:                            ;   in Loop: Header=BB372_10 Depth=1
	s_or_b32 exec_lo, exec_lo, s6
	v_mov_b32_e32 v0, 0xff
	s_mov_b32 s6, exec_lo
	v_and_b32_sdwa v0, v26, v0 dst_sel:DWORD dst_unused:UNUSED_PAD src0_sel:WORD_1 src1_sel:DWORD
	v_cmpx_ne_u16_e32 0, v0
	s_cbranch_execz .LBB372_674
; %bb.667:                              ;   in Loop: Header=BB372_10 Depth=1
	v_cmp_ne_u16_e64 s5, 0x80, v0
	v_bfrev_b32_e32 v0, 1
	buffer_store_dword v0, off, s[0:3], s32 offset:492 ; 4-byte Folded Spill
	s_and_saveexec_b32 s17, s5
	s_cbranch_execz .LBB372_673
; %bb.668:                              ;   in Loop: Header=BB372_10 Depth=1
	v_bfe_u32 v1, v26, 16, 7
	v_mov_b32_e32 v0, 0x7f800001
	s_mov_b32 s19, exec_lo
	buffer_store_dword v0, off, s[0:3], s32 offset:492 ; 4-byte Folded Spill
	v_cmpx_ne_u32_e32 0x7f, v1
	s_cbranch_execz .LBB372_672
; %bb.669:                              ;   in Loop: Header=BB372_10 Depth=1
	v_mov_b32_e32 v0, 7
	s_mov_b32 s20, exec_lo
	v_and_b32_sdwa v4, v26, v0 dst_sel:DWORD dst_unused:UNUSED_PAD src0_sel:WORD_1 src1_sel:DWORD
	v_mov_b32_e32 v29, v5
	v_lshrrev_b32_e32 v0, 3, v1
	v_mov_b32_e32 v28, v4
	v_cmpx_gt_u32_e32 8, v1
; %bb.670:                              ;   in Loop: Header=BB372_10 Depth=1
	v_ffbh_u32_e32 v0, v4
	v_min_u32_e32 v0, 32, v0
	v_subrev_nc_u32_e32 v1, 28, v0
	v_sub_nc_u32_e32 v0, 29, v0
	v_lshlrev_b64 v[1:2], v1, v[4:5]
	v_and_b32_e32 v28, 7, v1
; %bb.671:                              ;   in Loop: Header=BB372_10 Depth=1
	s_or_b32 exec_lo, exec_lo, s20
	v_mov_b32_e32 v1, 24
	v_lshlrev_b32_e32 v2, 20, v28
	v_lshl_add_u32 v0, v0, 23, 0x3c000000
	v_lshlrev_b32_sdwa v1, v1, v26 dst_sel:DWORD dst_unused:UNUSED_PAD src0_sel:DWORD src1_sel:WORD_1
	v_and_b32_e32 v1, 0x80000000, v1
	v_or3_b32 v0, v2, v1, v0
	buffer_store_dword v0, off, s[0:3], s32 offset:492 ; 4-byte Folded Spill
.LBB372_672:                            ;   in Loop: Header=BB372_10 Depth=1
	s_or_b32 exec_lo, exec_lo, s19
.LBB372_673:                            ;   in Loop: Header=BB372_10 Depth=1
	s_or_b32 exec_lo, exec_lo, s17
.LBB372_674:                            ;   in Loop: Header=BB372_10 Depth=1
	s_or_b32 exec_lo, exec_lo, s6
	v_mov_b32_e32 v0, 0
	s_mov_b32 s6, exec_lo
	buffer_store_dword v0, off, s[0:3], s32 offset:500 ; 4-byte Folded Spill
	v_mov_b32_e32 v0, 0
	buffer_store_dword v0, off, s[0:3], s32 offset:496 ; 4-byte Folded Spill
	v_cmpx_lt_u32_e32 0xffffff, v26
	s_cbranch_execz .LBB372_682
; %bb.675:                              ;   in Loop: Header=BB372_10 Depth=1
	v_cmp_ne_u32_sdwa s5, v26, v71 src0_sel:BYTE_3 src1_sel:DWORD
	v_bfrev_b32_e32 v0, 1
	buffer_store_dword v0, off, s[0:3], s32 offset:496 ; 4-byte Folded Spill
	s_and_saveexec_b32 s17, s5
	s_cbranch_execz .LBB372_681
; %bb.676:                              ;   in Loop: Header=BB372_10 Depth=1
	v_bfe_u32 v1, v26, 24, 7
	v_mov_b32_e32 v0, 0x7f800001
	s_mov_b32 s19, exec_lo
	buffer_store_dword v0, off, s[0:3], s32 offset:496 ; 4-byte Folded Spill
	v_cmpx_ne_u32_e32 0x7f, v1
	s_cbranch_execz .LBB372_680
; %bb.677:                              ;   in Loop: Header=BB372_10 Depth=1
	v_mov_b32_e32 v0, 7
	s_mov_b32 s20, exec_lo
	v_and_b32_sdwa v4, v26, v0 dst_sel:DWORD dst_unused:UNUSED_PAD src0_sel:BYTE_3 src1_sel:DWORD
	v_mov_b32_e32 v29, v5
	v_lshrrev_b32_e32 v0, 3, v1
	v_mov_b32_e32 v28, v4
	v_cmpx_gt_u32_e32 8, v1
; %bb.678:                              ;   in Loop: Header=BB372_10 Depth=1
	v_ffbh_u32_e32 v0, v4
	v_min_u32_e32 v0, 32, v0
	v_subrev_nc_u32_e32 v1, 28, v0
	v_sub_nc_u32_e32 v0, 29, v0
	v_lshlrev_b64 v[1:2], v1, v[4:5]
	v_and_b32_e32 v28, 7, v1
; %bb.679:                              ;   in Loop: Header=BB372_10 Depth=1
	s_or_b32 exec_lo, exec_lo, s20
	v_mov_b32_e32 v1, 24
	v_lshlrev_b32_e32 v2, 20, v28
	v_lshl_add_u32 v0, v0, 23, 0x3c000000
	v_lshlrev_b32_sdwa v1, v1, v26 dst_sel:DWORD dst_unused:UNUSED_PAD src0_sel:DWORD src1_sel:BYTE_3
	v_and_b32_e32 v1, 0x80000000, v1
	v_or3_b32 v0, v2, v1, v0
	buffer_store_dword v0, off, s[0:3], s32 offset:496 ; 4-byte Folded Spill
.LBB372_680:                            ;   in Loop: Header=BB372_10 Depth=1
	s_or_b32 exec_lo, exec_lo, s19
.LBB372_681:                            ;   in Loop: Header=BB372_10 Depth=1
	s_or_b32 exec_lo, exec_lo, s17
.LBB372_682:                            ;   in Loop: Header=BB372_10 Depth=1
	s_or_b32 exec_lo, exec_lo, s6
	v_mov_b32_e32 v4, v27
	v_cmp_ne_u16_sdwa s5, v27, v5 src0_sel:BYTE_0 src1_sel:DWORD
	s_and_saveexec_b32 s6, s5
	s_cbranch_execz .LBB372_690
; %bb.683:                              ;   in Loop: Header=BB372_10 Depth=1
	v_cmp_ne_u16_sdwa s5, v27, v71 src0_sel:BYTE_0 src1_sel:DWORD
	v_bfrev_b32_e32 v0, 1
	buffer_store_dword v0, off, s[0:3], s32 offset:500 ; 4-byte Folded Spill
	s_and_saveexec_b32 s17, s5
	s_cbranch_execz .LBB372_689
; %bb.684:                              ;   in Loop: Header=BB372_10 Depth=1
	v_and_b32_e32 v1, 0x7f, v27
	v_mov_b32_e32 v0, 0x7f800001
	s_mov_b32 s19, exec_lo
	buffer_store_dword v0, off, s[0:3], s32 offset:500 ; 4-byte Folded Spill
	v_cmpx_ne_u32_e32 0x7f, v1
	s_cbranch_execz .LBB372_688
; %bb.685:                              ;   in Loop: Header=BB372_10 Depth=1
	v_mov_b32_e32 v29, v5
	v_lshrrev_b32_e32 v0, 3, v1
	v_mov_b32_e32 v28, v4
	s_mov_b32 s20, exec_lo
	v_cmpx_gt_u32_e32 8, v1
; %bb.686:                              ;   in Loop: Header=BB372_10 Depth=1
	v_and_b32_e32 v0, 7, v27
	v_ffbh_u32_e32 v0, v0
	v_min_u32_e32 v0, 32, v0
	v_subrev_nc_u32_e32 v1, 28, v0
	v_sub_nc_u32_e32 v0, 29, v0
	v_lshlrev_b64 v[28:29], v1, v[4:5]
; %bb.687:                              ;   in Loop: Header=BB372_10 Depth=1
	s_or_b32 exec_lo, exec_lo, s20
	v_lshlrev_b32_e32 v1, 20, v28
	v_lshlrev_b32_e32 v2, 24, v4
	v_lshl_add_u32 v0, v0, 23, 0x3c000000
	v_and_b32_e32 v1, 0x700000, v1
	v_and_b32_e32 v2, 0x80000000, v2
	v_or3_b32 v0, v1, v2, v0
	buffer_store_dword v0, off, s[0:3], s32 offset:500 ; 4-byte Folded Spill
.LBB372_688:                            ;   in Loop: Header=BB372_10 Depth=1
	s_or_b32 exec_lo, exec_lo, s19
.LBB372_689:                            ;   in Loop: Header=BB372_10 Depth=1
	s_or_b32 exec_lo, exec_lo, s17
.LBB372_690:                            ;   in Loop: Header=BB372_10 Depth=1
	s_or_b32 exec_lo, exec_lo, s6
	v_mov_b32_e32 v0, 0
	v_cmp_ne_u16_sdwa s5, v4, v5 src0_sel:BYTE_1 src1_sel:DWORD
	buffer_store_dword v0, off, s[0:3], s32 offset:504 ; 4-byte Folded Spill
	v_mov_b32_e32 v0, 0
	buffer_store_dword v0, off, s[0:3], s32 offset:508 ; 4-byte Folded Spill
	s_and_saveexec_b32 s6, s5
	s_cbranch_execz .LBB372_698
; %bb.691:                              ;   in Loop: Header=BB372_10 Depth=1
	v_cmp_ne_u16_sdwa s5, v4, v71 src0_sel:BYTE_1 src1_sel:DWORD
	v_bfrev_b32_e32 v0, 1
	buffer_store_dword v0, off, s[0:3], s32 offset:508 ; 4-byte Folded Spill
	s_and_saveexec_b32 s17, s5
	s_cbranch_execz .LBB372_697
; %bb.692:                              ;   in Loop: Header=BB372_10 Depth=1
	v_mov_b32_e32 v0, 0xffff
	v_mov_b32_e32 v2, 0x7f800001
	s_mov_b32 s19, exec_lo
	v_and_b32_sdwa v0, v0, v4 dst_sel:DWORD dst_unused:UNUSED_PAD src0_sel:DWORD src1_sel:BYTE_1
	buffer_store_dword v2, off, s[0:3], s32 offset:508 ; 4-byte Folded Spill
	v_and_b32_e32 v1, 0x7f, v0
	v_cmpx_ne_u32_e32 0x7f, v1
	s_cbranch_execz .LBB372_696
; %bb.693:                              ;   in Loop: Header=BB372_10 Depth=1
	v_and_b32_e32 v28, 7, v0
	v_mov_b32_e32 v29, v5
	v_lshrrev_b32_e32 v0, 3, v1
	s_mov_b32 s20, exec_lo
	v_cmpx_gt_u32_e32 8, v1
; %bb.694:                              ;   in Loop: Header=BB372_10 Depth=1
	v_ffbh_u32_e32 v0, v28
	v_min_u32_e32 v0, 32, v0
	v_subrev_nc_u32_e32 v1, 28, v0
	v_sub_nc_u32_e32 v0, 29, v0
	v_lshlrev_b64 v[1:2], v1, v[28:29]
	v_and_b32_e32 v28, 7, v1
; %bb.695:                              ;   in Loop: Header=BB372_10 Depth=1
	s_or_b32 exec_lo, exec_lo, s20
	v_lshlrev_b32_e32 v1, 16, v4
	v_lshlrev_b32_e32 v2, 20, v28
	v_lshl_add_u32 v0, v0, 23, 0x3c000000
	v_and_b32_e32 v1, 0x80000000, v1
	v_or3_b32 v0, v2, v1, v0
	buffer_store_dword v0, off, s[0:3], s32 offset:508 ; 4-byte Folded Spill
.LBB372_696:                            ;   in Loop: Header=BB372_10 Depth=1
	s_or_b32 exec_lo, exec_lo, s19
.LBB372_697:                            ;   in Loop: Header=BB372_10 Depth=1
	s_or_b32 exec_lo, exec_lo, s17
.LBB372_698:                            ;   in Loop: Header=BB372_10 Depth=1
	s_or_b32 exec_lo, exec_lo, s6
	v_mov_b32_e32 v0, 0xff
	s_mov_b32 s6, exec_lo
	v_and_b32_sdwa v0, v27, v0 dst_sel:DWORD dst_unused:UNUSED_PAD src0_sel:WORD_1 src1_sel:DWORD
	v_cmpx_ne_u16_e32 0, v0
	s_cbranch_execz .LBB372_706
; %bb.699:                              ;   in Loop: Header=BB372_10 Depth=1
	v_cmp_ne_u16_e64 s5, 0x80, v0
	v_bfrev_b32_e32 v0, 1
	buffer_store_dword v0, off, s[0:3], s32 offset:504 ; 4-byte Folded Spill
	s_and_saveexec_b32 s17, s5
	s_cbranch_execz .LBB372_705
; %bb.700:                              ;   in Loop: Header=BB372_10 Depth=1
	v_bfe_u32 v1, v27, 16, 7
	v_mov_b32_e32 v0, 0x7f800001
	s_mov_b32 s19, exec_lo
	buffer_store_dword v0, off, s[0:3], s32 offset:504 ; 4-byte Folded Spill
	v_cmpx_ne_u32_e32 0x7f, v1
	s_cbranch_execz .LBB372_704
; %bb.701:                              ;   in Loop: Header=BB372_10 Depth=1
	v_mov_b32_e32 v0, 7
	s_mov_b32 s20, exec_lo
	v_and_b32_sdwa v4, v27, v0 dst_sel:DWORD dst_unused:UNUSED_PAD src0_sel:WORD_1 src1_sel:DWORD
	v_mov_b32_e32 v29, v5
	v_lshrrev_b32_e32 v0, 3, v1
	v_mov_b32_e32 v28, v4
	v_cmpx_gt_u32_e32 8, v1
; %bb.702:                              ;   in Loop: Header=BB372_10 Depth=1
	v_ffbh_u32_e32 v0, v4
	v_min_u32_e32 v0, 32, v0
	v_subrev_nc_u32_e32 v1, 28, v0
	v_sub_nc_u32_e32 v0, 29, v0
	v_lshlrev_b64 v[1:2], v1, v[4:5]
	v_and_b32_e32 v28, 7, v1
; %bb.703:                              ;   in Loop: Header=BB372_10 Depth=1
	s_or_b32 exec_lo, exec_lo, s20
	v_mov_b32_e32 v1, 24
	v_lshlrev_b32_e32 v2, 20, v28
	v_lshl_add_u32 v0, v0, 23, 0x3c000000
	v_lshlrev_b32_sdwa v1, v1, v27 dst_sel:DWORD dst_unused:UNUSED_PAD src0_sel:DWORD src1_sel:WORD_1
	v_and_b32_e32 v1, 0x80000000, v1
	v_or3_b32 v0, v2, v1, v0
	buffer_store_dword v0, off, s[0:3], s32 offset:504 ; 4-byte Folded Spill
.LBB372_704:                            ;   in Loop: Header=BB372_10 Depth=1
	s_or_b32 exec_lo, exec_lo, s19
.LBB372_705:                            ;   in Loop: Header=BB372_10 Depth=1
	s_or_b32 exec_lo, exec_lo, s17
.LBB372_706:                            ;   in Loop: Header=BB372_10 Depth=1
	s_or_b32 exec_lo, exec_lo, s6
	v_mov_b32_e32 v0, 0
	s_mov_b32 s6, exec_lo
	buffer_store_dword v0, off, s[0:3], s32 offset:516 ; 4-byte Folded Spill
	v_mov_b32_e32 v0, 0
	buffer_store_dword v0, off, s[0:3], s32 offset:512 ; 4-byte Folded Spill
	v_cmpx_lt_u64_e64 s[8:9], v[26:27]
	s_cbranch_execz .LBB372_714
; %bb.707:                              ;   in Loop: Header=BB372_10 Depth=1
	v_cmp_ne_u32_sdwa s5, v27, v71 src0_sel:BYTE_3 src1_sel:DWORD
	v_bfrev_b32_e32 v0, 1
	buffer_store_dword v0, off, s[0:3], s32 offset:512 ; 4-byte Folded Spill
	s_and_saveexec_b32 s17, s5
	s_cbranch_execz .LBB372_713
; %bb.708:                              ;   in Loop: Header=BB372_10 Depth=1
	v_bfe_u32 v1, v27, 24, 7
	v_mov_b32_e32 v0, 0x7f800001
	s_mov_b32 s19, exec_lo
	buffer_store_dword v0, off, s[0:3], s32 offset:512 ; 4-byte Folded Spill
	v_cmpx_ne_u32_e32 0x7f, v1
	s_cbranch_execz .LBB372_712
; %bb.709:                              ;   in Loop: Header=BB372_10 Depth=1
	v_mov_b32_e32 v0, 7
	s_mov_b32 s20, exec_lo
	v_and_b32_sdwa v4, v27, v0 dst_sel:DWORD dst_unused:UNUSED_PAD src0_sel:BYTE_3 src1_sel:DWORD
	v_mov_b32_e32 v29, v5
	v_lshrrev_b32_e32 v0, 3, v1
	v_mov_b32_e32 v28, v4
	v_cmpx_gt_u32_e32 8, v1
; %bb.710:                              ;   in Loop: Header=BB372_10 Depth=1
	v_ffbh_u32_e32 v0, v4
	v_min_u32_e32 v0, 32, v0
	v_subrev_nc_u32_e32 v1, 28, v0
	v_sub_nc_u32_e32 v0, 29, v0
	v_lshlrev_b64 v[1:2], v1, v[4:5]
	v_and_b32_e32 v28, 7, v1
; %bb.711:                              ;   in Loop: Header=BB372_10 Depth=1
	s_or_b32 exec_lo, exec_lo, s20
	v_mov_b32_e32 v1, 24
	v_lshlrev_b32_e32 v2, 20, v28
	v_lshl_add_u32 v0, v0, 23, 0x3c000000
	v_lshlrev_b32_sdwa v1, v1, v27 dst_sel:DWORD dst_unused:UNUSED_PAD src0_sel:DWORD src1_sel:BYTE_3
	v_and_b32_e32 v1, 0x80000000, v1
	v_or3_b32 v0, v2, v1, v0
	buffer_store_dword v0, off, s[0:3], s32 offset:512 ; 4-byte Folded Spill
.LBB372_712:                            ;   in Loop: Header=BB372_10 Depth=1
	s_or_b32 exec_lo, exec_lo, s19
.LBB372_713:                            ;   in Loop: Header=BB372_10 Depth=1
	s_or_b32 exec_lo, exec_lo, s17
.LBB372_714:                            ;   in Loop: Header=BB372_10 Depth=1
	s_or_b32 exec_lo, exec_lo, s6
	flat_load_dwordx2 v[26:27], v[24:25] offset:520
	s_waitcnt vmcnt(0) lgkmcnt(0)
	v_cmp_ne_u16_sdwa s5, v26, v5 src0_sel:BYTE_0 src1_sel:DWORD
	s_and_saveexec_b32 s6, s5
	s_cbranch_execz .LBB372_722
; %bb.715:                              ;   in Loop: Header=BB372_10 Depth=1
	v_cmp_ne_u16_sdwa s5, v26, v71 src0_sel:BYTE_0 src1_sel:DWORD
	v_bfrev_b32_e32 v0, 1
	buffer_store_dword v0, off, s[0:3], s32 offset:516 ; 4-byte Folded Spill
	s_and_saveexec_b32 s17, s5
	s_cbranch_execz .LBB372_721
; %bb.716:                              ;   in Loop: Header=BB372_10 Depth=1
	v_and_b32_e32 v1, 0x7f, v26
	v_mov_b32_e32 v0, 0x7f800001
	s_mov_b32 s19, exec_lo
	buffer_store_dword v0, off, s[0:3], s32 offset:516 ; 4-byte Folded Spill
	v_cmpx_ne_u32_e32 0x7f, v1
	s_cbranch_execz .LBB372_720
; %bb.717:                              ;   in Loop: Header=BB372_10 Depth=1
	v_mov_b32_e32 v29, v27
	v_lshrrev_b32_e32 v0, 3, v1
	v_mov_b32_e32 v28, v26
	s_mov_b32 s20, exec_lo
	v_cmpx_gt_u32_e32 8, v1
; %bb.718:                              ;   in Loop: Header=BB372_10 Depth=1
	v_and_b32_e32 v0, 7, v26
	v_ffbh_u32_e32 v0, v0
	v_min_u32_e32 v0, 32, v0
	v_subrev_nc_u32_e32 v1, 28, v0
	v_sub_nc_u32_e32 v0, 29, v0
	v_lshlrev_b64 v[28:29], v1, v[26:27]
; %bb.719:                              ;   in Loop: Header=BB372_10 Depth=1
	s_or_b32 exec_lo, exec_lo, s20
	v_lshlrev_b32_e32 v1, 20, v28
	v_lshlrev_b32_e32 v2, 24, v26
	v_lshl_add_u32 v0, v0, 23, 0x3c000000
	v_and_b32_e32 v1, 0x700000, v1
	v_and_b32_e32 v2, 0x80000000, v2
	v_or3_b32 v0, v1, v2, v0
	buffer_store_dword v0, off, s[0:3], s32 offset:516 ; 4-byte Folded Spill
.LBB372_720:                            ;   in Loop: Header=BB372_10 Depth=1
	s_or_b32 exec_lo, exec_lo, s19
.LBB372_721:                            ;   in Loop: Header=BB372_10 Depth=1
	s_or_b32 exec_lo, exec_lo, s17
.LBB372_722:                            ;   in Loop: Header=BB372_10 Depth=1
	s_or_b32 exec_lo, exec_lo, s6
	v_mov_b32_e32 v0, 0
	v_cmp_ne_u16_sdwa s5, v26, v5 src0_sel:BYTE_1 src1_sel:DWORD
	buffer_store_dword v0, off, s[0:3], s32 offset:524 ; 4-byte Folded Spill
	v_mov_b32_e32 v0, 0
	buffer_store_dword v0, off, s[0:3], s32 offset:520 ; 4-byte Folded Spill
	s_and_saveexec_b32 s6, s5
	s_cbranch_execz .LBB372_730
; %bb.723:                              ;   in Loop: Header=BB372_10 Depth=1
	v_cmp_ne_u16_sdwa s5, v26, v71 src0_sel:BYTE_1 src1_sel:DWORD
	v_bfrev_b32_e32 v0, 1
	buffer_store_dword v0, off, s[0:3], s32 offset:520 ; 4-byte Folded Spill
	s_and_saveexec_b32 s17, s5
	s_cbranch_execz .LBB372_729
; %bb.724:                              ;   in Loop: Header=BB372_10 Depth=1
	v_mov_b32_e32 v0, 0xffff
	v_mov_b32_e32 v2, 0x7f800001
	s_mov_b32 s19, exec_lo
	v_and_b32_sdwa v0, v0, v26 dst_sel:DWORD dst_unused:UNUSED_PAD src0_sel:DWORD src1_sel:BYTE_1
	buffer_store_dword v2, off, s[0:3], s32 offset:520 ; 4-byte Folded Spill
	v_and_b32_e32 v1, 0x7f, v0
	v_cmpx_ne_u32_e32 0x7f, v1
	s_cbranch_execz .LBB372_728
; %bb.725:                              ;   in Loop: Header=BB372_10 Depth=1
	v_and_b32_e32 v4, 7, v0
	v_mov_b32_e32 v29, v5
	v_lshrrev_b32_e32 v0, 3, v1
	s_mov_b32 s20, exec_lo
	v_mov_b32_e32 v28, v4
	v_cmpx_gt_u32_e32 8, v1
; %bb.726:                              ;   in Loop: Header=BB372_10 Depth=1
	v_ffbh_u32_e32 v0, v4
	v_min_u32_e32 v0, 32, v0
	v_subrev_nc_u32_e32 v1, 28, v0
	v_sub_nc_u32_e32 v0, 29, v0
	v_lshlrev_b64 v[1:2], v1, v[4:5]
	v_and_b32_e32 v28, 7, v1
; %bb.727:                              ;   in Loop: Header=BB372_10 Depth=1
	s_or_b32 exec_lo, exec_lo, s20
	v_lshlrev_b32_e32 v1, 16, v26
	v_lshlrev_b32_e32 v2, 20, v28
	v_lshl_add_u32 v0, v0, 23, 0x3c000000
	v_and_b32_e32 v1, 0x80000000, v1
	v_or3_b32 v0, v2, v1, v0
	buffer_store_dword v0, off, s[0:3], s32 offset:520 ; 4-byte Folded Spill
.LBB372_728:                            ;   in Loop: Header=BB372_10 Depth=1
	s_or_b32 exec_lo, exec_lo, s19
.LBB372_729:                            ;   in Loop: Header=BB372_10 Depth=1
	s_or_b32 exec_lo, exec_lo, s17
.LBB372_730:                            ;   in Loop: Header=BB372_10 Depth=1
	s_or_b32 exec_lo, exec_lo, s6
	v_mov_b32_e32 v0, 0xff
	s_mov_b32 s6, exec_lo
	v_and_b32_sdwa v0, v26, v0 dst_sel:DWORD dst_unused:UNUSED_PAD src0_sel:WORD_1 src1_sel:DWORD
	v_cmpx_ne_u16_e32 0, v0
	s_cbranch_execz .LBB372_738
; %bb.731:                              ;   in Loop: Header=BB372_10 Depth=1
	v_cmp_ne_u16_e64 s5, 0x80, v0
	v_bfrev_b32_e32 v0, 1
	buffer_store_dword v0, off, s[0:3], s32 offset:524 ; 4-byte Folded Spill
	s_and_saveexec_b32 s17, s5
	s_cbranch_execz .LBB372_737
; %bb.732:                              ;   in Loop: Header=BB372_10 Depth=1
	v_bfe_u32 v1, v26, 16, 7
	v_mov_b32_e32 v0, 0x7f800001
	s_mov_b32 s19, exec_lo
	buffer_store_dword v0, off, s[0:3], s32 offset:524 ; 4-byte Folded Spill
	v_cmpx_ne_u32_e32 0x7f, v1
	s_cbranch_execz .LBB372_736
; %bb.733:                              ;   in Loop: Header=BB372_10 Depth=1
	v_mov_b32_e32 v0, 7
	s_mov_b32 s20, exec_lo
	v_and_b32_sdwa v4, v26, v0 dst_sel:DWORD dst_unused:UNUSED_PAD src0_sel:WORD_1 src1_sel:DWORD
	v_mov_b32_e32 v29, v5
	v_lshrrev_b32_e32 v0, 3, v1
	v_mov_b32_e32 v28, v4
	v_cmpx_gt_u32_e32 8, v1
; %bb.734:                              ;   in Loop: Header=BB372_10 Depth=1
	v_ffbh_u32_e32 v0, v4
	v_min_u32_e32 v0, 32, v0
	v_subrev_nc_u32_e32 v1, 28, v0
	v_sub_nc_u32_e32 v0, 29, v0
	v_lshlrev_b64 v[1:2], v1, v[4:5]
	v_and_b32_e32 v28, 7, v1
; %bb.735:                              ;   in Loop: Header=BB372_10 Depth=1
	s_or_b32 exec_lo, exec_lo, s20
	v_mov_b32_e32 v1, 24
	v_lshlrev_b32_e32 v2, 20, v28
	v_lshl_add_u32 v0, v0, 23, 0x3c000000
	v_lshlrev_b32_sdwa v1, v1, v26 dst_sel:DWORD dst_unused:UNUSED_PAD src0_sel:DWORD src1_sel:WORD_1
	v_and_b32_e32 v1, 0x80000000, v1
	v_or3_b32 v0, v2, v1, v0
	buffer_store_dword v0, off, s[0:3], s32 offset:524 ; 4-byte Folded Spill
.LBB372_736:                            ;   in Loop: Header=BB372_10 Depth=1
	s_or_b32 exec_lo, exec_lo, s19
.LBB372_737:                            ;   in Loop: Header=BB372_10 Depth=1
	s_or_b32 exec_lo, exec_lo, s17
.LBB372_738:                            ;   in Loop: Header=BB372_10 Depth=1
	s_or_b32 exec_lo, exec_lo, s6
	v_mov_b32_e32 v0, 0
	s_mov_b32 s6, exec_lo
	buffer_store_dword v0, off, s[0:3], s32 offset:532 ; 4-byte Folded Spill
	v_mov_b32_e32 v0, 0
	buffer_store_dword v0, off, s[0:3], s32 offset:528 ; 4-byte Folded Spill
	v_cmpx_lt_u32_e32 0xffffff, v26
	s_cbranch_execz .LBB372_746
; %bb.739:                              ;   in Loop: Header=BB372_10 Depth=1
	v_cmp_ne_u32_sdwa s5, v26, v71 src0_sel:BYTE_3 src1_sel:DWORD
	v_bfrev_b32_e32 v0, 1
	buffer_store_dword v0, off, s[0:3], s32 offset:528 ; 4-byte Folded Spill
	s_and_saveexec_b32 s17, s5
	s_cbranch_execz .LBB372_745
; %bb.740:                              ;   in Loop: Header=BB372_10 Depth=1
	v_bfe_u32 v1, v26, 24, 7
	v_mov_b32_e32 v0, 0x7f800001
	s_mov_b32 s19, exec_lo
	buffer_store_dword v0, off, s[0:3], s32 offset:528 ; 4-byte Folded Spill
	v_cmpx_ne_u32_e32 0x7f, v1
	s_cbranch_execz .LBB372_744
; %bb.741:                              ;   in Loop: Header=BB372_10 Depth=1
	v_mov_b32_e32 v0, 7
	s_mov_b32 s20, exec_lo
	v_and_b32_sdwa v4, v26, v0 dst_sel:DWORD dst_unused:UNUSED_PAD src0_sel:BYTE_3 src1_sel:DWORD
	v_mov_b32_e32 v29, v5
	v_lshrrev_b32_e32 v0, 3, v1
	v_mov_b32_e32 v28, v4
	v_cmpx_gt_u32_e32 8, v1
; %bb.742:                              ;   in Loop: Header=BB372_10 Depth=1
	v_ffbh_u32_e32 v0, v4
	v_min_u32_e32 v0, 32, v0
	v_subrev_nc_u32_e32 v1, 28, v0
	v_sub_nc_u32_e32 v0, 29, v0
	v_lshlrev_b64 v[1:2], v1, v[4:5]
	v_and_b32_e32 v28, 7, v1
; %bb.743:                              ;   in Loop: Header=BB372_10 Depth=1
	s_or_b32 exec_lo, exec_lo, s20
	v_mov_b32_e32 v1, 24
	v_lshlrev_b32_e32 v2, 20, v28
	v_lshl_add_u32 v0, v0, 23, 0x3c000000
	v_lshlrev_b32_sdwa v1, v1, v26 dst_sel:DWORD dst_unused:UNUSED_PAD src0_sel:DWORD src1_sel:BYTE_3
	v_and_b32_e32 v1, 0x80000000, v1
	v_or3_b32 v0, v2, v1, v0
	buffer_store_dword v0, off, s[0:3], s32 offset:528 ; 4-byte Folded Spill
.LBB372_744:                            ;   in Loop: Header=BB372_10 Depth=1
	s_or_b32 exec_lo, exec_lo, s19
.LBB372_745:                            ;   in Loop: Header=BB372_10 Depth=1
	s_or_b32 exec_lo, exec_lo, s17
.LBB372_746:                            ;   in Loop: Header=BB372_10 Depth=1
	s_or_b32 exec_lo, exec_lo, s6
	v_mov_b32_e32 v4, v27
	v_cmp_ne_u16_sdwa s5, v27, v5 src0_sel:BYTE_0 src1_sel:DWORD
	s_and_saveexec_b32 s6, s5
	s_cbranch_execz .LBB372_754
; %bb.747:                              ;   in Loop: Header=BB372_10 Depth=1
	v_cmp_ne_u16_sdwa s5, v27, v71 src0_sel:BYTE_0 src1_sel:DWORD
	v_bfrev_b32_e32 v0, 1
	buffer_store_dword v0, off, s[0:3], s32 offset:532 ; 4-byte Folded Spill
	s_and_saveexec_b32 s17, s5
	s_cbranch_execz .LBB372_753
; %bb.748:                              ;   in Loop: Header=BB372_10 Depth=1
	v_and_b32_e32 v1, 0x7f, v27
	v_mov_b32_e32 v0, 0x7f800001
	s_mov_b32 s19, exec_lo
	buffer_store_dword v0, off, s[0:3], s32 offset:532 ; 4-byte Folded Spill
	v_cmpx_ne_u32_e32 0x7f, v1
	s_cbranch_execz .LBB372_752
; %bb.749:                              ;   in Loop: Header=BB372_10 Depth=1
	v_mov_b32_e32 v29, v5
	v_lshrrev_b32_e32 v0, 3, v1
	v_mov_b32_e32 v28, v4
	s_mov_b32 s20, exec_lo
	v_cmpx_gt_u32_e32 8, v1
; %bb.750:                              ;   in Loop: Header=BB372_10 Depth=1
	v_and_b32_e32 v0, 7, v27
	v_ffbh_u32_e32 v0, v0
	v_min_u32_e32 v0, 32, v0
	v_subrev_nc_u32_e32 v1, 28, v0
	v_sub_nc_u32_e32 v0, 29, v0
	v_lshlrev_b64 v[28:29], v1, v[4:5]
; %bb.751:                              ;   in Loop: Header=BB372_10 Depth=1
	s_or_b32 exec_lo, exec_lo, s20
	v_lshlrev_b32_e32 v1, 20, v28
	v_lshlrev_b32_e32 v2, 24, v4
	v_lshl_add_u32 v0, v0, 23, 0x3c000000
	v_and_b32_e32 v1, 0x700000, v1
	v_and_b32_e32 v2, 0x80000000, v2
	v_or3_b32 v0, v1, v2, v0
	buffer_store_dword v0, off, s[0:3], s32 offset:532 ; 4-byte Folded Spill
.LBB372_752:                            ;   in Loop: Header=BB372_10 Depth=1
	s_or_b32 exec_lo, exec_lo, s19
.LBB372_753:                            ;   in Loop: Header=BB372_10 Depth=1
	s_or_b32 exec_lo, exec_lo, s17
.LBB372_754:                            ;   in Loop: Header=BB372_10 Depth=1
	s_or_b32 exec_lo, exec_lo, s6
	v_mov_b32_e32 v0, 0
	v_cmp_ne_u16_sdwa s5, v4, v5 src0_sel:BYTE_1 src1_sel:DWORD
	buffer_store_dword v0, off, s[0:3], s32 offset:536 ; 4-byte Folded Spill
	v_mov_b32_e32 v0, 0
	buffer_store_dword v0, off, s[0:3], s32 offset:540 ; 4-byte Folded Spill
	s_and_saveexec_b32 s6, s5
	s_cbranch_execz .LBB372_762
; %bb.755:                              ;   in Loop: Header=BB372_10 Depth=1
	v_cmp_ne_u16_sdwa s5, v4, v71 src0_sel:BYTE_1 src1_sel:DWORD
	v_bfrev_b32_e32 v0, 1
	buffer_store_dword v0, off, s[0:3], s32 offset:540 ; 4-byte Folded Spill
	s_and_saveexec_b32 s17, s5
	s_cbranch_execz .LBB372_761
; %bb.756:                              ;   in Loop: Header=BB372_10 Depth=1
	v_mov_b32_e32 v0, 0xffff
	v_mov_b32_e32 v2, 0x7f800001
	s_mov_b32 s19, exec_lo
	v_and_b32_sdwa v0, v0, v4 dst_sel:DWORD dst_unused:UNUSED_PAD src0_sel:DWORD src1_sel:BYTE_1
	buffer_store_dword v2, off, s[0:3], s32 offset:540 ; 4-byte Folded Spill
	v_and_b32_e32 v1, 0x7f, v0
	v_cmpx_ne_u32_e32 0x7f, v1
	s_cbranch_execz .LBB372_760
; %bb.757:                              ;   in Loop: Header=BB372_10 Depth=1
	v_and_b32_e32 v28, 7, v0
	v_mov_b32_e32 v29, v5
	v_lshrrev_b32_e32 v0, 3, v1
	s_mov_b32 s20, exec_lo
	v_cmpx_gt_u32_e32 8, v1
; %bb.758:                              ;   in Loop: Header=BB372_10 Depth=1
	v_ffbh_u32_e32 v0, v28
	v_min_u32_e32 v0, 32, v0
	v_subrev_nc_u32_e32 v1, 28, v0
	v_sub_nc_u32_e32 v0, 29, v0
	v_lshlrev_b64 v[1:2], v1, v[28:29]
	v_and_b32_e32 v28, 7, v1
; %bb.759:                              ;   in Loop: Header=BB372_10 Depth=1
	s_or_b32 exec_lo, exec_lo, s20
	v_lshlrev_b32_e32 v1, 16, v4
	v_lshlrev_b32_e32 v2, 20, v28
	v_lshl_add_u32 v0, v0, 23, 0x3c000000
	v_and_b32_e32 v1, 0x80000000, v1
	v_or3_b32 v0, v2, v1, v0
	buffer_store_dword v0, off, s[0:3], s32 offset:540 ; 4-byte Folded Spill
.LBB372_760:                            ;   in Loop: Header=BB372_10 Depth=1
	s_or_b32 exec_lo, exec_lo, s19
.LBB372_761:                            ;   in Loop: Header=BB372_10 Depth=1
	s_or_b32 exec_lo, exec_lo, s17
.LBB372_762:                            ;   in Loop: Header=BB372_10 Depth=1
	s_or_b32 exec_lo, exec_lo, s6
	v_mov_b32_e32 v0, 0xff
	s_mov_b32 s6, exec_lo
	v_and_b32_sdwa v0, v27, v0 dst_sel:DWORD dst_unused:UNUSED_PAD src0_sel:WORD_1 src1_sel:DWORD
	v_cmpx_ne_u16_e32 0, v0
	s_cbranch_execz .LBB372_770
; %bb.763:                              ;   in Loop: Header=BB372_10 Depth=1
	v_cmp_ne_u16_e64 s5, 0x80, v0
	v_bfrev_b32_e32 v0, 1
	buffer_store_dword v0, off, s[0:3], s32 offset:536 ; 4-byte Folded Spill
	s_and_saveexec_b32 s17, s5
	s_cbranch_execz .LBB372_769
; %bb.764:                              ;   in Loop: Header=BB372_10 Depth=1
	v_bfe_u32 v1, v27, 16, 7
	v_mov_b32_e32 v0, 0x7f800001
	s_mov_b32 s19, exec_lo
	buffer_store_dword v0, off, s[0:3], s32 offset:536 ; 4-byte Folded Spill
	v_cmpx_ne_u32_e32 0x7f, v1
	s_cbranch_execz .LBB372_768
; %bb.765:                              ;   in Loop: Header=BB372_10 Depth=1
	v_mov_b32_e32 v0, 7
	s_mov_b32 s20, exec_lo
	v_and_b32_sdwa v4, v27, v0 dst_sel:DWORD dst_unused:UNUSED_PAD src0_sel:WORD_1 src1_sel:DWORD
	v_mov_b32_e32 v29, v5
	v_lshrrev_b32_e32 v0, 3, v1
	v_mov_b32_e32 v28, v4
	v_cmpx_gt_u32_e32 8, v1
; %bb.766:                              ;   in Loop: Header=BB372_10 Depth=1
	v_ffbh_u32_e32 v0, v4
	v_min_u32_e32 v0, 32, v0
	v_subrev_nc_u32_e32 v1, 28, v0
	v_sub_nc_u32_e32 v0, 29, v0
	v_lshlrev_b64 v[1:2], v1, v[4:5]
	v_and_b32_e32 v28, 7, v1
; %bb.767:                              ;   in Loop: Header=BB372_10 Depth=1
	s_or_b32 exec_lo, exec_lo, s20
	v_mov_b32_e32 v1, 24
	v_lshlrev_b32_e32 v2, 20, v28
	v_lshl_add_u32 v0, v0, 23, 0x3c000000
	v_lshlrev_b32_sdwa v1, v1, v27 dst_sel:DWORD dst_unused:UNUSED_PAD src0_sel:DWORD src1_sel:WORD_1
	v_and_b32_e32 v1, 0x80000000, v1
	v_or3_b32 v0, v2, v1, v0
	buffer_store_dword v0, off, s[0:3], s32 offset:536 ; 4-byte Folded Spill
.LBB372_768:                            ;   in Loop: Header=BB372_10 Depth=1
	s_or_b32 exec_lo, exec_lo, s19
.LBB372_769:                            ;   in Loop: Header=BB372_10 Depth=1
	s_or_b32 exec_lo, exec_lo, s17
.LBB372_770:                            ;   in Loop: Header=BB372_10 Depth=1
	s_or_b32 exec_lo, exec_lo, s6
	v_mov_b32_e32 v0, 0
	s_mov_b32 s6, exec_lo
	buffer_store_dword v0, off, s[0:3], s32 offset:548 ; 4-byte Folded Spill
	v_mov_b32_e32 v0, 0
	buffer_store_dword v0, off, s[0:3], s32 offset:544 ; 4-byte Folded Spill
	v_cmpx_lt_u64_e64 s[8:9], v[26:27]
	s_cbranch_execz .LBB372_778
; %bb.771:                              ;   in Loop: Header=BB372_10 Depth=1
	v_cmp_ne_u32_sdwa s5, v27, v71 src0_sel:BYTE_3 src1_sel:DWORD
	v_bfrev_b32_e32 v0, 1
	buffer_store_dword v0, off, s[0:3], s32 offset:544 ; 4-byte Folded Spill
	s_and_saveexec_b32 s17, s5
	s_cbranch_execz .LBB372_777
; %bb.772:                              ;   in Loop: Header=BB372_10 Depth=1
	v_bfe_u32 v1, v27, 24, 7
	v_mov_b32_e32 v0, 0x7f800001
	s_mov_b32 s19, exec_lo
	buffer_store_dword v0, off, s[0:3], s32 offset:544 ; 4-byte Folded Spill
	v_cmpx_ne_u32_e32 0x7f, v1
	s_cbranch_execz .LBB372_776
; %bb.773:                              ;   in Loop: Header=BB372_10 Depth=1
	v_mov_b32_e32 v0, 7
	s_mov_b32 s20, exec_lo
	v_and_b32_sdwa v4, v27, v0 dst_sel:DWORD dst_unused:UNUSED_PAD src0_sel:BYTE_3 src1_sel:DWORD
	v_mov_b32_e32 v29, v5
	v_lshrrev_b32_e32 v0, 3, v1
	v_mov_b32_e32 v28, v4
	v_cmpx_gt_u32_e32 8, v1
; %bb.774:                              ;   in Loop: Header=BB372_10 Depth=1
	v_ffbh_u32_e32 v0, v4
	v_min_u32_e32 v0, 32, v0
	v_subrev_nc_u32_e32 v1, 28, v0
	v_sub_nc_u32_e32 v0, 29, v0
	v_lshlrev_b64 v[1:2], v1, v[4:5]
	v_and_b32_e32 v28, 7, v1
; %bb.775:                              ;   in Loop: Header=BB372_10 Depth=1
	s_or_b32 exec_lo, exec_lo, s20
	v_mov_b32_e32 v1, 24
	v_lshlrev_b32_e32 v2, 20, v28
	v_lshl_add_u32 v0, v0, 23, 0x3c000000
	v_lshlrev_b32_sdwa v1, v1, v27 dst_sel:DWORD dst_unused:UNUSED_PAD src0_sel:DWORD src1_sel:BYTE_3
	v_and_b32_e32 v1, 0x80000000, v1
	v_or3_b32 v0, v2, v1, v0
	buffer_store_dword v0, off, s[0:3], s32 offset:544 ; 4-byte Folded Spill
.LBB372_776:                            ;   in Loop: Header=BB372_10 Depth=1
	s_or_b32 exec_lo, exec_lo, s19
.LBB372_777:                            ;   in Loop: Header=BB372_10 Depth=1
	s_or_b32 exec_lo, exec_lo, s17
.LBB372_778:                            ;   in Loop: Header=BB372_10 Depth=1
	s_or_b32 exec_lo, exec_lo, s6
	flat_load_dwordx2 v[26:27], v[24:25] offset:1024
	s_waitcnt vmcnt(0) lgkmcnt(0)
	v_cmp_ne_u16_sdwa s5, v26, v5 src0_sel:BYTE_0 src1_sel:DWORD
	s_and_saveexec_b32 s6, s5
	s_cbranch_execz .LBB372_786
; %bb.779:                              ;   in Loop: Header=BB372_10 Depth=1
	v_cmp_ne_u16_sdwa s5, v26, v71 src0_sel:BYTE_0 src1_sel:DWORD
	v_bfrev_b32_e32 v0, 1
	buffer_store_dword v0, off, s[0:3], s32 offset:548 ; 4-byte Folded Spill
	s_and_saveexec_b32 s17, s5
	s_cbranch_execz .LBB372_785
; %bb.780:                              ;   in Loop: Header=BB372_10 Depth=1
	v_and_b32_e32 v1, 0x7f, v26
	v_mov_b32_e32 v0, 0x7f800001
	s_mov_b32 s19, exec_lo
	buffer_store_dword v0, off, s[0:3], s32 offset:548 ; 4-byte Folded Spill
	v_cmpx_ne_u32_e32 0x7f, v1
	s_cbranch_execz .LBB372_784
; %bb.781:                              ;   in Loop: Header=BB372_10 Depth=1
	v_mov_b32_e32 v29, v27
	v_lshrrev_b32_e32 v0, 3, v1
	v_mov_b32_e32 v28, v26
	s_mov_b32 s20, exec_lo
	v_cmpx_gt_u32_e32 8, v1
; %bb.782:                              ;   in Loop: Header=BB372_10 Depth=1
	v_and_b32_e32 v0, 7, v26
	v_ffbh_u32_e32 v0, v0
	v_min_u32_e32 v0, 32, v0
	v_subrev_nc_u32_e32 v1, 28, v0
	v_sub_nc_u32_e32 v0, 29, v0
	v_lshlrev_b64 v[28:29], v1, v[26:27]
; %bb.783:                              ;   in Loop: Header=BB372_10 Depth=1
	s_or_b32 exec_lo, exec_lo, s20
	v_lshlrev_b32_e32 v1, 20, v28
	v_lshlrev_b32_e32 v2, 24, v26
	v_lshl_add_u32 v0, v0, 23, 0x3c000000
	v_and_b32_e32 v1, 0x700000, v1
	v_and_b32_e32 v2, 0x80000000, v2
	v_or3_b32 v0, v1, v2, v0
	buffer_store_dword v0, off, s[0:3], s32 offset:548 ; 4-byte Folded Spill
.LBB372_784:                            ;   in Loop: Header=BB372_10 Depth=1
	s_or_b32 exec_lo, exec_lo, s19
.LBB372_785:                            ;   in Loop: Header=BB372_10 Depth=1
	s_or_b32 exec_lo, exec_lo, s17
.LBB372_786:                            ;   in Loop: Header=BB372_10 Depth=1
	s_or_b32 exec_lo, exec_lo, s6
	v_mov_b32_e32 v0, 0
	v_cmp_ne_u16_sdwa s5, v26, v5 src0_sel:BYTE_1 src1_sel:DWORD
	buffer_store_dword v0, off, s[0:3], s32 offset:556 ; 4-byte Folded Spill
	v_mov_b32_e32 v0, 0
	buffer_store_dword v0, off, s[0:3], s32 offset:552 ; 4-byte Folded Spill
	s_and_saveexec_b32 s6, s5
	s_cbranch_execz .LBB372_794
; %bb.787:                              ;   in Loop: Header=BB372_10 Depth=1
	v_cmp_ne_u16_sdwa s5, v26, v71 src0_sel:BYTE_1 src1_sel:DWORD
	v_bfrev_b32_e32 v0, 1
	buffer_store_dword v0, off, s[0:3], s32 offset:552 ; 4-byte Folded Spill
	s_and_saveexec_b32 s17, s5
	s_cbranch_execz .LBB372_793
; %bb.788:                              ;   in Loop: Header=BB372_10 Depth=1
	v_mov_b32_e32 v0, 0xffff
	v_mov_b32_e32 v2, 0x7f800001
	s_mov_b32 s19, exec_lo
	v_and_b32_sdwa v0, v0, v26 dst_sel:DWORD dst_unused:UNUSED_PAD src0_sel:DWORD src1_sel:BYTE_1
	buffer_store_dword v2, off, s[0:3], s32 offset:552 ; 4-byte Folded Spill
	v_and_b32_e32 v1, 0x7f, v0
	v_cmpx_ne_u32_e32 0x7f, v1
	s_cbranch_execz .LBB372_792
; %bb.789:                              ;   in Loop: Header=BB372_10 Depth=1
	v_and_b32_e32 v4, 7, v0
	v_mov_b32_e32 v29, v5
	v_lshrrev_b32_e32 v0, 3, v1
	s_mov_b32 s20, exec_lo
	v_mov_b32_e32 v28, v4
	v_cmpx_gt_u32_e32 8, v1
; %bb.790:                              ;   in Loop: Header=BB372_10 Depth=1
	v_ffbh_u32_e32 v0, v4
	v_min_u32_e32 v0, 32, v0
	v_subrev_nc_u32_e32 v1, 28, v0
	v_sub_nc_u32_e32 v0, 29, v0
	v_lshlrev_b64 v[1:2], v1, v[4:5]
	v_and_b32_e32 v28, 7, v1
; %bb.791:                              ;   in Loop: Header=BB372_10 Depth=1
	s_or_b32 exec_lo, exec_lo, s20
	v_lshlrev_b32_e32 v1, 16, v26
	v_lshlrev_b32_e32 v2, 20, v28
	v_lshl_add_u32 v0, v0, 23, 0x3c000000
	v_and_b32_e32 v1, 0x80000000, v1
	v_or3_b32 v0, v2, v1, v0
	buffer_store_dword v0, off, s[0:3], s32 offset:552 ; 4-byte Folded Spill
.LBB372_792:                            ;   in Loop: Header=BB372_10 Depth=1
	s_or_b32 exec_lo, exec_lo, s19
.LBB372_793:                            ;   in Loop: Header=BB372_10 Depth=1
	s_or_b32 exec_lo, exec_lo, s17
.LBB372_794:                            ;   in Loop: Header=BB372_10 Depth=1
	s_or_b32 exec_lo, exec_lo, s6
	v_mov_b32_e32 v0, 0xff
	s_mov_b32 s6, exec_lo
	v_and_b32_sdwa v0, v26, v0 dst_sel:DWORD dst_unused:UNUSED_PAD src0_sel:WORD_1 src1_sel:DWORD
	v_cmpx_ne_u16_e32 0, v0
	s_cbranch_execz .LBB372_802
; %bb.795:                              ;   in Loop: Header=BB372_10 Depth=1
	v_cmp_ne_u16_e64 s5, 0x80, v0
	v_bfrev_b32_e32 v0, 1
	buffer_store_dword v0, off, s[0:3], s32 offset:556 ; 4-byte Folded Spill
	s_and_saveexec_b32 s17, s5
	s_cbranch_execz .LBB372_801
; %bb.796:                              ;   in Loop: Header=BB372_10 Depth=1
	v_bfe_u32 v1, v26, 16, 7
	v_mov_b32_e32 v0, 0x7f800001
	s_mov_b32 s19, exec_lo
	buffer_store_dword v0, off, s[0:3], s32 offset:556 ; 4-byte Folded Spill
	v_cmpx_ne_u32_e32 0x7f, v1
	s_cbranch_execz .LBB372_800
; %bb.797:                              ;   in Loop: Header=BB372_10 Depth=1
	v_mov_b32_e32 v0, 7
	s_mov_b32 s20, exec_lo
	v_and_b32_sdwa v4, v26, v0 dst_sel:DWORD dst_unused:UNUSED_PAD src0_sel:WORD_1 src1_sel:DWORD
	v_mov_b32_e32 v29, v5
	v_lshrrev_b32_e32 v0, 3, v1
	v_mov_b32_e32 v28, v4
	v_cmpx_gt_u32_e32 8, v1
; %bb.798:                              ;   in Loop: Header=BB372_10 Depth=1
	v_ffbh_u32_e32 v0, v4
	v_min_u32_e32 v0, 32, v0
	v_subrev_nc_u32_e32 v1, 28, v0
	v_sub_nc_u32_e32 v0, 29, v0
	v_lshlrev_b64 v[1:2], v1, v[4:5]
	v_and_b32_e32 v28, 7, v1
; %bb.799:                              ;   in Loop: Header=BB372_10 Depth=1
	s_or_b32 exec_lo, exec_lo, s20
	v_mov_b32_e32 v1, 24
	v_lshlrev_b32_e32 v2, 20, v28
	v_lshl_add_u32 v0, v0, 23, 0x3c000000
	v_lshlrev_b32_sdwa v1, v1, v26 dst_sel:DWORD dst_unused:UNUSED_PAD src0_sel:DWORD src1_sel:WORD_1
	v_and_b32_e32 v1, 0x80000000, v1
	v_or3_b32 v0, v2, v1, v0
	buffer_store_dword v0, off, s[0:3], s32 offset:556 ; 4-byte Folded Spill
.LBB372_800:                            ;   in Loop: Header=BB372_10 Depth=1
	s_or_b32 exec_lo, exec_lo, s19
.LBB372_801:                            ;   in Loop: Header=BB372_10 Depth=1
	s_or_b32 exec_lo, exec_lo, s17
.LBB372_802:                            ;   in Loop: Header=BB372_10 Depth=1
	s_or_b32 exec_lo, exec_lo, s6
	v_mov_b32_e32 v0, 0
	s_mov_b32 s6, exec_lo
	buffer_store_dword v0, off, s[0:3], s32 offset:564 ; 4-byte Folded Spill
	v_mov_b32_e32 v0, 0
	buffer_store_dword v0, off, s[0:3], s32 offset:560 ; 4-byte Folded Spill
	v_cmpx_lt_u32_e32 0xffffff, v26
	s_cbranch_execz .LBB372_810
; %bb.803:                              ;   in Loop: Header=BB372_10 Depth=1
	v_cmp_ne_u32_sdwa s5, v26, v71 src0_sel:BYTE_3 src1_sel:DWORD
	v_bfrev_b32_e32 v0, 1
	buffer_store_dword v0, off, s[0:3], s32 offset:560 ; 4-byte Folded Spill
	s_and_saveexec_b32 s17, s5
	s_cbranch_execz .LBB372_809
; %bb.804:                              ;   in Loop: Header=BB372_10 Depth=1
	v_bfe_u32 v1, v26, 24, 7
	v_mov_b32_e32 v0, 0x7f800001
	s_mov_b32 s19, exec_lo
	buffer_store_dword v0, off, s[0:3], s32 offset:560 ; 4-byte Folded Spill
	v_cmpx_ne_u32_e32 0x7f, v1
	s_cbranch_execz .LBB372_808
; %bb.805:                              ;   in Loop: Header=BB372_10 Depth=1
	v_mov_b32_e32 v0, 7
	s_mov_b32 s20, exec_lo
	v_and_b32_sdwa v4, v26, v0 dst_sel:DWORD dst_unused:UNUSED_PAD src0_sel:BYTE_3 src1_sel:DWORD
	v_mov_b32_e32 v29, v5
	v_lshrrev_b32_e32 v0, 3, v1
	v_mov_b32_e32 v28, v4
	v_cmpx_gt_u32_e32 8, v1
; %bb.806:                              ;   in Loop: Header=BB372_10 Depth=1
	v_ffbh_u32_e32 v0, v4
	v_min_u32_e32 v0, 32, v0
	v_subrev_nc_u32_e32 v1, 28, v0
	v_sub_nc_u32_e32 v0, 29, v0
	v_lshlrev_b64 v[1:2], v1, v[4:5]
	v_and_b32_e32 v28, 7, v1
; %bb.807:                              ;   in Loop: Header=BB372_10 Depth=1
	s_or_b32 exec_lo, exec_lo, s20
	v_mov_b32_e32 v1, 24
	v_lshlrev_b32_e32 v2, 20, v28
	v_lshl_add_u32 v0, v0, 23, 0x3c000000
	v_lshlrev_b32_sdwa v1, v1, v26 dst_sel:DWORD dst_unused:UNUSED_PAD src0_sel:DWORD src1_sel:BYTE_3
	v_and_b32_e32 v1, 0x80000000, v1
	v_or3_b32 v0, v2, v1, v0
	buffer_store_dword v0, off, s[0:3], s32 offset:560 ; 4-byte Folded Spill
.LBB372_808:                            ;   in Loop: Header=BB372_10 Depth=1
	s_or_b32 exec_lo, exec_lo, s19
.LBB372_809:                            ;   in Loop: Header=BB372_10 Depth=1
	s_or_b32 exec_lo, exec_lo, s17
.LBB372_810:                            ;   in Loop: Header=BB372_10 Depth=1
	s_or_b32 exec_lo, exec_lo, s6
	v_mov_b32_e32 v4, v27
	v_cmp_ne_u16_sdwa s5, v27, v5 src0_sel:BYTE_0 src1_sel:DWORD
	s_and_saveexec_b32 s6, s5
	s_cbranch_execz .LBB372_818
; %bb.811:                              ;   in Loop: Header=BB372_10 Depth=1
	v_cmp_ne_u16_sdwa s5, v27, v71 src0_sel:BYTE_0 src1_sel:DWORD
	v_bfrev_b32_e32 v0, 1
	buffer_store_dword v0, off, s[0:3], s32 offset:564 ; 4-byte Folded Spill
	s_and_saveexec_b32 s17, s5
	s_cbranch_execz .LBB372_817
; %bb.812:                              ;   in Loop: Header=BB372_10 Depth=1
	v_and_b32_e32 v1, 0x7f, v27
	v_mov_b32_e32 v0, 0x7f800001
	s_mov_b32 s19, exec_lo
	buffer_store_dword v0, off, s[0:3], s32 offset:564 ; 4-byte Folded Spill
	v_cmpx_ne_u32_e32 0x7f, v1
	s_cbranch_execz .LBB372_816
; %bb.813:                              ;   in Loop: Header=BB372_10 Depth=1
	v_mov_b32_e32 v29, v5
	v_lshrrev_b32_e32 v0, 3, v1
	v_mov_b32_e32 v28, v4
	s_mov_b32 s20, exec_lo
	v_cmpx_gt_u32_e32 8, v1
; %bb.814:                              ;   in Loop: Header=BB372_10 Depth=1
	v_and_b32_e32 v0, 7, v27
	v_ffbh_u32_e32 v0, v0
	v_min_u32_e32 v0, 32, v0
	v_subrev_nc_u32_e32 v1, 28, v0
	v_sub_nc_u32_e32 v0, 29, v0
	v_lshlrev_b64 v[28:29], v1, v[4:5]
; %bb.815:                              ;   in Loop: Header=BB372_10 Depth=1
	s_or_b32 exec_lo, exec_lo, s20
	v_lshlrev_b32_e32 v1, 20, v28
	v_lshlrev_b32_e32 v2, 24, v4
	v_lshl_add_u32 v0, v0, 23, 0x3c000000
	v_and_b32_e32 v1, 0x700000, v1
	v_and_b32_e32 v2, 0x80000000, v2
	v_or3_b32 v0, v1, v2, v0
	buffer_store_dword v0, off, s[0:3], s32 offset:564 ; 4-byte Folded Spill
.LBB372_816:                            ;   in Loop: Header=BB372_10 Depth=1
	s_or_b32 exec_lo, exec_lo, s19
.LBB372_817:                            ;   in Loop: Header=BB372_10 Depth=1
	s_or_b32 exec_lo, exec_lo, s17
.LBB372_818:                            ;   in Loop: Header=BB372_10 Depth=1
	s_or_b32 exec_lo, exec_lo, s6
	v_mov_b32_e32 v0, 0
	v_cmp_ne_u16_sdwa s5, v4, v5 src0_sel:BYTE_1 src1_sel:DWORD
	buffer_store_dword v0, off, s[0:3], s32 offset:568 ; 4-byte Folded Spill
	v_mov_b32_e32 v0, 0
	buffer_store_dword v0, off, s[0:3], s32 offset:572 ; 4-byte Folded Spill
	s_and_saveexec_b32 s6, s5
	s_cbranch_execz .LBB372_826
; %bb.819:                              ;   in Loop: Header=BB372_10 Depth=1
	v_cmp_ne_u16_sdwa s5, v4, v71 src0_sel:BYTE_1 src1_sel:DWORD
	v_bfrev_b32_e32 v0, 1
	buffer_store_dword v0, off, s[0:3], s32 offset:572 ; 4-byte Folded Spill
	s_and_saveexec_b32 s17, s5
	s_cbranch_execz .LBB372_825
; %bb.820:                              ;   in Loop: Header=BB372_10 Depth=1
	v_mov_b32_e32 v0, 0xffff
	v_mov_b32_e32 v2, 0x7f800001
	s_mov_b32 s19, exec_lo
	v_and_b32_sdwa v0, v0, v4 dst_sel:DWORD dst_unused:UNUSED_PAD src0_sel:DWORD src1_sel:BYTE_1
	buffer_store_dword v2, off, s[0:3], s32 offset:572 ; 4-byte Folded Spill
	v_and_b32_e32 v1, 0x7f, v0
	v_cmpx_ne_u32_e32 0x7f, v1
	s_cbranch_execz .LBB372_824
; %bb.821:                              ;   in Loop: Header=BB372_10 Depth=1
	v_and_b32_e32 v28, 7, v0
	v_mov_b32_e32 v29, v5
	v_lshrrev_b32_e32 v0, 3, v1
	s_mov_b32 s20, exec_lo
	v_cmpx_gt_u32_e32 8, v1
; %bb.822:                              ;   in Loop: Header=BB372_10 Depth=1
	v_ffbh_u32_e32 v0, v28
	v_min_u32_e32 v0, 32, v0
	v_subrev_nc_u32_e32 v1, 28, v0
	v_sub_nc_u32_e32 v0, 29, v0
	v_lshlrev_b64 v[1:2], v1, v[28:29]
	v_and_b32_e32 v28, 7, v1
; %bb.823:                              ;   in Loop: Header=BB372_10 Depth=1
	s_or_b32 exec_lo, exec_lo, s20
	v_lshlrev_b32_e32 v1, 16, v4
	v_lshlrev_b32_e32 v2, 20, v28
	v_lshl_add_u32 v0, v0, 23, 0x3c000000
	v_and_b32_e32 v1, 0x80000000, v1
	v_or3_b32 v0, v2, v1, v0
	buffer_store_dword v0, off, s[0:3], s32 offset:572 ; 4-byte Folded Spill
.LBB372_824:                            ;   in Loop: Header=BB372_10 Depth=1
	s_or_b32 exec_lo, exec_lo, s19
.LBB372_825:                            ;   in Loop: Header=BB372_10 Depth=1
	s_or_b32 exec_lo, exec_lo, s17
.LBB372_826:                            ;   in Loop: Header=BB372_10 Depth=1
	s_or_b32 exec_lo, exec_lo, s6
	v_mov_b32_e32 v0, 0xff
	s_mov_b32 s6, exec_lo
	v_and_b32_sdwa v0, v27, v0 dst_sel:DWORD dst_unused:UNUSED_PAD src0_sel:WORD_1 src1_sel:DWORD
	v_cmpx_ne_u16_e32 0, v0
	s_cbranch_execz .LBB372_834
; %bb.827:                              ;   in Loop: Header=BB372_10 Depth=1
	v_cmp_ne_u16_e64 s5, 0x80, v0
	v_bfrev_b32_e32 v0, 1
	buffer_store_dword v0, off, s[0:3], s32 offset:568 ; 4-byte Folded Spill
	s_and_saveexec_b32 s17, s5
	s_cbranch_execz .LBB372_833
; %bb.828:                              ;   in Loop: Header=BB372_10 Depth=1
	v_bfe_u32 v1, v27, 16, 7
	v_mov_b32_e32 v0, 0x7f800001
	s_mov_b32 s19, exec_lo
	buffer_store_dword v0, off, s[0:3], s32 offset:568 ; 4-byte Folded Spill
	v_cmpx_ne_u32_e32 0x7f, v1
	s_cbranch_execz .LBB372_832
; %bb.829:                              ;   in Loop: Header=BB372_10 Depth=1
	v_mov_b32_e32 v0, 7
	s_mov_b32 s20, exec_lo
	v_and_b32_sdwa v4, v27, v0 dst_sel:DWORD dst_unused:UNUSED_PAD src0_sel:WORD_1 src1_sel:DWORD
	v_mov_b32_e32 v29, v5
	v_lshrrev_b32_e32 v0, 3, v1
	v_mov_b32_e32 v28, v4
	v_cmpx_gt_u32_e32 8, v1
; %bb.830:                              ;   in Loop: Header=BB372_10 Depth=1
	v_ffbh_u32_e32 v0, v4
	v_min_u32_e32 v0, 32, v0
	v_subrev_nc_u32_e32 v1, 28, v0
	v_sub_nc_u32_e32 v0, 29, v0
	v_lshlrev_b64 v[1:2], v1, v[4:5]
	v_and_b32_e32 v28, 7, v1
; %bb.831:                              ;   in Loop: Header=BB372_10 Depth=1
	s_or_b32 exec_lo, exec_lo, s20
	v_mov_b32_e32 v1, 24
	v_lshlrev_b32_e32 v2, 20, v28
	v_lshl_add_u32 v0, v0, 23, 0x3c000000
	v_lshlrev_b32_sdwa v1, v1, v27 dst_sel:DWORD dst_unused:UNUSED_PAD src0_sel:DWORD src1_sel:WORD_1
	v_and_b32_e32 v1, 0x80000000, v1
	v_or3_b32 v0, v2, v1, v0
	buffer_store_dword v0, off, s[0:3], s32 offset:568 ; 4-byte Folded Spill
.LBB372_832:                            ;   in Loop: Header=BB372_10 Depth=1
	s_or_b32 exec_lo, exec_lo, s19
.LBB372_833:                            ;   in Loop: Header=BB372_10 Depth=1
	s_or_b32 exec_lo, exec_lo, s17
.LBB372_834:                            ;   in Loop: Header=BB372_10 Depth=1
	s_or_b32 exec_lo, exec_lo, s6
	v_mov_b32_e32 v0, 0
	s_mov_b32 s6, exec_lo
	buffer_store_dword v0, off, s[0:3], s32 offset:580 ; 4-byte Folded Spill
	v_mov_b32_e32 v0, 0
	buffer_store_dword v0, off, s[0:3], s32 offset:576 ; 4-byte Folded Spill
	v_cmpx_lt_u64_e64 s[8:9], v[26:27]
	s_cbranch_execz .LBB372_842
; %bb.835:                              ;   in Loop: Header=BB372_10 Depth=1
	v_cmp_ne_u32_sdwa s5, v27, v71 src0_sel:BYTE_3 src1_sel:DWORD
	v_bfrev_b32_e32 v0, 1
	buffer_store_dword v0, off, s[0:3], s32 offset:576 ; 4-byte Folded Spill
	s_and_saveexec_b32 s17, s5
	s_cbranch_execz .LBB372_841
; %bb.836:                              ;   in Loop: Header=BB372_10 Depth=1
	v_bfe_u32 v1, v27, 24, 7
	v_mov_b32_e32 v0, 0x7f800001
	s_mov_b32 s19, exec_lo
	buffer_store_dword v0, off, s[0:3], s32 offset:576 ; 4-byte Folded Spill
	v_cmpx_ne_u32_e32 0x7f, v1
	s_cbranch_execz .LBB372_840
; %bb.837:                              ;   in Loop: Header=BB372_10 Depth=1
	v_mov_b32_e32 v0, 7
	s_mov_b32 s20, exec_lo
	v_and_b32_sdwa v4, v27, v0 dst_sel:DWORD dst_unused:UNUSED_PAD src0_sel:BYTE_3 src1_sel:DWORD
	v_mov_b32_e32 v29, v5
	v_lshrrev_b32_e32 v0, 3, v1
	v_mov_b32_e32 v28, v4
	v_cmpx_gt_u32_e32 8, v1
; %bb.838:                              ;   in Loop: Header=BB372_10 Depth=1
	v_ffbh_u32_e32 v0, v4
	v_min_u32_e32 v0, 32, v0
	v_subrev_nc_u32_e32 v1, 28, v0
	v_sub_nc_u32_e32 v0, 29, v0
	v_lshlrev_b64 v[1:2], v1, v[4:5]
	v_and_b32_e32 v28, 7, v1
; %bb.839:                              ;   in Loop: Header=BB372_10 Depth=1
	s_or_b32 exec_lo, exec_lo, s20
	v_mov_b32_e32 v1, 24
	v_lshlrev_b32_e32 v2, 20, v28
	v_lshl_add_u32 v0, v0, 23, 0x3c000000
	v_lshlrev_b32_sdwa v1, v1, v27 dst_sel:DWORD dst_unused:UNUSED_PAD src0_sel:DWORD src1_sel:BYTE_3
	v_and_b32_e32 v1, 0x80000000, v1
	v_or3_b32 v0, v2, v1, v0
	buffer_store_dword v0, off, s[0:3], s32 offset:576 ; 4-byte Folded Spill
.LBB372_840:                            ;   in Loop: Header=BB372_10 Depth=1
	s_or_b32 exec_lo, exec_lo, s19
.LBB372_841:                            ;   in Loop: Header=BB372_10 Depth=1
	s_or_b32 exec_lo, exec_lo, s17
.LBB372_842:                            ;   in Loop: Header=BB372_10 Depth=1
	s_or_b32 exec_lo, exec_lo, s6
	flat_load_dwordx2 v[26:27], v[24:25] offset:1032
	s_waitcnt vmcnt(0) lgkmcnt(0)
	v_cmp_ne_u16_sdwa s5, v26, v5 src0_sel:BYTE_0 src1_sel:DWORD
	s_and_saveexec_b32 s6, s5
	s_cbranch_execz .LBB372_850
; %bb.843:                              ;   in Loop: Header=BB372_10 Depth=1
	v_cmp_ne_u16_sdwa s5, v26, v71 src0_sel:BYTE_0 src1_sel:DWORD
	v_bfrev_b32_e32 v0, 1
	buffer_store_dword v0, off, s[0:3], s32 offset:580 ; 4-byte Folded Spill
	s_and_saveexec_b32 s17, s5
	s_cbranch_execz .LBB372_849
; %bb.844:                              ;   in Loop: Header=BB372_10 Depth=1
	v_and_b32_e32 v1, 0x7f, v26
	v_mov_b32_e32 v0, 0x7f800001
	s_mov_b32 s19, exec_lo
	buffer_store_dword v0, off, s[0:3], s32 offset:580 ; 4-byte Folded Spill
	v_cmpx_ne_u32_e32 0x7f, v1
	s_cbranch_execz .LBB372_848
; %bb.845:                              ;   in Loop: Header=BB372_10 Depth=1
	v_mov_b32_e32 v29, v27
	v_lshrrev_b32_e32 v0, 3, v1
	v_mov_b32_e32 v28, v26
	s_mov_b32 s20, exec_lo
	v_cmpx_gt_u32_e32 8, v1
; %bb.846:                              ;   in Loop: Header=BB372_10 Depth=1
	v_and_b32_e32 v0, 7, v26
	v_ffbh_u32_e32 v0, v0
	v_min_u32_e32 v0, 32, v0
	v_subrev_nc_u32_e32 v1, 28, v0
	v_sub_nc_u32_e32 v0, 29, v0
	v_lshlrev_b64 v[28:29], v1, v[26:27]
; %bb.847:                              ;   in Loop: Header=BB372_10 Depth=1
	s_or_b32 exec_lo, exec_lo, s20
	v_lshlrev_b32_e32 v1, 20, v28
	v_lshlrev_b32_e32 v2, 24, v26
	v_lshl_add_u32 v0, v0, 23, 0x3c000000
	v_and_b32_e32 v1, 0x700000, v1
	v_and_b32_e32 v2, 0x80000000, v2
	v_or3_b32 v0, v1, v2, v0
	buffer_store_dword v0, off, s[0:3], s32 offset:580 ; 4-byte Folded Spill
.LBB372_848:                            ;   in Loop: Header=BB372_10 Depth=1
	s_or_b32 exec_lo, exec_lo, s19
.LBB372_849:                            ;   in Loop: Header=BB372_10 Depth=1
	s_or_b32 exec_lo, exec_lo, s17
.LBB372_850:                            ;   in Loop: Header=BB372_10 Depth=1
	s_or_b32 exec_lo, exec_lo, s6
	v_mov_b32_e32 v0, 0
	v_cmp_ne_u16_sdwa s5, v26, v5 src0_sel:BYTE_1 src1_sel:DWORD
	buffer_store_dword v0, off, s[0:3], s32 offset:588 ; 4-byte Folded Spill
	v_mov_b32_e32 v0, 0
	buffer_store_dword v0, off, s[0:3], s32 offset:584 ; 4-byte Folded Spill
	s_and_saveexec_b32 s6, s5
	s_cbranch_execz .LBB372_858
; %bb.851:                              ;   in Loop: Header=BB372_10 Depth=1
	v_cmp_ne_u16_sdwa s5, v26, v71 src0_sel:BYTE_1 src1_sel:DWORD
	v_bfrev_b32_e32 v0, 1
	buffer_store_dword v0, off, s[0:3], s32 offset:584 ; 4-byte Folded Spill
	s_and_saveexec_b32 s17, s5
	s_cbranch_execz .LBB372_857
; %bb.852:                              ;   in Loop: Header=BB372_10 Depth=1
	v_mov_b32_e32 v0, 0xffff
	v_mov_b32_e32 v2, 0x7f800001
	s_mov_b32 s19, exec_lo
	v_and_b32_sdwa v0, v0, v26 dst_sel:DWORD dst_unused:UNUSED_PAD src0_sel:DWORD src1_sel:BYTE_1
	buffer_store_dword v2, off, s[0:3], s32 offset:584 ; 4-byte Folded Spill
	v_and_b32_e32 v1, 0x7f, v0
	v_cmpx_ne_u32_e32 0x7f, v1
	s_cbranch_execz .LBB372_856
; %bb.853:                              ;   in Loop: Header=BB372_10 Depth=1
	v_and_b32_e32 v4, 7, v0
	v_mov_b32_e32 v29, v5
	v_lshrrev_b32_e32 v0, 3, v1
	s_mov_b32 s20, exec_lo
	v_mov_b32_e32 v28, v4
	v_cmpx_gt_u32_e32 8, v1
; %bb.854:                              ;   in Loop: Header=BB372_10 Depth=1
	v_ffbh_u32_e32 v0, v4
	v_min_u32_e32 v0, 32, v0
	v_subrev_nc_u32_e32 v1, 28, v0
	v_sub_nc_u32_e32 v0, 29, v0
	v_lshlrev_b64 v[1:2], v1, v[4:5]
	v_and_b32_e32 v28, 7, v1
; %bb.855:                              ;   in Loop: Header=BB372_10 Depth=1
	s_or_b32 exec_lo, exec_lo, s20
	v_lshlrev_b32_e32 v1, 16, v26
	v_lshlrev_b32_e32 v2, 20, v28
	v_lshl_add_u32 v0, v0, 23, 0x3c000000
	v_and_b32_e32 v1, 0x80000000, v1
	v_or3_b32 v0, v2, v1, v0
	buffer_store_dword v0, off, s[0:3], s32 offset:584 ; 4-byte Folded Spill
.LBB372_856:                            ;   in Loop: Header=BB372_10 Depth=1
	s_or_b32 exec_lo, exec_lo, s19
.LBB372_857:                            ;   in Loop: Header=BB372_10 Depth=1
	s_or_b32 exec_lo, exec_lo, s17
.LBB372_858:                            ;   in Loop: Header=BB372_10 Depth=1
	s_or_b32 exec_lo, exec_lo, s6
	v_mov_b32_e32 v0, 0xff
	s_mov_b32 s6, exec_lo
	v_and_b32_sdwa v0, v26, v0 dst_sel:DWORD dst_unused:UNUSED_PAD src0_sel:WORD_1 src1_sel:DWORD
	v_cmpx_ne_u16_e32 0, v0
	s_cbranch_execz .LBB372_866
; %bb.859:                              ;   in Loop: Header=BB372_10 Depth=1
	v_cmp_ne_u16_e64 s5, 0x80, v0
	v_bfrev_b32_e32 v0, 1
	buffer_store_dword v0, off, s[0:3], s32 offset:588 ; 4-byte Folded Spill
	s_and_saveexec_b32 s17, s5
	s_cbranch_execz .LBB372_865
; %bb.860:                              ;   in Loop: Header=BB372_10 Depth=1
	v_bfe_u32 v1, v26, 16, 7
	v_mov_b32_e32 v0, 0x7f800001
	s_mov_b32 s19, exec_lo
	buffer_store_dword v0, off, s[0:3], s32 offset:588 ; 4-byte Folded Spill
	v_cmpx_ne_u32_e32 0x7f, v1
	s_cbranch_execz .LBB372_864
; %bb.861:                              ;   in Loop: Header=BB372_10 Depth=1
	v_mov_b32_e32 v0, 7
	s_mov_b32 s20, exec_lo
	v_and_b32_sdwa v4, v26, v0 dst_sel:DWORD dst_unused:UNUSED_PAD src0_sel:WORD_1 src1_sel:DWORD
	v_mov_b32_e32 v29, v5
	v_lshrrev_b32_e32 v0, 3, v1
	v_mov_b32_e32 v28, v4
	v_cmpx_gt_u32_e32 8, v1
; %bb.862:                              ;   in Loop: Header=BB372_10 Depth=1
	v_ffbh_u32_e32 v0, v4
	v_min_u32_e32 v0, 32, v0
	v_subrev_nc_u32_e32 v1, 28, v0
	v_sub_nc_u32_e32 v0, 29, v0
	v_lshlrev_b64 v[1:2], v1, v[4:5]
	v_and_b32_e32 v28, 7, v1
; %bb.863:                              ;   in Loop: Header=BB372_10 Depth=1
	s_or_b32 exec_lo, exec_lo, s20
	v_mov_b32_e32 v1, 24
	v_lshlrev_b32_e32 v2, 20, v28
	v_lshl_add_u32 v0, v0, 23, 0x3c000000
	v_lshlrev_b32_sdwa v1, v1, v26 dst_sel:DWORD dst_unused:UNUSED_PAD src0_sel:DWORD src1_sel:WORD_1
	v_and_b32_e32 v1, 0x80000000, v1
	v_or3_b32 v0, v2, v1, v0
	buffer_store_dword v0, off, s[0:3], s32 offset:588 ; 4-byte Folded Spill
.LBB372_864:                            ;   in Loop: Header=BB372_10 Depth=1
	s_or_b32 exec_lo, exec_lo, s19
.LBB372_865:                            ;   in Loop: Header=BB372_10 Depth=1
	s_or_b32 exec_lo, exec_lo, s17
.LBB372_866:                            ;   in Loop: Header=BB372_10 Depth=1
	s_or_b32 exec_lo, exec_lo, s6
	v_mov_b32_e32 v0, 0
	s_mov_b32 s6, exec_lo
	buffer_store_dword v0, off, s[0:3], s32 offset:596 ; 4-byte Folded Spill
	v_mov_b32_e32 v0, 0
	buffer_store_dword v0, off, s[0:3], s32 offset:592 ; 4-byte Folded Spill
	v_cmpx_lt_u32_e32 0xffffff, v26
	s_cbranch_execz .LBB372_874
; %bb.867:                              ;   in Loop: Header=BB372_10 Depth=1
	v_cmp_ne_u32_sdwa s5, v26, v71 src0_sel:BYTE_3 src1_sel:DWORD
	v_bfrev_b32_e32 v0, 1
	buffer_store_dword v0, off, s[0:3], s32 offset:592 ; 4-byte Folded Spill
	s_and_saveexec_b32 s17, s5
	s_cbranch_execz .LBB372_873
; %bb.868:                              ;   in Loop: Header=BB372_10 Depth=1
	v_bfe_u32 v1, v26, 24, 7
	v_mov_b32_e32 v0, 0x7f800001
	s_mov_b32 s19, exec_lo
	buffer_store_dword v0, off, s[0:3], s32 offset:592 ; 4-byte Folded Spill
	v_cmpx_ne_u32_e32 0x7f, v1
	s_cbranch_execz .LBB372_872
; %bb.869:                              ;   in Loop: Header=BB372_10 Depth=1
	v_mov_b32_e32 v0, 7
	s_mov_b32 s20, exec_lo
	v_and_b32_sdwa v4, v26, v0 dst_sel:DWORD dst_unused:UNUSED_PAD src0_sel:BYTE_3 src1_sel:DWORD
	v_mov_b32_e32 v29, v5
	v_lshrrev_b32_e32 v0, 3, v1
	v_mov_b32_e32 v28, v4
	v_cmpx_gt_u32_e32 8, v1
; %bb.870:                              ;   in Loop: Header=BB372_10 Depth=1
	v_ffbh_u32_e32 v0, v4
	v_min_u32_e32 v0, 32, v0
	v_subrev_nc_u32_e32 v1, 28, v0
	v_sub_nc_u32_e32 v0, 29, v0
	v_lshlrev_b64 v[1:2], v1, v[4:5]
	v_and_b32_e32 v28, 7, v1
; %bb.871:                              ;   in Loop: Header=BB372_10 Depth=1
	s_or_b32 exec_lo, exec_lo, s20
	v_mov_b32_e32 v1, 24
	v_lshlrev_b32_e32 v2, 20, v28
	v_lshl_add_u32 v0, v0, 23, 0x3c000000
	v_lshlrev_b32_sdwa v1, v1, v26 dst_sel:DWORD dst_unused:UNUSED_PAD src0_sel:DWORD src1_sel:BYTE_3
	v_and_b32_e32 v1, 0x80000000, v1
	v_or3_b32 v0, v2, v1, v0
	buffer_store_dword v0, off, s[0:3], s32 offset:592 ; 4-byte Folded Spill
.LBB372_872:                            ;   in Loop: Header=BB372_10 Depth=1
	s_or_b32 exec_lo, exec_lo, s19
.LBB372_873:                            ;   in Loop: Header=BB372_10 Depth=1
	s_or_b32 exec_lo, exec_lo, s17
.LBB372_874:                            ;   in Loop: Header=BB372_10 Depth=1
	s_or_b32 exec_lo, exec_lo, s6
	v_mov_b32_e32 v4, v27
	v_cmp_ne_u16_sdwa s5, v27, v5 src0_sel:BYTE_0 src1_sel:DWORD
	s_and_saveexec_b32 s6, s5
	s_cbranch_execz .LBB372_882
; %bb.875:                              ;   in Loop: Header=BB372_10 Depth=1
	v_cmp_ne_u16_sdwa s5, v27, v71 src0_sel:BYTE_0 src1_sel:DWORD
	v_bfrev_b32_e32 v0, 1
	buffer_store_dword v0, off, s[0:3], s32 offset:596 ; 4-byte Folded Spill
	s_and_saveexec_b32 s17, s5
	s_cbranch_execz .LBB372_881
; %bb.876:                              ;   in Loop: Header=BB372_10 Depth=1
	v_and_b32_e32 v1, 0x7f, v27
	v_mov_b32_e32 v0, 0x7f800001
	s_mov_b32 s19, exec_lo
	buffer_store_dword v0, off, s[0:3], s32 offset:596 ; 4-byte Folded Spill
	v_cmpx_ne_u32_e32 0x7f, v1
	s_cbranch_execz .LBB372_880
; %bb.877:                              ;   in Loop: Header=BB372_10 Depth=1
	v_mov_b32_e32 v29, v5
	v_lshrrev_b32_e32 v0, 3, v1
	v_mov_b32_e32 v28, v4
	s_mov_b32 s20, exec_lo
	v_cmpx_gt_u32_e32 8, v1
; %bb.878:                              ;   in Loop: Header=BB372_10 Depth=1
	v_and_b32_e32 v0, 7, v27
	v_ffbh_u32_e32 v0, v0
	v_min_u32_e32 v0, 32, v0
	v_subrev_nc_u32_e32 v1, 28, v0
	v_sub_nc_u32_e32 v0, 29, v0
	v_lshlrev_b64 v[28:29], v1, v[4:5]
; %bb.879:                              ;   in Loop: Header=BB372_10 Depth=1
	s_or_b32 exec_lo, exec_lo, s20
	v_lshlrev_b32_e32 v1, 20, v28
	v_lshlrev_b32_e32 v2, 24, v4
	v_lshl_add_u32 v0, v0, 23, 0x3c000000
	v_and_b32_e32 v1, 0x700000, v1
	v_and_b32_e32 v2, 0x80000000, v2
	v_or3_b32 v0, v1, v2, v0
	buffer_store_dword v0, off, s[0:3], s32 offset:596 ; 4-byte Folded Spill
.LBB372_880:                            ;   in Loop: Header=BB372_10 Depth=1
	s_or_b32 exec_lo, exec_lo, s19
.LBB372_881:                            ;   in Loop: Header=BB372_10 Depth=1
	s_or_b32 exec_lo, exec_lo, s17
.LBB372_882:                            ;   in Loop: Header=BB372_10 Depth=1
	s_or_b32 exec_lo, exec_lo, s6
	v_mov_b32_e32 v0, 0
	v_cmp_ne_u16_sdwa s5, v4, v5 src0_sel:BYTE_1 src1_sel:DWORD
	buffer_store_dword v0, off, s[0:3], s32 offset:600 ; 4-byte Folded Spill
	v_mov_b32_e32 v0, 0
	buffer_store_dword v0, off, s[0:3], s32 offset:604 ; 4-byte Folded Spill
	s_and_saveexec_b32 s6, s5
	s_cbranch_execz .LBB372_890
; %bb.883:                              ;   in Loop: Header=BB372_10 Depth=1
	v_cmp_ne_u16_sdwa s5, v4, v71 src0_sel:BYTE_1 src1_sel:DWORD
	v_bfrev_b32_e32 v0, 1
	buffer_store_dword v0, off, s[0:3], s32 offset:604 ; 4-byte Folded Spill
	s_and_saveexec_b32 s17, s5
	s_cbranch_execz .LBB372_889
; %bb.884:                              ;   in Loop: Header=BB372_10 Depth=1
	v_mov_b32_e32 v0, 0xffff
	v_mov_b32_e32 v2, 0x7f800001
	s_mov_b32 s19, exec_lo
	v_and_b32_sdwa v0, v0, v4 dst_sel:DWORD dst_unused:UNUSED_PAD src0_sel:DWORD src1_sel:BYTE_1
	buffer_store_dword v2, off, s[0:3], s32 offset:604 ; 4-byte Folded Spill
	v_and_b32_e32 v1, 0x7f, v0
	v_cmpx_ne_u32_e32 0x7f, v1
	s_cbranch_execz .LBB372_888
; %bb.885:                              ;   in Loop: Header=BB372_10 Depth=1
	v_and_b32_e32 v28, 7, v0
	v_mov_b32_e32 v29, v5
	v_lshrrev_b32_e32 v0, 3, v1
	s_mov_b32 s20, exec_lo
	v_cmpx_gt_u32_e32 8, v1
; %bb.886:                              ;   in Loop: Header=BB372_10 Depth=1
	v_ffbh_u32_e32 v0, v28
	v_min_u32_e32 v0, 32, v0
	v_subrev_nc_u32_e32 v1, 28, v0
	v_sub_nc_u32_e32 v0, 29, v0
	v_lshlrev_b64 v[1:2], v1, v[28:29]
	v_and_b32_e32 v28, 7, v1
; %bb.887:                              ;   in Loop: Header=BB372_10 Depth=1
	s_or_b32 exec_lo, exec_lo, s20
	v_lshlrev_b32_e32 v1, 16, v4
	v_lshlrev_b32_e32 v2, 20, v28
	v_lshl_add_u32 v0, v0, 23, 0x3c000000
	v_and_b32_e32 v1, 0x80000000, v1
	v_or3_b32 v0, v2, v1, v0
	buffer_store_dword v0, off, s[0:3], s32 offset:604 ; 4-byte Folded Spill
.LBB372_888:                            ;   in Loop: Header=BB372_10 Depth=1
	s_or_b32 exec_lo, exec_lo, s19
.LBB372_889:                            ;   in Loop: Header=BB372_10 Depth=1
	s_or_b32 exec_lo, exec_lo, s17
.LBB372_890:                            ;   in Loop: Header=BB372_10 Depth=1
	s_or_b32 exec_lo, exec_lo, s6
	v_mov_b32_e32 v0, 0xff
	s_mov_b32 s6, exec_lo
	v_and_b32_sdwa v0, v27, v0 dst_sel:DWORD dst_unused:UNUSED_PAD src0_sel:WORD_1 src1_sel:DWORD
	v_cmpx_ne_u16_e32 0, v0
	s_cbranch_execz .LBB372_898
; %bb.891:                              ;   in Loop: Header=BB372_10 Depth=1
	v_cmp_ne_u16_e64 s5, 0x80, v0
	v_bfrev_b32_e32 v0, 1
	buffer_store_dword v0, off, s[0:3], s32 offset:600 ; 4-byte Folded Spill
	s_and_saveexec_b32 s17, s5
	s_cbranch_execz .LBB372_897
; %bb.892:                              ;   in Loop: Header=BB372_10 Depth=1
	v_bfe_u32 v1, v27, 16, 7
	v_mov_b32_e32 v0, 0x7f800001
	s_mov_b32 s19, exec_lo
	buffer_store_dword v0, off, s[0:3], s32 offset:600 ; 4-byte Folded Spill
	v_cmpx_ne_u32_e32 0x7f, v1
	s_cbranch_execz .LBB372_896
; %bb.893:                              ;   in Loop: Header=BB372_10 Depth=1
	v_mov_b32_e32 v0, 7
	s_mov_b32 s20, exec_lo
	v_and_b32_sdwa v4, v27, v0 dst_sel:DWORD dst_unused:UNUSED_PAD src0_sel:WORD_1 src1_sel:DWORD
	v_mov_b32_e32 v29, v5
	v_lshrrev_b32_e32 v0, 3, v1
	v_mov_b32_e32 v28, v4
	v_cmpx_gt_u32_e32 8, v1
; %bb.894:                              ;   in Loop: Header=BB372_10 Depth=1
	v_ffbh_u32_e32 v0, v4
	v_min_u32_e32 v0, 32, v0
	v_subrev_nc_u32_e32 v1, 28, v0
	v_sub_nc_u32_e32 v0, 29, v0
	v_lshlrev_b64 v[1:2], v1, v[4:5]
	v_and_b32_e32 v28, 7, v1
; %bb.895:                              ;   in Loop: Header=BB372_10 Depth=1
	s_or_b32 exec_lo, exec_lo, s20
	v_mov_b32_e32 v1, 24
	v_lshlrev_b32_e32 v2, 20, v28
	v_lshl_add_u32 v0, v0, 23, 0x3c000000
	v_lshlrev_b32_sdwa v1, v1, v27 dst_sel:DWORD dst_unused:UNUSED_PAD src0_sel:DWORD src1_sel:WORD_1
	v_and_b32_e32 v1, 0x80000000, v1
	v_or3_b32 v0, v2, v1, v0
	buffer_store_dword v0, off, s[0:3], s32 offset:600 ; 4-byte Folded Spill
.LBB372_896:                            ;   in Loop: Header=BB372_10 Depth=1
	s_or_b32 exec_lo, exec_lo, s19
.LBB372_897:                            ;   in Loop: Header=BB372_10 Depth=1
	s_or_b32 exec_lo, exec_lo, s17
.LBB372_898:                            ;   in Loop: Header=BB372_10 Depth=1
	s_or_b32 exec_lo, exec_lo, s6
	v_mov_b32_e32 v0, 0
	s_mov_b32 s6, exec_lo
	buffer_store_dword v0, off, s[0:3], s32 offset:612 ; 4-byte Folded Spill
	v_mov_b32_e32 v0, 0
	buffer_store_dword v0, off, s[0:3], s32 offset:608 ; 4-byte Folded Spill
	v_cmpx_lt_u64_e64 s[8:9], v[26:27]
	s_cbranch_execz .LBB372_906
; %bb.899:                              ;   in Loop: Header=BB372_10 Depth=1
	v_cmp_ne_u32_sdwa s5, v27, v71 src0_sel:BYTE_3 src1_sel:DWORD
	v_bfrev_b32_e32 v0, 1
	buffer_store_dword v0, off, s[0:3], s32 offset:608 ; 4-byte Folded Spill
	s_and_saveexec_b32 s17, s5
	s_cbranch_execz .LBB372_905
; %bb.900:                              ;   in Loop: Header=BB372_10 Depth=1
	v_bfe_u32 v1, v27, 24, 7
	v_mov_b32_e32 v0, 0x7f800001
	s_mov_b32 s19, exec_lo
	buffer_store_dword v0, off, s[0:3], s32 offset:608 ; 4-byte Folded Spill
	v_cmpx_ne_u32_e32 0x7f, v1
	s_cbranch_execz .LBB372_904
; %bb.901:                              ;   in Loop: Header=BB372_10 Depth=1
	v_mov_b32_e32 v0, 7
	s_mov_b32 s20, exec_lo
	v_and_b32_sdwa v4, v27, v0 dst_sel:DWORD dst_unused:UNUSED_PAD src0_sel:BYTE_3 src1_sel:DWORD
	v_mov_b32_e32 v29, v5
	v_lshrrev_b32_e32 v0, 3, v1
	v_mov_b32_e32 v28, v4
	v_cmpx_gt_u32_e32 8, v1
; %bb.902:                              ;   in Loop: Header=BB372_10 Depth=1
	v_ffbh_u32_e32 v0, v4
	v_min_u32_e32 v0, 32, v0
	v_subrev_nc_u32_e32 v1, 28, v0
	v_sub_nc_u32_e32 v0, 29, v0
	v_lshlrev_b64 v[1:2], v1, v[4:5]
	v_and_b32_e32 v28, 7, v1
; %bb.903:                              ;   in Loop: Header=BB372_10 Depth=1
	s_or_b32 exec_lo, exec_lo, s20
	v_mov_b32_e32 v1, 24
	v_lshlrev_b32_e32 v2, 20, v28
	v_lshl_add_u32 v0, v0, 23, 0x3c000000
	v_lshlrev_b32_sdwa v1, v1, v27 dst_sel:DWORD dst_unused:UNUSED_PAD src0_sel:DWORD src1_sel:BYTE_3
	v_and_b32_e32 v1, 0x80000000, v1
	v_or3_b32 v0, v2, v1, v0
	buffer_store_dword v0, off, s[0:3], s32 offset:608 ; 4-byte Folded Spill
.LBB372_904:                            ;   in Loop: Header=BB372_10 Depth=1
	s_or_b32 exec_lo, exec_lo, s19
.LBB372_905:                            ;   in Loop: Header=BB372_10 Depth=1
	s_or_b32 exec_lo, exec_lo, s17
.LBB372_906:                            ;   in Loop: Header=BB372_10 Depth=1
	s_or_b32 exec_lo, exec_lo, s6
	flat_load_dwordx2 v[26:27], v[24:25] offset:1536
	s_waitcnt vmcnt(0) lgkmcnt(0)
	v_cmp_ne_u16_sdwa s5, v26, v5 src0_sel:BYTE_0 src1_sel:DWORD
	s_and_saveexec_b32 s6, s5
	s_cbranch_execz .LBB372_914
; %bb.907:                              ;   in Loop: Header=BB372_10 Depth=1
	v_cmp_ne_u16_sdwa s5, v26, v71 src0_sel:BYTE_0 src1_sel:DWORD
	v_bfrev_b32_e32 v0, 1
	buffer_store_dword v0, off, s[0:3], s32 offset:612 ; 4-byte Folded Spill
	s_and_saveexec_b32 s17, s5
	s_cbranch_execz .LBB372_913
; %bb.908:                              ;   in Loop: Header=BB372_10 Depth=1
	v_and_b32_e32 v1, 0x7f, v26
	v_mov_b32_e32 v0, 0x7f800001
	s_mov_b32 s19, exec_lo
	buffer_store_dword v0, off, s[0:3], s32 offset:612 ; 4-byte Folded Spill
	v_cmpx_ne_u32_e32 0x7f, v1
	s_cbranch_execz .LBB372_912
; %bb.909:                              ;   in Loop: Header=BB372_10 Depth=1
	v_mov_b32_e32 v29, v27
	v_lshrrev_b32_e32 v0, 3, v1
	v_mov_b32_e32 v28, v26
	s_mov_b32 s20, exec_lo
	v_cmpx_gt_u32_e32 8, v1
; %bb.910:                              ;   in Loop: Header=BB372_10 Depth=1
	v_and_b32_e32 v0, 7, v26
	v_ffbh_u32_e32 v0, v0
	v_min_u32_e32 v0, 32, v0
	v_subrev_nc_u32_e32 v1, 28, v0
	v_sub_nc_u32_e32 v0, 29, v0
	v_lshlrev_b64 v[28:29], v1, v[26:27]
; %bb.911:                              ;   in Loop: Header=BB372_10 Depth=1
	s_or_b32 exec_lo, exec_lo, s20
	v_lshlrev_b32_e32 v1, 20, v28
	v_lshlrev_b32_e32 v2, 24, v26
	v_lshl_add_u32 v0, v0, 23, 0x3c000000
	v_and_b32_e32 v1, 0x700000, v1
	v_and_b32_e32 v2, 0x80000000, v2
	v_or3_b32 v0, v1, v2, v0
	buffer_store_dword v0, off, s[0:3], s32 offset:612 ; 4-byte Folded Spill
.LBB372_912:                            ;   in Loop: Header=BB372_10 Depth=1
	s_or_b32 exec_lo, exec_lo, s19
.LBB372_913:                            ;   in Loop: Header=BB372_10 Depth=1
	s_or_b32 exec_lo, exec_lo, s17
.LBB372_914:                            ;   in Loop: Header=BB372_10 Depth=1
	s_or_b32 exec_lo, exec_lo, s6
	v_mov_b32_e32 v0, 0
	v_cmp_ne_u16_sdwa s5, v26, v5 src0_sel:BYTE_1 src1_sel:DWORD
	buffer_store_dword v0, off, s[0:3], s32 offset:620 ; 4-byte Folded Spill
	v_mov_b32_e32 v0, 0
	buffer_store_dword v0, off, s[0:3], s32 offset:616 ; 4-byte Folded Spill
	s_and_saveexec_b32 s6, s5
	s_cbranch_execz .LBB372_922
; %bb.915:                              ;   in Loop: Header=BB372_10 Depth=1
	v_cmp_ne_u16_sdwa s5, v26, v71 src0_sel:BYTE_1 src1_sel:DWORD
	v_bfrev_b32_e32 v0, 1
	buffer_store_dword v0, off, s[0:3], s32 offset:616 ; 4-byte Folded Spill
	s_and_saveexec_b32 s17, s5
	s_cbranch_execz .LBB372_921
; %bb.916:                              ;   in Loop: Header=BB372_10 Depth=1
	v_mov_b32_e32 v0, 0xffff
	v_mov_b32_e32 v2, 0x7f800001
	s_mov_b32 s19, exec_lo
	v_and_b32_sdwa v0, v0, v26 dst_sel:DWORD dst_unused:UNUSED_PAD src0_sel:DWORD src1_sel:BYTE_1
	buffer_store_dword v2, off, s[0:3], s32 offset:616 ; 4-byte Folded Spill
	v_and_b32_e32 v1, 0x7f, v0
	v_cmpx_ne_u32_e32 0x7f, v1
	s_cbranch_execz .LBB372_920
; %bb.917:                              ;   in Loop: Header=BB372_10 Depth=1
	v_and_b32_e32 v4, 7, v0
	v_mov_b32_e32 v29, v5
	v_lshrrev_b32_e32 v0, 3, v1
	s_mov_b32 s20, exec_lo
	v_mov_b32_e32 v28, v4
	v_cmpx_gt_u32_e32 8, v1
; %bb.918:                              ;   in Loop: Header=BB372_10 Depth=1
	v_ffbh_u32_e32 v0, v4
	v_min_u32_e32 v0, 32, v0
	v_subrev_nc_u32_e32 v1, 28, v0
	v_sub_nc_u32_e32 v0, 29, v0
	v_lshlrev_b64 v[1:2], v1, v[4:5]
	v_and_b32_e32 v28, 7, v1
; %bb.919:                              ;   in Loop: Header=BB372_10 Depth=1
	s_or_b32 exec_lo, exec_lo, s20
	v_lshlrev_b32_e32 v1, 16, v26
	v_lshlrev_b32_e32 v2, 20, v28
	v_lshl_add_u32 v0, v0, 23, 0x3c000000
	v_and_b32_e32 v1, 0x80000000, v1
	v_or3_b32 v0, v2, v1, v0
	buffer_store_dword v0, off, s[0:3], s32 offset:616 ; 4-byte Folded Spill
.LBB372_920:                            ;   in Loop: Header=BB372_10 Depth=1
	s_or_b32 exec_lo, exec_lo, s19
.LBB372_921:                            ;   in Loop: Header=BB372_10 Depth=1
	s_or_b32 exec_lo, exec_lo, s17
.LBB372_922:                            ;   in Loop: Header=BB372_10 Depth=1
	s_or_b32 exec_lo, exec_lo, s6
	v_mov_b32_e32 v0, 0xff
	s_mov_b32 s6, exec_lo
	v_and_b32_sdwa v0, v26, v0 dst_sel:DWORD dst_unused:UNUSED_PAD src0_sel:WORD_1 src1_sel:DWORD
	v_cmpx_ne_u16_e32 0, v0
	s_cbranch_execz .LBB372_930
; %bb.923:                              ;   in Loop: Header=BB372_10 Depth=1
	v_cmp_ne_u16_e64 s5, 0x80, v0
	v_bfrev_b32_e32 v0, 1
	buffer_store_dword v0, off, s[0:3], s32 offset:620 ; 4-byte Folded Spill
	s_and_saveexec_b32 s17, s5
	s_cbranch_execz .LBB372_929
; %bb.924:                              ;   in Loop: Header=BB372_10 Depth=1
	v_bfe_u32 v1, v26, 16, 7
	v_mov_b32_e32 v0, 0x7f800001
	s_mov_b32 s19, exec_lo
	buffer_store_dword v0, off, s[0:3], s32 offset:620 ; 4-byte Folded Spill
	v_cmpx_ne_u32_e32 0x7f, v1
	s_cbranch_execz .LBB372_928
; %bb.925:                              ;   in Loop: Header=BB372_10 Depth=1
	v_mov_b32_e32 v0, 7
	s_mov_b32 s20, exec_lo
	v_and_b32_sdwa v4, v26, v0 dst_sel:DWORD dst_unused:UNUSED_PAD src0_sel:WORD_1 src1_sel:DWORD
	v_mov_b32_e32 v29, v5
	v_lshrrev_b32_e32 v0, 3, v1
	v_mov_b32_e32 v28, v4
	v_cmpx_gt_u32_e32 8, v1
; %bb.926:                              ;   in Loop: Header=BB372_10 Depth=1
	v_ffbh_u32_e32 v0, v4
	v_min_u32_e32 v0, 32, v0
	v_subrev_nc_u32_e32 v1, 28, v0
	v_sub_nc_u32_e32 v0, 29, v0
	v_lshlrev_b64 v[1:2], v1, v[4:5]
	v_and_b32_e32 v28, 7, v1
; %bb.927:                              ;   in Loop: Header=BB372_10 Depth=1
	s_or_b32 exec_lo, exec_lo, s20
	v_mov_b32_e32 v1, 24
	v_lshlrev_b32_e32 v2, 20, v28
	v_lshl_add_u32 v0, v0, 23, 0x3c000000
	v_lshlrev_b32_sdwa v1, v1, v26 dst_sel:DWORD dst_unused:UNUSED_PAD src0_sel:DWORD src1_sel:WORD_1
	v_and_b32_e32 v1, 0x80000000, v1
	v_or3_b32 v0, v2, v1, v0
	buffer_store_dword v0, off, s[0:3], s32 offset:620 ; 4-byte Folded Spill
.LBB372_928:                            ;   in Loop: Header=BB372_10 Depth=1
	s_or_b32 exec_lo, exec_lo, s19
.LBB372_929:                            ;   in Loop: Header=BB372_10 Depth=1
	s_or_b32 exec_lo, exec_lo, s17
.LBB372_930:                            ;   in Loop: Header=BB372_10 Depth=1
	s_or_b32 exec_lo, exec_lo, s6
	v_mov_b32_e32 v0, 0
	s_mov_b32 s6, exec_lo
	buffer_store_dword v0, off, s[0:3], s32 offset:628 ; 4-byte Folded Spill
	v_mov_b32_e32 v0, 0
	buffer_store_dword v0, off, s[0:3], s32 offset:624 ; 4-byte Folded Spill
	v_cmpx_lt_u32_e32 0xffffff, v26
	s_cbranch_execz .LBB372_938
; %bb.931:                              ;   in Loop: Header=BB372_10 Depth=1
	v_cmp_ne_u32_sdwa s5, v26, v71 src0_sel:BYTE_3 src1_sel:DWORD
	v_bfrev_b32_e32 v0, 1
	buffer_store_dword v0, off, s[0:3], s32 offset:624 ; 4-byte Folded Spill
	s_and_saveexec_b32 s17, s5
	s_cbranch_execz .LBB372_937
; %bb.932:                              ;   in Loop: Header=BB372_10 Depth=1
	v_bfe_u32 v1, v26, 24, 7
	v_mov_b32_e32 v0, 0x7f800001
	s_mov_b32 s19, exec_lo
	buffer_store_dword v0, off, s[0:3], s32 offset:624 ; 4-byte Folded Spill
	v_cmpx_ne_u32_e32 0x7f, v1
	s_cbranch_execz .LBB372_936
; %bb.933:                              ;   in Loop: Header=BB372_10 Depth=1
	v_mov_b32_e32 v0, 7
	s_mov_b32 s20, exec_lo
	v_and_b32_sdwa v4, v26, v0 dst_sel:DWORD dst_unused:UNUSED_PAD src0_sel:BYTE_3 src1_sel:DWORD
	v_mov_b32_e32 v29, v5
	v_lshrrev_b32_e32 v0, 3, v1
	v_mov_b32_e32 v28, v4
	v_cmpx_gt_u32_e32 8, v1
; %bb.934:                              ;   in Loop: Header=BB372_10 Depth=1
	v_ffbh_u32_e32 v0, v4
	v_min_u32_e32 v0, 32, v0
	v_subrev_nc_u32_e32 v1, 28, v0
	v_sub_nc_u32_e32 v0, 29, v0
	v_lshlrev_b64 v[1:2], v1, v[4:5]
	v_and_b32_e32 v28, 7, v1
; %bb.935:                              ;   in Loop: Header=BB372_10 Depth=1
	s_or_b32 exec_lo, exec_lo, s20
	v_mov_b32_e32 v1, 24
	v_lshlrev_b32_e32 v2, 20, v28
	v_lshl_add_u32 v0, v0, 23, 0x3c000000
	v_lshlrev_b32_sdwa v1, v1, v26 dst_sel:DWORD dst_unused:UNUSED_PAD src0_sel:DWORD src1_sel:BYTE_3
	v_and_b32_e32 v1, 0x80000000, v1
	v_or3_b32 v0, v2, v1, v0
	buffer_store_dword v0, off, s[0:3], s32 offset:624 ; 4-byte Folded Spill
.LBB372_936:                            ;   in Loop: Header=BB372_10 Depth=1
	s_or_b32 exec_lo, exec_lo, s19
.LBB372_937:                            ;   in Loop: Header=BB372_10 Depth=1
	s_or_b32 exec_lo, exec_lo, s17
.LBB372_938:                            ;   in Loop: Header=BB372_10 Depth=1
	s_or_b32 exec_lo, exec_lo, s6
	v_mov_b32_e32 v4, v27
	v_cmp_ne_u16_sdwa s5, v27, v5 src0_sel:BYTE_0 src1_sel:DWORD
	s_and_saveexec_b32 s6, s5
	s_cbranch_execz .LBB372_946
; %bb.939:                              ;   in Loop: Header=BB372_10 Depth=1
	v_cmp_ne_u16_sdwa s5, v27, v71 src0_sel:BYTE_0 src1_sel:DWORD
	v_bfrev_b32_e32 v0, 1
	buffer_store_dword v0, off, s[0:3], s32 offset:628 ; 4-byte Folded Spill
	s_and_saveexec_b32 s17, s5
	s_cbranch_execz .LBB372_945
; %bb.940:                              ;   in Loop: Header=BB372_10 Depth=1
	v_and_b32_e32 v1, 0x7f, v27
	v_mov_b32_e32 v0, 0x7f800001
	s_mov_b32 s19, exec_lo
	buffer_store_dword v0, off, s[0:3], s32 offset:628 ; 4-byte Folded Spill
	v_cmpx_ne_u32_e32 0x7f, v1
	s_cbranch_execz .LBB372_944
; %bb.941:                              ;   in Loop: Header=BB372_10 Depth=1
	v_mov_b32_e32 v29, v5
	v_lshrrev_b32_e32 v0, 3, v1
	v_mov_b32_e32 v28, v4
	s_mov_b32 s20, exec_lo
	v_cmpx_gt_u32_e32 8, v1
; %bb.942:                              ;   in Loop: Header=BB372_10 Depth=1
	v_and_b32_e32 v0, 7, v27
	v_ffbh_u32_e32 v0, v0
	v_min_u32_e32 v0, 32, v0
	v_subrev_nc_u32_e32 v1, 28, v0
	v_sub_nc_u32_e32 v0, 29, v0
	v_lshlrev_b64 v[28:29], v1, v[4:5]
; %bb.943:                              ;   in Loop: Header=BB372_10 Depth=1
	s_or_b32 exec_lo, exec_lo, s20
	v_lshlrev_b32_e32 v1, 20, v28
	v_lshlrev_b32_e32 v2, 24, v4
	v_lshl_add_u32 v0, v0, 23, 0x3c000000
	v_and_b32_e32 v1, 0x700000, v1
	v_and_b32_e32 v2, 0x80000000, v2
	v_or3_b32 v0, v1, v2, v0
	buffer_store_dword v0, off, s[0:3], s32 offset:628 ; 4-byte Folded Spill
.LBB372_944:                            ;   in Loop: Header=BB372_10 Depth=1
	s_or_b32 exec_lo, exec_lo, s19
.LBB372_945:                            ;   in Loop: Header=BB372_10 Depth=1
	s_or_b32 exec_lo, exec_lo, s17
.LBB372_946:                            ;   in Loop: Header=BB372_10 Depth=1
	s_or_b32 exec_lo, exec_lo, s6
	v_mov_b32_e32 v0, 0
	v_cmp_ne_u16_sdwa s5, v4, v5 src0_sel:BYTE_1 src1_sel:DWORD
	buffer_store_dword v0, off, s[0:3], s32 offset:632 ; 4-byte Folded Spill
	v_mov_b32_e32 v0, 0
	buffer_store_dword v0, off, s[0:3], s32 offset:636 ; 4-byte Folded Spill
	s_and_saveexec_b32 s6, s5
	s_cbranch_execz .LBB372_954
; %bb.947:                              ;   in Loop: Header=BB372_10 Depth=1
	v_cmp_ne_u16_sdwa s5, v4, v71 src0_sel:BYTE_1 src1_sel:DWORD
	v_bfrev_b32_e32 v0, 1
	buffer_store_dword v0, off, s[0:3], s32 offset:636 ; 4-byte Folded Spill
	s_and_saveexec_b32 s17, s5
	s_cbranch_execz .LBB372_953
; %bb.948:                              ;   in Loop: Header=BB372_10 Depth=1
	v_mov_b32_e32 v0, 0xffff
	v_mov_b32_e32 v2, 0x7f800001
	s_mov_b32 s19, exec_lo
	v_and_b32_sdwa v0, v0, v4 dst_sel:DWORD dst_unused:UNUSED_PAD src0_sel:DWORD src1_sel:BYTE_1
	buffer_store_dword v2, off, s[0:3], s32 offset:636 ; 4-byte Folded Spill
	v_and_b32_e32 v1, 0x7f, v0
	v_cmpx_ne_u32_e32 0x7f, v1
	s_cbranch_execz .LBB372_952
; %bb.949:                              ;   in Loop: Header=BB372_10 Depth=1
	v_and_b32_e32 v28, 7, v0
	v_mov_b32_e32 v29, v5
	v_lshrrev_b32_e32 v0, 3, v1
	s_mov_b32 s20, exec_lo
	v_cmpx_gt_u32_e32 8, v1
; %bb.950:                              ;   in Loop: Header=BB372_10 Depth=1
	v_ffbh_u32_e32 v0, v28
	v_min_u32_e32 v0, 32, v0
	v_subrev_nc_u32_e32 v1, 28, v0
	v_sub_nc_u32_e32 v0, 29, v0
	v_lshlrev_b64 v[1:2], v1, v[28:29]
	v_and_b32_e32 v28, 7, v1
; %bb.951:                              ;   in Loop: Header=BB372_10 Depth=1
	s_or_b32 exec_lo, exec_lo, s20
	v_lshlrev_b32_e32 v1, 16, v4
	v_lshlrev_b32_e32 v2, 20, v28
	v_lshl_add_u32 v0, v0, 23, 0x3c000000
	v_and_b32_e32 v1, 0x80000000, v1
	v_or3_b32 v0, v2, v1, v0
	buffer_store_dword v0, off, s[0:3], s32 offset:636 ; 4-byte Folded Spill
.LBB372_952:                            ;   in Loop: Header=BB372_10 Depth=1
	s_or_b32 exec_lo, exec_lo, s19
.LBB372_953:                            ;   in Loop: Header=BB372_10 Depth=1
	s_or_b32 exec_lo, exec_lo, s17
.LBB372_954:                            ;   in Loop: Header=BB372_10 Depth=1
	s_or_b32 exec_lo, exec_lo, s6
	v_mov_b32_e32 v0, 0xff
	s_mov_b32 s6, exec_lo
	v_and_b32_sdwa v0, v27, v0 dst_sel:DWORD dst_unused:UNUSED_PAD src0_sel:WORD_1 src1_sel:DWORD
	v_cmpx_ne_u16_e32 0, v0
	s_cbranch_execz .LBB372_962
; %bb.955:                              ;   in Loop: Header=BB372_10 Depth=1
	v_cmp_ne_u16_e64 s5, 0x80, v0
	v_bfrev_b32_e32 v0, 1
	buffer_store_dword v0, off, s[0:3], s32 offset:632 ; 4-byte Folded Spill
	s_and_saveexec_b32 s17, s5
	s_cbranch_execz .LBB372_961
; %bb.956:                              ;   in Loop: Header=BB372_10 Depth=1
	v_bfe_u32 v1, v27, 16, 7
	v_mov_b32_e32 v0, 0x7f800001
	s_mov_b32 s19, exec_lo
	buffer_store_dword v0, off, s[0:3], s32 offset:632 ; 4-byte Folded Spill
	v_cmpx_ne_u32_e32 0x7f, v1
	s_cbranch_execz .LBB372_960
; %bb.957:                              ;   in Loop: Header=BB372_10 Depth=1
	v_mov_b32_e32 v0, 7
	s_mov_b32 s20, exec_lo
	v_and_b32_sdwa v4, v27, v0 dst_sel:DWORD dst_unused:UNUSED_PAD src0_sel:WORD_1 src1_sel:DWORD
	v_mov_b32_e32 v29, v5
	v_lshrrev_b32_e32 v0, 3, v1
	v_mov_b32_e32 v28, v4
	v_cmpx_gt_u32_e32 8, v1
; %bb.958:                              ;   in Loop: Header=BB372_10 Depth=1
	v_ffbh_u32_e32 v0, v4
	v_min_u32_e32 v0, 32, v0
	v_subrev_nc_u32_e32 v1, 28, v0
	v_sub_nc_u32_e32 v0, 29, v0
	v_lshlrev_b64 v[1:2], v1, v[4:5]
	v_and_b32_e32 v28, 7, v1
; %bb.959:                              ;   in Loop: Header=BB372_10 Depth=1
	s_or_b32 exec_lo, exec_lo, s20
	v_mov_b32_e32 v1, 24
	v_lshlrev_b32_e32 v2, 20, v28
	v_lshl_add_u32 v0, v0, 23, 0x3c000000
	v_lshlrev_b32_sdwa v1, v1, v27 dst_sel:DWORD dst_unused:UNUSED_PAD src0_sel:DWORD src1_sel:WORD_1
	v_and_b32_e32 v1, 0x80000000, v1
	v_or3_b32 v0, v2, v1, v0
	buffer_store_dword v0, off, s[0:3], s32 offset:632 ; 4-byte Folded Spill
.LBB372_960:                            ;   in Loop: Header=BB372_10 Depth=1
	s_or_b32 exec_lo, exec_lo, s19
.LBB372_961:                            ;   in Loop: Header=BB372_10 Depth=1
	s_or_b32 exec_lo, exec_lo, s17
.LBB372_962:                            ;   in Loop: Header=BB372_10 Depth=1
	s_or_b32 exec_lo, exec_lo, s6
	v_mov_b32_e32 v0, 0
	s_mov_b32 s6, exec_lo
	buffer_store_dword v0, off, s[0:3], s32 offset:644 ; 4-byte Folded Spill
	v_mov_b32_e32 v0, 0
	buffer_store_dword v0, off, s[0:3], s32 offset:640 ; 4-byte Folded Spill
	v_cmpx_lt_u64_e64 s[8:9], v[26:27]
	s_cbranch_execz .LBB372_970
; %bb.963:                              ;   in Loop: Header=BB372_10 Depth=1
	v_cmp_ne_u32_sdwa s5, v27, v71 src0_sel:BYTE_3 src1_sel:DWORD
	v_bfrev_b32_e32 v0, 1
	buffer_store_dword v0, off, s[0:3], s32 offset:640 ; 4-byte Folded Spill
	s_and_saveexec_b32 s17, s5
	s_cbranch_execz .LBB372_969
; %bb.964:                              ;   in Loop: Header=BB372_10 Depth=1
	v_bfe_u32 v1, v27, 24, 7
	v_mov_b32_e32 v0, 0x7f800001
	s_mov_b32 s19, exec_lo
	buffer_store_dword v0, off, s[0:3], s32 offset:640 ; 4-byte Folded Spill
	v_cmpx_ne_u32_e32 0x7f, v1
	s_cbranch_execz .LBB372_968
; %bb.965:                              ;   in Loop: Header=BB372_10 Depth=1
	v_mov_b32_e32 v0, 7
	s_mov_b32 s20, exec_lo
	v_and_b32_sdwa v4, v27, v0 dst_sel:DWORD dst_unused:UNUSED_PAD src0_sel:BYTE_3 src1_sel:DWORD
	v_mov_b32_e32 v29, v5
	v_lshrrev_b32_e32 v0, 3, v1
	v_mov_b32_e32 v28, v4
	v_cmpx_gt_u32_e32 8, v1
; %bb.966:                              ;   in Loop: Header=BB372_10 Depth=1
	v_ffbh_u32_e32 v0, v4
	v_min_u32_e32 v0, 32, v0
	v_subrev_nc_u32_e32 v1, 28, v0
	v_sub_nc_u32_e32 v0, 29, v0
	v_lshlrev_b64 v[1:2], v1, v[4:5]
	v_and_b32_e32 v28, 7, v1
; %bb.967:                              ;   in Loop: Header=BB372_10 Depth=1
	s_or_b32 exec_lo, exec_lo, s20
	v_mov_b32_e32 v1, 24
	v_lshlrev_b32_e32 v2, 20, v28
	v_lshl_add_u32 v0, v0, 23, 0x3c000000
	v_lshlrev_b32_sdwa v1, v1, v27 dst_sel:DWORD dst_unused:UNUSED_PAD src0_sel:DWORD src1_sel:BYTE_3
	v_and_b32_e32 v1, 0x80000000, v1
	v_or3_b32 v0, v2, v1, v0
	buffer_store_dword v0, off, s[0:3], s32 offset:640 ; 4-byte Folded Spill
.LBB372_968:                            ;   in Loop: Header=BB372_10 Depth=1
	s_or_b32 exec_lo, exec_lo, s19
.LBB372_969:                            ;   in Loop: Header=BB372_10 Depth=1
	s_or_b32 exec_lo, exec_lo, s17
.LBB372_970:                            ;   in Loop: Header=BB372_10 Depth=1
	s_or_b32 exec_lo, exec_lo, s6
	flat_load_dwordx2 v[24:25], v[24:25] offset:1544
	s_waitcnt vmcnt(0) lgkmcnt(0)
	v_cmp_ne_u16_sdwa s5, v24, v5 src0_sel:BYTE_0 src1_sel:DWORD
	s_and_saveexec_b32 s6, s5
	s_cbranch_execz .LBB372_978
; %bb.971:                              ;   in Loop: Header=BB372_10 Depth=1
	v_cmp_ne_u16_sdwa s5, v24, v71 src0_sel:BYTE_0 src1_sel:DWORD
	v_bfrev_b32_e32 v0, 1
	buffer_store_dword v0, off, s[0:3], s32 offset:644 ; 4-byte Folded Spill
	s_and_saveexec_b32 s17, s5
	s_cbranch_execz .LBB372_977
; %bb.972:                              ;   in Loop: Header=BB372_10 Depth=1
	v_and_b32_e32 v1, 0x7f, v24
	v_mov_b32_e32 v0, 0x7f800001
	s_mov_b32 s19, exec_lo
	buffer_store_dword v0, off, s[0:3], s32 offset:644 ; 4-byte Folded Spill
	v_cmpx_ne_u32_e32 0x7f, v1
	s_cbranch_execz .LBB372_976
; %bb.973:                              ;   in Loop: Header=BB372_10 Depth=1
	v_mov_b32_e32 v27, v25
	v_lshrrev_b32_e32 v0, 3, v1
	v_mov_b32_e32 v26, v24
	s_mov_b32 s20, exec_lo
	v_cmpx_gt_u32_e32 8, v1
; %bb.974:                              ;   in Loop: Header=BB372_10 Depth=1
	v_and_b32_e32 v0, 7, v24
	v_ffbh_u32_e32 v0, v0
	v_min_u32_e32 v0, 32, v0
	v_subrev_nc_u32_e32 v1, 28, v0
	v_sub_nc_u32_e32 v0, 29, v0
	v_lshlrev_b64 v[26:27], v1, v[24:25]
; %bb.975:                              ;   in Loop: Header=BB372_10 Depth=1
	s_or_b32 exec_lo, exec_lo, s20
	v_lshlrev_b32_e32 v1, 20, v26
	v_lshlrev_b32_e32 v2, 24, v24
	v_lshl_add_u32 v0, v0, 23, 0x3c000000
	v_and_b32_e32 v1, 0x700000, v1
	v_and_b32_e32 v2, 0x80000000, v2
	v_or3_b32 v0, v1, v2, v0
	buffer_store_dword v0, off, s[0:3], s32 offset:644 ; 4-byte Folded Spill
.LBB372_976:                            ;   in Loop: Header=BB372_10 Depth=1
	s_or_b32 exec_lo, exec_lo, s19
.LBB372_977:                            ;   in Loop: Header=BB372_10 Depth=1
	s_or_b32 exec_lo, exec_lo, s17
.LBB372_978:                            ;   in Loop: Header=BB372_10 Depth=1
	s_or_b32 exec_lo, exec_lo, s6
	v_mov_b32_e32 v0, 0
	v_cmp_ne_u16_sdwa s5, v24, v5 src0_sel:BYTE_1 src1_sel:DWORD
	buffer_store_dword v0, off, s[0:3], s32 offset:652 ; 4-byte Folded Spill
	v_mov_b32_e32 v0, 0
	buffer_store_dword v0, off, s[0:3], s32 offset:648 ; 4-byte Folded Spill
	s_and_saveexec_b32 s6, s5
	s_cbranch_execz .LBB372_986
; %bb.979:                              ;   in Loop: Header=BB372_10 Depth=1
	v_cmp_ne_u16_sdwa s5, v24, v71 src0_sel:BYTE_1 src1_sel:DWORD
	v_bfrev_b32_e32 v0, 1
	buffer_store_dword v0, off, s[0:3], s32 offset:648 ; 4-byte Folded Spill
	s_and_saveexec_b32 s17, s5
	s_cbranch_execz .LBB372_985
; %bb.980:                              ;   in Loop: Header=BB372_10 Depth=1
	v_mov_b32_e32 v0, 0xffff
	v_mov_b32_e32 v2, 0x7f800001
	s_mov_b32 s19, exec_lo
	v_and_b32_sdwa v0, v0, v24 dst_sel:DWORD dst_unused:UNUSED_PAD src0_sel:DWORD src1_sel:BYTE_1
	buffer_store_dword v2, off, s[0:3], s32 offset:648 ; 4-byte Folded Spill
	v_and_b32_e32 v1, 0x7f, v0
	v_cmpx_ne_u32_e32 0x7f, v1
	s_cbranch_execz .LBB372_984
; %bb.981:                              ;   in Loop: Header=BB372_10 Depth=1
	v_and_b32_e32 v4, 7, v0
	v_mov_b32_e32 v27, v5
	v_lshrrev_b32_e32 v0, 3, v1
	s_mov_b32 s20, exec_lo
	v_mov_b32_e32 v26, v4
	v_cmpx_gt_u32_e32 8, v1
; %bb.982:                              ;   in Loop: Header=BB372_10 Depth=1
	v_ffbh_u32_e32 v0, v4
	v_min_u32_e32 v0, 32, v0
	v_subrev_nc_u32_e32 v1, 28, v0
	v_sub_nc_u32_e32 v0, 29, v0
	v_lshlrev_b64 v[1:2], v1, v[4:5]
	v_and_b32_e32 v26, 7, v1
; %bb.983:                              ;   in Loop: Header=BB372_10 Depth=1
	s_or_b32 exec_lo, exec_lo, s20
	v_lshlrev_b32_e32 v1, 16, v24
	v_lshlrev_b32_e32 v2, 20, v26
	v_lshl_add_u32 v0, v0, 23, 0x3c000000
	v_and_b32_e32 v1, 0x80000000, v1
	v_or3_b32 v0, v2, v1, v0
	buffer_store_dword v0, off, s[0:3], s32 offset:648 ; 4-byte Folded Spill
.LBB372_984:                            ;   in Loop: Header=BB372_10 Depth=1
	s_or_b32 exec_lo, exec_lo, s19
.LBB372_985:                            ;   in Loop: Header=BB372_10 Depth=1
	s_or_b32 exec_lo, exec_lo, s17
.LBB372_986:                            ;   in Loop: Header=BB372_10 Depth=1
	s_or_b32 exec_lo, exec_lo, s6
	v_mov_b32_e32 v0, 0xff
	s_mov_b32 s6, exec_lo
	v_and_b32_sdwa v0, v24, v0 dst_sel:DWORD dst_unused:UNUSED_PAD src0_sel:WORD_1 src1_sel:DWORD
	v_cmpx_ne_u16_e32 0, v0
	s_cbranch_execz .LBB372_994
; %bb.987:                              ;   in Loop: Header=BB372_10 Depth=1
	v_cmp_ne_u16_e64 s5, 0x80, v0
	v_bfrev_b32_e32 v0, 1
	buffer_store_dword v0, off, s[0:3], s32 offset:652 ; 4-byte Folded Spill
	s_and_saveexec_b32 s17, s5
	s_cbranch_execz .LBB372_993
; %bb.988:                              ;   in Loop: Header=BB372_10 Depth=1
	v_bfe_u32 v1, v24, 16, 7
	v_mov_b32_e32 v0, 0x7f800001
	s_mov_b32 s19, exec_lo
	buffer_store_dword v0, off, s[0:3], s32 offset:652 ; 4-byte Folded Spill
	v_cmpx_ne_u32_e32 0x7f, v1
	s_cbranch_execz .LBB372_992
; %bb.989:                              ;   in Loop: Header=BB372_10 Depth=1
	v_mov_b32_e32 v0, 7
	s_mov_b32 s20, exec_lo
	v_and_b32_sdwa v4, v24, v0 dst_sel:DWORD dst_unused:UNUSED_PAD src0_sel:WORD_1 src1_sel:DWORD
	v_mov_b32_e32 v27, v5
	v_lshrrev_b32_e32 v0, 3, v1
	v_mov_b32_e32 v26, v4
	v_cmpx_gt_u32_e32 8, v1
; %bb.990:                              ;   in Loop: Header=BB372_10 Depth=1
	v_ffbh_u32_e32 v0, v4
	v_min_u32_e32 v0, 32, v0
	v_subrev_nc_u32_e32 v1, 28, v0
	v_sub_nc_u32_e32 v0, 29, v0
	v_lshlrev_b64 v[1:2], v1, v[4:5]
	v_and_b32_e32 v26, 7, v1
; %bb.991:                              ;   in Loop: Header=BB372_10 Depth=1
	s_or_b32 exec_lo, exec_lo, s20
	v_mov_b32_e32 v1, 24
	v_lshlrev_b32_e32 v2, 20, v26
	v_lshl_add_u32 v0, v0, 23, 0x3c000000
	v_lshlrev_b32_sdwa v1, v1, v24 dst_sel:DWORD dst_unused:UNUSED_PAD src0_sel:DWORD src1_sel:WORD_1
	v_and_b32_e32 v1, 0x80000000, v1
	v_or3_b32 v0, v2, v1, v0
	buffer_store_dword v0, off, s[0:3], s32 offset:652 ; 4-byte Folded Spill
.LBB372_992:                            ;   in Loop: Header=BB372_10 Depth=1
	s_or_b32 exec_lo, exec_lo, s19
.LBB372_993:                            ;   in Loop: Header=BB372_10 Depth=1
	s_or_b32 exec_lo, exec_lo, s17
.LBB372_994:                            ;   in Loop: Header=BB372_10 Depth=1
	s_or_b32 exec_lo, exec_lo, s6
	v_mov_b32_e32 v0, 0
	s_mov_b32 s6, exec_lo
	buffer_store_dword v0, off, s[0:3], s32 offset:656 ; 4-byte Folded Spill
	v_mov_b32_e32 v0, 0
	buffer_store_dword v0, off, s[0:3], s32 offset:660 ; 4-byte Folded Spill
	v_cmpx_lt_u32_e32 0xffffff, v24
	s_cbranch_execz .LBB372_1002
; %bb.995:                              ;   in Loop: Header=BB372_10 Depth=1
	v_cmp_ne_u32_sdwa s5, v24, v71 src0_sel:BYTE_3 src1_sel:DWORD
	v_bfrev_b32_e32 v0, 1
	buffer_store_dword v0, off, s[0:3], s32 offset:660 ; 4-byte Folded Spill
	s_and_saveexec_b32 s17, s5
	s_cbranch_execz .LBB372_1001
; %bb.996:                              ;   in Loop: Header=BB372_10 Depth=1
	v_bfe_u32 v1, v24, 24, 7
	v_mov_b32_e32 v0, 0x7f800001
	s_mov_b32 s19, exec_lo
	buffer_store_dword v0, off, s[0:3], s32 offset:660 ; 4-byte Folded Spill
	v_cmpx_ne_u32_e32 0x7f, v1
	s_cbranch_execz .LBB372_1000
; %bb.997:                              ;   in Loop: Header=BB372_10 Depth=1
	v_mov_b32_e32 v0, 7
	s_mov_b32 s20, exec_lo
	v_and_b32_sdwa v4, v24, v0 dst_sel:DWORD dst_unused:UNUSED_PAD src0_sel:BYTE_3 src1_sel:DWORD
	v_mov_b32_e32 v27, v5
	v_lshrrev_b32_e32 v0, 3, v1
	v_mov_b32_e32 v26, v4
	v_cmpx_gt_u32_e32 8, v1
; %bb.998:                              ;   in Loop: Header=BB372_10 Depth=1
	v_ffbh_u32_e32 v0, v4
	v_min_u32_e32 v0, 32, v0
	v_subrev_nc_u32_e32 v1, 28, v0
	v_sub_nc_u32_e32 v0, 29, v0
	v_lshlrev_b64 v[1:2], v1, v[4:5]
	v_and_b32_e32 v26, 7, v1
; %bb.999:                              ;   in Loop: Header=BB372_10 Depth=1
	s_or_b32 exec_lo, exec_lo, s20
	v_mov_b32_e32 v1, 24
	v_lshlrev_b32_e32 v2, 20, v26
	v_lshl_add_u32 v0, v0, 23, 0x3c000000
	v_lshlrev_b32_sdwa v1, v1, v24 dst_sel:DWORD dst_unused:UNUSED_PAD src0_sel:DWORD src1_sel:BYTE_3
	v_and_b32_e32 v1, 0x80000000, v1
	v_or3_b32 v0, v2, v1, v0
	buffer_store_dword v0, off, s[0:3], s32 offset:660 ; 4-byte Folded Spill
.LBB372_1000:                           ;   in Loop: Header=BB372_10 Depth=1
	s_or_b32 exec_lo, exec_lo, s19
.LBB372_1001:                           ;   in Loop: Header=BB372_10 Depth=1
	s_or_b32 exec_lo, exec_lo, s17
.LBB372_1002:                           ;   in Loop: Header=BB372_10 Depth=1
	s_or_b32 exec_lo, exec_lo, s6
	v_mov_b32_e32 v4, v25
	v_cmp_ne_u16_sdwa s5, v25, v5 src0_sel:BYTE_0 src1_sel:DWORD
	s_and_saveexec_b32 s6, s5
	s_cbranch_execz .LBB372_1010
; %bb.1003:                             ;   in Loop: Header=BB372_10 Depth=1
	v_cmp_ne_u16_sdwa s5, v25, v71 src0_sel:BYTE_0 src1_sel:DWORD
	v_bfrev_b32_e32 v0, 1
	buffer_store_dword v0, off, s[0:3], s32 offset:656 ; 4-byte Folded Spill
	s_and_saveexec_b32 s17, s5
	s_cbranch_execz .LBB372_1009
; %bb.1004:                             ;   in Loop: Header=BB372_10 Depth=1
	v_and_b32_e32 v1, 0x7f, v25
	v_mov_b32_e32 v0, 0x7f800001
	s_mov_b32 s19, exec_lo
	buffer_store_dword v0, off, s[0:3], s32 offset:656 ; 4-byte Folded Spill
	v_cmpx_ne_u32_e32 0x7f, v1
	s_cbranch_execz .LBB372_1008
; %bb.1005:                             ;   in Loop: Header=BB372_10 Depth=1
	v_mov_b32_e32 v27, v5
	v_mov_b32_e32 v26, v4
	v_lshrrev_b32_e32 v0, 3, v1
	s_mov_b32 s20, exec_lo
	v_cmpx_gt_u32_e32 8, v1
; %bb.1006:                             ;   in Loop: Header=BB372_10 Depth=1
	v_and_b32_e32 v0, 7, v25
	v_ffbh_u32_e32 v0, v0
	v_min_u32_e32 v0, 32, v0
	v_subrev_nc_u32_e32 v1, 28, v0
	v_sub_nc_u32_e32 v0, 29, v0
	v_lshlrev_b64 v[26:27], v1, v[4:5]
; %bb.1007:                             ;   in Loop: Header=BB372_10 Depth=1
	s_or_b32 exec_lo, exec_lo, s20
	v_lshlrev_b32_e32 v1, 20, v26
	v_lshlrev_b32_e32 v2, 24, v4
	v_lshl_add_u32 v0, v0, 23, 0x3c000000
	v_and_b32_e32 v1, 0x700000, v1
	v_and_b32_e32 v2, 0x80000000, v2
	v_or3_b32 v0, v1, v2, v0
	buffer_store_dword v0, off, s[0:3], s32 offset:656 ; 4-byte Folded Spill
.LBB372_1008:                           ;   in Loop: Header=BB372_10 Depth=1
	s_or_b32 exec_lo, exec_lo, s19
.LBB372_1009:                           ;   in Loop: Header=BB372_10 Depth=1
	s_or_b32 exec_lo, exec_lo, s17
.LBB372_1010:                           ;   in Loop: Header=BB372_10 Depth=1
	s_or_b32 exec_lo, exec_lo, s6
	v_mov_b32_e32 v0, 0
	v_cmp_ne_u16_sdwa s5, v4, v5 src0_sel:BYTE_1 src1_sel:DWORD
	buffer_store_dword v0, off, s[0:3], s32 offset:664 ; 4-byte Folded Spill
	v_mov_b32_e32 v0, 0
	buffer_store_dword v0, off, s[0:3], s32 offset:668 ; 4-byte Folded Spill
	s_and_saveexec_b32 s6, s5
	s_cbranch_execz .LBB372_1018
; %bb.1011:                             ;   in Loop: Header=BB372_10 Depth=1
	v_cmp_ne_u16_sdwa s5, v4, v71 src0_sel:BYTE_1 src1_sel:DWORD
	v_bfrev_b32_e32 v0, 1
	buffer_store_dword v0, off, s[0:3], s32 offset:668 ; 4-byte Folded Spill
	s_and_saveexec_b32 s17, s5
	s_cbranch_execz .LBB372_1017
; %bb.1012:                             ;   in Loop: Header=BB372_10 Depth=1
	v_mov_b32_e32 v0, 0xffff
	v_mov_b32_e32 v2, 0x7f800001
	s_mov_b32 s19, exec_lo
	v_and_b32_sdwa v0, v0, v4 dst_sel:DWORD dst_unused:UNUSED_PAD src0_sel:DWORD src1_sel:BYTE_1
	buffer_store_dword v2, off, s[0:3], s32 offset:668 ; 4-byte Folded Spill
	v_and_b32_e32 v1, 0x7f, v0
	v_cmpx_ne_u32_e32 0x7f, v1
	s_cbranch_execz .LBB372_1016
; %bb.1013:                             ;   in Loop: Header=BB372_10 Depth=1
	v_and_b32_e32 v26, 7, v0
	v_mov_b32_e32 v27, v5
	v_lshrrev_b32_e32 v0, 3, v1
	s_mov_b32 s20, exec_lo
	v_cmpx_gt_u32_e32 8, v1
; %bb.1014:                             ;   in Loop: Header=BB372_10 Depth=1
	v_ffbh_u32_e32 v0, v26
	v_min_u32_e32 v0, 32, v0
	v_subrev_nc_u32_e32 v1, 28, v0
	v_sub_nc_u32_e32 v0, 29, v0
	v_lshlrev_b64 v[1:2], v1, v[26:27]
	v_and_b32_e32 v26, 7, v1
; %bb.1015:                             ;   in Loop: Header=BB372_10 Depth=1
	s_or_b32 exec_lo, exec_lo, s20
	v_lshlrev_b32_e32 v1, 16, v4
	v_lshlrev_b32_e32 v2, 20, v26
	v_lshl_add_u32 v0, v0, 23, 0x3c000000
	v_and_b32_e32 v1, 0x80000000, v1
	v_or3_b32 v0, v2, v1, v0
	buffer_store_dword v0, off, s[0:3], s32 offset:668 ; 4-byte Folded Spill
.LBB372_1016:                           ;   in Loop: Header=BB372_10 Depth=1
	s_or_b32 exec_lo, exec_lo, s19
.LBB372_1017:                           ;   in Loop: Header=BB372_10 Depth=1
	s_or_b32 exec_lo, exec_lo, s17
.LBB372_1018:                           ;   in Loop: Header=BB372_10 Depth=1
	s_or_b32 exec_lo, exec_lo, s6
	v_mov_b32_e32 v0, 0xff
	s_mov_b32 s6, exec_lo
	v_and_b32_sdwa v0, v25, v0 dst_sel:DWORD dst_unused:UNUSED_PAD src0_sel:WORD_1 src1_sel:DWORD
	v_cmpx_ne_u16_e32 0, v0
	s_cbranch_execz .LBB372_1026
; %bb.1019:                             ;   in Loop: Header=BB372_10 Depth=1
	v_cmp_ne_u16_e64 s5, 0x80, v0
	v_bfrev_b32_e32 v0, 1
	buffer_store_dword v0, off, s[0:3], s32 offset:664 ; 4-byte Folded Spill
	s_and_saveexec_b32 s17, s5
	s_cbranch_execz .LBB372_1025
; %bb.1020:                             ;   in Loop: Header=BB372_10 Depth=1
	v_bfe_u32 v1, v25, 16, 7
	v_mov_b32_e32 v0, 0x7f800001
	s_mov_b32 s19, exec_lo
	buffer_store_dword v0, off, s[0:3], s32 offset:664 ; 4-byte Folded Spill
	v_cmpx_ne_u32_e32 0x7f, v1
	s_cbranch_execz .LBB372_1024
; %bb.1021:                             ;   in Loop: Header=BB372_10 Depth=1
	v_mov_b32_e32 v0, 7
	s_mov_b32 s20, exec_lo
	v_and_b32_sdwa v4, v25, v0 dst_sel:DWORD dst_unused:UNUSED_PAD src0_sel:WORD_1 src1_sel:DWORD
	v_mov_b32_e32 v27, v5
	v_lshrrev_b32_e32 v0, 3, v1
	v_mov_b32_e32 v26, v4
	v_cmpx_gt_u32_e32 8, v1
; %bb.1022:                             ;   in Loop: Header=BB372_10 Depth=1
	v_ffbh_u32_e32 v0, v4
	v_min_u32_e32 v0, 32, v0
	v_subrev_nc_u32_e32 v1, 28, v0
	v_sub_nc_u32_e32 v0, 29, v0
	v_lshlrev_b64 v[1:2], v1, v[4:5]
	v_and_b32_e32 v26, 7, v1
; %bb.1023:                             ;   in Loop: Header=BB372_10 Depth=1
	s_or_b32 exec_lo, exec_lo, s20
	v_mov_b32_e32 v1, 24
	v_lshlrev_b32_e32 v2, 20, v26
	v_lshl_add_u32 v0, v0, 23, 0x3c000000
	v_lshlrev_b32_sdwa v1, v1, v25 dst_sel:DWORD dst_unused:UNUSED_PAD src0_sel:DWORD src1_sel:WORD_1
	v_and_b32_e32 v1, 0x80000000, v1
	v_or3_b32 v0, v2, v1, v0
	buffer_store_dword v0, off, s[0:3], s32 offset:664 ; 4-byte Folded Spill
.LBB372_1024:                           ;   in Loop: Header=BB372_10 Depth=1
	s_or_b32 exec_lo, exec_lo, s19
.LBB372_1025:                           ;   in Loop: Header=BB372_10 Depth=1
	s_or_b32 exec_lo, exec_lo, s17
.LBB372_1026:                           ;   in Loop: Header=BB372_10 Depth=1
	s_or_b32 exec_lo, exec_lo, s6
	v_mov_b32_e32 v0, 0
	s_mov_b32 s6, exec_lo
	buffer_store_dword v0, off, s[0:3], s32 offset:676 ; 4-byte Folded Spill
	v_mov_b32_e32 v0, 0
	buffer_store_dword v0, off, s[0:3], s32 offset:672 ; 4-byte Folded Spill
	v_cmpx_lt_u64_e64 s[8:9], v[24:25]
	s_cbranch_execz .LBB372_1034
; %bb.1027:                             ;   in Loop: Header=BB372_10 Depth=1
	v_cmp_ne_u32_sdwa s5, v25, v71 src0_sel:BYTE_3 src1_sel:DWORD
	v_bfrev_b32_e32 v0, 1
	buffer_store_dword v0, off, s[0:3], s32 offset:672 ; 4-byte Folded Spill
	s_and_saveexec_b32 s17, s5
	s_cbranch_execz .LBB372_1033
; %bb.1028:                             ;   in Loop: Header=BB372_10 Depth=1
	v_bfe_u32 v1, v25, 24, 7
	v_mov_b32_e32 v0, 0x7f800001
	s_mov_b32 s19, exec_lo
	buffer_store_dword v0, off, s[0:3], s32 offset:672 ; 4-byte Folded Spill
	v_cmpx_ne_u32_e32 0x7f, v1
	s_cbranch_execz .LBB372_1032
; %bb.1029:                             ;   in Loop: Header=BB372_10 Depth=1
	v_mov_b32_e32 v0, 7
	s_mov_b32 s20, exec_lo
	v_and_b32_sdwa v4, v25, v0 dst_sel:DWORD dst_unused:UNUSED_PAD src0_sel:BYTE_3 src1_sel:DWORD
	v_mov_b32_e32 v27, v5
	v_lshrrev_b32_e32 v0, 3, v1
	v_mov_b32_e32 v26, v4
	v_cmpx_gt_u32_e32 8, v1
; %bb.1030:                             ;   in Loop: Header=BB372_10 Depth=1
	v_ffbh_u32_e32 v0, v4
	v_min_u32_e32 v0, 32, v0
	v_subrev_nc_u32_e32 v1, 28, v0
	v_sub_nc_u32_e32 v0, 29, v0
	v_lshlrev_b64 v[1:2], v1, v[4:5]
	v_and_b32_e32 v26, 7, v1
; %bb.1031:                             ;   in Loop: Header=BB372_10 Depth=1
	s_or_b32 exec_lo, exec_lo, s20
	v_mov_b32_e32 v1, 24
	v_lshlrev_b32_e32 v2, 20, v26
	v_lshl_add_u32 v0, v0, 23, 0x3c000000
	v_lshlrev_b32_sdwa v1, v1, v25 dst_sel:DWORD dst_unused:UNUSED_PAD src0_sel:DWORD src1_sel:BYTE_3
	v_and_b32_e32 v1, 0x80000000, v1
	v_or3_b32 v0, v2, v1, v0
	buffer_store_dword v0, off, s[0:3], s32 offset:672 ; 4-byte Folded Spill
.LBB372_1032:                           ;   in Loop: Header=BB372_10 Depth=1
	s_or_b32 exec_lo, exec_lo, s19
.LBB372_1033:                           ;   in Loop: Header=BB372_10 Depth=1
	s_or_b32 exec_lo, exec_lo, s17
.LBB372_1034:                           ;   in Loop: Header=BB372_10 Depth=1
	s_or_b32 exec_lo, exec_lo, s6
	v_add_co_u32 v24, s5, 0x1000, v16
	v_add_co_ci_u32_e64 v25, null, 0, v17, s5
	flat_load_dwordx2 v[26:27], v[24:25]
	s_waitcnt vmcnt(0) lgkmcnt(0)
	v_cmp_ne_u16_sdwa s5, v26, v5 src0_sel:BYTE_0 src1_sel:DWORD
	s_and_saveexec_b32 s6, s5
	s_cbranch_execz .LBB372_1042
; %bb.1035:                             ;   in Loop: Header=BB372_10 Depth=1
	v_cmp_ne_u16_sdwa s5, v26, v71 src0_sel:BYTE_0 src1_sel:DWORD
	v_bfrev_b32_e32 v0, 1
	buffer_store_dword v0, off, s[0:3], s32 offset:676 ; 4-byte Folded Spill
	s_and_saveexec_b32 s17, s5
	s_cbranch_execz .LBB372_1041
; %bb.1036:                             ;   in Loop: Header=BB372_10 Depth=1
	v_and_b32_e32 v1, 0x7f, v26
	v_mov_b32_e32 v0, 0x7f800001
	s_mov_b32 s19, exec_lo
	buffer_store_dword v0, off, s[0:3], s32 offset:676 ; 4-byte Folded Spill
	v_cmpx_ne_u32_e32 0x7f, v1
	s_cbranch_execz .LBB372_1040
; %bb.1037:                             ;   in Loop: Header=BB372_10 Depth=1
	v_mov_b32_e32 v29, v27
	v_lshrrev_b32_e32 v0, 3, v1
	v_mov_b32_e32 v28, v26
	s_mov_b32 s20, exec_lo
	v_cmpx_gt_u32_e32 8, v1
; %bb.1038:                             ;   in Loop: Header=BB372_10 Depth=1
	v_and_b32_e32 v0, 7, v26
	v_ffbh_u32_e32 v0, v0
	v_min_u32_e32 v0, 32, v0
	v_subrev_nc_u32_e32 v1, 28, v0
	v_sub_nc_u32_e32 v0, 29, v0
	v_lshlrev_b64 v[28:29], v1, v[26:27]
; %bb.1039:                             ;   in Loop: Header=BB372_10 Depth=1
	s_or_b32 exec_lo, exec_lo, s20
	v_lshlrev_b32_e32 v1, 20, v28
	v_lshlrev_b32_e32 v2, 24, v26
	v_lshl_add_u32 v0, v0, 23, 0x3c000000
	v_and_b32_e32 v1, 0x700000, v1
	v_and_b32_e32 v2, 0x80000000, v2
	v_or3_b32 v0, v1, v2, v0
	buffer_store_dword v0, off, s[0:3], s32 offset:676 ; 4-byte Folded Spill
.LBB372_1040:                           ;   in Loop: Header=BB372_10 Depth=1
	s_or_b32 exec_lo, exec_lo, s19
.LBB372_1041:                           ;   in Loop: Header=BB372_10 Depth=1
	s_or_b32 exec_lo, exec_lo, s17
.LBB372_1042:                           ;   in Loop: Header=BB372_10 Depth=1
	s_or_b32 exec_lo, exec_lo, s6
	v_mov_b32_e32 v0, 0
	v_cmp_ne_u16_sdwa s5, v26, v5 src0_sel:BYTE_1 src1_sel:DWORD
	buffer_store_dword v0, off, s[0:3], s32 offset:684 ; 4-byte Folded Spill
	v_mov_b32_e32 v0, 0
	buffer_store_dword v0, off, s[0:3], s32 offset:680 ; 4-byte Folded Spill
	s_and_saveexec_b32 s6, s5
	s_cbranch_execz .LBB372_1050
; %bb.1043:                             ;   in Loop: Header=BB372_10 Depth=1
	v_cmp_ne_u16_sdwa s5, v26, v71 src0_sel:BYTE_1 src1_sel:DWORD
	v_bfrev_b32_e32 v0, 1
	buffer_store_dword v0, off, s[0:3], s32 offset:680 ; 4-byte Folded Spill
	s_and_saveexec_b32 s17, s5
	s_cbranch_execz .LBB372_1049
; %bb.1044:                             ;   in Loop: Header=BB372_10 Depth=1
	v_mov_b32_e32 v0, 0xffff
	v_mov_b32_e32 v2, 0x7f800001
	s_mov_b32 s19, exec_lo
	v_and_b32_sdwa v0, v0, v26 dst_sel:DWORD dst_unused:UNUSED_PAD src0_sel:DWORD src1_sel:BYTE_1
	buffer_store_dword v2, off, s[0:3], s32 offset:680 ; 4-byte Folded Spill
	v_and_b32_e32 v1, 0x7f, v0
	v_cmpx_ne_u32_e32 0x7f, v1
	s_cbranch_execz .LBB372_1048
; %bb.1045:                             ;   in Loop: Header=BB372_10 Depth=1
	v_and_b32_e32 v4, 7, v0
	v_mov_b32_e32 v29, v5
	v_lshrrev_b32_e32 v0, 3, v1
	s_mov_b32 s20, exec_lo
	v_mov_b32_e32 v28, v4
	v_cmpx_gt_u32_e32 8, v1
; %bb.1046:                             ;   in Loop: Header=BB372_10 Depth=1
	v_ffbh_u32_e32 v0, v4
	v_min_u32_e32 v0, 32, v0
	v_subrev_nc_u32_e32 v1, 28, v0
	v_sub_nc_u32_e32 v0, 29, v0
	v_lshlrev_b64 v[1:2], v1, v[4:5]
	v_and_b32_e32 v28, 7, v1
; %bb.1047:                             ;   in Loop: Header=BB372_10 Depth=1
	s_or_b32 exec_lo, exec_lo, s20
	v_lshlrev_b32_e32 v1, 16, v26
	v_lshlrev_b32_e32 v2, 20, v28
	v_lshl_add_u32 v0, v0, 23, 0x3c000000
	v_and_b32_e32 v1, 0x80000000, v1
	v_or3_b32 v0, v2, v1, v0
	buffer_store_dword v0, off, s[0:3], s32 offset:680 ; 4-byte Folded Spill
.LBB372_1048:                           ;   in Loop: Header=BB372_10 Depth=1
	s_or_b32 exec_lo, exec_lo, s19
.LBB372_1049:                           ;   in Loop: Header=BB372_10 Depth=1
	s_or_b32 exec_lo, exec_lo, s17
.LBB372_1050:                           ;   in Loop: Header=BB372_10 Depth=1
	s_or_b32 exec_lo, exec_lo, s6
	v_mov_b32_e32 v0, 0xff
	s_mov_b32 s6, exec_lo
	v_and_b32_sdwa v0, v26, v0 dst_sel:DWORD dst_unused:UNUSED_PAD src0_sel:WORD_1 src1_sel:DWORD
	v_cmpx_ne_u16_e32 0, v0
	s_cbranch_execz .LBB372_1058
; %bb.1051:                             ;   in Loop: Header=BB372_10 Depth=1
	v_cmp_ne_u16_e64 s5, 0x80, v0
	v_bfrev_b32_e32 v0, 1
	buffer_store_dword v0, off, s[0:3], s32 offset:684 ; 4-byte Folded Spill
	s_and_saveexec_b32 s17, s5
	s_cbranch_execz .LBB372_1057
; %bb.1052:                             ;   in Loop: Header=BB372_10 Depth=1
	v_bfe_u32 v1, v26, 16, 7
	v_mov_b32_e32 v0, 0x7f800001
	s_mov_b32 s19, exec_lo
	buffer_store_dword v0, off, s[0:3], s32 offset:684 ; 4-byte Folded Spill
	v_cmpx_ne_u32_e32 0x7f, v1
	s_cbranch_execz .LBB372_1056
; %bb.1053:                             ;   in Loop: Header=BB372_10 Depth=1
	v_mov_b32_e32 v0, 7
	s_mov_b32 s20, exec_lo
	v_and_b32_sdwa v4, v26, v0 dst_sel:DWORD dst_unused:UNUSED_PAD src0_sel:WORD_1 src1_sel:DWORD
	v_mov_b32_e32 v29, v5
	v_lshrrev_b32_e32 v0, 3, v1
	v_mov_b32_e32 v28, v4
	v_cmpx_gt_u32_e32 8, v1
; %bb.1054:                             ;   in Loop: Header=BB372_10 Depth=1
	v_ffbh_u32_e32 v0, v4
	v_min_u32_e32 v0, 32, v0
	v_subrev_nc_u32_e32 v1, 28, v0
	v_sub_nc_u32_e32 v0, 29, v0
	v_lshlrev_b64 v[1:2], v1, v[4:5]
	v_and_b32_e32 v28, 7, v1
; %bb.1055:                             ;   in Loop: Header=BB372_10 Depth=1
	s_or_b32 exec_lo, exec_lo, s20
	v_mov_b32_e32 v1, 24
	v_lshlrev_b32_e32 v2, 20, v28
	v_lshl_add_u32 v0, v0, 23, 0x3c000000
	v_lshlrev_b32_sdwa v1, v1, v26 dst_sel:DWORD dst_unused:UNUSED_PAD src0_sel:DWORD src1_sel:WORD_1
	v_and_b32_e32 v1, 0x80000000, v1
	v_or3_b32 v0, v2, v1, v0
	buffer_store_dword v0, off, s[0:3], s32 offset:684 ; 4-byte Folded Spill
.LBB372_1056:                           ;   in Loop: Header=BB372_10 Depth=1
	s_or_b32 exec_lo, exec_lo, s19
.LBB372_1057:                           ;   in Loop: Header=BB372_10 Depth=1
	s_or_b32 exec_lo, exec_lo, s17
.LBB372_1058:                           ;   in Loop: Header=BB372_10 Depth=1
	s_or_b32 exec_lo, exec_lo, s6
	v_mov_b32_e32 v0, 0
	s_mov_b32 s6, exec_lo
	buffer_store_dword v0, off, s[0:3], s32 offset:688 ; 4-byte Folded Spill
	v_mov_b32_e32 v0, 0
	buffer_store_dword v0, off, s[0:3], s32 offset:692 ; 4-byte Folded Spill
	v_cmpx_lt_u32_e32 0xffffff, v26
	s_cbranch_execz .LBB372_1066
; %bb.1059:                             ;   in Loop: Header=BB372_10 Depth=1
	v_cmp_ne_u32_sdwa s5, v26, v71 src0_sel:BYTE_3 src1_sel:DWORD
	v_bfrev_b32_e32 v0, 1
	buffer_store_dword v0, off, s[0:3], s32 offset:692 ; 4-byte Folded Spill
	s_and_saveexec_b32 s17, s5
	s_cbranch_execz .LBB372_1065
; %bb.1060:                             ;   in Loop: Header=BB372_10 Depth=1
	v_bfe_u32 v1, v26, 24, 7
	v_mov_b32_e32 v0, 0x7f800001
	s_mov_b32 s19, exec_lo
	buffer_store_dword v0, off, s[0:3], s32 offset:692 ; 4-byte Folded Spill
	v_cmpx_ne_u32_e32 0x7f, v1
	s_cbranch_execz .LBB372_1064
; %bb.1061:                             ;   in Loop: Header=BB372_10 Depth=1
	v_mov_b32_e32 v0, 7
	s_mov_b32 s20, exec_lo
	v_and_b32_sdwa v4, v26, v0 dst_sel:DWORD dst_unused:UNUSED_PAD src0_sel:BYTE_3 src1_sel:DWORD
	v_mov_b32_e32 v29, v5
	v_lshrrev_b32_e32 v0, 3, v1
	v_mov_b32_e32 v28, v4
	v_cmpx_gt_u32_e32 8, v1
; %bb.1062:                             ;   in Loop: Header=BB372_10 Depth=1
	v_ffbh_u32_e32 v0, v4
	v_min_u32_e32 v0, 32, v0
	v_subrev_nc_u32_e32 v1, 28, v0
	v_sub_nc_u32_e32 v0, 29, v0
	v_lshlrev_b64 v[1:2], v1, v[4:5]
	v_and_b32_e32 v28, 7, v1
; %bb.1063:                             ;   in Loop: Header=BB372_10 Depth=1
	s_or_b32 exec_lo, exec_lo, s20
	v_mov_b32_e32 v1, 24
	v_lshlrev_b32_e32 v2, 20, v28
	v_lshl_add_u32 v0, v0, 23, 0x3c000000
	v_lshlrev_b32_sdwa v1, v1, v26 dst_sel:DWORD dst_unused:UNUSED_PAD src0_sel:DWORD src1_sel:BYTE_3
	v_and_b32_e32 v1, 0x80000000, v1
	v_or3_b32 v0, v2, v1, v0
	buffer_store_dword v0, off, s[0:3], s32 offset:692 ; 4-byte Folded Spill
.LBB372_1064:                           ;   in Loop: Header=BB372_10 Depth=1
	s_or_b32 exec_lo, exec_lo, s19
.LBB372_1065:                           ;   in Loop: Header=BB372_10 Depth=1
	s_or_b32 exec_lo, exec_lo, s17
.LBB372_1066:                           ;   in Loop: Header=BB372_10 Depth=1
	s_or_b32 exec_lo, exec_lo, s6
	v_mov_b32_e32 v4, v27
	v_cmp_ne_u16_sdwa s5, v27, v5 src0_sel:BYTE_0 src1_sel:DWORD
	s_and_saveexec_b32 s6, s5
	s_cbranch_execz .LBB372_1074
; %bb.1067:                             ;   in Loop: Header=BB372_10 Depth=1
	v_cmp_ne_u16_sdwa s5, v27, v71 src0_sel:BYTE_0 src1_sel:DWORD
	v_bfrev_b32_e32 v0, 1
	buffer_store_dword v0, off, s[0:3], s32 offset:688 ; 4-byte Folded Spill
	s_and_saveexec_b32 s17, s5
	s_cbranch_execz .LBB372_1073
; %bb.1068:                             ;   in Loop: Header=BB372_10 Depth=1
	v_and_b32_e32 v1, 0x7f, v27
	v_mov_b32_e32 v0, 0x7f800001
	s_mov_b32 s19, exec_lo
	buffer_store_dword v0, off, s[0:3], s32 offset:688 ; 4-byte Folded Spill
	v_cmpx_ne_u32_e32 0x7f, v1
	s_cbranch_execz .LBB372_1072
; %bb.1069:                             ;   in Loop: Header=BB372_10 Depth=1
	v_mov_b32_e32 v29, v5
	v_mov_b32_e32 v28, v4
	v_lshrrev_b32_e32 v0, 3, v1
	s_mov_b32 s20, exec_lo
	v_cmpx_gt_u32_e32 8, v1
; %bb.1070:                             ;   in Loop: Header=BB372_10 Depth=1
	v_and_b32_e32 v0, 7, v27
	v_ffbh_u32_e32 v0, v0
	v_min_u32_e32 v0, 32, v0
	v_subrev_nc_u32_e32 v1, 28, v0
	v_sub_nc_u32_e32 v0, 29, v0
	v_lshlrev_b64 v[28:29], v1, v[4:5]
; %bb.1071:                             ;   in Loop: Header=BB372_10 Depth=1
	s_or_b32 exec_lo, exec_lo, s20
	v_lshlrev_b32_e32 v1, 20, v28
	v_lshlrev_b32_e32 v2, 24, v4
	v_lshl_add_u32 v0, v0, 23, 0x3c000000
	v_and_b32_e32 v1, 0x700000, v1
	v_and_b32_e32 v2, 0x80000000, v2
	v_or3_b32 v0, v1, v2, v0
	buffer_store_dword v0, off, s[0:3], s32 offset:688 ; 4-byte Folded Spill
.LBB372_1072:                           ;   in Loop: Header=BB372_10 Depth=1
	s_or_b32 exec_lo, exec_lo, s19
.LBB372_1073:                           ;   in Loop: Header=BB372_10 Depth=1
	s_or_b32 exec_lo, exec_lo, s17
.LBB372_1074:                           ;   in Loop: Header=BB372_10 Depth=1
	s_or_b32 exec_lo, exec_lo, s6
	v_mov_b32_e32 v0, 0
	v_cmp_ne_u16_sdwa s5, v4, v5 src0_sel:BYTE_1 src1_sel:DWORD
	buffer_store_dword v0, off, s[0:3], s32 offset:696 ; 4-byte Folded Spill
	v_mov_b32_e32 v0, 0
	buffer_store_dword v0, off, s[0:3], s32 offset:700 ; 4-byte Folded Spill
	s_and_saveexec_b32 s6, s5
	s_cbranch_execz .LBB372_1082
; %bb.1075:                             ;   in Loop: Header=BB372_10 Depth=1
	v_cmp_ne_u16_sdwa s5, v4, v71 src0_sel:BYTE_1 src1_sel:DWORD
	v_bfrev_b32_e32 v0, 1
	buffer_store_dword v0, off, s[0:3], s32 offset:700 ; 4-byte Folded Spill
	s_and_saveexec_b32 s17, s5
	s_cbranch_execz .LBB372_1081
; %bb.1076:                             ;   in Loop: Header=BB372_10 Depth=1
	v_mov_b32_e32 v0, 0xffff
	v_mov_b32_e32 v2, 0x7f800001
	s_mov_b32 s19, exec_lo
	v_and_b32_sdwa v0, v0, v4 dst_sel:DWORD dst_unused:UNUSED_PAD src0_sel:DWORD src1_sel:BYTE_1
	buffer_store_dword v2, off, s[0:3], s32 offset:700 ; 4-byte Folded Spill
	v_and_b32_e32 v1, 0x7f, v0
	v_cmpx_ne_u32_e32 0x7f, v1
	s_cbranch_execz .LBB372_1080
; %bb.1077:                             ;   in Loop: Header=BB372_10 Depth=1
	v_and_b32_e32 v28, 7, v0
	v_mov_b32_e32 v29, v5
	v_lshrrev_b32_e32 v0, 3, v1
	s_mov_b32 s20, exec_lo
	v_cmpx_gt_u32_e32 8, v1
; %bb.1078:                             ;   in Loop: Header=BB372_10 Depth=1
	v_ffbh_u32_e32 v0, v28
	v_min_u32_e32 v0, 32, v0
	v_subrev_nc_u32_e32 v1, 28, v0
	v_sub_nc_u32_e32 v0, 29, v0
	v_lshlrev_b64 v[1:2], v1, v[28:29]
	v_and_b32_e32 v28, 7, v1
; %bb.1079:                             ;   in Loop: Header=BB372_10 Depth=1
	s_or_b32 exec_lo, exec_lo, s20
	v_lshlrev_b32_e32 v1, 16, v4
	v_lshlrev_b32_e32 v2, 20, v28
	v_lshl_add_u32 v0, v0, 23, 0x3c000000
	v_and_b32_e32 v1, 0x80000000, v1
	v_or3_b32 v0, v2, v1, v0
	buffer_store_dword v0, off, s[0:3], s32 offset:700 ; 4-byte Folded Spill
.LBB372_1080:                           ;   in Loop: Header=BB372_10 Depth=1
	s_or_b32 exec_lo, exec_lo, s19
.LBB372_1081:                           ;   in Loop: Header=BB372_10 Depth=1
	s_or_b32 exec_lo, exec_lo, s17
.LBB372_1082:                           ;   in Loop: Header=BB372_10 Depth=1
	s_or_b32 exec_lo, exec_lo, s6
	v_mov_b32_e32 v0, 0xff
	s_mov_b32 s6, exec_lo
	v_and_b32_sdwa v0, v27, v0 dst_sel:DWORD dst_unused:UNUSED_PAD src0_sel:WORD_1 src1_sel:DWORD
	v_cmpx_ne_u16_e32 0, v0
	s_cbranch_execz .LBB372_1090
; %bb.1083:                             ;   in Loop: Header=BB372_10 Depth=1
	v_cmp_ne_u16_e64 s5, 0x80, v0
	v_bfrev_b32_e32 v0, 1
	buffer_store_dword v0, off, s[0:3], s32 offset:696 ; 4-byte Folded Spill
	s_and_saveexec_b32 s17, s5
	s_cbranch_execz .LBB372_1089
; %bb.1084:                             ;   in Loop: Header=BB372_10 Depth=1
	v_bfe_u32 v1, v27, 16, 7
	v_mov_b32_e32 v0, 0x7f800001
	s_mov_b32 s19, exec_lo
	buffer_store_dword v0, off, s[0:3], s32 offset:696 ; 4-byte Folded Spill
	v_cmpx_ne_u32_e32 0x7f, v1
	s_cbranch_execz .LBB372_1088
; %bb.1085:                             ;   in Loop: Header=BB372_10 Depth=1
	v_mov_b32_e32 v0, 7
	s_mov_b32 s20, exec_lo
	v_and_b32_sdwa v4, v27, v0 dst_sel:DWORD dst_unused:UNUSED_PAD src0_sel:WORD_1 src1_sel:DWORD
	v_mov_b32_e32 v29, v5
	v_lshrrev_b32_e32 v0, 3, v1
	v_mov_b32_e32 v28, v4
	v_cmpx_gt_u32_e32 8, v1
; %bb.1086:                             ;   in Loop: Header=BB372_10 Depth=1
	v_ffbh_u32_e32 v0, v4
	v_min_u32_e32 v0, 32, v0
	v_subrev_nc_u32_e32 v1, 28, v0
	v_sub_nc_u32_e32 v0, 29, v0
	v_lshlrev_b64 v[1:2], v1, v[4:5]
	v_and_b32_e32 v28, 7, v1
; %bb.1087:                             ;   in Loop: Header=BB372_10 Depth=1
	s_or_b32 exec_lo, exec_lo, s20
	v_mov_b32_e32 v1, 24
	v_lshlrev_b32_e32 v2, 20, v28
	v_lshl_add_u32 v0, v0, 23, 0x3c000000
	v_lshlrev_b32_sdwa v1, v1, v27 dst_sel:DWORD dst_unused:UNUSED_PAD src0_sel:DWORD src1_sel:WORD_1
	v_and_b32_e32 v1, 0x80000000, v1
	v_or3_b32 v0, v2, v1, v0
	buffer_store_dword v0, off, s[0:3], s32 offset:696 ; 4-byte Folded Spill
.LBB372_1088:                           ;   in Loop: Header=BB372_10 Depth=1
	s_or_b32 exec_lo, exec_lo, s19
.LBB372_1089:                           ;   in Loop: Header=BB372_10 Depth=1
	s_or_b32 exec_lo, exec_lo, s17
.LBB372_1090:                           ;   in Loop: Header=BB372_10 Depth=1
	s_or_b32 exec_lo, exec_lo, s6
	v_mov_b32_e32 v0, 0
	s_mov_b32 s6, exec_lo
	buffer_store_dword v0, off, s[0:3], s32 offset:708 ; 4-byte Folded Spill
	v_mov_b32_e32 v0, 0
	buffer_store_dword v0, off, s[0:3], s32 offset:704 ; 4-byte Folded Spill
	v_cmpx_lt_u64_e64 s[8:9], v[26:27]
	s_cbranch_execz .LBB372_1098
; %bb.1091:                             ;   in Loop: Header=BB372_10 Depth=1
	v_cmp_ne_u32_sdwa s5, v27, v71 src0_sel:BYTE_3 src1_sel:DWORD
	v_bfrev_b32_e32 v0, 1
	buffer_store_dword v0, off, s[0:3], s32 offset:704 ; 4-byte Folded Spill
	s_and_saveexec_b32 s17, s5
	s_cbranch_execz .LBB372_1097
; %bb.1092:                             ;   in Loop: Header=BB372_10 Depth=1
	v_bfe_u32 v1, v27, 24, 7
	v_mov_b32_e32 v0, 0x7f800001
	s_mov_b32 s19, exec_lo
	buffer_store_dword v0, off, s[0:3], s32 offset:704 ; 4-byte Folded Spill
	v_cmpx_ne_u32_e32 0x7f, v1
	s_cbranch_execz .LBB372_1096
; %bb.1093:                             ;   in Loop: Header=BB372_10 Depth=1
	v_mov_b32_e32 v0, 7
	s_mov_b32 s20, exec_lo
	v_and_b32_sdwa v4, v27, v0 dst_sel:DWORD dst_unused:UNUSED_PAD src0_sel:BYTE_3 src1_sel:DWORD
	v_mov_b32_e32 v29, v5
	v_lshrrev_b32_e32 v0, 3, v1
	v_mov_b32_e32 v28, v4
	v_cmpx_gt_u32_e32 8, v1
; %bb.1094:                             ;   in Loop: Header=BB372_10 Depth=1
	v_ffbh_u32_e32 v0, v4
	v_min_u32_e32 v0, 32, v0
	v_subrev_nc_u32_e32 v1, 28, v0
	v_sub_nc_u32_e32 v0, 29, v0
	v_lshlrev_b64 v[1:2], v1, v[4:5]
	v_and_b32_e32 v28, 7, v1
; %bb.1095:                             ;   in Loop: Header=BB372_10 Depth=1
	s_or_b32 exec_lo, exec_lo, s20
	v_mov_b32_e32 v1, 24
	v_lshlrev_b32_e32 v2, 20, v28
	v_lshl_add_u32 v0, v0, 23, 0x3c000000
	v_lshlrev_b32_sdwa v1, v1, v27 dst_sel:DWORD dst_unused:UNUSED_PAD src0_sel:DWORD src1_sel:BYTE_3
	v_and_b32_e32 v1, 0x80000000, v1
	v_or3_b32 v0, v2, v1, v0
	buffer_store_dword v0, off, s[0:3], s32 offset:704 ; 4-byte Folded Spill
.LBB372_1096:                           ;   in Loop: Header=BB372_10 Depth=1
	s_or_b32 exec_lo, exec_lo, s19
.LBB372_1097:                           ;   in Loop: Header=BB372_10 Depth=1
	s_or_b32 exec_lo, exec_lo, s17
.LBB372_1098:                           ;   in Loop: Header=BB372_10 Depth=1
	s_or_b32 exec_lo, exec_lo, s6
	flat_load_dwordx2 v[26:27], v[24:25] offset:8
	s_waitcnt vmcnt(0) lgkmcnt(0)
	v_cmp_ne_u16_sdwa s5, v26, v5 src0_sel:BYTE_0 src1_sel:DWORD
	s_and_saveexec_b32 s6, s5
	s_cbranch_execz .LBB372_1106
; %bb.1099:                             ;   in Loop: Header=BB372_10 Depth=1
	v_cmp_ne_u16_sdwa s5, v26, v71 src0_sel:BYTE_0 src1_sel:DWORD
	v_bfrev_b32_e32 v0, 1
	buffer_store_dword v0, off, s[0:3], s32 offset:708 ; 4-byte Folded Spill
	s_and_saveexec_b32 s17, s5
	s_cbranch_execz .LBB372_1105
; %bb.1100:                             ;   in Loop: Header=BB372_10 Depth=1
	v_and_b32_e32 v1, 0x7f, v26
	v_mov_b32_e32 v0, 0x7f800001
	s_mov_b32 s19, exec_lo
	buffer_store_dword v0, off, s[0:3], s32 offset:708 ; 4-byte Folded Spill
	v_cmpx_ne_u32_e32 0x7f, v1
	s_cbranch_execz .LBB372_1104
; %bb.1101:                             ;   in Loop: Header=BB372_10 Depth=1
	v_mov_b32_e32 v29, v27
	v_lshrrev_b32_e32 v0, 3, v1
	v_mov_b32_e32 v28, v26
	s_mov_b32 s20, exec_lo
	v_cmpx_gt_u32_e32 8, v1
; %bb.1102:                             ;   in Loop: Header=BB372_10 Depth=1
	v_and_b32_e32 v0, 7, v26
	v_ffbh_u32_e32 v0, v0
	v_min_u32_e32 v0, 32, v0
	v_subrev_nc_u32_e32 v1, 28, v0
	v_sub_nc_u32_e32 v0, 29, v0
	v_lshlrev_b64 v[28:29], v1, v[26:27]
; %bb.1103:                             ;   in Loop: Header=BB372_10 Depth=1
	s_or_b32 exec_lo, exec_lo, s20
	v_lshlrev_b32_e32 v1, 20, v28
	v_lshlrev_b32_e32 v2, 24, v26
	v_lshl_add_u32 v0, v0, 23, 0x3c000000
	v_and_b32_e32 v1, 0x700000, v1
	v_and_b32_e32 v2, 0x80000000, v2
	v_or3_b32 v0, v1, v2, v0
	buffer_store_dword v0, off, s[0:3], s32 offset:708 ; 4-byte Folded Spill
.LBB372_1104:                           ;   in Loop: Header=BB372_10 Depth=1
	s_or_b32 exec_lo, exec_lo, s19
.LBB372_1105:                           ;   in Loop: Header=BB372_10 Depth=1
	s_or_b32 exec_lo, exec_lo, s17
.LBB372_1106:                           ;   in Loop: Header=BB372_10 Depth=1
	s_or_b32 exec_lo, exec_lo, s6
	v_mov_b32_e32 v0, 0
	v_cmp_ne_u16_sdwa s5, v26, v5 src0_sel:BYTE_1 src1_sel:DWORD
	buffer_store_dword v0, off, s[0:3], s32 offset:716 ; 4-byte Folded Spill
	v_mov_b32_e32 v0, 0
	buffer_store_dword v0, off, s[0:3], s32 offset:712 ; 4-byte Folded Spill
	s_and_saveexec_b32 s6, s5
	s_cbranch_execz .LBB372_1114
; %bb.1107:                             ;   in Loop: Header=BB372_10 Depth=1
	v_cmp_ne_u16_sdwa s5, v26, v71 src0_sel:BYTE_1 src1_sel:DWORD
	v_bfrev_b32_e32 v0, 1
	buffer_store_dword v0, off, s[0:3], s32 offset:712 ; 4-byte Folded Spill
	s_and_saveexec_b32 s17, s5
	s_cbranch_execz .LBB372_1113
; %bb.1108:                             ;   in Loop: Header=BB372_10 Depth=1
	v_mov_b32_e32 v0, 0xffff
	v_mov_b32_e32 v2, 0x7f800001
	s_mov_b32 s19, exec_lo
	v_and_b32_sdwa v0, v0, v26 dst_sel:DWORD dst_unused:UNUSED_PAD src0_sel:DWORD src1_sel:BYTE_1
	buffer_store_dword v2, off, s[0:3], s32 offset:712 ; 4-byte Folded Spill
	v_and_b32_e32 v1, 0x7f, v0
	v_cmpx_ne_u32_e32 0x7f, v1
	s_cbranch_execz .LBB372_1112
; %bb.1109:                             ;   in Loop: Header=BB372_10 Depth=1
	v_and_b32_e32 v4, 7, v0
	v_mov_b32_e32 v29, v5
	v_lshrrev_b32_e32 v0, 3, v1
	s_mov_b32 s20, exec_lo
	v_mov_b32_e32 v28, v4
	v_cmpx_gt_u32_e32 8, v1
; %bb.1110:                             ;   in Loop: Header=BB372_10 Depth=1
	v_ffbh_u32_e32 v0, v4
	v_min_u32_e32 v0, 32, v0
	v_subrev_nc_u32_e32 v1, 28, v0
	v_sub_nc_u32_e32 v0, 29, v0
	v_lshlrev_b64 v[1:2], v1, v[4:5]
	v_and_b32_e32 v28, 7, v1
; %bb.1111:                             ;   in Loop: Header=BB372_10 Depth=1
	s_or_b32 exec_lo, exec_lo, s20
	v_lshlrev_b32_e32 v1, 16, v26
	v_lshlrev_b32_e32 v2, 20, v28
	v_lshl_add_u32 v0, v0, 23, 0x3c000000
	v_and_b32_e32 v1, 0x80000000, v1
	v_or3_b32 v0, v2, v1, v0
	buffer_store_dword v0, off, s[0:3], s32 offset:712 ; 4-byte Folded Spill
.LBB372_1112:                           ;   in Loop: Header=BB372_10 Depth=1
	s_or_b32 exec_lo, exec_lo, s19
.LBB372_1113:                           ;   in Loop: Header=BB372_10 Depth=1
	s_or_b32 exec_lo, exec_lo, s17
.LBB372_1114:                           ;   in Loop: Header=BB372_10 Depth=1
	s_or_b32 exec_lo, exec_lo, s6
	v_mov_b32_e32 v0, 0xff
	s_mov_b32 s6, exec_lo
	v_and_b32_sdwa v0, v26, v0 dst_sel:DWORD dst_unused:UNUSED_PAD src0_sel:WORD_1 src1_sel:DWORD
	v_cmpx_ne_u16_e32 0, v0
	s_cbranch_execz .LBB372_1122
; %bb.1115:                             ;   in Loop: Header=BB372_10 Depth=1
	v_cmp_ne_u16_e64 s5, 0x80, v0
	v_bfrev_b32_e32 v0, 1
	buffer_store_dword v0, off, s[0:3], s32 offset:716 ; 4-byte Folded Spill
	s_and_saveexec_b32 s17, s5
	s_cbranch_execz .LBB372_1121
; %bb.1116:                             ;   in Loop: Header=BB372_10 Depth=1
	v_bfe_u32 v1, v26, 16, 7
	v_mov_b32_e32 v0, 0x7f800001
	s_mov_b32 s19, exec_lo
	buffer_store_dword v0, off, s[0:3], s32 offset:716 ; 4-byte Folded Spill
	v_cmpx_ne_u32_e32 0x7f, v1
	s_cbranch_execz .LBB372_1120
; %bb.1117:                             ;   in Loop: Header=BB372_10 Depth=1
	v_mov_b32_e32 v0, 7
	s_mov_b32 s20, exec_lo
	v_and_b32_sdwa v4, v26, v0 dst_sel:DWORD dst_unused:UNUSED_PAD src0_sel:WORD_1 src1_sel:DWORD
	v_mov_b32_e32 v29, v5
	v_lshrrev_b32_e32 v0, 3, v1
	v_mov_b32_e32 v28, v4
	v_cmpx_gt_u32_e32 8, v1
; %bb.1118:                             ;   in Loop: Header=BB372_10 Depth=1
	v_ffbh_u32_e32 v0, v4
	v_min_u32_e32 v0, 32, v0
	v_subrev_nc_u32_e32 v1, 28, v0
	v_sub_nc_u32_e32 v0, 29, v0
	v_lshlrev_b64 v[1:2], v1, v[4:5]
	v_and_b32_e32 v28, 7, v1
; %bb.1119:                             ;   in Loop: Header=BB372_10 Depth=1
	s_or_b32 exec_lo, exec_lo, s20
	v_mov_b32_e32 v1, 24
	v_lshlrev_b32_e32 v2, 20, v28
	v_lshl_add_u32 v0, v0, 23, 0x3c000000
	v_lshlrev_b32_sdwa v1, v1, v26 dst_sel:DWORD dst_unused:UNUSED_PAD src0_sel:DWORD src1_sel:WORD_1
	v_and_b32_e32 v1, 0x80000000, v1
	v_or3_b32 v0, v2, v1, v0
	buffer_store_dword v0, off, s[0:3], s32 offset:716 ; 4-byte Folded Spill
.LBB372_1120:                           ;   in Loop: Header=BB372_10 Depth=1
	s_or_b32 exec_lo, exec_lo, s19
.LBB372_1121:                           ;   in Loop: Header=BB372_10 Depth=1
	s_or_b32 exec_lo, exec_lo, s17
.LBB372_1122:                           ;   in Loop: Header=BB372_10 Depth=1
	s_or_b32 exec_lo, exec_lo, s6
	v_mov_b32_e32 v0, 0
	s_mov_b32 s6, exec_lo
	buffer_store_dword v0, off, s[0:3], s32 offset:720 ; 4-byte Folded Spill
	v_mov_b32_e32 v0, 0
	buffer_store_dword v0, off, s[0:3], s32 offset:724 ; 4-byte Folded Spill
	v_cmpx_lt_u32_e32 0xffffff, v26
	s_cbranch_execz .LBB372_1130
; %bb.1123:                             ;   in Loop: Header=BB372_10 Depth=1
	v_cmp_ne_u32_sdwa s5, v26, v71 src0_sel:BYTE_3 src1_sel:DWORD
	v_bfrev_b32_e32 v0, 1
	buffer_store_dword v0, off, s[0:3], s32 offset:724 ; 4-byte Folded Spill
	s_and_saveexec_b32 s17, s5
	s_cbranch_execz .LBB372_1129
; %bb.1124:                             ;   in Loop: Header=BB372_10 Depth=1
	v_bfe_u32 v1, v26, 24, 7
	v_mov_b32_e32 v0, 0x7f800001
	s_mov_b32 s19, exec_lo
	buffer_store_dword v0, off, s[0:3], s32 offset:724 ; 4-byte Folded Spill
	v_cmpx_ne_u32_e32 0x7f, v1
	s_cbranch_execz .LBB372_1128
; %bb.1125:                             ;   in Loop: Header=BB372_10 Depth=1
	v_mov_b32_e32 v0, 7
	s_mov_b32 s20, exec_lo
	v_and_b32_sdwa v4, v26, v0 dst_sel:DWORD dst_unused:UNUSED_PAD src0_sel:BYTE_3 src1_sel:DWORD
	v_mov_b32_e32 v29, v5
	v_lshrrev_b32_e32 v0, 3, v1
	v_mov_b32_e32 v28, v4
	v_cmpx_gt_u32_e32 8, v1
; %bb.1126:                             ;   in Loop: Header=BB372_10 Depth=1
	v_ffbh_u32_e32 v0, v4
	v_min_u32_e32 v0, 32, v0
	v_subrev_nc_u32_e32 v1, 28, v0
	v_sub_nc_u32_e32 v0, 29, v0
	v_lshlrev_b64 v[1:2], v1, v[4:5]
	v_and_b32_e32 v28, 7, v1
; %bb.1127:                             ;   in Loop: Header=BB372_10 Depth=1
	s_or_b32 exec_lo, exec_lo, s20
	v_mov_b32_e32 v1, 24
	v_lshlrev_b32_e32 v2, 20, v28
	v_lshl_add_u32 v0, v0, 23, 0x3c000000
	v_lshlrev_b32_sdwa v1, v1, v26 dst_sel:DWORD dst_unused:UNUSED_PAD src0_sel:DWORD src1_sel:BYTE_3
	v_and_b32_e32 v1, 0x80000000, v1
	v_or3_b32 v0, v2, v1, v0
	buffer_store_dword v0, off, s[0:3], s32 offset:724 ; 4-byte Folded Spill
.LBB372_1128:                           ;   in Loop: Header=BB372_10 Depth=1
	s_or_b32 exec_lo, exec_lo, s19
.LBB372_1129:                           ;   in Loop: Header=BB372_10 Depth=1
	s_or_b32 exec_lo, exec_lo, s17
.LBB372_1130:                           ;   in Loop: Header=BB372_10 Depth=1
	s_or_b32 exec_lo, exec_lo, s6
	v_mov_b32_e32 v4, v27
	v_cmp_ne_u16_sdwa s5, v27, v5 src0_sel:BYTE_0 src1_sel:DWORD
	s_and_saveexec_b32 s6, s5
	s_cbranch_execz .LBB372_1138
; %bb.1131:                             ;   in Loop: Header=BB372_10 Depth=1
	v_cmp_ne_u16_sdwa s5, v27, v71 src0_sel:BYTE_0 src1_sel:DWORD
	v_bfrev_b32_e32 v0, 1
	buffer_store_dword v0, off, s[0:3], s32 offset:720 ; 4-byte Folded Spill
	s_and_saveexec_b32 s17, s5
	s_cbranch_execz .LBB372_1137
; %bb.1132:                             ;   in Loop: Header=BB372_10 Depth=1
	v_and_b32_e32 v1, 0x7f, v27
	v_mov_b32_e32 v0, 0x7f800001
	s_mov_b32 s19, exec_lo
	buffer_store_dword v0, off, s[0:3], s32 offset:720 ; 4-byte Folded Spill
	v_cmpx_ne_u32_e32 0x7f, v1
	s_cbranch_execz .LBB372_1136
; %bb.1133:                             ;   in Loop: Header=BB372_10 Depth=1
	v_mov_b32_e32 v29, v5
	v_mov_b32_e32 v28, v4
	v_lshrrev_b32_e32 v0, 3, v1
	s_mov_b32 s20, exec_lo
	v_cmpx_gt_u32_e32 8, v1
; %bb.1134:                             ;   in Loop: Header=BB372_10 Depth=1
	v_and_b32_e32 v0, 7, v27
	v_ffbh_u32_e32 v0, v0
	v_min_u32_e32 v0, 32, v0
	v_subrev_nc_u32_e32 v1, 28, v0
	v_sub_nc_u32_e32 v0, 29, v0
	v_lshlrev_b64 v[28:29], v1, v[4:5]
; %bb.1135:                             ;   in Loop: Header=BB372_10 Depth=1
	s_or_b32 exec_lo, exec_lo, s20
	v_lshlrev_b32_e32 v1, 20, v28
	v_lshlrev_b32_e32 v2, 24, v4
	v_lshl_add_u32 v0, v0, 23, 0x3c000000
	v_and_b32_e32 v1, 0x700000, v1
	v_and_b32_e32 v2, 0x80000000, v2
	v_or3_b32 v0, v1, v2, v0
	buffer_store_dword v0, off, s[0:3], s32 offset:720 ; 4-byte Folded Spill
.LBB372_1136:                           ;   in Loop: Header=BB372_10 Depth=1
	s_or_b32 exec_lo, exec_lo, s19
.LBB372_1137:                           ;   in Loop: Header=BB372_10 Depth=1
	s_or_b32 exec_lo, exec_lo, s17
.LBB372_1138:                           ;   in Loop: Header=BB372_10 Depth=1
	s_or_b32 exec_lo, exec_lo, s6
	v_mov_b32_e32 v0, 0
	v_cmp_ne_u16_sdwa s5, v4, v5 src0_sel:BYTE_1 src1_sel:DWORD
	buffer_store_dword v0, off, s[0:3], s32 offset:728 ; 4-byte Folded Spill
	v_mov_b32_e32 v0, 0
	buffer_store_dword v0, off, s[0:3], s32 offset:732 ; 4-byte Folded Spill
	s_and_saveexec_b32 s6, s5
	s_cbranch_execz .LBB372_1146
; %bb.1139:                             ;   in Loop: Header=BB372_10 Depth=1
	v_cmp_ne_u16_sdwa s5, v4, v71 src0_sel:BYTE_1 src1_sel:DWORD
	v_bfrev_b32_e32 v0, 1
	buffer_store_dword v0, off, s[0:3], s32 offset:732 ; 4-byte Folded Spill
	s_and_saveexec_b32 s17, s5
	s_cbranch_execz .LBB372_1145
; %bb.1140:                             ;   in Loop: Header=BB372_10 Depth=1
	v_mov_b32_e32 v0, 0xffff
	v_mov_b32_e32 v2, 0x7f800001
	s_mov_b32 s19, exec_lo
	v_and_b32_sdwa v0, v0, v4 dst_sel:DWORD dst_unused:UNUSED_PAD src0_sel:DWORD src1_sel:BYTE_1
	buffer_store_dword v2, off, s[0:3], s32 offset:732 ; 4-byte Folded Spill
	v_and_b32_e32 v1, 0x7f, v0
	v_cmpx_ne_u32_e32 0x7f, v1
	s_cbranch_execz .LBB372_1144
; %bb.1141:                             ;   in Loop: Header=BB372_10 Depth=1
	v_and_b32_e32 v28, 7, v0
	v_mov_b32_e32 v29, v5
	v_lshrrev_b32_e32 v0, 3, v1
	s_mov_b32 s20, exec_lo
	v_cmpx_gt_u32_e32 8, v1
; %bb.1142:                             ;   in Loop: Header=BB372_10 Depth=1
	v_ffbh_u32_e32 v0, v28
	v_min_u32_e32 v0, 32, v0
	v_subrev_nc_u32_e32 v1, 28, v0
	v_sub_nc_u32_e32 v0, 29, v0
	v_lshlrev_b64 v[1:2], v1, v[28:29]
	v_and_b32_e32 v28, 7, v1
; %bb.1143:                             ;   in Loop: Header=BB372_10 Depth=1
	s_or_b32 exec_lo, exec_lo, s20
	v_lshlrev_b32_e32 v1, 16, v4
	v_lshlrev_b32_e32 v2, 20, v28
	v_lshl_add_u32 v0, v0, 23, 0x3c000000
	v_and_b32_e32 v1, 0x80000000, v1
	v_or3_b32 v0, v2, v1, v0
	buffer_store_dword v0, off, s[0:3], s32 offset:732 ; 4-byte Folded Spill
.LBB372_1144:                           ;   in Loop: Header=BB372_10 Depth=1
	s_or_b32 exec_lo, exec_lo, s19
.LBB372_1145:                           ;   in Loop: Header=BB372_10 Depth=1
	s_or_b32 exec_lo, exec_lo, s17
.LBB372_1146:                           ;   in Loop: Header=BB372_10 Depth=1
	s_or_b32 exec_lo, exec_lo, s6
	v_mov_b32_e32 v0, 0xff
	s_mov_b32 s6, exec_lo
	v_and_b32_sdwa v0, v27, v0 dst_sel:DWORD dst_unused:UNUSED_PAD src0_sel:WORD_1 src1_sel:DWORD
	v_cmpx_ne_u16_e32 0, v0
	s_cbranch_execz .LBB372_1154
; %bb.1147:                             ;   in Loop: Header=BB372_10 Depth=1
	v_cmp_ne_u16_e64 s5, 0x80, v0
	v_bfrev_b32_e32 v0, 1
	buffer_store_dword v0, off, s[0:3], s32 offset:728 ; 4-byte Folded Spill
	s_and_saveexec_b32 s17, s5
	s_cbranch_execz .LBB372_1153
; %bb.1148:                             ;   in Loop: Header=BB372_10 Depth=1
	v_bfe_u32 v1, v27, 16, 7
	v_mov_b32_e32 v0, 0x7f800001
	s_mov_b32 s19, exec_lo
	buffer_store_dword v0, off, s[0:3], s32 offset:728 ; 4-byte Folded Spill
	v_cmpx_ne_u32_e32 0x7f, v1
	s_cbranch_execz .LBB372_1152
; %bb.1149:                             ;   in Loop: Header=BB372_10 Depth=1
	v_mov_b32_e32 v0, 7
	s_mov_b32 s20, exec_lo
	v_and_b32_sdwa v4, v27, v0 dst_sel:DWORD dst_unused:UNUSED_PAD src0_sel:WORD_1 src1_sel:DWORD
	v_mov_b32_e32 v29, v5
	v_lshrrev_b32_e32 v0, 3, v1
	v_mov_b32_e32 v28, v4
	v_cmpx_gt_u32_e32 8, v1
; %bb.1150:                             ;   in Loop: Header=BB372_10 Depth=1
	v_ffbh_u32_e32 v0, v4
	v_min_u32_e32 v0, 32, v0
	v_subrev_nc_u32_e32 v1, 28, v0
	v_sub_nc_u32_e32 v0, 29, v0
	v_lshlrev_b64 v[1:2], v1, v[4:5]
	v_and_b32_e32 v28, 7, v1
; %bb.1151:                             ;   in Loop: Header=BB372_10 Depth=1
	s_or_b32 exec_lo, exec_lo, s20
	v_mov_b32_e32 v1, 24
	v_lshlrev_b32_e32 v2, 20, v28
	v_lshl_add_u32 v0, v0, 23, 0x3c000000
	v_lshlrev_b32_sdwa v1, v1, v27 dst_sel:DWORD dst_unused:UNUSED_PAD src0_sel:DWORD src1_sel:WORD_1
	v_and_b32_e32 v1, 0x80000000, v1
	v_or3_b32 v0, v2, v1, v0
	buffer_store_dword v0, off, s[0:3], s32 offset:728 ; 4-byte Folded Spill
.LBB372_1152:                           ;   in Loop: Header=BB372_10 Depth=1
	s_or_b32 exec_lo, exec_lo, s19
.LBB372_1153:                           ;   in Loop: Header=BB372_10 Depth=1
	s_or_b32 exec_lo, exec_lo, s17
.LBB372_1154:                           ;   in Loop: Header=BB372_10 Depth=1
	s_or_b32 exec_lo, exec_lo, s6
	v_mov_b32_e32 v105, 0
	v_mov_b32_e32 v0, 0
	s_mov_b32 s6, exec_lo
	buffer_store_dword v0, off, s[0:3], s32 offset:736 ; 4-byte Folded Spill
	v_cmpx_lt_u64_e64 s[8:9], v[26:27]
	s_cbranch_execz .LBB372_1162
; %bb.1155:                             ;   in Loop: Header=BB372_10 Depth=1
	v_cmp_ne_u32_sdwa s5, v27, v71 src0_sel:BYTE_3 src1_sel:DWORD
	v_bfrev_b32_e32 v0, 1
	buffer_store_dword v0, off, s[0:3], s32 offset:736 ; 4-byte Folded Spill
	s_and_saveexec_b32 s17, s5
	s_cbranch_execz .LBB372_1161
; %bb.1156:                             ;   in Loop: Header=BB372_10 Depth=1
	v_bfe_u32 v1, v27, 24, 7
	v_mov_b32_e32 v0, 0x7f800001
	s_mov_b32 s19, exec_lo
	buffer_store_dword v0, off, s[0:3], s32 offset:736 ; 4-byte Folded Spill
	v_cmpx_ne_u32_e32 0x7f, v1
	s_cbranch_execz .LBB372_1160
; %bb.1157:                             ;   in Loop: Header=BB372_10 Depth=1
	v_mov_b32_e32 v0, 7
	s_mov_b32 s20, exec_lo
	v_and_b32_sdwa v4, v27, v0 dst_sel:DWORD dst_unused:UNUSED_PAD src0_sel:BYTE_3 src1_sel:DWORD
	v_mov_b32_e32 v29, v5
	v_lshrrev_b32_e32 v0, 3, v1
	v_mov_b32_e32 v28, v4
	v_cmpx_gt_u32_e32 8, v1
; %bb.1158:                             ;   in Loop: Header=BB372_10 Depth=1
	v_ffbh_u32_e32 v0, v4
	v_min_u32_e32 v0, 32, v0
	v_subrev_nc_u32_e32 v1, 28, v0
	v_sub_nc_u32_e32 v0, 29, v0
	v_lshlrev_b64 v[1:2], v1, v[4:5]
	v_and_b32_e32 v28, 7, v1
; %bb.1159:                             ;   in Loop: Header=BB372_10 Depth=1
	s_or_b32 exec_lo, exec_lo, s20
	v_mov_b32_e32 v1, 24
	v_lshlrev_b32_e32 v2, 20, v28
	v_lshl_add_u32 v0, v0, 23, 0x3c000000
	v_lshlrev_b32_sdwa v1, v1, v27 dst_sel:DWORD dst_unused:UNUSED_PAD src0_sel:DWORD src1_sel:BYTE_3
	v_and_b32_e32 v1, 0x80000000, v1
	v_or3_b32 v0, v2, v1, v0
	buffer_store_dword v0, off, s[0:3], s32 offset:736 ; 4-byte Folded Spill
.LBB372_1160:                           ;   in Loop: Header=BB372_10 Depth=1
	s_or_b32 exec_lo, exec_lo, s19
.LBB372_1161:                           ;   in Loop: Header=BB372_10 Depth=1
	s_or_b32 exec_lo, exec_lo, s17
.LBB372_1162:                           ;   in Loop: Header=BB372_10 Depth=1
	s_or_b32 exec_lo, exec_lo, s6
	flat_load_dwordx2 v[26:27], v[24:25] offset:512
	s_waitcnt vmcnt(0) lgkmcnt(0)
	v_cmp_ne_u16_sdwa s5, v26, v5 src0_sel:BYTE_0 src1_sel:DWORD
	s_and_saveexec_b32 s6, s5
	s_cbranch_execz .LBB372_1170
; %bb.1163:                             ;   in Loop: Header=BB372_10 Depth=1
	v_cmp_ne_u16_sdwa s5, v26, v71 src0_sel:BYTE_0 src1_sel:DWORD
	v_bfrev_b32_e32 v105, 1
	s_and_saveexec_b32 s17, s5
	s_cbranch_execz .LBB372_1169
; %bb.1164:                             ;   in Loop: Header=BB372_10 Depth=1
	v_and_b32_e32 v1, 0x7f, v26
	v_mov_b32_e32 v105, 0x7f800001
	s_mov_b32 s19, exec_lo
	v_cmpx_ne_u32_e32 0x7f, v1
	s_cbranch_execz .LBB372_1168
; %bb.1165:                             ;   in Loop: Header=BB372_10 Depth=1
	v_mov_b32_e32 v29, v27
	v_lshrrev_b32_e32 v0, 3, v1
	v_mov_b32_e32 v28, v26
	s_mov_b32 s20, exec_lo
	v_cmpx_gt_u32_e32 8, v1
; %bb.1166:                             ;   in Loop: Header=BB372_10 Depth=1
	v_and_b32_e32 v0, 7, v26
	v_ffbh_u32_e32 v0, v0
	v_min_u32_e32 v0, 32, v0
	v_subrev_nc_u32_e32 v1, 28, v0
	v_sub_nc_u32_e32 v0, 29, v0
	v_lshlrev_b64 v[28:29], v1, v[26:27]
; %bb.1167:                             ;   in Loop: Header=BB372_10 Depth=1
	s_or_b32 exec_lo, exec_lo, s20
	v_lshlrev_b32_e32 v1, 20, v28
	v_lshlrev_b32_e32 v2, 24, v26
	v_lshl_add_u32 v0, v0, 23, 0x3c000000
	v_and_b32_e32 v1, 0x700000, v1
	v_and_b32_e32 v2, 0x80000000, v2
	v_or3_b32 v105, v1, v2, v0
.LBB372_1168:                           ;   in Loop: Header=BB372_10 Depth=1
	s_or_b32 exec_lo, exec_lo, s19
.LBB372_1169:                           ;   in Loop: Header=BB372_10 Depth=1
	s_or_b32 exec_lo, exec_lo, s17
.LBB372_1170:                           ;   in Loop: Header=BB372_10 Depth=1
	s_or_b32 exec_lo, exec_lo, s6
	v_cmp_ne_u16_sdwa s5, v26, v5 src0_sel:BYTE_1 src1_sel:DWORD
	v_mov_b32_e32 v18, 0
	v_mov_b32_e32 v107, 0
	s_and_saveexec_b32 s6, s5
	s_cbranch_execz .LBB372_1178
; %bb.1171:                             ;   in Loop: Header=BB372_10 Depth=1
	v_cmp_ne_u16_sdwa s5, v26, v71 src0_sel:BYTE_1 src1_sel:DWORD
	v_bfrev_b32_e32 v107, 1
	s_and_saveexec_b32 s17, s5
	s_cbranch_execz .LBB372_1177
; %bb.1172:                             ;   in Loop: Header=BB372_10 Depth=1
	v_mov_b32_e32 v0, 0xffff
	v_mov_b32_e32 v107, 0x7f800001
	s_mov_b32 s19, exec_lo
	v_and_b32_sdwa v0, v0, v26 dst_sel:DWORD dst_unused:UNUSED_PAD src0_sel:DWORD src1_sel:BYTE_1
	v_and_b32_e32 v1, 0x7f, v0
	v_cmpx_ne_u32_e32 0x7f, v1
	s_cbranch_execz .LBB372_1176
; %bb.1173:                             ;   in Loop: Header=BB372_10 Depth=1
	v_and_b32_e32 v4, 7, v0
	v_mov_b32_e32 v29, v5
	v_lshrrev_b32_e32 v0, 3, v1
	s_mov_b32 s20, exec_lo
	v_mov_b32_e32 v28, v4
	v_cmpx_gt_u32_e32 8, v1
; %bb.1174:                             ;   in Loop: Header=BB372_10 Depth=1
	v_ffbh_u32_e32 v0, v4
	v_min_u32_e32 v0, 32, v0
	v_subrev_nc_u32_e32 v1, 28, v0
	v_sub_nc_u32_e32 v0, 29, v0
	v_lshlrev_b64 v[1:2], v1, v[4:5]
	v_and_b32_e32 v28, 7, v1
; %bb.1175:                             ;   in Loop: Header=BB372_10 Depth=1
	s_or_b32 exec_lo, exec_lo, s20
	v_lshlrev_b32_e32 v1, 16, v26
	v_lshlrev_b32_e32 v2, 20, v28
	v_lshl_add_u32 v0, v0, 23, 0x3c000000
	v_and_b32_e32 v1, 0x80000000, v1
	v_or3_b32 v107, v2, v1, v0
.LBB372_1176:                           ;   in Loop: Header=BB372_10 Depth=1
	s_or_b32 exec_lo, exec_lo, s19
.LBB372_1177:                           ;   in Loop: Header=BB372_10 Depth=1
	s_or_b32 exec_lo, exec_lo, s17
.LBB372_1178:                           ;   in Loop: Header=BB372_10 Depth=1
	s_or_b32 exec_lo, exec_lo, s6
	v_mov_b32_e32 v0, 0xff
	s_mov_b32 s6, exec_lo
	v_and_b32_sdwa v0, v26, v0 dst_sel:DWORD dst_unused:UNUSED_PAD src0_sel:WORD_1 src1_sel:DWORD
	v_cmpx_ne_u16_e32 0, v0
	s_cbranch_execz .LBB372_1186
; %bb.1179:                             ;   in Loop: Header=BB372_10 Depth=1
	v_bfrev_b32_e32 v18, 1
	s_mov_b32 s17, exec_lo
	v_cmpx_ne_u16_e32 0x80, v0
	s_cbranch_execz .LBB372_1185
; %bb.1180:                             ;   in Loop: Header=BB372_10 Depth=1
	v_bfe_u32 v1, v26, 16, 7
	v_mov_b32_e32 v18, 0x7f800001
	s_mov_b32 s19, exec_lo
	v_cmpx_ne_u32_e32 0x7f, v1
	s_cbranch_execz .LBB372_1184
; %bb.1181:                             ;   in Loop: Header=BB372_10 Depth=1
	v_mov_b32_e32 v0, 7
	s_mov_b32 s20, exec_lo
	v_and_b32_sdwa v4, v26, v0 dst_sel:DWORD dst_unused:UNUSED_PAD src0_sel:WORD_1 src1_sel:DWORD
	v_mov_b32_e32 v29, v5
	v_lshrrev_b32_e32 v0, 3, v1
	v_mov_b32_e32 v28, v4
	v_cmpx_gt_u32_e32 8, v1
; %bb.1182:                             ;   in Loop: Header=BB372_10 Depth=1
	v_ffbh_u32_e32 v0, v4
	v_min_u32_e32 v0, 32, v0
	v_subrev_nc_u32_e32 v1, 28, v0
	v_sub_nc_u32_e32 v0, 29, v0
	v_lshlrev_b64 v[1:2], v1, v[4:5]
	v_and_b32_e32 v28, 7, v1
; %bb.1183:                             ;   in Loop: Header=BB372_10 Depth=1
	s_or_b32 exec_lo, exec_lo, s20
	v_mov_b32_e32 v1, 24
	v_lshlrev_b32_e32 v2, 20, v28
	v_lshl_add_u32 v0, v0, 23, 0x3c000000
	v_lshlrev_b32_sdwa v1, v1, v26 dst_sel:DWORD dst_unused:UNUSED_PAD src0_sel:DWORD src1_sel:WORD_1
	v_and_b32_e32 v1, 0x80000000, v1
	v_or3_b32 v18, v2, v1, v0
.LBB372_1184:                           ;   in Loop: Header=BB372_10 Depth=1
	s_or_b32 exec_lo, exec_lo, s19
.LBB372_1185:                           ;   in Loop: Header=BB372_10 Depth=1
	s_or_b32 exec_lo, exec_lo, s17
.LBB372_1186:                           ;   in Loop: Header=BB372_10 Depth=1
	s_or_b32 exec_lo, exec_lo, s6
	v_mov_b32_e32 v79, 0
	v_mov_b32_e32 v74, 0
	s_mov_b32 s6, exec_lo
	v_cmpx_lt_u32_e32 0xffffff, v26
	s_cbranch_execz .LBB372_1194
; %bb.1187:                             ;   in Loop: Header=BB372_10 Depth=1
	v_cmp_ne_u32_sdwa s5, v26, v71 src0_sel:BYTE_3 src1_sel:DWORD
	v_bfrev_b32_e32 v74, 1
	s_and_saveexec_b32 s17, s5
	s_cbranch_execz .LBB372_1193
; %bb.1188:                             ;   in Loop: Header=BB372_10 Depth=1
	v_bfe_u32 v1, v26, 24, 7
	v_mov_b32_e32 v74, 0x7f800001
	s_mov_b32 s19, exec_lo
	v_cmpx_ne_u32_e32 0x7f, v1
	s_cbranch_execz .LBB372_1192
; %bb.1189:                             ;   in Loop: Header=BB372_10 Depth=1
	v_mov_b32_e32 v0, 7
	s_mov_b32 s20, exec_lo
	v_and_b32_sdwa v4, v26, v0 dst_sel:DWORD dst_unused:UNUSED_PAD src0_sel:BYTE_3 src1_sel:DWORD
	v_mov_b32_e32 v29, v5
	v_lshrrev_b32_e32 v0, 3, v1
	v_mov_b32_e32 v28, v4
	v_cmpx_gt_u32_e32 8, v1
; %bb.1190:                             ;   in Loop: Header=BB372_10 Depth=1
	v_ffbh_u32_e32 v0, v4
	v_min_u32_e32 v0, 32, v0
	v_subrev_nc_u32_e32 v1, 28, v0
	v_sub_nc_u32_e32 v0, 29, v0
	v_lshlrev_b64 v[1:2], v1, v[4:5]
	v_and_b32_e32 v28, 7, v1
; %bb.1191:                             ;   in Loop: Header=BB372_10 Depth=1
	s_or_b32 exec_lo, exec_lo, s20
	v_mov_b32_e32 v1, 24
	v_lshlrev_b32_e32 v2, 20, v28
	v_lshl_add_u32 v0, v0, 23, 0x3c000000
	v_lshlrev_b32_sdwa v1, v1, v26 dst_sel:DWORD dst_unused:UNUSED_PAD src0_sel:DWORD src1_sel:BYTE_3
	v_and_b32_e32 v1, 0x80000000, v1
	v_or3_b32 v74, v2, v1, v0
.LBB372_1192:                           ;   in Loop: Header=BB372_10 Depth=1
	s_or_b32 exec_lo, exec_lo, s19
.LBB372_1193:                           ;   in Loop: Header=BB372_10 Depth=1
	s_or_b32 exec_lo, exec_lo, s17
.LBB372_1194:                           ;   in Loop: Header=BB372_10 Depth=1
	s_or_b32 exec_lo, exec_lo, s6
	v_mov_b32_e32 v4, v27
	v_cmp_ne_u16_sdwa s5, v27, v5 src0_sel:BYTE_0 src1_sel:DWORD
	s_and_saveexec_b32 s6, s5
	s_cbranch_execz .LBB372_1202
; %bb.1195:                             ;   in Loop: Header=BB372_10 Depth=1
	v_cmp_ne_u16_sdwa s5, v27, v71 src0_sel:BYTE_0 src1_sel:DWORD
	v_bfrev_b32_e32 v79, 1
	s_and_saveexec_b32 s17, s5
	s_cbranch_execz .LBB372_1201
; %bb.1196:                             ;   in Loop: Header=BB372_10 Depth=1
	v_and_b32_e32 v1, 0x7f, v27
	v_mov_b32_e32 v79, 0x7f800001
	s_mov_b32 s19, exec_lo
	v_cmpx_ne_u32_e32 0x7f, v1
	s_cbranch_execz .LBB372_1200
; %bb.1197:                             ;   in Loop: Header=BB372_10 Depth=1
	v_mov_b32_e32 v29, v5
	v_mov_b32_e32 v28, v4
	v_lshrrev_b32_e32 v0, 3, v1
	s_mov_b32 s20, exec_lo
	v_cmpx_gt_u32_e32 8, v1
; %bb.1198:                             ;   in Loop: Header=BB372_10 Depth=1
	v_and_b32_e32 v0, 7, v27
	v_ffbh_u32_e32 v0, v0
	v_min_u32_e32 v0, 32, v0
	v_subrev_nc_u32_e32 v1, 28, v0
	v_sub_nc_u32_e32 v0, 29, v0
	v_lshlrev_b64 v[28:29], v1, v[4:5]
; %bb.1199:                             ;   in Loop: Header=BB372_10 Depth=1
	s_or_b32 exec_lo, exec_lo, s20
	v_lshlrev_b32_e32 v1, 20, v28
	v_lshlrev_b32_e32 v2, 24, v4
	v_lshl_add_u32 v0, v0, 23, 0x3c000000
	v_and_b32_e32 v1, 0x700000, v1
	v_and_b32_e32 v2, 0x80000000, v2
	v_or3_b32 v79, v1, v2, v0
.LBB372_1200:                           ;   in Loop: Header=BB372_10 Depth=1
	s_or_b32 exec_lo, exec_lo, s19
.LBB372_1201:                           ;   in Loop: Header=BB372_10 Depth=1
	s_or_b32 exec_lo, exec_lo, s17
.LBB372_1202:                           ;   in Loop: Header=BB372_10 Depth=1
	s_or_b32 exec_lo, exec_lo, s6
	v_cmp_ne_u16_sdwa s5, v4, v5 src0_sel:BYTE_1 src1_sel:DWORD
	v_mov_b32_e32 v108, 0
	v_mov_b32_e32 v1, 0
	s_and_saveexec_b32 s6, s5
	s_cbranch_execz .LBB372_1210
; %bb.1203:                             ;   in Loop: Header=BB372_10 Depth=1
	v_cmp_ne_u16_sdwa s5, v4, v71 src0_sel:BYTE_1 src1_sel:DWORD
	v_bfrev_b32_e32 v1, 1
	s_and_saveexec_b32 s17, s5
	s_cbranch_execz .LBB372_1209
; %bb.1204:                             ;   in Loop: Header=BB372_10 Depth=1
	v_mov_b32_e32 v0, 0xffff
	v_mov_b32_e32 v1, 0x7f800001
	s_mov_b32 s19, exec_lo
	v_and_b32_sdwa v0, v0, v4 dst_sel:DWORD dst_unused:UNUSED_PAD src0_sel:DWORD src1_sel:BYTE_1
	v_and_b32_e32 v2, 0x7f, v0
	v_cmpx_ne_u32_e32 0x7f, v2
	s_cbranch_execz .LBB372_1208
; %bb.1205:                             ;   in Loop: Header=BB372_10 Depth=1
	v_and_b32_e32 v28, 7, v0
	v_mov_b32_e32 v29, v5
	v_lshrrev_b32_e32 v0, 3, v2
	s_mov_b32 s20, exec_lo
	v_cmpx_gt_u32_e32 8, v2
; %bb.1206:                             ;   in Loop: Header=BB372_10 Depth=1
	v_ffbh_u32_e32 v0, v28
	v_min_u32_e32 v0, 32, v0
	v_subrev_nc_u32_e32 v1, 28, v0
	v_sub_nc_u32_e32 v0, 29, v0
	v_lshlrev_b64 v[1:2], v1, v[28:29]
	v_and_b32_e32 v28, 7, v1
; %bb.1207:                             ;   in Loop: Header=BB372_10 Depth=1
	s_or_b32 exec_lo, exec_lo, s20
	v_lshlrev_b32_e32 v1, 16, v4
	v_lshlrev_b32_e32 v2, 20, v28
	v_lshl_add_u32 v0, v0, 23, 0x3c000000
	v_and_b32_e32 v1, 0x80000000, v1
	v_or3_b32 v1, v2, v1, v0
.LBB372_1208:                           ;   in Loop: Header=BB372_10 Depth=1
	s_or_b32 exec_lo, exec_lo, s19
.LBB372_1209:                           ;   in Loop: Header=BB372_10 Depth=1
	s_or_b32 exec_lo, exec_lo, s17
.LBB372_1210:                           ;   in Loop: Header=BB372_10 Depth=1
	s_or_b32 exec_lo, exec_lo, s6
	v_mov_b32_e32 v0, 0xff
	s_mov_b32 s6, exec_lo
	v_and_b32_sdwa v0, v27, v0 dst_sel:DWORD dst_unused:UNUSED_PAD src0_sel:WORD_1 src1_sel:DWORD
	v_cmpx_ne_u16_e32 0, v0
	s_cbranch_execz .LBB372_1218
; %bb.1211:                             ;   in Loop: Header=BB372_10 Depth=1
	v_bfrev_b32_e32 v108, 1
	s_mov_b32 s17, exec_lo
	v_cmpx_ne_u16_e32 0x80, v0
	s_cbranch_execz .LBB372_1217
; %bb.1212:                             ;   in Loop: Header=BB372_10 Depth=1
	v_bfe_u32 v2, v27, 16, 7
	v_mov_b32_e32 v108, 0x7f800001
	s_mov_b32 s19, exec_lo
	v_cmpx_ne_u32_e32 0x7f, v2
	s_cbranch_execz .LBB372_1216
; %bb.1213:                             ;   in Loop: Header=BB372_10 Depth=1
	v_mov_b32_e32 v0, 7
	s_mov_b32 s20, exec_lo
	v_and_b32_sdwa v4, v27, v0 dst_sel:DWORD dst_unused:UNUSED_PAD src0_sel:WORD_1 src1_sel:DWORD
	v_mov_b32_e32 v29, v5
	v_lshrrev_b32_e32 v0, 3, v2
	v_mov_b32_e32 v28, v4
	v_cmpx_gt_u32_e32 8, v2
; %bb.1214:                             ;   in Loop: Header=BB372_10 Depth=1
	v_ffbh_u32_e32 v0, v4
	v_min_u32_e32 v0, 32, v0
	v_subrev_nc_u32_e32 v2, 28, v0
	v_sub_nc_u32_e32 v0, 29, v0
	v_lshlrev_b64 v[2:3], v2, v[4:5]
	v_and_b32_e32 v28, 7, v2
; %bb.1215:                             ;   in Loop: Header=BB372_10 Depth=1
	s_or_b32 exec_lo, exec_lo, s20
	v_mov_b32_e32 v2, 24
	v_lshlrev_b32_e32 v3, 20, v28
	v_lshl_add_u32 v0, v0, 23, 0x3c000000
	v_lshlrev_b32_sdwa v2, v2, v27 dst_sel:DWORD dst_unused:UNUSED_PAD src0_sel:DWORD src1_sel:WORD_1
	v_and_b32_e32 v2, 0x80000000, v2
	v_or3_b32 v108, v3, v2, v0
.LBB372_1216:                           ;   in Loop: Header=BB372_10 Depth=1
	s_or_b32 exec_lo, exec_lo, s19
.LBB372_1217:                           ;   in Loop: Header=BB372_10 Depth=1
	s_or_b32 exec_lo, exec_lo, s17
.LBB372_1218:                           ;   in Loop: Header=BB372_10 Depth=1
	s_or_b32 exec_lo, exec_lo, s6
	v_mov_b32_e32 v7, 0
	v_mov_b32_e32 v110, 0
	s_mov_b32 s6, exec_lo
	v_cmpx_lt_u64_e64 s[8:9], v[26:27]
	s_cbranch_execz .LBB372_1226
; %bb.1219:                             ;   in Loop: Header=BB372_10 Depth=1
	v_cmp_ne_u32_sdwa s5, v27, v71 src0_sel:BYTE_3 src1_sel:DWORD
	v_bfrev_b32_e32 v110, 1
	s_and_saveexec_b32 s17, s5
	s_cbranch_execz .LBB372_1225
; %bb.1220:                             ;   in Loop: Header=BB372_10 Depth=1
	v_bfe_u32 v2, v27, 24, 7
	v_mov_b32_e32 v110, 0x7f800001
	s_mov_b32 s19, exec_lo
	v_cmpx_ne_u32_e32 0x7f, v2
	s_cbranch_execz .LBB372_1224
; %bb.1221:                             ;   in Loop: Header=BB372_10 Depth=1
	v_mov_b32_e32 v0, 7
	s_mov_b32 s20, exec_lo
	v_and_b32_sdwa v4, v27, v0 dst_sel:DWORD dst_unused:UNUSED_PAD src0_sel:BYTE_3 src1_sel:DWORD
	v_mov_b32_e32 v29, v5
	v_lshrrev_b32_e32 v0, 3, v2
	v_mov_b32_e32 v28, v4
	v_cmpx_gt_u32_e32 8, v2
; %bb.1222:                             ;   in Loop: Header=BB372_10 Depth=1
	v_ffbh_u32_e32 v0, v4
	v_min_u32_e32 v0, 32, v0
	v_subrev_nc_u32_e32 v2, 28, v0
	v_sub_nc_u32_e32 v0, 29, v0
	v_lshlrev_b64 v[2:3], v2, v[4:5]
	v_and_b32_e32 v28, 7, v2
; %bb.1223:                             ;   in Loop: Header=BB372_10 Depth=1
	s_or_b32 exec_lo, exec_lo, s20
	v_mov_b32_e32 v2, 24
	v_lshlrev_b32_e32 v3, 20, v28
	v_lshl_add_u32 v0, v0, 23, 0x3c000000
	v_lshlrev_b32_sdwa v2, v2, v27 dst_sel:DWORD dst_unused:UNUSED_PAD src0_sel:DWORD src1_sel:BYTE_3
	v_and_b32_e32 v2, 0x80000000, v2
	v_or3_b32 v110, v3, v2, v0
.LBB372_1224:                           ;   in Loop: Header=BB372_10 Depth=1
	s_or_b32 exec_lo, exec_lo, s19
.LBB372_1225:                           ;   in Loop: Header=BB372_10 Depth=1
	s_or_b32 exec_lo, exec_lo, s17
.LBB372_1226:                           ;   in Loop: Header=BB372_10 Depth=1
	s_or_b32 exec_lo, exec_lo, s6
	flat_load_dwordx2 v[26:27], v[24:25] offset:520
	s_waitcnt vmcnt(0) lgkmcnt(0)
	v_cmp_ne_u16_sdwa s5, v26, v5 src0_sel:BYTE_0 src1_sel:DWORD
	s_and_saveexec_b32 s6, s5
	s_cbranch_execz .LBB372_1234
; %bb.1227:                             ;   in Loop: Header=BB372_10 Depth=1
	v_cmp_ne_u16_sdwa s5, v26, v71 src0_sel:BYTE_0 src1_sel:DWORD
	v_bfrev_b32_e32 v7, 1
	s_and_saveexec_b32 s17, s5
	s_cbranch_execz .LBB372_1233
; %bb.1228:                             ;   in Loop: Header=BB372_10 Depth=1
	v_and_b32_e32 v2, 0x7f, v26
	v_mov_b32_e32 v7, 0x7f800001
	s_mov_b32 s19, exec_lo
	v_cmpx_ne_u32_e32 0x7f, v2
	s_cbranch_execz .LBB372_1232
; %bb.1229:                             ;   in Loop: Header=BB372_10 Depth=1
	v_mov_b32_e32 v29, v27
	v_lshrrev_b32_e32 v0, 3, v2
	v_mov_b32_e32 v28, v26
	s_mov_b32 s20, exec_lo
	v_cmpx_gt_u32_e32 8, v2
; %bb.1230:                             ;   in Loop: Header=BB372_10 Depth=1
	v_and_b32_e32 v0, 7, v26
	v_ffbh_u32_e32 v0, v0
	v_min_u32_e32 v0, 32, v0
	v_subrev_nc_u32_e32 v2, 28, v0
	v_sub_nc_u32_e32 v0, 29, v0
	v_lshlrev_b64 v[28:29], v2, v[26:27]
; %bb.1231:                             ;   in Loop: Header=BB372_10 Depth=1
	s_or_b32 exec_lo, exec_lo, s20
	v_lshlrev_b32_e32 v2, 20, v28
	v_lshlrev_b32_e32 v3, 24, v26
	v_lshl_add_u32 v0, v0, 23, 0x3c000000
	v_and_b32_e32 v2, 0x700000, v2
	v_and_b32_e32 v3, 0x80000000, v3
	v_or3_b32 v7, v2, v3, v0
.LBB372_1232:                           ;   in Loop: Header=BB372_10 Depth=1
	s_or_b32 exec_lo, exec_lo, s19
.LBB372_1233:                           ;   in Loop: Header=BB372_10 Depth=1
	s_or_b32 exec_lo, exec_lo, s17
.LBB372_1234:                           ;   in Loop: Header=BB372_10 Depth=1
	s_or_b32 exec_lo, exec_lo, s6
	v_cmp_ne_u16_sdwa s5, v26, v5 src0_sel:BYTE_1 src1_sel:DWORD
	v_mov_b32_e32 v109, 0
	v_mov_b32_e32 v8, 0
	s_and_saveexec_b32 s6, s5
	s_cbranch_execz .LBB372_1242
; %bb.1235:                             ;   in Loop: Header=BB372_10 Depth=1
	v_cmp_ne_u16_sdwa s5, v26, v71 src0_sel:BYTE_1 src1_sel:DWORD
	v_bfrev_b32_e32 v8, 1
	s_and_saveexec_b32 s17, s5
	s_cbranch_execz .LBB372_1241
; %bb.1236:                             ;   in Loop: Header=BB372_10 Depth=1
	v_mov_b32_e32 v0, 0xffff
	v_mov_b32_e32 v8, 0x7f800001
	s_mov_b32 s19, exec_lo
	v_and_b32_sdwa v0, v0, v26 dst_sel:DWORD dst_unused:UNUSED_PAD src0_sel:DWORD src1_sel:BYTE_1
	v_and_b32_e32 v2, 0x7f, v0
	v_cmpx_ne_u32_e32 0x7f, v2
	s_cbranch_execz .LBB372_1240
; %bb.1237:                             ;   in Loop: Header=BB372_10 Depth=1
	v_and_b32_e32 v4, 7, v0
	v_mov_b32_e32 v29, v5
	v_lshrrev_b32_e32 v0, 3, v2
	s_mov_b32 s20, exec_lo
	v_mov_b32_e32 v28, v4
	v_cmpx_gt_u32_e32 8, v2
; %bb.1238:                             ;   in Loop: Header=BB372_10 Depth=1
	v_ffbh_u32_e32 v0, v4
	v_min_u32_e32 v0, 32, v0
	v_subrev_nc_u32_e32 v2, 28, v0
	v_sub_nc_u32_e32 v0, 29, v0
	v_lshlrev_b64 v[2:3], v2, v[4:5]
	v_and_b32_e32 v28, 7, v2
; %bb.1239:                             ;   in Loop: Header=BB372_10 Depth=1
	s_or_b32 exec_lo, exec_lo, s20
	v_lshlrev_b32_e32 v2, 16, v26
	v_lshlrev_b32_e32 v3, 20, v28
	v_lshl_add_u32 v0, v0, 23, 0x3c000000
	v_and_b32_e32 v2, 0x80000000, v2
	v_or3_b32 v8, v3, v2, v0
.LBB372_1240:                           ;   in Loop: Header=BB372_10 Depth=1
	s_or_b32 exec_lo, exec_lo, s19
.LBB372_1241:                           ;   in Loop: Header=BB372_10 Depth=1
	s_or_b32 exec_lo, exec_lo, s17
.LBB372_1242:                           ;   in Loop: Header=BB372_10 Depth=1
	s_or_b32 exec_lo, exec_lo, s6
	v_mov_b32_e32 v0, 0xff
	s_mov_b32 s6, exec_lo
	v_and_b32_sdwa v0, v26, v0 dst_sel:DWORD dst_unused:UNUSED_PAD src0_sel:WORD_1 src1_sel:DWORD
	v_cmpx_ne_u16_e32 0, v0
	s_cbranch_execz .LBB372_1250
; %bb.1243:                             ;   in Loop: Header=BB372_10 Depth=1
	v_bfrev_b32_e32 v109, 1
	s_mov_b32 s17, exec_lo
	v_cmpx_ne_u16_e32 0x80, v0
	s_cbranch_execz .LBB372_1249
; %bb.1244:                             ;   in Loop: Header=BB372_10 Depth=1
	v_bfe_u32 v2, v26, 16, 7
	v_mov_b32_e32 v109, 0x7f800001
	s_mov_b32 s19, exec_lo
	v_cmpx_ne_u32_e32 0x7f, v2
	s_cbranch_execz .LBB372_1248
; %bb.1245:                             ;   in Loop: Header=BB372_10 Depth=1
	v_mov_b32_e32 v0, 7
	s_mov_b32 s20, exec_lo
	v_and_b32_sdwa v4, v26, v0 dst_sel:DWORD dst_unused:UNUSED_PAD src0_sel:WORD_1 src1_sel:DWORD
	v_mov_b32_e32 v29, v5
	v_lshrrev_b32_e32 v0, 3, v2
	v_mov_b32_e32 v28, v4
	v_cmpx_gt_u32_e32 8, v2
; %bb.1246:                             ;   in Loop: Header=BB372_10 Depth=1
	v_ffbh_u32_e32 v0, v4
	v_min_u32_e32 v0, 32, v0
	v_subrev_nc_u32_e32 v2, 28, v0
	v_sub_nc_u32_e32 v0, 29, v0
	v_lshlrev_b64 v[2:3], v2, v[4:5]
	v_and_b32_e32 v28, 7, v2
; %bb.1247:                             ;   in Loop: Header=BB372_10 Depth=1
	s_or_b32 exec_lo, exec_lo, s20
	v_mov_b32_e32 v2, 24
	v_lshlrev_b32_e32 v3, 20, v28
	v_lshl_add_u32 v0, v0, 23, 0x3c000000
	v_lshlrev_b32_sdwa v2, v2, v26 dst_sel:DWORD dst_unused:UNUSED_PAD src0_sel:DWORD src1_sel:WORD_1
	v_and_b32_e32 v2, 0x80000000, v2
	v_or3_b32 v109, v3, v2, v0
.LBB372_1248:                           ;   in Loop: Header=BB372_10 Depth=1
	s_or_b32 exec_lo, exec_lo, s19
.LBB372_1249:                           ;   in Loop: Header=BB372_10 Depth=1
	s_or_b32 exec_lo, exec_lo, s17
.LBB372_1250:                           ;   in Loop: Header=BB372_10 Depth=1
	s_or_b32 exec_lo, exec_lo, s6
	v_mov_b32_e32 v2, 0
	v_mov_b32_e32 v111, 0
	s_mov_b32 s6, exec_lo
	v_cmpx_lt_u32_e32 0xffffff, v26
	s_cbranch_execz .LBB372_1258
; %bb.1251:                             ;   in Loop: Header=BB372_10 Depth=1
	v_cmp_ne_u32_sdwa s5, v26, v71 src0_sel:BYTE_3 src1_sel:DWORD
	v_bfrev_b32_e32 v111, 1
	s_and_saveexec_b32 s17, s5
	s_cbranch_execz .LBB372_1257
; %bb.1252:                             ;   in Loop: Header=BB372_10 Depth=1
	v_bfe_u32 v3, v26, 24, 7
	v_mov_b32_e32 v111, 0x7f800001
	s_mov_b32 s19, exec_lo
	v_cmpx_ne_u32_e32 0x7f, v3
	s_cbranch_execz .LBB372_1256
; %bb.1253:                             ;   in Loop: Header=BB372_10 Depth=1
	v_mov_b32_e32 v0, 7
	s_mov_b32 s20, exec_lo
	v_and_b32_sdwa v4, v26, v0 dst_sel:DWORD dst_unused:UNUSED_PAD src0_sel:BYTE_3 src1_sel:DWORD
	v_mov_b32_e32 v29, v5
	v_lshrrev_b32_e32 v0, 3, v3
	v_mov_b32_e32 v28, v4
	v_cmpx_gt_u32_e32 8, v3
; %bb.1254:                             ;   in Loop: Header=BB372_10 Depth=1
	v_ffbh_u32_e32 v0, v4
	v_min_u32_e32 v0, 32, v0
	v_subrev_nc_u32_e32 v3, 28, v0
	v_sub_nc_u32_e32 v0, 29, v0
	v_lshlrev_b64 v[3:4], v3, v[4:5]
	v_and_b32_e32 v28, 7, v3
; %bb.1255:                             ;   in Loop: Header=BB372_10 Depth=1
	s_or_b32 exec_lo, exec_lo, s20
	v_mov_b32_e32 v3, 24
	v_lshlrev_b32_e32 v4, 20, v28
	v_lshl_add_u32 v0, v0, 23, 0x3c000000
	v_lshlrev_b32_sdwa v3, v3, v26 dst_sel:DWORD dst_unused:UNUSED_PAD src0_sel:DWORD src1_sel:BYTE_3
	v_and_b32_e32 v3, 0x80000000, v3
	v_or3_b32 v111, v4, v3, v0
.LBB372_1256:                           ;   in Loop: Header=BB372_10 Depth=1
	s_or_b32 exec_lo, exec_lo, s19
.LBB372_1257:                           ;   in Loop: Header=BB372_10 Depth=1
	s_or_b32 exec_lo, exec_lo, s17
.LBB372_1258:                           ;   in Loop: Header=BB372_10 Depth=1
	s_or_b32 exec_lo, exec_lo, s6
	v_mov_b32_e32 v4, v27
	v_cmp_ne_u16_sdwa s5, v27, v5 src0_sel:BYTE_0 src1_sel:DWORD
	s_and_saveexec_b32 s6, s5
	s_cbranch_execz .LBB372_1266
; %bb.1259:                             ;   in Loop: Header=BB372_10 Depth=1
	v_cmp_ne_u16_sdwa s5, v27, v71 src0_sel:BYTE_0 src1_sel:DWORD
	v_bfrev_b32_e32 v2, 1
	s_and_saveexec_b32 s17, s5
	s_cbranch_execz .LBB372_1265
; %bb.1260:                             ;   in Loop: Header=BB372_10 Depth=1
	v_and_b32_e32 v3, 0x7f, v27
	v_mov_b32_e32 v2, 0x7f800001
	s_mov_b32 s19, exec_lo
	v_cmpx_ne_u32_e32 0x7f, v3
	s_cbranch_execz .LBB372_1264
; %bb.1261:                             ;   in Loop: Header=BB372_10 Depth=1
	v_mov_b32_e32 v29, v5
	v_mov_b32_e32 v28, v4
	v_lshrrev_b32_e32 v0, 3, v3
	s_mov_b32 s20, exec_lo
	v_cmpx_gt_u32_e32 8, v3
; %bb.1262:                             ;   in Loop: Header=BB372_10 Depth=1
	v_and_b32_e32 v0, 7, v27
	v_ffbh_u32_e32 v0, v0
	v_min_u32_e32 v0, 32, v0
	v_subrev_nc_u32_e32 v2, 28, v0
	v_sub_nc_u32_e32 v0, 29, v0
	v_lshlrev_b64 v[28:29], v2, v[4:5]
; %bb.1263:                             ;   in Loop: Header=BB372_10 Depth=1
	s_or_b32 exec_lo, exec_lo, s20
	v_lshlrev_b32_e32 v2, 20, v28
	v_lshlrev_b32_e32 v3, 24, v4
	v_lshl_add_u32 v0, v0, 23, 0x3c000000
	v_and_b32_e32 v2, 0x700000, v2
	v_and_b32_e32 v3, 0x80000000, v3
	v_or3_b32 v2, v2, v3, v0
.LBB372_1264:                           ;   in Loop: Header=BB372_10 Depth=1
	s_or_b32 exec_lo, exec_lo, s19
.LBB372_1265:                           ;   in Loop: Header=BB372_10 Depth=1
	s_or_b32 exec_lo, exec_lo, s17
.LBB372_1266:                           ;   in Loop: Header=BB372_10 Depth=1
	s_or_b32 exec_lo, exec_lo, s6
	v_cmp_ne_u16_sdwa s5, v4, v5 src0_sel:BYTE_1 src1_sel:DWORD
	v_mov_b32_e32 v67, 0
	v_mov_b32_e32 v89, 0
	s_and_saveexec_b32 s6, s5
	s_cbranch_execz .LBB372_1274
; %bb.1267:                             ;   in Loop: Header=BB372_10 Depth=1
	v_cmp_ne_u16_sdwa s5, v4, v71 src0_sel:BYTE_1 src1_sel:DWORD
	v_bfrev_b32_e32 v89, 1
	s_and_saveexec_b32 s17, s5
	s_cbranch_execz .LBB372_1273
; %bb.1268:                             ;   in Loop: Header=BB372_10 Depth=1
	v_mov_b32_e32 v0, 0xffff
	v_mov_b32_e32 v89, 0x7f800001
	s_mov_b32 s19, exec_lo
	v_and_b32_sdwa v0, v0, v4 dst_sel:DWORD dst_unused:UNUSED_PAD src0_sel:DWORD src1_sel:BYTE_1
	v_and_b32_e32 v3, 0x7f, v0
	v_cmpx_ne_u32_e32 0x7f, v3
	s_cbranch_execz .LBB372_1272
; %bb.1269:                             ;   in Loop: Header=BB372_10 Depth=1
	v_and_b32_e32 v28, 7, v0
	v_mov_b32_e32 v29, v5
	v_lshrrev_b32_e32 v0, 3, v3
	s_mov_b32 s20, exec_lo
	v_cmpx_gt_u32_e32 8, v3
; %bb.1270:                             ;   in Loop: Header=BB372_10 Depth=1
	v_ffbh_u32_e32 v0, v28
	v_min_u32_e32 v0, 32, v0
	v_subrev_nc_u32_e32 v3, 28, v0
	v_sub_nc_u32_e32 v0, 29, v0
	v_lshlrev_b64 v[9:10], v3, v[28:29]
	v_and_b32_e32 v28, 7, v9
; %bb.1271:                             ;   in Loop: Header=BB372_10 Depth=1
	s_or_b32 exec_lo, exec_lo, s20
	v_lshlrev_b32_e32 v3, 16, v4
	v_lshlrev_b32_e32 v4, 20, v28
	v_lshl_add_u32 v0, v0, 23, 0x3c000000
	v_and_b32_e32 v3, 0x80000000, v3
	v_or3_b32 v89, v4, v3, v0
.LBB372_1272:                           ;   in Loop: Header=BB372_10 Depth=1
	s_or_b32 exec_lo, exec_lo, s19
.LBB372_1273:                           ;   in Loop: Header=BB372_10 Depth=1
	s_or_b32 exec_lo, exec_lo, s17
.LBB372_1274:                           ;   in Loop: Header=BB372_10 Depth=1
	s_or_b32 exec_lo, exec_lo, s6
	v_mov_b32_e32 v0, 0xff
	s_mov_b32 s6, exec_lo
	v_and_b32_sdwa v0, v27, v0 dst_sel:DWORD dst_unused:UNUSED_PAD src0_sel:WORD_1 src1_sel:DWORD
	v_cmpx_ne_u16_e32 0, v0
	s_cbranch_execz .LBB372_1282
; %bb.1275:                             ;   in Loop: Header=BB372_10 Depth=1
	v_bfrev_b32_e32 v67, 1
	s_mov_b32 s17, exec_lo
	v_cmpx_ne_u16_e32 0x80, v0
	s_cbranch_execz .LBB372_1281
; %bb.1276:                             ;   in Loop: Header=BB372_10 Depth=1
	v_bfe_u32 v3, v27, 16, 7
	v_mov_b32_e32 v67, 0x7f800001
	s_mov_b32 s19, exec_lo
	v_cmpx_ne_u32_e32 0x7f, v3
	s_cbranch_execz .LBB372_1280
; %bb.1277:                             ;   in Loop: Header=BB372_10 Depth=1
	v_mov_b32_e32 v0, 7
	s_mov_b32 s20, exec_lo
	v_and_b32_sdwa v4, v27, v0 dst_sel:DWORD dst_unused:UNUSED_PAD src0_sel:WORD_1 src1_sel:DWORD
	v_mov_b32_e32 v29, v5
	v_lshrrev_b32_e32 v0, 3, v3
	v_mov_b32_e32 v28, v4
	v_cmpx_gt_u32_e32 8, v3
; %bb.1278:                             ;   in Loop: Header=BB372_10 Depth=1
	v_ffbh_u32_e32 v0, v4
	v_min_u32_e32 v0, 32, v0
	v_subrev_nc_u32_e32 v3, 28, v0
	v_sub_nc_u32_e32 v0, 29, v0
	v_lshlrev_b64 v[3:4], v3, v[4:5]
	v_and_b32_e32 v28, 7, v3
; %bb.1279:                             ;   in Loop: Header=BB372_10 Depth=1
	s_or_b32 exec_lo, exec_lo, s20
	v_mov_b32_e32 v3, 24
	v_lshlrev_b32_e32 v4, 20, v28
	v_lshl_add_u32 v0, v0, 23, 0x3c000000
	v_lshlrev_b32_sdwa v3, v3, v27 dst_sel:DWORD dst_unused:UNUSED_PAD src0_sel:DWORD src1_sel:WORD_1
	v_and_b32_e32 v3, 0x80000000, v3
	v_or3_b32 v67, v4, v3, v0
.LBB372_1280:                           ;   in Loop: Header=BB372_10 Depth=1
	s_or_b32 exec_lo, exec_lo, s19
.LBB372_1281:                           ;   in Loop: Header=BB372_10 Depth=1
	s_or_b32 exec_lo, exec_lo, s17
.LBB372_1282:                           ;   in Loop: Header=BB372_10 Depth=1
	s_or_b32 exec_lo, exec_lo, s6
	v_mov_b32_e32 v76, 0
	v_mov_b32_e32 v58, 0
	s_mov_b32 s6, exec_lo
	v_cmpx_lt_u64_e64 s[8:9], v[26:27]
	s_cbranch_execz .LBB372_1290
; %bb.1283:                             ;   in Loop: Header=BB372_10 Depth=1
	v_cmp_ne_u32_sdwa s5, v27, v71 src0_sel:BYTE_3 src1_sel:DWORD
	v_bfrev_b32_e32 v58, 1
	s_and_saveexec_b32 s17, s5
	s_cbranch_execz .LBB372_1289
; %bb.1284:                             ;   in Loop: Header=BB372_10 Depth=1
	v_bfe_u32 v3, v27, 24, 7
	v_mov_b32_e32 v58, 0x7f800001
	s_mov_b32 s19, exec_lo
	v_cmpx_ne_u32_e32 0x7f, v3
	s_cbranch_execz .LBB372_1288
; %bb.1285:                             ;   in Loop: Header=BB372_10 Depth=1
	v_mov_b32_e32 v0, 7
	s_mov_b32 s20, exec_lo
	v_and_b32_sdwa v4, v27, v0 dst_sel:DWORD dst_unused:UNUSED_PAD src0_sel:BYTE_3 src1_sel:DWORD
	v_mov_b32_e32 v29, v5
	v_lshrrev_b32_e32 v0, 3, v3
	v_mov_b32_e32 v28, v4
	v_cmpx_gt_u32_e32 8, v3
; %bb.1286:                             ;   in Loop: Header=BB372_10 Depth=1
	v_ffbh_u32_e32 v0, v4
	v_min_u32_e32 v0, 32, v0
	v_subrev_nc_u32_e32 v3, 28, v0
	v_sub_nc_u32_e32 v0, 29, v0
	v_lshlrev_b64 v[3:4], v3, v[4:5]
	v_and_b32_e32 v28, 7, v3
; %bb.1287:                             ;   in Loop: Header=BB372_10 Depth=1
	s_or_b32 exec_lo, exec_lo, s20
	v_mov_b32_e32 v3, 24
	v_lshlrev_b32_e32 v4, 20, v28
	v_lshl_add_u32 v0, v0, 23, 0x3c000000
	v_lshlrev_b32_sdwa v3, v3, v27 dst_sel:DWORD dst_unused:UNUSED_PAD src0_sel:DWORD src1_sel:BYTE_3
	v_and_b32_e32 v3, 0x80000000, v3
	v_or3_b32 v58, v4, v3, v0
.LBB372_1288:                           ;   in Loop: Header=BB372_10 Depth=1
	s_or_b32 exec_lo, exec_lo, s19
.LBB372_1289:                           ;   in Loop: Header=BB372_10 Depth=1
	s_or_b32 exec_lo, exec_lo, s17
.LBB372_1290:                           ;   in Loop: Header=BB372_10 Depth=1
	s_or_b32 exec_lo, exec_lo, s6
	flat_load_dwordx2 v[26:27], v[24:25] offset:1024
	s_waitcnt vmcnt(0) lgkmcnt(0)
	v_cmp_ne_u16_sdwa s5, v26, v5 src0_sel:BYTE_0 src1_sel:DWORD
	s_and_saveexec_b32 s6, s5
	s_cbranch_execz .LBB372_1298
; %bb.1291:                             ;   in Loop: Header=BB372_10 Depth=1
	v_cmp_ne_u16_sdwa s5, v26, v71 src0_sel:BYTE_0 src1_sel:DWORD
	v_bfrev_b32_e32 v76, 1
	s_and_saveexec_b32 s17, s5
	s_cbranch_execz .LBB372_1297
; %bb.1292:                             ;   in Loop: Header=BB372_10 Depth=1
	v_and_b32_e32 v3, 0x7f, v26
	v_mov_b32_e32 v76, 0x7f800001
	s_mov_b32 s19, exec_lo
	v_cmpx_ne_u32_e32 0x7f, v3
	s_cbranch_execz .LBB372_1296
; %bb.1293:                             ;   in Loop: Header=BB372_10 Depth=1
	v_mov_b32_e32 v29, v27
	v_lshrrev_b32_e32 v0, 3, v3
	v_mov_b32_e32 v28, v26
	s_mov_b32 s20, exec_lo
	v_cmpx_gt_u32_e32 8, v3
; %bb.1294:                             ;   in Loop: Header=BB372_10 Depth=1
	v_and_b32_e32 v0, 7, v26
	v_ffbh_u32_e32 v0, v0
	v_min_u32_e32 v0, 32, v0
	v_subrev_nc_u32_e32 v3, 28, v0
	v_sub_nc_u32_e32 v0, 29, v0
	v_lshlrev_b64 v[28:29], v3, v[26:27]
; %bb.1295:                             ;   in Loop: Header=BB372_10 Depth=1
	s_or_b32 exec_lo, exec_lo, s20
	v_lshlrev_b32_e32 v3, 20, v28
	v_lshlrev_b32_e32 v4, 24, v26
	v_lshl_add_u32 v0, v0, 23, 0x3c000000
	v_and_b32_e32 v3, 0x700000, v3
	v_and_b32_e32 v4, 0x80000000, v4
	v_or3_b32 v76, v3, v4, v0
.LBB372_1296:                           ;   in Loop: Header=BB372_10 Depth=1
	s_or_b32 exec_lo, exec_lo, s19
.LBB372_1297:                           ;   in Loop: Header=BB372_10 Depth=1
	s_or_b32 exec_lo, exec_lo, s17
.LBB372_1298:                           ;   in Loop: Header=BB372_10 Depth=1
	s_or_b32 exec_lo, exec_lo, s6
	v_cmp_ne_u16_sdwa s5, v26, v5 src0_sel:BYTE_1 src1_sel:DWORD
	v_mov_b32_e32 v10, 0
	v_mov_b32_e32 v0, 0
	s_and_saveexec_b32 s6, s5
	s_cbranch_execz .LBB372_1306
; %bb.1299:                             ;   in Loop: Header=BB372_10 Depth=1
	v_cmp_ne_u16_sdwa s5, v26, v71 src0_sel:BYTE_1 src1_sel:DWORD
	v_bfrev_b32_e32 v0, 1
	s_and_saveexec_b32 s17, s5
	s_cbranch_execz .LBB372_1305
; %bb.1300:                             ;   in Loop: Header=BB372_10 Depth=1
	v_mov_b32_e32 v0, 0xffff
	s_mov_b32 s19, exec_lo
	v_and_b32_sdwa v4, v0, v26 dst_sel:DWORD dst_unused:UNUSED_PAD src0_sel:DWORD src1_sel:BYTE_1
	v_mov_b32_e32 v0, 0x7f800001
	v_and_b32_e32 v3, 0x7f, v4
	v_cmpx_ne_u32_e32 0x7f, v3
	s_cbranch_execz .LBB372_1304
; %bb.1301:                             ;   in Loop: Header=BB372_10 Depth=1
	v_and_b32_e32 v4, 7, v4
	v_mov_b32_e32 v29, v5
	v_lshrrev_b32_e32 v0, 3, v3
	s_mov_b32 s20, exec_lo
	v_mov_b32_e32 v28, v4
	v_cmpx_gt_u32_e32 8, v3
; %bb.1302:                             ;   in Loop: Header=BB372_10 Depth=1
	v_ffbh_u32_e32 v0, v4
	v_min_u32_e32 v0, 32, v0
	v_subrev_nc_u32_e32 v3, 28, v0
	v_sub_nc_u32_e32 v0, 29, v0
	v_lshlrev_b64 v[3:4], v3, v[4:5]
	v_and_b32_e32 v28, 7, v3
; %bb.1303:                             ;   in Loop: Header=BB372_10 Depth=1
	s_or_b32 exec_lo, exec_lo, s20
	v_lshlrev_b32_e32 v3, 16, v26
	v_lshlrev_b32_e32 v4, 20, v28
	v_lshl_add_u32 v0, v0, 23, 0x3c000000
	v_and_b32_e32 v3, 0x80000000, v3
	v_or3_b32 v0, v4, v3, v0
.LBB372_1304:                           ;   in Loop: Header=BB372_10 Depth=1
	s_or_b32 exec_lo, exec_lo, s19
.LBB372_1305:                           ;   in Loop: Header=BB372_10 Depth=1
	s_or_b32 exec_lo, exec_lo, s17
.LBB372_1306:                           ;   in Loop: Header=BB372_10 Depth=1
	s_or_b32 exec_lo, exec_lo, s6
	v_mov_b32_e32 v3, 0xff
	s_mov_b32 s6, exec_lo
	v_and_b32_sdwa v3, v26, v3 dst_sel:DWORD dst_unused:UNUSED_PAD src0_sel:WORD_1 src1_sel:DWORD
	v_cmpx_ne_u16_e32 0, v3
	s_cbranch_execz .LBB372_1314
; %bb.1307:                             ;   in Loop: Header=BB372_10 Depth=1
	v_bfrev_b32_e32 v10, 1
	s_mov_b32 s17, exec_lo
	v_cmpx_ne_u16_e32 0x80, v3
	s_cbranch_execz .LBB372_1313
; %bb.1308:                             ;   in Loop: Header=BB372_10 Depth=1
	v_bfe_u32 v6, v26, 16, 7
	v_mov_b32_e32 v10, 0x7f800001
	s_mov_b32 s19, exec_lo
	v_cmpx_ne_u32_e32 0x7f, v6
	s_cbranch_execz .LBB372_1312
; %bb.1309:                             ;   in Loop: Header=BB372_10 Depth=1
	v_mov_b32_e32 v3, 7
	s_mov_b32 s20, exec_lo
	v_and_b32_sdwa v4, v26, v3 dst_sel:DWORD dst_unused:UNUSED_PAD src0_sel:WORD_1 src1_sel:DWORD
	v_mov_b32_e32 v29, v5
	v_lshrrev_b32_e32 v3, 3, v6
	v_mov_b32_e32 v28, v4
	v_cmpx_gt_u32_e32 8, v6
; %bb.1310:                             ;   in Loop: Header=BB372_10 Depth=1
	v_ffbh_u32_e32 v3, v4
	v_min_u32_e32 v3, 32, v3
	v_subrev_nc_u32_e32 v6, 28, v3
	v_sub_nc_u32_e32 v3, 29, v3
	v_lshlrev_b64 v[9:10], v6, v[4:5]
	v_and_b32_e32 v28, 7, v9
; %bb.1311:                             ;   in Loop: Header=BB372_10 Depth=1
	s_or_b32 exec_lo, exec_lo, s20
	v_mov_b32_e32 v4, 24
	v_lshlrev_b32_e32 v6, 20, v28
	v_lshl_add_u32 v3, v3, 23, 0x3c000000
	v_lshlrev_b32_sdwa v4, v4, v26 dst_sel:DWORD dst_unused:UNUSED_PAD src0_sel:DWORD src1_sel:WORD_1
	v_and_b32_e32 v4, 0x80000000, v4
	v_or3_b32 v10, v6, v4, v3
.LBB372_1312:                           ;   in Loop: Header=BB372_10 Depth=1
	s_or_b32 exec_lo, exec_lo, s19
.LBB372_1313:                           ;   in Loop: Header=BB372_10 Depth=1
	s_or_b32 exec_lo, exec_lo, s17
.LBB372_1314:                           ;   in Loop: Header=BB372_10 Depth=1
	s_or_b32 exec_lo, exec_lo, s6
	v_mov_b32_e32 v56, 0
	v_mov_b32_e32 v6, 0
	s_mov_b32 s6, exec_lo
	v_cmpx_lt_u32_e32 0xffffff, v26
	s_cbranch_execz .LBB372_1322
; %bb.1315:                             ;   in Loop: Header=BB372_10 Depth=1
	v_cmp_ne_u32_sdwa s5, v26, v71 src0_sel:BYTE_3 src1_sel:DWORD
	v_bfrev_b32_e32 v6, 1
	s_and_saveexec_b32 s17, s5
	s_cbranch_execz .LBB372_1321
; %bb.1316:                             ;   in Loop: Header=BB372_10 Depth=1
	v_bfe_u32 v9, v26, 24, 7
	v_mov_b32_e32 v6, 0x7f800001
	s_mov_b32 s19, exec_lo
	v_cmpx_ne_u32_e32 0x7f, v9
	s_cbranch_execz .LBB372_1320
; %bb.1317:                             ;   in Loop: Header=BB372_10 Depth=1
	v_mov_b32_e32 v3, 7
	s_mov_b32 s20, exec_lo
	v_and_b32_sdwa v4, v26, v3 dst_sel:DWORD dst_unused:UNUSED_PAD src0_sel:BYTE_3 src1_sel:DWORD
	v_mov_b32_e32 v29, v5
	v_lshrrev_b32_e32 v3, 3, v9
	v_mov_b32_e32 v28, v4
	v_cmpx_gt_u32_e32 8, v9
; %bb.1318:                             ;   in Loop: Header=BB372_10 Depth=1
	v_ffbh_u32_e32 v3, v4
	v_min_u32_e32 v3, 32, v3
	v_subrev_nc_u32_e32 v6, 28, v3
	v_sub_nc_u32_e32 v3, 29, v3
	v_lshlrev_b64 v[11:12], v6, v[4:5]
	v_and_b32_e32 v28, 7, v11
; %bb.1319:                             ;   in Loop: Header=BB372_10 Depth=1
	s_or_b32 exec_lo, exec_lo, s20
	v_mov_b32_e32 v4, 24
	v_lshlrev_b32_e32 v6, 20, v28
	v_lshl_add_u32 v3, v3, 23, 0x3c000000
	v_lshlrev_b32_sdwa v4, v4, v26 dst_sel:DWORD dst_unused:UNUSED_PAD src0_sel:DWORD src1_sel:BYTE_3
	v_and_b32_e32 v4, 0x80000000, v4
	v_or3_b32 v6, v6, v4, v3
.LBB372_1320:                           ;   in Loop: Header=BB372_10 Depth=1
	s_or_b32 exec_lo, exec_lo, s19
.LBB372_1321:                           ;   in Loop: Header=BB372_10 Depth=1
	s_or_b32 exec_lo, exec_lo, s17
.LBB372_1322:                           ;   in Loop: Header=BB372_10 Depth=1
	s_or_b32 exec_lo, exec_lo, s6
	v_mov_b32_e32 v4, v27
	v_cmp_ne_u16_sdwa s5, v27, v5 src0_sel:BYTE_0 src1_sel:DWORD
	s_and_saveexec_b32 s6, s5
	s_cbranch_execz .LBB372_1330
; %bb.1323:                             ;   in Loop: Header=BB372_10 Depth=1
	v_cmp_ne_u16_sdwa s5, v27, v71 src0_sel:BYTE_0 src1_sel:DWORD
	v_bfrev_b32_e32 v56, 1
	s_and_saveexec_b32 s17, s5
	s_cbranch_execz .LBB372_1329
; %bb.1324:                             ;   in Loop: Header=BB372_10 Depth=1
	v_and_b32_e32 v9, 0x7f, v27
	v_mov_b32_e32 v56, 0x7f800001
	s_mov_b32 s19, exec_lo
	v_cmpx_ne_u32_e32 0x7f, v9
	s_cbranch_execz .LBB372_1328
; %bb.1325:                             ;   in Loop: Header=BB372_10 Depth=1
	v_mov_b32_e32 v29, v5
	v_mov_b32_e32 v28, v4
	v_lshrrev_b32_e32 v3, 3, v9
	s_mov_b32 s20, exec_lo
	v_cmpx_gt_u32_e32 8, v9
; %bb.1326:                             ;   in Loop: Header=BB372_10 Depth=1
	v_and_b32_e32 v3, 7, v27
	v_ffbh_u32_e32 v3, v3
	v_min_u32_e32 v3, 32, v3
	v_subrev_nc_u32_e32 v9, 28, v3
	v_sub_nc_u32_e32 v3, 29, v3
	v_lshlrev_b64 v[28:29], v9, v[4:5]
; %bb.1327:                             ;   in Loop: Header=BB372_10 Depth=1
	s_or_b32 exec_lo, exec_lo, s20
	v_lshlrev_b32_e32 v9, 20, v28
	v_lshlrev_b32_e32 v11, 24, v4
	v_lshl_add_u32 v3, v3, 23, 0x3c000000
	v_and_b32_e32 v9, 0x700000, v9
	v_and_b32_e32 v11, 0x80000000, v11
	v_or3_b32 v56, v9, v11, v3
.LBB372_1328:                           ;   in Loop: Header=BB372_10 Depth=1
	s_or_b32 exec_lo, exec_lo, s19
.LBB372_1329:                           ;   in Loop: Header=BB372_10 Depth=1
	s_or_b32 exec_lo, exec_lo, s17
.LBB372_1330:                           ;   in Loop: Header=BB372_10 Depth=1
	s_or_b32 exec_lo, exec_lo, s6
	v_cmp_ne_u16_sdwa s5, v4, v5 src0_sel:BYTE_1 src1_sel:DWORD
	v_mov_b32_e32 v37, 0
	v_mov_b32_e32 v51, 0
	s_and_saveexec_b32 s6, s5
	s_cbranch_execz .LBB372_1338
; %bb.1331:                             ;   in Loop: Header=BB372_10 Depth=1
	v_cmp_ne_u16_sdwa s5, v4, v71 src0_sel:BYTE_1 src1_sel:DWORD
	v_bfrev_b32_e32 v51, 1
	s_and_saveexec_b32 s17, s5
	s_cbranch_execz .LBB372_1337
; %bb.1332:                             ;   in Loop: Header=BB372_10 Depth=1
	v_mov_b32_e32 v3, 0xffff
	v_mov_b32_e32 v51, 0x7f800001
	s_mov_b32 s19, exec_lo
	v_and_b32_sdwa v3, v3, v4 dst_sel:DWORD dst_unused:UNUSED_PAD src0_sel:DWORD src1_sel:BYTE_1
	v_and_b32_e32 v9, 0x7f, v3
	v_cmpx_ne_u32_e32 0x7f, v9
	s_cbranch_execz .LBB372_1336
; %bb.1333:                             ;   in Loop: Header=BB372_10 Depth=1
	v_and_b32_e32 v28, 7, v3
	v_mov_b32_e32 v29, v5
	v_lshrrev_b32_e32 v3, 3, v9
	s_mov_b32 s20, exec_lo
	v_cmpx_gt_u32_e32 8, v9
; %bb.1334:                             ;   in Loop: Header=BB372_10 Depth=1
	v_ffbh_u32_e32 v3, v28
	v_min_u32_e32 v3, 32, v3
	v_subrev_nc_u32_e32 v9, 28, v3
	v_sub_nc_u32_e32 v3, 29, v3
	v_lshlrev_b64 v[11:12], v9, v[28:29]
	v_and_b32_e32 v28, 7, v11
; %bb.1335:                             ;   in Loop: Header=BB372_10 Depth=1
	s_or_b32 exec_lo, exec_lo, s20
	v_lshlrev_b32_e32 v4, 16, v4
	v_lshlrev_b32_e32 v9, 20, v28
	v_lshl_add_u32 v3, v3, 23, 0x3c000000
	v_and_b32_e32 v4, 0x80000000, v4
	v_or3_b32 v51, v9, v4, v3
.LBB372_1336:                           ;   in Loop: Header=BB372_10 Depth=1
	s_or_b32 exec_lo, exec_lo, s19
.LBB372_1337:                           ;   in Loop: Header=BB372_10 Depth=1
	s_or_b32 exec_lo, exec_lo, s17
.LBB372_1338:                           ;   in Loop: Header=BB372_10 Depth=1
	s_or_b32 exec_lo, exec_lo, s6
	v_mov_b32_e32 v3, 0xff
	s_mov_b32 s6, exec_lo
	v_and_b32_sdwa v3, v27, v3 dst_sel:DWORD dst_unused:UNUSED_PAD src0_sel:WORD_1 src1_sel:DWORD
	v_cmpx_ne_u16_e32 0, v3
	s_cbranch_execz .LBB372_1346
; %bb.1339:                             ;   in Loop: Header=BB372_10 Depth=1
	v_bfrev_b32_e32 v37, 1
	s_mov_b32 s17, exec_lo
	v_cmpx_ne_u16_e32 0x80, v3
	s_cbranch_execz .LBB372_1345
; %bb.1340:                             ;   in Loop: Header=BB372_10 Depth=1
	v_bfe_u32 v9, v27, 16, 7
	v_mov_b32_e32 v37, 0x7f800001
	s_mov_b32 s19, exec_lo
	v_cmpx_ne_u32_e32 0x7f, v9
	s_cbranch_execz .LBB372_1344
; %bb.1341:                             ;   in Loop: Header=BB372_10 Depth=1
	v_mov_b32_e32 v3, 7
	s_mov_b32 s20, exec_lo
	v_and_b32_sdwa v4, v27, v3 dst_sel:DWORD dst_unused:UNUSED_PAD src0_sel:WORD_1 src1_sel:DWORD
	v_mov_b32_e32 v29, v5
	v_lshrrev_b32_e32 v3, 3, v9
	v_mov_b32_e32 v28, v4
	v_cmpx_gt_u32_e32 8, v9
; %bb.1342:                             ;   in Loop: Header=BB372_10 Depth=1
	v_ffbh_u32_e32 v3, v4
	v_min_u32_e32 v3, 32, v3
	v_subrev_nc_u32_e32 v9, 28, v3
	v_sub_nc_u32_e32 v3, 29, v3
	v_lshlrev_b64 v[11:12], v9, v[4:5]
	v_and_b32_e32 v28, 7, v11
; %bb.1343:                             ;   in Loop: Header=BB372_10 Depth=1
	s_or_b32 exec_lo, exec_lo, s20
	v_mov_b32_e32 v4, 24
	v_lshlrev_b32_e32 v9, 20, v28
	v_lshl_add_u32 v3, v3, 23, 0x3c000000
	v_lshlrev_b32_sdwa v4, v4, v27 dst_sel:DWORD dst_unused:UNUSED_PAD src0_sel:DWORD src1_sel:WORD_1
	v_and_b32_e32 v4, 0x80000000, v4
	v_or3_b32 v37, v9, v4, v3
.LBB372_1344:                           ;   in Loop: Header=BB372_10 Depth=1
	s_or_b32 exec_lo, exec_lo, s19
.LBB372_1345:                           ;   in Loop: Header=BB372_10 Depth=1
	s_or_b32 exec_lo, exec_lo, s17
.LBB372_1346:                           ;   in Loop: Header=BB372_10 Depth=1
	s_or_b32 exec_lo, exec_lo, s6
	v_mov_b32_e32 v31, 0
	v_mov_b32_e32 v9, 0
	s_mov_b32 s6, exec_lo
	v_cmpx_lt_u64_e64 s[8:9], v[26:27]
	s_cbranch_execz .LBB372_1354
; %bb.1347:                             ;   in Loop: Header=BB372_10 Depth=1
	v_cmp_ne_u32_sdwa s5, v27, v71 src0_sel:BYTE_3 src1_sel:DWORD
	v_bfrev_b32_e32 v9, 1
	s_and_saveexec_b32 s17, s5
	s_cbranch_execz .LBB372_1353
; %bb.1348:                             ;   in Loop: Header=BB372_10 Depth=1
	v_bfe_u32 v11, v27, 24, 7
	v_mov_b32_e32 v9, 0x7f800001
	s_mov_b32 s19, exec_lo
	v_cmpx_ne_u32_e32 0x7f, v11
	s_cbranch_execz .LBB372_1352
; %bb.1349:                             ;   in Loop: Header=BB372_10 Depth=1
	v_mov_b32_e32 v3, 7
	s_mov_b32 s20, exec_lo
	v_and_b32_sdwa v4, v27, v3 dst_sel:DWORD dst_unused:UNUSED_PAD src0_sel:BYTE_3 src1_sel:DWORD
	v_mov_b32_e32 v29, v5
	v_lshrrev_b32_e32 v3, 3, v11
	v_mov_b32_e32 v28, v4
	v_cmpx_gt_u32_e32 8, v11
; %bb.1350:                             ;   in Loop: Header=BB372_10 Depth=1
	v_ffbh_u32_e32 v3, v4
	v_min_u32_e32 v3, 32, v3
	v_subrev_nc_u32_e32 v9, 28, v3
	v_sub_nc_u32_e32 v3, 29, v3
	v_lshlrev_b64 v[11:12], v9, v[4:5]
	v_and_b32_e32 v28, 7, v11
; %bb.1351:                             ;   in Loop: Header=BB372_10 Depth=1
	s_or_b32 exec_lo, exec_lo, s20
	v_mov_b32_e32 v4, 24
	v_lshlrev_b32_e32 v9, 20, v28
	v_lshl_add_u32 v3, v3, 23, 0x3c000000
	v_lshlrev_b32_sdwa v4, v4, v27 dst_sel:DWORD dst_unused:UNUSED_PAD src0_sel:DWORD src1_sel:BYTE_3
	v_and_b32_e32 v4, 0x80000000, v4
	v_or3_b32 v9, v9, v4, v3
.LBB372_1352:                           ;   in Loop: Header=BB372_10 Depth=1
	s_or_b32 exec_lo, exec_lo, s19
.LBB372_1353:                           ;   in Loop: Header=BB372_10 Depth=1
	s_or_b32 exec_lo, exec_lo, s17
.LBB372_1354:                           ;   in Loop: Header=BB372_10 Depth=1
	s_or_b32 exec_lo, exec_lo, s6
	flat_load_dwordx2 v[26:27], v[24:25] offset:1032
	s_waitcnt vmcnt(0) lgkmcnt(0)
	v_cmp_ne_u16_sdwa s5, v26, v5 src0_sel:BYTE_0 src1_sel:DWORD
	s_and_saveexec_b32 s6, s5
	s_cbranch_execz .LBB372_1362
; %bb.1355:                             ;   in Loop: Header=BB372_10 Depth=1
	v_cmp_ne_u16_sdwa s5, v26, v71 src0_sel:BYTE_0 src1_sel:DWORD
	v_bfrev_b32_e32 v31, 1
	s_and_saveexec_b32 s17, s5
	s_cbranch_execz .LBB372_1361
; %bb.1356:                             ;   in Loop: Header=BB372_10 Depth=1
	v_and_b32_e32 v4, 0x7f, v26
	v_mov_b32_e32 v31, 0x7f800001
	s_mov_b32 s19, exec_lo
	v_cmpx_ne_u32_e32 0x7f, v4
	s_cbranch_execz .LBB372_1360
; %bb.1357:                             ;   in Loop: Header=BB372_10 Depth=1
	v_mov_b32_e32 v29, v27
	v_lshrrev_b32_e32 v3, 3, v4
	v_mov_b32_e32 v28, v26
	s_mov_b32 s20, exec_lo
	v_cmpx_gt_u32_e32 8, v4
; %bb.1358:                             ;   in Loop: Header=BB372_10 Depth=1
	v_and_b32_e32 v3, 7, v26
	v_ffbh_u32_e32 v3, v3
	v_min_u32_e32 v3, 32, v3
	v_subrev_nc_u32_e32 v4, 28, v3
	v_sub_nc_u32_e32 v3, 29, v3
	v_lshlrev_b64 v[28:29], v4, v[26:27]
; %bb.1359:                             ;   in Loop: Header=BB372_10 Depth=1
	s_or_b32 exec_lo, exec_lo, s20
	v_lshlrev_b32_e32 v4, 20, v28
	v_lshlrev_b32_e32 v11, 24, v26
	v_lshl_add_u32 v3, v3, 23, 0x3c000000
	v_and_b32_e32 v4, 0x700000, v4
	v_and_b32_e32 v11, 0x80000000, v11
	v_or3_b32 v31, v4, v11, v3
.LBB372_1360:                           ;   in Loop: Header=BB372_10 Depth=1
	s_or_b32 exec_lo, exec_lo, s19
.LBB372_1361:                           ;   in Loop: Header=BB372_10 Depth=1
	s_or_b32 exec_lo, exec_lo, s17
.LBB372_1362:                           ;   in Loop: Header=BB372_10 Depth=1
	s_or_b32 exec_lo, exec_lo, s6
	v_cmp_ne_u16_sdwa s5, v26, v5 src0_sel:BYTE_1 src1_sel:DWORD
	v_mov_b32_e32 v34, 0
	v_mov_b32_e32 v22, 0
	s_and_saveexec_b32 s6, s5
	s_cbranch_execz .LBB372_1370
; %bb.1363:                             ;   in Loop: Header=BB372_10 Depth=1
	v_cmp_ne_u16_sdwa s5, v26, v71 src0_sel:BYTE_1 src1_sel:DWORD
	v_bfrev_b32_e32 v22, 1
	s_and_saveexec_b32 s17, s5
	s_cbranch_execz .LBB372_1369
; %bb.1364:                             ;   in Loop: Header=BB372_10 Depth=1
	v_mov_b32_e32 v3, 0xffff
	v_mov_b32_e32 v22, 0x7f800001
	s_mov_b32 s19, exec_lo
	v_and_b32_sdwa v3, v3, v26 dst_sel:DWORD dst_unused:UNUSED_PAD src0_sel:DWORD src1_sel:BYTE_1
	v_and_b32_e32 v11, 0x7f, v3
	v_cmpx_ne_u32_e32 0x7f, v11
	s_cbranch_execz .LBB372_1368
; %bb.1365:                             ;   in Loop: Header=BB372_10 Depth=1
	v_and_b32_e32 v4, 7, v3
	v_mov_b32_e32 v29, v5
	v_lshrrev_b32_e32 v3, 3, v11
	s_mov_b32 s20, exec_lo
	v_mov_b32_e32 v28, v4
	v_cmpx_gt_u32_e32 8, v11
; %bb.1366:                             ;   in Loop: Header=BB372_10 Depth=1
	v_ffbh_u32_e32 v3, v4
	v_min_u32_e32 v3, 32, v3
	v_subrev_nc_u32_e32 v11, 28, v3
	v_sub_nc_u32_e32 v3, 29, v3
	v_lshlrev_b64 v[11:12], v11, v[4:5]
	v_and_b32_e32 v28, 7, v11
; %bb.1367:                             ;   in Loop: Header=BB372_10 Depth=1
	s_or_b32 exec_lo, exec_lo, s20
	v_lshlrev_b32_e32 v4, 16, v26
	v_lshlrev_b32_e32 v11, 20, v28
	v_lshl_add_u32 v3, v3, 23, 0x3c000000
	v_and_b32_e32 v4, 0x80000000, v4
	v_or3_b32 v22, v11, v4, v3
.LBB372_1368:                           ;   in Loop: Header=BB372_10 Depth=1
	s_or_b32 exec_lo, exec_lo, s19
.LBB372_1369:                           ;   in Loop: Header=BB372_10 Depth=1
	s_or_b32 exec_lo, exec_lo, s17
.LBB372_1370:                           ;   in Loop: Header=BB372_10 Depth=1
	s_or_b32 exec_lo, exec_lo, s6
	v_mov_b32_e32 v3, 0xff
	s_mov_b32 s6, exec_lo
	v_and_b32_sdwa v3, v26, v3 dst_sel:DWORD dst_unused:UNUSED_PAD src0_sel:WORD_1 src1_sel:DWORD
	v_cmpx_ne_u16_e32 0, v3
	s_cbranch_execz .LBB372_1378
; %bb.1371:                             ;   in Loop: Header=BB372_10 Depth=1
	v_bfrev_b32_e32 v34, 1
	s_mov_b32 s17, exec_lo
	v_cmpx_ne_u16_e32 0x80, v3
	s_cbranch_execz .LBB372_1377
; %bb.1372:                             ;   in Loop: Header=BB372_10 Depth=1
	v_bfe_u32 v11, v26, 16, 7
	v_mov_b32_e32 v34, 0x7f800001
	s_mov_b32 s19, exec_lo
	v_cmpx_ne_u32_e32 0x7f, v11
	s_cbranch_execz .LBB372_1376
; %bb.1373:                             ;   in Loop: Header=BB372_10 Depth=1
	v_mov_b32_e32 v3, 7
	s_mov_b32 s20, exec_lo
	v_and_b32_sdwa v4, v26, v3 dst_sel:DWORD dst_unused:UNUSED_PAD src0_sel:WORD_1 src1_sel:DWORD
	v_mov_b32_e32 v29, v5
	v_lshrrev_b32_e32 v3, 3, v11
	v_mov_b32_e32 v28, v4
	v_cmpx_gt_u32_e32 8, v11
; %bb.1374:                             ;   in Loop: Header=BB372_10 Depth=1
	v_ffbh_u32_e32 v3, v4
	v_min_u32_e32 v3, 32, v3
	v_subrev_nc_u32_e32 v11, 28, v3
	v_sub_nc_u32_e32 v3, 29, v3
	v_lshlrev_b64 v[11:12], v11, v[4:5]
	v_and_b32_e32 v28, 7, v11
; %bb.1375:                             ;   in Loop: Header=BB372_10 Depth=1
	s_or_b32 exec_lo, exec_lo, s20
	v_mov_b32_e32 v4, 24
	v_lshlrev_b32_e32 v11, 20, v28
	v_lshl_add_u32 v3, v3, 23, 0x3c000000
	v_lshlrev_b32_sdwa v4, v4, v26 dst_sel:DWORD dst_unused:UNUSED_PAD src0_sel:DWORD src1_sel:WORD_1
	v_and_b32_e32 v4, 0x80000000, v4
	v_or3_b32 v34, v11, v4, v3
.LBB372_1376:                           ;   in Loop: Header=BB372_10 Depth=1
	s_or_b32 exec_lo, exec_lo, s19
.LBB372_1377:                           ;   in Loop: Header=BB372_10 Depth=1
	s_or_b32 exec_lo, exec_lo, s17
.LBB372_1378:                           ;   in Loop: Header=BB372_10 Depth=1
	s_or_b32 exec_lo, exec_lo, s6
	v_mov_b32_e32 v36, 0
	v_mov_b32_e32 v47, 0
	s_mov_b32 s6, exec_lo
	v_cmpx_lt_u32_e32 0xffffff, v26
	s_cbranch_execz .LBB372_1386
; %bb.1379:                             ;   in Loop: Header=BB372_10 Depth=1
	v_cmp_ne_u32_sdwa s5, v26, v71 src0_sel:BYTE_3 src1_sel:DWORD
	v_bfrev_b32_e32 v47, 1
	s_and_saveexec_b32 s17, s5
	s_cbranch_execz .LBB372_1385
; %bb.1380:                             ;   in Loop: Header=BB372_10 Depth=1
	v_bfe_u32 v11, v26, 24, 7
	v_mov_b32_e32 v47, 0x7f800001
	s_mov_b32 s19, exec_lo
	v_cmpx_ne_u32_e32 0x7f, v11
	s_cbranch_execz .LBB372_1384
; %bb.1381:                             ;   in Loop: Header=BB372_10 Depth=1
	v_mov_b32_e32 v3, 7
	s_mov_b32 s20, exec_lo
	v_and_b32_sdwa v4, v26, v3 dst_sel:DWORD dst_unused:UNUSED_PAD src0_sel:BYTE_3 src1_sel:DWORD
	v_mov_b32_e32 v29, v5
	v_lshrrev_b32_e32 v3, 3, v11
	v_mov_b32_e32 v28, v4
	v_cmpx_gt_u32_e32 8, v11
; %bb.1382:                             ;   in Loop: Header=BB372_10 Depth=1
	v_ffbh_u32_e32 v3, v4
	v_min_u32_e32 v3, 32, v3
	v_subrev_nc_u32_e32 v11, 28, v3
	v_sub_nc_u32_e32 v3, 29, v3
	v_lshlrev_b64 v[11:12], v11, v[4:5]
	v_and_b32_e32 v28, 7, v11
; %bb.1383:                             ;   in Loop: Header=BB372_10 Depth=1
	s_or_b32 exec_lo, exec_lo, s20
	v_mov_b32_e32 v4, 24
	v_lshlrev_b32_e32 v11, 20, v28
	v_lshl_add_u32 v3, v3, 23, 0x3c000000
	v_lshlrev_b32_sdwa v4, v4, v26 dst_sel:DWORD dst_unused:UNUSED_PAD src0_sel:DWORD src1_sel:BYTE_3
	v_and_b32_e32 v4, 0x80000000, v4
	v_or3_b32 v47, v11, v4, v3
.LBB372_1384:                           ;   in Loop: Header=BB372_10 Depth=1
	s_or_b32 exec_lo, exec_lo, s19
.LBB372_1385:                           ;   in Loop: Header=BB372_10 Depth=1
	s_or_b32 exec_lo, exec_lo, s17
.LBB372_1386:                           ;   in Loop: Header=BB372_10 Depth=1
	s_or_b32 exec_lo, exec_lo, s6
	v_mov_b32_e32 v4, v27
	v_cmp_ne_u16_sdwa s5, v27, v5 src0_sel:BYTE_0 src1_sel:DWORD
	s_and_saveexec_b32 s6, s5
	s_cbranch_execz .LBB372_1394
; %bb.1387:                             ;   in Loop: Header=BB372_10 Depth=1
	v_cmp_ne_u16_sdwa s5, v27, v71 src0_sel:BYTE_0 src1_sel:DWORD
	v_bfrev_b32_e32 v36, 1
	s_and_saveexec_b32 s17, s5
	s_cbranch_execz .LBB372_1393
; %bb.1388:                             ;   in Loop: Header=BB372_10 Depth=1
	v_and_b32_e32 v11, 0x7f, v27
	v_mov_b32_e32 v36, 0x7f800001
	s_mov_b32 s19, exec_lo
	v_cmpx_ne_u32_e32 0x7f, v11
	s_cbranch_execz .LBB372_1392
; %bb.1389:                             ;   in Loop: Header=BB372_10 Depth=1
	v_mov_b32_e32 v29, v5
	v_mov_b32_e32 v28, v4
	v_lshrrev_b32_e32 v3, 3, v11
	s_mov_b32 s20, exec_lo
	v_cmpx_gt_u32_e32 8, v11
; %bb.1390:                             ;   in Loop: Header=BB372_10 Depth=1
	v_and_b32_e32 v3, 7, v27
	v_ffbh_u32_e32 v3, v3
	v_min_u32_e32 v3, 32, v3
	v_subrev_nc_u32_e32 v11, 28, v3
	v_sub_nc_u32_e32 v3, 29, v3
	v_lshlrev_b64 v[28:29], v11, v[4:5]
; %bb.1391:                             ;   in Loop: Header=BB372_10 Depth=1
	s_or_b32 exec_lo, exec_lo, s20
	v_lshlrev_b32_e32 v11, 20, v28
	v_lshlrev_b32_e32 v12, 24, v4
	v_lshl_add_u32 v3, v3, 23, 0x3c000000
	v_and_b32_e32 v11, 0x700000, v11
	v_and_b32_e32 v12, 0x80000000, v12
	v_or3_b32 v36, v11, v12, v3
.LBB372_1392:                           ;   in Loop: Header=BB372_10 Depth=1
	s_or_b32 exec_lo, exec_lo, s19
.LBB372_1393:                           ;   in Loop: Header=BB372_10 Depth=1
	s_or_b32 exec_lo, exec_lo, s17
.LBB372_1394:                           ;   in Loop: Header=BB372_10 Depth=1
	s_or_b32 exec_lo, exec_lo, s6
	v_cmp_ne_u16_sdwa s5, v4, v5 src0_sel:BYTE_1 src1_sel:DWORD
	v_mov_b32_e32 v30, 0
	v_mov_b32_e32 v44, 0
	s_and_saveexec_b32 s6, s5
	s_cbranch_execz .LBB372_1402
; %bb.1395:                             ;   in Loop: Header=BB372_10 Depth=1
	v_cmp_ne_u16_sdwa s5, v4, v71 src0_sel:BYTE_1 src1_sel:DWORD
	v_bfrev_b32_e32 v44, 1
	s_and_saveexec_b32 s17, s5
	s_cbranch_execz .LBB372_1401
; %bb.1396:                             ;   in Loop: Header=BB372_10 Depth=1
	v_mov_b32_e32 v3, 0xffff
	v_mov_b32_e32 v44, 0x7f800001
	s_mov_b32 s19, exec_lo
	v_and_b32_sdwa v3, v3, v4 dst_sel:DWORD dst_unused:UNUSED_PAD src0_sel:DWORD src1_sel:BYTE_1
	v_and_b32_e32 v11, 0x7f, v3
	v_cmpx_ne_u32_e32 0x7f, v11
	s_cbranch_execz .LBB372_1400
; %bb.1397:                             ;   in Loop: Header=BB372_10 Depth=1
	v_and_b32_e32 v28, 7, v3
	v_mov_b32_e32 v29, v5
	v_lshrrev_b32_e32 v3, 3, v11
	s_mov_b32 s20, exec_lo
	v_cmpx_gt_u32_e32 8, v11
; %bb.1398:                             ;   in Loop: Header=BB372_10 Depth=1
	v_ffbh_u32_e32 v3, v28
	v_min_u32_e32 v3, 32, v3
	v_subrev_nc_u32_e32 v11, 28, v3
	v_sub_nc_u32_e32 v3, 29, v3
	v_lshlrev_b64 v[11:12], v11, v[28:29]
	v_and_b32_e32 v28, 7, v11
; %bb.1399:                             ;   in Loop: Header=BB372_10 Depth=1
	s_or_b32 exec_lo, exec_lo, s20
	v_lshlrev_b32_e32 v4, 16, v4
	v_lshlrev_b32_e32 v11, 20, v28
	v_lshl_add_u32 v3, v3, 23, 0x3c000000
	v_and_b32_e32 v4, 0x80000000, v4
	v_or3_b32 v44, v11, v4, v3
.LBB372_1400:                           ;   in Loop: Header=BB372_10 Depth=1
	s_or_b32 exec_lo, exec_lo, s19
.LBB372_1401:                           ;   in Loop: Header=BB372_10 Depth=1
	s_or_b32 exec_lo, exec_lo, s17
.LBB372_1402:                           ;   in Loop: Header=BB372_10 Depth=1
	s_or_b32 exec_lo, exec_lo, s6
	v_mov_b32_e32 v3, 0xff
	s_mov_b32 s6, exec_lo
	v_and_b32_sdwa v3, v27, v3 dst_sel:DWORD dst_unused:UNUSED_PAD src0_sel:WORD_1 src1_sel:DWORD
	v_cmpx_ne_u16_e32 0, v3
	s_cbranch_execz .LBB372_1410
; %bb.1403:                             ;   in Loop: Header=BB372_10 Depth=1
	v_bfrev_b32_e32 v30, 1
	s_mov_b32 s17, exec_lo
	v_cmpx_ne_u16_e32 0x80, v3
	s_cbranch_execz .LBB372_1409
; %bb.1404:                             ;   in Loop: Header=BB372_10 Depth=1
	v_bfe_u32 v11, v27, 16, 7
	v_mov_b32_e32 v30, 0x7f800001
	s_mov_b32 s19, exec_lo
	v_cmpx_ne_u32_e32 0x7f, v11
	s_cbranch_execz .LBB372_1408
; %bb.1405:                             ;   in Loop: Header=BB372_10 Depth=1
	v_mov_b32_e32 v3, 7
	s_mov_b32 s20, exec_lo
	v_and_b32_sdwa v4, v27, v3 dst_sel:DWORD dst_unused:UNUSED_PAD src0_sel:WORD_1 src1_sel:DWORD
	v_mov_b32_e32 v29, v5
	v_lshrrev_b32_e32 v3, 3, v11
	v_mov_b32_e32 v28, v4
	v_cmpx_gt_u32_e32 8, v11
; %bb.1406:                             ;   in Loop: Header=BB372_10 Depth=1
	v_ffbh_u32_e32 v3, v4
	v_min_u32_e32 v3, 32, v3
	v_subrev_nc_u32_e32 v11, 28, v3
	v_sub_nc_u32_e32 v3, 29, v3
	v_lshlrev_b64 v[11:12], v11, v[4:5]
	v_and_b32_e32 v28, 7, v11
; %bb.1407:                             ;   in Loop: Header=BB372_10 Depth=1
	s_or_b32 exec_lo, exec_lo, s20
	v_mov_b32_e32 v4, 24
	v_lshlrev_b32_e32 v11, 20, v28
	v_lshl_add_u32 v3, v3, 23, 0x3c000000
	v_lshlrev_b32_sdwa v4, v4, v27 dst_sel:DWORD dst_unused:UNUSED_PAD src0_sel:DWORD src1_sel:WORD_1
	v_and_b32_e32 v4, 0x80000000, v4
	v_or3_b32 v30, v11, v4, v3
.LBB372_1408:                           ;   in Loop: Header=BB372_10 Depth=1
	s_or_b32 exec_lo, exec_lo, s19
.LBB372_1409:                           ;   in Loop: Header=BB372_10 Depth=1
	s_or_b32 exec_lo, exec_lo, s17
.LBB372_1410:                           ;   in Loop: Header=BB372_10 Depth=1
	s_or_b32 exec_lo, exec_lo, s6
	v_mov_b32_e32 v48, 0
	v_mov_b32_e32 v11, 0
	s_mov_b32 s6, exec_lo
	v_cmpx_lt_u64_e64 s[8:9], v[26:27]
	s_cbranch_execz .LBB372_1418
; %bb.1411:                             ;   in Loop: Header=BB372_10 Depth=1
	v_cmp_ne_u32_sdwa s5, v27, v71 src0_sel:BYTE_3 src1_sel:DWORD
	v_bfrev_b32_e32 v11, 1
	s_and_saveexec_b32 s17, s5
	s_cbranch_execz .LBB372_1417
; %bb.1412:                             ;   in Loop: Header=BB372_10 Depth=1
	v_bfe_u32 v12, v27, 24, 7
	v_mov_b32_e32 v11, 0x7f800001
	s_mov_b32 s19, exec_lo
	v_cmpx_ne_u32_e32 0x7f, v12
	s_cbranch_execz .LBB372_1416
; %bb.1413:                             ;   in Loop: Header=BB372_10 Depth=1
	v_mov_b32_e32 v3, 7
	s_mov_b32 s20, exec_lo
	v_and_b32_sdwa v4, v27, v3 dst_sel:DWORD dst_unused:UNUSED_PAD src0_sel:BYTE_3 src1_sel:DWORD
	v_mov_b32_e32 v29, v5
	v_lshrrev_b32_e32 v3, 3, v12
	v_mov_b32_e32 v28, v4
	v_cmpx_gt_u32_e32 8, v12
; %bb.1414:                             ;   in Loop: Header=BB372_10 Depth=1
	v_ffbh_u32_e32 v3, v4
	v_min_u32_e32 v3, 32, v3
	v_subrev_nc_u32_e32 v11, 28, v3
	v_sub_nc_u32_e32 v3, 29, v3
	v_lshlrev_b64 v[11:12], v11, v[4:5]
	v_and_b32_e32 v28, 7, v11
; %bb.1415:                             ;   in Loop: Header=BB372_10 Depth=1
	s_or_b32 exec_lo, exec_lo, s20
	v_mov_b32_e32 v4, 24
	v_lshlrev_b32_e32 v11, 20, v28
	v_lshl_add_u32 v3, v3, 23, 0x3c000000
	v_lshlrev_b32_sdwa v4, v4, v27 dst_sel:DWORD dst_unused:UNUSED_PAD src0_sel:DWORD src1_sel:BYTE_3
	v_and_b32_e32 v4, 0x80000000, v4
	v_or3_b32 v11, v11, v4, v3
.LBB372_1416:                           ;   in Loop: Header=BB372_10 Depth=1
	s_or_b32 exec_lo, exec_lo, s19
.LBB372_1417:                           ;   in Loop: Header=BB372_10 Depth=1
	s_or_b32 exec_lo, exec_lo, s17
.LBB372_1418:                           ;   in Loop: Header=BB372_10 Depth=1
	s_or_b32 exec_lo, exec_lo, s6
	flat_load_dwordx2 v[26:27], v[24:25] offset:1536
	s_waitcnt vmcnt(0) lgkmcnt(0)
	v_cmp_ne_u16_sdwa s5, v26, v5 src0_sel:BYTE_0 src1_sel:DWORD
	s_and_saveexec_b32 s6, s5
	s_cbranch_execz .LBB372_1426
; %bb.1419:                             ;   in Loop: Header=BB372_10 Depth=1
	v_cmp_ne_u16_sdwa s5, v26, v71 src0_sel:BYTE_0 src1_sel:DWORD
	v_bfrev_b32_e32 v48, 1
	s_and_saveexec_b32 s17, s5
	s_cbranch_execz .LBB372_1425
; %bb.1420:                             ;   in Loop: Header=BB372_10 Depth=1
	v_and_b32_e32 v4, 0x7f, v26
	v_mov_b32_e32 v48, 0x7f800001
	s_mov_b32 s19, exec_lo
	v_cmpx_ne_u32_e32 0x7f, v4
	s_cbranch_execz .LBB372_1424
; %bb.1421:                             ;   in Loop: Header=BB372_10 Depth=1
	v_mov_b32_e32 v29, v27
	v_lshrrev_b32_e32 v3, 3, v4
	v_mov_b32_e32 v28, v26
	s_mov_b32 s20, exec_lo
	v_cmpx_gt_u32_e32 8, v4
; %bb.1422:                             ;   in Loop: Header=BB372_10 Depth=1
	v_and_b32_e32 v3, 7, v26
	v_ffbh_u32_e32 v3, v3
	v_min_u32_e32 v3, 32, v3
	v_subrev_nc_u32_e32 v4, 28, v3
	v_sub_nc_u32_e32 v3, 29, v3
	v_lshlrev_b64 v[28:29], v4, v[26:27]
; %bb.1423:                             ;   in Loop: Header=BB372_10 Depth=1
	s_or_b32 exec_lo, exec_lo, s20
	v_lshlrev_b32_e32 v4, 20, v28
	v_lshlrev_b32_e32 v12, 24, v26
	v_lshl_add_u32 v3, v3, 23, 0x3c000000
	v_and_b32_e32 v4, 0x700000, v4
	v_and_b32_e32 v12, 0x80000000, v12
	v_or3_b32 v48, v4, v12, v3
.LBB372_1424:                           ;   in Loop: Header=BB372_10 Depth=1
	s_or_b32 exec_lo, exec_lo, s19
.LBB372_1425:                           ;   in Loop: Header=BB372_10 Depth=1
	s_or_b32 exec_lo, exec_lo, s17
.LBB372_1426:                           ;   in Loop: Header=BB372_10 Depth=1
	s_or_b32 exec_lo, exec_lo, s6
	v_cmp_ne_u16_sdwa s5, v26, v5 src0_sel:BYTE_1 src1_sel:DWORD
	v_mov_b32_e32 v50, 0
	v_mov_b32_e32 v38, 0
	s_and_saveexec_b32 s6, s5
	s_cbranch_execz .LBB372_1434
; %bb.1427:                             ;   in Loop: Header=BB372_10 Depth=1
	v_cmp_ne_u16_sdwa s5, v26, v71 src0_sel:BYTE_1 src1_sel:DWORD
	v_bfrev_b32_e32 v38, 1
	s_and_saveexec_b32 s17, s5
	s_cbranch_execz .LBB372_1433
; %bb.1428:                             ;   in Loop: Header=BB372_10 Depth=1
	v_mov_b32_e32 v3, 0xffff
	v_mov_b32_e32 v38, 0x7f800001
	s_mov_b32 s19, exec_lo
	v_and_b32_sdwa v3, v3, v26 dst_sel:DWORD dst_unused:UNUSED_PAD src0_sel:DWORD src1_sel:BYTE_1
	v_and_b32_e32 v12, 0x7f, v3
	v_cmpx_ne_u32_e32 0x7f, v12
	s_cbranch_execz .LBB372_1432
; %bb.1429:                             ;   in Loop: Header=BB372_10 Depth=1
	v_and_b32_e32 v4, 7, v3
	v_mov_b32_e32 v29, v5
	v_lshrrev_b32_e32 v3, 3, v12
	s_mov_b32 s20, exec_lo
	v_mov_b32_e32 v28, v4
	v_cmpx_gt_u32_e32 8, v12
; %bb.1430:                             ;   in Loop: Header=BB372_10 Depth=1
	v_ffbh_u32_e32 v3, v4
	v_min_u32_e32 v3, 32, v3
	v_subrev_nc_u32_e32 v12, 28, v3
	v_sub_nc_u32_e32 v3, 29, v3
	v_lshlrev_b64 v[12:13], v12, v[4:5]
	v_and_b32_e32 v28, 7, v12
; %bb.1431:                             ;   in Loop: Header=BB372_10 Depth=1
	s_or_b32 exec_lo, exec_lo, s20
	v_lshlrev_b32_e32 v4, 16, v26
	v_lshlrev_b32_e32 v12, 20, v28
	v_lshl_add_u32 v3, v3, 23, 0x3c000000
	v_and_b32_e32 v4, 0x80000000, v4
	v_or3_b32 v38, v12, v4, v3
.LBB372_1432:                           ;   in Loop: Header=BB372_10 Depth=1
	s_or_b32 exec_lo, exec_lo, s19
.LBB372_1433:                           ;   in Loop: Header=BB372_10 Depth=1
	s_or_b32 exec_lo, exec_lo, s17
.LBB372_1434:                           ;   in Loop: Header=BB372_10 Depth=1
	s_or_b32 exec_lo, exec_lo, s6
	v_mov_b32_e32 v3, 0xff
	s_mov_b32 s6, exec_lo
	v_and_b32_sdwa v3, v26, v3 dst_sel:DWORD dst_unused:UNUSED_PAD src0_sel:WORD_1 src1_sel:DWORD
	v_cmpx_ne_u16_e32 0, v3
	s_cbranch_execz .LBB372_1442
; %bb.1435:                             ;   in Loop: Header=BB372_10 Depth=1
	v_bfrev_b32_e32 v50, 1
	s_mov_b32 s17, exec_lo
	v_cmpx_ne_u16_e32 0x80, v3
	s_cbranch_execz .LBB372_1441
; %bb.1436:                             ;   in Loop: Header=BB372_10 Depth=1
	v_bfe_u32 v12, v26, 16, 7
	v_mov_b32_e32 v50, 0x7f800001
	s_mov_b32 s19, exec_lo
	v_cmpx_ne_u32_e32 0x7f, v12
	s_cbranch_execz .LBB372_1440
; %bb.1437:                             ;   in Loop: Header=BB372_10 Depth=1
	v_mov_b32_e32 v3, 7
	s_mov_b32 s20, exec_lo
	v_and_b32_sdwa v4, v26, v3 dst_sel:DWORD dst_unused:UNUSED_PAD src0_sel:WORD_1 src1_sel:DWORD
	v_mov_b32_e32 v29, v5
	v_lshrrev_b32_e32 v3, 3, v12
	v_mov_b32_e32 v28, v4
	v_cmpx_gt_u32_e32 8, v12
; %bb.1438:                             ;   in Loop: Header=BB372_10 Depth=1
	v_ffbh_u32_e32 v3, v4
	v_min_u32_e32 v3, 32, v3
	v_subrev_nc_u32_e32 v12, 28, v3
	v_sub_nc_u32_e32 v3, 29, v3
	v_lshlrev_b64 v[12:13], v12, v[4:5]
	v_and_b32_e32 v28, 7, v12
; %bb.1439:                             ;   in Loop: Header=BB372_10 Depth=1
	s_or_b32 exec_lo, exec_lo, s20
	v_mov_b32_e32 v4, 24
	v_lshlrev_b32_e32 v12, 20, v28
	v_lshl_add_u32 v3, v3, 23, 0x3c000000
	v_lshlrev_b32_sdwa v4, v4, v26 dst_sel:DWORD dst_unused:UNUSED_PAD src0_sel:DWORD src1_sel:WORD_1
	v_and_b32_e32 v4, 0x80000000, v4
	v_or3_b32 v50, v12, v4, v3
.LBB372_1440:                           ;   in Loop: Header=BB372_10 Depth=1
	s_or_b32 exec_lo, exec_lo, s19
.LBB372_1441:                           ;   in Loop: Header=BB372_10 Depth=1
	s_or_b32 exec_lo, exec_lo, s17
.LBB372_1442:                           ;   in Loop: Header=BB372_10 Depth=1
	s_or_b32 exec_lo, exec_lo, s6
	v_mov_b32_e32 v52, 0
	v_mov_b32_e32 v40, 0
	s_mov_b32 s6, exec_lo
	v_cmpx_lt_u32_e32 0xffffff, v26
	s_cbranch_execz .LBB372_1450
; %bb.1443:                             ;   in Loop: Header=BB372_10 Depth=1
	v_cmp_ne_u32_sdwa s5, v26, v71 src0_sel:BYTE_3 src1_sel:DWORD
	v_bfrev_b32_e32 v40, 1
	s_and_saveexec_b32 s17, s5
	s_cbranch_execz .LBB372_1449
; %bb.1444:                             ;   in Loop: Header=BB372_10 Depth=1
	v_bfe_u32 v12, v26, 24, 7
	v_mov_b32_e32 v40, 0x7f800001
	s_mov_b32 s19, exec_lo
	v_cmpx_ne_u32_e32 0x7f, v12
	s_cbranch_execz .LBB372_1448
; %bb.1445:                             ;   in Loop: Header=BB372_10 Depth=1
	v_mov_b32_e32 v3, 7
	s_mov_b32 s20, exec_lo
	v_and_b32_sdwa v4, v26, v3 dst_sel:DWORD dst_unused:UNUSED_PAD src0_sel:BYTE_3 src1_sel:DWORD
	v_mov_b32_e32 v29, v5
	v_lshrrev_b32_e32 v3, 3, v12
	v_mov_b32_e32 v28, v4
	v_cmpx_gt_u32_e32 8, v12
; %bb.1446:                             ;   in Loop: Header=BB372_10 Depth=1
	v_ffbh_u32_e32 v3, v4
	v_min_u32_e32 v3, 32, v3
	v_subrev_nc_u32_e32 v12, 28, v3
	v_sub_nc_u32_e32 v3, 29, v3
	v_lshlrev_b64 v[12:13], v12, v[4:5]
	v_and_b32_e32 v28, 7, v12
; %bb.1447:                             ;   in Loop: Header=BB372_10 Depth=1
	s_or_b32 exec_lo, exec_lo, s20
	v_mov_b32_e32 v4, 24
	v_lshlrev_b32_e32 v12, 20, v28
	v_lshl_add_u32 v3, v3, 23, 0x3c000000
	v_lshlrev_b32_sdwa v4, v4, v26 dst_sel:DWORD dst_unused:UNUSED_PAD src0_sel:DWORD src1_sel:BYTE_3
	v_and_b32_e32 v4, 0x80000000, v4
	v_or3_b32 v40, v12, v4, v3
.LBB372_1448:                           ;   in Loop: Header=BB372_10 Depth=1
	s_or_b32 exec_lo, exec_lo, s19
.LBB372_1449:                           ;   in Loop: Header=BB372_10 Depth=1
	s_or_b32 exec_lo, exec_lo, s17
.LBB372_1450:                           ;   in Loop: Header=BB372_10 Depth=1
	s_or_b32 exec_lo, exec_lo, s6
	v_mov_b32_e32 v4, v27
	v_cmp_ne_u16_sdwa s5, v27, v5 src0_sel:BYTE_0 src1_sel:DWORD
	s_and_saveexec_b32 s6, s5
	s_cbranch_execz .LBB372_1458
; %bb.1451:                             ;   in Loop: Header=BB372_10 Depth=1
	v_cmp_ne_u16_sdwa s5, v27, v71 src0_sel:BYTE_0 src1_sel:DWORD
	v_bfrev_b32_e32 v52, 1
	s_and_saveexec_b32 s17, s5
	s_cbranch_execz .LBB372_1457
; %bb.1452:                             ;   in Loop: Header=BB372_10 Depth=1
	v_and_b32_e32 v12, 0x7f, v27
	v_mov_b32_e32 v52, 0x7f800001
	s_mov_b32 s19, exec_lo
	v_cmpx_ne_u32_e32 0x7f, v12
	s_cbranch_execz .LBB372_1456
; %bb.1453:                             ;   in Loop: Header=BB372_10 Depth=1
	v_mov_b32_e32 v29, v5
	v_mov_b32_e32 v28, v4
	v_lshrrev_b32_e32 v3, 3, v12
	s_mov_b32 s20, exec_lo
	v_cmpx_gt_u32_e32 8, v12
; %bb.1454:                             ;   in Loop: Header=BB372_10 Depth=1
	v_and_b32_e32 v3, 7, v27
	v_ffbh_u32_e32 v3, v3
	v_min_u32_e32 v3, 32, v3
	v_subrev_nc_u32_e32 v12, 28, v3
	v_sub_nc_u32_e32 v3, 29, v3
	v_lshlrev_b64 v[28:29], v12, v[4:5]
; %bb.1455:                             ;   in Loop: Header=BB372_10 Depth=1
	s_or_b32 exec_lo, exec_lo, s20
	v_lshlrev_b32_e32 v12, 20, v28
	v_lshlrev_b32_e32 v13, 24, v4
	v_lshl_add_u32 v3, v3, 23, 0x3c000000
	v_and_b32_e32 v12, 0x700000, v12
	v_and_b32_e32 v13, 0x80000000, v13
	v_or3_b32 v52, v12, v13, v3
.LBB372_1456:                           ;   in Loop: Header=BB372_10 Depth=1
	s_or_b32 exec_lo, exec_lo, s19
.LBB372_1457:                           ;   in Loop: Header=BB372_10 Depth=1
	s_or_b32 exec_lo, exec_lo, s17
.LBB372_1458:                           ;   in Loop: Header=BB372_10 Depth=1
	s_or_b32 exec_lo, exec_lo, s6
	v_cmp_ne_u16_sdwa s5, v4, v5 src0_sel:BYTE_1 src1_sel:DWORD
	v_mov_b32_e32 v35, 0
	v_mov_b32_e32 v118, 0
	s_and_saveexec_b32 s6, s5
	s_cbranch_execz .LBB372_1466
; %bb.1459:                             ;   in Loop: Header=BB372_10 Depth=1
	v_cmp_ne_u16_sdwa s5, v4, v71 src0_sel:BYTE_1 src1_sel:DWORD
	v_bfrev_b32_e32 v118, 1
	s_and_saveexec_b32 s17, s5
	s_cbranch_execz .LBB372_1465
; %bb.1460:                             ;   in Loop: Header=BB372_10 Depth=1
	v_mov_b32_e32 v3, 0xffff
	v_mov_b32_e32 v118, 0x7f800001
	s_mov_b32 s19, exec_lo
	v_and_b32_sdwa v3, v3, v4 dst_sel:DWORD dst_unused:UNUSED_PAD src0_sel:DWORD src1_sel:BYTE_1
	v_and_b32_e32 v12, 0x7f, v3
	v_cmpx_ne_u32_e32 0x7f, v12
	s_cbranch_execz .LBB372_1464
; %bb.1461:                             ;   in Loop: Header=BB372_10 Depth=1
	v_and_b32_e32 v28, 7, v3
	v_mov_b32_e32 v29, v5
	v_lshrrev_b32_e32 v3, 3, v12
	s_mov_b32 s20, exec_lo
	v_cmpx_gt_u32_e32 8, v12
; %bb.1462:                             ;   in Loop: Header=BB372_10 Depth=1
	v_ffbh_u32_e32 v3, v28
	v_min_u32_e32 v3, 32, v3
	v_subrev_nc_u32_e32 v12, 28, v3
	v_sub_nc_u32_e32 v3, 29, v3
	v_lshlrev_b64 v[12:13], v12, v[28:29]
	v_and_b32_e32 v28, 7, v12
; %bb.1463:                             ;   in Loop: Header=BB372_10 Depth=1
	s_or_b32 exec_lo, exec_lo, s20
	v_lshlrev_b32_e32 v4, 16, v4
	v_lshlrev_b32_e32 v12, 20, v28
	v_lshl_add_u32 v3, v3, 23, 0x3c000000
	v_and_b32_e32 v4, 0x80000000, v4
	v_or3_b32 v118, v12, v4, v3
.LBB372_1464:                           ;   in Loop: Header=BB372_10 Depth=1
	s_or_b32 exec_lo, exec_lo, s19
.LBB372_1465:                           ;   in Loop: Header=BB372_10 Depth=1
	s_or_b32 exec_lo, exec_lo, s17
.LBB372_1466:                           ;   in Loop: Header=BB372_10 Depth=1
	s_or_b32 exec_lo, exec_lo, s6
	v_mov_b32_e32 v3, 0xff
	s_mov_b32 s6, exec_lo
	v_and_b32_sdwa v3, v27, v3 dst_sel:DWORD dst_unused:UNUSED_PAD src0_sel:WORD_1 src1_sel:DWORD
	v_cmpx_ne_u16_e32 0, v3
	s_cbranch_execz .LBB372_1474
; %bb.1467:                             ;   in Loop: Header=BB372_10 Depth=1
	v_bfrev_b32_e32 v35, 1
	s_mov_b32 s17, exec_lo
	v_cmpx_ne_u16_e32 0x80, v3
	s_cbranch_execz .LBB372_1473
; %bb.1468:                             ;   in Loop: Header=BB372_10 Depth=1
	v_bfe_u32 v12, v27, 16, 7
	v_mov_b32_e32 v35, 0x7f800001
	s_mov_b32 s19, exec_lo
	v_cmpx_ne_u32_e32 0x7f, v12
	s_cbranch_execz .LBB372_1472
; %bb.1469:                             ;   in Loop: Header=BB372_10 Depth=1
	v_mov_b32_e32 v3, 7
	s_mov_b32 s20, exec_lo
	v_and_b32_sdwa v4, v27, v3 dst_sel:DWORD dst_unused:UNUSED_PAD src0_sel:WORD_1 src1_sel:DWORD
	v_mov_b32_e32 v29, v5
	v_lshrrev_b32_e32 v3, 3, v12
	v_mov_b32_e32 v28, v4
	v_cmpx_gt_u32_e32 8, v12
; %bb.1470:                             ;   in Loop: Header=BB372_10 Depth=1
	v_ffbh_u32_e32 v3, v4
	v_min_u32_e32 v3, 32, v3
	v_subrev_nc_u32_e32 v12, 28, v3
	v_sub_nc_u32_e32 v3, 29, v3
	v_lshlrev_b64 v[12:13], v12, v[4:5]
	v_and_b32_e32 v28, 7, v12
; %bb.1471:                             ;   in Loop: Header=BB372_10 Depth=1
	s_or_b32 exec_lo, exec_lo, s20
	v_mov_b32_e32 v4, 24
	v_lshlrev_b32_e32 v12, 20, v28
	v_lshl_add_u32 v3, v3, 23, 0x3c000000
	v_lshlrev_b32_sdwa v4, v4, v27 dst_sel:DWORD dst_unused:UNUSED_PAD src0_sel:DWORD src1_sel:WORD_1
	v_and_b32_e32 v4, 0x80000000, v4
	v_or3_b32 v35, v12, v4, v3
.LBB372_1472:                           ;   in Loop: Header=BB372_10 Depth=1
	s_or_b32 exec_lo, exec_lo, s19
.LBB372_1473:                           ;   in Loop: Header=BB372_10 Depth=1
	s_or_b32 exec_lo, exec_lo, s17
.LBB372_1474:                           ;   in Loop: Header=BB372_10 Depth=1
	s_or_b32 exec_lo, exec_lo, s6
	v_mov_b32_e32 v81, 0
	v_mov_b32_e32 v39, 0
	s_mov_b32 s6, exec_lo
	v_cmpx_lt_u64_e64 s[8:9], v[26:27]
	s_cbranch_execz .LBB372_1482
; %bb.1475:                             ;   in Loop: Header=BB372_10 Depth=1
	v_cmp_ne_u32_sdwa s5, v27, v71 src0_sel:BYTE_3 src1_sel:DWORD
	v_bfrev_b32_e32 v39, 1
	s_and_saveexec_b32 s17, s5
	s_cbranch_execz .LBB372_1481
; %bb.1476:                             ;   in Loop: Header=BB372_10 Depth=1
	v_bfe_u32 v12, v27, 24, 7
	v_mov_b32_e32 v39, 0x7f800001
	s_mov_b32 s19, exec_lo
	v_cmpx_ne_u32_e32 0x7f, v12
	s_cbranch_execz .LBB372_1480
; %bb.1477:                             ;   in Loop: Header=BB372_10 Depth=1
	v_mov_b32_e32 v3, 7
	s_mov_b32 s20, exec_lo
	v_and_b32_sdwa v4, v27, v3 dst_sel:DWORD dst_unused:UNUSED_PAD src0_sel:BYTE_3 src1_sel:DWORD
	v_mov_b32_e32 v29, v5
	v_lshrrev_b32_e32 v3, 3, v12
	v_mov_b32_e32 v28, v4
	v_cmpx_gt_u32_e32 8, v12
; %bb.1478:                             ;   in Loop: Header=BB372_10 Depth=1
	v_ffbh_u32_e32 v3, v4
	v_min_u32_e32 v3, 32, v3
	v_subrev_nc_u32_e32 v12, 28, v3
	v_sub_nc_u32_e32 v3, 29, v3
	v_lshlrev_b64 v[12:13], v12, v[4:5]
	v_and_b32_e32 v28, 7, v12
; %bb.1479:                             ;   in Loop: Header=BB372_10 Depth=1
	s_or_b32 exec_lo, exec_lo, s20
	v_mov_b32_e32 v4, 24
	v_lshlrev_b32_e32 v12, 20, v28
	v_lshl_add_u32 v3, v3, 23, 0x3c000000
	v_lshlrev_b32_sdwa v4, v4, v27 dst_sel:DWORD dst_unused:UNUSED_PAD src0_sel:DWORD src1_sel:BYTE_3
	v_and_b32_e32 v4, 0x80000000, v4
	v_or3_b32 v39, v12, v4, v3
.LBB372_1480:                           ;   in Loop: Header=BB372_10 Depth=1
	s_or_b32 exec_lo, exec_lo, s19
.LBB372_1481:                           ;   in Loop: Header=BB372_10 Depth=1
	s_or_b32 exec_lo, exec_lo, s17
.LBB372_1482:                           ;   in Loop: Header=BB372_10 Depth=1
	s_or_b32 exec_lo, exec_lo, s6
	flat_load_dwordx2 v[24:25], v[24:25] offset:1544
	s_waitcnt vmcnt(0) lgkmcnt(0)
	v_cmp_ne_u16_sdwa s5, v24, v5 src0_sel:BYTE_0 src1_sel:DWORD
	s_and_saveexec_b32 s6, s5
	s_cbranch_execz .LBB372_1490
; %bb.1483:                             ;   in Loop: Header=BB372_10 Depth=1
	v_cmp_ne_u16_sdwa s5, v24, v71 src0_sel:BYTE_0 src1_sel:DWORD
	v_bfrev_b32_e32 v81, 1
	s_and_saveexec_b32 s17, s5
	s_cbranch_execz .LBB372_1489
; %bb.1484:                             ;   in Loop: Header=BB372_10 Depth=1
	v_and_b32_e32 v4, 0x7f, v24
	v_mov_b32_e32 v81, 0x7f800001
	s_mov_b32 s19, exec_lo
	v_cmpx_ne_u32_e32 0x7f, v4
	s_cbranch_execz .LBB372_1488
; %bb.1485:                             ;   in Loop: Header=BB372_10 Depth=1
	v_mov_b32_e32 v27, v25
	v_lshrrev_b32_e32 v3, 3, v4
	v_mov_b32_e32 v26, v24
	s_mov_b32 s20, exec_lo
	v_cmpx_gt_u32_e32 8, v4
; %bb.1486:                             ;   in Loop: Header=BB372_10 Depth=1
	v_and_b32_e32 v3, 7, v24
	v_ffbh_u32_e32 v3, v3
	v_min_u32_e32 v3, 32, v3
	v_subrev_nc_u32_e32 v4, 28, v3
	v_sub_nc_u32_e32 v3, 29, v3
	v_lshlrev_b64 v[26:27], v4, v[24:25]
; %bb.1487:                             ;   in Loop: Header=BB372_10 Depth=1
	s_or_b32 exec_lo, exec_lo, s20
	v_lshlrev_b32_e32 v4, 20, v26
	v_lshlrev_b32_e32 v12, 24, v24
	v_lshl_add_u32 v3, v3, 23, 0x3c000000
	v_and_b32_e32 v4, 0x700000, v4
	v_and_b32_e32 v12, 0x80000000, v12
	v_or3_b32 v81, v4, v12, v3
.LBB372_1488:                           ;   in Loop: Header=BB372_10 Depth=1
	s_or_b32 exec_lo, exec_lo, s19
.LBB372_1489:                           ;   in Loop: Header=BB372_10 Depth=1
	s_or_b32 exec_lo, exec_lo, s17
.LBB372_1490:                           ;   in Loop: Header=BB372_10 Depth=1
	s_or_b32 exec_lo, exec_lo, s6
	v_cmp_ne_u16_sdwa s5, v24, v5 src0_sel:BYTE_1 src1_sel:DWORD
	v_mov_b32_e32 v64, 0
	v_mov_b32_e32 v54, 0
	s_and_saveexec_b32 s6, s5
	s_cbranch_execz .LBB372_1498
; %bb.1491:                             ;   in Loop: Header=BB372_10 Depth=1
	v_cmp_ne_u16_sdwa s5, v24, v71 src0_sel:BYTE_1 src1_sel:DWORD
	v_bfrev_b32_e32 v54, 1
	s_and_saveexec_b32 s17, s5
	s_cbranch_execz .LBB372_1497
; %bb.1492:                             ;   in Loop: Header=BB372_10 Depth=1
	v_mov_b32_e32 v3, 0xffff
	v_mov_b32_e32 v54, 0x7f800001
	s_mov_b32 s19, exec_lo
	v_and_b32_sdwa v3, v3, v24 dst_sel:DWORD dst_unused:UNUSED_PAD src0_sel:DWORD src1_sel:BYTE_1
	v_and_b32_e32 v12, 0x7f, v3
	v_cmpx_ne_u32_e32 0x7f, v12
	s_cbranch_execz .LBB372_1496
; %bb.1493:                             ;   in Loop: Header=BB372_10 Depth=1
	v_and_b32_e32 v4, 7, v3
	v_mov_b32_e32 v27, v5
	v_lshrrev_b32_e32 v3, 3, v12
	s_mov_b32 s20, exec_lo
	v_mov_b32_e32 v26, v4
	v_cmpx_gt_u32_e32 8, v12
; %bb.1494:                             ;   in Loop: Header=BB372_10 Depth=1
	v_ffbh_u32_e32 v3, v4
	v_min_u32_e32 v3, 32, v3
	v_subrev_nc_u32_e32 v12, 28, v3
	v_sub_nc_u32_e32 v3, 29, v3
	v_lshlrev_b64 v[12:13], v12, v[4:5]
	v_and_b32_e32 v26, 7, v12
; %bb.1495:                             ;   in Loop: Header=BB372_10 Depth=1
	s_or_b32 exec_lo, exec_lo, s20
	v_lshlrev_b32_e32 v4, 16, v24
	v_lshlrev_b32_e32 v12, 20, v26
	v_lshl_add_u32 v3, v3, 23, 0x3c000000
	v_and_b32_e32 v4, 0x80000000, v4
	v_or3_b32 v54, v12, v4, v3
.LBB372_1496:                           ;   in Loop: Header=BB372_10 Depth=1
	s_or_b32 exec_lo, exec_lo, s19
.LBB372_1497:                           ;   in Loop: Header=BB372_10 Depth=1
	s_or_b32 exec_lo, exec_lo, s17
.LBB372_1498:                           ;   in Loop: Header=BB372_10 Depth=1
	s_or_b32 exec_lo, exec_lo, s6
	v_mov_b32_e32 v3, 0xff
	s_mov_b32 s6, exec_lo
	v_and_b32_sdwa v3, v24, v3 dst_sel:DWORD dst_unused:UNUSED_PAD src0_sel:WORD_1 src1_sel:DWORD
	v_cmpx_ne_u16_e32 0, v3
	s_cbranch_execz .LBB372_1506
; %bb.1499:                             ;   in Loop: Header=BB372_10 Depth=1
	v_bfrev_b32_e32 v64, 1
	s_mov_b32 s17, exec_lo
	v_cmpx_ne_u16_e32 0x80, v3
	s_cbranch_execz .LBB372_1505
; %bb.1500:                             ;   in Loop: Header=BB372_10 Depth=1
	v_bfe_u32 v12, v24, 16, 7
	v_mov_b32_e32 v64, 0x7f800001
	s_mov_b32 s19, exec_lo
	v_cmpx_ne_u32_e32 0x7f, v12
	s_cbranch_execz .LBB372_1504
; %bb.1501:                             ;   in Loop: Header=BB372_10 Depth=1
	v_mov_b32_e32 v3, 7
	s_mov_b32 s20, exec_lo
	v_and_b32_sdwa v4, v24, v3 dst_sel:DWORD dst_unused:UNUSED_PAD src0_sel:WORD_1 src1_sel:DWORD
	v_mov_b32_e32 v27, v5
	v_lshrrev_b32_e32 v3, 3, v12
	v_mov_b32_e32 v26, v4
	v_cmpx_gt_u32_e32 8, v12
; %bb.1502:                             ;   in Loop: Header=BB372_10 Depth=1
	v_ffbh_u32_e32 v3, v4
	v_min_u32_e32 v3, 32, v3
	v_subrev_nc_u32_e32 v12, 28, v3
	v_sub_nc_u32_e32 v3, 29, v3
	v_lshlrev_b64 v[12:13], v12, v[4:5]
	v_and_b32_e32 v26, 7, v12
; %bb.1503:                             ;   in Loop: Header=BB372_10 Depth=1
	s_or_b32 exec_lo, exec_lo, s20
	v_mov_b32_e32 v4, 24
	v_lshlrev_b32_e32 v12, 20, v26
	v_lshl_add_u32 v3, v3, 23, 0x3c000000
	v_lshlrev_b32_sdwa v4, v4, v24 dst_sel:DWORD dst_unused:UNUSED_PAD src0_sel:DWORD src1_sel:WORD_1
	v_and_b32_e32 v4, 0x80000000, v4
	v_or3_b32 v64, v12, v4, v3
.LBB372_1504:                           ;   in Loop: Header=BB372_10 Depth=1
	s_or_b32 exec_lo, exec_lo, s19
.LBB372_1505:                           ;   in Loop: Header=BB372_10 Depth=1
	s_or_b32 exec_lo, exec_lo, s17
.LBB372_1506:                           ;   in Loop: Header=BB372_10 Depth=1
	s_or_b32 exec_lo, exec_lo, s6
	v_mov_b32_e32 v66, 0
	v_mov_b32_e32 v55, 0
	s_mov_b32 s6, exec_lo
	v_cmpx_lt_u32_e32 0xffffff, v24
	s_cbranch_execz .LBB372_1514
; %bb.1507:                             ;   in Loop: Header=BB372_10 Depth=1
	v_cmp_ne_u32_sdwa s5, v24, v71 src0_sel:BYTE_3 src1_sel:DWORD
	v_bfrev_b32_e32 v55, 1
	s_and_saveexec_b32 s17, s5
	s_cbranch_execz .LBB372_1513
; %bb.1508:                             ;   in Loop: Header=BB372_10 Depth=1
	v_bfe_u32 v12, v24, 24, 7
	v_mov_b32_e32 v55, 0x7f800001
	s_mov_b32 s19, exec_lo
	v_cmpx_ne_u32_e32 0x7f, v12
	s_cbranch_execz .LBB372_1512
; %bb.1509:                             ;   in Loop: Header=BB372_10 Depth=1
	v_mov_b32_e32 v3, 7
	s_mov_b32 s20, exec_lo
	v_and_b32_sdwa v4, v24, v3 dst_sel:DWORD dst_unused:UNUSED_PAD src0_sel:BYTE_3 src1_sel:DWORD
	v_mov_b32_e32 v27, v5
	v_lshrrev_b32_e32 v3, 3, v12
	v_mov_b32_e32 v26, v4
	v_cmpx_gt_u32_e32 8, v12
; %bb.1510:                             ;   in Loop: Header=BB372_10 Depth=1
	v_ffbh_u32_e32 v3, v4
	v_min_u32_e32 v3, 32, v3
	v_subrev_nc_u32_e32 v12, 28, v3
	v_sub_nc_u32_e32 v3, 29, v3
	v_lshlrev_b64 v[12:13], v12, v[4:5]
	v_and_b32_e32 v26, 7, v12
; %bb.1511:                             ;   in Loop: Header=BB372_10 Depth=1
	s_or_b32 exec_lo, exec_lo, s20
	v_mov_b32_e32 v4, 24
	v_lshlrev_b32_e32 v12, 20, v26
	v_lshl_add_u32 v3, v3, 23, 0x3c000000
	v_lshlrev_b32_sdwa v4, v4, v24 dst_sel:DWORD dst_unused:UNUSED_PAD src0_sel:DWORD src1_sel:BYTE_3
	v_and_b32_e32 v4, 0x80000000, v4
	v_or3_b32 v55, v12, v4, v3
.LBB372_1512:                           ;   in Loop: Header=BB372_10 Depth=1
	s_or_b32 exec_lo, exec_lo, s19
.LBB372_1513:                           ;   in Loop: Header=BB372_10 Depth=1
	s_or_b32 exec_lo, exec_lo, s17
.LBB372_1514:                           ;   in Loop: Header=BB372_10 Depth=1
	s_or_b32 exec_lo, exec_lo, s6
	v_mov_b32_e32 v4, v25
	v_cmp_ne_u16_sdwa s5, v25, v5 src0_sel:BYTE_0 src1_sel:DWORD
	s_and_saveexec_b32 s6, s5
	s_cbranch_execz .LBB372_1522
; %bb.1515:                             ;   in Loop: Header=BB372_10 Depth=1
	v_cmp_ne_u16_sdwa s5, v25, v71 src0_sel:BYTE_0 src1_sel:DWORD
	v_bfrev_b32_e32 v66, 1
	s_and_saveexec_b32 s17, s5
	s_cbranch_execz .LBB372_1521
; %bb.1516:                             ;   in Loop: Header=BB372_10 Depth=1
	v_and_b32_e32 v12, 0x7f, v25
	v_mov_b32_e32 v66, 0x7f800001
	s_mov_b32 s19, exec_lo
	v_cmpx_ne_u32_e32 0x7f, v12
	s_cbranch_execz .LBB372_1520
; %bb.1517:                             ;   in Loop: Header=BB372_10 Depth=1
	v_mov_b32_e32 v27, v5
	v_mov_b32_e32 v26, v4
	v_lshrrev_b32_e32 v3, 3, v12
	s_mov_b32 s20, exec_lo
	v_cmpx_gt_u32_e32 8, v12
; %bb.1518:                             ;   in Loop: Header=BB372_10 Depth=1
	v_and_b32_e32 v3, 7, v25
	v_ffbh_u32_e32 v3, v3
	v_min_u32_e32 v3, 32, v3
	v_subrev_nc_u32_e32 v12, 28, v3
	v_sub_nc_u32_e32 v3, 29, v3
	v_lshlrev_b64 v[26:27], v12, v[4:5]
; %bb.1519:                             ;   in Loop: Header=BB372_10 Depth=1
	s_or_b32 exec_lo, exec_lo, s20
	v_lshlrev_b32_e32 v12, 20, v26
	v_lshlrev_b32_e32 v13, 24, v4
	v_lshl_add_u32 v3, v3, 23, 0x3c000000
	v_and_b32_e32 v12, 0x700000, v12
	v_and_b32_e32 v13, 0x80000000, v13
	v_or3_b32 v66, v12, v13, v3
.LBB372_1520:                           ;   in Loop: Header=BB372_10 Depth=1
	s_or_b32 exec_lo, exec_lo, s19
.LBB372_1521:                           ;   in Loop: Header=BB372_10 Depth=1
	s_or_b32 exec_lo, exec_lo, s17
.LBB372_1522:                           ;   in Loop: Header=BB372_10 Depth=1
	s_or_b32 exec_lo, exec_lo, s6
	v_cmp_ne_u16_sdwa s5, v4, v5 src0_sel:BYTE_1 src1_sel:DWORD
	v_mov_b32_e32 v28, 0
	v_mov_b32_e32 v97, 0
	s_and_saveexec_b32 s6, s5
	s_cbranch_execz .LBB372_1530
; %bb.1523:                             ;   in Loop: Header=BB372_10 Depth=1
	v_cmp_ne_u16_sdwa s5, v4, v71 src0_sel:BYTE_1 src1_sel:DWORD
	v_bfrev_b32_e32 v97, 1
	s_and_saveexec_b32 s17, s5
	s_cbranch_execz .LBB372_1529
; %bb.1524:                             ;   in Loop: Header=BB372_10 Depth=1
	v_mov_b32_e32 v3, 0xffff
	v_mov_b32_e32 v97, 0x7f800001
	s_mov_b32 s19, exec_lo
	v_and_b32_sdwa v3, v3, v4 dst_sel:DWORD dst_unused:UNUSED_PAD src0_sel:DWORD src1_sel:BYTE_1
	v_and_b32_e32 v12, 0x7f, v3
	v_cmpx_ne_u32_e32 0x7f, v12
	s_cbranch_execz .LBB372_1528
; %bb.1525:                             ;   in Loop: Header=BB372_10 Depth=1
	v_and_b32_e32 v26, 7, v3
	v_mov_b32_e32 v27, v5
	v_lshrrev_b32_e32 v3, 3, v12
	s_mov_b32 s20, exec_lo
	v_cmpx_gt_u32_e32 8, v12
; %bb.1526:                             ;   in Loop: Header=BB372_10 Depth=1
	v_ffbh_u32_e32 v3, v26
	v_min_u32_e32 v3, 32, v3
	v_subrev_nc_u32_e32 v12, 28, v3
	v_sub_nc_u32_e32 v3, 29, v3
	v_lshlrev_b64 v[12:13], v12, v[26:27]
	v_and_b32_e32 v26, 7, v12
; %bb.1527:                             ;   in Loop: Header=BB372_10 Depth=1
	s_or_b32 exec_lo, exec_lo, s20
	v_lshlrev_b32_e32 v4, 16, v4
	v_lshlrev_b32_e32 v12, 20, v26
	v_lshl_add_u32 v3, v3, 23, 0x3c000000
	v_and_b32_e32 v4, 0x80000000, v4
	v_or3_b32 v97, v12, v4, v3
.LBB372_1528:                           ;   in Loop: Header=BB372_10 Depth=1
	s_or_b32 exec_lo, exec_lo, s19
.LBB372_1529:                           ;   in Loop: Header=BB372_10 Depth=1
	s_or_b32 exec_lo, exec_lo, s17
.LBB372_1530:                           ;   in Loop: Header=BB372_10 Depth=1
	s_or_b32 exec_lo, exec_lo, s6
	v_mov_b32_e32 v3, 0xff
	s_mov_b32 s6, exec_lo
	v_and_b32_sdwa v3, v25, v3 dst_sel:DWORD dst_unused:UNUSED_PAD src0_sel:WORD_1 src1_sel:DWORD
	v_cmpx_ne_u16_e32 0, v3
	s_cbranch_execz .LBB372_1538
; %bb.1531:                             ;   in Loop: Header=BB372_10 Depth=1
	v_bfrev_b32_e32 v28, 1
	s_mov_b32 s17, exec_lo
	v_cmpx_ne_u16_e32 0x80, v3
	s_cbranch_execz .LBB372_1537
; %bb.1532:                             ;   in Loop: Header=BB372_10 Depth=1
	v_bfe_u32 v12, v25, 16, 7
	v_mov_b32_e32 v28, 0x7f800001
	s_mov_b32 s19, exec_lo
	v_cmpx_ne_u32_e32 0x7f, v12
	s_cbranch_execz .LBB372_1536
; %bb.1533:                             ;   in Loop: Header=BB372_10 Depth=1
	v_mov_b32_e32 v3, 7
	s_mov_b32 s20, exec_lo
	v_and_b32_sdwa v4, v25, v3 dst_sel:DWORD dst_unused:UNUSED_PAD src0_sel:WORD_1 src1_sel:DWORD
	v_mov_b32_e32 v27, v5
	v_lshrrev_b32_e32 v3, 3, v12
	v_mov_b32_e32 v26, v4
	v_cmpx_gt_u32_e32 8, v12
; %bb.1534:                             ;   in Loop: Header=BB372_10 Depth=1
	v_ffbh_u32_e32 v3, v4
	v_min_u32_e32 v3, 32, v3
	v_subrev_nc_u32_e32 v12, 28, v3
	v_sub_nc_u32_e32 v3, 29, v3
	v_lshlrev_b64 v[12:13], v12, v[4:5]
	v_and_b32_e32 v26, 7, v12
; %bb.1535:                             ;   in Loop: Header=BB372_10 Depth=1
	s_or_b32 exec_lo, exec_lo, s20
	v_mov_b32_e32 v4, 24
	v_lshlrev_b32_e32 v12, 20, v26
	v_lshl_add_u32 v3, v3, 23, 0x3c000000
	v_lshlrev_b32_sdwa v4, v4, v25 dst_sel:DWORD dst_unused:UNUSED_PAD src0_sel:DWORD src1_sel:WORD_1
	v_and_b32_e32 v4, 0x80000000, v4
	v_or3_b32 v28, v12, v4, v3
.LBB372_1536:                           ;   in Loop: Header=BB372_10 Depth=1
	s_or_b32 exec_lo, exec_lo, s19
.LBB372_1537:                           ;   in Loop: Header=BB372_10 Depth=1
	s_or_b32 exec_lo, exec_lo, s17
.LBB372_1538:                           ;   in Loop: Header=BB372_10 Depth=1
	s_or_b32 exec_lo, exec_lo, s6
	v_mov_b32_e32 v70, 0
	v_mov_b32_e32 v23, 0
	s_mov_b32 s6, exec_lo
	v_cmpx_lt_u64_e64 s[8:9], v[24:25]
	s_cbranch_execz .LBB372_1546
; %bb.1539:                             ;   in Loop: Header=BB372_10 Depth=1
	v_cmp_ne_u32_sdwa s5, v25, v71 src0_sel:BYTE_3 src1_sel:DWORD
	v_bfrev_b32_e32 v23, 1
	s_and_saveexec_b32 s17, s5
	s_cbranch_execz .LBB372_1545
; %bb.1540:                             ;   in Loop: Header=BB372_10 Depth=1
	v_bfe_u32 v12, v25, 24, 7
	v_mov_b32_e32 v23, 0x7f800001
	s_mov_b32 s19, exec_lo
	v_cmpx_ne_u32_e32 0x7f, v12
	s_cbranch_execz .LBB372_1544
; %bb.1541:                             ;   in Loop: Header=BB372_10 Depth=1
	v_mov_b32_e32 v3, 7
	s_mov_b32 s20, exec_lo
	v_and_b32_sdwa v4, v25, v3 dst_sel:DWORD dst_unused:UNUSED_PAD src0_sel:BYTE_3 src1_sel:DWORD
	v_mov_b32_e32 v27, v5
	v_lshrrev_b32_e32 v3, 3, v12
	v_mov_b32_e32 v26, v4
	v_cmpx_gt_u32_e32 8, v12
; %bb.1542:                             ;   in Loop: Header=BB372_10 Depth=1
	v_ffbh_u32_e32 v3, v4
	v_min_u32_e32 v3, 32, v3
	v_subrev_nc_u32_e32 v12, 28, v3
	v_sub_nc_u32_e32 v3, 29, v3
	v_lshlrev_b64 v[12:13], v12, v[4:5]
	v_and_b32_e32 v26, 7, v12
; %bb.1543:                             ;   in Loop: Header=BB372_10 Depth=1
	s_or_b32 exec_lo, exec_lo, s20
	v_mov_b32_e32 v4, 24
	v_lshlrev_b32_e32 v12, 20, v26
	v_lshl_add_u32 v3, v3, 23, 0x3c000000
	v_lshlrev_b32_sdwa v4, v4, v25 dst_sel:DWORD dst_unused:UNUSED_PAD src0_sel:DWORD src1_sel:BYTE_3
	v_and_b32_e32 v4, 0x80000000, v4
	v_or3_b32 v23, v12, v4, v3
.LBB372_1544:                           ;   in Loop: Header=BB372_10 Depth=1
	s_or_b32 exec_lo, exec_lo, s19
.LBB372_1545:                           ;   in Loop: Header=BB372_10 Depth=1
	s_or_b32 exec_lo, exec_lo, s17
.LBB372_1546:                           ;   in Loop: Header=BB372_10 Depth=1
	s_or_b32 exec_lo, exec_lo, s6
	v_add_co_u32 v16, s5, 0x1800, v16
	v_add_co_ci_u32_e64 v17, null, 0, v17, s5
	flat_load_dwordx2 v[24:25], v[16:17]
	s_waitcnt vmcnt(0) lgkmcnt(0)
	v_cmp_ne_u16_sdwa s5, v24, v5 src0_sel:BYTE_0 src1_sel:DWORD
	s_and_saveexec_b32 s6, s5
	s_cbranch_execz .LBB372_1554
; %bb.1547:                             ;   in Loop: Header=BB372_10 Depth=1
	v_cmp_ne_u16_sdwa s5, v24, v71 src0_sel:BYTE_0 src1_sel:DWORD
	v_bfrev_b32_e32 v70, 1
	s_and_saveexec_b32 s17, s5
	s_cbranch_execz .LBB372_1553
; %bb.1548:                             ;   in Loop: Header=BB372_10 Depth=1
	v_and_b32_e32 v4, 0x7f, v24
	v_mov_b32_e32 v70, 0x7f800001
	s_mov_b32 s19, exec_lo
	v_cmpx_ne_u32_e32 0x7f, v4
	s_cbranch_execz .LBB372_1552
; %bb.1549:                             ;   in Loop: Header=BB372_10 Depth=1
	v_mov_b32_e32 v27, v25
	v_lshrrev_b32_e32 v3, 3, v4
	v_mov_b32_e32 v26, v24
	s_mov_b32 s20, exec_lo
	v_cmpx_gt_u32_e32 8, v4
; %bb.1550:                             ;   in Loop: Header=BB372_10 Depth=1
	v_and_b32_e32 v3, 7, v24
	v_ffbh_u32_e32 v3, v3
	v_min_u32_e32 v3, 32, v3
	v_subrev_nc_u32_e32 v4, 28, v3
	v_sub_nc_u32_e32 v3, 29, v3
	v_lshlrev_b64 v[26:27], v4, v[24:25]
; %bb.1551:                             ;   in Loop: Header=BB372_10 Depth=1
	s_or_b32 exec_lo, exec_lo, s20
	v_lshlrev_b32_e32 v4, 20, v26
	v_lshlrev_b32_e32 v12, 24, v24
	v_lshl_add_u32 v3, v3, 23, 0x3c000000
	v_and_b32_e32 v4, 0x700000, v4
	v_and_b32_e32 v12, 0x80000000, v12
	v_or3_b32 v70, v4, v12, v3
.LBB372_1552:                           ;   in Loop: Header=BB372_10 Depth=1
	s_or_b32 exec_lo, exec_lo, s19
.LBB372_1553:                           ;   in Loop: Header=BB372_10 Depth=1
	s_or_b32 exec_lo, exec_lo, s17
.LBB372_1554:                           ;   in Loop: Header=BB372_10 Depth=1
	s_or_b32 exec_lo, exec_lo, s6
	v_cmp_ne_u16_sdwa s5, v24, v5 src0_sel:BYTE_1 src1_sel:DWORD
	v_mov_b32_e32 v125, 0
	v_mov_b32_e32 v85, 0
	s_and_saveexec_b32 s6, s5
	s_cbranch_execz .LBB372_1562
; %bb.1555:                             ;   in Loop: Header=BB372_10 Depth=1
	v_cmp_ne_u16_sdwa s5, v24, v71 src0_sel:BYTE_1 src1_sel:DWORD
	v_bfrev_b32_e32 v85, 1
	s_and_saveexec_b32 s17, s5
	s_cbranch_execz .LBB372_1561
; %bb.1556:                             ;   in Loop: Header=BB372_10 Depth=1
	v_mov_b32_e32 v3, 0xffff
	v_mov_b32_e32 v85, 0x7f800001
	s_mov_b32 s19, exec_lo
	v_and_b32_sdwa v3, v3, v24 dst_sel:DWORD dst_unused:UNUSED_PAD src0_sel:DWORD src1_sel:BYTE_1
	v_and_b32_e32 v12, 0x7f, v3
	v_cmpx_ne_u32_e32 0x7f, v12
	s_cbranch_execz .LBB372_1560
; %bb.1557:                             ;   in Loop: Header=BB372_10 Depth=1
	v_and_b32_e32 v4, 7, v3
	v_mov_b32_e32 v27, v5
	v_lshrrev_b32_e32 v3, 3, v12
	s_mov_b32 s20, exec_lo
	v_mov_b32_e32 v26, v4
	v_cmpx_gt_u32_e32 8, v12
; %bb.1558:                             ;   in Loop: Header=BB372_10 Depth=1
	v_ffbh_u32_e32 v3, v4
	v_min_u32_e32 v3, 32, v3
	v_subrev_nc_u32_e32 v12, 28, v3
	v_sub_nc_u32_e32 v3, 29, v3
	v_lshlrev_b64 v[12:13], v12, v[4:5]
	v_and_b32_e32 v26, 7, v12
; %bb.1559:                             ;   in Loop: Header=BB372_10 Depth=1
	s_or_b32 exec_lo, exec_lo, s20
	v_lshlrev_b32_e32 v4, 16, v24
	v_lshlrev_b32_e32 v12, 20, v26
	v_lshl_add_u32 v3, v3, 23, 0x3c000000
	v_and_b32_e32 v4, 0x80000000, v4
	v_or3_b32 v85, v12, v4, v3
.LBB372_1560:                           ;   in Loop: Header=BB372_10 Depth=1
	s_or_b32 exec_lo, exec_lo, s19
.LBB372_1561:                           ;   in Loop: Header=BB372_10 Depth=1
	s_or_b32 exec_lo, exec_lo, s17
.LBB372_1562:                           ;   in Loop: Header=BB372_10 Depth=1
	s_or_b32 exec_lo, exec_lo, s6
	v_mov_b32_e32 v3, 0xff
	s_mov_b32 s6, exec_lo
	v_and_b32_sdwa v3, v24, v3 dst_sel:DWORD dst_unused:UNUSED_PAD src0_sel:WORD_1 src1_sel:DWORD
	v_cmpx_ne_u16_e32 0, v3
	s_cbranch_execz .LBB372_1570
; %bb.1563:                             ;   in Loop: Header=BB372_10 Depth=1
	v_bfrev_b32_e32 v125, 1
	s_mov_b32 s17, exec_lo
	v_cmpx_ne_u16_e32 0x80, v3
	s_cbranch_execz .LBB372_1569
; %bb.1564:                             ;   in Loop: Header=BB372_10 Depth=1
	v_bfe_u32 v12, v24, 16, 7
	v_mov_b32_e32 v125, 0x7f800001
	s_mov_b32 s19, exec_lo
	v_cmpx_ne_u32_e32 0x7f, v12
	s_cbranch_execz .LBB372_1568
; %bb.1565:                             ;   in Loop: Header=BB372_10 Depth=1
	v_mov_b32_e32 v3, 7
	s_mov_b32 s20, exec_lo
	v_and_b32_sdwa v4, v24, v3 dst_sel:DWORD dst_unused:UNUSED_PAD src0_sel:WORD_1 src1_sel:DWORD
	v_mov_b32_e32 v27, v5
	v_lshrrev_b32_e32 v3, 3, v12
	v_mov_b32_e32 v26, v4
	v_cmpx_gt_u32_e32 8, v12
; %bb.1566:                             ;   in Loop: Header=BB372_10 Depth=1
	v_ffbh_u32_e32 v3, v4
	v_min_u32_e32 v3, 32, v3
	v_subrev_nc_u32_e32 v12, 28, v3
	v_sub_nc_u32_e32 v3, 29, v3
	v_lshlrev_b64 v[12:13], v12, v[4:5]
	v_and_b32_e32 v26, 7, v12
; %bb.1567:                             ;   in Loop: Header=BB372_10 Depth=1
	s_or_b32 exec_lo, exec_lo, s20
	v_mov_b32_e32 v4, 24
	v_lshlrev_b32_e32 v12, 20, v26
	v_lshl_add_u32 v3, v3, 23, 0x3c000000
	v_lshlrev_b32_sdwa v4, v4, v24 dst_sel:DWORD dst_unused:UNUSED_PAD src0_sel:DWORD src1_sel:WORD_1
	v_and_b32_e32 v4, 0x80000000, v4
	v_or3_b32 v125, v12, v4, v3
.LBB372_1568:                           ;   in Loop: Header=BB372_10 Depth=1
	s_or_b32 exec_lo, exec_lo, s19
.LBB372_1569:                           ;   in Loop: Header=BB372_10 Depth=1
	s_or_b32 exec_lo, exec_lo, s17
.LBB372_1570:                           ;   in Loop: Header=BB372_10 Depth=1
	s_or_b32 exec_lo, exec_lo, s6
	v_mov_b32_e32 v126, 0
	v_mov_b32_e32 v127, 0
	s_mov_b32 s6, exec_lo
	v_cmpx_lt_u32_e32 0xffffff, v24
	s_cbranch_execz .LBB372_1578
; %bb.1571:                             ;   in Loop: Header=BB372_10 Depth=1
	v_cmp_ne_u32_sdwa s5, v24, v71 src0_sel:BYTE_3 src1_sel:DWORD
	v_bfrev_b32_e32 v127, 1
	s_and_saveexec_b32 s17, s5
	s_cbranch_execz .LBB372_1577
; %bb.1572:                             ;   in Loop: Header=BB372_10 Depth=1
	v_bfe_u32 v12, v24, 24, 7
	v_mov_b32_e32 v127, 0x7f800001
	s_mov_b32 s19, exec_lo
	v_cmpx_ne_u32_e32 0x7f, v12
	s_cbranch_execz .LBB372_1576
; %bb.1573:                             ;   in Loop: Header=BB372_10 Depth=1
	v_mov_b32_e32 v3, 7
	s_mov_b32 s20, exec_lo
	v_and_b32_sdwa v4, v24, v3 dst_sel:DWORD dst_unused:UNUSED_PAD src0_sel:BYTE_3 src1_sel:DWORD
	v_mov_b32_e32 v27, v5
	v_lshrrev_b32_e32 v3, 3, v12
	v_mov_b32_e32 v26, v4
	v_cmpx_gt_u32_e32 8, v12
; %bb.1574:                             ;   in Loop: Header=BB372_10 Depth=1
	v_ffbh_u32_e32 v3, v4
	v_min_u32_e32 v3, 32, v3
	v_subrev_nc_u32_e32 v12, 28, v3
	v_sub_nc_u32_e32 v3, 29, v3
	v_lshlrev_b64 v[12:13], v12, v[4:5]
	v_and_b32_e32 v26, 7, v12
; %bb.1575:                             ;   in Loop: Header=BB372_10 Depth=1
	s_or_b32 exec_lo, exec_lo, s20
	v_mov_b32_e32 v4, 24
	v_lshlrev_b32_e32 v12, 20, v26
	v_lshl_add_u32 v3, v3, 23, 0x3c000000
	v_lshlrev_b32_sdwa v4, v4, v24 dst_sel:DWORD dst_unused:UNUSED_PAD src0_sel:DWORD src1_sel:BYTE_3
	v_and_b32_e32 v4, 0x80000000, v4
	v_or3_b32 v127, v12, v4, v3
.LBB372_1576:                           ;   in Loop: Header=BB372_10 Depth=1
	s_or_b32 exec_lo, exec_lo, s19
.LBB372_1577:                           ;   in Loop: Header=BB372_10 Depth=1
	s_or_b32 exec_lo, exec_lo, s17
.LBB372_1578:                           ;   in Loop: Header=BB372_10 Depth=1
	s_or_b32 exec_lo, exec_lo, s6
	v_mov_b32_e32 v4, v25
	v_cmp_ne_u16_sdwa s5, v25, v5 src0_sel:BYTE_0 src1_sel:DWORD
	s_and_saveexec_b32 s6, s5
	s_cbranch_execz .LBB372_1586
; %bb.1579:                             ;   in Loop: Header=BB372_10 Depth=1
	v_cmp_ne_u16_sdwa s5, v25, v71 src0_sel:BYTE_0 src1_sel:DWORD
	v_bfrev_b32_e32 v126, 1
	s_and_saveexec_b32 s17, s5
	s_cbranch_execz .LBB372_1585
; %bb.1580:                             ;   in Loop: Header=BB372_10 Depth=1
	v_and_b32_e32 v12, 0x7f, v25
	v_mov_b32_e32 v126, 0x7f800001
	s_mov_b32 s19, exec_lo
	v_cmpx_ne_u32_e32 0x7f, v12
	s_cbranch_execz .LBB372_1584
; %bb.1581:                             ;   in Loop: Header=BB372_10 Depth=1
	v_mov_b32_e32 v27, v5
	v_mov_b32_e32 v26, v4
	v_lshrrev_b32_e32 v3, 3, v12
	s_mov_b32 s20, exec_lo
	v_cmpx_gt_u32_e32 8, v12
; %bb.1582:                             ;   in Loop: Header=BB372_10 Depth=1
	v_and_b32_e32 v3, 7, v25
	v_ffbh_u32_e32 v3, v3
	v_min_u32_e32 v3, 32, v3
	v_subrev_nc_u32_e32 v12, 28, v3
	v_sub_nc_u32_e32 v3, 29, v3
	v_lshlrev_b64 v[26:27], v12, v[4:5]
; %bb.1583:                             ;   in Loop: Header=BB372_10 Depth=1
	s_or_b32 exec_lo, exec_lo, s20
	v_lshlrev_b32_e32 v12, 20, v26
	v_lshlrev_b32_e32 v13, 24, v4
	v_lshl_add_u32 v3, v3, 23, 0x3c000000
	v_and_b32_e32 v12, 0x700000, v12
	v_and_b32_e32 v13, 0x80000000, v13
	v_or3_b32 v126, v12, v13, v3
.LBB372_1584:                           ;   in Loop: Header=BB372_10 Depth=1
	s_or_b32 exec_lo, exec_lo, s19
.LBB372_1585:                           ;   in Loop: Header=BB372_10 Depth=1
	s_or_b32 exec_lo, exec_lo, s17
.LBB372_1586:                           ;   in Loop: Header=BB372_10 Depth=1
	s_or_b32 exec_lo, exec_lo, s6
	v_cmp_ne_u16_sdwa s5, v4, v5 src0_sel:BYTE_1 src1_sel:DWORD
	v_mov_b32_e32 v29, 0
	v_mov_b32_e32 v77, 0
	s_and_saveexec_b32 s6, s5
	s_cbranch_execz .LBB372_1594
; %bb.1587:                             ;   in Loop: Header=BB372_10 Depth=1
	v_cmp_ne_u16_sdwa s5, v4, v71 src0_sel:BYTE_1 src1_sel:DWORD
	v_bfrev_b32_e32 v77, 1
	s_and_saveexec_b32 s17, s5
	s_cbranch_execz .LBB372_1593
; %bb.1588:                             ;   in Loop: Header=BB372_10 Depth=1
	v_mov_b32_e32 v3, 0xffff
	v_mov_b32_e32 v77, 0x7f800001
	s_mov_b32 s19, exec_lo
	v_and_b32_sdwa v3, v3, v4 dst_sel:DWORD dst_unused:UNUSED_PAD src0_sel:DWORD src1_sel:BYTE_1
	v_and_b32_e32 v12, 0x7f, v3
	v_cmpx_ne_u32_e32 0x7f, v12
	s_cbranch_execz .LBB372_1592
; %bb.1589:                             ;   in Loop: Header=BB372_10 Depth=1
	v_and_b32_e32 v26, 7, v3
	v_mov_b32_e32 v27, v5
	v_lshrrev_b32_e32 v3, 3, v12
	s_mov_b32 s20, exec_lo
	v_cmpx_gt_u32_e32 8, v12
; %bb.1590:                             ;   in Loop: Header=BB372_10 Depth=1
	v_ffbh_u32_e32 v3, v26
	v_min_u32_e32 v3, 32, v3
	v_subrev_nc_u32_e32 v12, 28, v3
	v_sub_nc_u32_e32 v3, 29, v3
	v_lshlrev_b64 v[12:13], v12, v[26:27]
	v_and_b32_e32 v26, 7, v12
; %bb.1591:                             ;   in Loop: Header=BB372_10 Depth=1
	s_or_b32 exec_lo, exec_lo, s20
	v_lshlrev_b32_e32 v4, 16, v4
	v_lshlrev_b32_e32 v12, 20, v26
	v_lshl_add_u32 v3, v3, 23, 0x3c000000
	v_and_b32_e32 v4, 0x80000000, v4
	v_or3_b32 v77, v12, v4, v3
.LBB372_1592:                           ;   in Loop: Header=BB372_10 Depth=1
	s_or_b32 exec_lo, exec_lo, s19
.LBB372_1593:                           ;   in Loop: Header=BB372_10 Depth=1
	s_or_b32 exec_lo, exec_lo, s17
.LBB372_1594:                           ;   in Loop: Header=BB372_10 Depth=1
	s_or_b32 exec_lo, exec_lo, s6
	v_mov_b32_e32 v3, 0xff
	s_mov_b32 s6, exec_lo
	v_and_b32_sdwa v3, v25, v3 dst_sel:DWORD dst_unused:UNUSED_PAD src0_sel:WORD_1 src1_sel:DWORD
	v_cmpx_ne_u16_e32 0, v3
	s_cbranch_execz .LBB372_1602
; %bb.1595:                             ;   in Loop: Header=BB372_10 Depth=1
	v_bfrev_b32_e32 v29, 1
	s_mov_b32 s17, exec_lo
	v_cmpx_ne_u16_e32 0x80, v3
	s_cbranch_execz .LBB372_1601
; %bb.1596:                             ;   in Loop: Header=BB372_10 Depth=1
	v_bfe_u32 v12, v25, 16, 7
	v_mov_b32_e32 v29, 0x7f800001
	s_mov_b32 s19, exec_lo
	v_cmpx_ne_u32_e32 0x7f, v12
	s_cbranch_execz .LBB372_1600
; %bb.1597:                             ;   in Loop: Header=BB372_10 Depth=1
	v_mov_b32_e32 v3, 7
	s_mov_b32 s20, exec_lo
	v_and_b32_sdwa v4, v25, v3 dst_sel:DWORD dst_unused:UNUSED_PAD src0_sel:WORD_1 src1_sel:DWORD
	v_mov_b32_e32 v27, v5
	v_lshrrev_b32_e32 v3, 3, v12
	v_mov_b32_e32 v26, v4
	v_cmpx_gt_u32_e32 8, v12
; %bb.1598:                             ;   in Loop: Header=BB372_10 Depth=1
	v_ffbh_u32_e32 v3, v4
	v_min_u32_e32 v3, 32, v3
	v_subrev_nc_u32_e32 v12, 28, v3
	v_sub_nc_u32_e32 v3, 29, v3
	v_lshlrev_b64 v[12:13], v12, v[4:5]
	v_and_b32_e32 v26, 7, v12
; %bb.1599:                             ;   in Loop: Header=BB372_10 Depth=1
	s_or_b32 exec_lo, exec_lo, s20
	v_mov_b32_e32 v4, 24
	v_lshlrev_b32_e32 v12, 20, v26
	v_lshl_add_u32 v3, v3, 23, 0x3c000000
	v_lshlrev_b32_sdwa v4, v4, v25 dst_sel:DWORD dst_unused:UNUSED_PAD src0_sel:DWORD src1_sel:WORD_1
	v_and_b32_e32 v4, 0x80000000, v4
	v_or3_b32 v29, v12, v4, v3
.LBB372_1600:                           ;   in Loop: Header=BB372_10 Depth=1
	s_or_b32 exec_lo, exec_lo, s19
.LBB372_1601:                           ;   in Loop: Header=BB372_10 Depth=1
	s_or_b32 exec_lo, exec_lo, s17
.LBB372_1602:                           ;   in Loop: Header=BB372_10 Depth=1
	s_or_b32 exec_lo, exec_lo, s6
	v_mov_b32_e32 v33, 0
	v_mov_b32_e32 v69, 0
	s_mov_b32 s6, exec_lo
	v_cmpx_lt_u64_e64 s[8:9], v[24:25]
	s_cbranch_execz .LBB372_1610
; %bb.1603:                             ;   in Loop: Header=BB372_10 Depth=1
	v_cmp_ne_u32_sdwa s5, v25, v71 src0_sel:BYTE_3 src1_sel:DWORD
	v_bfrev_b32_e32 v69, 1
	s_and_saveexec_b32 s17, s5
	s_cbranch_execz .LBB372_1609
; %bb.1604:                             ;   in Loop: Header=BB372_10 Depth=1
	v_bfe_u32 v12, v25, 24, 7
	v_mov_b32_e32 v69, 0x7f800001
	s_mov_b32 s19, exec_lo
	v_cmpx_ne_u32_e32 0x7f, v12
	s_cbranch_execz .LBB372_1608
; %bb.1605:                             ;   in Loop: Header=BB372_10 Depth=1
	v_mov_b32_e32 v3, 7
	s_mov_b32 s20, exec_lo
	v_and_b32_sdwa v4, v25, v3 dst_sel:DWORD dst_unused:UNUSED_PAD src0_sel:BYTE_3 src1_sel:DWORD
	v_mov_b32_e32 v27, v5
	v_lshrrev_b32_e32 v3, 3, v12
	v_mov_b32_e32 v26, v4
	v_cmpx_gt_u32_e32 8, v12
; %bb.1606:                             ;   in Loop: Header=BB372_10 Depth=1
	v_ffbh_u32_e32 v3, v4
	v_min_u32_e32 v3, 32, v3
	v_subrev_nc_u32_e32 v12, 28, v3
	v_sub_nc_u32_e32 v3, 29, v3
	v_lshlrev_b64 v[12:13], v12, v[4:5]
	v_and_b32_e32 v26, 7, v12
; %bb.1607:                             ;   in Loop: Header=BB372_10 Depth=1
	s_or_b32 exec_lo, exec_lo, s20
	v_mov_b32_e32 v4, 24
	v_lshlrev_b32_e32 v12, 20, v26
	v_lshl_add_u32 v3, v3, 23, 0x3c000000
	v_lshlrev_b32_sdwa v4, v4, v25 dst_sel:DWORD dst_unused:UNUSED_PAD src0_sel:DWORD src1_sel:BYTE_3
	v_and_b32_e32 v4, 0x80000000, v4
	v_or3_b32 v69, v12, v4, v3
.LBB372_1608:                           ;   in Loop: Header=BB372_10 Depth=1
	s_or_b32 exec_lo, exec_lo, s19
.LBB372_1609:                           ;   in Loop: Header=BB372_10 Depth=1
	s_or_b32 exec_lo, exec_lo, s17
.LBB372_1610:                           ;   in Loop: Header=BB372_10 Depth=1
	s_or_b32 exec_lo, exec_lo, s6
	flat_load_dwordx2 v[24:25], v[16:17] offset:8
	s_waitcnt vmcnt(0) lgkmcnt(0)
	v_cmp_ne_u16_sdwa s5, v24, v5 src0_sel:BYTE_0 src1_sel:DWORD
	s_and_saveexec_b32 s6, s5
	s_cbranch_execz .LBB372_1618
; %bb.1611:                             ;   in Loop: Header=BB372_10 Depth=1
	v_cmp_ne_u16_sdwa s5, v24, v71 src0_sel:BYTE_0 src1_sel:DWORD
	v_bfrev_b32_e32 v33, 1
	s_and_saveexec_b32 s17, s5
	s_cbranch_execz .LBB372_1617
; %bb.1612:                             ;   in Loop: Header=BB372_10 Depth=1
	v_and_b32_e32 v4, 0x7f, v24
	v_mov_b32_e32 v33, 0x7f800001
	s_mov_b32 s19, exec_lo
	v_cmpx_ne_u32_e32 0x7f, v4
	s_cbranch_execz .LBB372_1616
; %bb.1613:                             ;   in Loop: Header=BB372_10 Depth=1
	v_mov_b32_e32 v27, v25
	v_lshrrev_b32_e32 v3, 3, v4
	v_mov_b32_e32 v26, v24
	s_mov_b32 s20, exec_lo
	v_cmpx_gt_u32_e32 8, v4
; %bb.1614:                             ;   in Loop: Header=BB372_10 Depth=1
	v_and_b32_e32 v3, 7, v24
	v_ffbh_u32_e32 v3, v3
	v_min_u32_e32 v3, 32, v3
	v_subrev_nc_u32_e32 v4, 28, v3
	v_sub_nc_u32_e32 v3, 29, v3
	v_lshlrev_b64 v[26:27], v4, v[24:25]
; %bb.1615:                             ;   in Loop: Header=BB372_10 Depth=1
	s_or_b32 exec_lo, exec_lo, s20
	v_lshlrev_b32_e32 v4, 20, v26
	v_lshlrev_b32_e32 v12, 24, v24
	v_lshl_add_u32 v3, v3, 23, 0x3c000000
	v_and_b32_e32 v4, 0x700000, v4
	v_and_b32_e32 v12, 0x80000000, v12
	v_or3_b32 v33, v4, v12, v3
.LBB372_1616:                           ;   in Loop: Header=BB372_10 Depth=1
	s_or_b32 exec_lo, exec_lo, s19
.LBB372_1617:                           ;   in Loop: Header=BB372_10 Depth=1
	s_or_b32 exec_lo, exec_lo, s17
.LBB372_1618:                           ;   in Loop: Header=BB372_10 Depth=1
	s_or_b32 exec_lo, exec_lo, s6
	v_cmp_ne_u16_sdwa s5, v24, v5 src0_sel:BYTE_1 src1_sel:DWORD
	v_mov_b32_e32 v122, 0
	v_mov_b32_e32 v13, 0
	s_and_saveexec_b32 s6, s5
	s_cbranch_execz .LBB372_1626
; %bb.1619:                             ;   in Loop: Header=BB372_10 Depth=1
	v_cmp_ne_u16_sdwa s5, v24, v71 src0_sel:BYTE_1 src1_sel:DWORD
	v_bfrev_b32_e32 v13, 1
	s_and_saveexec_b32 s17, s5
	s_cbranch_execz .LBB372_1625
; %bb.1620:                             ;   in Loop: Header=BB372_10 Depth=1
	v_mov_b32_e32 v3, 0xffff
	v_mov_b32_e32 v13, 0x7f800001
	s_mov_b32 s19, exec_lo
	v_and_b32_sdwa v3, v3, v24 dst_sel:DWORD dst_unused:UNUSED_PAD src0_sel:DWORD src1_sel:BYTE_1
	v_and_b32_e32 v12, 0x7f, v3
	v_cmpx_ne_u32_e32 0x7f, v12
	s_cbranch_execz .LBB372_1624
; %bb.1621:                             ;   in Loop: Header=BB372_10 Depth=1
	v_and_b32_e32 v4, 7, v3
	v_mov_b32_e32 v27, v5
	v_lshrrev_b32_e32 v3, 3, v12
	s_mov_b32 s20, exec_lo
	v_mov_b32_e32 v26, v4
	v_cmpx_gt_u32_e32 8, v12
; %bb.1622:                             ;   in Loop: Header=BB372_10 Depth=1
	v_ffbh_u32_e32 v3, v4
	v_min_u32_e32 v3, 32, v3
	v_subrev_nc_u32_e32 v12, 28, v3
	v_sub_nc_u32_e32 v3, 29, v3
	v_lshlrev_b64 v[12:13], v12, v[4:5]
	v_and_b32_e32 v26, 7, v12
; %bb.1623:                             ;   in Loop: Header=BB372_10 Depth=1
	s_or_b32 exec_lo, exec_lo, s20
	v_lshlrev_b32_e32 v4, 16, v24
	v_lshlrev_b32_e32 v12, 20, v26
	v_lshl_add_u32 v3, v3, 23, 0x3c000000
	v_and_b32_e32 v4, 0x80000000, v4
	v_or3_b32 v13, v12, v4, v3
.LBB372_1624:                           ;   in Loop: Header=BB372_10 Depth=1
	s_or_b32 exec_lo, exec_lo, s19
.LBB372_1625:                           ;   in Loop: Header=BB372_10 Depth=1
	s_or_b32 exec_lo, exec_lo, s17
.LBB372_1626:                           ;   in Loop: Header=BB372_10 Depth=1
	s_or_b32 exec_lo, exec_lo, s6
	v_mov_b32_e32 v3, 0xff
	s_mov_b32 s6, exec_lo
	v_and_b32_sdwa v3, v24, v3 dst_sel:DWORD dst_unused:UNUSED_PAD src0_sel:WORD_1 src1_sel:DWORD
	v_cmpx_ne_u16_e32 0, v3
	s_cbranch_execz .LBB372_1634
; %bb.1627:                             ;   in Loop: Header=BB372_10 Depth=1
	v_bfrev_b32_e32 v122, 1
	s_mov_b32 s17, exec_lo
	v_cmpx_ne_u16_e32 0x80, v3
	s_cbranch_execz .LBB372_1633
; %bb.1628:                             ;   in Loop: Header=BB372_10 Depth=1
	v_bfe_u32 v12, v24, 16, 7
	v_mov_b32_e32 v122, 0x7f800001
	s_mov_b32 s19, exec_lo
	v_cmpx_ne_u32_e32 0x7f, v12
	s_cbranch_execz .LBB372_1632
; %bb.1629:                             ;   in Loop: Header=BB372_10 Depth=1
	v_mov_b32_e32 v3, 7
	s_mov_b32 s20, exec_lo
	v_and_b32_sdwa v4, v24, v3 dst_sel:DWORD dst_unused:UNUSED_PAD src0_sel:WORD_1 src1_sel:DWORD
	v_mov_b32_e32 v27, v5
	v_lshrrev_b32_e32 v3, 3, v12
	v_mov_b32_e32 v26, v4
	v_cmpx_gt_u32_e32 8, v12
; %bb.1630:                             ;   in Loop: Header=BB372_10 Depth=1
	v_ffbh_u32_e32 v3, v4
	v_min_u32_e32 v3, 32, v3
	v_subrev_nc_u32_e32 v12, 28, v3
	v_sub_nc_u32_e32 v3, 29, v3
	v_lshlrev_b64 v[14:15], v12, v[4:5]
	v_and_b32_e32 v26, 7, v14
; %bb.1631:                             ;   in Loop: Header=BB372_10 Depth=1
	s_or_b32 exec_lo, exec_lo, s20
	v_mov_b32_e32 v4, 24
	v_lshlrev_b32_e32 v12, 20, v26
	v_lshl_add_u32 v3, v3, 23, 0x3c000000
	v_lshlrev_b32_sdwa v4, v4, v24 dst_sel:DWORD dst_unused:UNUSED_PAD src0_sel:DWORD src1_sel:WORD_1
	v_and_b32_e32 v4, 0x80000000, v4
	v_or3_b32 v122, v12, v4, v3
.LBB372_1632:                           ;   in Loop: Header=BB372_10 Depth=1
	s_or_b32 exec_lo, exec_lo, s19
.LBB372_1633:                           ;   in Loop: Header=BB372_10 Depth=1
	s_or_b32 exec_lo, exec_lo, s17
.LBB372_1634:                           ;   in Loop: Header=BB372_10 Depth=1
	s_or_b32 exec_lo, exec_lo, s6
	v_mov_b32_e32 v63, 0
	v_mov_b32_e32 v103, 0
	s_mov_b32 s6, exec_lo
	v_cmpx_lt_u32_e32 0xffffff, v24
	s_cbranch_execz .LBB372_1642
; %bb.1635:                             ;   in Loop: Header=BB372_10 Depth=1
	v_cmp_ne_u32_sdwa s5, v24, v71 src0_sel:BYTE_3 src1_sel:DWORD
	v_bfrev_b32_e32 v103, 1
	s_and_saveexec_b32 s17, s5
	s_cbranch_execz .LBB372_1641
; %bb.1636:                             ;   in Loop: Header=BB372_10 Depth=1
	v_bfe_u32 v12, v24, 24, 7
	v_mov_b32_e32 v103, 0x7f800001
	s_mov_b32 s19, exec_lo
	v_cmpx_ne_u32_e32 0x7f, v12
	s_cbranch_execz .LBB372_1640
; %bb.1637:                             ;   in Loop: Header=BB372_10 Depth=1
	v_mov_b32_e32 v3, 7
	s_mov_b32 s20, exec_lo
	v_and_b32_sdwa v4, v24, v3 dst_sel:DWORD dst_unused:UNUSED_PAD src0_sel:BYTE_3 src1_sel:DWORD
	v_mov_b32_e32 v27, v5
	v_lshrrev_b32_e32 v3, 3, v12
	v_mov_b32_e32 v26, v4
	v_cmpx_gt_u32_e32 8, v12
; %bb.1638:                             ;   in Loop: Header=BB372_10 Depth=1
	v_ffbh_u32_e32 v3, v4
	v_min_u32_e32 v3, 32, v3
	v_subrev_nc_u32_e32 v12, 28, v3
	v_sub_nc_u32_e32 v3, 29, v3
	v_lshlrev_b64 v[14:15], v12, v[4:5]
	v_and_b32_e32 v26, 7, v14
; %bb.1639:                             ;   in Loop: Header=BB372_10 Depth=1
	s_or_b32 exec_lo, exec_lo, s20
	v_mov_b32_e32 v4, 24
	v_lshlrev_b32_e32 v12, 20, v26
	v_lshl_add_u32 v3, v3, 23, 0x3c000000
	v_lshlrev_b32_sdwa v4, v4, v24 dst_sel:DWORD dst_unused:UNUSED_PAD src0_sel:DWORD src1_sel:BYTE_3
	v_and_b32_e32 v4, 0x80000000, v4
	v_or3_b32 v103, v12, v4, v3
.LBB372_1640:                           ;   in Loop: Header=BB372_10 Depth=1
	s_or_b32 exec_lo, exec_lo, s19
.LBB372_1641:                           ;   in Loop: Header=BB372_10 Depth=1
	s_or_b32 exec_lo, exec_lo, s17
.LBB372_1642:                           ;   in Loop: Header=BB372_10 Depth=1
	s_or_b32 exec_lo, exec_lo, s6
	v_mov_b32_e32 v4, v25
	v_cmp_ne_u16_sdwa s5, v25, v5 src0_sel:BYTE_0 src1_sel:DWORD
	s_and_saveexec_b32 s6, s5
	s_cbranch_execz .LBB372_1650
; %bb.1643:                             ;   in Loop: Header=BB372_10 Depth=1
	v_cmp_ne_u16_sdwa s5, v25, v71 src0_sel:BYTE_0 src1_sel:DWORD
	v_bfrev_b32_e32 v63, 1
	s_and_saveexec_b32 s17, s5
	s_cbranch_execz .LBB372_1649
; %bb.1644:                             ;   in Loop: Header=BB372_10 Depth=1
	v_and_b32_e32 v12, 0x7f, v25
	v_mov_b32_e32 v63, 0x7f800001
	s_mov_b32 s19, exec_lo
	v_cmpx_ne_u32_e32 0x7f, v12
	s_cbranch_execz .LBB372_1648
; %bb.1645:                             ;   in Loop: Header=BB372_10 Depth=1
	v_mov_b32_e32 v27, v5
	v_mov_b32_e32 v26, v4
	v_lshrrev_b32_e32 v3, 3, v12
	s_mov_b32 s20, exec_lo
	v_cmpx_gt_u32_e32 8, v12
; %bb.1646:                             ;   in Loop: Header=BB372_10 Depth=1
	v_and_b32_e32 v3, 7, v25
	v_ffbh_u32_e32 v3, v3
	v_min_u32_e32 v3, 32, v3
	v_subrev_nc_u32_e32 v12, 28, v3
	v_sub_nc_u32_e32 v3, 29, v3
	v_lshlrev_b64 v[26:27], v12, v[4:5]
; %bb.1647:                             ;   in Loop: Header=BB372_10 Depth=1
	s_or_b32 exec_lo, exec_lo, s20
	v_lshlrev_b32_e32 v12, 20, v26
	v_lshlrev_b32_e32 v14, 24, v4
	v_lshl_add_u32 v3, v3, 23, 0x3c000000
	v_and_b32_e32 v12, 0x700000, v12
	v_and_b32_e32 v14, 0x80000000, v14
	v_or3_b32 v63, v12, v14, v3
.LBB372_1648:                           ;   in Loop: Header=BB372_10 Depth=1
	s_or_b32 exec_lo, exec_lo, s19
.LBB372_1649:                           ;   in Loop: Header=BB372_10 Depth=1
	s_or_b32 exec_lo, exec_lo, s17
.LBB372_1650:                           ;   in Loop: Header=BB372_10 Depth=1
	s_or_b32 exec_lo, exec_lo, s6
	v_cmp_ne_u16_sdwa s5, v4, v5 src0_sel:BYTE_1 src1_sel:DWORD
	v_mov_b32_e32 v124, 0
	v_mov_b32_e32 v100, 0
	s_and_saveexec_b32 s6, s5
	s_cbranch_execz .LBB372_1658
; %bb.1651:                             ;   in Loop: Header=BB372_10 Depth=1
	v_cmp_ne_u16_sdwa s5, v4, v71 src0_sel:BYTE_1 src1_sel:DWORD
	v_bfrev_b32_e32 v100, 1
	s_and_saveexec_b32 s17, s5
	s_cbranch_execz .LBB372_1657
; %bb.1652:                             ;   in Loop: Header=BB372_10 Depth=1
	v_mov_b32_e32 v3, 0xffff
	v_mov_b32_e32 v100, 0x7f800001
	s_mov_b32 s19, exec_lo
	v_and_b32_sdwa v3, v3, v4 dst_sel:DWORD dst_unused:UNUSED_PAD src0_sel:DWORD src1_sel:BYTE_1
	v_and_b32_e32 v12, 0x7f, v3
	v_cmpx_ne_u32_e32 0x7f, v12
	s_cbranch_execz .LBB372_1656
; %bb.1653:                             ;   in Loop: Header=BB372_10 Depth=1
	v_and_b32_e32 v26, 7, v3
	v_mov_b32_e32 v27, v5
	v_lshrrev_b32_e32 v3, 3, v12
	s_mov_b32 s20, exec_lo
	v_cmpx_gt_u32_e32 8, v12
; %bb.1654:                             ;   in Loop: Header=BB372_10 Depth=1
	v_ffbh_u32_e32 v3, v26
	v_min_u32_e32 v3, 32, v3
	v_subrev_nc_u32_e32 v12, 28, v3
	v_sub_nc_u32_e32 v3, 29, v3
	v_lshlrev_b64 v[14:15], v12, v[26:27]
	v_and_b32_e32 v26, 7, v14
; %bb.1655:                             ;   in Loop: Header=BB372_10 Depth=1
	s_or_b32 exec_lo, exec_lo, s20
	v_lshlrev_b32_e32 v4, 16, v4
	v_lshlrev_b32_e32 v12, 20, v26
	v_lshl_add_u32 v3, v3, 23, 0x3c000000
	v_and_b32_e32 v4, 0x80000000, v4
	v_or3_b32 v100, v12, v4, v3
.LBB372_1656:                           ;   in Loop: Header=BB372_10 Depth=1
	s_or_b32 exec_lo, exec_lo, s19
.LBB372_1657:                           ;   in Loop: Header=BB372_10 Depth=1
	s_or_b32 exec_lo, exec_lo, s17
.LBB372_1658:                           ;   in Loop: Header=BB372_10 Depth=1
	s_or_b32 exec_lo, exec_lo, s6
	v_mov_b32_e32 v3, 0xff
	s_mov_b32 s6, exec_lo
	v_and_b32_sdwa v3, v25, v3 dst_sel:DWORD dst_unused:UNUSED_PAD src0_sel:WORD_1 src1_sel:DWORD
	v_cmpx_ne_u16_e32 0, v3
	s_cbranch_execz .LBB372_1666
; %bb.1659:                             ;   in Loop: Header=BB372_10 Depth=1
	v_bfrev_b32_e32 v124, 1
	s_mov_b32 s17, exec_lo
	v_cmpx_ne_u16_e32 0x80, v3
	s_cbranch_execz .LBB372_1665
; %bb.1660:                             ;   in Loop: Header=BB372_10 Depth=1
	v_bfe_u32 v12, v25, 16, 7
	v_mov_b32_e32 v124, 0x7f800001
	s_mov_b32 s19, exec_lo
	v_cmpx_ne_u32_e32 0x7f, v12
	s_cbranch_execz .LBB372_1664
; %bb.1661:                             ;   in Loop: Header=BB372_10 Depth=1
	v_mov_b32_e32 v3, 7
	s_mov_b32 s20, exec_lo
	v_and_b32_sdwa v4, v25, v3 dst_sel:DWORD dst_unused:UNUSED_PAD src0_sel:WORD_1 src1_sel:DWORD
	v_mov_b32_e32 v27, v5
	v_lshrrev_b32_e32 v3, 3, v12
	v_mov_b32_e32 v26, v4
	v_cmpx_gt_u32_e32 8, v12
; %bb.1662:                             ;   in Loop: Header=BB372_10 Depth=1
	v_ffbh_u32_e32 v3, v4
	v_min_u32_e32 v3, 32, v3
	v_subrev_nc_u32_e32 v12, 28, v3
	v_sub_nc_u32_e32 v3, 29, v3
	v_lshlrev_b64 v[14:15], v12, v[4:5]
	v_and_b32_e32 v26, 7, v14
; %bb.1663:                             ;   in Loop: Header=BB372_10 Depth=1
	s_or_b32 exec_lo, exec_lo, s20
	v_mov_b32_e32 v4, 24
	v_lshlrev_b32_e32 v12, 20, v26
	v_lshl_add_u32 v3, v3, 23, 0x3c000000
	v_lshlrev_b32_sdwa v4, v4, v25 dst_sel:DWORD dst_unused:UNUSED_PAD src0_sel:DWORD src1_sel:WORD_1
	v_and_b32_e32 v4, 0x80000000, v4
	v_or3_b32 v124, v12, v4, v3
.LBB372_1664:                           ;   in Loop: Header=BB372_10 Depth=1
	s_or_b32 exec_lo, exec_lo, s19
.LBB372_1665:                           ;   in Loop: Header=BB372_10 Depth=1
	s_or_b32 exec_lo, exec_lo, s17
.LBB372_1666:                           ;   in Loop: Header=BB372_10 Depth=1
	s_or_b32 exec_lo, exec_lo, s6
	v_mov_b32_e32 v91, 0
	v_mov_b32_e32 v84, 0
	s_mov_b32 s6, exec_lo
	v_cmpx_lt_u64_e64 s[8:9], v[24:25]
	s_cbranch_execz .LBB372_1674
; %bb.1667:                             ;   in Loop: Header=BB372_10 Depth=1
	v_cmp_ne_u32_sdwa s5, v25, v71 src0_sel:BYTE_3 src1_sel:DWORD
	v_bfrev_b32_e32 v84, 1
	s_and_saveexec_b32 s17, s5
	s_cbranch_execz .LBB372_1673
; %bb.1668:                             ;   in Loop: Header=BB372_10 Depth=1
	v_bfe_u32 v12, v25, 24, 7
	v_mov_b32_e32 v84, 0x7f800001
	s_mov_b32 s19, exec_lo
	v_cmpx_ne_u32_e32 0x7f, v12
	s_cbranch_execz .LBB372_1672
; %bb.1669:                             ;   in Loop: Header=BB372_10 Depth=1
	v_mov_b32_e32 v3, 7
	s_mov_b32 s20, exec_lo
	v_and_b32_sdwa v4, v25, v3 dst_sel:DWORD dst_unused:UNUSED_PAD src0_sel:BYTE_3 src1_sel:DWORD
	v_mov_b32_e32 v27, v5
	v_lshrrev_b32_e32 v3, 3, v12
	v_mov_b32_e32 v26, v4
	v_cmpx_gt_u32_e32 8, v12
; %bb.1670:                             ;   in Loop: Header=BB372_10 Depth=1
	v_ffbh_u32_e32 v3, v4
	v_min_u32_e32 v3, 32, v3
	v_subrev_nc_u32_e32 v12, 28, v3
	v_sub_nc_u32_e32 v3, 29, v3
	v_lshlrev_b64 v[14:15], v12, v[4:5]
	v_and_b32_e32 v26, 7, v14
; %bb.1671:                             ;   in Loop: Header=BB372_10 Depth=1
	s_or_b32 exec_lo, exec_lo, s20
	v_mov_b32_e32 v4, 24
	v_lshlrev_b32_e32 v12, 20, v26
	v_lshl_add_u32 v3, v3, 23, 0x3c000000
	v_lshlrev_b32_sdwa v4, v4, v25 dst_sel:DWORD dst_unused:UNUSED_PAD src0_sel:DWORD src1_sel:BYTE_3
	v_and_b32_e32 v4, 0x80000000, v4
	v_or3_b32 v84, v12, v4, v3
.LBB372_1672:                           ;   in Loop: Header=BB372_10 Depth=1
	s_or_b32 exec_lo, exec_lo, s19
.LBB372_1673:                           ;   in Loop: Header=BB372_10 Depth=1
	s_or_b32 exec_lo, exec_lo, s17
.LBB372_1674:                           ;   in Loop: Header=BB372_10 Depth=1
	s_or_b32 exec_lo, exec_lo, s6
	flat_load_dwordx2 v[24:25], v[16:17] offset:512
	s_waitcnt vmcnt(0) lgkmcnt(0)
	v_cmp_ne_u16_sdwa s5, v24, v5 src0_sel:BYTE_0 src1_sel:DWORD
	s_and_saveexec_b32 s6, s5
	s_cbranch_execz .LBB372_1682
; %bb.1675:                             ;   in Loop: Header=BB372_10 Depth=1
	v_cmp_ne_u16_sdwa s5, v24, v71 src0_sel:BYTE_0 src1_sel:DWORD
	v_bfrev_b32_e32 v91, 1
	s_and_saveexec_b32 s17, s5
	s_cbranch_execz .LBB372_1681
; %bb.1676:                             ;   in Loop: Header=BB372_10 Depth=1
	v_and_b32_e32 v4, 0x7f, v24
	v_mov_b32_e32 v91, 0x7f800001
	s_mov_b32 s19, exec_lo
	v_cmpx_ne_u32_e32 0x7f, v4
	s_cbranch_execz .LBB372_1680
; %bb.1677:                             ;   in Loop: Header=BB372_10 Depth=1
	v_mov_b32_e32 v27, v25
	v_lshrrev_b32_e32 v3, 3, v4
	v_mov_b32_e32 v26, v24
	s_mov_b32 s20, exec_lo
	v_cmpx_gt_u32_e32 8, v4
; %bb.1678:                             ;   in Loop: Header=BB372_10 Depth=1
	v_and_b32_e32 v3, 7, v24
	v_ffbh_u32_e32 v3, v3
	v_min_u32_e32 v3, 32, v3
	v_subrev_nc_u32_e32 v4, 28, v3
	v_sub_nc_u32_e32 v3, 29, v3
	v_lshlrev_b64 v[26:27], v4, v[24:25]
; %bb.1679:                             ;   in Loop: Header=BB372_10 Depth=1
	s_or_b32 exec_lo, exec_lo, s20
	v_lshlrev_b32_e32 v4, 20, v26
	v_lshlrev_b32_e32 v12, 24, v24
	v_lshl_add_u32 v3, v3, 23, 0x3c000000
	v_and_b32_e32 v4, 0x700000, v4
	v_and_b32_e32 v12, 0x80000000, v12
	v_or3_b32 v91, v4, v12, v3
.LBB372_1680:                           ;   in Loop: Header=BB372_10 Depth=1
	s_or_b32 exec_lo, exec_lo, s19
.LBB372_1681:                           ;   in Loop: Header=BB372_10 Depth=1
	s_or_b32 exec_lo, exec_lo, s17
.LBB372_1682:                           ;   in Loop: Header=BB372_10 Depth=1
	s_or_b32 exec_lo, exec_lo, s6
	v_cmp_ne_u16_sdwa s5, v24, v5 src0_sel:BYTE_1 src1_sel:DWORD
	v_mov_b32_e32 v21, 0
	v_mov_b32_e32 v120, 0
	s_and_saveexec_b32 s6, s5
	s_cbranch_execz .LBB372_1690
; %bb.1683:                             ;   in Loop: Header=BB372_10 Depth=1
	v_cmp_ne_u16_sdwa s5, v24, v71 src0_sel:BYTE_1 src1_sel:DWORD
	v_bfrev_b32_e32 v120, 1
	s_and_saveexec_b32 s17, s5
	s_cbranch_execz .LBB372_1689
; %bb.1684:                             ;   in Loop: Header=BB372_10 Depth=1
	v_mov_b32_e32 v3, 0xffff
	v_mov_b32_e32 v120, 0x7f800001
	s_mov_b32 s19, exec_lo
	v_and_b32_sdwa v3, v3, v24 dst_sel:DWORD dst_unused:UNUSED_PAD src0_sel:DWORD src1_sel:BYTE_1
	v_and_b32_e32 v12, 0x7f, v3
	v_cmpx_ne_u32_e32 0x7f, v12
	s_cbranch_execz .LBB372_1688
; %bb.1685:                             ;   in Loop: Header=BB372_10 Depth=1
	v_and_b32_e32 v4, 7, v3
	v_mov_b32_e32 v27, v5
	v_lshrrev_b32_e32 v3, 3, v12
	s_mov_b32 s20, exec_lo
	v_mov_b32_e32 v26, v4
	v_cmpx_gt_u32_e32 8, v12
; %bb.1686:                             ;   in Loop: Header=BB372_10 Depth=1
	v_ffbh_u32_e32 v3, v4
	v_min_u32_e32 v3, 32, v3
	v_subrev_nc_u32_e32 v12, 28, v3
	v_sub_nc_u32_e32 v3, 29, v3
	v_lshlrev_b64 v[14:15], v12, v[4:5]
	v_and_b32_e32 v26, 7, v14
; %bb.1687:                             ;   in Loop: Header=BB372_10 Depth=1
	s_or_b32 exec_lo, exec_lo, s20
	v_lshlrev_b32_e32 v4, 16, v24
	v_lshlrev_b32_e32 v12, 20, v26
	v_lshl_add_u32 v3, v3, 23, 0x3c000000
	v_and_b32_e32 v4, 0x80000000, v4
	v_or3_b32 v120, v12, v4, v3
.LBB372_1688:                           ;   in Loop: Header=BB372_10 Depth=1
	s_or_b32 exec_lo, exec_lo, s19
.LBB372_1689:                           ;   in Loop: Header=BB372_10 Depth=1
	s_or_b32 exec_lo, exec_lo, s17
.LBB372_1690:                           ;   in Loop: Header=BB372_10 Depth=1
	s_or_b32 exec_lo, exec_lo, s6
	v_mov_b32_e32 v3, 0xff
	s_mov_b32 s6, exec_lo
	v_and_b32_sdwa v3, v24, v3 dst_sel:DWORD dst_unused:UNUSED_PAD src0_sel:WORD_1 src1_sel:DWORD
	v_cmpx_ne_u16_e32 0, v3
	s_cbranch_execz .LBB372_1698
; %bb.1691:                             ;   in Loop: Header=BB372_10 Depth=1
	v_bfrev_b32_e32 v21, 1
	s_mov_b32 s17, exec_lo
	v_cmpx_ne_u16_e32 0x80, v3
	s_cbranch_execz .LBB372_1697
; %bb.1692:                             ;   in Loop: Header=BB372_10 Depth=1
	v_bfe_u32 v12, v24, 16, 7
	v_mov_b32_e32 v21, 0x7f800001
	s_mov_b32 s19, exec_lo
	v_cmpx_ne_u32_e32 0x7f, v12
	s_cbranch_execz .LBB372_1696
; %bb.1693:                             ;   in Loop: Header=BB372_10 Depth=1
	v_mov_b32_e32 v3, 7
	s_mov_b32 s20, exec_lo
	v_and_b32_sdwa v4, v24, v3 dst_sel:DWORD dst_unused:UNUSED_PAD src0_sel:WORD_1 src1_sel:DWORD
	v_mov_b32_e32 v27, v5
	v_lshrrev_b32_e32 v3, 3, v12
	v_mov_b32_e32 v26, v4
	v_cmpx_gt_u32_e32 8, v12
; %bb.1694:                             ;   in Loop: Header=BB372_10 Depth=1
	v_ffbh_u32_e32 v3, v4
	v_min_u32_e32 v3, 32, v3
	v_subrev_nc_u32_e32 v12, 28, v3
	v_sub_nc_u32_e32 v3, 29, v3
	v_lshlrev_b64 v[14:15], v12, v[4:5]
	v_and_b32_e32 v26, 7, v14
; %bb.1695:                             ;   in Loop: Header=BB372_10 Depth=1
	s_or_b32 exec_lo, exec_lo, s20
	v_mov_b32_e32 v4, 24
	v_lshlrev_b32_e32 v12, 20, v26
	v_lshl_add_u32 v3, v3, 23, 0x3c000000
	v_lshlrev_b32_sdwa v4, v4, v24 dst_sel:DWORD dst_unused:UNUSED_PAD src0_sel:DWORD src1_sel:WORD_1
	v_and_b32_e32 v4, 0x80000000, v4
	v_or3_b32 v21, v12, v4, v3
.LBB372_1696:                           ;   in Loop: Header=BB372_10 Depth=1
	s_or_b32 exec_lo, exec_lo, s19
.LBB372_1697:                           ;   in Loop: Header=BB372_10 Depth=1
	s_or_b32 exec_lo, exec_lo, s17
.LBB372_1698:                           ;   in Loop: Header=BB372_10 Depth=1
	s_or_b32 exec_lo, exec_lo, s6
	v_mov_b32_e32 v99, 0
	v_mov_b32_e32 v90, 0
	s_mov_b32 s6, exec_lo
	v_cmpx_lt_u32_e32 0xffffff, v24
	s_cbranch_execz .LBB372_1706
; %bb.1699:                             ;   in Loop: Header=BB372_10 Depth=1
	v_cmp_ne_u32_sdwa s5, v24, v71 src0_sel:BYTE_3 src1_sel:DWORD
	v_bfrev_b32_e32 v90, 1
	s_and_saveexec_b32 s17, s5
	s_cbranch_execz .LBB372_1705
; %bb.1700:                             ;   in Loop: Header=BB372_10 Depth=1
	v_bfe_u32 v12, v24, 24, 7
	v_mov_b32_e32 v90, 0x7f800001
	s_mov_b32 s19, exec_lo
	v_cmpx_ne_u32_e32 0x7f, v12
	s_cbranch_execz .LBB372_1704
; %bb.1701:                             ;   in Loop: Header=BB372_10 Depth=1
	v_mov_b32_e32 v3, 7
	s_mov_b32 s20, exec_lo
	v_and_b32_sdwa v4, v24, v3 dst_sel:DWORD dst_unused:UNUSED_PAD src0_sel:BYTE_3 src1_sel:DWORD
	v_mov_b32_e32 v27, v5
	v_lshrrev_b32_e32 v3, 3, v12
	v_mov_b32_e32 v26, v4
	v_cmpx_gt_u32_e32 8, v12
; %bb.1702:                             ;   in Loop: Header=BB372_10 Depth=1
	v_ffbh_u32_e32 v3, v4
	v_min_u32_e32 v3, 32, v3
	v_subrev_nc_u32_e32 v12, 28, v3
	v_sub_nc_u32_e32 v3, 29, v3
	v_lshlrev_b64 v[14:15], v12, v[4:5]
	v_and_b32_e32 v26, 7, v14
; %bb.1703:                             ;   in Loop: Header=BB372_10 Depth=1
	s_or_b32 exec_lo, exec_lo, s20
	v_mov_b32_e32 v4, 24
	v_lshlrev_b32_e32 v12, 20, v26
	v_lshl_add_u32 v3, v3, 23, 0x3c000000
	v_lshlrev_b32_sdwa v4, v4, v24 dst_sel:DWORD dst_unused:UNUSED_PAD src0_sel:DWORD src1_sel:BYTE_3
	v_and_b32_e32 v4, 0x80000000, v4
	v_or3_b32 v90, v12, v4, v3
.LBB372_1704:                           ;   in Loop: Header=BB372_10 Depth=1
	s_or_b32 exec_lo, exec_lo, s19
.LBB372_1705:                           ;   in Loop: Header=BB372_10 Depth=1
	s_or_b32 exec_lo, exec_lo, s17
.LBB372_1706:                           ;   in Loop: Header=BB372_10 Depth=1
	s_or_b32 exec_lo, exec_lo, s6
	v_mov_b32_e32 v4, v25
	v_cmp_ne_u16_sdwa s5, v25, v5 src0_sel:BYTE_0 src1_sel:DWORD
	s_and_saveexec_b32 s6, s5
	s_cbranch_execz .LBB372_1714
; %bb.1707:                             ;   in Loop: Header=BB372_10 Depth=1
	v_cmp_ne_u16_sdwa s5, v25, v71 src0_sel:BYTE_0 src1_sel:DWORD
	v_bfrev_b32_e32 v99, 1
	s_and_saveexec_b32 s17, s5
	s_cbranch_execz .LBB372_1713
; %bb.1708:                             ;   in Loop: Header=BB372_10 Depth=1
	v_and_b32_e32 v12, 0x7f, v25
	v_mov_b32_e32 v99, 0x7f800001
	s_mov_b32 s19, exec_lo
	v_cmpx_ne_u32_e32 0x7f, v12
	s_cbranch_execz .LBB372_1712
; %bb.1709:                             ;   in Loop: Header=BB372_10 Depth=1
	v_mov_b32_e32 v27, v5
	v_mov_b32_e32 v26, v4
	v_lshrrev_b32_e32 v3, 3, v12
	s_mov_b32 s20, exec_lo
	v_cmpx_gt_u32_e32 8, v12
; %bb.1710:                             ;   in Loop: Header=BB372_10 Depth=1
	v_and_b32_e32 v3, 7, v25
	v_ffbh_u32_e32 v3, v3
	v_min_u32_e32 v3, 32, v3
	v_subrev_nc_u32_e32 v12, 28, v3
	v_sub_nc_u32_e32 v3, 29, v3
	v_lshlrev_b64 v[26:27], v12, v[4:5]
; %bb.1711:                             ;   in Loop: Header=BB372_10 Depth=1
	s_or_b32 exec_lo, exec_lo, s20
	v_lshlrev_b32_e32 v12, 20, v26
	v_lshlrev_b32_e32 v14, 24, v4
	v_lshl_add_u32 v3, v3, 23, 0x3c000000
	v_and_b32_e32 v12, 0x700000, v12
	v_and_b32_e32 v14, 0x80000000, v14
	v_or3_b32 v99, v12, v14, v3
.LBB372_1712:                           ;   in Loop: Header=BB372_10 Depth=1
	s_or_b32 exec_lo, exec_lo, s19
.LBB372_1713:                           ;   in Loop: Header=BB372_10 Depth=1
	s_or_b32 exec_lo, exec_lo, s17
.LBB372_1714:                           ;   in Loop: Header=BB372_10 Depth=1
	s_or_b32 exec_lo, exec_lo, s6
	v_cmp_ne_u16_sdwa s5, v4, v5 src0_sel:BYTE_1 src1_sel:DWORD
	v_mov_b32_e32 v102, 0
	v_mov_b32_e32 v78, 0
	s_and_saveexec_b32 s6, s5
	s_cbranch_execz .LBB372_1722
; %bb.1715:                             ;   in Loop: Header=BB372_10 Depth=1
	v_cmp_ne_u16_sdwa s5, v4, v71 src0_sel:BYTE_1 src1_sel:DWORD
	v_bfrev_b32_e32 v78, 1
	s_and_saveexec_b32 s17, s5
	s_cbranch_execz .LBB372_1721
; %bb.1716:                             ;   in Loop: Header=BB372_10 Depth=1
	v_mov_b32_e32 v3, 0xffff
	v_mov_b32_e32 v78, 0x7f800001
	s_mov_b32 s19, exec_lo
	v_and_b32_sdwa v3, v3, v4 dst_sel:DWORD dst_unused:UNUSED_PAD src0_sel:DWORD src1_sel:BYTE_1
	v_and_b32_e32 v12, 0x7f, v3
	v_cmpx_ne_u32_e32 0x7f, v12
	s_cbranch_execz .LBB372_1720
; %bb.1717:                             ;   in Loop: Header=BB372_10 Depth=1
	v_and_b32_e32 v26, 7, v3
	v_mov_b32_e32 v27, v5
	v_lshrrev_b32_e32 v3, 3, v12
	s_mov_b32 s20, exec_lo
	v_cmpx_gt_u32_e32 8, v12
; %bb.1718:                             ;   in Loop: Header=BB372_10 Depth=1
	v_ffbh_u32_e32 v3, v26
	v_min_u32_e32 v3, 32, v3
	v_subrev_nc_u32_e32 v12, 28, v3
	v_sub_nc_u32_e32 v3, 29, v3
	v_lshlrev_b64 v[14:15], v12, v[26:27]
	v_and_b32_e32 v26, 7, v14
; %bb.1719:                             ;   in Loop: Header=BB372_10 Depth=1
	s_or_b32 exec_lo, exec_lo, s20
	v_lshlrev_b32_e32 v4, 16, v4
	v_lshlrev_b32_e32 v12, 20, v26
	v_lshl_add_u32 v3, v3, 23, 0x3c000000
	v_and_b32_e32 v4, 0x80000000, v4
	v_or3_b32 v78, v12, v4, v3
.LBB372_1720:                           ;   in Loop: Header=BB372_10 Depth=1
	s_or_b32 exec_lo, exec_lo, s19
.LBB372_1721:                           ;   in Loop: Header=BB372_10 Depth=1
	s_or_b32 exec_lo, exec_lo, s17
.LBB372_1722:                           ;   in Loop: Header=BB372_10 Depth=1
	s_or_b32 exec_lo, exec_lo, s6
	v_mov_b32_e32 v3, 0xff
	s_mov_b32 s6, exec_lo
	v_and_b32_sdwa v3, v25, v3 dst_sel:DWORD dst_unused:UNUSED_PAD src0_sel:WORD_1 src1_sel:DWORD
	v_cmpx_ne_u16_e32 0, v3
	s_cbranch_execz .LBB372_1730
; %bb.1723:                             ;   in Loop: Header=BB372_10 Depth=1
	v_bfrev_b32_e32 v102, 1
	s_mov_b32 s17, exec_lo
	v_cmpx_ne_u16_e32 0x80, v3
	s_cbranch_execz .LBB372_1729
; %bb.1724:                             ;   in Loop: Header=BB372_10 Depth=1
	v_bfe_u32 v12, v25, 16, 7
	v_mov_b32_e32 v102, 0x7f800001
	s_mov_b32 s19, exec_lo
	v_cmpx_ne_u32_e32 0x7f, v12
	s_cbranch_execz .LBB372_1728
; %bb.1725:                             ;   in Loop: Header=BB372_10 Depth=1
	v_mov_b32_e32 v3, 7
	s_mov_b32 s20, exec_lo
	v_and_b32_sdwa v4, v25, v3 dst_sel:DWORD dst_unused:UNUSED_PAD src0_sel:WORD_1 src1_sel:DWORD
	v_mov_b32_e32 v27, v5
	v_lshrrev_b32_e32 v3, 3, v12
	v_mov_b32_e32 v26, v4
	v_cmpx_gt_u32_e32 8, v12
; %bb.1726:                             ;   in Loop: Header=BB372_10 Depth=1
	v_ffbh_u32_e32 v3, v4
	v_min_u32_e32 v3, 32, v3
	v_subrev_nc_u32_e32 v12, 28, v3
	v_sub_nc_u32_e32 v3, 29, v3
	v_lshlrev_b64 v[14:15], v12, v[4:5]
	v_and_b32_e32 v26, 7, v14
; %bb.1727:                             ;   in Loop: Header=BB372_10 Depth=1
	s_or_b32 exec_lo, exec_lo, s20
	v_mov_b32_e32 v4, 24
	v_lshlrev_b32_e32 v12, 20, v26
	v_lshl_add_u32 v3, v3, 23, 0x3c000000
	v_lshlrev_b32_sdwa v4, v4, v25 dst_sel:DWORD dst_unused:UNUSED_PAD src0_sel:DWORD src1_sel:WORD_1
	v_and_b32_e32 v4, 0x80000000, v4
	v_or3_b32 v102, v12, v4, v3
.LBB372_1728:                           ;   in Loop: Header=BB372_10 Depth=1
	s_or_b32 exec_lo, exec_lo, s19
.LBB372_1729:                           ;   in Loop: Header=BB372_10 Depth=1
	s_or_b32 exec_lo, exec_lo, s17
.LBB372_1730:                           ;   in Loop: Header=BB372_10 Depth=1
	s_or_b32 exec_lo, exec_lo, s6
	v_mov_b32_e32 v96, 0
	v_mov_b32_e32 v53, 0
	s_mov_b32 s6, exec_lo
	v_cmpx_lt_u64_e64 s[8:9], v[24:25]
	s_cbranch_execz .LBB372_1738
; %bb.1731:                             ;   in Loop: Header=BB372_10 Depth=1
	v_cmp_ne_u32_sdwa s5, v25, v71 src0_sel:BYTE_3 src1_sel:DWORD
	v_bfrev_b32_e32 v53, 1
	s_and_saveexec_b32 s17, s5
	s_cbranch_execz .LBB372_1737
; %bb.1732:                             ;   in Loop: Header=BB372_10 Depth=1
	v_bfe_u32 v12, v25, 24, 7
	v_mov_b32_e32 v53, 0x7f800001
	s_mov_b32 s19, exec_lo
	v_cmpx_ne_u32_e32 0x7f, v12
	s_cbranch_execz .LBB372_1736
; %bb.1733:                             ;   in Loop: Header=BB372_10 Depth=1
	v_mov_b32_e32 v3, 7
	s_mov_b32 s20, exec_lo
	v_and_b32_sdwa v4, v25, v3 dst_sel:DWORD dst_unused:UNUSED_PAD src0_sel:BYTE_3 src1_sel:DWORD
	v_mov_b32_e32 v27, v5
	v_lshrrev_b32_e32 v3, 3, v12
	v_mov_b32_e32 v26, v4
	v_cmpx_gt_u32_e32 8, v12
; %bb.1734:                             ;   in Loop: Header=BB372_10 Depth=1
	v_ffbh_u32_e32 v3, v4
	v_min_u32_e32 v3, 32, v3
	v_subrev_nc_u32_e32 v12, 28, v3
	v_sub_nc_u32_e32 v3, 29, v3
	v_lshlrev_b64 v[14:15], v12, v[4:5]
	v_and_b32_e32 v26, 7, v14
; %bb.1735:                             ;   in Loop: Header=BB372_10 Depth=1
	s_or_b32 exec_lo, exec_lo, s20
	v_mov_b32_e32 v4, 24
	v_lshlrev_b32_e32 v12, 20, v26
	v_lshl_add_u32 v3, v3, 23, 0x3c000000
	v_lshlrev_b32_sdwa v4, v4, v25 dst_sel:DWORD dst_unused:UNUSED_PAD src0_sel:DWORD src1_sel:BYTE_3
	v_and_b32_e32 v4, 0x80000000, v4
	v_or3_b32 v53, v12, v4, v3
.LBB372_1736:                           ;   in Loop: Header=BB372_10 Depth=1
	s_or_b32 exec_lo, exec_lo, s19
.LBB372_1737:                           ;   in Loop: Header=BB372_10 Depth=1
	s_or_b32 exec_lo, exec_lo, s17
.LBB372_1738:                           ;   in Loop: Header=BB372_10 Depth=1
	s_or_b32 exec_lo, exec_lo, s6
	flat_load_dwordx2 v[24:25], v[16:17] offset:520
	s_waitcnt vmcnt(0) lgkmcnt(0)
	v_cmp_ne_u16_sdwa s5, v24, v5 src0_sel:BYTE_0 src1_sel:DWORD
	s_and_saveexec_b32 s6, s5
	s_cbranch_execz .LBB372_1746
; %bb.1739:                             ;   in Loop: Header=BB372_10 Depth=1
	v_cmp_ne_u16_sdwa s5, v24, v71 src0_sel:BYTE_0 src1_sel:DWORD
	v_bfrev_b32_e32 v96, 1
	s_and_saveexec_b32 s17, s5
	s_cbranch_execz .LBB372_1745
; %bb.1740:                             ;   in Loop: Header=BB372_10 Depth=1
	v_and_b32_e32 v4, 0x7f, v24
	v_mov_b32_e32 v96, 0x7f800001
	s_mov_b32 s19, exec_lo
	v_cmpx_ne_u32_e32 0x7f, v4
	s_cbranch_execz .LBB372_1744
; %bb.1741:                             ;   in Loop: Header=BB372_10 Depth=1
	v_mov_b32_e32 v27, v25
	v_lshrrev_b32_e32 v3, 3, v4
	v_mov_b32_e32 v26, v24
	s_mov_b32 s20, exec_lo
	v_cmpx_gt_u32_e32 8, v4
; %bb.1742:                             ;   in Loop: Header=BB372_10 Depth=1
	v_and_b32_e32 v3, 7, v24
	v_ffbh_u32_e32 v3, v3
	v_min_u32_e32 v3, 32, v3
	v_subrev_nc_u32_e32 v4, 28, v3
	v_sub_nc_u32_e32 v3, 29, v3
	v_lshlrev_b64 v[26:27], v4, v[24:25]
; %bb.1743:                             ;   in Loop: Header=BB372_10 Depth=1
	s_or_b32 exec_lo, exec_lo, s20
	v_lshlrev_b32_e32 v4, 20, v26
	v_lshlrev_b32_e32 v12, 24, v24
	v_lshl_add_u32 v3, v3, 23, 0x3c000000
	v_and_b32_e32 v4, 0x700000, v4
	v_and_b32_e32 v12, 0x80000000, v12
	v_or3_b32 v96, v4, v12, v3
.LBB372_1744:                           ;   in Loop: Header=BB372_10 Depth=1
	s_or_b32 exec_lo, exec_lo, s19
.LBB372_1745:                           ;   in Loop: Header=BB372_10 Depth=1
	s_or_b32 exec_lo, exec_lo, s17
.LBB372_1746:                           ;   in Loop: Header=BB372_10 Depth=1
	s_or_b32 exec_lo, exec_lo, s6
	v_cmp_ne_u16_sdwa s5, v24, v5 src0_sel:BYTE_1 src1_sel:DWORD
	v_mov_b32_e32 v20, 0
	v_mov_b32_e32 v12, 0
	s_and_saveexec_b32 s6, s5
	s_cbranch_execz .LBB372_1754
; %bb.1747:                             ;   in Loop: Header=BB372_10 Depth=1
	v_cmp_ne_u16_sdwa s5, v24, v71 src0_sel:BYTE_1 src1_sel:DWORD
	v_bfrev_b32_e32 v12, 1
	s_and_saveexec_b32 s17, s5
	s_cbranch_execz .LBB372_1753
; %bb.1748:                             ;   in Loop: Header=BB372_10 Depth=1
	v_mov_b32_e32 v3, 0xffff
	v_mov_b32_e32 v12, 0x7f800001
	s_mov_b32 s19, exec_lo
	v_and_b32_sdwa v3, v3, v24 dst_sel:DWORD dst_unused:UNUSED_PAD src0_sel:DWORD src1_sel:BYTE_1
	v_and_b32_e32 v14, 0x7f, v3
	v_cmpx_ne_u32_e32 0x7f, v14
	s_cbranch_execz .LBB372_1752
; %bb.1749:                             ;   in Loop: Header=BB372_10 Depth=1
	v_and_b32_e32 v4, 7, v3
	v_mov_b32_e32 v27, v5
	v_lshrrev_b32_e32 v3, 3, v14
	s_mov_b32 s20, exec_lo
	v_mov_b32_e32 v26, v4
	v_cmpx_gt_u32_e32 8, v14
; %bb.1750:                             ;   in Loop: Header=BB372_10 Depth=1
	v_ffbh_u32_e32 v3, v4
	v_min_u32_e32 v3, 32, v3
	v_subrev_nc_u32_e32 v12, 28, v3
	v_sub_nc_u32_e32 v3, 29, v3
	v_lshlrev_b64 v[14:15], v12, v[4:5]
	v_and_b32_e32 v26, 7, v14
; %bb.1751:                             ;   in Loop: Header=BB372_10 Depth=1
	s_or_b32 exec_lo, exec_lo, s20
	v_lshlrev_b32_e32 v4, 16, v24
	v_lshlrev_b32_e32 v12, 20, v26
	v_lshl_add_u32 v3, v3, 23, 0x3c000000
	v_and_b32_e32 v4, 0x80000000, v4
	v_or3_b32 v12, v12, v4, v3
.LBB372_1752:                           ;   in Loop: Header=BB372_10 Depth=1
	s_or_b32 exec_lo, exec_lo, s19
.LBB372_1753:                           ;   in Loop: Header=BB372_10 Depth=1
	s_or_b32 exec_lo, exec_lo, s17
.LBB372_1754:                           ;   in Loop: Header=BB372_10 Depth=1
	s_or_b32 exec_lo, exec_lo, s6
	v_mov_b32_e32 v3, 0xff
	s_mov_b32 s6, exec_lo
	v_and_b32_sdwa v3, v24, v3 dst_sel:DWORD dst_unused:UNUSED_PAD src0_sel:WORD_1 src1_sel:DWORD
	v_cmpx_ne_u16_e32 0, v3
	s_cbranch_execz .LBB372_1762
; %bb.1755:                             ;   in Loop: Header=BB372_10 Depth=1
	v_bfrev_b32_e32 v20, 1
	s_mov_b32 s17, exec_lo
	v_cmpx_ne_u16_e32 0x80, v3
	s_cbranch_execz .LBB372_1761
; %bb.1756:                             ;   in Loop: Header=BB372_10 Depth=1
	v_bfe_u32 v14, v24, 16, 7
	v_mov_b32_e32 v20, 0x7f800001
	s_mov_b32 s19, exec_lo
	v_cmpx_ne_u32_e32 0x7f, v14
	s_cbranch_execz .LBB372_1760
; %bb.1757:                             ;   in Loop: Header=BB372_10 Depth=1
	v_mov_b32_e32 v3, 7
	s_mov_b32 s20, exec_lo
	v_and_b32_sdwa v4, v24, v3 dst_sel:DWORD dst_unused:UNUSED_PAD src0_sel:WORD_1 src1_sel:DWORD
	v_mov_b32_e32 v27, v5
	v_lshrrev_b32_e32 v3, 3, v14
	v_mov_b32_e32 v26, v4
	v_cmpx_gt_u32_e32 8, v14
; %bb.1758:                             ;   in Loop: Header=BB372_10 Depth=1
	v_ffbh_u32_e32 v3, v4
	v_min_u32_e32 v3, 32, v3
	v_subrev_nc_u32_e32 v14, 28, v3
	v_sub_nc_u32_e32 v3, 29, v3
	v_lshlrev_b64 v[14:15], v14, v[4:5]
	v_and_b32_e32 v26, 7, v14
; %bb.1759:                             ;   in Loop: Header=BB372_10 Depth=1
	s_or_b32 exec_lo, exec_lo, s20
	v_mov_b32_e32 v4, 24
	v_lshlrev_b32_e32 v14, 20, v26
	v_lshl_add_u32 v3, v3, 23, 0x3c000000
	v_lshlrev_b32_sdwa v4, v4, v24 dst_sel:DWORD dst_unused:UNUSED_PAD src0_sel:DWORD src1_sel:WORD_1
	v_and_b32_e32 v4, 0x80000000, v4
	v_or3_b32 v20, v14, v4, v3
.LBB372_1760:                           ;   in Loop: Header=BB372_10 Depth=1
	s_or_b32 exec_lo, exec_lo, s19
.LBB372_1761:                           ;   in Loop: Header=BB372_10 Depth=1
	s_or_b32 exec_lo, exec_lo, s17
.LBB372_1762:                           ;   in Loop: Header=BB372_10 Depth=1
	s_or_b32 exec_lo, exec_lo, s6
	v_mov_b32_e32 v43, 0
	v_mov_b32_e32 v68, 0
	s_mov_b32 s6, exec_lo
	v_cmpx_lt_u32_e32 0xffffff, v24
	s_cbranch_execz .LBB372_1770
; %bb.1763:                             ;   in Loop: Header=BB372_10 Depth=1
	v_cmp_ne_u32_sdwa s5, v24, v71 src0_sel:BYTE_3 src1_sel:DWORD
	v_bfrev_b32_e32 v68, 1
	s_and_saveexec_b32 s17, s5
	s_cbranch_execz .LBB372_1769
; %bb.1764:                             ;   in Loop: Header=BB372_10 Depth=1
	v_bfe_u32 v14, v24, 24, 7
	v_mov_b32_e32 v68, 0x7f800001
	s_mov_b32 s19, exec_lo
	v_cmpx_ne_u32_e32 0x7f, v14
	s_cbranch_execz .LBB372_1768
; %bb.1765:                             ;   in Loop: Header=BB372_10 Depth=1
	v_mov_b32_e32 v3, 7
	s_mov_b32 s20, exec_lo
	v_and_b32_sdwa v4, v24, v3 dst_sel:DWORD dst_unused:UNUSED_PAD src0_sel:BYTE_3 src1_sel:DWORD
	v_mov_b32_e32 v27, v5
	v_lshrrev_b32_e32 v3, 3, v14
	v_mov_b32_e32 v26, v4
	v_cmpx_gt_u32_e32 8, v14
; %bb.1766:                             ;   in Loop: Header=BB372_10 Depth=1
	v_ffbh_u32_e32 v3, v4
	v_min_u32_e32 v3, 32, v3
	v_subrev_nc_u32_e32 v14, 28, v3
	v_sub_nc_u32_e32 v3, 29, v3
	v_lshlrev_b64 v[14:15], v14, v[4:5]
	v_and_b32_e32 v26, 7, v14
; %bb.1767:                             ;   in Loop: Header=BB372_10 Depth=1
	s_or_b32 exec_lo, exec_lo, s20
	v_mov_b32_e32 v4, 24
	v_lshlrev_b32_e32 v14, 20, v26
	v_lshl_add_u32 v3, v3, 23, 0x3c000000
	v_lshlrev_b32_sdwa v4, v4, v24 dst_sel:DWORD dst_unused:UNUSED_PAD src0_sel:DWORD src1_sel:BYTE_3
	v_and_b32_e32 v4, 0x80000000, v4
	v_or3_b32 v68, v14, v4, v3
.LBB372_1768:                           ;   in Loop: Header=BB372_10 Depth=1
	s_or_b32 exec_lo, exec_lo, s19
.LBB372_1769:                           ;   in Loop: Header=BB372_10 Depth=1
	s_or_b32 exec_lo, exec_lo, s17
.LBB372_1770:                           ;   in Loop: Header=BB372_10 Depth=1
	s_or_b32 exec_lo, exec_lo, s6
	v_mov_b32_e32 v4, v25
	v_cmp_ne_u16_sdwa s5, v25, v5 src0_sel:BYTE_0 src1_sel:DWORD
	s_and_saveexec_b32 s6, s5
	s_cbranch_execz .LBB372_1778
; %bb.1771:                             ;   in Loop: Header=BB372_10 Depth=1
	v_cmp_ne_u16_sdwa s5, v25, v71 src0_sel:BYTE_0 src1_sel:DWORD
	v_bfrev_b32_e32 v43, 1
	s_and_saveexec_b32 s17, s5
	s_cbranch_execz .LBB372_1777
; %bb.1772:                             ;   in Loop: Header=BB372_10 Depth=1
	v_and_b32_e32 v14, 0x7f, v25
	v_mov_b32_e32 v43, 0x7f800001
	s_mov_b32 s19, exec_lo
	v_cmpx_ne_u32_e32 0x7f, v14
	s_cbranch_execz .LBB372_1776
; %bb.1773:                             ;   in Loop: Header=BB372_10 Depth=1
	v_mov_b32_e32 v27, v5
	v_mov_b32_e32 v26, v4
	v_lshrrev_b32_e32 v3, 3, v14
	s_mov_b32 s20, exec_lo
	v_cmpx_gt_u32_e32 8, v14
; %bb.1774:                             ;   in Loop: Header=BB372_10 Depth=1
	v_and_b32_e32 v3, 7, v25
	v_ffbh_u32_e32 v3, v3
	v_min_u32_e32 v3, 32, v3
	v_subrev_nc_u32_e32 v14, 28, v3
	v_sub_nc_u32_e32 v3, 29, v3
	v_lshlrev_b64 v[26:27], v14, v[4:5]
; %bb.1775:                             ;   in Loop: Header=BB372_10 Depth=1
	s_or_b32 exec_lo, exec_lo, s20
	v_lshlrev_b32_e32 v14, 20, v26
	v_lshlrev_b32_e32 v15, 24, v4
	v_lshl_add_u32 v3, v3, 23, 0x3c000000
	v_and_b32_e32 v14, 0x700000, v14
	v_and_b32_e32 v15, 0x80000000, v15
	v_or3_b32 v43, v14, v15, v3
.LBB372_1776:                           ;   in Loop: Header=BB372_10 Depth=1
	s_or_b32 exec_lo, exec_lo, s19
.LBB372_1777:                           ;   in Loop: Header=BB372_10 Depth=1
	s_or_b32 exec_lo, exec_lo, s17
.LBB372_1778:                           ;   in Loop: Header=BB372_10 Depth=1
	s_or_b32 exec_lo, exec_lo, s6
	v_cmp_ne_u16_sdwa s5, v4, v5 src0_sel:BYTE_1 src1_sel:DWORD
	v_mov_b32_e32 v49, 0
	v_mov_b32_e32 v32, 0
	s_and_saveexec_b32 s6, s5
	s_cbranch_execz .LBB372_1786
; %bb.1779:                             ;   in Loop: Header=BB372_10 Depth=1
	v_cmp_ne_u16_sdwa s5, v4, v71 src0_sel:BYTE_1 src1_sel:DWORD
	v_bfrev_b32_e32 v32, 1
	s_and_saveexec_b32 s17, s5
	s_cbranch_execz .LBB372_1785
; %bb.1780:                             ;   in Loop: Header=BB372_10 Depth=1
	v_mov_b32_e32 v3, 0xffff
	v_mov_b32_e32 v32, 0x7f800001
	s_mov_b32 s19, exec_lo
	v_and_b32_sdwa v3, v3, v4 dst_sel:DWORD dst_unused:UNUSED_PAD src0_sel:DWORD src1_sel:BYTE_1
	v_and_b32_e32 v14, 0x7f, v3
	v_cmpx_ne_u32_e32 0x7f, v14
	s_cbranch_execz .LBB372_1784
; %bb.1781:                             ;   in Loop: Header=BB372_10 Depth=1
	v_and_b32_e32 v26, 7, v3
	v_mov_b32_e32 v27, v5
	v_lshrrev_b32_e32 v3, 3, v14
	s_mov_b32 s20, exec_lo
	v_cmpx_gt_u32_e32 8, v14
; %bb.1782:                             ;   in Loop: Header=BB372_10 Depth=1
	v_ffbh_u32_e32 v3, v26
	v_min_u32_e32 v3, 32, v3
	v_subrev_nc_u32_e32 v14, 28, v3
	v_sub_nc_u32_e32 v3, 29, v3
	v_lshlrev_b64 v[14:15], v14, v[26:27]
	v_and_b32_e32 v26, 7, v14
; %bb.1783:                             ;   in Loop: Header=BB372_10 Depth=1
	s_or_b32 exec_lo, exec_lo, s20
	v_lshlrev_b32_e32 v4, 16, v4
	v_lshlrev_b32_e32 v14, 20, v26
	v_lshl_add_u32 v3, v3, 23, 0x3c000000
	v_and_b32_e32 v4, 0x80000000, v4
	v_or3_b32 v32, v14, v4, v3
.LBB372_1784:                           ;   in Loop: Header=BB372_10 Depth=1
	s_or_b32 exec_lo, exec_lo, s19
.LBB372_1785:                           ;   in Loop: Header=BB372_10 Depth=1
	s_or_b32 exec_lo, exec_lo, s17
.LBB372_1786:                           ;   in Loop: Header=BB372_10 Depth=1
	s_or_b32 exec_lo, exec_lo, s6
	v_mov_b32_e32 v3, 0xff
	s_mov_b32 s6, exec_lo
	v_and_b32_sdwa v3, v25, v3 dst_sel:DWORD dst_unused:UNUSED_PAD src0_sel:WORD_1 src1_sel:DWORD
	v_cmpx_ne_u16_e32 0, v3
	s_cbranch_execz .LBB372_1794
; %bb.1787:                             ;   in Loop: Header=BB372_10 Depth=1
	v_bfrev_b32_e32 v49, 1
	s_mov_b32 s17, exec_lo
	v_cmpx_ne_u16_e32 0x80, v3
	s_cbranch_execz .LBB372_1793
; %bb.1788:                             ;   in Loop: Header=BB372_10 Depth=1
	v_bfe_u32 v14, v25, 16, 7
	v_mov_b32_e32 v49, 0x7f800001
	s_mov_b32 s19, exec_lo
	v_cmpx_ne_u32_e32 0x7f, v14
	s_cbranch_execz .LBB372_1792
; %bb.1789:                             ;   in Loop: Header=BB372_10 Depth=1
	v_mov_b32_e32 v3, 7
	s_mov_b32 s20, exec_lo
	v_and_b32_sdwa v4, v25, v3 dst_sel:DWORD dst_unused:UNUSED_PAD src0_sel:WORD_1 src1_sel:DWORD
	v_mov_b32_e32 v27, v5
	v_lshrrev_b32_e32 v3, 3, v14
	v_mov_b32_e32 v26, v4
	v_cmpx_gt_u32_e32 8, v14
; %bb.1790:                             ;   in Loop: Header=BB372_10 Depth=1
	v_ffbh_u32_e32 v3, v4
	v_min_u32_e32 v3, 32, v3
	v_subrev_nc_u32_e32 v14, 28, v3
	v_sub_nc_u32_e32 v3, 29, v3
	v_lshlrev_b64 v[14:15], v14, v[4:5]
	v_and_b32_e32 v26, 7, v14
; %bb.1791:                             ;   in Loop: Header=BB372_10 Depth=1
	s_or_b32 exec_lo, exec_lo, s20
	v_mov_b32_e32 v4, 24
	v_lshlrev_b32_e32 v14, 20, v26
	v_lshl_add_u32 v3, v3, 23, 0x3c000000
	v_lshlrev_b32_sdwa v4, v4, v25 dst_sel:DWORD dst_unused:UNUSED_PAD src0_sel:DWORD src1_sel:WORD_1
	v_and_b32_e32 v4, 0x80000000, v4
	v_or3_b32 v49, v14, v4, v3
.LBB372_1792:                           ;   in Loop: Header=BB372_10 Depth=1
	s_or_b32 exec_lo, exec_lo, s19
.LBB372_1793:                           ;   in Loop: Header=BB372_10 Depth=1
	s_or_b32 exec_lo, exec_lo, s17
.LBB372_1794:                           ;   in Loop: Header=BB372_10 Depth=1
	s_or_b32 exec_lo, exec_lo, s6
	v_mov_b32_e32 v3, 0
	v_mov_b32_e32 v112, 0
	s_mov_b32 s6, exec_lo
	v_cmpx_lt_u64_e64 s[8:9], v[24:25]
	s_cbranch_execz .LBB372_1802
; %bb.1795:                             ;   in Loop: Header=BB372_10 Depth=1
	v_cmp_ne_u32_sdwa s5, v25, v71 src0_sel:BYTE_3 src1_sel:DWORD
	v_bfrev_b32_e32 v112, 1
	s_and_saveexec_b32 s17, s5
	s_cbranch_execz .LBB372_1801
; %bb.1796:                             ;   in Loop: Header=BB372_10 Depth=1
	v_bfe_u32 v15, v25, 24, 7
	v_mov_b32_e32 v112, 0x7f800001
	s_mov_b32 s19, exec_lo
	v_cmpx_ne_u32_e32 0x7f, v15
	s_cbranch_execz .LBB372_1800
; %bb.1797:                             ;   in Loop: Header=BB372_10 Depth=1
	v_mov_b32_e32 v4, 7
	v_lshrrev_b32_e32 v14, 3, v15
	s_mov_b32 s20, exec_lo
	v_and_b32_sdwa v4, v25, v4 dst_sel:DWORD dst_unused:UNUSED_PAD src0_sel:BYTE_3 src1_sel:DWORD
	v_mov_b32_e32 v27, v5
	v_mov_b32_e32 v26, v4
	v_cmpx_gt_u32_e32 8, v15
; %bb.1798:                             ;   in Loop: Header=BB372_10 Depth=1
	v_ffbh_u32_e32 v14, v4
	v_min_u32_e32 v14, 32, v14
	v_subrev_nc_u32_e32 v15, 28, v14
	v_sub_nc_u32_e32 v14, 29, v14
	v_lshlrev_b64 v[26:27], v15, v[4:5]
	v_and_b32_e32 v26, 7, v26
; %bb.1799:                             ;   in Loop: Header=BB372_10 Depth=1
	s_or_b32 exec_lo, exec_lo, s20
	v_mov_b32_e32 v4, 24
	v_lshlrev_b32_e32 v15, 20, v26
	v_lshl_add_u32 v14, v14, 23, 0x3c000000
	v_lshlrev_b32_sdwa v4, v4, v25 dst_sel:DWORD dst_unused:UNUSED_PAD src0_sel:DWORD src1_sel:BYTE_3
	v_and_b32_e32 v4, 0x80000000, v4
	v_or3_b32 v112, v15, v4, v14
.LBB372_1800:                           ;   in Loop: Header=BB372_10 Depth=1
	s_or_b32 exec_lo, exec_lo, s19
.LBB372_1801:                           ;   in Loop: Header=BB372_10 Depth=1
	s_or_b32 exec_lo, exec_lo, s17
.LBB372_1802:                           ;   in Loop: Header=BB372_10 Depth=1
	s_or_b32 exec_lo, exec_lo, s6
	flat_load_dwordx2 v[24:25], v[16:17] offset:1024
	s_waitcnt vmcnt(0) lgkmcnt(0)
	v_cmp_ne_u16_sdwa s5, v24, v5 src0_sel:BYTE_0 src1_sel:DWORD
	s_and_saveexec_b32 s6, s5
	s_cbranch_execz .LBB372_1810
; %bb.1803:                             ;   in Loop: Header=BB372_10 Depth=1
	v_cmp_ne_u16_sdwa s5, v24, v71 src0_sel:BYTE_0 src1_sel:DWORD
	v_bfrev_b32_e32 v3, 1
	s_and_saveexec_b32 s17, s5
	s_cbranch_execz .LBB372_1809
; %bb.1804:                             ;   in Loop: Header=BB372_10 Depth=1
	v_and_b32_e32 v4, 0x7f, v24
	v_mov_b32_e32 v3, 0x7f800001
	s_mov_b32 s19, exec_lo
	v_cmpx_ne_u32_e32 0x7f, v4
	s_cbranch_execz .LBB372_1808
; %bb.1805:                             ;   in Loop: Header=BB372_10 Depth=1
	v_mov_b32_e32 v27, v25
	v_lshrrev_b32_e32 v3, 3, v4
	v_mov_b32_e32 v26, v24
	s_mov_b32 s20, exec_lo
	v_cmpx_gt_u32_e32 8, v4
; %bb.1806:                             ;   in Loop: Header=BB372_10 Depth=1
	v_and_b32_e32 v3, 7, v24
	v_ffbh_u32_e32 v3, v3
	v_min_u32_e32 v3, 32, v3
	v_subrev_nc_u32_e32 v4, 28, v3
	v_sub_nc_u32_e32 v3, 29, v3
	v_lshlrev_b64 v[26:27], v4, v[24:25]
; %bb.1807:                             ;   in Loop: Header=BB372_10 Depth=1
	s_or_b32 exec_lo, exec_lo, s20
	v_lshlrev_b32_e32 v4, 20, v26
	v_lshlrev_b32_e32 v14, 24, v24
	v_lshl_add_u32 v3, v3, 23, 0x3c000000
	v_and_b32_e32 v4, 0x700000, v4
	v_and_b32_e32 v14, 0x80000000, v14
	v_or3_b32 v3, v4, v14, v3
.LBB372_1808:                           ;   in Loop: Header=BB372_10 Depth=1
	s_or_b32 exec_lo, exec_lo, s19
.LBB372_1809:                           ;   in Loop: Header=BB372_10 Depth=1
	s_or_b32 exec_lo, exec_lo, s17
.LBB372_1810:                           ;   in Loop: Header=BB372_10 Depth=1
	s_or_b32 exec_lo, exec_lo, s6
	v_cmp_ne_u16_sdwa s5, v24, v5 src0_sel:BYTE_1 src1_sel:DWORD
	v_mov_b32_e32 v88, 0
	v_mov_b32_e32 v75, 0
	s_and_saveexec_b32 s6, s5
	s_cbranch_execz .LBB372_1818
; %bb.1811:                             ;   in Loop: Header=BB372_10 Depth=1
	v_cmp_ne_u16_sdwa s5, v24, v71 src0_sel:BYTE_1 src1_sel:DWORD
	v_bfrev_b32_e32 v75, 1
	s_and_saveexec_b32 s17, s5
	s_cbranch_execz .LBB372_1817
; %bb.1812:                             ;   in Loop: Header=BB372_10 Depth=1
	v_mov_b32_e32 v4, 0xffff
	v_mov_b32_e32 v75, 0x7f800001
	s_mov_b32 s19, exec_lo
	v_and_b32_sdwa v4, v4, v24 dst_sel:DWORD dst_unused:UNUSED_PAD src0_sel:DWORD src1_sel:BYTE_1
	v_and_b32_e32 v15, 0x7f, v4
	v_cmpx_ne_u32_e32 0x7f, v15
	s_cbranch_execz .LBB372_1816
; %bb.1813:                             ;   in Loop: Header=BB372_10 Depth=1
	v_and_b32_e32 v4, 7, v4
	v_mov_b32_e32 v27, v5
	v_lshrrev_b32_e32 v14, 3, v15
	s_mov_b32 s20, exec_lo
	v_mov_b32_e32 v26, v4
	v_cmpx_gt_u32_e32 8, v15
; %bb.1814:                             ;   in Loop: Header=BB372_10 Depth=1
	v_ffbh_u32_e32 v14, v4
	v_min_u32_e32 v14, 32, v14
	v_subrev_nc_u32_e32 v15, 28, v14
	v_sub_nc_u32_e32 v14, 29, v14
	v_lshlrev_b64 v[26:27], v15, v[4:5]
	v_and_b32_e32 v26, 7, v26
; %bb.1815:                             ;   in Loop: Header=BB372_10 Depth=1
	s_or_b32 exec_lo, exec_lo, s20
	v_lshlrev_b32_e32 v4, 16, v24
	v_lshlrev_b32_e32 v15, 20, v26
	v_lshl_add_u32 v14, v14, 23, 0x3c000000
	v_and_b32_e32 v4, 0x80000000, v4
	v_or3_b32 v75, v15, v4, v14
.LBB372_1816:                           ;   in Loop: Header=BB372_10 Depth=1
	s_or_b32 exec_lo, exec_lo, s19
.LBB372_1817:                           ;   in Loop: Header=BB372_10 Depth=1
	s_or_b32 exec_lo, exec_lo, s17
.LBB372_1818:                           ;   in Loop: Header=BB372_10 Depth=1
	s_or_b32 exec_lo, exec_lo, s6
	v_mov_b32_e32 v4, 0xff
	s_mov_b32 s6, exec_lo
	v_and_b32_sdwa v4, v24, v4 dst_sel:DWORD dst_unused:UNUSED_PAD src0_sel:WORD_1 src1_sel:DWORD
	v_cmpx_ne_u16_e32 0, v4
	s_cbranch_execz .LBB372_1826
; %bb.1819:                             ;   in Loop: Header=BB372_10 Depth=1
	v_bfrev_b32_e32 v88, 1
	s_mov_b32 s17, exec_lo
	v_cmpx_ne_u16_e32 0x80, v4
	s_cbranch_execz .LBB372_1825
; %bb.1820:                             ;   in Loop: Header=BB372_10 Depth=1
	v_bfe_u32 v15, v24, 16, 7
	v_mov_b32_e32 v88, 0x7f800001
	s_mov_b32 s19, exec_lo
	v_cmpx_ne_u32_e32 0x7f, v15
	s_cbranch_execz .LBB372_1824
; %bb.1821:                             ;   in Loop: Header=BB372_10 Depth=1
	v_mov_b32_e32 v4, 7
	v_lshrrev_b32_e32 v14, 3, v15
	s_mov_b32 s20, exec_lo
	v_and_b32_sdwa v4, v24, v4 dst_sel:DWORD dst_unused:UNUSED_PAD src0_sel:WORD_1 src1_sel:DWORD
	v_mov_b32_e32 v27, v5
	v_mov_b32_e32 v26, v4
	v_cmpx_gt_u32_e32 8, v15
; %bb.1822:                             ;   in Loop: Header=BB372_10 Depth=1
	v_ffbh_u32_e32 v14, v4
	v_min_u32_e32 v14, 32, v14
	v_subrev_nc_u32_e32 v15, 28, v14
	v_sub_nc_u32_e32 v14, 29, v14
	v_lshlrev_b64 v[26:27], v15, v[4:5]
	v_and_b32_e32 v26, 7, v26
; %bb.1823:                             ;   in Loop: Header=BB372_10 Depth=1
	s_or_b32 exec_lo, exec_lo, s20
	v_mov_b32_e32 v4, 24
	v_lshlrev_b32_e32 v15, 20, v26
	v_lshl_add_u32 v14, v14, 23, 0x3c000000
	v_lshlrev_b32_sdwa v4, v4, v24 dst_sel:DWORD dst_unused:UNUSED_PAD src0_sel:DWORD src1_sel:WORD_1
	v_and_b32_e32 v4, 0x80000000, v4
	v_or3_b32 v88, v15, v4, v14
.LBB372_1824:                           ;   in Loop: Header=BB372_10 Depth=1
	s_or_b32 exec_lo, exec_lo, s19
.LBB372_1825:                           ;   in Loop: Header=BB372_10 Depth=1
	s_or_b32 exec_lo, exec_lo, s17
.LBB372_1826:                           ;   in Loop: Header=BB372_10 Depth=1
	s_or_b32 exec_lo, exec_lo, s6
	v_mov_b32_e32 v101, 0
	v_mov_b32_e32 v115, 0
	s_mov_b32 s6, exec_lo
	v_cmpx_lt_u32_e32 0xffffff, v24
	s_cbranch_execz .LBB372_1834
; %bb.1827:                             ;   in Loop: Header=BB372_10 Depth=1
	v_cmp_ne_u32_sdwa s5, v24, v71 src0_sel:BYTE_3 src1_sel:DWORD
	v_bfrev_b32_e32 v115, 1
	s_and_saveexec_b32 s17, s5
	s_cbranch_execz .LBB372_1833
; %bb.1828:                             ;   in Loop: Header=BB372_10 Depth=1
	v_bfe_u32 v15, v24, 24, 7
	v_mov_b32_e32 v115, 0x7f800001
	s_mov_b32 s19, exec_lo
	v_cmpx_ne_u32_e32 0x7f, v15
	s_cbranch_execz .LBB372_1832
; %bb.1829:                             ;   in Loop: Header=BB372_10 Depth=1
	v_mov_b32_e32 v4, 7
	v_lshrrev_b32_e32 v14, 3, v15
	s_mov_b32 s20, exec_lo
	v_and_b32_sdwa v4, v24, v4 dst_sel:DWORD dst_unused:UNUSED_PAD src0_sel:BYTE_3 src1_sel:DWORD
	v_mov_b32_e32 v27, v5
	v_mov_b32_e32 v26, v4
	v_cmpx_gt_u32_e32 8, v15
; %bb.1830:                             ;   in Loop: Header=BB372_10 Depth=1
	v_ffbh_u32_e32 v14, v4
	v_min_u32_e32 v14, 32, v14
	v_subrev_nc_u32_e32 v15, 28, v14
	v_sub_nc_u32_e32 v14, 29, v14
	v_lshlrev_b64 v[26:27], v15, v[4:5]
	v_and_b32_e32 v26, 7, v26
; %bb.1831:                             ;   in Loop: Header=BB372_10 Depth=1
	s_or_b32 exec_lo, exec_lo, s20
	v_mov_b32_e32 v4, 24
	v_lshlrev_b32_e32 v15, 20, v26
	v_lshl_add_u32 v14, v14, 23, 0x3c000000
	v_lshlrev_b32_sdwa v4, v4, v24 dst_sel:DWORD dst_unused:UNUSED_PAD src0_sel:DWORD src1_sel:BYTE_3
	v_and_b32_e32 v4, 0x80000000, v4
	v_or3_b32 v115, v15, v4, v14
.LBB372_1832:                           ;   in Loop: Header=BB372_10 Depth=1
	s_or_b32 exec_lo, exec_lo, s19
.LBB372_1833:                           ;   in Loop: Header=BB372_10 Depth=1
	s_or_b32 exec_lo, exec_lo, s17
.LBB372_1834:                           ;   in Loop: Header=BB372_10 Depth=1
	s_or_b32 exec_lo, exec_lo, s6
	v_mov_b32_e32 v4, v25
	v_cmp_ne_u16_sdwa s5, v25, v5 src0_sel:BYTE_0 src1_sel:DWORD
	s_and_saveexec_b32 s6, s5
	s_cbranch_execz .LBB372_1842
; %bb.1835:                             ;   in Loop: Header=BB372_10 Depth=1
	v_cmp_ne_u16_sdwa s5, v25, v71 src0_sel:BYTE_0 src1_sel:DWORD
	v_bfrev_b32_e32 v101, 1
	s_and_saveexec_b32 s17, s5
	s_cbranch_execz .LBB372_1841
; %bb.1836:                             ;   in Loop: Header=BB372_10 Depth=1
	v_and_b32_e32 v15, 0x7f, v25
	v_mov_b32_e32 v101, 0x7f800001
	s_mov_b32 s19, exec_lo
	v_cmpx_ne_u32_e32 0x7f, v15
	s_cbranch_execz .LBB372_1840
; %bb.1837:                             ;   in Loop: Header=BB372_10 Depth=1
	v_mov_b32_e32 v27, v5
	v_mov_b32_e32 v26, v4
	v_lshrrev_b32_e32 v14, 3, v15
	s_mov_b32 s20, exec_lo
	v_cmpx_gt_u32_e32 8, v15
; %bb.1838:                             ;   in Loop: Header=BB372_10 Depth=1
	v_and_b32_e32 v14, 7, v25
	v_ffbh_u32_e32 v14, v14
	v_min_u32_e32 v14, 32, v14
	v_subrev_nc_u32_e32 v15, 28, v14
	v_sub_nc_u32_e32 v14, 29, v14
	v_lshlrev_b64 v[26:27], v15, v[4:5]
; %bb.1839:                             ;   in Loop: Header=BB372_10 Depth=1
	s_or_b32 exec_lo, exec_lo, s20
	v_lshlrev_b32_e32 v15, 20, v26
	v_lshlrev_b32_e32 v19, 24, v4
	v_lshl_add_u32 v14, v14, 23, 0x3c000000
	v_and_b32_e32 v15, 0x700000, v15
	v_and_b32_e32 v19, 0x80000000, v19
	v_or3_b32 v101, v15, v19, v14
.LBB372_1840:                           ;   in Loop: Header=BB372_10 Depth=1
	s_or_b32 exec_lo, exec_lo, s19
.LBB372_1841:                           ;   in Loop: Header=BB372_10 Depth=1
	s_or_b32 exec_lo, exec_lo, s17
.LBB372_1842:                           ;   in Loop: Header=BB372_10 Depth=1
	s_or_b32 exec_lo, exec_lo, s6
	v_cmp_ne_u16_sdwa s5, v4, v5 src0_sel:BYTE_1 src1_sel:DWORD
	v_mov_b32_e32 v113, 0
	v_mov_b32_e32 v73, 0
	s_and_saveexec_b32 s6, s5
	s_cbranch_execz .LBB372_1850
; %bb.1843:                             ;   in Loop: Header=BB372_10 Depth=1
	v_cmp_ne_u16_sdwa s5, v4, v71 src0_sel:BYTE_1 src1_sel:DWORD
	v_bfrev_b32_e32 v73, 1
	s_and_saveexec_b32 s17, s5
	s_cbranch_execz .LBB372_1849
; %bb.1844:                             ;   in Loop: Header=BB372_10 Depth=1
	v_mov_b32_e32 v14, 0xffff
	v_mov_b32_e32 v73, 0x7f800001
	s_mov_b32 s19, exec_lo
	v_and_b32_sdwa v14, v14, v4 dst_sel:DWORD dst_unused:UNUSED_PAD src0_sel:DWORD src1_sel:BYTE_1
	v_and_b32_e32 v15, 0x7f, v14
	v_cmpx_ne_u32_e32 0x7f, v15
	s_cbranch_execz .LBB372_1848
; %bb.1845:                             ;   in Loop: Header=BB372_10 Depth=1
	v_and_b32_e32 v26, 7, v14
	v_mov_b32_e32 v27, v5
	v_lshrrev_b32_e32 v14, 3, v15
	s_mov_b32 s20, exec_lo
	v_cmpx_gt_u32_e32 8, v15
; %bb.1846:                             ;   in Loop: Header=BB372_10 Depth=1
	v_ffbh_u32_e32 v14, v26
	v_min_u32_e32 v14, 32, v14
	v_subrev_nc_u32_e32 v15, 28, v14
	v_sub_nc_u32_e32 v14, 29, v14
	v_lshlrev_b64 v[26:27], v15, v[26:27]
	v_and_b32_e32 v26, 7, v26
; %bb.1847:                             ;   in Loop: Header=BB372_10 Depth=1
	s_or_b32 exec_lo, exec_lo, s20
	v_lshlrev_b32_e32 v4, 16, v4
	v_lshlrev_b32_e32 v15, 20, v26
	v_lshl_add_u32 v14, v14, 23, 0x3c000000
	v_and_b32_e32 v4, 0x80000000, v4
	v_or3_b32 v73, v15, v4, v14
.LBB372_1848:                           ;   in Loop: Header=BB372_10 Depth=1
	s_or_b32 exec_lo, exec_lo, s19
.LBB372_1849:                           ;   in Loop: Header=BB372_10 Depth=1
	s_or_b32 exec_lo, exec_lo, s17
.LBB372_1850:                           ;   in Loop: Header=BB372_10 Depth=1
	s_or_b32 exec_lo, exec_lo, s6
	v_mov_b32_e32 v4, 0xff
	s_mov_b32 s6, exec_lo
	v_and_b32_sdwa v4, v25, v4 dst_sel:DWORD dst_unused:UNUSED_PAD src0_sel:WORD_1 src1_sel:DWORD
	v_cmpx_ne_u16_e32 0, v4
	s_cbranch_execz .LBB372_1858
; %bb.1851:                             ;   in Loop: Header=BB372_10 Depth=1
	v_bfrev_b32_e32 v113, 1
	s_mov_b32 s17, exec_lo
	v_cmpx_ne_u16_e32 0x80, v4
	s_cbranch_execz .LBB372_1857
; %bb.1852:                             ;   in Loop: Header=BB372_10 Depth=1
	v_bfe_u32 v15, v25, 16, 7
	v_mov_b32_e32 v113, 0x7f800001
	s_mov_b32 s19, exec_lo
	v_cmpx_ne_u32_e32 0x7f, v15
	s_cbranch_execz .LBB372_1856
; %bb.1853:                             ;   in Loop: Header=BB372_10 Depth=1
	v_mov_b32_e32 v4, 7
	v_lshrrev_b32_e32 v14, 3, v15
	s_mov_b32 s20, exec_lo
	v_and_b32_sdwa v4, v25, v4 dst_sel:DWORD dst_unused:UNUSED_PAD src0_sel:WORD_1 src1_sel:DWORD
	v_mov_b32_e32 v27, v5
	v_mov_b32_e32 v26, v4
	v_cmpx_gt_u32_e32 8, v15
; %bb.1854:                             ;   in Loop: Header=BB372_10 Depth=1
	v_ffbh_u32_e32 v14, v4
	v_min_u32_e32 v14, 32, v14
	v_subrev_nc_u32_e32 v15, 28, v14
	v_sub_nc_u32_e32 v14, 29, v14
	v_lshlrev_b64 v[26:27], v15, v[4:5]
	v_and_b32_e32 v26, 7, v26
; %bb.1855:                             ;   in Loop: Header=BB372_10 Depth=1
	s_or_b32 exec_lo, exec_lo, s20
	v_mov_b32_e32 v4, 24
	v_lshlrev_b32_e32 v15, 20, v26
	v_lshl_add_u32 v14, v14, 23, 0x3c000000
	v_lshlrev_b32_sdwa v4, v4, v25 dst_sel:DWORD dst_unused:UNUSED_PAD src0_sel:DWORD src1_sel:WORD_1
	v_and_b32_e32 v4, 0x80000000, v4
	v_or3_b32 v113, v15, v4, v14
.LBB372_1856:                           ;   in Loop: Header=BB372_10 Depth=1
	s_or_b32 exec_lo, exec_lo, s19
.LBB372_1857:                           ;   in Loop: Header=BB372_10 Depth=1
	s_or_b32 exec_lo, exec_lo, s17
.LBB372_1858:                           ;   in Loop: Header=BB372_10 Depth=1
	s_or_b32 exec_lo, exec_lo, s6
	v_mov_b32_e32 v94, 0
	v_mov_b32_e32 v117, 0
	s_mov_b32 s6, exec_lo
	v_cmpx_lt_u64_e64 s[8:9], v[24:25]
	s_cbranch_execz .LBB372_1866
; %bb.1859:                             ;   in Loop: Header=BB372_10 Depth=1
	v_cmp_ne_u32_sdwa s5, v25, v71 src0_sel:BYTE_3 src1_sel:DWORD
	v_bfrev_b32_e32 v117, 1
	s_and_saveexec_b32 s17, s5
	s_cbranch_execz .LBB372_1865
; %bb.1860:                             ;   in Loop: Header=BB372_10 Depth=1
	v_bfe_u32 v15, v25, 24, 7
	v_mov_b32_e32 v117, 0x7f800001
	s_mov_b32 s19, exec_lo
	v_cmpx_ne_u32_e32 0x7f, v15
	s_cbranch_execz .LBB372_1864
; %bb.1861:                             ;   in Loop: Header=BB372_10 Depth=1
	v_mov_b32_e32 v4, 7
	v_lshrrev_b32_e32 v14, 3, v15
	s_mov_b32 s20, exec_lo
	v_and_b32_sdwa v4, v25, v4 dst_sel:DWORD dst_unused:UNUSED_PAD src0_sel:BYTE_3 src1_sel:DWORD
	v_mov_b32_e32 v27, v5
	v_mov_b32_e32 v26, v4
	v_cmpx_gt_u32_e32 8, v15
; %bb.1862:                             ;   in Loop: Header=BB372_10 Depth=1
	v_ffbh_u32_e32 v14, v4
	v_min_u32_e32 v14, 32, v14
	v_subrev_nc_u32_e32 v15, 28, v14
	v_sub_nc_u32_e32 v14, 29, v14
	v_lshlrev_b64 v[26:27], v15, v[4:5]
	v_and_b32_e32 v26, 7, v26
; %bb.1863:                             ;   in Loop: Header=BB372_10 Depth=1
	s_or_b32 exec_lo, exec_lo, s20
	v_mov_b32_e32 v4, 24
	v_lshlrev_b32_e32 v15, 20, v26
	v_lshl_add_u32 v14, v14, 23, 0x3c000000
	v_lshlrev_b32_sdwa v4, v4, v25 dst_sel:DWORD dst_unused:UNUSED_PAD src0_sel:DWORD src1_sel:BYTE_3
	v_and_b32_e32 v4, 0x80000000, v4
	v_or3_b32 v117, v15, v4, v14
.LBB372_1864:                           ;   in Loop: Header=BB372_10 Depth=1
	s_or_b32 exec_lo, exec_lo, s19
.LBB372_1865:                           ;   in Loop: Header=BB372_10 Depth=1
	s_or_b32 exec_lo, exec_lo, s17
.LBB372_1866:                           ;   in Loop: Header=BB372_10 Depth=1
	s_or_b32 exec_lo, exec_lo, s6
	flat_load_dwordx2 v[24:25], v[16:17] offset:1032
	s_waitcnt vmcnt(0) lgkmcnt(0)
	v_cmp_ne_u16_sdwa s5, v24, v5 src0_sel:BYTE_0 src1_sel:DWORD
	s_and_saveexec_b32 s6, s5
	s_cbranch_execz .LBB372_1874
; %bb.1867:                             ;   in Loop: Header=BB372_10 Depth=1
	v_cmp_ne_u16_sdwa s5, v24, v71 src0_sel:BYTE_0 src1_sel:DWORD
	v_bfrev_b32_e32 v94, 1
	s_and_saveexec_b32 s17, s5
	s_cbranch_execz .LBB372_1873
; %bb.1868:                             ;   in Loop: Header=BB372_10 Depth=1
	v_and_b32_e32 v14, 0x7f, v24
	v_mov_b32_e32 v94, 0x7f800001
	s_mov_b32 s19, exec_lo
	v_cmpx_ne_u32_e32 0x7f, v14
	s_cbranch_execz .LBB372_1872
; %bb.1869:                             ;   in Loop: Header=BB372_10 Depth=1
	v_mov_b32_e32 v27, v25
	v_lshrrev_b32_e32 v4, 3, v14
	v_mov_b32_e32 v26, v24
	s_mov_b32 s20, exec_lo
	v_cmpx_gt_u32_e32 8, v14
; %bb.1870:                             ;   in Loop: Header=BB372_10 Depth=1
	v_and_b32_e32 v4, 7, v24
	v_ffbh_u32_e32 v4, v4
	v_min_u32_e32 v4, 32, v4
	v_subrev_nc_u32_e32 v14, 28, v4
	v_sub_nc_u32_e32 v4, 29, v4
	v_lshlrev_b64 v[26:27], v14, v[24:25]
; %bb.1871:                             ;   in Loop: Header=BB372_10 Depth=1
	s_or_b32 exec_lo, exec_lo, s20
	v_lshlrev_b32_e32 v14, 20, v26
	v_lshlrev_b32_e32 v15, 24, v24
	v_lshl_add_u32 v4, v4, 23, 0x3c000000
	v_and_b32_e32 v14, 0x700000, v14
	v_and_b32_e32 v15, 0x80000000, v15
	v_or3_b32 v94, v14, v15, v4
.LBB372_1872:                           ;   in Loop: Header=BB372_10 Depth=1
	s_or_b32 exec_lo, exec_lo, s19
.LBB372_1873:                           ;   in Loop: Header=BB372_10 Depth=1
	s_or_b32 exec_lo, exec_lo, s17
.LBB372_1874:                           ;   in Loop: Header=BB372_10 Depth=1
	s_or_b32 exec_lo, exec_lo, s6
	v_cmp_ne_u16_sdwa s5, v24, v5 src0_sel:BYTE_1 src1_sel:DWORD
	v_mov_b32_e32 v123, 0
	v_mov_b32_e32 v92, 0
	s_and_saveexec_b32 s6, s5
	s_cbranch_execz .LBB372_1882
; %bb.1875:                             ;   in Loop: Header=BB372_10 Depth=1
	v_cmp_ne_u16_sdwa s5, v24, v71 src0_sel:BYTE_1 src1_sel:DWORD
	v_bfrev_b32_e32 v92, 1
	s_and_saveexec_b32 s17, s5
	s_cbranch_execz .LBB372_1881
; %bb.1876:                             ;   in Loop: Header=BB372_10 Depth=1
	v_mov_b32_e32 v4, 0xffff
	v_mov_b32_e32 v92, 0x7f800001
	s_mov_b32 s19, exec_lo
	v_and_b32_sdwa v4, v4, v24 dst_sel:DWORD dst_unused:UNUSED_PAD src0_sel:DWORD src1_sel:BYTE_1
	v_and_b32_e32 v15, 0x7f, v4
	v_cmpx_ne_u32_e32 0x7f, v15
	s_cbranch_execz .LBB372_1880
; %bb.1877:                             ;   in Loop: Header=BB372_10 Depth=1
	v_and_b32_e32 v4, 7, v4
	v_mov_b32_e32 v27, v5
	v_lshrrev_b32_e32 v14, 3, v15
	s_mov_b32 s20, exec_lo
	v_mov_b32_e32 v26, v4
	v_cmpx_gt_u32_e32 8, v15
; %bb.1878:                             ;   in Loop: Header=BB372_10 Depth=1
	v_ffbh_u32_e32 v14, v4
	v_min_u32_e32 v14, 32, v14
	v_subrev_nc_u32_e32 v15, 28, v14
	v_sub_nc_u32_e32 v14, 29, v14
	v_lshlrev_b64 v[26:27], v15, v[4:5]
	v_and_b32_e32 v26, 7, v26
; %bb.1879:                             ;   in Loop: Header=BB372_10 Depth=1
	s_or_b32 exec_lo, exec_lo, s20
	v_lshlrev_b32_e32 v4, 16, v24
	v_lshlrev_b32_e32 v15, 20, v26
	v_lshl_add_u32 v14, v14, 23, 0x3c000000
	v_and_b32_e32 v4, 0x80000000, v4
	v_or3_b32 v92, v15, v4, v14
.LBB372_1880:                           ;   in Loop: Header=BB372_10 Depth=1
	s_or_b32 exec_lo, exec_lo, s19
.LBB372_1881:                           ;   in Loop: Header=BB372_10 Depth=1
	s_or_b32 exec_lo, exec_lo, s17
.LBB372_1882:                           ;   in Loop: Header=BB372_10 Depth=1
	s_or_b32 exec_lo, exec_lo, s6
	v_mov_b32_e32 v4, 0xff
	s_mov_b32 s6, exec_lo
	v_and_b32_sdwa v4, v24, v4 dst_sel:DWORD dst_unused:UNUSED_PAD src0_sel:WORD_1 src1_sel:DWORD
	v_cmpx_ne_u16_e32 0, v4
	s_cbranch_execz .LBB372_1890
; %bb.1883:                             ;   in Loop: Header=BB372_10 Depth=1
	v_bfrev_b32_e32 v123, 1
	s_mov_b32 s17, exec_lo
	v_cmpx_ne_u16_e32 0x80, v4
	s_cbranch_execz .LBB372_1889
; %bb.1884:                             ;   in Loop: Header=BB372_10 Depth=1
	v_bfe_u32 v15, v24, 16, 7
	v_mov_b32_e32 v123, 0x7f800001
	s_mov_b32 s19, exec_lo
	v_cmpx_ne_u32_e32 0x7f, v15
	s_cbranch_execz .LBB372_1888
; %bb.1885:                             ;   in Loop: Header=BB372_10 Depth=1
	v_mov_b32_e32 v4, 7
	v_lshrrev_b32_e32 v14, 3, v15
	s_mov_b32 s20, exec_lo
	v_and_b32_sdwa v4, v24, v4 dst_sel:DWORD dst_unused:UNUSED_PAD src0_sel:WORD_1 src1_sel:DWORD
	v_mov_b32_e32 v27, v5
	v_mov_b32_e32 v26, v4
	v_cmpx_gt_u32_e32 8, v15
; %bb.1886:                             ;   in Loop: Header=BB372_10 Depth=1
	v_ffbh_u32_e32 v14, v4
	v_min_u32_e32 v14, 32, v14
	v_subrev_nc_u32_e32 v15, 28, v14
	v_sub_nc_u32_e32 v14, 29, v14
	v_lshlrev_b64 v[26:27], v15, v[4:5]
	v_and_b32_e32 v26, 7, v26
; %bb.1887:                             ;   in Loop: Header=BB372_10 Depth=1
	s_or_b32 exec_lo, exec_lo, s20
	v_mov_b32_e32 v4, 24
	v_lshlrev_b32_e32 v15, 20, v26
	v_lshl_add_u32 v14, v14, 23, 0x3c000000
	v_lshlrev_b32_sdwa v4, v4, v24 dst_sel:DWORD dst_unused:UNUSED_PAD src0_sel:DWORD src1_sel:WORD_1
	v_and_b32_e32 v4, 0x80000000, v4
	v_or3_b32 v123, v15, v4, v14
.LBB372_1888:                           ;   in Loop: Header=BB372_10 Depth=1
	s_or_b32 exec_lo, exec_lo, s19
.LBB372_1889:                           ;   in Loop: Header=BB372_10 Depth=1
	s_or_b32 exec_lo, exec_lo, s17
.LBB372_1890:                           ;   in Loop: Header=BB372_10 Depth=1
	s_or_b32 exec_lo, exec_lo, s6
	v_mov_b32_e32 v59, 0
	v_mov_b32_e32 v61, 0
	s_mov_b32 s6, exec_lo
	v_cmpx_lt_u32_e32 0xffffff, v24
	s_cbranch_execz .LBB372_1898
; %bb.1891:                             ;   in Loop: Header=BB372_10 Depth=1
	v_cmp_ne_u32_sdwa s5, v24, v71 src0_sel:BYTE_3 src1_sel:DWORD
	v_bfrev_b32_e32 v61, 1
	s_and_saveexec_b32 s17, s5
	s_cbranch_execz .LBB372_1897
; %bb.1892:                             ;   in Loop: Header=BB372_10 Depth=1
	v_bfe_u32 v15, v24, 24, 7
	v_mov_b32_e32 v61, 0x7f800001
	s_mov_b32 s19, exec_lo
	v_cmpx_ne_u32_e32 0x7f, v15
	s_cbranch_execz .LBB372_1896
; %bb.1893:                             ;   in Loop: Header=BB372_10 Depth=1
	v_mov_b32_e32 v4, 7
	v_lshrrev_b32_e32 v14, 3, v15
	s_mov_b32 s20, exec_lo
	v_and_b32_sdwa v4, v24, v4 dst_sel:DWORD dst_unused:UNUSED_PAD src0_sel:BYTE_3 src1_sel:DWORD
	v_mov_b32_e32 v27, v5
	v_mov_b32_e32 v26, v4
	v_cmpx_gt_u32_e32 8, v15
; %bb.1894:                             ;   in Loop: Header=BB372_10 Depth=1
	v_ffbh_u32_e32 v14, v4
	v_min_u32_e32 v14, 32, v14
	v_subrev_nc_u32_e32 v15, 28, v14
	v_sub_nc_u32_e32 v14, 29, v14
	v_lshlrev_b64 v[26:27], v15, v[4:5]
	v_and_b32_e32 v26, 7, v26
; %bb.1895:                             ;   in Loop: Header=BB372_10 Depth=1
	s_or_b32 exec_lo, exec_lo, s20
	v_mov_b32_e32 v4, 24
	v_lshlrev_b32_e32 v15, 20, v26
	v_lshl_add_u32 v14, v14, 23, 0x3c000000
	v_lshlrev_b32_sdwa v4, v4, v24 dst_sel:DWORD dst_unused:UNUSED_PAD src0_sel:DWORD src1_sel:BYTE_3
	v_and_b32_e32 v4, 0x80000000, v4
	v_or3_b32 v61, v15, v4, v14
.LBB372_1896:                           ;   in Loop: Header=BB372_10 Depth=1
	s_or_b32 exec_lo, exec_lo, s19
.LBB372_1897:                           ;   in Loop: Header=BB372_10 Depth=1
	s_or_b32 exec_lo, exec_lo, s17
.LBB372_1898:                           ;   in Loop: Header=BB372_10 Depth=1
	s_or_b32 exec_lo, exec_lo, s6
	v_mov_b32_e32 v4, v25
	v_cmp_ne_u16_sdwa s5, v25, v5 src0_sel:BYTE_0 src1_sel:DWORD
	s_and_saveexec_b32 s6, s5
	s_cbranch_execz .LBB372_1906
; %bb.1899:                             ;   in Loop: Header=BB372_10 Depth=1
	v_cmp_ne_u16_sdwa s5, v25, v71 src0_sel:BYTE_0 src1_sel:DWORD
	v_bfrev_b32_e32 v59, 1
	s_and_saveexec_b32 s17, s5
	s_cbranch_execz .LBB372_1905
; %bb.1900:                             ;   in Loop: Header=BB372_10 Depth=1
	v_and_b32_e32 v15, 0x7f, v25
	v_mov_b32_e32 v59, 0x7f800001
	s_mov_b32 s19, exec_lo
	v_cmpx_ne_u32_e32 0x7f, v15
	s_cbranch_execz .LBB372_1904
; %bb.1901:                             ;   in Loop: Header=BB372_10 Depth=1
	v_mov_b32_e32 v27, v5
	v_mov_b32_e32 v26, v4
	v_lshrrev_b32_e32 v14, 3, v15
	s_mov_b32 s20, exec_lo
	v_cmpx_gt_u32_e32 8, v15
; %bb.1902:                             ;   in Loop: Header=BB372_10 Depth=1
	v_and_b32_e32 v14, 7, v25
	v_ffbh_u32_e32 v14, v14
	v_min_u32_e32 v14, 32, v14
	v_subrev_nc_u32_e32 v15, 28, v14
	v_sub_nc_u32_e32 v14, 29, v14
	v_lshlrev_b64 v[26:27], v15, v[4:5]
; %bb.1903:                             ;   in Loop: Header=BB372_10 Depth=1
	s_or_b32 exec_lo, exec_lo, s20
	v_lshlrev_b32_e32 v15, 20, v26
	v_lshlrev_b32_e32 v19, 24, v4
	v_lshl_add_u32 v14, v14, 23, 0x3c000000
	v_and_b32_e32 v15, 0x700000, v15
	v_and_b32_e32 v19, 0x80000000, v19
	v_or3_b32 v59, v15, v19, v14
.LBB372_1904:                           ;   in Loop: Header=BB372_10 Depth=1
	s_or_b32 exec_lo, exec_lo, s19
.LBB372_1905:                           ;   in Loop: Header=BB372_10 Depth=1
	s_or_b32 exec_lo, exec_lo, s17
.LBB372_1906:                           ;   in Loop: Header=BB372_10 Depth=1
	s_or_b32 exec_lo, exec_lo, s6
	v_cmp_ne_u16_sdwa s5, v4, v5 src0_sel:BYTE_1 src1_sel:DWORD
	v_mov_b32_e32 v14, 0
	v_mov_b32_e32 v15, 0
	s_and_saveexec_b32 s6, s5
	s_cbranch_execz .LBB372_1914
; %bb.1907:                             ;   in Loop: Header=BB372_10 Depth=1
	v_cmp_ne_u16_sdwa s5, v4, v71 src0_sel:BYTE_1 src1_sel:DWORD
	v_bfrev_b32_e32 v15, 1
	s_and_saveexec_b32 s17, s5
	s_cbranch_execz .LBB372_1913
; %bb.1908:                             ;   in Loop: Header=BB372_10 Depth=1
	v_mov_b32_e32 v15, 0xffff
	s_mov_b32 s19, exec_lo
	v_and_b32_sdwa v26, v15, v4 dst_sel:DWORD dst_unused:UNUSED_PAD src0_sel:DWORD src1_sel:BYTE_1
	v_mov_b32_e32 v15, 0x7f800001
	v_and_b32_e32 v19, 0x7f, v26
	v_cmpx_ne_u32_e32 0x7f, v19
	s_cbranch_execz .LBB372_1912
; %bb.1909:                             ;   in Loop: Header=BB372_10 Depth=1
	v_and_b32_e32 v26, 7, v26
	v_mov_b32_e32 v27, v5
	v_lshrrev_b32_e32 v15, 3, v19
	s_mov_b32 s20, exec_lo
	v_cmpx_gt_u32_e32 8, v19
; %bb.1910:                             ;   in Loop: Header=BB372_10 Depth=1
	v_ffbh_u32_e32 v15, v26
	v_min_u32_e32 v15, 32, v15
	v_subrev_nc_u32_e32 v19, 28, v15
	v_sub_nc_u32_e32 v15, 29, v15
	v_lshlrev_b64 v[26:27], v19, v[26:27]
	v_and_b32_e32 v26, 7, v26
; %bb.1911:                             ;   in Loop: Header=BB372_10 Depth=1
	s_or_b32 exec_lo, exec_lo, s20
	v_lshlrev_b32_e32 v4, 16, v4
	v_lshlrev_b32_e32 v19, 20, v26
	v_lshl_add_u32 v15, v15, 23, 0x3c000000
	v_and_b32_e32 v4, 0x80000000, v4
	v_or3_b32 v15, v19, v4, v15
.LBB372_1912:                           ;   in Loop: Header=BB372_10 Depth=1
	s_or_b32 exec_lo, exec_lo, s19
.LBB372_1913:                           ;   in Loop: Header=BB372_10 Depth=1
	s_or_b32 exec_lo, exec_lo, s17
.LBB372_1914:                           ;   in Loop: Header=BB372_10 Depth=1
	s_or_b32 exec_lo, exec_lo, s6
	v_mov_b32_e32 v4, 0xff
	s_mov_b32 s6, exec_lo
	v_and_b32_sdwa v4, v25, v4 dst_sel:DWORD dst_unused:UNUSED_PAD src0_sel:WORD_1 src1_sel:DWORD
	v_cmpx_ne_u16_e32 0, v4
	s_cbranch_execz .LBB372_1922
; %bb.1915:                             ;   in Loop: Header=BB372_10 Depth=1
	v_bfrev_b32_e32 v14, 1
	s_mov_b32 s17, exec_lo
	v_cmpx_ne_u16_e32 0x80, v4
	s_cbranch_execz .LBB372_1921
; %bb.1916:                             ;   in Loop: Header=BB372_10 Depth=1
	v_bfe_u32 v19, v25, 16, 7
	v_mov_b32_e32 v14, 0x7f800001
	s_mov_b32 s19, exec_lo
	v_cmpx_ne_u32_e32 0x7f, v19
	s_cbranch_execz .LBB372_1920
; %bb.1917:                             ;   in Loop: Header=BB372_10 Depth=1
	v_mov_b32_e32 v4, 7
	v_lshrrev_b32_e32 v14, 3, v19
	s_mov_b32 s20, exec_lo
	v_and_b32_sdwa v4, v25, v4 dst_sel:DWORD dst_unused:UNUSED_PAD src0_sel:WORD_1 src1_sel:DWORD
	v_mov_b32_e32 v27, v5
	v_mov_b32_e32 v26, v4
	v_cmpx_gt_u32_e32 8, v19
; %bb.1918:                             ;   in Loop: Header=BB372_10 Depth=1
	v_ffbh_u32_e32 v14, v4
	v_min_u32_e32 v14, 32, v14
	v_subrev_nc_u32_e32 v19, 28, v14
	v_sub_nc_u32_e32 v14, 29, v14
	v_lshlrev_b64 v[26:27], v19, v[4:5]
	v_and_b32_e32 v26, 7, v26
; %bb.1919:                             ;   in Loop: Header=BB372_10 Depth=1
	s_or_b32 exec_lo, exec_lo, s20
	v_mov_b32_e32 v4, 24
	v_lshlrev_b32_e32 v19, 20, v26
	v_lshl_add_u32 v14, v14, 23, 0x3c000000
	v_lshlrev_b32_sdwa v4, v4, v25 dst_sel:DWORD dst_unused:UNUSED_PAD src0_sel:DWORD src1_sel:WORD_1
	v_and_b32_e32 v4, 0x80000000, v4
	v_or3_b32 v14, v19, v4, v14
.LBB372_1920:                           ;   in Loop: Header=BB372_10 Depth=1
	s_or_b32 exec_lo, exec_lo, s19
.LBB372_1921:                           ;   in Loop: Header=BB372_10 Depth=1
	s_or_b32 exec_lo, exec_lo, s17
.LBB372_1922:                           ;   in Loop: Header=BB372_10 Depth=1
	s_or_b32 exec_lo, exec_lo, s6
	v_mov_b32_e32 v114, 0
	v_mov_b32_e32 v65, 0
	s_mov_b32 s6, exec_lo
	v_cmpx_lt_u64_e64 s[8:9], v[24:25]
	s_cbranch_execz .LBB372_1930
; %bb.1923:                             ;   in Loop: Header=BB372_10 Depth=1
	v_cmp_ne_u32_sdwa s5, v25, v71 src0_sel:BYTE_3 src1_sel:DWORD
	v_bfrev_b32_e32 v65, 1
	s_and_saveexec_b32 s17, s5
	s_cbranch_execz .LBB372_1929
; %bb.1924:                             ;   in Loop: Header=BB372_10 Depth=1
	v_bfe_u32 v24, v25, 24, 7
	v_mov_b32_e32 v65, 0x7f800001
	s_mov_b32 s19, exec_lo
	v_cmpx_ne_u32_e32 0x7f, v24
	s_cbranch_execz .LBB372_1928
; %bb.1925:                             ;   in Loop: Header=BB372_10 Depth=1
	v_mov_b32_e32 v4, 7
	v_lshrrev_b32_e32 v19, 3, v24
	s_mov_b32 s20, exec_lo
	v_and_b32_sdwa v4, v25, v4 dst_sel:DWORD dst_unused:UNUSED_PAD src0_sel:BYTE_3 src1_sel:DWORD
	v_mov_b32_e32 v27, v5
	v_mov_b32_e32 v26, v4
	v_cmpx_gt_u32_e32 8, v24
; %bb.1926:                             ;   in Loop: Header=BB372_10 Depth=1
	v_ffbh_u32_e32 v19, v4
	v_min_u32_e32 v19, 32, v19
	v_subrev_nc_u32_e32 v24, 28, v19
	v_sub_nc_u32_e32 v19, 29, v19
	v_lshlrev_b64 v[26:27], v24, v[4:5]
	v_and_b32_e32 v26, 7, v26
; %bb.1927:                             ;   in Loop: Header=BB372_10 Depth=1
	s_or_b32 exec_lo, exec_lo, s20
	v_mov_b32_e32 v4, 24
	v_lshlrev_b32_e32 v24, 20, v26
	v_lshl_add_u32 v19, v19, 23, 0x3c000000
	v_lshlrev_b32_sdwa v4, v4, v25 dst_sel:DWORD dst_unused:UNUSED_PAD src0_sel:DWORD src1_sel:BYTE_3
	v_and_b32_e32 v4, 0x80000000, v4
	v_or3_b32 v65, v24, v4, v19
.LBB372_1928:                           ;   in Loop: Header=BB372_10 Depth=1
	s_or_b32 exec_lo, exec_lo, s19
.LBB372_1929:                           ;   in Loop: Header=BB372_10 Depth=1
	s_or_b32 exec_lo, exec_lo, s17
.LBB372_1930:                           ;   in Loop: Header=BB372_10 Depth=1
	s_or_b32 exec_lo, exec_lo, s6
	flat_load_dwordx2 v[24:25], v[16:17] offset:1536
	s_waitcnt vmcnt(0) lgkmcnt(0)
	v_cmp_ne_u16_sdwa s5, v24, v5 src0_sel:BYTE_0 src1_sel:DWORD
	s_and_saveexec_b32 s6, s5
	s_cbranch_execz .LBB372_1938
; %bb.1931:                             ;   in Loop: Header=BB372_10 Depth=1
	v_cmp_ne_u16_sdwa s5, v24, v71 src0_sel:BYTE_0 src1_sel:DWORD
	v_bfrev_b32_e32 v114, 1
	s_and_saveexec_b32 s17, s5
	s_cbranch_execz .LBB372_1937
; %bb.1932:                             ;   in Loop: Header=BB372_10 Depth=1
	v_and_b32_e32 v19, 0x7f, v24
	v_mov_b32_e32 v114, 0x7f800001
	s_mov_b32 s19, exec_lo
	v_cmpx_ne_u32_e32 0x7f, v19
	s_cbranch_execz .LBB372_1936
; %bb.1933:                             ;   in Loop: Header=BB372_10 Depth=1
	v_mov_b32_e32 v27, v25
	v_lshrrev_b32_e32 v4, 3, v19
	v_mov_b32_e32 v26, v24
	s_mov_b32 s20, exec_lo
	v_cmpx_gt_u32_e32 8, v19
; %bb.1934:                             ;   in Loop: Header=BB372_10 Depth=1
	v_and_b32_e32 v4, 7, v24
	v_ffbh_u32_e32 v4, v4
	v_min_u32_e32 v4, 32, v4
	v_subrev_nc_u32_e32 v19, 28, v4
	v_sub_nc_u32_e32 v4, 29, v4
	v_lshlrev_b64 v[26:27], v19, v[24:25]
; %bb.1935:                             ;   in Loop: Header=BB372_10 Depth=1
	s_or_b32 exec_lo, exec_lo, s20
	v_lshlrev_b32_e32 v19, 20, v26
	v_lshlrev_b32_e32 v26, 24, v24
	v_lshl_add_u32 v4, v4, 23, 0x3c000000
	v_and_b32_e32 v19, 0x700000, v19
	v_and_b32_e32 v26, 0x80000000, v26
	v_or3_b32 v114, v19, v26, v4
.LBB372_1936:                           ;   in Loop: Header=BB372_10 Depth=1
	s_or_b32 exec_lo, exec_lo, s19
.LBB372_1937:                           ;   in Loop: Header=BB372_10 Depth=1
	s_or_b32 exec_lo, exec_lo, s17
.LBB372_1938:                           ;   in Loop: Header=BB372_10 Depth=1
	s_or_b32 exec_lo, exec_lo, s6
	v_cmp_ne_u16_sdwa s5, v24, v5 src0_sel:BYTE_1 src1_sel:DWORD
	v_mov_b32_e32 v41, 0
	v_mov_b32_e32 v119, 0
	s_and_saveexec_b32 s6, s5
	s_cbranch_execz .LBB372_1946
; %bb.1939:                             ;   in Loop: Header=BB372_10 Depth=1
	v_cmp_ne_u16_sdwa s5, v24, v71 src0_sel:BYTE_1 src1_sel:DWORD
	v_bfrev_b32_e32 v119, 1
	s_and_saveexec_b32 s17, s5
	s_cbranch_execz .LBB372_1945
; %bb.1940:                             ;   in Loop: Header=BB372_10 Depth=1
	v_mov_b32_e32 v4, 0xffff
	v_mov_b32_e32 v119, 0x7f800001
	s_mov_b32 s19, exec_lo
	v_and_b32_sdwa v4, v4, v24 dst_sel:DWORD dst_unused:UNUSED_PAD src0_sel:DWORD src1_sel:BYTE_1
	v_and_b32_e32 v42, 0x7f, v4
	v_cmpx_ne_u32_e32 0x7f, v42
	s_cbranch_execz .LBB372_1944
; %bb.1941:                             ;   in Loop: Header=BB372_10 Depth=1
	v_and_b32_e32 v4, 7, v4
	v_mov_b32_e32 v27, v5
	v_lshrrev_b32_e32 v19, 3, v42
	s_mov_b32 s20, exec_lo
	v_mov_b32_e32 v26, v4
	v_cmpx_gt_u32_e32 8, v42
; %bb.1942:                             ;   in Loop: Header=BB372_10 Depth=1
	v_ffbh_u32_e32 v19, v4
	v_min_u32_e32 v19, 32, v19
	v_subrev_nc_u32_e32 v26, 28, v19
	v_sub_nc_u32_e32 v19, 29, v19
	v_lshlrev_b64 v[26:27], v26, v[4:5]
	v_and_b32_e32 v26, 7, v26
; %bb.1943:                             ;   in Loop: Header=BB372_10 Depth=1
	s_or_b32 exec_lo, exec_lo, s20
	v_lshlrev_b32_e32 v4, 16, v24
	v_lshlrev_b32_e32 v26, 20, v26
	v_lshl_add_u32 v19, v19, 23, 0x3c000000
	v_and_b32_e32 v4, 0x80000000, v4
	v_or3_b32 v119, v26, v4, v19
.LBB372_1944:                           ;   in Loop: Header=BB372_10 Depth=1
	s_or_b32 exec_lo, exec_lo, s19
.LBB372_1945:                           ;   in Loop: Header=BB372_10 Depth=1
	s_or_b32 exec_lo, exec_lo, s17
.LBB372_1946:                           ;   in Loop: Header=BB372_10 Depth=1
	s_or_b32 exec_lo, exec_lo, s6
	v_mov_b32_e32 v4, 0xff
	s_mov_b32 s6, exec_lo
	v_and_b32_sdwa v4, v24, v4 dst_sel:DWORD dst_unused:UNUSED_PAD src0_sel:WORD_1 src1_sel:DWORD
	v_cmpx_ne_u16_e32 0, v4
	s_cbranch_execz .LBB372_1954
; %bb.1947:                             ;   in Loop: Header=BB372_10 Depth=1
	v_bfrev_b32_e32 v41, 1
	s_mov_b32 s17, exec_lo
	v_cmpx_ne_u16_e32 0x80, v4
	s_cbranch_execz .LBB372_1953
; %bb.1948:                             ;   in Loop: Header=BB372_10 Depth=1
	v_bfe_u32 v42, v24, 16, 7
	v_mov_b32_e32 v41, 0x7f800001
	s_mov_b32 s19, exec_lo
	v_cmpx_ne_u32_e32 0x7f, v42
	s_cbranch_execz .LBB372_1952
; %bb.1949:                             ;   in Loop: Header=BB372_10 Depth=1
	v_mov_b32_e32 v4, 7
	v_lshrrev_b32_e32 v19, 3, v42
	s_mov_b32 s20, exec_lo
	v_and_b32_sdwa v4, v24, v4 dst_sel:DWORD dst_unused:UNUSED_PAD src0_sel:WORD_1 src1_sel:DWORD
	v_mov_b32_e32 v27, v5
	v_mov_b32_e32 v26, v4
	v_cmpx_gt_u32_e32 8, v42
; %bb.1950:                             ;   in Loop: Header=BB372_10 Depth=1
	v_ffbh_u32_e32 v19, v4
	v_min_u32_e32 v19, 32, v19
	v_subrev_nc_u32_e32 v26, 28, v19
	v_sub_nc_u32_e32 v19, 29, v19
	v_lshlrev_b64 v[26:27], v26, v[4:5]
	v_and_b32_e32 v26, 7, v26
; %bb.1951:                             ;   in Loop: Header=BB372_10 Depth=1
	s_or_b32 exec_lo, exec_lo, s20
	v_mov_b32_e32 v4, 24
	v_lshlrev_b32_e32 v26, 20, v26
	v_lshl_add_u32 v19, v19, 23, 0x3c000000
	v_lshlrev_b32_sdwa v4, v4, v24 dst_sel:DWORD dst_unused:UNUSED_PAD src0_sel:DWORD src1_sel:WORD_1
	v_and_b32_e32 v4, 0x80000000, v4
	v_or3_b32 v41, v26, v4, v19
.LBB372_1952:                           ;   in Loop: Header=BB372_10 Depth=1
	s_or_b32 exec_lo, exec_lo, s19
.LBB372_1953:                           ;   in Loop: Header=BB372_10 Depth=1
	s_or_b32 exec_lo, exec_lo, s17
.LBB372_1954:                           ;   in Loop: Header=BB372_10 Depth=1
	s_or_b32 exec_lo, exec_lo, s6
	v_mov_b32_e32 v45, 0
	v_mov_b32_e32 v46, 0
	s_mov_b32 s6, exec_lo
	v_cmpx_lt_u32_e32 0xffffff, v24
	s_cbranch_execz .LBB372_1962
; %bb.1955:                             ;   in Loop: Header=BB372_10 Depth=1
	v_cmp_ne_u32_sdwa s5, v24, v71 src0_sel:BYTE_3 src1_sel:DWORD
	v_bfrev_b32_e32 v46, 1
	s_and_saveexec_b32 s17, s5
	s_cbranch_execz .LBB372_1961
; %bb.1956:                             ;   in Loop: Header=BB372_10 Depth=1
	v_bfe_u32 v42, v24, 24, 7
	v_mov_b32_e32 v46, 0x7f800001
	s_mov_b32 s19, exec_lo
	v_cmpx_ne_u32_e32 0x7f, v42
	s_cbranch_execz .LBB372_1960
; %bb.1957:                             ;   in Loop: Header=BB372_10 Depth=1
	v_mov_b32_e32 v4, 7
	v_lshrrev_b32_e32 v19, 3, v42
	s_mov_b32 s20, exec_lo
	v_and_b32_sdwa v4, v24, v4 dst_sel:DWORD dst_unused:UNUSED_PAD src0_sel:BYTE_3 src1_sel:DWORD
	v_mov_b32_e32 v27, v5
	v_mov_b32_e32 v26, v4
	v_cmpx_gt_u32_e32 8, v42
; %bb.1958:                             ;   in Loop: Header=BB372_10 Depth=1
	v_ffbh_u32_e32 v19, v4
	v_min_u32_e32 v19, 32, v19
	v_subrev_nc_u32_e32 v26, 28, v19
	v_sub_nc_u32_e32 v19, 29, v19
	v_lshlrev_b64 v[26:27], v26, v[4:5]
	v_and_b32_e32 v26, 7, v26
; %bb.1959:                             ;   in Loop: Header=BB372_10 Depth=1
	s_or_b32 exec_lo, exec_lo, s20
	v_mov_b32_e32 v4, 24
	v_lshlrev_b32_e32 v26, 20, v26
	v_lshl_add_u32 v19, v19, 23, 0x3c000000
	v_lshlrev_b32_sdwa v4, v4, v24 dst_sel:DWORD dst_unused:UNUSED_PAD src0_sel:DWORD src1_sel:BYTE_3
	v_and_b32_e32 v4, 0x80000000, v4
	v_or3_b32 v46, v26, v4, v19
.LBB372_1960:                           ;   in Loop: Header=BB372_10 Depth=1
	s_or_b32 exec_lo, exec_lo, s19
.LBB372_1961:                           ;   in Loop: Header=BB372_10 Depth=1
	s_or_b32 exec_lo, exec_lo, s17
.LBB372_1962:                           ;   in Loop: Header=BB372_10 Depth=1
	s_or_b32 exec_lo, exec_lo, s6
	v_mov_b32_e32 v4, v25
	v_cmp_ne_u16_sdwa s5, v25, v5 src0_sel:BYTE_0 src1_sel:DWORD
	s_and_saveexec_b32 s6, s5
	s_cbranch_execz .LBB372_1970
; %bb.1963:                             ;   in Loop: Header=BB372_10 Depth=1
	v_cmp_ne_u16_sdwa s5, v25, v71 src0_sel:BYTE_0 src1_sel:DWORD
	v_bfrev_b32_e32 v45, 1
	s_and_saveexec_b32 s17, s5
	s_cbranch_execz .LBB372_1969
; %bb.1964:                             ;   in Loop: Header=BB372_10 Depth=1
	v_and_b32_e32 v42, 0x7f, v25
	v_mov_b32_e32 v45, 0x7f800001
	s_mov_b32 s19, exec_lo
	v_cmpx_ne_u32_e32 0x7f, v42
	s_cbranch_execz .LBB372_1968
; %bb.1965:                             ;   in Loop: Header=BB372_10 Depth=1
	v_mov_b32_e32 v27, v5
	v_mov_b32_e32 v26, v4
	v_lshrrev_b32_e32 v19, 3, v42
	s_mov_b32 s20, exec_lo
	v_cmpx_gt_u32_e32 8, v42
; %bb.1966:                             ;   in Loop: Header=BB372_10 Depth=1
	v_and_b32_e32 v19, 7, v25
	v_ffbh_u32_e32 v19, v19
	v_min_u32_e32 v19, 32, v19
	v_subrev_nc_u32_e32 v26, 28, v19
	v_sub_nc_u32_e32 v19, 29, v19
	v_lshlrev_b64 v[26:27], v26, v[4:5]
; %bb.1967:                             ;   in Loop: Header=BB372_10 Depth=1
	s_or_b32 exec_lo, exec_lo, s20
	v_lshlrev_b32_e32 v26, 20, v26
	v_lshlrev_b32_e32 v27, 24, v4
	v_lshl_add_u32 v19, v19, 23, 0x3c000000
	v_and_b32_e32 v26, 0x700000, v26
	v_and_b32_e32 v27, 0x80000000, v27
	v_or3_b32 v45, v26, v27, v19
.LBB372_1968:                           ;   in Loop: Header=BB372_10 Depth=1
	s_or_b32 exec_lo, exec_lo, s19
.LBB372_1969:                           ;   in Loop: Header=BB372_10 Depth=1
	s_or_b32 exec_lo, exec_lo, s17
.LBB372_1970:                           ;   in Loop: Header=BB372_10 Depth=1
	s_or_b32 exec_lo, exec_lo, s6
	v_cmp_ne_u16_sdwa s5, v4, v5 src0_sel:BYTE_1 src1_sel:DWORD
	v_mov_b32_e32 v57, 0
	v_mov_b32_e32 v60, 0
	s_and_saveexec_b32 s6, s5
	s_cbranch_execz .LBB372_1978
; %bb.1971:                             ;   in Loop: Header=BB372_10 Depth=1
	v_cmp_ne_u16_sdwa s5, v4, v71 src0_sel:BYTE_1 src1_sel:DWORD
	v_bfrev_b32_e32 v60, 1
	s_and_saveexec_b32 s17, s5
	s_cbranch_execz .LBB372_1977
; %bb.1972:                             ;   in Loop: Header=BB372_10 Depth=1
	v_mov_b32_e32 v19, 0xffff
	v_mov_b32_e32 v60, 0x7f800001
	s_mov_b32 s19, exec_lo
	v_and_b32_sdwa v19, v19, v4 dst_sel:DWORD dst_unused:UNUSED_PAD src0_sel:DWORD src1_sel:BYTE_1
	v_and_b32_e32 v42, 0x7f, v19
	v_cmpx_ne_u32_e32 0x7f, v42
	s_cbranch_execz .LBB372_1976
; %bb.1973:                             ;   in Loop: Header=BB372_10 Depth=1
	v_and_b32_e32 v26, 7, v19
	v_mov_b32_e32 v27, v5
	v_lshrrev_b32_e32 v19, 3, v42
	s_mov_b32 s20, exec_lo
	v_cmpx_gt_u32_e32 8, v42
; %bb.1974:                             ;   in Loop: Header=BB372_10 Depth=1
	v_ffbh_u32_e32 v19, v26
	v_min_u32_e32 v19, 32, v19
	v_subrev_nc_u32_e32 v42, 28, v19
	v_sub_nc_u32_e32 v19, 29, v19
	v_lshlrev_b64 v[26:27], v42, v[26:27]
	v_and_b32_e32 v26, 7, v26
; %bb.1975:                             ;   in Loop: Header=BB372_10 Depth=1
	s_or_b32 exec_lo, exec_lo, s20
	v_lshlrev_b32_e32 v4, 16, v4
	v_lshlrev_b32_e32 v26, 20, v26
	v_lshl_add_u32 v19, v19, 23, 0x3c000000
	v_and_b32_e32 v4, 0x80000000, v4
	v_or3_b32 v60, v26, v4, v19
.LBB372_1976:                           ;   in Loop: Header=BB372_10 Depth=1
	s_or_b32 exec_lo, exec_lo, s19
.LBB372_1977:                           ;   in Loop: Header=BB372_10 Depth=1
	s_or_b32 exec_lo, exec_lo, s17
.LBB372_1978:                           ;   in Loop: Header=BB372_10 Depth=1
	s_or_b32 exec_lo, exec_lo, s6
	v_mov_b32_e32 v4, 0xff
	s_mov_b32 s6, exec_lo
	v_and_b32_sdwa v4, v25, v4 dst_sel:DWORD dst_unused:UNUSED_PAD src0_sel:WORD_1 src1_sel:DWORD
	v_cmpx_ne_u16_e32 0, v4
	s_cbranch_execz .LBB372_1986
; %bb.1979:                             ;   in Loop: Header=BB372_10 Depth=1
	v_bfrev_b32_e32 v57, 1
	s_mov_b32 s17, exec_lo
	v_cmpx_ne_u16_e32 0x80, v4
	s_cbranch_execz .LBB372_1985
; %bb.1980:                             ;   in Loop: Header=BB372_10 Depth=1
	v_bfe_u32 v42, v25, 16, 7
	v_mov_b32_e32 v57, 0x7f800001
	s_mov_b32 s19, exec_lo
	v_cmpx_ne_u32_e32 0x7f, v42
	s_cbranch_execz .LBB372_1984
; %bb.1981:                             ;   in Loop: Header=BB372_10 Depth=1
	v_mov_b32_e32 v4, 7
	v_lshrrev_b32_e32 v19, 3, v42
	s_mov_b32 s20, exec_lo
	v_and_b32_sdwa v4, v25, v4 dst_sel:DWORD dst_unused:UNUSED_PAD src0_sel:WORD_1 src1_sel:DWORD
	v_mov_b32_e32 v27, v5
	v_mov_b32_e32 v26, v4
	v_cmpx_gt_u32_e32 8, v42
; %bb.1982:                             ;   in Loop: Header=BB372_10 Depth=1
	v_ffbh_u32_e32 v19, v4
	v_min_u32_e32 v19, 32, v19
	v_subrev_nc_u32_e32 v26, 28, v19
	v_sub_nc_u32_e32 v19, 29, v19
	v_lshlrev_b64 v[26:27], v26, v[4:5]
	v_and_b32_e32 v26, 7, v26
; %bb.1983:                             ;   in Loop: Header=BB372_10 Depth=1
	s_or_b32 exec_lo, exec_lo, s20
	v_mov_b32_e32 v4, 24
	v_lshlrev_b32_e32 v26, 20, v26
	v_lshl_add_u32 v19, v19, 23, 0x3c000000
	v_lshlrev_b32_sdwa v4, v4, v25 dst_sel:DWORD dst_unused:UNUSED_PAD src0_sel:DWORD src1_sel:WORD_1
	v_and_b32_e32 v4, 0x80000000, v4
	v_or3_b32 v57, v26, v4, v19
.LBB372_1984:                           ;   in Loop: Header=BB372_10 Depth=1
	s_or_b32 exec_lo, exec_lo, s19
.LBB372_1985:                           ;   in Loop: Header=BB372_10 Depth=1
	s_or_b32 exec_lo, exec_lo, s17
.LBB372_1986:                           ;   in Loop: Header=BB372_10 Depth=1
	s_or_b32 exec_lo, exec_lo, s6
	v_mov_b32_e32 v4, 0
	v_mov_b32_e32 v27, 0
	s_mov_b32 s6, exec_lo
	buffer_store_dword v4, off, s[0:3], s32 offset:740 ; 4-byte Folded Spill
	v_cmpx_lt_u64_e64 s[8:9], v[24:25]
	s_cbranch_execz .LBB372_1994
; %bb.1987:                             ;   in Loop: Header=BB372_10 Depth=1
	v_cmp_ne_u32_sdwa s5, v25, v71 src0_sel:BYTE_3 src1_sel:DWORD
	v_bfrev_b32_e32 v27, 1
	s_and_saveexec_b32 s17, s5
	s_cbranch_execz .LBB372_1993
; %bb.1988:                             ;   in Loop: Header=BB372_10 Depth=1
	v_bfe_u32 v42, v25, 24, 7
	v_mov_b32_e32 v27, 0x7f800001
	s_mov_b32 s19, exec_lo
	v_cmpx_ne_u32_e32 0x7f, v42
	s_cbranch_execz .LBB372_1992
; %bb.1989:                             ;   in Loop: Header=BB372_10 Depth=1
	v_mov_b32_e32 v4, 7
	v_lshrrev_b32_e32 v24, 3, v42
	s_mov_b32 s20, exec_lo
	v_and_b32_sdwa v4, v25, v4 dst_sel:DWORD dst_unused:UNUSED_PAD src0_sel:BYTE_3 src1_sel:DWORD
	v_mov_b32_e32 v27, v5
	v_mov_b32_e32 v26, v4
	v_cmpx_gt_u32_e32 8, v42
; %bb.1990:                             ;   in Loop: Header=BB372_10 Depth=1
	v_ffbh_u32_e32 v24, v4
	v_min_u32_e32 v24, 32, v24
	v_subrev_nc_u32_e32 v26, 28, v24
	v_sub_nc_u32_e32 v24, 29, v24
	v_lshlrev_b64 v[26:27], v26, v[4:5]
	v_and_b32_e32 v26, 7, v26
; %bb.1991:                             ;   in Loop: Header=BB372_10 Depth=1
	s_or_b32 exec_lo, exec_lo, s20
	v_mov_b32_e32 v4, 24
	v_lshl_add_u32 v24, v24, 23, 0x3c000000
	v_lshlrev_b32_sdwa v4, v4, v25 dst_sel:DWORD dst_unused:UNUSED_PAD src0_sel:DWORD src1_sel:BYTE_3
	v_lshlrev_b32_e32 v25, 20, v26
	v_and_b32_e32 v4, 0x80000000, v4
	v_or3_b32 v27, v25, v4, v24
.LBB372_1992:                           ;   in Loop: Header=BB372_10 Depth=1
	s_or_b32 exec_lo, exec_lo, s19
.LBB372_1993:                           ;   in Loop: Header=BB372_10 Depth=1
	s_or_b32 exec_lo, exec_lo, s17
.LBB372_1994:                           ;   in Loop: Header=BB372_10 Depth=1
	s_or_b32 exec_lo, exec_lo, s6
	flat_load_dwordx2 v[16:17], v[16:17] offset:1544
	s_waitcnt vmcnt(0) lgkmcnt(0)
	v_cmp_ne_u16_sdwa s5, v16, v5 src0_sel:BYTE_0 src1_sel:DWORD
	s_and_saveexec_b32 s6, s5
	s_cbranch_execz .LBB372_2002
; %bb.1995:                             ;   in Loop: Header=BB372_10 Depth=1
	v_cmp_ne_u16_sdwa s5, v16, v71 src0_sel:BYTE_0 src1_sel:DWORD
	v_bfrev_b32_e32 v4, 1
	buffer_store_dword v4, off, s[0:3], s32 offset:740 ; 4-byte Folded Spill
	s_and_saveexec_b32 s17, s5
	s_cbranch_execz .LBB372_2001
; %bb.1996:                             ;   in Loop: Header=BB372_10 Depth=1
	v_and_b32_e32 v24, 0x7f, v16
	v_mov_b32_e32 v4, 0x7f800001
	s_mov_b32 s19, exec_lo
	buffer_store_dword v4, off, s[0:3], s32 offset:740 ; 4-byte Folded Spill
	v_cmpx_ne_u32_e32 0x7f, v24
	s_cbranch_execz .LBB372_2000
; %bb.1997:                             ;   in Loop: Header=BB372_10 Depth=1
	v_lshrrev_b32_e32 v4, 3, v24
	v_cmp_gt_u32_e64 s5, 8, v24
	v_mov_b32_e32 v25, v17
	v_mov_b32_e32 v24, v16
	s_and_saveexec_b32 s20, s5
; %bb.1998:                             ;   in Loop: Header=BB372_10 Depth=1
	v_and_b32_e32 v4, 7, v16
	v_ffbh_u32_e32 v4, v4
	v_min_u32_e32 v4, 32, v4
	v_subrev_nc_u32_e32 v19, 28, v4
	v_sub_nc_u32_e32 v4, 29, v4
	v_lshlrev_b64 v[24:25], v19, v[16:17]
; %bb.1999:                             ;   in Loop: Header=BB372_10 Depth=1
	s_or_b32 exec_lo, exec_lo, s20
	v_lshlrev_b32_e32 v19, 20, v24
	v_lshlrev_b32_e32 v24, 24, v16
	v_lshl_add_u32 v4, v4, 23, 0x3c000000
	v_and_b32_e32 v19, 0x700000, v19
	v_and_b32_e32 v24, 0x80000000, v24
	v_or3_b32 v4, v19, v24, v4
	buffer_store_dword v4, off, s[0:3], s32 offset:740 ; 4-byte Folded Spill
.LBB372_2000:                           ;   in Loop: Header=BB372_10 Depth=1
	s_or_b32 exec_lo, exec_lo, s19
.LBB372_2001:                           ;   in Loop: Header=BB372_10 Depth=1
	s_or_b32 exec_lo, exec_lo, s17
.LBB372_2002:                           ;   in Loop: Header=BB372_10 Depth=1
	s_or_b32 exec_lo, exec_lo, s6
	v_cmp_ne_u16_sdwa s5, v16, v5 src0_sel:BYTE_1 src1_sel:DWORD
	v_mov_b32_e32 v93, 0
	v_mov_b32_e32 v4, 0
	buffer_store_dword v4, off, s[0:3], s32 offset:744 ; 4-byte Folded Spill
	s_and_saveexec_b32 s6, s5
	s_cbranch_execz .LBB372_2010
; %bb.2003:                             ;   in Loop: Header=BB372_10 Depth=1
	v_cmp_ne_u16_sdwa s5, v16, v71 src0_sel:BYTE_1 src1_sel:DWORD
	v_bfrev_b32_e32 v4, 1
	buffer_store_dword v4, off, s[0:3], s32 offset:744 ; 4-byte Folded Spill
	s_and_saveexec_b32 s17, s5
	s_cbranch_execz .LBB372_2009
; %bb.2004:                             ;   in Loop: Header=BB372_10 Depth=1
	v_mov_b32_e32 v4, 0xffff
	v_mov_b32_e32 v19, 0x7f800001
	s_mov_b32 s19, exec_lo
	v_and_b32_sdwa v4, v4, v16 dst_sel:DWORD dst_unused:UNUSED_PAD src0_sel:DWORD src1_sel:BYTE_1
	buffer_store_dword v19, off, s[0:3], s32 offset:744 ; 4-byte Folded Spill
	v_and_b32_e32 v26, 0x7f, v4
	v_cmpx_ne_u32_e32 0x7f, v26
	s_cbranch_execz .LBB372_2008
; %bb.2005:                             ;   in Loop: Header=BB372_10 Depth=1
	v_and_b32_e32 v4, 7, v4
	v_mov_b32_e32 v25, v5
	v_lshrrev_b32_e32 v25, 3, v26
	s_mov_b32 s20, exec_lo
	v_mov_b32_e32 v24, v4
	v_cmpx_gt_u32_e32 8, v26
; %bb.2006:                             ;   in Loop: Header=BB372_10 Depth=1
	v_ffbh_u32_e32 v24, v4
	v_min_u32_e32 v26, 32, v24
	v_subrev_nc_u32_e32 v24, 28, v26
	v_lshlrev_b64 v[24:25], v24, v[4:5]
	v_sub_nc_u32_e32 v25, 29, v26
	v_and_b32_e32 v24, 7, v24
; %bb.2007:                             ;   in Loop: Header=BB372_10 Depth=1
	s_or_b32 exec_lo, exec_lo, s20
	v_lshlrev_b32_e32 v4, 16, v16
	v_lshlrev_b32_e32 v24, 20, v24
	v_lshl_add_u32 v25, v25, 23, 0x3c000000
	v_and_b32_e32 v4, 0x80000000, v4
	v_or3_b32 v4, v24, v4, v25
	buffer_store_dword v4, off, s[0:3], s32 offset:744 ; 4-byte Folded Spill
.LBB372_2008:                           ;   in Loop: Header=BB372_10 Depth=1
	s_or_b32 exec_lo, exec_lo, s19
.LBB372_2009:                           ;   in Loop: Header=BB372_10 Depth=1
	s_or_b32 exec_lo, exec_lo, s17
.LBB372_2010:                           ;   in Loop: Header=BB372_10 Depth=1
	s_or_b32 exec_lo, exec_lo, s6
	v_mov_b32_e32 v4, 0xff
	s_mov_b32 s6, exec_lo
	v_and_b32_sdwa v4, v16, v4 dst_sel:DWORD dst_unused:UNUSED_PAD src0_sel:WORD_1 src1_sel:DWORD
	v_cmpx_ne_u16_e32 0, v4
	s_cbranch_execz .LBB372_2018
; %bb.2011:                             ;   in Loop: Header=BB372_10 Depth=1
	v_bfrev_b32_e32 v93, 1
	s_mov_b32 s17, exec_lo
	v_cmpx_ne_u16_e32 0x80, v4
	s_cbranch_execz .LBB372_2017
; %bb.2012:                             ;   in Loop: Header=BB372_10 Depth=1
	v_bfe_u32 v26, v16, 16, 7
	v_mov_b32_e32 v93, 0x7f800001
	s_mov_b32 s19, exec_lo
	v_cmpx_ne_u32_e32 0x7f, v26
	s_cbranch_execz .LBB372_2016
; %bb.2013:                             ;   in Loop: Header=BB372_10 Depth=1
	v_mov_b32_e32 v4, 7
	s_mov_b32 s20, exec_lo
	v_and_b32_sdwa v4, v16, v4 dst_sel:DWORD dst_unused:UNUSED_PAD src0_sel:WORD_1 src1_sel:DWORD
	v_mov_b32_e32 v25, v5
	v_lshrrev_b32_e32 v25, 3, v26
	v_mov_b32_e32 v24, v4
	v_cmpx_gt_u32_e32 8, v26
; %bb.2014:                             ;   in Loop: Header=BB372_10 Depth=1
	v_ffbh_u32_e32 v24, v4
	v_min_u32_e32 v26, 32, v24
	v_subrev_nc_u32_e32 v24, 28, v26
	v_lshlrev_b64 v[24:25], v24, v[4:5]
	v_sub_nc_u32_e32 v25, 29, v26
	v_and_b32_e32 v24, 7, v24
; %bb.2015:                             ;   in Loop: Header=BB372_10 Depth=1
	s_or_b32 exec_lo, exec_lo, s20
	v_mov_b32_e32 v4, 24
	v_lshlrev_b32_e32 v24, 20, v24
	v_lshl_add_u32 v25, v25, 23, 0x3c000000
	v_lshlrev_b32_sdwa v4, v4, v16 dst_sel:DWORD dst_unused:UNUSED_PAD src0_sel:DWORD src1_sel:WORD_1
	v_and_b32_e32 v4, 0x80000000, v4
	v_or3_b32 v93, v24, v4, v25
.LBB372_2016:                           ;   in Loop: Header=BB372_10 Depth=1
	s_or_b32 exec_lo, exec_lo, s19
.LBB372_2017:                           ;   in Loop: Header=BB372_10 Depth=1
	s_or_b32 exec_lo, exec_lo, s17
.LBB372_2018:                           ;   in Loop: Header=BB372_10 Depth=1
	s_or_b32 exec_lo, exec_lo, s6
	v_mov_b32_e32 v95, 0
	v_mov_b32_e32 v104, 0
	s_mov_b32 s6, exec_lo
	v_cmpx_lt_u32_e32 0xffffff, v16
	s_cbranch_execz .LBB372_2026
; %bb.2019:                             ;   in Loop: Header=BB372_10 Depth=1
	v_cmp_ne_u32_sdwa s5, v16, v71 src0_sel:BYTE_3 src1_sel:DWORD
	v_bfrev_b32_e32 v104, 1
	s_and_saveexec_b32 s17, s5
	s_cbranch_execz .LBB372_2025
; %bb.2020:                             ;   in Loop: Header=BB372_10 Depth=1
	v_bfe_u32 v26, v16, 24, 7
	v_mov_b32_e32 v104, 0x7f800001
	s_mov_b32 s19, exec_lo
	v_cmpx_ne_u32_e32 0x7f, v26
	s_cbranch_execz .LBB372_2024
; %bb.2021:                             ;   in Loop: Header=BB372_10 Depth=1
	v_mov_b32_e32 v4, 7
	s_mov_b32 s20, exec_lo
	v_and_b32_sdwa v4, v16, v4 dst_sel:DWORD dst_unused:UNUSED_PAD src0_sel:BYTE_3 src1_sel:DWORD
	v_mov_b32_e32 v25, v5
	v_lshrrev_b32_e32 v25, 3, v26
	v_mov_b32_e32 v24, v4
	v_cmpx_gt_u32_e32 8, v26
; %bb.2022:                             ;   in Loop: Header=BB372_10 Depth=1
	v_ffbh_u32_e32 v24, v4
	v_min_u32_e32 v26, 32, v24
	v_subrev_nc_u32_e32 v24, 28, v26
	v_lshlrev_b64 v[24:25], v24, v[4:5]
	v_sub_nc_u32_e32 v25, 29, v26
	v_and_b32_e32 v24, 7, v24
; %bb.2023:                             ;   in Loop: Header=BB372_10 Depth=1
	s_or_b32 exec_lo, exec_lo, s20
	v_mov_b32_e32 v4, 24
	v_lshlrev_b32_e32 v24, 20, v24
	v_lshl_add_u32 v25, v25, 23, 0x3c000000
	v_lshlrev_b32_sdwa v4, v4, v16 dst_sel:DWORD dst_unused:UNUSED_PAD src0_sel:DWORD src1_sel:BYTE_3
	v_and_b32_e32 v4, 0x80000000, v4
	v_or3_b32 v104, v24, v4, v25
.LBB372_2024:                           ;   in Loop: Header=BB372_10 Depth=1
	s_or_b32 exec_lo, exec_lo, s19
.LBB372_2025:                           ;   in Loop: Header=BB372_10 Depth=1
	s_or_b32 exec_lo, exec_lo, s17
.LBB372_2026:                           ;   in Loop: Header=BB372_10 Depth=1
	s_or_b32 exec_lo, exec_lo, s6
	v_mov_b32_e32 v4, v17
	v_cmp_ne_u16_sdwa s5, v17, v5 src0_sel:BYTE_0 src1_sel:DWORD
	s_and_saveexec_b32 s6, s5
	s_cbranch_execz .LBB372_2034
; %bb.2027:                             ;   in Loop: Header=BB372_10 Depth=1
	v_cmp_ne_u16_sdwa s5, v17, v71 src0_sel:BYTE_0 src1_sel:DWORD
	v_bfrev_b32_e32 v95, 1
	s_and_saveexec_b32 s17, s5
	s_cbranch_execz .LBB372_2033
; %bb.2028:                             ;   in Loop: Header=BB372_10 Depth=1
	v_and_b32_e32 v26, 0x7f, v17
	v_mov_b32_e32 v95, 0x7f800001
	s_mov_b32 s19, exec_lo
	v_cmpx_ne_u32_e32 0x7f, v26
	s_cbranch_execz .LBB372_2032
; %bb.2029:                             ;   in Loop: Header=BB372_10 Depth=1
	v_mov_b32_e32 v25, v5
	v_mov_b32_e32 v24, v4
	v_lshrrev_b32_e32 v25, 3, v26
	s_mov_b32 s20, exec_lo
	v_cmpx_gt_u32_e32 8, v26
; %bb.2030:                             ;   in Loop: Header=BB372_10 Depth=1
	v_and_b32_e32 v24, 7, v17
	v_ffbh_u32_e32 v24, v24
	v_min_u32_e32 v26, 32, v24
	v_subrev_nc_u32_e32 v24, 28, v26
	v_lshlrev_b64 v[24:25], v24, v[4:5]
	v_sub_nc_u32_e32 v25, 29, v26
; %bb.2031:                             ;   in Loop: Header=BB372_10 Depth=1
	s_or_b32 exec_lo, exec_lo, s20
	v_lshlrev_b32_e32 v24, 20, v24
	v_lshlrev_b32_e32 v26, 24, v4
	v_lshl_add_u32 v25, v25, 23, 0x3c000000
	v_and_b32_e32 v24, 0x700000, v24
	v_and_b32_e32 v26, 0x80000000, v26
	v_or3_b32 v95, v24, v26, v25
.LBB372_2032:                           ;   in Loop: Header=BB372_10 Depth=1
	s_or_b32 exec_lo, exec_lo, s19
.LBB372_2033:                           ;   in Loop: Header=BB372_10 Depth=1
	s_or_b32 exec_lo, exec_lo, s17
.LBB372_2034:                           ;   in Loop: Header=BB372_10 Depth=1
	s_or_b32 exec_lo, exec_lo, s6
	v_cmp_ne_u16_sdwa s5, v4, v5 src0_sel:BYTE_1 src1_sel:DWORD
	v_mov_b32_e32 v19, 0
	v_mov_b32_e32 v106, 0
	s_and_saveexec_b32 s6, s5
	s_cbranch_execz .LBB372_2042
; %bb.2035:                             ;   in Loop: Header=BB372_10 Depth=1
	v_cmp_ne_u16_sdwa s5, v4, v71 src0_sel:BYTE_1 src1_sel:DWORD
	v_bfrev_b32_e32 v106, 1
	s_and_saveexec_b32 s17, s5
	s_cbranch_execz .LBB372_2041
; %bb.2036:                             ;   in Loop: Header=BB372_10 Depth=1
	v_mov_b32_e32 v19, 0xffff
	v_mov_b32_e32 v26, v121
	;; [unrolled: 1-line block ×3, first 2 shown]
	s_mov_b32 s19, exec_lo
	v_and_b32_sdwa v24, v19, v4 dst_sel:DWORD dst_unused:UNUSED_PAD src0_sel:DWORD src1_sel:BYTE_1
	v_and_b32_e32 v121, 0x7f, v24
	v_cmpx_ne_u32_e32 0x7f, v121
	s_cbranch_execz .LBB372_2040
; %bb.2037:                             ;   in Loop: Header=BB372_10 Depth=1
	v_and_b32_e32 v24, 7, v24
	v_mov_b32_e32 v25, v5
	v_lshrrev_b32_e32 v42, 3, v121
	s_mov_b32 s20, exec_lo
	v_cmpx_gt_u32_e32 8, v121
; %bb.2038:                             ;   in Loop: Header=BB372_10 Depth=1
	v_ffbh_u32_e32 v42, v24
	v_min_u32_e32 v42, 32, v42
	v_subrev_nc_u32_e32 v106, 28, v42
	v_sub_nc_u32_e32 v42, 29, v42
	v_lshlrev_b64 v[24:25], v106, v[24:25]
	v_and_b32_e32 v24, 7, v24
; %bb.2039:                             ;   in Loop: Header=BB372_10 Depth=1
	s_or_b32 exec_lo, exec_lo, s20
	v_lshlrev_b32_e32 v4, 16, v4
	v_lshlrev_b32_e32 v24, 20, v24
	v_lshl_add_u32 v25, v42, 23, 0x3c000000
	v_and_b32_e32 v4, 0x80000000, v4
	v_or3_b32 v106, v24, v4, v25
.LBB372_2040:                           ;   in Loop: Header=BB372_10 Depth=1
	s_or_b32 exec_lo, exec_lo, s19
	v_mov_b32_e32 v121, v26
	v_mov_b32_e32 v19, 0
.LBB372_2041:                           ;   in Loop: Header=BB372_10 Depth=1
	s_or_b32 exec_lo, exec_lo, s17
.LBB372_2042:                           ;   in Loop: Header=BB372_10 Depth=1
	s_or_b32 exec_lo, exec_lo, s6
	v_mov_b32_e32 v4, 0xff
	s_mov_b32 s6, exec_lo
	v_and_b32_sdwa v4, v17, v4 dst_sel:DWORD dst_unused:UNUSED_PAD src0_sel:WORD_1 src1_sel:DWORD
	v_cmpx_ne_u16_e32 0, v4
	s_cbranch_execz .LBB372_2050
; %bb.2043:                             ;   in Loop: Header=BB372_10 Depth=1
	v_bfrev_b32_e32 v19, 1
	s_mov_b32 s17, exec_lo
	v_cmpx_ne_u16_e32 0x80, v4
	s_cbranch_execz .LBB372_2049
; %bb.2044:                             ;   in Loop: Header=BB372_10 Depth=1
	v_bfe_u32 v42, v17, 16, 7
	v_mov_b32_e32 v19, 0x7f800001
	s_mov_b32 s19, exec_lo
	v_cmpx_ne_u32_e32 0x7f, v42
	s_cbranch_execz .LBB372_2048
; %bb.2045:                             ;   in Loop: Header=BB372_10 Depth=1
	v_mov_b32_e32 v4, 7
	s_mov_b32 s20, exec_lo
	v_and_b32_sdwa v4, v17, v4 dst_sel:DWORD dst_unused:UNUSED_PAD src0_sel:WORD_1 src1_sel:DWORD
	v_mov_b32_e32 v25, v5
	v_lshrrev_b32_e32 v25, 3, v42
	v_mov_b32_e32 v24, v4
	v_cmpx_gt_u32_e32 8, v42
; %bb.2046:                             ;   in Loop: Header=BB372_10 Depth=1
	v_ffbh_u32_e32 v24, v4
	v_min_u32_e32 v26, 32, v24
	v_subrev_nc_u32_e32 v24, 28, v26
	v_lshlrev_b64 v[24:25], v24, v[4:5]
	v_sub_nc_u32_e32 v25, 29, v26
	v_and_b32_e32 v24, 7, v24
; %bb.2047:                             ;   in Loop: Header=BB372_10 Depth=1
	s_or_b32 exec_lo, exec_lo, s20
	v_mov_b32_e32 v4, 24
	v_lshlrev_b32_e32 v24, 20, v24
	v_lshl_add_u32 v25, v25, 23, 0x3c000000
	v_lshlrev_b32_sdwa v4, v4, v17 dst_sel:DWORD dst_unused:UNUSED_PAD src0_sel:DWORD src1_sel:WORD_1
	v_and_b32_e32 v4, 0x80000000, v4
	v_or3_b32 v19, v24, v4, v25
.LBB372_2048:                           ;   in Loop: Header=BB372_10 Depth=1
	s_or_b32 exec_lo, exec_lo, s19
.LBB372_2049:                           ;   in Loop: Header=BB372_10 Depth=1
	s_or_b32 exec_lo, exec_lo, s17
.LBB372_2050:                           ;   in Loop: Header=BB372_10 Depth=1
	s_or_b32 exec_lo, exec_lo, s6
	buffer_store_dword v19, off, s[0:3], s32 offset:1028 ; 4-byte Folded Spill
	v_mov_b32_e32 v19, v121
	buffer_store_dword v98, off, s[0:3], s32 offset:776 ; 4-byte Folded Spill
	v_mov_b32_e32 v98, v72
	buffer_store_dword v86, off, s[0:3], s32 offset:772 ; 4-byte Folded Spill
	v_mov_b32_e32 v86, v62
	v_mov_b32_e32 v26, v80
	v_mov_b32_e32 v4, 0
	v_cmp_lt_u64_e64 s5, s[8:9], v[16:17]
	s_mov_b32 s6, exec_lo
	s_clause 0x2
	buffer_load_dword v72, off, s[0:3], s32 offset:752
	buffer_load_dword v62, off, s[0:3], s32 offset:756
	buffer_load_dword v80, off, s[0:3], s32 offset:748
	s_and_b32 s5, s6, s5
	s_mov_b32 exec_lo, s5
	s_cbranch_execz .LBB372_9
; %bb.2051:                             ;   in Loop: Header=BB372_10 Depth=1
	v_cmp_ne_u32_sdwa s5, v17, v71 src0_sel:BYTE_3 src1_sel:DWORD
	v_bfrev_b32_e32 v4, 1
	s_and_saveexec_b32 s17, s5
	s_cbranch_execz .LBB372_8
; %bb.2052:                             ;   in Loop: Header=BB372_10 Depth=1
	v_bfe_u32 v42, v17, 24, 7
	v_mov_b32_e32 v4, 0x7f800001
	s_mov_b32 s19, exec_lo
	v_cmpx_ne_u32_e32 0x7f, v42
	s_cbranch_execz .LBB372_7
; %bb.2053:                             ;   in Loop: Header=BB372_10 Depth=1
	v_mov_b32_e32 v4, 7
	v_lshrrev_b32_e32 v16, 3, v42
	s_mov_b32 s20, exec_lo
	v_and_b32_sdwa v4, v17, v4 dst_sel:DWORD dst_unused:UNUSED_PAD src0_sel:BYTE_3 src1_sel:DWORD
	v_mov_b32_e32 v25, v5
	v_mov_b32_e32 v24, v4
	v_cmpx_gt_u32_e32 8, v42
	s_cbranch_execz .LBB372_6
; %bb.2054:                             ;   in Loop: Header=BB372_10 Depth=1
	v_ffbh_u32_e32 v16, v4
	v_min_u32_e32 v16, 32, v16
	v_subrev_nc_u32_e32 v24, 28, v16
	v_sub_nc_u32_e32 v16, 29, v16
	v_lshlrev_b64 v[24:25], v24, v[4:5]
	v_and_b32_e32 v24, 7, v24
	s_branch .LBB372_6
.LBB372_2055:
	s_or_b32 exec_lo, exec_lo, s18
	s_clause 0x2
	buffer_load_dword v12, off, s[0:3], s32 offset:2316
	buffer_load_dword v11, off, s[0:3], s32 offset:2320
	;; [unrolled: 1-line block ×3, first 2 shown]
.LBB372_2056:
	s_or_b32 exec_lo, exec_lo, s15
	v_mbcnt_lo_u32_b32 v0, -1, 0
	v_max_f32_e32 v4, v7, v7
	s_lshr_b32 s8, s7, 16
	v_xor_b32_e32 v1, 16, v0
	v_xor_b32_e32 v3, 8, v0
	v_cmp_gt_i32_e32 vcc_lo, 32, v1
	v_cndmask_b32_e32 v1, v0, v1, vcc_lo
	v_cmp_gt_i32_e32 vcc_lo, 32, v3
	v_lshlrev_b32_e32 v1, 2, v1
	v_cndmask_b32_e32 v3, v0, v3, vcc_lo
	ds_bpermute_b32 v2, v1, v7
	s_waitcnt lgkmcnt(0)
	v_max_f32_e32 v5, v2, v2
	v_lshlrev_b32_e32 v2, 2, v3
	v_max_f32_e32 v4, v4, v5
	v_xor_b32_e32 v5, 4, v0
	ds_bpermute_b32 v3, v2, v4
	v_cmp_gt_i32_e32 vcc_lo, 32, v5
	v_cndmask_b32_e32 v5, v0, v5, vcc_lo
	s_waitcnt lgkmcnt(0)
	v_max_f32_e32 v6, v3, v3
	v_lshlrev_b32_e32 v3, 2, v5
	v_max_f32_e32 v4, v4, v6
	v_xor_b32_e32 v6, 2, v0
	ds_bpermute_b32 v5, v3, v4
	v_cmp_gt_i32_e32 vcc_lo, 32, v6
	v_cndmask_b32_e32 v6, v0, v6, vcc_lo
	v_lshlrev_b32_e32 v32, 2, v6
	v_xor_b32_e32 v6, 1, v0
	v_cmp_gt_i32_e32 vcc_lo, 32, v6
	s_waitcnt lgkmcnt(0)
	v_max_f32_e32 v5, v5, v5
	v_cndmask_b32_e32 v6, v0, v6, vcc_lo
	v_max_f32_e32 v4, v4, v5
	v_lshlrev_b32_e32 v10, 2, v6
	ds_bpermute_b32 v5, v32, v4
	s_waitcnt lgkmcnt(0)
	v_max_f32_e32 v5, v5, v5
	v_max_f32_e32 v0, v4, v5
	buffer_load_dword v4, off, s[0:3], s32 offset:2268 ; 4-byte Folded Reload
	ds_bpermute_b32 v5, v10, v0
	s_waitcnt vmcnt(0)
	v_cmp_eq_u32_e32 vcc_lo, 0, v4
	buffer_load_dword v4, off, s[0:3], s32 offset:2272 ; 4-byte Folded Reload
	s_waitcnt vmcnt(0)
	v_lshlrev_b32_e32 v4, 2, v4
	s_and_saveexec_b32 s5, vcc_lo
	s_cbranch_execz .LBB372_2058
; %bb.2057:
	s_waitcnt lgkmcnt(0)
	v_max_f32_e32 v5, v5, v5
	v_max_f32_e32 v0, v0, v0
	;; [unrolled: 1-line block ×3, first 2 shown]
	ds_write_b32 v4, v0 offset:512
.LBB372_2058:
	s_or_b32 exec_lo, exec_lo, s5
	buffer_load_dword v0, off, s[0:3], s32 offset:2268 ; 4-byte Folded Reload
	s_waitcnt vmcnt(0) lgkmcnt(0)
	s_waitcnt_vscnt null, 0x0
	s_barrier
	buffer_gl0_inv
	v_cmp_gt_u32_e64 s5, 4, v0
	v_mov_b32_e32 v0, 0xff7fffff
	s_and_saveexec_b32 s6, s5
; %bb.2059:
	ds_read_b32 v0, v18 offset:512
; %bb.2060:
	s_or_b32 exec_lo, exec_lo, s6
	s_waitcnt lgkmcnt(0)
	ds_bpermute_b32 v5, v32, v0
	v_max_f32_e32 v0, v0, v0
	v_mov_b32_e32 v6, 0
	buffer_load_dword v7, off, s[0:3], s32 offset:192 ; 4-byte Folded Reload
	s_waitcnt lgkmcnt(0)
	v_max_f32_e32 v5, v5, v5
	v_max_f32_e32 v0, v0, v5
	ds_bpermute_b32 v5, v10, v0
	s_waitcnt lgkmcnt(0)
	v_max_f32_e32 v5, v5, v5
	v_max_f32_e32 v0, v0, v5
	ds_bpermute_b32 v5, v6, v0
	buffer_load_dword v0, off, s[0:3], s32 offset:196 ; 4-byte Folded Reload
	s_waitcnt vmcnt(0)
	v_lshlrev_b32_e32 v0, 5, v0
	v_min_i32_e32 v0, v0, v7
	buffer_load_dword v7, off, s[0:3], s32 offset:2264 ; 4-byte Folded Reload
	s_waitcnt vmcnt(0)
	v_cmp_lt_i32_e64 s6, v7, v0
	s_and_saveexec_b32 s9, s6
	s_cbranch_execz .LBB372_2064
; %bb.2061:
	buffer_load_dword v8, off, s[0:3], s32 offset:2264 ; 4-byte Folded Reload
	s_getpc_b64 s[18:19]
	s_add_u32 s18, s18, llvm.amdgcn.dynlds.offset.table@rel32@lo+4
	s_addc_u32 s19, s19, llvm.amdgcn.dynlds.offset.table@rel32@hi+12
	s_ashr_i32 s17, s16, 31
	v_mov_b32_e32 v6, 0
	s_lshl_b64 s[20:21], s[16:17], 2
	s_mov_b32 s15, 0
	s_add_u32 s18, s18, s20
	s_addc_u32 s19, s19, s21
	s_load_dword s7, s[18:19], 0x0
	s_waitcnt vmcnt(0) lgkmcnt(0)
	v_lshl_add_u32 v7, v8, 2, s7
	.p2align	6
.LBB372_2062:                           ; =>This Inner Loop Header: Depth=1
	ds_read_b32 v9, v7
	v_add_nc_u32_e32 v8, 0x80, v8
	v_cmp_ge_i32_e64 s7, v8, v0
	s_or_b32 s15, s7, s15
	s_waitcnt lgkmcnt(0)
	v_sub_f32_e32 v9, v9, v5
	v_mul_f32_e32 v9, 0x3fb8aa3b, v9
	v_exp_f32_e32 v9, v9
	ds_write_b32 v7, v9
	v_add_f32_e32 v6, v6, v9
	v_add_nc_u32_e32 v7, 0x200, v7
	s_andn2_b32 exec_lo, exec_lo, s15
	s_cbranch_execnz .LBB372_2062
; %bb.2063:
	s_or_b32 exec_lo, exec_lo, s15
.LBB372_2064:
	s_or_b32 exec_lo, exec_lo, s9
	ds_bpermute_b32 v1, v1, v6
	s_waitcnt lgkmcnt(0)
	v_add_f32_e32 v1, v6, v1
	ds_bpermute_b32 v2, v2, v1
	s_waitcnt lgkmcnt(0)
	v_add_f32_e32 v1, v1, v2
	ds_bpermute_b32 v2, v3, v1
	s_waitcnt lgkmcnt(0)
	v_add_f32_e32 v1, v1, v2
	ds_bpermute_b32 v2, v32, v1
	s_waitcnt lgkmcnt(0)
	v_add_f32_e32 v1, v1, v2
	ds_bpermute_b32 v2, v10, v1
	s_waitcnt lgkmcnt(0)
	v_add_f32_e32 v1, v1, v2
	s_and_saveexec_b32 s7, vcc_lo
; %bb.2065:
	ds_write_b32 v4, v1 offset:528
; %bb.2066:
	s_or_b32 exec_lo, exec_lo, s7
	s_waitcnt lgkmcnt(0)
	s_barrier
	buffer_gl0_inv
	s_and_saveexec_b32 s7, s5
; %bb.2067:
	ds_read_b32 v1, v18 offset:528
; %bb.2068:
	s_or_b32 exec_lo, exec_lo, s7
	s_waitcnt lgkmcnt(0)
	ds_bpermute_b32 v2, v32, v1
	s_waitcnt lgkmcnt(0)
	v_add_f32_e32 v1, v1, v2
	ds_bpermute_b32 v2, v10, v1
	s_waitcnt lgkmcnt(0)
	v_add_f32_e32 v1, v1, v2
	v_mov_b32_e32 v2, 0
	ds_bpermute_b32 v1, v2, v1
	s_and_saveexec_b32 s5, s6
	s_cbranch_execz .LBB372_2071
; %bb.2069:
	s_waitcnt lgkmcnt(0)
	v_add_f32_e32 v2, 0x358637bd, v1
	s_getpc_b64 s[6:7]
	s_add_u32 s6, s6, llvm.amdgcn.dynlds.offset.table@rel32@lo+4
	s_addc_u32 s7, s7, llvm.amdgcn.dynlds.offset.table@rel32@hi+12
	s_ashr_i32 s17, s16, 31
	s_lshl_b64 s[18:19], s[16:17], 2
	v_div_scale_f32 v1, null, v2, v2, 1.0
	v_div_scale_f32 v5, vcc_lo, 1.0, v2, 1.0
	s_add_u32 s6, s6, s18
	v_rcp_f32_e32 v3, v1
	s_addc_u32 s7, s7, s19
	s_load_dword s6, s[6:7], 0x0
	v_fma_f32 v4, -v1, v3, 1.0
	v_fmac_f32_e32 v3, v4, v3
	v_mul_f32_e32 v4, v5, v3
	v_fma_f32 v6, -v1, v4, v5
	v_fmac_f32_e32 v4, v6, v3
	v_fma_f32 v1, -v1, v4, v5
	v_div_fmas_f32 v3, v1, v3, v4
	buffer_load_dword v4, off, s[0:3], s32 offset:2264 ; 4-byte Folded Reload
	v_div_fixup_f32 v2, v3, v2, 1.0
	s_waitcnt vmcnt(0) lgkmcnt(0)
	v_lshl_add_u32 v1, v4, 2, s6
	v_mov_b32_e32 v3, v4
	s_mov_b32 s6, 0
.LBB372_2070:                           ; =>This Inner Loop Header: Depth=1
	ds_read_b32 v4, v1
	v_add_nc_u32_e32 v3, 0x80, v3
	v_cmp_ge_i32_e32 vcc_lo, v3, v0
	s_or_b32 s6, vcc_lo, s6
	s_waitcnt lgkmcnt(0)
	v_mul_f32_e32 v4, v2, v4
	ds_write_b32 v1, v4
	v_add_nc_u32_e32 v1, 0x200, v1
	s_andn2_b32 exec_lo, exec_lo, s6
	s_cbranch_execnz .LBB372_2070
.LBB372_2071:
	s_or_b32 exec_lo, exec_lo, s5
	s_waitcnt lgkmcnt(0)
	s_barrier
	buffer_gl0_inv
	s_mov_b32 s5, exec_lo
	buffer_load_dword v0, off, s[0:3], s32 offset:2264 ; 4-byte Folded Reload
	s_and_b32 s6, s5, s4
	s_xor_b32 s4, s6, s5
	s_mov_b32 exec_lo, s6
; %bb.2072:
                                        ; implicit-def: $vgpr1
                                        ; kill: killed $vgpr1
	s_ashr_i32 s17, s16, 31
                                        ; implicit-def: $vgpr1
                                        ; kill: killed $vgpr1
                                        ; implicit-def: $vgpr12
                                        ; implicit-def: $vgpr11
                                        ; implicit-def: $vgpr1
                                        ; kill: killed $vgpr1
                                        ; implicit-def: $vgpr1
                                        ; kill: killed $vgpr1
	;; [unrolled: 2-line block ×5, first 2 shown]
                                        ; implicit-def: $vgpr1_vgpr2
                                        ; kill: killed $vgpr1_vgpr2
                                        ; implicit-def: $vgpr1_vgpr2
                                        ; kill: killed $vgpr1_vgpr2
; %bb.2073:
	s_or_saveexec_b32 s5, s4
	v_mov_b32_e32 v4, s16
	v_mov_b32_e32 v98, 0
	;; [unrolled: 1-line block ×34, first 2 shown]
	buffer_store_dword v10, off, s[0:3], s32 offset:996 ; 4-byte Folded Spill
	s_xor_b32 exec_lo, exec_lo, s5
	s_cbranch_execz .LBB372_4189
; %bb.2074:
	buffer_store_dword v32, off, s[0:3], s32 offset:1000 ; 4-byte Folded Spill
	s_clause 0x1
	buffer_load_dword v1, off, s[0:3], s32 offset:2300
	buffer_load_dword v2, off, s[0:3], s32 offset:2304
	s_waitcnt vmcnt(2)
	v_lshlrev_b32_e32 v0, 3, v0
	s_getpc_b64 s[6:7]
	s_add_u32 s6, s6, llvm.amdgcn.dynlds.offset.table@rel32@lo+4
	s_addc_u32 s7, s7, llvm.amdgcn.dynlds.offset.table@rel32@hi+12
	s_ashr_i32 s17, s16, 31
	v_mov_b32_e32 v13, 0
	s_lshl_b64 s[18:19], s[16:17], 2
	v_mov_b32_e32 v103, 0x80
	s_add_u32 s6, s6, s18
	s_addc_u32 s7, s7, s19
	v_mov_b32_e32 v113, 0xff
	v_mov_b32_e32 v114, 7
	;; [unrolled: 1-line block ×4, first 2 shown]
	s_mov_b32 s15, 0
	s_waitcnt vmcnt(0)
	flat_load_dword v97, v[1:2]
	s_clause 0x2
	buffer_load_dword v1, off, s[0:3], s32 offset:2280
	buffer_load_dword v2, off, s[0:3], s32 offset:2284
	;; [unrolled: 1-line block ×3, first 2 shown]
	s_waitcnt vmcnt(1)
	v_add_co_u32 v1, vcc_lo, v1, v2
	buffer_load_dword v2, off, s[0:3], s32 offset:2308 ; 4-byte Folded Reload
	buffer_store_dword v1, off, s[0:3], s32 offset:968 ; 4-byte Folded Spill
	buffer_load_dword v1, off, s[0:3], s32 offset:2276 ; 4-byte Folded Reload
	s_waitcnt vmcnt(0)
	v_add_co_ci_u32_e64 v1, null, v1, v3, vcc_lo
	buffer_store_dword v1, off, s[0:3], s32 offset:972 ; 4-byte Folded Spill
	v_and_b32_e32 v1, 24, v0
	buffer_store_dword v1, off, s[0:3], s32 offset:976 ; 4-byte Folded Spill
	buffer_load_dword v1, off, s[0:3], s32 offset:2312 ; 4-byte Folded Reload
	s_waitcnt vmcnt(0)
	v_add_co_u32 v1, vcc_lo, v1, v12
	v_add_co_ci_u32_e64 v2, null, v2, v11, vcc_lo
	buffer_store_dword v1, off, s[0:3], s32 offset:980 ; 4-byte Folded Spill
	buffer_store_dword v2, off, s[0:3], s32 offset:984 ; 4-byte Folded Spill
	buffer_load_dword v14, off, s[0:3], s32 offset:2272 ; 4-byte Folded Reload
	v_and_b32_e32 v1, 0xf8, v0
	v_or_b32_e32 v0, 0x1f00, v0
	s_load_dword s9, s[6:7], 0x0
	s_mov_b32 s6, -1
	s_mov_b32 s7, 0xffffff
	buffer_store_dword v1, off, s[0:3], s32 offset:988 ; 4-byte Folded Spill
	buffer_store_dword v0, off, s[0:3], s32 offset:992 ; 4-byte Folded Spill
	v_mov_b32_e32 v0, 0
	buffer_store_dword v0, off, s[0:3], s32 offset:844 ; 4-byte Folded Spill
	v_mov_b32_e32 v0, 0
	;; [unrolled: 2-line block ×31, first 2 shown]
	buffer_store_dword v0, off, s[0:3], s32 offset:956 ; 4-byte Folded Spill
	s_branch .LBB372_2076
.LBB372_2075:                           ;   in Loop: Header=BB372_2076 Depth=1
	s_or_b32 exec_lo, exec_lo, s4
	v_bfe_u32 v10, v6, 16, 1
	v_or_b32_e32 v11, 0x400000, v6
	v_cmp_u_f32_e32 vcc_lo, v6, v6
	v_lshlrev_b32_e32 v24, 16, v24
	v_lshlrev_b32_e32 v83, 16, v83
	v_add3_u32 v10, v10, v6, 0x7fff
	v_lshlrev_b32_e32 v33, 16, v33
	v_lshlrev_b32_e32 v35, 16, v35
	;; [unrolled: 1-line block ×4, first 2 shown]
	v_cndmask_b32_e32 v6, v10, v11, vcc_lo
	v_bfe_u32 v10, v7, 16, 1
	v_or_b32_e32 v11, 0x400000, v7
	v_cmp_u_f32_e32 vcc_lo, v7, v7
	v_lshlrev_b32_e32 v18, 16, v18
	v_lshlrev_b32_e32 v27, 16, v27
	v_add3_u32 v10, v10, v7, 0x7fff
	v_lshlrev_b32_e32 v1, 16, v1
	v_lshlrev_b32_e32 v0, 16, v0
	v_add_nc_u32_e32 v14, 4, v14
	v_cndmask_b32_e32 v7, v10, v11, vcc_lo
	v_bfe_u32 v10, v8, 16, 1
	v_or_b32_e32 v11, 0x400000, v8
	v_cmp_u_f32_e32 vcc_lo, v8, v8
	v_add3_u32 v10, v10, v8, 0x7fff
	v_bfe_u32 v8, v9, 16, 1
	v_cndmask_b32_e32 v10, v10, v11, vcc_lo
	v_add3_u32 v8, v8, v9, 0x7fff
	v_or_b32_e32 v11, 0x400000, v9
	v_cmp_u_f32_e32 vcc_lo, v9, v9
	v_or_b32_e32 v9, 0x400000, v2
	v_cndmask_b32_e32 v11, v8, v11, vcc_lo
	v_bfe_u32 v8, v2, 16, 1
	v_cmp_u_f32_e32 vcc_lo, v2, v2
	v_add3_u32 v8, v8, v2, 0x7fff
	v_cndmask_b32_e32 v2, v8, v9, vcc_lo
	v_bfe_u32 v8, v3, 16, 1
	v_or_b32_e32 v9, 0x400000, v3
	v_cmp_u_f32_e32 vcc_lo, v3, v3
	v_add3_u32 v8, v8, v3, 0x7fff
	v_cndmask_b32_e32 v3, v8, v9, vcc_lo
	v_bfe_u32 v8, v4, 16, 1
	v_or_b32_e32 v9, 0x400000, v4
	v_cmp_u_f32_e32 vcc_lo, v4, v4
	v_add3_u32 v8, v8, v4, 0x7fff
	v_bfe_u32 v4, v5, 16, 1
	v_cndmask_b32_e32 v65, v8, v9, vcc_lo
	v_add3_u32 v4, v4, v5, 0x7fff
	v_or_b32_e32 v8, 0x400000, v5
	v_cmp_u_f32_e32 vcc_lo, v5, v5
	v_and_b32_e32 v9, 0xffff0000, v6
	v_cndmask_b32_e32 v98, v4, v8, vcc_lo
	v_and_b32_e32 v8, 0xffff0000, v7
	v_lshlrev_b32_e32 v4, 16, v89
	v_mul_f32_e32 v1, v8, v1
	v_mul_f32_e32 v4, v8, v4
	v_bfe_u32 v5, v4, 16, 1
	v_or_b32_e32 v7, 0x400000, v4
	v_cmp_u_f32_e32 vcc_lo, v4, v4
	v_add3_u32 v5, v5, v4, 0x7fff
	v_lshlrev_b32_e32 v4, 16, v91
	v_cndmask_b32_e32 v99, v5, v7, vcc_lo
	v_mul_f32_e32 v4, v9, v4
	v_and_b32_e32 v99, 0xffff0000, v99
	v_bfe_u32 v5, v4, 16, 1
	v_or_b32_e32 v6, 0x400000, v4
	v_cmp_u_f32_e32 vcc_lo, v4, v4
	v_add3_u32 v5, v5, v4, 0x7fff
	v_lshlrev_b32_e32 v4, 16, v79
	v_cndmask_b32_e32 v100, v5, v6, vcc_lo
	v_and_b32_e32 v6, 0xffff0000, v11
	v_and_b32_e32 v100, 0xffff0000, v100
	v_mul_f32_e32 v4, v6, v4
	v_add_f32_e32 v99, v100, v99
	v_bfe_u32 v5, v4, 16, 1
	v_or_b32_e32 v7, 0x400000, v4
	v_cmp_u_f32_e32 vcc_lo, v4, v4
	v_add3_u32 v5, v5, v4, 0x7fff
	v_lshlrev_b32_e32 v4, 16, v88
	v_cndmask_b32_e32 v11, v5, v7, vcc_lo
	v_and_b32_e32 v7, 0xffff0000, v10
	v_and_b32_e32 v11, 0xffff0000, v11
	v_mul_f32_e32 v4, v7, v4
	v_mul_f32_e32 v18, v7, v18
	v_bfe_u32 v5, v4, 16, 1
	v_or_b32_e32 v10, 0x400000, v4
	v_cmp_u_f32_e32 vcc_lo, v4, v4
	v_add3_u32 v5, v5, v4, 0x7fff
	v_and_b32_e32 v4, 0xffff0000, v3
	v_lshlrev_b32_e32 v3, 16, v77
	v_cndmask_b32_e32 v10, v5, v10, vcc_lo
	v_mul_f32_e32 v24, v4, v24
	v_mul_f32_e32 v3, v4, v3
	;; [unrolled: 1-line block ×4, first 2 shown]
	v_and_b32_e32 v10, 0xffff0000, v10
	v_bfe_u32 v5, v3, 16, 1
	v_or_b32_e32 v101, 0x400000, v3
	v_cmp_u_f32_e32 vcc_lo, v3, v3
	v_add_f32_e32 v10, v10, v11
	v_add3_u32 v5, v5, v3, 0x7fff
	v_add_f32_e32 v10, v99, v10
	v_cndmask_b32_e32 v101, v5, v101, vcc_lo
	v_and_b32_e32 v5, 0xffff0000, v2
	v_lshlrev_b32_e32 v2, 16, v78
	v_and_b32_e32 v99, 0xffff0000, v101
	v_mul_f32_e32 v33, v5, v33
	v_mul_f32_e32 v2, v5, v2
	;; [unrolled: 1-line block ×3, first 2 shown]
	v_bfe_u32 v3, v2, 16, 1
	v_or_b32_e32 v102, 0x400000, v2
	v_cmp_u_f32_e32 vcc_lo, v2, v2
	v_add3_u32 v3, v3, v2, 0x7fff
	v_and_b32_e32 v2, 0xffff0000, v98
	v_cndmask_b32_e32 v102, v3, v102, vcc_lo
	v_lshlrev_b32_e32 v3, 16, v92
	v_mul_f32_e32 v29, v2, v29
	v_and_b32_e32 v11, 0xffff0000, v102
	v_mul_f32_e32 v3, v2, v3
	v_add_f32_e32 v11, v11, v99
	v_bfe_u32 v98, v3, 16, 1
	v_or_b32_e32 v77, 0x400000, v3
	v_cmp_u_f32_e32 vcc_lo, v3, v3
	v_add_f32_e32 v10, v10, v11
	v_add3_u32 v98, v98, v3, 0x7fff
	v_and_b32_e32 v3, 0xffff0000, v65
	v_lshlrev_b32_e32 v65, 16, v90
	v_cndmask_b32_e32 v98, v98, v77, vcc_lo
	v_mul_f32_e32 v27, v3, v27
	v_mul_f32_e32 v65, v3, v65
	;; [unrolled: 1-line block ×3, first 2 shown]
	v_bfe_u32 v77, v65, 16, 1
	v_or_b32_e32 v78, 0x400000, v65
	v_cmp_u_f32_e32 vcc_lo, v65, v65
	v_add3_u32 v77, v77, v65, 0x7fff
	v_cndmask_b32_e32 v65, v77, v78, vcc_lo
	v_and_b32_e32 v11, 0xffff0000, v65
	v_and_b32_e32 v65, 0xffff0000, v98
	v_add_f32_e32 v11, v11, v65
	v_add_f32_e32 v10, v10, v11
	buffer_load_dword v11, off, s[0:3], s32 offset:844 ; 4-byte Folded Reload
	s_waitcnt vmcnt(0)
	v_add_f32_e32 v11, v11, v10
	v_lshlrev_b32_e32 v10, 16, v73
	buffer_store_dword v11, off, s[0:3], s32 offset:844 ; 4-byte Folded Spill
	v_mul_f32_e32 v10, v8, v10
	v_bfe_u32 v11, v10, 16, 1
	v_or_b32_e32 v65, 0x400000, v10
	v_cmp_u_f32_e32 vcc_lo, v10, v10
	v_add3_u32 v11, v11, v10, 0x7fff
	v_cndmask_b32_e32 v10, v11, v65, vcc_lo
	v_lshlrev_b32_e32 v11, 16, v75
	v_and_b32_e32 v10, 0xffff0000, v10
	v_mul_f32_e32 v11, v9, v11
	v_bfe_u32 v65, v11, 16, 1
	v_or_b32_e32 v98, 0x400000, v11
	v_cmp_u_f32_e32 vcc_lo, v11, v11
	v_add3_u32 v65, v65, v11, 0x7fff
	v_cndmask_b32_e32 v11, v65, v98, vcc_lo
	v_lshlrev_b32_e32 v65, 16, v63
	v_and_b32_e32 v11, 0xffff0000, v11
	v_mul_f32_e32 v65, v6, v65
	v_add_f32_e32 v10, v11, v10
	v_bfe_u32 v98, v65, 16, 1
	v_or_b32_e32 v99, 0x400000, v65
	v_cmp_u_f32_e32 vcc_lo, v65, v65
	v_add3_u32 v98, v98, v65, 0x7fff
	v_cndmask_b32_e32 v65, v98, v99, vcc_lo
	v_lshlrev_b32_e32 v98, 16, v72
	v_and_b32_e32 v65, 0xffff0000, v65
	v_mul_f32_e32 v98, v7, v98
	v_bfe_u32 v99, v98, 16, 1
	v_or_b32_e32 v100, 0x400000, v98
	v_cmp_u_f32_e32 vcc_lo, v98, v98
	v_add3_u32 v99, v99, v98, 0x7fff
	v_cndmask_b32_e32 v98, v99, v100, vcc_lo
	v_bfe_u32 v99, v24, 16, 1
	v_or_b32_e32 v100, 0x400000, v24
	v_cmp_u_f32_e32 vcc_lo, v24, v24
	v_and_b32_e32 v11, 0xffff0000, v98
	v_add3_u32 v99, v99, v24, 0x7fff
	v_add_f32_e32 v11, v11, v65
	v_cndmask_b32_e32 v24, v99, v100, vcc_lo
	v_lshlrev_b32_e32 v99, 16, v62
	v_add_f32_e32 v10, v10, v11
	v_and_b32_e32 v24, 0xffff0000, v24
	v_mul_f32_e32 v99, v5, v99
	v_bfe_u32 v100, v99, 16, 1
	v_or_b32_e32 v101, 0x400000, v99
	v_cmp_u_f32_e32 vcc_lo, v99, v99
	v_add3_u32 v100, v100, v99, 0x7fff
	v_cndmask_b32_e32 v99, v100, v101, vcc_lo
	v_lshlrev_b32_e32 v100, 16, v76
	v_and_b32_e32 v11, 0xffff0000, v99
	v_mul_f32_e32 v100, v2, v100
	v_add_f32_e32 v11, v11, v24
	v_bfe_u32 v101, v100, 16, 1
	v_or_b32_e32 v102, 0x400000, v100
	v_cmp_u_f32_e32 vcc_lo, v100, v100
	v_add_f32_e32 v10, v10, v11
	v_add3_u32 v101, v101, v100, 0x7fff
	v_cndmask_b32_e32 v100, v101, v102, vcc_lo
	v_lshlrev_b32_e32 v101, 16, v74
	v_and_b32_e32 v24, 0xffff0000, v100
	v_mul_f32_e32 v101, v3, v101
	v_bfe_u32 v102, v101, 16, 1
	v_or_b32_e32 v62, 0x400000, v101
	v_cmp_u_f32_e32 vcc_lo, v101, v101
	v_add3_u32 v102, v102, v101, 0x7fff
	v_cndmask_b32_e32 v101, v102, v62, vcc_lo
	v_and_b32_e32 v11, 0xffff0000, v101
	v_add_f32_e32 v11, v11, v24
	v_add_f32_e32 v10, v10, v11
	buffer_load_dword v11, off, s[0:3], s32 offset:848 ; 4-byte Folded Reload
	s_waitcnt vmcnt(0)
	v_add_f32_e32 v11, v11, v10
	v_lshlrev_b32_e32 v10, 16, v58
	buffer_store_dword v11, off, s[0:3], s32 offset:848 ; 4-byte Folded Spill
	v_mul_f32_e32 v10, v8, v10
	v_bfe_u32 v11, v10, 16, 1
	v_or_b32_e32 v24, 0x400000, v10
	v_cmp_u_f32_e32 vcc_lo, v10, v10
	v_add3_u32 v11, v11, v10, 0x7fff
	v_cndmask_b32_e32 v10, v11, v24, vcc_lo
	v_lshlrev_b32_e32 v11, 16, v60
	v_and_b32_e32 v10, 0xffff0000, v10
	v_mul_f32_e32 v11, v9, v11
	v_bfe_u32 v24, v11, 16, 1
	v_or_b32_e32 v65, 0x400000, v11
	v_cmp_u_f32_e32 vcc_lo, v11, v11
	v_add3_u32 v24, v24, v11, 0x7fff
	v_cndmask_b32_e32 v11, v24, v65, vcc_lo
	v_lshlrev_b32_e32 v24, 16, v56
	v_and_b32_e32 v11, 0xffff0000, v11
	v_mul_f32_e32 v24, v6, v24
	v_add_f32_e32 v10, v11, v10
	v_bfe_u32 v65, v24, 16, 1
	v_or_b32_e32 v98, 0x400000, v24
	v_cmp_u_f32_e32 vcc_lo, v24, v24
	v_add3_u32 v65, v65, v24, 0x7fff
	v_cndmask_b32_e32 v24, v65, v98, vcc_lo
	v_lshlrev_b32_e32 v65, 16, v57
	v_and_b32_e32 v24, 0xffff0000, v24
	v_mul_f32_e32 v65, v7, v65
	v_bfe_u32 v98, v65, 16, 1
	v_or_b32_e32 v99, 0x400000, v65
	v_cmp_u_f32_e32 vcc_lo, v65, v65
	v_add3_u32 v98, v98, v65, 0x7fff
	v_cndmask_b32_e32 v65, v98, v99, vcc_lo
	v_lshlrev_b32_e32 v98, 16, v46
	v_and_b32_e32 v11, 0xffff0000, v65
	v_mul_f32_e32 v98, v4, v98
	v_add_f32_e32 v11, v11, v24
	v_bfe_u32 v99, v98, 16, 1
	v_or_b32_e32 v100, 0x400000, v98
	v_cmp_u_f32_e32 vcc_lo, v98, v98
	v_add_f32_e32 v10, v10, v11
	v_add3_u32 v99, v99, v98, 0x7fff
	v_cndmask_b32_e32 v98, v99, v100, vcc_lo
	v_lshlrev_b32_e32 v99, 16, v47
	v_and_b32_e32 v24, 0xffff0000, v98
	v_mul_f32_e32 v99, v5, v99
	v_bfe_u32 v100, v99, 16, 1
	v_or_b32_e32 v101, 0x400000, v99
	v_cmp_u_f32_e32 vcc_lo, v99, v99
	v_add3_u32 v100, v100, v99, 0x7fff
	v_cndmask_b32_e32 v99, v100, v101, vcc_lo
	v_lshlrev_b32_e32 v100, 16, v61
	v_and_b32_e32 v11, 0xffff0000, v99
	v_mul_f32_e32 v100, v2, v100
	v_add_f32_e32 v11, v11, v24
	v_bfe_u32 v101, v100, 16, 1
	v_or_b32_e32 v102, 0x400000, v100
	v_cmp_u_f32_e32 vcc_lo, v100, v100
	v_add_f32_e32 v10, v10, v11
	v_add3_u32 v101, v101, v100, 0x7fff
	v_cndmask_b32_e32 v100, v101, v102, vcc_lo
	v_lshlrev_b32_e32 v101, 16, v59
	v_and_b32_e32 v24, 0xffff0000, v100
	v_mul_f32_e32 v101, v3, v101
	v_bfe_u32 v102, v101, 16, 1
	v_or_b32_e32 v46, 0x400000, v101
	v_cmp_u_f32_e32 vcc_lo, v101, v101
	v_add3_u32 v102, v102, v101, 0x7fff
	v_cndmask_b32_e32 v101, v102, v46, vcc_lo
	v_and_b32_e32 v11, 0xffff0000, v101
	v_add_f32_e32 v11, v11, v24
	v_add_f32_e32 v10, v10, v11
	buffer_load_dword v11, off, s[0:3], s32 offset:852 ; 4-byte Folded Reload
	s_waitcnt vmcnt(0)
	v_add_f32_e32 v11, v11, v10
	v_lshlrev_b32_e32 v10, 16, v87
	buffer_store_dword v11, off, s[0:3], s32 offset:852 ; 4-byte Folded Spill
	v_mul_f32_e32 v10, v8, v10
	v_bfe_u32 v11, v10, 16, 1
	v_or_b32_e32 v24, 0x400000, v10
	v_cmp_u_f32_e32 vcc_lo, v10, v10
	v_add3_u32 v11, v11, v10, 0x7fff
	v_cndmask_b32_e32 v10, v11, v24, vcc_lo
	v_lshlrev_b32_e32 v11, 16, v44
	v_and_b32_e32 v10, 0xffff0000, v10
	v_mul_f32_e32 v11, v9, v11
	v_bfe_u32 v24, v11, 16, 1
	v_or_b32_e32 v65, 0x400000, v11
	v_cmp_u_f32_e32 vcc_lo, v11, v11
	v_add3_u32 v24, v24, v11, 0x7fff
	v_cndmask_b32_e32 v11, v24, v65, vcc_lo
	v_lshlrev_b32_e32 v24, 16, v85
	v_and_b32_e32 v11, 0xffff0000, v11
	v_mul_f32_e32 v24, v6, v24
	v_add_f32_e32 v10, v11, v10
	v_bfe_u32 v65, v24, 16, 1
	v_or_b32_e32 v85, 0x400000, v24
	v_cmp_u_f32_e32 vcc_lo, v24, v24
	v_add3_u32 v65, v65, v24, 0x7fff
	v_cndmask_b32_e32 v24, v65, v85, vcc_lo
	v_lshlrev_b32_e32 v65, 16, v86
	v_and_b32_e32 v24, 0xffff0000, v24
	v_mul_f32_e32 v65, v7, v65
	v_bfe_u32 v85, v65, 16, 1
	v_or_b32_e32 v86, 0x400000, v65
	v_cmp_u_f32_e32 vcc_lo, v65, v65
	v_add3_u32 v85, v85, v65, 0x7fff
	v_cndmask_b32_e32 v65, v85, v86, vcc_lo
	v_bfe_u32 v85, v83, 16, 1
	v_or_b32_e32 v86, 0x400000, v83
	v_cmp_u_f32_e32 vcc_lo, v83, v83
	v_and_b32_e32 v11, 0xffff0000, v65
	v_add3_u32 v85, v85, v83, 0x7fff
	v_add_f32_e32 v11, v11, v24
	v_cndmask_b32_e32 v83, v85, v86, vcc_lo
	v_bfe_u32 v85, v33, 16, 1
	v_or_b32_e32 v86, 0x400000, v33
	v_cmp_u_f32_e32 vcc_lo, v33, v33
	v_add_f32_e32 v10, v10, v11
	v_and_b32_e32 v24, 0xffff0000, v83
	v_add3_u32 v85, v85, v33, 0x7fff
	v_cndmask_b32_e32 v33, v85, v86, vcc_lo
	v_lshlrev_b32_e32 v85, 16, v45
	v_and_b32_e32 v11, 0xffff0000, v33
	v_mul_f32_e32 v85, v2, v85
	v_add_f32_e32 v11, v11, v24
	v_bfe_u32 v86, v85, 16, 1
	v_or_b32_e32 v87, 0x400000, v85
	v_cmp_u_f32_e32 vcc_lo, v85, v85
	v_add_f32_e32 v10, v10, v11
	v_add3_u32 v86, v86, v85, 0x7fff
	v_cndmask_b32_e32 v85, v86, v87, vcc_lo
	v_lshlrev_b32_e32 v86, 16, v96
	v_and_b32_e32 v24, 0xffff0000, v85
	v_mul_f32_e32 v86, v3, v86
	v_bfe_u32 v87, v86, 16, 1
	v_or_b32_e32 v96, 0x400000, v86
	v_cmp_u_f32_e32 vcc_lo, v86, v86
	v_add3_u32 v87, v87, v86, 0x7fff
	v_cndmask_b32_e32 v86, v87, v96, vcc_lo
	v_and_b32_e32 v11, 0xffff0000, v86
	v_add_f32_e32 v11, v11, v24
	v_add_f32_e32 v10, v10, v11
	buffer_load_dword v11, off, s[0:3], s32 offset:856 ; 4-byte Folded Reload
	s_waitcnt vmcnt(0)
	v_add_f32_e32 v11, v11, v10
	v_lshlrev_b32_e32 v10, 16, v71
	buffer_store_dword v11, off, s[0:3], s32 offset:856 ; 4-byte Folded Spill
	v_mul_f32_e32 v10, v8, v10
	v_bfe_u32 v11, v10, 16, 1
	v_or_b32_e32 v24, 0x400000, v10
	v_cmp_u_f32_e32 vcc_lo, v10, v10
	v_add3_u32 v11, v11, v10, 0x7fff
	v_cndmask_b32_e32 v10, v11, v24, vcc_lo
	v_lshlrev_b32_e32 v11, 16, v81
	v_and_b32_e32 v10, 0xffff0000, v10
	v_mul_f32_e32 v11, v9, v11
	v_bfe_u32 v24, v11, 16, 1
	v_or_b32_e32 v33, 0x400000, v11
	v_cmp_u_f32_e32 vcc_lo, v11, v11
	v_add3_u32 v24, v24, v11, 0x7fff
	v_cndmask_b32_e32 v11, v24, v33, vcc_lo
	v_lshlrev_b32_e32 v24, 16, v69
	v_and_b32_e32 v11, 0xffff0000, v11
	v_mul_f32_e32 v24, v6, v24
	v_add_f32_e32 v10, v11, v10
	v_bfe_u32 v33, v24, 16, 1
	v_or_b32_e32 v65, 0x400000, v24
	v_cmp_u_f32_e32 vcc_lo, v24, v24
	v_add3_u32 v33, v33, v24, 0x7fff
	v_cndmask_b32_e32 v24, v33, v65, vcc_lo
	v_lshlrev_b32_e32 v33, 16, v70
	v_and_b32_e32 v24, 0xffff0000, v24
	v_mul_f32_e32 v33, v7, v33
	v_bfe_u32 v65, v33, 16, 1
	v_or_b32_e32 v69, 0x400000, v33
	v_cmp_u_f32_e32 vcc_lo, v33, v33
	v_add3_u32 v65, v65, v33, 0x7fff
	v_cndmask_b32_e32 v33, v65, v69, vcc_lo
	v_lshlrev_b32_e32 v65, 16, v67
	v_and_b32_e32 v11, 0xffff0000, v33
	v_mul_f32_e32 v65, v4, v65
	v_add_f32_e32 v11, v11, v24
	v_bfe_u32 v67, v65, 16, 1
	v_or_b32_e32 v69, 0x400000, v65
	v_cmp_u_f32_e32 vcc_lo, v65, v65
	v_add_f32_e32 v10, v10, v11
	v_add3_u32 v67, v67, v65, 0x7fff
	v_cndmask_b32_e32 v65, v67, v69, vcc_lo
	v_lshlrev_b32_e32 v67, 16, v118
	v_and_b32_e32 v24, 0xffff0000, v65
	v_mul_f32_e32 v67, v5, v67
	v_bfe_u32 v69, v67, 16, 1
	v_or_b32_e32 v70, 0x400000, v67
	v_cmp_u_f32_e32 vcc_lo, v67, v67
	v_add3_u32 v69, v69, v67, 0x7fff
	v_cndmask_b32_e32 v67, v69, v70, vcc_lo
	v_lshlrev_b32_e32 v69, 16, v82
	v_and_b32_e32 v11, 0xffff0000, v67
	v_mul_f32_e32 v69, v2, v69
	v_add_f32_e32 v11, v11, v24
	v_bfe_u32 v70, v69, 16, 1
	v_or_b32_e32 v71, 0x400000, v69
	v_cmp_u_f32_e32 vcc_lo, v69, v69
	v_add_f32_e32 v10, v10, v11
	v_add3_u32 v70, v70, v69, 0x7fff
	v_cndmask_b32_e32 v69, v70, v71, vcc_lo
	v_lshlrev_b32_e32 v70, 16, v80
	v_and_b32_e32 v24, 0xffff0000, v69
	v_mul_f32_e32 v70, v3, v70
	v_bfe_u32 v71, v70, 16, 1
	v_or_b32_e32 v80, 0x400000, v70
	v_cmp_u_f32_e32 vcc_lo, v70, v70
	v_add3_u32 v71, v71, v70, 0x7fff
	v_cndmask_b32_e32 v70, v71, v80, vcc_lo
	v_and_b32_e32 v11, 0xffff0000, v70
	v_add_f32_e32 v11, v11, v24
	v_add_f32_e32 v10, v10, v11
	buffer_load_dword v11, off, s[0:3], s32 offset:860 ; 4-byte Folded Reload
	s_waitcnt vmcnt(0)
	v_add_f32_e32 v11, v11, v10
	v_lshlrev_b32_e32 v10, 16, v55
	buffer_store_dword v11, off, s[0:3], s32 offset:860 ; 4-byte Folded Spill
	v_mul_f32_e32 v10, v8, v10
	v_bfe_u32 v11, v10, 16, 1
	v_or_b32_e32 v24, 0x400000, v10
	v_cmp_u_f32_e32 vcc_lo, v10, v10
	v_add3_u32 v11, v11, v10, 0x7fff
	v_cndmask_b32_e32 v10, v11, v24, vcc_lo
	v_lshlrev_b32_e32 v11, 16, v49
	v_and_b32_e32 v10, 0xffff0000, v10
	v_mul_f32_e32 v11, v9, v11
	v_bfe_u32 v24, v11, 16, 1
	v_or_b32_e32 v33, 0x400000, v11
	v_cmp_u_f32_e32 vcc_lo, v11, v11
	v_add3_u32 v24, v24, v11, 0x7fff
	v_cndmask_b32_e32 v11, v24, v33, vcc_lo
	v_lshlrev_b32_e32 v24, 16, v53
	v_and_b32_e32 v11, 0xffff0000, v11
	v_mul_f32_e32 v24, v6, v24
	v_add_f32_e32 v10, v11, v10
	v_bfe_u32 v33, v24, 16, 1
	v_or_b32_e32 v49, 0x400000, v24
	v_cmp_u_f32_e32 vcc_lo, v24, v24
	v_add3_u32 v33, v33, v24, 0x7fff
	v_cndmask_b32_e32 v24, v33, v49, vcc_lo
	v_lshlrev_b32_e32 v33, 16, v54
	v_and_b32_e32 v24, 0xffff0000, v24
	v_mul_f32_e32 v33, v7, v33
	v_bfe_u32 v49, v33, 16, 1
	v_or_b32_e32 v53, 0x400000, v33
	v_cmp_u_f32_e32 vcc_lo, v33, v33
	v_add3_u32 v49, v49, v33, 0x7fff
	v_cndmask_b32_e32 v33, v49, v53, vcc_lo
	v_lshlrev_b32_e32 v49, 16, v51
	v_and_b32_e32 v11, 0xffff0000, v33
	v_mul_f32_e32 v49, v4, v49
	v_add_f32_e32 v11, v11, v24
	v_bfe_u32 v51, v49, 16, 1
	v_or_b32_e32 v53, 0x400000, v49
	v_cmp_u_f32_e32 vcc_lo, v49, v49
	v_add_f32_e32 v10, v10, v11
	v_add3_u32 v51, v51, v49, 0x7fff
	v_cndmask_b32_e32 v49, v51, v53, vcc_lo
	v_lshlrev_b32_e32 v51, 16, v52
	v_and_b32_e32 v24, 0xffff0000, v49
	v_mul_f32_e32 v51, v5, v51
	v_bfe_u32 v52, v51, 16, 1
	v_or_b32_e32 v53, 0x400000, v51
	v_cmp_u_f32_e32 vcc_lo, v51, v51
	v_add3_u32 v52, v52, v51, 0x7fff
	v_cndmask_b32_e32 v51, v52, v53, vcc_lo
	v_lshlrev_b32_e32 v52, 16, v66
	v_and_b32_e32 v11, 0xffff0000, v51
	v_mul_f32_e32 v52, v2, v52
	v_add_f32_e32 v11, v11, v24
	v_bfe_u32 v53, v52, 16, 1
	v_or_b32_e32 v54, 0x400000, v52
	v_cmp_u_f32_e32 vcc_lo, v52, v52
	v_add_f32_e32 v10, v10, v11
	v_add3_u32 v53, v53, v52, 0x7fff
	v_cndmask_b32_e32 v52, v53, v54, vcc_lo
	v_lshlrev_b32_e32 v53, 16, v64
	v_and_b32_e32 v24, 0xffff0000, v52
	v_mul_f32_e32 v53, v3, v53
	v_bfe_u32 v54, v53, 16, 1
	v_or_b32_e32 v55, 0x400000, v53
	v_cmp_u_f32_e32 vcc_lo, v53, v53
	v_add3_u32 v54, v54, v53, 0x7fff
	v_cndmask_b32_e32 v53, v54, v55, vcc_lo
	v_and_b32_e32 v11, 0xffff0000, v53
	v_add_f32_e32 v11, v11, v24
	v_add_f32_e32 v10, v10, v11
	buffer_load_dword v11, off, s[0:3], s32 offset:864 ; 4-byte Folded Reload
	s_waitcnt vmcnt(0)
	v_add_f32_e32 v11, v11, v10
	v_lshlrev_b32_e32 v10, 16, v39
	buffer_store_dword v11, off, s[0:3], s32 offset:864 ; 4-byte Folded Spill
	v_mul_f32_e32 v10, v8, v10
	v_bfe_u32 v11, v10, 16, 1
	v_or_b32_e32 v24, 0x400000, v10
	v_cmp_u_f32_e32 vcc_lo, v10, v10
	v_add3_u32 v11, v11, v10, 0x7fff
	v_cndmask_b32_e32 v10, v11, v24, vcc_lo
	v_lshlrev_b32_e32 v11, 16, v40
	v_and_b32_e32 v10, 0xffff0000, v10
	v_mul_f32_e32 v11, v9, v11
	v_bfe_u32 v24, v11, 16, 1
	v_or_b32_e32 v33, 0x400000, v11
	v_cmp_u_f32_e32 vcc_lo, v11, v11
	v_add3_u32 v24, v24, v11, 0x7fff
	v_cndmask_b32_e32 v11, v24, v33, vcc_lo
	v_lshlrev_b32_e32 v24, 16, v37
	v_and_b32_e32 v11, 0xffff0000, v11
	v_mul_f32_e32 v24, v6, v24
	v_add_f32_e32 v10, v11, v10
	v_bfe_u32 v33, v24, 16, 1
	v_or_b32_e32 v37, 0x400000, v24
	v_cmp_u_f32_e32 vcc_lo, v24, v24
	v_add3_u32 v33, v33, v24, 0x7fff
	v_cndmask_b32_e32 v24, v33, v37, vcc_lo
	v_lshlrev_b32_e32 v33, 16, v38
	v_and_b32_e32 v24, 0xffff0000, v24
	v_mul_f32_e32 v33, v7, v33
	v_bfe_u32 v37, v33, 16, 1
	v_or_b32_e32 v38, 0x400000, v33
	v_cmp_u_f32_e32 vcc_lo, v33, v33
	v_add3_u32 v37, v37, v33, 0x7fff
	v_cndmask_b32_e32 v33, v37, v38, vcc_lo
	v_bfe_u32 v37, v35, 16, 1
	v_or_b32_e32 v38, 0x400000, v35
	v_cmp_u_f32_e32 vcc_lo, v35, v35
	v_and_b32_e32 v11, 0xffff0000, v33
	v_add3_u32 v37, v37, v35, 0x7fff
	v_add_f32_e32 v11, v11, v24
	v_cndmask_b32_e32 v35, v37, v38, vcc_lo
	v_bfe_u32 v37, v36, 16, 1
	v_or_b32_e32 v38, 0x400000, v36
	v_cmp_u_f32_e32 vcc_lo, v36, v36
	v_add_f32_e32 v10, v10, v11
	v_and_b32_e32 v24, 0xffff0000, v35
	v_add3_u32 v37, v37, v36, 0x7fff
	v_cndmask_b32_e32 v36, v37, v38, vcc_lo
	v_lshlrev_b32_e32 v37, 16, v50
	v_and_b32_e32 v11, 0xffff0000, v36
	v_mul_f32_e32 v37, v2, v37
	v_add_f32_e32 v11, v11, v24
	v_bfe_u32 v38, v37, 16, 1
	v_or_b32_e32 v39, 0x400000, v37
	v_cmp_u_f32_e32 vcc_lo, v37, v37
	v_add_f32_e32 v10, v10, v11
	v_add3_u32 v38, v38, v37, 0x7fff
	v_cndmask_b32_e32 v37, v38, v39, vcc_lo
	v_lshlrev_b32_e32 v38, 16, v48
	v_and_b32_e32 v24, 0xffff0000, v37
	v_mul_f32_e32 v38, v3, v38
	v_bfe_u32 v39, v38, 16, 1
	v_or_b32_e32 v48, 0x400000, v38
	v_cmp_u_f32_e32 vcc_lo, v38, v38
	v_add3_u32 v39, v39, v38, 0x7fff
	v_cndmask_b32_e32 v38, v39, v48, vcc_lo
	v_and_b32_e32 v11, 0xffff0000, v38
	v_add_f32_e32 v11, v11, v24
	v_add_f32_e32 v10, v10, v11
	buffer_load_dword v11, off, s[0:3], s32 offset:868 ; 4-byte Folded Reload
	s_waitcnt vmcnt(0)
	v_add_f32_e32 v11, v11, v10
	v_lshlrev_b32_e32 v10, 16, v68
	buffer_store_dword v11, off, s[0:3], s32 offset:868 ; 4-byte Folded Spill
	v_mul_f32_e32 v10, v8, v10
	v_bfe_u32 v11, v10, 16, 1
	v_or_b32_e32 v24, 0x400000, v10
	v_cmp_u_f32_e32 vcc_lo, v10, v10
	v_add3_u32 v11, v11, v10, 0x7fff
	v_cndmask_b32_e32 v10, v11, v24, vcc_lo
	v_lshlrev_b32_e32 v11, 16, v28
	v_and_b32_e32 v10, 0xffff0000, v10
	v_mul_f32_e32 v11, v9, v11
	v_bfe_u32 v24, v11, 16, 1
	v_or_b32_e32 v28, 0x400000, v11
	v_cmp_u_f32_e32 vcc_lo, v11, v11
	v_add3_u32 v24, v24, v11, 0x7fff
	v_cndmask_b32_e32 v11, v24, v28, vcc_lo
	v_lshlrev_b32_e32 v24, 16, v43
	v_and_b32_e32 v11, 0xffff0000, v11
	v_mul_f32_e32 v24, v6, v24
	v_add_f32_e32 v10, v11, v10
	v_bfe_u32 v28, v24, 16, 1
	v_or_b32_e32 v33, 0x400000, v24
	v_cmp_u_f32_e32 vcc_lo, v24, v24
	v_add3_u32 v28, v28, v24, 0x7fff
	v_cndmask_b32_e32 v24, v28, v33, vcc_lo
	v_lshlrev_b32_e32 v28, 16, v41
	v_and_b32_e32 v24, 0xffff0000, v24
	v_mul_f32_e32 v28, v7, v28
	v_bfe_u32 v33, v28, 16, 1
	v_or_b32_e32 v35, 0x400000, v28
	v_cmp_u_f32_e32 vcc_lo, v28, v28
	v_add3_u32 v33, v33, v28, 0x7fff
	v_cndmask_b32_e32 v28, v33, v35, vcc_lo
	v_lshlrev_b32_e32 v33, 16, v84
	v_and_b32_e32 v11, 0xffff0000, v28
	v_mul_f32_e32 v33, v4, v33
	v_add_f32_e32 v11, v11, v24
	v_bfe_u32 v35, v33, 16, 1
	v_or_b32_e32 v36, 0x400000, v33
	v_cmp_u_f32_e32 vcc_lo, v33, v33
	v_add_f32_e32 v10, v10, v11
	v_add3_u32 v35, v35, v33, 0x7fff
	v_cndmask_b32_e32 v33, v35, v36, vcc_lo
	v_lshlrev_b32_e32 v35, 16, v119
	v_and_b32_e32 v24, 0xffff0000, v33
	v_mul_f32_e32 v35, v5, v35
	v_bfe_u32 v36, v35, 16, 1
	v_or_b32_e32 v37, 0x400000, v35
	v_cmp_u_f32_e32 vcc_lo, v35, v35
	v_add3_u32 v36, v36, v35, 0x7fff
	v_cndmask_b32_e32 v35, v36, v37, vcc_lo
	v_bfe_u32 v36, v29, 16, 1
	v_or_b32_e32 v37, 0x400000, v29
	v_cmp_u_f32_e32 vcc_lo, v29, v29
	v_and_b32_e32 v11, 0xffff0000, v35
	v_add3_u32 v36, v36, v29, 0x7fff
	v_add_f32_e32 v11, v11, v24
	v_cndmask_b32_e32 v29, v36, v37, vcc_lo
	v_lshlrev_b32_e32 v36, 16, v42
	v_add_f32_e32 v10, v10, v11
	v_and_b32_e32 v24, 0xffff0000, v29
	v_mul_f32_e32 v36, v3, v36
	v_bfe_u32 v37, v36, 16, 1
	v_or_b32_e32 v38, 0x400000, v36
	v_cmp_u_f32_e32 vcc_lo, v36, v36
	v_add3_u32 v37, v37, v36, 0x7fff
	v_cndmask_b32_e32 v36, v37, v38, vcc_lo
	v_and_b32_e32 v11, 0xffff0000, v36
	v_add_f32_e32 v11, v11, v24
	v_add_f32_e32 v10, v10, v11
	buffer_load_dword v11, off, s[0:3], s32 offset:872 ; 4-byte Folded Reload
	s_waitcnt vmcnt(0)
	v_add_f32_e32 v11, v11, v10
	v_lshlrev_b32_e32 v10, 16, v17
	buffer_store_dword v11, off, s[0:3], s32 offset:872 ; 4-byte Folded Spill
	v_mul_f32_e32 v10, v8, v10
	v_bfe_u32 v11, v10, 16, 1
	v_or_b32_e32 v17, 0x400000, v10
	v_cmp_u_f32_e32 vcc_lo, v10, v10
	v_add3_u32 v11, v11, v10, 0x7fff
	v_cndmask_b32_e32 v10, v11, v17, vcc_lo
	v_lshlrev_b32_e32 v11, 16, v116
	v_and_b32_e32 v10, 0xffff0000, v10
	v_mul_f32_e32 v11, v9, v11
	v_bfe_u32 v17, v11, 16, 1
	v_or_b32_e32 v24, 0x400000, v11
	v_cmp_u_f32_e32 vcc_lo, v11, v11
	v_add3_u32 v17, v17, v11, 0x7fff
	v_cndmask_b32_e32 v11, v17, v24, vcc_lo
	v_lshlrev_b32_e32 v17, 16, v34
	v_and_b32_e32 v11, 0xffff0000, v11
	v_mul_f32_e32 v17, v6, v17
	v_add_f32_e32 v10, v11, v10
	v_bfe_u32 v24, v17, 16, 1
	v_or_b32_e32 v28, 0x400000, v17
	v_cmp_u_f32_e32 vcc_lo, v17, v17
	v_add3_u32 v24, v24, v17, 0x7fff
	v_cndmask_b32_e32 v17, v24, v28, vcc_lo
	v_bfe_u32 v24, v18, 16, 1
	v_or_b32_e32 v28, 0x400000, v18
	v_cmp_u_f32_e32 vcc_lo, v18, v18
	v_and_b32_e32 v17, 0xffff0000, v17
	v_add3_u32 v24, v24, v18, 0x7fff
	v_cndmask_b32_e32 v18, v24, v28, vcc_lo
	v_lshlrev_b32_e32 v24, 16, v25
	v_and_b32_e32 v11, 0xffff0000, v18
	v_mul_f32_e32 v24, v4, v24
	v_add_f32_e32 v11, v11, v17
	v_bfe_u32 v25, v24, 16, 1
	v_or_b32_e32 v28, 0x400000, v24
	v_cmp_u_f32_e32 vcc_lo, v24, v24
	v_add_f32_e32 v10, v10, v11
	v_add3_u32 v25, v25, v24, 0x7fff
	v_cndmask_b32_e32 v24, v25, v28, vcc_lo
	v_lshlrev_b32_e32 v25, 16, v26
	v_and_b32_e32 v17, 0xffff0000, v24
	v_mul_f32_e32 v25, v5, v25
	v_bfe_u32 v26, v25, 16, 1
	v_or_b32_e32 v28, 0x400000, v25
	v_cmp_u_f32_e32 vcc_lo, v25, v25
	v_add3_u32 v26, v26, v25, 0x7fff
	v_cndmask_b32_e32 v25, v26, v28, vcc_lo
	v_lshlrev_b32_e32 v26, 16, v117
	v_and_b32_e32 v11, 0xffff0000, v25
	v_mul_f32_e32 v26, v2, v26
	v_add_f32_e32 v11, v11, v17
	v_bfe_u32 v28, v26, 16, 1
	v_or_b32_e32 v29, 0x400000, v26
	v_cmp_u_f32_e32 vcc_lo, v26, v26
	v_add_f32_e32 v10, v10, v11
	v_add3_u32 v28, v28, v26, 0x7fff
	v_cndmask_b32_e32 v26, v28, v29, vcc_lo
	v_bfe_u32 v28, v27, 16, 1
	v_or_b32_e32 v29, 0x400000, v27
	v_cmp_u_f32_e32 vcc_lo, v27, v27
	v_and_b32_e32 v17, 0xffff0000, v26
	v_add3_u32 v28, v28, v27, 0x7fff
	v_cndmask_b32_e32 v27, v28, v29, vcc_lo
	v_cmp_u_f32_e32 vcc_lo, v1, v1
	v_and_b32_e32 v11, 0xffff0000, v27
	v_add_f32_e32 v11, v11, v17
	v_add_f32_e32 v10, v10, v11
	buffer_load_dword v11, off, s[0:3], s32 offset:876 ; 4-byte Folded Reload
	s_waitcnt vmcnt(0)
	v_add_f32_e32 v11, v11, v10
	v_bfe_u32 v10, v1, 16, 1
	buffer_store_dword v11, off, s[0:3], s32 offset:876 ; 4-byte Folded Spill
	v_add3_u32 v10, v10, v1, 0x7fff
	v_or_b32_e32 v11, 0x400000, v1
	v_cndmask_b32_e32 v1, v10, v11, vcc_lo
	v_lshlrev_b32_e32 v10, 16, v31
	v_and_b32_e32 v1, 0xffff0000, v1
	v_mul_f32_e32 v10, v9, v10
	v_bfe_u32 v11, v10, 16, 1
	v_or_b32_e32 v17, 0x400000, v10
	v_cmp_u_f32_e32 vcc_lo, v10, v10
	v_add3_u32 v11, v11, v10, 0x7fff
	v_cndmask_b32_e32 v10, v11, v17, vcc_lo
	v_lshlrev_b32_e32 v11, 16, v127
	v_and_b32_e32 v10, 0xffff0000, v10
	v_mul_f32_e32 v11, v6, v11
	v_add_f32_e32 v1, v10, v1
	v_bfe_u32 v17, v11, 16, 1
	v_or_b32_e32 v18, 0x400000, v11
	v_cmp_u_f32_e32 vcc_lo, v11, v11
	v_add3_u32 v17, v17, v11, 0x7fff
	v_cndmask_b32_e32 v11, v17, v18, vcc_lo
	v_lshlrev_b32_e32 v17, 16, v32
	v_and_b32_e32 v11, 0xffff0000, v11
	v_mul_f32_e32 v17, v7, v17
	v_bfe_u32 v18, v17, 16, 1
	v_or_b32_e32 v24, 0x400000, v17
	v_cmp_u_f32_e32 vcc_lo, v17, v17
	v_add3_u32 v18, v18, v17, 0x7fff
	v_cndmask_b32_e32 v17, v18, v24, vcc_lo
	v_lshlrev_b32_e32 v18, 16, v125
	v_and_b32_e32 v10, 0xffff0000, v17
	v_mul_f32_e32 v18, v4, v18
	v_add_f32_e32 v10, v10, v11
	v_bfe_u32 v24, v18, 16, 1
	v_or_b32_e32 v25, 0x400000, v18
	v_cmp_u_f32_e32 vcc_lo, v18, v18
	v_add_f32_e32 v1, v1, v10
	v_add3_u32 v24, v24, v18, 0x7fff
	v_cndmask_b32_e32 v18, v24, v25, vcc_lo
	v_lshlrev_b32_e32 v24, 16, v126
	v_and_b32_e32 v11, 0xffff0000, v18
	v_mul_f32_e32 v24, v5, v24
	v_bfe_u32 v25, v24, 16, 1
	v_or_b32_e32 v26, 0x400000, v24
	v_cmp_u_f32_e32 vcc_lo, v24, v24
	v_add3_u32 v25, v25, v24, 0x7fff
	v_cndmask_b32_e32 v24, v25, v26, vcc_lo
	v_lshlrev_b32_e32 v25, 16, v30
	v_and_b32_e32 v10, 0xffff0000, v24
	v_mul_f32_e32 v25, v2, v25
	v_add_f32_e32 v10, v10, v11
	v_bfe_u32 v26, v25, 16, 1
	v_or_b32_e32 v27, 0x400000, v25
	v_cmp_u_f32_e32 vcc_lo, v25, v25
	v_add_f32_e32 v1, v1, v10
	v_add3_u32 v26, v26, v25, 0x7fff
	v_cndmask_b32_e32 v25, v26, v27, vcc_lo
	v_bfe_u32 v26, v0, 16, 1
	v_or_b32_e32 v27, 0x400000, v0
	v_cmp_u_f32_e32 vcc_lo, v0, v0
	v_and_b32_e32 v10, 0xffff0000, v25
	v_add3_u32 v26, v26, v0, 0x7fff
	v_cndmask_b32_e32 v0, v26, v27, vcc_lo
	v_and_b32_e32 v0, 0xffff0000, v0
	v_add_f32_e32 v0, v0, v10
	v_add_f32_e32 v0, v1, v0
	buffer_load_dword v1, off, s[0:3], s32 offset:880 ; 4-byte Folded Reload
	s_waitcnt vmcnt(0)
	v_add_f32_e32 v1, v1, v0
	v_lshlrev_b32_e32 v0, 16, v120
	buffer_store_dword v1, off, s[0:3], s32 offset:880 ; 4-byte Folded Spill
	v_mul_f32_e32 v0, v8, v0
	v_bfe_u32 v1, v0, 16, 1
	v_or_b32_e32 v10, 0x400000, v0
	v_cmp_u_f32_e32 vcc_lo, v0, v0
	v_add3_u32 v1, v1, v0, 0x7fff
	v_cndmask_b32_e32 v0, v1, v10, vcc_lo
	v_lshlrev_b32_e32 v1, 16, v122
	v_and_b32_e32 v0, 0xffff0000, v0
	v_mul_f32_e32 v1, v9, v1
	v_bfe_u32 v10, v1, 16, 1
	v_or_b32_e32 v11, 0x400000, v1
	v_cmp_u_f32_e32 vcc_lo, v1, v1
	v_add3_u32 v10, v10, v1, 0x7fff
	v_cndmask_b32_e32 v1, v10, v11, vcc_lo
	v_lshlrev_b32_e32 v10, 16, v110
	v_and_b32_e32 v1, 0xffff0000, v1
	v_mul_f32_e32 v10, v6, v10
	v_add_f32_e32 v0, v1, v0
	v_bfe_u32 v11, v10, 16, 1
	v_or_b32_e32 v17, 0x400000, v10
	v_cmp_u_f32_e32 vcc_lo, v10, v10
	v_add3_u32 v11, v11, v10, 0x7fff
	v_cndmask_b32_e32 v10, v11, v17, vcc_lo
	v_lshlrev_b32_e32 v11, 16, v111
	v_and_b32_e32 v10, 0xffff0000, v10
	v_mul_f32_e32 v11, v7, v11
	v_bfe_u32 v17, v11, 16, 1
	v_or_b32_e32 v18, 0x400000, v11
	v_cmp_u_f32_e32 vcc_lo, v11, v11
	v_add3_u32 v17, v17, v11, 0x7fff
	v_cndmask_b32_e32 v11, v17, v18, vcc_lo
	v_lshlrev_b32_e32 v17, 16, v108
	v_and_b32_e32 v1, 0xffff0000, v11
	v_mul_f32_e32 v17, v4, v17
	v_add_f32_e32 v1, v1, v10
	v_bfe_u32 v18, v17, 16, 1
	v_or_b32_e32 v24, 0x400000, v17
	v_cmp_u_f32_e32 vcc_lo, v17, v17
	v_add_f32_e32 v0, v0, v1
	v_add3_u32 v18, v18, v17, 0x7fff
	v_cndmask_b32_e32 v17, v18, v24, vcc_lo
	v_lshlrev_b32_e32 v18, 16, v109
	v_and_b32_e32 v10, 0xffff0000, v17
	v_mul_f32_e32 v18, v5, v18
	v_bfe_u32 v24, v18, 16, 1
	v_or_b32_e32 v25, 0x400000, v18
	v_cmp_u_f32_e32 vcc_lo, v18, v18
	v_add3_u32 v24, v24, v18, 0x7fff
	v_cndmask_b32_e32 v18, v24, v25, vcc_lo
	v_lshlrev_b32_e32 v24, 16, v123
	v_and_b32_e32 v1, 0xffff0000, v18
	v_mul_f32_e32 v24, v2, v24
	v_add_f32_e32 v1, v1, v10
	v_bfe_u32 v25, v24, 16, 1
	v_or_b32_e32 v26, 0x400000, v24
	v_cmp_u_f32_e32 vcc_lo, v24, v24
	v_add_f32_e32 v0, v0, v1
	v_add3_u32 v25, v25, v24, 0x7fff
	v_cndmask_b32_e32 v24, v25, v26, vcc_lo
	v_lshlrev_b32_e32 v25, 16, v121
	v_and_b32_e32 v10, 0xffff0000, v24
	v_mul_f32_e32 v25, v3, v25
	v_bfe_u32 v26, v25, 16, 1
	v_or_b32_e32 v27, 0x400000, v25
	v_cmp_u_f32_e32 vcc_lo, v25, v25
	v_add3_u32 v26, v26, v25, 0x7fff
	v_cndmask_b32_e32 v25, v26, v27, vcc_lo
	v_and_b32_e32 v1, 0xffff0000, v25
	v_add_f32_e32 v1, v1, v10
	v_add_f32_e32 v0, v0, v1
	buffer_load_dword v1, off, s[0:3], s32 offset:884 ; 4-byte Folded Reload
	s_waitcnt vmcnt(0)
	v_add_f32_e32 v1, v1, v0
	buffer_load_dword v0, off, s[0:3], s32 offset:828 ; 4-byte Folded Reload
	buffer_store_dword v1, off, s[0:3], s32 offset:884 ; 4-byte Folded Spill
	s_waitcnt vmcnt(0)
	v_lshlrev_b32_e32 v0, 16, v0
	v_mul_f32_e32 v0, v8, v0
	v_bfe_u32 v1, v0, 16, 1
	v_or_b32_e32 v10, 0x400000, v0
	v_cmp_u_f32_e32 vcc_lo, v0, v0
	v_add3_u32 v1, v1, v0, 0x7fff
	v_cndmask_b32_e32 v0, v1, v10, vcc_lo
	buffer_load_dword v1, off, s[0:3], s32 offset:836 ; 4-byte Folded Reload
	v_and_b32_e32 v0, 0xffff0000, v0
	s_waitcnt vmcnt(0)
	v_lshlrev_b32_e32 v1, 16, v1
	v_mul_f32_e32 v1, v9, v1
	v_bfe_u32 v10, v1, 16, 1
	v_or_b32_e32 v11, 0x400000, v1
	v_cmp_u_f32_e32 vcc_lo, v1, v1
	v_add3_u32 v10, v10, v1, 0x7fff
	v_cndmask_b32_e32 v1, v10, v11, vcc_lo
	buffer_load_dword v10, off, s[0:3], s32 offset:820 ; 4-byte Folded Reload
	v_and_b32_e32 v1, 0xffff0000, v1
	v_add_f32_e32 v0, v1, v0
	s_waitcnt vmcnt(0)
	v_lshlrev_b32_e32 v10, 16, v10
	v_mul_f32_e32 v10, v6, v10
	v_bfe_u32 v11, v10, 16, 1
	v_or_b32_e32 v17, 0x400000, v10
	v_cmp_u_f32_e32 vcc_lo, v10, v10
	v_add3_u32 v11, v11, v10, 0x7fff
	v_cndmask_b32_e32 v10, v11, v17, vcc_lo
	buffer_load_dword v11, off, s[0:3], s32 offset:824 ; 4-byte Folded Reload
	v_and_b32_e32 v10, 0xffff0000, v10
	s_waitcnt vmcnt(0)
	v_lshlrev_b32_e32 v11, 16, v11
	v_mul_f32_e32 v11, v7, v11
	v_bfe_u32 v17, v11, 16, 1
	v_or_b32_e32 v18, 0x400000, v11
	v_cmp_u_f32_e32 vcc_lo, v11, v11
	v_add3_u32 v17, v17, v11, 0x7fff
	v_cndmask_b32_e32 v11, v17, v18, vcc_lo
	buffer_load_dword v17, off, s[0:3], s32 offset:812 ; 4-byte Folded Reload
	v_and_b32_e32 v1, 0xffff0000, v11
	v_add_f32_e32 v1, v1, v10
	v_add_f32_e32 v0, v0, v1
	s_waitcnt vmcnt(0)
	v_lshlrev_b32_e32 v17, 16, v17
	v_mul_f32_e32 v17, v4, v17
	v_bfe_u32 v18, v17, 16, 1
	v_or_b32_e32 v24, 0x400000, v17
	v_cmp_u_f32_e32 vcc_lo, v17, v17
	v_add3_u32 v18, v18, v17, 0x7fff
	v_cndmask_b32_e32 v17, v18, v24, vcc_lo
	buffer_load_dword v18, off, s[0:3], s32 offset:816 ; 4-byte Folded Reload
	v_and_b32_e32 v10, 0xffff0000, v17
	s_waitcnt vmcnt(0)
	v_lshlrev_b32_e32 v18, 16, v18
	v_mul_f32_e32 v18, v5, v18
	v_bfe_u32 v24, v18, 16, 1
	v_or_b32_e32 v25, 0x400000, v18
	v_cmp_u_f32_e32 vcc_lo, v18, v18
	v_add3_u32 v24, v24, v18, 0x7fff
	v_cndmask_b32_e32 v18, v24, v25, vcc_lo
	v_lshlrev_b32_e32 v24, 16, v107
	v_and_b32_e32 v1, 0xffff0000, v18
	v_mul_f32_e32 v24, v2, v24
	v_add_f32_e32 v1, v1, v10
	v_bfe_u32 v25, v24, 16, 1
	v_or_b32_e32 v26, 0x400000, v24
	v_cmp_u_f32_e32 vcc_lo, v24, v24
	v_add_f32_e32 v0, v0, v1
	v_add3_u32 v25, v25, v24, 0x7fff
	v_cndmask_b32_e32 v24, v25, v26, vcc_lo
	buffer_load_dword v25, off, s[0:3], s32 offset:832 ; 4-byte Folded Reload
	v_and_b32_e32 v10, 0xffff0000, v24
	s_waitcnt vmcnt(0)
	v_lshlrev_b32_e32 v25, 16, v25
	v_mul_f32_e32 v25, v3, v25
	v_bfe_u32 v26, v25, 16, 1
	v_or_b32_e32 v27, 0x400000, v25
	v_cmp_u_f32_e32 vcc_lo, v25, v25
	v_add3_u32 v26, v26, v25, 0x7fff
	v_cndmask_b32_e32 v25, v26, v27, vcc_lo
	v_and_b32_e32 v1, 0xffff0000, v25
	v_add_f32_e32 v1, v1, v10
	v_add_f32_e32 v0, v0, v1
	buffer_load_dword v1, off, s[0:3], s32 offset:888 ; 4-byte Folded Reload
	s_waitcnt vmcnt(0)
	v_add_f32_e32 v1, v1, v0
	buffer_load_dword v0, off, s[0:3], s32 offset:796 ; 4-byte Folded Reload
	buffer_store_dword v1, off, s[0:3], s32 offset:888 ; 4-byte Folded Spill
	s_waitcnt vmcnt(0)
	v_lshlrev_b32_e32 v0, 16, v0
	v_mul_f32_e32 v0, v8, v0
	v_bfe_u32 v1, v0, 16, 1
	v_or_b32_e32 v10, 0x400000, v0
	v_cmp_u_f32_e32 vcc_lo, v0, v0
	v_add3_u32 v1, v1, v0, 0x7fff
	v_cndmask_b32_e32 v0, v1, v10, vcc_lo
	buffer_load_dword v1, off, s[0:3], s32 offset:804 ; 4-byte Folded Reload
	v_and_b32_e32 v0, 0xffff0000, v0
	s_waitcnt vmcnt(0)
	v_lshlrev_b32_e32 v1, 16, v1
	v_mul_f32_e32 v1, v9, v1
	v_bfe_u32 v10, v1, 16, 1
	v_or_b32_e32 v11, 0x400000, v1
	v_cmp_u_f32_e32 vcc_lo, v1, v1
	v_add3_u32 v10, v10, v1, 0x7fff
	v_cndmask_b32_e32 v1, v10, v11, vcc_lo
	buffer_load_dword v10, off, s[0:3], s32 offset:788 ; 4-byte Folded Reload
	v_and_b32_e32 v1, 0xffff0000, v1
	v_add_f32_e32 v0, v1, v0
	s_waitcnt vmcnt(0)
	v_lshlrev_b32_e32 v10, 16, v10
	v_mul_f32_e32 v10, v6, v10
	v_bfe_u32 v11, v10, 16, 1
	v_or_b32_e32 v17, 0x400000, v10
	v_cmp_u_f32_e32 vcc_lo, v10, v10
	v_add3_u32 v11, v11, v10, 0x7fff
	v_cndmask_b32_e32 v10, v11, v17, vcc_lo
	buffer_load_dword v11, off, s[0:3], s32 offset:792 ; 4-byte Folded Reload
	v_and_b32_e32 v10, 0xffff0000, v10
	s_waitcnt vmcnt(0)
	v_lshlrev_b32_e32 v11, 16, v11
	v_mul_f32_e32 v11, v7, v11
	v_bfe_u32 v17, v11, 16, 1
	v_or_b32_e32 v18, 0x400000, v11
	v_cmp_u_f32_e32 vcc_lo, v11, v11
	v_add3_u32 v17, v17, v11, 0x7fff
	v_cndmask_b32_e32 v11, v17, v18, vcc_lo
	buffer_load_dword v17, off, s[0:3], s32 offset:780 ; 4-byte Folded Reload
	v_and_b32_e32 v1, 0xffff0000, v11
	v_add_f32_e32 v1, v1, v10
	v_add_f32_e32 v0, v0, v1
	s_waitcnt vmcnt(0)
	v_lshlrev_b32_e32 v17, 16, v17
	v_mul_f32_e32 v17, v4, v17
	v_bfe_u32 v18, v17, 16, 1
	v_or_b32_e32 v24, 0x400000, v17
	v_cmp_u_f32_e32 vcc_lo, v17, v17
	v_add3_u32 v18, v18, v17, 0x7fff
	v_cndmask_b32_e32 v17, v18, v24, vcc_lo
	buffer_load_dword v18, off, s[0:3], s32 offset:784 ; 4-byte Folded Reload
	v_and_b32_e32 v10, 0xffff0000, v17
	s_waitcnt vmcnt(0)
	v_lshlrev_b32_e32 v18, 16, v18
	v_mul_f32_e32 v18, v5, v18
	v_bfe_u32 v24, v18, 16, 1
	v_or_b32_e32 v25, 0x400000, v18
	v_cmp_u_f32_e32 vcc_lo, v18, v18
	v_add3_u32 v24, v24, v18, 0x7fff
	v_cndmask_b32_e32 v18, v24, v25, vcc_lo
	buffer_load_dword v24, off, s[0:3], s32 offset:808 ; 4-byte Folded Reload
	v_and_b32_e32 v1, 0xffff0000, v18
	v_add_f32_e32 v1, v1, v10
	v_add_f32_e32 v0, v0, v1
	s_waitcnt vmcnt(0)
	v_lshlrev_b32_e32 v24, 16, v24
	v_mul_f32_e32 v24, v2, v24
	v_bfe_u32 v25, v24, 16, 1
	v_or_b32_e32 v26, 0x400000, v24
	v_cmp_u_f32_e32 vcc_lo, v24, v24
	v_add3_u32 v25, v25, v24, 0x7fff
	v_cndmask_b32_e32 v24, v25, v26, vcc_lo
	buffer_load_dword v25, off, s[0:3], s32 offset:800 ; 4-byte Folded Reload
	v_and_b32_e32 v10, 0xffff0000, v24
	s_waitcnt vmcnt(0)
	v_lshlrev_b32_e32 v25, 16, v25
	v_mul_f32_e32 v25, v3, v25
	v_bfe_u32 v26, v25, 16, 1
	v_or_b32_e32 v27, 0x400000, v25
	v_cmp_u_f32_e32 vcc_lo, v25, v25
	v_add3_u32 v26, v26, v25, 0x7fff
	v_cndmask_b32_e32 v25, v26, v27, vcc_lo
	v_and_b32_e32 v1, 0xffff0000, v25
	v_add_f32_e32 v1, v1, v10
	v_add_f32_e32 v0, v0, v1
	buffer_load_dword v1, off, s[0:3], s32 offset:892 ; 4-byte Folded Reload
	s_waitcnt vmcnt(0)
	v_add_f32_e32 v1, v1, v0
	buffer_load_dword v0, off, s[0:3], s32 offset:760 ; 4-byte Folded Reload
	buffer_store_dword v1, off, s[0:3], s32 offset:892 ; 4-byte Folded Spill
	s_waitcnt vmcnt(0)
	v_lshlrev_b32_e32 v0, 16, v0
	v_mul_f32_e32 v0, v8, v0
	v_bfe_u32 v1, v0, 16, 1
	v_or_b32_e32 v10, 0x400000, v0
	v_cmp_u_f32_e32 vcc_lo, v0, v0
	v_add3_u32 v1, v1, v0, 0x7fff
	v_cndmask_b32_e32 v0, v1, v10, vcc_lo
	buffer_load_dword v1, off, s[0:3], s32 offset:772 ; 4-byte Folded Reload
	v_and_b32_e32 v0, 0xffff0000, v0
	s_waitcnt vmcnt(0)
	v_lshlrev_b32_e32 v1, 16, v1
	v_mul_f32_e32 v1, v9, v1
	v_bfe_u32 v10, v1, 16, 1
	v_or_b32_e32 v11, 0x400000, v1
	v_cmp_u_f32_e32 vcc_lo, v1, v1
	v_add3_u32 v10, v10, v1, 0x7fff
	v_cndmask_b32_e32 v1, v10, v11, vcc_lo
	buffer_load_dword v10, off, s[0:3], s32 offset:752 ; 4-byte Folded Reload
	v_and_b32_e32 v1, 0xffff0000, v1
	v_add_f32_e32 v0, v1, v0
	s_waitcnt vmcnt(0)
	v_lshlrev_b32_e32 v10, 16, v10
	v_mul_f32_e32 v10, v6, v10
	v_bfe_u32 v11, v10, 16, 1
	v_or_b32_e32 v17, 0x400000, v10
	v_cmp_u_f32_e32 vcc_lo, v10, v10
	v_add3_u32 v11, v11, v10, 0x7fff
	v_cndmask_b32_e32 v10, v11, v17, vcc_lo
	buffer_load_dword v11, off, s[0:3], s32 offset:756 ; 4-byte Folded Reload
	v_and_b32_e32 v10, 0xffff0000, v10
	s_waitcnt vmcnt(0)
	v_lshlrev_b32_e32 v11, 16, v11
	v_mul_f32_e32 v11, v7, v11
	v_bfe_u32 v17, v11, 16, 1
	v_or_b32_e32 v18, 0x400000, v11
	v_cmp_u_f32_e32 vcc_lo, v11, v11
	v_add3_u32 v17, v17, v11, 0x7fff
	v_cndmask_b32_e32 v11, v17, v18, vcc_lo
	buffer_load_dword v17, off, s[0:3], s32 offset:744 ; 4-byte Folded Reload
	v_and_b32_e32 v1, 0xffff0000, v11
	v_add_f32_e32 v1, v1, v10
	v_add_f32_e32 v0, v0, v1
	s_waitcnt vmcnt(0)
	v_lshlrev_b32_e32 v17, 16, v17
	v_mul_f32_e32 v17, v4, v17
	v_bfe_u32 v18, v17, 16, 1
	v_or_b32_e32 v24, 0x400000, v17
	v_cmp_u_f32_e32 vcc_lo, v17, v17
	v_add3_u32 v18, v18, v17, 0x7fff
	v_cndmask_b32_e32 v17, v18, v24, vcc_lo
	buffer_load_dword v18, off, s[0:3], s32 offset:748 ; 4-byte Folded Reload
	v_and_b32_e32 v10, 0xffff0000, v17
	s_waitcnt vmcnt(0)
	v_lshlrev_b32_e32 v18, 16, v18
	v_mul_f32_e32 v18, v5, v18
	v_bfe_u32 v24, v18, 16, 1
	v_or_b32_e32 v25, 0x400000, v18
	v_cmp_u_f32_e32 vcc_lo, v18, v18
	v_add3_u32 v24, v24, v18, 0x7fff
	v_cndmask_b32_e32 v18, v24, v25, vcc_lo
	buffer_load_dword v24, off, s[0:3], s32 offset:776 ; 4-byte Folded Reload
	v_and_b32_e32 v1, 0xffff0000, v18
	v_add_f32_e32 v1, v1, v10
	v_add_f32_e32 v0, v0, v1
	s_waitcnt vmcnt(0)
	v_lshlrev_b32_e32 v24, 16, v24
	v_mul_f32_e32 v24, v2, v24
	v_bfe_u32 v25, v24, 16, 1
	v_or_b32_e32 v26, 0x400000, v24
	v_cmp_u_f32_e32 vcc_lo, v24, v24
	v_add3_u32 v25, v25, v24, 0x7fff
	v_cndmask_b32_e32 v24, v25, v26, vcc_lo
	buffer_load_dword v25, off, s[0:3], s32 offset:768 ; 4-byte Folded Reload
	v_and_b32_e32 v10, 0xffff0000, v24
	s_waitcnt vmcnt(0)
	v_lshlrev_b32_e32 v25, 16, v25
	v_mul_f32_e32 v25, v3, v25
	v_bfe_u32 v26, v25, 16, 1
	v_or_b32_e32 v27, 0x400000, v25
	v_cmp_u_f32_e32 vcc_lo, v25, v25
	v_add3_u32 v26, v26, v25, 0x7fff
	v_cndmask_b32_e32 v25, v26, v27, vcc_lo
	v_and_b32_e32 v1, 0xffff0000, v25
	v_add_f32_e32 v1, v1, v10
	v_add_f32_e32 v0, v0, v1
	buffer_load_dword v1, off, s[0:3], s32 offset:896 ; 4-byte Folded Reload
	s_waitcnt vmcnt(0)
	v_add_f32_e32 v1, v1, v0
	buffer_load_dword v0, off, s[0:3], s32 offset:728 ; 4-byte Folded Reload
	buffer_store_dword v1, off, s[0:3], s32 offset:896 ; 4-byte Folded Spill
	s_waitcnt vmcnt(0)
	v_lshlrev_b32_e32 v0, 16, v0
	v_mul_f32_e32 v0, v8, v0
	v_bfe_u32 v1, v0, 16, 1
	v_or_b32_e32 v10, 0x400000, v0
	v_cmp_u_f32_e32 vcc_lo, v0, v0
	v_add3_u32 v1, v1, v0, 0x7fff
	v_cndmask_b32_e32 v0, v1, v10, vcc_lo
	buffer_load_dword v1, off, s[0:3], s32 offset:736 ; 4-byte Folded Reload
	v_and_b32_e32 v0, 0xffff0000, v0
	s_waitcnt vmcnt(0)
	v_lshlrev_b32_e32 v1, 16, v1
	v_mul_f32_e32 v1, v9, v1
	v_bfe_u32 v10, v1, 16, 1
	v_or_b32_e32 v11, 0x400000, v1
	v_cmp_u_f32_e32 vcc_lo, v1, v1
	v_add3_u32 v10, v10, v1, 0x7fff
	v_cndmask_b32_e32 v1, v10, v11, vcc_lo
	buffer_load_dword v10, off, s[0:3], s32 offset:720 ; 4-byte Folded Reload
	v_and_b32_e32 v1, 0xffff0000, v1
	v_add_f32_e32 v0, v1, v0
	s_waitcnt vmcnt(0)
	v_lshlrev_b32_e32 v10, 16, v10
	v_mul_f32_e32 v10, v6, v10
	v_bfe_u32 v11, v10, 16, 1
	v_or_b32_e32 v17, 0x400000, v10
	v_cmp_u_f32_e32 vcc_lo, v10, v10
	v_add3_u32 v11, v11, v10, 0x7fff
	v_cndmask_b32_e32 v10, v11, v17, vcc_lo
	buffer_load_dword v11, off, s[0:3], s32 offset:724 ; 4-byte Folded Reload
	v_and_b32_e32 v10, 0xffff0000, v10
	s_waitcnt vmcnt(0)
	v_lshlrev_b32_e32 v11, 16, v11
	v_mul_f32_e32 v11, v7, v11
	v_bfe_u32 v17, v11, 16, 1
	v_or_b32_e32 v18, 0x400000, v11
	v_cmp_u_f32_e32 vcc_lo, v11, v11
	v_add3_u32 v17, v17, v11, 0x7fff
	v_cndmask_b32_e32 v11, v17, v18, vcc_lo
	buffer_load_dword v17, off, s[0:3], s32 offset:712 ; 4-byte Folded Reload
	v_and_b32_e32 v1, 0xffff0000, v11
	v_add_f32_e32 v1, v1, v10
	v_add_f32_e32 v0, v0, v1
	s_waitcnt vmcnt(0)
	v_lshlrev_b32_e32 v17, 16, v17
	v_mul_f32_e32 v17, v4, v17
	v_bfe_u32 v18, v17, 16, 1
	v_or_b32_e32 v24, 0x400000, v17
	v_cmp_u_f32_e32 vcc_lo, v17, v17
	v_add3_u32 v18, v18, v17, 0x7fff
	v_cndmask_b32_e32 v17, v18, v24, vcc_lo
	buffer_load_dword v18, off, s[0:3], s32 offset:716 ; 4-byte Folded Reload
	v_and_b32_e32 v10, 0xffff0000, v17
	s_waitcnt vmcnt(0)
	v_lshlrev_b32_e32 v18, 16, v18
	v_mul_f32_e32 v18, v5, v18
	v_bfe_u32 v24, v18, 16, 1
	v_or_b32_e32 v25, 0x400000, v18
	v_cmp_u_f32_e32 vcc_lo, v18, v18
	v_add3_u32 v24, v24, v18, 0x7fff
	v_cndmask_b32_e32 v18, v24, v25, vcc_lo
	buffer_load_dword v24, off, s[0:3], s32 offset:740 ; 4-byte Folded Reload
	v_and_b32_e32 v1, 0xffff0000, v18
	v_add_f32_e32 v1, v1, v10
	v_add_f32_e32 v0, v0, v1
	s_waitcnt vmcnt(0)
	v_lshlrev_b32_e32 v24, 16, v24
	v_mul_f32_e32 v24, v2, v24
	v_bfe_u32 v25, v24, 16, 1
	v_or_b32_e32 v26, 0x400000, v24
	v_cmp_u_f32_e32 vcc_lo, v24, v24
	v_add3_u32 v25, v25, v24, 0x7fff
	v_cndmask_b32_e32 v24, v25, v26, vcc_lo
	buffer_load_dword v25, off, s[0:3], s32 offset:732 ; 4-byte Folded Reload
	v_and_b32_e32 v10, 0xffff0000, v24
	s_waitcnt vmcnt(0)
	v_lshlrev_b32_e32 v25, 16, v25
	v_mul_f32_e32 v25, v3, v25
	v_bfe_u32 v26, v25, 16, 1
	v_or_b32_e32 v27, 0x400000, v25
	v_cmp_u_f32_e32 vcc_lo, v25, v25
	v_add3_u32 v26, v26, v25, 0x7fff
	v_cndmask_b32_e32 v25, v26, v27, vcc_lo
	v_and_b32_e32 v1, 0xffff0000, v25
	v_add_f32_e32 v1, v1, v10
	v_add_f32_e32 v0, v0, v1
	buffer_load_dword v1, off, s[0:3], s32 offset:900 ; 4-byte Folded Reload
	s_waitcnt vmcnt(0)
	v_add_f32_e32 v1, v1, v0
	buffer_load_dword v0, off, s[0:3], s32 offset:696 ; 4-byte Folded Reload
	buffer_store_dword v1, off, s[0:3], s32 offset:900 ; 4-byte Folded Spill
	s_waitcnt vmcnt(0)
	v_lshlrev_b32_e32 v0, 16, v0
	v_mul_f32_e32 v0, v8, v0
	v_bfe_u32 v1, v0, 16, 1
	v_or_b32_e32 v10, 0x400000, v0
	v_cmp_u_f32_e32 vcc_lo, v0, v0
	v_add3_u32 v1, v1, v0, 0x7fff
	v_cndmask_b32_e32 v0, v1, v10, vcc_lo
	buffer_load_dword v1, off, s[0:3], s32 offset:704 ; 4-byte Folded Reload
	v_and_b32_e32 v0, 0xffff0000, v0
	s_waitcnt vmcnt(0)
	v_lshlrev_b32_e32 v1, 16, v1
	v_mul_f32_e32 v1, v9, v1
	v_bfe_u32 v10, v1, 16, 1
	v_or_b32_e32 v11, 0x400000, v1
	v_cmp_u_f32_e32 vcc_lo, v1, v1
	v_add3_u32 v10, v10, v1, 0x7fff
	v_cndmask_b32_e32 v1, v10, v11, vcc_lo
	buffer_load_dword v10, off, s[0:3], s32 offset:688 ; 4-byte Folded Reload
	v_and_b32_e32 v1, 0xffff0000, v1
	v_add_f32_e32 v0, v1, v0
	s_waitcnt vmcnt(0)
	v_lshlrev_b32_e32 v10, 16, v10
	v_mul_f32_e32 v10, v6, v10
	v_bfe_u32 v11, v10, 16, 1
	v_or_b32_e32 v17, 0x400000, v10
	v_cmp_u_f32_e32 vcc_lo, v10, v10
	v_add3_u32 v11, v11, v10, 0x7fff
	v_cndmask_b32_e32 v10, v11, v17, vcc_lo
	buffer_load_dword v11, off, s[0:3], s32 offset:692 ; 4-byte Folded Reload
	v_and_b32_e32 v10, 0xffff0000, v10
	s_waitcnt vmcnt(0)
	v_lshlrev_b32_e32 v11, 16, v11
	v_mul_f32_e32 v11, v7, v11
	v_bfe_u32 v17, v11, 16, 1
	v_or_b32_e32 v18, 0x400000, v11
	v_cmp_u_f32_e32 vcc_lo, v11, v11
	v_add3_u32 v17, v17, v11, 0x7fff
	v_cndmask_b32_e32 v11, v17, v18, vcc_lo
	buffer_load_dword v17, off, s[0:3], s32 offset:680 ; 4-byte Folded Reload
	v_and_b32_e32 v1, 0xffff0000, v11
	v_add_f32_e32 v1, v1, v10
	v_add_f32_e32 v0, v0, v1
	s_waitcnt vmcnt(0)
	v_lshlrev_b32_e32 v17, 16, v17
	v_mul_f32_e32 v17, v4, v17
	v_bfe_u32 v18, v17, 16, 1
	v_or_b32_e32 v24, 0x400000, v17
	v_cmp_u_f32_e32 vcc_lo, v17, v17
	v_add3_u32 v18, v18, v17, 0x7fff
	v_cndmask_b32_e32 v17, v18, v24, vcc_lo
	buffer_load_dword v18, off, s[0:3], s32 offset:684 ; 4-byte Folded Reload
	v_and_b32_e32 v10, 0xffff0000, v17
	s_waitcnt vmcnt(0)
	v_lshlrev_b32_e32 v18, 16, v18
	v_mul_f32_e32 v18, v5, v18
	v_bfe_u32 v24, v18, 16, 1
	v_or_b32_e32 v25, 0x400000, v18
	v_cmp_u_f32_e32 vcc_lo, v18, v18
	v_add3_u32 v24, v24, v18, 0x7fff
	v_cndmask_b32_e32 v18, v24, v25, vcc_lo
	buffer_load_dword v24, off, s[0:3], s32 offset:708 ; 4-byte Folded Reload
	v_and_b32_e32 v1, 0xffff0000, v18
	v_add_f32_e32 v1, v1, v10
	v_add_f32_e32 v0, v0, v1
	s_waitcnt vmcnt(0)
	v_lshlrev_b32_e32 v24, 16, v24
	v_mul_f32_e32 v24, v2, v24
	v_bfe_u32 v25, v24, 16, 1
	v_or_b32_e32 v26, 0x400000, v24
	v_cmp_u_f32_e32 vcc_lo, v24, v24
	v_add3_u32 v25, v25, v24, 0x7fff
	v_cndmask_b32_e32 v24, v25, v26, vcc_lo
	buffer_load_dword v25, off, s[0:3], s32 offset:700 ; 4-byte Folded Reload
	v_and_b32_e32 v10, 0xffff0000, v24
	s_waitcnt vmcnt(0)
	v_lshlrev_b32_e32 v25, 16, v25
	v_mul_f32_e32 v25, v3, v25
	v_bfe_u32 v26, v25, 16, 1
	v_or_b32_e32 v27, 0x400000, v25
	v_cmp_u_f32_e32 vcc_lo, v25, v25
	v_add3_u32 v26, v26, v25, 0x7fff
	v_cndmask_b32_e32 v25, v26, v27, vcc_lo
	v_and_b32_e32 v1, 0xffff0000, v25
	v_add_f32_e32 v1, v1, v10
	v_add_f32_e32 v0, v0, v1
	buffer_load_dword v1, off, s[0:3], s32 offset:904 ; 4-byte Folded Reload
	s_waitcnt vmcnt(0)
	v_add_f32_e32 v1, v1, v0
	buffer_load_dword v0, off, s[0:3], s32 offset:664 ; 4-byte Folded Reload
	buffer_store_dword v1, off, s[0:3], s32 offset:904 ; 4-byte Folded Spill
	s_waitcnt vmcnt(0)
	v_lshlrev_b32_e32 v0, 16, v0
	v_mul_f32_e32 v0, v8, v0
	v_bfe_u32 v1, v0, 16, 1
	v_or_b32_e32 v10, 0x400000, v0
	v_cmp_u_f32_e32 vcc_lo, v0, v0
	v_add3_u32 v1, v1, v0, 0x7fff
	v_cndmask_b32_e32 v0, v1, v10, vcc_lo
	buffer_load_dword v1, off, s[0:3], s32 offset:672 ; 4-byte Folded Reload
	v_and_b32_e32 v0, 0xffff0000, v0
	s_waitcnt vmcnt(0)
	v_lshlrev_b32_e32 v1, 16, v1
	v_mul_f32_e32 v1, v9, v1
	v_bfe_u32 v10, v1, 16, 1
	v_or_b32_e32 v11, 0x400000, v1
	v_cmp_u_f32_e32 vcc_lo, v1, v1
	v_add3_u32 v10, v10, v1, 0x7fff
	v_cndmask_b32_e32 v1, v10, v11, vcc_lo
	buffer_load_dword v10, off, s[0:3], s32 offset:656 ; 4-byte Folded Reload
	v_and_b32_e32 v1, 0xffff0000, v1
	v_add_f32_e32 v0, v1, v0
	s_waitcnt vmcnt(0)
	v_lshlrev_b32_e32 v10, 16, v10
	v_mul_f32_e32 v10, v6, v10
	v_bfe_u32 v11, v10, 16, 1
	v_or_b32_e32 v17, 0x400000, v10
	v_cmp_u_f32_e32 vcc_lo, v10, v10
	v_add3_u32 v11, v11, v10, 0x7fff
	v_cndmask_b32_e32 v10, v11, v17, vcc_lo
	buffer_load_dword v11, off, s[0:3], s32 offset:660 ; 4-byte Folded Reload
	v_and_b32_e32 v10, 0xffff0000, v10
	s_waitcnt vmcnt(0)
	v_lshlrev_b32_e32 v11, 16, v11
	v_mul_f32_e32 v11, v7, v11
	v_bfe_u32 v17, v11, 16, 1
	v_or_b32_e32 v18, 0x400000, v11
	v_cmp_u_f32_e32 vcc_lo, v11, v11
	v_add3_u32 v17, v17, v11, 0x7fff
	v_cndmask_b32_e32 v11, v17, v18, vcc_lo
	buffer_load_dword v17, off, s[0:3], s32 offset:648 ; 4-byte Folded Reload
	v_and_b32_e32 v1, 0xffff0000, v11
	v_add_f32_e32 v1, v1, v10
	v_add_f32_e32 v0, v0, v1
	s_waitcnt vmcnt(0)
	v_lshlrev_b32_e32 v17, 16, v17
	v_mul_f32_e32 v17, v4, v17
	v_bfe_u32 v18, v17, 16, 1
	v_or_b32_e32 v24, 0x400000, v17
	v_cmp_u_f32_e32 vcc_lo, v17, v17
	v_add3_u32 v18, v18, v17, 0x7fff
	v_cndmask_b32_e32 v17, v18, v24, vcc_lo
	buffer_load_dword v18, off, s[0:3], s32 offset:652 ; 4-byte Folded Reload
	v_and_b32_e32 v10, 0xffff0000, v17
	s_waitcnt vmcnt(0)
	v_lshlrev_b32_e32 v18, 16, v18
	v_mul_f32_e32 v18, v5, v18
	v_bfe_u32 v24, v18, 16, 1
	v_or_b32_e32 v25, 0x400000, v18
	v_cmp_u_f32_e32 vcc_lo, v18, v18
	v_add3_u32 v24, v24, v18, 0x7fff
	v_cndmask_b32_e32 v18, v24, v25, vcc_lo
	buffer_load_dword v24, off, s[0:3], s32 offset:676 ; 4-byte Folded Reload
	v_and_b32_e32 v1, 0xffff0000, v18
	v_add_f32_e32 v1, v1, v10
	v_add_f32_e32 v0, v0, v1
	s_waitcnt vmcnt(0)
	v_lshlrev_b32_e32 v24, 16, v24
	v_mul_f32_e32 v24, v2, v24
	v_bfe_u32 v25, v24, 16, 1
	v_or_b32_e32 v26, 0x400000, v24
	v_cmp_u_f32_e32 vcc_lo, v24, v24
	v_add3_u32 v25, v25, v24, 0x7fff
	v_cndmask_b32_e32 v24, v25, v26, vcc_lo
	buffer_load_dword v25, off, s[0:3], s32 offset:668 ; 4-byte Folded Reload
	v_and_b32_e32 v10, 0xffff0000, v24
	s_waitcnt vmcnt(0)
	v_lshlrev_b32_e32 v25, 16, v25
	v_mul_f32_e32 v25, v3, v25
	v_bfe_u32 v26, v25, 16, 1
	v_or_b32_e32 v27, 0x400000, v25
	v_cmp_u_f32_e32 vcc_lo, v25, v25
	v_add3_u32 v26, v26, v25, 0x7fff
	v_cndmask_b32_e32 v25, v26, v27, vcc_lo
	v_and_b32_e32 v1, 0xffff0000, v25
	v_add_f32_e32 v1, v1, v10
	v_add_f32_e32 v0, v0, v1
	buffer_load_dword v1, off, s[0:3], s32 offset:908 ; 4-byte Folded Reload
	s_waitcnt vmcnt(0)
	v_add_f32_e32 v1, v1, v0
	buffer_load_dword v0, off, s[0:3], s32 offset:632 ; 4-byte Folded Reload
	buffer_store_dword v1, off, s[0:3], s32 offset:908 ; 4-byte Folded Spill
	s_waitcnt vmcnt(0)
	v_lshlrev_b32_e32 v0, 16, v0
	v_mul_f32_e32 v0, v8, v0
	v_bfe_u32 v1, v0, 16, 1
	v_or_b32_e32 v10, 0x400000, v0
	v_cmp_u_f32_e32 vcc_lo, v0, v0
	v_add3_u32 v1, v1, v0, 0x7fff
	v_cndmask_b32_e32 v0, v1, v10, vcc_lo
	buffer_load_dword v1, off, s[0:3], s32 offset:640 ; 4-byte Folded Reload
	v_and_b32_e32 v0, 0xffff0000, v0
	s_waitcnt vmcnt(0)
	v_lshlrev_b32_e32 v1, 16, v1
	v_mul_f32_e32 v1, v9, v1
	v_bfe_u32 v10, v1, 16, 1
	v_or_b32_e32 v11, 0x400000, v1
	v_cmp_u_f32_e32 vcc_lo, v1, v1
	v_add3_u32 v10, v10, v1, 0x7fff
	v_cndmask_b32_e32 v1, v10, v11, vcc_lo
	buffer_load_dword v10, off, s[0:3], s32 offset:624 ; 4-byte Folded Reload
	v_and_b32_e32 v1, 0xffff0000, v1
	v_add_f32_e32 v0, v1, v0
	s_waitcnt vmcnt(0)
	v_lshlrev_b32_e32 v10, 16, v10
	v_mul_f32_e32 v10, v6, v10
	v_bfe_u32 v11, v10, 16, 1
	v_or_b32_e32 v17, 0x400000, v10
	v_cmp_u_f32_e32 vcc_lo, v10, v10
	v_add3_u32 v11, v11, v10, 0x7fff
	v_cndmask_b32_e32 v10, v11, v17, vcc_lo
	buffer_load_dword v11, off, s[0:3], s32 offset:628 ; 4-byte Folded Reload
	v_and_b32_e32 v10, 0xffff0000, v10
	s_waitcnt vmcnt(0)
	v_lshlrev_b32_e32 v11, 16, v11
	v_mul_f32_e32 v11, v7, v11
	v_bfe_u32 v17, v11, 16, 1
	v_or_b32_e32 v18, 0x400000, v11
	v_cmp_u_f32_e32 vcc_lo, v11, v11
	v_add3_u32 v17, v17, v11, 0x7fff
	v_cndmask_b32_e32 v11, v17, v18, vcc_lo
	buffer_load_dword v17, off, s[0:3], s32 offset:616 ; 4-byte Folded Reload
	v_and_b32_e32 v1, 0xffff0000, v11
	v_add_f32_e32 v1, v1, v10
	v_add_f32_e32 v0, v0, v1
	s_waitcnt vmcnt(0)
	v_lshlrev_b32_e32 v17, 16, v17
	v_mul_f32_e32 v17, v4, v17
	v_bfe_u32 v18, v17, 16, 1
	v_or_b32_e32 v24, 0x400000, v17
	v_cmp_u_f32_e32 vcc_lo, v17, v17
	v_add3_u32 v18, v18, v17, 0x7fff
	v_cndmask_b32_e32 v17, v18, v24, vcc_lo
	buffer_load_dword v18, off, s[0:3], s32 offset:620 ; 4-byte Folded Reload
	v_and_b32_e32 v10, 0xffff0000, v17
	s_waitcnt vmcnt(0)
	v_lshlrev_b32_e32 v18, 16, v18
	v_mul_f32_e32 v18, v5, v18
	v_bfe_u32 v24, v18, 16, 1
	v_or_b32_e32 v25, 0x400000, v18
	v_cmp_u_f32_e32 vcc_lo, v18, v18
	v_add3_u32 v24, v24, v18, 0x7fff
	v_cndmask_b32_e32 v18, v24, v25, vcc_lo
	buffer_load_dword v24, off, s[0:3], s32 offset:644 ; 4-byte Folded Reload
	v_and_b32_e32 v1, 0xffff0000, v18
	v_add_f32_e32 v1, v1, v10
	v_add_f32_e32 v0, v0, v1
	s_waitcnt vmcnt(0)
	v_lshlrev_b32_e32 v24, 16, v24
	v_mul_f32_e32 v24, v2, v24
	v_bfe_u32 v25, v24, 16, 1
	v_or_b32_e32 v26, 0x400000, v24
	v_cmp_u_f32_e32 vcc_lo, v24, v24
	v_add3_u32 v25, v25, v24, 0x7fff
	v_cndmask_b32_e32 v24, v25, v26, vcc_lo
	buffer_load_dword v25, off, s[0:3], s32 offset:636 ; 4-byte Folded Reload
	v_and_b32_e32 v10, 0xffff0000, v24
	s_waitcnt vmcnt(0)
	v_lshlrev_b32_e32 v25, 16, v25
	v_mul_f32_e32 v25, v3, v25
	v_bfe_u32 v26, v25, 16, 1
	v_or_b32_e32 v27, 0x400000, v25
	v_cmp_u_f32_e32 vcc_lo, v25, v25
	v_add3_u32 v26, v26, v25, 0x7fff
	v_cndmask_b32_e32 v25, v26, v27, vcc_lo
	v_and_b32_e32 v1, 0xffff0000, v25
	v_add_f32_e32 v1, v1, v10
	v_add_f32_e32 v0, v0, v1
	buffer_load_dword v1, off, s[0:3], s32 offset:912 ; 4-byte Folded Reload
	s_waitcnt vmcnt(0)
	v_add_f32_e32 v1, v1, v0
	buffer_load_dword v0, off, s[0:3], s32 offset:600 ; 4-byte Folded Reload
	buffer_store_dword v1, off, s[0:3], s32 offset:912 ; 4-byte Folded Spill
	s_waitcnt vmcnt(0)
	v_lshlrev_b32_e32 v0, 16, v0
	v_mul_f32_e32 v0, v8, v0
	v_bfe_u32 v1, v0, 16, 1
	v_or_b32_e32 v10, 0x400000, v0
	v_cmp_u_f32_e32 vcc_lo, v0, v0
	v_add3_u32 v1, v1, v0, 0x7fff
	v_cndmask_b32_e32 v0, v1, v10, vcc_lo
	buffer_load_dword v1, off, s[0:3], s32 offset:608 ; 4-byte Folded Reload
	v_and_b32_e32 v0, 0xffff0000, v0
	s_waitcnt vmcnt(0)
	v_lshlrev_b32_e32 v1, 16, v1
	v_mul_f32_e32 v1, v9, v1
	v_bfe_u32 v10, v1, 16, 1
	v_or_b32_e32 v11, 0x400000, v1
	v_cmp_u_f32_e32 vcc_lo, v1, v1
	v_add3_u32 v10, v10, v1, 0x7fff
	v_cndmask_b32_e32 v1, v10, v11, vcc_lo
	buffer_load_dword v10, off, s[0:3], s32 offset:592 ; 4-byte Folded Reload
	v_and_b32_e32 v1, 0xffff0000, v1
	v_add_f32_e32 v0, v1, v0
	s_waitcnt vmcnt(0)
	v_lshlrev_b32_e32 v10, 16, v10
	v_mul_f32_e32 v10, v6, v10
	v_bfe_u32 v11, v10, 16, 1
	v_or_b32_e32 v17, 0x400000, v10
	v_cmp_u_f32_e32 vcc_lo, v10, v10
	v_add3_u32 v11, v11, v10, 0x7fff
	v_cndmask_b32_e32 v10, v11, v17, vcc_lo
	buffer_load_dword v11, off, s[0:3], s32 offset:596 ; 4-byte Folded Reload
	v_and_b32_e32 v10, 0xffff0000, v10
	s_waitcnt vmcnt(0)
	v_lshlrev_b32_e32 v11, 16, v11
	v_mul_f32_e32 v11, v7, v11
	v_bfe_u32 v17, v11, 16, 1
	v_or_b32_e32 v18, 0x400000, v11
	v_cmp_u_f32_e32 vcc_lo, v11, v11
	v_add3_u32 v17, v17, v11, 0x7fff
	v_cndmask_b32_e32 v11, v17, v18, vcc_lo
	buffer_load_dword v17, off, s[0:3], s32 offset:584 ; 4-byte Folded Reload
	v_and_b32_e32 v1, 0xffff0000, v11
	v_add_f32_e32 v1, v1, v10
	v_add_f32_e32 v0, v0, v1
	s_waitcnt vmcnt(0)
	v_lshlrev_b32_e32 v17, 16, v17
	v_mul_f32_e32 v17, v4, v17
	v_bfe_u32 v18, v17, 16, 1
	v_or_b32_e32 v24, 0x400000, v17
	v_cmp_u_f32_e32 vcc_lo, v17, v17
	v_add3_u32 v18, v18, v17, 0x7fff
	v_cndmask_b32_e32 v17, v18, v24, vcc_lo
	buffer_load_dword v18, off, s[0:3], s32 offset:588 ; 4-byte Folded Reload
	v_and_b32_e32 v10, 0xffff0000, v17
	s_waitcnt vmcnt(0)
	v_lshlrev_b32_e32 v18, 16, v18
	v_mul_f32_e32 v18, v5, v18
	v_bfe_u32 v24, v18, 16, 1
	v_or_b32_e32 v25, 0x400000, v18
	v_cmp_u_f32_e32 vcc_lo, v18, v18
	v_add3_u32 v24, v24, v18, 0x7fff
	v_cndmask_b32_e32 v18, v24, v25, vcc_lo
	buffer_load_dword v24, off, s[0:3], s32 offset:612 ; 4-byte Folded Reload
	v_and_b32_e32 v1, 0xffff0000, v18
	v_add_f32_e32 v1, v1, v10
	v_add_f32_e32 v0, v0, v1
	s_waitcnt vmcnt(0)
	v_lshlrev_b32_e32 v24, 16, v24
	v_mul_f32_e32 v24, v2, v24
	v_bfe_u32 v25, v24, 16, 1
	v_or_b32_e32 v26, 0x400000, v24
	v_cmp_u_f32_e32 vcc_lo, v24, v24
	v_add3_u32 v25, v25, v24, 0x7fff
	v_cndmask_b32_e32 v24, v25, v26, vcc_lo
	buffer_load_dword v25, off, s[0:3], s32 offset:604 ; 4-byte Folded Reload
	v_and_b32_e32 v10, 0xffff0000, v24
	s_waitcnt vmcnt(0)
	v_lshlrev_b32_e32 v25, 16, v25
	v_mul_f32_e32 v25, v3, v25
	v_bfe_u32 v26, v25, 16, 1
	v_or_b32_e32 v27, 0x400000, v25
	v_cmp_u_f32_e32 vcc_lo, v25, v25
	v_add3_u32 v26, v26, v25, 0x7fff
	v_cndmask_b32_e32 v25, v26, v27, vcc_lo
	v_and_b32_e32 v1, 0xffff0000, v25
	v_add_f32_e32 v1, v1, v10
	v_add_f32_e32 v0, v0, v1
	buffer_load_dword v1, off, s[0:3], s32 offset:916 ; 4-byte Folded Reload
	s_waitcnt vmcnt(0)
	v_add_f32_e32 v1, v1, v0
	buffer_load_dword v0, off, s[0:3], s32 offset:568 ; 4-byte Folded Reload
	buffer_store_dword v1, off, s[0:3], s32 offset:916 ; 4-byte Folded Spill
	s_waitcnt vmcnt(0)
	v_lshlrev_b32_e32 v0, 16, v0
	v_mul_f32_e32 v0, v8, v0
	v_bfe_u32 v1, v0, 16, 1
	v_or_b32_e32 v10, 0x400000, v0
	v_cmp_u_f32_e32 vcc_lo, v0, v0
	v_add3_u32 v1, v1, v0, 0x7fff
	v_cndmask_b32_e32 v0, v1, v10, vcc_lo
	buffer_load_dword v1, off, s[0:3], s32 offset:576 ; 4-byte Folded Reload
	v_and_b32_e32 v0, 0xffff0000, v0
	s_waitcnt vmcnt(0)
	v_lshlrev_b32_e32 v1, 16, v1
	v_mul_f32_e32 v1, v9, v1
	v_bfe_u32 v10, v1, 16, 1
	v_or_b32_e32 v11, 0x400000, v1
	v_cmp_u_f32_e32 vcc_lo, v1, v1
	v_add3_u32 v10, v10, v1, 0x7fff
	v_cndmask_b32_e32 v1, v10, v11, vcc_lo
	buffer_load_dword v10, off, s[0:3], s32 offset:560 ; 4-byte Folded Reload
	v_and_b32_e32 v1, 0xffff0000, v1
	v_add_f32_e32 v0, v1, v0
	s_waitcnt vmcnt(0)
	v_lshlrev_b32_e32 v10, 16, v10
	v_mul_f32_e32 v10, v6, v10
	v_bfe_u32 v11, v10, 16, 1
	v_or_b32_e32 v17, 0x400000, v10
	v_cmp_u_f32_e32 vcc_lo, v10, v10
	v_add3_u32 v11, v11, v10, 0x7fff
	v_cndmask_b32_e32 v10, v11, v17, vcc_lo
	buffer_load_dword v11, off, s[0:3], s32 offset:564 ; 4-byte Folded Reload
	v_and_b32_e32 v10, 0xffff0000, v10
	s_waitcnt vmcnt(0)
	v_lshlrev_b32_e32 v11, 16, v11
	v_mul_f32_e32 v11, v7, v11
	v_bfe_u32 v17, v11, 16, 1
	v_or_b32_e32 v18, 0x400000, v11
	v_cmp_u_f32_e32 vcc_lo, v11, v11
	v_add3_u32 v17, v17, v11, 0x7fff
	v_cndmask_b32_e32 v11, v17, v18, vcc_lo
	buffer_load_dword v17, off, s[0:3], s32 offset:552 ; 4-byte Folded Reload
	v_and_b32_e32 v1, 0xffff0000, v11
	v_add_f32_e32 v1, v1, v10
	v_add_f32_e32 v0, v0, v1
	s_waitcnt vmcnt(0)
	v_lshlrev_b32_e32 v17, 16, v17
	v_mul_f32_e32 v17, v4, v17
	v_bfe_u32 v18, v17, 16, 1
	v_or_b32_e32 v24, 0x400000, v17
	v_cmp_u_f32_e32 vcc_lo, v17, v17
	v_add3_u32 v18, v18, v17, 0x7fff
	v_cndmask_b32_e32 v17, v18, v24, vcc_lo
	buffer_load_dword v18, off, s[0:3], s32 offset:556 ; 4-byte Folded Reload
	v_and_b32_e32 v10, 0xffff0000, v17
	s_waitcnt vmcnt(0)
	v_lshlrev_b32_e32 v18, 16, v18
	v_mul_f32_e32 v18, v5, v18
	v_bfe_u32 v24, v18, 16, 1
	v_or_b32_e32 v25, 0x400000, v18
	v_cmp_u_f32_e32 vcc_lo, v18, v18
	v_add3_u32 v24, v24, v18, 0x7fff
	v_cndmask_b32_e32 v18, v24, v25, vcc_lo
	buffer_load_dword v24, off, s[0:3], s32 offset:580 ; 4-byte Folded Reload
	v_and_b32_e32 v1, 0xffff0000, v18
	v_add_f32_e32 v1, v1, v10
	v_add_f32_e32 v0, v0, v1
	s_waitcnt vmcnt(0)
	v_lshlrev_b32_e32 v24, 16, v24
	v_mul_f32_e32 v24, v2, v24
	v_bfe_u32 v25, v24, 16, 1
	v_or_b32_e32 v26, 0x400000, v24
	v_cmp_u_f32_e32 vcc_lo, v24, v24
	v_add3_u32 v25, v25, v24, 0x7fff
	v_cndmask_b32_e32 v24, v25, v26, vcc_lo
	buffer_load_dword v25, off, s[0:3], s32 offset:572 ; 4-byte Folded Reload
	v_and_b32_e32 v10, 0xffff0000, v24
	s_waitcnt vmcnt(0)
	v_lshlrev_b32_e32 v25, 16, v25
	v_mul_f32_e32 v25, v3, v25
	v_bfe_u32 v26, v25, 16, 1
	v_or_b32_e32 v27, 0x400000, v25
	v_cmp_u_f32_e32 vcc_lo, v25, v25
	v_add3_u32 v26, v26, v25, 0x7fff
	v_cndmask_b32_e32 v25, v26, v27, vcc_lo
	v_and_b32_e32 v1, 0xffff0000, v25
	v_add_f32_e32 v1, v1, v10
	v_add_f32_e32 v0, v0, v1
	buffer_load_dword v1, off, s[0:3], s32 offset:920 ; 4-byte Folded Reload
	s_waitcnt vmcnt(0)
	v_add_f32_e32 v1, v1, v0
	buffer_load_dword v0, off, s[0:3], s32 offset:536 ; 4-byte Folded Reload
	buffer_store_dword v1, off, s[0:3], s32 offset:920 ; 4-byte Folded Spill
	s_waitcnt vmcnt(0)
	v_lshlrev_b32_e32 v0, 16, v0
	v_mul_f32_e32 v0, v8, v0
	v_bfe_u32 v1, v0, 16, 1
	v_or_b32_e32 v10, 0x400000, v0
	v_cmp_u_f32_e32 vcc_lo, v0, v0
	v_add3_u32 v1, v1, v0, 0x7fff
	v_cndmask_b32_e32 v0, v1, v10, vcc_lo
	buffer_load_dword v1, off, s[0:3], s32 offset:544 ; 4-byte Folded Reload
	v_and_b32_e32 v0, 0xffff0000, v0
	s_waitcnt vmcnt(0)
	v_lshlrev_b32_e32 v1, 16, v1
	v_mul_f32_e32 v1, v9, v1
	v_bfe_u32 v10, v1, 16, 1
	v_or_b32_e32 v11, 0x400000, v1
	v_cmp_u_f32_e32 vcc_lo, v1, v1
	v_add3_u32 v10, v10, v1, 0x7fff
	v_cndmask_b32_e32 v1, v10, v11, vcc_lo
	buffer_load_dword v10, off, s[0:3], s32 offset:528 ; 4-byte Folded Reload
	v_and_b32_e32 v1, 0xffff0000, v1
	v_add_f32_e32 v0, v1, v0
	s_waitcnt vmcnt(0)
	v_lshlrev_b32_e32 v10, 16, v10
	v_mul_f32_e32 v10, v6, v10
	v_bfe_u32 v11, v10, 16, 1
	v_or_b32_e32 v17, 0x400000, v10
	v_cmp_u_f32_e32 vcc_lo, v10, v10
	v_add3_u32 v11, v11, v10, 0x7fff
	v_cndmask_b32_e32 v10, v11, v17, vcc_lo
	buffer_load_dword v11, off, s[0:3], s32 offset:532 ; 4-byte Folded Reload
	v_and_b32_e32 v10, 0xffff0000, v10
	s_waitcnt vmcnt(0)
	v_lshlrev_b32_e32 v11, 16, v11
	v_mul_f32_e32 v11, v7, v11
	v_bfe_u32 v17, v11, 16, 1
	v_or_b32_e32 v18, 0x400000, v11
	v_cmp_u_f32_e32 vcc_lo, v11, v11
	v_add3_u32 v17, v17, v11, 0x7fff
	v_cndmask_b32_e32 v11, v17, v18, vcc_lo
	buffer_load_dword v17, off, s[0:3], s32 offset:520 ; 4-byte Folded Reload
	v_and_b32_e32 v1, 0xffff0000, v11
	v_add_f32_e32 v1, v1, v10
	v_add_f32_e32 v0, v0, v1
	s_waitcnt vmcnt(0)
	v_lshlrev_b32_e32 v17, 16, v17
	v_mul_f32_e32 v17, v4, v17
	v_bfe_u32 v18, v17, 16, 1
	v_or_b32_e32 v24, 0x400000, v17
	v_cmp_u_f32_e32 vcc_lo, v17, v17
	v_add3_u32 v18, v18, v17, 0x7fff
	v_cndmask_b32_e32 v17, v18, v24, vcc_lo
	buffer_load_dword v18, off, s[0:3], s32 offset:524 ; 4-byte Folded Reload
	v_and_b32_e32 v10, 0xffff0000, v17
	s_waitcnt vmcnt(0)
	v_lshlrev_b32_e32 v18, 16, v18
	v_mul_f32_e32 v18, v5, v18
	v_bfe_u32 v24, v18, 16, 1
	v_or_b32_e32 v25, 0x400000, v18
	v_cmp_u_f32_e32 vcc_lo, v18, v18
	v_add3_u32 v24, v24, v18, 0x7fff
	v_cndmask_b32_e32 v18, v24, v25, vcc_lo
	buffer_load_dword v24, off, s[0:3], s32 offset:548 ; 4-byte Folded Reload
	v_and_b32_e32 v1, 0xffff0000, v18
	v_add_f32_e32 v1, v1, v10
	v_add_f32_e32 v0, v0, v1
	s_waitcnt vmcnt(0)
	v_lshlrev_b32_e32 v24, 16, v24
	v_mul_f32_e32 v24, v2, v24
	v_bfe_u32 v25, v24, 16, 1
	v_or_b32_e32 v26, 0x400000, v24
	v_cmp_u_f32_e32 vcc_lo, v24, v24
	v_add3_u32 v25, v25, v24, 0x7fff
	v_cndmask_b32_e32 v24, v25, v26, vcc_lo
	buffer_load_dword v25, off, s[0:3], s32 offset:540 ; 4-byte Folded Reload
	v_and_b32_e32 v10, 0xffff0000, v24
	s_waitcnt vmcnt(0)
	v_lshlrev_b32_e32 v25, 16, v25
	v_mul_f32_e32 v25, v3, v25
	v_bfe_u32 v26, v25, 16, 1
	v_or_b32_e32 v27, 0x400000, v25
	v_cmp_u_f32_e32 vcc_lo, v25, v25
	v_add3_u32 v26, v26, v25, 0x7fff
	v_cndmask_b32_e32 v25, v26, v27, vcc_lo
	v_and_b32_e32 v1, 0xffff0000, v25
	v_add_f32_e32 v1, v1, v10
	v_add_f32_e32 v0, v0, v1
	buffer_load_dword v1, off, s[0:3], s32 offset:924 ; 4-byte Folded Reload
	s_waitcnt vmcnt(0)
	v_add_f32_e32 v1, v1, v0
	buffer_load_dword v0, off, s[0:3], s32 offset:504 ; 4-byte Folded Reload
	buffer_store_dword v1, off, s[0:3], s32 offset:924 ; 4-byte Folded Spill
	s_waitcnt vmcnt(0)
	v_lshlrev_b32_e32 v0, 16, v0
	v_mul_f32_e32 v0, v8, v0
	v_bfe_u32 v1, v0, 16, 1
	v_or_b32_e32 v10, 0x400000, v0
	v_cmp_u_f32_e32 vcc_lo, v0, v0
	v_add3_u32 v1, v1, v0, 0x7fff
	v_cndmask_b32_e32 v0, v1, v10, vcc_lo
	buffer_load_dword v1, off, s[0:3], s32 offset:512 ; 4-byte Folded Reload
	v_and_b32_e32 v0, 0xffff0000, v0
	s_waitcnt vmcnt(0)
	v_lshlrev_b32_e32 v1, 16, v1
	v_mul_f32_e32 v1, v9, v1
	v_bfe_u32 v10, v1, 16, 1
	v_or_b32_e32 v11, 0x400000, v1
	v_cmp_u_f32_e32 vcc_lo, v1, v1
	v_add3_u32 v10, v10, v1, 0x7fff
	v_cndmask_b32_e32 v1, v10, v11, vcc_lo
	buffer_load_dword v10, off, s[0:3], s32 offset:496 ; 4-byte Folded Reload
	v_and_b32_e32 v1, 0xffff0000, v1
	v_add_f32_e32 v0, v1, v0
	s_waitcnt vmcnt(0)
	v_lshlrev_b32_e32 v10, 16, v10
	v_mul_f32_e32 v10, v6, v10
	v_bfe_u32 v11, v10, 16, 1
	v_or_b32_e32 v17, 0x400000, v10
	v_cmp_u_f32_e32 vcc_lo, v10, v10
	v_add3_u32 v11, v11, v10, 0x7fff
	v_cndmask_b32_e32 v10, v11, v17, vcc_lo
	buffer_load_dword v11, off, s[0:3], s32 offset:500 ; 4-byte Folded Reload
	v_and_b32_e32 v10, 0xffff0000, v10
	s_waitcnt vmcnt(0)
	v_lshlrev_b32_e32 v11, 16, v11
	v_mul_f32_e32 v11, v7, v11
	v_bfe_u32 v17, v11, 16, 1
	v_or_b32_e32 v18, 0x400000, v11
	v_cmp_u_f32_e32 vcc_lo, v11, v11
	v_add3_u32 v17, v17, v11, 0x7fff
	v_cndmask_b32_e32 v11, v17, v18, vcc_lo
	buffer_load_dword v17, off, s[0:3], s32 offset:488 ; 4-byte Folded Reload
	v_and_b32_e32 v1, 0xffff0000, v11
	v_add_f32_e32 v1, v1, v10
	v_add_f32_e32 v0, v0, v1
	s_waitcnt vmcnt(0)
	v_lshlrev_b32_e32 v17, 16, v17
	v_mul_f32_e32 v17, v4, v17
	v_bfe_u32 v18, v17, 16, 1
	v_or_b32_e32 v24, 0x400000, v17
	v_cmp_u_f32_e32 vcc_lo, v17, v17
	v_add3_u32 v18, v18, v17, 0x7fff
	v_cndmask_b32_e32 v17, v18, v24, vcc_lo
	buffer_load_dword v18, off, s[0:3], s32 offset:492 ; 4-byte Folded Reload
	v_and_b32_e32 v10, 0xffff0000, v17
	s_waitcnt vmcnt(0)
	v_lshlrev_b32_e32 v18, 16, v18
	v_mul_f32_e32 v18, v5, v18
	v_bfe_u32 v24, v18, 16, 1
	v_or_b32_e32 v25, 0x400000, v18
	v_cmp_u_f32_e32 vcc_lo, v18, v18
	v_add3_u32 v24, v24, v18, 0x7fff
	v_cndmask_b32_e32 v18, v24, v25, vcc_lo
	buffer_load_dword v24, off, s[0:3], s32 offset:516 ; 4-byte Folded Reload
	v_and_b32_e32 v1, 0xffff0000, v18
	v_add_f32_e32 v1, v1, v10
	v_add_f32_e32 v0, v0, v1
	s_waitcnt vmcnt(0)
	v_lshlrev_b32_e32 v24, 16, v24
	v_mul_f32_e32 v24, v2, v24
	v_bfe_u32 v25, v24, 16, 1
	v_or_b32_e32 v26, 0x400000, v24
	v_cmp_u_f32_e32 vcc_lo, v24, v24
	v_add3_u32 v25, v25, v24, 0x7fff
	v_cndmask_b32_e32 v24, v25, v26, vcc_lo
	buffer_load_dword v25, off, s[0:3], s32 offset:508 ; 4-byte Folded Reload
	v_and_b32_e32 v10, 0xffff0000, v24
	s_waitcnt vmcnt(0)
	v_lshlrev_b32_e32 v25, 16, v25
	v_mul_f32_e32 v25, v3, v25
	v_bfe_u32 v26, v25, 16, 1
	v_or_b32_e32 v27, 0x400000, v25
	v_cmp_u_f32_e32 vcc_lo, v25, v25
	v_add3_u32 v26, v26, v25, 0x7fff
	v_cndmask_b32_e32 v25, v26, v27, vcc_lo
	v_and_b32_e32 v1, 0xffff0000, v25
	v_add_f32_e32 v1, v1, v10
	v_add_f32_e32 v0, v0, v1
	buffer_load_dword v1, off, s[0:3], s32 offset:928 ; 4-byte Folded Reload
	s_waitcnt vmcnt(0)
	v_add_f32_e32 v1, v1, v0
	buffer_load_dword v0, off, s[0:3], s32 offset:476 ; 4-byte Folded Reload
	buffer_store_dword v1, off, s[0:3], s32 offset:928 ; 4-byte Folded Spill
	s_waitcnt vmcnt(0)
	v_lshlrev_b32_e32 v0, 16, v0
	v_mul_f32_e32 v0, v8, v0
	v_bfe_u32 v1, v0, 16, 1
	v_or_b32_e32 v10, 0x400000, v0
	v_cmp_u_f32_e32 vcc_lo, v0, v0
	v_add3_u32 v1, v1, v0, 0x7fff
	v_cndmask_b32_e32 v0, v1, v10, vcc_lo
	buffer_load_dword v1, off, s[0:3], s32 offset:480 ; 4-byte Folded Reload
	v_and_b32_e32 v0, 0xffff0000, v0
	s_waitcnt vmcnt(0)
	v_lshlrev_b32_e32 v1, 16, v1
	v_mul_f32_e32 v1, v9, v1
	v_bfe_u32 v10, v1, 16, 1
	v_or_b32_e32 v11, 0x400000, v1
	v_cmp_u_f32_e32 vcc_lo, v1, v1
	v_add3_u32 v10, v10, v1, 0x7fff
	v_cndmask_b32_e32 v1, v10, v11, vcc_lo
	buffer_load_dword v10, off, s[0:3], s32 offset:464 ; 4-byte Folded Reload
	v_and_b32_e32 v1, 0xffff0000, v1
	v_add_f32_e32 v0, v1, v0
	s_waitcnt vmcnt(0)
	v_lshlrev_b32_e32 v10, 16, v10
	v_mul_f32_e32 v10, v6, v10
	v_bfe_u32 v11, v10, 16, 1
	v_or_b32_e32 v17, 0x400000, v10
	v_cmp_u_f32_e32 vcc_lo, v10, v10
	v_add3_u32 v11, v11, v10, 0x7fff
	v_cndmask_b32_e32 v10, v11, v17, vcc_lo
	buffer_load_dword v11, off, s[0:3], s32 offset:468 ; 4-byte Folded Reload
	v_and_b32_e32 v10, 0xffff0000, v10
	s_waitcnt vmcnt(0)
	v_lshlrev_b32_e32 v11, 16, v11
	v_mul_f32_e32 v11, v7, v11
	v_bfe_u32 v17, v11, 16, 1
	v_or_b32_e32 v18, 0x400000, v11
	v_cmp_u_f32_e32 vcc_lo, v11, v11
	v_add3_u32 v17, v17, v11, 0x7fff
	v_cndmask_b32_e32 v11, v17, v18, vcc_lo
	buffer_load_dword v17, off, s[0:3], s32 offset:456 ; 4-byte Folded Reload
	v_and_b32_e32 v1, 0xffff0000, v11
	v_add_f32_e32 v1, v1, v10
	v_add_f32_e32 v0, v0, v1
	s_waitcnt vmcnt(0)
	v_lshlrev_b32_e32 v17, 16, v17
	v_mul_f32_e32 v17, v4, v17
	v_bfe_u32 v18, v17, 16, 1
	v_or_b32_e32 v24, 0x400000, v17
	v_cmp_u_f32_e32 vcc_lo, v17, v17
	v_add3_u32 v18, v18, v17, 0x7fff
	v_cndmask_b32_e32 v17, v18, v24, vcc_lo
	buffer_load_dword v18, off, s[0:3], s32 offset:460 ; 4-byte Folded Reload
	v_and_b32_e32 v10, 0xffff0000, v17
	s_waitcnt vmcnt(0)
	v_lshlrev_b32_e32 v18, 16, v18
	v_mul_f32_e32 v18, v5, v18
	v_bfe_u32 v24, v18, 16, 1
	v_or_b32_e32 v25, 0x400000, v18
	v_cmp_u_f32_e32 vcc_lo, v18, v18
	v_add3_u32 v24, v24, v18, 0x7fff
	v_cndmask_b32_e32 v18, v24, v25, vcc_lo
	buffer_load_dword v24, off, s[0:3], s32 offset:484 ; 4-byte Folded Reload
	v_and_b32_e32 v1, 0xffff0000, v18
	v_add_f32_e32 v1, v1, v10
	v_add_f32_e32 v0, v0, v1
	s_waitcnt vmcnt(0)
	v_lshlrev_b32_e32 v24, 16, v24
	v_mul_f32_e32 v24, v2, v24
	v_bfe_u32 v25, v24, 16, 1
	v_or_b32_e32 v26, 0x400000, v24
	v_cmp_u_f32_e32 vcc_lo, v24, v24
	v_add3_u32 v25, v25, v24, 0x7fff
	v_cndmask_b32_e32 v24, v25, v26, vcc_lo
	buffer_load_dword v25, off, s[0:3], s32 offset:472 ; 4-byte Folded Reload
	v_and_b32_e32 v10, 0xffff0000, v24
	s_waitcnt vmcnt(0)
	v_lshlrev_b32_e32 v25, 16, v25
	v_mul_f32_e32 v25, v3, v25
	v_bfe_u32 v26, v25, 16, 1
	v_or_b32_e32 v27, 0x400000, v25
	v_cmp_u_f32_e32 vcc_lo, v25, v25
	v_add3_u32 v26, v26, v25, 0x7fff
	v_cndmask_b32_e32 v25, v26, v27, vcc_lo
	v_and_b32_e32 v1, 0xffff0000, v25
	v_add_f32_e32 v1, v1, v10
	v_add_f32_e32 v0, v0, v1
	buffer_load_dword v1, off, s[0:3], s32 offset:932 ; 4-byte Folded Reload
	s_waitcnt vmcnt(0)
	v_add_f32_e32 v1, v1, v0
	buffer_load_dword v0, off, s[0:3], s32 offset:452 ; 4-byte Folded Reload
	buffer_store_dword v1, off, s[0:3], s32 offset:932 ; 4-byte Folded Spill
	s_waitcnt vmcnt(0)
	v_lshlrev_b32_e32 v0, 16, v0
	v_mul_f32_e32 v0, v8, v0
	v_bfe_u32 v1, v0, 16, 1
	v_or_b32_e32 v10, 0x400000, v0
	v_cmp_u_f32_e32 vcc_lo, v0, v0
	v_add3_u32 v1, v1, v0, 0x7fff
	v_cndmask_b32_e32 v0, v1, v10, vcc_lo
	buffer_load_dword v1, off, s[0:3], s32 offset:448 ; 4-byte Folded Reload
	v_and_b32_e32 v0, 0xffff0000, v0
	s_waitcnt vmcnt(0)
	v_lshlrev_b32_e32 v1, 16, v1
	v_mul_f32_e32 v1, v9, v1
	v_bfe_u32 v10, v1, 16, 1
	v_or_b32_e32 v11, 0x400000, v1
	v_cmp_u_f32_e32 vcc_lo, v1, v1
	v_add3_u32 v10, v10, v1, 0x7fff
	v_cndmask_b32_e32 v1, v10, v11, vcc_lo
	buffer_load_dword v10, off, s[0:3], s32 offset:432 ; 4-byte Folded Reload
	v_and_b32_e32 v1, 0xffff0000, v1
	v_add_f32_e32 v0, v1, v0
	s_waitcnt vmcnt(0)
	v_lshlrev_b32_e32 v10, 16, v10
	v_mul_f32_e32 v10, v6, v10
	v_bfe_u32 v11, v10, 16, 1
	v_or_b32_e32 v17, 0x400000, v10
	v_cmp_u_f32_e32 vcc_lo, v10, v10
	v_add3_u32 v11, v11, v10, 0x7fff
	v_cndmask_b32_e32 v10, v11, v17, vcc_lo
	buffer_load_dword v11, off, s[0:3], s32 offset:436 ; 4-byte Folded Reload
	v_and_b32_e32 v10, 0xffff0000, v10
	s_waitcnt vmcnt(0)
	v_lshlrev_b32_e32 v11, 16, v11
	v_mul_f32_e32 v11, v7, v11
	v_bfe_u32 v17, v11, 16, 1
	v_or_b32_e32 v18, 0x400000, v11
	v_cmp_u_f32_e32 vcc_lo, v11, v11
	v_add3_u32 v17, v17, v11, 0x7fff
	v_cndmask_b32_e32 v11, v17, v18, vcc_lo
	buffer_load_dword v17, off, s[0:3], s32 offset:428 ; 4-byte Folded Reload
	v_and_b32_e32 v1, 0xffff0000, v11
	v_add_f32_e32 v1, v1, v10
	v_add_f32_e32 v0, v0, v1
	s_waitcnt vmcnt(0)
	v_lshlrev_b32_e32 v17, 16, v17
	v_mul_f32_e32 v17, v4, v17
	v_bfe_u32 v18, v17, 16, 1
	v_or_b32_e32 v24, 0x400000, v17
	v_cmp_u_f32_e32 vcc_lo, v17, v17
	v_add3_u32 v18, v18, v17, 0x7fff
	v_cndmask_b32_e32 v17, v18, v24, vcc_lo
	buffer_load_dword v18, off, s[0:3], s32 offset:424 ; 4-byte Folded Reload
	v_and_b32_e32 v10, 0xffff0000, v17
	s_waitcnt vmcnt(0)
	v_lshlrev_b32_e32 v18, 16, v18
	v_mul_f32_e32 v18, v5, v18
	v_bfe_u32 v24, v18, 16, 1
	v_or_b32_e32 v25, 0x400000, v18
	v_cmp_u_f32_e32 vcc_lo, v18, v18
	v_add3_u32 v24, v24, v18, 0x7fff
	v_cndmask_b32_e32 v18, v24, v25, vcc_lo
	buffer_load_dword v24, off, s[0:3], s32 offset:444 ; 4-byte Folded Reload
	v_and_b32_e32 v1, 0xffff0000, v18
	v_add_f32_e32 v1, v1, v10
	v_add_f32_e32 v0, v0, v1
	s_waitcnt vmcnt(0)
	v_lshlrev_b32_e32 v24, 16, v24
	v_mul_f32_e32 v24, v2, v24
	v_bfe_u32 v25, v24, 16, 1
	v_or_b32_e32 v26, 0x400000, v24
	v_cmp_u_f32_e32 vcc_lo, v24, v24
	v_add3_u32 v25, v25, v24, 0x7fff
	v_cndmask_b32_e32 v24, v25, v26, vcc_lo
	buffer_load_dword v25, off, s[0:3], s32 offset:440 ; 4-byte Folded Reload
	v_and_b32_e32 v10, 0xffff0000, v24
	s_waitcnt vmcnt(0)
	v_lshlrev_b32_e32 v25, 16, v25
	v_mul_f32_e32 v25, v3, v25
	v_bfe_u32 v26, v25, 16, 1
	v_or_b32_e32 v27, 0x400000, v25
	v_cmp_u_f32_e32 vcc_lo, v25, v25
	v_add3_u32 v26, v26, v25, 0x7fff
	v_cndmask_b32_e32 v25, v26, v27, vcc_lo
	v_and_b32_e32 v1, 0xffff0000, v25
	v_add_f32_e32 v1, v1, v10
	v_add_f32_e32 v0, v0, v1
	buffer_load_dword v1, off, s[0:3], s32 offset:936 ; 4-byte Folded Reload
	s_waitcnt vmcnt(0)
	v_add_f32_e32 v1, v1, v0
	buffer_load_dword v0, off, s[0:3], s32 offset:420 ; 4-byte Folded Reload
	buffer_store_dword v1, off, s[0:3], s32 offset:936 ; 4-byte Folded Spill
	s_waitcnt vmcnt(0)
	v_lshlrev_b32_e32 v0, 16, v0
	v_mul_f32_e32 v0, v8, v0
	v_bfe_u32 v1, v0, 16, 1
	v_or_b32_e32 v10, 0x400000, v0
	v_cmp_u_f32_e32 vcc_lo, v0, v0
	v_add3_u32 v1, v1, v0, 0x7fff
	v_cndmask_b32_e32 v0, v1, v10, vcc_lo
	buffer_load_dword v1, off, s[0:3], s32 offset:416 ; 4-byte Folded Reload
	v_and_b32_e32 v0, 0xffff0000, v0
	s_waitcnt vmcnt(0)
	v_lshlrev_b32_e32 v1, 16, v1
	v_mul_f32_e32 v1, v9, v1
	v_bfe_u32 v10, v1, 16, 1
	v_or_b32_e32 v11, 0x400000, v1
	v_cmp_u_f32_e32 vcc_lo, v1, v1
	v_add3_u32 v10, v10, v1, 0x7fff
	v_cndmask_b32_e32 v1, v10, v11, vcc_lo
	buffer_load_dword v10, off, s[0:3], s32 offset:404 ; 4-byte Folded Reload
	v_and_b32_e32 v1, 0xffff0000, v1
	v_add_f32_e32 v0, v1, v0
	s_waitcnt vmcnt(0)
	v_lshlrev_b32_e32 v10, 16, v10
	v_mul_f32_e32 v10, v6, v10
	v_bfe_u32 v11, v10, 16, 1
	v_or_b32_e32 v17, 0x400000, v10
	v_cmp_u_f32_e32 vcc_lo, v10, v10
	v_add3_u32 v11, v11, v10, 0x7fff
	v_cndmask_b32_e32 v10, v11, v17, vcc_lo
	buffer_load_dword v11, off, s[0:3], s32 offset:408 ; 4-byte Folded Reload
	v_and_b32_e32 v10, 0xffff0000, v10
	s_waitcnt vmcnt(0)
	v_lshlrev_b32_e32 v11, 16, v11
	v_mul_f32_e32 v11, v7, v11
	v_bfe_u32 v17, v11, 16, 1
	v_or_b32_e32 v18, 0x400000, v11
	v_cmp_u_f32_e32 vcc_lo, v11, v11
	v_add3_u32 v17, v17, v11, 0x7fff
	v_cndmask_b32_e32 v11, v17, v18, vcc_lo
	buffer_load_dword v17, off, s[0:3], s32 offset:396 ; 4-byte Folded Reload
	v_and_b32_e32 v1, 0xffff0000, v11
	v_add_f32_e32 v1, v1, v10
	v_add_f32_e32 v0, v0, v1
	s_waitcnt vmcnt(0)
	v_lshlrev_b32_e32 v17, 16, v17
	v_mul_f32_e32 v17, v4, v17
	v_bfe_u32 v18, v17, 16, 1
	v_or_b32_e32 v24, 0x400000, v17
	v_cmp_u_f32_e32 vcc_lo, v17, v17
	v_add3_u32 v18, v18, v17, 0x7fff
	v_cndmask_b32_e32 v17, v18, v24, vcc_lo
	buffer_load_dword v18, off, s[0:3], s32 offset:392 ; 4-byte Folded Reload
	v_and_b32_e32 v10, 0xffff0000, v17
	s_waitcnt vmcnt(0)
	v_lshlrev_b32_e32 v18, 16, v18
	v_mul_f32_e32 v18, v5, v18
	v_bfe_u32 v24, v18, 16, 1
	v_or_b32_e32 v25, 0x400000, v18
	v_cmp_u_f32_e32 vcc_lo, v18, v18
	v_add3_u32 v24, v24, v18, 0x7fff
	v_cndmask_b32_e32 v18, v24, v25, vcc_lo
	buffer_load_dword v24, off, s[0:3], s32 offset:412 ; 4-byte Folded Reload
	v_and_b32_e32 v1, 0xffff0000, v18
	v_add_f32_e32 v1, v1, v10
	v_add_f32_e32 v0, v0, v1
	s_waitcnt vmcnt(0)
	v_lshlrev_b32_e32 v24, 16, v24
	v_mul_f32_e32 v24, v2, v24
	v_bfe_u32 v25, v24, 16, 1
	v_or_b32_e32 v26, 0x400000, v24
	v_cmp_u_f32_e32 vcc_lo, v24, v24
	v_add3_u32 v25, v25, v24, 0x7fff
	v_cndmask_b32_e32 v24, v25, v26, vcc_lo
	buffer_load_dword v25, off, s[0:3], s32 offset:400 ; 4-byte Folded Reload
	v_and_b32_e32 v10, 0xffff0000, v24
	s_waitcnt vmcnt(0)
	v_lshlrev_b32_e32 v25, 16, v25
	v_mul_f32_e32 v25, v3, v25
	v_bfe_u32 v26, v25, 16, 1
	v_or_b32_e32 v27, 0x400000, v25
	v_cmp_u_f32_e32 vcc_lo, v25, v25
	v_add3_u32 v26, v26, v25, 0x7fff
	v_cndmask_b32_e32 v25, v26, v27, vcc_lo
	v_and_b32_e32 v1, 0xffff0000, v25
	v_add_f32_e32 v1, v1, v10
	v_add_f32_e32 v0, v0, v1
	buffer_load_dword v1, off, s[0:3], s32 offset:940 ; 4-byte Folded Reload
	s_waitcnt vmcnt(0)
	v_add_f32_e32 v1, v1, v0
	buffer_load_dword v0, off, s[0:3], s32 offset:388 ; 4-byte Folded Reload
	buffer_store_dword v1, off, s[0:3], s32 offset:940 ; 4-byte Folded Spill
	s_waitcnt vmcnt(0)
	v_lshlrev_b32_e32 v0, 16, v0
	v_mul_f32_e32 v0, v8, v0
	v_bfe_u32 v1, v0, 16, 1
	v_or_b32_e32 v10, 0x400000, v0
	v_cmp_u_f32_e32 vcc_lo, v0, v0
	v_add3_u32 v1, v1, v0, 0x7fff
	v_cndmask_b32_e32 v0, v1, v10, vcc_lo
	buffer_load_dword v1, off, s[0:3], s32 offset:384 ; 4-byte Folded Reload
	v_and_b32_e32 v0, 0xffff0000, v0
	s_waitcnt vmcnt(0)
	v_lshlrev_b32_e32 v1, 16, v1
	v_mul_f32_e32 v1, v9, v1
	v_bfe_u32 v10, v1, 16, 1
	v_or_b32_e32 v11, 0x400000, v1
	v_cmp_u_f32_e32 vcc_lo, v1, v1
	v_add3_u32 v10, v10, v1, 0x7fff
	v_cndmask_b32_e32 v1, v10, v11, vcc_lo
	buffer_load_dword v10, off, s[0:3], s32 offset:372 ; 4-byte Folded Reload
	v_and_b32_e32 v1, 0xffff0000, v1
	v_add_f32_e32 v0, v1, v0
	s_waitcnt vmcnt(0)
	v_lshlrev_b32_e32 v10, 16, v10
	v_mul_f32_e32 v10, v6, v10
	v_bfe_u32 v11, v10, 16, 1
	v_or_b32_e32 v17, 0x400000, v10
	v_cmp_u_f32_e32 vcc_lo, v10, v10
	v_add3_u32 v11, v11, v10, 0x7fff
	v_cndmask_b32_e32 v10, v11, v17, vcc_lo
	buffer_load_dword v11, off, s[0:3], s32 offset:376 ; 4-byte Folded Reload
	v_and_b32_e32 v10, 0xffff0000, v10
	s_waitcnt vmcnt(0)
	v_lshlrev_b32_e32 v11, 16, v11
	v_mul_f32_e32 v11, v7, v11
	v_bfe_u32 v17, v11, 16, 1
	v_or_b32_e32 v18, 0x400000, v11
	v_cmp_u_f32_e32 vcc_lo, v11, v11
	v_add3_u32 v17, v17, v11, 0x7fff
	v_cndmask_b32_e32 v11, v17, v18, vcc_lo
	buffer_load_dword v17, off, s[0:3], s32 offset:364 ; 4-byte Folded Reload
	v_and_b32_e32 v1, 0xffff0000, v11
	v_add_f32_e32 v1, v1, v10
	v_add_f32_e32 v0, v0, v1
	s_waitcnt vmcnt(0)
	v_lshlrev_b32_e32 v17, 16, v17
	v_mul_f32_e32 v17, v4, v17
	v_bfe_u32 v18, v17, 16, 1
	v_or_b32_e32 v24, 0x400000, v17
	v_cmp_u_f32_e32 vcc_lo, v17, v17
	v_add3_u32 v18, v18, v17, 0x7fff
	v_cndmask_b32_e32 v17, v18, v24, vcc_lo
	buffer_load_dword v18, off, s[0:3], s32 offset:360 ; 4-byte Folded Reload
	v_and_b32_e32 v10, 0xffff0000, v17
	s_waitcnt vmcnt(0)
	v_lshlrev_b32_e32 v18, 16, v18
	v_mul_f32_e32 v18, v5, v18
	v_bfe_u32 v24, v18, 16, 1
	v_or_b32_e32 v25, 0x400000, v18
	v_cmp_u_f32_e32 vcc_lo, v18, v18
	v_add3_u32 v24, v24, v18, 0x7fff
	v_cndmask_b32_e32 v18, v24, v25, vcc_lo
	buffer_load_dword v24, off, s[0:3], s32 offset:380 ; 4-byte Folded Reload
	v_and_b32_e32 v1, 0xffff0000, v18
	v_add_f32_e32 v1, v1, v10
	v_add_f32_e32 v0, v0, v1
	s_waitcnt vmcnt(0)
	v_lshlrev_b32_e32 v24, 16, v24
	v_mul_f32_e32 v24, v2, v24
	v_bfe_u32 v25, v24, 16, 1
	v_or_b32_e32 v26, 0x400000, v24
	v_cmp_u_f32_e32 vcc_lo, v24, v24
	v_add3_u32 v25, v25, v24, 0x7fff
	v_cndmask_b32_e32 v24, v25, v26, vcc_lo
	buffer_load_dword v25, off, s[0:3], s32 offset:368 ; 4-byte Folded Reload
	v_and_b32_e32 v10, 0xffff0000, v24
	s_waitcnt vmcnt(0)
	v_lshlrev_b32_e32 v25, 16, v25
	v_mul_f32_e32 v25, v3, v25
	v_bfe_u32 v26, v25, 16, 1
	v_or_b32_e32 v27, 0x400000, v25
	v_cmp_u_f32_e32 vcc_lo, v25, v25
	v_add3_u32 v26, v26, v25, 0x7fff
	v_cndmask_b32_e32 v25, v26, v27, vcc_lo
	v_and_b32_e32 v1, 0xffff0000, v25
	v_add_f32_e32 v1, v1, v10
	v_add_f32_e32 v0, v0, v1
	buffer_load_dword v1, off, s[0:3], s32 offset:944 ; 4-byte Folded Reload
	s_waitcnt vmcnt(0)
	v_add_f32_e32 v1, v1, v0
	buffer_load_dword v0, off, s[0:3], s32 offset:356 ; 4-byte Folded Reload
	buffer_store_dword v1, off, s[0:3], s32 offset:944 ; 4-byte Folded Spill
	s_waitcnt vmcnt(0)
	v_lshlrev_b32_e32 v0, 16, v0
	v_mul_f32_e32 v0, v8, v0
	v_bfe_u32 v1, v0, 16, 1
	v_or_b32_e32 v10, 0x400000, v0
	v_cmp_u_f32_e32 vcc_lo, v0, v0
	v_add3_u32 v1, v1, v0, 0x7fff
	v_cndmask_b32_e32 v0, v1, v10, vcc_lo
	buffer_load_dword v1, off, s[0:3], s32 offset:352 ; 4-byte Folded Reload
	v_and_b32_e32 v0, 0xffff0000, v0
	s_waitcnt vmcnt(0)
	v_lshlrev_b32_e32 v1, 16, v1
	v_mul_f32_e32 v1, v9, v1
	v_bfe_u32 v10, v1, 16, 1
	v_or_b32_e32 v11, 0x400000, v1
	v_cmp_u_f32_e32 vcc_lo, v1, v1
	v_add3_u32 v10, v10, v1, 0x7fff
	v_cndmask_b32_e32 v1, v10, v11, vcc_lo
	buffer_load_dword v10, off, s[0:3], s32 offset:348 ; 4-byte Folded Reload
	v_and_b32_e32 v1, 0xffff0000, v1
	v_add_f32_e32 v0, v1, v0
	s_waitcnt vmcnt(0)
	v_lshlrev_b32_e32 v10, 16, v10
	v_mul_f32_e32 v10, v6, v10
	v_bfe_u32 v11, v10, 16, 1
	v_or_b32_e32 v17, 0x400000, v10
	v_cmp_u_f32_e32 vcc_lo, v10, v10
	v_add3_u32 v11, v11, v10, 0x7fff
	v_cndmask_b32_e32 v10, v11, v17, vcc_lo
	buffer_load_dword v11, off, s[0:3], s32 offset:344 ; 4-byte Folded Reload
	v_and_b32_e32 v10, 0xffff0000, v10
	s_waitcnt vmcnt(0)
	v_lshlrev_b32_e32 v11, 16, v11
	v_mul_f32_e32 v11, v7, v11
	v_bfe_u32 v17, v11, 16, 1
	v_or_b32_e32 v18, 0x400000, v11
	v_cmp_u_f32_e32 vcc_lo, v11, v11
	v_add3_u32 v17, v17, v11, 0x7fff
	v_cndmask_b32_e32 v11, v17, v18, vcc_lo
	buffer_load_dword v17, off, s[0:3], s32 offset:340 ; 4-byte Folded Reload
	v_and_b32_e32 v1, 0xffff0000, v11
	v_add_f32_e32 v1, v1, v10
	v_add_f32_e32 v0, v0, v1
	s_waitcnt vmcnt(0)
	v_lshlrev_b32_e32 v17, 16, v17
	v_mul_f32_e32 v17, v4, v17
	v_bfe_u32 v18, v17, 16, 1
	v_or_b32_e32 v24, 0x400000, v17
	v_cmp_u_f32_e32 vcc_lo, v17, v17
	v_add3_u32 v18, v18, v17, 0x7fff
	v_cndmask_b32_e32 v17, v18, v24, vcc_lo
	buffer_load_dword v18, off, s[0:3], s32 offset:332 ; 4-byte Folded Reload
	v_and_b32_e32 v10, 0xffff0000, v17
	s_waitcnt vmcnt(0)
	v_lshlrev_b32_e32 v18, 16, v18
	v_mul_f32_e32 v18, v5, v18
	v_bfe_u32 v24, v18, 16, 1
	v_or_b32_e32 v25, 0x400000, v18
	v_cmp_u_f32_e32 vcc_lo, v18, v18
	v_add3_u32 v24, v24, v18, 0x7fff
	v_cndmask_b32_e32 v18, v24, v25, vcc_lo
	buffer_load_dword v24, off, s[0:3], s32 offset:336 ; 4-byte Folded Reload
	v_and_b32_e32 v1, 0xffff0000, v18
	v_add_f32_e32 v1, v1, v10
	v_add_f32_e32 v0, v0, v1
	s_waitcnt vmcnt(0)
	v_lshlrev_b32_e32 v24, 16, v24
	v_mul_f32_e32 v24, v2, v24
	v_bfe_u32 v25, v24, 16, 1
	v_or_b32_e32 v26, 0x400000, v24
	v_cmp_u_f32_e32 vcc_lo, v24, v24
	v_add3_u32 v25, v25, v24, 0x7fff
	v_cndmask_b32_e32 v24, v25, v26, vcc_lo
	buffer_load_dword v25, off, s[0:3], s32 offset:328 ; 4-byte Folded Reload
	v_and_b32_e32 v10, 0xffff0000, v24
	s_waitcnt vmcnt(0)
	v_lshlrev_b32_e32 v25, 16, v25
	v_mul_f32_e32 v25, v3, v25
	v_bfe_u32 v26, v25, 16, 1
	v_or_b32_e32 v27, 0x400000, v25
	v_cmp_u_f32_e32 vcc_lo, v25, v25
	v_add3_u32 v26, v26, v25, 0x7fff
	v_cndmask_b32_e32 v25, v26, v27, vcc_lo
	v_and_b32_e32 v1, 0xffff0000, v25
	v_add_f32_e32 v1, v1, v10
	v_add_f32_e32 v0, v0, v1
	buffer_load_dword v1, off, s[0:3], s32 offset:948 ; 4-byte Folded Reload
	s_waitcnt vmcnt(0)
	v_add_f32_e32 v1, v1, v0
	buffer_load_dword v0, off, s[0:3], s32 offset:324 ; 4-byte Folded Reload
	buffer_store_dword v1, off, s[0:3], s32 offset:948 ; 4-byte Folded Spill
	s_waitcnt vmcnt(0)
	v_lshlrev_b32_e32 v0, 16, v0
	v_mul_f32_e32 v0, v8, v0
	v_bfe_u32 v1, v0, 16, 1
	v_or_b32_e32 v10, 0x400000, v0
	v_cmp_u_f32_e32 vcc_lo, v0, v0
	v_add3_u32 v1, v1, v0, 0x7fff
	v_cndmask_b32_e32 v0, v1, v10, vcc_lo
	buffer_load_dword v1, off, s[0:3], s32 offset:320 ; 4-byte Folded Reload
	v_and_b32_e32 v0, 0xffff0000, v0
	s_waitcnt vmcnt(0)
	v_lshlrev_b32_e32 v1, 16, v1
	v_mul_f32_e32 v1, v9, v1
	v_bfe_u32 v10, v1, 16, 1
	v_or_b32_e32 v11, 0x400000, v1
	v_cmp_u_f32_e32 vcc_lo, v1, v1
	v_add3_u32 v10, v10, v1, 0x7fff
	v_cndmask_b32_e32 v1, v10, v11, vcc_lo
	buffer_load_dword v10, off, s[0:3], s32 offset:312 ; 4-byte Folded Reload
	v_and_b32_e32 v1, 0xffff0000, v1
	v_add_f32_e32 v0, v1, v0
	s_waitcnt vmcnt(0)
	v_lshlrev_b32_e32 v10, 16, v10
	v_mul_f32_e32 v10, v6, v10
	v_bfe_u32 v11, v10, 16, 1
	v_or_b32_e32 v17, 0x400000, v10
	v_cmp_u_f32_e32 vcc_lo, v10, v10
	v_add3_u32 v11, v11, v10, 0x7fff
	v_cndmask_b32_e32 v10, v11, v17, vcc_lo
	buffer_load_dword v11, off, s[0:3], s32 offset:316 ; 4-byte Folded Reload
	v_and_b32_e32 v10, 0xffff0000, v10
	s_waitcnt vmcnt(0)
	v_lshlrev_b32_e32 v11, 16, v11
	v_mul_f32_e32 v11, v7, v11
	v_bfe_u32 v17, v11, 16, 1
	v_or_b32_e32 v18, 0x400000, v11
	v_cmp_u_f32_e32 vcc_lo, v11, v11
	v_add3_u32 v17, v17, v11, 0x7fff
	v_cndmask_b32_e32 v11, v17, v18, vcc_lo
	buffer_load_dword v17, off, s[0:3], s32 offset:308 ; 4-byte Folded Reload
	v_and_b32_e32 v1, 0xffff0000, v11
	v_add_f32_e32 v1, v1, v10
	v_add_f32_e32 v0, v0, v1
	s_waitcnt vmcnt(0)
	v_lshlrev_b32_e32 v17, 16, v17
	v_mul_f32_e32 v17, v4, v17
	v_bfe_u32 v18, v17, 16, 1
	v_or_b32_e32 v24, 0x400000, v17
	v_cmp_u_f32_e32 vcc_lo, v17, v17
	v_add3_u32 v18, v18, v17, 0x7fff
	v_cndmask_b32_e32 v17, v18, v24, vcc_lo
	buffer_load_dword v18, off, s[0:3], s32 offset:300 ; 4-byte Folded Reload
	v_and_b32_e32 v10, 0xffff0000, v17
	s_waitcnt vmcnt(0)
	v_lshlrev_b32_e32 v18, 16, v18
	v_mul_f32_e32 v18, v5, v18
	v_bfe_u32 v24, v18, 16, 1
	v_or_b32_e32 v25, 0x400000, v18
	v_cmp_u_f32_e32 vcc_lo, v18, v18
	v_add3_u32 v24, v24, v18, 0x7fff
	v_cndmask_b32_e32 v18, v24, v25, vcc_lo
	buffer_load_dword v24, off, s[0:3], s32 offset:304 ; 4-byte Folded Reload
	v_and_b32_e32 v1, 0xffff0000, v18
	v_add_f32_e32 v1, v1, v10
	v_add_f32_e32 v0, v0, v1
	s_waitcnt vmcnt(0)
	v_lshlrev_b32_e32 v24, 16, v24
	v_mul_f32_e32 v24, v2, v24
	v_bfe_u32 v25, v24, 16, 1
	v_or_b32_e32 v26, 0x400000, v24
	v_cmp_u_f32_e32 vcc_lo, v24, v24
	v_add3_u32 v25, v25, v24, 0x7fff
	v_cndmask_b32_e32 v24, v25, v26, vcc_lo
	buffer_load_dword v25, off, s[0:3], s32 offset:296 ; 4-byte Folded Reload
	v_and_b32_e32 v10, 0xffff0000, v24
	s_waitcnt vmcnt(0)
	v_lshlrev_b32_e32 v25, 16, v25
	v_mul_f32_e32 v25, v3, v25
	v_bfe_u32 v26, v25, 16, 1
	v_or_b32_e32 v27, 0x400000, v25
	v_cmp_u_f32_e32 vcc_lo, v25, v25
	v_add3_u32 v26, v26, v25, 0x7fff
	v_cndmask_b32_e32 v25, v26, v27, vcc_lo
	v_and_b32_e32 v1, 0xffff0000, v25
	v_add_f32_e32 v1, v1, v10
	v_add_f32_e32 v0, v0, v1
	buffer_load_dword v1, off, s[0:3], s32 offset:952 ; 4-byte Folded Reload
	s_waitcnt vmcnt(0)
	v_add_f32_e32 v1, v1, v0
	buffer_load_dword v0, off, s[0:3], s32 offset:292 ; 4-byte Folded Reload
	buffer_store_dword v1, off, s[0:3], s32 offset:952 ; 4-byte Folded Spill
	s_waitcnt vmcnt(0)
	v_lshlrev_b32_e32 v0, 16, v0
	v_mul_f32_e32 v0, v8, v0
	v_bfe_u32 v1, v0, 16, 1
	v_or_b32_e32 v10, 0x400000, v0
	v_cmp_u_f32_e32 vcc_lo, v0, v0
	v_add3_u32 v1, v1, v0, 0x7fff
	v_cndmask_b32_e32 v0, v1, v10, vcc_lo
	buffer_load_dword v1, off, s[0:3], s32 offset:288 ; 4-byte Folded Reload
	v_and_b32_e32 v0, 0xffff0000, v0
	s_waitcnt vmcnt(0)
	v_lshlrev_b32_e32 v1, 16, v1
	v_mul_f32_e32 v1, v9, v1
	v_bfe_u32 v10, v1, 16, 1
	v_or_b32_e32 v11, 0x400000, v1
	v_cmp_u_f32_e32 vcc_lo, v1, v1
	v_add3_u32 v10, v10, v1, 0x7fff
	v_cndmask_b32_e32 v1, v10, v11, vcc_lo
	buffer_load_dword v10, off, s[0:3], s32 offset:284 ; 4-byte Folded Reload
	v_and_b32_e32 v1, 0xffff0000, v1
	v_add_f32_e32 v0, v1, v0
	s_waitcnt vmcnt(0)
	v_lshlrev_b32_e32 v10, 16, v10
	v_mul_f32_e32 v10, v6, v10
	v_bfe_u32 v11, v10, 16, 1
	v_or_b32_e32 v17, 0x400000, v10
	v_cmp_u_f32_e32 vcc_lo, v10, v10
	v_add3_u32 v11, v11, v10, 0x7fff
	v_cndmask_b32_e32 v10, v11, v17, vcc_lo
	buffer_load_dword v11, off, s[0:3], s32 offset:280 ; 4-byte Folded Reload
	v_and_b32_e32 v10, 0xffff0000, v10
	s_waitcnt vmcnt(0)
	v_lshlrev_b32_e32 v11, 16, v11
	v_mul_f32_e32 v11, v7, v11
	v_bfe_u32 v17, v11, 16, 1
	v_or_b32_e32 v18, 0x400000, v11
	v_cmp_u_f32_e32 vcc_lo, v11, v11
	v_add3_u32 v17, v17, v11, 0x7fff
	v_cndmask_b32_e32 v11, v17, v18, vcc_lo
	buffer_load_dword v17, off, s[0:3], s32 offset:276 ; 4-byte Folded Reload
	v_and_b32_e32 v1, 0xffff0000, v11
	v_add_f32_e32 v1, v1, v10
	v_add_f32_e32 v0, v0, v1
	s_waitcnt vmcnt(0)
	v_lshlrev_b32_e32 v17, 16, v17
	v_mul_f32_e32 v17, v4, v17
	v_bfe_u32 v18, v17, 16, 1
	v_or_b32_e32 v24, 0x400000, v17
	v_cmp_u_f32_e32 vcc_lo, v17, v17
	v_add3_u32 v18, v18, v17, 0x7fff
	v_cndmask_b32_e32 v17, v18, v24, vcc_lo
	buffer_load_dword v18, off, s[0:3], s32 offset:272 ; 4-byte Folded Reload
	v_and_b32_e32 v10, 0xffff0000, v17
	s_waitcnt vmcnt(0)
	v_lshlrev_b32_e32 v18, 16, v18
	v_mul_f32_e32 v18, v5, v18
	v_bfe_u32 v24, v18, 16, 1
	v_or_b32_e32 v25, 0x400000, v18
	v_cmp_u_f32_e32 vcc_lo, v18, v18
	v_add3_u32 v24, v24, v18, 0x7fff
	v_cndmask_b32_e32 v18, v24, v25, vcc_lo
	buffer_load_dword v24, off, s[0:3], s32 offset:268 ; 4-byte Folded Reload
	v_and_b32_e32 v1, 0xffff0000, v18
	v_add_f32_e32 v1, v1, v10
	v_add_f32_e32 v0, v0, v1
	s_waitcnt vmcnt(0)
	v_lshlrev_b32_e32 v24, 16, v24
	v_mul_f32_e32 v24, v2, v24
	v_bfe_u32 v25, v24, 16, 1
	v_or_b32_e32 v26, 0x400000, v24
	v_cmp_u_f32_e32 vcc_lo, v24, v24
	v_add3_u32 v25, v25, v24, 0x7fff
	v_cndmask_b32_e32 v24, v25, v26, vcc_lo
	buffer_load_dword v25, off, s[0:3], s32 offset:264 ; 4-byte Folded Reload
	v_and_b32_e32 v10, 0xffff0000, v24
	s_waitcnt vmcnt(0)
	v_lshlrev_b32_e32 v25, 16, v25
	v_mul_f32_e32 v25, v3, v25
	v_bfe_u32 v26, v25, 16, 1
	v_or_b32_e32 v27, 0x400000, v25
	v_cmp_u_f32_e32 vcc_lo, v25, v25
	v_add3_u32 v26, v26, v25, 0x7fff
	v_cndmask_b32_e32 v25, v26, v27, vcc_lo
	v_and_b32_e32 v1, 0xffff0000, v25
	v_add_f32_e32 v1, v1, v10
	v_add_f32_e32 v0, v0, v1
	buffer_load_dword v1, off, s[0:3], s32 offset:960 ; 4-byte Folded Reload
	s_waitcnt vmcnt(0)
	v_add_f32_e32 v1, v1, v0
	buffer_load_dword v0, off, s[0:3], s32 offset:260 ; 4-byte Folded Reload
	buffer_store_dword v1, off, s[0:3], s32 offset:960 ; 4-byte Folded Spill
	s_waitcnt vmcnt(0)
	v_lshlrev_b32_e32 v0, 16, v0
	v_mul_f32_e32 v0, v8, v0
	v_bfe_u32 v1, v0, 16, 1
	v_or_b32_e32 v10, 0x400000, v0
	v_cmp_u_f32_e32 vcc_lo, v0, v0
	v_add3_u32 v1, v1, v0, 0x7fff
	v_cndmask_b32_e32 v0, v1, v10, vcc_lo
	buffer_load_dword v1, off, s[0:3], s32 offset:256 ; 4-byte Folded Reload
	v_and_b32_e32 v0, 0xffff0000, v0
	s_waitcnt vmcnt(0)
	v_lshlrev_b32_e32 v1, 16, v1
	v_mul_f32_e32 v1, v9, v1
	v_bfe_u32 v10, v1, 16, 1
	v_or_b32_e32 v11, 0x400000, v1
	v_cmp_u_f32_e32 vcc_lo, v1, v1
	v_add3_u32 v10, v10, v1, 0x7fff
	v_cndmask_b32_e32 v1, v10, v11, vcc_lo
	buffer_load_dword v10, off, s[0:3], s32 offset:252 ; 4-byte Folded Reload
	v_and_b32_e32 v1, 0xffff0000, v1
	v_add_f32_e32 v0, v1, v0
	s_waitcnt vmcnt(0)
	v_lshlrev_b32_e32 v10, 16, v10
	v_mul_f32_e32 v10, v6, v10
	v_bfe_u32 v11, v10, 16, 1
	v_or_b32_e32 v17, 0x400000, v10
	v_cmp_u_f32_e32 vcc_lo, v10, v10
	v_add3_u32 v11, v11, v10, 0x7fff
	v_cndmask_b32_e32 v10, v11, v17, vcc_lo
	buffer_load_dword v11, off, s[0:3], s32 offset:248 ; 4-byte Folded Reload
	v_and_b32_e32 v10, 0xffff0000, v10
	s_waitcnt vmcnt(0)
	v_lshlrev_b32_e32 v11, 16, v11
	v_mul_f32_e32 v11, v7, v11
	v_bfe_u32 v17, v11, 16, 1
	v_or_b32_e32 v18, 0x400000, v11
	v_cmp_u_f32_e32 vcc_lo, v11, v11
	v_add3_u32 v17, v17, v11, 0x7fff
	v_cndmask_b32_e32 v11, v17, v18, vcc_lo
	buffer_load_dword v17, off, s[0:3], s32 offset:244 ; 4-byte Folded Reload
	v_and_b32_e32 v1, 0xffff0000, v11
	v_add_f32_e32 v1, v1, v10
	v_add_f32_e32 v0, v0, v1
	s_waitcnt vmcnt(0)
	v_lshlrev_b32_e32 v17, 16, v17
	v_mul_f32_e32 v17, v4, v17
	v_bfe_u32 v18, v17, 16, 1
	v_or_b32_e32 v24, 0x400000, v17
	v_cmp_u_f32_e32 vcc_lo, v17, v17
	v_add3_u32 v18, v18, v17, 0x7fff
	v_cndmask_b32_e32 v17, v18, v24, vcc_lo
	buffer_load_dword v18, off, s[0:3], s32 offset:240 ; 4-byte Folded Reload
	v_and_b32_e32 v10, 0xffff0000, v17
	s_waitcnt vmcnt(0)
	v_lshlrev_b32_e32 v18, 16, v18
	v_mul_f32_e32 v18, v5, v18
	v_bfe_u32 v24, v18, 16, 1
	v_or_b32_e32 v25, 0x400000, v18
	v_cmp_u_f32_e32 vcc_lo, v18, v18
	v_add3_u32 v24, v24, v18, 0x7fff
	v_cndmask_b32_e32 v18, v24, v25, vcc_lo
	buffer_load_dword v24, off, s[0:3], s32 offset:236 ; 4-byte Folded Reload
	v_and_b32_e32 v1, 0xffff0000, v18
	v_add_f32_e32 v1, v1, v10
	v_add_f32_e32 v0, v0, v1
	s_waitcnt vmcnt(0)
	v_lshlrev_b32_e32 v24, 16, v24
	v_mul_f32_e32 v24, v2, v24
	v_bfe_u32 v25, v24, 16, 1
	v_or_b32_e32 v26, 0x400000, v24
	v_cmp_u_f32_e32 vcc_lo, v24, v24
	v_add3_u32 v25, v25, v24, 0x7fff
	v_cndmask_b32_e32 v24, v25, v26, vcc_lo
	buffer_load_dword v25, off, s[0:3], s32 offset:232 ; 4-byte Folded Reload
	v_and_b32_e32 v10, 0xffff0000, v24
	s_waitcnt vmcnt(0)
	v_lshlrev_b32_e32 v25, 16, v25
	v_mul_f32_e32 v25, v3, v25
	v_bfe_u32 v26, v25, 16, 1
	v_or_b32_e32 v27, 0x400000, v25
	v_cmp_u_f32_e32 vcc_lo, v25, v25
	v_add3_u32 v26, v26, v25, 0x7fff
	v_cndmask_b32_e32 v25, v26, v27, vcc_lo
	v_and_b32_e32 v1, 0xffff0000, v25
	v_add_f32_e32 v1, v1, v10
	v_add_f32_e32 v0, v0, v1
	buffer_load_dword v1, off, s[0:3], s32 offset:964 ; 4-byte Folded Reload
	s_waitcnt vmcnt(0)
	v_add_f32_e32 v1, v1, v0
	buffer_load_dword v0, off, s[0:3], s32 offset:228 ; 4-byte Folded Reload
	buffer_store_dword v1, off, s[0:3], s32 offset:964 ; 4-byte Folded Spill
	s_waitcnt vmcnt(0)
	v_lshlrev_b32_e32 v0, 16, v0
	v_mul_f32_e32 v0, v8, v0
	v_bfe_u32 v1, v0, 16, 1
	v_or_b32_e32 v10, 0x400000, v0
	v_cmp_u_f32_e32 vcc_lo, v0, v0
	v_add3_u32 v1, v1, v0, 0x7fff
	v_cndmask_b32_e32 v0, v1, v10, vcc_lo
	buffer_load_dword v1, off, s[0:3], s32 offset:224 ; 4-byte Folded Reload
	v_and_b32_e32 v0, 0xffff0000, v0
	s_waitcnt vmcnt(0)
	v_lshlrev_b32_e32 v1, 16, v1
	v_mul_f32_e32 v1, v9, v1
	v_bfe_u32 v10, v1, 16, 1
	v_or_b32_e32 v11, 0x400000, v1
	v_cmp_u_f32_e32 vcc_lo, v1, v1
	v_add3_u32 v10, v10, v1, 0x7fff
	v_cndmask_b32_e32 v1, v10, v11, vcc_lo
	buffer_load_dword v10, off, s[0:3], s32 offset:220 ; 4-byte Folded Reload
	v_and_b32_e32 v1, 0xffff0000, v1
	v_add_f32_e32 v0, v1, v0
	s_waitcnt vmcnt(0)
	v_lshlrev_b32_e32 v10, 16, v10
	v_mul_f32_e32 v10, v6, v10
	v_bfe_u32 v11, v10, 16, 1
	v_or_b32_e32 v17, 0x400000, v10
	v_cmp_u_f32_e32 vcc_lo, v10, v10
	v_add3_u32 v11, v11, v10, 0x7fff
	v_cndmask_b32_e32 v10, v11, v17, vcc_lo
	buffer_load_dword v11, off, s[0:3], s32 offset:216 ; 4-byte Folded Reload
	v_and_b32_e32 v10, 0xffff0000, v10
	s_waitcnt vmcnt(0)
	v_lshlrev_b32_e32 v11, 16, v11
	v_mul_f32_e32 v11, v7, v11
	v_bfe_u32 v17, v11, 16, 1
	v_or_b32_e32 v18, 0x400000, v11
	v_cmp_u_f32_e32 vcc_lo, v11, v11
	v_add3_u32 v17, v17, v11, 0x7fff
	v_cndmask_b32_e32 v11, v17, v18, vcc_lo
	buffer_load_dword v17, off, s[0:3], s32 offset:212 ; 4-byte Folded Reload
	v_and_b32_e32 v1, 0xffff0000, v11
	v_add_f32_e32 v1, v1, v10
	v_add_f32_e32 v0, v0, v1
	s_waitcnt vmcnt(0)
	v_lshlrev_b32_e32 v17, 16, v17
	v_mul_f32_e32 v17, v4, v17
	v_bfe_u32 v18, v17, 16, 1
	v_or_b32_e32 v24, 0x400000, v17
	v_cmp_u_f32_e32 vcc_lo, v17, v17
	v_add3_u32 v18, v18, v17, 0x7fff
	v_cndmask_b32_e32 v17, v18, v24, vcc_lo
	buffer_load_dword v18, off, s[0:3], s32 offset:204 ; 4-byte Folded Reload
	v_and_b32_e32 v10, 0xffff0000, v17
	s_waitcnt vmcnt(0)
	v_lshlrev_b32_e32 v18, 16, v18
	v_mul_f32_e32 v18, v5, v18
	v_bfe_u32 v24, v18, 16, 1
	v_or_b32_e32 v25, 0x400000, v18
	v_cmp_u_f32_e32 vcc_lo, v18, v18
	v_add3_u32 v24, v24, v18, 0x7fff
	v_cndmask_b32_e32 v18, v24, v25, vcc_lo
	buffer_load_dword v24, off, s[0:3], s32 offset:208 ; 4-byte Folded Reload
	v_and_b32_e32 v1, 0xffff0000, v18
	v_add_f32_e32 v1, v1, v10
	v_add_f32_e32 v0, v0, v1
	s_waitcnt vmcnt(0)
	v_lshlrev_b32_e32 v24, 16, v24
	v_mul_f32_e32 v24, v2, v24
	v_bfe_u32 v25, v24, 16, 1
	v_or_b32_e32 v26, 0x400000, v24
	v_cmp_u_f32_e32 vcc_lo, v24, v24
	v_add3_u32 v25, v25, v24, 0x7fff
	v_cndmask_b32_e32 v24, v25, v26, vcc_lo
	buffer_load_dword v25, off, s[0:3], s32 offset:200 ; 4-byte Folded Reload
	v_and_b32_e32 v10, 0xffff0000, v24
	s_waitcnt vmcnt(0)
	v_lshlrev_b32_e32 v25, 16, v25
	v_mul_f32_e32 v25, v3, v25
	v_bfe_u32 v26, v25, 16, 1
	v_or_b32_e32 v27, 0x400000, v25
	v_cmp_u_f32_e32 vcc_lo, v25, v25
	v_add3_u32 v26, v26, v25, 0x7fff
	v_cndmask_b32_e32 v25, v26, v27, vcc_lo
	v_and_b32_e32 v1, 0xffff0000, v25
	v_add_f32_e32 v1, v1, v10
	v_add_f32_e32 v0, v0, v1
	buffer_load_dword v1, off, s[0:3], s32 offset:956 ; 4-byte Folded Reload
	s_waitcnt vmcnt(0)
	v_add_f32_e32 v1, v1, v0
	v_lshlrev_b32_e32 v0, 16, v23
	buffer_store_dword v1, off, s[0:3], s32 offset:956 ; 4-byte Folded Spill
	v_mul_f32_e32 v0, v9, v0
	v_bfe_u32 v1, v0, 16, 1
	v_or_b32_e32 v9, 0x400000, v0
	v_cmp_u_f32_e32 vcc_lo, v0, v0
	v_add3_u32 v1, v1, v0, 0x7fff
	v_cndmask_b32_e32 v0, v1, v9, vcc_lo
	v_lshlrev_b32_e32 v1, 16, v22
	v_and_b32_e32 v0, 0xffff0000, v0
	v_mul_f32_e32 v1, v8, v1
	v_bfe_u32 v8, v1, 16, 1
	v_or_b32_e32 v9, 0x400000, v1
	v_cmp_u_f32_e32 vcc_lo, v1, v1
	v_add3_u32 v8, v8, v1, 0x7fff
	v_cndmask_b32_e32 v1, v8, v9, vcc_lo
	v_lshlrev_b32_e32 v8, 16, v20
	v_and_b32_e32 v1, 0xffff0000, v1
	v_mul_f32_e32 v7, v7, v8
	v_add_f32_e32 v0, v0, v1
	v_bfe_u32 v8, v7, 16, 1
	v_or_b32_e32 v9, 0x400000, v7
	v_cmp_u_f32_e32 vcc_lo, v7, v7
	v_add3_u32 v8, v8, v7, 0x7fff
	v_cndmask_b32_e32 v7, v8, v9, vcc_lo
	v_lshlrev_b32_e32 v8, 16, v16
	v_mul_f32_e32 v6, v6, v8
	v_bfe_u32 v8, v6, 16, 1
	v_or_b32_e32 v9, 0x400000, v6
	v_cmp_u_f32_e32 vcc_lo, v6, v6
	v_add3_u32 v8, v8, v6, 0x7fff
	v_cndmask_b32_e32 v6, v8, v9, vcc_lo
	v_lshlrev_b32_e32 v8, 16, v15
	v_and_b32_e32 v1, 0xffff0000, v6
	v_mul_f32_e32 v5, v5, v8
	v_and_b32_e32 v6, 0xffff0000, v7
	v_bfe_u32 v8, v5, 16, 1
	v_or_b32_e32 v9, 0x400000, v5
	v_cmp_u_f32_e32 vcc_lo, v5, v5
	v_add_f32_e32 v1, v6, v1
	v_add3_u32 v8, v8, v5, 0x7fff
	v_add_f32_e32 v0, v0, v1
	v_cndmask_b32_e32 v5, v8, v9, vcc_lo
	v_lshlrev_b32_e32 v8, 16, v12
	v_mul_f32_e32 v4, v4, v8
	v_bfe_u32 v8, v4, 16, 1
	v_or_b32_e32 v9, 0x400000, v4
	v_cmp_u_f32_e32 vcc_lo, v4, v4
	v_add3_u32 v8, v8, v4, 0x7fff
	v_cndmask_b32_e32 v4, v8, v9, vcc_lo
	v_lshlrev_b32_e32 v8, 16, v19
	v_and_b32_e32 v1, 0xffff0000, v4
	v_mul_f32_e32 v3, v3, v8
	v_and_b32_e32 v4, 0xffff0000, v5
	v_bfe_u32 v8, v3, 16, 1
	v_or_b32_e32 v9, 0x400000, v3
	v_cmp_u_f32_e32 vcc_lo, v3, v3
	v_add_f32_e32 v1, v4, v1
	v_add3_u32 v8, v8, v3, 0x7fff
	v_add_f32_e32 v0, v0, v1
	v_cndmask_b32_e32 v3, v8, v9, vcc_lo
	v_lshlrev_b32_e32 v8, 16, v21
	v_mul_f32_e32 v2, v2, v8
	v_bfe_u32 v8, v2, 16, 1
	v_or_b32_e32 v9, 0x400000, v2
	v_cmp_u_f32_e32 vcc_lo, v2, v2
	v_add3_u32 v8, v8, v2, 0x7fff
	v_cndmask_b32_e32 v2, v8, v9, vcc_lo
	v_and_b32_e32 v1, 0xffff0000, v2
	v_and_b32_e32 v2, 0xffff0000, v3
	v_add_f32_e32 v1, v2, v1
	v_add_f32_e32 v0, v0, v1
	;; [unrolled: 1-line block ×3, first 2 shown]
	buffer_load_dword v0, off, s[0:3], s32 offset:196 ; 4-byte Folded Reload
	s_waitcnt vmcnt(0)
	v_cmp_ge_i32_e32 vcc_lo, v14, v0
	s_or_b32 s15, vcc_lo, s15
	s_andn2_b32 exec_lo, exec_lo, s15
	s_cbranch_execz .LBB372_4188
.LBB372_2076:                           ; =>This Inner Loop Header: Depth=1
	buffer_load_dword v2, off, s[0:3], s32 offset:968 ; 4-byte Folded Reload
	v_mov_b32_e32 v15, v13
	s_waitcnt vmcnt(1)
	v_lshlrev_b64 v[0:1], 2, v[14:15]
	s_waitcnt vmcnt(0)
	v_add_co_u32 v0, vcc_lo, v2, v0
	buffer_load_dword v2, off, s[0:3], s32 offset:972 ; 4-byte Folded Reload
	s_waitcnt vmcnt(0)
	v_add_co_ci_u32_e64 v1, null, v2, v1, vcc_lo
	flat_load_dword v0, v[0:1]
	s_clause 0x2
	buffer_load_dword v1, off, s[0:3], s32 offset:840
	buffer_load_dword v2, off, s[0:3], s32 offset:980
	;; [unrolled: 1-line block ×3, first 2 shown]
	s_waitcnt vmcnt(0) lgkmcnt(0)
	v_mad_i64_i32 v[15:16], null, v0, v1, v[2:3]
	buffer_load_dword v0, off, s[0:3], s32 offset:988 ; 4-byte Folded Reload
	s_waitcnt vmcnt(0)
	v_add_co_u32 v19, vcc_lo, v15, v0
	buffer_load_dword v0, off, s[0:3], s32 offset:976 ; 4-byte Folded Reload
	v_add_co_ci_u32_e64 v20, null, 0, v16, vcc_lo
	flat_load_dwordx2 v[21:22], v[19:20]
	s_waitcnt vmcnt(1)
	v_lshl_or_b32 v124, v14, 5, v0
	v_lshl_add_u32 v0, v124, 2, s9
	ds_read2_b64 v[6:9], v0 offset1:1
	ds_read2_b64 v[2:5], v0 offset0:2 offset1:3
	s_waitcnt vmcnt(0) lgkmcnt(2)
	v_cmp_ne_u16_sdwa s18, v21, v13 src0_sel:BYTE_0 src1_sel:DWORD
	v_mov_b32_e32 v0, 0
	s_and_saveexec_b32 s4, s18
	s_cbranch_execz .LBB372_2084
; %bb.2077:                             ;   in Loop: Header=BB372_2076 Depth=1
	v_cmp_ne_u16_sdwa s19, v21, v103 src0_sel:BYTE_0 src1_sel:DWORD
	v_bfrev_b32_e32 v0, 1
	s_and_saveexec_b32 s18, s19
	s_cbranch_execz .LBB372_2083
; %bb.2078:                             ;   in Loop: Header=BB372_2076 Depth=1
	v_and_b32_e32 v1, 0x7f, v21
	v_mov_b32_e32 v0, 0x7f800001
	s_mov_b32 s19, exec_lo
	v_cmpx_ne_u32_e32 0x7f, v1
	s_cbranch_execz .LBB372_2082
; %bb.2079:                             ;   in Loop: Header=BB372_2076 Depth=1
	v_mov_b32_e32 v24, v22
	v_lshrrev_b32_e32 v0, 3, v1
	v_mov_b32_e32 v23, v21
	s_mov_b32 s20, exec_lo
	v_cmpx_gt_u32_e32 8, v1
; %bb.2080:                             ;   in Loop: Header=BB372_2076 Depth=1
	v_and_b32_e32 v0, 7, v21
	v_ffbh_u32_e32 v0, v0
	v_min_u32_e32 v0, 32, v0
	v_subrev_nc_u32_e32 v1, 28, v0
	v_sub_nc_u32_e32 v0, 29, v0
	v_lshlrev_b64 v[23:24], v1, v[21:22]
; %bb.2081:                             ;   in Loop: Header=BB372_2076 Depth=1
	s_or_b32 exec_lo, exec_lo, s20
	v_lshlrev_b32_e32 v1, 20, v23
	v_lshlrev_b32_e32 v10, 24, v21
	v_lshl_add_u32 v0, v0, 23, 0x3c000000
	v_and_b32_e32 v1, 0x700000, v1
	v_and_b32_e32 v10, 0x80000000, v10
	v_or3_b32 v0, v1, v10, v0
.LBB372_2082:                           ;   in Loop: Header=BB372_2076 Depth=1
	s_or_b32 exec_lo, exec_lo, s19
.LBB372_2083:                           ;   in Loop: Header=BB372_2076 Depth=1
	s_or_b32 exec_lo, exec_lo, s18
.LBB372_2084:                           ;   in Loop: Header=BB372_2076 Depth=1
	s_or_b32 exec_lo, exec_lo, s4
	v_cmp_ne_u16_sdwa s18, v21, v13 src0_sel:BYTE_1 src1_sel:DWORD
	v_mov_b32_e32 v10, 0
	v_mov_b32_e32 v1, 0
	s_and_saveexec_b32 s4, s18
	s_cbranch_execz .LBB372_2092
; %bb.2085:                             ;   in Loop: Header=BB372_2076 Depth=1
	v_cmp_ne_u16_sdwa s19, v21, v103 src0_sel:BYTE_1 src1_sel:DWORD
	v_bfrev_b32_e32 v1, 1
	s_and_saveexec_b32 s18, s19
	s_cbranch_execz .LBB372_2091
; %bb.2086:                             ;   in Loop: Header=BB372_2076 Depth=1
	v_mov_b32_e32 v1, 0xffff
	s_mov_b32 s19, exec_lo
	v_and_b32_sdwa v12, v1, v21 dst_sel:DWORD dst_unused:UNUSED_PAD src0_sel:DWORD src1_sel:BYTE_1
	v_mov_b32_e32 v1, 0x7f800001
	v_and_b32_e32 v11, 0x7f, v12
	v_cmpx_ne_u32_e32 0x7f, v11
	s_cbranch_execz .LBB372_2090
; %bb.2087:                             ;   in Loop: Header=BB372_2076 Depth=1
	v_and_b32_e32 v12, 7, v12
	v_mov_b32_e32 v24, v13
	v_lshrrev_b32_e32 v1, 3, v11
	s_mov_b32 s20, exec_lo
	v_mov_b32_e32 v23, v12
	v_cmpx_gt_u32_e32 8, v11
; %bb.2088:                             ;   in Loop: Header=BB372_2076 Depth=1
	v_ffbh_u32_e32 v1, v12
	v_min_u32_e32 v1, 32, v1
	v_subrev_nc_u32_e32 v11, 28, v1
	v_sub_nc_u32_e32 v1, 29, v1
	v_lshlrev_b64 v[11:12], v11, v[12:13]
	v_and_b32_e32 v23, 7, v11
; %bb.2089:                             ;   in Loop: Header=BB372_2076 Depth=1
	s_or_b32 exec_lo, exec_lo, s20
	v_lshlrev_b32_e32 v11, 16, v21
	v_lshlrev_b32_e32 v12, 20, v23
	v_lshl_add_u32 v1, v1, 23, 0x3c000000
	v_and_b32_e32 v11, 0x80000000, v11
	v_or3_b32 v1, v12, v11, v1
.LBB372_2090:                           ;   in Loop: Header=BB372_2076 Depth=1
	s_or_b32 exec_lo, exec_lo, s19
.LBB372_2091:                           ;   in Loop: Header=BB372_2076 Depth=1
	s_or_b32 exec_lo, exec_lo, s18
.LBB372_2092:                           ;   in Loop: Header=BB372_2076 Depth=1
	s_or_b32 exec_lo, exec_lo, s4
	v_and_b32_sdwa v11, v21, v113 dst_sel:DWORD dst_unused:UNUSED_PAD src0_sel:WORD_1 src1_sel:DWORD
	s_mov_b32 s4, exec_lo
	v_cmpx_ne_u16_e32 0, v11
	s_cbranch_execz .LBB372_2100
; %bb.2093:                             ;   in Loop: Header=BB372_2076 Depth=1
	v_bfrev_b32_e32 v10, 1
	s_mov_b32 s18, exec_lo
	v_cmpx_ne_u16_e32 0x80, v11
	s_cbranch_execz .LBB372_2099
; %bb.2094:                             ;   in Loop: Header=BB372_2076 Depth=1
	v_bfe_u32 v11, v21, 16, 7
	v_mov_b32_e32 v10, 0x7f800001
	s_mov_b32 s19, exec_lo
	v_cmpx_ne_u32_e32 0x7f, v11
	s_cbranch_execz .LBB372_2098
; %bb.2095:                             ;   in Loop: Header=BB372_2076 Depth=1
	v_and_b32_sdwa v12, v21, v114 dst_sel:DWORD dst_unused:UNUSED_PAD src0_sel:WORD_1 src1_sel:DWORD
	v_mov_b32_e32 v24, v13
	v_lshrrev_b32_e32 v10, 3, v11
	s_mov_b32 s20, exec_lo
	v_mov_b32_e32 v23, v12
	v_cmpx_gt_u32_e32 8, v11
; %bb.2096:                             ;   in Loop: Header=BB372_2076 Depth=1
	v_ffbh_u32_e32 v10, v12
	v_min_u32_e32 v10, 32, v10
	v_subrev_nc_u32_e32 v11, 28, v10
	v_sub_nc_u32_e32 v10, 29, v10
	v_lshlrev_b64 v[11:12], v11, v[12:13]
	v_and_b32_e32 v23, 7, v11
; %bb.2097:                             ;   in Loop: Header=BB372_2076 Depth=1
	s_or_b32 exec_lo, exec_lo, s20
	v_lshlrev_b32_sdwa v11, v115, v21 dst_sel:DWORD dst_unused:UNUSED_PAD src0_sel:DWORD src1_sel:WORD_1
	v_lshlrev_b32_e32 v12, 20, v23
	v_lshl_add_u32 v10, v10, 23, 0x3c000000
	v_and_b32_e32 v11, 0x80000000, v11
	v_or3_b32 v10, v12, v11, v10
.LBB372_2098:                           ;   in Loop: Header=BB372_2076 Depth=1
	s_or_b32 exec_lo, exec_lo, s19
.LBB372_2099:                           ;   in Loop: Header=BB372_2076 Depth=1
	s_or_b32 exec_lo, exec_lo, s18
.LBB372_2100:                           ;   in Loop: Header=BB372_2076 Depth=1
	s_or_b32 exec_lo, exec_lo, s4
	v_mov_b32_e32 v17, 0
	v_mov_b32_e32 v11, 0
	s_mov_b32 s4, exec_lo
	v_cmpx_lt_u32_e32 0xffffff, v21
	s_cbranch_execz .LBB372_2108
; %bb.2101:                             ;   in Loop: Header=BB372_2076 Depth=1
	v_cmp_ne_u32_sdwa s19, v21, v103 src0_sel:BYTE_3 src1_sel:DWORD
	v_bfrev_b32_e32 v11, 1
	s_and_saveexec_b32 s18, s19
	s_cbranch_execz .LBB372_2107
; %bb.2102:                             ;   in Loop: Header=BB372_2076 Depth=1
	v_bfe_u32 v18, v21, 24, 7
	v_mov_b32_e32 v11, 0x7f800001
	s_mov_b32 s19, exec_lo
	v_cmpx_ne_u32_e32 0x7f, v18
	s_cbranch_execz .LBB372_2106
; %bb.2103:                             ;   in Loop: Header=BB372_2076 Depth=1
	v_and_b32_sdwa v12, v21, v114 dst_sel:DWORD dst_unused:UNUSED_PAD src0_sel:BYTE_3 src1_sel:DWORD
	v_mov_b32_e32 v24, v13
	v_lshrrev_b32_e32 v11, 3, v18
	s_mov_b32 s20, exec_lo
	v_mov_b32_e32 v23, v12
	v_cmpx_gt_u32_e32 8, v18
; %bb.2104:                             ;   in Loop: Header=BB372_2076 Depth=1
	v_ffbh_u32_e32 v11, v12
	v_min_u32_e32 v11, 32, v11
	v_subrev_nc_u32_e32 v18, 28, v11
	v_sub_nc_u32_e32 v11, 29, v11
	v_lshlrev_b64 v[23:24], v18, v[12:13]
	v_and_b32_e32 v23, 7, v23
; %bb.2105:                             ;   in Loop: Header=BB372_2076 Depth=1
	s_or_b32 exec_lo, exec_lo, s20
	v_lshlrev_b32_sdwa v12, v115, v21 dst_sel:DWORD dst_unused:UNUSED_PAD src0_sel:DWORD src1_sel:BYTE_3
	v_lshlrev_b32_e32 v18, 20, v23
	v_lshl_add_u32 v11, v11, 23, 0x3c000000
	v_and_b32_e32 v12, 0x80000000, v12
	v_or3_b32 v11, v18, v12, v11
.LBB372_2106:                           ;   in Loop: Header=BB372_2076 Depth=1
	s_or_b32 exec_lo, exec_lo, s19
.LBB372_2107:                           ;   in Loop: Header=BB372_2076 Depth=1
	s_or_b32 exec_lo, exec_lo, s18
.LBB372_2108:                           ;   in Loop: Header=BB372_2076 Depth=1
	s_or_b32 exec_lo, exec_lo, s4
	v_mov_b32_e32 v12, v22
	v_cmp_ne_u16_sdwa s18, v22, v13 src0_sel:BYTE_0 src1_sel:DWORD
	s_and_saveexec_b32 s4, s18
	s_cbranch_execz .LBB372_2116
; %bb.2109:                             ;   in Loop: Header=BB372_2076 Depth=1
	v_cmp_ne_u16_sdwa s19, v22, v103 src0_sel:BYTE_0 src1_sel:DWORD
	v_bfrev_b32_e32 v17, 1
	s_and_saveexec_b32 s18, s19
	s_cbranch_execz .LBB372_2115
; %bb.2110:                             ;   in Loop: Header=BB372_2076 Depth=1
	v_and_b32_e32 v18, 0x7f, v22
	v_mov_b32_e32 v17, 0x7f800001
	s_mov_b32 s19, exec_lo
	v_cmpx_ne_u32_e32 0x7f, v18
	s_cbranch_execz .LBB372_2114
; %bb.2111:                             ;   in Loop: Header=BB372_2076 Depth=1
	v_mov_b32_e32 v24, v13
	v_lshrrev_b32_e32 v17, 3, v18
	v_mov_b32_e32 v23, v12
	s_mov_b32 s20, exec_lo
	v_cmpx_gt_u32_e32 8, v18
; %bb.2112:                             ;   in Loop: Header=BB372_2076 Depth=1
	v_and_b32_e32 v17, 7, v22
	v_ffbh_u32_e32 v17, v17
	v_min_u32_e32 v17, 32, v17
	v_subrev_nc_u32_e32 v18, 28, v17
	v_sub_nc_u32_e32 v17, 29, v17
	v_lshlrev_b64 v[23:24], v18, v[12:13]
; %bb.2113:                             ;   in Loop: Header=BB372_2076 Depth=1
	s_or_b32 exec_lo, exec_lo, s20
	v_lshlrev_b32_e32 v18, 20, v23
	v_lshlrev_b32_e32 v23, 24, v12
	v_lshl_add_u32 v17, v17, 23, 0x3c000000
	v_and_b32_e32 v18, 0x700000, v18
	v_and_b32_e32 v23, 0x80000000, v23
	v_or3_b32 v17, v18, v23, v17
.LBB372_2114:                           ;   in Loop: Header=BB372_2076 Depth=1
	s_or_b32 exec_lo, exec_lo, s19
.LBB372_2115:                           ;   in Loop: Header=BB372_2076 Depth=1
	s_or_b32 exec_lo, exec_lo, s18
.LBB372_2116:                           ;   in Loop: Header=BB372_2076 Depth=1
	s_or_b32 exec_lo, exec_lo, s4
	v_cmp_ne_u16_sdwa s18, v12, v13 src0_sel:BYTE_1 src1_sel:DWORD
	v_mov_b32_e32 v18, 0
	v_mov_b32_e32 v25, 0
	s_and_saveexec_b32 s4, s18
	s_cbranch_execz .LBB372_2124
; %bb.2117:                             ;   in Loop: Header=BB372_2076 Depth=1
	v_cmp_ne_u16_sdwa s19, v12, v103 src0_sel:BYTE_1 src1_sel:DWORD
	v_bfrev_b32_e32 v25, 1
	s_and_saveexec_b32 s18, s19
	s_cbranch_execz .LBB372_2123
; %bb.2118:                             ;   in Loop: Header=BB372_2076 Depth=1
	v_mov_b32_e32 v23, 0xffff
	v_mov_b32_e32 v25, 0x7f800001
	s_mov_b32 s19, exec_lo
	v_and_b32_sdwa v23, v23, v12 dst_sel:DWORD dst_unused:UNUSED_PAD src0_sel:DWORD src1_sel:BYTE_1
	v_and_b32_e32 v26, 0x7f, v23
	v_cmpx_ne_u32_e32 0x7f, v26
	s_cbranch_execz .LBB372_2122
; %bb.2119:                             ;   in Loop: Header=BB372_2076 Depth=1
	v_and_b32_e32 v23, 7, v23
	v_mov_b32_e32 v24, v13
	v_lshrrev_b32_e32 v25, 3, v26
	s_mov_b32 s20, exec_lo
	v_cmpx_gt_u32_e32 8, v26
; %bb.2120:                             ;   in Loop: Header=BB372_2076 Depth=1
	v_ffbh_u32_e32 v25, v23
	v_min_u32_e32 v25, 32, v25
	v_subrev_nc_u32_e32 v26, 28, v25
	v_sub_nc_u32_e32 v25, 29, v25
	v_lshlrev_b64 v[23:24], v26, v[23:24]
	v_and_b32_e32 v23, 7, v23
; %bb.2121:                             ;   in Loop: Header=BB372_2076 Depth=1
	s_or_b32 exec_lo, exec_lo, s20
	v_lshlrev_b32_e32 v12, 16, v12
	v_lshlrev_b32_e32 v23, 20, v23
	v_lshl_add_u32 v24, v25, 23, 0x3c000000
	v_and_b32_e32 v12, 0x80000000, v12
	v_or3_b32 v25, v23, v12, v24
.LBB372_2122:                           ;   in Loop: Header=BB372_2076 Depth=1
	s_or_b32 exec_lo, exec_lo, s19
.LBB372_2123:                           ;   in Loop: Header=BB372_2076 Depth=1
	s_or_b32 exec_lo, exec_lo, s18
.LBB372_2124:                           ;   in Loop: Header=BB372_2076 Depth=1
	s_or_b32 exec_lo, exec_lo, s4
	v_and_b32_sdwa v12, v22, v113 dst_sel:DWORD dst_unused:UNUSED_PAD src0_sel:WORD_1 src1_sel:DWORD
	s_mov_b32 s4, exec_lo
	v_cmpx_ne_u16_e32 0, v12
	s_cbranch_execz .LBB372_2132
; %bb.2125:                             ;   in Loop: Header=BB372_2076 Depth=1
	v_bfrev_b32_e32 v18, 1
	s_mov_b32 s18, exec_lo
	v_cmpx_ne_u16_e32 0x80, v12
	s_cbranch_execz .LBB372_2131
; %bb.2126:                             ;   in Loop: Header=BB372_2076 Depth=1
	v_bfe_u32 v23, v22, 16, 7
	v_mov_b32_e32 v18, 0x7f800001
	s_mov_b32 s19, exec_lo
	v_cmpx_ne_u32_e32 0x7f, v23
	s_cbranch_execz .LBB372_2130
; %bb.2127:                             ;   in Loop: Header=BB372_2076 Depth=1
	v_and_b32_sdwa v12, v22, v114 dst_sel:DWORD dst_unused:UNUSED_PAD src0_sel:WORD_1 src1_sel:DWORD
	v_lshrrev_b32_e32 v18, 3, v23
	v_cmp_gt_u32_e32 vcc_lo, 8, v23
	v_mov_b32_e32 v24, v13
	v_mov_b32_e32 v23, v12
	s_and_saveexec_b32 s20, vcc_lo
; %bb.2128:                             ;   in Loop: Header=BB372_2076 Depth=1
	v_ffbh_u32_e32 v18, v12
	v_min_u32_e32 v18, 32, v18
	v_subrev_nc_u32_e32 v23, 28, v18
	v_sub_nc_u32_e32 v18, 29, v18
	v_lshlrev_b64 v[23:24], v23, v[12:13]
	v_and_b32_e32 v23, 7, v23
; %bb.2129:                             ;   in Loop: Header=BB372_2076 Depth=1
	s_or_b32 exec_lo, exec_lo, s20
	v_lshlrev_b32_sdwa v12, v115, v22 dst_sel:DWORD dst_unused:UNUSED_PAD src0_sel:DWORD src1_sel:WORD_1
	v_lshlrev_b32_e32 v23, 20, v23
	v_lshl_add_u32 v18, v18, 23, 0x3c000000
	v_and_b32_e32 v12, 0x80000000, v12
	v_or3_b32 v18, v23, v12, v18
.LBB372_2130:                           ;   in Loop: Header=BB372_2076 Depth=1
	s_or_b32 exec_lo, exec_lo, s19
.LBB372_2131:                           ;   in Loop: Header=BB372_2076 Depth=1
	s_or_b32 exec_lo, exec_lo, s18
.LBB372_2132:                           ;   in Loop: Header=BB372_2076 Depth=1
	s_or_b32 exec_lo, exec_lo, s4
	v_mov_b32_e32 v12, 0
	s_mov_b32 s4, exec_lo
	v_cmpx_lt_u64_e64 s[6:7], v[21:22]
	s_cbranch_execz .LBB372_2140
; %bb.2133:                             ;   in Loop: Header=BB372_2076 Depth=1
	v_cmp_ne_u32_sdwa s19, v22, v103 src0_sel:BYTE_3 src1_sel:DWORD
	v_bfrev_b32_e32 v12, 1
	s_and_saveexec_b32 s18, s19
	s_cbranch_execz .LBB372_2139
; %bb.2134:                             ;   in Loop: Header=BB372_2076 Depth=1
	v_bfe_u32 v23, v22, 24, 7
	v_mov_b32_e32 v12, 0x7f800001
	s_mov_b32 s19, exec_lo
	v_cmpx_ne_u32_e32 0x7f, v23
	s_cbranch_execz .LBB372_2138
; %bb.2135:                             ;   in Loop: Header=BB372_2076 Depth=1
	v_and_b32_sdwa v12, v22, v114 dst_sel:DWORD dst_unused:UNUSED_PAD src0_sel:BYTE_3 src1_sel:DWORD
	v_lshrrev_b32_e32 v21, 3, v23
	v_cmp_gt_u32_e32 vcc_lo, 8, v23
	v_mov_b32_e32 v24, v13
	v_mov_b32_e32 v23, v12
	s_and_saveexec_b32 s20, vcc_lo
; %bb.2136:                             ;   in Loop: Header=BB372_2076 Depth=1
	v_ffbh_u32_e32 v21, v12
	v_min_u32_e32 v21, 32, v21
	v_subrev_nc_u32_e32 v23, 28, v21
	v_sub_nc_u32_e32 v21, 29, v21
	v_lshlrev_b64 v[23:24], v23, v[12:13]
	v_and_b32_e32 v23, 7, v23
; %bb.2137:                             ;   in Loop: Header=BB372_2076 Depth=1
	s_or_b32 exec_lo, exec_lo, s20
	v_lshlrev_b32_sdwa v12, v115, v22 dst_sel:DWORD dst_unused:UNUSED_PAD src0_sel:DWORD src1_sel:BYTE_3
	v_lshlrev_b32_e32 v22, 20, v23
	v_lshl_add_u32 v21, v21, 23, 0x3c000000
	v_and_b32_e32 v12, 0x80000000, v12
	v_or3_b32 v12, v22, v12, v21
.LBB372_2138:                           ;   in Loop: Header=BB372_2076 Depth=1
	s_or_b32 exec_lo, exec_lo, s19
.LBB372_2139:                           ;   in Loop: Header=BB372_2076 Depth=1
	s_or_b32 exec_lo, exec_lo, s18
.LBB372_2140:                           ;   in Loop: Header=BB372_2076 Depth=1
	s_or_b32 exec_lo, exec_lo, s4
	buffer_load_dword v22, off, s[0:3], s32 offset:196 ; 4-byte Folded Reload
	v_mul_f32_e32 v21, v97, v25
	v_mul_f32_e32 v17, v97, v17
	;; [unrolled: 1-line block ×5, first 2 shown]
	v_bfe_u32 v23, v21, 16, 1
	v_bfe_u32 v24, v17, 16, 1
	v_cmp_u_f32_e64 s4, v21, v21
	v_or_b32_e32 v25, 0x400000, v17
	v_bfe_u32 v26, v11, 16, 1
	v_add3_u32 v23, v23, v21, 0x7fff
	v_add3_u32 v24, v24, v17, 0x7fff
	v_or_b32_e32 v27, 0x400000, v11
	v_mul_f32_e32 v0, v97, v0
	v_mul_f32_e32 v12, v97, v12
	v_or_b32_e32 v102, 3, v124
	v_or_b32_e32 v101, 4, v124
	;; [unrolled: 1-line block ×5, first 2 shown]
	s_waitcnt vmcnt(0)
	v_add_nc_u32_e32 v22, -1, v22
	v_cmp_eq_u32_e32 vcc_lo, v14, v22
	v_or_b32_e32 v22, 0x400000, v21
	v_cndmask_b32_e64 v21, v23, v22, s4
	v_cmp_u_f32_e64 s4, v17, v17
	v_add3_u32 v23, v26, v11, 0x7fff
	v_bfe_u32 v22, v10, 16, 1
	v_lshrrev_b32_e32 v21, 16, v21
	v_cndmask_b32_e64 v17, v24, v25, s4
	v_cmp_u_f32_e64 s4, v11, v11
	v_or_b32_e32 v24, 0x400000, v12
	buffer_store_dword v21, off, s[0:3], s32 offset:212 ; 4-byte Folded Spill
	v_add3_u32 v21, v22, v10, 0x7fff
	v_cndmask_b32_e64 v11, v23, v27, s4
	v_or_b32_e32 v22, 0x400000, v10
	v_lshrrev_b32_e32 v17, 16, v17
	v_cmp_u_f32_e64 s4, v10, v10
	v_lshrrev_b32_e32 v11, 16, v11
	buffer_store_dword v17, off, s[0:3], s32 offset:204 ; 4-byte Folded Spill
	v_cndmask_b32_e64 v10, v21, v22, s4
	v_mul_f32_e32 v17, v97, v18
	buffer_store_dword v11, off, s[0:3], s32 offset:220 ; 4-byte Folded Spill
	v_bfe_u32 v11, v1, 16, 1
	v_or_b32_e32 v18, 0x400000, v1
	v_bfe_u32 v21, v0, 16, 1
	v_cmp_u_f32_e64 s4, v1, v1
	v_bfe_u32 v22, v17, 16, 1
	v_add3_u32 v11, v11, v1, 0x7fff
	v_or_b32_e32 v23, 0x400000, v17
	v_lshrrev_b32_e32 v10, 16, v10
	v_add3_u32 v22, v22, v17, 0x7fff
	v_cndmask_b32_e64 v1, v11, v18, s4
	v_add3_u32 v18, v21, v0, 0x7fff
	v_or_b32_e32 v21, 0x400000, v0
	v_cmp_u_f32_e64 s4, v0, v0
	v_bfe_u32 v11, v12, 16, 1
	buffer_store_dword v10, off, s[0:3], s32 offset:216 ; 4-byte Folded Spill
	v_lshrrev_b32_e32 v1, 16, v1
	v_or_b32_e32 v10, 2, v124
	v_cndmask_b32_e64 v0, v18, v21, s4
	v_cmp_u_f32_e64 s4, v17, v17
	v_add3_u32 v11, v11, v12, 0x7fff
	buffer_store_dword v1, off, s[0:3], s32 offset:228 ; 4-byte Folded Spill
	v_lshrrev_b32_e32 v0, 16, v0
	v_cndmask_b32_e64 v17, v22, v23, s4
	v_cmp_u_f32_e64 s4, v12, v12
	buffer_store_dword v0, off, s[0:3], s32 offset:224 ; 4-byte Folded Spill
	v_lshrrev_b32_e32 v0, 16, v17
	v_cndmask_b32_e64 v11, v11, v24, s4
	buffer_store_dword v0, off, s[0:3], s32 offset:200 ; 4-byte Folded Spill
	v_lshrrev_b32_e32 v0, 16, v11
	v_or_b32_e32 v11, 1, v124
	buffer_store_dword v0, off, s[0:3], s32 offset:208 ; 4-byte Folded Spill
	s_and_saveexec_b32 s18, vcc_lo
	s_cbranch_execz .LBB372_2142
; %bb.2141:                             ;   in Loop: Header=BB372_2076 Depth=1
	s_clause 0x1
	buffer_load_dword v0, off, s[0:3], s32 offset:192
	buffer_load_dword v1, off, s[0:3], s32 offset:224
	s_waitcnt vmcnt(1)
	v_cmp_lt_i32_e64 s4, v124, v0
	s_waitcnt vmcnt(0)
	v_cndmask_b32_e64 v1, 0, v1, s4
	v_cmp_lt_i32_e64 s4, v11, v0
	buffer_store_dword v1, off, s[0:3], s32 offset:224 ; 4-byte Folded Spill
	buffer_load_dword v1, off, s[0:3], s32 offset:228 ; 4-byte Folded Reload
	s_waitcnt vmcnt(0)
	v_cndmask_b32_e64 v1, 0, v1, s4
	v_cmp_lt_i32_e64 s4, v10, v0
	buffer_store_dword v1, off, s[0:3], s32 offset:228 ; 4-byte Folded Spill
	buffer_load_dword v1, off, s[0:3], s32 offset:216 ; 4-byte Folded Reload
	;; [unrolled: 5-line block ×6, first 2 shown]
	s_waitcnt vmcnt(0)
	v_cndmask_b32_e64 v1, 0, v1, s4
	v_cmp_lt_i32_e64 s4, v65, v0
	buffer_load_dword v0, off, s[0:3], s32 offset:208 ; 4-byte Folded Reload
	buffer_store_dword v1, off, s[0:3], s32 offset:200 ; 4-byte Folded Spill
	s_waitcnt vmcnt(0)
	v_cndmask_b32_e64 v0, 0, v0, s4
	buffer_store_dword v0, off, s[0:3], s32 offset:208 ; 4-byte Folded Spill
.LBB372_2142:                           ;   in Loop: Header=BB372_2076 Depth=1
	s_or_b32 exec_lo, exec_lo, s18
	flat_load_dwordx2 v[21:22], v[19:20] offset:256
	v_mov_b32_e32 v1, 0
	v_mov_b32_e32 v0, 0
	s_waitcnt vmcnt(0) lgkmcnt(0)
	v_cmp_ne_u16_sdwa s4, v21, v13 src0_sel:BYTE_0 src1_sel:DWORD
	s_and_saveexec_b32 s18, s4
	s_cbranch_execz .LBB372_2150
; %bb.2143:                             ;   in Loop: Header=BB372_2076 Depth=1
	v_cmp_ne_u16_sdwa s4, v21, v103 src0_sel:BYTE_0 src1_sel:DWORD
	v_bfrev_b32_e32 v0, 1
	s_and_saveexec_b32 s19, s4
	s_cbranch_execz .LBB372_2149
; %bb.2144:                             ;   in Loop: Header=BB372_2076 Depth=1
	v_and_b32_e32 v12, 0x7f, v21
	v_mov_b32_e32 v0, 0x7f800001
	s_mov_b32 s20, exec_lo
	v_cmpx_ne_u32_e32 0x7f, v12
	s_cbranch_execz .LBB372_2148
; %bb.2145:                             ;   in Loop: Header=BB372_2076 Depth=1
	v_mov_b32_e32 v24, v22
	v_lshrrev_b32_e32 v0, 3, v12
	v_mov_b32_e32 v23, v21
	s_mov_b32 s21, exec_lo
	v_cmpx_gt_u32_e32 8, v12
; %bb.2146:                             ;   in Loop: Header=BB372_2076 Depth=1
	v_and_b32_e32 v0, 7, v21
	v_ffbh_u32_e32 v0, v0
	v_min_u32_e32 v0, 32, v0
	v_subrev_nc_u32_e32 v12, 28, v0
	v_sub_nc_u32_e32 v0, 29, v0
	v_lshlrev_b64 v[23:24], v12, v[21:22]
; %bb.2147:                             ;   in Loop: Header=BB372_2076 Depth=1
	s_or_b32 exec_lo, exec_lo, s21
	v_lshlrev_b32_e32 v12, 20, v23
	v_lshlrev_b32_e32 v17, 24, v21
	v_lshl_add_u32 v0, v0, 23, 0x3c000000
	v_and_b32_e32 v12, 0x700000, v12
	v_and_b32_e32 v17, 0x80000000, v17
	v_or3_b32 v0, v12, v17, v0
.LBB372_2148:                           ;   in Loop: Header=BB372_2076 Depth=1
	s_or_b32 exec_lo, exec_lo, s20
.LBB372_2149:                           ;   in Loop: Header=BB372_2076 Depth=1
	s_or_b32 exec_lo, exec_lo, s19
.LBB372_2150:                           ;   in Loop: Header=BB372_2076 Depth=1
	s_or_b32 exec_lo, exec_lo, s18
	v_cmp_ne_u16_sdwa s4, v21, v13 src0_sel:BYTE_1 src1_sel:DWORD
	s_and_saveexec_b32 s18, s4
	s_cbranch_execz .LBB372_2158
; %bb.2151:                             ;   in Loop: Header=BB372_2076 Depth=1
	v_cmp_ne_u16_sdwa s4, v21, v103 src0_sel:BYTE_1 src1_sel:DWORD
	v_bfrev_b32_e32 v1, 1
	s_and_saveexec_b32 s19, s4
	s_cbranch_execz .LBB372_2157
; %bb.2152:                             ;   in Loop: Header=BB372_2076 Depth=1
	v_mov_b32_e32 v1, 0xffff
	s_mov_b32 s20, exec_lo
	v_and_b32_sdwa v12, v1, v21 dst_sel:DWORD dst_unused:UNUSED_PAD src0_sel:DWORD src1_sel:BYTE_1
	v_mov_b32_e32 v1, 0x7f800001
	v_and_b32_e32 v17, 0x7f, v12
	v_cmpx_ne_u32_e32 0x7f, v17
	s_cbranch_execz .LBB372_2156
; %bb.2153:                             ;   in Loop: Header=BB372_2076 Depth=1
	v_and_b32_e32 v12, 7, v12
	v_mov_b32_e32 v24, v13
	v_lshrrev_b32_e32 v1, 3, v17
	s_mov_b32 s21, exec_lo
	v_mov_b32_e32 v23, v12
	v_cmpx_gt_u32_e32 8, v17
; %bb.2154:                             ;   in Loop: Header=BB372_2076 Depth=1
	v_ffbh_u32_e32 v1, v12
	v_min_u32_e32 v1, 32, v1
	v_subrev_nc_u32_e32 v17, 28, v1
	v_sub_nc_u32_e32 v1, 29, v1
	v_lshlrev_b64 v[17:18], v17, v[12:13]
	v_and_b32_e32 v23, 7, v17
; %bb.2155:                             ;   in Loop: Header=BB372_2076 Depth=1
	s_or_b32 exec_lo, exec_lo, s21
	v_lshlrev_b32_e32 v12, 16, v21
	v_lshlrev_b32_e32 v17, 20, v23
	v_lshl_add_u32 v1, v1, 23, 0x3c000000
	v_and_b32_e32 v12, 0x80000000, v12
	v_or3_b32 v1, v17, v12, v1
.LBB372_2156:                           ;   in Loop: Header=BB372_2076 Depth=1
	s_or_b32 exec_lo, exec_lo, s20
.LBB372_2157:                           ;   in Loop: Header=BB372_2076 Depth=1
	s_or_b32 exec_lo, exec_lo, s19
.LBB372_2158:                           ;   in Loop: Header=BB372_2076 Depth=1
	s_or_b32 exec_lo, exec_lo, s18
	v_and_b32_sdwa v12, v21, v113 dst_sel:DWORD dst_unused:UNUSED_PAD src0_sel:WORD_1 src1_sel:DWORD
	v_mov_b32_e32 v18, 0
	v_mov_b32_e32 v17, 0
	s_mov_b32 s18, exec_lo
	v_cmpx_ne_u16_e32 0, v12
	s_cbranch_execz .LBB372_2166
; %bb.2159:                             ;   in Loop: Header=BB372_2076 Depth=1
	v_bfrev_b32_e32 v17, 1
	s_mov_b32 s19, exec_lo
	v_cmpx_ne_u16_e32 0x80, v12
	s_cbranch_execz .LBB372_2165
; %bb.2160:                             ;   in Loop: Header=BB372_2076 Depth=1
	v_bfe_u32 v23, v21, 16, 7
	v_mov_b32_e32 v17, 0x7f800001
	s_mov_b32 s20, exec_lo
	v_cmpx_ne_u32_e32 0x7f, v23
	s_cbranch_execz .LBB372_2164
; %bb.2161:                             ;   in Loop: Header=BB372_2076 Depth=1
	v_and_b32_sdwa v12, v21, v114 dst_sel:DWORD dst_unused:UNUSED_PAD src0_sel:WORD_1 src1_sel:DWORD
	v_lshrrev_b32_e32 v17, 3, v23
	v_cmp_gt_u32_e64 s4, 8, v23
	v_mov_b32_e32 v24, v13
	v_mov_b32_e32 v23, v12
	s_and_saveexec_b32 s21, s4
; %bb.2162:                             ;   in Loop: Header=BB372_2076 Depth=1
	v_ffbh_u32_e32 v17, v12
	v_min_u32_e32 v17, 32, v17
	v_subrev_nc_u32_e32 v23, 28, v17
	v_sub_nc_u32_e32 v17, 29, v17
	v_lshlrev_b64 v[23:24], v23, v[12:13]
	v_and_b32_e32 v23, 7, v23
; %bb.2163:                             ;   in Loop: Header=BB372_2076 Depth=1
	s_or_b32 exec_lo, exec_lo, s21
	v_lshlrev_b32_sdwa v12, v115, v21 dst_sel:DWORD dst_unused:UNUSED_PAD src0_sel:DWORD src1_sel:WORD_1
	v_lshlrev_b32_e32 v23, 20, v23
	v_lshl_add_u32 v17, v17, 23, 0x3c000000
	v_and_b32_e32 v12, 0x80000000, v12
	v_or3_b32 v17, v23, v12, v17
.LBB372_2164:                           ;   in Loop: Header=BB372_2076 Depth=1
	s_or_b32 exec_lo, exec_lo, s20
.LBB372_2165:                           ;   in Loop: Header=BB372_2076 Depth=1
	s_or_b32 exec_lo, exec_lo, s19
.LBB372_2166:                           ;   in Loop: Header=BB372_2076 Depth=1
	s_or_b32 exec_lo, exec_lo, s18
	s_mov_b32 s18, exec_lo
	v_cmpx_lt_u32_e32 0xffffff, v21
	s_cbranch_execz .LBB372_2174
; %bb.2167:                             ;   in Loop: Header=BB372_2076 Depth=1
	v_cmp_ne_u32_sdwa s4, v21, v103 src0_sel:BYTE_3 src1_sel:DWORD
	v_bfrev_b32_e32 v18, 1
	s_and_saveexec_b32 s19, s4
	s_cbranch_execz .LBB372_2173
; %bb.2168:                             ;   in Loop: Header=BB372_2076 Depth=1
	v_bfe_u32 v23, v21, 24, 7
	v_mov_b32_e32 v18, 0x7f800001
	s_mov_b32 s20, exec_lo
	v_cmpx_ne_u32_e32 0x7f, v23
	s_cbranch_execz .LBB372_2172
; %bb.2169:                             ;   in Loop: Header=BB372_2076 Depth=1
	v_and_b32_sdwa v12, v21, v114 dst_sel:DWORD dst_unused:UNUSED_PAD src0_sel:BYTE_3 src1_sel:DWORD
	v_lshrrev_b32_e32 v18, 3, v23
	v_cmp_gt_u32_e64 s4, 8, v23
	v_mov_b32_e32 v24, v13
	v_mov_b32_e32 v23, v12
	s_and_saveexec_b32 s21, s4
; %bb.2170:                             ;   in Loop: Header=BB372_2076 Depth=1
	v_ffbh_u32_e32 v18, v12
	v_min_u32_e32 v18, 32, v18
	v_subrev_nc_u32_e32 v23, 28, v18
	v_sub_nc_u32_e32 v18, 29, v18
	v_lshlrev_b64 v[23:24], v23, v[12:13]
	v_and_b32_e32 v23, 7, v23
; %bb.2171:                             ;   in Loop: Header=BB372_2076 Depth=1
	s_or_b32 exec_lo, exec_lo, s21
	v_lshlrev_b32_sdwa v12, v115, v21 dst_sel:DWORD dst_unused:UNUSED_PAD src0_sel:DWORD src1_sel:BYTE_3
	v_lshlrev_b32_e32 v23, 20, v23
	v_lshl_add_u32 v18, v18, 23, 0x3c000000
	v_and_b32_e32 v12, 0x80000000, v12
	v_or3_b32 v18, v23, v12, v18
.LBB372_2172:                           ;   in Loop: Header=BB372_2076 Depth=1
	s_or_b32 exec_lo, exec_lo, s20
.LBB372_2173:                           ;   in Loop: Header=BB372_2076 Depth=1
	s_or_b32 exec_lo, exec_lo, s19
.LBB372_2174:                           ;   in Loop: Header=BB372_2076 Depth=1
	s_or_b32 exec_lo, exec_lo, s18
	v_mov_b32_e32 v12, v22
	v_cmp_ne_u16_sdwa s4, v22, v13 src0_sel:BYTE_0 src1_sel:DWORD
	v_mov_b32_e32 v26, 0
	v_mov_b32_e32 v25, 0
	s_and_saveexec_b32 s18, s4
	s_cbranch_execz .LBB372_2182
; %bb.2175:                             ;   in Loop: Header=BB372_2076 Depth=1
	v_cmp_ne_u16_sdwa s4, v22, v103 src0_sel:BYTE_0 src1_sel:DWORD
	v_bfrev_b32_e32 v25, 1
	s_and_saveexec_b32 s19, s4
	s_cbranch_execz .LBB372_2181
; %bb.2176:                             ;   in Loop: Header=BB372_2076 Depth=1
	v_and_b32_e32 v23, 0x7f, v22
	v_mov_b32_e32 v25, 0x7f800001
	s_mov_b32 s20, exec_lo
	v_cmpx_ne_u32_e32 0x7f, v23
	s_cbranch_execz .LBB372_2180
; %bb.2177:                             ;   in Loop: Header=BB372_2076 Depth=1
	v_lshrrev_b32_e32 v25, 3, v23
	v_cmp_gt_u32_e64 s4, 8, v23
	v_mov_b32_e32 v24, v13
	v_mov_b32_e32 v23, v12
	s_and_saveexec_b32 s21, s4
; %bb.2178:                             ;   in Loop: Header=BB372_2076 Depth=1
	v_and_b32_e32 v23, 7, v22
	v_ffbh_u32_e32 v23, v23
	v_min_u32_e32 v25, 32, v23
	v_subrev_nc_u32_e32 v23, 28, v25
	v_sub_nc_u32_e32 v25, 29, v25
	v_lshlrev_b64 v[23:24], v23, v[12:13]
; %bb.2179:                             ;   in Loop: Header=BB372_2076 Depth=1
	s_or_b32 exec_lo, exec_lo, s21
	v_lshlrev_b32_e32 v23, 20, v23
	v_lshlrev_b32_e32 v24, 24, v12
	v_lshl_add_u32 v25, v25, 23, 0x3c000000
	v_and_b32_e32 v23, 0x700000, v23
	v_and_b32_e32 v24, 0x80000000, v24
	v_or3_b32 v25, v23, v24, v25
.LBB372_2180:                           ;   in Loop: Header=BB372_2076 Depth=1
	s_or_b32 exec_lo, exec_lo, s20
.LBB372_2181:                           ;   in Loop: Header=BB372_2076 Depth=1
	s_or_b32 exec_lo, exec_lo, s19
.LBB372_2182:                           ;   in Loop: Header=BB372_2076 Depth=1
	s_or_b32 exec_lo, exec_lo, s18
	v_cmp_ne_u16_sdwa s4, v12, v13 src0_sel:BYTE_1 src1_sel:DWORD
	s_and_saveexec_b32 s18, s4
	s_cbranch_execz .LBB372_2190
; %bb.2183:                             ;   in Loop: Header=BB372_2076 Depth=1
	v_cmp_ne_u16_sdwa s4, v12, v103 src0_sel:BYTE_1 src1_sel:DWORD
	v_bfrev_b32_e32 v26, 1
	s_and_saveexec_b32 s19, s4
	s_cbranch_execz .LBB372_2189
; %bb.2184:                             ;   in Loop: Header=BB372_2076 Depth=1
	v_mov_b32_e32 v23, 0xffff
	v_mov_b32_e32 v26, 0x7f800001
	s_mov_b32 s20, exec_lo
	v_and_b32_sdwa v23, v23, v12 dst_sel:DWORD dst_unused:UNUSED_PAD src0_sel:DWORD src1_sel:BYTE_1
	v_and_b32_e32 v27, 0x7f, v23
	v_cmpx_ne_u32_e32 0x7f, v27
	s_cbranch_execz .LBB372_2188
; %bb.2185:                             ;   in Loop: Header=BB372_2076 Depth=1
	v_and_b32_e32 v23, 7, v23
	v_mov_b32_e32 v24, v13
	v_lshrrev_b32_e32 v26, 3, v27
	s_mov_b32 s21, exec_lo
	v_cmpx_gt_u32_e32 8, v27
; %bb.2186:                             ;   in Loop: Header=BB372_2076 Depth=1
	v_ffbh_u32_e32 v26, v23
	v_min_u32_e32 v26, 32, v26
	v_subrev_nc_u32_e32 v27, 28, v26
	v_sub_nc_u32_e32 v26, 29, v26
	v_lshlrev_b64 v[23:24], v27, v[23:24]
	v_and_b32_e32 v23, 7, v23
; %bb.2187:                             ;   in Loop: Header=BB372_2076 Depth=1
	s_or_b32 exec_lo, exec_lo, s21
	v_lshlrev_b32_e32 v12, 16, v12
	v_lshlrev_b32_e32 v23, 20, v23
	v_lshl_add_u32 v24, v26, 23, 0x3c000000
	v_and_b32_e32 v12, 0x80000000, v12
	v_or3_b32 v26, v23, v12, v24
.LBB372_2188:                           ;   in Loop: Header=BB372_2076 Depth=1
	s_or_b32 exec_lo, exec_lo, s20
.LBB372_2189:                           ;   in Loop: Header=BB372_2076 Depth=1
	s_or_b32 exec_lo, exec_lo, s19
.LBB372_2190:                           ;   in Loop: Header=BB372_2076 Depth=1
	s_or_b32 exec_lo, exec_lo, s18
	v_and_b32_sdwa v12, v22, v113 dst_sel:DWORD dst_unused:UNUSED_PAD src0_sel:WORD_1 src1_sel:DWORD
	v_mov_b32_e32 v27, 0
	v_mov_b32_e32 v28, 0
	s_mov_b32 s18, exec_lo
	v_cmpx_ne_u16_e32 0, v12
	s_cbranch_execz .LBB372_2198
; %bb.2191:                             ;   in Loop: Header=BB372_2076 Depth=1
	v_bfrev_b32_e32 v28, 1
	s_mov_b32 s19, exec_lo
	v_cmpx_ne_u16_e32 0x80, v12
	s_cbranch_execz .LBB372_2197
; %bb.2192:                             ;   in Loop: Header=BB372_2076 Depth=1
	v_bfe_u32 v23, v22, 16, 7
	v_mov_b32_e32 v28, 0x7f800001
	s_mov_b32 s20, exec_lo
	v_cmpx_ne_u32_e32 0x7f, v23
	s_cbranch_execz .LBB372_2196
; %bb.2193:                             ;   in Loop: Header=BB372_2076 Depth=1
	v_and_b32_sdwa v12, v22, v114 dst_sel:DWORD dst_unused:UNUSED_PAD src0_sel:WORD_1 src1_sel:DWORD
	v_lshrrev_b32_e32 v28, 3, v23
	v_cmp_gt_u32_e64 s4, 8, v23
	v_mov_b32_e32 v24, v13
	v_mov_b32_e32 v23, v12
	s_and_saveexec_b32 s21, s4
; %bb.2194:                             ;   in Loop: Header=BB372_2076 Depth=1
	v_ffbh_u32_e32 v23, v12
	v_min_u32_e32 v28, 32, v23
	v_subrev_nc_u32_e32 v23, 28, v28
	v_sub_nc_u32_e32 v28, 29, v28
	v_lshlrev_b64 v[23:24], v23, v[12:13]
	v_and_b32_e32 v23, 7, v23
; %bb.2195:                             ;   in Loop: Header=BB372_2076 Depth=1
	s_or_b32 exec_lo, exec_lo, s21
	v_lshlrev_b32_sdwa v12, v115, v22 dst_sel:DWORD dst_unused:UNUSED_PAD src0_sel:DWORD src1_sel:WORD_1
	v_lshlrev_b32_e32 v23, 20, v23
	v_lshl_add_u32 v24, v28, 23, 0x3c000000
	v_and_b32_e32 v12, 0x80000000, v12
	v_or3_b32 v28, v23, v12, v24
.LBB372_2196:                           ;   in Loop: Header=BB372_2076 Depth=1
	s_or_b32 exec_lo, exec_lo, s20
.LBB372_2197:                           ;   in Loop: Header=BB372_2076 Depth=1
	s_or_b32 exec_lo, exec_lo, s19
.LBB372_2198:                           ;   in Loop: Header=BB372_2076 Depth=1
	s_or_b32 exec_lo, exec_lo, s18
	s_mov_b32 s18, exec_lo
	v_cmpx_lt_u64_e64 s[6:7], v[21:22]
	s_cbranch_execz .LBB372_2206
; %bb.2199:                             ;   in Loop: Header=BB372_2076 Depth=1
	v_cmp_ne_u32_sdwa s4, v22, v103 src0_sel:BYTE_3 src1_sel:DWORD
	v_bfrev_b32_e32 v27, 1
	s_and_saveexec_b32 s19, s4
	s_cbranch_execz .LBB372_2205
; %bb.2200:                             ;   in Loop: Header=BB372_2076 Depth=1
	v_bfe_u32 v23, v22, 24, 7
	v_mov_b32_e32 v27, 0x7f800001
	s_mov_b32 s20, exec_lo
	v_cmpx_ne_u32_e32 0x7f, v23
	s_cbranch_execz .LBB372_2204
; %bb.2201:                             ;   in Loop: Header=BB372_2076 Depth=1
	v_and_b32_sdwa v12, v22, v114 dst_sel:DWORD dst_unused:UNUSED_PAD src0_sel:BYTE_3 src1_sel:DWORD
	v_lshrrev_b32_e32 v21, 3, v23
	v_cmp_gt_u32_e64 s4, 8, v23
	v_mov_b32_e32 v24, v13
	v_mov_b32_e32 v23, v12
	s_and_saveexec_b32 s21, s4
; %bb.2202:                             ;   in Loop: Header=BB372_2076 Depth=1
	v_ffbh_u32_e32 v21, v12
	v_min_u32_e32 v21, 32, v21
	v_subrev_nc_u32_e32 v23, 28, v21
	v_sub_nc_u32_e32 v21, 29, v21
	v_lshlrev_b64 v[23:24], v23, v[12:13]
	v_and_b32_e32 v23, 7, v23
; %bb.2203:                             ;   in Loop: Header=BB372_2076 Depth=1
	s_or_b32 exec_lo, exec_lo, s21
	v_lshlrev_b32_sdwa v12, v115, v22 dst_sel:DWORD dst_unused:UNUSED_PAD src0_sel:DWORD src1_sel:BYTE_3
	v_lshlrev_b32_e32 v22, 20, v23
	v_lshl_add_u32 v21, v21, 23, 0x3c000000
	v_and_b32_e32 v12, 0x80000000, v12
	v_or3_b32 v27, v22, v12, v21
.LBB372_2204:                           ;   in Loop: Header=BB372_2076 Depth=1
	s_or_b32 exec_lo, exec_lo, s20
.LBB372_2205:                           ;   in Loop: Header=BB372_2076 Depth=1
	s_or_b32 exec_lo, exec_lo, s19
.LBB372_2206:                           ;   in Loop: Header=BB372_2076 Depth=1
	s_or_b32 exec_lo, exec_lo, s18
	v_mul_f32_e32 v12, v97, v26
	v_mul_f32_e32 v21, v97, v25
	;; [unrolled: 1-line block ×5, first 2 shown]
	v_bfe_u32 v22, v12, 16, 1
	v_or_b32_e32 v23, 0x400000, v12
	v_bfe_u32 v24, v21, 16, 1
	v_cmp_u_f32_e64 s4, v12, v12
	v_or_b32_e32 v25, 0x400000, v21
	v_add3_u32 v22, v22, v12, 0x7fff
	v_bfe_u32 v26, v18, 16, 1
	v_add3_u32 v24, v24, v21, 0x7fff
	v_or_b32_e32 v29, 0x400000, v18
	v_bfe_u32 v30, v17, 16, 1
	v_cndmask_b32_e64 v12, v22, v23, s4
	v_cmp_u_f32_e64 s4, v21, v21
	v_add3_u32 v26, v26, v18, 0x7fff
	v_or_b32_e32 v22, 0x400000, v17
	v_mul_f32_e32 v0, v97, v0
	v_lshrrev_b32_e32 v12, 16, v12
	v_cndmask_b32_e64 v21, v24, v25, s4
	v_cmp_u_f32_e64 s4, v18, v18
	v_bfe_u32 v23, v0, 16, 1
	buffer_store_dword v12, off, s[0:3], s32 offset:244 ; 4-byte Folded Spill
	v_add3_u32 v12, v30, v17, 0x7fff
	v_cndmask_b32_e64 v18, v26, v29, s4
	v_lshrrev_b32_e32 v21, 16, v21
	v_cmp_u_f32_e64 s4, v17, v17
	v_mul_f32_e32 v17, v97, v28
	v_lshrrev_b32_e32 v18, 16, v18
	buffer_store_dword v21, off, s[0:3], s32 offset:240 ; 4-byte Folded Spill
	v_cndmask_b32_e64 v12, v12, v22, s4
	v_or_b32_e32 v21, 0x400000, v1
	v_cmp_u_f32_e64 s4, v1, v1
	buffer_store_dword v18, off, s[0:3], s32 offset:252 ; 4-byte Folded Spill
	v_bfe_u32 v18, v1, 16, 1
	v_mul_f32_e32 v22, v97, v27
	v_bfe_u32 v24, v17, 16, 1
	v_or_b32_e32 v25, 0x400000, v17
	v_lshrrev_b32_e32 v12, 16, v12
	v_add3_u32 v18, v18, v1, 0x7fff
	v_or_b32_e32 v26, 0x400000, v22
	v_add3_u32 v24, v24, v17, 0x7fff
	buffer_store_dword v12, off, s[0:3], s32 offset:248 ; 4-byte Folded Spill
	v_cndmask_b32_e64 v1, v18, v21, s4
	v_add3_u32 v21, v23, v0, 0x7fff
	v_or_b32_e32 v23, 0x400000, v0
	v_cmp_u_f32_e64 s4, v0, v0
	v_bfe_u32 v18, v22, 16, 1
	v_lshrrev_b32_e32 v1, 16, v1
	v_cndmask_b32_e64 v0, v21, v23, s4
	v_cmp_u_f32_e64 s4, v17, v17
	v_add3_u32 v18, v18, v22, 0x7fff
	buffer_store_dword v1, off, s[0:3], s32 offset:260 ; 4-byte Folded Spill
	v_lshrrev_b32_e32 v0, 16, v0
	v_cndmask_b32_e64 v17, v24, v25, s4
	v_cmp_u_f32_e64 s4, v22, v22
	buffer_store_dword v0, off, s[0:3], s32 offset:256 ; 4-byte Folded Spill
	v_lshrrev_b32_e32 v0, 16, v17
	v_cndmask_b32_e64 v18, v18, v26, s4
	buffer_store_dword v0, off, s[0:3], s32 offset:232 ; 4-byte Folded Spill
	v_lshrrev_b32_e32 v0, 16, v18
	buffer_store_dword v0, off, s[0:3], s32 offset:236 ; 4-byte Folded Spill
	s_and_saveexec_b32 s18, vcc_lo
	s_cbranch_execz .LBB372_2208
; %bb.2207:                             ;   in Loop: Header=BB372_2076 Depth=1
	s_clause 0x1
	buffer_load_dword v0, off, s[0:3], s32 offset:192
	buffer_load_dword v1, off, s[0:3], s32 offset:256
	s_waitcnt vmcnt(1)
	v_cmp_lt_i32_e64 s4, v124, v0
	s_waitcnt vmcnt(0)
	v_cndmask_b32_e64 v1, 0, v1, s4
	v_cmp_lt_i32_e64 s4, v11, v0
	buffer_store_dword v1, off, s[0:3], s32 offset:256 ; 4-byte Folded Spill
	buffer_load_dword v1, off, s[0:3], s32 offset:260 ; 4-byte Folded Reload
	s_waitcnt vmcnt(0)
	v_cndmask_b32_e64 v1, 0, v1, s4
	v_cmp_lt_i32_e64 s4, v10, v0
	buffer_store_dword v1, off, s[0:3], s32 offset:260 ; 4-byte Folded Spill
	buffer_load_dword v1, off, s[0:3], s32 offset:248 ; 4-byte Folded Reload
	;; [unrolled: 5-line block ×6, first 2 shown]
	s_waitcnt vmcnt(0)
	v_cndmask_b32_e64 v1, 0, v1, s4
	v_cmp_lt_i32_e64 s4, v65, v0
	buffer_load_dword v0, off, s[0:3], s32 offset:236 ; 4-byte Folded Reload
	buffer_store_dword v1, off, s[0:3], s32 offset:232 ; 4-byte Folded Spill
	s_waitcnt vmcnt(0)
	v_cndmask_b32_e64 v0, 0, v0, s4
	buffer_store_dword v0, off, s[0:3], s32 offset:236 ; 4-byte Folded Spill
.LBB372_2208:                           ;   in Loop: Header=BB372_2076 Depth=1
	s_or_b32 exec_lo, exec_lo, s18
	flat_load_dwordx2 v[21:22], v[19:20] offset:512
	v_mov_b32_e32 v1, 0
	v_mov_b32_e32 v0, 0
	s_waitcnt vmcnt(0) lgkmcnt(0)
	v_cmp_ne_u16_sdwa s4, v21, v13 src0_sel:BYTE_0 src1_sel:DWORD
	s_and_saveexec_b32 s18, s4
	s_cbranch_execz .LBB372_2216
; %bb.2209:                             ;   in Loop: Header=BB372_2076 Depth=1
	v_cmp_ne_u16_sdwa s4, v21, v103 src0_sel:BYTE_0 src1_sel:DWORD
	v_bfrev_b32_e32 v0, 1
	s_and_saveexec_b32 s19, s4
	s_cbranch_execz .LBB372_2215
; %bb.2210:                             ;   in Loop: Header=BB372_2076 Depth=1
	v_and_b32_e32 v12, 0x7f, v21
	v_mov_b32_e32 v0, 0x7f800001
	s_mov_b32 s20, exec_lo
	v_cmpx_ne_u32_e32 0x7f, v12
	s_cbranch_execz .LBB372_2214
; %bb.2211:                             ;   in Loop: Header=BB372_2076 Depth=1
	v_mov_b32_e32 v24, v22
	v_lshrrev_b32_e32 v0, 3, v12
	v_mov_b32_e32 v23, v21
	s_mov_b32 s21, exec_lo
	v_cmpx_gt_u32_e32 8, v12
; %bb.2212:                             ;   in Loop: Header=BB372_2076 Depth=1
	v_and_b32_e32 v0, 7, v21
	v_ffbh_u32_e32 v0, v0
	v_min_u32_e32 v0, 32, v0
	v_subrev_nc_u32_e32 v12, 28, v0
	v_sub_nc_u32_e32 v0, 29, v0
	v_lshlrev_b64 v[23:24], v12, v[21:22]
; %bb.2213:                             ;   in Loop: Header=BB372_2076 Depth=1
	s_or_b32 exec_lo, exec_lo, s21
	v_lshlrev_b32_e32 v12, 20, v23
	v_lshlrev_b32_e32 v17, 24, v21
	v_lshl_add_u32 v0, v0, 23, 0x3c000000
	v_and_b32_e32 v12, 0x700000, v12
	v_and_b32_e32 v17, 0x80000000, v17
	v_or3_b32 v0, v12, v17, v0
.LBB372_2214:                           ;   in Loop: Header=BB372_2076 Depth=1
	s_or_b32 exec_lo, exec_lo, s20
.LBB372_2215:                           ;   in Loop: Header=BB372_2076 Depth=1
	s_or_b32 exec_lo, exec_lo, s19
.LBB372_2216:                           ;   in Loop: Header=BB372_2076 Depth=1
	s_or_b32 exec_lo, exec_lo, s18
	v_cmp_ne_u16_sdwa s4, v21, v13 src0_sel:BYTE_1 src1_sel:DWORD
	s_and_saveexec_b32 s18, s4
	s_cbranch_execz .LBB372_2224
; %bb.2217:                             ;   in Loop: Header=BB372_2076 Depth=1
	v_cmp_ne_u16_sdwa s4, v21, v103 src0_sel:BYTE_1 src1_sel:DWORD
	v_bfrev_b32_e32 v1, 1
	s_and_saveexec_b32 s19, s4
	s_cbranch_execz .LBB372_2223
; %bb.2218:                             ;   in Loop: Header=BB372_2076 Depth=1
	v_mov_b32_e32 v1, 0xffff
	s_mov_b32 s20, exec_lo
	v_and_b32_sdwa v12, v1, v21 dst_sel:DWORD dst_unused:UNUSED_PAD src0_sel:DWORD src1_sel:BYTE_1
	v_mov_b32_e32 v1, 0x7f800001
	v_and_b32_e32 v17, 0x7f, v12
	v_cmpx_ne_u32_e32 0x7f, v17
	s_cbranch_execz .LBB372_2222
; %bb.2219:                             ;   in Loop: Header=BB372_2076 Depth=1
	v_and_b32_e32 v12, 7, v12
	v_mov_b32_e32 v24, v13
	v_lshrrev_b32_e32 v1, 3, v17
	s_mov_b32 s21, exec_lo
	v_mov_b32_e32 v23, v12
	v_cmpx_gt_u32_e32 8, v17
; %bb.2220:                             ;   in Loop: Header=BB372_2076 Depth=1
	v_ffbh_u32_e32 v1, v12
	v_min_u32_e32 v1, 32, v1
	v_subrev_nc_u32_e32 v17, 28, v1
	v_sub_nc_u32_e32 v1, 29, v1
	v_lshlrev_b64 v[17:18], v17, v[12:13]
	v_and_b32_e32 v23, 7, v17
; %bb.2221:                             ;   in Loop: Header=BB372_2076 Depth=1
	s_or_b32 exec_lo, exec_lo, s21
	v_lshlrev_b32_e32 v12, 16, v21
	v_lshlrev_b32_e32 v17, 20, v23
	v_lshl_add_u32 v1, v1, 23, 0x3c000000
	v_and_b32_e32 v12, 0x80000000, v12
	v_or3_b32 v1, v17, v12, v1
.LBB372_2222:                           ;   in Loop: Header=BB372_2076 Depth=1
	s_or_b32 exec_lo, exec_lo, s20
.LBB372_2223:                           ;   in Loop: Header=BB372_2076 Depth=1
	s_or_b32 exec_lo, exec_lo, s19
.LBB372_2224:                           ;   in Loop: Header=BB372_2076 Depth=1
	s_or_b32 exec_lo, exec_lo, s18
	v_and_b32_sdwa v12, v21, v113 dst_sel:DWORD dst_unused:UNUSED_PAD src0_sel:WORD_1 src1_sel:DWORD
	v_mov_b32_e32 v18, 0
	v_mov_b32_e32 v17, 0
	s_mov_b32 s18, exec_lo
	v_cmpx_ne_u16_e32 0, v12
	s_cbranch_execz .LBB372_2232
; %bb.2225:                             ;   in Loop: Header=BB372_2076 Depth=1
	v_bfrev_b32_e32 v17, 1
	s_mov_b32 s19, exec_lo
	v_cmpx_ne_u16_e32 0x80, v12
	s_cbranch_execz .LBB372_2231
; %bb.2226:                             ;   in Loop: Header=BB372_2076 Depth=1
	v_bfe_u32 v23, v21, 16, 7
	v_mov_b32_e32 v17, 0x7f800001
	s_mov_b32 s20, exec_lo
	v_cmpx_ne_u32_e32 0x7f, v23
	s_cbranch_execz .LBB372_2230
; %bb.2227:                             ;   in Loop: Header=BB372_2076 Depth=1
	v_and_b32_sdwa v12, v21, v114 dst_sel:DWORD dst_unused:UNUSED_PAD src0_sel:WORD_1 src1_sel:DWORD
	v_lshrrev_b32_e32 v17, 3, v23
	v_cmp_gt_u32_e64 s4, 8, v23
	v_mov_b32_e32 v24, v13
	v_mov_b32_e32 v23, v12
	s_and_saveexec_b32 s21, s4
; %bb.2228:                             ;   in Loop: Header=BB372_2076 Depth=1
	v_ffbh_u32_e32 v17, v12
	v_min_u32_e32 v17, 32, v17
	v_subrev_nc_u32_e32 v23, 28, v17
	v_sub_nc_u32_e32 v17, 29, v17
	v_lshlrev_b64 v[23:24], v23, v[12:13]
	v_and_b32_e32 v23, 7, v23
; %bb.2229:                             ;   in Loop: Header=BB372_2076 Depth=1
	s_or_b32 exec_lo, exec_lo, s21
	v_lshlrev_b32_sdwa v12, v115, v21 dst_sel:DWORD dst_unused:UNUSED_PAD src0_sel:DWORD src1_sel:WORD_1
	v_lshlrev_b32_e32 v23, 20, v23
	v_lshl_add_u32 v17, v17, 23, 0x3c000000
	v_and_b32_e32 v12, 0x80000000, v12
	v_or3_b32 v17, v23, v12, v17
.LBB372_2230:                           ;   in Loop: Header=BB372_2076 Depth=1
	s_or_b32 exec_lo, exec_lo, s20
.LBB372_2231:                           ;   in Loop: Header=BB372_2076 Depth=1
	s_or_b32 exec_lo, exec_lo, s19
.LBB372_2232:                           ;   in Loop: Header=BB372_2076 Depth=1
	s_or_b32 exec_lo, exec_lo, s18
	s_mov_b32 s18, exec_lo
	v_cmpx_lt_u32_e32 0xffffff, v21
	s_cbranch_execz .LBB372_2240
; %bb.2233:                             ;   in Loop: Header=BB372_2076 Depth=1
	v_cmp_ne_u32_sdwa s4, v21, v103 src0_sel:BYTE_3 src1_sel:DWORD
	v_bfrev_b32_e32 v18, 1
	s_and_saveexec_b32 s19, s4
	s_cbranch_execz .LBB372_2239
; %bb.2234:                             ;   in Loop: Header=BB372_2076 Depth=1
	v_bfe_u32 v23, v21, 24, 7
	v_mov_b32_e32 v18, 0x7f800001
	s_mov_b32 s20, exec_lo
	v_cmpx_ne_u32_e32 0x7f, v23
	s_cbranch_execz .LBB372_2238
; %bb.2235:                             ;   in Loop: Header=BB372_2076 Depth=1
	v_and_b32_sdwa v12, v21, v114 dst_sel:DWORD dst_unused:UNUSED_PAD src0_sel:BYTE_3 src1_sel:DWORD
	v_lshrrev_b32_e32 v18, 3, v23
	v_cmp_gt_u32_e64 s4, 8, v23
	v_mov_b32_e32 v24, v13
	v_mov_b32_e32 v23, v12
	s_and_saveexec_b32 s21, s4
; %bb.2236:                             ;   in Loop: Header=BB372_2076 Depth=1
	v_ffbh_u32_e32 v18, v12
	v_min_u32_e32 v18, 32, v18
	v_subrev_nc_u32_e32 v23, 28, v18
	v_sub_nc_u32_e32 v18, 29, v18
	v_lshlrev_b64 v[23:24], v23, v[12:13]
	v_and_b32_e32 v23, 7, v23
; %bb.2237:                             ;   in Loop: Header=BB372_2076 Depth=1
	s_or_b32 exec_lo, exec_lo, s21
	v_lshlrev_b32_sdwa v12, v115, v21 dst_sel:DWORD dst_unused:UNUSED_PAD src0_sel:DWORD src1_sel:BYTE_3
	v_lshlrev_b32_e32 v23, 20, v23
	v_lshl_add_u32 v18, v18, 23, 0x3c000000
	v_and_b32_e32 v12, 0x80000000, v12
	v_or3_b32 v18, v23, v12, v18
.LBB372_2238:                           ;   in Loop: Header=BB372_2076 Depth=1
	s_or_b32 exec_lo, exec_lo, s20
.LBB372_2239:                           ;   in Loop: Header=BB372_2076 Depth=1
	s_or_b32 exec_lo, exec_lo, s19
.LBB372_2240:                           ;   in Loop: Header=BB372_2076 Depth=1
	s_or_b32 exec_lo, exec_lo, s18
	v_mov_b32_e32 v12, v22
	v_cmp_ne_u16_sdwa s4, v22, v13 src0_sel:BYTE_0 src1_sel:DWORD
	v_mov_b32_e32 v26, 0
	v_mov_b32_e32 v25, 0
	s_and_saveexec_b32 s18, s4
	s_cbranch_execz .LBB372_2248
; %bb.2241:                             ;   in Loop: Header=BB372_2076 Depth=1
	v_cmp_ne_u16_sdwa s4, v22, v103 src0_sel:BYTE_0 src1_sel:DWORD
	v_bfrev_b32_e32 v25, 1
	s_and_saveexec_b32 s19, s4
	s_cbranch_execz .LBB372_2247
; %bb.2242:                             ;   in Loop: Header=BB372_2076 Depth=1
	v_and_b32_e32 v23, 0x7f, v22
	v_mov_b32_e32 v25, 0x7f800001
	s_mov_b32 s20, exec_lo
	v_cmpx_ne_u32_e32 0x7f, v23
	s_cbranch_execz .LBB372_2246
; %bb.2243:                             ;   in Loop: Header=BB372_2076 Depth=1
	v_lshrrev_b32_e32 v25, 3, v23
	v_cmp_gt_u32_e64 s4, 8, v23
	v_mov_b32_e32 v24, v13
	v_mov_b32_e32 v23, v12
	s_and_saveexec_b32 s21, s4
; %bb.2244:                             ;   in Loop: Header=BB372_2076 Depth=1
	v_and_b32_e32 v23, 7, v22
	v_ffbh_u32_e32 v23, v23
	v_min_u32_e32 v25, 32, v23
	v_subrev_nc_u32_e32 v23, 28, v25
	v_sub_nc_u32_e32 v25, 29, v25
	v_lshlrev_b64 v[23:24], v23, v[12:13]
; %bb.2245:                             ;   in Loop: Header=BB372_2076 Depth=1
	s_or_b32 exec_lo, exec_lo, s21
	v_lshlrev_b32_e32 v23, 20, v23
	v_lshlrev_b32_e32 v24, 24, v12
	v_lshl_add_u32 v25, v25, 23, 0x3c000000
	v_and_b32_e32 v23, 0x700000, v23
	v_and_b32_e32 v24, 0x80000000, v24
	v_or3_b32 v25, v23, v24, v25
.LBB372_2246:                           ;   in Loop: Header=BB372_2076 Depth=1
	s_or_b32 exec_lo, exec_lo, s20
.LBB372_2247:                           ;   in Loop: Header=BB372_2076 Depth=1
	s_or_b32 exec_lo, exec_lo, s19
.LBB372_2248:                           ;   in Loop: Header=BB372_2076 Depth=1
	s_or_b32 exec_lo, exec_lo, s18
	v_cmp_ne_u16_sdwa s4, v12, v13 src0_sel:BYTE_1 src1_sel:DWORD
	s_and_saveexec_b32 s18, s4
	s_cbranch_execz .LBB372_2256
; %bb.2249:                             ;   in Loop: Header=BB372_2076 Depth=1
	v_cmp_ne_u16_sdwa s4, v12, v103 src0_sel:BYTE_1 src1_sel:DWORD
	v_bfrev_b32_e32 v26, 1
	s_and_saveexec_b32 s19, s4
	s_cbranch_execz .LBB372_2255
; %bb.2250:                             ;   in Loop: Header=BB372_2076 Depth=1
	v_mov_b32_e32 v23, 0xffff
	v_mov_b32_e32 v26, 0x7f800001
	s_mov_b32 s20, exec_lo
	v_and_b32_sdwa v23, v23, v12 dst_sel:DWORD dst_unused:UNUSED_PAD src0_sel:DWORD src1_sel:BYTE_1
	v_and_b32_e32 v27, 0x7f, v23
	v_cmpx_ne_u32_e32 0x7f, v27
	s_cbranch_execz .LBB372_2254
; %bb.2251:                             ;   in Loop: Header=BB372_2076 Depth=1
	v_and_b32_e32 v23, 7, v23
	v_mov_b32_e32 v24, v13
	v_lshrrev_b32_e32 v26, 3, v27
	s_mov_b32 s21, exec_lo
	v_cmpx_gt_u32_e32 8, v27
; %bb.2252:                             ;   in Loop: Header=BB372_2076 Depth=1
	v_ffbh_u32_e32 v26, v23
	v_min_u32_e32 v26, 32, v26
	v_subrev_nc_u32_e32 v27, 28, v26
	v_sub_nc_u32_e32 v26, 29, v26
	v_lshlrev_b64 v[23:24], v27, v[23:24]
	v_and_b32_e32 v23, 7, v23
; %bb.2253:                             ;   in Loop: Header=BB372_2076 Depth=1
	s_or_b32 exec_lo, exec_lo, s21
	v_lshlrev_b32_e32 v12, 16, v12
	v_lshlrev_b32_e32 v23, 20, v23
	v_lshl_add_u32 v24, v26, 23, 0x3c000000
	v_and_b32_e32 v12, 0x80000000, v12
	v_or3_b32 v26, v23, v12, v24
.LBB372_2254:                           ;   in Loop: Header=BB372_2076 Depth=1
	s_or_b32 exec_lo, exec_lo, s20
.LBB372_2255:                           ;   in Loop: Header=BB372_2076 Depth=1
	s_or_b32 exec_lo, exec_lo, s19
.LBB372_2256:                           ;   in Loop: Header=BB372_2076 Depth=1
	s_or_b32 exec_lo, exec_lo, s18
	v_and_b32_sdwa v12, v22, v113 dst_sel:DWORD dst_unused:UNUSED_PAD src0_sel:WORD_1 src1_sel:DWORD
	v_mov_b32_e32 v27, 0
	v_mov_b32_e32 v28, 0
	s_mov_b32 s18, exec_lo
	v_cmpx_ne_u16_e32 0, v12
	s_cbranch_execz .LBB372_2264
; %bb.2257:                             ;   in Loop: Header=BB372_2076 Depth=1
	v_bfrev_b32_e32 v28, 1
	s_mov_b32 s19, exec_lo
	v_cmpx_ne_u16_e32 0x80, v12
	s_cbranch_execz .LBB372_2263
; %bb.2258:                             ;   in Loop: Header=BB372_2076 Depth=1
	v_bfe_u32 v23, v22, 16, 7
	v_mov_b32_e32 v28, 0x7f800001
	s_mov_b32 s20, exec_lo
	v_cmpx_ne_u32_e32 0x7f, v23
	s_cbranch_execz .LBB372_2262
; %bb.2259:                             ;   in Loop: Header=BB372_2076 Depth=1
	v_and_b32_sdwa v12, v22, v114 dst_sel:DWORD dst_unused:UNUSED_PAD src0_sel:WORD_1 src1_sel:DWORD
	v_lshrrev_b32_e32 v28, 3, v23
	v_cmp_gt_u32_e64 s4, 8, v23
	v_mov_b32_e32 v24, v13
	v_mov_b32_e32 v23, v12
	s_and_saveexec_b32 s21, s4
; %bb.2260:                             ;   in Loop: Header=BB372_2076 Depth=1
	v_ffbh_u32_e32 v23, v12
	v_min_u32_e32 v28, 32, v23
	v_subrev_nc_u32_e32 v23, 28, v28
	v_sub_nc_u32_e32 v28, 29, v28
	v_lshlrev_b64 v[23:24], v23, v[12:13]
	v_and_b32_e32 v23, 7, v23
; %bb.2261:                             ;   in Loop: Header=BB372_2076 Depth=1
	s_or_b32 exec_lo, exec_lo, s21
	v_lshlrev_b32_sdwa v12, v115, v22 dst_sel:DWORD dst_unused:UNUSED_PAD src0_sel:DWORD src1_sel:WORD_1
	v_lshlrev_b32_e32 v23, 20, v23
	v_lshl_add_u32 v24, v28, 23, 0x3c000000
	v_and_b32_e32 v12, 0x80000000, v12
	v_or3_b32 v28, v23, v12, v24
.LBB372_2262:                           ;   in Loop: Header=BB372_2076 Depth=1
	s_or_b32 exec_lo, exec_lo, s20
.LBB372_2263:                           ;   in Loop: Header=BB372_2076 Depth=1
	s_or_b32 exec_lo, exec_lo, s19
.LBB372_2264:                           ;   in Loop: Header=BB372_2076 Depth=1
	s_or_b32 exec_lo, exec_lo, s18
	s_mov_b32 s18, exec_lo
	v_cmpx_lt_u64_e64 s[6:7], v[21:22]
	s_cbranch_execz .LBB372_2272
; %bb.2265:                             ;   in Loop: Header=BB372_2076 Depth=1
	v_cmp_ne_u32_sdwa s4, v22, v103 src0_sel:BYTE_3 src1_sel:DWORD
	v_bfrev_b32_e32 v27, 1
	s_and_saveexec_b32 s19, s4
	s_cbranch_execz .LBB372_2271
; %bb.2266:                             ;   in Loop: Header=BB372_2076 Depth=1
	v_bfe_u32 v23, v22, 24, 7
	v_mov_b32_e32 v27, 0x7f800001
	s_mov_b32 s20, exec_lo
	v_cmpx_ne_u32_e32 0x7f, v23
	s_cbranch_execz .LBB372_2270
; %bb.2267:                             ;   in Loop: Header=BB372_2076 Depth=1
	v_and_b32_sdwa v12, v22, v114 dst_sel:DWORD dst_unused:UNUSED_PAD src0_sel:BYTE_3 src1_sel:DWORD
	v_lshrrev_b32_e32 v21, 3, v23
	v_cmp_gt_u32_e64 s4, 8, v23
	v_mov_b32_e32 v24, v13
	v_mov_b32_e32 v23, v12
	s_and_saveexec_b32 s21, s4
; %bb.2268:                             ;   in Loop: Header=BB372_2076 Depth=1
	v_ffbh_u32_e32 v21, v12
	v_min_u32_e32 v21, 32, v21
	v_subrev_nc_u32_e32 v23, 28, v21
	v_sub_nc_u32_e32 v21, 29, v21
	v_lshlrev_b64 v[23:24], v23, v[12:13]
	v_and_b32_e32 v23, 7, v23
; %bb.2269:                             ;   in Loop: Header=BB372_2076 Depth=1
	s_or_b32 exec_lo, exec_lo, s21
	v_lshlrev_b32_sdwa v12, v115, v22 dst_sel:DWORD dst_unused:UNUSED_PAD src0_sel:DWORD src1_sel:BYTE_3
	v_lshlrev_b32_e32 v22, 20, v23
	v_lshl_add_u32 v21, v21, 23, 0x3c000000
	v_and_b32_e32 v12, 0x80000000, v12
	v_or3_b32 v27, v22, v12, v21
.LBB372_2270:                           ;   in Loop: Header=BB372_2076 Depth=1
	s_or_b32 exec_lo, exec_lo, s20
.LBB372_2271:                           ;   in Loop: Header=BB372_2076 Depth=1
	s_or_b32 exec_lo, exec_lo, s19
.LBB372_2272:                           ;   in Loop: Header=BB372_2076 Depth=1
	s_or_b32 exec_lo, exec_lo, s18
	v_mul_f32_e32 v12, v97, v26
	v_mul_f32_e32 v21, v97, v25
	;; [unrolled: 1-line block ×5, first 2 shown]
	v_bfe_u32 v22, v12, 16, 1
	v_or_b32_e32 v23, 0x400000, v12
	v_bfe_u32 v24, v21, 16, 1
	v_cmp_u_f32_e64 s4, v12, v12
	v_or_b32_e32 v25, 0x400000, v21
	v_add3_u32 v22, v22, v12, 0x7fff
	v_bfe_u32 v26, v18, 16, 1
	v_add3_u32 v24, v24, v21, 0x7fff
	v_or_b32_e32 v29, 0x400000, v18
	v_bfe_u32 v30, v17, 16, 1
	v_cndmask_b32_e64 v12, v22, v23, s4
	v_cmp_u_f32_e64 s4, v21, v21
	v_add3_u32 v26, v26, v18, 0x7fff
	v_or_b32_e32 v22, 0x400000, v17
	v_mul_f32_e32 v0, v97, v0
	v_lshrrev_b32_e32 v12, 16, v12
	v_cndmask_b32_e64 v21, v24, v25, s4
	v_cmp_u_f32_e64 s4, v18, v18
	v_bfe_u32 v23, v0, 16, 1
	buffer_store_dword v12, off, s[0:3], s32 offset:276 ; 4-byte Folded Spill
	v_add3_u32 v12, v30, v17, 0x7fff
	v_cndmask_b32_e64 v18, v26, v29, s4
	v_lshrrev_b32_e32 v21, 16, v21
	v_cmp_u_f32_e64 s4, v17, v17
	v_mul_f32_e32 v17, v97, v28
	v_lshrrev_b32_e32 v18, 16, v18
	buffer_store_dword v21, off, s[0:3], s32 offset:272 ; 4-byte Folded Spill
	v_cndmask_b32_e64 v12, v12, v22, s4
	v_or_b32_e32 v21, 0x400000, v1
	v_cmp_u_f32_e64 s4, v1, v1
	buffer_store_dword v18, off, s[0:3], s32 offset:284 ; 4-byte Folded Spill
	v_bfe_u32 v18, v1, 16, 1
	v_mul_f32_e32 v22, v97, v27
	v_bfe_u32 v24, v17, 16, 1
	v_or_b32_e32 v25, 0x400000, v17
	v_lshrrev_b32_e32 v12, 16, v12
	v_add3_u32 v18, v18, v1, 0x7fff
	v_or_b32_e32 v26, 0x400000, v22
	v_add3_u32 v24, v24, v17, 0x7fff
	buffer_store_dword v12, off, s[0:3], s32 offset:280 ; 4-byte Folded Spill
	v_cndmask_b32_e64 v1, v18, v21, s4
	v_add3_u32 v21, v23, v0, 0x7fff
	v_or_b32_e32 v23, 0x400000, v0
	v_cmp_u_f32_e64 s4, v0, v0
	v_bfe_u32 v18, v22, 16, 1
	v_lshrrev_b32_e32 v1, 16, v1
	v_cndmask_b32_e64 v0, v21, v23, s4
	v_cmp_u_f32_e64 s4, v17, v17
	v_add3_u32 v18, v18, v22, 0x7fff
	buffer_store_dword v1, off, s[0:3], s32 offset:292 ; 4-byte Folded Spill
	v_lshrrev_b32_e32 v0, 16, v0
	v_cndmask_b32_e64 v17, v24, v25, s4
	v_cmp_u_f32_e64 s4, v22, v22
	buffer_store_dword v0, off, s[0:3], s32 offset:288 ; 4-byte Folded Spill
	v_lshrrev_b32_e32 v0, 16, v17
	v_cndmask_b32_e64 v18, v18, v26, s4
	buffer_store_dword v0, off, s[0:3], s32 offset:264 ; 4-byte Folded Spill
	v_lshrrev_b32_e32 v0, 16, v18
	buffer_store_dword v0, off, s[0:3], s32 offset:268 ; 4-byte Folded Spill
	s_and_saveexec_b32 s18, vcc_lo
	s_cbranch_execz .LBB372_2274
; %bb.2273:                             ;   in Loop: Header=BB372_2076 Depth=1
	s_clause 0x1
	buffer_load_dword v0, off, s[0:3], s32 offset:192
	buffer_load_dword v1, off, s[0:3], s32 offset:288
	s_waitcnt vmcnt(1)
	v_cmp_lt_i32_e64 s4, v124, v0
	s_waitcnt vmcnt(0)
	v_cndmask_b32_e64 v1, 0, v1, s4
	v_cmp_lt_i32_e64 s4, v11, v0
	buffer_store_dword v1, off, s[0:3], s32 offset:288 ; 4-byte Folded Spill
	buffer_load_dword v1, off, s[0:3], s32 offset:292 ; 4-byte Folded Reload
	s_waitcnt vmcnt(0)
	v_cndmask_b32_e64 v1, 0, v1, s4
	v_cmp_lt_i32_e64 s4, v10, v0
	buffer_store_dword v1, off, s[0:3], s32 offset:292 ; 4-byte Folded Spill
	buffer_load_dword v1, off, s[0:3], s32 offset:280 ; 4-byte Folded Reload
	;; [unrolled: 5-line block ×6, first 2 shown]
	s_waitcnt vmcnt(0)
	v_cndmask_b32_e64 v1, 0, v1, s4
	v_cmp_lt_i32_e64 s4, v65, v0
	buffer_load_dword v0, off, s[0:3], s32 offset:268 ; 4-byte Folded Reload
	buffer_store_dword v1, off, s[0:3], s32 offset:264 ; 4-byte Folded Spill
	s_waitcnt vmcnt(0)
	v_cndmask_b32_e64 v0, 0, v0, s4
	buffer_store_dword v0, off, s[0:3], s32 offset:268 ; 4-byte Folded Spill
.LBB372_2274:                           ;   in Loop: Header=BB372_2076 Depth=1
	s_or_b32 exec_lo, exec_lo, s18
	flat_load_dwordx2 v[21:22], v[19:20] offset:768
	v_mov_b32_e32 v1, 0
	v_mov_b32_e32 v0, 0
	s_waitcnt vmcnt(0) lgkmcnt(0)
	v_cmp_ne_u16_sdwa s4, v21, v13 src0_sel:BYTE_0 src1_sel:DWORD
	s_and_saveexec_b32 s18, s4
	s_cbranch_execz .LBB372_2282
; %bb.2275:                             ;   in Loop: Header=BB372_2076 Depth=1
	v_cmp_ne_u16_sdwa s4, v21, v103 src0_sel:BYTE_0 src1_sel:DWORD
	v_bfrev_b32_e32 v0, 1
	s_and_saveexec_b32 s19, s4
	s_cbranch_execz .LBB372_2281
; %bb.2276:                             ;   in Loop: Header=BB372_2076 Depth=1
	v_and_b32_e32 v12, 0x7f, v21
	v_mov_b32_e32 v0, 0x7f800001
	s_mov_b32 s20, exec_lo
	v_cmpx_ne_u32_e32 0x7f, v12
	s_cbranch_execz .LBB372_2280
; %bb.2277:                             ;   in Loop: Header=BB372_2076 Depth=1
	v_mov_b32_e32 v24, v22
	v_lshrrev_b32_e32 v0, 3, v12
	v_mov_b32_e32 v23, v21
	s_mov_b32 s21, exec_lo
	v_cmpx_gt_u32_e32 8, v12
; %bb.2278:                             ;   in Loop: Header=BB372_2076 Depth=1
	v_and_b32_e32 v0, 7, v21
	v_ffbh_u32_e32 v0, v0
	v_min_u32_e32 v0, 32, v0
	v_subrev_nc_u32_e32 v12, 28, v0
	v_sub_nc_u32_e32 v0, 29, v0
	v_lshlrev_b64 v[23:24], v12, v[21:22]
; %bb.2279:                             ;   in Loop: Header=BB372_2076 Depth=1
	s_or_b32 exec_lo, exec_lo, s21
	v_lshlrev_b32_e32 v12, 20, v23
	v_lshlrev_b32_e32 v17, 24, v21
	v_lshl_add_u32 v0, v0, 23, 0x3c000000
	v_and_b32_e32 v12, 0x700000, v12
	v_and_b32_e32 v17, 0x80000000, v17
	v_or3_b32 v0, v12, v17, v0
.LBB372_2280:                           ;   in Loop: Header=BB372_2076 Depth=1
	s_or_b32 exec_lo, exec_lo, s20
.LBB372_2281:                           ;   in Loop: Header=BB372_2076 Depth=1
	s_or_b32 exec_lo, exec_lo, s19
.LBB372_2282:                           ;   in Loop: Header=BB372_2076 Depth=1
	s_or_b32 exec_lo, exec_lo, s18
	v_cmp_ne_u16_sdwa s4, v21, v13 src0_sel:BYTE_1 src1_sel:DWORD
	s_and_saveexec_b32 s18, s4
	s_cbranch_execz .LBB372_2290
; %bb.2283:                             ;   in Loop: Header=BB372_2076 Depth=1
	v_cmp_ne_u16_sdwa s4, v21, v103 src0_sel:BYTE_1 src1_sel:DWORD
	v_bfrev_b32_e32 v1, 1
	s_and_saveexec_b32 s19, s4
	s_cbranch_execz .LBB372_2289
; %bb.2284:                             ;   in Loop: Header=BB372_2076 Depth=1
	v_mov_b32_e32 v1, 0xffff
	s_mov_b32 s20, exec_lo
	v_and_b32_sdwa v12, v1, v21 dst_sel:DWORD dst_unused:UNUSED_PAD src0_sel:DWORD src1_sel:BYTE_1
	v_mov_b32_e32 v1, 0x7f800001
	v_and_b32_e32 v17, 0x7f, v12
	v_cmpx_ne_u32_e32 0x7f, v17
	s_cbranch_execz .LBB372_2288
; %bb.2285:                             ;   in Loop: Header=BB372_2076 Depth=1
	v_and_b32_e32 v12, 7, v12
	v_mov_b32_e32 v24, v13
	v_lshrrev_b32_e32 v1, 3, v17
	s_mov_b32 s21, exec_lo
	v_mov_b32_e32 v23, v12
	v_cmpx_gt_u32_e32 8, v17
; %bb.2286:                             ;   in Loop: Header=BB372_2076 Depth=1
	v_ffbh_u32_e32 v1, v12
	v_min_u32_e32 v1, 32, v1
	v_subrev_nc_u32_e32 v17, 28, v1
	v_sub_nc_u32_e32 v1, 29, v1
	v_lshlrev_b64 v[17:18], v17, v[12:13]
	v_and_b32_e32 v23, 7, v17
; %bb.2287:                             ;   in Loop: Header=BB372_2076 Depth=1
	s_or_b32 exec_lo, exec_lo, s21
	v_lshlrev_b32_e32 v12, 16, v21
	v_lshlrev_b32_e32 v17, 20, v23
	v_lshl_add_u32 v1, v1, 23, 0x3c000000
	v_and_b32_e32 v12, 0x80000000, v12
	v_or3_b32 v1, v17, v12, v1
.LBB372_2288:                           ;   in Loop: Header=BB372_2076 Depth=1
	s_or_b32 exec_lo, exec_lo, s20
.LBB372_2289:                           ;   in Loop: Header=BB372_2076 Depth=1
	s_or_b32 exec_lo, exec_lo, s19
.LBB372_2290:                           ;   in Loop: Header=BB372_2076 Depth=1
	s_or_b32 exec_lo, exec_lo, s18
	v_and_b32_sdwa v12, v21, v113 dst_sel:DWORD dst_unused:UNUSED_PAD src0_sel:WORD_1 src1_sel:DWORD
	v_mov_b32_e32 v18, 0
	v_mov_b32_e32 v17, 0
	s_mov_b32 s18, exec_lo
	v_cmpx_ne_u16_e32 0, v12
	s_cbranch_execz .LBB372_2298
; %bb.2291:                             ;   in Loop: Header=BB372_2076 Depth=1
	v_bfrev_b32_e32 v17, 1
	s_mov_b32 s19, exec_lo
	v_cmpx_ne_u16_e32 0x80, v12
	s_cbranch_execz .LBB372_2297
; %bb.2292:                             ;   in Loop: Header=BB372_2076 Depth=1
	v_bfe_u32 v23, v21, 16, 7
	v_mov_b32_e32 v17, 0x7f800001
	s_mov_b32 s20, exec_lo
	v_cmpx_ne_u32_e32 0x7f, v23
	s_cbranch_execz .LBB372_2296
; %bb.2293:                             ;   in Loop: Header=BB372_2076 Depth=1
	v_and_b32_sdwa v12, v21, v114 dst_sel:DWORD dst_unused:UNUSED_PAD src0_sel:WORD_1 src1_sel:DWORD
	v_lshrrev_b32_e32 v17, 3, v23
	v_cmp_gt_u32_e64 s4, 8, v23
	v_mov_b32_e32 v24, v13
	v_mov_b32_e32 v23, v12
	s_and_saveexec_b32 s21, s4
; %bb.2294:                             ;   in Loop: Header=BB372_2076 Depth=1
	v_ffbh_u32_e32 v17, v12
	v_min_u32_e32 v17, 32, v17
	v_subrev_nc_u32_e32 v23, 28, v17
	v_sub_nc_u32_e32 v17, 29, v17
	v_lshlrev_b64 v[23:24], v23, v[12:13]
	v_and_b32_e32 v23, 7, v23
; %bb.2295:                             ;   in Loop: Header=BB372_2076 Depth=1
	s_or_b32 exec_lo, exec_lo, s21
	v_lshlrev_b32_sdwa v12, v115, v21 dst_sel:DWORD dst_unused:UNUSED_PAD src0_sel:DWORD src1_sel:WORD_1
	v_lshlrev_b32_e32 v23, 20, v23
	v_lshl_add_u32 v17, v17, 23, 0x3c000000
	v_and_b32_e32 v12, 0x80000000, v12
	v_or3_b32 v17, v23, v12, v17
.LBB372_2296:                           ;   in Loop: Header=BB372_2076 Depth=1
	s_or_b32 exec_lo, exec_lo, s20
.LBB372_2297:                           ;   in Loop: Header=BB372_2076 Depth=1
	s_or_b32 exec_lo, exec_lo, s19
.LBB372_2298:                           ;   in Loop: Header=BB372_2076 Depth=1
	s_or_b32 exec_lo, exec_lo, s18
	s_mov_b32 s18, exec_lo
	v_cmpx_lt_u32_e32 0xffffff, v21
	s_cbranch_execz .LBB372_2306
; %bb.2299:                             ;   in Loop: Header=BB372_2076 Depth=1
	v_cmp_ne_u32_sdwa s4, v21, v103 src0_sel:BYTE_3 src1_sel:DWORD
	v_bfrev_b32_e32 v18, 1
	s_and_saveexec_b32 s19, s4
	s_cbranch_execz .LBB372_2305
; %bb.2300:                             ;   in Loop: Header=BB372_2076 Depth=1
	v_bfe_u32 v23, v21, 24, 7
	v_mov_b32_e32 v18, 0x7f800001
	s_mov_b32 s20, exec_lo
	v_cmpx_ne_u32_e32 0x7f, v23
	s_cbranch_execz .LBB372_2304
; %bb.2301:                             ;   in Loop: Header=BB372_2076 Depth=1
	v_and_b32_sdwa v12, v21, v114 dst_sel:DWORD dst_unused:UNUSED_PAD src0_sel:BYTE_3 src1_sel:DWORD
	v_lshrrev_b32_e32 v18, 3, v23
	v_cmp_gt_u32_e64 s4, 8, v23
	v_mov_b32_e32 v24, v13
	v_mov_b32_e32 v23, v12
	s_and_saveexec_b32 s21, s4
; %bb.2302:                             ;   in Loop: Header=BB372_2076 Depth=1
	v_ffbh_u32_e32 v18, v12
	v_min_u32_e32 v18, 32, v18
	v_subrev_nc_u32_e32 v23, 28, v18
	v_sub_nc_u32_e32 v18, 29, v18
	v_lshlrev_b64 v[23:24], v23, v[12:13]
	v_and_b32_e32 v23, 7, v23
; %bb.2303:                             ;   in Loop: Header=BB372_2076 Depth=1
	s_or_b32 exec_lo, exec_lo, s21
	v_lshlrev_b32_sdwa v12, v115, v21 dst_sel:DWORD dst_unused:UNUSED_PAD src0_sel:DWORD src1_sel:BYTE_3
	v_lshlrev_b32_e32 v23, 20, v23
	v_lshl_add_u32 v18, v18, 23, 0x3c000000
	v_and_b32_e32 v12, 0x80000000, v12
	v_or3_b32 v18, v23, v12, v18
.LBB372_2304:                           ;   in Loop: Header=BB372_2076 Depth=1
	s_or_b32 exec_lo, exec_lo, s20
.LBB372_2305:                           ;   in Loop: Header=BB372_2076 Depth=1
	s_or_b32 exec_lo, exec_lo, s19
.LBB372_2306:                           ;   in Loop: Header=BB372_2076 Depth=1
	s_or_b32 exec_lo, exec_lo, s18
	v_mov_b32_e32 v12, v22
	v_cmp_ne_u16_sdwa s4, v22, v13 src0_sel:BYTE_0 src1_sel:DWORD
	v_mov_b32_e32 v26, 0
	v_mov_b32_e32 v25, 0
	s_and_saveexec_b32 s18, s4
	s_cbranch_execz .LBB372_2314
; %bb.2307:                             ;   in Loop: Header=BB372_2076 Depth=1
	v_cmp_ne_u16_sdwa s4, v22, v103 src0_sel:BYTE_0 src1_sel:DWORD
	v_bfrev_b32_e32 v25, 1
	s_and_saveexec_b32 s19, s4
	s_cbranch_execz .LBB372_2313
; %bb.2308:                             ;   in Loop: Header=BB372_2076 Depth=1
	v_and_b32_e32 v23, 0x7f, v22
	v_mov_b32_e32 v25, 0x7f800001
	s_mov_b32 s20, exec_lo
	v_cmpx_ne_u32_e32 0x7f, v23
	s_cbranch_execz .LBB372_2312
; %bb.2309:                             ;   in Loop: Header=BB372_2076 Depth=1
	v_lshrrev_b32_e32 v25, 3, v23
	v_cmp_gt_u32_e64 s4, 8, v23
	v_mov_b32_e32 v24, v13
	v_mov_b32_e32 v23, v12
	s_and_saveexec_b32 s21, s4
; %bb.2310:                             ;   in Loop: Header=BB372_2076 Depth=1
	v_and_b32_e32 v23, 7, v22
	v_ffbh_u32_e32 v23, v23
	v_min_u32_e32 v25, 32, v23
	v_subrev_nc_u32_e32 v23, 28, v25
	v_sub_nc_u32_e32 v25, 29, v25
	v_lshlrev_b64 v[23:24], v23, v[12:13]
; %bb.2311:                             ;   in Loop: Header=BB372_2076 Depth=1
	s_or_b32 exec_lo, exec_lo, s21
	v_lshlrev_b32_e32 v23, 20, v23
	v_lshlrev_b32_e32 v24, 24, v12
	v_lshl_add_u32 v25, v25, 23, 0x3c000000
	v_and_b32_e32 v23, 0x700000, v23
	v_and_b32_e32 v24, 0x80000000, v24
	v_or3_b32 v25, v23, v24, v25
.LBB372_2312:                           ;   in Loop: Header=BB372_2076 Depth=1
	s_or_b32 exec_lo, exec_lo, s20
.LBB372_2313:                           ;   in Loop: Header=BB372_2076 Depth=1
	s_or_b32 exec_lo, exec_lo, s19
.LBB372_2314:                           ;   in Loop: Header=BB372_2076 Depth=1
	s_or_b32 exec_lo, exec_lo, s18
	v_cmp_ne_u16_sdwa s4, v12, v13 src0_sel:BYTE_1 src1_sel:DWORD
	s_and_saveexec_b32 s18, s4
	s_cbranch_execz .LBB372_2322
; %bb.2315:                             ;   in Loop: Header=BB372_2076 Depth=1
	v_cmp_ne_u16_sdwa s4, v12, v103 src0_sel:BYTE_1 src1_sel:DWORD
	v_bfrev_b32_e32 v26, 1
	s_and_saveexec_b32 s19, s4
	s_cbranch_execz .LBB372_2321
; %bb.2316:                             ;   in Loop: Header=BB372_2076 Depth=1
	v_mov_b32_e32 v23, 0xffff
	v_mov_b32_e32 v26, 0x7f800001
	s_mov_b32 s20, exec_lo
	v_and_b32_sdwa v23, v23, v12 dst_sel:DWORD dst_unused:UNUSED_PAD src0_sel:DWORD src1_sel:BYTE_1
	v_and_b32_e32 v27, 0x7f, v23
	v_cmpx_ne_u32_e32 0x7f, v27
	s_cbranch_execz .LBB372_2320
; %bb.2317:                             ;   in Loop: Header=BB372_2076 Depth=1
	v_and_b32_e32 v23, 7, v23
	v_mov_b32_e32 v24, v13
	v_lshrrev_b32_e32 v26, 3, v27
	s_mov_b32 s21, exec_lo
	v_cmpx_gt_u32_e32 8, v27
; %bb.2318:                             ;   in Loop: Header=BB372_2076 Depth=1
	v_ffbh_u32_e32 v26, v23
	v_min_u32_e32 v26, 32, v26
	v_subrev_nc_u32_e32 v27, 28, v26
	v_sub_nc_u32_e32 v26, 29, v26
	v_lshlrev_b64 v[23:24], v27, v[23:24]
	v_and_b32_e32 v23, 7, v23
; %bb.2319:                             ;   in Loop: Header=BB372_2076 Depth=1
	s_or_b32 exec_lo, exec_lo, s21
	v_lshlrev_b32_e32 v12, 16, v12
	v_lshlrev_b32_e32 v23, 20, v23
	v_lshl_add_u32 v24, v26, 23, 0x3c000000
	v_and_b32_e32 v12, 0x80000000, v12
	v_or3_b32 v26, v23, v12, v24
.LBB372_2320:                           ;   in Loop: Header=BB372_2076 Depth=1
	s_or_b32 exec_lo, exec_lo, s20
.LBB372_2321:                           ;   in Loop: Header=BB372_2076 Depth=1
	s_or_b32 exec_lo, exec_lo, s19
.LBB372_2322:                           ;   in Loop: Header=BB372_2076 Depth=1
	s_or_b32 exec_lo, exec_lo, s18
	v_and_b32_sdwa v12, v22, v113 dst_sel:DWORD dst_unused:UNUSED_PAD src0_sel:WORD_1 src1_sel:DWORD
	v_mov_b32_e32 v27, 0
	v_mov_b32_e32 v28, 0
	s_mov_b32 s18, exec_lo
	v_cmpx_ne_u16_e32 0, v12
	s_cbranch_execz .LBB372_2330
; %bb.2323:                             ;   in Loop: Header=BB372_2076 Depth=1
	v_bfrev_b32_e32 v28, 1
	s_mov_b32 s19, exec_lo
	v_cmpx_ne_u16_e32 0x80, v12
	s_cbranch_execz .LBB372_2329
; %bb.2324:                             ;   in Loop: Header=BB372_2076 Depth=1
	v_bfe_u32 v23, v22, 16, 7
	v_mov_b32_e32 v28, 0x7f800001
	s_mov_b32 s20, exec_lo
	v_cmpx_ne_u32_e32 0x7f, v23
	s_cbranch_execz .LBB372_2328
; %bb.2325:                             ;   in Loop: Header=BB372_2076 Depth=1
	v_and_b32_sdwa v12, v22, v114 dst_sel:DWORD dst_unused:UNUSED_PAD src0_sel:WORD_1 src1_sel:DWORD
	v_lshrrev_b32_e32 v28, 3, v23
	v_cmp_gt_u32_e64 s4, 8, v23
	v_mov_b32_e32 v24, v13
	v_mov_b32_e32 v23, v12
	s_and_saveexec_b32 s21, s4
; %bb.2326:                             ;   in Loop: Header=BB372_2076 Depth=1
	v_ffbh_u32_e32 v23, v12
	v_min_u32_e32 v28, 32, v23
	v_subrev_nc_u32_e32 v23, 28, v28
	v_sub_nc_u32_e32 v28, 29, v28
	v_lshlrev_b64 v[23:24], v23, v[12:13]
	v_and_b32_e32 v23, 7, v23
; %bb.2327:                             ;   in Loop: Header=BB372_2076 Depth=1
	s_or_b32 exec_lo, exec_lo, s21
	v_lshlrev_b32_sdwa v12, v115, v22 dst_sel:DWORD dst_unused:UNUSED_PAD src0_sel:DWORD src1_sel:WORD_1
	v_lshlrev_b32_e32 v23, 20, v23
	v_lshl_add_u32 v24, v28, 23, 0x3c000000
	v_and_b32_e32 v12, 0x80000000, v12
	v_or3_b32 v28, v23, v12, v24
.LBB372_2328:                           ;   in Loop: Header=BB372_2076 Depth=1
	s_or_b32 exec_lo, exec_lo, s20
.LBB372_2329:                           ;   in Loop: Header=BB372_2076 Depth=1
	s_or_b32 exec_lo, exec_lo, s19
.LBB372_2330:                           ;   in Loop: Header=BB372_2076 Depth=1
	s_or_b32 exec_lo, exec_lo, s18
	s_mov_b32 s18, exec_lo
	v_cmpx_lt_u64_e64 s[6:7], v[21:22]
	s_cbranch_execz .LBB372_2338
; %bb.2331:                             ;   in Loop: Header=BB372_2076 Depth=1
	v_cmp_ne_u32_sdwa s4, v22, v103 src0_sel:BYTE_3 src1_sel:DWORD
	v_bfrev_b32_e32 v27, 1
	s_and_saveexec_b32 s19, s4
	s_cbranch_execz .LBB372_2337
; %bb.2332:                             ;   in Loop: Header=BB372_2076 Depth=1
	v_bfe_u32 v23, v22, 24, 7
	v_mov_b32_e32 v27, 0x7f800001
	s_mov_b32 s20, exec_lo
	v_cmpx_ne_u32_e32 0x7f, v23
	s_cbranch_execz .LBB372_2336
; %bb.2333:                             ;   in Loop: Header=BB372_2076 Depth=1
	v_and_b32_sdwa v12, v22, v114 dst_sel:DWORD dst_unused:UNUSED_PAD src0_sel:BYTE_3 src1_sel:DWORD
	v_lshrrev_b32_e32 v21, 3, v23
	v_cmp_gt_u32_e64 s4, 8, v23
	v_mov_b32_e32 v24, v13
	v_mov_b32_e32 v23, v12
	s_and_saveexec_b32 s21, s4
; %bb.2334:                             ;   in Loop: Header=BB372_2076 Depth=1
	v_ffbh_u32_e32 v21, v12
	v_min_u32_e32 v21, 32, v21
	v_subrev_nc_u32_e32 v23, 28, v21
	v_sub_nc_u32_e32 v21, 29, v21
	v_lshlrev_b64 v[23:24], v23, v[12:13]
	v_and_b32_e32 v23, 7, v23
; %bb.2335:                             ;   in Loop: Header=BB372_2076 Depth=1
	s_or_b32 exec_lo, exec_lo, s21
	v_lshlrev_b32_sdwa v12, v115, v22 dst_sel:DWORD dst_unused:UNUSED_PAD src0_sel:DWORD src1_sel:BYTE_3
	v_lshlrev_b32_e32 v22, 20, v23
	v_lshl_add_u32 v21, v21, 23, 0x3c000000
	v_and_b32_e32 v12, 0x80000000, v12
	v_or3_b32 v27, v22, v12, v21
.LBB372_2336:                           ;   in Loop: Header=BB372_2076 Depth=1
	s_or_b32 exec_lo, exec_lo, s20
.LBB372_2337:                           ;   in Loop: Header=BB372_2076 Depth=1
	s_or_b32 exec_lo, exec_lo, s19
.LBB372_2338:                           ;   in Loop: Header=BB372_2076 Depth=1
	s_or_b32 exec_lo, exec_lo, s18
	v_mul_f32_e32 v12, v97, v26
	v_mul_f32_e32 v21, v97, v25
	;; [unrolled: 1-line block ×5, first 2 shown]
	v_bfe_u32 v22, v12, 16, 1
	v_or_b32_e32 v23, 0x400000, v12
	v_bfe_u32 v24, v21, 16, 1
	v_cmp_u_f32_e64 s4, v12, v12
	v_or_b32_e32 v25, 0x400000, v21
	v_add3_u32 v22, v22, v12, 0x7fff
	v_bfe_u32 v26, v18, 16, 1
	v_add3_u32 v24, v24, v21, 0x7fff
	v_or_b32_e32 v29, 0x400000, v18
	v_bfe_u32 v30, v17, 16, 1
	v_cndmask_b32_e64 v12, v22, v23, s4
	v_cmp_u_f32_e64 s4, v21, v21
	v_add3_u32 v26, v26, v18, 0x7fff
	v_or_b32_e32 v22, 0x400000, v17
	v_mul_f32_e32 v0, v97, v0
	v_lshrrev_b32_e32 v12, 16, v12
	v_cndmask_b32_e64 v21, v24, v25, s4
	v_cmp_u_f32_e64 s4, v18, v18
	v_bfe_u32 v23, v0, 16, 1
	buffer_store_dword v12, off, s[0:3], s32 offset:308 ; 4-byte Folded Spill
	v_add3_u32 v12, v30, v17, 0x7fff
	v_cndmask_b32_e64 v18, v26, v29, s4
	v_lshrrev_b32_e32 v21, 16, v21
	v_cmp_u_f32_e64 s4, v17, v17
	v_mul_f32_e32 v17, v97, v28
	v_lshrrev_b32_e32 v18, 16, v18
	buffer_store_dword v21, off, s[0:3], s32 offset:300 ; 4-byte Folded Spill
	v_cndmask_b32_e64 v12, v12, v22, s4
	v_or_b32_e32 v21, 0x400000, v1
	v_cmp_u_f32_e64 s4, v1, v1
	buffer_store_dword v18, off, s[0:3], s32 offset:312 ; 4-byte Folded Spill
	v_bfe_u32 v18, v1, 16, 1
	v_mul_f32_e32 v22, v97, v27
	v_bfe_u32 v24, v17, 16, 1
	v_or_b32_e32 v25, 0x400000, v17
	v_lshrrev_b32_e32 v12, 16, v12
	v_add3_u32 v18, v18, v1, 0x7fff
	v_or_b32_e32 v26, 0x400000, v22
	v_add3_u32 v24, v24, v17, 0x7fff
	buffer_store_dword v12, off, s[0:3], s32 offset:316 ; 4-byte Folded Spill
	v_cndmask_b32_e64 v1, v18, v21, s4
	v_add3_u32 v21, v23, v0, 0x7fff
	v_or_b32_e32 v23, 0x400000, v0
	v_cmp_u_f32_e64 s4, v0, v0
	v_bfe_u32 v18, v22, 16, 1
	v_lshrrev_b32_e32 v1, 16, v1
	v_cndmask_b32_e64 v0, v21, v23, s4
	v_cmp_u_f32_e64 s4, v17, v17
	v_add3_u32 v18, v18, v22, 0x7fff
	buffer_store_dword v1, off, s[0:3], s32 offset:324 ; 4-byte Folded Spill
	v_lshrrev_b32_e32 v0, 16, v0
	v_cndmask_b32_e64 v17, v24, v25, s4
	v_cmp_u_f32_e64 s4, v22, v22
	buffer_store_dword v0, off, s[0:3], s32 offset:320 ; 4-byte Folded Spill
	v_lshrrev_b32_e32 v0, 16, v17
	v_cndmask_b32_e64 v18, v18, v26, s4
	buffer_store_dword v0, off, s[0:3], s32 offset:296 ; 4-byte Folded Spill
	v_lshrrev_b32_e32 v0, 16, v18
	buffer_store_dword v0, off, s[0:3], s32 offset:304 ; 4-byte Folded Spill
	s_and_saveexec_b32 s18, vcc_lo
	s_cbranch_execz .LBB372_2340
; %bb.2339:                             ;   in Loop: Header=BB372_2076 Depth=1
	s_clause 0x1
	buffer_load_dword v0, off, s[0:3], s32 offset:192
	buffer_load_dword v1, off, s[0:3], s32 offset:320
	s_waitcnt vmcnt(1)
	v_cmp_lt_i32_e64 s4, v124, v0
	s_waitcnt vmcnt(0)
	v_cndmask_b32_e64 v1, 0, v1, s4
	v_cmp_lt_i32_e64 s4, v11, v0
	buffer_store_dword v1, off, s[0:3], s32 offset:320 ; 4-byte Folded Spill
	buffer_load_dword v1, off, s[0:3], s32 offset:324 ; 4-byte Folded Reload
	s_waitcnt vmcnt(0)
	v_cndmask_b32_e64 v1, 0, v1, s4
	v_cmp_lt_i32_e64 s4, v10, v0
	buffer_store_dword v1, off, s[0:3], s32 offset:324 ; 4-byte Folded Spill
	buffer_load_dword v1, off, s[0:3], s32 offset:316 ; 4-byte Folded Reload
	;; [unrolled: 5-line block ×6, first 2 shown]
	s_waitcnt vmcnt(0)
	v_cndmask_b32_e64 v1, 0, v1, s4
	v_cmp_lt_i32_e64 s4, v65, v0
	buffer_load_dword v0, off, s[0:3], s32 offset:304 ; 4-byte Folded Reload
	buffer_store_dword v1, off, s[0:3], s32 offset:296 ; 4-byte Folded Spill
	s_waitcnt vmcnt(0)
	v_cndmask_b32_e64 v0, 0, v0, s4
	buffer_store_dword v0, off, s[0:3], s32 offset:304 ; 4-byte Folded Spill
.LBB372_2340:                           ;   in Loop: Header=BB372_2076 Depth=1
	s_or_b32 exec_lo, exec_lo, s18
	flat_load_dwordx2 v[21:22], v[19:20] offset:1024
	v_mov_b32_e32 v1, 0
	v_mov_b32_e32 v0, 0
	s_waitcnt vmcnt(0) lgkmcnt(0)
	v_cmp_ne_u16_sdwa s4, v21, v13 src0_sel:BYTE_0 src1_sel:DWORD
	s_and_saveexec_b32 s18, s4
	s_cbranch_execz .LBB372_2348
; %bb.2341:                             ;   in Loop: Header=BB372_2076 Depth=1
	v_cmp_ne_u16_sdwa s4, v21, v103 src0_sel:BYTE_0 src1_sel:DWORD
	v_bfrev_b32_e32 v0, 1
	s_and_saveexec_b32 s19, s4
	s_cbranch_execz .LBB372_2347
; %bb.2342:                             ;   in Loop: Header=BB372_2076 Depth=1
	v_and_b32_e32 v12, 0x7f, v21
	v_mov_b32_e32 v0, 0x7f800001
	s_mov_b32 s20, exec_lo
	v_cmpx_ne_u32_e32 0x7f, v12
	s_cbranch_execz .LBB372_2346
; %bb.2343:                             ;   in Loop: Header=BB372_2076 Depth=1
	v_mov_b32_e32 v24, v22
	v_lshrrev_b32_e32 v0, 3, v12
	v_mov_b32_e32 v23, v21
	s_mov_b32 s21, exec_lo
	v_cmpx_gt_u32_e32 8, v12
; %bb.2344:                             ;   in Loop: Header=BB372_2076 Depth=1
	v_and_b32_e32 v0, 7, v21
	v_ffbh_u32_e32 v0, v0
	v_min_u32_e32 v0, 32, v0
	v_subrev_nc_u32_e32 v12, 28, v0
	v_sub_nc_u32_e32 v0, 29, v0
	v_lshlrev_b64 v[23:24], v12, v[21:22]
; %bb.2345:                             ;   in Loop: Header=BB372_2076 Depth=1
	s_or_b32 exec_lo, exec_lo, s21
	v_lshlrev_b32_e32 v12, 20, v23
	v_lshlrev_b32_e32 v17, 24, v21
	v_lshl_add_u32 v0, v0, 23, 0x3c000000
	v_and_b32_e32 v12, 0x700000, v12
	v_and_b32_e32 v17, 0x80000000, v17
	v_or3_b32 v0, v12, v17, v0
.LBB372_2346:                           ;   in Loop: Header=BB372_2076 Depth=1
	s_or_b32 exec_lo, exec_lo, s20
.LBB372_2347:                           ;   in Loop: Header=BB372_2076 Depth=1
	s_or_b32 exec_lo, exec_lo, s19
.LBB372_2348:                           ;   in Loop: Header=BB372_2076 Depth=1
	s_or_b32 exec_lo, exec_lo, s18
	v_cmp_ne_u16_sdwa s4, v21, v13 src0_sel:BYTE_1 src1_sel:DWORD
	s_and_saveexec_b32 s18, s4
	s_cbranch_execz .LBB372_2356
; %bb.2349:                             ;   in Loop: Header=BB372_2076 Depth=1
	v_cmp_ne_u16_sdwa s4, v21, v103 src0_sel:BYTE_1 src1_sel:DWORD
	v_bfrev_b32_e32 v1, 1
	s_and_saveexec_b32 s19, s4
	s_cbranch_execz .LBB372_2355
; %bb.2350:                             ;   in Loop: Header=BB372_2076 Depth=1
	v_mov_b32_e32 v1, 0xffff
	s_mov_b32 s20, exec_lo
	v_and_b32_sdwa v12, v1, v21 dst_sel:DWORD dst_unused:UNUSED_PAD src0_sel:DWORD src1_sel:BYTE_1
	v_mov_b32_e32 v1, 0x7f800001
	v_and_b32_e32 v17, 0x7f, v12
	v_cmpx_ne_u32_e32 0x7f, v17
	s_cbranch_execz .LBB372_2354
; %bb.2351:                             ;   in Loop: Header=BB372_2076 Depth=1
	v_and_b32_e32 v12, 7, v12
	v_mov_b32_e32 v24, v13
	v_lshrrev_b32_e32 v1, 3, v17
	s_mov_b32 s21, exec_lo
	v_mov_b32_e32 v23, v12
	v_cmpx_gt_u32_e32 8, v17
; %bb.2352:                             ;   in Loop: Header=BB372_2076 Depth=1
	v_ffbh_u32_e32 v1, v12
	v_min_u32_e32 v1, 32, v1
	v_subrev_nc_u32_e32 v17, 28, v1
	v_sub_nc_u32_e32 v1, 29, v1
	v_lshlrev_b64 v[17:18], v17, v[12:13]
	v_and_b32_e32 v23, 7, v17
; %bb.2353:                             ;   in Loop: Header=BB372_2076 Depth=1
	s_or_b32 exec_lo, exec_lo, s21
	v_lshlrev_b32_e32 v12, 16, v21
	v_lshlrev_b32_e32 v17, 20, v23
	v_lshl_add_u32 v1, v1, 23, 0x3c000000
	v_and_b32_e32 v12, 0x80000000, v12
	v_or3_b32 v1, v17, v12, v1
.LBB372_2354:                           ;   in Loop: Header=BB372_2076 Depth=1
	s_or_b32 exec_lo, exec_lo, s20
.LBB372_2355:                           ;   in Loop: Header=BB372_2076 Depth=1
	s_or_b32 exec_lo, exec_lo, s19
.LBB372_2356:                           ;   in Loop: Header=BB372_2076 Depth=1
	s_or_b32 exec_lo, exec_lo, s18
	v_and_b32_sdwa v12, v21, v113 dst_sel:DWORD dst_unused:UNUSED_PAD src0_sel:WORD_1 src1_sel:DWORD
	v_mov_b32_e32 v18, 0
	v_mov_b32_e32 v17, 0
	s_mov_b32 s18, exec_lo
	v_cmpx_ne_u16_e32 0, v12
	s_cbranch_execz .LBB372_2364
; %bb.2357:                             ;   in Loop: Header=BB372_2076 Depth=1
	v_bfrev_b32_e32 v17, 1
	s_mov_b32 s19, exec_lo
	v_cmpx_ne_u16_e32 0x80, v12
	s_cbranch_execz .LBB372_2363
; %bb.2358:                             ;   in Loop: Header=BB372_2076 Depth=1
	v_bfe_u32 v23, v21, 16, 7
	v_mov_b32_e32 v17, 0x7f800001
	s_mov_b32 s20, exec_lo
	v_cmpx_ne_u32_e32 0x7f, v23
	s_cbranch_execz .LBB372_2362
; %bb.2359:                             ;   in Loop: Header=BB372_2076 Depth=1
	v_and_b32_sdwa v12, v21, v114 dst_sel:DWORD dst_unused:UNUSED_PAD src0_sel:WORD_1 src1_sel:DWORD
	v_lshrrev_b32_e32 v17, 3, v23
	v_cmp_gt_u32_e64 s4, 8, v23
	v_mov_b32_e32 v24, v13
	v_mov_b32_e32 v23, v12
	s_and_saveexec_b32 s21, s4
; %bb.2360:                             ;   in Loop: Header=BB372_2076 Depth=1
	v_ffbh_u32_e32 v17, v12
	v_min_u32_e32 v17, 32, v17
	v_subrev_nc_u32_e32 v23, 28, v17
	v_sub_nc_u32_e32 v17, 29, v17
	v_lshlrev_b64 v[23:24], v23, v[12:13]
	v_and_b32_e32 v23, 7, v23
; %bb.2361:                             ;   in Loop: Header=BB372_2076 Depth=1
	s_or_b32 exec_lo, exec_lo, s21
	v_lshlrev_b32_sdwa v12, v115, v21 dst_sel:DWORD dst_unused:UNUSED_PAD src0_sel:DWORD src1_sel:WORD_1
	v_lshlrev_b32_e32 v23, 20, v23
	v_lshl_add_u32 v17, v17, 23, 0x3c000000
	v_and_b32_e32 v12, 0x80000000, v12
	v_or3_b32 v17, v23, v12, v17
.LBB372_2362:                           ;   in Loop: Header=BB372_2076 Depth=1
	s_or_b32 exec_lo, exec_lo, s20
.LBB372_2363:                           ;   in Loop: Header=BB372_2076 Depth=1
	s_or_b32 exec_lo, exec_lo, s19
.LBB372_2364:                           ;   in Loop: Header=BB372_2076 Depth=1
	s_or_b32 exec_lo, exec_lo, s18
	s_mov_b32 s18, exec_lo
	v_cmpx_lt_u32_e32 0xffffff, v21
	s_cbranch_execz .LBB372_2372
; %bb.2365:                             ;   in Loop: Header=BB372_2076 Depth=1
	v_cmp_ne_u32_sdwa s4, v21, v103 src0_sel:BYTE_3 src1_sel:DWORD
	v_bfrev_b32_e32 v18, 1
	s_and_saveexec_b32 s19, s4
	s_cbranch_execz .LBB372_2371
; %bb.2366:                             ;   in Loop: Header=BB372_2076 Depth=1
	v_bfe_u32 v23, v21, 24, 7
	v_mov_b32_e32 v18, 0x7f800001
	s_mov_b32 s20, exec_lo
	v_cmpx_ne_u32_e32 0x7f, v23
	s_cbranch_execz .LBB372_2370
; %bb.2367:                             ;   in Loop: Header=BB372_2076 Depth=1
	v_and_b32_sdwa v12, v21, v114 dst_sel:DWORD dst_unused:UNUSED_PAD src0_sel:BYTE_3 src1_sel:DWORD
	v_lshrrev_b32_e32 v18, 3, v23
	v_cmp_gt_u32_e64 s4, 8, v23
	v_mov_b32_e32 v24, v13
	v_mov_b32_e32 v23, v12
	s_and_saveexec_b32 s21, s4
; %bb.2368:                             ;   in Loop: Header=BB372_2076 Depth=1
	v_ffbh_u32_e32 v18, v12
	v_min_u32_e32 v18, 32, v18
	v_subrev_nc_u32_e32 v23, 28, v18
	v_sub_nc_u32_e32 v18, 29, v18
	v_lshlrev_b64 v[23:24], v23, v[12:13]
	v_and_b32_e32 v23, 7, v23
; %bb.2369:                             ;   in Loop: Header=BB372_2076 Depth=1
	s_or_b32 exec_lo, exec_lo, s21
	v_lshlrev_b32_sdwa v12, v115, v21 dst_sel:DWORD dst_unused:UNUSED_PAD src0_sel:DWORD src1_sel:BYTE_3
	v_lshlrev_b32_e32 v23, 20, v23
	v_lshl_add_u32 v18, v18, 23, 0x3c000000
	v_and_b32_e32 v12, 0x80000000, v12
	v_or3_b32 v18, v23, v12, v18
.LBB372_2370:                           ;   in Loop: Header=BB372_2076 Depth=1
	s_or_b32 exec_lo, exec_lo, s20
.LBB372_2371:                           ;   in Loop: Header=BB372_2076 Depth=1
	s_or_b32 exec_lo, exec_lo, s19
.LBB372_2372:                           ;   in Loop: Header=BB372_2076 Depth=1
	s_or_b32 exec_lo, exec_lo, s18
	v_mov_b32_e32 v12, v22
	v_cmp_ne_u16_sdwa s4, v22, v13 src0_sel:BYTE_0 src1_sel:DWORD
	v_mov_b32_e32 v26, 0
	v_mov_b32_e32 v25, 0
	s_and_saveexec_b32 s18, s4
	s_cbranch_execz .LBB372_2380
; %bb.2373:                             ;   in Loop: Header=BB372_2076 Depth=1
	v_cmp_ne_u16_sdwa s4, v22, v103 src0_sel:BYTE_0 src1_sel:DWORD
	v_bfrev_b32_e32 v25, 1
	s_and_saveexec_b32 s19, s4
	s_cbranch_execz .LBB372_2379
; %bb.2374:                             ;   in Loop: Header=BB372_2076 Depth=1
	v_and_b32_e32 v23, 0x7f, v22
	v_mov_b32_e32 v25, 0x7f800001
	s_mov_b32 s20, exec_lo
	v_cmpx_ne_u32_e32 0x7f, v23
	s_cbranch_execz .LBB372_2378
; %bb.2375:                             ;   in Loop: Header=BB372_2076 Depth=1
	v_lshrrev_b32_e32 v25, 3, v23
	v_cmp_gt_u32_e64 s4, 8, v23
	v_mov_b32_e32 v24, v13
	v_mov_b32_e32 v23, v12
	s_and_saveexec_b32 s21, s4
; %bb.2376:                             ;   in Loop: Header=BB372_2076 Depth=1
	v_and_b32_e32 v23, 7, v22
	v_ffbh_u32_e32 v23, v23
	v_min_u32_e32 v25, 32, v23
	v_subrev_nc_u32_e32 v23, 28, v25
	v_sub_nc_u32_e32 v25, 29, v25
	v_lshlrev_b64 v[23:24], v23, v[12:13]
; %bb.2377:                             ;   in Loop: Header=BB372_2076 Depth=1
	s_or_b32 exec_lo, exec_lo, s21
	v_lshlrev_b32_e32 v23, 20, v23
	v_lshlrev_b32_e32 v24, 24, v12
	v_lshl_add_u32 v25, v25, 23, 0x3c000000
	v_and_b32_e32 v23, 0x700000, v23
	v_and_b32_e32 v24, 0x80000000, v24
	v_or3_b32 v25, v23, v24, v25
.LBB372_2378:                           ;   in Loop: Header=BB372_2076 Depth=1
	s_or_b32 exec_lo, exec_lo, s20
.LBB372_2379:                           ;   in Loop: Header=BB372_2076 Depth=1
	s_or_b32 exec_lo, exec_lo, s19
.LBB372_2380:                           ;   in Loop: Header=BB372_2076 Depth=1
	s_or_b32 exec_lo, exec_lo, s18
	v_cmp_ne_u16_sdwa s4, v12, v13 src0_sel:BYTE_1 src1_sel:DWORD
	s_and_saveexec_b32 s18, s4
	s_cbranch_execz .LBB372_2388
; %bb.2381:                             ;   in Loop: Header=BB372_2076 Depth=1
	v_cmp_ne_u16_sdwa s4, v12, v103 src0_sel:BYTE_1 src1_sel:DWORD
	v_bfrev_b32_e32 v26, 1
	s_and_saveexec_b32 s19, s4
	s_cbranch_execz .LBB372_2387
; %bb.2382:                             ;   in Loop: Header=BB372_2076 Depth=1
	v_mov_b32_e32 v23, 0xffff
	v_mov_b32_e32 v26, 0x7f800001
	s_mov_b32 s20, exec_lo
	v_and_b32_sdwa v23, v23, v12 dst_sel:DWORD dst_unused:UNUSED_PAD src0_sel:DWORD src1_sel:BYTE_1
	v_and_b32_e32 v27, 0x7f, v23
	v_cmpx_ne_u32_e32 0x7f, v27
	s_cbranch_execz .LBB372_2386
; %bb.2383:                             ;   in Loop: Header=BB372_2076 Depth=1
	v_and_b32_e32 v23, 7, v23
	v_mov_b32_e32 v24, v13
	v_lshrrev_b32_e32 v26, 3, v27
	s_mov_b32 s21, exec_lo
	v_cmpx_gt_u32_e32 8, v27
; %bb.2384:                             ;   in Loop: Header=BB372_2076 Depth=1
	v_ffbh_u32_e32 v26, v23
	v_min_u32_e32 v26, 32, v26
	v_subrev_nc_u32_e32 v27, 28, v26
	v_sub_nc_u32_e32 v26, 29, v26
	v_lshlrev_b64 v[23:24], v27, v[23:24]
	v_and_b32_e32 v23, 7, v23
; %bb.2385:                             ;   in Loop: Header=BB372_2076 Depth=1
	s_or_b32 exec_lo, exec_lo, s21
	v_lshlrev_b32_e32 v12, 16, v12
	v_lshlrev_b32_e32 v23, 20, v23
	v_lshl_add_u32 v24, v26, 23, 0x3c000000
	v_and_b32_e32 v12, 0x80000000, v12
	v_or3_b32 v26, v23, v12, v24
.LBB372_2386:                           ;   in Loop: Header=BB372_2076 Depth=1
	s_or_b32 exec_lo, exec_lo, s20
.LBB372_2387:                           ;   in Loop: Header=BB372_2076 Depth=1
	s_or_b32 exec_lo, exec_lo, s19
.LBB372_2388:                           ;   in Loop: Header=BB372_2076 Depth=1
	s_or_b32 exec_lo, exec_lo, s18
	v_and_b32_sdwa v12, v22, v113 dst_sel:DWORD dst_unused:UNUSED_PAD src0_sel:WORD_1 src1_sel:DWORD
	v_mov_b32_e32 v27, 0
	v_mov_b32_e32 v28, 0
	s_mov_b32 s18, exec_lo
	v_cmpx_ne_u16_e32 0, v12
	s_cbranch_execz .LBB372_2396
; %bb.2389:                             ;   in Loop: Header=BB372_2076 Depth=1
	v_bfrev_b32_e32 v28, 1
	s_mov_b32 s19, exec_lo
	v_cmpx_ne_u16_e32 0x80, v12
	s_cbranch_execz .LBB372_2395
; %bb.2390:                             ;   in Loop: Header=BB372_2076 Depth=1
	v_bfe_u32 v23, v22, 16, 7
	v_mov_b32_e32 v28, 0x7f800001
	s_mov_b32 s20, exec_lo
	v_cmpx_ne_u32_e32 0x7f, v23
	s_cbranch_execz .LBB372_2394
; %bb.2391:                             ;   in Loop: Header=BB372_2076 Depth=1
	v_and_b32_sdwa v12, v22, v114 dst_sel:DWORD dst_unused:UNUSED_PAD src0_sel:WORD_1 src1_sel:DWORD
	v_lshrrev_b32_e32 v28, 3, v23
	v_cmp_gt_u32_e64 s4, 8, v23
	v_mov_b32_e32 v24, v13
	v_mov_b32_e32 v23, v12
	s_and_saveexec_b32 s21, s4
; %bb.2392:                             ;   in Loop: Header=BB372_2076 Depth=1
	v_ffbh_u32_e32 v23, v12
	v_min_u32_e32 v28, 32, v23
	v_subrev_nc_u32_e32 v23, 28, v28
	v_sub_nc_u32_e32 v28, 29, v28
	v_lshlrev_b64 v[23:24], v23, v[12:13]
	v_and_b32_e32 v23, 7, v23
; %bb.2393:                             ;   in Loop: Header=BB372_2076 Depth=1
	s_or_b32 exec_lo, exec_lo, s21
	v_lshlrev_b32_sdwa v12, v115, v22 dst_sel:DWORD dst_unused:UNUSED_PAD src0_sel:DWORD src1_sel:WORD_1
	v_lshlrev_b32_e32 v23, 20, v23
	v_lshl_add_u32 v24, v28, 23, 0x3c000000
	v_and_b32_e32 v12, 0x80000000, v12
	v_or3_b32 v28, v23, v12, v24
.LBB372_2394:                           ;   in Loop: Header=BB372_2076 Depth=1
	s_or_b32 exec_lo, exec_lo, s20
.LBB372_2395:                           ;   in Loop: Header=BB372_2076 Depth=1
	s_or_b32 exec_lo, exec_lo, s19
.LBB372_2396:                           ;   in Loop: Header=BB372_2076 Depth=1
	s_or_b32 exec_lo, exec_lo, s18
	s_mov_b32 s18, exec_lo
	v_cmpx_lt_u64_e64 s[6:7], v[21:22]
	s_cbranch_execz .LBB372_2404
; %bb.2397:                             ;   in Loop: Header=BB372_2076 Depth=1
	v_cmp_ne_u32_sdwa s4, v22, v103 src0_sel:BYTE_3 src1_sel:DWORD
	v_bfrev_b32_e32 v27, 1
	s_and_saveexec_b32 s19, s4
	s_cbranch_execz .LBB372_2403
; %bb.2398:                             ;   in Loop: Header=BB372_2076 Depth=1
	v_bfe_u32 v23, v22, 24, 7
	v_mov_b32_e32 v27, 0x7f800001
	s_mov_b32 s20, exec_lo
	v_cmpx_ne_u32_e32 0x7f, v23
	s_cbranch_execz .LBB372_2402
; %bb.2399:                             ;   in Loop: Header=BB372_2076 Depth=1
	v_and_b32_sdwa v12, v22, v114 dst_sel:DWORD dst_unused:UNUSED_PAD src0_sel:BYTE_3 src1_sel:DWORD
	v_lshrrev_b32_e32 v21, 3, v23
	v_cmp_gt_u32_e64 s4, 8, v23
	v_mov_b32_e32 v24, v13
	v_mov_b32_e32 v23, v12
	s_and_saveexec_b32 s21, s4
; %bb.2400:                             ;   in Loop: Header=BB372_2076 Depth=1
	v_ffbh_u32_e32 v21, v12
	v_min_u32_e32 v21, 32, v21
	v_subrev_nc_u32_e32 v23, 28, v21
	v_sub_nc_u32_e32 v21, 29, v21
	v_lshlrev_b64 v[23:24], v23, v[12:13]
	v_and_b32_e32 v23, 7, v23
; %bb.2401:                             ;   in Loop: Header=BB372_2076 Depth=1
	s_or_b32 exec_lo, exec_lo, s21
	v_lshlrev_b32_sdwa v12, v115, v22 dst_sel:DWORD dst_unused:UNUSED_PAD src0_sel:DWORD src1_sel:BYTE_3
	v_lshlrev_b32_e32 v22, 20, v23
	v_lshl_add_u32 v21, v21, 23, 0x3c000000
	v_and_b32_e32 v12, 0x80000000, v12
	v_or3_b32 v27, v22, v12, v21
.LBB372_2402:                           ;   in Loop: Header=BB372_2076 Depth=1
	s_or_b32 exec_lo, exec_lo, s20
.LBB372_2403:                           ;   in Loop: Header=BB372_2076 Depth=1
	s_or_b32 exec_lo, exec_lo, s19
.LBB372_2404:                           ;   in Loop: Header=BB372_2076 Depth=1
	s_or_b32 exec_lo, exec_lo, s18
	v_mul_f32_e32 v12, v97, v26
	v_mul_f32_e32 v21, v97, v25
	v_mul_f32_e32 v18, v97, v18
	v_mul_f32_e32 v17, v97, v17
	v_mul_f32_e32 v1, v97, v1
	v_bfe_u32 v22, v12, 16, 1
	v_or_b32_e32 v23, 0x400000, v12
	v_bfe_u32 v24, v21, 16, 1
	v_cmp_u_f32_e64 s4, v12, v12
	v_or_b32_e32 v25, 0x400000, v21
	v_add3_u32 v22, v22, v12, 0x7fff
	v_bfe_u32 v26, v18, 16, 1
	v_add3_u32 v24, v24, v21, 0x7fff
	v_or_b32_e32 v29, 0x400000, v18
	v_bfe_u32 v30, v17, 16, 1
	v_cndmask_b32_e64 v12, v22, v23, s4
	v_cmp_u_f32_e64 s4, v21, v21
	v_add3_u32 v26, v26, v18, 0x7fff
	v_or_b32_e32 v22, 0x400000, v17
	v_mul_f32_e32 v0, v97, v0
	v_lshrrev_b32_e32 v12, 16, v12
	v_cndmask_b32_e64 v21, v24, v25, s4
	v_cmp_u_f32_e64 s4, v18, v18
	v_bfe_u32 v23, v0, 16, 1
	buffer_store_dword v12, off, s[0:3], s32 offset:340 ; 4-byte Folded Spill
	v_add3_u32 v12, v30, v17, 0x7fff
	v_cndmask_b32_e64 v18, v26, v29, s4
	v_lshrrev_b32_e32 v21, 16, v21
	v_cmp_u_f32_e64 s4, v17, v17
	v_mul_f32_e32 v17, v97, v28
	v_lshrrev_b32_e32 v18, 16, v18
	buffer_store_dword v21, off, s[0:3], s32 offset:332 ; 4-byte Folded Spill
	v_cndmask_b32_e64 v12, v12, v22, s4
	v_or_b32_e32 v21, 0x400000, v1
	v_cmp_u_f32_e64 s4, v1, v1
	buffer_store_dword v18, off, s[0:3], s32 offset:348 ; 4-byte Folded Spill
	v_bfe_u32 v18, v1, 16, 1
	v_mul_f32_e32 v22, v97, v27
	v_bfe_u32 v24, v17, 16, 1
	v_or_b32_e32 v25, 0x400000, v17
	v_lshrrev_b32_e32 v12, 16, v12
	v_add3_u32 v18, v18, v1, 0x7fff
	v_or_b32_e32 v26, 0x400000, v22
	v_add3_u32 v24, v24, v17, 0x7fff
	buffer_store_dword v12, off, s[0:3], s32 offset:344 ; 4-byte Folded Spill
	v_cndmask_b32_e64 v1, v18, v21, s4
	v_add3_u32 v21, v23, v0, 0x7fff
	v_or_b32_e32 v23, 0x400000, v0
	v_cmp_u_f32_e64 s4, v0, v0
	v_bfe_u32 v18, v22, 16, 1
	v_lshrrev_b32_e32 v1, 16, v1
	v_cndmask_b32_e64 v0, v21, v23, s4
	v_cmp_u_f32_e64 s4, v17, v17
	v_add3_u32 v18, v18, v22, 0x7fff
	buffer_store_dword v1, off, s[0:3], s32 offset:356 ; 4-byte Folded Spill
	v_lshrrev_b32_e32 v0, 16, v0
	v_cndmask_b32_e64 v17, v24, v25, s4
	v_cmp_u_f32_e64 s4, v22, v22
	buffer_store_dword v0, off, s[0:3], s32 offset:352 ; 4-byte Folded Spill
	v_lshrrev_b32_e32 v0, 16, v17
	v_cndmask_b32_e64 v18, v18, v26, s4
	buffer_store_dword v0, off, s[0:3], s32 offset:328 ; 4-byte Folded Spill
	v_lshrrev_b32_e32 v0, 16, v18
	buffer_store_dword v0, off, s[0:3], s32 offset:336 ; 4-byte Folded Spill
	s_and_saveexec_b32 s18, vcc_lo
	s_cbranch_execz .LBB372_2406
; %bb.2405:                             ;   in Loop: Header=BB372_2076 Depth=1
	s_clause 0x1
	buffer_load_dword v0, off, s[0:3], s32 offset:192
	buffer_load_dword v1, off, s[0:3], s32 offset:352
	s_waitcnt vmcnt(1)
	v_cmp_lt_i32_e64 s4, v124, v0
	s_waitcnt vmcnt(0)
	v_cndmask_b32_e64 v1, 0, v1, s4
	v_cmp_lt_i32_e64 s4, v11, v0
	buffer_store_dword v1, off, s[0:3], s32 offset:352 ; 4-byte Folded Spill
	buffer_load_dword v1, off, s[0:3], s32 offset:356 ; 4-byte Folded Reload
	s_waitcnt vmcnt(0)
	v_cndmask_b32_e64 v1, 0, v1, s4
	v_cmp_lt_i32_e64 s4, v10, v0
	buffer_store_dword v1, off, s[0:3], s32 offset:356 ; 4-byte Folded Spill
	buffer_load_dword v1, off, s[0:3], s32 offset:344 ; 4-byte Folded Reload
	s_waitcnt vmcnt(0)
	v_cndmask_b32_e64 v1, 0, v1, s4
	v_cmp_lt_i32_e64 s4, v102, v0
	buffer_store_dword v1, off, s[0:3], s32 offset:344 ; 4-byte Folded Spill
	buffer_load_dword v1, off, s[0:3], s32 offset:348 ; 4-byte Folded Reload
	s_waitcnt vmcnt(0)
	v_cndmask_b32_e64 v1, 0, v1, s4
	v_cmp_lt_i32_e64 s4, v101, v0
	buffer_store_dword v1, off, s[0:3], s32 offset:348 ; 4-byte Folded Spill
	buffer_load_dword v1, off, s[0:3], s32 offset:332 ; 4-byte Folded Reload
	s_waitcnt vmcnt(0)
	v_cndmask_b32_e64 v1, 0, v1, s4
	v_cmp_lt_i32_e64 s4, v100, v0
	buffer_store_dword v1, off, s[0:3], s32 offset:332 ; 4-byte Folded Spill
	buffer_load_dword v1, off, s[0:3], s32 offset:340 ; 4-byte Folded Reload
	s_waitcnt vmcnt(0)
	v_cndmask_b32_e64 v1, 0, v1, s4
	v_cmp_lt_i32_e64 s4, v99, v0
	buffer_store_dword v1, off, s[0:3], s32 offset:340 ; 4-byte Folded Spill
	buffer_load_dword v1, off, s[0:3], s32 offset:328 ; 4-byte Folded Reload
	s_waitcnt vmcnt(0)
	v_cndmask_b32_e64 v1, 0, v1, s4
	v_cmp_lt_i32_e64 s4, v65, v0
	buffer_load_dword v0, off, s[0:3], s32 offset:336 ; 4-byte Folded Reload
	buffer_store_dword v1, off, s[0:3], s32 offset:328 ; 4-byte Folded Spill
	s_waitcnt vmcnt(0)
	v_cndmask_b32_e64 v0, 0, v0, s4
	buffer_store_dword v0, off, s[0:3], s32 offset:336 ; 4-byte Folded Spill
.LBB372_2406:                           ;   in Loop: Header=BB372_2076 Depth=1
	s_or_b32 exec_lo, exec_lo, s18
	flat_load_dwordx2 v[21:22], v[19:20] offset:1280
	v_mov_b32_e32 v1, 0
	v_mov_b32_e32 v0, 0
	s_waitcnt vmcnt(0) lgkmcnt(0)
	v_cmp_ne_u16_sdwa s4, v21, v13 src0_sel:BYTE_0 src1_sel:DWORD
	s_and_saveexec_b32 s18, s4
	s_cbranch_execz .LBB372_2414
; %bb.2407:                             ;   in Loop: Header=BB372_2076 Depth=1
	v_cmp_ne_u16_sdwa s4, v21, v103 src0_sel:BYTE_0 src1_sel:DWORD
	v_bfrev_b32_e32 v0, 1
	s_and_saveexec_b32 s19, s4
	s_cbranch_execz .LBB372_2413
; %bb.2408:                             ;   in Loop: Header=BB372_2076 Depth=1
	v_and_b32_e32 v12, 0x7f, v21
	v_mov_b32_e32 v0, 0x7f800001
	s_mov_b32 s20, exec_lo
	v_cmpx_ne_u32_e32 0x7f, v12
	s_cbranch_execz .LBB372_2412
; %bb.2409:                             ;   in Loop: Header=BB372_2076 Depth=1
	v_mov_b32_e32 v24, v22
	v_lshrrev_b32_e32 v0, 3, v12
	v_mov_b32_e32 v23, v21
	s_mov_b32 s21, exec_lo
	v_cmpx_gt_u32_e32 8, v12
; %bb.2410:                             ;   in Loop: Header=BB372_2076 Depth=1
	v_and_b32_e32 v0, 7, v21
	v_ffbh_u32_e32 v0, v0
	v_min_u32_e32 v0, 32, v0
	v_subrev_nc_u32_e32 v12, 28, v0
	v_sub_nc_u32_e32 v0, 29, v0
	v_lshlrev_b64 v[23:24], v12, v[21:22]
; %bb.2411:                             ;   in Loop: Header=BB372_2076 Depth=1
	s_or_b32 exec_lo, exec_lo, s21
	v_lshlrev_b32_e32 v12, 20, v23
	v_lshlrev_b32_e32 v17, 24, v21
	v_lshl_add_u32 v0, v0, 23, 0x3c000000
	v_and_b32_e32 v12, 0x700000, v12
	v_and_b32_e32 v17, 0x80000000, v17
	v_or3_b32 v0, v12, v17, v0
.LBB372_2412:                           ;   in Loop: Header=BB372_2076 Depth=1
	s_or_b32 exec_lo, exec_lo, s20
.LBB372_2413:                           ;   in Loop: Header=BB372_2076 Depth=1
	s_or_b32 exec_lo, exec_lo, s19
.LBB372_2414:                           ;   in Loop: Header=BB372_2076 Depth=1
	s_or_b32 exec_lo, exec_lo, s18
	v_cmp_ne_u16_sdwa s4, v21, v13 src0_sel:BYTE_1 src1_sel:DWORD
	s_and_saveexec_b32 s18, s4
	s_cbranch_execz .LBB372_2422
; %bb.2415:                             ;   in Loop: Header=BB372_2076 Depth=1
	v_cmp_ne_u16_sdwa s4, v21, v103 src0_sel:BYTE_1 src1_sel:DWORD
	v_bfrev_b32_e32 v1, 1
	s_and_saveexec_b32 s19, s4
	s_cbranch_execz .LBB372_2421
; %bb.2416:                             ;   in Loop: Header=BB372_2076 Depth=1
	v_mov_b32_e32 v1, 0xffff
	s_mov_b32 s20, exec_lo
	v_and_b32_sdwa v12, v1, v21 dst_sel:DWORD dst_unused:UNUSED_PAD src0_sel:DWORD src1_sel:BYTE_1
	v_mov_b32_e32 v1, 0x7f800001
	v_and_b32_e32 v17, 0x7f, v12
	v_cmpx_ne_u32_e32 0x7f, v17
	s_cbranch_execz .LBB372_2420
; %bb.2417:                             ;   in Loop: Header=BB372_2076 Depth=1
	v_and_b32_e32 v12, 7, v12
	v_mov_b32_e32 v24, v13
	v_lshrrev_b32_e32 v1, 3, v17
	s_mov_b32 s21, exec_lo
	v_mov_b32_e32 v23, v12
	v_cmpx_gt_u32_e32 8, v17
; %bb.2418:                             ;   in Loop: Header=BB372_2076 Depth=1
	v_ffbh_u32_e32 v1, v12
	v_min_u32_e32 v1, 32, v1
	v_subrev_nc_u32_e32 v17, 28, v1
	v_sub_nc_u32_e32 v1, 29, v1
	v_lshlrev_b64 v[17:18], v17, v[12:13]
	v_and_b32_e32 v23, 7, v17
; %bb.2419:                             ;   in Loop: Header=BB372_2076 Depth=1
	s_or_b32 exec_lo, exec_lo, s21
	v_lshlrev_b32_e32 v12, 16, v21
	v_lshlrev_b32_e32 v17, 20, v23
	v_lshl_add_u32 v1, v1, 23, 0x3c000000
	v_and_b32_e32 v12, 0x80000000, v12
	v_or3_b32 v1, v17, v12, v1
.LBB372_2420:                           ;   in Loop: Header=BB372_2076 Depth=1
	s_or_b32 exec_lo, exec_lo, s20
.LBB372_2421:                           ;   in Loop: Header=BB372_2076 Depth=1
	s_or_b32 exec_lo, exec_lo, s19
.LBB372_2422:                           ;   in Loop: Header=BB372_2076 Depth=1
	s_or_b32 exec_lo, exec_lo, s18
	v_and_b32_sdwa v12, v21, v113 dst_sel:DWORD dst_unused:UNUSED_PAD src0_sel:WORD_1 src1_sel:DWORD
	v_mov_b32_e32 v18, 0
	v_mov_b32_e32 v17, 0
	s_mov_b32 s18, exec_lo
	v_cmpx_ne_u16_e32 0, v12
	s_cbranch_execz .LBB372_2430
; %bb.2423:                             ;   in Loop: Header=BB372_2076 Depth=1
	v_bfrev_b32_e32 v17, 1
	s_mov_b32 s19, exec_lo
	v_cmpx_ne_u16_e32 0x80, v12
	s_cbranch_execz .LBB372_2429
; %bb.2424:                             ;   in Loop: Header=BB372_2076 Depth=1
	v_bfe_u32 v23, v21, 16, 7
	v_mov_b32_e32 v17, 0x7f800001
	s_mov_b32 s20, exec_lo
	v_cmpx_ne_u32_e32 0x7f, v23
	s_cbranch_execz .LBB372_2428
; %bb.2425:                             ;   in Loop: Header=BB372_2076 Depth=1
	v_and_b32_sdwa v12, v21, v114 dst_sel:DWORD dst_unused:UNUSED_PAD src0_sel:WORD_1 src1_sel:DWORD
	v_lshrrev_b32_e32 v17, 3, v23
	v_cmp_gt_u32_e64 s4, 8, v23
	v_mov_b32_e32 v24, v13
	v_mov_b32_e32 v23, v12
	s_and_saveexec_b32 s21, s4
; %bb.2426:                             ;   in Loop: Header=BB372_2076 Depth=1
	v_ffbh_u32_e32 v17, v12
	v_min_u32_e32 v17, 32, v17
	v_subrev_nc_u32_e32 v23, 28, v17
	v_sub_nc_u32_e32 v17, 29, v17
	v_lshlrev_b64 v[23:24], v23, v[12:13]
	v_and_b32_e32 v23, 7, v23
; %bb.2427:                             ;   in Loop: Header=BB372_2076 Depth=1
	s_or_b32 exec_lo, exec_lo, s21
	v_lshlrev_b32_sdwa v12, v115, v21 dst_sel:DWORD dst_unused:UNUSED_PAD src0_sel:DWORD src1_sel:WORD_1
	v_lshlrev_b32_e32 v23, 20, v23
	v_lshl_add_u32 v17, v17, 23, 0x3c000000
	v_and_b32_e32 v12, 0x80000000, v12
	v_or3_b32 v17, v23, v12, v17
.LBB372_2428:                           ;   in Loop: Header=BB372_2076 Depth=1
	s_or_b32 exec_lo, exec_lo, s20
.LBB372_2429:                           ;   in Loop: Header=BB372_2076 Depth=1
	s_or_b32 exec_lo, exec_lo, s19
.LBB372_2430:                           ;   in Loop: Header=BB372_2076 Depth=1
	s_or_b32 exec_lo, exec_lo, s18
	s_mov_b32 s18, exec_lo
	v_cmpx_lt_u32_e32 0xffffff, v21
	s_cbranch_execz .LBB372_2438
; %bb.2431:                             ;   in Loop: Header=BB372_2076 Depth=1
	v_cmp_ne_u32_sdwa s4, v21, v103 src0_sel:BYTE_3 src1_sel:DWORD
	v_bfrev_b32_e32 v18, 1
	s_and_saveexec_b32 s19, s4
	s_cbranch_execz .LBB372_2437
; %bb.2432:                             ;   in Loop: Header=BB372_2076 Depth=1
	v_bfe_u32 v23, v21, 24, 7
	v_mov_b32_e32 v18, 0x7f800001
	s_mov_b32 s20, exec_lo
	v_cmpx_ne_u32_e32 0x7f, v23
	s_cbranch_execz .LBB372_2436
; %bb.2433:                             ;   in Loop: Header=BB372_2076 Depth=1
	v_and_b32_sdwa v12, v21, v114 dst_sel:DWORD dst_unused:UNUSED_PAD src0_sel:BYTE_3 src1_sel:DWORD
	v_lshrrev_b32_e32 v18, 3, v23
	v_cmp_gt_u32_e64 s4, 8, v23
	v_mov_b32_e32 v24, v13
	v_mov_b32_e32 v23, v12
	s_and_saveexec_b32 s21, s4
; %bb.2434:                             ;   in Loop: Header=BB372_2076 Depth=1
	v_ffbh_u32_e32 v18, v12
	v_min_u32_e32 v18, 32, v18
	v_subrev_nc_u32_e32 v23, 28, v18
	v_sub_nc_u32_e32 v18, 29, v18
	v_lshlrev_b64 v[23:24], v23, v[12:13]
	v_and_b32_e32 v23, 7, v23
; %bb.2435:                             ;   in Loop: Header=BB372_2076 Depth=1
	s_or_b32 exec_lo, exec_lo, s21
	v_lshlrev_b32_sdwa v12, v115, v21 dst_sel:DWORD dst_unused:UNUSED_PAD src0_sel:DWORD src1_sel:BYTE_3
	v_lshlrev_b32_e32 v23, 20, v23
	v_lshl_add_u32 v18, v18, 23, 0x3c000000
	v_and_b32_e32 v12, 0x80000000, v12
	v_or3_b32 v18, v23, v12, v18
.LBB372_2436:                           ;   in Loop: Header=BB372_2076 Depth=1
	s_or_b32 exec_lo, exec_lo, s20
.LBB372_2437:                           ;   in Loop: Header=BB372_2076 Depth=1
	s_or_b32 exec_lo, exec_lo, s19
.LBB372_2438:                           ;   in Loop: Header=BB372_2076 Depth=1
	s_or_b32 exec_lo, exec_lo, s18
	v_mov_b32_e32 v12, v22
	v_cmp_ne_u16_sdwa s4, v22, v13 src0_sel:BYTE_0 src1_sel:DWORD
	v_mov_b32_e32 v28, 0
	v_mov_b32_e32 v27, 0
	s_and_saveexec_b32 s18, s4
	s_cbranch_execz .LBB372_2446
; %bb.2439:                             ;   in Loop: Header=BB372_2076 Depth=1
	v_cmp_ne_u16_sdwa s4, v22, v103 src0_sel:BYTE_0 src1_sel:DWORD
	v_bfrev_b32_e32 v27, 1
	s_and_saveexec_b32 s19, s4
	s_cbranch_execz .LBB372_2445
; %bb.2440:                             ;   in Loop: Header=BB372_2076 Depth=1
	v_and_b32_e32 v23, 0x7f, v22
	v_mov_b32_e32 v27, 0x7f800001
	s_mov_b32 s20, exec_lo
	v_cmpx_ne_u32_e32 0x7f, v23
	s_cbranch_execz .LBB372_2444
; %bb.2441:                             ;   in Loop: Header=BB372_2076 Depth=1
	v_lshrrev_b32_e32 v25, 3, v23
	v_cmp_gt_u32_e64 s4, 8, v23
	v_mov_b32_e32 v24, v13
	v_mov_b32_e32 v23, v12
	s_and_saveexec_b32 s21, s4
; %bb.2442:                             ;   in Loop: Header=BB372_2076 Depth=1
	v_and_b32_e32 v23, 7, v22
	v_ffbh_u32_e32 v23, v23
	v_min_u32_e32 v25, 32, v23
	v_subrev_nc_u32_e32 v23, 28, v25
	v_sub_nc_u32_e32 v25, 29, v25
	v_lshlrev_b64 v[23:24], v23, v[12:13]
; %bb.2443:                             ;   in Loop: Header=BB372_2076 Depth=1
	s_or_b32 exec_lo, exec_lo, s21
	v_lshlrev_b32_e32 v23, 20, v23
	v_lshlrev_b32_e32 v24, 24, v12
	v_lshl_add_u32 v25, v25, 23, 0x3c000000
	v_and_b32_e32 v23, 0x700000, v23
	v_and_b32_e32 v24, 0x80000000, v24
	v_or3_b32 v27, v23, v24, v25
.LBB372_2444:                           ;   in Loop: Header=BB372_2076 Depth=1
	s_or_b32 exec_lo, exec_lo, s20
.LBB372_2445:                           ;   in Loop: Header=BB372_2076 Depth=1
	s_or_b32 exec_lo, exec_lo, s19
.LBB372_2446:                           ;   in Loop: Header=BB372_2076 Depth=1
	s_or_b32 exec_lo, exec_lo, s18
	v_cmp_ne_u16_sdwa s4, v12, v13 src0_sel:BYTE_1 src1_sel:DWORD
	s_and_saveexec_b32 s18, s4
	s_cbranch_execz .LBB372_2454
; %bb.2447:                             ;   in Loop: Header=BB372_2076 Depth=1
	v_cmp_ne_u16_sdwa s4, v12, v103 src0_sel:BYTE_1 src1_sel:DWORD
	v_bfrev_b32_e32 v28, 1
	s_and_saveexec_b32 s19, s4
	s_cbranch_execz .LBB372_2453
; %bb.2448:                             ;   in Loop: Header=BB372_2076 Depth=1
	v_mov_b32_e32 v23, 0xffff
	v_mov_b32_e32 v28, 0x7f800001
	s_mov_b32 s20, exec_lo
	v_and_b32_sdwa v23, v23, v12 dst_sel:DWORD dst_unused:UNUSED_PAD src0_sel:DWORD src1_sel:BYTE_1
	v_and_b32_e32 v26, 0x7f, v23
	v_cmpx_ne_u32_e32 0x7f, v26
	s_cbranch_execz .LBB372_2452
; %bb.2449:                             ;   in Loop: Header=BB372_2076 Depth=1
	v_and_b32_e32 v23, 7, v23
	v_mov_b32_e32 v24, v13
	v_lshrrev_b32_e32 v25, 3, v26
	s_mov_b32 s21, exec_lo
	v_cmpx_gt_u32_e32 8, v26
; %bb.2450:                             ;   in Loop: Header=BB372_2076 Depth=1
	v_ffbh_u32_e32 v25, v23
	v_min_u32_e32 v25, 32, v25
	v_subrev_nc_u32_e32 v26, 28, v25
	v_sub_nc_u32_e32 v25, 29, v25
	v_lshlrev_b64 v[23:24], v26, v[23:24]
	v_and_b32_e32 v23, 7, v23
; %bb.2451:                             ;   in Loop: Header=BB372_2076 Depth=1
	s_or_b32 exec_lo, exec_lo, s21
	v_lshlrev_b32_e32 v12, 16, v12
	v_lshlrev_b32_e32 v23, 20, v23
	v_lshl_add_u32 v24, v25, 23, 0x3c000000
	v_and_b32_e32 v12, 0x80000000, v12
	v_or3_b32 v28, v23, v12, v24
.LBB372_2452:                           ;   in Loop: Header=BB372_2076 Depth=1
	s_or_b32 exec_lo, exec_lo, s20
.LBB372_2453:                           ;   in Loop: Header=BB372_2076 Depth=1
	s_or_b32 exec_lo, exec_lo, s19
.LBB372_2454:                           ;   in Loop: Header=BB372_2076 Depth=1
	s_or_b32 exec_lo, exec_lo, s18
	v_and_b32_sdwa v12, v22, v113 dst_sel:DWORD dst_unused:UNUSED_PAD src0_sel:WORD_1 src1_sel:DWORD
	v_mov_b32_e32 v25, 0
	v_mov_b32_e32 v26, 0
	s_mov_b32 s18, exec_lo
	v_cmpx_ne_u16_e32 0, v12
	s_cbranch_execz .LBB372_2462
; %bb.2455:                             ;   in Loop: Header=BB372_2076 Depth=1
	v_bfrev_b32_e32 v26, 1
	s_mov_b32 s19, exec_lo
	v_cmpx_ne_u16_e32 0x80, v12
	s_cbranch_execz .LBB372_2461
; %bb.2456:                             ;   in Loop: Header=BB372_2076 Depth=1
	v_bfe_u32 v23, v22, 16, 7
	v_mov_b32_e32 v26, 0x7f800001
	s_mov_b32 s20, exec_lo
	v_cmpx_ne_u32_e32 0x7f, v23
	s_cbranch_execz .LBB372_2460
; %bb.2457:                             ;   in Loop: Header=BB372_2076 Depth=1
	v_and_b32_sdwa v12, v22, v114 dst_sel:DWORD dst_unused:UNUSED_PAD src0_sel:WORD_1 src1_sel:DWORD
	v_lshrrev_b32_e32 v26, 3, v23
	v_cmp_gt_u32_e64 s4, 8, v23
	v_mov_b32_e32 v24, v13
	v_mov_b32_e32 v23, v12
	s_and_saveexec_b32 s21, s4
; %bb.2458:                             ;   in Loop: Header=BB372_2076 Depth=1
	v_ffbh_u32_e32 v23, v12
	v_min_u32_e32 v26, 32, v23
	v_subrev_nc_u32_e32 v23, 28, v26
	v_sub_nc_u32_e32 v26, 29, v26
	v_lshlrev_b64 v[23:24], v23, v[12:13]
	v_and_b32_e32 v23, 7, v23
; %bb.2459:                             ;   in Loop: Header=BB372_2076 Depth=1
	s_or_b32 exec_lo, exec_lo, s21
	v_lshlrev_b32_sdwa v12, v115, v22 dst_sel:DWORD dst_unused:UNUSED_PAD src0_sel:DWORD src1_sel:WORD_1
	v_lshlrev_b32_e32 v23, 20, v23
	v_lshl_add_u32 v24, v26, 23, 0x3c000000
	v_and_b32_e32 v12, 0x80000000, v12
	v_or3_b32 v26, v23, v12, v24
.LBB372_2460:                           ;   in Loop: Header=BB372_2076 Depth=1
	s_or_b32 exec_lo, exec_lo, s20
.LBB372_2461:                           ;   in Loop: Header=BB372_2076 Depth=1
	s_or_b32 exec_lo, exec_lo, s19
.LBB372_2462:                           ;   in Loop: Header=BB372_2076 Depth=1
	s_or_b32 exec_lo, exec_lo, s18
	s_mov_b32 s18, exec_lo
	v_cmpx_lt_u64_e64 s[6:7], v[21:22]
	s_cbranch_execz .LBB372_2470
; %bb.2463:                             ;   in Loop: Header=BB372_2076 Depth=1
	v_cmp_ne_u32_sdwa s4, v22, v103 src0_sel:BYTE_3 src1_sel:DWORD
	v_bfrev_b32_e32 v25, 1
	s_and_saveexec_b32 s19, s4
	s_cbranch_execz .LBB372_2469
; %bb.2464:                             ;   in Loop: Header=BB372_2076 Depth=1
	v_bfe_u32 v23, v22, 24, 7
	v_mov_b32_e32 v25, 0x7f800001
	s_mov_b32 s20, exec_lo
	v_cmpx_ne_u32_e32 0x7f, v23
	s_cbranch_execz .LBB372_2468
; %bb.2465:                             ;   in Loop: Header=BB372_2076 Depth=1
	v_and_b32_sdwa v12, v22, v114 dst_sel:DWORD dst_unused:UNUSED_PAD src0_sel:BYTE_3 src1_sel:DWORD
	v_lshrrev_b32_e32 v21, 3, v23
	v_cmp_gt_u32_e64 s4, 8, v23
	v_mov_b32_e32 v24, v13
	v_mov_b32_e32 v23, v12
	s_and_saveexec_b32 s21, s4
; %bb.2466:                             ;   in Loop: Header=BB372_2076 Depth=1
	v_ffbh_u32_e32 v21, v12
	v_min_u32_e32 v21, 32, v21
	v_subrev_nc_u32_e32 v23, 28, v21
	v_sub_nc_u32_e32 v21, 29, v21
	v_lshlrev_b64 v[23:24], v23, v[12:13]
	v_and_b32_e32 v23, 7, v23
; %bb.2467:                             ;   in Loop: Header=BB372_2076 Depth=1
	s_or_b32 exec_lo, exec_lo, s21
	v_lshlrev_b32_sdwa v12, v115, v22 dst_sel:DWORD dst_unused:UNUSED_PAD src0_sel:DWORD src1_sel:BYTE_3
	v_lshlrev_b32_e32 v22, 20, v23
	v_lshl_add_u32 v21, v21, 23, 0x3c000000
	v_and_b32_e32 v12, 0x80000000, v12
	v_or3_b32 v25, v22, v12, v21
.LBB372_2468:                           ;   in Loop: Header=BB372_2076 Depth=1
	s_or_b32 exec_lo, exec_lo, s20
.LBB372_2469:                           ;   in Loop: Header=BB372_2076 Depth=1
	s_or_b32 exec_lo, exec_lo, s19
.LBB372_2470:                           ;   in Loop: Header=BB372_2076 Depth=1
	s_or_b32 exec_lo, exec_lo, s18
	v_mul_f32_e32 v12, v97, v28
	v_mul_f32_e32 v1, v97, v1
	;; [unrolled: 1-line block ×3, first 2 shown]
	v_bfe_u32 v21, v12, 16, 1
	v_or_b32_e32 v22, 0x400000, v12
	v_cmp_u_f32_e64 s4, v12, v12
	v_add3_u32 v21, v21, v12, 0x7fff
	v_cndmask_b32_e64 v12, v21, v22, s4
	v_lshrrev_b32_e32 v12, 16, v12
	buffer_store_dword v12, off, s[0:3], s32 offset:364 ; 4-byte Folded Spill
	v_mul_f32_e32 v12, v97, v27
	v_bfe_u32 v21, v12, 16, 1
	v_or_b32_e32 v22, 0x400000, v12
	v_cmp_u_f32_e64 s4, v12, v12
	v_add3_u32 v21, v21, v12, 0x7fff
	v_cndmask_b32_e64 v12, v21, v22, s4
	v_lshrrev_b32_e32 v12, 16, v12
	buffer_store_dword v12, off, s[0:3], s32 offset:360 ; 4-byte Folded Spill
	v_mul_f32_e32 v12, v97, v18
	v_bfe_u32 v18, v12, 16, 1
	v_or_b32_e32 v21, 0x400000, v12
	v_cmp_u_f32_e64 s4, v12, v12
	v_add3_u32 v18, v18, v12, 0x7fff
	v_cndmask_b32_e64 v12, v18, v21, s4
	v_lshrrev_b32_e32 v12, 16, v12
	buffer_store_dword v12, off, s[0:3], s32 offset:372 ; 4-byte Folded Spill
	v_mul_f32_e32 v12, v97, v17
	v_bfe_u32 v17, v12, 16, 1
	v_or_b32_e32 v18, 0x400000, v12
	v_cmp_u_f32_e64 s4, v12, v12
	v_add3_u32 v17, v17, v12, 0x7fff
	v_cndmask_b32_e64 v12, v17, v18, s4
	v_or_b32_e32 v17, 0x400000, v1
	v_cmp_u_f32_e64 s4, v1, v1
	v_lshrrev_b32_e32 v12, 16, v12
	buffer_store_dword v12, off, s[0:3], s32 offset:376 ; 4-byte Folded Spill
	v_bfe_u32 v12, v1, 16, 1
	v_add3_u32 v12, v12, v1, 0x7fff
	v_cndmask_b32_e64 v1, v12, v17, s4
	v_or_b32_e32 v12, 0x400000, v0
	v_cmp_u_f32_e64 s4, v0, v0
	v_lshrrev_b32_e32 v1, 16, v1
	buffer_store_dword v1, off, s[0:3], s32 offset:388 ; 4-byte Folded Spill
	v_bfe_u32 v1, v0, 16, 1
	v_add3_u32 v1, v1, v0, 0x7fff
	v_cndmask_b32_e64 v0, v1, v12, s4
	v_lshrrev_b32_e32 v0, 16, v0
	buffer_store_dword v0, off, s[0:3], s32 offset:384 ; 4-byte Folded Spill
	v_mul_f32_e32 v0, v97, v26
	v_bfe_u32 v1, v0, 16, 1
	v_or_b32_e32 v12, 0x400000, v0
	v_cmp_u_f32_e64 s4, v0, v0
	v_add3_u32 v1, v1, v0, 0x7fff
	v_cndmask_b32_e64 v0, v1, v12, s4
	v_lshrrev_b32_e32 v0, 16, v0
	buffer_store_dword v0, off, s[0:3], s32 offset:368 ; 4-byte Folded Spill
	v_mul_f32_e32 v0, v97, v25
	v_bfe_u32 v1, v0, 16, 1
	v_or_b32_e32 v12, 0x400000, v0
	v_cmp_u_f32_e64 s4, v0, v0
	v_add3_u32 v1, v1, v0, 0x7fff
	v_cndmask_b32_e64 v0, v1, v12, s4
	v_lshrrev_b32_e32 v0, 16, v0
	buffer_store_dword v0, off, s[0:3], s32 offset:380 ; 4-byte Folded Spill
	s_and_saveexec_b32 s18, vcc_lo
	s_cbranch_execz .LBB372_2472
; %bb.2471:                             ;   in Loop: Header=BB372_2076 Depth=1
	s_clause 0x1
	buffer_load_dword v0, off, s[0:3], s32 offset:192
	buffer_load_dword v1, off, s[0:3], s32 offset:384
	s_waitcnt vmcnt(1)
	v_cmp_lt_i32_e64 s4, v124, v0
	s_waitcnt vmcnt(0)
	v_cndmask_b32_e64 v1, 0, v1, s4
	v_cmp_lt_i32_e64 s4, v11, v0
	buffer_store_dword v1, off, s[0:3], s32 offset:384 ; 4-byte Folded Spill
	buffer_load_dword v1, off, s[0:3], s32 offset:388 ; 4-byte Folded Reload
	s_waitcnt vmcnt(0)
	v_cndmask_b32_e64 v1, 0, v1, s4
	v_cmp_lt_i32_e64 s4, v10, v0
	buffer_store_dword v1, off, s[0:3], s32 offset:388 ; 4-byte Folded Spill
	buffer_load_dword v1, off, s[0:3], s32 offset:376 ; 4-byte Folded Reload
	;; [unrolled: 5-line block ×6, first 2 shown]
	s_waitcnt vmcnt(0)
	v_cndmask_b32_e64 v1, 0, v1, s4
	v_cmp_lt_i32_e64 s4, v65, v0
	buffer_load_dword v0, off, s[0:3], s32 offset:380 ; 4-byte Folded Reload
	buffer_store_dword v1, off, s[0:3], s32 offset:368 ; 4-byte Folded Spill
	s_waitcnt vmcnt(0)
	v_cndmask_b32_e64 v0, 0, v0, s4
	buffer_store_dword v0, off, s[0:3], s32 offset:380 ; 4-byte Folded Spill
.LBB372_2472:                           ;   in Loop: Header=BB372_2076 Depth=1
	s_or_b32 exec_lo, exec_lo, s18
	flat_load_dwordx2 v[21:22], v[19:20] offset:1536
	v_mov_b32_e32 v1, 0
	v_mov_b32_e32 v0, 0
	s_waitcnt vmcnt(0) lgkmcnt(0)
	v_cmp_ne_u16_sdwa s4, v21, v13 src0_sel:BYTE_0 src1_sel:DWORD
	s_and_saveexec_b32 s18, s4
	s_cbranch_execz .LBB372_2480
; %bb.2473:                             ;   in Loop: Header=BB372_2076 Depth=1
	v_cmp_ne_u16_sdwa s4, v21, v103 src0_sel:BYTE_0 src1_sel:DWORD
	v_bfrev_b32_e32 v0, 1
	s_and_saveexec_b32 s19, s4
	s_cbranch_execz .LBB372_2479
; %bb.2474:                             ;   in Loop: Header=BB372_2076 Depth=1
	v_and_b32_e32 v12, 0x7f, v21
	v_mov_b32_e32 v0, 0x7f800001
	s_mov_b32 s20, exec_lo
	v_cmpx_ne_u32_e32 0x7f, v12
	s_cbranch_execz .LBB372_2478
; %bb.2475:                             ;   in Loop: Header=BB372_2076 Depth=1
	v_mov_b32_e32 v24, v22
	v_lshrrev_b32_e32 v0, 3, v12
	v_mov_b32_e32 v23, v21
	s_mov_b32 s21, exec_lo
	v_cmpx_gt_u32_e32 8, v12
; %bb.2476:                             ;   in Loop: Header=BB372_2076 Depth=1
	v_and_b32_e32 v0, 7, v21
	v_ffbh_u32_e32 v0, v0
	v_min_u32_e32 v0, 32, v0
	v_subrev_nc_u32_e32 v12, 28, v0
	v_sub_nc_u32_e32 v0, 29, v0
	v_lshlrev_b64 v[23:24], v12, v[21:22]
; %bb.2477:                             ;   in Loop: Header=BB372_2076 Depth=1
	s_or_b32 exec_lo, exec_lo, s21
	v_lshlrev_b32_e32 v12, 20, v23
	v_lshlrev_b32_e32 v17, 24, v21
	v_lshl_add_u32 v0, v0, 23, 0x3c000000
	v_and_b32_e32 v12, 0x700000, v12
	v_and_b32_e32 v17, 0x80000000, v17
	v_or3_b32 v0, v12, v17, v0
.LBB372_2478:                           ;   in Loop: Header=BB372_2076 Depth=1
	s_or_b32 exec_lo, exec_lo, s20
.LBB372_2479:                           ;   in Loop: Header=BB372_2076 Depth=1
	s_or_b32 exec_lo, exec_lo, s19
.LBB372_2480:                           ;   in Loop: Header=BB372_2076 Depth=1
	s_or_b32 exec_lo, exec_lo, s18
	v_cmp_ne_u16_sdwa s4, v21, v13 src0_sel:BYTE_1 src1_sel:DWORD
	s_and_saveexec_b32 s18, s4
	s_cbranch_execz .LBB372_2488
; %bb.2481:                             ;   in Loop: Header=BB372_2076 Depth=1
	v_cmp_ne_u16_sdwa s4, v21, v103 src0_sel:BYTE_1 src1_sel:DWORD
	v_bfrev_b32_e32 v1, 1
	s_and_saveexec_b32 s19, s4
	s_cbranch_execz .LBB372_2487
; %bb.2482:                             ;   in Loop: Header=BB372_2076 Depth=1
	v_mov_b32_e32 v1, 0xffff
	s_mov_b32 s20, exec_lo
	v_and_b32_sdwa v12, v1, v21 dst_sel:DWORD dst_unused:UNUSED_PAD src0_sel:DWORD src1_sel:BYTE_1
	v_mov_b32_e32 v1, 0x7f800001
	v_and_b32_e32 v17, 0x7f, v12
	v_cmpx_ne_u32_e32 0x7f, v17
	s_cbranch_execz .LBB372_2486
; %bb.2483:                             ;   in Loop: Header=BB372_2076 Depth=1
	v_and_b32_e32 v12, 7, v12
	v_mov_b32_e32 v24, v13
	v_lshrrev_b32_e32 v1, 3, v17
	s_mov_b32 s21, exec_lo
	v_mov_b32_e32 v23, v12
	v_cmpx_gt_u32_e32 8, v17
; %bb.2484:                             ;   in Loop: Header=BB372_2076 Depth=1
	v_ffbh_u32_e32 v1, v12
	v_min_u32_e32 v1, 32, v1
	v_subrev_nc_u32_e32 v17, 28, v1
	v_sub_nc_u32_e32 v1, 29, v1
	v_lshlrev_b64 v[17:18], v17, v[12:13]
	v_and_b32_e32 v23, 7, v17
; %bb.2485:                             ;   in Loop: Header=BB372_2076 Depth=1
	s_or_b32 exec_lo, exec_lo, s21
	v_lshlrev_b32_e32 v12, 16, v21
	v_lshlrev_b32_e32 v17, 20, v23
	v_lshl_add_u32 v1, v1, 23, 0x3c000000
	v_and_b32_e32 v12, 0x80000000, v12
	v_or3_b32 v1, v17, v12, v1
.LBB372_2486:                           ;   in Loop: Header=BB372_2076 Depth=1
	s_or_b32 exec_lo, exec_lo, s20
.LBB372_2487:                           ;   in Loop: Header=BB372_2076 Depth=1
	s_or_b32 exec_lo, exec_lo, s19
.LBB372_2488:                           ;   in Loop: Header=BB372_2076 Depth=1
	s_or_b32 exec_lo, exec_lo, s18
	v_and_b32_sdwa v12, v21, v113 dst_sel:DWORD dst_unused:UNUSED_PAD src0_sel:WORD_1 src1_sel:DWORD
	v_mov_b32_e32 v18, 0
	v_mov_b32_e32 v17, 0
	s_mov_b32 s18, exec_lo
	v_cmpx_ne_u16_e32 0, v12
	s_cbranch_execz .LBB372_2496
; %bb.2489:                             ;   in Loop: Header=BB372_2076 Depth=1
	v_bfrev_b32_e32 v17, 1
	s_mov_b32 s19, exec_lo
	v_cmpx_ne_u16_e32 0x80, v12
	s_cbranch_execz .LBB372_2495
; %bb.2490:                             ;   in Loop: Header=BB372_2076 Depth=1
	v_bfe_u32 v23, v21, 16, 7
	v_mov_b32_e32 v17, 0x7f800001
	s_mov_b32 s20, exec_lo
	v_cmpx_ne_u32_e32 0x7f, v23
	s_cbranch_execz .LBB372_2494
; %bb.2491:                             ;   in Loop: Header=BB372_2076 Depth=1
	v_and_b32_sdwa v12, v21, v114 dst_sel:DWORD dst_unused:UNUSED_PAD src0_sel:WORD_1 src1_sel:DWORD
	v_lshrrev_b32_e32 v17, 3, v23
	v_cmp_gt_u32_e64 s4, 8, v23
	v_mov_b32_e32 v24, v13
	v_mov_b32_e32 v23, v12
	s_and_saveexec_b32 s21, s4
; %bb.2492:                             ;   in Loop: Header=BB372_2076 Depth=1
	v_ffbh_u32_e32 v17, v12
	v_min_u32_e32 v17, 32, v17
	v_subrev_nc_u32_e32 v23, 28, v17
	v_sub_nc_u32_e32 v17, 29, v17
	v_lshlrev_b64 v[23:24], v23, v[12:13]
	v_and_b32_e32 v23, 7, v23
; %bb.2493:                             ;   in Loop: Header=BB372_2076 Depth=1
	s_or_b32 exec_lo, exec_lo, s21
	v_lshlrev_b32_sdwa v12, v115, v21 dst_sel:DWORD dst_unused:UNUSED_PAD src0_sel:DWORD src1_sel:WORD_1
	v_lshlrev_b32_e32 v23, 20, v23
	v_lshl_add_u32 v17, v17, 23, 0x3c000000
	v_and_b32_e32 v12, 0x80000000, v12
	v_or3_b32 v17, v23, v12, v17
.LBB372_2494:                           ;   in Loop: Header=BB372_2076 Depth=1
	s_or_b32 exec_lo, exec_lo, s20
.LBB372_2495:                           ;   in Loop: Header=BB372_2076 Depth=1
	s_or_b32 exec_lo, exec_lo, s19
.LBB372_2496:                           ;   in Loop: Header=BB372_2076 Depth=1
	s_or_b32 exec_lo, exec_lo, s18
	s_mov_b32 s18, exec_lo
	v_cmpx_lt_u32_e32 0xffffff, v21
	s_cbranch_execz .LBB372_2504
; %bb.2497:                             ;   in Loop: Header=BB372_2076 Depth=1
	v_cmp_ne_u32_sdwa s4, v21, v103 src0_sel:BYTE_3 src1_sel:DWORD
	v_bfrev_b32_e32 v18, 1
	s_and_saveexec_b32 s19, s4
	s_cbranch_execz .LBB372_2503
; %bb.2498:                             ;   in Loop: Header=BB372_2076 Depth=1
	v_bfe_u32 v23, v21, 24, 7
	v_mov_b32_e32 v18, 0x7f800001
	s_mov_b32 s20, exec_lo
	v_cmpx_ne_u32_e32 0x7f, v23
	s_cbranch_execz .LBB372_2502
; %bb.2499:                             ;   in Loop: Header=BB372_2076 Depth=1
	v_and_b32_sdwa v12, v21, v114 dst_sel:DWORD dst_unused:UNUSED_PAD src0_sel:BYTE_3 src1_sel:DWORD
	v_lshrrev_b32_e32 v18, 3, v23
	v_cmp_gt_u32_e64 s4, 8, v23
	v_mov_b32_e32 v24, v13
	v_mov_b32_e32 v23, v12
	s_and_saveexec_b32 s21, s4
; %bb.2500:                             ;   in Loop: Header=BB372_2076 Depth=1
	v_ffbh_u32_e32 v18, v12
	v_min_u32_e32 v18, 32, v18
	v_subrev_nc_u32_e32 v23, 28, v18
	v_sub_nc_u32_e32 v18, 29, v18
	v_lshlrev_b64 v[23:24], v23, v[12:13]
	v_and_b32_e32 v23, 7, v23
; %bb.2501:                             ;   in Loop: Header=BB372_2076 Depth=1
	s_or_b32 exec_lo, exec_lo, s21
	v_lshlrev_b32_sdwa v12, v115, v21 dst_sel:DWORD dst_unused:UNUSED_PAD src0_sel:DWORD src1_sel:BYTE_3
	v_lshlrev_b32_e32 v23, 20, v23
	v_lshl_add_u32 v18, v18, 23, 0x3c000000
	v_and_b32_e32 v12, 0x80000000, v12
	v_or3_b32 v18, v23, v12, v18
.LBB372_2502:                           ;   in Loop: Header=BB372_2076 Depth=1
	s_or_b32 exec_lo, exec_lo, s20
.LBB372_2503:                           ;   in Loop: Header=BB372_2076 Depth=1
	s_or_b32 exec_lo, exec_lo, s19
.LBB372_2504:                           ;   in Loop: Header=BB372_2076 Depth=1
	s_or_b32 exec_lo, exec_lo, s18
	v_mov_b32_e32 v12, v22
	v_cmp_ne_u16_sdwa s4, v22, v13 src0_sel:BYTE_0 src1_sel:DWORD
	v_mov_b32_e32 v28, 0
	v_mov_b32_e32 v27, 0
	s_and_saveexec_b32 s18, s4
	s_cbranch_execz .LBB372_2512
; %bb.2505:                             ;   in Loop: Header=BB372_2076 Depth=1
	v_cmp_ne_u16_sdwa s4, v22, v103 src0_sel:BYTE_0 src1_sel:DWORD
	v_bfrev_b32_e32 v27, 1
	s_and_saveexec_b32 s19, s4
	s_cbranch_execz .LBB372_2511
; %bb.2506:                             ;   in Loop: Header=BB372_2076 Depth=1
	v_and_b32_e32 v23, 0x7f, v22
	v_mov_b32_e32 v27, 0x7f800001
	s_mov_b32 s20, exec_lo
	v_cmpx_ne_u32_e32 0x7f, v23
	s_cbranch_execz .LBB372_2510
; %bb.2507:                             ;   in Loop: Header=BB372_2076 Depth=1
	v_lshrrev_b32_e32 v25, 3, v23
	v_cmp_gt_u32_e64 s4, 8, v23
	v_mov_b32_e32 v24, v13
	v_mov_b32_e32 v23, v12
	s_and_saveexec_b32 s21, s4
; %bb.2508:                             ;   in Loop: Header=BB372_2076 Depth=1
	v_and_b32_e32 v23, 7, v22
	v_ffbh_u32_e32 v23, v23
	v_min_u32_e32 v25, 32, v23
	v_subrev_nc_u32_e32 v23, 28, v25
	v_sub_nc_u32_e32 v25, 29, v25
	v_lshlrev_b64 v[23:24], v23, v[12:13]
; %bb.2509:                             ;   in Loop: Header=BB372_2076 Depth=1
	s_or_b32 exec_lo, exec_lo, s21
	v_lshlrev_b32_e32 v23, 20, v23
	v_lshlrev_b32_e32 v24, 24, v12
	v_lshl_add_u32 v25, v25, 23, 0x3c000000
	v_and_b32_e32 v23, 0x700000, v23
	v_and_b32_e32 v24, 0x80000000, v24
	v_or3_b32 v27, v23, v24, v25
.LBB372_2510:                           ;   in Loop: Header=BB372_2076 Depth=1
	s_or_b32 exec_lo, exec_lo, s20
.LBB372_2511:                           ;   in Loop: Header=BB372_2076 Depth=1
	s_or_b32 exec_lo, exec_lo, s19
.LBB372_2512:                           ;   in Loop: Header=BB372_2076 Depth=1
	s_or_b32 exec_lo, exec_lo, s18
	v_cmp_ne_u16_sdwa s4, v12, v13 src0_sel:BYTE_1 src1_sel:DWORD
	s_and_saveexec_b32 s18, s4
	s_cbranch_execz .LBB372_2520
; %bb.2513:                             ;   in Loop: Header=BB372_2076 Depth=1
	v_cmp_ne_u16_sdwa s4, v12, v103 src0_sel:BYTE_1 src1_sel:DWORD
	v_bfrev_b32_e32 v28, 1
	s_and_saveexec_b32 s19, s4
	s_cbranch_execz .LBB372_2519
; %bb.2514:                             ;   in Loop: Header=BB372_2076 Depth=1
	v_mov_b32_e32 v23, 0xffff
	v_mov_b32_e32 v28, 0x7f800001
	s_mov_b32 s20, exec_lo
	v_and_b32_sdwa v23, v23, v12 dst_sel:DWORD dst_unused:UNUSED_PAD src0_sel:DWORD src1_sel:BYTE_1
	v_and_b32_e32 v26, 0x7f, v23
	v_cmpx_ne_u32_e32 0x7f, v26
	s_cbranch_execz .LBB372_2518
; %bb.2515:                             ;   in Loop: Header=BB372_2076 Depth=1
	v_and_b32_e32 v23, 7, v23
	v_mov_b32_e32 v24, v13
	v_lshrrev_b32_e32 v25, 3, v26
	s_mov_b32 s21, exec_lo
	v_cmpx_gt_u32_e32 8, v26
; %bb.2516:                             ;   in Loop: Header=BB372_2076 Depth=1
	v_ffbh_u32_e32 v25, v23
	v_min_u32_e32 v25, 32, v25
	v_subrev_nc_u32_e32 v26, 28, v25
	v_sub_nc_u32_e32 v25, 29, v25
	v_lshlrev_b64 v[23:24], v26, v[23:24]
	v_and_b32_e32 v23, 7, v23
; %bb.2517:                             ;   in Loop: Header=BB372_2076 Depth=1
	s_or_b32 exec_lo, exec_lo, s21
	v_lshlrev_b32_e32 v12, 16, v12
	v_lshlrev_b32_e32 v23, 20, v23
	v_lshl_add_u32 v24, v25, 23, 0x3c000000
	v_and_b32_e32 v12, 0x80000000, v12
	v_or3_b32 v28, v23, v12, v24
.LBB372_2518:                           ;   in Loop: Header=BB372_2076 Depth=1
	s_or_b32 exec_lo, exec_lo, s20
.LBB372_2519:                           ;   in Loop: Header=BB372_2076 Depth=1
	s_or_b32 exec_lo, exec_lo, s19
.LBB372_2520:                           ;   in Loop: Header=BB372_2076 Depth=1
	s_or_b32 exec_lo, exec_lo, s18
	v_and_b32_sdwa v12, v22, v113 dst_sel:DWORD dst_unused:UNUSED_PAD src0_sel:WORD_1 src1_sel:DWORD
	v_mov_b32_e32 v25, 0
	v_mov_b32_e32 v26, 0
	s_mov_b32 s18, exec_lo
	v_cmpx_ne_u16_e32 0, v12
	s_cbranch_execz .LBB372_2528
; %bb.2521:                             ;   in Loop: Header=BB372_2076 Depth=1
	v_bfrev_b32_e32 v26, 1
	s_mov_b32 s19, exec_lo
	v_cmpx_ne_u16_e32 0x80, v12
	s_cbranch_execz .LBB372_2527
; %bb.2522:                             ;   in Loop: Header=BB372_2076 Depth=1
	v_bfe_u32 v23, v22, 16, 7
	v_mov_b32_e32 v26, 0x7f800001
	s_mov_b32 s20, exec_lo
	v_cmpx_ne_u32_e32 0x7f, v23
	s_cbranch_execz .LBB372_2526
; %bb.2523:                             ;   in Loop: Header=BB372_2076 Depth=1
	v_and_b32_sdwa v12, v22, v114 dst_sel:DWORD dst_unused:UNUSED_PAD src0_sel:WORD_1 src1_sel:DWORD
	v_lshrrev_b32_e32 v26, 3, v23
	v_cmp_gt_u32_e64 s4, 8, v23
	v_mov_b32_e32 v24, v13
	v_mov_b32_e32 v23, v12
	s_and_saveexec_b32 s21, s4
; %bb.2524:                             ;   in Loop: Header=BB372_2076 Depth=1
	v_ffbh_u32_e32 v23, v12
	v_min_u32_e32 v26, 32, v23
	v_subrev_nc_u32_e32 v23, 28, v26
	v_sub_nc_u32_e32 v26, 29, v26
	v_lshlrev_b64 v[23:24], v23, v[12:13]
	v_and_b32_e32 v23, 7, v23
; %bb.2525:                             ;   in Loop: Header=BB372_2076 Depth=1
	s_or_b32 exec_lo, exec_lo, s21
	v_lshlrev_b32_sdwa v12, v115, v22 dst_sel:DWORD dst_unused:UNUSED_PAD src0_sel:DWORD src1_sel:WORD_1
	v_lshlrev_b32_e32 v23, 20, v23
	v_lshl_add_u32 v24, v26, 23, 0x3c000000
	v_and_b32_e32 v12, 0x80000000, v12
	v_or3_b32 v26, v23, v12, v24
.LBB372_2526:                           ;   in Loop: Header=BB372_2076 Depth=1
	s_or_b32 exec_lo, exec_lo, s20
.LBB372_2527:                           ;   in Loop: Header=BB372_2076 Depth=1
	s_or_b32 exec_lo, exec_lo, s19
.LBB372_2528:                           ;   in Loop: Header=BB372_2076 Depth=1
	s_or_b32 exec_lo, exec_lo, s18
	s_mov_b32 s18, exec_lo
	v_cmpx_lt_u64_e64 s[6:7], v[21:22]
	s_cbranch_execz .LBB372_2536
; %bb.2529:                             ;   in Loop: Header=BB372_2076 Depth=1
	v_cmp_ne_u32_sdwa s4, v22, v103 src0_sel:BYTE_3 src1_sel:DWORD
	v_bfrev_b32_e32 v25, 1
	s_and_saveexec_b32 s19, s4
	s_cbranch_execz .LBB372_2535
; %bb.2530:                             ;   in Loop: Header=BB372_2076 Depth=1
	v_bfe_u32 v23, v22, 24, 7
	v_mov_b32_e32 v25, 0x7f800001
	s_mov_b32 s20, exec_lo
	v_cmpx_ne_u32_e32 0x7f, v23
	s_cbranch_execz .LBB372_2534
; %bb.2531:                             ;   in Loop: Header=BB372_2076 Depth=1
	v_and_b32_sdwa v12, v22, v114 dst_sel:DWORD dst_unused:UNUSED_PAD src0_sel:BYTE_3 src1_sel:DWORD
	v_lshrrev_b32_e32 v21, 3, v23
	v_cmp_gt_u32_e64 s4, 8, v23
	v_mov_b32_e32 v24, v13
	v_mov_b32_e32 v23, v12
	s_and_saveexec_b32 s21, s4
; %bb.2532:                             ;   in Loop: Header=BB372_2076 Depth=1
	v_ffbh_u32_e32 v21, v12
	v_min_u32_e32 v21, 32, v21
	v_subrev_nc_u32_e32 v23, 28, v21
	v_sub_nc_u32_e32 v21, 29, v21
	v_lshlrev_b64 v[23:24], v23, v[12:13]
	v_and_b32_e32 v23, 7, v23
; %bb.2533:                             ;   in Loop: Header=BB372_2076 Depth=1
	s_or_b32 exec_lo, exec_lo, s21
	v_lshlrev_b32_sdwa v12, v115, v22 dst_sel:DWORD dst_unused:UNUSED_PAD src0_sel:DWORD src1_sel:BYTE_3
	v_lshlrev_b32_e32 v22, 20, v23
	v_lshl_add_u32 v21, v21, 23, 0x3c000000
	v_and_b32_e32 v12, 0x80000000, v12
	v_or3_b32 v25, v22, v12, v21
.LBB372_2534:                           ;   in Loop: Header=BB372_2076 Depth=1
	s_or_b32 exec_lo, exec_lo, s20
.LBB372_2535:                           ;   in Loop: Header=BB372_2076 Depth=1
	s_or_b32 exec_lo, exec_lo, s19
.LBB372_2536:                           ;   in Loop: Header=BB372_2076 Depth=1
	s_or_b32 exec_lo, exec_lo, s18
	v_mul_f32_e32 v12, v97, v28
	v_mul_f32_e32 v1, v97, v1
	;; [unrolled: 1-line block ×3, first 2 shown]
	v_bfe_u32 v21, v12, 16, 1
	v_or_b32_e32 v22, 0x400000, v12
	v_cmp_u_f32_e64 s4, v12, v12
	v_add3_u32 v21, v21, v12, 0x7fff
	v_cndmask_b32_e64 v12, v21, v22, s4
	v_lshrrev_b32_e32 v12, 16, v12
	buffer_store_dword v12, off, s[0:3], s32 offset:396 ; 4-byte Folded Spill
	v_mul_f32_e32 v12, v97, v27
	v_bfe_u32 v21, v12, 16, 1
	v_or_b32_e32 v22, 0x400000, v12
	v_cmp_u_f32_e64 s4, v12, v12
	v_add3_u32 v21, v21, v12, 0x7fff
	v_cndmask_b32_e64 v12, v21, v22, s4
	v_lshrrev_b32_e32 v12, 16, v12
	buffer_store_dword v12, off, s[0:3], s32 offset:392 ; 4-byte Folded Spill
	v_mul_f32_e32 v12, v97, v18
	;; [unrolled: 8-line block ×3, first 2 shown]
	v_bfe_u32 v17, v12, 16, 1
	v_or_b32_e32 v18, 0x400000, v12
	v_cmp_u_f32_e64 s4, v12, v12
	v_add3_u32 v17, v17, v12, 0x7fff
	v_cndmask_b32_e64 v12, v17, v18, s4
	v_or_b32_e32 v17, 0x400000, v1
	v_cmp_u_f32_e64 s4, v1, v1
	v_lshrrev_b32_e32 v12, 16, v12
	buffer_store_dword v12, off, s[0:3], s32 offset:408 ; 4-byte Folded Spill
	v_bfe_u32 v12, v1, 16, 1
	v_add3_u32 v12, v12, v1, 0x7fff
	v_cndmask_b32_e64 v1, v12, v17, s4
	v_or_b32_e32 v12, 0x400000, v0
	v_cmp_u_f32_e64 s4, v0, v0
	v_lshrrev_b32_e32 v1, 16, v1
	buffer_store_dword v1, off, s[0:3], s32 offset:420 ; 4-byte Folded Spill
	v_bfe_u32 v1, v0, 16, 1
	v_add3_u32 v1, v1, v0, 0x7fff
	v_cndmask_b32_e64 v0, v1, v12, s4
	v_lshrrev_b32_e32 v0, 16, v0
	buffer_store_dword v0, off, s[0:3], s32 offset:416 ; 4-byte Folded Spill
	v_mul_f32_e32 v0, v97, v26
	v_bfe_u32 v1, v0, 16, 1
	v_or_b32_e32 v12, 0x400000, v0
	v_cmp_u_f32_e64 s4, v0, v0
	v_add3_u32 v1, v1, v0, 0x7fff
	v_cndmask_b32_e64 v0, v1, v12, s4
	v_lshrrev_b32_e32 v0, 16, v0
	buffer_store_dword v0, off, s[0:3], s32 offset:400 ; 4-byte Folded Spill
	v_mul_f32_e32 v0, v97, v25
	v_bfe_u32 v1, v0, 16, 1
	v_or_b32_e32 v12, 0x400000, v0
	v_cmp_u_f32_e64 s4, v0, v0
	v_add3_u32 v1, v1, v0, 0x7fff
	v_cndmask_b32_e64 v0, v1, v12, s4
	v_lshrrev_b32_e32 v0, 16, v0
	buffer_store_dword v0, off, s[0:3], s32 offset:412 ; 4-byte Folded Spill
	s_and_saveexec_b32 s18, vcc_lo
	s_cbranch_execz .LBB372_2538
; %bb.2537:                             ;   in Loop: Header=BB372_2076 Depth=1
	s_clause 0x1
	buffer_load_dword v0, off, s[0:3], s32 offset:192
	buffer_load_dword v1, off, s[0:3], s32 offset:416
	s_waitcnt vmcnt(1)
	v_cmp_lt_i32_e64 s4, v124, v0
	s_waitcnt vmcnt(0)
	v_cndmask_b32_e64 v1, 0, v1, s4
	v_cmp_lt_i32_e64 s4, v11, v0
	buffer_store_dword v1, off, s[0:3], s32 offset:416 ; 4-byte Folded Spill
	buffer_load_dword v1, off, s[0:3], s32 offset:420 ; 4-byte Folded Reload
	s_waitcnt vmcnt(0)
	v_cndmask_b32_e64 v1, 0, v1, s4
	v_cmp_lt_i32_e64 s4, v10, v0
	buffer_store_dword v1, off, s[0:3], s32 offset:420 ; 4-byte Folded Spill
	buffer_load_dword v1, off, s[0:3], s32 offset:408 ; 4-byte Folded Reload
	;; [unrolled: 5-line block ×6, first 2 shown]
	s_waitcnt vmcnt(0)
	v_cndmask_b32_e64 v1, 0, v1, s4
	v_cmp_lt_i32_e64 s4, v65, v0
	buffer_load_dword v0, off, s[0:3], s32 offset:412 ; 4-byte Folded Reload
	buffer_store_dword v1, off, s[0:3], s32 offset:400 ; 4-byte Folded Spill
	s_waitcnt vmcnt(0)
	v_cndmask_b32_e64 v0, 0, v0, s4
	buffer_store_dword v0, off, s[0:3], s32 offset:412 ; 4-byte Folded Spill
.LBB372_2538:                           ;   in Loop: Header=BB372_2076 Depth=1
	s_or_b32 exec_lo, exec_lo, s18
	flat_load_dwordx2 v[21:22], v[19:20] offset:1792
	v_mov_b32_e32 v1, 0
	v_mov_b32_e32 v0, 0
	s_waitcnt vmcnt(0) lgkmcnt(0)
	v_cmp_ne_u16_sdwa s4, v21, v13 src0_sel:BYTE_0 src1_sel:DWORD
	s_and_saveexec_b32 s18, s4
	s_cbranch_execz .LBB372_2546
; %bb.2539:                             ;   in Loop: Header=BB372_2076 Depth=1
	v_cmp_ne_u16_sdwa s4, v21, v103 src0_sel:BYTE_0 src1_sel:DWORD
	v_bfrev_b32_e32 v0, 1
	s_and_saveexec_b32 s19, s4
	s_cbranch_execz .LBB372_2545
; %bb.2540:                             ;   in Loop: Header=BB372_2076 Depth=1
	v_and_b32_e32 v12, 0x7f, v21
	v_mov_b32_e32 v0, 0x7f800001
	s_mov_b32 s20, exec_lo
	v_cmpx_ne_u32_e32 0x7f, v12
	s_cbranch_execz .LBB372_2544
; %bb.2541:                             ;   in Loop: Header=BB372_2076 Depth=1
	v_mov_b32_e32 v24, v22
	v_lshrrev_b32_e32 v0, 3, v12
	v_mov_b32_e32 v23, v21
	s_mov_b32 s21, exec_lo
	v_cmpx_gt_u32_e32 8, v12
; %bb.2542:                             ;   in Loop: Header=BB372_2076 Depth=1
	v_and_b32_e32 v0, 7, v21
	v_ffbh_u32_e32 v0, v0
	v_min_u32_e32 v0, 32, v0
	v_subrev_nc_u32_e32 v12, 28, v0
	v_sub_nc_u32_e32 v0, 29, v0
	v_lshlrev_b64 v[23:24], v12, v[21:22]
; %bb.2543:                             ;   in Loop: Header=BB372_2076 Depth=1
	s_or_b32 exec_lo, exec_lo, s21
	v_lshlrev_b32_e32 v12, 20, v23
	v_lshlrev_b32_e32 v17, 24, v21
	v_lshl_add_u32 v0, v0, 23, 0x3c000000
	v_and_b32_e32 v12, 0x700000, v12
	v_and_b32_e32 v17, 0x80000000, v17
	v_or3_b32 v0, v12, v17, v0
.LBB372_2544:                           ;   in Loop: Header=BB372_2076 Depth=1
	s_or_b32 exec_lo, exec_lo, s20
.LBB372_2545:                           ;   in Loop: Header=BB372_2076 Depth=1
	s_or_b32 exec_lo, exec_lo, s19
.LBB372_2546:                           ;   in Loop: Header=BB372_2076 Depth=1
	s_or_b32 exec_lo, exec_lo, s18
	v_cmp_ne_u16_sdwa s4, v21, v13 src0_sel:BYTE_1 src1_sel:DWORD
	s_and_saveexec_b32 s18, s4
	s_cbranch_execz .LBB372_2554
; %bb.2547:                             ;   in Loop: Header=BB372_2076 Depth=1
	v_cmp_ne_u16_sdwa s4, v21, v103 src0_sel:BYTE_1 src1_sel:DWORD
	v_bfrev_b32_e32 v1, 1
	s_and_saveexec_b32 s19, s4
	s_cbranch_execz .LBB372_2553
; %bb.2548:                             ;   in Loop: Header=BB372_2076 Depth=1
	v_mov_b32_e32 v1, 0xffff
	s_mov_b32 s20, exec_lo
	v_and_b32_sdwa v12, v1, v21 dst_sel:DWORD dst_unused:UNUSED_PAD src0_sel:DWORD src1_sel:BYTE_1
	v_mov_b32_e32 v1, 0x7f800001
	v_and_b32_e32 v17, 0x7f, v12
	v_cmpx_ne_u32_e32 0x7f, v17
	s_cbranch_execz .LBB372_2552
; %bb.2549:                             ;   in Loop: Header=BB372_2076 Depth=1
	v_and_b32_e32 v12, 7, v12
	v_mov_b32_e32 v24, v13
	v_lshrrev_b32_e32 v1, 3, v17
	s_mov_b32 s21, exec_lo
	v_mov_b32_e32 v23, v12
	v_cmpx_gt_u32_e32 8, v17
; %bb.2550:                             ;   in Loop: Header=BB372_2076 Depth=1
	v_ffbh_u32_e32 v1, v12
	v_min_u32_e32 v1, 32, v1
	v_subrev_nc_u32_e32 v17, 28, v1
	v_sub_nc_u32_e32 v1, 29, v1
	v_lshlrev_b64 v[17:18], v17, v[12:13]
	v_and_b32_e32 v23, 7, v17
; %bb.2551:                             ;   in Loop: Header=BB372_2076 Depth=1
	s_or_b32 exec_lo, exec_lo, s21
	v_lshlrev_b32_e32 v12, 16, v21
	v_lshlrev_b32_e32 v17, 20, v23
	v_lshl_add_u32 v1, v1, 23, 0x3c000000
	v_and_b32_e32 v12, 0x80000000, v12
	v_or3_b32 v1, v17, v12, v1
.LBB372_2552:                           ;   in Loop: Header=BB372_2076 Depth=1
	s_or_b32 exec_lo, exec_lo, s20
.LBB372_2553:                           ;   in Loop: Header=BB372_2076 Depth=1
	s_or_b32 exec_lo, exec_lo, s19
.LBB372_2554:                           ;   in Loop: Header=BB372_2076 Depth=1
	s_or_b32 exec_lo, exec_lo, s18
	v_and_b32_sdwa v12, v21, v113 dst_sel:DWORD dst_unused:UNUSED_PAD src0_sel:WORD_1 src1_sel:DWORD
	v_mov_b32_e32 v18, 0
	v_mov_b32_e32 v17, 0
	s_mov_b32 s18, exec_lo
	v_cmpx_ne_u16_e32 0, v12
	s_cbranch_execz .LBB372_2562
; %bb.2555:                             ;   in Loop: Header=BB372_2076 Depth=1
	v_bfrev_b32_e32 v17, 1
	s_mov_b32 s19, exec_lo
	v_cmpx_ne_u16_e32 0x80, v12
	s_cbranch_execz .LBB372_2561
; %bb.2556:                             ;   in Loop: Header=BB372_2076 Depth=1
	v_bfe_u32 v23, v21, 16, 7
	v_mov_b32_e32 v17, 0x7f800001
	s_mov_b32 s20, exec_lo
	v_cmpx_ne_u32_e32 0x7f, v23
	s_cbranch_execz .LBB372_2560
; %bb.2557:                             ;   in Loop: Header=BB372_2076 Depth=1
	v_and_b32_sdwa v12, v21, v114 dst_sel:DWORD dst_unused:UNUSED_PAD src0_sel:WORD_1 src1_sel:DWORD
	v_lshrrev_b32_e32 v17, 3, v23
	v_cmp_gt_u32_e64 s4, 8, v23
	v_mov_b32_e32 v24, v13
	v_mov_b32_e32 v23, v12
	s_and_saveexec_b32 s21, s4
; %bb.2558:                             ;   in Loop: Header=BB372_2076 Depth=1
	v_ffbh_u32_e32 v17, v12
	v_min_u32_e32 v17, 32, v17
	v_subrev_nc_u32_e32 v23, 28, v17
	v_sub_nc_u32_e32 v17, 29, v17
	v_lshlrev_b64 v[23:24], v23, v[12:13]
	v_and_b32_e32 v23, 7, v23
; %bb.2559:                             ;   in Loop: Header=BB372_2076 Depth=1
	s_or_b32 exec_lo, exec_lo, s21
	v_lshlrev_b32_sdwa v12, v115, v21 dst_sel:DWORD dst_unused:UNUSED_PAD src0_sel:DWORD src1_sel:WORD_1
	v_lshlrev_b32_e32 v23, 20, v23
	v_lshl_add_u32 v17, v17, 23, 0x3c000000
	v_and_b32_e32 v12, 0x80000000, v12
	v_or3_b32 v17, v23, v12, v17
.LBB372_2560:                           ;   in Loop: Header=BB372_2076 Depth=1
	s_or_b32 exec_lo, exec_lo, s20
.LBB372_2561:                           ;   in Loop: Header=BB372_2076 Depth=1
	s_or_b32 exec_lo, exec_lo, s19
.LBB372_2562:                           ;   in Loop: Header=BB372_2076 Depth=1
	s_or_b32 exec_lo, exec_lo, s18
	s_mov_b32 s18, exec_lo
	v_cmpx_lt_u32_e32 0xffffff, v21
	s_cbranch_execz .LBB372_2570
; %bb.2563:                             ;   in Loop: Header=BB372_2076 Depth=1
	v_cmp_ne_u32_sdwa s4, v21, v103 src0_sel:BYTE_3 src1_sel:DWORD
	v_bfrev_b32_e32 v18, 1
	s_and_saveexec_b32 s19, s4
	s_cbranch_execz .LBB372_2569
; %bb.2564:                             ;   in Loop: Header=BB372_2076 Depth=1
	v_bfe_u32 v23, v21, 24, 7
	v_mov_b32_e32 v18, 0x7f800001
	s_mov_b32 s20, exec_lo
	v_cmpx_ne_u32_e32 0x7f, v23
	s_cbranch_execz .LBB372_2568
; %bb.2565:                             ;   in Loop: Header=BB372_2076 Depth=1
	v_and_b32_sdwa v12, v21, v114 dst_sel:DWORD dst_unused:UNUSED_PAD src0_sel:BYTE_3 src1_sel:DWORD
	v_lshrrev_b32_e32 v18, 3, v23
	v_cmp_gt_u32_e64 s4, 8, v23
	v_mov_b32_e32 v24, v13
	v_mov_b32_e32 v23, v12
	s_and_saveexec_b32 s21, s4
; %bb.2566:                             ;   in Loop: Header=BB372_2076 Depth=1
	v_ffbh_u32_e32 v18, v12
	v_min_u32_e32 v18, 32, v18
	v_subrev_nc_u32_e32 v23, 28, v18
	v_sub_nc_u32_e32 v18, 29, v18
	v_lshlrev_b64 v[23:24], v23, v[12:13]
	v_and_b32_e32 v23, 7, v23
; %bb.2567:                             ;   in Loop: Header=BB372_2076 Depth=1
	s_or_b32 exec_lo, exec_lo, s21
	v_lshlrev_b32_sdwa v12, v115, v21 dst_sel:DWORD dst_unused:UNUSED_PAD src0_sel:DWORD src1_sel:BYTE_3
	v_lshlrev_b32_e32 v23, 20, v23
	v_lshl_add_u32 v18, v18, 23, 0x3c000000
	v_and_b32_e32 v12, 0x80000000, v12
	v_or3_b32 v18, v23, v12, v18
.LBB372_2568:                           ;   in Loop: Header=BB372_2076 Depth=1
	s_or_b32 exec_lo, exec_lo, s20
.LBB372_2569:                           ;   in Loop: Header=BB372_2076 Depth=1
	s_or_b32 exec_lo, exec_lo, s19
.LBB372_2570:                           ;   in Loop: Header=BB372_2076 Depth=1
	s_or_b32 exec_lo, exec_lo, s18
	v_mov_b32_e32 v12, v22
	v_cmp_ne_u16_sdwa s4, v22, v13 src0_sel:BYTE_0 src1_sel:DWORD
	v_mov_b32_e32 v28, 0
	v_mov_b32_e32 v27, 0
	s_and_saveexec_b32 s18, s4
	s_cbranch_execz .LBB372_2578
; %bb.2571:                             ;   in Loop: Header=BB372_2076 Depth=1
	v_cmp_ne_u16_sdwa s4, v22, v103 src0_sel:BYTE_0 src1_sel:DWORD
	v_bfrev_b32_e32 v27, 1
	s_and_saveexec_b32 s19, s4
	s_cbranch_execz .LBB372_2577
; %bb.2572:                             ;   in Loop: Header=BB372_2076 Depth=1
	v_and_b32_e32 v23, 0x7f, v22
	v_mov_b32_e32 v27, 0x7f800001
	s_mov_b32 s20, exec_lo
	v_cmpx_ne_u32_e32 0x7f, v23
	s_cbranch_execz .LBB372_2576
; %bb.2573:                             ;   in Loop: Header=BB372_2076 Depth=1
	v_lshrrev_b32_e32 v25, 3, v23
	v_cmp_gt_u32_e64 s4, 8, v23
	v_mov_b32_e32 v24, v13
	v_mov_b32_e32 v23, v12
	s_and_saveexec_b32 s21, s4
; %bb.2574:                             ;   in Loop: Header=BB372_2076 Depth=1
	v_and_b32_e32 v23, 7, v22
	v_ffbh_u32_e32 v23, v23
	v_min_u32_e32 v25, 32, v23
	v_subrev_nc_u32_e32 v23, 28, v25
	v_sub_nc_u32_e32 v25, 29, v25
	v_lshlrev_b64 v[23:24], v23, v[12:13]
; %bb.2575:                             ;   in Loop: Header=BB372_2076 Depth=1
	s_or_b32 exec_lo, exec_lo, s21
	v_lshlrev_b32_e32 v23, 20, v23
	v_lshlrev_b32_e32 v24, 24, v12
	v_lshl_add_u32 v25, v25, 23, 0x3c000000
	v_and_b32_e32 v23, 0x700000, v23
	v_and_b32_e32 v24, 0x80000000, v24
	v_or3_b32 v27, v23, v24, v25
.LBB372_2576:                           ;   in Loop: Header=BB372_2076 Depth=1
	s_or_b32 exec_lo, exec_lo, s20
.LBB372_2577:                           ;   in Loop: Header=BB372_2076 Depth=1
	s_or_b32 exec_lo, exec_lo, s19
.LBB372_2578:                           ;   in Loop: Header=BB372_2076 Depth=1
	s_or_b32 exec_lo, exec_lo, s18
	v_cmp_ne_u16_sdwa s4, v12, v13 src0_sel:BYTE_1 src1_sel:DWORD
	s_and_saveexec_b32 s18, s4
	s_cbranch_execz .LBB372_2586
; %bb.2579:                             ;   in Loop: Header=BB372_2076 Depth=1
	v_cmp_ne_u16_sdwa s4, v12, v103 src0_sel:BYTE_1 src1_sel:DWORD
	v_bfrev_b32_e32 v28, 1
	s_and_saveexec_b32 s19, s4
	s_cbranch_execz .LBB372_2585
; %bb.2580:                             ;   in Loop: Header=BB372_2076 Depth=1
	v_mov_b32_e32 v23, 0xffff
	v_mov_b32_e32 v28, 0x7f800001
	s_mov_b32 s20, exec_lo
	v_and_b32_sdwa v23, v23, v12 dst_sel:DWORD dst_unused:UNUSED_PAD src0_sel:DWORD src1_sel:BYTE_1
	v_and_b32_e32 v26, 0x7f, v23
	v_cmpx_ne_u32_e32 0x7f, v26
	s_cbranch_execz .LBB372_2584
; %bb.2581:                             ;   in Loop: Header=BB372_2076 Depth=1
	v_and_b32_e32 v23, 7, v23
	v_mov_b32_e32 v24, v13
	v_lshrrev_b32_e32 v25, 3, v26
	s_mov_b32 s21, exec_lo
	v_cmpx_gt_u32_e32 8, v26
; %bb.2582:                             ;   in Loop: Header=BB372_2076 Depth=1
	v_ffbh_u32_e32 v25, v23
	v_min_u32_e32 v25, 32, v25
	v_subrev_nc_u32_e32 v26, 28, v25
	v_sub_nc_u32_e32 v25, 29, v25
	v_lshlrev_b64 v[23:24], v26, v[23:24]
	v_and_b32_e32 v23, 7, v23
; %bb.2583:                             ;   in Loop: Header=BB372_2076 Depth=1
	s_or_b32 exec_lo, exec_lo, s21
	v_lshlrev_b32_e32 v12, 16, v12
	v_lshlrev_b32_e32 v23, 20, v23
	v_lshl_add_u32 v24, v25, 23, 0x3c000000
	v_and_b32_e32 v12, 0x80000000, v12
	v_or3_b32 v28, v23, v12, v24
.LBB372_2584:                           ;   in Loop: Header=BB372_2076 Depth=1
	s_or_b32 exec_lo, exec_lo, s20
.LBB372_2585:                           ;   in Loop: Header=BB372_2076 Depth=1
	s_or_b32 exec_lo, exec_lo, s19
.LBB372_2586:                           ;   in Loop: Header=BB372_2076 Depth=1
	s_or_b32 exec_lo, exec_lo, s18
	v_and_b32_sdwa v12, v22, v113 dst_sel:DWORD dst_unused:UNUSED_PAD src0_sel:WORD_1 src1_sel:DWORD
	v_mov_b32_e32 v25, 0
	v_mov_b32_e32 v26, 0
	s_mov_b32 s18, exec_lo
	v_cmpx_ne_u16_e32 0, v12
	s_cbranch_execz .LBB372_2594
; %bb.2587:                             ;   in Loop: Header=BB372_2076 Depth=1
	v_bfrev_b32_e32 v26, 1
	s_mov_b32 s19, exec_lo
	v_cmpx_ne_u16_e32 0x80, v12
	s_cbranch_execz .LBB372_2593
; %bb.2588:                             ;   in Loop: Header=BB372_2076 Depth=1
	v_bfe_u32 v23, v22, 16, 7
	v_mov_b32_e32 v26, 0x7f800001
	s_mov_b32 s20, exec_lo
	v_cmpx_ne_u32_e32 0x7f, v23
	s_cbranch_execz .LBB372_2592
; %bb.2589:                             ;   in Loop: Header=BB372_2076 Depth=1
	v_and_b32_sdwa v12, v22, v114 dst_sel:DWORD dst_unused:UNUSED_PAD src0_sel:WORD_1 src1_sel:DWORD
	v_lshrrev_b32_e32 v26, 3, v23
	v_cmp_gt_u32_e64 s4, 8, v23
	v_mov_b32_e32 v24, v13
	v_mov_b32_e32 v23, v12
	s_and_saveexec_b32 s21, s4
; %bb.2590:                             ;   in Loop: Header=BB372_2076 Depth=1
	v_ffbh_u32_e32 v23, v12
	v_min_u32_e32 v26, 32, v23
	v_subrev_nc_u32_e32 v23, 28, v26
	v_sub_nc_u32_e32 v26, 29, v26
	v_lshlrev_b64 v[23:24], v23, v[12:13]
	v_and_b32_e32 v23, 7, v23
; %bb.2591:                             ;   in Loop: Header=BB372_2076 Depth=1
	s_or_b32 exec_lo, exec_lo, s21
	v_lshlrev_b32_sdwa v12, v115, v22 dst_sel:DWORD dst_unused:UNUSED_PAD src0_sel:DWORD src1_sel:WORD_1
	v_lshlrev_b32_e32 v23, 20, v23
	v_lshl_add_u32 v24, v26, 23, 0x3c000000
	v_and_b32_e32 v12, 0x80000000, v12
	v_or3_b32 v26, v23, v12, v24
.LBB372_2592:                           ;   in Loop: Header=BB372_2076 Depth=1
	s_or_b32 exec_lo, exec_lo, s20
.LBB372_2593:                           ;   in Loop: Header=BB372_2076 Depth=1
	s_or_b32 exec_lo, exec_lo, s19
.LBB372_2594:                           ;   in Loop: Header=BB372_2076 Depth=1
	s_or_b32 exec_lo, exec_lo, s18
	s_mov_b32 s18, exec_lo
	v_cmpx_lt_u64_e64 s[6:7], v[21:22]
	s_cbranch_execz .LBB372_2602
; %bb.2595:                             ;   in Loop: Header=BB372_2076 Depth=1
	v_cmp_ne_u32_sdwa s4, v22, v103 src0_sel:BYTE_3 src1_sel:DWORD
	v_bfrev_b32_e32 v25, 1
	s_and_saveexec_b32 s19, s4
	s_cbranch_execz .LBB372_2601
; %bb.2596:                             ;   in Loop: Header=BB372_2076 Depth=1
	v_bfe_u32 v23, v22, 24, 7
	v_mov_b32_e32 v25, 0x7f800001
	s_mov_b32 s20, exec_lo
	v_cmpx_ne_u32_e32 0x7f, v23
	s_cbranch_execz .LBB372_2600
; %bb.2597:                             ;   in Loop: Header=BB372_2076 Depth=1
	v_and_b32_sdwa v12, v22, v114 dst_sel:DWORD dst_unused:UNUSED_PAD src0_sel:BYTE_3 src1_sel:DWORD
	v_lshrrev_b32_e32 v21, 3, v23
	v_cmp_gt_u32_e64 s4, 8, v23
	v_mov_b32_e32 v24, v13
	v_mov_b32_e32 v23, v12
	s_and_saveexec_b32 s21, s4
; %bb.2598:                             ;   in Loop: Header=BB372_2076 Depth=1
	v_ffbh_u32_e32 v21, v12
	v_min_u32_e32 v21, 32, v21
	v_subrev_nc_u32_e32 v23, 28, v21
	v_sub_nc_u32_e32 v21, 29, v21
	v_lshlrev_b64 v[23:24], v23, v[12:13]
	v_and_b32_e32 v23, 7, v23
; %bb.2599:                             ;   in Loop: Header=BB372_2076 Depth=1
	s_or_b32 exec_lo, exec_lo, s21
	v_lshlrev_b32_sdwa v12, v115, v22 dst_sel:DWORD dst_unused:UNUSED_PAD src0_sel:DWORD src1_sel:BYTE_3
	v_lshlrev_b32_e32 v22, 20, v23
	v_lshl_add_u32 v21, v21, 23, 0x3c000000
	v_and_b32_e32 v12, 0x80000000, v12
	v_or3_b32 v25, v22, v12, v21
.LBB372_2600:                           ;   in Loop: Header=BB372_2076 Depth=1
	s_or_b32 exec_lo, exec_lo, s20
.LBB372_2601:                           ;   in Loop: Header=BB372_2076 Depth=1
	s_or_b32 exec_lo, exec_lo, s19
.LBB372_2602:                           ;   in Loop: Header=BB372_2076 Depth=1
	s_or_b32 exec_lo, exec_lo, s18
	v_mul_f32_e32 v12, v97, v28
	v_mul_f32_e32 v1, v97, v1
	v_mul_f32_e32 v0, v97, v0
	v_bfe_u32 v21, v12, 16, 1
	v_or_b32_e32 v22, 0x400000, v12
	v_cmp_u_f32_e64 s4, v12, v12
	v_add3_u32 v21, v21, v12, 0x7fff
	v_cndmask_b32_e64 v12, v21, v22, s4
	v_lshrrev_b32_e32 v12, 16, v12
	buffer_store_dword v12, off, s[0:3], s32 offset:428 ; 4-byte Folded Spill
	v_mul_f32_e32 v12, v97, v27
	v_bfe_u32 v21, v12, 16, 1
	v_or_b32_e32 v22, 0x400000, v12
	v_cmp_u_f32_e64 s4, v12, v12
	v_add3_u32 v21, v21, v12, 0x7fff
	v_cndmask_b32_e64 v12, v21, v22, s4
	v_lshrrev_b32_e32 v12, 16, v12
	buffer_store_dword v12, off, s[0:3], s32 offset:424 ; 4-byte Folded Spill
	v_mul_f32_e32 v12, v97, v18
	;; [unrolled: 8-line block ×3, first 2 shown]
	v_bfe_u32 v17, v12, 16, 1
	v_or_b32_e32 v18, 0x400000, v12
	v_cmp_u_f32_e64 s4, v12, v12
	v_add3_u32 v17, v17, v12, 0x7fff
	v_cndmask_b32_e64 v12, v17, v18, s4
	v_or_b32_e32 v17, 0x400000, v1
	v_cmp_u_f32_e64 s4, v1, v1
	v_lshrrev_b32_e32 v12, 16, v12
	buffer_store_dword v12, off, s[0:3], s32 offset:436 ; 4-byte Folded Spill
	v_bfe_u32 v12, v1, 16, 1
	v_add3_u32 v12, v12, v1, 0x7fff
	v_cndmask_b32_e64 v1, v12, v17, s4
	v_or_b32_e32 v12, 0x400000, v0
	v_cmp_u_f32_e64 s4, v0, v0
	v_lshrrev_b32_e32 v1, 16, v1
	buffer_store_dword v1, off, s[0:3], s32 offset:452 ; 4-byte Folded Spill
	v_bfe_u32 v1, v0, 16, 1
	v_add3_u32 v1, v1, v0, 0x7fff
	v_cndmask_b32_e64 v0, v1, v12, s4
	v_lshrrev_b32_e32 v0, 16, v0
	buffer_store_dword v0, off, s[0:3], s32 offset:448 ; 4-byte Folded Spill
	v_mul_f32_e32 v0, v97, v26
	v_bfe_u32 v1, v0, 16, 1
	v_or_b32_e32 v12, 0x400000, v0
	v_cmp_u_f32_e64 s4, v0, v0
	v_add3_u32 v1, v1, v0, 0x7fff
	v_cndmask_b32_e64 v0, v1, v12, s4
	v_lshrrev_b32_e32 v0, 16, v0
	buffer_store_dword v0, off, s[0:3], s32 offset:440 ; 4-byte Folded Spill
	v_mul_f32_e32 v0, v97, v25
	v_bfe_u32 v1, v0, 16, 1
	v_or_b32_e32 v12, 0x400000, v0
	v_cmp_u_f32_e64 s4, v0, v0
	v_add3_u32 v1, v1, v0, 0x7fff
	v_cndmask_b32_e64 v0, v1, v12, s4
	v_lshrrev_b32_e32 v0, 16, v0
	buffer_store_dword v0, off, s[0:3], s32 offset:444 ; 4-byte Folded Spill
	s_and_saveexec_b32 s18, vcc_lo
	s_cbranch_execz .LBB372_2604
; %bb.2603:                             ;   in Loop: Header=BB372_2076 Depth=1
	s_clause 0x1
	buffer_load_dword v0, off, s[0:3], s32 offset:192
	buffer_load_dword v1, off, s[0:3], s32 offset:448
	s_waitcnt vmcnt(1)
	v_cmp_lt_i32_e64 s4, v124, v0
	s_waitcnt vmcnt(0)
	v_cndmask_b32_e64 v1, 0, v1, s4
	v_cmp_lt_i32_e64 s4, v11, v0
	buffer_store_dword v1, off, s[0:3], s32 offset:448 ; 4-byte Folded Spill
	buffer_load_dword v1, off, s[0:3], s32 offset:452 ; 4-byte Folded Reload
	s_waitcnt vmcnt(0)
	v_cndmask_b32_e64 v1, 0, v1, s4
	v_cmp_lt_i32_e64 s4, v10, v0
	buffer_store_dword v1, off, s[0:3], s32 offset:452 ; 4-byte Folded Spill
	buffer_load_dword v1, off, s[0:3], s32 offset:436 ; 4-byte Folded Reload
	;; [unrolled: 5-line block ×6, first 2 shown]
	s_waitcnt vmcnt(0)
	v_cndmask_b32_e64 v1, 0, v1, s4
	v_cmp_lt_i32_e64 s4, v65, v0
	buffer_load_dword v0, off, s[0:3], s32 offset:444 ; 4-byte Folded Reload
	buffer_store_dword v1, off, s[0:3], s32 offset:440 ; 4-byte Folded Spill
	s_waitcnt vmcnt(0)
	v_cndmask_b32_e64 v0, 0, v0, s4
	buffer_store_dword v0, off, s[0:3], s32 offset:444 ; 4-byte Folded Spill
.LBB372_2604:                           ;   in Loop: Header=BB372_2076 Depth=1
	s_or_b32 exec_lo, exec_lo, s18
	v_add_co_u32 v21, s4, 0x800, v19
	v_add_co_ci_u32_e64 v22, null, 0, v20, s4
	v_mov_b32_e32 v1, 0
	v_mov_b32_e32 v0, 0
	flat_load_dwordx2 v[23:24], v[21:22]
	s_waitcnt vmcnt(0) lgkmcnt(0)
	v_cmp_ne_u16_sdwa s4, v23, v13 src0_sel:BYTE_0 src1_sel:DWORD
	s_and_saveexec_b32 s18, s4
	s_cbranch_execz .LBB372_2612
; %bb.2605:                             ;   in Loop: Header=BB372_2076 Depth=1
	v_cmp_ne_u16_sdwa s4, v23, v103 src0_sel:BYTE_0 src1_sel:DWORD
	v_bfrev_b32_e32 v0, 1
	s_and_saveexec_b32 s19, s4
	s_cbranch_execz .LBB372_2611
; %bb.2606:                             ;   in Loop: Header=BB372_2076 Depth=1
	v_and_b32_e32 v12, 0x7f, v23
	v_mov_b32_e32 v0, 0x7f800001
	s_mov_b32 s20, exec_lo
	v_cmpx_ne_u32_e32 0x7f, v12
	s_cbranch_execz .LBB372_2610
; %bb.2607:                             ;   in Loop: Header=BB372_2076 Depth=1
	v_mov_b32_e32 v26, v24
	v_lshrrev_b32_e32 v0, 3, v12
	v_mov_b32_e32 v25, v23
	s_mov_b32 s21, exec_lo
	v_cmpx_gt_u32_e32 8, v12
; %bb.2608:                             ;   in Loop: Header=BB372_2076 Depth=1
	v_and_b32_e32 v0, 7, v23
	v_ffbh_u32_e32 v0, v0
	v_min_u32_e32 v0, 32, v0
	v_subrev_nc_u32_e32 v12, 28, v0
	v_sub_nc_u32_e32 v0, 29, v0
	v_lshlrev_b64 v[25:26], v12, v[23:24]
; %bb.2609:                             ;   in Loop: Header=BB372_2076 Depth=1
	s_or_b32 exec_lo, exec_lo, s21
	v_lshlrev_b32_e32 v12, 20, v25
	v_lshlrev_b32_e32 v17, 24, v23
	v_lshl_add_u32 v0, v0, 23, 0x3c000000
	v_and_b32_e32 v12, 0x700000, v12
	v_and_b32_e32 v17, 0x80000000, v17
	v_or3_b32 v0, v12, v17, v0
.LBB372_2610:                           ;   in Loop: Header=BB372_2076 Depth=1
	s_or_b32 exec_lo, exec_lo, s20
.LBB372_2611:                           ;   in Loop: Header=BB372_2076 Depth=1
	s_or_b32 exec_lo, exec_lo, s19
.LBB372_2612:                           ;   in Loop: Header=BB372_2076 Depth=1
	s_or_b32 exec_lo, exec_lo, s18
	v_cmp_ne_u16_sdwa s4, v23, v13 src0_sel:BYTE_1 src1_sel:DWORD
	s_and_saveexec_b32 s18, s4
	s_cbranch_execz .LBB372_2620
; %bb.2613:                             ;   in Loop: Header=BB372_2076 Depth=1
	v_cmp_ne_u16_sdwa s4, v23, v103 src0_sel:BYTE_1 src1_sel:DWORD
	v_bfrev_b32_e32 v1, 1
	s_and_saveexec_b32 s19, s4
	s_cbranch_execz .LBB372_2619
; %bb.2614:                             ;   in Loop: Header=BB372_2076 Depth=1
	v_mov_b32_e32 v1, 0xffff
	s_mov_b32 s20, exec_lo
	v_and_b32_sdwa v12, v1, v23 dst_sel:DWORD dst_unused:UNUSED_PAD src0_sel:DWORD src1_sel:BYTE_1
	v_mov_b32_e32 v1, 0x7f800001
	v_and_b32_e32 v17, 0x7f, v12
	v_cmpx_ne_u32_e32 0x7f, v17
	s_cbranch_execz .LBB372_2618
; %bb.2615:                             ;   in Loop: Header=BB372_2076 Depth=1
	v_and_b32_e32 v12, 7, v12
	v_mov_b32_e32 v26, v13
	v_lshrrev_b32_e32 v1, 3, v17
	s_mov_b32 s21, exec_lo
	v_mov_b32_e32 v25, v12
	v_cmpx_gt_u32_e32 8, v17
; %bb.2616:                             ;   in Loop: Header=BB372_2076 Depth=1
	v_ffbh_u32_e32 v1, v12
	v_min_u32_e32 v1, 32, v1
	v_subrev_nc_u32_e32 v17, 28, v1
	v_sub_nc_u32_e32 v1, 29, v1
	v_lshlrev_b64 v[17:18], v17, v[12:13]
	v_and_b32_e32 v25, 7, v17
; %bb.2617:                             ;   in Loop: Header=BB372_2076 Depth=1
	s_or_b32 exec_lo, exec_lo, s21
	v_lshlrev_b32_e32 v12, 16, v23
	v_lshlrev_b32_e32 v17, 20, v25
	v_lshl_add_u32 v1, v1, 23, 0x3c000000
	v_and_b32_e32 v12, 0x80000000, v12
	v_or3_b32 v1, v17, v12, v1
.LBB372_2618:                           ;   in Loop: Header=BB372_2076 Depth=1
	s_or_b32 exec_lo, exec_lo, s20
.LBB372_2619:                           ;   in Loop: Header=BB372_2076 Depth=1
	s_or_b32 exec_lo, exec_lo, s19
.LBB372_2620:                           ;   in Loop: Header=BB372_2076 Depth=1
	s_or_b32 exec_lo, exec_lo, s18
	v_and_b32_sdwa v12, v23, v113 dst_sel:DWORD dst_unused:UNUSED_PAD src0_sel:WORD_1 src1_sel:DWORD
	v_mov_b32_e32 v18, 0
	v_mov_b32_e32 v17, 0
	s_mov_b32 s18, exec_lo
	v_cmpx_ne_u16_e32 0, v12
	s_cbranch_execz .LBB372_2628
; %bb.2621:                             ;   in Loop: Header=BB372_2076 Depth=1
	v_bfrev_b32_e32 v17, 1
	s_mov_b32 s19, exec_lo
	v_cmpx_ne_u16_e32 0x80, v12
	s_cbranch_execz .LBB372_2627
; %bb.2622:                             ;   in Loop: Header=BB372_2076 Depth=1
	v_bfe_u32 v25, v23, 16, 7
	v_mov_b32_e32 v17, 0x7f800001
	s_mov_b32 s20, exec_lo
	v_cmpx_ne_u32_e32 0x7f, v25
	s_cbranch_execz .LBB372_2626
; %bb.2623:                             ;   in Loop: Header=BB372_2076 Depth=1
	v_and_b32_sdwa v12, v23, v114 dst_sel:DWORD dst_unused:UNUSED_PAD src0_sel:WORD_1 src1_sel:DWORD
	v_lshrrev_b32_e32 v17, 3, v25
	v_cmp_gt_u32_e64 s4, 8, v25
	v_mov_b32_e32 v26, v13
	v_mov_b32_e32 v25, v12
	s_and_saveexec_b32 s21, s4
; %bb.2624:                             ;   in Loop: Header=BB372_2076 Depth=1
	v_ffbh_u32_e32 v17, v12
	v_min_u32_e32 v17, 32, v17
	v_subrev_nc_u32_e32 v25, 28, v17
	v_sub_nc_u32_e32 v17, 29, v17
	v_lshlrev_b64 v[25:26], v25, v[12:13]
	v_and_b32_e32 v25, 7, v25
; %bb.2625:                             ;   in Loop: Header=BB372_2076 Depth=1
	s_or_b32 exec_lo, exec_lo, s21
	v_lshlrev_b32_sdwa v12, v115, v23 dst_sel:DWORD dst_unused:UNUSED_PAD src0_sel:DWORD src1_sel:WORD_1
	v_lshlrev_b32_e32 v25, 20, v25
	v_lshl_add_u32 v17, v17, 23, 0x3c000000
	v_and_b32_e32 v12, 0x80000000, v12
	v_or3_b32 v17, v25, v12, v17
.LBB372_2626:                           ;   in Loop: Header=BB372_2076 Depth=1
	s_or_b32 exec_lo, exec_lo, s20
.LBB372_2627:                           ;   in Loop: Header=BB372_2076 Depth=1
	s_or_b32 exec_lo, exec_lo, s19
.LBB372_2628:                           ;   in Loop: Header=BB372_2076 Depth=1
	s_or_b32 exec_lo, exec_lo, s18
	s_mov_b32 s18, exec_lo
	v_cmpx_lt_u32_e32 0xffffff, v23
	s_cbranch_execz .LBB372_2636
; %bb.2629:                             ;   in Loop: Header=BB372_2076 Depth=1
	v_cmp_ne_u32_sdwa s4, v23, v103 src0_sel:BYTE_3 src1_sel:DWORD
	v_bfrev_b32_e32 v18, 1
	s_and_saveexec_b32 s19, s4
	s_cbranch_execz .LBB372_2635
; %bb.2630:                             ;   in Loop: Header=BB372_2076 Depth=1
	v_bfe_u32 v25, v23, 24, 7
	v_mov_b32_e32 v18, 0x7f800001
	s_mov_b32 s20, exec_lo
	v_cmpx_ne_u32_e32 0x7f, v25
	s_cbranch_execz .LBB372_2634
; %bb.2631:                             ;   in Loop: Header=BB372_2076 Depth=1
	v_and_b32_sdwa v12, v23, v114 dst_sel:DWORD dst_unused:UNUSED_PAD src0_sel:BYTE_3 src1_sel:DWORD
	v_lshrrev_b32_e32 v18, 3, v25
	v_cmp_gt_u32_e64 s4, 8, v25
	v_mov_b32_e32 v26, v13
	v_mov_b32_e32 v25, v12
	s_and_saveexec_b32 s21, s4
; %bb.2632:                             ;   in Loop: Header=BB372_2076 Depth=1
	v_ffbh_u32_e32 v18, v12
	v_min_u32_e32 v18, 32, v18
	v_subrev_nc_u32_e32 v25, 28, v18
	v_sub_nc_u32_e32 v18, 29, v18
	v_lshlrev_b64 v[25:26], v25, v[12:13]
	v_and_b32_e32 v25, 7, v25
; %bb.2633:                             ;   in Loop: Header=BB372_2076 Depth=1
	s_or_b32 exec_lo, exec_lo, s21
	v_lshlrev_b32_sdwa v12, v115, v23 dst_sel:DWORD dst_unused:UNUSED_PAD src0_sel:DWORD src1_sel:BYTE_3
	v_lshlrev_b32_e32 v25, 20, v25
	v_lshl_add_u32 v18, v18, 23, 0x3c000000
	v_and_b32_e32 v12, 0x80000000, v12
	v_or3_b32 v18, v25, v12, v18
.LBB372_2634:                           ;   in Loop: Header=BB372_2076 Depth=1
	s_or_b32 exec_lo, exec_lo, s20
.LBB372_2635:                           ;   in Loop: Header=BB372_2076 Depth=1
	s_or_b32 exec_lo, exec_lo, s19
.LBB372_2636:                           ;   in Loop: Header=BB372_2076 Depth=1
	s_or_b32 exec_lo, exec_lo, s18
	v_mov_b32_e32 v12, v24
	v_cmp_ne_u16_sdwa s4, v24, v13 src0_sel:BYTE_0 src1_sel:DWORD
	v_mov_b32_e32 v30, 0
	v_mov_b32_e32 v29, 0
	s_and_saveexec_b32 s18, s4
	s_cbranch_execz .LBB372_2644
; %bb.2637:                             ;   in Loop: Header=BB372_2076 Depth=1
	v_cmp_ne_u16_sdwa s4, v24, v103 src0_sel:BYTE_0 src1_sel:DWORD
	v_bfrev_b32_e32 v29, 1
	s_and_saveexec_b32 s19, s4
	s_cbranch_execz .LBB372_2643
; %bb.2638:                             ;   in Loop: Header=BB372_2076 Depth=1
	v_and_b32_e32 v25, 0x7f, v24
	v_mov_b32_e32 v29, 0x7f800001
	s_mov_b32 s20, exec_lo
	v_cmpx_ne_u32_e32 0x7f, v25
	s_cbranch_execz .LBB372_2642
; %bb.2639:                             ;   in Loop: Header=BB372_2076 Depth=1
	v_lshrrev_b32_e32 v27, 3, v25
	v_cmp_gt_u32_e64 s4, 8, v25
	v_mov_b32_e32 v26, v13
	v_mov_b32_e32 v25, v12
	s_and_saveexec_b32 s21, s4
; %bb.2640:                             ;   in Loop: Header=BB372_2076 Depth=1
	v_and_b32_e32 v25, 7, v24
	v_ffbh_u32_e32 v25, v25
	v_min_u32_e32 v27, 32, v25
	v_subrev_nc_u32_e32 v25, 28, v27
	v_sub_nc_u32_e32 v27, 29, v27
	v_lshlrev_b64 v[25:26], v25, v[12:13]
; %bb.2641:                             ;   in Loop: Header=BB372_2076 Depth=1
	s_or_b32 exec_lo, exec_lo, s21
	v_lshlrev_b32_e32 v25, 20, v25
	v_lshlrev_b32_e32 v26, 24, v12
	v_lshl_add_u32 v27, v27, 23, 0x3c000000
	v_and_b32_e32 v25, 0x700000, v25
	v_and_b32_e32 v26, 0x80000000, v26
	v_or3_b32 v29, v25, v26, v27
.LBB372_2642:                           ;   in Loop: Header=BB372_2076 Depth=1
	s_or_b32 exec_lo, exec_lo, s20
.LBB372_2643:                           ;   in Loop: Header=BB372_2076 Depth=1
	s_or_b32 exec_lo, exec_lo, s19
.LBB372_2644:                           ;   in Loop: Header=BB372_2076 Depth=1
	s_or_b32 exec_lo, exec_lo, s18
	v_cmp_ne_u16_sdwa s4, v12, v13 src0_sel:BYTE_1 src1_sel:DWORD
	s_and_saveexec_b32 s18, s4
	s_cbranch_execz .LBB372_2652
; %bb.2645:                             ;   in Loop: Header=BB372_2076 Depth=1
	v_cmp_ne_u16_sdwa s4, v12, v103 src0_sel:BYTE_1 src1_sel:DWORD
	v_bfrev_b32_e32 v30, 1
	s_and_saveexec_b32 s19, s4
	s_cbranch_execz .LBB372_2651
; %bb.2646:                             ;   in Loop: Header=BB372_2076 Depth=1
	v_mov_b32_e32 v25, 0xffff
	v_mov_b32_e32 v30, 0x7f800001
	s_mov_b32 s20, exec_lo
	v_and_b32_sdwa v25, v25, v12 dst_sel:DWORD dst_unused:UNUSED_PAD src0_sel:DWORD src1_sel:BYTE_1
	v_and_b32_e32 v28, 0x7f, v25
	v_cmpx_ne_u32_e32 0x7f, v28
	s_cbranch_execz .LBB372_2650
; %bb.2647:                             ;   in Loop: Header=BB372_2076 Depth=1
	v_and_b32_e32 v25, 7, v25
	v_mov_b32_e32 v26, v13
	v_lshrrev_b32_e32 v27, 3, v28
	s_mov_b32 s21, exec_lo
	v_cmpx_gt_u32_e32 8, v28
; %bb.2648:                             ;   in Loop: Header=BB372_2076 Depth=1
	v_ffbh_u32_e32 v27, v25
	v_min_u32_e32 v27, 32, v27
	v_subrev_nc_u32_e32 v28, 28, v27
	v_sub_nc_u32_e32 v27, 29, v27
	v_lshlrev_b64 v[25:26], v28, v[25:26]
	v_and_b32_e32 v25, 7, v25
; %bb.2649:                             ;   in Loop: Header=BB372_2076 Depth=1
	s_or_b32 exec_lo, exec_lo, s21
	v_lshlrev_b32_e32 v12, 16, v12
	v_lshlrev_b32_e32 v25, 20, v25
	v_lshl_add_u32 v26, v27, 23, 0x3c000000
	v_and_b32_e32 v12, 0x80000000, v12
	v_or3_b32 v30, v25, v12, v26
.LBB372_2650:                           ;   in Loop: Header=BB372_2076 Depth=1
	s_or_b32 exec_lo, exec_lo, s20
.LBB372_2651:                           ;   in Loop: Header=BB372_2076 Depth=1
	s_or_b32 exec_lo, exec_lo, s19
.LBB372_2652:                           ;   in Loop: Header=BB372_2076 Depth=1
	s_or_b32 exec_lo, exec_lo, s18
	v_and_b32_sdwa v12, v24, v113 dst_sel:DWORD dst_unused:UNUSED_PAD src0_sel:WORD_1 src1_sel:DWORD
	v_mov_b32_e32 v27, 0
	v_mov_b32_e32 v28, 0
	s_mov_b32 s18, exec_lo
	v_cmpx_ne_u16_e32 0, v12
	s_cbranch_execz .LBB372_2660
; %bb.2653:                             ;   in Loop: Header=BB372_2076 Depth=1
	v_bfrev_b32_e32 v28, 1
	s_mov_b32 s19, exec_lo
	v_cmpx_ne_u16_e32 0x80, v12
	s_cbranch_execz .LBB372_2659
; %bb.2654:                             ;   in Loop: Header=BB372_2076 Depth=1
	v_bfe_u32 v25, v24, 16, 7
	v_mov_b32_e32 v28, 0x7f800001
	s_mov_b32 s20, exec_lo
	v_cmpx_ne_u32_e32 0x7f, v25
	s_cbranch_execz .LBB372_2658
; %bb.2655:                             ;   in Loop: Header=BB372_2076 Depth=1
	v_and_b32_sdwa v12, v24, v114 dst_sel:DWORD dst_unused:UNUSED_PAD src0_sel:WORD_1 src1_sel:DWORD
	v_lshrrev_b32_e32 v28, 3, v25
	v_cmp_gt_u32_e64 s4, 8, v25
	v_mov_b32_e32 v26, v13
	v_mov_b32_e32 v25, v12
	s_and_saveexec_b32 s21, s4
; %bb.2656:                             ;   in Loop: Header=BB372_2076 Depth=1
	v_ffbh_u32_e32 v25, v12
	v_min_u32_e32 v28, 32, v25
	v_subrev_nc_u32_e32 v25, 28, v28
	v_sub_nc_u32_e32 v28, 29, v28
	v_lshlrev_b64 v[25:26], v25, v[12:13]
	v_and_b32_e32 v25, 7, v25
; %bb.2657:                             ;   in Loop: Header=BB372_2076 Depth=1
	s_or_b32 exec_lo, exec_lo, s21
	v_lshlrev_b32_sdwa v12, v115, v24 dst_sel:DWORD dst_unused:UNUSED_PAD src0_sel:DWORD src1_sel:WORD_1
	v_lshlrev_b32_e32 v25, 20, v25
	v_lshl_add_u32 v26, v28, 23, 0x3c000000
	v_and_b32_e32 v12, 0x80000000, v12
	v_or3_b32 v28, v25, v12, v26
.LBB372_2658:                           ;   in Loop: Header=BB372_2076 Depth=1
	s_or_b32 exec_lo, exec_lo, s20
.LBB372_2659:                           ;   in Loop: Header=BB372_2076 Depth=1
	s_or_b32 exec_lo, exec_lo, s19
.LBB372_2660:                           ;   in Loop: Header=BB372_2076 Depth=1
	s_or_b32 exec_lo, exec_lo, s18
	s_mov_b32 s18, exec_lo
	v_cmpx_lt_u64_e64 s[6:7], v[23:24]
	s_cbranch_execz .LBB372_2668
; %bb.2661:                             ;   in Loop: Header=BB372_2076 Depth=1
	v_cmp_ne_u32_sdwa s4, v24, v103 src0_sel:BYTE_3 src1_sel:DWORD
	v_bfrev_b32_e32 v27, 1
	s_and_saveexec_b32 s19, s4
	s_cbranch_execz .LBB372_2667
; %bb.2662:                             ;   in Loop: Header=BB372_2076 Depth=1
	v_bfe_u32 v25, v24, 24, 7
	v_mov_b32_e32 v27, 0x7f800001
	s_mov_b32 s20, exec_lo
	v_cmpx_ne_u32_e32 0x7f, v25
	s_cbranch_execz .LBB372_2666
; %bb.2663:                             ;   in Loop: Header=BB372_2076 Depth=1
	v_and_b32_sdwa v12, v24, v114 dst_sel:DWORD dst_unused:UNUSED_PAD src0_sel:BYTE_3 src1_sel:DWORD
	v_lshrrev_b32_e32 v23, 3, v25
	v_cmp_gt_u32_e64 s4, 8, v25
	v_mov_b32_e32 v26, v13
	v_mov_b32_e32 v25, v12
	s_and_saveexec_b32 s21, s4
; %bb.2664:                             ;   in Loop: Header=BB372_2076 Depth=1
	v_ffbh_u32_e32 v23, v12
	v_min_u32_e32 v23, 32, v23
	v_subrev_nc_u32_e32 v25, 28, v23
	v_sub_nc_u32_e32 v23, 29, v23
	v_lshlrev_b64 v[25:26], v25, v[12:13]
	v_and_b32_e32 v25, 7, v25
; %bb.2665:                             ;   in Loop: Header=BB372_2076 Depth=1
	s_or_b32 exec_lo, exec_lo, s21
	v_lshlrev_b32_sdwa v12, v115, v24 dst_sel:DWORD dst_unused:UNUSED_PAD src0_sel:DWORD src1_sel:BYTE_3
	v_lshlrev_b32_e32 v24, 20, v25
	v_lshl_add_u32 v23, v23, 23, 0x3c000000
	v_and_b32_e32 v12, 0x80000000, v12
	v_or3_b32 v27, v24, v12, v23
.LBB372_2666:                           ;   in Loop: Header=BB372_2076 Depth=1
	s_or_b32 exec_lo, exec_lo, s20
.LBB372_2667:                           ;   in Loop: Header=BB372_2076 Depth=1
	s_or_b32 exec_lo, exec_lo, s19
.LBB372_2668:                           ;   in Loop: Header=BB372_2076 Depth=1
	s_or_b32 exec_lo, exec_lo, s18
	v_mul_f32_e32 v12, v97, v30
	v_mul_f32_e32 v1, v97, v1
	;; [unrolled: 1-line block ×3, first 2 shown]
	v_bfe_u32 v23, v12, 16, 1
	v_or_b32_e32 v24, 0x400000, v12
	v_cmp_u_f32_e64 s4, v12, v12
	v_add3_u32 v23, v23, v12, 0x7fff
	v_cndmask_b32_e64 v12, v23, v24, s4
	v_lshrrev_b32_e32 v12, 16, v12
	buffer_store_dword v12, off, s[0:3], s32 offset:456 ; 4-byte Folded Spill
	v_mul_f32_e32 v12, v97, v29
	v_bfe_u32 v23, v12, 16, 1
	v_or_b32_e32 v24, 0x400000, v12
	v_cmp_u_f32_e64 s4, v12, v12
	v_add3_u32 v23, v23, v12, 0x7fff
	v_cndmask_b32_e64 v12, v23, v24, s4
	v_lshrrev_b32_e32 v12, 16, v12
	buffer_store_dword v12, off, s[0:3], s32 offset:460 ; 4-byte Folded Spill
	v_mul_f32_e32 v12, v97, v18
	;; [unrolled: 8-line block ×3, first 2 shown]
	v_bfe_u32 v17, v12, 16, 1
	v_or_b32_e32 v18, 0x400000, v12
	v_cmp_u_f32_e64 s4, v12, v12
	v_add3_u32 v17, v17, v12, 0x7fff
	v_cndmask_b32_e64 v12, v17, v18, s4
	v_or_b32_e32 v17, 0x400000, v1
	v_cmp_u_f32_e64 s4, v1, v1
	v_lshrrev_b32_e32 v12, 16, v12
	buffer_store_dword v12, off, s[0:3], s32 offset:468 ; 4-byte Folded Spill
	v_bfe_u32 v12, v1, 16, 1
	v_add3_u32 v12, v12, v1, 0x7fff
	v_cndmask_b32_e64 v1, v12, v17, s4
	v_or_b32_e32 v12, 0x400000, v0
	v_cmp_u_f32_e64 s4, v0, v0
	v_lshrrev_b32_e32 v1, 16, v1
	buffer_store_dword v1, off, s[0:3], s32 offset:476 ; 4-byte Folded Spill
	v_bfe_u32 v1, v0, 16, 1
	v_add3_u32 v1, v1, v0, 0x7fff
	v_cndmask_b32_e64 v0, v1, v12, s4
	v_lshrrev_b32_e32 v0, 16, v0
	buffer_store_dword v0, off, s[0:3], s32 offset:480 ; 4-byte Folded Spill
	v_mul_f32_e32 v0, v97, v28
	v_bfe_u32 v1, v0, 16, 1
	v_or_b32_e32 v12, 0x400000, v0
	v_cmp_u_f32_e64 s4, v0, v0
	v_add3_u32 v1, v1, v0, 0x7fff
	v_cndmask_b32_e64 v0, v1, v12, s4
	v_lshrrev_b32_e32 v0, 16, v0
	buffer_store_dword v0, off, s[0:3], s32 offset:472 ; 4-byte Folded Spill
	v_mul_f32_e32 v0, v97, v27
	v_bfe_u32 v1, v0, 16, 1
	v_or_b32_e32 v12, 0x400000, v0
	v_cmp_u_f32_e64 s4, v0, v0
	v_add3_u32 v1, v1, v0, 0x7fff
	v_cndmask_b32_e64 v0, v1, v12, s4
	v_lshrrev_b32_e32 v0, 16, v0
	buffer_store_dword v0, off, s[0:3], s32 offset:484 ; 4-byte Folded Spill
	s_and_saveexec_b32 s18, vcc_lo
	s_cbranch_execz .LBB372_2670
; %bb.2669:                             ;   in Loop: Header=BB372_2076 Depth=1
	s_clause 0x1
	buffer_load_dword v0, off, s[0:3], s32 offset:192
	buffer_load_dword v1, off, s[0:3], s32 offset:480
	s_waitcnt vmcnt(1)
	v_cmp_lt_i32_e64 s4, v124, v0
	s_waitcnt vmcnt(0)
	v_cndmask_b32_e64 v1, 0, v1, s4
	v_cmp_lt_i32_e64 s4, v11, v0
	buffer_store_dword v1, off, s[0:3], s32 offset:480 ; 4-byte Folded Spill
	buffer_load_dword v1, off, s[0:3], s32 offset:476 ; 4-byte Folded Reload
	s_waitcnt vmcnt(0)
	v_cndmask_b32_e64 v1, 0, v1, s4
	v_cmp_lt_i32_e64 s4, v10, v0
	buffer_store_dword v1, off, s[0:3], s32 offset:476 ; 4-byte Folded Spill
	buffer_load_dword v1, off, s[0:3], s32 offset:468 ; 4-byte Folded Reload
	;; [unrolled: 5-line block ×6, first 2 shown]
	s_waitcnt vmcnt(0)
	v_cndmask_b32_e64 v1, 0, v1, s4
	v_cmp_lt_i32_e64 s4, v65, v0
	buffer_load_dword v0, off, s[0:3], s32 offset:484 ; 4-byte Folded Reload
	buffer_store_dword v1, off, s[0:3], s32 offset:472 ; 4-byte Folded Spill
	s_waitcnt vmcnt(0)
	v_cndmask_b32_e64 v0, 0, v0, s4
	buffer_store_dword v0, off, s[0:3], s32 offset:484 ; 4-byte Folded Spill
.LBB372_2670:                           ;   in Loop: Header=BB372_2076 Depth=1
	s_or_b32 exec_lo, exec_lo, s18
	flat_load_dwordx2 v[23:24], v[21:22] offset:256
	v_mov_b32_e32 v1, 0
	v_mov_b32_e32 v0, 0
	s_waitcnt vmcnt(0) lgkmcnt(0)
	v_cmp_ne_u16_sdwa s4, v23, v13 src0_sel:BYTE_0 src1_sel:DWORD
	s_and_saveexec_b32 s18, s4
	s_cbranch_execz .LBB372_2678
; %bb.2671:                             ;   in Loop: Header=BB372_2076 Depth=1
	v_cmp_ne_u16_sdwa s4, v23, v103 src0_sel:BYTE_0 src1_sel:DWORD
	v_bfrev_b32_e32 v0, 1
	s_and_saveexec_b32 s19, s4
	s_cbranch_execz .LBB372_2677
; %bb.2672:                             ;   in Loop: Header=BB372_2076 Depth=1
	v_and_b32_e32 v12, 0x7f, v23
	v_mov_b32_e32 v0, 0x7f800001
	s_mov_b32 s20, exec_lo
	v_cmpx_ne_u32_e32 0x7f, v12
	s_cbranch_execz .LBB372_2676
; %bb.2673:                             ;   in Loop: Header=BB372_2076 Depth=1
	v_mov_b32_e32 v26, v24
	v_lshrrev_b32_e32 v0, 3, v12
	v_mov_b32_e32 v25, v23
	s_mov_b32 s21, exec_lo
	v_cmpx_gt_u32_e32 8, v12
; %bb.2674:                             ;   in Loop: Header=BB372_2076 Depth=1
	v_and_b32_e32 v0, 7, v23
	v_ffbh_u32_e32 v0, v0
	v_min_u32_e32 v0, 32, v0
	v_subrev_nc_u32_e32 v12, 28, v0
	v_sub_nc_u32_e32 v0, 29, v0
	v_lshlrev_b64 v[25:26], v12, v[23:24]
; %bb.2675:                             ;   in Loop: Header=BB372_2076 Depth=1
	s_or_b32 exec_lo, exec_lo, s21
	v_lshlrev_b32_e32 v12, 20, v25
	v_lshlrev_b32_e32 v17, 24, v23
	v_lshl_add_u32 v0, v0, 23, 0x3c000000
	v_and_b32_e32 v12, 0x700000, v12
	v_and_b32_e32 v17, 0x80000000, v17
	v_or3_b32 v0, v12, v17, v0
.LBB372_2676:                           ;   in Loop: Header=BB372_2076 Depth=1
	s_or_b32 exec_lo, exec_lo, s20
.LBB372_2677:                           ;   in Loop: Header=BB372_2076 Depth=1
	s_or_b32 exec_lo, exec_lo, s19
.LBB372_2678:                           ;   in Loop: Header=BB372_2076 Depth=1
	s_or_b32 exec_lo, exec_lo, s18
	v_cmp_ne_u16_sdwa s4, v23, v13 src0_sel:BYTE_1 src1_sel:DWORD
	s_and_saveexec_b32 s18, s4
	s_cbranch_execz .LBB372_2686
; %bb.2679:                             ;   in Loop: Header=BB372_2076 Depth=1
	v_cmp_ne_u16_sdwa s4, v23, v103 src0_sel:BYTE_1 src1_sel:DWORD
	v_bfrev_b32_e32 v1, 1
	s_and_saveexec_b32 s19, s4
	s_cbranch_execz .LBB372_2685
; %bb.2680:                             ;   in Loop: Header=BB372_2076 Depth=1
	v_mov_b32_e32 v1, 0xffff
	s_mov_b32 s20, exec_lo
	v_and_b32_sdwa v12, v1, v23 dst_sel:DWORD dst_unused:UNUSED_PAD src0_sel:DWORD src1_sel:BYTE_1
	v_mov_b32_e32 v1, 0x7f800001
	v_and_b32_e32 v17, 0x7f, v12
	v_cmpx_ne_u32_e32 0x7f, v17
	s_cbranch_execz .LBB372_2684
; %bb.2681:                             ;   in Loop: Header=BB372_2076 Depth=1
	v_and_b32_e32 v12, 7, v12
	v_mov_b32_e32 v26, v13
	v_lshrrev_b32_e32 v1, 3, v17
	s_mov_b32 s21, exec_lo
	v_mov_b32_e32 v25, v12
	v_cmpx_gt_u32_e32 8, v17
; %bb.2682:                             ;   in Loop: Header=BB372_2076 Depth=1
	v_ffbh_u32_e32 v1, v12
	v_min_u32_e32 v1, 32, v1
	v_subrev_nc_u32_e32 v17, 28, v1
	v_sub_nc_u32_e32 v1, 29, v1
	v_lshlrev_b64 v[17:18], v17, v[12:13]
	v_and_b32_e32 v25, 7, v17
; %bb.2683:                             ;   in Loop: Header=BB372_2076 Depth=1
	s_or_b32 exec_lo, exec_lo, s21
	v_lshlrev_b32_e32 v12, 16, v23
	v_lshlrev_b32_e32 v17, 20, v25
	v_lshl_add_u32 v1, v1, 23, 0x3c000000
	v_and_b32_e32 v12, 0x80000000, v12
	v_or3_b32 v1, v17, v12, v1
.LBB372_2684:                           ;   in Loop: Header=BB372_2076 Depth=1
	s_or_b32 exec_lo, exec_lo, s20
.LBB372_2685:                           ;   in Loop: Header=BB372_2076 Depth=1
	s_or_b32 exec_lo, exec_lo, s19
.LBB372_2686:                           ;   in Loop: Header=BB372_2076 Depth=1
	s_or_b32 exec_lo, exec_lo, s18
	v_and_b32_sdwa v12, v23, v113 dst_sel:DWORD dst_unused:UNUSED_PAD src0_sel:WORD_1 src1_sel:DWORD
	v_mov_b32_e32 v18, 0
	v_mov_b32_e32 v17, 0
	s_mov_b32 s18, exec_lo
	v_cmpx_ne_u16_e32 0, v12
	s_cbranch_execz .LBB372_2694
; %bb.2687:                             ;   in Loop: Header=BB372_2076 Depth=1
	v_bfrev_b32_e32 v17, 1
	s_mov_b32 s19, exec_lo
	v_cmpx_ne_u16_e32 0x80, v12
	s_cbranch_execz .LBB372_2693
; %bb.2688:                             ;   in Loop: Header=BB372_2076 Depth=1
	v_bfe_u32 v25, v23, 16, 7
	v_mov_b32_e32 v17, 0x7f800001
	s_mov_b32 s20, exec_lo
	v_cmpx_ne_u32_e32 0x7f, v25
	s_cbranch_execz .LBB372_2692
; %bb.2689:                             ;   in Loop: Header=BB372_2076 Depth=1
	v_and_b32_sdwa v12, v23, v114 dst_sel:DWORD dst_unused:UNUSED_PAD src0_sel:WORD_1 src1_sel:DWORD
	v_lshrrev_b32_e32 v17, 3, v25
	v_cmp_gt_u32_e64 s4, 8, v25
	v_mov_b32_e32 v26, v13
	v_mov_b32_e32 v25, v12
	s_and_saveexec_b32 s21, s4
; %bb.2690:                             ;   in Loop: Header=BB372_2076 Depth=1
	v_ffbh_u32_e32 v17, v12
	v_min_u32_e32 v17, 32, v17
	v_subrev_nc_u32_e32 v25, 28, v17
	v_sub_nc_u32_e32 v17, 29, v17
	v_lshlrev_b64 v[25:26], v25, v[12:13]
	v_and_b32_e32 v25, 7, v25
; %bb.2691:                             ;   in Loop: Header=BB372_2076 Depth=1
	s_or_b32 exec_lo, exec_lo, s21
	v_lshlrev_b32_sdwa v12, v115, v23 dst_sel:DWORD dst_unused:UNUSED_PAD src0_sel:DWORD src1_sel:WORD_1
	v_lshlrev_b32_e32 v25, 20, v25
	v_lshl_add_u32 v17, v17, 23, 0x3c000000
	v_and_b32_e32 v12, 0x80000000, v12
	v_or3_b32 v17, v25, v12, v17
.LBB372_2692:                           ;   in Loop: Header=BB372_2076 Depth=1
	s_or_b32 exec_lo, exec_lo, s20
.LBB372_2693:                           ;   in Loop: Header=BB372_2076 Depth=1
	s_or_b32 exec_lo, exec_lo, s19
.LBB372_2694:                           ;   in Loop: Header=BB372_2076 Depth=1
	s_or_b32 exec_lo, exec_lo, s18
	s_mov_b32 s18, exec_lo
	v_cmpx_lt_u32_e32 0xffffff, v23
	s_cbranch_execz .LBB372_2702
; %bb.2695:                             ;   in Loop: Header=BB372_2076 Depth=1
	v_cmp_ne_u32_sdwa s4, v23, v103 src0_sel:BYTE_3 src1_sel:DWORD
	v_bfrev_b32_e32 v18, 1
	s_and_saveexec_b32 s19, s4
	s_cbranch_execz .LBB372_2701
; %bb.2696:                             ;   in Loop: Header=BB372_2076 Depth=1
	v_bfe_u32 v25, v23, 24, 7
	v_mov_b32_e32 v18, 0x7f800001
	s_mov_b32 s20, exec_lo
	v_cmpx_ne_u32_e32 0x7f, v25
	s_cbranch_execz .LBB372_2700
; %bb.2697:                             ;   in Loop: Header=BB372_2076 Depth=1
	v_and_b32_sdwa v12, v23, v114 dst_sel:DWORD dst_unused:UNUSED_PAD src0_sel:BYTE_3 src1_sel:DWORD
	v_lshrrev_b32_e32 v18, 3, v25
	v_cmp_gt_u32_e64 s4, 8, v25
	v_mov_b32_e32 v26, v13
	v_mov_b32_e32 v25, v12
	s_and_saveexec_b32 s21, s4
; %bb.2698:                             ;   in Loop: Header=BB372_2076 Depth=1
	v_ffbh_u32_e32 v18, v12
	v_min_u32_e32 v18, 32, v18
	v_subrev_nc_u32_e32 v25, 28, v18
	v_sub_nc_u32_e32 v18, 29, v18
	v_lshlrev_b64 v[25:26], v25, v[12:13]
	v_and_b32_e32 v25, 7, v25
; %bb.2699:                             ;   in Loop: Header=BB372_2076 Depth=1
	s_or_b32 exec_lo, exec_lo, s21
	v_lshlrev_b32_sdwa v12, v115, v23 dst_sel:DWORD dst_unused:UNUSED_PAD src0_sel:DWORD src1_sel:BYTE_3
	v_lshlrev_b32_e32 v25, 20, v25
	v_lshl_add_u32 v18, v18, 23, 0x3c000000
	v_and_b32_e32 v12, 0x80000000, v12
	v_or3_b32 v18, v25, v12, v18
.LBB372_2700:                           ;   in Loop: Header=BB372_2076 Depth=1
	s_or_b32 exec_lo, exec_lo, s20
.LBB372_2701:                           ;   in Loop: Header=BB372_2076 Depth=1
	s_or_b32 exec_lo, exec_lo, s19
.LBB372_2702:                           ;   in Loop: Header=BB372_2076 Depth=1
	s_or_b32 exec_lo, exec_lo, s18
	v_mov_b32_e32 v12, v24
	v_cmp_ne_u16_sdwa s4, v24, v13 src0_sel:BYTE_0 src1_sel:DWORD
	v_mov_b32_e32 v30, 0
	v_mov_b32_e32 v29, 0
	s_and_saveexec_b32 s18, s4
	s_cbranch_execz .LBB372_2710
; %bb.2703:                             ;   in Loop: Header=BB372_2076 Depth=1
	v_cmp_ne_u16_sdwa s4, v24, v103 src0_sel:BYTE_0 src1_sel:DWORD
	v_bfrev_b32_e32 v29, 1
	s_and_saveexec_b32 s19, s4
	s_cbranch_execz .LBB372_2709
; %bb.2704:                             ;   in Loop: Header=BB372_2076 Depth=1
	v_and_b32_e32 v25, 0x7f, v24
	v_mov_b32_e32 v29, 0x7f800001
	s_mov_b32 s20, exec_lo
	v_cmpx_ne_u32_e32 0x7f, v25
	s_cbranch_execz .LBB372_2708
; %bb.2705:                             ;   in Loop: Header=BB372_2076 Depth=1
	v_lshrrev_b32_e32 v27, 3, v25
	v_cmp_gt_u32_e64 s4, 8, v25
	v_mov_b32_e32 v26, v13
	v_mov_b32_e32 v25, v12
	s_and_saveexec_b32 s21, s4
; %bb.2706:                             ;   in Loop: Header=BB372_2076 Depth=1
	v_and_b32_e32 v25, 7, v24
	v_ffbh_u32_e32 v25, v25
	v_min_u32_e32 v27, 32, v25
	v_subrev_nc_u32_e32 v25, 28, v27
	v_sub_nc_u32_e32 v27, 29, v27
	v_lshlrev_b64 v[25:26], v25, v[12:13]
; %bb.2707:                             ;   in Loop: Header=BB372_2076 Depth=1
	s_or_b32 exec_lo, exec_lo, s21
	v_lshlrev_b32_e32 v25, 20, v25
	v_lshlrev_b32_e32 v26, 24, v12
	v_lshl_add_u32 v27, v27, 23, 0x3c000000
	v_and_b32_e32 v25, 0x700000, v25
	v_and_b32_e32 v26, 0x80000000, v26
	v_or3_b32 v29, v25, v26, v27
.LBB372_2708:                           ;   in Loop: Header=BB372_2076 Depth=1
	s_or_b32 exec_lo, exec_lo, s20
.LBB372_2709:                           ;   in Loop: Header=BB372_2076 Depth=1
	s_or_b32 exec_lo, exec_lo, s19
.LBB372_2710:                           ;   in Loop: Header=BB372_2076 Depth=1
	s_or_b32 exec_lo, exec_lo, s18
	v_cmp_ne_u16_sdwa s4, v12, v13 src0_sel:BYTE_1 src1_sel:DWORD
	s_and_saveexec_b32 s18, s4
	s_cbranch_execz .LBB372_2718
; %bb.2711:                             ;   in Loop: Header=BB372_2076 Depth=1
	v_cmp_ne_u16_sdwa s4, v12, v103 src0_sel:BYTE_1 src1_sel:DWORD
	v_bfrev_b32_e32 v30, 1
	s_and_saveexec_b32 s19, s4
	s_cbranch_execz .LBB372_2717
; %bb.2712:                             ;   in Loop: Header=BB372_2076 Depth=1
	v_mov_b32_e32 v25, 0xffff
	v_mov_b32_e32 v30, 0x7f800001
	s_mov_b32 s20, exec_lo
	v_and_b32_sdwa v25, v25, v12 dst_sel:DWORD dst_unused:UNUSED_PAD src0_sel:DWORD src1_sel:BYTE_1
	v_and_b32_e32 v28, 0x7f, v25
	v_cmpx_ne_u32_e32 0x7f, v28
	s_cbranch_execz .LBB372_2716
; %bb.2713:                             ;   in Loop: Header=BB372_2076 Depth=1
	v_and_b32_e32 v25, 7, v25
	v_mov_b32_e32 v26, v13
	v_lshrrev_b32_e32 v27, 3, v28
	s_mov_b32 s21, exec_lo
	v_cmpx_gt_u32_e32 8, v28
; %bb.2714:                             ;   in Loop: Header=BB372_2076 Depth=1
	v_ffbh_u32_e32 v27, v25
	v_min_u32_e32 v27, 32, v27
	v_subrev_nc_u32_e32 v28, 28, v27
	v_sub_nc_u32_e32 v27, 29, v27
	v_lshlrev_b64 v[25:26], v28, v[25:26]
	v_and_b32_e32 v25, 7, v25
; %bb.2715:                             ;   in Loop: Header=BB372_2076 Depth=1
	s_or_b32 exec_lo, exec_lo, s21
	v_lshlrev_b32_e32 v12, 16, v12
	v_lshlrev_b32_e32 v25, 20, v25
	v_lshl_add_u32 v26, v27, 23, 0x3c000000
	v_and_b32_e32 v12, 0x80000000, v12
	v_or3_b32 v30, v25, v12, v26
.LBB372_2716:                           ;   in Loop: Header=BB372_2076 Depth=1
	s_or_b32 exec_lo, exec_lo, s20
.LBB372_2717:                           ;   in Loop: Header=BB372_2076 Depth=1
	s_or_b32 exec_lo, exec_lo, s19
.LBB372_2718:                           ;   in Loop: Header=BB372_2076 Depth=1
	s_or_b32 exec_lo, exec_lo, s18
	v_and_b32_sdwa v12, v24, v113 dst_sel:DWORD dst_unused:UNUSED_PAD src0_sel:WORD_1 src1_sel:DWORD
	v_mov_b32_e32 v27, 0
	v_mov_b32_e32 v28, 0
	s_mov_b32 s18, exec_lo
	v_cmpx_ne_u16_e32 0, v12
	s_cbranch_execz .LBB372_2726
; %bb.2719:                             ;   in Loop: Header=BB372_2076 Depth=1
	v_bfrev_b32_e32 v28, 1
	s_mov_b32 s19, exec_lo
	v_cmpx_ne_u16_e32 0x80, v12
	s_cbranch_execz .LBB372_2725
; %bb.2720:                             ;   in Loop: Header=BB372_2076 Depth=1
	v_bfe_u32 v25, v24, 16, 7
	v_mov_b32_e32 v28, 0x7f800001
	s_mov_b32 s20, exec_lo
	v_cmpx_ne_u32_e32 0x7f, v25
	s_cbranch_execz .LBB372_2724
; %bb.2721:                             ;   in Loop: Header=BB372_2076 Depth=1
	v_and_b32_sdwa v12, v24, v114 dst_sel:DWORD dst_unused:UNUSED_PAD src0_sel:WORD_1 src1_sel:DWORD
	v_lshrrev_b32_e32 v28, 3, v25
	v_cmp_gt_u32_e64 s4, 8, v25
	v_mov_b32_e32 v26, v13
	v_mov_b32_e32 v25, v12
	s_and_saveexec_b32 s21, s4
; %bb.2722:                             ;   in Loop: Header=BB372_2076 Depth=1
	v_ffbh_u32_e32 v25, v12
	v_min_u32_e32 v28, 32, v25
	v_subrev_nc_u32_e32 v25, 28, v28
	v_sub_nc_u32_e32 v28, 29, v28
	v_lshlrev_b64 v[25:26], v25, v[12:13]
	v_and_b32_e32 v25, 7, v25
; %bb.2723:                             ;   in Loop: Header=BB372_2076 Depth=1
	s_or_b32 exec_lo, exec_lo, s21
	v_lshlrev_b32_sdwa v12, v115, v24 dst_sel:DWORD dst_unused:UNUSED_PAD src0_sel:DWORD src1_sel:WORD_1
	v_lshlrev_b32_e32 v25, 20, v25
	v_lshl_add_u32 v26, v28, 23, 0x3c000000
	v_and_b32_e32 v12, 0x80000000, v12
	v_or3_b32 v28, v25, v12, v26
.LBB372_2724:                           ;   in Loop: Header=BB372_2076 Depth=1
	s_or_b32 exec_lo, exec_lo, s20
.LBB372_2725:                           ;   in Loop: Header=BB372_2076 Depth=1
	s_or_b32 exec_lo, exec_lo, s19
.LBB372_2726:                           ;   in Loop: Header=BB372_2076 Depth=1
	s_or_b32 exec_lo, exec_lo, s18
	s_mov_b32 s18, exec_lo
	v_cmpx_lt_u64_e64 s[6:7], v[23:24]
	s_cbranch_execz .LBB372_2734
; %bb.2727:                             ;   in Loop: Header=BB372_2076 Depth=1
	v_cmp_ne_u32_sdwa s4, v24, v103 src0_sel:BYTE_3 src1_sel:DWORD
	v_bfrev_b32_e32 v27, 1
	s_and_saveexec_b32 s19, s4
	s_cbranch_execz .LBB372_2733
; %bb.2728:                             ;   in Loop: Header=BB372_2076 Depth=1
	v_bfe_u32 v25, v24, 24, 7
	v_mov_b32_e32 v27, 0x7f800001
	s_mov_b32 s20, exec_lo
	v_cmpx_ne_u32_e32 0x7f, v25
	s_cbranch_execz .LBB372_2732
; %bb.2729:                             ;   in Loop: Header=BB372_2076 Depth=1
	v_and_b32_sdwa v12, v24, v114 dst_sel:DWORD dst_unused:UNUSED_PAD src0_sel:BYTE_3 src1_sel:DWORD
	v_lshrrev_b32_e32 v23, 3, v25
	v_cmp_gt_u32_e64 s4, 8, v25
	v_mov_b32_e32 v26, v13
	v_mov_b32_e32 v25, v12
	s_and_saveexec_b32 s21, s4
; %bb.2730:                             ;   in Loop: Header=BB372_2076 Depth=1
	v_ffbh_u32_e32 v23, v12
	v_min_u32_e32 v23, 32, v23
	v_subrev_nc_u32_e32 v25, 28, v23
	v_sub_nc_u32_e32 v23, 29, v23
	v_lshlrev_b64 v[25:26], v25, v[12:13]
	v_and_b32_e32 v25, 7, v25
; %bb.2731:                             ;   in Loop: Header=BB372_2076 Depth=1
	s_or_b32 exec_lo, exec_lo, s21
	v_lshlrev_b32_sdwa v12, v115, v24 dst_sel:DWORD dst_unused:UNUSED_PAD src0_sel:DWORD src1_sel:BYTE_3
	v_lshlrev_b32_e32 v24, 20, v25
	v_lshl_add_u32 v23, v23, 23, 0x3c000000
	v_and_b32_e32 v12, 0x80000000, v12
	v_or3_b32 v27, v24, v12, v23
.LBB372_2732:                           ;   in Loop: Header=BB372_2076 Depth=1
	s_or_b32 exec_lo, exec_lo, s20
.LBB372_2733:                           ;   in Loop: Header=BB372_2076 Depth=1
	s_or_b32 exec_lo, exec_lo, s19
.LBB372_2734:                           ;   in Loop: Header=BB372_2076 Depth=1
	s_or_b32 exec_lo, exec_lo, s18
	v_mul_f32_e32 v12, v97, v30
	v_mul_f32_e32 v1, v97, v1
	;; [unrolled: 1-line block ×3, first 2 shown]
	v_bfe_u32 v23, v12, 16, 1
	v_or_b32_e32 v24, 0x400000, v12
	v_cmp_u_f32_e64 s4, v12, v12
	v_add3_u32 v23, v23, v12, 0x7fff
	v_cndmask_b32_e64 v12, v23, v24, s4
	v_lshrrev_b32_e32 v12, 16, v12
	buffer_store_dword v12, off, s[0:3], s32 offset:488 ; 4-byte Folded Spill
	v_mul_f32_e32 v12, v97, v29
	v_bfe_u32 v23, v12, 16, 1
	v_or_b32_e32 v24, 0x400000, v12
	v_cmp_u_f32_e64 s4, v12, v12
	v_add3_u32 v23, v23, v12, 0x7fff
	v_cndmask_b32_e64 v12, v23, v24, s4
	v_lshrrev_b32_e32 v12, 16, v12
	buffer_store_dword v12, off, s[0:3], s32 offset:492 ; 4-byte Folded Spill
	v_mul_f32_e32 v12, v97, v18
	;; [unrolled: 8-line block ×3, first 2 shown]
	v_bfe_u32 v17, v12, 16, 1
	v_or_b32_e32 v18, 0x400000, v12
	v_cmp_u_f32_e64 s4, v12, v12
	v_add3_u32 v17, v17, v12, 0x7fff
	v_cndmask_b32_e64 v12, v17, v18, s4
	v_or_b32_e32 v17, 0x400000, v1
	v_cmp_u_f32_e64 s4, v1, v1
	v_lshrrev_b32_e32 v12, 16, v12
	buffer_store_dword v12, off, s[0:3], s32 offset:500 ; 4-byte Folded Spill
	v_bfe_u32 v12, v1, 16, 1
	v_add3_u32 v12, v12, v1, 0x7fff
	v_cndmask_b32_e64 v1, v12, v17, s4
	v_or_b32_e32 v12, 0x400000, v0
	v_cmp_u_f32_e64 s4, v0, v0
	v_lshrrev_b32_e32 v1, 16, v1
	buffer_store_dword v1, off, s[0:3], s32 offset:504 ; 4-byte Folded Spill
	v_bfe_u32 v1, v0, 16, 1
	v_add3_u32 v1, v1, v0, 0x7fff
	v_cndmask_b32_e64 v0, v1, v12, s4
	v_lshrrev_b32_e32 v0, 16, v0
	buffer_store_dword v0, off, s[0:3], s32 offset:512 ; 4-byte Folded Spill
	v_mul_f32_e32 v0, v97, v28
	v_bfe_u32 v1, v0, 16, 1
	v_or_b32_e32 v12, 0x400000, v0
	v_cmp_u_f32_e64 s4, v0, v0
	v_add3_u32 v1, v1, v0, 0x7fff
	v_cndmask_b32_e64 v0, v1, v12, s4
	v_lshrrev_b32_e32 v0, 16, v0
	buffer_store_dword v0, off, s[0:3], s32 offset:508 ; 4-byte Folded Spill
	v_mul_f32_e32 v0, v97, v27
	v_bfe_u32 v1, v0, 16, 1
	v_or_b32_e32 v12, 0x400000, v0
	v_cmp_u_f32_e64 s4, v0, v0
	v_add3_u32 v1, v1, v0, 0x7fff
	v_cndmask_b32_e64 v0, v1, v12, s4
	v_lshrrev_b32_e32 v0, 16, v0
	buffer_store_dword v0, off, s[0:3], s32 offset:516 ; 4-byte Folded Spill
	s_and_saveexec_b32 s18, vcc_lo
	s_cbranch_execz .LBB372_2736
; %bb.2735:                             ;   in Loop: Header=BB372_2076 Depth=1
	s_clause 0x1
	buffer_load_dword v0, off, s[0:3], s32 offset:192
	buffer_load_dword v1, off, s[0:3], s32 offset:512
	s_waitcnt vmcnt(1)
	v_cmp_lt_i32_e64 s4, v124, v0
	s_waitcnt vmcnt(0)
	v_cndmask_b32_e64 v1, 0, v1, s4
	v_cmp_lt_i32_e64 s4, v11, v0
	buffer_store_dword v1, off, s[0:3], s32 offset:512 ; 4-byte Folded Spill
	buffer_load_dword v1, off, s[0:3], s32 offset:504 ; 4-byte Folded Reload
	s_waitcnt vmcnt(0)
	v_cndmask_b32_e64 v1, 0, v1, s4
	v_cmp_lt_i32_e64 s4, v10, v0
	buffer_store_dword v1, off, s[0:3], s32 offset:504 ; 4-byte Folded Spill
	buffer_load_dword v1, off, s[0:3], s32 offset:500 ; 4-byte Folded Reload
	;; [unrolled: 5-line block ×6, first 2 shown]
	s_waitcnt vmcnt(0)
	v_cndmask_b32_e64 v1, 0, v1, s4
	v_cmp_lt_i32_e64 s4, v65, v0
	buffer_load_dword v0, off, s[0:3], s32 offset:516 ; 4-byte Folded Reload
	buffer_store_dword v1, off, s[0:3], s32 offset:508 ; 4-byte Folded Spill
	s_waitcnt vmcnt(0)
	v_cndmask_b32_e64 v0, 0, v0, s4
	buffer_store_dword v0, off, s[0:3], s32 offset:516 ; 4-byte Folded Spill
.LBB372_2736:                           ;   in Loop: Header=BB372_2076 Depth=1
	s_or_b32 exec_lo, exec_lo, s18
	flat_load_dwordx2 v[23:24], v[21:22] offset:512
	v_mov_b32_e32 v1, 0
	v_mov_b32_e32 v0, 0
	s_waitcnt vmcnt(0) lgkmcnt(0)
	v_cmp_ne_u16_sdwa s4, v23, v13 src0_sel:BYTE_0 src1_sel:DWORD
	s_and_saveexec_b32 s18, s4
	s_cbranch_execz .LBB372_2744
; %bb.2737:                             ;   in Loop: Header=BB372_2076 Depth=1
	v_cmp_ne_u16_sdwa s4, v23, v103 src0_sel:BYTE_0 src1_sel:DWORD
	v_bfrev_b32_e32 v0, 1
	s_and_saveexec_b32 s19, s4
	s_cbranch_execz .LBB372_2743
; %bb.2738:                             ;   in Loop: Header=BB372_2076 Depth=1
	v_and_b32_e32 v12, 0x7f, v23
	v_mov_b32_e32 v0, 0x7f800001
	s_mov_b32 s20, exec_lo
	v_cmpx_ne_u32_e32 0x7f, v12
	s_cbranch_execz .LBB372_2742
; %bb.2739:                             ;   in Loop: Header=BB372_2076 Depth=1
	v_mov_b32_e32 v26, v24
	v_lshrrev_b32_e32 v0, 3, v12
	v_mov_b32_e32 v25, v23
	s_mov_b32 s21, exec_lo
	v_cmpx_gt_u32_e32 8, v12
; %bb.2740:                             ;   in Loop: Header=BB372_2076 Depth=1
	v_and_b32_e32 v0, 7, v23
	v_ffbh_u32_e32 v0, v0
	v_min_u32_e32 v0, 32, v0
	v_subrev_nc_u32_e32 v12, 28, v0
	v_sub_nc_u32_e32 v0, 29, v0
	v_lshlrev_b64 v[25:26], v12, v[23:24]
; %bb.2741:                             ;   in Loop: Header=BB372_2076 Depth=1
	s_or_b32 exec_lo, exec_lo, s21
	v_lshlrev_b32_e32 v12, 20, v25
	v_lshlrev_b32_e32 v17, 24, v23
	v_lshl_add_u32 v0, v0, 23, 0x3c000000
	v_and_b32_e32 v12, 0x700000, v12
	v_and_b32_e32 v17, 0x80000000, v17
	v_or3_b32 v0, v12, v17, v0
.LBB372_2742:                           ;   in Loop: Header=BB372_2076 Depth=1
	s_or_b32 exec_lo, exec_lo, s20
.LBB372_2743:                           ;   in Loop: Header=BB372_2076 Depth=1
	s_or_b32 exec_lo, exec_lo, s19
.LBB372_2744:                           ;   in Loop: Header=BB372_2076 Depth=1
	s_or_b32 exec_lo, exec_lo, s18
	v_cmp_ne_u16_sdwa s4, v23, v13 src0_sel:BYTE_1 src1_sel:DWORD
	s_and_saveexec_b32 s18, s4
	s_cbranch_execz .LBB372_2752
; %bb.2745:                             ;   in Loop: Header=BB372_2076 Depth=1
	v_cmp_ne_u16_sdwa s4, v23, v103 src0_sel:BYTE_1 src1_sel:DWORD
	v_bfrev_b32_e32 v1, 1
	s_and_saveexec_b32 s19, s4
	s_cbranch_execz .LBB372_2751
; %bb.2746:                             ;   in Loop: Header=BB372_2076 Depth=1
	v_mov_b32_e32 v1, 0xffff
	s_mov_b32 s20, exec_lo
	v_and_b32_sdwa v12, v1, v23 dst_sel:DWORD dst_unused:UNUSED_PAD src0_sel:DWORD src1_sel:BYTE_1
	v_mov_b32_e32 v1, 0x7f800001
	v_and_b32_e32 v17, 0x7f, v12
	v_cmpx_ne_u32_e32 0x7f, v17
	s_cbranch_execz .LBB372_2750
; %bb.2747:                             ;   in Loop: Header=BB372_2076 Depth=1
	v_and_b32_e32 v12, 7, v12
	v_mov_b32_e32 v26, v13
	v_lshrrev_b32_e32 v1, 3, v17
	s_mov_b32 s21, exec_lo
	v_mov_b32_e32 v25, v12
	v_cmpx_gt_u32_e32 8, v17
; %bb.2748:                             ;   in Loop: Header=BB372_2076 Depth=1
	v_ffbh_u32_e32 v1, v12
	v_min_u32_e32 v1, 32, v1
	v_subrev_nc_u32_e32 v17, 28, v1
	v_sub_nc_u32_e32 v1, 29, v1
	v_lshlrev_b64 v[17:18], v17, v[12:13]
	v_and_b32_e32 v25, 7, v17
; %bb.2749:                             ;   in Loop: Header=BB372_2076 Depth=1
	s_or_b32 exec_lo, exec_lo, s21
	v_lshlrev_b32_e32 v12, 16, v23
	v_lshlrev_b32_e32 v17, 20, v25
	v_lshl_add_u32 v1, v1, 23, 0x3c000000
	v_and_b32_e32 v12, 0x80000000, v12
	v_or3_b32 v1, v17, v12, v1
.LBB372_2750:                           ;   in Loop: Header=BB372_2076 Depth=1
	s_or_b32 exec_lo, exec_lo, s20
.LBB372_2751:                           ;   in Loop: Header=BB372_2076 Depth=1
	s_or_b32 exec_lo, exec_lo, s19
.LBB372_2752:                           ;   in Loop: Header=BB372_2076 Depth=1
	s_or_b32 exec_lo, exec_lo, s18
	v_and_b32_sdwa v12, v23, v113 dst_sel:DWORD dst_unused:UNUSED_PAD src0_sel:WORD_1 src1_sel:DWORD
	v_mov_b32_e32 v18, 0
	v_mov_b32_e32 v17, 0
	s_mov_b32 s18, exec_lo
	v_cmpx_ne_u16_e32 0, v12
	s_cbranch_execz .LBB372_2760
; %bb.2753:                             ;   in Loop: Header=BB372_2076 Depth=1
	v_bfrev_b32_e32 v17, 1
	s_mov_b32 s19, exec_lo
	v_cmpx_ne_u16_e32 0x80, v12
	s_cbranch_execz .LBB372_2759
; %bb.2754:                             ;   in Loop: Header=BB372_2076 Depth=1
	v_bfe_u32 v25, v23, 16, 7
	v_mov_b32_e32 v17, 0x7f800001
	s_mov_b32 s20, exec_lo
	v_cmpx_ne_u32_e32 0x7f, v25
	s_cbranch_execz .LBB372_2758
; %bb.2755:                             ;   in Loop: Header=BB372_2076 Depth=1
	v_and_b32_sdwa v12, v23, v114 dst_sel:DWORD dst_unused:UNUSED_PAD src0_sel:WORD_1 src1_sel:DWORD
	v_lshrrev_b32_e32 v17, 3, v25
	v_cmp_gt_u32_e64 s4, 8, v25
	v_mov_b32_e32 v26, v13
	v_mov_b32_e32 v25, v12
	s_and_saveexec_b32 s21, s4
; %bb.2756:                             ;   in Loop: Header=BB372_2076 Depth=1
	v_ffbh_u32_e32 v17, v12
	v_min_u32_e32 v17, 32, v17
	v_subrev_nc_u32_e32 v25, 28, v17
	v_sub_nc_u32_e32 v17, 29, v17
	v_lshlrev_b64 v[25:26], v25, v[12:13]
	v_and_b32_e32 v25, 7, v25
; %bb.2757:                             ;   in Loop: Header=BB372_2076 Depth=1
	s_or_b32 exec_lo, exec_lo, s21
	v_lshlrev_b32_sdwa v12, v115, v23 dst_sel:DWORD dst_unused:UNUSED_PAD src0_sel:DWORD src1_sel:WORD_1
	v_lshlrev_b32_e32 v25, 20, v25
	v_lshl_add_u32 v17, v17, 23, 0x3c000000
	v_and_b32_e32 v12, 0x80000000, v12
	v_or3_b32 v17, v25, v12, v17
.LBB372_2758:                           ;   in Loop: Header=BB372_2076 Depth=1
	s_or_b32 exec_lo, exec_lo, s20
.LBB372_2759:                           ;   in Loop: Header=BB372_2076 Depth=1
	s_or_b32 exec_lo, exec_lo, s19
.LBB372_2760:                           ;   in Loop: Header=BB372_2076 Depth=1
	s_or_b32 exec_lo, exec_lo, s18
	s_mov_b32 s18, exec_lo
	v_cmpx_lt_u32_e32 0xffffff, v23
	s_cbranch_execz .LBB372_2768
; %bb.2761:                             ;   in Loop: Header=BB372_2076 Depth=1
	v_cmp_ne_u32_sdwa s4, v23, v103 src0_sel:BYTE_3 src1_sel:DWORD
	v_bfrev_b32_e32 v18, 1
	s_and_saveexec_b32 s19, s4
	s_cbranch_execz .LBB372_2767
; %bb.2762:                             ;   in Loop: Header=BB372_2076 Depth=1
	v_bfe_u32 v25, v23, 24, 7
	v_mov_b32_e32 v18, 0x7f800001
	s_mov_b32 s20, exec_lo
	v_cmpx_ne_u32_e32 0x7f, v25
	s_cbranch_execz .LBB372_2766
; %bb.2763:                             ;   in Loop: Header=BB372_2076 Depth=1
	v_and_b32_sdwa v12, v23, v114 dst_sel:DWORD dst_unused:UNUSED_PAD src0_sel:BYTE_3 src1_sel:DWORD
	v_lshrrev_b32_e32 v18, 3, v25
	v_cmp_gt_u32_e64 s4, 8, v25
	v_mov_b32_e32 v26, v13
	v_mov_b32_e32 v25, v12
	s_and_saveexec_b32 s21, s4
; %bb.2764:                             ;   in Loop: Header=BB372_2076 Depth=1
	v_ffbh_u32_e32 v18, v12
	v_min_u32_e32 v18, 32, v18
	v_subrev_nc_u32_e32 v25, 28, v18
	v_sub_nc_u32_e32 v18, 29, v18
	v_lshlrev_b64 v[25:26], v25, v[12:13]
	v_and_b32_e32 v25, 7, v25
; %bb.2765:                             ;   in Loop: Header=BB372_2076 Depth=1
	s_or_b32 exec_lo, exec_lo, s21
	v_lshlrev_b32_sdwa v12, v115, v23 dst_sel:DWORD dst_unused:UNUSED_PAD src0_sel:DWORD src1_sel:BYTE_3
	v_lshlrev_b32_e32 v25, 20, v25
	v_lshl_add_u32 v18, v18, 23, 0x3c000000
	v_and_b32_e32 v12, 0x80000000, v12
	v_or3_b32 v18, v25, v12, v18
.LBB372_2766:                           ;   in Loop: Header=BB372_2076 Depth=1
	s_or_b32 exec_lo, exec_lo, s20
.LBB372_2767:                           ;   in Loop: Header=BB372_2076 Depth=1
	s_or_b32 exec_lo, exec_lo, s19
.LBB372_2768:                           ;   in Loop: Header=BB372_2076 Depth=1
	s_or_b32 exec_lo, exec_lo, s18
	v_mov_b32_e32 v12, v24
	v_cmp_ne_u16_sdwa s4, v24, v13 src0_sel:BYTE_0 src1_sel:DWORD
	v_mov_b32_e32 v30, 0
	v_mov_b32_e32 v29, 0
	s_and_saveexec_b32 s18, s4
	s_cbranch_execz .LBB372_2776
; %bb.2769:                             ;   in Loop: Header=BB372_2076 Depth=1
	v_cmp_ne_u16_sdwa s4, v24, v103 src0_sel:BYTE_0 src1_sel:DWORD
	v_bfrev_b32_e32 v29, 1
	s_and_saveexec_b32 s19, s4
	s_cbranch_execz .LBB372_2775
; %bb.2770:                             ;   in Loop: Header=BB372_2076 Depth=1
	v_and_b32_e32 v25, 0x7f, v24
	v_mov_b32_e32 v29, 0x7f800001
	s_mov_b32 s20, exec_lo
	v_cmpx_ne_u32_e32 0x7f, v25
	s_cbranch_execz .LBB372_2774
; %bb.2771:                             ;   in Loop: Header=BB372_2076 Depth=1
	v_lshrrev_b32_e32 v27, 3, v25
	v_cmp_gt_u32_e64 s4, 8, v25
	v_mov_b32_e32 v26, v13
	v_mov_b32_e32 v25, v12
	s_and_saveexec_b32 s21, s4
; %bb.2772:                             ;   in Loop: Header=BB372_2076 Depth=1
	v_and_b32_e32 v25, 7, v24
	v_ffbh_u32_e32 v25, v25
	v_min_u32_e32 v27, 32, v25
	v_subrev_nc_u32_e32 v25, 28, v27
	v_sub_nc_u32_e32 v27, 29, v27
	v_lshlrev_b64 v[25:26], v25, v[12:13]
; %bb.2773:                             ;   in Loop: Header=BB372_2076 Depth=1
	s_or_b32 exec_lo, exec_lo, s21
	v_lshlrev_b32_e32 v25, 20, v25
	v_lshlrev_b32_e32 v26, 24, v12
	v_lshl_add_u32 v27, v27, 23, 0x3c000000
	v_and_b32_e32 v25, 0x700000, v25
	v_and_b32_e32 v26, 0x80000000, v26
	v_or3_b32 v29, v25, v26, v27
.LBB372_2774:                           ;   in Loop: Header=BB372_2076 Depth=1
	s_or_b32 exec_lo, exec_lo, s20
.LBB372_2775:                           ;   in Loop: Header=BB372_2076 Depth=1
	s_or_b32 exec_lo, exec_lo, s19
.LBB372_2776:                           ;   in Loop: Header=BB372_2076 Depth=1
	s_or_b32 exec_lo, exec_lo, s18
	v_cmp_ne_u16_sdwa s4, v12, v13 src0_sel:BYTE_1 src1_sel:DWORD
	s_and_saveexec_b32 s18, s4
	s_cbranch_execz .LBB372_2784
; %bb.2777:                             ;   in Loop: Header=BB372_2076 Depth=1
	v_cmp_ne_u16_sdwa s4, v12, v103 src0_sel:BYTE_1 src1_sel:DWORD
	v_bfrev_b32_e32 v30, 1
	s_and_saveexec_b32 s19, s4
	s_cbranch_execz .LBB372_2783
; %bb.2778:                             ;   in Loop: Header=BB372_2076 Depth=1
	v_mov_b32_e32 v25, 0xffff
	v_mov_b32_e32 v30, 0x7f800001
	s_mov_b32 s20, exec_lo
	v_and_b32_sdwa v25, v25, v12 dst_sel:DWORD dst_unused:UNUSED_PAD src0_sel:DWORD src1_sel:BYTE_1
	v_and_b32_e32 v28, 0x7f, v25
	v_cmpx_ne_u32_e32 0x7f, v28
	s_cbranch_execz .LBB372_2782
; %bb.2779:                             ;   in Loop: Header=BB372_2076 Depth=1
	v_and_b32_e32 v25, 7, v25
	v_mov_b32_e32 v26, v13
	v_lshrrev_b32_e32 v27, 3, v28
	s_mov_b32 s21, exec_lo
	v_cmpx_gt_u32_e32 8, v28
; %bb.2780:                             ;   in Loop: Header=BB372_2076 Depth=1
	v_ffbh_u32_e32 v27, v25
	v_min_u32_e32 v27, 32, v27
	v_subrev_nc_u32_e32 v28, 28, v27
	v_sub_nc_u32_e32 v27, 29, v27
	v_lshlrev_b64 v[25:26], v28, v[25:26]
	v_and_b32_e32 v25, 7, v25
; %bb.2781:                             ;   in Loop: Header=BB372_2076 Depth=1
	s_or_b32 exec_lo, exec_lo, s21
	v_lshlrev_b32_e32 v12, 16, v12
	v_lshlrev_b32_e32 v25, 20, v25
	v_lshl_add_u32 v26, v27, 23, 0x3c000000
	v_and_b32_e32 v12, 0x80000000, v12
	v_or3_b32 v30, v25, v12, v26
.LBB372_2782:                           ;   in Loop: Header=BB372_2076 Depth=1
	s_or_b32 exec_lo, exec_lo, s20
.LBB372_2783:                           ;   in Loop: Header=BB372_2076 Depth=1
	s_or_b32 exec_lo, exec_lo, s19
.LBB372_2784:                           ;   in Loop: Header=BB372_2076 Depth=1
	s_or_b32 exec_lo, exec_lo, s18
	v_and_b32_sdwa v12, v24, v113 dst_sel:DWORD dst_unused:UNUSED_PAD src0_sel:WORD_1 src1_sel:DWORD
	v_mov_b32_e32 v27, 0
	v_mov_b32_e32 v28, 0
	s_mov_b32 s18, exec_lo
	v_cmpx_ne_u16_e32 0, v12
	s_cbranch_execz .LBB372_2792
; %bb.2785:                             ;   in Loop: Header=BB372_2076 Depth=1
	v_bfrev_b32_e32 v28, 1
	s_mov_b32 s19, exec_lo
	v_cmpx_ne_u16_e32 0x80, v12
	s_cbranch_execz .LBB372_2791
; %bb.2786:                             ;   in Loop: Header=BB372_2076 Depth=1
	v_bfe_u32 v25, v24, 16, 7
	v_mov_b32_e32 v28, 0x7f800001
	s_mov_b32 s20, exec_lo
	v_cmpx_ne_u32_e32 0x7f, v25
	s_cbranch_execz .LBB372_2790
; %bb.2787:                             ;   in Loop: Header=BB372_2076 Depth=1
	v_and_b32_sdwa v12, v24, v114 dst_sel:DWORD dst_unused:UNUSED_PAD src0_sel:WORD_1 src1_sel:DWORD
	v_lshrrev_b32_e32 v28, 3, v25
	v_cmp_gt_u32_e64 s4, 8, v25
	v_mov_b32_e32 v26, v13
	v_mov_b32_e32 v25, v12
	s_and_saveexec_b32 s21, s4
; %bb.2788:                             ;   in Loop: Header=BB372_2076 Depth=1
	v_ffbh_u32_e32 v25, v12
	v_min_u32_e32 v28, 32, v25
	v_subrev_nc_u32_e32 v25, 28, v28
	v_sub_nc_u32_e32 v28, 29, v28
	v_lshlrev_b64 v[25:26], v25, v[12:13]
	v_and_b32_e32 v25, 7, v25
; %bb.2789:                             ;   in Loop: Header=BB372_2076 Depth=1
	s_or_b32 exec_lo, exec_lo, s21
	v_lshlrev_b32_sdwa v12, v115, v24 dst_sel:DWORD dst_unused:UNUSED_PAD src0_sel:DWORD src1_sel:WORD_1
	v_lshlrev_b32_e32 v25, 20, v25
	v_lshl_add_u32 v26, v28, 23, 0x3c000000
	v_and_b32_e32 v12, 0x80000000, v12
	v_or3_b32 v28, v25, v12, v26
.LBB372_2790:                           ;   in Loop: Header=BB372_2076 Depth=1
	s_or_b32 exec_lo, exec_lo, s20
.LBB372_2791:                           ;   in Loop: Header=BB372_2076 Depth=1
	s_or_b32 exec_lo, exec_lo, s19
.LBB372_2792:                           ;   in Loop: Header=BB372_2076 Depth=1
	s_or_b32 exec_lo, exec_lo, s18
	s_mov_b32 s18, exec_lo
	v_cmpx_lt_u64_e64 s[6:7], v[23:24]
	s_cbranch_execz .LBB372_2800
; %bb.2793:                             ;   in Loop: Header=BB372_2076 Depth=1
	v_cmp_ne_u32_sdwa s4, v24, v103 src0_sel:BYTE_3 src1_sel:DWORD
	v_bfrev_b32_e32 v27, 1
	s_and_saveexec_b32 s19, s4
	s_cbranch_execz .LBB372_2799
; %bb.2794:                             ;   in Loop: Header=BB372_2076 Depth=1
	v_bfe_u32 v25, v24, 24, 7
	v_mov_b32_e32 v27, 0x7f800001
	s_mov_b32 s20, exec_lo
	v_cmpx_ne_u32_e32 0x7f, v25
	s_cbranch_execz .LBB372_2798
; %bb.2795:                             ;   in Loop: Header=BB372_2076 Depth=1
	v_and_b32_sdwa v12, v24, v114 dst_sel:DWORD dst_unused:UNUSED_PAD src0_sel:BYTE_3 src1_sel:DWORD
	v_lshrrev_b32_e32 v23, 3, v25
	v_cmp_gt_u32_e64 s4, 8, v25
	v_mov_b32_e32 v26, v13
	v_mov_b32_e32 v25, v12
	s_and_saveexec_b32 s21, s4
; %bb.2796:                             ;   in Loop: Header=BB372_2076 Depth=1
	v_ffbh_u32_e32 v23, v12
	v_min_u32_e32 v23, 32, v23
	v_subrev_nc_u32_e32 v25, 28, v23
	v_sub_nc_u32_e32 v23, 29, v23
	v_lshlrev_b64 v[25:26], v25, v[12:13]
	v_and_b32_e32 v25, 7, v25
; %bb.2797:                             ;   in Loop: Header=BB372_2076 Depth=1
	s_or_b32 exec_lo, exec_lo, s21
	v_lshlrev_b32_sdwa v12, v115, v24 dst_sel:DWORD dst_unused:UNUSED_PAD src0_sel:DWORD src1_sel:BYTE_3
	v_lshlrev_b32_e32 v24, 20, v25
	v_lshl_add_u32 v23, v23, 23, 0x3c000000
	v_and_b32_e32 v12, 0x80000000, v12
	v_or3_b32 v27, v24, v12, v23
.LBB372_2798:                           ;   in Loop: Header=BB372_2076 Depth=1
	s_or_b32 exec_lo, exec_lo, s20
.LBB372_2799:                           ;   in Loop: Header=BB372_2076 Depth=1
	s_or_b32 exec_lo, exec_lo, s19
.LBB372_2800:                           ;   in Loop: Header=BB372_2076 Depth=1
	s_or_b32 exec_lo, exec_lo, s18
	v_mul_f32_e32 v12, v97, v30
	v_mul_f32_e32 v1, v97, v1
	;; [unrolled: 1-line block ×3, first 2 shown]
	v_bfe_u32 v23, v12, 16, 1
	v_or_b32_e32 v24, 0x400000, v12
	v_cmp_u_f32_e64 s4, v12, v12
	v_add3_u32 v23, v23, v12, 0x7fff
	v_cndmask_b32_e64 v12, v23, v24, s4
	v_lshrrev_b32_e32 v12, 16, v12
	buffer_store_dword v12, off, s[0:3], s32 offset:520 ; 4-byte Folded Spill
	v_mul_f32_e32 v12, v97, v29
	v_bfe_u32 v23, v12, 16, 1
	v_or_b32_e32 v24, 0x400000, v12
	v_cmp_u_f32_e64 s4, v12, v12
	v_add3_u32 v23, v23, v12, 0x7fff
	v_cndmask_b32_e64 v12, v23, v24, s4
	v_lshrrev_b32_e32 v12, 16, v12
	buffer_store_dword v12, off, s[0:3], s32 offset:524 ; 4-byte Folded Spill
	v_mul_f32_e32 v12, v97, v18
	;; [unrolled: 8-line block ×3, first 2 shown]
	v_bfe_u32 v17, v12, 16, 1
	v_or_b32_e32 v18, 0x400000, v12
	v_cmp_u_f32_e64 s4, v12, v12
	v_add3_u32 v17, v17, v12, 0x7fff
	v_cndmask_b32_e64 v12, v17, v18, s4
	v_or_b32_e32 v17, 0x400000, v1
	v_cmp_u_f32_e64 s4, v1, v1
	v_lshrrev_b32_e32 v12, 16, v12
	buffer_store_dword v12, off, s[0:3], s32 offset:532 ; 4-byte Folded Spill
	v_bfe_u32 v12, v1, 16, 1
	v_add3_u32 v12, v12, v1, 0x7fff
	v_cndmask_b32_e64 v1, v12, v17, s4
	v_or_b32_e32 v12, 0x400000, v0
	v_cmp_u_f32_e64 s4, v0, v0
	v_lshrrev_b32_e32 v1, 16, v1
	buffer_store_dword v1, off, s[0:3], s32 offset:536 ; 4-byte Folded Spill
	v_bfe_u32 v1, v0, 16, 1
	v_add3_u32 v1, v1, v0, 0x7fff
	v_cndmask_b32_e64 v0, v1, v12, s4
	v_lshrrev_b32_e32 v0, 16, v0
	buffer_store_dword v0, off, s[0:3], s32 offset:544 ; 4-byte Folded Spill
	v_mul_f32_e32 v0, v97, v28
	v_bfe_u32 v1, v0, 16, 1
	v_or_b32_e32 v12, 0x400000, v0
	v_cmp_u_f32_e64 s4, v0, v0
	v_add3_u32 v1, v1, v0, 0x7fff
	v_cndmask_b32_e64 v0, v1, v12, s4
	v_lshrrev_b32_e32 v0, 16, v0
	buffer_store_dword v0, off, s[0:3], s32 offset:540 ; 4-byte Folded Spill
	v_mul_f32_e32 v0, v97, v27
	v_bfe_u32 v1, v0, 16, 1
	v_or_b32_e32 v12, 0x400000, v0
	v_cmp_u_f32_e64 s4, v0, v0
	v_add3_u32 v1, v1, v0, 0x7fff
	v_cndmask_b32_e64 v0, v1, v12, s4
	v_lshrrev_b32_e32 v0, 16, v0
	buffer_store_dword v0, off, s[0:3], s32 offset:548 ; 4-byte Folded Spill
	s_and_saveexec_b32 s18, vcc_lo
	s_cbranch_execz .LBB372_2802
; %bb.2801:                             ;   in Loop: Header=BB372_2076 Depth=1
	s_clause 0x1
	buffer_load_dword v0, off, s[0:3], s32 offset:192
	buffer_load_dword v1, off, s[0:3], s32 offset:544
	s_waitcnt vmcnt(1)
	v_cmp_lt_i32_e64 s4, v124, v0
	s_waitcnt vmcnt(0)
	v_cndmask_b32_e64 v1, 0, v1, s4
	v_cmp_lt_i32_e64 s4, v11, v0
	buffer_store_dword v1, off, s[0:3], s32 offset:544 ; 4-byte Folded Spill
	buffer_load_dword v1, off, s[0:3], s32 offset:536 ; 4-byte Folded Reload
	s_waitcnt vmcnt(0)
	v_cndmask_b32_e64 v1, 0, v1, s4
	v_cmp_lt_i32_e64 s4, v10, v0
	buffer_store_dword v1, off, s[0:3], s32 offset:536 ; 4-byte Folded Spill
	buffer_load_dword v1, off, s[0:3], s32 offset:532 ; 4-byte Folded Reload
	;; [unrolled: 5-line block ×6, first 2 shown]
	s_waitcnt vmcnt(0)
	v_cndmask_b32_e64 v1, 0, v1, s4
	v_cmp_lt_i32_e64 s4, v65, v0
	buffer_load_dword v0, off, s[0:3], s32 offset:548 ; 4-byte Folded Reload
	buffer_store_dword v1, off, s[0:3], s32 offset:540 ; 4-byte Folded Spill
	s_waitcnt vmcnt(0)
	v_cndmask_b32_e64 v0, 0, v0, s4
	buffer_store_dword v0, off, s[0:3], s32 offset:548 ; 4-byte Folded Spill
.LBB372_2802:                           ;   in Loop: Header=BB372_2076 Depth=1
	s_or_b32 exec_lo, exec_lo, s18
	flat_load_dwordx2 v[23:24], v[21:22] offset:768
	v_mov_b32_e32 v1, 0
	v_mov_b32_e32 v0, 0
	s_waitcnt vmcnt(0) lgkmcnt(0)
	v_cmp_ne_u16_sdwa s4, v23, v13 src0_sel:BYTE_0 src1_sel:DWORD
	s_and_saveexec_b32 s18, s4
	s_cbranch_execz .LBB372_2810
; %bb.2803:                             ;   in Loop: Header=BB372_2076 Depth=1
	v_cmp_ne_u16_sdwa s4, v23, v103 src0_sel:BYTE_0 src1_sel:DWORD
	v_bfrev_b32_e32 v0, 1
	s_and_saveexec_b32 s19, s4
	s_cbranch_execz .LBB372_2809
; %bb.2804:                             ;   in Loop: Header=BB372_2076 Depth=1
	v_and_b32_e32 v12, 0x7f, v23
	v_mov_b32_e32 v0, 0x7f800001
	s_mov_b32 s20, exec_lo
	v_cmpx_ne_u32_e32 0x7f, v12
	s_cbranch_execz .LBB372_2808
; %bb.2805:                             ;   in Loop: Header=BB372_2076 Depth=1
	v_mov_b32_e32 v26, v24
	v_lshrrev_b32_e32 v0, 3, v12
	v_mov_b32_e32 v25, v23
	s_mov_b32 s21, exec_lo
	v_cmpx_gt_u32_e32 8, v12
; %bb.2806:                             ;   in Loop: Header=BB372_2076 Depth=1
	v_and_b32_e32 v0, 7, v23
	v_ffbh_u32_e32 v0, v0
	v_min_u32_e32 v0, 32, v0
	v_subrev_nc_u32_e32 v12, 28, v0
	v_sub_nc_u32_e32 v0, 29, v0
	v_lshlrev_b64 v[25:26], v12, v[23:24]
; %bb.2807:                             ;   in Loop: Header=BB372_2076 Depth=1
	s_or_b32 exec_lo, exec_lo, s21
	v_lshlrev_b32_e32 v12, 20, v25
	v_lshlrev_b32_e32 v17, 24, v23
	v_lshl_add_u32 v0, v0, 23, 0x3c000000
	v_and_b32_e32 v12, 0x700000, v12
	v_and_b32_e32 v17, 0x80000000, v17
	v_or3_b32 v0, v12, v17, v0
.LBB372_2808:                           ;   in Loop: Header=BB372_2076 Depth=1
	s_or_b32 exec_lo, exec_lo, s20
.LBB372_2809:                           ;   in Loop: Header=BB372_2076 Depth=1
	s_or_b32 exec_lo, exec_lo, s19
.LBB372_2810:                           ;   in Loop: Header=BB372_2076 Depth=1
	s_or_b32 exec_lo, exec_lo, s18
	v_cmp_ne_u16_sdwa s4, v23, v13 src0_sel:BYTE_1 src1_sel:DWORD
	s_and_saveexec_b32 s18, s4
	s_cbranch_execz .LBB372_2818
; %bb.2811:                             ;   in Loop: Header=BB372_2076 Depth=1
	v_cmp_ne_u16_sdwa s4, v23, v103 src0_sel:BYTE_1 src1_sel:DWORD
	v_bfrev_b32_e32 v1, 1
	s_and_saveexec_b32 s19, s4
	s_cbranch_execz .LBB372_2817
; %bb.2812:                             ;   in Loop: Header=BB372_2076 Depth=1
	v_mov_b32_e32 v1, 0xffff
	s_mov_b32 s20, exec_lo
	v_and_b32_sdwa v12, v1, v23 dst_sel:DWORD dst_unused:UNUSED_PAD src0_sel:DWORD src1_sel:BYTE_1
	v_mov_b32_e32 v1, 0x7f800001
	v_and_b32_e32 v17, 0x7f, v12
	v_cmpx_ne_u32_e32 0x7f, v17
	s_cbranch_execz .LBB372_2816
; %bb.2813:                             ;   in Loop: Header=BB372_2076 Depth=1
	v_and_b32_e32 v12, 7, v12
	v_mov_b32_e32 v26, v13
	v_lshrrev_b32_e32 v1, 3, v17
	s_mov_b32 s21, exec_lo
	v_mov_b32_e32 v25, v12
	v_cmpx_gt_u32_e32 8, v17
; %bb.2814:                             ;   in Loop: Header=BB372_2076 Depth=1
	v_ffbh_u32_e32 v1, v12
	v_min_u32_e32 v1, 32, v1
	v_subrev_nc_u32_e32 v17, 28, v1
	v_sub_nc_u32_e32 v1, 29, v1
	v_lshlrev_b64 v[17:18], v17, v[12:13]
	v_and_b32_e32 v25, 7, v17
; %bb.2815:                             ;   in Loop: Header=BB372_2076 Depth=1
	s_or_b32 exec_lo, exec_lo, s21
	v_lshlrev_b32_e32 v12, 16, v23
	v_lshlrev_b32_e32 v17, 20, v25
	v_lshl_add_u32 v1, v1, 23, 0x3c000000
	v_and_b32_e32 v12, 0x80000000, v12
	v_or3_b32 v1, v17, v12, v1
.LBB372_2816:                           ;   in Loop: Header=BB372_2076 Depth=1
	s_or_b32 exec_lo, exec_lo, s20
.LBB372_2817:                           ;   in Loop: Header=BB372_2076 Depth=1
	s_or_b32 exec_lo, exec_lo, s19
.LBB372_2818:                           ;   in Loop: Header=BB372_2076 Depth=1
	s_or_b32 exec_lo, exec_lo, s18
	v_and_b32_sdwa v12, v23, v113 dst_sel:DWORD dst_unused:UNUSED_PAD src0_sel:WORD_1 src1_sel:DWORD
	v_mov_b32_e32 v18, 0
	v_mov_b32_e32 v17, 0
	s_mov_b32 s18, exec_lo
	v_cmpx_ne_u16_e32 0, v12
	s_cbranch_execz .LBB372_2826
; %bb.2819:                             ;   in Loop: Header=BB372_2076 Depth=1
	v_bfrev_b32_e32 v17, 1
	s_mov_b32 s19, exec_lo
	v_cmpx_ne_u16_e32 0x80, v12
	s_cbranch_execz .LBB372_2825
; %bb.2820:                             ;   in Loop: Header=BB372_2076 Depth=1
	v_bfe_u32 v25, v23, 16, 7
	v_mov_b32_e32 v17, 0x7f800001
	s_mov_b32 s20, exec_lo
	v_cmpx_ne_u32_e32 0x7f, v25
	s_cbranch_execz .LBB372_2824
; %bb.2821:                             ;   in Loop: Header=BB372_2076 Depth=1
	v_and_b32_sdwa v12, v23, v114 dst_sel:DWORD dst_unused:UNUSED_PAD src0_sel:WORD_1 src1_sel:DWORD
	v_lshrrev_b32_e32 v17, 3, v25
	v_cmp_gt_u32_e64 s4, 8, v25
	v_mov_b32_e32 v26, v13
	v_mov_b32_e32 v25, v12
	s_and_saveexec_b32 s21, s4
; %bb.2822:                             ;   in Loop: Header=BB372_2076 Depth=1
	v_ffbh_u32_e32 v17, v12
	v_min_u32_e32 v17, 32, v17
	v_subrev_nc_u32_e32 v25, 28, v17
	v_sub_nc_u32_e32 v17, 29, v17
	v_lshlrev_b64 v[25:26], v25, v[12:13]
	v_and_b32_e32 v25, 7, v25
; %bb.2823:                             ;   in Loop: Header=BB372_2076 Depth=1
	s_or_b32 exec_lo, exec_lo, s21
	v_lshlrev_b32_sdwa v12, v115, v23 dst_sel:DWORD dst_unused:UNUSED_PAD src0_sel:DWORD src1_sel:WORD_1
	v_lshlrev_b32_e32 v25, 20, v25
	v_lshl_add_u32 v17, v17, 23, 0x3c000000
	v_and_b32_e32 v12, 0x80000000, v12
	v_or3_b32 v17, v25, v12, v17
.LBB372_2824:                           ;   in Loop: Header=BB372_2076 Depth=1
	s_or_b32 exec_lo, exec_lo, s20
.LBB372_2825:                           ;   in Loop: Header=BB372_2076 Depth=1
	s_or_b32 exec_lo, exec_lo, s19
.LBB372_2826:                           ;   in Loop: Header=BB372_2076 Depth=1
	s_or_b32 exec_lo, exec_lo, s18
	s_mov_b32 s18, exec_lo
	v_cmpx_lt_u32_e32 0xffffff, v23
	s_cbranch_execz .LBB372_2834
; %bb.2827:                             ;   in Loop: Header=BB372_2076 Depth=1
	v_cmp_ne_u32_sdwa s4, v23, v103 src0_sel:BYTE_3 src1_sel:DWORD
	v_bfrev_b32_e32 v18, 1
	s_and_saveexec_b32 s19, s4
	s_cbranch_execz .LBB372_2833
; %bb.2828:                             ;   in Loop: Header=BB372_2076 Depth=1
	v_bfe_u32 v25, v23, 24, 7
	v_mov_b32_e32 v18, 0x7f800001
	s_mov_b32 s20, exec_lo
	v_cmpx_ne_u32_e32 0x7f, v25
	s_cbranch_execz .LBB372_2832
; %bb.2829:                             ;   in Loop: Header=BB372_2076 Depth=1
	v_and_b32_sdwa v12, v23, v114 dst_sel:DWORD dst_unused:UNUSED_PAD src0_sel:BYTE_3 src1_sel:DWORD
	v_lshrrev_b32_e32 v18, 3, v25
	v_cmp_gt_u32_e64 s4, 8, v25
	v_mov_b32_e32 v26, v13
	v_mov_b32_e32 v25, v12
	s_and_saveexec_b32 s21, s4
; %bb.2830:                             ;   in Loop: Header=BB372_2076 Depth=1
	v_ffbh_u32_e32 v18, v12
	v_min_u32_e32 v18, 32, v18
	v_subrev_nc_u32_e32 v25, 28, v18
	v_sub_nc_u32_e32 v18, 29, v18
	v_lshlrev_b64 v[25:26], v25, v[12:13]
	v_and_b32_e32 v25, 7, v25
; %bb.2831:                             ;   in Loop: Header=BB372_2076 Depth=1
	s_or_b32 exec_lo, exec_lo, s21
	v_lshlrev_b32_sdwa v12, v115, v23 dst_sel:DWORD dst_unused:UNUSED_PAD src0_sel:DWORD src1_sel:BYTE_3
	v_lshlrev_b32_e32 v25, 20, v25
	v_lshl_add_u32 v18, v18, 23, 0x3c000000
	v_and_b32_e32 v12, 0x80000000, v12
	v_or3_b32 v18, v25, v12, v18
.LBB372_2832:                           ;   in Loop: Header=BB372_2076 Depth=1
	s_or_b32 exec_lo, exec_lo, s20
.LBB372_2833:                           ;   in Loop: Header=BB372_2076 Depth=1
	s_or_b32 exec_lo, exec_lo, s19
.LBB372_2834:                           ;   in Loop: Header=BB372_2076 Depth=1
	s_or_b32 exec_lo, exec_lo, s18
	v_mov_b32_e32 v12, v24
	v_cmp_ne_u16_sdwa s4, v24, v13 src0_sel:BYTE_0 src1_sel:DWORD
	v_mov_b32_e32 v30, 0
	v_mov_b32_e32 v29, 0
	s_and_saveexec_b32 s18, s4
	s_cbranch_execz .LBB372_2842
; %bb.2835:                             ;   in Loop: Header=BB372_2076 Depth=1
	v_cmp_ne_u16_sdwa s4, v24, v103 src0_sel:BYTE_0 src1_sel:DWORD
	v_bfrev_b32_e32 v29, 1
	s_and_saveexec_b32 s19, s4
	s_cbranch_execz .LBB372_2841
; %bb.2836:                             ;   in Loop: Header=BB372_2076 Depth=1
	v_and_b32_e32 v25, 0x7f, v24
	v_mov_b32_e32 v29, 0x7f800001
	s_mov_b32 s20, exec_lo
	v_cmpx_ne_u32_e32 0x7f, v25
	s_cbranch_execz .LBB372_2840
; %bb.2837:                             ;   in Loop: Header=BB372_2076 Depth=1
	v_lshrrev_b32_e32 v27, 3, v25
	v_cmp_gt_u32_e64 s4, 8, v25
	v_mov_b32_e32 v26, v13
	v_mov_b32_e32 v25, v12
	s_and_saveexec_b32 s21, s4
; %bb.2838:                             ;   in Loop: Header=BB372_2076 Depth=1
	v_and_b32_e32 v25, 7, v24
	v_ffbh_u32_e32 v25, v25
	v_min_u32_e32 v27, 32, v25
	v_subrev_nc_u32_e32 v25, 28, v27
	v_sub_nc_u32_e32 v27, 29, v27
	v_lshlrev_b64 v[25:26], v25, v[12:13]
; %bb.2839:                             ;   in Loop: Header=BB372_2076 Depth=1
	s_or_b32 exec_lo, exec_lo, s21
	v_lshlrev_b32_e32 v25, 20, v25
	v_lshlrev_b32_e32 v26, 24, v12
	v_lshl_add_u32 v27, v27, 23, 0x3c000000
	v_and_b32_e32 v25, 0x700000, v25
	v_and_b32_e32 v26, 0x80000000, v26
	v_or3_b32 v29, v25, v26, v27
.LBB372_2840:                           ;   in Loop: Header=BB372_2076 Depth=1
	s_or_b32 exec_lo, exec_lo, s20
.LBB372_2841:                           ;   in Loop: Header=BB372_2076 Depth=1
	s_or_b32 exec_lo, exec_lo, s19
.LBB372_2842:                           ;   in Loop: Header=BB372_2076 Depth=1
	s_or_b32 exec_lo, exec_lo, s18
	v_cmp_ne_u16_sdwa s4, v12, v13 src0_sel:BYTE_1 src1_sel:DWORD
	s_and_saveexec_b32 s18, s4
	s_cbranch_execz .LBB372_2850
; %bb.2843:                             ;   in Loop: Header=BB372_2076 Depth=1
	v_cmp_ne_u16_sdwa s4, v12, v103 src0_sel:BYTE_1 src1_sel:DWORD
	v_bfrev_b32_e32 v30, 1
	s_and_saveexec_b32 s19, s4
	s_cbranch_execz .LBB372_2849
; %bb.2844:                             ;   in Loop: Header=BB372_2076 Depth=1
	v_mov_b32_e32 v25, 0xffff
	v_mov_b32_e32 v30, 0x7f800001
	s_mov_b32 s20, exec_lo
	v_and_b32_sdwa v25, v25, v12 dst_sel:DWORD dst_unused:UNUSED_PAD src0_sel:DWORD src1_sel:BYTE_1
	v_and_b32_e32 v28, 0x7f, v25
	v_cmpx_ne_u32_e32 0x7f, v28
	s_cbranch_execz .LBB372_2848
; %bb.2845:                             ;   in Loop: Header=BB372_2076 Depth=1
	v_and_b32_e32 v25, 7, v25
	v_mov_b32_e32 v26, v13
	v_lshrrev_b32_e32 v27, 3, v28
	s_mov_b32 s21, exec_lo
	v_cmpx_gt_u32_e32 8, v28
; %bb.2846:                             ;   in Loop: Header=BB372_2076 Depth=1
	v_ffbh_u32_e32 v27, v25
	v_min_u32_e32 v27, 32, v27
	v_subrev_nc_u32_e32 v28, 28, v27
	v_sub_nc_u32_e32 v27, 29, v27
	v_lshlrev_b64 v[25:26], v28, v[25:26]
	v_and_b32_e32 v25, 7, v25
; %bb.2847:                             ;   in Loop: Header=BB372_2076 Depth=1
	s_or_b32 exec_lo, exec_lo, s21
	v_lshlrev_b32_e32 v12, 16, v12
	v_lshlrev_b32_e32 v25, 20, v25
	v_lshl_add_u32 v26, v27, 23, 0x3c000000
	v_and_b32_e32 v12, 0x80000000, v12
	v_or3_b32 v30, v25, v12, v26
.LBB372_2848:                           ;   in Loop: Header=BB372_2076 Depth=1
	s_or_b32 exec_lo, exec_lo, s20
.LBB372_2849:                           ;   in Loop: Header=BB372_2076 Depth=1
	s_or_b32 exec_lo, exec_lo, s19
.LBB372_2850:                           ;   in Loop: Header=BB372_2076 Depth=1
	s_or_b32 exec_lo, exec_lo, s18
	v_and_b32_sdwa v12, v24, v113 dst_sel:DWORD dst_unused:UNUSED_PAD src0_sel:WORD_1 src1_sel:DWORD
	v_mov_b32_e32 v27, 0
	v_mov_b32_e32 v28, 0
	s_mov_b32 s18, exec_lo
	v_cmpx_ne_u16_e32 0, v12
	s_cbranch_execz .LBB372_2858
; %bb.2851:                             ;   in Loop: Header=BB372_2076 Depth=1
	v_bfrev_b32_e32 v28, 1
	s_mov_b32 s19, exec_lo
	v_cmpx_ne_u16_e32 0x80, v12
	s_cbranch_execz .LBB372_2857
; %bb.2852:                             ;   in Loop: Header=BB372_2076 Depth=1
	v_bfe_u32 v25, v24, 16, 7
	v_mov_b32_e32 v28, 0x7f800001
	s_mov_b32 s20, exec_lo
	v_cmpx_ne_u32_e32 0x7f, v25
	s_cbranch_execz .LBB372_2856
; %bb.2853:                             ;   in Loop: Header=BB372_2076 Depth=1
	v_and_b32_sdwa v12, v24, v114 dst_sel:DWORD dst_unused:UNUSED_PAD src0_sel:WORD_1 src1_sel:DWORD
	v_lshrrev_b32_e32 v28, 3, v25
	v_cmp_gt_u32_e64 s4, 8, v25
	v_mov_b32_e32 v26, v13
	v_mov_b32_e32 v25, v12
	s_and_saveexec_b32 s21, s4
; %bb.2854:                             ;   in Loop: Header=BB372_2076 Depth=1
	v_ffbh_u32_e32 v25, v12
	v_min_u32_e32 v28, 32, v25
	v_subrev_nc_u32_e32 v25, 28, v28
	v_sub_nc_u32_e32 v28, 29, v28
	v_lshlrev_b64 v[25:26], v25, v[12:13]
	v_and_b32_e32 v25, 7, v25
; %bb.2855:                             ;   in Loop: Header=BB372_2076 Depth=1
	s_or_b32 exec_lo, exec_lo, s21
	v_lshlrev_b32_sdwa v12, v115, v24 dst_sel:DWORD dst_unused:UNUSED_PAD src0_sel:DWORD src1_sel:WORD_1
	v_lshlrev_b32_e32 v25, 20, v25
	v_lshl_add_u32 v26, v28, 23, 0x3c000000
	v_and_b32_e32 v12, 0x80000000, v12
	v_or3_b32 v28, v25, v12, v26
.LBB372_2856:                           ;   in Loop: Header=BB372_2076 Depth=1
	s_or_b32 exec_lo, exec_lo, s20
.LBB372_2857:                           ;   in Loop: Header=BB372_2076 Depth=1
	s_or_b32 exec_lo, exec_lo, s19
.LBB372_2858:                           ;   in Loop: Header=BB372_2076 Depth=1
	s_or_b32 exec_lo, exec_lo, s18
	s_mov_b32 s18, exec_lo
	v_cmpx_lt_u64_e64 s[6:7], v[23:24]
	s_cbranch_execz .LBB372_2866
; %bb.2859:                             ;   in Loop: Header=BB372_2076 Depth=1
	v_cmp_ne_u32_sdwa s4, v24, v103 src0_sel:BYTE_3 src1_sel:DWORD
	v_bfrev_b32_e32 v27, 1
	s_and_saveexec_b32 s19, s4
	s_cbranch_execz .LBB372_2865
; %bb.2860:                             ;   in Loop: Header=BB372_2076 Depth=1
	v_bfe_u32 v25, v24, 24, 7
	v_mov_b32_e32 v27, 0x7f800001
	s_mov_b32 s20, exec_lo
	v_cmpx_ne_u32_e32 0x7f, v25
	s_cbranch_execz .LBB372_2864
; %bb.2861:                             ;   in Loop: Header=BB372_2076 Depth=1
	v_and_b32_sdwa v12, v24, v114 dst_sel:DWORD dst_unused:UNUSED_PAD src0_sel:BYTE_3 src1_sel:DWORD
	v_lshrrev_b32_e32 v23, 3, v25
	v_cmp_gt_u32_e64 s4, 8, v25
	v_mov_b32_e32 v26, v13
	v_mov_b32_e32 v25, v12
	s_and_saveexec_b32 s21, s4
; %bb.2862:                             ;   in Loop: Header=BB372_2076 Depth=1
	v_ffbh_u32_e32 v23, v12
	v_min_u32_e32 v23, 32, v23
	v_subrev_nc_u32_e32 v25, 28, v23
	v_sub_nc_u32_e32 v23, 29, v23
	v_lshlrev_b64 v[25:26], v25, v[12:13]
	v_and_b32_e32 v25, 7, v25
; %bb.2863:                             ;   in Loop: Header=BB372_2076 Depth=1
	s_or_b32 exec_lo, exec_lo, s21
	v_lshlrev_b32_sdwa v12, v115, v24 dst_sel:DWORD dst_unused:UNUSED_PAD src0_sel:DWORD src1_sel:BYTE_3
	v_lshlrev_b32_e32 v24, 20, v25
	v_lshl_add_u32 v23, v23, 23, 0x3c000000
	v_and_b32_e32 v12, 0x80000000, v12
	v_or3_b32 v27, v24, v12, v23
.LBB372_2864:                           ;   in Loop: Header=BB372_2076 Depth=1
	s_or_b32 exec_lo, exec_lo, s20
.LBB372_2865:                           ;   in Loop: Header=BB372_2076 Depth=1
	s_or_b32 exec_lo, exec_lo, s19
.LBB372_2866:                           ;   in Loop: Header=BB372_2076 Depth=1
	s_or_b32 exec_lo, exec_lo, s18
	v_mul_f32_e32 v12, v97, v30
	v_mul_f32_e32 v1, v97, v1
	;; [unrolled: 1-line block ×3, first 2 shown]
	v_bfe_u32 v23, v12, 16, 1
	v_or_b32_e32 v24, 0x400000, v12
	v_cmp_u_f32_e64 s4, v12, v12
	v_add3_u32 v23, v23, v12, 0x7fff
	v_cndmask_b32_e64 v12, v23, v24, s4
	v_lshrrev_b32_e32 v12, 16, v12
	buffer_store_dword v12, off, s[0:3], s32 offset:552 ; 4-byte Folded Spill
	v_mul_f32_e32 v12, v97, v29
	v_bfe_u32 v23, v12, 16, 1
	v_or_b32_e32 v24, 0x400000, v12
	v_cmp_u_f32_e64 s4, v12, v12
	v_add3_u32 v23, v23, v12, 0x7fff
	v_cndmask_b32_e64 v12, v23, v24, s4
	v_lshrrev_b32_e32 v12, 16, v12
	buffer_store_dword v12, off, s[0:3], s32 offset:556 ; 4-byte Folded Spill
	v_mul_f32_e32 v12, v97, v18
	;; [unrolled: 8-line block ×3, first 2 shown]
	v_bfe_u32 v17, v12, 16, 1
	v_or_b32_e32 v18, 0x400000, v12
	v_cmp_u_f32_e64 s4, v12, v12
	v_add3_u32 v17, v17, v12, 0x7fff
	v_cndmask_b32_e64 v12, v17, v18, s4
	v_or_b32_e32 v17, 0x400000, v1
	v_cmp_u_f32_e64 s4, v1, v1
	v_lshrrev_b32_e32 v12, 16, v12
	buffer_store_dword v12, off, s[0:3], s32 offset:564 ; 4-byte Folded Spill
	v_bfe_u32 v12, v1, 16, 1
	v_add3_u32 v12, v12, v1, 0x7fff
	v_cndmask_b32_e64 v1, v12, v17, s4
	v_or_b32_e32 v12, 0x400000, v0
	v_cmp_u_f32_e64 s4, v0, v0
	v_lshrrev_b32_e32 v1, 16, v1
	buffer_store_dword v1, off, s[0:3], s32 offset:568 ; 4-byte Folded Spill
	v_bfe_u32 v1, v0, 16, 1
	v_add3_u32 v1, v1, v0, 0x7fff
	v_cndmask_b32_e64 v0, v1, v12, s4
	v_lshrrev_b32_e32 v0, 16, v0
	buffer_store_dword v0, off, s[0:3], s32 offset:576 ; 4-byte Folded Spill
	v_mul_f32_e32 v0, v97, v28
	v_bfe_u32 v1, v0, 16, 1
	v_or_b32_e32 v12, 0x400000, v0
	v_cmp_u_f32_e64 s4, v0, v0
	v_add3_u32 v1, v1, v0, 0x7fff
	v_cndmask_b32_e64 v0, v1, v12, s4
	v_lshrrev_b32_e32 v0, 16, v0
	buffer_store_dword v0, off, s[0:3], s32 offset:572 ; 4-byte Folded Spill
	v_mul_f32_e32 v0, v97, v27
	v_bfe_u32 v1, v0, 16, 1
	v_or_b32_e32 v12, 0x400000, v0
	v_cmp_u_f32_e64 s4, v0, v0
	v_add3_u32 v1, v1, v0, 0x7fff
	v_cndmask_b32_e64 v0, v1, v12, s4
	v_lshrrev_b32_e32 v0, 16, v0
	buffer_store_dword v0, off, s[0:3], s32 offset:580 ; 4-byte Folded Spill
	s_and_saveexec_b32 s18, vcc_lo
	s_cbranch_execz .LBB372_2868
; %bb.2867:                             ;   in Loop: Header=BB372_2076 Depth=1
	s_clause 0x1
	buffer_load_dword v0, off, s[0:3], s32 offset:192
	buffer_load_dword v1, off, s[0:3], s32 offset:576
	s_waitcnt vmcnt(1)
	v_cmp_lt_i32_e64 s4, v124, v0
	s_waitcnt vmcnt(0)
	v_cndmask_b32_e64 v1, 0, v1, s4
	v_cmp_lt_i32_e64 s4, v11, v0
	buffer_store_dword v1, off, s[0:3], s32 offset:576 ; 4-byte Folded Spill
	buffer_load_dword v1, off, s[0:3], s32 offset:568 ; 4-byte Folded Reload
	s_waitcnt vmcnt(0)
	v_cndmask_b32_e64 v1, 0, v1, s4
	v_cmp_lt_i32_e64 s4, v10, v0
	buffer_store_dword v1, off, s[0:3], s32 offset:568 ; 4-byte Folded Spill
	buffer_load_dword v1, off, s[0:3], s32 offset:564 ; 4-byte Folded Reload
	;; [unrolled: 5-line block ×6, first 2 shown]
	s_waitcnt vmcnt(0)
	v_cndmask_b32_e64 v1, 0, v1, s4
	v_cmp_lt_i32_e64 s4, v65, v0
	buffer_load_dword v0, off, s[0:3], s32 offset:580 ; 4-byte Folded Reload
	buffer_store_dword v1, off, s[0:3], s32 offset:572 ; 4-byte Folded Spill
	s_waitcnt vmcnt(0)
	v_cndmask_b32_e64 v0, 0, v0, s4
	buffer_store_dword v0, off, s[0:3], s32 offset:580 ; 4-byte Folded Spill
.LBB372_2868:                           ;   in Loop: Header=BB372_2076 Depth=1
	s_or_b32 exec_lo, exec_lo, s18
	flat_load_dwordx2 v[23:24], v[21:22] offset:1024
	v_mov_b32_e32 v1, 0
	v_mov_b32_e32 v0, 0
	s_waitcnt vmcnt(0) lgkmcnt(0)
	v_cmp_ne_u16_sdwa s4, v23, v13 src0_sel:BYTE_0 src1_sel:DWORD
	s_and_saveexec_b32 s18, s4
	s_cbranch_execz .LBB372_2876
; %bb.2869:                             ;   in Loop: Header=BB372_2076 Depth=1
	v_cmp_ne_u16_sdwa s4, v23, v103 src0_sel:BYTE_0 src1_sel:DWORD
	v_bfrev_b32_e32 v0, 1
	s_and_saveexec_b32 s19, s4
	s_cbranch_execz .LBB372_2875
; %bb.2870:                             ;   in Loop: Header=BB372_2076 Depth=1
	v_and_b32_e32 v12, 0x7f, v23
	v_mov_b32_e32 v0, 0x7f800001
	s_mov_b32 s20, exec_lo
	v_cmpx_ne_u32_e32 0x7f, v12
	s_cbranch_execz .LBB372_2874
; %bb.2871:                             ;   in Loop: Header=BB372_2076 Depth=1
	v_mov_b32_e32 v26, v24
	v_lshrrev_b32_e32 v0, 3, v12
	v_mov_b32_e32 v25, v23
	s_mov_b32 s21, exec_lo
	v_cmpx_gt_u32_e32 8, v12
; %bb.2872:                             ;   in Loop: Header=BB372_2076 Depth=1
	v_and_b32_e32 v0, 7, v23
	v_ffbh_u32_e32 v0, v0
	v_min_u32_e32 v0, 32, v0
	v_subrev_nc_u32_e32 v12, 28, v0
	v_sub_nc_u32_e32 v0, 29, v0
	v_lshlrev_b64 v[25:26], v12, v[23:24]
; %bb.2873:                             ;   in Loop: Header=BB372_2076 Depth=1
	s_or_b32 exec_lo, exec_lo, s21
	v_lshlrev_b32_e32 v12, 20, v25
	v_lshlrev_b32_e32 v17, 24, v23
	v_lshl_add_u32 v0, v0, 23, 0x3c000000
	v_and_b32_e32 v12, 0x700000, v12
	v_and_b32_e32 v17, 0x80000000, v17
	v_or3_b32 v0, v12, v17, v0
.LBB372_2874:                           ;   in Loop: Header=BB372_2076 Depth=1
	s_or_b32 exec_lo, exec_lo, s20
.LBB372_2875:                           ;   in Loop: Header=BB372_2076 Depth=1
	s_or_b32 exec_lo, exec_lo, s19
.LBB372_2876:                           ;   in Loop: Header=BB372_2076 Depth=1
	s_or_b32 exec_lo, exec_lo, s18
	v_cmp_ne_u16_sdwa s4, v23, v13 src0_sel:BYTE_1 src1_sel:DWORD
	s_and_saveexec_b32 s18, s4
	s_cbranch_execz .LBB372_2884
; %bb.2877:                             ;   in Loop: Header=BB372_2076 Depth=1
	v_cmp_ne_u16_sdwa s4, v23, v103 src0_sel:BYTE_1 src1_sel:DWORD
	v_bfrev_b32_e32 v1, 1
	s_and_saveexec_b32 s19, s4
	s_cbranch_execz .LBB372_2883
; %bb.2878:                             ;   in Loop: Header=BB372_2076 Depth=1
	v_mov_b32_e32 v1, 0xffff
	s_mov_b32 s20, exec_lo
	v_and_b32_sdwa v12, v1, v23 dst_sel:DWORD dst_unused:UNUSED_PAD src0_sel:DWORD src1_sel:BYTE_1
	v_mov_b32_e32 v1, 0x7f800001
	v_and_b32_e32 v17, 0x7f, v12
	v_cmpx_ne_u32_e32 0x7f, v17
	s_cbranch_execz .LBB372_2882
; %bb.2879:                             ;   in Loop: Header=BB372_2076 Depth=1
	v_and_b32_e32 v12, 7, v12
	v_mov_b32_e32 v26, v13
	v_lshrrev_b32_e32 v1, 3, v17
	s_mov_b32 s21, exec_lo
	v_mov_b32_e32 v25, v12
	v_cmpx_gt_u32_e32 8, v17
; %bb.2880:                             ;   in Loop: Header=BB372_2076 Depth=1
	v_ffbh_u32_e32 v1, v12
	v_min_u32_e32 v1, 32, v1
	v_subrev_nc_u32_e32 v17, 28, v1
	v_sub_nc_u32_e32 v1, 29, v1
	v_lshlrev_b64 v[17:18], v17, v[12:13]
	v_and_b32_e32 v25, 7, v17
; %bb.2881:                             ;   in Loop: Header=BB372_2076 Depth=1
	s_or_b32 exec_lo, exec_lo, s21
	v_lshlrev_b32_e32 v12, 16, v23
	v_lshlrev_b32_e32 v17, 20, v25
	v_lshl_add_u32 v1, v1, 23, 0x3c000000
	v_and_b32_e32 v12, 0x80000000, v12
	v_or3_b32 v1, v17, v12, v1
.LBB372_2882:                           ;   in Loop: Header=BB372_2076 Depth=1
	s_or_b32 exec_lo, exec_lo, s20
.LBB372_2883:                           ;   in Loop: Header=BB372_2076 Depth=1
	s_or_b32 exec_lo, exec_lo, s19
.LBB372_2884:                           ;   in Loop: Header=BB372_2076 Depth=1
	s_or_b32 exec_lo, exec_lo, s18
	v_and_b32_sdwa v12, v23, v113 dst_sel:DWORD dst_unused:UNUSED_PAD src0_sel:WORD_1 src1_sel:DWORD
	v_mov_b32_e32 v18, 0
	v_mov_b32_e32 v17, 0
	s_mov_b32 s18, exec_lo
	v_cmpx_ne_u16_e32 0, v12
	s_cbranch_execz .LBB372_2892
; %bb.2885:                             ;   in Loop: Header=BB372_2076 Depth=1
	v_bfrev_b32_e32 v17, 1
	s_mov_b32 s19, exec_lo
	v_cmpx_ne_u16_e32 0x80, v12
	s_cbranch_execz .LBB372_2891
; %bb.2886:                             ;   in Loop: Header=BB372_2076 Depth=1
	v_bfe_u32 v25, v23, 16, 7
	v_mov_b32_e32 v17, 0x7f800001
	s_mov_b32 s20, exec_lo
	v_cmpx_ne_u32_e32 0x7f, v25
	s_cbranch_execz .LBB372_2890
; %bb.2887:                             ;   in Loop: Header=BB372_2076 Depth=1
	v_and_b32_sdwa v12, v23, v114 dst_sel:DWORD dst_unused:UNUSED_PAD src0_sel:WORD_1 src1_sel:DWORD
	v_lshrrev_b32_e32 v17, 3, v25
	v_cmp_gt_u32_e64 s4, 8, v25
	v_mov_b32_e32 v26, v13
	v_mov_b32_e32 v25, v12
	s_and_saveexec_b32 s21, s4
; %bb.2888:                             ;   in Loop: Header=BB372_2076 Depth=1
	v_ffbh_u32_e32 v17, v12
	v_min_u32_e32 v17, 32, v17
	v_subrev_nc_u32_e32 v25, 28, v17
	v_sub_nc_u32_e32 v17, 29, v17
	v_lshlrev_b64 v[25:26], v25, v[12:13]
	v_and_b32_e32 v25, 7, v25
; %bb.2889:                             ;   in Loop: Header=BB372_2076 Depth=1
	s_or_b32 exec_lo, exec_lo, s21
	v_lshlrev_b32_sdwa v12, v115, v23 dst_sel:DWORD dst_unused:UNUSED_PAD src0_sel:DWORD src1_sel:WORD_1
	v_lshlrev_b32_e32 v25, 20, v25
	v_lshl_add_u32 v17, v17, 23, 0x3c000000
	v_and_b32_e32 v12, 0x80000000, v12
	v_or3_b32 v17, v25, v12, v17
.LBB372_2890:                           ;   in Loop: Header=BB372_2076 Depth=1
	s_or_b32 exec_lo, exec_lo, s20
.LBB372_2891:                           ;   in Loop: Header=BB372_2076 Depth=1
	s_or_b32 exec_lo, exec_lo, s19
.LBB372_2892:                           ;   in Loop: Header=BB372_2076 Depth=1
	s_or_b32 exec_lo, exec_lo, s18
	s_mov_b32 s18, exec_lo
	v_cmpx_lt_u32_e32 0xffffff, v23
	s_cbranch_execz .LBB372_2900
; %bb.2893:                             ;   in Loop: Header=BB372_2076 Depth=1
	v_cmp_ne_u32_sdwa s4, v23, v103 src0_sel:BYTE_3 src1_sel:DWORD
	v_bfrev_b32_e32 v18, 1
	s_and_saveexec_b32 s19, s4
	s_cbranch_execz .LBB372_2899
; %bb.2894:                             ;   in Loop: Header=BB372_2076 Depth=1
	v_bfe_u32 v25, v23, 24, 7
	v_mov_b32_e32 v18, 0x7f800001
	s_mov_b32 s20, exec_lo
	v_cmpx_ne_u32_e32 0x7f, v25
	s_cbranch_execz .LBB372_2898
; %bb.2895:                             ;   in Loop: Header=BB372_2076 Depth=1
	v_and_b32_sdwa v12, v23, v114 dst_sel:DWORD dst_unused:UNUSED_PAD src0_sel:BYTE_3 src1_sel:DWORD
	v_lshrrev_b32_e32 v18, 3, v25
	v_cmp_gt_u32_e64 s4, 8, v25
	v_mov_b32_e32 v26, v13
	v_mov_b32_e32 v25, v12
	s_and_saveexec_b32 s21, s4
; %bb.2896:                             ;   in Loop: Header=BB372_2076 Depth=1
	v_ffbh_u32_e32 v18, v12
	v_min_u32_e32 v18, 32, v18
	v_subrev_nc_u32_e32 v25, 28, v18
	v_sub_nc_u32_e32 v18, 29, v18
	v_lshlrev_b64 v[25:26], v25, v[12:13]
	v_and_b32_e32 v25, 7, v25
; %bb.2897:                             ;   in Loop: Header=BB372_2076 Depth=1
	s_or_b32 exec_lo, exec_lo, s21
	v_lshlrev_b32_sdwa v12, v115, v23 dst_sel:DWORD dst_unused:UNUSED_PAD src0_sel:DWORD src1_sel:BYTE_3
	v_lshlrev_b32_e32 v25, 20, v25
	v_lshl_add_u32 v18, v18, 23, 0x3c000000
	v_and_b32_e32 v12, 0x80000000, v12
	v_or3_b32 v18, v25, v12, v18
.LBB372_2898:                           ;   in Loop: Header=BB372_2076 Depth=1
	s_or_b32 exec_lo, exec_lo, s20
.LBB372_2899:                           ;   in Loop: Header=BB372_2076 Depth=1
	s_or_b32 exec_lo, exec_lo, s19
.LBB372_2900:                           ;   in Loop: Header=BB372_2076 Depth=1
	s_or_b32 exec_lo, exec_lo, s18
	v_mov_b32_e32 v12, v24
	v_cmp_ne_u16_sdwa s4, v24, v13 src0_sel:BYTE_0 src1_sel:DWORD
	v_mov_b32_e32 v30, 0
	v_mov_b32_e32 v29, 0
	s_and_saveexec_b32 s18, s4
	s_cbranch_execz .LBB372_2908
; %bb.2901:                             ;   in Loop: Header=BB372_2076 Depth=1
	v_cmp_ne_u16_sdwa s4, v24, v103 src0_sel:BYTE_0 src1_sel:DWORD
	v_bfrev_b32_e32 v29, 1
	s_and_saveexec_b32 s19, s4
	s_cbranch_execz .LBB372_2907
; %bb.2902:                             ;   in Loop: Header=BB372_2076 Depth=1
	v_and_b32_e32 v25, 0x7f, v24
	v_mov_b32_e32 v29, 0x7f800001
	s_mov_b32 s20, exec_lo
	v_cmpx_ne_u32_e32 0x7f, v25
	s_cbranch_execz .LBB372_2906
; %bb.2903:                             ;   in Loop: Header=BB372_2076 Depth=1
	v_lshrrev_b32_e32 v27, 3, v25
	v_cmp_gt_u32_e64 s4, 8, v25
	v_mov_b32_e32 v26, v13
	v_mov_b32_e32 v25, v12
	s_and_saveexec_b32 s21, s4
; %bb.2904:                             ;   in Loop: Header=BB372_2076 Depth=1
	v_and_b32_e32 v25, 7, v24
	v_ffbh_u32_e32 v25, v25
	v_min_u32_e32 v27, 32, v25
	v_subrev_nc_u32_e32 v25, 28, v27
	v_sub_nc_u32_e32 v27, 29, v27
	v_lshlrev_b64 v[25:26], v25, v[12:13]
; %bb.2905:                             ;   in Loop: Header=BB372_2076 Depth=1
	s_or_b32 exec_lo, exec_lo, s21
	v_lshlrev_b32_e32 v25, 20, v25
	v_lshlrev_b32_e32 v26, 24, v12
	v_lshl_add_u32 v27, v27, 23, 0x3c000000
	v_and_b32_e32 v25, 0x700000, v25
	v_and_b32_e32 v26, 0x80000000, v26
	v_or3_b32 v29, v25, v26, v27
.LBB372_2906:                           ;   in Loop: Header=BB372_2076 Depth=1
	s_or_b32 exec_lo, exec_lo, s20
.LBB372_2907:                           ;   in Loop: Header=BB372_2076 Depth=1
	s_or_b32 exec_lo, exec_lo, s19
.LBB372_2908:                           ;   in Loop: Header=BB372_2076 Depth=1
	s_or_b32 exec_lo, exec_lo, s18
	v_cmp_ne_u16_sdwa s4, v12, v13 src0_sel:BYTE_1 src1_sel:DWORD
	s_and_saveexec_b32 s18, s4
	s_cbranch_execz .LBB372_2916
; %bb.2909:                             ;   in Loop: Header=BB372_2076 Depth=1
	v_cmp_ne_u16_sdwa s4, v12, v103 src0_sel:BYTE_1 src1_sel:DWORD
	v_bfrev_b32_e32 v30, 1
	s_and_saveexec_b32 s19, s4
	s_cbranch_execz .LBB372_2915
; %bb.2910:                             ;   in Loop: Header=BB372_2076 Depth=1
	v_mov_b32_e32 v25, 0xffff
	v_mov_b32_e32 v30, 0x7f800001
	s_mov_b32 s20, exec_lo
	v_and_b32_sdwa v25, v25, v12 dst_sel:DWORD dst_unused:UNUSED_PAD src0_sel:DWORD src1_sel:BYTE_1
	v_and_b32_e32 v28, 0x7f, v25
	v_cmpx_ne_u32_e32 0x7f, v28
	s_cbranch_execz .LBB372_2914
; %bb.2911:                             ;   in Loop: Header=BB372_2076 Depth=1
	v_and_b32_e32 v25, 7, v25
	v_mov_b32_e32 v26, v13
	v_lshrrev_b32_e32 v27, 3, v28
	s_mov_b32 s21, exec_lo
	v_cmpx_gt_u32_e32 8, v28
; %bb.2912:                             ;   in Loop: Header=BB372_2076 Depth=1
	v_ffbh_u32_e32 v27, v25
	v_min_u32_e32 v27, 32, v27
	v_subrev_nc_u32_e32 v28, 28, v27
	v_sub_nc_u32_e32 v27, 29, v27
	v_lshlrev_b64 v[25:26], v28, v[25:26]
	v_and_b32_e32 v25, 7, v25
; %bb.2913:                             ;   in Loop: Header=BB372_2076 Depth=1
	s_or_b32 exec_lo, exec_lo, s21
	v_lshlrev_b32_e32 v12, 16, v12
	v_lshlrev_b32_e32 v25, 20, v25
	v_lshl_add_u32 v26, v27, 23, 0x3c000000
	v_and_b32_e32 v12, 0x80000000, v12
	v_or3_b32 v30, v25, v12, v26
.LBB372_2914:                           ;   in Loop: Header=BB372_2076 Depth=1
	s_or_b32 exec_lo, exec_lo, s20
.LBB372_2915:                           ;   in Loop: Header=BB372_2076 Depth=1
	s_or_b32 exec_lo, exec_lo, s19
.LBB372_2916:                           ;   in Loop: Header=BB372_2076 Depth=1
	s_or_b32 exec_lo, exec_lo, s18
	v_and_b32_sdwa v12, v24, v113 dst_sel:DWORD dst_unused:UNUSED_PAD src0_sel:WORD_1 src1_sel:DWORD
	v_mov_b32_e32 v27, 0
	v_mov_b32_e32 v28, 0
	s_mov_b32 s18, exec_lo
	v_cmpx_ne_u16_e32 0, v12
	s_cbranch_execz .LBB372_2924
; %bb.2917:                             ;   in Loop: Header=BB372_2076 Depth=1
	v_bfrev_b32_e32 v28, 1
	s_mov_b32 s19, exec_lo
	v_cmpx_ne_u16_e32 0x80, v12
	s_cbranch_execz .LBB372_2923
; %bb.2918:                             ;   in Loop: Header=BB372_2076 Depth=1
	v_bfe_u32 v25, v24, 16, 7
	v_mov_b32_e32 v28, 0x7f800001
	s_mov_b32 s20, exec_lo
	v_cmpx_ne_u32_e32 0x7f, v25
	s_cbranch_execz .LBB372_2922
; %bb.2919:                             ;   in Loop: Header=BB372_2076 Depth=1
	v_and_b32_sdwa v12, v24, v114 dst_sel:DWORD dst_unused:UNUSED_PAD src0_sel:WORD_1 src1_sel:DWORD
	v_lshrrev_b32_e32 v28, 3, v25
	v_cmp_gt_u32_e64 s4, 8, v25
	v_mov_b32_e32 v26, v13
	v_mov_b32_e32 v25, v12
	s_and_saveexec_b32 s21, s4
; %bb.2920:                             ;   in Loop: Header=BB372_2076 Depth=1
	v_ffbh_u32_e32 v25, v12
	v_min_u32_e32 v28, 32, v25
	v_subrev_nc_u32_e32 v25, 28, v28
	v_sub_nc_u32_e32 v28, 29, v28
	v_lshlrev_b64 v[25:26], v25, v[12:13]
	v_and_b32_e32 v25, 7, v25
; %bb.2921:                             ;   in Loop: Header=BB372_2076 Depth=1
	s_or_b32 exec_lo, exec_lo, s21
	v_lshlrev_b32_sdwa v12, v115, v24 dst_sel:DWORD dst_unused:UNUSED_PAD src0_sel:DWORD src1_sel:WORD_1
	v_lshlrev_b32_e32 v25, 20, v25
	v_lshl_add_u32 v26, v28, 23, 0x3c000000
	v_and_b32_e32 v12, 0x80000000, v12
	v_or3_b32 v28, v25, v12, v26
.LBB372_2922:                           ;   in Loop: Header=BB372_2076 Depth=1
	s_or_b32 exec_lo, exec_lo, s20
.LBB372_2923:                           ;   in Loop: Header=BB372_2076 Depth=1
	s_or_b32 exec_lo, exec_lo, s19
.LBB372_2924:                           ;   in Loop: Header=BB372_2076 Depth=1
	s_or_b32 exec_lo, exec_lo, s18
	s_mov_b32 s18, exec_lo
	v_cmpx_lt_u64_e64 s[6:7], v[23:24]
	s_cbranch_execz .LBB372_2932
; %bb.2925:                             ;   in Loop: Header=BB372_2076 Depth=1
	v_cmp_ne_u32_sdwa s4, v24, v103 src0_sel:BYTE_3 src1_sel:DWORD
	v_bfrev_b32_e32 v27, 1
	s_and_saveexec_b32 s19, s4
	s_cbranch_execz .LBB372_2931
; %bb.2926:                             ;   in Loop: Header=BB372_2076 Depth=1
	v_bfe_u32 v25, v24, 24, 7
	v_mov_b32_e32 v27, 0x7f800001
	s_mov_b32 s20, exec_lo
	v_cmpx_ne_u32_e32 0x7f, v25
	s_cbranch_execz .LBB372_2930
; %bb.2927:                             ;   in Loop: Header=BB372_2076 Depth=1
	v_and_b32_sdwa v12, v24, v114 dst_sel:DWORD dst_unused:UNUSED_PAD src0_sel:BYTE_3 src1_sel:DWORD
	v_lshrrev_b32_e32 v23, 3, v25
	v_cmp_gt_u32_e64 s4, 8, v25
	v_mov_b32_e32 v26, v13
	v_mov_b32_e32 v25, v12
	s_and_saveexec_b32 s21, s4
; %bb.2928:                             ;   in Loop: Header=BB372_2076 Depth=1
	v_ffbh_u32_e32 v23, v12
	v_min_u32_e32 v23, 32, v23
	v_subrev_nc_u32_e32 v25, 28, v23
	v_sub_nc_u32_e32 v23, 29, v23
	v_lshlrev_b64 v[25:26], v25, v[12:13]
	v_and_b32_e32 v25, 7, v25
; %bb.2929:                             ;   in Loop: Header=BB372_2076 Depth=1
	s_or_b32 exec_lo, exec_lo, s21
	v_lshlrev_b32_sdwa v12, v115, v24 dst_sel:DWORD dst_unused:UNUSED_PAD src0_sel:DWORD src1_sel:BYTE_3
	v_lshlrev_b32_e32 v24, 20, v25
	v_lshl_add_u32 v23, v23, 23, 0x3c000000
	v_and_b32_e32 v12, 0x80000000, v12
	v_or3_b32 v27, v24, v12, v23
.LBB372_2930:                           ;   in Loop: Header=BB372_2076 Depth=1
	s_or_b32 exec_lo, exec_lo, s20
.LBB372_2931:                           ;   in Loop: Header=BB372_2076 Depth=1
	s_or_b32 exec_lo, exec_lo, s19
.LBB372_2932:                           ;   in Loop: Header=BB372_2076 Depth=1
	s_or_b32 exec_lo, exec_lo, s18
	v_mul_f32_e32 v12, v97, v30
	v_mul_f32_e32 v1, v97, v1
	;; [unrolled: 1-line block ×3, first 2 shown]
	v_bfe_u32 v23, v12, 16, 1
	v_or_b32_e32 v24, 0x400000, v12
	v_cmp_u_f32_e64 s4, v12, v12
	v_add3_u32 v23, v23, v12, 0x7fff
	v_cndmask_b32_e64 v12, v23, v24, s4
	v_lshrrev_b32_e32 v12, 16, v12
	buffer_store_dword v12, off, s[0:3], s32 offset:584 ; 4-byte Folded Spill
	v_mul_f32_e32 v12, v97, v29
	v_bfe_u32 v23, v12, 16, 1
	v_or_b32_e32 v24, 0x400000, v12
	v_cmp_u_f32_e64 s4, v12, v12
	v_add3_u32 v23, v23, v12, 0x7fff
	v_cndmask_b32_e64 v12, v23, v24, s4
	v_lshrrev_b32_e32 v12, 16, v12
	buffer_store_dword v12, off, s[0:3], s32 offset:588 ; 4-byte Folded Spill
	v_mul_f32_e32 v12, v97, v18
	;; [unrolled: 8-line block ×3, first 2 shown]
	v_bfe_u32 v17, v12, 16, 1
	v_or_b32_e32 v18, 0x400000, v12
	v_cmp_u_f32_e64 s4, v12, v12
	v_add3_u32 v17, v17, v12, 0x7fff
	v_cndmask_b32_e64 v12, v17, v18, s4
	v_or_b32_e32 v17, 0x400000, v1
	v_cmp_u_f32_e64 s4, v1, v1
	v_lshrrev_b32_e32 v12, 16, v12
	buffer_store_dword v12, off, s[0:3], s32 offset:596 ; 4-byte Folded Spill
	v_bfe_u32 v12, v1, 16, 1
	v_add3_u32 v12, v12, v1, 0x7fff
	v_cndmask_b32_e64 v1, v12, v17, s4
	v_or_b32_e32 v12, 0x400000, v0
	v_cmp_u_f32_e64 s4, v0, v0
	v_lshrrev_b32_e32 v1, 16, v1
	buffer_store_dword v1, off, s[0:3], s32 offset:600 ; 4-byte Folded Spill
	v_bfe_u32 v1, v0, 16, 1
	v_add3_u32 v1, v1, v0, 0x7fff
	v_cndmask_b32_e64 v0, v1, v12, s4
	v_lshrrev_b32_e32 v0, 16, v0
	buffer_store_dword v0, off, s[0:3], s32 offset:608 ; 4-byte Folded Spill
	v_mul_f32_e32 v0, v97, v28
	v_bfe_u32 v1, v0, 16, 1
	v_or_b32_e32 v12, 0x400000, v0
	v_cmp_u_f32_e64 s4, v0, v0
	v_add3_u32 v1, v1, v0, 0x7fff
	v_cndmask_b32_e64 v0, v1, v12, s4
	v_lshrrev_b32_e32 v0, 16, v0
	buffer_store_dword v0, off, s[0:3], s32 offset:604 ; 4-byte Folded Spill
	v_mul_f32_e32 v0, v97, v27
	v_bfe_u32 v1, v0, 16, 1
	v_or_b32_e32 v12, 0x400000, v0
	v_cmp_u_f32_e64 s4, v0, v0
	v_add3_u32 v1, v1, v0, 0x7fff
	v_cndmask_b32_e64 v0, v1, v12, s4
	v_lshrrev_b32_e32 v0, 16, v0
	buffer_store_dword v0, off, s[0:3], s32 offset:612 ; 4-byte Folded Spill
	s_and_saveexec_b32 s18, vcc_lo
	s_cbranch_execz .LBB372_2934
; %bb.2933:                             ;   in Loop: Header=BB372_2076 Depth=1
	s_clause 0x1
	buffer_load_dword v0, off, s[0:3], s32 offset:192
	buffer_load_dword v1, off, s[0:3], s32 offset:608
	s_waitcnt vmcnt(1)
	v_cmp_lt_i32_e64 s4, v124, v0
	s_waitcnt vmcnt(0)
	v_cndmask_b32_e64 v1, 0, v1, s4
	v_cmp_lt_i32_e64 s4, v11, v0
	buffer_store_dword v1, off, s[0:3], s32 offset:608 ; 4-byte Folded Spill
	buffer_load_dword v1, off, s[0:3], s32 offset:600 ; 4-byte Folded Reload
	s_waitcnt vmcnt(0)
	v_cndmask_b32_e64 v1, 0, v1, s4
	v_cmp_lt_i32_e64 s4, v10, v0
	buffer_store_dword v1, off, s[0:3], s32 offset:600 ; 4-byte Folded Spill
	buffer_load_dword v1, off, s[0:3], s32 offset:596 ; 4-byte Folded Reload
	;; [unrolled: 5-line block ×6, first 2 shown]
	s_waitcnt vmcnt(0)
	v_cndmask_b32_e64 v1, 0, v1, s4
	v_cmp_lt_i32_e64 s4, v65, v0
	buffer_load_dword v0, off, s[0:3], s32 offset:612 ; 4-byte Folded Reload
	buffer_store_dword v1, off, s[0:3], s32 offset:604 ; 4-byte Folded Spill
	s_waitcnt vmcnt(0)
	v_cndmask_b32_e64 v0, 0, v0, s4
	buffer_store_dword v0, off, s[0:3], s32 offset:612 ; 4-byte Folded Spill
.LBB372_2934:                           ;   in Loop: Header=BB372_2076 Depth=1
	s_or_b32 exec_lo, exec_lo, s18
	flat_load_dwordx2 v[23:24], v[21:22] offset:1280
	v_mov_b32_e32 v1, 0
	v_mov_b32_e32 v0, 0
	s_waitcnt vmcnt(0) lgkmcnt(0)
	v_cmp_ne_u16_sdwa s4, v23, v13 src0_sel:BYTE_0 src1_sel:DWORD
	s_and_saveexec_b32 s18, s4
	s_cbranch_execz .LBB372_2942
; %bb.2935:                             ;   in Loop: Header=BB372_2076 Depth=1
	v_cmp_ne_u16_sdwa s4, v23, v103 src0_sel:BYTE_0 src1_sel:DWORD
	v_bfrev_b32_e32 v0, 1
	s_and_saveexec_b32 s19, s4
	s_cbranch_execz .LBB372_2941
; %bb.2936:                             ;   in Loop: Header=BB372_2076 Depth=1
	v_and_b32_e32 v12, 0x7f, v23
	v_mov_b32_e32 v0, 0x7f800001
	s_mov_b32 s20, exec_lo
	v_cmpx_ne_u32_e32 0x7f, v12
	s_cbranch_execz .LBB372_2940
; %bb.2937:                             ;   in Loop: Header=BB372_2076 Depth=1
	v_mov_b32_e32 v26, v24
	v_lshrrev_b32_e32 v0, 3, v12
	v_mov_b32_e32 v25, v23
	s_mov_b32 s21, exec_lo
	v_cmpx_gt_u32_e32 8, v12
; %bb.2938:                             ;   in Loop: Header=BB372_2076 Depth=1
	v_and_b32_e32 v0, 7, v23
	v_ffbh_u32_e32 v0, v0
	v_min_u32_e32 v0, 32, v0
	v_subrev_nc_u32_e32 v12, 28, v0
	v_sub_nc_u32_e32 v0, 29, v0
	v_lshlrev_b64 v[25:26], v12, v[23:24]
; %bb.2939:                             ;   in Loop: Header=BB372_2076 Depth=1
	s_or_b32 exec_lo, exec_lo, s21
	v_lshlrev_b32_e32 v12, 20, v25
	v_lshlrev_b32_e32 v17, 24, v23
	v_lshl_add_u32 v0, v0, 23, 0x3c000000
	v_and_b32_e32 v12, 0x700000, v12
	v_and_b32_e32 v17, 0x80000000, v17
	v_or3_b32 v0, v12, v17, v0
.LBB372_2940:                           ;   in Loop: Header=BB372_2076 Depth=1
	s_or_b32 exec_lo, exec_lo, s20
.LBB372_2941:                           ;   in Loop: Header=BB372_2076 Depth=1
	s_or_b32 exec_lo, exec_lo, s19
.LBB372_2942:                           ;   in Loop: Header=BB372_2076 Depth=1
	s_or_b32 exec_lo, exec_lo, s18
	v_cmp_ne_u16_sdwa s4, v23, v13 src0_sel:BYTE_1 src1_sel:DWORD
	s_and_saveexec_b32 s18, s4
	s_cbranch_execz .LBB372_2950
; %bb.2943:                             ;   in Loop: Header=BB372_2076 Depth=1
	v_cmp_ne_u16_sdwa s4, v23, v103 src0_sel:BYTE_1 src1_sel:DWORD
	v_bfrev_b32_e32 v1, 1
	s_and_saveexec_b32 s19, s4
	s_cbranch_execz .LBB372_2949
; %bb.2944:                             ;   in Loop: Header=BB372_2076 Depth=1
	v_mov_b32_e32 v1, 0xffff
	s_mov_b32 s20, exec_lo
	v_and_b32_sdwa v12, v1, v23 dst_sel:DWORD dst_unused:UNUSED_PAD src0_sel:DWORD src1_sel:BYTE_1
	v_mov_b32_e32 v1, 0x7f800001
	v_and_b32_e32 v17, 0x7f, v12
	v_cmpx_ne_u32_e32 0x7f, v17
	s_cbranch_execz .LBB372_2948
; %bb.2945:                             ;   in Loop: Header=BB372_2076 Depth=1
	v_and_b32_e32 v12, 7, v12
	v_mov_b32_e32 v26, v13
	v_lshrrev_b32_e32 v1, 3, v17
	s_mov_b32 s21, exec_lo
	v_mov_b32_e32 v25, v12
	v_cmpx_gt_u32_e32 8, v17
; %bb.2946:                             ;   in Loop: Header=BB372_2076 Depth=1
	v_ffbh_u32_e32 v1, v12
	v_min_u32_e32 v1, 32, v1
	v_subrev_nc_u32_e32 v17, 28, v1
	v_sub_nc_u32_e32 v1, 29, v1
	v_lshlrev_b64 v[17:18], v17, v[12:13]
	v_and_b32_e32 v25, 7, v17
; %bb.2947:                             ;   in Loop: Header=BB372_2076 Depth=1
	s_or_b32 exec_lo, exec_lo, s21
	v_lshlrev_b32_e32 v12, 16, v23
	v_lshlrev_b32_e32 v17, 20, v25
	v_lshl_add_u32 v1, v1, 23, 0x3c000000
	v_and_b32_e32 v12, 0x80000000, v12
	v_or3_b32 v1, v17, v12, v1
.LBB372_2948:                           ;   in Loop: Header=BB372_2076 Depth=1
	s_or_b32 exec_lo, exec_lo, s20
.LBB372_2949:                           ;   in Loop: Header=BB372_2076 Depth=1
	s_or_b32 exec_lo, exec_lo, s19
.LBB372_2950:                           ;   in Loop: Header=BB372_2076 Depth=1
	s_or_b32 exec_lo, exec_lo, s18
	v_and_b32_sdwa v12, v23, v113 dst_sel:DWORD dst_unused:UNUSED_PAD src0_sel:WORD_1 src1_sel:DWORD
	v_mov_b32_e32 v18, 0
	v_mov_b32_e32 v17, 0
	s_mov_b32 s18, exec_lo
	v_cmpx_ne_u16_e32 0, v12
	s_cbranch_execz .LBB372_2958
; %bb.2951:                             ;   in Loop: Header=BB372_2076 Depth=1
	v_bfrev_b32_e32 v17, 1
	s_mov_b32 s19, exec_lo
	v_cmpx_ne_u16_e32 0x80, v12
	s_cbranch_execz .LBB372_2957
; %bb.2952:                             ;   in Loop: Header=BB372_2076 Depth=1
	v_bfe_u32 v25, v23, 16, 7
	v_mov_b32_e32 v17, 0x7f800001
	s_mov_b32 s20, exec_lo
	v_cmpx_ne_u32_e32 0x7f, v25
	s_cbranch_execz .LBB372_2956
; %bb.2953:                             ;   in Loop: Header=BB372_2076 Depth=1
	v_and_b32_sdwa v12, v23, v114 dst_sel:DWORD dst_unused:UNUSED_PAD src0_sel:WORD_1 src1_sel:DWORD
	v_lshrrev_b32_e32 v17, 3, v25
	v_cmp_gt_u32_e64 s4, 8, v25
	v_mov_b32_e32 v26, v13
	v_mov_b32_e32 v25, v12
	s_and_saveexec_b32 s21, s4
; %bb.2954:                             ;   in Loop: Header=BB372_2076 Depth=1
	v_ffbh_u32_e32 v17, v12
	v_min_u32_e32 v17, 32, v17
	v_subrev_nc_u32_e32 v25, 28, v17
	v_sub_nc_u32_e32 v17, 29, v17
	v_lshlrev_b64 v[25:26], v25, v[12:13]
	v_and_b32_e32 v25, 7, v25
; %bb.2955:                             ;   in Loop: Header=BB372_2076 Depth=1
	s_or_b32 exec_lo, exec_lo, s21
	v_lshlrev_b32_sdwa v12, v115, v23 dst_sel:DWORD dst_unused:UNUSED_PAD src0_sel:DWORD src1_sel:WORD_1
	v_lshlrev_b32_e32 v25, 20, v25
	v_lshl_add_u32 v17, v17, 23, 0x3c000000
	v_and_b32_e32 v12, 0x80000000, v12
	v_or3_b32 v17, v25, v12, v17
.LBB372_2956:                           ;   in Loop: Header=BB372_2076 Depth=1
	s_or_b32 exec_lo, exec_lo, s20
.LBB372_2957:                           ;   in Loop: Header=BB372_2076 Depth=1
	s_or_b32 exec_lo, exec_lo, s19
.LBB372_2958:                           ;   in Loop: Header=BB372_2076 Depth=1
	s_or_b32 exec_lo, exec_lo, s18
	s_mov_b32 s18, exec_lo
	v_cmpx_lt_u32_e32 0xffffff, v23
	s_cbranch_execz .LBB372_2966
; %bb.2959:                             ;   in Loop: Header=BB372_2076 Depth=1
	v_cmp_ne_u32_sdwa s4, v23, v103 src0_sel:BYTE_3 src1_sel:DWORD
	v_bfrev_b32_e32 v18, 1
	s_and_saveexec_b32 s19, s4
	s_cbranch_execz .LBB372_2965
; %bb.2960:                             ;   in Loop: Header=BB372_2076 Depth=1
	v_bfe_u32 v25, v23, 24, 7
	v_mov_b32_e32 v18, 0x7f800001
	s_mov_b32 s20, exec_lo
	v_cmpx_ne_u32_e32 0x7f, v25
	s_cbranch_execz .LBB372_2964
; %bb.2961:                             ;   in Loop: Header=BB372_2076 Depth=1
	v_and_b32_sdwa v12, v23, v114 dst_sel:DWORD dst_unused:UNUSED_PAD src0_sel:BYTE_3 src1_sel:DWORD
	v_lshrrev_b32_e32 v18, 3, v25
	v_cmp_gt_u32_e64 s4, 8, v25
	v_mov_b32_e32 v26, v13
	v_mov_b32_e32 v25, v12
	s_and_saveexec_b32 s21, s4
; %bb.2962:                             ;   in Loop: Header=BB372_2076 Depth=1
	v_ffbh_u32_e32 v18, v12
	v_min_u32_e32 v18, 32, v18
	v_subrev_nc_u32_e32 v25, 28, v18
	v_sub_nc_u32_e32 v18, 29, v18
	v_lshlrev_b64 v[25:26], v25, v[12:13]
	v_and_b32_e32 v25, 7, v25
; %bb.2963:                             ;   in Loop: Header=BB372_2076 Depth=1
	s_or_b32 exec_lo, exec_lo, s21
	v_lshlrev_b32_sdwa v12, v115, v23 dst_sel:DWORD dst_unused:UNUSED_PAD src0_sel:DWORD src1_sel:BYTE_3
	v_lshlrev_b32_e32 v25, 20, v25
	v_lshl_add_u32 v18, v18, 23, 0x3c000000
	v_and_b32_e32 v12, 0x80000000, v12
	v_or3_b32 v18, v25, v12, v18
.LBB372_2964:                           ;   in Loop: Header=BB372_2076 Depth=1
	s_or_b32 exec_lo, exec_lo, s20
.LBB372_2965:                           ;   in Loop: Header=BB372_2076 Depth=1
	s_or_b32 exec_lo, exec_lo, s19
.LBB372_2966:                           ;   in Loop: Header=BB372_2076 Depth=1
	s_or_b32 exec_lo, exec_lo, s18
	v_mov_b32_e32 v12, v24
	v_cmp_ne_u16_sdwa s4, v24, v13 src0_sel:BYTE_0 src1_sel:DWORD
	v_mov_b32_e32 v30, 0
	v_mov_b32_e32 v29, 0
	s_and_saveexec_b32 s18, s4
	s_cbranch_execz .LBB372_2974
; %bb.2967:                             ;   in Loop: Header=BB372_2076 Depth=1
	v_cmp_ne_u16_sdwa s4, v24, v103 src0_sel:BYTE_0 src1_sel:DWORD
	v_bfrev_b32_e32 v29, 1
	s_and_saveexec_b32 s19, s4
	s_cbranch_execz .LBB372_2973
; %bb.2968:                             ;   in Loop: Header=BB372_2076 Depth=1
	v_and_b32_e32 v25, 0x7f, v24
	v_mov_b32_e32 v29, 0x7f800001
	s_mov_b32 s20, exec_lo
	v_cmpx_ne_u32_e32 0x7f, v25
	s_cbranch_execz .LBB372_2972
; %bb.2969:                             ;   in Loop: Header=BB372_2076 Depth=1
	v_lshrrev_b32_e32 v27, 3, v25
	v_cmp_gt_u32_e64 s4, 8, v25
	v_mov_b32_e32 v26, v13
	v_mov_b32_e32 v25, v12
	s_and_saveexec_b32 s21, s4
; %bb.2970:                             ;   in Loop: Header=BB372_2076 Depth=1
	v_and_b32_e32 v25, 7, v24
	v_ffbh_u32_e32 v25, v25
	v_min_u32_e32 v27, 32, v25
	v_subrev_nc_u32_e32 v25, 28, v27
	v_sub_nc_u32_e32 v27, 29, v27
	v_lshlrev_b64 v[25:26], v25, v[12:13]
; %bb.2971:                             ;   in Loop: Header=BB372_2076 Depth=1
	s_or_b32 exec_lo, exec_lo, s21
	v_lshlrev_b32_e32 v25, 20, v25
	v_lshlrev_b32_e32 v26, 24, v12
	v_lshl_add_u32 v27, v27, 23, 0x3c000000
	v_and_b32_e32 v25, 0x700000, v25
	v_and_b32_e32 v26, 0x80000000, v26
	v_or3_b32 v29, v25, v26, v27
.LBB372_2972:                           ;   in Loop: Header=BB372_2076 Depth=1
	s_or_b32 exec_lo, exec_lo, s20
.LBB372_2973:                           ;   in Loop: Header=BB372_2076 Depth=1
	s_or_b32 exec_lo, exec_lo, s19
.LBB372_2974:                           ;   in Loop: Header=BB372_2076 Depth=1
	s_or_b32 exec_lo, exec_lo, s18
	v_cmp_ne_u16_sdwa s4, v12, v13 src0_sel:BYTE_1 src1_sel:DWORD
	s_and_saveexec_b32 s18, s4
	s_cbranch_execz .LBB372_2982
; %bb.2975:                             ;   in Loop: Header=BB372_2076 Depth=1
	v_cmp_ne_u16_sdwa s4, v12, v103 src0_sel:BYTE_1 src1_sel:DWORD
	v_bfrev_b32_e32 v30, 1
	s_and_saveexec_b32 s19, s4
	s_cbranch_execz .LBB372_2981
; %bb.2976:                             ;   in Loop: Header=BB372_2076 Depth=1
	v_mov_b32_e32 v25, 0xffff
	v_mov_b32_e32 v30, 0x7f800001
	s_mov_b32 s20, exec_lo
	v_and_b32_sdwa v25, v25, v12 dst_sel:DWORD dst_unused:UNUSED_PAD src0_sel:DWORD src1_sel:BYTE_1
	v_and_b32_e32 v28, 0x7f, v25
	v_cmpx_ne_u32_e32 0x7f, v28
	s_cbranch_execz .LBB372_2980
; %bb.2977:                             ;   in Loop: Header=BB372_2076 Depth=1
	v_and_b32_e32 v25, 7, v25
	v_mov_b32_e32 v26, v13
	v_lshrrev_b32_e32 v27, 3, v28
	s_mov_b32 s21, exec_lo
	v_cmpx_gt_u32_e32 8, v28
; %bb.2978:                             ;   in Loop: Header=BB372_2076 Depth=1
	v_ffbh_u32_e32 v27, v25
	v_min_u32_e32 v27, 32, v27
	v_subrev_nc_u32_e32 v28, 28, v27
	v_sub_nc_u32_e32 v27, 29, v27
	v_lshlrev_b64 v[25:26], v28, v[25:26]
	v_and_b32_e32 v25, 7, v25
; %bb.2979:                             ;   in Loop: Header=BB372_2076 Depth=1
	s_or_b32 exec_lo, exec_lo, s21
	v_lshlrev_b32_e32 v12, 16, v12
	v_lshlrev_b32_e32 v25, 20, v25
	v_lshl_add_u32 v26, v27, 23, 0x3c000000
	v_and_b32_e32 v12, 0x80000000, v12
	v_or3_b32 v30, v25, v12, v26
.LBB372_2980:                           ;   in Loop: Header=BB372_2076 Depth=1
	s_or_b32 exec_lo, exec_lo, s20
.LBB372_2981:                           ;   in Loop: Header=BB372_2076 Depth=1
	s_or_b32 exec_lo, exec_lo, s19
.LBB372_2982:                           ;   in Loop: Header=BB372_2076 Depth=1
	s_or_b32 exec_lo, exec_lo, s18
	v_and_b32_sdwa v12, v24, v113 dst_sel:DWORD dst_unused:UNUSED_PAD src0_sel:WORD_1 src1_sel:DWORD
	v_mov_b32_e32 v27, 0
	v_mov_b32_e32 v28, 0
	s_mov_b32 s18, exec_lo
	v_cmpx_ne_u16_e32 0, v12
	s_cbranch_execz .LBB372_2990
; %bb.2983:                             ;   in Loop: Header=BB372_2076 Depth=1
	v_bfrev_b32_e32 v28, 1
	s_mov_b32 s19, exec_lo
	v_cmpx_ne_u16_e32 0x80, v12
	s_cbranch_execz .LBB372_2989
; %bb.2984:                             ;   in Loop: Header=BB372_2076 Depth=1
	v_bfe_u32 v25, v24, 16, 7
	v_mov_b32_e32 v28, 0x7f800001
	s_mov_b32 s20, exec_lo
	v_cmpx_ne_u32_e32 0x7f, v25
	s_cbranch_execz .LBB372_2988
; %bb.2985:                             ;   in Loop: Header=BB372_2076 Depth=1
	v_and_b32_sdwa v12, v24, v114 dst_sel:DWORD dst_unused:UNUSED_PAD src0_sel:WORD_1 src1_sel:DWORD
	v_lshrrev_b32_e32 v28, 3, v25
	v_cmp_gt_u32_e64 s4, 8, v25
	v_mov_b32_e32 v26, v13
	v_mov_b32_e32 v25, v12
	s_and_saveexec_b32 s21, s4
; %bb.2986:                             ;   in Loop: Header=BB372_2076 Depth=1
	v_ffbh_u32_e32 v25, v12
	v_min_u32_e32 v28, 32, v25
	v_subrev_nc_u32_e32 v25, 28, v28
	v_sub_nc_u32_e32 v28, 29, v28
	v_lshlrev_b64 v[25:26], v25, v[12:13]
	v_and_b32_e32 v25, 7, v25
; %bb.2987:                             ;   in Loop: Header=BB372_2076 Depth=1
	s_or_b32 exec_lo, exec_lo, s21
	v_lshlrev_b32_sdwa v12, v115, v24 dst_sel:DWORD dst_unused:UNUSED_PAD src0_sel:DWORD src1_sel:WORD_1
	v_lshlrev_b32_e32 v25, 20, v25
	v_lshl_add_u32 v26, v28, 23, 0x3c000000
	v_and_b32_e32 v12, 0x80000000, v12
	v_or3_b32 v28, v25, v12, v26
.LBB372_2988:                           ;   in Loop: Header=BB372_2076 Depth=1
	s_or_b32 exec_lo, exec_lo, s20
.LBB372_2989:                           ;   in Loop: Header=BB372_2076 Depth=1
	s_or_b32 exec_lo, exec_lo, s19
.LBB372_2990:                           ;   in Loop: Header=BB372_2076 Depth=1
	s_or_b32 exec_lo, exec_lo, s18
	s_mov_b32 s18, exec_lo
	v_cmpx_lt_u64_e64 s[6:7], v[23:24]
	s_cbranch_execz .LBB372_2998
; %bb.2991:                             ;   in Loop: Header=BB372_2076 Depth=1
	v_cmp_ne_u32_sdwa s4, v24, v103 src0_sel:BYTE_3 src1_sel:DWORD
	v_bfrev_b32_e32 v27, 1
	s_and_saveexec_b32 s19, s4
	s_cbranch_execz .LBB372_2997
; %bb.2992:                             ;   in Loop: Header=BB372_2076 Depth=1
	v_bfe_u32 v25, v24, 24, 7
	v_mov_b32_e32 v27, 0x7f800001
	s_mov_b32 s20, exec_lo
	v_cmpx_ne_u32_e32 0x7f, v25
	s_cbranch_execz .LBB372_2996
; %bb.2993:                             ;   in Loop: Header=BB372_2076 Depth=1
	v_and_b32_sdwa v12, v24, v114 dst_sel:DWORD dst_unused:UNUSED_PAD src0_sel:BYTE_3 src1_sel:DWORD
	v_lshrrev_b32_e32 v23, 3, v25
	v_cmp_gt_u32_e64 s4, 8, v25
	v_mov_b32_e32 v26, v13
	v_mov_b32_e32 v25, v12
	s_and_saveexec_b32 s21, s4
; %bb.2994:                             ;   in Loop: Header=BB372_2076 Depth=1
	v_ffbh_u32_e32 v23, v12
	v_min_u32_e32 v23, 32, v23
	v_subrev_nc_u32_e32 v25, 28, v23
	v_sub_nc_u32_e32 v23, 29, v23
	v_lshlrev_b64 v[25:26], v25, v[12:13]
	v_and_b32_e32 v25, 7, v25
; %bb.2995:                             ;   in Loop: Header=BB372_2076 Depth=1
	s_or_b32 exec_lo, exec_lo, s21
	v_lshlrev_b32_sdwa v12, v115, v24 dst_sel:DWORD dst_unused:UNUSED_PAD src0_sel:DWORD src1_sel:BYTE_3
	v_lshlrev_b32_e32 v24, 20, v25
	v_lshl_add_u32 v23, v23, 23, 0x3c000000
	v_and_b32_e32 v12, 0x80000000, v12
	v_or3_b32 v27, v24, v12, v23
.LBB372_2996:                           ;   in Loop: Header=BB372_2076 Depth=1
	s_or_b32 exec_lo, exec_lo, s20
.LBB372_2997:                           ;   in Loop: Header=BB372_2076 Depth=1
	s_or_b32 exec_lo, exec_lo, s19
.LBB372_2998:                           ;   in Loop: Header=BB372_2076 Depth=1
	s_or_b32 exec_lo, exec_lo, s18
	v_mul_f32_e32 v12, v97, v30
	v_mul_f32_e32 v1, v97, v1
	;; [unrolled: 1-line block ×3, first 2 shown]
	v_bfe_u32 v23, v12, 16, 1
	v_or_b32_e32 v24, 0x400000, v12
	v_cmp_u_f32_e64 s4, v12, v12
	v_add3_u32 v23, v23, v12, 0x7fff
	v_cndmask_b32_e64 v12, v23, v24, s4
	v_lshrrev_b32_e32 v12, 16, v12
	buffer_store_dword v12, off, s[0:3], s32 offset:616 ; 4-byte Folded Spill
	v_mul_f32_e32 v12, v97, v29
	v_bfe_u32 v23, v12, 16, 1
	v_or_b32_e32 v24, 0x400000, v12
	v_cmp_u_f32_e64 s4, v12, v12
	v_add3_u32 v23, v23, v12, 0x7fff
	v_cndmask_b32_e64 v12, v23, v24, s4
	v_lshrrev_b32_e32 v12, 16, v12
	buffer_store_dword v12, off, s[0:3], s32 offset:620 ; 4-byte Folded Spill
	v_mul_f32_e32 v12, v97, v18
	v_bfe_u32 v18, v12, 16, 1
	v_or_b32_e32 v23, 0x400000, v12
	v_cmp_u_f32_e64 s4, v12, v12
	v_add3_u32 v18, v18, v12, 0x7fff
	v_cndmask_b32_e64 v12, v18, v23, s4
	v_lshrrev_b32_e32 v12, 16, v12
	buffer_store_dword v12, off, s[0:3], s32 offset:624 ; 4-byte Folded Spill
	v_mul_f32_e32 v12, v97, v17
	v_bfe_u32 v17, v12, 16, 1
	v_or_b32_e32 v18, 0x400000, v12
	v_cmp_u_f32_e64 s4, v12, v12
	v_add3_u32 v17, v17, v12, 0x7fff
	v_cndmask_b32_e64 v12, v17, v18, s4
	v_or_b32_e32 v17, 0x400000, v1
	v_cmp_u_f32_e64 s4, v1, v1
	v_lshrrev_b32_e32 v12, 16, v12
	buffer_store_dword v12, off, s[0:3], s32 offset:628 ; 4-byte Folded Spill
	v_bfe_u32 v12, v1, 16, 1
	v_add3_u32 v12, v12, v1, 0x7fff
	v_cndmask_b32_e64 v1, v12, v17, s4
	v_or_b32_e32 v12, 0x400000, v0
	v_cmp_u_f32_e64 s4, v0, v0
	v_lshrrev_b32_e32 v1, 16, v1
	buffer_store_dword v1, off, s[0:3], s32 offset:632 ; 4-byte Folded Spill
	v_bfe_u32 v1, v0, 16, 1
	v_add3_u32 v1, v1, v0, 0x7fff
	v_cndmask_b32_e64 v0, v1, v12, s4
	v_lshrrev_b32_e32 v0, 16, v0
	buffer_store_dword v0, off, s[0:3], s32 offset:640 ; 4-byte Folded Spill
	v_mul_f32_e32 v0, v97, v28
	v_bfe_u32 v1, v0, 16, 1
	v_or_b32_e32 v12, 0x400000, v0
	v_cmp_u_f32_e64 s4, v0, v0
	v_add3_u32 v1, v1, v0, 0x7fff
	v_cndmask_b32_e64 v0, v1, v12, s4
	v_lshrrev_b32_e32 v0, 16, v0
	buffer_store_dword v0, off, s[0:3], s32 offset:636 ; 4-byte Folded Spill
	v_mul_f32_e32 v0, v97, v27
	v_bfe_u32 v1, v0, 16, 1
	v_or_b32_e32 v12, 0x400000, v0
	v_cmp_u_f32_e64 s4, v0, v0
	v_add3_u32 v1, v1, v0, 0x7fff
	v_cndmask_b32_e64 v0, v1, v12, s4
	v_lshrrev_b32_e32 v0, 16, v0
	buffer_store_dword v0, off, s[0:3], s32 offset:644 ; 4-byte Folded Spill
	s_and_saveexec_b32 s18, vcc_lo
	s_cbranch_execz .LBB372_3000
; %bb.2999:                             ;   in Loop: Header=BB372_2076 Depth=1
	s_clause 0x1
	buffer_load_dword v0, off, s[0:3], s32 offset:192
	buffer_load_dword v1, off, s[0:3], s32 offset:640
	s_waitcnt vmcnt(1)
	v_cmp_lt_i32_e64 s4, v124, v0
	s_waitcnt vmcnt(0)
	v_cndmask_b32_e64 v1, 0, v1, s4
	v_cmp_lt_i32_e64 s4, v11, v0
	buffer_store_dword v1, off, s[0:3], s32 offset:640 ; 4-byte Folded Spill
	buffer_load_dword v1, off, s[0:3], s32 offset:632 ; 4-byte Folded Reload
	s_waitcnt vmcnt(0)
	v_cndmask_b32_e64 v1, 0, v1, s4
	v_cmp_lt_i32_e64 s4, v10, v0
	buffer_store_dword v1, off, s[0:3], s32 offset:632 ; 4-byte Folded Spill
	buffer_load_dword v1, off, s[0:3], s32 offset:628 ; 4-byte Folded Reload
	s_waitcnt vmcnt(0)
	v_cndmask_b32_e64 v1, 0, v1, s4
	v_cmp_lt_i32_e64 s4, v102, v0
	buffer_store_dword v1, off, s[0:3], s32 offset:628 ; 4-byte Folded Spill
	buffer_load_dword v1, off, s[0:3], s32 offset:624 ; 4-byte Folded Reload
	s_waitcnt vmcnt(0)
	v_cndmask_b32_e64 v1, 0, v1, s4
	v_cmp_lt_i32_e64 s4, v101, v0
	buffer_store_dword v1, off, s[0:3], s32 offset:624 ; 4-byte Folded Spill
	buffer_load_dword v1, off, s[0:3], s32 offset:620 ; 4-byte Folded Reload
	s_waitcnt vmcnt(0)
	v_cndmask_b32_e64 v1, 0, v1, s4
	v_cmp_lt_i32_e64 s4, v100, v0
	buffer_store_dword v1, off, s[0:3], s32 offset:620 ; 4-byte Folded Spill
	buffer_load_dword v1, off, s[0:3], s32 offset:616 ; 4-byte Folded Reload
	s_waitcnt vmcnt(0)
	v_cndmask_b32_e64 v1, 0, v1, s4
	v_cmp_lt_i32_e64 s4, v99, v0
	buffer_store_dword v1, off, s[0:3], s32 offset:616 ; 4-byte Folded Spill
	buffer_load_dword v1, off, s[0:3], s32 offset:636 ; 4-byte Folded Reload
	s_waitcnt vmcnt(0)
	v_cndmask_b32_e64 v1, 0, v1, s4
	v_cmp_lt_i32_e64 s4, v65, v0
	buffer_load_dword v0, off, s[0:3], s32 offset:644 ; 4-byte Folded Reload
	buffer_store_dword v1, off, s[0:3], s32 offset:636 ; 4-byte Folded Spill
	s_waitcnt vmcnt(0)
	v_cndmask_b32_e64 v0, 0, v0, s4
	buffer_store_dword v0, off, s[0:3], s32 offset:644 ; 4-byte Folded Spill
.LBB372_3000:                           ;   in Loop: Header=BB372_2076 Depth=1
	s_or_b32 exec_lo, exec_lo, s18
	flat_load_dwordx2 v[23:24], v[21:22] offset:1536
	v_mov_b32_e32 v1, 0
	v_mov_b32_e32 v0, 0
	s_waitcnt vmcnt(0) lgkmcnt(0)
	v_cmp_ne_u16_sdwa s4, v23, v13 src0_sel:BYTE_0 src1_sel:DWORD
	s_and_saveexec_b32 s18, s4
	s_cbranch_execz .LBB372_3008
; %bb.3001:                             ;   in Loop: Header=BB372_2076 Depth=1
	v_cmp_ne_u16_sdwa s4, v23, v103 src0_sel:BYTE_0 src1_sel:DWORD
	v_bfrev_b32_e32 v0, 1
	s_and_saveexec_b32 s19, s4
	s_cbranch_execz .LBB372_3007
; %bb.3002:                             ;   in Loop: Header=BB372_2076 Depth=1
	v_and_b32_e32 v12, 0x7f, v23
	v_mov_b32_e32 v0, 0x7f800001
	s_mov_b32 s20, exec_lo
	v_cmpx_ne_u32_e32 0x7f, v12
	s_cbranch_execz .LBB372_3006
; %bb.3003:                             ;   in Loop: Header=BB372_2076 Depth=1
	v_mov_b32_e32 v26, v24
	v_lshrrev_b32_e32 v0, 3, v12
	v_mov_b32_e32 v25, v23
	s_mov_b32 s21, exec_lo
	v_cmpx_gt_u32_e32 8, v12
; %bb.3004:                             ;   in Loop: Header=BB372_2076 Depth=1
	v_and_b32_e32 v0, 7, v23
	v_ffbh_u32_e32 v0, v0
	v_min_u32_e32 v0, 32, v0
	v_subrev_nc_u32_e32 v12, 28, v0
	v_sub_nc_u32_e32 v0, 29, v0
	v_lshlrev_b64 v[25:26], v12, v[23:24]
; %bb.3005:                             ;   in Loop: Header=BB372_2076 Depth=1
	s_or_b32 exec_lo, exec_lo, s21
	v_lshlrev_b32_e32 v12, 20, v25
	v_lshlrev_b32_e32 v17, 24, v23
	v_lshl_add_u32 v0, v0, 23, 0x3c000000
	v_and_b32_e32 v12, 0x700000, v12
	v_and_b32_e32 v17, 0x80000000, v17
	v_or3_b32 v0, v12, v17, v0
.LBB372_3006:                           ;   in Loop: Header=BB372_2076 Depth=1
	s_or_b32 exec_lo, exec_lo, s20
.LBB372_3007:                           ;   in Loop: Header=BB372_2076 Depth=1
	s_or_b32 exec_lo, exec_lo, s19
.LBB372_3008:                           ;   in Loop: Header=BB372_2076 Depth=1
	s_or_b32 exec_lo, exec_lo, s18
	v_cmp_ne_u16_sdwa s4, v23, v13 src0_sel:BYTE_1 src1_sel:DWORD
	s_and_saveexec_b32 s18, s4
	s_cbranch_execz .LBB372_3016
; %bb.3009:                             ;   in Loop: Header=BB372_2076 Depth=1
	v_cmp_ne_u16_sdwa s4, v23, v103 src0_sel:BYTE_1 src1_sel:DWORD
	v_bfrev_b32_e32 v1, 1
	s_and_saveexec_b32 s19, s4
	s_cbranch_execz .LBB372_3015
; %bb.3010:                             ;   in Loop: Header=BB372_2076 Depth=1
	v_mov_b32_e32 v1, 0xffff
	s_mov_b32 s20, exec_lo
	v_and_b32_sdwa v12, v1, v23 dst_sel:DWORD dst_unused:UNUSED_PAD src0_sel:DWORD src1_sel:BYTE_1
	v_mov_b32_e32 v1, 0x7f800001
	v_and_b32_e32 v17, 0x7f, v12
	v_cmpx_ne_u32_e32 0x7f, v17
	s_cbranch_execz .LBB372_3014
; %bb.3011:                             ;   in Loop: Header=BB372_2076 Depth=1
	v_and_b32_e32 v12, 7, v12
	v_mov_b32_e32 v26, v13
	v_lshrrev_b32_e32 v1, 3, v17
	s_mov_b32 s21, exec_lo
	v_mov_b32_e32 v25, v12
	v_cmpx_gt_u32_e32 8, v17
; %bb.3012:                             ;   in Loop: Header=BB372_2076 Depth=1
	v_ffbh_u32_e32 v1, v12
	v_min_u32_e32 v1, 32, v1
	v_subrev_nc_u32_e32 v17, 28, v1
	v_sub_nc_u32_e32 v1, 29, v1
	v_lshlrev_b64 v[17:18], v17, v[12:13]
	v_and_b32_e32 v25, 7, v17
; %bb.3013:                             ;   in Loop: Header=BB372_2076 Depth=1
	s_or_b32 exec_lo, exec_lo, s21
	v_lshlrev_b32_e32 v12, 16, v23
	v_lshlrev_b32_e32 v17, 20, v25
	v_lshl_add_u32 v1, v1, 23, 0x3c000000
	v_and_b32_e32 v12, 0x80000000, v12
	v_or3_b32 v1, v17, v12, v1
.LBB372_3014:                           ;   in Loop: Header=BB372_2076 Depth=1
	s_or_b32 exec_lo, exec_lo, s20
.LBB372_3015:                           ;   in Loop: Header=BB372_2076 Depth=1
	s_or_b32 exec_lo, exec_lo, s19
.LBB372_3016:                           ;   in Loop: Header=BB372_2076 Depth=1
	s_or_b32 exec_lo, exec_lo, s18
	v_and_b32_sdwa v12, v23, v113 dst_sel:DWORD dst_unused:UNUSED_PAD src0_sel:WORD_1 src1_sel:DWORD
	v_mov_b32_e32 v18, 0
	v_mov_b32_e32 v17, 0
	s_mov_b32 s18, exec_lo
	v_cmpx_ne_u16_e32 0, v12
	s_cbranch_execz .LBB372_3024
; %bb.3017:                             ;   in Loop: Header=BB372_2076 Depth=1
	v_bfrev_b32_e32 v17, 1
	s_mov_b32 s19, exec_lo
	v_cmpx_ne_u16_e32 0x80, v12
	s_cbranch_execz .LBB372_3023
; %bb.3018:                             ;   in Loop: Header=BB372_2076 Depth=1
	v_bfe_u32 v25, v23, 16, 7
	v_mov_b32_e32 v17, 0x7f800001
	s_mov_b32 s20, exec_lo
	v_cmpx_ne_u32_e32 0x7f, v25
	s_cbranch_execz .LBB372_3022
; %bb.3019:                             ;   in Loop: Header=BB372_2076 Depth=1
	v_and_b32_sdwa v12, v23, v114 dst_sel:DWORD dst_unused:UNUSED_PAD src0_sel:WORD_1 src1_sel:DWORD
	v_lshrrev_b32_e32 v17, 3, v25
	v_cmp_gt_u32_e64 s4, 8, v25
	v_mov_b32_e32 v26, v13
	v_mov_b32_e32 v25, v12
	s_and_saveexec_b32 s21, s4
; %bb.3020:                             ;   in Loop: Header=BB372_2076 Depth=1
	v_ffbh_u32_e32 v17, v12
	v_min_u32_e32 v17, 32, v17
	v_subrev_nc_u32_e32 v25, 28, v17
	v_sub_nc_u32_e32 v17, 29, v17
	v_lshlrev_b64 v[25:26], v25, v[12:13]
	v_and_b32_e32 v25, 7, v25
; %bb.3021:                             ;   in Loop: Header=BB372_2076 Depth=1
	s_or_b32 exec_lo, exec_lo, s21
	v_lshlrev_b32_sdwa v12, v115, v23 dst_sel:DWORD dst_unused:UNUSED_PAD src0_sel:DWORD src1_sel:WORD_1
	v_lshlrev_b32_e32 v25, 20, v25
	v_lshl_add_u32 v17, v17, 23, 0x3c000000
	v_and_b32_e32 v12, 0x80000000, v12
	v_or3_b32 v17, v25, v12, v17
.LBB372_3022:                           ;   in Loop: Header=BB372_2076 Depth=1
	s_or_b32 exec_lo, exec_lo, s20
.LBB372_3023:                           ;   in Loop: Header=BB372_2076 Depth=1
	s_or_b32 exec_lo, exec_lo, s19
.LBB372_3024:                           ;   in Loop: Header=BB372_2076 Depth=1
	s_or_b32 exec_lo, exec_lo, s18
	s_mov_b32 s18, exec_lo
	v_cmpx_lt_u32_e32 0xffffff, v23
	s_cbranch_execz .LBB372_3032
; %bb.3025:                             ;   in Loop: Header=BB372_2076 Depth=1
	v_cmp_ne_u32_sdwa s4, v23, v103 src0_sel:BYTE_3 src1_sel:DWORD
	v_bfrev_b32_e32 v18, 1
	s_and_saveexec_b32 s19, s4
	s_cbranch_execz .LBB372_3031
; %bb.3026:                             ;   in Loop: Header=BB372_2076 Depth=1
	v_bfe_u32 v25, v23, 24, 7
	v_mov_b32_e32 v18, 0x7f800001
	s_mov_b32 s20, exec_lo
	v_cmpx_ne_u32_e32 0x7f, v25
	s_cbranch_execz .LBB372_3030
; %bb.3027:                             ;   in Loop: Header=BB372_2076 Depth=1
	v_and_b32_sdwa v12, v23, v114 dst_sel:DWORD dst_unused:UNUSED_PAD src0_sel:BYTE_3 src1_sel:DWORD
	v_lshrrev_b32_e32 v18, 3, v25
	v_cmp_gt_u32_e64 s4, 8, v25
	v_mov_b32_e32 v26, v13
	v_mov_b32_e32 v25, v12
	s_and_saveexec_b32 s21, s4
; %bb.3028:                             ;   in Loop: Header=BB372_2076 Depth=1
	v_ffbh_u32_e32 v18, v12
	v_min_u32_e32 v18, 32, v18
	v_subrev_nc_u32_e32 v25, 28, v18
	v_sub_nc_u32_e32 v18, 29, v18
	v_lshlrev_b64 v[25:26], v25, v[12:13]
	v_and_b32_e32 v25, 7, v25
; %bb.3029:                             ;   in Loop: Header=BB372_2076 Depth=1
	s_or_b32 exec_lo, exec_lo, s21
	v_lshlrev_b32_sdwa v12, v115, v23 dst_sel:DWORD dst_unused:UNUSED_PAD src0_sel:DWORD src1_sel:BYTE_3
	v_lshlrev_b32_e32 v25, 20, v25
	v_lshl_add_u32 v18, v18, 23, 0x3c000000
	v_and_b32_e32 v12, 0x80000000, v12
	v_or3_b32 v18, v25, v12, v18
.LBB372_3030:                           ;   in Loop: Header=BB372_2076 Depth=1
	s_or_b32 exec_lo, exec_lo, s20
.LBB372_3031:                           ;   in Loop: Header=BB372_2076 Depth=1
	s_or_b32 exec_lo, exec_lo, s19
.LBB372_3032:                           ;   in Loop: Header=BB372_2076 Depth=1
	s_or_b32 exec_lo, exec_lo, s18
	v_mov_b32_e32 v12, v24
	v_cmp_ne_u16_sdwa s4, v24, v13 src0_sel:BYTE_0 src1_sel:DWORD
	v_mov_b32_e32 v30, 0
	v_mov_b32_e32 v29, 0
	s_and_saveexec_b32 s18, s4
	s_cbranch_execz .LBB372_3040
; %bb.3033:                             ;   in Loop: Header=BB372_2076 Depth=1
	v_cmp_ne_u16_sdwa s4, v24, v103 src0_sel:BYTE_0 src1_sel:DWORD
	v_bfrev_b32_e32 v29, 1
	s_and_saveexec_b32 s19, s4
	s_cbranch_execz .LBB372_3039
; %bb.3034:                             ;   in Loop: Header=BB372_2076 Depth=1
	v_and_b32_e32 v25, 0x7f, v24
	v_mov_b32_e32 v29, 0x7f800001
	s_mov_b32 s20, exec_lo
	v_cmpx_ne_u32_e32 0x7f, v25
	s_cbranch_execz .LBB372_3038
; %bb.3035:                             ;   in Loop: Header=BB372_2076 Depth=1
	v_lshrrev_b32_e32 v27, 3, v25
	v_cmp_gt_u32_e64 s4, 8, v25
	v_mov_b32_e32 v26, v13
	v_mov_b32_e32 v25, v12
	s_and_saveexec_b32 s21, s4
; %bb.3036:                             ;   in Loop: Header=BB372_2076 Depth=1
	v_and_b32_e32 v25, 7, v24
	v_ffbh_u32_e32 v25, v25
	v_min_u32_e32 v27, 32, v25
	v_subrev_nc_u32_e32 v25, 28, v27
	v_sub_nc_u32_e32 v27, 29, v27
	v_lshlrev_b64 v[25:26], v25, v[12:13]
; %bb.3037:                             ;   in Loop: Header=BB372_2076 Depth=1
	s_or_b32 exec_lo, exec_lo, s21
	v_lshlrev_b32_e32 v25, 20, v25
	v_lshlrev_b32_e32 v26, 24, v12
	v_lshl_add_u32 v27, v27, 23, 0x3c000000
	v_and_b32_e32 v25, 0x700000, v25
	v_and_b32_e32 v26, 0x80000000, v26
	v_or3_b32 v29, v25, v26, v27
.LBB372_3038:                           ;   in Loop: Header=BB372_2076 Depth=1
	s_or_b32 exec_lo, exec_lo, s20
.LBB372_3039:                           ;   in Loop: Header=BB372_2076 Depth=1
	s_or_b32 exec_lo, exec_lo, s19
.LBB372_3040:                           ;   in Loop: Header=BB372_2076 Depth=1
	s_or_b32 exec_lo, exec_lo, s18
	v_cmp_ne_u16_sdwa s4, v12, v13 src0_sel:BYTE_1 src1_sel:DWORD
	s_and_saveexec_b32 s18, s4
	s_cbranch_execz .LBB372_3048
; %bb.3041:                             ;   in Loop: Header=BB372_2076 Depth=1
	v_cmp_ne_u16_sdwa s4, v12, v103 src0_sel:BYTE_1 src1_sel:DWORD
	v_bfrev_b32_e32 v30, 1
	s_and_saveexec_b32 s19, s4
	s_cbranch_execz .LBB372_3047
; %bb.3042:                             ;   in Loop: Header=BB372_2076 Depth=1
	v_mov_b32_e32 v25, 0xffff
	v_mov_b32_e32 v30, 0x7f800001
	s_mov_b32 s20, exec_lo
	v_and_b32_sdwa v25, v25, v12 dst_sel:DWORD dst_unused:UNUSED_PAD src0_sel:DWORD src1_sel:BYTE_1
	v_and_b32_e32 v28, 0x7f, v25
	v_cmpx_ne_u32_e32 0x7f, v28
	s_cbranch_execz .LBB372_3046
; %bb.3043:                             ;   in Loop: Header=BB372_2076 Depth=1
	v_and_b32_e32 v25, 7, v25
	v_mov_b32_e32 v26, v13
	v_lshrrev_b32_e32 v27, 3, v28
	s_mov_b32 s21, exec_lo
	v_cmpx_gt_u32_e32 8, v28
; %bb.3044:                             ;   in Loop: Header=BB372_2076 Depth=1
	v_ffbh_u32_e32 v27, v25
	v_min_u32_e32 v27, 32, v27
	v_subrev_nc_u32_e32 v28, 28, v27
	v_sub_nc_u32_e32 v27, 29, v27
	v_lshlrev_b64 v[25:26], v28, v[25:26]
	v_and_b32_e32 v25, 7, v25
; %bb.3045:                             ;   in Loop: Header=BB372_2076 Depth=1
	s_or_b32 exec_lo, exec_lo, s21
	v_lshlrev_b32_e32 v12, 16, v12
	v_lshlrev_b32_e32 v25, 20, v25
	v_lshl_add_u32 v26, v27, 23, 0x3c000000
	v_and_b32_e32 v12, 0x80000000, v12
	v_or3_b32 v30, v25, v12, v26
.LBB372_3046:                           ;   in Loop: Header=BB372_2076 Depth=1
	s_or_b32 exec_lo, exec_lo, s20
.LBB372_3047:                           ;   in Loop: Header=BB372_2076 Depth=1
	s_or_b32 exec_lo, exec_lo, s19
.LBB372_3048:                           ;   in Loop: Header=BB372_2076 Depth=1
	s_or_b32 exec_lo, exec_lo, s18
	v_and_b32_sdwa v12, v24, v113 dst_sel:DWORD dst_unused:UNUSED_PAD src0_sel:WORD_1 src1_sel:DWORD
	v_mov_b32_e32 v27, 0
	v_mov_b32_e32 v28, 0
	s_mov_b32 s18, exec_lo
	v_cmpx_ne_u16_e32 0, v12
	s_cbranch_execz .LBB372_3056
; %bb.3049:                             ;   in Loop: Header=BB372_2076 Depth=1
	v_bfrev_b32_e32 v28, 1
	s_mov_b32 s19, exec_lo
	v_cmpx_ne_u16_e32 0x80, v12
	s_cbranch_execz .LBB372_3055
; %bb.3050:                             ;   in Loop: Header=BB372_2076 Depth=1
	v_bfe_u32 v25, v24, 16, 7
	v_mov_b32_e32 v28, 0x7f800001
	s_mov_b32 s20, exec_lo
	v_cmpx_ne_u32_e32 0x7f, v25
	s_cbranch_execz .LBB372_3054
; %bb.3051:                             ;   in Loop: Header=BB372_2076 Depth=1
	v_and_b32_sdwa v12, v24, v114 dst_sel:DWORD dst_unused:UNUSED_PAD src0_sel:WORD_1 src1_sel:DWORD
	v_lshrrev_b32_e32 v28, 3, v25
	v_cmp_gt_u32_e64 s4, 8, v25
	v_mov_b32_e32 v26, v13
	v_mov_b32_e32 v25, v12
	s_and_saveexec_b32 s21, s4
; %bb.3052:                             ;   in Loop: Header=BB372_2076 Depth=1
	v_ffbh_u32_e32 v25, v12
	v_min_u32_e32 v28, 32, v25
	v_subrev_nc_u32_e32 v25, 28, v28
	v_sub_nc_u32_e32 v28, 29, v28
	v_lshlrev_b64 v[25:26], v25, v[12:13]
	v_and_b32_e32 v25, 7, v25
; %bb.3053:                             ;   in Loop: Header=BB372_2076 Depth=1
	s_or_b32 exec_lo, exec_lo, s21
	v_lshlrev_b32_sdwa v12, v115, v24 dst_sel:DWORD dst_unused:UNUSED_PAD src0_sel:DWORD src1_sel:WORD_1
	v_lshlrev_b32_e32 v25, 20, v25
	v_lshl_add_u32 v26, v28, 23, 0x3c000000
	v_and_b32_e32 v12, 0x80000000, v12
	v_or3_b32 v28, v25, v12, v26
.LBB372_3054:                           ;   in Loop: Header=BB372_2076 Depth=1
	s_or_b32 exec_lo, exec_lo, s20
.LBB372_3055:                           ;   in Loop: Header=BB372_2076 Depth=1
	s_or_b32 exec_lo, exec_lo, s19
.LBB372_3056:                           ;   in Loop: Header=BB372_2076 Depth=1
	s_or_b32 exec_lo, exec_lo, s18
	s_mov_b32 s18, exec_lo
	v_cmpx_lt_u64_e64 s[6:7], v[23:24]
	s_cbranch_execz .LBB372_3064
; %bb.3057:                             ;   in Loop: Header=BB372_2076 Depth=1
	v_cmp_ne_u32_sdwa s4, v24, v103 src0_sel:BYTE_3 src1_sel:DWORD
	v_bfrev_b32_e32 v27, 1
	s_and_saveexec_b32 s19, s4
	s_cbranch_execz .LBB372_3063
; %bb.3058:                             ;   in Loop: Header=BB372_2076 Depth=1
	v_bfe_u32 v25, v24, 24, 7
	v_mov_b32_e32 v27, 0x7f800001
	s_mov_b32 s20, exec_lo
	v_cmpx_ne_u32_e32 0x7f, v25
	s_cbranch_execz .LBB372_3062
; %bb.3059:                             ;   in Loop: Header=BB372_2076 Depth=1
	v_and_b32_sdwa v12, v24, v114 dst_sel:DWORD dst_unused:UNUSED_PAD src0_sel:BYTE_3 src1_sel:DWORD
	v_lshrrev_b32_e32 v23, 3, v25
	v_cmp_gt_u32_e64 s4, 8, v25
	v_mov_b32_e32 v26, v13
	v_mov_b32_e32 v25, v12
	s_and_saveexec_b32 s21, s4
; %bb.3060:                             ;   in Loop: Header=BB372_2076 Depth=1
	v_ffbh_u32_e32 v23, v12
	v_min_u32_e32 v23, 32, v23
	v_subrev_nc_u32_e32 v25, 28, v23
	v_sub_nc_u32_e32 v23, 29, v23
	v_lshlrev_b64 v[25:26], v25, v[12:13]
	v_and_b32_e32 v25, 7, v25
; %bb.3061:                             ;   in Loop: Header=BB372_2076 Depth=1
	s_or_b32 exec_lo, exec_lo, s21
	v_lshlrev_b32_sdwa v12, v115, v24 dst_sel:DWORD dst_unused:UNUSED_PAD src0_sel:DWORD src1_sel:BYTE_3
	v_lshlrev_b32_e32 v24, 20, v25
	v_lshl_add_u32 v23, v23, 23, 0x3c000000
	v_and_b32_e32 v12, 0x80000000, v12
	v_or3_b32 v27, v24, v12, v23
.LBB372_3062:                           ;   in Loop: Header=BB372_2076 Depth=1
	s_or_b32 exec_lo, exec_lo, s20
.LBB372_3063:                           ;   in Loop: Header=BB372_2076 Depth=1
	s_or_b32 exec_lo, exec_lo, s19
.LBB372_3064:                           ;   in Loop: Header=BB372_2076 Depth=1
	s_or_b32 exec_lo, exec_lo, s18
	v_mul_f32_e32 v12, v97, v30
	v_mul_f32_e32 v1, v97, v1
	;; [unrolled: 1-line block ×3, first 2 shown]
	v_bfe_u32 v23, v12, 16, 1
	v_or_b32_e32 v24, 0x400000, v12
	v_cmp_u_f32_e64 s4, v12, v12
	v_add3_u32 v23, v23, v12, 0x7fff
	v_cndmask_b32_e64 v12, v23, v24, s4
	v_lshrrev_b32_e32 v12, 16, v12
	buffer_store_dword v12, off, s[0:3], s32 offset:648 ; 4-byte Folded Spill
	v_mul_f32_e32 v12, v97, v29
	v_bfe_u32 v23, v12, 16, 1
	v_or_b32_e32 v24, 0x400000, v12
	v_cmp_u_f32_e64 s4, v12, v12
	v_add3_u32 v23, v23, v12, 0x7fff
	v_cndmask_b32_e64 v12, v23, v24, s4
	v_lshrrev_b32_e32 v12, 16, v12
	buffer_store_dword v12, off, s[0:3], s32 offset:652 ; 4-byte Folded Spill
	v_mul_f32_e32 v12, v97, v18
	;; [unrolled: 8-line block ×3, first 2 shown]
	v_bfe_u32 v17, v12, 16, 1
	v_or_b32_e32 v18, 0x400000, v12
	v_cmp_u_f32_e64 s4, v12, v12
	v_add3_u32 v17, v17, v12, 0x7fff
	v_cndmask_b32_e64 v12, v17, v18, s4
	v_or_b32_e32 v17, 0x400000, v1
	v_cmp_u_f32_e64 s4, v1, v1
	v_lshrrev_b32_e32 v12, 16, v12
	buffer_store_dword v12, off, s[0:3], s32 offset:660 ; 4-byte Folded Spill
	v_bfe_u32 v12, v1, 16, 1
	v_add3_u32 v12, v12, v1, 0x7fff
	v_cndmask_b32_e64 v1, v12, v17, s4
	v_or_b32_e32 v12, 0x400000, v0
	v_cmp_u_f32_e64 s4, v0, v0
	v_lshrrev_b32_e32 v1, 16, v1
	buffer_store_dword v1, off, s[0:3], s32 offset:664 ; 4-byte Folded Spill
	v_bfe_u32 v1, v0, 16, 1
	v_add3_u32 v1, v1, v0, 0x7fff
	v_cndmask_b32_e64 v0, v1, v12, s4
	v_lshrrev_b32_e32 v0, 16, v0
	buffer_store_dword v0, off, s[0:3], s32 offset:672 ; 4-byte Folded Spill
	v_mul_f32_e32 v0, v97, v28
	v_bfe_u32 v1, v0, 16, 1
	v_or_b32_e32 v12, 0x400000, v0
	v_cmp_u_f32_e64 s4, v0, v0
	v_add3_u32 v1, v1, v0, 0x7fff
	v_cndmask_b32_e64 v0, v1, v12, s4
	v_lshrrev_b32_e32 v0, 16, v0
	buffer_store_dword v0, off, s[0:3], s32 offset:668 ; 4-byte Folded Spill
	v_mul_f32_e32 v0, v97, v27
	v_bfe_u32 v1, v0, 16, 1
	v_or_b32_e32 v12, 0x400000, v0
	v_cmp_u_f32_e64 s4, v0, v0
	v_add3_u32 v1, v1, v0, 0x7fff
	v_cndmask_b32_e64 v0, v1, v12, s4
	v_lshrrev_b32_e32 v0, 16, v0
	buffer_store_dword v0, off, s[0:3], s32 offset:676 ; 4-byte Folded Spill
	s_and_saveexec_b32 s18, vcc_lo
	s_cbranch_execz .LBB372_3066
; %bb.3065:                             ;   in Loop: Header=BB372_2076 Depth=1
	s_clause 0x1
	buffer_load_dword v0, off, s[0:3], s32 offset:192
	buffer_load_dword v1, off, s[0:3], s32 offset:672
	s_waitcnt vmcnt(1)
	v_cmp_lt_i32_e64 s4, v124, v0
	s_waitcnt vmcnt(0)
	v_cndmask_b32_e64 v1, 0, v1, s4
	v_cmp_lt_i32_e64 s4, v11, v0
	buffer_store_dword v1, off, s[0:3], s32 offset:672 ; 4-byte Folded Spill
	buffer_load_dword v1, off, s[0:3], s32 offset:664 ; 4-byte Folded Reload
	s_waitcnt vmcnt(0)
	v_cndmask_b32_e64 v1, 0, v1, s4
	v_cmp_lt_i32_e64 s4, v10, v0
	buffer_store_dword v1, off, s[0:3], s32 offset:664 ; 4-byte Folded Spill
	buffer_load_dword v1, off, s[0:3], s32 offset:660 ; 4-byte Folded Reload
	;; [unrolled: 5-line block ×6, first 2 shown]
	s_waitcnt vmcnt(0)
	v_cndmask_b32_e64 v1, 0, v1, s4
	v_cmp_lt_i32_e64 s4, v65, v0
	buffer_load_dword v0, off, s[0:3], s32 offset:676 ; 4-byte Folded Reload
	buffer_store_dword v1, off, s[0:3], s32 offset:668 ; 4-byte Folded Spill
	s_waitcnt vmcnt(0)
	v_cndmask_b32_e64 v0, 0, v0, s4
	buffer_store_dword v0, off, s[0:3], s32 offset:676 ; 4-byte Folded Spill
.LBB372_3066:                           ;   in Loop: Header=BB372_2076 Depth=1
	s_or_b32 exec_lo, exec_lo, s18
	flat_load_dwordx2 v[21:22], v[21:22] offset:1792
	v_mov_b32_e32 v1, 0
	v_mov_b32_e32 v0, 0
	s_waitcnt vmcnt(0) lgkmcnt(0)
	v_cmp_ne_u16_sdwa s4, v21, v13 src0_sel:BYTE_0 src1_sel:DWORD
	s_and_saveexec_b32 s18, s4
	s_cbranch_execz .LBB372_3074
; %bb.3067:                             ;   in Loop: Header=BB372_2076 Depth=1
	v_cmp_ne_u16_sdwa s4, v21, v103 src0_sel:BYTE_0 src1_sel:DWORD
	v_bfrev_b32_e32 v0, 1
	s_and_saveexec_b32 s19, s4
	s_cbranch_execz .LBB372_3073
; %bb.3068:                             ;   in Loop: Header=BB372_2076 Depth=1
	v_and_b32_e32 v12, 0x7f, v21
	v_mov_b32_e32 v0, 0x7f800001
	s_mov_b32 s20, exec_lo
	v_cmpx_ne_u32_e32 0x7f, v12
	s_cbranch_execz .LBB372_3072
; %bb.3069:                             ;   in Loop: Header=BB372_2076 Depth=1
	v_mov_b32_e32 v24, v22
	v_lshrrev_b32_e32 v0, 3, v12
	v_mov_b32_e32 v23, v21
	s_mov_b32 s21, exec_lo
	v_cmpx_gt_u32_e32 8, v12
; %bb.3070:                             ;   in Loop: Header=BB372_2076 Depth=1
	v_and_b32_e32 v0, 7, v21
	v_ffbh_u32_e32 v0, v0
	v_min_u32_e32 v0, 32, v0
	v_subrev_nc_u32_e32 v12, 28, v0
	v_sub_nc_u32_e32 v0, 29, v0
	v_lshlrev_b64 v[23:24], v12, v[21:22]
; %bb.3071:                             ;   in Loop: Header=BB372_2076 Depth=1
	s_or_b32 exec_lo, exec_lo, s21
	v_lshlrev_b32_e32 v12, 20, v23
	v_lshlrev_b32_e32 v17, 24, v21
	v_lshl_add_u32 v0, v0, 23, 0x3c000000
	v_and_b32_e32 v12, 0x700000, v12
	v_and_b32_e32 v17, 0x80000000, v17
	v_or3_b32 v0, v12, v17, v0
.LBB372_3072:                           ;   in Loop: Header=BB372_2076 Depth=1
	s_or_b32 exec_lo, exec_lo, s20
.LBB372_3073:                           ;   in Loop: Header=BB372_2076 Depth=1
	s_or_b32 exec_lo, exec_lo, s19
.LBB372_3074:                           ;   in Loop: Header=BB372_2076 Depth=1
	s_or_b32 exec_lo, exec_lo, s18
	v_cmp_ne_u16_sdwa s4, v21, v13 src0_sel:BYTE_1 src1_sel:DWORD
	s_and_saveexec_b32 s18, s4
	s_cbranch_execz .LBB372_3082
; %bb.3075:                             ;   in Loop: Header=BB372_2076 Depth=1
	v_cmp_ne_u16_sdwa s4, v21, v103 src0_sel:BYTE_1 src1_sel:DWORD
	v_bfrev_b32_e32 v1, 1
	s_and_saveexec_b32 s19, s4
	s_cbranch_execz .LBB372_3081
; %bb.3076:                             ;   in Loop: Header=BB372_2076 Depth=1
	v_mov_b32_e32 v1, 0xffff
	s_mov_b32 s20, exec_lo
	v_and_b32_sdwa v12, v1, v21 dst_sel:DWORD dst_unused:UNUSED_PAD src0_sel:DWORD src1_sel:BYTE_1
	v_mov_b32_e32 v1, 0x7f800001
	v_and_b32_e32 v17, 0x7f, v12
	v_cmpx_ne_u32_e32 0x7f, v17
	s_cbranch_execz .LBB372_3080
; %bb.3077:                             ;   in Loop: Header=BB372_2076 Depth=1
	v_and_b32_e32 v12, 7, v12
	v_mov_b32_e32 v24, v13
	v_lshrrev_b32_e32 v1, 3, v17
	s_mov_b32 s21, exec_lo
	v_mov_b32_e32 v23, v12
	v_cmpx_gt_u32_e32 8, v17
; %bb.3078:                             ;   in Loop: Header=BB372_2076 Depth=1
	v_ffbh_u32_e32 v1, v12
	v_min_u32_e32 v1, 32, v1
	v_subrev_nc_u32_e32 v17, 28, v1
	v_sub_nc_u32_e32 v1, 29, v1
	v_lshlrev_b64 v[17:18], v17, v[12:13]
	v_and_b32_e32 v23, 7, v17
; %bb.3079:                             ;   in Loop: Header=BB372_2076 Depth=1
	s_or_b32 exec_lo, exec_lo, s21
	v_lshlrev_b32_e32 v12, 16, v21
	v_lshlrev_b32_e32 v17, 20, v23
	v_lshl_add_u32 v1, v1, 23, 0x3c000000
	v_and_b32_e32 v12, 0x80000000, v12
	v_or3_b32 v1, v17, v12, v1
.LBB372_3080:                           ;   in Loop: Header=BB372_2076 Depth=1
	s_or_b32 exec_lo, exec_lo, s20
.LBB372_3081:                           ;   in Loop: Header=BB372_2076 Depth=1
	s_or_b32 exec_lo, exec_lo, s19
.LBB372_3082:                           ;   in Loop: Header=BB372_2076 Depth=1
	s_or_b32 exec_lo, exec_lo, s18
	v_and_b32_sdwa v12, v21, v113 dst_sel:DWORD dst_unused:UNUSED_PAD src0_sel:WORD_1 src1_sel:DWORD
	v_mov_b32_e32 v18, 0
	v_mov_b32_e32 v17, 0
	s_mov_b32 s18, exec_lo
	v_cmpx_ne_u16_e32 0, v12
	s_cbranch_execz .LBB372_3090
; %bb.3083:                             ;   in Loop: Header=BB372_2076 Depth=1
	v_bfrev_b32_e32 v17, 1
	s_mov_b32 s19, exec_lo
	v_cmpx_ne_u16_e32 0x80, v12
	s_cbranch_execz .LBB372_3089
; %bb.3084:                             ;   in Loop: Header=BB372_2076 Depth=1
	v_bfe_u32 v25, v21, 16, 7
	v_mov_b32_e32 v17, 0x7f800001
	s_mov_b32 s20, exec_lo
	v_cmpx_ne_u32_e32 0x7f, v25
	s_cbranch_execz .LBB372_3088
; %bb.3085:                             ;   in Loop: Header=BB372_2076 Depth=1
	v_and_b32_sdwa v12, v21, v114 dst_sel:DWORD dst_unused:UNUSED_PAD src0_sel:WORD_1 src1_sel:DWORD
	v_mov_b32_e32 v24, v13
	v_lshrrev_b32_e32 v17, 3, v25
	s_mov_b32 s21, exec_lo
	v_mov_b32_e32 v23, v12
	v_cmpx_gt_u32_e32 8, v25
; %bb.3086:                             ;   in Loop: Header=BB372_2076 Depth=1
	v_ffbh_u32_e32 v17, v12
	v_min_u32_e32 v17, 32, v17
	v_subrev_nc_u32_e32 v23, 28, v17
	v_sub_nc_u32_e32 v17, 29, v17
	v_lshlrev_b64 v[23:24], v23, v[12:13]
	v_and_b32_e32 v23, 7, v23
; %bb.3087:                             ;   in Loop: Header=BB372_2076 Depth=1
	s_or_b32 exec_lo, exec_lo, s21
	v_lshlrev_b32_sdwa v12, v115, v21 dst_sel:DWORD dst_unused:UNUSED_PAD src0_sel:DWORD src1_sel:WORD_1
	v_lshlrev_b32_e32 v23, 20, v23
	v_lshl_add_u32 v17, v17, 23, 0x3c000000
	v_and_b32_e32 v12, 0x80000000, v12
	v_or3_b32 v17, v23, v12, v17
.LBB372_3088:                           ;   in Loop: Header=BB372_2076 Depth=1
	s_or_b32 exec_lo, exec_lo, s20
.LBB372_3089:                           ;   in Loop: Header=BB372_2076 Depth=1
	s_or_b32 exec_lo, exec_lo, s19
.LBB372_3090:                           ;   in Loop: Header=BB372_2076 Depth=1
	s_or_b32 exec_lo, exec_lo, s18
	s_mov_b32 s18, exec_lo
	v_cmpx_lt_u32_e32 0xffffff, v21
	s_cbranch_execz .LBB372_3098
; %bb.3091:                             ;   in Loop: Header=BB372_2076 Depth=1
	v_cmp_ne_u32_sdwa s4, v21, v103 src0_sel:BYTE_3 src1_sel:DWORD
	v_bfrev_b32_e32 v18, 1
	s_and_saveexec_b32 s19, s4
	s_cbranch_execz .LBB372_3097
; %bb.3092:                             ;   in Loop: Header=BB372_2076 Depth=1
	v_bfe_u32 v25, v21, 24, 7
	v_mov_b32_e32 v18, 0x7f800001
	s_mov_b32 s20, exec_lo
	v_cmpx_ne_u32_e32 0x7f, v25
	s_cbranch_execz .LBB372_3096
; %bb.3093:                             ;   in Loop: Header=BB372_2076 Depth=1
	v_and_b32_sdwa v12, v21, v114 dst_sel:DWORD dst_unused:UNUSED_PAD src0_sel:BYTE_3 src1_sel:DWORD
	v_mov_b32_e32 v24, v13
	v_lshrrev_b32_e32 v18, 3, v25
	s_mov_b32 s21, exec_lo
	v_mov_b32_e32 v23, v12
	v_cmpx_gt_u32_e32 8, v25
; %bb.3094:                             ;   in Loop: Header=BB372_2076 Depth=1
	v_ffbh_u32_e32 v18, v12
	v_min_u32_e32 v18, 32, v18
	v_subrev_nc_u32_e32 v23, 28, v18
	v_sub_nc_u32_e32 v18, 29, v18
	v_lshlrev_b64 v[23:24], v23, v[12:13]
	v_and_b32_e32 v23, 7, v23
; %bb.3095:                             ;   in Loop: Header=BB372_2076 Depth=1
	s_or_b32 exec_lo, exec_lo, s21
	v_lshlrev_b32_sdwa v12, v115, v21 dst_sel:DWORD dst_unused:UNUSED_PAD src0_sel:DWORD src1_sel:BYTE_3
	v_lshlrev_b32_e32 v23, 20, v23
	v_lshl_add_u32 v18, v18, 23, 0x3c000000
	v_and_b32_e32 v12, 0x80000000, v12
	v_or3_b32 v18, v23, v12, v18
.LBB372_3096:                           ;   in Loop: Header=BB372_2076 Depth=1
	s_or_b32 exec_lo, exec_lo, s20
.LBB372_3097:                           ;   in Loop: Header=BB372_2076 Depth=1
	s_or_b32 exec_lo, exec_lo, s19
.LBB372_3098:                           ;   in Loop: Header=BB372_2076 Depth=1
	s_or_b32 exec_lo, exec_lo, s18
	v_mov_b32_e32 v12, v22
	v_cmp_ne_u16_sdwa s4, v22, v13 src0_sel:BYTE_0 src1_sel:DWORD
	v_mov_b32_e32 v28, 0
	v_mov_b32_e32 v27, 0
	s_and_saveexec_b32 s18, s4
	s_cbranch_execz .LBB372_3106
; %bb.3099:                             ;   in Loop: Header=BB372_2076 Depth=1
	v_cmp_ne_u16_sdwa s4, v22, v103 src0_sel:BYTE_0 src1_sel:DWORD
	v_bfrev_b32_e32 v27, 1
	s_and_saveexec_b32 s19, s4
	s_cbranch_execz .LBB372_3105
; %bb.3100:                             ;   in Loop: Header=BB372_2076 Depth=1
	v_and_b32_e32 v25, 0x7f, v22
	v_mov_b32_e32 v27, 0x7f800001
	s_mov_b32 s20, exec_lo
	v_cmpx_ne_u32_e32 0x7f, v25
	s_cbranch_execz .LBB372_3104
; %bb.3101:                             ;   in Loop: Header=BB372_2076 Depth=1
	v_mov_b32_e32 v24, v13
	v_mov_b32_e32 v23, v12
	v_lshrrev_b32_e32 v24, 3, v25
	s_mov_b32 s21, exec_lo
	v_cmpx_gt_u32_e32 8, v25
; %bb.3102:                             ;   in Loop: Header=BB372_2076 Depth=1
	v_and_b32_e32 v23, 7, v22
	v_ffbh_u32_e32 v23, v23
	v_min_u32_e32 v25, 32, v23
	v_subrev_nc_u32_e32 v23, 28, v25
	v_lshlrev_b64 v[23:24], v23, v[12:13]
	v_sub_nc_u32_e32 v24, 29, v25
; %bb.3103:                             ;   in Loop: Header=BB372_2076 Depth=1
	s_or_b32 exec_lo, exec_lo, s21
	v_lshlrev_b32_e32 v23, 20, v23
	v_lshlrev_b32_e32 v25, 24, v12
	v_lshl_add_u32 v24, v24, 23, 0x3c000000
	v_and_b32_e32 v23, 0x700000, v23
	v_and_b32_e32 v25, 0x80000000, v25
	v_or3_b32 v27, v23, v25, v24
.LBB372_3104:                           ;   in Loop: Header=BB372_2076 Depth=1
	s_or_b32 exec_lo, exec_lo, s20
.LBB372_3105:                           ;   in Loop: Header=BB372_2076 Depth=1
	s_or_b32 exec_lo, exec_lo, s19
.LBB372_3106:                           ;   in Loop: Header=BB372_2076 Depth=1
	s_or_b32 exec_lo, exec_lo, s18
	v_cmp_ne_u16_sdwa s4, v12, v13 src0_sel:BYTE_1 src1_sel:DWORD
	s_and_saveexec_b32 s18, s4
	s_cbranch_execz .LBB372_3114
; %bb.3107:                             ;   in Loop: Header=BB372_2076 Depth=1
	v_cmp_ne_u16_sdwa s4, v12, v103 src0_sel:BYTE_1 src1_sel:DWORD
	v_bfrev_b32_e32 v28, 1
	s_and_saveexec_b32 s19, s4
	s_cbranch_execz .LBB372_3113
; %bb.3108:                             ;   in Loop: Header=BB372_2076 Depth=1
	v_mov_b32_e32 v23, 0xffff
	v_mov_b32_e32 v28, 0x7f800001
	s_mov_b32 s20, exec_lo
	v_and_b32_sdwa v23, v23, v12 dst_sel:DWORD dst_unused:UNUSED_PAD src0_sel:DWORD src1_sel:BYTE_1
	v_and_b32_e32 v26, 0x7f, v23
	v_cmpx_ne_u32_e32 0x7f, v26
	s_cbranch_execz .LBB372_3112
; %bb.3109:                             ;   in Loop: Header=BB372_2076 Depth=1
	v_and_b32_e32 v23, 7, v23
	v_mov_b32_e32 v24, v13
	v_lshrrev_b32_e32 v25, 3, v26
	s_mov_b32 s21, exec_lo
	v_cmpx_gt_u32_e32 8, v26
; %bb.3110:                             ;   in Loop: Header=BB372_2076 Depth=1
	v_ffbh_u32_e32 v25, v23
	v_min_u32_e32 v25, 32, v25
	v_subrev_nc_u32_e32 v26, 28, v25
	v_sub_nc_u32_e32 v25, 29, v25
	v_lshlrev_b64 v[23:24], v26, v[23:24]
	v_and_b32_e32 v23, 7, v23
; %bb.3111:                             ;   in Loop: Header=BB372_2076 Depth=1
	s_or_b32 exec_lo, exec_lo, s21
	v_lshlrev_b32_e32 v12, 16, v12
	v_lshlrev_b32_e32 v23, 20, v23
	v_lshl_add_u32 v24, v25, 23, 0x3c000000
	v_and_b32_e32 v12, 0x80000000, v12
	v_or3_b32 v28, v23, v12, v24
.LBB372_3112:                           ;   in Loop: Header=BB372_2076 Depth=1
	s_or_b32 exec_lo, exec_lo, s20
.LBB372_3113:                           ;   in Loop: Header=BB372_2076 Depth=1
	s_or_b32 exec_lo, exec_lo, s19
.LBB372_3114:                           ;   in Loop: Header=BB372_2076 Depth=1
	s_or_b32 exec_lo, exec_lo, s18
	v_and_b32_sdwa v12, v22, v113 dst_sel:DWORD dst_unused:UNUSED_PAD src0_sel:WORD_1 src1_sel:DWORD
	v_mov_b32_e32 v25, 0
	v_mov_b32_e32 v26, 0
	s_mov_b32 s18, exec_lo
	v_cmpx_ne_u16_e32 0, v12
	s_cbranch_execz .LBB372_3122
; %bb.3115:                             ;   in Loop: Header=BB372_2076 Depth=1
	v_bfrev_b32_e32 v26, 1
	s_mov_b32 s19, exec_lo
	v_cmpx_ne_u16_e32 0x80, v12
	s_cbranch_execz .LBB372_3121
; %bb.3116:                             ;   in Loop: Header=BB372_2076 Depth=1
	v_bfe_u32 v29, v22, 16, 7
	v_mov_b32_e32 v26, 0x7f800001
	s_mov_b32 s20, exec_lo
	v_cmpx_ne_u32_e32 0x7f, v29
	s_cbranch_execz .LBB372_3120
; %bb.3117:                             ;   in Loop: Header=BB372_2076 Depth=1
	v_and_b32_sdwa v12, v22, v114 dst_sel:DWORD dst_unused:UNUSED_PAD src0_sel:WORD_1 src1_sel:DWORD
	v_mov_b32_e32 v24, v13
	v_lshrrev_b32_e32 v24, 3, v29
	s_mov_b32 s21, exec_lo
	v_mov_b32_e32 v23, v12
	v_cmpx_gt_u32_e32 8, v29
; %bb.3118:                             ;   in Loop: Header=BB372_2076 Depth=1
	v_ffbh_u32_e32 v23, v12
	v_min_u32_e32 v26, 32, v23
	v_subrev_nc_u32_e32 v23, 28, v26
	v_lshlrev_b64 v[23:24], v23, v[12:13]
	v_sub_nc_u32_e32 v24, 29, v26
	v_and_b32_e32 v23, 7, v23
; %bb.3119:                             ;   in Loop: Header=BB372_2076 Depth=1
	s_or_b32 exec_lo, exec_lo, s21
	v_lshlrev_b32_sdwa v12, v115, v22 dst_sel:DWORD dst_unused:UNUSED_PAD src0_sel:DWORD src1_sel:WORD_1
	v_lshlrev_b32_e32 v23, 20, v23
	v_lshl_add_u32 v24, v24, 23, 0x3c000000
	v_and_b32_e32 v12, 0x80000000, v12
	v_or3_b32 v26, v23, v12, v24
.LBB372_3120:                           ;   in Loop: Header=BB372_2076 Depth=1
	s_or_b32 exec_lo, exec_lo, s20
.LBB372_3121:                           ;   in Loop: Header=BB372_2076 Depth=1
	s_or_b32 exec_lo, exec_lo, s19
.LBB372_3122:                           ;   in Loop: Header=BB372_2076 Depth=1
	s_or_b32 exec_lo, exec_lo, s18
	s_mov_b32 s18, exec_lo
	v_cmpx_lt_u64_e64 s[6:7], v[21:22]
	s_cbranch_execz .LBB372_3130
; %bb.3123:                             ;   in Loop: Header=BB372_2076 Depth=1
	v_cmp_ne_u32_sdwa s4, v22, v103 src0_sel:BYTE_3 src1_sel:DWORD
	v_bfrev_b32_e32 v25, 1
	s_and_saveexec_b32 s19, s4
	s_cbranch_execz .LBB372_3129
; %bb.3124:                             ;   in Loop: Header=BB372_2076 Depth=1
	v_bfe_u32 v29, v22, 24, 7
	v_mov_b32_e32 v25, 0x7f800001
	s_mov_b32 s20, exec_lo
	v_cmpx_ne_u32_e32 0x7f, v29
	s_cbranch_execz .LBB372_3128
; %bb.3125:                             ;   in Loop: Header=BB372_2076 Depth=1
	v_and_b32_sdwa v12, v22, v114 dst_sel:DWORD dst_unused:UNUSED_PAD src0_sel:BYTE_3 src1_sel:DWORD
	v_mov_b32_e32 v24, v13
	v_lshrrev_b32_e32 v21, 3, v29
	s_mov_b32 s21, exec_lo
	v_mov_b32_e32 v23, v12
	v_cmpx_gt_u32_e32 8, v29
; %bb.3126:                             ;   in Loop: Header=BB372_2076 Depth=1
	v_ffbh_u32_e32 v21, v12
	v_min_u32_e32 v21, 32, v21
	v_subrev_nc_u32_e32 v23, 28, v21
	v_sub_nc_u32_e32 v21, 29, v21
	v_lshlrev_b64 v[23:24], v23, v[12:13]
	v_and_b32_e32 v23, 7, v23
; %bb.3127:                             ;   in Loop: Header=BB372_2076 Depth=1
	s_or_b32 exec_lo, exec_lo, s21
	v_lshlrev_b32_sdwa v12, v115, v22 dst_sel:DWORD dst_unused:UNUSED_PAD src0_sel:DWORD src1_sel:BYTE_3
	v_lshlrev_b32_e32 v22, 20, v23
	v_lshl_add_u32 v21, v21, 23, 0x3c000000
	v_and_b32_e32 v12, 0x80000000, v12
	v_or3_b32 v25, v22, v12, v21
.LBB372_3128:                           ;   in Loop: Header=BB372_2076 Depth=1
	s_or_b32 exec_lo, exec_lo, s20
.LBB372_3129:                           ;   in Loop: Header=BB372_2076 Depth=1
	s_or_b32 exec_lo, exec_lo, s19
.LBB372_3130:                           ;   in Loop: Header=BB372_2076 Depth=1
	s_or_b32 exec_lo, exec_lo, s18
	v_mul_f32_e32 v12, v97, v28
	v_mul_f32_e32 v1, v97, v1
	;; [unrolled: 1-line block ×3, first 2 shown]
	v_bfe_u32 v21, v12, 16, 1
	v_or_b32_e32 v22, 0x400000, v12
	v_cmp_u_f32_e64 s4, v12, v12
	v_add3_u32 v21, v21, v12, 0x7fff
	v_cndmask_b32_e64 v12, v21, v22, s4
	v_lshrrev_b32_e32 v12, 16, v12
	buffer_store_dword v12, off, s[0:3], s32 offset:680 ; 4-byte Folded Spill
	v_mul_f32_e32 v12, v97, v27
	v_bfe_u32 v21, v12, 16, 1
	v_or_b32_e32 v22, 0x400000, v12
	v_cmp_u_f32_e64 s4, v12, v12
	v_add3_u32 v21, v21, v12, 0x7fff
	v_cndmask_b32_e64 v12, v21, v22, s4
	v_lshrrev_b32_e32 v12, 16, v12
	buffer_store_dword v12, off, s[0:3], s32 offset:684 ; 4-byte Folded Spill
	v_mul_f32_e32 v12, v97, v18
	;; [unrolled: 8-line block ×3, first 2 shown]
	v_bfe_u32 v17, v12, 16, 1
	v_or_b32_e32 v18, 0x400000, v12
	v_cmp_u_f32_e64 s4, v12, v12
	v_add3_u32 v17, v17, v12, 0x7fff
	v_cndmask_b32_e64 v12, v17, v18, s4
	v_or_b32_e32 v17, 0x400000, v1
	v_cmp_u_f32_e64 s4, v1, v1
	v_lshrrev_b32_e32 v12, 16, v12
	buffer_store_dword v12, off, s[0:3], s32 offset:692 ; 4-byte Folded Spill
	v_bfe_u32 v12, v1, 16, 1
	v_add3_u32 v12, v12, v1, 0x7fff
	v_cndmask_b32_e64 v1, v12, v17, s4
	v_or_b32_e32 v12, 0x400000, v0
	v_cmp_u_f32_e64 s4, v0, v0
	v_lshrrev_b32_e32 v1, 16, v1
	buffer_store_dword v1, off, s[0:3], s32 offset:696 ; 4-byte Folded Spill
	v_bfe_u32 v1, v0, 16, 1
	v_add3_u32 v1, v1, v0, 0x7fff
	v_cndmask_b32_e64 v0, v1, v12, s4
	v_lshrrev_b32_e32 v0, 16, v0
	buffer_store_dword v0, off, s[0:3], s32 offset:704 ; 4-byte Folded Spill
	v_mul_f32_e32 v0, v97, v26
	v_bfe_u32 v1, v0, 16, 1
	v_or_b32_e32 v12, 0x400000, v0
	v_cmp_u_f32_e64 s4, v0, v0
	v_add3_u32 v1, v1, v0, 0x7fff
	v_cndmask_b32_e64 v0, v1, v12, s4
	v_lshrrev_b32_e32 v0, 16, v0
	buffer_store_dword v0, off, s[0:3], s32 offset:700 ; 4-byte Folded Spill
	v_mul_f32_e32 v0, v97, v25
	v_bfe_u32 v1, v0, 16, 1
	v_or_b32_e32 v12, 0x400000, v0
	v_cmp_u_f32_e64 s4, v0, v0
	v_add3_u32 v1, v1, v0, 0x7fff
	v_cndmask_b32_e64 v0, v1, v12, s4
	v_lshrrev_b32_e32 v0, 16, v0
	buffer_store_dword v0, off, s[0:3], s32 offset:708 ; 4-byte Folded Spill
	s_and_saveexec_b32 s18, vcc_lo
	s_cbranch_execz .LBB372_3132
; %bb.3131:                             ;   in Loop: Header=BB372_2076 Depth=1
	s_clause 0x1
	buffer_load_dword v0, off, s[0:3], s32 offset:192
	buffer_load_dword v1, off, s[0:3], s32 offset:704
	s_waitcnt vmcnt(1)
	v_cmp_lt_i32_e64 s4, v124, v0
	s_waitcnt vmcnt(0)
	v_cndmask_b32_e64 v1, 0, v1, s4
	v_cmp_lt_i32_e64 s4, v11, v0
	buffer_store_dword v1, off, s[0:3], s32 offset:704 ; 4-byte Folded Spill
	buffer_load_dword v1, off, s[0:3], s32 offset:696 ; 4-byte Folded Reload
	s_waitcnt vmcnt(0)
	v_cndmask_b32_e64 v1, 0, v1, s4
	v_cmp_lt_i32_e64 s4, v10, v0
	buffer_store_dword v1, off, s[0:3], s32 offset:696 ; 4-byte Folded Spill
	buffer_load_dword v1, off, s[0:3], s32 offset:692 ; 4-byte Folded Reload
	;; [unrolled: 5-line block ×6, first 2 shown]
	s_waitcnt vmcnt(0)
	v_cndmask_b32_e64 v1, 0, v1, s4
	v_cmp_lt_i32_e64 s4, v65, v0
	buffer_load_dword v0, off, s[0:3], s32 offset:708 ; 4-byte Folded Reload
	buffer_store_dword v1, off, s[0:3], s32 offset:700 ; 4-byte Folded Spill
	s_waitcnt vmcnt(0)
	v_cndmask_b32_e64 v0, 0, v0, s4
	buffer_store_dword v0, off, s[0:3], s32 offset:708 ; 4-byte Folded Spill
.LBB372_3132:                           ;   in Loop: Header=BB372_2076 Depth=1
	s_or_b32 exec_lo, exec_lo, s18
	v_add_co_u32 v21, s4, 0x1000, v19
	v_add_co_ci_u32_e64 v22, null, 0, v20, s4
	v_mov_b32_e32 v1, 0
	v_mov_b32_e32 v0, 0
	flat_load_dwordx2 v[23:24], v[21:22]
	s_waitcnt vmcnt(0) lgkmcnt(0)
	v_cmp_ne_u16_sdwa s4, v23, v13 src0_sel:BYTE_0 src1_sel:DWORD
	s_and_saveexec_b32 s18, s4
	s_cbranch_execz .LBB372_3140
; %bb.3133:                             ;   in Loop: Header=BB372_2076 Depth=1
	v_cmp_ne_u16_sdwa s4, v23, v103 src0_sel:BYTE_0 src1_sel:DWORD
	v_bfrev_b32_e32 v0, 1
	s_and_saveexec_b32 s19, s4
	s_cbranch_execz .LBB372_3139
; %bb.3134:                             ;   in Loop: Header=BB372_2076 Depth=1
	v_and_b32_e32 v12, 0x7f, v23
	v_mov_b32_e32 v0, 0x7f800001
	s_mov_b32 s20, exec_lo
	v_cmpx_ne_u32_e32 0x7f, v12
	s_cbranch_execz .LBB372_3138
; %bb.3135:                             ;   in Loop: Header=BB372_2076 Depth=1
	v_mov_b32_e32 v26, v24
	v_lshrrev_b32_e32 v0, 3, v12
	v_mov_b32_e32 v25, v23
	s_mov_b32 s21, exec_lo
	v_cmpx_gt_u32_e32 8, v12
; %bb.3136:                             ;   in Loop: Header=BB372_2076 Depth=1
	v_and_b32_e32 v0, 7, v23
	v_ffbh_u32_e32 v0, v0
	v_min_u32_e32 v0, 32, v0
	v_subrev_nc_u32_e32 v12, 28, v0
	v_sub_nc_u32_e32 v0, 29, v0
	v_lshlrev_b64 v[25:26], v12, v[23:24]
; %bb.3137:                             ;   in Loop: Header=BB372_2076 Depth=1
	s_or_b32 exec_lo, exec_lo, s21
	v_lshlrev_b32_e32 v12, 20, v25
	v_lshlrev_b32_e32 v17, 24, v23
	v_lshl_add_u32 v0, v0, 23, 0x3c000000
	v_and_b32_e32 v12, 0x700000, v12
	v_and_b32_e32 v17, 0x80000000, v17
	v_or3_b32 v0, v12, v17, v0
.LBB372_3138:                           ;   in Loop: Header=BB372_2076 Depth=1
	s_or_b32 exec_lo, exec_lo, s20
.LBB372_3139:                           ;   in Loop: Header=BB372_2076 Depth=1
	s_or_b32 exec_lo, exec_lo, s19
.LBB372_3140:                           ;   in Loop: Header=BB372_2076 Depth=1
	s_or_b32 exec_lo, exec_lo, s18
	v_cmp_ne_u16_sdwa s4, v23, v13 src0_sel:BYTE_1 src1_sel:DWORD
	s_and_saveexec_b32 s18, s4
	s_cbranch_execz .LBB372_3148
; %bb.3141:                             ;   in Loop: Header=BB372_2076 Depth=1
	v_cmp_ne_u16_sdwa s4, v23, v103 src0_sel:BYTE_1 src1_sel:DWORD
	v_bfrev_b32_e32 v1, 1
	s_and_saveexec_b32 s19, s4
	s_cbranch_execz .LBB372_3147
; %bb.3142:                             ;   in Loop: Header=BB372_2076 Depth=1
	v_mov_b32_e32 v1, 0xffff
	s_mov_b32 s20, exec_lo
	v_and_b32_sdwa v12, v1, v23 dst_sel:DWORD dst_unused:UNUSED_PAD src0_sel:DWORD src1_sel:BYTE_1
	v_mov_b32_e32 v1, 0x7f800001
	v_and_b32_e32 v17, 0x7f, v12
	v_cmpx_ne_u32_e32 0x7f, v17
	s_cbranch_execz .LBB372_3146
; %bb.3143:                             ;   in Loop: Header=BB372_2076 Depth=1
	v_and_b32_e32 v12, 7, v12
	v_mov_b32_e32 v26, v13
	v_lshrrev_b32_e32 v1, 3, v17
	s_mov_b32 s21, exec_lo
	v_mov_b32_e32 v25, v12
	v_cmpx_gt_u32_e32 8, v17
; %bb.3144:                             ;   in Loop: Header=BB372_2076 Depth=1
	v_ffbh_u32_e32 v1, v12
	v_min_u32_e32 v1, 32, v1
	v_subrev_nc_u32_e32 v17, 28, v1
	v_sub_nc_u32_e32 v1, 29, v1
	v_lshlrev_b64 v[17:18], v17, v[12:13]
	v_and_b32_e32 v25, 7, v17
; %bb.3145:                             ;   in Loop: Header=BB372_2076 Depth=1
	s_or_b32 exec_lo, exec_lo, s21
	v_lshlrev_b32_e32 v12, 16, v23
	v_lshlrev_b32_e32 v17, 20, v25
	v_lshl_add_u32 v1, v1, 23, 0x3c000000
	v_and_b32_e32 v12, 0x80000000, v12
	v_or3_b32 v1, v17, v12, v1
.LBB372_3146:                           ;   in Loop: Header=BB372_2076 Depth=1
	s_or_b32 exec_lo, exec_lo, s20
.LBB372_3147:                           ;   in Loop: Header=BB372_2076 Depth=1
	s_or_b32 exec_lo, exec_lo, s19
.LBB372_3148:                           ;   in Loop: Header=BB372_2076 Depth=1
	s_or_b32 exec_lo, exec_lo, s18
	v_and_b32_sdwa v12, v23, v113 dst_sel:DWORD dst_unused:UNUSED_PAD src0_sel:WORD_1 src1_sel:DWORD
	v_mov_b32_e32 v18, 0
	v_mov_b32_e32 v17, 0
	s_mov_b32 s18, exec_lo
	v_cmpx_ne_u16_e32 0, v12
	s_cbranch_execz .LBB372_3156
; %bb.3149:                             ;   in Loop: Header=BB372_2076 Depth=1
	v_bfrev_b32_e32 v17, 1
	s_mov_b32 s19, exec_lo
	v_cmpx_ne_u16_e32 0x80, v12
	s_cbranch_execz .LBB372_3155
; %bb.3150:                             ;   in Loop: Header=BB372_2076 Depth=1
	v_bfe_u32 v27, v23, 16, 7
	v_mov_b32_e32 v17, 0x7f800001
	s_mov_b32 s20, exec_lo
	v_cmpx_ne_u32_e32 0x7f, v27
	s_cbranch_execz .LBB372_3154
; %bb.3151:                             ;   in Loop: Header=BB372_2076 Depth=1
	v_and_b32_sdwa v12, v23, v114 dst_sel:DWORD dst_unused:UNUSED_PAD src0_sel:WORD_1 src1_sel:DWORD
	v_mov_b32_e32 v26, v13
	v_lshrrev_b32_e32 v17, 3, v27
	s_mov_b32 s21, exec_lo
	v_mov_b32_e32 v25, v12
	v_cmpx_gt_u32_e32 8, v27
; %bb.3152:                             ;   in Loop: Header=BB372_2076 Depth=1
	v_ffbh_u32_e32 v17, v12
	v_min_u32_e32 v17, 32, v17
	v_subrev_nc_u32_e32 v25, 28, v17
	v_sub_nc_u32_e32 v17, 29, v17
	v_lshlrev_b64 v[25:26], v25, v[12:13]
	v_and_b32_e32 v25, 7, v25
; %bb.3153:                             ;   in Loop: Header=BB372_2076 Depth=1
	s_or_b32 exec_lo, exec_lo, s21
	v_lshlrev_b32_sdwa v12, v115, v23 dst_sel:DWORD dst_unused:UNUSED_PAD src0_sel:DWORD src1_sel:WORD_1
	v_lshlrev_b32_e32 v25, 20, v25
	v_lshl_add_u32 v17, v17, 23, 0x3c000000
	v_and_b32_e32 v12, 0x80000000, v12
	v_or3_b32 v17, v25, v12, v17
.LBB372_3154:                           ;   in Loop: Header=BB372_2076 Depth=1
	s_or_b32 exec_lo, exec_lo, s20
.LBB372_3155:                           ;   in Loop: Header=BB372_2076 Depth=1
	s_or_b32 exec_lo, exec_lo, s19
.LBB372_3156:                           ;   in Loop: Header=BB372_2076 Depth=1
	s_or_b32 exec_lo, exec_lo, s18
	s_mov_b32 s18, exec_lo
	v_cmpx_lt_u32_e32 0xffffff, v23
	s_cbranch_execz .LBB372_3164
; %bb.3157:                             ;   in Loop: Header=BB372_2076 Depth=1
	v_cmp_ne_u32_sdwa s4, v23, v103 src0_sel:BYTE_3 src1_sel:DWORD
	v_bfrev_b32_e32 v18, 1
	s_and_saveexec_b32 s19, s4
	s_cbranch_execz .LBB372_3163
; %bb.3158:                             ;   in Loop: Header=BB372_2076 Depth=1
	v_bfe_u32 v27, v23, 24, 7
	v_mov_b32_e32 v18, 0x7f800001
	s_mov_b32 s20, exec_lo
	v_cmpx_ne_u32_e32 0x7f, v27
	s_cbranch_execz .LBB372_3162
; %bb.3159:                             ;   in Loop: Header=BB372_2076 Depth=1
	v_and_b32_sdwa v12, v23, v114 dst_sel:DWORD dst_unused:UNUSED_PAD src0_sel:BYTE_3 src1_sel:DWORD
	v_mov_b32_e32 v26, v13
	v_lshrrev_b32_e32 v18, 3, v27
	s_mov_b32 s21, exec_lo
	v_mov_b32_e32 v25, v12
	v_cmpx_gt_u32_e32 8, v27
; %bb.3160:                             ;   in Loop: Header=BB372_2076 Depth=1
	v_ffbh_u32_e32 v18, v12
	v_min_u32_e32 v18, 32, v18
	v_subrev_nc_u32_e32 v25, 28, v18
	v_sub_nc_u32_e32 v18, 29, v18
	v_lshlrev_b64 v[25:26], v25, v[12:13]
	v_and_b32_e32 v25, 7, v25
; %bb.3161:                             ;   in Loop: Header=BB372_2076 Depth=1
	s_or_b32 exec_lo, exec_lo, s21
	v_lshlrev_b32_sdwa v12, v115, v23 dst_sel:DWORD dst_unused:UNUSED_PAD src0_sel:DWORD src1_sel:BYTE_3
	v_lshlrev_b32_e32 v25, 20, v25
	v_lshl_add_u32 v18, v18, 23, 0x3c000000
	v_and_b32_e32 v12, 0x80000000, v12
	v_or3_b32 v18, v25, v12, v18
.LBB372_3162:                           ;   in Loop: Header=BB372_2076 Depth=1
	s_or_b32 exec_lo, exec_lo, s20
.LBB372_3163:                           ;   in Loop: Header=BB372_2076 Depth=1
	s_or_b32 exec_lo, exec_lo, s19
.LBB372_3164:                           ;   in Loop: Header=BB372_2076 Depth=1
	s_or_b32 exec_lo, exec_lo, s18
	v_mov_b32_e32 v12, v24
	v_cmp_ne_u16_sdwa s4, v24, v13 src0_sel:BYTE_0 src1_sel:DWORD
	v_mov_b32_e32 v30, 0
	v_mov_b32_e32 v29, 0
	s_and_saveexec_b32 s18, s4
	s_cbranch_execz .LBB372_3172
; %bb.3165:                             ;   in Loop: Header=BB372_2076 Depth=1
	v_cmp_ne_u16_sdwa s4, v24, v103 src0_sel:BYTE_0 src1_sel:DWORD
	v_bfrev_b32_e32 v29, 1
	s_and_saveexec_b32 s19, s4
	s_cbranch_execz .LBB372_3171
; %bb.3166:                             ;   in Loop: Header=BB372_2076 Depth=1
	v_and_b32_e32 v27, 0x7f, v24
	v_mov_b32_e32 v29, 0x7f800001
	s_mov_b32 s20, exec_lo
	v_cmpx_ne_u32_e32 0x7f, v27
	s_cbranch_execz .LBB372_3170
; %bb.3167:                             ;   in Loop: Header=BB372_2076 Depth=1
	v_mov_b32_e32 v26, v13
	v_mov_b32_e32 v25, v12
	v_lshrrev_b32_e32 v26, 3, v27
	s_mov_b32 s21, exec_lo
	v_cmpx_gt_u32_e32 8, v27
; %bb.3168:                             ;   in Loop: Header=BB372_2076 Depth=1
	v_and_b32_e32 v25, 7, v24
	v_ffbh_u32_e32 v25, v25
	v_min_u32_e32 v27, 32, v25
	v_subrev_nc_u32_e32 v25, 28, v27
	v_lshlrev_b64 v[25:26], v25, v[12:13]
	v_sub_nc_u32_e32 v26, 29, v27
; %bb.3169:                             ;   in Loop: Header=BB372_2076 Depth=1
	s_or_b32 exec_lo, exec_lo, s21
	v_lshlrev_b32_e32 v25, 20, v25
	v_lshlrev_b32_e32 v27, 24, v12
	v_lshl_add_u32 v26, v26, 23, 0x3c000000
	v_and_b32_e32 v25, 0x700000, v25
	v_and_b32_e32 v27, 0x80000000, v27
	v_or3_b32 v29, v25, v27, v26
.LBB372_3170:                           ;   in Loop: Header=BB372_2076 Depth=1
	s_or_b32 exec_lo, exec_lo, s20
.LBB372_3171:                           ;   in Loop: Header=BB372_2076 Depth=1
	s_or_b32 exec_lo, exec_lo, s19
.LBB372_3172:                           ;   in Loop: Header=BB372_2076 Depth=1
	s_or_b32 exec_lo, exec_lo, s18
	v_cmp_ne_u16_sdwa s4, v12, v13 src0_sel:BYTE_1 src1_sel:DWORD
	s_and_saveexec_b32 s18, s4
	s_cbranch_execz .LBB372_3180
; %bb.3173:                             ;   in Loop: Header=BB372_2076 Depth=1
	v_cmp_ne_u16_sdwa s4, v12, v103 src0_sel:BYTE_1 src1_sel:DWORD
	v_bfrev_b32_e32 v30, 1
	s_and_saveexec_b32 s19, s4
	s_cbranch_execz .LBB372_3179
; %bb.3174:                             ;   in Loop: Header=BB372_2076 Depth=1
	v_mov_b32_e32 v25, 0xffff
	v_mov_b32_e32 v30, 0x7f800001
	s_mov_b32 s20, exec_lo
	v_and_b32_sdwa v25, v25, v12 dst_sel:DWORD dst_unused:UNUSED_PAD src0_sel:DWORD src1_sel:BYTE_1
	v_and_b32_e32 v28, 0x7f, v25
	v_cmpx_ne_u32_e32 0x7f, v28
	s_cbranch_execz .LBB372_3178
; %bb.3175:                             ;   in Loop: Header=BB372_2076 Depth=1
	v_and_b32_e32 v25, 7, v25
	v_mov_b32_e32 v26, v13
	v_lshrrev_b32_e32 v27, 3, v28
	s_mov_b32 s21, exec_lo
	v_cmpx_gt_u32_e32 8, v28
; %bb.3176:                             ;   in Loop: Header=BB372_2076 Depth=1
	v_ffbh_u32_e32 v27, v25
	v_min_u32_e32 v27, 32, v27
	v_subrev_nc_u32_e32 v28, 28, v27
	v_sub_nc_u32_e32 v27, 29, v27
	v_lshlrev_b64 v[25:26], v28, v[25:26]
	v_and_b32_e32 v25, 7, v25
; %bb.3177:                             ;   in Loop: Header=BB372_2076 Depth=1
	s_or_b32 exec_lo, exec_lo, s21
	v_lshlrev_b32_e32 v12, 16, v12
	v_lshlrev_b32_e32 v25, 20, v25
	v_lshl_add_u32 v26, v27, 23, 0x3c000000
	v_and_b32_e32 v12, 0x80000000, v12
	v_or3_b32 v30, v25, v12, v26
.LBB372_3178:                           ;   in Loop: Header=BB372_2076 Depth=1
	s_or_b32 exec_lo, exec_lo, s20
.LBB372_3179:                           ;   in Loop: Header=BB372_2076 Depth=1
	s_or_b32 exec_lo, exec_lo, s19
.LBB372_3180:                           ;   in Loop: Header=BB372_2076 Depth=1
	s_or_b32 exec_lo, exec_lo, s18
	v_and_b32_sdwa v12, v24, v113 dst_sel:DWORD dst_unused:UNUSED_PAD src0_sel:WORD_1 src1_sel:DWORD
	v_mov_b32_e32 v27, 0
	v_mov_b32_e32 v28, 0
	s_mov_b32 s18, exec_lo
	v_cmpx_ne_u16_e32 0, v12
	s_cbranch_execz .LBB372_3188
; %bb.3181:                             ;   in Loop: Header=BB372_2076 Depth=1
	v_bfrev_b32_e32 v28, 1
	s_mov_b32 s19, exec_lo
	v_cmpx_ne_u16_e32 0x80, v12
	s_cbranch_execz .LBB372_3187
; %bb.3182:                             ;   in Loop: Header=BB372_2076 Depth=1
	v_bfe_u32 v31, v24, 16, 7
	v_mov_b32_e32 v28, 0x7f800001
	s_mov_b32 s20, exec_lo
	v_cmpx_ne_u32_e32 0x7f, v31
	s_cbranch_execz .LBB372_3186
; %bb.3183:                             ;   in Loop: Header=BB372_2076 Depth=1
	v_and_b32_sdwa v12, v24, v114 dst_sel:DWORD dst_unused:UNUSED_PAD src0_sel:WORD_1 src1_sel:DWORD
	v_mov_b32_e32 v26, v13
	v_lshrrev_b32_e32 v26, 3, v31
	s_mov_b32 s21, exec_lo
	v_mov_b32_e32 v25, v12
	v_cmpx_gt_u32_e32 8, v31
; %bb.3184:                             ;   in Loop: Header=BB372_2076 Depth=1
	v_ffbh_u32_e32 v25, v12
	v_min_u32_e32 v28, 32, v25
	v_subrev_nc_u32_e32 v25, 28, v28
	v_lshlrev_b64 v[25:26], v25, v[12:13]
	v_sub_nc_u32_e32 v26, 29, v28
	v_and_b32_e32 v25, 7, v25
; %bb.3185:                             ;   in Loop: Header=BB372_2076 Depth=1
	s_or_b32 exec_lo, exec_lo, s21
	v_lshlrev_b32_sdwa v12, v115, v24 dst_sel:DWORD dst_unused:UNUSED_PAD src0_sel:DWORD src1_sel:WORD_1
	v_lshlrev_b32_e32 v25, 20, v25
	v_lshl_add_u32 v26, v26, 23, 0x3c000000
	v_and_b32_e32 v12, 0x80000000, v12
	v_or3_b32 v28, v25, v12, v26
.LBB372_3186:                           ;   in Loop: Header=BB372_2076 Depth=1
	s_or_b32 exec_lo, exec_lo, s20
.LBB372_3187:                           ;   in Loop: Header=BB372_2076 Depth=1
	s_or_b32 exec_lo, exec_lo, s19
.LBB372_3188:                           ;   in Loop: Header=BB372_2076 Depth=1
	s_or_b32 exec_lo, exec_lo, s18
	s_mov_b32 s18, exec_lo
	v_cmpx_lt_u64_e64 s[6:7], v[23:24]
	s_cbranch_execz .LBB372_3196
; %bb.3189:                             ;   in Loop: Header=BB372_2076 Depth=1
	v_cmp_ne_u32_sdwa s4, v24, v103 src0_sel:BYTE_3 src1_sel:DWORD
	v_bfrev_b32_e32 v27, 1
	s_and_saveexec_b32 s19, s4
	s_cbranch_execz .LBB372_3195
; %bb.3190:                             ;   in Loop: Header=BB372_2076 Depth=1
	v_bfe_u32 v31, v24, 24, 7
	v_mov_b32_e32 v27, 0x7f800001
	s_mov_b32 s20, exec_lo
	v_cmpx_ne_u32_e32 0x7f, v31
	s_cbranch_execz .LBB372_3194
; %bb.3191:                             ;   in Loop: Header=BB372_2076 Depth=1
	v_and_b32_sdwa v12, v24, v114 dst_sel:DWORD dst_unused:UNUSED_PAD src0_sel:BYTE_3 src1_sel:DWORD
	v_mov_b32_e32 v26, v13
	v_lshrrev_b32_e32 v23, 3, v31
	s_mov_b32 s21, exec_lo
	v_mov_b32_e32 v25, v12
	v_cmpx_gt_u32_e32 8, v31
; %bb.3192:                             ;   in Loop: Header=BB372_2076 Depth=1
	v_ffbh_u32_e32 v23, v12
	v_min_u32_e32 v23, 32, v23
	v_subrev_nc_u32_e32 v25, 28, v23
	v_sub_nc_u32_e32 v23, 29, v23
	v_lshlrev_b64 v[25:26], v25, v[12:13]
	v_and_b32_e32 v25, 7, v25
; %bb.3193:                             ;   in Loop: Header=BB372_2076 Depth=1
	s_or_b32 exec_lo, exec_lo, s21
	v_lshlrev_b32_sdwa v12, v115, v24 dst_sel:DWORD dst_unused:UNUSED_PAD src0_sel:DWORD src1_sel:BYTE_3
	v_lshlrev_b32_e32 v24, 20, v25
	v_lshl_add_u32 v23, v23, 23, 0x3c000000
	v_and_b32_e32 v12, 0x80000000, v12
	v_or3_b32 v27, v24, v12, v23
.LBB372_3194:                           ;   in Loop: Header=BB372_2076 Depth=1
	s_or_b32 exec_lo, exec_lo, s20
.LBB372_3195:                           ;   in Loop: Header=BB372_2076 Depth=1
	s_or_b32 exec_lo, exec_lo, s19
.LBB372_3196:                           ;   in Loop: Header=BB372_2076 Depth=1
	s_or_b32 exec_lo, exec_lo, s18
	v_mul_f32_e32 v12, v97, v30
	v_mul_f32_e32 v1, v97, v1
	;; [unrolled: 1-line block ×3, first 2 shown]
	v_bfe_u32 v23, v12, 16, 1
	v_or_b32_e32 v24, 0x400000, v12
	v_cmp_u_f32_e64 s4, v12, v12
	v_add3_u32 v23, v23, v12, 0x7fff
	v_cndmask_b32_e64 v12, v23, v24, s4
	v_lshrrev_b32_e32 v12, 16, v12
	buffer_store_dword v12, off, s[0:3], s32 offset:712 ; 4-byte Folded Spill
	v_mul_f32_e32 v12, v97, v29
	v_bfe_u32 v23, v12, 16, 1
	v_or_b32_e32 v24, 0x400000, v12
	v_cmp_u_f32_e64 s4, v12, v12
	v_add3_u32 v23, v23, v12, 0x7fff
	v_cndmask_b32_e64 v12, v23, v24, s4
	v_lshrrev_b32_e32 v12, 16, v12
	buffer_store_dword v12, off, s[0:3], s32 offset:716 ; 4-byte Folded Spill
	v_mul_f32_e32 v12, v97, v18
	;; [unrolled: 8-line block ×3, first 2 shown]
	v_bfe_u32 v17, v12, 16, 1
	v_or_b32_e32 v18, 0x400000, v12
	v_cmp_u_f32_e64 s4, v12, v12
	v_add3_u32 v17, v17, v12, 0x7fff
	v_cndmask_b32_e64 v12, v17, v18, s4
	v_or_b32_e32 v17, 0x400000, v1
	v_cmp_u_f32_e64 s4, v1, v1
	v_lshrrev_b32_e32 v12, 16, v12
	buffer_store_dword v12, off, s[0:3], s32 offset:724 ; 4-byte Folded Spill
	v_bfe_u32 v12, v1, 16, 1
	v_add3_u32 v12, v12, v1, 0x7fff
	v_cndmask_b32_e64 v1, v12, v17, s4
	v_or_b32_e32 v12, 0x400000, v0
	v_cmp_u_f32_e64 s4, v0, v0
	v_lshrrev_b32_e32 v1, 16, v1
	buffer_store_dword v1, off, s[0:3], s32 offset:728 ; 4-byte Folded Spill
	v_bfe_u32 v1, v0, 16, 1
	v_add3_u32 v1, v1, v0, 0x7fff
	v_cndmask_b32_e64 v0, v1, v12, s4
	v_lshrrev_b32_e32 v0, 16, v0
	buffer_store_dword v0, off, s[0:3], s32 offset:736 ; 4-byte Folded Spill
	v_mul_f32_e32 v0, v97, v28
	v_bfe_u32 v1, v0, 16, 1
	v_or_b32_e32 v12, 0x400000, v0
	v_cmp_u_f32_e64 s4, v0, v0
	v_add3_u32 v1, v1, v0, 0x7fff
	v_cndmask_b32_e64 v0, v1, v12, s4
	v_lshrrev_b32_e32 v0, 16, v0
	buffer_store_dword v0, off, s[0:3], s32 offset:732 ; 4-byte Folded Spill
	v_mul_f32_e32 v0, v97, v27
	v_bfe_u32 v1, v0, 16, 1
	v_or_b32_e32 v12, 0x400000, v0
	v_cmp_u_f32_e64 s4, v0, v0
	v_add3_u32 v1, v1, v0, 0x7fff
	v_cndmask_b32_e64 v0, v1, v12, s4
	v_lshrrev_b32_e32 v0, 16, v0
	buffer_store_dword v0, off, s[0:3], s32 offset:740 ; 4-byte Folded Spill
	s_and_saveexec_b32 s18, vcc_lo
	s_cbranch_execz .LBB372_3198
; %bb.3197:                             ;   in Loop: Header=BB372_2076 Depth=1
	s_clause 0x1
	buffer_load_dword v0, off, s[0:3], s32 offset:192
	buffer_load_dword v1, off, s[0:3], s32 offset:736
	s_waitcnt vmcnt(1)
	v_cmp_lt_i32_e64 s4, v124, v0
	s_waitcnt vmcnt(0)
	v_cndmask_b32_e64 v1, 0, v1, s4
	v_cmp_lt_i32_e64 s4, v11, v0
	buffer_store_dword v1, off, s[0:3], s32 offset:736 ; 4-byte Folded Spill
	buffer_load_dword v1, off, s[0:3], s32 offset:728 ; 4-byte Folded Reload
	s_waitcnt vmcnt(0)
	v_cndmask_b32_e64 v1, 0, v1, s4
	v_cmp_lt_i32_e64 s4, v10, v0
	buffer_store_dword v1, off, s[0:3], s32 offset:728 ; 4-byte Folded Spill
	buffer_load_dword v1, off, s[0:3], s32 offset:724 ; 4-byte Folded Reload
	;; [unrolled: 5-line block ×6, first 2 shown]
	s_waitcnt vmcnt(0)
	v_cndmask_b32_e64 v1, 0, v1, s4
	v_cmp_lt_i32_e64 s4, v65, v0
	buffer_load_dword v0, off, s[0:3], s32 offset:740 ; 4-byte Folded Reload
	buffer_store_dword v1, off, s[0:3], s32 offset:732 ; 4-byte Folded Spill
	s_waitcnt vmcnt(0)
	v_cndmask_b32_e64 v0, 0, v0, s4
	buffer_store_dword v0, off, s[0:3], s32 offset:740 ; 4-byte Folded Spill
.LBB372_3198:                           ;   in Loop: Header=BB372_2076 Depth=1
	s_or_b32 exec_lo, exec_lo, s18
	flat_load_dwordx2 v[23:24], v[21:22] offset:256
	v_mov_b32_e32 v1, 0
	v_mov_b32_e32 v0, 0
	s_waitcnt vmcnt(0) lgkmcnt(0)
	v_cmp_ne_u16_sdwa s4, v23, v13 src0_sel:BYTE_0 src1_sel:DWORD
	s_and_saveexec_b32 s18, s4
	s_cbranch_execz .LBB372_3206
; %bb.3199:                             ;   in Loop: Header=BB372_2076 Depth=1
	v_cmp_ne_u16_sdwa s4, v23, v103 src0_sel:BYTE_0 src1_sel:DWORD
	v_bfrev_b32_e32 v0, 1
	s_and_saveexec_b32 s19, s4
	s_cbranch_execz .LBB372_3205
; %bb.3200:                             ;   in Loop: Header=BB372_2076 Depth=1
	v_and_b32_e32 v12, 0x7f, v23
	v_mov_b32_e32 v0, 0x7f800001
	s_mov_b32 s20, exec_lo
	v_cmpx_ne_u32_e32 0x7f, v12
	s_cbranch_execz .LBB372_3204
; %bb.3201:                             ;   in Loop: Header=BB372_2076 Depth=1
	v_mov_b32_e32 v26, v24
	v_lshrrev_b32_e32 v0, 3, v12
	v_mov_b32_e32 v25, v23
	s_mov_b32 s21, exec_lo
	v_cmpx_gt_u32_e32 8, v12
; %bb.3202:                             ;   in Loop: Header=BB372_2076 Depth=1
	v_and_b32_e32 v0, 7, v23
	v_ffbh_u32_e32 v0, v0
	v_min_u32_e32 v0, 32, v0
	v_subrev_nc_u32_e32 v12, 28, v0
	v_sub_nc_u32_e32 v0, 29, v0
	v_lshlrev_b64 v[25:26], v12, v[23:24]
; %bb.3203:                             ;   in Loop: Header=BB372_2076 Depth=1
	s_or_b32 exec_lo, exec_lo, s21
	v_lshlrev_b32_e32 v12, 20, v25
	v_lshlrev_b32_e32 v17, 24, v23
	v_lshl_add_u32 v0, v0, 23, 0x3c000000
	v_and_b32_e32 v12, 0x700000, v12
	v_and_b32_e32 v17, 0x80000000, v17
	v_or3_b32 v0, v12, v17, v0
.LBB372_3204:                           ;   in Loop: Header=BB372_2076 Depth=1
	s_or_b32 exec_lo, exec_lo, s20
.LBB372_3205:                           ;   in Loop: Header=BB372_2076 Depth=1
	s_or_b32 exec_lo, exec_lo, s19
.LBB372_3206:                           ;   in Loop: Header=BB372_2076 Depth=1
	s_or_b32 exec_lo, exec_lo, s18
	v_cmp_ne_u16_sdwa s4, v23, v13 src0_sel:BYTE_1 src1_sel:DWORD
	s_and_saveexec_b32 s18, s4
	s_cbranch_execz .LBB372_3214
; %bb.3207:                             ;   in Loop: Header=BB372_2076 Depth=1
	v_cmp_ne_u16_sdwa s4, v23, v103 src0_sel:BYTE_1 src1_sel:DWORD
	v_bfrev_b32_e32 v1, 1
	s_and_saveexec_b32 s19, s4
	s_cbranch_execz .LBB372_3213
; %bb.3208:                             ;   in Loop: Header=BB372_2076 Depth=1
	v_mov_b32_e32 v1, 0xffff
	s_mov_b32 s20, exec_lo
	v_and_b32_sdwa v12, v1, v23 dst_sel:DWORD dst_unused:UNUSED_PAD src0_sel:DWORD src1_sel:BYTE_1
	v_mov_b32_e32 v1, 0x7f800001
	v_and_b32_e32 v17, 0x7f, v12
	v_cmpx_ne_u32_e32 0x7f, v17
	s_cbranch_execz .LBB372_3212
; %bb.3209:                             ;   in Loop: Header=BB372_2076 Depth=1
	v_and_b32_e32 v12, 7, v12
	v_mov_b32_e32 v26, v13
	v_lshrrev_b32_e32 v1, 3, v17
	s_mov_b32 s21, exec_lo
	v_mov_b32_e32 v25, v12
	v_cmpx_gt_u32_e32 8, v17
; %bb.3210:                             ;   in Loop: Header=BB372_2076 Depth=1
	v_ffbh_u32_e32 v1, v12
	v_min_u32_e32 v1, 32, v1
	v_subrev_nc_u32_e32 v17, 28, v1
	v_sub_nc_u32_e32 v1, 29, v1
	v_lshlrev_b64 v[17:18], v17, v[12:13]
	v_and_b32_e32 v25, 7, v17
; %bb.3211:                             ;   in Loop: Header=BB372_2076 Depth=1
	s_or_b32 exec_lo, exec_lo, s21
	v_lshlrev_b32_e32 v12, 16, v23
	v_lshlrev_b32_e32 v17, 20, v25
	v_lshl_add_u32 v1, v1, 23, 0x3c000000
	v_and_b32_e32 v12, 0x80000000, v12
	v_or3_b32 v1, v17, v12, v1
.LBB372_3212:                           ;   in Loop: Header=BB372_2076 Depth=1
	s_or_b32 exec_lo, exec_lo, s20
.LBB372_3213:                           ;   in Loop: Header=BB372_2076 Depth=1
	s_or_b32 exec_lo, exec_lo, s19
.LBB372_3214:                           ;   in Loop: Header=BB372_2076 Depth=1
	s_or_b32 exec_lo, exec_lo, s18
	v_and_b32_sdwa v12, v23, v113 dst_sel:DWORD dst_unused:UNUSED_PAD src0_sel:WORD_1 src1_sel:DWORD
	v_mov_b32_e32 v18, 0
	v_mov_b32_e32 v17, 0
	s_mov_b32 s18, exec_lo
	v_cmpx_ne_u16_e32 0, v12
	s_cbranch_execz .LBB372_3222
; %bb.3215:                             ;   in Loop: Header=BB372_2076 Depth=1
	v_bfrev_b32_e32 v17, 1
	s_mov_b32 s19, exec_lo
	v_cmpx_ne_u16_e32 0x80, v12
	s_cbranch_execz .LBB372_3221
; %bb.3216:                             ;   in Loop: Header=BB372_2076 Depth=1
	v_bfe_u32 v27, v23, 16, 7
	v_mov_b32_e32 v17, 0x7f800001
	s_mov_b32 s20, exec_lo
	v_cmpx_ne_u32_e32 0x7f, v27
	s_cbranch_execz .LBB372_3220
; %bb.3217:                             ;   in Loop: Header=BB372_2076 Depth=1
	v_and_b32_sdwa v12, v23, v114 dst_sel:DWORD dst_unused:UNUSED_PAD src0_sel:WORD_1 src1_sel:DWORD
	v_mov_b32_e32 v26, v13
	v_lshrrev_b32_e32 v17, 3, v27
	s_mov_b32 s21, exec_lo
	v_mov_b32_e32 v25, v12
	v_cmpx_gt_u32_e32 8, v27
; %bb.3218:                             ;   in Loop: Header=BB372_2076 Depth=1
	v_ffbh_u32_e32 v17, v12
	v_min_u32_e32 v17, 32, v17
	v_subrev_nc_u32_e32 v25, 28, v17
	v_sub_nc_u32_e32 v17, 29, v17
	v_lshlrev_b64 v[25:26], v25, v[12:13]
	v_and_b32_e32 v25, 7, v25
; %bb.3219:                             ;   in Loop: Header=BB372_2076 Depth=1
	s_or_b32 exec_lo, exec_lo, s21
	v_lshlrev_b32_sdwa v12, v115, v23 dst_sel:DWORD dst_unused:UNUSED_PAD src0_sel:DWORD src1_sel:WORD_1
	v_lshlrev_b32_e32 v25, 20, v25
	v_lshl_add_u32 v17, v17, 23, 0x3c000000
	v_and_b32_e32 v12, 0x80000000, v12
	v_or3_b32 v17, v25, v12, v17
.LBB372_3220:                           ;   in Loop: Header=BB372_2076 Depth=1
	s_or_b32 exec_lo, exec_lo, s20
.LBB372_3221:                           ;   in Loop: Header=BB372_2076 Depth=1
	s_or_b32 exec_lo, exec_lo, s19
.LBB372_3222:                           ;   in Loop: Header=BB372_2076 Depth=1
	s_or_b32 exec_lo, exec_lo, s18
	s_mov_b32 s18, exec_lo
	v_cmpx_lt_u32_e32 0xffffff, v23
	s_cbranch_execz .LBB372_3230
; %bb.3223:                             ;   in Loop: Header=BB372_2076 Depth=1
	v_cmp_ne_u32_sdwa s4, v23, v103 src0_sel:BYTE_3 src1_sel:DWORD
	v_bfrev_b32_e32 v18, 1
	s_and_saveexec_b32 s19, s4
	s_cbranch_execz .LBB372_3229
; %bb.3224:                             ;   in Loop: Header=BB372_2076 Depth=1
	v_bfe_u32 v27, v23, 24, 7
	v_mov_b32_e32 v18, 0x7f800001
	s_mov_b32 s20, exec_lo
	v_cmpx_ne_u32_e32 0x7f, v27
	s_cbranch_execz .LBB372_3228
; %bb.3225:                             ;   in Loop: Header=BB372_2076 Depth=1
	v_and_b32_sdwa v12, v23, v114 dst_sel:DWORD dst_unused:UNUSED_PAD src0_sel:BYTE_3 src1_sel:DWORD
	v_mov_b32_e32 v26, v13
	v_lshrrev_b32_e32 v18, 3, v27
	s_mov_b32 s21, exec_lo
	v_mov_b32_e32 v25, v12
	v_cmpx_gt_u32_e32 8, v27
; %bb.3226:                             ;   in Loop: Header=BB372_2076 Depth=1
	v_ffbh_u32_e32 v18, v12
	v_min_u32_e32 v18, 32, v18
	v_subrev_nc_u32_e32 v25, 28, v18
	v_sub_nc_u32_e32 v18, 29, v18
	v_lshlrev_b64 v[25:26], v25, v[12:13]
	v_and_b32_e32 v25, 7, v25
; %bb.3227:                             ;   in Loop: Header=BB372_2076 Depth=1
	s_or_b32 exec_lo, exec_lo, s21
	v_lshlrev_b32_sdwa v12, v115, v23 dst_sel:DWORD dst_unused:UNUSED_PAD src0_sel:DWORD src1_sel:BYTE_3
	v_lshlrev_b32_e32 v25, 20, v25
	v_lshl_add_u32 v18, v18, 23, 0x3c000000
	v_and_b32_e32 v12, 0x80000000, v12
	v_or3_b32 v18, v25, v12, v18
.LBB372_3228:                           ;   in Loop: Header=BB372_2076 Depth=1
	s_or_b32 exec_lo, exec_lo, s20
.LBB372_3229:                           ;   in Loop: Header=BB372_2076 Depth=1
	s_or_b32 exec_lo, exec_lo, s19
.LBB372_3230:                           ;   in Loop: Header=BB372_2076 Depth=1
	s_or_b32 exec_lo, exec_lo, s18
	v_mov_b32_e32 v12, v24
	v_cmp_ne_u16_sdwa s4, v24, v13 src0_sel:BYTE_0 src1_sel:DWORD
	v_mov_b32_e32 v30, 0
	v_mov_b32_e32 v29, 0
	s_and_saveexec_b32 s18, s4
	s_cbranch_execz .LBB372_3238
; %bb.3231:                             ;   in Loop: Header=BB372_2076 Depth=1
	v_cmp_ne_u16_sdwa s4, v24, v103 src0_sel:BYTE_0 src1_sel:DWORD
	v_bfrev_b32_e32 v29, 1
	s_and_saveexec_b32 s19, s4
	s_cbranch_execz .LBB372_3237
; %bb.3232:                             ;   in Loop: Header=BB372_2076 Depth=1
	v_and_b32_e32 v27, 0x7f, v24
	v_mov_b32_e32 v29, 0x7f800001
	s_mov_b32 s20, exec_lo
	v_cmpx_ne_u32_e32 0x7f, v27
	s_cbranch_execz .LBB372_3236
; %bb.3233:                             ;   in Loop: Header=BB372_2076 Depth=1
	v_mov_b32_e32 v26, v13
	v_mov_b32_e32 v25, v12
	v_lshrrev_b32_e32 v26, 3, v27
	s_mov_b32 s21, exec_lo
	v_cmpx_gt_u32_e32 8, v27
; %bb.3234:                             ;   in Loop: Header=BB372_2076 Depth=1
	v_and_b32_e32 v25, 7, v24
	v_ffbh_u32_e32 v25, v25
	v_min_u32_e32 v27, 32, v25
	v_subrev_nc_u32_e32 v25, 28, v27
	v_lshlrev_b64 v[25:26], v25, v[12:13]
	v_sub_nc_u32_e32 v26, 29, v27
; %bb.3235:                             ;   in Loop: Header=BB372_2076 Depth=1
	s_or_b32 exec_lo, exec_lo, s21
	v_lshlrev_b32_e32 v25, 20, v25
	v_lshlrev_b32_e32 v27, 24, v12
	v_lshl_add_u32 v26, v26, 23, 0x3c000000
	v_and_b32_e32 v25, 0x700000, v25
	v_and_b32_e32 v27, 0x80000000, v27
	v_or3_b32 v29, v25, v27, v26
.LBB372_3236:                           ;   in Loop: Header=BB372_2076 Depth=1
	s_or_b32 exec_lo, exec_lo, s20
.LBB372_3237:                           ;   in Loop: Header=BB372_2076 Depth=1
	s_or_b32 exec_lo, exec_lo, s19
.LBB372_3238:                           ;   in Loop: Header=BB372_2076 Depth=1
	s_or_b32 exec_lo, exec_lo, s18
	v_cmp_ne_u16_sdwa s4, v12, v13 src0_sel:BYTE_1 src1_sel:DWORD
	s_and_saveexec_b32 s18, s4
	s_cbranch_execz .LBB372_3246
; %bb.3239:                             ;   in Loop: Header=BB372_2076 Depth=1
	v_cmp_ne_u16_sdwa s4, v12, v103 src0_sel:BYTE_1 src1_sel:DWORD
	v_bfrev_b32_e32 v30, 1
	s_and_saveexec_b32 s19, s4
	s_cbranch_execz .LBB372_3245
; %bb.3240:                             ;   in Loop: Header=BB372_2076 Depth=1
	v_mov_b32_e32 v25, 0xffff
	v_mov_b32_e32 v30, 0x7f800001
	s_mov_b32 s20, exec_lo
	v_and_b32_sdwa v25, v25, v12 dst_sel:DWORD dst_unused:UNUSED_PAD src0_sel:DWORD src1_sel:BYTE_1
	v_and_b32_e32 v28, 0x7f, v25
	v_cmpx_ne_u32_e32 0x7f, v28
	s_cbranch_execz .LBB372_3244
; %bb.3241:                             ;   in Loop: Header=BB372_2076 Depth=1
	v_and_b32_e32 v25, 7, v25
	v_mov_b32_e32 v26, v13
	v_lshrrev_b32_e32 v27, 3, v28
	s_mov_b32 s21, exec_lo
	v_cmpx_gt_u32_e32 8, v28
; %bb.3242:                             ;   in Loop: Header=BB372_2076 Depth=1
	v_ffbh_u32_e32 v27, v25
	v_min_u32_e32 v27, 32, v27
	v_subrev_nc_u32_e32 v28, 28, v27
	v_sub_nc_u32_e32 v27, 29, v27
	v_lshlrev_b64 v[25:26], v28, v[25:26]
	v_and_b32_e32 v25, 7, v25
; %bb.3243:                             ;   in Loop: Header=BB372_2076 Depth=1
	s_or_b32 exec_lo, exec_lo, s21
	v_lshlrev_b32_e32 v12, 16, v12
	v_lshlrev_b32_e32 v25, 20, v25
	v_lshl_add_u32 v26, v27, 23, 0x3c000000
	v_and_b32_e32 v12, 0x80000000, v12
	v_or3_b32 v30, v25, v12, v26
.LBB372_3244:                           ;   in Loop: Header=BB372_2076 Depth=1
	s_or_b32 exec_lo, exec_lo, s20
.LBB372_3245:                           ;   in Loop: Header=BB372_2076 Depth=1
	s_or_b32 exec_lo, exec_lo, s19
.LBB372_3246:                           ;   in Loop: Header=BB372_2076 Depth=1
	s_or_b32 exec_lo, exec_lo, s18
	v_and_b32_sdwa v12, v24, v113 dst_sel:DWORD dst_unused:UNUSED_PAD src0_sel:WORD_1 src1_sel:DWORD
	v_mov_b32_e32 v27, 0
	v_mov_b32_e32 v28, 0
	s_mov_b32 s18, exec_lo
	v_cmpx_ne_u16_e32 0, v12
	s_cbranch_execz .LBB372_3254
; %bb.3247:                             ;   in Loop: Header=BB372_2076 Depth=1
	v_bfrev_b32_e32 v28, 1
	s_mov_b32 s19, exec_lo
	v_cmpx_ne_u16_e32 0x80, v12
	s_cbranch_execz .LBB372_3253
; %bb.3248:                             ;   in Loop: Header=BB372_2076 Depth=1
	v_bfe_u32 v31, v24, 16, 7
	v_mov_b32_e32 v28, 0x7f800001
	s_mov_b32 s20, exec_lo
	v_cmpx_ne_u32_e32 0x7f, v31
	s_cbranch_execz .LBB372_3252
; %bb.3249:                             ;   in Loop: Header=BB372_2076 Depth=1
	v_and_b32_sdwa v12, v24, v114 dst_sel:DWORD dst_unused:UNUSED_PAD src0_sel:WORD_1 src1_sel:DWORD
	v_mov_b32_e32 v26, v13
	v_lshrrev_b32_e32 v26, 3, v31
	s_mov_b32 s21, exec_lo
	v_mov_b32_e32 v25, v12
	v_cmpx_gt_u32_e32 8, v31
; %bb.3250:                             ;   in Loop: Header=BB372_2076 Depth=1
	v_ffbh_u32_e32 v25, v12
	v_min_u32_e32 v28, 32, v25
	v_subrev_nc_u32_e32 v25, 28, v28
	v_lshlrev_b64 v[25:26], v25, v[12:13]
	v_sub_nc_u32_e32 v26, 29, v28
	v_and_b32_e32 v25, 7, v25
; %bb.3251:                             ;   in Loop: Header=BB372_2076 Depth=1
	s_or_b32 exec_lo, exec_lo, s21
	v_lshlrev_b32_sdwa v12, v115, v24 dst_sel:DWORD dst_unused:UNUSED_PAD src0_sel:DWORD src1_sel:WORD_1
	v_lshlrev_b32_e32 v25, 20, v25
	v_lshl_add_u32 v26, v26, 23, 0x3c000000
	v_and_b32_e32 v12, 0x80000000, v12
	v_or3_b32 v28, v25, v12, v26
.LBB372_3252:                           ;   in Loop: Header=BB372_2076 Depth=1
	s_or_b32 exec_lo, exec_lo, s20
.LBB372_3253:                           ;   in Loop: Header=BB372_2076 Depth=1
	s_or_b32 exec_lo, exec_lo, s19
.LBB372_3254:                           ;   in Loop: Header=BB372_2076 Depth=1
	s_or_b32 exec_lo, exec_lo, s18
	s_mov_b32 s18, exec_lo
	v_cmpx_lt_u64_e64 s[6:7], v[23:24]
	s_cbranch_execz .LBB372_3262
; %bb.3255:                             ;   in Loop: Header=BB372_2076 Depth=1
	v_cmp_ne_u32_sdwa s4, v24, v103 src0_sel:BYTE_3 src1_sel:DWORD
	v_bfrev_b32_e32 v27, 1
	s_and_saveexec_b32 s19, s4
	s_cbranch_execz .LBB372_3261
; %bb.3256:                             ;   in Loop: Header=BB372_2076 Depth=1
	v_bfe_u32 v31, v24, 24, 7
	v_mov_b32_e32 v27, 0x7f800001
	s_mov_b32 s20, exec_lo
	v_cmpx_ne_u32_e32 0x7f, v31
	s_cbranch_execz .LBB372_3260
; %bb.3257:                             ;   in Loop: Header=BB372_2076 Depth=1
	v_and_b32_sdwa v12, v24, v114 dst_sel:DWORD dst_unused:UNUSED_PAD src0_sel:BYTE_3 src1_sel:DWORD
	v_mov_b32_e32 v26, v13
	v_lshrrev_b32_e32 v23, 3, v31
	s_mov_b32 s21, exec_lo
	v_mov_b32_e32 v25, v12
	v_cmpx_gt_u32_e32 8, v31
; %bb.3258:                             ;   in Loop: Header=BB372_2076 Depth=1
	v_ffbh_u32_e32 v23, v12
	v_min_u32_e32 v23, 32, v23
	v_subrev_nc_u32_e32 v25, 28, v23
	v_sub_nc_u32_e32 v23, 29, v23
	v_lshlrev_b64 v[25:26], v25, v[12:13]
	v_and_b32_e32 v25, 7, v25
; %bb.3259:                             ;   in Loop: Header=BB372_2076 Depth=1
	s_or_b32 exec_lo, exec_lo, s21
	v_lshlrev_b32_sdwa v12, v115, v24 dst_sel:DWORD dst_unused:UNUSED_PAD src0_sel:DWORD src1_sel:BYTE_3
	v_lshlrev_b32_e32 v24, 20, v25
	v_lshl_add_u32 v23, v23, 23, 0x3c000000
	v_and_b32_e32 v12, 0x80000000, v12
	v_or3_b32 v27, v24, v12, v23
.LBB372_3260:                           ;   in Loop: Header=BB372_2076 Depth=1
	s_or_b32 exec_lo, exec_lo, s20
.LBB372_3261:                           ;   in Loop: Header=BB372_2076 Depth=1
	s_or_b32 exec_lo, exec_lo, s19
.LBB372_3262:                           ;   in Loop: Header=BB372_2076 Depth=1
	s_or_b32 exec_lo, exec_lo, s18
	v_mul_f32_e32 v12, v97, v30
	v_mul_f32_e32 v1, v97, v1
	;; [unrolled: 1-line block ×3, first 2 shown]
	v_bfe_u32 v23, v12, 16, 1
	v_or_b32_e32 v24, 0x400000, v12
	v_cmp_u_f32_e64 s4, v12, v12
	v_add3_u32 v23, v23, v12, 0x7fff
	v_cndmask_b32_e64 v12, v23, v24, s4
	v_lshrrev_b32_e32 v12, 16, v12
	buffer_store_dword v12, off, s[0:3], s32 offset:744 ; 4-byte Folded Spill
	v_mul_f32_e32 v12, v97, v29
	v_bfe_u32 v23, v12, 16, 1
	v_or_b32_e32 v24, 0x400000, v12
	v_cmp_u_f32_e64 s4, v12, v12
	v_add3_u32 v23, v23, v12, 0x7fff
	v_cndmask_b32_e64 v12, v23, v24, s4
	v_lshrrev_b32_e32 v12, 16, v12
	buffer_store_dword v12, off, s[0:3], s32 offset:748 ; 4-byte Folded Spill
	v_mul_f32_e32 v12, v97, v18
	;; [unrolled: 8-line block ×3, first 2 shown]
	v_bfe_u32 v17, v12, 16, 1
	v_or_b32_e32 v18, 0x400000, v12
	v_cmp_u_f32_e64 s4, v12, v12
	v_add3_u32 v17, v17, v12, 0x7fff
	v_cndmask_b32_e64 v12, v17, v18, s4
	v_or_b32_e32 v17, 0x400000, v1
	v_cmp_u_f32_e64 s4, v1, v1
	v_lshrrev_b32_e32 v12, 16, v12
	buffer_store_dword v12, off, s[0:3], s32 offset:756 ; 4-byte Folded Spill
	v_bfe_u32 v12, v1, 16, 1
	v_add3_u32 v12, v12, v1, 0x7fff
	v_cndmask_b32_e64 v1, v12, v17, s4
	v_or_b32_e32 v12, 0x400000, v0
	v_cmp_u_f32_e64 s4, v0, v0
	v_lshrrev_b32_e32 v1, 16, v1
	buffer_store_dword v1, off, s[0:3], s32 offset:760 ; 4-byte Folded Spill
	v_bfe_u32 v1, v0, 16, 1
	v_add3_u32 v1, v1, v0, 0x7fff
	v_cndmask_b32_e64 v0, v1, v12, s4
	v_lshrrev_b32_e32 v0, 16, v0
	buffer_store_dword v0, off, s[0:3], s32 offset:772 ; 4-byte Folded Spill
	v_mul_f32_e32 v0, v97, v28
	v_bfe_u32 v1, v0, 16, 1
	v_or_b32_e32 v12, 0x400000, v0
	v_cmp_u_f32_e64 s4, v0, v0
	v_add3_u32 v1, v1, v0, 0x7fff
	v_cndmask_b32_e64 v0, v1, v12, s4
	v_lshrrev_b32_e32 v0, 16, v0
	buffer_store_dword v0, off, s[0:3], s32 offset:768 ; 4-byte Folded Spill
	v_mul_f32_e32 v0, v97, v27
	v_bfe_u32 v1, v0, 16, 1
	v_or_b32_e32 v12, 0x400000, v0
	v_cmp_u_f32_e64 s4, v0, v0
	v_add3_u32 v1, v1, v0, 0x7fff
	v_cndmask_b32_e64 v0, v1, v12, s4
	v_lshrrev_b32_e32 v0, 16, v0
	buffer_store_dword v0, off, s[0:3], s32 offset:776 ; 4-byte Folded Spill
	s_and_saveexec_b32 s18, vcc_lo
	s_cbranch_execz .LBB372_3264
; %bb.3263:                             ;   in Loop: Header=BB372_2076 Depth=1
	s_clause 0x1
	buffer_load_dword v0, off, s[0:3], s32 offset:192
	buffer_load_dword v1, off, s[0:3], s32 offset:772
	s_waitcnt vmcnt(1)
	v_cmp_lt_i32_e64 s4, v124, v0
	s_waitcnt vmcnt(0)
	v_cndmask_b32_e64 v1, 0, v1, s4
	v_cmp_lt_i32_e64 s4, v11, v0
	buffer_store_dword v1, off, s[0:3], s32 offset:772 ; 4-byte Folded Spill
	buffer_load_dword v1, off, s[0:3], s32 offset:760 ; 4-byte Folded Reload
	s_waitcnt vmcnt(0)
	v_cndmask_b32_e64 v1, 0, v1, s4
	v_cmp_lt_i32_e64 s4, v10, v0
	buffer_store_dword v1, off, s[0:3], s32 offset:760 ; 4-byte Folded Spill
	buffer_load_dword v1, off, s[0:3], s32 offset:756 ; 4-byte Folded Reload
	;; [unrolled: 5-line block ×6, first 2 shown]
	s_waitcnt vmcnt(0)
	v_cndmask_b32_e64 v1, 0, v1, s4
	v_cmp_lt_i32_e64 s4, v65, v0
	buffer_load_dword v0, off, s[0:3], s32 offset:776 ; 4-byte Folded Reload
	buffer_store_dword v1, off, s[0:3], s32 offset:768 ; 4-byte Folded Spill
	s_waitcnt vmcnt(0)
	v_cndmask_b32_e64 v0, 0, v0, s4
	buffer_store_dword v0, off, s[0:3], s32 offset:776 ; 4-byte Folded Spill
.LBB372_3264:                           ;   in Loop: Header=BB372_2076 Depth=1
	s_or_b32 exec_lo, exec_lo, s18
	flat_load_dwordx2 v[23:24], v[21:22] offset:512
	v_mov_b32_e32 v1, 0
	v_mov_b32_e32 v0, 0
	s_waitcnt vmcnt(0) lgkmcnt(0)
	v_cmp_ne_u16_sdwa s4, v23, v13 src0_sel:BYTE_0 src1_sel:DWORD
	s_and_saveexec_b32 s18, s4
	s_cbranch_execz .LBB372_3272
; %bb.3265:                             ;   in Loop: Header=BB372_2076 Depth=1
	v_cmp_ne_u16_sdwa s4, v23, v103 src0_sel:BYTE_0 src1_sel:DWORD
	v_bfrev_b32_e32 v0, 1
	s_and_saveexec_b32 s19, s4
	s_cbranch_execz .LBB372_3271
; %bb.3266:                             ;   in Loop: Header=BB372_2076 Depth=1
	v_and_b32_e32 v12, 0x7f, v23
	v_mov_b32_e32 v0, 0x7f800001
	s_mov_b32 s20, exec_lo
	v_cmpx_ne_u32_e32 0x7f, v12
	s_cbranch_execz .LBB372_3270
; %bb.3267:                             ;   in Loop: Header=BB372_2076 Depth=1
	v_mov_b32_e32 v26, v24
	v_lshrrev_b32_e32 v0, 3, v12
	v_mov_b32_e32 v25, v23
	s_mov_b32 s21, exec_lo
	v_cmpx_gt_u32_e32 8, v12
; %bb.3268:                             ;   in Loop: Header=BB372_2076 Depth=1
	v_and_b32_e32 v0, 7, v23
	v_ffbh_u32_e32 v0, v0
	v_min_u32_e32 v0, 32, v0
	v_subrev_nc_u32_e32 v12, 28, v0
	v_sub_nc_u32_e32 v0, 29, v0
	v_lshlrev_b64 v[25:26], v12, v[23:24]
; %bb.3269:                             ;   in Loop: Header=BB372_2076 Depth=1
	s_or_b32 exec_lo, exec_lo, s21
	v_lshlrev_b32_e32 v12, 20, v25
	v_lshlrev_b32_e32 v17, 24, v23
	v_lshl_add_u32 v0, v0, 23, 0x3c000000
	v_and_b32_e32 v12, 0x700000, v12
	v_and_b32_e32 v17, 0x80000000, v17
	v_or3_b32 v0, v12, v17, v0
.LBB372_3270:                           ;   in Loop: Header=BB372_2076 Depth=1
	s_or_b32 exec_lo, exec_lo, s20
.LBB372_3271:                           ;   in Loop: Header=BB372_2076 Depth=1
	s_or_b32 exec_lo, exec_lo, s19
.LBB372_3272:                           ;   in Loop: Header=BB372_2076 Depth=1
	s_or_b32 exec_lo, exec_lo, s18
	v_cmp_ne_u16_sdwa s4, v23, v13 src0_sel:BYTE_1 src1_sel:DWORD
	s_and_saveexec_b32 s18, s4
	s_cbranch_execz .LBB372_3280
; %bb.3273:                             ;   in Loop: Header=BB372_2076 Depth=1
	v_cmp_ne_u16_sdwa s4, v23, v103 src0_sel:BYTE_1 src1_sel:DWORD
	v_bfrev_b32_e32 v1, 1
	s_and_saveexec_b32 s19, s4
	s_cbranch_execz .LBB372_3279
; %bb.3274:                             ;   in Loop: Header=BB372_2076 Depth=1
	v_mov_b32_e32 v1, 0xffff
	s_mov_b32 s20, exec_lo
	v_and_b32_sdwa v12, v1, v23 dst_sel:DWORD dst_unused:UNUSED_PAD src0_sel:DWORD src1_sel:BYTE_1
	v_mov_b32_e32 v1, 0x7f800001
	v_and_b32_e32 v17, 0x7f, v12
	v_cmpx_ne_u32_e32 0x7f, v17
	s_cbranch_execz .LBB372_3278
; %bb.3275:                             ;   in Loop: Header=BB372_2076 Depth=1
	v_and_b32_e32 v12, 7, v12
	v_mov_b32_e32 v26, v13
	v_lshrrev_b32_e32 v1, 3, v17
	s_mov_b32 s21, exec_lo
	v_mov_b32_e32 v25, v12
	v_cmpx_gt_u32_e32 8, v17
; %bb.3276:                             ;   in Loop: Header=BB372_2076 Depth=1
	v_ffbh_u32_e32 v1, v12
	v_min_u32_e32 v1, 32, v1
	v_subrev_nc_u32_e32 v17, 28, v1
	v_sub_nc_u32_e32 v1, 29, v1
	v_lshlrev_b64 v[17:18], v17, v[12:13]
	v_and_b32_e32 v25, 7, v17
; %bb.3277:                             ;   in Loop: Header=BB372_2076 Depth=1
	s_or_b32 exec_lo, exec_lo, s21
	v_lshlrev_b32_e32 v12, 16, v23
	v_lshlrev_b32_e32 v17, 20, v25
	v_lshl_add_u32 v1, v1, 23, 0x3c000000
	v_and_b32_e32 v12, 0x80000000, v12
	v_or3_b32 v1, v17, v12, v1
.LBB372_3278:                           ;   in Loop: Header=BB372_2076 Depth=1
	s_or_b32 exec_lo, exec_lo, s20
.LBB372_3279:                           ;   in Loop: Header=BB372_2076 Depth=1
	s_or_b32 exec_lo, exec_lo, s19
.LBB372_3280:                           ;   in Loop: Header=BB372_2076 Depth=1
	s_or_b32 exec_lo, exec_lo, s18
	v_and_b32_sdwa v12, v23, v113 dst_sel:DWORD dst_unused:UNUSED_PAD src0_sel:WORD_1 src1_sel:DWORD
	v_mov_b32_e32 v18, 0
	v_mov_b32_e32 v17, 0
	s_mov_b32 s18, exec_lo
	v_cmpx_ne_u16_e32 0, v12
	s_cbranch_execz .LBB372_3288
; %bb.3281:                             ;   in Loop: Header=BB372_2076 Depth=1
	v_bfrev_b32_e32 v17, 1
	s_mov_b32 s19, exec_lo
	v_cmpx_ne_u16_e32 0x80, v12
	s_cbranch_execz .LBB372_3287
; %bb.3282:                             ;   in Loop: Header=BB372_2076 Depth=1
	v_bfe_u32 v27, v23, 16, 7
	v_mov_b32_e32 v17, 0x7f800001
	s_mov_b32 s20, exec_lo
	v_cmpx_ne_u32_e32 0x7f, v27
	s_cbranch_execz .LBB372_3286
; %bb.3283:                             ;   in Loop: Header=BB372_2076 Depth=1
	v_and_b32_sdwa v12, v23, v114 dst_sel:DWORD dst_unused:UNUSED_PAD src0_sel:WORD_1 src1_sel:DWORD
	v_mov_b32_e32 v26, v13
	v_lshrrev_b32_e32 v17, 3, v27
	s_mov_b32 s21, exec_lo
	v_mov_b32_e32 v25, v12
	v_cmpx_gt_u32_e32 8, v27
; %bb.3284:                             ;   in Loop: Header=BB372_2076 Depth=1
	v_ffbh_u32_e32 v17, v12
	v_min_u32_e32 v17, 32, v17
	v_subrev_nc_u32_e32 v25, 28, v17
	v_sub_nc_u32_e32 v17, 29, v17
	v_lshlrev_b64 v[25:26], v25, v[12:13]
	v_and_b32_e32 v25, 7, v25
; %bb.3285:                             ;   in Loop: Header=BB372_2076 Depth=1
	s_or_b32 exec_lo, exec_lo, s21
	v_lshlrev_b32_sdwa v12, v115, v23 dst_sel:DWORD dst_unused:UNUSED_PAD src0_sel:DWORD src1_sel:WORD_1
	v_lshlrev_b32_e32 v25, 20, v25
	v_lshl_add_u32 v17, v17, 23, 0x3c000000
	v_and_b32_e32 v12, 0x80000000, v12
	v_or3_b32 v17, v25, v12, v17
.LBB372_3286:                           ;   in Loop: Header=BB372_2076 Depth=1
	s_or_b32 exec_lo, exec_lo, s20
.LBB372_3287:                           ;   in Loop: Header=BB372_2076 Depth=1
	s_or_b32 exec_lo, exec_lo, s19
.LBB372_3288:                           ;   in Loop: Header=BB372_2076 Depth=1
	s_or_b32 exec_lo, exec_lo, s18
	s_mov_b32 s18, exec_lo
	v_cmpx_lt_u32_e32 0xffffff, v23
	s_cbranch_execz .LBB372_3296
; %bb.3289:                             ;   in Loop: Header=BB372_2076 Depth=1
	v_cmp_ne_u32_sdwa s4, v23, v103 src0_sel:BYTE_3 src1_sel:DWORD
	v_bfrev_b32_e32 v18, 1
	s_and_saveexec_b32 s19, s4
	s_cbranch_execz .LBB372_3295
; %bb.3290:                             ;   in Loop: Header=BB372_2076 Depth=1
	v_bfe_u32 v27, v23, 24, 7
	v_mov_b32_e32 v18, 0x7f800001
	s_mov_b32 s20, exec_lo
	v_cmpx_ne_u32_e32 0x7f, v27
	s_cbranch_execz .LBB372_3294
; %bb.3291:                             ;   in Loop: Header=BB372_2076 Depth=1
	v_and_b32_sdwa v12, v23, v114 dst_sel:DWORD dst_unused:UNUSED_PAD src0_sel:BYTE_3 src1_sel:DWORD
	v_mov_b32_e32 v26, v13
	v_lshrrev_b32_e32 v18, 3, v27
	s_mov_b32 s21, exec_lo
	v_mov_b32_e32 v25, v12
	v_cmpx_gt_u32_e32 8, v27
; %bb.3292:                             ;   in Loop: Header=BB372_2076 Depth=1
	v_ffbh_u32_e32 v18, v12
	v_min_u32_e32 v18, 32, v18
	v_subrev_nc_u32_e32 v25, 28, v18
	v_sub_nc_u32_e32 v18, 29, v18
	v_lshlrev_b64 v[25:26], v25, v[12:13]
	v_and_b32_e32 v25, 7, v25
; %bb.3293:                             ;   in Loop: Header=BB372_2076 Depth=1
	s_or_b32 exec_lo, exec_lo, s21
	v_lshlrev_b32_sdwa v12, v115, v23 dst_sel:DWORD dst_unused:UNUSED_PAD src0_sel:DWORD src1_sel:BYTE_3
	v_lshlrev_b32_e32 v25, 20, v25
	v_lshl_add_u32 v18, v18, 23, 0x3c000000
	v_and_b32_e32 v12, 0x80000000, v12
	v_or3_b32 v18, v25, v12, v18
.LBB372_3294:                           ;   in Loop: Header=BB372_2076 Depth=1
	s_or_b32 exec_lo, exec_lo, s20
.LBB372_3295:                           ;   in Loop: Header=BB372_2076 Depth=1
	s_or_b32 exec_lo, exec_lo, s19
.LBB372_3296:                           ;   in Loop: Header=BB372_2076 Depth=1
	s_or_b32 exec_lo, exec_lo, s18
	v_mov_b32_e32 v12, v24
	v_cmp_ne_u16_sdwa s4, v24, v13 src0_sel:BYTE_0 src1_sel:DWORD
	v_mov_b32_e32 v30, 0
	v_mov_b32_e32 v29, 0
	s_and_saveexec_b32 s18, s4
	s_cbranch_execz .LBB372_3304
; %bb.3297:                             ;   in Loop: Header=BB372_2076 Depth=1
	v_cmp_ne_u16_sdwa s4, v24, v103 src0_sel:BYTE_0 src1_sel:DWORD
	v_bfrev_b32_e32 v29, 1
	s_and_saveexec_b32 s19, s4
	s_cbranch_execz .LBB372_3303
; %bb.3298:                             ;   in Loop: Header=BB372_2076 Depth=1
	v_and_b32_e32 v27, 0x7f, v24
	v_mov_b32_e32 v29, 0x7f800001
	s_mov_b32 s20, exec_lo
	v_cmpx_ne_u32_e32 0x7f, v27
	s_cbranch_execz .LBB372_3302
; %bb.3299:                             ;   in Loop: Header=BB372_2076 Depth=1
	v_mov_b32_e32 v26, v13
	v_mov_b32_e32 v25, v12
	v_lshrrev_b32_e32 v26, 3, v27
	s_mov_b32 s21, exec_lo
	v_cmpx_gt_u32_e32 8, v27
; %bb.3300:                             ;   in Loop: Header=BB372_2076 Depth=1
	v_and_b32_e32 v25, 7, v24
	v_ffbh_u32_e32 v25, v25
	v_min_u32_e32 v27, 32, v25
	v_subrev_nc_u32_e32 v25, 28, v27
	v_lshlrev_b64 v[25:26], v25, v[12:13]
	v_sub_nc_u32_e32 v26, 29, v27
; %bb.3301:                             ;   in Loop: Header=BB372_2076 Depth=1
	s_or_b32 exec_lo, exec_lo, s21
	v_lshlrev_b32_e32 v25, 20, v25
	v_lshlrev_b32_e32 v27, 24, v12
	v_lshl_add_u32 v26, v26, 23, 0x3c000000
	v_and_b32_e32 v25, 0x700000, v25
	v_and_b32_e32 v27, 0x80000000, v27
	v_or3_b32 v29, v25, v27, v26
.LBB372_3302:                           ;   in Loop: Header=BB372_2076 Depth=1
	s_or_b32 exec_lo, exec_lo, s20
.LBB372_3303:                           ;   in Loop: Header=BB372_2076 Depth=1
	s_or_b32 exec_lo, exec_lo, s19
.LBB372_3304:                           ;   in Loop: Header=BB372_2076 Depth=1
	s_or_b32 exec_lo, exec_lo, s18
	v_cmp_ne_u16_sdwa s4, v12, v13 src0_sel:BYTE_1 src1_sel:DWORD
	s_and_saveexec_b32 s18, s4
	s_cbranch_execz .LBB372_3312
; %bb.3305:                             ;   in Loop: Header=BB372_2076 Depth=1
	v_cmp_ne_u16_sdwa s4, v12, v103 src0_sel:BYTE_1 src1_sel:DWORD
	v_bfrev_b32_e32 v30, 1
	s_and_saveexec_b32 s19, s4
	s_cbranch_execz .LBB372_3311
; %bb.3306:                             ;   in Loop: Header=BB372_2076 Depth=1
	v_mov_b32_e32 v25, 0xffff
	v_mov_b32_e32 v30, 0x7f800001
	s_mov_b32 s20, exec_lo
	v_and_b32_sdwa v25, v25, v12 dst_sel:DWORD dst_unused:UNUSED_PAD src0_sel:DWORD src1_sel:BYTE_1
	v_and_b32_e32 v28, 0x7f, v25
	v_cmpx_ne_u32_e32 0x7f, v28
	s_cbranch_execz .LBB372_3310
; %bb.3307:                             ;   in Loop: Header=BB372_2076 Depth=1
	v_and_b32_e32 v25, 7, v25
	v_mov_b32_e32 v26, v13
	v_lshrrev_b32_e32 v27, 3, v28
	s_mov_b32 s21, exec_lo
	v_cmpx_gt_u32_e32 8, v28
; %bb.3308:                             ;   in Loop: Header=BB372_2076 Depth=1
	v_ffbh_u32_e32 v27, v25
	v_min_u32_e32 v27, 32, v27
	v_subrev_nc_u32_e32 v28, 28, v27
	v_sub_nc_u32_e32 v27, 29, v27
	v_lshlrev_b64 v[25:26], v28, v[25:26]
	v_and_b32_e32 v25, 7, v25
; %bb.3309:                             ;   in Loop: Header=BB372_2076 Depth=1
	s_or_b32 exec_lo, exec_lo, s21
	v_lshlrev_b32_e32 v12, 16, v12
	v_lshlrev_b32_e32 v25, 20, v25
	v_lshl_add_u32 v26, v27, 23, 0x3c000000
	v_and_b32_e32 v12, 0x80000000, v12
	v_or3_b32 v30, v25, v12, v26
.LBB372_3310:                           ;   in Loop: Header=BB372_2076 Depth=1
	s_or_b32 exec_lo, exec_lo, s20
.LBB372_3311:                           ;   in Loop: Header=BB372_2076 Depth=1
	s_or_b32 exec_lo, exec_lo, s19
.LBB372_3312:                           ;   in Loop: Header=BB372_2076 Depth=1
	s_or_b32 exec_lo, exec_lo, s18
	v_and_b32_sdwa v12, v24, v113 dst_sel:DWORD dst_unused:UNUSED_PAD src0_sel:WORD_1 src1_sel:DWORD
	v_mov_b32_e32 v27, 0
	v_mov_b32_e32 v28, 0
	s_mov_b32 s18, exec_lo
	v_cmpx_ne_u16_e32 0, v12
	s_cbranch_execz .LBB372_3320
; %bb.3313:                             ;   in Loop: Header=BB372_2076 Depth=1
	v_bfrev_b32_e32 v28, 1
	s_mov_b32 s19, exec_lo
	v_cmpx_ne_u16_e32 0x80, v12
	s_cbranch_execz .LBB372_3319
; %bb.3314:                             ;   in Loop: Header=BB372_2076 Depth=1
	v_bfe_u32 v31, v24, 16, 7
	v_mov_b32_e32 v28, 0x7f800001
	s_mov_b32 s20, exec_lo
	v_cmpx_ne_u32_e32 0x7f, v31
	s_cbranch_execz .LBB372_3318
; %bb.3315:                             ;   in Loop: Header=BB372_2076 Depth=1
	v_and_b32_sdwa v12, v24, v114 dst_sel:DWORD dst_unused:UNUSED_PAD src0_sel:WORD_1 src1_sel:DWORD
	v_mov_b32_e32 v26, v13
	v_lshrrev_b32_e32 v26, 3, v31
	s_mov_b32 s21, exec_lo
	v_mov_b32_e32 v25, v12
	v_cmpx_gt_u32_e32 8, v31
; %bb.3316:                             ;   in Loop: Header=BB372_2076 Depth=1
	v_ffbh_u32_e32 v25, v12
	v_min_u32_e32 v28, 32, v25
	v_subrev_nc_u32_e32 v25, 28, v28
	v_lshlrev_b64 v[25:26], v25, v[12:13]
	v_sub_nc_u32_e32 v26, 29, v28
	v_and_b32_e32 v25, 7, v25
; %bb.3317:                             ;   in Loop: Header=BB372_2076 Depth=1
	s_or_b32 exec_lo, exec_lo, s21
	v_lshlrev_b32_sdwa v12, v115, v24 dst_sel:DWORD dst_unused:UNUSED_PAD src0_sel:DWORD src1_sel:WORD_1
	v_lshlrev_b32_e32 v25, 20, v25
	v_lshl_add_u32 v26, v26, 23, 0x3c000000
	v_and_b32_e32 v12, 0x80000000, v12
	v_or3_b32 v28, v25, v12, v26
.LBB372_3318:                           ;   in Loop: Header=BB372_2076 Depth=1
	s_or_b32 exec_lo, exec_lo, s20
.LBB372_3319:                           ;   in Loop: Header=BB372_2076 Depth=1
	s_or_b32 exec_lo, exec_lo, s19
.LBB372_3320:                           ;   in Loop: Header=BB372_2076 Depth=1
	s_or_b32 exec_lo, exec_lo, s18
	s_mov_b32 s18, exec_lo
	v_cmpx_lt_u64_e64 s[6:7], v[23:24]
	s_cbranch_execz .LBB372_3328
; %bb.3321:                             ;   in Loop: Header=BB372_2076 Depth=1
	v_cmp_ne_u32_sdwa s4, v24, v103 src0_sel:BYTE_3 src1_sel:DWORD
	v_bfrev_b32_e32 v27, 1
	s_and_saveexec_b32 s19, s4
	s_cbranch_execz .LBB372_3327
; %bb.3322:                             ;   in Loop: Header=BB372_2076 Depth=1
	v_bfe_u32 v31, v24, 24, 7
	v_mov_b32_e32 v27, 0x7f800001
	s_mov_b32 s20, exec_lo
	v_cmpx_ne_u32_e32 0x7f, v31
	s_cbranch_execz .LBB372_3326
; %bb.3323:                             ;   in Loop: Header=BB372_2076 Depth=1
	v_and_b32_sdwa v12, v24, v114 dst_sel:DWORD dst_unused:UNUSED_PAD src0_sel:BYTE_3 src1_sel:DWORD
	v_mov_b32_e32 v26, v13
	v_lshrrev_b32_e32 v23, 3, v31
	s_mov_b32 s21, exec_lo
	v_mov_b32_e32 v25, v12
	v_cmpx_gt_u32_e32 8, v31
; %bb.3324:                             ;   in Loop: Header=BB372_2076 Depth=1
	v_ffbh_u32_e32 v23, v12
	v_min_u32_e32 v23, 32, v23
	v_subrev_nc_u32_e32 v25, 28, v23
	v_sub_nc_u32_e32 v23, 29, v23
	v_lshlrev_b64 v[25:26], v25, v[12:13]
	v_and_b32_e32 v25, 7, v25
; %bb.3325:                             ;   in Loop: Header=BB372_2076 Depth=1
	s_or_b32 exec_lo, exec_lo, s21
	v_lshlrev_b32_sdwa v12, v115, v24 dst_sel:DWORD dst_unused:UNUSED_PAD src0_sel:DWORD src1_sel:BYTE_3
	v_lshlrev_b32_e32 v24, 20, v25
	v_lshl_add_u32 v23, v23, 23, 0x3c000000
	v_and_b32_e32 v12, 0x80000000, v12
	v_or3_b32 v27, v24, v12, v23
.LBB372_3326:                           ;   in Loop: Header=BB372_2076 Depth=1
	s_or_b32 exec_lo, exec_lo, s20
.LBB372_3327:                           ;   in Loop: Header=BB372_2076 Depth=1
	s_or_b32 exec_lo, exec_lo, s19
.LBB372_3328:                           ;   in Loop: Header=BB372_2076 Depth=1
	s_or_b32 exec_lo, exec_lo, s18
	v_mul_f32_e32 v12, v97, v30
	v_mul_f32_e32 v1, v97, v1
	;; [unrolled: 1-line block ×3, first 2 shown]
	v_bfe_u32 v23, v12, 16, 1
	v_or_b32_e32 v24, 0x400000, v12
	v_cmp_u_f32_e64 s4, v12, v12
	v_add3_u32 v23, v23, v12, 0x7fff
	v_cndmask_b32_e64 v12, v23, v24, s4
	v_lshrrev_b32_e32 v12, 16, v12
	buffer_store_dword v12, off, s[0:3], s32 offset:780 ; 4-byte Folded Spill
	v_mul_f32_e32 v12, v97, v29
	v_bfe_u32 v23, v12, 16, 1
	v_or_b32_e32 v24, 0x400000, v12
	v_cmp_u_f32_e64 s4, v12, v12
	v_add3_u32 v23, v23, v12, 0x7fff
	v_cndmask_b32_e64 v12, v23, v24, s4
	v_lshrrev_b32_e32 v12, 16, v12
	buffer_store_dword v12, off, s[0:3], s32 offset:784 ; 4-byte Folded Spill
	v_mul_f32_e32 v12, v97, v18
	;; [unrolled: 8-line block ×3, first 2 shown]
	v_bfe_u32 v17, v12, 16, 1
	v_or_b32_e32 v18, 0x400000, v12
	v_cmp_u_f32_e64 s4, v12, v12
	v_add3_u32 v17, v17, v12, 0x7fff
	v_cndmask_b32_e64 v12, v17, v18, s4
	v_or_b32_e32 v17, 0x400000, v1
	v_cmp_u_f32_e64 s4, v1, v1
	v_lshrrev_b32_e32 v12, 16, v12
	buffer_store_dword v12, off, s[0:3], s32 offset:792 ; 4-byte Folded Spill
	v_bfe_u32 v12, v1, 16, 1
	v_add3_u32 v12, v12, v1, 0x7fff
	v_cndmask_b32_e64 v1, v12, v17, s4
	v_or_b32_e32 v12, 0x400000, v0
	v_cmp_u_f32_e64 s4, v0, v0
	v_lshrrev_b32_e32 v1, 16, v1
	buffer_store_dword v1, off, s[0:3], s32 offset:796 ; 4-byte Folded Spill
	v_bfe_u32 v1, v0, 16, 1
	v_add3_u32 v1, v1, v0, 0x7fff
	v_cndmask_b32_e64 v0, v1, v12, s4
	v_lshrrev_b32_e32 v0, 16, v0
	buffer_store_dword v0, off, s[0:3], s32 offset:804 ; 4-byte Folded Spill
	v_mul_f32_e32 v0, v97, v28
	v_bfe_u32 v1, v0, 16, 1
	v_or_b32_e32 v12, 0x400000, v0
	v_cmp_u_f32_e64 s4, v0, v0
	v_add3_u32 v1, v1, v0, 0x7fff
	v_cndmask_b32_e64 v0, v1, v12, s4
	v_lshrrev_b32_e32 v0, 16, v0
	buffer_store_dword v0, off, s[0:3], s32 offset:800 ; 4-byte Folded Spill
	v_mul_f32_e32 v0, v97, v27
	v_bfe_u32 v1, v0, 16, 1
	v_or_b32_e32 v12, 0x400000, v0
	v_cmp_u_f32_e64 s4, v0, v0
	v_add3_u32 v1, v1, v0, 0x7fff
	v_cndmask_b32_e64 v0, v1, v12, s4
	v_lshrrev_b32_e32 v0, 16, v0
	buffer_store_dword v0, off, s[0:3], s32 offset:808 ; 4-byte Folded Spill
	s_and_saveexec_b32 s18, vcc_lo
	s_cbranch_execz .LBB372_3330
; %bb.3329:                             ;   in Loop: Header=BB372_2076 Depth=1
	s_clause 0x1
	buffer_load_dword v0, off, s[0:3], s32 offset:192
	buffer_load_dword v1, off, s[0:3], s32 offset:804
	s_waitcnt vmcnt(1)
	v_cmp_lt_i32_e64 s4, v124, v0
	s_waitcnt vmcnt(0)
	v_cndmask_b32_e64 v1, 0, v1, s4
	v_cmp_lt_i32_e64 s4, v11, v0
	buffer_store_dword v1, off, s[0:3], s32 offset:804 ; 4-byte Folded Spill
	buffer_load_dword v1, off, s[0:3], s32 offset:796 ; 4-byte Folded Reload
	s_waitcnt vmcnt(0)
	v_cndmask_b32_e64 v1, 0, v1, s4
	v_cmp_lt_i32_e64 s4, v10, v0
	buffer_store_dword v1, off, s[0:3], s32 offset:796 ; 4-byte Folded Spill
	buffer_load_dword v1, off, s[0:3], s32 offset:792 ; 4-byte Folded Reload
	;; [unrolled: 5-line block ×6, first 2 shown]
	s_waitcnt vmcnt(0)
	v_cndmask_b32_e64 v1, 0, v1, s4
	v_cmp_lt_i32_e64 s4, v65, v0
	buffer_load_dword v0, off, s[0:3], s32 offset:808 ; 4-byte Folded Reload
	buffer_store_dword v1, off, s[0:3], s32 offset:800 ; 4-byte Folded Spill
	s_waitcnt vmcnt(0)
	v_cndmask_b32_e64 v0, 0, v0, s4
	buffer_store_dword v0, off, s[0:3], s32 offset:808 ; 4-byte Folded Spill
.LBB372_3330:                           ;   in Loop: Header=BB372_2076 Depth=1
	s_or_b32 exec_lo, exec_lo, s18
	flat_load_dwordx2 v[23:24], v[21:22] offset:768
	v_mov_b32_e32 v1, 0
	v_mov_b32_e32 v0, 0
	s_waitcnt vmcnt(0) lgkmcnt(0)
	v_cmp_ne_u16_sdwa s4, v23, v13 src0_sel:BYTE_0 src1_sel:DWORD
	s_and_saveexec_b32 s18, s4
	s_cbranch_execz .LBB372_3338
; %bb.3331:                             ;   in Loop: Header=BB372_2076 Depth=1
	v_cmp_ne_u16_sdwa s4, v23, v103 src0_sel:BYTE_0 src1_sel:DWORD
	v_bfrev_b32_e32 v0, 1
	s_and_saveexec_b32 s19, s4
	s_cbranch_execz .LBB372_3337
; %bb.3332:                             ;   in Loop: Header=BB372_2076 Depth=1
	v_and_b32_e32 v12, 0x7f, v23
	v_mov_b32_e32 v0, 0x7f800001
	s_mov_b32 s20, exec_lo
	v_cmpx_ne_u32_e32 0x7f, v12
	s_cbranch_execz .LBB372_3336
; %bb.3333:                             ;   in Loop: Header=BB372_2076 Depth=1
	v_mov_b32_e32 v26, v24
	v_lshrrev_b32_e32 v0, 3, v12
	v_mov_b32_e32 v25, v23
	s_mov_b32 s21, exec_lo
	v_cmpx_gt_u32_e32 8, v12
; %bb.3334:                             ;   in Loop: Header=BB372_2076 Depth=1
	v_and_b32_e32 v0, 7, v23
	v_ffbh_u32_e32 v0, v0
	v_min_u32_e32 v0, 32, v0
	v_subrev_nc_u32_e32 v12, 28, v0
	v_sub_nc_u32_e32 v0, 29, v0
	v_lshlrev_b64 v[25:26], v12, v[23:24]
; %bb.3335:                             ;   in Loop: Header=BB372_2076 Depth=1
	s_or_b32 exec_lo, exec_lo, s21
	v_lshlrev_b32_e32 v12, 20, v25
	v_lshlrev_b32_e32 v17, 24, v23
	v_lshl_add_u32 v0, v0, 23, 0x3c000000
	v_and_b32_e32 v12, 0x700000, v12
	v_and_b32_e32 v17, 0x80000000, v17
	v_or3_b32 v0, v12, v17, v0
.LBB372_3336:                           ;   in Loop: Header=BB372_2076 Depth=1
	s_or_b32 exec_lo, exec_lo, s20
.LBB372_3337:                           ;   in Loop: Header=BB372_2076 Depth=1
	s_or_b32 exec_lo, exec_lo, s19
.LBB372_3338:                           ;   in Loop: Header=BB372_2076 Depth=1
	s_or_b32 exec_lo, exec_lo, s18
	v_cmp_ne_u16_sdwa s4, v23, v13 src0_sel:BYTE_1 src1_sel:DWORD
	s_and_saveexec_b32 s18, s4
	s_cbranch_execz .LBB372_3346
; %bb.3339:                             ;   in Loop: Header=BB372_2076 Depth=1
	v_cmp_ne_u16_sdwa s4, v23, v103 src0_sel:BYTE_1 src1_sel:DWORD
	v_bfrev_b32_e32 v1, 1
	s_and_saveexec_b32 s19, s4
	s_cbranch_execz .LBB372_3345
; %bb.3340:                             ;   in Loop: Header=BB372_2076 Depth=1
	v_mov_b32_e32 v1, 0xffff
	s_mov_b32 s20, exec_lo
	v_and_b32_sdwa v12, v1, v23 dst_sel:DWORD dst_unused:UNUSED_PAD src0_sel:DWORD src1_sel:BYTE_1
	v_mov_b32_e32 v1, 0x7f800001
	v_and_b32_e32 v17, 0x7f, v12
	v_cmpx_ne_u32_e32 0x7f, v17
	s_cbranch_execz .LBB372_3344
; %bb.3341:                             ;   in Loop: Header=BB372_2076 Depth=1
	v_and_b32_e32 v12, 7, v12
	v_mov_b32_e32 v26, v13
	v_lshrrev_b32_e32 v1, 3, v17
	s_mov_b32 s21, exec_lo
	v_mov_b32_e32 v25, v12
	v_cmpx_gt_u32_e32 8, v17
; %bb.3342:                             ;   in Loop: Header=BB372_2076 Depth=1
	v_ffbh_u32_e32 v1, v12
	v_min_u32_e32 v1, 32, v1
	v_subrev_nc_u32_e32 v17, 28, v1
	v_sub_nc_u32_e32 v1, 29, v1
	v_lshlrev_b64 v[17:18], v17, v[12:13]
	v_and_b32_e32 v25, 7, v17
; %bb.3343:                             ;   in Loop: Header=BB372_2076 Depth=1
	s_or_b32 exec_lo, exec_lo, s21
	v_lshlrev_b32_e32 v12, 16, v23
	v_lshlrev_b32_e32 v17, 20, v25
	v_lshl_add_u32 v1, v1, 23, 0x3c000000
	v_and_b32_e32 v12, 0x80000000, v12
	v_or3_b32 v1, v17, v12, v1
.LBB372_3344:                           ;   in Loop: Header=BB372_2076 Depth=1
	s_or_b32 exec_lo, exec_lo, s20
.LBB372_3345:                           ;   in Loop: Header=BB372_2076 Depth=1
	s_or_b32 exec_lo, exec_lo, s19
.LBB372_3346:                           ;   in Loop: Header=BB372_2076 Depth=1
	s_or_b32 exec_lo, exec_lo, s18
	v_and_b32_sdwa v12, v23, v113 dst_sel:DWORD dst_unused:UNUSED_PAD src0_sel:WORD_1 src1_sel:DWORD
	v_mov_b32_e32 v18, 0
	v_mov_b32_e32 v17, 0
	s_mov_b32 s18, exec_lo
	v_cmpx_ne_u16_e32 0, v12
	s_cbranch_execz .LBB372_3354
; %bb.3347:                             ;   in Loop: Header=BB372_2076 Depth=1
	v_bfrev_b32_e32 v17, 1
	s_mov_b32 s19, exec_lo
	v_cmpx_ne_u16_e32 0x80, v12
	s_cbranch_execz .LBB372_3353
; %bb.3348:                             ;   in Loop: Header=BB372_2076 Depth=1
	v_bfe_u32 v27, v23, 16, 7
	v_mov_b32_e32 v17, 0x7f800001
	s_mov_b32 s20, exec_lo
	v_cmpx_ne_u32_e32 0x7f, v27
	s_cbranch_execz .LBB372_3352
; %bb.3349:                             ;   in Loop: Header=BB372_2076 Depth=1
	v_and_b32_sdwa v12, v23, v114 dst_sel:DWORD dst_unused:UNUSED_PAD src0_sel:WORD_1 src1_sel:DWORD
	v_mov_b32_e32 v26, v13
	v_lshrrev_b32_e32 v17, 3, v27
	s_mov_b32 s21, exec_lo
	v_mov_b32_e32 v25, v12
	v_cmpx_gt_u32_e32 8, v27
; %bb.3350:                             ;   in Loop: Header=BB372_2076 Depth=1
	v_ffbh_u32_e32 v17, v12
	v_min_u32_e32 v17, 32, v17
	v_subrev_nc_u32_e32 v25, 28, v17
	v_sub_nc_u32_e32 v17, 29, v17
	v_lshlrev_b64 v[25:26], v25, v[12:13]
	v_and_b32_e32 v25, 7, v25
; %bb.3351:                             ;   in Loop: Header=BB372_2076 Depth=1
	s_or_b32 exec_lo, exec_lo, s21
	v_lshlrev_b32_sdwa v12, v115, v23 dst_sel:DWORD dst_unused:UNUSED_PAD src0_sel:DWORD src1_sel:WORD_1
	v_lshlrev_b32_e32 v25, 20, v25
	v_lshl_add_u32 v17, v17, 23, 0x3c000000
	v_and_b32_e32 v12, 0x80000000, v12
	v_or3_b32 v17, v25, v12, v17
.LBB372_3352:                           ;   in Loop: Header=BB372_2076 Depth=1
	s_or_b32 exec_lo, exec_lo, s20
.LBB372_3353:                           ;   in Loop: Header=BB372_2076 Depth=1
	s_or_b32 exec_lo, exec_lo, s19
.LBB372_3354:                           ;   in Loop: Header=BB372_2076 Depth=1
	s_or_b32 exec_lo, exec_lo, s18
	s_mov_b32 s18, exec_lo
	v_cmpx_lt_u32_e32 0xffffff, v23
	s_cbranch_execz .LBB372_3362
; %bb.3355:                             ;   in Loop: Header=BB372_2076 Depth=1
	v_cmp_ne_u32_sdwa s4, v23, v103 src0_sel:BYTE_3 src1_sel:DWORD
	v_bfrev_b32_e32 v18, 1
	s_and_saveexec_b32 s19, s4
	s_cbranch_execz .LBB372_3361
; %bb.3356:                             ;   in Loop: Header=BB372_2076 Depth=1
	v_bfe_u32 v27, v23, 24, 7
	v_mov_b32_e32 v18, 0x7f800001
	s_mov_b32 s20, exec_lo
	v_cmpx_ne_u32_e32 0x7f, v27
	s_cbranch_execz .LBB372_3360
; %bb.3357:                             ;   in Loop: Header=BB372_2076 Depth=1
	v_and_b32_sdwa v12, v23, v114 dst_sel:DWORD dst_unused:UNUSED_PAD src0_sel:BYTE_3 src1_sel:DWORD
	v_mov_b32_e32 v26, v13
	v_lshrrev_b32_e32 v18, 3, v27
	s_mov_b32 s21, exec_lo
	v_mov_b32_e32 v25, v12
	v_cmpx_gt_u32_e32 8, v27
; %bb.3358:                             ;   in Loop: Header=BB372_2076 Depth=1
	v_ffbh_u32_e32 v18, v12
	v_min_u32_e32 v18, 32, v18
	v_subrev_nc_u32_e32 v25, 28, v18
	v_sub_nc_u32_e32 v18, 29, v18
	v_lshlrev_b64 v[25:26], v25, v[12:13]
	v_and_b32_e32 v25, 7, v25
; %bb.3359:                             ;   in Loop: Header=BB372_2076 Depth=1
	s_or_b32 exec_lo, exec_lo, s21
	v_lshlrev_b32_sdwa v12, v115, v23 dst_sel:DWORD dst_unused:UNUSED_PAD src0_sel:DWORD src1_sel:BYTE_3
	v_lshlrev_b32_e32 v25, 20, v25
	v_lshl_add_u32 v18, v18, 23, 0x3c000000
	v_and_b32_e32 v12, 0x80000000, v12
	v_or3_b32 v18, v25, v12, v18
.LBB372_3360:                           ;   in Loop: Header=BB372_2076 Depth=1
	s_or_b32 exec_lo, exec_lo, s20
.LBB372_3361:                           ;   in Loop: Header=BB372_2076 Depth=1
	s_or_b32 exec_lo, exec_lo, s19
.LBB372_3362:                           ;   in Loop: Header=BB372_2076 Depth=1
	s_or_b32 exec_lo, exec_lo, s18
	v_mov_b32_e32 v12, v24
	v_cmp_ne_u16_sdwa s4, v24, v13 src0_sel:BYTE_0 src1_sel:DWORD
	v_mov_b32_e32 v30, 0
	v_mov_b32_e32 v29, 0
	s_and_saveexec_b32 s18, s4
	s_cbranch_execz .LBB372_3370
; %bb.3363:                             ;   in Loop: Header=BB372_2076 Depth=1
	v_cmp_ne_u16_sdwa s4, v24, v103 src0_sel:BYTE_0 src1_sel:DWORD
	v_bfrev_b32_e32 v29, 1
	s_and_saveexec_b32 s19, s4
	s_cbranch_execz .LBB372_3369
; %bb.3364:                             ;   in Loop: Header=BB372_2076 Depth=1
	v_and_b32_e32 v27, 0x7f, v24
	v_mov_b32_e32 v29, 0x7f800001
	s_mov_b32 s20, exec_lo
	v_cmpx_ne_u32_e32 0x7f, v27
	s_cbranch_execz .LBB372_3368
; %bb.3365:                             ;   in Loop: Header=BB372_2076 Depth=1
	v_mov_b32_e32 v26, v13
	v_mov_b32_e32 v25, v12
	v_lshrrev_b32_e32 v26, 3, v27
	s_mov_b32 s21, exec_lo
	v_cmpx_gt_u32_e32 8, v27
; %bb.3366:                             ;   in Loop: Header=BB372_2076 Depth=1
	v_and_b32_e32 v25, 7, v24
	v_ffbh_u32_e32 v25, v25
	v_min_u32_e32 v27, 32, v25
	v_subrev_nc_u32_e32 v25, 28, v27
	v_lshlrev_b64 v[25:26], v25, v[12:13]
	v_sub_nc_u32_e32 v26, 29, v27
; %bb.3367:                             ;   in Loop: Header=BB372_2076 Depth=1
	s_or_b32 exec_lo, exec_lo, s21
	v_lshlrev_b32_e32 v25, 20, v25
	v_lshlrev_b32_e32 v27, 24, v12
	v_lshl_add_u32 v26, v26, 23, 0x3c000000
	v_and_b32_e32 v25, 0x700000, v25
	v_and_b32_e32 v27, 0x80000000, v27
	v_or3_b32 v29, v25, v27, v26
.LBB372_3368:                           ;   in Loop: Header=BB372_2076 Depth=1
	s_or_b32 exec_lo, exec_lo, s20
.LBB372_3369:                           ;   in Loop: Header=BB372_2076 Depth=1
	s_or_b32 exec_lo, exec_lo, s19
.LBB372_3370:                           ;   in Loop: Header=BB372_2076 Depth=1
	s_or_b32 exec_lo, exec_lo, s18
	v_cmp_ne_u16_sdwa s4, v12, v13 src0_sel:BYTE_1 src1_sel:DWORD
	s_and_saveexec_b32 s18, s4
	s_cbranch_execz .LBB372_3378
; %bb.3371:                             ;   in Loop: Header=BB372_2076 Depth=1
	v_cmp_ne_u16_sdwa s4, v12, v103 src0_sel:BYTE_1 src1_sel:DWORD
	v_bfrev_b32_e32 v30, 1
	s_and_saveexec_b32 s19, s4
	s_cbranch_execz .LBB372_3377
; %bb.3372:                             ;   in Loop: Header=BB372_2076 Depth=1
	v_mov_b32_e32 v25, 0xffff
	v_mov_b32_e32 v30, 0x7f800001
	s_mov_b32 s20, exec_lo
	v_and_b32_sdwa v25, v25, v12 dst_sel:DWORD dst_unused:UNUSED_PAD src0_sel:DWORD src1_sel:BYTE_1
	v_and_b32_e32 v28, 0x7f, v25
	v_cmpx_ne_u32_e32 0x7f, v28
	s_cbranch_execz .LBB372_3376
; %bb.3373:                             ;   in Loop: Header=BB372_2076 Depth=1
	v_and_b32_e32 v25, 7, v25
	v_mov_b32_e32 v26, v13
	v_lshrrev_b32_e32 v27, 3, v28
	s_mov_b32 s21, exec_lo
	v_cmpx_gt_u32_e32 8, v28
; %bb.3374:                             ;   in Loop: Header=BB372_2076 Depth=1
	v_ffbh_u32_e32 v27, v25
	v_min_u32_e32 v27, 32, v27
	v_subrev_nc_u32_e32 v28, 28, v27
	v_sub_nc_u32_e32 v27, 29, v27
	v_lshlrev_b64 v[25:26], v28, v[25:26]
	v_and_b32_e32 v25, 7, v25
; %bb.3375:                             ;   in Loop: Header=BB372_2076 Depth=1
	s_or_b32 exec_lo, exec_lo, s21
	v_lshlrev_b32_e32 v12, 16, v12
	v_lshlrev_b32_e32 v25, 20, v25
	v_lshl_add_u32 v26, v27, 23, 0x3c000000
	v_and_b32_e32 v12, 0x80000000, v12
	v_or3_b32 v30, v25, v12, v26
.LBB372_3376:                           ;   in Loop: Header=BB372_2076 Depth=1
	s_or_b32 exec_lo, exec_lo, s20
.LBB372_3377:                           ;   in Loop: Header=BB372_2076 Depth=1
	s_or_b32 exec_lo, exec_lo, s19
.LBB372_3378:                           ;   in Loop: Header=BB372_2076 Depth=1
	s_or_b32 exec_lo, exec_lo, s18
	v_and_b32_sdwa v12, v24, v113 dst_sel:DWORD dst_unused:UNUSED_PAD src0_sel:WORD_1 src1_sel:DWORD
	v_mov_b32_e32 v27, 0
	v_mov_b32_e32 v28, 0
	s_mov_b32 s18, exec_lo
	v_cmpx_ne_u16_e32 0, v12
	s_cbranch_execz .LBB372_3386
; %bb.3379:                             ;   in Loop: Header=BB372_2076 Depth=1
	v_bfrev_b32_e32 v28, 1
	s_mov_b32 s19, exec_lo
	v_cmpx_ne_u16_e32 0x80, v12
	s_cbranch_execz .LBB372_3385
; %bb.3380:                             ;   in Loop: Header=BB372_2076 Depth=1
	v_bfe_u32 v31, v24, 16, 7
	v_mov_b32_e32 v28, 0x7f800001
	s_mov_b32 s20, exec_lo
	v_cmpx_ne_u32_e32 0x7f, v31
	s_cbranch_execz .LBB372_3384
; %bb.3381:                             ;   in Loop: Header=BB372_2076 Depth=1
	v_and_b32_sdwa v12, v24, v114 dst_sel:DWORD dst_unused:UNUSED_PAD src0_sel:WORD_1 src1_sel:DWORD
	v_mov_b32_e32 v26, v13
	v_lshrrev_b32_e32 v26, 3, v31
	s_mov_b32 s21, exec_lo
	v_mov_b32_e32 v25, v12
	v_cmpx_gt_u32_e32 8, v31
; %bb.3382:                             ;   in Loop: Header=BB372_2076 Depth=1
	v_ffbh_u32_e32 v25, v12
	v_min_u32_e32 v28, 32, v25
	v_subrev_nc_u32_e32 v25, 28, v28
	v_lshlrev_b64 v[25:26], v25, v[12:13]
	v_sub_nc_u32_e32 v26, 29, v28
	v_and_b32_e32 v25, 7, v25
; %bb.3383:                             ;   in Loop: Header=BB372_2076 Depth=1
	s_or_b32 exec_lo, exec_lo, s21
	v_lshlrev_b32_sdwa v12, v115, v24 dst_sel:DWORD dst_unused:UNUSED_PAD src0_sel:DWORD src1_sel:WORD_1
	v_lshlrev_b32_e32 v25, 20, v25
	v_lshl_add_u32 v26, v26, 23, 0x3c000000
	v_and_b32_e32 v12, 0x80000000, v12
	v_or3_b32 v28, v25, v12, v26
.LBB372_3384:                           ;   in Loop: Header=BB372_2076 Depth=1
	s_or_b32 exec_lo, exec_lo, s20
.LBB372_3385:                           ;   in Loop: Header=BB372_2076 Depth=1
	s_or_b32 exec_lo, exec_lo, s19
.LBB372_3386:                           ;   in Loop: Header=BB372_2076 Depth=1
	s_or_b32 exec_lo, exec_lo, s18
	s_mov_b32 s18, exec_lo
	v_cmpx_lt_u64_e64 s[6:7], v[23:24]
	s_cbranch_execz .LBB372_3394
; %bb.3387:                             ;   in Loop: Header=BB372_2076 Depth=1
	v_cmp_ne_u32_sdwa s4, v24, v103 src0_sel:BYTE_3 src1_sel:DWORD
	v_bfrev_b32_e32 v27, 1
	s_and_saveexec_b32 s19, s4
	s_cbranch_execz .LBB372_3393
; %bb.3388:                             ;   in Loop: Header=BB372_2076 Depth=1
	v_bfe_u32 v31, v24, 24, 7
	v_mov_b32_e32 v27, 0x7f800001
	s_mov_b32 s20, exec_lo
	v_cmpx_ne_u32_e32 0x7f, v31
	s_cbranch_execz .LBB372_3392
; %bb.3389:                             ;   in Loop: Header=BB372_2076 Depth=1
	v_and_b32_sdwa v12, v24, v114 dst_sel:DWORD dst_unused:UNUSED_PAD src0_sel:BYTE_3 src1_sel:DWORD
	v_mov_b32_e32 v26, v13
	v_lshrrev_b32_e32 v23, 3, v31
	s_mov_b32 s21, exec_lo
	v_mov_b32_e32 v25, v12
	v_cmpx_gt_u32_e32 8, v31
; %bb.3390:                             ;   in Loop: Header=BB372_2076 Depth=1
	v_ffbh_u32_e32 v23, v12
	v_min_u32_e32 v23, 32, v23
	v_subrev_nc_u32_e32 v25, 28, v23
	v_sub_nc_u32_e32 v23, 29, v23
	v_lshlrev_b64 v[25:26], v25, v[12:13]
	v_and_b32_e32 v25, 7, v25
; %bb.3391:                             ;   in Loop: Header=BB372_2076 Depth=1
	s_or_b32 exec_lo, exec_lo, s21
	v_lshlrev_b32_sdwa v12, v115, v24 dst_sel:DWORD dst_unused:UNUSED_PAD src0_sel:DWORD src1_sel:BYTE_3
	v_lshlrev_b32_e32 v24, 20, v25
	v_lshl_add_u32 v23, v23, 23, 0x3c000000
	v_and_b32_e32 v12, 0x80000000, v12
	v_or3_b32 v27, v24, v12, v23
.LBB372_3392:                           ;   in Loop: Header=BB372_2076 Depth=1
	s_or_b32 exec_lo, exec_lo, s20
.LBB372_3393:                           ;   in Loop: Header=BB372_2076 Depth=1
	s_or_b32 exec_lo, exec_lo, s19
.LBB372_3394:                           ;   in Loop: Header=BB372_2076 Depth=1
	s_or_b32 exec_lo, exec_lo, s18
	v_mul_f32_e32 v12, v97, v30
	v_mul_f32_e32 v1, v97, v1
	;; [unrolled: 1-line block ×3, first 2 shown]
	v_bfe_u32 v23, v12, 16, 1
	v_or_b32_e32 v24, 0x400000, v12
	v_cmp_u_f32_e64 s4, v12, v12
	v_add3_u32 v23, v23, v12, 0x7fff
	v_cndmask_b32_e64 v12, v23, v24, s4
	v_lshrrev_b32_e32 v12, 16, v12
	buffer_store_dword v12, off, s[0:3], s32 offset:812 ; 4-byte Folded Spill
	v_mul_f32_e32 v12, v97, v29
	v_bfe_u32 v23, v12, 16, 1
	v_or_b32_e32 v24, 0x400000, v12
	v_cmp_u_f32_e64 s4, v12, v12
	v_add3_u32 v23, v23, v12, 0x7fff
	v_cndmask_b32_e64 v12, v23, v24, s4
	v_lshrrev_b32_e32 v12, 16, v12
	buffer_store_dword v12, off, s[0:3], s32 offset:816 ; 4-byte Folded Spill
	v_mul_f32_e32 v12, v97, v18
	;; [unrolled: 8-line block ×3, first 2 shown]
	v_bfe_u32 v17, v12, 16, 1
	v_or_b32_e32 v18, 0x400000, v12
	v_cmp_u_f32_e64 s4, v12, v12
	v_add3_u32 v17, v17, v12, 0x7fff
	v_cndmask_b32_e64 v12, v17, v18, s4
	v_or_b32_e32 v17, 0x400000, v1
	v_cmp_u_f32_e64 s4, v1, v1
	v_lshrrev_b32_e32 v12, 16, v12
	buffer_store_dword v12, off, s[0:3], s32 offset:824 ; 4-byte Folded Spill
	v_bfe_u32 v12, v1, 16, 1
	v_add3_u32 v12, v12, v1, 0x7fff
	v_cndmask_b32_e64 v1, v12, v17, s4
	v_or_b32_e32 v12, 0x400000, v0
	v_cmp_u_f32_e64 s4, v0, v0
	v_lshrrev_b32_e32 v1, 16, v1
	buffer_store_dword v1, off, s[0:3], s32 offset:828 ; 4-byte Folded Spill
	v_bfe_u32 v1, v0, 16, 1
	v_add3_u32 v1, v1, v0, 0x7fff
	v_cndmask_b32_e64 v0, v1, v12, s4
	v_lshrrev_b32_e32 v0, 16, v0
	buffer_store_dword v0, off, s[0:3], s32 offset:836 ; 4-byte Folded Spill
	v_mul_f32_e32 v0, v97, v28
	v_bfe_u32 v1, v0, 16, 1
	v_or_b32_e32 v12, 0x400000, v0
	v_cmp_u_f32_e64 s4, v0, v0
	v_add3_u32 v1, v1, v0, 0x7fff
	v_cndmask_b32_e64 v0, v1, v12, s4
	v_lshrrev_b32_e32 v0, 16, v0
	buffer_store_dword v0, off, s[0:3], s32 offset:832 ; 4-byte Folded Spill
	v_mul_f32_e32 v0, v97, v27
	v_bfe_u32 v1, v0, 16, 1
	v_or_b32_e32 v12, 0x400000, v0
	v_cmp_u_f32_e64 s4, v0, v0
	v_add3_u32 v1, v1, v0, 0x7fff
	v_cndmask_b32_e64 v0, v1, v12, s4
	v_lshrrev_b32_e32 v107, 16, v0
	s_and_saveexec_b32 s18, vcc_lo
	s_cbranch_execz .LBB372_3396
; %bb.3395:                             ;   in Loop: Header=BB372_2076 Depth=1
	s_clause 0x1
	buffer_load_dword v0, off, s[0:3], s32 offset:192
	buffer_load_dword v1, off, s[0:3], s32 offset:836
	s_waitcnt vmcnt(1)
	v_cmp_lt_i32_e64 s4, v124, v0
	s_waitcnt vmcnt(0)
	v_cndmask_b32_e64 v1, 0, v1, s4
	v_cmp_lt_i32_e64 s4, v11, v0
	buffer_store_dword v1, off, s[0:3], s32 offset:836 ; 4-byte Folded Spill
	buffer_load_dword v1, off, s[0:3], s32 offset:828 ; 4-byte Folded Reload
	s_waitcnt vmcnt(0)
	v_cndmask_b32_e64 v1, 0, v1, s4
	v_cmp_lt_i32_e64 s4, v10, v0
	buffer_store_dword v1, off, s[0:3], s32 offset:828 ; 4-byte Folded Spill
	buffer_load_dword v1, off, s[0:3], s32 offset:824 ; 4-byte Folded Reload
	s_waitcnt vmcnt(0)
	v_cndmask_b32_e64 v1, 0, v1, s4
	v_cmp_lt_i32_e64 s4, v102, v0
	buffer_store_dword v1, off, s[0:3], s32 offset:824 ; 4-byte Folded Spill
	buffer_load_dword v1, off, s[0:3], s32 offset:820 ; 4-byte Folded Reload
	s_waitcnt vmcnt(0)
	v_cndmask_b32_e64 v1, 0, v1, s4
	v_cmp_lt_i32_e64 s4, v101, v0
	buffer_store_dword v1, off, s[0:3], s32 offset:820 ; 4-byte Folded Spill
	buffer_load_dword v1, off, s[0:3], s32 offset:816 ; 4-byte Folded Reload
	s_waitcnt vmcnt(0)
	v_cndmask_b32_e64 v1, 0, v1, s4
	v_cmp_lt_i32_e64 s4, v100, v0
	buffer_store_dword v1, off, s[0:3], s32 offset:816 ; 4-byte Folded Spill
	buffer_load_dword v1, off, s[0:3], s32 offset:812 ; 4-byte Folded Reload
	s_waitcnt vmcnt(0)
	v_cndmask_b32_e64 v1, 0, v1, s4
	v_cmp_lt_i32_e64 s4, v99, v0
	buffer_store_dword v1, off, s[0:3], s32 offset:812 ; 4-byte Folded Spill
	buffer_load_dword v1, off, s[0:3], s32 offset:832 ; 4-byte Folded Reload
	s_waitcnt vmcnt(0)
	v_cndmask_b32_e64 v1, 0, v1, s4
	v_cmp_lt_i32_e64 s4, v65, v0
	buffer_store_dword v1, off, s[0:3], s32 offset:832 ; 4-byte Folded Spill
	v_cndmask_b32_e64 v107, 0, v107, s4
.LBB372_3396:                           ;   in Loop: Header=BB372_2076 Depth=1
	s_or_b32 exec_lo, exec_lo, s18
	flat_load_dwordx2 v[23:24], v[21:22] offset:1024
	v_mov_b32_e32 v1, 0
	v_mov_b32_e32 v0, 0
	s_waitcnt vmcnt(0) lgkmcnt(0)
	v_cmp_ne_u16_sdwa s4, v23, v13 src0_sel:BYTE_0 src1_sel:DWORD
	s_and_saveexec_b32 s18, s4
	s_cbranch_execz .LBB372_3404
; %bb.3397:                             ;   in Loop: Header=BB372_2076 Depth=1
	v_cmp_ne_u16_sdwa s4, v23, v103 src0_sel:BYTE_0 src1_sel:DWORD
	v_bfrev_b32_e32 v0, 1
	s_and_saveexec_b32 s19, s4
	s_cbranch_execz .LBB372_3403
; %bb.3398:                             ;   in Loop: Header=BB372_2076 Depth=1
	v_and_b32_e32 v12, 0x7f, v23
	v_mov_b32_e32 v0, 0x7f800001
	s_mov_b32 s20, exec_lo
	v_cmpx_ne_u32_e32 0x7f, v12
	s_cbranch_execz .LBB372_3402
; %bb.3399:                             ;   in Loop: Header=BB372_2076 Depth=1
	v_mov_b32_e32 v26, v24
	v_lshrrev_b32_e32 v0, 3, v12
	v_mov_b32_e32 v25, v23
	s_mov_b32 s21, exec_lo
	v_cmpx_gt_u32_e32 8, v12
; %bb.3400:                             ;   in Loop: Header=BB372_2076 Depth=1
	v_and_b32_e32 v0, 7, v23
	v_ffbh_u32_e32 v0, v0
	v_min_u32_e32 v0, 32, v0
	v_subrev_nc_u32_e32 v12, 28, v0
	v_sub_nc_u32_e32 v0, 29, v0
	v_lshlrev_b64 v[25:26], v12, v[23:24]
; %bb.3401:                             ;   in Loop: Header=BB372_2076 Depth=1
	s_or_b32 exec_lo, exec_lo, s21
	v_lshlrev_b32_e32 v12, 20, v25
	v_lshlrev_b32_e32 v17, 24, v23
	v_lshl_add_u32 v0, v0, 23, 0x3c000000
	v_and_b32_e32 v12, 0x700000, v12
	v_and_b32_e32 v17, 0x80000000, v17
	v_or3_b32 v0, v12, v17, v0
.LBB372_3402:                           ;   in Loop: Header=BB372_2076 Depth=1
	s_or_b32 exec_lo, exec_lo, s20
.LBB372_3403:                           ;   in Loop: Header=BB372_2076 Depth=1
	s_or_b32 exec_lo, exec_lo, s19
.LBB372_3404:                           ;   in Loop: Header=BB372_2076 Depth=1
	s_or_b32 exec_lo, exec_lo, s18
	v_cmp_ne_u16_sdwa s4, v23, v13 src0_sel:BYTE_1 src1_sel:DWORD
	s_and_saveexec_b32 s18, s4
	s_cbranch_execz .LBB372_3412
; %bb.3405:                             ;   in Loop: Header=BB372_2076 Depth=1
	v_cmp_ne_u16_sdwa s4, v23, v103 src0_sel:BYTE_1 src1_sel:DWORD
	v_bfrev_b32_e32 v1, 1
	s_and_saveexec_b32 s19, s4
	s_cbranch_execz .LBB372_3411
; %bb.3406:                             ;   in Loop: Header=BB372_2076 Depth=1
	v_mov_b32_e32 v1, 0xffff
	s_mov_b32 s20, exec_lo
	v_and_b32_sdwa v12, v1, v23 dst_sel:DWORD dst_unused:UNUSED_PAD src0_sel:DWORD src1_sel:BYTE_1
	v_mov_b32_e32 v1, 0x7f800001
	v_and_b32_e32 v17, 0x7f, v12
	v_cmpx_ne_u32_e32 0x7f, v17
	s_cbranch_execz .LBB372_3410
; %bb.3407:                             ;   in Loop: Header=BB372_2076 Depth=1
	v_and_b32_e32 v12, 7, v12
	v_mov_b32_e32 v26, v13
	v_lshrrev_b32_e32 v1, 3, v17
	s_mov_b32 s21, exec_lo
	v_mov_b32_e32 v25, v12
	v_cmpx_gt_u32_e32 8, v17
; %bb.3408:                             ;   in Loop: Header=BB372_2076 Depth=1
	v_ffbh_u32_e32 v1, v12
	v_min_u32_e32 v1, 32, v1
	v_subrev_nc_u32_e32 v17, 28, v1
	v_sub_nc_u32_e32 v1, 29, v1
	v_lshlrev_b64 v[17:18], v17, v[12:13]
	v_and_b32_e32 v25, 7, v17
; %bb.3409:                             ;   in Loop: Header=BB372_2076 Depth=1
	s_or_b32 exec_lo, exec_lo, s21
	v_lshlrev_b32_e32 v12, 16, v23
	v_lshlrev_b32_e32 v17, 20, v25
	v_lshl_add_u32 v1, v1, 23, 0x3c000000
	v_and_b32_e32 v12, 0x80000000, v12
	v_or3_b32 v1, v17, v12, v1
.LBB372_3410:                           ;   in Loop: Header=BB372_2076 Depth=1
	s_or_b32 exec_lo, exec_lo, s20
.LBB372_3411:                           ;   in Loop: Header=BB372_2076 Depth=1
	s_or_b32 exec_lo, exec_lo, s19
.LBB372_3412:                           ;   in Loop: Header=BB372_2076 Depth=1
	s_or_b32 exec_lo, exec_lo, s18
	v_and_b32_sdwa v12, v23, v113 dst_sel:DWORD dst_unused:UNUSED_PAD src0_sel:WORD_1 src1_sel:DWORD
	v_mov_b32_e32 v18, 0
	v_mov_b32_e32 v17, 0
	s_mov_b32 s18, exec_lo
	v_cmpx_ne_u16_e32 0, v12
	s_cbranch_execz .LBB372_3420
; %bb.3413:                             ;   in Loop: Header=BB372_2076 Depth=1
	v_bfrev_b32_e32 v17, 1
	s_mov_b32 s19, exec_lo
	v_cmpx_ne_u16_e32 0x80, v12
	s_cbranch_execz .LBB372_3419
; %bb.3414:                             ;   in Loop: Header=BB372_2076 Depth=1
	v_bfe_u32 v27, v23, 16, 7
	v_mov_b32_e32 v17, 0x7f800001
	s_mov_b32 s20, exec_lo
	v_cmpx_ne_u32_e32 0x7f, v27
	s_cbranch_execz .LBB372_3418
; %bb.3415:                             ;   in Loop: Header=BB372_2076 Depth=1
	v_and_b32_sdwa v12, v23, v114 dst_sel:DWORD dst_unused:UNUSED_PAD src0_sel:WORD_1 src1_sel:DWORD
	v_mov_b32_e32 v26, v13
	v_lshrrev_b32_e32 v17, 3, v27
	s_mov_b32 s21, exec_lo
	v_mov_b32_e32 v25, v12
	v_cmpx_gt_u32_e32 8, v27
; %bb.3416:                             ;   in Loop: Header=BB372_2076 Depth=1
	v_ffbh_u32_e32 v17, v12
	v_min_u32_e32 v17, 32, v17
	v_subrev_nc_u32_e32 v25, 28, v17
	v_sub_nc_u32_e32 v17, 29, v17
	v_lshlrev_b64 v[25:26], v25, v[12:13]
	v_and_b32_e32 v25, 7, v25
; %bb.3417:                             ;   in Loop: Header=BB372_2076 Depth=1
	s_or_b32 exec_lo, exec_lo, s21
	v_lshlrev_b32_sdwa v12, v115, v23 dst_sel:DWORD dst_unused:UNUSED_PAD src0_sel:DWORD src1_sel:WORD_1
	v_lshlrev_b32_e32 v25, 20, v25
	v_lshl_add_u32 v17, v17, 23, 0x3c000000
	v_and_b32_e32 v12, 0x80000000, v12
	v_or3_b32 v17, v25, v12, v17
.LBB372_3418:                           ;   in Loop: Header=BB372_2076 Depth=1
	s_or_b32 exec_lo, exec_lo, s20
.LBB372_3419:                           ;   in Loop: Header=BB372_2076 Depth=1
	s_or_b32 exec_lo, exec_lo, s19
.LBB372_3420:                           ;   in Loop: Header=BB372_2076 Depth=1
	s_or_b32 exec_lo, exec_lo, s18
	s_mov_b32 s18, exec_lo
	v_cmpx_lt_u32_e32 0xffffff, v23
	s_cbranch_execz .LBB372_3428
; %bb.3421:                             ;   in Loop: Header=BB372_2076 Depth=1
	v_cmp_ne_u32_sdwa s4, v23, v103 src0_sel:BYTE_3 src1_sel:DWORD
	v_bfrev_b32_e32 v18, 1
	s_and_saveexec_b32 s19, s4
	s_cbranch_execz .LBB372_3427
; %bb.3422:                             ;   in Loop: Header=BB372_2076 Depth=1
	v_bfe_u32 v27, v23, 24, 7
	v_mov_b32_e32 v18, 0x7f800001
	s_mov_b32 s20, exec_lo
	v_cmpx_ne_u32_e32 0x7f, v27
	s_cbranch_execz .LBB372_3426
; %bb.3423:                             ;   in Loop: Header=BB372_2076 Depth=1
	v_and_b32_sdwa v12, v23, v114 dst_sel:DWORD dst_unused:UNUSED_PAD src0_sel:BYTE_3 src1_sel:DWORD
	v_mov_b32_e32 v26, v13
	v_lshrrev_b32_e32 v18, 3, v27
	s_mov_b32 s21, exec_lo
	v_mov_b32_e32 v25, v12
	v_cmpx_gt_u32_e32 8, v27
; %bb.3424:                             ;   in Loop: Header=BB372_2076 Depth=1
	v_ffbh_u32_e32 v18, v12
	v_min_u32_e32 v18, 32, v18
	v_subrev_nc_u32_e32 v25, 28, v18
	v_sub_nc_u32_e32 v18, 29, v18
	v_lshlrev_b64 v[25:26], v25, v[12:13]
	v_and_b32_e32 v25, 7, v25
; %bb.3425:                             ;   in Loop: Header=BB372_2076 Depth=1
	s_or_b32 exec_lo, exec_lo, s21
	v_lshlrev_b32_sdwa v12, v115, v23 dst_sel:DWORD dst_unused:UNUSED_PAD src0_sel:DWORD src1_sel:BYTE_3
	v_lshlrev_b32_e32 v25, 20, v25
	v_lshl_add_u32 v18, v18, 23, 0x3c000000
	v_and_b32_e32 v12, 0x80000000, v12
	v_or3_b32 v18, v25, v12, v18
.LBB372_3426:                           ;   in Loop: Header=BB372_2076 Depth=1
	s_or_b32 exec_lo, exec_lo, s20
.LBB372_3427:                           ;   in Loop: Header=BB372_2076 Depth=1
	s_or_b32 exec_lo, exec_lo, s19
.LBB372_3428:                           ;   in Loop: Header=BB372_2076 Depth=1
	s_or_b32 exec_lo, exec_lo, s18
	v_mov_b32_e32 v12, v24
	v_cmp_ne_u16_sdwa s4, v24, v13 src0_sel:BYTE_0 src1_sel:DWORD
	v_mov_b32_e32 v30, 0
	v_mov_b32_e32 v29, 0
	s_and_saveexec_b32 s18, s4
	s_cbranch_execz .LBB372_3436
; %bb.3429:                             ;   in Loop: Header=BB372_2076 Depth=1
	v_cmp_ne_u16_sdwa s4, v24, v103 src0_sel:BYTE_0 src1_sel:DWORD
	v_bfrev_b32_e32 v29, 1
	s_and_saveexec_b32 s19, s4
	s_cbranch_execz .LBB372_3435
; %bb.3430:                             ;   in Loop: Header=BB372_2076 Depth=1
	v_and_b32_e32 v27, 0x7f, v24
	v_mov_b32_e32 v29, 0x7f800001
	s_mov_b32 s20, exec_lo
	v_cmpx_ne_u32_e32 0x7f, v27
	s_cbranch_execz .LBB372_3434
; %bb.3431:                             ;   in Loop: Header=BB372_2076 Depth=1
	v_mov_b32_e32 v26, v13
	v_mov_b32_e32 v25, v12
	v_lshrrev_b32_e32 v26, 3, v27
	s_mov_b32 s21, exec_lo
	v_cmpx_gt_u32_e32 8, v27
; %bb.3432:                             ;   in Loop: Header=BB372_2076 Depth=1
	v_and_b32_e32 v25, 7, v24
	v_ffbh_u32_e32 v25, v25
	v_min_u32_e32 v27, 32, v25
	v_subrev_nc_u32_e32 v25, 28, v27
	v_lshlrev_b64 v[25:26], v25, v[12:13]
	v_sub_nc_u32_e32 v26, 29, v27
; %bb.3433:                             ;   in Loop: Header=BB372_2076 Depth=1
	s_or_b32 exec_lo, exec_lo, s21
	v_lshlrev_b32_e32 v25, 20, v25
	v_lshlrev_b32_e32 v27, 24, v12
	v_lshl_add_u32 v26, v26, 23, 0x3c000000
	v_and_b32_e32 v25, 0x700000, v25
	v_and_b32_e32 v27, 0x80000000, v27
	v_or3_b32 v29, v25, v27, v26
.LBB372_3434:                           ;   in Loop: Header=BB372_2076 Depth=1
	s_or_b32 exec_lo, exec_lo, s20
.LBB372_3435:                           ;   in Loop: Header=BB372_2076 Depth=1
	s_or_b32 exec_lo, exec_lo, s19
.LBB372_3436:                           ;   in Loop: Header=BB372_2076 Depth=1
	s_or_b32 exec_lo, exec_lo, s18
	v_cmp_ne_u16_sdwa s4, v12, v13 src0_sel:BYTE_1 src1_sel:DWORD
	s_and_saveexec_b32 s18, s4
	s_cbranch_execz .LBB372_3444
; %bb.3437:                             ;   in Loop: Header=BB372_2076 Depth=1
	v_cmp_ne_u16_sdwa s4, v12, v103 src0_sel:BYTE_1 src1_sel:DWORD
	v_bfrev_b32_e32 v30, 1
	s_and_saveexec_b32 s19, s4
	s_cbranch_execz .LBB372_3443
; %bb.3438:                             ;   in Loop: Header=BB372_2076 Depth=1
	v_mov_b32_e32 v25, 0xffff
	v_mov_b32_e32 v30, 0x7f800001
	s_mov_b32 s20, exec_lo
	v_and_b32_sdwa v25, v25, v12 dst_sel:DWORD dst_unused:UNUSED_PAD src0_sel:DWORD src1_sel:BYTE_1
	v_and_b32_e32 v28, 0x7f, v25
	v_cmpx_ne_u32_e32 0x7f, v28
	s_cbranch_execz .LBB372_3442
; %bb.3439:                             ;   in Loop: Header=BB372_2076 Depth=1
	v_and_b32_e32 v25, 7, v25
	v_mov_b32_e32 v26, v13
	v_lshrrev_b32_e32 v27, 3, v28
	s_mov_b32 s21, exec_lo
	v_cmpx_gt_u32_e32 8, v28
; %bb.3440:                             ;   in Loop: Header=BB372_2076 Depth=1
	v_ffbh_u32_e32 v27, v25
	v_min_u32_e32 v27, 32, v27
	v_subrev_nc_u32_e32 v28, 28, v27
	v_sub_nc_u32_e32 v27, 29, v27
	v_lshlrev_b64 v[25:26], v28, v[25:26]
	v_and_b32_e32 v25, 7, v25
; %bb.3441:                             ;   in Loop: Header=BB372_2076 Depth=1
	s_or_b32 exec_lo, exec_lo, s21
	v_lshlrev_b32_e32 v12, 16, v12
	v_lshlrev_b32_e32 v25, 20, v25
	v_lshl_add_u32 v26, v27, 23, 0x3c000000
	v_and_b32_e32 v12, 0x80000000, v12
	v_or3_b32 v30, v25, v12, v26
.LBB372_3442:                           ;   in Loop: Header=BB372_2076 Depth=1
	s_or_b32 exec_lo, exec_lo, s20
.LBB372_3443:                           ;   in Loop: Header=BB372_2076 Depth=1
	s_or_b32 exec_lo, exec_lo, s19
.LBB372_3444:                           ;   in Loop: Header=BB372_2076 Depth=1
	s_or_b32 exec_lo, exec_lo, s18
	v_and_b32_sdwa v12, v24, v113 dst_sel:DWORD dst_unused:UNUSED_PAD src0_sel:WORD_1 src1_sel:DWORD
	v_mov_b32_e32 v27, 0
	v_mov_b32_e32 v28, 0
	s_mov_b32 s18, exec_lo
	v_cmpx_ne_u16_e32 0, v12
	s_cbranch_execz .LBB372_3452
; %bb.3445:                             ;   in Loop: Header=BB372_2076 Depth=1
	v_bfrev_b32_e32 v28, 1
	s_mov_b32 s19, exec_lo
	v_cmpx_ne_u16_e32 0x80, v12
	s_cbranch_execz .LBB372_3451
; %bb.3446:                             ;   in Loop: Header=BB372_2076 Depth=1
	v_bfe_u32 v31, v24, 16, 7
	v_mov_b32_e32 v28, 0x7f800001
	s_mov_b32 s20, exec_lo
	v_cmpx_ne_u32_e32 0x7f, v31
	s_cbranch_execz .LBB372_3450
; %bb.3447:                             ;   in Loop: Header=BB372_2076 Depth=1
	v_and_b32_sdwa v12, v24, v114 dst_sel:DWORD dst_unused:UNUSED_PAD src0_sel:WORD_1 src1_sel:DWORD
	v_mov_b32_e32 v26, v13
	v_lshrrev_b32_e32 v26, 3, v31
	s_mov_b32 s21, exec_lo
	v_mov_b32_e32 v25, v12
	v_cmpx_gt_u32_e32 8, v31
; %bb.3448:                             ;   in Loop: Header=BB372_2076 Depth=1
	v_ffbh_u32_e32 v25, v12
	v_min_u32_e32 v28, 32, v25
	v_subrev_nc_u32_e32 v25, 28, v28
	v_lshlrev_b64 v[25:26], v25, v[12:13]
	v_sub_nc_u32_e32 v26, 29, v28
	v_and_b32_e32 v25, 7, v25
; %bb.3449:                             ;   in Loop: Header=BB372_2076 Depth=1
	s_or_b32 exec_lo, exec_lo, s21
	v_lshlrev_b32_sdwa v12, v115, v24 dst_sel:DWORD dst_unused:UNUSED_PAD src0_sel:DWORD src1_sel:WORD_1
	v_lshlrev_b32_e32 v25, 20, v25
	v_lshl_add_u32 v26, v26, 23, 0x3c000000
	v_and_b32_e32 v12, 0x80000000, v12
	v_or3_b32 v28, v25, v12, v26
.LBB372_3450:                           ;   in Loop: Header=BB372_2076 Depth=1
	s_or_b32 exec_lo, exec_lo, s20
.LBB372_3451:                           ;   in Loop: Header=BB372_2076 Depth=1
	s_or_b32 exec_lo, exec_lo, s19
.LBB372_3452:                           ;   in Loop: Header=BB372_2076 Depth=1
	s_or_b32 exec_lo, exec_lo, s18
	s_mov_b32 s18, exec_lo
	v_cmpx_lt_u64_e64 s[6:7], v[23:24]
	s_cbranch_execz .LBB372_3460
; %bb.3453:                             ;   in Loop: Header=BB372_2076 Depth=1
	v_cmp_ne_u32_sdwa s4, v24, v103 src0_sel:BYTE_3 src1_sel:DWORD
	v_bfrev_b32_e32 v27, 1
	s_and_saveexec_b32 s19, s4
	s_cbranch_execz .LBB372_3459
; %bb.3454:                             ;   in Loop: Header=BB372_2076 Depth=1
	v_bfe_u32 v31, v24, 24, 7
	v_mov_b32_e32 v27, 0x7f800001
	s_mov_b32 s20, exec_lo
	v_cmpx_ne_u32_e32 0x7f, v31
	s_cbranch_execz .LBB372_3458
; %bb.3455:                             ;   in Loop: Header=BB372_2076 Depth=1
	v_and_b32_sdwa v12, v24, v114 dst_sel:DWORD dst_unused:UNUSED_PAD src0_sel:BYTE_3 src1_sel:DWORD
	v_mov_b32_e32 v26, v13
	v_lshrrev_b32_e32 v23, 3, v31
	s_mov_b32 s21, exec_lo
	v_mov_b32_e32 v25, v12
	v_cmpx_gt_u32_e32 8, v31
; %bb.3456:                             ;   in Loop: Header=BB372_2076 Depth=1
	v_ffbh_u32_e32 v23, v12
	v_min_u32_e32 v23, 32, v23
	v_subrev_nc_u32_e32 v25, 28, v23
	v_sub_nc_u32_e32 v23, 29, v23
	v_lshlrev_b64 v[25:26], v25, v[12:13]
	v_and_b32_e32 v25, 7, v25
; %bb.3457:                             ;   in Loop: Header=BB372_2076 Depth=1
	s_or_b32 exec_lo, exec_lo, s21
	v_lshlrev_b32_sdwa v12, v115, v24 dst_sel:DWORD dst_unused:UNUSED_PAD src0_sel:DWORD src1_sel:BYTE_3
	v_lshlrev_b32_e32 v24, 20, v25
	v_lshl_add_u32 v23, v23, 23, 0x3c000000
	v_and_b32_e32 v12, 0x80000000, v12
	v_or3_b32 v27, v24, v12, v23
.LBB372_3458:                           ;   in Loop: Header=BB372_2076 Depth=1
	s_or_b32 exec_lo, exec_lo, s20
.LBB372_3459:                           ;   in Loop: Header=BB372_2076 Depth=1
	s_or_b32 exec_lo, exec_lo, s19
.LBB372_3460:                           ;   in Loop: Header=BB372_2076 Depth=1
	s_or_b32 exec_lo, exec_lo, s18
	v_mul_f32_e32 v12, v97, v30
	v_mul_f32_e32 v1, v97, v1
	;; [unrolled: 1-line block ×3, first 2 shown]
	v_bfe_u32 v23, v12, 16, 1
	v_or_b32_e32 v24, 0x400000, v12
	v_cmp_u_f32_e64 s4, v12, v12
	v_add3_u32 v23, v23, v12, 0x7fff
	v_cndmask_b32_e64 v12, v23, v24, s4
	v_lshrrev_b32_e32 v108, 16, v12
	v_mul_f32_e32 v12, v97, v29
	v_bfe_u32 v23, v12, 16, 1
	v_or_b32_e32 v24, 0x400000, v12
	v_cmp_u_f32_e64 s4, v12, v12
	v_add3_u32 v23, v23, v12, 0x7fff
	v_cndmask_b32_e64 v12, v23, v24, s4
	v_lshrrev_b32_e32 v109, 16, v12
	v_mul_f32_e32 v12, v97, v18
	;; [unrolled: 7-line block ×3, first 2 shown]
	v_bfe_u32 v17, v12, 16, 1
	v_or_b32_e32 v18, 0x400000, v12
	v_cmp_u_f32_e64 s4, v12, v12
	v_add3_u32 v17, v17, v12, 0x7fff
	v_cndmask_b32_e64 v12, v17, v18, s4
	v_or_b32_e32 v17, 0x400000, v1
	v_cmp_u_f32_e64 s4, v1, v1
	v_lshrrev_b32_e32 v111, 16, v12
	v_bfe_u32 v12, v1, 16, 1
	v_add3_u32 v12, v12, v1, 0x7fff
	v_cndmask_b32_e64 v1, v12, v17, s4
	v_or_b32_e32 v12, 0x400000, v0
	v_cmp_u_f32_e64 s4, v0, v0
	v_lshrrev_b32_e32 v120, 16, v1
	v_bfe_u32 v1, v0, 16, 1
	v_add3_u32 v1, v1, v0, 0x7fff
	v_cndmask_b32_e64 v0, v1, v12, s4
	v_lshrrev_b32_e32 v122, 16, v0
	v_mul_f32_e32 v0, v97, v28
	v_bfe_u32 v1, v0, 16, 1
	v_or_b32_e32 v12, 0x400000, v0
	v_cmp_u_f32_e64 s4, v0, v0
	v_add3_u32 v1, v1, v0, 0x7fff
	v_cndmask_b32_e64 v0, v1, v12, s4
	v_lshrrev_b32_e32 v121, 16, v0
	v_mul_f32_e32 v0, v97, v27
	v_bfe_u32 v1, v0, 16, 1
	v_or_b32_e32 v12, 0x400000, v0
	v_cmp_u_f32_e64 s4, v0, v0
	v_add3_u32 v1, v1, v0, 0x7fff
	v_cndmask_b32_e64 v0, v1, v12, s4
	v_lshrrev_b32_e32 v123, 16, v0
	s_and_saveexec_b32 s18, vcc_lo
	s_cbranch_execz .LBB372_3462
; %bb.3461:                             ;   in Loop: Header=BB372_2076 Depth=1
	buffer_load_dword v0, off, s[0:3], s32 offset:192 ; 4-byte Folded Reload
	s_waitcnt vmcnt(0)
	v_cmp_lt_i32_e64 s4, v124, v0
	v_cndmask_b32_e64 v122, 0, v122, s4
	v_cmp_lt_i32_e64 s4, v11, v0
	v_cndmask_b32_e64 v120, 0, v120, s4
	;; [unrolled: 2-line block ×8, first 2 shown]
.LBB372_3462:                           ;   in Loop: Header=BB372_2076 Depth=1
	s_or_b32 exec_lo, exec_lo, s18
	flat_load_dwordx2 v[23:24], v[21:22] offset:1280
	v_mov_b32_e32 v1, 0
	v_mov_b32_e32 v0, 0
	s_waitcnt vmcnt(0) lgkmcnt(0)
	v_cmp_ne_u16_sdwa s4, v23, v13 src0_sel:BYTE_0 src1_sel:DWORD
	s_and_saveexec_b32 s18, s4
	s_cbranch_execz .LBB372_3470
; %bb.3463:                             ;   in Loop: Header=BB372_2076 Depth=1
	v_cmp_ne_u16_sdwa s4, v23, v103 src0_sel:BYTE_0 src1_sel:DWORD
	v_bfrev_b32_e32 v0, 1
	s_and_saveexec_b32 s19, s4
	s_cbranch_execz .LBB372_3469
; %bb.3464:                             ;   in Loop: Header=BB372_2076 Depth=1
	v_and_b32_e32 v12, 0x7f, v23
	v_mov_b32_e32 v0, 0x7f800001
	s_mov_b32 s20, exec_lo
	v_cmpx_ne_u32_e32 0x7f, v12
	s_cbranch_execz .LBB372_3468
; %bb.3465:                             ;   in Loop: Header=BB372_2076 Depth=1
	v_mov_b32_e32 v26, v24
	v_lshrrev_b32_e32 v0, 3, v12
	v_mov_b32_e32 v25, v23
	s_mov_b32 s21, exec_lo
	v_cmpx_gt_u32_e32 8, v12
; %bb.3466:                             ;   in Loop: Header=BB372_2076 Depth=1
	v_and_b32_e32 v0, 7, v23
	v_ffbh_u32_e32 v0, v0
	v_min_u32_e32 v0, 32, v0
	v_subrev_nc_u32_e32 v12, 28, v0
	v_sub_nc_u32_e32 v0, 29, v0
	v_lshlrev_b64 v[25:26], v12, v[23:24]
; %bb.3467:                             ;   in Loop: Header=BB372_2076 Depth=1
	s_or_b32 exec_lo, exec_lo, s21
	v_lshlrev_b32_e32 v12, 20, v25
	v_lshlrev_b32_e32 v17, 24, v23
	v_lshl_add_u32 v0, v0, 23, 0x3c000000
	v_and_b32_e32 v12, 0x700000, v12
	v_and_b32_e32 v17, 0x80000000, v17
	v_or3_b32 v0, v12, v17, v0
.LBB372_3468:                           ;   in Loop: Header=BB372_2076 Depth=1
	s_or_b32 exec_lo, exec_lo, s20
.LBB372_3469:                           ;   in Loop: Header=BB372_2076 Depth=1
	s_or_b32 exec_lo, exec_lo, s19
.LBB372_3470:                           ;   in Loop: Header=BB372_2076 Depth=1
	s_or_b32 exec_lo, exec_lo, s18
	v_cmp_ne_u16_sdwa s4, v23, v13 src0_sel:BYTE_1 src1_sel:DWORD
	s_and_saveexec_b32 s18, s4
	s_cbranch_execz .LBB372_3478
; %bb.3471:                             ;   in Loop: Header=BB372_2076 Depth=1
	v_cmp_ne_u16_sdwa s4, v23, v103 src0_sel:BYTE_1 src1_sel:DWORD
	v_bfrev_b32_e32 v1, 1
	s_and_saveexec_b32 s19, s4
	s_cbranch_execz .LBB372_3477
; %bb.3472:                             ;   in Loop: Header=BB372_2076 Depth=1
	v_mov_b32_e32 v1, 0xffff
	s_mov_b32 s20, exec_lo
	v_and_b32_sdwa v12, v1, v23 dst_sel:DWORD dst_unused:UNUSED_PAD src0_sel:DWORD src1_sel:BYTE_1
	v_mov_b32_e32 v1, 0x7f800001
	v_and_b32_e32 v17, 0x7f, v12
	v_cmpx_ne_u32_e32 0x7f, v17
	s_cbranch_execz .LBB372_3476
; %bb.3473:                             ;   in Loop: Header=BB372_2076 Depth=1
	v_and_b32_e32 v12, 7, v12
	v_mov_b32_e32 v26, v13
	v_lshrrev_b32_e32 v1, 3, v17
	s_mov_b32 s21, exec_lo
	v_mov_b32_e32 v25, v12
	v_cmpx_gt_u32_e32 8, v17
; %bb.3474:                             ;   in Loop: Header=BB372_2076 Depth=1
	v_ffbh_u32_e32 v1, v12
	v_min_u32_e32 v1, 32, v1
	v_subrev_nc_u32_e32 v17, 28, v1
	v_sub_nc_u32_e32 v1, 29, v1
	v_lshlrev_b64 v[17:18], v17, v[12:13]
	v_and_b32_e32 v25, 7, v17
; %bb.3475:                             ;   in Loop: Header=BB372_2076 Depth=1
	s_or_b32 exec_lo, exec_lo, s21
	v_lshlrev_b32_e32 v12, 16, v23
	v_lshlrev_b32_e32 v17, 20, v25
	v_lshl_add_u32 v1, v1, 23, 0x3c000000
	v_and_b32_e32 v12, 0x80000000, v12
	v_or3_b32 v1, v17, v12, v1
.LBB372_3476:                           ;   in Loop: Header=BB372_2076 Depth=1
	s_or_b32 exec_lo, exec_lo, s20
.LBB372_3477:                           ;   in Loop: Header=BB372_2076 Depth=1
	s_or_b32 exec_lo, exec_lo, s19
.LBB372_3478:                           ;   in Loop: Header=BB372_2076 Depth=1
	s_or_b32 exec_lo, exec_lo, s18
	v_and_b32_sdwa v12, v23, v113 dst_sel:DWORD dst_unused:UNUSED_PAD src0_sel:WORD_1 src1_sel:DWORD
	v_mov_b32_e32 v18, 0
	v_mov_b32_e32 v17, 0
	s_mov_b32 s18, exec_lo
	v_cmpx_ne_u16_e32 0, v12
	s_cbranch_execz .LBB372_3486
; %bb.3479:                             ;   in Loop: Header=BB372_2076 Depth=1
	v_bfrev_b32_e32 v17, 1
	s_mov_b32 s19, exec_lo
	v_cmpx_ne_u16_e32 0x80, v12
	s_cbranch_execz .LBB372_3485
; %bb.3480:                             ;   in Loop: Header=BB372_2076 Depth=1
	v_bfe_u32 v27, v23, 16, 7
	v_mov_b32_e32 v17, 0x7f800001
	s_mov_b32 s20, exec_lo
	v_cmpx_ne_u32_e32 0x7f, v27
	s_cbranch_execz .LBB372_3484
; %bb.3481:                             ;   in Loop: Header=BB372_2076 Depth=1
	v_and_b32_sdwa v12, v23, v114 dst_sel:DWORD dst_unused:UNUSED_PAD src0_sel:WORD_1 src1_sel:DWORD
	v_mov_b32_e32 v26, v13
	v_lshrrev_b32_e32 v17, 3, v27
	s_mov_b32 s21, exec_lo
	v_mov_b32_e32 v25, v12
	v_cmpx_gt_u32_e32 8, v27
; %bb.3482:                             ;   in Loop: Header=BB372_2076 Depth=1
	v_ffbh_u32_e32 v17, v12
	v_min_u32_e32 v17, 32, v17
	v_subrev_nc_u32_e32 v25, 28, v17
	v_sub_nc_u32_e32 v17, 29, v17
	v_lshlrev_b64 v[25:26], v25, v[12:13]
	v_and_b32_e32 v25, 7, v25
; %bb.3483:                             ;   in Loop: Header=BB372_2076 Depth=1
	s_or_b32 exec_lo, exec_lo, s21
	v_lshlrev_b32_sdwa v12, v115, v23 dst_sel:DWORD dst_unused:UNUSED_PAD src0_sel:DWORD src1_sel:WORD_1
	v_lshlrev_b32_e32 v25, 20, v25
	v_lshl_add_u32 v17, v17, 23, 0x3c000000
	v_and_b32_e32 v12, 0x80000000, v12
	v_or3_b32 v17, v25, v12, v17
.LBB372_3484:                           ;   in Loop: Header=BB372_2076 Depth=1
	s_or_b32 exec_lo, exec_lo, s20
.LBB372_3485:                           ;   in Loop: Header=BB372_2076 Depth=1
	s_or_b32 exec_lo, exec_lo, s19
.LBB372_3486:                           ;   in Loop: Header=BB372_2076 Depth=1
	s_or_b32 exec_lo, exec_lo, s18
	s_mov_b32 s18, exec_lo
	v_cmpx_lt_u32_e32 0xffffff, v23
	s_cbranch_execz .LBB372_3494
; %bb.3487:                             ;   in Loop: Header=BB372_2076 Depth=1
	v_cmp_ne_u32_sdwa s4, v23, v103 src0_sel:BYTE_3 src1_sel:DWORD
	v_bfrev_b32_e32 v18, 1
	s_and_saveexec_b32 s19, s4
	s_cbranch_execz .LBB372_3493
; %bb.3488:                             ;   in Loop: Header=BB372_2076 Depth=1
	v_bfe_u32 v27, v23, 24, 7
	v_mov_b32_e32 v18, 0x7f800001
	s_mov_b32 s20, exec_lo
	v_cmpx_ne_u32_e32 0x7f, v27
	s_cbranch_execz .LBB372_3492
; %bb.3489:                             ;   in Loop: Header=BB372_2076 Depth=1
	v_and_b32_sdwa v12, v23, v114 dst_sel:DWORD dst_unused:UNUSED_PAD src0_sel:BYTE_3 src1_sel:DWORD
	v_mov_b32_e32 v26, v13
	v_lshrrev_b32_e32 v18, 3, v27
	s_mov_b32 s21, exec_lo
	v_mov_b32_e32 v25, v12
	v_cmpx_gt_u32_e32 8, v27
; %bb.3490:                             ;   in Loop: Header=BB372_2076 Depth=1
	v_ffbh_u32_e32 v18, v12
	v_min_u32_e32 v18, 32, v18
	v_subrev_nc_u32_e32 v25, 28, v18
	v_sub_nc_u32_e32 v18, 29, v18
	v_lshlrev_b64 v[25:26], v25, v[12:13]
	v_and_b32_e32 v25, 7, v25
; %bb.3491:                             ;   in Loop: Header=BB372_2076 Depth=1
	s_or_b32 exec_lo, exec_lo, s21
	v_lshlrev_b32_sdwa v12, v115, v23 dst_sel:DWORD dst_unused:UNUSED_PAD src0_sel:DWORD src1_sel:BYTE_3
	v_lshlrev_b32_e32 v25, 20, v25
	v_lshl_add_u32 v18, v18, 23, 0x3c000000
	v_and_b32_e32 v12, 0x80000000, v12
	v_or3_b32 v18, v25, v12, v18
.LBB372_3492:                           ;   in Loop: Header=BB372_2076 Depth=1
	s_or_b32 exec_lo, exec_lo, s20
.LBB372_3493:                           ;   in Loop: Header=BB372_2076 Depth=1
	s_or_b32 exec_lo, exec_lo, s19
.LBB372_3494:                           ;   in Loop: Header=BB372_2076 Depth=1
	s_or_b32 exec_lo, exec_lo, s18
	v_mov_b32_e32 v12, v24
	v_cmp_ne_u16_sdwa s4, v24, v13 src0_sel:BYTE_0 src1_sel:DWORD
	v_mov_b32_e32 v30, 0
	v_mov_b32_e32 v29, 0
	s_and_saveexec_b32 s18, s4
	s_cbranch_execz .LBB372_3502
; %bb.3495:                             ;   in Loop: Header=BB372_2076 Depth=1
	v_cmp_ne_u16_sdwa s4, v24, v103 src0_sel:BYTE_0 src1_sel:DWORD
	v_bfrev_b32_e32 v29, 1
	s_and_saveexec_b32 s19, s4
	s_cbranch_execz .LBB372_3501
; %bb.3496:                             ;   in Loop: Header=BB372_2076 Depth=1
	v_and_b32_e32 v27, 0x7f, v24
	v_mov_b32_e32 v29, 0x7f800001
	s_mov_b32 s20, exec_lo
	v_cmpx_ne_u32_e32 0x7f, v27
	s_cbranch_execz .LBB372_3500
; %bb.3497:                             ;   in Loop: Header=BB372_2076 Depth=1
	v_mov_b32_e32 v26, v13
	v_mov_b32_e32 v25, v12
	v_lshrrev_b32_e32 v26, 3, v27
	s_mov_b32 s21, exec_lo
	v_cmpx_gt_u32_e32 8, v27
; %bb.3498:                             ;   in Loop: Header=BB372_2076 Depth=1
	v_and_b32_e32 v25, 7, v24
	v_ffbh_u32_e32 v25, v25
	v_min_u32_e32 v27, 32, v25
	v_subrev_nc_u32_e32 v25, 28, v27
	v_lshlrev_b64 v[25:26], v25, v[12:13]
	v_sub_nc_u32_e32 v26, 29, v27
; %bb.3499:                             ;   in Loop: Header=BB372_2076 Depth=1
	s_or_b32 exec_lo, exec_lo, s21
	v_lshlrev_b32_e32 v25, 20, v25
	v_lshlrev_b32_e32 v27, 24, v12
	v_lshl_add_u32 v26, v26, 23, 0x3c000000
	v_and_b32_e32 v25, 0x700000, v25
	v_and_b32_e32 v27, 0x80000000, v27
	v_or3_b32 v29, v25, v27, v26
.LBB372_3500:                           ;   in Loop: Header=BB372_2076 Depth=1
	s_or_b32 exec_lo, exec_lo, s20
.LBB372_3501:                           ;   in Loop: Header=BB372_2076 Depth=1
	s_or_b32 exec_lo, exec_lo, s19
.LBB372_3502:                           ;   in Loop: Header=BB372_2076 Depth=1
	s_or_b32 exec_lo, exec_lo, s18
	v_cmp_ne_u16_sdwa s4, v12, v13 src0_sel:BYTE_1 src1_sel:DWORD
	s_and_saveexec_b32 s18, s4
	s_cbranch_execz .LBB372_3510
; %bb.3503:                             ;   in Loop: Header=BB372_2076 Depth=1
	v_cmp_ne_u16_sdwa s4, v12, v103 src0_sel:BYTE_1 src1_sel:DWORD
	v_bfrev_b32_e32 v30, 1
	s_and_saveexec_b32 s19, s4
	s_cbranch_execz .LBB372_3509
; %bb.3504:                             ;   in Loop: Header=BB372_2076 Depth=1
	v_mov_b32_e32 v25, 0xffff
	v_mov_b32_e32 v30, 0x7f800001
	s_mov_b32 s20, exec_lo
	v_and_b32_sdwa v25, v25, v12 dst_sel:DWORD dst_unused:UNUSED_PAD src0_sel:DWORD src1_sel:BYTE_1
	v_and_b32_e32 v28, 0x7f, v25
	v_cmpx_ne_u32_e32 0x7f, v28
	s_cbranch_execz .LBB372_3508
; %bb.3505:                             ;   in Loop: Header=BB372_2076 Depth=1
	v_and_b32_e32 v25, 7, v25
	v_mov_b32_e32 v26, v13
	v_lshrrev_b32_e32 v27, 3, v28
	s_mov_b32 s21, exec_lo
	v_cmpx_gt_u32_e32 8, v28
; %bb.3506:                             ;   in Loop: Header=BB372_2076 Depth=1
	v_ffbh_u32_e32 v27, v25
	v_min_u32_e32 v27, 32, v27
	v_subrev_nc_u32_e32 v28, 28, v27
	v_sub_nc_u32_e32 v27, 29, v27
	v_lshlrev_b64 v[25:26], v28, v[25:26]
	v_and_b32_e32 v25, 7, v25
; %bb.3507:                             ;   in Loop: Header=BB372_2076 Depth=1
	s_or_b32 exec_lo, exec_lo, s21
	v_lshlrev_b32_e32 v12, 16, v12
	v_lshlrev_b32_e32 v25, 20, v25
	v_lshl_add_u32 v26, v27, 23, 0x3c000000
	v_and_b32_e32 v12, 0x80000000, v12
	v_or3_b32 v30, v25, v12, v26
.LBB372_3508:                           ;   in Loop: Header=BB372_2076 Depth=1
	s_or_b32 exec_lo, exec_lo, s20
.LBB372_3509:                           ;   in Loop: Header=BB372_2076 Depth=1
	s_or_b32 exec_lo, exec_lo, s19
.LBB372_3510:                           ;   in Loop: Header=BB372_2076 Depth=1
	s_or_b32 exec_lo, exec_lo, s18
	v_and_b32_sdwa v12, v24, v113 dst_sel:DWORD dst_unused:UNUSED_PAD src0_sel:WORD_1 src1_sel:DWORD
	v_mov_b32_e32 v27, 0
	v_mov_b32_e32 v28, 0
	s_mov_b32 s18, exec_lo
	v_cmpx_ne_u16_e32 0, v12
	s_cbranch_execz .LBB372_3518
; %bb.3511:                             ;   in Loop: Header=BB372_2076 Depth=1
	v_bfrev_b32_e32 v28, 1
	s_mov_b32 s19, exec_lo
	v_cmpx_ne_u16_e32 0x80, v12
	s_cbranch_execz .LBB372_3517
; %bb.3512:                             ;   in Loop: Header=BB372_2076 Depth=1
	v_bfe_u32 v31, v24, 16, 7
	v_mov_b32_e32 v28, 0x7f800001
	s_mov_b32 s20, exec_lo
	v_cmpx_ne_u32_e32 0x7f, v31
	s_cbranch_execz .LBB372_3516
; %bb.3513:                             ;   in Loop: Header=BB372_2076 Depth=1
	v_and_b32_sdwa v12, v24, v114 dst_sel:DWORD dst_unused:UNUSED_PAD src0_sel:WORD_1 src1_sel:DWORD
	v_mov_b32_e32 v26, v13
	v_lshrrev_b32_e32 v26, 3, v31
	s_mov_b32 s21, exec_lo
	v_mov_b32_e32 v25, v12
	v_cmpx_gt_u32_e32 8, v31
; %bb.3514:                             ;   in Loop: Header=BB372_2076 Depth=1
	v_ffbh_u32_e32 v25, v12
	v_min_u32_e32 v28, 32, v25
	v_subrev_nc_u32_e32 v25, 28, v28
	v_lshlrev_b64 v[25:26], v25, v[12:13]
	v_sub_nc_u32_e32 v26, 29, v28
	v_and_b32_e32 v25, 7, v25
; %bb.3515:                             ;   in Loop: Header=BB372_2076 Depth=1
	s_or_b32 exec_lo, exec_lo, s21
	v_lshlrev_b32_sdwa v12, v115, v24 dst_sel:DWORD dst_unused:UNUSED_PAD src0_sel:DWORD src1_sel:WORD_1
	v_lshlrev_b32_e32 v25, 20, v25
	v_lshl_add_u32 v26, v26, 23, 0x3c000000
	v_and_b32_e32 v12, 0x80000000, v12
	v_or3_b32 v28, v25, v12, v26
.LBB372_3516:                           ;   in Loop: Header=BB372_2076 Depth=1
	s_or_b32 exec_lo, exec_lo, s20
.LBB372_3517:                           ;   in Loop: Header=BB372_2076 Depth=1
	s_or_b32 exec_lo, exec_lo, s19
.LBB372_3518:                           ;   in Loop: Header=BB372_2076 Depth=1
	s_or_b32 exec_lo, exec_lo, s18
	s_mov_b32 s18, exec_lo
	v_cmpx_lt_u64_e64 s[6:7], v[23:24]
	s_cbranch_execz .LBB372_3526
; %bb.3519:                             ;   in Loop: Header=BB372_2076 Depth=1
	v_cmp_ne_u32_sdwa s4, v24, v103 src0_sel:BYTE_3 src1_sel:DWORD
	v_bfrev_b32_e32 v27, 1
	s_and_saveexec_b32 s19, s4
	s_cbranch_execz .LBB372_3525
; %bb.3520:                             ;   in Loop: Header=BB372_2076 Depth=1
	v_bfe_u32 v31, v24, 24, 7
	v_mov_b32_e32 v27, 0x7f800001
	s_mov_b32 s20, exec_lo
	v_cmpx_ne_u32_e32 0x7f, v31
	s_cbranch_execz .LBB372_3524
; %bb.3521:                             ;   in Loop: Header=BB372_2076 Depth=1
	v_and_b32_sdwa v12, v24, v114 dst_sel:DWORD dst_unused:UNUSED_PAD src0_sel:BYTE_3 src1_sel:DWORD
	v_mov_b32_e32 v26, v13
	v_lshrrev_b32_e32 v23, 3, v31
	s_mov_b32 s21, exec_lo
	v_mov_b32_e32 v25, v12
	v_cmpx_gt_u32_e32 8, v31
; %bb.3522:                             ;   in Loop: Header=BB372_2076 Depth=1
	v_ffbh_u32_e32 v23, v12
	v_min_u32_e32 v23, 32, v23
	v_subrev_nc_u32_e32 v25, 28, v23
	v_sub_nc_u32_e32 v23, 29, v23
	v_lshlrev_b64 v[25:26], v25, v[12:13]
	v_and_b32_e32 v25, 7, v25
; %bb.3523:                             ;   in Loop: Header=BB372_2076 Depth=1
	s_or_b32 exec_lo, exec_lo, s21
	v_lshlrev_b32_sdwa v12, v115, v24 dst_sel:DWORD dst_unused:UNUSED_PAD src0_sel:DWORD src1_sel:BYTE_3
	v_lshlrev_b32_e32 v24, 20, v25
	v_lshl_add_u32 v23, v23, 23, 0x3c000000
	v_and_b32_e32 v12, 0x80000000, v12
	v_or3_b32 v27, v24, v12, v23
.LBB372_3524:                           ;   in Loop: Header=BB372_2076 Depth=1
	s_or_b32 exec_lo, exec_lo, s20
.LBB372_3525:                           ;   in Loop: Header=BB372_2076 Depth=1
	s_or_b32 exec_lo, exec_lo, s19
.LBB372_3526:                           ;   in Loop: Header=BB372_2076 Depth=1
	s_or_b32 exec_lo, exec_lo, s18
	v_mul_f32_e32 v12, v97, v30
	v_mul_f32_e32 v1, v97, v1
	;; [unrolled: 1-line block ×3, first 2 shown]
	v_bfe_u32 v23, v12, 16, 1
	v_or_b32_e32 v24, 0x400000, v12
	v_cmp_u_f32_e64 s4, v12, v12
	v_add3_u32 v23, v23, v12, 0x7fff
	v_cndmask_b32_e64 v12, v23, v24, s4
	v_lshrrev_b32_e32 v125, 16, v12
	v_mul_f32_e32 v12, v97, v29
	v_bfe_u32 v23, v12, 16, 1
	v_or_b32_e32 v24, 0x400000, v12
	v_cmp_u_f32_e64 s4, v12, v12
	v_add3_u32 v23, v23, v12, 0x7fff
	v_cndmask_b32_e64 v12, v23, v24, s4
	v_lshrrev_b32_e32 v126, 16, v12
	v_mul_f32_e32 v12, v97, v18
	;; [unrolled: 7-line block ×3, first 2 shown]
	v_bfe_u32 v17, v12, 16, 1
	v_or_b32_e32 v18, 0x400000, v12
	v_cmp_u_f32_e64 s4, v12, v12
	v_add3_u32 v17, v17, v12, 0x7fff
	v_cndmask_b32_e64 v12, v17, v18, s4
	v_or_b32_e32 v17, 0x400000, v1
	v_cmp_u_f32_e64 s4, v1, v1
	v_lshrrev_b32_e32 v32, 16, v12
	v_bfe_u32 v12, v1, 16, 1
	v_add3_u32 v12, v12, v1, 0x7fff
	v_cndmask_b32_e64 v1, v12, v17, s4
	v_bfe_u32 v12, v0, 16, 1
	v_or_b32_e32 v17, 0x400000, v0
	v_cmp_u_f32_e64 s4, v0, v0
	v_lshrrev_b32_e32 v1, 16, v1
	v_add3_u32 v12, v12, v0, 0x7fff
	v_cndmask_b32_e64 v0, v12, v17, s4
	v_lshrrev_b32_e32 v31, 16, v0
	v_mul_f32_e32 v0, v97, v28
	v_bfe_u32 v12, v0, 16, 1
	v_or_b32_e32 v17, 0x400000, v0
	v_cmp_u_f32_e64 s4, v0, v0
	v_add3_u32 v12, v12, v0, 0x7fff
	v_cndmask_b32_e64 v0, v12, v17, s4
	v_mul_f32_e32 v12, v97, v27
	v_lshrrev_b32_e32 v0, 16, v0
	v_bfe_u32 v17, v12, 16, 1
	v_or_b32_e32 v18, 0x400000, v12
	v_cmp_u_f32_e64 s4, v12, v12
	v_add3_u32 v17, v17, v12, 0x7fff
	v_cndmask_b32_e64 v12, v17, v18, s4
	v_lshrrev_b32_e32 v30, 16, v12
	s_and_saveexec_b32 s18, vcc_lo
	s_cbranch_execz .LBB372_3528
; %bb.3527:                             ;   in Loop: Header=BB372_2076 Depth=1
	buffer_load_dword v12, off, s[0:3], s32 offset:192 ; 4-byte Folded Reload
	s_waitcnt vmcnt(0)
	v_cmp_lt_i32_e64 s4, v124, v12
	v_cndmask_b32_e64 v31, 0, v31, s4
	v_cmp_lt_i32_e64 s4, v11, v12
	v_cndmask_b32_e64 v1, 0, v1, s4
	;; [unrolled: 2-line block ×8, first 2 shown]
.LBB372_3528:                           ;   in Loop: Header=BB372_2076 Depth=1
	s_or_b32 exec_lo, exec_lo, s18
	flat_load_dwordx2 v[23:24], v[21:22] offset:1536
	v_mov_b32_e32 v17, 0
	v_mov_b32_e32 v27, 0
	s_waitcnt vmcnt(0) lgkmcnt(0)
	v_cmp_ne_u16_sdwa s4, v23, v13 src0_sel:BYTE_0 src1_sel:DWORD
	s_and_saveexec_b32 s18, s4
	s_cbranch_execz .LBB372_3536
; %bb.3529:                             ;   in Loop: Header=BB372_2076 Depth=1
	v_cmp_ne_u16_sdwa s4, v23, v103 src0_sel:BYTE_0 src1_sel:DWORD
	v_bfrev_b32_e32 v27, 1
	s_and_saveexec_b32 s19, s4
	s_cbranch_execz .LBB372_3535
; %bb.3530:                             ;   in Loop: Header=BB372_2076 Depth=1
	v_and_b32_e32 v18, 0x7f, v23
	v_mov_b32_e32 v27, 0x7f800001
	s_mov_b32 s20, exec_lo
	v_cmpx_ne_u32_e32 0x7f, v18
	s_cbranch_execz .LBB372_3534
; %bb.3531:                             ;   in Loop: Header=BB372_2076 Depth=1
	v_mov_b32_e32 v26, v24
	v_lshrrev_b32_e32 v12, 3, v18
	v_mov_b32_e32 v25, v23
	s_mov_b32 s21, exec_lo
	v_cmpx_gt_u32_e32 8, v18
; %bb.3532:                             ;   in Loop: Header=BB372_2076 Depth=1
	v_and_b32_e32 v12, 7, v23
	v_ffbh_u32_e32 v12, v12
	v_min_u32_e32 v12, 32, v12
	v_subrev_nc_u32_e32 v18, 28, v12
	v_sub_nc_u32_e32 v12, 29, v12
	v_lshlrev_b64 v[25:26], v18, v[23:24]
; %bb.3533:                             ;   in Loop: Header=BB372_2076 Depth=1
	s_or_b32 exec_lo, exec_lo, s21
	v_lshlrev_b32_e32 v18, 20, v25
	v_lshlrev_b32_e32 v25, 24, v23
	v_lshl_add_u32 v12, v12, 23, 0x3c000000
	v_and_b32_e32 v18, 0x700000, v18
	v_and_b32_e32 v25, 0x80000000, v25
	v_or3_b32 v27, v18, v25, v12
.LBB372_3534:                           ;   in Loop: Header=BB372_2076 Depth=1
	s_or_b32 exec_lo, exec_lo, s20
.LBB372_3535:                           ;   in Loop: Header=BB372_2076 Depth=1
	s_or_b32 exec_lo, exec_lo, s19
.LBB372_3536:                           ;   in Loop: Header=BB372_2076 Depth=1
	s_or_b32 exec_lo, exec_lo, s18
	v_cmp_ne_u16_sdwa s4, v23, v13 src0_sel:BYTE_1 src1_sel:DWORD
	s_and_saveexec_b32 s18, s4
	s_cbranch_execz .LBB372_3544
; %bb.3537:                             ;   in Loop: Header=BB372_2076 Depth=1
	v_cmp_ne_u16_sdwa s4, v23, v103 src0_sel:BYTE_1 src1_sel:DWORD
	v_bfrev_b32_e32 v17, 1
	s_and_saveexec_b32 s19, s4
	s_cbranch_execz .LBB372_3543
; %bb.3538:                             ;   in Loop: Header=BB372_2076 Depth=1
	v_mov_b32_e32 v12, 0xffff
	v_mov_b32_e32 v17, 0x7f800001
	s_mov_b32 s20, exec_lo
	v_and_b32_sdwa v12, v12, v23 dst_sel:DWORD dst_unused:UNUSED_PAD src0_sel:DWORD src1_sel:BYTE_1
	v_and_b32_e32 v18, 0x7f, v12
	v_cmpx_ne_u32_e32 0x7f, v18
	s_cbranch_execz .LBB372_3542
; %bb.3539:                             ;   in Loop: Header=BB372_2076 Depth=1
	v_and_b32_e32 v12, 7, v12
	v_mov_b32_e32 v26, v13
	v_lshrrev_b32_e32 v17, 3, v18
	s_mov_b32 s21, exec_lo
	v_mov_b32_e32 v25, v12
	v_cmpx_gt_u32_e32 8, v18
; %bb.3540:                             ;   in Loop: Header=BB372_2076 Depth=1
	v_ffbh_u32_e32 v17, v12
	v_min_u32_e32 v17, 32, v17
	v_subrev_nc_u32_e32 v18, 28, v17
	v_sub_nc_u32_e32 v17, 29, v17
	v_lshlrev_b64 v[25:26], v18, v[12:13]
	v_and_b32_e32 v25, 7, v25
; %bb.3541:                             ;   in Loop: Header=BB372_2076 Depth=1
	s_or_b32 exec_lo, exec_lo, s21
	v_lshlrev_b32_e32 v12, 16, v23
	v_lshlrev_b32_e32 v18, 20, v25
	v_lshl_add_u32 v17, v17, 23, 0x3c000000
	v_and_b32_e32 v12, 0x80000000, v12
	v_or3_b32 v17, v18, v12, v17
.LBB372_3542:                           ;   in Loop: Header=BB372_2076 Depth=1
	s_or_b32 exec_lo, exec_lo, s20
.LBB372_3543:                           ;   in Loop: Header=BB372_2076 Depth=1
	s_or_b32 exec_lo, exec_lo, s19
.LBB372_3544:                           ;   in Loop: Header=BB372_2076 Depth=1
	s_or_b32 exec_lo, exec_lo, s18
	v_and_b32_sdwa v12, v23, v113 dst_sel:DWORD dst_unused:UNUSED_PAD src0_sel:WORD_1 src1_sel:DWORD
	v_mov_b32_e32 v28, 0
	v_mov_b32_e32 v18, 0
	s_mov_b32 s18, exec_lo
	v_cmpx_ne_u16_e32 0, v12
	s_cbranch_execz .LBB372_3552
; %bb.3545:                             ;   in Loop: Header=BB372_2076 Depth=1
	v_bfrev_b32_e32 v18, 1
	s_mov_b32 s19, exec_lo
	v_cmpx_ne_u16_e32 0x80, v12
	s_cbranch_execz .LBB372_3551
; %bb.3546:                             ;   in Loop: Header=BB372_2076 Depth=1
	v_bfe_u32 v29, v23, 16, 7
	v_mov_b32_e32 v18, 0x7f800001
	s_mov_b32 s20, exec_lo
	v_cmpx_ne_u32_e32 0x7f, v29
	s_cbranch_execz .LBB372_3550
; %bb.3547:                             ;   in Loop: Header=BB372_2076 Depth=1
	v_and_b32_sdwa v12, v23, v114 dst_sel:DWORD dst_unused:UNUSED_PAD src0_sel:WORD_1 src1_sel:DWORD
	v_mov_b32_e32 v26, v13
	v_lshrrev_b32_e32 v18, 3, v29
	s_mov_b32 s21, exec_lo
	v_mov_b32_e32 v25, v12
	v_cmpx_gt_u32_e32 8, v29
; %bb.3548:                             ;   in Loop: Header=BB372_2076 Depth=1
	v_ffbh_u32_e32 v18, v12
	v_min_u32_e32 v18, 32, v18
	v_subrev_nc_u32_e32 v25, 28, v18
	v_sub_nc_u32_e32 v18, 29, v18
	v_lshlrev_b64 v[25:26], v25, v[12:13]
	v_and_b32_e32 v25, 7, v25
; %bb.3549:                             ;   in Loop: Header=BB372_2076 Depth=1
	s_or_b32 exec_lo, exec_lo, s21
	v_lshlrev_b32_sdwa v12, v115, v23 dst_sel:DWORD dst_unused:UNUSED_PAD src0_sel:DWORD src1_sel:WORD_1
	v_lshlrev_b32_e32 v25, 20, v25
	v_lshl_add_u32 v18, v18, 23, 0x3c000000
	v_and_b32_e32 v12, 0x80000000, v12
	v_or3_b32 v18, v25, v12, v18
.LBB372_3550:                           ;   in Loop: Header=BB372_2076 Depth=1
	s_or_b32 exec_lo, exec_lo, s20
.LBB372_3551:                           ;   in Loop: Header=BB372_2076 Depth=1
	s_or_b32 exec_lo, exec_lo, s19
.LBB372_3552:                           ;   in Loop: Header=BB372_2076 Depth=1
	s_or_b32 exec_lo, exec_lo, s18
	s_mov_b32 s18, exec_lo
	v_cmpx_lt_u32_e32 0xffffff, v23
	s_cbranch_execz .LBB372_3560
; %bb.3553:                             ;   in Loop: Header=BB372_2076 Depth=1
	v_cmp_ne_u32_sdwa s4, v23, v103 src0_sel:BYTE_3 src1_sel:DWORD
	v_bfrev_b32_e32 v28, 1
	s_and_saveexec_b32 s19, s4
	s_cbranch_execz .LBB372_3559
; %bb.3554:                             ;   in Loop: Header=BB372_2076 Depth=1
	v_bfe_u32 v29, v23, 24, 7
	v_mov_b32_e32 v28, 0x7f800001
	s_mov_b32 s20, exec_lo
	v_cmpx_ne_u32_e32 0x7f, v29
	s_cbranch_execz .LBB372_3558
; %bb.3555:                             ;   in Loop: Header=BB372_2076 Depth=1
	v_and_b32_sdwa v12, v23, v114 dst_sel:DWORD dst_unused:UNUSED_PAD src0_sel:BYTE_3 src1_sel:DWORD
	v_mov_b32_e32 v26, v13
	v_lshrrev_b32_e32 v26, 3, v29
	s_mov_b32 s21, exec_lo
	v_mov_b32_e32 v25, v12
	v_cmpx_gt_u32_e32 8, v29
; %bb.3556:                             ;   in Loop: Header=BB372_2076 Depth=1
	v_ffbh_u32_e32 v25, v12
	v_min_u32_e32 v28, 32, v25
	v_subrev_nc_u32_e32 v25, 28, v28
	v_lshlrev_b64 v[25:26], v25, v[12:13]
	v_sub_nc_u32_e32 v26, 29, v28
	v_and_b32_e32 v25, 7, v25
; %bb.3557:                             ;   in Loop: Header=BB372_2076 Depth=1
	s_or_b32 exec_lo, exec_lo, s21
	v_lshlrev_b32_sdwa v12, v115, v23 dst_sel:DWORD dst_unused:UNUSED_PAD src0_sel:DWORD src1_sel:BYTE_3
	v_lshlrev_b32_e32 v25, 20, v25
	v_lshl_add_u32 v26, v26, 23, 0x3c000000
	v_and_b32_e32 v12, 0x80000000, v12
	v_or3_b32 v28, v25, v12, v26
.LBB372_3558:                           ;   in Loop: Header=BB372_2076 Depth=1
	s_or_b32 exec_lo, exec_lo, s20
.LBB372_3559:                           ;   in Loop: Header=BB372_2076 Depth=1
	s_or_b32 exec_lo, exec_lo, s19
.LBB372_3560:                           ;   in Loop: Header=BB372_2076 Depth=1
	s_or_b32 exec_lo, exec_lo, s18
	v_mov_b32_e32 v12, v24
	v_cmp_ne_u16_sdwa s4, v24, v13 src0_sel:BYTE_0 src1_sel:DWORD
	v_mov_b32_e32 v34, 0
	v_mov_b32_e32 v33, 0
	s_and_saveexec_b32 s18, s4
	s_cbranch_execz .LBB372_3568
; %bb.3561:                             ;   in Loop: Header=BB372_2076 Depth=1
	v_cmp_ne_u16_sdwa s4, v24, v103 src0_sel:BYTE_0 src1_sel:DWORD
	v_bfrev_b32_e32 v33, 1
	s_and_saveexec_b32 s19, s4
	s_cbranch_execz .LBB372_3567
; %bb.3562:                             ;   in Loop: Header=BB372_2076 Depth=1
	v_and_b32_e32 v29, 0x7f, v24
	v_mov_b32_e32 v33, 0x7f800001
	s_mov_b32 s20, exec_lo
	v_cmpx_ne_u32_e32 0x7f, v29
	s_cbranch_execz .LBB372_3566
; %bb.3563:                             ;   in Loop: Header=BB372_2076 Depth=1
	v_mov_b32_e32 v26, v13
	v_mov_b32_e32 v25, v12
	v_lshrrev_b32_e32 v26, 3, v29
	s_mov_b32 s21, exec_lo
	v_cmpx_gt_u32_e32 8, v29
; %bb.3564:                             ;   in Loop: Header=BB372_2076 Depth=1
	v_and_b32_e32 v25, 7, v24
	v_ffbh_u32_e32 v25, v25
	v_min_u32_e32 v29, 32, v25
	v_subrev_nc_u32_e32 v25, 28, v29
	v_lshlrev_b64 v[25:26], v25, v[12:13]
	v_sub_nc_u32_e32 v26, 29, v29
; %bb.3565:                             ;   in Loop: Header=BB372_2076 Depth=1
	s_or_b32 exec_lo, exec_lo, s21
	v_lshlrev_b32_e32 v25, 20, v25
	v_lshlrev_b32_e32 v29, 24, v12
	v_lshl_add_u32 v26, v26, 23, 0x3c000000
	v_and_b32_e32 v25, 0x700000, v25
	v_and_b32_e32 v29, 0x80000000, v29
	v_or3_b32 v33, v25, v29, v26
.LBB372_3566:                           ;   in Loop: Header=BB372_2076 Depth=1
	s_or_b32 exec_lo, exec_lo, s20
.LBB372_3567:                           ;   in Loop: Header=BB372_2076 Depth=1
	s_or_b32 exec_lo, exec_lo, s19
.LBB372_3568:                           ;   in Loop: Header=BB372_2076 Depth=1
	s_or_b32 exec_lo, exec_lo, s18
	v_cmp_ne_u16_sdwa s4, v12, v13 src0_sel:BYTE_1 src1_sel:DWORD
	s_and_saveexec_b32 s18, s4
	s_cbranch_execz .LBB372_3576
; %bb.3569:                             ;   in Loop: Header=BB372_2076 Depth=1
	v_cmp_ne_u16_sdwa s4, v12, v103 src0_sel:BYTE_1 src1_sel:DWORD
	v_bfrev_b32_e32 v34, 1
	s_and_saveexec_b32 s19, s4
	s_cbranch_execz .LBB372_3575
; %bb.3570:                             ;   in Loop: Header=BB372_2076 Depth=1
	v_mov_b32_e32 v25, 0xffff
	v_mov_b32_e32 v34, 0x7f800001
	s_mov_b32 s20, exec_lo
	v_and_b32_sdwa v25, v25, v12 dst_sel:DWORD dst_unused:UNUSED_PAD src0_sel:DWORD src1_sel:BYTE_1
	v_and_b32_e32 v35, 0x7f, v25
	v_cmpx_ne_u32_e32 0x7f, v35
	s_cbranch_execz .LBB372_3574
; %bb.3571:                             ;   in Loop: Header=BB372_2076 Depth=1
	v_and_b32_e32 v25, 7, v25
	v_mov_b32_e32 v26, v13
	v_lshrrev_b32_e32 v29, 3, v35
	s_mov_b32 s21, exec_lo
	v_cmpx_gt_u32_e32 8, v35
; %bb.3572:                             ;   in Loop: Header=BB372_2076 Depth=1
	v_ffbh_u32_e32 v29, v25
	v_min_u32_e32 v29, 32, v29
	v_subrev_nc_u32_e32 v34, 28, v29
	v_sub_nc_u32_e32 v29, 29, v29
	v_lshlrev_b64 v[25:26], v34, v[25:26]
	v_and_b32_e32 v25, 7, v25
; %bb.3573:                             ;   in Loop: Header=BB372_2076 Depth=1
	s_or_b32 exec_lo, exec_lo, s21
	v_lshlrev_b32_e32 v12, 16, v12
	v_lshlrev_b32_e32 v25, 20, v25
	v_lshl_add_u32 v26, v29, 23, 0x3c000000
	v_and_b32_e32 v12, 0x80000000, v12
	v_or3_b32 v34, v25, v12, v26
.LBB372_3574:                           ;   in Loop: Header=BB372_2076 Depth=1
	s_or_b32 exec_lo, exec_lo, s20
.LBB372_3575:                           ;   in Loop: Header=BB372_2076 Depth=1
	s_or_b32 exec_lo, exec_lo, s19
.LBB372_3576:                           ;   in Loop: Header=BB372_2076 Depth=1
	s_or_b32 exec_lo, exec_lo, s18
	v_and_b32_sdwa v12, v24, v113 dst_sel:DWORD dst_unused:UNUSED_PAD src0_sel:WORD_1 src1_sel:DWORD
	v_mov_b32_e32 v29, 0
	v_mov_b32_e32 v35, 0
	s_mov_b32 s18, exec_lo
	v_cmpx_ne_u16_e32 0, v12
	s_cbranch_execz .LBB372_3584
; %bb.3577:                             ;   in Loop: Header=BB372_2076 Depth=1
	v_bfrev_b32_e32 v35, 1
	s_mov_b32 s19, exec_lo
	v_cmpx_ne_u16_e32 0x80, v12
	s_cbranch_execz .LBB372_3583
; %bb.3578:                             ;   in Loop: Header=BB372_2076 Depth=1
	v_bfe_u32 v36, v24, 16, 7
	v_mov_b32_e32 v35, 0x7f800001
	s_mov_b32 s20, exec_lo
	v_cmpx_ne_u32_e32 0x7f, v36
	s_cbranch_execz .LBB372_3582
; %bb.3579:                             ;   in Loop: Header=BB372_2076 Depth=1
	v_and_b32_sdwa v12, v24, v114 dst_sel:DWORD dst_unused:UNUSED_PAD src0_sel:WORD_1 src1_sel:DWORD
	v_mov_b32_e32 v26, v13
	v_lshrrev_b32_e32 v26, 3, v36
	s_mov_b32 s21, exec_lo
	v_mov_b32_e32 v25, v12
	v_cmpx_gt_u32_e32 8, v36
; %bb.3580:                             ;   in Loop: Header=BB372_2076 Depth=1
	v_ffbh_u32_e32 v25, v12
	v_min_u32_e32 v35, 32, v25
	v_subrev_nc_u32_e32 v25, 28, v35
	v_lshlrev_b64 v[25:26], v25, v[12:13]
	v_sub_nc_u32_e32 v26, 29, v35
	v_and_b32_e32 v25, 7, v25
; %bb.3581:                             ;   in Loop: Header=BB372_2076 Depth=1
	s_or_b32 exec_lo, exec_lo, s21
	v_lshlrev_b32_sdwa v12, v115, v24 dst_sel:DWORD dst_unused:UNUSED_PAD src0_sel:DWORD src1_sel:WORD_1
	v_lshlrev_b32_e32 v25, 20, v25
	v_lshl_add_u32 v26, v26, 23, 0x3c000000
	v_and_b32_e32 v12, 0x80000000, v12
	v_or3_b32 v35, v25, v12, v26
.LBB372_3582:                           ;   in Loop: Header=BB372_2076 Depth=1
	s_or_b32 exec_lo, exec_lo, s20
.LBB372_3583:                           ;   in Loop: Header=BB372_2076 Depth=1
	s_or_b32 exec_lo, exec_lo, s19
.LBB372_3584:                           ;   in Loop: Header=BB372_2076 Depth=1
	s_or_b32 exec_lo, exec_lo, s18
	s_mov_b32 s18, exec_lo
	v_cmpx_lt_u64_e64 s[6:7], v[23:24]
	s_cbranch_execz .LBB372_3592
; %bb.3585:                             ;   in Loop: Header=BB372_2076 Depth=1
	v_cmp_ne_u32_sdwa s4, v24, v103 src0_sel:BYTE_3 src1_sel:DWORD
	v_bfrev_b32_e32 v29, 1
	s_and_saveexec_b32 s19, s4
	s_cbranch_execz .LBB372_3591
; %bb.3586:                             ;   in Loop: Header=BB372_2076 Depth=1
	v_bfe_u32 v36, v24, 24, 7
	v_mov_b32_e32 v29, 0x7f800001
	s_mov_b32 s20, exec_lo
	v_cmpx_ne_u32_e32 0x7f, v36
	s_cbranch_execz .LBB372_3590
; %bb.3587:                             ;   in Loop: Header=BB372_2076 Depth=1
	v_and_b32_sdwa v12, v24, v114 dst_sel:DWORD dst_unused:UNUSED_PAD src0_sel:BYTE_3 src1_sel:DWORD
	v_mov_b32_e32 v26, v13
	v_lshrrev_b32_e32 v23, 3, v36
	s_mov_b32 s21, exec_lo
	v_mov_b32_e32 v25, v12
	v_cmpx_gt_u32_e32 8, v36
; %bb.3588:                             ;   in Loop: Header=BB372_2076 Depth=1
	v_ffbh_u32_e32 v23, v12
	v_min_u32_e32 v23, 32, v23
	v_subrev_nc_u32_e32 v25, 28, v23
	v_sub_nc_u32_e32 v23, 29, v23
	v_lshlrev_b64 v[25:26], v25, v[12:13]
	v_and_b32_e32 v25, 7, v25
; %bb.3589:                             ;   in Loop: Header=BB372_2076 Depth=1
	s_or_b32 exec_lo, exec_lo, s21
	v_lshlrev_b32_sdwa v12, v115, v24 dst_sel:DWORD dst_unused:UNUSED_PAD src0_sel:DWORD src1_sel:BYTE_3
	v_lshlrev_b32_e32 v24, 20, v25
	v_lshl_add_u32 v23, v23, 23, 0x3c000000
	v_and_b32_e32 v12, 0x80000000, v12
	v_or3_b32 v29, v24, v12, v23
.LBB372_3590:                           ;   in Loop: Header=BB372_2076 Depth=1
	s_or_b32 exec_lo, exec_lo, s20
.LBB372_3591:                           ;   in Loop: Header=BB372_2076 Depth=1
	s_or_b32 exec_lo, exec_lo, s19
.LBB372_3592:                           ;   in Loop: Header=BB372_2076 Depth=1
	s_or_b32 exec_lo, exec_lo, s18
	v_mul_f32_e32 v12, v97, v34
	v_bfe_u32 v23, v12, 16, 1
	v_or_b32_e32 v24, 0x400000, v12
	v_cmp_u_f32_e64 s4, v12, v12
	v_add3_u32 v23, v23, v12, 0x7fff
	v_cndmask_b32_e64 v12, v23, v24, s4
	v_lshrrev_b32_e32 v25, 16, v12
	v_mul_f32_e32 v12, v97, v33
	v_bfe_u32 v23, v12, 16, 1
	v_or_b32_e32 v24, 0x400000, v12
	v_cmp_u_f32_e64 s4, v12, v12
	v_add3_u32 v23, v23, v12, 0x7fff
	v_cndmask_b32_e64 v12, v23, v24, s4
	v_lshrrev_b32_e32 v26, 16, v12
	;; [unrolled: 7-line block ×8, first 2 shown]
	s_and_saveexec_b32 s18, vcc_lo
	s_cbranch_execz .LBB372_3594
; %bb.3593:                             ;   in Loop: Header=BB372_2076 Depth=1
	buffer_load_dword v12, off, s[0:3], s32 offset:192 ; 4-byte Folded Reload
	s_waitcnt vmcnt(0)
	v_cmp_lt_i32_e64 s4, v124, v12
	v_cndmask_b32_e64 v116, 0, v116, s4
	v_cmp_lt_i32_e64 s4, v11, v12
	v_cndmask_b32_e64 v17, 0, v17, s4
	;; [unrolled: 2-line block ×8, first 2 shown]
.LBB372_3594:                           ;   in Loop: Header=BB372_2076 Depth=1
	s_or_b32 exec_lo, exec_lo, s18
	flat_load_dwordx2 v[21:22], v[21:22] offset:1792
	v_mov_b32_e32 v29, 0
	v_mov_b32_e32 v28, 0
	s_waitcnt vmcnt(0) lgkmcnt(0)
	v_cmp_ne_u16_sdwa s4, v21, v13 src0_sel:BYTE_0 src1_sel:DWORD
	s_and_saveexec_b32 s18, s4
	s_cbranch_execz .LBB372_3602
; %bb.3595:                             ;   in Loop: Header=BB372_2076 Depth=1
	v_cmp_ne_u16_sdwa s4, v21, v103 src0_sel:BYTE_0 src1_sel:DWORD
	v_bfrev_b32_e32 v28, 1
	s_and_saveexec_b32 s19, s4
	s_cbranch_execz .LBB372_3601
; %bb.3596:                             ;   in Loop: Header=BB372_2076 Depth=1
	v_and_b32_e32 v23, 0x7f, v21
	v_mov_b32_e32 v28, 0x7f800001
	s_mov_b32 s20, exec_lo
	v_cmpx_ne_u32_e32 0x7f, v23
	s_cbranch_execz .LBB372_3600
; %bb.3597:                             ;   in Loop: Header=BB372_2076 Depth=1
	v_lshrrev_b32_e32 v12, 3, v23
	v_cmp_gt_u32_e64 s4, 8, v23
	v_mov_b32_e32 v24, v22
	v_mov_b32_e32 v23, v21
	s_and_saveexec_b32 s21, s4
; %bb.3598:                             ;   in Loop: Header=BB372_2076 Depth=1
	v_and_b32_e32 v12, 7, v21
	v_ffbh_u32_e32 v12, v12
	v_min_u32_e32 v12, 32, v12
	v_subrev_nc_u32_e32 v23, 28, v12
	v_sub_nc_u32_e32 v12, 29, v12
	v_lshlrev_b64 v[23:24], v23, v[21:22]
; %bb.3599:                             ;   in Loop: Header=BB372_2076 Depth=1
	s_or_b32 exec_lo, exec_lo, s21
	v_lshlrev_b32_e32 v23, 20, v23
	v_lshlrev_b32_e32 v24, 24, v21
	v_lshl_add_u32 v12, v12, 23, 0x3c000000
	v_and_b32_e32 v23, 0x700000, v23
	v_and_b32_e32 v24, 0x80000000, v24
	v_or3_b32 v28, v23, v24, v12
.LBB372_3600:                           ;   in Loop: Header=BB372_2076 Depth=1
	s_or_b32 exec_lo, exec_lo, s20
.LBB372_3601:                           ;   in Loop: Header=BB372_2076 Depth=1
	s_or_b32 exec_lo, exec_lo, s19
.LBB372_3602:                           ;   in Loop: Header=BB372_2076 Depth=1
	s_or_b32 exec_lo, exec_lo, s18
	v_cmp_ne_u16_sdwa s4, v21, v13 src0_sel:BYTE_1 src1_sel:DWORD
	s_and_saveexec_b32 s18, s4
	s_cbranch_execz .LBB372_3610
; %bb.3603:                             ;   in Loop: Header=BB372_2076 Depth=1
	v_cmp_ne_u16_sdwa s4, v21, v103 src0_sel:BYTE_1 src1_sel:DWORD
	v_bfrev_b32_e32 v29, 1
	s_and_saveexec_b32 s19, s4
	s_cbranch_execz .LBB372_3609
; %bb.3604:                             ;   in Loop: Header=BB372_2076 Depth=1
	v_mov_b32_e32 v12, 0xffff
	v_mov_b32_e32 v29, 0x7f800001
	s_mov_b32 s20, exec_lo
	v_and_b32_sdwa v12, v12, v21 dst_sel:DWORD dst_unused:UNUSED_PAD src0_sel:DWORD src1_sel:BYTE_1
	v_and_b32_e32 v33, 0x7f, v12
	v_cmpx_ne_u32_e32 0x7f, v33
	s_cbranch_execz .LBB372_3608
; %bb.3605:                             ;   in Loop: Header=BB372_2076 Depth=1
	v_and_b32_e32 v12, 7, v12
	v_mov_b32_e32 v24, v13
	v_lshrrev_b32_e32 v24, 3, v33
	s_mov_b32 s21, exec_lo
	v_mov_b32_e32 v23, v12
	v_cmpx_gt_u32_e32 8, v33
; %bb.3606:                             ;   in Loop: Header=BB372_2076 Depth=1
	v_ffbh_u32_e32 v23, v12
	v_min_u32_e32 v29, 32, v23
	v_subrev_nc_u32_e32 v23, 28, v29
	v_lshlrev_b64 v[23:24], v23, v[12:13]
	v_sub_nc_u32_e32 v24, 29, v29
	v_and_b32_e32 v23, 7, v23
; %bb.3607:                             ;   in Loop: Header=BB372_2076 Depth=1
	s_or_b32 exec_lo, exec_lo, s21
	v_lshlrev_b32_e32 v12, 16, v21
	v_lshlrev_b32_e32 v23, 20, v23
	v_lshl_add_u32 v24, v24, 23, 0x3c000000
	v_and_b32_e32 v12, 0x80000000, v12
	v_or3_b32 v29, v23, v12, v24
.LBB372_3608:                           ;   in Loop: Header=BB372_2076 Depth=1
	s_or_b32 exec_lo, exec_lo, s20
.LBB372_3609:                           ;   in Loop: Header=BB372_2076 Depth=1
	s_or_b32 exec_lo, exec_lo, s19
.LBB372_3610:                           ;   in Loop: Header=BB372_2076 Depth=1
	s_or_b32 exec_lo, exec_lo, s18
	v_and_b32_sdwa v12, v21, v113 dst_sel:DWORD dst_unused:UNUSED_PAD src0_sel:WORD_1 src1_sel:DWORD
	v_mov_b32_e32 v36, 0
	v_mov_b32_e32 v35, 0
	s_mov_b32 s18, exec_lo
	v_cmpx_ne_u16_e32 0, v12
	s_cbranch_execz .LBB372_3618
; %bb.3611:                             ;   in Loop: Header=BB372_2076 Depth=1
	v_bfrev_b32_e32 v35, 1
	s_mov_b32 s19, exec_lo
	v_cmpx_ne_u16_e32 0x80, v12
	s_cbranch_execz .LBB372_3617
; %bb.3612:                             ;   in Loop: Header=BB372_2076 Depth=1
	v_bfe_u32 v33, v21, 16, 7
	v_mov_b32_e32 v35, 0x7f800001
	s_mov_b32 s20, exec_lo
	v_cmpx_ne_u32_e32 0x7f, v33
	s_cbranch_execz .LBB372_3616
; %bb.3613:                             ;   in Loop: Header=BB372_2076 Depth=1
	v_and_b32_sdwa v12, v21, v114 dst_sel:DWORD dst_unused:UNUSED_PAD src0_sel:WORD_1 src1_sel:DWORD
	v_mov_b32_e32 v24, v13
	v_lshrrev_b32_e32 v24, 3, v33
	s_mov_b32 s21, exec_lo
	v_mov_b32_e32 v23, v12
	v_cmpx_gt_u32_e32 8, v33
; %bb.3614:                             ;   in Loop: Header=BB372_2076 Depth=1
	v_ffbh_u32_e32 v23, v12
	v_min_u32_e32 v33, 32, v23
	v_subrev_nc_u32_e32 v23, 28, v33
	v_lshlrev_b64 v[23:24], v23, v[12:13]
	v_sub_nc_u32_e32 v24, 29, v33
	v_and_b32_e32 v23, 7, v23
; %bb.3615:                             ;   in Loop: Header=BB372_2076 Depth=1
	s_or_b32 exec_lo, exec_lo, s21
	v_lshlrev_b32_sdwa v12, v115, v21 dst_sel:DWORD dst_unused:UNUSED_PAD src0_sel:DWORD src1_sel:WORD_1
	v_lshlrev_b32_e32 v23, 20, v23
	v_lshl_add_u32 v24, v24, 23, 0x3c000000
	v_and_b32_e32 v12, 0x80000000, v12
	v_or3_b32 v35, v23, v12, v24
.LBB372_3616:                           ;   in Loop: Header=BB372_2076 Depth=1
	s_or_b32 exec_lo, exec_lo, s20
.LBB372_3617:                           ;   in Loop: Header=BB372_2076 Depth=1
	s_or_b32 exec_lo, exec_lo, s19
.LBB372_3618:                           ;   in Loop: Header=BB372_2076 Depth=1
	s_or_b32 exec_lo, exec_lo, s18
	s_mov_b32 s18, exec_lo
	v_cmpx_lt_u32_e32 0xffffff, v21
	s_cbranch_execz .LBB372_3626
; %bb.3619:                             ;   in Loop: Header=BB372_2076 Depth=1
	v_cmp_ne_u32_sdwa s4, v21, v103 src0_sel:BYTE_3 src1_sel:DWORD
	v_bfrev_b32_e32 v36, 1
	s_and_saveexec_b32 s19, s4
	s_cbranch_execz .LBB372_3625
; %bb.3620:                             ;   in Loop: Header=BB372_2076 Depth=1
	v_bfe_u32 v33, v21, 24, 7
	v_mov_b32_e32 v36, 0x7f800001
	s_mov_b32 s20, exec_lo
	v_cmpx_ne_u32_e32 0x7f, v33
	s_cbranch_execz .LBB372_3624
; %bb.3621:                             ;   in Loop: Header=BB372_2076 Depth=1
	v_and_b32_sdwa v12, v21, v114 dst_sel:DWORD dst_unused:UNUSED_PAD src0_sel:BYTE_3 src1_sel:DWORD
	v_mov_b32_e32 v24, v13
	v_lshrrev_b32_e32 v24, 3, v33
	s_mov_b32 s21, exec_lo
	v_mov_b32_e32 v23, v12
	v_cmpx_gt_u32_e32 8, v33
; %bb.3622:                             ;   in Loop: Header=BB372_2076 Depth=1
	v_ffbh_u32_e32 v23, v12
	v_min_u32_e32 v33, 32, v23
	v_subrev_nc_u32_e32 v23, 28, v33
	v_lshlrev_b64 v[23:24], v23, v[12:13]
	v_sub_nc_u32_e32 v24, 29, v33
	v_and_b32_e32 v23, 7, v23
; %bb.3623:                             ;   in Loop: Header=BB372_2076 Depth=1
	s_or_b32 exec_lo, exec_lo, s21
	v_lshlrev_b32_sdwa v12, v115, v21 dst_sel:DWORD dst_unused:UNUSED_PAD src0_sel:DWORD src1_sel:BYTE_3
	v_lshlrev_b32_e32 v23, 20, v23
	v_lshl_add_u32 v24, v24, 23, 0x3c000000
	v_and_b32_e32 v12, 0x80000000, v12
	v_or3_b32 v36, v23, v12, v24
.LBB372_3624:                           ;   in Loop: Header=BB372_2076 Depth=1
	s_or_b32 exec_lo, exec_lo, s20
.LBB372_3625:                           ;   in Loop: Header=BB372_2076 Depth=1
	s_or_b32 exec_lo, exec_lo, s19
.LBB372_3626:                           ;   in Loop: Header=BB372_2076 Depth=1
	s_or_b32 exec_lo, exec_lo, s18
	v_mov_b32_e32 v12, v22
	v_cmp_ne_u16_sdwa s4, v22, v13 src0_sel:BYTE_0 src1_sel:DWORD
	v_mov_b32_e32 v39, 0
	v_mov_b32_e32 v33, 0
	s_and_saveexec_b32 s18, s4
	s_cbranch_execz .LBB372_3634
; %bb.3627:                             ;   in Loop: Header=BB372_2076 Depth=1
	v_cmp_ne_u16_sdwa s4, v22, v103 src0_sel:BYTE_0 src1_sel:DWORD
	v_bfrev_b32_e32 v33, 1
	s_and_saveexec_b32 s19, s4
	s_cbranch_execz .LBB372_3633
; %bb.3628:                             ;   in Loop: Header=BB372_2076 Depth=1
	v_and_b32_e32 v37, 0x7f, v22
	v_mov_b32_e32 v33, 0x7f800001
	s_mov_b32 s20, exec_lo
	v_cmpx_ne_u32_e32 0x7f, v37
	s_cbranch_execz .LBB372_3632
; %bb.3629:                             ;   in Loop: Header=BB372_2076 Depth=1
	v_mov_b32_e32 v24, v13
	v_mov_b32_e32 v23, v12
	v_lshrrev_b32_e32 v24, 3, v37
	s_mov_b32 s21, exec_lo
	v_cmpx_gt_u32_e32 8, v37
; %bb.3630:                             ;   in Loop: Header=BB372_2076 Depth=1
	v_and_b32_e32 v23, 7, v22
	v_ffbh_u32_e32 v23, v23
	v_min_u32_e32 v33, 32, v23
	v_subrev_nc_u32_e32 v23, 28, v33
	v_lshlrev_b64 v[23:24], v23, v[12:13]
	v_sub_nc_u32_e32 v24, 29, v33
; %bb.3631:                             ;   in Loop: Header=BB372_2076 Depth=1
	s_or_b32 exec_lo, exec_lo, s21
	v_lshlrev_b32_e32 v23, 20, v23
	v_lshlrev_b32_e32 v33, 24, v12
	v_lshl_add_u32 v24, v24, 23, 0x3c000000
	v_and_b32_e32 v23, 0x700000, v23
	v_and_b32_e32 v33, 0x80000000, v33
	v_or3_b32 v33, v23, v33, v24
.LBB372_3632:                           ;   in Loop: Header=BB372_2076 Depth=1
	s_or_b32 exec_lo, exec_lo, s20
.LBB372_3633:                           ;   in Loop: Header=BB372_2076 Depth=1
	s_or_b32 exec_lo, exec_lo, s19
.LBB372_3634:                           ;   in Loop: Header=BB372_2076 Depth=1
	s_or_b32 exec_lo, exec_lo, s18
	v_cmp_ne_u16_sdwa s4, v12, v13 src0_sel:BYTE_1 src1_sel:DWORD
	s_and_saveexec_b32 s18, s4
	s_cbranch_execz .LBB372_3642
; %bb.3635:                             ;   in Loop: Header=BB372_2076 Depth=1
	v_cmp_ne_u16_sdwa s4, v12, v103 src0_sel:BYTE_1 src1_sel:DWORD
	v_bfrev_b32_e32 v39, 1
	s_and_saveexec_b32 s19, s4
	s_cbranch_execz .LBB372_3641
; %bb.3636:                             ;   in Loop: Header=BB372_2076 Depth=1
	v_mov_b32_e32 v23, 0xffff
	v_mov_b32_e32 v39, 0x7f800001
	s_mov_b32 s20, exec_lo
	v_and_b32_sdwa v23, v23, v12 dst_sel:DWORD dst_unused:UNUSED_PAD src0_sel:DWORD src1_sel:BYTE_1
	v_and_b32_e32 v38, 0x7f, v23
	v_cmpx_ne_u32_e32 0x7f, v38
	s_cbranch_execz .LBB372_3640
; %bb.3637:                             ;   in Loop: Header=BB372_2076 Depth=1
	v_and_b32_e32 v23, 7, v23
	v_mov_b32_e32 v24, v13
	v_lshrrev_b32_e32 v37, 3, v38
	s_mov_b32 s21, exec_lo
	v_cmpx_gt_u32_e32 8, v38
; %bb.3638:                             ;   in Loop: Header=BB372_2076 Depth=1
	v_ffbh_u32_e32 v37, v23
	v_min_u32_e32 v37, 32, v37
	v_subrev_nc_u32_e32 v38, 28, v37
	v_sub_nc_u32_e32 v37, 29, v37
	v_lshlrev_b64 v[23:24], v38, v[23:24]
	v_and_b32_e32 v23, 7, v23
; %bb.3639:                             ;   in Loop: Header=BB372_2076 Depth=1
	s_or_b32 exec_lo, exec_lo, s21
	v_lshlrev_b32_e32 v12, 16, v12
	v_lshlrev_b32_e32 v23, 20, v23
	v_lshl_add_u32 v24, v37, 23, 0x3c000000
	v_and_b32_e32 v12, 0x80000000, v12
	v_or3_b32 v39, v23, v12, v24
.LBB372_3640:                           ;   in Loop: Header=BB372_2076 Depth=1
	s_or_b32 exec_lo, exec_lo, s20
.LBB372_3641:                           ;   in Loop: Header=BB372_2076 Depth=1
	s_or_b32 exec_lo, exec_lo, s19
.LBB372_3642:                           ;   in Loop: Header=BB372_2076 Depth=1
	s_or_b32 exec_lo, exec_lo, s18
	v_and_b32_sdwa v12, v22, v113 dst_sel:DWORD dst_unused:UNUSED_PAD src0_sel:WORD_1 src1_sel:DWORD
	v_mov_b32_e32 v37, 0
	v_mov_b32_e32 v38, 0
	s_mov_b32 s18, exec_lo
	v_cmpx_ne_u16_e32 0, v12
	s_cbranch_execz .LBB372_3650
; %bb.3643:                             ;   in Loop: Header=BB372_2076 Depth=1
	v_bfrev_b32_e32 v38, 1
	s_mov_b32 s19, exec_lo
	v_cmpx_ne_u16_e32 0x80, v12
	s_cbranch_execz .LBB372_3649
; %bb.3644:                             ;   in Loop: Header=BB372_2076 Depth=1
	v_bfe_u32 v48, v22, 16, 7
	v_mov_b32_e32 v38, 0x7f800001
	s_mov_b32 s20, exec_lo
	v_cmpx_ne_u32_e32 0x7f, v48
	s_cbranch_execz .LBB372_3648
; %bb.3645:                             ;   in Loop: Header=BB372_2076 Depth=1
	v_and_b32_sdwa v12, v22, v114 dst_sel:DWORD dst_unused:UNUSED_PAD src0_sel:WORD_1 src1_sel:DWORD
	v_mov_b32_e32 v24, v13
	v_lshrrev_b32_e32 v24, 3, v48
	s_mov_b32 s21, exec_lo
	v_mov_b32_e32 v23, v12
	v_cmpx_gt_u32_e32 8, v48
; %bb.3646:                             ;   in Loop: Header=BB372_2076 Depth=1
	v_ffbh_u32_e32 v23, v12
	v_min_u32_e32 v38, 32, v23
	v_subrev_nc_u32_e32 v23, 28, v38
	v_lshlrev_b64 v[23:24], v23, v[12:13]
	v_sub_nc_u32_e32 v24, 29, v38
	v_and_b32_e32 v23, 7, v23
; %bb.3647:                             ;   in Loop: Header=BB372_2076 Depth=1
	s_or_b32 exec_lo, exec_lo, s21
	v_lshlrev_b32_sdwa v12, v115, v22 dst_sel:DWORD dst_unused:UNUSED_PAD src0_sel:DWORD src1_sel:WORD_1
	v_lshlrev_b32_e32 v23, 20, v23
	v_lshl_add_u32 v24, v24, 23, 0x3c000000
	v_and_b32_e32 v12, 0x80000000, v12
	v_or3_b32 v38, v23, v12, v24
.LBB372_3648:                           ;   in Loop: Header=BB372_2076 Depth=1
	s_or_b32 exec_lo, exec_lo, s20
.LBB372_3649:                           ;   in Loop: Header=BB372_2076 Depth=1
	s_or_b32 exec_lo, exec_lo, s19
.LBB372_3650:                           ;   in Loop: Header=BB372_2076 Depth=1
	s_or_b32 exec_lo, exec_lo, s18
	s_mov_b32 s18, exec_lo
	v_cmpx_lt_u64_e64 s[6:7], v[21:22]
	s_cbranch_execz .LBB372_3658
; %bb.3651:                             ;   in Loop: Header=BB372_2076 Depth=1
	v_cmp_ne_u32_sdwa s4, v22, v103 src0_sel:BYTE_3 src1_sel:DWORD
	v_bfrev_b32_e32 v37, 1
	s_and_saveexec_b32 s19, s4
	s_cbranch_execz .LBB372_3657
; %bb.3652:                             ;   in Loop: Header=BB372_2076 Depth=1
	v_bfe_u32 v48, v22, 24, 7
	v_mov_b32_e32 v37, 0x7f800001
	s_mov_b32 s20, exec_lo
	v_cmpx_ne_u32_e32 0x7f, v48
	s_cbranch_execz .LBB372_3656
; %bb.3653:                             ;   in Loop: Header=BB372_2076 Depth=1
	v_and_b32_sdwa v12, v22, v114 dst_sel:DWORD dst_unused:UNUSED_PAD src0_sel:BYTE_3 src1_sel:DWORD
	v_mov_b32_e32 v24, v13
	v_lshrrev_b32_e32 v21, 3, v48
	s_mov_b32 s21, exec_lo
	v_mov_b32_e32 v23, v12
	v_cmpx_gt_u32_e32 8, v48
; %bb.3654:                             ;   in Loop: Header=BB372_2076 Depth=1
	v_ffbh_u32_e32 v21, v12
	v_min_u32_e32 v21, 32, v21
	v_subrev_nc_u32_e32 v23, 28, v21
	v_sub_nc_u32_e32 v21, 29, v21
	v_lshlrev_b64 v[23:24], v23, v[12:13]
	v_and_b32_e32 v23, 7, v23
; %bb.3655:                             ;   in Loop: Header=BB372_2076 Depth=1
	s_or_b32 exec_lo, exec_lo, s21
	v_lshlrev_b32_sdwa v12, v115, v22 dst_sel:DWORD dst_unused:UNUSED_PAD src0_sel:DWORD src1_sel:BYTE_3
	v_lshlrev_b32_e32 v22, 20, v23
	v_lshl_add_u32 v21, v21, 23, 0x3c000000
	v_and_b32_e32 v12, 0x80000000, v12
	v_or3_b32 v37, v22, v12, v21
.LBB372_3656:                           ;   in Loop: Header=BB372_2076 Depth=1
	s_or_b32 exec_lo, exec_lo, s20
.LBB372_3657:                           ;   in Loop: Header=BB372_2076 Depth=1
	s_or_b32 exec_lo, exec_lo, s19
.LBB372_3658:                           ;   in Loop: Header=BB372_2076 Depth=1
	s_or_b32 exec_lo, exec_lo, s18
	v_mul_f32_e32 v12, v97, v39
	v_bfe_u32 v21, v12, 16, 1
	v_or_b32_e32 v22, 0x400000, v12
	v_cmp_u_f32_e64 s4, v12, v12
	v_add3_u32 v21, v21, v12, 0x7fff
	v_cndmask_b32_e64 v12, v21, v22, s4
	v_lshrrev_b32_e32 v84, 16, v12
	v_mul_f32_e32 v12, v97, v33
	v_bfe_u32 v21, v12, 16, 1
	v_or_b32_e32 v22, 0x400000, v12
	v_cmp_u_f32_e64 s4, v12, v12
	v_add3_u32 v21, v21, v12, 0x7fff
	v_cndmask_b32_e64 v12, v21, v22, s4
	v_lshrrev_b32_e32 v119, 16, v12
	;; [unrolled: 7-line block ×8, first 2 shown]
	s_and_saveexec_b32 s18, vcc_lo
	s_cbranch_execz .LBB372_3660
; %bb.3659:                             ;   in Loop: Header=BB372_2076 Depth=1
	buffer_load_dword v12, off, s[0:3], s32 offset:192 ; 4-byte Folded Reload
	s_waitcnt vmcnt(0)
	v_cmp_lt_i32_e64 s4, v124, v12
	v_cndmask_b32_e64 v28, 0, v28, s4
	v_cmp_lt_i32_e64 s4, v11, v12
	v_cndmask_b32_e64 v68, 0, v68, s4
	;; [unrolled: 2-line block ×8, first 2 shown]
.LBB372_3660:                           ;   in Loop: Header=BB372_2076 Depth=1
	s_or_b32 exec_lo, exec_lo, s18
	v_add_co_u32 v19, s4, 0x1800, v19
	v_add_co_ci_u32_e64 v20, null, 0, v20, s4
	v_mov_b32_e32 v39, 0
	v_mov_b32_e32 v48, 0
	flat_load_dwordx2 v[21:22], v[19:20]
	s_waitcnt vmcnt(0) lgkmcnt(0)
	v_cmp_ne_u16_sdwa s4, v21, v13 src0_sel:BYTE_0 src1_sel:DWORD
	s_and_saveexec_b32 s18, s4
	s_cbranch_execz .LBB372_3668
; %bb.3661:                             ;   in Loop: Header=BB372_2076 Depth=1
	v_cmp_ne_u16_sdwa s4, v21, v103 src0_sel:BYTE_0 src1_sel:DWORD
	v_bfrev_b32_e32 v48, 1
	s_and_saveexec_b32 s19, s4
	s_cbranch_execz .LBB372_3667
; %bb.3662:                             ;   in Loop: Header=BB372_2076 Depth=1
	v_and_b32_e32 v23, 0x7f, v21
	v_mov_b32_e32 v48, 0x7f800001
	s_mov_b32 s20, exec_lo
	v_cmpx_ne_u32_e32 0x7f, v23
	s_cbranch_execz .LBB372_3666
; %bb.3663:                             ;   in Loop: Header=BB372_2076 Depth=1
	v_lshrrev_b32_e32 v12, 3, v23
	v_cmp_gt_u32_e64 s4, 8, v23
	v_mov_b32_e32 v24, v22
	v_mov_b32_e32 v23, v21
	s_and_saveexec_b32 s21, s4
; %bb.3664:                             ;   in Loop: Header=BB372_2076 Depth=1
	v_and_b32_e32 v12, 7, v21
	v_ffbh_u32_e32 v12, v12
	v_min_u32_e32 v12, 32, v12
	v_subrev_nc_u32_e32 v23, 28, v12
	v_sub_nc_u32_e32 v12, 29, v12
	v_lshlrev_b64 v[23:24], v23, v[21:22]
; %bb.3665:                             ;   in Loop: Header=BB372_2076 Depth=1
	s_or_b32 exec_lo, exec_lo, s21
	v_lshlrev_b32_e32 v23, 20, v23
	v_lshlrev_b32_e32 v24, 24, v21
	v_lshl_add_u32 v12, v12, 23, 0x3c000000
	v_and_b32_e32 v23, 0x700000, v23
	v_and_b32_e32 v24, 0x80000000, v24
	v_or3_b32 v48, v23, v24, v12
.LBB372_3666:                           ;   in Loop: Header=BB372_2076 Depth=1
	s_or_b32 exec_lo, exec_lo, s20
.LBB372_3667:                           ;   in Loop: Header=BB372_2076 Depth=1
	s_or_b32 exec_lo, exec_lo, s19
.LBB372_3668:                           ;   in Loop: Header=BB372_2076 Depth=1
	s_or_b32 exec_lo, exec_lo, s18
	v_cmp_ne_u16_sdwa s4, v21, v13 src0_sel:BYTE_1 src1_sel:DWORD
	s_and_saveexec_b32 s18, s4
	s_cbranch_execz .LBB372_3676
; %bb.3669:                             ;   in Loop: Header=BB372_2076 Depth=1
	v_cmp_ne_u16_sdwa s4, v21, v103 src0_sel:BYTE_1 src1_sel:DWORD
	v_bfrev_b32_e32 v39, 1
	s_and_saveexec_b32 s19, s4
	s_cbranch_execz .LBB372_3675
; %bb.3670:                             ;   in Loop: Header=BB372_2076 Depth=1
	v_mov_b32_e32 v12, 0xffff
	v_mov_b32_e32 v39, 0x7f800001
	s_mov_b32 s20, exec_lo
	v_and_b32_sdwa v12, v12, v21 dst_sel:DWORD dst_unused:UNUSED_PAD src0_sel:DWORD src1_sel:BYTE_1
	v_and_b32_e32 v33, 0x7f, v12
	v_cmpx_ne_u32_e32 0x7f, v33
	s_cbranch_execz .LBB372_3674
; %bb.3671:                             ;   in Loop: Header=BB372_2076 Depth=1
	v_and_b32_e32 v12, 7, v12
	v_mov_b32_e32 v24, v13
	v_lshrrev_b32_e32 v24, 3, v33
	s_mov_b32 s21, exec_lo
	v_mov_b32_e32 v23, v12
	v_cmpx_gt_u32_e32 8, v33
; %bb.3672:                             ;   in Loop: Header=BB372_2076 Depth=1
	v_ffbh_u32_e32 v23, v12
	v_min_u32_e32 v33, 32, v23
	v_subrev_nc_u32_e32 v23, 28, v33
	v_lshlrev_b64 v[23:24], v23, v[12:13]
	v_sub_nc_u32_e32 v24, 29, v33
	v_and_b32_e32 v23, 7, v23
; %bb.3673:                             ;   in Loop: Header=BB372_2076 Depth=1
	s_or_b32 exec_lo, exec_lo, s21
	v_lshlrev_b32_e32 v12, 16, v21
	v_lshlrev_b32_e32 v23, 20, v23
	v_lshl_add_u32 v24, v24, 23, 0x3c000000
	v_and_b32_e32 v12, 0x80000000, v12
	v_or3_b32 v39, v23, v12, v24
.LBB372_3674:                           ;   in Loop: Header=BB372_2076 Depth=1
	s_or_b32 exec_lo, exec_lo, s20
.LBB372_3675:                           ;   in Loop: Header=BB372_2076 Depth=1
	s_or_b32 exec_lo, exec_lo, s19
.LBB372_3676:                           ;   in Loop: Header=BB372_2076 Depth=1
	s_or_b32 exec_lo, exec_lo, s18
	v_and_b32_sdwa v12, v21, v113 dst_sel:DWORD dst_unused:UNUSED_PAD src0_sel:WORD_1 src1_sel:DWORD
	v_mov_b32_e32 v37, 0
	v_mov_b32_e32 v38, 0
	s_mov_b32 s18, exec_lo
	v_cmpx_ne_u16_e32 0, v12
	s_cbranch_execz .LBB372_3684
; %bb.3677:                             ;   in Loop: Header=BB372_2076 Depth=1
	v_bfrev_b32_e32 v38, 1
	s_mov_b32 s19, exec_lo
	v_cmpx_ne_u16_e32 0x80, v12
	s_cbranch_execz .LBB372_3683
; %bb.3678:                             ;   in Loop: Header=BB372_2076 Depth=1
	v_bfe_u32 v33, v21, 16, 7
	v_mov_b32_e32 v38, 0x7f800001
	s_mov_b32 s20, exec_lo
	v_cmpx_ne_u32_e32 0x7f, v33
	s_cbranch_execz .LBB372_3682
; %bb.3679:                             ;   in Loop: Header=BB372_2076 Depth=1
	v_and_b32_sdwa v12, v21, v114 dst_sel:DWORD dst_unused:UNUSED_PAD src0_sel:WORD_1 src1_sel:DWORD
	v_mov_b32_e32 v24, v13
	v_lshrrev_b32_e32 v24, 3, v33
	s_mov_b32 s21, exec_lo
	v_mov_b32_e32 v23, v12
	v_cmpx_gt_u32_e32 8, v33
; %bb.3680:                             ;   in Loop: Header=BB372_2076 Depth=1
	v_ffbh_u32_e32 v23, v12
	v_min_u32_e32 v33, 32, v23
	v_subrev_nc_u32_e32 v23, 28, v33
	v_lshlrev_b64 v[23:24], v23, v[12:13]
	v_sub_nc_u32_e32 v24, 29, v33
	v_and_b32_e32 v23, 7, v23
; %bb.3681:                             ;   in Loop: Header=BB372_2076 Depth=1
	s_or_b32 exec_lo, exec_lo, s21
	v_lshlrev_b32_sdwa v12, v115, v21 dst_sel:DWORD dst_unused:UNUSED_PAD src0_sel:DWORD src1_sel:WORD_1
	v_lshlrev_b32_e32 v23, 20, v23
	v_lshl_add_u32 v24, v24, 23, 0x3c000000
	v_and_b32_e32 v12, 0x80000000, v12
	v_or3_b32 v38, v23, v12, v24
.LBB372_3682:                           ;   in Loop: Header=BB372_2076 Depth=1
	s_or_b32 exec_lo, exec_lo, s20
.LBB372_3683:                           ;   in Loop: Header=BB372_2076 Depth=1
	s_or_b32 exec_lo, exec_lo, s19
.LBB372_3684:                           ;   in Loop: Header=BB372_2076 Depth=1
	s_or_b32 exec_lo, exec_lo, s18
	s_mov_b32 s18, exec_lo
	v_cmpx_lt_u32_e32 0xffffff, v21
	s_cbranch_execz .LBB372_3692
; %bb.3685:                             ;   in Loop: Header=BB372_2076 Depth=1
	v_cmp_ne_u32_sdwa s4, v21, v103 src0_sel:BYTE_3 src1_sel:DWORD
	v_bfrev_b32_e32 v37, 1
	s_and_saveexec_b32 s19, s4
	s_cbranch_execz .LBB372_3691
; %bb.3686:                             ;   in Loop: Header=BB372_2076 Depth=1
	v_bfe_u32 v33, v21, 24, 7
	v_mov_b32_e32 v37, 0x7f800001
	s_mov_b32 s20, exec_lo
	v_cmpx_ne_u32_e32 0x7f, v33
	s_cbranch_execz .LBB372_3690
; %bb.3687:                             ;   in Loop: Header=BB372_2076 Depth=1
	v_and_b32_sdwa v12, v21, v114 dst_sel:DWORD dst_unused:UNUSED_PAD src0_sel:BYTE_3 src1_sel:DWORD
	v_mov_b32_e32 v24, v13
	v_lshrrev_b32_e32 v24, 3, v33
	s_mov_b32 s21, exec_lo
	v_mov_b32_e32 v23, v12
	v_cmpx_gt_u32_e32 8, v33
; %bb.3688:                             ;   in Loop: Header=BB372_2076 Depth=1
	v_ffbh_u32_e32 v23, v12
	v_min_u32_e32 v33, 32, v23
	v_subrev_nc_u32_e32 v23, 28, v33
	v_lshlrev_b64 v[23:24], v23, v[12:13]
	v_sub_nc_u32_e32 v24, 29, v33
	v_and_b32_e32 v23, 7, v23
; %bb.3689:                             ;   in Loop: Header=BB372_2076 Depth=1
	s_or_b32 exec_lo, exec_lo, s21
	v_lshlrev_b32_sdwa v12, v115, v21 dst_sel:DWORD dst_unused:UNUSED_PAD src0_sel:DWORD src1_sel:BYTE_3
	v_lshlrev_b32_e32 v23, 20, v23
	v_lshl_add_u32 v24, v24, 23, 0x3c000000
	v_and_b32_e32 v12, 0x80000000, v12
	v_or3_b32 v37, v23, v12, v24
.LBB372_3690:                           ;   in Loop: Header=BB372_2076 Depth=1
	s_or_b32 exec_lo, exec_lo, s20
.LBB372_3691:                           ;   in Loop: Header=BB372_2076 Depth=1
	s_or_b32 exec_lo, exec_lo, s19
.LBB372_3692:                           ;   in Loop: Header=BB372_2076 Depth=1
	s_or_b32 exec_lo, exec_lo, s18
	v_mov_b32_e32 v12, v22
	v_cmp_ne_u16_sdwa s4, v22, v13 src0_sel:BYTE_0 src1_sel:DWORD
	v_mov_b32_e32 v35, 0
	v_mov_b32_e32 v33, 0
	s_and_saveexec_b32 s18, s4
	s_cbranch_execz .LBB372_3700
; %bb.3693:                             ;   in Loop: Header=BB372_2076 Depth=1
	v_cmp_ne_u16_sdwa s4, v22, v103 src0_sel:BYTE_0 src1_sel:DWORD
	v_bfrev_b32_e32 v33, 1
	s_and_saveexec_b32 s19, s4
	s_cbranch_execz .LBB372_3699
; %bb.3694:                             ;   in Loop: Header=BB372_2076 Depth=1
	v_and_b32_e32 v36, 0x7f, v22
	v_mov_b32_e32 v33, 0x7f800001
	s_mov_b32 s20, exec_lo
	v_cmpx_ne_u32_e32 0x7f, v36
	s_cbranch_execz .LBB372_3698
; %bb.3695:                             ;   in Loop: Header=BB372_2076 Depth=1
	v_mov_b32_e32 v24, v13
	v_mov_b32_e32 v23, v12
	v_lshrrev_b32_e32 v24, 3, v36
	s_mov_b32 s21, exec_lo
	v_cmpx_gt_u32_e32 8, v36
; %bb.3696:                             ;   in Loop: Header=BB372_2076 Depth=1
	v_and_b32_e32 v23, 7, v22
	v_ffbh_u32_e32 v23, v23
	v_min_u32_e32 v33, 32, v23
	v_subrev_nc_u32_e32 v23, 28, v33
	v_lshlrev_b64 v[23:24], v23, v[12:13]
	v_sub_nc_u32_e32 v24, 29, v33
; %bb.3697:                             ;   in Loop: Header=BB372_2076 Depth=1
	s_or_b32 exec_lo, exec_lo, s21
	v_lshlrev_b32_e32 v23, 20, v23
	v_lshlrev_b32_e32 v33, 24, v12
	v_lshl_add_u32 v24, v24, 23, 0x3c000000
	v_and_b32_e32 v23, 0x700000, v23
	v_and_b32_e32 v33, 0x80000000, v33
	v_or3_b32 v33, v23, v33, v24
.LBB372_3698:                           ;   in Loop: Header=BB372_2076 Depth=1
	s_or_b32 exec_lo, exec_lo, s20
.LBB372_3699:                           ;   in Loop: Header=BB372_2076 Depth=1
	s_or_b32 exec_lo, exec_lo, s19
.LBB372_3700:                           ;   in Loop: Header=BB372_2076 Depth=1
	s_or_b32 exec_lo, exec_lo, s18
	v_cmp_ne_u16_sdwa s4, v12, v13 src0_sel:BYTE_1 src1_sel:DWORD
	s_and_saveexec_b32 s18, s4
	s_cbranch_execz .LBB372_3708
; %bb.3701:                             ;   in Loop: Header=BB372_2076 Depth=1
	v_cmp_ne_u16_sdwa s4, v12, v103 src0_sel:BYTE_1 src1_sel:DWORD
	v_bfrev_b32_e32 v35, 1
	s_and_saveexec_b32 s19, s4
	s_cbranch_execz .LBB372_3707
; %bb.3702:                             ;   in Loop: Header=BB372_2076 Depth=1
	v_mov_b32_e32 v23, 0xffff
	v_mov_b32_e32 v35, 0x7f800001
	s_mov_b32 s20, exec_lo
	v_and_b32_sdwa v23, v23, v12 dst_sel:DWORD dst_unused:UNUSED_PAD src0_sel:DWORD src1_sel:BYTE_1
	v_and_b32_e32 v36, 0x7f, v23
	v_cmpx_ne_u32_e32 0x7f, v36
	s_cbranch_execz .LBB372_3706
; %bb.3703:                             ;   in Loop: Header=BB372_2076 Depth=1
	v_and_b32_e32 v23, 7, v23
	v_mov_b32_e32 v24, v13
	v_lshrrev_b32_e32 v35, 3, v36
	s_mov_b32 s21, exec_lo
	v_cmpx_gt_u32_e32 8, v36
; %bb.3704:                             ;   in Loop: Header=BB372_2076 Depth=1
	v_ffbh_u32_e32 v35, v23
	v_min_u32_e32 v35, 32, v35
	v_subrev_nc_u32_e32 v36, 28, v35
	v_sub_nc_u32_e32 v35, 29, v35
	v_lshlrev_b64 v[23:24], v36, v[23:24]
	v_and_b32_e32 v23, 7, v23
; %bb.3705:                             ;   in Loop: Header=BB372_2076 Depth=1
	s_or_b32 exec_lo, exec_lo, s21
	v_lshlrev_b32_e32 v12, 16, v12
	v_lshlrev_b32_e32 v23, 20, v23
	v_lshl_add_u32 v24, v35, 23, 0x3c000000
	v_and_b32_e32 v12, 0x80000000, v12
	v_or3_b32 v35, v23, v12, v24
.LBB372_3706:                           ;   in Loop: Header=BB372_2076 Depth=1
	s_or_b32 exec_lo, exec_lo, s20
.LBB372_3707:                           ;   in Loop: Header=BB372_2076 Depth=1
	s_or_b32 exec_lo, exec_lo, s19
.LBB372_3708:                           ;   in Loop: Header=BB372_2076 Depth=1
	s_or_b32 exec_lo, exec_lo, s18
	v_and_b32_sdwa v12, v22, v113 dst_sel:DWORD dst_unused:UNUSED_PAD src0_sel:WORD_1 src1_sel:DWORD
	v_mov_b32_e32 v50, 0
	v_mov_b32_e32 v51, 0
	s_mov_b32 s18, exec_lo
	v_cmpx_ne_u16_e32 0, v12
	s_cbranch_execz .LBB372_3716
; %bb.3709:                             ;   in Loop: Header=BB372_2076 Depth=1
	v_bfrev_b32_e32 v51, 1
	s_mov_b32 s19, exec_lo
	v_cmpx_ne_u16_e32 0x80, v12
	s_cbranch_execz .LBB372_3715
; %bb.3710:                             ;   in Loop: Header=BB372_2076 Depth=1
	v_bfe_u32 v36, v22, 16, 7
	v_mov_b32_e32 v51, 0x7f800001
	s_mov_b32 s20, exec_lo
	v_cmpx_ne_u32_e32 0x7f, v36
	s_cbranch_execz .LBB372_3714
; %bb.3711:                             ;   in Loop: Header=BB372_2076 Depth=1
	v_and_b32_sdwa v12, v22, v114 dst_sel:DWORD dst_unused:UNUSED_PAD src0_sel:WORD_1 src1_sel:DWORD
	v_mov_b32_e32 v24, v13
	v_lshrrev_b32_e32 v24, 3, v36
	s_mov_b32 s21, exec_lo
	v_mov_b32_e32 v23, v12
	v_cmpx_gt_u32_e32 8, v36
; %bb.3712:                             ;   in Loop: Header=BB372_2076 Depth=1
	v_ffbh_u32_e32 v23, v12
	v_min_u32_e32 v36, 32, v23
	v_subrev_nc_u32_e32 v23, 28, v36
	v_lshlrev_b64 v[23:24], v23, v[12:13]
	v_sub_nc_u32_e32 v24, 29, v36
	v_and_b32_e32 v23, 7, v23
; %bb.3713:                             ;   in Loop: Header=BB372_2076 Depth=1
	s_or_b32 exec_lo, exec_lo, s21
	v_lshlrev_b32_sdwa v12, v115, v22 dst_sel:DWORD dst_unused:UNUSED_PAD src0_sel:DWORD src1_sel:WORD_1
	v_lshlrev_b32_e32 v23, 20, v23
	v_lshl_add_u32 v24, v24, 23, 0x3c000000
	v_and_b32_e32 v12, 0x80000000, v12
	v_or3_b32 v51, v23, v12, v24
.LBB372_3714:                           ;   in Loop: Header=BB372_2076 Depth=1
	s_or_b32 exec_lo, exec_lo, s20
.LBB372_3715:                           ;   in Loop: Header=BB372_2076 Depth=1
	s_or_b32 exec_lo, exec_lo, s19
.LBB372_3716:                           ;   in Loop: Header=BB372_2076 Depth=1
	s_or_b32 exec_lo, exec_lo, s18
	s_mov_b32 s18, exec_lo
	v_cmpx_lt_u64_e64 s[6:7], v[21:22]
	s_cbranch_execz .LBB372_3724
; %bb.3717:                             ;   in Loop: Header=BB372_2076 Depth=1
	v_cmp_ne_u32_sdwa s4, v22, v103 src0_sel:BYTE_3 src1_sel:DWORD
	v_bfrev_b32_e32 v50, 1
	s_and_saveexec_b32 s19, s4
	s_cbranch_execz .LBB372_3723
; %bb.3718:                             ;   in Loop: Header=BB372_2076 Depth=1
	v_bfe_u32 v36, v22, 24, 7
	v_mov_b32_e32 v50, 0x7f800001
	s_mov_b32 s20, exec_lo
	v_cmpx_ne_u32_e32 0x7f, v36
	s_cbranch_execz .LBB372_3722
; %bb.3719:                             ;   in Loop: Header=BB372_2076 Depth=1
	v_and_b32_sdwa v12, v22, v114 dst_sel:DWORD dst_unused:UNUSED_PAD src0_sel:BYTE_3 src1_sel:DWORD
	v_mov_b32_e32 v24, v13
	v_lshrrev_b32_e32 v21, 3, v36
	s_mov_b32 s21, exec_lo
	v_mov_b32_e32 v23, v12
	v_cmpx_gt_u32_e32 8, v36
; %bb.3720:                             ;   in Loop: Header=BB372_2076 Depth=1
	v_ffbh_u32_e32 v21, v12
	v_min_u32_e32 v21, 32, v21
	v_subrev_nc_u32_e32 v23, 28, v21
	v_sub_nc_u32_e32 v21, 29, v21
	v_lshlrev_b64 v[23:24], v23, v[12:13]
	v_and_b32_e32 v23, 7, v23
; %bb.3721:                             ;   in Loop: Header=BB372_2076 Depth=1
	s_or_b32 exec_lo, exec_lo, s21
	v_lshlrev_b32_sdwa v12, v115, v22 dst_sel:DWORD dst_unused:UNUSED_PAD src0_sel:DWORD src1_sel:BYTE_3
	v_lshlrev_b32_e32 v22, 20, v23
	v_lshl_add_u32 v21, v21, 23, 0x3c000000
	v_and_b32_e32 v12, 0x80000000, v12
	v_or3_b32 v50, v22, v12, v21
.LBB372_3722:                           ;   in Loop: Header=BB372_2076 Depth=1
	s_or_b32 exec_lo, exec_lo, s20
.LBB372_3723:                           ;   in Loop: Header=BB372_2076 Depth=1
	s_or_b32 exec_lo, exec_lo, s19
.LBB372_3724:                           ;   in Loop: Header=BB372_2076 Depth=1
	s_or_b32 exec_lo, exec_lo, s18
	v_mul_f32_e32 v12, v97, v35
	v_bfe_u32 v21, v12, 16, 1
	v_or_b32_e32 v22, 0x400000, v12
	v_cmp_u_f32_e64 s4, v12, v12
	v_add3_u32 v21, v21, v12, 0x7fff
	v_cndmask_b32_e64 v12, v21, v22, s4
	v_lshrrev_b32_e32 v35, 16, v12
	v_mul_f32_e32 v12, v97, v33
	v_bfe_u32 v21, v12, 16, 1
	v_or_b32_e32 v22, 0x400000, v12
	v_cmp_u_f32_e64 s4, v12, v12
	v_add3_u32 v21, v21, v12, 0x7fff
	v_cndmask_b32_e64 v12, v21, v22, s4
	v_lshrrev_b32_e32 v36, 16, v12
	;; [unrolled: 7-line block ×8, first 2 shown]
	s_and_saveexec_b32 s18, vcc_lo
	s_cbranch_execz .LBB372_3726
; %bb.3725:                             ;   in Loop: Header=BB372_2076 Depth=1
	buffer_load_dword v12, off, s[0:3], s32 offset:192 ; 4-byte Folded Reload
	s_waitcnt vmcnt(0)
	v_cmp_lt_i32_e64 s4, v124, v12
	v_cndmask_b32_e64 v40, 0, v40, s4
	v_cmp_lt_i32_e64 s4, v11, v12
	v_cndmask_b32_e64 v39, 0, v39, s4
	;; [unrolled: 2-line block ×8, first 2 shown]
.LBB372_3726:                           ;   in Loop: Header=BB372_2076 Depth=1
	s_or_b32 exec_lo, exec_lo, s18
	flat_load_dwordx2 v[21:22], v[19:20] offset:256
	v_mov_b32_e32 v55, 0
	v_mov_b32_e32 v64, 0
	s_waitcnt vmcnt(0) lgkmcnt(0)
	v_cmp_ne_u16_sdwa s4, v21, v13 src0_sel:BYTE_0 src1_sel:DWORD
	s_and_saveexec_b32 s18, s4
	s_cbranch_execz .LBB372_3734
; %bb.3727:                             ;   in Loop: Header=BB372_2076 Depth=1
	v_cmp_ne_u16_sdwa s4, v21, v103 src0_sel:BYTE_0 src1_sel:DWORD
	v_bfrev_b32_e32 v64, 1
	s_and_saveexec_b32 s19, s4
	s_cbranch_execz .LBB372_3733
; %bb.3728:                             ;   in Loop: Header=BB372_2076 Depth=1
	v_and_b32_e32 v23, 0x7f, v21
	v_mov_b32_e32 v64, 0x7f800001
	s_mov_b32 s20, exec_lo
	v_cmpx_ne_u32_e32 0x7f, v23
	s_cbranch_execz .LBB372_3732
; %bb.3729:                             ;   in Loop: Header=BB372_2076 Depth=1
	v_lshrrev_b32_e32 v12, 3, v23
	v_cmp_gt_u32_e64 s4, 8, v23
	v_mov_b32_e32 v24, v22
	v_mov_b32_e32 v23, v21
	s_and_saveexec_b32 s21, s4
; %bb.3730:                             ;   in Loop: Header=BB372_2076 Depth=1
	v_and_b32_e32 v12, 7, v21
	v_ffbh_u32_e32 v12, v12
	v_min_u32_e32 v12, 32, v12
	v_subrev_nc_u32_e32 v23, 28, v12
	v_sub_nc_u32_e32 v12, 29, v12
	v_lshlrev_b64 v[23:24], v23, v[21:22]
; %bb.3731:                             ;   in Loop: Header=BB372_2076 Depth=1
	s_or_b32 exec_lo, exec_lo, s21
	v_lshlrev_b32_e32 v23, 20, v23
	v_lshlrev_b32_e32 v24, 24, v21
	v_lshl_add_u32 v12, v12, 23, 0x3c000000
	v_and_b32_e32 v23, 0x700000, v23
	v_and_b32_e32 v24, 0x80000000, v24
	v_or3_b32 v64, v23, v24, v12
.LBB372_3732:                           ;   in Loop: Header=BB372_2076 Depth=1
	s_or_b32 exec_lo, exec_lo, s20
.LBB372_3733:                           ;   in Loop: Header=BB372_2076 Depth=1
	s_or_b32 exec_lo, exec_lo, s19
.LBB372_3734:                           ;   in Loop: Header=BB372_2076 Depth=1
	s_or_b32 exec_lo, exec_lo, s18
	v_cmp_ne_u16_sdwa s4, v21, v13 src0_sel:BYTE_1 src1_sel:DWORD
	s_and_saveexec_b32 s18, s4
	s_cbranch_execz .LBB372_3742
; %bb.3735:                             ;   in Loop: Header=BB372_2076 Depth=1
	v_cmp_ne_u16_sdwa s4, v21, v103 src0_sel:BYTE_1 src1_sel:DWORD
	v_bfrev_b32_e32 v55, 1
	s_and_saveexec_b32 s19, s4
	s_cbranch_execz .LBB372_3741
; %bb.3736:                             ;   in Loop: Header=BB372_2076 Depth=1
	v_mov_b32_e32 v12, 0xffff
	v_mov_b32_e32 v55, 0x7f800001
	s_mov_b32 s20, exec_lo
	v_and_b32_sdwa v12, v12, v21 dst_sel:DWORD dst_unused:UNUSED_PAD src0_sel:DWORD src1_sel:BYTE_1
	v_and_b32_e32 v33, 0x7f, v12
	v_cmpx_ne_u32_e32 0x7f, v33
	s_cbranch_execz .LBB372_3740
; %bb.3737:                             ;   in Loop: Header=BB372_2076 Depth=1
	v_and_b32_e32 v12, 7, v12
	v_mov_b32_e32 v24, v13
	v_lshrrev_b32_e32 v24, 3, v33
	s_mov_b32 s21, exec_lo
	v_mov_b32_e32 v23, v12
	v_cmpx_gt_u32_e32 8, v33
; %bb.3738:                             ;   in Loop: Header=BB372_2076 Depth=1
	v_ffbh_u32_e32 v23, v12
	v_min_u32_e32 v33, 32, v23
	v_subrev_nc_u32_e32 v23, 28, v33
	v_lshlrev_b64 v[23:24], v23, v[12:13]
	v_sub_nc_u32_e32 v24, 29, v33
	v_and_b32_e32 v23, 7, v23
; %bb.3739:                             ;   in Loop: Header=BB372_2076 Depth=1
	s_or_b32 exec_lo, exec_lo, s21
	v_lshlrev_b32_e32 v12, 16, v21
	v_lshlrev_b32_e32 v23, 20, v23
	v_lshl_add_u32 v24, v24, 23, 0x3c000000
	v_and_b32_e32 v12, 0x80000000, v12
	v_or3_b32 v55, v23, v12, v24
.LBB372_3740:                           ;   in Loop: Header=BB372_2076 Depth=1
	s_or_b32 exec_lo, exec_lo, s20
.LBB372_3741:                           ;   in Loop: Header=BB372_2076 Depth=1
	s_or_b32 exec_lo, exec_lo, s19
.LBB372_3742:                           ;   in Loop: Header=BB372_2076 Depth=1
	s_or_b32 exec_lo, exec_lo, s18
	v_and_b32_sdwa v12, v21, v113 dst_sel:DWORD dst_unused:UNUSED_PAD src0_sel:WORD_1 src1_sel:DWORD
	v_mov_b32_e32 v53, 0
	v_mov_b32_e32 v54, 0
	s_mov_b32 s18, exec_lo
	v_cmpx_ne_u16_e32 0, v12
	s_cbranch_execz .LBB372_3750
; %bb.3743:                             ;   in Loop: Header=BB372_2076 Depth=1
	v_bfrev_b32_e32 v54, 1
	s_mov_b32 s19, exec_lo
	v_cmpx_ne_u16_e32 0x80, v12
	s_cbranch_execz .LBB372_3749
; %bb.3744:                             ;   in Loop: Header=BB372_2076 Depth=1
	v_bfe_u32 v33, v21, 16, 7
	v_mov_b32_e32 v54, 0x7f800001
	s_mov_b32 s20, exec_lo
	v_cmpx_ne_u32_e32 0x7f, v33
	s_cbranch_execz .LBB372_3748
; %bb.3745:                             ;   in Loop: Header=BB372_2076 Depth=1
	v_and_b32_sdwa v12, v21, v114 dst_sel:DWORD dst_unused:UNUSED_PAD src0_sel:WORD_1 src1_sel:DWORD
	v_mov_b32_e32 v24, v13
	v_lshrrev_b32_e32 v24, 3, v33
	s_mov_b32 s21, exec_lo
	v_mov_b32_e32 v23, v12
	v_cmpx_gt_u32_e32 8, v33
; %bb.3746:                             ;   in Loop: Header=BB372_2076 Depth=1
	v_ffbh_u32_e32 v23, v12
	v_min_u32_e32 v33, 32, v23
	v_subrev_nc_u32_e32 v23, 28, v33
	v_lshlrev_b64 v[23:24], v23, v[12:13]
	v_sub_nc_u32_e32 v24, 29, v33
	v_and_b32_e32 v23, 7, v23
; %bb.3747:                             ;   in Loop: Header=BB372_2076 Depth=1
	s_or_b32 exec_lo, exec_lo, s21
	v_lshlrev_b32_sdwa v12, v115, v21 dst_sel:DWORD dst_unused:UNUSED_PAD src0_sel:DWORD src1_sel:WORD_1
	v_lshlrev_b32_e32 v23, 20, v23
	v_lshl_add_u32 v24, v24, 23, 0x3c000000
	v_and_b32_e32 v12, 0x80000000, v12
	v_or3_b32 v54, v23, v12, v24
.LBB372_3748:                           ;   in Loop: Header=BB372_2076 Depth=1
	s_or_b32 exec_lo, exec_lo, s20
.LBB372_3749:                           ;   in Loop: Header=BB372_2076 Depth=1
	s_or_b32 exec_lo, exec_lo, s19
.LBB372_3750:                           ;   in Loop: Header=BB372_2076 Depth=1
	s_or_b32 exec_lo, exec_lo, s18
	s_mov_b32 s18, exec_lo
	v_cmpx_lt_u32_e32 0xffffff, v21
	s_cbranch_execz .LBB372_3758
; %bb.3751:                             ;   in Loop: Header=BB372_2076 Depth=1
	v_cmp_ne_u32_sdwa s4, v21, v103 src0_sel:BYTE_3 src1_sel:DWORD
	v_bfrev_b32_e32 v53, 1
	s_and_saveexec_b32 s19, s4
	s_cbranch_execz .LBB372_3757
; %bb.3752:                             ;   in Loop: Header=BB372_2076 Depth=1
	v_bfe_u32 v33, v21, 24, 7
	v_mov_b32_e32 v53, 0x7f800001
	s_mov_b32 s20, exec_lo
	v_cmpx_ne_u32_e32 0x7f, v33
	s_cbranch_execz .LBB372_3756
; %bb.3753:                             ;   in Loop: Header=BB372_2076 Depth=1
	v_and_b32_sdwa v12, v21, v114 dst_sel:DWORD dst_unused:UNUSED_PAD src0_sel:BYTE_3 src1_sel:DWORD
	v_mov_b32_e32 v24, v13
	v_lshrrev_b32_e32 v24, 3, v33
	s_mov_b32 s21, exec_lo
	v_mov_b32_e32 v23, v12
	v_cmpx_gt_u32_e32 8, v33
; %bb.3754:                             ;   in Loop: Header=BB372_2076 Depth=1
	v_ffbh_u32_e32 v23, v12
	v_min_u32_e32 v33, 32, v23
	v_subrev_nc_u32_e32 v23, 28, v33
	v_lshlrev_b64 v[23:24], v23, v[12:13]
	v_sub_nc_u32_e32 v24, 29, v33
	v_and_b32_e32 v23, 7, v23
; %bb.3755:                             ;   in Loop: Header=BB372_2076 Depth=1
	s_or_b32 exec_lo, exec_lo, s21
	v_lshlrev_b32_sdwa v12, v115, v21 dst_sel:DWORD dst_unused:UNUSED_PAD src0_sel:DWORD src1_sel:BYTE_3
	v_lshlrev_b32_e32 v23, 20, v23
	v_lshl_add_u32 v24, v24, 23, 0x3c000000
	v_and_b32_e32 v12, 0x80000000, v12
	v_or3_b32 v53, v23, v12, v24
.LBB372_3756:                           ;   in Loop: Header=BB372_2076 Depth=1
	s_or_b32 exec_lo, exec_lo, s20
.LBB372_3757:                           ;   in Loop: Header=BB372_2076 Depth=1
	s_or_b32 exec_lo, exec_lo, s19
.LBB372_3758:                           ;   in Loop: Header=BB372_2076 Depth=1
	s_or_b32 exec_lo, exec_lo, s18
	v_mov_b32_e32 v12, v22
	v_cmp_ne_u16_sdwa s4, v22, v13 src0_sel:BYTE_0 src1_sel:DWORD
	v_mov_b32_e32 v51, 0
	v_mov_b32_e32 v33, 0
	s_and_saveexec_b32 s18, s4
	s_cbranch_execz .LBB372_3766
; %bb.3759:                             ;   in Loop: Header=BB372_2076 Depth=1
	v_cmp_ne_u16_sdwa s4, v22, v103 src0_sel:BYTE_0 src1_sel:DWORD
	v_bfrev_b32_e32 v33, 1
	s_and_saveexec_b32 s19, s4
	s_cbranch_execz .LBB372_3765
; %bb.3760:                             ;   in Loop: Header=BB372_2076 Depth=1
	v_and_b32_e32 v52, 0x7f, v22
	v_mov_b32_e32 v33, 0x7f800001
	s_mov_b32 s20, exec_lo
	v_cmpx_ne_u32_e32 0x7f, v52
	s_cbranch_execz .LBB372_3764
; %bb.3761:                             ;   in Loop: Header=BB372_2076 Depth=1
	v_mov_b32_e32 v24, v13
	v_mov_b32_e32 v23, v12
	v_lshrrev_b32_e32 v24, 3, v52
	s_mov_b32 s21, exec_lo
	v_cmpx_gt_u32_e32 8, v52
; %bb.3762:                             ;   in Loop: Header=BB372_2076 Depth=1
	v_and_b32_e32 v23, 7, v22
	v_ffbh_u32_e32 v23, v23
	v_min_u32_e32 v33, 32, v23
	v_subrev_nc_u32_e32 v23, 28, v33
	v_lshlrev_b64 v[23:24], v23, v[12:13]
	v_sub_nc_u32_e32 v24, 29, v33
; %bb.3763:                             ;   in Loop: Header=BB372_2076 Depth=1
	s_or_b32 exec_lo, exec_lo, s21
	v_lshlrev_b32_e32 v23, 20, v23
	v_lshlrev_b32_e32 v33, 24, v12
	v_lshl_add_u32 v24, v24, 23, 0x3c000000
	v_and_b32_e32 v23, 0x700000, v23
	v_and_b32_e32 v33, 0x80000000, v33
	v_or3_b32 v33, v23, v33, v24
.LBB372_3764:                           ;   in Loop: Header=BB372_2076 Depth=1
	s_or_b32 exec_lo, exec_lo, s20
.LBB372_3765:                           ;   in Loop: Header=BB372_2076 Depth=1
	s_or_b32 exec_lo, exec_lo, s19
.LBB372_3766:                           ;   in Loop: Header=BB372_2076 Depth=1
	s_or_b32 exec_lo, exec_lo, s18
	v_cmp_ne_u16_sdwa s4, v12, v13 src0_sel:BYTE_1 src1_sel:DWORD
	s_and_saveexec_b32 s18, s4
	s_cbranch_execz .LBB372_3774
; %bb.3767:                             ;   in Loop: Header=BB372_2076 Depth=1
	v_cmp_ne_u16_sdwa s4, v12, v103 src0_sel:BYTE_1 src1_sel:DWORD
	v_bfrev_b32_e32 v51, 1
	s_and_saveexec_b32 s19, s4
	s_cbranch_execz .LBB372_3773
; %bb.3768:                             ;   in Loop: Header=BB372_2076 Depth=1
	v_mov_b32_e32 v23, 0xffff
	v_mov_b32_e32 v51, 0x7f800001
	s_mov_b32 s20, exec_lo
	v_and_b32_sdwa v23, v23, v12 dst_sel:DWORD dst_unused:UNUSED_PAD src0_sel:DWORD src1_sel:BYTE_1
	v_and_b32_e32 v52, 0x7f, v23
	v_cmpx_ne_u32_e32 0x7f, v52
	s_cbranch_execz .LBB372_3772
; %bb.3769:                             ;   in Loop: Header=BB372_2076 Depth=1
	v_and_b32_e32 v23, 7, v23
	v_mov_b32_e32 v24, v13
	v_lshrrev_b32_e32 v51, 3, v52
	s_mov_b32 s21, exec_lo
	v_cmpx_gt_u32_e32 8, v52
; %bb.3770:                             ;   in Loop: Header=BB372_2076 Depth=1
	v_ffbh_u32_e32 v49, v23
	v_min_u32_e32 v49, 32, v49
	v_subrev_nc_u32_e32 v51, 28, v49
	v_lshlrev_b64 v[23:24], v51, v[23:24]
	v_sub_nc_u32_e32 v51, 29, v49
	v_and_b32_e32 v23, 7, v23
; %bb.3771:                             ;   in Loop: Header=BB372_2076 Depth=1
	s_or_b32 exec_lo, exec_lo, s21
	v_lshlrev_b32_e32 v12, 16, v12
	v_lshlrev_b32_e32 v23, 20, v23
	v_lshl_add_u32 v24, v51, 23, 0x3c000000
	v_and_b32_e32 v12, 0x80000000, v12
	v_or3_b32 v51, v23, v12, v24
.LBB372_3772:                           ;   in Loop: Header=BB372_2076 Depth=1
	s_or_b32 exec_lo, exec_lo, s20
.LBB372_3773:                           ;   in Loop: Header=BB372_2076 Depth=1
	s_or_b32 exec_lo, exec_lo, s19
.LBB372_3774:                           ;   in Loop: Header=BB372_2076 Depth=1
	s_or_b32 exec_lo, exec_lo, s18
	v_and_b32_sdwa v12, v22, v113 dst_sel:DWORD dst_unused:UNUSED_PAD src0_sel:WORD_1 src1_sel:DWORD
	v_mov_b32_e32 v66, 0
	v_mov_b32_e32 v67, 0
	s_mov_b32 s18, exec_lo
	v_cmpx_ne_u16_e32 0, v12
	s_cbranch_execz .LBB372_3782
; %bb.3775:                             ;   in Loop: Header=BB372_2076 Depth=1
	v_bfrev_b32_e32 v67, 1
	s_mov_b32 s19, exec_lo
	v_cmpx_ne_u16_e32 0x80, v12
	s_cbranch_execz .LBB372_3781
; %bb.3776:                             ;   in Loop: Header=BB372_2076 Depth=1
	v_bfe_u32 v52, v22, 16, 7
	v_mov_b32_e32 v67, 0x7f800001
	s_mov_b32 s20, exec_lo
	v_cmpx_ne_u32_e32 0x7f, v52
	s_cbranch_execz .LBB372_3780
; %bb.3777:                             ;   in Loop: Header=BB372_2076 Depth=1
	v_and_b32_sdwa v12, v22, v114 dst_sel:DWORD dst_unused:UNUSED_PAD src0_sel:WORD_1 src1_sel:DWORD
	v_mov_b32_e32 v24, v13
	v_lshrrev_b32_e32 v24, 3, v52
	s_mov_b32 s21, exec_lo
	v_mov_b32_e32 v23, v12
	v_cmpx_gt_u32_e32 8, v52
; %bb.3778:                             ;   in Loop: Header=BB372_2076 Depth=1
	v_ffbh_u32_e32 v23, v12
	v_min_u32_e32 v49, 32, v23
	v_subrev_nc_u32_e32 v23, 28, v49
	v_lshlrev_b64 v[23:24], v23, v[12:13]
	v_sub_nc_u32_e32 v24, 29, v49
	v_and_b32_e32 v23, 7, v23
; %bb.3779:                             ;   in Loop: Header=BB372_2076 Depth=1
	s_or_b32 exec_lo, exec_lo, s21
	v_lshlrev_b32_sdwa v12, v115, v22 dst_sel:DWORD dst_unused:UNUSED_PAD src0_sel:DWORD src1_sel:WORD_1
	v_lshlrev_b32_e32 v23, 20, v23
	v_lshl_add_u32 v24, v24, 23, 0x3c000000
	v_and_b32_e32 v12, 0x80000000, v12
	v_or3_b32 v67, v23, v12, v24
.LBB372_3780:                           ;   in Loop: Header=BB372_2076 Depth=1
	s_or_b32 exec_lo, exec_lo, s20
.LBB372_3781:                           ;   in Loop: Header=BB372_2076 Depth=1
	s_or_b32 exec_lo, exec_lo, s19
.LBB372_3782:                           ;   in Loop: Header=BB372_2076 Depth=1
	s_or_b32 exec_lo, exec_lo, s18
	s_mov_b32 s18, exec_lo
	v_cmpx_lt_u64_e64 s[6:7], v[21:22]
	s_cbranch_execz .LBB372_3790
; %bb.3783:                             ;   in Loop: Header=BB372_2076 Depth=1
	v_cmp_ne_u32_sdwa s4, v22, v103 src0_sel:BYTE_3 src1_sel:DWORD
	v_bfrev_b32_e32 v66, 1
	s_and_saveexec_b32 s19, s4
	s_cbranch_execz .LBB372_3789
; %bb.3784:                             ;   in Loop: Header=BB372_2076 Depth=1
	v_bfe_u32 v52, v22, 24, 7
	v_mov_b32_e32 v66, 0x7f800001
	s_mov_b32 s20, exec_lo
	v_cmpx_ne_u32_e32 0x7f, v52
	s_cbranch_execz .LBB372_3788
; %bb.3785:                             ;   in Loop: Header=BB372_2076 Depth=1
	v_and_b32_sdwa v12, v22, v114 dst_sel:DWORD dst_unused:UNUSED_PAD src0_sel:BYTE_3 src1_sel:DWORD
	v_mov_b32_e32 v24, v13
	v_lshrrev_b32_e32 v21, 3, v52
	s_mov_b32 s21, exec_lo
	v_mov_b32_e32 v23, v12
	v_cmpx_gt_u32_e32 8, v52
; %bb.3786:                             ;   in Loop: Header=BB372_2076 Depth=1
	v_ffbh_u32_e32 v21, v12
	v_min_u32_e32 v21, 32, v21
	v_subrev_nc_u32_e32 v23, 28, v21
	v_sub_nc_u32_e32 v21, 29, v21
	v_lshlrev_b64 v[23:24], v23, v[12:13]
	v_and_b32_e32 v23, 7, v23
; %bb.3787:                             ;   in Loop: Header=BB372_2076 Depth=1
	s_or_b32 exec_lo, exec_lo, s21
	v_lshlrev_b32_sdwa v12, v115, v22 dst_sel:DWORD dst_unused:UNUSED_PAD src0_sel:DWORD src1_sel:BYTE_3
	v_lshlrev_b32_e32 v22, 20, v23
	v_lshl_add_u32 v21, v21, 23, 0x3c000000
	v_and_b32_e32 v12, 0x80000000, v12
	v_or3_b32 v66, v22, v12, v21
.LBB372_3788:                           ;   in Loop: Header=BB372_2076 Depth=1
	s_or_b32 exec_lo, exec_lo, s20
.LBB372_3789:                           ;   in Loop: Header=BB372_2076 Depth=1
	s_or_b32 exec_lo, exec_lo, s19
.LBB372_3790:                           ;   in Loop: Header=BB372_2076 Depth=1
	s_or_b32 exec_lo, exec_lo, s18
	v_mul_f32_e32 v12, v97, v51
	v_bfe_u32 v21, v12, 16, 1
	v_or_b32_e32 v22, 0x400000, v12
	v_cmp_u_f32_e64 s4, v12, v12
	v_add3_u32 v21, v21, v12, 0x7fff
	v_cndmask_b32_e64 v12, v21, v22, s4
	v_lshrrev_b32_e32 v51, 16, v12
	v_mul_f32_e32 v12, v97, v33
	v_bfe_u32 v21, v12, 16, 1
	v_or_b32_e32 v22, 0x400000, v12
	v_cmp_u_f32_e64 s4, v12, v12
	v_add3_u32 v21, v21, v12, 0x7fff
	v_cndmask_b32_e64 v12, v21, v22, s4
	v_lshrrev_b32_e32 v52, 16, v12
	;; [unrolled: 7-line block ×8, first 2 shown]
	s_and_saveexec_b32 s18, vcc_lo
	s_cbranch_execz .LBB372_3792
; %bb.3791:                             ;   in Loop: Header=BB372_2076 Depth=1
	buffer_load_dword v12, off, s[0:3], s32 offset:192 ; 4-byte Folded Reload
	s_waitcnt vmcnt(0)
	v_cmp_lt_i32_e64 s4, v124, v12
	v_cndmask_b32_e64 v49, 0, v49, s4
	v_cmp_lt_i32_e64 s4, v11, v12
	v_cndmask_b32_e64 v55, 0, v55, s4
	;; [unrolled: 2-line block ×8, first 2 shown]
.LBB372_3792:                           ;   in Loop: Header=BB372_2076 Depth=1
	s_or_b32 exec_lo, exec_lo, s18
	flat_load_dwordx2 v[21:22], v[19:20] offset:512
	v_mov_b32_e32 v71, 0
	v_mov_b32_e32 v80, 0
	s_waitcnt vmcnt(0) lgkmcnt(0)
	v_cmp_ne_u16_sdwa s4, v21, v13 src0_sel:BYTE_0 src1_sel:DWORD
	s_and_saveexec_b32 s18, s4
	s_cbranch_execz .LBB372_3800
; %bb.3793:                             ;   in Loop: Header=BB372_2076 Depth=1
	v_cmp_ne_u16_sdwa s4, v21, v103 src0_sel:BYTE_0 src1_sel:DWORD
	v_bfrev_b32_e32 v80, 1
	s_and_saveexec_b32 s19, s4
	s_cbranch_execz .LBB372_3799
; %bb.3794:                             ;   in Loop: Header=BB372_2076 Depth=1
	v_and_b32_e32 v23, 0x7f, v21
	v_mov_b32_e32 v80, 0x7f800001
	s_mov_b32 s20, exec_lo
	v_cmpx_ne_u32_e32 0x7f, v23
	s_cbranch_execz .LBB372_3798
; %bb.3795:                             ;   in Loop: Header=BB372_2076 Depth=1
	v_lshrrev_b32_e32 v12, 3, v23
	v_cmp_gt_u32_e64 s4, 8, v23
	v_mov_b32_e32 v24, v22
	v_mov_b32_e32 v23, v21
	s_and_saveexec_b32 s21, s4
; %bb.3796:                             ;   in Loop: Header=BB372_2076 Depth=1
	v_and_b32_e32 v12, 7, v21
	v_ffbh_u32_e32 v12, v12
	v_min_u32_e32 v12, 32, v12
	v_subrev_nc_u32_e32 v23, 28, v12
	v_sub_nc_u32_e32 v12, 29, v12
	v_lshlrev_b64 v[23:24], v23, v[21:22]
; %bb.3797:                             ;   in Loop: Header=BB372_2076 Depth=1
	s_or_b32 exec_lo, exec_lo, s21
	v_lshlrev_b32_e32 v23, 20, v23
	v_lshlrev_b32_e32 v24, 24, v21
	v_lshl_add_u32 v12, v12, 23, 0x3c000000
	v_and_b32_e32 v23, 0x700000, v23
	v_and_b32_e32 v24, 0x80000000, v24
	v_or3_b32 v80, v23, v24, v12
.LBB372_3798:                           ;   in Loop: Header=BB372_2076 Depth=1
	s_or_b32 exec_lo, exec_lo, s20
.LBB372_3799:                           ;   in Loop: Header=BB372_2076 Depth=1
	s_or_b32 exec_lo, exec_lo, s19
.LBB372_3800:                           ;   in Loop: Header=BB372_2076 Depth=1
	s_or_b32 exec_lo, exec_lo, s18
	v_cmp_ne_u16_sdwa s4, v21, v13 src0_sel:BYTE_1 src1_sel:DWORD
	s_and_saveexec_b32 s18, s4
	s_cbranch_execz .LBB372_3808
; %bb.3801:                             ;   in Loop: Header=BB372_2076 Depth=1
	v_cmp_ne_u16_sdwa s4, v21, v103 src0_sel:BYTE_1 src1_sel:DWORD
	v_bfrev_b32_e32 v71, 1
	s_and_saveexec_b32 s19, s4
	s_cbranch_execz .LBB372_3807
; %bb.3802:                             ;   in Loop: Header=BB372_2076 Depth=1
	v_mov_b32_e32 v12, 0xffff
	v_mov_b32_e32 v71, 0x7f800001
	s_mov_b32 s20, exec_lo
	v_and_b32_sdwa v12, v12, v21 dst_sel:DWORD dst_unused:UNUSED_PAD src0_sel:DWORD src1_sel:BYTE_1
	v_and_b32_e32 v33, 0x7f, v12
	v_cmpx_ne_u32_e32 0x7f, v33
	s_cbranch_execz .LBB372_3806
; %bb.3803:                             ;   in Loop: Header=BB372_2076 Depth=1
	v_and_b32_e32 v12, 7, v12
	v_mov_b32_e32 v24, v13
	v_lshrrev_b32_e32 v24, 3, v33
	s_mov_b32 s21, exec_lo
	v_mov_b32_e32 v23, v12
	v_cmpx_gt_u32_e32 8, v33
; %bb.3804:                             ;   in Loop: Header=BB372_2076 Depth=1
	v_ffbh_u32_e32 v23, v12
	v_min_u32_e32 v33, 32, v23
	v_subrev_nc_u32_e32 v23, 28, v33
	v_lshlrev_b64 v[23:24], v23, v[12:13]
	v_sub_nc_u32_e32 v24, 29, v33
	v_and_b32_e32 v23, 7, v23
; %bb.3805:                             ;   in Loop: Header=BB372_2076 Depth=1
	s_or_b32 exec_lo, exec_lo, s21
	v_lshlrev_b32_e32 v12, 16, v21
	v_lshlrev_b32_e32 v23, 20, v23
	v_lshl_add_u32 v24, v24, 23, 0x3c000000
	v_and_b32_e32 v12, 0x80000000, v12
	v_or3_b32 v71, v23, v12, v24
.LBB372_3806:                           ;   in Loop: Header=BB372_2076 Depth=1
	s_or_b32 exec_lo, exec_lo, s20
.LBB372_3807:                           ;   in Loop: Header=BB372_2076 Depth=1
	s_or_b32 exec_lo, exec_lo, s19
.LBB372_3808:                           ;   in Loop: Header=BB372_2076 Depth=1
	s_or_b32 exec_lo, exec_lo, s18
	v_and_b32_sdwa v12, v21, v113 dst_sel:DWORD dst_unused:UNUSED_PAD src0_sel:WORD_1 src1_sel:DWORD
	v_mov_b32_e32 v69, 0
	v_mov_b32_e32 v70, 0
	s_mov_b32 s18, exec_lo
	v_cmpx_ne_u16_e32 0, v12
	s_cbranch_execz .LBB372_3816
; %bb.3809:                             ;   in Loop: Header=BB372_2076 Depth=1
	v_bfrev_b32_e32 v70, 1
	s_mov_b32 s19, exec_lo
	v_cmpx_ne_u16_e32 0x80, v12
	s_cbranch_execz .LBB372_3815
; %bb.3810:                             ;   in Loop: Header=BB372_2076 Depth=1
	v_bfe_u32 v33, v21, 16, 7
	v_mov_b32_e32 v70, 0x7f800001
	s_mov_b32 s20, exec_lo
	v_cmpx_ne_u32_e32 0x7f, v33
	s_cbranch_execz .LBB372_3814
; %bb.3811:                             ;   in Loop: Header=BB372_2076 Depth=1
	v_and_b32_sdwa v12, v21, v114 dst_sel:DWORD dst_unused:UNUSED_PAD src0_sel:WORD_1 src1_sel:DWORD
	v_mov_b32_e32 v24, v13
	v_lshrrev_b32_e32 v24, 3, v33
	s_mov_b32 s21, exec_lo
	v_mov_b32_e32 v23, v12
	v_cmpx_gt_u32_e32 8, v33
; %bb.3812:                             ;   in Loop: Header=BB372_2076 Depth=1
	v_ffbh_u32_e32 v23, v12
	v_min_u32_e32 v33, 32, v23
	v_subrev_nc_u32_e32 v23, 28, v33
	v_lshlrev_b64 v[23:24], v23, v[12:13]
	v_sub_nc_u32_e32 v24, 29, v33
	v_and_b32_e32 v23, 7, v23
; %bb.3813:                             ;   in Loop: Header=BB372_2076 Depth=1
	s_or_b32 exec_lo, exec_lo, s21
	v_lshlrev_b32_sdwa v12, v115, v21 dst_sel:DWORD dst_unused:UNUSED_PAD src0_sel:DWORD src1_sel:WORD_1
	v_lshlrev_b32_e32 v23, 20, v23
	v_lshl_add_u32 v24, v24, 23, 0x3c000000
	v_and_b32_e32 v12, 0x80000000, v12
	v_or3_b32 v70, v23, v12, v24
.LBB372_3814:                           ;   in Loop: Header=BB372_2076 Depth=1
	s_or_b32 exec_lo, exec_lo, s20
.LBB372_3815:                           ;   in Loop: Header=BB372_2076 Depth=1
	s_or_b32 exec_lo, exec_lo, s19
.LBB372_3816:                           ;   in Loop: Header=BB372_2076 Depth=1
	s_or_b32 exec_lo, exec_lo, s18
	s_mov_b32 s18, exec_lo
	v_cmpx_lt_u32_e32 0xffffff, v21
	s_cbranch_execz .LBB372_3824
; %bb.3817:                             ;   in Loop: Header=BB372_2076 Depth=1
	v_cmp_ne_u32_sdwa s4, v21, v103 src0_sel:BYTE_3 src1_sel:DWORD
	v_bfrev_b32_e32 v69, 1
	s_and_saveexec_b32 s19, s4
	s_cbranch_execz .LBB372_3823
; %bb.3818:                             ;   in Loop: Header=BB372_2076 Depth=1
	v_bfe_u32 v33, v21, 24, 7
	v_mov_b32_e32 v69, 0x7f800001
	s_mov_b32 s20, exec_lo
	v_cmpx_ne_u32_e32 0x7f, v33
	s_cbranch_execz .LBB372_3822
; %bb.3819:                             ;   in Loop: Header=BB372_2076 Depth=1
	v_and_b32_sdwa v12, v21, v114 dst_sel:DWORD dst_unused:UNUSED_PAD src0_sel:BYTE_3 src1_sel:DWORD
	v_mov_b32_e32 v24, v13
	v_lshrrev_b32_e32 v24, 3, v33
	s_mov_b32 s21, exec_lo
	v_mov_b32_e32 v23, v12
	v_cmpx_gt_u32_e32 8, v33
; %bb.3820:                             ;   in Loop: Header=BB372_2076 Depth=1
	v_ffbh_u32_e32 v23, v12
	v_min_u32_e32 v33, 32, v23
	v_subrev_nc_u32_e32 v23, 28, v33
	v_lshlrev_b64 v[23:24], v23, v[12:13]
	v_sub_nc_u32_e32 v24, 29, v33
	v_and_b32_e32 v23, 7, v23
; %bb.3821:                             ;   in Loop: Header=BB372_2076 Depth=1
	s_or_b32 exec_lo, exec_lo, s21
	v_lshlrev_b32_sdwa v12, v115, v21 dst_sel:DWORD dst_unused:UNUSED_PAD src0_sel:DWORD src1_sel:BYTE_3
	v_lshlrev_b32_e32 v23, 20, v23
	v_lshl_add_u32 v24, v24, 23, 0x3c000000
	v_and_b32_e32 v12, 0x80000000, v12
	v_or3_b32 v69, v23, v12, v24
.LBB372_3822:                           ;   in Loop: Header=BB372_2076 Depth=1
	s_or_b32 exec_lo, exec_lo, s20
.LBB372_3823:                           ;   in Loop: Header=BB372_2076 Depth=1
	s_or_b32 exec_lo, exec_lo, s19
.LBB372_3824:                           ;   in Loop: Header=BB372_2076 Depth=1
	s_or_b32 exec_lo, exec_lo, s18
	v_mov_b32_e32 v12, v22
	v_cmp_ne_u16_sdwa s4, v22, v13 src0_sel:BYTE_0 src1_sel:DWORD
	v_mov_b32_e32 v67, 0
	v_mov_b32_e32 v33, 0
	s_and_saveexec_b32 s18, s4
	s_cbranch_execz .LBB372_3832
; %bb.3825:                             ;   in Loop: Header=BB372_2076 Depth=1
	v_cmp_ne_u16_sdwa s4, v22, v103 src0_sel:BYTE_0 src1_sel:DWORD
	v_bfrev_b32_e32 v33, 1
	s_and_saveexec_b32 s19, s4
	s_cbranch_execz .LBB372_3831
; %bb.3826:                             ;   in Loop: Header=BB372_2076 Depth=1
	v_and_b32_e32 v81, 0x7f, v22
	v_mov_b32_e32 v33, 0x7f800001
	s_mov_b32 s20, exec_lo
	v_cmpx_ne_u32_e32 0x7f, v81
	s_cbranch_execz .LBB372_3830
; %bb.3827:                             ;   in Loop: Header=BB372_2076 Depth=1
	v_mov_b32_e32 v24, v13
	v_mov_b32_e32 v23, v12
	v_lshrrev_b32_e32 v24, 3, v81
	s_mov_b32 s21, exec_lo
	v_cmpx_gt_u32_e32 8, v81
; %bb.3828:                             ;   in Loop: Header=BB372_2076 Depth=1
	v_and_b32_e32 v23, 7, v22
	v_ffbh_u32_e32 v23, v23
	v_min_u32_e32 v33, 32, v23
	v_subrev_nc_u32_e32 v23, 28, v33
	v_lshlrev_b64 v[23:24], v23, v[12:13]
	v_sub_nc_u32_e32 v24, 29, v33
; %bb.3829:                             ;   in Loop: Header=BB372_2076 Depth=1
	s_or_b32 exec_lo, exec_lo, s21
	v_lshlrev_b32_e32 v23, 20, v23
	v_lshlrev_b32_e32 v33, 24, v12
	v_lshl_add_u32 v24, v24, 23, 0x3c000000
	v_and_b32_e32 v23, 0x700000, v23
	v_and_b32_e32 v33, 0x80000000, v33
	v_or3_b32 v33, v23, v33, v24
.LBB372_3830:                           ;   in Loop: Header=BB372_2076 Depth=1
	s_or_b32 exec_lo, exec_lo, s20
.LBB372_3831:                           ;   in Loop: Header=BB372_2076 Depth=1
	s_or_b32 exec_lo, exec_lo, s19
.LBB372_3832:                           ;   in Loop: Header=BB372_2076 Depth=1
	s_or_b32 exec_lo, exec_lo, s18
	v_cmp_ne_u16_sdwa s4, v12, v13 src0_sel:BYTE_1 src1_sel:DWORD
	s_and_saveexec_b32 s18, s4
	s_cbranch_execz .LBB372_3840
; %bb.3833:                             ;   in Loop: Header=BB372_2076 Depth=1
	v_cmp_ne_u16_sdwa s4, v12, v103 src0_sel:BYTE_1 src1_sel:DWORD
	v_bfrev_b32_e32 v67, 1
	s_and_saveexec_b32 s19, s4
	s_cbranch_execz .LBB372_3839
; %bb.3834:                             ;   in Loop: Header=BB372_2076 Depth=1
	v_mov_b32_e32 v23, 0xffff
	v_mov_b32_e32 v67, 0x7f800001
	s_mov_b32 s20, exec_lo
	v_and_b32_sdwa v23, v23, v12 dst_sel:DWORD dst_unused:UNUSED_PAD src0_sel:DWORD src1_sel:BYTE_1
	v_and_b32_e32 v81, 0x7f, v23
	v_cmpx_ne_u32_e32 0x7f, v81
	s_cbranch_execz .LBB372_3838
; %bb.3835:                             ;   in Loop: Header=BB372_2076 Depth=1
	v_and_b32_e32 v23, 7, v23
	v_mov_b32_e32 v24, v13
	v_lshrrev_b32_e32 v67, 3, v81
	s_mov_b32 s21, exec_lo
	v_cmpx_gt_u32_e32 8, v81
; %bb.3836:                             ;   in Loop: Header=BB372_2076 Depth=1
	v_ffbh_u32_e32 v67, v23
	v_min_u32_e32 v67, 32, v67
	v_subrev_nc_u32_e32 v81, 28, v67
	v_sub_nc_u32_e32 v67, 29, v67
	v_lshlrev_b64 v[23:24], v81, v[23:24]
	v_and_b32_e32 v23, 7, v23
; %bb.3837:                             ;   in Loop: Header=BB372_2076 Depth=1
	s_or_b32 exec_lo, exec_lo, s21
	v_lshlrev_b32_e32 v12, 16, v12
	v_lshlrev_b32_e32 v23, 20, v23
	v_lshl_add_u32 v24, v67, 23, 0x3c000000
	v_and_b32_e32 v12, 0x80000000, v12
	v_or3_b32 v67, v23, v12, v24
.LBB372_3838:                           ;   in Loop: Header=BB372_2076 Depth=1
	s_or_b32 exec_lo, exec_lo, s20
.LBB372_3839:                           ;   in Loop: Header=BB372_2076 Depth=1
	s_or_b32 exec_lo, exec_lo, s19
.LBB372_3840:                           ;   in Loop: Header=BB372_2076 Depth=1
	s_or_b32 exec_lo, exec_lo, s18
	v_and_b32_sdwa v12, v22, v113 dst_sel:DWORD dst_unused:UNUSED_PAD src0_sel:WORD_1 src1_sel:DWORD
	v_mov_b32_e32 v82, 0
	v_mov_b32_e32 v83, 0
	s_mov_b32 s18, exec_lo
	v_cmpx_ne_u16_e32 0, v12
	s_cbranch_execz .LBB372_3848
; %bb.3841:                             ;   in Loop: Header=BB372_2076 Depth=1
	v_bfrev_b32_e32 v83, 1
	s_mov_b32 s19, exec_lo
	v_cmpx_ne_u16_e32 0x80, v12
	s_cbranch_execz .LBB372_3847
; %bb.3842:                             ;   in Loop: Header=BB372_2076 Depth=1
	v_bfe_u32 v81, v22, 16, 7
	v_mov_b32_e32 v83, 0x7f800001
	s_mov_b32 s20, exec_lo
	v_cmpx_ne_u32_e32 0x7f, v81
	s_cbranch_execz .LBB372_3846
; %bb.3843:                             ;   in Loop: Header=BB372_2076 Depth=1
	v_and_b32_sdwa v12, v22, v114 dst_sel:DWORD dst_unused:UNUSED_PAD src0_sel:WORD_1 src1_sel:DWORD
	v_mov_b32_e32 v24, v13
	v_lshrrev_b32_e32 v24, 3, v81
	s_mov_b32 s21, exec_lo
	v_mov_b32_e32 v23, v12
	v_cmpx_gt_u32_e32 8, v81
; %bb.3844:                             ;   in Loop: Header=BB372_2076 Depth=1
	v_ffbh_u32_e32 v23, v12
	v_min_u32_e32 v81, 32, v23
	v_subrev_nc_u32_e32 v23, 28, v81
	v_lshlrev_b64 v[23:24], v23, v[12:13]
	v_sub_nc_u32_e32 v24, 29, v81
	v_and_b32_e32 v23, 7, v23
; %bb.3845:                             ;   in Loop: Header=BB372_2076 Depth=1
	s_or_b32 exec_lo, exec_lo, s21
	v_lshlrev_b32_sdwa v12, v115, v22 dst_sel:DWORD dst_unused:UNUSED_PAD src0_sel:DWORD src1_sel:WORD_1
	v_lshlrev_b32_e32 v23, 20, v23
	v_lshl_add_u32 v24, v24, 23, 0x3c000000
	v_and_b32_e32 v12, 0x80000000, v12
	v_or3_b32 v83, v23, v12, v24
.LBB372_3846:                           ;   in Loop: Header=BB372_2076 Depth=1
	s_or_b32 exec_lo, exec_lo, s20
.LBB372_3847:                           ;   in Loop: Header=BB372_2076 Depth=1
	s_or_b32 exec_lo, exec_lo, s19
.LBB372_3848:                           ;   in Loop: Header=BB372_2076 Depth=1
	s_or_b32 exec_lo, exec_lo, s18
	s_mov_b32 s18, exec_lo
	v_cmpx_lt_u64_e64 s[6:7], v[21:22]
	s_cbranch_execz .LBB372_3856
; %bb.3849:                             ;   in Loop: Header=BB372_2076 Depth=1
	v_cmp_ne_u32_sdwa s4, v22, v103 src0_sel:BYTE_3 src1_sel:DWORD
	v_bfrev_b32_e32 v82, 1
	s_and_saveexec_b32 s19, s4
	s_cbranch_execz .LBB372_3855
; %bb.3850:                             ;   in Loop: Header=BB372_2076 Depth=1
	v_bfe_u32 v81, v22, 24, 7
	v_mov_b32_e32 v82, 0x7f800001
	s_mov_b32 s20, exec_lo
	v_cmpx_ne_u32_e32 0x7f, v81
	s_cbranch_execz .LBB372_3854
; %bb.3851:                             ;   in Loop: Header=BB372_2076 Depth=1
	v_and_b32_sdwa v12, v22, v114 dst_sel:DWORD dst_unused:UNUSED_PAD src0_sel:BYTE_3 src1_sel:DWORD
	v_mov_b32_e32 v24, v13
	v_lshrrev_b32_e32 v21, 3, v81
	s_mov_b32 s21, exec_lo
	v_mov_b32_e32 v23, v12
	v_cmpx_gt_u32_e32 8, v81
; %bb.3852:                             ;   in Loop: Header=BB372_2076 Depth=1
	v_ffbh_u32_e32 v21, v12
	v_min_u32_e32 v21, 32, v21
	v_subrev_nc_u32_e32 v23, 28, v21
	v_sub_nc_u32_e32 v21, 29, v21
	v_lshlrev_b64 v[23:24], v23, v[12:13]
	v_and_b32_e32 v23, 7, v23
; %bb.3853:                             ;   in Loop: Header=BB372_2076 Depth=1
	s_or_b32 exec_lo, exec_lo, s21
	v_lshlrev_b32_sdwa v12, v115, v22 dst_sel:DWORD dst_unused:UNUSED_PAD src0_sel:DWORD src1_sel:BYTE_3
	v_lshlrev_b32_e32 v22, 20, v23
	v_lshl_add_u32 v21, v21, 23, 0x3c000000
	v_and_b32_e32 v12, 0x80000000, v12
	v_or3_b32 v82, v22, v12, v21
.LBB372_3854:                           ;   in Loop: Header=BB372_2076 Depth=1
	s_or_b32 exec_lo, exec_lo, s20
.LBB372_3855:                           ;   in Loop: Header=BB372_2076 Depth=1
	s_or_b32 exec_lo, exec_lo, s19
.LBB372_3856:                           ;   in Loop: Header=BB372_2076 Depth=1
	s_or_b32 exec_lo, exec_lo, s18
	v_mul_f32_e32 v12, v97, v67
	v_bfe_u32 v21, v12, 16, 1
	v_or_b32_e32 v22, 0x400000, v12
	v_cmp_u_f32_e64 s4, v12, v12
	v_add3_u32 v21, v21, v12, 0x7fff
	v_cndmask_b32_e64 v12, v21, v22, s4
	v_lshrrev_b32_e32 v67, 16, v12
	v_mul_f32_e32 v12, v97, v33
	v_bfe_u32 v21, v12, 16, 1
	v_or_b32_e32 v22, 0x400000, v12
	v_cmp_u_f32_e64 s4, v12, v12
	v_add3_u32 v21, v21, v12, 0x7fff
	v_cndmask_b32_e64 v12, v21, v22, s4
	v_lshrrev_b32_e32 v118, 16, v12
	v_mul_f32_e32 v12, v97, v69
	v_bfe_u32 v21, v12, 16, 1
	v_or_b32_e32 v22, 0x400000, v12
	v_cmp_u_f32_e64 s4, v12, v12
	v_add3_u32 v21, v21, v12, 0x7fff
	v_cndmask_b32_e64 v12, v21, v22, s4
	v_lshrrev_b32_e32 v69, 16, v12
	v_mul_f32_e32 v12, v97, v70
	v_bfe_u32 v21, v12, 16, 1
	v_or_b32_e32 v22, 0x400000, v12
	v_cmp_u_f32_e64 s4, v12, v12
	v_add3_u32 v21, v21, v12, 0x7fff
	v_cndmask_b32_e64 v12, v21, v22, s4
	v_lshrrev_b32_e32 v70, 16, v12
	v_mul_f32_e32 v12, v97, v71
	v_bfe_u32 v21, v12, 16, 1
	v_or_b32_e32 v22, 0x400000, v12
	v_cmp_u_f32_e64 s4, v12, v12
	v_add3_u32 v21, v21, v12, 0x7fff
	v_cndmask_b32_e64 v12, v21, v22, s4
	v_lshrrev_b32_e32 v71, 16, v12
	v_mul_f32_e32 v12, v97, v80
	v_bfe_u32 v21, v12, 16, 1
	v_or_b32_e32 v22, 0x400000, v12
	v_cmp_u_f32_e64 s4, v12, v12
	v_add3_u32 v21, v21, v12, 0x7fff
	v_cndmask_b32_e64 v12, v21, v22, s4
	v_lshrrev_b32_e32 v81, 16, v12
	v_mul_f32_e32 v12, v97, v83
	v_bfe_u32 v21, v12, 16, 1
	v_or_b32_e32 v22, 0x400000, v12
	v_cmp_u_f32_e64 s4, v12, v12
	v_add3_u32 v21, v21, v12, 0x7fff
	v_cndmask_b32_e64 v12, v21, v22, s4
	v_lshrrev_b32_e32 v80, 16, v12
	v_mul_f32_e32 v12, v97, v82
	v_bfe_u32 v21, v12, 16, 1
	v_or_b32_e32 v22, 0x400000, v12
	v_cmp_u_f32_e64 s4, v12, v12
	v_add3_u32 v21, v21, v12, 0x7fff
	v_cndmask_b32_e64 v12, v21, v22, s4
	v_lshrrev_b32_e32 v82, 16, v12
	s_and_saveexec_b32 s18, vcc_lo
	s_cbranch_execz .LBB372_3858
; %bb.3857:                             ;   in Loop: Header=BB372_2076 Depth=1
	buffer_load_dword v12, off, s[0:3], s32 offset:192 ; 4-byte Folded Reload
	s_waitcnt vmcnt(0)
	v_cmp_lt_i32_e64 s4, v124, v12
	v_cndmask_b32_e64 v81, 0, v81, s4
	v_cmp_lt_i32_e64 s4, v11, v12
	v_cndmask_b32_e64 v71, 0, v71, s4
	;; [unrolled: 2-line block ×8, first 2 shown]
.LBB372_3858:                           ;   in Loop: Header=BB372_2076 Depth=1
	s_or_b32 exec_lo, exec_lo, s18
	flat_load_dwordx2 v[21:22], v[19:20] offset:768
	v_mov_b32_e32 v87, 0
	v_mov_b32_e32 v96, 0
	s_waitcnt vmcnt(0) lgkmcnt(0)
	v_cmp_ne_u16_sdwa s4, v21, v13 src0_sel:BYTE_0 src1_sel:DWORD
	s_and_saveexec_b32 s18, s4
	s_cbranch_execz .LBB372_3866
; %bb.3859:                             ;   in Loop: Header=BB372_2076 Depth=1
	v_cmp_ne_u16_sdwa s4, v21, v103 src0_sel:BYTE_0 src1_sel:DWORD
	v_bfrev_b32_e32 v96, 1
	s_and_saveexec_b32 s19, s4
	s_cbranch_execz .LBB372_3865
; %bb.3860:                             ;   in Loop: Header=BB372_2076 Depth=1
	v_and_b32_e32 v23, 0x7f, v21
	v_mov_b32_e32 v96, 0x7f800001
	s_mov_b32 s20, exec_lo
	v_cmpx_ne_u32_e32 0x7f, v23
	s_cbranch_execz .LBB372_3864
; %bb.3861:                             ;   in Loop: Header=BB372_2076 Depth=1
	v_lshrrev_b32_e32 v12, 3, v23
	v_cmp_gt_u32_e64 s4, 8, v23
	v_mov_b32_e32 v24, v22
	v_mov_b32_e32 v23, v21
	s_and_saveexec_b32 s21, s4
; %bb.3862:                             ;   in Loop: Header=BB372_2076 Depth=1
	v_and_b32_e32 v12, 7, v21
	v_ffbh_u32_e32 v12, v12
	v_min_u32_e32 v12, 32, v12
	v_subrev_nc_u32_e32 v23, 28, v12
	v_sub_nc_u32_e32 v12, 29, v12
	v_lshlrev_b64 v[23:24], v23, v[21:22]
; %bb.3863:                             ;   in Loop: Header=BB372_2076 Depth=1
	s_or_b32 exec_lo, exec_lo, s21
	v_lshlrev_b32_e32 v23, 20, v23
	v_lshlrev_b32_e32 v24, 24, v21
	v_lshl_add_u32 v12, v12, 23, 0x3c000000
	v_and_b32_e32 v23, 0x700000, v23
	v_and_b32_e32 v24, 0x80000000, v24
	v_or3_b32 v96, v23, v24, v12
.LBB372_3864:                           ;   in Loop: Header=BB372_2076 Depth=1
	s_or_b32 exec_lo, exec_lo, s20
.LBB372_3865:                           ;   in Loop: Header=BB372_2076 Depth=1
	s_or_b32 exec_lo, exec_lo, s19
.LBB372_3866:                           ;   in Loop: Header=BB372_2076 Depth=1
	s_or_b32 exec_lo, exec_lo, s18
	v_cmp_ne_u16_sdwa s4, v21, v13 src0_sel:BYTE_1 src1_sel:DWORD
	s_and_saveexec_b32 s18, s4
	s_cbranch_execz .LBB372_3874
; %bb.3867:                             ;   in Loop: Header=BB372_2076 Depth=1
	v_cmp_ne_u16_sdwa s4, v21, v103 src0_sel:BYTE_1 src1_sel:DWORD
	v_bfrev_b32_e32 v87, 1
	s_and_saveexec_b32 s19, s4
	s_cbranch_execz .LBB372_3873
; %bb.3868:                             ;   in Loop: Header=BB372_2076 Depth=1
	v_mov_b32_e32 v12, 0xffff
	v_mov_b32_e32 v87, 0x7f800001
	s_mov_b32 s20, exec_lo
	v_and_b32_sdwa v12, v12, v21 dst_sel:DWORD dst_unused:UNUSED_PAD src0_sel:DWORD src1_sel:BYTE_1
	v_and_b32_e32 v33, 0x7f, v12
	v_cmpx_ne_u32_e32 0x7f, v33
	s_cbranch_execz .LBB372_3872
; %bb.3869:                             ;   in Loop: Header=BB372_2076 Depth=1
	v_and_b32_e32 v12, 7, v12
	v_mov_b32_e32 v24, v13
	v_lshrrev_b32_e32 v24, 3, v33
	s_mov_b32 s21, exec_lo
	v_mov_b32_e32 v23, v12
	v_cmpx_gt_u32_e32 8, v33
; %bb.3870:                             ;   in Loop: Header=BB372_2076 Depth=1
	v_ffbh_u32_e32 v23, v12
	v_min_u32_e32 v33, 32, v23
	v_subrev_nc_u32_e32 v23, 28, v33
	v_lshlrev_b64 v[23:24], v23, v[12:13]
	v_sub_nc_u32_e32 v24, 29, v33
	v_and_b32_e32 v23, 7, v23
; %bb.3871:                             ;   in Loop: Header=BB372_2076 Depth=1
	s_or_b32 exec_lo, exec_lo, s21
	v_lshlrev_b32_e32 v12, 16, v21
	v_lshlrev_b32_e32 v23, 20, v23
	v_lshl_add_u32 v24, v24, 23, 0x3c000000
	v_and_b32_e32 v12, 0x80000000, v12
	v_or3_b32 v87, v23, v12, v24
.LBB372_3872:                           ;   in Loop: Header=BB372_2076 Depth=1
	s_or_b32 exec_lo, exec_lo, s20
.LBB372_3873:                           ;   in Loop: Header=BB372_2076 Depth=1
	s_or_b32 exec_lo, exec_lo, s19
.LBB372_3874:                           ;   in Loop: Header=BB372_2076 Depth=1
	s_or_b32 exec_lo, exec_lo, s18
	v_and_b32_sdwa v12, v21, v113 dst_sel:DWORD dst_unused:UNUSED_PAD src0_sel:WORD_1 src1_sel:DWORD
	v_mov_b32_e32 v85, 0
	v_mov_b32_e32 v86, 0
	s_mov_b32 s18, exec_lo
	v_cmpx_ne_u16_e32 0, v12
	s_cbranch_execz .LBB372_3882
; %bb.3875:                             ;   in Loop: Header=BB372_2076 Depth=1
	v_bfrev_b32_e32 v86, 1
	s_mov_b32 s19, exec_lo
	v_cmpx_ne_u16_e32 0x80, v12
	s_cbranch_execz .LBB372_3881
; %bb.3876:                             ;   in Loop: Header=BB372_2076 Depth=1
	v_bfe_u32 v33, v21, 16, 7
	v_mov_b32_e32 v86, 0x7f800001
	s_mov_b32 s20, exec_lo
	v_cmpx_ne_u32_e32 0x7f, v33
	s_cbranch_execz .LBB372_3880
; %bb.3877:                             ;   in Loop: Header=BB372_2076 Depth=1
	v_and_b32_sdwa v12, v21, v114 dst_sel:DWORD dst_unused:UNUSED_PAD src0_sel:WORD_1 src1_sel:DWORD
	v_mov_b32_e32 v24, v13
	v_lshrrev_b32_e32 v24, 3, v33
	s_mov_b32 s21, exec_lo
	v_mov_b32_e32 v23, v12
	v_cmpx_gt_u32_e32 8, v33
; %bb.3878:                             ;   in Loop: Header=BB372_2076 Depth=1
	v_ffbh_u32_e32 v23, v12
	v_min_u32_e32 v33, 32, v23
	v_subrev_nc_u32_e32 v23, 28, v33
	v_lshlrev_b64 v[23:24], v23, v[12:13]
	v_sub_nc_u32_e32 v24, 29, v33
	v_and_b32_e32 v23, 7, v23
; %bb.3879:                             ;   in Loop: Header=BB372_2076 Depth=1
	s_or_b32 exec_lo, exec_lo, s21
	v_lshlrev_b32_sdwa v12, v115, v21 dst_sel:DWORD dst_unused:UNUSED_PAD src0_sel:DWORD src1_sel:WORD_1
	v_lshlrev_b32_e32 v23, 20, v23
	v_lshl_add_u32 v24, v24, 23, 0x3c000000
	v_and_b32_e32 v12, 0x80000000, v12
	v_or3_b32 v86, v23, v12, v24
.LBB372_3880:                           ;   in Loop: Header=BB372_2076 Depth=1
	s_or_b32 exec_lo, exec_lo, s20
.LBB372_3881:                           ;   in Loop: Header=BB372_2076 Depth=1
	s_or_b32 exec_lo, exec_lo, s19
.LBB372_3882:                           ;   in Loop: Header=BB372_2076 Depth=1
	s_or_b32 exec_lo, exec_lo, s18
	s_mov_b32 s18, exec_lo
	v_cmpx_lt_u32_e32 0xffffff, v21
	s_cbranch_execz .LBB372_3890
; %bb.3883:                             ;   in Loop: Header=BB372_2076 Depth=1
	v_cmp_ne_u32_sdwa s4, v21, v103 src0_sel:BYTE_3 src1_sel:DWORD
	v_bfrev_b32_e32 v85, 1
	s_and_saveexec_b32 s19, s4
	s_cbranch_execz .LBB372_3889
; %bb.3884:                             ;   in Loop: Header=BB372_2076 Depth=1
	v_bfe_u32 v33, v21, 24, 7
	v_mov_b32_e32 v85, 0x7f800001
	s_mov_b32 s20, exec_lo
	v_cmpx_ne_u32_e32 0x7f, v33
	s_cbranch_execz .LBB372_3888
; %bb.3885:                             ;   in Loop: Header=BB372_2076 Depth=1
	v_and_b32_sdwa v12, v21, v114 dst_sel:DWORD dst_unused:UNUSED_PAD src0_sel:BYTE_3 src1_sel:DWORD
	v_mov_b32_e32 v24, v13
	v_lshrrev_b32_e32 v24, 3, v33
	s_mov_b32 s21, exec_lo
	v_mov_b32_e32 v23, v12
	v_cmpx_gt_u32_e32 8, v33
; %bb.3886:                             ;   in Loop: Header=BB372_2076 Depth=1
	v_ffbh_u32_e32 v23, v12
	v_min_u32_e32 v33, 32, v23
	v_subrev_nc_u32_e32 v23, 28, v33
	v_lshlrev_b64 v[23:24], v23, v[12:13]
	v_sub_nc_u32_e32 v24, 29, v33
	v_and_b32_e32 v23, 7, v23
; %bb.3887:                             ;   in Loop: Header=BB372_2076 Depth=1
	s_or_b32 exec_lo, exec_lo, s21
	v_lshlrev_b32_sdwa v12, v115, v21 dst_sel:DWORD dst_unused:UNUSED_PAD src0_sel:DWORD src1_sel:BYTE_3
	v_lshlrev_b32_e32 v23, 20, v23
	v_lshl_add_u32 v24, v24, 23, 0x3c000000
	v_and_b32_e32 v12, 0x80000000, v12
	v_or3_b32 v85, v23, v12, v24
.LBB372_3888:                           ;   in Loop: Header=BB372_2076 Depth=1
	s_or_b32 exec_lo, exec_lo, s20
.LBB372_3889:                           ;   in Loop: Header=BB372_2076 Depth=1
	s_or_b32 exec_lo, exec_lo, s19
.LBB372_3890:                           ;   in Loop: Header=BB372_2076 Depth=1
	s_or_b32 exec_lo, exec_lo, s18
	v_mov_b32_e32 v12, v22
	v_cmp_ne_u16_sdwa s4, v22, v13 src0_sel:BYTE_0 src1_sel:DWORD
	v_mov_b32_e32 v83, 0
	v_mov_b32_e32 v33, 0
	s_and_saveexec_b32 s18, s4
	s_cbranch_execz .LBB372_3898
; %bb.3891:                             ;   in Loop: Header=BB372_2076 Depth=1
	v_cmp_ne_u16_sdwa s4, v22, v103 src0_sel:BYTE_0 src1_sel:DWORD
	v_bfrev_b32_e32 v33, 1
	s_and_saveexec_b32 s19, s4
	s_cbranch_execz .LBB372_3897
; %bb.3892:                             ;   in Loop: Header=BB372_2076 Depth=1
	v_and_b32_e32 v44, 0x7f, v22
	v_mov_b32_e32 v33, 0x7f800001
	s_mov_b32 s20, exec_lo
	v_cmpx_ne_u32_e32 0x7f, v44
	s_cbranch_execz .LBB372_3896
; %bb.3893:                             ;   in Loop: Header=BB372_2076 Depth=1
	v_mov_b32_e32 v24, v13
	v_mov_b32_e32 v23, v12
	v_lshrrev_b32_e32 v24, 3, v44
	s_mov_b32 s21, exec_lo
	v_cmpx_gt_u32_e32 8, v44
; %bb.3894:                             ;   in Loop: Header=BB372_2076 Depth=1
	v_and_b32_e32 v23, 7, v22
	v_ffbh_u32_e32 v23, v23
	v_min_u32_e32 v33, 32, v23
	v_subrev_nc_u32_e32 v23, 28, v33
	v_lshlrev_b64 v[23:24], v23, v[12:13]
	v_sub_nc_u32_e32 v24, 29, v33
; %bb.3895:                             ;   in Loop: Header=BB372_2076 Depth=1
	s_or_b32 exec_lo, exec_lo, s21
	v_lshlrev_b32_e32 v23, 20, v23
	v_lshlrev_b32_e32 v33, 24, v12
	v_lshl_add_u32 v24, v24, 23, 0x3c000000
	v_and_b32_e32 v23, 0x700000, v23
	v_and_b32_e32 v33, 0x80000000, v33
	v_or3_b32 v33, v23, v33, v24
.LBB372_3896:                           ;   in Loop: Header=BB372_2076 Depth=1
	s_or_b32 exec_lo, exec_lo, s20
.LBB372_3897:                           ;   in Loop: Header=BB372_2076 Depth=1
	s_or_b32 exec_lo, exec_lo, s19
.LBB372_3898:                           ;   in Loop: Header=BB372_2076 Depth=1
	s_or_b32 exec_lo, exec_lo, s18
	v_cmp_ne_u16_sdwa s4, v12, v13 src0_sel:BYTE_1 src1_sel:DWORD
	s_and_saveexec_b32 s18, s4
	s_cbranch_execz .LBB372_3906
; %bb.3899:                             ;   in Loop: Header=BB372_2076 Depth=1
	v_cmp_ne_u16_sdwa s4, v12, v103 src0_sel:BYTE_1 src1_sel:DWORD
	v_bfrev_b32_e32 v83, 1
	s_and_saveexec_b32 s19, s4
	s_cbranch_execz .LBB372_3905
; %bb.3900:                             ;   in Loop: Header=BB372_2076 Depth=1
	v_mov_b32_e32 v23, 0xffff
	v_mov_b32_e32 v83, 0x7f800001
	s_mov_b32 s20, exec_lo
	v_and_b32_sdwa v23, v23, v12 dst_sel:DWORD dst_unused:UNUSED_PAD src0_sel:DWORD src1_sel:BYTE_1
	v_and_b32_e32 v44, 0x7f, v23
	v_cmpx_ne_u32_e32 0x7f, v44
	s_cbranch_execz .LBB372_3904
; %bb.3901:                             ;   in Loop: Header=BB372_2076 Depth=1
	v_and_b32_e32 v23, 7, v23
	v_mov_b32_e32 v24, v13
	v_lshrrev_b32_e32 v83, 3, v44
	s_mov_b32 s21, exec_lo
	v_cmpx_gt_u32_e32 8, v44
; %bb.3902:                             ;   in Loop: Header=BB372_2076 Depth=1
	v_ffbh_u32_e32 v83, v23
	v_min_u32_e32 v83, 32, v83
	v_subrev_nc_u32_e32 v98, 28, v83
	v_sub_nc_u32_e32 v83, 29, v83
	v_lshlrev_b64 v[23:24], v98, v[23:24]
	v_and_b32_e32 v23, 7, v23
; %bb.3903:                             ;   in Loop: Header=BB372_2076 Depth=1
	s_or_b32 exec_lo, exec_lo, s21
	v_lshlrev_b32_e32 v12, 16, v12
	v_lshlrev_b32_e32 v23, 20, v23
	v_lshl_add_u32 v24, v83, 23, 0x3c000000
	v_and_b32_e32 v12, 0x80000000, v12
	v_or3_b32 v83, v23, v12, v24
.LBB372_3904:                           ;   in Loop: Header=BB372_2076 Depth=1
	s_or_b32 exec_lo, exec_lo, s20
.LBB372_3905:                           ;   in Loop: Header=BB372_2076 Depth=1
	s_or_b32 exec_lo, exec_lo, s19
.LBB372_3906:                           ;   in Loop: Header=BB372_2076 Depth=1
	s_or_b32 exec_lo, exec_lo, s18
	v_and_b32_sdwa v12, v22, v113 dst_sel:DWORD dst_unused:UNUSED_PAD src0_sel:WORD_1 src1_sel:DWORD
	v_mov_b32_e32 v45, 0
	v_mov_b32_e32 v46, 0
	s_mov_b32 s18, exec_lo
	v_cmpx_ne_u16_e32 0, v12
	s_cbranch_execz .LBB372_3914
; %bb.3907:                             ;   in Loop: Header=BB372_2076 Depth=1
	v_bfrev_b32_e32 v46, 1
	s_mov_b32 s19, exec_lo
	v_cmpx_ne_u16_e32 0x80, v12
	s_cbranch_execz .LBB372_3913
; %bb.3908:                             ;   in Loop: Header=BB372_2076 Depth=1
	v_bfe_u32 v44, v22, 16, 7
	v_mov_b32_e32 v46, 0x7f800001
	s_mov_b32 s20, exec_lo
	v_cmpx_ne_u32_e32 0x7f, v44
	s_cbranch_execz .LBB372_3912
; %bb.3909:                             ;   in Loop: Header=BB372_2076 Depth=1
	v_and_b32_sdwa v12, v22, v114 dst_sel:DWORD dst_unused:UNUSED_PAD src0_sel:WORD_1 src1_sel:DWORD
	v_mov_b32_e32 v24, v13
	v_lshrrev_b32_e32 v24, 3, v44
	s_mov_b32 s21, exec_lo
	v_mov_b32_e32 v23, v12
	v_cmpx_gt_u32_e32 8, v44
; %bb.3910:                             ;   in Loop: Header=BB372_2076 Depth=1
	v_ffbh_u32_e32 v23, v12
	v_min_u32_e32 v98, 32, v23
	v_subrev_nc_u32_e32 v23, 28, v98
	v_lshlrev_b64 v[23:24], v23, v[12:13]
	v_sub_nc_u32_e32 v24, 29, v98
	v_and_b32_e32 v23, 7, v23
; %bb.3911:                             ;   in Loop: Header=BB372_2076 Depth=1
	s_or_b32 exec_lo, exec_lo, s21
	v_lshlrev_b32_sdwa v12, v115, v22 dst_sel:DWORD dst_unused:UNUSED_PAD src0_sel:DWORD src1_sel:WORD_1
	v_lshlrev_b32_e32 v23, 20, v23
	v_lshl_add_u32 v24, v24, 23, 0x3c000000
	v_and_b32_e32 v12, 0x80000000, v12
	v_or3_b32 v46, v23, v12, v24
.LBB372_3912:                           ;   in Loop: Header=BB372_2076 Depth=1
	s_or_b32 exec_lo, exec_lo, s20
.LBB372_3913:                           ;   in Loop: Header=BB372_2076 Depth=1
	s_or_b32 exec_lo, exec_lo, s19
.LBB372_3914:                           ;   in Loop: Header=BB372_2076 Depth=1
	s_or_b32 exec_lo, exec_lo, s18
	s_mov_b32 s18, exec_lo
	v_cmpx_lt_u64_e64 s[6:7], v[21:22]
	s_cbranch_execz .LBB372_3922
; %bb.3915:                             ;   in Loop: Header=BB372_2076 Depth=1
	v_cmp_ne_u32_sdwa s4, v22, v103 src0_sel:BYTE_3 src1_sel:DWORD
	v_bfrev_b32_e32 v45, 1
	s_and_saveexec_b32 s19, s4
	s_cbranch_execz .LBB372_3921
; %bb.3916:                             ;   in Loop: Header=BB372_2076 Depth=1
	v_bfe_u32 v44, v22, 24, 7
	v_mov_b32_e32 v45, 0x7f800001
	s_mov_b32 s20, exec_lo
	v_cmpx_ne_u32_e32 0x7f, v44
	s_cbranch_execz .LBB372_3920
; %bb.3917:                             ;   in Loop: Header=BB372_2076 Depth=1
	v_and_b32_sdwa v12, v22, v114 dst_sel:DWORD dst_unused:UNUSED_PAD src0_sel:BYTE_3 src1_sel:DWORD
	v_mov_b32_e32 v24, v13
	v_lshrrev_b32_e32 v21, 3, v44
	s_mov_b32 s21, exec_lo
	v_mov_b32_e32 v23, v12
	v_cmpx_gt_u32_e32 8, v44
; %bb.3918:                             ;   in Loop: Header=BB372_2076 Depth=1
	v_ffbh_u32_e32 v21, v12
	v_min_u32_e32 v21, 32, v21
	v_subrev_nc_u32_e32 v23, 28, v21
	v_sub_nc_u32_e32 v21, 29, v21
	v_lshlrev_b64 v[23:24], v23, v[12:13]
	v_and_b32_e32 v23, 7, v23
; %bb.3919:                             ;   in Loop: Header=BB372_2076 Depth=1
	s_or_b32 exec_lo, exec_lo, s21
	v_lshlrev_b32_sdwa v12, v115, v22 dst_sel:DWORD dst_unused:UNUSED_PAD src0_sel:DWORD src1_sel:BYTE_3
	v_lshlrev_b32_e32 v22, 20, v23
	v_lshl_add_u32 v21, v21, 23, 0x3c000000
	v_and_b32_e32 v12, 0x80000000, v12
	v_or3_b32 v45, v22, v12, v21
.LBB372_3920:                           ;   in Loop: Header=BB372_2076 Depth=1
	s_or_b32 exec_lo, exec_lo, s20
.LBB372_3921:                           ;   in Loop: Header=BB372_2076 Depth=1
	s_or_b32 exec_lo, exec_lo, s19
.LBB372_3922:                           ;   in Loop: Header=BB372_2076 Depth=1
	s_or_b32 exec_lo, exec_lo, s18
	v_mul_f32_e32 v12, v97, v83
	v_bfe_u32 v21, v12, 16, 1
	v_or_b32_e32 v22, 0x400000, v12
	v_cmp_u_f32_e64 s4, v12, v12
	v_add3_u32 v21, v21, v12, 0x7fff
	v_cndmask_b32_e64 v12, v21, v22, s4
	v_lshrrev_b32_e32 v83, 16, v12
	v_mul_f32_e32 v12, v97, v33
	v_bfe_u32 v21, v12, 16, 1
	v_or_b32_e32 v22, 0x400000, v12
	v_cmp_u_f32_e64 s4, v12, v12
	v_add3_u32 v21, v21, v12, 0x7fff
	v_cndmask_b32_e64 v12, v21, v22, s4
	v_lshrrev_b32_e32 v33, 16, v12
	;; [unrolled: 7-line block ×8, first 2 shown]
	s_and_saveexec_b32 s18, vcc_lo
	s_cbranch_execz .LBB372_3924
; %bb.3923:                             ;   in Loop: Header=BB372_2076 Depth=1
	buffer_load_dword v12, off, s[0:3], s32 offset:192 ; 4-byte Folded Reload
	s_waitcnt vmcnt(0)
	v_cmp_lt_i32_e64 s4, v124, v12
	v_cndmask_b32_e64 v44, 0, v44, s4
	v_cmp_lt_i32_e64 s4, v11, v12
	v_cndmask_b32_e64 v87, 0, v87, s4
	;; [unrolled: 2-line block ×8, first 2 shown]
.LBB372_3924:                           ;   in Loop: Header=BB372_2076 Depth=1
	s_or_b32 exec_lo, exec_lo, s18
	flat_load_dwordx2 v[21:22], v[19:20] offset:1024
	v_mov_b32_e32 v58, 0
	v_mov_b32_e32 v59, 0
	s_waitcnt vmcnt(0) lgkmcnt(0)
	v_cmp_ne_u16_sdwa s4, v21, v13 src0_sel:BYTE_0 src1_sel:DWORD
	s_and_saveexec_b32 s18, s4
	s_cbranch_execz .LBB372_3932
; %bb.3925:                             ;   in Loop: Header=BB372_2076 Depth=1
	v_cmp_ne_u16_sdwa s4, v21, v103 src0_sel:BYTE_0 src1_sel:DWORD
	v_bfrev_b32_e32 v59, 1
	s_and_saveexec_b32 s19, s4
	s_cbranch_execz .LBB372_3931
; %bb.3926:                             ;   in Loop: Header=BB372_2076 Depth=1
	v_and_b32_e32 v23, 0x7f, v21
	v_mov_b32_e32 v59, 0x7f800001
	s_mov_b32 s20, exec_lo
	v_cmpx_ne_u32_e32 0x7f, v23
	s_cbranch_execz .LBB372_3930
; %bb.3927:                             ;   in Loop: Header=BB372_2076 Depth=1
	v_lshrrev_b32_e32 v12, 3, v23
	v_cmp_gt_u32_e64 s4, 8, v23
	v_mov_b32_e32 v24, v22
	v_mov_b32_e32 v23, v21
	s_and_saveexec_b32 s21, s4
; %bb.3928:                             ;   in Loop: Header=BB372_2076 Depth=1
	v_and_b32_e32 v12, 7, v21
	v_ffbh_u32_e32 v12, v12
	v_min_u32_e32 v12, 32, v12
	v_subrev_nc_u32_e32 v23, 28, v12
	v_sub_nc_u32_e32 v12, 29, v12
	v_lshlrev_b64 v[23:24], v23, v[21:22]
; %bb.3929:                             ;   in Loop: Header=BB372_2076 Depth=1
	s_or_b32 exec_lo, exec_lo, s21
	v_lshlrev_b32_e32 v23, 20, v23
	v_lshlrev_b32_e32 v24, 24, v21
	v_lshl_add_u32 v12, v12, 23, 0x3c000000
	v_and_b32_e32 v23, 0x700000, v23
	v_and_b32_e32 v24, 0x80000000, v24
	v_or3_b32 v59, v23, v24, v12
.LBB372_3930:                           ;   in Loop: Header=BB372_2076 Depth=1
	s_or_b32 exec_lo, exec_lo, s20
.LBB372_3931:                           ;   in Loop: Header=BB372_2076 Depth=1
	s_or_b32 exec_lo, exec_lo, s19
.LBB372_3932:                           ;   in Loop: Header=BB372_2076 Depth=1
	s_or_b32 exec_lo, exec_lo, s18
	v_cmp_ne_u16_sdwa s4, v21, v13 src0_sel:BYTE_1 src1_sel:DWORD
	s_and_saveexec_b32 s18, s4
	s_cbranch_execz .LBB372_3940
; %bb.3933:                             ;   in Loop: Header=BB372_2076 Depth=1
	v_cmp_ne_u16_sdwa s4, v21, v103 src0_sel:BYTE_1 src1_sel:DWORD
	v_bfrev_b32_e32 v58, 1
	s_and_saveexec_b32 s19, s4
	s_cbranch_execz .LBB372_3939
; %bb.3934:                             ;   in Loop: Header=BB372_2076 Depth=1
	v_mov_b32_e32 v12, 0xffff
	v_mov_b32_e32 v58, 0x7f800001
	s_mov_b32 s20, exec_lo
	v_and_b32_sdwa v12, v12, v21 dst_sel:DWORD dst_unused:UNUSED_PAD src0_sel:DWORD src1_sel:BYTE_1
	v_and_b32_e32 v46, 0x7f, v12
	v_cmpx_ne_u32_e32 0x7f, v46
	s_cbranch_execz .LBB372_3938
; %bb.3935:                             ;   in Loop: Header=BB372_2076 Depth=1
	v_and_b32_e32 v12, 7, v12
	v_mov_b32_e32 v24, v13
	v_lshrrev_b32_e32 v24, 3, v46
	s_mov_b32 s21, exec_lo
	v_mov_b32_e32 v23, v12
	v_cmpx_gt_u32_e32 8, v46
; %bb.3936:                             ;   in Loop: Header=BB372_2076 Depth=1
	v_ffbh_u32_e32 v23, v12
	v_min_u32_e32 v98, 32, v23
	v_subrev_nc_u32_e32 v23, 28, v98
	v_lshlrev_b64 v[23:24], v23, v[12:13]
	v_sub_nc_u32_e32 v24, 29, v98
	v_and_b32_e32 v23, 7, v23
; %bb.3937:                             ;   in Loop: Header=BB372_2076 Depth=1
	s_or_b32 exec_lo, exec_lo, s21
	v_lshlrev_b32_e32 v12, 16, v21
	v_lshlrev_b32_e32 v23, 20, v23
	v_lshl_add_u32 v24, v24, 23, 0x3c000000
	v_and_b32_e32 v12, 0x80000000, v12
	v_or3_b32 v58, v23, v12, v24
.LBB372_3938:                           ;   in Loop: Header=BB372_2076 Depth=1
	s_or_b32 exec_lo, exec_lo, s20
.LBB372_3939:                           ;   in Loop: Header=BB372_2076 Depth=1
	s_or_b32 exec_lo, exec_lo, s19
.LBB372_3940:                           ;   in Loop: Header=BB372_2076 Depth=1
	s_or_b32 exec_lo, exec_lo, s18
	v_and_b32_sdwa v12, v21, v113 dst_sel:DWORD dst_unused:UNUSED_PAD src0_sel:WORD_1 src1_sel:DWORD
	v_mov_b32_e32 v56, 0
	v_mov_b32_e32 v57, 0
	s_mov_b32 s18, exec_lo
	v_cmpx_ne_u16_e32 0, v12
	s_cbranch_execz .LBB372_3948
; %bb.3941:                             ;   in Loop: Header=BB372_2076 Depth=1
	v_bfrev_b32_e32 v57, 1
	s_mov_b32 s19, exec_lo
	v_cmpx_ne_u16_e32 0x80, v12
	s_cbranch_execz .LBB372_3947
; %bb.3942:                             ;   in Loop: Header=BB372_2076 Depth=1
	v_bfe_u32 v46, v21, 16, 7
	v_mov_b32_e32 v57, 0x7f800001
	s_mov_b32 s20, exec_lo
	v_cmpx_ne_u32_e32 0x7f, v46
	s_cbranch_execz .LBB372_3946
; %bb.3943:                             ;   in Loop: Header=BB372_2076 Depth=1
	v_and_b32_sdwa v12, v21, v114 dst_sel:DWORD dst_unused:UNUSED_PAD src0_sel:WORD_1 src1_sel:DWORD
	v_mov_b32_e32 v24, v13
	v_lshrrev_b32_e32 v24, 3, v46
	s_mov_b32 s21, exec_lo
	v_mov_b32_e32 v23, v12
	v_cmpx_gt_u32_e32 8, v46
; %bb.3944:                             ;   in Loop: Header=BB372_2076 Depth=1
	v_ffbh_u32_e32 v23, v12
	v_min_u32_e32 v98, 32, v23
	v_subrev_nc_u32_e32 v23, 28, v98
	v_lshlrev_b64 v[23:24], v23, v[12:13]
	v_sub_nc_u32_e32 v24, 29, v98
	v_and_b32_e32 v23, 7, v23
; %bb.3945:                             ;   in Loop: Header=BB372_2076 Depth=1
	s_or_b32 exec_lo, exec_lo, s21
	v_lshlrev_b32_sdwa v12, v115, v21 dst_sel:DWORD dst_unused:UNUSED_PAD src0_sel:DWORD src1_sel:WORD_1
	v_lshlrev_b32_e32 v23, 20, v23
	v_lshl_add_u32 v24, v24, 23, 0x3c000000
	v_and_b32_e32 v12, 0x80000000, v12
	v_or3_b32 v57, v23, v12, v24
.LBB372_3946:                           ;   in Loop: Header=BB372_2076 Depth=1
	s_or_b32 exec_lo, exec_lo, s20
.LBB372_3947:                           ;   in Loop: Header=BB372_2076 Depth=1
	s_or_b32 exec_lo, exec_lo, s19
.LBB372_3948:                           ;   in Loop: Header=BB372_2076 Depth=1
	s_or_b32 exec_lo, exec_lo, s18
	s_mov_b32 s18, exec_lo
	v_cmpx_lt_u32_e32 0xffffff, v21
	s_cbranch_execz .LBB372_3956
; %bb.3949:                             ;   in Loop: Header=BB372_2076 Depth=1
	v_cmp_ne_u32_sdwa s4, v21, v103 src0_sel:BYTE_3 src1_sel:DWORD
	v_bfrev_b32_e32 v56, 1
	s_and_saveexec_b32 s19, s4
	s_cbranch_execz .LBB372_3955
; %bb.3950:                             ;   in Loop: Header=BB372_2076 Depth=1
	v_bfe_u32 v46, v21, 24, 7
	v_mov_b32_e32 v56, 0x7f800001
	s_mov_b32 s20, exec_lo
	v_cmpx_ne_u32_e32 0x7f, v46
	s_cbranch_execz .LBB372_3954
; %bb.3951:                             ;   in Loop: Header=BB372_2076 Depth=1
	v_and_b32_sdwa v12, v21, v114 dst_sel:DWORD dst_unused:UNUSED_PAD src0_sel:BYTE_3 src1_sel:DWORD
	v_mov_b32_e32 v24, v13
	v_lshrrev_b32_e32 v24, 3, v46
	s_mov_b32 s21, exec_lo
	v_mov_b32_e32 v23, v12
	v_cmpx_gt_u32_e32 8, v46
; %bb.3952:                             ;   in Loop: Header=BB372_2076 Depth=1
	v_ffbh_u32_e32 v23, v12
	v_min_u32_e32 v98, 32, v23
	v_subrev_nc_u32_e32 v23, 28, v98
	v_lshlrev_b64 v[23:24], v23, v[12:13]
	v_sub_nc_u32_e32 v24, 29, v98
	v_and_b32_e32 v23, 7, v23
; %bb.3953:                             ;   in Loop: Header=BB372_2076 Depth=1
	s_or_b32 exec_lo, exec_lo, s21
	v_lshlrev_b32_sdwa v12, v115, v21 dst_sel:DWORD dst_unused:UNUSED_PAD src0_sel:DWORD src1_sel:BYTE_3
	v_lshlrev_b32_e32 v23, 20, v23
	v_lshl_add_u32 v24, v24, 23, 0x3c000000
	v_and_b32_e32 v12, 0x80000000, v12
	v_or3_b32 v56, v23, v12, v24
.LBB372_3954:                           ;   in Loop: Header=BB372_2076 Depth=1
	s_or_b32 exec_lo, exec_lo, s20
.LBB372_3955:                           ;   in Loop: Header=BB372_2076 Depth=1
	s_or_b32 exec_lo, exec_lo, s19
.LBB372_3956:                           ;   in Loop: Header=BB372_2076 Depth=1
	s_or_b32 exec_lo, exec_lo, s18
	v_mov_b32_e32 v12, v22
	v_cmp_ne_u16_sdwa s4, v22, v13 src0_sel:BYTE_0 src1_sel:DWORD
	v_mov_b32_e32 v46, 0
	v_mov_b32_e32 v47, 0
	s_and_saveexec_b32 s18, s4
	s_cbranch_execz .LBB372_3964
; %bb.3957:                             ;   in Loop: Header=BB372_2076 Depth=1
	v_cmp_ne_u16_sdwa s4, v22, v103 src0_sel:BYTE_0 src1_sel:DWORD
	v_bfrev_b32_e32 v47, 1
	s_and_saveexec_b32 s19, s4
	s_cbranch_execz .LBB372_3963
; %bb.3958:                             ;   in Loop: Header=BB372_2076 Depth=1
	v_and_b32_e32 v60, 0x7f, v22
	v_mov_b32_e32 v47, 0x7f800001
	s_mov_b32 s20, exec_lo
	v_cmpx_ne_u32_e32 0x7f, v60
	s_cbranch_execz .LBB372_3962
; %bb.3959:                             ;   in Loop: Header=BB372_2076 Depth=1
	v_mov_b32_e32 v24, v13
	v_mov_b32_e32 v23, v12
	v_lshrrev_b32_e32 v24, 3, v60
	s_mov_b32 s21, exec_lo
	v_cmpx_gt_u32_e32 8, v60
; %bb.3960:                             ;   in Loop: Header=BB372_2076 Depth=1
	v_and_b32_e32 v23, 7, v22
	v_ffbh_u32_e32 v23, v23
	v_min_u32_e32 v98, 32, v23
	v_subrev_nc_u32_e32 v23, 28, v98
	v_lshlrev_b64 v[23:24], v23, v[12:13]
	v_sub_nc_u32_e32 v24, 29, v98
; %bb.3961:                             ;   in Loop: Header=BB372_2076 Depth=1
	s_or_b32 exec_lo, exec_lo, s21
	v_lshlrev_b32_e32 v23, 20, v23
	v_lshlrev_b32_e32 v98, 24, v12
	v_lshl_add_u32 v24, v24, 23, 0x3c000000
	v_and_b32_e32 v23, 0x700000, v23
	v_and_b32_e32 v98, 0x80000000, v98
	v_or3_b32 v47, v23, v98, v24
.LBB372_3962:                           ;   in Loop: Header=BB372_2076 Depth=1
	s_or_b32 exec_lo, exec_lo, s20
.LBB372_3963:                           ;   in Loop: Header=BB372_2076 Depth=1
	s_or_b32 exec_lo, exec_lo, s19
.LBB372_3964:                           ;   in Loop: Header=BB372_2076 Depth=1
	s_or_b32 exec_lo, exec_lo, s18
	v_cmp_ne_u16_sdwa s4, v12, v13 src0_sel:BYTE_1 src1_sel:DWORD
	s_and_saveexec_b32 s18, s4
	s_cbranch_execz .LBB372_3972
; %bb.3965:                             ;   in Loop: Header=BB372_2076 Depth=1
	v_cmp_ne_u16_sdwa s4, v12, v103 src0_sel:BYTE_1 src1_sel:DWORD
	v_bfrev_b32_e32 v46, 1
	s_and_saveexec_b32 s19, s4
	s_cbranch_execz .LBB372_3971
; %bb.3966:                             ;   in Loop: Header=BB372_2076 Depth=1
	v_mov_b32_e32 v23, 0xffff
	v_mov_b32_e32 v46, 0x7f800001
	s_mov_b32 s20, exec_lo
	v_and_b32_sdwa v23, v23, v12 dst_sel:DWORD dst_unused:UNUSED_PAD src0_sel:DWORD src1_sel:BYTE_1
	v_and_b32_e32 v60, 0x7f, v23
	v_cmpx_ne_u32_e32 0x7f, v60
	s_cbranch_execz .LBB372_3970
; %bb.3967:                             ;   in Loop: Header=BB372_2076 Depth=1
	v_and_b32_e32 v23, 7, v23
	v_mov_b32_e32 v24, v13
	v_lshrrev_b32_e32 v46, 3, v60
	s_mov_b32 s21, exec_lo
	v_cmpx_gt_u32_e32 8, v60
; %bb.3968:                             ;   in Loop: Header=BB372_2076 Depth=1
	v_ffbh_u32_e32 v98, v23
	v_min_u32_e32 v98, 32, v98
	v_subrev_nc_u32_e32 v46, 28, v98
	v_lshlrev_b64 v[23:24], v46, v[23:24]
	v_sub_nc_u32_e32 v46, 29, v98
	v_and_b32_e32 v23, 7, v23
; %bb.3969:                             ;   in Loop: Header=BB372_2076 Depth=1
	s_or_b32 exec_lo, exec_lo, s21
	v_lshlrev_b32_e32 v12, 16, v12
	v_lshlrev_b32_e32 v23, 20, v23
	v_lshl_add_u32 v24, v46, 23, 0x3c000000
	v_and_b32_e32 v12, 0x80000000, v12
	v_or3_b32 v46, v23, v12, v24
.LBB372_3970:                           ;   in Loop: Header=BB372_2076 Depth=1
	s_or_b32 exec_lo, exec_lo, s20
.LBB372_3971:                           ;   in Loop: Header=BB372_2076 Depth=1
	s_or_b32 exec_lo, exec_lo, s19
.LBB372_3972:                           ;   in Loop: Header=BB372_2076 Depth=1
	s_or_b32 exec_lo, exec_lo, s18
	v_and_b32_sdwa v12, v22, v113 dst_sel:DWORD dst_unused:UNUSED_PAD src0_sel:WORD_1 src1_sel:DWORD
	v_mov_b32_e32 v61, 0
	v_mov_b32_e32 v62, 0
	s_mov_b32 s18, exec_lo
	v_cmpx_ne_u16_e32 0, v12
	s_cbranch_execz .LBB372_3980
; %bb.3973:                             ;   in Loop: Header=BB372_2076 Depth=1
	v_bfrev_b32_e32 v62, 1
	s_mov_b32 s19, exec_lo
	v_cmpx_ne_u16_e32 0x80, v12
	s_cbranch_execz .LBB372_3979
; %bb.3974:                             ;   in Loop: Header=BB372_2076 Depth=1
	v_bfe_u32 v60, v22, 16, 7
	v_mov_b32_e32 v62, 0x7f800001
	s_mov_b32 s20, exec_lo
	v_cmpx_ne_u32_e32 0x7f, v60
	s_cbranch_execz .LBB372_3978
; %bb.3975:                             ;   in Loop: Header=BB372_2076 Depth=1
	v_and_b32_sdwa v12, v22, v114 dst_sel:DWORD dst_unused:UNUSED_PAD src0_sel:WORD_1 src1_sel:DWORD
	v_mov_b32_e32 v24, v13
	v_lshrrev_b32_e32 v24, 3, v60
	s_mov_b32 s21, exec_lo
	v_mov_b32_e32 v23, v12
	v_cmpx_gt_u32_e32 8, v60
; %bb.3976:                             ;   in Loop: Header=BB372_2076 Depth=1
	v_ffbh_u32_e32 v23, v12
	v_min_u32_e32 v98, 32, v23
	v_subrev_nc_u32_e32 v23, 28, v98
	v_lshlrev_b64 v[23:24], v23, v[12:13]
	v_sub_nc_u32_e32 v24, 29, v98
	v_and_b32_e32 v23, 7, v23
; %bb.3977:                             ;   in Loop: Header=BB372_2076 Depth=1
	s_or_b32 exec_lo, exec_lo, s21
	v_lshlrev_b32_sdwa v12, v115, v22 dst_sel:DWORD dst_unused:UNUSED_PAD src0_sel:DWORD src1_sel:WORD_1
	v_lshlrev_b32_e32 v23, 20, v23
	v_lshl_add_u32 v24, v24, 23, 0x3c000000
	v_and_b32_e32 v12, 0x80000000, v12
	v_or3_b32 v62, v23, v12, v24
.LBB372_3978:                           ;   in Loop: Header=BB372_2076 Depth=1
	s_or_b32 exec_lo, exec_lo, s20
.LBB372_3979:                           ;   in Loop: Header=BB372_2076 Depth=1
	s_or_b32 exec_lo, exec_lo, s19
.LBB372_3980:                           ;   in Loop: Header=BB372_2076 Depth=1
	s_or_b32 exec_lo, exec_lo, s18
	s_mov_b32 s18, exec_lo
	v_cmpx_lt_u64_e64 s[6:7], v[21:22]
	s_cbranch_execz .LBB372_3988
; %bb.3981:                             ;   in Loop: Header=BB372_2076 Depth=1
	v_cmp_ne_u32_sdwa s4, v22, v103 src0_sel:BYTE_3 src1_sel:DWORD
	v_bfrev_b32_e32 v61, 1
	s_and_saveexec_b32 s19, s4
	s_cbranch_execz .LBB372_3987
; %bb.3982:                             ;   in Loop: Header=BB372_2076 Depth=1
	v_bfe_u32 v60, v22, 24, 7
	v_mov_b32_e32 v61, 0x7f800001
	s_mov_b32 s20, exec_lo
	v_cmpx_ne_u32_e32 0x7f, v60
	s_cbranch_execz .LBB372_3986
; %bb.3983:                             ;   in Loop: Header=BB372_2076 Depth=1
	v_and_b32_sdwa v12, v22, v114 dst_sel:DWORD dst_unused:UNUSED_PAD src0_sel:BYTE_3 src1_sel:DWORD
	v_mov_b32_e32 v24, v13
	v_lshrrev_b32_e32 v21, 3, v60
	s_mov_b32 s21, exec_lo
	v_mov_b32_e32 v23, v12
	v_cmpx_gt_u32_e32 8, v60
; %bb.3984:                             ;   in Loop: Header=BB372_2076 Depth=1
	v_ffbh_u32_e32 v21, v12
	v_min_u32_e32 v21, 32, v21
	v_subrev_nc_u32_e32 v23, 28, v21
	v_sub_nc_u32_e32 v21, 29, v21
	v_lshlrev_b64 v[23:24], v23, v[12:13]
	v_and_b32_e32 v23, 7, v23
; %bb.3985:                             ;   in Loop: Header=BB372_2076 Depth=1
	s_or_b32 exec_lo, exec_lo, s21
	v_lshlrev_b32_sdwa v12, v115, v22 dst_sel:DWORD dst_unused:UNUSED_PAD src0_sel:DWORD src1_sel:BYTE_3
	v_lshlrev_b32_e32 v22, 20, v23
	v_lshl_add_u32 v21, v21, 23, 0x3c000000
	v_and_b32_e32 v12, 0x80000000, v12
	v_or3_b32 v61, v22, v12, v21
.LBB372_3986:                           ;   in Loop: Header=BB372_2076 Depth=1
	s_or_b32 exec_lo, exec_lo, s20
.LBB372_3987:                           ;   in Loop: Header=BB372_2076 Depth=1
	s_or_b32 exec_lo, exec_lo, s19
.LBB372_3988:                           ;   in Loop: Header=BB372_2076 Depth=1
	s_or_b32 exec_lo, exec_lo, s18
	v_mul_f32_e32 v12, v97, v46
	v_bfe_u32 v21, v12, 16, 1
	v_or_b32_e32 v22, 0x400000, v12
	v_cmp_u_f32_e64 s4, v12, v12
	v_add3_u32 v21, v21, v12, 0x7fff
	v_cndmask_b32_e64 v12, v21, v22, s4
	v_lshrrev_b32_e32 v46, 16, v12
	v_mul_f32_e32 v12, v97, v47
	v_bfe_u32 v21, v12, 16, 1
	v_or_b32_e32 v22, 0x400000, v12
	v_cmp_u_f32_e64 s4, v12, v12
	v_add3_u32 v21, v21, v12, 0x7fff
	v_cndmask_b32_e64 v12, v21, v22, s4
	v_lshrrev_b32_e32 v47, 16, v12
	;; [unrolled: 7-line block ×8, first 2 shown]
	s_and_saveexec_b32 s18, vcc_lo
	s_cbranch_execz .LBB372_3990
; %bb.3989:                             ;   in Loop: Header=BB372_2076 Depth=1
	buffer_load_dword v12, off, s[0:3], s32 offset:192 ; 4-byte Folded Reload
	s_waitcnt vmcnt(0)
	v_cmp_lt_i32_e64 s4, v124, v12
	v_cndmask_b32_e64 v60, 0, v60, s4
	v_cmp_lt_i32_e64 s4, v11, v12
	v_cndmask_b32_e64 v58, 0, v58, s4
	;; [unrolled: 2-line block ×8, first 2 shown]
.LBB372_3990:                           ;   in Loop: Header=BB372_2076 Depth=1
	s_or_b32 exec_lo, exec_lo, s18
	flat_load_dwordx2 v[21:22], v[19:20] offset:1280
	v_mov_b32_e32 v73, 0
	v_mov_b32_e32 v74, 0
	s_waitcnt vmcnt(0) lgkmcnt(0)
	v_cmp_ne_u16_sdwa s4, v21, v13 src0_sel:BYTE_0 src1_sel:DWORD
	s_and_saveexec_b32 s18, s4
	s_cbranch_execz .LBB372_3998
; %bb.3991:                             ;   in Loop: Header=BB372_2076 Depth=1
	v_cmp_ne_u16_sdwa s4, v21, v103 src0_sel:BYTE_0 src1_sel:DWORD
	v_bfrev_b32_e32 v74, 1
	s_and_saveexec_b32 s19, s4
	s_cbranch_execz .LBB372_3997
; %bb.3992:                             ;   in Loop: Header=BB372_2076 Depth=1
	v_and_b32_e32 v23, 0x7f, v21
	v_mov_b32_e32 v74, 0x7f800001
	s_mov_b32 s20, exec_lo
	v_cmpx_ne_u32_e32 0x7f, v23
	s_cbranch_execz .LBB372_3996
; %bb.3993:                             ;   in Loop: Header=BB372_2076 Depth=1
	v_lshrrev_b32_e32 v12, 3, v23
	v_cmp_gt_u32_e64 s4, 8, v23
	v_mov_b32_e32 v24, v22
	v_mov_b32_e32 v23, v21
	s_and_saveexec_b32 s21, s4
; %bb.3994:                             ;   in Loop: Header=BB372_2076 Depth=1
	v_and_b32_e32 v12, 7, v21
	v_ffbh_u32_e32 v12, v12
	v_min_u32_e32 v12, 32, v12
	v_subrev_nc_u32_e32 v23, 28, v12
	v_sub_nc_u32_e32 v12, 29, v12
	v_lshlrev_b64 v[23:24], v23, v[21:22]
; %bb.3995:                             ;   in Loop: Header=BB372_2076 Depth=1
	s_or_b32 exec_lo, exec_lo, s21
	v_lshlrev_b32_e32 v23, 20, v23
	v_lshlrev_b32_e32 v24, 24, v21
	v_lshl_add_u32 v12, v12, 23, 0x3c000000
	v_and_b32_e32 v23, 0x700000, v23
	v_and_b32_e32 v24, 0x80000000, v24
	v_or3_b32 v74, v23, v24, v12
.LBB372_3996:                           ;   in Loop: Header=BB372_2076 Depth=1
	s_or_b32 exec_lo, exec_lo, s20
.LBB372_3997:                           ;   in Loop: Header=BB372_2076 Depth=1
	s_or_b32 exec_lo, exec_lo, s19
.LBB372_3998:                           ;   in Loop: Header=BB372_2076 Depth=1
	s_or_b32 exec_lo, exec_lo, s18
	v_cmp_ne_u16_sdwa s4, v21, v13 src0_sel:BYTE_1 src1_sel:DWORD
	s_and_saveexec_b32 s18, s4
	s_cbranch_execz .LBB372_4006
; %bb.3999:                             ;   in Loop: Header=BB372_2076 Depth=1
	v_cmp_ne_u16_sdwa s4, v21, v103 src0_sel:BYTE_1 src1_sel:DWORD
	v_bfrev_b32_e32 v73, 1
	s_and_saveexec_b32 s19, s4
	s_cbranch_execz .LBB372_4005
; %bb.4000:                             ;   in Loop: Header=BB372_2076 Depth=1
	v_mov_b32_e32 v12, 0xffff
	v_mov_b32_e32 v73, 0x7f800001
	s_mov_b32 s20, exec_lo
	v_and_b32_sdwa v12, v12, v21 dst_sel:DWORD dst_unused:UNUSED_PAD src0_sel:DWORD src1_sel:BYTE_1
	v_and_b32_e32 v62, 0x7f, v12
	v_cmpx_ne_u32_e32 0x7f, v62
	s_cbranch_execz .LBB372_4004
; %bb.4001:                             ;   in Loop: Header=BB372_2076 Depth=1
	v_and_b32_e32 v12, 7, v12
	v_mov_b32_e32 v24, v13
	v_lshrrev_b32_e32 v24, 3, v62
	s_mov_b32 s21, exec_lo
	v_mov_b32_e32 v23, v12
	v_cmpx_gt_u32_e32 8, v62
; %bb.4002:                             ;   in Loop: Header=BB372_2076 Depth=1
	v_ffbh_u32_e32 v23, v12
	v_min_u32_e32 v98, 32, v23
	v_subrev_nc_u32_e32 v23, 28, v98
	v_lshlrev_b64 v[23:24], v23, v[12:13]
	v_sub_nc_u32_e32 v24, 29, v98
	v_and_b32_e32 v23, 7, v23
; %bb.4003:                             ;   in Loop: Header=BB372_2076 Depth=1
	s_or_b32 exec_lo, exec_lo, s21
	v_lshlrev_b32_e32 v12, 16, v21
	v_lshlrev_b32_e32 v23, 20, v23
	v_lshl_add_u32 v24, v24, 23, 0x3c000000
	v_and_b32_e32 v12, 0x80000000, v12
	v_or3_b32 v73, v23, v12, v24
.LBB372_4004:                           ;   in Loop: Header=BB372_2076 Depth=1
	s_or_b32 exec_lo, exec_lo, s20
.LBB372_4005:                           ;   in Loop: Header=BB372_2076 Depth=1
	s_or_b32 exec_lo, exec_lo, s19
.LBB372_4006:                           ;   in Loop: Header=BB372_2076 Depth=1
	s_or_b32 exec_lo, exec_lo, s18
	v_and_b32_sdwa v12, v21, v113 dst_sel:DWORD dst_unused:UNUSED_PAD src0_sel:WORD_1 src1_sel:DWORD
	v_mov_b32_e32 v63, 0
	v_mov_b32_e32 v72, 0
	s_mov_b32 s18, exec_lo
	v_cmpx_ne_u16_e32 0, v12
	s_cbranch_execz .LBB372_4014
; %bb.4007:                             ;   in Loop: Header=BB372_2076 Depth=1
	v_bfrev_b32_e32 v72, 1
	s_mov_b32 s19, exec_lo
	v_cmpx_ne_u16_e32 0x80, v12
	s_cbranch_execz .LBB372_4013
; %bb.4008:                             ;   in Loop: Header=BB372_2076 Depth=1
	v_bfe_u32 v62, v21, 16, 7
	v_mov_b32_e32 v72, 0x7f800001
	s_mov_b32 s20, exec_lo
	v_cmpx_ne_u32_e32 0x7f, v62
	s_cbranch_execz .LBB372_4012
; %bb.4009:                             ;   in Loop: Header=BB372_2076 Depth=1
	v_and_b32_sdwa v12, v21, v114 dst_sel:DWORD dst_unused:UNUSED_PAD src0_sel:WORD_1 src1_sel:DWORD
	v_mov_b32_e32 v24, v13
	v_lshrrev_b32_e32 v24, 3, v62
	s_mov_b32 s21, exec_lo
	v_mov_b32_e32 v23, v12
	v_cmpx_gt_u32_e32 8, v62
; %bb.4010:                             ;   in Loop: Header=BB372_2076 Depth=1
	v_ffbh_u32_e32 v23, v12
	v_min_u32_e32 v98, 32, v23
	v_subrev_nc_u32_e32 v23, 28, v98
	v_lshlrev_b64 v[23:24], v23, v[12:13]
	v_sub_nc_u32_e32 v24, 29, v98
	v_and_b32_e32 v23, 7, v23
; %bb.4011:                             ;   in Loop: Header=BB372_2076 Depth=1
	s_or_b32 exec_lo, exec_lo, s21
	v_lshlrev_b32_sdwa v12, v115, v21 dst_sel:DWORD dst_unused:UNUSED_PAD src0_sel:DWORD src1_sel:WORD_1
	v_lshlrev_b32_e32 v23, 20, v23
	v_lshl_add_u32 v24, v24, 23, 0x3c000000
	v_and_b32_e32 v12, 0x80000000, v12
	v_or3_b32 v72, v23, v12, v24
.LBB372_4012:                           ;   in Loop: Header=BB372_2076 Depth=1
	s_or_b32 exec_lo, exec_lo, s20
.LBB372_4013:                           ;   in Loop: Header=BB372_2076 Depth=1
	s_or_b32 exec_lo, exec_lo, s19
.LBB372_4014:                           ;   in Loop: Header=BB372_2076 Depth=1
	s_or_b32 exec_lo, exec_lo, s18
	s_mov_b32 s18, exec_lo
	v_cmpx_lt_u32_e32 0xffffff, v21
	s_cbranch_execz .LBB372_4022
; %bb.4015:                             ;   in Loop: Header=BB372_2076 Depth=1
	v_cmp_ne_u32_sdwa s4, v21, v103 src0_sel:BYTE_3 src1_sel:DWORD
	v_bfrev_b32_e32 v63, 1
	s_and_saveexec_b32 s19, s4
	s_cbranch_execz .LBB372_4021
; %bb.4016:                             ;   in Loop: Header=BB372_2076 Depth=1
	v_bfe_u32 v62, v21, 24, 7
	v_mov_b32_e32 v63, 0x7f800001
	s_mov_b32 s20, exec_lo
	v_cmpx_ne_u32_e32 0x7f, v62
	s_cbranch_execz .LBB372_4020
; %bb.4017:                             ;   in Loop: Header=BB372_2076 Depth=1
	v_and_b32_sdwa v12, v21, v114 dst_sel:DWORD dst_unused:UNUSED_PAD src0_sel:BYTE_3 src1_sel:DWORD
	v_mov_b32_e32 v24, v13
	v_lshrrev_b32_e32 v24, 3, v62
	s_mov_b32 s21, exec_lo
	v_mov_b32_e32 v23, v12
	v_cmpx_gt_u32_e32 8, v62
; %bb.4018:                             ;   in Loop: Header=BB372_2076 Depth=1
	v_ffbh_u32_e32 v23, v12
	v_min_u32_e32 v98, 32, v23
	v_subrev_nc_u32_e32 v23, 28, v98
	v_lshlrev_b64 v[23:24], v23, v[12:13]
	v_sub_nc_u32_e32 v24, 29, v98
	v_and_b32_e32 v23, 7, v23
; %bb.4019:                             ;   in Loop: Header=BB372_2076 Depth=1
	s_or_b32 exec_lo, exec_lo, s21
	v_lshlrev_b32_sdwa v12, v115, v21 dst_sel:DWORD dst_unused:UNUSED_PAD src0_sel:DWORD src1_sel:BYTE_3
	v_lshlrev_b32_e32 v23, 20, v23
	v_lshl_add_u32 v24, v24, 23, 0x3c000000
	v_and_b32_e32 v12, 0x80000000, v12
	v_or3_b32 v63, v23, v12, v24
.LBB372_4020:                           ;   in Loop: Header=BB372_2076 Depth=1
	s_or_b32 exec_lo, exec_lo, s20
.LBB372_4021:                           ;   in Loop: Header=BB372_2076 Depth=1
	s_or_b32 exec_lo, exec_lo, s19
.LBB372_4022:                           ;   in Loop: Header=BB372_2076 Depth=1
	s_or_b32 exec_lo, exec_lo, s18
	v_mov_b32_e32 v12, v22
	v_cmp_ne_u16_sdwa s4, v22, v13 src0_sel:BYTE_0 src1_sel:DWORD
	v_mov_b32_e32 v75, 0
	v_mov_b32_e32 v62, 0
	s_and_saveexec_b32 s18, s4
	s_cbranch_execz .LBB372_4030
; %bb.4023:                             ;   in Loop: Header=BB372_2076 Depth=1
	v_cmp_ne_u16_sdwa s4, v22, v103 src0_sel:BYTE_0 src1_sel:DWORD
	v_bfrev_b32_e32 v62, 1
	s_and_saveexec_b32 s19, s4
	s_cbranch_execz .LBB372_4029
; %bb.4024:                             ;   in Loop: Header=BB372_2076 Depth=1
	v_and_b32_e32 v76, 0x7f, v22
	v_mov_b32_e32 v62, 0x7f800001
	s_mov_b32 s20, exec_lo
	v_cmpx_ne_u32_e32 0x7f, v76
	s_cbranch_execz .LBB372_4028
; %bb.4025:                             ;   in Loop: Header=BB372_2076 Depth=1
	v_mov_b32_e32 v24, v13
	v_mov_b32_e32 v23, v12
	v_lshrrev_b32_e32 v24, 3, v76
	s_mov_b32 s21, exec_lo
	v_cmpx_gt_u32_e32 8, v76
; %bb.4026:                             ;   in Loop: Header=BB372_2076 Depth=1
	v_and_b32_e32 v23, 7, v22
	v_ffbh_u32_e32 v23, v23
	v_min_u32_e32 v98, 32, v23
	v_subrev_nc_u32_e32 v23, 28, v98
	v_lshlrev_b64 v[23:24], v23, v[12:13]
	v_sub_nc_u32_e32 v24, 29, v98
; %bb.4027:                             ;   in Loop: Header=BB372_2076 Depth=1
	s_or_b32 exec_lo, exec_lo, s21
	v_lshlrev_b32_e32 v23, 20, v23
	v_lshlrev_b32_e32 v98, 24, v12
	v_lshl_add_u32 v24, v24, 23, 0x3c000000
	v_and_b32_e32 v23, 0x700000, v23
	v_and_b32_e32 v98, 0x80000000, v98
	v_or3_b32 v62, v23, v98, v24
.LBB372_4028:                           ;   in Loop: Header=BB372_2076 Depth=1
	s_or_b32 exec_lo, exec_lo, s20
.LBB372_4029:                           ;   in Loop: Header=BB372_2076 Depth=1
	s_or_b32 exec_lo, exec_lo, s19
.LBB372_4030:                           ;   in Loop: Header=BB372_2076 Depth=1
	s_or_b32 exec_lo, exec_lo, s18
	v_cmp_ne_u16_sdwa s4, v12, v13 src0_sel:BYTE_1 src1_sel:DWORD
	s_and_saveexec_b32 s18, s4
	s_cbranch_execz .LBB372_4038
; %bb.4031:                             ;   in Loop: Header=BB372_2076 Depth=1
	v_cmp_ne_u16_sdwa s4, v12, v103 src0_sel:BYTE_1 src1_sel:DWORD
	v_bfrev_b32_e32 v75, 1
	s_and_saveexec_b32 s19, s4
	s_cbranch_execz .LBB372_4037
; %bb.4032:                             ;   in Loop: Header=BB372_2076 Depth=1
	v_mov_b32_e32 v23, 0xffff
	v_mov_b32_e32 v75, 0x7f800001
	s_mov_b32 s20, exec_lo
	v_and_b32_sdwa v23, v23, v12 dst_sel:DWORD dst_unused:UNUSED_PAD src0_sel:DWORD src1_sel:BYTE_1
	v_and_b32_e32 v76, 0x7f, v23
	v_cmpx_ne_u32_e32 0x7f, v76
	s_cbranch_execz .LBB372_4036
; %bb.4033:                             ;   in Loop: Header=BB372_2076 Depth=1
	v_and_b32_e32 v23, 7, v23
	v_mov_b32_e32 v24, v13
	v_lshrrev_b32_e32 v75, 3, v76
	s_mov_b32 s21, exec_lo
	v_cmpx_gt_u32_e32 8, v76
; %bb.4034:                             ;   in Loop: Header=BB372_2076 Depth=1
	v_ffbh_u32_e32 v98, v23
	v_min_u32_e32 v98, 32, v98
	v_subrev_nc_u32_e32 v75, 28, v98
	v_lshlrev_b64 v[23:24], v75, v[23:24]
	v_sub_nc_u32_e32 v75, 29, v98
	v_and_b32_e32 v23, 7, v23
; %bb.4035:                             ;   in Loop: Header=BB372_2076 Depth=1
	s_or_b32 exec_lo, exec_lo, s21
	v_lshlrev_b32_e32 v12, 16, v12
	v_lshlrev_b32_e32 v23, 20, v23
	v_lshl_add_u32 v24, v75, 23, 0x3c000000
	v_and_b32_e32 v12, 0x80000000, v12
	v_or3_b32 v75, v23, v12, v24
.LBB372_4036:                           ;   in Loop: Header=BB372_2076 Depth=1
	s_or_b32 exec_lo, exec_lo, s20
.LBB372_4037:                           ;   in Loop: Header=BB372_2076 Depth=1
	s_or_b32 exec_lo, exec_lo, s19
.LBB372_4038:                           ;   in Loop: Header=BB372_2076 Depth=1
	s_or_b32 exec_lo, exec_lo, s18
	v_and_b32_sdwa v12, v22, v113 dst_sel:DWORD dst_unused:UNUSED_PAD src0_sel:WORD_1 src1_sel:DWORD
	v_mov_b32_e32 v76, 0
	v_mov_b32_e32 v77, 0
	s_mov_b32 s18, exec_lo
	v_cmpx_ne_u16_e32 0, v12
	s_cbranch_execz .LBB372_4046
; %bb.4039:                             ;   in Loop: Header=BB372_2076 Depth=1
	v_bfrev_b32_e32 v77, 1
	s_mov_b32 s19, exec_lo
	v_cmpx_ne_u16_e32 0x80, v12
	s_cbranch_execz .LBB372_4045
; %bb.4040:                             ;   in Loop: Header=BB372_2076 Depth=1
	v_bfe_u32 v78, v22, 16, 7
	v_mov_b32_e32 v77, 0x7f800001
	s_mov_b32 s20, exec_lo
	v_cmpx_ne_u32_e32 0x7f, v78
	s_cbranch_execz .LBB372_4044
; %bb.4041:                             ;   in Loop: Header=BB372_2076 Depth=1
	v_and_b32_sdwa v12, v22, v114 dst_sel:DWORD dst_unused:UNUSED_PAD src0_sel:WORD_1 src1_sel:DWORD
	v_mov_b32_e32 v24, v13
	v_lshrrev_b32_e32 v24, 3, v78
	s_mov_b32 s21, exec_lo
	v_mov_b32_e32 v23, v12
	v_cmpx_gt_u32_e32 8, v78
; %bb.4042:                             ;   in Loop: Header=BB372_2076 Depth=1
	v_ffbh_u32_e32 v23, v12
	v_min_u32_e32 v98, 32, v23
	v_subrev_nc_u32_e32 v23, 28, v98
	v_lshlrev_b64 v[23:24], v23, v[12:13]
	v_sub_nc_u32_e32 v24, 29, v98
	v_and_b32_e32 v23, 7, v23
; %bb.4043:                             ;   in Loop: Header=BB372_2076 Depth=1
	s_or_b32 exec_lo, exec_lo, s21
	v_lshlrev_b32_sdwa v12, v115, v22 dst_sel:DWORD dst_unused:UNUSED_PAD src0_sel:DWORD src1_sel:WORD_1
	v_lshlrev_b32_e32 v23, 20, v23
	v_lshl_add_u32 v24, v24, 23, 0x3c000000
	v_and_b32_e32 v12, 0x80000000, v12
	v_or3_b32 v77, v23, v12, v24
.LBB372_4044:                           ;   in Loop: Header=BB372_2076 Depth=1
	s_or_b32 exec_lo, exec_lo, s20
.LBB372_4045:                           ;   in Loop: Header=BB372_2076 Depth=1
	s_or_b32 exec_lo, exec_lo, s19
.LBB372_4046:                           ;   in Loop: Header=BB372_2076 Depth=1
	s_or_b32 exec_lo, exec_lo, s18
	s_mov_b32 s18, exec_lo
	v_cmpx_lt_u64_e64 s[6:7], v[21:22]
	s_cbranch_execz .LBB372_4054
; %bb.4047:                             ;   in Loop: Header=BB372_2076 Depth=1
	v_cmp_ne_u32_sdwa s4, v22, v103 src0_sel:BYTE_3 src1_sel:DWORD
	v_bfrev_b32_e32 v76, 1
	s_and_saveexec_b32 s19, s4
	s_cbranch_execz .LBB372_4053
; %bb.4048:                             ;   in Loop: Header=BB372_2076 Depth=1
	v_bfe_u32 v78, v22, 24, 7
	v_mov_b32_e32 v76, 0x7f800001
	s_mov_b32 s20, exec_lo
	v_cmpx_ne_u32_e32 0x7f, v78
	s_cbranch_execz .LBB372_4052
; %bb.4049:                             ;   in Loop: Header=BB372_2076 Depth=1
	v_and_b32_sdwa v12, v22, v114 dst_sel:DWORD dst_unused:UNUSED_PAD src0_sel:BYTE_3 src1_sel:DWORD
	v_mov_b32_e32 v24, v13
	v_lshrrev_b32_e32 v21, 3, v78
	s_mov_b32 s21, exec_lo
	v_mov_b32_e32 v23, v12
	v_cmpx_gt_u32_e32 8, v78
; %bb.4050:                             ;   in Loop: Header=BB372_2076 Depth=1
	v_ffbh_u32_e32 v21, v12
	v_min_u32_e32 v21, 32, v21
	v_subrev_nc_u32_e32 v23, 28, v21
	v_sub_nc_u32_e32 v21, 29, v21
	v_lshlrev_b64 v[23:24], v23, v[12:13]
	v_and_b32_e32 v23, 7, v23
; %bb.4051:                             ;   in Loop: Header=BB372_2076 Depth=1
	s_or_b32 exec_lo, exec_lo, s21
	v_lshlrev_b32_sdwa v12, v115, v22 dst_sel:DWORD dst_unused:UNUSED_PAD src0_sel:DWORD src1_sel:BYTE_3
	v_lshlrev_b32_e32 v22, 20, v23
	v_lshl_add_u32 v21, v21, 23, 0x3c000000
	v_and_b32_e32 v12, 0x80000000, v12
	v_or3_b32 v76, v22, v12, v21
.LBB372_4052:                           ;   in Loop: Header=BB372_2076 Depth=1
	s_or_b32 exec_lo, exec_lo, s20
.LBB372_4053:                           ;   in Loop: Header=BB372_2076 Depth=1
	s_or_b32 exec_lo, exec_lo, s19
.LBB372_4054:                           ;   in Loop: Header=BB372_2076 Depth=1
	s_or_b32 exec_lo, exec_lo, s18
	v_mul_f32_e32 v12, v97, v75
	v_bfe_u32 v21, v12, 16, 1
	v_or_b32_e32 v22, 0x400000, v12
	v_cmp_u_f32_e64 s4, v12, v12
	v_add3_u32 v21, v21, v12, 0x7fff
	v_cndmask_b32_e64 v12, v21, v22, s4
	v_lshrrev_b32_e32 v24, 16, v12
	v_mul_f32_e32 v12, v97, v62
	v_bfe_u32 v21, v12, 16, 1
	v_or_b32_e32 v22, 0x400000, v12
	v_cmp_u_f32_e64 s4, v12, v12
	v_add3_u32 v21, v21, v12, 0x7fff
	v_cndmask_b32_e64 v12, v21, v22, s4
	v_lshrrev_b32_e32 v62, 16, v12
	;; [unrolled: 7-line block ×8, first 2 shown]
	s_and_saveexec_b32 s18, vcc_lo
	s_cbranch_execz .LBB372_4056
; %bb.4055:                             ;   in Loop: Header=BB372_2076 Depth=1
	buffer_load_dword v12, off, s[0:3], s32 offset:192 ; 4-byte Folded Reload
	s_waitcnt vmcnt(0)
	v_cmp_lt_i32_e64 s4, v124, v12
	v_cndmask_b32_e64 v75, 0, v75, s4
	v_cmp_lt_i32_e64 s4, v11, v12
	v_cndmask_b32_e64 v73, 0, v73, s4
	v_cmp_lt_i32_e64 s4, v10, v12
	v_cndmask_b32_e64 v72, 0, v72, s4
	v_cmp_lt_i32_e64 s4, v102, v12
	v_cndmask_b32_e64 v63, 0, v63, s4
	v_cmp_lt_i32_e64 s4, v101, v12
	v_cndmask_b32_e64 v62, 0, v62, s4
	v_cmp_lt_i32_e64 s4, v100, v12
	v_cndmask_b32_e64 v24, 0, v24, s4
	v_cmp_lt_i32_e64 s4, v99, v12
	v_cndmask_b32_e64 v74, 0, v74, s4
	v_cmp_lt_i32_e64 s4, v65, v12
	v_cndmask_b32_e64 v76, 0, v76, s4
.LBB372_4056:                           ;   in Loop: Header=BB372_2076 Depth=1
	s_or_b32 exec_lo, exec_lo, s18
	flat_load_dwordx2 v[19:20], v[19:20] offset:1536
	v_mov_b32_e32 v89, 0
	v_mov_b32_e32 v23, 0
	s_waitcnt vmcnt(0) lgkmcnt(0)
	v_cmp_ne_u16_sdwa s4, v19, v13 src0_sel:BYTE_0 src1_sel:DWORD
	s_and_saveexec_b32 s18, s4
	s_cbranch_execz .LBB372_4064
; %bb.4057:                             ;   in Loop: Header=BB372_2076 Depth=1
	v_cmp_ne_u16_sdwa s4, v19, v103 src0_sel:BYTE_0 src1_sel:DWORD
	v_bfrev_b32_e32 v23, 1
	s_and_saveexec_b32 s19, s4
	s_cbranch_execz .LBB372_4063
; %bb.4058:                             ;   in Loop: Header=BB372_2076 Depth=1
	v_and_b32_e32 v21, 0x7f, v19
	v_mov_b32_e32 v23, 0x7f800001
	s_mov_b32 s20, exec_lo
	v_cmpx_ne_u32_e32 0x7f, v21
	s_cbranch_execz .LBB372_4062
; %bb.4059:                             ;   in Loop: Header=BB372_2076 Depth=1
	v_lshrrev_b32_e32 v12, 3, v21
	v_cmp_gt_u32_e64 s4, 8, v21
	v_mov_b32_e32 v22, v20
	v_mov_b32_e32 v21, v19
	s_and_saveexec_b32 s21, s4
; %bb.4060:                             ;   in Loop: Header=BB372_2076 Depth=1
	v_and_b32_e32 v12, 7, v19
	v_ffbh_u32_e32 v12, v12
	v_min_u32_e32 v12, 32, v12
	v_subrev_nc_u32_e32 v21, 28, v12
	v_sub_nc_u32_e32 v12, 29, v12
	v_lshlrev_b64 v[21:22], v21, v[19:20]
; %bb.4061:                             ;   in Loop: Header=BB372_2076 Depth=1
	s_or_b32 exec_lo, exec_lo, s21
	v_lshlrev_b32_e32 v21, 20, v21
	v_lshlrev_b32_e32 v22, 24, v19
	v_lshl_add_u32 v12, v12, 23, 0x3c000000
	v_and_b32_e32 v21, 0x700000, v21
	v_and_b32_e32 v22, 0x80000000, v22
	v_or3_b32 v23, v21, v22, v12
.LBB372_4062:                           ;   in Loop: Header=BB372_2076 Depth=1
	s_or_b32 exec_lo, exec_lo, s20
.LBB372_4063:                           ;   in Loop: Header=BB372_2076 Depth=1
	s_or_b32 exec_lo, exec_lo, s19
.LBB372_4064:                           ;   in Loop: Header=BB372_2076 Depth=1
	s_or_b32 exec_lo, exec_lo, s18
	v_cmp_ne_u16_sdwa s4, v19, v13 src0_sel:BYTE_1 src1_sel:DWORD
	s_and_saveexec_b32 s18, s4
	s_cbranch_execz .LBB372_4072
; %bb.4065:                             ;   in Loop: Header=BB372_2076 Depth=1
	v_cmp_ne_u16_sdwa s4, v19, v103 src0_sel:BYTE_1 src1_sel:DWORD
	v_bfrev_b32_e32 v89, 1
	s_and_saveexec_b32 s19, s4
	s_cbranch_execz .LBB372_4071
; %bb.4066:                             ;   in Loop: Header=BB372_2076 Depth=1
	v_mov_b32_e32 v12, 0xffff
	v_mov_b32_e32 v89, 0x7f800001
	s_mov_b32 s20, exec_lo
	v_and_b32_sdwa v12, v12, v19 dst_sel:DWORD dst_unused:UNUSED_PAD src0_sel:DWORD src1_sel:BYTE_1
	v_and_b32_e32 v77, 0x7f, v12
	v_cmpx_ne_u32_e32 0x7f, v77
	s_cbranch_execz .LBB372_4070
; %bb.4067:                             ;   in Loop: Header=BB372_2076 Depth=1
	v_and_b32_e32 v12, 7, v12
	v_mov_b32_e32 v22, v13
	v_lshrrev_b32_e32 v22, 3, v77
	s_mov_b32 s21, exec_lo
	v_mov_b32_e32 v21, v12
	v_cmpx_gt_u32_e32 8, v77
; %bb.4068:                             ;   in Loop: Header=BB372_2076 Depth=1
	v_ffbh_u32_e32 v21, v12
	v_min_u32_e32 v98, 32, v21
	v_subrev_nc_u32_e32 v21, 28, v98
	v_lshlrev_b64 v[21:22], v21, v[12:13]
	v_sub_nc_u32_e32 v22, 29, v98
	v_and_b32_e32 v21, 7, v21
; %bb.4069:                             ;   in Loop: Header=BB372_2076 Depth=1
	s_or_b32 exec_lo, exec_lo, s21
	v_lshlrev_b32_e32 v12, 16, v19
	v_lshlrev_b32_e32 v21, 20, v21
	v_lshl_add_u32 v22, v22, 23, 0x3c000000
	v_and_b32_e32 v12, 0x80000000, v12
	v_or3_b32 v89, v21, v12, v22
.LBB372_4070:                           ;   in Loop: Header=BB372_2076 Depth=1
	s_or_b32 exec_lo, exec_lo, s20
.LBB372_4071:                           ;   in Loop: Header=BB372_2076 Depth=1
	s_or_b32 exec_lo, exec_lo, s19
.LBB372_4072:                           ;   in Loop: Header=BB372_2076 Depth=1
	s_or_b32 exec_lo, exec_lo, s18
	v_and_b32_sdwa v12, v19, v113 dst_sel:DWORD dst_unused:UNUSED_PAD src0_sel:WORD_1 src1_sel:DWORD
	v_mov_b32_e32 v79, 0
	v_mov_b32_e32 v88, 0
	s_mov_b32 s18, exec_lo
	v_cmpx_ne_u16_e32 0, v12
	s_cbranch_execz .LBB372_4080
; %bb.4073:                             ;   in Loop: Header=BB372_2076 Depth=1
	v_bfrev_b32_e32 v88, 1
	s_mov_b32 s19, exec_lo
	v_cmpx_ne_u16_e32 0x80, v12
	s_cbranch_execz .LBB372_4079
; %bb.4074:                             ;   in Loop: Header=BB372_2076 Depth=1
	v_bfe_u32 v77, v19, 16, 7
	v_mov_b32_e32 v88, 0x7f800001
	s_mov_b32 s20, exec_lo
	v_cmpx_ne_u32_e32 0x7f, v77
	s_cbranch_execz .LBB372_4078
; %bb.4075:                             ;   in Loop: Header=BB372_2076 Depth=1
	v_and_b32_sdwa v12, v19, v114 dst_sel:DWORD dst_unused:UNUSED_PAD src0_sel:WORD_1 src1_sel:DWORD
	v_mov_b32_e32 v22, v13
	v_lshrrev_b32_e32 v22, 3, v77
	s_mov_b32 s21, exec_lo
	v_mov_b32_e32 v21, v12
	v_cmpx_gt_u32_e32 8, v77
; %bb.4076:                             ;   in Loop: Header=BB372_2076 Depth=1
	v_ffbh_u32_e32 v21, v12
	v_min_u32_e32 v98, 32, v21
	v_subrev_nc_u32_e32 v21, 28, v98
	v_lshlrev_b64 v[21:22], v21, v[12:13]
	v_sub_nc_u32_e32 v22, 29, v98
	v_and_b32_e32 v21, 7, v21
; %bb.4077:                             ;   in Loop: Header=BB372_2076 Depth=1
	s_or_b32 exec_lo, exec_lo, s21
	v_lshlrev_b32_sdwa v12, v115, v19 dst_sel:DWORD dst_unused:UNUSED_PAD src0_sel:DWORD src1_sel:WORD_1
	v_lshlrev_b32_e32 v21, 20, v21
	v_lshl_add_u32 v22, v22, 23, 0x3c000000
	v_and_b32_e32 v12, 0x80000000, v12
	v_or3_b32 v88, v21, v12, v22
.LBB372_4078:                           ;   in Loop: Header=BB372_2076 Depth=1
	s_or_b32 exec_lo, exec_lo, s20
.LBB372_4079:                           ;   in Loop: Header=BB372_2076 Depth=1
	s_or_b32 exec_lo, exec_lo, s19
.LBB372_4080:                           ;   in Loop: Header=BB372_2076 Depth=1
	s_or_b32 exec_lo, exec_lo, s18
	s_mov_b32 s18, exec_lo
	v_cmpx_lt_u32_e32 0xffffff, v19
	s_cbranch_execz .LBB372_4088
; %bb.4081:                             ;   in Loop: Header=BB372_2076 Depth=1
	v_cmp_ne_u32_sdwa s4, v19, v103 src0_sel:BYTE_3 src1_sel:DWORD
	v_bfrev_b32_e32 v79, 1
	s_and_saveexec_b32 s19, s4
	s_cbranch_execz .LBB372_4087
; %bb.4082:                             ;   in Loop: Header=BB372_2076 Depth=1
	v_bfe_u32 v77, v19, 24, 7
	v_mov_b32_e32 v79, 0x7f800001
	s_mov_b32 s20, exec_lo
	v_cmpx_ne_u32_e32 0x7f, v77
	s_cbranch_execz .LBB372_4086
; %bb.4083:                             ;   in Loop: Header=BB372_2076 Depth=1
	v_and_b32_sdwa v12, v19, v114 dst_sel:DWORD dst_unused:UNUSED_PAD src0_sel:BYTE_3 src1_sel:DWORD
	v_mov_b32_e32 v22, v13
	v_lshrrev_b32_e32 v22, 3, v77
	s_mov_b32 s21, exec_lo
	v_mov_b32_e32 v21, v12
	v_cmpx_gt_u32_e32 8, v77
; %bb.4084:                             ;   in Loop: Header=BB372_2076 Depth=1
	v_ffbh_u32_e32 v21, v12
	v_min_u32_e32 v98, 32, v21
	v_subrev_nc_u32_e32 v21, 28, v98
	v_lshlrev_b64 v[21:22], v21, v[12:13]
	v_sub_nc_u32_e32 v22, 29, v98
	v_and_b32_e32 v21, 7, v21
; %bb.4085:                             ;   in Loop: Header=BB372_2076 Depth=1
	s_or_b32 exec_lo, exec_lo, s21
	v_lshlrev_b32_sdwa v12, v115, v19 dst_sel:DWORD dst_unused:UNUSED_PAD src0_sel:DWORD src1_sel:BYTE_3
	v_lshlrev_b32_e32 v21, 20, v21
	v_lshl_add_u32 v22, v22, 23, 0x3c000000
	v_and_b32_e32 v12, 0x80000000, v12
	v_or3_b32 v79, v21, v12, v22
.LBB372_4086:                           ;   in Loop: Header=BB372_2076 Depth=1
	s_or_b32 exec_lo, exec_lo, s20
.LBB372_4087:                           ;   in Loop: Header=BB372_2076 Depth=1
	s_or_b32 exec_lo, exec_lo, s19
.LBB372_4088:                           ;   in Loop: Header=BB372_2076 Depth=1
	s_or_b32 exec_lo, exec_lo, s18
	v_mov_b32_e32 v12, v20
	v_cmp_ne_u16_sdwa s4, v20, v13 src0_sel:BYTE_0 src1_sel:DWORD
	v_mov_b32_e32 v77, 0
	v_mov_b32_e32 v78, 0
	s_and_saveexec_b32 s18, s4
	s_cbranch_execz .LBB372_4096
; %bb.4089:                             ;   in Loop: Header=BB372_2076 Depth=1
	v_cmp_ne_u16_sdwa s4, v20, v103 src0_sel:BYTE_0 src1_sel:DWORD
	v_bfrev_b32_e32 v78, 1
	s_and_saveexec_b32 s19, s4
	s_cbranch_execz .LBB372_4095
; %bb.4090:                             ;   in Loop: Header=BB372_2076 Depth=1
	v_and_b32_e32 v90, 0x7f, v20
	v_mov_b32_e32 v78, 0x7f800001
	s_mov_b32 s20, exec_lo
	v_cmpx_ne_u32_e32 0x7f, v90
	s_cbranch_execz .LBB372_4094
; %bb.4091:                             ;   in Loop: Header=BB372_2076 Depth=1
	v_mov_b32_e32 v22, v13
	v_mov_b32_e32 v21, v12
	v_lshrrev_b32_e32 v22, 3, v90
	s_mov_b32 s21, exec_lo
	v_cmpx_gt_u32_e32 8, v90
; %bb.4092:                             ;   in Loop: Header=BB372_2076 Depth=1
	v_and_b32_e32 v21, 7, v20
	v_ffbh_u32_e32 v21, v21
	v_min_u32_e32 v98, 32, v21
	v_subrev_nc_u32_e32 v21, 28, v98
	v_lshlrev_b64 v[21:22], v21, v[12:13]
	v_sub_nc_u32_e32 v22, 29, v98
; %bb.4093:                             ;   in Loop: Header=BB372_2076 Depth=1
	s_or_b32 exec_lo, exec_lo, s21
	v_lshlrev_b32_e32 v21, 20, v21
	v_lshlrev_b32_e32 v98, 24, v12
	v_lshl_add_u32 v22, v22, 23, 0x3c000000
	v_and_b32_e32 v21, 0x700000, v21
	v_and_b32_e32 v98, 0x80000000, v98
	v_or3_b32 v78, v21, v98, v22
.LBB372_4094:                           ;   in Loop: Header=BB372_2076 Depth=1
	s_or_b32 exec_lo, exec_lo, s20
.LBB372_4095:                           ;   in Loop: Header=BB372_2076 Depth=1
	s_or_b32 exec_lo, exec_lo, s19
.LBB372_4096:                           ;   in Loop: Header=BB372_2076 Depth=1
	s_or_b32 exec_lo, exec_lo, s18
	v_cmp_ne_u16_sdwa s4, v12, v13 src0_sel:BYTE_1 src1_sel:DWORD
	s_and_saveexec_b32 s18, s4
	s_cbranch_execz .LBB372_4104
; %bb.4097:                             ;   in Loop: Header=BB372_2076 Depth=1
	v_cmp_ne_u16_sdwa s4, v12, v103 src0_sel:BYTE_1 src1_sel:DWORD
	v_bfrev_b32_e32 v77, 1
	s_and_saveexec_b32 s19, s4
	s_cbranch_execz .LBB372_4103
; %bb.4098:                             ;   in Loop: Header=BB372_2076 Depth=1
	v_mov_b32_e32 v21, 0xffff
	v_mov_b32_e32 v77, 0x7f800001
	s_mov_b32 s20, exec_lo
	v_and_b32_sdwa v21, v21, v12 dst_sel:DWORD dst_unused:UNUSED_PAD src0_sel:DWORD src1_sel:BYTE_1
	v_and_b32_e32 v90, 0x7f, v21
	v_cmpx_ne_u32_e32 0x7f, v90
	s_cbranch_execz .LBB372_4102
; %bb.4099:                             ;   in Loop: Header=BB372_2076 Depth=1
	v_and_b32_e32 v21, 7, v21
	v_mov_b32_e32 v22, v13
	v_lshrrev_b32_e32 v77, 3, v90
	s_mov_b32 s21, exec_lo
	v_cmpx_gt_u32_e32 8, v90
; %bb.4100:                             ;   in Loop: Header=BB372_2076 Depth=1
	v_ffbh_u32_e32 v98, v21
	v_min_u32_e32 v98, 32, v98
	v_subrev_nc_u32_e32 v77, 28, v98
	v_lshlrev_b64 v[21:22], v77, v[21:22]
	v_sub_nc_u32_e32 v77, 29, v98
	v_and_b32_e32 v21, 7, v21
; %bb.4101:                             ;   in Loop: Header=BB372_2076 Depth=1
	s_or_b32 exec_lo, exec_lo, s21
	v_lshlrev_b32_e32 v12, 16, v12
	v_lshlrev_b32_e32 v21, 20, v21
	v_lshl_add_u32 v22, v77, 23, 0x3c000000
	v_and_b32_e32 v12, 0x80000000, v12
	v_or3_b32 v77, v21, v12, v22
.LBB372_4102:                           ;   in Loop: Header=BB372_2076 Depth=1
	s_or_b32 exec_lo, exec_lo, s20
.LBB372_4103:                           ;   in Loop: Header=BB372_2076 Depth=1
	s_or_b32 exec_lo, exec_lo, s19
.LBB372_4104:                           ;   in Loop: Header=BB372_2076 Depth=1
	s_or_b32 exec_lo, exec_lo, s18
	v_and_b32_sdwa v12, v20, v113 dst_sel:DWORD dst_unused:UNUSED_PAD src0_sel:WORD_1 src1_sel:DWORD
	v_mov_b32_e32 v92, 0
	v_mov_b32_e32 v90, 0
	s_mov_b32 s18, exec_lo
	v_cmpx_ne_u16_e32 0, v12
	s_cbranch_execz .LBB372_4112
; %bb.4105:                             ;   in Loop: Header=BB372_2076 Depth=1
	v_bfrev_b32_e32 v90, 1
	s_mov_b32 s19, exec_lo
	v_cmpx_ne_u16_e32 0x80, v12
	s_cbranch_execz .LBB372_4111
; %bb.4106:                             ;   in Loop: Header=BB372_2076 Depth=1
	v_bfe_u32 v91, v20, 16, 7
	v_mov_b32_e32 v90, 0x7f800001
	s_mov_b32 s20, exec_lo
	v_cmpx_ne_u32_e32 0x7f, v91
	s_cbranch_execz .LBB372_4110
; %bb.4107:                             ;   in Loop: Header=BB372_2076 Depth=1
	v_and_b32_sdwa v12, v20, v114 dst_sel:DWORD dst_unused:UNUSED_PAD src0_sel:WORD_1 src1_sel:DWORD
	v_mov_b32_e32 v22, v13
	v_lshrrev_b32_e32 v22, 3, v91
	s_mov_b32 s21, exec_lo
	v_mov_b32_e32 v21, v12
	v_cmpx_gt_u32_e32 8, v91
; %bb.4108:                             ;   in Loop: Header=BB372_2076 Depth=1
	v_ffbh_u32_e32 v21, v12
	v_min_u32_e32 v98, 32, v21
	v_subrev_nc_u32_e32 v21, 28, v98
	v_lshlrev_b64 v[21:22], v21, v[12:13]
	v_sub_nc_u32_e32 v22, 29, v98
	v_and_b32_e32 v21, 7, v21
; %bb.4109:                             ;   in Loop: Header=BB372_2076 Depth=1
	s_or_b32 exec_lo, exec_lo, s21
	v_lshlrev_b32_sdwa v12, v115, v20 dst_sel:DWORD dst_unused:UNUSED_PAD src0_sel:DWORD src1_sel:WORD_1
	v_lshlrev_b32_e32 v21, 20, v21
	v_lshl_add_u32 v22, v22, 23, 0x3c000000
	v_and_b32_e32 v12, 0x80000000, v12
	v_or3_b32 v90, v21, v12, v22
.LBB372_4110:                           ;   in Loop: Header=BB372_2076 Depth=1
	s_or_b32 exec_lo, exec_lo, s20
.LBB372_4111:                           ;   in Loop: Header=BB372_2076 Depth=1
	s_or_b32 exec_lo, exec_lo, s19
.LBB372_4112:                           ;   in Loop: Header=BB372_2076 Depth=1
	s_or_b32 exec_lo, exec_lo, s18
	s_mov_b32 s18, exec_lo
	v_cmpx_lt_u64_e64 s[6:7], v[19:20]
	s_cbranch_execz .LBB372_4120
; %bb.4113:                             ;   in Loop: Header=BB372_2076 Depth=1
	v_cmp_ne_u32_sdwa s4, v20, v103 src0_sel:BYTE_3 src1_sel:DWORD
	v_bfrev_b32_e32 v92, 1
	s_and_saveexec_b32 s19, s4
	s_cbranch_execz .LBB372_4119
; %bb.4114:                             ;   in Loop: Header=BB372_2076 Depth=1
	v_bfe_u32 v91, v20, 24, 7
	v_mov_b32_e32 v92, 0x7f800001
	s_mov_b32 s20, exec_lo
	v_cmpx_ne_u32_e32 0x7f, v91
	s_cbranch_execz .LBB372_4118
; %bb.4115:                             ;   in Loop: Header=BB372_2076 Depth=1
	v_and_b32_sdwa v12, v20, v114 dst_sel:DWORD dst_unused:UNUSED_PAD src0_sel:BYTE_3 src1_sel:DWORD
	v_mov_b32_e32 v22, v13
	v_lshrrev_b32_e32 v19, 3, v91
	s_mov_b32 s21, exec_lo
	v_mov_b32_e32 v21, v12
	v_cmpx_gt_u32_e32 8, v91
; %bb.4116:                             ;   in Loop: Header=BB372_2076 Depth=1
	v_ffbh_u32_e32 v19, v12
	v_min_u32_e32 v19, 32, v19
	v_subrev_nc_u32_e32 v21, 28, v19
	v_sub_nc_u32_e32 v19, 29, v19
	v_lshlrev_b64 v[21:22], v21, v[12:13]
	v_and_b32_e32 v21, 7, v21
; %bb.4117:                             ;   in Loop: Header=BB372_2076 Depth=1
	s_or_b32 exec_lo, exec_lo, s21
	v_lshlrev_b32_sdwa v12, v115, v20 dst_sel:DWORD dst_unused:UNUSED_PAD src0_sel:DWORD src1_sel:BYTE_3
	v_lshlrev_b32_e32 v20, 20, v21
	v_lshl_add_u32 v19, v19, 23, 0x3c000000
	v_and_b32_e32 v12, 0x80000000, v12
	v_or3_b32 v92, v20, v12, v19
.LBB372_4118:                           ;   in Loop: Header=BB372_2076 Depth=1
	s_or_b32 exec_lo, exec_lo, s20
.LBB372_4119:                           ;   in Loop: Header=BB372_2076 Depth=1
	s_or_b32 exec_lo, exec_lo, s19
.LBB372_4120:                           ;   in Loop: Header=BB372_2076 Depth=1
	s_or_b32 exec_lo, exec_lo, s18
	v_mul_f32_e32 v12, v97, v77
	v_bfe_u32 v19, v12, 16, 1
	v_or_b32_e32 v20, 0x400000, v12
	v_cmp_u_f32_e64 s4, v12, v12
	v_add3_u32 v19, v19, v12, 0x7fff
	v_cndmask_b32_e64 v12, v19, v20, s4
	v_lshrrev_b32_e32 v77, 16, v12
	v_mul_f32_e32 v12, v97, v78
	v_bfe_u32 v19, v12, 16, 1
	v_or_b32_e32 v20, 0x400000, v12
	v_cmp_u_f32_e64 s4, v12, v12
	v_add3_u32 v19, v19, v12, 0x7fff
	v_cndmask_b32_e64 v12, v19, v20, s4
	v_lshrrev_b32_e32 v78, 16, v12
	;; [unrolled: 7-line block ×8, first 2 shown]
	s_and_saveexec_b32 s18, vcc_lo
	s_cbranch_execz .LBB372_4122
; %bb.4121:                             ;   in Loop: Header=BB372_2076 Depth=1
	buffer_load_dword v12, off, s[0:3], s32 offset:192 ; 4-byte Folded Reload
	s_waitcnt vmcnt(0)
	v_cmp_lt_i32_e64 s4, v124, v12
	v_cndmask_b32_e64 v91, 0, v91, s4
	v_cmp_lt_i32_e64 s4, v11, v12
	v_cndmask_b32_e64 v89, 0, v89, s4
	v_cmp_lt_i32_e64 s4, v10, v12
	v_cndmask_b32_e64 v88, 0, v88, s4
	v_cmp_lt_i32_e64 s4, v102, v12
	v_cndmask_b32_e64 v79, 0, v79, s4
	v_cmp_lt_i32_e64 s4, v101, v12
	v_cndmask_b32_e64 v78, 0, v78, s4
	v_cmp_lt_i32_e64 s4, v100, v12
	v_cndmask_b32_e64 v77, 0, v77, s4
	v_cmp_lt_i32_e64 s4, v99, v12
	v_cndmask_b32_e64 v90, 0, v90, s4
	v_cmp_lt_i32_e64 s4, v65, v12
	v_cndmask_b32_e64 v92, 0, v92, s4
.LBB372_4122:                           ;   in Loop: Header=BB372_2076 Depth=1
	s_or_b32 exec_lo, exec_lo, s18
	buffer_load_dword v12, off, s[0:3], s32 offset:992 ; 4-byte Folded Reload
	v_mov_b32_e32 v22, 0
	v_mov_b32_e32 v21, 0
	s_waitcnt vmcnt(0)
	v_add_co_u32 v15, s4, v15, v12
	v_add_co_ci_u32_e64 v16, null, 0, v16, s4
	flat_load_dwordx2 v[15:16], v[15:16]
	s_waitcnt vmcnt(0) lgkmcnt(0)
	v_cmp_ne_u16_sdwa s4, v15, v13 src0_sel:BYTE_0 src1_sel:DWORD
	s_and_saveexec_b32 s18, s4
	s_cbranch_execz .LBB372_4130
; %bb.4123:                             ;   in Loop: Header=BB372_2076 Depth=1
	v_cmp_ne_u16_sdwa s4, v15, v103 src0_sel:BYTE_0 src1_sel:DWORD
	v_bfrev_b32_e32 v21, 1
	s_and_saveexec_b32 s19, s4
	s_cbranch_execz .LBB372_4129
; %bb.4124:                             ;   in Loop: Header=BB372_2076 Depth=1
	v_and_b32_e32 v19, 0x7f, v15
	v_mov_b32_e32 v21, 0x7f800001
	s_mov_b32 s20, exec_lo
	v_cmpx_ne_u32_e32 0x7f, v19
	s_cbranch_execz .LBB372_4128
; %bb.4125:                             ;   in Loop: Header=BB372_2076 Depth=1
	v_lshrrev_b32_e32 v12, 3, v19
	v_cmp_gt_u32_e64 s4, 8, v19
	v_mov_b32_e32 v20, v16
	v_mov_b32_e32 v19, v15
	s_and_saveexec_b32 s21, s4
; %bb.4126:                             ;   in Loop: Header=BB372_2076 Depth=1
	v_and_b32_e32 v12, 7, v15
	v_ffbh_u32_e32 v12, v12
	v_min_u32_e32 v12, 32, v12
	v_subrev_nc_u32_e32 v19, 28, v12
	v_sub_nc_u32_e32 v12, 29, v12
	v_lshlrev_b64 v[19:20], v19, v[15:16]
; %bb.4127:                             ;   in Loop: Header=BB372_2076 Depth=1
	s_or_b32 exec_lo, exec_lo, s21
	v_lshlrev_b32_e32 v19, 20, v19
	v_lshlrev_b32_e32 v20, 24, v15
	v_lshl_add_u32 v12, v12, 23, 0x3c000000
	v_and_b32_e32 v19, 0x700000, v19
	v_and_b32_e32 v20, 0x80000000, v20
	v_or3_b32 v21, v19, v20, v12
.LBB372_4128:                           ;   in Loop: Header=BB372_2076 Depth=1
	s_or_b32 exec_lo, exec_lo, s20
.LBB372_4129:                           ;   in Loop: Header=BB372_2076 Depth=1
	s_or_b32 exec_lo, exec_lo, s19
.LBB372_4130:                           ;   in Loop: Header=BB372_2076 Depth=1
	s_or_b32 exec_lo, exec_lo, s18
	v_cmp_ne_u16_sdwa s4, v15, v13 src0_sel:BYTE_1 src1_sel:DWORD
	s_and_saveexec_b32 s18, s4
	s_cbranch_execz .LBB372_4138
; %bb.4131:                             ;   in Loop: Header=BB372_2076 Depth=1
	v_cmp_ne_u16_sdwa s4, v15, v103 src0_sel:BYTE_1 src1_sel:DWORD
	v_bfrev_b32_e32 v22, 1
	s_and_saveexec_b32 s19, s4
	s_cbranch_execz .LBB372_4137
; %bb.4132:                             ;   in Loop: Header=BB372_2076 Depth=1
	v_mov_b32_e32 v12, 0xffff
	v_mov_b32_e32 v22, 0x7f800001
	s_mov_b32 s20, exec_lo
	v_and_b32_sdwa v12, v12, v15 dst_sel:DWORD dst_unused:UNUSED_PAD src0_sel:DWORD src1_sel:BYTE_1
	v_and_b32_e32 v23, 0x7f, v12
	v_cmpx_ne_u32_e32 0x7f, v23
	s_cbranch_execz .LBB372_4136
; %bb.4133:                             ;   in Loop: Header=BB372_2076 Depth=1
	v_and_b32_e32 v12, 7, v12
	v_mov_b32_e32 v20, v13
	v_lshrrev_b32_e32 v20, 3, v23
	s_mov_b32 s21, exec_lo
	v_mov_b32_e32 v19, v12
	v_cmpx_gt_u32_e32 8, v23
; %bb.4134:                             ;   in Loop: Header=BB372_2076 Depth=1
	v_ffbh_u32_e32 v19, v12
	v_min_u32_e32 v22, 32, v19
	v_subrev_nc_u32_e32 v19, 28, v22
	v_lshlrev_b64 v[19:20], v19, v[12:13]
	v_sub_nc_u32_e32 v20, 29, v22
	v_and_b32_e32 v19, 7, v19
; %bb.4135:                             ;   in Loop: Header=BB372_2076 Depth=1
	s_or_b32 exec_lo, exec_lo, s21
	v_lshlrev_b32_e32 v12, 16, v15
	v_lshlrev_b32_e32 v19, 20, v19
	v_lshl_add_u32 v20, v20, 23, 0x3c000000
	v_and_b32_e32 v12, 0x80000000, v12
	v_or3_b32 v22, v19, v12, v20
.LBB372_4136:                           ;   in Loop: Header=BB372_2076 Depth=1
	s_or_b32 exec_lo, exec_lo, s20
.LBB372_4137:                           ;   in Loop: Header=BB372_2076 Depth=1
	s_or_b32 exec_lo, exec_lo, s19
.LBB372_4138:                           ;   in Loop: Header=BB372_2076 Depth=1
	s_or_b32 exec_lo, exec_lo, s18
	v_and_b32_sdwa v12, v15, v113 dst_sel:DWORD dst_unused:UNUSED_PAD src0_sel:WORD_1 src1_sel:DWORD
	v_mov_b32_e32 v93, 0
	v_mov_b32_e32 v23, 0
	s_mov_b32 s18, exec_lo
	v_cmpx_ne_u16_e32 0, v12
	s_cbranch_execz .LBB372_4146
; %bb.4139:                             ;   in Loop: Header=BB372_2076 Depth=1
	v_bfrev_b32_e32 v23, 1
	s_mov_b32 s19, exec_lo
	v_cmpx_ne_u16_e32 0x80, v12
	s_cbranch_execz .LBB372_4145
; %bb.4140:                             ;   in Loop: Header=BB372_2076 Depth=1
	v_bfe_u32 v94, v15, 16, 7
	v_mov_b32_e32 v23, 0x7f800001
	s_mov_b32 s20, exec_lo
	v_cmpx_ne_u32_e32 0x7f, v94
	s_cbranch_execz .LBB372_4144
; %bb.4141:                             ;   in Loop: Header=BB372_2076 Depth=1
	v_and_b32_sdwa v12, v15, v114 dst_sel:DWORD dst_unused:UNUSED_PAD src0_sel:WORD_1 src1_sel:DWORD
	v_mov_b32_e32 v20, v13
	v_lshrrev_b32_e32 v20, 3, v94
	s_mov_b32 s21, exec_lo
	v_mov_b32_e32 v19, v12
	v_cmpx_gt_u32_e32 8, v94
; %bb.4142:                             ;   in Loop: Header=BB372_2076 Depth=1
	v_ffbh_u32_e32 v19, v12
	v_min_u32_e32 v23, 32, v19
	v_subrev_nc_u32_e32 v19, 28, v23
	v_lshlrev_b64 v[19:20], v19, v[12:13]
	v_sub_nc_u32_e32 v20, 29, v23
	v_and_b32_e32 v19, 7, v19
; %bb.4143:                             ;   in Loop: Header=BB372_2076 Depth=1
	s_or_b32 exec_lo, exec_lo, s21
	v_lshlrev_b32_sdwa v12, v115, v15 dst_sel:DWORD dst_unused:UNUSED_PAD src0_sel:DWORD src1_sel:WORD_1
	v_lshlrev_b32_e32 v19, 20, v19
	v_lshl_add_u32 v20, v20, 23, 0x3c000000
	v_and_b32_e32 v12, 0x80000000, v12
	v_or3_b32 v23, v19, v12, v20
.LBB372_4144:                           ;   in Loop: Header=BB372_2076 Depth=1
	s_or_b32 exec_lo, exec_lo, s20
.LBB372_4145:                           ;   in Loop: Header=BB372_2076 Depth=1
	s_or_b32 exec_lo, exec_lo, s19
.LBB372_4146:                           ;   in Loop: Header=BB372_2076 Depth=1
	s_or_b32 exec_lo, exec_lo, s18
	s_mov_b32 s18, exec_lo
	v_cmpx_lt_u32_e32 0xffffff, v15
	s_cbranch_execz .LBB372_4154
; %bb.4147:                             ;   in Loop: Header=BB372_2076 Depth=1
	v_cmp_ne_u32_sdwa s4, v15, v103 src0_sel:BYTE_3 src1_sel:DWORD
	v_bfrev_b32_e32 v93, 1
	s_and_saveexec_b32 s19, s4
	s_cbranch_execz .LBB372_4153
; %bb.4148:                             ;   in Loop: Header=BB372_2076 Depth=1
	v_bfe_u32 v94, v15, 24, 7
	v_mov_b32_e32 v93, 0x7f800001
	s_mov_b32 s20, exec_lo
	v_cmpx_ne_u32_e32 0x7f, v94
	s_cbranch_execz .LBB372_4152
; %bb.4149:                             ;   in Loop: Header=BB372_2076 Depth=1
	v_and_b32_sdwa v12, v15, v114 dst_sel:DWORD dst_unused:UNUSED_PAD src0_sel:BYTE_3 src1_sel:DWORD
	v_mov_b32_e32 v20, v13
	v_lshrrev_b32_e32 v20, 3, v94
	s_mov_b32 s21, exec_lo
	v_mov_b32_e32 v19, v12
	v_cmpx_gt_u32_e32 8, v94
; %bb.4150:                             ;   in Loop: Header=BB372_2076 Depth=1
	v_ffbh_u32_e32 v19, v12
	v_min_u32_e32 v98, 32, v19
	v_subrev_nc_u32_e32 v19, 28, v98
	v_lshlrev_b64 v[19:20], v19, v[12:13]
	v_sub_nc_u32_e32 v20, 29, v98
	v_and_b32_e32 v19, 7, v19
; %bb.4151:                             ;   in Loop: Header=BB372_2076 Depth=1
	s_or_b32 exec_lo, exec_lo, s21
	v_lshlrev_b32_sdwa v12, v115, v15 dst_sel:DWORD dst_unused:UNUSED_PAD src0_sel:DWORD src1_sel:BYTE_3
	v_lshlrev_b32_e32 v19, 20, v19
	v_lshl_add_u32 v20, v20, 23, 0x3c000000
	v_and_b32_e32 v12, 0x80000000, v12
	v_or3_b32 v93, v19, v12, v20
.LBB372_4152:                           ;   in Loop: Header=BB372_2076 Depth=1
	s_or_b32 exec_lo, exec_lo, s20
.LBB372_4153:                           ;   in Loop: Header=BB372_2076 Depth=1
	s_or_b32 exec_lo, exec_lo, s19
.LBB372_4154:                           ;   in Loop: Header=BB372_2076 Depth=1
	s_or_b32 exec_lo, exec_lo, s18
	v_mov_b32_e32 v12, v16
	v_cmp_ne_u16_sdwa s4, v16, v13 src0_sel:BYTE_0 src1_sel:DWORD
	v_mov_b32_e32 v105, 0
	v_mov_b32_e32 v104, 0
	s_and_saveexec_b32 s18, s4
	s_cbranch_execz .LBB372_4162
; %bb.4155:                             ;   in Loop: Header=BB372_2076 Depth=1
	v_cmp_ne_u16_sdwa s4, v16, v103 src0_sel:BYTE_0 src1_sel:DWORD
	v_bfrev_b32_e32 v104, 1
	s_and_saveexec_b32 s19, s4
	s_cbranch_execz .LBB372_4161
; %bb.4156:                             ;   in Loop: Header=BB372_2076 Depth=1
	v_and_b32_e32 v94, 0x7f, v16
	v_mov_b32_e32 v104, 0x7f800001
	s_mov_b32 s20, exec_lo
	v_cmpx_ne_u32_e32 0x7f, v94
	s_cbranch_execz .LBB372_4160
; %bb.4157:                             ;   in Loop: Header=BB372_2076 Depth=1
	v_mov_b32_e32 v20, v13
	v_mov_b32_e32 v19, v12
	v_lshrrev_b32_e32 v20, 3, v94
	s_mov_b32 s21, exec_lo
	v_cmpx_gt_u32_e32 8, v94
; %bb.4158:                             ;   in Loop: Header=BB372_2076 Depth=1
	v_and_b32_e32 v19, 7, v16
	v_ffbh_u32_e32 v19, v19
	v_min_u32_e32 v98, 32, v19
	v_subrev_nc_u32_e32 v19, 28, v98
	v_lshlrev_b64 v[19:20], v19, v[12:13]
	v_sub_nc_u32_e32 v20, 29, v98
; %bb.4159:                             ;   in Loop: Header=BB372_2076 Depth=1
	s_or_b32 exec_lo, exec_lo, s21
	v_lshlrev_b32_e32 v19, 20, v19
	v_lshlrev_b32_e32 v98, 24, v12
	v_lshl_add_u32 v20, v20, 23, 0x3c000000
	v_and_b32_e32 v19, 0x700000, v19
	v_and_b32_e32 v98, 0x80000000, v98
	v_or3_b32 v104, v19, v98, v20
.LBB372_4160:                           ;   in Loop: Header=BB372_2076 Depth=1
	s_or_b32 exec_lo, exec_lo, s20
.LBB372_4161:                           ;   in Loop: Header=BB372_2076 Depth=1
	s_or_b32 exec_lo, exec_lo, s19
.LBB372_4162:                           ;   in Loop: Header=BB372_2076 Depth=1
	s_or_b32 exec_lo, exec_lo, s18
	v_cmp_ne_u16_sdwa s4, v12, v13 src0_sel:BYTE_1 src1_sel:DWORD
	s_and_saveexec_b32 s18, s4
	s_cbranch_execz .LBB372_4170
; %bb.4163:                             ;   in Loop: Header=BB372_2076 Depth=1
	v_cmp_ne_u16_sdwa s4, v12, v103 src0_sel:BYTE_1 src1_sel:DWORD
	v_bfrev_b32_e32 v105, 1
	s_and_saveexec_b32 s19, s4
	s_cbranch_execz .LBB372_4169
; %bb.4164:                             ;   in Loop: Header=BB372_2076 Depth=1
	v_mov_b32_e32 v19, 0xffff
	v_mov_b32_e32 v105, 0x7f800001
	s_mov_b32 s20, exec_lo
	v_and_b32_sdwa v19, v19, v12 dst_sel:DWORD dst_unused:UNUSED_PAD src0_sel:DWORD src1_sel:BYTE_1
	v_and_b32_e32 v95, 0x7f, v19
	v_cmpx_ne_u32_e32 0x7f, v95
	s_cbranch_execz .LBB372_4168
; %bb.4165:                             ;   in Loop: Header=BB372_2076 Depth=1
	v_and_b32_e32 v19, 7, v19
	v_mov_b32_e32 v20, v13
	v_lshrrev_b32_e32 v94, 3, v95
	s_mov_b32 s21, exec_lo
	v_cmpx_gt_u32_e32 8, v95
; %bb.4166:                             ;   in Loop: Header=BB372_2076 Depth=1
	v_ffbh_u32_e32 v98, v19
	v_min_u32_e32 v98, 32, v98
	v_subrev_nc_u32_e32 v94, 28, v98
	v_lshlrev_b64 v[19:20], v94, v[19:20]
	v_sub_nc_u32_e32 v94, 29, v98
	v_and_b32_e32 v19, 7, v19
; %bb.4167:                             ;   in Loop: Header=BB372_2076 Depth=1
	s_or_b32 exec_lo, exec_lo, s21
	v_lshlrev_b32_e32 v12, 16, v12
	v_lshlrev_b32_e32 v19, 20, v19
	v_lshl_add_u32 v20, v94, 23, 0x3c000000
	v_and_b32_e32 v12, 0x80000000, v12
	v_or3_b32 v105, v19, v12, v20
.LBB372_4168:                           ;   in Loop: Header=BB372_2076 Depth=1
	s_or_b32 exec_lo, exec_lo, s20
.LBB372_4169:                           ;   in Loop: Header=BB372_2076 Depth=1
	s_or_b32 exec_lo, exec_lo, s19
.LBB372_4170:                           ;   in Loop: Header=BB372_2076 Depth=1
	s_or_b32 exec_lo, exec_lo, s18
	v_and_b32_sdwa v12, v16, v113 dst_sel:DWORD dst_unused:UNUSED_PAD src0_sel:WORD_1 src1_sel:DWORD
	v_mov_b32_e32 v94, 0
	v_mov_b32_e32 v95, 0
	s_mov_b32 s18, exec_lo
	v_cmpx_ne_u16_e32 0, v12
	s_cbranch_execz .LBB372_4178
; %bb.4171:                             ;   in Loop: Header=BB372_2076 Depth=1
	v_bfrev_b32_e32 v95, 1
	s_mov_b32 s19, exec_lo
	v_cmpx_ne_u16_e32 0x80, v12
	s_cbranch_execz .LBB372_4177
; %bb.4172:                             ;   in Loop: Header=BB372_2076 Depth=1
	v_bfe_u32 v106, v16, 16, 7
	v_mov_b32_e32 v95, 0x7f800001
	s_mov_b32 s20, exec_lo
	v_cmpx_ne_u32_e32 0x7f, v106
	s_cbranch_execz .LBB372_4176
; %bb.4173:                             ;   in Loop: Header=BB372_2076 Depth=1
	v_and_b32_sdwa v12, v16, v114 dst_sel:DWORD dst_unused:UNUSED_PAD src0_sel:WORD_1 src1_sel:DWORD
	v_mov_b32_e32 v20, v13
	v_lshrrev_b32_e32 v20, 3, v106
	s_mov_b32 s21, exec_lo
	v_mov_b32_e32 v19, v12
	v_cmpx_gt_u32_e32 8, v106
; %bb.4174:                             ;   in Loop: Header=BB372_2076 Depth=1
	v_ffbh_u32_e32 v19, v12
	v_min_u32_e32 v98, 32, v19
	v_subrev_nc_u32_e32 v19, 28, v98
	v_lshlrev_b64 v[19:20], v19, v[12:13]
	v_sub_nc_u32_e32 v20, 29, v98
	v_and_b32_e32 v19, 7, v19
; %bb.4175:                             ;   in Loop: Header=BB372_2076 Depth=1
	s_or_b32 exec_lo, exec_lo, s21
	v_lshlrev_b32_sdwa v12, v115, v16 dst_sel:DWORD dst_unused:UNUSED_PAD src0_sel:DWORD src1_sel:WORD_1
	v_lshlrev_b32_e32 v19, 20, v19
	v_lshl_add_u32 v20, v20, 23, 0x3c000000
	v_and_b32_e32 v12, 0x80000000, v12
	v_or3_b32 v95, v19, v12, v20
.LBB372_4176:                           ;   in Loop: Header=BB372_2076 Depth=1
	s_or_b32 exec_lo, exec_lo, s20
.LBB372_4177:                           ;   in Loop: Header=BB372_2076 Depth=1
	s_or_b32 exec_lo, exec_lo, s19
.LBB372_4178:                           ;   in Loop: Header=BB372_2076 Depth=1
	s_or_b32 exec_lo, exec_lo, s18
	s_mov_b32 s18, exec_lo
	v_cmpx_lt_u64_e64 s[6:7], v[15:16]
	s_cbranch_execz .LBB372_4186
; %bb.4179:                             ;   in Loop: Header=BB372_2076 Depth=1
	v_cmp_ne_u32_sdwa s4, v16, v103 src0_sel:BYTE_3 src1_sel:DWORD
	v_bfrev_b32_e32 v94, 1
	s_and_saveexec_b32 s19, s4
	s_cbranch_execz .LBB372_4185
; %bb.4180:                             ;   in Loop: Header=BB372_2076 Depth=1
	v_bfe_u32 v106, v16, 24, 7
	v_mov_b32_e32 v94, 0x7f800001
	s_mov_b32 s20, exec_lo
	v_cmpx_ne_u32_e32 0x7f, v106
	s_cbranch_execz .LBB372_4184
; %bb.4181:                             ;   in Loop: Header=BB372_2076 Depth=1
	v_and_b32_sdwa v12, v16, v114 dst_sel:DWORD dst_unused:UNUSED_PAD src0_sel:BYTE_3 src1_sel:DWORD
	v_mov_b32_e32 v20, v13
	v_lshrrev_b32_e32 v15, 3, v106
	s_mov_b32 s21, exec_lo
	v_mov_b32_e32 v19, v12
	v_cmpx_gt_u32_e32 8, v106
; %bb.4182:                             ;   in Loop: Header=BB372_2076 Depth=1
	v_ffbh_u32_e32 v15, v12
	v_min_u32_e32 v15, 32, v15
	v_subrev_nc_u32_e32 v19, 28, v15
	v_sub_nc_u32_e32 v15, 29, v15
	v_lshlrev_b64 v[19:20], v19, v[12:13]
	v_and_b32_e32 v19, 7, v19
; %bb.4183:                             ;   in Loop: Header=BB372_2076 Depth=1
	s_or_b32 exec_lo, exec_lo, s21
	v_lshlrev_b32_sdwa v12, v115, v16 dst_sel:DWORD dst_unused:UNUSED_PAD src0_sel:DWORD src1_sel:BYTE_3
	v_lshlrev_b32_e32 v16, 20, v19
	v_lshl_add_u32 v15, v15, 23, 0x3c000000
	v_and_b32_e32 v12, 0x80000000, v12
	v_or3_b32 v94, v16, v12, v15
.LBB372_4184:                           ;   in Loop: Header=BB372_2076 Depth=1
	s_or_b32 exec_lo, exec_lo, s20
.LBB372_4185:                           ;   in Loop: Header=BB372_2076 Depth=1
	s_or_b32 exec_lo, exec_lo, s19
.LBB372_4186:                           ;   in Loop: Header=BB372_2076 Depth=1
	s_or_b32 exec_lo, exec_lo, s18
	v_mul_f32_e32 v12, v97, v105
	v_bfe_u32 v15, v12, 16, 1
	v_or_b32_e32 v16, 0x400000, v12
	v_cmp_u_f32_e64 s4, v12, v12
	v_add3_u32 v15, v15, v12, 0x7fff
	v_cndmask_b32_e64 v12, v15, v16, s4
	v_mul_f32_e32 v15, v97, v104
	v_lshrrev_b32_e32 v12, 16, v12
	v_bfe_u32 v16, v15, 16, 1
	v_or_b32_e32 v19, 0x400000, v15
	v_cmp_u_f32_e64 s4, v15, v15
	v_add3_u32 v16, v16, v15, 0x7fff
	v_cndmask_b32_e64 v15, v16, v19, s4
	v_mul_f32_e32 v16, v97, v93
	v_lshrrev_b32_e32 v15, 16, v15
	;; [unrolled: 7-line block ×3, first 2 shown]
	v_bfe_u32 v20, v19, 16, 1
	v_or_b32_e32 v23, 0x400000, v19
	v_cmp_u_f32_e64 s4, v19, v19
	v_add3_u32 v20, v20, v19, 0x7fff
	v_cndmask_b32_e64 v19, v20, v23, s4
	v_lshrrev_b32_e32 v20, 16, v19
	v_mul_f32_e32 v19, v97, v22
	v_bfe_u32 v22, v19, 16, 1
	v_or_b32_e32 v23, 0x400000, v19
	v_cmp_u_f32_e64 s4, v19, v19
	v_add3_u32 v22, v22, v19, 0x7fff
	v_cndmask_b32_e64 v19, v22, v23, s4
	v_lshrrev_b32_e32 v22, 16, v19
	v_mul_f32_e32 v19, v97, v21
	;; [unrolled: 7-line block ×3, first 2 shown]
	v_bfe_u32 v21, v19, 16, 1
	v_or_b32_e32 v98, 0x400000, v19
	v_cmp_u_f32_e64 s4, v19, v19
	v_add3_u32 v21, v21, v19, 0x7fff
	v_cndmask_b32_e64 v19, v21, v98, s4
	v_mul_f32_e32 v21, v97, v94
	v_lshrrev_b32_e32 v19, 16, v19
	v_bfe_u32 v98, v21, 16, 1
	v_or_b32_e32 v93, 0x400000, v21
	v_cmp_u_f32_e64 s4, v21, v21
	v_add3_u32 v98, v98, v21, 0x7fff
	v_cndmask_b32_e64 v21, v98, v93, s4
	v_lshrrev_b32_e32 v21, 16, v21
	s_and_saveexec_b32 s4, vcc_lo
	s_cbranch_execz .LBB372_2075
; %bb.4187:                             ;   in Loop: Header=BB372_2076 Depth=1
	buffer_load_dword v98, off, s[0:3], s32 offset:192 ; 4-byte Folded Reload
	s_waitcnt vmcnt(0)
	v_cmp_lt_i32_e32 vcc_lo, v124, v98
	v_cndmask_b32_e32 v23, 0, v23, vcc_lo
	v_cmp_lt_i32_e32 vcc_lo, v11, v98
	v_cndmask_b32_e32 v22, 0, v22, vcc_lo
	;; [unrolled: 2-line block ×8, first 2 shown]
	s_branch .LBB372_2075
.LBB372_4188:
	s_or_b32 exec_lo, exec_lo, s15
	s_clause 0x1f
	buffer_load_dword v32, off, s[0:3], s32 offset:1000
	buffer_load_dword v67, off, s[0:3], s32 offset:844
	;; [unrolled: 1-line block ×32, first 2 shown]
	v_mov_b32_e32 v4, s16
	v_mov_b32_e32 v5, s17
.LBB372_4189:
	s_or_b32 exec_lo, exec_lo, s5
	s_waitcnt vmcnt(0)
	s_waitcnt_vscnt null, 0x0
	s_barrier
	buffer_gl0_inv
	buffer_load_dword v33, off, s[0:3], s32 offset:2268 ; 4-byte Folded Reload
	ds_bpermute_b32 v26, v32, v54
	v_lshlrev_b64 v[0:1], 2, v[4:5]
	s_getpc_b64 s[4:5]
	s_add_u32 s4, s4, llvm.amdgcn.dynlds.offset.table@rel32@lo+4
	s_addc_u32 s5, s5, llvm.amdgcn.dynlds.offset.table@rel32@hi+12
	ds_bpermute_b32 v2, v32, v100
	ds_bpermute_b32 v3, v32, v99
	;; [unrolled: 1-line block ×4, first 2 shown]
	v_add_co_u32 v0, vcc_lo, s4, v0
	v_add_co_ci_u32_e64 v1, null, s5, v1, vcc_lo
	ds_bpermute_b32 v6, v32, v87
	ds_bpermute_b32 v7, v32, v86
	;; [unrolled: 1-line block ×3, first 2 shown]
	global_load_dword v0, v[0:1], off
	ds_bpermute_b32 v1, v32, v98
	ds_bpermute_b32 v9, v32, v84
	;; [unrolled: 1-line block ×5, first 2 shown]
	s_waitcnt lgkmcnt(12)
	v_add_f32_e32 v54, v54, v26
	ds_bpermute_b32 v13, v32, v80
	ds_bpermute_b32 v14, v32, v71
	;; [unrolled: 1-line block ×19, first 2 shown]
	s_waitcnt lgkmcnt(23)
	v_add_f32_e32 v1, v98, v1
	v_add_f32_e32 v2, v100, v2
	;; [unrolled: 1-line block ×8, first 2 shown]
	s_waitcnt lgkmcnt(22)
	v_add_f32_e32 v9, v84, v9
	s_waitcnt lgkmcnt(21)
	v_add_f32_e32 v10, v83, v10
	;; [unrolled: 2-line block ×23, first 2 shown]
	s_mov_b32 s4, exec_lo
	buffer_load_dword v26, off, s[0:3], s32 offset:996 ; 4-byte Folded Reload
	s_waitcnt vmcnt(2)
	v_lshrrev_b32_e32 v34, 2, v33
	v_and_b32_e32 v36, 28, v33
	buffer_load_dword v33, off, s[0:3], s32 offset:2272 ; 4-byte Folded Reload
	s_waitcnt vmcnt(1)
	ds_bpermute_b32 v18, v26, v1
	ds_bpermute_b32 v19, v26, v2
	;; [unrolled: 1-line block ×32, first 2 shown]
	s_waitcnt lgkmcnt(30)
	v_add_f32_e32 v32, v2, v19
	s_waitcnt lgkmcnt(29)
	v_add_f32_e32 v31, v3, v20
	;; [unrolled: 2-line block ×29, first 2 shown]
	s_waitcnt vmcnt(0)
	v_lshlrev_b32_e32 v35, 10, v33
	buffer_load_dword v33, off, s[0:3], s32 offset:2264 ; 4-byte Folded Reload
	s_waitcnt vmcnt(0)
	v_and_b32_e32 v37, 0x3c3, v33
	v_add_f32_e32 v33, v1, v18
	v_add_f32_e32 v18, v16, v84
	;; [unrolled: 1-line block ×3, first 2 shown]
	v_add_nc_u32_e32 v1, v0, v36
	v_cmpx_eq_u32_e32 64, v37
	s_cbranch_execz .LBB372_4191
; %bb.4190:
	v_add_nc_u32_e32 v36, v1, v35
	v_add_nc_u32_e32 v37, 0xfffff800, v36
	;; [unrolled: 1-line block ×8, first 2 shown]
	ds_write_b32 v37, v33
	ds_write_b32 v38, v32
	;; [unrolled: 1-line block ×7, first 2 shown]
	v_add_nc_u32_e32 v37, 0xfffff8e0, v36
	v_add_nc_u32_e32 v38, 0xfffff900, v36
	v_add_nc_u32_e32 v39, 0xfffff920, v36
	v_add_nc_u32_e32 v48, 0xfffff940, v36
	v_add_nc_u32_e32 v49, 0xfffff960, v36
	ds_write_b32 v37, v26
	ds_write_b32 v38, v25
	ds_write_b32 v39, v24
	ds_write_b32 v48, v23
	ds_write_b32 v49, v22
	v_add_nc_u32_e32 v37, 0xfffff980, v36
	v_add_nc_u32_e32 v38, 0xfffff9a0, v36
	v_add_nc_u32_e32 v39, 0xfffff9c0, v36
	v_add_nc_u32_e32 v48, 0xfffff9e0, v36
	v_add_nc_u32_e32 v49, 0xfffffa00, v36
	ds_write_b32 v37, v21
	ds_write_b32 v38, v20
	ds_write_b32 v39, v19
	ds_write_b32 v48, v18
	ds_write_b32 v49, v17
	;; [unrolled: 10-line block ×5, first 2 shown]
.LBB372_4191:
	s_or_b32 exec_lo, exec_lo, s4
	buffer_load_dword v37, off, s[0:3], s32 offset:2264 ; 4-byte Folded Reload
	v_lshlrev_b32_e32 v34, 2, v34
	s_mov_b32 s5, exec_lo
	s_waitcnt vmcnt(0) lgkmcnt(0)
	s_barrier
	buffer_gl0_inv
	v_add3_u32 v0, v0, v35, v34
	v_and_b32_e32 v36, 3, v37
	v_cmp_eq_u32_e32 vcc_lo, 0, v36
	v_cmpx_gt_u32_e32 64, v37
	s_cbranch_execz .LBB372_4226
; %bb.4192:
	s_and_saveexec_b32 s4, vcc_lo
	s_cbranch_execnz .LBB372_4266
; %bb.4193:
	s_or_b32 exec_lo, exec_lo, s4
	s_and_saveexec_b32 s4, vcc_lo
	s_cbranch_execnz .LBB372_4267
.LBB372_4194:
	s_or_b32 exec_lo, exec_lo, s4
	s_and_saveexec_b32 s4, vcc_lo
	s_cbranch_execnz .LBB372_4268
.LBB372_4195:
	s_or_b32 exec_lo, exec_lo, s4
	s_and_saveexec_b32 s4, vcc_lo
	s_cbranch_execnz .LBB372_4269
.LBB372_4196:
	s_or_b32 exec_lo, exec_lo, s4
	s_and_saveexec_b32 s4, vcc_lo
	s_cbranch_execnz .LBB372_4270
.LBB372_4197:
	s_or_b32 exec_lo, exec_lo, s4
	s_and_saveexec_b32 s4, vcc_lo
	s_cbranch_execnz .LBB372_4271
.LBB372_4198:
	s_or_b32 exec_lo, exec_lo, s4
	s_and_saveexec_b32 s4, vcc_lo
	s_cbranch_execnz .LBB372_4272
.LBB372_4199:
	s_or_b32 exec_lo, exec_lo, s4
	s_and_saveexec_b32 s4, vcc_lo
	s_cbranch_execnz .LBB372_4273
.LBB372_4200:
	s_or_b32 exec_lo, exec_lo, s4
	s_and_saveexec_b32 s4, vcc_lo
	s_cbranch_execnz .LBB372_4274
.LBB372_4201:
	s_or_b32 exec_lo, exec_lo, s4
	s_and_saveexec_b32 s4, vcc_lo
	s_cbranch_execnz .LBB372_4275
.LBB372_4202:
	s_or_b32 exec_lo, exec_lo, s4
	s_and_saveexec_b32 s4, vcc_lo
	s_cbranch_execnz .LBB372_4276
.LBB372_4203:
	s_or_b32 exec_lo, exec_lo, s4
	s_and_saveexec_b32 s4, vcc_lo
	s_cbranch_execnz .LBB372_4277
.LBB372_4204:
	s_or_b32 exec_lo, exec_lo, s4
	s_and_saveexec_b32 s4, vcc_lo
	s_cbranch_execnz .LBB372_4278
.LBB372_4205:
	s_or_b32 exec_lo, exec_lo, s4
	s_and_saveexec_b32 s4, vcc_lo
	s_cbranch_execnz .LBB372_4279
.LBB372_4206:
	s_or_b32 exec_lo, exec_lo, s4
	s_and_saveexec_b32 s4, vcc_lo
	s_cbranch_execnz .LBB372_4280
.LBB372_4207:
	s_or_b32 exec_lo, exec_lo, s4
	s_and_saveexec_b32 s4, vcc_lo
	s_cbranch_execnz .LBB372_4281
.LBB372_4208:
	s_or_b32 exec_lo, exec_lo, s4
	s_and_saveexec_b32 s4, vcc_lo
	s_cbranch_execnz .LBB372_4282
.LBB372_4209:
	s_or_b32 exec_lo, exec_lo, s4
	s_and_saveexec_b32 s4, vcc_lo
	s_cbranch_execnz .LBB372_4283
.LBB372_4210:
	s_or_b32 exec_lo, exec_lo, s4
	s_and_saveexec_b32 s4, vcc_lo
	s_cbranch_execnz .LBB372_4284
.LBB372_4211:
	s_or_b32 exec_lo, exec_lo, s4
	s_and_saveexec_b32 s4, vcc_lo
	s_cbranch_execnz .LBB372_4285
.LBB372_4212:
	s_or_b32 exec_lo, exec_lo, s4
	s_and_saveexec_b32 s4, vcc_lo
	s_cbranch_execnz .LBB372_4286
.LBB372_4213:
	s_or_b32 exec_lo, exec_lo, s4
	s_and_saveexec_b32 s4, vcc_lo
	s_cbranch_execnz .LBB372_4287
.LBB372_4214:
	s_or_b32 exec_lo, exec_lo, s4
	s_and_saveexec_b32 s4, vcc_lo
	s_cbranch_execnz .LBB372_4288
.LBB372_4215:
	s_or_b32 exec_lo, exec_lo, s4
	s_and_saveexec_b32 s4, vcc_lo
	s_cbranch_execnz .LBB372_4289
.LBB372_4216:
	s_or_b32 exec_lo, exec_lo, s4
	s_and_saveexec_b32 s4, vcc_lo
	s_cbranch_execnz .LBB372_4290
.LBB372_4217:
	s_or_b32 exec_lo, exec_lo, s4
	s_and_saveexec_b32 s4, vcc_lo
	s_cbranch_execnz .LBB372_4291
.LBB372_4218:
	s_or_b32 exec_lo, exec_lo, s4
	s_and_saveexec_b32 s4, vcc_lo
	s_cbranch_execnz .LBB372_4292
.LBB372_4219:
	s_or_b32 exec_lo, exec_lo, s4
	s_and_saveexec_b32 s4, vcc_lo
	s_cbranch_execnz .LBB372_4293
.LBB372_4220:
	s_or_b32 exec_lo, exec_lo, s4
	s_and_saveexec_b32 s4, vcc_lo
	s_cbranch_execnz .LBB372_4294
.LBB372_4221:
	s_or_b32 exec_lo, exec_lo, s4
	s_and_saveexec_b32 s4, vcc_lo
	s_cbranch_execnz .LBB372_4295
.LBB372_4222:
	s_or_b32 exec_lo, exec_lo, s4
	s_and_saveexec_b32 s4, vcc_lo
	s_cbranch_execnz .LBB372_4296
.LBB372_4223:
	s_or_b32 exec_lo, exec_lo, s4
	s_and_saveexec_b32 s4, vcc_lo
	s_cbranch_execz .LBB372_4225
.LBB372_4224:
	ds_read_b32 v34, v0 offset:992
	s_waitcnt lgkmcnt(0)
	v_add_f32_e32 v2, v34, v2
.LBB372_4225:
	s_or_b32 exec_lo, exec_lo, s4
.LBB372_4226:
	s_or_b32 exec_lo, exec_lo, s5
	buffer_load_dword v34, off, s[0:3], s32 offset:2264 ; 4-byte Folded Reload
	s_mov_b32 s5, exec_lo
	s_waitcnt vmcnt(0)
	s_barrier
	buffer_gl0_inv
	v_and_b32_e32 v34, 0x3e3, v34
	v_cmpx_eq_u32_e32 32, v34
	s_cbranch_execz .LBB372_4228
; %bb.4227:
	ds_write2_b32 v1, v33, v32 offset1:8
	ds_write2_b32 v1, v31, v30 offset0:16 offset1:24
	ds_write2_b32 v1, v29, v28 offset0:32 offset1:40
	;; [unrolled: 1-line block ×15, first 2 shown]
.LBB372_4228:
	s_or_b32 exec_lo, exec_lo, s5
	buffer_load_dword v1, off, s[0:3], s32 offset:2264 ; 4-byte Folded Reload
	s_mov_b32 s5, exec_lo
	s_waitcnt vmcnt(0) lgkmcnt(0)
	s_barrier
	buffer_gl0_inv
	v_cmpx_gt_u32_e32 32, v1
	s_cbranch_execz .LBB372_4263
; %bb.4229:
	s_and_saveexec_b32 s4, vcc_lo
	s_cbranch_execnz .LBB372_4297
; %bb.4230:
	s_or_b32 exec_lo, exec_lo, s4
	s_and_saveexec_b32 s4, vcc_lo
	s_cbranch_execnz .LBB372_4298
.LBB372_4231:
	s_or_b32 exec_lo, exec_lo, s4
	s_and_saveexec_b32 s4, vcc_lo
	s_cbranch_execnz .LBB372_4299
.LBB372_4232:
	s_or_b32 exec_lo, exec_lo, s4
	s_and_saveexec_b32 s4, vcc_lo
	s_cbranch_execnz .LBB372_4300
.LBB372_4233:
	s_or_b32 exec_lo, exec_lo, s4
	s_and_saveexec_b32 s4, vcc_lo
	s_cbranch_execnz .LBB372_4301
.LBB372_4234:
	s_or_b32 exec_lo, exec_lo, s4
	s_and_saveexec_b32 s4, vcc_lo
	s_cbranch_execnz .LBB372_4302
.LBB372_4235:
	s_or_b32 exec_lo, exec_lo, s4
	s_and_saveexec_b32 s4, vcc_lo
	s_cbranch_execnz .LBB372_4303
.LBB372_4236:
	s_or_b32 exec_lo, exec_lo, s4
	s_and_saveexec_b32 s4, vcc_lo
	s_cbranch_execnz .LBB372_4304
.LBB372_4237:
	s_or_b32 exec_lo, exec_lo, s4
	s_and_saveexec_b32 s4, vcc_lo
	s_cbranch_execnz .LBB372_4305
.LBB372_4238:
	s_or_b32 exec_lo, exec_lo, s4
	s_and_saveexec_b32 s4, vcc_lo
	s_cbranch_execnz .LBB372_4306
.LBB372_4239:
	s_or_b32 exec_lo, exec_lo, s4
	s_and_saveexec_b32 s4, vcc_lo
	s_cbranch_execnz .LBB372_4307
.LBB372_4240:
	s_or_b32 exec_lo, exec_lo, s4
	s_and_saveexec_b32 s4, vcc_lo
	s_cbranch_execnz .LBB372_4308
.LBB372_4241:
	s_or_b32 exec_lo, exec_lo, s4
	s_and_saveexec_b32 s4, vcc_lo
	s_cbranch_execnz .LBB372_4309
.LBB372_4242:
	s_or_b32 exec_lo, exec_lo, s4
	s_and_saveexec_b32 s4, vcc_lo
	s_cbranch_execnz .LBB372_4310
.LBB372_4243:
	s_or_b32 exec_lo, exec_lo, s4
	s_and_saveexec_b32 s4, vcc_lo
	s_cbranch_execnz .LBB372_4311
.LBB372_4244:
	s_or_b32 exec_lo, exec_lo, s4
	s_and_saveexec_b32 s4, vcc_lo
	s_cbranch_execnz .LBB372_4312
.LBB372_4245:
	s_or_b32 exec_lo, exec_lo, s4
	s_and_saveexec_b32 s4, vcc_lo
	s_cbranch_execnz .LBB372_4313
.LBB372_4246:
	s_or_b32 exec_lo, exec_lo, s4
	s_and_saveexec_b32 s4, vcc_lo
	s_cbranch_execnz .LBB372_4314
.LBB372_4247:
	s_or_b32 exec_lo, exec_lo, s4
	s_and_saveexec_b32 s4, vcc_lo
	s_cbranch_execnz .LBB372_4315
.LBB372_4248:
	s_or_b32 exec_lo, exec_lo, s4
	s_and_saveexec_b32 s4, vcc_lo
	s_cbranch_execnz .LBB372_4316
.LBB372_4249:
	s_or_b32 exec_lo, exec_lo, s4
	s_and_saveexec_b32 s4, vcc_lo
	s_cbranch_execnz .LBB372_4317
.LBB372_4250:
	s_or_b32 exec_lo, exec_lo, s4
	s_and_saveexec_b32 s4, vcc_lo
	s_cbranch_execnz .LBB372_4318
.LBB372_4251:
	s_or_b32 exec_lo, exec_lo, s4
	s_and_saveexec_b32 s4, vcc_lo
	s_cbranch_execnz .LBB372_4319
.LBB372_4252:
	s_or_b32 exec_lo, exec_lo, s4
	s_and_saveexec_b32 s4, vcc_lo
	s_cbranch_execnz .LBB372_4320
.LBB372_4253:
	s_or_b32 exec_lo, exec_lo, s4
	s_and_saveexec_b32 s4, vcc_lo
	s_cbranch_execnz .LBB372_4321
.LBB372_4254:
	s_or_b32 exec_lo, exec_lo, s4
	s_and_saveexec_b32 s4, vcc_lo
	s_cbranch_execnz .LBB372_4322
.LBB372_4255:
	s_or_b32 exec_lo, exec_lo, s4
	s_and_saveexec_b32 s4, vcc_lo
	s_cbranch_execnz .LBB372_4323
.LBB372_4256:
	s_or_b32 exec_lo, exec_lo, s4
	s_and_saveexec_b32 s4, vcc_lo
	s_cbranch_execnz .LBB372_4324
.LBB372_4257:
	s_or_b32 exec_lo, exec_lo, s4
	s_and_saveexec_b32 s4, vcc_lo
	s_cbranch_execnz .LBB372_4325
.LBB372_4258:
	s_or_b32 exec_lo, exec_lo, s4
	s_and_saveexec_b32 s4, vcc_lo
	s_cbranch_execnz .LBB372_4326
.LBB372_4259:
	s_or_b32 exec_lo, exec_lo, s4
	s_and_saveexec_b32 s4, vcc_lo
	s_cbranch_execnz .LBB372_4327
.LBB372_4260:
	s_or_b32 exec_lo, exec_lo, s4
	s_and_saveexec_b32 s4, vcc_lo
	s_cbranch_execz .LBB372_4262
.LBB372_4261:
	ds_read_b32 v0, v0 offset:992
	s_waitcnt lgkmcnt(0)
	v_add_f32_e32 v2, v0, v2
.LBB372_4262:
	s_or_b32 exec_lo, exec_lo, s4
.LBB372_4263:
	s_or_b32 exec_lo, exec_lo, s5
	v_cmp_eq_u32_e32 vcc_lo, 0, v34
	s_barrier
	buffer_gl0_inv
	s_mov_b32 s4, exec_lo
	buffer_load_dword v0, off, s[0:3], s32 offset:2264 ; 4-byte Folded Reload
	s_and_b32 s5, s4, vcc_lo
	s_mov_b32 exec_lo, s5
	s_cbranch_execz .LBB372_4265
; %bb.4264:
	s_clause 0x1
	buffer_load_dword v35, off, s[0:3], s32 offset:2296
	buffer_load_dword v36, off, s[0:3], s32 offset:2292
	s_and_b32 s5, 0xffff, s8
	s_waitcnt vmcnt(2)
	v_lshrrev_b32_e32 v0, 1, v0
	s_cmp_lg_u32 s5, 0
	v_bfe_u32 v1, v33, 16, 1
	s_cselect_b32 s5, -1, 0
	v_or_b32_e32 v34, 0x400000, v33
	s_cmp_lg_u32 s5, 0
	s_addc_u32 s5, s13, 0
	s_lshl_b32 s6, s14, 8
	s_mul_i32 s7, s10, s5
	s_mul_i32 s8, s12, s5
	;; [unrolled: 1-line block ×3, first 2 shown]
	s_ashr_i32 s9, s8, 31
	s_lshl_b32 s10, s7, 8
	s_lshl_b64 s[8:9], s[8:9], 1
	s_ashr_i32 s11, s10, 31
	s_ashr_i32 s7, s6, 31
	s_lshl_b64 s[10:11], s[10:11], 1
	s_lshl_b64 s[6:7], s[6:7], 1
	v_add3_u32 v37, v1, v33, 0x7fff
	s_waitcnt vmcnt(1)
	v_add_co_u32 v35, vcc_lo, v35, s10
	s_waitcnt vmcnt(0)
	v_add_co_ci_u32_e64 v36, null, s11, v36, vcc_lo
	v_add_co_u32 v35, vcc_lo, v35, s8
	v_add_co_ci_u32_e64 v36, null, s9, v36, vcc_lo
	v_add_co_u32 v35, vcc_lo, v35, s6
	;; [unrolled: 2-line block ×3, first 2 shown]
	v_add_co_ci_u32_e64 v1, null, 0, v36, vcc_lo
	v_bfe_u32 v35, v32, 16, 1
	v_cmp_u_f32_e32 vcc_lo, v33, v33
	v_or_b32_e32 v36, 0x400000, v32
	v_add3_u32 v35, v35, v32, 0x7fff
	v_cndmask_b32_e32 v33, v37, v34, vcc_lo
	v_bfe_u32 v34, v31, 16, 1
	v_cmp_u_f32_e32 vcc_lo, v32, v32
	flat_store_short_d16_hi v[0:1], v33
	v_add3_u32 v33, v34, v31, 0x7fff
	v_or_b32_e32 v34, 0x400000, v31
	v_cndmask_b32_e32 v32, v35, v36, vcc_lo
	v_bfe_u32 v35, v30, 16, 1
	v_cmp_u_f32_e32 vcc_lo, v31, v31
	flat_store_short_d16_hi v[0:1], v32 offset:16
	v_add3_u32 v32, v35, v30, 0x7fff
	v_cndmask_b32_e32 v31, v33, v34, vcc_lo
	v_bfe_u32 v33, v29, 16, 1
	v_or_b32_e32 v34, 0x400000, v30
	v_cmp_u_f32_e32 vcc_lo, v30, v30
	flat_store_short_d16_hi v[0:1], v31 offset:32
	v_add3_u32 v31, v33, v29, 0x7fff
	v_or_b32_e32 v33, 0x400000, v29
	v_cndmask_b32_e32 v30, v32, v34, vcc_lo
	v_bfe_u32 v32, v28, 16, 1
	v_cmp_u_f32_e32 vcc_lo, v29, v29
	flat_store_short_d16_hi v[0:1], v30 offset:48
	v_add3_u32 v30, v32, v28, 0x7fff
	v_cndmask_b32_e32 v29, v31, v33, vcc_lo
	v_bfe_u32 v31, v27, 16, 1
	v_or_b32_e32 v32, 0x400000, v28
	v_cmp_u_f32_e32 vcc_lo, v28, v28
	flat_store_short_d16_hi v[0:1], v29 offset:64
	;; [unrolled: 12-line block ×12, first 2 shown]
	v_add3_u32 v9, v11, v7, 0x7fff
	v_or_b32_e32 v11, 0x400000, v7
	v_cndmask_b32_e32 v8, v10, v12, vcc_lo
	v_bfe_u32 v10, v6, 16, 1
	v_cmp_u_f32_e32 vcc_lo, v7, v7
	v_or_b32_e32 v12, 0x400000, v2
	flat_store_short_d16_hi v[0:1], v8 offset:400
	v_add3_u32 v8, v10, v6, 0x7fff
	v_cndmask_b32_e32 v7, v9, v11, vcc_lo
	v_bfe_u32 v9, v5, 16, 1
	v_or_b32_e32 v10, 0x400000, v6
	v_cmp_u_f32_e32 vcc_lo, v6, v6
	v_or_b32_e32 v11, 0x400000, v3
	flat_store_short_d16_hi v[0:1], v7 offset:416
	v_add3_u32 v7, v9, v5, 0x7fff
	v_or_b32_e32 v9, 0x400000, v5
	v_cndmask_b32_e32 v6, v8, v10, vcc_lo
	v_bfe_u32 v8, v4, 16, 1
	v_cmp_u_f32_e32 vcc_lo, v5, v5
	v_bfe_u32 v10, v3, 16, 1
	v_add3_u32 v8, v8, v4, 0x7fff
	v_cndmask_b32_e32 v5, v7, v9, vcc_lo
	v_or_b32_e32 v9, 0x400000, v4
	v_cmp_u_f32_e32 vcc_lo, v4, v4
	v_bfe_u32 v7, v2, 16, 1
	v_add3_u32 v10, v10, v3, 0x7fff
	v_cndmask_b32_e32 v4, v8, v9, vcc_lo
	v_cmp_u_f32_e32 vcc_lo, v3, v3
	v_add3_u32 v7, v7, v2, 0x7fff
	v_cndmask_b32_e32 v3, v10, v11, vcc_lo
	v_cmp_u_f32_e32 vcc_lo, v2, v2
	v_cndmask_b32_e32 v2, v7, v12, vcc_lo
	flat_store_short_d16_hi v[0:1], v6 offset:432
	flat_store_short_d16_hi v[0:1], v5 offset:448
	flat_store_short_d16_hi v[0:1], v4 offset:464
	flat_store_short_d16_hi v[0:1], v3 offset:480
	flat_store_short_d16_hi v[0:1], v2 offset:496
.LBB372_4265:
	s_or_b32 exec_lo, exec_lo, s4
	s_clause 0x2f
	buffer_load_dword v127, off, s[0:3], s32
	buffer_load_dword v126, off, s[0:3], s32 offset:4
	buffer_load_dword v125, off, s[0:3], s32 offset:8
	;; [unrolled: 1-line block ×47, first 2 shown]
	s_waitcnt vmcnt(0) lgkmcnt(0)
	s_setpc_b64 s[30:31]
.LBB372_4266:
	ds_read_b32 v34, v0
	s_waitcnt lgkmcnt(0)
	v_add_f32_e32 v33, v34, v33
	s_or_b32 exec_lo, exec_lo, s4
	s_and_saveexec_b32 s4, vcc_lo
	s_cbranch_execz .LBB372_4194
.LBB372_4267:
	ds_read_b32 v34, v0 offset:32
	s_waitcnt lgkmcnt(0)
	v_add_f32_e32 v32, v34, v32
	s_or_b32 exec_lo, exec_lo, s4
	s_and_saveexec_b32 s4, vcc_lo
	s_cbranch_execz .LBB372_4195
.LBB372_4268:
	ds_read_b32 v34, v0 offset:64
	s_waitcnt lgkmcnt(0)
	v_add_f32_e32 v31, v34, v31
	s_or_b32 exec_lo, exec_lo, s4
	s_and_saveexec_b32 s4, vcc_lo
	s_cbranch_execz .LBB372_4196
.LBB372_4269:
	ds_read_b32 v34, v0 offset:96
	s_waitcnt lgkmcnt(0)
	v_add_f32_e32 v30, v34, v30
	s_or_b32 exec_lo, exec_lo, s4
	s_and_saveexec_b32 s4, vcc_lo
	s_cbranch_execz .LBB372_4197
.LBB372_4270:
	ds_read_b32 v34, v0 offset:128
	s_waitcnt lgkmcnt(0)
	v_add_f32_e32 v29, v34, v29
	s_or_b32 exec_lo, exec_lo, s4
	s_and_saveexec_b32 s4, vcc_lo
	s_cbranch_execz .LBB372_4198
.LBB372_4271:
	ds_read_b32 v34, v0 offset:160
	s_waitcnt lgkmcnt(0)
	v_add_f32_e32 v28, v34, v28
	s_or_b32 exec_lo, exec_lo, s4
	s_and_saveexec_b32 s4, vcc_lo
	s_cbranch_execz .LBB372_4199
.LBB372_4272:
	ds_read_b32 v34, v0 offset:192
	s_waitcnt lgkmcnt(0)
	v_add_f32_e32 v27, v34, v27
	s_or_b32 exec_lo, exec_lo, s4
	s_and_saveexec_b32 s4, vcc_lo
	s_cbranch_execz .LBB372_4200
.LBB372_4273:
	ds_read_b32 v34, v0 offset:224
	s_waitcnt lgkmcnt(0)
	v_add_f32_e32 v26, v34, v26
	s_or_b32 exec_lo, exec_lo, s4
	s_and_saveexec_b32 s4, vcc_lo
	s_cbranch_execz .LBB372_4201
.LBB372_4274:
	ds_read_b32 v34, v0 offset:256
	s_waitcnt lgkmcnt(0)
	v_add_f32_e32 v25, v34, v25
	s_or_b32 exec_lo, exec_lo, s4
	s_and_saveexec_b32 s4, vcc_lo
	s_cbranch_execz .LBB372_4202
.LBB372_4275:
	ds_read_b32 v34, v0 offset:288
	s_waitcnt lgkmcnt(0)
	v_add_f32_e32 v24, v34, v24
	s_or_b32 exec_lo, exec_lo, s4
	s_and_saveexec_b32 s4, vcc_lo
	s_cbranch_execz .LBB372_4203
.LBB372_4276:
	ds_read_b32 v34, v0 offset:320
	s_waitcnt lgkmcnt(0)
	v_add_f32_e32 v23, v34, v23
	s_or_b32 exec_lo, exec_lo, s4
	s_and_saveexec_b32 s4, vcc_lo
	s_cbranch_execz .LBB372_4204
.LBB372_4277:
	ds_read_b32 v34, v0 offset:352
	s_waitcnt lgkmcnt(0)
	v_add_f32_e32 v22, v34, v22
	s_or_b32 exec_lo, exec_lo, s4
	s_and_saveexec_b32 s4, vcc_lo
	s_cbranch_execz .LBB372_4205
.LBB372_4278:
	ds_read_b32 v34, v0 offset:384
	s_waitcnt lgkmcnt(0)
	v_add_f32_e32 v21, v34, v21
	s_or_b32 exec_lo, exec_lo, s4
	s_and_saveexec_b32 s4, vcc_lo
	s_cbranch_execz .LBB372_4206
.LBB372_4279:
	ds_read_b32 v34, v0 offset:416
	s_waitcnt lgkmcnt(0)
	v_add_f32_e32 v20, v34, v20
	s_or_b32 exec_lo, exec_lo, s4
	s_and_saveexec_b32 s4, vcc_lo
	s_cbranch_execz .LBB372_4207
.LBB372_4280:
	ds_read_b32 v34, v0 offset:448
	s_waitcnt lgkmcnt(0)
	v_add_f32_e32 v19, v34, v19
	s_or_b32 exec_lo, exec_lo, s4
	s_and_saveexec_b32 s4, vcc_lo
	s_cbranch_execz .LBB372_4208
.LBB372_4281:
	ds_read_b32 v34, v0 offset:480
	s_waitcnt lgkmcnt(0)
	v_add_f32_e32 v18, v34, v18
	s_or_b32 exec_lo, exec_lo, s4
	s_and_saveexec_b32 s4, vcc_lo
	s_cbranch_execz .LBB372_4209
.LBB372_4282:
	ds_read_b32 v34, v0 offset:512
	s_waitcnt lgkmcnt(0)
	v_add_f32_e32 v17, v34, v17
	s_or_b32 exec_lo, exec_lo, s4
	s_and_saveexec_b32 s4, vcc_lo
	s_cbranch_execz .LBB372_4210
.LBB372_4283:
	ds_read_b32 v34, v0 offset:544
	s_waitcnt lgkmcnt(0)
	v_add_f32_e32 v16, v34, v16
	s_or_b32 exec_lo, exec_lo, s4
	s_and_saveexec_b32 s4, vcc_lo
	s_cbranch_execz .LBB372_4211
.LBB372_4284:
	ds_read_b32 v34, v0 offset:576
	s_waitcnt lgkmcnt(0)
	v_add_f32_e32 v15, v34, v15
	s_or_b32 exec_lo, exec_lo, s4
	s_and_saveexec_b32 s4, vcc_lo
	s_cbranch_execz .LBB372_4212
.LBB372_4285:
	ds_read_b32 v34, v0 offset:608
	s_waitcnt lgkmcnt(0)
	v_add_f32_e32 v14, v34, v14
	s_or_b32 exec_lo, exec_lo, s4
	s_and_saveexec_b32 s4, vcc_lo
	s_cbranch_execz .LBB372_4213
.LBB372_4286:
	ds_read_b32 v34, v0 offset:640
	s_waitcnt lgkmcnt(0)
	v_add_f32_e32 v13, v34, v13
	s_or_b32 exec_lo, exec_lo, s4
	s_and_saveexec_b32 s4, vcc_lo
	s_cbranch_execz .LBB372_4214
.LBB372_4287:
	ds_read_b32 v34, v0 offset:672
	s_waitcnt lgkmcnt(0)
	v_add_f32_e32 v12, v34, v12
	s_or_b32 exec_lo, exec_lo, s4
	s_and_saveexec_b32 s4, vcc_lo
	s_cbranch_execz .LBB372_4215
.LBB372_4288:
	ds_read_b32 v34, v0 offset:704
	s_waitcnt lgkmcnt(0)
	v_add_f32_e32 v11, v34, v11
	s_or_b32 exec_lo, exec_lo, s4
	s_and_saveexec_b32 s4, vcc_lo
	s_cbranch_execz .LBB372_4216
.LBB372_4289:
	ds_read_b32 v34, v0 offset:736
	s_waitcnt lgkmcnt(0)
	v_add_f32_e32 v10, v34, v10
	s_or_b32 exec_lo, exec_lo, s4
	s_and_saveexec_b32 s4, vcc_lo
	s_cbranch_execz .LBB372_4217
.LBB372_4290:
	ds_read_b32 v34, v0 offset:768
	s_waitcnt lgkmcnt(0)
	v_add_f32_e32 v9, v34, v9
	s_or_b32 exec_lo, exec_lo, s4
	s_and_saveexec_b32 s4, vcc_lo
	s_cbranch_execz .LBB372_4218
.LBB372_4291:
	ds_read_b32 v34, v0 offset:800
	s_waitcnt lgkmcnt(0)
	v_add_f32_e32 v8, v34, v8
	s_or_b32 exec_lo, exec_lo, s4
	s_and_saveexec_b32 s4, vcc_lo
	s_cbranch_execz .LBB372_4219
.LBB372_4292:
	ds_read_b32 v34, v0 offset:832
	s_waitcnt lgkmcnt(0)
	v_add_f32_e32 v7, v34, v7
	s_or_b32 exec_lo, exec_lo, s4
	s_and_saveexec_b32 s4, vcc_lo
	s_cbranch_execz .LBB372_4220
.LBB372_4293:
	ds_read_b32 v34, v0 offset:864
	s_waitcnt lgkmcnt(0)
	v_add_f32_e32 v6, v34, v6
	s_or_b32 exec_lo, exec_lo, s4
	s_and_saveexec_b32 s4, vcc_lo
	s_cbranch_execz .LBB372_4221
.LBB372_4294:
	ds_read_b32 v34, v0 offset:896
	s_waitcnt lgkmcnt(0)
	v_add_f32_e32 v5, v34, v5
	s_or_b32 exec_lo, exec_lo, s4
	s_and_saveexec_b32 s4, vcc_lo
	s_cbranch_execz .LBB372_4222
.LBB372_4295:
	ds_read_b32 v34, v0 offset:928
	s_waitcnt lgkmcnt(0)
	v_add_f32_e32 v4, v34, v4
	s_or_b32 exec_lo, exec_lo, s4
	s_and_saveexec_b32 s4, vcc_lo
	s_cbranch_execz .LBB372_4223
.LBB372_4296:
	ds_read_b32 v34, v0 offset:960
	s_waitcnt lgkmcnt(0)
	v_add_f32_e32 v3, v34, v3
	s_or_b32 exec_lo, exec_lo, s4
	s_and_saveexec_b32 s4, vcc_lo
	s_cbranch_execnz .LBB372_4224
	s_branch .LBB372_4225
.LBB372_4297:
	ds_read_b32 v1, v0
	s_waitcnt lgkmcnt(0)
	v_add_f32_e32 v33, v1, v33
	s_or_b32 exec_lo, exec_lo, s4
	s_and_saveexec_b32 s4, vcc_lo
	s_cbranch_execz .LBB372_4231
.LBB372_4298:
	ds_read_b32 v1, v0 offset:32
	s_waitcnt lgkmcnt(0)
	v_add_f32_e32 v32, v1, v32
	s_or_b32 exec_lo, exec_lo, s4
	s_and_saveexec_b32 s4, vcc_lo
	s_cbranch_execz .LBB372_4232
.LBB372_4299:
	ds_read_b32 v1, v0 offset:64
	s_waitcnt lgkmcnt(0)
	v_add_f32_e32 v31, v1, v31
	s_or_b32 exec_lo, exec_lo, s4
	s_and_saveexec_b32 s4, vcc_lo
	s_cbranch_execz .LBB372_4233
.LBB372_4300:
	ds_read_b32 v1, v0 offset:96
	s_waitcnt lgkmcnt(0)
	v_add_f32_e32 v30, v1, v30
	s_or_b32 exec_lo, exec_lo, s4
	s_and_saveexec_b32 s4, vcc_lo
	s_cbranch_execz .LBB372_4234
.LBB372_4301:
	ds_read_b32 v1, v0 offset:128
	s_waitcnt lgkmcnt(0)
	v_add_f32_e32 v29, v1, v29
	s_or_b32 exec_lo, exec_lo, s4
	s_and_saveexec_b32 s4, vcc_lo
	s_cbranch_execz .LBB372_4235
.LBB372_4302:
	ds_read_b32 v1, v0 offset:160
	s_waitcnt lgkmcnt(0)
	v_add_f32_e32 v28, v1, v28
	s_or_b32 exec_lo, exec_lo, s4
	s_and_saveexec_b32 s4, vcc_lo
	s_cbranch_execz .LBB372_4236
.LBB372_4303:
	ds_read_b32 v1, v0 offset:192
	s_waitcnt lgkmcnt(0)
	v_add_f32_e32 v27, v1, v27
	s_or_b32 exec_lo, exec_lo, s4
	s_and_saveexec_b32 s4, vcc_lo
	s_cbranch_execz .LBB372_4237
.LBB372_4304:
	ds_read_b32 v1, v0 offset:224
	s_waitcnt lgkmcnt(0)
	v_add_f32_e32 v26, v1, v26
	s_or_b32 exec_lo, exec_lo, s4
	s_and_saveexec_b32 s4, vcc_lo
	s_cbranch_execz .LBB372_4238
.LBB372_4305:
	ds_read_b32 v1, v0 offset:256
	s_waitcnt lgkmcnt(0)
	v_add_f32_e32 v25, v1, v25
	s_or_b32 exec_lo, exec_lo, s4
	s_and_saveexec_b32 s4, vcc_lo
	s_cbranch_execz .LBB372_4239
.LBB372_4306:
	ds_read_b32 v1, v0 offset:288
	s_waitcnt lgkmcnt(0)
	v_add_f32_e32 v24, v1, v24
	s_or_b32 exec_lo, exec_lo, s4
	s_and_saveexec_b32 s4, vcc_lo
	s_cbranch_execz .LBB372_4240
.LBB372_4307:
	ds_read_b32 v1, v0 offset:320
	s_waitcnt lgkmcnt(0)
	v_add_f32_e32 v23, v1, v23
	s_or_b32 exec_lo, exec_lo, s4
	s_and_saveexec_b32 s4, vcc_lo
	s_cbranch_execz .LBB372_4241
.LBB372_4308:
	ds_read_b32 v1, v0 offset:352
	s_waitcnt lgkmcnt(0)
	v_add_f32_e32 v22, v1, v22
	s_or_b32 exec_lo, exec_lo, s4
	s_and_saveexec_b32 s4, vcc_lo
	s_cbranch_execz .LBB372_4242
.LBB372_4309:
	ds_read_b32 v1, v0 offset:384
	s_waitcnt lgkmcnt(0)
	v_add_f32_e32 v21, v1, v21
	s_or_b32 exec_lo, exec_lo, s4
	s_and_saveexec_b32 s4, vcc_lo
	s_cbranch_execz .LBB372_4243
.LBB372_4310:
	ds_read_b32 v1, v0 offset:416
	s_waitcnt lgkmcnt(0)
	v_add_f32_e32 v20, v1, v20
	s_or_b32 exec_lo, exec_lo, s4
	s_and_saveexec_b32 s4, vcc_lo
	s_cbranch_execz .LBB372_4244
.LBB372_4311:
	ds_read_b32 v1, v0 offset:448
	s_waitcnt lgkmcnt(0)
	v_add_f32_e32 v19, v1, v19
	s_or_b32 exec_lo, exec_lo, s4
	s_and_saveexec_b32 s4, vcc_lo
	s_cbranch_execz .LBB372_4245
.LBB372_4312:
	ds_read_b32 v1, v0 offset:480
	s_waitcnt lgkmcnt(0)
	v_add_f32_e32 v18, v1, v18
	s_or_b32 exec_lo, exec_lo, s4
	s_and_saveexec_b32 s4, vcc_lo
	s_cbranch_execz .LBB372_4246
.LBB372_4313:
	ds_read_b32 v1, v0 offset:512
	s_waitcnt lgkmcnt(0)
	v_add_f32_e32 v17, v1, v17
	s_or_b32 exec_lo, exec_lo, s4
	s_and_saveexec_b32 s4, vcc_lo
	s_cbranch_execz .LBB372_4247
.LBB372_4314:
	ds_read_b32 v1, v0 offset:544
	s_waitcnt lgkmcnt(0)
	v_add_f32_e32 v16, v1, v16
	s_or_b32 exec_lo, exec_lo, s4
	s_and_saveexec_b32 s4, vcc_lo
	s_cbranch_execz .LBB372_4248
.LBB372_4315:
	ds_read_b32 v1, v0 offset:576
	s_waitcnt lgkmcnt(0)
	v_add_f32_e32 v15, v1, v15
	s_or_b32 exec_lo, exec_lo, s4
	s_and_saveexec_b32 s4, vcc_lo
	s_cbranch_execz .LBB372_4249
.LBB372_4316:
	ds_read_b32 v1, v0 offset:608
	s_waitcnt lgkmcnt(0)
	v_add_f32_e32 v14, v1, v14
	s_or_b32 exec_lo, exec_lo, s4
	s_and_saveexec_b32 s4, vcc_lo
	s_cbranch_execz .LBB372_4250
.LBB372_4317:
	ds_read_b32 v1, v0 offset:640
	s_waitcnt lgkmcnt(0)
	v_add_f32_e32 v13, v1, v13
	s_or_b32 exec_lo, exec_lo, s4
	s_and_saveexec_b32 s4, vcc_lo
	s_cbranch_execz .LBB372_4251
.LBB372_4318:
	ds_read_b32 v1, v0 offset:672
	s_waitcnt lgkmcnt(0)
	v_add_f32_e32 v12, v1, v12
	s_or_b32 exec_lo, exec_lo, s4
	s_and_saveexec_b32 s4, vcc_lo
	s_cbranch_execz .LBB372_4252
.LBB372_4319:
	ds_read_b32 v1, v0 offset:704
	s_waitcnt lgkmcnt(0)
	v_add_f32_e32 v11, v1, v11
	s_or_b32 exec_lo, exec_lo, s4
	s_and_saveexec_b32 s4, vcc_lo
	s_cbranch_execz .LBB372_4253
.LBB372_4320:
	ds_read_b32 v1, v0 offset:736
	s_waitcnt lgkmcnt(0)
	v_add_f32_e32 v10, v1, v10
	s_or_b32 exec_lo, exec_lo, s4
	s_and_saveexec_b32 s4, vcc_lo
	s_cbranch_execz .LBB372_4254
.LBB372_4321:
	ds_read_b32 v1, v0 offset:768
	s_waitcnt lgkmcnt(0)
	v_add_f32_e32 v9, v1, v9
	s_or_b32 exec_lo, exec_lo, s4
	s_and_saveexec_b32 s4, vcc_lo
	s_cbranch_execz .LBB372_4255
.LBB372_4322:
	ds_read_b32 v1, v0 offset:800
	s_waitcnt lgkmcnt(0)
	v_add_f32_e32 v8, v1, v8
	s_or_b32 exec_lo, exec_lo, s4
	s_and_saveexec_b32 s4, vcc_lo
	s_cbranch_execz .LBB372_4256
.LBB372_4323:
	ds_read_b32 v1, v0 offset:832
	s_waitcnt lgkmcnt(0)
	v_add_f32_e32 v7, v1, v7
	s_or_b32 exec_lo, exec_lo, s4
	s_and_saveexec_b32 s4, vcc_lo
	s_cbranch_execz .LBB372_4257
.LBB372_4324:
	ds_read_b32 v1, v0 offset:864
	s_waitcnt lgkmcnt(0)
	v_add_f32_e32 v6, v1, v6
	s_or_b32 exec_lo, exec_lo, s4
	s_and_saveexec_b32 s4, vcc_lo
	s_cbranch_execz .LBB372_4258
.LBB372_4325:
	ds_read_b32 v1, v0 offset:896
	s_waitcnt lgkmcnt(0)
	v_add_f32_e32 v5, v1, v5
	s_or_b32 exec_lo, exec_lo, s4
	s_and_saveexec_b32 s4, vcc_lo
	s_cbranch_execz .LBB372_4259
.LBB372_4326:
	ds_read_b32 v1, v0 offset:928
	s_waitcnt lgkmcnt(0)
	v_add_f32_e32 v4, v1, v4
	s_or_b32 exec_lo, exec_lo, s4
	s_and_saveexec_b32 s4, vcc_lo
	s_cbranch_execz .LBB372_4260
.LBB372_4327:
	ds_read_b32 v1, v0 offset:960
	s_waitcnt lgkmcnt(0)
	v_add_f32_e32 v3, v1, v3
	s_or_b32 exec_lo, exec_lo, s4
	s_and_saveexec_b32 s4, vcc_lo
	s_cbranch_execnz .LBB372_4261
	s_branch .LBB372_4262
.Lfunc_end372:
	.size	_ZN4vllm22paged_attention_kernelI14__hip_bfloat16hLi256ELi32ELi128ELNS_18Fp8KVCacheDataTypeE1ELb0ELi0EEEvPfS3_PT_PKS4_PKT0_SA_ifPKiSC_iPKfiiiSE_SE_iiiii, .Lfunc_end372-_ZN4vllm22paged_attention_kernelI14__hip_bfloat16hLi256ELi32ELi128ELNS_18Fp8KVCacheDataTypeE1ELb0ELi0EEEvPfS3_PT_PKS4_PKT0_SA_ifPKiSC_iPKfiiiSE_SE_iiiii
                                        ; -- End function
	.set .L_ZN4vllm22paged_attention_kernelI14__hip_bfloat16hLi256ELi32ELi128ELNS_18Fp8KVCacheDataTypeE1ELb0ELi0EEEvPfS3_PT_PKS4_PKT0_SA_ifPKiSC_iPKfiiiSE_SE_iiiii.num_vgpr, 128
	.set .L_ZN4vllm22paged_attention_kernelI14__hip_bfloat16hLi256ELi32ELi128ELNS_18Fp8KVCacheDataTypeE1ELb0ELi0EEEvPfS3_PT_PKS4_PKT0_SA_ifPKiSC_iPKfiiiSE_SE_iiiii.num_agpr, 0
	.set .L_ZN4vllm22paged_attention_kernelI14__hip_bfloat16hLi256ELi32ELi128ELNS_18Fp8KVCacheDataTypeE1ELb0ELi0EEEvPfS3_PT_PKS4_PKT0_SA_ifPKiSC_iPKfiiiSE_SE_iiiii.numbered_sgpr, 33
	.set .L_ZN4vllm22paged_attention_kernelI14__hip_bfloat16hLi256ELi32ELi128ELNS_18Fp8KVCacheDataTypeE1ELb0ELi0EEEvPfS3_PT_PKS4_PKT0_SA_ifPKiSC_iPKfiiiSE_SE_iiiii.num_named_barrier, 0
	.set .L_ZN4vllm22paged_attention_kernelI14__hip_bfloat16hLi256ELi32ELi128ELNS_18Fp8KVCacheDataTypeE1ELb0ELi0EEEvPfS3_PT_PKS4_PKT0_SA_ifPKiSC_iPKfiiiSE_SE_iiiii.private_seg_size, 2332
	.set .L_ZN4vllm22paged_attention_kernelI14__hip_bfloat16hLi256ELi32ELi128ELNS_18Fp8KVCacheDataTypeE1ELb0ELi0EEEvPfS3_PT_PKS4_PKT0_SA_ifPKiSC_iPKfiiiSE_SE_iiiii.uses_vcc, 1
	.set .L_ZN4vllm22paged_attention_kernelI14__hip_bfloat16hLi256ELi32ELi128ELNS_18Fp8KVCacheDataTypeE1ELb0ELi0EEEvPfS3_PT_PKS4_PKT0_SA_ifPKiSC_iPKfiiiSE_SE_iiiii.uses_flat_scratch, 0
	.set .L_ZN4vllm22paged_attention_kernelI14__hip_bfloat16hLi256ELi32ELi128ELNS_18Fp8KVCacheDataTypeE1ELb0ELi0EEEvPfS3_PT_PKS4_PKT0_SA_ifPKiSC_iPKfiiiSE_SE_iiiii.has_dyn_sized_stack, 0
	.set .L_ZN4vllm22paged_attention_kernelI14__hip_bfloat16hLi256ELi32ELi128ELNS_18Fp8KVCacheDataTypeE1ELb0ELi0EEEvPfS3_PT_PKS4_PKT0_SA_ifPKiSC_iPKfiiiSE_SE_iiiii.has_recursion, 0
	.set .L_ZN4vllm22paged_attention_kernelI14__hip_bfloat16hLi256ELi32ELi128ELNS_18Fp8KVCacheDataTypeE1ELb0ELi0EEEvPfS3_PT_PKS4_PKT0_SA_ifPKiSC_iPKfiiiSE_SE_iiiii.has_indirect_call, 0
	.section	.AMDGPU.csdata,"",@progbits
; Function info:
; codeLenInByte = 180708
; TotalNumSgprs: 35
; NumVgprs: 128
; ScratchSize: 2332
; MemoryBound: 0
	.section	.text._ZN4vllm25paged_attention_v1_kernelI14__hip_bfloat16hLi256ELi32ELi128ELNS_18Fp8KVCacheDataTypeE1ELb0EEEvPT_PKS3_PKT0_S9_ifPKiSB_iPKfiiiSD_SD_iiiii,"axG",@progbits,_ZN4vllm25paged_attention_v1_kernelI14__hip_bfloat16hLi256ELi32ELi128ELNS_18Fp8KVCacheDataTypeE1ELb0EEEvPT_PKS3_PKT0_S9_ifPKiSB_iPKfiiiSD_SD_iiiii,comdat
	.protected	_ZN4vllm25paged_attention_v1_kernelI14__hip_bfloat16hLi256ELi32ELi128ELNS_18Fp8KVCacheDataTypeE1ELb0EEEvPT_PKS3_PKT0_S9_ifPKiSB_iPKfiiiSD_SD_iiiii ; -- Begin function _ZN4vllm25paged_attention_v1_kernelI14__hip_bfloat16hLi256ELi32ELi128ELNS_18Fp8KVCacheDataTypeE1ELb0EEEvPT_PKS3_PKT0_S9_ifPKiSB_iPKfiiiSD_SD_iiiii
	.globl	_ZN4vllm25paged_attention_v1_kernelI14__hip_bfloat16hLi256ELi32ELi128ELNS_18Fp8KVCacheDataTypeE1ELb0EEEvPT_PKS3_PKT0_S9_ifPKiSB_iPKfiiiSD_SD_iiiii
	.p2align	8
	.type	_ZN4vllm25paged_attention_v1_kernelI14__hip_bfloat16hLi256ELi32ELi128ELNS_18Fp8KVCacheDataTypeE1ELb0EEEvPT_PKS3_PKT0_S9_ifPKiSB_iPKfiiiSD_SD_iiiii,@function
_ZN4vllm25paged_attention_v1_kernelI14__hip_bfloat16hLi256ELi32ELi128ELNS_18Fp8KVCacheDataTypeE1ELb0EEEvPT_PKS3_PKT0_S9_ifPKiSB_iPKfiiiSD_SD_iiiii: ; @_ZN4vllm25paged_attention_v1_kernelI14__hip_bfloat16hLi256ELi32ELi128ELNS_18Fp8KVCacheDataTypeE1ELb0EEEvPT_PKS3_PKT0_S9_ifPKiSB_iPKfiiiSD_SD_iiiii
; %bb.0:
	s_clause 0x5
	s_load_dwordx8 s[16:23], s[4:5], 0x0
	s_load_dwordx4 s[36:39], s[4:5], 0x20
	s_load_dwordx2 s[10:11], s[4:5], 0x30
	s_load_dword s13, s[4:5], 0x38
	s_load_dwordx2 s[34:35], s[4:5], 0x40
	s_load_dwordx8 s[24:31], s[4:5], 0x48
	s_add_u32 s0, s0, s9
	s_addc_u32 s1, s1, 0
	v_mov_b32_e32 v31, v0
	s_mov_b32 s14, s8
	s_add_u32 s8, s4, 0x80
	s_addc_u32 s9, s5, 0
	s_getpc_b64 s[4:5]
	s_add_u32 s4, s4, _ZN4vllm22paged_attention_kernelI14__hip_bfloat16hLi256ELi32ELi128ELNS_18Fp8KVCacheDataTypeE1ELb0ELi0EEEvPfS3_PT_PKS4_PKT0_SA_ifPKiSC_iPKfiiiSE_SE_iiiii@rel32@lo+4
	s_addc_u32 s5, s5, _ZN4vllm22paged_attention_kernelI14__hip_bfloat16hLi256ELi32ELi128ELNS_18Fp8KVCacheDataTypeE1ELb0ELi0EEEvPfS3_PT_PKS4_PKT0_SA_ifPKiSC_iPKfiiiSE_SE_iiiii@rel32@hi+12
	s_mov_b32 s12, s6
	s_mov_b32 s15, 12
	;; [unrolled: 1-line block ×3, first 2 shown]
	s_waitcnt lgkmcnt(0)
	v_mov_b32_e32 v0, s16
	v_mov_b32_e32 v1, s17
	v_mov_b32_e32 v2, s18
	v_mov_b32_e32 v3, s19
	v_mov_b32_e32 v4, s20
	v_mov_b32_e32 v5, s21
	v_mov_b32_e32 v6, s22
	v_mov_b32_e32 v7, s23
	v_mov_b32_e32 v8, s36
	v_mov_b32_e32 v9, s37
	v_mov_b32_e32 v10, s38
	v_mov_b32_e32 v11, s39
	v_mov_b32_e32 v12, s10
	v_mov_b32_e32 v13, s11
	v_mov_b32_e32 v14, s13
	v_mov_b32_e32 v15, s34
	v_mov_b32_e32 v16, s35
	v_mov_b32_e32 v17, s24
	v_mov_b32_e32 v18, s25
	v_mov_b32_e32 v19, s26
	v_mov_b32_e32 v20, s28
	v_mov_b32_e32 v21, s29
	v_mov_b32_e32 v22, s30
	v_mov_b32_e32 v23, s31
	s_mov_b32 s13, s7
	s_swappc_b64 s[30:31], s[4:5]
	s_endpgm
	.section	.rodata,"a",@progbits
	.p2align	6, 0x0
	.amdhsa_kernel _ZN4vllm25paged_attention_v1_kernelI14__hip_bfloat16hLi256ELi32ELi128ELNS_18Fp8KVCacheDataTypeE1ELb0EEEvPT_PKS3_PKT0_S9_ifPKiSB_iPKfiiiSD_SD_iiiii
		.amdhsa_group_segment_fixed_size 544
		.amdhsa_private_segment_fixed_size 2332
		.amdhsa_kernarg_size 384
		.amdhsa_user_sgpr_count 6
		.amdhsa_user_sgpr_private_segment_buffer 1
		.amdhsa_user_sgpr_dispatch_ptr 0
		.amdhsa_user_sgpr_queue_ptr 0
		.amdhsa_user_sgpr_kernarg_segment_ptr 1
		.amdhsa_user_sgpr_dispatch_id 0
		.amdhsa_user_sgpr_flat_scratch_init 0
		.amdhsa_user_sgpr_private_segment_size 0
		.amdhsa_wavefront_size32 1
		.amdhsa_uses_dynamic_stack 0
		.amdhsa_system_sgpr_private_segment_wavefront_offset 1
		.amdhsa_system_sgpr_workgroup_id_x 1
		.amdhsa_system_sgpr_workgroup_id_y 1
		.amdhsa_system_sgpr_workgroup_id_z 1
		.amdhsa_system_sgpr_workgroup_info 0
		.amdhsa_system_vgpr_workitem_id 0
		.amdhsa_next_free_vgpr 128
		.amdhsa_next_free_sgpr 40
		.amdhsa_reserve_vcc 1
		.amdhsa_reserve_flat_scratch 0
		.amdhsa_float_round_mode_32 0
		.amdhsa_float_round_mode_16_64 0
		.amdhsa_float_denorm_mode_32 3
		.amdhsa_float_denorm_mode_16_64 3
		.amdhsa_dx10_clamp 1
		.amdhsa_ieee_mode 1
		.amdhsa_fp16_overflow 0
		.amdhsa_workgroup_processor_mode 1
		.amdhsa_memory_ordered 1
		.amdhsa_forward_progress 1
		.amdhsa_shared_vgpr_count 0
		.amdhsa_exception_fp_ieee_invalid_op 0
		.amdhsa_exception_fp_denorm_src 0
		.amdhsa_exception_fp_ieee_div_zero 0
		.amdhsa_exception_fp_ieee_overflow 0
		.amdhsa_exception_fp_ieee_underflow 0
		.amdhsa_exception_fp_ieee_inexact 0
		.amdhsa_exception_int_div_zero 0
	.end_amdhsa_kernel
	.section	.text._ZN4vllm25paged_attention_v1_kernelI14__hip_bfloat16hLi256ELi32ELi128ELNS_18Fp8KVCacheDataTypeE1ELb0EEEvPT_PKS3_PKT0_S9_ifPKiSB_iPKfiiiSD_SD_iiiii,"axG",@progbits,_ZN4vllm25paged_attention_v1_kernelI14__hip_bfloat16hLi256ELi32ELi128ELNS_18Fp8KVCacheDataTypeE1ELb0EEEvPT_PKS3_PKT0_S9_ifPKiSB_iPKfiiiSD_SD_iiiii,comdat
.Lfunc_end373:
	.size	_ZN4vllm25paged_attention_v1_kernelI14__hip_bfloat16hLi256ELi32ELi128ELNS_18Fp8KVCacheDataTypeE1ELb0EEEvPT_PKS3_PKT0_S9_ifPKiSB_iPKfiiiSD_SD_iiiii, .Lfunc_end373-_ZN4vllm25paged_attention_v1_kernelI14__hip_bfloat16hLi256ELi32ELi128ELNS_18Fp8KVCacheDataTypeE1ELb0EEEvPT_PKS3_PKT0_S9_ifPKiSB_iPKfiiiSD_SD_iiiii
                                        ; -- End function
	.set _ZN4vllm25paged_attention_v1_kernelI14__hip_bfloat16hLi256ELi32ELi128ELNS_18Fp8KVCacheDataTypeE1ELb0EEEvPT_PKS3_PKT0_S9_ifPKiSB_iPKfiiiSD_SD_iiiii.num_vgpr, max(32, .L_ZN4vllm22paged_attention_kernelI14__hip_bfloat16hLi256ELi32ELi128ELNS_18Fp8KVCacheDataTypeE1ELb0ELi0EEEvPfS3_PT_PKS4_PKT0_SA_ifPKiSC_iPKfiiiSE_SE_iiiii.num_vgpr)
	.set _ZN4vllm25paged_attention_v1_kernelI14__hip_bfloat16hLi256ELi32ELi128ELNS_18Fp8KVCacheDataTypeE1ELb0EEEvPT_PKS3_PKT0_S9_ifPKiSB_iPKfiiiSD_SD_iiiii.num_agpr, max(0, .L_ZN4vllm22paged_attention_kernelI14__hip_bfloat16hLi256ELi32ELi128ELNS_18Fp8KVCacheDataTypeE1ELb0ELi0EEEvPfS3_PT_PKS4_PKT0_SA_ifPKiSC_iPKfiiiSE_SE_iiiii.num_agpr)
	.set _ZN4vllm25paged_attention_v1_kernelI14__hip_bfloat16hLi256ELi32ELi128ELNS_18Fp8KVCacheDataTypeE1ELb0EEEvPT_PKS3_PKT0_S9_ifPKiSB_iPKfiiiSD_SD_iiiii.numbered_sgpr, max(40, .L_ZN4vllm22paged_attention_kernelI14__hip_bfloat16hLi256ELi32ELi128ELNS_18Fp8KVCacheDataTypeE1ELb0ELi0EEEvPfS3_PT_PKS4_PKT0_SA_ifPKiSC_iPKfiiiSE_SE_iiiii.numbered_sgpr)
	.set _ZN4vllm25paged_attention_v1_kernelI14__hip_bfloat16hLi256ELi32ELi128ELNS_18Fp8KVCacheDataTypeE1ELb0EEEvPT_PKS3_PKT0_S9_ifPKiSB_iPKfiiiSD_SD_iiiii.num_named_barrier, max(0, .L_ZN4vllm22paged_attention_kernelI14__hip_bfloat16hLi256ELi32ELi128ELNS_18Fp8KVCacheDataTypeE1ELb0ELi0EEEvPfS3_PT_PKS4_PKT0_SA_ifPKiSC_iPKfiiiSE_SE_iiiii.num_named_barrier)
	.set _ZN4vllm25paged_attention_v1_kernelI14__hip_bfloat16hLi256ELi32ELi128ELNS_18Fp8KVCacheDataTypeE1ELb0EEEvPT_PKS3_PKT0_S9_ifPKiSB_iPKfiiiSD_SD_iiiii.private_seg_size, 0+max(.L_ZN4vllm22paged_attention_kernelI14__hip_bfloat16hLi256ELi32ELi128ELNS_18Fp8KVCacheDataTypeE1ELb0ELi0EEEvPfS3_PT_PKS4_PKT0_SA_ifPKiSC_iPKfiiiSE_SE_iiiii.private_seg_size)
	.set _ZN4vllm25paged_attention_v1_kernelI14__hip_bfloat16hLi256ELi32ELi128ELNS_18Fp8KVCacheDataTypeE1ELb0EEEvPT_PKS3_PKT0_S9_ifPKiSB_iPKfiiiSD_SD_iiiii.uses_vcc, or(1, .L_ZN4vllm22paged_attention_kernelI14__hip_bfloat16hLi256ELi32ELi128ELNS_18Fp8KVCacheDataTypeE1ELb0ELi0EEEvPfS3_PT_PKS4_PKT0_SA_ifPKiSC_iPKfiiiSE_SE_iiiii.uses_vcc)
	.set _ZN4vllm25paged_attention_v1_kernelI14__hip_bfloat16hLi256ELi32ELi128ELNS_18Fp8KVCacheDataTypeE1ELb0EEEvPT_PKS3_PKT0_S9_ifPKiSB_iPKfiiiSD_SD_iiiii.uses_flat_scratch, or(0, .L_ZN4vllm22paged_attention_kernelI14__hip_bfloat16hLi256ELi32ELi128ELNS_18Fp8KVCacheDataTypeE1ELb0ELi0EEEvPfS3_PT_PKS4_PKT0_SA_ifPKiSC_iPKfiiiSE_SE_iiiii.uses_flat_scratch)
	.set _ZN4vllm25paged_attention_v1_kernelI14__hip_bfloat16hLi256ELi32ELi128ELNS_18Fp8KVCacheDataTypeE1ELb0EEEvPT_PKS3_PKT0_S9_ifPKiSB_iPKfiiiSD_SD_iiiii.has_dyn_sized_stack, or(0, .L_ZN4vllm22paged_attention_kernelI14__hip_bfloat16hLi256ELi32ELi128ELNS_18Fp8KVCacheDataTypeE1ELb0ELi0EEEvPfS3_PT_PKS4_PKT0_SA_ifPKiSC_iPKfiiiSE_SE_iiiii.has_dyn_sized_stack)
	.set _ZN4vllm25paged_attention_v1_kernelI14__hip_bfloat16hLi256ELi32ELi128ELNS_18Fp8KVCacheDataTypeE1ELb0EEEvPT_PKS3_PKT0_S9_ifPKiSB_iPKfiiiSD_SD_iiiii.has_recursion, or(0, .L_ZN4vllm22paged_attention_kernelI14__hip_bfloat16hLi256ELi32ELi128ELNS_18Fp8KVCacheDataTypeE1ELb0ELi0EEEvPfS3_PT_PKS4_PKT0_SA_ifPKiSC_iPKfiiiSE_SE_iiiii.has_recursion)
	.set _ZN4vllm25paged_attention_v1_kernelI14__hip_bfloat16hLi256ELi32ELi128ELNS_18Fp8KVCacheDataTypeE1ELb0EEEvPT_PKS3_PKT0_S9_ifPKiSB_iPKfiiiSD_SD_iiiii.has_indirect_call, or(0, .L_ZN4vllm22paged_attention_kernelI14__hip_bfloat16hLi256ELi32ELi128ELNS_18Fp8KVCacheDataTypeE1ELb0ELi0EEEvPfS3_PT_PKS4_PKT0_SA_ifPKiSC_iPKfiiiSE_SE_iiiii.has_indirect_call)
	.section	.AMDGPU.csdata,"",@progbits
; Kernel info:
; codeLenInByte = 224
; TotalNumSgprs: 42
; NumVgprs: 128
; ScratchSize: 2332
; MemoryBound: 0
; FloatMode: 240
; IeeeMode: 1
; LDSByteSize: 544 bytes/workgroup (compile time only)
; SGPRBlocks: 0
; VGPRBlocks: 15
; NumSGPRsForWavesPerEU: 42
; NumVGPRsForWavesPerEU: 128
; Occupancy: 8
; WaveLimiterHint : 1
; COMPUTE_PGM_RSRC2:SCRATCH_EN: 1
; COMPUTE_PGM_RSRC2:USER_SGPR: 6
; COMPUTE_PGM_RSRC2:TRAP_HANDLER: 0
; COMPUTE_PGM_RSRC2:TGID_X_EN: 1
; COMPUTE_PGM_RSRC2:TGID_Y_EN: 1
; COMPUTE_PGM_RSRC2:TGID_Z_EN: 1
; COMPUTE_PGM_RSRC2:TIDIG_COMP_CNT: 0
	.text
	.p2alignl 6, 3214868480
	.fill 48, 4, 3214868480
	.section	.AMDGPU.gpr_maximums,"",@progbits
	.set amdgpu.max_num_vgpr, 128
	.set amdgpu.max_num_agpr, 0
	.set amdgpu.max_num_sgpr, 33
	.text
	.type	__hip_cuid_fd18e89dca4f19c1,@object ; @__hip_cuid_fd18e89dca4f19c1
	.section	.bss,"aw",@nobits
	.globl	__hip_cuid_fd18e89dca4f19c1
__hip_cuid_fd18e89dca4f19c1:
	.byte	0                               ; 0x0
	.size	__hip_cuid_fd18e89dca4f19c1, 1

	.type	llvm.amdgcn.dynlds.offset.table,@object ; @llvm.amdgcn.dynlds.offset.table
	.section	.data.rel.ro,"aw",@progbits
	.p2align	4, 0x0
llvm.amdgcn.dynlds.offset.table:
	.long	256
	.long	256
	;; [unrolled: 1-line block ×50, first 2 shown]
	.size	llvm.amdgcn.dynlds.offset.table, 200

	.ident	"AMD clang version 22.0.0git (https://github.com/RadeonOpenCompute/llvm-project roc-7.2.4 26084 f58b06dce1f9c15707c5f808fd002e18c2accf7e)"
	.section	".note.GNU-stack","",@progbits
	.addrsig
	.addrsig_sym __hip_cuid_fd18e89dca4f19c1
	.amdgpu_metadata
---
amdhsa.kernels:
  - .args:
      - .actual_access:  write_only
        .address_space:  global
        .offset:         0
        .size:           8
        .value_kind:     global_buffer
      - .actual_access:  read_only
        .address_space:  global
        .offset:         8
        .size:           8
        .value_kind:     global_buffer
      - .actual_access:  read_only
        .address_space:  global
        .offset:         16
        .size:           8
        .value_kind:     global_buffer
      - .actual_access:  read_only
        .address_space:  global
        .offset:         24
        .size:           8
        .value_kind:     global_buffer
      - .offset:         32
        .size:           4
        .value_kind:     by_value
      - .offset:         36
        .size:           4
        .value_kind:     by_value
      - .actual_access:  read_only
        .address_space:  global
        .offset:         40
        .size:           8
        .value_kind:     global_buffer
      - .actual_access:  read_only
        .address_space:  global
        .offset:         48
        .size:           8
        .value_kind:     global_buffer
      - .offset:         56
        .size:           4
        .value_kind:     by_value
      - .actual_access:  read_only
        .address_space:  global
        .offset:         64
        .size:           8
        .value_kind:     global_buffer
      - .offset:         72
        .size:           4
        .value_kind:     by_value
      - .offset:         76
        .size:           4
        .value_kind:     by_value
      - .offset:         80
        .size:           4
        .value_kind:     by_value
      - .address_space:  global
        .offset:         88
        .size:           8
        .value_kind:     global_buffer
      - .address_space:  global
        .offset:         96
        .size:           8
        .value_kind:     global_buffer
      - .offset:         104
        .size:           4
        .value_kind:     by_value
      - .offset:         108
        .size:           4
        .value_kind:     by_value
      - .offset:         112
        .size:           4
        .value_kind:     by_value
      - .offset:         116
        .size:           4
        .value_kind:     by_value
      - .offset:         120
        .size:           4
        .value_kind:     by_value
      - .offset:         128
        .size:           4
        .value_kind:     hidden_block_count_x
      - .offset:         132
        .size:           4
        .value_kind:     hidden_block_count_y
      - .offset:         136
        .size:           4
        .value_kind:     hidden_block_count_z
      - .offset:         140
        .size:           2
        .value_kind:     hidden_group_size_x
      - .offset:         142
        .size:           2
        .value_kind:     hidden_group_size_y
      - .offset:         144
        .size:           2
        .value_kind:     hidden_group_size_z
      - .offset:         146
        .size:           2
        .value_kind:     hidden_remainder_x
      - .offset:         148
        .size:           2
        .value_kind:     hidden_remainder_y
      - .offset:         150
        .size:           2
        .value_kind:     hidden_remainder_z
      - .offset:         168
        .size:           8
        .value_kind:     hidden_global_offset_x
      - .offset:         176
        .size:           8
        .value_kind:     hidden_global_offset_y
      - .offset:         184
        .size:           8
        .value_kind:     hidden_global_offset_z
      - .offset:         192
        .size:           2
        .value_kind:     hidden_grid_dims
      - .offset:         248
        .size:           4
        .value_kind:     hidden_dynamic_lds_size
    .group_segment_fixed_size: 160
    .kernarg_segment_align: 8
    .kernarg_segment_size: 384
    .language:       OpenCL C
    .language_version:
      - 2
      - 0
    .max_flat_workgroup_size: 1024
    .name:           _ZN4vllm25paged_attention_v1_kernelIffLi32ELi8ELi128ELNS_18Fp8KVCacheDataTypeE0ELb1EEEvPT_PKS2_PKT0_S8_ifPKiSA_iPKfiiiSC_SC_iiiii
    .private_segment_fixed_size: 0
    .sgpr_count:     40
    .sgpr_spill_count: 0
    .symbol:         _ZN4vllm25paged_attention_v1_kernelIffLi32ELi8ELi128ELNS_18Fp8KVCacheDataTypeE0ELb1EEEvPT_PKS2_PKT0_S8_ifPKiSA_iPKfiiiSC_SC_iiiii.kd
    .uniform_work_group_size: 1
    .uses_dynamic_stack: false
    .vgpr_count:     37
    .vgpr_spill_count: 0
    .wavefront_size: 32
    .workgroup_processor_mode: 1
  - .args:
      - .actual_access:  write_only
        .address_space:  global
        .offset:         0
        .size:           8
        .value_kind:     global_buffer
      - .actual_access:  read_only
        .address_space:  global
        .offset:         8
        .size:           8
        .value_kind:     global_buffer
      - .actual_access:  read_only
        .address_space:  global
        .offset:         16
        .size:           8
        .value_kind:     global_buffer
      - .actual_access:  read_only
        .address_space:  global
        .offset:         24
        .size:           8
        .value_kind:     global_buffer
      - .offset:         32
        .size:           4
        .value_kind:     by_value
      - .offset:         36
        .size:           4
        .value_kind:     by_value
      - .actual_access:  read_only
        .address_space:  global
        .offset:         40
        .size:           8
        .value_kind:     global_buffer
      - .actual_access:  read_only
        .address_space:  global
        .offset:         48
        .size:           8
        .value_kind:     global_buffer
      - .offset:         56
        .size:           4
        .value_kind:     by_value
      - .actual_access:  read_only
        .address_space:  global
        .offset:         64
        .size:           8
        .value_kind:     global_buffer
      - .offset:         72
        .size:           4
        .value_kind:     by_value
      - .offset:         76
        .size:           4
        .value_kind:     by_value
      - .offset:         80
        .size:           4
        .value_kind:     by_value
      - .address_space:  global
        .offset:         88
        .size:           8
        .value_kind:     global_buffer
      - .address_space:  global
        .offset:         96
        .size:           8
        .value_kind:     global_buffer
      - .offset:         104
        .size:           4
        .value_kind:     by_value
      - .offset:         108
        .size:           4
        .value_kind:     by_value
      - .offset:         112
        .size:           4
        .value_kind:     by_value
      - .offset:         116
        .size:           4
        .value_kind:     by_value
      - .offset:         120
        .size:           4
        .value_kind:     by_value
      - .offset:         128
        .size:           4
        .value_kind:     hidden_block_count_x
      - .offset:         132
        .size:           4
        .value_kind:     hidden_block_count_y
      - .offset:         136
        .size:           4
        .value_kind:     hidden_block_count_z
      - .offset:         140
        .size:           2
        .value_kind:     hidden_group_size_x
      - .offset:         142
        .size:           2
        .value_kind:     hidden_group_size_y
      - .offset:         144
        .size:           2
        .value_kind:     hidden_group_size_z
      - .offset:         146
        .size:           2
        .value_kind:     hidden_remainder_x
      - .offset:         148
        .size:           2
        .value_kind:     hidden_remainder_y
      - .offset:         150
        .size:           2
        .value_kind:     hidden_remainder_z
      - .offset:         168
        .size:           8
        .value_kind:     hidden_global_offset_x
      - .offset:         176
        .size:           8
        .value_kind:     hidden_global_offset_y
      - .offset:         184
        .size:           8
        .value_kind:     hidden_global_offset_z
      - .offset:         192
        .size:           2
        .value_kind:     hidden_grid_dims
      - .offset:         248
        .size:           4
        .value_kind:     hidden_dynamic_lds_size
    .group_segment_fixed_size: 288
    .kernarg_segment_align: 8
    .kernarg_segment_size: 384
    .language:       OpenCL C
    .language_version:
      - 2
      - 0
    .max_flat_workgroup_size: 1024
    .name:           _ZN4vllm25paged_attention_v1_kernelIffLi64ELi8ELi128ELNS_18Fp8KVCacheDataTypeE0ELb1EEEvPT_PKS2_PKT0_S8_ifPKiSA_iPKfiiiSC_SC_iiiii
    .private_segment_fixed_size: 0
    .sgpr_count:     40
    .sgpr_spill_count: 0
    .symbol:         _ZN4vllm25paged_attention_v1_kernelIffLi64ELi8ELi128ELNS_18Fp8KVCacheDataTypeE0ELb1EEEvPT_PKS2_PKT0_S8_ifPKiSA_iPKfiiiSC_SC_iiiii.kd
    .uniform_work_group_size: 1
    .uses_dynamic_stack: false
    .vgpr_count:     45
    .vgpr_spill_count: 0
    .wavefront_size: 32
    .workgroup_processor_mode: 1
  - .args:
      - .actual_access:  write_only
        .address_space:  global
        .offset:         0
        .size:           8
        .value_kind:     global_buffer
      - .actual_access:  read_only
        .address_space:  global
        .offset:         8
        .size:           8
        .value_kind:     global_buffer
      - .actual_access:  read_only
        .address_space:  global
        .offset:         16
        .size:           8
        .value_kind:     global_buffer
      - .actual_access:  read_only
        .address_space:  global
        .offset:         24
        .size:           8
        .value_kind:     global_buffer
      - .offset:         32
        .size:           4
        .value_kind:     by_value
      - .offset:         36
        .size:           4
        .value_kind:     by_value
      - .actual_access:  read_only
        .address_space:  global
        .offset:         40
        .size:           8
        .value_kind:     global_buffer
      - .actual_access:  read_only
        .address_space:  global
        .offset:         48
        .size:           8
        .value_kind:     global_buffer
      - .offset:         56
        .size:           4
        .value_kind:     by_value
      - .actual_access:  read_only
        .address_space:  global
        .offset:         64
        .size:           8
        .value_kind:     global_buffer
      - .offset:         72
        .size:           4
        .value_kind:     by_value
      - .offset:         76
        .size:           4
        .value_kind:     by_value
      - .offset:         80
        .size:           4
        .value_kind:     by_value
      - .address_space:  global
        .offset:         88
        .size:           8
        .value_kind:     global_buffer
      - .address_space:  global
        .offset:         96
        .size:           8
        .value_kind:     global_buffer
      - .offset:         104
        .size:           4
        .value_kind:     by_value
      - .offset:         108
        .size:           4
        .value_kind:     by_value
      - .offset:         112
        .size:           4
        .value_kind:     by_value
      - .offset:         116
        .size:           4
        .value_kind:     by_value
      - .offset:         120
        .size:           4
        .value_kind:     by_value
      - .offset:         128
        .size:           4
        .value_kind:     hidden_block_count_x
      - .offset:         132
        .size:           4
        .value_kind:     hidden_block_count_y
      - .offset:         136
        .size:           4
        .value_kind:     hidden_block_count_z
      - .offset:         140
        .size:           2
        .value_kind:     hidden_group_size_x
      - .offset:         142
        .size:           2
        .value_kind:     hidden_group_size_y
      - .offset:         144
        .size:           2
        .value_kind:     hidden_group_size_z
      - .offset:         146
        .size:           2
        .value_kind:     hidden_remainder_x
      - .offset:         148
        .size:           2
        .value_kind:     hidden_remainder_y
      - .offset:         150
        .size:           2
        .value_kind:     hidden_remainder_z
      - .offset:         168
        .size:           8
        .value_kind:     hidden_global_offset_x
      - .offset:         176
        .size:           8
        .value_kind:     hidden_global_offset_y
      - .offset:         184
        .size:           8
        .value_kind:     hidden_global_offset_z
      - .offset:         192
        .size:           2
        .value_kind:     hidden_grid_dims
      - .offset:         248
        .size:           4
        .value_kind:     hidden_dynamic_lds_size
    .group_segment_fixed_size: 352
    .kernarg_segment_align: 8
    .kernarg_segment_size: 384
    .language:       OpenCL C
    .language_version:
      - 2
      - 0
    .max_flat_workgroup_size: 1024
    .name:           _ZN4vllm25paged_attention_v1_kernelIffLi80ELi8ELi128ELNS_18Fp8KVCacheDataTypeE0ELb1EEEvPT_PKS2_PKT0_S8_ifPKiSA_iPKfiiiSC_SC_iiiii
    .private_segment_fixed_size: 0
    .sgpr_count:     40
    .sgpr_spill_count: 0
    .symbol:         _ZN4vllm25paged_attention_v1_kernelIffLi80ELi8ELi128ELNS_18Fp8KVCacheDataTypeE0ELb1EEEvPT_PKS2_PKT0_S8_ifPKiSA_iPKfiiiSC_SC_iiiii.kd
    .uniform_work_group_size: 1
    .uses_dynamic_stack: false
    .vgpr_count:     49
    .vgpr_spill_count: 0
    .wavefront_size: 32
    .workgroup_processor_mode: 1
  - .args:
      - .actual_access:  write_only
        .address_space:  global
        .offset:         0
        .size:           8
        .value_kind:     global_buffer
      - .actual_access:  read_only
        .address_space:  global
        .offset:         8
        .size:           8
        .value_kind:     global_buffer
      - .actual_access:  read_only
        .address_space:  global
        .offset:         16
        .size:           8
        .value_kind:     global_buffer
      - .actual_access:  read_only
        .address_space:  global
        .offset:         24
        .size:           8
        .value_kind:     global_buffer
      - .offset:         32
        .size:           4
        .value_kind:     by_value
      - .offset:         36
        .size:           4
        .value_kind:     by_value
      - .actual_access:  read_only
        .address_space:  global
        .offset:         40
        .size:           8
        .value_kind:     global_buffer
      - .actual_access:  read_only
        .address_space:  global
        .offset:         48
        .size:           8
        .value_kind:     global_buffer
      - .offset:         56
        .size:           4
        .value_kind:     by_value
      - .actual_access:  read_only
        .address_space:  global
        .offset:         64
        .size:           8
        .value_kind:     global_buffer
      - .offset:         72
        .size:           4
        .value_kind:     by_value
      - .offset:         76
        .size:           4
        .value_kind:     by_value
      - .offset:         80
        .size:           4
        .value_kind:     by_value
      - .address_space:  global
        .offset:         88
        .size:           8
        .value_kind:     global_buffer
      - .address_space:  global
        .offset:         96
        .size:           8
        .value_kind:     global_buffer
      - .offset:         104
        .size:           4
        .value_kind:     by_value
      - .offset:         108
        .size:           4
        .value_kind:     by_value
      - .offset:         112
        .size:           4
        .value_kind:     by_value
      - .offset:         116
        .size:           4
        .value_kind:     by_value
      - .offset:         120
        .size:           4
        .value_kind:     by_value
      - .offset:         128
        .size:           4
        .value_kind:     hidden_block_count_x
      - .offset:         132
        .size:           4
        .value_kind:     hidden_block_count_y
      - .offset:         136
        .size:           4
        .value_kind:     hidden_block_count_z
      - .offset:         140
        .size:           2
        .value_kind:     hidden_group_size_x
      - .offset:         142
        .size:           2
        .value_kind:     hidden_group_size_y
      - .offset:         144
        .size:           2
        .value_kind:     hidden_group_size_z
      - .offset:         146
        .size:           2
        .value_kind:     hidden_remainder_x
      - .offset:         148
        .size:           2
        .value_kind:     hidden_remainder_y
      - .offset:         150
        .size:           2
        .value_kind:     hidden_remainder_z
      - .offset:         168
        .size:           8
        .value_kind:     hidden_global_offset_x
      - .offset:         176
        .size:           8
        .value_kind:     hidden_global_offset_y
      - .offset:         184
        .size:           8
        .value_kind:     hidden_global_offset_z
      - .offset:         192
        .size:           2
        .value_kind:     hidden_grid_dims
      - .offset:         248
        .size:           4
        .value_kind:     hidden_dynamic_lds_size
    .group_segment_fixed_size: 416
    .kernarg_segment_align: 8
    .kernarg_segment_size: 384
    .language:       OpenCL C
    .language_version:
      - 2
      - 0
    .max_flat_workgroup_size: 1024
    .name:           _ZN4vllm25paged_attention_v1_kernelIffLi96ELi8ELi128ELNS_18Fp8KVCacheDataTypeE0ELb1EEEvPT_PKS2_PKT0_S8_ifPKiSA_iPKfiiiSC_SC_iiiii
    .private_segment_fixed_size: 0
    .sgpr_count:     40
    .sgpr_spill_count: 0
    .symbol:         _ZN4vllm25paged_attention_v1_kernelIffLi96ELi8ELi128ELNS_18Fp8KVCacheDataTypeE0ELb1EEEvPT_PKS2_PKT0_S8_ifPKiSA_iPKfiiiSC_SC_iiiii.kd
    .uniform_work_group_size: 1
    .uses_dynamic_stack: false
    .vgpr_count:     53
    .vgpr_spill_count: 0
    .wavefront_size: 32
    .workgroup_processor_mode: 1
  - .args:
      - .actual_access:  write_only
        .address_space:  global
        .offset:         0
        .size:           8
        .value_kind:     global_buffer
      - .actual_access:  read_only
        .address_space:  global
        .offset:         8
        .size:           8
        .value_kind:     global_buffer
      - .actual_access:  read_only
        .address_space:  global
        .offset:         16
        .size:           8
        .value_kind:     global_buffer
      - .actual_access:  read_only
        .address_space:  global
        .offset:         24
        .size:           8
        .value_kind:     global_buffer
      - .offset:         32
        .size:           4
        .value_kind:     by_value
      - .offset:         36
        .size:           4
        .value_kind:     by_value
      - .actual_access:  read_only
        .address_space:  global
        .offset:         40
        .size:           8
        .value_kind:     global_buffer
      - .actual_access:  read_only
        .address_space:  global
        .offset:         48
        .size:           8
        .value_kind:     global_buffer
      - .offset:         56
        .size:           4
        .value_kind:     by_value
      - .actual_access:  read_only
        .address_space:  global
        .offset:         64
        .size:           8
        .value_kind:     global_buffer
      - .offset:         72
        .size:           4
        .value_kind:     by_value
      - .offset:         76
        .size:           4
        .value_kind:     by_value
      - .offset:         80
        .size:           4
        .value_kind:     by_value
      - .address_space:  global
        .offset:         88
        .size:           8
        .value_kind:     global_buffer
      - .address_space:  global
        .offset:         96
        .size:           8
        .value_kind:     global_buffer
      - .offset:         104
        .size:           4
        .value_kind:     by_value
      - .offset:         108
        .size:           4
        .value_kind:     by_value
      - .offset:         112
        .size:           4
        .value_kind:     by_value
      - .offset:         116
        .size:           4
        .value_kind:     by_value
      - .offset:         120
        .size:           4
        .value_kind:     by_value
      - .offset:         128
        .size:           4
        .value_kind:     hidden_block_count_x
      - .offset:         132
        .size:           4
        .value_kind:     hidden_block_count_y
      - .offset:         136
        .size:           4
        .value_kind:     hidden_block_count_z
      - .offset:         140
        .size:           2
        .value_kind:     hidden_group_size_x
      - .offset:         142
        .size:           2
        .value_kind:     hidden_group_size_y
      - .offset:         144
        .size:           2
        .value_kind:     hidden_group_size_z
      - .offset:         146
        .size:           2
        .value_kind:     hidden_remainder_x
      - .offset:         148
        .size:           2
        .value_kind:     hidden_remainder_y
      - .offset:         150
        .size:           2
        .value_kind:     hidden_remainder_z
      - .offset:         168
        .size:           8
        .value_kind:     hidden_global_offset_x
      - .offset:         176
        .size:           8
        .value_kind:     hidden_global_offset_y
      - .offset:         184
        .size:           8
        .value_kind:     hidden_global_offset_z
      - .offset:         192
        .size:           2
        .value_kind:     hidden_grid_dims
      - .offset:         248
        .size:           4
        .value_kind:     hidden_dynamic_lds_size
    .group_segment_fixed_size: 480
    .kernarg_segment_align: 8
    .kernarg_segment_size: 384
    .language:       OpenCL C
    .language_version:
      - 2
      - 0
    .max_flat_workgroup_size: 1024
    .name:           _ZN4vllm25paged_attention_v1_kernelIffLi112ELi8ELi128ELNS_18Fp8KVCacheDataTypeE0ELb1EEEvPT_PKS2_PKT0_S8_ifPKiSA_iPKfiiiSC_SC_iiiii
    .private_segment_fixed_size: 0
    .sgpr_count:     40
    .sgpr_spill_count: 0
    .symbol:         _ZN4vllm25paged_attention_v1_kernelIffLi112ELi8ELi128ELNS_18Fp8KVCacheDataTypeE0ELb1EEEvPT_PKS2_PKT0_S8_ifPKiSA_iPKfiiiSC_SC_iiiii.kd
    .uniform_work_group_size: 1
    .uses_dynamic_stack: false
    .vgpr_count:     57
    .vgpr_spill_count: 0
    .wavefront_size: 32
    .workgroup_processor_mode: 1
  - .args:
      - .actual_access:  write_only
        .address_space:  global
        .offset:         0
        .size:           8
        .value_kind:     global_buffer
      - .actual_access:  read_only
        .address_space:  global
        .offset:         8
        .size:           8
        .value_kind:     global_buffer
      - .actual_access:  read_only
        .address_space:  global
        .offset:         16
        .size:           8
        .value_kind:     global_buffer
      - .actual_access:  read_only
        .address_space:  global
        .offset:         24
        .size:           8
        .value_kind:     global_buffer
      - .offset:         32
        .size:           4
        .value_kind:     by_value
      - .offset:         36
        .size:           4
        .value_kind:     by_value
      - .actual_access:  read_only
        .address_space:  global
        .offset:         40
        .size:           8
        .value_kind:     global_buffer
      - .actual_access:  read_only
        .address_space:  global
        .offset:         48
        .size:           8
        .value_kind:     global_buffer
      - .offset:         56
        .size:           4
        .value_kind:     by_value
      - .actual_access:  read_only
        .address_space:  global
        .offset:         64
        .size:           8
        .value_kind:     global_buffer
      - .offset:         72
        .size:           4
        .value_kind:     by_value
      - .offset:         76
        .size:           4
        .value_kind:     by_value
      - .offset:         80
        .size:           4
        .value_kind:     by_value
      - .address_space:  global
        .offset:         88
        .size:           8
        .value_kind:     global_buffer
      - .address_space:  global
        .offset:         96
        .size:           8
        .value_kind:     global_buffer
      - .offset:         104
        .size:           4
        .value_kind:     by_value
      - .offset:         108
        .size:           4
        .value_kind:     by_value
      - .offset:         112
        .size:           4
        .value_kind:     by_value
      - .offset:         116
        .size:           4
        .value_kind:     by_value
      - .offset:         120
        .size:           4
        .value_kind:     by_value
      - .offset:         128
        .size:           4
        .value_kind:     hidden_block_count_x
      - .offset:         132
        .size:           4
        .value_kind:     hidden_block_count_y
      - .offset:         136
        .size:           4
        .value_kind:     hidden_block_count_z
      - .offset:         140
        .size:           2
        .value_kind:     hidden_group_size_x
      - .offset:         142
        .size:           2
        .value_kind:     hidden_group_size_y
      - .offset:         144
        .size:           2
        .value_kind:     hidden_group_size_z
      - .offset:         146
        .size:           2
        .value_kind:     hidden_remainder_x
      - .offset:         148
        .size:           2
        .value_kind:     hidden_remainder_y
      - .offset:         150
        .size:           2
        .value_kind:     hidden_remainder_z
      - .offset:         168
        .size:           8
        .value_kind:     hidden_global_offset_x
      - .offset:         176
        .size:           8
        .value_kind:     hidden_global_offset_y
      - .offset:         184
        .size:           8
        .value_kind:     hidden_global_offset_z
      - .offset:         192
        .size:           2
        .value_kind:     hidden_grid_dims
      - .offset:         248
        .size:           4
        .value_kind:     hidden_dynamic_lds_size
    .group_segment_fixed_size: 512
    .kernarg_segment_align: 8
    .kernarg_segment_size: 384
    .language:       OpenCL C
    .language_version:
      - 2
      - 0
    .max_flat_workgroup_size: 1024
    .name:           _ZN4vllm25paged_attention_v1_kernelIffLi120ELi8ELi128ELNS_18Fp8KVCacheDataTypeE0ELb1EEEvPT_PKS2_PKT0_S8_ifPKiSA_iPKfiiiSC_SC_iiiii
    .private_segment_fixed_size: 0
    .sgpr_count:     40
    .sgpr_spill_count: 0
    .symbol:         _ZN4vllm25paged_attention_v1_kernelIffLi120ELi8ELi128ELNS_18Fp8KVCacheDataTypeE0ELb1EEEvPT_PKS2_PKT0_S8_ifPKiSA_iPKfiiiSC_SC_iiiii.kd
    .uniform_work_group_size: 1
    .uses_dynamic_stack: false
    .vgpr_count:     61
    .vgpr_spill_count: 0
    .wavefront_size: 32
    .workgroup_processor_mode: 1
  - .args:
      - .actual_access:  write_only
        .address_space:  global
        .offset:         0
        .size:           8
        .value_kind:     global_buffer
      - .actual_access:  read_only
        .address_space:  global
        .offset:         8
        .size:           8
        .value_kind:     global_buffer
      - .actual_access:  read_only
        .address_space:  global
        .offset:         16
        .size:           8
        .value_kind:     global_buffer
      - .actual_access:  read_only
        .address_space:  global
        .offset:         24
        .size:           8
        .value_kind:     global_buffer
      - .offset:         32
        .size:           4
        .value_kind:     by_value
      - .offset:         36
        .size:           4
        .value_kind:     by_value
      - .actual_access:  read_only
        .address_space:  global
        .offset:         40
        .size:           8
        .value_kind:     global_buffer
      - .actual_access:  read_only
        .address_space:  global
        .offset:         48
        .size:           8
        .value_kind:     global_buffer
      - .offset:         56
        .size:           4
        .value_kind:     by_value
      - .actual_access:  read_only
        .address_space:  global
        .offset:         64
        .size:           8
        .value_kind:     global_buffer
      - .offset:         72
        .size:           4
        .value_kind:     by_value
      - .offset:         76
        .size:           4
        .value_kind:     by_value
      - .offset:         80
        .size:           4
        .value_kind:     by_value
      - .address_space:  global
        .offset:         88
        .size:           8
        .value_kind:     global_buffer
      - .address_space:  global
        .offset:         96
        .size:           8
        .value_kind:     global_buffer
      - .offset:         104
        .size:           4
        .value_kind:     by_value
      - .offset:         108
        .size:           4
        .value_kind:     by_value
      - .offset:         112
        .size:           4
        .value_kind:     by_value
      - .offset:         116
        .size:           4
        .value_kind:     by_value
      - .offset:         120
        .size:           4
        .value_kind:     by_value
      - .offset:         128
        .size:           4
        .value_kind:     hidden_block_count_x
      - .offset:         132
        .size:           4
        .value_kind:     hidden_block_count_y
      - .offset:         136
        .size:           4
        .value_kind:     hidden_block_count_z
      - .offset:         140
        .size:           2
        .value_kind:     hidden_group_size_x
      - .offset:         142
        .size:           2
        .value_kind:     hidden_group_size_y
      - .offset:         144
        .size:           2
        .value_kind:     hidden_group_size_z
      - .offset:         146
        .size:           2
        .value_kind:     hidden_remainder_x
      - .offset:         148
        .size:           2
        .value_kind:     hidden_remainder_y
      - .offset:         150
        .size:           2
        .value_kind:     hidden_remainder_z
      - .offset:         168
        .size:           8
        .value_kind:     hidden_global_offset_x
      - .offset:         176
        .size:           8
        .value_kind:     hidden_global_offset_y
      - .offset:         184
        .size:           8
        .value_kind:     hidden_global_offset_z
      - .offset:         192
        .size:           2
        .value_kind:     hidden_grid_dims
      - .offset:         248
        .size:           4
        .value_kind:     hidden_dynamic_lds_size
    .group_segment_fixed_size: 544
    .kernarg_segment_align: 8
    .kernarg_segment_size: 384
    .language:       OpenCL C
    .language_version:
      - 2
      - 0
    .max_flat_workgroup_size: 1024
    .name:           _ZN4vllm25paged_attention_v1_kernelIffLi128ELi8ELi128ELNS_18Fp8KVCacheDataTypeE0ELb1EEEvPT_PKS2_PKT0_S8_ifPKiSA_iPKfiiiSC_SC_iiiii
    .private_segment_fixed_size: 0
    .sgpr_count:     40
    .sgpr_spill_count: 0
    .symbol:         _ZN4vllm25paged_attention_v1_kernelIffLi128ELi8ELi128ELNS_18Fp8KVCacheDataTypeE0ELb1EEEvPT_PKS2_PKT0_S8_ifPKiSA_iPKfiiiSC_SC_iiiii.kd
    .uniform_work_group_size: 1
    .uses_dynamic_stack: false
    .vgpr_count:     62
    .vgpr_spill_count: 0
    .wavefront_size: 32
    .workgroup_processor_mode: 1
  - .args:
      - .actual_access:  write_only
        .address_space:  global
        .offset:         0
        .size:           8
        .value_kind:     global_buffer
      - .actual_access:  read_only
        .address_space:  global
        .offset:         8
        .size:           8
        .value_kind:     global_buffer
      - .actual_access:  read_only
        .address_space:  global
        .offset:         16
        .size:           8
        .value_kind:     global_buffer
      - .actual_access:  read_only
        .address_space:  global
        .offset:         24
        .size:           8
        .value_kind:     global_buffer
      - .offset:         32
        .size:           4
        .value_kind:     by_value
      - .offset:         36
        .size:           4
        .value_kind:     by_value
      - .actual_access:  read_only
        .address_space:  global
        .offset:         40
        .size:           8
        .value_kind:     global_buffer
      - .actual_access:  read_only
        .address_space:  global
        .offset:         48
        .size:           8
        .value_kind:     global_buffer
      - .offset:         56
        .size:           4
        .value_kind:     by_value
      - .actual_access:  read_only
        .address_space:  global
        .offset:         64
        .size:           8
        .value_kind:     global_buffer
      - .offset:         72
        .size:           4
        .value_kind:     by_value
      - .offset:         76
        .size:           4
        .value_kind:     by_value
      - .offset:         80
        .size:           4
        .value_kind:     by_value
      - .address_space:  global
        .offset:         88
        .size:           8
        .value_kind:     global_buffer
      - .address_space:  global
        .offset:         96
        .size:           8
        .value_kind:     global_buffer
      - .offset:         104
        .size:           4
        .value_kind:     by_value
      - .offset:         108
        .size:           4
        .value_kind:     by_value
      - .offset:         112
        .size:           4
        .value_kind:     by_value
      - .offset:         116
        .size:           4
        .value_kind:     by_value
      - .offset:         120
        .size:           4
        .value_kind:     by_value
      - .offset:         128
        .size:           4
        .value_kind:     hidden_block_count_x
      - .offset:         132
        .size:           4
        .value_kind:     hidden_block_count_y
      - .offset:         136
        .size:           4
        .value_kind:     hidden_block_count_z
      - .offset:         140
        .size:           2
        .value_kind:     hidden_group_size_x
      - .offset:         142
        .size:           2
        .value_kind:     hidden_group_size_y
      - .offset:         144
        .size:           2
        .value_kind:     hidden_group_size_z
      - .offset:         146
        .size:           2
        .value_kind:     hidden_remainder_x
      - .offset:         148
        .size:           2
        .value_kind:     hidden_remainder_y
      - .offset:         150
        .size:           2
        .value_kind:     hidden_remainder_z
      - .offset:         168
        .size:           8
        .value_kind:     hidden_global_offset_x
      - .offset:         176
        .size:           8
        .value_kind:     hidden_global_offset_y
      - .offset:         184
        .size:           8
        .value_kind:     hidden_global_offset_z
      - .offset:         192
        .size:           2
        .value_kind:     hidden_grid_dims
      - .offset:         248
        .size:           4
        .value_kind:     hidden_dynamic_lds_size
    .group_segment_fixed_size: 800
    .kernarg_segment_align: 8
    .kernarg_segment_size: 384
    .language:       OpenCL C
    .language_version:
      - 2
      - 0
    .max_flat_workgroup_size: 1024
    .name:           _ZN4vllm25paged_attention_v1_kernelIffLi192ELi8ELi128ELNS_18Fp8KVCacheDataTypeE0ELb1EEEvPT_PKS2_PKT0_S8_ifPKiSA_iPKfiiiSC_SC_iiiii
    .private_segment_fixed_size: 0
    .sgpr_count:     40
    .sgpr_spill_count: 0
    .symbol:         _ZN4vllm25paged_attention_v1_kernelIffLi192ELi8ELi128ELNS_18Fp8KVCacheDataTypeE0ELb1EEEvPT_PKS2_PKT0_S8_ifPKiSA_iPKfiiiSC_SC_iiiii.kd
    .uniform_work_group_size: 1
    .uses_dynamic_stack: false
    .vgpr_count:     82
    .vgpr_spill_count: 0
    .wavefront_size: 32
    .workgroup_processor_mode: 1
  - .args:
      - .actual_access:  write_only
        .address_space:  global
        .offset:         0
        .size:           8
        .value_kind:     global_buffer
      - .actual_access:  read_only
        .address_space:  global
        .offset:         8
        .size:           8
        .value_kind:     global_buffer
      - .actual_access:  read_only
        .address_space:  global
        .offset:         16
        .size:           8
        .value_kind:     global_buffer
      - .actual_access:  read_only
        .address_space:  global
        .offset:         24
        .size:           8
        .value_kind:     global_buffer
      - .offset:         32
        .size:           4
        .value_kind:     by_value
      - .offset:         36
        .size:           4
        .value_kind:     by_value
      - .actual_access:  read_only
        .address_space:  global
        .offset:         40
        .size:           8
        .value_kind:     global_buffer
      - .actual_access:  read_only
        .address_space:  global
        .offset:         48
        .size:           8
        .value_kind:     global_buffer
      - .offset:         56
        .size:           4
        .value_kind:     by_value
      - .actual_access:  read_only
        .address_space:  global
        .offset:         64
        .size:           8
        .value_kind:     global_buffer
      - .offset:         72
        .size:           4
        .value_kind:     by_value
      - .offset:         76
        .size:           4
        .value_kind:     by_value
      - .offset:         80
        .size:           4
        .value_kind:     by_value
      - .address_space:  global
        .offset:         88
        .size:           8
        .value_kind:     global_buffer
      - .address_space:  global
        .offset:         96
        .size:           8
        .value_kind:     global_buffer
      - .offset:         104
        .size:           4
        .value_kind:     by_value
      - .offset:         108
        .size:           4
        .value_kind:     by_value
      - .offset:         112
        .size:           4
        .value_kind:     by_value
      - .offset:         116
        .size:           4
        .value_kind:     by_value
      - .offset:         120
        .size:           4
        .value_kind:     by_value
      - .offset:         128
        .size:           4
        .value_kind:     hidden_block_count_x
      - .offset:         132
        .size:           4
        .value_kind:     hidden_block_count_y
      - .offset:         136
        .size:           4
        .value_kind:     hidden_block_count_z
      - .offset:         140
        .size:           2
        .value_kind:     hidden_group_size_x
      - .offset:         142
        .size:           2
        .value_kind:     hidden_group_size_y
      - .offset:         144
        .size:           2
        .value_kind:     hidden_group_size_z
      - .offset:         146
        .size:           2
        .value_kind:     hidden_remainder_x
      - .offset:         148
        .size:           2
        .value_kind:     hidden_remainder_y
      - .offset:         150
        .size:           2
        .value_kind:     hidden_remainder_z
      - .offset:         168
        .size:           8
        .value_kind:     hidden_global_offset_x
      - .offset:         176
        .size:           8
        .value_kind:     hidden_global_offset_y
      - .offset:         184
        .size:           8
        .value_kind:     hidden_global_offset_z
      - .offset:         192
        .size:           2
        .value_kind:     hidden_grid_dims
      - .offset:         248
        .size:           4
        .value_kind:     hidden_dynamic_lds_size
    .group_segment_fixed_size: 1056
    .kernarg_segment_align: 8
    .kernarg_segment_size: 384
    .language:       OpenCL C
    .language_version:
      - 2
      - 0
    .max_flat_workgroup_size: 1024
    .name:           _ZN4vllm25paged_attention_v1_kernelIffLi256ELi8ELi128ELNS_18Fp8KVCacheDataTypeE0ELb1EEEvPT_PKS2_PKT0_S8_ifPKiSA_iPKfiiiSC_SC_iiiii
    .private_segment_fixed_size: 0
    .sgpr_count:     40
    .sgpr_spill_count: 0
    .symbol:         _ZN4vllm25paged_attention_v1_kernelIffLi256ELi8ELi128ELNS_18Fp8KVCacheDataTypeE0ELb1EEEvPT_PKS2_PKT0_S8_ifPKiSA_iPKfiiiSC_SC_iiiii.kd
    .uniform_work_group_size: 1
    .uses_dynamic_stack: false
    .vgpr_count:     102
    .vgpr_spill_count: 0
    .wavefront_size: 32
    .workgroup_processor_mode: 1
  - .args:
      - .actual_access:  write_only
        .address_space:  global
        .offset:         0
        .size:           8
        .value_kind:     global_buffer
      - .actual_access:  read_only
        .address_space:  global
        .offset:         8
        .size:           8
        .value_kind:     global_buffer
      - .actual_access:  read_only
        .address_space:  global
        .offset:         16
        .size:           8
        .value_kind:     global_buffer
      - .actual_access:  read_only
        .address_space:  global
        .offset:         24
        .size:           8
        .value_kind:     global_buffer
      - .offset:         32
        .size:           4
        .value_kind:     by_value
      - .offset:         36
        .size:           4
        .value_kind:     by_value
      - .actual_access:  read_only
        .address_space:  global
        .offset:         40
        .size:           8
        .value_kind:     global_buffer
      - .actual_access:  read_only
        .address_space:  global
        .offset:         48
        .size:           8
        .value_kind:     global_buffer
      - .offset:         56
        .size:           4
        .value_kind:     by_value
      - .actual_access:  read_only
        .address_space:  global
        .offset:         64
        .size:           8
        .value_kind:     global_buffer
      - .offset:         72
        .size:           4
        .value_kind:     by_value
      - .offset:         76
        .size:           4
        .value_kind:     by_value
      - .offset:         80
        .size:           4
        .value_kind:     by_value
      - .address_space:  global
        .offset:         88
        .size:           8
        .value_kind:     global_buffer
      - .address_space:  global
        .offset:         96
        .size:           8
        .value_kind:     global_buffer
      - .offset:         104
        .size:           4
        .value_kind:     by_value
      - .offset:         108
        .size:           4
        .value_kind:     by_value
      - .offset:         112
        .size:           4
        .value_kind:     by_value
      - .offset:         116
        .size:           4
        .value_kind:     by_value
      - .offset:         120
        .size:           4
        .value_kind:     by_value
      - .offset:         128
        .size:           4
        .value_kind:     hidden_block_count_x
      - .offset:         132
        .size:           4
        .value_kind:     hidden_block_count_y
      - .offset:         136
        .size:           4
        .value_kind:     hidden_block_count_z
      - .offset:         140
        .size:           2
        .value_kind:     hidden_group_size_x
      - .offset:         142
        .size:           2
        .value_kind:     hidden_group_size_y
      - .offset:         144
        .size:           2
        .value_kind:     hidden_group_size_z
      - .offset:         146
        .size:           2
        .value_kind:     hidden_remainder_x
      - .offset:         148
        .size:           2
        .value_kind:     hidden_remainder_y
      - .offset:         150
        .size:           2
        .value_kind:     hidden_remainder_z
      - .offset:         168
        .size:           8
        .value_kind:     hidden_global_offset_x
      - .offset:         176
        .size:           8
        .value_kind:     hidden_global_offset_y
      - .offset:         184
        .size:           8
        .value_kind:     hidden_global_offset_z
      - .offset:         192
        .size:           2
        .value_kind:     hidden_grid_dims
      - .offset:         248
        .size:           4
        .value_kind:     hidden_dynamic_lds_size
    .group_segment_fixed_size: 160
    .kernarg_segment_align: 8
    .kernarg_segment_size: 384
    .language:       OpenCL C
    .language_version:
      - 2
      - 0
    .max_flat_workgroup_size: 1024
    .name:           _ZN4vllm25paged_attention_v1_kernelIffLi32ELi8ELi128ELNS_18Fp8KVCacheDataTypeE0ELb0EEEvPT_PKS2_PKT0_S8_ifPKiSA_iPKfiiiSC_SC_iiiii
    .private_segment_fixed_size: 0
    .sgpr_count:     32
    .sgpr_spill_count: 0
    .symbol:         _ZN4vllm25paged_attention_v1_kernelIffLi32ELi8ELi128ELNS_18Fp8KVCacheDataTypeE0ELb0EEEvPT_PKS2_PKT0_S8_ifPKiSA_iPKfiiiSC_SC_iiiii.kd
    .uniform_work_group_size: 1
    .uses_dynamic_stack: false
    .vgpr_count:     34
    .vgpr_spill_count: 0
    .wavefront_size: 32
    .workgroup_processor_mode: 1
  - .args:
      - .actual_access:  write_only
        .address_space:  global
        .offset:         0
        .size:           8
        .value_kind:     global_buffer
      - .actual_access:  read_only
        .address_space:  global
        .offset:         8
        .size:           8
        .value_kind:     global_buffer
      - .actual_access:  read_only
        .address_space:  global
        .offset:         16
        .size:           8
        .value_kind:     global_buffer
      - .actual_access:  read_only
        .address_space:  global
        .offset:         24
        .size:           8
        .value_kind:     global_buffer
      - .offset:         32
        .size:           4
        .value_kind:     by_value
      - .offset:         36
        .size:           4
        .value_kind:     by_value
      - .actual_access:  read_only
        .address_space:  global
        .offset:         40
        .size:           8
        .value_kind:     global_buffer
      - .actual_access:  read_only
        .address_space:  global
        .offset:         48
        .size:           8
        .value_kind:     global_buffer
      - .offset:         56
        .size:           4
        .value_kind:     by_value
      - .actual_access:  read_only
        .address_space:  global
        .offset:         64
        .size:           8
        .value_kind:     global_buffer
      - .offset:         72
        .size:           4
        .value_kind:     by_value
      - .offset:         76
        .size:           4
        .value_kind:     by_value
      - .offset:         80
        .size:           4
        .value_kind:     by_value
      - .address_space:  global
        .offset:         88
        .size:           8
        .value_kind:     global_buffer
      - .address_space:  global
        .offset:         96
        .size:           8
        .value_kind:     global_buffer
      - .offset:         104
        .size:           4
        .value_kind:     by_value
      - .offset:         108
        .size:           4
        .value_kind:     by_value
      - .offset:         112
        .size:           4
        .value_kind:     by_value
      - .offset:         116
        .size:           4
        .value_kind:     by_value
      - .offset:         120
        .size:           4
        .value_kind:     by_value
      - .offset:         128
        .size:           4
        .value_kind:     hidden_block_count_x
      - .offset:         132
        .size:           4
        .value_kind:     hidden_block_count_y
      - .offset:         136
        .size:           4
        .value_kind:     hidden_block_count_z
      - .offset:         140
        .size:           2
        .value_kind:     hidden_group_size_x
      - .offset:         142
        .size:           2
        .value_kind:     hidden_group_size_y
      - .offset:         144
        .size:           2
        .value_kind:     hidden_group_size_z
      - .offset:         146
        .size:           2
        .value_kind:     hidden_remainder_x
      - .offset:         148
        .size:           2
        .value_kind:     hidden_remainder_y
      - .offset:         150
        .size:           2
        .value_kind:     hidden_remainder_z
      - .offset:         168
        .size:           8
        .value_kind:     hidden_global_offset_x
      - .offset:         176
        .size:           8
        .value_kind:     hidden_global_offset_y
      - .offset:         184
        .size:           8
        .value_kind:     hidden_global_offset_z
      - .offset:         192
        .size:           2
        .value_kind:     hidden_grid_dims
      - .offset:         248
        .size:           4
        .value_kind:     hidden_dynamic_lds_size
    .group_segment_fixed_size: 288
    .kernarg_segment_align: 8
    .kernarg_segment_size: 384
    .language:       OpenCL C
    .language_version:
      - 2
      - 0
    .max_flat_workgroup_size: 1024
    .name:           _ZN4vllm25paged_attention_v1_kernelIffLi64ELi8ELi128ELNS_18Fp8KVCacheDataTypeE0ELb0EEEvPT_PKS2_PKT0_S8_ifPKiSA_iPKfiiiSC_SC_iiiii
    .private_segment_fixed_size: 0
    .sgpr_count:     32
    .sgpr_spill_count: 0
    .symbol:         _ZN4vllm25paged_attention_v1_kernelIffLi64ELi8ELi128ELNS_18Fp8KVCacheDataTypeE0ELb0EEEvPT_PKS2_PKT0_S8_ifPKiSA_iPKfiiiSC_SC_iiiii.kd
    .uniform_work_group_size: 1
    .uses_dynamic_stack: false
    .vgpr_count:     50
    .vgpr_spill_count: 0
    .wavefront_size: 32
    .workgroup_processor_mode: 1
  - .args:
      - .actual_access:  write_only
        .address_space:  global
        .offset:         0
        .size:           8
        .value_kind:     global_buffer
      - .actual_access:  read_only
        .address_space:  global
        .offset:         8
        .size:           8
        .value_kind:     global_buffer
      - .actual_access:  read_only
        .address_space:  global
        .offset:         16
        .size:           8
        .value_kind:     global_buffer
      - .actual_access:  read_only
        .address_space:  global
        .offset:         24
        .size:           8
        .value_kind:     global_buffer
      - .offset:         32
        .size:           4
        .value_kind:     by_value
      - .offset:         36
        .size:           4
        .value_kind:     by_value
      - .actual_access:  read_only
        .address_space:  global
        .offset:         40
        .size:           8
        .value_kind:     global_buffer
      - .actual_access:  read_only
        .address_space:  global
        .offset:         48
        .size:           8
        .value_kind:     global_buffer
      - .offset:         56
        .size:           4
        .value_kind:     by_value
      - .actual_access:  read_only
        .address_space:  global
        .offset:         64
        .size:           8
        .value_kind:     global_buffer
      - .offset:         72
        .size:           4
        .value_kind:     by_value
      - .offset:         76
        .size:           4
        .value_kind:     by_value
      - .offset:         80
        .size:           4
        .value_kind:     by_value
      - .address_space:  global
        .offset:         88
        .size:           8
        .value_kind:     global_buffer
      - .address_space:  global
        .offset:         96
        .size:           8
        .value_kind:     global_buffer
      - .offset:         104
        .size:           4
        .value_kind:     by_value
      - .offset:         108
        .size:           4
        .value_kind:     by_value
      - .offset:         112
        .size:           4
        .value_kind:     by_value
      - .offset:         116
        .size:           4
        .value_kind:     by_value
      - .offset:         120
        .size:           4
        .value_kind:     by_value
      - .offset:         128
        .size:           4
        .value_kind:     hidden_block_count_x
      - .offset:         132
        .size:           4
        .value_kind:     hidden_block_count_y
      - .offset:         136
        .size:           4
        .value_kind:     hidden_block_count_z
      - .offset:         140
        .size:           2
        .value_kind:     hidden_group_size_x
      - .offset:         142
        .size:           2
        .value_kind:     hidden_group_size_y
      - .offset:         144
        .size:           2
        .value_kind:     hidden_group_size_z
      - .offset:         146
        .size:           2
        .value_kind:     hidden_remainder_x
      - .offset:         148
        .size:           2
        .value_kind:     hidden_remainder_y
      - .offset:         150
        .size:           2
        .value_kind:     hidden_remainder_z
      - .offset:         168
        .size:           8
        .value_kind:     hidden_global_offset_x
      - .offset:         176
        .size:           8
        .value_kind:     hidden_global_offset_y
      - .offset:         184
        .size:           8
        .value_kind:     hidden_global_offset_z
      - .offset:         192
        .size:           2
        .value_kind:     hidden_grid_dims
      - .offset:         248
        .size:           4
        .value_kind:     hidden_dynamic_lds_size
    .group_segment_fixed_size: 352
    .kernarg_segment_align: 8
    .kernarg_segment_size: 384
    .language:       OpenCL C
    .language_version:
      - 2
      - 0
    .max_flat_workgroup_size: 1024
    .name:           _ZN4vllm25paged_attention_v1_kernelIffLi80ELi8ELi128ELNS_18Fp8KVCacheDataTypeE0ELb0EEEvPT_PKS2_PKT0_S8_ifPKiSA_iPKfiiiSC_SC_iiiii
    .private_segment_fixed_size: 0
    .sgpr_count:     29
    .sgpr_spill_count: 0
    .symbol:         _ZN4vllm25paged_attention_v1_kernelIffLi80ELi8ELi128ELNS_18Fp8KVCacheDataTypeE0ELb0EEEvPT_PKS2_PKT0_S8_ifPKiSA_iPKfiiiSC_SC_iiiii.kd
    .uniform_work_group_size: 1
    .uses_dynamic_stack: false
    .vgpr_count:     58
    .vgpr_spill_count: 0
    .wavefront_size: 32
    .workgroup_processor_mode: 1
  - .args:
      - .actual_access:  write_only
        .address_space:  global
        .offset:         0
        .size:           8
        .value_kind:     global_buffer
      - .actual_access:  read_only
        .address_space:  global
        .offset:         8
        .size:           8
        .value_kind:     global_buffer
      - .actual_access:  read_only
        .address_space:  global
        .offset:         16
        .size:           8
        .value_kind:     global_buffer
      - .actual_access:  read_only
        .address_space:  global
        .offset:         24
        .size:           8
        .value_kind:     global_buffer
      - .offset:         32
        .size:           4
        .value_kind:     by_value
      - .offset:         36
        .size:           4
        .value_kind:     by_value
      - .actual_access:  read_only
        .address_space:  global
        .offset:         40
        .size:           8
        .value_kind:     global_buffer
      - .actual_access:  read_only
        .address_space:  global
        .offset:         48
        .size:           8
        .value_kind:     global_buffer
      - .offset:         56
        .size:           4
        .value_kind:     by_value
      - .actual_access:  read_only
        .address_space:  global
        .offset:         64
        .size:           8
        .value_kind:     global_buffer
      - .offset:         72
        .size:           4
        .value_kind:     by_value
      - .offset:         76
        .size:           4
        .value_kind:     by_value
      - .offset:         80
        .size:           4
        .value_kind:     by_value
      - .address_space:  global
        .offset:         88
        .size:           8
        .value_kind:     global_buffer
      - .address_space:  global
        .offset:         96
        .size:           8
        .value_kind:     global_buffer
      - .offset:         104
        .size:           4
        .value_kind:     by_value
      - .offset:         108
        .size:           4
        .value_kind:     by_value
      - .offset:         112
        .size:           4
        .value_kind:     by_value
      - .offset:         116
        .size:           4
        .value_kind:     by_value
      - .offset:         120
        .size:           4
        .value_kind:     by_value
      - .offset:         128
        .size:           4
        .value_kind:     hidden_block_count_x
      - .offset:         132
        .size:           4
        .value_kind:     hidden_block_count_y
      - .offset:         136
        .size:           4
        .value_kind:     hidden_block_count_z
      - .offset:         140
        .size:           2
        .value_kind:     hidden_group_size_x
      - .offset:         142
        .size:           2
        .value_kind:     hidden_group_size_y
      - .offset:         144
        .size:           2
        .value_kind:     hidden_group_size_z
      - .offset:         146
        .size:           2
        .value_kind:     hidden_remainder_x
      - .offset:         148
        .size:           2
        .value_kind:     hidden_remainder_y
      - .offset:         150
        .size:           2
        .value_kind:     hidden_remainder_z
      - .offset:         168
        .size:           8
        .value_kind:     hidden_global_offset_x
      - .offset:         176
        .size:           8
        .value_kind:     hidden_global_offset_y
      - .offset:         184
        .size:           8
        .value_kind:     hidden_global_offset_z
      - .offset:         192
        .size:           2
        .value_kind:     hidden_grid_dims
      - .offset:         248
        .size:           4
        .value_kind:     hidden_dynamic_lds_size
    .group_segment_fixed_size: 416
    .kernarg_segment_align: 8
    .kernarg_segment_size: 384
    .language:       OpenCL C
    .language_version:
      - 2
      - 0
    .max_flat_workgroup_size: 1024
    .name:           _ZN4vllm25paged_attention_v1_kernelIffLi96ELi8ELi128ELNS_18Fp8KVCacheDataTypeE0ELb0EEEvPT_PKS2_PKT0_S8_ifPKiSA_iPKfiiiSC_SC_iiiii
    .private_segment_fixed_size: 0
    .sgpr_count:     29
    .sgpr_spill_count: 0
    .symbol:         _ZN4vllm25paged_attention_v1_kernelIffLi96ELi8ELi128ELNS_18Fp8KVCacheDataTypeE0ELb0EEEvPT_PKS2_PKT0_S8_ifPKiSA_iPKfiiiSC_SC_iiiii.kd
    .uniform_work_group_size: 1
    .uses_dynamic_stack: false
    .vgpr_count:     66
    .vgpr_spill_count: 0
    .wavefront_size: 32
    .workgroup_processor_mode: 1
  - .args:
      - .actual_access:  write_only
        .address_space:  global
        .offset:         0
        .size:           8
        .value_kind:     global_buffer
      - .actual_access:  read_only
        .address_space:  global
        .offset:         8
        .size:           8
        .value_kind:     global_buffer
      - .actual_access:  read_only
        .address_space:  global
        .offset:         16
        .size:           8
        .value_kind:     global_buffer
      - .actual_access:  read_only
        .address_space:  global
        .offset:         24
        .size:           8
        .value_kind:     global_buffer
      - .offset:         32
        .size:           4
        .value_kind:     by_value
      - .offset:         36
        .size:           4
        .value_kind:     by_value
      - .actual_access:  read_only
        .address_space:  global
        .offset:         40
        .size:           8
        .value_kind:     global_buffer
      - .actual_access:  read_only
        .address_space:  global
        .offset:         48
        .size:           8
        .value_kind:     global_buffer
      - .offset:         56
        .size:           4
        .value_kind:     by_value
      - .actual_access:  read_only
        .address_space:  global
        .offset:         64
        .size:           8
        .value_kind:     global_buffer
      - .offset:         72
        .size:           4
        .value_kind:     by_value
      - .offset:         76
        .size:           4
        .value_kind:     by_value
      - .offset:         80
        .size:           4
        .value_kind:     by_value
      - .address_space:  global
        .offset:         88
        .size:           8
        .value_kind:     global_buffer
      - .address_space:  global
        .offset:         96
        .size:           8
        .value_kind:     global_buffer
      - .offset:         104
        .size:           4
        .value_kind:     by_value
      - .offset:         108
        .size:           4
        .value_kind:     by_value
      - .offset:         112
        .size:           4
        .value_kind:     by_value
      - .offset:         116
        .size:           4
        .value_kind:     by_value
      - .offset:         120
        .size:           4
        .value_kind:     by_value
      - .offset:         128
        .size:           4
        .value_kind:     hidden_block_count_x
      - .offset:         132
        .size:           4
        .value_kind:     hidden_block_count_y
      - .offset:         136
        .size:           4
        .value_kind:     hidden_block_count_z
      - .offset:         140
        .size:           2
        .value_kind:     hidden_group_size_x
      - .offset:         142
        .size:           2
        .value_kind:     hidden_group_size_y
      - .offset:         144
        .size:           2
        .value_kind:     hidden_group_size_z
      - .offset:         146
        .size:           2
        .value_kind:     hidden_remainder_x
      - .offset:         148
        .size:           2
        .value_kind:     hidden_remainder_y
      - .offset:         150
        .size:           2
        .value_kind:     hidden_remainder_z
      - .offset:         168
        .size:           8
        .value_kind:     hidden_global_offset_x
      - .offset:         176
        .size:           8
        .value_kind:     hidden_global_offset_y
      - .offset:         184
        .size:           8
        .value_kind:     hidden_global_offset_z
      - .offset:         192
        .size:           2
        .value_kind:     hidden_grid_dims
      - .offset:         248
        .size:           4
        .value_kind:     hidden_dynamic_lds_size
    .group_segment_fixed_size: 480
    .kernarg_segment_align: 8
    .kernarg_segment_size: 384
    .language:       OpenCL C
    .language_version:
      - 2
      - 0
    .max_flat_workgroup_size: 1024
    .name:           _ZN4vllm25paged_attention_v1_kernelIffLi112ELi8ELi128ELNS_18Fp8KVCacheDataTypeE0ELb0EEEvPT_PKS2_PKT0_S8_ifPKiSA_iPKfiiiSC_SC_iiiii
    .private_segment_fixed_size: 0
    .sgpr_count:     29
    .sgpr_spill_count: 0
    .symbol:         _ZN4vllm25paged_attention_v1_kernelIffLi112ELi8ELi128ELNS_18Fp8KVCacheDataTypeE0ELb0EEEvPT_PKS2_PKT0_S8_ifPKiSA_iPKfiiiSC_SC_iiiii.kd
    .uniform_work_group_size: 1
    .uses_dynamic_stack: false
    .vgpr_count:     74
    .vgpr_spill_count: 0
    .wavefront_size: 32
    .workgroup_processor_mode: 1
  - .args:
      - .actual_access:  write_only
        .address_space:  global
        .offset:         0
        .size:           8
        .value_kind:     global_buffer
      - .actual_access:  read_only
        .address_space:  global
        .offset:         8
        .size:           8
        .value_kind:     global_buffer
      - .actual_access:  read_only
        .address_space:  global
        .offset:         16
        .size:           8
        .value_kind:     global_buffer
      - .actual_access:  read_only
        .address_space:  global
        .offset:         24
        .size:           8
        .value_kind:     global_buffer
      - .offset:         32
        .size:           4
        .value_kind:     by_value
      - .offset:         36
        .size:           4
        .value_kind:     by_value
      - .actual_access:  read_only
        .address_space:  global
        .offset:         40
        .size:           8
        .value_kind:     global_buffer
      - .actual_access:  read_only
        .address_space:  global
        .offset:         48
        .size:           8
        .value_kind:     global_buffer
      - .offset:         56
        .size:           4
        .value_kind:     by_value
      - .actual_access:  read_only
        .address_space:  global
        .offset:         64
        .size:           8
        .value_kind:     global_buffer
      - .offset:         72
        .size:           4
        .value_kind:     by_value
      - .offset:         76
        .size:           4
        .value_kind:     by_value
      - .offset:         80
        .size:           4
        .value_kind:     by_value
      - .address_space:  global
        .offset:         88
        .size:           8
        .value_kind:     global_buffer
      - .address_space:  global
        .offset:         96
        .size:           8
        .value_kind:     global_buffer
      - .offset:         104
        .size:           4
        .value_kind:     by_value
      - .offset:         108
        .size:           4
        .value_kind:     by_value
      - .offset:         112
        .size:           4
        .value_kind:     by_value
      - .offset:         116
        .size:           4
        .value_kind:     by_value
      - .offset:         120
        .size:           4
        .value_kind:     by_value
      - .offset:         128
        .size:           4
        .value_kind:     hidden_block_count_x
      - .offset:         132
        .size:           4
        .value_kind:     hidden_block_count_y
      - .offset:         136
        .size:           4
        .value_kind:     hidden_block_count_z
      - .offset:         140
        .size:           2
        .value_kind:     hidden_group_size_x
      - .offset:         142
        .size:           2
        .value_kind:     hidden_group_size_y
      - .offset:         144
        .size:           2
        .value_kind:     hidden_group_size_z
      - .offset:         146
        .size:           2
        .value_kind:     hidden_remainder_x
      - .offset:         148
        .size:           2
        .value_kind:     hidden_remainder_y
      - .offset:         150
        .size:           2
        .value_kind:     hidden_remainder_z
      - .offset:         168
        .size:           8
        .value_kind:     hidden_global_offset_x
      - .offset:         176
        .size:           8
        .value_kind:     hidden_global_offset_y
      - .offset:         184
        .size:           8
        .value_kind:     hidden_global_offset_z
      - .offset:         192
        .size:           2
        .value_kind:     hidden_grid_dims
      - .offset:         248
        .size:           4
        .value_kind:     hidden_dynamic_lds_size
    .group_segment_fixed_size: 512
    .kernarg_segment_align: 8
    .kernarg_segment_size: 384
    .language:       OpenCL C
    .language_version:
      - 2
      - 0
    .max_flat_workgroup_size: 1024
    .name:           _ZN4vllm25paged_attention_v1_kernelIffLi120ELi8ELi128ELNS_18Fp8KVCacheDataTypeE0ELb0EEEvPT_PKS2_PKT0_S8_ifPKiSA_iPKfiiiSC_SC_iiiii
    .private_segment_fixed_size: 0
    .sgpr_count:     29
    .sgpr_spill_count: 0
    .symbol:         _ZN4vllm25paged_attention_v1_kernelIffLi120ELi8ELi128ELNS_18Fp8KVCacheDataTypeE0ELb0EEEvPT_PKS2_PKT0_S8_ifPKiSA_iPKfiiiSC_SC_iiiii.kd
    .uniform_work_group_size: 1
    .uses_dynamic_stack: false
    .vgpr_count:     78
    .vgpr_spill_count: 0
    .wavefront_size: 32
    .workgroup_processor_mode: 1
  - .args:
      - .actual_access:  write_only
        .address_space:  global
        .offset:         0
        .size:           8
        .value_kind:     global_buffer
      - .actual_access:  read_only
        .address_space:  global
        .offset:         8
        .size:           8
        .value_kind:     global_buffer
      - .actual_access:  read_only
        .address_space:  global
        .offset:         16
        .size:           8
        .value_kind:     global_buffer
      - .actual_access:  read_only
        .address_space:  global
        .offset:         24
        .size:           8
        .value_kind:     global_buffer
      - .offset:         32
        .size:           4
        .value_kind:     by_value
      - .offset:         36
        .size:           4
        .value_kind:     by_value
      - .actual_access:  read_only
        .address_space:  global
        .offset:         40
        .size:           8
        .value_kind:     global_buffer
      - .actual_access:  read_only
        .address_space:  global
        .offset:         48
        .size:           8
        .value_kind:     global_buffer
      - .offset:         56
        .size:           4
        .value_kind:     by_value
      - .actual_access:  read_only
        .address_space:  global
        .offset:         64
        .size:           8
        .value_kind:     global_buffer
      - .offset:         72
        .size:           4
        .value_kind:     by_value
      - .offset:         76
        .size:           4
        .value_kind:     by_value
      - .offset:         80
        .size:           4
        .value_kind:     by_value
      - .address_space:  global
        .offset:         88
        .size:           8
        .value_kind:     global_buffer
      - .address_space:  global
        .offset:         96
        .size:           8
        .value_kind:     global_buffer
      - .offset:         104
        .size:           4
        .value_kind:     by_value
      - .offset:         108
        .size:           4
        .value_kind:     by_value
      - .offset:         112
        .size:           4
        .value_kind:     by_value
      - .offset:         116
        .size:           4
        .value_kind:     by_value
      - .offset:         120
        .size:           4
        .value_kind:     by_value
      - .offset:         128
        .size:           4
        .value_kind:     hidden_block_count_x
      - .offset:         132
        .size:           4
        .value_kind:     hidden_block_count_y
      - .offset:         136
        .size:           4
        .value_kind:     hidden_block_count_z
      - .offset:         140
        .size:           2
        .value_kind:     hidden_group_size_x
      - .offset:         142
        .size:           2
        .value_kind:     hidden_group_size_y
      - .offset:         144
        .size:           2
        .value_kind:     hidden_group_size_z
      - .offset:         146
        .size:           2
        .value_kind:     hidden_remainder_x
      - .offset:         148
        .size:           2
        .value_kind:     hidden_remainder_y
      - .offset:         150
        .size:           2
        .value_kind:     hidden_remainder_z
      - .offset:         168
        .size:           8
        .value_kind:     hidden_global_offset_x
      - .offset:         176
        .size:           8
        .value_kind:     hidden_global_offset_y
      - .offset:         184
        .size:           8
        .value_kind:     hidden_global_offset_z
      - .offset:         192
        .size:           2
        .value_kind:     hidden_grid_dims
      - .offset:         248
        .size:           4
        .value_kind:     hidden_dynamic_lds_size
    .group_segment_fixed_size: 544
    .kernarg_segment_align: 8
    .kernarg_segment_size: 384
    .language:       OpenCL C
    .language_version:
      - 2
      - 0
    .max_flat_workgroup_size: 1024
    .name:           _ZN4vllm25paged_attention_v1_kernelIffLi128ELi8ELi128ELNS_18Fp8KVCacheDataTypeE0ELb0EEEvPT_PKS2_PKT0_S8_ifPKiSA_iPKfiiiSC_SC_iiiii
    .private_segment_fixed_size: 0
    .sgpr_count:     29
    .sgpr_spill_count: 0
    .symbol:         _ZN4vllm25paged_attention_v1_kernelIffLi128ELi8ELi128ELNS_18Fp8KVCacheDataTypeE0ELb0EEEvPT_PKS2_PKT0_S8_ifPKiSA_iPKfiiiSC_SC_iiiii.kd
    .uniform_work_group_size: 1
    .uses_dynamic_stack: false
    .vgpr_count:     82
    .vgpr_spill_count: 0
    .wavefront_size: 32
    .workgroup_processor_mode: 1
  - .args:
      - .actual_access:  write_only
        .address_space:  global
        .offset:         0
        .size:           8
        .value_kind:     global_buffer
      - .actual_access:  read_only
        .address_space:  global
        .offset:         8
        .size:           8
        .value_kind:     global_buffer
      - .actual_access:  read_only
        .address_space:  global
        .offset:         16
        .size:           8
        .value_kind:     global_buffer
      - .actual_access:  read_only
        .address_space:  global
        .offset:         24
        .size:           8
        .value_kind:     global_buffer
      - .offset:         32
        .size:           4
        .value_kind:     by_value
      - .offset:         36
        .size:           4
        .value_kind:     by_value
      - .actual_access:  read_only
        .address_space:  global
        .offset:         40
        .size:           8
        .value_kind:     global_buffer
      - .actual_access:  read_only
        .address_space:  global
        .offset:         48
        .size:           8
        .value_kind:     global_buffer
      - .offset:         56
        .size:           4
        .value_kind:     by_value
      - .actual_access:  read_only
        .address_space:  global
        .offset:         64
        .size:           8
        .value_kind:     global_buffer
      - .offset:         72
        .size:           4
        .value_kind:     by_value
      - .offset:         76
        .size:           4
        .value_kind:     by_value
      - .offset:         80
        .size:           4
        .value_kind:     by_value
      - .address_space:  global
        .offset:         88
        .size:           8
        .value_kind:     global_buffer
      - .address_space:  global
        .offset:         96
        .size:           8
        .value_kind:     global_buffer
      - .offset:         104
        .size:           4
        .value_kind:     by_value
      - .offset:         108
        .size:           4
        .value_kind:     by_value
      - .offset:         112
        .size:           4
        .value_kind:     by_value
      - .offset:         116
        .size:           4
        .value_kind:     by_value
      - .offset:         120
        .size:           4
        .value_kind:     by_value
      - .offset:         128
        .size:           4
        .value_kind:     hidden_block_count_x
      - .offset:         132
        .size:           4
        .value_kind:     hidden_block_count_y
      - .offset:         136
        .size:           4
        .value_kind:     hidden_block_count_z
      - .offset:         140
        .size:           2
        .value_kind:     hidden_group_size_x
      - .offset:         142
        .size:           2
        .value_kind:     hidden_group_size_y
      - .offset:         144
        .size:           2
        .value_kind:     hidden_group_size_z
      - .offset:         146
        .size:           2
        .value_kind:     hidden_remainder_x
      - .offset:         148
        .size:           2
        .value_kind:     hidden_remainder_y
      - .offset:         150
        .size:           2
        .value_kind:     hidden_remainder_z
      - .offset:         168
        .size:           8
        .value_kind:     hidden_global_offset_x
      - .offset:         176
        .size:           8
        .value_kind:     hidden_global_offset_y
      - .offset:         184
        .size:           8
        .value_kind:     hidden_global_offset_z
      - .offset:         192
        .size:           2
        .value_kind:     hidden_grid_dims
      - .offset:         248
        .size:           4
        .value_kind:     hidden_dynamic_lds_size
    .group_segment_fixed_size: 800
    .kernarg_segment_align: 8
    .kernarg_segment_size: 384
    .language:       OpenCL C
    .language_version:
      - 2
      - 0
    .max_flat_workgroup_size: 1024
    .name:           _ZN4vllm25paged_attention_v1_kernelIffLi192ELi8ELi128ELNS_18Fp8KVCacheDataTypeE0ELb0EEEvPT_PKS2_PKT0_S8_ifPKiSA_iPKfiiiSC_SC_iiiii
    .private_segment_fixed_size: 0
    .sgpr_count:     29
    .sgpr_spill_count: 0
    .symbol:         _ZN4vllm25paged_attention_v1_kernelIffLi192ELi8ELi128ELNS_18Fp8KVCacheDataTypeE0ELb0EEEvPT_PKS2_PKT0_S8_ifPKiSA_iPKfiiiSC_SC_iiiii.kd
    .uniform_work_group_size: 1
    .uses_dynamic_stack: false
    .vgpr_count:     114
    .vgpr_spill_count: 0
    .wavefront_size: 32
    .workgroup_processor_mode: 1
  - .args:
      - .actual_access:  write_only
        .address_space:  global
        .offset:         0
        .size:           8
        .value_kind:     global_buffer
      - .actual_access:  read_only
        .address_space:  global
        .offset:         8
        .size:           8
        .value_kind:     global_buffer
      - .actual_access:  read_only
        .address_space:  global
        .offset:         16
        .size:           8
        .value_kind:     global_buffer
      - .actual_access:  read_only
        .address_space:  global
        .offset:         24
        .size:           8
        .value_kind:     global_buffer
      - .offset:         32
        .size:           4
        .value_kind:     by_value
      - .offset:         36
        .size:           4
        .value_kind:     by_value
      - .actual_access:  read_only
        .address_space:  global
        .offset:         40
        .size:           8
        .value_kind:     global_buffer
      - .actual_access:  read_only
        .address_space:  global
        .offset:         48
        .size:           8
        .value_kind:     global_buffer
      - .offset:         56
        .size:           4
        .value_kind:     by_value
      - .actual_access:  read_only
        .address_space:  global
        .offset:         64
        .size:           8
        .value_kind:     global_buffer
      - .offset:         72
        .size:           4
        .value_kind:     by_value
      - .offset:         76
        .size:           4
        .value_kind:     by_value
      - .offset:         80
        .size:           4
        .value_kind:     by_value
      - .address_space:  global
        .offset:         88
        .size:           8
        .value_kind:     global_buffer
      - .address_space:  global
        .offset:         96
        .size:           8
        .value_kind:     global_buffer
      - .offset:         104
        .size:           4
        .value_kind:     by_value
      - .offset:         108
        .size:           4
        .value_kind:     by_value
      - .offset:         112
        .size:           4
        .value_kind:     by_value
      - .offset:         116
        .size:           4
        .value_kind:     by_value
      - .offset:         120
        .size:           4
        .value_kind:     by_value
      - .offset:         128
        .size:           4
        .value_kind:     hidden_block_count_x
      - .offset:         132
        .size:           4
        .value_kind:     hidden_block_count_y
      - .offset:         136
        .size:           4
        .value_kind:     hidden_block_count_z
      - .offset:         140
        .size:           2
        .value_kind:     hidden_group_size_x
      - .offset:         142
        .size:           2
        .value_kind:     hidden_group_size_y
      - .offset:         144
        .size:           2
        .value_kind:     hidden_group_size_z
      - .offset:         146
        .size:           2
        .value_kind:     hidden_remainder_x
      - .offset:         148
        .size:           2
        .value_kind:     hidden_remainder_y
      - .offset:         150
        .size:           2
        .value_kind:     hidden_remainder_z
      - .offset:         168
        .size:           8
        .value_kind:     hidden_global_offset_x
      - .offset:         176
        .size:           8
        .value_kind:     hidden_global_offset_y
      - .offset:         184
        .size:           8
        .value_kind:     hidden_global_offset_z
      - .offset:         192
        .size:           2
        .value_kind:     hidden_grid_dims
      - .offset:         248
        .size:           4
        .value_kind:     hidden_dynamic_lds_size
    .group_segment_fixed_size: 1056
    .kernarg_segment_align: 8
    .kernarg_segment_size: 384
    .language:       OpenCL C
    .language_version:
      - 2
      - 0
    .max_flat_workgroup_size: 1024
    .name:           _ZN4vllm25paged_attention_v1_kernelIffLi256ELi8ELi128ELNS_18Fp8KVCacheDataTypeE0ELb0EEEvPT_PKS2_PKT0_S8_ifPKiSA_iPKfiiiSC_SC_iiiii
    .private_segment_fixed_size: 68
    .sgpr_count:     34
    .sgpr_spill_count: 0
    .symbol:         _ZN4vllm25paged_attention_v1_kernelIffLi256ELi8ELi128ELNS_18Fp8KVCacheDataTypeE0ELb0EEEvPT_PKS2_PKT0_S8_ifPKiSA_iPKfiiiSC_SC_iiiii.kd
    .uniform_work_group_size: 1
    .uses_dynamic_stack: false
    .vgpr_count:     128
    .vgpr_spill_count: 17
    .wavefront_size: 32
    .workgroup_processor_mode: 1
  - .args:
      - .actual_access:  write_only
        .address_space:  global
        .offset:         0
        .size:           8
        .value_kind:     global_buffer
      - .actual_access:  read_only
        .address_space:  global
        .offset:         8
        .size:           8
        .value_kind:     global_buffer
      - .actual_access:  read_only
        .address_space:  global
        .offset:         16
        .size:           8
        .value_kind:     global_buffer
      - .actual_access:  read_only
        .address_space:  global
        .offset:         24
        .size:           8
        .value_kind:     global_buffer
      - .offset:         32
        .size:           4
        .value_kind:     by_value
      - .offset:         36
        .size:           4
        .value_kind:     by_value
      - .actual_access:  read_only
        .address_space:  global
        .offset:         40
        .size:           8
        .value_kind:     global_buffer
      - .actual_access:  read_only
        .address_space:  global
        .offset:         48
        .size:           8
        .value_kind:     global_buffer
      - .offset:         56
        .size:           4
        .value_kind:     by_value
      - .actual_access:  read_only
        .address_space:  global
        .offset:         64
        .size:           8
        .value_kind:     global_buffer
      - .offset:         72
        .size:           4
        .value_kind:     by_value
      - .offset:         76
        .size:           4
        .value_kind:     by_value
      - .offset:         80
        .size:           4
        .value_kind:     by_value
      - .address_space:  global
        .offset:         88
        .size:           8
        .value_kind:     global_buffer
      - .address_space:  global
        .offset:         96
        .size:           8
        .value_kind:     global_buffer
      - .offset:         104
        .size:           4
        .value_kind:     by_value
      - .offset:         108
        .size:           4
        .value_kind:     by_value
      - .offset:         112
        .size:           4
        .value_kind:     by_value
      - .offset:         116
        .size:           4
        .value_kind:     by_value
      - .offset:         120
        .size:           4
        .value_kind:     by_value
      - .offset:         128
        .size:           4
        .value_kind:     hidden_block_count_x
      - .offset:         132
        .size:           4
        .value_kind:     hidden_block_count_y
      - .offset:         136
        .size:           4
        .value_kind:     hidden_block_count_z
      - .offset:         140
        .size:           2
        .value_kind:     hidden_group_size_x
      - .offset:         142
        .size:           2
        .value_kind:     hidden_group_size_y
      - .offset:         144
        .size:           2
        .value_kind:     hidden_group_size_z
      - .offset:         146
        .size:           2
        .value_kind:     hidden_remainder_x
      - .offset:         148
        .size:           2
        .value_kind:     hidden_remainder_y
      - .offset:         150
        .size:           2
        .value_kind:     hidden_remainder_z
      - .offset:         168
        .size:           8
        .value_kind:     hidden_global_offset_x
      - .offset:         176
        .size:           8
        .value_kind:     hidden_global_offset_y
      - .offset:         184
        .size:           8
        .value_kind:     hidden_global_offset_z
      - .offset:         192
        .size:           2
        .value_kind:     hidden_grid_dims
      - .offset:         248
        .size:           4
        .value_kind:     hidden_dynamic_lds_size
    .group_segment_fixed_size: 160
    .kernarg_segment_align: 8
    .kernarg_segment_size: 384
    .language:       OpenCL C
    .language_version:
      - 2
      - 0
    .max_flat_workgroup_size: 1024
    .name:           _ZN4vllm25paged_attention_v1_kernelIffLi32ELi16ELi128ELNS_18Fp8KVCacheDataTypeE0ELb1EEEvPT_PKS2_PKT0_S8_ifPKiSA_iPKfiiiSC_SC_iiiii
    .private_segment_fixed_size: 0
    .sgpr_count:     40
    .sgpr_spill_count: 0
    .symbol:         _ZN4vllm25paged_attention_v1_kernelIffLi32ELi16ELi128ELNS_18Fp8KVCacheDataTypeE0ELb1EEEvPT_PKS2_PKT0_S8_ifPKiSA_iPKfiiiSC_SC_iiiii.kd
    .uniform_work_group_size: 1
    .uses_dynamic_stack: false
    .vgpr_count:     49
    .vgpr_spill_count: 0
    .wavefront_size: 32
    .workgroup_processor_mode: 1
  - .args:
      - .actual_access:  write_only
        .address_space:  global
        .offset:         0
        .size:           8
        .value_kind:     global_buffer
      - .actual_access:  read_only
        .address_space:  global
        .offset:         8
        .size:           8
        .value_kind:     global_buffer
      - .actual_access:  read_only
        .address_space:  global
        .offset:         16
        .size:           8
        .value_kind:     global_buffer
      - .actual_access:  read_only
        .address_space:  global
        .offset:         24
        .size:           8
        .value_kind:     global_buffer
      - .offset:         32
        .size:           4
        .value_kind:     by_value
      - .offset:         36
        .size:           4
        .value_kind:     by_value
      - .actual_access:  read_only
        .address_space:  global
        .offset:         40
        .size:           8
        .value_kind:     global_buffer
      - .actual_access:  read_only
        .address_space:  global
        .offset:         48
        .size:           8
        .value_kind:     global_buffer
      - .offset:         56
        .size:           4
        .value_kind:     by_value
      - .actual_access:  read_only
        .address_space:  global
        .offset:         64
        .size:           8
        .value_kind:     global_buffer
      - .offset:         72
        .size:           4
        .value_kind:     by_value
      - .offset:         76
        .size:           4
        .value_kind:     by_value
      - .offset:         80
        .size:           4
        .value_kind:     by_value
      - .address_space:  global
        .offset:         88
        .size:           8
        .value_kind:     global_buffer
      - .address_space:  global
        .offset:         96
        .size:           8
        .value_kind:     global_buffer
      - .offset:         104
        .size:           4
        .value_kind:     by_value
      - .offset:         108
        .size:           4
        .value_kind:     by_value
      - .offset:         112
        .size:           4
        .value_kind:     by_value
      - .offset:         116
        .size:           4
        .value_kind:     by_value
      - .offset:         120
        .size:           4
        .value_kind:     by_value
      - .offset:         128
        .size:           4
        .value_kind:     hidden_block_count_x
      - .offset:         132
        .size:           4
        .value_kind:     hidden_block_count_y
      - .offset:         136
        .size:           4
        .value_kind:     hidden_block_count_z
      - .offset:         140
        .size:           2
        .value_kind:     hidden_group_size_x
      - .offset:         142
        .size:           2
        .value_kind:     hidden_group_size_y
      - .offset:         144
        .size:           2
        .value_kind:     hidden_group_size_z
      - .offset:         146
        .size:           2
        .value_kind:     hidden_remainder_x
      - .offset:         148
        .size:           2
        .value_kind:     hidden_remainder_y
      - .offset:         150
        .size:           2
        .value_kind:     hidden_remainder_z
      - .offset:         168
        .size:           8
        .value_kind:     hidden_global_offset_x
      - .offset:         176
        .size:           8
        .value_kind:     hidden_global_offset_y
      - .offset:         184
        .size:           8
        .value_kind:     hidden_global_offset_z
      - .offset:         192
        .size:           2
        .value_kind:     hidden_grid_dims
      - .offset:         248
        .size:           4
        .value_kind:     hidden_dynamic_lds_size
    .group_segment_fixed_size: 288
    .kernarg_segment_align: 8
    .kernarg_segment_size: 384
    .language:       OpenCL C
    .language_version:
      - 2
      - 0
    .max_flat_workgroup_size: 1024
    .name:           _ZN4vllm25paged_attention_v1_kernelIffLi64ELi16ELi128ELNS_18Fp8KVCacheDataTypeE0ELb1EEEvPT_PKS2_PKT0_S8_ifPKiSA_iPKfiiiSC_SC_iiiii
    .private_segment_fixed_size: 0
    .sgpr_count:     40
    .sgpr_spill_count: 0
    .symbol:         _ZN4vllm25paged_attention_v1_kernelIffLi64ELi16ELi128ELNS_18Fp8KVCacheDataTypeE0ELb1EEEvPT_PKS2_PKT0_S8_ifPKiSA_iPKfiiiSC_SC_iiiii.kd
    .uniform_work_group_size: 1
    .uses_dynamic_stack: false
    .vgpr_count:     65
    .vgpr_spill_count: 0
    .wavefront_size: 32
    .workgroup_processor_mode: 1
  - .args:
      - .actual_access:  write_only
        .address_space:  global
        .offset:         0
        .size:           8
        .value_kind:     global_buffer
      - .actual_access:  read_only
        .address_space:  global
        .offset:         8
        .size:           8
        .value_kind:     global_buffer
      - .actual_access:  read_only
        .address_space:  global
        .offset:         16
        .size:           8
        .value_kind:     global_buffer
      - .actual_access:  read_only
        .address_space:  global
        .offset:         24
        .size:           8
        .value_kind:     global_buffer
      - .offset:         32
        .size:           4
        .value_kind:     by_value
      - .offset:         36
        .size:           4
        .value_kind:     by_value
      - .actual_access:  read_only
        .address_space:  global
        .offset:         40
        .size:           8
        .value_kind:     global_buffer
      - .actual_access:  read_only
        .address_space:  global
        .offset:         48
        .size:           8
        .value_kind:     global_buffer
      - .offset:         56
        .size:           4
        .value_kind:     by_value
      - .actual_access:  read_only
        .address_space:  global
        .offset:         64
        .size:           8
        .value_kind:     global_buffer
      - .offset:         72
        .size:           4
        .value_kind:     by_value
      - .offset:         76
        .size:           4
        .value_kind:     by_value
      - .offset:         80
        .size:           4
        .value_kind:     by_value
      - .address_space:  global
        .offset:         88
        .size:           8
        .value_kind:     global_buffer
      - .address_space:  global
        .offset:         96
        .size:           8
        .value_kind:     global_buffer
      - .offset:         104
        .size:           4
        .value_kind:     by_value
      - .offset:         108
        .size:           4
        .value_kind:     by_value
      - .offset:         112
        .size:           4
        .value_kind:     by_value
      - .offset:         116
        .size:           4
        .value_kind:     by_value
      - .offset:         120
        .size:           4
        .value_kind:     by_value
      - .offset:         128
        .size:           4
        .value_kind:     hidden_block_count_x
      - .offset:         132
        .size:           4
        .value_kind:     hidden_block_count_y
      - .offset:         136
        .size:           4
        .value_kind:     hidden_block_count_z
      - .offset:         140
        .size:           2
        .value_kind:     hidden_group_size_x
      - .offset:         142
        .size:           2
        .value_kind:     hidden_group_size_y
      - .offset:         144
        .size:           2
        .value_kind:     hidden_group_size_z
      - .offset:         146
        .size:           2
        .value_kind:     hidden_remainder_x
      - .offset:         148
        .size:           2
        .value_kind:     hidden_remainder_y
      - .offset:         150
        .size:           2
        .value_kind:     hidden_remainder_z
      - .offset:         168
        .size:           8
        .value_kind:     hidden_global_offset_x
      - .offset:         176
        .size:           8
        .value_kind:     hidden_global_offset_y
      - .offset:         184
        .size:           8
        .value_kind:     hidden_global_offset_z
      - .offset:         192
        .size:           2
        .value_kind:     hidden_grid_dims
      - .offset:         248
        .size:           4
        .value_kind:     hidden_dynamic_lds_size
    .group_segment_fixed_size: 352
    .kernarg_segment_align: 8
    .kernarg_segment_size: 384
    .language:       OpenCL C
    .language_version:
      - 2
      - 0
    .max_flat_workgroup_size: 1024
    .name:           _ZN4vllm25paged_attention_v1_kernelIffLi80ELi16ELi128ELNS_18Fp8KVCacheDataTypeE0ELb1EEEvPT_PKS2_PKT0_S8_ifPKiSA_iPKfiiiSC_SC_iiiii
    .private_segment_fixed_size: 0
    .sgpr_count:     40
    .sgpr_spill_count: 0
    .symbol:         _ZN4vllm25paged_attention_v1_kernelIffLi80ELi16ELi128ELNS_18Fp8KVCacheDataTypeE0ELb1EEEvPT_PKS2_PKT0_S8_ifPKiSA_iPKfiiiSC_SC_iiiii.kd
    .uniform_work_group_size: 1
    .uses_dynamic_stack: false
    .vgpr_count:     73
    .vgpr_spill_count: 0
    .wavefront_size: 32
    .workgroup_processor_mode: 1
  - .args:
      - .actual_access:  write_only
        .address_space:  global
        .offset:         0
        .size:           8
        .value_kind:     global_buffer
      - .actual_access:  read_only
        .address_space:  global
        .offset:         8
        .size:           8
        .value_kind:     global_buffer
      - .actual_access:  read_only
        .address_space:  global
        .offset:         16
        .size:           8
        .value_kind:     global_buffer
      - .actual_access:  read_only
        .address_space:  global
        .offset:         24
        .size:           8
        .value_kind:     global_buffer
      - .offset:         32
        .size:           4
        .value_kind:     by_value
      - .offset:         36
        .size:           4
        .value_kind:     by_value
      - .actual_access:  read_only
        .address_space:  global
        .offset:         40
        .size:           8
        .value_kind:     global_buffer
      - .actual_access:  read_only
        .address_space:  global
        .offset:         48
        .size:           8
        .value_kind:     global_buffer
      - .offset:         56
        .size:           4
        .value_kind:     by_value
      - .actual_access:  read_only
        .address_space:  global
        .offset:         64
        .size:           8
        .value_kind:     global_buffer
      - .offset:         72
        .size:           4
        .value_kind:     by_value
      - .offset:         76
        .size:           4
        .value_kind:     by_value
      - .offset:         80
        .size:           4
        .value_kind:     by_value
      - .address_space:  global
        .offset:         88
        .size:           8
        .value_kind:     global_buffer
      - .address_space:  global
        .offset:         96
        .size:           8
        .value_kind:     global_buffer
      - .offset:         104
        .size:           4
        .value_kind:     by_value
      - .offset:         108
        .size:           4
        .value_kind:     by_value
      - .offset:         112
        .size:           4
        .value_kind:     by_value
      - .offset:         116
        .size:           4
        .value_kind:     by_value
      - .offset:         120
        .size:           4
        .value_kind:     by_value
      - .offset:         128
        .size:           4
        .value_kind:     hidden_block_count_x
      - .offset:         132
        .size:           4
        .value_kind:     hidden_block_count_y
      - .offset:         136
        .size:           4
        .value_kind:     hidden_block_count_z
      - .offset:         140
        .size:           2
        .value_kind:     hidden_group_size_x
      - .offset:         142
        .size:           2
        .value_kind:     hidden_group_size_y
      - .offset:         144
        .size:           2
        .value_kind:     hidden_group_size_z
      - .offset:         146
        .size:           2
        .value_kind:     hidden_remainder_x
      - .offset:         148
        .size:           2
        .value_kind:     hidden_remainder_y
      - .offset:         150
        .size:           2
        .value_kind:     hidden_remainder_z
      - .offset:         168
        .size:           8
        .value_kind:     hidden_global_offset_x
      - .offset:         176
        .size:           8
        .value_kind:     hidden_global_offset_y
      - .offset:         184
        .size:           8
        .value_kind:     hidden_global_offset_z
      - .offset:         192
        .size:           2
        .value_kind:     hidden_grid_dims
      - .offset:         248
        .size:           4
        .value_kind:     hidden_dynamic_lds_size
    .group_segment_fixed_size: 416
    .kernarg_segment_align: 8
    .kernarg_segment_size: 384
    .language:       OpenCL C
    .language_version:
      - 2
      - 0
    .max_flat_workgroup_size: 1024
    .name:           _ZN4vllm25paged_attention_v1_kernelIffLi96ELi16ELi128ELNS_18Fp8KVCacheDataTypeE0ELb1EEEvPT_PKS2_PKT0_S8_ifPKiSA_iPKfiiiSC_SC_iiiii
    .private_segment_fixed_size: 0
    .sgpr_count:     40
    .sgpr_spill_count: 0
    .symbol:         _ZN4vllm25paged_attention_v1_kernelIffLi96ELi16ELi128ELNS_18Fp8KVCacheDataTypeE0ELb1EEEvPT_PKS2_PKT0_S8_ifPKiSA_iPKfiiiSC_SC_iiiii.kd
    .uniform_work_group_size: 1
    .uses_dynamic_stack: false
    .vgpr_count:     83
    .vgpr_spill_count: 0
    .wavefront_size: 32
    .workgroup_processor_mode: 1
  - .args:
      - .actual_access:  write_only
        .address_space:  global
        .offset:         0
        .size:           8
        .value_kind:     global_buffer
      - .actual_access:  read_only
        .address_space:  global
        .offset:         8
        .size:           8
        .value_kind:     global_buffer
      - .actual_access:  read_only
        .address_space:  global
        .offset:         16
        .size:           8
        .value_kind:     global_buffer
      - .actual_access:  read_only
        .address_space:  global
        .offset:         24
        .size:           8
        .value_kind:     global_buffer
      - .offset:         32
        .size:           4
        .value_kind:     by_value
      - .offset:         36
        .size:           4
        .value_kind:     by_value
      - .actual_access:  read_only
        .address_space:  global
        .offset:         40
        .size:           8
        .value_kind:     global_buffer
      - .actual_access:  read_only
        .address_space:  global
        .offset:         48
        .size:           8
        .value_kind:     global_buffer
      - .offset:         56
        .size:           4
        .value_kind:     by_value
      - .actual_access:  read_only
        .address_space:  global
        .offset:         64
        .size:           8
        .value_kind:     global_buffer
      - .offset:         72
        .size:           4
        .value_kind:     by_value
      - .offset:         76
        .size:           4
        .value_kind:     by_value
      - .offset:         80
        .size:           4
        .value_kind:     by_value
      - .address_space:  global
        .offset:         88
        .size:           8
        .value_kind:     global_buffer
      - .address_space:  global
        .offset:         96
        .size:           8
        .value_kind:     global_buffer
      - .offset:         104
        .size:           4
        .value_kind:     by_value
      - .offset:         108
        .size:           4
        .value_kind:     by_value
      - .offset:         112
        .size:           4
        .value_kind:     by_value
      - .offset:         116
        .size:           4
        .value_kind:     by_value
      - .offset:         120
        .size:           4
        .value_kind:     by_value
      - .offset:         128
        .size:           4
        .value_kind:     hidden_block_count_x
      - .offset:         132
        .size:           4
        .value_kind:     hidden_block_count_y
      - .offset:         136
        .size:           4
        .value_kind:     hidden_block_count_z
      - .offset:         140
        .size:           2
        .value_kind:     hidden_group_size_x
      - .offset:         142
        .size:           2
        .value_kind:     hidden_group_size_y
      - .offset:         144
        .size:           2
        .value_kind:     hidden_group_size_z
      - .offset:         146
        .size:           2
        .value_kind:     hidden_remainder_x
      - .offset:         148
        .size:           2
        .value_kind:     hidden_remainder_y
      - .offset:         150
        .size:           2
        .value_kind:     hidden_remainder_z
      - .offset:         168
        .size:           8
        .value_kind:     hidden_global_offset_x
      - .offset:         176
        .size:           8
        .value_kind:     hidden_global_offset_y
      - .offset:         184
        .size:           8
        .value_kind:     hidden_global_offset_z
      - .offset:         192
        .size:           2
        .value_kind:     hidden_grid_dims
      - .offset:         248
        .size:           4
        .value_kind:     hidden_dynamic_lds_size
    .group_segment_fixed_size: 480
    .kernarg_segment_align: 8
    .kernarg_segment_size: 384
    .language:       OpenCL C
    .language_version:
      - 2
      - 0
    .max_flat_workgroup_size: 1024
    .name:           _ZN4vllm25paged_attention_v1_kernelIffLi112ELi16ELi128ELNS_18Fp8KVCacheDataTypeE0ELb1EEEvPT_PKS2_PKT0_S8_ifPKiSA_iPKfiiiSC_SC_iiiii
    .private_segment_fixed_size: 0
    .sgpr_count:     40
    .sgpr_spill_count: 0
    .symbol:         _ZN4vllm25paged_attention_v1_kernelIffLi112ELi16ELi128ELNS_18Fp8KVCacheDataTypeE0ELb1EEEvPT_PKS2_PKT0_S8_ifPKiSA_iPKfiiiSC_SC_iiiii.kd
    .uniform_work_group_size: 1
    .uses_dynamic_stack: false
    .vgpr_count:     93
    .vgpr_spill_count: 0
    .wavefront_size: 32
    .workgroup_processor_mode: 1
  - .args:
      - .actual_access:  write_only
        .address_space:  global
        .offset:         0
        .size:           8
        .value_kind:     global_buffer
      - .actual_access:  read_only
        .address_space:  global
        .offset:         8
        .size:           8
        .value_kind:     global_buffer
      - .actual_access:  read_only
        .address_space:  global
        .offset:         16
        .size:           8
        .value_kind:     global_buffer
      - .actual_access:  read_only
        .address_space:  global
        .offset:         24
        .size:           8
        .value_kind:     global_buffer
      - .offset:         32
        .size:           4
        .value_kind:     by_value
      - .offset:         36
        .size:           4
        .value_kind:     by_value
      - .actual_access:  read_only
        .address_space:  global
        .offset:         40
        .size:           8
        .value_kind:     global_buffer
      - .actual_access:  read_only
        .address_space:  global
        .offset:         48
        .size:           8
        .value_kind:     global_buffer
      - .offset:         56
        .size:           4
        .value_kind:     by_value
      - .actual_access:  read_only
        .address_space:  global
        .offset:         64
        .size:           8
        .value_kind:     global_buffer
      - .offset:         72
        .size:           4
        .value_kind:     by_value
      - .offset:         76
        .size:           4
        .value_kind:     by_value
      - .offset:         80
        .size:           4
        .value_kind:     by_value
      - .address_space:  global
        .offset:         88
        .size:           8
        .value_kind:     global_buffer
      - .address_space:  global
        .offset:         96
        .size:           8
        .value_kind:     global_buffer
      - .offset:         104
        .size:           4
        .value_kind:     by_value
      - .offset:         108
        .size:           4
        .value_kind:     by_value
      - .offset:         112
        .size:           4
        .value_kind:     by_value
      - .offset:         116
        .size:           4
        .value_kind:     by_value
      - .offset:         120
        .size:           4
        .value_kind:     by_value
      - .offset:         128
        .size:           4
        .value_kind:     hidden_block_count_x
      - .offset:         132
        .size:           4
        .value_kind:     hidden_block_count_y
      - .offset:         136
        .size:           4
        .value_kind:     hidden_block_count_z
      - .offset:         140
        .size:           2
        .value_kind:     hidden_group_size_x
      - .offset:         142
        .size:           2
        .value_kind:     hidden_group_size_y
      - .offset:         144
        .size:           2
        .value_kind:     hidden_group_size_z
      - .offset:         146
        .size:           2
        .value_kind:     hidden_remainder_x
      - .offset:         148
        .size:           2
        .value_kind:     hidden_remainder_y
      - .offset:         150
        .size:           2
        .value_kind:     hidden_remainder_z
      - .offset:         168
        .size:           8
        .value_kind:     hidden_global_offset_x
      - .offset:         176
        .size:           8
        .value_kind:     hidden_global_offset_y
      - .offset:         184
        .size:           8
        .value_kind:     hidden_global_offset_z
      - .offset:         192
        .size:           2
        .value_kind:     hidden_grid_dims
      - .offset:         248
        .size:           4
        .value_kind:     hidden_dynamic_lds_size
    .group_segment_fixed_size: 512
    .kernarg_segment_align: 8
    .kernarg_segment_size: 384
    .language:       OpenCL C
    .language_version:
      - 2
      - 0
    .max_flat_workgroup_size: 1024
    .name:           _ZN4vllm25paged_attention_v1_kernelIffLi120ELi16ELi128ELNS_18Fp8KVCacheDataTypeE0ELb1EEEvPT_PKS2_PKT0_S8_ifPKiSA_iPKfiiiSC_SC_iiiii
    .private_segment_fixed_size: 0
    .sgpr_count:     40
    .sgpr_spill_count: 0
    .symbol:         _ZN4vllm25paged_attention_v1_kernelIffLi120ELi16ELi128ELNS_18Fp8KVCacheDataTypeE0ELb1EEEvPT_PKS2_PKT0_S8_ifPKiSA_iPKfiiiSC_SC_iiiii.kd
    .uniform_work_group_size: 1
    .uses_dynamic_stack: false
    .vgpr_count:     98
    .vgpr_spill_count: 0
    .wavefront_size: 32
    .workgroup_processor_mode: 1
  - .args:
      - .actual_access:  write_only
        .address_space:  global
        .offset:         0
        .size:           8
        .value_kind:     global_buffer
      - .actual_access:  read_only
        .address_space:  global
        .offset:         8
        .size:           8
        .value_kind:     global_buffer
      - .actual_access:  read_only
        .address_space:  global
        .offset:         16
        .size:           8
        .value_kind:     global_buffer
      - .actual_access:  read_only
        .address_space:  global
        .offset:         24
        .size:           8
        .value_kind:     global_buffer
      - .offset:         32
        .size:           4
        .value_kind:     by_value
      - .offset:         36
        .size:           4
        .value_kind:     by_value
      - .actual_access:  read_only
        .address_space:  global
        .offset:         40
        .size:           8
        .value_kind:     global_buffer
      - .actual_access:  read_only
        .address_space:  global
        .offset:         48
        .size:           8
        .value_kind:     global_buffer
      - .offset:         56
        .size:           4
        .value_kind:     by_value
      - .actual_access:  read_only
        .address_space:  global
        .offset:         64
        .size:           8
        .value_kind:     global_buffer
      - .offset:         72
        .size:           4
        .value_kind:     by_value
      - .offset:         76
        .size:           4
        .value_kind:     by_value
      - .offset:         80
        .size:           4
        .value_kind:     by_value
      - .address_space:  global
        .offset:         88
        .size:           8
        .value_kind:     global_buffer
      - .address_space:  global
        .offset:         96
        .size:           8
        .value_kind:     global_buffer
      - .offset:         104
        .size:           4
        .value_kind:     by_value
      - .offset:         108
        .size:           4
        .value_kind:     by_value
      - .offset:         112
        .size:           4
        .value_kind:     by_value
      - .offset:         116
        .size:           4
        .value_kind:     by_value
      - .offset:         120
        .size:           4
        .value_kind:     by_value
      - .offset:         128
        .size:           4
        .value_kind:     hidden_block_count_x
      - .offset:         132
        .size:           4
        .value_kind:     hidden_block_count_y
      - .offset:         136
        .size:           4
        .value_kind:     hidden_block_count_z
      - .offset:         140
        .size:           2
        .value_kind:     hidden_group_size_x
      - .offset:         142
        .size:           2
        .value_kind:     hidden_group_size_y
      - .offset:         144
        .size:           2
        .value_kind:     hidden_group_size_z
      - .offset:         146
        .size:           2
        .value_kind:     hidden_remainder_x
      - .offset:         148
        .size:           2
        .value_kind:     hidden_remainder_y
      - .offset:         150
        .size:           2
        .value_kind:     hidden_remainder_z
      - .offset:         168
        .size:           8
        .value_kind:     hidden_global_offset_x
      - .offset:         176
        .size:           8
        .value_kind:     hidden_global_offset_y
      - .offset:         184
        .size:           8
        .value_kind:     hidden_global_offset_z
      - .offset:         192
        .size:           2
        .value_kind:     hidden_grid_dims
      - .offset:         248
        .size:           4
        .value_kind:     hidden_dynamic_lds_size
    .group_segment_fixed_size: 544
    .kernarg_segment_align: 8
    .kernarg_segment_size: 384
    .language:       OpenCL C
    .language_version:
      - 2
      - 0
    .max_flat_workgroup_size: 1024
    .name:           _ZN4vllm25paged_attention_v1_kernelIffLi128ELi16ELi128ELNS_18Fp8KVCacheDataTypeE0ELb1EEEvPT_PKS2_PKT0_S8_ifPKiSA_iPKfiiiSC_SC_iiiii
    .private_segment_fixed_size: 0
    .sgpr_count:     40
    .sgpr_spill_count: 0
    .symbol:         _ZN4vllm25paged_attention_v1_kernelIffLi128ELi16ELi128ELNS_18Fp8KVCacheDataTypeE0ELb1EEEvPT_PKS2_PKT0_S8_ifPKiSA_iPKfiiiSC_SC_iiiii.kd
    .uniform_work_group_size: 1
    .uses_dynamic_stack: false
    .vgpr_count:     103
    .vgpr_spill_count: 0
    .wavefront_size: 32
    .workgroup_processor_mode: 1
  - .args:
      - .actual_access:  write_only
        .address_space:  global
        .offset:         0
        .size:           8
        .value_kind:     global_buffer
      - .actual_access:  read_only
        .address_space:  global
        .offset:         8
        .size:           8
        .value_kind:     global_buffer
      - .actual_access:  read_only
        .address_space:  global
        .offset:         16
        .size:           8
        .value_kind:     global_buffer
      - .actual_access:  read_only
        .address_space:  global
        .offset:         24
        .size:           8
        .value_kind:     global_buffer
      - .offset:         32
        .size:           4
        .value_kind:     by_value
      - .offset:         36
        .size:           4
        .value_kind:     by_value
      - .actual_access:  read_only
        .address_space:  global
        .offset:         40
        .size:           8
        .value_kind:     global_buffer
      - .actual_access:  read_only
        .address_space:  global
        .offset:         48
        .size:           8
        .value_kind:     global_buffer
      - .offset:         56
        .size:           4
        .value_kind:     by_value
      - .actual_access:  read_only
        .address_space:  global
        .offset:         64
        .size:           8
        .value_kind:     global_buffer
      - .offset:         72
        .size:           4
        .value_kind:     by_value
      - .offset:         76
        .size:           4
        .value_kind:     by_value
      - .offset:         80
        .size:           4
        .value_kind:     by_value
      - .address_space:  global
        .offset:         88
        .size:           8
        .value_kind:     global_buffer
      - .address_space:  global
        .offset:         96
        .size:           8
        .value_kind:     global_buffer
      - .offset:         104
        .size:           4
        .value_kind:     by_value
      - .offset:         108
        .size:           4
        .value_kind:     by_value
      - .offset:         112
        .size:           4
        .value_kind:     by_value
      - .offset:         116
        .size:           4
        .value_kind:     by_value
      - .offset:         120
        .size:           4
        .value_kind:     by_value
      - .offset:         128
        .size:           4
        .value_kind:     hidden_block_count_x
      - .offset:         132
        .size:           4
        .value_kind:     hidden_block_count_y
      - .offset:         136
        .size:           4
        .value_kind:     hidden_block_count_z
      - .offset:         140
        .size:           2
        .value_kind:     hidden_group_size_x
      - .offset:         142
        .size:           2
        .value_kind:     hidden_group_size_y
      - .offset:         144
        .size:           2
        .value_kind:     hidden_group_size_z
      - .offset:         146
        .size:           2
        .value_kind:     hidden_remainder_x
      - .offset:         148
        .size:           2
        .value_kind:     hidden_remainder_y
      - .offset:         150
        .size:           2
        .value_kind:     hidden_remainder_z
      - .offset:         168
        .size:           8
        .value_kind:     hidden_global_offset_x
      - .offset:         176
        .size:           8
        .value_kind:     hidden_global_offset_y
      - .offset:         184
        .size:           8
        .value_kind:     hidden_global_offset_z
      - .offset:         192
        .size:           2
        .value_kind:     hidden_grid_dims
      - .offset:         248
        .size:           4
        .value_kind:     hidden_dynamic_lds_size
    .group_segment_fixed_size: 800
    .kernarg_segment_align: 8
    .kernarg_segment_size: 384
    .language:       OpenCL C
    .language_version:
      - 2
      - 0
    .max_flat_workgroup_size: 1024
    .name:           _ZN4vllm25paged_attention_v1_kernelIffLi192ELi16ELi128ELNS_18Fp8KVCacheDataTypeE0ELb1EEEvPT_PKS2_PKT0_S8_ifPKiSA_iPKfiiiSC_SC_iiiii
    .private_segment_fixed_size: 64
    .sgpr_count:     46
    .sgpr_spill_count: 0
    .symbol:         _ZN4vllm25paged_attention_v1_kernelIffLi192ELi16ELi128ELNS_18Fp8KVCacheDataTypeE0ELb1EEEvPT_PKS2_PKT0_S8_ifPKiSA_iPKfiiiSC_SC_iiiii.kd
    .uniform_work_group_size: 1
    .uses_dynamic_stack: false
    .vgpr_count:     128
    .vgpr_spill_count: 15
    .wavefront_size: 32
    .workgroup_processor_mode: 1
  - .args:
      - .actual_access:  write_only
        .address_space:  global
        .offset:         0
        .size:           8
        .value_kind:     global_buffer
      - .actual_access:  read_only
        .address_space:  global
        .offset:         8
        .size:           8
        .value_kind:     global_buffer
      - .actual_access:  read_only
        .address_space:  global
        .offset:         16
        .size:           8
        .value_kind:     global_buffer
      - .actual_access:  read_only
        .address_space:  global
        .offset:         24
        .size:           8
        .value_kind:     global_buffer
      - .offset:         32
        .size:           4
        .value_kind:     by_value
      - .offset:         36
        .size:           4
        .value_kind:     by_value
      - .actual_access:  read_only
        .address_space:  global
        .offset:         40
        .size:           8
        .value_kind:     global_buffer
      - .actual_access:  read_only
        .address_space:  global
        .offset:         48
        .size:           8
        .value_kind:     global_buffer
      - .offset:         56
        .size:           4
        .value_kind:     by_value
      - .actual_access:  read_only
        .address_space:  global
        .offset:         64
        .size:           8
        .value_kind:     global_buffer
      - .offset:         72
        .size:           4
        .value_kind:     by_value
      - .offset:         76
        .size:           4
        .value_kind:     by_value
      - .offset:         80
        .size:           4
        .value_kind:     by_value
      - .address_space:  global
        .offset:         88
        .size:           8
        .value_kind:     global_buffer
      - .address_space:  global
        .offset:         96
        .size:           8
        .value_kind:     global_buffer
      - .offset:         104
        .size:           4
        .value_kind:     by_value
      - .offset:         108
        .size:           4
        .value_kind:     by_value
      - .offset:         112
        .size:           4
        .value_kind:     by_value
      - .offset:         116
        .size:           4
        .value_kind:     by_value
      - .offset:         120
        .size:           4
        .value_kind:     by_value
      - .offset:         128
        .size:           4
        .value_kind:     hidden_block_count_x
      - .offset:         132
        .size:           4
        .value_kind:     hidden_block_count_y
      - .offset:         136
        .size:           4
        .value_kind:     hidden_block_count_z
      - .offset:         140
        .size:           2
        .value_kind:     hidden_group_size_x
      - .offset:         142
        .size:           2
        .value_kind:     hidden_group_size_y
      - .offset:         144
        .size:           2
        .value_kind:     hidden_group_size_z
      - .offset:         146
        .size:           2
        .value_kind:     hidden_remainder_x
      - .offset:         148
        .size:           2
        .value_kind:     hidden_remainder_y
      - .offset:         150
        .size:           2
        .value_kind:     hidden_remainder_z
      - .offset:         168
        .size:           8
        .value_kind:     hidden_global_offset_x
      - .offset:         176
        .size:           8
        .value_kind:     hidden_global_offset_y
      - .offset:         184
        .size:           8
        .value_kind:     hidden_global_offset_z
      - .offset:         192
        .size:           2
        .value_kind:     hidden_grid_dims
      - .offset:         248
        .size:           4
        .value_kind:     hidden_dynamic_lds_size
    .group_segment_fixed_size: 1056
    .kernarg_segment_align: 8
    .kernarg_segment_size: 384
    .language:       OpenCL C
    .language_version:
      - 2
      - 0
    .max_flat_workgroup_size: 1024
    .name:           _ZN4vllm25paged_attention_v1_kernelIffLi256ELi16ELi128ELNS_18Fp8KVCacheDataTypeE0ELb1EEEvPT_PKS2_PKT0_S8_ifPKiSA_iPKfiiiSC_SC_iiiii
    .private_segment_fixed_size: 224
    .sgpr_count:     46
    .sgpr_spill_count: 0
    .symbol:         _ZN4vllm25paged_attention_v1_kernelIffLi256ELi16ELi128ELNS_18Fp8KVCacheDataTypeE0ELb1EEEvPT_PKS2_PKT0_S8_ifPKiSA_iPKfiiiSC_SC_iiiii.kd
    .uniform_work_group_size: 1
    .uses_dynamic_stack: false
    .vgpr_count:     128
    .vgpr_spill_count: 67
    .wavefront_size: 32
    .workgroup_processor_mode: 1
  - .args:
      - .actual_access:  write_only
        .address_space:  global
        .offset:         0
        .size:           8
        .value_kind:     global_buffer
      - .actual_access:  read_only
        .address_space:  global
        .offset:         8
        .size:           8
        .value_kind:     global_buffer
      - .actual_access:  read_only
        .address_space:  global
        .offset:         16
        .size:           8
        .value_kind:     global_buffer
      - .actual_access:  read_only
        .address_space:  global
        .offset:         24
        .size:           8
        .value_kind:     global_buffer
      - .offset:         32
        .size:           4
        .value_kind:     by_value
      - .offset:         36
        .size:           4
        .value_kind:     by_value
      - .actual_access:  read_only
        .address_space:  global
        .offset:         40
        .size:           8
        .value_kind:     global_buffer
      - .actual_access:  read_only
        .address_space:  global
        .offset:         48
        .size:           8
        .value_kind:     global_buffer
      - .offset:         56
        .size:           4
        .value_kind:     by_value
      - .actual_access:  read_only
        .address_space:  global
        .offset:         64
        .size:           8
        .value_kind:     global_buffer
      - .offset:         72
        .size:           4
        .value_kind:     by_value
      - .offset:         76
        .size:           4
        .value_kind:     by_value
      - .offset:         80
        .size:           4
        .value_kind:     by_value
      - .address_space:  global
        .offset:         88
        .size:           8
        .value_kind:     global_buffer
      - .address_space:  global
        .offset:         96
        .size:           8
        .value_kind:     global_buffer
      - .offset:         104
        .size:           4
        .value_kind:     by_value
      - .offset:         108
        .size:           4
        .value_kind:     by_value
      - .offset:         112
        .size:           4
        .value_kind:     by_value
      - .offset:         116
        .size:           4
        .value_kind:     by_value
      - .offset:         120
        .size:           4
        .value_kind:     by_value
      - .offset:         128
        .size:           4
        .value_kind:     hidden_block_count_x
      - .offset:         132
        .size:           4
        .value_kind:     hidden_block_count_y
      - .offset:         136
        .size:           4
        .value_kind:     hidden_block_count_z
      - .offset:         140
        .size:           2
        .value_kind:     hidden_group_size_x
      - .offset:         142
        .size:           2
        .value_kind:     hidden_group_size_y
      - .offset:         144
        .size:           2
        .value_kind:     hidden_group_size_z
      - .offset:         146
        .size:           2
        .value_kind:     hidden_remainder_x
      - .offset:         148
        .size:           2
        .value_kind:     hidden_remainder_y
      - .offset:         150
        .size:           2
        .value_kind:     hidden_remainder_z
      - .offset:         168
        .size:           8
        .value_kind:     hidden_global_offset_x
      - .offset:         176
        .size:           8
        .value_kind:     hidden_global_offset_y
      - .offset:         184
        .size:           8
        .value_kind:     hidden_global_offset_z
      - .offset:         192
        .size:           2
        .value_kind:     hidden_grid_dims
      - .offset:         248
        .size:           4
        .value_kind:     hidden_dynamic_lds_size
    .group_segment_fixed_size: 160
    .kernarg_segment_align: 8
    .kernarg_segment_size: 384
    .language:       OpenCL C
    .language_version:
      - 2
      - 0
    .max_flat_workgroup_size: 1024
    .name:           _ZN4vllm25paged_attention_v1_kernelIffLi32ELi16ELi128ELNS_18Fp8KVCacheDataTypeE0ELb0EEEvPT_PKS2_PKT0_S8_ifPKiSA_iPKfiiiSC_SC_iiiii
    .private_segment_fixed_size: 0
    .sgpr_count:     29
    .sgpr_spill_count: 0
    .symbol:         _ZN4vllm25paged_attention_v1_kernelIffLi32ELi16ELi128ELNS_18Fp8KVCacheDataTypeE0ELb0EEEvPT_PKS2_PKT0_S8_ifPKiSA_iPKfiiiSC_SC_iiiii.kd
    .uniform_work_group_size: 1
    .uses_dynamic_stack: false
    .vgpr_count:     48
    .vgpr_spill_count: 0
    .wavefront_size: 32
    .workgroup_processor_mode: 1
  - .args:
      - .actual_access:  write_only
        .address_space:  global
        .offset:         0
        .size:           8
        .value_kind:     global_buffer
      - .actual_access:  read_only
        .address_space:  global
        .offset:         8
        .size:           8
        .value_kind:     global_buffer
      - .actual_access:  read_only
        .address_space:  global
        .offset:         16
        .size:           8
        .value_kind:     global_buffer
      - .actual_access:  read_only
        .address_space:  global
        .offset:         24
        .size:           8
        .value_kind:     global_buffer
      - .offset:         32
        .size:           4
        .value_kind:     by_value
      - .offset:         36
        .size:           4
        .value_kind:     by_value
      - .actual_access:  read_only
        .address_space:  global
        .offset:         40
        .size:           8
        .value_kind:     global_buffer
      - .actual_access:  read_only
        .address_space:  global
        .offset:         48
        .size:           8
        .value_kind:     global_buffer
      - .offset:         56
        .size:           4
        .value_kind:     by_value
      - .actual_access:  read_only
        .address_space:  global
        .offset:         64
        .size:           8
        .value_kind:     global_buffer
      - .offset:         72
        .size:           4
        .value_kind:     by_value
      - .offset:         76
        .size:           4
        .value_kind:     by_value
      - .offset:         80
        .size:           4
        .value_kind:     by_value
      - .address_space:  global
        .offset:         88
        .size:           8
        .value_kind:     global_buffer
      - .address_space:  global
        .offset:         96
        .size:           8
        .value_kind:     global_buffer
      - .offset:         104
        .size:           4
        .value_kind:     by_value
      - .offset:         108
        .size:           4
        .value_kind:     by_value
      - .offset:         112
        .size:           4
        .value_kind:     by_value
      - .offset:         116
        .size:           4
        .value_kind:     by_value
      - .offset:         120
        .size:           4
        .value_kind:     by_value
      - .offset:         128
        .size:           4
        .value_kind:     hidden_block_count_x
      - .offset:         132
        .size:           4
        .value_kind:     hidden_block_count_y
      - .offset:         136
        .size:           4
        .value_kind:     hidden_block_count_z
      - .offset:         140
        .size:           2
        .value_kind:     hidden_group_size_x
      - .offset:         142
        .size:           2
        .value_kind:     hidden_group_size_y
      - .offset:         144
        .size:           2
        .value_kind:     hidden_group_size_z
      - .offset:         146
        .size:           2
        .value_kind:     hidden_remainder_x
      - .offset:         148
        .size:           2
        .value_kind:     hidden_remainder_y
      - .offset:         150
        .size:           2
        .value_kind:     hidden_remainder_z
      - .offset:         168
        .size:           8
        .value_kind:     hidden_global_offset_x
      - .offset:         176
        .size:           8
        .value_kind:     hidden_global_offset_y
      - .offset:         184
        .size:           8
        .value_kind:     hidden_global_offset_z
      - .offset:         192
        .size:           2
        .value_kind:     hidden_grid_dims
      - .offset:         248
        .size:           4
        .value_kind:     hidden_dynamic_lds_size
    .group_segment_fixed_size: 288
    .kernarg_segment_align: 8
    .kernarg_segment_size: 384
    .language:       OpenCL C
    .language_version:
      - 2
      - 0
    .max_flat_workgroup_size: 1024
    .name:           _ZN4vllm25paged_attention_v1_kernelIffLi64ELi16ELi128ELNS_18Fp8KVCacheDataTypeE0ELb0EEEvPT_PKS2_PKT0_S8_ifPKiSA_iPKfiiiSC_SC_iiiii
    .private_segment_fixed_size: 0
    .sgpr_count:     32
    .sgpr_spill_count: 0
    .symbol:         _ZN4vllm25paged_attention_v1_kernelIffLi64ELi16ELi128ELNS_18Fp8KVCacheDataTypeE0ELb0EEEvPT_PKS2_PKT0_S8_ifPKiSA_iPKfiiiSC_SC_iiiii.kd
    .uniform_work_group_size: 1
    .uses_dynamic_stack: false
    .vgpr_count:     80
    .vgpr_spill_count: 0
    .wavefront_size: 32
    .workgroup_processor_mode: 1
  - .args:
      - .actual_access:  write_only
        .address_space:  global
        .offset:         0
        .size:           8
        .value_kind:     global_buffer
      - .actual_access:  read_only
        .address_space:  global
        .offset:         8
        .size:           8
        .value_kind:     global_buffer
      - .actual_access:  read_only
        .address_space:  global
        .offset:         16
        .size:           8
        .value_kind:     global_buffer
      - .actual_access:  read_only
        .address_space:  global
        .offset:         24
        .size:           8
        .value_kind:     global_buffer
      - .offset:         32
        .size:           4
        .value_kind:     by_value
      - .offset:         36
        .size:           4
        .value_kind:     by_value
      - .actual_access:  read_only
        .address_space:  global
        .offset:         40
        .size:           8
        .value_kind:     global_buffer
      - .actual_access:  read_only
        .address_space:  global
        .offset:         48
        .size:           8
        .value_kind:     global_buffer
      - .offset:         56
        .size:           4
        .value_kind:     by_value
      - .actual_access:  read_only
        .address_space:  global
        .offset:         64
        .size:           8
        .value_kind:     global_buffer
      - .offset:         72
        .size:           4
        .value_kind:     by_value
      - .offset:         76
        .size:           4
        .value_kind:     by_value
      - .offset:         80
        .size:           4
        .value_kind:     by_value
      - .address_space:  global
        .offset:         88
        .size:           8
        .value_kind:     global_buffer
      - .address_space:  global
        .offset:         96
        .size:           8
        .value_kind:     global_buffer
      - .offset:         104
        .size:           4
        .value_kind:     by_value
      - .offset:         108
        .size:           4
        .value_kind:     by_value
      - .offset:         112
        .size:           4
        .value_kind:     by_value
      - .offset:         116
        .size:           4
        .value_kind:     by_value
      - .offset:         120
        .size:           4
        .value_kind:     by_value
      - .offset:         128
        .size:           4
        .value_kind:     hidden_block_count_x
      - .offset:         132
        .size:           4
        .value_kind:     hidden_block_count_y
      - .offset:         136
        .size:           4
        .value_kind:     hidden_block_count_z
      - .offset:         140
        .size:           2
        .value_kind:     hidden_group_size_x
      - .offset:         142
        .size:           2
        .value_kind:     hidden_group_size_y
      - .offset:         144
        .size:           2
        .value_kind:     hidden_group_size_z
      - .offset:         146
        .size:           2
        .value_kind:     hidden_remainder_x
      - .offset:         148
        .size:           2
        .value_kind:     hidden_remainder_y
      - .offset:         150
        .size:           2
        .value_kind:     hidden_remainder_z
      - .offset:         168
        .size:           8
        .value_kind:     hidden_global_offset_x
      - .offset:         176
        .size:           8
        .value_kind:     hidden_global_offset_y
      - .offset:         184
        .size:           8
        .value_kind:     hidden_global_offset_z
      - .offset:         192
        .size:           2
        .value_kind:     hidden_grid_dims
      - .offset:         248
        .size:           4
        .value_kind:     hidden_dynamic_lds_size
    .group_segment_fixed_size: 352
    .kernarg_segment_align: 8
    .kernarg_segment_size: 384
    .language:       OpenCL C
    .language_version:
      - 2
      - 0
    .max_flat_workgroup_size: 1024
    .name:           _ZN4vllm25paged_attention_v1_kernelIffLi80ELi16ELi128ELNS_18Fp8KVCacheDataTypeE0ELb0EEEvPT_PKS2_PKT0_S8_ifPKiSA_iPKfiiiSC_SC_iiiii
    .private_segment_fixed_size: 0
    .sgpr_count:     29
    .sgpr_spill_count: 0
    .symbol:         _ZN4vllm25paged_attention_v1_kernelIffLi80ELi16ELi128ELNS_18Fp8KVCacheDataTypeE0ELb0EEEvPT_PKS2_PKT0_S8_ifPKiSA_iPKfiiiSC_SC_iiiii.kd
    .uniform_work_group_size: 1
    .uses_dynamic_stack: false
    .vgpr_count:     86
    .vgpr_spill_count: 0
    .wavefront_size: 32
    .workgroup_processor_mode: 1
  - .args:
      - .actual_access:  write_only
        .address_space:  global
        .offset:         0
        .size:           8
        .value_kind:     global_buffer
      - .actual_access:  read_only
        .address_space:  global
        .offset:         8
        .size:           8
        .value_kind:     global_buffer
      - .actual_access:  read_only
        .address_space:  global
        .offset:         16
        .size:           8
        .value_kind:     global_buffer
      - .actual_access:  read_only
        .address_space:  global
        .offset:         24
        .size:           8
        .value_kind:     global_buffer
      - .offset:         32
        .size:           4
        .value_kind:     by_value
      - .offset:         36
        .size:           4
        .value_kind:     by_value
      - .actual_access:  read_only
        .address_space:  global
        .offset:         40
        .size:           8
        .value_kind:     global_buffer
      - .actual_access:  read_only
        .address_space:  global
        .offset:         48
        .size:           8
        .value_kind:     global_buffer
      - .offset:         56
        .size:           4
        .value_kind:     by_value
      - .actual_access:  read_only
        .address_space:  global
        .offset:         64
        .size:           8
        .value_kind:     global_buffer
      - .offset:         72
        .size:           4
        .value_kind:     by_value
      - .offset:         76
        .size:           4
        .value_kind:     by_value
      - .offset:         80
        .size:           4
        .value_kind:     by_value
      - .address_space:  global
        .offset:         88
        .size:           8
        .value_kind:     global_buffer
      - .address_space:  global
        .offset:         96
        .size:           8
        .value_kind:     global_buffer
      - .offset:         104
        .size:           4
        .value_kind:     by_value
      - .offset:         108
        .size:           4
        .value_kind:     by_value
      - .offset:         112
        .size:           4
        .value_kind:     by_value
      - .offset:         116
        .size:           4
        .value_kind:     by_value
      - .offset:         120
        .size:           4
        .value_kind:     by_value
      - .offset:         128
        .size:           4
        .value_kind:     hidden_block_count_x
      - .offset:         132
        .size:           4
        .value_kind:     hidden_block_count_y
      - .offset:         136
        .size:           4
        .value_kind:     hidden_block_count_z
      - .offset:         140
        .size:           2
        .value_kind:     hidden_group_size_x
      - .offset:         142
        .size:           2
        .value_kind:     hidden_group_size_y
      - .offset:         144
        .size:           2
        .value_kind:     hidden_group_size_z
      - .offset:         146
        .size:           2
        .value_kind:     hidden_remainder_x
      - .offset:         148
        .size:           2
        .value_kind:     hidden_remainder_y
      - .offset:         150
        .size:           2
        .value_kind:     hidden_remainder_z
      - .offset:         168
        .size:           8
        .value_kind:     hidden_global_offset_x
      - .offset:         176
        .size:           8
        .value_kind:     hidden_global_offset_y
      - .offset:         184
        .size:           8
        .value_kind:     hidden_global_offset_z
      - .offset:         192
        .size:           2
        .value_kind:     hidden_grid_dims
      - .offset:         248
        .size:           4
        .value_kind:     hidden_dynamic_lds_size
    .group_segment_fixed_size: 416
    .kernarg_segment_align: 8
    .kernarg_segment_size: 384
    .language:       OpenCL C
    .language_version:
      - 2
      - 0
    .max_flat_workgroup_size: 1024
    .name:           _ZN4vllm25paged_attention_v1_kernelIffLi96ELi16ELi128ELNS_18Fp8KVCacheDataTypeE0ELb0EEEvPT_PKS2_PKT0_S8_ifPKiSA_iPKfiiiSC_SC_iiiii
    .private_segment_fixed_size: 0
    .sgpr_count:     29
    .sgpr_spill_count: 0
    .symbol:         _ZN4vllm25paged_attention_v1_kernelIffLi96ELi16ELi128ELNS_18Fp8KVCacheDataTypeE0ELb0EEEvPT_PKS2_PKT0_S8_ifPKiSA_iPKfiiiSC_SC_iiiii.kd
    .uniform_work_group_size: 1
    .uses_dynamic_stack: false
    .vgpr_count:     102
    .vgpr_spill_count: 0
    .wavefront_size: 32
    .workgroup_processor_mode: 1
  - .args:
      - .actual_access:  write_only
        .address_space:  global
        .offset:         0
        .size:           8
        .value_kind:     global_buffer
      - .actual_access:  read_only
        .address_space:  global
        .offset:         8
        .size:           8
        .value_kind:     global_buffer
      - .actual_access:  read_only
        .address_space:  global
        .offset:         16
        .size:           8
        .value_kind:     global_buffer
      - .actual_access:  read_only
        .address_space:  global
        .offset:         24
        .size:           8
        .value_kind:     global_buffer
      - .offset:         32
        .size:           4
        .value_kind:     by_value
      - .offset:         36
        .size:           4
        .value_kind:     by_value
      - .actual_access:  read_only
        .address_space:  global
        .offset:         40
        .size:           8
        .value_kind:     global_buffer
      - .actual_access:  read_only
        .address_space:  global
        .offset:         48
        .size:           8
        .value_kind:     global_buffer
      - .offset:         56
        .size:           4
        .value_kind:     by_value
      - .actual_access:  read_only
        .address_space:  global
        .offset:         64
        .size:           8
        .value_kind:     global_buffer
      - .offset:         72
        .size:           4
        .value_kind:     by_value
      - .offset:         76
        .size:           4
        .value_kind:     by_value
      - .offset:         80
        .size:           4
        .value_kind:     by_value
      - .address_space:  global
        .offset:         88
        .size:           8
        .value_kind:     global_buffer
      - .address_space:  global
        .offset:         96
        .size:           8
        .value_kind:     global_buffer
      - .offset:         104
        .size:           4
        .value_kind:     by_value
      - .offset:         108
        .size:           4
        .value_kind:     by_value
      - .offset:         112
        .size:           4
        .value_kind:     by_value
      - .offset:         116
        .size:           4
        .value_kind:     by_value
      - .offset:         120
        .size:           4
        .value_kind:     by_value
      - .offset:         128
        .size:           4
        .value_kind:     hidden_block_count_x
      - .offset:         132
        .size:           4
        .value_kind:     hidden_block_count_y
      - .offset:         136
        .size:           4
        .value_kind:     hidden_block_count_z
      - .offset:         140
        .size:           2
        .value_kind:     hidden_group_size_x
      - .offset:         142
        .size:           2
        .value_kind:     hidden_group_size_y
      - .offset:         144
        .size:           2
        .value_kind:     hidden_group_size_z
      - .offset:         146
        .size:           2
        .value_kind:     hidden_remainder_x
      - .offset:         148
        .size:           2
        .value_kind:     hidden_remainder_y
      - .offset:         150
        .size:           2
        .value_kind:     hidden_remainder_z
      - .offset:         168
        .size:           8
        .value_kind:     hidden_global_offset_x
      - .offset:         176
        .size:           8
        .value_kind:     hidden_global_offset_y
      - .offset:         184
        .size:           8
        .value_kind:     hidden_global_offset_z
      - .offset:         192
        .size:           2
        .value_kind:     hidden_grid_dims
      - .offset:         248
        .size:           4
        .value_kind:     hidden_dynamic_lds_size
    .group_segment_fixed_size: 480
    .kernarg_segment_align: 8
    .kernarg_segment_size: 384
    .language:       OpenCL C
    .language_version:
      - 2
      - 0
    .max_flat_workgroup_size: 1024
    .name:           _ZN4vllm25paged_attention_v1_kernelIffLi112ELi16ELi128ELNS_18Fp8KVCacheDataTypeE0ELb0EEEvPT_PKS2_PKT0_S8_ifPKiSA_iPKfiiiSC_SC_iiiii
    .private_segment_fixed_size: 0
    .sgpr_count:     29
    .sgpr_spill_count: 0
    .symbol:         _ZN4vllm25paged_attention_v1_kernelIffLi112ELi16ELi128ELNS_18Fp8KVCacheDataTypeE0ELb0EEEvPT_PKS2_PKT0_S8_ifPKiSA_iPKfiiiSC_SC_iiiii.kd
    .uniform_work_group_size: 1
    .uses_dynamic_stack: false
    .vgpr_count:     104
    .vgpr_spill_count: 0
    .wavefront_size: 32
    .workgroup_processor_mode: 1
  - .args:
      - .actual_access:  write_only
        .address_space:  global
        .offset:         0
        .size:           8
        .value_kind:     global_buffer
      - .actual_access:  read_only
        .address_space:  global
        .offset:         8
        .size:           8
        .value_kind:     global_buffer
      - .actual_access:  read_only
        .address_space:  global
        .offset:         16
        .size:           8
        .value_kind:     global_buffer
      - .actual_access:  read_only
        .address_space:  global
        .offset:         24
        .size:           8
        .value_kind:     global_buffer
      - .offset:         32
        .size:           4
        .value_kind:     by_value
      - .offset:         36
        .size:           4
        .value_kind:     by_value
      - .actual_access:  read_only
        .address_space:  global
        .offset:         40
        .size:           8
        .value_kind:     global_buffer
      - .actual_access:  read_only
        .address_space:  global
        .offset:         48
        .size:           8
        .value_kind:     global_buffer
      - .offset:         56
        .size:           4
        .value_kind:     by_value
      - .actual_access:  read_only
        .address_space:  global
        .offset:         64
        .size:           8
        .value_kind:     global_buffer
      - .offset:         72
        .size:           4
        .value_kind:     by_value
      - .offset:         76
        .size:           4
        .value_kind:     by_value
      - .offset:         80
        .size:           4
        .value_kind:     by_value
      - .address_space:  global
        .offset:         88
        .size:           8
        .value_kind:     global_buffer
      - .address_space:  global
        .offset:         96
        .size:           8
        .value_kind:     global_buffer
      - .offset:         104
        .size:           4
        .value_kind:     by_value
      - .offset:         108
        .size:           4
        .value_kind:     by_value
      - .offset:         112
        .size:           4
        .value_kind:     by_value
      - .offset:         116
        .size:           4
        .value_kind:     by_value
      - .offset:         120
        .size:           4
        .value_kind:     by_value
      - .offset:         128
        .size:           4
        .value_kind:     hidden_block_count_x
      - .offset:         132
        .size:           4
        .value_kind:     hidden_block_count_y
      - .offset:         136
        .size:           4
        .value_kind:     hidden_block_count_z
      - .offset:         140
        .size:           2
        .value_kind:     hidden_group_size_x
      - .offset:         142
        .size:           2
        .value_kind:     hidden_group_size_y
      - .offset:         144
        .size:           2
        .value_kind:     hidden_group_size_z
      - .offset:         146
        .size:           2
        .value_kind:     hidden_remainder_x
      - .offset:         148
        .size:           2
        .value_kind:     hidden_remainder_y
      - .offset:         150
        .size:           2
        .value_kind:     hidden_remainder_z
      - .offset:         168
        .size:           8
        .value_kind:     hidden_global_offset_x
      - .offset:         176
        .size:           8
        .value_kind:     hidden_global_offset_y
      - .offset:         184
        .size:           8
        .value_kind:     hidden_global_offset_z
      - .offset:         192
        .size:           2
        .value_kind:     hidden_grid_dims
      - .offset:         248
        .size:           4
        .value_kind:     hidden_dynamic_lds_size
    .group_segment_fixed_size: 512
    .kernarg_segment_align: 8
    .kernarg_segment_size: 384
    .language:       OpenCL C
    .language_version:
      - 2
      - 0
    .max_flat_workgroup_size: 1024
    .name:           _ZN4vllm25paged_attention_v1_kernelIffLi120ELi16ELi128ELNS_18Fp8KVCacheDataTypeE0ELb0EEEvPT_PKS2_PKT0_S8_ifPKiSA_iPKfiiiSC_SC_iiiii
    .private_segment_fixed_size: 0
    .sgpr_count:     29
    .sgpr_spill_count: 0
    .symbol:         _ZN4vllm25paged_attention_v1_kernelIffLi120ELi16ELi128ELNS_18Fp8KVCacheDataTypeE0ELb0EEEvPT_PKS2_PKT0_S8_ifPKiSA_iPKfiiiSC_SC_iiiii.kd
    .uniform_work_group_size: 1
    .uses_dynamic_stack: false
    .vgpr_count:     102
    .vgpr_spill_count: 0
    .wavefront_size: 32
    .workgroup_processor_mode: 1
  - .args:
      - .actual_access:  write_only
        .address_space:  global
        .offset:         0
        .size:           8
        .value_kind:     global_buffer
      - .actual_access:  read_only
        .address_space:  global
        .offset:         8
        .size:           8
        .value_kind:     global_buffer
      - .actual_access:  read_only
        .address_space:  global
        .offset:         16
        .size:           8
        .value_kind:     global_buffer
      - .actual_access:  read_only
        .address_space:  global
        .offset:         24
        .size:           8
        .value_kind:     global_buffer
      - .offset:         32
        .size:           4
        .value_kind:     by_value
      - .offset:         36
        .size:           4
        .value_kind:     by_value
      - .actual_access:  read_only
        .address_space:  global
        .offset:         40
        .size:           8
        .value_kind:     global_buffer
      - .actual_access:  read_only
        .address_space:  global
        .offset:         48
        .size:           8
        .value_kind:     global_buffer
      - .offset:         56
        .size:           4
        .value_kind:     by_value
      - .actual_access:  read_only
        .address_space:  global
        .offset:         64
        .size:           8
        .value_kind:     global_buffer
      - .offset:         72
        .size:           4
        .value_kind:     by_value
      - .offset:         76
        .size:           4
        .value_kind:     by_value
      - .offset:         80
        .size:           4
        .value_kind:     by_value
      - .address_space:  global
        .offset:         88
        .size:           8
        .value_kind:     global_buffer
      - .address_space:  global
        .offset:         96
        .size:           8
        .value_kind:     global_buffer
      - .offset:         104
        .size:           4
        .value_kind:     by_value
      - .offset:         108
        .size:           4
        .value_kind:     by_value
      - .offset:         112
        .size:           4
        .value_kind:     by_value
      - .offset:         116
        .size:           4
        .value_kind:     by_value
      - .offset:         120
        .size:           4
        .value_kind:     by_value
      - .offset:         128
        .size:           4
        .value_kind:     hidden_block_count_x
      - .offset:         132
        .size:           4
        .value_kind:     hidden_block_count_y
      - .offset:         136
        .size:           4
        .value_kind:     hidden_block_count_z
      - .offset:         140
        .size:           2
        .value_kind:     hidden_group_size_x
      - .offset:         142
        .size:           2
        .value_kind:     hidden_group_size_y
      - .offset:         144
        .size:           2
        .value_kind:     hidden_group_size_z
      - .offset:         146
        .size:           2
        .value_kind:     hidden_remainder_x
      - .offset:         148
        .size:           2
        .value_kind:     hidden_remainder_y
      - .offset:         150
        .size:           2
        .value_kind:     hidden_remainder_z
      - .offset:         168
        .size:           8
        .value_kind:     hidden_global_offset_x
      - .offset:         176
        .size:           8
        .value_kind:     hidden_global_offset_y
      - .offset:         184
        .size:           8
        .value_kind:     hidden_global_offset_z
      - .offset:         192
        .size:           2
        .value_kind:     hidden_grid_dims
      - .offset:         248
        .size:           4
        .value_kind:     hidden_dynamic_lds_size
    .group_segment_fixed_size: 544
    .kernarg_segment_align: 8
    .kernarg_segment_size: 384
    .language:       OpenCL C
    .language_version:
      - 2
      - 0
    .max_flat_workgroup_size: 1024
    .name:           _ZN4vllm25paged_attention_v1_kernelIffLi128ELi16ELi128ELNS_18Fp8KVCacheDataTypeE0ELb0EEEvPT_PKS2_PKT0_S8_ifPKiSA_iPKfiiiSC_SC_iiiii
    .private_segment_fixed_size: 0
    .sgpr_count:     32
    .sgpr_spill_count: 0
    .symbol:         _ZN4vllm25paged_attention_v1_kernelIffLi128ELi16ELi128ELNS_18Fp8KVCacheDataTypeE0ELb0EEEvPT_PKS2_PKT0_S8_ifPKiSA_iPKfiiiSC_SC_iiiii.kd
    .uniform_work_group_size: 1
    .uses_dynamic_stack: false
    .vgpr_count:     120
    .vgpr_spill_count: 0
    .wavefront_size: 32
    .workgroup_processor_mode: 1
  - .args:
      - .actual_access:  write_only
        .address_space:  global
        .offset:         0
        .size:           8
        .value_kind:     global_buffer
      - .actual_access:  read_only
        .address_space:  global
        .offset:         8
        .size:           8
        .value_kind:     global_buffer
      - .actual_access:  read_only
        .address_space:  global
        .offset:         16
        .size:           8
        .value_kind:     global_buffer
      - .actual_access:  read_only
        .address_space:  global
        .offset:         24
        .size:           8
        .value_kind:     global_buffer
      - .offset:         32
        .size:           4
        .value_kind:     by_value
      - .offset:         36
        .size:           4
        .value_kind:     by_value
      - .actual_access:  read_only
        .address_space:  global
        .offset:         40
        .size:           8
        .value_kind:     global_buffer
      - .actual_access:  read_only
        .address_space:  global
        .offset:         48
        .size:           8
        .value_kind:     global_buffer
      - .offset:         56
        .size:           4
        .value_kind:     by_value
      - .actual_access:  read_only
        .address_space:  global
        .offset:         64
        .size:           8
        .value_kind:     global_buffer
      - .offset:         72
        .size:           4
        .value_kind:     by_value
      - .offset:         76
        .size:           4
        .value_kind:     by_value
      - .offset:         80
        .size:           4
        .value_kind:     by_value
      - .address_space:  global
        .offset:         88
        .size:           8
        .value_kind:     global_buffer
      - .address_space:  global
        .offset:         96
        .size:           8
        .value_kind:     global_buffer
      - .offset:         104
        .size:           4
        .value_kind:     by_value
      - .offset:         108
        .size:           4
        .value_kind:     by_value
      - .offset:         112
        .size:           4
        .value_kind:     by_value
      - .offset:         116
        .size:           4
        .value_kind:     by_value
      - .offset:         120
        .size:           4
        .value_kind:     by_value
      - .offset:         128
        .size:           4
        .value_kind:     hidden_block_count_x
      - .offset:         132
        .size:           4
        .value_kind:     hidden_block_count_y
      - .offset:         136
        .size:           4
        .value_kind:     hidden_block_count_z
      - .offset:         140
        .size:           2
        .value_kind:     hidden_group_size_x
      - .offset:         142
        .size:           2
        .value_kind:     hidden_group_size_y
      - .offset:         144
        .size:           2
        .value_kind:     hidden_group_size_z
      - .offset:         146
        .size:           2
        .value_kind:     hidden_remainder_x
      - .offset:         148
        .size:           2
        .value_kind:     hidden_remainder_y
      - .offset:         150
        .size:           2
        .value_kind:     hidden_remainder_z
      - .offset:         168
        .size:           8
        .value_kind:     hidden_global_offset_x
      - .offset:         176
        .size:           8
        .value_kind:     hidden_global_offset_y
      - .offset:         184
        .size:           8
        .value_kind:     hidden_global_offset_z
      - .offset:         192
        .size:           2
        .value_kind:     hidden_grid_dims
      - .offset:         248
        .size:           4
        .value_kind:     hidden_dynamic_lds_size
    .group_segment_fixed_size: 800
    .kernarg_segment_align: 8
    .kernarg_segment_size: 384
    .language:       OpenCL C
    .language_version:
      - 2
      - 0
    .max_flat_workgroup_size: 1024
    .name:           _ZN4vllm25paged_attention_v1_kernelIffLi192ELi16ELi128ELNS_18Fp8KVCacheDataTypeE0ELb0EEEvPT_PKS2_PKT0_S8_ifPKiSA_iPKfiiiSC_SC_iiiii
    .private_segment_fixed_size: 52
    .sgpr_count:     34
    .sgpr_spill_count: 0
    .symbol:         _ZN4vllm25paged_attention_v1_kernelIffLi192ELi16ELi128ELNS_18Fp8KVCacheDataTypeE0ELb0EEEvPT_PKS2_PKT0_S8_ifPKiSA_iPKfiiiSC_SC_iiiii.kd
    .uniform_work_group_size: 1
    .uses_dynamic_stack: false
    .vgpr_count:     128
    .vgpr_spill_count: 16
    .wavefront_size: 32
    .workgroup_processor_mode: 1
  - .args:
      - .actual_access:  write_only
        .address_space:  global
        .offset:         0
        .size:           8
        .value_kind:     global_buffer
      - .actual_access:  read_only
        .address_space:  global
        .offset:         8
        .size:           8
        .value_kind:     global_buffer
      - .actual_access:  read_only
        .address_space:  global
        .offset:         16
        .size:           8
        .value_kind:     global_buffer
      - .actual_access:  read_only
        .address_space:  global
        .offset:         24
        .size:           8
        .value_kind:     global_buffer
      - .offset:         32
        .size:           4
        .value_kind:     by_value
      - .offset:         36
        .size:           4
        .value_kind:     by_value
      - .actual_access:  read_only
        .address_space:  global
        .offset:         40
        .size:           8
        .value_kind:     global_buffer
      - .actual_access:  read_only
        .address_space:  global
        .offset:         48
        .size:           8
        .value_kind:     global_buffer
      - .offset:         56
        .size:           4
        .value_kind:     by_value
      - .actual_access:  read_only
        .address_space:  global
        .offset:         64
        .size:           8
        .value_kind:     global_buffer
      - .offset:         72
        .size:           4
        .value_kind:     by_value
      - .offset:         76
        .size:           4
        .value_kind:     by_value
      - .offset:         80
        .size:           4
        .value_kind:     by_value
      - .address_space:  global
        .offset:         88
        .size:           8
        .value_kind:     global_buffer
      - .address_space:  global
        .offset:         96
        .size:           8
        .value_kind:     global_buffer
      - .offset:         104
        .size:           4
        .value_kind:     by_value
      - .offset:         108
        .size:           4
        .value_kind:     by_value
      - .offset:         112
        .size:           4
        .value_kind:     by_value
      - .offset:         116
        .size:           4
        .value_kind:     by_value
      - .offset:         120
        .size:           4
        .value_kind:     by_value
      - .offset:         128
        .size:           4
        .value_kind:     hidden_block_count_x
      - .offset:         132
        .size:           4
        .value_kind:     hidden_block_count_y
      - .offset:         136
        .size:           4
        .value_kind:     hidden_block_count_z
      - .offset:         140
        .size:           2
        .value_kind:     hidden_group_size_x
      - .offset:         142
        .size:           2
        .value_kind:     hidden_group_size_y
      - .offset:         144
        .size:           2
        .value_kind:     hidden_group_size_z
      - .offset:         146
        .size:           2
        .value_kind:     hidden_remainder_x
      - .offset:         148
        .size:           2
        .value_kind:     hidden_remainder_y
      - .offset:         150
        .size:           2
        .value_kind:     hidden_remainder_z
      - .offset:         168
        .size:           8
        .value_kind:     hidden_global_offset_x
      - .offset:         176
        .size:           8
        .value_kind:     hidden_global_offset_y
      - .offset:         184
        .size:           8
        .value_kind:     hidden_global_offset_z
      - .offset:         192
        .size:           2
        .value_kind:     hidden_grid_dims
      - .offset:         248
        .size:           4
        .value_kind:     hidden_dynamic_lds_size
    .group_segment_fixed_size: 1056
    .kernarg_segment_align: 8
    .kernarg_segment_size: 384
    .language:       OpenCL C
    .language_version:
      - 2
      - 0
    .max_flat_workgroup_size: 1024
    .name:           _ZN4vllm25paged_attention_v1_kernelIffLi256ELi16ELi128ELNS_18Fp8KVCacheDataTypeE0ELb0EEEvPT_PKS2_PKT0_S8_ifPKiSA_iPKfiiiSC_SC_iiiii
    .private_segment_fixed_size: 304
    .sgpr_count:     42
    .sgpr_spill_count: 0
    .symbol:         _ZN4vllm25paged_attention_v1_kernelIffLi256ELi16ELi128ELNS_18Fp8KVCacheDataTypeE0ELb0EEEvPT_PKS2_PKT0_S8_ifPKiSA_iPKfiiiSC_SC_iiiii.kd
    .uniform_work_group_size: 1
    .uses_dynamic_stack: false
    .vgpr_count:     128
    .vgpr_spill_count: 133
    .wavefront_size: 32
    .workgroup_processor_mode: 1
  - .args:
      - .actual_access:  write_only
        .address_space:  global
        .offset:         0
        .size:           8
        .value_kind:     global_buffer
      - .actual_access:  read_only
        .address_space:  global
        .offset:         8
        .size:           8
        .value_kind:     global_buffer
      - .actual_access:  read_only
        .address_space:  global
        .offset:         16
        .size:           8
        .value_kind:     global_buffer
      - .actual_access:  read_only
        .address_space:  global
        .offset:         24
        .size:           8
        .value_kind:     global_buffer
      - .offset:         32
        .size:           4
        .value_kind:     by_value
      - .offset:         36
        .size:           4
        .value_kind:     by_value
      - .actual_access:  read_only
        .address_space:  global
        .offset:         40
        .size:           8
        .value_kind:     global_buffer
      - .actual_access:  read_only
        .address_space:  global
        .offset:         48
        .size:           8
        .value_kind:     global_buffer
      - .offset:         56
        .size:           4
        .value_kind:     by_value
      - .actual_access:  read_only
        .address_space:  global
        .offset:         64
        .size:           8
        .value_kind:     global_buffer
      - .offset:         72
        .size:           4
        .value_kind:     by_value
      - .offset:         76
        .size:           4
        .value_kind:     by_value
      - .offset:         80
        .size:           4
        .value_kind:     by_value
      - .address_space:  global
        .offset:         88
        .size:           8
        .value_kind:     global_buffer
      - .address_space:  global
        .offset:         96
        .size:           8
        .value_kind:     global_buffer
      - .offset:         104
        .size:           4
        .value_kind:     by_value
      - .offset:         108
        .size:           4
        .value_kind:     by_value
      - .offset:         112
        .size:           4
        .value_kind:     by_value
      - .offset:         116
        .size:           4
        .value_kind:     by_value
      - .offset:         120
        .size:           4
        .value_kind:     by_value
      - .offset:         128
        .size:           4
        .value_kind:     hidden_block_count_x
      - .offset:         132
        .size:           4
        .value_kind:     hidden_block_count_y
      - .offset:         136
        .size:           4
        .value_kind:     hidden_block_count_z
      - .offset:         140
        .size:           2
        .value_kind:     hidden_group_size_x
      - .offset:         142
        .size:           2
        .value_kind:     hidden_group_size_y
      - .offset:         144
        .size:           2
        .value_kind:     hidden_group_size_z
      - .offset:         146
        .size:           2
        .value_kind:     hidden_remainder_x
      - .offset:         148
        .size:           2
        .value_kind:     hidden_remainder_y
      - .offset:         150
        .size:           2
        .value_kind:     hidden_remainder_z
      - .offset:         168
        .size:           8
        .value_kind:     hidden_global_offset_x
      - .offset:         176
        .size:           8
        .value_kind:     hidden_global_offset_y
      - .offset:         184
        .size:           8
        .value_kind:     hidden_global_offset_z
      - .offset:         192
        .size:           2
        .value_kind:     hidden_grid_dims
      - .offset:         248
        .size:           4
        .value_kind:     hidden_dynamic_lds_size
    .group_segment_fixed_size: 160
    .kernarg_segment_align: 8
    .kernarg_segment_size: 384
    .language:       OpenCL C
    .language_version:
      - 2
      - 0
    .max_flat_workgroup_size: 1024
    .name:           _ZN4vllm25paged_attention_v1_kernelIffLi32ELi32ELi128ELNS_18Fp8KVCacheDataTypeE0ELb1EEEvPT_PKS2_PKT0_S8_ifPKiSA_iPKfiiiSC_SC_iiiii
    .private_segment_fixed_size: 0
    .sgpr_count:     40
    .sgpr_spill_count: 0
    .symbol:         _ZN4vllm25paged_attention_v1_kernelIffLi32ELi32ELi128ELNS_18Fp8KVCacheDataTypeE0ELb1EEEvPT_PKS2_PKT0_S8_ifPKiSA_iPKfiiiSC_SC_iiiii.kd
    .uniform_work_group_size: 1
    .uses_dynamic_stack: false
    .vgpr_count:     70
    .vgpr_spill_count: 0
    .wavefront_size: 32
    .workgroup_processor_mode: 1
  - .args:
      - .actual_access:  write_only
        .address_space:  global
        .offset:         0
        .size:           8
        .value_kind:     global_buffer
      - .actual_access:  read_only
        .address_space:  global
        .offset:         8
        .size:           8
        .value_kind:     global_buffer
      - .actual_access:  read_only
        .address_space:  global
        .offset:         16
        .size:           8
        .value_kind:     global_buffer
      - .actual_access:  read_only
        .address_space:  global
        .offset:         24
        .size:           8
        .value_kind:     global_buffer
      - .offset:         32
        .size:           4
        .value_kind:     by_value
      - .offset:         36
        .size:           4
        .value_kind:     by_value
      - .actual_access:  read_only
        .address_space:  global
        .offset:         40
        .size:           8
        .value_kind:     global_buffer
      - .actual_access:  read_only
        .address_space:  global
        .offset:         48
        .size:           8
        .value_kind:     global_buffer
      - .offset:         56
        .size:           4
        .value_kind:     by_value
      - .actual_access:  read_only
        .address_space:  global
        .offset:         64
        .size:           8
        .value_kind:     global_buffer
      - .offset:         72
        .size:           4
        .value_kind:     by_value
      - .offset:         76
        .size:           4
        .value_kind:     by_value
      - .offset:         80
        .size:           4
        .value_kind:     by_value
      - .address_space:  global
        .offset:         88
        .size:           8
        .value_kind:     global_buffer
      - .address_space:  global
        .offset:         96
        .size:           8
        .value_kind:     global_buffer
      - .offset:         104
        .size:           4
        .value_kind:     by_value
      - .offset:         108
        .size:           4
        .value_kind:     by_value
      - .offset:         112
        .size:           4
        .value_kind:     by_value
      - .offset:         116
        .size:           4
        .value_kind:     by_value
      - .offset:         120
        .size:           4
        .value_kind:     by_value
      - .offset:         128
        .size:           4
        .value_kind:     hidden_block_count_x
      - .offset:         132
        .size:           4
        .value_kind:     hidden_block_count_y
      - .offset:         136
        .size:           4
        .value_kind:     hidden_block_count_z
      - .offset:         140
        .size:           2
        .value_kind:     hidden_group_size_x
      - .offset:         142
        .size:           2
        .value_kind:     hidden_group_size_y
      - .offset:         144
        .size:           2
        .value_kind:     hidden_group_size_z
      - .offset:         146
        .size:           2
        .value_kind:     hidden_remainder_x
      - .offset:         148
        .size:           2
        .value_kind:     hidden_remainder_y
      - .offset:         150
        .size:           2
        .value_kind:     hidden_remainder_z
      - .offset:         168
        .size:           8
        .value_kind:     hidden_global_offset_x
      - .offset:         176
        .size:           8
        .value_kind:     hidden_global_offset_y
      - .offset:         184
        .size:           8
        .value_kind:     hidden_global_offset_z
      - .offset:         192
        .size:           2
        .value_kind:     hidden_grid_dims
      - .offset:         248
        .size:           4
        .value_kind:     hidden_dynamic_lds_size
    .group_segment_fixed_size: 288
    .kernarg_segment_align: 8
    .kernarg_segment_size: 384
    .language:       OpenCL C
    .language_version:
      - 2
      - 0
    .max_flat_workgroup_size: 1024
    .name:           _ZN4vllm25paged_attention_v1_kernelIffLi64ELi32ELi128ELNS_18Fp8KVCacheDataTypeE0ELb1EEEvPT_PKS2_PKT0_S8_ifPKiSA_iPKfiiiSC_SC_iiiii
    .private_segment_fixed_size: 0
    .sgpr_count:     40
    .sgpr_spill_count: 0
    .symbol:         _ZN4vllm25paged_attention_v1_kernelIffLi64ELi32ELi128ELNS_18Fp8KVCacheDataTypeE0ELb1EEEvPT_PKS2_PKT0_S8_ifPKiSA_iPKfiiiSC_SC_iiiii.kd
    .uniform_work_group_size: 1
    .uses_dynamic_stack: false
    .vgpr_count:     118
    .vgpr_spill_count: 0
    .wavefront_size: 32
    .workgroup_processor_mode: 1
  - .args:
      - .actual_access:  write_only
        .address_space:  global
        .offset:         0
        .size:           8
        .value_kind:     global_buffer
      - .actual_access:  read_only
        .address_space:  global
        .offset:         8
        .size:           8
        .value_kind:     global_buffer
      - .actual_access:  read_only
        .address_space:  global
        .offset:         16
        .size:           8
        .value_kind:     global_buffer
      - .actual_access:  read_only
        .address_space:  global
        .offset:         24
        .size:           8
        .value_kind:     global_buffer
      - .offset:         32
        .size:           4
        .value_kind:     by_value
      - .offset:         36
        .size:           4
        .value_kind:     by_value
      - .actual_access:  read_only
        .address_space:  global
        .offset:         40
        .size:           8
        .value_kind:     global_buffer
      - .actual_access:  read_only
        .address_space:  global
        .offset:         48
        .size:           8
        .value_kind:     global_buffer
      - .offset:         56
        .size:           4
        .value_kind:     by_value
      - .actual_access:  read_only
        .address_space:  global
        .offset:         64
        .size:           8
        .value_kind:     global_buffer
      - .offset:         72
        .size:           4
        .value_kind:     by_value
      - .offset:         76
        .size:           4
        .value_kind:     by_value
      - .offset:         80
        .size:           4
        .value_kind:     by_value
      - .address_space:  global
        .offset:         88
        .size:           8
        .value_kind:     global_buffer
      - .address_space:  global
        .offset:         96
        .size:           8
        .value_kind:     global_buffer
      - .offset:         104
        .size:           4
        .value_kind:     by_value
      - .offset:         108
        .size:           4
        .value_kind:     by_value
      - .offset:         112
        .size:           4
        .value_kind:     by_value
      - .offset:         116
        .size:           4
        .value_kind:     by_value
      - .offset:         120
        .size:           4
        .value_kind:     by_value
      - .offset:         128
        .size:           4
        .value_kind:     hidden_block_count_x
      - .offset:         132
        .size:           4
        .value_kind:     hidden_block_count_y
      - .offset:         136
        .size:           4
        .value_kind:     hidden_block_count_z
      - .offset:         140
        .size:           2
        .value_kind:     hidden_group_size_x
      - .offset:         142
        .size:           2
        .value_kind:     hidden_group_size_y
      - .offset:         144
        .size:           2
        .value_kind:     hidden_group_size_z
      - .offset:         146
        .size:           2
        .value_kind:     hidden_remainder_x
      - .offset:         148
        .size:           2
        .value_kind:     hidden_remainder_y
      - .offset:         150
        .size:           2
        .value_kind:     hidden_remainder_z
      - .offset:         168
        .size:           8
        .value_kind:     hidden_global_offset_x
      - .offset:         176
        .size:           8
        .value_kind:     hidden_global_offset_y
      - .offset:         184
        .size:           8
        .value_kind:     hidden_global_offset_z
      - .offset:         192
        .size:           2
        .value_kind:     hidden_grid_dims
      - .offset:         248
        .size:           4
        .value_kind:     hidden_dynamic_lds_size
    .group_segment_fixed_size: 352
    .kernarg_segment_align: 8
    .kernarg_segment_size: 384
    .language:       OpenCL C
    .language_version:
      - 2
      - 0
    .max_flat_workgroup_size: 1024
    .name:           _ZN4vllm25paged_attention_v1_kernelIffLi80ELi32ELi128ELNS_18Fp8KVCacheDataTypeE0ELb1EEEvPT_PKS2_PKT0_S8_ifPKiSA_iPKfiiiSC_SC_iiiii
    .private_segment_fixed_size: 0
    .sgpr_count:     40
    .sgpr_spill_count: 0
    .symbol:         _ZN4vllm25paged_attention_v1_kernelIffLi80ELi32ELi128ELNS_18Fp8KVCacheDataTypeE0ELb1EEEvPT_PKS2_PKT0_S8_ifPKiSA_iPKfiiiSC_SC_iiiii.kd
    .uniform_work_group_size: 1
    .uses_dynamic_stack: false
    .vgpr_count:     124
    .vgpr_spill_count: 0
    .wavefront_size: 32
    .workgroup_processor_mode: 1
  - .args:
      - .actual_access:  write_only
        .address_space:  global
        .offset:         0
        .size:           8
        .value_kind:     global_buffer
      - .actual_access:  read_only
        .address_space:  global
        .offset:         8
        .size:           8
        .value_kind:     global_buffer
      - .actual_access:  read_only
        .address_space:  global
        .offset:         16
        .size:           8
        .value_kind:     global_buffer
      - .actual_access:  read_only
        .address_space:  global
        .offset:         24
        .size:           8
        .value_kind:     global_buffer
      - .offset:         32
        .size:           4
        .value_kind:     by_value
      - .offset:         36
        .size:           4
        .value_kind:     by_value
      - .actual_access:  read_only
        .address_space:  global
        .offset:         40
        .size:           8
        .value_kind:     global_buffer
      - .actual_access:  read_only
        .address_space:  global
        .offset:         48
        .size:           8
        .value_kind:     global_buffer
      - .offset:         56
        .size:           4
        .value_kind:     by_value
      - .actual_access:  read_only
        .address_space:  global
        .offset:         64
        .size:           8
        .value_kind:     global_buffer
      - .offset:         72
        .size:           4
        .value_kind:     by_value
      - .offset:         76
        .size:           4
        .value_kind:     by_value
      - .offset:         80
        .size:           4
        .value_kind:     by_value
      - .address_space:  global
        .offset:         88
        .size:           8
        .value_kind:     global_buffer
      - .address_space:  global
        .offset:         96
        .size:           8
        .value_kind:     global_buffer
      - .offset:         104
        .size:           4
        .value_kind:     by_value
      - .offset:         108
        .size:           4
        .value_kind:     by_value
      - .offset:         112
        .size:           4
        .value_kind:     by_value
      - .offset:         116
        .size:           4
        .value_kind:     by_value
      - .offset:         120
        .size:           4
        .value_kind:     by_value
      - .offset:         128
        .size:           4
        .value_kind:     hidden_block_count_x
      - .offset:         132
        .size:           4
        .value_kind:     hidden_block_count_y
      - .offset:         136
        .size:           4
        .value_kind:     hidden_block_count_z
      - .offset:         140
        .size:           2
        .value_kind:     hidden_group_size_x
      - .offset:         142
        .size:           2
        .value_kind:     hidden_group_size_y
      - .offset:         144
        .size:           2
        .value_kind:     hidden_group_size_z
      - .offset:         146
        .size:           2
        .value_kind:     hidden_remainder_x
      - .offset:         148
        .size:           2
        .value_kind:     hidden_remainder_y
      - .offset:         150
        .size:           2
        .value_kind:     hidden_remainder_z
      - .offset:         168
        .size:           8
        .value_kind:     hidden_global_offset_x
      - .offset:         176
        .size:           8
        .value_kind:     hidden_global_offset_y
      - .offset:         184
        .size:           8
        .value_kind:     hidden_global_offset_z
      - .offset:         192
        .size:           2
        .value_kind:     hidden_grid_dims
      - .offset:         248
        .size:           4
        .value_kind:     hidden_dynamic_lds_size
    .group_segment_fixed_size: 416
    .kernarg_segment_align: 8
    .kernarg_segment_size: 384
    .language:       OpenCL C
    .language_version:
      - 2
      - 0
    .max_flat_workgroup_size: 1024
    .name:           _ZN4vllm25paged_attention_v1_kernelIffLi96ELi32ELi128ELNS_18Fp8KVCacheDataTypeE0ELb1EEEvPT_PKS2_PKT0_S8_ifPKiSA_iPKfiiiSC_SC_iiiii
    .private_segment_fixed_size: 68
    .sgpr_count:     46
    .sgpr_spill_count: 0
    .symbol:         _ZN4vllm25paged_attention_v1_kernelIffLi96ELi32ELi128ELNS_18Fp8KVCacheDataTypeE0ELb1EEEvPT_PKS2_PKT0_S8_ifPKiSA_iPKfiiiSC_SC_iiiii.kd
    .uniform_work_group_size: 1
    .uses_dynamic_stack: false
    .vgpr_count:     128
    .vgpr_spill_count: 16
    .wavefront_size: 32
    .workgroup_processor_mode: 1
  - .args:
      - .actual_access:  write_only
        .address_space:  global
        .offset:         0
        .size:           8
        .value_kind:     global_buffer
      - .actual_access:  read_only
        .address_space:  global
        .offset:         8
        .size:           8
        .value_kind:     global_buffer
      - .actual_access:  read_only
        .address_space:  global
        .offset:         16
        .size:           8
        .value_kind:     global_buffer
      - .actual_access:  read_only
        .address_space:  global
        .offset:         24
        .size:           8
        .value_kind:     global_buffer
      - .offset:         32
        .size:           4
        .value_kind:     by_value
      - .offset:         36
        .size:           4
        .value_kind:     by_value
      - .actual_access:  read_only
        .address_space:  global
        .offset:         40
        .size:           8
        .value_kind:     global_buffer
      - .actual_access:  read_only
        .address_space:  global
        .offset:         48
        .size:           8
        .value_kind:     global_buffer
      - .offset:         56
        .size:           4
        .value_kind:     by_value
      - .actual_access:  read_only
        .address_space:  global
        .offset:         64
        .size:           8
        .value_kind:     global_buffer
      - .offset:         72
        .size:           4
        .value_kind:     by_value
      - .offset:         76
        .size:           4
        .value_kind:     by_value
      - .offset:         80
        .size:           4
        .value_kind:     by_value
      - .address_space:  global
        .offset:         88
        .size:           8
        .value_kind:     global_buffer
      - .address_space:  global
        .offset:         96
        .size:           8
        .value_kind:     global_buffer
      - .offset:         104
        .size:           4
        .value_kind:     by_value
      - .offset:         108
        .size:           4
        .value_kind:     by_value
      - .offset:         112
        .size:           4
        .value_kind:     by_value
      - .offset:         116
        .size:           4
        .value_kind:     by_value
      - .offset:         120
        .size:           4
        .value_kind:     by_value
      - .offset:         128
        .size:           4
        .value_kind:     hidden_block_count_x
      - .offset:         132
        .size:           4
        .value_kind:     hidden_block_count_y
      - .offset:         136
        .size:           4
        .value_kind:     hidden_block_count_z
      - .offset:         140
        .size:           2
        .value_kind:     hidden_group_size_x
      - .offset:         142
        .size:           2
        .value_kind:     hidden_group_size_y
      - .offset:         144
        .size:           2
        .value_kind:     hidden_group_size_z
      - .offset:         146
        .size:           2
        .value_kind:     hidden_remainder_x
      - .offset:         148
        .size:           2
        .value_kind:     hidden_remainder_y
      - .offset:         150
        .size:           2
        .value_kind:     hidden_remainder_z
      - .offset:         168
        .size:           8
        .value_kind:     hidden_global_offset_x
      - .offset:         176
        .size:           8
        .value_kind:     hidden_global_offset_y
      - .offset:         184
        .size:           8
        .value_kind:     hidden_global_offset_z
      - .offset:         192
        .size:           2
        .value_kind:     hidden_grid_dims
      - .offset:         248
        .size:           4
        .value_kind:     hidden_dynamic_lds_size
    .group_segment_fixed_size: 480
    .kernarg_segment_align: 8
    .kernarg_segment_size: 384
    .language:       OpenCL C
    .language_version:
      - 2
      - 0
    .max_flat_workgroup_size: 1024
    .name:           _ZN4vllm25paged_attention_v1_kernelIffLi112ELi32ELi128ELNS_18Fp8KVCacheDataTypeE0ELb1EEEvPT_PKS2_PKT0_S8_ifPKiSA_iPKfiiiSC_SC_iiiii
    .private_segment_fixed_size: 172
    .sgpr_count:     46
    .sgpr_spill_count: 0
    .symbol:         _ZN4vllm25paged_attention_v1_kernelIffLi112ELi32ELi128ELNS_18Fp8KVCacheDataTypeE0ELb1EEEvPT_PKS2_PKT0_S8_ifPKiSA_iPKfiiiSC_SC_iiiii.kd
    .uniform_work_group_size: 1
    .uses_dynamic_stack: false
    .vgpr_count:     128
    .vgpr_spill_count: 66
    .wavefront_size: 32
    .workgroup_processor_mode: 1
  - .args:
      - .actual_access:  write_only
        .address_space:  global
        .offset:         0
        .size:           8
        .value_kind:     global_buffer
      - .actual_access:  read_only
        .address_space:  global
        .offset:         8
        .size:           8
        .value_kind:     global_buffer
      - .actual_access:  read_only
        .address_space:  global
        .offset:         16
        .size:           8
        .value_kind:     global_buffer
      - .actual_access:  read_only
        .address_space:  global
        .offset:         24
        .size:           8
        .value_kind:     global_buffer
      - .offset:         32
        .size:           4
        .value_kind:     by_value
      - .offset:         36
        .size:           4
        .value_kind:     by_value
      - .actual_access:  read_only
        .address_space:  global
        .offset:         40
        .size:           8
        .value_kind:     global_buffer
      - .actual_access:  read_only
        .address_space:  global
        .offset:         48
        .size:           8
        .value_kind:     global_buffer
      - .offset:         56
        .size:           4
        .value_kind:     by_value
      - .actual_access:  read_only
        .address_space:  global
        .offset:         64
        .size:           8
        .value_kind:     global_buffer
      - .offset:         72
        .size:           4
        .value_kind:     by_value
      - .offset:         76
        .size:           4
        .value_kind:     by_value
      - .offset:         80
        .size:           4
        .value_kind:     by_value
      - .address_space:  global
        .offset:         88
        .size:           8
        .value_kind:     global_buffer
      - .address_space:  global
        .offset:         96
        .size:           8
        .value_kind:     global_buffer
      - .offset:         104
        .size:           4
        .value_kind:     by_value
      - .offset:         108
        .size:           4
        .value_kind:     by_value
      - .offset:         112
        .size:           4
        .value_kind:     by_value
      - .offset:         116
        .size:           4
        .value_kind:     by_value
      - .offset:         120
        .size:           4
        .value_kind:     by_value
      - .offset:         128
        .size:           4
        .value_kind:     hidden_block_count_x
      - .offset:         132
        .size:           4
        .value_kind:     hidden_block_count_y
      - .offset:         136
        .size:           4
        .value_kind:     hidden_block_count_z
      - .offset:         140
        .size:           2
        .value_kind:     hidden_group_size_x
      - .offset:         142
        .size:           2
        .value_kind:     hidden_group_size_y
      - .offset:         144
        .size:           2
        .value_kind:     hidden_group_size_z
      - .offset:         146
        .size:           2
        .value_kind:     hidden_remainder_x
      - .offset:         148
        .size:           2
        .value_kind:     hidden_remainder_y
      - .offset:         150
        .size:           2
        .value_kind:     hidden_remainder_z
      - .offset:         168
        .size:           8
        .value_kind:     hidden_global_offset_x
      - .offset:         176
        .size:           8
        .value_kind:     hidden_global_offset_y
      - .offset:         184
        .size:           8
        .value_kind:     hidden_global_offset_z
      - .offset:         192
        .size:           2
        .value_kind:     hidden_grid_dims
      - .offset:         248
        .size:           4
        .value_kind:     hidden_dynamic_lds_size
    .group_segment_fixed_size: 512
    .kernarg_segment_align: 8
    .kernarg_segment_size: 384
    .language:       OpenCL C
    .language_version:
      - 2
      - 0
    .max_flat_workgroup_size: 1024
    .name:           _ZN4vllm25paged_attention_v1_kernelIffLi120ELi32ELi128ELNS_18Fp8KVCacheDataTypeE0ELb1EEEvPT_PKS2_PKT0_S8_ifPKiSA_iPKfiiiSC_SC_iiiii
    .private_segment_fixed_size: 224
    .sgpr_count:     46
    .sgpr_spill_count: 0
    .symbol:         _ZN4vllm25paged_attention_v1_kernelIffLi120ELi32ELi128ELNS_18Fp8KVCacheDataTypeE0ELb1EEEvPT_PKS2_PKT0_S8_ifPKiSA_iPKfiiiSC_SC_iiiii.kd
    .uniform_work_group_size: 1
    .uses_dynamic_stack: false
    .vgpr_count:     128
    .vgpr_spill_count: 90
    .wavefront_size: 32
    .workgroup_processor_mode: 1
  - .args:
      - .actual_access:  write_only
        .address_space:  global
        .offset:         0
        .size:           8
        .value_kind:     global_buffer
      - .actual_access:  read_only
        .address_space:  global
        .offset:         8
        .size:           8
        .value_kind:     global_buffer
      - .actual_access:  read_only
        .address_space:  global
        .offset:         16
        .size:           8
        .value_kind:     global_buffer
      - .actual_access:  read_only
        .address_space:  global
        .offset:         24
        .size:           8
        .value_kind:     global_buffer
      - .offset:         32
        .size:           4
        .value_kind:     by_value
      - .offset:         36
        .size:           4
        .value_kind:     by_value
      - .actual_access:  read_only
        .address_space:  global
        .offset:         40
        .size:           8
        .value_kind:     global_buffer
      - .actual_access:  read_only
        .address_space:  global
        .offset:         48
        .size:           8
        .value_kind:     global_buffer
      - .offset:         56
        .size:           4
        .value_kind:     by_value
      - .actual_access:  read_only
        .address_space:  global
        .offset:         64
        .size:           8
        .value_kind:     global_buffer
      - .offset:         72
        .size:           4
        .value_kind:     by_value
      - .offset:         76
        .size:           4
        .value_kind:     by_value
      - .offset:         80
        .size:           4
        .value_kind:     by_value
      - .address_space:  global
        .offset:         88
        .size:           8
        .value_kind:     global_buffer
      - .address_space:  global
        .offset:         96
        .size:           8
        .value_kind:     global_buffer
      - .offset:         104
        .size:           4
        .value_kind:     by_value
      - .offset:         108
        .size:           4
        .value_kind:     by_value
      - .offset:         112
        .size:           4
        .value_kind:     by_value
      - .offset:         116
        .size:           4
        .value_kind:     by_value
      - .offset:         120
        .size:           4
        .value_kind:     by_value
      - .offset:         128
        .size:           4
        .value_kind:     hidden_block_count_x
      - .offset:         132
        .size:           4
        .value_kind:     hidden_block_count_y
      - .offset:         136
        .size:           4
        .value_kind:     hidden_block_count_z
      - .offset:         140
        .size:           2
        .value_kind:     hidden_group_size_x
      - .offset:         142
        .size:           2
        .value_kind:     hidden_group_size_y
      - .offset:         144
        .size:           2
        .value_kind:     hidden_group_size_z
      - .offset:         146
        .size:           2
        .value_kind:     hidden_remainder_x
      - .offset:         148
        .size:           2
        .value_kind:     hidden_remainder_y
      - .offset:         150
        .size:           2
        .value_kind:     hidden_remainder_z
      - .offset:         168
        .size:           8
        .value_kind:     hidden_global_offset_x
      - .offset:         176
        .size:           8
        .value_kind:     hidden_global_offset_y
      - .offset:         184
        .size:           8
        .value_kind:     hidden_global_offset_z
      - .offset:         192
        .size:           2
        .value_kind:     hidden_grid_dims
      - .offset:         248
        .size:           4
        .value_kind:     hidden_dynamic_lds_size
    .group_segment_fixed_size: 544
    .kernarg_segment_align: 8
    .kernarg_segment_size: 384
    .language:       OpenCL C
    .language_version:
      - 2
      - 0
    .max_flat_workgroup_size: 1024
    .name:           _ZN4vllm25paged_attention_v1_kernelIffLi128ELi32ELi128ELNS_18Fp8KVCacheDataTypeE0ELb1EEEvPT_PKS2_PKT0_S8_ifPKiSA_iPKfiiiSC_SC_iiiii
    .private_segment_fixed_size: 288
    .sgpr_count:     46
    .sgpr_spill_count: 0
    .symbol:         _ZN4vllm25paged_attention_v1_kernelIffLi128ELi32ELi128ELNS_18Fp8KVCacheDataTypeE0ELb1EEEvPT_PKS2_PKT0_S8_ifPKiSA_iPKfiiiSC_SC_iiiii.kd
    .uniform_work_group_size: 1
    .uses_dynamic_stack: false
    .vgpr_count:     128
    .vgpr_spill_count: 99
    .wavefront_size: 32
    .workgroup_processor_mode: 1
  - .args:
      - .actual_access:  write_only
        .address_space:  global
        .offset:         0
        .size:           8
        .value_kind:     global_buffer
      - .actual_access:  read_only
        .address_space:  global
        .offset:         8
        .size:           8
        .value_kind:     global_buffer
      - .actual_access:  read_only
        .address_space:  global
        .offset:         16
        .size:           8
        .value_kind:     global_buffer
      - .actual_access:  read_only
        .address_space:  global
        .offset:         24
        .size:           8
        .value_kind:     global_buffer
      - .offset:         32
        .size:           4
        .value_kind:     by_value
      - .offset:         36
        .size:           4
        .value_kind:     by_value
      - .actual_access:  read_only
        .address_space:  global
        .offset:         40
        .size:           8
        .value_kind:     global_buffer
      - .actual_access:  read_only
        .address_space:  global
        .offset:         48
        .size:           8
        .value_kind:     global_buffer
      - .offset:         56
        .size:           4
        .value_kind:     by_value
      - .actual_access:  read_only
        .address_space:  global
        .offset:         64
        .size:           8
        .value_kind:     global_buffer
      - .offset:         72
        .size:           4
        .value_kind:     by_value
      - .offset:         76
        .size:           4
        .value_kind:     by_value
      - .offset:         80
        .size:           4
        .value_kind:     by_value
      - .address_space:  global
        .offset:         88
        .size:           8
        .value_kind:     global_buffer
      - .address_space:  global
        .offset:         96
        .size:           8
        .value_kind:     global_buffer
      - .offset:         104
        .size:           4
        .value_kind:     by_value
      - .offset:         108
        .size:           4
        .value_kind:     by_value
      - .offset:         112
        .size:           4
        .value_kind:     by_value
      - .offset:         116
        .size:           4
        .value_kind:     by_value
      - .offset:         120
        .size:           4
        .value_kind:     by_value
      - .offset:         128
        .size:           4
        .value_kind:     hidden_block_count_x
      - .offset:         132
        .size:           4
        .value_kind:     hidden_block_count_y
      - .offset:         136
        .size:           4
        .value_kind:     hidden_block_count_z
      - .offset:         140
        .size:           2
        .value_kind:     hidden_group_size_x
      - .offset:         142
        .size:           2
        .value_kind:     hidden_group_size_y
      - .offset:         144
        .size:           2
        .value_kind:     hidden_group_size_z
      - .offset:         146
        .size:           2
        .value_kind:     hidden_remainder_x
      - .offset:         148
        .size:           2
        .value_kind:     hidden_remainder_y
      - .offset:         150
        .size:           2
        .value_kind:     hidden_remainder_z
      - .offset:         168
        .size:           8
        .value_kind:     hidden_global_offset_x
      - .offset:         176
        .size:           8
        .value_kind:     hidden_global_offset_y
      - .offset:         184
        .size:           8
        .value_kind:     hidden_global_offset_z
      - .offset:         192
        .size:           2
        .value_kind:     hidden_grid_dims
      - .offset:         248
        .size:           4
        .value_kind:     hidden_dynamic_lds_size
    .group_segment_fixed_size: 800
    .kernarg_segment_align: 8
    .kernarg_segment_size: 384
    .language:       OpenCL C
    .language_version:
      - 2
      - 0
    .max_flat_workgroup_size: 1024
    .name:           _ZN4vllm25paged_attention_v1_kernelIffLi192ELi32ELi128ELNS_18Fp8KVCacheDataTypeE0ELb1EEEvPT_PKS2_PKT0_S8_ifPKiSA_iPKfiiiSC_SC_iiiii
    .private_segment_fixed_size: 596
    .sgpr_count:     46
    .sgpr_spill_count: 0
    .symbol:         _ZN4vllm25paged_attention_v1_kernelIffLi192ELi32ELi128ELNS_18Fp8KVCacheDataTypeE0ELb1EEEvPT_PKS2_PKT0_S8_ifPKiSA_iPKfiiiSC_SC_iiiii.kd
    .uniform_work_group_size: 1
    .uses_dynamic_stack: false
    .vgpr_count:     128
    .vgpr_spill_count: 351
    .wavefront_size: 32
    .workgroup_processor_mode: 1
  - .args:
      - .actual_access:  write_only
        .address_space:  global
        .offset:         0
        .size:           8
        .value_kind:     global_buffer
      - .actual_access:  read_only
        .address_space:  global
        .offset:         8
        .size:           8
        .value_kind:     global_buffer
      - .actual_access:  read_only
        .address_space:  global
        .offset:         16
        .size:           8
        .value_kind:     global_buffer
      - .actual_access:  read_only
        .address_space:  global
        .offset:         24
        .size:           8
        .value_kind:     global_buffer
      - .offset:         32
        .size:           4
        .value_kind:     by_value
      - .offset:         36
        .size:           4
        .value_kind:     by_value
      - .actual_access:  read_only
        .address_space:  global
        .offset:         40
        .size:           8
        .value_kind:     global_buffer
      - .actual_access:  read_only
        .address_space:  global
        .offset:         48
        .size:           8
        .value_kind:     global_buffer
      - .offset:         56
        .size:           4
        .value_kind:     by_value
      - .actual_access:  read_only
        .address_space:  global
        .offset:         64
        .size:           8
        .value_kind:     global_buffer
      - .offset:         72
        .size:           4
        .value_kind:     by_value
      - .offset:         76
        .size:           4
        .value_kind:     by_value
      - .offset:         80
        .size:           4
        .value_kind:     by_value
      - .address_space:  global
        .offset:         88
        .size:           8
        .value_kind:     global_buffer
      - .address_space:  global
        .offset:         96
        .size:           8
        .value_kind:     global_buffer
      - .offset:         104
        .size:           4
        .value_kind:     by_value
      - .offset:         108
        .size:           4
        .value_kind:     by_value
      - .offset:         112
        .size:           4
        .value_kind:     by_value
      - .offset:         116
        .size:           4
        .value_kind:     by_value
      - .offset:         120
        .size:           4
        .value_kind:     by_value
      - .offset:         128
        .size:           4
        .value_kind:     hidden_block_count_x
      - .offset:         132
        .size:           4
        .value_kind:     hidden_block_count_y
      - .offset:         136
        .size:           4
        .value_kind:     hidden_block_count_z
      - .offset:         140
        .size:           2
        .value_kind:     hidden_group_size_x
      - .offset:         142
        .size:           2
        .value_kind:     hidden_group_size_y
      - .offset:         144
        .size:           2
        .value_kind:     hidden_group_size_z
      - .offset:         146
        .size:           2
        .value_kind:     hidden_remainder_x
      - .offset:         148
        .size:           2
        .value_kind:     hidden_remainder_y
      - .offset:         150
        .size:           2
        .value_kind:     hidden_remainder_z
      - .offset:         168
        .size:           8
        .value_kind:     hidden_global_offset_x
      - .offset:         176
        .size:           8
        .value_kind:     hidden_global_offset_y
      - .offset:         184
        .size:           8
        .value_kind:     hidden_global_offset_z
      - .offset:         192
        .size:           2
        .value_kind:     hidden_grid_dims
      - .offset:         248
        .size:           4
        .value_kind:     hidden_dynamic_lds_size
    .group_segment_fixed_size: 1056
    .kernarg_segment_align: 8
    .kernarg_segment_size: 384
    .language:       OpenCL C
    .language_version:
      - 2
      - 0
    .max_flat_workgroup_size: 1024
    .name:           _ZN4vllm25paged_attention_v1_kernelIffLi256ELi32ELi128ELNS_18Fp8KVCacheDataTypeE0ELb1EEEvPT_PKS2_PKT0_S8_ifPKiSA_iPKfiiiSC_SC_iiiii
    .private_segment_fixed_size: 916
    .sgpr_count:     46
    .sgpr_spill_count: 0
    .symbol:         _ZN4vllm25paged_attention_v1_kernelIffLi256ELi32ELi128ELNS_18Fp8KVCacheDataTypeE0ELb1EEEvPT_PKS2_PKT0_S8_ifPKiSA_iPKfiiiSC_SC_iiiii.kd
    .uniform_work_group_size: 1
    .uses_dynamic_stack: false
    .vgpr_count:     128
    .vgpr_spill_count: 619
    .wavefront_size: 32
    .workgroup_processor_mode: 1
  - .args:
      - .actual_access:  write_only
        .address_space:  global
        .offset:         0
        .size:           8
        .value_kind:     global_buffer
      - .actual_access:  read_only
        .address_space:  global
        .offset:         8
        .size:           8
        .value_kind:     global_buffer
      - .actual_access:  read_only
        .address_space:  global
        .offset:         16
        .size:           8
        .value_kind:     global_buffer
      - .actual_access:  read_only
        .address_space:  global
        .offset:         24
        .size:           8
        .value_kind:     global_buffer
      - .offset:         32
        .size:           4
        .value_kind:     by_value
      - .offset:         36
        .size:           4
        .value_kind:     by_value
      - .actual_access:  read_only
        .address_space:  global
        .offset:         40
        .size:           8
        .value_kind:     global_buffer
      - .actual_access:  read_only
        .address_space:  global
        .offset:         48
        .size:           8
        .value_kind:     global_buffer
      - .offset:         56
        .size:           4
        .value_kind:     by_value
      - .actual_access:  read_only
        .address_space:  global
        .offset:         64
        .size:           8
        .value_kind:     global_buffer
      - .offset:         72
        .size:           4
        .value_kind:     by_value
      - .offset:         76
        .size:           4
        .value_kind:     by_value
      - .offset:         80
        .size:           4
        .value_kind:     by_value
      - .address_space:  global
        .offset:         88
        .size:           8
        .value_kind:     global_buffer
      - .address_space:  global
        .offset:         96
        .size:           8
        .value_kind:     global_buffer
      - .offset:         104
        .size:           4
        .value_kind:     by_value
      - .offset:         108
        .size:           4
        .value_kind:     by_value
      - .offset:         112
        .size:           4
        .value_kind:     by_value
      - .offset:         116
        .size:           4
        .value_kind:     by_value
      - .offset:         120
        .size:           4
        .value_kind:     by_value
      - .offset:         128
        .size:           4
        .value_kind:     hidden_block_count_x
      - .offset:         132
        .size:           4
        .value_kind:     hidden_block_count_y
      - .offset:         136
        .size:           4
        .value_kind:     hidden_block_count_z
      - .offset:         140
        .size:           2
        .value_kind:     hidden_group_size_x
      - .offset:         142
        .size:           2
        .value_kind:     hidden_group_size_y
      - .offset:         144
        .size:           2
        .value_kind:     hidden_group_size_z
      - .offset:         146
        .size:           2
        .value_kind:     hidden_remainder_x
      - .offset:         148
        .size:           2
        .value_kind:     hidden_remainder_y
      - .offset:         150
        .size:           2
        .value_kind:     hidden_remainder_z
      - .offset:         168
        .size:           8
        .value_kind:     hidden_global_offset_x
      - .offset:         176
        .size:           8
        .value_kind:     hidden_global_offset_y
      - .offset:         184
        .size:           8
        .value_kind:     hidden_global_offset_z
      - .offset:         192
        .size:           2
        .value_kind:     hidden_grid_dims
      - .offset:         248
        .size:           4
        .value_kind:     hidden_dynamic_lds_size
    .group_segment_fixed_size: 160
    .kernarg_segment_align: 8
    .kernarg_segment_size: 384
    .language:       OpenCL C
    .language_version:
      - 2
      - 0
    .max_flat_workgroup_size: 1024
    .name:           _ZN4vllm25paged_attention_v1_kernelIffLi32ELi32ELi128ELNS_18Fp8KVCacheDataTypeE0ELb0EEEvPT_PKS2_PKT0_S8_ifPKiSA_iPKfiiiSC_SC_iiiii
    .private_segment_fixed_size: 0
    .sgpr_count:     30
    .sgpr_spill_count: 0
    .symbol:         _ZN4vllm25paged_attention_v1_kernelIffLi32ELi32ELi128ELNS_18Fp8KVCacheDataTypeE0ELb0EEEvPT_PKS2_PKT0_S8_ifPKiSA_iPKfiiiSC_SC_iiiii.kd
    .uniform_work_group_size: 1
    .uses_dynamic_stack: false
    .vgpr_count:     66
    .vgpr_spill_count: 0
    .wavefront_size: 32
    .workgroup_processor_mode: 1
  - .args:
      - .actual_access:  write_only
        .address_space:  global
        .offset:         0
        .size:           8
        .value_kind:     global_buffer
      - .actual_access:  read_only
        .address_space:  global
        .offset:         8
        .size:           8
        .value_kind:     global_buffer
      - .actual_access:  read_only
        .address_space:  global
        .offset:         16
        .size:           8
        .value_kind:     global_buffer
      - .actual_access:  read_only
        .address_space:  global
        .offset:         24
        .size:           8
        .value_kind:     global_buffer
      - .offset:         32
        .size:           4
        .value_kind:     by_value
      - .offset:         36
        .size:           4
        .value_kind:     by_value
      - .actual_access:  read_only
        .address_space:  global
        .offset:         40
        .size:           8
        .value_kind:     global_buffer
      - .actual_access:  read_only
        .address_space:  global
        .offset:         48
        .size:           8
        .value_kind:     global_buffer
      - .offset:         56
        .size:           4
        .value_kind:     by_value
      - .actual_access:  read_only
        .address_space:  global
        .offset:         64
        .size:           8
        .value_kind:     global_buffer
      - .offset:         72
        .size:           4
        .value_kind:     by_value
      - .offset:         76
        .size:           4
        .value_kind:     by_value
      - .offset:         80
        .size:           4
        .value_kind:     by_value
      - .address_space:  global
        .offset:         88
        .size:           8
        .value_kind:     global_buffer
      - .address_space:  global
        .offset:         96
        .size:           8
        .value_kind:     global_buffer
      - .offset:         104
        .size:           4
        .value_kind:     by_value
      - .offset:         108
        .size:           4
        .value_kind:     by_value
      - .offset:         112
        .size:           4
        .value_kind:     by_value
      - .offset:         116
        .size:           4
        .value_kind:     by_value
      - .offset:         120
        .size:           4
        .value_kind:     by_value
      - .offset:         128
        .size:           4
        .value_kind:     hidden_block_count_x
      - .offset:         132
        .size:           4
        .value_kind:     hidden_block_count_y
      - .offset:         136
        .size:           4
        .value_kind:     hidden_block_count_z
      - .offset:         140
        .size:           2
        .value_kind:     hidden_group_size_x
      - .offset:         142
        .size:           2
        .value_kind:     hidden_group_size_y
      - .offset:         144
        .size:           2
        .value_kind:     hidden_group_size_z
      - .offset:         146
        .size:           2
        .value_kind:     hidden_remainder_x
      - .offset:         148
        .size:           2
        .value_kind:     hidden_remainder_y
      - .offset:         150
        .size:           2
        .value_kind:     hidden_remainder_z
      - .offset:         168
        .size:           8
        .value_kind:     hidden_global_offset_x
      - .offset:         176
        .size:           8
        .value_kind:     hidden_global_offset_y
      - .offset:         184
        .size:           8
        .value_kind:     hidden_global_offset_z
      - .offset:         192
        .size:           2
        .value_kind:     hidden_grid_dims
      - .offset:         248
        .size:           4
        .value_kind:     hidden_dynamic_lds_size
    .group_segment_fixed_size: 288
    .kernarg_segment_align: 8
    .kernarg_segment_size: 384
    .language:       OpenCL C
    .language_version:
      - 2
      - 0
    .max_flat_workgroup_size: 1024
    .name:           _ZN4vllm25paged_attention_v1_kernelIffLi64ELi32ELi128ELNS_18Fp8KVCacheDataTypeE0ELb0EEEvPT_PKS2_PKT0_S8_ifPKiSA_iPKfiiiSC_SC_iiiii
    .private_segment_fixed_size: 0
    .sgpr_count:     30
    .sgpr_spill_count: 0
    .symbol:         _ZN4vllm25paged_attention_v1_kernelIffLi64ELi32ELi128ELNS_18Fp8KVCacheDataTypeE0ELb0EEEvPT_PKS2_PKT0_S8_ifPKiSA_iPKfiiiSC_SC_iiiii.kd
    .uniform_work_group_size: 1
    .uses_dynamic_stack: false
    .vgpr_count:     114
    .vgpr_spill_count: 0
    .wavefront_size: 32
    .workgroup_processor_mode: 1
  - .args:
      - .actual_access:  write_only
        .address_space:  global
        .offset:         0
        .size:           8
        .value_kind:     global_buffer
      - .actual_access:  read_only
        .address_space:  global
        .offset:         8
        .size:           8
        .value_kind:     global_buffer
      - .actual_access:  read_only
        .address_space:  global
        .offset:         16
        .size:           8
        .value_kind:     global_buffer
      - .actual_access:  read_only
        .address_space:  global
        .offset:         24
        .size:           8
        .value_kind:     global_buffer
      - .offset:         32
        .size:           4
        .value_kind:     by_value
      - .offset:         36
        .size:           4
        .value_kind:     by_value
      - .actual_access:  read_only
        .address_space:  global
        .offset:         40
        .size:           8
        .value_kind:     global_buffer
      - .actual_access:  read_only
        .address_space:  global
        .offset:         48
        .size:           8
        .value_kind:     global_buffer
      - .offset:         56
        .size:           4
        .value_kind:     by_value
      - .actual_access:  read_only
        .address_space:  global
        .offset:         64
        .size:           8
        .value_kind:     global_buffer
      - .offset:         72
        .size:           4
        .value_kind:     by_value
      - .offset:         76
        .size:           4
        .value_kind:     by_value
      - .offset:         80
        .size:           4
        .value_kind:     by_value
      - .address_space:  global
        .offset:         88
        .size:           8
        .value_kind:     global_buffer
      - .address_space:  global
        .offset:         96
        .size:           8
        .value_kind:     global_buffer
      - .offset:         104
        .size:           4
        .value_kind:     by_value
      - .offset:         108
        .size:           4
        .value_kind:     by_value
      - .offset:         112
        .size:           4
        .value_kind:     by_value
      - .offset:         116
        .size:           4
        .value_kind:     by_value
      - .offset:         120
        .size:           4
        .value_kind:     by_value
      - .offset:         128
        .size:           4
        .value_kind:     hidden_block_count_x
      - .offset:         132
        .size:           4
        .value_kind:     hidden_block_count_y
      - .offset:         136
        .size:           4
        .value_kind:     hidden_block_count_z
      - .offset:         140
        .size:           2
        .value_kind:     hidden_group_size_x
      - .offset:         142
        .size:           2
        .value_kind:     hidden_group_size_y
      - .offset:         144
        .size:           2
        .value_kind:     hidden_group_size_z
      - .offset:         146
        .size:           2
        .value_kind:     hidden_remainder_x
      - .offset:         148
        .size:           2
        .value_kind:     hidden_remainder_y
      - .offset:         150
        .size:           2
        .value_kind:     hidden_remainder_z
      - .offset:         168
        .size:           8
        .value_kind:     hidden_global_offset_x
      - .offset:         176
        .size:           8
        .value_kind:     hidden_global_offset_y
      - .offset:         184
        .size:           8
        .value_kind:     hidden_global_offset_z
      - .offset:         192
        .size:           2
        .value_kind:     hidden_grid_dims
      - .offset:         248
        .size:           4
        .value_kind:     hidden_dynamic_lds_size
    .group_segment_fixed_size: 352
    .kernarg_segment_align: 8
    .kernarg_segment_size: 384
    .language:       OpenCL C
    .language_version:
      - 2
      - 0
    .max_flat_workgroup_size: 1024
    .name:           _ZN4vllm25paged_attention_v1_kernelIffLi80ELi32ELi128ELNS_18Fp8KVCacheDataTypeE0ELb0EEEvPT_PKS2_PKT0_S8_ifPKiSA_iPKfiiiSC_SC_iiiii
    .private_segment_fixed_size: 0
    .sgpr_count:     30
    .sgpr_spill_count: 0
    .symbol:         _ZN4vllm25paged_attention_v1_kernelIffLi80ELi32ELi128ELNS_18Fp8KVCacheDataTypeE0ELb0EEEvPT_PKS2_PKT0_S8_ifPKiSA_iPKfiiiSC_SC_iiiii.kd
    .uniform_work_group_size: 1
    .uses_dynamic_stack: false
    .vgpr_count:     121
    .vgpr_spill_count: 0
    .wavefront_size: 32
    .workgroup_processor_mode: 1
  - .args:
      - .actual_access:  write_only
        .address_space:  global
        .offset:         0
        .size:           8
        .value_kind:     global_buffer
      - .actual_access:  read_only
        .address_space:  global
        .offset:         8
        .size:           8
        .value_kind:     global_buffer
      - .actual_access:  read_only
        .address_space:  global
        .offset:         16
        .size:           8
        .value_kind:     global_buffer
      - .actual_access:  read_only
        .address_space:  global
        .offset:         24
        .size:           8
        .value_kind:     global_buffer
      - .offset:         32
        .size:           4
        .value_kind:     by_value
      - .offset:         36
        .size:           4
        .value_kind:     by_value
      - .actual_access:  read_only
        .address_space:  global
        .offset:         40
        .size:           8
        .value_kind:     global_buffer
      - .actual_access:  read_only
        .address_space:  global
        .offset:         48
        .size:           8
        .value_kind:     global_buffer
      - .offset:         56
        .size:           4
        .value_kind:     by_value
      - .actual_access:  read_only
        .address_space:  global
        .offset:         64
        .size:           8
        .value_kind:     global_buffer
      - .offset:         72
        .size:           4
        .value_kind:     by_value
      - .offset:         76
        .size:           4
        .value_kind:     by_value
      - .offset:         80
        .size:           4
        .value_kind:     by_value
      - .address_space:  global
        .offset:         88
        .size:           8
        .value_kind:     global_buffer
      - .address_space:  global
        .offset:         96
        .size:           8
        .value_kind:     global_buffer
      - .offset:         104
        .size:           4
        .value_kind:     by_value
      - .offset:         108
        .size:           4
        .value_kind:     by_value
      - .offset:         112
        .size:           4
        .value_kind:     by_value
      - .offset:         116
        .size:           4
        .value_kind:     by_value
      - .offset:         120
        .size:           4
        .value_kind:     by_value
      - .offset:         128
        .size:           4
        .value_kind:     hidden_block_count_x
      - .offset:         132
        .size:           4
        .value_kind:     hidden_block_count_y
      - .offset:         136
        .size:           4
        .value_kind:     hidden_block_count_z
      - .offset:         140
        .size:           2
        .value_kind:     hidden_group_size_x
      - .offset:         142
        .size:           2
        .value_kind:     hidden_group_size_y
      - .offset:         144
        .size:           2
        .value_kind:     hidden_group_size_z
      - .offset:         146
        .size:           2
        .value_kind:     hidden_remainder_x
      - .offset:         148
        .size:           2
        .value_kind:     hidden_remainder_y
      - .offset:         150
        .size:           2
        .value_kind:     hidden_remainder_z
      - .offset:         168
        .size:           8
        .value_kind:     hidden_global_offset_x
      - .offset:         176
        .size:           8
        .value_kind:     hidden_global_offset_y
      - .offset:         184
        .size:           8
        .value_kind:     hidden_global_offset_z
      - .offset:         192
        .size:           2
        .value_kind:     hidden_grid_dims
      - .offset:         248
        .size:           4
        .value_kind:     hidden_dynamic_lds_size
    .group_segment_fixed_size: 416
    .kernarg_segment_align: 8
    .kernarg_segment_size: 384
    .language:       OpenCL C
    .language_version:
      - 2
      - 0
    .max_flat_workgroup_size: 1024
    .name:           _ZN4vllm25paged_attention_v1_kernelIffLi96ELi32ELi128ELNS_18Fp8KVCacheDataTypeE0ELb0EEEvPT_PKS2_PKT0_S8_ifPKiSA_iPKfiiiSC_SC_iiiii
    .private_segment_fixed_size: 56
    .sgpr_count:     34
    .sgpr_spill_count: 0
    .symbol:         _ZN4vllm25paged_attention_v1_kernelIffLi96ELi32ELi128ELNS_18Fp8KVCacheDataTypeE0ELb0EEEvPT_PKS2_PKT0_S8_ifPKiSA_iPKfiiiSC_SC_iiiii.kd
    .uniform_work_group_size: 1
    .uses_dynamic_stack: false
    .vgpr_count:     128
    .vgpr_spill_count: 15
    .wavefront_size: 32
    .workgroup_processor_mode: 1
  - .args:
      - .actual_access:  write_only
        .address_space:  global
        .offset:         0
        .size:           8
        .value_kind:     global_buffer
      - .actual_access:  read_only
        .address_space:  global
        .offset:         8
        .size:           8
        .value_kind:     global_buffer
      - .actual_access:  read_only
        .address_space:  global
        .offset:         16
        .size:           8
        .value_kind:     global_buffer
      - .actual_access:  read_only
        .address_space:  global
        .offset:         24
        .size:           8
        .value_kind:     global_buffer
      - .offset:         32
        .size:           4
        .value_kind:     by_value
      - .offset:         36
        .size:           4
        .value_kind:     by_value
      - .actual_access:  read_only
        .address_space:  global
        .offset:         40
        .size:           8
        .value_kind:     global_buffer
      - .actual_access:  read_only
        .address_space:  global
        .offset:         48
        .size:           8
        .value_kind:     global_buffer
      - .offset:         56
        .size:           4
        .value_kind:     by_value
      - .actual_access:  read_only
        .address_space:  global
        .offset:         64
        .size:           8
        .value_kind:     global_buffer
      - .offset:         72
        .size:           4
        .value_kind:     by_value
      - .offset:         76
        .size:           4
        .value_kind:     by_value
      - .offset:         80
        .size:           4
        .value_kind:     by_value
      - .address_space:  global
        .offset:         88
        .size:           8
        .value_kind:     global_buffer
      - .address_space:  global
        .offset:         96
        .size:           8
        .value_kind:     global_buffer
      - .offset:         104
        .size:           4
        .value_kind:     by_value
      - .offset:         108
        .size:           4
        .value_kind:     by_value
      - .offset:         112
        .size:           4
        .value_kind:     by_value
      - .offset:         116
        .size:           4
        .value_kind:     by_value
      - .offset:         120
        .size:           4
        .value_kind:     by_value
      - .offset:         128
        .size:           4
        .value_kind:     hidden_block_count_x
      - .offset:         132
        .size:           4
        .value_kind:     hidden_block_count_y
      - .offset:         136
        .size:           4
        .value_kind:     hidden_block_count_z
      - .offset:         140
        .size:           2
        .value_kind:     hidden_group_size_x
      - .offset:         142
        .size:           2
        .value_kind:     hidden_group_size_y
      - .offset:         144
        .size:           2
        .value_kind:     hidden_group_size_z
      - .offset:         146
        .size:           2
        .value_kind:     hidden_remainder_x
      - .offset:         148
        .size:           2
        .value_kind:     hidden_remainder_y
      - .offset:         150
        .size:           2
        .value_kind:     hidden_remainder_z
      - .offset:         168
        .size:           8
        .value_kind:     hidden_global_offset_x
      - .offset:         176
        .size:           8
        .value_kind:     hidden_global_offset_y
      - .offset:         184
        .size:           8
        .value_kind:     hidden_global_offset_z
      - .offset:         192
        .size:           2
        .value_kind:     hidden_grid_dims
      - .offset:         248
        .size:           4
        .value_kind:     hidden_dynamic_lds_size
    .group_segment_fixed_size: 480
    .kernarg_segment_align: 8
    .kernarg_segment_size: 384
    .language:       OpenCL C
    .language_version:
      - 2
      - 0
    .max_flat_workgroup_size: 1024
    .name:           _ZN4vllm25paged_attention_v1_kernelIffLi112ELi32ELi128ELNS_18Fp8KVCacheDataTypeE0ELb0EEEvPT_PKS2_PKT0_S8_ifPKiSA_iPKfiiiSC_SC_iiiii
    .private_segment_fixed_size: 160
    .sgpr_count:     34
    .sgpr_spill_count: 0
    .symbol:         _ZN4vllm25paged_attention_v1_kernelIffLi112ELi32ELi128ELNS_18Fp8KVCacheDataTypeE0ELb0EEEvPT_PKS2_PKT0_S8_ifPKiSA_iPKfiiiSC_SC_iiiii.kd
    .uniform_work_group_size: 1
    .uses_dynamic_stack: false
    .vgpr_count:     128
    .vgpr_spill_count: 67
    .wavefront_size: 32
    .workgroup_processor_mode: 1
  - .args:
      - .actual_access:  write_only
        .address_space:  global
        .offset:         0
        .size:           8
        .value_kind:     global_buffer
      - .actual_access:  read_only
        .address_space:  global
        .offset:         8
        .size:           8
        .value_kind:     global_buffer
      - .actual_access:  read_only
        .address_space:  global
        .offset:         16
        .size:           8
        .value_kind:     global_buffer
      - .actual_access:  read_only
        .address_space:  global
        .offset:         24
        .size:           8
        .value_kind:     global_buffer
      - .offset:         32
        .size:           4
        .value_kind:     by_value
      - .offset:         36
        .size:           4
        .value_kind:     by_value
      - .actual_access:  read_only
        .address_space:  global
        .offset:         40
        .size:           8
        .value_kind:     global_buffer
      - .actual_access:  read_only
        .address_space:  global
        .offset:         48
        .size:           8
        .value_kind:     global_buffer
      - .offset:         56
        .size:           4
        .value_kind:     by_value
      - .actual_access:  read_only
        .address_space:  global
        .offset:         64
        .size:           8
        .value_kind:     global_buffer
      - .offset:         72
        .size:           4
        .value_kind:     by_value
      - .offset:         76
        .size:           4
        .value_kind:     by_value
      - .offset:         80
        .size:           4
        .value_kind:     by_value
      - .address_space:  global
        .offset:         88
        .size:           8
        .value_kind:     global_buffer
      - .address_space:  global
        .offset:         96
        .size:           8
        .value_kind:     global_buffer
      - .offset:         104
        .size:           4
        .value_kind:     by_value
      - .offset:         108
        .size:           4
        .value_kind:     by_value
      - .offset:         112
        .size:           4
        .value_kind:     by_value
      - .offset:         116
        .size:           4
        .value_kind:     by_value
      - .offset:         120
        .size:           4
        .value_kind:     by_value
      - .offset:         128
        .size:           4
        .value_kind:     hidden_block_count_x
      - .offset:         132
        .size:           4
        .value_kind:     hidden_block_count_y
      - .offset:         136
        .size:           4
        .value_kind:     hidden_block_count_z
      - .offset:         140
        .size:           2
        .value_kind:     hidden_group_size_x
      - .offset:         142
        .size:           2
        .value_kind:     hidden_group_size_y
      - .offset:         144
        .size:           2
        .value_kind:     hidden_group_size_z
      - .offset:         146
        .size:           2
        .value_kind:     hidden_remainder_x
      - .offset:         148
        .size:           2
        .value_kind:     hidden_remainder_y
      - .offset:         150
        .size:           2
        .value_kind:     hidden_remainder_z
      - .offset:         168
        .size:           8
        .value_kind:     hidden_global_offset_x
      - .offset:         176
        .size:           8
        .value_kind:     hidden_global_offset_y
      - .offset:         184
        .size:           8
        .value_kind:     hidden_global_offset_z
      - .offset:         192
        .size:           2
        .value_kind:     hidden_grid_dims
      - .offset:         248
        .size:           4
        .value_kind:     hidden_dynamic_lds_size
    .group_segment_fixed_size: 512
    .kernarg_segment_align: 8
    .kernarg_segment_size: 384
    .language:       OpenCL C
    .language_version:
      - 2
      - 0
    .max_flat_workgroup_size: 1024
    .name:           _ZN4vllm25paged_attention_v1_kernelIffLi120ELi32ELi128ELNS_18Fp8KVCacheDataTypeE0ELb0EEEvPT_PKS2_PKT0_S8_ifPKiSA_iPKfiiiSC_SC_iiiii
    .private_segment_fixed_size: 212
    .sgpr_count:     42
    .sgpr_spill_count: 0
    .symbol:         _ZN4vllm25paged_attention_v1_kernelIffLi120ELi32ELi128ELNS_18Fp8KVCacheDataTypeE0ELb0EEEvPT_PKS2_PKT0_S8_ifPKiSA_iPKfiiiSC_SC_iiiii.kd
    .uniform_work_group_size: 1
    .uses_dynamic_stack: false
    .vgpr_count:     128
    .vgpr_spill_count: 89
    .wavefront_size: 32
    .workgroup_processor_mode: 1
  - .args:
      - .actual_access:  write_only
        .address_space:  global
        .offset:         0
        .size:           8
        .value_kind:     global_buffer
      - .actual_access:  read_only
        .address_space:  global
        .offset:         8
        .size:           8
        .value_kind:     global_buffer
      - .actual_access:  read_only
        .address_space:  global
        .offset:         16
        .size:           8
        .value_kind:     global_buffer
      - .actual_access:  read_only
        .address_space:  global
        .offset:         24
        .size:           8
        .value_kind:     global_buffer
      - .offset:         32
        .size:           4
        .value_kind:     by_value
      - .offset:         36
        .size:           4
        .value_kind:     by_value
      - .actual_access:  read_only
        .address_space:  global
        .offset:         40
        .size:           8
        .value_kind:     global_buffer
      - .actual_access:  read_only
        .address_space:  global
        .offset:         48
        .size:           8
        .value_kind:     global_buffer
      - .offset:         56
        .size:           4
        .value_kind:     by_value
      - .actual_access:  read_only
        .address_space:  global
        .offset:         64
        .size:           8
        .value_kind:     global_buffer
      - .offset:         72
        .size:           4
        .value_kind:     by_value
      - .offset:         76
        .size:           4
        .value_kind:     by_value
      - .offset:         80
        .size:           4
        .value_kind:     by_value
      - .address_space:  global
        .offset:         88
        .size:           8
        .value_kind:     global_buffer
      - .address_space:  global
        .offset:         96
        .size:           8
        .value_kind:     global_buffer
      - .offset:         104
        .size:           4
        .value_kind:     by_value
      - .offset:         108
        .size:           4
        .value_kind:     by_value
      - .offset:         112
        .size:           4
        .value_kind:     by_value
      - .offset:         116
        .size:           4
        .value_kind:     by_value
      - .offset:         120
        .size:           4
        .value_kind:     by_value
      - .offset:         128
        .size:           4
        .value_kind:     hidden_block_count_x
      - .offset:         132
        .size:           4
        .value_kind:     hidden_block_count_y
      - .offset:         136
        .size:           4
        .value_kind:     hidden_block_count_z
      - .offset:         140
        .size:           2
        .value_kind:     hidden_group_size_x
      - .offset:         142
        .size:           2
        .value_kind:     hidden_group_size_y
      - .offset:         144
        .size:           2
        .value_kind:     hidden_group_size_z
      - .offset:         146
        .size:           2
        .value_kind:     hidden_remainder_x
      - .offset:         148
        .size:           2
        .value_kind:     hidden_remainder_y
      - .offset:         150
        .size:           2
        .value_kind:     hidden_remainder_z
      - .offset:         168
        .size:           8
        .value_kind:     hidden_global_offset_x
      - .offset:         176
        .size:           8
        .value_kind:     hidden_global_offset_y
      - .offset:         184
        .size:           8
        .value_kind:     hidden_global_offset_z
      - .offset:         192
        .size:           2
        .value_kind:     hidden_grid_dims
      - .offset:         248
        .size:           4
        .value_kind:     hidden_dynamic_lds_size
    .group_segment_fixed_size: 544
    .kernarg_segment_align: 8
    .kernarg_segment_size: 384
    .language:       OpenCL C
    .language_version:
      - 2
      - 0
    .max_flat_workgroup_size: 1024
    .name:           _ZN4vllm25paged_attention_v1_kernelIffLi128ELi32ELi128ELNS_18Fp8KVCacheDataTypeE0ELb0EEEvPT_PKS2_PKT0_S8_ifPKiSA_iPKfiiiSC_SC_iiiii
    .private_segment_fixed_size: 284
    .sgpr_count:     42
    .sgpr_spill_count: 0
    .symbol:         _ZN4vllm25paged_attention_v1_kernelIffLi128ELi32ELi128ELNS_18Fp8KVCacheDataTypeE0ELb0EEEvPT_PKS2_PKT0_S8_ifPKiSA_iPKfiiiSC_SC_iiiii.kd
    .uniform_work_group_size: 1
    .uses_dynamic_stack: false
    .vgpr_count:     128
    .vgpr_spill_count: 126
    .wavefront_size: 32
    .workgroup_processor_mode: 1
  - .args:
      - .actual_access:  write_only
        .address_space:  global
        .offset:         0
        .size:           8
        .value_kind:     global_buffer
      - .actual_access:  read_only
        .address_space:  global
        .offset:         8
        .size:           8
        .value_kind:     global_buffer
      - .actual_access:  read_only
        .address_space:  global
        .offset:         16
        .size:           8
        .value_kind:     global_buffer
      - .actual_access:  read_only
        .address_space:  global
        .offset:         24
        .size:           8
        .value_kind:     global_buffer
      - .offset:         32
        .size:           4
        .value_kind:     by_value
      - .offset:         36
        .size:           4
        .value_kind:     by_value
      - .actual_access:  read_only
        .address_space:  global
        .offset:         40
        .size:           8
        .value_kind:     global_buffer
      - .actual_access:  read_only
        .address_space:  global
        .offset:         48
        .size:           8
        .value_kind:     global_buffer
      - .offset:         56
        .size:           4
        .value_kind:     by_value
      - .actual_access:  read_only
        .address_space:  global
        .offset:         64
        .size:           8
        .value_kind:     global_buffer
      - .offset:         72
        .size:           4
        .value_kind:     by_value
      - .offset:         76
        .size:           4
        .value_kind:     by_value
      - .offset:         80
        .size:           4
        .value_kind:     by_value
      - .address_space:  global
        .offset:         88
        .size:           8
        .value_kind:     global_buffer
      - .address_space:  global
        .offset:         96
        .size:           8
        .value_kind:     global_buffer
      - .offset:         104
        .size:           4
        .value_kind:     by_value
      - .offset:         108
        .size:           4
        .value_kind:     by_value
      - .offset:         112
        .size:           4
        .value_kind:     by_value
      - .offset:         116
        .size:           4
        .value_kind:     by_value
      - .offset:         120
        .size:           4
        .value_kind:     by_value
      - .offset:         128
        .size:           4
        .value_kind:     hidden_block_count_x
      - .offset:         132
        .size:           4
        .value_kind:     hidden_block_count_y
      - .offset:         136
        .size:           4
        .value_kind:     hidden_block_count_z
      - .offset:         140
        .size:           2
        .value_kind:     hidden_group_size_x
      - .offset:         142
        .size:           2
        .value_kind:     hidden_group_size_y
      - .offset:         144
        .size:           2
        .value_kind:     hidden_group_size_z
      - .offset:         146
        .size:           2
        .value_kind:     hidden_remainder_x
      - .offset:         148
        .size:           2
        .value_kind:     hidden_remainder_y
      - .offset:         150
        .size:           2
        .value_kind:     hidden_remainder_z
      - .offset:         168
        .size:           8
        .value_kind:     hidden_global_offset_x
      - .offset:         176
        .size:           8
        .value_kind:     hidden_global_offset_y
      - .offset:         184
        .size:           8
        .value_kind:     hidden_global_offset_z
      - .offset:         192
        .size:           2
        .value_kind:     hidden_grid_dims
      - .offset:         248
        .size:           4
        .value_kind:     hidden_dynamic_lds_size
    .group_segment_fixed_size: 800
    .kernarg_segment_align: 8
    .kernarg_segment_size: 384
    .language:       OpenCL C
    .language_version:
      - 2
      - 0
    .max_flat_workgroup_size: 1024
    .name:           _ZN4vllm25paged_attention_v1_kernelIffLi192ELi32ELi128ELNS_18Fp8KVCacheDataTypeE0ELb0EEEvPT_PKS2_PKT0_S8_ifPKiSA_iPKfiiiSC_SC_iiiii
    .private_segment_fixed_size: 608
    .sgpr_count:     42
    .sgpr_spill_count: 0
    .symbol:         _ZN4vllm25paged_attention_v1_kernelIffLi192ELi32ELi128ELNS_18Fp8KVCacheDataTypeE0ELb0EEEvPT_PKS2_PKT0_S8_ifPKiSA_iPKfiiiSC_SC_iiiii.kd
    .uniform_work_group_size: 1
    .uses_dynamic_stack: false
    .vgpr_count:     128
    .vgpr_spill_count: 345
    .wavefront_size: 32
    .workgroup_processor_mode: 1
  - .args:
      - .actual_access:  write_only
        .address_space:  global
        .offset:         0
        .size:           8
        .value_kind:     global_buffer
      - .actual_access:  read_only
        .address_space:  global
        .offset:         8
        .size:           8
        .value_kind:     global_buffer
      - .actual_access:  read_only
        .address_space:  global
        .offset:         16
        .size:           8
        .value_kind:     global_buffer
      - .actual_access:  read_only
        .address_space:  global
        .offset:         24
        .size:           8
        .value_kind:     global_buffer
      - .offset:         32
        .size:           4
        .value_kind:     by_value
      - .offset:         36
        .size:           4
        .value_kind:     by_value
      - .actual_access:  read_only
        .address_space:  global
        .offset:         40
        .size:           8
        .value_kind:     global_buffer
      - .actual_access:  read_only
        .address_space:  global
        .offset:         48
        .size:           8
        .value_kind:     global_buffer
      - .offset:         56
        .size:           4
        .value_kind:     by_value
      - .actual_access:  read_only
        .address_space:  global
        .offset:         64
        .size:           8
        .value_kind:     global_buffer
      - .offset:         72
        .size:           4
        .value_kind:     by_value
      - .offset:         76
        .size:           4
        .value_kind:     by_value
      - .offset:         80
        .size:           4
        .value_kind:     by_value
      - .address_space:  global
        .offset:         88
        .size:           8
        .value_kind:     global_buffer
      - .address_space:  global
        .offset:         96
        .size:           8
        .value_kind:     global_buffer
      - .offset:         104
        .size:           4
        .value_kind:     by_value
      - .offset:         108
        .size:           4
        .value_kind:     by_value
      - .offset:         112
        .size:           4
        .value_kind:     by_value
      - .offset:         116
        .size:           4
        .value_kind:     by_value
      - .offset:         120
        .size:           4
        .value_kind:     by_value
      - .offset:         128
        .size:           4
        .value_kind:     hidden_block_count_x
      - .offset:         132
        .size:           4
        .value_kind:     hidden_block_count_y
      - .offset:         136
        .size:           4
        .value_kind:     hidden_block_count_z
      - .offset:         140
        .size:           2
        .value_kind:     hidden_group_size_x
      - .offset:         142
        .size:           2
        .value_kind:     hidden_group_size_y
      - .offset:         144
        .size:           2
        .value_kind:     hidden_group_size_z
      - .offset:         146
        .size:           2
        .value_kind:     hidden_remainder_x
      - .offset:         148
        .size:           2
        .value_kind:     hidden_remainder_y
      - .offset:         150
        .size:           2
        .value_kind:     hidden_remainder_z
      - .offset:         168
        .size:           8
        .value_kind:     hidden_global_offset_x
      - .offset:         176
        .size:           8
        .value_kind:     hidden_global_offset_y
      - .offset:         184
        .size:           8
        .value_kind:     hidden_global_offset_z
      - .offset:         192
        .size:           2
        .value_kind:     hidden_grid_dims
      - .offset:         248
        .size:           4
        .value_kind:     hidden_dynamic_lds_size
    .group_segment_fixed_size: 1056
    .kernarg_segment_align: 8
    .kernarg_segment_size: 384
    .language:       OpenCL C
    .language_version:
      - 2
      - 0
    .max_flat_workgroup_size: 1024
    .name:           _ZN4vllm25paged_attention_v1_kernelIffLi256ELi32ELi128ELNS_18Fp8KVCacheDataTypeE0ELb0EEEvPT_PKS2_PKT0_S8_ifPKiSA_iPKfiiiSC_SC_iiiii
    .private_segment_fixed_size: 924
    .sgpr_count:     42
    .sgpr_spill_count: 0
    .symbol:         _ZN4vllm25paged_attention_v1_kernelIffLi256ELi32ELi128ELNS_18Fp8KVCacheDataTypeE0ELb0EEEvPT_PKS2_PKT0_S8_ifPKiSA_iPKfiiiSC_SC_iiiii.kd
    .uniform_work_group_size: 1
    .uses_dynamic_stack: false
    .vgpr_count:     128
    .vgpr_spill_count: 560
    .wavefront_size: 32
    .workgroup_processor_mode: 1
  - .args:
      - .actual_access:  write_only
        .address_space:  global
        .offset:         0
        .size:           8
        .value_kind:     global_buffer
      - .actual_access:  read_only
        .address_space:  global
        .offset:         8
        .size:           8
        .value_kind:     global_buffer
      - .actual_access:  read_only
        .address_space:  global
        .offset:         16
        .size:           8
        .value_kind:     global_buffer
      - .actual_access:  read_only
        .address_space:  global
        .offset:         24
        .size:           8
        .value_kind:     global_buffer
      - .offset:         32
        .size:           4
        .value_kind:     by_value
      - .offset:         36
        .size:           4
        .value_kind:     by_value
      - .actual_access:  read_only
        .address_space:  global
        .offset:         40
        .size:           8
        .value_kind:     global_buffer
      - .actual_access:  read_only
        .address_space:  global
        .offset:         48
        .size:           8
        .value_kind:     global_buffer
      - .offset:         56
        .size:           4
        .value_kind:     by_value
      - .actual_access:  read_only
        .address_space:  global
        .offset:         64
        .size:           8
        .value_kind:     global_buffer
      - .offset:         72
        .size:           4
        .value_kind:     by_value
      - .offset:         76
        .size:           4
        .value_kind:     by_value
      - .offset:         80
        .size:           4
        .value_kind:     by_value
      - .address_space:  global
        .offset:         88
        .size:           8
        .value_kind:     global_buffer
      - .address_space:  global
        .offset:         96
        .size:           8
        .value_kind:     global_buffer
      - .offset:         104
        .size:           4
        .value_kind:     by_value
      - .offset:         108
        .size:           4
        .value_kind:     by_value
      - .offset:         112
        .size:           4
        .value_kind:     by_value
      - .offset:         116
        .size:           4
        .value_kind:     by_value
      - .offset:         120
        .size:           4
        .value_kind:     by_value
      - .offset:         128
        .size:           4
        .value_kind:     hidden_block_count_x
      - .offset:         132
        .size:           4
        .value_kind:     hidden_block_count_y
      - .offset:         136
        .size:           4
        .value_kind:     hidden_block_count_z
      - .offset:         140
        .size:           2
        .value_kind:     hidden_group_size_x
      - .offset:         142
        .size:           2
        .value_kind:     hidden_group_size_y
      - .offset:         144
        .size:           2
        .value_kind:     hidden_group_size_z
      - .offset:         146
        .size:           2
        .value_kind:     hidden_remainder_x
      - .offset:         148
        .size:           2
        .value_kind:     hidden_remainder_y
      - .offset:         150
        .size:           2
        .value_kind:     hidden_remainder_z
      - .offset:         168
        .size:           8
        .value_kind:     hidden_global_offset_x
      - .offset:         176
        .size:           8
        .value_kind:     hidden_global_offset_y
      - .offset:         184
        .size:           8
        .value_kind:     hidden_global_offset_z
      - .offset:         192
        .size:           2
        .value_kind:     hidden_grid_dims
      - .offset:         248
        .size:           4
        .value_kind:     hidden_dynamic_lds_size
    .group_segment_fixed_size: 96
    .kernarg_segment_align: 8
    .kernarg_segment_size: 384
    .language:       OpenCL C
    .language_version:
      - 2
      - 0
    .max_flat_workgroup_size: 1024
    .name:           _ZN4vllm25paged_attention_v1_kernelIttLi32ELi8ELi128ELNS_18Fp8KVCacheDataTypeE0ELb1EEEvPT_PKS2_PKT0_S8_ifPKiSA_iPKfiiiSC_SC_iiiii
    .private_segment_fixed_size: 0
    .sgpr_count:     40
    .sgpr_spill_count: 0
    .symbol:         _ZN4vllm25paged_attention_v1_kernelIttLi32ELi8ELi128ELNS_18Fp8KVCacheDataTypeE0ELb1EEEvPT_PKS2_PKT0_S8_ifPKiSA_iPKfiiiSC_SC_iiiii.kd
    .uniform_work_group_size: 1
    .uses_dynamic_stack: false
    .vgpr_count:     34
    .vgpr_spill_count: 0
    .wavefront_size: 32
    .workgroup_processor_mode: 1
  - .args:
      - .actual_access:  write_only
        .address_space:  global
        .offset:         0
        .size:           8
        .value_kind:     global_buffer
      - .actual_access:  read_only
        .address_space:  global
        .offset:         8
        .size:           8
        .value_kind:     global_buffer
      - .actual_access:  read_only
        .address_space:  global
        .offset:         16
        .size:           8
        .value_kind:     global_buffer
      - .actual_access:  read_only
        .address_space:  global
        .offset:         24
        .size:           8
        .value_kind:     global_buffer
      - .offset:         32
        .size:           4
        .value_kind:     by_value
      - .offset:         36
        .size:           4
        .value_kind:     by_value
      - .actual_access:  read_only
        .address_space:  global
        .offset:         40
        .size:           8
        .value_kind:     global_buffer
      - .actual_access:  read_only
        .address_space:  global
        .offset:         48
        .size:           8
        .value_kind:     global_buffer
      - .offset:         56
        .size:           4
        .value_kind:     by_value
      - .actual_access:  read_only
        .address_space:  global
        .offset:         64
        .size:           8
        .value_kind:     global_buffer
      - .offset:         72
        .size:           4
        .value_kind:     by_value
      - .offset:         76
        .size:           4
        .value_kind:     by_value
      - .offset:         80
        .size:           4
        .value_kind:     by_value
      - .address_space:  global
        .offset:         88
        .size:           8
        .value_kind:     global_buffer
      - .address_space:  global
        .offset:         96
        .size:           8
        .value_kind:     global_buffer
      - .offset:         104
        .size:           4
        .value_kind:     by_value
      - .offset:         108
        .size:           4
        .value_kind:     by_value
      - .offset:         112
        .size:           4
        .value_kind:     by_value
      - .offset:         116
        .size:           4
        .value_kind:     by_value
      - .offset:         120
        .size:           4
        .value_kind:     by_value
      - .offset:         128
        .size:           4
        .value_kind:     hidden_block_count_x
      - .offset:         132
        .size:           4
        .value_kind:     hidden_block_count_y
      - .offset:         136
        .size:           4
        .value_kind:     hidden_block_count_z
      - .offset:         140
        .size:           2
        .value_kind:     hidden_group_size_x
      - .offset:         142
        .size:           2
        .value_kind:     hidden_group_size_y
      - .offset:         144
        .size:           2
        .value_kind:     hidden_group_size_z
      - .offset:         146
        .size:           2
        .value_kind:     hidden_remainder_x
      - .offset:         148
        .size:           2
        .value_kind:     hidden_remainder_y
      - .offset:         150
        .size:           2
        .value_kind:     hidden_remainder_z
      - .offset:         168
        .size:           8
        .value_kind:     hidden_global_offset_x
      - .offset:         176
        .size:           8
        .value_kind:     hidden_global_offset_y
      - .offset:         184
        .size:           8
        .value_kind:     hidden_global_offset_z
      - .offset:         192
        .size:           2
        .value_kind:     hidden_grid_dims
      - .offset:         248
        .size:           4
        .value_kind:     hidden_dynamic_lds_size
    .group_segment_fixed_size: 160
    .kernarg_segment_align: 8
    .kernarg_segment_size: 384
    .language:       OpenCL C
    .language_version:
      - 2
      - 0
    .max_flat_workgroup_size: 1024
    .name:           _ZN4vllm25paged_attention_v1_kernelIttLi64ELi8ELi128ELNS_18Fp8KVCacheDataTypeE0ELb1EEEvPT_PKS2_PKT0_S8_ifPKiSA_iPKfiiiSC_SC_iiiii
    .private_segment_fixed_size: 0
    .sgpr_count:     40
    .sgpr_spill_count: 0
    .symbol:         _ZN4vllm25paged_attention_v1_kernelIttLi64ELi8ELi128ELNS_18Fp8KVCacheDataTypeE0ELb1EEEvPT_PKS2_PKT0_S8_ifPKiSA_iPKfiiiSC_SC_iiiii.kd
    .uniform_work_group_size: 1
    .uses_dynamic_stack: false
    .vgpr_count:     48
    .vgpr_spill_count: 0
    .wavefront_size: 32
    .workgroup_processor_mode: 1
  - .args:
      - .actual_access:  write_only
        .address_space:  global
        .offset:         0
        .size:           8
        .value_kind:     global_buffer
      - .actual_access:  read_only
        .address_space:  global
        .offset:         8
        .size:           8
        .value_kind:     global_buffer
      - .actual_access:  read_only
        .address_space:  global
        .offset:         16
        .size:           8
        .value_kind:     global_buffer
      - .actual_access:  read_only
        .address_space:  global
        .offset:         24
        .size:           8
        .value_kind:     global_buffer
      - .offset:         32
        .size:           4
        .value_kind:     by_value
      - .offset:         36
        .size:           4
        .value_kind:     by_value
      - .actual_access:  read_only
        .address_space:  global
        .offset:         40
        .size:           8
        .value_kind:     global_buffer
      - .actual_access:  read_only
        .address_space:  global
        .offset:         48
        .size:           8
        .value_kind:     global_buffer
      - .offset:         56
        .size:           4
        .value_kind:     by_value
      - .actual_access:  read_only
        .address_space:  global
        .offset:         64
        .size:           8
        .value_kind:     global_buffer
      - .offset:         72
        .size:           4
        .value_kind:     by_value
      - .offset:         76
        .size:           4
        .value_kind:     by_value
      - .offset:         80
        .size:           4
        .value_kind:     by_value
      - .address_space:  global
        .offset:         88
        .size:           8
        .value_kind:     global_buffer
      - .address_space:  global
        .offset:         96
        .size:           8
        .value_kind:     global_buffer
      - .offset:         104
        .size:           4
        .value_kind:     by_value
      - .offset:         108
        .size:           4
        .value_kind:     by_value
      - .offset:         112
        .size:           4
        .value_kind:     by_value
      - .offset:         116
        .size:           4
        .value_kind:     by_value
      - .offset:         120
        .size:           4
        .value_kind:     by_value
      - .offset:         128
        .size:           4
        .value_kind:     hidden_block_count_x
      - .offset:         132
        .size:           4
        .value_kind:     hidden_block_count_y
      - .offset:         136
        .size:           4
        .value_kind:     hidden_block_count_z
      - .offset:         140
        .size:           2
        .value_kind:     hidden_group_size_x
      - .offset:         142
        .size:           2
        .value_kind:     hidden_group_size_y
      - .offset:         144
        .size:           2
        .value_kind:     hidden_group_size_z
      - .offset:         146
        .size:           2
        .value_kind:     hidden_remainder_x
      - .offset:         148
        .size:           2
        .value_kind:     hidden_remainder_y
      - .offset:         150
        .size:           2
        .value_kind:     hidden_remainder_z
      - .offset:         168
        .size:           8
        .value_kind:     hidden_global_offset_x
      - .offset:         176
        .size:           8
        .value_kind:     hidden_global_offset_y
      - .offset:         184
        .size:           8
        .value_kind:     hidden_global_offset_z
      - .offset:         192
        .size:           2
        .value_kind:     hidden_grid_dims
      - .offset:         248
        .size:           4
        .value_kind:     hidden_dynamic_lds_size
    .group_segment_fixed_size: 192
    .kernarg_segment_align: 8
    .kernarg_segment_size: 384
    .language:       OpenCL C
    .language_version:
      - 2
      - 0
    .max_flat_workgroup_size: 1024
    .name:           _ZN4vllm25paged_attention_v1_kernelIttLi80ELi8ELi128ELNS_18Fp8KVCacheDataTypeE0ELb1EEEvPT_PKS2_PKT0_S8_ifPKiSA_iPKfiiiSC_SC_iiiii
    .private_segment_fixed_size: 0
    .sgpr_count:     40
    .sgpr_spill_count: 0
    .symbol:         _ZN4vllm25paged_attention_v1_kernelIttLi80ELi8ELi128ELNS_18Fp8KVCacheDataTypeE0ELb1EEEvPT_PKS2_PKT0_S8_ifPKiSA_iPKfiiiSC_SC_iiiii.kd
    .uniform_work_group_size: 1
    .uses_dynamic_stack: false
    .vgpr_count:     55
    .vgpr_spill_count: 0
    .wavefront_size: 32
    .workgroup_processor_mode: 1
  - .args:
      - .actual_access:  write_only
        .address_space:  global
        .offset:         0
        .size:           8
        .value_kind:     global_buffer
      - .actual_access:  read_only
        .address_space:  global
        .offset:         8
        .size:           8
        .value_kind:     global_buffer
      - .actual_access:  read_only
        .address_space:  global
        .offset:         16
        .size:           8
        .value_kind:     global_buffer
      - .actual_access:  read_only
        .address_space:  global
        .offset:         24
        .size:           8
        .value_kind:     global_buffer
      - .offset:         32
        .size:           4
        .value_kind:     by_value
      - .offset:         36
        .size:           4
        .value_kind:     by_value
      - .actual_access:  read_only
        .address_space:  global
        .offset:         40
        .size:           8
        .value_kind:     global_buffer
      - .actual_access:  read_only
        .address_space:  global
        .offset:         48
        .size:           8
        .value_kind:     global_buffer
      - .offset:         56
        .size:           4
        .value_kind:     by_value
      - .actual_access:  read_only
        .address_space:  global
        .offset:         64
        .size:           8
        .value_kind:     global_buffer
      - .offset:         72
        .size:           4
        .value_kind:     by_value
      - .offset:         76
        .size:           4
        .value_kind:     by_value
      - .offset:         80
        .size:           4
        .value_kind:     by_value
      - .address_space:  global
        .offset:         88
        .size:           8
        .value_kind:     global_buffer
      - .address_space:  global
        .offset:         96
        .size:           8
        .value_kind:     global_buffer
      - .offset:         104
        .size:           4
        .value_kind:     by_value
      - .offset:         108
        .size:           4
        .value_kind:     by_value
      - .offset:         112
        .size:           4
        .value_kind:     by_value
      - .offset:         116
        .size:           4
        .value_kind:     by_value
      - .offset:         120
        .size:           4
        .value_kind:     by_value
      - .offset:         128
        .size:           4
        .value_kind:     hidden_block_count_x
      - .offset:         132
        .size:           4
        .value_kind:     hidden_block_count_y
      - .offset:         136
        .size:           4
        .value_kind:     hidden_block_count_z
      - .offset:         140
        .size:           2
        .value_kind:     hidden_group_size_x
      - .offset:         142
        .size:           2
        .value_kind:     hidden_group_size_y
      - .offset:         144
        .size:           2
        .value_kind:     hidden_group_size_z
      - .offset:         146
        .size:           2
        .value_kind:     hidden_remainder_x
      - .offset:         148
        .size:           2
        .value_kind:     hidden_remainder_y
      - .offset:         150
        .size:           2
        .value_kind:     hidden_remainder_z
      - .offset:         168
        .size:           8
        .value_kind:     hidden_global_offset_x
      - .offset:         176
        .size:           8
        .value_kind:     hidden_global_offset_y
      - .offset:         184
        .size:           8
        .value_kind:     hidden_global_offset_z
      - .offset:         192
        .size:           2
        .value_kind:     hidden_grid_dims
      - .offset:         248
        .size:           4
        .value_kind:     hidden_dynamic_lds_size
    .group_segment_fixed_size: 224
    .kernarg_segment_align: 8
    .kernarg_segment_size: 384
    .language:       OpenCL C
    .language_version:
      - 2
      - 0
    .max_flat_workgroup_size: 1024
    .name:           _ZN4vllm25paged_attention_v1_kernelIttLi96ELi8ELi128ELNS_18Fp8KVCacheDataTypeE0ELb1EEEvPT_PKS2_PKT0_S8_ifPKiSA_iPKfiiiSC_SC_iiiii
    .private_segment_fixed_size: 0
    .sgpr_count:     40
    .sgpr_spill_count: 0
    .symbol:         _ZN4vllm25paged_attention_v1_kernelIttLi96ELi8ELi128ELNS_18Fp8KVCacheDataTypeE0ELb1EEEvPT_PKS2_PKT0_S8_ifPKiSA_iPKfiiiSC_SC_iiiii.kd
    .uniform_work_group_size: 1
    .uses_dynamic_stack: false
    .vgpr_count:     63
    .vgpr_spill_count: 0
    .wavefront_size: 32
    .workgroup_processor_mode: 1
  - .args:
      - .actual_access:  write_only
        .address_space:  global
        .offset:         0
        .size:           8
        .value_kind:     global_buffer
      - .actual_access:  read_only
        .address_space:  global
        .offset:         8
        .size:           8
        .value_kind:     global_buffer
      - .actual_access:  read_only
        .address_space:  global
        .offset:         16
        .size:           8
        .value_kind:     global_buffer
      - .actual_access:  read_only
        .address_space:  global
        .offset:         24
        .size:           8
        .value_kind:     global_buffer
      - .offset:         32
        .size:           4
        .value_kind:     by_value
      - .offset:         36
        .size:           4
        .value_kind:     by_value
      - .actual_access:  read_only
        .address_space:  global
        .offset:         40
        .size:           8
        .value_kind:     global_buffer
      - .actual_access:  read_only
        .address_space:  global
        .offset:         48
        .size:           8
        .value_kind:     global_buffer
      - .offset:         56
        .size:           4
        .value_kind:     by_value
      - .actual_access:  read_only
        .address_space:  global
        .offset:         64
        .size:           8
        .value_kind:     global_buffer
      - .offset:         72
        .size:           4
        .value_kind:     by_value
      - .offset:         76
        .size:           4
        .value_kind:     by_value
      - .offset:         80
        .size:           4
        .value_kind:     by_value
      - .address_space:  global
        .offset:         88
        .size:           8
        .value_kind:     global_buffer
      - .address_space:  global
        .offset:         96
        .size:           8
        .value_kind:     global_buffer
      - .offset:         104
        .size:           4
        .value_kind:     by_value
      - .offset:         108
        .size:           4
        .value_kind:     by_value
      - .offset:         112
        .size:           4
        .value_kind:     by_value
      - .offset:         116
        .size:           4
        .value_kind:     by_value
      - .offset:         120
        .size:           4
        .value_kind:     by_value
      - .offset:         128
        .size:           4
        .value_kind:     hidden_block_count_x
      - .offset:         132
        .size:           4
        .value_kind:     hidden_block_count_y
      - .offset:         136
        .size:           4
        .value_kind:     hidden_block_count_z
      - .offset:         140
        .size:           2
        .value_kind:     hidden_group_size_x
      - .offset:         142
        .size:           2
        .value_kind:     hidden_group_size_y
      - .offset:         144
        .size:           2
        .value_kind:     hidden_group_size_z
      - .offset:         146
        .size:           2
        .value_kind:     hidden_remainder_x
      - .offset:         148
        .size:           2
        .value_kind:     hidden_remainder_y
      - .offset:         150
        .size:           2
        .value_kind:     hidden_remainder_z
      - .offset:         168
        .size:           8
        .value_kind:     hidden_global_offset_x
      - .offset:         176
        .size:           8
        .value_kind:     hidden_global_offset_y
      - .offset:         184
        .size:           8
        .value_kind:     hidden_global_offset_z
      - .offset:         192
        .size:           2
        .value_kind:     hidden_grid_dims
      - .offset:         248
        .size:           4
        .value_kind:     hidden_dynamic_lds_size
    .group_segment_fixed_size: 256
    .kernarg_segment_align: 8
    .kernarg_segment_size: 384
    .language:       OpenCL C
    .language_version:
      - 2
      - 0
    .max_flat_workgroup_size: 1024
    .name:           _ZN4vllm25paged_attention_v1_kernelIttLi112ELi8ELi128ELNS_18Fp8KVCacheDataTypeE0ELb1EEEvPT_PKS2_PKT0_S8_ifPKiSA_iPKfiiiSC_SC_iiiii
    .private_segment_fixed_size: 0
    .sgpr_count:     40
    .sgpr_spill_count: 0
    .symbol:         _ZN4vllm25paged_attention_v1_kernelIttLi112ELi8ELi128ELNS_18Fp8KVCacheDataTypeE0ELb1EEEvPT_PKS2_PKT0_S8_ifPKiSA_iPKfiiiSC_SC_iiiii.kd
    .uniform_work_group_size: 1
    .uses_dynamic_stack: false
    .vgpr_count:     68
    .vgpr_spill_count: 0
    .wavefront_size: 32
    .workgroup_processor_mode: 1
  - .args:
      - .actual_access:  write_only
        .address_space:  global
        .offset:         0
        .size:           8
        .value_kind:     global_buffer
      - .actual_access:  read_only
        .address_space:  global
        .offset:         8
        .size:           8
        .value_kind:     global_buffer
      - .actual_access:  read_only
        .address_space:  global
        .offset:         16
        .size:           8
        .value_kind:     global_buffer
      - .actual_access:  read_only
        .address_space:  global
        .offset:         24
        .size:           8
        .value_kind:     global_buffer
      - .offset:         32
        .size:           4
        .value_kind:     by_value
      - .offset:         36
        .size:           4
        .value_kind:     by_value
      - .actual_access:  read_only
        .address_space:  global
        .offset:         40
        .size:           8
        .value_kind:     global_buffer
      - .actual_access:  read_only
        .address_space:  global
        .offset:         48
        .size:           8
        .value_kind:     global_buffer
      - .offset:         56
        .size:           4
        .value_kind:     by_value
      - .actual_access:  read_only
        .address_space:  global
        .offset:         64
        .size:           8
        .value_kind:     global_buffer
      - .offset:         72
        .size:           4
        .value_kind:     by_value
      - .offset:         76
        .size:           4
        .value_kind:     by_value
      - .offset:         80
        .size:           4
        .value_kind:     by_value
      - .address_space:  global
        .offset:         88
        .size:           8
        .value_kind:     global_buffer
      - .address_space:  global
        .offset:         96
        .size:           8
        .value_kind:     global_buffer
      - .offset:         104
        .size:           4
        .value_kind:     by_value
      - .offset:         108
        .size:           4
        .value_kind:     by_value
      - .offset:         112
        .size:           4
        .value_kind:     by_value
      - .offset:         116
        .size:           4
        .value_kind:     by_value
      - .offset:         120
        .size:           4
        .value_kind:     by_value
      - .offset:         128
        .size:           4
        .value_kind:     hidden_block_count_x
      - .offset:         132
        .size:           4
        .value_kind:     hidden_block_count_y
      - .offset:         136
        .size:           4
        .value_kind:     hidden_block_count_z
      - .offset:         140
        .size:           2
        .value_kind:     hidden_group_size_x
      - .offset:         142
        .size:           2
        .value_kind:     hidden_group_size_y
      - .offset:         144
        .size:           2
        .value_kind:     hidden_group_size_z
      - .offset:         146
        .size:           2
        .value_kind:     hidden_remainder_x
      - .offset:         148
        .size:           2
        .value_kind:     hidden_remainder_y
      - .offset:         150
        .size:           2
        .value_kind:     hidden_remainder_z
      - .offset:         168
        .size:           8
        .value_kind:     hidden_global_offset_x
      - .offset:         176
        .size:           8
        .value_kind:     hidden_global_offset_y
      - .offset:         184
        .size:           8
        .value_kind:     hidden_global_offset_z
      - .offset:         192
        .size:           2
        .value_kind:     hidden_grid_dims
      - .offset:         248
        .size:           4
        .value_kind:     hidden_dynamic_lds_size
    .group_segment_fixed_size: 272
    .kernarg_segment_align: 8
    .kernarg_segment_size: 384
    .language:       OpenCL C
    .language_version:
      - 2
      - 0
    .max_flat_workgroup_size: 1024
    .name:           _ZN4vllm25paged_attention_v1_kernelIttLi120ELi8ELi128ELNS_18Fp8KVCacheDataTypeE0ELb1EEEvPT_PKS2_PKT0_S8_ifPKiSA_iPKfiiiSC_SC_iiiii
    .private_segment_fixed_size: 0
    .sgpr_count:     40
    .sgpr_spill_count: 0
    .symbol:         _ZN4vllm25paged_attention_v1_kernelIttLi120ELi8ELi128ELNS_18Fp8KVCacheDataTypeE0ELb1EEEvPT_PKS2_PKT0_S8_ifPKiSA_iPKfiiiSC_SC_iiiii.kd
    .uniform_work_group_size: 1
    .uses_dynamic_stack: false
    .vgpr_count:     72
    .vgpr_spill_count: 0
    .wavefront_size: 32
    .workgroup_processor_mode: 1
  - .args:
      - .actual_access:  write_only
        .address_space:  global
        .offset:         0
        .size:           8
        .value_kind:     global_buffer
      - .actual_access:  read_only
        .address_space:  global
        .offset:         8
        .size:           8
        .value_kind:     global_buffer
      - .actual_access:  read_only
        .address_space:  global
        .offset:         16
        .size:           8
        .value_kind:     global_buffer
      - .actual_access:  read_only
        .address_space:  global
        .offset:         24
        .size:           8
        .value_kind:     global_buffer
      - .offset:         32
        .size:           4
        .value_kind:     by_value
      - .offset:         36
        .size:           4
        .value_kind:     by_value
      - .actual_access:  read_only
        .address_space:  global
        .offset:         40
        .size:           8
        .value_kind:     global_buffer
      - .actual_access:  read_only
        .address_space:  global
        .offset:         48
        .size:           8
        .value_kind:     global_buffer
      - .offset:         56
        .size:           4
        .value_kind:     by_value
      - .actual_access:  read_only
        .address_space:  global
        .offset:         64
        .size:           8
        .value_kind:     global_buffer
      - .offset:         72
        .size:           4
        .value_kind:     by_value
      - .offset:         76
        .size:           4
        .value_kind:     by_value
      - .offset:         80
        .size:           4
        .value_kind:     by_value
      - .address_space:  global
        .offset:         88
        .size:           8
        .value_kind:     global_buffer
      - .address_space:  global
        .offset:         96
        .size:           8
        .value_kind:     global_buffer
      - .offset:         104
        .size:           4
        .value_kind:     by_value
      - .offset:         108
        .size:           4
        .value_kind:     by_value
      - .offset:         112
        .size:           4
        .value_kind:     by_value
      - .offset:         116
        .size:           4
        .value_kind:     by_value
      - .offset:         120
        .size:           4
        .value_kind:     by_value
      - .offset:         128
        .size:           4
        .value_kind:     hidden_block_count_x
      - .offset:         132
        .size:           4
        .value_kind:     hidden_block_count_y
      - .offset:         136
        .size:           4
        .value_kind:     hidden_block_count_z
      - .offset:         140
        .size:           2
        .value_kind:     hidden_group_size_x
      - .offset:         142
        .size:           2
        .value_kind:     hidden_group_size_y
      - .offset:         144
        .size:           2
        .value_kind:     hidden_group_size_z
      - .offset:         146
        .size:           2
        .value_kind:     hidden_remainder_x
      - .offset:         148
        .size:           2
        .value_kind:     hidden_remainder_y
      - .offset:         150
        .size:           2
        .value_kind:     hidden_remainder_z
      - .offset:         168
        .size:           8
        .value_kind:     hidden_global_offset_x
      - .offset:         176
        .size:           8
        .value_kind:     hidden_global_offset_y
      - .offset:         184
        .size:           8
        .value_kind:     hidden_global_offset_z
      - .offset:         192
        .size:           2
        .value_kind:     hidden_grid_dims
      - .offset:         248
        .size:           4
        .value_kind:     hidden_dynamic_lds_size
    .group_segment_fixed_size: 288
    .kernarg_segment_align: 8
    .kernarg_segment_size: 384
    .language:       OpenCL C
    .language_version:
      - 2
      - 0
    .max_flat_workgroup_size: 1024
    .name:           _ZN4vllm25paged_attention_v1_kernelIttLi128ELi8ELi128ELNS_18Fp8KVCacheDataTypeE0ELb1EEEvPT_PKS2_PKT0_S8_ifPKiSA_iPKfiiiSC_SC_iiiii
    .private_segment_fixed_size: 0
    .sgpr_count:     40
    .sgpr_spill_count: 0
    .symbol:         _ZN4vllm25paged_attention_v1_kernelIttLi128ELi8ELi128ELNS_18Fp8KVCacheDataTypeE0ELb1EEEvPT_PKS2_PKT0_S8_ifPKiSA_iPKfiiiSC_SC_iiiii.kd
    .uniform_work_group_size: 1
    .uses_dynamic_stack: false
    .vgpr_count:     76
    .vgpr_spill_count: 0
    .wavefront_size: 32
    .workgroup_processor_mode: 1
  - .args:
      - .actual_access:  write_only
        .address_space:  global
        .offset:         0
        .size:           8
        .value_kind:     global_buffer
      - .actual_access:  read_only
        .address_space:  global
        .offset:         8
        .size:           8
        .value_kind:     global_buffer
      - .actual_access:  read_only
        .address_space:  global
        .offset:         16
        .size:           8
        .value_kind:     global_buffer
      - .actual_access:  read_only
        .address_space:  global
        .offset:         24
        .size:           8
        .value_kind:     global_buffer
      - .offset:         32
        .size:           4
        .value_kind:     by_value
      - .offset:         36
        .size:           4
        .value_kind:     by_value
      - .actual_access:  read_only
        .address_space:  global
        .offset:         40
        .size:           8
        .value_kind:     global_buffer
      - .actual_access:  read_only
        .address_space:  global
        .offset:         48
        .size:           8
        .value_kind:     global_buffer
      - .offset:         56
        .size:           4
        .value_kind:     by_value
      - .actual_access:  read_only
        .address_space:  global
        .offset:         64
        .size:           8
        .value_kind:     global_buffer
      - .offset:         72
        .size:           4
        .value_kind:     by_value
      - .offset:         76
        .size:           4
        .value_kind:     by_value
      - .offset:         80
        .size:           4
        .value_kind:     by_value
      - .address_space:  global
        .offset:         88
        .size:           8
        .value_kind:     global_buffer
      - .address_space:  global
        .offset:         96
        .size:           8
        .value_kind:     global_buffer
      - .offset:         104
        .size:           4
        .value_kind:     by_value
      - .offset:         108
        .size:           4
        .value_kind:     by_value
      - .offset:         112
        .size:           4
        .value_kind:     by_value
      - .offset:         116
        .size:           4
        .value_kind:     by_value
      - .offset:         120
        .size:           4
        .value_kind:     by_value
      - .offset:         128
        .size:           4
        .value_kind:     hidden_block_count_x
      - .offset:         132
        .size:           4
        .value_kind:     hidden_block_count_y
      - .offset:         136
        .size:           4
        .value_kind:     hidden_block_count_z
      - .offset:         140
        .size:           2
        .value_kind:     hidden_group_size_x
      - .offset:         142
        .size:           2
        .value_kind:     hidden_group_size_y
      - .offset:         144
        .size:           2
        .value_kind:     hidden_group_size_z
      - .offset:         146
        .size:           2
        .value_kind:     hidden_remainder_x
      - .offset:         148
        .size:           2
        .value_kind:     hidden_remainder_y
      - .offset:         150
        .size:           2
        .value_kind:     hidden_remainder_z
      - .offset:         168
        .size:           8
        .value_kind:     hidden_global_offset_x
      - .offset:         176
        .size:           8
        .value_kind:     hidden_global_offset_y
      - .offset:         184
        .size:           8
        .value_kind:     hidden_global_offset_z
      - .offset:         192
        .size:           2
        .value_kind:     hidden_grid_dims
      - .offset:         248
        .size:           4
        .value_kind:     hidden_dynamic_lds_size
    .group_segment_fixed_size: 416
    .kernarg_segment_align: 8
    .kernarg_segment_size: 384
    .language:       OpenCL C
    .language_version:
      - 2
      - 0
    .max_flat_workgroup_size: 1024
    .name:           _ZN4vllm25paged_attention_v1_kernelIttLi192ELi8ELi128ELNS_18Fp8KVCacheDataTypeE0ELb1EEEvPT_PKS2_PKT0_S8_ifPKiSA_iPKfiiiSC_SC_iiiii
    .private_segment_fixed_size: 0
    .sgpr_count:     40
    .sgpr_spill_count: 0
    .symbol:         _ZN4vllm25paged_attention_v1_kernelIttLi192ELi8ELi128ELNS_18Fp8KVCacheDataTypeE0ELb1EEEvPT_PKS2_PKT0_S8_ifPKiSA_iPKfiiiSC_SC_iiiii.kd
    .uniform_work_group_size: 1
    .uses_dynamic_stack: false
    .vgpr_count:     89
    .vgpr_spill_count: 0
    .wavefront_size: 32
    .workgroup_processor_mode: 1
  - .args:
      - .actual_access:  write_only
        .address_space:  global
        .offset:         0
        .size:           8
        .value_kind:     global_buffer
      - .actual_access:  read_only
        .address_space:  global
        .offset:         8
        .size:           8
        .value_kind:     global_buffer
      - .actual_access:  read_only
        .address_space:  global
        .offset:         16
        .size:           8
        .value_kind:     global_buffer
      - .actual_access:  read_only
        .address_space:  global
        .offset:         24
        .size:           8
        .value_kind:     global_buffer
      - .offset:         32
        .size:           4
        .value_kind:     by_value
      - .offset:         36
        .size:           4
        .value_kind:     by_value
      - .actual_access:  read_only
        .address_space:  global
        .offset:         40
        .size:           8
        .value_kind:     global_buffer
      - .actual_access:  read_only
        .address_space:  global
        .offset:         48
        .size:           8
        .value_kind:     global_buffer
      - .offset:         56
        .size:           4
        .value_kind:     by_value
      - .actual_access:  read_only
        .address_space:  global
        .offset:         64
        .size:           8
        .value_kind:     global_buffer
      - .offset:         72
        .size:           4
        .value_kind:     by_value
      - .offset:         76
        .size:           4
        .value_kind:     by_value
      - .offset:         80
        .size:           4
        .value_kind:     by_value
      - .address_space:  global
        .offset:         88
        .size:           8
        .value_kind:     global_buffer
      - .address_space:  global
        .offset:         96
        .size:           8
        .value_kind:     global_buffer
      - .offset:         104
        .size:           4
        .value_kind:     by_value
      - .offset:         108
        .size:           4
        .value_kind:     by_value
      - .offset:         112
        .size:           4
        .value_kind:     by_value
      - .offset:         116
        .size:           4
        .value_kind:     by_value
      - .offset:         120
        .size:           4
        .value_kind:     by_value
      - .offset:         128
        .size:           4
        .value_kind:     hidden_block_count_x
      - .offset:         132
        .size:           4
        .value_kind:     hidden_block_count_y
      - .offset:         136
        .size:           4
        .value_kind:     hidden_block_count_z
      - .offset:         140
        .size:           2
        .value_kind:     hidden_group_size_x
      - .offset:         142
        .size:           2
        .value_kind:     hidden_group_size_y
      - .offset:         144
        .size:           2
        .value_kind:     hidden_group_size_z
      - .offset:         146
        .size:           2
        .value_kind:     hidden_remainder_x
      - .offset:         148
        .size:           2
        .value_kind:     hidden_remainder_y
      - .offset:         150
        .size:           2
        .value_kind:     hidden_remainder_z
      - .offset:         168
        .size:           8
        .value_kind:     hidden_global_offset_x
      - .offset:         176
        .size:           8
        .value_kind:     hidden_global_offset_y
      - .offset:         184
        .size:           8
        .value_kind:     hidden_global_offset_z
      - .offset:         192
        .size:           2
        .value_kind:     hidden_grid_dims
      - .offset:         248
        .size:           4
        .value_kind:     hidden_dynamic_lds_size
    .group_segment_fixed_size: 544
    .kernarg_segment_align: 8
    .kernarg_segment_size: 384
    .language:       OpenCL C
    .language_version:
      - 2
      - 0
    .max_flat_workgroup_size: 1024
    .name:           _ZN4vllm25paged_attention_v1_kernelIttLi256ELi8ELi128ELNS_18Fp8KVCacheDataTypeE0ELb1EEEvPT_PKS2_PKT0_S8_ifPKiSA_iPKfiiiSC_SC_iiiii
    .private_segment_fixed_size: 0
    .sgpr_count:     40
    .sgpr_spill_count: 0
    .symbol:         _ZN4vllm25paged_attention_v1_kernelIttLi256ELi8ELi128ELNS_18Fp8KVCacheDataTypeE0ELb1EEEvPT_PKS2_PKT0_S8_ifPKiSA_iPKfiiiSC_SC_iiiii.kd
    .uniform_work_group_size: 1
    .uses_dynamic_stack: false
    .vgpr_count:     90
    .vgpr_spill_count: 0
    .wavefront_size: 32
    .workgroup_processor_mode: 1
  - .args:
      - .actual_access:  write_only
        .address_space:  global
        .offset:         0
        .size:           8
        .value_kind:     global_buffer
      - .actual_access:  read_only
        .address_space:  global
        .offset:         8
        .size:           8
        .value_kind:     global_buffer
      - .actual_access:  read_only
        .address_space:  global
        .offset:         16
        .size:           8
        .value_kind:     global_buffer
      - .actual_access:  read_only
        .address_space:  global
        .offset:         24
        .size:           8
        .value_kind:     global_buffer
      - .offset:         32
        .size:           4
        .value_kind:     by_value
      - .offset:         36
        .size:           4
        .value_kind:     by_value
      - .actual_access:  read_only
        .address_space:  global
        .offset:         40
        .size:           8
        .value_kind:     global_buffer
      - .actual_access:  read_only
        .address_space:  global
        .offset:         48
        .size:           8
        .value_kind:     global_buffer
      - .offset:         56
        .size:           4
        .value_kind:     by_value
      - .actual_access:  read_only
        .address_space:  global
        .offset:         64
        .size:           8
        .value_kind:     global_buffer
      - .offset:         72
        .size:           4
        .value_kind:     by_value
      - .offset:         76
        .size:           4
        .value_kind:     by_value
      - .offset:         80
        .size:           4
        .value_kind:     by_value
      - .address_space:  global
        .offset:         88
        .size:           8
        .value_kind:     global_buffer
      - .address_space:  global
        .offset:         96
        .size:           8
        .value_kind:     global_buffer
      - .offset:         104
        .size:           4
        .value_kind:     by_value
      - .offset:         108
        .size:           4
        .value_kind:     by_value
      - .offset:         112
        .size:           4
        .value_kind:     by_value
      - .offset:         116
        .size:           4
        .value_kind:     by_value
      - .offset:         120
        .size:           4
        .value_kind:     by_value
      - .offset:         128
        .size:           4
        .value_kind:     hidden_block_count_x
      - .offset:         132
        .size:           4
        .value_kind:     hidden_block_count_y
      - .offset:         136
        .size:           4
        .value_kind:     hidden_block_count_z
      - .offset:         140
        .size:           2
        .value_kind:     hidden_group_size_x
      - .offset:         142
        .size:           2
        .value_kind:     hidden_group_size_y
      - .offset:         144
        .size:           2
        .value_kind:     hidden_group_size_z
      - .offset:         146
        .size:           2
        .value_kind:     hidden_remainder_x
      - .offset:         148
        .size:           2
        .value_kind:     hidden_remainder_y
      - .offset:         150
        .size:           2
        .value_kind:     hidden_remainder_z
      - .offset:         168
        .size:           8
        .value_kind:     hidden_global_offset_x
      - .offset:         176
        .size:           8
        .value_kind:     hidden_global_offset_y
      - .offset:         184
        .size:           8
        .value_kind:     hidden_global_offset_z
      - .offset:         192
        .size:           2
        .value_kind:     hidden_grid_dims
      - .offset:         248
        .size:           4
        .value_kind:     hidden_dynamic_lds_size
    .group_segment_fixed_size: 96
    .kernarg_segment_align: 8
    .kernarg_segment_size: 384
    .language:       OpenCL C
    .language_version:
      - 2
      - 0
    .max_flat_workgroup_size: 1024
    .name:           _ZN4vllm25paged_attention_v1_kernelIttLi32ELi8ELi128ELNS_18Fp8KVCacheDataTypeE0ELb0EEEvPT_PKS2_PKT0_S8_ifPKiSA_iPKfiiiSC_SC_iiiii
    .private_segment_fixed_size: 0
    .sgpr_count:     29
    .sgpr_spill_count: 0
    .symbol:         _ZN4vllm25paged_attention_v1_kernelIttLi32ELi8ELi128ELNS_18Fp8KVCacheDataTypeE0ELb0EEEvPT_PKS2_PKT0_S8_ifPKiSA_iPKfiiiSC_SC_iiiii.kd
    .uniform_work_group_size: 1
    .uses_dynamic_stack: false
    .vgpr_count:     31
    .vgpr_spill_count: 0
    .wavefront_size: 32
    .workgroup_processor_mode: 1
  - .args:
      - .actual_access:  write_only
        .address_space:  global
        .offset:         0
        .size:           8
        .value_kind:     global_buffer
      - .actual_access:  read_only
        .address_space:  global
        .offset:         8
        .size:           8
        .value_kind:     global_buffer
      - .actual_access:  read_only
        .address_space:  global
        .offset:         16
        .size:           8
        .value_kind:     global_buffer
      - .actual_access:  read_only
        .address_space:  global
        .offset:         24
        .size:           8
        .value_kind:     global_buffer
      - .offset:         32
        .size:           4
        .value_kind:     by_value
      - .offset:         36
        .size:           4
        .value_kind:     by_value
      - .actual_access:  read_only
        .address_space:  global
        .offset:         40
        .size:           8
        .value_kind:     global_buffer
      - .actual_access:  read_only
        .address_space:  global
        .offset:         48
        .size:           8
        .value_kind:     global_buffer
      - .offset:         56
        .size:           4
        .value_kind:     by_value
      - .actual_access:  read_only
        .address_space:  global
        .offset:         64
        .size:           8
        .value_kind:     global_buffer
      - .offset:         72
        .size:           4
        .value_kind:     by_value
      - .offset:         76
        .size:           4
        .value_kind:     by_value
      - .offset:         80
        .size:           4
        .value_kind:     by_value
      - .address_space:  global
        .offset:         88
        .size:           8
        .value_kind:     global_buffer
      - .address_space:  global
        .offset:         96
        .size:           8
        .value_kind:     global_buffer
      - .offset:         104
        .size:           4
        .value_kind:     by_value
      - .offset:         108
        .size:           4
        .value_kind:     by_value
      - .offset:         112
        .size:           4
        .value_kind:     by_value
      - .offset:         116
        .size:           4
        .value_kind:     by_value
      - .offset:         120
        .size:           4
        .value_kind:     by_value
      - .offset:         128
        .size:           4
        .value_kind:     hidden_block_count_x
      - .offset:         132
        .size:           4
        .value_kind:     hidden_block_count_y
      - .offset:         136
        .size:           4
        .value_kind:     hidden_block_count_z
      - .offset:         140
        .size:           2
        .value_kind:     hidden_group_size_x
      - .offset:         142
        .size:           2
        .value_kind:     hidden_group_size_y
      - .offset:         144
        .size:           2
        .value_kind:     hidden_group_size_z
      - .offset:         146
        .size:           2
        .value_kind:     hidden_remainder_x
      - .offset:         148
        .size:           2
        .value_kind:     hidden_remainder_y
      - .offset:         150
        .size:           2
        .value_kind:     hidden_remainder_z
      - .offset:         168
        .size:           8
        .value_kind:     hidden_global_offset_x
      - .offset:         176
        .size:           8
        .value_kind:     hidden_global_offset_y
      - .offset:         184
        .size:           8
        .value_kind:     hidden_global_offset_z
      - .offset:         192
        .size:           2
        .value_kind:     hidden_grid_dims
      - .offset:         248
        .size:           4
        .value_kind:     hidden_dynamic_lds_size
    .group_segment_fixed_size: 160
    .kernarg_segment_align: 8
    .kernarg_segment_size: 384
    .language:       OpenCL C
    .language_version:
      - 2
      - 0
    .max_flat_workgroup_size: 1024
    .name:           _ZN4vllm25paged_attention_v1_kernelIttLi64ELi8ELi128ELNS_18Fp8KVCacheDataTypeE0ELb0EEEvPT_PKS2_PKT0_S8_ifPKiSA_iPKfiiiSC_SC_iiiii
    .private_segment_fixed_size: 0
    .sgpr_count:     32
    .sgpr_spill_count: 0
    .symbol:         _ZN4vllm25paged_attention_v1_kernelIttLi64ELi8ELi128ELNS_18Fp8KVCacheDataTypeE0ELb0EEEvPT_PKS2_PKT0_S8_ifPKiSA_iPKfiiiSC_SC_iiiii.kd
    .uniform_work_group_size: 1
    .uses_dynamic_stack: false
    .vgpr_count:     45
    .vgpr_spill_count: 0
    .wavefront_size: 32
    .workgroup_processor_mode: 1
  - .args:
      - .actual_access:  write_only
        .address_space:  global
        .offset:         0
        .size:           8
        .value_kind:     global_buffer
      - .actual_access:  read_only
        .address_space:  global
        .offset:         8
        .size:           8
        .value_kind:     global_buffer
      - .actual_access:  read_only
        .address_space:  global
        .offset:         16
        .size:           8
        .value_kind:     global_buffer
      - .actual_access:  read_only
        .address_space:  global
        .offset:         24
        .size:           8
        .value_kind:     global_buffer
      - .offset:         32
        .size:           4
        .value_kind:     by_value
      - .offset:         36
        .size:           4
        .value_kind:     by_value
      - .actual_access:  read_only
        .address_space:  global
        .offset:         40
        .size:           8
        .value_kind:     global_buffer
      - .actual_access:  read_only
        .address_space:  global
        .offset:         48
        .size:           8
        .value_kind:     global_buffer
      - .offset:         56
        .size:           4
        .value_kind:     by_value
      - .actual_access:  read_only
        .address_space:  global
        .offset:         64
        .size:           8
        .value_kind:     global_buffer
      - .offset:         72
        .size:           4
        .value_kind:     by_value
      - .offset:         76
        .size:           4
        .value_kind:     by_value
      - .offset:         80
        .size:           4
        .value_kind:     by_value
      - .address_space:  global
        .offset:         88
        .size:           8
        .value_kind:     global_buffer
      - .address_space:  global
        .offset:         96
        .size:           8
        .value_kind:     global_buffer
      - .offset:         104
        .size:           4
        .value_kind:     by_value
      - .offset:         108
        .size:           4
        .value_kind:     by_value
      - .offset:         112
        .size:           4
        .value_kind:     by_value
      - .offset:         116
        .size:           4
        .value_kind:     by_value
      - .offset:         120
        .size:           4
        .value_kind:     by_value
      - .offset:         128
        .size:           4
        .value_kind:     hidden_block_count_x
      - .offset:         132
        .size:           4
        .value_kind:     hidden_block_count_y
      - .offset:         136
        .size:           4
        .value_kind:     hidden_block_count_z
      - .offset:         140
        .size:           2
        .value_kind:     hidden_group_size_x
      - .offset:         142
        .size:           2
        .value_kind:     hidden_group_size_y
      - .offset:         144
        .size:           2
        .value_kind:     hidden_group_size_z
      - .offset:         146
        .size:           2
        .value_kind:     hidden_remainder_x
      - .offset:         148
        .size:           2
        .value_kind:     hidden_remainder_y
      - .offset:         150
        .size:           2
        .value_kind:     hidden_remainder_z
      - .offset:         168
        .size:           8
        .value_kind:     hidden_global_offset_x
      - .offset:         176
        .size:           8
        .value_kind:     hidden_global_offset_y
      - .offset:         184
        .size:           8
        .value_kind:     hidden_global_offset_z
      - .offset:         192
        .size:           2
        .value_kind:     hidden_grid_dims
      - .offset:         248
        .size:           4
        .value_kind:     hidden_dynamic_lds_size
    .group_segment_fixed_size: 192
    .kernarg_segment_align: 8
    .kernarg_segment_size: 384
    .language:       OpenCL C
    .language_version:
      - 2
      - 0
    .max_flat_workgroup_size: 1024
    .name:           _ZN4vllm25paged_attention_v1_kernelIttLi80ELi8ELi128ELNS_18Fp8KVCacheDataTypeE0ELb0EEEvPT_PKS2_PKT0_S8_ifPKiSA_iPKfiiiSC_SC_iiiii
    .private_segment_fixed_size: 0
    .sgpr_count:     29
    .sgpr_spill_count: 0
    .symbol:         _ZN4vllm25paged_attention_v1_kernelIttLi80ELi8ELi128ELNS_18Fp8KVCacheDataTypeE0ELb0EEEvPT_PKS2_PKT0_S8_ifPKiSA_iPKfiiiSC_SC_iiiii.kd
    .uniform_work_group_size: 1
    .uses_dynamic_stack: false
    .vgpr_count:     52
    .vgpr_spill_count: 0
    .wavefront_size: 32
    .workgroup_processor_mode: 1
  - .args:
      - .actual_access:  write_only
        .address_space:  global
        .offset:         0
        .size:           8
        .value_kind:     global_buffer
      - .actual_access:  read_only
        .address_space:  global
        .offset:         8
        .size:           8
        .value_kind:     global_buffer
      - .actual_access:  read_only
        .address_space:  global
        .offset:         16
        .size:           8
        .value_kind:     global_buffer
      - .actual_access:  read_only
        .address_space:  global
        .offset:         24
        .size:           8
        .value_kind:     global_buffer
      - .offset:         32
        .size:           4
        .value_kind:     by_value
      - .offset:         36
        .size:           4
        .value_kind:     by_value
      - .actual_access:  read_only
        .address_space:  global
        .offset:         40
        .size:           8
        .value_kind:     global_buffer
      - .actual_access:  read_only
        .address_space:  global
        .offset:         48
        .size:           8
        .value_kind:     global_buffer
      - .offset:         56
        .size:           4
        .value_kind:     by_value
      - .actual_access:  read_only
        .address_space:  global
        .offset:         64
        .size:           8
        .value_kind:     global_buffer
      - .offset:         72
        .size:           4
        .value_kind:     by_value
      - .offset:         76
        .size:           4
        .value_kind:     by_value
      - .offset:         80
        .size:           4
        .value_kind:     by_value
      - .address_space:  global
        .offset:         88
        .size:           8
        .value_kind:     global_buffer
      - .address_space:  global
        .offset:         96
        .size:           8
        .value_kind:     global_buffer
      - .offset:         104
        .size:           4
        .value_kind:     by_value
      - .offset:         108
        .size:           4
        .value_kind:     by_value
      - .offset:         112
        .size:           4
        .value_kind:     by_value
      - .offset:         116
        .size:           4
        .value_kind:     by_value
      - .offset:         120
        .size:           4
        .value_kind:     by_value
      - .offset:         128
        .size:           4
        .value_kind:     hidden_block_count_x
      - .offset:         132
        .size:           4
        .value_kind:     hidden_block_count_y
      - .offset:         136
        .size:           4
        .value_kind:     hidden_block_count_z
      - .offset:         140
        .size:           2
        .value_kind:     hidden_group_size_x
      - .offset:         142
        .size:           2
        .value_kind:     hidden_group_size_y
      - .offset:         144
        .size:           2
        .value_kind:     hidden_group_size_z
      - .offset:         146
        .size:           2
        .value_kind:     hidden_remainder_x
      - .offset:         148
        .size:           2
        .value_kind:     hidden_remainder_y
      - .offset:         150
        .size:           2
        .value_kind:     hidden_remainder_z
      - .offset:         168
        .size:           8
        .value_kind:     hidden_global_offset_x
      - .offset:         176
        .size:           8
        .value_kind:     hidden_global_offset_y
      - .offset:         184
        .size:           8
        .value_kind:     hidden_global_offset_z
      - .offset:         192
        .size:           2
        .value_kind:     hidden_grid_dims
      - .offset:         248
        .size:           4
        .value_kind:     hidden_dynamic_lds_size
    .group_segment_fixed_size: 224
    .kernarg_segment_align: 8
    .kernarg_segment_size: 384
    .language:       OpenCL C
    .language_version:
      - 2
      - 0
    .max_flat_workgroup_size: 1024
    .name:           _ZN4vllm25paged_attention_v1_kernelIttLi96ELi8ELi128ELNS_18Fp8KVCacheDataTypeE0ELb0EEEvPT_PKS2_PKT0_S8_ifPKiSA_iPKfiiiSC_SC_iiiii
    .private_segment_fixed_size: 0
    .sgpr_count:     29
    .sgpr_spill_count: 0
    .symbol:         _ZN4vllm25paged_attention_v1_kernelIttLi96ELi8ELi128ELNS_18Fp8KVCacheDataTypeE0ELb0EEEvPT_PKS2_PKT0_S8_ifPKiSA_iPKfiiiSC_SC_iiiii.kd
    .uniform_work_group_size: 1
    .uses_dynamic_stack: false
    .vgpr_count:     60
    .vgpr_spill_count: 0
    .wavefront_size: 32
    .workgroup_processor_mode: 1
  - .args:
      - .actual_access:  write_only
        .address_space:  global
        .offset:         0
        .size:           8
        .value_kind:     global_buffer
      - .actual_access:  read_only
        .address_space:  global
        .offset:         8
        .size:           8
        .value_kind:     global_buffer
      - .actual_access:  read_only
        .address_space:  global
        .offset:         16
        .size:           8
        .value_kind:     global_buffer
      - .actual_access:  read_only
        .address_space:  global
        .offset:         24
        .size:           8
        .value_kind:     global_buffer
      - .offset:         32
        .size:           4
        .value_kind:     by_value
      - .offset:         36
        .size:           4
        .value_kind:     by_value
      - .actual_access:  read_only
        .address_space:  global
        .offset:         40
        .size:           8
        .value_kind:     global_buffer
      - .actual_access:  read_only
        .address_space:  global
        .offset:         48
        .size:           8
        .value_kind:     global_buffer
      - .offset:         56
        .size:           4
        .value_kind:     by_value
      - .actual_access:  read_only
        .address_space:  global
        .offset:         64
        .size:           8
        .value_kind:     global_buffer
      - .offset:         72
        .size:           4
        .value_kind:     by_value
      - .offset:         76
        .size:           4
        .value_kind:     by_value
      - .offset:         80
        .size:           4
        .value_kind:     by_value
      - .address_space:  global
        .offset:         88
        .size:           8
        .value_kind:     global_buffer
      - .address_space:  global
        .offset:         96
        .size:           8
        .value_kind:     global_buffer
      - .offset:         104
        .size:           4
        .value_kind:     by_value
      - .offset:         108
        .size:           4
        .value_kind:     by_value
      - .offset:         112
        .size:           4
        .value_kind:     by_value
      - .offset:         116
        .size:           4
        .value_kind:     by_value
      - .offset:         120
        .size:           4
        .value_kind:     by_value
      - .offset:         128
        .size:           4
        .value_kind:     hidden_block_count_x
      - .offset:         132
        .size:           4
        .value_kind:     hidden_block_count_y
      - .offset:         136
        .size:           4
        .value_kind:     hidden_block_count_z
      - .offset:         140
        .size:           2
        .value_kind:     hidden_group_size_x
      - .offset:         142
        .size:           2
        .value_kind:     hidden_group_size_y
      - .offset:         144
        .size:           2
        .value_kind:     hidden_group_size_z
      - .offset:         146
        .size:           2
        .value_kind:     hidden_remainder_x
      - .offset:         148
        .size:           2
        .value_kind:     hidden_remainder_y
      - .offset:         150
        .size:           2
        .value_kind:     hidden_remainder_z
      - .offset:         168
        .size:           8
        .value_kind:     hidden_global_offset_x
      - .offset:         176
        .size:           8
        .value_kind:     hidden_global_offset_y
      - .offset:         184
        .size:           8
        .value_kind:     hidden_global_offset_z
      - .offset:         192
        .size:           2
        .value_kind:     hidden_grid_dims
      - .offset:         248
        .size:           4
        .value_kind:     hidden_dynamic_lds_size
    .group_segment_fixed_size: 256
    .kernarg_segment_align: 8
    .kernarg_segment_size: 384
    .language:       OpenCL C
    .language_version:
      - 2
      - 0
    .max_flat_workgroup_size: 1024
    .name:           _ZN4vllm25paged_attention_v1_kernelIttLi112ELi8ELi128ELNS_18Fp8KVCacheDataTypeE0ELb0EEEvPT_PKS2_PKT0_S8_ifPKiSA_iPKfiiiSC_SC_iiiii
    .private_segment_fixed_size: 0
    .sgpr_count:     29
    .sgpr_spill_count: 0
    .symbol:         _ZN4vllm25paged_attention_v1_kernelIttLi112ELi8ELi128ELNS_18Fp8KVCacheDataTypeE0ELb0EEEvPT_PKS2_PKT0_S8_ifPKiSA_iPKfiiiSC_SC_iiiii.kd
    .uniform_work_group_size: 1
    .uses_dynamic_stack: false
    .vgpr_count:     65
    .vgpr_spill_count: 0
    .wavefront_size: 32
    .workgroup_processor_mode: 1
  - .args:
      - .actual_access:  write_only
        .address_space:  global
        .offset:         0
        .size:           8
        .value_kind:     global_buffer
      - .actual_access:  read_only
        .address_space:  global
        .offset:         8
        .size:           8
        .value_kind:     global_buffer
      - .actual_access:  read_only
        .address_space:  global
        .offset:         16
        .size:           8
        .value_kind:     global_buffer
      - .actual_access:  read_only
        .address_space:  global
        .offset:         24
        .size:           8
        .value_kind:     global_buffer
      - .offset:         32
        .size:           4
        .value_kind:     by_value
      - .offset:         36
        .size:           4
        .value_kind:     by_value
      - .actual_access:  read_only
        .address_space:  global
        .offset:         40
        .size:           8
        .value_kind:     global_buffer
      - .actual_access:  read_only
        .address_space:  global
        .offset:         48
        .size:           8
        .value_kind:     global_buffer
      - .offset:         56
        .size:           4
        .value_kind:     by_value
      - .actual_access:  read_only
        .address_space:  global
        .offset:         64
        .size:           8
        .value_kind:     global_buffer
      - .offset:         72
        .size:           4
        .value_kind:     by_value
      - .offset:         76
        .size:           4
        .value_kind:     by_value
      - .offset:         80
        .size:           4
        .value_kind:     by_value
      - .address_space:  global
        .offset:         88
        .size:           8
        .value_kind:     global_buffer
      - .address_space:  global
        .offset:         96
        .size:           8
        .value_kind:     global_buffer
      - .offset:         104
        .size:           4
        .value_kind:     by_value
      - .offset:         108
        .size:           4
        .value_kind:     by_value
      - .offset:         112
        .size:           4
        .value_kind:     by_value
      - .offset:         116
        .size:           4
        .value_kind:     by_value
      - .offset:         120
        .size:           4
        .value_kind:     by_value
      - .offset:         128
        .size:           4
        .value_kind:     hidden_block_count_x
      - .offset:         132
        .size:           4
        .value_kind:     hidden_block_count_y
      - .offset:         136
        .size:           4
        .value_kind:     hidden_block_count_z
      - .offset:         140
        .size:           2
        .value_kind:     hidden_group_size_x
      - .offset:         142
        .size:           2
        .value_kind:     hidden_group_size_y
      - .offset:         144
        .size:           2
        .value_kind:     hidden_group_size_z
      - .offset:         146
        .size:           2
        .value_kind:     hidden_remainder_x
      - .offset:         148
        .size:           2
        .value_kind:     hidden_remainder_y
      - .offset:         150
        .size:           2
        .value_kind:     hidden_remainder_z
      - .offset:         168
        .size:           8
        .value_kind:     hidden_global_offset_x
      - .offset:         176
        .size:           8
        .value_kind:     hidden_global_offset_y
      - .offset:         184
        .size:           8
        .value_kind:     hidden_global_offset_z
      - .offset:         192
        .size:           2
        .value_kind:     hidden_grid_dims
      - .offset:         248
        .size:           4
        .value_kind:     hidden_dynamic_lds_size
    .group_segment_fixed_size: 272
    .kernarg_segment_align: 8
    .kernarg_segment_size: 384
    .language:       OpenCL C
    .language_version:
      - 2
      - 0
    .max_flat_workgroup_size: 1024
    .name:           _ZN4vllm25paged_attention_v1_kernelIttLi120ELi8ELi128ELNS_18Fp8KVCacheDataTypeE0ELb0EEEvPT_PKS2_PKT0_S8_ifPKiSA_iPKfiiiSC_SC_iiiii
    .private_segment_fixed_size: 0
    .sgpr_count:     29
    .sgpr_spill_count: 0
    .symbol:         _ZN4vllm25paged_attention_v1_kernelIttLi120ELi8ELi128ELNS_18Fp8KVCacheDataTypeE0ELb0EEEvPT_PKS2_PKT0_S8_ifPKiSA_iPKfiiiSC_SC_iiiii.kd
    .uniform_work_group_size: 1
    .uses_dynamic_stack: false
    .vgpr_count:     69
    .vgpr_spill_count: 0
    .wavefront_size: 32
    .workgroup_processor_mode: 1
  - .args:
      - .actual_access:  write_only
        .address_space:  global
        .offset:         0
        .size:           8
        .value_kind:     global_buffer
      - .actual_access:  read_only
        .address_space:  global
        .offset:         8
        .size:           8
        .value_kind:     global_buffer
      - .actual_access:  read_only
        .address_space:  global
        .offset:         16
        .size:           8
        .value_kind:     global_buffer
      - .actual_access:  read_only
        .address_space:  global
        .offset:         24
        .size:           8
        .value_kind:     global_buffer
      - .offset:         32
        .size:           4
        .value_kind:     by_value
      - .offset:         36
        .size:           4
        .value_kind:     by_value
      - .actual_access:  read_only
        .address_space:  global
        .offset:         40
        .size:           8
        .value_kind:     global_buffer
      - .actual_access:  read_only
        .address_space:  global
        .offset:         48
        .size:           8
        .value_kind:     global_buffer
      - .offset:         56
        .size:           4
        .value_kind:     by_value
      - .actual_access:  read_only
        .address_space:  global
        .offset:         64
        .size:           8
        .value_kind:     global_buffer
      - .offset:         72
        .size:           4
        .value_kind:     by_value
      - .offset:         76
        .size:           4
        .value_kind:     by_value
      - .offset:         80
        .size:           4
        .value_kind:     by_value
      - .address_space:  global
        .offset:         88
        .size:           8
        .value_kind:     global_buffer
      - .address_space:  global
        .offset:         96
        .size:           8
        .value_kind:     global_buffer
      - .offset:         104
        .size:           4
        .value_kind:     by_value
      - .offset:         108
        .size:           4
        .value_kind:     by_value
      - .offset:         112
        .size:           4
        .value_kind:     by_value
      - .offset:         116
        .size:           4
        .value_kind:     by_value
      - .offset:         120
        .size:           4
        .value_kind:     by_value
      - .offset:         128
        .size:           4
        .value_kind:     hidden_block_count_x
      - .offset:         132
        .size:           4
        .value_kind:     hidden_block_count_y
      - .offset:         136
        .size:           4
        .value_kind:     hidden_block_count_z
      - .offset:         140
        .size:           2
        .value_kind:     hidden_group_size_x
      - .offset:         142
        .size:           2
        .value_kind:     hidden_group_size_y
      - .offset:         144
        .size:           2
        .value_kind:     hidden_group_size_z
      - .offset:         146
        .size:           2
        .value_kind:     hidden_remainder_x
      - .offset:         148
        .size:           2
        .value_kind:     hidden_remainder_y
      - .offset:         150
        .size:           2
        .value_kind:     hidden_remainder_z
      - .offset:         168
        .size:           8
        .value_kind:     hidden_global_offset_x
      - .offset:         176
        .size:           8
        .value_kind:     hidden_global_offset_y
      - .offset:         184
        .size:           8
        .value_kind:     hidden_global_offset_z
      - .offset:         192
        .size:           2
        .value_kind:     hidden_grid_dims
      - .offset:         248
        .size:           4
        .value_kind:     hidden_dynamic_lds_size
    .group_segment_fixed_size: 288
    .kernarg_segment_align: 8
    .kernarg_segment_size: 384
    .language:       OpenCL C
    .language_version:
      - 2
      - 0
    .max_flat_workgroup_size: 1024
    .name:           _ZN4vllm25paged_attention_v1_kernelIttLi128ELi8ELi128ELNS_18Fp8KVCacheDataTypeE0ELb0EEEvPT_PKS2_PKT0_S8_ifPKiSA_iPKfiiiSC_SC_iiiii
    .private_segment_fixed_size: 0
    .sgpr_count:     32
    .sgpr_spill_count: 0
    .symbol:         _ZN4vllm25paged_attention_v1_kernelIttLi128ELi8ELi128ELNS_18Fp8KVCacheDataTypeE0ELb0EEEvPT_PKS2_PKT0_S8_ifPKiSA_iPKfiiiSC_SC_iiiii.kd
    .uniform_work_group_size: 1
    .uses_dynamic_stack: false
    .vgpr_count:     70
    .vgpr_spill_count: 0
    .wavefront_size: 32
    .workgroup_processor_mode: 1
  - .args:
      - .actual_access:  write_only
        .address_space:  global
        .offset:         0
        .size:           8
        .value_kind:     global_buffer
      - .actual_access:  read_only
        .address_space:  global
        .offset:         8
        .size:           8
        .value_kind:     global_buffer
      - .actual_access:  read_only
        .address_space:  global
        .offset:         16
        .size:           8
        .value_kind:     global_buffer
      - .actual_access:  read_only
        .address_space:  global
        .offset:         24
        .size:           8
        .value_kind:     global_buffer
      - .offset:         32
        .size:           4
        .value_kind:     by_value
      - .offset:         36
        .size:           4
        .value_kind:     by_value
      - .actual_access:  read_only
        .address_space:  global
        .offset:         40
        .size:           8
        .value_kind:     global_buffer
      - .actual_access:  read_only
        .address_space:  global
        .offset:         48
        .size:           8
        .value_kind:     global_buffer
      - .offset:         56
        .size:           4
        .value_kind:     by_value
      - .actual_access:  read_only
        .address_space:  global
        .offset:         64
        .size:           8
        .value_kind:     global_buffer
      - .offset:         72
        .size:           4
        .value_kind:     by_value
      - .offset:         76
        .size:           4
        .value_kind:     by_value
      - .offset:         80
        .size:           4
        .value_kind:     by_value
      - .address_space:  global
        .offset:         88
        .size:           8
        .value_kind:     global_buffer
      - .address_space:  global
        .offset:         96
        .size:           8
        .value_kind:     global_buffer
      - .offset:         104
        .size:           4
        .value_kind:     by_value
      - .offset:         108
        .size:           4
        .value_kind:     by_value
      - .offset:         112
        .size:           4
        .value_kind:     by_value
      - .offset:         116
        .size:           4
        .value_kind:     by_value
      - .offset:         120
        .size:           4
        .value_kind:     by_value
      - .offset:         128
        .size:           4
        .value_kind:     hidden_block_count_x
      - .offset:         132
        .size:           4
        .value_kind:     hidden_block_count_y
      - .offset:         136
        .size:           4
        .value_kind:     hidden_block_count_z
      - .offset:         140
        .size:           2
        .value_kind:     hidden_group_size_x
      - .offset:         142
        .size:           2
        .value_kind:     hidden_group_size_y
      - .offset:         144
        .size:           2
        .value_kind:     hidden_group_size_z
      - .offset:         146
        .size:           2
        .value_kind:     hidden_remainder_x
      - .offset:         148
        .size:           2
        .value_kind:     hidden_remainder_y
      - .offset:         150
        .size:           2
        .value_kind:     hidden_remainder_z
      - .offset:         168
        .size:           8
        .value_kind:     hidden_global_offset_x
      - .offset:         176
        .size:           8
        .value_kind:     hidden_global_offset_y
      - .offset:         184
        .size:           8
        .value_kind:     hidden_global_offset_z
      - .offset:         192
        .size:           2
        .value_kind:     hidden_grid_dims
      - .offset:         248
        .size:           4
        .value_kind:     hidden_dynamic_lds_size
    .group_segment_fixed_size: 416
    .kernarg_segment_align: 8
    .kernarg_segment_size: 384
    .language:       OpenCL C
    .language_version:
      - 2
      - 0
    .max_flat_workgroup_size: 1024
    .name:           _ZN4vllm25paged_attention_v1_kernelIttLi192ELi8ELi128ELNS_18Fp8KVCacheDataTypeE0ELb0EEEvPT_PKS2_PKT0_S8_ifPKiSA_iPKfiiiSC_SC_iiiii
    .private_segment_fixed_size: 0
    .sgpr_count:     29
    .sgpr_spill_count: 0
    .symbol:         _ZN4vllm25paged_attention_v1_kernelIttLi192ELi8ELi128ELNS_18Fp8KVCacheDataTypeE0ELb0EEEvPT_PKS2_PKT0_S8_ifPKiSA_iPKfiiiSC_SC_iiiii.kd
    .uniform_work_group_size: 1
    .uses_dynamic_stack: false
    .vgpr_count:     70
    .vgpr_spill_count: 0
    .wavefront_size: 32
    .workgroup_processor_mode: 1
  - .args:
      - .actual_access:  write_only
        .address_space:  global
        .offset:         0
        .size:           8
        .value_kind:     global_buffer
      - .actual_access:  read_only
        .address_space:  global
        .offset:         8
        .size:           8
        .value_kind:     global_buffer
      - .actual_access:  read_only
        .address_space:  global
        .offset:         16
        .size:           8
        .value_kind:     global_buffer
      - .actual_access:  read_only
        .address_space:  global
        .offset:         24
        .size:           8
        .value_kind:     global_buffer
      - .offset:         32
        .size:           4
        .value_kind:     by_value
      - .offset:         36
        .size:           4
        .value_kind:     by_value
      - .actual_access:  read_only
        .address_space:  global
        .offset:         40
        .size:           8
        .value_kind:     global_buffer
      - .actual_access:  read_only
        .address_space:  global
        .offset:         48
        .size:           8
        .value_kind:     global_buffer
      - .offset:         56
        .size:           4
        .value_kind:     by_value
      - .actual_access:  read_only
        .address_space:  global
        .offset:         64
        .size:           8
        .value_kind:     global_buffer
      - .offset:         72
        .size:           4
        .value_kind:     by_value
      - .offset:         76
        .size:           4
        .value_kind:     by_value
      - .offset:         80
        .size:           4
        .value_kind:     by_value
      - .address_space:  global
        .offset:         88
        .size:           8
        .value_kind:     global_buffer
      - .address_space:  global
        .offset:         96
        .size:           8
        .value_kind:     global_buffer
      - .offset:         104
        .size:           4
        .value_kind:     by_value
      - .offset:         108
        .size:           4
        .value_kind:     by_value
      - .offset:         112
        .size:           4
        .value_kind:     by_value
      - .offset:         116
        .size:           4
        .value_kind:     by_value
      - .offset:         120
        .size:           4
        .value_kind:     by_value
      - .offset:         128
        .size:           4
        .value_kind:     hidden_block_count_x
      - .offset:         132
        .size:           4
        .value_kind:     hidden_block_count_y
      - .offset:         136
        .size:           4
        .value_kind:     hidden_block_count_z
      - .offset:         140
        .size:           2
        .value_kind:     hidden_group_size_x
      - .offset:         142
        .size:           2
        .value_kind:     hidden_group_size_y
      - .offset:         144
        .size:           2
        .value_kind:     hidden_group_size_z
      - .offset:         146
        .size:           2
        .value_kind:     hidden_remainder_x
      - .offset:         148
        .size:           2
        .value_kind:     hidden_remainder_y
      - .offset:         150
        .size:           2
        .value_kind:     hidden_remainder_z
      - .offset:         168
        .size:           8
        .value_kind:     hidden_global_offset_x
      - .offset:         176
        .size:           8
        .value_kind:     hidden_global_offset_y
      - .offset:         184
        .size:           8
        .value_kind:     hidden_global_offset_z
      - .offset:         192
        .size:           2
        .value_kind:     hidden_grid_dims
      - .offset:         248
        .size:           4
        .value_kind:     hidden_dynamic_lds_size
    .group_segment_fixed_size: 544
    .kernarg_segment_align: 8
    .kernarg_segment_size: 384
    .language:       OpenCL C
    .language_version:
      - 2
      - 0
    .max_flat_workgroup_size: 1024
    .name:           _ZN4vllm25paged_attention_v1_kernelIttLi256ELi8ELi128ELNS_18Fp8KVCacheDataTypeE0ELb0EEEvPT_PKS2_PKT0_S8_ifPKiSA_iPKfiiiSC_SC_iiiii
    .private_segment_fixed_size: 0
    .sgpr_count:     29
    .sgpr_spill_count: 0
    .symbol:         _ZN4vllm25paged_attention_v1_kernelIttLi256ELi8ELi128ELNS_18Fp8KVCacheDataTypeE0ELb0EEEvPT_PKS2_PKT0_S8_ifPKiSA_iPKfiiiSC_SC_iiiii.kd
    .uniform_work_group_size: 1
    .uses_dynamic_stack: false
    .vgpr_count:     81
    .vgpr_spill_count: 0
    .wavefront_size: 32
    .workgroup_processor_mode: 1
  - .args:
      - .actual_access:  write_only
        .address_space:  global
        .offset:         0
        .size:           8
        .value_kind:     global_buffer
      - .actual_access:  read_only
        .address_space:  global
        .offset:         8
        .size:           8
        .value_kind:     global_buffer
      - .actual_access:  read_only
        .address_space:  global
        .offset:         16
        .size:           8
        .value_kind:     global_buffer
      - .actual_access:  read_only
        .address_space:  global
        .offset:         24
        .size:           8
        .value_kind:     global_buffer
      - .offset:         32
        .size:           4
        .value_kind:     by_value
      - .offset:         36
        .size:           4
        .value_kind:     by_value
      - .actual_access:  read_only
        .address_space:  global
        .offset:         40
        .size:           8
        .value_kind:     global_buffer
      - .actual_access:  read_only
        .address_space:  global
        .offset:         48
        .size:           8
        .value_kind:     global_buffer
      - .offset:         56
        .size:           4
        .value_kind:     by_value
      - .actual_access:  read_only
        .address_space:  global
        .offset:         64
        .size:           8
        .value_kind:     global_buffer
      - .offset:         72
        .size:           4
        .value_kind:     by_value
      - .offset:         76
        .size:           4
        .value_kind:     by_value
      - .offset:         80
        .size:           4
        .value_kind:     by_value
      - .address_space:  global
        .offset:         88
        .size:           8
        .value_kind:     global_buffer
      - .address_space:  global
        .offset:         96
        .size:           8
        .value_kind:     global_buffer
      - .offset:         104
        .size:           4
        .value_kind:     by_value
      - .offset:         108
        .size:           4
        .value_kind:     by_value
      - .offset:         112
        .size:           4
        .value_kind:     by_value
      - .offset:         116
        .size:           4
        .value_kind:     by_value
      - .offset:         120
        .size:           4
        .value_kind:     by_value
      - .offset:         128
        .size:           4
        .value_kind:     hidden_block_count_x
      - .offset:         132
        .size:           4
        .value_kind:     hidden_block_count_y
      - .offset:         136
        .size:           4
        .value_kind:     hidden_block_count_z
      - .offset:         140
        .size:           2
        .value_kind:     hidden_group_size_x
      - .offset:         142
        .size:           2
        .value_kind:     hidden_group_size_y
      - .offset:         144
        .size:           2
        .value_kind:     hidden_group_size_z
      - .offset:         146
        .size:           2
        .value_kind:     hidden_remainder_x
      - .offset:         148
        .size:           2
        .value_kind:     hidden_remainder_y
      - .offset:         150
        .size:           2
        .value_kind:     hidden_remainder_z
      - .offset:         168
        .size:           8
        .value_kind:     hidden_global_offset_x
      - .offset:         176
        .size:           8
        .value_kind:     hidden_global_offset_y
      - .offset:         184
        .size:           8
        .value_kind:     hidden_global_offset_z
      - .offset:         192
        .size:           2
        .value_kind:     hidden_grid_dims
      - .offset:         248
        .size:           4
        .value_kind:     hidden_dynamic_lds_size
    .group_segment_fixed_size: 96
    .kernarg_segment_align: 8
    .kernarg_segment_size: 384
    .language:       OpenCL C
    .language_version:
      - 2
      - 0
    .max_flat_workgroup_size: 1024
    .name:           _ZN4vllm25paged_attention_v1_kernelIttLi32ELi16ELi128ELNS_18Fp8KVCacheDataTypeE0ELb1EEEvPT_PKS2_PKT0_S8_ifPKiSA_iPKfiiiSC_SC_iiiii
    .private_segment_fixed_size: 0
    .sgpr_count:     40
    .sgpr_spill_count: 0
    .symbol:         _ZN4vllm25paged_attention_v1_kernelIttLi32ELi16ELi128ELNS_18Fp8KVCacheDataTypeE0ELb1EEEvPT_PKS2_PKT0_S8_ifPKiSA_iPKfiiiSC_SC_iiiii.kd
    .uniform_work_group_size: 1
    .uses_dynamic_stack: false
    .vgpr_count:     52
    .vgpr_spill_count: 0
    .wavefront_size: 32
    .workgroup_processor_mode: 1
  - .args:
      - .actual_access:  write_only
        .address_space:  global
        .offset:         0
        .size:           8
        .value_kind:     global_buffer
      - .actual_access:  read_only
        .address_space:  global
        .offset:         8
        .size:           8
        .value_kind:     global_buffer
      - .actual_access:  read_only
        .address_space:  global
        .offset:         16
        .size:           8
        .value_kind:     global_buffer
      - .actual_access:  read_only
        .address_space:  global
        .offset:         24
        .size:           8
        .value_kind:     global_buffer
      - .offset:         32
        .size:           4
        .value_kind:     by_value
      - .offset:         36
        .size:           4
        .value_kind:     by_value
      - .actual_access:  read_only
        .address_space:  global
        .offset:         40
        .size:           8
        .value_kind:     global_buffer
      - .actual_access:  read_only
        .address_space:  global
        .offset:         48
        .size:           8
        .value_kind:     global_buffer
      - .offset:         56
        .size:           4
        .value_kind:     by_value
      - .actual_access:  read_only
        .address_space:  global
        .offset:         64
        .size:           8
        .value_kind:     global_buffer
      - .offset:         72
        .size:           4
        .value_kind:     by_value
      - .offset:         76
        .size:           4
        .value_kind:     by_value
      - .offset:         80
        .size:           4
        .value_kind:     by_value
      - .address_space:  global
        .offset:         88
        .size:           8
        .value_kind:     global_buffer
      - .address_space:  global
        .offset:         96
        .size:           8
        .value_kind:     global_buffer
      - .offset:         104
        .size:           4
        .value_kind:     by_value
      - .offset:         108
        .size:           4
        .value_kind:     by_value
      - .offset:         112
        .size:           4
        .value_kind:     by_value
      - .offset:         116
        .size:           4
        .value_kind:     by_value
      - .offset:         120
        .size:           4
        .value_kind:     by_value
      - .offset:         128
        .size:           4
        .value_kind:     hidden_block_count_x
      - .offset:         132
        .size:           4
        .value_kind:     hidden_block_count_y
      - .offset:         136
        .size:           4
        .value_kind:     hidden_block_count_z
      - .offset:         140
        .size:           2
        .value_kind:     hidden_group_size_x
      - .offset:         142
        .size:           2
        .value_kind:     hidden_group_size_y
      - .offset:         144
        .size:           2
        .value_kind:     hidden_group_size_z
      - .offset:         146
        .size:           2
        .value_kind:     hidden_remainder_x
      - .offset:         148
        .size:           2
        .value_kind:     hidden_remainder_y
      - .offset:         150
        .size:           2
        .value_kind:     hidden_remainder_z
      - .offset:         168
        .size:           8
        .value_kind:     hidden_global_offset_x
      - .offset:         176
        .size:           8
        .value_kind:     hidden_global_offset_y
      - .offset:         184
        .size:           8
        .value_kind:     hidden_global_offset_z
      - .offset:         192
        .size:           2
        .value_kind:     hidden_grid_dims
      - .offset:         248
        .size:           4
        .value_kind:     hidden_dynamic_lds_size
    .group_segment_fixed_size: 160
    .kernarg_segment_align: 8
    .kernarg_segment_size: 384
    .language:       OpenCL C
    .language_version:
      - 2
      - 0
    .max_flat_workgroup_size: 1024
    .name:           _ZN4vllm25paged_attention_v1_kernelIttLi64ELi16ELi128ELNS_18Fp8KVCacheDataTypeE0ELb1EEEvPT_PKS2_PKT0_S8_ifPKiSA_iPKfiiiSC_SC_iiiii
    .private_segment_fixed_size: 0
    .sgpr_count:     40
    .sgpr_spill_count: 0
    .symbol:         _ZN4vllm25paged_attention_v1_kernelIttLi64ELi16ELi128ELNS_18Fp8KVCacheDataTypeE0ELb1EEEvPT_PKS2_PKT0_S8_ifPKiSA_iPKfiiiSC_SC_iiiii.kd
    .uniform_work_group_size: 1
    .uses_dynamic_stack: false
    .vgpr_count:     78
    .vgpr_spill_count: 0
    .wavefront_size: 32
    .workgroup_processor_mode: 1
  - .args:
      - .actual_access:  write_only
        .address_space:  global
        .offset:         0
        .size:           8
        .value_kind:     global_buffer
      - .actual_access:  read_only
        .address_space:  global
        .offset:         8
        .size:           8
        .value_kind:     global_buffer
      - .actual_access:  read_only
        .address_space:  global
        .offset:         16
        .size:           8
        .value_kind:     global_buffer
      - .actual_access:  read_only
        .address_space:  global
        .offset:         24
        .size:           8
        .value_kind:     global_buffer
      - .offset:         32
        .size:           4
        .value_kind:     by_value
      - .offset:         36
        .size:           4
        .value_kind:     by_value
      - .actual_access:  read_only
        .address_space:  global
        .offset:         40
        .size:           8
        .value_kind:     global_buffer
      - .actual_access:  read_only
        .address_space:  global
        .offset:         48
        .size:           8
        .value_kind:     global_buffer
      - .offset:         56
        .size:           4
        .value_kind:     by_value
      - .actual_access:  read_only
        .address_space:  global
        .offset:         64
        .size:           8
        .value_kind:     global_buffer
      - .offset:         72
        .size:           4
        .value_kind:     by_value
      - .offset:         76
        .size:           4
        .value_kind:     by_value
      - .offset:         80
        .size:           4
        .value_kind:     by_value
      - .address_space:  global
        .offset:         88
        .size:           8
        .value_kind:     global_buffer
      - .address_space:  global
        .offset:         96
        .size:           8
        .value_kind:     global_buffer
      - .offset:         104
        .size:           4
        .value_kind:     by_value
      - .offset:         108
        .size:           4
        .value_kind:     by_value
      - .offset:         112
        .size:           4
        .value_kind:     by_value
      - .offset:         116
        .size:           4
        .value_kind:     by_value
      - .offset:         120
        .size:           4
        .value_kind:     by_value
      - .offset:         128
        .size:           4
        .value_kind:     hidden_block_count_x
      - .offset:         132
        .size:           4
        .value_kind:     hidden_block_count_y
      - .offset:         136
        .size:           4
        .value_kind:     hidden_block_count_z
      - .offset:         140
        .size:           2
        .value_kind:     hidden_group_size_x
      - .offset:         142
        .size:           2
        .value_kind:     hidden_group_size_y
      - .offset:         144
        .size:           2
        .value_kind:     hidden_group_size_z
      - .offset:         146
        .size:           2
        .value_kind:     hidden_remainder_x
      - .offset:         148
        .size:           2
        .value_kind:     hidden_remainder_y
      - .offset:         150
        .size:           2
        .value_kind:     hidden_remainder_z
      - .offset:         168
        .size:           8
        .value_kind:     hidden_global_offset_x
      - .offset:         176
        .size:           8
        .value_kind:     hidden_global_offset_y
      - .offset:         184
        .size:           8
        .value_kind:     hidden_global_offset_z
      - .offset:         192
        .size:           2
        .value_kind:     hidden_grid_dims
      - .offset:         248
        .size:           4
        .value_kind:     hidden_dynamic_lds_size
    .group_segment_fixed_size: 192
    .kernarg_segment_align: 8
    .kernarg_segment_size: 384
    .language:       OpenCL C
    .language_version:
      - 2
      - 0
    .max_flat_workgroup_size: 1024
    .name:           _ZN4vllm25paged_attention_v1_kernelIttLi80ELi16ELi128ELNS_18Fp8KVCacheDataTypeE0ELb1EEEvPT_PKS2_PKT0_S8_ifPKiSA_iPKfiiiSC_SC_iiiii
    .private_segment_fixed_size: 0
    .sgpr_count:     40
    .sgpr_spill_count: 0
    .symbol:         _ZN4vllm25paged_attention_v1_kernelIttLi80ELi16ELi128ELNS_18Fp8KVCacheDataTypeE0ELb1EEEvPT_PKS2_PKT0_S8_ifPKiSA_iPKfiiiSC_SC_iiiii.kd
    .uniform_work_group_size: 1
    .uses_dynamic_stack: false
    .vgpr_count:     90
    .vgpr_spill_count: 0
    .wavefront_size: 32
    .workgroup_processor_mode: 1
  - .args:
      - .actual_access:  write_only
        .address_space:  global
        .offset:         0
        .size:           8
        .value_kind:     global_buffer
      - .actual_access:  read_only
        .address_space:  global
        .offset:         8
        .size:           8
        .value_kind:     global_buffer
      - .actual_access:  read_only
        .address_space:  global
        .offset:         16
        .size:           8
        .value_kind:     global_buffer
      - .actual_access:  read_only
        .address_space:  global
        .offset:         24
        .size:           8
        .value_kind:     global_buffer
      - .offset:         32
        .size:           4
        .value_kind:     by_value
      - .offset:         36
        .size:           4
        .value_kind:     by_value
      - .actual_access:  read_only
        .address_space:  global
        .offset:         40
        .size:           8
        .value_kind:     global_buffer
      - .actual_access:  read_only
        .address_space:  global
        .offset:         48
        .size:           8
        .value_kind:     global_buffer
      - .offset:         56
        .size:           4
        .value_kind:     by_value
      - .actual_access:  read_only
        .address_space:  global
        .offset:         64
        .size:           8
        .value_kind:     global_buffer
      - .offset:         72
        .size:           4
        .value_kind:     by_value
      - .offset:         76
        .size:           4
        .value_kind:     by_value
      - .offset:         80
        .size:           4
        .value_kind:     by_value
      - .address_space:  global
        .offset:         88
        .size:           8
        .value_kind:     global_buffer
      - .address_space:  global
        .offset:         96
        .size:           8
        .value_kind:     global_buffer
      - .offset:         104
        .size:           4
        .value_kind:     by_value
      - .offset:         108
        .size:           4
        .value_kind:     by_value
      - .offset:         112
        .size:           4
        .value_kind:     by_value
      - .offset:         116
        .size:           4
        .value_kind:     by_value
      - .offset:         120
        .size:           4
        .value_kind:     by_value
      - .offset:         128
        .size:           4
        .value_kind:     hidden_block_count_x
      - .offset:         132
        .size:           4
        .value_kind:     hidden_block_count_y
      - .offset:         136
        .size:           4
        .value_kind:     hidden_block_count_z
      - .offset:         140
        .size:           2
        .value_kind:     hidden_group_size_x
      - .offset:         142
        .size:           2
        .value_kind:     hidden_group_size_y
      - .offset:         144
        .size:           2
        .value_kind:     hidden_group_size_z
      - .offset:         146
        .size:           2
        .value_kind:     hidden_remainder_x
      - .offset:         148
        .size:           2
        .value_kind:     hidden_remainder_y
      - .offset:         150
        .size:           2
        .value_kind:     hidden_remainder_z
      - .offset:         168
        .size:           8
        .value_kind:     hidden_global_offset_x
      - .offset:         176
        .size:           8
        .value_kind:     hidden_global_offset_y
      - .offset:         184
        .size:           8
        .value_kind:     hidden_global_offset_z
      - .offset:         192
        .size:           2
        .value_kind:     hidden_grid_dims
      - .offset:         248
        .size:           4
        .value_kind:     hidden_dynamic_lds_size
    .group_segment_fixed_size: 224
    .kernarg_segment_align: 8
    .kernarg_segment_size: 384
    .language:       OpenCL C
    .language_version:
      - 2
      - 0
    .max_flat_workgroup_size: 1024
    .name:           _ZN4vllm25paged_attention_v1_kernelIttLi96ELi16ELi128ELNS_18Fp8KVCacheDataTypeE0ELb1EEEvPT_PKS2_PKT0_S8_ifPKiSA_iPKfiiiSC_SC_iiiii
    .private_segment_fixed_size: 0
    .sgpr_count:     40
    .sgpr_spill_count: 0
    .symbol:         _ZN4vllm25paged_attention_v1_kernelIttLi96ELi16ELi128ELNS_18Fp8KVCacheDataTypeE0ELb1EEEvPT_PKS2_PKT0_S8_ifPKiSA_iPKfiiiSC_SC_iiiii.kd
    .uniform_work_group_size: 1
    .uses_dynamic_stack: false
    .vgpr_count:     93
    .vgpr_spill_count: 0
    .wavefront_size: 32
    .workgroup_processor_mode: 1
  - .args:
      - .actual_access:  write_only
        .address_space:  global
        .offset:         0
        .size:           8
        .value_kind:     global_buffer
      - .actual_access:  read_only
        .address_space:  global
        .offset:         8
        .size:           8
        .value_kind:     global_buffer
      - .actual_access:  read_only
        .address_space:  global
        .offset:         16
        .size:           8
        .value_kind:     global_buffer
      - .actual_access:  read_only
        .address_space:  global
        .offset:         24
        .size:           8
        .value_kind:     global_buffer
      - .offset:         32
        .size:           4
        .value_kind:     by_value
      - .offset:         36
        .size:           4
        .value_kind:     by_value
      - .actual_access:  read_only
        .address_space:  global
        .offset:         40
        .size:           8
        .value_kind:     global_buffer
      - .actual_access:  read_only
        .address_space:  global
        .offset:         48
        .size:           8
        .value_kind:     global_buffer
      - .offset:         56
        .size:           4
        .value_kind:     by_value
      - .actual_access:  read_only
        .address_space:  global
        .offset:         64
        .size:           8
        .value_kind:     global_buffer
      - .offset:         72
        .size:           4
        .value_kind:     by_value
      - .offset:         76
        .size:           4
        .value_kind:     by_value
      - .offset:         80
        .size:           4
        .value_kind:     by_value
      - .address_space:  global
        .offset:         88
        .size:           8
        .value_kind:     global_buffer
      - .address_space:  global
        .offset:         96
        .size:           8
        .value_kind:     global_buffer
      - .offset:         104
        .size:           4
        .value_kind:     by_value
      - .offset:         108
        .size:           4
        .value_kind:     by_value
      - .offset:         112
        .size:           4
        .value_kind:     by_value
      - .offset:         116
        .size:           4
        .value_kind:     by_value
      - .offset:         120
        .size:           4
        .value_kind:     by_value
      - .offset:         128
        .size:           4
        .value_kind:     hidden_block_count_x
      - .offset:         132
        .size:           4
        .value_kind:     hidden_block_count_y
      - .offset:         136
        .size:           4
        .value_kind:     hidden_block_count_z
      - .offset:         140
        .size:           2
        .value_kind:     hidden_group_size_x
      - .offset:         142
        .size:           2
        .value_kind:     hidden_group_size_y
      - .offset:         144
        .size:           2
        .value_kind:     hidden_group_size_z
      - .offset:         146
        .size:           2
        .value_kind:     hidden_remainder_x
      - .offset:         148
        .size:           2
        .value_kind:     hidden_remainder_y
      - .offset:         150
        .size:           2
        .value_kind:     hidden_remainder_z
      - .offset:         168
        .size:           8
        .value_kind:     hidden_global_offset_x
      - .offset:         176
        .size:           8
        .value_kind:     hidden_global_offset_y
      - .offset:         184
        .size:           8
        .value_kind:     hidden_global_offset_z
      - .offset:         192
        .size:           2
        .value_kind:     hidden_grid_dims
      - .offset:         248
        .size:           4
        .value_kind:     hidden_dynamic_lds_size
    .group_segment_fixed_size: 256
    .kernarg_segment_align: 8
    .kernarg_segment_size: 384
    .language:       OpenCL C
    .language_version:
      - 2
      - 0
    .max_flat_workgroup_size: 1024
    .name:           _ZN4vllm25paged_attention_v1_kernelIttLi112ELi16ELi128ELNS_18Fp8KVCacheDataTypeE0ELb1EEEvPT_PKS2_PKT0_S8_ifPKiSA_iPKfiiiSC_SC_iiiii
    .private_segment_fixed_size: 0
    .sgpr_count:     40
    .sgpr_spill_count: 0
    .symbol:         _ZN4vllm25paged_attention_v1_kernelIttLi112ELi16ELi128ELNS_18Fp8KVCacheDataTypeE0ELb1EEEvPT_PKS2_PKT0_S8_ifPKiSA_iPKfiiiSC_SC_iiiii.kd
    .uniform_work_group_size: 1
    .uses_dynamic_stack: false
    .vgpr_count:     94
    .vgpr_spill_count: 0
    .wavefront_size: 32
    .workgroup_processor_mode: 1
  - .args:
      - .actual_access:  write_only
        .address_space:  global
        .offset:         0
        .size:           8
        .value_kind:     global_buffer
      - .actual_access:  read_only
        .address_space:  global
        .offset:         8
        .size:           8
        .value_kind:     global_buffer
      - .actual_access:  read_only
        .address_space:  global
        .offset:         16
        .size:           8
        .value_kind:     global_buffer
      - .actual_access:  read_only
        .address_space:  global
        .offset:         24
        .size:           8
        .value_kind:     global_buffer
      - .offset:         32
        .size:           4
        .value_kind:     by_value
      - .offset:         36
        .size:           4
        .value_kind:     by_value
      - .actual_access:  read_only
        .address_space:  global
        .offset:         40
        .size:           8
        .value_kind:     global_buffer
      - .actual_access:  read_only
        .address_space:  global
        .offset:         48
        .size:           8
        .value_kind:     global_buffer
      - .offset:         56
        .size:           4
        .value_kind:     by_value
      - .actual_access:  read_only
        .address_space:  global
        .offset:         64
        .size:           8
        .value_kind:     global_buffer
      - .offset:         72
        .size:           4
        .value_kind:     by_value
      - .offset:         76
        .size:           4
        .value_kind:     by_value
      - .offset:         80
        .size:           4
        .value_kind:     by_value
      - .address_space:  global
        .offset:         88
        .size:           8
        .value_kind:     global_buffer
      - .address_space:  global
        .offset:         96
        .size:           8
        .value_kind:     global_buffer
      - .offset:         104
        .size:           4
        .value_kind:     by_value
      - .offset:         108
        .size:           4
        .value_kind:     by_value
      - .offset:         112
        .size:           4
        .value_kind:     by_value
      - .offset:         116
        .size:           4
        .value_kind:     by_value
      - .offset:         120
        .size:           4
        .value_kind:     by_value
      - .offset:         128
        .size:           4
        .value_kind:     hidden_block_count_x
      - .offset:         132
        .size:           4
        .value_kind:     hidden_block_count_y
      - .offset:         136
        .size:           4
        .value_kind:     hidden_block_count_z
      - .offset:         140
        .size:           2
        .value_kind:     hidden_group_size_x
      - .offset:         142
        .size:           2
        .value_kind:     hidden_group_size_y
      - .offset:         144
        .size:           2
        .value_kind:     hidden_group_size_z
      - .offset:         146
        .size:           2
        .value_kind:     hidden_remainder_x
      - .offset:         148
        .size:           2
        .value_kind:     hidden_remainder_y
      - .offset:         150
        .size:           2
        .value_kind:     hidden_remainder_z
      - .offset:         168
        .size:           8
        .value_kind:     hidden_global_offset_x
      - .offset:         176
        .size:           8
        .value_kind:     hidden_global_offset_y
      - .offset:         184
        .size:           8
        .value_kind:     hidden_global_offset_z
      - .offset:         192
        .size:           2
        .value_kind:     hidden_grid_dims
      - .offset:         248
        .size:           4
        .value_kind:     hidden_dynamic_lds_size
    .group_segment_fixed_size: 272
    .kernarg_segment_align: 8
    .kernarg_segment_size: 384
    .language:       OpenCL C
    .language_version:
      - 2
      - 0
    .max_flat_workgroup_size: 1024
    .name:           _ZN4vllm25paged_attention_v1_kernelIttLi120ELi16ELi128ELNS_18Fp8KVCacheDataTypeE0ELb1EEEvPT_PKS2_PKT0_S8_ifPKiSA_iPKfiiiSC_SC_iiiii
    .private_segment_fixed_size: 0
    .sgpr_count:     40
    .sgpr_spill_count: 0
    .symbol:         _ZN4vllm25paged_attention_v1_kernelIttLi120ELi16ELi128ELNS_18Fp8KVCacheDataTypeE0ELb1EEEvPT_PKS2_PKT0_S8_ifPKiSA_iPKfiiiSC_SC_iiiii.kd
    .uniform_work_group_size: 1
    .uses_dynamic_stack: false
    .vgpr_count:     93
    .vgpr_spill_count: 0
    .wavefront_size: 32
    .workgroup_processor_mode: 1
  - .args:
      - .actual_access:  write_only
        .address_space:  global
        .offset:         0
        .size:           8
        .value_kind:     global_buffer
      - .actual_access:  read_only
        .address_space:  global
        .offset:         8
        .size:           8
        .value_kind:     global_buffer
      - .actual_access:  read_only
        .address_space:  global
        .offset:         16
        .size:           8
        .value_kind:     global_buffer
      - .actual_access:  read_only
        .address_space:  global
        .offset:         24
        .size:           8
        .value_kind:     global_buffer
      - .offset:         32
        .size:           4
        .value_kind:     by_value
      - .offset:         36
        .size:           4
        .value_kind:     by_value
      - .actual_access:  read_only
        .address_space:  global
        .offset:         40
        .size:           8
        .value_kind:     global_buffer
      - .actual_access:  read_only
        .address_space:  global
        .offset:         48
        .size:           8
        .value_kind:     global_buffer
      - .offset:         56
        .size:           4
        .value_kind:     by_value
      - .actual_access:  read_only
        .address_space:  global
        .offset:         64
        .size:           8
        .value_kind:     global_buffer
      - .offset:         72
        .size:           4
        .value_kind:     by_value
      - .offset:         76
        .size:           4
        .value_kind:     by_value
      - .offset:         80
        .size:           4
        .value_kind:     by_value
      - .address_space:  global
        .offset:         88
        .size:           8
        .value_kind:     global_buffer
      - .address_space:  global
        .offset:         96
        .size:           8
        .value_kind:     global_buffer
      - .offset:         104
        .size:           4
        .value_kind:     by_value
      - .offset:         108
        .size:           4
        .value_kind:     by_value
      - .offset:         112
        .size:           4
        .value_kind:     by_value
      - .offset:         116
        .size:           4
        .value_kind:     by_value
      - .offset:         120
        .size:           4
        .value_kind:     by_value
      - .offset:         128
        .size:           4
        .value_kind:     hidden_block_count_x
      - .offset:         132
        .size:           4
        .value_kind:     hidden_block_count_y
      - .offset:         136
        .size:           4
        .value_kind:     hidden_block_count_z
      - .offset:         140
        .size:           2
        .value_kind:     hidden_group_size_x
      - .offset:         142
        .size:           2
        .value_kind:     hidden_group_size_y
      - .offset:         144
        .size:           2
        .value_kind:     hidden_group_size_z
      - .offset:         146
        .size:           2
        .value_kind:     hidden_remainder_x
      - .offset:         148
        .size:           2
        .value_kind:     hidden_remainder_y
      - .offset:         150
        .size:           2
        .value_kind:     hidden_remainder_z
      - .offset:         168
        .size:           8
        .value_kind:     hidden_global_offset_x
      - .offset:         176
        .size:           8
        .value_kind:     hidden_global_offset_y
      - .offset:         184
        .size:           8
        .value_kind:     hidden_global_offset_z
      - .offset:         192
        .size:           2
        .value_kind:     hidden_grid_dims
      - .offset:         248
        .size:           4
        .value_kind:     hidden_dynamic_lds_size
    .group_segment_fixed_size: 288
    .kernarg_segment_align: 8
    .kernarg_segment_size: 384
    .language:       OpenCL C
    .language_version:
      - 2
      - 0
    .max_flat_workgroup_size: 1024
    .name:           _ZN4vllm25paged_attention_v1_kernelIttLi128ELi16ELi128ELNS_18Fp8KVCacheDataTypeE0ELb1EEEvPT_PKS2_PKT0_S8_ifPKiSA_iPKfiiiSC_SC_iiiii
    .private_segment_fixed_size: 0
    .sgpr_count:     40
    .sgpr_spill_count: 0
    .symbol:         _ZN4vllm25paged_attention_v1_kernelIttLi128ELi16ELi128ELNS_18Fp8KVCacheDataTypeE0ELb1EEEvPT_PKS2_PKT0_S8_ifPKiSA_iPKfiiiSC_SC_iiiii.kd
    .uniform_work_group_size: 1
    .uses_dynamic_stack: false
    .vgpr_count:     94
    .vgpr_spill_count: 0
    .wavefront_size: 32
    .workgroup_processor_mode: 1
  - .args:
      - .actual_access:  write_only
        .address_space:  global
        .offset:         0
        .size:           8
        .value_kind:     global_buffer
      - .actual_access:  read_only
        .address_space:  global
        .offset:         8
        .size:           8
        .value_kind:     global_buffer
      - .actual_access:  read_only
        .address_space:  global
        .offset:         16
        .size:           8
        .value_kind:     global_buffer
      - .actual_access:  read_only
        .address_space:  global
        .offset:         24
        .size:           8
        .value_kind:     global_buffer
      - .offset:         32
        .size:           4
        .value_kind:     by_value
      - .offset:         36
        .size:           4
        .value_kind:     by_value
      - .actual_access:  read_only
        .address_space:  global
        .offset:         40
        .size:           8
        .value_kind:     global_buffer
      - .actual_access:  read_only
        .address_space:  global
        .offset:         48
        .size:           8
        .value_kind:     global_buffer
      - .offset:         56
        .size:           4
        .value_kind:     by_value
      - .actual_access:  read_only
        .address_space:  global
        .offset:         64
        .size:           8
        .value_kind:     global_buffer
      - .offset:         72
        .size:           4
        .value_kind:     by_value
      - .offset:         76
        .size:           4
        .value_kind:     by_value
      - .offset:         80
        .size:           4
        .value_kind:     by_value
      - .address_space:  global
        .offset:         88
        .size:           8
        .value_kind:     global_buffer
      - .address_space:  global
        .offset:         96
        .size:           8
        .value_kind:     global_buffer
      - .offset:         104
        .size:           4
        .value_kind:     by_value
      - .offset:         108
        .size:           4
        .value_kind:     by_value
      - .offset:         112
        .size:           4
        .value_kind:     by_value
      - .offset:         116
        .size:           4
        .value_kind:     by_value
      - .offset:         120
        .size:           4
        .value_kind:     by_value
      - .offset:         128
        .size:           4
        .value_kind:     hidden_block_count_x
      - .offset:         132
        .size:           4
        .value_kind:     hidden_block_count_y
      - .offset:         136
        .size:           4
        .value_kind:     hidden_block_count_z
      - .offset:         140
        .size:           2
        .value_kind:     hidden_group_size_x
      - .offset:         142
        .size:           2
        .value_kind:     hidden_group_size_y
      - .offset:         144
        .size:           2
        .value_kind:     hidden_group_size_z
      - .offset:         146
        .size:           2
        .value_kind:     hidden_remainder_x
      - .offset:         148
        .size:           2
        .value_kind:     hidden_remainder_y
      - .offset:         150
        .size:           2
        .value_kind:     hidden_remainder_z
      - .offset:         168
        .size:           8
        .value_kind:     hidden_global_offset_x
      - .offset:         176
        .size:           8
        .value_kind:     hidden_global_offset_y
      - .offset:         184
        .size:           8
        .value_kind:     hidden_global_offset_z
      - .offset:         192
        .size:           2
        .value_kind:     hidden_grid_dims
      - .offset:         248
        .size:           4
        .value_kind:     hidden_dynamic_lds_size
    .group_segment_fixed_size: 416
    .kernarg_segment_align: 8
    .kernarg_segment_size: 384
    .language:       OpenCL C
    .language_version:
      - 2
      - 0
    .max_flat_workgroup_size: 1024
    .name:           _ZN4vllm25paged_attention_v1_kernelIttLi192ELi16ELi128ELNS_18Fp8KVCacheDataTypeE0ELb1EEEvPT_PKS2_PKT0_S8_ifPKiSA_iPKfiiiSC_SC_iiiii
    .private_segment_fixed_size: 0
    .sgpr_count:     40
    .sgpr_spill_count: 0
    .symbol:         _ZN4vllm25paged_attention_v1_kernelIttLi192ELi16ELi128ELNS_18Fp8KVCacheDataTypeE0ELb1EEEvPT_PKS2_PKT0_S8_ifPKiSA_iPKfiiiSC_SC_iiiii.kd
    .uniform_work_group_size: 1
    .uses_dynamic_stack: false
    .vgpr_count:     109
    .vgpr_spill_count: 0
    .wavefront_size: 32
    .workgroup_processor_mode: 1
  - .args:
      - .actual_access:  write_only
        .address_space:  global
        .offset:         0
        .size:           8
        .value_kind:     global_buffer
      - .actual_access:  read_only
        .address_space:  global
        .offset:         8
        .size:           8
        .value_kind:     global_buffer
      - .actual_access:  read_only
        .address_space:  global
        .offset:         16
        .size:           8
        .value_kind:     global_buffer
      - .actual_access:  read_only
        .address_space:  global
        .offset:         24
        .size:           8
        .value_kind:     global_buffer
      - .offset:         32
        .size:           4
        .value_kind:     by_value
      - .offset:         36
        .size:           4
        .value_kind:     by_value
      - .actual_access:  read_only
        .address_space:  global
        .offset:         40
        .size:           8
        .value_kind:     global_buffer
      - .actual_access:  read_only
        .address_space:  global
        .offset:         48
        .size:           8
        .value_kind:     global_buffer
      - .offset:         56
        .size:           4
        .value_kind:     by_value
      - .actual_access:  read_only
        .address_space:  global
        .offset:         64
        .size:           8
        .value_kind:     global_buffer
      - .offset:         72
        .size:           4
        .value_kind:     by_value
      - .offset:         76
        .size:           4
        .value_kind:     by_value
      - .offset:         80
        .size:           4
        .value_kind:     by_value
      - .address_space:  global
        .offset:         88
        .size:           8
        .value_kind:     global_buffer
      - .address_space:  global
        .offset:         96
        .size:           8
        .value_kind:     global_buffer
      - .offset:         104
        .size:           4
        .value_kind:     by_value
      - .offset:         108
        .size:           4
        .value_kind:     by_value
      - .offset:         112
        .size:           4
        .value_kind:     by_value
      - .offset:         116
        .size:           4
        .value_kind:     by_value
      - .offset:         120
        .size:           4
        .value_kind:     by_value
      - .offset:         128
        .size:           4
        .value_kind:     hidden_block_count_x
      - .offset:         132
        .size:           4
        .value_kind:     hidden_block_count_y
      - .offset:         136
        .size:           4
        .value_kind:     hidden_block_count_z
      - .offset:         140
        .size:           2
        .value_kind:     hidden_group_size_x
      - .offset:         142
        .size:           2
        .value_kind:     hidden_group_size_y
      - .offset:         144
        .size:           2
        .value_kind:     hidden_group_size_z
      - .offset:         146
        .size:           2
        .value_kind:     hidden_remainder_x
      - .offset:         148
        .size:           2
        .value_kind:     hidden_remainder_y
      - .offset:         150
        .size:           2
        .value_kind:     hidden_remainder_z
      - .offset:         168
        .size:           8
        .value_kind:     hidden_global_offset_x
      - .offset:         176
        .size:           8
        .value_kind:     hidden_global_offset_y
      - .offset:         184
        .size:           8
        .value_kind:     hidden_global_offset_z
      - .offset:         192
        .size:           2
        .value_kind:     hidden_grid_dims
      - .offset:         248
        .size:           4
        .value_kind:     hidden_dynamic_lds_size
    .group_segment_fixed_size: 544
    .kernarg_segment_align: 8
    .kernarg_segment_size: 384
    .language:       OpenCL C
    .language_version:
      - 2
      - 0
    .max_flat_workgroup_size: 1024
    .name:           _ZN4vllm25paged_attention_v1_kernelIttLi256ELi16ELi128ELNS_18Fp8KVCacheDataTypeE0ELb1EEEvPT_PKS2_PKT0_S8_ifPKiSA_iPKfiiiSC_SC_iiiii
    .private_segment_fixed_size: 0
    .sgpr_count:     40
    .sgpr_spill_count: 0
    .symbol:         _ZN4vllm25paged_attention_v1_kernelIttLi256ELi16ELi128ELNS_18Fp8KVCacheDataTypeE0ELb1EEEvPT_PKS2_PKT0_S8_ifPKiSA_iPKfiiiSC_SC_iiiii.kd
    .uniform_work_group_size: 1
    .uses_dynamic_stack: false
    .vgpr_count:     127
    .vgpr_spill_count: 0
    .wavefront_size: 32
    .workgroup_processor_mode: 1
  - .args:
      - .actual_access:  write_only
        .address_space:  global
        .offset:         0
        .size:           8
        .value_kind:     global_buffer
      - .actual_access:  read_only
        .address_space:  global
        .offset:         8
        .size:           8
        .value_kind:     global_buffer
      - .actual_access:  read_only
        .address_space:  global
        .offset:         16
        .size:           8
        .value_kind:     global_buffer
      - .actual_access:  read_only
        .address_space:  global
        .offset:         24
        .size:           8
        .value_kind:     global_buffer
      - .offset:         32
        .size:           4
        .value_kind:     by_value
      - .offset:         36
        .size:           4
        .value_kind:     by_value
      - .actual_access:  read_only
        .address_space:  global
        .offset:         40
        .size:           8
        .value_kind:     global_buffer
      - .actual_access:  read_only
        .address_space:  global
        .offset:         48
        .size:           8
        .value_kind:     global_buffer
      - .offset:         56
        .size:           4
        .value_kind:     by_value
      - .actual_access:  read_only
        .address_space:  global
        .offset:         64
        .size:           8
        .value_kind:     global_buffer
      - .offset:         72
        .size:           4
        .value_kind:     by_value
      - .offset:         76
        .size:           4
        .value_kind:     by_value
      - .offset:         80
        .size:           4
        .value_kind:     by_value
      - .address_space:  global
        .offset:         88
        .size:           8
        .value_kind:     global_buffer
      - .address_space:  global
        .offset:         96
        .size:           8
        .value_kind:     global_buffer
      - .offset:         104
        .size:           4
        .value_kind:     by_value
      - .offset:         108
        .size:           4
        .value_kind:     by_value
      - .offset:         112
        .size:           4
        .value_kind:     by_value
      - .offset:         116
        .size:           4
        .value_kind:     by_value
      - .offset:         120
        .size:           4
        .value_kind:     by_value
      - .offset:         128
        .size:           4
        .value_kind:     hidden_block_count_x
      - .offset:         132
        .size:           4
        .value_kind:     hidden_block_count_y
      - .offset:         136
        .size:           4
        .value_kind:     hidden_block_count_z
      - .offset:         140
        .size:           2
        .value_kind:     hidden_group_size_x
      - .offset:         142
        .size:           2
        .value_kind:     hidden_group_size_y
      - .offset:         144
        .size:           2
        .value_kind:     hidden_group_size_z
      - .offset:         146
        .size:           2
        .value_kind:     hidden_remainder_x
      - .offset:         148
        .size:           2
        .value_kind:     hidden_remainder_y
      - .offset:         150
        .size:           2
        .value_kind:     hidden_remainder_z
      - .offset:         168
        .size:           8
        .value_kind:     hidden_global_offset_x
      - .offset:         176
        .size:           8
        .value_kind:     hidden_global_offset_y
      - .offset:         184
        .size:           8
        .value_kind:     hidden_global_offset_z
      - .offset:         192
        .size:           2
        .value_kind:     hidden_grid_dims
      - .offset:         248
        .size:           4
        .value_kind:     hidden_dynamic_lds_size
    .group_segment_fixed_size: 96
    .kernarg_segment_align: 8
    .kernarg_segment_size: 384
    .language:       OpenCL C
    .language_version:
      - 2
      - 0
    .max_flat_workgroup_size: 1024
    .name:           _ZN4vllm25paged_attention_v1_kernelIttLi32ELi16ELi128ELNS_18Fp8KVCacheDataTypeE0ELb0EEEvPT_PKS2_PKT0_S8_ifPKiSA_iPKfiiiSC_SC_iiiii
    .private_segment_fixed_size: 0
    .sgpr_count:     29
    .sgpr_spill_count: 0
    .symbol:         _ZN4vllm25paged_attention_v1_kernelIttLi32ELi16ELi128ELNS_18Fp8KVCacheDataTypeE0ELb0EEEvPT_PKS2_PKT0_S8_ifPKiSA_iPKfiiiSC_SC_iiiii.kd
    .uniform_work_group_size: 1
    .uses_dynamic_stack: false
    .vgpr_count:     49
    .vgpr_spill_count: 0
    .wavefront_size: 32
    .workgroup_processor_mode: 1
  - .args:
      - .actual_access:  write_only
        .address_space:  global
        .offset:         0
        .size:           8
        .value_kind:     global_buffer
      - .actual_access:  read_only
        .address_space:  global
        .offset:         8
        .size:           8
        .value_kind:     global_buffer
      - .actual_access:  read_only
        .address_space:  global
        .offset:         16
        .size:           8
        .value_kind:     global_buffer
      - .actual_access:  read_only
        .address_space:  global
        .offset:         24
        .size:           8
        .value_kind:     global_buffer
      - .offset:         32
        .size:           4
        .value_kind:     by_value
      - .offset:         36
        .size:           4
        .value_kind:     by_value
      - .actual_access:  read_only
        .address_space:  global
        .offset:         40
        .size:           8
        .value_kind:     global_buffer
      - .actual_access:  read_only
        .address_space:  global
        .offset:         48
        .size:           8
        .value_kind:     global_buffer
      - .offset:         56
        .size:           4
        .value_kind:     by_value
      - .actual_access:  read_only
        .address_space:  global
        .offset:         64
        .size:           8
        .value_kind:     global_buffer
      - .offset:         72
        .size:           4
        .value_kind:     by_value
      - .offset:         76
        .size:           4
        .value_kind:     by_value
      - .offset:         80
        .size:           4
        .value_kind:     by_value
      - .address_space:  global
        .offset:         88
        .size:           8
        .value_kind:     global_buffer
      - .address_space:  global
        .offset:         96
        .size:           8
        .value_kind:     global_buffer
      - .offset:         104
        .size:           4
        .value_kind:     by_value
      - .offset:         108
        .size:           4
        .value_kind:     by_value
      - .offset:         112
        .size:           4
        .value_kind:     by_value
      - .offset:         116
        .size:           4
        .value_kind:     by_value
      - .offset:         120
        .size:           4
        .value_kind:     by_value
      - .offset:         128
        .size:           4
        .value_kind:     hidden_block_count_x
      - .offset:         132
        .size:           4
        .value_kind:     hidden_block_count_y
      - .offset:         136
        .size:           4
        .value_kind:     hidden_block_count_z
      - .offset:         140
        .size:           2
        .value_kind:     hidden_group_size_x
      - .offset:         142
        .size:           2
        .value_kind:     hidden_group_size_y
      - .offset:         144
        .size:           2
        .value_kind:     hidden_group_size_z
      - .offset:         146
        .size:           2
        .value_kind:     hidden_remainder_x
      - .offset:         148
        .size:           2
        .value_kind:     hidden_remainder_y
      - .offset:         150
        .size:           2
        .value_kind:     hidden_remainder_z
      - .offset:         168
        .size:           8
        .value_kind:     hidden_global_offset_x
      - .offset:         176
        .size:           8
        .value_kind:     hidden_global_offset_y
      - .offset:         184
        .size:           8
        .value_kind:     hidden_global_offset_z
      - .offset:         192
        .size:           2
        .value_kind:     hidden_grid_dims
      - .offset:         248
        .size:           4
        .value_kind:     hidden_dynamic_lds_size
    .group_segment_fixed_size: 160
    .kernarg_segment_align: 8
    .kernarg_segment_size: 384
    .language:       OpenCL C
    .language_version:
      - 2
      - 0
    .max_flat_workgroup_size: 1024
    .name:           _ZN4vllm25paged_attention_v1_kernelIttLi64ELi16ELi128ELNS_18Fp8KVCacheDataTypeE0ELb0EEEvPT_PKS2_PKT0_S8_ifPKiSA_iPKfiiiSC_SC_iiiii
    .private_segment_fixed_size: 0
    .sgpr_count:     29
    .sgpr_spill_count: 0
    .symbol:         _ZN4vllm25paged_attention_v1_kernelIttLi64ELi16ELi128ELNS_18Fp8KVCacheDataTypeE0ELb0EEEvPT_PKS2_PKT0_S8_ifPKiSA_iPKfiiiSC_SC_iiiii.kd
    .uniform_work_group_size: 1
    .uses_dynamic_stack: false
    .vgpr_count:     75
    .vgpr_spill_count: 0
    .wavefront_size: 32
    .workgroup_processor_mode: 1
  - .args:
      - .actual_access:  write_only
        .address_space:  global
        .offset:         0
        .size:           8
        .value_kind:     global_buffer
      - .actual_access:  read_only
        .address_space:  global
        .offset:         8
        .size:           8
        .value_kind:     global_buffer
      - .actual_access:  read_only
        .address_space:  global
        .offset:         16
        .size:           8
        .value_kind:     global_buffer
      - .actual_access:  read_only
        .address_space:  global
        .offset:         24
        .size:           8
        .value_kind:     global_buffer
      - .offset:         32
        .size:           4
        .value_kind:     by_value
      - .offset:         36
        .size:           4
        .value_kind:     by_value
      - .actual_access:  read_only
        .address_space:  global
        .offset:         40
        .size:           8
        .value_kind:     global_buffer
      - .actual_access:  read_only
        .address_space:  global
        .offset:         48
        .size:           8
        .value_kind:     global_buffer
      - .offset:         56
        .size:           4
        .value_kind:     by_value
      - .actual_access:  read_only
        .address_space:  global
        .offset:         64
        .size:           8
        .value_kind:     global_buffer
      - .offset:         72
        .size:           4
        .value_kind:     by_value
      - .offset:         76
        .size:           4
        .value_kind:     by_value
      - .offset:         80
        .size:           4
        .value_kind:     by_value
      - .address_space:  global
        .offset:         88
        .size:           8
        .value_kind:     global_buffer
      - .address_space:  global
        .offset:         96
        .size:           8
        .value_kind:     global_buffer
      - .offset:         104
        .size:           4
        .value_kind:     by_value
      - .offset:         108
        .size:           4
        .value_kind:     by_value
      - .offset:         112
        .size:           4
        .value_kind:     by_value
      - .offset:         116
        .size:           4
        .value_kind:     by_value
      - .offset:         120
        .size:           4
        .value_kind:     by_value
      - .offset:         128
        .size:           4
        .value_kind:     hidden_block_count_x
      - .offset:         132
        .size:           4
        .value_kind:     hidden_block_count_y
      - .offset:         136
        .size:           4
        .value_kind:     hidden_block_count_z
      - .offset:         140
        .size:           2
        .value_kind:     hidden_group_size_x
      - .offset:         142
        .size:           2
        .value_kind:     hidden_group_size_y
      - .offset:         144
        .size:           2
        .value_kind:     hidden_group_size_z
      - .offset:         146
        .size:           2
        .value_kind:     hidden_remainder_x
      - .offset:         148
        .size:           2
        .value_kind:     hidden_remainder_y
      - .offset:         150
        .size:           2
        .value_kind:     hidden_remainder_z
      - .offset:         168
        .size:           8
        .value_kind:     hidden_global_offset_x
      - .offset:         176
        .size:           8
        .value_kind:     hidden_global_offset_y
      - .offset:         184
        .size:           8
        .value_kind:     hidden_global_offset_z
      - .offset:         192
        .size:           2
        .value_kind:     hidden_grid_dims
      - .offset:         248
        .size:           4
        .value_kind:     hidden_dynamic_lds_size
    .group_segment_fixed_size: 192
    .kernarg_segment_align: 8
    .kernarg_segment_size: 384
    .language:       OpenCL C
    .language_version:
      - 2
      - 0
    .max_flat_workgroup_size: 1024
    .name:           _ZN4vllm25paged_attention_v1_kernelIttLi80ELi16ELi128ELNS_18Fp8KVCacheDataTypeE0ELb0EEEvPT_PKS2_PKT0_S8_ifPKiSA_iPKfiiiSC_SC_iiiii
    .private_segment_fixed_size: 0
    .sgpr_count:     29
    .sgpr_spill_count: 0
    .symbol:         _ZN4vllm25paged_attention_v1_kernelIttLi80ELi16ELi128ELNS_18Fp8KVCacheDataTypeE0ELb0EEEvPT_PKS2_PKT0_S8_ifPKiSA_iPKfiiiSC_SC_iiiii.kd
    .uniform_work_group_size: 1
    .uses_dynamic_stack: false
    .vgpr_count:     87
    .vgpr_spill_count: 0
    .wavefront_size: 32
    .workgroup_processor_mode: 1
  - .args:
      - .actual_access:  write_only
        .address_space:  global
        .offset:         0
        .size:           8
        .value_kind:     global_buffer
      - .actual_access:  read_only
        .address_space:  global
        .offset:         8
        .size:           8
        .value_kind:     global_buffer
      - .actual_access:  read_only
        .address_space:  global
        .offset:         16
        .size:           8
        .value_kind:     global_buffer
      - .actual_access:  read_only
        .address_space:  global
        .offset:         24
        .size:           8
        .value_kind:     global_buffer
      - .offset:         32
        .size:           4
        .value_kind:     by_value
      - .offset:         36
        .size:           4
        .value_kind:     by_value
      - .actual_access:  read_only
        .address_space:  global
        .offset:         40
        .size:           8
        .value_kind:     global_buffer
      - .actual_access:  read_only
        .address_space:  global
        .offset:         48
        .size:           8
        .value_kind:     global_buffer
      - .offset:         56
        .size:           4
        .value_kind:     by_value
      - .actual_access:  read_only
        .address_space:  global
        .offset:         64
        .size:           8
        .value_kind:     global_buffer
      - .offset:         72
        .size:           4
        .value_kind:     by_value
      - .offset:         76
        .size:           4
        .value_kind:     by_value
      - .offset:         80
        .size:           4
        .value_kind:     by_value
      - .address_space:  global
        .offset:         88
        .size:           8
        .value_kind:     global_buffer
      - .address_space:  global
        .offset:         96
        .size:           8
        .value_kind:     global_buffer
      - .offset:         104
        .size:           4
        .value_kind:     by_value
      - .offset:         108
        .size:           4
        .value_kind:     by_value
      - .offset:         112
        .size:           4
        .value_kind:     by_value
      - .offset:         116
        .size:           4
        .value_kind:     by_value
      - .offset:         120
        .size:           4
        .value_kind:     by_value
      - .offset:         128
        .size:           4
        .value_kind:     hidden_block_count_x
      - .offset:         132
        .size:           4
        .value_kind:     hidden_block_count_y
      - .offset:         136
        .size:           4
        .value_kind:     hidden_block_count_z
      - .offset:         140
        .size:           2
        .value_kind:     hidden_group_size_x
      - .offset:         142
        .size:           2
        .value_kind:     hidden_group_size_y
      - .offset:         144
        .size:           2
        .value_kind:     hidden_group_size_z
      - .offset:         146
        .size:           2
        .value_kind:     hidden_remainder_x
      - .offset:         148
        .size:           2
        .value_kind:     hidden_remainder_y
      - .offset:         150
        .size:           2
        .value_kind:     hidden_remainder_z
      - .offset:         168
        .size:           8
        .value_kind:     hidden_global_offset_x
      - .offset:         176
        .size:           8
        .value_kind:     hidden_global_offset_y
      - .offset:         184
        .size:           8
        .value_kind:     hidden_global_offset_z
      - .offset:         192
        .size:           2
        .value_kind:     hidden_grid_dims
      - .offset:         248
        .size:           4
        .value_kind:     hidden_dynamic_lds_size
    .group_segment_fixed_size: 224
    .kernarg_segment_align: 8
    .kernarg_segment_size: 384
    .language:       OpenCL C
    .language_version:
      - 2
      - 0
    .max_flat_workgroup_size: 1024
    .name:           _ZN4vllm25paged_attention_v1_kernelIttLi96ELi16ELi128ELNS_18Fp8KVCacheDataTypeE0ELb0EEEvPT_PKS2_PKT0_S8_ifPKiSA_iPKfiiiSC_SC_iiiii
    .private_segment_fixed_size: 0
    .sgpr_count:     29
    .sgpr_spill_count: 0
    .symbol:         _ZN4vllm25paged_attention_v1_kernelIttLi96ELi16ELi128ELNS_18Fp8KVCacheDataTypeE0ELb0EEEvPT_PKS2_PKT0_S8_ifPKiSA_iPKfiiiSC_SC_iiiii.kd
    .uniform_work_group_size: 1
    .uses_dynamic_stack: false
    .vgpr_count:     90
    .vgpr_spill_count: 0
    .wavefront_size: 32
    .workgroup_processor_mode: 1
  - .args:
      - .actual_access:  write_only
        .address_space:  global
        .offset:         0
        .size:           8
        .value_kind:     global_buffer
      - .actual_access:  read_only
        .address_space:  global
        .offset:         8
        .size:           8
        .value_kind:     global_buffer
      - .actual_access:  read_only
        .address_space:  global
        .offset:         16
        .size:           8
        .value_kind:     global_buffer
      - .actual_access:  read_only
        .address_space:  global
        .offset:         24
        .size:           8
        .value_kind:     global_buffer
      - .offset:         32
        .size:           4
        .value_kind:     by_value
      - .offset:         36
        .size:           4
        .value_kind:     by_value
      - .actual_access:  read_only
        .address_space:  global
        .offset:         40
        .size:           8
        .value_kind:     global_buffer
      - .actual_access:  read_only
        .address_space:  global
        .offset:         48
        .size:           8
        .value_kind:     global_buffer
      - .offset:         56
        .size:           4
        .value_kind:     by_value
      - .actual_access:  read_only
        .address_space:  global
        .offset:         64
        .size:           8
        .value_kind:     global_buffer
      - .offset:         72
        .size:           4
        .value_kind:     by_value
      - .offset:         76
        .size:           4
        .value_kind:     by_value
      - .offset:         80
        .size:           4
        .value_kind:     by_value
      - .address_space:  global
        .offset:         88
        .size:           8
        .value_kind:     global_buffer
      - .address_space:  global
        .offset:         96
        .size:           8
        .value_kind:     global_buffer
      - .offset:         104
        .size:           4
        .value_kind:     by_value
      - .offset:         108
        .size:           4
        .value_kind:     by_value
      - .offset:         112
        .size:           4
        .value_kind:     by_value
      - .offset:         116
        .size:           4
        .value_kind:     by_value
      - .offset:         120
        .size:           4
        .value_kind:     by_value
      - .offset:         128
        .size:           4
        .value_kind:     hidden_block_count_x
      - .offset:         132
        .size:           4
        .value_kind:     hidden_block_count_y
      - .offset:         136
        .size:           4
        .value_kind:     hidden_block_count_z
      - .offset:         140
        .size:           2
        .value_kind:     hidden_group_size_x
      - .offset:         142
        .size:           2
        .value_kind:     hidden_group_size_y
      - .offset:         144
        .size:           2
        .value_kind:     hidden_group_size_z
      - .offset:         146
        .size:           2
        .value_kind:     hidden_remainder_x
      - .offset:         148
        .size:           2
        .value_kind:     hidden_remainder_y
      - .offset:         150
        .size:           2
        .value_kind:     hidden_remainder_z
      - .offset:         168
        .size:           8
        .value_kind:     hidden_global_offset_x
      - .offset:         176
        .size:           8
        .value_kind:     hidden_global_offset_y
      - .offset:         184
        .size:           8
        .value_kind:     hidden_global_offset_z
      - .offset:         192
        .size:           2
        .value_kind:     hidden_grid_dims
      - .offset:         248
        .size:           4
        .value_kind:     hidden_dynamic_lds_size
    .group_segment_fixed_size: 256
    .kernarg_segment_align: 8
    .kernarg_segment_size: 384
    .language:       OpenCL C
    .language_version:
      - 2
      - 0
    .max_flat_workgroup_size: 1024
    .name:           _ZN4vllm25paged_attention_v1_kernelIttLi112ELi16ELi128ELNS_18Fp8KVCacheDataTypeE0ELb0EEEvPT_PKS2_PKT0_S8_ifPKiSA_iPKfiiiSC_SC_iiiii
    .private_segment_fixed_size: 0
    .sgpr_count:     29
    .sgpr_spill_count: 0
    .symbol:         _ZN4vllm25paged_attention_v1_kernelIttLi112ELi16ELi128ELNS_18Fp8KVCacheDataTypeE0ELb0EEEvPT_PKS2_PKT0_S8_ifPKiSA_iPKfiiiSC_SC_iiiii.kd
    .uniform_work_group_size: 1
    .uses_dynamic_stack: false
    .vgpr_count:     91
    .vgpr_spill_count: 0
    .wavefront_size: 32
    .workgroup_processor_mode: 1
  - .args:
      - .actual_access:  write_only
        .address_space:  global
        .offset:         0
        .size:           8
        .value_kind:     global_buffer
      - .actual_access:  read_only
        .address_space:  global
        .offset:         8
        .size:           8
        .value_kind:     global_buffer
      - .actual_access:  read_only
        .address_space:  global
        .offset:         16
        .size:           8
        .value_kind:     global_buffer
      - .actual_access:  read_only
        .address_space:  global
        .offset:         24
        .size:           8
        .value_kind:     global_buffer
      - .offset:         32
        .size:           4
        .value_kind:     by_value
      - .offset:         36
        .size:           4
        .value_kind:     by_value
      - .actual_access:  read_only
        .address_space:  global
        .offset:         40
        .size:           8
        .value_kind:     global_buffer
      - .actual_access:  read_only
        .address_space:  global
        .offset:         48
        .size:           8
        .value_kind:     global_buffer
      - .offset:         56
        .size:           4
        .value_kind:     by_value
      - .actual_access:  read_only
        .address_space:  global
        .offset:         64
        .size:           8
        .value_kind:     global_buffer
      - .offset:         72
        .size:           4
        .value_kind:     by_value
      - .offset:         76
        .size:           4
        .value_kind:     by_value
      - .offset:         80
        .size:           4
        .value_kind:     by_value
      - .address_space:  global
        .offset:         88
        .size:           8
        .value_kind:     global_buffer
      - .address_space:  global
        .offset:         96
        .size:           8
        .value_kind:     global_buffer
      - .offset:         104
        .size:           4
        .value_kind:     by_value
      - .offset:         108
        .size:           4
        .value_kind:     by_value
      - .offset:         112
        .size:           4
        .value_kind:     by_value
      - .offset:         116
        .size:           4
        .value_kind:     by_value
      - .offset:         120
        .size:           4
        .value_kind:     by_value
      - .offset:         128
        .size:           4
        .value_kind:     hidden_block_count_x
      - .offset:         132
        .size:           4
        .value_kind:     hidden_block_count_y
      - .offset:         136
        .size:           4
        .value_kind:     hidden_block_count_z
      - .offset:         140
        .size:           2
        .value_kind:     hidden_group_size_x
      - .offset:         142
        .size:           2
        .value_kind:     hidden_group_size_y
      - .offset:         144
        .size:           2
        .value_kind:     hidden_group_size_z
      - .offset:         146
        .size:           2
        .value_kind:     hidden_remainder_x
      - .offset:         148
        .size:           2
        .value_kind:     hidden_remainder_y
      - .offset:         150
        .size:           2
        .value_kind:     hidden_remainder_z
      - .offset:         168
        .size:           8
        .value_kind:     hidden_global_offset_x
      - .offset:         176
        .size:           8
        .value_kind:     hidden_global_offset_y
      - .offset:         184
        .size:           8
        .value_kind:     hidden_global_offset_z
      - .offset:         192
        .size:           2
        .value_kind:     hidden_grid_dims
      - .offset:         248
        .size:           4
        .value_kind:     hidden_dynamic_lds_size
    .group_segment_fixed_size: 272
    .kernarg_segment_align: 8
    .kernarg_segment_size: 384
    .language:       OpenCL C
    .language_version:
      - 2
      - 0
    .max_flat_workgroup_size: 1024
    .name:           _ZN4vllm25paged_attention_v1_kernelIttLi120ELi16ELi128ELNS_18Fp8KVCacheDataTypeE0ELb0EEEvPT_PKS2_PKT0_S8_ifPKiSA_iPKfiiiSC_SC_iiiii
    .private_segment_fixed_size: 0
    .sgpr_count:     29
    .sgpr_spill_count: 0
    .symbol:         _ZN4vllm25paged_attention_v1_kernelIttLi120ELi16ELi128ELNS_18Fp8KVCacheDataTypeE0ELb0EEEvPT_PKS2_PKT0_S8_ifPKiSA_iPKfiiiSC_SC_iiiii.kd
    .uniform_work_group_size: 1
    .uses_dynamic_stack: false
    .vgpr_count:     90
    .vgpr_spill_count: 0
    .wavefront_size: 32
    .workgroup_processor_mode: 1
  - .args:
      - .actual_access:  write_only
        .address_space:  global
        .offset:         0
        .size:           8
        .value_kind:     global_buffer
      - .actual_access:  read_only
        .address_space:  global
        .offset:         8
        .size:           8
        .value_kind:     global_buffer
      - .actual_access:  read_only
        .address_space:  global
        .offset:         16
        .size:           8
        .value_kind:     global_buffer
      - .actual_access:  read_only
        .address_space:  global
        .offset:         24
        .size:           8
        .value_kind:     global_buffer
      - .offset:         32
        .size:           4
        .value_kind:     by_value
      - .offset:         36
        .size:           4
        .value_kind:     by_value
      - .actual_access:  read_only
        .address_space:  global
        .offset:         40
        .size:           8
        .value_kind:     global_buffer
      - .actual_access:  read_only
        .address_space:  global
        .offset:         48
        .size:           8
        .value_kind:     global_buffer
      - .offset:         56
        .size:           4
        .value_kind:     by_value
      - .actual_access:  read_only
        .address_space:  global
        .offset:         64
        .size:           8
        .value_kind:     global_buffer
      - .offset:         72
        .size:           4
        .value_kind:     by_value
      - .offset:         76
        .size:           4
        .value_kind:     by_value
      - .offset:         80
        .size:           4
        .value_kind:     by_value
      - .address_space:  global
        .offset:         88
        .size:           8
        .value_kind:     global_buffer
      - .address_space:  global
        .offset:         96
        .size:           8
        .value_kind:     global_buffer
      - .offset:         104
        .size:           4
        .value_kind:     by_value
      - .offset:         108
        .size:           4
        .value_kind:     by_value
      - .offset:         112
        .size:           4
        .value_kind:     by_value
      - .offset:         116
        .size:           4
        .value_kind:     by_value
      - .offset:         120
        .size:           4
        .value_kind:     by_value
      - .offset:         128
        .size:           4
        .value_kind:     hidden_block_count_x
      - .offset:         132
        .size:           4
        .value_kind:     hidden_block_count_y
      - .offset:         136
        .size:           4
        .value_kind:     hidden_block_count_z
      - .offset:         140
        .size:           2
        .value_kind:     hidden_group_size_x
      - .offset:         142
        .size:           2
        .value_kind:     hidden_group_size_y
      - .offset:         144
        .size:           2
        .value_kind:     hidden_group_size_z
      - .offset:         146
        .size:           2
        .value_kind:     hidden_remainder_x
      - .offset:         148
        .size:           2
        .value_kind:     hidden_remainder_y
      - .offset:         150
        .size:           2
        .value_kind:     hidden_remainder_z
      - .offset:         168
        .size:           8
        .value_kind:     hidden_global_offset_x
      - .offset:         176
        .size:           8
        .value_kind:     hidden_global_offset_y
      - .offset:         184
        .size:           8
        .value_kind:     hidden_global_offset_z
      - .offset:         192
        .size:           2
        .value_kind:     hidden_grid_dims
      - .offset:         248
        .size:           4
        .value_kind:     hidden_dynamic_lds_size
    .group_segment_fixed_size: 288
    .kernarg_segment_align: 8
    .kernarg_segment_size: 384
    .language:       OpenCL C
    .language_version:
      - 2
      - 0
    .max_flat_workgroup_size: 1024
    .name:           _ZN4vllm25paged_attention_v1_kernelIttLi128ELi16ELi128ELNS_18Fp8KVCacheDataTypeE0ELb0EEEvPT_PKS2_PKT0_S8_ifPKiSA_iPKfiiiSC_SC_iiiii
    .private_segment_fixed_size: 0
    .sgpr_count:     32
    .sgpr_spill_count: 0
    .symbol:         _ZN4vllm25paged_attention_v1_kernelIttLi128ELi16ELi128ELNS_18Fp8KVCacheDataTypeE0ELb0EEEvPT_PKS2_PKT0_S8_ifPKiSA_iPKfiiiSC_SC_iiiii.kd
    .uniform_work_group_size: 1
    .uses_dynamic_stack: false
    .vgpr_count:     91
    .vgpr_spill_count: 0
    .wavefront_size: 32
    .workgroup_processor_mode: 1
  - .args:
      - .actual_access:  write_only
        .address_space:  global
        .offset:         0
        .size:           8
        .value_kind:     global_buffer
      - .actual_access:  read_only
        .address_space:  global
        .offset:         8
        .size:           8
        .value_kind:     global_buffer
      - .actual_access:  read_only
        .address_space:  global
        .offset:         16
        .size:           8
        .value_kind:     global_buffer
      - .actual_access:  read_only
        .address_space:  global
        .offset:         24
        .size:           8
        .value_kind:     global_buffer
      - .offset:         32
        .size:           4
        .value_kind:     by_value
      - .offset:         36
        .size:           4
        .value_kind:     by_value
      - .actual_access:  read_only
        .address_space:  global
        .offset:         40
        .size:           8
        .value_kind:     global_buffer
      - .actual_access:  read_only
        .address_space:  global
        .offset:         48
        .size:           8
        .value_kind:     global_buffer
      - .offset:         56
        .size:           4
        .value_kind:     by_value
      - .actual_access:  read_only
        .address_space:  global
        .offset:         64
        .size:           8
        .value_kind:     global_buffer
      - .offset:         72
        .size:           4
        .value_kind:     by_value
      - .offset:         76
        .size:           4
        .value_kind:     by_value
      - .offset:         80
        .size:           4
        .value_kind:     by_value
      - .address_space:  global
        .offset:         88
        .size:           8
        .value_kind:     global_buffer
      - .address_space:  global
        .offset:         96
        .size:           8
        .value_kind:     global_buffer
      - .offset:         104
        .size:           4
        .value_kind:     by_value
      - .offset:         108
        .size:           4
        .value_kind:     by_value
      - .offset:         112
        .size:           4
        .value_kind:     by_value
      - .offset:         116
        .size:           4
        .value_kind:     by_value
      - .offset:         120
        .size:           4
        .value_kind:     by_value
      - .offset:         128
        .size:           4
        .value_kind:     hidden_block_count_x
      - .offset:         132
        .size:           4
        .value_kind:     hidden_block_count_y
      - .offset:         136
        .size:           4
        .value_kind:     hidden_block_count_z
      - .offset:         140
        .size:           2
        .value_kind:     hidden_group_size_x
      - .offset:         142
        .size:           2
        .value_kind:     hidden_group_size_y
      - .offset:         144
        .size:           2
        .value_kind:     hidden_group_size_z
      - .offset:         146
        .size:           2
        .value_kind:     hidden_remainder_x
      - .offset:         148
        .size:           2
        .value_kind:     hidden_remainder_y
      - .offset:         150
        .size:           2
        .value_kind:     hidden_remainder_z
      - .offset:         168
        .size:           8
        .value_kind:     hidden_global_offset_x
      - .offset:         176
        .size:           8
        .value_kind:     hidden_global_offset_y
      - .offset:         184
        .size:           8
        .value_kind:     hidden_global_offset_z
      - .offset:         192
        .size:           2
        .value_kind:     hidden_grid_dims
      - .offset:         248
        .size:           4
        .value_kind:     hidden_dynamic_lds_size
    .group_segment_fixed_size: 416
    .kernarg_segment_align: 8
    .kernarg_segment_size: 384
    .language:       OpenCL C
    .language_version:
      - 2
      - 0
    .max_flat_workgroup_size: 1024
    .name:           _ZN4vllm25paged_attention_v1_kernelIttLi192ELi16ELi128ELNS_18Fp8KVCacheDataTypeE0ELb0EEEvPT_PKS2_PKT0_S8_ifPKiSA_iPKfiiiSC_SC_iiiii
    .private_segment_fixed_size: 0
    .sgpr_count:     29
    .sgpr_spill_count: 0
    .symbol:         _ZN4vllm25paged_attention_v1_kernelIttLi192ELi16ELi128ELNS_18Fp8KVCacheDataTypeE0ELb0EEEvPT_PKS2_PKT0_S8_ifPKiSA_iPKfiiiSC_SC_iiiii.kd
    .uniform_work_group_size: 1
    .uses_dynamic_stack: false
    .vgpr_count:     96
    .vgpr_spill_count: 0
    .wavefront_size: 32
    .workgroup_processor_mode: 1
  - .args:
      - .actual_access:  write_only
        .address_space:  global
        .offset:         0
        .size:           8
        .value_kind:     global_buffer
      - .actual_access:  read_only
        .address_space:  global
        .offset:         8
        .size:           8
        .value_kind:     global_buffer
      - .actual_access:  read_only
        .address_space:  global
        .offset:         16
        .size:           8
        .value_kind:     global_buffer
      - .actual_access:  read_only
        .address_space:  global
        .offset:         24
        .size:           8
        .value_kind:     global_buffer
      - .offset:         32
        .size:           4
        .value_kind:     by_value
      - .offset:         36
        .size:           4
        .value_kind:     by_value
      - .actual_access:  read_only
        .address_space:  global
        .offset:         40
        .size:           8
        .value_kind:     global_buffer
      - .actual_access:  read_only
        .address_space:  global
        .offset:         48
        .size:           8
        .value_kind:     global_buffer
      - .offset:         56
        .size:           4
        .value_kind:     by_value
      - .actual_access:  read_only
        .address_space:  global
        .offset:         64
        .size:           8
        .value_kind:     global_buffer
      - .offset:         72
        .size:           4
        .value_kind:     by_value
      - .offset:         76
        .size:           4
        .value_kind:     by_value
      - .offset:         80
        .size:           4
        .value_kind:     by_value
      - .address_space:  global
        .offset:         88
        .size:           8
        .value_kind:     global_buffer
      - .address_space:  global
        .offset:         96
        .size:           8
        .value_kind:     global_buffer
      - .offset:         104
        .size:           4
        .value_kind:     by_value
      - .offset:         108
        .size:           4
        .value_kind:     by_value
      - .offset:         112
        .size:           4
        .value_kind:     by_value
      - .offset:         116
        .size:           4
        .value_kind:     by_value
      - .offset:         120
        .size:           4
        .value_kind:     by_value
      - .offset:         128
        .size:           4
        .value_kind:     hidden_block_count_x
      - .offset:         132
        .size:           4
        .value_kind:     hidden_block_count_y
      - .offset:         136
        .size:           4
        .value_kind:     hidden_block_count_z
      - .offset:         140
        .size:           2
        .value_kind:     hidden_group_size_x
      - .offset:         142
        .size:           2
        .value_kind:     hidden_group_size_y
      - .offset:         144
        .size:           2
        .value_kind:     hidden_group_size_z
      - .offset:         146
        .size:           2
        .value_kind:     hidden_remainder_x
      - .offset:         148
        .size:           2
        .value_kind:     hidden_remainder_y
      - .offset:         150
        .size:           2
        .value_kind:     hidden_remainder_z
      - .offset:         168
        .size:           8
        .value_kind:     hidden_global_offset_x
      - .offset:         176
        .size:           8
        .value_kind:     hidden_global_offset_y
      - .offset:         184
        .size:           8
        .value_kind:     hidden_global_offset_z
      - .offset:         192
        .size:           2
        .value_kind:     hidden_grid_dims
      - .offset:         248
        .size:           4
        .value_kind:     hidden_dynamic_lds_size
    .group_segment_fixed_size: 544
    .kernarg_segment_align: 8
    .kernarg_segment_size: 384
    .language:       OpenCL C
    .language_version:
      - 2
      - 0
    .max_flat_workgroup_size: 1024
    .name:           _ZN4vllm25paged_attention_v1_kernelIttLi256ELi16ELi128ELNS_18Fp8KVCacheDataTypeE0ELb0EEEvPT_PKS2_PKT0_S8_ifPKiSA_iPKfiiiSC_SC_iiiii
    .private_segment_fixed_size: 0
    .sgpr_count:     32
    .sgpr_spill_count: 0
    .symbol:         _ZN4vllm25paged_attention_v1_kernelIttLi256ELi16ELi128ELNS_18Fp8KVCacheDataTypeE0ELb0EEEvPT_PKS2_PKT0_S8_ifPKiSA_iPKfiiiSC_SC_iiiii.kd
    .uniform_work_group_size: 1
    .uses_dynamic_stack: false
    .vgpr_count:     109
    .vgpr_spill_count: 0
    .wavefront_size: 32
    .workgroup_processor_mode: 1
  - .args:
      - .actual_access:  write_only
        .address_space:  global
        .offset:         0
        .size:           8
        .value_kind:     global_buffer
      - .actual_access:  read_only
        .address_space:  global
        .offset:         8
        .size:           8
        .value_kind:     global_buffer
      - .actual_access:  read_only
        .address_space:  global
        .offset:         16
        .size:           8
        .value_kind:     global_buffer
      - .actual_access:  read_only
        .address_space:  global
        .offset:         24
        .size:           8
        .value_kind:     global_buffer
      - .offset:         32
        .size:           4
        .value_kind:     by_value
      - .offset:         36
        .size:           4
        .value_kind:     by_value
      - .actual_access:  read_only
        .address_space:  global
        .offset:         40
        .size:           8
        .value_kind:     global_buffer
      - .actual_access:  read_only
        .address_space:  global
        .offset:         48
        .size:           8
        .value_kind:     global_buffer
      - .offset:         56
        .size:           4
        .value_kind:     by_value
      - .actual_access:  read_only
        .address_space:  global
        .offset:         64
        .size:           8
        .value_kind:     global_buffer
      - .offset:         72
        .size:           4
        .value_kind:     by_value
      - .offset:         76
        .size:           4
        .value_kind:     by_value
      - .offset:         80
        .size:           4
        .value_kind:     by_value
      - .address_space:  global
        .offset:         88
        .size:           8
        .value_kind:     global_buffer
      - .address_space:  global
        .offset:         96
        .size:           8
        .value_kind:     global_buffer
      - .offset:         104
        .size:           4
        .value_kind:     by_value
      - .offset:         108
        .size:           4
        .value_kind:     by_value
      - .offset:         112
        .size:           4
        .value_kind:     by_value
      - .offset:         116
        .size:           4
        .value_kind:     by_value
      - .offset:         120
        .size:           4
        .value_kind:     by_value
      - .offset:         128
        .size:           4
        .value_kind:     hidden_block_count_x
      - .offset:         132
        .size:           4
        .value_kind:     hidden_block_count_y
      - .offset:         136
        .size:           4
        .value_kind:     hidden_block_count_z
      - .offset:         140
        .size:           2
        .value_kind:     hidden_group_size_x
      - .offset:         142
        .size:           2
        .value_kind:     hidden_group_size_y
      - .offset:         144
        .size:           2
        .value_kind:     hidden_group_size_z
      - .offset:         146
        .size:           2
        .value_kind:     hidden_remainder_x
      - .offset:         148
        .size:           2
        .value_kind:     hidden_remainder_y
      - .offset:         150
        .size:           2
        .value_kind:     hidden_remainder_z
      - .offset:         168
        .size:           8
        .value_kind:     hidden_global_offset_x
      - .offset:         176
        .size:           8
        .value_kind:     hidden_global_offset_y
      - .offset:         184
        .size:           8
        .value_kind:     hidden_global_offset_z
      - .offset:         192
        .size:           2
        .value_kind:     hidden_grid_dims
      - .offset:         248
        .size:           4
        .value_kind:     hidden_dynamic_lds_size
    .group_segment_fixed_size: 96
    .kernarg_segment_align: 8
    .kernarg_segment_size: 384
    .language:       OpenCL C
    .language_version:
      - 2
      - 0
    .max_flat_workgroup_size: 1024
    .name:           _ZN4vllm25paged_attention_v1_kernelIttLi32ELi32ELi128ELNS_18Fp8KVCacheDataTypeE0ELb1EEEvPT_PKS2_PKT0_S8_ifPKiSA_iPKfiiiSC_SC_iiiii
    .private_segment_fixed_size: 0
    .sgpr_count:     40
    .sgpr_spill_count: 0
    .symbol:         _ZN4vllm25paged_attention_v1_kernelIttLi32ELi32ELi128ELNS_18Fp8KVCacheDataTypeE0ELb1EEEvPT_PKS2_PKT0_S8_ifPKiSA_iPKfiiiSC_SC_iiiii.kd
    .uniform_work_group_size: 1
    .uses_dynamic_stack: false
    .vgpr_count:     82
    .vgpr_spill_count: 0
    .wavefront_size: 32
    .workgroup_processor_mode: 1
  - .args:
      - .actual_access:  write_only
        .address_space:  global
        .offset:         0
        .size:           8
        .value_kind:     global_buffer
      - .actual_access:  read_only
        .address_space:  global
        .offset:         8
        .size:           8
        .value_kind:     global_buffer
      - .actual_access:  read_only
        .address_space:  global
        .offset:         16
        .size:           8
        .value_kind:     global_buffer
      - .actual_access:  read_only
        .address_space:  global
        .offset:         24
        .size:           8
        .value_kind:     global_buffer
      - .offset:         32
        .size:           4
        .value_kind:     by_value
      - .offset:         36
        .size:           4
        .value_kind:     by_value
      - .actual_access:  read_only
        .address_space:  global
        .offset:         40
        .size:           8
        .value_kind:     global_buffer
      - .actual_access:  read_only
        .address_space:  global
        .offset:         48
        .size:           8
        .value_kind:     global_buffer
      - .offset:         56
        .size:           4
        .value_kind:     by_value
      - .actual_access:  read_only
        .address_space:  global
        .offset:         64
        .size:           8
        .value_kind:     global_buffer
      - .offset:         72
        .size:           4
        .value_kind:     by_value
      - .offset:         76
        .size:           4
        .value_kind:     by_value
      - .offset:         80
        .size:           4
        .value_kind:     by_value
      - .address_space:  global
        .offset:         88
        .size:           8
        .value_kind:     global_buffer
      - .address_space:  global
        .offset:         96
        .size:           8
        .value_kind:     global_buffer
      - .offset:         104
        .size:           4
        .value_kind:     by_value
      - .offset:         108
        .size:           4
        .value_kind:     by_value
      - .offset:         112
        .size:           4
        .value_kind:     by_value
      - .offset:         116
        .size:           4
        .value_kind:     by_value
      - .offset:         120
        .size:           4
        .value_kind:     by_value
      - .offset:         128
        .size:           4
        .value_kind:     hidden_block_count_x
      - .offset:         132
        .size:           4
        .value_kind:     hidden_block_count_y
      - .offset:         136
        .size:           4
        .value_kind:     hidden_block_count_z
      - .offset:         140
        .size:           2
        .value_kind:     hidden_group_size_x
      - .offset:         142
        .size:           2
        .value_kind:     hidden_group_size_y
      - .offset:         144
        .size:           2
        .value_kind:     hidden_group_size_z
      - .offset:         146
        .size:           2
        .value_kind:     hidden_remainder_x
      - .offset:         148
        .size:           2
        .value_kind:     hidden_remainder_y
      - .offset:         150
        .size:           2
        .value_kind:     hidden_remainder_z
      - .offset:         168
        .size:           8
        .value_kind:     hidden_global_offset_x
      - .offset:         176
        .size:           8
        .value_kind:     hidden_global_offset_y
      - .offset:         184
        .size:           8
        .value_kind:     hidden_global_offset_z
      - .offset:         192
        .size:           2
        .value_kind:     hidden_grid_dims
      - .offset:         248
        .size:           4
        .value_kind:     hidden_dynamic_lds_size
    .group_segment_fixed_size: 160
    .kernarg_segment_align: 8
    .kernarg_segment_size: 384
    .language:       OpenCL C
    .language_version:
      - 2
      - 0
    .max_flat_workgroup_size: 1024
    .name:           _ZN4vllm25paged_attention_v1_kernelIttLi64ELi32ELi128ELNS_18Fp8KVCacheDataTypeE0ELb1EEEvPT_PKS2_PKT0_S8_ifPKiSA_iPKfiiiSC_SC_iiiii
    .private_segment_fixed_size: 0
    .sgpr_count:     40
    .sgpr_spill_count: 0
    .symbol:         _ZN4vllm25paged_attention_v1_kernelIttLi64ELi32ELi128ELNS_18Fp8KVCacheDataTypeE0ELb1EEEvPT_PKS2_PKT0_S8_ifPKiSA_iPKfiiiSC_SC_iiiii.kd
    .uniform_work_group_size: 1
    .uses_dynamic_stack: false
    .vgpr_count:     123
    .vgpr_spill_count: 0
    .wavefront_size: 32
    .workgroup_processor_mode: 1
  - .args:
      - .actual_access:  write_only
        .address_space:  global
        .offset:         0
        .size:           8
        .value_kind:     global_buffer
      - .actual_access:  read_only
        .address_space:  global
        .offset:         8
        .size:           8
        .value_kind:     global_buffer
      - .actual_access:  read_only
        .address_space:  global
        .offset:         16
        .size:           8
        .value_kind:     global_buffer
      - .actual_access:  read_only
        .address_space:  global
        .offset:         24
        .size:           8
        .value_kind:     global_buffer
      - .offset:         32
        .size:           4
        .value_kind:     by_value
      - .offset:         36
        .size:           4
        .value_kind:     by_value
      - .actual_access:  read_only
        .address_space:  global
        .offset:         40
        .size:           8
        .value_kind:     global_buffer
      - .actual_access:  read_only
        .address_space:  global
        .offset:         48
        .size:           8
        .value_kind:     global_buffer
      - .offset:         56
        .size:           4
        .value_kind:     by_value
      - .actual_access:  read_only
        .address_space:  global
        .offset:         64
        .size:           8
        .value_kind:     global_buffer
      - .offset:         72
        .size:           4
        .value_kind:     by_value
      - .offset:         76
        .size:           4
        .value_kind:     by_value
      - .offset:         80
        .size:           4
        .value_kind:     by_value
      - .address_space:  global
        .offset:         88
        .size:           8
        .value_kind:     global_buffer
      - .address_space:  global
        .offset:         96
        .size:           8
        .value_kind:     global_buffer
      - .offset:         104
        .size:           4
        .value_kind:     by_value
      - .offset:         108
        .size:           4
        .value_kind:     by_value
      - .offset:         112
        .size:           4
        .value_kind:     by_value
      - .offset:         116
        .size:           4
        .value_kind:     by_value
      - .offset:         120
        .size:           4
        .value_kind:     by_value
      - .offset:         128
        .size:           4
        .value_kind:     hidden_block_count_x
      - .offset:         132
        .size:           4
        .value_kind:     hidden_block_count_y
      - .offset:         136
        .size:           4
        .value_kind:     hidden_block_count_z
      - .offset:         140
        .size:           2
        .value_kind:     hidden_group_size_x
      - .offset:         142
        .size:           2
        .value_kind:     hidden_group_size_y
      - .offset:         144
        .size:           2
        .value_kind:     hidden_group_size_z
      - .offset:         146
        .size:           2
        .value_kind:     hidden_remainder_x
      - .offset:         148
        .size:           2
        .value_kind:     hidden_remainder_y
      - .offset:         150
        .size:           2
        .value_kind:     hidden_remainder_z
      - .offset:         168
        .size:           8
        .value_kind:     hidden_global_offset_x
      - .offset:         176
        .size:           8
        .value_kind:     hidden_global_offset_y
      - .offset:         184
        .size:           8
        .value_kind:     hidden_global_offset_z
      - .offset:         192
        .size:           2
        .value_kind:     hidden_grid_dims
      - .offset:         248
        .size:           4
        .value_kind:     hidden_dynamic_lds_size
    .group_segment_fixed_size: 192
    .kernarg_segment_align: 8
    .kernarg_segment_size: 384
    .language:       OpenCL C
    .language_version:
      - 2
      - 0
    .max_flat_workgroup_size: 1024
    .name:           _ZN4vllm25paged_attention_v1_kernelIttLi80ELi32ELi128ELNS_18Fp8KVCacheDataTypeE0ELb1EEEvPT_PKS2_PKT0_S8_ifPKiSA_iPKfiiiSC_SC_iiiii
    .private_segment_fixed_size: 0
    .sgpr_count:     40
    .sgpr_spill_count: 0
    .symbol:         _ZN4vllm25paged_attention_v1_kernelIttLi80ELi32ELi128ELNS_18Fp8KVCacheDataTypeE0ELb1EEEvPT_PKS2_PKT0_S8_ifPKiSA_iPKfiiiSC_SC_iiiii.kd
    .uniform_work_group_size: 1
    .uses_dynamic_stack: false
    .vgpr_count:     78
    .vgpr_spill_count: 0
    .wavefront_size: 32
    .workgroup_processor_mode: 1
  - .args:
      - .actual_access:  write_only
        .address_space:  global
        .offset:         0
        .size:           8
        .value_kind:     global_buffer
      - .actual_access:  read_only
        .address_space:  global
        .offset:         8
        .size:           8
        .value_kind:     global_buffer
      - .actual_access:  read_only
        .address_space:  global
        .offset:         16
        .size:           8
        .value_kind:     global_buffer
      - .actual_access:  read_only
        .address_space:  global
        .offset:         24
        .size:           8
        .value_kind:     global_buffer
      - .offset:         32
        .size:           4
        .value_kind:     by_value
      - .offset:         36
        .size:           4
        .value_kind:     by_value
      - .actual_access:  read_only
        .address_space:  global
        .offset:         40
        .size:           8
        .value_kind:     global_buffer
      - .actual_access:  read_only
        .address_space:  global
        .offset:         48
        .size:           8
        .value_kind:     global_buffer
      - .offset:         56
        .size:           4
        .value_kind:     by_value
      - .actual_access:  read_only
        .address_space:  global
        .offset:         64
        .size:           8
        .value_kind:     global_buffer
      - .offset:         72
        .size:           4
        .value_kind:     by_value
      - .offset:         76
        .size:           4
        .value_kind:     by_value
      - .offset:         80
        .size:           4
        .value_kind:     by_value
      - .address_space:  global
        .offset:         88
        .size:           8
        .value_kind:     global_buffer
      - .address_space:  global
        .offset:         96
        .size:           8
        .value_kind:     global_buffer
      - .offset:         104
        .size:           4
        .value_kind:     by_value
      - .offset:         108
        .size:           4
        .value_kind:     by_value
      - .offset:         112
        .size:           4
        .value_kind:     by_value
      - .offset:         116
        .size:           4
        .value_kind:     by_value
      - .offset:         120
        .size:           4
        .value_kind:     by_value
      - .offset:         128
        .size:           4
        .value_kind:     hidden_block_count_x
      - .offset:         132
        .size:           4
        .value_kind:     hidden_block_count_y
      - .offset:         136
        .size:           4
        .value_kind:     hidden_block_count_z
      - .offset:         140
        .size:           2
        .value_kind:     hidden_group_size_x
      - .offset:         142
        .size:           2
        .value_kind:     hidden_group_size_y
      - .offset:         144
        .size:           2
        .value_kind:     hidden_group_size_z
      - .offset:         146
        .size:           2
        .value_kind:     hidden_remainder_x
      - .offset:         148
        .size:           2
        .value_kind:     hidden_remainder_y
      - .offset:         150
        .size:           2
        .value_kind:     hidden_remainder_z
      - .offset:         168
        .size:           8
        .value_kind:     hidden_global_offset_x
      - .offset:         176
        .size:           8
        .value_kind:     hidden_global_offset_y
      - .offset:         184
        .size:           8
        .value_kind:     hidden_global_offset_z
      - .offset:         192
        .size:           2
        .value_kind:     hidden_grid_dims
      - .offset:         248
        .size:           4
        .value_kind:     hidden_dynamic_lds_size
    .group_segment_fixed_size: 224
    .kernarg_segment_align: 8
    .kernarg_segment_size: 384
    .language:       OpenCL C
    .language_version:
      - 2
      - 0
    .max_flat_workgroup_size: 1024
    .name:           _ZN4vllm25paged_attention_v1_kernelIttLi96ELi32ELi128ELNS_18Fp8KVCacheDataTypeE0ELb1EEEvPT_PKS2_PKT0_S8_ifPKiSA_iPKfiiiSC_SC_iiiii
    .private_segment_fixed_size: 0
    .sgpr_count:     40
    .sgpr_spill_count: 0
    .symbol:         _ZN4vllm25paged_attention_v1_kernelIttLi96ELi32ELi128ELNS_18Fp8KVCacheDataTypeE0ELb1EEEvPT_PKS2_PKT0_S8_ifPKiSA_iPKfiiiSC_SC_iiiii.kd
    .uniform_work_group_size: 1
    .uses_dynamic_stack: false
    .vgpr_count:     86
    .vgpr_spill_count: 0
    .wavefront_size: 32
    .workgroup_processor_mode: 1
  - .args:
      - .actual_access:  write_only
        .address_space:  global
        .offset:         0
        .size:           8
        .value_kind:     global_buffer
      - .actual_access:  read_only
        .address_space:  global
        .offset:         8
        .size:           8
        .value_kind:     global_buffer
      - .actual_access:  read_only
        .address_space:  global
        .offset:         16
        .size:           8
        .value_kind:     global_buffer
      - .actual_access:  read_only
        .address_space:  global
        .offset:         24
        .size:           8
        .value_kind:     global_buffer
      - .offset:         32
        .size:           4
        .value_kind:     by_value
      - .offset:         36
        .size:           4
        .value_kind:     by_value
      - .actual_access:  read_only
        .address_space:  global
        .offset:         40
        .size:           8
        .value_kind:     global_buffer
      - .actual_access:  read_only
        .address_space:  global
        .offset:         48
        .size:           8
        .value_kind:     global_buffer
      - .offset:         56
        .size:           4
        .value_kind:     by_value
      - .actual_access:  read_only
        .address_space:  global
        .offset:         64
        .size:           8
        .value_kind:     global_buffer
      - .offset:         72
        .size:           4
        .value_kind:     by_value
      - .offset:         76
        .size:           4
        .value_kind:     by_value
      - .offset:         80
        .size:           4
        .value_kind:     by_value
      - .address_space:  global
        .offset:         88
        .size:           8
        .value_kind:     global_buffer
      - .address_space:  global
        .offset:         96
        .size:           8
        .value_kind:     global_buffer
      - .offset:         104
        .size:           4
        .value_kind:     by_value
      - .offset:         108
        .size:           4
        .value_kind:     by_value
      - .offset:         112
        .size:           4
        .value_kind:     by_value
      - .offset:         116
        .size:           4
        .value_kind:     by_value
      - .offset:         120
        .size:           4
        .value_kind:     by_value
      - .offset:         128
        .size:           4
        .value_kind:     hidden_block_count_x
      - .offset:         132
        .size:           4
        .value_kind:     hidden_block_count_y
      - .offset:         136
        .size:           4
        .value_kind:     hidden_block_count_z
      - .offset:         140
        .size:           2
        .value_kind:     hidden_group_size_x
      - .offset:         142
        .size:           2
        .value_kind:     hidden_group_size_y
      - .offset:         144
        .size:           2
        .value_kind:     hidden_group_size_z
      - .offset:         146
        .size:           2
        .value_kind:     hidden_remainder_x
      - .offset:         148
        .size:           2
        .value_kind:     hidden_remainder_y
      - .offset:         150
        .size:           2
        .value_kind:     hidden_remainder_z
      - .offset:         168
        .size:           8
        .value_kind:     hidden_global_offset_x
      - .offset:         176
        .size:           8
        .value_kind:     hidden_global_offset_y
      - .offset:         184
        .size:           8
        .value_kind:     hidden_global_offset_z
      - .offset:         192
        .size:           2
        .value_kind:     hidden_grid_dims
      - .offset:         248
        .size:           4
        .value_kind:     hidden_dynamic_lds_size
    .group_segment_fixed_size: 256
    .kernarg_segment_align: 8
    .kernarg_segment_size: 384
    .language:       OpenCL C
    .language_version:
      - 2
      - 0
    .max_flat_workgroup_size: 1024
    .name:           _ZN4vllm25paged_attention_v1_kernelIttLi112ELi32ELi128ELNS_18Fp8KVCacheDataTypeE0ELb1EEEvPT_PKS2_PKT0_S8_ifPKiSA_iPKfiiiSC_SC_iiiii
    .private_segment_fixed_size: 0
    .sgpr_count:     40
    .sgpr_spill_count: 0
    .symbol:         _ZN4vllm25paged_attention_v1_kernelIttLi112ELi32ELi128ELNS_18Fp8KVCacheDataTypeE0ELb1EEEvPT_PKS2_PKT0_S8_ifPKiSA_iPKfiiiSC_SC_iiiii.kd
    .uniform_work_group_size: 1
    .uses_dynamic_stack: false
    .vgpr_count:     94
    .vgpr_spill_count: 0
    .wavefront_size: 32
    .workgroup_processor_mode: 1
  - .args:
      - .actual_access:  write_only
        .address_space:  global
        .offset:         0
        .size:           8
        .value_kind:     global_buffer
      - .actual_access:  read_only
        .address_space:  global
        .offset:         8
        .size:           8
        .value_kind:     global_buffer
      - .actual_access:  read_only
        .address_space:  global
        .offset:         16
        .size:           8
        .value_kind:     global_buffer
      - .actual_access:  read_only
        .address_space:  global
        .offset:         24
        .size:           8
        .value_kind:     global_buffer
      - .offset:         32
        .size:           4
        .value_kind:     by_value
      - .offset:         36
        .size:           4
        .value_kind:     by_value
      - .actual_access:  read_only
        .address_space:  global
        .offset:         40
        .size:           8
        .value_kind:     global_buffer
      - .actual_access:  read_only
        .address_space:  global
        .offset:         48
        .size:           8
        .value_kind:     global_buffer
      - .offset:         56
        .size:           4
        .value_kind:     by_value
      - .actual_access:  read_only
        .address_space:  global
        .offset:         64
        .size:           8
        .value_kind:     global_buffer
      - .offset:         72
        .size:           4
        .value_kind:     by_value
      - .offset:         76
        .size:           4
        .value_kind:     by_value
      - .offset:         80
        .size:           4
        .value_kind:     by_value
      - .address_space:  global
        .offset:         88
        .size:           8
        .value_kind:     global_buffer
      - .address_space:  global
        .offset:         96
        .size:           8
        .value_kind:     global_buffer
      - .offset:         104
        .size:           4
        .value_kind:     by_value
      - .offset:         108
        .size:           4
        .value_kind:     by_value
      - .offset:         112
        .size:           4
        .value_kind:     by_value
      - .offset:         116
        .size:           4
        .value_kind:     by_value
      - .offset:         120
        .size:           4
        .value_kind:     by_value
      - .offset:         128
        .size:           4
        .value_kind:     hidden_block_count_x
      - .offset:         132
        .size:           4
        .value_kind:     hidden_block_count_y
      - .offset:         136
        .size:           4
        .value_kind:     hidden_block_count_z
      - .offset:         140
        .size:           2
        .value_kind:     hidden_group_size_x
      - .offset:         142
        .size:           2
        .value_kind:     hidden_group_size_y
      - .offset:         144
        .size:           2
        .value_kind:     hidden_group_size_z
      - .offset:         146
        .size:           2
        .value_kind:     hidden_remainder_x
      - .offset:         148
        .size:           2
        .value_kind:     hidden_remainder_y
      - .offset:         150
        .size:           2
        .value_kind:     hidden_remainder_z
      - .offset:         168
        .size:           8
        .value_kind:     hidden_global_offset_x
      - .offset:         176
        .size:           8
        .value_kind:     hidden_global_offset_y
      - .offset:         184
        .size:           8
        .value_kind:     hidden_global_offset_z
      - .offset:         192
        .size:           2
        .value_kind:     hidden_grid_dims
      - .offset:         248
        .size:           4
        .value_kind:     hidden_dynamic_lds_size
    .group_segment_fixed_size: 272
    .kernarg_segment_align: 8
    .kernarg_segment_size: 384
    .language:       OpenCL C
    .language_version:
      - 2
      - 0
    .max_flat_workgroup_size: 1024
    .name:           _ZN4vllm25paged_attention_v1_kernelIttLi120ELi32ELi128ELNS_18Fp8KVCacheDataTypeE0ELb1EEEvPT_PKS2_PKT0_S8_ifPKiSA_iPKfiiiSC_SC_iiiii
    .private_segment_fixed_size: 0
    .sgpr_count:     40
    .sgpr_spill_count: 0
    .symbol:         _ZN4vllm25paged_attention_v1_kernelIttLi120ELi32ELi128ELNS_18Fp8KVCacheDataTypeE0ELb1EEEvPT_PKS2_PKT0_S8_ifPKiSA_iPKfiiiSC_SC_iiiii.kd
    .uniform_work_group_size: 1
    .uses_dynamic_stack: false
    .vgpr_count:     98
    .vgpr_spill_count: 0
    .wavefront_size: 32
    .workgroup_processor_mode: 1
  - .args:
      - .actual_access:  write_only
        .address_space:  global
        .offset:         0
        .size:           8
        .value_kind:     global_buffer
      - .actual_access:  read_only
        .address_space:  global
        .offset:         8
        .size:           8
        .value_kind:     global_buffer
      - .actual_access:  read_only
        .address_space:  global
        .offset:         16
        .size:           8
        .value_kind:     global_buffer
      - .actual_access:  read_only
        .address_space:  global
        .offset:         24
        .size:           8
        .value_kind:     global_buffer
      - .offset:         32
        .size:           4
        .value_kind:     by_value
      - .offset:         36
        .size:           4
        .value_kind:     by_value
      - .actual_access:  read_only
        .address_space:  global
        .offset:         40
        .size:           8
        .value_kind:     global_buffer
      - .actual_access:  read_only
        .address_space:  global
        .offset:         48
        .size:           8
        .value_kind:     global_buffer
      - .offset:         56
        .size:           4
        .value_kind:     by_value
      - .actual_access:  read_only
        .address_space:  global
        .offset:         64
        .size:           8
        .value_kind:     global_buffer
      - .offset:         72
        .size:           4
        .value_kind:     by_value
      - .offset:         76
        .size:           4
        .value_kind:     by_value
      - .offset:         80
        .size:           4
        .value_kind:     by_value
      - .address_space:  global
        .offset:         88
        .size:           8
        .value_kind:     global_buffer
      - .address_space:  global
        .offset:         96
        .size:           8
        .value_kind:     global_buffer
      - .offset:         104
        .size:           4
        .value_kind:     by_value
      - .offset:         108
        .size:           4
        .value_kind:     by_value
      - .offset:         112
        .size:           4
        .value_kind:     by_value
      - .offset:         116
        .size:           4
        .value_kind:     by_value
      - .offset:         120
        .size:           4
        .value_kind:     by_value
      - .offset:         128
        .size:           4
        .value_kind:     hidden_block_count_x
      - .offset:         132
        .size:           4
        .value_kind:     hidden_block_count_y
      - .offset:         136
        .size:           4
        .value_kind:     hidden_block_count_z
      - .offset:         140
        .size:           2
        .value_kind:     hidden_group_size_x
      - .offset:         142
        .size:           2
        .value_kind:     hidden_group_size_y
      - .offset:         144
        .size:           2
        .value_kind:     hidden_group_size_z
      - .offset:         146
        .size:           2
        .value_kind:     hidden_remainder_x
      - .offset:         148
        .size:           2
        .value_kind:     hidden_remainder_y
      - .offset:         150
        .size:           2
        .value_kind:     hidden_remainder_z
      - .offset:         168
        .size:           8
        .value_kind:     hidden_global_offset_x
      - .offset:         176
        .size:           8
        .value_kind:     hidden_global_offset_y
      - .offset:         184
        .size:           8
        .value_kind:     hidden_global_offset_z
      - .offset:         192
        .size:           2
        .value_kind:     hidden_grid_dims
      - .offset:         248
        .size:           4
        .value_kind:     hidden_dynamic_lds_size
    .group_segment_fixed_size: 288
    .kernarg_segment_align: 8
    .kernarg_segment_size: 384
    .language:       OpenCL C
    .language_version:
      - 2
      - 0
    .max_flat_workgroup_size: 1024
    .name:           _ZN4vllm25paged_attention_v1_kernelIttLi128ELi32ELi128ELNS_18Fp8KVCacheDataTypeE0ELb1EEEvPT_PKS2_PKT0_S8_ifPKiSA_iPKfiiiSC_SC_iiiii
    .private_segment_fixed_size: 0
    .sgpr_count:     40
    .sgpr_spill_count: 0
    .symbol:         _ZN4vllm25paged_attention_v1_kernelIttLi128ELi32ELi128ELNS_18Fp8KVCacheDataTypeE0ELb1EEEvPT_PKS2_PKT0_S8_ifPKiSA_iPKfiiiSC_SC_iiiii.kd
    .uniform_work_group_size: 1
    .uses_dynamic_stack: false
    .vgpr_count:     102
    .vgpr_spill_count: 0
    .wavefront_size: 32
    .workgroup_processor_mode: 1
  - .args:
      - .actual_access:  write_only
        .address_space:  global
        .offset:         0
        .size:           8
        .value_kind:     global_buffer
      - .actual_access:  read_only
        .address_space:  global
        .offset:         8
        .size:           8
        .value_kind:     global_buffer
      - .actual_access:  read_only
        .address_space:  global
        .offset:         16
        .size:           8
        .value_kind:     global_buffer
      - .actual_access:  read_only
        .address_space:  global
        .offset:         24
        .size:           8
        .value_kind:     global_buffer
      - .offset:         32
        .size:           4
        .value_kind:     by_value
      - .offset:         36
        .size:           4
        .value_kind:     by_value
      - .actual_access:  read_only
        .address_space:  global
        .offset:         40
        .size:           8
        .value_kind:     global_buffer
      - .actual_access:  read_only
        .address_space:  global
        .offset:         48
        .size:           8
        .value_kind:     global_buffer
      - .offset:         56
        .size:           4
        .value_kind:     by_value
      - .actual_access:  read_only
        .address_space:  global
        .offset:         64
        .size:           8
        .value_kind:     global_buffer
      - .offset:         72
        .size:           4
        .value_kind:     by_value
      - .offset:         76
        .size:           4
        .value_kind:     by_value
      - .offset:         80
        .size:           4
        .value_kind:     by_value
      - .address_space:  global
        .offset:         88
        .size:           8
        .value_kind:     global_buffer
      - .address_space:  global
        .offset:         96
        .size:           8
        .value_kind:     global_buffer
      - .offset:         104
        .size:           4
        .value_kind:     by_value
      - .offset:         108
        .size:           4
        .value_kind:     by_value
      - .offset:         112
        .size:           4
        .value_kind:     by_value
      - .offset:         116
        .size:           4
        .value_kind:     by_value
      - .offset:         120
        .size:           4
        .value_kind:     by_value
      - .offset:         128
        .size:           4
        .value_kind:     hidden_block_count_x
      - .offset:         132
        .size:           4
        .value_kind:     hidden_block_count_y
      - .offset:         136
        .size:           4
        .value_kind:     hidden_block_count_z
      - .offset:         140
        .size:           2
        .value_kind:     hidden_group_size_x
      - .offset:         142
        .size:           2
        .value_kind:     hidden_group_size_y
      - .offset:         144
        .size:           2
        .value_kind:     hidden_group_size_z
      - .offset:         146
        .size:           2
        .value_kind:     hidden_remainder_x
      - .offset:         148
        .size:           2
        .value_kind:     hidden_remainder_y
      - .offset:         150
        .size:           2
        .value_kind:     hidden_remainder_z
      - .offset:         168
        .size:           8
        .value_kind:     hidden_global_offset_x
      - .offset:         176
        .size:           8
        .value_kind:     hidden_global_offset_y
      - .offset:         184
        .size:           8
        .value_kind:     hidden_global_offset_z
      - .offset:         192
        .size:           2
        .value_kind:     hidden_grid_dims
      - .offset:         248
        .size:           4
        .value_kind:     hidden_dynamic_lds_size
    .group_segment_fixed_size: 416
    .kernarg_segment_align: 8
    .kernarg_segment_size: 384
    .language:       OpenCL C
    .language_version:
      - 2
      - 0
    .max_flat_workgroup_size: 1024
    .name:           _ZN4vllm25paged_attention_v1_kernelIttLi192ELi32ELi128ELNS_18Fp8KVCacheDataTypeE0ELb1EEEvPT_PKS2_PKT0_S8_ifPKiSA_iPKfiiiSC_SC_iiiii
    .private_segment_fixed_size: 0
    .sgpr_count:     40
    .sgpr_spill_count: 0
    .symbol:         _ZN4vllm25paged_attention_v1_kernelIttLi192ELi32ELi128ELNS_18Fp8KVCacheDataTypeE0ELb1EEEvPT_PKS2_PKT0_S8_ifPKiSA_iPKfiiiSC_SC_iiiii.kd
    .uniform_work_group_size: 1
    .uses_dynamic_stack: false
    .vgpr_count:     128
    .vgpr_spill_count: 0
    .wavefront_size: 32
    .workgroup_processor_mode: 1
  - .args:
      - .actual_access:  write_only
        .address_space:  global
        .offset:         0
        .size:           8
        .value_kind:     global_buffer
      - .actual_access:  read_only
        .address_space:  global
        .offset:         8
        .size:           8
        .value_kind:     global_buffer
      - .actual_access:  read_only
        .address_space:  global
        .offset:         16
        .size:           8
        .value_kind:     global_buffer
      - .actual_access:  read_only
        .address_space:  global
        .offset:         24
        .size:           8
        .value_kind:     global_buffer
      - .offset:         32
        .size:           4
        .value_kind:     by_value
      - .offset:         36
        .size:           4
        .value_kind:     by_value
      - .actual_access:  read_only
        .address_space:  global
        .offset:         40
        .size:           8
        .value_kind:     global_buffer
      - .actual_access:  read_only
        .address_space:  global
        .offset:         48
        .size:           8
        .value_kind:     global_buffer
      - .offset:         56
        .size:           4
        .value_kind:     by_value
      - .actual_access:  read_only
        .address_space:  global
        .offset:         64
        .size:           8
        .value_kind:     global_buffer
      - .offset:         72
        .size:           4
        .value_kind:     by_value
      - .offset:         76
        .size:           4
        .value_kind:     by_value
      - .offset:         80
        .size:           4
        .value_kind:     by_value
      - .address_space:  global
        .offset:         88
        .size:           8
        .value_kind:     global_buffer
      - .address_space:  global
        .offset:         96
        .size:           8
        .value_kind:     global_buffer
      - .offset:         104
        .size:           4
        .value_kind:     by_value
      - .offset:         108
        .size:           4
        .value_kind:     by_value
      - .offset:         112
        .size:           4
        .value_kind:     by_value
      - .offset:         116
        .size:           4
        .value_kind:     by_value
      - .offset:         120
        .size:           4
        .value_kind:     by_value
      - .offset:         128
        .size:           4
        .value_kind:     hidden_block_count_x
      - .offset:         132
        .size:           4
        .value_kind:     hidden_block_count_y
      - .offset:         136
        .size:           4
        .value_kind:     hidden_block_count_z
      - .offset:         140
        .size:           2
        .value_kind:     hidden_group_size_x
      - .offset:         142
        .size:           2
        .value_kind:     hidden_group_size_y
      - .offset:         144
        .size:           2
        .value_kind:     hidden_group_size_z
      - .offset:         146
        .size:           2
        .value_kind:     hidden_remainder_x
      - .offset:         148
        .size:           2
        .value_kind:     hidden_remainder_y
      - .offset:         150
        .size:           2
        .value_kind:     hidden_remainder_z
      - .offset:         168
        .size:           8
        .value_kind:     hidden_global_offset_x
      - .offset:         176
        .size:           8
        .value_kind:     hidden_global_offset_y
      - .offset:         184
        .size:           8
        .value_kind:     hidden_global_offset_z
      - .offset:         192
        .size:           2
        .value_kind:     hidden_grid_dims
      - .offset:         248
        .size:           4
        .value_kind:     hidden_dynamic_lds_size
    .group_segment_fixed_size: 544
    .kernarg_segment_align: 8
    .kernarg_segment_size: 384
    .language:       OpenCL C
    .language_version:
      - 2
      - 0
    .max_flat_workgroup_size: 1024
    .name:           _ZN4vllm25paged_attention_v1_kernelIttLi256ELi32ELi128ELNS_18Fp8KVCacheDataTypeE0ELb1EEEvPT_PKS2_PKT0_S8_ifPKiSA_iPKfiiiSC_SC_iiiii
    .private_segment_fixed_size: 148
    .sgpr_count:     46
    .sgpr_spill_count: 0
    .symbol:         _ZN4vllm25paged_attention_v1_kernelIttLi256ELi32ELi128ELNS_18Fp8KVCacheDataTypeE0ELb1EEEvPT_PKS2_PKT0_S8_ifPKiSA_iPKfiiiSC_SC_iiiii.kd
    .uniform_work_group_size: 1
    .uses_dynamic_stack: false
    .vgpr_count:     128
    .vgpr_spill_count: 36
    .wavefront_size: 32
    .workgroup_processor_mode: 1
  - .args:
      - .actual_access:  write_only
        .address_space:  global
        .offset:         0
        .size:           8
        .value_kind:     global_buffer
      - .actual_access:  read_only
        .address_space:  global
        .offset:         8
        .size:           8
        .value_kind:     global_buffer
      - .actual_access:  read_only
        .address_space:  global
        .offset:         16
        .size:           8
        .value_kind:     global_buffer
      - .actual_access:  read_only
        .address_space:  global
        .offset:         24
        .size:           8
        .value_kind:     global_buffer
      - .offset:         32
        .size:           4
        .value_kind:     by_value
      - .offset:         36
        .size:           4
        .value_kind:     by_value
      - .actual_access:  read_only
        .address_space:  global
        .offset:         40
        .size:           8
        .value_kind:     global_buffer
      - .actual_access:  read_only
        .address_space:  global
        .offset:         48
        .size:           8
        .value_kind:     global_buffer
      - .offset:         56
        .size:           4
        .value_kind:     by_value
      - .actual_access:  read_only
        .address_space:  global
        .offset:         64
        .size:           8
        .value_kind:     global_buffer
      - .offset:         72
        .size:           4
        .value_kind:     by_value
      - .offset:         76
        .size:           4
        .value_kind:     by_value
      - .offset:         80
        .size:           4
        .value_kind:     by_value
      - .address_space:  global
        .offset:         88
        .size:           8
        .value_kind:     global_buffer
      - .address_space:  global
        .offset:         96
        .size:           8
        .value_kind:     global_buffer
      - .offset:         104
        .size:           4
        .value_kind:     by_value
      - .offset:         108
        .size:           4
        .value_kind:     by_value
      - .offset:         112
        .size:           4
        .value_kind:     by_value
      - .offset:         116
        .size:           4
        .value_kind:     by_value
      - .offset:         120
        .size:           4
        .value_kind:     by_value
      - .offset:         128
        .size:           4
        .value_kind:     hidden_block_count_x
      - .offset:         132
        .size:           4
        .value_kind:     hidden_block_count_y
      - .offset:         136
        .size:           4
        .value_kind:     hidden_block_count_z
      - .offset:         140
        .size:           2
        .value_kind:     hidden_group_size_x
      - .offset:         142
        .size:           2
        .value_kind:     hidden_group_size_y
      - .offset:         144
        .size:           2
        .value_kind:     hidden_group_size_z
      - .offset:         146
        .size:           2
        .value_kind:     hidden_remainder_x
      - .offset:         148
        .size:           2
        .value_kind:     hidden_remainder_y
      - .offset:         150
        .size:           2
        .value_kind:     hidden_remainder_z
      - .offset:         168
        .size:           8
        .value_kind:     hidden_global_offset_x
      - .offset:         176
        .size:           8
        .value_kind:     hidden_global_offset_y
      - .offset:         184
        .size:           8
        .value_kind:     hidden_global_offset_z
      - .offset:         192
        .size:           2
        .value_kind:     hidden_grid_dims
      - .offset:         248
        .size:           4
        .value_kind:     hidden_dynamic_lds_size
    .group_segment_fixed_size: 96
    .kernarg_segment_align: 8
    .kernarg_segment_size: 384
    .language:       OpenCL C
    .language_version:
      - 2
      - 0
    .max_flat_workgroup_size: 1024
    .name:           _ZN4vllm25paged_attention_v1_kernelIttLi32ELi32ELi128ELNS_18Fp8KVCacheDataTypeE0ELb0EEEvPT_PKS2_PKT0_S8_ifPKiSA_iPKfiiiSC_SC_iiiii
    .private_segment_fixed_size: 0
    .sgpr_count:     30
    .sgpr_spill_count: 0
    .symbol:         _ZN4vllm25paged_attention_v1_kernelIttLi32ELi32ELi128ELNS_18Fp8KVCacheDataTypeE0ELb0EEEvPT_PKS2_PKT0_S8_ifPKiSA_iPKfiiiSC_SC_iiiii.kd
    .uniform_work_group_size: 1
    .uses_dynamic_stack: false
    .vgpr_count:     67
    .vgpr_spill_count: 0
    .wavefront_size: 32
    .workgroup_processor_mode: 1
  - .args:
      - .actual_access:  write_only
        .address_space:  global
        .offset:         0
        .size:           8
        .value_kind:     global_buffer
      - .actual_access:  read_only
        .address_space:  global
        .offset:         8
        .size:           8
        .value_kind:     global_buffer
      - .actual_access:  read_only
        .address_space:  global
        .offset:         16
        .size:           8
        .value_kind:     global_buffer
      - .actual_access:  read_only
        .address_space:  global
        .offset:         24
        .size:           8
        .value_kind:     global_buffer
      - .offset:         32
        .size:           4
        .value_kind:     by_value
      - .offset:         36
        .size:           4
        .value_kind:     by_value
      - .actual_access:  read_only
        .address_space:  global
        .offset:         40
        .size:           8
        .value_kind:     global_buffer
      - .actual_access:  read_only
        .address_space:  global
        .offset:         48
        .size:           8
        .value_kind:     global_buffer
      - .offset:         56
        .size:           4
        .value_kind:     by_value
      - .actual_access:  read_only
        .address_space:  global
        .offset:         64
        .size:           8
        .value_kind:     global_buffer
      - .offset:         72
        .size:           4
        .value_kind:     by_value
      - .offset:         76
        .size:           4
        .value_kind:     by_value
      - .offset:         80
        .size:           4
        .value_kind:     by_value
      - .address_space:  global
        .offset:         88
        .size:           8
        .value_kind:     global_buffer
      - .address_space:  global
        .offset:         96
        .size:           8
        .value_kind:     global_buffer
      - .offset:         104
        .size:           4
        .value_kind:     by_value
      - .offset:         108
        .size:           4
        .value_kind:     by_value
      - .offset:         112
        .size:           4
        .value_kind:     by_value
      - .offset:         116
        .size:           4
        .value_kind:     by_value
      - .offset:         120
        .size:           4
        .value_kind:     by_value
      - .offset:         128
        .size:           4
        .value_kind:     hidden_block_count_x
      - .offset:         132
        .size:           4
        .value_kind:     hidden_block_count_y
      - .offset:         136
        .size:           4
        .value_kind:     hidden_block_count_z
      - .offset:         140
        .size:           2
        .value_kind:     hidden_group_size_x
      - .offset:         142
        .size:           2
        .value_kind:     hidden_group_size_y
      - .offset:         144
        .size:           2
        .value_kind:     hidden_group_size_z
      - .offset:         146
        .size:           2
        .value_kind:     hidden_remainder_x
      - .offset:         148
        .size:           2
        .value_kind:     hidden_remainder_y
      - .offset:         150
        .size:           2
        .value_kind:     hidden_remainder_z
      - .offset:         168
        .size:           8
        .value_kind:     hidden_global_offset_x
      - .offset:         176
        .size:           8
        .value_kind:     hidden_global_offset_y
      - .offset:         184
        .size:           8
        .value_kind:     hidden_global_offset_z
      - .offset:         192
        .size:           2
        .value_kind:     hidden_grid_dims
      - .offset:         248
        .size:           4
        .value_kind:     hidden_dynamic_lds_size
    .group_segment_fixed_size: 160
    .kernarg_segment_align: 8
    .kernarg_segment_size: 384
    .language:       OpenCL C
    .language_version:
      - 2
      - 0
    .max_flat_workgroup_size: 1024
    .name:           _ZN4vllm25paged_attention_v1_kernelIttLi64ELi32ELi128ELNS_18Fp8KVCacheDataTypeE0ELb0EEEvPT_PKS2_PKT0_S8_ifPKiSA_iPKfiiiSC_SC_iiiii
    .private_segment_fixed_size: 0
    .sgpr_count:     30
    .sgpr_spill_count: 0
    .symbol:         _ZN4vllm25paged_attention_v1_kernelIttLi64ELi32ELi128ELNS_18Fp8KVCacheDataTypeE0ELb0EEEvPT_PKS2_PKT0_S8_ifPKiSA_iPKfiiiSC_SC_iiiii.kd
    .uniform_work_group_size: 1
    .uses_dynamic_stack: false
    .vgpr_count:     109
    .vgpr_spill_count: 0
    .wavefront_size: 32
    .workgroup_processor_mode: 1
  - .args:
      - .actual_access:  write_only
        .address_space:  global
        .offset:         0
        .size:           8
        .value_kind:     global_buffer
      - .actual_access:  read_only
        .address_space:  global
        .offset:         8
        .size:           8
        .value_kind:     global_buffer
      - .actual_access:  read_only
        .address_space:  global
        .offset:         16
        .size:           8
        .value_kind:     global_buffer
      - .actual_access:  read_only
        .address_space:  global
        .offset:         24
        .size:           8
        .value_kind:     global_buffer
      - .offset:         32
        .size:           4
        .value_kind:     by_value
      - .offset:         36
        .size:           4
        .value_kind:     by_value
      - .actual_access:  read_only
        .address_space:  global
        .offset:         40
        .size:           8
        .value_kind:     global_buffer
      - .actual_access:  read_only
        .address_space:  global
        .offset:         48
        .size:           8
        .value_kind:     global_buffer
      - .offset:         56
        .size:           4
        .value_kind:     by_value
      - .actual_access:  read_only
        .address_space:  global
        .offset:         64
        .size:           8
        .value_kind:     global_buffer
      - .offset:         72
        .size:           4
        .value_kind:     by_value
      - .offset:         76
        .size:           4
        .value_kind:     by_value
      - .offset:         80
        .size:           4
        .value_kind:     by_value
      - .address_space:  global
        .offset:         88
        .size:           8
        .value_kind:     global_buffer
      - .address_space:  global
        .offset:         96
        .size:           8
        .value_kind:     global_buffer
      - .offset:         104
        .size:           4
        .value_kind:     by_value
      - .offset:         108
        .size:           4
        .value_kind:     by_value
      - .offset:         112
        .size:           4
        .value_kind:     by_value
      - .offset:         116
        .size:           4
        .value_kind:     by_value
      - .offset:         120
        .size:           4
        .value_kind:     by_value
      - .offset:         128
        .size:           4
        .value_kind:     hidden_block_count_x
      - .offset:         132
        .size:           4
        .value_kind:     hidden_block_count_y
      - .offset:         136
        .size:           4
        .value_kind:     hidden_block_count_z
      - .offset:         140
        .size:           2
        .value_kind:     hidden_group_size_x
      - .offset:         142
        .size:           2
        .value_kind:     hidden_group_size_y
      - .offset:         144
        .size:           2
        .value_kind:     hidden_group_size_z
      - .offset:         146
        .size:           2
        .value_kind:     hidden_remainder_x
      - .offset:         148
        .size:           2
        .value_kind:     hidden_remainder_y
      - .offset:         150
        .size:           2
        .value_kind:     hidden_remainder_z
      - .offset:         168
        .size:           8
        .value_kind:     hidden_global_offset_x
      - .offset:         176
        .size:           8
        .value_kind:     hidden_global_offset_y
      - .offset:         184
        .size:           8
        .value_kind:     hidden_global_offset_z
      - .offset:         192
        .size:           2
        .value_kind:     hidden_grid_dims
      - .offset:         248
        .size:           4
        .value_kind:     hidden_dynamic_lds_size
    .group_segment_fixed_size: 192
    .kernarg_segment_align: 8
    .kernarg_segment_size: 384
    .language:       OpenCL C
    .language_version:
      - 2
      - 0
    .max_flat_workgroup_size: 1024
    .name:           _ZN4vllm25paged_attention_v1_kernelIttLi80ELi32ELi128ELNS_18Fp8KVCacheDataTypeE0ELb0EEEvPT_PKS2_PKT0_S8_ifPKiSA_iPKfiiiSC_SC_iiiii
    .private_segment_fixed_size: 0
    .sgpr_count:     30
    .sgpr_spill_count: 0
    .symbol:         _ZN4vllm25paged_attention_v1_kernelIttLi80ELi32ELi128ELNS_18Fp8KVCacheDataTypeE0ELb0EEEvPT_PKS2_PKT0_S8_ifPKiSA_iPKfiiiSC_SC_iiiii.kd
    .uniform_work_group_size: 1
    .uses_dynamic_stack: false
    .vgpr_count:     74
    .vgpr_spill_count: 0
    .wavefront_size: 32
    .workgroup_processor_mode: 1
  - .args:
      - .actual_access:  write_only
        .address_space:  global
        .offset:         0
        .size:           8
        .value_kind:     global_buffer
      - .actual_access:  read_only
        .address_space:  global
        .offset:         8
        .size:           8
        .value_kind:     global_buffer
      - .actual_access:  read_only
        .address_space:  global
        .offset:         16
        .size:           8
        .value_kind:     global_buffer
      - .actual_access:  read_only
        .address_space:  global
        .offset:         24
        .size:           8
        .value_kind:     global_buffer
      - .offset:         32
        .size:           4
        .value_kind:     by_value
      - .offset:         36
        .size:           4
        .value_kind:     by_value
      - .actual_access:  read_only
        .address_space:  global
        .offset:         40
        .size:           8
        .value_kind:     global_buffer
      - .actual_access:  read_only
        .address_space:  global
        .offset:         48
        .size:           8
        .value_kind:     global_buffer
      - .offset:         56
        .size:           4
        .value_kind:     by_value
      - .actual_access:  read_only
        .address_space:  global
        .offset:         64
        .size:           8
        .value_kind:     global_buffer
      - .offset:         72
        .size:           4
        .value_kind:     by_value
      - .offset:         76
        .size:           4
        .value_kind:     by_value
      - .offset:         80
        .size:           4
        .value_kind:     by_value
      - .address_space:  global
        .offset:         88
        .size:           8
        .value_kind:     global_buffer
      - .address_space:  global
        .offset:         96
        .size:           8
        .value_kind:     global_buffer
      - .offset:         104
        .size:           4
        .value_kind:     by_value
      - .offset:         108
        .size:           4
        .value_kind:     by_value
      - .offset:         112
        .size:           4
        .value_kind:     by_value
      - .offset:         116
        .size:           4
        .value_kind:     by_value
      - .offset:         120
        .size:           4
        .value_kind:     by_value
      - .offset:         128
        .size:           4
        .value_kind:     hidden_block_count_x
      - .offset:         132
        .size:           4
        .value_kind:     hidden_block_count_y
      - .offset:         136
        .size:           4
        .value_kind:     hidden_block_count_z
      - .offset:         140
        .size:           2
        .value_kind:     hidden_group_size_x
      - .offset:         142
        .size:           2
        .value_kind:     hidden_group_size_y
      - .offset:         144
        .size:           2
        .value_kind:     hidden_group_size_z
      - .offset:         146
        .size:           2
        .value_kind:     hidden_remainder_x
      - .offset:         148
        .size:           2
        .value_kind:     hidden_remainder_y
      - .offset:         150
        .size:           2
        .value_kind:     hidden_remainder_z
      - .offset:         168
        .size:           8
        .value_kind:     hidden_global_offset_x
      - .offset:         176
        .size:           8
        .value_kind:     hidden_global_offset_y
      - .offset:         184
        .size:           8
        .value_kind:     hidden_global_offset_z
      - .offset:         192
        .size:           2
        .value_kind:     hidden_grid_dims
      - .offset:         248
        .size:           4
        .value_kind:     hidden_dynamic_lds_size
    .group_segment_fixed_size: 224
    .kernarg_segment_align: 8
    .kernarg_segment_size: 384
    .language:       OpenCL C
    .language_version:
      - 2
      - 0
    .max_flat_workgroup_size: 1024
    .name:           _ZN4vllm25paged_attention_v1_kernelIttLi96ELi32ELi128ELNS_18Fp8KVCacheDataTypeE0ELb0EEEvPT_PKS2_PKT0_S8_ifPKiSA_iPKfiiiSC_SC_iiiii
    .private_segment_fixed_size: 0
    .sgpr_count:     30
    .sgpr_spill_count: 0
    .symbol:         _ZN4vllm25paged_attention_v1_kernelIttLi96ELi32ELi128ELNS_18Fp8KVCacheDataTypeE0ELb0EEEvPT_PKS2_PKT0_S8_ifPKiSA_iPKfiiiSC_SC_iiiii.kd
    .uniform_work_group_size: 1
    .uses_dynamic_stack: false
    .vgpr_count:     82
    .vgpr_spill_count: 0
    .wavefront_size: 32
    .workgroup_processor_mode: 1
  - .args:
      - .actual_access:  write_only
        .address_space:  global
        .offset:         0
        .size:           8
        .value_kind:     global_buffer
      - .actual_access:  read_only
        .address_space:  global
        .offset:         8
        .size:           8
        .value_kind:     global_buffer
      - .actual_access:  read_only
        .address_space:  global
        .offset:         16
        .size:           8
        .value_kind:     global_buffer
      - .actual_access:  read_only
        .address_space:  global
        .offset:         24
        .size:           8
        .value_kind:     global_buffer
      - .offset:         32
        .size:           4
        .value_kind:     by_value
      - .offset:         36
        .size:           4
        .value_kind:     by_value
      - .actual_access:  read_only
        .address_space:  global
        .offset:         40
        .size:           8
        .value_kind:     global_buffer
      - .actual_access:  read_only
        .address_space:  global
        .offset:         48
        .size:           8
        .value_kind:     global_buffer
      - .offset:         56
        .size:           4
        .value_kind:     by_value
      - .actual_access:  read_only
        .address_space:  global
        .offset:         64
        .size:           8
        .value_kind:     global_buffer
      - .offset:         72
        .size:           4
        .value_kind:     by_value
      - .offset:         76
        .size:           4
        .value_kind:     by_value
      - .offset:         80
        .size:           4
        .value_kind:     by_value
      - .address_space:  global
        .offset:         88
        .size:           8
        .value_kind:     global_buffer
      - .address_space:  global
        .offset:         96
        .size:           8
        .value_kind:     global_buffer
      - .offset:         104
        .size:           4
        .value_kind:     by_value
      - .offset:         108
        .size:           4
        .value_kind:     by_value
      - .offset:         112
        .size:           4
        .value_kind:     by_value
      - .offset:         116
        .size:           4
        .value_kind:     by_value
      - .offset:         120
        .size:           4
        .value_kind:     by_value
      - .offset:         128
        .size:           4
        .value_kind:     hidden_block_count_x
      - .offset:         132
        .size:           4
        .value_kind:     hidden_block_count_y
      - .offset:         136
        .size:           4
        .value_kind:     hidden_block_count_z
      - .offset:         140
        .size:           2
        .value_kind:     hidden_group_size_x
      - .offset:         142
        .size:           2
        .value_kind:     hidden_group_size_y
      - .offset:         144
        .size:           2
        .value_kind:     hidden_group_size_z
      - .offset:         146
        .size:           2
        .value_kind:     hidden_remainder_x
      - .offset:         148
        .size:           2
        .value_kind:     hidden_remainder_y
      - .offset:         150
        .size:           2
        .value_kind:     hidden_remainder_z
      - .offset:         168
        .size:           8
        .value_kind:     hidden_global_offset_x
      - .offset:         176
        .size:           8
        .value_kind:     hidden_global_offset_y
      - .offset:         184
        .size:           8
        .value_kind:     hidden_global_offset_z
      - .offset:         192
        .size:           2
        .value_kind:     hidden_grid_dims
      - .offset:         248
        .size:           4
        .value_kind:     hidden_dynamic_lds_size
    .group_segment_fixed_size: 256
    .kernarg_segment_align: 8
    .kernarg_segment_size: 384
    .language:       OpenCL C
    .language_version:
      - 2
      - 0
    .max_flat_workgroup_size: 1024
    .name:           _ZN4vllm25paged_attention_v1_kernelIttLi112ELi32ELi128ELNS_18Fp8KVCacheDataTypeE0ELb0EEEvPT_PKS2_PKT0_S8_ifPKiSA_iPKfiiiSC_SC_iiiii
    .private_segment_fixed_size: 0
    .sgpr_count:     30
    .sgpr_spill_count: 0
    .symbol:         _ZN4vllm25paged_attention_v1_kernelIttLi112ELi32ELi128ELNS_18Fp8KVCacheDataTypeE0ELb0EEEvPT_PKS2_PKT0_S8_ifPKiSA_iPKfiiiSC_SC_iiiii.kd
    .uniform_work_group_size: 1
    .uses_dynamic_stack: false
    .vgpr_count:     90
    .vgpr_spill_count: 0
    .wavefront_size: 32
    .workgroup_processor_mode: 1
  - .args:
      - .actual_access:  write_only
        .address_space:  global
        .offset:         0
        .size:           8
        .value_kind:     global_buffer
      - .actual_access:  read_only
        .address_space:  global
        .offset:         8
        .size:           8
        .value_kind:     global_buffer
      - .actual_access:  read_only
        .address_space:  global
        .offset:         16
        .size:           8
        .value_kind:     global_buffer
      - .actual_access:  read_only
        .address_space:  global
        .offset:         24
        .size:           8
        .value_kind:     global_buffer
      - .offset:         32
        .size:           4
        .value_kind:     by_value
      - .offset:         36
        .size:           4
        .value_kind:     by_value
      - .actual_access:  read_only
        .address_space:  global
        .offset:         40
        .size:           8
        .value_kind:     global_buffer
      - .actual_access:  read_only
        .address_space:  global
        .offset:         48
        .size:           8
        .value_kind:     global_buffer
      - .offset:         56
        .size:           4
        .value_kind:     by_value
      - .actual_access:  read_only
        .address_space:  global
        .offset:         64
        .size:           8
        .value_kind:     global_buffer
      - .offset:         72
        .size:           4
        .value_kind:     by_value
      - .offset:         76
        .size:           4
        .value_kind:     by_value
      - .offset:         80
        .size:           4
        .value_kind:     by_value
      - .address_space:  global
        .offset:         88
        .size:           8
        .value_kind:     global_buffer
      - .address_space:  global
        .offset:         96
        .size:           8
        .value_kind:     global_buffer
      - .offset:         104
        .size:           4
        .value_kind:     by_value
      - .offset:         108
        .size:           4
        .value_kind:     by_value
      - .offset:         112
        .size:           4
        .value_kind:     by_value
      - .offset:         116
        .size:           4
        .value_kind:     by_value
      - .offset:         120
        .size:           4
        .value_kind:     by_value
      - .offset:         128
        .size:           4
        .value_kind:     hidden_block_count_x
      - .offset:         132
        .size:           4
        .value_kind:     hidden_block_count_y
      - .offset:         136
        .size:           4
        .value_kind:     hidden_block_count_z
      - .offset:         140
        .size:           2
        .value_kind:     hidden_group_size_x
      - .offset:         142
        .size:           2
        .value_kind:     hidden_group_size_y
      - .offset:         144
        .size:           2
        .value_kind:     hidden_group_size_z
      - .offset:         146
        .size:           2
        .value_kind:     hidden_remainder_x
      - .offset:         148
        .size:           2
        .value_kind:     hidden_remainder_y
      - .offset:         150
        .size:           2
        .value_kind:     hidden_remainder_z
      - .offset:         168
        .size:           8
        .value_kind:     hidden_global_offset_x
      - .offset:         176
        .size:           8
        .value_kind:     hidden_global_offset_y
      - .offset:         184
        .size:           8
        .value_kind:     hidden_global_offset_z
      - .offset:         192
        .size:           2
        .value_kind:     hidden_grid_dims
      - .offset:         248
        .size:           4
        .value_kind:     hidden_dynamic_lds_size
    .group_segment_fixed_size: 272
    .kernarg_segment_align: 8
    .kernarg_segment_size: 384
    .language:       OpenCL C
    .language_version:
      - 2
      - 0
    .max_flat_workgroup_size: 1024
    .name:           _ZN4vllm25paged_attention_v1_kernelIttLi120ELi32ELi128ELNS_18Fp8KVCacheDataTypeE0ELb0EEEvPT_PKS2_PKT0_S8_ifPKiSA_iPKfiiiSC_SC_iiiii
    .private_segment_fixed_size: 0
    .sgpr_count:     30
    .sgpr_spill_count: 0
    .symbol:         _ZN4vllm25paged_attention_v1_kernelIttLi120ELi32ELi128ELNS_18Fp8KVCacheDataTypeE0ELb0EEEvPT_PKS2_PKT0_S8_ifPKiSA_iPKfiiiSC_SC_iiiii.kd
    .uniform_work_group_size: 1
    .uses_dynamic_stack: false
    .vgpr_count:     94
    .vgpr_spill_count: 0
    .wavefront_size: 32
    .workgroup_processor_mode: 1
  - .args:
      - .actual_access:  write_only
        .address_space:  global
        .offset:         0
        .size:           8
        .value_kind:     global_buffer
      - .actual_access:  read_only
        .address_space:  global
        .offset:         8
        .size:           8
        .value_kind:     global_buffer
      - .actual_access:  read_only
        .address_space:  global
        .offset:         16
        .size:           8
        .value_kind:     global_buffer
      - .actual_access:  read_only
        .address_space:  global
        .offset:         24
        .size:           8
        .value_kind:     global_buffer
      - .offset:         32
        .size:           4
        .value_kind:     by_value
      - .offset:         36
        .size:           4
        .value_kind:     by_value
      - .actual_access:  read_only
        .address_space:  global
        .offset:         40
        .size:           8
        .value_kind:     global_buffer
      - .actual_access:  read_only
        .address_space:  global
        .offset:         48
        .size:           8
        .value_kind:     global_buffer
      - .offset:         56
        .size:           4
        .value_kind:     by_value
      - .actual_access:  read_only
        .address_space:  global
        .offset:         64
        .size:           8
        .value_kind:     global_buffer
      - .offset:         72
        .size:           4
        .value_kind:     by_value
      - .offset:         76
        .size:           4
        .value_kind:     by_value
      - .offset:         80
        .size:           4
        .value_kind:     by_value
      - .address_space:  global
        .offset:         88
        .size:           8
        .value_kind:     global_buffer
      - .address_space:  global
        .offset:         96
        .size:           8
        .value_kind:     global_buffer
      - .offset:         104
        .size:           4
        .value_kind:     by_value
      - .offset:         108
        .size:           4
        .value_kind:     by_value
      - .offset:         112
        .size:           4
        .value_kind:     by_value
      - .offset:         116
        .size:           4
        .value_kind:     by_value
      - .offset:         120
        .size:           4
        .value_kind:     by_value
      - .offset:         128
        .size:           4
        .value_kind:     hidden_block_count_x
      - .offset:         132
        .size:           4
        .value_kind:     hidden_block_count_y
      - .offset:         136
        .size:           4
        .value_kind:     hidden_block_count_z
      - .offset:         140
        .size:           2
        .value_kind:     hidden_group_size_x
      - .offset:         142
        .size:           2
        .value_kind:     hidden_group_size_y
      - .offset:         144
        .size:           2
        .value_kind:     hidden_group_size_z
      - .offset:         146
        .size:           2
        .value_kind:     hidden_remainder_x
      - .offset:         148
        .size:           2
        .value_kind:     hidden_remainder_y
      - .offset:         150
        .size:           2
        .value_kind:     hidden_remainder_z
      - .offset:         168
        .size:           8
        .value_kind:     hidden_global_offset_x
      - .offset:         176
        .size:           8
        .value_kind:     hidden_global_offset_y
      - .offset:         184
        .size:           8
        .value_kind:     hidden_global_offset_z
      - .offset:         192
        .size:           2
        .value_kind:     hidden_grid_dims
      - .offset:         248
        .size:           4
        .value_kind:     hidden_dynamic_lds_size
    .group_segment_fixed_size: 288
    .kernarg_segment_align: 8
    .kernarg_segment_size: 384
    .language:       OpenCL C
    .language_version:
      - 2
      - 0
    .max_flat_workgroup_size: 1024
    .name:           _ZN4vllm25paged_attention_v1_kernelIttLi128ELi32ELi128ELNS_18Fp8KVCacheDataTypeE0ELb0EEEvPT_PKS2_PKT0_S8_ifPKiSA_iPKfiiiSC_SC_iiiii
    .private_segment_fixed_size: 0
    .sgpr_count:     30
    .sgpr_spill_count: 0
    .symbol:         _ZN4vllm25paged_attention_v1_kernelIttLi128ELi32ELi128ELNS_18Fp8KVCacheDataTypeE0ELb0EEEvPT_PKS2_PKT0_S8_ifPKiSA_iPKfiiiSC_SC_iiiii.kd
    .uniform_work_group_size: 1
    .uses_dynamic_stack: false
    .vgpr_count:     98
    .vgpr_spill_count: 0
    .wavefront_size: 32
    .workgroup_processor_mode: 1
  - .args:
      - .actual_access:  write_only
        .address_space:  global
        .offset:         0
        .size:           8
        .value_kind:     global_buffer
      - .actual_access:  read_only
        .address_space:  global
        .offset:         8
        .size:           8
        .value_kind:     global_buffer
      - .actual_access:  read_only
        .address_space:  global
        .offset:         16
        .size:           8
        .value_kind:     global_buffer
      - .actual_access:  read_only
        .address_space:  global
        .offset:         24
        .size:           8
        .value_kind:     global_buffer
      - .offset:         32
        .size:           4
        .value_kind:     by_value
      - .offset:         36
        .size:           4
        .value_kind:     by_value
      - .actual_access:  read_only
        .address_space:  global
        .offset:         40
        .size:           8
        .value_kind:     global_buffer
      - .actual_access:  read_only
        .address_space:  global
        .offset:         48
        .size:           8
        .value_kind:     global_buffer
      - .offset:         56
        .size:           4
        .value_kind:     by_value
      - .actual_access:  read_only
        .address_space:  global
        .offset:         64
        .size:           8
        .value_kind:     global_buffer
      - .offset:         72
        .size:           4
        .value_kind:     by_value
      - .offset:         76
        .size:           4
        .value_kind:     by_value
      - .offset:         80
        .size:           4
        .value_kind:     by_value
      - .address_space:  global
        .offset:         88
        .size:           8
        .value_kind:     global_buffer
      - .address_space:  global
        .offset:         96
        .size:           8
        .value_kind:     global_buffer
      - .offset:         104
        .size:           4
        .value_kind:     by_value
      - .offset:         108
        .size:           4
        .value_kind:     by_value
      - .offset:         112
        .size:           4
        .value_kind:     by_value
      - .offset:         116
        .size:           4
        .value_kind:     by_value
      - .offset:         120
        .size:           4
        .value_kind:     by_value
      - .offset:         128
        .size:           4
        .value_kind:     hidden_block_count_x
      - .offset:         132
        .size:           4
        .value_kind:     hidden_block_count_y
      - .offset:         136
        .size:           4
        .value_kind:     hidden_block_count_z
      - .offset:         140
        .size:           2
        .value_kind:     hidden_group_size_x
      - .offset:         142
        .size:           2
        .value_kind:     hidden_group_size_y
      - .offset:         144
        .size:           2
        .value_kind:     hidden_group_size_z
      - .offset:         146
        .size:           2
        .value_kind:     hidden_remainder_x
      - .offset:         148
        .size:           2
        .value_kind:     hidden_remainder_y
      - .offset:         150
        .size:           2
        .value_kind:     hidden_remainder_z
      - .offset:         168
        .size:           8
        .value_kind:     hidden_global_offset_x
      - .offset:         176
        .size:           8
        .value_kind:     hidden_global_offset_y
      - .offset:         184
        .size:           8
        .value_kind:     hidden_global_offset_z
      - .offset:         192
        .size:           2
        .value_kind:     hidden_grid_dims
      - .offset:         248
        .size:           4
        .value_kind:     hidden_dynamic_lds_size
    .group_segment_fixed_size: 416
    .kernarg_segment_align: 8
    .kernarg_segment_size: 384
    .language:       OpenCL C
    .language_version:
      - 2
      - 0
    .max_flat_workgroup_size: 1024
    .name:           _ZN4vllm25paged_attention_v1_kernelIttLi192ELi32ELi128ELNS_18Fp8KVCacheDataTypeE0ELb0EEEvPT_PKS2_PKT0_S8_ifPKiSA_iPKfiiiSC_SC_iiiii
    .private_segment_fixed_size: 0
    .sgpr_count:     30
    .sgpr_spill_count: 0
    .symbol:         _ZN4vllm25paged_attention_v1_kernelIttLi192ELi32ELi128ELNS_18Fp8KVCacheDataTypeE0ELb0EEEvPT_PKS2_PKT0_S8_ifPKiSA_iPKfiiiSC_SC_iiiii.kd
    .uniform_work_group_size: 1
    .uses_dynamic_stack: false
    .vgpr_count:     128
    .vgpr_spill_count: 0
    .wavefront_size: 32
    .workgroup_processor_mode: 1
  - .args:
      - .actual_access:  write_only
        .address_space:  global
        .offset:         0
        .size:           8
        .value_kind:     global_buffer
      - .actual_access:  read_only
        .address_space:  global
        .offset:         8
        .size:           8
        .value_kind:     global_buffer
      - .actual_access:  read_only
        .address_space:  global
        .offset:         16
        .size:           8
        .value_kind:     global_buffer
      - .actual_access:  read_only
        .address_space:  global
        .offset:         24
        .size:           8
        .value_kind:     global_buffer
      - .offset:         32
        .size:           4
        .value_kind:     by_value
      - .offset:         36
        .size:           4
        .value_kind:     by_value
      - .actual_access:  read_only
        .address_space:  global
        .offset:         40
        .size:           8
        .value_kind:     global_buffer
      - .actual_access:  read_only
        .address_space:  global
        .offset:         48
        .size:           8
        .value_kind:     global_buffer
      - .offset:         56
        .size:           4
        .value_kind:     by_value
      - .actual_access:  read_only
        .address_space:  global
        .offset:         64
        .size:           8
        .value_kind:     global_buffer
      - .offset:         72
        .size:           4
        .value_kind:     by_value
      - .offset:         76
        .size:           4
        .value_kind:     by_value
      - .offset:         80
        .size:           4
        .value_kind:     by_value
      - .address_space:  global
        .offset:         88
        .size:           8
        .value_kind:     global_buffer
      - .address_space:  global
        .offset:         96
        .size:           8
        .value_kind:     global_buffer
      - .offset:         104
        .size:           4
        .value_kind:     by_value
      - .offset:         108
        .size:           4
        .value_kind:     by_value
      - .offset:         112
        .size:           4
        .value_kind:     by_value
      - .offset:         116
        .size:           4
        .value_kind:     by_value
      - .offset:         120
        .size:           4
        .value_kind:     by_value
      - .offset:         128
        .size:           4
        .value_kind:     hidden_block_count_x
      - .offset:         132
        .size:           4
        .value_kind:     hidden_block_count_y
      - .offset:         136
        .size:           4
        .value_kind:     hidden_block_count_z
      - .offset:         140
        .size:           2
        .value_kind:     hidden_group_size_x
      - .offset:         142
        .size:           2
        .value_kind:     hidden_group_size_y
      - .offset:         144
        .size:           2
        .value_kind:     hidden_group_size_z
      - .offset:         146
        .size:           2
        .value_kind:     hidden_remainder_x
      - .offset:         148
        .size:           2
        .value_kind:     hidden_remainder_y
      - .offset:         150
        .size:           2
        .value_kind:     hidden_remainder_z
      - .offset:         168
        .size:           8
        .value_kind:     hidden_global_offset_x
      - .offset:         176
        .size:           8
        .value_kind:     hidden_global_offset_y
      - .offset:         184
        .size:           8
        .value_kind:     hidden_global_offset_z
      - .offset:         192
        .size:           2
        .value_kind:     hidden_grid_dims
      - .offset:         248
        .size:           4
        .value_kind:     hidden_dynamic_lds_size
    .group_segment_fixed_size: 544
    .kernarg_segment_align: 8
    .kernarg_segment_size: 384
    .language:       OpenCL C
    .language_version:
      - 2
      - 0
    .max_flat_workgroup_size: 1024
    .name:           _ZN4vllm25paged_attention_v1_kernelIttLi256ELi32ELi128ELNS_18Fp8KVCacheDataTypeE0ELb0EEEvPT_PKS2_PKT0_S8_ifPKiSA_iPKfiiiSC_SC_iiiii
    .private_segment_fixed_size: 136
    .sgpr_count:     34
    .sgpr_spill_count: 0
    .symbol:         _ZN4vllm25paged_attention_v1_kernelIttLi256ELi32ELi128ELNS_18Fp8KVCacheDataTypeE0ELb0EEEvPT_PKS2_PKT0_S8_ifPKiSA_iPKfiiiSC_SC_iiiii.kd
    .uniform_work_group_size: 1
    .uses_dynamic_stack: false
    .vgpr_count:     128
    .vgpr_spill_count: 33
    .wavefront_size: 32
    .workgroup_processor_mode: 1
  - .args:
      - .actual_access:  write_only
        .address_space:  global
        .offset:         0
        .size:           8
        .value_kind:     global_buffer
      - .actual_access:  read_only
        .address_space:  global
        .offset:         8
        .size:           8
        .value_kind:     global_buffer
      - .actual_access:  read_only
        .address_space:  global
        .offset:         16
        .size:           8
        .value_kind:     global_buffer
      - .actual_access:  read_only
        .address_space:  global
        .offset:         24
        .size:           8
        .value_kind:     global_buffer
      - .offset:         32
        .size:           4
        .value_kind:     by_value
      - .offset:         36
        .size:           4
        .value_kind:     by_value
      - .actual_access:  read_only
        .address_space:  global
        .offset:         40
        .size:           8
        .value_kind:     global_buffer
      - .actual_access:  read_only
        .address_space:  global
        .offset:         48
        .size:           8
        .value_kind:     global_buffer
      - .offset:         56
        .size:           4
        .value_kind:     by_value
      - .actual_access:  read_only
        .address_space:  global
        .offset:         64
        .size:           8
        .value_kind:     global_buffer
      - .offset:         72
        .size:           4
        .value_kind:     by_value
      - .offset:         76
        .size:           4
        .value_kind:     by_value
      - .offset:         80
        .size:           4
        .value_kind:     by_value
      - .address_space:  global
        .offset:         88
        .size:           8
        .value_kind:     global_buffer
      - .address_space:  global
        .offset:         96
        .size:           8
        .value_kind:     global_buffer
      - .offset:         104
        .size:           4
        .value_kind:     by_value
      - .offset:         108
        .size:           4
        .value_kind:     by_value
      - .offset:         112
        .size:           4
        .value_kind:     by_value
      - .offset:         116
        .size:           4
        .value_kind:     by_value
      - .offset:         120
        .size:           4
        .value_kind:     by_value
      - .offset:         128
        .size:           4
        .value_kind:     hidden_block_count_x
      - .offset:         132
        .size:           4
        .value_kind:     hidden_block_count_y
      - .offset:         136
        .size:           4
        .value_kind:     hidden_block_count_z
      - .offset:         140
        .size:           2
        .value_kind:     hidden_group_size_x
      - .offset:         142
        .size:           2
        .value_kind:     hidden_group_size_y
      - .offset:         144
        .size:           2
        .value_kind:     hidden_group_size_z
      - .offset:         146
        .size:           2
        .value_kind:     hidden_remainder_x
      - .offset:         148
        .size:           2
        .value_kind:     hidden_remainder_y
      - .offset:         150
        .size:           2
        .value_kind:     hidden_remainder_z
      - .offset:         168
        .size:           8
        .value_kind:     hidden_global_offset_x
      - .offset:         176
        .size:           8
        .value_kind:     hidden_global_offset_y
      - .offset:         184
        .size:           8
        .value_kind:     hidden_global_offset_z
      - .offset:         192
        .size:           2
        .value_kind:     hidden_grid_dims
      - .offset:         248
        .size:           4
        .value_kind:     hidden_dynamic_lds_size
    .group_segment_fixed_size: 96
    .kernarg_segment_align: 8
    .kernarg_segment_size: 384
    .language:       OpenCL C
    .language_version:
      - 2
      - 0
    .max_flat_workgroup_size: 1024
    .name:           _ZN4vllm25paged_attention_v1_kernelI14__hip_bfloat16S1_Li32ELi8ELi128ELNS_18Fp8KVCacheDataTypeE0ELb1EEEvPT_PKS3_PKT0_S9_ifPKiSB_iPKfiiiSD_SD_iiiii
    .private_segment_fixed_size: 0
    .sgpr_count:     40
    .sgpr_spill_count: 0
    .symbol:         _ZN4vllm25paged_attention_v1_kernelI14__hip_bfloat16S1_Li32ELi8ELi128ELNS_18Fp8KVCacheDataTypeE0ELb1EEEvPT_PKS3_PKT0_S9_ifPKiSB_iPKfiiiSD_SD_iiiii.kd
    .uniform_work_group_size: 1
    .uses_dynamic_stack: false
    .vgpr_count:     34
    .vgpr_spill_count: 0
    .wavefront_size: 32
    .workgroup_processor_mode: 1
  - .args:
      - .actual_access:  write_only
        .address_space:  global
        .offset:         0
        .size:           8
        .value_kind:     global_buffer
      - .actual_access:  read_only
        .address_space:  global
        .offset:         8
        .size:           8
        .value_kind:     global_buffer
      - .actual_access:  read_only
        .address_space:  global
        .offset:         16
        .size:           8
        .value_kind:     global_buffer
      - .actual_access:  read_only
        .address_space:  global
        .offset:         24
        .size:           8
        .value_kind:     global_buffer
      - .offset:         32
        .size:           4
        .value_kind:     by_value
      - .offset:         36
        .size:           4
        .value_kind:     by_value
      - .actual_access:  read_only
        .address_space:  global
        .offset:         40
        .size:           8
        .value_kind:     global_buffer
      - .actual_access:  read_only
        .address_space:  global
        .offset:         48
        .size:           8
        .value_kind:     global_buffer
      - .offset:         56
        .size:           4
        .value_kind:     by_value
      - .actual_access:  read_only
        .address_space:  global
        .offset:         64
        .size:           8
        .value_kind:     global_buffer
      - .offset:         72
        .size:           4
        .value_kind:     by_value
      - .offset:         76
        .size:           4
        .value_kind:     by_value
      - .offset:         80
        .size:           4
        .value_kind:     by_value
      - .address_space:  global
        .offset:         88
        .size:           8
        .value_kind:     global_buffer
      - .address_space:  global
        .offset:         96
        .size:           8
        .value_kind:     global_buffer
      - .offset:         104
        .size:           4
        .value_kind:     by_value
      - .offset:         108
        .size:           4
        .value_kind:     by_value
      - .offset:         112
        .size:           4
        .value_kind:     by_value
      - .offset:         116
        .size:           4
        .value_kind:     by_value
      - .offset:         120
        .size:           4
        .value_kind:     by_value
      - .offset:         128
        .size:           4
        .value_kind:     hidden_block_count_x
      - .offset:         132
        .size:           4
        .value_kind:     hidden_block_count_y
      - .offset:         136
        .size:           4
        .value_kind:     hidden_block_count_z
      - .offset:         140
        .size:           2
        .value_kind:     hidden_group_size_x
      - .offset:         142
        .size:           2
        .value_kind:     hidden_group_size_y
      - .offset:         144
        .size:           2
        .value_kind:     hidden_group_size_z
      - .offset:         146
        .size:           2
        .value_kind:     hidden_remainder_x
      - .offset:         148
        .size:           2
        .value_kind:     hidden_remainder_y
      - .offset:         150
        .size:           2
        .value_kind:     hidden_remainder_z
      - .offset:         168
        .size:           8
        .value_kind:     hidden_global_offset_x
      - .offset:         176
        .size:           8
        .value_kind:     hidden_global_offset_y
      - .offset:         184
        .size:           8
        .value_kind:     hidden_global_offset_z
      - .offset:         192
        .size:           2
        .value_kind:     hidden_grid_dims
      - .offset:         248
        .size:           4
        .value_kind:     hidden_dynamic_lds_size
    .group_segment_fixed_size: 160
    .kernarg_segment_align: 8
    .kernarg_segment_size: 384
    .language:       OpenCL C
    .language_version:
      - 2
      - 0
    .max_flat_workgroup_size: 1024
    .name:           _ZN4vllm25paged_attention_v1_kernelI14__hip_bfloat16S1_Li64ELi8ELi128ELNS_18Fp8KVCacheDataTypeE0ELb1EEEvPT_PKS3_PKT0_S9_ifPKiSB_iPKfiiiSD_SD_iiiii
    .private_segment_fixed_size: 0
    .sgpr_count:     40
    .sgpr_spill_count: 0
    .symbol:         _ZN4vllm25paged_attention_v1_kernelI14__hip_bfloat16S1_Li64ELi8ELi128ELNS_18Fp8KVCacheDataTypeE0ELb1EEEvPT_PKS3_PKT0_S9_ifPKiSB_iPKfiiiSD_SD_iiiii.kd
    .uniform_work_group_size: 1
    .uses_dynamic_stack: false
    .vgpr_count:     46
    .vgpr_spill_count: 0
    .wavefront_size: 32
    .workgroup_processor_mode: 1
  - .args:
      - .actual_access:  write_only
        .address_space:  global
        .offset:         0
        .size:           8
        .value_kind:     global_buffer
      - .actual_access:  read_only
        .address_space:  global
        .offset:         8
        .size:           8
        .value_kind:     global_buffer
      - .actual_access:  read_only
        .address_space:  global
        .offset:         16
        .size:           8
        .value_kind:     global_buffer
      - .actual_access:  read_only
        .address_space:  global
        .offset:         24
        .size:           8
        .value_kind:     global_buffer
      - .offset:         32
        .size:           4
        .value_kind:     by_value
      - .offset:         36
        .size:           4
        .value_kind:     by_value
      - .actual_access:  read_only
        .address_space:  global
        .offset:         40
        .size:           8
        .value_kind:     global_buffer
      - .actual_access:  read_only
        .address_space:  global
        .offset:         48
        .size:           8
        .value_kind:     global_buffer
      - .offset:         56
        .size:           4
        .value_kind:     by_value
      - .actual_access:  read_only
        .address_space:  global
        .offset:         64
        .size:           8
        .value_kind:     global_buffer
      - .offset:         72
        .size:           4
        .value_kind:     by_value
      - .offset:         76
        .size:           4
        .value_kind:     by_value
      - .offset:         80
        .size:           4
        .value_kind:     by_value
      - .address_space:  global
        .offset:         88
        .size:           8
        .value_kind:     global_buffer
      - .address_space:  global
        .offset:         96
        .size:           8
        .value_kind:     global_buffer
      - .offset:         104
        .size:           4
        .value_kind:     by_value
      - .offset:         108
        .size:           4
        .value_kind:     by_value
      - .offset:         112
        .size:           4
        .value_kind:     by_value
      - .offset:         116
        .size:           4
        .value_kind:     by_value
      - .offset:         120
        .size:           4
        .value_kind:     by_value
      - .offset:         128
        .size:           4
        .value_kind:     hidden_block_count_x
      - .offset:         132
        .size:           4
        .value_kind:     hidden_block_count_y
      - .offset:         136
        .size:           4
        .value_kind:     hidden_block_count_z
      - .offset:         140
        .size:           2
        .value_kind:     hidden_group_size_x
      - .offset:         142
        .size:           2
        .value_kind:     hidden_group_size_y
      - .offset:         144
        .size:           2
        .value_kind:     hidden_group_size_z
      - .offset:         146
        .size:           2
        .value_kind:     hidden_remainder_x
      - .offset:         148
        .size:           2
        .value_kind:     hidden_remainder_y
      - .offset:         150
        .size:           2
        .value_kind:     hidden_remainder_z
      - .offset:         168
        .size:           8
        .value_kind:     hidden_global_offset_x
      - .offset:         176
        .size:           8
        .value_kind:     hidden_global_offset_y
      - .offset:         184
        .size:           8
        .value_kind:     hidden_global_offset_z
      - .offset:         192
        .size:           2
        .value_kind:     hidden_grid_dims
      - .offset:         248
        .size:           4
        .value_kind:     hidden_dynamic_lds_size
    .group_segment_fixed_size: 192
    .kernarg_segment_align: 8
    .kernarg_segment_size: 384
    .language:       OpenCL C
    .language_version:
      - 2
      - 0
    .max_flat_workgroup_size: 1024
    .name:           _ZN4vllm25paged_attention_v1_kernelI14__hip_bfloat16S1_Li80ELi8ELi128ELNS_18Fp8KVCacheDataTypeE0ELb1EEEvPT_PKS3_PKT0_S9_ifPKiSB_iPKfiiiSD_SD_iiiii
    .private_segment_fixed_size: 0
    .sgpr_count:     47
    .sgpr_spill_count: 0
    .symbol:         _ZN4vllm25paged_attention_v1_kernelI14__hip_bfloat16S1_Li80ELi8ELi128ELNS_18Fp8KVCacheDataTypeE0ELb1EEEvPT_PKS3_PKT0_S9_ifPKiSB_iPKfiiiSD_SD_iiiii.kd
    .uniform_work_group_size: 1
    .uses_dynamic_stack: false
    .vgpr_count:     52
    .vgpr_spill_count: 0
    .wavefront_size: 32
    .workgroup_processor_mode: 1
  - .args:
      - .actual_access:  write_only
        .address_space:  global
        .offset:         0
        .size:           8
        .value_kind:     global_buffer
      - .actual_access:  read_only
        .address_space:  global
        .offset:         8
        .size:           8
        .value_kind:     global_buffer
      - .actual_access:  read_only
        .address_space:  global
        .offset:         16
        .size:           8
        .value_kind:     global_buffer
      - .actual_access:  read_only
        .address_space:  global
        .offset:         24
        .size:           8
        .value_kind:     global_buffer
      - .offset:         32
        .size:           4
        .value_kind:     by_value
      - .offset:         36
        .size:           4
        .value_kind:     by_value
      - .actual_access:  read_only
        .address_space:  global
        .offset:         40
        .size:           8
        .value_kind:     global_buffer
      - .actual_access:  read_only
        .address_space:  global
        .offset:         48
        .size:           8
        .value_kind:     global_buffer
      - .offset:         56
        .size:           4
        .value_kind:     by_value
      - .actual_access:  read_only
        .address_space:  global
        .offset:         64
        .size:           8
        .value_kind:     global_buffer
      - .offset:         72
        .size:           4
        .value_kind:     by_value
      - .offset:         76
        .size:           4
        .value_kind:     by_value
      - .offset:         80
        .size:           4
        .value_kind:     by_value
      - .address_space:  global
        .offset:         88
        .size:           8
        .value_kind:     global_buffer
      - .address_space:  global
        .offset:         96
        .size:           8
        .value_kind:     global_buffer
      - .offset:         104
        .size:           4
        .value_kind:     by_value
      - .offset:         108
        .size:           4
        .value_kind:     by_value
      - .offset:         112
        .size:           4
        .value_kind:     by_value
      - .offset:         116
        .size:           4
        .value_kind:     by_value
      - .offset:         120
        .size:           4
        .value_kind:     by_value
      - .offset:         128
        .size:           4
        .value_kind:     hidden_block_count_x
      - .offset:         132
        .size:           4
        .value_kind:     hidden_block_count_y
      - .offset:         136
        .size:           4
        .value_kind:     hidden_block_count_z
      - .offset:         140
        .size:           2
        .value_kind:     hidden_group_size_x
      - .offset:         142
        .size:           2
        .value_kind:     hidden_group_size_y
      - .offset:         144
        .size:           2
        .value_kind:     hidden_group_size_z
      - .offset:         146
        .size:           2
        .value_kind:     hidden_remainder_x
      - .offset:         148
        .size:           2
        .value_kind:     hidden_remainder_y
      - .offset:         150
        .size:           2
        .value_kind:     hidden_remainder_z
      - .offset:         168
        .size:           8
        .value_kind:     hidden_global_offset_x
      - .offset:         176
        .size:           8
        .value_kind:     hidden_global_offset_y
      - .offset:         184
        .size:           8
        .value_kind:     hidden_global_offset_z
      - .offset:         192
        .size:           2
        .value_kind:     hidden_grid_dims
      - .offset:         248
        .size:           4
        .value_kind:     hidden_dynamic_lds_size
    .group_segment_fixed_size: 224
    .kernarg_segment_align: 8
    .kernarg_segment_size: 384
    .language:       OpenCL C
    .language_version:
      - 2
      - 0
    .max_flat_workgroup_size: 1024
    .name:           _ZN4vllm25paged_attention_v1_kernelI14__hip_bfloat16S1_Li96ELi8ELi128ELNS_18Fp8KVCacheDataTypeE0ELb1EEEvPT_PKS3_PKT0_S9_ifPKiSB_iPKfiiiSD_SD_iiiii
    .private_segment_fixed_size: 0
    .sgpr_count:     40
    .sgpr_spill_count: 0
    .symbol:         _ZN4vllm25paged_attention_v1_kernelI14__hip_bfloat16S1_Li96ELi8ELi128ELNS_18Fp8KVCacheDataTypeE0ELb1EEEvPT_PKS3_PKT0_S9_ifPKiSB_iPKfiiiSD_SD_iiiii.kd
    .uniform_work_group_size: 1
    .uses_dynamic_stack: false
    .vgpr_count:     58
    .vgpr_spill_count: 0
    .wavefront_size: 32
    .workgroup_processor_mode: 1
  - .args:
      - .actual_access:  write_only
        .address_space:  global
        .offset:         0
        .size:           8
        .value_kind:     global_buffer
      - .actual_access:  read_only
        .address_space:  global
        .offset:         8
        .size:           8
        .value_kind:     global_buffer
      - .actual_access:  read_only
        .address_space:  global
        .offset:         16
        .size:           8
        .value_kind:     global_buffer
      - .actual_access:  read_only
        .address_space:  global
        .offset:         24
        .size:           8
        .value_kind:     global_buffer
      - .offset:         32
        .size:           4
        .value_kind:     by_value
      - .offset:         36
        .size:           4
        .value_kind:     by_value
      - .actual_access:  read_only
        .address_space:  global
        .offset:         40
        .size:           8
        .value_kind:     global_buffer
      - .actual_access:  read_only
        .address_space:  global
        .offset:         48
        .size:           8
        .value_kind:     global_buffer
      - .offset:         56
        .size:           4
        .value_kind:     by_value
      - .actual_access:  read_only
        .address_space:  global
        .offset:         64
        .size:           8
        .value_kind:     global_buffer
      - .offset:         72
        .size:           4
        .value_kind:     by_value
      - .offset:         76
        .size:           4
        .value_kind:     by_value
      - .offset:         80
        .size:           4
        .value_kind:     by_value
      - .address_space:  global
        .offset:         88
        .size:           8
        .value_kind:     global_buffer
      - .address_space:  global
        .offset:         96
        .size:           8
        .value_kind:     global_buffer
      - .offset:         104
        .size:           4
        .value_kind:     by_value
      - .offset:         108
        .size:           4
        .value_kind:     by_value
      - .offset:         112
        .size:           4
        .value_kind:     by_value
      - .offset:         116
        .size:           4
        .value_kind:     by_value
      - .offset:         120
        .size:           4
        .value_kind:     by_value
      - .offset:         128
        .size:           4
        .value_kind:     hidden_block_count_x
      - .offset:         132
        .size:           4
        .value_kind:     hidden_block_count_y
      - .offset:         136
        .size:           4
        .value_kind:     hidden_block_count_z
      - .offset:         140
        .size:           2
        .value_kind:     hidden_group_size_x
      - .offset:         142
        .size:           2
        .value_kind:     hidden_group_size_y
      - .offset:         144
        .size:           2
        .value_kind:     hidden_group_size_z
      - .offset:         146
        .size:           2
        .value_kind:     hidden_remainder_x
      - .offset:         148
        .size:           2
        .value_kind:     hidden_remainder_y
      - .offset:         150
        .size:           2
        .value_kind:     hidden_remainder_z
      - .offset:         168
        .size:           8
        .value_kind:     hidden_global_offset_x
      - .offset:         176
        .size:           8
        .value_kind:     hidden_global_offset_y
      - .offset:         184
        .size:           8
        .value_kind:     hidden_global_offset_z
      - .offset:         192
        .size:           2
        .value_kind:     hidden_grid_dims
      - .offset:         248
        .size:           4
        .value_kind:     hidden_dynamic_lds_size
    .group_segment_fixed_size: 256
    .kernarg_segment_align: 8
    .kernarg_segment_size: 384
    .language:       OpenCL C
    .language_version:
      - 2
      - 0
    .max_flat_workgroup_size: 1024
    .name:           _ZN4vllm25paged_attention_v1_kernelI14__hip_bfloat16S1_Li112ELi8ELi128ELNS_18Fp8KVCacheDataTypeE0ELb1EEEvPT_PKS3_PKT0_S9_ifPKiSB_iPKfiiiSD_SD_iiiii
    .private_segment_fixed_size: 0
    .sgpr_count:     55
    .sgpr_spill_count: 0
    .symbol:         _ZN4vllm25paged_attention_v1_kernelI14__hip_bfloat16S1_Li112ELi8ELi128ELNS_18Fp8KVCacheDataTypeE0ELb1EEEvPT_PKS3_PKT0_S9_ifPKiSB_iPKfiiiSD_SD_iiiii.kd
    .uniform_work_group_size: 1
    .uses_dynamic_stack: false
    .vgpr_count:     63
    .vgpr_spill_count: 0
    .wavefront_size: 32
    .workgroup_processor_mode: 1
  - .args:
      - .actual_access:  write_only
        .address_space:  global
        .offset:         0
        .size:           8
        .value_kind:     global_buffer
      - .actual_access:  read_only
        .address_space:  global
        .offset:         8
        .size:           8
        .value_kind:     global_buffer
      - .actual_access:  read_only
        .address_space:  global
        .offset:         16
        .size:           8
        .value_kind:     global_buffer
      - .actual_access:  read_only
        .address_space:  global
        .offset:         24
        .size:           8
        .value_kind:     global_buffer
      - .offset:         32
        .size:           4
        .value_kind:     by_value
      - .offset:         36
        .size:           4
        .value_kind:     by_value
      - .actual_access:  read_only
        .address_space:  global
        .offset:         40
        .size:           8
        .value_kind:     global_buffer
      - .actual_access:  read_only
        .address_space:  global
        .offset:         48
        .size:           8
        .value_kind:     global_buffer
      - .offset:         56
        .size:           4
        .value_kind:     by_value
      - .actual_access:  read_only
        .address_space:  global
        .offset:         64
        .size:           8
        .value_kind:     global_buffer
      - .offset:         72
        .size:           4
        .value_kind:     by_value
      - .offset:         76
        .size:           4
        .value_kind:     by_value
      - .offset:         80
        .size:           4
        .value_kind:     by_value
      - .address_space:  global
        .offset:         88
        .size:           8
        .value_kind:     global_buffer
      - .address_space:  global
        .offset:         96
        .size:           8
        .value_kind:     global_buffer
      - .offset:         104
        .size:           4
        .value_kind:     by_value
      - .offset:         108
        .size:           4
        .value_kind:     by_value
      - .offset:         112
        .size:           4
        .value_kind:     by_value
      - .offset:         116
        .size:           4
        .value_kind:     by_value
      - .offset:         120
        .size:           4
        .value_kind:     by_value
      - .offset:         128
        .size:           4
        .value_kind:     hidden_block_count_x
      - .offset:         132
        .size:           4
        .value_kind:     hidden_block_count_y
      - .offset:         136
        .size:           4
        .value_kind:     hidden_block_count_z
      - .offset:         140
        .size:           2
        .value_kind:     hidden_group_size_x
      - .offset:         142
        .size:           2
        .value_kind:     hidden_group_size_y
      - .offset:         144
        .size:           2
        .value_kind:     hidden_group_size_z
      - .offset:         146
        .size:           2
        .value_kind:     hidden_remainder_x
      - .offset:         148
        .size:           2
        .value_kind:     hidden_remainder_y
      - .offset:         150
        .size:           2
        .value_kind:     hidden_remainder_z
      - .offset:         168
        .size:           8
        .value_kind:     hidden_global_offset_x
      - .offset:         176
        .size:           8
        .value_kind:     hidden_global_offset_y
      - .offset:         184
        .size:           8
        .value_kind:     hidden_global_offset_z
      - .offset:         192
        .size:           2
        .value_kind:     hidden_grid_dims
      - .offset:         248
        .size:           4
        .value_kind:     hidden_dynamic_lds_size
    .group_segment_fixed_size: 272
    .kernarg_segment_align: 8
    .kernarg_segment_size: 384
    .language:       OpenCL C
    .language_version:
      - 2
      - 0
    .max_flat_workgroup_size: 1024
    .name:           _ZN4vllm25paged_attention_v1_kernelI14__hip_bfloat16S1_Li120ELi8ELi128ELNS_18Fp8KVCacheDataTypeE0ELb1EEEvPT_PKS3_PKT0_S9_ifPKiSB_iPKfiiiSD_SD_iiiii
    .private_segment_fixed_size: 0
    .sgpr_count:     55
    .sgpr_spill_count: 0
    .symbol:         _ZN4vllm25paged_attention_v1_kernelI14__hip_bfloat16S1_Li120ELi8ELi128ELNS_18Fp8KVCacheDataTypeE0ELb1EEEvPT_PKS3_PKT0_S9_ifPKiSB_iPKfiiiSD_SD_iiiii.kd
    .uniform_work_group_size: 1
    .uses_dynamic_stack: false
    .vgpr_count:     67
    .vgpr_spill_count: 0
    .wavefront_size: 32
    .workgroup_processor_mode: 1
  - .args:
      - .actual_access:  write_only
        .address_space:  global
        .offset:         0
        .size:           8
        .value_kind:     global_buffer
      - .actual_access:  read_only
        .address_space:  global
        .offset:         8
        .size:           8
        .value_kind:     global_buffer
      - .actual_access:  read_only
        .address_space:  global
        .offset:         16
        .size:           8
        .value_kind:     global_buffer
      - .actual_access:  read_only
        .address_space:  global
        .offset:         24
        .size:           8
        .value_kind:     global_buffer
      - .offset:         32
        .size:           4
        .value_kind:     by_value
      - .offset:         36
        .size:           4
        .value_kind:     by_value
      - .actual_access:  read_only
        .address_space:  global
        .offset:         40
        .size:           8
        .value_kind:     global_buffer
      - .actual_access:  read_only
        .address_space:  global
        .offset:         48
        .size:           8
        .value_kind:     global_buffer
      - .offset:         56
        .size:           4
        .value_kind:     by_value
      - .actual_access:  read_only
        .address_space:  global
        .offset:         64
        .size:           8
        .value_kind:     global_buffer
      - .offset:         72
        .size:           4
        .value_kind:     by_value
      - .offset:         76
        .size:           4
        .value_kind:     by_value
      - .offset:         80
        .size:           4
        .value_kind:     by_value
      - .address_space:  global
        .offset:         88
        .size:           8
        .value_kind:     global_buffer
      - .address_space:  global
        .offset:         96
        .size:           8
        .value_kind:     global_buffer
      - .offset:         104
        .size:           4
        .value_kind:     by_value
      - .offset:         108
        .size:           4
        .value_kind:     by_value
      - .offset:         112
        .size:           4
        .value_kind:     by_value
      - .offset:         116
        .size:           4
        .value_kind:     by_value
      - .offset:         120
        .size:           4
        .value_kind:     by_value
      - .offset:         128
        .size:           4
        .value_kind:     hidden_block_count_x
      - .offset:         132
        .size:           4
        .value_kind:     hidden_block_count_y
      - .offset:         136
        .size:           4
        .value_kind:     hidden_block_count_z
      - .offset:         140
        .size:           2
        .value_kind:     hidden_group_size_x
      - .offset:         142
        .size:           2
        .value_kind:     hidden_group_size_y
      - .offset:         144
        .size:           2
        .value_kind:     hidden_group_size_z
      - .offset:         146
        .size:           2
        .value_kind:     hidden_remainder_x
      - .offset:         148
        .size:           2
        .value_kind:     hidden_remainder_y
      - .offset:         150
        .size:           2
        .value_kind:     hidden_remainder_z
      - .offset:         168
        .size:           8
        .value_kind:     hidden_global_offset_x
      - .offset:         176
        .size:           8
        .value_kind:     hidden_global_offset_y
      - .offset:         184
        .size:           8
        .value_kind:     hidden_global_offset_z
      - .offset:         192
        .size:           2
        .value_kind:     hidden_grid_dims
      - .offset:         248
        .size:           4
        .value_kind:     hidden_dynamic_lds_size
    .group_segment_fixed_size: 288
    .kernarg_segment_align: 8
    .kernarg_segment_size: 384
    .language:       OpenCL C
    .language_version:
      - 2
      - 0
    .max_flat_workgroup_size: 1024
    .name:           _ZN4vllm25paged_attention_v1_kernelI14__hip_bfloat16S1_Li128ELi8ELi128ELNS_18Fp8KVCacheDataTypeE0ELb1EEEvPT_PKS3_PKT0_S9_ifPKiSB_iPKfiiiSD_SD_iiiii
    .private_segment_fixed_size: 0
    .sgpr_count:     40
    .sgpr_spill_count: 0
    .symbol:         _ZN4vllm25paged_attention_v1_kernelI14__hip_bfloat16S1_Li128ELi8ELi128ELNS_18Fp8KVCacheDataTypeE0ELb1EEEvPT_PKS3_PKT0_S9_ifPKiSB_iPKfiiiSD_SD_iiiii.kd
    .uniform_work_group_size: 1
    .uses_dynamic_stack: false
    .vgpr_count:     68
    .vgpr_spill_count: 0
    .wavefront_size: 32
    .workgroup_processor_mode: 1
  - .args:
      - .actual_access:  write_only
        .address_space:  global
        .offset:         0
        .size:           8
        .value_kind:     global_buffer
      - .actual_access:  read_only
        .address_space:  global
        .offset:         8
        .size:           8
        .value_kind:     global_buffer
      - .actual_access:  read_only
        .address_space:  global
        .offset:         16
        .size:           8
        .value_kind:     global_buffer
      - .actual_access:  read_only
        .address_space:  global
        .offset:         24
        .size:           8
        .value_kind:     global_buffer
      - .offset:         32
        .size:           4
        .value_kind:     by_value
      - .offset:         36
        .size:           4
        .value_kind:     by_value
      - .actual_access:  read_only
        .address_space:  global
        .offset:         40
        .size:           8
        .value_kind:     global_buffer
      - .actual_access:  read_only
        .address_space:  global
        .offset:         48
        .size:           8
        .value_kind:     global_buffer
      - .offset:         56
        .size:           4
        .value_kind:     by_value
      - .actual_access:  read_only
        .address_space:  global
        .offset:         64
        .size:           8
        .value_kind:     global_buffer
      - .offset:         72
        .size:           4
        .value_kind:     by_value
      - .offset:         76
        .size:           4
        .value_kind:     by_value
      - .offset:         80
        .size:           4
        .value_kind:     by_value
      - .address_space:  global
        .offset:         88
        .size:           8
        .value_kind:     global_buffer
      - .address_space:  global
        .offset:         96
        .size:           8
        .value_kind:     global_buffer
      - .offset:         104
        .size:           4
        .value_kind:     by_value
      - .offset:         108
        .size:           4
        .value_kind:     by_value
      - .offset:         112
        .size:           4
        .value_kind:     by_value
      - .offset:         116
        .size:           4
        .value_kind:     by_value
      - .offset:         120
        .size:           4
        .value_kind:     by_value
      - .offset:         128
        .size:           4
        .value_kind:     hidden_block_count_x
      - .offset:         132
        .size:           4
        .value_kind:     hidden_block_count_y
      - .offset:         136
        .size:           4
        .value_kind:     hidden_block_count_z
      - .offset:         140
        .size:           2
        .value_kind:     hidden_group_size_x
      - .offset:         142
        .size:           2
        .value_kind:     hidden_group_size_y
      - .offset:         144
        .size:           2
        .value_kind:     hidden_group_size_z
      - .offset:         146
        .size:           2
        .value_kind:     hidden_remainder_x
      - .offset:         148
        .size:           2
        .value_kind:     hidden_remainder_y
      - .offset:         150
        .size:           2
        .value_kind:     hidden_remainder_z
      - .offset:         168
        .size:           8
        .value_kind:     hidden_global_offset_x
      - .offset:         176
        .size:           8
        .value_kind:     hidden_global_offset_y
      - .offset:         184
        .size:           8
        .value_kind:     hidden_global_offset_z
      - .offset:         192
        .size:           2
        .value_kind:     hidden_grid_dims
      - .offset:         248
        .size:           4
        .value_kind:     hidden_dynamic_lds_size
    .group_segment_fixed_size: 416
    .kernarg_segment_align: 8
    .kernarg_segment_size: 384
    .language:       OpenCL C
    .language_version:
      - 2
      - 0
    .max_flat_workgroup_size: 1024
    .name:           _ZN4vllm25paged_attention_v1_kernelI14__hip_bfloat16S1_Li192ELi8ELi128ELNS_18Fp8KVCacheDataTypeE0ELb1EEEvPT_PKS3_PKT0_S9_ifPKiSB_iPKfiiiSD_SD_iiiii
    .private_segment_fixed_size: 0
    .sgpr_count:     40
    .sgpr_spill_count: 0
    .symbol:         _ZN4vllm25paged_attention_v1_kernelI14__hip_bfloat16S1_Li192ELi8ELi128ELNS_18Fp8KVCacheDataTypeE0ELb1EEEvPT_PKS3_PKT0_S9_ifPKiSB_iPKfiiiSD_SD_iiiii.kd
    .uniform_work_group_size: 1
    .uses_dynamic_stack: false
    .vgpr_count:     84
    .vgpr_spill_count: 0
    .wavefront_size: 32
    .workgroup_processor_mode: 1
  - .args:
      - .actual_access:  write_only
        .address_space:  global
        .offset:         0
        .size:           8
        .value_kind:     global_buffer
      - .actual_access:  read_only
        .address_space:  global
        .offset:         8
        .size:           8
        .value_kind:     global_buffer
      - .actual_access:  read_only
        .address_space:  global
        .offset:         16
        .size:           8
        .value_kind:     global_buffer
      - .actual_access:  read_only
        .address_space:  global
        .offset:         24
        .size:           8
        .value_kind:     global_buffer
      - .offset:         32
        .size:           4
        .value_kind:     by_value
      - .offset:         36
        .size:           4
        .value_kind:     by_value
      - .actual_access:  read_only
        .address_space:  global
        .offset:         40
        .size:           8
        .value_kind:     global_buffer
      - .actual_access:  read_only
        .address_space:  global
        .offset:         48
        .size:           8
        .value_kind:     global_buffer
      - .offset:         56
        .size:           4
        .value_kind:     by_value
      - .actual_access:  read_only
        .address_space:  global
        .offset:         64
        .size:           8
        .value_kind:     global_buffer
      - .offset:         72
        .size:           4
        .value_kind:     by_value
      - .offset:         76
        .size:           4
        .value_kind:     by_value
      - .offset:         80
        .size:           4
        .value_kind:     by_value
      - .address_space:  global
        .offset:         88
        .size:           8
        .value_kind:     global_buffer
      - .address_space:  global
        .offset:         96
        .size:           8
        .value_kind:     global_buffer
      - .offset:         104
        .size:           4
        .value_kind:     by_value
      - .offset:         108
        .size:           4
        .value_kind:     by_value
      - .offset:         112
        .size:           4
        .value_kind:     by_value
      - .offset:         116
        .size:           4
        .value_kind:     by_value
      - .offset:         120
        .size:           4
        .value_kind:     by_value
      - .offset:         128
        .size:           4
        .value_kind:     hidden_block_count_x
      - .offset:         132
        .size:           4
        .value_kind:     hidden_block_count_y
      - .offset:         136
        .size:           4
        .value_kind:     hidden_block_count_z
      - .offset:         140
        .size:           2
        .value_kind:     hidden_group_size_x
      - .offset:         142
        .size:           2
        .value_kind:     hidden_group_size_y
      - .offset:         144
        .size:           2
        .value_kind:     hidden_group_size_z
      - .offset:         146
        .size:           2
        .value_kind:     hidden_remainder_x
      - .offset:         148
        .size:           2
        .value_kind:     hidden_remainder_y
      - .offset:         150
        .size:           2
        .value_kind:     hidden_remainder_z
      - .offset:         168
        .size:           8
        .value_kind:     hidden_global_offset_x
      - .offset:         176
        .size:           8
        .value_kind:     hidden_global_offset_y
      - .offset:         184
        .size:           8
        .value_kind:     hidden_global_offset_z
      - .offset:         192
        .size:           2
        .value_kind:     hidden_grid_dims
      - .offset:         248
        .size:           4
        .value_kind:     hidden_dynamic_lds_size
    .group_segment_fixed_size: 544
    .kernarg_segment_align: 8
    .kernarg_segment_size: 384
    .language:       OpenCL C
    .language_version:
      - 2
      - 0
    .max_flat_workgroup_size: 1024
    .name:           _ZN4vllm25paged_attention_v1_kernelI14__hip_bfloat16S1_Li256ELi8ELi128ELNS_18Fp8KVCacheDataTypeE0ELb1EEEvPT_PKS3_PKT0_S9_ifPKiSB_iPKfiiiSD_SD_iiiii
    .private_segment_fixed_size: 0
    .sgpr_count:     40
    .sgpr_spill_count: 0
    .symbol:         _ZN4vllm25paged_attention_v1_kernelI14__hip_bfloat16S1_Li256ELi8ELi128ELNS_18Fp8KVCacheDataTypeE0ELb1EEEvPT_PKS3_PKT0_S9_ifPKiSB_iPKfiiiSD_SD_iiiii.kd
    .uniform_work_group_size: 1
    .uses_dynamic_stack: false
    .vgpr_count:     95
    .vgpr_spill_count: 0
    .wavefront_size: 32
    .workgroup_processor_mode: 1
  - .args:
      - .actual_access:  write_only
        .address_space:  global
        .offset:         0
        .size:           8
        .value_kind:     global_buffer
      - .actual_access:  read_only
        .address_space:  global
        .offset:         8
        .size:           8
        .value_kind:     global_buffer
      - .actual_access:  read_only
        .address_space:  global
        .offset:         16
        .size:           8
        .value_kind:     global_buffer
      - .actual_access:  read_only
        .address_space:  global
        .offset:         24
        .size:           8
        .value_kind:     global_buffer
      - .offset:         32
        .size:           4
        .value_kind:     by_value
      - .offset:         36
        .size:           4
        .value_kind:     by_value
      - .actual_access:  read_only
        .address_space:  global
        .offset:         40
        .size:           8
        .value_kind:     global_buffer
      - .actual_access:  read_only
        .address_space:  global
        .offset:         48
        .size:           8
        .value_kind:     global_buffer
      - .offset:         56
        .size:           4
        .value_kind:     by_value
      - .actual_access:  read_only
        .address_space:  global
        .offset:         64
        .size:           8
        .value_kind:     global_buffer
      - .offset:         72
        .size:           4
        .value_kind:     by_value
      - .offset:         76
        .size:           4
        .value_kind:     by_value
      - .offset:         80
        .size:           4
        .value_kind:     by_value
      - .address_space:  global
        .offset:         88
        .size:           8
        .value_kind:     global_buffer
      - .address_space:  global
        .offset:         96
        .size:           8
        .value_kind:     global_buffer
      - .offset:         104
        .size:           4
        .value_kind:     by_value
      - .offset:         108
        .size:           4
        .value_kind:     by_value
      - .offset:         112
        .size:           4
        .value_kind:     by_value
      - .offset:         116
        .size:           4
        .value_kind:     by_value
      - .offset:         120
        .size:           4
        .value_kind:     by_value
      - .offset:         128
        .size:           4
        .value_kind:     hidden_block_count_x
      - .offset:         132
        .size:           4
        .value_kind:     hidden_block_count_y
      - .offset:         136
        .size:           4
        .value_kind:     hidden_block_count_z
      - .offset:         140
        .size:           2
        .value_kind:     hidden_group_size_x
      - .offset:         142
        .size:           2
        .value_kind:     hidden_group_size_y
      - .offset:         144
        .size:           2
        .value_kind:     hidden_group_size_z
      - .offset:         146
        .size:           2
        .value_kind:     hidden_remainder_x
      - .offset:         148
        .size:           2
        .value_kind:     hidden_remainder_y
      - .offset:         150
        .size:           2
        .value_kind:     hidden_remainder_z
      - .offset:         168
        .size:           8
        .value_kind:     hidden_global_offset_x
      - .offset:         176
        .size:           8
        .value_kind:     hidden_global_offset_y
      - .offset:         184
        .size:           8
        .value_kind:     hidden_global_offset_z
      - .offset:         192
        .size:           2
        .value_kind:     hidden_grid_dims
      - .offset:         248
        .size:           4
        .value_kind:     hidden_dynamic_lds_size
    .group_segment_fixed_size: 96
    .kernarg_segment_align: 8
    .kernarg_segment_size: 384
    .language:       OpenCL C
    .language_version:
      - 2
      - 0
    .max_flat_workgroup_size: 1024
    .name:           _ZN4vllm25paged_attention_v1_kernelI14__hip_bfloat16S1_Li32ELi8ELi128ELNS_18Fp8KVCacheDataTypeE0ELb0EEEvPT_PKS3_PKT0_S9_ifPKiSB_iPKfiiiSD_SD_iiiii
    .private_segment_fixed_size: 0
    .sgpr_count:     29
    .sgpr_spill_count: 0
    .symbol:         _ZN4vllm25paged_attention_v1_kernelI14__hip_bfloat16S1_Li32ELi8ELi128ELNS_18Fp8KVCacheDataTypeE0ELb0EEEvPT_PKS3_PKT0_S9_ifPKiSB_iPKfiiiSD_SD_iiiii.kd
    .uniform_work_group_size: 1
    .uses_dynamic_stack: false
    .vgpr_count:     31
    .vgpr_spill_count: 0
    .wavefront_size: 32
    .workgroup_processor_mode: 1
  - .args:
      - .actual_access:  write_only
        .address_space:  global
        .offset:         0
        .size:           8
        .value_kind:     global_buffer
      - .actual_access:  read_only
        .address_space:  global
        .offset:         8
        .size:           8
        .value_kind:     global_buffer
      - .actual_access:  read_only
        .address_space:  global
        .offset:         16
        .size:           8
        .value_kind:     global_buffer
      - .actual_access:  read_only
        .address_space:  global
        .offset:         24
        .size:           8
        .value_kind:     global_buffer
      - .offset:         32
        .size:           4
        .value_kind:     by_value
      - .offset:         36
        .size:           4
        .value_kind:     by_value
      - .actual_access:  read_only
        .address_space:  global
        .offset:         40
        .size:           8
        .value_kind:     global_buffer
      - .actual_access:  read_only
        .address_space:  global
        .offset:         48
        .size:           8
        .value_kind:     global_buffer
      - .offset:         56
        .size:           4
        .value_kind:     by_value
      - .actual_access:  read_only
        .address_space:  global
        .offset:         64
        .size:           8
        .value_kind:     global_buffer
      - .offset:         72
        .size:           4
        .value_kind:     by_value
      - .offset:         76
        .size:           4
        .value_kind:     by_value
      - .offset:         80
        .size:           4
        .value_kind:     by_value
      - .address_space:  global
        .offset:         88
        .size:           8
        .value_kind:     global_buffer
      - .address_space:  global
        .offset:         96
        .size:           8
        .value_kind:     global_buffer
      - .offset:         104
        .size:           4
        .value_kind:     by_value
      - .offset:         108
        .size:           4
        .value_kind:     by_value
      - .offset:         112
        .size:           4
        .value_kind:     by_value
      - .offset:         116
        .size:           4
        .value_kind:     by_value
      - .offset:         120
        .size:           4
        .value_kind:     by_value
      - .offset:         128
        .size:           4
        .value_kind:     hidden_block_count_x
      - .offset:         132
        .size:           4
        .value_kind:     hidden_block_count_y
      - .offset:         136
        .size:           4
        .value_kind:     hidden_block_count_z
      - .offset:         140
        .size:           2
        .value_kind:     hidden_group_size_x
      - .offset:         142
        .size:           2
        .value_kind:     hidden_group_size_y
      - .offset:         144
        .size:           2
        .value_kind:     hidden_group_size_z
      - .offset:         146
        .size:           2
        .value_kind:     hidden_remainder_x
      - .offset:         148
        .size:           2
        .value_kind:     hidden_remainder_y
      - .offset:         150
        .size:           2
        .value_kind:     hidden_remainder_z
      - .offset:         168
        .size:           8
        .value_kind:     hidden_global_offset_x
      - .offset:         176
        .size:           8
        .value_kind:     hidden_global_offset_y
      - .offset:         184
        .size:           8
        .value_kind:     hidden_global_offset_z
      - .offset:         192
        .size:           2
        .value_kind:     hidden_grid_dims
      - .offset:         248
        .size:           4
        .value_kind:     hidden_dynamic_lds_size
    .group_segment_fixed_size: 160
    .kernarg_segment_align: 8
    .kernarg_segment_size: 384
    .language:       OpenCL C
    .language_version:
      - 2
      - 0
    .max_flat_workgroup_size: 1024
    .name:           _ZN4vllm25paged_attention_v1_kernelI14__hip_bfloat16S1_Li64ELi8ELi128ELNS_18Fp8KVCacheDataTypeE0ELb0EEEvPT_PKS3_PKT0_S9_ifPKiSB_iPKfiiiSD_SD_iiiii
    .private_segment_fixed_size: 0
    .sgpr_count:     32
    .sgpr_spill_count: 0
    .symbol:         _ZN4vllm25paged_attention_v1_kernelI14__hip_bfloat16S1_Li64ELi8ELi128ELNS_18Fp8KVCacheDataTypeE0ELb0EEEvPT_PKS3_PKT0_S9_ifPKiSB_iPKfiiiSD_SD_iiiii.kd
    .uniform_work_group_size: 1
    .uses_dynamic_stack: false
    .vgpr_count:     43
    .vgpr_spill_count: 0
    .wavefront_size: 32
    .workgroup_processor_mode: 1
  - .args:
      - .actual_access:  write_only
        .address_space:  global
        .offset:         0
        .size:           8
        .value_kind:     global_buffer
      - .actual_access:  read_only
        .address_space:  global
        .offset:         8
        .size:           8
        .value_kind:     global_buffer
      - .actual_access:  read_only
        .address_space:  global
        .offset:         16
        .size:           8
        .value_kind:     global_buffer
      - .actual_access:  read_only
        .address_space:  global
        .offset:         24
        .size:           8
        .value_kind:     global_buffer
      - .offset:         32
        .size:           4
        .value_kind:     by_value
      - .offset:         36
        .size:           4
        .value_kind:     by_value
      - .actual_access:  read_only
        .address_space:  global
        .offset:         40
        .size:           8
        .value_kind:     global_buffer
      - .actual_access:  read_only
        .address_space:  global
        .offset:         48
        .size:           8
        .value_kind:     global_buffer
      - .offset:         56
        .size:           4
        .value_kind:     by_value
      - .actual_access:  read_only
        .address_space:  global
        .offset:         64
        .size:           8
        .value_kind:     global_buffer
      - .offset:         72
        .size:           4
        .value_kind:     by_value
      - .offset:         76
        .size:           4
        .value_kind:     by_value
      - .offset:         80
        .size:           4
        .value_kind:     by_value
      - .address_space:  global
        .offset:         88
        .size:           8
        .value_kind:     global_buffer
      - .address_space:  global
        .offset:         96
        .size:           8
        .value_kind:     global_buffer
      - .offset:         104
        .size:           4
        .value_kind:     by_value
      - .offset:         108
        .size:           4
        .value_kind:     by_value
      - .offset:         112
        .size:           4
        .value_kind:     by_value
      - .offset:         116
        .size:           4
        .value_kind:     by_value
      - .offset:         120
        .size:           4
        .value_kind:     by_value
      - .offset:         128
        .size:           4
        .value_kind:     hidden_block_count_x
      - .offset:         132
        .size:           4
        .value_kind:     hidden_block_count_y
      - .offset:         136
        .size:           4
        .value_kind:     hidden_block_count_z
      - .offset:         140
        .size:           2
        .value_kind:     hidden_group_size_x
      - .offset:         142
        .size:           2
        .value_kind:     hidden_group_size_y
      - .offset:         144
        .size:           2
        .value_kind:     hidden_group_size_z
      - .offset:         146
        .size:           2
        .value_kind:     hidden_remainder_x
      - .offset:         148
        .size:           2
        .value_kind:     hidden_remainder_y
      - .offset:         150
        .size:           2
        .value_kind:     hidden_remainder_z
      - .offset:         168
        .size:           8
        .value_kind:     hidden_global_offset_x
      - .offset:         176
        .size:           8
        .value_kind:     hidden_global_offset_y
      - .offset:         184
        .size:           8
        .value_kind:     hidden_global_offset_z
      - .offset:         192
        .size:           2
        .value_kind:     hidden_grid_dims
      - .offset:         248
        .size:           4
        .value_kind:     hidden_dynamic_lds_size
    .group_segment_fixed_size: 192
    .kernarg_segment_align: 8
    .kernarg_segment_size: 384
    .language:       OpenCL C
    .language_version:
      - 2
      - 0
    .max_flat_workgroup_size: 1024
    .name:           _ZN4vllm25paged_attention_v1_kernelI14__hip_bfloat16S1_Li80ELi8ELi128ELNS_18Fp8KVCacheDataTypeE0ELb0EEEvPT_PKS3_PKT0_S9_ifPKiSB_iPKfiiiSD_SD_iiiii
    .private_segment_fixed_size: 0
    .sgpr_count:     29
    .sgpr_spill_count: 0
    .symbol:         _ZN4vllm25paged_attention_v1_kernelI14__hip_bfloat16S1_Li80ELi8ELi128ELNS_18Fp8KVCacheDataTypeE0ELb0EEEvPT_PKS3_PKT0_S9_ifPKiSB_iPKfiiiSD_SD_iiiii.kd
    .uniform_work_group_size: 1
    .uses_dynamic_stack: false
    .vgpr_count:     49
    .vgpr_spill_count: 0
    .wavefront_size: 32
    .workgroup_processor_mode: 1
  - .args:
      - .actual_access:  write_only
        .address_space:  global
        .offset:         0
        .size:           8
        .value_kind:     global_buffer
      - .actual_access:  read_only
        .address_space:  global
        .offset:         8
        .size:           8
        .value_kind:     global_buffer
      - .actual_access:  read_only
        .address_space:  global
        .offset:         16
        .size:           8
        .value_kind:     global_buffer
      - .actual_access:  read_only
        .address_space:  global
        .offset:         24
        .size:           8
        .value_kind:     global_buffer
      - .offset:         32
        .size:           4
        .value_kind:     by_value
      - .offset:         36
        .size:           4
        .value_kind:     by_value
      - .actual_access:  read_only
        .address_space:  global
        .offset:         40
        .size:           8
        .value_kind:     global_buffer
      - .actual_access:  read_only
        .address_space:  global
        .offset:         48
        .size:           8
        .value_kind:     global_buffer
      - .offset:         56
        .size:           4
        .value_kind:     by_value
      - .actual_access:  read_only
        .address_space:  global
        .offset:         64
        .size:           8
        .value_kind:     global_buffer
      - .offset:         72
        .size:           4
        .value_kind:     by_value
      - .offset:         76
        .size:           4
        .value_kind:     by_value
      - .offset:         80
        .size:           4
        .value_kind:     by_value
      - .address_space:  global
        .offset:         88
        .size:           8
        .value_kind:     global_buffer
      - .address_space:  global
        .offset:         96
        .size:           8
        .value_kind:     global_buffer
      - .offset:         104
        .size:           4
        .value_kind:     by_value
      - .offset:         108
        .size:           4
        .value_kind:     by_value
      - .offset:         112
        .size:           4
        .value_kind:     by_value
      - .offset:         116
        .size:           4
        .value_kind:     by_value
      - .offset:         120
        .size:           4
        .value_kind:     by_value
      - .offset:         128
        .size:           4
        .value_kind:     hidden_block_count_x
      - .offset:         132
        .size:           4
        .value_kind:     hidden_block_count_y
      - .offset:         136
        .size:           4
        .value_kind:     hidden_block_count_z
      - .offset:         140
        .size:           2
        .value_kind:     hidden_group_size_x
      - .offset:         142
        .size:           2
        .value_kind:     hidden_group_size_y
      - .offset:         144
        .size:           2
        .value_kind:     hidden_group_size_z
      - .offset:         146
        .size:           2
        .value_kind:     hidden_remainder_x
      - .offset:         148
        .size:           2
        .value_kind:     hidden_remainder_y
      - .offset:         150
        .size:           2
        .value_kind:     hidden_remainder_z
      - .offset:         168
        .size:           8
        .value_kind:     hidden_global_offset_x
      - .offset:         176
        .size:           8
        .value_kind:     hidden_global_offset_y
      - .offset:         184
        .size:           8
        .value_kind:     hidden_global_offset_z
      - .offset:         192
        .size:           2
        .value_kind:     hidden_grid_dims
      - .offset:         248
        .size:           4
        .value_kind:     hidden_dynamic_lds_size
    .group_segment_fixed_size: 224
    .kernarg_segment_align: 8
    .kernarg_segment_size: 384
    .language:       OpenCL C
    .language_version:
      - 2
      - 0
    .max_flat_workgroup_size: 1024
    .name:           _ZN4vllm25paged_attention_v1_kernelI14__hip_bfloat16S1_Li96ELi8ELi128ELNS_18Fp8KVCacheDataTypeE0ELb0EEEvPT_PKS3_PKT0_S9_ifPKiSB_iPKfiiiSD_SD_iiiii
    .private_segment_fixed_size: 0
    .sgpr_count:     29
    .sgpr_spill_count: 0
    .symbol:         _ZN4vllm25paged_attention_v1_kernelI14__hip_bfloat16S1_Li96ELi8ELi128ELNS_18Fp8KVCacheDataTypeE0ELb0EEEvPT_PKS3_PKT0_S9_ifPKiSB_iPKfiiiSD_SD_iiiii.kd
    .uniform_work_group_size: 1
    .uses_dynamic_stack: false
    .vgpr_count:     55
    .vgpr_spill_count: 0
    .wavefront_size: 32
    .workgroup_processor_mode: 1
  - .args:
      - .actual_access:  write_only
        .address_space:  global
        .offset:         0
        .size:           8
        .value_kind:     global_buffer
      - .actual_access:  read_only
        .address_space:  global
        .offset:         8
        .size:           8
        .value_kind:     global_buffer
      - .actual_access:  read_only
        .address_space:  global
        .offset:         16
        .size:           8
        .value_kind:     global_buffer
      - .actual_access:  read_only
        .address_space:  global
        .offset:         24
        .size:           8
        .value_kind:     global_buffer
      - .offset:         32
        .size:           4
        .value_kind:     by_value
      - .offset:         36
        .size:           4
        .value_kind:     by_value
      - .actual_access:  read_only
        .address_space:  global
        .offset:         40
        .size:           8
        .value_kind:     global_buffer
      - .actual_access:  read_only
        .address_space:  global
        .offset:         48
        .size:           8
        .value_kind:     global_buffer
      - .offset:         56
        .size:           4
        .value_kind:     by_value
      - .actual_access:  read_only
        .address_space:  global
        .offset:         64
        .size:           8
        .value_kind:     global_buffer
      - .offset:         72
        .size:           4
        .value_kind:     by_value
      - .offset:         76
        .size:           4
        .value_kind:     by_value
      - .offset:         80
        .size:           4
        .value_kind:     by_value
      - .address_space:  global
        .offset:         88
        .size:           8
        .value_kind:     global_buffer
      - .address_space:  global
        .offset:         96
        .size:           8
        .value_kind:     global_buffer
      - .offset:         104
        .size:           4
        .value_kind:     by_value
      - .offset:         108
        .size:           4
        .value_kind:     by_value
      - .offset:         112
        .size:           4
        .value_kind:     by_value
      - .offset:         116
        .size:           4
        .value_kind:     by_value
      - .offset:         120
        .size:           4
        .value_kind:     by_value
      - .offset:         128
        .size:           4
        .value_kind:     hidden_block_count_x
      - .offset:         132
        .size:           4
        .value_kind:     hidden_block_count_y
      - .offset:         136
        .size:           4
        .value_kind:     hidden_block_count_z
      - .offset:         140
        .size:           2
        .value_kind:     hidden_group_size_x
      - .offset:         142
        .size:           2
        .value_kind:     hidden_group_size_y
      - .offset:         144
        .size:           2
        .value_kind:     hidden_group_size_z
      - .offset:         146
        .size:           2
        .value_kind:     hidden_remainder_x
      - .offset:         148
        .size:           2
        .value_kind:     hidden_remainder_y
      - .offset:         150
        .size:           2
        .value_kind:     hidden_remainder_z
      - .offset:         168
        .size:           8
        .value_kind:     hidden_global_offset_x
      - .offset:         176
        .size:           8
        .value_kind:     hidden_global_offset_y
      - .offset:         184
        .size:           8
        .value_kind:     hidden_global_offset_z
      - .offset:         192
        .size:           2
        .value_kind:     hidden_grid_dims
      - .offset:         248
        .size:           4
        .value_kind:     hidden_dynamic_lds_size
    .group_segment_fixed_size: 256
    .kernarg_segment_align: 8
    .kernarg_segment_size: 384
    .language:       OpenCL C
    .language_version:
      - 2
      - 0
    .max_flat_workgroup_size: 1024
    .name:           _ZN4vllm25paged_attention_v1_kernelI14__hip_bfloat16S1_Li112ELi8ELi128ELNS_18Fp8KVCacheDataTypeE0ELb0EEEvPT_PKS3_PKT0_S9_ifPKiSB_iPKfiiiSD_SD_iiiii
    .private_segment_fixed_size: 0
    .sgpr_count:     29
    .sgpr_spill_count: 0
    .symbol:         _ZN4vllm25paged_attention_v1_kernelI14__hip_bfloat16S1_Li112ELi8ELi128ELNS_18Fp8KVCacheDataTypeE0ELb0EEEvPT_PKS3_PKT0_S9_ifPKiSB_iPKfiiiSD_SD_iiiii.kd
    .uniform_work_group_size: 1
    .uses_dynamic_stack: false
    .vgpr_count:     61
    .vgpr_spill_count: 0
    .wavefront_size: 32
    .workgroup_processor_mode: 1
  - .args:
      - .actual_access:  write_only
        .address_space:  global
        .offset:         0
        .size:           8
        .value_kind:     global_buffer
      - .actual_access:  read_only
        .address_space:  global
        .offset:         8
        .size:           8
        .value_kind:     global_buffer
      - .actual_access:  read_only
        .address_space:  global
        .offset:         16
        .size:           8
        .value_kind:     global_buffer
      - .actual_access:  read_only
        .address_space:  global
        .offset:         24
        .size:           8
        .value_kind:     global_buffer
      - .offset:         32
        .size:           4
        .value_kind:     by_value
      - .offset:         36
        .size:           4
        .value_kind:     by_value
      - .actual_access:  read_only
        .address_space:  global
        .offset:         40
        .size:           8
        .value_kind:     global_buffer
      - .actual_access:  read_only
        .address_space:  global
        .offset:         48
        .size:           8
        .value_kind:     global_buffer
      - .offset:         56
        .size:           4
        .value_kind:     by_value
      - .actual_access:  read_only
        .address_space:  global
        .offset:         64
        .size:           8
        .value_kind:     global_buffer
      - .offset:         72
        .size:           4
        .value_kind:     by_value
      - .offset:         76
        .size:           4
        .value_kind:     by_value
      - .offset:         80
        .size:           4
        .value_kind:     by_value
      - .address_space:  global
        .offset:         88
        .size:           8
        .value_kind:     global_buffer
      - .address_space:  global
        .offset:         96
        .size:           8
        .value_kind:     global_buffer
      - .offset:         104
        .size:           4
        .value_kind:     by_value
      - .offset:         108
        .size:           4
        .value_kind:     by_value
      - .offset:         112
        .size:           4
        .value_kind:     by_value
      - .offset:         116
        .size:           4
        .value_kind:     by_value
      - .offset:         120
        .size:           4
        .value_kind:     by_value
      - .offset:         128
        .size:           4
        .value_kind:     hidden_block_count_x
      - .offset:         132
        .size:           4
        .value_kind:     hidden_block_count_y
      - .offset:         136
        .size:           4
        .value_kind:     hidden_block_count_z
      - .offset:         140
        .size:           2
        .value_kind:     hidden_group_size_x
      - .offset:         142
        .size:           2
        .value_kind:     hidden_group_size_y
      - .offset:         144
        .size:           2
        .value_kind:     hidden_group_size_z
      - .offset:         146
        .size:           2
        .value_kind:     hidden_remainder_x
      - .offset:         148
        .size:           2
        .value_kind:     hidden_remainder_y
      - .offset:         150
        .size:           2
        .value_kind:     hidden_remainder_z
      - .offset:         168
        .size:           8
        .value_kind:     hidden_global_offset_x
      - .offset:         176
        .size:           8
        .value_kind:     hidden_global_offset_y
      - .offset:         184
        .size:           8
        .value_kind:     hidden_global_offset_z
      - .offset:         192
        .size:           2
        .value_kind:     hidden_grid_dims
      - .offset:         248
        .size:           4
        .value_kind:     hidden_dynamic_lds_size
    .group_segment_fixed_size: 272
    .kernarg_segment_align: 8
    .kernarg_segment_size: 384
    .language:       OpenCL C
    .language_version:
      - 2
      - 0
    .max_flat_workgroup_size: 1024
    .name:           _ZN4vllm25paged_attention_v1_kernelI14__hip_bfloat16S1_Li120ELi8ELi128ELNS_18Fp8KVCacheDataTypeE0ELb0EEEvPT_PKS3_PKT0_S9_ifPKiSB_iPKfiiiSD_SD_iiiii
    .private_segment_fixed_size: 0
    .sgpr_count:     29
    .sgpr_spill_count: 0
    .symbol:         _ZN4vllm25paged_attention_v1_kernelI14__hip_bfloat16S1_Li120ELi8ELi128ELNS_18Fp8KVCacheDataTypeE0ELb0EEEvPT_PKS3_PKT0_S9_ifPKiSB_iPKfiiiSD_SD_iiiii.kd
    .uniform_work_group_size: 1
    .uses_dynamic_stack: false
    .vgpr_count:     64
    .vgpr_spill_count: 0
    .wavefront_size: 32
    .workgroup_processor_mode: 1
  - .args:
      - .actual_access:  write_only
        .address_space:  global
        .offset:         0
        .size:           8
        .value_kind:     global_buffer
      - .actual_access:  read_only
        .address_space:  global
        .offset:         8
        .size:           8
        .value_kind:     global_buffer
      - .actual_access:  read_only
        .address_space:  global
        .offset:         16
        .size:           8
        .value_kind:     global_buffer
      - .actual_access:  read_only
        .address_space:  global
        .offset:         24
        .size:           8
        .value_kind:     global_buffer
      - .offset:         32
        .size:           4
        .value_kind:     by_value
      - .offset:         36
        .size:           4
        .value_kind:     by_value
      - .actual_access:  read_only
        .address_space:  global
        .offset:         40
        .size:           8
        .value_kind:     global_buffer
      - .actual_access:  read_only
        .address_space:  global
        .offset:         48
        .size:           8
        .value_kind:     global_buffer
      - .offset:         56
        .size:           4
        .value_kind:     by_value
      - .actual_access:  read_only
        .address_space:  global
        .offset:         64
        .size:           8
        .value_kind:     global_buffer
      - .offset:         72
        .size:           4
        .value_kind:     by_value
      - .offset:         76
        .size:           4
        .value_kind:     by_value
      - .offset:         80
        .size:           4
        .value_kind:     by_value
      - .address_space:  global
        .offset:         88
        .size:           8
        .value_kind:     global_buffer
      - .address_space:  global
        .offset:         96
        .size:           8
        .value_kind:     global_buffer
      - .offset:         104
        .size:           4
        .value_kind:     by_value
      - .offset:         108
        .size:           4
        .value_kind:     by_value
      - .offset:         112
        .size:           4
        .value_kind:     by_value
      - .offset:         116
        .size:           4
        .value_kind:     by_value
      - .offset:         120
        .size:           4
        .value_kind:     by_value
      - .offset:         128
        .size:           4
        .value_kind:     hidden_block_count_x
      - .offset:         132
        .size:           4
        .value_kind:     hidden_block_count_y
      - .offset:         136
        .size:           4
        .value_kind:     hidden_block_count_z
      - .offset:         140
        .size:           2
        .value_kind:     hidden_group_size_x
      - .offset:         142
        .size:           2
        .value_kind:     hidden_group_size_y
      - .offset:         144
        .size:           2
        .value_kind:     hidden_group_size_z
      - .offset:         146
        .size:           2
        .value_kind:     hidden_remainder_x
      - .offset:         148
        .size:           2
        .value_kind:     hidden_remainder_y
      - .offset:         150
        .size:           2
        .value_kind:     hidden_remainder_z
      - .offset:         168
        .size:           8
        .value_kind:     hidden_global_offset_x
      - .offset:         176
        .size:           8
        .value_kind:     hidden_global_offset_y
      - .offset:         184
        .size:           8
        .value_kind:     hidden_global_offset_z
      - .offset:         192
        .size:           2
        .value_kind:     hidden_grid_dims
      - .offset:         248
        .size:           4
        .value_kind:     hidden_dynamic_lds_size
    .group_segment_fixed_size: 288
    .kernarg_segment_align: 8
    .kernarg_segment_size: 384
    .language:       OpenCL C
    .language_version:
      - 2
      - 0
    .max_flat_workgroup_size: 1024
    .name:           _ZN4vllm25paged_attention_v1_kernelI14__hip_bfloat16S1_Li128ELi8ELi128ELNS_18Fp8KVCacheDataTypeE0ELb0EEEvPT_PKS3_PKT0_S9_ifPKiSB_iPKfiiiSD_SD_iiiii
    .private_segment_fixed_size: 0
    .sgpr_count:     32
    .sgpr_spill_count: 0
    .symbol:         _ZN4vllm25paged_attention_v1_kernelI14__hip_bfloat16S1_Li128ELi8ELi128ELNS_18Fp8KVCacheDataTypeE0ELb0EEEvPT_PKS3_PKT0_S9_ifPKiSB_iPKfiiiSD_SD_iiiii.kd
    .uniform_work_group_size: 1
    .uses_dynamic_stack: false
    .vgpr_count:     67
    .vgpr_spill_count: 0
    .wavefront_size: 32
    .workgroup_processor_mode: 1
  - .args:
      - .actual_access:  write_only
        .address_space:  global
        .offset:         0
        .size:           8
        .value_kind:     global_buffer
      - .actual_access:  read_only
        .address_space:  global
        .offset:         8
        .size:           8
        .value_kind:     global_buffer
      - .actual_access:  read_only
        .address_space:  global
        .offset:         16
        .size:           8
        .value_kind:     global_buffer
      - .actual_access:  read_only
        .address_space:  global
        .offset:         24
        .size:           8
        .value_kind:     global_buffer
      - .offset:         32
        .size:           4
        .value_kind:     by_value
      - .offset:         36
        .size:           4
        .value_kind:     by_value
      - .actual_access:  read_only
        .address_space:  global
        .offset:         40
        .size:           8
        .value_kind:     global_buffer
      - .actual_access:  read_only
        .address_space:  global
        .offset:         48
        .size:           8
        .value_kind:     global_buffer
      - .offset:         56
        .size:           4
        .value_kind:     by_value
      - .actual_access:  read_only
        .address_space:  global
        .offset:         64
        .size:           8
        .value_kind:     global_buffer
      - .offset:         72
        .size:           4
        .value_kind:     by_value
      - .offset:         76
        .size:           4
        .value_kind:     by_value
      - .offset:         80
        .size:           4
        .value_kind:     by_value
      - .address_space:  global
        .offset:         88
        .size:           8
        .value_kind:     global_buffer
      - .address_space:  global
        .offset:         96
        .size:           8
        .value_kind:     global_buffer
      - .offset:         104
        .size:           4
        .value_kind:     by_value
      - .offset:         108
        .size:           4
        .value_kind:     by_value
      - .offset:         112
        .size:           4
        .value_kind:     by_value
      - .offset:         116
        .size:           4
        .value_kind:     by_value
      - .offset:         120
        .size:           4
        .value_kind:     by_value
      - .offset:         128
        .size:           4
        .value_kind:     hidden_block_count_x
      - .offset:         132
        .size:           4
        .value_kind:     hidden_block_count_y
      - .offset:         136
        .size:           4
        .value_kind:     hidden_block_count_z
      - .offset:         140
        .size:           2
        .value_kind:     hidden_group_size_x
      - .offset:         142
        .size:           2
        .value_kind:     hidden_group_size_y
      - .offset:         144
        .size:           2
        .value_kind:     hidden_group_size_z
      - .offset:         146
        .size:           2
        .value_kind:     hidden_remainder_x
      - .offset:         148
        .size:           2
        .value_kind:     hidden_remainder_y
      - .offset:         150
        .size:           2
        .value_kind:     hidden_remainder_z
      - .offset:         168
        .size:           8
        .value_kind:     hidden_global_offset_x
      - .offset:         176
        .size:           8
        .value_kind:     hidden_global_offset_y
      - .offset:         184
        .size:           8
        .value_kind:     hidden_global_offset_z
      - .offset:         192
        .size:           2
        .value_kind:     hidden_grid_dims
      - .offset:         248
        .size:           4
        .value_kind:     hidden_dynamic_lds_size
    .group_segment_fixed_size: 416
    .kernarg_segment_align: 8
    .kernarg_segment_size: 384
    .language:       OpenCL C
    .language_version:
      - 2
      - 0
    .max_flat_workgroup_size: 1024
    .name:           _ZN4vllm25paged_attention_v1_kernelI14__hip_bfloat16S1_Li192ELi8ELi128ELNS_18Fp8KVCacheDataTypeE0ELb0EEEvPT_PKS3_PKT0_S9_ifPKiSB_iPKfiiiSD_SD_iiiii
    .private_segment_fixed_size: 0
    .sgpr_count:     29
    .sgpr_spill_count: 0
    .symbol:         _ZN4vllm25paged_attention_v1_kernelI14__hip_bfloat16S1_Li192ELi8ELi128ELNS_18Fp8KVCacheDataTypeE0ELb0EEEvPT_PKS3_PKT0_S9_ifPKiSB_iPKfiiiSD_SD_iiiii.kd
    .uniform_work_group_size: 1
    .uses_dynamic_stack: false
    .vgpr_count:     91
    .vgpr_spill_count: 0
    .wavefront_size: 32
    .workgroup_processor_mode: 1
  - .args:
      - .actual_access:  write_only
        .address_space:  global
        .offset:         0
        .size:           8
        .value_kind:     global_buffer
      - .actual_access:  read_only
        .address_space:  global
        .offset:         8
        .size:           8
        .value_kind:     global_buffer
      - .actual_access:  read_only
        .address_space:  global
        .offset:         16
        .size:           8
        .value_kind:     global_buffer
      - .actual_access:  read_only
        .address_space:  global
        .offset:         24
        .size:           8
        .value_kind:     global_buffer
      - .offset:         32
        .size:           4
        .value_kind:     by_value
      - .offset:         36
        .size:           4
        .value_kind:     by_value
      - .actual_access:  read_only
        .address_space:  global
        .offset:         40
        .size:           8
        .value_kind:     global_buffer
      - .actual_access:  read_only
        .address_space:  global
        .offset:         48
        .size:           8
        .value_kind:     global_buffer
      - .offset:         56
        .size:           4
        .value_kind:     by_value
      - .actual_access:  read_only
        .address_space:  global
        .offset:         64
        .size:           8
        .value_kind:     global_buffer
      - .offset:         72
        .size:           4
        .value_kind:     by_value
      - .offset:         76
        .size:           4
        .value_kind:     by_value
      - .offset:         80
        .size:           4
        .value_kind:     by_value
      - .address_space:  global
        .offset:         88
        .size:           8
        .value_kind:     global_buffer
      - .address_space:  global
        .offset:         96
        .size:           8
        .value_kind:     global_buffer
      - .offset:         104
        .size:           4
        .value_kind:     by_value
      - .offset:         108
        .size:           4
        .value_kind:     by_value
      - .offset:         112
        .size:           4
        .value_kind:     by_value
      - .offset:         116
        .size:           4
        .value_kind:     by_value
      - .offset:         120
        .size:           4
        .value_kind:     by_value
      - .offset:         128
        .size:           4
        .value_kind:     hidden_block_count_x
      - .offset:         132
        .size:           4
        .value_kind:     hidden_block_count_y
      - .offset:         136
        .size:           4
        .value_kind:     hidden_block_count_z
      - .offset:         140
        .size:           2
        .value_kind:     hidden_group_size_x
      - .offset:         142
        .size:           2
        .value_kind:     hidden_group_size_y
      - .offset:         144
        .size:           2
        .value_kind:     hidden_group_size_z
      - .offset:         146
        .size:           2
        .value_kind:     hidden_remainder_x
      - .offset:         148
        .size:           2
        .value_kind:     hidden_remainder_y
      - .offset:         150
        .size:           2
        .value_kind:     hidden_remainder_z
      - .offset:         168
        .size:           8
        .value_kind:     hidden_global_offset_x
      - .offset:         176
        .size:           8
        .value_kind:     hidden_global_offset_y
      - .offset:         184
        .size:           8
        .value_kind:     hidden_global_offset_z
      - .offset:         192
        .size:           2
        .value_kind:     hidden_grid_dims
      - .offset:         248
        .size:           4
        .value_kind:     hidden_dynamic_lds_size
    .group_segment_fixed_size: 544
    .kernarg_segment_align: 8
    .kernarg_segment_size: 384
    .language:       OpenCL C
    .language_version:
      - 2
      - 0
    .max_flat_workgroup_size: 1024
    .name:           _ZN4vllm25paged_attention_v1_kernelI14__hip_bfloat16S1_Li256ELi8ELi128ELNS_18Fp8KVCacheDataTypeE0ELb0EEEvPT_PKS3_PKT0_S9_ifPKiSB_iPKfiiiSD_SD_iiiii
    .private_segment_fixed_size: 0
    .sgpr_count:     29
    .sgpr_spill_count: 0
    .symbol:         _ZN4vllm25paged_attention_v1_kernelI14__hip_bfloat16S1_Li256ELi8ELi128ELNS_18Fp8KVCacheDataTypeE0ELb0EEEvPT_PKS3_PKT0_S9_ifPKiSB_iPKfiiiSD_SD_iiiii.kd
    .uniform_work_group_size: 1
    .uses_dynamic_stack: false
    .vgpr_count:     115
    .vgpr_spill_count: 0
    .wavefront_size: 32
    .workgroup_processor_mode: 1
  - .args:
      - .actual_access:  write_only
        .address_space:  global
        .offset:         0
        .size:           8
        .value_kind:     global_buffer
      - .actual_access:  read_only
        .address_space:  global
        .offset:         8
        .size:           8
        .value_kind:     global_buffer
      - .actual_access:  read_only
        .address_space:  global
        .offset:         16
        .size:           8
        .value_kind:     global_buffer
      - .actual_access:  read_only
        .address_space:  global
        .offset:         24
        .size:           8
        .value_kind:     global_buffer
      - .offset:         32
        .size:           4
        .value_kind:     by_value
      - .offset:         36
        .size:           4
        .value_kind:     by_value
      - .actual_access:  read_only
        .address_space:  global
        .offset:         40
        .size:           8
        .value_kind:     global_buffer
      - .actual_access:  read_only
        .address_space:  global
        .offset:         48
        .size:           8
        .value_kind:     global_buffer
      - .offset:         56
        .size:           4
        .value_kind:     by_value
      - .actual_access:  read_only
        .address_space:  global
        .offset:         64
        .size:           8
        .value_kind:     global_buffer
      - .offset:         72
        .size:           4
        .value_kind:     by_value
      - .offset:         76
        .size:           4
        .value_kind:     by_value
      - .offset:         80
        .size:           4
        .value_kind:     by_value
      - .address_space:  global
        .offset:         88
        .size:           8
        .value_kind:     global_buffer
      - .address_space:  global
        .offset:         96
        .size:           8
        .value_kind:     global_buffer
      - .offset:         104
        .size:           4
        .value_kind:     by_value
      - .offset:         108
        .size:           4
        .value_kind:     by_value
      - .offset:         112
        .size:           4
        .value_kind:     by_value
      - .offset:         116
        .size:           4
        .value_kind:     by_value
      - .offset:         120
        .size:           4
        .value_kind:     by_value
      - .offset:         128
        .size:           4
        .value_kind:     hidden_block_count_x
      - .offset:         132
        .size:           4
        .value_kind:     hidden_block_count_y
      - .offset:         136
        .size:           4
        .value_kind:     hidden_block_count_z
      - .offset:         140
        .size:           2
        .value_kind:     hidden_group_size_x
      - .offset:         142
        .size:           2
        .value_kind:     hidden_group_size_y
      - .offset:         144
        .size:           2
        .value_kind:     hidden_group_size_z
      - .offset:         146
        .size:           2
        .value_kind:     hidden_remainder_x
      - .offset:         148
        .size:           2
        .value_kind:     hidden_remainder_y
      - .offset:         150
        .size:           2
        .value_kind:     hidden_remainder_z
      - .offset:         168
        .size:           8
        .value_kind:     hidden_global_offset_x
      - .offset:         176
        .size:           8
        .value_kind:     hidden_global_offset_y
      - .offset:         184
        .size:           8
        .value_kind:     hidden_global_offset_z
      - .offset:         192
        .size:           2
        .value_kind:     hidden_grid_dims
      - .offset:         248
        .size:           4
        .value_kind:     hidden_dynamic_lds_size
    .group_segment_fixed_size: 96
    .kernarg_segment_align: 8
    .kernarg_segment_size: 384
    .language:       OpenCL C
    .language_version:
      - 2
      - 0
    .max_flat_workgroup_size: 1024
    .name:           _ZN4vllm25paged_attention_v1_kernelI14__hip_bfloat16S1_Li32ELi16ELi128ELNS_18Fp8KVCacheDataTypeE0ELb1EEEvPT_PKS3_PKT0_S9_ifPKiSB_iPKfiiiSD_SD_iiiii
    .private_segment_fixed_size: 0
    .sgpr_count:     40
    .sgpr_spill_count: 0
    .symbol:         _ZN4vllm25paged_attention_v1_kernelI14__hip_bfloat16S1_Li32ELi16ELi128ELNS_18Fp8KVCacheDataTypeE0ELb1EEEvPT_PKS3_PKT0_S9_ifPKiSB_iPKfiiiSD_SD_iiiii.kd
    .uniform_work_group_size: 1
    .uses_dynamic_stack: false
    .vgpr_count:     52
    .vgpr_spill_count: 0
    .wavefront_size: 32
    .workgroup_processor_mode: 1
  - .args:
      - .actual_access:  write_only
        .address_space:  global
        .offset:         0
        .size:           8
        .value_kind:     global_buffer
      - .actual_access:  read_only
        .address_space:  global
        .offset:         8
        .size:           8
        .value_kind:     global_buffer
      - .actual_access:  read_only
        .address_space:  global
        .offset:         16
        .size:           8
        .value_kind:     global_buffer
      - .actual_access:  read_only
        .address_space:  global
        .offset:         24
        .size:           8
        .value_kind:     global_buffer
      - .offset:         32
        .size:           4
        .value_kind:     by_value
      - .offset:         36
        .size:           4
        .value_kind:     by_value
      - .actual_access:  read_only
        .address_space:  global
        .offset:         40
        .size:           8
        .value_kind:     global_buffer
      - .actual_access:  read_only
        .address_space:  global
        .offset:         48
        .size:           8
        .value_kind:     global_buffer
      - .offset:         56
        .size:           4
        .value_kind:     by_value
      - .actual_access:  read_only
        .address_space:  global
        .offset:         64
        .size:           8
        .value_kind:     global_buffer
      - .offset:         72
        .size:           4
        .value_kind:     by_value
      - .offset:         76
        .size:           4
        .value_kind:     by_value
      - .offset:         80
        .size:           4
        .value_kind:     by_value
      - .address_space:  global
        .offset:         88
        .size:           8
        .value_kind:     global_buffer
      - .address_space:  global
        .offset:         96
        .size:           8
        .value_kind:     global_buffer
      - .offset:         104
        .size:           4
        .value_kind:     by_value
      - .offset:         108
        .size:           4
        .value_kind:     by_value
      - .offset:         112
        .size:           4
        .value_kind:     by_value
      - .offset:         116
        .size:           4
        .value_kind:     by_value
      - .offset:         120
        .size:           4
        .value_kind:     by_value
      - .offset:         128
        .size:           4
        .value_kind:     hidden_block_count_x
      - .offset:         132
        .size:           4
        .value_kind:     hidden_block_count_y
      - .offset:         136
        .size:           4
        .value_kind:     hidden_block_count_z
      - .offset:         140
        .size:           2
        .value_kind:     hidden_group_size_x
      - .offset:         142
        .size:           2
        .value_kind:     hidden_group_size_y
      - .offset:         144
        .size:           2
        .value_kind:     hidden_group_size_z
      - .offset:         146
        .size:           2
        .value_kind:     hidden_remainder_x
      - .offset:         148
        .size:           2
        .value_kind:     hidden_remainder_y
      - .offset:         150
        .size:           2
        .value_kind:     hidden_remainder_z
      - .offset:         168
        .size:           8
        .value_kind:     hidden_global_offset_x
      - .offset:         176
        .size:           8
        .value_kind:     hidden_global_offset_y
      - .offset:         184
        .size:           8
        .value_kind:     hidden_global_offset_z
      - .offset:         192
        .size:           2
        .value_kind:     hidden_grid_dims
      - .offset:         248
        .size:           4
        .value_kind:     hidden_dynamic_lds_size
    .group_segment_fixed_size: 160
    .kernarg_segment_align: 8
    .kernarg_segment_size: 384
    .language:       OpenCL C
    .language_version:
      - 2
      - 0
    .max_flat_workgroup_size: 1024
    .name:           _ZN4vllm25paged_attention_v1_kernelI14__hip_bfloat16S1_Li64ELi16ELi128ELNS_18Fp8KVCacheDataTypeE0ELb1EEEvPT_PKS3_PKT0_S9_ifPKiSB_iPKfiiiSD_SD_iiiii
    .private_segment_fixed_size: 0
    .sgpr_count:     40
    .sgpr_spill_count: 0
    .symbol:         _ZN4vllm25paged_attention_v1_kernelI14__hip_bfloat16S1_Li64ELi16ELi128ELNS_18Fp8KVCacheDataTypeE0ELb1EEEvPT_PKS3_PKT0_S9_ifPKiSB_iPKfiiiSD_SD_iiiii.kd
    .uniform_work_group_size: 1
    .uses_dynamic_stack: false
    .vgpr_count:     82
    .vgpr_spill_count: 0
    .wavefront_size: 32
    .workgroup_processor_mode: 1
  - .args:
      - .actual_access:  write_only
        .address_space:  global
        .offset:         0
        .size:           8
        .value_kind:     global_buffer
      - .actual_access:  read_only
        .address_space:  global
        .offset:         8
        .size:           8
        .value_kind:     global_buffer
      - .actual_access:  read_only
        .address_space:  global
        .offset:         16
        .size:           8
        .value_kind:     global_buffer
      - .actual_access:  read_only
        .address_space:  global
        .offset:         24
        .size:           8
        .value_kind:     global_buffer
      - .offset:         32
        .size:           4
        .value_kind:     by_value
      - .offset:         36
        .size:           4
        .value_kind:     by_value
      - .actual_access:  read_only
        .address_space:  global
        .offset:         40
        .size:           8
        .value_kind:     global_buffer
      - .actual_access:  read_only
        .address_space:  global
        .offset:         48
        .size:           8
        .value_kind:     global_buffer
      - .offset:         56
        .size:           4
        .value_kind:     by_value
      - .actual_access:  read_only
        .address_space:  global
        .offset:         64
        .size:           8
        .value_kind:     global_buffer
      - .offset:         72
        .size:           4
        .value_kind:     by_value
      - .offset:         76
        .size:           4
        .value_kind:     by_value
      - .offset:         80
        .size:           4
        .value_kind:     by_value
      - .address_space:  global
        .offset:         88
        .size:           8
        .value_kind:     global_buffer
      - .address_space:  global
        .offset:         96
        .size:           8
        .value_kind:     global_buffer
      - .offset:         104
        .size:           4
        .value_kind:     by_value
      - .offset:         108
        .size:           4
        .value_kind:     by_value
      - .offset:         112
        .size:           4
        .value_kind:     by_value
      - .offset:         116
        .size:           4
        .value_kind:     by_value
      - .offset:         120
        .size:           4
        .value_kind:     by_value
      - .offset:         128
        .size:           4
        .value_kind:     hidden_block_count_x
      - .offset:         132
        .size:           4
        .value_kind:     hidden_block_count_y
      - .offset:         136
        .size:           4
        .value_kind:     hidden_block_count_z
      - .offset:         140
        .size:           2
        .value_kind:     hidden_group_size_x
      - .offset:         142
        .size:           2
        .value_kind:     hidden_group_size_y
      - .offset:         144
        .size:           2
        .value_kind:     hidden_group_size_z
      - .offset:         146
        .size:           2
        .value_kind:     hidden_remainder_x
      - .offset:         148
        .size:           2
        .value_kind:     hidden_remainder_y
      - .offset:         150
        .size:           2
        .value_kind:     hidden_remainder_z
      - .offset:         168
        .size:           8
        .value_kind:     hidden_global_offset_x
      - .offset:         176
        .size:           8
        .value_kind:     hidden_global_offset_y
      - .offset:         184
        .size:           8
        .value_kind:     hidden_global_offset_z
      - .offset:         192
        .size:           2
        .value_kind:     hidden_grid_dims
      - .offset:         248
        .size:           4
        .value_kind:     hidden_dynamic_lds_size
    .group_segment_fixed_size: 192
    .kernarg_segment_align: 8
    .kernarg_segment_size: 384
    .language:       OpenCL C
    .language_version:
      - 2
      - 0
    .max_flat_workgroup_size: 1024
    .name:           _ZN4vllm25paged_attention_v1_kernelI14__hip_bfloat16S1_Li80ELi16ELi128ELNS_18Fp8KVCacheDataTypeE0ELb1EEEvPT_PKS3_PKT0_S9_ifPKiSB_iPKfiiiSD_SD_iiiii
    .private_segment_fixed_size: 0
    .sgpr_count:     40
    .sgpr_spill_count: 0
    .symbol:         _ZN4vllm25paged_attention_v1_kernelI14__hip_bfloat16S1_Li80ELi16ELi128ELNS_18Fp8KVCacheDataTypeE0ELb1EEEvPT_PKS3_PKT0_S9_ifPKiSB_iPKfiiiSD_SD_iiiii.kd
    .uniform_work_group_size: 1
    .uses_dynamic_stack: false
    .vgpr_count:     91
    .vgpr_spill_count: 0
    .wavefront_size: 32
    .workgroup_processor_mode: 1
  - .args:
      - .actual_access:  write_only
        .address_space:  global
        .offset:         0
        .size:           8
        .value_kind:     global_buffer
      - .actual_access:  read_only
        .address_space:  global
        .offset:         8
        .size:           8
        .value_kind:     global_buffer
      - .actual_access:  read_only
        .address_space:  global
        .offset:         16
        .size:           8
        .value_kind:     global_buffer
      - .actual_access:  read_only
        .address_space:  global
        .offset:         24
        .size:           8
        .value_kind:     global_buffer
      - .offset:         32
        .size:           4
        .value_kind:     by_value
      - .offset:         36
        .size:           4
        .value_kind:     by_value
      - .actual_access:  read_only
        .address_space:  global
        .offset:         40
        .size:           8
        .value_kind:     global_buffer
      - .actual_access:  read_only
        .address_space:  global
        .offset:         48
        .size:           8
        .value_kind:     global_buffer
      - .offset:         56
        .size:           4
        .value_kind:     by_value
      - .actual_access:  read_only
        .address_space:  global
        .offset:         64
        .size:           8
        .value_kind:     global_buffer
      - .offset:         72
        .size:           4
        .value_kind:     by_value
      - .offset:         76
        .size:           4
        .value_kind:     by_value
      - .offset:         80
        .size:           4
        .value_kind:     by_value
      - .address_space:  global
        .offset:         88
        .size:           8
        .value_kind:     global_buffer
      - .address_space:  global
        .offset:         96
        .size:           8
        .value_kind:     global_buffer
      - .offset:         104
        .size:           4
        .value_kind:     by_value
      - .offset:         108
        .size:           4
        .value_kind:     by_value
      - .offset:         112
        .size:           4
        .value_kind:     by_value
      - .offset:         116
        .size:           4
        .value_kind:     by_value
      - .offset:         120
        .size:           4
        .value_kind:     by_value
      - .offset:         128
        .size:           4
        .value_kind:     hidden_block_count_x
      - .offset:         132
        .size:           4
        .value_kind:     hidden_block_count_y
      - .offset:         136
        .size:           4
        .value_kind:     hidden_block_count_z
      - .offset:         140
        .size:           2
        .value_kind:     hidden_group_size_x
      - .offset:         142
        .size:           2
        .value_kind:     hidden_group_size_y
      - .offset:         144
        .size:           2
        .value_kind:     hidden_group_size_z
      - .offset:         146
        .size:           2
        .value_kind:     hidden_remainder_x
      - .offset:         148
        .size:           2
        .value_kind:     hidden_remainder_y
      - .offset:         150
        .size:           2
        .value_kind:     hidden_remainder_z
      - .offset:         168
        .size:           8
        .value_kind:     hidden_global_offset_x
      - .offset:         176
        .size:           8
        .value_kind:     hidden_global_offset_y
      - .offset:         184
        .size:           8
        .value_kind:     hidden_global_offset_z
      - .offset:         192
        .size:           2
        .value_kind:     hidden_grid_dims
      - .offset:         248
        .size:           4
        .value_kind:     hidden_dynamic_lds_size
    .group_segment_fixed_size: 224
    .kernarg_segment_align: 8
    .kernarg_segment_size: 384
    .language:       OpenCL C
    .language_version:
      - 2
      - 0
    .max_flat_workgroup_size: 1024
    .name:           _ZN4vllm25paged_attention_v1_kernelI14__hip_bfloat16S1_Li96ELi16ELi128ELNS_18Fp8KVCacheDataTypeE0ELb1EEEvPT_PKS3_PKT0_S9_ifPKiSB_iPKfiiiSD_SD_iiiii
    .private_segment_fixed_size: 0
    .sgpr_count:     40
    .sgpr_spill_count: 0
    .symbol:         _ZN4vllm25paged_attention_v1_kernelI14__hip_bfloat16S1_Li96ELi16ELi128ELNS_18Fp8KVCacheDataTypeE0ELb1EEEvPT_PKS3_PKT0_S9_ifPKiSB_iPKfiiiSD_SD_iiiii.kd
    .uniform_work_group_size: 1
    .uses_dynamic_stack: false
    .vgpr_count:     91
    .vgpr_spill_count: 0
    .wavefront_size: 32
    .workgroup_processor_mode: 1
  - .args:
      - .actual_access:  write_only
        .address_space:  global
        .offset:         0
        .size:           8
        .value_kind:     global_buffer
      - .actual_access:  read_only
        .address_space:  global
        .offset:         8
        .size:           8
        .value_kind:     global_buffer
      - .actual_access:  read_only
        .address_space:  global
        .offset:         16
        .size:           8
        .value_kind:     global_buffer
      - .actual_access:  read_only
        .address_space:  global
        .offset:         24
        .size:           8
        .value_kind:     global_buffer
      - .offset:         32
        .size:           4
        .value_kind:     by_value
      - .offset:         36
        .size:           4
        .value_kind:     by_value
      - .actual_access:  read_only
        .address_space:  global
        .offset:         40
        .size:           8
        .value_kind:     global_buffer
      - .actual_access:  read_only
        .address_space:  global
        .offset:         48
        .size:           8
        .value_kind:     global_buffer
      - .offset:         56
        .size:           4
        .value_kind:     by_value
      - .actual_access:  read_only
        .address_space:  global
        .offset:         64
        .size:           8
        .value_kind:     global_buffer
      - .offset:         72
        .size:           4
        .value_kind:     by_value
      - .offset:         76
        .size:           4
        .value_kind:     by_value
      - .offset:         80
        .size:           4
        .value_kind:     by_value
      - .address_space:  global
        .offset:         88
        .size:           8
        .value_kind:     global_buffer
      - .address_space:  global
        .offset:         96
        .size:           8
        .value_kind:     global_buffer
      - .offset:         104
        .size:           4
        .value_kind:     by_value
      - .offset:         108
        .size:           4
        .value_kind:     by_value
      - .offset:         112
        .size:           4
        .value_kind:     by_value
      - .offset:         116
        .size:           4
        .value_kind:     by_value
      - .offset:         120
        .size:           4
        .value_kind:     by_value
      - .offset:         128
        .size:           4
        .value_kind:     hidden_block_count_x
      - .offset:         132
        .size:           4
        .value_kind:     hidden_block_count_y
      - .offset:         136
        .size:           4
        .value_kind:     hidden_block_count_z
      - .offset:         140
        .size:           2
        .value_kind:     hidden_group_size_x
      - .offset:         142
        .size:           2
        .value_kind:     hidden_group_size_y
      - .offset:         144
        .size:           2
        .value_kind:     hidden_group_size_z
      - .offset:         146
        .size:           2
        .value_kind:     hidden_remainder_x
      - .offset:         148
        .size:           2
        .value_kind:     hidden_remainder_y
      - .offset:         150
        .size:           2
        .value_kind:     hidden_remainder_z
      - .offset:         168
        .size:           8
        .value_kind:     hidden_global_offset_x
      - .offset:         176
        .size:           8
        .value_kind:     hidden_global_offset_y
      - .offset:         184
        .size:           8
        .value_kind:     hidden_global_offset_z
      - .offset:         192
        .size:           2
        .value_kind:     hidden_grid_dims
      - .offset:         248
        .size:           4
        .value_kind:     hidden_dynamic_lds_size
    .group_segment_fixed_size: 256
    .kernarg_segment_align: 8
    .kernarg_segment_size: 384
    .language:       OpenCL C
    .language_version:
      - 2
      - 0
    .max_flat_workgroup_size: 1024
    .name:           _ZN4vllm25paged_attention_v1_kernelI14__hip_bfloat16S1_Li112ELi16ELi128ELNS_18Fp8KVCacheDataTypeE0ELb1EEEvPT_PKS3_PKT0_S9_ifPKiSB_iPKfiiiSD_SD_iiiii
    .private_segment_fixed_size: 0
    .sgpr_count:     40
    .sgpr_spill_count: 0
    .symbol:         _ZN4vllm25paged_attention_v1_kernelI14__hip_bfloat16S1_Li112ELi16ELi128ELNS_18Fp8KVCacheDataTypeE0ELb1EEEvPT_PKS3_PKT0_S9_ifPKiSB_iPKfiiiSD_SD_iiiii.kd
    .uniform_work_group_size: 1
    .uses_dynamic_stack: false
    .vgpr_count:     105
    .vgpr_spill_count: 0
    .wavefront_size: 32
    .workgroup_processor_mode: 1
  - .args:
      - .actual_access:  write_only
        .address_space:  global
        .offset:         0
        .size:           8
        .value_kind:     global_buffer
      - .actual_access:  read_only
        .address_space:  global
        .offset:         8
        .size:           8
        .value_kind:     global_buffer
      - .actual_access:  read_only
        .address_space:  global
        .offset:         16
        .size:           8
        .value_kind:     global_buffer
      - .actual_access:  read_only
        .address_space:  global
        .offset:         24
        .size:           8
        .value_kind:     global_buffer
      - .offset:         32
        .size:           4
        .value_kind:     by_value
      - .offset:         36
        .size:           4
        .value_kind:     by_value
      - .actual_access:  read_only
        .address_space:  global
        .offset:         40
        .size:           8
        .value_kind:     global_buffer
      - .actual_access:  read_only
        .address_space:  global
        .offset:         48
        .size:           8
        .value_kind:     global_buffer
      - .offset:         56
        .size:           4
        .value_kind:     by_value
      - .actual_access:  read_only
        .address_space:  global
        .offset:         64
        .size:           8
        .value_kind:     global_buffer
      - .offset:         72
        .size:           4
        .value_kind:     by_value
      - .offset:         76
        .size:           4
        .value_kind:     by_value
      - .offset:         80
        .size:           4
        .value_kind:     by_value
      - .address_space:  global
        .offset:         88
        .size:           8
        .value_kind:     global_buffer
      - .address_space:  global
        .offset:         96
        .size:           8
        .value_kind:     global_buffer
      - .offset:         104
        .size:           4
        .value_kind:     by_value
      - .offset:         108
        .size:           4
        .value_kind:     by_value
      - .offset:         112
        .size:           4
        .value_kind:     by_value
      - .offset:         116
        .size:           4
        .value_kind:     by_value
      - .offset:         120
        .size:           4
        .value_kind:     by_value
      - .offset:         128
        .size:           4
        .value_kind:     hidden_block_count_x
      - .offset:         132
        .size:           4
        .value_kind:     hidden_block_count_y
      - .offset:         136
        .size:           4
        .value_kind:     hidden_block_count_z
      - .offset:         140
        .size:           2
        .value_kind:     hidden_group_size_x
      - .offset:         142
        .size:           2
        .value_kind:     hidden_group_size_y
      - .offset:         144
        .size:           2
        .value_kind:     hidden_group_size_z
      - .offset:         146
        .size:           2
        .value_kind:     hidden_remainder_x
      - .offset:         148
        .size:           2
        .value_kind:     hidden_remainder_y
      - .offset:         150
        .size:           2
        .value_kind:     hidden_remainder_z
      - .offset:         168
        .size:           8
        .value_kind:     hidden_global_offset_x
      - .offset:         176
        .size:           8
        .value_kind:     hidden_global_offset_y
      - .offset:         184
        .size:           8
        .value_kind:     hidden_global_offset_z
      - .offset:         192
        .size:           2
        .value_kind:     hidden_grid_dims
      - .offset:         248
        .size:           4
        .value_kind:     hidden_dynamic_lds_size
    .group_segment_fixed_size: 272
    .kernarg_segment_align: 8
    .kernarg_segment_size: 384
    .language:       OpenCL C
    .language_version:
      - 2
      - 0
    .max_flat_workgroup_size: 1024
    .name:           _ZN4vllm25paged_attention_v1_kernelI14__hip_bfloat16S1_Li120ELi16ELi128ELNS_18Fp8KVCacheDataTypeE0ELb1EEEvPT_PKS3_PKT0_S9_ifPKiSB_iPKfiiiSD_SD_iiiii
    .private_segment_fixed_size: 0
    .sgpr_count:     40
    .sgpr_spill_count: 0
    .symbol:         _ZN4vllm25paged_attention_v1_kernelI14__hip_bfloat16S1_Li120ELi16ELi128ELNS_18Fp8KVCacheDataTypeE0ELb1EEEvPT_PKS3_PKT0_S9_ifPKiSB_iPKfiiiSD_SD_iiiii.kd
    .uniform_work_group_size: 1
    .uses_dynamic_stack: false
    .vgpr_count:     111
    .vgpr_spill_count: 0
    .wavefront_size: 32
    .workgroup_processor_mode: 1
  - .args:
      - .actual_access:  write_only
        .address_space:  global
        .offset:         0
        .size:           8
        .value_kind:     global_buffer
      - .actual_access:  read_only
        .address_space:  global
        .offset:         8
        .size:           8
        .value_kind:     global_buffer
      - .actual_access:  read_only
        .address_space:  global
        .offset:         16
        .size:           8
        .value_kind:     global_buffer
      - .actual_access:  read_only
        .address_space:  global
        .offset:         24
        .size:           8
        .value_kind:     global_buffer
      - .offset:         32
        .size:           4
        .value_kind:     by_value
      - .offset:         36
        .size:           4
        .value_kind:     by_value
      - .actual_access:  read_only
        .address_space:  global
        .offset:         40
        .size:           8
        .value_kind:     global_buffer
      - .actual_access:  read_only
        .address_space:  global
        .offset:         48
        .size:           8
        .value_kind:     global_buffer
      - .offset:         56
        .size:           4
        .value_kind:     by_value
      - .actual_access:  read_only
        .address_space:  global
        .offset:         64
        .size:           8
        .value_kind:     global_buffer
      - .offset:         72
        .size:           4
        .value_kind:     by_value
      - .offset:         76
        .size:           4
        .value_kind:     by_value
      - .offset:         80
        .size:           4
        .value_kind:     by_value
      - .address_space:  global
        .offset:         88
        .size:           8
        .value_kind:     global_buffer
      - .address_space:  global
        .offset:         96
        .size:           8
        .value_kind:     global_buffer
      - .offset:         104
        .size:           4
        .value_kind:     by_value
      - .offset:         108
        .size:           4
        .value_kind:     by_value
      - .offset:         112
        .size:           4
        .value_kind:     by_value
      - .offset:         116
        .size:           4
        .value_kind:     by_value
      - .offset:         120
        .size:           4
        .value_kind:     by_value
      - .offset:         128
        .size:           4
        .value_kind:     hidden_block_count_x
      - .offset:         132
        .size:           4
        .value_kind:     hidden_block_count_y
      - .offset:         136
        .size:           4
        .value_kind:     hidden_block_count_z
      - .offset:         140
        .size:           2
        .value_kind:     hidden_group_size_x
      - .offset:         142
        .size:           2
        .value_kind:     hidden_group_size_y
      - .offset:         144
        .size:           2
        .value_kind:     hidden_group_size_z
      - .offset:         146
        .size:           2
        .value_kind:     hidden_remainder_x
      - .offset:         148
        .size:           2
        .value_kind:     hidden_remainder_y
      - .offset:         150
        .size:           2
        .value_kind:     hidden_remainder_z
      - .offset:         168
        .size:           8
        .value_kind:     hidden_global_offset_x
      - .offset:         176
        .size:           8
        .value_kind:     hidden_global_offset_y
      - .offset:         184
        .size:           8
        .value_kind:     hidden_global_offset_z
      - .offset:         192
        .size:           2
        .value_kind:     hidden_grid_dims
      - .offset:         248
        .size:           4
        .value_kind:     hidden_dynamic_lds_size
    .group_segment_fixed_size: 288
    .kernarg_segment_align: 8
    .kernarg_segment_size: 384
    .language:       OpenCL C
    .language_version:
      - 2
      - 0
    .max_flat_workgroup_size: 1024
    .name:           _ZN4vllm25paged_attention_v1_kernelI14__hip_bfloat16S1_Li128ELi16ELi128ELNS_18Fp8KVCacheDataTypeE0ELb1EEEvPT_PKS3_PKT0_S9_ifPKiSB_iPKfiiiSD_SD_iiiii
    .private_segment_fixed_size: 0
    .sgpr_count:     40
    .sgpr_spill_count: 0
    .symbol:         _ZN4vllm25paged_attention_v1_kernelI14__hip_bfloat16S1_Li128ELi16ELi128ELNS_18Fp8KVCacheDataTypeE0ELb1EEEvPT_PKS3_PKT0_S9_ifPKiSB_iPKfiiiSD_SD_iiiii.kd
    .uniform_work_group_size: 1
    .uses_dynamic_stack: false
    .vgpr_count:     116
    .vgpr_spill_count: 0
    .wavefront_size: 32
    .workgroup_processor_mode: 1
  - .args:
      - .actual_access:  write_only
        .address_space:  global
        .offset:         0
        .size:           8
        .value_kind:     global_buffer
      - .actual_access:  read_only
        .address_space:  global
        .offset:         8
        .size:           8
        .value_kind:     global_buffer
      - .actual_access:  read_only
        .address_space:  global
        .offset:         16
        .size:           8
        .value_kind:     global_buffer
      - .actual_access:  read_only
        .address_space:  global
        .offset:         24
        .size:           8
        .value_kind:     global_buffer
      - .offset:         32
        .size:           4
        .value_kind:     by_value
      - .offset:         36
        .size:           4
        .value_kind:     by_value
      - .actual_access:  read_only
        .address_space:  global
        .offset:         40
        .size:           8
        .value_kind:     global_buffer
      - .actual_access:  read_only
        .address_space:  global
        .offset:         48
        .size:           8
        .value_kind:     global_buffer
      - .offset:         56
        .size:           4
        .value_kind:     by_value
      - .actual_access:  read_only
        .address_space:  global
        .offset:         64
        .size:           8
        .value_kind:     global_buffer
      - .offset:         72
        .size:           4
        .value_kind:     by_value
      - .offset:         76
        .size:           4
        .value_kind:     by_value
      - .offset:         80
        .size:           4
        .value_kind:     by_value
      - .address_space:  global
        .offset:         88
        .size:           8
        .value_kind:     global_buffer
      - .address_space:  global
        .offset:         96
        .size:           8
        .value_kind:     global_buffer
      - .offset:         104
        .size:           4
        .value_kind:     by_value
      - .offset:         108
        .size:           4
        .value_kind:     by_value
      - .offset:         112
        .size:           4
        .value_kind:     by_value
      - .offset:         116
        .size:           4
        .value_kind:     by_value
      - .offset:         120
        .size:           4
        .value_kind:     by_value
      - .offset:         128
        .size:           4
        .value_kind:     hidden_block_count_x
      - .offset:         132
        .size:           4
        .value_kind:     hidden_block_count_y
      - .offset:         136
        .size:           4
        .value_kind:     hidden_block_count_z
      - .offset:         140
        .size:           2
        .value_kind:     hidden_group_size_x
      - .offset:         142
        .size:           2
        .value_kind:     hidden_group_size_y
      - .offset:         144
        .size:           2
        .value_kind:     hidden_group_size_z
      - .offset:         146
        .size:           2
        .value_kind:     hidden_remainder_x
      - .offset:         148
        .size:           2
        .value_kind:     hidden_remainder_y
      - .offset:         150
        .size:           2
        .value_kind:     hidden_remainder_z
      - .offset:         168
        .size:           8
        .value_kind:     hidden_global_offset_x
      - .offset:         176
        .size:           8
        .value_kind:     hidden_global_offset_y
      - .offset:         184
        .size:           8
        .value_kind:     hidden_global_offset_z
      - .offset:         192
        .size:           2
        .value_kind:     hidden_grid_dims
      - .offset:         248
        .size:           4
        .value_kind:     hidden_dynamic_lds_size
    .group_segment_fixed_size: 416
    .kernarg_segment_align: 8
    .kernarg_segment_size: 384
    .language:       OpenCL C
    .language_version:
      - 2
      - 0
    .max_flat_workgroup_size: 1024
    .name:           _ZN4vllm25paged_attention_v1_kernelI14__hip_bfloat16S1_Li192ELi16ELi128ELNS_18Fp8KVCacheDataTypeE0ELb1EEEvPT_PKS3_PKT0_S9_ifPKiSB_iPKfiiiSD_SD_iiiii
    .private_segment_fixed_size: 8
    .sgpr_count:     46
    .sgpr_spill_count: 0
    .symbol:         _ZN4vllm25paged_attention_v1_kernelI14__hip_bfloat16S1_Li192ELi16ELi128ELNS_18Fp8KVCacheDataTypeE0ELb1EEEvPT_PKS3_PKT0_S9_ifPKiSB_iPKfiiiSD_SD_iiiii.kd
    .uniform_work_group_size: 1
    .uses_dynamic_stack: false
    .vgpr_count:     128
    .vgpr_spill_count: 1
    .wavefront_size: 32
    .workgroup_processor_mode: 1
  - .args:
      - .actual_access:  write_only
        .address_space:  global
        .offset:         0
        .size:           8
        .value_kind:     global_buffer
      - .actual_access:  read_only
        .address_space:  global
        .offset:         8
        .size:           8
        .value_kind:     global_buffer
      - .actual_access:  read_only
        .address_space:  global
        .offset:         16
        .size:           8
        .value_kind:     global_buffer
      - .actual_access:  read_only
        .address_space:  global
        .offset:         24
        .size:           8
        .value_kind:     global_buffer
      - .offset:         32
        .size:           4
        .value_kind:     by_value
      - .offset:         36
        .size:           4
        .value_kind:     by_value
      - .actual_access:  read_only
        .address_space:  global
        .offset:         40
        .size:           8
        .value_kind:     global_buffer
      - .actual_access:  read_only
        .address_space:  global
        .offset:         48
        .size:           8
        .value_kind:     global_buffer
      - .offset:         56
        .size:           4
        .value_kind:     by_value
      - .actual_access:  read_only
        .address_space:  global
        .offset:         64
        .size:           8
        .value_kind:     global_buffer
      - .offset:         72
        .size:           4
        .value_kind:     by_value
      - .offset:         76
        .size:           4
        .value_kind:     by_value
      - .offset:         80
        .size:           4
        .value_kind:     by_value
      - .address_space:  global
        .offset:         88
        .size:           8
        .value_kind:     global_buffer
      - .address_space:  global
        .offset:         96
        .size:           8
        .value_kind:     global_buffer
      - .offset:         104
        .size:           4
        .value_kind:     by_value
      - .offset:         108
        .size:           4
        .value_kind:     by_value
      - .offset:         112
        .size:           4
        .value_kind:     by_value
      - .offset:         116
        .size:           4
        .value_kind:     by_value
      - .offset:         120
        .size:           4
        .value_kind:     by_value
      - .offset:         128
        .size:           4
        .value_kind:     hidden_block_count_x
      - .offset:         132
        .size:           4
        .value_kind:     hidden_block_count_y
      - .offset:         136
        .size:           4
        .value_kind:     hidden_block_count_z
      - .offset:         140
        .size:           2
        .value_kind:     hidden_group_size_x
      - .offset:         142
        .size:           2
        .value_kind:     hidden_group_size_y
      - .offset:         144
        .size:           2
        .value_kind:     hidden_group_size_z
      - .offset:         146
        .size:           2
        .value_kind:     hidden_remainder_x
      - .offset:         148
        .size:           2
        .value_kind:     hidden_remainder_y
      - .offset:         150
        .size:           2
        .value_kind:     hidden_remainder_z
      - .offset:         168
        .size:           8
        .value_kind:     hidden_global_offset_x
      - .offset:         176
        .size:           8
        .value_kind:     hidden_global_offset_y
      - .offset:         184
        .size:           8
        .value_kind:     hidden_global_offset_z
      - .offset:         192
        .size:           2
        .value_kind:     hidden_grid_dims
      - .offset:         248
        .size:           4
        .value_kind:     hidden_dynamic_lds_size
    .group_segment_fixed_size: 544
    .kernarg_segment_align: 8
    .kernarg_segment_size: 384
    .language:       OpenCL C
    .language_version:
      - 2
      - 0
    .max_flat_workgroup_size: 1024
    .name:           _ZN4vllm25paged_attention_v1_kernelI14__hip_bfloat16S1_Li256ELi16ELi128ELNS_18Fp8KVCacheDataTypeE0ELb1EEEvPT_PKS3_PKT0_S9_ifPKiSB_iPKfiiiSD_SD_iiiii
    .private_segment_fixed_size: 72
    .sgpr_count:     46
    .sgpr_spill_count: 0
    .symbol:         _ZN4vllm25paged_attention_v1_kernelI14__hip_bfloat16S1_Li256ELi16ELi128ELNS_18Fp8KVCacheDataTypeE0ELb1EEEvPT_PKS3_PKT0_S9_ifPKiSB_iPKfiiiSD_SD_iiiii.kd
    .uniform_work_group_size: 1
    .uses_dynamic_stack: false
    .vgpr_count:     128
    .vgpr_spill_count: 18
    .wavefront_size: 32
    .workgroup_processor_mode: 1
  - .args:
      - .actual_access:  write_only
        .address_space:  global
        .offset:         0
        .size:           8
        .value_kind:     global_buffer
      - .actual_access:  read_only
        .address_space:  global
        .offset:         8
        .size:           8
        .value_kind:     global_buffer
      - .actual_access:  read_only
        .address_space:  global
        .offset:         16
        .size:           8
        .value_kind:     global_buffer
      - .actual_access:  read_only
        .address_space:  global
        .offset:         24
        .size:           8
        .value_kind:     global_buffer
      - .offset:         32
        .size:           4
        .value_kind:     by_value
      - .offset:         36
        .size:           4
        .value_kind:     by_value
      - .actual_access:  read_only
        .address_space:  global
        .offset:         40
        .size:           8
        .value_kind:     global_buffer
      - .actual_access:  read_only
        .address_space:  global
        .offset:         48
        .size:           8
        .value_kind:     global_buffer
      - .offset:         56
        .size:           4
        .value_kind:     by_value
      - .actual_access:  read_only
        .address_space:  global
        .offset:         64
        .size:           8
        .value_kind:     global_buffer
      - .offset:         72
        .size:           4
        .value_kind:     by_value
      - .offset:         76
        .size:           4
        .value_kind:     by_value
      - .offset:         80
        .size:           4
        .value_kind:     by_value
      - .address_space:  global
        .offset:         88
        .size:           8
        .value_kind:     global_buffer
      - .address_space:  global
        .offset:         96
        .size:           8
        .value_kind:     global_buffer
      - .offset:         104
        .size:           4
        .value_kind:     by_value
      - .offset:         108
        .size:           4
        .value_kind:     by_value
      - .offset:         112
        .size:           4
        .value_kind:     by_value
      - .offset:         116
        .size:           4
        .value_kind:     by_value
      - .offset:         120
        .size:           4
        .value_kind:     by_value
      - .offset:         128
        .size:           4
        .value_kind:     hidden_block_count_x
      - .offset:         132
        .size:           4
        .value_kind:     hidden_block_count_y
      - .offset:         136
        .size:           4
        .value_kind:     hidden_block_count_z
      - .offset:         140
        .size:           2
        .value_kind:     hidden_group_size_x
      - .offset:         142
        .size:           2
        .value_kind:     hidden_group_size_y
      - .offset:         144
        .size:           2
        .value_kind:     hidden_group_size_z
      - .offset:         146
        .size:           2
        .value_kind:     hidden_remainder_x
      - .offset:         148
        .size:           2
        .value_kind:     hidden_remainder_y
      - .offset:         150
        .size:           2
        .value_kind:     hidden_remainder_z
      - .offset:         168
        .size:           8
        .value_kind:     hidden_global_offset_x
      - .offset:         176
        .size:           8
        .value_kind:     hidden_global_offset_y
      - .offset:         184
        .size:           8
        .value_kind:     hidden_global_offset_z
      - .offset:         192
        .size:           2
        .value_kind:     hidden_grid_dims
      - .offset:         248
        .size:           4
        .value_kind:     hidden_dynamic_lds_size
    .group_segment_fixed_size: 96
    .kernarg_segment_align: 8
    .kernarg_segment_size: 384
    .language:       OpenCL C
    .language_version:
      - 2
      - 0
    .max_flat_workgroup_size: 1024
    .name:           _ZN4vllm25paged_attention_v1_kernelI14__hip_bfloat16S1_Li32ELi16ELi128ELNS_18Fp8KVCacheDataTypeE0ELb0EEEvPT_PKS3_PKT0_S9_ifPKiSB_iPKfiiiSD_SD_iiiii
    .private_segment_fixed_size: 0
    .sgpr_count:     29
    .sgpr_spill_count: 0
    .symbol:         _ZN4vllm25paged_attention_v1_kernelI14__hip_bfloat16S1_Li32ELi16ELi128ELNS_18Fp8KVCacheDataTypeE0ELb0EEEvPT_PKS3_PKT0_S9_ifPKiSB_iPKfiiiSD_SD_iiiii.kd
    .uniform_work_group_size: 1
    .uses_dynamic_stack: false
    .vgpr_count:     49
    .vgpr_spill_count: 0
    .wavefront_size: 32
    .workgroup_processor_mode: 1
  - .args:
      - .actual_access:  write_only
        .address_space:  global
        .offset:         0
        .size:           8
        .value_kind:     global_buffer
      - .actual_access:  read_only
        .address_space:  global
        .offset:         8
        .size:           8
        .value_kind:     global_buffer
      - .actual_access:  read_only
        .address_space:  global
        .offset:         16
        .size:           8
        .value_kind:     global_buffer
      - .actual_access:  read_only
        .address_space:  global
        .offset:         24
        .size:           8
        .value_kind:     global_buffer
      - .offset:         32
        .size:           4
        .value_kind:     by_value
      - .offset:         36
        .size:           4
        .value_kind:     by_value
      - .actual_access:  read_only
        .address_space:  global
        .offset:         40
        .size:           8
        .value_kind:     global_buffer
      - .actual_access:  read_only
        .address_space:  global
        .offset:         48
        .size:           8
        .value_kind:     global_buffer
      - .offset:         56
        .size:           4
        .value_kind:     by_value
      - .actual_access:  read_only
        .address_space:  global
        .offset:         64
        .size:           8
        .value_kind:     global_buffer
      - .offset:         72
        .size:           4
        .value_kind:     by_value
      - .offset:         76
        .size:           4
        .value_kind:     by_value
      - .offset:         80
        .size:           4
        .value_kind:     by_value
      - .address_space:  global
        .offset:         88
        .size:           8
        .value_kind:     global_buffer
      - .address_space:  global
        .offset:         96
        .size:           8
        .value_kind:     global_buffer
      - .offset:         104
        .size:           4
        .value_kind:     by_value
      - .offset:         108
        .size:           4
        .value_kind:     by_value
      - .offset:         112
        .size:           4
        .value_kind:     by_value
      - .offset:         116
        .size:           4
        .value_kind:     by_value
      - .offset:         120
        .size:           4
        .value_kind:     by_value
      - .offset:         128
        .size:           4
        .value_kind:     hidden_block_count_x
      - .offset:         132
        .size:           4
        .value_kind:     hidden_block_count_y
      - .offset:         136
        .size:           4
        .value_kind:     hidden_block_count_z
      - .offset:         140
        .size:           2
        .value_kind:     hidden_group_size_x
      - .offset:         142
        .size:           2
        .value_kind:     hidden_group_size_y
      - .offset:         144
        .size:           2
        .value_kind:     hidden_group_size_z
      - .offset:         146
        .size:           2
        .value_kind:     hidden_remainder_x
      - .offset:         148
        .size:           2
        .value_kind:     hidden_remainder_y
      - .offset:         150
        .size:           2
        .value_kind:     hidden_remainder_z
      - .offset:         168
        .size:           8
        .value_kind:     hidden_global_offset_x
      - .offset:         176
        .size:           8
        .value_kind:     hidden_global_offset_y
      - .offset:         184
        .size:           8
        .value_kind:     hidden_global_offset_z
      - .offset:         192
        .size:           2
        .value_kind:     hidden_grid_dims
      - .offset:         248
        .size:           4
        .value_kind:     hidden_dynamic_lds_size
    .group_segment_fixed_size: 160
    .kernarg_segment_align: 8
    .kernarg_segment_size: 384
    .language:       OpenCL C
    .language_version:
      - 2
      - 0
    .max_flat_workgroup_size: 1024
    .name:           _ZN4vllm25paged_attention_v1_kernelI14__hip_bfloat16S1_Li64ELi16ELi128ELNS_18Fp8KVCacheDataTypeE0ELb0EEEvPT_PKS3_PKT0_S9_ifPKiSB_iPKfiiiSD_SD_iiiii
    .private_segment_fixed_size: 0
    .sgpr_count:     29
    .sgpr_spill_count: 0
    .symbol:         _ZN4vllm25paged_attention_v1_kernelI14__hip_bfloat16S1_Li64ELi16ELi128ELNS_18Fp8KVCacheDataTypeE0ELb0EEEvPT_PKS3_PKT0_S9_ifPKiSB_iPKfiiiSD_SD_iiiii.kd
    .uniform_work_group_size: 1
    .uses_dynamic_stack: false
    .vgpr_count:     79
    .vgpr_spill_count: 0
    .wavefront_size: 32
    .workgroup_processor_mode: 1
  - .args:
      - .actual_access:  write_only
        .address_space:  global
        .offset:         0
        .size:           8
        .value_kind:     global_buffer
      - .actual_access:  read_only
        .address_space:  global
        .offset:         8
        .size:           8
        .value_kind:     global_buffer
      - .actual_access:  read_only
        .address_space:  global
        .offset:         16
        .size:           8
        .value_kind:     global_buffer
      - .actual_access:  read_only
        .address_space:  global
        .offset:         24
        .size:           8
        .value_kind:     global_buffer
      - .offset:         32
        .size:           4
        .value_kind:     by_value
      - .offset:         36
        .size:           4
        .value_kind:     by_value
      - .actual_access:  read_only
        .address_space:  global
        .offset:         40
        .size:           8
        .value_kind:     global_buffer
      - .actual_access:  read_only
        .address_space:  global
        .offset:         48
        .size:           8
        .value_kind:     global_buffer
      - .offset:         56
        .size:           4
        .value_kind:     by_value
      - .actual_access:  read_only
        .address_space:  global
        .offset:         64
        .size:           8
        .value_kind:     global_buffer
      - .offset:         72
        .size:           4
        .value_kind:     by_value
      - .offset:         76
        .size:           4
        .value_kind:     by_value
      - .offset:         80
        .size:           4
        .value_kind:     by_value
      - .address_space:  global
        .offset:         88
        .size:           8
        .value_kind:     global_buffer
      - .address_space:  global
        .offset:         96
        .size:           8
        .value_kind:     global_buffer
      - .offset:         104
        .size:           4
        .value_kind:     by_value
      - .offset:         108
        .size:           4
        .value_kind:     by_value
      - .offset:         112
        .size:           4
        .value_kind:     by_value
      - .offset:         116
        .size:           4
        .value_kind:     by_value
      - .offset:         120
        .size:           4
        .value_kind:     by_value
      - .offset:         128
        .size:           4
        .value_kind:     hidden_block_count_x
      - .offset:         132
        .size:           4
        .value_kind:     hidden_block_count_y
      - .offset:         136
        .size:           4
        .value_kind:     hidden_block_count_z
      - .offset:         140
        .size:           2
        .value_kind:     hidden_group_size_x
      - .offset:         142
        .size:           2
        .value_kind:     hidden_group_size_y
      - .offset:         144
        .size:           2
        .value_kind:     hidden_group_size_z
      - .offset:         146
        .size:           2
        .value_kind:     hidden_remainder_x
      - .offset:         148
        .size:           2
        .value_kind:     hidden_remainder_y
      - .offset:         150
        .size:           2
        .value_kind:     hidden_remainder_z
      - .offset:         168
        .size:           8
        .value_kind:     hidden_global_offset_x
      - .offset:         176
        .size:           8
        .value_kind:     hidden_global_offset_y
      - .offset:         184
        .size:           8
        .value_kind:     hidden_global_offset_z
      - .offset:         192
        .size:           2
        .value_kind:     hidden_grid_dims
      - .offset:         248
        .size:           4
        .value_kind:     hidden_dynamic_lds_size
    .group_segment_fixed_size: 192
    .kernarg_segment_align: 8
    .kernarg_segment_size: 384
    .language:       OpenCL C
    .language_version:
      - 2
      - 0
    .max_flat_workgroup_size: 1024
    .name:           _ZN4vllm25paged_attention_v1_kernelI14__hip_bfloat16S1_Li80ELi16ELi128ELNS_18Fp8KVCacheDataTypeE0ELb0EEEvPT_PKS3_PKT0_S9_ifPKiSB_iPKfiiiSD_SD_iiiii
    .private_segment_fixed_size: 0
    .sgpr_count:     29
    .sgpr_spill_count: 0
    .symbol:         _ZN4vllm25paged_attention_v1_kernelI14__hip_bfloat16S1_Li80ELi16ELi128ELNS_18Fp8KVCacheDataTypeE0ELb0EEEvPT_PKS3_PKT0_S9_ifPKiSB_iPKfiiiSD_SD_iiiii.kd
    .uniform_work_group_size: 1
    .uses_dynamic_stack: false
    .vgpr_count:     94
    .vgpr_spill_count: 0
    .wavefront_size: 32
    .workgroup_processor_mode: 1
  - .args:
      - .actual_access:  write_only
        .address_space:  global
        .offset:         0
        .size:           8
        .value_kind:     global_buffer
      - .actual_access:  read_only
        .address_space:  global
        .offset:         8
        .size:           8
        .value_kind:     global_buffer
      - .actual_access:  read_only
        .address_space:  global
        .offset:         16
        .size:           8
        .value_kind:     global_buffer
      - .actual_access:  read_only
        .address_space:  global
        .offset:         24
        .size:           8
        .value_kind:     global_buffer
      - .offset:         32
        .size:           4
        .value_kind:     by_value
      - .offset:         36
        .size:           4
        .value_kind:     by_value
      - .actual_access:  read_only
        .address_space:  global
        .offset:         40
        .size:           8
        .value_kind:     global_buffer
      - .actual_access:  read_only
        .address_space:  global
        .offset:         48
        .size:           8
        .value_kind:     global_buffer
      - .offset:         56
        .size:           4
        .value_kind:     by_value
      - .actual_access:  read_only
        .address_space:  global
        .offset:         64
        .size:           8
        .value_kind:     global_buffer
      - .offset:         72
        .size:           4
        .value_kind:     by_value
      - .offset:         76
        .size:           4
        .value_kind:     by_value
      - .offset:         80
        .size:           4
        .value_kind:     by_value
      - .address_space:  global
        .offset:         88
        .size:           8
        .value_kind:     global_buffer
      - .address_space:  global
        .offset:         96
        .size:           8
        .value_kind:     global_buffer
      - .offset:         104
        .size:           4
        .value_kind:     by_value
      - .offset:         108
        .size:           4
        .value_kind:     by_value
      - .offset:         112
        .size:           4
        .value_kind:     by_value
      - .offset:         116
        .size:           4
        .value_kind:     by_value
      - .offset:         120
        .size:           4
        .value_kind:     by_value
      - .offset:         128
        .size:           4
        .value_kind:     hidden_block_count_x
      - .offset:         132
        .size:           4
        .value_kind:     hidden_block_count_y
      - .offset:         136
        .size:           4
        .value_kind:     hidden_block_count_z
      - .offset:         140
        .size:           2
        .value_kind:     hidden_group_size_x
      - .offset:         142
        .size:           2
        .value_kind:     hidden_group_size_y
      - .offset:         144
        .size:           2
        .value_kind:     hidden_group_size_z
      - .offset:         146
        .size:           2
        .value_kind:     hidden_remainder_x
      - .offset:         148
        .size:           2
        .value_kind:     hidden_remainder_y
      - .offset:         150
        .size:           2
        .value_kind:     hidden_remainder_z
      - .offset:         168
        .size:           8
        .value_kind:     hidden_global_offset_x
      - .offset:         176
        .size:           8
        .value_kind:     hidden_global_offset_y
      - .offset:         184
        .size:           8
        .value_kind:     hidden_global_offset_z
      - .offset:         192
        .size:           2
        .value_kind:     hidden_grid_dims
      - .offset:         248
        .size:           4
        .value_kind:     hidden_dynamic_lds_size
    .group_segment_fixed_size: 224
    .kernarg_segment_align: 8
    .kernarg_segment_size: 384
    .language:       OpenCL C
    .language_version:
      - 2
      - 0
    .max_flat_workgroup_size: 1024
    .name:           _ZN4vllm25paged_attention_v1_kernelI14__hip_bfloat16S1_Li96ELi16ELi128ELNS_18Fp8KVCacheDataTypeE0ELb0EEEvPT_PKS3_PKT0_S9_ifPKiSB_iPKfiiiSD_SD_iiiii
    .private_segment_fixed_size: 0
    .sgpr_count:     29
    .sgpr_spill_count: 0
    .symbol:         _ZN4vllm25paged_attention_v1_kernelI14__hip_bfloat16S1_Li96ELi16ELi128ELNS_18Fp8KVCacheDataTypeE0ELb0EEEvPT_PKS3_PKT0_S9_ifPKiSB_iPKfiiiSD_SD_iiiii.kd
    .uniform_work_group_size: 1
    .uses_dynamic_stack: false
    .vgpr_count:     108
    .vgpr_spill_count: 0
    .wavefront_size: 32
    .workgroup_processor_mode: 1
  - .args:
      - .actual_access:  write_only
        .address_space:  global
        .offset:         0
        .size:           8
        .value_kind:     global_buffer
      - .actual_access:  read_only
        .address_space:  global
        .offset:         8
        .size:           8
        .value_kind:     global_buffer
      - .actual_access:  read_only
        .address_space:  global
        .offset:         16
        .size:           8
        .value_kind:     global_buffer
      - .actual_access:  read_only
        .address_space:  global
        .offset:         24
        .size:           8
        .value_kind:     global_buffer
      - .offset:         32
        .size:           4
        .value_kind:     by_value
      - .offset:         36
        .size:           4
        .value_kind:     by_value
      - .actual_access:  read_only
        .address_space:  global
        .offset:         40
        .size:           8
        .value_kind:     global_buffer
      - .actual_access:  read_only
        .address_space:  global
        .offset:         48
        .size:           8
        .value_kind:     global_buffer
      - .offset:         56
        .size:           4
        .value_kind:     by_value
      - .actual_access:  read_only
        .address_space:  global
        .offset:         64
        .size:           8
        .value_kind:     global_buffer
      - .offset:         72
        .size:           4
        .value_kind:     by_value
      - .offset:         76
        .size:           4
        .value_kind:     by_value
      - .offset:         80
        .size:           4
        .value_kind:     by_value
      - .address_space:  global
        .offset:         88
        .size:           8
        .value_kind:     global_buffer
      - .address_space:  global
        .offset:         96
        .size:           8
        .value_kind:     global_buffer
      - .offset:         104
        .size:           4
        .value_kind:     by_value
      - .offset:         108
        .size:           4
        .value_kind:     by_value
      - .offset:         112
        .size:           4
        .value_kind:     by_value
      - .offset:         116
        .size:           4
        .value_kind:     by_value
      - .offset:         120
        .size:           4
        .value_kind:     by_value
      - .offset:         128
        .size:           4
        .value_kind:     hidden_block_count_x
      - .offset:         132
        .size:           4
        .value_kind:     hidden_block_count_y
      - .offset:         136
        .size:           4
        .value_kind:     hidden_block_count_z
      - .offset:         140
        .size:           2
        .value_kind:     hidden_group_size_x
      - .offset:         142
        .size:           2
        .value_kind:     hidden_group_size_y
      - .offset:         144
        .size:           2
        .value_kind:     hidden_group_size_z
      - .offset:         146
        .size:           2
        .value_kind:     hidden_remainder_x
      - .offset:         148
        .size:           2
        .value_kind:     hidden_remainder_y
      - .offset:         150
        .size:           2
        .value_kind:     hidden_remainder_z
      - .offset:         168
        .size:           8
        .value_kind:     hidden_global_offset_x
      - .offset:         176
        .size:           8
        .value_kind:     hidden_global_offset_y
      - .offset:         184
        .size:           8
        .value_kind:     hidden_global_offset_z
      - .offset:         192
        .size:           2
        .value_kind:     hidden_grid_dims
      - .offset:         248
        .size:           4
        .value_kind:     hidden_dynamic_lds_size
    .group_segment_fixed_size: 256
    .kernarg_segment_align: 8
    .kernarg_segment_size: 384
    .language:       OpenCL C
    .language_version:
      - 2
      - 0
    .max_flat_workgroup_size: 1024
    .name:           _ZN4vllm25paged_attention_v1_kernelI14__hip_bfloat16S1_Li112ELi16ELi128ELNS_18Fp8KVCacheDataTypeE0ELb0EEEvPT_PKS3_PKT0_S9_ifPKiSB_iPKfiiiSD_SD_iiiii
    .private_segment_fixed_size: 0
    .sgpr_count:     29
    .sgpr_spill_count: 0
    .symbol:         _ZN4vllm25paged_attention_v1_kernelI14__hip_bfloat16S1_Li112ELi16ELi128ELNS_18Fp8KVCacheDataTypeE0ELb0EEEvPT_PKS3_PKT0_S9_ifPKiSB_iPKfiiiSD_SD_iiiii.kd
    .uniform_work_group_size: 1
    .uses_dynamic_stack: false
    .vgpr_count:     125
    .vgpr_spill_count: 0
    .wavefront_size: 32
    .workgroup_processor_mode: 1
  - .args:
      - .actual_access:  write_only
        .address_space:  global
        .offset:         0
        .size:           8
        .value_kind:     global_buffer
      - .actual_access:  read_only
        .address_space:  global
        .offset:         8
        .size:           8
        .value_kind:     global_buffer
      - .actual_access:  read_only
        .address_space:  global
        .offset:         16
        .size:           8
        .value_kind:     global_buffer
      - .actual_access:  read_only
        .address_space:  global
        .offset:         24
        .size:           8
        .value_kind:     global_buffer
      - .offset:         32
        .size:           4
        .value_kind:     by_value
      - .offset:         36
        .size:           4
        .value_kind:     by_value
      - .actual_access:  read_only
        .address_space:  global
        .offset:         40
        .size:           8
        .value_kind:     global_buffer
      - .actual_access:  read_only
        .address_space:  global
        .offset:         48
        .size:           8
        .value_kind:     global_buffer
      - .offset:         56
        .size:           4
        .value_kind:     by_value
      - .actual_access:  read_only
        .address_space:  global
        .offset:         64
        .size:           8
        .value_kind:     global_buffer
      - .offset:         72
        .size:           4
        .value_kind:     by_value
      - .offset:         76
        .size:           4
        .value_kind:     by_value
      - .offset:         80
        .size:           4
        .value_kind:     by_value
      - .address_space:  global
        .offset:         88
        .size:           8
        .value_kind:     global_buffer
      - .address_space:  global
        .offset:         96
        .size:           8
        .value_kind:     global_buffer
      - .offset:         104
        .size:           4
        .value_kind:     by_value
      - .offset:         108
        .size:           4
        .value_kind:     by_value
      - .offset:         112
        .size:           4
        .value_kind:     by_value
      - .offset:         116
        .size:           4
        .value_kind:     by_value
      - .offset:         120
        .size:           4
        .value_kind:     by_value
      - .offset:         128
        .size:           4
        .value_kind:     hidden_block_count_x
      - .offset:         132
        .size:           4
        .value_kind:     hidden_block_count_y
      - .offset:         136
        .size:           4
        .value_kind:     hidden_block_count_z
      - .offset:         140
        .size:           2
        .value_kind:     hidden_group_size_x
      - .offset:         142
        .size:           2
        .value_kind:     hidden_group_size_y
      - .offset:         144
        .size:           2
        .value_kind:     hidden_group_size_z
      - .offset:         146
        .size:           2
        .value_kind:     hidden_remainder_x
      - .offset:         148
        .size:           2
        .value_kind:     hidden_remainder_y
      - .offset:         150
        .size:           2
        .value_kind:     hidden_remainder_z
      - .offset:         168
        .size:           8
        .value_kind:     hidden_global_offset_x
      - .offset:         176
        .size:           8
        .value_kind:     hidden_global_offset_y
      - .offset:         184
        .size:           8
        .value_kind:     hidden_global_offset_z
      - .offset:         192
        .size:           2
        .value_kind:     hidden_grid_dims
      - .offset:         248
        .size:           4
        .value_kind:     hidden_dynamic_lds_size
    .group_segment_fixed_size: 272
    .kernarg_segment_align: 8
    .kernarg_segment_size: 384
    .language:       OpenCL C
    .language_version:
      - 2
      - 0
    .max_flat_workgroup_size: 1024
    .name:           _ZN4vllm25paged_attention_v1_kernelI14__hip_bfloat16S1_Li120ELi16ELi128ELNS_18Fp8KVCacheDataTypeE0ELb0EEEvPT_PKS3_PKT0_S9_ifPKiSB_iPKfiiiSD_SD_iiiii
    .private_segment_fixed_size: 0
    .sgpr_count:     29
    .sgpr_spill_count: 0
    .symbol:         _ZN4vllm25paged_attention_v1_kernelI14__hip_bfloat16S1_Li120ELi16ELi128ELNS_18Fp8KVCacheDataTypeE0ELb0EEEvPT_PKS3_PKT0_S9_ifPKiSB_iPKfiiiSD_SD_iiiii.kd
    .uniform_work_group_size: 1
    .uses_dynamic_stack: false
    .vgpr_count:     128
    .vgpr_spill_count: 0
    .wavefront_size: 32
    .workgroup_processor_mode: 1
  - .args:
      - .actual_access:  write_only
        .address_space:  global
        .offset:         0
        .size:           8
        .value_kind:     global_buffer
      - .actual_access:  read_only
        .address_space:  global
        .offset:         8
        .size:           8
        .value_kind:     global_buffer
      - .actual_access:  read_only
        .address_space:  global
        .offset:         16
        .size:           8
        .value_kind:     global_buffer
      - .actual_access:  read_only
        .address_space:  global
        .offset:         24
        .size:           8
        .value_kind:     global_buffer
      - .offset:         32
        .size:           4
        .value_kind:     by_value
      - .offset:         36
        .size:           4
        .value_kind:     by_value
      - .actual_access:  read_only
        .address_space:  global
        .offset:         40
        .size:           8
        .value_kind:     global_buffer
      - .actual_access:  read_only
        .address_space:  global
        .offset:         48
        .size:           8
        .value_kind:     global_buffer
      - .offset:         56
        .size:           4
        .value_kind:     by_value
      - .actual_access:  read_only
        .address_space:  global
        .offset:         64
        .size:           8
        .value_kind:     global_buffer
      - .offset:         72
        .size:           4
        .value_kind:     by_value
      - .offset:         76
        .size:           4
        .value_kind:     by_value
      - .offset:         80
        .size:           4
        .value_kind:     by_value
      - .address_space:  global
        .offset:         88
        .size:           8
        .value_kind:     global_buffer
      - .address_space:  global
        .offset:         96
        .size:           8
        .value_kind:     global_buffer
      - .offset:         104
        .size:           4
        .value_kind:     by_value
      - .offset:         108
        .size:           4
        .value_kind:     by_value
      - .offset:         112
        .size:           4
        .value_kind:     by_value
      - .offset:         116
        .size:           4
        .value_kind:     by_value
      - .offset:         120
        .size:           4
        .value_kind:     by_value
      - .offset:         128
        .size:           4
        .value_kind:     hidden_block_count_x
      - .offset:         132
        .size:           4
        .value_kind:     hidden_block_count_y
      - .offset:         136
        .size:           4
        .value_kind:     hidden_block_count_z
      - .offset:         140
        .size:           2
        .value_kind:     hidden_group_size_x
      - .offset:         142
        .size:           2
        .value_kind:     hidden_group_size_y
      - .offset:         144
        .size:           2
        .value_kind:     hidden_group_size_z
      - .offset:         146
        .size:           2
        .value_kind:     hidden_remainder_x
      - .offset:         148
        .size:           2
        .value_kind:     hidden_remainder_y
      - .offset:         150
        .size:           2
        .value_kind:     hidden_remainder_z
      - .offset:         168
        .size:           8
        .value_kind:     hidden_global_offset_x
      - .offset:         176
        .size:           8
        .value_kind:     hidden_global_offset_y
      - .offset:         184
        .size:           8
        .value_kind:     hidden_global_offset_z
      - .offset:         192
        .size:           2
        .value_kind:     hidden_grid_dims
      - .offset:         248
        .size:           4
        .value_kind:     hidden_dynamic_lds_size
    .group_segment_fixed_size: 288
    .kernarg_segment_align: 8
    .kernarg_segment_size: 384
    .language:       OpenCL C
    .language_version:
      - 2
      - 0
    .max_flat_workgroup_size: 1024
    .name:           _ZN4vllm25paged_attention_v1_kernelI14__hip_bfloat16S1_Li128ELi16ELi128ELNS_18Fp8KVCacheDataTypeE0ELb0EEEvPT_PKS3_PKT0_S9_ifPKiSB_iPKfiiiSD_SD_iiiii
    .private_segment_fixed_size: 0
    .sgpr_count:     32
    .sgpr_spill_count: 0
    .symbol:         _ZN4vllm25paged_attention_v1_kernelI14__hip_bfloat16S1_Li128ELi16ELi128ELNS_18Fp8KVCacheDataTypeE0ELb0EEEvPT_PKS3_PKT0_S9_ifPKiSB_iPKfiiiSD_SD_iiiii.kd
    .uniform_work_group_size: 1
    .uses_dynamic_stack: false
    .vgpr_count:     125
    .vgpr_spill_count: 0
    .wavefront_size: 32
    .workgroup_processor_mode: 1
  - .args:
      - .actual_access:  write_only
        .address_space:  global
        .offset:         0
        .size:           8
        .value_kind:     global_buffer
      - .actual_access:  read_only
        .address_space:  global
        .offset:         8
        .size:           8
        .value_kind:     global_buffer
      - .actual_access:  read_only
        .address_space:  global
        .offset:         16
        .size:           8
        .value_kind:     global_buffer
      - .actual_access:  read_only
        .address_space:  global
        .offset:         24
        .size:           8
        .value_kind:     global_buffer
      - .offset:         32
        .size:           4
        .value_kind:     by_value
      - .offset:         36
        .size:           4
        .value_kind:     by_value
      - .actual_access:  read_only
        .address_space:  global
        .offset:         40
        .size:           8
        .value_kind:     global_buffer
      - .actual_access:  read_only
        .address_space:  global
        .offset:         48
        .size:           8
        .value_kind:     global_buffer
      - .offset:         56
        .size:           4
        .value_kind:     by_value
      - .actual_access:  read_only
        .address_space:  global
        .offset:         64
        .size:           8
        .value_kind:     global_buffer
      - .offset:         72
        .size:           4
        .value_kind:     by_value
      - .offset:         76
        .size:           4
        .value_kind:     by_value
      - .offset:         80
        .size:           4
        .value_kind:     by_value
      - .address_space:  global
        .offset:         88
        .size:           8
        .value_kind:     global_buffer
      - .address_space:  global
        .offset:         96
        .size:           8
        .value_kind:     global_buffer
      - .offset:         104
        .size:           4
        .value_kind:     by_value
      - .offset:         108
        .size:           4
        .value_kind:     by_value
      - .offset:         112
        .size:           4
        .value_kind:     by_value
      - .offset:         116
        .size:           4
        .value_kind:     by_value
      - .offset:         120
        .size:           4
        .value_kind:     by_value
      - .offset:         128
        .size:           4
        .value_kind:     hidden_block_count_x
      - .offset:         132
        .size:           4
        .value_kind:     hidden_block_count_y
      - .offset:         136
        .size:           4
        .value_kind:     hidden_block_count_z
      - .offset:         140
        .size:           2
        .value_kind:     hidden_group_size_x
      - .offset:         142
        .size:           2
        .value_kind:     hidden_group_size_y
      - .offset:         144
        .size:           2
        .value_kind:     hidden_group_size_z
      - .offset:         146
        .size:           2
        .value_kind:     hidden_remainder_x
      - .offset:         148
        .size:           2
        .value_kind:     hidden_remainder_y
      - .offset:         150
        .size:           2
        .value_kind:     hidden_remainder_z
      - .offset:         168
        .size:           8
        .value_kind:     hidden_global_offset_x
      - .offset:         176
        .size:           8
        .value_kind:     hidden_global_offset_y
      - .offset:         184
        .size:           8
        .value_kind:     hidden_global_offset_z
      - .offset:         192
        .size:           2
        .value_kind:     hidden_grid_dims
      - .offset:         248
        .size:           4
        .value_kind:     hidden_dynamic_lds_size
    .group_segment_fixed_size: 416
    .kernarg_segment_align: 8
    .kernarg_segment_size: 384
    .language:       OpenCL C
    .language_version:
      - 2
      - 0
    .max_flat_workgroup_size: 1024
    .name:           _ZN4vllm25paged_attention_v1_kernelI14__hip_bfloat16S1_Li192ELi16ELi128ELNS_18Fp8KVCacheDataTypeE0ELb0EEEvPT_PKS3_PKT0_S9_ifPKiSB_iPKfiiiSD_SD_iiiii
    .private_segment_fixed_size: 0
    .sgpr_count:     29
    .sgpr_spill_count: 0
    .symbol:         _ZN4vllm25paged_attention_v1_kernelI14__hip_bfloat16S1_Li192ELi16ELi128ELNS_18Fp8KVCacheDataTypeE0ELb0EEEvPT_PKS3_PKT0_S9_ifPKiSB_iPKfiiiSD_SD_iiiii.kd
    .uniform_work_group_size: 1
    .uses_dynamic_stack: false
    .vgpr_count:     128
    .vgpr_spill_count: 0
    .wavefront_size: 32
    .workgroup_processor_mode: 1
  - .args:
      - .actual_access:  write_only
        .address_space:  global
        .offset:         0
        .size:           8
        .value_kind:     global_buffer
      - .actual_access:  read_only
        .address_space:  global
        .offset:         8
        .size:           8
        .value_kind:     global_buffer
      - .actual_access:  read_only
        .address_space:  global
        .offset:         16
        .size:           8
        .value_kind:     global_buffer
      - .actual_access:  read_only
        .address_space:  global
        .offset:         24
        .size:           8
        .value_kind:     global_buffer
      - .offset:         32
        .size:           4
        .value_kind:     by_value
      - .offset:         36
        .size:           4
        .value_kind:     by_value
      - .actual_access:  read_only
        .address_space:  global
        .offset:         40
        .size:           8
        .value_kind:     global_buffer
      - .actual_access:  read_only
        .address_space:  global
        .offset:         48
        .size:           8
        .value_kind:     global_buffer
      - .offset:         56
        .size:           4
        .value_kind:     by_value
      - .actual_access:  read_only
        .address_space:  global
        .offset:         64
        .size:           8
        .value_kind:     global_buffer
      - .offset:         72
        .size:           4
        .value_kind:     by_value
      - .offset:         76
        .size:           4
        .value_kind:     by_value
      - .offset:         80
        .size:           4
        .value_kind:     by_value
      - .address_space:  global
        .offset:         88
        .size:           8
        .value_kind:     global_buffer
      - .address_space:  global
        .offset:         96
        .size:           8
        .value_kind:     global_buffer
      - .offset:         104
        .size:           4
        .value_kind:     by_value
      - .offset:         108
        .size:           4
        .value_kind:     by_value
      - .offset:         112
        .size:           4
        .value_kind:     by_value
      - .offset:         116
        .size:           4
        .value_kind:     by_value
      - .offset:         120
        .size:           4
        .value_kind:     by_value
      - .offset:         128
        .size:           4
        .value_kind:     hidden_block_count_x
      - .offset:         132
        .size:           4
        .value_kind:     hidden_block_count_y
      - .offset:         136
        .size:           4
        .value_kind:     hidden_block_count_z
      - .offset:         140
        .size:           2
        .value_kind:     hidden_group_size_x
      - .offset:         142
        .size:           2
        .value_kind:     hidden_group_size_y
      - .offset:         144
        .size:           2
        .value_kind:     hidden_group_size_z
      - .offset:         146
        .size:           2
        .value_kind:     hidden_remainder_x
      - .offset:         148
        .size:           2
        .value_kind:     hidden_remainder_y
      - .offset:         150
        .size:           2
        .value_kind:     hidden_remainder_z
      - .offset:         168
        .size:           8
        .value_kind:     hidden_global_offset_x
      - .offset:         176
        .size:           8
        .value_kind:     hidden_global_offset_y
      - .offset:         184
        .size:           8
        .value_kind:     hidden_global_offset_z
      - .offset:         192
        .size:           2
        .value_kind:     hidden_grid_dims
      - .offset:         248
        .size:           4
        .value_kind:     hidden_dynamic_lds_size
    .group_segment_fixed_size: 544
    .kernarg_segment_align: 8
    .kernarg_segment_size: 384
    .language:       OpenCL C
    .language_version:
      - 2
      - 0
    .max_flat_workgroup_size: 1024
    .name:           _ZN4vllm25paged_attention_v1_kernelI14__hip_bfloat16S1_Li256ELi16ELi128ELNS_18Fp8KVCacheDataTypeE0ELb0EEEvPT_PKS3_PKT0_S9_ifPKiSB_iPKfiiiSD_SD_iiiii
    .private_segment_fixed_size: 152
    .sgpr_count:     42
    .sgpr_spill_count: 0
    .symbol:         _ZN4vllm25paged_attention_v1_kernelI14__hip_bfloat16S1_Li256ELi16ELi128ELNS_18Fp8KVCacheDataTypeE0ELb0EEEvPT_PKS3_PKT0_S9_ifPKiSB_iPKfiiiSD_SD_iiiii.kd
    .uniform_work_group_size: 1
    .uses_dynamic_stack: false
    .vgpr_count:     128
    .vgpr_spill_count: 37
    .wavefront_size: 32
    .workgroup_processor_mode: 1
  - .args:
      - .actual_access:  write_only
        .address_space:  global
        .offset:         0
        .size:           8
        .value_kind:     global_buffer
      - .actual_access:  read_only
        .address_space:  global
        .offset:         8
        .size:           8
        .value_kind:     global_buffer
      - .actual_access:  read_only
        .address_space:  global
        .offset:         16
        .size:           8
        .value_kind:     global_buffer
      - .actual_access:  read_only
        .address_space:  global
        .offset:         24
        .size:           8
        .value_kind:     global_buffer
      - .offset:         32
        .size:           4
        .value_kind:     by_value
      - .offset:         36
        .size:           4
        .value_kind:     by_value
      - .actual_access:  read_only
        .address_space:  global
        .offset:         40
        .size:           8
        .value_kind:     global_buffer
      - .actual_access:  read_only
        .address_space:  global
        .offset:         48
        .size:           8
        .value_kind:     global_buffer
      - .offset:         56
        .size:           4
        .value_kind:     by_value
      - .actual_access:  read_only
        .address_space:  global
        .offset:         64
        .size:           8
        .value_kind:     global_buffer
      - .offset:         72
        .size:           4
        .value_kind:     by_value
      - .offset:         76
        .size:           4
        .value_kind:     by_value
      - .offset:         80
        .size:           4
        .value_kind:     by_value
      - .address_space:  global
        .offset:         88
        .size:           8
        .value_kind:     global_buffer
      - .address_space:  global
        .offset:         96
        .size:           8
        .value_kind:     global_buffer
      - .offset:         104
        .size:           4
        .value_kind:     by_value
      - .offset:         108
        .size:           4
        .value_kind:     by_value
      - .offset:         112
        .size:           4
        .value_kind:     by_value
      - .offset:         116
        .size:           4
        .value_kind:     by_value
      - .offset:         120
        .size:           4
        .value_kind:     by_value
      - .offset:         128
        .size:           4
        .value_kind:     hidden_block_count_x
      - .offset:         132
        .size:           4
        .value_kind:     hidden_block_count_y
      - .offset:         136
        .size:           4
        .value_kind:     hidden_block_count_z
      - .offset:         140
        .size:           2
        .value_kind:     hidden_group_size_x
      - .offset:         142
        .size:           2
        .value_kind:     hidden_group_size_y
      - .offset:         144
        .size:           2
        .value_kind:     hidden_group_size_z
      - .offset:         146
        .size:           2
        .value_kind:     hidden_remainder_x
      - .offset:         148
        .size:           2
        .value_kind:     hidden_remainder_y
      - .offset:         150
        .size:           2
        .value_kind:     hidden_remainder_z
      - .offset:         168
        .size:           8
        .value_kind:     hidden_global_offset_x
      - .offset:         176
        .size:           8
        .value_kind:     hidden_global_offset_y
      - .offset:         184
        .size:           8
        .value_kind:     hidden_global_offset_z
      - .offset:         192
        .size:           2
        .value_kind:     hidden_grid_dims
      - .offset:         248
        .size:           4
        .value_kind:     hidden_dynamic_lds_size
    .group_segment_fixed_size: 96
    .kernarg_segment_align: 8
    .kernarg_segment_size: 384
    .language:       OpenCL C
    .language_version:
      - 2
      - 0
    .max_flat_workgroup_size: 1024
    .name:           _ZN4vllm25paged_attention_v1_kernelI14__hip_bfloat16S1_Li32ELi32ELi128ELNS_18Fp8KVCacheDataTypeE0ELb1EEEvPT_PKS3_PKT0_S9_ifPKiSB_iPKfiiiSD_SD_iiiii
    .private_segment_fixed_size: 0
    .sgpr_count:     40
    .sgpr_spill_count: 0
    .symbol:         _ZN4vllm25paged_attention_v1_kernelI14__hip_bfloat16S1_Li32ELi32ELi128ELNS_18Fp8KVCacheDataTypeE0ELb1EEEvPT_PKS3_PKT0_S9_ifPKiSB_iPKfiiiSD_SD_iiiii.kd
    .uniform_work_group_size: 1
    .uses_dynamic_stack: false
    .vgpr_count:     82
    .vgpr_spill_count: 0
    .wavefront_size: 32
    .workgroup_processor_mode: 1
  - .args:
      - .actual_access:  write_only
        .address_space:  global
        .offset:         0
        .size:           8
        .value_kind:     global_buffer
      - .actual_access:  read_only
        .address_space:  global
        .offset:         8
        .size:           8
        .value_kind:     global_buffer
      - .actual_access:  read_only
        .address_space:  global
        .offset:         16
        .size:           8
        .value_kind:     global_buffer
      - .actual_access:  read_only
        .address_space:  global
        .offset:         24
        .size:           8
        .value_kind:     global_buffer
      - .offset:         32
        .size:           4
        .value_kind:     by_value
      - .offset:         36
        .size:           4
        .value_kind:     by_value
      - .actual_access:  read_only
        .address_space:  global
        .offset:         40
        .size:           8
        .value_kind:     global_buffer
      - .actual_access:  read_only
        .address_space:  global
        .offset:         48
        .size:           8
        .value_kind:     global_buffer
      - .offset:         56
        .size:           4
        .value_kind:     by_value
      - .actual_access:  read_only
        .address_space:  global
        .offset:         64
        .size:           8
        .value_kind:     global_buffer
      - .offset:         72
        .size:           4
        .value_kind:     by_value
      - .offset:         76
        .size:           4
        .value_kind:     by_value
      - .offset:         80
        .size:           4
        .value_kind:     by_value
      - .address_space:  global
        .offset:         88
        .size:           8
        .value_kind:     global_buffer
      - .address_space:  global
        .offset:         96
        .size:           8
        .value_kind:     global_buffer
      - .offset:         104
        .size:           4
        .value_kind:     by_value
      - .offset:         108
        .size:           4
        .value_kind:     by_value
      - .offset:         112
        .size:           4
        .value_kind:     by_value
      - .offset:         116
        .size:           4
        .value_kind:     by_value
      - .offset:         120
        .size:           4
        .value_kind:     by_value
      - .offset:         128
        .size:           4
        .value_kind:     hidden_block_count_x
      - .offset:         132
        .size:           4
        .value_kind:     hidden_block_count_y
      - .offset:         136
        .size:           4
        .value_kind:     hidden_block_count_z
      - .offset:         140
        .size:           2
        .value_kind:     hidden_group_size_x
      - .offset:         142
        .size:           2
        .value_kind:     hidden_group_size_y
      - .offset:         144
        .size:           2
        .value_kind:     hidden_group_size_z
      - .offset:         146
        .size:           2
        .value_kind:     hidden_remainder_x
      - .offset:         148
        .size:           2
        .value_kind:     hidden_remainder_y
      - .offset:         150
        .size:           2
        .value_kind:     hidden_remainder_z
      - .offset:         168
        .size:           8
        .value_kind:     hidden_global_offset_x
      - .offset:         176
        .size:           8
        .value_kind:     hidden_global_offset_y
      - .offset:         184
        .size:           8
        .value_kind:     hidden_global_offset_z
      - .offset:         192
        .size:           2
        .value_kind:     hidden_grid_dims
      - .offset:         248
        .size:           4
        .value_kind:     hidden_dynamic_lds_size
    .group_segment_fixed_size: 160
    .kernarg_segment_align: 8
    .kernarg_segment_size: 384
    .language:       OpenCL C
    .language_version:
      - 2
      - 0
    .max_flat_workgroup_size: 1024
    .name:           _ZN4vllm25paged_attention_v1_kernelI14__hip_bfloat16S1_Li64ELi32ELi128ELNS_18Fp8KVCacheDataTypeE0ELb1EEEvPT_PKS3_PKT0_S9_ifPKiSB_iPKfiiiSD_SD_iiiii
    .private_segment_fixed_size: 0
    .sgpr_count:     40
    .sgpr_spill_count: 0
    .symbol:         _ZN4vllm25paged_attention_v1_kernelI14__hip_bfloat16S1_Li64ELi32ELi128ELNS_18Fp8KVCacheDataTypeE0ELb1EEEvPT_PKS3_PKT0_S9_ifPKiSB_iPKfiiiSD_SD_iiiii.kd
    .uniform_work_group_size: 1
    .uses_dynamic_stack: false
    .vgpr_count:     117
    .vgpr_spill_count: 0
    .wavefront_size: 32
    .workgroup_processor_mode: 1
  - .args:
      - .actual_access:  write_only
        .address_space:  global
        .offset:         0
        .size:           8
        .value_kind:     global_buffer
      - .actual_access:  read_only
        .address_space:  global
        .offset:         8
        .size:           8
        .value_kind:     global_buffer
      - .actual_access:  read_only
        .address_space:  global
        .offset:         16
        .size:           8
        .value_kind:     global_buffer
      - .actual_access:  read_only
        .address_space:  global
        .offset:         24
        .size:           8
        .value_kind:     global_buffer
      - .offset:         32
        .size:           4
        .value_kind:     by_value
      - .offset:         36
        .size:           4
        .value_kind:     by_value
      - .actual_access:  read_only
        .address_space:  global
        .offset:         40
        .size:           8
        .value_kind:     global_buffer
      - .actual_access:  read_only
        .address_space:  global
        .offset:         48
        .size:           8
        .value_kind:     global_buffer
      - .offset:         56
        .size:           4
        .value_kind:     by_value
      - .actual_access:  read_only
        .address_space:  global
        .offset:         64
        .size:           8
        .value_kind:     global_buffer
      - .offset:         72
        .size:           4
        .value_kind:     by_value
      - .offset:         76
        .size:           4
        .value_kind:     by_value
      - .offset:         80
        .size:           4
        .value_kind:     by_value
      - .address_space:  global
        .offset:         88
        .size:           8
        .value_kind:     global_buffer
      - .address_space:  global
        .offset:         96
        .size:           8
        .value_kind:     global_buffer
      - .offset:         104
        .size:           4
        .value_kind:     by_value
      - .offset:         108
        .size:           4
        .value_kind:     by_value
      - .offset:         112
        .size:           4
        .value_kind:     by_value
      - .offset:         116
        .size:           4
        .value_kind:     by_value
      - .offset:         120
        .size:           4
        .value_kind:     by_value
      - .offset:         128
        .size:           4
        .value_kind:     hidden_block_count_x
      - .offset:         132
        .size:           4
        .value_kind:     hidden_block_count_y
      - .offset:         136
        .size:           4
        .value_kind:     hidden_block_count_z
      - .offset:         140
        .size:           2
        .value_kind:     hidden_group_size_x
      - .offset:         142
        .size:           2
        .value_kind:     hidden_group_size_y
      - .offset:         144
        .size:           2
        .value_kind:     hidden_group_size_z
      - .offset:         146
        .size:           2
        .value_kind:     hidden_remainder_x
      - .offset:         148
        .size:           2
        .value_kind:     hidden_remainder_y
      - .offset:         150
        .size:           2
        .value_kind:     hidden_remainder_z
      - .offset:         168
        .size:           8
        .value_kind:     hidden_global_offset_x
      - .offset:         176
        .size:           8
        .value_kind:     hidden_global_offset_y
      - .offset:         184
        .size:           8
        .value_kind:     hidden_global_offset_z
      - .offset:         192
        .size:           2
        .value_kind:     hidden_grid_dims
      - .offset:         248
        .size:           4
        .value_kind:     hidden_dynamic_lds_size
    .group_segment_fixed_size: 192
    .kernarg_segment_align: 8
    .kernarg_segment_size: 384
    .language:       OpenCL C
    .language_version:
      - 2
      - 0
    .max_flat_workgroup_size: 1024
    .name:           _ZN4vllm25paged_attention_v1_kernelI14__hip_bfloat16S1_Li80ELi32ELi128ELNS_18Fp8KVCacheDataTypeE0ELb1EEEvPT_PKS3_PKT0_S9_ifPKiSB_iPKfiiiSD_SD_iiiii
    .private_segment_fixed_size: 56
    .sgpr_count:     46
    .sgpr_spill_count: 0
    .symbol:         _ZN4vllm25paged_attention_v1_kernelI14__hip_bfloat16S1_Li80ELi32ELi128ELNS_18Fp8KVCacheDataTypeE0ELb1EEEvPT_PKS3_PKT0_S9_ifPKiSB_iPKfiiiSD_SD_iiiii.kd
    .uniform_work_group_size: 1
    .uses_dynamic_stack: false
    .vgpr_count:     128
    .vgpr_spill_count: 13
    .wavefront_size: 32
    .workgroup_processor_mode: 1
  - .args:
      - .actual_access:  write_only
        .address_space:  global
        .offset:         0
        .size:           8
        .value_kind:     global_buffer
      - .actual_access:  read_only
        .address_space:  global
        .offset:         8
        .size:           8
        .value_kind:     global_buffer
      - .actual_access:  read_only
        .address_space:  global
        .offset:         16
        .size:           8
        .value_kind:     global_buffer
      - .actual_access:  read_only
        .address_space:  global
        .offset:         24
        .size:           8
        .value_kind:     global_buffer
      - .offset:         32
        .size:           4
        .value_kind:     by_value
      - .offset:         36
        .size:           4
        .value_kind:     by_value
      - .actual_access:  read_only
        .address_space:  global
        .offset:         40
        .size:           8
        .value_kind:     global_buffer
      - .actual_access:  read_only
        .address_space:  global
        .offset:         48
        .size:           8
        .value_kind:     global_buffer
      - .offset:         56
        .size:           4
        .value_kind:     by_value
      - .actual_access:  read_only
        .address_space:  global
        .offset:         64
        .size:           8
        .value_kind:     global_buffer
      - .offset:         72
        .size:           4
        .value_kind:     by_value
      - .offset:         76
        .size:           4
        .value_kind:     by_value
      - .offset:         80
        .size:           4
        .value_kind:     by_value
      - .address_space:  global
        .offset:         88
        .size:           8
        .value_kind:     global_buffer
      - .address_space:  global
        .offset:         96
        .size:           8
        .value_kind:     global_buffer
      - .offset:         104
        .size:           4
        .value_kind:     by_value
      - .offset:         108
        .size:           4
        .value_kind:     by_value
      - .offset:         112
        .size:           4
        .value_kind:     by_value
      - .offset:         116
        .size:           4
        .value_kind:     by_value
      - .offset:         120
        .size:           4
        .value_kind:     by_value
      - .offset:         128
        .size:           4
        .value_kind:     hidden_block_count_x
      - .offset:         132
        .size:           4
        .value_kind:     hidden_block_count_y
      - .offset:         136
        .size:           4
        .value_kind:     hidden_block_count_z
      - .offset:         140
        .size:           2
        .value_kind:     hidden_group_size_x
      - .offset:         142
        .size:           2
        .value_kind:     hidden_group_size_y
      - .offset:         144
        .size:           2
        .value_kind:     hidden_group_size_z
      - .offset:         146
        .size:           2
        .value_kind:     hidden_remainder_x
      - .offset:         148
        .size:           2
        .value_kind:     hidden_remainder_y
      - .offset:         150
        .size:           2
        .value_kind:     hidden_remainder_z
      - .offset:         168
        .size:           8
        .value_kind:     hidden_global_offset_x
      - .offset:         176
        .size:           8
        .value_kind:     hidden_global_offset_y
      - .offset:         184
        .size:           8
        .value_kind:     hidden_global_offset_z
      - .offset:         192
        .size:           2
        .value_kind:     hidden_grid_dims
      - .offset:         248
        .size:           4
        .value_kind:     hidden_dynamic_lds_size
    .group_segment_fixed_size: 224
    .kernarg_segment_align: 8
    .kernarg_segment_size: 384
    .language:       OpenCL C
    .language_version:
      - 2
      - 0
    .max_flat_workgroup_size: 1024
    .name:           _ZN4vllm25paged_attention_v1_kernelI14__hip_bfloat16S1_Li96ELi32ELi128ELNS_18Fp8KVCacheDataTypeE0ELb1EEEvPT_PKS3_PKT0_S9_ifPKiSB_iPKfiiiSD_SD_iiiii
    .private_segment_fixed_size: 176
    .sgpr_count:     46
    .sgpr_spill_count: 0
    .symbol:         _ZN4vllm25paged_attention_v1_kernelI14__hip_bfloat16S1_Li96ELi32ELi128ELNS_18Fp8KVCacheDataTypeE0ELb1EEEvPT_PKS3_PKT0_S9_ifPKiSB_iPKfiiiSD_SD_iiiii.kd
    .uniform_work_group_size: 1
    .uses_dynamic_stack: false
    .vgpr_count:     128
    .vgpr_spill_count: 43
    .wavefront_size: 32
    .workgroup_processor_mode: 1
  - .args:
      - .actual_access:  write_only
        .address_space:  global
        .offset:         0
        .size:           8
        .value_kind:     global_buffer
      - .actual_access:  read_only
        .address_space:  global
        .offset:         8
        .size:           8
        .value_kind:     global_buffer
      - .actual_access:  read_only
        .address_space:  global
        .offset:         16
        .size:           8
        .value_kind:     global_buffer
      - .actual_access:  read_only
        .address_space:  global
        .offset:         24
        .size:           8
        .value_kind:     global_buffer
      - .offset:         32
        .size:           4
        .value_kind:     by_value
      - .offset:         36
        .size:           4
        .value_kind:     by_value
      - .actual_access:  read_only
        .address_space:  global
        .offset:         40
        .size:           8
        .value_kind:     global_buffer
      - .actual_access:  read_only
        .address_space:  global
        .offset:         48
        .size:           8
        .value_kind:     global_buffer
      - .offset:         56
        .size:           4
        .value_kind:     by_value
      - .actual_access:  read_only
        .address_space:  global
        .offset:         64
        .size:           8
        .value_kind:     global_buffer
      - .offset:         72
        .size:           4
        .value_kind:     by_value
      - .offset:         76
        .size:           4
        .value_kind:     by_value
      - .offset:         80
        .size:           4
        .value_kind:     by_value
      - .address_space:  global
        .offset:         88
        .size:           8
        .value_kind:     global_buffer
      - .address_space:  global
        .offset:         96
        .size:           8
        .value_kind:     global_buffer
      - .offset:         104
        .size:           4
        .value_kind:     by_value
      - .offset:         108
        .size:           4
        .value_kind:     by_value
      - .offset:         112
        .size:           4
        .value_kind:     by_value
      - .offset:         116
        .size:           4
        .value_kind:     by_value
      - .offset:         120
        .size:           4
        .value_kind:     by_value
      - .offset:         128
        .size:           4
        .value_kind:     hidden_block_count_x
      - .offset:         132
        .size:           4
        .value_kind:     hidden_block_count_y
      - .offset:         136
        .size:           4
        .value_kind:     hidden_block_count_z
      - .offset:         140
        .size:           2
        .value_kind:     hidden_group_size_x
      - .offset:         142
        .size:           2
        .value_kind:     hidden_group_size_y
      - .offset:         144
        .size:           2
        .value_kind:     hidden_group_size_z
      - .offset:         146
        .size:           2
        .value_kind:     hidden_remainder_x
      - .offset:         148
        .size:           2
        .value_kind:     hidden_remainder_y
      - .offset:         150
        .size:           2
        .value_kind:     hidden_remainder_z
      - .offset:         168
        .size:           8
        .value_kind:     hidden_global_offset_x
      - .offset:         176
        .size:           8
        .value_kind:     hidden_global_offset_y
      - .offset:         184
        .size:           8
        .value_kind:     hidden_global_offset_z
      - .offset:         192
        .size:           2
        .value_kind:     hidden_grid_dims
      - .offset:         248
        .size:           4
        .value_kind:     hidden_dynamic_lds_size
    .group_segment_fixed_size: 256
    .kernarg_segment_align: 8
    .kernarg_segment_size: 384
    .language:       OpenCL C
    .language_version:
      - 2
      - 0
    .max_flat_workgroup_size: 1024
    .name:           _ZN4vllm25paged_attention_v1_kernelI14__hip_bfloat16S1_Li112ELi32ELi128ELNS_18Fp8KVCacheDataTypeE0ELb1EEEvPT_PKS3_PKT0_S9_ifPKiSB_iPKfiiiSD_SD_iiiii
    .private_segment_fixed_size: 272
    .sgpr_count:     46
    .sgpr_spill_count: 0
    .symbol:         _ZN4vllm25paged_attention_v1_kernelI14__hip_bfloat16S1_Li112ELi32ELi128ELNS_18Fp8KVCacheDataTypeE0ELb1EEEvPT_PKS3_PKT0_S9_ifPKiSB_iPKfiiiSD_SD_iiiii.kd
    .uniform_work_group_size: 1
    .uses_dynamic_stack: false
    .vgpr_count:     128
    .vgpr_spill_count: 67
    .wavefront_size: 32
    .workgroup_processor_mode: 1
  - .args:
      - .actual_access:  write_only
        .address_space:  global
        .offset:         0
        .size:           8
        .value_kind:     global_buffer
      - .actual_access:  read_only
        .address_space:  global
        .offset:         8
        .size:           8
        .value_kind:     global_buffer
      - .actual_access:  read_only
        .address_space:  global
        .offset:         16
        .size:           8
        .value_kind:     global_buffer
      - .actual_access:  read_only
        .address_space:  global
        .offset:         24
        .size:           8
        .value_kind:     global_buffer
      - .offset:         32
        .size:           4
        .value_kind:     by_value
      - .offset:         36
        .size:           4
        .value_kind:     by_value
      - .actual_access:  read_only
        .address_space:  global
        .offset:         40
        .size:           8
        .value_kind:     global_buffer
      - .actual_access:  read_only
        .address_space:  global
        .offset:         48
        .size:           8
        .value_kind:     global_buffer
      - .offset:         56
        .size:           4
        .value_kind:     by_value
      - .actual_access:  read_only
        .address_space:  global
        .offset:         64
        .size:           8
        .value_kind:     global_buffer
      - .offset:         72
        .size:           4
        .value_kind:     by_value
      - .offset:         76
        .size:           4
        .value_kind:     by_value
      - .offset:         80
        .size:           4
        .value_kind:     by_value
      - .address_space:  global
        .offset:         88
        .size:           8
        .value_kind:     global_buffer
      - .address_space:  global
        .offset:         96
        .size:           8
        .value_kind:     global_buffer
      - .offset:         104
        .size:           4
        .value_kind:     by_value
      - .offset:         108
        .size:           4
        .value_kind:     by_value
      - .offset:         112
        .size:           4
        .value_kind:     by_value
      - .offset:         116
        .size:           4
        .value_kind:     by_value
      - .offset:         120
        .size:           4
        .value_kind:     by_value
      - .offset:         128
        .size:           4
        .value_kind:     hidden_block_count_x
      - .offset:         132
        .size:           4
        .value_kind:     hidden_block_count_y
      - .offset:         136
        .size:           4
        .value_kind:     hidden_block_count_z
      - .offset:         140
        .size:           2
        .value_kind:     hidden_group_size_x
      - .offset:         142
        .size:           2
        .value_kind:     hidden_group_size_y
      - .offset:         144
        .size:           2
        .value_kind:     hidden_group_size_z
      - .offset:         146
        .size:           2
        .value_kind:     hidden_remainder_x
      - .offset:         148
        .size:           2
        .value_kind:     hidden_remainder_y
      - .offset:         150
        .size:           2
        .value_kind:     hidden_remainder_z
      - .offset:         168
        .size:           8
        .value_kind:     hidden_global_offset_x
      - .offset:         176
        .size:           8
        .value_kind:     hidden_global_offset_y
      - .offset:         184
        .size:           8
        .value_kind:     hidden_global_offset_z
      - .offset:         192
        .size:           2
        .value_kind:     hidden_grid_dims
      - .offset:         248
        .size:           4
        .value_kind:     hidden_dynamic_lds_size
    .group_segment_fixed_size: 272
    .kernarg_segment_align: 8
    .kernarg_segment_size: 384
    .language:       OpenCL C
    .language_version:
      - 2
      - 0
    .max_flat_workgroup_size: 1024
    .name:           _ZN4vllm25paged_attention_v1_kernelI14__hip_bfloat16S1_Li120ELi32ELi128ELNS_18Fp8KVCacheDataTypeE0ELb1EEEvPT_PKS3_PKT0_S9_ifPKiSB_iPKfiiiSD_SD_iiiii
    .private_segment_fixed_size: 304
    .sgpr_count:     46
    .sgpr_spill_count: 0
    .symbol:         _ZN4vllm25paged_attention_v1_kernelI14__hip_bfloat16S1_Li120ELi32ELi128ELNS_18Fp8KVCacheDataTypeE0ELb1EEEvPT_PKS3_PKT0_S9_ifPKiSB_iPKfiiiSD_SD_iiiii.kd
    .uniform_work_group_size: 1
    .uses_dynamic_stack: false
    .vgpr_count:     128
    .vgpr_spill_count: 75
    .wavefront_size: 32
    .workgroup_processor_mode: 1
  - .args:
      - .actual_access:  write_only
        .address_space:  global
        .offset:         0
        .size:           8
        .value_kind:     global_buffer
      - .actual_access:  read_only
        .address_space:  global
        .offset:         8
        .size:           8
        .value_kind:     global_buffer
      - .actual_access:  read_only
        .address_space:  global
        .offset:         16
        .size:           8
        .value_kind:     global_buffer
      - .actual_access:  read_only
        .address_space:  global
        .offset:         24
        .size:           8
        .value_kind:     global_buffer
      - .offset:         32
        .size:           4
        .value_kind:     by_value
      - .offset:         36
        .size:           4
        .value_kind:     by_value
      - .actual_access:  read_only
        .address_space:  global
        .offset:         40
        .size:           8
        .value_kind:     global_buffer
      - .actual_access:  read_only
        .address_space:  global
        .offset:         48
        .size:           8
        .value_kind:     global_buffer
      - .offset:         56
        .size:           4
        .value_kind:     by_value
      - .actual_access:  read_only
        .address_space:  global
        .offset:         64
        .size:           8
        .value_kind:     global_buffer
      - .offset:         72
        .size:           4
        .value_kind:     by_value
      - .offset:         76
        .size:           4
        .value_kind:     by_value
      - .offset:         80
        .size:           4
        .value_kind:     by_value
      - .address_space:  global
        .offset:         88
        .size:           8
        .value_kind:     global_buffer
      - .address_space:  global
        .offset:         96
        .size:           8
        .value_kind:     global_buffer
      - .offset:         104
        .size:           4
        .value_kind:     by_value
      - .offset:         108
        .size:           4
        .value_kind:     by_value
      - .offset:         112
        .size:           4
        .value_kind:     by_value
      - .offset:         116
        .size:           4
        .value_kind:     by_value
      - .offset:         120
        .size:           4
        .value_kind:     by_value
      - .offset:         128
        .size:           4
        .value_kind:     hidden_block_count_x
      - .offset:         132
        .size:           4
        .value_kind:     hidden_block_count_y
      - .offset:         136
        .size:           4
        .value_kind:     hidden_block_count_z
      - .offset:         140
        .size:           2
        .value_kind:     hidden_group_size_x
      - .offset:         142
        .size:           2
        .value_kind:     hidden_group_size_y
      - .offset:         144
        .size:           2
        .value_kind:     hidden_group_size_z
      - .offset:         146
        .size:           2
        .value_kind:     hidden_remainder_x
      - .offset:         148
        .size:           2
        .value_kind:     hidden_remainder_y
      - .offset:         150
        .size:           2
        .value_kind:     hidden_remainder_z
      - .offset:         168
        .size:           8
        .value_kind:     hidden_global_offset_x
      - .offset:         176
        .size:           8
        .value_kind:     hidden_global_offset_y
      - .offset:         184
        .size:           8
        .value_kind:     hidden_global_offset_z
      - .offset:         192
        .size:           2
        .value_kind:     hidden_grid_dims
      - .offset:         248
        .size:           4
        .value_kind:     hidden_dynamic_lds_size
    .group_segment_fixed_size: 288
    .kernarg_segment_align: 8
    .kernarg_segment_size: 384
    .language:       OpenCL C
    .language_version:
      - 2
      - 0
    .max_flat_workgroup_size: 1024
    .name:           _ZN4vllm25paged_attention_v1_kernelI14__hip_bfloat16S1_Li128ELi32ELi128ELNS_18Fp8KVCacheDataTypeE0ELb1EEEvPT_PKS3_PKT0_S9_ifPKiSB_iPKfiiiSD_SD_iiiii
    .private_segment_fixed_size: 336
    .sgpr_count:     46
    .sgpr_spill_count: 0
    .symbol:         _ZN4vllm25paged_attention_v1_kernelI14__hip_bfloat16S1_Li128ELi32ELi128ELNS_18Fp8KVCacheDataTypeE0ELb1EEEvPT_PKS3_PKT0_S9_ifPKiSB_iPKfiiiSD_SD_iiiii.kd
    .uniform_work_group_size: 1
    .uses_dynamic_stack: false
    .vgpr_count:     128
    .vgpr_spill_count: 83
    .wavefront_size: 32
    .workgroup_processor_mode: 1
  - .args:
      - .actual_access:  write_only
        .address_space:  global
        .offset:         0
        .size:           8
        .value_kind:     global_buffer
      - .actual_access:  read_only
        .address_space:  global
        .offset:         8
        .size:           8
        .value_kind:     global_buffer
      - .actual_access:  read_only
        .address_space:  global
        .offset:         16
        .size:           8
        .value_kind:     global_buffer
      - .actual_access:  read_only
        .address_space:  global
        .offset:         24
        .size:           8
        .value_kind:     global_buffer
      - .offset:         32
        .size:           4
        .value_kind:     by_value
      - .offset:         36
        .size:           4
        .value_kind:     by_value
      - .actual_access:  read_only
        .address_space:  global
        .offset:         40
        .size:           8
        .value_kind:     global_buffer
      - .actual_access:  read_only
        .address_space:  global
        .offset:         48
        .size:           8
        .value_kind:     global_buffer
      - .offset:         56
        .size:           4
        .value_kind:     by_value
      - .actual_access:  read_only
        .address_space:  global
        .offset:         64
        .size:           8
        .value_kind:     global_buffer
      - .offset:         72
        .size:           4
        .value_kind:     by_value
      - .offset:         76
        .size:           4
        .value_kind:     by_value
      - .offset:         80
        .size:           4
        .value_kind:     by_value
      - .address_space:  global
        .offset:         88
        .size:           8
        .value_kind:     global_buffer
      - .address_space:  global
        .offset:         96
        .size:           8
        .value_kind:     global_buffer
      - .offset:         104
        .size:           4
        .value_kind:     by_value
      - .offset:         108
        .size:           4
        .value_kind:     by_value
      - .offset:         112
        .size:           4
        .value_kind:     by_value
      - .offset:         116
        .size:           4
        .value_kind:     by_value
      - .offset:         120
        .size:           4
        .value_kind:     by_value
      - .offset:         128
        .size:           4
        .value_kind:     hidden_block_count_x
      - .offset:         132
        .size:           4
        .value_kind:     hidden_block_count_y
      - .offset:         136
        .size:           4
        .value_kind:     hidden_block_count_z
      - .offset:         140
        .size:           2
        .value_kind:     hidden_group_size_x
      - .offset:         142
        .size:           2
        .value_kind:     hidden_group_size_y
      - .offset:         144
        .size:           2
        .value_kind:     hidden_group_size_z
      - .offset:         146
        .size:           2
        .value_kind:     hidden_remainder_x
      - .offset:         148
        .size:           2
        .value_kind:     hidden_remainder_y
      - .offset:         150
        .size:           2
        .value_kind:     hidden_remainder_z
      - .offset:         168
        .size:           8
        .value_kind:     hidden_global_offset_x
      - .offset:         176
        .size:           8
        .value_kind:     hidden_global_offset_y
      - .offset:         184
        .size:           8
        .value_kind:     hidden_global_offset_z
      - .offset:         192
        .size:           2
        .value_kind:     hidden_grid_dims
      - .offset:         248
        .size:           4
        .value_kind:     hidden_dynamic_lds_size
    .group_segment_fixed_size: 416
    .kernarg_segment_align: 8
    .kernarg_segment_size: 384
    .language:       OpenCL C
    .language_version:
      - 2
      - 0
    .max_flat_workgroup_size: 1024
    .name:           _ZN4vllm25paged_attention_v1_kernelI14__hip_bfloat16S1_Li192ELi32ELi128ELNS_18Fp8KVCacheDataTypeE0ELb1EEEvPT_PKS3_PKT0_S9_ifPKiSB_iPKfiiiSD_SD_iiiii
    .private_segment_fixed_size: 596
    .sgpr_count:     46
    .sgpr_spill_count: 0
    .symbol:         _ZN4vllm25paged_attention_v1_kernelI14__hip_bfloat16S1_Li192ELi32ELi128ELNS_18Fp8KVCacheDataTypeE0ELb1EEEvPT_PKS3_PKT0_S9_ifPKiSB_iPKfiiiSD_SD_iiiii.kd
    .uniform_work_group_size: 1
    .uses_dynamic_stack: false
    .vgpr_count:     128
    .vgpr_spill_count: 169
    .wavefront_size: 32
    .workgroup_processor_mode: 1
  - .args:
      - .actual_access:  write_only
        .address_space:  global
        .offset:         0
        .size:           8
        .value_kind:     global_buffer
      - .actual_access:  read_only
        .address_space:  global
        .offset:         8
        .size:           8
        .value_kind:     global_buffer
      - .actual_access:  read_only
        .address_space:  global
        .offset:         16
        .size:           8
        .value_kind:     global_buffer
      - .actual_access:  read_only
        .address_space:  global
        .offset:         24
        .size:           8
        .value_kind:     global_buffer
      - .offset:         32
        .size:           4
        .value_kind:     by_value
      - .offset:         36
        .size:           4
        .value_kind:     by_value
      - .actual_access:  read_only
        .address_space:  global
        .offset:         40
        .size:           8
        .value_kind:     global_buffer
      - .actual_access:  read_only
        .address_space:  global
        .offset:         48
        .size:           8
        .value_kind:     global_buffer
      - .offset:         56
        .size:           4
        .value_kind:     by_value
      - .actual_access:  read_only
        .address_space:  global
        .offset:         64
        .size:           8
        .value_kind:     global_buffer
      - .offset:         72
        .size:           4
        .value_kind:     by_value
      - .offset:         76
        .size:           4
        .value_kind:     by_value
      - .offset:         80
        .size:           4
        .value_kind:     by_value
      - .address_space:  global
        .offset:         88
        .size:           8
        .value_kind:     global_buffer
      - .address_space:  global
        .offset:         96
        .size:           8
        .value_kind:     global_buffer
      - .offset:         104
        .size:           4
        .value_kind:     by_value
      - .offset:         108
        .size:           4
        .value_kind:     by_value
      - .offset:         112
        .size:           4
        .value_kind:     by_value
      - .offset:         116
        .size:           4
        .value_kind:     by_value
      - .offset:         120
        .size:           4
        .value_kind:     by_value
      - .offset:         128
        .size:           4
        .value_kind:     hidden_block_count_x
      - .offset:         132
        .size:           4
        .value_kind:     hidden_block_count_y
      - .offset:         136
        .size:           4
        .value_kind:     hidden_block_count_z
      - .offset:         140
        .size:           2
        .value_kind:     hidden_group_size_x
      - .offset:         142
        .size:           2
        .value_kind:     hidden_group_size_y
      - .offset:         144
        .size:           2
        .value_kind:     hidden_group_size_z
      - .offset:         146
        .size:           2
        .value_kind:     hidden_remainder_x
      - .offset:         148
        .size:           2
        .value_kind:     hidden_remainder_y
      - .offset:         150
        .size:           2
        .value_kind:     hidden_remainder_z
      - .offset:         168
        .size:           8
        .value_kind:     hidden_global_offset_x
      - .offset:         176
        .size:           8
        .value_kind:     hidden_global_offset_y
      - .offset:         184
        .size:           8
        .value_kind:     hidden_global_offset_z
      - .offset:         192
        .size:           2
        .value_kind:     hidden_grid_dims
      - .offset:         248
        .size:           4
        .value_kind:     hidden_dynamic_lds_size
    .group_segment_fixed_size: 544
    .kernarg_segment_align: 8
    .kernarg_segment_size: 384
    .language:       OpenCL C
    .language_version:
      - 2
      - 0
    .max_flat_workgroup_size: 1024
    .name:           _ZN4vllm25paged_attention_v1_kernelI14__hip_bfloat16S1_Li256ELi32ELi128ELNS_18Fp8KVCacheDataTypeE0ELb1EEEvPT_PKS3_PKT0_S9_ifPKiSB_iPKfiiiSD_SD_iiiii
    .private_segment_fixed_size: 908
    .sgpr_count:     46
    .sgpr_spill_count: 0
    .symbol:         _ZN4vllm25paged_attention_v1_kernelI14__hip_bfloat16S1_Li256ELi32ELi128ELNS_18Fp8KVCacheDataTypeE0ELb1EEEvPT_PKS3_PKT0_S9_ifPKiSB_iPKfiiiSD_SD_iiiii.kd
    .uniform_work_group_size: 1
    .uses_dynamic_stack: false
    .vgpr_count:     128
    .vgpr_spill_count: 316
    .wavefront_size: 32
    .workgroup_processor_mode: 1
  - .args:
      - .actual_access:  write_only
        .address_space:  global
        .offset:         0
        .size:           8
        .value_kind:     global_buffer
      - .actual_access:  read_only
        .address_space:  global
        .offset:         8
        .size:           8
        .value_kind:     global_buffer
      - .actual_access:  read_only
        .address_space:  global
        .offset:         16
        .size:           8
        .value_kind:     global_buffer
      - .actual_access:  read_only
        .address_space:  global
        .offset:         24
        .size:           8
        .value_kind:     global_buffer
      - .offset:         32
        .size:           4
        .value_kind:     by_value
      - .offset:         36
        .size:           4
        .value_kind:     by_value
      - .actual_access:  read_only
        .address_space:  global
        .offset:         40
        .size:           8
        .value_kind:     global_buffer
      - .actual_access:  read_only
        .address_space:  global
        .offset:         48
        .size:           8
        .value_kind:     global_buffer
      - .offset:         56
        .size:           4
        .value_kind:     by_value
      - .actual_access:  read_only
        .address_space:  global
        .offset:         64
        .size:           8
        .value_kind:     global_buffer
      - .offset:         72
        .size:           4
        .value_kind:     by_value
      - .offset:         76
        .size:           4
        .value_kind:     by_value
      - .offset:         80
        .size:           4
        .value_kind:     by_value
      - .address_space:  global
        .offset:         88
        .size:           8
        .value_kind:     global_buffer
      - .address_space:  global
        .offset:         96
        .size:           8
        .value_kind:     global_buffer
      - .offset:         104
        .size:           4
        .value_kind:     by_value
      - .offset:         108
        .size:           4
        .value_kind:     by_value
      - .offset:         112
        .size:           4
        .value_kind:     by_value
      - .offset:         116
        .size:           4
        .value_kind:     by_value
      - .offset:         120
        .size:           4
        .value_kind:     by_value
      - .offset:         128
        .size:           4
        .value_kind:     hidden_block_count_x
      - .offset:         132
        .size:           4
        .value_kind:     hidden_block_count_y
      - .offset:         136
        .size:           4
        .value_kind:     hidden_block_count_z
      - .offset:         140
        .size:           2
        .value_kind:     hidden_group_size_x
      - .offset:         142
        .size:           2
        .value_kind:     hidden_group_size_y
      - .offset:         144
        .size:           2
        .value_kind:     hidden_group_size_z
      - .offset:         146
        .size:           2
        .value_kind:     hidden_remainder_x
      - .offset:         148
        .size:           2
        .value_kind:     hidden_remainder_y
      - .offset:         150
        .size:           2
        .value_kind:     hidden_remainder_z
      - .offset:         168
        .size:           8
        .value_kind:     hidden_global_offset_x
      - .offset:         176
        .size:           8
        .value_kind:     hidden_global_offset_y
      - .offset:         184
        .size:           8
        .value_kind:     hidden_global_offset_z
      - .offset:         192
        .size:           2
        .value_kind:     hidden_grid_dims
      - .offset:         248
        .size:           4
        .value_kind:     hidden_dynamic_lds_size
    .group_segment_fixed_size: 96
    .kernarg_segment_align: 8
    .kernarg_segment_size: 384
    .language:       OpenCL C
    .language_version:
      - 2
      - 0
    .max_flat_workgroup_size: 1024
    .name:           _ZN4vllm25paged_attention_v1_kernelI14__hip_bfloat16S1_Li32ELi32ELi128ELNS_18Fp8KVCacheDataTypeE0ELb0EEEvPT_PKS3_PKT0_S9_ifPKiSB_iPKfiiiSD_SD_iiiii
    .private_segment_fixed_size: 0
    .sgpr_count:     30
    .sgpr_spill_count: 0
    .symbol:         _ZN4vllm25paged_attention_v1_kernelI14__hip_bfloat16S1_Li32ELi32ELi128ELNS_18Fp8KVCacheDataTypeE0ELb0EEEvPT_PKS3_PKT0_S9_ifPKiSB_iPKfiiiSD_SD_iiiii.kd
    .uniform_work_group_size: 1
    .uses_dynamic_stack: false
    .vgpr_count:     80
    .vgpr_spill_count: 0
    .wavefront_size: 32
    .workgroup_processor_mode: 1
  - .args:
      - .actual_access:  write_only
        .address_space:  global
        .offset:         0
        .size:           8
        .value_kind:     global_buffer
      - .actual_access:  read_only
        .address_space:  global
        .offset:         8
        .size:           8
        .value_kind:     global_buffer
      - .actual_access:  read_only
        .address_space:  global
        .offset:         16
        .size:           8
        .value_kind:     global_buffer
      - .actual_access:  read_only
        .address_space:  global
        .offset:         24
        .size:           8
        .value_kind:     global_buffer
      - .offset:         32
        .size:           4
        .value_kind:     by_value
      - .offset:         36
        .size:           4
        .value_kind:     by_value
      - .actual_access:  read_only
        .address_space:  global
        .offset:         40
        .size:           8
        .value_kind:     global_buffer
      - .actual_access:  read_only
        .address_space:  global
        .offset:         48
        .size:           8
        .value_kind:     global_buffer
      - .offset:         56
        .size:           4
        .value_kind:     by_value
      - .actual_access:  read_only
        .address_space:  global
        .offset:         64
        .size:           8
        .value_kind:     global_buffer
      - .offset:         72
        .size:           4
        .value_kind:     by_value
      - .offset:         76
        .size:           4
        .value_kind:     by_value
      - .offset:         80
        .size:           4
        .value_kind:     by_value
      - .address_space:  global
        .offset:         88
        .size:           8
        .value_kind:     global_buffer
      - .address_space:  global
        .offset:         96
        .size:           8
        .value_kind:     global_buffer
      - .offset:         104
        .size:           4
        .value_kind:     by_value
      - .offset:         108
        .size:           4
        .value_kind:     by_value
      - .offset:         112
        .size:           4
        .value_kind:     by_value
      - .offset:         116
        .size:           4
        .value_kind:     by_value
      - .offset:         120
        .size:           4
        .value_kind:     by_value
      - .offset:         128
        .size:           4
        .value_kind:     hidden_block_count_x
      - .offset:         132
        .size:           4
        .value_kind:     hidden_block_count_y
      - .offset:         136
        .size:           4
        .value_kind:     hidden_block_count_z
      - .offset:         140
        .size:           2
        .value_kind:     hidden_group_size_x
      - .offset:         142
        .size:           2
        .value_kind:     hidden_group_size_y
      - .offset:         144
        .size:           2
        .value_kind:     hidden_group_size_z
      - .offset:         146
        .size:           2
        .value_kind:     hidden_remainder_x
      - .offset:         148
        .size:           2
        .value_kind:     hidden_remainder_y
      - .offset:         150
        .size:           2
        .value_kind:     hidden_remainder_z
      - .offset:         168
        .size:           8
        .value_kind:     hidden_global_offset_x
      - .offset:         176
        .size:           8
        .value_kind:     hidden_global_offset_y
      - .offset:         184
        .size:           8
        .value_kind:     hidden_global_offset_z
      - .offset:         192
        .size:           2
        .value_kind:     hidden_grid_dims
      - .offset:         248
        .size:           4
        .value_kind:     hidden_dynamic_lds_size
    .group_segment_fixed_size: 160
    .kernarg_segment_align: 8
    .kernarg_segment_size: 384
    .language:       OpenCL C
    .language_version:
      - 2
      - 0
    .max_flat_workgroup_size: 1024
    .name:           _ZN4vllm25paged_attention_v1_kernelI14__hip_bfloat16S1_Li64ELi32ELi128ELNS_18Fp8KVCacheDataTypeE0ELb0EEEvPT_PKS3_PKT0_S9_ifPKiSB_iPKfiiiSD_SD_iiiii
    .private_segment_fixed_size: 0
    .sgpr_count:     30
    .sgpr_spill_count: 0
    .symbol:         _ZN4vllm25paged_attention_v1_kernelI14__hip_bfloat16S1_Li64ELi32ELi128ELNS_18Fp8KVCacheDataTypeE0ELb0EEEvPT_PKS3_PKT0_S9_ifPKiSB_iPKfiiiSD_SD_iiiii.kd
    .uniform_work_group_size: 1
    .uses_dynamic_stack: false
    .vgpr_count:     113
    .vgpr_spill_count: 0
    .wavefront_size: 32
    .workgroup_processor_mode: 1
  - .args:
      - .actual_access:  write_only
        .address_space:  global
        .offset:         0
        .size:           8
        .value_kind:     global_buffer
      - .actual_access:  read_only
        .address_space:  global
        .offset:         8
        .size:           8
        .value_kind:     global_buffer
      - .actual_access:  read_only
        .address_space:  global
        .offset:         16
        .size:           8
        .value_kind:     global_buffer
      - .actual_access:  read_only
        .address_space:  global
        .offset:         24
        .size:           8
        .value_kind:     global_buffer
      - .offset:         32
        .size:           4
        .value_kind:     by_value
      - .offset:         36
        .size:           4
        .value_kind:     by_value
      - .actual_access:  read_only
        .address_space:  global
        .offset:         40
        .size:           8
        .value_kind:     global_buffer
      - .actual_access:  read_only
        .address_space:  global
        .offset:         48
        .size:           8
        .value_kind:     global_buffer
      - .offset:         56
        .size:           4
        .value_kind:     by_value
      - .actual_access:  read_only
        .address_space:  global
        .offset:         64
        .size:           8
        .value_kind:     global_buffer
      - .offset:         72
        .size:           4
        .value_kind:     by_value
      - .offset:         76
        .size:           4
        .value_kind:     by_value
      - .offset:         80
        .size:           4
        .value_kind:     by_value
      - .address_space:  global
        .offset:         88
        .size:           8
        .value_kind:     global_buffer
      - .address_space:  global
        .offset:         96
        .size:           8
        .value_kind:     global_buffer
      - .offset:         104
        .size:           4
        .value_kind:     by_value
      - .offset:         108
        .size:           4
        .value_kind:     by_value
      - .offset:         112
        .size:           4
        .value_kind:     by_value
      - .offset:         116
        .size:           4
        .value_kind:     by_value
      - .offset:         120
        .size:           4
        .value_kind:     by_value
      - .offset:         128
        .size:           4
        .value_kind:     hidden_block_count_x
      - .offset:         132
        .size:           4
        .value_kind:     hidden_block_count_y
      - .offset:         136
        .size:           4
        .value_kind:     hidden_block_count_z
      - .offset:         140
        .size:           2
        .value_kind:     hidden_group_size_x
      - .offset:         142
        .size:           2
        .value_kind:     hidden_group_size_y
      - .offset:         144
        .size:           2
        .value_kind:     hidden_group_size_z
      - .offset:         146
        .size:           2
        .value_kind:     hidden_remainder_x
      - .offset:         148
        .size:           2
        .value_kind:     hidden_remainder_y
      - .offset:         150
        .size:           2
        .value_kind:     hidden_remainder_z
      - .offset:         168
        .size:           8
        .value_kind:     hidden_global_offset_x
      - .offset:         176
        .size:           8
        .value_kind:     hidden_global_offset_y
      - .offset:         184
        .size:           8
        .value_kind:     hidden_global_offset_z
      - .offset:         192
        .size:           2
        .value_kind:     hidden_grid_dims
      - .offset:         248
        .size:           4
        .value_kind:     hidden_dynamic_lds_size
    .group_segment_fixed_size: 192
    .kernarg_segment_align: 8
    .kernarg_segment_size: 384
    .language:       OpenCL C
    .language_version:
      - 2
      - 0
    .max_flat_workgroup_size: 1024
    .name:           _ZN4vllm25paged_attention_v1_kernelI14__hip_bfloat16S1_Li80ELi32ELi128ELNS_18Fp8KVCacheDataTypeE0ELb0EEEvPT_PKS3_PKT0_S9_ifPKiSB_iPKfiiiSD_SD_iiiii
    .private_segment_fixed_size: 44
    .sgpr_count:     34
    .sgpr_spill_count: 0
    .symbol:         _ZN4vllm25paged_attention_v1_kernelI14__hip_bfloat16S1_Li80ELi32ELi128ELNS_18Fp8KVCacheDataTypeE0ELb0EEEvPT_PKS3_PKT0_S9_ifPKiSB_iPKfiiiSD_SD_iiiii.kd
    .uniform_work_group_size: 1
    .uses_dynamic_stack: false
    .vgpr_count:     128
    .vgpr_spill_count: 10
    .wavefront_size: 32
    .workgroup_processor_mode: 1
  - .args:
      - .actual_access:  write_only
        .address_space:  global
        .offset:         0
        .size:           8
        .value_kind:     global_buffer
      - .actual_access:  read_only
        .address_space:  global
        .offset:         8
        .size:           8
        .value_kind:     global_buffer
      - .actual_access:  read_only
        .address_space:  global
        .offset:         16
        .size:           8
        .value_kind:     global_buffer
      - .actual_access:  read_only
        .address_space:  global
        .offset:         24
        .size:           8
        .value_kind:     global_buffer
      - .offset:         32
        .size:           4
        .value_kind:     by_value
      - .offset:         36
        .size:           4
        .value_kind:     by_value
      - .actual_access:  read_only
        .address_space:  global
        .offset:         40
        .size:           8
        .value_kind:     global_buffer
      - .actual_access:  read_only
        .address_space:  global
        .offset:         48
        .size:           8
        .value_kind:     global_buffer
      - .offset:         56
        .size:           4
        .value_kind:     by_value
      - .actual_access:  read_only
        .address_space:  global
        .offset:         64
        .size:           8
        .value_kind:     global_buffer
      - .offset:         72
        .size:           4
        .value_kind:     by_value
      - .offset:         76
        .size:           4
        .value_kind:     by_value
      - .offset:         80
        .size:           4
        .value_kind:     by_value
      - .address_space:  global
        .offset:         88
        .size:           8
        .value_kind:     global_buffer
      - .address_space:  global
        .offset:         96
        .size:           8
        .value_kind:     global_buffer
      - .offset:         104
        .size:           4
        .value_kind:     by_value
      - .offset:         108
        .size:           4
        .value_kind:     by_value
      - .offset:         112
        .size:           4
        .value_kind:     by_value
      - .offset:         116
        .size:           4
        .value_kind:     by_value
      - .offset:         120
        .size:           4
        .value_kind:     by_value
      - .offset:         128
        .size:           4
        .value_kind:     hidden_block_count_x
      - .offset:         132
        .size:           4
        .value_kind:     hidden_block_count_y
      - .offset:         136
        .size:           4
        .value_kind:     hidden_block_count_z
      - .offset:         140
        .size:           2
        .value_kind:     hidden_group_size_x
      - .offset:         142
        .size:           2
        .value_kind:     hidden_group_size_y
      - .offset:         144
        .size:           2
        .value_kind:     hidden_group_size_z
      - .offset:         146
        .size:           2
        .value_kind:     hidden_remainder_x
      - .offset:         148
        .size:           2
        .value_kind:     hidden_remainder_y
      - .offset:         150
        .size:           2
        .value_kind:     hidden_remainder_z
      - .offset:         168
        .size:           8
        .value_kind:     hidden_global_offset_x
      - .offset:         176
        .size:           8
        .value_kind:     hidden_global_offset_y
      - .offset:         184
        .size:           8
        .value_kind:     hidden_global_offset_z
      - .offset:         192
        .size:           2
        .value_kind:     hidden_grid_dims
      - .offset:         248
        .size:           4
        .value_kind:     hidden_dynamic_lds_size
    .group_segment_fixed_size: 224
    .kernarg_segment_align: 8
    .kernarg_segment_size: 384
    .language:       OpenCL C
    .language_version:
      - 2
      - 0
    .max_flat_workgroup_size: 1024
    .name:           _ZN4vllm25paged_attention_v1_kernelI14__hip_bfloat16S1_Li96ELi32ELi128ELNS_18Fp8KVCacheDataTypeE0ELb0EEEvPT_PKS3_PKT0_S9_ifPKiSB_iPKfiiiSD_SD_iiiii
    .private_segment_fixed_size: 164
    .sgpr_count:     34
    .sgpr_spill_count: 0
    .symbol:         _ZN4vllm25paged_attention_v1_kernelI14__hip_bfloat16S1_Li96ELi32ELi128ELNS_18Fp8KVCacheDataTypeE0ELb0EEEvPT_PKS3_PKT0_S9_ifPKiSB_iPKfiiiSD_SD_iiiii.kd
    .uniform_work_group_size: 1
    .uses_dynamic_stack: false
    .vgpr_count:     128
    .vgpr_spill_count: 40
    .wavefront_size: 32
    .workgroup_processor_mode: 1
  - .args:
      - .actual_access:  write_only
        .address_space:  global
        .offset:         0
        .size:           8
        .value_kind:     global_buffer
      - .actual_access:  read_only
        .address_space:  global
        .offset:         8
        .size:           8
        .value_kind:     global_buffer
      - .actual_access:  read_only
        .address_space:  global
        .offset:         16
        .size:           8
        .value_kind:     global_buffer
      - .actual_access:  read_only
        .address_space:  global
        .offset:         24
        .size:           8
        .value_kind:     global_buffer
      - .offset:         32
        .size:           4
        .value_kind:     by_value
      - .offset:         36
        .size:           4
        .value_kind:     by_value
      - .actual_access:  read_only
        .address_space:  global
        .offset:         40
        .size:           8
        .value_kind:     global_buffer
      - .actual_access:  read_only
        .address_space:  global
        .offset:         48
        .size:           8
        .value_kind:     global_buffer
      - .offset:         56
        .size:           4
        .value_kind:     by_value
      - .actual_access:  read_only
        .address_space:  global
        .offset:         64
        .size:           8
        .value_kind:     global_buffer
      - .offset:         72
        .size:           4
        .value_kind:     by_value
      - .offset:         76
        .size:           4
        .value_kind:     by_value
      - .offset:         80
        .size:           4
        .value_kind:     by_value
      - .address_space:  global
        .offset:         88
        .size:           8
        .value_kind:     global_buffer
      - .address_space:  global
        .offset:         96
        .size:           8
        .value_kind:     global_buffer
      - .offset:         104
        .size:           4
        .value_kind:     by_value
      - .offset:         108
        .size:           4
        .value_kind:     by_value
      - .offset:         112
        .size:           4
        .value_kind:     by_value
      - .offset:         116
        .size:           4
        .value_kind:     by_value
      - .offset:         120
        .size:           4
        .value_kind:     by_value
      - .offset:         128
        .size:           4
        .value_kind:     hidden_block_count_x
      - .offset:         132
        .size:           4
        .value_kind:     hidden_block_count_y
      - .offset:         136
        .size:           4
        .value_kind:     hidden_block_count_z
      - .offset:         140
        .size:           2
        .value_kind:     hidden_group_size_x
      - .offset:         142
        .size:           2
        .value_kind:     hidden_group_size_y
      - .offset:         144
        .size:           2
        .value_kind:     hidden_group_size_z
      - .offset:         146
        .size:           2
        .value_kind:     hidden_remainder_x
      - .offset:         148
        .size:           2
        .value_kind:     hidden_remainder_y
      - .offset:         150
        .size:           2
        .value_kind:     hidden_remainder_z
      - .offset:         168
        .size:           8
        .value_kind:     hidden_global_offset_x
      - .offset:         176
        .size:           8
        .value_kind:     hidden_global_offset_y
      - .offset:         184
        .size:           8
        .value_kind:     hidden_global_offset_z
      - .offset:         192
        .size:           2
        .value_kind:     hidden_grid_dims
      - .offset:         248
        .size:           4
        .value_kind:     hidden_dynamic_lds_size
    .group_segment_fixed_size: 256
    .kernarg_segment_align: 8
    .kernarg_segment_size: 384
    .language:       OpenCL C
    .language_version:
      - 2
      - 0
    .max_flat_workgroup_size: 1024
    .name:           _ZN4vllm25paged_attention_v1_kernelI14__hip_bfloat16S1_Li112ELi32ELi128ELNS_18Fp8KVCacheDataTypeE0ELb0EEEvPT_PKS3_PKT0_S9_ifPKiSB_iPKfiiiSD_SD_iiiii
    .private_segment_fixed_size: 264
    .sgpr_count:     34
    .sgpr_spill_count: 0
    .symbol:         _ZN4vllm25paged_attention_v1_kernelI14__hip_bfloat16S1_Li112ELi32ELi128ELNS_18Fp8KVCacheDataTypeE0ELb0EEEvPT_PKS3_PKT0_S9_ifPKiSB_iPKfiiiSD_SD_iiiii.kd
    .uniform_work_group_size: 1
    .uses_dynamic_stack: false
    .vgpr_count:     128
    .vgpr_spill_count: 65
    .wavefront_size: 32
    .workgroup_processor_mode: 1
  - .args:
      - .actual_access:  write_only
        .address_space:  global
        .offset:         0
        .size:           8
        .value_kind:     global_buffer
      - .actual_access:  read_only
        .address_space:  global
        .offset:         8
        .size:           8
        .value_kind:     global_buffer
      - .actual_access:  read_only
        .address_space:  global
        .offset:         16
        .size:           8
        .value_kind:     global_buffer
      - .actual_access:  read_only
        .address_space:  global
        .offset:         24
        .size:           8
        .value_kind:     global_buffer
      - .offset:         32
        .size:           4
        .value_kind:     by_value
      - .offset:         36
        .size:           4
        .value_kind:     by_value
      - .actual_access:  read_only
        .address_space:  global
        .offset:         40
        .size:           8
        .value_kind:     global_buffer
      - .actual_access:  read_only
        .address_space:  global
        .offset:         48
        .size:           8
        .value_kind:     global_buffer
      - .offset:         56
        .size:           4
        .value_kind:     by_value
      - .actual_access:  read_only
        .address_space:  global
        .offset:         64
        .size:           8
        .value_kind:     global_buffer
      - .offset:         72
        .size:           4
        .value_kind:     by_value
      - .offset:         76
        .size:           4
        .value_kind:     by_value
      - .offset:         80
        .size:           4
        .value_kind:     by_value
      - .address_space:  global
        .offset:         88
        .size:           8
        .value_kind:     global_buffer
      - .address_space:  global
        .offset:         96
        .size:           8
        .value_kind:     global_buffer
      - .offset:         104
        .size:           4
        .value_kind:     by_value
      - .offset:         108
        .size:           4
        .value_kind:     by_value
      - .offset:         112
        .size:           4
        .value_kind:     by_value
      - .offset:         116
        .size:           4
        .value_kind:     by_value
      - .offset:         120
        .size:           4
        .value_kind:     by_value
      - .offset:         128
        .size:           4
        .value_kind:     hidden_block_count_x
      - .offset:         132
        .size:           4
        .value_kind:     hidden_block_count_y
      - .offset:         136
        .size:           4
        .value_kind:     hidden_block_count_z
      - .offset:         140
        .size:           2
        .value_kind:     hidden_group_size_x
      - .offset:         142
        .size:           2
        .value_kind:     hidden_group_size_y
      - .offset:         144
        .size:           2
        .value_kind:     hidden_group_size_z
      - .offset:         146
        .size:           2
        .value_kind:     hidden_remainder_x
      - .offset:         148
        .size:           2
        .value_kind:     hidden_remainder_y
      - .offset:         150
        .size:           2
        .value_kind:     hidden_remainder_z
      - .offset:         168
        .size:           8
        .value_kind:     hidden_global_offset_x
      - .offset:         176
        .size:           8
        .value_kind:     hidden_global_offset_y
      - .offset:         184
        .size:           8
        .value_kind:     hidden_global_offset_z
      - .offset:         192
        .size:           2
        .value_kind:     hidden_grid_dims
      - .offset:         248
        .size:           4
        .value_kind:     hidden_dynamic_lds_size
    .group_segment_fixed_size: 272
    .kernarg_segment_align: 8
    .kernarg_segment_size: 384
    .language:       OpenCL C
    .language_version:
      - 2
      - 0
    .max_flat_workgroup_size: 1024
    .name:           _ZN4vllm25paged_attention_v1_kernelI14__hip_bfloat16S1_Li120ELi32ELi128ELNS_18Fp8KVCacheDataTypeE0ELb0EEEvPT_PKS3_PKT0_S9_ifPKiSB_iPKfiiiSD_SD_iiiii
    .private_segment_fixed_size: 292
    .sgpr_count:     42
    .sgpr_spill_count: 0
    .symbol:         _ZN4vllm25paged_attention_v1_kernelI14__hip_bfloat16S1_Li120ELi32ELi128ELNS_18Fp8KVCacheDataTypeE0ELb0EEEvPT_PKS3_PKT0_S9_ifPKiSB_iPKfiiiSD_SD_iiiii.kd
    .uniform_work_group_size: 1
    .uses_dynamic_stack: false
    .vgpr_count:     128
    .vgpr_spill_count: 72
    .wavefront_size: 32
    .workgroup_processor_mode: 1
  - .args:
      - .actual_access:  write_only
        .address_space:  global
        .offset:         0
        .size:           8
        .value_kind:     global_buffer
      - .actual_access:  read_only
        .address_space:  global
        .offset:         8
        .size:           8
        .value_kind:     global_buffer
      - .actual_access:  read_only
        .address_space:  global
        .offset:         16
        .size:           8
        .value_kind:     global_buffer
      - .actual_access:  read_only
        .address_space:  global
        .offset:         24
        .size:           8
        .value_kind:     global_buffer
      - .offset:         32
        .size:           4
        .value_kind:     by_value
      - .offset:         36
        .size:           4
        .value_kind:     by_value
      - .actual_access:  read_only
        .address_space:  global
        .offset:         40
        .size:           8
        .value_kind:     global_buffer
      - .actual_access:  read_only
        .address_space:  global
        .offset:         48
        .size:           8
        .value_kind:     global_buffer
      - .offset:         56
        .size:           4
        .value_kind:     by_value
      - .actual_access:  read_only
        .address_space:  global
        .offset:         64
        .size:           8
        .value_kind:     global_buffer
      - .offset:         72
        .size:           4
        .value_kind:     by_value
      - .offset:         76
        .size:           4
        .value_kind:     by_value
      - .offset:         80
        .size:           4
        .value_kind:     by_value
      - .address_space:  global
        .offset:         88
        .size:           8
        .value_kind:     global_buffer
      - .address_space:  global
        .offset:         96
        .size:           8
        .value_kind:     global_buffer
      - .offset:         104
        .size:           4
        .value_kind:     by_value
      - .offset:         108
        .size:           4
        .value_kind:     by_value
      - .offset:         112
        .size:           4
        .value_kind:     by_value
      - .offset:         116
        .size:           4
        .value_kind:     by_value
      - .offset:         120
        .size:           4
        .value_kind:     by_value
      - .offset:         128
        .size:           4
        .value_kind:     hidden_block_count_x
      - .offset:         132
        .size:           4
        .value_kind:     hidden_block_count_y
      - .offset:         136
        .size:           4
        .value_kind:     hidden_block_count_z
      - .offset:         140
        .size:           2
        .value_kind:     hidden_group_size_x
      - .offset:         142
        .size:           2
        .value_kind:     hidden_group_size_y
      - .offset:         144
        .size:           2
        .value_kind:     hidden_group_size_z
      - .offset:         146
        .size:           2
        .value_kind:     hidden_remainder_x
      - .offset:         148
        .size:           2
        .value_kind:     hidden_remainder_y
      - .offset:         150
        .size:           2
        .value_kind:     hidden_remainder_z
      - .offset:         168
        .size:           8
        .value_kind:     hidden_global_offset_x
      - .offset:         176
        .size:           8
        .value_kind:     hidden_global_offset_y
      - .offset:         184
        .size:           8
        .value_kind:     hidden_global_offset_z
      - .offset:         192
        .size:           2
        .value_kind:     hidden_grid_dims
      - .offset:         248
        .size:           4
        .value_kind:     hidden_dynamic_lds_size
    .group_segment_fixed_size: 288
    .kernarg_segment_align: 8
    .kernarg_segment_size: 384
    .language:       OpenCL C
    .language_version:
      - 2
      - 0
    .max_flat_workgroup_size: 1024
    .name:           _ZN4vllm25paged_attention_v1_kernelI14__hip_bfloat16S1_Li128ELi32ELi128ELNS_18Fp8KVCacheDataTypeE0ELb0EEEvPT_PKS3_PKT0_S9_ifPKiSB_iPKfiiiSD_SD_iiiii
    .private_segment_fixed_size: 324
    .sgpr_count:     42
    .sgpr_spill_count: 0
    .symbol:         _ZN4vllm25paged_attention_v1_kernelI14__hip_bfloat16S1_Li128ELi32ELi128ELNS_18Fp8KVCacheDataTypeE0ELb0EEEvPT_PKS3_PKT0_S9_ifPKiSB_iPKfiiiSD_SD_iiiii.kd
    .uniform_work_group_size: 1
    .uses_dynamic_stack: false
    .vgpr_count:     128
    .vgpr_spill_count: 80
    .wavefront_size: 32
    .workgroup_processor_mode: 1
  - .args:
      - .actual_access:  write_only
        .address_space:  global
        .offset:         0
        .size:           8
        .value_kind:     global_buffer
      - .actual_access:  read_only
        .address_space:  global
        .offset:         8
        .size:           8
        .value_kind:     global_buffer
      - .actual_access:  read_only
        .address_space:  global
        .offset:         16
        .size:           8
        .value_kind:     global_buffer
      - .actual_access:  read_only
        .address_space:  global
        .offset:         24
        .size:           8
        .value_kind:     global_buffer
      - .offset:         32
        .size:           4
        .value_kind:     by_value
      - .offset:         36
        .size:           4
        .value_kind:     by_value
      - .actual_access:  read_only
        .address_space:  global
        .offset:         40
        .size:           8
        .value_kind:     global_buffer
      - .actual_access:  read_only
        .address_space:  global
        .offset:         48
        .size:           8
        .value_kind:     global_buffer
      - .offset:         56
        .size:           4
        .value_kind:     by_value
      - .actual_access:  read_only
        .address_space:  global
        .offset:         64
        .size:           8
        .value_kind:     global_buffer
      - .offset:         72
        .size:           4
        .value_kind:     by_value
      - .offset:         76
        .size:           4
        .value_kind:     by_value
      - .offset:         80
        .size:           4
        .value_kind:     by_value
      - .address_space:  global
        .offset:         88
        .size:           8
        .value_kind:     global_buffer
      - .address_space:  global
        .offset:         96
        .size:           8
        .value_kind:     global_buffer
      - .offset:         104
        .size:           4
        .value_kind:     by_value
      - .offset:         108
        .size:           4
        .value_kind:     by_value
      - .offset:         112
        .size:           4
        .value_kind:     by_value
      - .offset:         116
        .size:           4
        .value_kind:     by_value
      - .offset:         120
        .size:           4
        .value_kind:     by_value
      - .offset:         128
        .size:           4
        .value_kind:     hidden_block_count_x
      - .offset:         132
        .size:           4
        .value_kind:     hidden_block_count_y
      - .offset:         136
        .size:           4
        .value_kind:     hidden_block_count_z
      - .offset:         140
        .size:           2
        .value_kind:     hidden_group_size_x
      - .offset:         142
        .size:           2
        .value_kind:     hidden_group_size_y
      - .offset:         144
        .size:           2
        .value_kind:     hidden_group_size_z
      - .offset:         146
        .size:           2
        .value_kind:     hidden_remainder_x
      - .offset:         148
        .size:           2
        .value_kind:     hidden_remainder_y
      - .offset:         150
        .size:           2
        .value_kind:     hidden_remainder_z
      - .offset:         168
        .size:           8
        .value_kind:     hidden_global_offset_x
      - .offset:         176
        .size:           8
        .value_kind:     hidden_global_offset_y
      - .offset:         184
        .size:           8
        .value_kind:     hidden_global_offset_z
      - .offset:         192
        .size:           2
        .value_kind:     hidden_grid_dims
      - .offset:         248
        .size:           4
        .value_kind:     hidden_dynamic_lds_size
    .group_segment_fixed_size: 416
    .kernarg_segment_align: 8
    .kernarg_segment_size: 384
    .language:       OpenCL C
    .language_version:
      - 2
      - 0
    .max_flat_workgroup_size: 1024
    .name:           _ZN4vllm25paged_attention_v1_kernelI14__hip_bfloat16S1_Li192ELi32ELi128ELNS_18Fp8KVCacheDataTypeE0ELb0EEEvPT_PKS3_PKT0_S9_ifPKiSB_iPKfiiiSD_SD_iiiii
    .private_segment_fixed_size: 584
    .sgpr_count:     42
    .sgpr_spill_count: 0
    .symbol:         _ZN4vllm25paged_attention_v1_kernelI14__hip_bfloat16S1_Li192ELi32ELi128ELNS_18Fp8KVCacheDataTypeE0ELb0EEEvPT_PKS3_PKT0_S9_ifPKiSB_iPKfiiiSD_SD_iiiii.kd
    .uniform_work_group_size: 1
    .uses_dynamic_stack: false
    .vgpr_count:     128
    .vgpr_spill_count: 163
    .wavefront_size: 32
    .workgroup_processor_mode: 1
  - .args:
      - .actual_access:  write_only
        .address_space:  global
        .offset:         0
        .size:           8
        .value_kind:     global_buffer
      - .actual_access:  read_only
        .address_space:  global
        .offset:         8
        .size:           8
        .value_kind:     global_buffer
      - .actual_access:  read_only
        .address_space:  global
        .offset:         16
        .size:           8
        .value_kind:     global_buffer
      - .actual_access:  read_only
        .address_space:  global
        .offset:         24
        .size:           8
        .value_kind:     global_buffer
      - .offset:         32
        .size:           4
        .value_kind:     by_value
      - .offset:         36
        .size:           4
        .value_kind:     by_value
      - .actual_access:  read_only
        .address_space:  global
        .offset:         40
        .size:           8
        .value_kind:     global_buffer
      - .actual_access:  read_only
        .address_space:  global
        .offset:         48
        .size:           8
        .value_kind:     global_buffer
      - .offset:         56
        .size:           4
        .value_kind:     by_value
      - .actual_access:  read_only
        .address_space:  global
        .offset:         64
        .size:           8
        .value_kind:     global_buffer
      - .offset:         72
        .size:           4
        .value_kind:     by_value
      - .offset:         76
        .size:           4
        .value_kind:     by_value
      - .offset:         80
        .size:           4
        .value_kind:     by_value
      - .address_space:  global
        .offset:         88
        .size:           8
        .value_kind:     global_buffer
      - .address_space:  global
        .offset:         96
        .size:           8
        .value_kind:     global_buffer
      - .offset:         104
        .size:           4
        .value_kind:     by_value
      - .offset:         108
        .size:           4
        .value_kind:     by_value
      - .offset:         112
        .size:           4
        .value_kind:     by_value
      - .offset:         116
        .size:           4
        .value_kind:     by_value
      - .offset:         120
        .size:           4
        .value_kind:     by_value
      - .offset:         128
        .size:           4
        .value_kind:     hidden_block_count_x
      - .offset:         132
        .size:           4
        .value_kind:     hidden_block_count_y
      - .offset:         136
        .size:           4
        .value_kind:     hidden_block_count_z
      - .offset:         140
        .size:           2
        .value_kind:     hidden_group_size_x
      - .offset:         142
        .size:           2
        .value_kind:     hidden_group_size_y
      - .offset:         144
        .size:           2
        .value_kind:     hidden_group_size_z
      - .offset:         146
        .size:           2
        .value_kind:     hidden_remainder_x
      - .offset:         148
        .size:           2
        .value_kind:     hidden_remainder_y
      - .offset:         150
        .size:           2
        .value_kind:     hidden_remainder_z
      - .offset:         168
        .size:           8
        .value_kind:     hidden_global_offset_x
      - .offset:         176
        .size:           8
        .value_kind:     hidden_global_offset_y
      - .offset:         184
        .size:           8
        .value_kind:     hidden_global_offset_z
      - .offset:         192
        .size:           2
        .value_kind:     hidden_grid_dims
      - .offset:         248
        .size:           4
        .value_kind:     hidden_dynamic_lds_size
    .group_segment_fixed_size: 544
    .kernarg_segment_align: 8
    .kernarg_segment_size: 384
    .language:       OpenCL C
    .language_version:
      - 2
      - 0
    .max_flat_workgroup_size: 1024
    .name:           _ZN4vllm25paged_attention_v1_kernelI14__hip_bfloat16S1_Li256ELi32ELi128ELNS_18Fp8KVCacheDataTypeE0ELb0EEEvPT_PKS3_PKT0_S9_ifPKiSB_iPKfiiiSD_SD_iiiii
    .private_segment_fixed_size: 912
    .sgpr_count:     42
    .sgpr_spill_count: 0
    .symbol:         _ZN4vllm25paged_attention_v1_kernelI14__hip_bfloat16S1_Li256ELi32ELi128ELNS_18Fp8KVCacheDataTypeE0ELb0EEEvPT_PKS3_PKT0_S9_ifPKiSB_iPKfiiiSD_SD_iiiii.kd
    .uniform_work_group_size: 1
    .uses_dynamic_stack: false
    .vgpr_count:     128
    .vgpr_spill_count: 318
    .wavefront_size: 32
    .workgroup_processor_mode: 1
  - .args:
      - .actual_access:  write_only
        .address_space:  global
        .offset:         0
        .size:           8
        .value_kind:     global_buffer
      - .actual_access:  read_only
        .address_space:  global
        .offset:         8
        .size:           8
        .value_kind:     global_buffer
      - .actual_access:  read_only
        .address_space:  global
        .offset:         16
        .size:           8
        .value_kind:     global_buffer
      - .actual_access:  read_only
        .address_space:  global
        .offset:         24
        .size:           8
        .value_kind:     global_buffer
      - .offset:         32
        .size:           4
        .value_kind:     by_value
      - .offset:         36
        .size:           4
        .value_kind:     by_value
      - .actual_access:  read_only
        .address_space:  global
        .offset:         40
        .size:           8
        .value_kind:     global_buffer
      - .actual_access:  read_only
        .address_space:  global
        .offset:         48
        .size:           8
        .value_kind:     global_buffer
      - .offset:         56
        .size:           4
        .value_kind:     by_value
      - .actual_access:  read_only
        .address_space:  global
        .offset:         64
        .size:           8
        .value_kind:     global_buffer
      - .offset:         72
        .size:           4
        .value_kind:     by_value
      - .offset:         76
        .size:           4
        .value_kind:     by_value
      - .offset:         80
        .size:           4
        .value_kind:     by_value
      - .address_space:  global
        .offset:         88
        .size:           8
        .value_kind:     global_buffer
      - .address_space:  global
        .offset:         96
        .size:           8
        .value_kind:     global_buffer
      - .offset:         104
        .size:           4
        .value_kind:     by_value
      - .offset:         108
        .size:           4
        .value_kind:     by_value
      - .offset:         112
        .size:           4
        .value_kind:     by_value
      - .offset:         116
        .size:           4
        .value_kind:     by_value
      - .offset:         120
        .size:           4
        .value_kind:     by_value
      - .offset:         128
        .size:           4
        .value_kind:     hidden_block_count_x
      - .offset:         132
        .size:           4
        .value_kind:     hidden_block_count_y
      - .offset:         136
        .size:           4
        .value_kind:     hidden_block_count_z
      - .offset:         140
        .size:           2
        .value_kind:     hidden_group_size_x
      - .offset:         142
        .size:           2
        .value_kind:     hidden_group_size_y
      - .offset:         144
        .size:           2
        .value_kind:     hidden_group_size_z
      - .offset:         146
        .size:           2
        .value_kind:     hidden_remainder_x
      - .offset:         148
        .size:           2
        .value_kind:     hidden_remainder_y
      - .offset:         150
        .size:           2
        .value_kind:     hidden_remainder_z
      - .offset:         168
        .size:           8
        .value_kind:     hidden_global_offset_x
      - .offset:         176
        .size:           8
        .value_kind:     hidden_global_offset_y
      - .offset:         184
        .size:           8
        .value_kind:     hidden_global_offset_z
      - .offset:         192
        .size:           2
        .value_kind:     hidden_grid_dims
      - .offset:         248
        .size:           4
        .value_kind:     hidden_dynamic_lds_size
    .group_segment_fixed_size: 160
    .kernarg_segment_align: 8
    .kernarg_segment_size: 384
    .language:       OpenCL C
    .language_version:
      - 2
      - 0
    .max_flat_workgroup_size: 1024
    .name:           _ZN4vllm25paged_attention_v1_kernelIfhLi32ELi8ELi128ELNS_18Fp8KVCacheDataTypeE1ELb1EEEvPT_PKS2_PKT0_S8_ifPKiSA_iPKfiiiSC_SC_iiiii
    .private_segment_fixed_size: 0
    .sgpr_count:     48
    .sgpr_spill_count: 0
    .symbol:         _ZN4vllm25paged_attention_v1_kernelIfhLi32ELi8ELi128ELNS_18Fp8KVCacheDataTypeE1ELb1EEEvPT_PKS2_PKT0_S8_ifPKiSA_iPKfiiiSC_SC_iiiii.kd
    .uniform_work_group_size: 1
    .uses_dynamic_stack: false
    .vgpr_count:     49
    .vgpr_spill_count: 0
    .wavefront_size: 32
    .workgroup_processor_mode: 1
  - .args:
      - .actual_access:  write_only
        .address_space:  global
        .offset:         0
        .size:           8
        .value_kind:     global_buffer
      - .actual_access:  read_only
        .address_space:  global
        .offset:         8
        .size:           8
        .value_kind:     global_buffer
      - .actual_access:  read_only
        .address_space:  global
        .offset:         16
        .size:           8
        .value_kind:     global_buffer
      - .actual_access:  read_only
        .address_space:  global
        .offset:         24
        .size:           8
        .value_kind:     global_buffer
      - .offset:         32
        .size:           4
        .value_kind:     by_value
      - .offset:         36
        .size:           4
        .value_kind:     by_value
      - .actual_access:  read_only
        .address_space:  global
        .offset:         40
        .size:           8
        .value_kind:     global_buffer
      - .actual_access:  read_only
        .address_space:  global
        .offset:         48
        .size:           8
        .value_kind:     global_buffer
      - .offset:         56
        .size:           4
        .value_kind:     by_value
      - .actual_access:  read_only
        .address_space:  global
        .offset:         64
        .size:           8
        .value_kind:     global_buffer
      - .offset:         72
        .size:           4
        .value_kind:     by_value
      - .offset:         76
        .size:           4
        .value_kind:     by_value
      - .offset:         80
        .size:           4
        .value_kind:     by_value
      - .address_space:  global
        .offset:         88
        .size:           8
        .value_kind:     global_buffer
      - .address_space:  global
        .offset:         96
        .size:           8
        .value_kind:     global_buffer
      - .offset:         104
        .size:           4
        .value_kind:     by_value
      - .offset:         108
        .size:           4
        .value_kind:     by_value
      - .offset:         112
        .size:           4
        .value_kind:     by_value
      - .offset:         116
        .size:           4
        .value_kind:     by_value
      - .offset:         120
        .size:           4
        .value_kind:     by_value
      - .offset:         128
        .size:           4
        .value_kind:     hidden_block_count_x
      - .offset:         132
        .size:           4
        .value_kind:     hidden_block_count_y
      - .offset:         136
        .size:           4
        .value_kind:     hidden_block_count_z
      - .offset:         140
        .size:           2
        .value_kind:     hidden_group_size_x
      - .offset:         142
        .size:           2
        .value_kind:     hidden_group_size_y
      - .offset:         144
        .size:           2
        .value_kind:     hidden_group_size_z
      - .offset:         146
        .size:           2
        .value_kind:     hidden_remainder_x
      - .offset:         148
        .size:           2
        .value_kind:     hidden_remainder_y
      - .offset:         150
        .size:           2
        .value_kind:     hidden_remainder_z
      - .offset:         168
        .size:           8
        .value_kind:     hidden_global_offset_x
      - .offset:         176
        .size:           8
        .value_kind:     hidden_global_offset_y
      - .offset:         184
        .size:           8
        .value_kind:     hidden_global_offset_z
      - .offset:         192
        .size:           2
        .value_kind:     hidden_grid_dims
      - .offset:         248
        .size:           4
        .value_kind:     hidden_dynamic_lds_size
    .group_segment_fixed_size: 288
    .kernarg_segment_align: 8
    .kernarg_segment_size: 384
    .language:       OpenCL C
    .language_version:
      - 2
      - 0
    .max_flat_workgroup_size: 1024
    .name:           _ZN4vllm25paged_attention_v1_kernelIfhLi64ELi8ELi128ELNS_18Fp8KVCacheDataTypeE1ELb1EEEvPT_PKS2_PKT0_S8_ifPKiSA_iPKfiiiSC_SC_iiiii
    .private_segment_fixed_size: 0
    .sgpr_count:     48
    .sgpr_spill_count: 0
    .symbol:         _ZN4vllm25paged_attention_v1_kernelIfhLi64ELi8ELi128ELNS_18Fp8KVCacheDataTypeE1ELb1EEEvPT_PKS2_PKT0_S8_ifPKiSA_iPKfiiiSC_SC_iiiii.kd
    .uniform_work_group_size: 1
    .uses_dynamic_stack: false
    .vgpr_count:     60
    .vgpr_spill_count: 0
    .wavefront_size: 32
    .workgroup_processor_mode: 1
  - .args:
      - .actual_access:  write_only
        .address_space:  global
        .offset:         0
        .size:           8
        .value_kind:     global_buffer
      - .actual_access:  read_only
        .address_space:  global
        .offset:         8
        .size:           8
        .value_kind:     global_buffer
      - .actual_access:  read_only
        .address_space:  global
        .offset:         16
        .size:           8
        .value_kind:     global_buffer
      - .actual_access:  read_only
        .address_space:  global
        .offset:         24
        .size:           8
        .value_kind:     global_buffer
      - .offset:         32
        .size:           4
        .value_kind:     by_value
      - .offset:         36
        .size:           4
        .value_kind:     by_value
      - .actual_access:  read_only
        .address_space:  global
        .offset:         40
        .size:           8
        .value_kind:     global_buffer
      - .actual_access:  read_only
        .address_space:  global
        .offset:         48
        .size:           8
        .value_kind:     global_buffer
      - .offset:         56
        .size:           4
        .value_kind:     by_value
      - .actual_access:  read_only
        .address_space:  global
        .offset:         64
        .size:           8
        .value_kind:     global_buffer
      - .offset:         72
        .size:           4
        .value_kind:     by_value
      - .offset:         76
        .size:           4
        .value_kind:     by_value
      - .offset:         80
        .size:           4
        .value_kind:     by_value
      - .address_space:  global
        .offset:         88
        .size:           8
        .value_kind:     global_buffer
      - .address_space:  global
        .offset:         96
        .size:           8
        .value_kind:     global_buffer
      - .offset:         104
        .size:           4
        .value_kind:     by_value
      - .offset:         108
        .size:           4
        .value_kind:     by_value
      - .offset:         112
        .size:           4
        .value_kind:     by_value
      - .offset:         116
        .size:           4
        .value_kind:     by_value
      - .offset:         120
        .size:           4
        .value_kind:     by_value
      - .offset:         128
        .size:           4
        .value_kind:     hidden_block_count_x
      - .offset:         132
        .size:           4
        .value_kind:     hidden_block_count_y
      - .offset:         136
        .size:           4
        .value_kind:     hidden_block_count_z
      - .offset:         140
        .size:           2
        .value_kind:     hidden_group_size_x
      - .offset:         142
        .size:           2
        .value_kind:     hidden_group_size_y
      - .offset:         144
        .size:           2
        .value_kind:     hidden_group_size_z
      - .offset:         146
        .size:           2
        .value_kind:     hidden_remainder_x
      - .offset:         148
        .size:           2
        .value_kind:     hidden_remainder_y
      - .offset:         150
        .size:           2
        .value_kind:     hidden_remainder_z
      - .offset:         168
        .size:           8
        .value_kind:     hidden_global_offset_x
      - .offset:         176
        .size:           8
        .value_kind:     hidden_global_offset_y
      - .offset:         184
        .size:           8
        .value_kind:     hidden_global_offset_z
      - .offset:         192
        .size:           2
        .value_kind:     hidden_grid_dims
      - .offset:         248
        .size:           4
        .value_kind:     hidden_dynamic_lds_size
    .group_segment_fixed_size: 352
    .kernarg_segment_align: 8
    .kernarg_segment_size: 384
    .language:       OpenCL C
    .language_version:
      - 2
      - 0
    .max_flat_workgroup_size: 1024
    .name:           _ZN4vllm25paged_attention_v1_kernelIfhLi80ELi8ELi128ELNS_18Fp8KVCacheDataTypeE1ELb1EEEvPT_PKS2_PKT0_S8_ifPKiSA_iPKfiiiSC_SC_iiiii
    .private_segment_fixed_size: 0
    .sgpr_count:     47
    .sgpr_spill_count: 0
    .symbol:         _ZN4vllm25paged_attention_v1_kernelIfhLi80ELi8ELi128ELNS_18Fp8KVCacheDataTypeE1ELb1EEEvPT_PKS2_PKT0_S8_ifPKiSA_iPKfiiiSC_SC_iiiii.kd
    .uniform_work_group_size: 1
    .uses_dynamic_stack: false
    .vgpr_count:     68
    .vgpr_spill_count: 0
    .wavefront_size: 32
    .workgroup_processor_mode: 1
  - .args:
      - .actual_access:  write_only
        .address_space:  global
        .offset:         0
        .size:           8
        .value_kind:     global_buffer
      - .actual_access:  read_only
        .address_space:  global
        .offset:         8
        .size:           8
        .value_kind:     global_buffer
      - .actual_access:  read_only
        .address_space:  global
        .offset:         16
        .size:           8
        .value_kind:     global_buffer
      - .actual_access:  read_only
        .address_space:  global
        .offset:         24
        .size:           8
        .value_kind:     global_buffer
      - .offset:         32
        .size:           4
        .value_kind:     by_value
      - .offset:         36
        .size:           4
        .value_kind:     by_value
      - .actual_access:  read_only
        .address_space:  global
        .offset:         40
        .size:           8
        .value_kind:     global_buffer
      - .actual_access:  read_only
        .address_space:  global
        .offset:         48
        .size:           8
        .value_kind:     global_buffer
      - .offset:         56
        .size:           4
        .value_kind:     by_value
      - .actual_access:  read_only
        .address_space:  global
        .offset:         64
        .size:           8
        .value_kind:     global_buffer
      - .offset:         72
        .size:           4
        .value_kind:     by_value
      - .offset:         76
        .size:           4
        .value_kind:     by_value
      - .offset:         80
        .size:           4
        .value_kind:     by_value
      - .address_space:  global
        .offset:         88
        .size:           8
        .value_kind:     global_buffer
      - .address_space:  global
        .offset:         96
        .size:           8
        .value_kind:     global_buffer
      - .offset:         104
        .size:           4
        .value_kind:     by_value
      - .offset:         108
        .size:           4
        .value_kind:     by_value
      - .offset:         112
        .size:           4
        .value_kind:     by_value
      - .offset:         116
        .size:           4
        .value_kind:     by_value
      - .offset:         120
        .size:           4
        .value_kind:     by_value
      - .offset:         128
        .size:           4
        .value_kind:     hidden_block_count_x
      - .offset:         132
        .size:           4
        .value_kind:     hidden_block_count_y
      - .offset:         136
        .size:           4
        .value_kind:     hidden_block_count_z
      - .offset:         140
        .size:           2
        .value_kind:     hidden_group_size_x
      - .offset:         142
        .size:           2
        .value_kind:     hidden_group_size_y
      - .offset:         144
        .size:           2
        .value_kind:     hidden_group_size_z
      - .offset:         146
        .size:           2
        .value_kind:     hidden_remainder_x
      - .offset:         148
        .size:           2
        .value_kind:     hidden_remainder_y
      - .offset:         150
        .size:           2
        .value_kind:     hidden_remainder_z
      - .offset:         168
        .size:           8
        .value_kind:     hidden_global_offset_x
      - .offset:         176
        .size:           8
        .value_kind:     hidden_global_offset_y
      - .offset:         184
        .size:           8
        .value_kind:     hidden_global_offset_z
      - .offset:         192
        .size:           2
        .value_kind:     hidden_grid_dims
      - .offset:         248
        .size:           4
        .value_kind:     hidden_dynamic_lds_size
    .group_segment_fixed_size: 416
    .kernarg_segment_align: 8
    .kernarg_segment_size: 384
    .language:       OpenCL C
    .language_version:
      - 2
      - 0
    .max_flat_workgroup_size: 1024
    .name:           _ZN4vllm25paged_attention_v1_kernelIfhLi96ELi8ELi128ELNS_18Fp8KVCacheDataTypeE1ELb1EEEvPT_PKS2_PKT0_S8_ifPKiSA_iPKfiiiSC_SC_iiiii
    .private_segment_fixed_size: 0
    .sgpr_count:     47
    .sgpr_spill_count: 0
    .symbol:         _ZN4vllm25paged_attention_v1_kernelIfhLi96ELi8ELi128ELNS_18Fp8KVCacheDataTypeE1ELb1EEEvPT_PKS2_PKT0_S8_ifPKiSA_iPKfiiiSC_SC_iiiii.kd
    .uniform_work_group_size: 1
    .uses_dynamic_stack: false
    .vgpr_count:     76
    .vgpr_spill_count: 0
    .wavefront_size: 32
    .workgroup_processor_mode: 1
  - .args:
      - .actual_access:  write_only
        .address_space:  global
        .offset:         0
        .size:           8
        .value_kind:     global_buffer
      - .actual_access:  read_only
        .address_space:  global
        .offset:         8
        .size:           8
        .value_kind:     global_buffer
      - .actual_access:  read_only
        .address_space:  global
        .offset:         16
        .size:           8
        .value_kind:     global_buffer
      - .actual_access:  read_only
        .address_space:  global
        .offset:         24
        .size:           8
        .value_kind:     global_buffer
      - .offset:         32
        .size:           4
        .value_kind:     by_value
      - .offset:         36
        .size:           4
        .value_kind:     by_value
      - .actual_access:  read_only
        .address_space:  global
        .offset:         40
        .size:           8
        .value_kind:     global_buffer
      - .actual_access:  read_only
        .address_space:  global
        .offset:         48
        .size:           8
        .value_kind:     global_buffer
      - .offset:         56
        .size:           4
        .value_kind:     by_value
      - .actual_access:  read_only
        .address_space:  global
        .offset:         64
        .size:           8
        .value_kind:     global_buffer
      - .offset:         72
        .size:           4
        .value_kind:     by_value
      - .offset:         76
        .size:           4
        .value_kind:     by_value
      - .offset:         80
        .size:           4
        .value_kind:     by_value
      - .address_space:  global
        .offset:         88
        .size:           8
        .value_kind:     global_buffer
      - .address_space:  global
        .offset:         96
        .size:           8
        .value_kind:     global_buffer
      - .offset:         104
        .size:           4
        .value_kind:     by_value
      - .offset:         108
        .size:           4
        .value_kind:     by_value
      - .offset:         112
        .size:           4
        .value_kind:     by_value
      - .offset:         116
        .size:           4
        .value_kind:     by_value
      - .offset:         120
        .size:           4
        .value_kind:     by_value
      - .offset:         128
        .size:           4
        .value_kind:     hidden_block_count_x
      - .offset:         132
        .size:           4
        .value_kind:     hidden_block_count_y
      - .offset:         136
        .size:           4
        .value_kind:     hidden_block_count_z
      - .offset:         140
        .size:           2
        .value_kind:     hidden_group_size_x
      - .offset:         142
        .size:           2
        .value_kind:     hidden_group_size_y
      - .offset:         144
        .size:           2
        .value_kind:     hidden_group_size_z
      - .offset:         146
        .size:           2
        .value_kind:     hidden_remainder_x
      - .offset:         148
        .size:           2
        .value_kind:     hidden_remainder_y
      - .offset:         150
        .size:           2
        .value_kind:     hidden_remainder_z
      - .offset:         168
        .size:           8
        .value_kind:     hidden_global_offset_x
      - .offset:         176
        .size:           8
        .value_kind:     hidden_global_offset_y
      - .offset:         184
        .size:           8
        .value_kind:     hidden_global_offset_z
      - .offset:         192
        .size:           2
        .value_kind:     hidden_grid_dims
      - .offset:         248
        .size:           4
        .value_kind:     hidden_dynamic_lds_size
    .group_segment_fixed_size: 480
    .kernarg_segment_align: 8
    .kernarg_segment_size: 384
    .language:       OpenCL C
    .language_version:
      - 2
      - 0
    .max_flat_workgroup_size: 1024
    .name:           _ZN4vllm25paged_attention_v1_kernelIfhLi112ELi8ELi128ELNS_18Fp8KVCacheDataTypeE1ELb1EEEvPT_PKS2_PKT0_S8_ifPKiSA_iPKfiiiSC_SC_iiiii
    .private_segment_fixed_size: 0
    .sgpr_count:     47
    .sgpr_spill_count: 0
    .symbol:         _ZN4vllm25paged_attention_v1_kernelIfhLi112ELi8ELi128ELNS_18Fp8KVCacheDataTypeE1ELb1EEEvPT_PKS2_PKT0_S8_ifPKiSA_iPKfiiiSC_SC_iiiii.kd
    .uniform_work_group_size: 1
    .uses_dynamic_stack: false
    .vgpr_count:     84
    .vgpr_spill_count: 0
    .wavefront_size: 32
    .workgroup_processor_mode: 1
  - .args:
      - .actual_access:  write_only
        .address_space:  global
        .offset:         0
        .size:           8
        .value_kind:     global_buffer
      - .actual_access:  read_only
        .address_space:  global
        .offset:         8
        .size:           8
        .value_kind:     global_buffer
      - .actual_access:  read_only
        .address_space:  global
        .offset:         16
        .size:           8
        .value_kind:     global_buffer
      - .actual_access:  read_only
        .address_space:  global
        .offset:         24
        .size:           8
        .value_kind:     global_buffer
      - .offset:         32
        .size:           4
        .value_kind:     by_value
      - .offset:         36
        .size:           4
        .value_kind:     by_value
      - .actual_access:  read_only
        .address_space:  global
        .offset:         40
        .size:           8
        .value_kind:     global_buffer
      - .actual_access:  read_only
        .address_space:  global
        .offset:         48
        .size:           8
        .value_kind:     global_buffer
      - .offset:         56
        .size:           4
        .value_kind:     by_value
      - .actual_access:  read_only
        .address_space:  global
        .offset:         64
        .size:           8
        .value_kind:     global_buffer
      - .offset:         72
        .size:           4
        .value_kind:     by_value
      - .offset:         76
        .size:           4
        .value_kind:     by_value
      - .offset:         80
        .size:           4
        .value_kind:     by_value
      - .address_space:  global
        .offset:         88
        .size:           8
        .value_kind:     global_buffer
      - .address_space:  global
        .offset:         96
        .size:           8
        .value_kind:     global_buffer
      - .offset:         104
        .size:           4
        .value_kind:     by_value
      - .offset:         108
        .size:           4
        .value_kind:     by_value
      - .offset:         112
        .size:           4
        .value_kind:     by_value
      - .offset:         116
        .size:           4
        .value_kind:     by_value
      - .offset:         120
        .size:           4
        .value_kind:     by_value
      - .offset:         128
        .size:           4
        .value_kind:     hidden_block_count_x
      - .offset:         132
        .size:           4
        .value_kind:     hidden_block_count_y
      - .offset:         136
        .size:           4
        .value_kind:     hidden_block_count_z
      - .offset:         140
        .size:           2
        .value_kind:     hidden_group_size_x
      - .offset:         142
        .size:           2
        .value_kind:     hidden_group_size_y
      - .offset:         144
        .size:           2
        .value_kind:     hidden_group_size_z
      - .offset:         146
        .size:           2
        .value_kind:     hidden_remainder_x
      - .offset:         148
        .size:           2
        .value_kind:     hidden_remainder_y
      - .offset:         150
        .size:           2
        .value_kind:     hidden_remainder_z
      - .offset:         168
        .size:           8
        .value_kind:     hidden_global_offset_x
      - .offset:         176
        .size:           8
        .value_kind:     hidden_global_offset_y
      - .offset:         184
        .size:           8
        .value_kind:     hidden_global_offset_z
      - .offset:         192
        .size:           2
        .value_kind:     hidden_grid_dims
      - .offset:         248
        .size:           4
        .value_kind:     hidden_dynamic_lds_size
    .group_segment_fixed_size: 512
    .kernarg_segment_align: 8
    .kernarg_segment_size: 384
    .language:       OpenCL C
    .language_version:
      - 2
      - 0
    .max_flat_workgroup_size: 1024
    .name:           _ZN4vllm25paged_attention_v1_kernelIfhLi120ELi8ELi128ELNS_18Fp8KVCacheDataTypeE1ELb1EEEvPT_PKS2_PKT0_S8_ifPKiSA_iPKfiiiSC_SC_iiiii
    .private_segment_fixed_size: 0
    .sgpr_count:     47
    .sgpr_spill_count: 0
    .symbol:         _ZN4vllm25paged_attention_v1_kernelIfhLi120ELi8ELi128ELNS_18Fp8KVCacheDataTypeE1ELb1EEEvPT_PKS2_PKT0_S8_ifPKiSA_iPKfiiiSC_SC_iiiii.kd
    .uniform_work_group_size: 1
    .uses_dynamic_stack: false
    .vgpr_count:     88
    .vgpr_spill_count: 0
    .wavefront_size: 32
    .workgroup_processor_mode: 1
  - .args:
      - .actual_access:  write_only
        .address_space:  global
        .offset:         0
        .size:           8
        .value_kind:     global_buffer
      - .actual_access:  read_only
        .address_space:  global
        .offset:         8
        .size:           8
        .value_kind:     global_buffer
      - .actual_access:  read_only
        .address_space:  global
        .offset:         16
        .size:           8
        .value_kind:     global_buffer
      - .actual_access:  read_only
        .address_space:  global
        .offset:         24
        .size:           8
        .value_kind:     global_buffer
      - .offset:         32
        .size:           4
        .value_kind:     by_value
      - .offset:         36
        .size:           4
        .value_kind:     by_value
      - .actual_access:  read_only
        .address_space:  global
        .offset:         40
        .size:           8
        .value_kind:     global_buffer
      - .actual_access:  read_only
        .address_space:  global
        .offset:         48
        .size:           8
        .value_kind:     global_buffer
      - .offset:         56
        .size:           4
        .value_kind:     by_value
      - .actual_access:  read_only
        .address_space:  global
        .offset:         64
        .size:           8
        .value_kind:     global_buffer
      - .offset:         72
        .size:           4
        .value_kind:     by_value
      - .offset:         76
        .size:           4
        .value_kind:     by_value
      - .offset:         80
        .size:           4
        .value_kind:     by_value
      - .address_space:  global
        .offset:         88
        .size:           8
        .value_kind:     global_buffer
      - .address_space:  global
        .offset:         96
        .size:           8
        .value_kind:     global_buffer
      - .offset:         104
        .size:           4
        .value_kind:     by_value
      - .offset:         108
        .size:           4
        .value_kind:     by_value
      - .offset:         112
        .size:           4
        .value_kind:     by_value
      - .offset:         116
        .size:           4
        .value_kind:     by_value
      - .offset:         120
        .size:           4
        .value_kind:     by_value
      - .offset:         128
        .size:           4
        .value_kind:     hidden_block_count_x
      - .offset:         132
        .size:           4
        .value_kind:     hidden_block_count_y
      - .offset:         136
        .size:           4
        .value_kind:     hidden_block_count_z
      - .offset:         140
        .size:           2
        .value_kind:     hidden_group_size_x
      - .offset:         142
        .size:           2
        .value_kind:     hidden_group_size_y
      - .offset:         144
        .size:           2
        .value_kind:     hidden_group_size_z
      - .offset:         146
        .size:           2
        .value_kind:     hidden_remainder_x
      - .offset:         148
        .size:           2
        .value_kind:     hidden_remainder_y
      - .offset:         150
        .size:           2
        .value_kind:     hidden_remainder_z
      - .offset:         168
        .size:           8
        .value_kind:     hidden_global_offset_x
      - .offset:         176
        .size:           8
        .value_kind:     hidden_global_offset_y
      - .offset:         184
        .size:           8
        .value_kind:     hidden_global_offset_z
      - .offset:         192
        .size:           2
        .value_kind:     hidden_grid_dims
      - .offset:         248
        .size:           4
        .value_kind:     hidden_dynamic_lds_size
    .group_segment_fixed_size: 544
    .kernarg_segment_align: 8
    .kernarg_segment_size: 384
    .language:       OpenCL C
    .language_version:
      - 2
      - 0
    .max_flat_workgroup_size: 1024
    .name:           _ZN4vllm25paged_attention_v1_kernelIfhLi128ELi8ELi128ELNS_18Fp8KVCacheDataTypeE1ELb1EEEvPT_PKS2_PKT0_S8_ifPKiSA_iPKfiiiSC_SC_iiiii
    .private_segment_fixed_size: 0
    .sgpr_count:     47
    .sgpr_spill_count: 0
    .symbol:         _ZN4vllm25paged_attention_v1_kernelIfhLi128ELi8ELi128ELNS_18Fp8KVCacheDataTypeE1ELb1EEEvPT_PKS2_PKT0_S8_ifPKiSA_iPKfiiiSC_SC_iiiii.kd
    .uniform_work_group_size: 1
    .uses_dynamic_stack: false
    .vgpr_count:     92
    .vgpr_spill_count: 0
    .wavefront_size: 32
    .workgroup_processor_mode: 1
  - .args:
      - .actual_access:  write_only
        .address_space:  global
        .offset:         0
        .size:           8
        .value_kind:     global_buffer
      - .actual_access:  read_only
        .address_space:  global
        .offset:         8
        .size:           8
        .value_kind:     global_buffer
      - .actual_access:  read_only
        .address_space:  global
        .offset:         16
        .size:           8
        .value_kind:     global_buffer
      - .actual_access:  read_only
        .address_space:  global
        .offset:         24
        .size:           8
        .value_kind:     global_buffer
      - .offset:         32
        .size:           4
        .value_kind:     by_value
      - .offset:         36
        .size:           4
        .value_kind:     by_value
      - .actual_access:  read_only
        .address_space:  global
        .offset:         40
        .size:           8
        .value_kind:     global_buffer
      - .actual_access:  read_only
        .address_space:  global
        .offset:         48
        .size:           8
        .value_kind:     global_buffer
      - .offset:         56
        .size:           4
        .value_kind:     by_value
      - .actual_access:  read_only
        .address_space:  global
        .offset:         64
        .size:           8
        .value_kind:     global_buffer
      - .offset:         72
        .size:           4
        .value_kind:     by_value
      - .offset:         76
        .size:           4
        .value_kind:     by_value
      - .offset:         80
        .size:           4
        .value_kind:     by_value
      - .address_space:  global
        .offset:         88
        .size:           8
        .value_kind:     global_buffer
      - .address_space:  global
        .offset:         96
        .size:           8
        .value_kind:     global_buffer
      - .offset:         104
        .size:           4
        .value_kind:     by_value
      - .offset:         108
        .size:           4
        .value_kind:     by_value
      - .offset:         112
        .size:           4
        .value_kind:     by_value
      - .offset:         116
        .size:           4
        .value_kind:     by_value
      - .offset:         120
        .size:           4
        .value_kind:     by_value
      - .offset:         128
        .size:           4
        .value_kind:     hidden_block_count_x
      - .offset:         132
        .size:           4
        .value_kind:     hidden_block_count_y
      - .offset:         136
        .size:           4
        .value_kind:     hidden_block_count_z
      - .offset:         140
        .size:           2
        .value_kind:     hidden_group_size_x
      - .offset:         142
        .size:           2
        .value_kind:     hidden_group_size_y
      - .offset:         144
        .size:           2
        .value_kind:     hidden_group_size_z
      - .offset:         146
        .size:           2
        .value_kind:     hidden_remainder_x
      - .offset:         148
        .size:           2
        .value_kind:     hidden_remainder_y
      - .offset:         150
        .size:           2
        .value_kind:     hidden_remainder_z
      - .offset:         168
        .size:           8
        .value_kind:     hidden_global_offset_x
      - .offset:         176
        .size:           8
        .value_kind:     hidden_global_offset_y
      - .offset:         184
        .size:           8
        .value_kind:     hidden_global_offset_z
      - .offset:         192
        .size:           2
        .value_kind:     hidden_grid_dims
      - .offset:         248
        .size:           4
        .value_kind:     hidden_dynamic_lds_size
    .group_segment_fixed_size: 800
    .kernarg_segment_align: 8
    .kernarg_segment_size: 384
    .language:       OpenCL C
    .language_version:
      - 2
      - 0
    .max_flat_workgroup_size: 1024
    .name:           _ZN4vllm25paged_attention_v1_kernelIfhLi192ELi8ELi128ELNS_18Fp8KVCacheDataTypeE1ELb1EEEvPT_PKS2_PKT0_S8_ifPKiSA_iPKfiiiSC_SC_iiiii
    .private_segment_fixed_size: 0
    .sgpr_count:     47
    .sgpr_spill_count: 0
    .symbol:         _ZN4vllm25paged_attention_v1_kernelIfhLi192ELi8ELi128ELNS_18Fp8KVCacheDataTypeE1ELb1EEEvPT_PKS2_PKT0_S8_ifPKiSA_iPKfiiiSC_SC_iiiii.kd
    .uniform_work_group_size: 1
    .uses_dynamic_stack: false
    .vgpr_count:     124
    .vgpr_spill_count: 0
    .wavefront_size: 32
    .workgroup_processor_mode: 1
  - .args:
      - .actual_access:  write_only
        .address_space:  global
        .offset:         0
        .size:           8
        .value_kind:     global_buffer
      - .actual_access:  read_only
        .address_space:  global
        .offset:         8
        .size:           8
        .value_kind:     global_buffer
      - .actual_access:  read_only
        .address_space:  global
        .offset:         16
        .size:           8
        .value_kind:     global_buffer
      - .actual_access:  read_only
        .address_space:  global
        .offset:         24
        .size:           8
        .value_kind:     global_buffer
      - .offset:         32
        .size:           4
        .value_kind:     by_value
      - .offset:         36
        .size:           4
        .value_kind:     by_value
      - .actual_access:  read_only
        .address_space:  global
        .offset:         40
        .size:           8
        .value_kind:     global_buffer
      - .actual_access:  read_only
        .address_space:  global
        .offset:         48
        .size:           8
        .value_kind:     global_buffer
      - .offset:         56
        .size:           4
        .value_kind:     by_value
      - .actual_access:  read_only
        .address_space:  global
        .offset:         64
        .size:           8
        .value_kind:     global_buffer
      - .offset:         72
        .size:           4
        .value_kind:     by_value
      - .offset:         76
        .size:           4
        .value_kind:     by_value
      - .offset:         80
        .size:           4
        .value_kind:     by_value
      - .address_space:  global
        .offset:         88
        .size:           8
        .value_kind:     global_buffer
      - .address_space:  global
        .offset:         96
        .size:           8
        .value_kind:     global_buffer
      - .offset:         104
        .size:           4
        .value_kind:     by_value
      - .offset:         108
        .size:           4
        .value_kind:     by_value
      - .offset:         112
        .size:           4
        .value_kind:     by_value
      - .offset:         116
        .size:           4
        .value_kind:     by_value
      - .offset:         120
        .size:           4
        .value_kind:     by_value
      - .offset:         128
        .size:           4
        .value_kind:     hidden_block_count_x
      - .offset:         132
        .size:           4
        .value_kind:     hidden_block_count_y
      - .offset:         136
        .size:           4
        .value_kind:     hidden_block_count_z
      - .offset:         140
        .size:           2
        .value_kind:     hidden_group_size_x
      - .offset:         142
        .size:           2
        .value_kind:     hidden_group_size_y
      - .offset:         144
        .size:           2
        .value_kind:     hidden_group_size_z
      - .offset:         146
        .size:           2
        .value_kind:     hidden_remainder_x
      - .offset:         148
        .size:           2
        .value_kind:     hidden_remainder_y
      - .offset:         150
        .size:           2
        .value_kind:     hidden_remainder_z
      - .offset:         168
        .size:           8
        .value_kind:     hidden_global_offset_x
      - .offset:         176
        .size:           8
        .value_kind:     hidden_global_offset_y
      - .offset:         184
        .size:           8
        .value_kind:     hidden_global_offset_z
      - .offset:         192
        .size:           2
        .value_kind:     hidden_grid_dims
      - .offset:         248
        .size:           4
        .value_kind:     hidden_dynamic_lds_size
    .group_segment_fixed_size: 1056
    .kernarg_segment_align: 8
    .kernarg_segment_size: 384
    .language:       OpenCL C
    .language_version:
      - 2
      - 0
    .max_flat_workgroup_size: 1024
    .name:           _ZN4vllm25paged_attention_v1_kernelIfhLi256ELi8ELi128ELNS_18Fp8KVCacheDataTypeE1ELb1EEEvPT_PKS2_PKT0_S8_ifPKiSA_iPKfiiiSC_SC_iiiii
    .private_segment_fixed_size: 52
    .sgpr_count:     54
    .sgpr_spill_count: 0
    .symbol:         _ZN4vllm25paged_attention_v1_kernelIfhLi256ELi8ELi128ELNS_18Fp8KVCacheDataTypeE1ELb1EEEvPT_PKS2_PKT0_S8_ifPKiSA_iPKfiiiSC_SC_iiiii.kd
    .uniform_work_group_size: 1
    .uses_dynamic_stack: false
    .vgpr_count:     128
    .vgpr_spill_count: 13
    .wavefront_size: 32
    .workgroup_processor_mode: 1
  - .args:
      - .actual_access:  write_only
        .address_space:  global
        .offset:         0
        .size:           8
        .value_kind:     global_buffer
      - .actual_access:  read_only
        .address_space:  global
        .offset:         8
        .size:           8
        .value_kind:     global_buffer
      - .actual_access:  read_only
        .address_space:  global
        .offset:         16
        .size:           8
        .value_kind:     global_buffer
      - .actual_access:  read_only
        .address_space:  global
        .offset:         24
        .size:           8
        .value_kind:     global_buffer
      - .offset:         32
        .size:           4
        .value_kind:     by_value
      - .offset:         36
        .size:           4
        .value_kind:     by_value
      - .actual_access:  read_only
        .address_space:  global
        .offset:         40
        .size:           8
        .value_kind:     global_buffer
      - .actual_access:  read_only
        .address_space:  global
        .offset:         48
        .size:           8
        .value_kind:     global_buffer
      - .offset:         56
        .size:           4
        .value_kind:     by_value
      - .actual_access:  read_only
        .address_space:  global
        .offset:         64
        .size:           8
        .value_kind:     global_buffer
      - .offset:         72
        .size:           4
        .value_kind:     by_value
      - .offset:         76
        .size:           4
        .value_kind:     by_value
      - .offset:         80
        .size:           4
        .value_kind:     by_value
      - .address_space:  global
        .offset:         88
        .size:           8
        .value_kind:     global_buffer
      - .address_space:  global
        .offset:         96
        .size:           8
        .value_kind:     global_buffer
      - .offset:         104
        .size:           4
        .value_kind:     by_value
      - .offset:         108
        .size:           4
        .value_kind:     by_value
      - .offset:         112
        .size:           4
        .value_kind:     by_value
      - .offset:         116
        .size:           4
        .value_kind:     by_value
      - .offset:         120
        .size:           4
        .value_kind:     by_value
      - .offset:         128
        .size:           4
        .value_kind:     hidden_block_count_x
      - .offset:         132
        .size:           4
        .value_kind:     hidden_block_count_y
      - .offset:         136
        .size:           4
        .value_kind:     hidden_block_count_z
      - .offset:         140
        .size:           2
        .value_kind:     hidden_group_size_x
      - .offset:         142
        .size:           2
        .value_kind:     hidden_group_size_y
      - .offset:         144
        .size:           2
        .value_kind:     hidden_group_size_z
      - .offset:         146
        .size:           2
        .value_kind:     hidden_remainder_x
      - .offset:         148
        .size:           2
        .value_kind:     hidden_remainder_y
      - .offset:         150
        .size:           2
        .value_kind:     hidden_remainder_z
      - .offset:         168
        .size:           8
        .value_kind:     hidden_global_offset_x
      - .offset:         176
        .size:           8
        .value_kind:     hidden_global_offset_y
      - .offset:         184
        .size:           8
        .value_kind:     hidden_global_offset_z
      - .offset:         192
        .size:           2
        .value_kind:     hidden_grid_dims
      - .offset:         248
        .size:           4
        .value_kind:     hidden_dynamic_lds_size
    .group_segment_fixed_size: 160
    .kernarg_segment_align: 8
    .kernarg_segment_size: 384
    .language:       OpenCL C
    .language_version:
      - 2
      - 0
    .max_flat_workgroup_size: 1024
    .name:           _ZN4vllm25paged_attention_v1_kernelIfhLi32ELi8ELi128ELNS_18Fp8KVCacheDataTypeE1ELb0EEEvPT_PKS2_PKT0_S8_ifPKiSA_iPKfiiiSC_SC_iiiii
    .private_segment_fixed_size: 0
    .sgpr_count:     37
    .sgpr_spill_count: 0
    .symbol:         _ZN4vllm25paged_attention_v1_kernelIfhLi32ELi8ELi128ELNS_18Fp8KVCacheDataTypeE1ELb0EEEvPT_PKS2_PKT0_S8_ifPKiSA_iPKfiiiSC_SC_iiiii.kd
    .uniform_work_group_size: 1
    .uses_dynamic_stack: false
    .vgpr_count:     46
    .vgpr_spill_count: 0
    .wavefront_size: 32
    .workgroup_processor_mode: 1
  - .args:
      - .actual_access:  write_only
        .address_space:  global
        .offset:         0
        .size:           8
        .value_kind:     global_buffer
      - .actual_access:  read_only
        .address_space:  global
        .offset:         8
        .size:           8
        .value_kind:     global_buffer
      - .actual_access:  read_only
        .address_space:  global
        .offset:         16
        .size:           8
        .value_kind:     global_buffer
      - .actual_access:  read_only
        .address_space:  global
        .offset:         24
        .size:           8
        .value_kind:     global_buffer
      - .offset:         32
        .size:           4
        .value_kind:     by_value
      - .offset:         36
        .size:           4
        .value_kind:     by_value
      - .actual_access:  read_only
        .address_space:  global
        .offset:         40
        .size:           8
        .value_kind:     global_buffer
      - .actual_access:  read_only
        .address_space:  global
        .offset:         48
        .size:           8
        .value_kind:     global_buffer
      - .offset:         56
        .size:           4
        .value_kind:     by_value
      - .actual_access:  read_only
        .address_space:  global
        .offset:         64
        .size:           8
        .value_kind:     global_buffer
      - .offset:         72
        .size:           4
        .value_kind:     by_value
      - .offset:         76
        .size:           4
        .value_kind:     by_value
      - .offset:         80
        .size:           4
        .value_kind:     by_value
      - .address_space:  global
        .offset:         88
        .size:           8
        .value_kind:     global_buffer
      - .address_space:  global
        .offset:         96
        .size:           8
        .value_kind:     global_buffer
      - .offset:         104
        .size:           4
        .value_kind:     by_value
      - .offset:         108
        .size:           4
        .value_kind:     by_value
      - .offset:         112
        .size:           4
        .value_kind:     by_value
      - .offset:         116
        .size:           4
        .value_kind:     by_value
      - .offset:         120
        .size:           4
        .value_kind:     by_value
      - .offset:         128
        .size:           4
        .value_kind:     hidden_block_count_x
      - .offset:         132
        .size:           4
        .value_kind:     hidden_block_count_y
      - .offset:         136
        .size:           4
        .value_kind:     hidden_block_count_z
      - .offset:         140
        .size:           2
        .value_kind:     hidden_group_size_x
      - .offset:         142
        .size:           2
        .value_kind:     hidden_group_size_y
      - .offset:         144
        .size:           2
        .value_kind:     hidden_group_size_z
      - .offset:         146
        .size:           2
        .value_kind:     hidden_remainder_x
      - .offset:         148
        .size:           2
        .value_kind:     hidden_remainder_y
      - .offset:         150
        .size:           2
        .value_kind:     hidden_remainder_z
      - .offset:         168
        .size:           8
        .value_kind:     hidden_global_offset_x
      - .offset:         176
        .size:           8
        .value_kind:     hidden_global_offset_y
      - .offset:         184
        .size:           8
        .value_kind:     hidden_global_offset_z
      - .offset:         192
        .size:           2
        .value_kind:     hidden_grid_dims
      - .offset:         248
        .size:           4
        .value_kind:     hidden_dynamic_lds_size
    .group_segment_fixed_size: 288
    .kernarg_segment_align: 8
    .kernarg_segment_size: 384
    .language:       OpenCL C
    .language_version:
      - 2
      - 0
    .max_flat_workgroup_size: 1024
    .name:           _ZN4vllm25paged_attention_v1_kernelIfhLi64ELi8ELi128ELNS_18Fp8KVCacheDataTypeE1ELb0EEEvPT_PKS2_PKT0_S8_ifPKiSA_iPKfiiiSC_SC_iiiii
    .private_segment_fixed_size: 0
    .sgpr_count:     37
    .sgpr_spill_count: 0
    .symbol:         _ZN4vllm25paged_attention_v1_kernelIfhLi64ELi8ELi128ELNS_18Fp8KVCacheDataTypeE1ELb0EEEvPT_PKS2_PKT0_S8_ifPKiSA_iPKfiiiSC_SC_iiiii.kd
    .uniform_work_group_size: 1
    .uses_dynamic_stack: false
    .vgpr_count:     57
    .vgpr_spill_count: 0
    .wavefront_size: 32
    .workgroup_processor_mode: 1
  - .args:
      - .actual_access:  write_only
        .address_space:  global
        .offset:         0
        .size:           8
        .value_kind:     global_buffer
      - .actual_access:  read_only
        .address_space:  global
        .offset:         8
        .size:           8
        .value_kind:     global_buffer
      - .actual_access:  read_only
        .address_space:  global
        .offset:         16
        .size:           8
        .value_kind:     global_buffer
      - .actual_access:  read_only
        .address_space:  global
        .offset:         24
        .size:           8
        .value_kind:     global_buffer
      - .offset:         32
        .size:           4
        .value_kind:     by_value
      - .offset:         36
        .size:           4
        .value_kind:     by_value
      - .actual_access:  read_only
        .address_space:  global
        .offset:         40
        .size:           8
        .value_kind:     global_buffer
      - .actual_access:  read_only
        .address_space:  global
        .offset:         48
        .size:           8
        .value_kind:     global_buffer
      - .offset:         56
        .size:           4
        .value_kind:     by_value
      - .actual_access:  read_only
        .address_space:  global
        .offset:         64
        .size:           8
        .value_kind:     global_buffer
      - .offset:         72
        .size:           4
        .value_kind:     by_value
      - .offset:         76
        .size:           4
        .value_kind:     by_value
      - .offset:         80
        .size:           4
        .value_kind:     by_value
      - .address_space:  global
        .offset:         88
        .size:           8
        .value_kind:     global_buffer
      - .address_space:  global
        .offset:         96
        .size:           8
        .value_kind:     global_buffer
      - .offset:         104
        .size:           4
        .value_kind:     by_value
      - .offset:         108
        .size:           4
        .value_kind:     by_value
      - .offset:         112
        .size:           4
        .value_kind:     by_value
      - .offset:         116
        .size:           4
        .value_kind:     by_value
      - .offset:         120
        .size:           4
        .value_kind:     by_value
      - .offset:         128
        .size:           4
        .value_kind:     hidden_block_count_x
      - .offset:         132
        .size:           4
        .value_kind:     hidden_block_count_y
      - .offset:         136
        .size:           4
        .value_kind:     hidden_block_count_z
      - .offset:         140
        .size:           2
        .value_kind:     hidden_group_size_x
      - .offset:         142
        .size:           2
        .value_kind:     hidden_group_size_y
      - .offset:         144
        .size:           2
        .value_kind:     hidden_group_size_z
      - .offset:         146
        .size:           2
        .value_kind:     hidden_remainder_x
      - .offset:         148
        .size:           2
        .value_kind:     hidden_remainder_y
      - .offset:         150
        .size:           2
        .value_kind:     hidden_remainder_z
      - .offset:         168
        .size:           8
        .value_kind:     hidden_global_offset_x
      - .offset:         176
        .size:           8
        .value_kind:     hidden_global_offset_y
      - .offset:         184
        .size:           8
        .value_kind:     hidden_global_offset_z
      - .offset:         192
        .size:           2
        .value_kind:     hidden_grid_dims
      - .offset:         248
        .size:           4
        .value_kind:     hidden_dynamic_lds_size
    .group_segment_fixed_size: 352
    .kernarg_segment_align: 8
    .kernarg_segment_size: 384
    .language:       OpenCL C
    .language_version:
      - 2
      - 0
    .max_flat_workgroup_size: 1024
    .name:           _ZN4vllm25paged_attention_v1_kernelIfhLi80ELi8ELi128ELNS_18Fp8KVCacheDataTypeE1ELb0EEEvPT_PKS2_PKT0_S8_ifPKiSA_iPKfiiiSC_SC_iiiii
    .private_segment_fixed_size: 0
    .sgpr_count:     36
    .sgpr_spill_count: 0
    .symbol:         _ZN4vllm25paged_attention_v1_kernelIfhLi80ELi8ELi128ELNS_18Fp8KVCacheDataTypeE1ELb0EEEvPT_PKS2_PKT0_S8_ifPKiSA_iPKfiiiSC_SC_iiiii.kd
    .uniform_work_group_size: 1
    .uses_dynamic_stack: false
    .vgpr_count:     65
    .vgpr_spill_count: 0
    .wavefront_size: 32
    .workgroup_processor_mode: 1
  - .args:
      - .actual_access:  write_only
        .address_space:  global
        .offset:         0
        .size:           8
        .value_kind:     global_buffer
      - .actual_access:  read_only
        .address_space:  global
        .offset:         8
        .size:           8
        .value_kind:     global_buffer
      - .actual_access:  read_only
        .address_space:  global
        .offset:         16
        .size:           8
        .value_kind:     global_buffer
      - .actual_access:  read_only
        .address_space:  global
        .offset:         24
        .size:           8
        .value_kind:     global_buffer
      - .offset:         32
        .size:           4
        .value_kind:     by_value
      - .offset:         36
        .size:           4
        .value_kind:     by_value
      - .actual_access:  read_only
        .address_space:  global
        .offset:         40
        .size:           8
        .value_kind:     global_buffer
      - .actual_access:  read_only
        .address_space:  global
        .offset:         48
        .size:           8
        .value_kind:     global_buffer
      - .offset:         56
        .size:           4
        .value_kind:     by_value
      - .actual_access:  read_only
        .address_space:  global
        .offset:         64
        .size:           8
        .value_kind:     global_buffer
      - .offset:         72
        .size:           4
        .value_kind:     by_value
      - .offset:         76
        .size:           4
        .value_kind:     by_value
      - .offset:         80
        .size:           4
        .value_kind:     by_value
      - .address_space:  global
        .offset:         88
        .size:           8
        .value_kind:     global_buffer
      - .address_space:  global
        .offset:         96
        .size:           8
        .value_kind:     global_buffer
      - .offset:         104
        .size:           4
        .value_kind:     by_value
      - .offset:         108
        .size:           4
        .value_kind:     by_value
      - .offset:         112
        .size:           4
        .value_kind:     by_value
      - .offset:         116
        .size:           4
        .value_kind:     by_value
      - .offset:         120
        .size:           4
        .value_kind:     by_value
      - .offset:         128
        .size:           4
        .value_kind:     hidden_block_count_x
      - .offset:         132
        .size:           4
        .value_kind:     hidden_block_count_y
      - .offset:         136
        .size:           4
        .value_kind:     hidden_block_count_z
      - .offset:         140
        .size:           2
        .value_kind:     hidden_group_size_x
      - .offset:         142
        .size:           2
        .value_kind:     hidden_group_size_y
      - .offset:         144
        .size:           2
        .value_kind:     hidden_group_size_z
      - .offset:         146
        .size:           2
        .value_kind:     hidden_remainder_x
      - .offset:         148
        .size:           2
        .value_kind:     hidden_remainder_y
      - .offset:         150
        .size:           2
        .value_kind:     hidden_remainder_z
      - .offset:         168
        .size:           8
        .value_kind:     hidden_global_offset_x
      - .offset:         176
        .size:           8
        .value_kind:     hidden_global_offset_y
      - .offset:         184
        .size:           8
        .value_kind:     hidden_global_offset_z
      - .offset:         192
        .size:           2
        .value_kind:     hidden_grid_dims
      - .offset:         248
        .size:           4
        .value_kind:     hidden_dynamic_lds_size
    .group_segment_fixed_size: 416
    .kernarg_segment_align: 8
    .kernarg_segment_size: 384
    .language:       OpenCL C
    .language_version:
      - 2
      - 0
    .max_flat_workgroup_size: 1024
    .name:           _ZN4vllm25paged_attention_v1_kernelIfhLi96ELi8ELi128ELNS_18Fp8KVCacheDataTypeE1ELb0EEEvPT_PKS2_PKT0_S8_ifPKiSA_iPKfiiiSC_SC_iiiii
    .private_segment_fixed_size: 0
    .sgpr_count:     36
    .sgpr_spill_count: 0
    .symbol:         _ZN4vllm25paged_attention_v1_kernelIfhLi96ELi8ELi128ELNS_18Fp8KVCacheDataTypeE1ELb0EEEvPT_PKS2_PKT0_S8_ifPKiSA_iPKfiiiSC_SC_iiiii.kd
    .uniform_work_group_size: 1
    .uses_dynamic_stack: false
    .vgpr_count:     73
    .vgpr_spill_count: 0
    .wavefront_size: 32
    .workgroup_processor_mode: 1
  - .args:
      - .actual_access:  write_only
        .address_space:  global
        .offset:         0
        .size:           8
        .value_kind:     global_buffer
      - .actual_access:  read_only
        .address_space:  global
        .offset:         8
        .size:           8
        .value_kind:     global_buffer
      - .actual_access:  read_only
        .address_space:  global
        .offset:         16
        .size:           8
        .value_kind:     global_buffer
      - .actual_access:  read_only
        .address_space:  global
        .offset:         24
        .size:           8
        .value_kind:     global_buffer
      - .offset:         32
        .size:           4
        .value_kind:     by_value
      - .offset:         36
        .size:           4
        .value_kind:     by_value
      - .actual_access:  read_only
        .address_space:  global
        .offset:         40
        .size:           8
        .value_kind:     global_buffer
      - .actual_access:  read_only
        .address_space:  global
        .offset:         48
        .size:           8
        .value_kind:     global_buffer
      - .offset:         56
        .size:           4
        .value_kind:     by_value
      - .actual_access:  read_only
        .address_space:  global
        .offset:         64
        .size:           8
        .value_kind:     global_buffer
      - .offset:         72
        .size:           4
        .value_kind:     by_value
      - .offset:         76
        .size:           4
        .value_kind:     by_value
      - .offset:         80
        .size:           4
        .value_kind:     by_value
      - .address_space:  global
        .offset:         88
        .size:           8
        .value_kind:     global_buffer
      - .address_space:  global
        .offset:         96
        .size:           8
        .value_kind:     global_buffer
      - .offset:         104
        .size:           4
        .value_kind:     by_value
      - .offset:         108
        .size:           4
        .value_kind:     by_value
      - .offset:         112
        .size:           4
        .value_kind:     by_value
      - .offset:         116
        .size:           4
        .value_kind:     by_value
      - .offset:         120
        .size:           4
        .value_kind:     by_value
      - .offset:         128
        .size:           4
        .value_kind:     hidden_block_count_x
      - .offset:         132
        .size:           4
        .value_kind:     hidden_block_count_y
      - .offset:         136
        .size:           4
        .value_kind:     hidden_block_count_z
      - .offset:         140
        .size:           2
        .value_kind:     hidden_group_size_x
      - .offset:         142
        .size:           2
        .value_kind:     hidden_group_size_y
      - .offset:         144
        .size:           2
        .value_kind:     hidden_group_size_z
      - .offset:         146
        .size:           2
        .value_kind:     hidden_remainder_x
      - .offset:         148
        .size:           2
        .value_kind:     hidden_remainder_y
      - .offset:         150
        .size:           2
        .value_kind:     hidden_remainder_z
      - .offset:         168
        .size:           8
        .value_kind:     hidden_global_offset_x
      - .offset:         176
        .size:           8
        .value_kind:     hidden_global_offset_y
      - .offset:         184
        .size:           8
        .value_kind:     hidden_global_offset_z
      - .offset:         192
        .size:           2
        .value_kind:     hidden_grid_dims
      - .offset:         248
        .size:           4
        .value_kind:     hidden_dynamic_lds_size
    .group_segment_fixed_size: 480
    .kernarg_segment_align: 8
    .kernarg_segment_size: 384
    .language:       OpenCL C
    .language_version:
      - 2
      - 0
    .max_flat_workgroup_size: 1024
    .name:           _ZN4vllm25paged_attention_v1_kernelIfhLi112ELi8ELi128ELNS_18Fp8KVCacheDataTypeE1ELb0EEEvPT_PKS2_PKT0_S8_ifPKiSA_iPKfiiiSC_SC_iiiii
    .private_segment_fixed_size: 0
    .sgpr_count:     36
    .sgpr_spill_count: 0
    .symbol:         _ZN4vllm25paged_attention_v1_kernelIfhLi112ELi8ELi128ELNS_18Fp8KVCacheDataTypeE1ELb0EEEvPT_PKS2_PKT0_S8_ifPKiSA_iPKfiiiSC_SC_iiiii.kd
    .uniform_work_group_size: 1
    .uses_dynamic_stack: false
    .vgpr_count:     81
    .vgpr_spill_count: 0
    .wavefront_size: 32
    .workgroup_processor_mode: 1
  - .args:
      - .actual_access:  write_only
        .address_space:  global
        .offset:         0
        .size:           8
        .value_kind:     global_buffer
      - .actual_access:  read_only
        .address_space:  global
        .offset:         8
        .size:           8
        .value_kind:     global_buffer
      - .actual_access:  read_only
        .address_space:  global
        .offset:         16
        .size:           8
        .value_kind:     global_buffer
      - .actual_access:  read_only
        .address_space:  global
        .offset:         24
        .size:           8
        .value_kind:     global_buffer
      - .offset:         32
        .size:           4
        .value_kind:     by_value
      - .offset:         36
        .size:           4
        .value_kind:     by_value
      - .actual_access:  read_only
        .address_space:  global
        .offset:         40
        .size:           8
        .value_kind:     global_buffer
      - .actual_access:  read_only
        .address_space:  global
        .offset:         48
        .size:           8
        .value_kind:     global_buffer
      - .offset:         56
        .size:           4
        .value_kind:     by_value
      - .actual_access:  read_only
        .address_space:  global
        .offset:         64
        .size:           8
        .value_kind:     global_buffer
      - .offset:         72
        .size:           4
        .value_kind:     by_value
      - .offset:         76
        .size:           4
        .value_kind:     by_value
      - .offset:         80
        .size:           4
        .value_kind:     by_value
      - .address_space:  global
        .offset:         88
        .size:           8
        .value_kind:     global_buffer
      - .address_space:  global
        .offset:         96
        .size:           8
        .value_kind:     global_buffer
      - .offset:         104
        .size:           4
        .value_kind:     by_value
      - .offset:         108
        .size:           4
        .value_kind:     by_value
      - .offset:         112
        .size:           4
        .value_kind:     by_value
      - .offset:         116
        .size:           4
        .value_kind:     by_value
      - .offset:         120
        .size:           4
        .value_kind:     by_value
      - .offset:         128
        .size:           4
        .value_kind:     hidden_block_count_x
      - .offset:         132
        .size:           4
        .value_kind:     hidden_block_count_y
      - .offset:         136
        .size:           4
        .value_kind:     hidden_block_count_z
      - .offset:         140
        .size:           2
        .value_kind:     hidden_group_size_x
      - .offset:         142
        .size:           2
        .value_kind:     hidden_group_size_y
      - .offset:         144
        .size:           2
        .value_kind:     hidden_group_size_z
      - .offset:         146
        .size:           2
        .value_kind:     hidden_remainder_x
      - .offset:         148
        .size:           2
        .value_kind:     hidden_remainder_y
      - .offset:         150
        .size:           2
        .value_kind:     hidden_remainder_z
      - .offset:         168
        .size:           8
        .value_kind:     hidden_global_offset_x
      - .offset:         176
        .size:           8
        .value_kind:     hidden_global_offset_y
      - .offset:         184
        .size:           8
        .value_kind:     hidden_global_offset_z
      - .offset:         192
        .size:           2
        .value_kind:     hidden_grid_dims
      - .offset:         248
        .size:           4
        .value_kind:     hidden_dynamic_lds_size
    .group_segment_fixed_size: 512
    .kernarg_segment_align: 8
    .kernarg_segment_size: 384
    .language:       OpenCL C
    .language_version:
      - 2
      - 0
    .max_flat_workgroup_size: 1024
    .name:           _ZN4vllm25paged_attention_v1_kernelIfhLi120ELi8ELi128ELNS_18Fp8KVCacheDataTypeE1ELb0EEEvPT_PKS2_PKT0_S8_ifPKiSA_iPKfiiiSC_SC_iiiii
    .private_segment_fixed_size: 0
    .sgpr_count:     36
    .sgpr_spill_count: 0
    .symbol:         _ZN4vllm25paged_attention_v1_kernelIfhLi120ELi8ELi128ELNS_18Fp8KVCacheDataTypeE1ELb0EEEvPT_PKS2_PKT0_S8_ifPKiSA_iPKfiiiSC_SC_iiiii.kd
    .uniform_work_group_size: 1
    .uses_dynamic_stack: false
    .vgpr_count:     85
    .vgpr_spill_count: 0
    .wavefront_size: 32
    .workgroup_processor_mode: 1
  - .args:
      - .actual_access:  write_only
        .address_space:  global
        .offset:         0
        .size:           8
        .value_kind:     global_buffer
      - .actual_access:  read_only
        .address_space:  global
        .offset:         8
        .size:           8
        .value_kind:     global_buffer
      - .actual_access:  read_only
        .address_space:  global
        .offset:         16
        .size:           8
        .value_kind:     global_buffer
      - .actual_access:  read_only
        .address_space:  global
        .offset:         24
        .size:           8
        .value_kind:     global_buffer
      - .offset:         32
        .size:           4
        .value_kind:     by_value
      - .offset:         36
        .size:           4
        .value_kind:     by_value
      - .actual_access:  read_only
        .address_space:  global
        .offset:         40
        .size:           8
        .value_kind:     global_buffer
      - .actual_access:  read_only
        .address_space:  global
        .offset:         48
        .size:           8
        .value_kind:     global_buffer
      - .offset:         56
        .size:           4
        .value_kind:     by_value
      - .actual_access:  read_only
        .address_space:  global
        .offset:         64
        .size:           8
        .value_kind:     global_buffer
      - .offset:         72
        .size:           4
        .value_kind:     by_value
      - .offset:         76
        .size:           4
        .value_kind:     by_value
      - .offset:         80
        .size:           4
        .value_kind:     by_value
      - .address_space:  global
        .offset:         88
        .size:           8
        .value_kind:     global_buffer
      - .address_space:  global
        .offset:         96
        .size:           8
        .value_kind:     global_buffer
      - .offset:         104
        .size:           4
        .value_kind:     by_value
      - .offset:         108
        .size:           4
        .value_kind:     by_value
      - .offset:         112
        .size:           4
        .value_kind:     by_value
      - .offset:         116
        .size:           4
        .value_kind:     by_value
      - .offset:         120
        .size:           4
        .value_kind:     by_value
      - .offset:         128
        .size:           4
        .value_kind:     hidden_block_count_x
      - .offset:         132
        .size:           4
        .value_kind:     hidden_block_count_y
      - .offset:         136
        .size:           4
        .value_kind:     hidden_block_count_z
      - .offset:         140
        .size:           2
        .value_kind:     hidden_group_size_x
      - .offset:         142
        .size:           2
        .value_kind:     hidden_group_size_y
      - .offset:         144
        .size:           2
        .value_kind:     hidden_group_size_z
      - .offset:         146
        .size:           2
        .value_kind:     hidden_remainder_x
      - .offset:         148
        .size:           2
        .value_kind:     hidden_remainder_y
      - .offset:         150
        .size:           2
        .value_kind:     hidden_remainder_z
      - .offset:         168
        .size:           8
        .value_kind:     hidden_global_offset_x
      - .offset:         176
        .size:           8
        .value_kind:     hidden_global_offset_y
      - .offset:         184
        .size:           8
        .value_kind:     hidden_global_offset_z
      - .offset:         192
        .size:           2
        .value_kind:     hidden_grid_dims
      - .offset:         248
        .size:           4
        .value_kind:     hidden_dynamic_lds_size
    .group_segment_fixed_size: 544
    .kernarg_segment_align: 8
    .kernarg_segment_size: 384
    .language:       OpenCL C
    .language_version:
      - 2
      - 0
    .max_flat_workgroup_size: 1024
    .name:           _ZN4vllm25paged_attention_v1_kernelIfhLi128ELi8ELi128ELNS_18Fp8KVCacheDataTypeE1ELb0EEEvPT_PKS2_PKT0_S8_ifPKiSA_iPKfiiiSC_SC_iiiii
    .private_segment_fixed_size: 0
    .sgpr_count:     36
    .sgpr_spill_count: 0
    .symbol:         _ZN4vllm25paged_attention_v1_kernelIfhLi128ELi8ELi128ELNS_18Fp8KVCacheDataTypeE1ELb0EEEvPT_PKS2_PKT0_S8_ifPKiSA_iPKfiiiSC_SC_iiiii.kd
    .uniform_work_group_size: 1
    .uses_dynamic_stack: false
    .vgpr_count:     89
    .vgpr_spill_count: 0
    .wavefront_size: 32
    .workgroup_processor_mode: 1
  - .args:
      - .actual_access:  write_only
        .address_space:  global
        .offset:         0
        .size:           8
        .value_kind:     global_buffer
      - .actual_access:  read_only
        .address_space:  global
        .offset:         8
        .size:           8
        .value_kind:     global_buffer
      - .actual_access:  read_only
        .address_space:  global
        .offset:         16
        .size:           8
        .value_kind:     global_buffer
      - .actual_access:  read_only
        .address_space:  global
        .offset:         24
        .size:           8
        .value_kind:     global_buffer
      - .offset:         32
        .size:           4
        .value_kind:     by_value
      - .offset:         36
        .size:           4
        .value_kind:     by_value
      - .actual_access:  read_only
        .address_space:  global
        .offset:         40
        .size:           8
        .value_kind:     global_buffer
      - .actual_access:  read_only
        .address_space:  global
        .offset:         48
        .size:           8
        .value_kind:     global_buffer
      - .offset:         56
        .size:           4
        .value_kind:     by_value
      - .actual_access:  read_only
        .address_space:  global
        .offset:         64
        .size:           8
        .value_kind:     global_buffer
      - .offset:         72
        .size:           4
        .value_kind:     by_value
      - .offset:         76
        .size:           4
        .value_kind:     by_value
      - .offset:         80
        .size:           4
        .value_kind:     by_value
      - .address_space:  global
        .offset:         88
        .size:           8
        .value_kind:     global_buffer
      - .address_space:  global
        .offset:         96
        .size:           8
        .value_kind:     global_buffer
      - .offset:         104
        .size:           4
        .value_kind:     by_value
      - .offset:         108
        .size:           4
        .value_kind:     by_value
      - .offset:         112
        .size:           4
        .value_kind:     by_value
      - .offset:         116
        .size:           4
        .value_kind:     by_value
      - .offset:         120
        .size:           4
        .value_kind:     by_value
      - .offset:         128
        .size:           4
        .value_kind:     hidden_block_count_x
      - .offset:         132
        .size:           4
        .value_kind:     hidden_block_count_y
      - .offset:         136
        .size:           4
        .value_kind:     hidden_block_count_z
      - .offset:         140
        .size:           2
        .value_kind:     hidden_group_size_x
      - .offset:         142
        .size:           2
        .value_kind:     hidden_group_size_y
      - .offset:         144
        .size:           2
        .value_kind:     hidden_group_size_z
      - .offset:         146
        .size:           2
        .value_kind:     hidden_remainder_x
      - .offset:         148
        .size:           2
        .value_kind:     hidden_remainder_y
      - .offset:         150
        .size:           2
        .value_kind:     hidden_remainder_z
      - .offset:         168
        .size:           8
        .value_kind:     hidden_global_offset_x
      - .offset:         176
        .size:           8
        .value_kind:     hidden_global_offset_y
      - .offset:         184
        .size:           8
        .value_kind:     hidden_global_offset_z
      - .offset:         192
        .size:           2
        .value_kind:     hidden_grid_dims
      - .offset:         248
        .size:           4
        .value_kind:     hidden_dynamic_lds_size
    .group_segment_fixed_size: 800
    .kernarg_segment_align: 8
    .kernarg_segment_size: 384
    .language:       OpenCL C
    .language_version:
      - 2
      - 0
    .max_flat_workgroup_size: 1024
    .name:           _ZN4vllm25paged_attention_v1_kernelIfhLi192ELi8ELi128ELNS_18Fp8KVCacheDataTypeE1ELb0EEEvPT_PKS2_PKT0_S8_ifPKiSA_iPKfiiiSC_SC_iiiii
    .private_segment_fixed_size: 0
    .sgpr_count:     36
    .sgpr_spill_count: 0
    .symbol:         _ZN4vllm25paged_attention_v1_kernelIfhLi192ELi8ELi128ELNS_18Fp8KVCacheDataTypeE1ELb0EEEvPT_PKS2_PKT0_S8_ifPKiSA_iPKfiiiSC_SC_iiiii.kd
    .uniform_work_group_size: 1
    .uses_dynamic_stack: false
    .vgpr_count:     121
    .vgpr_spill_count: 0
    .wavefront_size: 32
    .workgroup_processor_mode: 1
  - .args:
      - .actual_access:  write_only
        .address_space:  global
        .offset:         0
        .size:           8
        .value_kind:     global_buffer
      - .actual_access:  read_only
        .address_space:  global
        .offset:         8
        .size:           8
        .value_kind:     global_buffer
      - .actual_access:  read_only
        .address_space:  global
        .offset:         16
        .size:           8
        .value_kind:     global_buffer
      - .actual_access:  read_only
        .address_space:  global
        .offset:         24
        .size:           8
        .value_kind:     global_buffer
      - .offset:         32
        .size:           4
        .value_kind:     by_value
      - .offset:         36
        .size:           4
        .value_kind:     by_value
      - .actual_access:  read_only
        .address_space:  global
        .offset:         40
        .size:           8
        .value_kind:     global_buffer
      - .actual_access:  read_only
        .address_space:  global
        .offset:         48
        .size:           8
        .value_kind:     global_buffer
      - .offset:         56
        .size:           4
        .value_kind:     by_value
      - .actual_access:  read_only
        .address_space:  global
        .offset:         64
        .size:           8
        .value_kind:     global_buffer
      - .offset:         72
        .size:           4
        .value_kind:     by_value
      - .offset:         76
        .size:           4
        .value_kind:     by_value
      - .offset:         80
        .size:           4
        .value_kind:     by_value
      - .address_space:  global
        .offset:         88
        .size:           8
        .value_kind:     global_buffer
      - .address_space:  global
        .offset:         96
        .size:           8
        .value_kind:     global_buffer
      - .offset:         104
        .size:           4
        .value_kind:     by_value
      - .offset:         108
        .size:           4
        .value_kind:     by_value
      - .offset:         112
        .size:           4
        .value_kind:     by_value
      - .offset:         116
        .size:           4
        .value_kind:     by_value
      - .offset:         120
        .size:           4
        .value_kind:     by_value
      - .offset:         128
        .size:           4
        .value_kind:     hidden_block_count_x
      - .offset:         132
        .size:           4
        .value_kind:     hidden_block_count_y
      - .offset:         136
        .size:           4
        .value_kind:     hidden_block_count_z
      - .offset:         140
        .size:           2
        .value_kind:     hidden_group_size_x
      - .offset:         142
        .size:           2
        .value_kind:     hidden_group_size_y
      - .offset:         144
        .size:           2
        .value_kind:     hidden_group_size_z
      - .offset:         146
        .size:           2
        .value_kind:     hidden_remainder_x
      - .offset:         148
        .size:           2
        .value_kind:     hidden_remainder_y
      - .offset:         150
        .size:           2
        .value_kind:     hidden_remainder_z
      - .offset:         168
        .size:           8
        .value_kind:     hidden_global_offset_x
      - .offset:         176
        .size:           8
        .value_kind:     hidden_global_offset_y
      - .offset:         184
        .size:           8
        .value_kind:     hidden_global_offset_z
      - .offset:         192
        .size:           2
        .value_kind:     hidden_grid_dims
      - .offset:         248
        .size:           4
        .value_kind:     hidden_dynamic_lds_size
    .group_segment_fixed_size: 1056
    .kernarg_segment_align: 8
    .kernarg_segment_size: 384
    .language:       OpenCL C
    .language_version:
      - 2
      - 0
    .max_flat_workgroup_size: 1024
    .name:           _ZN4vllm25paged_attention_v1_kernelIfhLi256ELi8ELi128ELNS_18Fp8KVCacheDataTypeE1ELb0EEEvPT_PKS2_PKT0_S8_ifPKiSA_iPKfiiiSC_SC_iiiii
    .private_segment_fixed_size: 100
    .sgpr_count:     42
    .sgpr_spill_count: 0
    .symbol:         _ZN4vllm25paged_attention_v1_kernelIfhLi256ELi8ELi128ELNS_18Fp8KVCacheDataTypeE1ELb0EEEvPT_PKS2_PKT0_S8_ifPKiSA_iPKfiiiSC_SC_iiiii.kd
    .uniform_work_group_size: 1
    .uses_dynamic_stack: false
    .vgpr_count:     128
    .vgpr_spill_count: 67
    .wavefront_size: 32
    .workgroup_processor_mode: 1
  - .args:
      - .actual_access:  write_only
        .address_space:  global
        .offset:         0
        .size:           8
        .value_kind:     global_buffer
      - .actual_access:  read_only
        .address_space:  global
        .offset:         8
        .size:           8
        .value_kind:     global_buffer
      - .actual_access:  read_only
        .address_space:  global
        .offset:         16
        .size:           8
        .value_kind:     global_buffer
      - .actual_access:  read_only
        .address_space:  global
        .offset:         24
        .size:           8
        .value_kind:     global_buffer
      - .offset:         32
        .size:           4
        .value_kind:     by_value
      - .offset:         36
        .size:           4
        .value_kind:     by_value
      - .actual_access:  read_only
        .address_space:  global
        .offset:         40
        .size:           8
        .value_kind:     global_buffer
      - .actual_access:  read_only
        .address_space:  global
        .offset:         48
        .size:           8
        .value_kind:     global_buffer
      - .offset:         56
        .size:           4
        .value_kind:     by_value
      - .actual_access:  read_only
        .address_space:  global
        .offset:         64
        .size:           8
        .value_kind:     global_buffer
      - .offset:         72
        .size:           4
        .value_kind:     by_value
      - .offset:         76
        .size:           4
        .value_kind:     by_value
      - .offset:         80
        .size:           4
        .value_kind:     by_value
      - .address_space:  global
        .offset:         88
        .size:           8
        .value_kind:     global_buffer
      - .address_space:  global
        .offset:         96
        .size:           8
        .value_kind:     global_buffer
      - .offset:         104
        .size:           4
        .value_kind:     by_value
      - .offset:         108
        .size:           4
        .value_kind:     by_value
      - .offset:         112
        .size:           4
        .value_kind:     by_value
      - .offset:         116
        .size:           4
        .value_kind:     by_value
      - .offset:         120
        .size:           4
        .value_kind:     by_value
      - .offset:         128
        .size:           4
        .value_kind:     hidden_block_count_x
      - .offset:         132
        .size:           4
        .value_kind:     hidden_block_count_y
      - .offset:         136
        .size:           4
        .value_kind:     hidden_block_count_z
      - .offset:         140
        .size:           2
        .value_kind:     hidden_group_size_x
      - .offset:         142
        .size:           2
        .value_kind:     hidden_group_size_y
      - .offset:         144
        .size:           2
        .value_kind:     hidden_group_size_z
      - .offset:         146
        .size:           2
        .value_kind:     hidden_remainder_x
      - .offset:         148
        .size:           2
        .value_kind:     hidden_remainder_y
      - .offset:         150
        .size:           2
        .value_kind:     hidden_remainder_z
      - .offset:         168
        .size:           8
        .value_kind:     hidden_global_offset_x
      - .offset:         176
        .size:           8
        .value_kind:     hidden_global_offset_y
      - .offset:         184
        .size:           8
        .value_kind:     hidden_global_offset_z
      - .offset:         192
        .size:           2
        .value_kind:     hidden_grid_dims
      - .offset:         248
        .size:           4
        .value_kind:     hidden_dynamic_lds_size
    .group_segment_fixed_size: 160
    .kernarg_segment_align: 8
    .kernarg_segment_size: 384
    .language:       OpenCL C
    .language_version:
      - 2
      - 0
    .max_flat_workgroup_size: 1024
    .name:           _ZN4vllm25paged_attention_v1_kernelIfhLi32ELi16ELi128ELNS_18Fp8KVCacheDataTypeE1ELb1EEEvPT_PKS2_PKT0_S8_ifPKiSA_iPKfiiiSC_SC_iiiii
    .private_segment_fixed_size: 0
    .sgpr_count:     47
    .sgpr_spill_count: 0
    .symbol:         _ZN4vllm25paged_attention_v1_kernelIfhLi32ELi16ELi128ELNS_18Fp8KVCacheDataTypeE1ELb1EEEvPT_PKS2_PKT0_S8_ifPKiSA_iPKfiiiSC_SC_iiiii.kd
    .uniform_work_group_size: 1
    .uses_dynamic_stack: false
    .vgpr_count:     77
    .vgpr_spill_count: 0
    .wavefront_size: 32
    .workgroup_processor_mode: 1
  - .args:
      - .actual_access:  write_only
        .address_space:  global
        .offset:         0
        .size:           8
        .value_kind:     global_buffer
      - .actual_access:  read_only
        .address_space:  global
        .offset:         8
        .size:           8
        .value_kind:     global_buffer
      - .actual_access:  read_only
        .address_space:  global
        .offset:         16
        .size:           8
        .value_kind:     global_buffer
      - .actual_access:  read_only
        .address_space:  global
        .offset:         24
        .size:           8
        .value_kind:     global_buffer
      - .offset:         32
        .size:           4
        .value_kind:     by_value
      - .offset:         36
        .size:           4
        .value_kind:     by_value
      - .actual_access:  read_only
        .address_space:  global
        .offset:         40
        .size:           8
        .value_kind:     global_buffer
      - .actual_access:  read_only
        .address_space:  global
        .offset:         48
        .size:           8
        .value_kind:     global_buffer
      - .offset:         56
        .size:           4
        .value_kind:     by_value
      - .actual_access:  read_only
        .address_space:  global
        .offset:         64
        .size:           8
        .value_kind:     global_buffer
      - .offset:         72
        .size:           4
        .value_kind:     by_value
      - .offset:         76
        .size:           4
        .value_kind:     by_value
      - .offset:         80
        .size:           4
        .value_kind:     by_value
      - .address_space:  global
        .offset:         88
        .size:           8
        .value_kind:     global_buffer
      - .address_space:  global
        .offset:         96
        .size:           8
        .value_kind:     global_buffer
      - .offset:         104
        .size:           4
        .value_kind:     by_value
      - .offset:         108
        .size:           4
        .value_kind:     by_value
      - .offset:         112
        .size:           4
        .value_kind:     by_value
      - .offset:         116
        .size:           4
        .value_kind:     by_value
      - .offset:         120
        .size:           4
        .value_kind:     by_value
      - .offset:         128
        .size:           4
        .value_kind:     hidden_block_count_x
      - .offset:         132
        .size:           4
        .value_kind:     hidden_block_count_y
      - .offset:         136
        .size:           4
        .value_kind:     hidden_block_count_z
      - .offset:         140
        .size:           2
        .value_kind:     hidden_group_size_x
      - .offset:         142
        .size:           2
        .value_kind:     hidden_group_size_y
      - .offset:         144
        .size:           2
        .value_kind:     hidden_group_size_z
      - .offset:         146
        .size:           2
        .value_kind:     hidden_remainder_x
      - .offset:         148
        .size:           2
        .value_kind:     hidden_remainder_y
      - .offset:         150
        .size:           2
        .value_kind:     hidden_remainder_z
      - .offset:         168
        .size:           8
        .value_kind:     hidden_global_offset_x
      - .offset:         176
        .size:           8
        .value_kind:     hidden_global_offset_y
      - .offset:         184
        .size:           8
        .value_kind:     hidden_global_offset_z
      - .offset:         192
        .size:           2
        .value_kind:     hidden_grid_dims
      - .offset:         248
        .size:           4
        .value_kind:     hidden_dynamic_lds_size
    .group_segment_fixed_size: 288
    .kernarg_segment_align: 8
    .kernarg_segment_size: 384
    .language:       OpenCL C
    .language_version:
      - 2
      - 0
    .max_flat_workgroup_size: 1024
    .name:           _ZN4vllm25paged_attention_v1_kernelIfhLi64ELi16ELi128ELNS_18Fp8KVCacheDataTypeE1ELb1EEEvPT_PKS2_PKT0_S8_ifPKiSA_iPKfiiiSC_SC_iiiii
    .private_segment_fixed_size: 0
    .sgpr_count:     48
    .sgpr_spill_count: 0
    .symbol:         _ZN4vllm25paged_attention_v1_kernelIfhLi64ELi16ELi128ELNS_18Fp8KVCacheDataTypeE1ELb1EEEvPT_PKS2_PKT0_S8_ifPKiSA_iPKfiiiSC_SC_iiiii.kd
    .uniform_work_group_size: 1
    .uses_dynamic_stack: false
    .vgpr_count:     125
    .vgpr_spill_count: 0
    .wavefront_size: 32
    .workgroup_processor_mode: 1
  - .args:
      - .actual_access:  write_only
        .address_space:  global
        .offset:         0
        .size:           8
        .value_kind:     global_buffer
      - .actual_access:  read_only
        .address_space:  global
        .offset:         8
        .size:           8
        .value_kind:     global_buffer
      - .actual_access:  read_only
        .address_space:  global
        .offset:         16
        .size:           8
        .value_kind:     global_buffer
      - .actual_access:  read_only
        .address_space:  global
        .offset:         24
        .size:           8
        .value_kind:     global_buffer
      - .offset:         32
        .size:           4
        .value_kind:     by_value
      - .offset:         36
        .size:           4
        .value_kind:     by_value
      - .actual_access:  read_only
        .address_space:  global
        .offset:         40
        .size:           8
        .value_kind:     global_buffer
      - .actual_access:  read_only
        .address_space:  global
        .offset:         48
        .size:           8
        .value_kind:     global_buffer
      - .offset:         56
        .size:           4
        .value_kind:     by_value
      - .actual_access:  read_only
        .address_space:  global
        .offset:         64
        .size:           8
        .value_kind:     global_buffer
      - .offset:         72
        .size:           4
        .value_kind:     by_value
      - .offset:         76
        .size:           4
        .value_kind:     by_value
      - .offset:         80
        .size:           4
        .value_kind:     by_value
      - .address_space:  global
        .offset:         88
        .size:           8
        .value_kind:     global_buffer
      - .address_space:  global
        .offset:         96
        .size:           8
        .value_kind:     global_buffer
      - .offset:         104
        .size:           4
        .value_kind:     by_value
      - .offset:         108
        .size:           4
        .value_kind:     by_value
      - .offset:         112
        .size:           4
        .value_kind:     by_value
      - .offset:         116
        .size:           4
        .value_kind:     by_value
      - .offset:         120
        .size:           4
        .value_kind:     by_value
      - .offset:         128
        .size:           4
        .value_kind:     hidden_block_count_x
      - .offset:         132
        .size:           4
        .value_kind:     hidden_block_count_y
      - .offset:         136
        .size:           4
        .value_kind:     hidden_block_count_z
      - .offset:         140
        .size:           2
        .value_kind:     hidden_group_size_x
      - .offset:         142
        .size:           2
        .value_kind:     hidden_group_size_y
      - .offset:         144
        .size:           2
        .value_kind:     hidden_group_size_z
      - .offset:         146
        .size:           2
        .value_kind:     hidden_remainder_x
      - .offset:         148
        .size:           2
        .value_kind:     hidden_remainder_y
      - .offset:         150
        .size:           2
        .value_kind:     hidden_remainder_z
      - .offset:         168
        .size:           8
        .value_kind:     hidden_global_offset_x
      - .offset:         176
        .size:           8
        .value_kind:     hidden_global_offset_y
      - .offset:         184
        .size:           8
        .value_kind:     hidden_global_offset_z
      - .offset:         192
        .size:           2
        .value_kind:     hidden_grid_dims
      - .offset:         248
        .size:           4
        .value_kind:     hidden_dynamic_lds_size
    .group_segment_fixed_size: 352
    .kernarg_segment_align: 8
    .kernarg_segment_size: 384
    .language:       OpenCL C
    .language_version:
      - 2
      - 0
    .max_flat_workgroup_size: 1024
    .name:           _ZN4vllm25paged_attention_v1_kernelIfhLi80ELi16ELi128ELNS_18Fp8KVCacheDataTypeE1ELb1EEEvPT_PKS2_PKT0_S8_ifPKiSA_iPKfiiiSC_SC_iiiii
    .private_segment_fixed_size: 76
    .sgpr_count:     54
    .sgpr_spill_count: 0
    .symbol:         _ZN4vllm25paged_attention_v1_kernelIfhLi80ELi16ELi128ELNS_18Fp8KVCacheDataTypeE1ELb1EEEvPT_PKS2_PKT0_S8_ifPKiSA_iPKfiiiSC_SC_iiiii.kd
    .uniform_work_group_size: 1
    .uses_dynamic_stack: false
    .vgpr_count:     128
    .vgpr_spill_count: 43
    .wavefront_size: 32
    .workgroup_processor_mode: 1
  - .args:
      - .actual_access:  write_only
        .address_space:  global
        .offset:         0
        .size:           8
        .value_kind:     global_buffer
      - .actual_access:  read_only
        .address_space:  global
        .offset:         8
        .size:           8
        .value_kind:     global_buffer
      - .actual_access:  read_only
        .address_space:  global
        .offset:         16
        .size:           8
        .value_kind:     global_buffer
      - .actual_access:  read_only
        .address_space:  global
        .offset:         24
        .size:           8
        .value_kind:     global_buffer
      - .offset:         32
        .size:           4
        .value_kind:     by_value
      - .offset:         36
        .size:           4
        .value_kind:     by_value
      - .actual_access:  read_only
        .address_space:  global
        .offset:         40
        .size:           8
        .value_kind:     global_buffer
      - .actual_access:  read_only
        .address_space:  global
        .offset:         48
        .size:           8
        .value_kind:     global_buffer
      - .offset:         56
        .size:           4
        .value_kind:     by_value
      - .actual_access:  read_only
        .address_space:  global
        .offset:         64
        .size:           8
        .value_kind:     global_buffer
      - .offset:         72
        .size:           4
        .value_kind:     by_value
      - .offset:         76
        .size:           4
        .value_kind:     by_value
      - .offset:         80
        .size:           4
        .value_kind:     by_value
      - .address_space:  global
        .offset:         88
        .size:           8
        .value_kind:     global_buffer
      - .address_space:  global
        .offset:         96
        .size:           8
        .value_kind:     global_buffer
      - .offset:         104
        .size:           4
        .value_kind:     by_value
      - .offset:         108
        .size:           4
        .value_kind:     by_value
      - .offset:         112
        .size:           4
        .value_kind:     by_value
      - .offset:         116
        .size:           4
        .value_kind:     by_value
      - .offset:         120
        .size:           4
        .value_kind:     by_value
      - .offset:         128
        .size:           4
        .value_kind:     hidden_block_count_x
      - .offset:         132
        .size:           4
        .value_kind:     hidden_block_count_y
      - .offset:         136
        .size:           4
        .value_kind:     hidden_block_count_z
      - .offset:         140
        .size:           2
        .value_kind:     hidden_group_size_x
      - .offset:         142
        .size:           2
        .value_kind:     hidden_group_size_y
      - .offset:         144
        .size:           2
        .value_kind:     hidden_group_size_z
      - .offset:         146
        .size:           2
        .value_kind:     hidden_remainder_x
      - .offset:         148
        .size:           2
        .value_kind:     hidden_remainder_y
      - .offset:         150
        .size:           2
        .value_kind:     hidden_remainder_z
      - .offset:         168
        .size:           8
        .value_kind:     hidden_global_offset_x
      - .offset:         176
        .size:           8
        .value_kind:     hidden_global_offset_y
      - .offset:         184
        .size:           8
        .value_kind:     hidden_global_offset_z
      - .offset:         192
        .size:           2
        .value_kind:     hidden_grid_dims
      - .offset:         248
        .size:           4
        .value_kind:     hidden_dynamic_lds_size
    .group_segment_fixed_size: 416
    .kernarg_segment_align: 8
    .kernarg_segment_size: 384
    .language:       OpenCL C
    .language_version:
      - 2
      - 0
    .max_flat_workgroup_size: 1024
    .name:           _ZN4vllm25paged_attention_v1_kernelIfhLi96ELi16ELi128ELNS_18Fp8KVCacheDataTypeE1ELb1EEEvPT_PKS2_PKT0_S8_ifPKiSA_iPKfiiiSC_SC_iiiii
    .private_segment_fixed_size: 180
    .sgpr_count:     54
    .sgpr_spill_count: 0
    .symbol:         _ZN4vllm25paged_attention_v1_kernelIfhLi96ELi16ELi128ELNS_18Fp8KVCacheDataTypeE1ELb1EEEvPT_PKS2_PKT0_S8_ifPKiSA_iPKfiiiSC_SC_iiiii.kd
    .uniform_work_group_size: 1
    .uses_dynamic_stack: false
    .vgpr_count:     128
    .vgpr_spill_count: 63
    .wavefront_size: 32
    .workgroup_processor_mode: 1
  - .args:
      - .actual_access:  write_only
        .address_space:  global
        .offset:         0
        .size:           8
        .value_kind:     global_buffer
      - .actual_access:  read_only
        .address_space:  global
        .offset:         8
        .size:           8
        .value_kind:     global_buffer
      - .actual_access:  read_only
        .address_space:  global
        .offset:         16
        .size:           8
        .value_kind:     global_buffer
      - .actual_access:  read_only
        .address_space:  global
        .offset:         24
        .size:           8
        .value_kind:     global_buffer
      - .offset:         32
        .size:           4
        .value_kind:     by_value
      - .offset:         36
        .size:           4
        .value_kind:     by_value
      - .actual_access:  read_only
        .address_space:  global
        .offset:         40
        .size:           8
        .value_kind:     global_buffer
      - .actual_access:  read_only
        .address_space:  global
        .offset:         48
        .size:           8
        .value_kind:     global_buffer
      - .offset:         56
        .size:           4
        .value_kind:     by_value
      - .actual_access:  read_only
        .address_space:  global
        .offset:         64
        .size:           8
        .value_kind:     global_buffer
      - .offset:         72
        .size:           4
        .value_kind:     by_value
      - .offset:         76
        .size:           4
        .value_kind:     by_value
      - .offset:         80
        .size:           4
        .value_kind:     by_value
      - .address_space:  global
        .offset:         88
        .size:           8
        .value_kind:     global_buffer
      - .address_space:  global
        .offset:         96
        .size:           8
        .value_kind:     global_buffer
      - .offset:         104
        .size:           4
        .value_kind:     by_value
      - .offset:         108
        .size:           4
        .value_kind:     by_value
      - .offset:         112
        .size:           4
        .value_kind:     by_value
      - .offset:         116
        .size:           4
        .value_kind:     by_value
      - .offset:         120
        .size:           4
        .value_kind:     by_value
      - .offset:         128
        .size:           4
        .value_kind:     hidden_block_count_x
      - .offset:         132
        .size:           4
        .value_kind:     hidden_block_count_y
      - .offset:         136
        .size:           4
        .value_kind:     hidden_block_count_z
      - .offset:         140
        .size:           2
        .value_kind:     hidden_group_size_x
      - .offset:         142
        .size:           2
        .value_kind:     hidden_group_size_y
      - .offset:         144
        .size:           2
        .value_kind:     hidden_group_size_z
      - .offset:         146
        .size:           2
        .value_kind:     hidden_remainder_x
      - .offset:         148
        .size:           2
        .value_kind:     hidden_remainder_y
      - .offset:         150
        .size:           2
        .value_kind:     hidden_remainder_z
      - .offset:         168
        .size:           8
        .value_kind:     hidden_global_offset_x
      - .offset:         176
        .size:           8
        .value_kind:     hidden_global_offset_y
      - .offset:         184
        .size:           8
        .value_kind:     hidden_global_offset_z
      - .offset:         192
        .size:           2
        .value_kind:     hidden_grid_dims
      - .offset:         248
        .size:           4
        .value_kind:     hidden_dynamic_lds_size
    .group_segment_fixed_size: 480
    .kernarg_segment_align: 8
    .kernarg_segment_size: 384
    .language:       OpenCL C
    .language_version:
      - 2
      - 0
    .max_flat_workgroup_size: 1024
    .name:           _ZN4vllm25paged_attention_v1_kernelIfhLi112ELi16ELi128ELNS_18Fp8KVCacheDataTypeE1ELb1EEEvPT_PKS2_PKT0_S8_ifPKiSA_iPKfiiiSC_SC_iiiii
    .private_segment_fixed_size: 240
    .sgpr_count:     54
    .sgpr_spill_count: 0
    .symbol:         _ZN4vllm25paged_attention_v1_kernelIfhLi112ELi16ELi128ELNS_18Fp8KVCacheDataTypeE1ELb1EEEvPT_PKS2_PKT0_S8_ifPKiSA_iPKfiiiSC_SC_iiiii.kd
    .uniform_work_group_size: 1
    .uses_dynamic_stack: false
    .vgpr_count:     128
    .vgpr_spill_count: 92
    .wavefront_size: 32
    .workgroup_processor_mode: 1
  - .args:
      - .actual_access:  write_only
        .address_space:  global
        .offset:         0
        .size:           8
        .value_kind:     global_buffer
      - .actual_access:  read_only
        .address_space:  global
        .offset:         8
        .size:           8
        .value_kind:     global_buffer
      - .actual_access:  read_only
        .address_space:  global
        .offset:         16
        .size:           8
        .value_kind:     global_buffer
      - .actual_access:  read_only
        .address_space:  global
        .offset:         24
        .size:           8
        .value_kind:     global_buffer
      - .offset:         32
        .size:           4
        .value_kind:     by_value
      - .offset:         36
        .size:           4
        .value_kind:     by_value
      - .actual_access:  read_only
        .address_space:  global
        .offset:         40
        .size:           8
        .value_kind:     global_buffer
      - .actual_access:  read_only
        .address_space:  global
        .offset:         48
        .size:           8
        .value_kind:     global_buffer
      - .offset:         56
        .size:           4
        .value_kind:     by_value
      - .actual_access:  read_only
        .address_space:  global
        .offset:         64
        .size:           8
        .value_kind:     global_buffer
      - .offset:         72
        .size:           4
        .value_kind:     by_value
      - .offset:         76
        .size:           4
        .value_kind:     by_value
      - .offset:         80
        .size:           4
        .value_kind:     by_value
      - .address_space:  global
        .offset:         88
        .size:           8
        .value_kind:     global_buffer
      - .address_space:  global
        .offset:         96
        .size:           8
        .value_kind:     global_buffer
      - .offset:         104
        .size:           4
        .value_kind:     by_value
      - .offset:         108
        .size:           4
        .value_kind:     by_value
      - .offset:         112
        .size:           4
        .value_kind:     by_value
      - .offset:         116
        .size:           4
        .value_kind:     by_value
      - .offset:         120
        .size:           4
        .value_kind:     by_value
      - .offset:         128
        .size:           4
        .value_kind:     hidden_block_count_x
      - .offset:         132
        .size:           4
        .value_kind:     hidden_block_count_y
      - .offset:         136
        .size:           4
        .value_kind:     hidden_block_count_z
      - .offset:         140
        .size:           2
        .value_kind:     hidden_group_size_x
      - .offset:         142
        .size:           2
        .value_kind:     hidden_group_size_y
      - .offset:         144
        .size:           2
        .value_kind:     hidden_group_size_z
      - .offset:         146
        .size:           2
        .value_kind:     hidden_remainder_x
      - .offset:         148
        .size:           2
        .value_kind:     hidden_remainder_y
      - .offset:         150
        .size:           2
        .value_kind:     hidden_remainder_z
      - .offset:         168
        .size:           8
        .value_kind:     hidden_global_offset_x
      - .offset:         176
        .size:           8
        .value_kind:     hidden_global_offset_y
      - .offset:         184
        .size:           8
        .value_kind:     hidden_global_offset_z
      - .offset:         192
        .size:           2
        .value_kind:     hidden_grid_dims
      - .offset:         248
        .size:           4
        .value_kind:     hidden_dynamic_lds_size
    .group_segment_fixed_size: 512
    .kernarg_segment_align: 8
    .kernarg_segment_size: 384
    .language:       OpenCL C
    .language_version:
      - 2
      - 0
    .max_flat_workgroup_size: 1024
    .name:           _ZN4vllm25paged_attention_v1_kernelIfhLi120ELi16ELi128ELNS_18Fp8KVCacheDataTypeE1ELb1EEEvPT_PKS2_PKT0_S8_ifPKiSA_iPKfiiiSC_SC_iiiii
    .private_segment_fixed_size: 276
    .sgpr_count:     54
    .sgpr_spill_count: 0
    .symbol:         _ZN4vllm25paged_attention_v1_kernelIfhLi120ELi16ELi128ELNS_18Fp8KVCacheDataTypeE1ELb1EEEvPT_PKS2_PKT0_S8_ifPKiSA_iPKfiiiSC_SC_iiiii.kd
    .uniform_work_group_size: 1
    .uses_dynamic_stack: false
    .vgpr_count:     128
    .vgpr_spill_count: 113
    .wavefront_size: 32
    .workgroup_processor_mode: 1
  - .args:
      - .actual_access:  write_only
        .address_space:  global
        .offset:         0
        .size:           8
        .value_kind:     global_buffer
      - .actual_access:  read_only
        .address_space:  global
        .offset:         8
        .size:           8
        .value_kind:     global_buffer
      - .actual_access:  read_only
        .address_space:  global
        .offset:         16
        .size:           8
        .value_kind:     global_buffer
      - .actual_access:  read_only
        .address_space:  global
        .offset:         24
        .size:           8
        .value_kind:     global_buffer
      - .offset:         32
        .size:           4
        .value_kind:     by_value
      - .offset:         36
        .size:           4
        .value_kind:     by_value
      - .actual_access:  read_only
        .address_space:  global
        .offset:         40
        .size:           8
        .value_kind:     global_buffer
      - .actual_access:  read_only
        .address_space:  global
        .offset:         48
        .size:           8
        .value_kind:     global_buffer
      - .offset:         56
        .size:           4
        .value_kind:     by_value
      - .actual_access:  read_only
        .address_space:  global
        .offset:         64
        .size:           8
        .value_kind:     global_buffer
      - .offset:         72
        .size:           4
        .value_kind:     by_value
      - .offset:         76
        .size:           4
        .value_kind:     by_value
      - .offset:         80
        .size:           4
        .value_kind:     by_value
      - .address_space:  global
        .offset:         88
        .size:           8
        .value_kind:     global_buffer
      - .address_space:  global
        .offset:         96
        .size:           8
        .value_kind:     global_buffer
      - .offset:         104
        .size:           4
        .value_kind:     by_value
      - .offset:         108
        .size:           4
        .value_kind:     by_value
      - .offset:         112
        .size:           4
        .value_kind:     by_value
      - .offset:         116
        .size:           4
        .value_kind:     by_value
      - .offset:         120
        .size:           4
        .value_kind:     by_value
      - .offset:         128
        .size:           4
        .value_kind:     hidden_block_count_x
      - .offset:         132
        .size:           4
        .value_kind:     hidden_block_count_y
      - .offset:         136
        .size:           4
        .value_kind:     hidden_block_count_z
      - .offset:         140
        .size:           2
        .value_kind:     hidden_group_size_x
      - .offset:         142
        .size:           2
        .value_kind:     hidden_group_size_y
      - .offset:         144
        .size:           2
        .value_kind:     hidden_group_size_z
      - .offset:         146
        .size:           2
        .value_kind:     hidden_remainder_x
      - .offset:         148
        .size:           2
        .value_kind:     hidden_remainder_y
      - .offset:         150
        .size:           2
        .value_kind:     hidden_remainder_z
      - .offset:         168
        .size:           8
        .value_kind:     hidden_global_offset_x
      - .offset:         176
        .size:           8
        .value_kind:     hidden_global_offset_y
      - .offset:         184
        .size:           8
        .value_kind:     hidden_global_offset_z
      - .offset:         192
        .size:           2
        .value_kind:     hidden_grid_dims
      - .offset:         248
        .size:           4
        .value_kind:     hidden_dynamic_lds_size
    .group_segment_fixed_size: 544
    .kernarg_segment_align: 8
    .kernarg_segment_size: 384
    .language:       OpenCL C
    .language_version:
      - 2
      - 0
    .max_flat_workgroup_size: 1024
    .name:           _ZN4vllm25paged_attention_v1_kernelIfhLi128ELi16ELi128ELNS_18Fp8KVCacheDataTypeE1ELb1EEEvPT_PKS2_PKT0_S8_ifPKiSA_iPKfiiiSC_SC_iiiii
    .private_segment_fixed_size: 308
    .sgpr_count:     54
    .sgpr_spill_count: 0
    .symbol:         _ZN4vllm25paged_attention_v1_kernelIfhLi128ELi16ELi128ELNS_18Fp8KVCacheDataTypeE1ELb1EEEvPT_PKS2_PKT0_S8_ifPKiSA_iPKfiiiSC_SC_iiiii.kd
    .uniform_work_group_size: 1
    .uses_dynamic_stack: false
    .vgpr_count:     128
    .vgpr_spill_count: 121
    .wavefront_size: 32
    .workgroup_processor_mode: 1
  - .args:
      - .address_space:  global
        .offset:         0
        .size:           8
        .value_kind:     global_buffer
      - .address_space:  global
        .offset:         8
        .size:           8
        .value_kind:     global_buffer
      - .address_space:  global
        .offset:         16
        .size:           8
        .value_kind:     global_buffer
      - .address_space:  global
        .offset:         24
        .size:           8
        .value_kind:     global_buffer
      - .offset:         32
        .size:           4
        .value_kind:     by_value
      - .offset:         36
        .size:           4
        .value_kind:     by_value
      - .address_space:  global
        .offset:         40
        .size:           8
        .value_kind:     global_buffer
      - .address_space:  global
        .offset:         48
        .size:           8
        .value_kind:     global_buffer
      - .offset:         56
        .size:           4
        .value_kind:     by_value
      - .address_space:  global
        .offset:         64
        .size:           8
        .value_kind:     global_buffer
      - .offset:         72
        .size:           4
        .value_kind:     by_value
      - .offset:         76
        .size:           4
        .value_kind:     by_value
      - .offset:         80
        .size:           4
        .value_kind:     by_value
      - .address_space:  global
        .offset:         88
        .size:           8
        .value_kind:     global_buffer
      - .address_space:  global
        .offset:         96
        .size:           8
        .value_kind:     global_buffer
      - .offset:         104
        .size:           4
        .value_kind:     by_value
      - .offset:         108
        .size:           4
        .value_kind:     by_value
      - .offset:         112
        .size:           4
        .value_kind:     by_value
      - .offset:         116
        .size:           4
        .value_kind:     by_value
      - .offset:         120
        .size:           4
        .value_kind:     by_value
      - .offset:         128
        .size:           4
        .value_kind:     hidden_block_count_x
      - .offset:         132
        .size:           4
        .value_kind:     hidden_block_count_y
      - .offset:         136
        .size:           4
        .value_kind:     hidden_block_count_z
      - .offset:         140
        .size:           2
        .value_kind:     hidden_group_size_x
      - .offset:         142
        .size:           2
        .value_kind:     hidden_group_size_y
      - .offset:         144
        .size:           2
        .value_kind:     hidden_group_size_z
      - .offset:         146
        .size:           2
        .value_kind:     hidden_remainder_x
      - .offset:         148
        .size:           2
        .value_kind:     hidden_remainder_y
      - .offset:         150
        .size:           2
        .value_kind:     hidden_remainder_z
      - .offset:         168
        .size:           8
        .value_kind:     hidden_global_offset_x
      - .offset:         176
        .size:           8
        .value_kind:     hidden_global_offset_y
      - .offset:         184
        .size:           8
        .value_kind:     hidden_global_offset_z
      - .offset:         192
        .size:           2
        .value_kind:     hidden_grid_dims
      - .offset:         248
        .size:           4
        .value_kind:     hidden_dynamic_lds_size
    .group_segment_fixed_size: 800
    .kernarg_segment_align: 8
    .kernarg_segment_size: 384
    .language:       OpenCL C
    .language_version:
      - 2
      - 0
    .max_flat_workgroup_size: 1024
    .name:           _ZN4vllm25paged_attention_v1_kernelIfhLi192ELi16ELi128ELNS_18Fp8KVCacheDataTypeE1ELb1EEEvPT_PKS2_PKT0_S8_ifPKiSA_iPKfiiiSC_SC_iiiii
    .private_segment_fixed_size: 904
    .sgpr_count:     46
    .sgpr_spill_count: 0
    .symbol:         _ZN4vllm25paged_attention_v1_kernelIfhLi192ELi16ELi128ELNS_18Fp8KVCacheDataTypeE1ELb1EEEvPT_PKS2_PKT0_S8_ifPKiSA_iPKfiiiSC_SC_iiiii.kd
    .uniform_work_group_size: 1
    .uses_dynamic_stack: false
    .vgpr_count:     128
    .vgpr_spill_count: 0
    .wavefront_size: 32
    .workgroup_processor_mode: 1
  - .args:
      - .address_space:  global
        .offset:         0
        .size:           8
        .value_kind:     global_buffer
      - .address_space:  global
        .offset:         8
        .size:           8
        .value_kind:     global_buffer
      - .address_space:  global
        .offset:         16
        .size:           8
        .value_kind:     global_buffer
      - .address_space:  global
        .offset:         24
        .size:           8
        .value_kind:     global_buffer
      - .offset:         32
        .size:           4
        .value_kind:     by_value
      - .offset:         36
        .size:           4
        .value_kind:     by_value
      - .address_space:  global
        .offset:         40
        .size:           8
        .value_kind:     global_buffer
      - .address_space:  global
        .offset:         48
        .size:           8
        .value_kind:     global_buffer
      - .offset:         56
        .size:           4
        .value_kind:     by_value
      - .address_space:  global
        .offset:         64
        .size:           8
        .value_kind:     global_buffer
      - .offset:         72
        .size:           4
        .value_kind:     by_value
      - .offset:         76
        .size:           4
        .value_kind:     by_value
      - .offset:         80
        .size:           4
        .value_kind:     by_value
      - .address_space:  global
        .offset:         88
        .size:           8
        .value_kind:     global_buffer
      - .address_space:  global
        .offset:         96
        .size:           8
        .value_kind:     global_buffer
      - .offset:         104
        .size:           4
        .value_kind:     by_value
      - .offset:         108
        .size:           4
        .value_kind:     by_value
      - .offset:         112
        .size:           4
        .value_kind:     by_value
      - .offset:         116
        .size:           4
        .value_kind:     by_value
      - .offset:         120
        .size:           4
        .value_kind:     by_value
      - .offset:         128
        .size:           4
        .value_kind:     hidden_block_count_x
      - .offset:         132
        .size:           4
        .value_kind:     hidden_block_count_y
      - .offset:         136
        .size:           4
        .value_kind:     hidden_block_count_z
      - .offset:         140
        .size:           2
        .value_kind:     hidden_group_size_x
      - .offset:         142
        .size:           2
        .value_kind:     hidden_group_size_y
      - .offset:         144
        .size:           2
        .value_kind:     hidden_group_size_z
      - .offset:         146
        .size:           2
        .value_kind:     hidden_remainder_x
      - .offset:         148
        .size:           2
        .value_kind:     hidden_remainder_y
      - .offset:         150
        .size:           2
        .value_kind:     hidden_remainder_z
      - .offset:         168
        .size:           8
        .value_kind:     hidden_global_offset_x
      - .offset:         176
        .size:           8
        .value_kind:     hidden_global_offset_y
      - .offset:         184
        .size:           8
        .value_kind:     hidden_global_offset_z
      - .offset:         192
        .size:           2
        .value_kind:     hidden_grid_dims
      - .offset:         248
        .size:           4
        .value_kind:     hidden_dynamic_lds_size
    .group_segment_fixed_size: 1056
    .kernarg_segment_align: 8
    .kernarg_segment_size: 384
    .language:       OpenCL C
    .language_version:
      - 2
      - 0
    .max_flat_workgroup_size: 1024
    .name:           _ZN4vllm25paged_attention_v1_kernelIfhLi256ELi16ELi128ELNS_18Fp8KVCacheDataTypeE1ELb1EEEvPT_PKS2_PKT0_S8_ifPKiSA_iPKfiiiSC_SC_iiiii
    .private_segment_fixed_size: 1148
    .sgpr_count:     46
    .sgpr_spill_count: 0
    .symbol:         _ZN4vllm25paged_attention_v1_kernelIfhLi256ELi16ELi128ELNS_18Fp8KVCacheDataTypeE1ELb1EEEvPT_PKS2_PKT0_S8_ifPKiSA_iPKfiiiSC_SC_iiiii.kd
    .uniform_work_group_size: 1
    .uses_dynamic_stack: false
    .vgpr_count:     128
    .vgpr_spill_count: 0
    .wavefront_size: 32
    .workgroup_processor_mode: 1
  - .args:
      - .actual_access:  write_only
        .address_space:  global
        .offset:         0
        .size:           8
        .value_kind:     global_buffer
      - .actual_access:  read_only
        .address_space:  global
        .offset:         8
        .size:           8
        .value_kind:     global_buffer
      - .actual_access:  read_only
        .address_space:  global
        .offset:         16
        .size:           8
        .value_kind:     global_buffer
      - .actual_access:  read_only
        .address_space:  global
        .offset:         24
        .size:           8
        .value_kind:     global_buffer
      - .offset:         32
        .size:           4
        .value_kind:     by_value
      - .offset:         36
        .size:           4
        .value_kind:     by_value
      - .actual_access:  read_only
        .address_space:  global
        .offset:         40
        .size:           8
        .value_kind:     global_buffer
      - .actual_access:  read_only
        .address_space:  global
        .offset:         48
        .size:           8
        .value_kind:     global_buffer
      - .offset:         56
        .size:           4
        .value_kind:     by_value
      - .actual_access:  read_only
        .address_space:  global
        .offset:         64
        .size:           8
        .value_kind:     global_buffer
      - .offset:         72
        .size:           4
        .value_kind:     by_value
      - .offset:         76
        .size:           4
        .value_kind:     by_value
      - .offset:         80
        .size:           4
        .value_kind:     by_value
      - .address_space:  global
        .offset:         88
        .size:           8
        .value_kind:     global_buffer
      - .address_space:  global
        .offset:         96
        .size:           8
        .value_kind:     global_buffer
      - .offset:         104
        .size:           4
        .value_kind:     by_value
      - .offset:         108
        .size:           4
        .value_kind:     by_value
      - .offset:         112
        .size:           4
        .value_kind:     by_value
      - .offset:         116
        .size:           4
        .value_kind:     by_value
      - .offset:         120
        .size:           4
        .value_kind:     by_value
      - .offset:         128
        .size:           4
        .value_kind:     hidden_block_count_x
      - .offset:         132
        .size:           4
        .value_kind:     hidden_block_count_y
      - .offset:         136
        .size:           4
        .value_kind:     hidden_block_count_z
      - .offset:         140
        .size:           2
        .value_kind:     hidden_group_size_x
      - .offset:         142
        .size:           2
        .value_kind:     hidden_group_size_y
      - .offset:         144
        .size:           2
        .value_kind:     hidden_group_size_z
      - .offset:         146
        .size:           2
        .value_kind:     hidden_remainder_x
      - .offset:         148
        .size:           2
        .value_kind:     hidden_remainder_y
      - .offset:         150
        .size:           2
        .value_kind:     hidden_remainder_z
      - .offset:         168
        .size:           8
        .value_kind:     hidden_global_offset_x
      - .offset:         176
        .size:           8
        .value_kind:     hidden_global_offset_y
      - .offset:         184
        .size:           8
        .value_kind:     hidden_global_offset_z
      - .offset:         192
        .size:           2
        .value_kind:     hidden_grid_dims
      - .offset:         248
        .size:           4
        .value_kind:     hidden_dynamic_lds_size
    .group_segment_fixed_size: 160
    .kernarg_segment_align: 8
    .kernarg_segment_size: 384
    .language:       OpenCL C
    .language_version:
      - 2
      - 0
    .max_flat_workgroup_size: 1024
    .name:           _ZN4vllm25paged_attention_v1_kernelIfhLi32ELi16ELi128ELNS_18Fp8KVCacheDataTypeE1ELb0EEEvPT_PKS2_PKT0_S8_ifPKiSA_iPKfiiiSC_SC_iiiii
    .private_segment_fixed_size: 0
    .sgpr_count:     37
    .sgpr_spill_count: 0
    .symbol:         _ZN4vllm25paged_attention_v1_kernelIfhLi32ELi16ELi128ELNS_18Fp8KVCacheDataTypeE1ELb0EEEvPT_PKS2_PKT0_S8_ifPKiSA_iPKfiiiSC_SC_iiiii.kd
    .uniform_work_group_size: 1
    .uses_dynamic_stack: false
    .vgpr_count:     73
    .vgpr_spill_count: 0
    .wavefront_size: 32
    .workgroup_processor_mode: 1
  - .args:
      - .actual_access:  write_only
        .address_space:  global
        .offset:         0
        .size:           8
        .value_kind:     global_buffer
      - .actual_access:  read_only
        .address_space:  global
        .offset:         8
        .size:           8
        .value_kind:     global_buffer
      - .actual_access:  read_only
        .address_space:  global
        .offset:         16
        .size:           8
        .value_kind:     global_buffer
      - .actual_access:  read_only
        .address_space:  global
        .offset:         24
        .size:           8
        .value_kind:     global_buffer
      - .offset:         32
        .size:           4
        .value_kind:     by_value
      - .offset:         36
        .size:           4
        .value_kind:     by_value
      - .actual_access:  read_only
        .address_space:  global
        .offset:         40
        .size:           8
        .value_kind:     global_buffer
      - .actual_access:  read_only
        .address_space:  global
        .offset:         48
        .size:           8
        .value_kind:     global_buffer
      - .offset:         56
        .size:           4
        .value_kind:     by_value
      - .actual_access:  read_only
        .address_space:  global
        .offset:         64
        .size:           8
        .value_kind:     global_buffer
      - .offset:         72
        .size:           4
        .value_kind:     by_value
      - .offset:         76
        .size:           4
        .value_kind:     by_value
      - .offset:         80
        .size:           4
        .value_kind:     by_value
      - .address_space:  global
        .offset:         88
        .size:           8
        .value_kind:     global_buffer
      - .address_space:  global
        .offset:         96
        .size:           8
        .value_kind:     global_buffer
      - .offset:         104
        .size:           4
        .value_kind:     by_value
      - .offset:         108
        .size:           4
        .value_kind:     by_value
      - .offset:         112
        .size:           4
        .value_kind:     by_value
      - .offset:         116
        .size:           4
        .value_kind:     by_value
      - .offset:         120
        .size:           4
        .value_kind:     by_value
      - .offset:         128
        .size:           4
        .value_kind:     hidden_block_count_x
      - .offset:         132
        .size:           4
        .value_kind:     hidden_block_count_y
      - .offset:         136
        .size:           4
        .value_kind:     hidden_block_count_z
      - .offset:         140
        .size:           2
        .value_kind:     hidden_group_size_x
      - .offset:         142
        .size:           2
        .value_kind:     hidden_group_size_y
      - .offset:         144
        .size:           2
        .value_kind:     hidden_group_size_z
      - .offset:         146
        .size:           2
        .value_kind:     hidden_remainder_x
      - .offset:         148
        .size:           2
        .value_kind:     hidden_remainder_y
      - .offset:         150
        .size:           2
        .value_kind:     hidden_remainder_z
      - .offset:         168
        .size:           8
        .value_kind:     hidden_global_offset_x
      - .offset:         176
        .size:           8
        .value_kind:     hidden_global_offset_y
      - .offset:         184
        .size:           8
        .value_kind:     hidden_global_offset_z
      - .offset:         192
        .size:           2
        .value_kind:     hidden_grid_dims
      - .offset:         248
        .size:           4
        .value_kind:     hidden_dynamic_lds_size
    .group_segment_fixed_size: 288
    .kernarg_segment_align: 8
    .kernarg_segment_size: 384
    .language:       OpenCL C
    .language_version:
      - 2
      - 0
    .max_flat_workgroup_size: 1024
    .name:           _ZN4vllm25paged_attention_v1_kernelIfhLi64ELi16ELi128ELNS_18Fp8KVCacheDataTypeE1ELb0EEEvPT_PKS2_PKT0_S8_ifPKiSA_iPKfiiiSC_SC_iiiii
    .private_segment_fixed_size: 0
    .sgpr_count:     38
    .sgpr_spill_count: 0
    .symbol:         _ZN4vllm25paged_attention_v1_kernelIfhLi64ELi16ELi128ELNS_18Fp8KVCacheDataTypeE1ELb0EEEvPT_PKS2_PKT0_S8_ifPKiSA_iPKfiiiSC_SC_iiiii.kd
    .uniform_work_group_size: 1
    .uses_dynamic_stack: false
    .vgpr_count:     121
    .vgpr_spill_count: 0
    .wavefront_size: 32
    .workgroup_processor_mode: 1
  - .args:
      - .actual_access:  write_only
        .address_space:  global
        .offset:         0
        .size:           8
        .value_kind:     global_buffer
      - .actual_access:  read_only
        .address_space:  global
        .offset:         8
        .size:           8
        .value_kind:     global_buffer
      - .actual_access:  read_only
        .address_space:  global
        .offset:         16
        .size:           8
        .value_kind:     global_buffer
      - .actual_access:  read_only
        .address_space:  global
        .offset:         24
        .size:           8
        .value_kind:     global_buffer
      - .offset:         32
        .size:           4
        .value_kind:     by_value
      - .offset:         36
        .size:           4
        .value_kind:     by_value
      - .actual_access:  read_only
        .address_space:  global
        .offset:         40
        .size:           8
        .value_kind:     global_buffer
      - .actual_access:  read_only
        .address_space:  global
        .offset:         48
        .size:           8
        .value_kind:     global_buffer
      - .offset:         56
        .size:           4
        .value_kind:     by_value
      - .actual_access:  read_only
        .address_space:  global
        .offset:         64
        .size:           8
        .value_kind:     global_buffer
      - .offset:         72
        .size:           4
        .value_kind:     by_value
      - .offset:         76
        .size:           4
        .value_kind:     by_value
      - .offset:         80
        .size:           4
        .value_kind:     by_value
      - .address_space:  global
        .offset:         88
        .size:           8
        .value_kind:     global_buffer
      - .address_space:  global
        .offset:         96
        .size:           8
        .value_kind:     global_buffer
      - .offset:         104
        .size:           4
        .value_kind:     by_value
      - .offset:         108
        .size:           4
        .value_kind:     by_value
      - .offset:         112
        .size:           4
        .value_kind:     by_value
      - .offset:         116
        .size:           4
        .value_kind:     by_value
      - .offset:         120
        .size:           4
        .value_kind:     by_value
      - .offset:         128
        .size:           4
        .value_kind:     hidden_block_count_x
      - .offset:         132
        .size:           4
        .value_kind:     hidden_block_count_y
      - .offset:         136
        .size:           4
        .value_kind:     hidden_block_count_z
      - .offset:         140
        .size:           2
        .value_kind:     hidden_group_size_x
      - .offset:         142
        .size:           2
        .value_kind:     hidden_group_size_y
      - .offset:         144
        .size:           2
        .value_kind:     hidden_group_size_z
      - .offset:         146
        .size:           2
        .value_kind:     hidden_remainder_x
      - .offset:         148
        .size:           2
        .value_kind:     hidden_remainder_y
      - .offset:         150
        .size:           2
        .value_kind:     hidden_remainder_z
      - .offset:         168
        .size:           8
        .value_kind:     hidden_global_offset_x
      - .offset:         176
        .size:           8
        .value_kind:     hidden_global_offset_y
      - .offset:         184
        .size:           8
        .value_kind:     hidden_global_offset_z
      - .offset:         192
        .size:           2
        .value_kind:     hidden_grid_dims
      - .offset:         248
        .size:           4
        .value_kind:     hidden_dynamic_lds_size
    .group_segment_fixed_size: 352
    .kernarg_segment_align: 8
    .kernarg_segment_size: 384
    .language:       OpenCL C
    .language_version:
      - 2
      - 0
    .max_flat_workgroup_size: 1024
    .name:           _ZN4vllm25paged_attention_v1_kernelIfhLi80ELi16ELi128ELNS_18Fp8KVCacheDataTypeE1ELb0EEEvPT_PKS2_PKT0_S8_ifPKiSA_iPKfiiiSC_SC_iiiii
    .private_segment_fixed_size: 72
    .sgpr_count:     42
    .sgpr_spill_count: 0
    .symbol:         _ZN4vllm25paged_attention_v1_kernelIfhLi80ELi16ELi128ELNS_18Fp8KVCacheDataTypeE1ELb0EEEvPT_PKS2_PKT0_S8_ifPKiSA_iPKfiiiSC_SC_iiiii.kd
    .uniform_work_group_size: 1
    .uses_dynamic_stack: false
    .vgpr_count:     128
    .vgpr_spill_count: 18
    .wavefront_size: 32
    .workgroup_processor_mode: 1
  - .args:
      - .actual_access:  write_only
        .address_space:  global
        .offset:         0
        .size:           8
        .value_kind:     global_buffer
      - .actual_access:  read_only
        .address_space:  global
        .offset:         8
        .size:           8
        .value_kind:     global_buffer
      - .actual_access:  read_only
        .address_space:  global
        .offset:         16
        .size:           8
        .value_kind:     global_buffer
      - .actual_access:  read_only
        .address_space:  global
        .offset:         24
        .size:           8
        .value_kind:     global_buffer
      - .offset:         32
        .size:           4
        .value_kind:     by_value
      - .offset:         36
        .size:           4
        .value_kind:     by_value
      - .actual_access:  read_only
        .address_space:  global
        .offset:         40
        .size:           8
        .value_kind:     global_buffer
      - .actual_access:  read_only
        .address_space:  global
        .offset:         48
        .size:           8
        .value_kind:     global_buffer
      - .offset:         56
        .size:           4
        .value_kind:     by_value
      - .actual_access:  read_only
        .address_space:  global
        .offset:         64
        .size:           8
        .value_kind:     global_buffer
      - .offset:         72
        .size:           4
        .value_kind:     by_value
      - .offset:         76
        .size:           4
        .value_kind:     by_value
      - .offset:         80
        .size:           4
        .value_kind:     by_value
      - .address_space:  global
        .offset:         88
        .size:           8
        .value_kind:     global_buffer
      - .address_space:  global
        .offset:         96
        .size:           8
        .value_kind:     global_buffer
      - .offset:         104
        .size:           4
        .value_kind:     by_value
      - .offset:         108
        .size:           4
        .value_kind:     by_value
      - .offset:         112
        .size:           4
        .value_kind:     by_value
      - .offset:         116
        .size:           4
        .value_kind:     by_value
      - .offset:         120
        .size:           4
        .value_kind:     by_value
      - .offset:         128
        .size:           4
        .value_kind:     hidden_block_count_x
      - .offset:         132
        .size:           4
        .value_kind:     hidden_block_count_y
      - .offset:         136
        .size:           4
        .value_kind:     hidden_block_count_z
      - .offset:         140
        .size:           2
        .value_kind:     hidden_group_size_x
      - .offset:         142
        .size:           2
        .value_kind:     hidden_group_size_y
      - .offset:         144
        .size:           2
        .value_kind:     hidden_group_size_z
      - .offset:         146
        .size:           2
        .value_kind:     hidden_remainder_x
      - .offset:         148
        .size:           2
        .value_kind:     hidden_remainder_y
      - .offset:         150
        .size:           2
        .value_kind:     hidden_remainder_z
      - .offset:         168
        .size:           8
        .value_kind:     hidden_global_offset_x
      - .offset:         176
        .size:           8
        .value_kind:     hidden_global_offset_y
      - .offset:         184
        .size:           8
        .value_kind:     hidden_global_offset_z
      - .offset:         192
        .size:           2
        .value_kind:     hidden_grid_dims
      - .offset:         248
        .size:           4
        .value_kind:     hidden_dynamic_lds_size
    .group_segment_fixed_size: 416
    .kernarg_segment_align: 8
    .kernarg_segment_size: 384
    .language:       OpenCL C
    .language_version:
      - 2
      - 0
    .max_flat_workgroup_size: 1024
    .name:           _ZN4vllm25paged_attention_v1_kernelIfhLi96ELi16ELi128ELNS_18Fp8KVCacheDataTypeE1ELb0EEEvPT_PKS2_PKT0_S8_ifPKiSA_iPKfiiiSC_SC_iiiii
    .private_segment_fixed_size: 168
    .sgpr_count:     42
    .sgpr_spill_count: 0
    .symbol:         _ZN4vllm25paged_attention_v1_kernelIfhLi96ELi16ELi128ELNS_18Fp8KVCacheDataTypeE1ELb0EEEvPT_PKS2_PKT0_S8_ifPKiSA_iPKfiiiSC_SC_iiiii.kd
    .uniform_work_group_size: 1
    .uses_dynamic_stack: false
    .vgpr_count:     128
    .vgpr_spill_count: 42
    .wavefront_size: 32
    .workgroup_processor_mode: 1
  - .args:
      - .actual_access:  write_only
        .address_space:  global
        .offset:         0
        .size:           8
        .value_kind:     global_buffer
      - .actual_access:  read_only
        .address_space:  global
        .offset:         8
        .size:           8
        .value_kind:     global_buffer
      - .actual_access:  read_only
        .address_space:  global
        .offset:         16
        .size:           8
        .value_kind:     global_buffer
      - .actual_access:  read_only
        .address_space:  global
        .offset:         24
        .size:           8
        .value_kind:     global_buffer
      - .offset:         32
        .size:           4
        .value_kind:     by_value
      - .offset:         36
        .size:           4
        .value_kind:     by_value
      - .actual_access:  read_only
        .address_space:  global
        .offset:         40
        .size:           8
        .value_kind:     global_buffer
      - .actual_access:  read_only
        .address_space:  global
        .offset:         48
        .size:           8
        .value_kind:     global_buffer
      - .offset:         56
        .size:           4
        .value_kind:     by_value
      - .actual_access:  read_only
        .address_space:  global
        .offset:         64
        .size:           8
        .value_kind:     global_buffer
      - .offset:         72
        .size:           4
        .value_kind:     by_value
      - .offset:         76
        .size:           4
        .value_kind:     by_value
      - .offset:         80
        .size:           4
        .value_kind:     by_value
      - .address_space:  global
        .offset:         88
        .size:           8
        .value_kind:     global_buffer
      - .address_space:  global
        .offset:         96
        .size:           8
        .value_kind:     global_buffer
      - .offset:         104
        .size:           4
        .value_kind:     by_value
      - .offset:         108
        .size:           4
        .value_kind:     by_value
      - .offset:         112
        .size:           4
        .value_kind:     by_value
      - .offset:         116
        .size:           4
        .value_kind:     by_value
      - .offset:         120
        .size:           4
        .value_kind:     by_value
      - .offset:         128
        .size:           4
        .value_kind:     hidden_block_count_x
      - .offset:         132
        .size:           4
        .value_kind:     hidden_block_count_y
      - .offset:         136
        .size:           4
        .value_kind:     hidden_block_count_z
      - .offset:         140
        .size:           2
        .value_kind:     hidden_group_size_x
      - .offset:         142
        .size:           2
        .value_kind:     hidden_group_size_y
      - .offset:         144
        .size:           2
        .value_kind:     hidden_group_size_z
      - .offset:         146
        .size:           2
        .value_kind:     hidden_remainder_x
      - .offset:         148
        .size:           2
        .value_kind:     hidden_remainder_y
      - .offset:         150
        .size:           2
        .value_kind:     hidden_remainder_z
      - .offset:         168
        .size:           8
        .value_kind:     hidden_global_offset_x
      - .offset:         176
        .size:           8
        .value_kind:     hidden_global_offset_y
      - .offset:         184
        .size:           8
        .value_kind:     hidden_global_offset_z
      - .offset:         192
        .size:           2
        .value_kind:     hidden_grid_dims
      - .offset:         248
        .size:           4
        .value_kind:     hidden_dynamic_lds_size
    .group_segment_fixed_size: 480
    .kernarg_segment_align: 8
    .kernarg_segment_size: 384
    .language:       OpenCL C
    .language_version:
      - 2
      - 0
    .max_flat_workgroup_size: 1024
    .name:           _ZN4vllm25paged_attention_v1_kernelIfhLi112ELi16ELi128ELNS_18Fp8KVCacheDataTypeE1ELb0EEEvPT_PKS2_PKT0_S8_ifPKiSA_iPKfiiiSC_SC_iiiii
    .private_segment_fixed_size: 260
    .sgpr_count:     42
    .sgpr_spill_count: 0
    .symbol:         _ZN4vllm25paged_attention_v1_kernelIfhLi112ELi16ELi128ELNS_18Fp8KVCacheDataTypeE1ELb0EEEvPT_PKS2_PKT0_S8_ifPKiSA_iPKfiiiSC_SC_iiiii.kd
    .uniform_work_group_size: 1
    .uses_dynamic_stack: false
    .vgpr_count:     128
    .vgpr_spill_count: 64
    .wavefront_size: 32
    .workgroup_processor_mode: 1
  - .args:
      - .actual_access:  write_only
        .address_space:  global
        .offset:         0
        .size:           8
        .value_kind:     global_buffer
      - .actual_access:  read_only
        .address_space:  global
        .offset:         8
        .size:           8
        .value_kind:     global_buffer
      - .actual_access:  read_only
        .address_space:  global
        .offset:         16
        .size:           8
        .value_kind:     global_buffer
      - .actual_access:  read_only
        .address_space:  global
        .offset:         24
        .size:           8
        .value_kind:     global_buffer
      - .offset:         32
        .size:           4
        .value_kind:     by_value
      - .offset:         36
        .size:           4
        .value_kind:     by_value
      - .actual_access:  read_only
        .address_space:  global
        .offset:         40
        .size:           8
        .value_kind:     global_buffer
      - .actual_access:  read_only
        .address_space:  global
        .offset:         48
        .size:           8
        .value_kind:     global_buffer
      - .offset:         56
        .size:           4
        .value_kind:     by_value
      - .actual_access:  read_only
        .address_space:  global
        .offset:         64
        .size:           8
        .value_kind:     global_buffer
      - .offset:         72
        .size:           4
        .value_kind:     by_value
      - .offset:         76
        .size:           4
        .value_kind:     by_value
      - .offset:         80
        .size:           4
        .value_kind:     by_value
      - .address_space:  global
        .offset:         88
        .size:           8
        .value_kind:     global_buffer
      - .address_space:  global
        .offset:         96
        .size:           8
        .value_kind:     global_buffer
      - .offset:         104
        .size:           4
        .value_kind:     by_value
      - .offset:         108
        .size:           4
        .value_kind:     by_value
      - .offset:         112
        .size:           4
        .value_kind:     by_value
      - .offset:         116
        .size:           4
        .value_kind:     by_value
      - .offset:         120
        .size:           4
        .value_kind:     by_value
      - .offset:         128
        .size:           4
        .value_kind:     hidden_block_count_x
      - .offset:         132
        .size:           4
        .value_kind:     hidden_block_count_y
      - .offset:         136
        .size:           4
        .value_kind:     hidden_block_count_z
      - .offset:         140
        .size:           2
        .value_kind:     hidden_group_size_x
      - .offset:         142
        .size:           2
        .value_kind:     hidden_group_size_y
      - .offset:         144
        .size:           2
        .value_kind:     hidden_group_size_z
      - .offset:         146
        .size:           2
        .value_kind:     hidden_remainder_x
      - .offset:         148
        .size:           2
        .value_kind:     hidden_remainder_y
      - .offset:         150
        .size:           2
        .value_kind:     hidden_remainder_z
      - .offset:         168
        .size:           8
        .value_kind:     hidden_global_offset_x
      - .offset:         176
        .size:           8
        .value_kind:     hidden_global_offset_y
      - .offset:         184
        .size:           8
        .value_kind:     hidden_global_offset_z
      - .offset:         192
        .size:           2
        .value_kind:     hidden_grid_dims
      - .offset:         248
        .size:           4
        .value_kind:     hidden_dynamic_lds_size
    .group_segment_fixed_size: 512
    .kernarg_segment_align: 8
    .kernarg_segment_size: 384
    .language:       OpenCL C
    .language_version:
      - 2
      - 0
    .max_flat_workgroup_size: 1024
    .name:           _ZN4vllm25paged_attention_v1_kernelIfhLi120ELi16ELi128ELNS_18Fp8KVCacheDataTypeE1ELb0EEEvPT_PKS2_PKT0_S8_ifPKiSA_iPKfiiiSC_SC_iiiii
    .private_segment_fixed_size: 304
    .sgpr_count:     42
    .sgpr_spill_count: 0
    .symbol:         _ZN4vllm25paged_attention_v1_kernelIfhLi120ELi16ELi128ELNS_18Fp8KVCacheDataTypeE1ELb0EEEvPT_PKS2_PKT0_S8_ifPKiSA_iPKfiiiSC_SC_iiiii.kd
    .uniform_work_group_size: 1
    .uses_dynamic_stack: false
    .vgpr_count:     128
    .vgpr_spill_count: 94
    .wavefront_size: 32
    .workgroup_processor_mode: 1
  - .args:
      - .actual_access:  write_only
        .address_space:  global
        .offset:         0
        .size:           8
        .value_kind:     global_buffer
      - .actual_access:  read_only
        .address_space:  global
        .offset:         8
        .size:           8
        .value_kind:     global_buffer
      - .actual_access:  read_only
        .address_space:  global
        .offset:         16
        .size:           8
        .value_kind:     global_buffer
      - .actual_access:  read_only
        .address_space:  global
        .offset:         24
        .size:           8
        .value_kind:     global_buffer
      - .offset:         32
        .size:           4
        .value_kind:     by_value
      - .offset:         36
        .size:           4
        .value_kind:     by_value
      - .actual_access:  read_only
        .address_space:  global
        .offset:         40
        .size:           8
        .value_kind:     global_buffer
      - .actual_access:  read_only
        .address_space:  global
        .offset:         48
        .size:           8
        .value_kind:     global_buffer
      - .offset:         56
        .size:           4
        .value_kind:     by_value
      - .actual_access:  read_only
        .address_space:  global
        .offset:         64
        .size:           8
        .value_kind:     global_buffer
      - .offset:         72
        .size:           4
        .value_kind:     by_value
      - .offset:         76
        .size:           4
        .value_kind:     by_value
      - .offset:         80
        .size:           4
        .value_kind:     by_value
      - .address_space:  global
        .offset:         88
        .size:           8
        .value_kind:     global_buffer
      - .address_space:  global
        .offset:         96
        .size:           8
        .value_kind:     global_buffer
      - .offset:         104
        .size:           4
        .value_kind:     by_value
      - .offset:         108
        .size:           4
        .value_kind:     by_value
      - .offset:         112
        .size:           4
        .value_kind:     by_value
      - .offset:         116
        .size:           4
        .value_kind:     by_value
      - .offset:         120
        .size:           4
        .value_kind:     by_value
      - .offset:         128
        .size:           4
        .value_kind:     hidden_block_count_x
      - .offset:         132
        .size:           4
        .value_kind:     hidden_block_count_y
      - .offset:         136
        .size:           4
        .value_kind:     hidden_block_count_z
      - .offset:         140
        .size:           2
        .value_kind:     hidden_group_size_x
      - .offset:         142
        .size:           2
        .value_kind:     hidden_group_size_y
      - .offset:         144
        .size:           2
        .value_kind:     hidden_group_size_z
      - .offset:         146
        .size:           2
        .value_kind:     hidden_remainder_x
      - .offset:         148
        .size:           2
        .value_kind:     hidden_remainder_y
      - .offset:         150
        .size:           2
        .value_kind:     hidden_remainder_z
      - .offset:         168
        .size:           8
        .value_kind:     hidden_global_offset_x
      - .offset:         176
        .size:           8
        .value_kind:     hidden_global_offset_y
      - .offset:         184
        .size:           8
        .value_kind:     hidden_global_offset_z
      - .offset:         192
        .size:           2
        .value_kind:     hidden_grid_dims
      - .offset:         248
        .size:           4
        .value_kind:     hidden_dynamic_lds_size
    .group_segment_fixed_size: 544
    .kernarg_segment_align: 8
    .kernarg_segment_size: 384
    .language:       OpenCL C
    .language_version:
      - 2
      - 0
    .max_flat_workgroup_size: 1024
    .name:           _ZN4vllm25paged_attention_v1_kernelIfhLi128ELi16ELi128ELNS_18Fp8KVCacheDataTypeE1ELb0EEEvPT_PKS2_PKT0_S8_ifPKiSA_iPKfiiiSC_SC_iiiii
    .private_segment_fixed_size: 352
    .sgpr_count:     42
    .sgpr_spill_count: 0
    .symbol:         _ZN4vllm25paged_attention_v1_kernelIfhLi128ELi16ELi128ELNS_18Fp8KVCacheDataTypeE1ELb0EEEvPT_PKS2_PKT0_S8_ifPKiSA_iPKfiiiSC_SC_iiiii.kd
    .uniform_work_group_size: 1
    .uses_dynamic_stack: false
    .vgpr_count:     128
    .vgpr_spill_count: 130
    .wavefront_size: 32
    .workgroup_processor_mode: 1
  - .args:
      - .address_space:  global
        .offset:         0
        .size:           8
        .value_kind:     global_buffer
      - .address_space:  global
        .offset:         8
        .size:           8
        .value_kind:     global_buffer
      - .address_space:  global
        .offset:         16
        .size:           8
        .value_kind:     global_buffer
      - .address_space:  global
        .offset:         24
        .size:           8
        .value_kind:     global_buffer
      - .offset:         32
        .size:           4
        .value_kind:     by_value
      - .offset:         36
        .size:           4
        .value_kind:     by_value
      - .address_space:  global
        .offset:         40
        .size:           8
        .value_kind:     global_buffer
      - .address_space:  global
        .offset:         48
        .size:           8
        .value_kind:     global_buffer
      - .offset:         56
        .size:           4
        .value_kind:     by_value
      - .address_space:  global
        .offset:         64
        .size:           8
        .value_kind:     global_buffer
      - .offset:         72
        .size:           4
        .value_kind:     by_value
      - .offset:         76
        .size:           4
        .value_kind:     by_value
      - .offset:         80
        .size:           4
        .value_kind:     by_value
      - .address_space:  global
        .offset:         88
        .size:           8
        .value_kind:     global_buffer
      - .address_space:  global
        .offset:         96
        .size:           8
        .value_kind:     global_buffer
      - .offset:         104
        .size:           4
        .value_kind:     by_value
      - .offset:         108
        .size:           4
        .value_kind:     by_value
      - .offset:         112
        .size:           4
        .value_kind:     by_value
      - .offset:         116
        .size:           4
        .value_kind:     by_value
      - .offset:         120
        .size:           4
        .value_kind:     by_value
      - .offset:         128
        .size:           4
        .value_kind:     hidden_block_count_x
      - .offset:         132
        .size:           4
        .value_kind:     hidden_block_count_y
      - .offset:         136
        .size:           4
        .value_kind:     hidden_block_count_z
      - .offset:         140
        .size:           2
        .value_kind:     hidden_group_size_x
      - .offset:         142
        .size:           2
        .value_kind:     hidden_group_size_y
      - .offset:         144
        .size:           2
        .value_kind:     hidden_group_size_z
      - .offset:         146
        .size:           2
        .value_kind:     hidden_remainder_x
      - .offset:         148
        .size:           2
        .value_kind:     hidden_remainder_y
      - .offset:         150
        .size:           2
        .value_kind:     hidden_remainder_z
      - .offset:         168
        .size:           8
        .value_kind:     hidden_global_offset_x
      - .offset:         176
        .size:           8
        .value_kind:     hidden_global_offset_y
      - .offset:         184
        .size:           8
        .value_kind:     hidden_global_offset_z
      - .offset:         192
        .size:           2
        .value_kind:     hidden_grid_dims
      - .offset:         248
        .size:           4
        .value_kind:     hidden_dynamic_lds_size
    .group_segment_fixed_size: 800
    .kernarg_segment_align: 8
    .kernarg_segment_size: 384
    .language:       OpenCL C
    .language_version:
      - 2
      - 0
    .max_flat_workgroup_size: 1024
    .name:           _ZN4vllm25paged_attention_v1_kernelIfhLi192ELi16ELi128ELNS_18Fp8KVCacheDataTypeE1ELb0EEEvPT_PKS2_PKT0_S8_ifPKiSA_iPKfiiiSC_SC_iiiii
    .private_segment_fixed_size: 1028
    .sgpr_count:     42
    .sgpr_spill_count: 0
    .symbol:         _ZN4vllm25paged_attention_v1_kernelIfhLi192ELi16ELi128ELNS_18Fp8KVCacheDataTypeE1ELb0EEEvPT_PKS2_PKT0_S8_ifPKiSA_iPKfiiiSC_SC_iiiii.kd
    .uniform_work_group_size: 1
    .uses_dynamic_stack: false
    .vgpr_count:     128
    .vgpr_spill_count: 0
    .wavefront_size: 32
    .workgroup_processor_mode: 1
  - .args:
      - .address_space:  global
        .offset:         0
        .size:           8
        .value_kind:     global_buffer
      - .address_space:  global
        .offset:         8
        .size:           8
        .value_kind:     global_buffer
      - .address_space:  global
        .offset:         16
        .size:           8
        .value_kind:     global_buffer
      - .address_space:  global
        .offset:         24
        .size:           8
        .value_kind:     global_buffer
      - .offset:         32
        .size:           4
        .value_kind:     by_value
      - .offset:         36
        .size:           4
        .value_kind:     by_value
      - .address_space:  global
        .offset:         40
        .size:           8
        .value_kind:     global_buffer
      - .address_space:  global
        .offset:         48
        .size:           8
        .value_kind:     global_buffer
      - .offset:         56
        .size:           4
        .value_kind:     by_value
      - .address_space:  global
        .offset:         64
        .size:           8
        .value_kind:     global_buffer
      - .offset:         72
        .size:           4
        .value_kind:     by_value
      - .offset:         76
        .size:           4
        .value_kind:     by_value
      - .offset:         80
        .size:           4
        .value_kind:     by_value
      - .address_space:  global
        .offset:         88
        .size:           8
        .value_kind:     global_buffer
      - .address_space:  global
        .offset:         96
        .size:           8
        .value_kind:     global_buffer
      - .offset:         104
        .size:           4
        .value_kind:     by_value
      - .offset:         108
        .size:           4
        .value_kind:     by_value
      - .offset:         112
        .size:           4
        .value_kind:     by_value
      - .offset:         116
        .size:           4
        .value_kind:     by_value
      - .offset:         120
        .size:           4
        .value_kind:     by_value
      - .offset:         128
        .size:           4
        .value_kind:     hidden_block_count_x
      - .offset:         132
        .size:           4
        .value_kind:     hidden_block_count_y
      - .offset:         136
        .size:           4
        .value_kind:     hidden_block_count_z
      - .offset:         140
        .size:           2
        .value_kind:     hidden_group_size_x
      - .offset:         142
        .size:           2
        .value_kind:     hidden_group_size_y
      - .offset:         144
        .size:           2
        .value_kind:     hidden_group_size_z
      - .offset:         146
        .size:           2
        .value_kind:     hidden_remainder_x
      - .offset:         148
        .size:           2
        .value_kind:     hidden_remainder_y
      - .offset:         150
        .size:           2
        .value_kind:     hidden_remainder_z
      - .offset:         168
        .size:           8
        .value_kind:     hidden_global_offset_x
      - .offset:         176
        .size:           8
        .value_kind:     hidden_global_offset_y
      - .offset:         184
        .size:           8
        .value_kind:     hidden_global_offset_z
      - .offset:         192
        .size:           2
        .value_kind:     hidden_grid_dims
      - .offset:         248
        .size:           4
        .value_kind:     hidden_dynamic_lds_size
    .group_segment_fixed_size: 1056
    .kernarg_segment_align: 8
    .kernarg_segment_size: 384
    .language:       OpenCL C
    .language_version:
      - 2
      - 0
    .max_flat_workgroup_size: 1024
    .name:           _ZN4vllm25paged_attention_v1_kernelIfhLi256ELi16ELi128ELNS_18Fp8KVCacheDataTypeE1ELb0EEEvPT_PKS2_PKT0_S8_ifPKiSA_iPKfiiiSC_SC_iiiii
    .private_segment_fixed_size: 1492
    .sgpr_count:     42
    .sgpr_spill_count: 0
    .symbol:         _ZN4vllm25paged_attention_v1_kernelIfhLi256ELi16ELi128ELNS_18Fp8KVCacheDataTypeE1ELb0EEEvPT_PKS2_PKT0_S8_ifPKiSA_iPKfiiiSC_SC_iiiii.kd
    .uniform_work_group_size: 1
    .uses_dynamic_stack: false
    .vgpr_count:     128
    .vgpr_spill_count: 0
    .wavefront_size: 32
    .workgroup_processor_mode: 1
  - .args:
      - .actual_access:  write_only
        .address_space:  global
        .offset:         0
        .size:           8
        .value_kind:     global_buffer
      - .actual_access:  read_only
        .address_space:  global
        .offset:         8
        .size:           8
        .value_kind:     global_buffer
      - .actual_access:  read_only
        .address_space:  global
        .offset:         16
        .size:           8
        .value_kind:     global_buffer
      - .actual_access:  read_only
        .address_space:  global
        .offset:         24
        .size:           8
        .value_kind:     global_buffer
      - .offset:         32
        .size:           4
        .value_kind:     by_value
      - .offset:         36
        .size:           4
        .value_kind:     by_value
      - .actual_access:  read_only
        .address_space:  global
        .offset:         40
        .size:           8
        .value_kind:     global_buffer
      - .actual_access:  read_only
        .address_space:  global
        .offset:         48
        .size:           8
        .value_kind:     global_buffer
      - .offset:         56
        .size:           4
        .value_kind:     by_value
      - .actual_access:  read_only
        .address_space:  global
        .offset:         64
        .size:           8
        .value_kind:     global_buffer
      - .offset:         72
        .size:           4
        .value_kind:     by_value
      - .offset:         76
        .size:           4
        .value_kind:     by_value
      - .offset:         80
        .size:           4
        .value_kind:     by_value
      - .address_space:  global
        .offset:         88
        .size:           8
        .value_kind:     global_buffer
      - .address_space:  global
        .offset:         96
        .size:           8
        .value_kind:     global_buffer
      - .offset:         104
        .size:           4
        .value_kind:     by_value
      - .offset:         108
        .size:           4
        .value_kind:     by_value
      - .offset:         112
        .size:           4
        .value_kind:     by_value
      - .offset:         116
        .size:           4
        .value_kind:     by_value
      - .offset:         120
        .size:           4
        .value_kind:     by_value
      - .offset:         128
        .size:           4
        .value_kind:     hidden_block_count_x
      - .offset:         132
        .size:           4
        .value_kind:     hidden_block_count_y
      - .offset:         136
        .size:           4
        .value_kind:     hidden_block_count_z
      - .offset:         140
        .size:           2
        .value_kind:     hidden_group_size_x
      - .offset:         142
        .size:           2
        .value_kind:     hidden_group_size_y
      - .offset:         144
        .size:           2
        .value_kind:     hidden_group_size_z
      - .offset:         146
        .size:           2
        .value_kind:     hidden_remainder_x
      - .offset:         148
        .size:           2
        .value_kind:     hidden_remainder_y
      - .offset:         150
        .size:           2
        .value_kind:     hidden_remainder_z
      - .offset:         168
        .size:           8
        .value_kind:     hidden_global_offset_x
      - .offset:         176
        .size:           8
        .value_kind:     hidden_global_offset_y
      - .offset:         184
        .size:           8
        .value_kind:     hidden_global_offset_z
      - .offset:         192
        .size:           2
        .value_kind:     hidden_grid_dims
      - .offset:         248
        .size:           4
        .value_kind:     hidden_dynamic_lds_size
    .group_segment_fixed_size: 160
    .kernarg_segment_align: 8
    .kernarg_segment_size: 384
    .language:       OpenCL C
    .language_version:
      - 2
      - 0
    .max_flat_workgroup_size: 1024
    .name:           _ZN4vllm25paged_attention_v1_kernelIfhLi32ELi32ELi128ELNS_18Fp8KVCacheDataTypeE1ELb1EEEvPT_PKS2_PKT0_S8_ifPKiSA_iPKfiiiSC_SC_iiiii
    .private_segment_fixed_size: 0
    .sgpr_count:     46
    .sgpr_spill_count: 0
    .symbol:         _ZN4vllm25paged_attention_v1_kernelIfhLi32ELi32ELi128ELNS_18Fp8KVCacheDataTypeE1ELb1EEEvPT_PKS2_PKT0_S8_ifPKiSA_iPKfiiiSC_SC_iiiii.kd
    .uniform_work_group_size: 1
    .uses_dynamic_stack: false
    .vgpr_count:     126
    .vgpr_spill_count: 0
    .wavefront_size: 32
    .workgroup_processor_mode: 1
  - .args:
      - .actual_access:  write_only
        .address_space:  global
        .offset:         0
        .size:           8
        .value_kind:     global_buffer
      - .actual_access:  read_only
        .address_space:  global
        .offset:         8
        .size:           8
        .value_kind:     global_buffer
      - .actual_access:  read_only
        .address_space:  global
        .offset:         16
        .size:           8
        .value_kind:     global_buffer
      - .actual_access:  read_only
        .address_space:  global
        .offset:         24
        .size:           8
        .value_kind:     global_buffer
      - .offset:         32
        .size:           4
        .value_kind:     by_value
      - .offset:         36
        .size:           4
        .value_kind:     by_value
      - .actual_access:  read_only
        .address_space:  global
        .offset:         40
        .size:           8
        .value_kind:     global_buffer
      - .actual_access:  read_only
        .address_space:  global
        .offset:         48
        .size:           8
        .value_kind:     global_buffer
      - .offset:         56
        .size:           4
        .value_kind:     by_value
      - .actual_access:  read_only
        .address_space:  global
        .offset:         64
        .size:           8
        .value_kind:     global_buffer
      - .offset:         72
        .size:           4
        .value_kind:     by_value
      - .offset:         76
        .size:           4
        .value_kind:     by_value
      - .offset:         80
        .size:           4
        .value_kind:     by_value
      - .address_space:  global
        .offset:         88
        .size:           8
        .value_kind:     global_buffer
      - .address_space:  global
        .offset:         96
        .size:           8
        .value_kind:     global_buffer
      - .offset:         104
        .size:           4
        .value_kind:     by_value
      - .offset:         108
        .size:           4
        .value_kind:     by_value
      - .offset:         112
        .size:           4
        .value_kind:     by_value
      - .offset:         116
        .size:           4
        .value_kind:     by_value
      - .offset:         120
        .size:           4
        .value_kind:     by_value
      - .offset:         128
        .size:           4
        .value_kind:     hidden_block_count_x
      - .offset:         132
        .size:           4
        .value_kind:     hidden_block_count_y
      - .offset:         136
        .size:           4
        .value_kind:     hidden_block_count_z
      - .offset:         140
        .size:           2
        .value_kind:     hidden_group_size_x
      - .offset:         142
        .size:           2
        .value_kind:     hidden_group_size_y
      - .offset:         144
        .size:           2
        .value_kind:     hidden_group_size_z
      - .offset:         146
        .size:           2
        .value_kind:     hidden_remainder_x
      - .offset:         148
        .size:           2
        .value_kind:     hidden_remainder_y
      - .offset:         150
        .size:           2
        .value_kind:     hidden_remainder_z
      - .offset:         168
        .size:           8
        .value_kind:     hidden_global_offset_x
      - .offset:         176
        .size:           8
        .value_kind:     hidden_global_offset_y
      - .offset:         184
        .size:           8
        .value_kind:     hidden_global_offset_z
      - .offset:         192
        .size:           2
        .value_kind:     hidden_grid_dims
      - .offset:         248
        .size:           4
        .value_kind:     hidden_dynamic_lds_size
    .group_segment_fixed_size: 288
    .kernarg_segment_align: 8
    .kernarg_segment_size: 384
    .language:       OpenCL C
    .language_version:
      - 2
      - 0
    .max_flat_workgroup_size: 1024
    .name:           _ZN4vllm25paged_attention_v1_kernelIfhLi64ELi32ELi128ELNS_18Fp8KVCacheDataTypeE1ELb1EEEvPT_PKS2_PKT0_S8_ifPKiSA_iPKfiiiSC_SC_iiiii
    .private_segment_fixed_size: 360
    .sgpr_count:     50
    .sgpr_spill_count: 0
    .symbol:         _ZN4vllm25paged_attention_v1_kernelIfhLi64ELi32ELi128ELNS_18Fp8KVCacheDataTypeE1ELb1EEEvPT_PKS2_PKT0_S8_ifPKiSA_iPKfiiiSC_SC_iiiii.kd
    .uniform_work_group_size: 1
    .uses_dynamic_stack: false
    .vgpr_count:     128
    .vgpr_spill_count: 137
    .wavefront_size: 32
    .workgroup_processor_mode: 1
  - .args:
      - .address_space:  global
        .offset:         0
        .size:           8
        .value_kind:     global_buffer
      - .address_space:  global
        .offset:         8
        .size:           8
        .value_kind:     global_buffer
      - .address_space:  global
        .offset:         16
        .size:           8
        .value_kind:     global_buffer
      - .address_space:  global
        .offset:         24
        .size:           8
        .value_kind:     global_buffer
      - .offset:         32
        .size:           4
        .value_kind:     by_value
      - .offset:         36
        .size:           4
        .value_kind:     by_value
      - .address_space:  global
        .offset:         40
        .size:           8
        .value_kind:     global_buffer
      - .address_space:  global
        .offset:         48
        .size:           8
        .value_kind:     global_buffer
      - .offset:         56
        .size:           4
        .value_kind:     by_value
      - .address_space:  global
        .offset:         64
        .size:           8
        .value_kind:     global_buffer
      - .offset:         72
        .size:           4
        .value_kind:     by_value
      - .offset:         76
        .size:           4
        .value_kind:     by_value
      - .offset:         80
        .size:           4
        .value_kind:     by_value
      - .address_space:  global
        .offset:         88
        .size:           8
        .value_kind:     global_buffer
      - .address_space:  global
        .offset:         96
        .size:           8
        .value_kind:     global_buffer
      - .offset:         104
        .size:           4
        .value_kind:     by_value
      - .offset:         108
        .size:           4
        .value_kind:     by_value
      - .offset:         112
        .size:           4
        .value_kind:     by_value
      - .offset:         116
        .size:           4
        .value_kind:     by_value
      - .offset:         120
        .size:           4
        .value_kind:     by_value
      - .offset:         128
        .size:           4
        .value_kind:     hidden_block_count_x
      - .offset:         132
        .size:           4
        .value_kind:     hidden_block_count_y
      - .offset:         136
        .size:           4
        .value_kind:     hidden_block_count_z
      - .offset:         140
        .size:           2
        .value_kind:     hidden_group_size_x
      - .offset:         142
        .size:           2
        .value_kind:     hidden_group_size_y
      - .offset:         144
        .size:           2
        .value_kind:     hidden_group_size_z
      - .offset:         146
        .size:           2
        .value_kind:     hidden_remainder_x
      - .offset:         148
        .size:           2
        .value_kind:     hidden_remainder_y
      - .offset:         150
        .size:           2
        .value_kind:     hidden_remainder_z
      - .offset:         168
        .size:           8
        .value_kind:     hidden_global_offset_x
      - .offset:         176
        .size:           8
        .value_kind:     hidden_global_offset_y
      - .offset:         184
        .size:           8
        .value_kind:     hidden_global_offset_z
      - .offset:         192
        .size:           2
        .value_kind:     hidden_grid_dims
      - .offset:         248
        .size:           4
        .value_kind:     hidden_dynamic_lds_size
    .group_segment_fixed_size: 352
    .kernarg_segment_align: 8
    .kernarg_segment_size: 384
    .language:       OpenCL C
    .language_version:
      - 2
      - 0
    .max_flat_workgroup_size: 1024
    .name:           _ZN4vllm25paged_attention_v1_kernelIfhLi80ELi32ELi128ELNS_18Fp8KVCacheDataTypeE1ELb1EEEvPT_PKS2_PKT0_S8_ifPKiSA_iPKfiiiSC_SC_iiiii
    .private_segment_fixed_size: 860
    .sgpr_count:     46
    .sgpr_spill_count: 0
    .symbol:         _ZN4vllm25paged_attention_v1_kernelIfhLi80ELi32ELi128ELNS_18Fp8KVCacheDataTypeE1ELb1EEEvPT_PKS2_PKT0_S8_ifPKiSA_iPKfiiiSC_SC_iiiii.kd
    .uniform_work_group_size: 1
    .uses_dynamic_stack: false
    .vgpr_count:     128
    .vgpr_spill_count: 0
    .wavefront_size: 32
    .workgroup_processor_mode: 1
  - .args:
      - .address_space:  global
        .offset:         0
        .size:           8
        .value_kind:     global_buffer
      - .address_space:  global
        .offset:         8
        .size:           8
        .value_kind:     global_buffer
      - .address_space:  global
        .offset:         16
        .size:           8
        .value_kind:     global_buffer
      - .address_space:  global
        .offset:         24
        .size:           8
        .value_kind:     global_buffer
      - .offset:         32
        .size:           4
        .value_kind:     by_value
      - .offset:         36
        .size:           4
        .value_kind:     by_value
      - .address_space:  global
        .offset:         40
        .size:           8
        .value_kind:     global_buffer
      - .address_space:  global
        .offset:         48
        .size:           8
        .value_kind:     global_buffer
      - .offset:         56
        .size:           4
        .value_kind:     by_value
      - .address_space:  global
        .offset:         64
        .size:           8
        .value_kind:     global_buffer
      - .offset:         72
        .size:           4
        .value_kind:     by_value
      - .offset:         76
        .size:           4
        .value_kind:     by_value
      - .offset:         80
        .size:           4
        .value_kind:     by_value
      - .address_space:  global
        .offset:         88
        .size:           8
        .value_kind:     global_buffer
      - .address_space:  global
        .offset:         96
        .size:           8
        .value_kind:     global_buffer
      - .offset:         104
        .size:           4
        .value_kind:     by_value
      - .offset:         108
        .size:           4
        .value_kind:     by_value
      - .offset:         112
        .size:           4
        .value_kind:     by_value
      - .offset:         116
        .size:           4
        .value_kind:     by_value
      - .offset:         120
        .size:           4
        .value_kind:     by_value
      - .offset:         128
        .size:           4
        .value_kind:     hidden_block_count_x
      - .offset:         132
        .size:           4
        .value_kind:     hidden_block_count_y
      - .offset:         136
        .size:           4
        .value_kind:     hidden_block_count_z
      - .offset:         140
        .size:           2
        .value_kind:     hidden_group_size_x
      - .offset:         142
        .size:           2
        .value_kind:     hidden_group_size_y
      - .offset:         144
        .size:           2
        .value_kind:     hidden_group_size_z
      - .offset:         146
        .size:           2
        .value_kind:     hidden_remainder_x
      - .offset:         148
        .size:           2
        .value_kind:     hidden_remainder_y
      - .offset:         150
        .size:           2
        .value_kind:     hidden_remainder_z
      - .offset:         168
        .size:           8
        .value_kind:     hidden_global_offset_x
      - .offset:         176
        .size:           8
        .value_kind:     hidden_global_offset_y
      - .offset:         184
        .size:           8
        .value_kind:     hidden_global_offset_z
      - .offset:         192
        .size:           2
        .value_kind:     hidden_grid_dims
      - .offset:         248
        .size:           4
        .value_kind:     hidden_dynamic_lds_size
    .group_segment_fixed_size: 416
    .kernarg_segment_align: 8
    .kernarg_segment_size: 384
    .language:       OpenCL C
    .language_version:
      - 2
      - 0
    .max_flat_workgroup_size: 1024
    .name:           _ZN4vllm25paged_attention_v1_kernelIfhLi96ELi32ELi128ELNS_18Fp8KVCacheDataTypeE1ELb1EEEvPT_PKS2_PKT0_S8_ifPKiSA_iPKfiiiSC_SC_iiiii
    .private_segment_fixed_size: 1060
    .sgpr_count:     46
    .sgpr_spill_count: 0
    .symbol:         _ZN4vllm25paged_attention_v1_kernelIfhLi96ELi32ELi128ELNS_18Fp8KVCacheDataTypeE1ELb1EEEvPT_PKS2_PKT0_S8_ifPKiSA_iPKfiiiSC_SC_iiiii.kd
    .uniform_work_group_size: 1
    .uses_dynamic_stack: false
    .vgpr_count:     128
    .vgpr_spill_count: 0
    .wavefront_size: 32
    .workgroup_processor_mode: 1
  - .args:
      - .address_space:  global
        .offset:         0
        .size:           8
        .value_kind:     global_buffer
      - .address_space:  global
        .offset:         8
        .size:           8
        .value_kind:     global_buffer
      - .address_space:  global
        .offset:         16
        .size:           8
        .value_kind:     global_buffer
      - .address_space:  global
        .offset:         24
        .size:           8
        .value_kind:     global_buffer
      - .offset:         32
        .size:           4
        .value_kind:     by_value
      - .offset:         36
        .size:           4
        .value_kind:     by_value
      - .address_space:  global
        .offset:         40
        .size:           8
        .value_kind:     global_buffer
      - .address_space:  global
        .offset:         48
        .size:           8
        .value_kind:     global_buffer
      - .offset:         56
        .size:           4
        .value_kind:     by_value
      - .address_space:  global
        .offset:         64
        .size:           8
        .value_kind:     global_buffer
      - .offset:         72
        .size:           4
        .value_kind:     by_value
      - .offset:         76
        .size:           4
        .value_kind:     by_value
      - .offset:         80
        .size:           4
        .value_kind:     by_value
      - .address_space:  global
        .offset:         88
        .size:           8
        .value_kind:     global_buffer
      - .address_space:  global
        .offset:         96
        .size:           8
        .value_kind:     global_buffer
      - .offset:         104
        .size:           4
        .value_kind:     by_value
      - .offset:         108
        .size:           4
        .value_kind:     by_value
      - .offset:         112
        .size:           4
        .value_kind:     by_value
      - .offset:         116
        .size:           4
        .value_kind:     by_value
      - .offset:         120
        .size:           4
        .value_kind:     by_value
      - .offset:         128
        .size:           4
        .value_kind:     hidden_block_count_x
      - .offset:         132
        .size:           4
        .value_kind:     hidden_block_count_y
      - .offset:         136
        .size:           4
        .value_kind:     hidden_block_count_z
      - .offset:         140
        .size:           2
        .value_kind:     hidden_group_size_x
      - .offset:         142
        .size:           2
        .value_kind:     hidden_group_size_y
      - .offset:         144
        .size:           2
        .value_kind:     hidden_group_size_z
      - .offset:         146
        .size:           2
        .value_kind:     hidden_remainder_x
      - .offset:         148
        .size:           2
        .value_kind:     hidden_remainder_y
      - .offset:         150
        .size:           2
        .value_kind:     hidden_remainder_z
      - .offset:         168
        .size:           8
        .value_kind:     hidden_global_offset_x
      - .offset:         176
        .size:           8
        .value_kind:     hidden_global_offset_y
      - .offset:         184
        .size:           8
        .value_kind:     hidden_global_offset_z
      - .offset:         192
        .size:           2
        .value_kind:     hidden_grid_dims
      - .offset:         248
        .size:           4
        .value_kind:     hidden_dynamic_lds_size
    .group_segment_fixed_size: 480
    .kernarg_segment_align: 8
    .kernarg_segment_size: 384
    .language:       OpenCL C
    .language_version:
      - 2
      - 0
    .max_flat_workgroup_size: 1024
    .name:           _ZN4vllm25paged_attention_v1_kernelIfhLi112ELi32ELi128ELNS_18Fp8KVCacheDataTypeE1ELb1EEEvPT_PKS2_PKT0_S8_ifPKiSA_iPKfiiiSC_SC_iiiii
    .private_segment_fixed_size: 1260
    .sgpr_count:     46
    .sgpr_spill_count: 0
    .symbol:         _ZN4vllm25paged_attention_v1_kernelIfhLi112ELi32ELi128ELNS_18Fp8KVCacheDataTypeE1ELb1EEEvPT_PKS2_PKT0_S8_ifPKiSA_iPKfiiiSC_SC_iiiii.kd
    .uniform_work_group_size: 1
    .uses_dynamic_stack: false
    .vgpr_count:     128
    .vgpr_spill_count: 0
    .wavefront_size: 32
    .workgroup_processor_mode: 1
  - .args:
      - .address_space:  global
        .offset:         0
        .size:           8
        .value_kind:     global_buffer
      - .address_space:  global
        .offset:         8
        .size:           8
        .value_kind:     global_buffer
      - .address_space:  global
        .offset:         16
        .size:           8
        .value_kind:     global_buffer
      - .address_space:  global
        .offset:         24
        .size:           8
        .value_kind:     global_buffer
      - .offset:         32
        .size:           4
        .value_kind:     by_value
      - .offset:         36
        .size:           4
        .value_kind:     by_value
      - .address_space:  global
        .offset:         40
        .size:           8
        .value_kind:     global_buffer
      - .address_space:  global
        .offset:         48
        .size:           8
        .value_kind:     global_buffer
      - .offset:         56
        .size:           4
        .value_kind:     by_value
      - .address_space:  global
        .offset:         64
        .size:           8
        .value_kind:     global_buffer
      - .offset:         72
        .size:           4
        .value_kind:     by_value
      - .offset:         76
        .size:           4
        .value_kind:     by_value
      - .offset:         80
        .size:           4
        .value_kind:     by_value
      - .address_space:  global
        .offset:         88
        .size:           8
        .value_kind:     global_buffer
      - .address_space:  global
        .offset:         96
        .size:           8
        .value_kind:     global_buffer
      - .offset:         104
        .size:           4
        .value_kind:     by_value
      - .offset:         108
        .size:           4
        .value_kind:     by_value
      - .offset:         112
        .size:           4
        .value_kind:     by_value
      - .offset:         116
        .size:           4
        .value_kind:     by_value
      - .offset:         120
        .size:           4
        .value_kind:     by_value
      - .offset:         128
        .size:           4
        .value_kind:     hidden_block_count_x
      - .offset:         132
        .size:           4
        .value_kind:     hidden_block_count_y
      - .offset:         136
        .size:           4
        .value_kind:     hidden_block_count_z
      - .offset:         140
        .size:           2
        .value_kind:     hidden_group_size_x
      - .offset:         142
        .size:           2
        .value_kind:     hidden_group_size_y
      - .offset:         144
        .size:           2
        .value_kind:     hidden_group_size_z
      - .offset:         146
        .size:           2
        .value_kind:     hidden_remainder_x
      - .offset:         148
        .size:           2
        .value_kind:     hidden_remainder_y
      - .offset:         150
        .size:           2
        .value_kind:     hidden_remainder_z
      - .offset:         168
        .size:           8
        .value_kind:     hidden_global_offset_x
      - .offset:         176
        .size:           8
        .value_kind:     hidden_global_offset_y
      - .offset:         184
        .size:           8
        .value_kind:     hidden_global_offset_z
      - .offset:         192
        .size:           2
        .value_kind:     hidden_grid_dims
      - .offset:         248
        .size:           4
        .value_kind:     hidden_dynamic_lds_size
    .group_segment_fixed_size: 512
    .kernarg_segment_align: 8
    .kernarg_segment_size: 384
    .language:       OpenCL C
    .language_version:
      - 2
      - 0
    .max_flat_workgroup_size: 1024
    .name:           _ZN4vllm25paged_attention_v1_kernelIfhLi120ELi32ELi128ELNS_18Fp8KVCacheDataTypeE1ELb1EEEvPT_PKS2_PKT0_S8_ifPKiSA_iPKfiiiSC_SC_iiiii
    .private_segment_fixed_size: 1392
    .sgpr_count:     46
    .sgpr_spill_count: 0
    .symbol:         _ZN4vllm25paged_attention_v1_kernelIfhLi120ELi32ELi128ELNS_18Fp8KVCacheDataTypeE1ELb1EEEvPT_PKS2_PKT0_S8_ifPKiSA_iPKfiiiSC_SC_iiiii.kd
    .uniform_work_group_size: 1
    .uses_dynamic_stack: false
    .vgpr_count:     128
    .vgpr_spill_count: 0
    .wavefront_size: 32
    .workgroup_processor_mode: 1
  - .args:
      - .address_space:  global
        .offset:         0
        .size:           8
        .value_kind:     global_buffer
      - .address_space:  global
        .offset:         8
        .size:           8
        .value_kind:     global_buffer
      - .address_space:  global
        .offset:         16
        .size:           8
        .value_kind:     global_buffer
      - .address_space:  global
        .offset:         24
        .size:           8
        .value_kind:     global_buffer
      - .offset:         32
        .size:           4
        .value_kind:     by_value
      - .offset:         36
        .size:           4
        .value_kind:     by_value
      - .address_space:  global
        .offset:         40
        .size:           8
        .value_kind:     global_buffer
      - .address_space:  global
        .offset:         48
        .size:           8
        .value_kind:     global_buffer
      - .offset:         56
        .size:           4
        .value_kind:     by_value
      - .address_space:  global
        .offset:         64
        .size:           8
        .value_kind:     global_buffer
      - .offset:         72
        .size:           4
        .value_kind:     by_value
      - .offset:         76
        .size:           4
        .value_kind:     by_value
      - .offset:         80
        .size:           4
        .value_kind:     by_value
      - .address_space:  global
        .offset:         88
        .size:           8
        .value_kind:     global_buffer
      - .address_space:  global
        .offset:         96
        .size:           8
        .value_kind:     global_buffer
      - .offset:         104
        .size:           4
        .value_kind:     by_value
      - .offset:         108
        .size:           4
        .value_kind:     by_value
      - .offset:         112
        .size:           4
        .value_kind:     by_value
      - .offset:         116
        .size:           4
        .value_kind:     by_value
      - .offset:         120
        .size:           4
        .value_kind:     by_value
      - .offset:         128
        .size:           4
        .value_kind:     hidden_block_count_x
      - .offset:         132
        .size:           4
        .value_kind:     hidden_block_count_y
      - .offset:         136
        .size:           4
        .value_kind:     hidden_block_count_z
      - .offset:         140
        .size:           2
        .value_kind:     hidden_group_size_x
      - .offset:         142
        .size:           2
        .value_kind:     hidden_group_size_y
      - .offset:         144
        .size:           2
        .value_kind:     hidden_group_size_z
      - .offset:         146
        .size:           2
        .value_kind:     hidden_remainder_x
      - .offset:         148
        .size:           2
        .value_kind:     hidden_remainder_y
      - .offset:         150
        .size:           2
        .value_kind:     hidden_remainder_z
      - .offset:         168
        .size:           8
        .value_kind:     hidden_global_offset_x
      - .offset:         176
        .size:           8
        .value_kind:     hidden_global_offset_y
      - .offset:         184
        .size:           8
        .value_kind:     hidden_global_offset_z
      - .offset:         192
        .size:           2
        .value_kind:     hidden_grid_dims
      - .offset:         248
        .size:           4
        .value_kind:     hidden_dynamic_lds_size
    .group_segment_fixed_size: 544
    .kernarg_segment_align: 8
    .kernarg_segment_size: 384
    .language:       OpenCL C
    .language_version:
      - 2
      - 0
    .max_flat_workgroup_size: 1024
    .name:           _ZN4vllm25paged_attention_v1_kernelIfhLi128ELi32ELi128ELNS_18Fp8KVCacheDataTypeE1ELb1EEEvPT_PKS2_PKT0_S8_ifPKiSA_iPKfiiiSC_SC_iiiii
    .private_segment_fixed_size: 1528
    .sgpr_count:     46
    .sgpr_spill_count: 0
    .symbol:         _ZN4vllm25paged_attention_v1_kernelIfhLi128ELi32ELi128ELNS_18Fp8KVCacheDataTypeE1ELb1EEEvPT_PKS2_PKT0_S8_ifPKiSA_iPKfiiiSC_SC_iiiii.kd
    .uniform_work_group_size: 1
    .uses_dynamic_stack: false
    .vgpr_count:     128
    .vgpr_spill_count: 0
    .wavefront_size: 32
    .workgroup_processor_mode: 1
  - .args:
      - .address_space:  global
        .offset:         0
        .size:           8
        .value_kind:     global_buffer
      - .address_space:  global
        .offset:         8
        .size:           8
        .value_kind:     global_buffer
      - .address_space:  global
        .offset:         16
        .size:           8
        .value_kind:     global_buffer
      - .address_space:  global
        .offset:         24
        .size:           8
        .value_kind:     global_buffer
      - .offset:         32
        .size:           4
        .value_kind:     by_value
      - .offset:         36
        .size:           4
        .value_kind:     by_value
      - .address_space:  global
        .offset:         40
        .size:           8
        .value_kind:     global_buffer
      - .address_space:  global
        .offset:         48
        .size:           8
        .value_kind:     global_buffer
      - .offset:         56
        .size:           4
        .value_kind:     by_value
      - .address_space:  global
        .offset:         64
        .size:           8
        .value_kind:     global_buffer
      - .offset:         72
        .size:           4
        .value_kind:     by_value
      - .offset:         76
        .size:           4
        .value_kind:     by_value
      - .offset:         80
        .size:           4
        .value_kind:     by_value
      - .address_space:  global
        .offset:         88
        .size:           8
        .value_kind:     global_buffer
      - .address_space:  global
        .offset:         96
        .size:           8
        .value_kind:     global_buffer
      - .offset:         104
        .size:           4
        .value_kind:     by_value
      - .offset:         108
        .size:           4
        .value_kind:     by_value
      - .offset:         112
        .size:           4
        .value_kind:     by_value
      - .offset:         116
        .size:           4
        .value_kind:     by_value
      - .offset:         120
        .size:           4
        .value_kind:     by_value
      - .offset:         128
        .size:           4
        .value_kind:     hidden_block_count_x
      - .offset:         132
        .size:           4
        .value_kind:     hidden_block_count_y
      - .offset:         136
        .size:           4
        .value_kind:     hidden_block_count_z
      - .offset:         140
        .size:           2
        .value_kind:     hidden_group_size_x
      - .offset:         142
        .size:           2
        .value_kind:     hidden_group_size_y
      - .offset:         144
        .size:           2
        .value_kind:     hidden_group_size_z
      - .offset:         146
        .size:           2
        .value_kind:     hidden_remainder_x
      - .offset:         148
        .size:           2
        .value_kind:     hidden_remainder_y
      - .offset:         150
        .size:           2
        .value_kind:     hidden_remainder_z
      - .offset:         168
        .size:           8
        .value_kind:     hidden_global_offset_x
      - .offset:         176
        .size:           8
        .value_kind:     hidden_global_offset_y
      - .offset:         184
        .size:           8
        .value_kind:     hidden_global_offset_z
      - .offset:         192
        .size:           2
        .value_kind:     hidden_grid_dims
      - .offset:         248
        .size:           4
        .value_kind:     hidden_dynamic_lds_size
    .group_segment_fixed_size: 800
    .kernarg_segment_align: 8
    .kernarg_segment_size: 384
    .language:       OpenCL C
    .language_version:
      - 2
      - 0
    .max_flat_workgroup_size: 1024
    .name:           _ZN4vllm25paged_attention_v1_kernelIfhLi192ELi32ELi128ELNS_18Fp8KVCacheDataTypeE1ELb1EEEvPT_PKS2_PKT0_S8_ifPKiSA_iPKfiiiSC_SC_iiiii
    .private_segment_fixed_size: 2452
    .sgpr_count:     46
    .sgpr_spill_count: 0
    .symbol:         _ZN4vllm25paged_attention_v1_kernelIfhLi192ELi32ELi128ELNS_18Fp8KVCacheDataTypeE1ELb1EEEvPT_PKS2_PKT0_S8_ifPKiSA_iPKfiiiSC_SC_iiiii.kd
    .uniform_work_group_size: 1
    .uses_dynamic_stack: false
    .vgpr_count:     128
    .vgpr_spill_count: 0
    .wavefront_size: 32
    .workgroup_processor_mode: 1
  - .args:
      - .address_space:  global
        .offset:         0
        .size:           8
        .value_kind:     global_buffer
      - .address_space:  global
        .offset:         8
        .size:           8
        .value_kind:     global_buffer
      - .address_space:  global
        .offset:         16
        .size:           8
        .value_kind:     global_buffer
      - .address_space:  global
        .offset:         24
        .size:           8
        .value_kind:     global_buffer
      - .offset:         32
        .size:           4
        .value_kind:     by_value
      - .offset:         36
        .size:           4
        .value_kind:     by_value
      - .address_space:  global
        .offset:         40
        .size:           8
        .value_kind:     global_buffer
      - .address_space:  global
        .offset:         48
        .size:           8
        .value_kind:     global_buffer
      - .offset:         56
        .size:           4
        .value_kind:     by_value
      - .address_space:  global
        .offset:         64
        .size:           8
        .value_kind:     global_buffer
      - .offset:         72
        .size:           4
        .value_kind:     by_value
      - .offset:         76
        .size:           4
        .value_kind:     by_value
      - .offset:         80
        .size:           4
        .value_kind:     by_value
      - .address_space:  global
        .offset:         88
        .size:           8
        .value_kind:     global_buffer
      - .address_space:  global
        .offset:         96
        .size:           8
        .value_kind:     global_buffer
      - .offset:         104
        .size:           4
        .value_kind:     by_value
      - .offset:         108
        .size:           4
        .value_kind:     by_value
      - .offset:         112
        .size:           4
        .value_kind:     by_value
      - .offset:         116
        .size:           4
        .value_kind:     by_value
      - .offset:         120
        .size:           4
        .value_kind:     by_value
      - .offset:         128
        .size:           4
        .value_kind:     hidden_block_count_x
      - .offset:         132
        .size:           4
        .value_kind:     hidden_block_count_y
      - .offset:         136
        .size:           4
        .value_kind:     hidden_block_count_z
      - .offset:         140
        .size:           2
        .value_kind:     hidden_group_size_x
      - .offset:         142
        .size:           2
        .value_kind:     hidden_group_size_y
      - .offset:         144
        .size:           2
        .value_kind:     hidden_group_size_z
      - .offset:         146
        .size:           2
        .value_kind:     hidden_remainder_x
      - .offset:         148
        .size:           2
        .value_kind:     hidden_remainder_y
      - .offset:         150
        .size:           2
        .value_kind:     hidden_remainder_z
      - .offset:         168
        .size:           8
        .value_kind:     hidden_global_offset_x
      - .offset:         176
        .size:           8
        .value_kind:     hidden_global_offset_y
      - .offset:         184
        .size:           8
        .value_kind:     hidden_global_offset_z
      - .offset:         192
        .size:           2
        .value_kind:     hidden_grid_dims
      - .offset:         248
        .size:           4
        .value_kind:     hidden_dynamic_lds_size
    .group_segment_fixed_size: 1056
    .kernarg_segment_align: 8
    .kernarg_segment_size: 384
    .language:       OpenCL C
    .language_version:
      - 2
      - 0
    .max_flat_workgroup_size: 1024
    .name:           _ZN4vllm25paged_attention_v1_kernelIfhLi256ELi32ELi128ELNS_18Fp8KVCacheDataTypeE1ELb1EEEvPT_PKS2_PKT0_S8_ifPKiSA_iPKfiiiSC_SC_iiiii
    .private_segment_fixed_size: 3252
    .sgpr_count:     46
    .sgpr_spill_count: 0
    .symbol:         _ZN4vllm25paged_attention_v1_kernelIfhLi256ELi32ELi128ELNS_18Fp8KVCacheDataTypeE1ELb1EEEvPT_PKS2_PKT0_S8_ifPKiSA_iPKfiiiSC_SC_iiiii.kd
    .uniform_work_group_size: 1
    .uses_dynamic_stack: false
    .vgpr_count:     128
    .vgpr_spill_count: 0
    .wavefront_size: 32
    .workgroup_processor_mode: 1
  - .args:
      - .actual_access:  write_only
        .address_space:  global
        .offset:         0
        .size:           8
        .value_kind:     global_buffer
      - .actual_access:  read_only
        .address_space:  global
        .offset:         8
        .size:           8
        .value_kind:     global_buffer
      - .actual_access:  read_only
        .address_space:  global
        .offset:         16
        .size:           8
        .value_kind:     global_buffer
      - .actual_access:  read_only
        .address_space:  global
        .offset:         24
        .size:           8
        .value_kind:     global_buffer
      - .offset:         32
        .size:           4
        .value_kind:     by_value
      - .offset:         36
        .size:           4
        .value_kind:     by_value
      - .actual_access:  read_only
        .address_space:  global
        .offset:         40
        .size:           8
        .value_kind:     global_buffer
      - .actual_access:  read_only
        .address_space:  global
        .offset:         48
        .size:           8
        .value_kind:     global_buffer
      - .offset:         56
        .size:           4
        .value_kind:     by_value
      - .actual_access:  read_only
        .address_space:  global
        .offset:         64
        .size:           8
        .value_kind:     global_buffer
      - .offset:         72
        .size:           4
        .value_kind:     by_value
      - .offset:         76
        .size:           4
        .value_kind:     by_value
      - .offset:         80
        .size:           4
        .value_kind:     by_value
      - .address_space:  global
        .offset:         88
        .size:           8
        .value_kind:     global_buffer
      - .address_space:  global
        .offset:         96
        .size:           8
        .value_kind:     global_buffer
      - .offset:         104
        .size:           4
        .value_kind:     by_value
      - .offset:         108
        .size:           4
        .value_kind:     by_value
      - .offset:         112
        .size:           4
        .value_kind:     by_value
      - .offset:         116
        .size:           4
        .value_kind:     by_value
      - .offset:         120
        .size:           4
        .value_kind:     by_value
      - .offset:         128
        .size:           4
        .value_kind:     hidden_block_count_x
      - .offset:         132
        .size:           4
        .value_kind:     hidden_block_count_y
      - .offset:         136
        .size:           4
        .value_kind:     hidden_block_count_z
      - .offset:         140
        .size:           2
        .value_kind:     hidden_group_size_x
      - .offset:         142
        .size:           2
        .value_kind:     hidden_group_size_y
      - .offset:         144
        .size:           2
        .value_kind:     hidden_group_size_z
      - .offset:         146
        .size:           2
        .value_kind:     hidden_remainder_x
      - .offset:         148
        .size:           2
        .value_kind:     hidden_remainder_y
      - .offset:         150
        .size:           2
        .value_kind:     hidden_remainder_z
      - .offset:         168
        .size:           8
        .value_kind:     hidden_global_offset_x
      - .offset:         176
        .size:           8
        .value_kind:     hidden_global_offset_y
      - .offset:         184
        .size:           8
        .value_kind:     hidden_global_offset_z
      - .offset:         192
        .size:           2
        .value_kind:     hidden_grid_dims
      - .offset:         248
        .size:           4
        .value_kind:     hidden_dynamic_lds_size
    .group_segment_fixed_size: 160
    .kernarg_segment_align: 8
    .kernarg_segment_size: 384
    .language:       OpenCL C
    .language_version:
      - 2
      - 0
    .max_flat_workgroup_size: 1024
    .name:           _ZN4vllm25paged_attention_v1_kernelIfhLi32ELi32ELi128ELNS_18Fp8KVCacheDataTypeE1ELb0EEEvPT_PKS2_PKT0_S8_ifPKiSA_iPKfiiiSC_SC_iiiii
    .private_segment_fixed_size: 0
    .sgpr_count:     36
    .sgpr_spill_count: 0
    .symbol:         _ZN4vllm25paged_attention_v1_kernelIfhLi32ELi32ELi128ELNS_18Fp8KVCacheDataTypeE1ELb0EEEvPT_PKS2_PKT0_S8_ifPKiSA_iPKfiiiSC_SC_iiiii.kd
    .uniform_work_group_size: 1
    .uses_dynamic_stack: false
    .vgpr_count:     122
    .vgpr_spill_count: 0
    .wavefront_size: 32
    .workgroup_processor_mode: 1
  - .args:
      - .actual_access:  write_only
        .address_space:  global
        .offset:         0
        .size:           8
        .value_kind:     global_buffer
      - .actual_access:  read_only
        .address_space:  global
        .offset:         8
        .size:           8
        .value_kind:     global_buffer
      - .actual_access:  read_only
        .address_space:  global
        .offset:         16
        .size:           8
        .value_kind:     global_buffer
      - .actual_access:  read_only
        .address_space:  global
        .offset:         24
        .size:           8
        .value_kind:     global_buffer
      - .offset:         32
        .size:           4
        .value_kind:     by_value
      - .offset:         36
        .size:           4
        .value_kind:     by_value
      - .actual_access:  read_only
        .address_space:  global
        .offset:         40
        .size:           8
        .value_kind:     global_buffer
      - .actual_access:  read_only
        .address_space:  global
        .offset:         48
        .size:           8
        .value_kind:     global_buffer
      - .offset:         56
        .size:           4
        .value_kind:     by_value
      - .actual_access:  read_only
        .address_space:  global
        .offset:         64
        .size:           8
        .value_kind:     global_buffer
      - .offset:         72
        .size:           4
        .value_kind:     by_value
      - .offset:         76
        .size:           4
        .value_kind:     by_value
      - .offset:         80
        .size:           4
        .value_kind:     by_value
      - .address_space:  global
        .offset:         88
        .size:           8
        .value_kind:     global_buffer
      - .address_space:  global
        .offset:         96
        .size:           8
        .value_kind:     global_buffer
      - .offset:         104
        .size:           4
        .value_kind:     by_value
      - .offset:         108
        .size:           4
        .value_kind:     by_value
      - .offset:         112
        .size:           4
        .value_kind:     by_value
      - .offset:         116
        .size:           4
        .value_kind:     by_value
      - .offset:         120
        .size:           4
        .value_kind:     by_value
      - .offset:         128
        .size:           4
        .value_kind:     hidden_block_count_x
      - .offset:         132
        .size:           4
        .value_kind:     hidden_block_count_y
      - .offset:         136
        .size:           4
        .value_kind:     hidden_block_count_z
      - .offset:         140
        .size:           2
        .value_kind:     hidden_group_size_x
      - .offset:         142
        .size:           2
        .value_kind:     hidden_group_size_y
      - .offset:         144
        .size:           2
        .value_kind:     hidden_group_size_z
      - .offset:         146
        .size:           2
        .value_kind:     hidden_remainder_x
      - .offset:         148
        .size:           2
        .value_kind:     hidden_remainder_y
      - .offset:         150
        .size:           2
        .value_kind:     hidden_remainder_z
      - .offset:         168
        .size:           8
        .value_kind:     hidden_global_offset_x
      - .offset:         176
        .size:           8
        .value_kind:     hidden_global_offset_y
      - .offset:         184
        .size:           8
        .value_kind:     hidden_global_offset_z
      - .offset:         192
        .size:           2
        .value_kind:     hidden_grid_dims
      - .offset:         248
        .size:           4
        .value_kind:     hidden_dynamic_lds_size
    .group_segment_fixed_size: 288
    .kernarg_segment_align: 8
    .kernarg_segment_size: 384
    .language:       OpenCL C
    .language_version:
      - 2
      - 0
    .max_flat_workgroup_size: 1024
    .name:           _ZN4vllm25paged_attention_v1_kernelIfhLi64ELi32ELi128ELNS_18Fp8KVCacheDataTypeE1ELb0EEEvPT_PKS2_PKT0_S8_ifPKiSA_iPKfiiiSC_SC_iiiii
    .private_segment_fixed_size: 348
    .sgpr_count:     42
    .sgpr_spill_count: 0
    .symbol:         _ZN4vllm25paged_attention_v1_kernelIfhLi64ELi32ELi128ELNS_18Fp8KVCacheDataTypeE1ELb0EEEvPT_PKS2_PKT0_S8_ifPKiSA_iPKfiiiSC_SC_iiiii.kd
    .uniform_work_group_size: 1
    .uses_dynamic_stack: false
    .vgpr_count:     128
    .vgpr_spill_count: 134
    .wavefront_size: 32
    .workgroup_processor_mode: 1
  - .args:
      - .address_space:  global
        .offset:         0
        .size:           8
        .value_kind:     global_buffer
      - .address_space:  global
        .offset:         8
        .size:           8
        .value_kind:     global_buffer
      - .address_space:  global
        .offset:         16
        .size:           8
        .value_kind:     global_buffer
      - .address_space:  global
        .offset:         24
        .size:           8
        .value_kind:     global_buffer
      - .offset:         32
        .size:           4
        .value_kind:     by_value
      - .offset:         36
        .size:           4
        .value_kind:     by_value
      - .address_space:  global
        .offset:         40
        .size:           8
        .value_kind:     global_buffer
      - .address_space:  global
        .offset:         48
        .size:           8
        .value_kind:     global_buffer
      - .offset:         56
        .size:           4
        .value_kind:     by_value
      - .address_space:  global
        .offset:         64
        .size:           8
        .value_kind:     global_buffer
      - .offset:         72
        .size:           4
        .value_kind:     by_value
      - .offset:         76
        .size:           4
        .value_kind:     by_value
      - .offset:         80
        .size:           4
        .value_kind:     by_value
      - .address_space:  global
        .offset:         88
        .size:           8
        .value_kind:     global_buffer
      - .address_space:  global
        .offset:         96
        .size:           8
        .value_kind:     global_buffer
      - .offset:         104
        .size:           4
        .value_kind:     by_value
      - .offset:         108
        .size:           4
        .value_kind:     by_value
      - .offset:         112
        .size:           4
        .value_kind:     by_value
      - .offset:         116
        .size:           4
        .value_kind:     by_value
      - .offset:         120
        .size:           4
        .value_kind:     by_value
      - .offset:         128
        .size:           4
        .value_kind:     hidden_block_count_x
      - .offset:         132
        .size:           4
        .value_kind:     hidden_block_count_y
      - .offset:         136
        .size:           4
        .value_kind:     hidden_block_count_z
      - .offset:         140
        .size:           2
        .value_kind:     hidden_group_size_x
      - .offset:         142
        .size:           2
        .value_kind:     hidden_group_size_y
      - .offset:         144
        .size:           2
        .value_kind:     hidden_group_size_z
      - .offset:         146
        .size:           2
        .value_kind:     hidden_remainder_x
      - .offset:         148
        .size:           2
        .value_kind:     hidden_remainder_y
      - .offset:         150
        .size:           2
        .value_kind:     hidden_remainder_z
      - .offset:         168
        .size:           8
        .value_kind:     hidden_global_offset_x
      - .offset:         176
        .size:           8
        .value_kind:     hidden_global_offset_y
      - .offset:         184
        .size:           8
        .value_kind:     hidden_global_offset_z
      - .offset:         192
        .size:           2
        .value_kind:     hidden_grid_dims
      - .offset:         248
        .size:           4
        .value_kind:     hidden_dynamic_lds_size
    .group_segment_fixed_size: 352
    .kernarg_segment_align: 8
    .kernarg_segment_size: 384
    .language:       OpenCL C
    .language_version:
      - 2
      - 0
    .max_flat_workgroup_size: 1024
    .name:           _ZN4vllm25paged_attention_v1_kernelIfhLi80ELi32ELi128ELNS_18Fp8KVCacheDataTypeE1ELb0EEEvPT_PKS2_PKT0_S8_ifPKiSA_iPKfiiiSC_SC_iiiii
    .private_segment_fixed_size: 816
    .sgpr_count:     42
    .sgpr_spill_count: 0
    .symbol:         _ZN4vllm25paged_attention_v1_kernelIfhLi80ELi32ELi128ELNS_18Fp8KVCacheDataTypeE1ELb0EEEvPT_PKS2_PKT0_S8_ifPKiSA_iPKfiiiSC_SC_iiiii.kd
    .uniform_work_group_size: 1
    .uses_dynamic_stack: false
    .vgpr_count:     128
    .vgpr_spill_count: 0
    .wavefront_size: 32
    .workgroup_processor_mode: 1
  - .args:
      - .address_space:  global
        .offset:         0
        .size:           8
        .value_kind:     global_buffer
      - .address_space:  global
        .offset:         8
        .size:           8
        .value_kind:     global_buffer
      - .address_space:  global
        .offset:         16
        .size:           8
        .value_kind:     global_buffer
      - .address_space:  global
        .offset:         24
        .size:           8
        .value_kind:     global_buffer
      - .offset:         32
        .size:           4
        .value_kind:     by_value
      - .offset:         36
        .size:           4
        .value_kind:     by_value
      - .address_space:  global
        .offset:         40
        .size:           8
        .value_kind:     global_buffer
      - .address_space:  global
        .offset:         48
        .size:           8
        .value_kind:     global_buffer
      - .offset:         56
        .size:           4
        .value_kind:     by_value
      - .address_space:  global
        .offset:         64
        .size:           8
        .value_kind:     global_buffer
      - .offset:         72
        .size:           4
        .value_kind:     by_value
      - .offset:         76
        .size:           4
        .value_kind:     by_value
      - .offset:         80
        .size:           4
        .value_kind:     by_value
      - .address_space:  global
        .offset:         88
        .size:           8
        .value_kind:     global_buffer
      - .address_space:  global
        .offset:         96
        .size:           8
        .value_kind:     global_buffer
      - .offset:         104
        .size:           4
        .value_kind:     by_value
      - .offset:         108
        .size:           4
        .value_kind:     by_value
      - .offset:         112
        .size:           4
        .value_kind:     by_value
      - .offset:         116
        .size:           4
        .value_kind:     by_value
      - .offset:         120
        .size:           4
        .value_kind:     by_value
      - .offset:         128
        .size:           4
        .value_kind:     hidden_block_count_x
      - .offset:         132
        .size:           4
        .value_kind:     hidden_block_count_y
      - .offset:         136
        .size:           4
        .value_kind:     hidden_block_count_z
      - .offset:         140
        .size:           2
        .value_kind:     hidden_group_size_x
      - .offset:         142
        .size:           2
        .value_kind:     hidden_group_size_y
      - .offset:         144
        .size:           2
        .value_kind:     hidden_group_size_z
      - .offset:         146
        .size:           2
        .value_kind:     hidden_remainder_x
      - .offset:         148
        .size:           2
        .value_kind:     hidden_remainder_y
      - .offset:         150
        .size:           2
        .value_kind:     hidden_remainder_z
      - .offset:         168
        .size:           8
        .value_kind:     hidden_global_offset_x
      - .offset:         176
        .size:           8
        .value_kind:     hidden_global_offset_y
      - .offset:         184
        .size:           8
        .value_kind:     hidden_global_offset_z
      - .offset:         192
        .size:           2
        .value_kind:     hidden_grid_dims
      - .offset:         248
        .size:           4
        .value_kind:     hidden_dynamic_lds_size
    .group_segment_fixed_size: 416
    .kernarg_segment_align: 8
    .kernarg_segment_size: 384
    .language:       OpenCL C
    .language_version:
      - 2
      - 0
    .max_flat_workgroup_size: 1024
    .name:           _ZN4vllm25paged_attention_v1_kernelIfhLi96ELi32ELi128ELNS_18Fp8KVCacheDataTypeE1ELb0EEEvPT_PKS2_PKT0_S8_ifPKiSA_iPKfiiiSC_SC_iiiii
    .private_segment_fixed_size: 1024
    .sgpr_count:     42
    .sgpr_spill_count: 0
    .symbol:         _ZN4vllm25paged_attention_v1_kernelIfhLi96ELi32ELi128ELNS_18Fp8KVCacheDataTypeE1ELb0EEEvPT_PKS2_PKT0_S8_ifPKiSA_iPKfiiiSC_SC_iiiii.kd
    .uniform_work_group_size: 1
    .uses_dynamic_stack: false
    .vgpr_count:     128
    .vgpr_spill_count: 0
    .wavefront_size: 32
    .workgroup_processor_mode: 1
  - .args:
      - .address_space:  global
        .offset:         0
        .size:           8
        .value_kind:     global_buffer
      - .address_space:  global
        .offset:         8
        .size:           8
        .value_kind:     global_buffer
      - .address_space:  global
        .offset:         16
        .size:           8
        .value_kind:     global_buffer
      - .address_space:  global
        .offset:         24
        .size:           8
        .value_kind:     global_buffer
      - .offset:         32
        .size:           4
        .value_kind:     by_value
      - .offset:         36
        .size:           4
        .value_kind:     by_value
      - .address_space:  global
        .offset:         40
        .size:           8
        .value_kind:     global_buffer
      - .address_space:  global
        .offset:         48
        .size:           8
        .value_kind:     global_buffer
      - .offset:         56
        .size:           4
        .value_kind:     by_value
      - .address_space:  global
        .offset:         64
        .size:           8
        .value_kind:     global_buffer
      - .offset:         72
        .size:           4
        .value_kind:     by_value
      - .offset:         76
        .size:           4
        .value_kind:     by_value
      - .offset:         80
        .size:           4
        .value_kind:     by_value
      - .address_space:  global
        .offset:         88
        .size:           8
        .value_kind:     global_buffer
      - .address_space:  global
        .offset:         96
        .size:           8
        .value_kind:     global_buffer
      - .offset:         104
        .size:           4
        .value_kind:     by_value
      - .offset:         108
        .size:           4
        .value_kind:     by_value
      - .offset:         112
        .size:           4
        .value_kind:     by_value
      - .offset:         116
        .size:           4
        .value_kind:     by_value
      - .offset:         120
        .size:           4
        .value_kind:     by_value
      - .offset:         128
        .size:           4
        .value_kind:     hidden_block_count_x
      - .offset:         132
        .size:           4
        .value_kind:     hidden_block_count_y
      - .offset:         136
        .size:           4
        .value_kind:     hidden_block_count_z
      - .offset:         140
        .size:           2
        .value_kind:     hidden_group_size_x
      - .offset:         142
        .size:           2
        .value_kind:     hidden_group_size_y
      - .offset:         144
        .size:           2
        .value_kind:     hidden_group_size_z
      - .offset:         146
        .size:           2
        .value_kind:     hidden_remainder_x
      - .offset:         148
        .size:           2
        .value_kind:     hidden_remainder_y
      - .offset:         150
        .size:           2
        .value_kind:     hidden_remainder_z
      - .offset:         168
        .size:           8
        .value_kind:     hidden_global_offset_x
      - .offset:         176
        .size:           8
        .value_kind:     hidden_global_offset_y
      - .offset:         184
        .size:           8
        .value_kind:     hidden_global_offset_z
      - .offset:         192
        .size:           2
        .value_kind:     hidden_grid_dims
      - .offset:         248
        .size:           4
        .value_kind:     hidden_dynamic_lds_size
    .group_segment_fixed_size: 480
    .kernarg_segment_align: 8
    .kernarg_segment_size: 384
    .language:       OpenCL C
    .language_version:
      - 2
      - 0
    .max_flat_workgroup_size: 1024
    .name:           _ZN4vllm25paged_attention_v1_kernelIfhLi112ELi32ELi128ELNS_18Fp8KVCacheDataTypeE1ELb0EEEvPT_PKS2_PKT0_S8_ifPKiSA_iPKfiiiSC_SC_iiiii
    .private_segment_fixed_size: 1224
    .sgpr_count:     42
    .sgpr_spill_count: 0
    .symbol:         _ZN4vllm25paged_attention_v1_kernelIfhLi112ELi32ELi128ELNS_18Fp8KVCacheDataTypeE1ELb0EEEvPT_PKS2_PKT0_S8_ifPKiSA_iPKfiiiSC_SC_iiiii.kd
    .uniform_work_group_size: 1
    .uses_dynamic_stack: false
    .vgpr_count:     128
    .vgpr_spill_count: 0
    .wavefront_size: 32
    .workgroup_processor_mode: 1
  - .args:
      - .address_space:  global
        .offset:         0
        .size:           8
        .value_kind:     global_buffer
      - .address_space:  global
        .offset:         8
        .size:           8
        .value_kind:     global_buffer
      - .address_space:  global
        .offset:         16
        .size:           8
        .value_kind:     global_buffer
      - .address_space:  global
        .offset:         24
        .size:           8
        .value_kind:     global_buffer
      - .offset:         32
        .size:           4
        .value_kind:     by_value
      - .offset:         36
        .size:           4
        .value_kind:     by_value
      - .address_space:  global
        .offset:         40
        .size:           8
        .value_kind:     global_buffer
      - .address_space:  global
        .offset:         48
        .size:           8
        .value_kind:     global_buffer
      - .offset:         56
        .size:           4
        .value_kind:     by_value
      - .address_space:  global
        .offset:         64
        .size:           8
        .value_kind:     global_buffer
      - .offset:         72
        .size:           4
        .value_kind:     by_value
      - .offset:         76
        .size:           4
        .value_kind:     by_value
      - .offset:         80
        .size:           4
        .value_kind:     by_value
      - .address_space:  global
        .offset:         88
        .size:           8
        .value_kind:     global_buffer
      - .address_space:  global
        .offset:         96
        .size:           8
        .value_kind:     global_buffer
      - .offset:         104
        .size:           4
        .value_kind:     by_value
      - .offset:         108
        .size:           4
        .value_kind:     by_value
      - .offset:         112
        .size:           4
        .value_kind:     by_value
      - .offset:         116
        .size:           4
        .value_kind:     by_value
      - .offset:         120
        .size:           4
        .value_kind:     by_value
      - .offset:         128
        .size:           4
        .value_kind:     hidden_block_count_x
      - .offset:         132
        .size:           4
        .value_kind:     hidden_block_count_y
      - .offset:         136
        .size:           4
        .value_kind:     hidden_block_count_z
      - .offset:         140
        .size:           2
        .value_kind:     hidden_group_size_x
      - .offset:         142
        .size:           2
        .value_kind:     hidden_group_size_y
      - .offset:         144
        .size:           2
        .value_kind:     hidden_group_size_z
      - .offset:         146
        .size:           2
        .value_kind:     hidden_remainder_x
      - .offset:         148
        .size:           2
        .value_kind:     hidden_remainder_y
      - .offset:         150
        .size:           2
        .value_kind:     hidden_remainder_z
      - .offset:         168
        .size:           8
        .value_kind:     hidden_global_offset_x
      - .offset:         176
        .size:           8
        .value_kind:     hidden_global_offset_y
      - .offset:         184
        .size:           8
        .value_kind:     hidden_global_offset_z
      - .offset:         192
        .size:           2
        .value_kind:     hidden_grid_dims
      - .offset:         248
        .size:           4
        .value_kind:     hidden_dynamic_lds_size
    .group_segment_fixed_size: 512
    .kernarg_segment_align: 8
    .kernarg_segment_size: 384
    .language:       OpenCL C
    .language_version:
      - 2
      - 0
    .max_flat_workgroup_size: 1024
    .name:           _ZN4vllm25paged_attention_v1_kernelIfhLi120ELi32ELi128ELNS_18Fp8KVCacheDataTypeE1ELb0EEEvPT_PKS2_PKT0_S8_ifPKiSA_iPKfiiiSC_SC_iiiii
    .private_segment_fixed_size: 1344
    .sgpr_count:     42
    .sgpr_spill_count: 0
    .symbol:         _ZN4vllm25paged_attention_v1_kernelIfhLi120ELi32ELi128ELNS_18Fp8KVCacheDataTypeE1ELb0EEEvPT_PKS2_PKT0_S8_ifPKiSA_iPKfiiiSC_SC_iiiii.kd
    .uniform_work_group_size: 1
    .uses_dynamic_stack: false
    .vgpr_count:     128
    .vgpr_spill_count: 0
    .wavefront_size: 32
    .workgroup_processor_mode: 1
  - .args:
      - .address_space:  global
        .offset:         0
        .size:           8
        .value_kind:     global_buffer
      - .address_space:  global
        .offset:         8
        .size:           8
        .value_kind:     global_buffer
      - .address_space:  global
        .offset:         16
        .size:           8
        .value_kind:     global_buffer
      - .address_space:  global
        .offset:         24
        .size:           8
        .value_kind:     global_buffer
      - .offset:         32
        .size:           4
        .value_kind:     by_value
      - .offset:         36
        .size:           4
        .value_kind:     by_value
      - .address_space:  global
        .offset:         40
        .size:           8
        .value_kind:     global_buffer
      - .address_space:  global
        .offset:         48
        .size:           8
        .value_kind:     global_buffer
      - .offset:         56
        .size:           4
        .value_kind:     by_value
      - .address_space:  global
        .offset:         64
        .size:           8
        .value_kind:     global_buffer
      - .offset:         72
        .size:           4
        .value_kind:     by_value
      - .offset:         76
        .size:           4
        .value_kind:     by_value
      - .offset:         80
        .size:           4
        .value_kind:     by_value
      - .address_space:  global
        .offset:         88
        .size:           8
        .value_kind:     global_buffer
      - .address_space:  global
        .offset:         96
        .size:           8
        .value_kind:     global_buffer
      - .offset:         104
        .size:           4
        .value_kind:     by_value
      - .offset:         108
        .size:           4
        .value_kind:     by_value
      - .offset:         112
        .size:           4
        .value_kind:     by_value
      - .offset:         116
        .size:           4
        .value_kind:     by_value
      - .offset:         120
        .size:           4
        .value_kind:     by_value
      - .offset:         128
        .size:           4
        .value_kind:     hidden_block_count_x
      - .offset:         132
        .size:           4
        .value_kind:     hidden_block_count_y
      - .offset:         136
        .size:           4
        .value_kind:     hidden_block_count_z
      - .offset:         140
        .size:           2
        .value_kind:     hidden_group_size_x
      - .offset:         142
        .size:           2
        .value_kind:     hidden_group_size_y
      - .offset:         144
        .size:           2
        .value_kind:     hidden_group_size_z
      - .offset:         146
        .size:           2
        .value_kind:     hidden_remainder_x
      - .offset:         148
        .size:           2
        .value_kind:     hidden_remainder_y
      - .offset:         150
        .size:           2
        .value_kind:     hidden_remainder_z
      - .offset:         168
        .size:           8
        .value_kind:     hidden_global_offset_x
      - .offset:         176
        .size:           8
        .value_kind:     hidden_global_offset_y
      - .offset:         184
        .size:           8
        .value_kind:     hidden_global_offset_z
      - .offset:         192
        .size:           2
        .value_kind:     hidden_grid_dims
      - .offset:         248
        .size:           4
        .value_kind:     hidden_dynamic_lds_size
    .group_segment_fixed_size: 544
    .kernarg_segment_align: 8
    .kernarg_segment_size: 384
    .language:       OpenCL C
    .language_version:
      - 2
      - 0
    .max_flat_workgroup_size: 1024
    .name:           _ZN4vllm25paged_attention_v1_kernelIfhLi128ELi32ELi128ELNS_18Fp8KVCacheDataTypeE1ELb0EEEvPT_PKS2_PKT0_S8_ifPKiSA_iPKfiiiSC_SC_iiiii
    .private_segment_fixed_size: 1508
    .sgpr_count:     42
    .sgpr_spill_count: 0
    .symbol:         _ZN4vllm25paged_attention_v1_kernelIfhLi128ELi32ELi128ELNS_18Fp8KVCacheDataTypeE1ELb0EEEvPT_PKS2_PKT0_S8_ifPKiSA_iPKfiiiSC_SC_iiiii.kd
    .uniform_work_group_size: 1
    .uses_dynamic_stack: false
    .vgpr_count:     128
    .vgpr_spill_count: 0
    .wavefront_size: 32
    .workgroup_processor_mode: 1
  - .args:
      - .address_space:  global
        .offset:         0
        .size:           8
        .value_kind:     global_buffer
      - .address_space:  global
        .offset:         8
        .size:           8
        .value_kind:     global_buffer
      - .address_space:  global
        .offset:         16
        .size:           8
        .value_kind:     global_buffer
      - .address_space:  global
        .offset:         24
        .size:           8
        .value_kind:     global_buffer
      - .offset:         32
        .size:           4
        .value_kind:     by_value
      - .offset:         36
        .size:           4
        .value_kind:     by_value
      - .address_space:  global
        .offset:         40
        .size:           8
        .value_kind:     global_buffer
      - .address_space:  global
        .offset:         48
        .size:           8
        .value_kind:     global_buffer
      - .offset:         56
        .size:           4
        .value_kind:     by_value
      - .address_space:  global
        .offset:         64
        .size:           8
        .value_kind:     global_buffer
      - .offset:         72
        .size:           4
        .value_kind:     by_value
      - .offset:         76
        .size:           4
        .value_kind:     by_value
      - .offset:         80
        .size:           4
        .value_kind:     by_value
      - .address_space:  global
        .offset:         88
        .size:           8
        .value_kind:     global_buffer
      - .address_space:  global
        .offset:         96
        .size:           8
        .value_kind:     global_buffer
      - .offset:         104
        .size:           4
        .value_kind:     by_value
      - .offset:         108
        .size:           4
        .value_kind:     by_value
      - .offset:         112
        .size:           4
        .value_kind:     by_value
      - .offset:         116
        .size:           4
        .value_kind:     by_value
      - .offset:         120
        .size:           4
        .value_kind:     by_value
      - .offset:         128
        .size:           4
        .value_kind:     hidden_block_count_x
      - .offset:         132
        .size:           4
        .value_kind:     hidden_block_count_y
      - .offset:         136
        .size:           4
        .value_kind:     hidden_block_count_z
      - .offset:         140
        .size:           2
        .value_kind:     hidden_group_size_x
      - .offset:         142
        .size:           2
        .value_kind:     hidden_group_size_y
      - .offset:         144
        .size:           2
        .value_kind:     hidden_group_size_z
      - .offset:         146
        .size:           2
        .value_kind:     hidden_remainder_x
      - .offset:         148
        .size:           2
        .value_kind:     hidden_remainder_y
      - .offset:         150
        .size:           2
        .value_kind:     hidden_remainder_z
      - .offset:         168
        .size:           8
        .value_kind:     hidden_global_offset_x
      - .offset:         176
        .size:           8
        .value_kind:     hidden_global_offset_y
      - .offset:         184
        .size:           8
        .value_kind:     hidden_global_offset_z
      - .offset:         192
        .size:           2
        .value_kind:     hidden_grid_dims
      - .offset:         248
        .size:           4
        .value_kind:     hidden_dynamic_lds_size
    .group_segment_fixed_size: 800
    .kernarg_segment_align: 8
    .kernarg_segment_size: 384
    .language:       OpenCL C
    .language_version:
      - 2
      - 0
    .max_flat_workgroup_size: 1024
    .name:           _ZN4vllm25paged_attention_v1_kernelIfhLi192ELi32ELi128ELNS_18Fp8KVCacheDataTypeE1ELb0EEEvPT_PKS2_PKT0_S8_ifPKiSA_iPKfiiiSC_SC_iiiii
    .private_segment_fixed_size: 2392
    .sgpr_count:     42
    .sgpr_spill_count: 0
    .symbol:         _ZN4vllm25paged_attention_v1_kernelIfhLi192ELi32ELi128ELNS_18Fp8KVCacheDataTypeE1ELb0EEEvPT_PKS2_PKT0_S8_ifPKiSA_iPKfiiiSC_SC_iiiii.kd
    .uniform_work_group_size: 1
    .uses_dynamic_stack: false
    .vgpr_count:     128
    .vgpr_spill_count: 0
    .wavefront_size: 32
    .workgroup_processor_mode: 1
  - .args:
      - .address_space:  global
        .offset:         0
        .size:           8
        .value_kind:     global_buffer
      - .address_space:  global
        .offset:         8
        .size:           8
        .value_kind:     global_buffer
      - .address_space:  global
        .offset:         16
        .size:           8
        .value_kind:     global_buffer
      - .address_space:  global
        .offset:         24
        .size:           8
        .value_kind:     global_buffer
      - .offset:         32
        .size:           4
        .value_kind:     by_value
      - .offset:         36
        .size:           4
        .value_kind:     by_value
      - .address_space:  global
        .offset:         40
        .size:           8
        .value_kind:     global_buffer
      - .address_space:  global
        .offset:         48
        .size:           8
        .value_kind:     global_buffer
      - .offset:         56
        .size:           4
        .value_kind:     by_value
      - .address_space:  global
        .offset:         64
        .size:           8
        .value_kind:     global_buffer
      - .offset:         72
        .size:           4
        .value_kind:     by_value
      - .offset:         76
        .size:           4
        .value_kind:     by_value
      - .offset:         80
        .size:           4
        .value_kind:     by_value
      - .address_space:  global
        .offset:         88
        .size:           8
        .value_kind:     global_buffer
      - .address_space:  global
        .offset:         96
        .size:           8
        .value_kind:     global_buffer
      - .offset:         104
        .size:           4
        .value_kind:     by_value
      - .offset:         108
        .size:           4
        .value_kind:     by_value
      - .offset:         112
        .size:           4
        .value_kind:     by_value
      - .offset:         116
        .size:           4
        .value_kind:     by_value
      - .offset:         120
        .size:           4
        .value_kind:     by_value
      - .offset:         128
        .size:           4
        .value_kind:     hidden_block_count_x
      - .offset:         132
        .size:           4
        .value_kind:     hidden_block_count_y
      - .offset:         136
        .size:           4
        .value_kind:     hidden_block_count_z
      - .offset:         140
        .size:           2
        .value_kind:     hidden_group_size_x
      - .offset:         142
        .size:           2
        .value_kind:     hidden_group_size_y
      - .offset:         144
        .size:           2
        .value_kind:     hidden_group_size_z
      - .offset:         146
        .size:           2
        .value_kind:     hidden_remainder_x
      - .offset:         148
        .size:           2
        .value_kind:     hidden_remainder_y
      - .offset:         150
        .size:           2
        .value_kind:     hidden_remainder_z
      - .offset:         168
        .size:           8
        .value_kind:     hidden_global_offset_x
      - .offset:         176
        .size:           8
        .value_kind:     hidden_global_offset_y
      - .offset:         184
        .size:           8
        .value_kind:     hidden_global_offset_z
      - .offset:         192
        .size:           2
        .value_kind:     hidden_grid_dims
      - .offset:         248
        .size:           4
        .value_kind:     hidden_dynamic_lds_size
    .group_segment_fixed_size: 1056
    .kernarg_segment_align: 8
    .kernarg_segment_size: 384
    .language:       OpenCL C
    .language_version:
      - 2
      - 0
    .max_flat_workgroup_size: 1024
    .name:           _ZN4vllm25paged_attention_v1_kernelIfhLi256ELi32ELi128ELNS_18Fp8KVCacheDataTypeE1ELb0EEEvPT_PKS2_PKT0_S8_ifPKiSA_iPKfiiiSC_SC_iiiii
    .private_segment_fixed_size: 3160
    .sgpr_count:     42
    .sgpr_spill_count: 0
    .symbol:         _ZN4vllm25paged_attention_v1_kernelIfhLi256ELi32ELi128ELNS_18Fp8KVCacheDataTypeE1ELb0EEEvPT_PKS2_PKT0_S8_ifPKiSA_iPKfiiiSC_SC_iiiii.kd
    .uniform_work_group_size: 1
    .uses_dynamic_stack: false
    .vgpr_count:     128
    .vgpr_spill_count: 0
    .wavefront_size: 32
    .workgroup_processor_mode: 1
  - .args:
      - .actual_access:  write_only
        .address_space:  global
        .offset:         0
        .size:           8
        .value_kind:     global_buffer
      - .actual_access:  read_only
        .address_space:  global
        .offset:         8
        .size:           8
        .value_kind:     global_buffer
      - .actual_access:  read_only
        .address_space:  global
        .offset:         16
        .size:           8
        .value_kind:     global_buffer
      - .actual_access:  read_only
        .address_space:  global
        .offset:         24
        .size:           8
        .value_kind:     global_buffer
      - .offset:         32
        .size:           4
        .value_kind:     by_value
      - .offset:         36
        .size:           4
        .value_kind:     by_value
      - .actual_access:  read_only
        .address_space:  global
        .offset:         40
        .size:           8
        .value_kind:     global_buffer
      - .actual_access:  read_only
        .address_space:  global
        .offset:         48
        .size:           8
        .value_kind:     global_buffer
      - .offset:         56
        .size:           4
        .value_kind:     by_value
      - .actual_access:  read_only
        .address_space:  global
        .offset:         64
        .size:           8
        .value_kind:     global_buffer
      - .offset:         72
        .size:           4
        .value_kind:     by_value
      - .offset:         76
        .size:           4
        .value_kind:     by_value
      - .offset:         80
        .size:           4
        .value_kind:     by_value
      - .address_space:  global
        .offset:         88
        .size:           8
        .value_kind:     global_buffer
      - .address_space:  global
        .offset:         96
        .size:           8
        .value_kind:     global_buffer
      - .offset:         104
        .size:           4
        .value_kind:     by_value
      - .offset:         108
        .size:           4
        .value_kind:     by_value
      - .offset:         112
        .size:           4
        .value_kind:     by_value
      - .offset:         116
        .size:           4
        .value_kind:     by_value
      - .offset:         120
        .size:           4
        .value_kind:     by_value
      - .offset:         128
        .size:           4
        .value_kind:     hidden_block_count_x
      - .offset:         132
        .size:           4
        .value_kind:     hidden_block_count_y
      - .offset:         136
        .size:           4
        .value_kind:     hidden_block_count_z
      - .offset:         140
        .size:           2
        .value_kind:     hidden_group_size_x
      - .offset:         142
        .size:           2
        .value_kind:     hidden_group_size_y
      - .offset:         144
        .size:           2
        .value_kind:     hidden_group_size_z
      - .offset:         146
        .size:           2
        .value_kind:     hidden_remainder_x
      - .offset:         148
        .size:           2
        .value_kind:     hidden_remainder_y
      - .offset:         150
        .size:           2
        .value_kind:     hidden_remainder_z
      - .offset:         168
        .size:           8
        .value_kind:     hidden_global_offset_x
      - .offset:         176
        .size:           8
        .value_kind:     hidden_global_offset_y
      - .offset:         184
        .size:           8
        .value_kind:     hidden_global_offset_z
      - .offset:         192
        .size:           2
        .value_kind:     hidden_grid_dims
      - .offset:         248
        .size:           4
        .value_kind:     hidden_dynamic_lds_size
    .group_segment_fixed_size: 96
    .kernarg_segment_align: 8
    .kernarg_segment_size: 384
    .language:       OpenCL C
    .language_version:
      - 2
      - 0
    .max_flat_workgroup_size: 1024
    .name:           _ZN4vllm25paged_attention_v1_kernelIthLi32ELi8ELi128ELNS_18Fp8KVCacheDataTypeE1ELb1EEEvPT_PKS2_PKT0_S8_ifPKiSA_iPKfiiiSC_SC_iiiii
    .private_segment_fixed_size: 0
    .sgpr_count:     46
    .sgpr_spill_count: 0
    .symbol:         _ZN4vllm25paged_attention_v1_kernelIthLi32ELi8ELi128ELNS_18Fp8KVCacheDataTypeE1ELb1EEEvPT_PKS2_PKT0_S8_ifPKiSA_iPKfiiiSC_SC_iiiii.kd
    .uniform_work_group_size: 1
    .uses_dynamic_stack: false
    .vgpr_count:     42
    .vgpr_spill_count: 0
    .wavefront_size: 32
    .workgroup_processor_mode: 1
  - .args:
      - .actual_access:  write_only
        .address_space:  global
        .offset:         0
        .size:           8
        .value_kind:     global_buffer
      - .actual_access:  read_only
        .address_space:  global
        .offset:         8
        .size:           8
        .value_kind:     global_buffer
      - .actual_access:  read_only
        .address_space:  global
        .offset:         16
        .size:           8
        .value_kind:     global_buffer
      - .actual_access:  read_only
        .address_space:  global
        .offset:         24
        .size:           8
        .value_kind:     global_buffer
      - .offset:         32
        .size:           4
        .value_kind:     by_value
      - .offset:         36
        .size:           4
        .value_kind:     by_value
      - .actual_access:  read_only
        .address_space:  global
        .offset:         40
        .size:           8
        .value_kind:     global_buffer
      - .actual_access:  read_only
        .address_space:  global
        .offset:         48
        .size:           8
        .value_kind:     global_buffer
      - .offset:         56
        .size:           4
        .value_kind:     by_value
      - .actual_access:  read_only
        .address_space:  global
        .offset:         64
        .size:           8
        .value_kind:     global_buffer
      - .offset:         72
        .size:           4
        .value_kind:     by_value
      - .offset:         76
        .size:           4
        .value_kind:     by_value
      - .offset:         80
        .size:           4
        .value_kind:     by_value
      - .address_space:  global
        .offset:         88
        .size:           8
        .value_kind:     global_buffer
      - .address_space:  global
        .offset:         96
        .size:           8
        .value_kind:     global_buffer
      - .offset:         104
        .size:           4
        .value_kind:     by_value
      - .offset:         108
        .size:           4
        .value_kind:     by_value
      - .offset:         112
        .size:           4
        .value_kind:     by_value
      - .offset:         116
        .size:           4
        .value_kind:     by_value
      - .offset:         120
        .size:           4
        .value_kind:     by_value
      - .offset:         128
        .size:           4
        .value_kind:     hidden_block_count_x
      - .offset:         132
        .size:           4
        .value_kind:     hidden_block_count_y
      - .offset:         136
        .size:           4
        .value_kind:     hidden_block_count_z
      - .offset:         140
        .size:           2
        .value_kind:     hidden_group_size_x
      - .offset:         142
        .size:           2
        .value_kind:     hidden_group_size_y
      - .offset:         144
        .size:           2
        .value_kind:     hidden_group_size_z
      - .offset:         146
        .size:           2
        .value_kind:     hidden_remainder_x
      - .offset:         148
        .size:           2
        .value_kind:     hidden_remainder_y
      - .offset:         150
        .size:           2
        .value_kind:     hidden_remainder_z
      - .offset:         168
        .size:           8
        .value_kind:     hidden_global_offset_x
      - .offset:         176
        .size:           8
        .value_kind:     hidden_global_offset_y
      - .offset:         184
        .size:           8
        .value_kind:     hidden_global_offset_z
      - .offset:         192
        .size:           2
        .value_kind:     hidden_grid_dims
      - .offset:         248
        .size:           4
        .value_kind:     hidden_dynamic_lds_size
    .group_segment_fixed_size: 160
    .kernarg_segment_align: 8
    .kernarg_segment_size: 384
    .language:       OpenCL C
    .language_version:
      - 2
      - 0
    .max_flat_workgroup_size: 1024
    .name:           _ZN4vllm25paged_attention_v1_kernelIthLi64ELi8ELi128ELNS_18Fp8KVCacheDataTypeE1ELb1EEEvPT_PKS2_PKT0_S8_ifPKiSA_iPKfiiiSC_SC_iiiii
    .private_segment_fixed_size: 0
    .sgpr_count:     47
    .sgpr_spill_count: 0
    .symbol:         _ZN4vllm25paged_attention_v1_kernelIthLi64ELi8ELi128ELNS_18Fp8KVCacheDataTypeE1ELb1EEEvPT_PKS2_PKT0_S8_ifPKiSA_iPKfiiiSC_SC_iiiii.kd
    .uniform_work_group_size: 1
    .uses_dynamic_stack: false
    .vgpr_count:     54
    .vgpr_spill_count: 0
    .wavefront_size: 32
    .workgroup_processor_mode: 1
  - .args:
      - .actual_access:  write_only
        .address_space:  global
        .offset:         0
        .size:           8
        .value_kind:     global_buffer
      - .actual_access:  read_only
        .address_space:  global
        .offset:         8
        .size:           8
        .value_kind:     global_buffer
      - .actual_access:  read_only
        .address_space:  global
        .offset:         16
        .size:           8
        .value_kind:     global_buffer
      - .actual_access:  read_only
        .address_space:  global
        .offset:         24
        .size:           8
        .value_kind:     global_buffer
      - .offset:         32
        .size:           4
        .value_kind:     by_value
      - .offset:         36
        .size:           4
        .value_kind:     by_value
      - .actual_access:  read_only
        .address_space:  global
        .offset:         40
        .size:           8
        .value_kind:     global_buffer
      - .actual_access:  read_only
        .address_space:  global
        .offset:         48
        .size:           8
        .value_kind:     global_buffer
      - .offset:         56
        .size:           4
        .value_kind:     by_value
      - .actual_access:  read_only
        .address_space:  global
        .offset:         64
        .size:           8
        .value_kind:     global_buffer
      - .offset:         72
        .size:           4
        .value_kind:     by_value
      - .offset:         76
        .size:           4
        .value_kind:     by_value
      - .offset:         80
        .size:           4
        .value_kind:     by_value
      - .address_space:  global
        .offset:         88
        .size:           8
        .value_kind:     global_buffer
      - .address_space:  global
        .offset:         96
        .size:           8
        .value_kind:     global_buffer
      - .offset:         104
        .size:           4
        .value_kind:     by_value
      - .offset:         108
        .size:           4
        .value_kind:     by_value
      - .offset:         112
        .size:           4
        .value_kind:     by_value
      - .offset:         116
        .size:           4
        .value_kind:     by_value
      - .offset:         120
        .size:           4
        .value_kind:     by_value
      - .offset:         128
        .size:           4
        .value_kind:     hidden_block_count_x
      - .offset:         132
        .size:           4
        .value_kind:     hidden_block_count_y
      - .offset:         136
        .size:           4
        .value_kind:     hidden_block_count_z
      - .offset:         140
        .size:           2
        .value_kind:     hidden_group_size_x
      - .offset:         142
        .size:           2
        .value_kind:     hidden_group_size_y
      - .offset:         144
        .size:           2
        .value_kind:     hidden_group_size_z
      - .offset:         146
        .size:           2
        .value_kind:     hidden_remainder_x
      - .offset:         148
        .size:           2
        .value_kind:     hidden_remainder_y
      - .offset:         150
        .size:           2
        .value_kind:     hidden_remainder_z
      - .offset:         168
        .size:           8
        .value_kind:     hidden_global_offset_x
      - .offset:         176
        .size:           8
        .value_kind:     hidden_global_offset_y
      - .offset:         184
        .size:           8
        .value_kind:     hidden_global_offset_z
      - .offset:         192
        .size:           2
        .value_kind:     hidden_grid_dims
      - .offset:         248
        .size:           4
        .value_kind:     hidden_dynamic_lds_size
    .group_segment_fixed_size: 192
    .kernarg_segment_align: 8
    .kernarg_segment_size: 384
    .language:       OpenCL C
    .language_version:
      - 2
      - 0
    .max_flat_workgroup_size: 1024
    .name:           _ZN4vllm25paged_attention_v1_kernelIthLi80ELi8ELi128ELNS_18Fp8KVCacheDataTypeE1ELb1EEEvPT_PKS2_PKT0_S8_ifPKiSA_iPKfiiiSC_SC_iiiii
    .private_segment_fixed_size: 0
    .sgpr_count:     46
    .sgpr_spill_count: 0
    .symbol:         _ZN4vllm25paged_attention_v1_kernelIthLi80ELi8ELi128ELNS_18Fp8KVCacheDataTypeE1ELb1EEEvPT_PKS2_PKT0_S8_ifPKiSA_iPKfiiiSC_SC_iiiii.kd
    .uniform_work_group_size: 1
    .uses_dynamic_stack: false
    .vgpr_count:     62
    .vgpr_spill_count: 0
    .wavefront_size: 32
    .workgroup_processor_mode: 1
  - .args:
      - .actual_access:  write_only
        .address_space:  global
        .offset:         0
        .size:           8
        .value_kind:     global_buffer
      - .actual_access:  read_only
        .address_space:  global
        .offset:         8
        .size:           8
        .value_kind:     global_buffer
      - .actual_access:  read_only
        .address_space:  global
        .offset:         16
        .size:           8
        .value_kind:     global_buffer
      - .actual_access:  read_only
        .address_space:  global
        .offset:         24
        .size:           8
        .value_kind:     global_buffer
      - .offset:         32
        .size:           4
        .value_kind:     by_value
      - .offset:         36
        .size:           4
        .value_kind:     by_value
      - .actual_access:  read_only
        .address_space:  global
        .offset:         40
        .size:           8
        .value_kind:     global_buffer
      - .actual_access:  read_only
        .address_space:  global
        .offset:         48
        .size:           8
        .value_kind:     global_buffer
      - .offset:         56
        .size:           4
        .value_kind:     by_value
      - .actual_access:  read_only
        .address_space:  global
        .offset:         64
        .size:           8
        .value_kind:     global_buffer
      - .offset:         72
        .size:           4
        .value_kind:     by_value
      - .offset:         76
        .size:           4
        .value_kind:     by_value
      - .offset:         80
        .size:           4
        .value_kind:     by_value
      - .address_space:  global
        .offset:         88
        .size:           8
        .value_kind:     global_buffer
      - .address_space:  global
        .offset:         96
        .size:           8
        .value_kind:     global_buffer
      - .offset:         104
        .size:           4
        .value_kind:     by_value
      - .offset:         108
        .size:           4
        .value_kind:     by_value
      - .offset:         112
        .size:           4
        .value_kind:     by_value
      - .offset:         116
        .size:           4
        .value_kind:     by_value
      - .offset:         120
        .size:           4
        .value_kind:     by_value
      - .offset:         128
        .size:           4
        .value_kind:     hidden_block_count_x
      - .offset:         132
        .size:           4
        .value_kind:     hidden_block_count_y
      - .offset:         136
        .size:           4
        .value_kind:     hidden_block_count_z
      - .offset:         140
        .size:           2
        .value_kind:     hidden_group_size_x
      - .offset:         142
        .size:           2
        .value_kind:     hidden_group_size_y
      - .offset:         144
        .size:           2
        .value_kind:     hidden_group_size_z
      - .offset:         146
        .size:           2
        .value_kind:     hidden_remainder_x
      - .offset:         148
        .size:           2
        .value_kind:     hidden_remainder_y
      - .offset:         150
        .size:           2
        .value_kind:     hidden_remainder_z
      - .offset:         168
        .size:           8
        .value_kind:     hidden_global_offset_x
      - .offset:         176
        .size:           8
        .value_kind:     hidden_global_offset_y
      - .offset:         184
        .size:           8
        .value_kind:     hidden_global_offset_z
      - .offset:         192
        .size:           2
        .value_kind:     hidden_grid_dims
      - .offset:         248
        .size:           4
        .value_kind:     hidden_dynamic_lds_size
    .group_segment_fixed_size: 224
    .kernarg_segment_align: 8
    .kernarg_segment_size: 384
    .language:       OpenCL C
    .language_version:
      - 2
      - 0
    .max_flat_workgroup_size: 1024
    .name:           _ZN4vllm25paged_attention_v1_kernelIthLi96ELi8ELi128ELNS_18Fp8KVCacheDataTypeE1ELb1EEEvPT_PKS2_PKT0_S8_ifPKiSA_iPKfiiiSC_SC_iiiii
    .private_segment_fixed_size: 0
    .sgpr_count:     46
    .sgpr_spill_count: 0
    .symbol:         _ZN4vllm25paged_attention_v1_kernelIthLi96ELi8ELi128ELNS_18Fp8KVCacheDataTypeE1ELb1EEEvPT_PKS2_PKT0_S8_ifPKiSA_iPKfiiiSC_SC_iiiii.kd
    .uniform_work_group_size: 1
    .uses_dynamic_stack: false
    .vgpr_count:     69
    .vgpr_spill_count: 0
    .wavefront_size: 32
    .workgroup_processor_mode: 1
  - .args:
      - .actual_access:  write_only
        .address_space:  global
        .offset:         0
        .size:           8
        .value_kind:     global_buffer
      - .actual_access:  read_only
        .address_space:  global
        .offset:         8
        .size:           8
        .value_kind:     global_buffer
      - .actual_access:  read_only
        .address_space:  global
        .offset:         16
        .size:           8
        .value_kind:     global_buffer
      - .actual_access:  read_only
        .address_space:  global
        .offset:         24
        .size:           8
        .value_kind:     global_buffer
      - .offset:         32
        .size:           4
        .value_kind:     by_value
      - .offset:         36
        .size:           4
        .value_kind:     by_value
      - .actual_access:  read_only
        .address_space:  global
        .offset:         40
        .size:           8
        .value_kind:     global_buffer
      - .actual_access:  read_only
        .address_space:  global
        .offset:         48
        .size:           8
        .value_kind:     global_buffer
      - .offset:         56
        .size:           4
        .value_kind:     by_value
      - .actual_access:  read_only
        .address_space:  global
        .offset:         64
        .size:           8
        .value_kind:     global_buffer
      - .offset:         72
        .size:           4
        .value_kind:     by_value
      - .offset:         76
        .size:           4
        .value_kind:     by_value
      - .offset:         80
        .size:           4
        .value_kind:     by_value
      - .address_space:  global
        .offset:         88
        .size:           8
        .value_kind:     global_buffer
      - .address_space:  global
        .offset:         96
        .size:           8
        .value_kind:     global_buffer
      - .offset:         104
        .size:           4
        .value_kind:     by_value
      - .offset:         108
        .size:           4
        .value_kind:     by_value
      - .offset:         112
        .size:           4
        .value_kind:     by_value
      - .offset:         116
        .size:           4
        .value_kind:     by_value
      - .offset:         120
        .size:           4
        .value_kind:     by_value
      - .offset:         128
        .size:           4
        .value_kind:     hidden_block_count_x
      - .offset:         132
        .size:           4
        .value_kind:     hidden_block_count_y
      - .offset:         136
        .size:           4
        .value_kind:     hidden_block_count_z
      - .offset:         140
        .size:           2
        .value_kind:     hidden_group_size_x
      - .offset:         142
        .size:           2
        .value_kind:     hidden_group_size_y
      - .offset:         144
        .size:           2
        .value_kind:     hidden_group_size_z
      - .offset:         146
        .size:           2
        .value_kind:     hidden_remainder_x
      - .offset:         148
        .size:           2
        .value_kind:     hidden_remainder_y
      - .offset:         150
        .size:           2
        .value_kind:     hidden_remainder_z
      - .offset:         168
        .size:           8
        .value_kind:     hidden_global_offset_x
      - .offset:         176
        .size:           8
        .value_kind:     hidden_global_offset_y
      - .offset:         184
        .size:           8
        .value_kind:     hidden_global_offset_z
      - .offset:         192
        .size:           2
        .value_kind:     hidden_grid_dims
      - .offset:         248
        .size:           4
        .value_kind:     hidden_dynamic_lds_size
    .group_segment_fixed_size: 256
    .kernarg_segment_align: 8
    .kernarg_segment_size: 384
    .language:       OpenCL C
    .language_version:
      - 2
      - 0
    .max_flat_workgroup_size: 1024
    .name:           _ZN4vllm25paged_attention_v1_kernelIthLi112ELi8ELi128ELNS_18Fp8KVCacheDataTypeE1ELb1EEEvPT_PKS2_PKT0_S8_ifPKiSA_iPKfiiiSC_SC_iiiii
    .private_segment_fixed_size: 0
    .sgpr_count:     46
    .sgpr_spill_count: 0
    .symbol:         _ZN4vllm25paged_attention_v1_kernelIthLi112ELi8ELi128ELNS_18Fp8KVCacheDataTypeE1ELb1EEEvPT_PKS2_PKT0_S8_ifPKiSA_iPKfiiiSC_SC_iiiii.kd
    .uniform_work_group_size: 1
    .uses_dynamic_stack: false
    .vgpr_count:     76
    .vgpr_spill_count: 0
    .wavefront_size: 32
    .workgroup_processor_mode: 1
  - .args:
      - .actual_access:  write_only
        .address_space:  global
        .offset:         0
        .size:           8
        .value_kind:     global_buffer
      - .actual_access:  read_only
        .address_space:  global
        .offset:         8
        .size:           8
        .value_kind:     global_buffer
      - .actual_access:  read_only
        .address_space:  global
        .offset:         16
        .size:           8
        .value_kind:     global_buffer
      - .actual_access:  read_only
        .address_space:  global
        .offset:         24
        .size:           8
        .value_kind:     global_buffer
      - .offset:         32
        .size:           4
        .value_kind:     by_value
      - .offset:         36
        .size:           4
        .value_kind:     by_value
      - .actual_access:  read_only
        .address_space:  global
        .offset:         40
        .size:           8
        .value_kind:     global_buffer
      - .actual_access:  read_only
        .address_space:  global
        .offset:         48
        .size:           8
        .value_kind:     global_buffer
      - .offset:         56
        .size:           4
        .value_kind:     by_value
      - .actual_access:  read_only
        .address_space:  global
        .offset:         64
        .size:           8
        .value_kind:     global_buffer
      - .offset:         72
        .size:           4
        .value_kind:     by_value
      - .offset:         76
        .size:           4
        .value_kind:     by_value
      - .offset:         80
        .size:           4
        .value_kind:     by_value
      - .address_space:  global
        .offset:         88
        .size:           8
        .value_kind:     global_buffer
      - .address_space:  global
        .offset:         96
        .size:           8
        .value_kind:     global_buffer
      - .offset:         104
        .size:           4
        .value_kind:     by_value
      - .offset:         108
        .size:           4
        .value_kind:     by_value
      - .offset:         112
        .size:           4
        .value_kind:     by_value
      - .offset:         116
        .size:           4
        .value_kind:     by_value
      - .offset:         120
        .size:           4
        .value_kind:     by_value
      - .offset:         128
        .size:           4
        .value_kind:     hidden_block_count_x
      - .offset:         132
        .size:           4
        .value_kind:     hidden_block_count_y
      - .offset:         136
        .size:           4
        .value_kind:     hidden_block_count_z
      - .offset:         140
        .size:           2
        .value_kind:     hidden_group_size_x
      - .offset:         142
        .size:           2
        .value_kind:     hidden_group_size_y
      - .offset:         144
        .size:           2
        .value_kind:     hidden_group_size_z
      - .offset:         146
        .size:           2
        .value_kind:     hidden_remainder_x
      - .offset:         148
        .size:           2
        .value_kind:     hidden_remainder_y
      - .offset:         150
        .size:           2
        .value_kind:     hidden_remainder_z
      - .offset:         168
        .size:           8
        .value_kind:     hidden_global_offset_x
      - .offset:         176
        .size:           8
        .value_kind:     hidden_global_offset_y
      - .offset:         184
        .size:           8
        .value_kind:     hidden_global_offset_z
      - .offset:         192
        .size:           2
        .value_kind:     hidden_grid_dims
      - .offset:         248
        .size:           4
        .value_kind:     hidden_dynamic_lds_size
    .group_segment_fixed_size: 272
    .kernarg_segment_align: 8
    .kernarg_segment_size: 384
    .language:       OpenCL C
    .language_version:
      - 2
      - 0
    .max_flat_workgroup_size: 1024
    .name:           _ZN4vllm25paged_attention_v1_kernelIthLi120ELi8ELi128ELNS_18Fp8KVCacheDataTypeE1ELb1EEEvPT_PKS2_PKT0_S8_ifPKiSA_iPKfiiiSC_SC_iiiii
    .private_segment_fixed_size: 0
    .sgpr_count:     46
    .sgpr_spill_count: 0
    .symbol:         _ZN4vllm25paged_attention_v1_kernelIthLi120ELi8ELi128ELNS_18Fp8KVCacheDataTypeE1ELb1EEEvPT_PKS2_PKT0_S8_ifPKiSA_iPKfiiiSC_SC_iiiii.kd
    .uniform_work_group_size: 1
    .uses_dynamic_stack: false
    .vgpr_count:     80
    .vgpr_spill_count: 0
    .wavefront_size: 32
    .workgroup_processor_mode: 1
  - .args:
      - .actual_access:  write_only
        .address_space:  global
        .offset:         0
        .size:           8
        .value_kind:     global_buffer
      - .actual_access:  read_only
        .address_space:  global
        .offset:         8
        .size:           8
        .value_kind:     global_buffer
      - .actual_access:  read_only
        .address_space:  global
        .offset:         16
        .size:           8
        .value_kind:     global_buffer
      - .actual_access:  read_only
        .address_space:  global
        .offset:         24
        .size:           8
        .value_kind:     global_buffer
      - .offset:         32
        .size:           4
        .value_kind:     by_value
      - .offset:         36
        .size:           4
        .value_kind:     by_value
      - .actual_access:  read_only
        .address_space:  global
        .offset:         40
        .size:           8
        .value_kind:     global_buffer
      - .actual_access:  read_only
        .address_space:  global
        .offset:         48
        .size:           8
        .value_kind:     global_buffer
      - .offset:         56
        .size:           4
        .value_kind:     by_value
      - .actual_access:  read_only
        .address_space:  global
        .offset:         64
        .size:           8
        .value_kind:     global_buffer
      - .offset:         72
        .size:           4
        .value_kind:     by_value
      - .offset:         76
        .size:           4
        .value_kind:     by_value
      - .offset:         80
        .size:           4
        .value_kind:     by_value
      - .address_space:  global
        .offset:         88
        .size:           8
        .value_kind:     global_buffer
      - .address_space:  global
        .offset:         96
        .size:           8
        .value_kind:     global_buffer
      - .offset:         104
        .size:           4
        .value_kind:     by_value
      - .offset:         108
        .size:           4
        .value_kind:     by_value
      - .offset:         112
        .size:           4
        .value_kind:     by_value
      - .offset:         116
        .size:           4
        .value_kind:     by_value
      - .offset:         120
        .size:           4
        .value_kind:     by_value
      - .offset:         128
        .size:           4
        .value_kind:     hidden_block_count_x
      - .offset:         132
        .size:           4
        .value_kind:     hidden_block_count_y
      - .offset:         136
        .size:           4
        .value_kind:     hidden_block_count_z
      - .offset:         140
        .size:           2
        .value_kind:     hidden_group_size_x
      - .offset:         142
        .size:           2
        .value_kind:     hidden_group_size_y
      - .offset:         144
        .size:           2
        .value_kind:     hidden_group_size_z
      - .offset:         146
        .size:           2
        .value_kind:     hidden_remainder_x
      - .offset:         148
        .size:           2
        .value_kind:     hidden_remainder_y
      - .offset:         150
        .size:           2
        .value_kind:     hidden_remainder_z
      - .offset:         168
        .size:           8
        .value_kind:     hidden_global_offset_x
      - .offset:         176
        .size:           8
        .value_kind:     hidden_global_offset_y
      - .offset:         184
        .size:           8
        .value_kind:     hidden_global_offset_z
      - .offset:         192
        .size:           2
        .value_kind:     hidden_grid_dims
      - .offset:         248
        .size:           4
        .value_kind:     hidden_dynamic_lds_size
    .group_segment_fixed_size: 288
    .kernarg_segment_align: 8
    .kernarg_segment_size: 384
    .language:       OpenCL C
    .language_version:
      - 2
      - 0
    .max_flat_workgroup_size: 1024
    .name:           _ZN4vllm25paged_attention_v1_kernelIthLi128ELi8ELi128ELNS_18Fp8KVCacheDataTypeE1ELb1EEEvPT_PKS2_PKT0_S8_ifPKiSA_iPKfiiiSC_SC_iiiii
    .private_segment_fixed_size: 0
    .sgpr_count:     47
    .sgpr_spill_count: 0
    .symbol:         _ZN4vllm25paged_attention_v1_kernelIthLi128ELi8ELi128ELNS_18Fp8KVCacheDataTypeE1ELb1EEEvPT_PKS2_PKT0_S8_ifPKiSA_iPKfiiiSC_SC_iiiii.kd
    .uniform_work_group_size: 1
    .uses_dynamic_stack: false
    .vgpr_count:     84
    .vgpr_spill_count: 0
    .wavefront_size: 32
    .workgroup_processor_mode: 1
  - .args:
      - .actual_access:  write_only
        .address_space:  global
        .offset:         0
        .size:           8
        .value_kind:     global_buffer
      - .actual_access:  read_only
        .address_space:  global
        .offset:         8
        .size:           8
        .value_kind:     global_buffer
      - .actual_access:  read_only
        .address_space:  global
        .offset:         16
        .size:           8
        .value_kind:     global_buffer
      - .actual_access:  read_only
        .address_space:  global
        .offset:         24
        .size:           8
        .value_kind:     global_buffer
      - .offset:         32
        .size:           4
        .value_kind:     by_value
      - .offset:         36
        .size:           4
        .value_kind:     by_value
      - .actual_access:  read_only
        .address_space:  global
        .offset:         40
        .size:           8
        .value_kind:     global_buffer
      - .actual_access:  read_only
        .address_space:  global
        .offset:         48
        .size:           8
        .value_kind:     global_buffer
      - .offset:         56
        .size:           4
        .value_kind:     by_value
      - .actual_access:  read_only
        .address_space:  global
        .offset:         64
        .size:           8
        .value_kind:     global_buffer
      - .offset:         72
        .size:           4
        .value_kind:     by_value
      - .offset:         76
        .size:           4
        .value_kind:     by_value
      - .offset:         80
        .size:           4
        .value_kind:     by_value
      - .address_space:  global
        .offset:         88
        .size:           8
        .value_kind:     global_buffer
      - .address_space:  global
        .offset:         96
        .size:           8
        .value_kind:     global_buffer
      - .offset:         104
        .size:           4
        .value_kind:     by_value
      - .offset:         108
        .size:           4
        .value_kind:     by_value
      - .offset:         112
        .size:           4
        .value_kind:     by_value
      - .offset:         116
        .size:           4
        .value_kind:     by_value
      - .offset:         120
        .size:           4
        .value_kind:     by_value
      - .offset:         128
        .size:           4
        .value_kind:     hidden_block_count_x
      - .offset:         132
        .size:           4
        .value_kind:     hidden_block_count_y
      - .offset:         136
        .size:           4
        .value_kind:     hidden_block_count_z
      - .offset:         140
        .size:           2
        .value_kind:     hidden_group_size_x
      - .offset:         142
        .size:           2
        .value_kind:     hidden_group_size_y
      - .offset:         144
        .size:           2
        .value_kind:     hidden_group_size_z
      - .offset:         146
        .size:           2
        .value_kind:     hidden_remainder_x
      - .offset:         148
        .size:           2
        .value_kind:     hidden_remainder_y
      - .offset:         150
        .size:           2
        .value_kind:     hidden_remainder_z
      - .offset:         168
        .size:           8
        .value_kind:     hidden_global_offset_x
      - .offset:         176
        .size:           8
        .value_kind:     hidden_global_offset_y
      - .offset:         184
        .size:           8
        .value_kind:     hidden_global_offset_z
      - .offset:         192
        .size:           2
        .value_kind:     hidden_grid_dims
      - .offset:         248
        .size:           4
        .value_kind:     hidden_dynamic_lds_size
    .group_segment_fixed_size: 416
    .kernarg_segment_align: 8
    .kernarg_segment_size: 384
    .language:       OpenCL C
    .language_version:
      - 2
      - 0
    .max_flat_workgroup_size: 1024
    .name:           _ZN4vllm25paged_attention_v1_kernelIthLi192ELi8ELi128ELNS_18Fp8KVCacheDataTypeE1ELb1EEEvPT_PKS2_PKT0_S8_ifPKiSA_iPKfiiiSC_SC_iiiii
    .private_segment_fixed_size: 0
    .sgpr_count:     46
    .sgpr_spill_count: 0
    .symbol:         _ZN4vllm25paged_attention_v1_kernelIthLi192ELi8ELi128ELNS_18Fp8KVCacheDataTypeE1ELb1EEEvPT_PKS2_PKT0_S8_ifPKiSA_iPKfiiiSC_SC_iiiii.kd
    .uniform_work_group_size: 1
    .uses_dynamic_stack: false
    .vgpr_count:     112
    .vgpr_spill_count: 0
    .wavefront_size: 32
    .workgroup_processor_mode: 1
  - .args:
      - .actual_access:  write_only
        .address_space:  global
        .offset:         0
        .size:           8
        .value_kind:     global_buffer
      - .actual_access:  read_only
        .address_space:  global
        .offset:         8
        .size:           8
        .value_kind:     global_buffer
      - .actual_access:  read_only
        .address_space:  global
        .offset:         16
        .size:           8
        .value_kind:     global_buffer
      - .actual_access:  read_only
        .address_space:  global
        .offset:         24
        .size:           8
        .value_kind:     global_buffer
      - .offset:         32
        .size:           4
        .value_kind:     by_value
      - .offset:         36
        .size:           4
        .value_kind:     by_value
      - .actual_access:  read_only
        .address_space:  global
        .offset:         40
        .size:           8
        .value_kind:     global_buffer
      - .actual_access:  read_only
        .address_space:  global
        .offset:         48
        .size:           8
        .value_kind:     global_buffer
      - .offset:         56
        .size:           4
        .value_kind:     by_value
      - .actual_access:  read_only
        .address_space:  global
        .offset:         64
        .size:           8
        .value_kind:     global_buffer
      - .offset:         72
        .size:           4
        .value_kind:     by_value
      - .offset:         76
        .size:           4
        .value_kind:     by_value
      - .offset:         80
        .size:           4
        .value_kind:     by_value
      - .address_space:  global
        .offset:         88
        .size:           8
        .value_kind:     global_buffer
      - .address_space:  global
        .offset:         96
        .size:           8
        .value_kind:     global_buffer
      - .offset:         104
        .size:           4
        .value_kind:     by_value
      - .offset:         108
        .size:           4
        .value_kind:     by_value
      - .offset:         112
        .size:           4
        .value_kind:     by_value
      - .offset:         116
        .size:           4
        .value_kind:     by_value
      - .offset:         120
        .size:           4
        .value_kind:     by_value
      - .offset:         128
        .size:           4
        .value_kind:     hidden_block_count_x
      - .offset:         132
        .size:           4
        .value_kind:     hidden_block_count_y
      - .offset:         136
        .size:           4
        .value_kind:     hidden_block_count_z
      - .offset:         140
        .size:           2
        .value_kind:     hidden_group_size_x
      - .offset:         142
        .size:           2
        .value_kind:     hidden_group_size_y
      - .offset:         144
        .size:           2
        .value_kind:     hidden_group_size_z
      - .offset:         146
        .size:           2
        .value_kind:     hidden_remainder_x
      - .offset:         148
        .size:           2
        .value_kind:     hidden_remainder_y
      - .offset:         150
        .size:           2
        .value_kind:     hidden_remainder_z
      - .offset:         168
        .size:           8
        .value_kind:     hidden_global_offset_x
      - .offset:         176
        .size:           8
        .value_kind:     hidden_global_offset_y
      - .offset:         184
        .size:           8
        .value_kind:     hidden_global_offset_z
      - .offset:         192
        .size:           2
        .value_kind:     hidden_grid_dims
      - .offset:         248
        .size:           4
        .value_kind:     hidden_dynamic_lds_size
    .group_segment_fixed_size: 544
    .kernarg_segment_align: 8
    .kernarg_segment_size: 384
    .language:       OpenCL C
    .language_version:
      - 2
      - 0
    .max_flat_workgroup_size: 1024
    .name:           _ZN4vllm25paged_attention_v1_kernelIthLi256ELi8ELi128ELNS_18Fp8KVCacheDataTypeE1ELb1EEEvPT_PKS2_PKT0_S8_ifPKiSA_iPKfiiiSC_SC_iiiii
    .private_segment_fixed_size: 0
    .sgpr_count:     46
    .sgpr_spill_count: 0
    .symbol:         _ZN4vllm25paged_attention_v1_kernelIthLi256ELi8ELi128ELNS_18Fp8KVCacheDataTypeE1ELb1EEEvPT_PKS2_PKT0_S8_ifPKiSA_iPKfiiiSC_SC_iiiii.kd
    .uniform_work_group_size: 1
    .uses_dynamic_stack: false
    .vgpr_count:     124
    .vgpr_spill_count: 0
    .wavefront_size: 32
    .workgroup_processor_mode: 1
  - .args:
      - .actual_access:  write_only
        .address_space:  global
        .offset:         0
        .size:           8
        .value_kind:     global_buffer
      - .actual_access:  read_only
        .address_space:  global
        .offset:         8
        .size:           8
        .value_kind:     global_buffer
      - .actual_access:  read_only
        .address_space:  global
        .offset:         16
        .size:           8
        .value_kind:     global_buffer
      - .actual_access:  read_only
        .address_space:  global
        .offset:         24
        .size:           8
        .value_kind:     global_buffer
      - .offset:         32
        .size:           4
        .value_kind:     by_value
      - .offset:         36
        .size:           4
        .value_kind:     by_value
      - .actual_access:  read_only
        .address_space:  global
        .offset:         40
        .size:           8
        .value_kind:     global_buffer
      - .actual_access:  read_only
        .address_space:  global
        .offset:         48
        .size:           8
        .value_kind:     global_buffer
      - .offset:         56
        .size:           4
        .value_kind:     by_value
      - .actual_access:  read_only
        .address_space:  global
        .offset:         64
        .size:           8
        .value_kind:     global_buffer
      - .offset:         72
        .size:           4
        .value_kind:     by_value
      - .offset:         76
        .size:           4
        .value_kind:     by_value
      - .offset:         80
        .size:           4
        .value_kind:     by_value
      - .address_space:  global
        .offset:         88
        .size:           8
        .value_kind:     global_buffer
      - .address_space:  global
        .offset:         96
        .size:           8
        .value_kind:     global_buffer
      - .offset:         104
        .size:           4
        .value_kind:     by_value
      - .offset:         108
        .size:           4
        .value_kind:     by_value
      - .offset:         112
        .size:           4
        .value_kind:     by_value
      - .offset:         116
        .size:           4
        .value_kind:     by_value
      - .offset:         120
        .size:           4
        .value_kind:     by_value
      - .offset:         128
        .size:           4
        .value_kind:     hidden_block_count_x
      - .offset:         132
        .size:           4
        .value_kind:     hidden_block_count_y
      - .offset:         136
        .size:           4
        .value_kind:     hidden_block_count_z
      - .offset:         140
        .size:           2
        .value_kind:     hidden_group_size_x
      - .offset:         142
        .size:           2
        .value_kind:     hidden_group_size_y
      - .offset:         144
        .size:           2
        .value_kind:     hidden_group_size_z
      - .offset:         146
        .size:           2
        .value_kind:     hidden_remainder_x
      - .offset:         148
        .size:           2
        .value_kind:     hidden_remainder_y
      - .offset:         150
        .size:           2
        .value_kind:     hidden_remainder_z
      - .offset:         168
        .size:           8
        .value_kind:     hidden_global_offset_x
      - .offset:         176
        .size:           8
        .value_kind:     hidden_global_offset_y
      - .offset:         184
        .size:           8
        .value_kind:     hidden_global_offset_z
      - .offset:         192
        .size:           2
        .value_kind:     hidden_grid_dims
      - .offset:         248
        .size:           4
        .value_kind:     hidden_dynamic_lds_size
    .group_segment_fixed_size: 96
    .kernarg_segment_align: 8
    .kernarg_segment_size: 384
    .language:       OpenCL C
    .language_version:
      - 2
      - 0
    .max_flat_workgroup_size: 1024
    .name:           _ZN4vllm25paged_attention_v1_kernelIthLi32ELi8ELi128ELNS_18Fp8KVCacheDataTypeE1ELb0EEEvPT_PKS2_PKT0_S8_ifPKiSA_iPKfiiiSC_SC_iiiii
    .private_segment_fixed_size: 0
    .sgpr_count:     37
    .sgpr_spill_count: 0
    .symbol:         _ZN4vllm25paged_attention_v1_kernelIthLi32ELi8ELi128ELNS_18Fp8KVCacheDataTypeE1ELb0EEEvPT_PKS2_PKT0_S8_ifPKiSA_iPKfiiiSC_SC_iiiii.kd
    .uniform_work_group_size: 1
    .uses_dynamic_stack: false
    .vgpr_count:     41
    .vgpr_spill_count: 0
    .wavefront_size: 32
    .workgroup_processor_mode: 1
  - .args:
      - .actual_access:  write_only
        .address_space:  global
        .offset:         0
        .size:           8
        .value_kind:     global_buffer
      - .actual_access:  read_only
        .address_space:  global
        .offset:         8
        .size:           8
        .value_kind:     global_buffer
      - .actual_access:  read_only
        .address_space:  global
        .offset:         16
        .size:           8
        .value_kind:     global_buffer
      - .actual_access:  read_only
        .address_space:  global
        .offset:         24
        .size:           8
        .value_kind:     global_buffer
      - .offset:         32
        .size:           4
        .value_kind:     by_value
      - .offset:         36
        .size:           4
        .value_kind:     by_value
      - .actual_access:  read_only
        .address_space:  global
        .offset:         40
        .size:           8
        .value_kind:     global_buffer
      - .actual_access:  read_only
        .address_space:  global
        .offset:         48
        .size:           8
        .value_kind:     global_buffer
      - .offset:         56
        .size:           4
        .value_kind:     by_value
      - .actual_access:  read_only
        .address_space:  global
        .offset:         64
        .size:           8
        .value_kind:     global_buffer
      - .offset:         72
        .size:           4
        .value_kind:     by_value
      - .offset:         76
        .size:           4
        .value_kind:     by_value
      - .offset:         80
        .size:           4
        .value_kind:     by_value
      - .address_space:  global
        .offset:         88
        .size:           8
        .value_kind:     global_buffer
      - .address_space:  global
        .offset:         96
        .size:           8
        .value_kind:     global_buffer
      - .offset:         104
        .size:           4
        .value_kind:     by_value
      - .offset:         108
        .size:           4
        .value_kind:     by_value
      - .offset:         112
        .size:           4
        .value_kind:     by_value
      - .offset:         116
        .size:           4
        .value_kind:     by_value
      - .offset:         120
        .size:           4
        .value_kind:     by_value
      - .offset:         128
        .size:           4
        .value_kind:     hidden_block_count_x
      - .offset:         132
        .size:           4
        .value_kind:     hidden_block_count_y
      - .offset:         136
        .size:           4
        .value_kind:     hidden_block_count_z
      - .offset:         140
        .size:           2
        .value_kind:     hidden_group_size_x
      - .offset:         142
        .size:           2
        .value_kind:     hidden_group_size_y
      - .offset:         144
        .size:           2
        .value_kind:     hidden_group_size_z
      - .offset:         146
        .size:           2
        .value_kind:     hidden_remainder_x
      - .offset:         148
        .size:           2
        .value_kind:     hidden_remainder_y
      - .offset:         150
        .size:           2
        .value_kind:     hidden_remainder_z
      - .offset:         168
        .size:           8
        .value_kind:     hidden_global_offset_x
      - .offset:         176
        .size:           8
        .value_kind:     hidden_global_offset_y
      - .offset:         184
        .size:           8
        .value_kind:     hidden_global_offset_z
      - .offset:         192
        .size:           2
        .value_kind:     hidden_grid_dims
      - .offset:         248
        .size:           4
        .value_kind:     hidden_dynamic_lds_size
    .group_segment_fixed_size: 160
    .kernarg_segment_align: 8
    .kernarg_segment_size: 384
    .language:       OpenCL C
    .language_version:
      - 2
      - 0
    .max_flat_workgroup_size: 1024
    .name:           _ZN4vllm25paged_attention_v1_kernelIthLi64ELi8ELi128ELNS_18Fp8KVCacheDataTypeE1ELb0EEEvPT_PKS2_PKT0_S8_ifPKiSA_iPKfiiiSC_SC_iiiii
    .private_segment_fixed_size: 0
    .sgpr_count:     38
    .sgpr_spill_count: 0
    .symbol:         _ZN4vllm25paged_attention_v1_kernelIthLi64ELi8ELi128ELNS_18Fp8KVCacheDataTypeE1ELb0EEEvPT_PKS2_PKT0_S8_ifPKiSA_iPKfiiiSC_SC_iiiii.kd
    .uniform_work_group_size: 1
    .uses_dynamic_stack: false
    .vgpr_count:     50
    .vgpr_spill_count: 0
    .wavefront_size: 32
    .workgroup_processor_mode: 1
  - .args:
      - .actual_access:  write_only
        .address_space:  global
        .offset:         0
        .size:           8
        .value_kind:     global_buffer
      - .actual_access:  read_only
        .address_space:  global
        .offset:         8
        .size:           8
        .value_kind:     global_buffer
      - .actual_access:  read_only
        .address_space:  global
        .offset:         16
        .size:           8
        .value_kind:     global_buffer
      - .actual_access:  read_only
        .address_space:  global
        .offset:         24
        .size:           8
        .value_kind:     global_buffer
      - .offset:         32
        .size:           4
        .value_kind:     by_value
      - .offset:         36
        .size:           4
        .value_kind:     by_value
      - .actual_access:  read_only
        .address_space:  global
        .offset:         40
        .size:           8
        .value_kind:     global_buffer
      - .actual_access:  read_only
        .address_space:  global
        .offset:         48
        .size:           8
        .value_kind:     global_buffer
      - .offset:         56
        .size:           4
        .value_kind:     by_value
      - .actual_access:  read_only
        .address_space:  global
        .offset:         64
        .size:           8
        .value_kind:     global_buffer
      - .offset:         72
        .size:           4
        .value_kind:     by_value
      - .offset:         76
        .size:           4
        .value_kind:     by_value
      - .offset:         80
        .size:           4
        .value_kind:     by_value
      - .address_space:  global
        .offset:         88
        .size:           8
        .value_kind:     global_buffer
      - .address_space:  global
        .offset:         96
        .size:           8
        .value_kind:     global_buffer
      - .offset:         104
        .size:           4
        .value_kind:     by_value
      - .offset:         108
        .size:           4
        .value_kind:     by_value
      - .offset:         112
        .size:           4
        .value_kind:     by_value
      - .offset:         116
        .size:           4
        .value_kind:     by_value
      - .offset:         120
        .size:           4
        .value_kind:     by_value
      - .offset:         128
        .size:           4
        .value_kind:     hidden_block_count_x
      - .offset:         132
        .size:           4
        .value_kind:     hidden_block_count_y
      - .offset:         136
        .size:           4
        .value_kind:     hidden_block_count_z
      - .offset:         140
        .size:           2
        .value_kind:     hidden_group_size_x
      - .offset:         142
        .size:           2
        .value_kind:     hidden_group_size_y
      - .offset:         144
        .size:           2
        .value_kind:     hidden_group_size_z
      - .offset:         146
        .size:           2
        .value_kind:     hidden_remainder_x
      - .offset:         148
        .size:           2
        .value_kind:     hidden_remainder_y
      - .offset:         150
        .size:           2
        .value_kind:     hidden_remainder_z
      - .offset:         168
        .size:           8
        .value_kind:     hidden_global_offset_x
      - .offset:         176
        .size:           8
        .value_kind:     hidden_global_offset_y
      - .offset:         184
        .size:           8
        .value_kind:     hidden_global_offset_z
      - .offset:         192
        .size:           2
        .value_kind:     hidden_grid_dims
      - .offset:         248
        .size:           4
        .value_kind:     hidden_dynamic_lds_size
    .group_segment_fixed_size: 192
    .kernarg_segment_align: 8
    .kernarg_segment_size: 384
    .language:       OpenCL C
    .language_version:
      - 2
      - 0
    .max_flat_workgroup_size: 1024
    .name:           _ZN4vllm25paged_attention_v1_kernelIthLi80ELi8ELi128ELNS_18Fp8KVCacheDataTypeE1ELb0EEEvPT_PKS2_PKT0_S8_ifPKiSA_iPKfiiiSC_SC_iiiii
    .private_segment_fixed_size: 0
    .sgpr_count:     37
    .sgpr_spill_count: 0
    .symbol:         _ZN4vllm25paged_attention_v1_kernelIthLi80ELi8ELi128ELNS_18Fp8KVCacheDataTypeE1ELb0EEEvPT_PKS2_PKT0_S8_ifPKiSA_iPKfiiiSC_SC_iiiii.kd
    .uniform_work_group_size: 1
    .uses_dynamic_stack: false
    .vgpr_count:     58
    .vgpr_spill_count: 0
    .wavefront_size: 32
    .workgroup_processor_mode: 1
  - .args:
      - .actual_access:  write_only
        .address_space:  global
        .offset:         0
        .size:           8
        .value_kind:     global_buffer
      - .actual_access:  read_only
        .address_space:  global
        .offset:         8
        .size:           8
        .value_kind:     global_buffer
      - .actual_access:  read_only
        .address_space:  global
        .offset:         16
        .size:           8
        .value_kind:     global_buffer
      - .actual_access:  read_only
        .address_space:  global
        .offset:         24
        .size:           8
        .value_kind:     global_buffer
      - .offset:         32
        .size:           4
        .value_kind:     by_value
      - .offset:         36
        .size:           4
        .value_kind:     by_value
      - .actual_access:  read_only
        .address_space:  global
        .offset:         40
        .size:           8
        .value_kind:     global_buffer
      - .actual_access:  read_only
        .address_space:  global
        .offset:         48
        .size:           8
        .value_kind:     global_buffer
      - .offset:         56
        .size:           4
        .value_kind:     by_value
      - .actual_access:  read_only
        .address_space:  global
        .offset:         64
        .size:           8
        .value_kind:     global_buffer
      - .offset:         72
        .size:           4
        .value_kind:     by_value
      - .offset:         76
        .size:           4
        .value_kind:     by_value
      - .offset:         80
        .size:           4
        .value_kind:     by_value
      - .address_space:  global
        .offset:         88
        .size:           8
        .value_kind:     global_buffer
      - .address_space:  global
        .offset:         96
        .size:           8
        .value_kind:     global_buffer
      - .offset:         104
        .size:           4
        .value_kind:     by_value
      - .offset:         108
        .size:           4
        .value_kind:     by_value
      - .offset:         112
        .size:           4
        .value_kind:     by_value
      - .offset:         116
        .size:           4
        .value_kind:     by_value
      - .offset:         120
        .size:           4
        .value_kind:     by_value
      - .offset:         128
        .size:           4
        .value_kind:     hidden_block_count_x
      - .offset:         132
        .size:           4
        .value_kind:     hidden_block_count_y
      - .offset:         136
        .size:           4
        .value_kind:     hidden_block_count_z
      - .offset:         140
        .size:           2
        .value_kind:     hidden_group_size_x
      - .offset:         142
        .size:           2
        .value_kind:     hidden_group_size_y
      - .offset:         144
        .size:           2
        .value_kind:     hidden_group_size_z
      - .offset:         146
        .size:           2
        .value_kind:     hidden_remainder_x
      - .offset:         148
        .size:           2
        .value_kind:     hidden_remainder_y
      - .offset:         150
        .size:           2
        .value_kind:     hidden_remainder_z
      - .offset:         168
        .size:           8
        .value_kind:     hidden_global_offset_x
      - .offset:         176
        .size:           8
        .value_kind:     hidden_global_offset_y
      - .offset:         184
        .size:           8
        .value_kind:     hidden_global_offset_z
      - .offset:         192
        .size:           2
        .value_kind:     hidden_grid_dims
      - .offset:         248
        .size:           4
        .value_kind:     hidden_dynamic_lds_size
    .group_segment_fixed_size: 224
    .kernarg_segment_align: 8
    .kernarg_segment_size: 384
    .language:       OpenCL C
    .language_version:
      - 2
      - 0
    .max_flat_workgroup_size: 1024
    .name:           _ZN4vllm25paged_attention_v1_kernelIthLi96ELi8ELi128ELNS_18Fp8KVCacheDataTypeE1ELb0EEEvPT_PKS2_PKT0_S8_ifPKiSA_iPKfiiiSC_SC_iiiii
    .private_segment_fixed_size: 0
    .sgpr_count:     37
    .sgpr_spill_count: 0
    .symbol:         _ZN4vllm25paged_attention_v1_kernelIthLi96ELi8ELi128ELNS_18Fp8KVCacheDataTypeE1ELb0EEEvPT_PKS2_PKT0_S8_ifPKiSA_iPKfiiiSC_SC_iiiii.kd
    .uniform_work_group_size: 1
    .uses_dynamic_stack: false
    .vgpr_count:     65
    .vgpr_spill_count: 0
    .wavefront_size: 32
    .workgroup_processor_mode: 1
  - .args:
      - .actual_access:  write_only
        .address_space:  global
        .offset:         0
        .size:           8
        .value_kind:     global_buffer
      - .actual_access:  read_only
        .address_space:  global
        .offset:         8
        .size:           8
        .value_kind:     global_buffer
      - .actual_access:  read_only
        .address_space:  global
        .offset:         16
        .size:           8
        .value_kind:     global_buffer
      - .actual_access:  read_only
        .address_space:  global
        .offset:         24
        .size:           8
        .value_kind:     global_buffer
      - .offset:         32
        .size:           4
        .value_kind:     by_value
      - .offset:         36
        .size:           4
        .value_kind:     by_value
      - .actual_access:  read_only
        .address_space:  global
        .offset:         40
        .size:           8
        .value_kind:     global_buffer
      - .actual_access:  read_only
        .address_space:  global
        .offset:         48
        .size:           8
        .value_kind:     global_buffer
      - .offset:         56
        .size:           4
        .value_kind:     by_value
      - .actual_access:  read_only
        .address_space:  global
        .offset:         64
        .size:           8
        .value_kind:     global_buffer
      - .offset:         72
        .size:           4
        .value_kind:     by_value
      - .offset:         76
        .size:           4
        .value_kind:     by_value
      - .offset:         80
        .size:           4
        .value_kind:     by_value
      - .address_space:  global
        .offset:         88
        .size:           8
        .value_kind:     global_buffer
      - .address_space:  global
        .offset:         96
        .size:           8
        .value_kind:     global_buffer
      - .offset:         104
        .size:           4
        .value_kind:     by_value
      - .offset:         108
        .size:           4
        .value_kind:     by_value
      - .offset:         112
        .size:           4
        .value_kind:     by_value
      - .offset:         116
        .size:           4
        .value_kind:     by_value
      - .offset:         120
        .size:           4
        .value_kind:     by_value
      - .offset:         128
        .size:           4
        .value_kind:     hidden_block_count_x
      - .offset:         132
        .size:           4
        .value_kind:     hidden_block_count_y
      - .offset:         136
        .size:           4
        .value_kind:     hidden_block_count_z
      - .offset:         140
        .size:           2
        .value_kind:     hidden_group_size_x
      - .offset:         142
        .size:           2
        .value_kind:     hidden_group_size_y
      - .offset:         144
        .size:           2
        .value_kind:     hidden_group_size_z
      - .offset:         146
        .size:           2
        .value_kind:     hidden_remainder_x
      - .offset:         148
        .size:           2
        .value_kind:     hidden_remainder_y
      - .offset:         150
        .size:           2
        .value_kind:     hidden_remainder_z
      - .offset:         168
        .size:           8
        .value_kind:     hidden_global_offset_x
      - .offset:         176
        .size:           8
        .value_kind:     hidden_global_offset_y
      - .offset:         184
        .size:           8
        .value_kind:     hidden_global_offset_z
      - .offset:         192
        .size:           2
        .value_kind:     hidden_grid_dims
      - .offset:         248
        .size:           4
        .value_kind:     hidden_dynamic_lds_size
    .group_segment_fixed_size: 256
    .kernarg_segment_align: 8
    .kernarg_segment_size: 384
    .language:       OpenCL C
    .language_version:
      - 2
      - 0
    .max_flat_workgroup_size: 1024
    .name:           _ZN4vllm25paged_attention_v1_kernelIthLi112ELi8ELi128ELNS_18Fp8KVCacheDataTypeE1ELb0EEEvPT_PKS2_PKT0_S8_ifPKiSA_iPKfiiiSC_SC_iiiii
    .private_segment_fixed_size: 0
    .sgpr_count:     37
    .sgpr_spill_count: 0
    .symbol:         _ZN4vllm25paged_attention_v1_kernelIthLi112ELi8ELi128ELNS_18Fp8KVCacheDataTypeE1ELb0EEEvPT_PKS2_PKT0_S8_ifPKiSA_iPKfiiiSC_SC_iiiii.kd
    .uniform_work_group_size: 1
    .uses_dynamic_stack: false
    .vgpr_count:     72
    .vgpr_spill_count: 0
    .wavefront_size: 32
    .workgroup_processor_mode: 1
  - .args:
      - .actual_access:  write_only
        .address_space:  global
        .offset:         0
        .size:           8
        .value_kind:     global_buffer
      - .actual_access:  read_only
        .address_space:  global
        .offset:         8
        .size:           8
        .value_kind:     global_buffer
      - .actual_access:  read_only
        .address_space:  global
        .offset:         16
        .size:           8
        .value_kind:     global_buffer
      - .actual_access:  read_only
        .address_space:  global
        .offset:         24
        .size:           8
        .value_kind:     global_buffer
      - .offset:         32
        .size:           4
        .value_kind:     by_value
      - .offset:         36
        .size:           4
        .value_kind:     by_value
      - .actual_access:  read_only
        .address_space:  global
        .offset:         40
        .size:           8
        .value_kind:     global_buffer
      - .actual_access:  read_only
        .address_space:  global
        .offset:         48
        .size:           8
        .value_kind:     global_buffer
      - .offset:         56
        .size:           4
        .value_kind:     by_value
      - .actual_access:  read_only
        .address_space:  global
        .offset:         64
        .size:           8
        .value_kind:     global_buffer
      - .offset:         72
        .size:           4
        .value_kind:     by_value
      - .offset:         76
        .size:           4
        .value_kind:     by_value
      - .offset:         80
        .size:           4
        .value_kind:     by_value
      - .address_space:  global
        .offset:         88
        .size:           8
        .value_kind:     global_buffer
      - .address_space:  global
        .offset:         96
        .size:           8
        .value_kind:     global_buffer
      - .offset:         104
        .size:           4
        .value_kind:     by_value
      - .offset:         108
        .size:           4
        .value_kind:     by_value
      - .offset:         112
        .size:           4
        .value_kind:     by_value
      - .offset:         116
        .size:           4
        .value_kind:     by_value
      - .offset:         120
        .size:           4
        .value_kind:     by_value
      - .offset:         128
        .size:           4
        .value_kind:     hidden_block_count_x
      - .offset:         132
        .size:           4
        .value_kind:     hidden_block_count_y
      - .offset:         136
        .size:           4
        .value_kind:     hidden_block_count_z
      - .offset:         140
        .size:           2
        .value_kind:     hidden_group_size_x
      - .offset:         142
        .size:           2
        .value_kind:     hidden_group_size_y
      - .offset:         144
        .size:           2
        .value_kind:     hidden_group_size_z
      - .offset:         146
        .size:           2
        .value_kind:     hidden_remainder_x
      - .offset:         148
        .size:           2
        .value_kind:     hidden_remainder_y
      - .offset:         150
        .size:           2
        .value_kind:     hidden_remainder_z
      - .offset:         168
        .size:           8
        .value_kind:     hidden_global_offset_x
      - .offset:         176
        .size:           8
        .value_kind:     hidden_global_offset_y
      - .offset:         184
        .size:           8
        .value_kind:     hidden_global_offset_z
      - .offset:         192
        .size:           2
        .value_kind:     hidden_grid_dims
      - .offset:         248
        .size:           4
        .value_kind:     hidden_dynamic_lds_size
    .group_segment_fixed_size: 272
    .kernarg_segment_align: 8
    .kernarg_segment_size: 384
    .language:       OpenCL C
    .language_version:
      - 2
      - 0
    .max_flat_workgroup_size: 1024
    .name:           _ZN4vllm25paged_attention_v1_kernelIthLi120ELi8ELi128ELNS_18Fp8KVCacheDataTypeE1ELb0EEEvPT_PKS2_PKT0_S8_ifPKiSA_iPKfiiiSC_SC_iiiii
    .private_segment_fixed_size: 0
    .sgpr_count:     37
    .sgpr_spill_count: 0
    .symbol:         _ZN4vllm25paged_attention_v1_kernelIthLi120ELi8ELi128ELNS_18Fp8KVCacheDataTypeE1ELb0EEEvPT_PKS2_PKT0_S8_ifPKiSA_iPKfiiiSC_SC_iiiii.kd
    .uniform_work_group_size: 1
    .uses_dynamic_stack: false
    .vgpr_count:     76
    .vgpr_spill_count: 0
    .wavefront_size: 32
    .workgroup_processor_mode: 1
  - .args:
      - .actual_access:  write_only
        .address_space:  global
        .offset:         0
        .size:           8
        .value_kind:     global_buffer
      - .actual_access:  read_only
        .address_space:  global
        .offset:         8
        .size:           8
        .value_kind:     global_buffer
      - .actual_access:  read_only
        .address_space:  global
        .offset:         16
        .size:           8
        .value_kind:     global_buffer
      - .actual_access:  read_only
        .address_space:  global
        .offset:         24
        .size:           8
        .value_kind:     global_buffer
      - .offset:         32
        .size:           4
        .value_kind:     by_value
      - .offset:         36
        .size:           4
        .value_kind:     by_value
      - .actual_access:  read_only
        .address_space:  global
        .offset:         40
        .size:           8
        .value_kind:     global_buffer
      - .actual_access:  read_only
        .address_space:  global
        .offset:         48
        .size:           8
        .value_kind:     global_buffer
      - .offset:         56
        .size:           4
        .value_kind:     by_value
      - .actual_access:  read_only
        .address_space:  global
        .offset:         64
        .size:           8
        .value_kind:     global_buffer
      - .offset:         72
        .size:           4
        .value_kind:     by_value
      - .offset:         76
        .size:           4
        .value_kind:     by_value
      - .offset:         80
        .size:           4
        .value_kind:     by_value
      - .address_space:  global
        .offset:         88
        .size:           8
        .value_kind:     global_buffer
      - .address_space:  global
        .offset:         96
        .size:           8
        .value_kind:     global_buffer
      - .offset:         104
        .size:           4
        .value_kind:     by_value
      - .offset:         108
        .size:           4
        .value_kind:     by_value
      - .offset:         112
        .size:           4
        .value_kind:     by_value
      - .offset:         116
        .size:           4
        .value_kind:     by_value
      - .offset:         120
        .size:           4
        .value_kind:     by_value
      - .offset:         128
        .size:           4
        .value_kind:     hidden_block_count_x
      - .offset:         132
        .size:           4
        .value_kind:     hidden_block_count_y
      - .offset:         136
        .size:           4
        .value_kind:     hidden_block_count_z
      - .offset:         140
        .size:           2
        .value_kind:     hidden_group_size_x
      - .offset:         142
        .size:           2
        .value_kind:     hidden_group_size_y
      - .offset:         144
        .size:           2
        .value_kind:     hidden_group_size_z
      - .offset:         146
        .size:           2
        .value_kind:     hidden_remainder_x
      - .offset:         148
        .size:           2
        .value_kind:     hidden_remainder_y
      - .offset:         150
        .size:           2
        .value_kind:     hidden_remainder_z
      - .offset:         168
        .size:           8
        .value_kind:     hidden_global_offset_x
      - .offset:         176
        .size:           8
        .value_kind:     hidden_global_offset_y
      - .offset:         184
        .size:           8
        .value_kind:     hidden_global_offset_z
      - .offset:         192
        .size:           2
        .value_kind:     hidden_grid_dims
      - .offset:         248
        .size:           4
        .value_kind:     hidden_dynamic_lds_size
    .group_segment_fixed_size: 288
    .kernarg_segment_align: 8
    .kernarg_segment_size: 384
    .language:       OpenCL C
    .language_version:
      - 2
      - 0
    .max_flat_workgroup_size: 1024
    .name:           _ZN4vllm25paged_attention_v1_kernelIthLi128ELi8ELi128ELNS_18Fp8KVCacheDataTypeE1ELb0EEEvPT_PKS2_PKT0_S8_ifPKiSA_iPKfiiiSC_SC_iiiii
    .private_segment_fixed_size: 0
    .sgpr_count:     38
    .sgpr_spill_count: 0
    .symbol:         _ZN4vllm25paged_attention_v1_kernelIthLi128ELi8ELi128ELNS_18Fp8KVCacheDataTypeE1ELb0EEEvPT_PKS2_PKT0_S8_ifPKiSA_iPKfiiiSC_SC_iiiii.kd
    .uniform_work_group_size: 1
    .uses_dynamic_stack: false
    .vgpr_count:     80
    .vgpr_spill_count: 0
    .wavefront_size: 32
    .workgroup_processor_mode: 1
  - .args:
      - .actual_access:  write_only
        .address_space:  global
        .offset:         0
        .size:           8
        .value_kind:     global_buffer
      - .actual_access:  read_only
        .address_space:  global
        .offset:         8
        .size:           8
        .value_kind:     global_buffer
      - .actual_access:  read_only
        .address_space:  global
        .offset:         16
        .size:           8
        .value_kind:     global_buffer
      - .actual_access:  read_only
        .address_space:  global
        .offset:         24
        .size:           8
        .value_kind:     global_buffer
      - .offset:         32
        .size:           4
        .value_kind:     by_value
      - .offset:         36
        .size:           4
        .value_kind:     by_value
      - .actual_access:  read_only
        .address_space:  global
        .offset:         40
        .size:           8
        .value_kind:     global_buffer
      - .actual_access:  read_only
        .address_space:  global
        .offset:         48
        .size:           8
        .value_kind:     global_buffer
      - .offset:         56
        .size:           4
        .value_kind:     by_value
      - .actual_access:  read_only
        .address_space:  global
        .offset:         64
        .size:           8
        .value_kind:     global_buffer
      - .offset:         72
        .size:           4
        .value_kind:     by_value
      - .offset:         76
        .size:           4
        .value_kind:     by_value
      - .offset:         80
        .size:           4
        .value_kind:     by_value
      - .address_space:  global
        .offset:         88
        .size:           8
        .value_kind:     global_buffer
      - .address_space:  global
        .offset:         96
        .size:           8
        .value_kind:     global_buffer
      - .offset:         104
        .size:           4
        .value_kind:     by_value
      - .offset:         108
        .size:           4
        .value_kind:     by_value
      - .offset:         112
        .size:           4
        .value_kind:     by_value
      - .offset:         116
        .size:           4
        .value_kind:     by_value
      - .offset:         120
        .size:           4
        .value_kind:     by_value
      - .offset:         128
        .size:           4
        .value_kind:     hidden_block_count_x
      - .offset:         132
        .size:           4
        .value_kind:     hidden_block_count_y
      - .offset:         136
        .size:           4
        .value_kind:     hidden_block_count_z
      - .offset:         140
        .size:           2
        .value_kind:     hidden_group_size_x
      - .offset:         142
        .size:           2
        .value_kind:     hidden_group_size_y
      - .offset:         144
        .size:           2
        .value_kind:     hidden_group_size_z
      - .offset:         146
        .size:           2
        .value_kind:     hidden_remainder_x
      - .offset:         148
        .size:           2
        .value_kind:     hidden_remainder_y
      - .offset:         150
        .size:           2
        .value_kind:     hidden_remainder_z
      - .offset:         168
        .size:           8
        .value_kind:     hidden_global_offset_x
      - .offset:         176
        .size:           8
        .value_kind:     hidden_global_offset_y
      - .offset:         184
        .size:           8
        .value_kind:     hidden_global_offset_z
      - .offset:         192
        .size:           2
        .value_kind:     hidden_grid_dims
      - .offset:         248
        .size:           4
        .value_kind:     hidden_dynamic_lds_size
    .group_segment_fixed_size: 416
    .kernarg_segment_align: 8
    .kernarg_segment_size: 384
    .language:       OpenCL C
    .language_version:
      - 2
      - 0
    .max_flat_workgroup_size: 1024
    .name:           _ZN4vllm25paged_attention_v1_kernelIthLi192ELi8ELi128ELNS_18Fp8KVCacheDataTypeE1ELb0EEEvPT_PKS2_PKT0_S8_ifPKiSA_iPKfiiiSC_SC_iiiii
    .private_segment_fixed_size: 0
    .sgpr_count:     37
    .sgpr_spill_count: 0
    .symbol:         _ZN4vllm25paged_attention_v1_kernelIthLi192ELi8ELi128ELNS_18Fp8KVCacheDataTypeE1ELb0EEEvPT_PKS2_PKT0_S8_ifPKiSA_iPKfiiiSC_SC_iiiii.kd
    .uniform_work_group_size: 1
    .uses_dynamic_stack: false
    .vgpr_count:     108
    .vgpr_spill_count: 0
    .wavefront_size: 32
    .workgroup_processor_mode: 1
  - .args:
      - .actual_access:  write_only
        .address_space:  global
        .offset:         0
        .size:           8
        .value_kind:     global_buffer
      - .actual_access:  read_only
        .address_space:  global
        .offset:         8
        .size:           8
        .value_kind:     global_buffer
      - .actual_access:  read_only
        .address_space:  global
        .offset:         16
        .size:           8
        .value_kind:     global_buffer
      - .actual_access:  read_only
        .address_space:  global
        .offset:         24
        .size:           8
        .value_kind:     global_buffer
      - .offset:         32
        .size:           4
        .value_kind:     by_value
      - .offset:         36
        .size:           4
        .value_kind:     by_value
      - .actual_access:  read_only
        .address_space:  global
        .offset:         40
        .size:           8
        .value_kind:     global_buffer
      - .actual_access:  read_only
        .address_space:  global
        .offset:         48
        .size:           8
        .value_kind:     global_buffer
      - .offset:         56
        .size:           4
        .value_kind:     by_value
      - .actual_access:  read_only
        .address_space:  global
        .offset:         64
        .size:           8
        .value_kind:     global_buffer
      - .offset:         72
        .size:           4
        .value_kind:     by_value
      - .offset:         76
        .size:           4
        .value_kind:     by_value
      - .offset:         80
        .size:           4
        .value_kind:     by_value
      - .address_space:  global
        .offset:         88
        .size:           8
        .value_kind:     global_buffer
      - .address_space:  global
        .offset:         96
        .size:           8
        .value_kind:     global_buffer
      - .offset:         104
        .size:           4
        .value_kind:     by_value
      - .offset:         108
        .size:           4
        .value_kind:     by_value
      - .offset:         112
        .size:           4
        .value_kind:     by_value
      - .offset:         116
        .size:           4
        .value_kind:     by_value
      - .offset:         120
        .size:           4
        .value_kind:     by_value
      - .offset:         128
        .size:           4
        .value_kind:     hidden_block_count_x
      - .offset:         132
        .size:           4
        .value_kind:     hidden_block_count_y
      - .offset:         136
        .size:           4
        .value_kind:     hidden_block_count_z
      - .offset:         140
        .size:           2
        .value_kind:     hidden_group_size_x
      - .offset:         142
        .size:           2
        .value_kind:     hidden_group_size_y
      - .offset:         144
        .size:           2
        .value_kind:     hidden_group_size_z
      - .offset:         146
        .size:           2
        .value_kind:     hidden_remainder_x
      - .offset:         148
        .size:           2
        .value_kind:     hidden_remainder_y
      - .offset:         150
        .size:           2
        .value_kind:     hidden_remainder_z
      - .offset:         168
        .size:           8
        .value_kind:     hidden_global_offset_x
      - .offset:         176
        .size:           8
        .value_kind:     hidden_global_offset_y
      - .offset:         184
        .size:           8
        .value_kind:     hidden_global_offset_z
      - .offset:         192
        .size:           2
        .value_kind:     hidden_grid_dims
      - .offset:         248
        .size:           4
        .value_kind:     hidden_dynamic_lds_size
    .group_segment_fixed_size: 544
    .kernarg_segment_align: 8
    .kernarg_segment_size: 384
    .language:       OpenCL C
    .language_version:
      - 2
      - 0
    .max_flat_workgroup_size: 1024
    .name:           _ZN4vllm25paged_attention_v1_kernelIthLi256ELi8ELi128ELNS_18Fp8KVCacheDataTypeE1ELb0EEEvPT_PKS2_PKT0_S8_ifPKiSA_iPKfiiiSC_SC_iiiii
    .private_segment_fixed_size: 0
    .sgpr_count:     37
    .sgpr_spill_count: 0
    .symbol:         _ZN4vllm25paged_attention_v1_kernelIthLi256ELi8ELi128ELNS_18Fp8KVCacheDataTypeE1ELb0EEEvPT_PKS2_PKT0_S8_ifPKiSA_iPKfiiiSC_SC_iiiii.kd
    .uniform_work_group_size: 1
    .uses_dynamic_stack: false
    .vgpr_count:     128
    .vgpr_spill_count: 0
    .wavefront_size: 32
    .workgroup_processor_mode: 1
  - .args:
      - .actual_access:  write_only
        .address_space:  global
        .offset:         0
        .size:           8
        .value_kind:     global_buffer
      - .actual_access:  read_only
        .address_space:  global
        .offset:         8
        .size:           8
        .value_kind:     global_buffer
      - .actual_access:  read_only
        .address_space:  global
        .offset:         16
        .size:           8
        .value_kind:     global_buffer
      - .actual_access:  read_only
        .address_space:  global
        .offset:         24
        .size:           8
        .value_kind:     global_buffer
      - .offset:         32
        .size:           4
        .value_kind:     by_value
      - .offset:         36
        .size:           4
        .value_kind:     by_value
      - .actual_access:  read_only
        .address_space:  global
        .offset:         40
        .size:           8
        .value_kind:     global_buffer
      - .actual_access:  read_only
        .address_space:  global
        .offset:         48
        .size:           8
        .value_kind:     global_buffer
      - .offset:         56
        .size:           4
        .value_kind:     by_value
      - .actual_access:  read_only
        .address_space:  global
        .offset:         64
        .size:           8
        .value_kind:     global_buffer
      - .offset:         72
        .size:           4
        .value_kind:     by_value
      - .offset:         76
        .size:           4
        .value_kind:     by_value
      - .offset:         80
        .size:           4
        .value_kind:     by_value
      - .address_space:  global
        .offset:         88
        .size:           8
        .value_kind:     global_buffer
      - .address_space:  global
        .offset:         96
        .size:           8
        .value_kind:     global_buffer
      - .offset:         104
        .size:           4
        .value_kind:     by_value
      - .offset:         108
        .size:           4
        .value_kind:     by_value
      - .offset:         112
        .size:           4
        .value_kind:     by_value
      - .offset:         116
        .size:           4
        .value_kind:     by_value
      - .offset:         120
        .size:           4
        .value_kind:     by_value
      - .offset:         128
        .size:           4
        .value_kind:     hidden_block_count_x
      - .offset:         132
        .size:           4
        .value_kind:     hidden_block_count_y
      - .offset:         136
        .size:           4
        .value_kind:     hidden_block_count_z
      - .offset:         140
        .size:           2
        .value_kind:     hidden_group_size_x
      - .offset:         142
        .size:           2
        .value_kind:     hidden_group_size_y
      - .offset:         144
        .size:           2
        .value_kind:     hidden_group_size_z
      - .offset:         146
        .size:           2
        .value_kind:     hidden_remainder_x
      - .offset:         148
        .size:           2
        .value_kind:     hidden_remainder_y
      - .offset:         150
        .size:           2
        .value_kind:     hidden_remainder_z
      - .offset:         168
        .size:           8
        .value_kind:     hidden_global_offset_x
      - .offset:         176
        .size:           8
        .value_kind:     hidden_global_offset_y
      - .offset:         184
        .size:           8
        .value_kind:     hidden_global_offset_z
      - .offset:         192
        .size:           2
        .value_kind:     hidden_grid_dims
      - .offset:         248
        .size:           4
        .value_kind:     hidden_dynamic_lds_size
    .group_segment_fixed_size: 96
    .kernarg_segment_align: 8
    .kernarg_segment_size: 384
    .language:       OpenCL C
    .language_version:
      - 2
      - 0
    .max_flat_workgroup_size: 1024
    .name:           _ZN4vllm25paged_attention_v1_kernelIthLi32ELi16ELi128ELNS_18Fp8KVCacheDataTypeE1ELb1EEEvPT_PKS2_PKT0_S8_ifPKiSA_iPKfiiiSC_SC_iiiii
    .private_segment_fixed_size: 0
    .sgpr_count:     46
    .sgpr_spill_count: 0
    .symbol:         _ZN4vllm25paged_attention_v1_kernelIthLi32ELi16ELi128ELNS_18Fp8KVCacheDataTypeE1ELb1EEEvPT_PKS2_PKT0_S8_ifPKiSA_iPKfiiiSC_SC_iiiii.kd
    .uniform_work_group_size: 1
    .uses_dynamic_stack: false
    .vgpr_count:     57
    .vgpr_spill_count: 0
    .wavefront_size: 32
    .workgroup_processor_mode: 1
  - .args:
      - .actual_access:  write_only
        .address_space:  global
        .offset:         0
        .size:           8
        .value_kind:     global_buffer
      - .actual_access:  read_only
        .address_space:  global
        .offset:         8
        .size:           8
        .value_kind:     global_buffer
      - .actual_access:  read_only
        .address_space:  global
        .offset:         16
        .size:           8
        .value_kind:     global_buffer
      - .actual_access:  read_only
        .address_space:  global
        .offset:         24
        .size:           8
        .value_kind:     global_buffer
      - .offset:         32
        .size:           4
        .value_kind:     by_value
      - .offset:         36
        .size:           4
        .value_kind:     by_value
      - .actual_access:  read_only
        .address_space:  global
        .offset:         40
        .size:           8
        .value_kind:     global_buffer
      - .actual_access:  read_only
        .address_space:  global
        .offset:         48
        .size:           8
        .value_kind:     global_buffer
      - .offset:         56
        .size:           4
        .value_kind:     by_value
      - .actual_access:  read_only
        .address_space:  global
        .offset:         64
        .size:           8
        .value_kind:     global_buffer
      - .offset:         72
        .size:           4
        .value_kind:     by_value
      - .offset:         76
        .size:           4
        .value_kind:     by_value
      - .offset:         80
        .size:           4
        .value_kind:     by_value
      - .address_space:  global
        .offset:         88
        .size:           8
        .value_kind:     global_buffer
      - .address_space:  global
        .offset:         96
        .size:           8
        .value_kind:     global_buffer
      - .offset:         104
        .size:           4
        .value_kind:     by_value
      - .offset:         108
        .size:           4
        .value_kind:     by_value
      - .offset:         112
        .size:           4
        .value_kind:     by_value
      - .offset:         116
        .size:           4
        .value_kind:     by_value
      - .offset:         120
        .size:           4
        .value_kind:     by_value
      - .offset:         128
        .size:           4
        .value_kind:     hidden_block_count_x
      - .offset:         132
        .size:           4
        .value_kind:     hidden_block_count_y
      - .offset:         136
        .size:           4
        .value_kind:     hidden_block_count_z
      - .offset:         140
        .size:           2
        .value_kind:     hidden_group_size_x
      - .offset:         142
        .size:           2
        .value_kind:     hidden_group_size_y
      - .offset:         144
        .size:           2
        .value_kind:     hidden_group_size_z
      - .offset:         146
        .size:           2
        .value_kind:     hidden_remainder_x
      - .offset:         148
        .size:           2
        .value_kind:     hidden_remainder_y
      - .offset:         150
        .size:           2
        .value_kind:     hidden_remainder_z
      - .offset:         168
        .size:           8
        .value_kind:     hidden_global_offset_x
      - .offset:         176
        .size:           8
        .value_kind:     hidden_global_offset_y
      - .offset:         184
        .size:           8
        .value_kind:     hidden_global_offset_z
      - .offset:         192
        .size:           2
        .value_kind:     hidden_grid_dims
      - .offset:         248
        .size:           4
        .value_kind:     hidden_dynamic_lds_size
    .group_segment_fixed_size: 160
    .kernarg_segment_align: 8
    .kernarg_segment_size: 384
    .language:       OpenCL C
    .language_version:
      - 2
      - 0
    .max_flat_workgroup_size: 1024
    .name:           _ZN4vllm25paged_attention_v1_kernelIthLi64ELi16ELi128ELNS_18Fp8KVCacheDataTypeE1ELb1EEEvPT_PKS2_PKT0_S8_ifPKiSA_iPKfiiiSC_SC_iiiii
    .private_segment_fixed_size: 0
    .sgpr_count:     46
    .sgpr_spill_count: 0
    .symbol:         _ZN4vllm25paged_attention_v1_kernelIthLi64ELi16ELi128ELNS_18Fp8KVCacheDataTypeE1ELb1EEEvPT_PKS2_PKT0_S8_ifPKiSA_iPKfiiiSC_SC_iiiii.kd
    .uniform_work_group_size: 1
    .uses_dynamic_stack: false
    .vgpr_count:     86
    .vgpr_spill_count: 0
    .wavefront_size: 32
    .workgroup_processor_mode: 1
  - .args:
      - .actual_access:  write_only
        .address_space:  global
        .offset:         0
        .size:           8
        .value_kind:     global_buffer
      - .actual_access:  read_only
        .address_space:  global
        .offset:         8
        .size:           8
        .value_kind:     global_buffer
      - .actual_access:  read_only
        .address_space:  global
        .offset:         16
        .size:           8
        .value_kind:     global_buffer
      - .actual_access:  read_only
        .address_space:  global
        .offset:         24
        .size:           8
        .value_kind:     global_buffer
      - .offset:         32
        .size:           4
        .value_kind:     by_value
      - .offset:         36
        .size:           4
        .value_kind:     by_value
      - .actual_access:  read_only
        .address_space:  global
        .offset:         40
        .size:           8
        .value_kind:     global_buffer
      - .actual_access:  read_only
        .address_space:  global
        .offset:         48
        .size:           8
        .value_kind:     global_buffer
      - .offset:         56
        .size:           4
        .value_kind:     by_value
      - .actual_access:  read_only
        .address_space:  global
        .offset:         64
        .size:           8
        .value_kind:     global_buffer
      - .offset:         72
        .size:           4
        .value_kind:     by_value
      - .offset:         76
        .size:           4
        .value_kind:     by_value
      - .offset:         80
        .size:           4
        .value_kind:     by_value
      - .address_space:  global
        .offset:         88
        .size:           8
        .value_kind:     global_buffer
      - .address_space:  global
        .offset:         96
        .size:           8
        .value_kind:     global_buffer
      - .offset:         104
        .size:           4
        .value_kind:     by_value
      - .offset:         108
        .size:           4
        .value_kind:     by_value
      - .offset:         112
        .size:           4
        .value_kind:     by_value
      - .offset:         116
        .size:           4
        .value_kind:     by_value
      - .offset:         120
        .size:           4
        .value_kind:     by_value
      - .offset:         128
        .size:           4
        .value_kind:     hidden_block_count_x
      - .offset:         132
        .size:           4
        .value_kind:     hidden_block_count_y
      - .offset:         136
        .size:           4
        .value_kind:     hidden_block_count_z
      - .offset:         140
        .size:           2
        .value_kind:     hidden_group_size_x
      - .offset:         142
        .size:           2
        .value_kind:     hidden_group_size_y
      - .offset:         144
        .size:           2
        .value_kind:     hidden_group_size_z
      - .offset:         146
        .size:           2
        .value_kind:     hidden_remainder_x
      - .offset:         148
        .size:           2
        .value_kind:     hidden_remainder_y
      - .offset:         150
        .size:           2
        .value_kind:     hidden_remainder_z
      - .offset:         168
        .size:           8
        .value_kind:     hidden_global_offset_x
      - .offset:         176
        .size:           8
        .value_kind:     hidden_global_offset_y
      - .offset:         184
        .size:           8
        .value_kind:     hidden_global_offset_z
      - .offset:         192
        .size:           2
        .value_kind:     hidden_grid_dims
      - .offset:         248
        .size:           4
        .value_kind:     hidden_dynamic_lds_size
    .group_segment_fixed_size: 192
    .kernarg_segment_align: 8
    .kernarg_segment_size: 384
    .language:       OpenCL C
    .language_version:
      - 2
      - 0
    .max_flat_workgroup_size: 1024
    .name:           _ZN4vllm25paged_attention_v1_kernelIthLi80ELi16ELi128ELNS_18Fp8KVCacheDataTypeE1ELb1EEEvPT_PKS2_PKT0_S8_ifPKiSA_iPKfiiiSC_SC_iiiii
    .private_segment_fixed_size: 0
    .sgpr_count:     46
    .sgpr_spill_count: 0
    .symbol:         _ZN4vllm25paged_attention_v1_kernelIthLi80ELi16ELi128ELNS_18Fp8KVCacheDataTypeE1ELb1EEEvPT_PKS2_PKT0_S8_ifPKiSA_iPKfiiiSC_SC_iiiii.kd
    .uniform_work_group_size: 1
    .uses_dynamic_stack: false
    .vgpr_count:     101
    .vgpr_spill_count: 0
    .wavefront_size: 32
    .workgroup_processor_mode: 1
  - .args:
      - .actual_access:  write_only
        .address_space:  global
        .offset:         0
        .size:           8
        .value_kind:     global_buffer
      - .actual_access:  read_only
        .address_space:  global
        .offset:         8
        .size:           8
        .value_kind:     global_buffer
      - .actual_access:  read_only
        .address_space:  global
        .offset:         16
        .size:           8
        .value_kind:     global_buffer
      - .actual_access:  read_only
        .address_space:  global
        .offset:         24
        .size:           8
        .value_kind:     global_buffer
      - .offset:         32
        .size:           4
        .value_kind:     by_value
      - .offset:         36
        .size:           4
        .value_kind:     by_value
      - .actual_access:  read_only
        .address_space:  global
        .offset:         40
        .size:           8
        .value_kind:     global_buffer
      - .actual_access:  read_only
        .address_space:  global
        .offset:         48
        .size:           8
        .value_kind:     global_buffer
      - .offset:         56
        .size:           4
        .value_kind:     by_value
      - .actual_access:  read_only
        .address_space:  global
        .offset:         64
        .size:           8
        .value_kind:     global_buffer
      - .offset:         72
        .size:           4
        .value_kind:     by_value
      - .offset:         76
        .size:           4
        .value_kind:     by_value
      - .offset:         80
        .size:           4
        .value_kind:     by_value
      - .address_space:  global
        .offset:         88
        .size:           8
        .value_kind:     global_buffer
      - .address_space:  global
        .offset:         96
        .size:           8
        .value_kind:     global_buffer
      - .offset:         104
        .size:           4
        .value_kind:     by_value
      - .offset:         108
        .size:           4
        .value_kind:     by_value
      - .offset:         112
        .size:           4
        .value_kind:     by_value
      - .offset:         116
        .size:           4
        .value_kind:     by_value
      - .offset:         120
        .size:           4
        .value_kind:     by_value
      - .offset:         128
        .size:           4
        .value_kind:     hidden_block_count_x
      - .offset:         132
        .size:           4
        .value_kind:     hidden_block_count_y
      - .offset:         136
        .size:           4
        .value_kind:     hidden_block_count_z
      - .offset:         140
        .size:           2
        .value_kind:     hidden_group_size_x
      - .offset:         142
        .size:           2
        .value_kind:     hidden_group_size_y
      - .offset:         144
        .size:           2
        .value_kind:     hidden_group_size_z
      - .offset:         146
        .size:           2
        .value_kind:     hidden_remainder_x
      - .offset:         148
        .size:           2
        .value_kind:     hidden_remainder_y
      - .offset:         150
        .size:           2
        .value_kind:     hidden_remainder_z
      - .offset:         168
        .size:           8
        .value_kind:     hidden_global_offset_x
      - .offset:         176
        .size:           8
        .value_kind:     hidden_global_offset_y
      - .offset:         184
        .size:           8
        .value_kind:     hidden_global_offset_z
      - .offset:         192
        .size:           2
        .value_kind:     hidden_grid_dims
      - .offset:         248
        .size:           4
        .value_kind:     hidden_dynamic_lds_size
    .group_segment_fixed_size: 224
    .kernarg_segment_align: 8
    .kernarg_segment_size: 384
    .language:       OpenCL C
    .language_version:
      - 2
      - 0
    .max_flat_workgroup_size: 1024
    .name:           _ZN4vllm25paged_attention_v1_kernelIthLi96ELi16ELi128ELNS_18Fp8KVCacheDataTypeE1ELb1EEEvPT_PKS2_PKT0_S8_ifPKiSA_iPKfiiiSC_SC_iiiii
    .private_segment_fixed_size: 0
    .sgpr_count:     46
    .sgpr_spill_count: 0
    .symbol:         _ZN4vllm25paged_attention_v1_kernelIthLi96ELi16ELi128ELNS_18Fp8KVCacheDataTypeE1ELb1EEEvPT_PKS2_PKT0_S8_ifPKiSA_iPKfiiiSC_SC_iiiii.kd
    .uniform_work_group_size: 1
    .uses_dynamic_stack: false
    .vgpr_count:     114
    .vgpr_spill_count: 0
    .wavefront_size: 32
    .workgroup_processor_mode: 1
  - .args:
      - .actual_access:  write_only
        .address_space:  global
        .offset:         0
        .size:           8
        .value_kind:     global_buffer
      - .actual_access:  read_only
        .address_space:  global
        .offset:         8
        .size:           8
        .value_kind:     global_buffer
      - .actual_access:  read_only
        .address_space:  global
        .offset:         16
        .size:           8
        .value_kind:     global_buffer
      - .actual_access:  read_only
        .address_space:  global
        .offset:         24
        .size:           8
        .value_kind:     global_buffer
      - .offset:         32
        .size:           4
        .value_kind:     by_value
      - .offset:         36
        .size:           4
        .value_kind:     by_value
      - .actual_access:  read_only
        .address_space:  global
        .offset:         40
        .size:           8
        .value_kind:     global_buffer
      - .actual_access:  read_only
        .address_space:  global
        .offset:         48
        .size:           8
        .value_kind:     global_buffer
      - .offset:         56
        .size:           4
        .value_kind:     by_value
      - .actual_access:  read_only
        .address_space:  global
        .offset:         64
        .size:           8
        .value_kind:     global_buffer
      - .offset:         72
        .size:           4
        .value_kind:     by_value
      - .offset:         76
        .size:           4
        .value_kind:     by_value
      - .offset:         80
        .size:           4
        .value_kind:     by_value
      - .address_space:  global
        .offset:         88
        .size:           8
        .value_kind:     global_buffer
      - .address_space:  global
        .offset:         96
        .size:           8
        .value_kind:     global_buffer
      - .offset:         104
        .size:           4
        .value_kind:     by_value
      - .offset:         108
        .size:           4
        .value_kind:     by_value
      - .offset:         112
        .size:           4
        .value_kind:     by_value
      - .offset:         116
        .size:           4
        .value_kind:     by_value
      - .offset:         120
        .size:           4
        .value_kind:     by_value
      - .offset:         128
        .size:           4
        .value_kind:     hidden_block_count_x
      - .offset:         132
        .size:           4
        .value_kind:     hidden_block_count_y
      - .offset:         136
        .size:           4
        .value_kind:     hidden_block_count_z
      - .offset:         140
        .size:           2
        .value_kind:     hidden_group_size_x
      - .offset:         142
        .size:           2
        .value_kind:     hidden_group_size_y
      - .offset:         144
        .size:           2
        .value_kind:     hidden_group_size_z
      - .offset:         146
        .size:           2
        .value_kind:     hidden_remainder_x
      - .offset:         148
        .size:           2
        .value_kind:     hidden_remainder_y
      - .offset:         150
        .size:           2
        .value_kind:     hidden_remainder_z
      - .offset:         168
        .size:           8
        .value_kind:     hidden_global_offset_x
      - .offset:         176
        .size:           8
        .value_kind:     hidden_global_offset_y
      - .offset:         184
        .size:           8
        .value_kind:     hidden_global_offset_z
      - .offset:         192
        .size:           2
        .value_kind:     hidden_grid_dims
      - .offset:         248
        .size:           4
        .value_kind:     hidden_dynamic_lds_size
    .group_segment_fixed_size: 256
    .kernarg_segment_align: 8
    .kernarg_segment_size: 384
    .language:       OpenCL C
    .language_version:
      - 2
      - 0
    .max_flat_workgroup_size: 1024
    .name:           _ZN4vllm25paged_attention_v1_kernelIthLi112ELi16ELi128ELNS_18Fp8KVCacheDataTypeE1ELb1EEEvPT_PKS2_PKT0_S8_ifPKiSA_iPKfiiiSC_SC_iiiii
    .private_segment_fixed_size: 0
    .sgpr_count:     46
    .sgpr_spill_count: 0
    .symbol:         _ZN4vllm25paged_attention_v1_kernelIthLi112ELi16ELi128ELNS_18Fp8KVCacheDataTypeE1ELb1EEEvPT_PKS2_PKT0_S8_ifPKiSA_iPKfiiiSC_SC_iiiii.kd
    .uniform_work_group_size: 1
    .uses_dynamic_stack: false
    .vgpr_count:     127
    .vgpr_spill_count: 0
    .wavefront_size: 32
    .workgroup_processor_mode: 1
  - .args:
      - .actual_access:  write_only
        .address_space:  global
        .offset:         0
        .size:           8
        .value_kind:     global_buffer
      - .actual_access:  read_only
        .address_space:  global
        .offset:         8
        .size:           8
        .value_kind:     global_buffer
      - .actual_access:  read_only
        .address_space:  global
        .offset:         16
        .size:           8
        .value_kind:     global_buffer
      - .actual_access:  read_only
        .address_space:  global
        .offset:         24
        .size:           8
        .value_kind:     global_buffer
      - .offset:         32
        .size:           4
        .value_kind:     by_value
      - .offset:         36
        .size:           4
        .value_kind:     by_value
      - .actual_access:  read_only
        .address_space:  global
        .offset:         40
        .size:           8
        .value_kind:     global_buffer
      - .actual_access:  read_only
        .address_space:  global
        .offset:         48
        .size:           8
        .value_kind:     global_buffer
      - .offset:         56
        .size:           4
        .value_kind:     by_value
      - .actual_access:  read_only
        .address_space:  global
        .offset:         64
        .size:           8
        .value_kind:     global_buffer
      - .offset:         72
        .size:           4
        .value_kind:     by_value
      - .offset:         76
        .size:           4
        .value_kind:     by_value
      - .offset:         80
        .size:           4
        .value_kind:     by_value
      - .address_space:  global
        .offset:         88
        .size:           8
        .value_kind:     global_buffer
      - .address_space:  global
        .offset:         96
        .size:           8
        .value_kind:     global_buffer
      - .offset:         104
        .size:           4
        .value_kind:     by_value
      - .offset:         108
        .size:           4
        .value_kind:     by_value
      - .offset:         112
        .size:           4
        .value_kind:     by_value
      - .offset:         116
        .size:           4
        .value_kind:     by_value
      - .offset:         120
        .size:           4
        .value_kind:     by_value
      - .offset:         128
        .size:           4
        .value_kind:     hidden_block_count_x
      - .offset:         132
        .size:           4
        .value_kind:     hidden_block_count_y
      - .offset:         136
        .size:           4
        .value_kind:     hidden_block_count_z
      - .offset:         140
        .size:           2
        .value_kind:     hidden_group_size_x
      - .offset:         142
        .size:           2
        .value_kind:     hidden_group_size_y
      - .offset:         144
        .size:           2
        .value_kind:     hidden_group_size_z
      - .offset:         146
        .size:           2
        .value_kind:     hidden_remainder_x
      - .offset:         148
        .size:           2
        .value_kind:     hidden_remainder_y
      - .offset:         150
        .size:           2
        .value_kind:     hidden_remainder_z
      - .offset:         168
        .size:           8
        .value_kind:     hidden_global_offset_x
      - .offset:         176
        .size:           8
        .value_kind:     hidden_global_offset_y
      - .offset:         184
        .size:           8
        .value_kind:     hidden_global_offset_z
      - .offset:         192
        .size:           2
        .value_kind:     hidden_grid_dims
      - .offset:         248
        .size:           4
        .value_kind:     hidden_dynamic_lds_size
    .group_segment_fixed_size: 272
    .kernarg_segment_align: 8
    .kernarg_segment_size: 384
    .language:       OpenCL C
    .language_version:
      - 2
      - 0
    .max_flat_workgroup_size: 1024
    .name:           _ZN4vllm25paged_attention_v1_kernelIthLi120ELi16ELi128ELNS_18Fp8KVCacheDataTypeE1ELb1EEEvPT_PKS2_PKT0_S8_ifPKiSA_iPKfiiiSC_SC_iiiii
    .private_segment_fixed_size: 0
    .sgpr_count:     46
    .sgpr_spill_count: 0
    .symbol:         _ZN4vllm25paged_attention_v1_kernelIthLi120ELi16ELi128ELNS_18Fp8KVCacheDataTypeE1ELb1EEEvPT_PKS2_PKT0_S8_ifPKiSA_iPKfiiiSC_SC_iiiii.kd
    .uniform_work_group_size: 1
    .uses_dynamic_stack: false
    .vgpr_count:     128
    .vgpr_spill_count: 0
    .wavefront_size: 32
    .workgroup_processor_mode: 1
  - .args:
      - .actual_access:  write_only
        .address_space:  global
        .offset:         0
        .size:           8
        .value_kind:     global_buffer
      - .actual_access:  read_only
        .address_space:  global
        .offset:         8
        .size:           8
        .value_kind:     global_buffer
      - .actual_access:  read_only
        .address_space:  global
        .offset:         16
        .size:           8
        .value_kind:     global_buffer
      - .actual_access:  read_only
        .address_space:  global
        .offset:         24
        .size:           8
        .value_kind:     global_buffer
      - .offset:         32
        .size:           4
        .value_kind:     by_value
      - .offset:         36
        .size:           4
        .value_kind:     by_value
      - .actual_access:  read_only
        .address_space:  global
        .offset:         40
        .size:           8
        .value_kind:     global_buffer
      - .actual_access:  read_only
        .address_space:  global
        .offset:         48
        .size:           8
        .value_kind:     global_buffer
      - .offset:         56
        .size:           4
        .value_kind:     by_value
      - .actual_access:  read_only
        .address_space:  global
        .offset:         64
        .size:           8
        .value_kind:     global_buffer
      - .offset:         72
        .size:           4
        .value_kind:     by_value
      - .offset:         76
        .size:           4
        .value_kind:     by_value
      - .offset:         80
        .size:           4
        .value_kind:     by_value
      - .address_space:  global
        .offset:         88
        .size:           8
        .value_kind:     global_buffer
      - .address_space:  global
        .offset:         96
        .size:           8
        .value_kind:     global_buffer
      - .offset:         104
        .size:           4
        .value_kind:     by_value
      - .offset:         108
        .size:           4
        .value_kind:     by_value
      - .offset:         112
        .size:           4
        .value_kind:     by_value
      - .offset:         116
        .size:           4
        .value_kind:     by_value
      - .offset:         120
        .size:           4
        .value_kind:     by_value
      - .offset:         128
        .size:           4
        .value_kind:     hidden_block_count_x
      - .offset:         132
        .size:           4
        .value_kind:     hidden_block_count_y
      - .offset:         136
        .size:           4
        .value_kind:     hidden_block_count_z
      - .offset:         140
        .size:           2
        .value_kind:     hidden_group_size_x
      - .offset:         142
        .size:           2
        .value_kind:     hidden_group_size_y
      - .offset:         144
        .size:           2
        .value_kind:     hidden_group_size_z
      - .offset:         146
        .size:           2
        .value_kind:     hidden_remainder_x
      - .offset:         148
        .size:           2
        .value_kind:     hidden_remainder_y
      - .offset:         150
        .size:           2
        .value_kind:     hidden_remainder_z
      - .offset:         168
        .size:           8
        .value_kind:     hidden_global_offset_x
      - .offset:         176
        .size:           8
        .value_kind:     hidden_global_offset_y
      - .offset:         184
        .size:           8
        .value_kind:     hidden_global_offset_z
      - .offset:         192
        .size:           2
        .value_kind:     hidden_grid_dims
      - .offset:         248
        .size:           4
        .value_kind:     hidden_dynamic_lds_size
    .group_segment_fixed_size: 288
    .kernarg_segment_align: 8
    .kernarg_segment_size: 384
    .language:       OpenCL C
    .language_version:
      - 2
      - 0
    .max_flat_workgroup_size: 1024
    .name:           _ZN4vllm25paged_attention_v1_kernelIthLi128ELi16ELi128ELNS_18Fp8KVCacheDataTypeE1ELb1EEEvPT_PKS2_PKT0_S8_ifPKiSA_iPKfiiiSC_SC_iiiii
    .private_segment_fixed_size: 8
    .sgpr_count:     54
    .sgpr_spill_count: 0
    .symbol:         _ZN4vllm25paged_attention_v1_kernelIthLi128ELi16ELi128ELNS_18Fp8KVCacheDataTypeE1ELb1EEEvPT_PKS2_PKT0_S8_ifPKiSA_iPKfiiiSC_SC_iiiii.kd
    .uniform_work_group_size: 1
    .uses_dynamic_stack: false
    .vgpr_count:     128
    .vgpr_spill_count: 1
    .wavefront_size: 32
    .workgroup_processor_mode: 1
  - .args:
      - .address_space:  global
        .offset:         0
        .size:           8
        .value_kind:     global_buffer
      - .address_space:  global
        .offset:         8
        .size:           8
        .value_kind:     global_buffer
      - .address_space:  global
        .offset:         16
        .size:           8
        .value_kind:     global_buffer
      - .address_space:  global
        .offset:         24
        .size:           8
        .value_kind:     global_buffer
      - .offset:         32
        .size:           4
        .value_kind:     by_value
      - .offset:         36
        .size:           4
        .value_kind:     by_value
      - .address_space:  global
        .offset:         40
        .size:           8
        .value_kind:     global_buffer
      - .address_space:  global
        .offset:         48
        .size:           8
        .value_kind:     global_buffer
      - .offset:         56
        .size:           4
        .value_kind:     by_value
      - .address_space:  global
        .offset:         64
        .size:           8
        .value_kind:     global_buffer
      - .offset:         72
        .size:           4
        .value_kind:     by_value
      - .offset:         76
        .size:           4
        .value_kind:     by_value
      - .offset:         80
        .size:           4
        .value_kind:     by_value
      - .address_space:  global
        .offset:         88
        .size:           8
        .value_kind:     global_buffer
      - .address_space:  global
        .offset:         96
        .size:           8
        .value_kind:     global_buffer
      - .offset:         104
        .size:           4
        .value_kind:     by_value
      - .offset:         108
        .size:           4
        .value_kind:     by_value
      - .offset:         112
        .size:           4
        .value_kind:     by_value
      - .offset:         116
        .size:           4
        .value_kind:     by_value
      - .offset:         120
        .size:           4
        .value_kind:     by_value
      - .offset:         128
        .size:           4
        .value_kind:     hidden_block_count_x
      - .offset:         132
        .size:           4
        .value_kind:     hidden_block_count_y
      - .offset:         136
        .size:           4
        .value_kind:     hidden_block_count_z
      - .offset:         140
        .size:           2
        .value_kind:     hidden_group_size_x
      - .offset:         142
        .size:           2
        .value_kind:     hidden_group_size_y
      - .offset:         144
        .size:           2
        .value_kind:     hidden_group_size_z
      - .offset:         146
        .size:           2
        .value_kind:     hidden_remainder_x
      - .offset:         148
        .size:           2
        .value_kind:     hidden_remainder_y
      - .offset:         150
        .size:           2
        .value_kind:     hidden_remainder_z
      - .offset:         168
        .size:           8
        .value_kind:     hidden_global_offset_x
      - .offset:         176
        .size:           8
        .value_kind:     hidden_global_offset_y
      - .offset:         184
        .size:           8
        .value_kind:     hidden_global_offset_z
      - .offset:         192
        .size:           2
        .value_kind:     hidden_grid_dims
      - .offset:         248
        .size:           4
        .value_kind:     hidden_dynamic_lds_size
    .group_segment_fixed_size: 416
    .kernarg_segment_align: 8
    .kernarg_segment_size: 384
    .language:       OpenCL C
    .language_version:
      - 2
      - 0
    .max_flat_workgroup_size: 1024
    .name:           _ZN4vllm25paged_attention_v1_kernelIthLi192ELi16ELi128ELNS_18Fp8KVCacheDataTypeE1ELb1EEEvPT_PKS2_PKT0_S8_ifPKiSA_iPKfiiiSC_SC_iiiii
    .private_segment_fixed_size: 316
    .sgpr_count:     46
    .sgpr_spill_count: 0
    .symbol:         _ZN4vllm25paged_attention_v1_kernelIthLi192ELi16ELi128ELNS_18Fp8KVCacheDataTypeE1ELb1EEEvPT_PKS2_PKT0_S8_ifPKiSA_iPKfiiiSC_SC_iiiii.kd
    .uniform_work_group_size: 1
    .uses_dynamic_stack: false
    .vgpr_count:     128
    .vgpr_spill_count: 0
    .wavefront_size: 32
    .workgroup_processor_mode: 1
  - .args:
      - .address_space:  global
        .offset:         0
        .size:           8
        .value_kind:     global_buffer
      - .address_space:  global
        .offset:         8
        .size:           8
        .value_kind:     global_buffer
      - .address_space:  global
        .offset:         16
        .size:           8
        .value_kind:     global_buffer
      - .address_space:  global
        .offset:         24
        .size:           8
        .value_kind:     global_buffer
      - .offset:         32
        .size:           4
        .value_kind:     by_value
      - .offset:         36
        .size:           4
        .value_kind:     by_value
      - .address_space:  global
        .offset:         40
        .size:           8
        .value_kind:     global_buffer
      - .address_space:  global
        .offset:         48
        .size:           8
        .value_kind:     global_buffer
      - .offset:         56
        .size:           4
        .value_kind:     by_value
      - .address_space:  global
        .offset:         64
        .size:           8
        .value_kind:     global_buffer
      - .offset:         72
        .size:           4
        .value_kind:     by_value
      - .offset:         76
        .size:           4
        .value_kind:     by_value
      - .offset:         80
        .size:           4
        .value_kind:     by_value
      - .address_space:  global
        .offset:         88
        .size:           8
        .value_kind:     global_buffer
      - .address_space:  global
        .offset:         96
        .size:           8
        .value_kind:     global_buffer
      - .offset:         104
        .size:           4
        .value_kind:     by_value
      - .offset:         108
        .size:           4
        .value_kind:     by_value
      - .offset:         112
        .size:           4
        .value_kind:     by_value
      - .offset:         116
        .size:           4
        .value_kind:     by_value
      - .offset:         120
        .size:           4
        .value_kind:     by_value
      - .offset:         128
        .size:           4
        .value_kind:     hidden_block_count_x
      - .offset:         132
        .size:           4
        .value_kind:     hidden_block_count_y
      - .offset:         136
        .size:           4
        .value_kind:     hidden_block_count_z
      - .offset:         140
        .size:           2
        .value_kind:     hidden_group_size_x
      - .offset:         142
        .size:           2
        .value_kind:     hidden_group_size_y
      - .offset:         144
        .size:           2
        .value_kind:     hidden_group_size_z
      - .offset:         146
        .size:           2
        .value_kind:     hidden_remainder_x
      - .offset:         148
        .size:           2
        .value_kind:     hidden_remainder_y
      - .offset:         150
        .size:           2
        .value_kind:     hidden_remainder_z
      - .offset:         168
        .size:           8
        .value_kind:     hidden_global_offset_x
      - .offset:         176
        .size:           8
        .value_kind:     hidden_global_offset_y
      - .offset:         184
        .size:           8
        .value_kind:     hidden_global_offset_z
      - .offset:         192
        .size:           2
        .value_kind:     hidden_grid_dims
      - .offset:         248
        .size:           4
        .value_kind:     hidden_dynamic_lds_size
    .group_segment_fixed_size: 544
    .kernarg_segment_align: 8
    .kernarg_segment_size: 384
    .language:       OpenCL C
    .language_version:
      - 2
      - 0
    .max_flat_workgroup_size: 1024
    .name:           _ZN4vllm25paged_attention_v1_kernelIthLi256ELi16ELi128ELNS_18Fp8KVCacheDataTypeE1ELb1EEEvPT_PKS2_PKT0_S8_ifPKiSA_iPKfiiiSC_SC_iiiii
    .private_segment_fixed_size: 496
    .sgpr_count:     46
    .sgpr_spill_count: 0
    .symbol:         _ZN4vllm25paged_attention_v1_kernelIthLi256ELi16ELi128ELNS_18Fp8KVCacheDataTypeE1ELb1EEEvPT_PKS2_PKT0_S8_ifPKiSA_iPKfiiiSC_SC_iiiii.kd
    .uniform_work_group_size: 1
    .uses_dynamic_stack: false
    .vgpr_count:     128
    .vgpr_spill_count: 0
    .wavefront_size: 32
    .workgroup_processor_mode: 1
  - .args:
      - .actual_access:  write_only
        .address_space:  global
        .offset:         0
        .size:           8
        .value_kind:     global_buffer
      - .actual_access:  read_only
        .address_space:  global
        .offset:         8
        .size:           8
        .value_kind:     global_buffer
      - .actual_access:  read_only
        .address_space:  global
        .offset:         16
        .size:           8
        .value_kind:     global_buffer
      - .actual_access:  read_only
        .address_space:  global
        .offset:         24
        .size:           8
        .value_kind:     global_buffer
      - .offset:         32
        .size:           4
        .value_kind:     by_value
      - .offset:         36
        .size:           4
        .value_kind:     by_value
      - .actual_access:  read_only
        .address_space:  global
        .offset:         40
        .size:           8
        .value_kind:     global_buffer
      - .actual_access:  read_only
        .address_space:  global
        .offset:         48
        .size:           8
        .value_kind:     global_buffer
      - .offset:         56
        .size:           4
        .value_kind:     by_value
      - .actual_access:  read_only
        .address_space:  global
        .offset:         64
        .size:           8
        .value_kind:     global_buffer
      - .offset:         72
        .size:           4
        .value_kind:     by_value
      - .offset:         76
        .size:           4
        .value_kind:     by_value
      - .offset:         80
        .size:           4
        .value_kind:     by_value
      - .address_space:  global
        .offset:         88
        .size:           8
        .value_kind:     global_buffer
      - .address_space:  global
        .offset:         96
        .size:           8
        .value_kind:     global_buffer
      - .offset:         104
        .size:           4
        .value_kind:     by_value
      - .offset:         108
        .size:           4
        .value_kind:     by_value
      - .offset:         112
        .size:           4
        .value_kind:     by_value
      - .offset:         116
        .size:           4
        .value_kind:     by_value
      - .offset:         120
        .size:           4
        .value_kind:     by_value
      - .offset:         128
        .size:           4
        .value_kind:     hidden_block_count_x
      - .offset:         132
        .size:           4
        .value_kind:     hidden_block_count_y
      - .offset:         136
        .size:           4
        .value_kind:     hidden_block_count_z
      - .offset:         140
        .size:           2
        .value_kind:     hidden_group_size_x
      - .offset:         142
        .size:           2
        .value_kind:     hidden_group_size_y
      - .offset:         144
        .size:           2
        .value_kind:     hidden_group_size_z
      - .offset:         146
        .size:           2
        .value_kind:     hidden_remainder_x
      - .offset:         148
        .size:           2
        .value_kind:     hidden_remainder_y
      - .offset:         150
        .size:           2
        .value_kind:     hidden_remainder_z
      - .offset:         168
        .size:           8
        .value_kind:     hidden_global_offset_x
      - .offset:         176
        .size:           8
        .value_kind:     hidden_global_offset_y
      - .offset:         184
        .size:           8
        .value_kind:     hidden_global_offset_z
      - .offset:         192
        .size:           2
        .value_kind:     hidden_grid_dims
      - .offset:         248
        .size:           4
        .value_kind:     hidden_dynamic_lds_size
    .group_segment_fixed_size: 96
    .kernarg_segment_align: 8
    .kernarg_segment_size: 384
    .language:       OpenCL C
    .language_version:
      - 2
      - 0
    .max_flat_workgroup_size: 1024
    .name:           _ZN4vllm25paged_attention_v1_kernelIthLi32ELi16ELi128ELNS_18Fp8KVCacheDataTypeE1ELb0EEEvPT_PKS2_PKT0_S8_ifPKiSA_iPKfiiiSC_SC_iiiii
    .private_segment_fixed_size: 0
    .sgpr_count:     37
    .sgpr_spill_count: 0
    .symbol:         _ZN4vllm25paged_attention_v1_kernelIthLi32ELi16ELi128ELNS_18Fp8KVCacheDataTypeE1ELb0EEEvPT_PKS2_PKT0_S8_ifPKiSA_iPKfiiiSC_SC_iiiii.kd
    .uniform_work_group_size: 1
    .uses_dynamic_stack: false
    .vgpr_count:     53
    .vgpr_spill_count: 0
    .wavefront_size: 32
    .workgroup_processor_mode: 1
  - .args:
      - .actual_access:  write_only
        .address_space:  global
        .offset:         0
        .size:           8
        .value_kind:     global_buffer
      - .actual_access:  read_only
        .address_space:  global
        .offset:         8
        .size:           8
        .value_kind:     global_buffer
      - .actual_access:  read_only
        .address_space:  global
        .offset:         16
        .size:           8
        .value_kind:     global_buffer
      - .actual_access:  read_only
        .address_space:  global
        .offset:         24
        .size:           8
        .value_kind:     global_buffer
      - .offset:         32
        .size:           4
        .value_kind:     by_value
      - .offset:         36
        .size:           4
        .value_kind:     by_value
      - .actual_access:  read_only
        .address_space:  global
        .offset:         40
        .size:           8
        .value_kind:     global_buffer
      - .actual_access:  read_only
        .address_space:  global
        .offset:         48
        .size:           8
        .value_kind:     global_buffer
      - .offset:         56
        .size:           4
        .value_kind:     by_value
      - .actual_access:  read_only
        .address_space:  global
        .offset:         64
        .size:           8
        .value_kind:     global_buffer
      - .offset:         72
        .size:           4
        .value_kind:     by_value
      - .offset:         76
        .size:           4
        .value_kind:     by_value
      - .offset:         80
        .size:           4
        .value_kind:     by_value
      - .address_space:  global
        .offset:         88
        .size:           8
        .value_kind:     global_buffer
      - .address_space:  global
        .offset:         96
        .size:           8
        .value_kind:     global_buffer
      - .offset:         104
        .size:           4
        .value_kind:     by_value
      - .offset:         108
        .size:           4
        .value_kind:     by_value
      - .offset:         112
        .size:           4
        .value_kind:     by_value
      - .offset:         116
        .size:           4
        .value_kind:     by_value
      - .offset:         120
        .size:           4
        .value_kind:     by_value
      - .offset:         128
        .size:           4
        .value_kind:     hidden_block_count_x
      - .offset:         132
        .size:           4
        .value_kind:     hidden_block_count_y
      - .offset:         136
        .size:           4
        .value_kind:     hidden_block_count_z
      - .offset:         140
        .size:           2
        .value_kind:     hidden_group_size_x
      - .offset:         142
        .size:           2
        .value_kind:     hidden_group_size_y
      - .offset:         144
        .size:           2
        .value_kind:     hidden_group_size_z
      - .offset:         146
        .size:           2
        .value_kind:     hidden_remainder_x
      - .offset:         148
        .size:           2
        .value_kind:     hidden_remainder_y
      - .offset:         150
        .size:           2
        .value_kind:     hidden_remainder_z
      - .offset:         168
        .size:           8
        .value_kind:     hidden_global_offset_x
      - .offset:         176
        .size:           8
        .value_kind:     hidden_global_offset_y
      - .offset:         184
        .size:           8
        .value_kind:     hidden_global_offset_z
      - .offset:         192
        .size:           2
        .value_kind:     hidden_grid_dims
      - .offset:         248
        .size:           4
        .value_kind:     hidden_dynamic_lds_size
    .group_segment_fixed_size: 160
    .kernarg_segment_align: 8
    .kernarg_segment_size: 384
    .language:       OpenCL C
    .language_version:
      - 2
      - 0
    .max_flat_workgroup_size: 1024
    .name:           _ZN4vllm25paged_attention_v1_kernelIthLi64ELi16ELi128ELNS_18Fp8KVCacheDataTypeE1ELb0EEEvPT_PKS2_PKT0_S8_ifPKiSA_iPKfiiiSC_SC_iiiii
    .private_segment_fixed_size: 0
    .sgpr_count:     37
    .sgpr_spill_count: 0
    .symbol:         _ZN4vllm25paged_attention_v1_kernelIthLi64ELi16ELi128ELNS_18Fp8KVCacheDataTypeE1ELb0EEEvPT_PKS2_PKT0_S8_ifPKiSA_iPKfiiiSC_SC_iiiii.kd
    .uniform_work_group_size: 1
    .uses_dynamic_stack: false
    .vgpr_count:     82
    .vgpr_spill_count: 0
    .wavefront_size: 32
    .workgroup_processor_mode: 1
  - .args:
      - .actual_access:  write_only
        .address_space:  global
        .offset:         0
        .size:           8
        .value_kind:     global_buffer
      - .actual_access:  read_only
        .address_space:  global
        .offset:         8
        .size:           8
        .value_kind:     global_buffer
      - .actual_access:  read_only
        .address_space:  global
        .offset:         16
        .size:           8
        .value_kind:     global_buffer
      - .actual_access:  read_only
        .address_space:  global
        .offset:         24
        .size:           8
        .value_kind:     global_buffer
      - .offset:         32
        .size:           4
        .value_kind:     by_value
      - .offset:         36
        .size:           4
        .value_kind:     by_value
      - .actual_access:  read_only
        .address_space:  global
        .offset:         40
        .size:           8
        .value_kind:     global_buffer
      - .actual_access:  read_only
        .address_space:  global
        .offset:         48
        .size:           8
        .value_kind:     global_buffer
      - .offset:         56
        .size:           4
        .value_kind:     by_value
      - .actual_access:  read_only
        .address_space:  global
        .offset:         64
        .size:           8
        .value_kind:     global_buffer
      - .offset:         72
        .size:           4
        .value_kind:     by_value
      - .offset:         76
        .size:           4
        .value_kind:     by_value
      - .offset:         80
        .size:           4
        .value_kind:     by_value
      - .address_space:  global
        .offset:         88
        .size:           8
        .value_kind:     global_buffer
      - .address_space:  global
        .offset:         96
        .size:           8
        .value_kind:     global_buffer
      - .offset:         104
        .size:           4
        .value_kind:     by_value
      - .offset:         108
        .size:           4
        .value_kind:     by_value
      - .offset:         112
        .size:           4
        .value_kind:     by_value
      - .offset:         116
        .size:           4
        .value_kind:     by_value
      - .offset:         120
        .size:           4
        .value_kind:     by_value
      - .offset:         128
        .size:           4
        .value_kind:     hidden_block_count_x
      - .offset:         132
        .size:           4
        .value_kind:     hidden_block_count_y
      - .offset:         136
        .size:           4
        .value_kind:     hidden_block_count_z
      - .offset:         140
        .size:           2
        .value_kind:     hidden_group_size_x
      - .offset:         142
        .size:           2
        .value_kind:     hidden_group_size_y
      - .offset:         144
        .size:           2
        .value_kind:     hidden_group_size_z
      - .offset:         146
        .size:           2
        .value_kind:     hidden_remainder_x
      - .offset:         148
        .size:           2
        .value_kind:     hidden_remainder_y
      - .offset:         150
        .size:           2
        .value_kind:     hidden_remainder_z
      - .offset:         168
        .size:           8
        .value_kind:     hidden_global_offset_x
      - .offset:         176
        .size:           8
        .value_kind:     hidden_global_offset_y
      - .offset:         184
        .size:           8
        .value_kind:     hidden_global_offset_z
      - .offset:         192
        .size:           2
        .value_kind:     hidden_grid_dims
      - .offset:         248
        .size:           4
        .value_kind:     hidden_dynamic_lds_size
    .group_segment_fixed_size: 192
    .kernarg_segment_align: 8
    .kernarg_segment_size: 384
    .language:       OpenCL C
    .language_version:
      - 2
      - 0
    .max_flat_workgroup_size: 1024
    .name:           _ZN4vllm25paged_attention_v1_kernelIthLi80ELi16ELi128ELNS_18Fp8KVCacheDataTypeE1ELb0EEEvPT_PKS2_PKT0_S8_ifPKiSA_iPKfiiiSC_SC_iiiii
    .private_segment_fixed_size: 0
    .sgpr_count:     37
    .sgpr_spill_count: 0
    .symbol:         _ZN4vllm25paged_attention_v1_kernelIthLi80ELi16ELi128ELNS_18Fp8KVCacheDataTypeE1ELb0EEEvPT_PKS2_PKT0_S8_ifPKiSA_iPKfiiiSC_SC_iiiii.kd
    .uniform_work_group_size: 1
    .uses_dynamic_stack: false
    .vgpr_count:     97
    .vgpr_spill_count: 0
    .wavefront_size: 32
    .workgroup_processor_mode: 1
  - .args:
      - .actual_access:  write_only
        .address_space:  global
        .offset:         0
        .size:           8
        .value_kind:     global_buffer
      - .actual_access:  read_only
        .address_space:  global
        .offset:         8
        .size:           8
        .value_kind:     global_buffer
      - .actual_access:  read_only
        .address_space:  global
        .offset:         16
        .size:           8
        .value_kind:     global_buffer
      - .actual_access:  read_only
        .address_space:  global
        .offset:         24
        .size:           8
        .value_kind:     global_buffer
      - .offset:         32
        .size:           4
        .value_kind:     by_value
      - .offset:         36
        .size:           4
        .value_kind:     by_value
      - .actual_access:  read_only
        .address_space:  global
        .offset:         40
        .size:           8
        .value_kind:     global_buffer
      - .actual_access:  read_only
        .address_space:  global
        .offset:         48
        .size:           8
        .value_kind:     global_buffer
      - .offset:         56
        .size:           4
        .value_kind:     by_value
      - .actual_access:  read_only
        .address_space:  global
        .offset:         64
        .size:           8
        .value_kind:     global_buffer
      - .offset:         72
        .size:           4
        .value_kind:     by_value
      - .offset:         76
        .size:           4
        .value_kind:     by_value
      - .offset:         80
        .size:           4
        .value_kind:     by_value
      - .address_space:  global
        .offset:         88
        .size:           8
        .value_kind:     global_buffer
      - .address_space:  global
        .offset:         96
        .size:           8
        .value_kind:     global_buffer
      - .offset:         104
        .size:           4
        .value_kind:     by_value
      - .offset:         108
        .size:           4
        .value_kind:     by_value
      - .offset:         112
        .size:           4
        .value_kind:     by_value
      - .offset:         116
        .size:           4
        .value_kind:     by_value
      - .offset:         120
        .size:           4
        .value_kind:     by_value
      - .offset:         128
        .size:           4
        .value_kind:     hidden_block_count_x
      - .offset:         132
        .size:           4
        .value_kind:     hidden_block_count_y
      - .offset:         136
        .size:           4
        .value_kind:     hidden_block_count_z
      - .offset:         140
        .size:           2
        .value_kind:     hidden_group_size_x
      - .offset:         142
        .size:           2
        .value_kind:     hidden_group_size_y
      - .offset:         144
        .size:           2
        .value_kind:     hidden_group_size_z
      - .offset:         146
        .size:           2
        .value_kind:     hidden_remainder_x
      - .offset:         148
        .size:           2
        .value_kind:     hidden_remainder_y
      - .offset:         150
        .size:           2
        .value_kind:     hidden_remainder_z
      - .offset:         168
        .size:           8
        .value_kind:     hidden_global_offset_x
      - .offset:         176
        .size:           8
        .value_kind:     hidden_global_offset_y
      - .offset:         184
        .size:           8
        .value_kind:     hidden_global_offset_z
      - .offset:         192
        .size:           2
        .value_kind:     hidden_grid_dims
      - .offset:         248
        .size:           4
        .value_kind:     hidden_dynamic_lds_size
    .group_segment_fixed_size: 224
    .kernarg_segment_align: 8
    .kernarg_segment_size: 384
    .language:       OpenCL C
    .language_version:
      - 2
      - 0
    .max_flat_workgroup_size: 1024
    .name:           _ZN4vllm25paged_attention_v1_kernelIthLi96ELi16ELi128ELNS_18Fp8KVCacheDataTypeE1ELb0EEEvPT_PKS2_PKT0_S8_ifPKiSA_iPKfiiiSC_SC_iiiii
    .private_segment_fixed_size: 0
    .sgpr_count:     37
    .sgpr_spill_count: 0
    .symbol:         _ZN4vllm25paged_attention_v1_kernelIthLi96ELi16ELi128ELNS_18Fp8KVCacheDataTypeE1ELb0EEEvPT_PKS2_PKT0_S8_ifPKiSA_iPKfiiiSC_SC_iiiii.kd
    .uniform_work_group_size: 1
    .uses_dynamic_stack: false
    .vgpr_count:     110
    .vgpr_spill_count: 0
    .wavefront_size: 32
    .workgroup_processor_mode: 1
  - .args:
      - .actual_access:  write_only
        .address_space:  global
        .offset:         0
        .size:           8
        .value_kind:     global_buffer
      - .actual_access:  read_only
        .address_space:  global
        .offset:         8
        .size:           8
        .value_kind:     global_buffer
      - .actual_access:  read_only
        .address_space:  global
        .offset:         16
        .size:           8
        .value_kind:     global_buffer
      - .actual_access:  read_only
        .address_space:  global
        .offset:         24
        .size:           8
        .value_kind:     global_buffer
      - .offset:         32
        .size:           4
        .value_kind:     by_value
      - .offset:         36
        .size:           4
        .value_kind:     by_value
      - .actual_access:  read_only
        .address_space:  global
        .offset:         40
        .size:           8
        .value_kind:     global_buffer
      - .actual_access:  read_only
        .address_space:  global
        .offset:         48
        .size:           8
        .value_kind:     global_buffer
      - .offset:         56
        .size:           4
        .value_kind:     by_value
      - .actual_access:  read_only
        .address_space:  global
        .offset:         64
        .size:           8
        .value_kind:     global_buffer
      - .offset:         72
        .size:           4
        .value_kind:     by_value
      - .offset:         76
        .size:           4
        .value_kind:     by_value
      - .offset:         80
        .size:           4
        .value_kind:     by_value
      - .address_space:  global
        .offset:         88
        .size:           8
        .value_kind:     global_buffer
      - .address_space:  global
        .offset:         96
        .size:           8
        .value_kind:     global_buffer
      - .offset:         104
        .size:           4
        .value_kind:     by_value
      - .offset:         108
        .size:           4
        .value_kind:     by_value
      - .offset:         112
        .size:           4
        .value_kind:     by_value
      - .offset:         116
        .size:           4
        .value_kind:     by_value
      - .offset:         120
        .size:           4
        .value_kind:     by_value
      - .offset:         128
        .size:           4
        .value_kind:     hidden_block_count_x
      - .offset:         132
        .size:           4
        .value_kind:     hidden_block_count_y
      - .offset:         136
        .size:           4
        .value_kind:     hidden_block_count_z
      - .offset:         140
        .size:           2
        .value_kind:     hidden_group_size_x
      - .offset:         142
        .size:           2
        .value_kind:     hidden_group_size_y
      - .offset:         144
        .size:           2
        .value_kind:     hidden_group_size_z
      - .offset:         146
        .size:           2
        .value_kind:     hidden_remainder_x
      - .offset:         148
        .size:           2
        .value_kind:     hidden_remainder_y
      - .offset:         150
        .size:           2
        .value_kind:     hidden_remainder_z
      - .offset:         168
        .size:           8
        .value_kind:     hidden_global_offset_x
      - .offset:         176
        .size:           8
        .value_kind:     hidden_global_offset_y
      - .offset:         184
        .size:           8
        .value_kind:     hidden_global_offset_z
      - .offset:         192
        .size:           2
        .value_kind:     hidden_grid_dims
      - .offset:         248
        .size:           4
        .value_kind:     hidden_dynamic_lds_size
    .group_segment_fixed_size: 256
    .kernarg_segment_align: 8
    .kernarg_segment_size: 384
    .language:       OpenCL C
    .language_version:
      - 2
      - 0
    .max_flat_workgroup_size: 1024
    .name:           _ZN4vllm25paged_attention_v1_kernelIthLi112ELi16ELi128ELNS_18Fp8KVCacheDataTypeE1ELb0EEEvPT_PKS2_PKT0_S8_ifPKiSA_iPKfiiiSC_SC_iiiii
    .private_segment_fixed_size: 0
    .sgpr_count:     37
    .sgpr_spill_count: 0
    .symbol:         _ZN4vllm25paged_attention_v1_kernelIthLi112ELi16ELi128ELNS_18Fp8KVCacheDataTypeE1ELb0EEEvPT_PKS2_PKT0_S8_ifPKiSA_iPKfiiiSC_SC_iiiii.kd
    .uniform_work_group_size: 1
    .uses_dynamic_stack: false
    .vgpr_count:     126
    .vgpr_spill_count: 0
    .wavefront_size: 32
    .workgroup_processor_mode: 1
  - .args:
      - .actual_access:  write_only
        .address_space:  global
        .offset:         0
        .size:           8
        .value_kind:     global_buffer
      - .actual_access:  read_only
        .address_space:  global
        .offset:         8
        .size:           8
        .value_kind:     global_buffer
      - .actual_access:  read_only
        .address_space:  global
        .offset:         16
        .size:           8
        .value_kind:     global_buffer
      - .actual_access:  read_only
        .address_space:  global
        .offset:         24
        .size:           8
        .value_kind:     global_buffer
      - .offset:         32
        .size:           4
        .value_kind:     by_value
      - .offset:         36
        .size:           4
        .value_kind:     by_value
      - .actual_access:  read_only
        .address_space:  global
        .offset:         40
        .size:           8
        .value_kind:     global_buffer
      - .actual_access:  read_only
        .address_space:  global
        .offset:         48
        .size:           8
        .value_kind:     global_buffer
      - .offset:         56
        .size:           4
        .value_kind:     by_value
      - .actual_access:  read_only
        .address_space:  global
        .offset:         64
        .size:           8
        .value_kind:     global_buffer
      - .offset:         72
        .size:           4
        .value_kind:     by_value
      - .offset:         76
        .size:           4
        .value_kind:     by_value
      - .offset:         80
        .size:           4
        .value_kind:     by_value
      - .address_space:  global
        .offset:         88
        .size:           8
        .value_kind:     global_buffer
      - .address_space:  global
        .offset:         96
        .size:           8
        .value_kind:     global_buffer
      - .offset:         104
        .size:           4
        .value_kind:     by_value
      - .offset:         108
        .size:           4
        .value_kind:     by_value
      - .offset:         112
        .size:           4
        .value_kind:     by_value
      - .offset:         116
        .size:           4
        .value_kind:     by_value
      - .offset:         120
        .size:           4
        .value_kind:     by_value
      - .offset:         128
        .size:           4
        .value_kind:     hidden_block_count_x
      - .offset:         132
        .size:           4
        .value_kind:     hidden_block_count_y
      - .offset:         136
        .size:           4
        .value_kind:     hidden_block_count_z
      - .offset:         140
        .size:           2
        .value_kind:     hidden_group_size_x
      - .offset:         142
        .size:           2
        .value_kind:     hidden_group_size_y
      - .offset:         144
        .size:           2
        .value_kind:     hidden_group_size_z
      - .offset:         146
        .size:           2
        .value_kind:     hidden_remainder_x
      - .offset:         148
        .size:           2
        .value_kind:     hidden_remainder_y
      - .offset:         150
        .size:           2
        .value_kind:     hidden_remainder_z
      - .offset:         168
        .size:           8
        .value_kind:     hidden_global_offset_x
      - .offset:         176
        .size:           8
        .value_kind:     hidden_global_offset_y
      - .offset:         184
        .size:           8
        .value_kind:     hidden_global_offset_z
      - .offset:         192
        .size:           2
        .value_kind:     hidden_grid_dims
      - .offset:         248
        .size:           4
        .value_kind:     hidden_dynamic_lds_size
    .group_segment_fixed_size: 272
    .kernarg_segment_align: 8
    .kernarg_segment_size: 384
    .language:       OpenCL C
    .language_version:
      - 2
      - 0
    .max_flat_workgroup_size: 1024
    .name:           _ZN4vllm25paged_attention_v1_kernelIthLi120ELi16ELi128ELNS_18Fp8KVCacheDataTypeE1ELb0EEEvPT_PKS2_PKT0_S8_ifPKiSA_iPKfiiiSC_SC_iiiii
    .private_segment_fixed_size: 0
    .sgpr_count:     37
    .sgpr_spill_count: 0
    .symbol:         _ZN4vllm25paged_attention_v1_kernelIthLi120ELi16ELi128ELNS_18Fp8KVCacheDataTypeE1ELb0EEEvPT_PKS2_PKT0_S8_ifPKiSA_iPKfiiiSC_SC_iiiii.kd
    .uniform_work_group_size: 1
    .uses_dynamic_stack: false
    .vgpr_count:     126
    .vgpr_spill_count: 0
    .wavefront_size: 32
    .workgroup_processor_mode: 1
  - .args:
      - .actual_access:  write_only
        .address_space:  global
        .offset:         0
        .size:           8
        .value_kind:     global_buffer
      - .actual_access:  read_only
        .address_space:  global
        .offset:         8
        .size:           8
        .value_kind:     global_buffer
      - .actual_access:  read_only
        .address_space:  global
        .offset:         16
        .size:           8
        .value_kind:     global_buffer
      - .actual_access:  read_only
        .address_space:  global
        .offset:         24
        .size:           8
        .value_kind:     global_buffer
      - .offset:         32
        .size:           4
        .value_kind:     by_value
      - .offset:         36
        .size:           4
        .value_kind:     by_value
      - .actual_access:  read_only
        .address_space:  global
        .offset:         40
        .size:           8
        .value_kind:     global_buffer
      - .actual_access:  read_only
        .address_space:  global
        .offset:         48
        .size:           8
        .value_kind:     global_buffer
      - .offset:         56
        .size:           4
        .value_kind:     by_value
      - .actual_access:  read_only
        .address_space:  global
        .offset:         64
        .size:           8
        .value_kind:     global_buffer
      - .offset:         72
        .size:           4
        .value_kind:     by_value
      - .offset:         76
        .size:           4
        .value_kind:     by_value
      - .offset:         80
        .size:           4
        .value_kind:     by_value
      - .address_space:  global
        .offset:         88
        .size:           8
        .value_kind:     global_buffer
      - .address_space:  global
        .offset:         96
        .size:           8
        .value_kind:     global_buffer
      - .offset:         104
        .size:           4
        .value_kind:     by_value
      - .offset:         108
        .size:           4
        .value_kind:     by_value
      - .offset:         112
        .size:           4
        .value_kind:     by_value
      - .offset:         116
        .size:           4
        .value_kind:     by_value
      - .offset:         120
        .size:           4
        .value_kind:     by_value
      - .offset:         128
        .size:           4
        .value_kind:     hidden_block_count_x
      - .offset:         132
        .size:           4
        .value_kind:     hidden_block_count_y
      - .offset:         136
        .size:           4
        .value_kind:     hidden_block_count_z
      - .offset:         140
        .size:           2
        .value_kind:     hidden_group_size_x
      - .offset:         142
        .size:           2
        .value_kind:     hidden_group_size_y
      - .offset:         144
        .size:           2
        .value_kind:     hidden_group_size_z
      - .offset:         146
        .size:           2
        .value_kind:     hidden_remainder_x
      - .offset:         148
        .size:           2
        .value_kind:     hidden_remainder_y
      - .offset:         150
        .size:           2
        .value_kind:     hidden_remainder_z
      - .offset:         168
        .size:           8
        .value_kind:     hidden_global_offset_x
      - .offset:         176
        .size:           8
        .value_kind:     hidden_global_offset_y
      - .offset:         184
        .size:           8
        .value_kind:     hidden_global_offset_z
      - .offset:         192
        .size:           2
        .value_kind:     hidden_grid_dims
      - .offset:         248
        .size:           4
        .value_kind:     hidden_dynamic_lds_size
    .group_segment_fixed_size: 288
    .kernarg_segment_align: 8
    .kernarg_segment_size: 384
    .language:       OpenCL C
    .language_version:
      - 2
      - 0
    .max_flat_workgroup_size: 1024
    .name:           _ZN4vllm25paged_attention_v1_kernelIthLi128ELi16ELi128ELNS_18Fp8KVCacheDataTypeE1ELb0EEEvPT_PKS2_PKT0_S8_ifPKiSA_iPKfiiiSC_SC_iiiii
    .private_segment_fixed_size: 0
    .sgpr_count:     38
    .sgpr_spill_count: 0
    .symbol:         _ZN4vllm25paged_attention_v1_kernelIthLi128ELi16ELi128ELNS_18Fp8KVCacheDataTypeE1ELb0EEEvPT_PKS2_PKT0_S8_ifPKiSA_iPKfiiiSC_SC_iiiii.kd
    .uniform_work_group_size: 1
    .uses_dynamic_stack: false
    .vgpr_count:     127
    .vgpr_spill_count: 0
    .wavefront_size: 32
    .workgroup_processor_mode: 1
  - .args:
      - .address_space:  global
        .offset:         0
        .size:           8
        .value_kind:     global_buffer
      - .address_space:  global
        .offset:         8
        .size:           8
        .value_kind:     global_buffer
      - .address_space:  global
        .offset:         16
        .size:           8
        .value_kind:     global_buffer
      - .address_space:  global
        .offset:         24
        .size:           8
        .value_kind:     global_buffer
      - .offset:         32
        .size:           4
        .value_kind:     by_value
      - .offset:         36
        .size:           4
        .value_kind:     by_value
      - .address_space:  global
        .offset:         40
        .size:           8
        .value_kind:     global_buffer
      - .address_space:  global
        .offset:         48
        .size:           8
        .value_kind:     global_buffer
      - .offset:         56
        .size:           4
        .value_kind:     by_value
      - .address_space:  global
        .offset:         64
        .size:           8
        .value_kind:     global_buffer
      - .offset:         72
        .size:           4
        .value_kind:     by_value
      - .offset:         76
        .size:           4
        .value_kind:     by_value
      - .offset:         80
        .size:           4
        .value_kind:     by_value
      - .address_space:  global
        .offset:         88
        .size:           8
        .value_kind:     global_buffer
      - .address_space:  global
        .offset:         96
        .size:           8
        .value_kind:     global_buffer
      - .offset:         104
        .size:           4
        .value_kind:     by_value
      - .offset:         108
        .size:           4
        .value_kind:     by_value
      - .offset:         112
        .size:           4
        .value_kind:     by_value
      - .offset:         116
        .size:           4
        .value_kind:     by_value
      - .offset:         120
        .size:           4
        .value_kind:     by_value
      - .offset:         128
        .size:           4
        .value_kind:     hidden_block_count_x
      - .offset:         132
        .size:           4
        .value_kind:     hidden_block_count_y
      - .offset:         136
        .size:           4
        .value_kind:     hidden_block_count_z
      - .offset:         140
        .size:           2
        .value_kind:     hidden_group_size_x
      - .offset:         142
        .size:           2
        .value_kind:     hidden_group_size_y
      - .offset:         144
        .size:           2
        .value_kind:     hidden_group_size_z
      - .offset:         146
        .size:           2
        .value_kind:     hidden_remainder_x
      - .offset:         148
        .size:           2
        .value_kind:     hidden_remainder_y
      - .offset:         150
        .size:           2
        .value_kind:     hidden_remainder_z
      - .offset:         168
        .size:           8
        .value_kind:     hidden_global_offset_x
      - .offset:         176
        .size:           8
        .value_kind:     hidden_global_offset_y
      - .offset:         184
        .size:           8
        .value_kind:     hidden_global_offset_z
      - .offset:         192
        .size:           2
        .value_kind:     hidden_grid_dims
      - .offset:         248
        .size:           4
        .value_kind:     hidden_dynamic_lds_size
    .group_segment_fixed_size: 416
    .kernarg_segment_align: 8
    .kernarg_segment_size: 384
    .language:       OpenCL C
    .language_version:
      - 2
      - 0
    .max_flat_workgroup_size: 1024
    .name:           _ZN4vllm25paged_attention_v1_kernelIthLi192ELi16ELi128ELNS_18Fp8KVCacheDataTypeE1ELb0EEEvPT_PKS2_PKT0_S8_ifPKiSA_iPKfiiiSC_SC_iiiii
    .private_segment_fixed_size: 276
    .sgpr_count:     42
    .sgpr_spill_count: 0
    .symbol:         _ZN4vllm25paged_attention_v1_kernelIthLi192ELi16ELi128ELNS_18Fp8KVCacheDataTypeE1ELb0EEEvPT_PKS2_PKT0_S8_ifPKiSA_iPKfiiiSC_SC_iiiii.kd
    .uniform_work_group_size: 1
    .uses_dynamic_stack: false
    .vgpr_count:     128
    .vgpr_spill_count: 0
    .wavefront_size: 32
    .workgroup_processor_mode: 1
  - .args:
      - .address_space:  global
        .offset:         0
        .size:           8
        .value_kind:     global_buffer
      - .address_space:  global
        .offset:         8
        .size:           8
        .value_kind:     global_buffer
      - .address_space:  global
        .offset:         16
        .size:           8
        .value_kind:     global_buffer
      - .address_space:  global
        .offset:         24
        .size:           8
        .value_kind:     global_buffer
      - .offset:         32
        .size:           4
        .value_kind:     by_value
      - .offset:         36
        .size:           4
        .value_kind:     by_value
      - .address_space:  global
        .offset:         40
        .size:           8
        .value_kind:     global_buffer
      - .address_space:  global
        .offset:         48
        .size:           8
        .value_kind:     global_buffer
      - .offset:         56
        .size:           4
        .value_kind:     by_value
      - .address_space:  global
        .offset:         64
        .size:           8
        .value_kind:     global_buffer
      - .offset:         72
        .size:           4
        .value_kind:     by_value
      - .offset:         76
        .size:           4
        .value_kind:     by_value
      - .offset:         80
        .size:           4
        .value_kind:     by_value
      - .address_space:  global
        .offset:         88
        .size:           8
        .value_kind:     global_buffer
      - .address_space:  global
        .offset:         96
        .size:           8
        .value_kind:     global_buffer
      - .offset:         104
        .size:           4
        .value_kind:     by_value
      - .offset:         108
        .size:           4
        .value_kind:     by_value
      - .offset:         112
        .size:           4
        .value_kind:     by_value
      - .offset:         116
        .size:           4
        .value_kind:     by_value
      - .offset:         120
        .size:           4
        .value_kind:     by_value
      - .offset:         128
        .size:           4
        .value_kind:     hidden_block_count_x
      - .offset:         132
        .size:           4
        .value_kind:     hidden_block_count_y
      - .offset:         136
        .size:           4
        .value_kind:     hidden_block_count_z
      - .offset:         140
        .size:           2
        .value_kind:     hidden_group_size_x
      - .offset:         142
        .size:           2
        .value_kind:     hidden_group_size_y
      - .offset:         144
        .size:           2
        .value_kind:     hidden_group_size_z
      - .offset:         146
        .size:           2
        .value_kind:     hidden_remainder_x
      - .offset:         148
        .size:           2
        .value_kind:     hidden_remainder_y
      - .offset:         150
        .size:           2
        .value_kind:     hidden_remainder_z
      - .offset:         168
        .size:           8
        .value_kind:     hidden_global_offset_x
      - .offset:         176
        .size:           8
        .value_kind:     hidden_global_offset_y
      - .offset:         184
        .size:           8
        .value_kind:     hidden_global_offset_z
      - .offset:         192
        .size:           2
        .value_kind:     hidden_grid_dims
      - .offset:         248
        .size:           4
        .value_kind:     hidden_dynamic_lds_size
    .group_segment_fixed_size: 544
    .kernarg_segment_align: 8
    .kernarg_segment_size: 384
    .language:       OpenCL C
    .language_version:
      - 2
      - 0
    .max_flat_workgroup_size: 1024
    .name:           _ZN4vllm25paged_attention_v1_kernelIthLi256ELi16ELi128ELNS_18Fp8KVCacheDataTypeE1ELb0EEEvPT_PKS2_PKT0_S8_ifPKiSA_iPKfiiiSC_SC_iiiii
    .private_segment_fixed_size: 436
    .sgpr_count:     42
    .sgpr_spill_count: 0
    .symbol:         _ZN4vllm25paged_attention_v1_kernelIthLi256ELi16ELi128ELNS_18Fp8KVCacheDataTypeE1ELb0EEEvPT_PKS2_PKT0_S8_ifPKiSA_iPKfiiiSC_SC_iiiii.kd
    .uniform_work_group_size: 1
    .uses_dynamic_stack: false
    .vgpr_count:     128
    .vgpr_spill_count: 0
    .wavefront_size: 32
    .workgroup_processor_mode: 1
  - .args:
      - .actual_access:  write_only
        .address_space:  global
        .offset:         0
        .size:           8
        .value_kind:     global_buffer
      - .actual_access:  read_only
        .address_space:  global
        .offset:         8
        .size:           8
        .value_kind:     global_buffer
      - .actual_access:  read_only
        .address_space:  global
        .offset:         16
        .size:           8
        .value_kind:     global_buffer
      - .actual_access:  read_only
        .address_space:  global
        .offset:         24
        .size:           8
        .value_kind:     global_buffer
      - .offset:         32
        .size:           4
        .value_kind:     by_value
      - .offset:         36
        .size:           4
        .value_kind:     by_value
      - .actual_access:  read_only
        .address_space:  global
        .offset:         40
        .size:           8
        .value_kind:     global_buffer
      - .actual_access:  read_only
        .address_space:  global
        .offset:         48
        .size:           8
        .value_kind:     global_buffer
      - .offset:         56
        .size:           4
        .value_kind:     by_value
      - .actual_access:  read_only
        .address_space:  global
        .offset:         64
        .size:           8
        .value_kind:     global_buffer
      - .offset:         72
        .size:           4
        .value_kind:     by_value
      - .offset:         76
        .size:           4
        .value_kind:     by_value
      - .offset:         80
        .size:           4
        .value_kind:     by_value
      - .address_space:  global
        .offset:         88
        .size:           8
        .value_kind:     global_buffer
      - .address_space:  global
        .offset:         96
        .size:           8
        .value_kind:     global_buffer
      - .offset:         104
        .size:           4
        .value_kind:     by_value
      - .offset:         108
        .size:           4
        .value_kind:     by_value
      - .offset:         112
        .size:           4
        .value_kind:     by_value
      - .offset:         116
        .size:           4
        .value_kind:     by_value
      - .offset:         120
        .size:           4
        .value_kind:     by_value
      - .offset:         128
        .size:           4
        .value_kind:     hidden_block_count_x
      - .offset:         132
        .size:           4
        .value_kind:     hidden_block_count_y
      - .offset:         136
        .size:           4
        .value_kind:     hidden_block_count_z
      - .offset:         140
        .size:           2
        .value_kind:     hidden_group_size_x
      - .offset:         142
        .size:           2
        .value_kind:     hidden_group_size_y
      - .offset:         144
        .size:           2
        .value_kind:     hidden_group_size_z
      - .offset:         146
        .size:           2
        .value_kind:     hidden_remainder_x
      - .offset:         148
        .size:           2
        .value_kind:     hidden_remainder_y
      - .offset:         150
        .size:           2
        .value_kind:     hidden_remainder_z
      - .offset:         168
        .size:           8
        .value_kind:     hidden_global_offset_x
      - .offset:         176
        .size:           8
        .value_kind:     hidden_global_offset_y
      - .offset:         184
        .size:           8
        .value_kind:     hidden_global_offset_z
      - .offset:         192
        .size:           2
        .value_kind:     hidden_grid_dims
      - .offset:         248
        .size:           4
        .value_kind:     hidden_dynamic_lds_size
    .group_segment_fixed_size: 96
    .kernarg_segment_align: 8
    .kernarg_segment_size: 384
    .language:       OpenCL C
    .language_version:
      - 2
      - 0
    .max_flat_workgroup_size: 1024
    .name:           _ZN4vllm25paged_attention_v1_kernelIthLi32ELi32ELi128ELNS_18Fp8KVCacheDataTypeE1ELb1EEEvPT_PKS2_PKT0_S8_ifPKiSA_iPKfiiiSC_SC_iiiii
    .private_segment_fixed_size: 0
    .sgpr_count:     47
    .sgpr_spill_count: 0
    .symbol:         _ZN4vllm25paged_attention_v1_kernelIthLi32ELi32ELi128ELNS_18Fp8KVCacheDataTypeE1ELb1EEEvPT_PKS2_PKT0_S8_ifPKiSA_iPKfiiiSC_SC_iiiii.kd
    .uniform_work_group_size: 1
    .uses_dynamic_stack: false
    .vgpr_count:     78
    .vgpr_spill_count: 0
    .wavefront_size: 32
    .workgroup_processor_mode: 1
  - .args:
      - .actual_access:  write_only
        .address_space:  global
        .offset:         0
        .size:           8
        .value_kind:     global_buffer
      - .actual_access:  read_only
        .address_space:  global
        .offset:         8
        .size:           8
        .value_kind:     global_buffer
      - .actual_access:  read_only
        .address_space:  global
        .offset:         16
        .size:           8
        .value_kind:     global_buffer
      - .actual_access:  read_only
        .address_space:  global
        .offset:         24
        .size:           8
        .value_kind:     global_buffer
      - .offset:         32
        .size:           4
        .value_kind:     by_value
      - .offset:         36
        .size:           4
        .value_kind:     by_value
      - .actual_access:  read_only
        .address_space:  global
        .offset:         40
        .size:           8
        .value_kind:     global_buffer
      - .actual_access:  read_only
        .address_space:  global
        .offset:         48
        .size:           8
        .value_kind:     global_buffer
      - .offset:         56
        .size:           4
        .value_kind:     by_value
      - .actual_access:  read_only
        .address_space:  global
        .offset:         64
        .size:           8
        .value_kind:     global_buffer
      - .offset:         72
        .size:           4
        .value_kind:     by_value
      - .offset:         76
        .size:           4
        .value_kind:     by_value
      - .offset:         80
        .size:           4
        .value_kind:     by_value
      - .address_space:  global
        .offset:         88
        .size:           8
        .value_kind:     global_buffer
      - .address_space:  global
        .offset:         96
        .size:           8
        .value_kind:     global_buffer
      - .offset:         104
        .size:           4
        .value_kind:     by_value
      - .offset:         108
        .size:           4
        .value_kind:     by_value
      - .offset:         112
        .size:           4
        .value_kind:     by_value
      - .offset:         116
        .size:           4
        .value_kind:     by_value
      - .offset:         120
        .size:           4
        .value_kind:     by_value
      - .offset:         128
        .size:           4
        .value_kind:     hidden_block_count_x
      - .offset:         132
        .size:           4
        .value_kind:     hidden_block_count_y
      - .offset:         136
        .size:           4
        .value_kind:     hidden_block_count_z
      - .offset:         140
        .size:           2
        .value_kind:     hidden_group_size_x
      - .offset:         142
        .size:           2
        .value_kind:     hidden_group_size_y
      - .offset:         144
        .size:           2
        .value_kind:     hidden_group_size_z
      - .offset:         146
        .size:           2
        .value_kind:     hidden_remainder_x
      - .offset:         148
        .size:           2
        .value_kind:     hidden_remainder_y
      - .offset:         150
        .size:           2
        .value_kind:     hidden_remainder_z
      - .offset:         168
        .size:           8
        .value_kind:     hidden_global_offset_x
      - .offset:         176
        .size:           8
        .value_kind:     hidden_global_offset_y
      - .offset:         184
        .size:           8
        .value_kind:     hidden_global_offset_z
      - .offset:         192
        .size:           2
        .value_kind:     hidden_grid_dims
      - .offset:         248
        .size:           4
        .value_kind:     hidden_dynamic_lds_size
    .group_segment_fixed_size: 160
    .kernarg_segment_align: 8
    .kernarg_segment_size: 384
    .language:       OpenCL C
    .language_version:
      - 2
      - 0
    .max_flat_workgroup_size: 1024
    .name:           _ZN4vllm25paged_attention_v1_kernelIthLi64ELi32ELi128ELNS_18Fp8KVCacheDataTypeE1ELb1EEEvPT_PKS2_PKT0_S8_ifPKiSA_iPKfiiiSC_SC_iiiii
    .private_segment_fixed_size: 0
    .sgpr_count:     47
    .sgpr_spill_count: 0
    .symbol:         _ZN4vllm25paged_attention_v1_kernelIthLi64ELi32ELi128ELNS_18Fp8KVCacheDataTypeE1ELb1EEEvPT_PKS2_PKT0_S8_ifPKiSA_iPKfiiiSC_SC_iiiii.kd
    .uniform_work_group_size: 1
    .uses_dynamic_stack: false
    .vgpr_count:     115
    .vgpr_spill_count: 0
    .wavefront_size: 32
    .workgroup_processor_mode: 1
  - .args:
      - .actual_access:  write_only
        .address_space:  global
        .offset:         0
        .size:           8
        .value_kind:     global_buffer
      - .actual_access:  read_only
        .address_space:  global
        .offset:         8
        .size:           8
        .value_kind:     global_buffer
      - .actual_access:  read_only
        .address_space:  global
        .offset:         16
        .size:           8
        .value_kind:     global_buffer
      - .actual_access:  read_only
        .address_space:  global
        .offset:         24
        .size:           8
        .value_kind:     global_buffer
      - .offset:         32
        .size:           4
        .value_kind:     by_value
      - .offset:         36
        .size:           4
        .value_kind:     by_value
      - .actual_access:  read_only
        .address_space:  global
        .offset:         40
        .size:           8
        .value_kind:     global_buffer
      - .actual_access:  read_only
        .address_space:  global
        .offset:         48
        .size:           8
        .value_kind:     global_buffer
      - .offset:         56
        .size:           4
        .value_kind:     by_value
      - .actual_access:  read_only
        .address_space:  global
        .offset:         64
        .size:           8
        .value_kind:     global_buffer
      - .offset:         72
        .size:           4
        .value_kind:     by_value
      - .offset:         76
        .size:           4
        .value_kind:     by_value
      - .offset:         80
        .size:           4
        .value_kind:     by_value
      - .address_space:  global
        .offset:         88
        .size:           8
        .value_kind:     global_buffer
      - .address_space:  global
        .offset:         96
        .size:           8
        .value_kind:     global_buffer
      - .offset:         104
        .size:           4
        .value_kind:     by_value
      - .offset:         108
        .size:           4
        .value_kind:     by_value
      - .offset:         112
        .size:           4
        .value_kind:     by_value
      - .offset:         116
        .size:           4
        .value_kind:     by_value
      - .offset:         120
        .size:           4
        .value_kind:     by_value
      - .offset:         128
        .size:           4
        .value_kind:     hidden_block_count_x
      - .offset:         132
        .size:           4
        .value_kind:     hidden_block_count_y
      - .offset:         136
        .size:           4
        .value_kind:     hidden_block_count_z
      - .offset:         140
        .size:           2
        .value_kind:     hidden_group_size_x
      - .offset:         142
        .size:           2
        .value_kind:     hidden_group_size_y
      - .offset:         144
        .size:           2
        .value_kind:     hidden_group_size_z
      - .offset:         146
        .size:           2
        .value_kind:     hidden_remainder_x
      - .offset:         148
        .size:           2
        .value_kind:     hidden_remainder_y
      - .offset:         150
        .size:           2
        .value_kind:     hidden_remainder_z
      - .offset:         168
        .size:           8
        .value_kind:     hidden_global_offset_x
      - .offset:         176
        .size:           8
        .value_kind:     hidden_global_offset_y
      - .offset:         184
        .size:           8
        .value_kind:     hidden_global_offset_z
      - .offset:         192
        .size:           2
        .value_kind:     hidden_grid_dims
      - .offset:         248
        .size:           4
        .value_kind:     hidden_dynamic_lds_size
    .group_segment_fixed_size: 192
    .kernarg_segment_align: 8
    .kernarg_segment_size: 384
    .language:       OpenCL C
    .language_version:
      - 2
      - 0
    .max_flat_workgroup_size: 1024
    .name:           _ZN4vllm25paged_attention_v1_kernelIthLi80ELi32ELi128ELNS_18Fp8KVCacheDataTypeE1ELb1EEEvPT_PKS2_PKT0_S8_ifPKiSA_iPKfiiiSC_SC_iiiii
    .private_segment_fixed_size: 8
    .sgpr_count:     54
    .sgpr_spill_count: 0
    .symbol:         _ZN4vllm25paged_attention_v1_kernelIthLi80ELi32ELi128ELNS_18Fp8KVCacheDataTypeE1ELb1EEEvPT_PKS2_PKT0_S8_ifPKiSA_iPKfiiiSC_SC_iiiii.kd
    .uniform_work_group_size: 1
    .uses_dynamic_stack: false
    .vgpr_count:     128
    .vgpr_spill_count: 1
    .wavefront_size: 32
    .workgroup_processor_mode: 1
  - .args:
      - .address_space:  global
        .offset:         0
        .size:           8
        .value_kind:     global_buffer
      - .address_space:  global
        .offset:         8
        .size:           8
        .value_kind:     global_buffer
      - .address_space:  global
        .offset:         16
        .size:           8
        .value_kind:     global_buffer
      - .address_space:  global
        .offset:         24
        .size:           8
        .value_kind:     global_buffer
      - .offset:         32
        .size:           4
        .value_kind:     by_value
      - .offset:         36
        .size:           4
        .value_kind:     by_value
      - .address_space:  global
        .offset:         40
        .size:           8
        .value_kind:     global_buffer
      - .address_space:  global
        .offset:         48
        .size:           8
        .value_kind:     global_buffer
      - .offset:         56
        .size:           4
        .value_kind:     by_value
      - .address_space:  global
        .offset:         64
        .size:           8
        .value_kind:     global_buffer
      - .offset:         72
        .size:           4
        .value_kind:     by_value
      - .offset:         76
        .size:           4
        .value_kind:     by_value
      - .offset:         80
        .size:           4
        .value_kind:     by_value
      - .address_space:  global
        .offset:         88
        .size:           8
        .value_kind:     global_buffer
      - .address_space:  global
        .offset:         96
        .size:           8
        .value_kind:     global_buffer
      - .offset:         104
        .size:           4
        .value_kind:     by_value
      - .offset:         108
        .size:           4
        .value_kind:     by_value
      - .offset:         112
        .size:           4
        .value_kind:     by_value
      - .offset:         116
        .size:           4
        .value_kind:     by_value
      - .offset:         120
        .size:           4
        .value_kind:     by_value
      - .offset:         128
        .size:           4
        .value_kind:     hidden_block_count_x
      - .offset:         132
        .size:           4
        .value_kind:     hidden_block_count_y
      - .offset:         136
        .size:           4
        .value_kind:     hidden_block_count_z
      - .offset:         140
        .size:           2
        .value_kind:     hidden_group_size_x
      - .offset:         142
        .size:           2
        .value_kind:     hidden_group_size_y
      - .offset:         144
        .size:           2
        .value_kind:     hidden_group_size_z
      - .offset:         146
        .size:           2
        .value_kind:     hidden_remainder_x
      - .offset:         148
        .size:           2
        .value_kind:     hidden_remainder_y
      - .offset:         150
        .size:           2
        .value_kind:     hidden_remainder_z
      - .offset:         168
        .size:           8
        .value_kind:     hidden_global_offset_x
      - .offset:         176
        .size:           8
        .value_kind:     hidden_global_offset_y
      - .offset:         184
        .size:           8
        .value_kind:     hidden_global_offset_z
      - .offset:         192
        .size:           2
        .value_kind:     hidden_grid_dims
      - .offset:         248
        .size:           4
        .value_kind:     hidden_dynamic_lds_size
    .group_segment_fixed_size: 224
    .kernarg_segment_align: 8
    .kernarg_segment_size: 384
    .language:       OpenCL C
    .language_version:
      - 2
      - 0
    .max_flat_workgroup_size: 1024
    .name:           _ZN4vllm25paged_attention_v1_kernelIthLi96ELi32ELi128ELNS_18Fp8KVCacheDataTypeE1ELb1EEEvPT_PKS2_PKT0_S8_ifPKiSA_iPKfiiiSC_SC_iiiii
    .private_segment_fixed_size: 320
    .sgpr_count:     46
    .sgpr_spill_count: 0
    .symbol:         _ZN4vllm25paged_attention_v1_kernelIthLi96ELi32ELi128ELNS_18Fp8KVCacheDataTypeE1ELb1EEEvPT_PKS2_PKT0_S8_ifPKiSA_iPKfiiiSC_SC_iiiii.kd
    .uniform_work_group_size: 1
    .uses_dynamic_stack: false
    .vgpr_count:     128
    .vgpr_spill_count: 0
    .wavefront_size: 32
    .workgroup_processor_mode: 1
  - .args:
      - .address_space:  global
        .offset:         0
        .size:           8
        .value_kind:     global_buffer
      - .address_space:  global
        .offset:         8
        .size:           8
        .value_kind:     global_buffer
      - .address_space:  global
        .offset:         16
        .size:           8
        .value_kind:     global_buffer
      - .address_space:  global
        .offset:         24
        .size:           8
        .value_kind:     global_buffer
      - .offset:         32
        .size:           4
        .value_kind:     by_value
      - .offset:         36
        .size:           4
        .value_kind:     by_value
      - .address_space:  global
        .offset:         40
        .size:           8
        .value_kind:     global_buffer
      - .address_space:  global
        .offset:         48
        .size:           8
        .value_kind:     global_buffer
      - .offset:         56
        .size:           4
        .value_kind:     by_value
      - .address_space:  global
        .offset:         64
        .size:           8
        .value_kind:     global_buffer
      - .offset:         72
        .size:           4
        .value_kind:     by_value
      - .offset:         76
        .size:           4
        .value_kind:     by_value
      - .offset:         80
        .size:           4
        .value_kind:     by_value
      - .address_space:  global
        .offset:         88
        .size:           8
        .value_kind:     global_buffer
      - .address_space:  global
        .offset:         96
        .size:           8
        .value_kind:     global_buffer
      - .offset:         104
        .size:           4
        .value_kind:     by_value
      - .offset:         108
        .size:           4
        .value_kind:     by_value
      - .offset:         112
        .size:           4
        .value_kind:     by_value
      - .offset:         116
        .size:           4
        .value_kind:     by_value
      - .offset:         120
        .size:           4
        .value_kind:     by_value
      - .offset:         128
        .size:           4
        .value_kind:     hidden_block_count_x
      - .offset:         132
        .size:           4
        .value_kind:     hidden_block_count_y
      - .offset:         136
        .size:           4
        .value_kind:     hidden_block_count_z
      - .offset:         140
        .size:           2
        .value_kind:     hidden_group_size_x
      - .offset:         142
        .size:           2
        .value_kind:     hidden_group_size_y
      - .offset:         144
        .size:           2
        .value_kind:     hidden_group_size_z
      - .offset:         146
        .size:           2
        .value_kind:     hidden_remainder_x
      - .offset:         148
        .size:           2
        .value_kind:     hidden_remainder_y
      - .offset:         150
        .size:           2
        .value_kind:     hidden_remainder_z
      - .offset:         168
        .size:           8
        .value_kind:     hidden_global_offset_x
      - .offset:         176
        .size:           8
        .value_kind:     hidden_global_offset_y
      - .offset:         184
        .size:           8
        .value_kind:     hidden_global_offset_z
      - .offset:         192
        .size:           2
        .value_kind:     hidden_grid_dims
      - .offset:         248
        .size:           4
        .value_kind:     hidden_dynamic_lds_size
    .group_segment_fixed_size: 256
    .kernarg_segment_align: 8
    .kernarg_segment_size: 384
    .language:       OpenCL C
    .language_version:
      - 2
      - 0
    .max_flat_workgroup_size: 1024
    .name:           _ZN4vllm25paged_attention_v1_kernelIthLi112ELi32ELi128ELNS_18Fp8KVCacheDataTypeE1ELb1EEEvPT_PKS2_PKT0_S8_ifPKiSA_iPKfiiiSC_SC_iiiii
    .private_segment_fixed_size: 384
    .sgpr_count:     46
    .sgpr_spill_count: 0
    .symbol:         _ZN4vllm25paged_attention_v1_kernelIthLi112ELi32ELi128ELNS_18Fp8KVCacheDataTypeE1ELb1EEEvPT_PKS2_PKT0_S8_ifPKiSA_iPKfiiiSC_SC_iiiii.kd
    .uniform_work_group_size: 1
    .uses_dynamic_stack: false
    .vgpr_count:     128
    .vgpr_spill_count: 0
    .wavefront_size: 32
    .workgroup_processor_mode: 1
  - .args:
      - .address_space:  global
        .offset:         0
        .size:           8
        .value_kind:     global_buffer
      - .address_space:  global
        .offset:         8
        .size:           8
        .value_kind:     global_buffer
      - .address_space:  global
        .offset:         16
        .size:           8
        .value_kind:     global_buffer
      - .address_space:  global
        .offset:         24
        .size:           8
        .value_kind:     global_buffer
      - .offset:         32
        .size:           4
        .value_kind:     by_value
      - .offset:         36
        .size:           4
        .value_kind:     by_value
      - .address_space:  global
        .offset:         40
        .size:           8
        .value_kind:     global_buffer
      - .address_space:  global
        .offset:         48
        .size:           8
        .value_kind:     global_buffer
      - .offset:         56
        .size:           4
        .value_kind:     by_value
      - .address_space:  global
        .offset:         64
        .size:           8
        .value_kind:     global_buffer
      - .offset:         72
        .size:           4
        .value_kind:     by_value
      - .offset:         76
        .size:           4
        .value_kind:     by_value
      - .offset:         80
        .size:           4
        .value_kind:     by_value
      - .address_space:  global
        .offset:         88
        .size:           8
        .value_kind:     global_buffer
      - .address_space:  global
        .offset:         96
        .size:           8
        .value_kind:     global_buffer
      - .offset:         104
        .size:           4
        .value_kind:     by_value
      - .offset:         108
        .size:           4
        .value_kind:     by_value
      - .offset:         112
        .size:           4
        .value_kind:     by_value
      - .offset:         116
        .size:           4
        .value_kind:     by_value
      - .offset:         120
        .size:           4
        .value_kind:     by_value
      - .offset:         128
        .size:           4
        .value_kind:     hidden_block_count_x
      - .offset:         132
        .size:           4
        .value_kind:     hidden_block_count_y
      - .offset:         136
        .size:           4
        .value_kind:     hidden_block_count_z
      - .offset:         140
        .size:           2
        .value_kind:     hidden_group_size_x
      - .offset:         142
        .size:           2
        .value_kind:     hidden_group_size_y
      - .offset:         144
        .size:           2
        .value_kind:     hidden_group_size_z
      - .offset:         146
        .size:           2
        .value_kind:     hidden_remainder_x
      - .offset:         148
        .size:           2
        .value_kind:     hidden_remainder_y
      - .offset:         150
        .size:           2
        .value_kind:     hidden_remainder_z
      - .offset:         168
        .size:           8
        .value_kind:     hidden_global_offset_x
      - .offset:         176
        .size:           8
        .value_kind:     hidden_global_offset_y
      - .offset:         184
        .size:           8
        .value_kind:     hidden_global_offset_z
      - .offset:         192
        .size:           2
        .value_kind:     hidden_grid_dims
      - .offset:         248
        .size:           4
        .value_kind:     hidden_dynamic_lds_size
    .group_segment_fixed_size: 272
    .kernarg_segment_align: 8
    .kernarg_segment_size: 384
    .language:       OpenCL C
    .language_version:
      - 2
      - 0
    .max_flat_workgroup_size: 1024
    .name:           _ZN4vllm25paged_attention_v1_kernelIthLi120ELi32ELi128ELNS_18Fp8KVCacheDataTypeE1ELb1EEEvPT_PKS2_PKT0_S8_ifPKiSA_iPKfiiiSC_SC_iiiii
    .private_segment_fixed_size: 432
    .sgpr_count:     46
    .sgpr_spill_count: 0
    .symbol:         _ZN4vllm25paged_attention_v1_kernelIthLi120ELi32ELi128ELNS_18Fp8KVCacheDataTypeE1ELb1EEEvPT_PKS2_PKT0_S8_ifPKiSA_iPKfiiiSC_SC_iiiii.kd
    .uniform_work_group_size: 1
    .uses_dynamic_stack: false
    .vgpr_count:     128
    .vgpr_spill_count: 0
    .wavefront_size: 32
    .workgroup_processor_mode: 1
  - .args:
      - .address_space:  global
        .offset:         0
        .size:           8
        .value_kind:     global_buffer
      - .address_space:  global
        .offset:         8
        .size:           8
        .value_kind:     global_buffer
      - .address_space:  global
        .offset:         16
        .size:           8
        .value_kind:     global_buffer
      - .address_space:  global
        .offset:         24
        .size:           8
        .value_kind:     global_buffer
      - .offset:         32
        .size:           4
        .value_kind:     by_value
      - .offset:         36
        .size:           4
        .value_kind:     by_value
      - .address_space:  global
        .offset:         40
        .size:           8
        .value_kind:     global_buffer
      - .address_space:  global
        .offset:         48
        .size:           8
        .value_kind:     global_buffer
      - .offset:         56
        .size:           4
        .value_kind:     by_value
      - .address_space:  global
        .offset:         64
        .size:           8
        .value_kind:     global_buffer
      - .offset:         72
        .size:           4
        .value_kind:     by_value
      - .offset:         76
        .size:           4
        .value_kind:     by_value
      - .offset:         80
        .size:           4
        .value_kind:     by_value
      - .address_space:  global
        .offset:         88
        .size:           8
        .value_kind:     global_buffer
      - .address_space:  global
        .offset:         96
        .size:           8
        .value_kind:     global_buffer
      - .offset:         104
        .size:           4
        .value_kind:     by_value
      - .offset:         108
        .size:           4
        .value_kind:     by_value
      - .offset:         112
        .size:           4
        .value_kind:     by_value
      - .offset:         116
        .size:           4
        .value_kind:     by_value
      - .offset:         120
        .size:           4
        .value_kind:     by_value
      - .offset:         128
        .size:           4
        .value_kind:     hidden_block_count_x
      - .offset:         132
        .size:           4
        .value_kind:     hidden_block_count_y
      - .offset:         136
        .size:           4
        .value_kind:     hidden_block_count_z
      - .offset:         140
        .size:           2
        .value_kind:     hidden_group_size_x
      - .offset:         142
        .size:           2
        .value_kind:     hidden_group_size_y
      - .offset:         144
        .size:           2
        .value_kind:     hidden_group_size_z
      - .offset:         146
        .size:           2
        .value_kind:     hidden_remainder_x
      - .offset:         148
        .size:           2
        .value_kind:     hidden_remainder_y
      - .offset:         150
        .size:           2
        .value_kind:     hidden_remainder_z
      - .offset:         168
        .size:           8
        .value_kind:     hidden_global_offset_x
      - .offset:         176
        .size:           8
        .value_kind:     hidden_global_offset_y
      - .offset:         184
        .size:           8
        .value_kind:     hidden_global_offset_z
      - .offset:         192
        .size:           2
        .value_kind:     hidden_grid_dims
      - .offset:         248
        .size:           4
        .value_kind:     hidden_dynamic_lds_size
    .group_segment_fixed_size: 288
    .kernarg_segment_align: 8
    .kernarg_segment_size: 384
    .language:       OpenCL C
    .language_version:
      - 2
      - 0
    .max_flat_workgroup_size: 1024
    .name:           _ZN4vllm25paged_attention_v1_kernelIthLi128ELi32ELi128ELNS_18Fp8KVCacheDataTypeE1ELb1EEEvPT_PKS2_PKT0_S8_ifPKiSA_iPKfiiiSC_SC_iiiii
    .private_segment_fixed_size: 504
    .sgpr_count:     46
    .sgpr_spill_count: 0
    .symbol:         _ZN4vllm25paged_attention_v1_kernelIthLi128ELi32ELi128ELNS_18Fp8KVCacheDataTypeE1ELb1EEEvPT_PKS2_PKT0_S8_ifPKiSA_iPKfiiiSC_SC_iiiii.kd
    .uniform_work_group_size: 1
    .uses_dynamic_stack: false
    .vgpr_count:     128
    .vgpr_spill_count: 0
    .wavefront_size: 32
    .workgroup_processor_mode: 1
  - .args:
      - .address_space:  global
        .offset:         0
        .size:           8
        .value_kind:     global_buffer
      - .address_space:  global
        .offset:         8
        .size:           8
        .value_kind:     global_buffer
      - .address_space:  global
        .offset:         16
        .size:           8
        .value_kind:     global_buffer
      - .address_space:  global
        .offset:         24
        .size:           8
        .value_kind:     global_buffer
      - .offset:         32
        .size:           4
        .value_kind:     by_value
      - .offset:         36
        .size:           4
        .value_kind:     by_value
      - .address_space:  global
        .offset:         40
        .size:           8
        .value_kind:     global_buffer
      - .address_space:  global
        .offset:         48
        .size:           8
        .value_kind:     global_buffer
      - .offset:         56
        .size:           4
        .value_kind:     by_value
      - .address_space:  global
        .offset:         64
        .size:           8
        .value_kind:     global_buffer
      - .offset:         72
        .size:           4
        .value_kind:     by_value
      - .offset:         76
        .size:           4
        .value_kind:     by_value
      - .offset:         80
        .size:           4
        .value_kind:     by_value
      - .address_space:  global
        .offset:         88
        .size:           8
        .value_kind:     global_buffer
      - .address_space:  global
        .offset:         96
        .size:           8
        .value_kind:     global_buffer
      - .offset:         104
        .size:           4
        .value_kind:     by_value
      - .offset:         108
        .size:           4
        .value_kind:     by_value
      - .offset:         112
        .size:           4
        .value_kind:     by_value
      - .offset:         116
        .size:           4
        .value_kind:     by_value
      - .offset:         120
        .size:           4
        .value_kind:     by_value
      - .offset:         128
        .size:           4
        .value_kind:     hidden_block_count_x
      - .offset:         132
        .size:           4
        .value_kind:     hidden_block_count_y
      - .offset:         136
        .size:           4
        .value_kind:     hidden_block_count_z
      - .offset:         140
        .size:           2
        .value_kind:     hidden_group_size_x
      - .offset:         142
        .size:           2
        .value_kind:     hidden_group_size_y
      - .offset:         144
        .size:           2
        .value_kind:     hidden_group_size_z
      - .offset:         146
        .size:           2
        .value_kind:     hidden_remainder_x
      - .offset:         148
        .size:           2
        .value_kind:     hidden_remainder_y
      - .offset:         150
        .size:           2
        .value_kind:     hidden_remainder_z
      - .offset:         168
        .size:           8
        .value_kind:     hidden_global_offset_x
      - .offset:         176
        .size:           8
        .value_kind:     hidden_global_offset_y
      - .offset:         184
        .size:           8
        .value_kind:     hidden_global_offset_z
      - .offset:         192
        .size:           2
        .value_kind:     hidden_grid_dims
      - .offset:         248
        .size:           4
        .value_kind:     hidden_dynamic_lds_size
    .group_segment_fixed_size: 416
    .kernarg_segment_align: 8
    .kernarg_segment_size: 384
    .language:       OpenCL C
    .language_version:
      - 2
      - 0
    .max_flat_workgroup_size: 1024
    .name:           _ZN4vllm25paged_attention_v1_kernelIthLi192ELi32ELi128ELNS_18Fp8KVCacheDataTypeE1ELb1EEEvPT_PKS2_PKT0_S8_ifPKiSA_iPKfiiiSC_SC_iiiii
    .private_segment_fixed_size: 980
    .sgpr_count:     46
    .sgpr_spill_count: 0
    .symbol:         _ZN4vllm25paged_attention_v1_kernelIthLi192ELi32ELi128ELNS_18Fp8KVCacheDataTypeE1ELb1EEEvPT_PKS2_PKT0_S8_ifPKiSA_iPKfiiiSC_SC_iiiii.kd
    .uniform_work_group_size: 1
    .uses_dynamic_stack: false
    .vgpr_count:     128
    .vgpr_spill_count: 0
    .wavefront_size: 32
    .workgroup_processor_mode: 1
  - .args:
      - .address_space:  global
        .offset:         0
        .size:           8
        .value_kind:     global_buffer
      - .address_space:  global
        .offset:         8
        .size:           8
        .value_kind:     global_buffer
      - .address_space:  global
        .offset:         16
        .size:           8
        .value_kind:     global_buffer
      - .address_space:  global
        .offset:         24
        .size:           8
        .value_kind:     global_buffer
      - .offset:         32
        .size:           4
        .value_kind:     by_value
      - .offset:         36
        .size:           4
        .value_kind:     by_value
      - .address_space:  global
        .offset:         40
        .size:           8
        .value_kind:     global_buffer
      - .address_space:  global
        .offset:         48
        .size:           8
        .value_kind:     global_buffer
      - .offset:         56
        .size:           4
        .value_kind:     by_value
      - .address_space:  global
        .offset:         64
        .size:           8
        .value_kind:     global_buffer
      - .offset:         72
        .size:           4
        .value_kind:     by_value
      - .offset:         76
        .size:           4
        .value_kind:     by_value
      - .offset:         80
        .size:           4
        .value_kind:     by_value
      - .address_space:  global
        .offset:         88
        .size:           8
        .value_kind:     global_buffer
      - .address_space:  global
        .offset:         96
        .size:           8
        .value_kind:     global_buffer
      - .offset:         104
        .size:           4
        .value_kind:     by_value
      - .offset:         108
        .size:           4
        .value_kind:     by_value
      - .offset:         112
        .size:           4
        .value_kind:     by_value
      - .offset:         116
        .size:           4
        .value_kind:     by_value
      - .offset:         120
        .size:           4
        .value_kind:     by_value
      - .offset:         128
        .size:           4
        .value_kind:     hidden_block_count_x
      - .offset:         132
        .size:           4
        .value_kind:     hidden_block_count_y
      - .offset:         136
        .size:           4
        .value_kind:     hidden_block_count_z
      - .offset:         140
        .size:           2
        .value_kind:     hidden_group_size_x
      - .offset:         142
        .size:           2
        .value_kind:     hidden_group_size_y
      - .offset:         144
        .size:           2
        .value_kind:     hidden_group_size_z
      - .offset:         146
        .size:           2
        .value_kind:     hidden_remainder_x
      - .offset:         148
        .size:           2
        .value_kind:     hidden_remainder_y
      - .offset:         150
        .size:           2
        .value_kind:     hidden_remainder_z
      - .offset:         168
        .size:           8
        .value_kind:     hidden_global_offset_x
      - .offset:         176
        .size:           8
        .value_kind:     hidden_global_offset_y
      - .offset:         184
        .size:           8
        .value_kind:     hidden_global_offset_z
      - .offset:         192
        .size:           2
        .value_kind:     hidden_grid_dims
      - .offset:         248
        .size:           4
        .value_kind:     hidden_dynamic_lds_size
    .group_segment_fixed_size: 544
    .kernarg_segment_align: 8
    .kernarg_segment_size: 384
    .language:       OpenCL C
    .language_version:
      - 2
      - 0
    .max_flat_workgroup_size: 1024
    .name:           _ZN4vllm25paged_attention_v1_kernelIthLi256ELi32ELi128ELNS_18Fp8KVCacheDataTypeE1ELb1EEEvPT_PKS2_PKT0_S8_ifPKiSA_iPKfiiiSC_SC_iiiii
    .private_segment_fixed_size: 1328
    .sgpr_count:     46
    .sgpr_spill_count: 0
    .symbol:         _ZN4vllm25paged_attention_v1_kernelIthLi256ELi32ELi128ELNS_18Fp8KVCacheDataTypeE1ELb1EEEvPT_PKS2_PKT0_S8_ifPKiSA_iPKfiiiSC_SC_iiiii.kd
    .uniform_work_group_size: 1
    .uses_dynamic_stack: false
    .vgpr_count:     128
    .vgpr_spill_count: 0
    .wavefront_size: 32
    .workgroup_processor_mode: 1
  - .args:
      - .actual_access:  write_only
        .address_space:  global
        .offset:         0
        .size:           8
        .value_kind:     global_buffer
      - .actual_access:  read_only
        .address_space:  global
        .offset:         8
        .size:           8
        .value_kind:     global_buffer
      - .actual_access:  read_only
        .address_space:  global
        .offset:         16
        .size:           8
        .value_kind:     global_buffer
      - .actual_access:  read_only
        .address_space:  global
        .offset:         24
        .size:           8
        .value_kind:     global_buffer
      - .offset:         32
        .size:           4
        .value_kind:     by_value
      - .offset:         36
        .size:           4
        .value_kind:     by_value
      - .actual_access:  read_only
        .address_space:  global
        .offset:         40
        .size:           8
        .value_kind:     global_buffer
      - .actual_access:  read_only
        .address_space:  global
        .offset:         48
        .size:           8
        .value_kind:     global_buffer
      - .offset:         56
        .size:           4
        .value_kind:     by_value
      - .actual_access:  read_only
        .address_space:  global
        .offset:         64
        .size:           8
        .value_kind:     global_buffer
      - .offset:         72
        .size:           4
        .value_kind:     by_value
      - .offset:         76
        .size:           4
        .value_kind:     by_value
      - .offset:         80
        .size:           4
        .value_kind:     by_value
      - .address_space:  global
        .offset:         88
        .size:           8
        .value_kind:     global_buffer
      - .address_space:  global
        .offset:         96
        .size:           8
        .value_kind:     global_buffer
      - .offset:         104
        .size:           4
        .value_kind:     by_value
      - .offset:         108
        .size:           4
        .value_kind:     by_value
      - .offset:         112
        .size:           4
        .value_kind:     by_value
      - .offset:         116
        .size:           4
        .value_kind:     by_value
      - .offset:         120
        .size:           4
        .value_kind:     by_value
      - .offset:         128
        .size:           4
        .value_kind:     hidden_block_count_x
      - .offset:         132
        .size:           4
        .value_kind:     hidden_block_count_y
      - .offset:         136
        .size:           4
        .value_kind:     hidden_block_count_z
      - .offset:         140
        .size:           2
        .value_kind:     hidden_group_size_x
      - .offset:         142
        .size:           2
        .value_kind:     hidden_group_size_y
      - .offset:         144
        .size:           2
        .value_kind:     hidden_group_size_z
      - .offset:         146
        .size:           2
        .value_kind:     hidden_remainder_x
      - .offset:         148
        .size:           2
        .value_kind:     hidden_remainder_y
      - .offset:         150
        .size:           2
        .value_kind:     hidden_remainder_z
      - .offset:         168
        .size:           8
        .value_kind:     hidden_global_offset_x
      - .offset:         176
        .size:           8
        .value_kind:     hidden_global_offset_y
      - .offset:         184
        .size:           8
        .value_kind:     hidden_global_offset_z
      - .offset:         192
        .size:           2
        .value_kind:     hidden_grid_dims
      - .offset:         248
        .size:           4
        .value_kind:     hidden_dynamic_lds_size
    .group_segment_fixed_size: 96
    .kernarg_segment_align: 8
    .kernarg_segment_size: 384
    .language:       OpenCL C
    .language_version:
      - 2
      - 0
    .max_flat_workgroup_size: 1024
    .name:           _ZN4vllm25paged_attention_v1_kernelIthLi32ELi32ELi128ELNS_18Fp8KVCacheDataTypeE1ELb0EEEvPT_PKS2_PKT0_S8_ifPKiSA_iPKfiiiSC_SC_iiiii
    .private_segment_fixed_size: 0
    .sgpr_count:     38
    .sgpr_spill_count: 0
    .symbol:         _ZN4vllm25paged_attention_v1_kernelIthLi32ELi32ELi128ELNS_18Fp8KVCacheDataTypeE1ELb0EEEvPT_PKS2_PKT0_S8_ifPKiSA_iPKfiiiSC_SC_iiiii.kd
    .uniform_work_group_size: 1
    .uses_dynamic_stack: false
    .vgpr_count:     72
    .vgpr_spill_count: 0
    .wavefront_size: 32
    .workgroup_processor_mode: 1
  - .args:
      - .actual_access:  write_only
        .address_space:  global
        .offset:         0
        .size:           8
        .value_kind:     global_buffer
      - .actual_access:  read_only
        .address_space:  global
        .offset:         8
        .size:           8
        .value_kind:     global_buffer
      - .actual_access:  read_only
        .address_space:  global
        .offset:         16
        .size:           8
        .value_kind:     global_buffer
      - .actual_access:  read_only
        .address_space:  global
        .offset:         24
        .size:           8
        .value_kind:     global_buffer
      - .offset:         32
        .size:           4
        .value_kind:     by_value
      - .offset:         36
        .size:           4
        .value_kind:     by_value
      - .actual_access:  read_only
        .address_space:  global
        .offset:         40
        .size:           8
        .value_kind:     global_buffer
      - .actual_access:  read_only
        .address_space:  global
        .offset:         48
        .size:           8
        .value_kind:     global_buffer
      - .offset:         56
        .size:           4
        .value_kind:     by_value
      - .actual_access:  read_only
        .address_space:  global
        .offset:         64
        .size:           8
        .value_kind:     global_buffer
      - .offset:         72
        .size:           4
        .value_kind:     by_value
      - .offset:         76
        .size:           4
        .value_kind:     by_value
      - .offset:         80
        .size:           4
        .value_kind:     by_value
      - .address_space:  global
        .offset:         88
        .size:           8
        .value_kind:     global_buffer
      - .address_space:  global
        .offset:         96
        .size:           8
        .value_kind:     global_buffer
      - .offset:         104
        .size:           4
        .value_kind:     by_value
      - .offset:         108
        .size:           4
        .value_kind:     by_value
      - .offset:         112
        .size:           4
        .value_kind:     by_value
      - .offset:         116
        .size:           4
        .value_kind:     by_value
      - .offset:         120
        .size:           4
        .value_kind:     by_value
      - .offset:         128
        .size:           4
        .value_kind:     hidden_block_count_x
      - .offset:         132
        .size:           4
        .value_kind:     hidden_block_count_y
      - .offset:         136
        .size:           4
        .value_kind:     hidden_block_count_z
      - .offset:         140
        .size:           2
        .value_kind:     hidden_group_size_x
      - .offset:         142
        .size:           2
        .value_kind:     hidden_group_size_y
      - .offset:         144
        .size:           2
        .value_kind:     hidden_group_size_z
      - .offset:         146
        .size:           2
        .value_kind:     hidden_remainder_x
      - .offset:         148
        .size:           2
        .value_kind:     hidden_remainder_y
      - .offset:         150
        .size:           2
        .value_kind:     hidden_remainder_z
      - .offset:         168
        .size:           8
        .value_kind:     hidden_global_offset_x
      - .offset:         176
        .size:           8
        .value_kind:     hidden_global_offset_y
      - .offset:         184
        .size:           8
        .value_kind:     hidden_global_offset_z
      - .offset:         192
        .size:           2
        .value_kind:     hidden_grid_dims
      - .offset:         248
        .size:           4
        .value_kind:     hidden_dynamic_lds_size
    .group_segment_fixed_size: 160
    .kernarg_segment_align: 8
    .kernarg_segment_size: 384
    .language:       OpenCL C
    .language_version:
      - 2
      - 0
    .max_flat_workgroup_size: 1024
    .name:           _ZN4vllm25paged_attention_v1_kernelIthLi64ELi32ELi128ELNS_18Fp8KVCacheDataTypeE1ELb0EEEvPT_PKS2_PKT0_S8_ifPKiSA_iPKfiiiSC_SC_iiiii
    .private_segment_fixed_size: 0
    .sgpr_count:     38
    .sgpr_spill_count: 0
    .symbol:         _ZN4vllm25paged_attention_v1_kernelIthLi64ELi32ELi128ELNS_18Fp8KVCacheDataTypeE1ELb0EEEvPT_PKS2_PKT0_S8_ifPKiSA_iPKfiiiSC_SC_iiiii.kd
    .uniform_work_group_size: 1
    .uses_dynamic_stack: false
    .vgpr_count:     109
    .vgpr_spill_count: 0
    .wavefront_size: 32
    .workgroup_processor_mode: 1
  - .args:
      - .actual_access:  write_only
        .address_space:  global
        .offset:         0
        .size:           8
        .value_kind:     global_buffer
      - .actual_access:  read_only
        .address_space:  global
        .offset:         8
        .size:           8
        .value_kind:     global_buffer
      - .actual_access:  read_only
        .address_space:  global
        .offset:         16
        .size:           8
        .value_kind:     global_buffer
      - .actual_access:  read_only
        .address_space:  global
        .offset:         24
        .size:           8
        .value_kind:     global_buffer
      - .offset:         32
        .size:           4
        .value_kind:     by_value
      - .offset:         36
        .size:           4
        .value_kind:     by_value
      - .actual_access:  read_only
        .address_space:  global
        .offset:         40
        .size:           8
        .value_kind:     global_buffer
      - .actual_access:  read_only
        .address_space:  global
        .offset:         48
        .size:           8
        .value_kind:     global_buffer
      - .offset:         56
        .size:           4
        .value_kind:     by_value
      - .actual_access:  read_only
        .address_space:  global
        .offset:         64
        .size:           8
        .value_kind:     global_buffer
      - .offset:         72
        .size:           4
        .value_kind:     by_value
      - .offset:         76
        .size:           4
        .value_kind:     by_value
      - .offset:         80
        .size:           4
        .value_kind:     by_value
      - .address_space:  global
        .offset:         88
        .size:           8
        .value_kind:     global_buffer
      - .address_space:  global
        .offset:         96
        .size:           8
        .value_kind:     global_buffer
      - .offset:         104
        .size:           4
        .value_kind:     by_value
      - .offset:         108
        .size:           4
        .value_kind:     by_value
      - .offset:         112
        .size:           4
        .value_kind:     by_value
      - .offset:         116
        .size:           4
        .value_kind:     by_value
      - .offset:         120
        .size:           4
        .value_kind:     by_value
      - .offset:         128
        .size:           4
        .value_kind:     hidden_block_count_x
      - .offset:         132
        .size:           4
        .value_kind:     hidden_block_count_y
      - .offset:         136
        .size:           4
        .value_kind:     hidden_block_count_z
      - .offset:         140
        .size:           2
        .value_kind:     hidden_group_size_x
      - .offset:         142
        .size:           2
        .value_kind:     hidden_group_size_y
      - .offset:         144
        .size:           2
        .value_kind:     hidden_group_size_z
      - .offset:         146
        .size:           2
        .value_kind:     hidden_remainder_x
      - .offset:         148
        .size:           2
        .value_kind:     hidden_remainder_y
      - .offset:         150
        .size:           2
        .value_kind:     hidden_remainder_z
      - .offset:         168
        .size:           8
        .value_kind:     hidden_global_offset_x
      - .offset:         176
        .size:           8
        .value_kind:     hidden_global_offset_y
      - .offset:         184
        .size:           8
        .value_kind:     hidden_global_offset_z
      - .offset:         192
        .size:           2
        .value_kind:     hidden_grid_dims
      - .offset:         248
        .size:           4
        .value_kind:     hidden_dynamic_lds_size
    .group_segment_fixed_size: 192
    .kernarg_segment_align: 8
    .kernarg_segment_size: 384
    .language:       OpenCL C
    .language_version:
      - 2
      - 0
    .max_flat_workgroup_size: 1024
    .name:           _ZN4vllm25paged_attention_v1_kernelIthLi80ELi32ELi128ELNS_18Fp8KVCacheDataTypeE1ELb0EEEvPT_PKS2_PKT0_S8_ifPKiSA_iPKfiiiSC_SC_iiiii
    .private_segment_fixed_size: 0
    .sgpr_count:     38
    .sgpr_spill_count: 0
    .symbol:         _ZN4vllm25paged_attention_v1_kernelIthLi80ELi32ELi128ELNS_18Fp8KVCacheDataTypeE1ELb0EEEvPT_PKS2_PKT0_S8_ifPKiSA_iPKfiiiSC_SC_iiiii.kd
    .uniform_work_group_size: 1
    .uses_dynamic_stack: false
    .vgpr_count:     128
    .vgpr_spill_count: 0
    .wavefront_size: 32
    .workgroup_processor_mode: 1
  - .args:
      - .address_space:  global
        .offset:         0
        .size:           8
        .value_kind:     global_buffer
      - .address_space:  global
        .offset:         8
        .size:           8
        .value_kind:     global_buffer
      - .address_space:  global
        .offset:         16
        .size:           8
        .value_kind:     global_buffer
      - .address_space:  global
        .offset:         24
        .size:           8
        .value_kind:     global_buffer
      - .offset:         32
        .size:           4
        .value_kind:     by_value
      - .offset:         36
        .size:           4
        .value_kind:     by_value
      - .address_space:  global
        .offset:         40
        .size:           8
        .value_kind:     global_buffer
      - .address_space:  global
        .offset:         48
        .size:           8
        .value_kind:     global_buffer
      - .offset:         56
        .size:           4
        .value_kind:     by_value
      - .address_space:  global
        .offset:         64
        .size:           8
        .value_kind:     global_buffer
      - .offset:         72
        .size:           4
        .value_kind:     by_value
      - .offset:         76
        .size:           4
        .value_kind:     by_value
      - .offset:         80
        .size:           4
        .value_kind:     by_value
      - .address_space:  global
        .offset:         88
        .size:           8
        .value_kind:     global_buffer
      - .address_space:  global
        .offset:         96
        .size:           8
        .value_kind:     global_buffer
      - .offset:         104
        .size:           4
        .value_kind:     by_value
      - .offset:         108
        .size:           4
        .value_kind:     by_value
      - .offset:         112
        .size:           4
        .value_kind:     by_value
      - .offset:         116
        .size:           4
        .value_kind:     by_value
      - .offset:         120
        .size:           4
        .value_kind:     by_value
      - .offset:         128
        .size:           4
        .value_kind:     hidden_block_count_x
      - .offset:         132
        .size:           4
        .value_kind:     hidden_block_count_y
      - .offset:         136
        .size:           4
        .value_kind:     hidden_block_count_z
      - .offset:         140
        .size:           2
        .value_kind:     hidden_group_size_x
      - .offset:         142
        .size:           2
        .value_kind:     hidden_group_size_y
      - .offset:         144
        .size:           2
        .value_kind:     hidden_group_size_z
      - .offset:         146
        .size:           2
        .value_kind:     hidden_remainder_x
      - .offset:         148
        .size:           2
        .value_kind:     hidden_remainder_y
      - .offset:         150
        .size:           2
        .value_kind:     hidden_remainder_z
      - .offset:         168
        .size:           8
        .value_kind:     hidden_global_offset_x
      - .offset:         176
        .size:           8
        .value_kind:     hidden_global_offset_y
      - .offset:         184
        .size:           8
        .value_kind:     hidden_global_offset_z
      - .offset:         192
        .size:           2
        .value_kind:     hidden_grid_dims
      - .offset:         248
        .size:           4
        .value_kind:     hidden_dynamic_lds_size
    .group_segment_fixed_size: 224
    .kernarg_segment_align: 8
    .kernarg_segment_size: 384
    .language:       OpenCL C
    .language_version:
      - 2
      - 0
    .max_flat_workgroup_size: 1024
    .name:           _ZN4vllm25paged_attention_v1_kernelIthLi96ELi32ELi128ELNS_18Fp8KVCacheDataTypeE1ELb0EEEvPT_PKS2_PKT0_S8_ifPKiSA_iPKfiiiSC_SC_iiiii
    .private_segment_fixed_size: 284
    .sgpr_count:     42
    .sgpr_spill_count: 0
    .symbol:         _ZN4vllm25paged_attention_v1_kernelIthLi96ELi32ELi128ELNS_18Fp8KVCacheDataTypeE1ELb0EEEvPT_PKS2_PKT0_S8_ifPKiSA_iPKfiiiSC_SC_iiiii.kd
    .uniform_work_group_size: 1
    .uses_dynamic_stack: false
    .vgpr_count:     128
    .vgpr_spill_count: 0
    .wavefront_size: 32
    .workgroup_processor_mode: 1
  - .args:
      - .address_space:  global
        .offset:         0
        .size:           8
        .value_kind:     global_buffer
      - .address_space:  global
        .offset:         8
        .size:           8
        .value_kind:     global_buffer
      - .address_space:  global
        .offset:         16
        .size:           8
        .value_kind:     global_buffer
      - .address_space:  global
        .offset:         24
        .size:           8
        .value_kind:     global_buffer
      - .offset:         32
        .size:           4
        .value_kind:     by_value
      - .offset:         36
        .size:           4
        .value_kind:     by_value
      - .address_space:  global
        .offset:         40
        .size:           8
        .value_kind:     global_buffer
      - .address_space:  global
        .offset:         48
        .size:           8
        .value_kind:     global_buffer
      - .offset:         56
        .size:           4
        .value_kind:     by_value
      - .address_space:  global
        .offset:         64
        .size:           8
        .value_kind:     global_buffer
      - .offset:         72
        .size:           4
        .value_kind:     by_value
      - .offset:         76
        .size:           4
        .value_kind:     by_value
      - .offset:         80
        .size:           4
        .value_kind:     by_value
      - .address_space:  global
        .offset:         88
        .size:           8
        .value_kind:     global_buffer
      - .address_space:  global
        .offset:         96
        .size:           8
        .value_kind:     global_buffer
      - .offset:         104
        .size:           4
        .value_kind:     by_value
      - .offset:         108
        .size:           4
        .value_kind:     by_value
      - .offset:         112
        .size:           4
        .value_kind:     by_value
      - .offset:         116
        .size:           4
        .value_kind:     by_value
      - .offset:         120
        .size:           4
        .value_kind:     by_value
      - .offset:         128
        .size:           4
        .value_kind:     hidden_block_count_x
      - .offset:         132
        .size:           4
        .value_kind:     hidden_block_count_y
      - .offset:         136
        .size:           4
        .value_kind:     hidden_block_count_z
      - .offset:         140
        .size:           2
        .value_kind:     hidden_group_size_x
      - .offset:         142
        .size:           2
        .value_kind:     hidden_group_size_y
      - .offset:         144
        .size:           2
        .value_kind:     hidden_group_size_z
      - .offset:         146
        .size:           2
        .value_kind:     hidden_remainder_x
      - .offset:         148
        .size:           2
        .value_kind:     hidden_remainder_y
      - .offset:         150
        .size:           2
        .value_kind:     hidden_remainder_z
      - .offset:         168
        .size:           8
        .value_kind:     hidden_global_offset_x
      - .offset:         176
        .size:           8
        .value_kind:     hidden_global_offset_y
      - .offset:         184
        .size:           8
        .value_kind:     hidden_global_offset_z
      - .offset:         192
        .size:           2
        .value_kind:     hidden_grid_dims
      - .offset:         248
        .size:           4
        .value_kind:     hidden_dynamic_lds_size
    .group_segment_fixed_size: 256
    .kernarg_segment_align: 8
    .kernarg_segment_size: 384
    .language:       OpenCL C
    .language_version:
      - 2
      - 0
    .max_flat_workgroup_size: 1024
    .name:           _ZN4vllm25paged_attention_v1_kernelIthLi112ELi32ELi128ELNS_18Fp8KVCacheDataTypeE1ELb0EEEvPT_PKS2_PKT0_S8_ifPKiSA_iPKfiiiSC_SC_iiiii
    .private_segment_fixed_size: 336
    .sgpr_count:     42
    .sgpr_spill_count: 0
    .symbol:         _ZN4vllm25paged_attention_v1_kernelIthLi112ELi32ELi128ELNS_18Fp8KVCacheDataTypeE1ELb0EEEvPT_PKS2_PKT0_S8_ifPKiSA_iPKfiiiSC_SC_iiiii.kd
    .uniform_work_group_size: 1
    .uses_dynamic_stack: false
    .vgpr_count:     128
    .vgpr_spill_count: 0
    .wavefront_size: 32
    .workgroup_processor_mode: 1
  - .args:
      - .address_space:  global
        .offset:         0
        .size:           8
        .value_kind:     global_buffer
      - .address_space:  global
        .offset:         8
        .size:           8
        .value_kind:     global_buffer
      - .address_space:  global
        .offset:         16
        .size:           8
        .value_kind:     global_buffer
      - .address_space:  global
        .offset:         24
        .size:           8
        .value_kind:     global_buffer
      - .offset:         32
        .size:           4
        .value_kind:     by_value
      - .offset:         36
        .size:           4
        .value_kind:     by_value
      - .address_space:  global
        .offset:         40
        .size:           8
        .value_kind:     global_buffer
      - .address_space:  global
        .offset:         48
        .size:           8
        .value_kind:     global_buffer
      - .offset:         56
        .size:           4
        .value_kind:     by_value
      - .address_space:  global
        .offset:         64
        .size:           8
        .value_kind:     global_buffer
      - .offset:         72
        .size:           4
        .value_kind:     by_value
      - .offset:         76
        .size:           4
        .value_kind:     by_value
      - .offset:         80
        .size:           4
        .value_kind:     by_value
      - .address_space:  global
        .offset:         88
        .size:           8
        .value_kind:     global_buffer
      - .address_space:  global
        .offset:         96
        .size:           8
        .value_kind:     global_buffer
      - .offset:         104
        .size:           4
        .value_kind:     by_value
      - .offset:         108
        .size:           4
        .value_kind:     by_value
      - .offset:         112
        .size:           4
        .value_kind:     by_value
      - .offset:         116
        .size:           4
        .value_kind:     by_value
      - .offset:         120
        .size:           4
        .value_kind:     by_value
      - .offset:         128
        .size:           4
        .value_kind:     hidden_block_count_x
      - .offset:         132
        .size:           4
        .value_kind:     hidden_block_count_y
      - .offset:         136
        .size:           4
        .value_kind:     hidden_block_count_z
      - .offset:         140
        .size:           2
        .value_kind:     hidden_group_size_x
      - .offset:         142
        .size:           2
        .value_kind:     hidden_group_size_y
      - .offset:         144
        .size:           2
        .value_kind:     hidden_group_size_z
      - .offset:         146
        .size:           2
        .value_kind:     hidden_remainder_x
      - .offset:         148
        .size:           2
        .value_kind:     hidden_remainder_y
      - .offset:         150
        .size:           2
        .value_kind:     hidden_remainder_z
      - .offset:         168
        .size:           8
        .value_kind:     hidden_global_offset_x
      - .offset:         176
        .size:           8
        .value_kind:     hidden_global_offset_y
      - .offset:         184
        .size:           8
        .value_kind:     hidden_global_offset_z
      - .offset:         192
        .size:           2
        .value_kind:     hidden_grid_dims
      - .offset:         248
        .size:           4
        .value_kind:     hidden_dynamic_lds_size
    .group_segment_fixed_size: 272
    .kernarg_segment_align: 8
    .kernarg_segment_size: 384
    .language:       OpenCL C
    .language_version:
      - 2
      - 0
    .max_flat_workgroup_size: 1024
    .name:           _ZN4vllm25paged_attention_v1_kernelIthLi120ELi32ELi128ELNS_18Fp8KVCacheDataTypeE1ELb0EEEvPT_PKS2_PKT0_S8_ifPKiSA_iPKfiiiSC_SC_iiiii
    .private_segment_fixed_size: 392
    .sgpr_count:     42
    .sgpr_spill_count: 0
    .symbol:         _ZN4vllm25paged_attention_v1_kernelIthLi120ELi32ELi128ELNS_18Fp8KVCacheDataTypeE1ELb0EEEvPT_PKS2_PKT0_S8_ifPKiSA_iPKfiiiSC_SC_iiiii.kd
    .uniform_work_group_size: 1
    .uses_dynamic_stack: false
    .vgpr_count:     128
    .vgpr_spill_count: 0
    .wavefront_size: 32
    .workgroup_processor_mode: 1
  - .args:
      - .address_space:  global
        .offset:         0
        .size:           8
        .value_kind:     global_buffer
      - .address_space:  global
        .offset:         8
        .size:           8
        .value_kind:     global_buffer
      - .address_space:  global
        .offset:         16
        .size:           8
        .value_kind:     global_buffer
      - .address_space:  global
        .offset:         24
        .size:           8
        .value_kind:     global_buffer
      - .offset:         32
        .size:           4
        .value_kind:     by_value
      - .offset:         36
        .size:           4
        .value_kind:     by_value
      - .address_space:  global
        .offset:         40
        .size:           8
        .value_kind:     global_buffer
      - .address_space:  global
        .offset:         48
        .size:           8
        .value_kind:     global_buffer
      - .offset:         56
        .size:           4
        .value_kind:     by_value
      - .address_space:  global
        .offset:         64
        .size:           8
        .value_kind:     global_buffer
      - .offset:         72
        .size:           4
        .value_kind:     by_value
      - .offset:         76
        .size:           4
        .value_kind:     by_value
      - .offset:         80
        .size:           4
        .value_kind:     by_value
      - .address_space:  global
        .offset:         88
        .size:           8
        .value_kind:     global_buffer
      - .address_space:  global
        .offset:         96
        .size:           8
        .value_kind:     global_buffer
      - .offset:         104
        .size:           4
        .value_kind:     by_value
      - .offset:         108
        .size:           4
        .value_kind:     by_value
      - .offset:         112
        .size:           4
        .value_kind:     by_value
      - .offset:         116
        .size:           4
        .value_kind:     by_value
      - .offset:         120
        .size:           4
        .value_kind:     by_value
      - .offset:         128
        .size:           4
        .value_kind:     hidden_block_count_x
      - .offset:         132
        .size:           4
        .value_kind:     hidden_block_count_y
      - .offset:         136
        .size:           4
        .value_kind:     hidden_block_count_z
      - .offset:         140
        .size:           2
        .value_kind:     hidden_group_size_x
      - .offset:         142
        .size:           2
        .value_kind:     hidden_group_size_y
      - .offset:         144
        .size:           2
        .value_kind:     hidden_group_size_z
      - .offset:         146
        .size:           2
        .value_kind:     hidden_remainder_x
      - .offset:         148
        .size:           2
        .value_kind:     hidden_remainder_y
      - .offset:         150
        .size:           2
        .value_kind:     hidden_remainder_z
      - .offset:         168
        .size:           8
        .value_kind:     hidden_global_offset_x
      - .offset:         176
        .size:           8
        .value_kind:     hidden_global_offset_y
      - .offset:         184
        .size:           8
        .value_kind:     hidden_global_offset_z
      - .offset:         192
        .size:           2
        .value_kind:     hidden_grid_dims
      - .offset:         248
        .size:           4
        .value_kind:     hidden_dynamic_lds_size
    .group_segment_fixed_size: 288
    .kernarg_segment_align: 8
    .kernarg_segment_size: 384
    .language:       OpenCL C
    .language_version:
      - 2
      - 0
    .max_flat_workgroup_size: 1024
    .name:           _ZN4vllm25paged_attention_v1_kernelIthLi128ELi32ELi128ELNS_18Fp8KVCacheDataTypeE1ELb0EEEvPT_PKS2_PKT0_S8_ifPKiSA_iPKfiiiSC_SC_iiiii
    .private_segment_fixed_size: 448
    .sgpr_count:     42
    .sgpr_spill_count: 0
    .symbol:         _ZN4vllm25paged_attention_v1_kernelIthLi128ELi32ELi128ELNS_18Fp8KVCacheDataTypeE1ELb0EEEvPT_PKS2_PKT0_S8_ifPKiSA_iPKfiiiSC_SC_iiiii.kd
    .uniform_work_group_size: 1
    .uses_dynamic_stack: false
    .vgpr_count:     128
    .vgpr_spill_count: 0
    .wavefront_size: 32
    .workgroup_processor_mode: 1
  - .args:
      - .address_space:  global
        .offset:         0
        .size:           8
        .value_kind:     global_buffer
      - .address_space:  global
        .offset:         8
        .size:           8
        .value_kind:     global_buffer
      - .address_space:  global
        .offset:         16
        .size:           8
        .value_kind:     global_buffer
      - .address_space:  global
        .offset:         24
        .size:           8
        .value_kind:     global_buffer
      - .offset:         32
        .size:           4
        .value_kind:     by_value
      - .offset:         36
        .size:           4
        .value_kind:     by_value
      - .address_space:  global
        .offset:         40
        .size:           8
        .value_kind:     global_buffer
      - .address_space:  global
        .offset:         48
        .size:           8
        .value_kind:     global_buffer
      - .offset:         56
        .size:           4
        .value_kind:     by_value
      - .address_space:  global
        .offset:         64
        .size:           8
        .value_kind:     global_buffer
      - .offset:         72
        .size:           4
        .value_kind:     by_value
      - .offset:         76
        .size:           4
        .value_kind:     by_value
      - .offset:         80
        .size:           4
        .value_kind:     by_value
      - .address_space:  global
        .offset:         88
        .size:           8
        .value_kind:     global_buffer
      - .address_space:  global
        .offset:         96
        .size:           8
        .value_kind:     global_buffer
      - .offset:         104
        .size:           4
        .value_kind:     by_value
      - .offset:         108
        .size:           4
        .value_kind:     by_value
      - .offset:         112
        .size:           4
        .value_kind:     by_value
      - .offset:         116
        .size:           4
        .value_kind:     by_value
      - .offset:         120
        .size:           4
        .value_kind:     by_value
      - .offset:         128
        .size:           4
        .value_kind:     hidden_block_count_x
      - .offset:         132
        .size:           4
        .value_kind:     hidden_block_count_y
      - .offset:         136
        .size:           4
        .value_kind:     hidden_block_count_z
      - .offset:         140
        .size:           2
        .value_kind:     hidden_group_size_x
      - .offset:         142
        .size:           2
        .value_kind:     hidden_group_size_y
      - .offset:         144
        .size:           2
        .value_kind:     hidden_group_size_z
      - .offset:         146
        .size:           2
        .value_kind:     hidden_remainder_x
      - .offset:         148
        .size:           2
        .value_kind:     hidden_remainder_y
      - .offset:         150
        .size:           2
        .value_kind:     hidden_remainder_z
      - .offset:         168
        .size:           8
        .value_kind:     hidden_global_offset_x
      - .offset:         176
        .size:           8
        .value_kind:     hidden_global_offset_y
      - .offset:         184
        .size:           8
        .value_kind:     hidden_global_offset_z
      - .offset:         192
        .size:           2
        .value_kind:     hidden_grid_dims
      - .offset:         248
        .size:           4
        .value_kind:     hidden_dynamic_lds_size
    .group_segment_fixed_size: 416
    .kernarg_segment_align: 8
    .kernarg_segment_size: 384
    .language:       OpenCL C
    .language_version:
      - 2
      - 0
    .max_flat_workgroup_size: 1024
    .name:           _ZN4vllm25paged_attention_v1_kernelIthLi192ELi32ELi128ELNS_18Fp8KVCacheDataTypeE1ELb0EEEvPT_PKS2_PKT0_S8_ifPKiSA_iPKfiiiSC_SC_iiiii
    .private_segment_fixed_size: 928
    .sgpr_count:     42
    .sgpr_spill_count: 0
    .symbol:         _ZN4vllm25paged_attention_v1_kernelIthLi192ELi32ELi128ELNS_18Fp8KVCacheDataTypeE1ELb0EEEvPT_PKS2_PKT0_S8_ifPKiSA_iPKfiiiSC_SC_iiiii.kd
    .uniform_work_group_size: 1
    .uses_dynamic_stack: false
    .vgpr_count:     128
    .vgpr_spill_count: 0
    .wavefront_size: 32
    .workgroup_processor_mode: 1
  - .args:
      - .address_space:  global
        .offset:         0
        .size:           8
        .value_kind:     global_buffer
      - .address_space:  global
        .offset:         8
        .size:           8
        .value_kind:     global_buffer
      - .address_space:  global
        .offset:         16
        .size:           8
        .value_kind:     global_buffer
      - .address_space:  global
        .offset:         24
        .size:           8
        .value_kind:     global_buffer
      - .offset:         32
        .size:           4
        .value_kind:     by_value
      - .offset:         36
        .size:           4
        .value_kind:     by_value
      - .address_space:  global
        .offset:         40
        .size:           8
        .value_kind:     global_buffer
      - .address_space:  global
        .offset:         48
        .size:           8
        .value_kind:     global_buffer
      - .offset:         56
        .size:           4
        .value_kind:     by_value
      - .address_space:  global
        .offset:         64
        .size:           8
        .value_kind:     global_buffer
      - .offset:         72
        .size:           4
        .value_kind:     by_value
      - .offset:         76
        .size:           4
        .value_kind:     by_value
      - .offset:         80
        .size:           4
        .value_kind:     by_value
      - .address_space:  global
        .offset:         88
        .size:           8
        .value_kind:     global_buffer
      - .address_space:  global
        .offset:         96
        .size:           8
        .value_kind:     global_buffer
      - .offset:         104
        .size:           4
        .value_kind:     by_value
      - .offset:         108
        .size:           4
        .value_kind:     by_value
      - .offset:         112
        .size:           4
        .value_kind:     by_value
      - .offset:         116
        .size:           4
        .value_kind:     by_value
      - .offset:         120
        .size:           4
        .value_kind:     by_value
      - .offset:         128
        .size:           4
        .value_kind:     hidden_block_count_x
      - .offset:         132
        .size:           4
        .value_kind:     hidden_block_count_y
      - .offset:         136
        .size:           4
        .value_kind:     hidden_block_count_z
      - .offset:         140
        .size:           2
        .value_kind:     hidden_group_size_x
      - .offset:         142
        .size:           2
        .value_kind:     hidden_group_size_y
      - .offset:         144
        .size:           2
        .value_kind:     hidden_group_size_z
      - .offset:         146
        .size:           2
        .value_kind:     hidden_remainder_x
      - .offset:         148
        .size:           2
        .value_kind:     hidden_remainder_y
      - .offset:         150
        .size:           2
        .value_kind:     hidden_remainder_z
      - .offset:         168
        .size:           8
        .value_kind:     hidden_global_offset_x
      - .offset:         176
        .size:           8
        .value_kind:     hidden_global_offset_y
      - .offset:         184
        .size:           8
        .value_kind:     hidden_global_offset_z
      - .offset:         192
        .size:           2
        .value_kind:     hidden_grid_dims
      - .offset:         248
        .size:           4
        .value_kind:     hidden_dynamic_lds_size
    .group_segment_fixed_size: 544
    .kernarg_segment_align: 8
    .kernarg_segment_size: 384
    .language:       OpenCL C
    .language_version:
      - 2
      - 0
    .max_flat_workgroup_size: 1024
    .name:           _ZN4vllm25paged_attention_v1_kernelIthLi256ELi32ELi128ELNS_18Fp8KVCacheDataTypeE1ELb0EEEvPT_PKS2_PKT0_S8_ifPKiSA_iPKfiiiSC_SC_iiiii
    .private_segment_fixed_size: 1324
    .sgpr_count:     42
    .sgpr_spill_count: 0
    .symbol:         _ZN4vllm25paged_attention_v1_kernelIthLi256ELi32ELi128ELNS_18Fp8KVCacheDataTypeE1ELb0EEEvPT_PKS2_PKT0_S8_ifPKiSA_iPKfiiiSC_SC_iiiii.kd
    .uniform_work_group_size: 1
    .uses_dynamic_stack: false
    .vgpr_count:     128
    .vgpr_spill_count: 0
    .wavefront_size: 32
    .workgroup_processor_mode: 1
  - .args:
      - .actual_access:  write_only
        .address_space:  global
        .offset:         0
        .size:           8
        .value_kind:     global_buffer
      - .actual_access:  read_only
        .address_space:  global
        .offset:         8
        .size:           8
        .value_kind:     global_buffer
      - .actual_access:  read_only
        .address_space:  global
        .offset:         16
        .size:           8
        .value_kind:     global_buffer
      - .actual_access:  read_only
        .address_space:  global
        .offset:         24
        .size:           8
        .value_kind:     global_buffer
      - .offset:         32
        .size:           4
        .value_kind:     by_value
      - .offset:         36
        .size:           4
        .value_kind:     by_value
      - .actual_access:  read_only
        .address_space:  global
        .offset:         40
        .size:           8
        .value_kind:     global_buffer
      - .actual_access:  read_only
        .address_space:  global
        .offset:         48
        .size:           8
        .value_kind:     global_buffer
      - .offset:         56
        .size:           4
        .value_kind:     by_value
      - .actual_access:  read_only
        .address_space:  global
        .offset:         64
        .size:           8
        .value_kind:     global_buffer
      - .offset:         72
        .size:           4
        .value_kind:     by_value
      - .offset:         76
        .size:           4
        .value_kind:     by_value
      - .offset:         80
        .size:           4
        .value_kind:     by_value
      - .address_space:  global
        .offset:         88
        .size:           8
        .value_kind:     global_buffer
      - .address_space:  global
        .offset:         96
        .size:           8
        .value_kind:     global_buffer
      - .offset:         104
        .size:           4
        .value_kind:     by_value
      - .offset:         108
        .size:           4
        .value_kind:     by_value
      - .offset:         112
        .size:           4
        .value_kind:     by_value
      - .offset:         116
        .size:           4
        .value_kind:     by_value
      - .offset:         120
        .size:           4
        .value_kind:     by_value
      - .offset:         128
        .size:           4
        .value_kind:     hidden_block_count_x
      - .offset:         132
        .size:           4
        .value_kind:     hidden_block_count_y
      - .offset:         136
        .size:           4
        .value_kind:     hidden_block_count_z
      - .offset:         140
        .size:           2
        .value_kind:     hidden_group_size_x
      - .offset:         142
        .size:           2
        .value_kind:     hidden_group_size_y
      - .offset:         144
        .size:           2
        .value_kind:     hidden_group_size_z
      - .offset:         146
        .size:           2
        .value_kind:     hidden_remainder_x
      - .offset:         148
        .size:           2
        .value_kind:     hidden_remainder_y
      - .offset:         150
        .size:           2
        .value_kind:     hidden_remainder_z
      - .offset:         168
        .size:           8
        .value_kind:     hidden_global_offset_x
      - .offset:         176
        .size:           8
        .value_kind:     hidden_global_offset_y
      - .offset:         184
        .size:           8
        .value_kind:     hidden_global_offset_z
      - .offset:         192
        .size:           2
        .value_kind:     hidden_grid_dims
      - .offset:         248
        .size:           4
        .value_kind:     hidden_dynamic_lds_size
    .group_segment_fixed_size: 96
    .kernarg_segment_align: 8
    .kernarg_segment_size: 384
    .language:       OpenCL C
    .language_version:
      - 2
      - 0
    .max_flat_workgroup_size: 1024
    .name:           _ZN4vllm25paged_attention_v1_kernelI14__hip_bfloat16hLi32ELi8ELi128ELNS_18Fp8KVCacheDataTypeE1ELb1EEEvPT_PKS3_PKT0_S9_ifPKiSB_iPKfiiiSD_SD_iiiii
    .private_segment_fixed_size: 0
    .sgpr_count:     47
    .sgpr_spill_count: 0
    .symbol:         _ZN4vllm25paged_attention_v1_kernelI14__hip_bfloat16hLi32ELi8ELi128ELNS_18Fp8KVCacheDataTypeE1ELb1EEEvPT_PKS3_PKT0_S9_ifPKiSB_iPKfiiiSD_SD_iiiii.kd
    .uniform_work_group_size: 1
    .uses_dynamic_stack: false
    .vgpr_count:     40
    .vgpr_spill_count: 0
    .wavefront_size: 32
    .workgroup_processor_mode: 1
  - .args:
      - .actual_access:  write_only
        .address_space:  global
        .offset:         0
        .size:           8
        .value_kind:     global_buffer
      - .actual_access:  read_only
        .address_space:  global
        .offset:         8
        .size:           8
        .value_kind:     global_buffer
      - .actual_access:  read_only
        .address_space:  global
        .offset:         16
        .size:           8
        .value_kind:     global_buffer
      - .actual_access:  read_only
        .address_space:  global
        .offset:         24
        .size:           8
        .value_kind:     global_buffer
      - .offset:         32
        .size:           4
        .value_kind:     by_value
      - .offset:         36
        .size:           4
        .value_kind:     by_value
      - .actual_access:  read_only
        .address_space:  global
        .offset:         40
        .size:           8
        .value_kind:     global_buffer
      - .actual_access:  read_only
        .address_space:  global
        .offset:         48
        .size:           8
        .value_kind:     global_buffer
      - .offset:         56
        .size:           4
        .value_kind:     by_value
      - .actual_access:  read_only
        .address_space:  global
        .offset:         64
        .size:           8
        .value_kind:     global_buffer
      - .offset:         72
        .size:           4
        .value_kind:     by_value
      - .offset:         76
        .size:           4
        .value_kind:     by_value
      - .offset:         80
        .size:           4
        .value_kind:     by_value
      - .address_space:  global
        .offset:         88
        .size:           8
        .value_kind:     global_buffer
      - .address_space:  global
        .offset:         96
        .size:           8
        .value_kind:     global_buffer
      - .offset:         104
        .size:           4
        .value_kind:     by_value
      - .offset:         108
        .size:           4
        .value_kind:     by_value
      - .offset:         112
        .size:           4
        .value_kind:     by_value
      - .offset:         116
        .size:           4
        .value_kind:     by_value
      - .offset:         120
        .size:           4
        .value_kind:     by_value
      - .offset:         128
        .size:           4
        .value_kind:     hidden_block_count_x
      - .offset:         132
        .size:           4
        .value_kind:     hidden_block_count_y
      - .offset:         136
        .size:           4
        .value_kind:     hidden_block_count_z
      - .offset:         140
        .size:           2
        .value_kind:     hidden_group_size_x
      - .offset:         142
        .size:           2
        .value_kind:     hidden_group_size_y
      - .offset:         144
        .size:           2
        .value_kind:     hidden_group_size_z
      - .offset:         146
        .size:           2
        .value_kind:     hidden_remainder_x
      - .offset:         148
        .size:           2
        .value_kind:     hidden_remainder_y
      - .offset:         150
        .size:           2
        .value_kind:     hidden_remainder_z
      - .offset:         168
        .size:           8
        .value_kind:     hidden_global_offset_x
      - .offset:         176
        .size:           8
        .value_kind:     hidden_global_offset_y
      - .offset:         184
        .size:           8
        .value_kind:     hidden_global_offset_z
      - .offset:         192
        .size:           2
        .value_kind:     hidden_grid_dims
      - .offset:         248
        .size:           4
        .value_kind:     hidden_dynamic_lds_size
    .group_segment_fixed_size: 160
    .kernarg_segment_align: 8
    .kernarg_segment_size: 384
    .language:       OpenCL C
    .language_version:
      - 2
      - 0
    .max_flat_workgroup_size: 1024
    .name:           _ZN4vllm25paged_attention_v1_kernelI14__hip_bfloat16hLi64ELi8ELi128ELNS_18Fp8KVCacheDataTypeE1ELb1EEEvPT_PKS3_PKT0_S9_ifPKiSB_iPKfiiiSD_SD_iiiii
    .private_segment_fixed_size: 0
    .sgpr_count:     48
    .sgpr_spill_count: 0
    .symbol:         _ZN4vllm25paged_attention_v1_kernelI14__hip_bfloat16hLi64ELi8ELi128ELNS_18Fp8KVCacheDataTypeE1ELb1EEEvPT_PKS3_PKT0_S9_ifPKiSB_iPKfiiiSD_SD_iiiii.kd
    .uniform_work_group_size: 1
    .uses_dynamic_stack: false
    .vgpr_count:     57
    .vgpr_spill_count: 0
    .wavefront_size: 32
    .workgroup_processor_mode: 1
  - .args:
      - .actual_access:  write_only
        .address_space:  global
        .offset:         0
        .size:           8
        .value_kind:     global_buffer
      - .actual_access:  read_only
        .address_space:  global
        .offset:         8
        .size:           8
        .value_kind:     global_buffer
      - .actual_access:  read_only
        .address_space:  global
        .offset:         16
        .size:           8
        .value_kind:     global_buffer
      - .actual_access:  read_only
        .address_space:  global
        .offset:         24
        .size:           8
        .value_kind:     global_buffer
      - .offset:         32
        .size:           4
        .value_kind:     by_value
      - .offset:         36
        .size:           4
        .value_kind:     by_value
      - .actual_access:  read_only
        .address_space:  global
        .offset:         40
        .size:           8
        .value_kind:     global_buffer
      - .actual_access:  read_only
        .address_space:  global
        .offset:         48
        .size:           8
        .value_kind:     global_buffer
      - .offset:         56
        .size:           4
        .value_kind:     by_value
      - .actual_access:  read_only
        .address_space:  global
        .offset:         64
        .size:           8
        .value_kind:     global_buffer
      - .offset:         72
        .size:           4
        .value_kind:     by_value
      - .offset:         76
        .size:           4
        .value_kind:     by_value
      - .offset:         80
        .size:           4
        .value_kind:     by_value
      - .address_space:  global
        .offset:         88
        .size:           8
        .value_kind:     global_buffer
      - .address_space:  global
        .offset:         96
        .size:           8
        .value_kind:     global_buffer
      - .offset:         104
        .size:           4
        .value_kind:     by_value
      - .offset:         108
        .size:           4
        .value_kind:     by_value
      - .offset:         112
        .size:           4
        .value_kind:     by_value
      - .offset:         116
        .size:           4
        .value_kind:     by_value
      - .offset:         120
        .size:           4
        .value_kind:     by_value
      - .offset:         128
        .size:           4
        .value_kind:     hidden_block_count_x
      - .offset:         132
        .size:           4
        .value_kind:     hidden_block_count_y
      - .offset:         136
        .size:           4
        .value_kind:     hidden_block_count_z
      - .offset:         140
        .size:           2
        .value_kind:     hidden_group_size_x
      - .offset:         142
        .size:           2
        .value_kind:     hidden_group_size_y
      - .offset:         144
        .size:           2
        .value_kind:     hidden_group_size_z
      - .offset:         146
        .size:           2
        .value_kind:     hidden_remainder_x
      - .offset:         148
        .size:           2
        .value_kind:     hidden_remainder_y
      - .offset:         150
        .size:           2
        .value_kind:     hidden_remainder_z
      - .offset:         168
        .size:           8
        .value_kind:     hidden_global_offset_x
      - .offset:         176
        .size:           8
        .value_kind:     hidden_global_offset_y
      - .offset:         184
        .size:           8
        .value_kind:     hidden_global_offset_z
      - .offset:         192
        .size:           2
        .value_kind:     hidden_grid_dims
      - .offset:         248
        .size:           4
        .value_kind:     hidden_dynamic_lds_size
    .group_segment_fixed_size: 192
    .kernarg_segment_align: 8
    .kernarg_segment_size: 384
    .language:       OpenCL C
    .language_version:
      - 2
      - 0
    .max_flat_workgroup_size: 1024
    .name:           _ZN4vllm25paged_attention_v1_kernelI14__hip_bfloat16hLi80ELi8ELi128ELNS_18Fp8KVCacheDataTypeE1ELb1EEEvPT_PKS3_PKT0_S9_ifPKiSB_iPKfiiiSD_SD_iiiii
    .private_segment_fixed_size: 0
    .sgpr_count:     53
    .sgpr_spill_count: 0
    .symbol:         _ZN4vllm25paged_attention_v1_kernelI14__hip_bfloat16hLi80ELi8ELi128ELNS_18Fp8KVCacheDataTypeE1ELb1EEEvPT_PKS3_PKT0_S9_ifPKiSB_iPKfiiiSD_SD_iiiii.kd
    .uniform_work_group_size: 1
    .uses_dynamic_stack: false
    .vgpr_count:     61
    .vgpr_spill_count: 0
    .wavefront_size: 32
    .workgroup_processor_mode: 1
  - .args:
      - .actual_access:  write_only
        .address_space:  global
        .offset:         0
        .size:           8
        .value_kind:     global_buffer
      - .actual_access:  read_only
        .address_space:  global
        .offset:         8
        .size:           8
        .value_kind:     global_buffer
      - .actual_access:  read_only
        .address_space:  global
        .offset:         16
        .size:           8
        .value_kind:     global_buffer
      - .actual_access:  read_only
        .address_space:  global
        .offset:         24
        .size:           8
        .value_kind:     global_buffer
      - .offset:         32
        .size:           4
        .value_kind:     by_value
      - .offset:         36
        .size:           4
        .value_kind:     by_value
      - .actual_access:  read_only
        .address_space:  global
        .offset:         40
        .size:           8
        .value_kind:     global_buffer
      - .actual_access:  read_only
        .address_space:  global
        .offset:         48
        .size:           8
        .value_kind:     global_buffer
      - .offset:         56
        .size:           4
        .value_kind:     by_value
      - .actual_access:  read_only
        .address_space:  global
        .offset:         64
        .size:           8
        .value_kind:     global_buffer
      - .offset:         72
        .size:           4
        .value_kind:     by_value
      - .offset:         76
        .size:           4
        .value_kind:     by_value
      - .offset:         80
        .size:           4
        .value_kind:     by_value
      - .address_space:  global
        .offset:         88
        .size:           8
        .value_kind:     global_buffer
      - .address_space:  global
        .offset:         96
        .size:           8
        .value_kind:     global_buffer
      - .offset:         104
        .size:           4
        .value_kind:     by_value
      - .offset:         108
        .size:           4
        .value_kind:     by_value
      - .offset:         112
        .size:           4
        .value_kind:     by_value
      - .offset:         116
        .size:           4
        .value_kind:     by_value
      - .offset:         120
        .size:           4
        .value_kind:     by_value
      - .offset:         128
        .size:           4
        .value_kind:     hidden_block_count_x
      - .offset:         132
        .size:           4
        .value_kind:     hidden_block_count_y
      - .offset:         136
        .size:           4
        .value_kind:     hidden_block_count_z
      - .offset:         140
        .size:           2
        .value_kind:     hidden_group_size_x
      - .offset:         142
        .size:           2
        .value_kind:     hidden_group_size_y
      - .offset:         144
        .size:           2
        .value_kind:     hidden_group_size_z
      - .offset:         146
        .size:           2
        .value_kind:     hidden_remainder_x
      - .offset:         148
        .size:           2
        .value_kind:     hidden_remainder_y
      - .offset:         150
        .size:           2
        .value_kind:     hidden_remainder_z
      - .offset:         168
        .size:           8
        .value_kind:     hidden_global_offset_x
      - .offset:         176
        .size:           8
        .value_kind:     hidden_global_offset_y
      - .offset:         184
        .size:           8
        .value_kind:     hidden_global_offset_z
      - .offset:         192
        .size:           2
        .value_kind:     hidden_grid_dims
      - .offset:         248
        .size:           4
        .value_kind:     hidden_dynamic_lds_size
    .group_segment_fixed_size: 224
    .kernarg_segment_align: 8
    .kernarg_segment_size: 384
    .language:       OpenCL C
    .language_version:
      - 2
      - 0
    .max_flat_workgroup_size: 1024
    .name:           _ZN4vllm25paged_attention_v1_kernelI14__hip_bfloat16hLi96ELi8ELi128ELNS_18Fp8KVCacheDataTypeE1ELb1EEEvPT_PKS3_PKT0_S9_ifPKiSB_iPKfiiiSD_SD_iiiii
    .private_segment_fixed_size: 0
    .sgpr_count:     47
    .sgpr_spill_count: 0
    .symbol:         _ZN4vllm25paged_attention_v1_kernelI14__hip_bfloat16hLi96ELi8ELi128ELNS_18Fp8KVCacheDataTypeE1ELb1EEEvPT_PKS3_PKT0_S9_ifPKiSB_iPKfiiiSD_SD_iiiii.kd
    .uniform_work_group_size: 1
    .uses_dynamic_stack: false
    .vgpr_count:     69
    .vgpr_spill_count: 0
    .wavefront_size: 32
    .workgroup_processor_mode: 1
  - .args:
      - .actual_access:  write_only
        .address_space:  global
        .offset:         0
        .size:           8
        .value_kind:     global_buffer
      - .actual_access:  read_only
        .address_space:  global
        .offset:         8
        .size:           8
        .value_kind:     global_buffer
      - .actual_access:  read_only
        .address_space:  global
        .offset:         16
        .size:           8
        .value_kind:     global_buffer
      - .actual_access:  read_only
        .address_space:  global
        .offset:         24
        .size:           8
        .value_kind:     global_buffer
      - .offset:         32
        .size:           4
        .value_kind:     by_value
      - .offset:         36
        .size:           4
        .value_kind:     by_value
      - .actual_access:  read_only
        .address_space:  global
        .offset:         40
        .size:           8
        .value_kind:     global_buffer
      - .actual_access:  read_only
        .address_space:  global
        .offset:         48
        .size:           8
        .value_kind:     global_buffer
      - .offset:         56
        .size:           4
        .value_kind:     by_value
      - .actual_access:  read_only
        .address_space:  global
        .offset:         64
        .size:           8
        .value_kind:     global_buffer
      - .offset:         72
        .size:           4
        .value_kind:     by_value
      - .offset:         76
        .size:           4
        .value_kind:     by_value
      - .offset:         80
        .size:           4
        .value_kind:     by_value
      - .address_space:  global
        .offset:         88
        .size:           8
        .value_kind:     global_buffer
      - .address_space:  global
        .offset:         96
        .size:           8
        .value_kind:     global_buffer
      - .offset:         104
        .size:           4
        .value_kind:     by_value
      - .offset:         108
        .size:           4
        .value_kind:     by_value
      - .offset:         112
        .size:           4
        .value_kind:     by_value
      - .offset:         116
        .size:           4
        .value_kind:     by_value
      - .offset:         120
        .size:           4
        .value_kind:     by_value
      - .offset:         128
        .size:           4
        .value_kind:     hidden_block_count_x
      - .offset:         132
        .size:           4
        .value_kind:     hidden_block_count_y
      - .offset:         136
        .size:           4
        .value_kind:     hidden_block_count_z
      - .offset:         140
        .size:           2
        .value_kind:     hidden_group_size_x
      - .offset:         142
        .size:           2
        .value_kind:     hidden_group_size_y
      - .offset:         144
        .size:           2
        .value_kind:     hidden_group_size_z
      - .offset:         146
        .size:           2
        .value_kind:     hidden_remainder_x
      - .offset:         148
        .size:           2
        .value_kind:     hidden_remainder_y
      - .offset:         150
        .size:           2
        .value_kind:     hidden_remainder_z
      - .offset:         168
        .size:           8
        .value_kind:     hidden_global_offset_x
      - .offset:         176
        .size:           8
        .value_kind:     hidden_global_offset_y
      - .offset:         184
        .size:           8
        .value_kind:     hidden_global_offset_z
      - .offset:         192
        .size:           2
        .value_kind:     hidden_grid_dims
      - .offset:         248
        .size:           4
        .value_kind:     hidden_dynamic_lds_size
    .group_segment_fixed_size: 256
    .kernarg_segment_align: 8
    .kernarg_segment_size: 384
    .language:       OpenCL C
    .language_version:
      - 2
      - 0
    .max_flat_workgroup_size: 1024
    .name:           _ZN4vllm25paged_attention_v1_kernelI14__hip_bfloat16hLi112ELi8ELi128ELNS_18Fp8KVCacheDataTypeE1ELb1EEEvPT_PKS3_PKT0_S9_ifPKiSB_iPKfiiiSD_SD_iiiii
    .private_segment_fixed_size: 0
    .sgpr_count:     61
    .sgpr_spill_count: 0
    .symbol:         _ZN4vllm25paged_attention_v1_kernelI14__hip_bfloat16hLi112ELi8ELi128ELNS_18Fp8KVCacheDataTypeE1ELb1EEEvPT_PKS3_PKT0_S9_ifPKiSB_iPKfiiiSD_SD_iiiii.kd
    .uniform_work_group_size: 1
    .uses_dynamic_stack: false
    .vgpr_count:     79
    .vgpr_spill_count: 0
    .wavefront_size: 32
    .workgroup_processor_mode: 1
  - .args:
      - .actual_access:  write_only
        .address_space:  global
        .offset:         0
        .size:           8
        .value_kind:     global_buffer
      - .actual_access:  read_only
        .address_space:  global
        .offset:         8
        .size:           8
        .value_kind:     global_buffer
      - .actual_access:  read_only
        .address_space:  global
        .offset:         16
        .size:           8
        .value_kind:     global_buffer
      - .actual_access:  read_only
        .address_space:  global
        .offset:         24
        .size:           8
        .value_kind:     global_buffer
      - .offset:         32
        .size:           4
        .value_kind:     by_value
      - .offset:         36
        .size:           4
        .value_kind:     by_value
      - .actual_access:  read_only
        .address_space:  global
        .offset:         40
        .size:           8
        .value_kind:     global_buffer
      - .actual_access:  read_only
        .address_space:  global
        .offset:         48
        .size:           8
        .value_kind:     global_buffer
      - .offset:         56
        .size:           4
        .value_kind:     by_value
      - .actual_access:  read_only
        .address_space:  global
        .offset:         64
        .size:           8
        .value_kind:     global_buffer
      - .offset:         72
        .size:           4
        .value_kind:     by_value
      - .offset:         76
        .size:           4
        .value_kind:     by_value
      - .offset:         80
        .size:           4
        .value_kind:     by_value
      - .address_space:  global
        .offset:         88
        .size:           8
        .value_kind:     global_buffer
      - .address_space:  global
        .offset:         96
        .size:           8
        .value_kind:     global_buffer
      - .offset:         104
        .size:           4
        .value_kind:     by_value
      - .offset:         108
        .size:           4
        .value_kind:     by_value
      - .offset:         112
        .size:           4
        .value_kind:     by_value
      - .offset:         116
        .size:           4
        .value_kind:     by_value
      - .offset:         120
        .size:           4
        .value_kind:     by_value
      - .offset:         128
        .size:           4
        .value_kind:     hidden_block_count_x
      - .offset:         132
        .size:           4
        .value_kind:     hidden_block_count_y
      - .offset:         136
        .size:           4
        .value_kind:     hidden_block_count_z
      - .offset:         140
        .size:           2
        .value_kind:     hidden_group_size_x
      - .offset:         142
        .size:           2
        .value_kind:     hidden_group_size_y
      - .offset:         144
        .size:           2
        .value_kind:     hidden_group_size_z
      - .offset:         146
        .size:           2
        .value_kind:     hidden_remainder_x
      - .offset:         148
        .size:           2
        .value_kind:     hidden_remainder_y
      - .offset:         150
        .size:           2
        .value_kind:     hidden_remainder_z
      - .offset:         168
        .size:           8
        .value_kind:     hidden_global_offset_x
      - .offset:         176
        .size:           8
        .value_kind:     hidden_global_offset_y
      - .offset:         184
        .size:           8
        .value_kind:     hidden_global_offset_z
      - .offset:         192
        .size:           2
        .value_kind:     hidden_grid_dims
      - .offset:         248
        .size:           4
        .value_kind:     hidden_dynamic_lds_size
    .group_segment_fixed_size: 272
    .kernarg_segment_align: 8
    .kernarg_segment_size: 384
    .language:       OpenCL C
    .language_version:
      - 2
      - 0
    .max_flat_workgroup_size: 1024
    .name:           _ZN4vllm25paged_attention_v1_kernelI14__hip_bfloat16hLi120ELi8ELi128ELNS_18Fp8KVCacheDataTypeE1ELb1EEEvPT_PKS3_PKT0_S9_ifPKiSB_iPKfiiiSD_SD_iiiii
    .private_segment_fixed_size: 0
    .sgpr_count:     61
    .sgpr_spill_count: 0
    .symbol:         _ZN4vllm25paged_attention_v1_kernelI14__hip_bfloat16hLi120ELi8ELi128ELNS_18Fp8KVCacheDataTypeE1ELb1EEEvPT_PKS3_PKT0_S9_ifPKiSB_iPKfiiiSD_SD_iiiii.kd
    .uniform_work_group_size: 1
    .uses_dynamic_stack: false
    .vgpr_count:     84
    .vgpr_spill_count: 0
    .wavefront_size: 32
    .workgroup_processor_mode: 1
  - .args:
      - .actual_access:  write_only
        .address_space:  global
        .offset:         0
        .size:           8
        .value_kind:     global_buffer
      - .actual_access:  read_only
        .address_space:  global
        .offset:         8
        .size:           8
        .value_kind:     global_buffer
      - .actual_access:  read_only
        .address_space:  global
        .offset:         16
        .size:           8
        .value_kind:     global_buffer
      - .actual_access:  read_only
        .address_space:  global
        .offset:         24
        .size:           8
        .value_kind:     global_buffer
      - .offset:         32
        .size:           4
        .value_kind:     by_value
      - .offset:         36
        .size:           4
        .value_kind:     by_value
      - .actual_access:  read_only
        .address_space:  global
        .offset:         40
        .size:           8
        .value_kind:     global_buffer
      - .actual_access:  read_only
        .address_space:  global
        .offset:         48
        .size:           8
        .value_kind:     global_buffer
      - .offset:         56
        .size:           4
        .value_kind:     by_value
      - .actual_access:  read_only
        .address_space:  global
        .offset:         64
        .size:           8
        .value_kind:     global_buffer
      - .offset:         72
        .size:           4
        .value_kind:     by_value
      - .offset:         76
        .size:           4
        .value_kind:     by_value
      - .offset:         80
        .size:           4
        .value_kind:     by_value
      - .address_space:  global
        .offset:         88
        .size:           8
        .value_kind:     global_buffer
      - .address_space:  global
        .offset:         96
        .size:           8
        .value_kind:     global_buffer
      - .offset:         104
        .size:           4
        .value_kind:     by_value
      - .offset:         108
        .size:           4
        .value_kind:     by_value
      - .offset:         112
        .size:           4
        .value_kind:     by_value
      - .offset:         116
        .size:           4
        .value_kind:     by_value
      - .offset:         120
        .size:           4
        .value_kind:     by_value
      - .offset:         128
        .size:           4
        .value_kind:     hidden_block_count_x
      - .offset:         132
        .size:           4
        .value_kind:     hidden_block_count_y
      - .offset:         136
        .size:           4
        .value_kind:     hidden_block_count_z
      - .offset:         140
        .size:           2
        .value_kind:     hidden_group_size_x
      - .offset:         142
        .size:           2
        .value_kind:     hidden_group_size_y
      - .offset:         144
        .size:           2
        .value_kind:     hidden_group_size_z
      - .offset:         146
        .size:           2
        .value_kind:     hidden_remainder_x
      - .offset:         148
        .size:           2
        .value_kind:     hidden_remainder_y
      - .offset:         150
        .size:           2
        .value_kind:     hidden_remainder_z
      - .offset:         168
        .size:           8
        .value_kind:     hidden_global_offset_x
      - .offset:         176
        .size:           8
        .value_kind:     hidden_global_offset_y
      - .offset:         184
        .size:           8
        .value_kind:     hidden_global_offset_z
      - .offset:         192
        .size:           2
        .value_kind:     hidden_grid_dims
      - .offset:         248
        .size:           4
        .value_kind:     hidden_dynamic_lds_size
    .group_segment_fixed_size: 288
    .kernarg_segment_align: 8
    .kernarg_segment_size: 384
    .language:       OpenCL C
    .language_version:
      - 2
      - 0
    .max_flat_workgroup_size: 1024
    .name:           _ZN4vllm25paged_attention_v1_kernelI14__hip_bfloat16hLi128ELi8ELi128ELNS_18Fp8KVCacheDataTypeE1ELb1EEEvPT_PKS3_PKT0_S9_ifPKiSB_iPKfiiiSD_SD_iiiii
    .private_segment_fixed_size: 0
    .sgpr_count:     48
    .sgpr_spill_count: 0
    .symbol:         _ZN4vllm25paged_attention_v1_kernelI14__hip_bfloat16hLi128ELi8ELi128ELNS_18Fp8KVCacheDataTypeE1ELb1EEEvPT_PKS3_PKT0_S9_ifPKiSB_iPKfiiiSD_SD_iiiii.kd
    .uniform_work_group_size: 1
    .uses_dynamic_stack: false
    .vgpr_count:     89
    .vgpr_spill_count: 0
    .wavefront_size: 32
    .workgroup_processor_mode: 1
  - .args:
      - .actual_access:  write_only
        .address_space:  global
        .offset:         0
        .size:           8
        .value_kind:     global_buffer
      - .actual_access:  read_only
        .address_space:  global
        .offset:         8
        .size:           8
        .value_kind:     global_buffer
      - .actual_access:  read_only
        .address_space:  global
        .offset:         16
        .size:           8
        .value_kind:     global_buffer
      - .actual_access:  read_only
        .address_space:  global
        .offset:         24
        .size:           8
        .value_kind:     global_buffer
      - .offset:         32
        .size:           4
        .value_kind:     by_value
      - .offset:         36
        .size:           4
        .value_kind:     by_value
      - .actual_access:  read_only
        .address_space:  global
        .offset:         40
        .size:           8
        .value_kind:     global_buffer
      - .actual_access:  read_only
        .address_space:  global
        .offset:         48
        .size:           8
        .value_kind:     global_buffer
      - .offset:         56
        .size:           4
        .value_kind:     by_value
      - .actual_access:  read_only
        .address_space:  global
        .offset:         64
        .size:           8
        .value_kind:     global_buffer
      - .offset:         72
        .size:           4
        .value_kind:     by_value
      - .offset:         76
        .size:           4
        .value_kind:     by_value
      - .offset:         80
        .size:           4
        .value_kind:     by_value
      - .address_space:  global
        .offset:         88
        .size:           8
        .value_kind:     global_buffer
      - .address_space:  global
        .offset:         96
        .size:           8
        .value_kind:     global_buffer
      - .offset:         104
        .size:           4
        .value_kind:     by_value
      - .offset:         108
        .size:           4
        .value_kind:     by_value
      - .offset:         112
        .size:           4
        .value_kind:     by_value
      - .offset:         116
        .size:           4
        .value_kind:     by_value
      - .offset:         120
        .size:           4
        .value_kind:     by_value
      - .offset:         128
        .size:           4
        .value_kind:     hidden_block_count_x
      - .offset:         132
        .size:           4
        .value_kind:     hidden_block_count_y
      - .offset:         136
        .size:           4
        .value_kind:     hidden_block_count_z
      - .offset:         140
        .size:           2
        .value_kind:     hidden_group_size_x
      - .offset:         142
        .size:           2
        .value_kind:     hidden_group_size_y
      - .offset:         144
        .size:           2
        .value_kind:     hidden_group_size_z
      - .offset:         146
        .size:           2
        .value_kind:     hidden_remainder_x
      - .offset:         148
        .size:           2
        .value_kind:     hidden_remainder_y
      - .offset:         150
        .size:           2
        .value_kind:     hidden_remainder_z
      - .offset:         168
        .size:           8
        .value_kind:     hidden_global_offset_x
      - .offset:         176
        .size:           8
        .value_kind:     hidden_global_offset_y
      - .offset:         184
        .size:           8
        .value_kind:     hidden_global_offset_z
      - .offset:         192
        .size:           2
        .value_kind:     hidden_grid_dims
      - .offset:         248
        .size:           4
        .value_kind:     hidden_dynamic_lds_size
    .group_segment_fixed_size: 416
    .kernarg_segment_align: 8
    .kernarg_segment_size: 384
    .language:       OpenCL C
    .language_version:
      - 2
      - 0
    .max_flat_workgroup_size: 1024
    .name:           _ZN4vllm25paged_attention_v1_kernelI14__hip_bfloat16hLi192ELi8ELi128ELNS_18Fp8KVCacheDataTypeE1ELb1EEEvPT_PKS3_PKT0_S9_ifPKiSB_iPKfiiiSD_SD_iiiii
    .private_segment_fixed_size: 0
    .sgpr_count:     47
    .sgpr_spill_count: 0
    .symbol:         _ZN4vllm25paged_attention_v1_kernelI14__hip_bfloat16hLi192ELi8ELi128ELNS_18Fp8KVCacheDataTypeE1ELb1EEEvPT_PKS3_PKT0_S9_ifPKiSB_iPKfiiiSD_SD_iiiii.kd
    .uniform_work_group_size: 1
    .uses_dynamic_stack: false
    .vgpr_count:     115
    .vgpr_spill_count: 0
    .wavefront_size: 32
    .workgroup_processor_mode: 1
  - .args:
      - .actual_access:  write_only
        .address_space:  global
        .offset:         0
        .size:           8
        .value_kind:     global_buffer
      - .actual_access:  read_only
        .address_space:  global
        .offset:         8
        .size:           8
        .value_kind:     global_buffer
      - .actual_access:  read_only
        .address_space:  global
        .offset:         16
        .size:           8
        .value_kind:     global_buffer
      - .actual_access:  read_only
        .address_space:  global
        .offset:         24
        .size:           8
        .value_kind:     global_buffer
      - .offset:         32
        .size:           4
        .value_kind:     by_value
      - .offset:         36
        .size:           4
        .value_kind:     by_value
      - .actual_access:  read_only
        .address_space:  global
        .offset:         40
        .size:           8
        .value_kind:     global_buffer
      - .actual_access:  read_only
        .address_space:  global
        .offset:         48
        .size:           8
        .value_kind:     global_buffer
      - .offset:         56
        .size:           4
        .value_kind:     by_value
      - .actual_access:  read_only
        .address_space:  global
        .offset:         64
        .size:           8
        .value_kind:     global_buffer
      - .offset:         72
        .size:           4
        .value_kind:     by_value
      - .offset:         76
        .size:           4
        .value_kind:     by_value
      - .offset:         80
        .size:           4
        .value_kind:     by_value
      - .address_space:  global
        .offset:         88
        .size:           8
        .value_kind:     global_buffer
      - .address_space:  global
        .offset:         96
        .size:           8
        .value_kind:     global_buffer
      - .offset:         104
        .size:           4
        .value_kind:     by_value
      - .offset:         108
        .size:           4
        .value_kind:     by_value
      - .offset:         112
        .size:           4
        .value_kind:     by_value
      - .offset:         116
        .size:           4
        .value_kind:     by_value
      - .offset:         120
        .size:           4
        .value_kind:     by_value
      - .offset:         128
        .size:           4
        .value_kind:     hidden_block_count_x
      - .offset:         132
        .size:           4
        .value_kind:     hidden_block_count_y
      - .offset:         136
        .size:           4
        .value_kind:     hidden_block_count_z
      - .offset:         140
        .size:           2
        .value_kind:     hidden_group_size_x
      - .offset:         142
        .size:           2
        .value_kind:     hidden_group_size_y
      - .offset:         144
        .size:           2
        .value_kind:     hidden_group_size_z
      - .offset:         146
        .size:           2
        .value_kind:     hidden_remainder_x
      - .offset:         148
        .size:           2
        .value_kind:     hidden_remainder_y
      - .offset:         150
        .size:           2
        .value_kind:     hidden_remainder_z
      - .offset:         168
        .size:           8
        .value_kind:     hidden_global_offset_x
      - .offset:         176
        .size:           8
        .value_kind:     hidden_global_offset_y
      - .offset:         184
        .size:           8
        .value_kind:     hidden_global_offset_z
      - .offset:         192
        .size:           2
        .value_kind:     hidden_grid_dims
      - .offset:         248
        .size:           4
        .value_kind:     hidden_dynamic_lds_size
    .group_segment_fixed_size: 544
    .kernarg_segment_align: 8
    .kernarg_segment_size: 384
    .language:       OpenCL C
    .language_version:
      - 2
      - 0
    .max_flat_workgroup_size: 1024
    .name:           _ZN4vllm25paged_attention_v1_kernelI14__hip_bfloat16hLi256ELi8ELi128ELNS_18Fp8KVCacheDataTypeE1ELb1EEEvPT_PKS3_PKT0_S9_ifPKiSB_iPKfiiiSD_SD_iiiii
    .private_segment_fixed_size: 32
    .sgpr_count:     54
    .sgpr_spill_count: 0
    .symbol:         _ZN4vllm25paged_attention_v1_kernelI14__hip_bfloat16hLi256ELi8ELi128ELNS_18Fp8KVCacheDataTypeE1ELb1EEEvPT_PKS3_PKT0_S9_ifPKiSB_iPKfiiiSD_SD_iiiii.kd
    .uniform_work_group_size: 1
    .uses_dynamic_stack: false
    .vgpr_count:     128
    .vgpr_spill_count: 7
    .wavefront_size: 32
    .workgroup_processor_mode: 1
  - .args:
      - .actual_access:  write_only
        .address_space:  global
        .offset:         0
        .size:           8
        .value_kind:     global_buffer
      - .actual_access:  read_only
        .address_space:  global
        .offset:         8
        .size:           8
        .value_kind:     global_buffer
      - .actual_access:  read_only
        .address_space:  global
        .offset:         16
        .size:           8
        .value_kind:     global_buffer
      - .actual_access:  read_only
        .address_space:  global
        .offset:         24
        .size:           8
        .value_kind:     global_buffer
      - .offset:         32
        .size:           4
        .value_kind:     by_value
      - .offset:         36
        .size:           4
        .value_kind:     by_value
      - .actual_access:  read_only
        .address_space:  global
        .offset:         40
        .size:           8
        .value_kind:     global_buffer
      - .actual_access:  read_only
        .address_space:  global
        .offset:         48
        .size:           8
        .value_kind:     global_buffer
      - .offset:         56
        .size:           4
        .value_kind:     by_value
      - .actual_access:  read_only
        .address_space:  global
        .offset:         64
        .size:           8
        .value_kind:     global_buffer
      - .offset:         72
        .size:           4
        .value_kind:     by_value
      - .offset:         76
        .size:           4
        .value_kind:     by_value
      - .offset:         80
        .size:           4
        .value_kind:     by_value
      - .address_space:  global
        .offset:         88
        .size:           8
        .value_kind:     global_buffer
      - .address_space:  global
        .offset:         96
        .size:           8
        .value_kind:     global_buffer
      - .offset:         104
        .size:           4
        .value_kind:     by_value
      - .offset:         108
        .size:           4
        .value_kind:     by_value
      - .offset:         112
        .size:           4
        .value_kind:     by_value
      - .offset:         116
        .size:           4
        .value_kind:     by_value
      - .offset:         120
        .size:           4
        .value_kind:     by_value
      - .offset:         128
        .size:           4
        .value_kind:     hidden_block_count_x
      - .offset:         132
        .size:           4
        .value_kind:     hidden_block_count_y
      - .offset:         136
        .size:           4
        .value_kind:     hidden_block_count_z
      - .offset:         140
        .size:           2
        .value_kind:     hidden_group_size_x
      - .offset:         142
        .size:           2
        .value_kind:     hidden_group_size_y
      - .offset:         144
        .size:           2
        .value_kind:     hidden_group_size_z
      - .offset:         146
        .size:           2
        .value_kind:     hidden_remainder_x
      - .offset:         148
        .size:           2
        .value_kind:     hidden_remainder_y
      - .offset:         150
        .size:           2
        .value_kind:     hidden_remainder_z
      - .offset:         168
        .size:           8
        .value_kind:     hidden_global_offset_x
      - .offset:         176
        .size:           8
        .value_kind:     hidden_global_offset_y
      - .offset:         184
        .size:           8
        .value_kind:     hidden_global_offset_z
      - .offset:         192
        .size:           2
        .value_kind:     hidden_grid_dims
      - .offset:         248
        .size:           4
        .value_kind:     hidden_dynamic_lds_size
    .group_segment_fixed_size: 96
    .kernarg_segment_align: 8
    .kernarg_segment_size: 384
    .language:       OpenCL C
    .language_version:
      - 2
      - 0
    .max_flat_workgroup_size: 1024
    .name:           _ZN4vllm25paged_attention_v1_kernelI14__hip_bfloat16hLi32ELi8ELi128ELNS_18Fp8KVCacheDataTypeE1ELb0EEEvPT_PKS3_PKT0_S9_ifPKiSB_iPKfiiiSD_SD_iiiii
    .private_segment_fixed_size: 0
    .sgpr_count:     36
    .sgpr_spill_count: 0
    .symbol:         _ZN4vllm25paged_attention_v1_kernelI14__hip_bfloat16hLi32ELi8ELi128ELNS_18Fp8KVCacheDataTypeE1ELb0EEEvPT_PKS3_PKT0_S9_ifPKiSB_iPKfiiiSD_SD_iiiii.kd
    .uniform_work_group_size: 1
    .uses_dynamic_stack: false
    .vgpr_count:     41
    .vgpr_spill_count: 0
    .wavefront_size: 32
    .workgroup_processor_mode: 1
  - .args:
      - .actual_access:  write_only
        .address_space:  global
        .offset:         0
        .size:           8
        .value_kind:     global_buffer
      - .actual_access:  read_only
        .address_space:  global
        .offset:         8
        .size:           8
        .value_kind:     global_buffer
      - .actual_access:  read_only
        .address_space:  global
        .offset:         16
        .size:           8
        .value_kind:     global_buffer
      - .actual_access:  read_only
        .address_space:  global
        .offset:         24
        .size:           8
        .value_kind:     global_buffer
      - .offset:         32
        .size:           4
        .value_kind:     by_value
      - .offset:         36
        .size:           4
        .value_kind:     by_value
      - .actual_access:  read_only
        .address_space:  global
        .offset:         40
        .size:           8
        .value_kind:     global_buffer
      - .actual_access:  read_only
        .address_space:  global
        .offset:         48
        .size:           8
        .value_kind:     global_buffer
      - .offset:         56
        .size:           4
        .value_kind:     by_value
      - .actual_access:  read_only
        .address_space:  global
        .offset:         64
        .size:           8
        .value_kind:     global_buffer
      - .offset:         72
        .size:           4
        .value_kind:     by_value
      - .offset:         76
        .size:           4
        .value_kind:     by_value
      - .offset:         80
        .size:           4
        .value_kind:     by_value
      - .address_space:  global
        .offset:         88
        .size:           8
        .value_kind:     global_buffer
      - .address_space:  global
        .offset:         96
        .size:           8
        .value_kind:     global_buffer
      - .offset:         104
        .size:           4
        .value_kind:     by_value
      - .offset:         108
        .size:           4
        .value_kind:     by_value
      - .offset:         112
        .size:           4
        .value_kind:     by_value
      - .offset:         116
        .size:           4
        .value_kind:     by_value
      - .offset:         120
        .size:           4
        .value_kind:     by_value
      - .offset:         128
        .size:           4
        .value_kind:     hidden_block_count_x
      - .offset:         132
        .size:           4
        .value_kind:     hidden_block_count_y
      - .offset:         136
        .size:           4
        .value_kind:     hidden_block_count_z
      - .offset:         140
        .size:           2
        .value_kind:     hidden_group_size_x
      - .offset:         142
        .size:           2
        .value_kind:     hidden_group_size_y
      - .offset:         144
        .size:           2
        .value_kind:     hidden_group_size_z
      - .offset:         146
        .size:           2
        .value_kind:     hidden_remainder_x
      - .offset:         148
        .size:           2
        .value_kind:     hidden_remainder_y
      - .offset:         150
        .size:           2
        .value_kind:     hidden_remainder_z
      - .offset:         168
        .size:           8
        .value_kind:     hidden_global_offset_x
      - .offset:         176
        .size:           8
        .value_kind:     hidden_global_offset_y
      - .offset:         184
        .size:           8
        .value_kind:     hidden_global_offset_z
      - .offset:         192
        .size:           2
        .value_kind:     hidden_grid_dims
      - .offset:         248
        .size:           4
        .value_kind:     hidden_dynamic_lds_size
    .group_segment_fixed_size: 160
    .kernarg_segment_align: 8
    .kernarg_segment_size: 384
    .language:       OpenCL C
    .language_version:
      - 2
      - 0
    .max_flat_workgroup_size: 1024
    .name:           _ZN4vllm25paged_attention_v1_kernelI14__hip_bfloat16hLi64ELi8ELi128ELNS_18Fp8KVCacheDataTypeE1ELb0EEEvPT_PKS3_PKT0_S9_ifPKiSB_iPKfiiiSD_SD_iiiii
    .private_segment_fixed_size: 0
    .sgpr_count:     37
    .sgpr_spill_count: 0
    .symbol:         _ZN4vllm25paged_attention_v1_kernelI14__hip_bfloat16hLi64ELi8ELi128ELNS_18Fp8KVCacheDataTypeE1ELb0EEEvPT_PKS3_PKT0_S9_ifPKiSB_iPKfiiiSD_SD_iiiii.kd
    .uniform_work_group_size: 1
    .uses_dynamic_stack: false
    .vgpr_count:     69
    .vgpr_spill_count: 0
    .wavefront_size: 32
    .workgroup_processor_mode: 1
  - .args:
      - .actual_access:  write_only
        .address_space:  global
        .offset:         0
        .size:           8
        .value_kind:     global_buffer
      - .actual_access:  read_only
        .address_space:  global
        .offset:         8
        .size:           8
        .value_kind:     global_buffer
      - .actual_access:  read_only
        .address_space:  global
        .offset:         16
        .size:           8
        .value_kind:     global_buffer
      - .actual_access:  read_only
        .address_space:  global
        .offset:         24
        .size:           8
        .value_kind:     global_buffer
      - .offset:         32
        .size:           4
        .value_kind:     by_value
      - .offset:         36
        .size:           4
        .value_kind:     by_value
      - .actual_access:  read_only
        .address_space:  global
        .offset:         40
        .size:           8
        .value_kind:     global_buffer
      - .actual_access:  read_only
        .address_space:  global
        .offset:         48
        .size:           8
        .value_kind:     global_buffer
      - .offset:         56
        .size:           4
        .value_kind:     by_value
      - .actual_access:  read_only
        .address_space:  global
        .offset:         64
        .size:           8
        .value_kind:     global_buffer
      - .offset:         72
        .size:           4
        .value_kind:     by_value
      - .offset:         76
        .size:           4
        .value_kind:     by_value
      - .offset:         80
        .size:           4
        .value_kind:     by_value
      - .address_space:  global
        .offset:         88
        .size:           8
        .value_kind:     global_buffer
      - .address_space:  global
        .offset:         96
        .size:           8
        .value_kind:     global_buffer
      - .offset:         104
        .size:           4
        .value_kind:     by_value
      - .offset:         108
        .size:           4
        .value_kind:     by_value
      - .offset:         112
        .size:           4
        .value_kind:     by_value
      - .offset:         116
        .size:           4
        .value_kind:     by_value
      - .offset:         120
        .size:           4
        .value_kind:     by_value
      - .offset:         128
        .size:           4
        .value_kind:     hidden_block_count_x
      - .offset:         132
        .size:           4
        .value_kind:     hidden_block_count_y
      - .offset:         136
        .size:           4
        .value_kind:     hidden_block_count_z
      - .offset:         140
        .size:           2
        .value_kind:     hidden_group_size_x
      - .offset:         142
        .size:           2
        .value_kind:     hidden_group_size_y
      - .offset:         144
        .size:           2
        .value_kind:     hidden_group_size_z
      - .offset:         146
        .size:           2
        .value_kind:     hidden_remainder_x
      - .offset:         148
        .size:           2
        .value_kind:     hidden_remainder_y
      - .offset:         150
        .size:           2
        .value_kind:     hidden_remainder_z
      - .offset:         168
        .size:           8
        .value_kind:     hidden_global_offset_x
      - .offset:         176
        .size:           8
        .value_kind:     hidden_global_offset_y
      - .offset:         184
        .size:           8
        .value_kind:     hidden_global_offset_z
      - .offset:         192
        .size:           2
        .value_kind:     hidden_grid_dims
      - .offset:         248
        .size:           4
        .value_kind:     hidden_dynamic_lds_size
    .group_segment_fixed_size: 192
    .kernarg_segment_align: 8
    .kernarg_segment_size: 384
    .language:       OpenCL C
    .language_version:
      - 2
      - 0
    .max_flat_workgroup_size: 1024
    .name:           _ZN4vllm25paged_attention_v1_kernelI14__hip_bfloat16hLi80ELi8ELi128ELNS_18Fp8KVCacheDataTypeE1ELb0EEEvPT_PKS3_PKT0_S9_ifPKiSB_iPKfiiiSD_SD_iiiii
    .private_segment_fixed_size: 0
    .sgpr_count:     36
    .sgpr_spill_count: 0
    .symbol:         _ZN4vllm25paged_attention_v1_kernelI14__hip_bfloat16hLi80ELi8ELi128ELNS_18Fp8KVCacheDataTypeE1ELb0EEEvPT_PKS3_PKT0_S9_ifPKiSB_iPKfiiiSD_SD_iiiii.kd
    .uniform_work_group_size: 1
    .uses_dynamic_stack: false
    .vgpr_count:     72
    .vgpr_spill_count: 0
    .wavefront_size: 32
    .workgroup_processor_mode: 1
  - .args:
      - .actual_access:  write_only
        .address_space:  global
        .offset:         0
        .size:           8
        .value_kind:     global_buffer
      - .actual_access:  read_only
        .address_space:  global
        .offset:         8
        .size:           8
        .value_kind:     global_buffer
      - .actual_access:  read_only
        .address_space:  global
        .offset:         16
        .size:           8
        .value_kind:     global_buffer
      - .actual_access:  read_only
        .address_space:  global
        .offset:         24
        .size:           8
        .value_kind:     global_buffer
      - .offset:         32
        .size:           4
        .value_kind:     by_value
      - .offset:         36
        .size:           4
        .value_kind:     by_value
      - .actual_access:  read_only
        .address_space:  global
        .offset:         40
        .size:           8
        .value_kind:     global_buffer
      - .actual_access:  read_only
        .address_space:  global
        .offset:         48
        .size:           8
        .value_kind:     global_buffer
      - .offset:         56
        .size:           4
        .value_kind:     by_value
      - .actual_access:  read_only
        .address_space:  global
        .offset:         64
        .size:           8
        .value_kind:     global_buffer
      - .offset:         72
        .size:           4
        .value_kind:     by_value
      - .offset:         76
        .size:           4
        .value_kind:     by_value
      - .offset:         80
        .size:           4
        .value_kind:     by_value
      - .address_space:  global
        .offset:         88
        .size:           8
        .value_kind:     global_buffer
      - .address_space:  global
        .offset:         96
        .size:           8
        .value_kind:     global_buffer
      - .offset:         104
        .size:           4
        .value_kind:     by_value
      - .offset:         108
        .size:           4
        .value_kind:     by_value
      - .offset:         112
        .size:           4
        .value_kind:     by_value
      - .offset:         116
        .size:           4
        .value_kind:     by_value
      - .offset:         120
        .size:           4
        .value_kind:     by_value
      - .offset:         128
        .size:           4
        .value_kind:     hidden_block_count_x
      - .offset:         132
        .size:           4
        .value_kind:     hidden_block_count_y
      - .offset:         136
        .size:           4
        .value_kind:     hidden_block_count_z
      - .offset:         140
        .size:           2
        .value_kind:     hidden_group_size_x
      - .offset:         142
        .size:           2
        .value_kind:     hidden_group_size_y
      - .offset:         144
        .size:           2
        .value_kind:     hidden_group_size_z
      - .offset:         146
        .size:           2
        .value_kind:     hidden_remainder_x
      - .offset:         148
        .size:           2
        .value_kind:     hidden_remainder_y
      - .offset:         150
        .size:           2
        .value_kind:     hidden_remainder_z
      - .offset:         168
        .size:           8
        .value_kind:     hidden_global_offset_x
      - .offset:         176
        .size:           8
        .value_kind:     hidden_global_offset_y
      - .offset:         184
        .size:           8
        .value_kind:     hidden_global_offset_z
      - .offset:         192
        .size:           2
        .value_kind:     hidden_grid_dims
      - .offset:         248
        .size:           4
        .value_kind:     hidden_dynamic_lds_size
    .group_segment_fixed_size: 224
    .kernarg_segment_align: 8
    .kernarg_segment_size: 384
    .language:       OpenCL C
    .language_version:
      - 2
      - 0
    .max_flat_workgroup_size: 1024
    .name:           _ZN4vllm25paged_attention_v1_kernelI14__hip_bfloat16hLi96ELi8ELi128ELNS_18Fp8KVCacheDataTypeE1ELb0EEEvPT_PKS3_PKT0_S9_ifPKiSB_iPKfiiiSD_SD_iiiii
    .private_segment_fixed_size: 0
    .sgpr_count:     36
    .sgpr_spill_count: 0
    .symbol:         _ZN4vllm25paged_attention_v1_kernelI14__hip_bfloat16hLi96ELi8ELi128ELNS_18Fp8KVCacheDataTypeE1ELb0EEEvPT_PKS3_PKT0_S9_ifPKiSB_iPKfiiiSD_SD_iiiii.kd
    .uniform_work_group_size: 1
    .uses_dynamic_stack: false
    .vgpr_count:     88
    .vgpr_spill_count: 0
    .wavefront_size: 32
    .workgroup_processor_mode: 1
  - .args:
      - .actual_access:  write_only
        .address_space:  global
        .offset:         0
        .size:           8
        .value_kind:     global_buffer
      - .actual_access:  read_only
        .address_space:  global
        .offset:         8
        .size:           8
        .value_kind:     global_buffer
      - .actual_access:  read_only
        .address_space:  global
        .offset:         16
        .size:           8
        .value_kind:     global_buffer
      - .actual_access:  read_only
        .address_space:  global
        .offset:         24
        .size:           8
        .value_kind:     global_buffer
      - .offset:         32
        .size:           4
        .value_kind:     by_value
      - .offset:         36
        .size:           4
        .value_kind:     by_value
      - .actual_access:  read_only
        .address_space:  global
        .offset:         40
        .size:           8
        .value_kind:     global_buffer
      - .actual_access:  read_only
        .address_space:  global
        .offset:         48
        .size:           8
        .value_kind:     global_buffer
      - .offset:         56
        .size:           4
        .value_kind:     by_value
      - .actual_access:  read_only
        .address_space:  global
        .offset:         64
        .size:           8
        .value_kind:     global_buffer
      - .offset:         72
        .size:           4
        .value_kind:     by_value
      - .offset:         76
        .size:           4
        .value_kind:     by_value
      - .offset:         80
        .size:           4
        .value_kind:     by_value
      - .address_space:  global
        .offset:         88
        .size:           8
        .value_kind:     global_buffer
      - .address_space:  global
        .offset:         96
        .size:           8
        .value_kind:     global_buffer
      - .offset:         104
        .size:           4
        .value_kind:     by_value
      - .offset:         108
        .size:           4
        .value_kind:     by_value
      - .offset:         112
        .size:           4
        .value_kind:     by_value
      - .offset:         116
        .size:           4
        .value_kind:     by_value
      - .offset:         120
        .size:           4
        .value_kind:     by_value
      - .offset:         128
        .size:           4
        .value_kind:     hidden_block_count_x
      - .offset:         132
        .size:           4
        .value_kind:     hidden_block_count_y
      - .offset:         136
        .size:           4
        .value_kind:     hidden_block_count_z
      - .offset:         140
        .size:           2
        .value_kind:     hidden_group_size_x
      - .offset:         142
        .size:           2
        .value_kind:     hidden_group_size_y
      - .offset:         144
        .size:           2
        .value_kind:     hidden_group_size_z
      - .offset:         146
        .size:           2
        .value_kind:     hidden_remainder_x
      - .offset:         148
        .size:           2
        .value_kind:     hidden_remainder_y
      - .offset:         150
        .size:           2
        .value_kind:     hidden_remainder_z
      - .offset:         168
        .size:           8
        .value_kind:     hidden_global_offset_x
      - .offset:         176
        .size:           8
        .value_kind:     hidden_global_offset_y
      - .offset:         184
        .size:           8
        .value_kind:     hidden_global_offset_z
      - .offset:         192
        .size:           2
        .value_kind:     hidden_grid_dims
      - .offset:         248
        .size:           4
        .value_kind:     hidden_dynamic_lds_size
    .group_segment_fixed_size: 256
    .kernarg_segment_align: 8
    .kernarg_segment_size: 384
    .language:       OpenCL C
    .language_version:
      - 2
      - 0
    .max_flat_workgroup_size: 1024
    .name:           _ZN4vllm25paged_attention_v1_kernelI14__hip_bfloat16hLi112ELi8ELi128ELNS_18Fp8KVCacheDataTypeE1ELb0EEEvPT_PKS3_PKT0_S9_ifPKiSB_iPKfiiiSD_SD_iiiii
    .private_segment_fixed_size: 0
    .sgpr_count:     36
    .sgpr_spill_count: 0
    .symbol:         _ZN4vllm25paged_attention_v1_kernelI14__hip_bfloat16hLi112ELi8ELi128ELNS_18Fp8KVCacheDataTypeE1ELb0EEEvPT_PKS3_PKT0_S9_ifPKiSB_iPKfiiiSD_SD_iiiii.kd
    .uniform_work_group_size: 1
    .uses_dynamic_stack: false
    .vgpr_count:     90
    .vgpr_spill_count: 0
    .wavefront_size: 32
    .workgroup_processor_mode: 1
  - .args:
      - .actual_access:  write_only
        .address_space:  global
        .offset:         0
        .size:           8
        .value_kind:     global_buffer
      - .actual_access:  read_only
        .address_space:  global
        .offset:         8
        .size:           8
        .value_kind:     global_buffer
      - .actual_access:  read_only
        .address_space:  global
        .offset:         16
        .size:           8
        .value_kind:     global_buffer
      - .actual_access:  read_only
        .address_space:  global
        .offset:         24
        .size:           8
        .value_kind:     global_buffer
      - .offset:         32
        .size:           4
        .value_kind:     by_value
      - .offset:         36
        .size:           4
        .value_kind:     by_value
      - .actual_access:  read_only
        .address_space:  global
        .offset:         40
        .size:           8
        .value_kind:     global_buffer
      - .actual_access:  read_only
        .address_space:  global
        .offset:         48
        .size:           8
        .value_kind:     global_buffer
      - .offset:         56
        .size:           4
        .value_kind:     by_value
      - .actual_access:  read_only
        .address_space:  global
        .offset:         64
        .size:           8
        .value_kind:     global_buffer
      - .offset:         72
        .size:           4
        .value_kind:     by_value
      - .offset:         76
        .size:           4
        .value_kind:     by_value
      - .offset:         80
        .size:           4
        .value_kind:     by_value
      - .address_space:  global
        .offset:         88
        .size:           8
        .value_kind:     global_buffer
      - .address_space:  global
        .offset:         96
        .size:           8
        .value_kind:     global_buffer
      - .offset:         104
        .size:           4
        .value_kind:     by_value
      - .offset:         108
        .size:           4
        .value_kind:     by_value
      - .offset:         112
        .size:           4
        .value_kind:     by_value
      - .offset:         116
        .size:           4
        .value_kind:     by_value
      - .offset:         120
        .size:           4
        .value_kind:     by_value
      - .offset:         128
        .size:           4
        .value_kind:     hidden_block_count_x
      - .offset:         132
        .size:           4
        .value_kind:     hidden_block_count_y
      - .offset:         136
        .size:           4
        .value_kind:     hidden_block_count_z
      - .offset:         140
        .size:           2
        .value_kind:     hidden_group_size_x
      - .offset:         142
        .size:           2
        .value_kind:     hidden_group_size_y
      - .offset:         144
        .size:           2
        .value_kind:     hidden_group_size_z
      - .offset:         146
        .size:           2
        .value_kind:     hidden_remainder_x
      - .offset:         148
        .size:           2
        .value_kind:     hidden_remainder_y
      - .offset:         150
        .size:           2
        .value_kind:     hidden_remainder_z
      - .offset:         168
        .size:           8
        .value_kind:     hidden_global_offset_x
      - .offset:         176
        .size:           8
        .value_kind:     hidden_global_offset_y
      - .offset:         184
        .size:           8
        .value_kind:     hidden_global_offset_z
      - .offset:         192
        .size:           2
        .value_kind:     hidden_grid_dims
      - .offset:         248
        .size:           4
        .value_kind:     hidden_dynamic_lds_size
    .group_segment_fixed_size: 272
    .kernarg_segment_align: 8
    .kernarg_segment_size: 384
    .language:       OpenCL C
    .language_version:
      - 2
      - 0
    .max_flat_workgroup_size: 1024
    .name:           _ZN4vllm25paged_attention_v1_kernelI14__hip_bfloat16hLi120ELi8ELi128ELNS_18Fp8KVCacheDataTypeE1ELb0EEEvPT_PKS3_PKT0_S9_ifPKiSB_iPKfiiiSD_SD_iiiii
    .private_segment_fixed_size: 0
    .sgpr_count:     36
    .sgpr_spill_count: 0
    .symbol:         _ZN4vllm25paged_attention_v1_kernelI14__hip_bfloat16hLi120ELi8ELi128ELNS_18Fp8KVCacheDataTypeE1ELb0EEEvPT_PKS3_PKT0_S9_ifPKiSB_iPKfiiiSD_SD_iiiii.kd
    .uniform_work_group_size: 1
    .uses_dynamic_stack: false
    .vgpr_count:     105
    .vgpr_spill_count: 0
    .wavefront_size: 32
    .workgroup_processor_mode: 1
  - .args:
      - .actual_access:  write_only
        .address_space:  global
        .offset:         0
        .size:           8
        .value_kind:     global_buffer
      - .actual_access:  read_only
        .address_space:  global
        .offset:         8
        .size:           8
        .value_kind:     global_buffer
      - .actual_access:  read_only
        .address_space:  global
        .offset:         16
        .size:           8
        .value_kind:     global_buffer
      - .actual_access:  read_only
        .address_space:  global
        .offset:         24
        .size:           8
        .value_kind:     global_buffer
      - .offset:         32
        .size:           4
        .value_kind:     by_value
      - .offset:         36
        .size:           4
        .value_kind:     by_value
      - .actual_access:  read_only
        .address_space:  global
        .offset:         40
        .size:           8
        .value_kind:     global_buffer
      - .actual_access:  read_only
        .address_space:  global
        .offset:         48
        .size:           8
        .value_kind:     global_buffer
      - .offset:         56
        .size:           4
        .value_kind:     by_value
      - .actual_access:  read_only
        .address_space:  global
        .offset:         64
        .size:           8
        .value_kind:     global_buffer
      - .offset:         72
        .size:           4
        .value_kind:     by_value
      - .offset:         76
        .size:           4
        .value_kind:     by_value
      - .offset:         80
        .size:           4
        .value_kind:     by_value
      - .address_space:  global
        .offset:         88
        .size:           8
        .value_kind:     global_buffer
      - .address_space:  global
        .offset:         96
        .size:           8
        .value_kind:     global_buffer
      - .offset:         104
        .size:           4
        .value_kind:     by_value
      - .offset:         108
        .size:           4
        .value_kind:     by_value
      - .offset:         112
        .size:           4
        .value_kind:     by_value
      - .offset:         116
        .size:           4
        .value_kind:     by_value
      - .offset:         120
        .size:           4
        .value_kind:     by_value
      - .offset:         128
        .size:           4
        .value_kind:     hidden_block_count_x
      - .offset:         132
        .size:           4
        .value_kind:     hidden_block_count_y
      - .offset:         136
        .size:           4
        .value_kind:     hidden_block_count_z
      - .offset:         140
        .size:           2
        .value_kind:     hidden_group_size_x
      - .offset:         142
        .size:           2
        .value_kind:     hidden_group_size_y
      - .offset:         144
        .size:           2
        .value_kind:     hidden_group_size_z
      - .offset:         146
        .size:           2
        .value_kind:     hidden_remainder_x
      - .offset:         148
        .size:           2
        .value_kind:     hidden_remainder_y
      - .offset:         150
        .size:           2
        .value_kind:     hidden_remainder_z
      - .offset:         168
        .size:           8
        .value_kind:     hidden_global_offset_x
      - .offset:         176
        .size:           8
        .value_kind:     hidden_global_offset_y
      - .offset:         184
        .size:           8
        .value_kind:     hidden_global_offset_z
      - .offset:         192
        .size:           2
        .value_kind:     hidden_grid_dims
      - .offset:         248
        .size:           4
        .value_kind:     hidden_dynamic_lds_size
    .group_segment_fixed_size: 288
    .kernarg_segment_align: 8
    .kernarg_segment_size: 384
    .language:       OpenCL C
    .language_version:
      - 2
      - 0
    .max_flat_workgroup_size: 1024
    .name:           _ZN4vllm25paged_attention_v1_kernelI14__hip_bfloat16hLi128ELi8ELi128ELNS_18Fp8KVCacheDataTypeE1ELb0EEEvPT_PKS3_PKT0_S9_ifPKiSB_iPKfiiiSD_SD_iiiii
    .private_segment_fixed_size: 0
    .sgpr_count:     37
    .sgpr_spill_count: 0
    .symbol:         _ZN4vllm25paged_attention_v1_kernelI14__hip_bfloat16hLi128ELi8ELi128ELNS_18Fp8KVCacheDataTypeE1ELb0EEEvPT_PKS3_PKT0_S9_ifPKiSB_iPKfiiiSD_SD_iiiii.kd
    .uniform_work_group_size: 1
    .uses_dynamic_stack: false
    .vgpr_count:     106
    .vgpr_spill_count: 0
    .wavefront_size: 32
    .workgroup_processor_mode: 1
  - .args:
      - .actual_access:  write_only
        .address_space:  global
        .offset:         0
        .size:           8
        .value_kind:     global_buffer
      - .actual_access:  read_only
        .address_space:  global
        .offset:         8
        .size:           8
        .value_kind:     global_buffer
      - .actual_access:  read_only
        .address_space:  global
        .offset:         16
        .size:           8
        .value_kind:     global_buffer
      - .actual_access:  read_only
        .address_space:  global
        .offset:         24
        .size:           8
        .value_kind:     global_buffer
      - .offset:         32
        .size:           4
        .value_kind:     by_value
      - .offset:         36
        .size:           4
        .value_kind:     by_value
      - .actual_access:  read_only
        .address_space:  global
        .offset:         40
        .size:           8
        .value_kind:     global_buffer
      - .actual_access:  read_only
        .address_space:  global
        .offset:         48
        .size:           8
        .value_kind:     global_buffer
      - .offset:         56
        .size:           4
        .value_kind:     by_value
      - .actual_access:  read_only
        .address_space:  global
        .offset:         64
        .size:           8
        .value_kind:     global_buffer
      - .offset:         72
        .size:           4
        .value_kind:     by_value
      - .offset:         76
        .size:           4
        .value_kind:     by_value
      - .offset:         80
        .size:           4
        .value_kind:     by_value
      - .address_space:  global
        .offset:         88
        .size:           8
        .value_kind:     global_buffer
      - .address_space:  global
        .offset:         96
        .size:           8
        .value_kind:     global_buffer
      - .offset:         104
        .size:           4
        .value_kind:     by_value
      - .offset:         108
        .size:           4
        .value_kind:     by_value
      - .offset:         112
        .size:           4
        .value_kind:     by_value
      - .offset:         116
        .size:           4
        .value_kind:     by_value
      - .offset:         120
        .size:           4
        .value_kind:     by_value
      - .offset:         128
        .size:           4
        .value_kind:     hidden_block_count_x
      - .offset:         132
        .size:           4
        .value_kind:     hidden_block_count_y
      - .offset:         136
        .size:           4
        .value_kind:     hidden_block_count_z
      - .offset:         140
        .size:           2
        .value_kind:     hidden_group_size_x
      - .offset:         142
        .size:           2
        .value_kind:     hidden_group_size_y
      - .offset:         144
        .size:           2
        .value_kind:     hidden_group_size_z
      - .offset:         146
        .size:           2
        .value_kind:     hidden_remainder_x
      - .offset:         148
        .size:           2
        .value_kind:     hidden_remainder_y
      - .offset:         150
        .size:           2
        .value_kind:     hidden_remainder_z
      - .offset:         168
        .size:           8
        .value_kind:     hidden_global_offset_x
      - .offset:         176
        .size:           8
        .value_kind:     hidden_global_offset_y
      - .offset:         184
        .size:           8
        .value_kind:     hidden_global_offset_z
      - .offset:         192
        .size:           2
        .value_kind:     hidden_grid_dims
      - .offset:         248
        .size:           4
        .value_kind:     hidden_dynamic_lds_size
    .group_segment_fixed_size: 416
    .kernarg_segment_align: 8
    .kernarg_segment_size: 384
    .language:       OpenCL C
    .language_version:
      - 2
      - 0
    .max_flat_workgroup_size: 1024
    .name:           _ZN4vllm25paged_attention_v1_kernelI14__hip_bfloat16hLi192ELi8ELi128ELNS_18Fp8KVCacheDataTypeE1ELb0EEEvPT_PKS3_PKT0_S9_ifPKiSB_iPKfiiiSD_SD_iiiii
    .private_segment_fixed_size: 0
    .sgpr_count:     36
    .sgpr_spill_count: 0
    .symbol:         _ZN4vllm25paged_attention_v1_kernelI14__hip_bfloat16hLi192ELi8ELi128ELNS_18Fp8KVCacheDataTypeE1ELb0EEEvPT_PKS3_PKT0_S9_ifPKiSB_iPKfiiiSD_SD_iiiii.kd
    .uniform_work_group_size: 1
    .uses_dynamic_stack: false
    .vgpr_count:     118
    .vgpr_spill_count: 0
    .wavefront_size: 32
    .workgroup_processor_mode: 1
  - .args:
      - .actual_access:  write_only
        .address_space:  global
        .offset:         0
        .size:           8
        .value_kind:     global_buffer
      - .actual_access:  read_only
        .address_space:  global
        .offset:         8
        .size:           8
        .value_kind:     global_buffer
      - .actual_access:  read_only
        .address_space:  global
        .offset:         16
        .size:           8
        .value_kind:     global_buffer
      - .actual_access:  read_only
        .address_space:  global
        .offset:         24
        .size:           8
        .value_kind:     global_buffer
      - .offset:         32
        .size:           4
        .value_kind:     by_value
      - .offset:         36
        .size:           4
        .value_kind:     by_value
      - .actual_access:  read_only
        .address_space:  global
        .offset:         40
        .size:           8
        .value_kind:     global_buffer
      - .actual_access:  read_only
        .address_space:  global
        .offset:         48
        .size:           8
        .value_kind:     global_buffer
      - .offset:         56
        .size:           4
        .value_kind:     by_value
      - .actual_access:  read_only
        .address_space:  global
        .offset:         64
        .size:           8
        .value_kind:     global_buffer
      - .offset:         72
        .size:           4
        .value_kind:     by_value
      - .offset:         76
        .size:           4
        .value_kind:     by_value
      - .offset:         80
        .size:           4
        .value_kind:     by_value
      - .address_space:  global
        .offset:         88
        .size:           8
        .value_kind:     global_buffer
      - .address_space:  global
        .offset:         96
        .size:           8
        .value_kind:     global_buffer
      - .offset:         104
        .size:           4
        .value_kind:     by_value
      - .offset:         108
        .size:           4
        .value_kind:     by_value
      - .offset:         112
        .size:           4
        .value_kind:     by_value
      - .offset:         116
        .size:           4
        .value_kind:     by_value
      - .offset:         120
        .size:           4
        .value_kind:     by_value
      - .offset:         128
        .size:           4
        .value_kind:     hidden_block_count_x
      - .offset:         132
        .size:           4
        .value_kind:     hidden_block_count_y
      - .offset:         136
        .size:           4
        .value_kind:     hidden_block_count_z
      - .offset:         140
        .size:           2
        .value_kind:     hidden_group_size_x
      - .offset:         142
        .size:           2
        .value_kind:     hidden_group_size_y
      - .offset:         144
        .size:           2
        .value_kind:     hidden_group_size_z
      - .offset:         146
        .size:           2
        .value_kind:     hidden_remainder_x
      - .offset:         148
        .size:           2
        .value_kind:     hidden_remainder_y
      - .offset:         150
        .size:           2
        .value_kind:     hidden_remainder_z
      - .offset:         168
        .size:           8
        .value_kind:     hidden_global_offset_x
      - .offset:         176
        .size:           8
        .value_kind:     hidden_global_offset_y
      - .offset:         184
        .size:           8
        .value_kind:     hidden_global_offset_z
      - .offset:         192
        .size:           2
        .value_kind:     hidden_grid_dims
      - .offset:         248
        .size:           4
        .value_kind:     hidden_dynamic_lds_size
    .group_segment_fixed_size: 544
    .kernarg_segment_align: 8
    .kernarg_segment_size: 384
    .language:       OpenCL C
    .language_version:
      - 2
      - 0
    .max_flat_workgroup_size: 1024
    .name:           _ZN4vllm25paged_attention_v1_kernelI14__hip_bfloat16hLi256ELi8ELi128ELNS_18Fp8KVCacheDataTypeE1ELb0EEEvPT_PKS3_PKT0_S9_ifPKiSB_iPKfiiiSD_SD_iiiii
    .private_segment_fixed_size: 88
    .sgpr_count:     42
    .sgpr_spill_count: 0
    .symbol:         _ZN4vllm25paged_attention_v1_kernelI14__hip_bfloat16hLi256ELi8ELi128ELNS_18Fp8KVCacheDataTypeE1ELb0EEEvPT_PKS3_PKT0_S9_ifPKiSB_iPKfiiiSD_SD_iiiii.kd
    .uniform_work_group_size: 1
    .uses_dynamic_stack: false
    .vgpr_count:     128
    .vgpr_spill_count: 21
    .wavefront_size: 32
    .workgroup_processor_mode: 1
  - .args:
      - .actual_access:  write_only
        .address_space:  global
        .offset:         0
        .size:           8
        .value_kind:     global_buffer
      - .actual_access:  read_only
        .address_space:  global
        .offset:         8
        .size:           8
        .value_kind:     global_buffer
      - .actual_access:  read_only
        .address_space:  global
        .offset:         16
        .size:           8
        .value_kind:     global_buffer
      - .actual_access:  read_only
        .address_space:  global
        .offset:         24
        .size:           8
        .value_kind:     global_buffer
      - .offset:         32
        .size:           4
        .value_kind:     by_value
      - .offset:         36
        .size:           4
        .value_kind:     by_value
      - .actual_access:  read_only
        .address_space:  global
        .offset:         40
        .size:           8
        .value_kind:     global_buffer
      - .actual_access:  read_only
        .address_space:  global
        .offset:         48
        .size:           8
        .value_kind:     global_buffer
      - .offset:         56
        .size:           4
        .value_kind:     by_value
      - .actual_access:  read_only
        .address_space:  global
        .offset:         64
        .size:           8
        .value_kind:     global_buffer
      - .offset:         72
        .size:           4
        .value_kind:     by_value
      - .offset:         76
        .size:           4
        .value_kind:     by_value
      - .offset:         80
        .size:           4
        .value_kind:     by_value
      - .address_space:  global
        .offset:         88
        .size:           8
        .value_kind:     global_buffer
      - .address_space:  global
        .offset:         96
        .size:           8
        .value_kind:     global_buffer
      - .offset:         104
        .size:           4
        .value_kind:     by_value
      - .offset:         108
        .size:           4
        .value_kind:     by_value
      - .offset:         112
        .size:           4
        .value_kind:     by_value
      - .offset:         116
        .size:           4
        .value_kind:     by_value
      - .offset:         120
        .size:           4
        .value_kind:     by_value
      - .offset:         128
        .size:           4
        .value_kind:     hidden_block_count_x
      - .offset:         132
        .size:           4
        .value_kind:     hidden_block_count_y
      - .offset:         136
        .size:           4
        .value_kind:     hidden_block_count_z
      - .offset:         140
        .size:           2
        .value_kind:     hidden_group_size_x
      - .offset:         142
        .size:           2
        .value_kind:     hidden_group_size_y
      - .offset:         144
        .size:           2
        .value_kind:     hidden_group_size_z
      - .offset:         146
        .size:           2
        .value_kind:     hidden_remainder_x
      - .offset:         148
        .size:           2
        .value_kind:     hidden_remainder_y
      - .offset:         150
        .size:           2
        .value_kind:     hidden_remainder_z
      - .offset:         168
        .size:           8
        .value_kind:     hidden_global_offset_x
      - .offset:         176
        .size:           8
        .value_kind:     hidden_global_offset_y
      - .offset:         184
        .size:           8
        .value_kind:     hidden_global_offset_z
      - .offset:         192
        .size:           2
        .value_kind:     hidden_grid_dims
      - .offset:         248
        .size:           4
        .value_kind:     hidden_dynamic_lds_size
    .group_segment_fixed_size: 96
    .kernarg_segment_align: 8
    .kernarg_segment_size: 384
    .language:       OpenCL C
    .language_version:
      - 2
      - 0
    .max_flat_workgroup_size: 1024
    .name:           _ZN4vllm25paged_attention_v1_kernelI14__hip_bfloat16hLi32ELi16ELi128ELNS_18Fp8KVCacheDataTypeE1ELb1EEEvPT_PKS3_PKT0_S9_ifPKiSB_iPKfiiiSD_SD_iiiii
    .private_segment_fixed_size: 0
    .sgpr_count:     47
    .sgpr_spill_count: 0
    .symbol:         _ZN4vllm25paged_attention_v1_kernelI14__hip_bfloat16hLi32ELi16ELi128ELNS_18Fp8KVCacheDataTypeE1ELb1EEEvPT_PKS3_PKT0_S9_ifPKiSB_iPKfiiiSD_SD_iiiii.kd
    .uniform_work_group_size: 1
    .uses_dynamic_stack: false
    .vgpr_count:     64
    .vgpr_spill_count: 0
    .wavefront_size: 32
    .workgroup_processor_mode: 1
  - .args:
      - .actual_access:  write_only
        .address_space:  global
        .offset:         0
        .size:           8
        .value_kind:     global_buffer
      - .actual_access:  read_only
        .address_space:  global
        .offset:         8
        .size:           8
        .value_kind:     global_buffer
      - .actual_access:  read_only
        .address_space:  global
        .offset:         16
        .size:           8
        .value_kind:     global_buffer
      - .actual_access:  read_only
        .address_space:  global
        .offset:         24
        .size:           8
        .value_kind:     global_buffer
      - .offset:         32
        .size:           4
        .value_kind:     by_value
      - .offset:         36
        .size:           4
        .value_kind:     by_value
      - .actual_access:  read_only
        .address_space:  global
        .offset:         40
        .size:           8
        .value_kind:     global_buffer
      - .actual_access:  read_only
        .address_space:  global
        .offset:         48
        .size:           8
        .value_kind:     global_buffer
      - .offset:         56
        .size:           4
        .value_kind:     by_value
      - .actual_access:  read_only
        .address_space:  global
        .offset:         64
        .size:           8
        .value_kind:     global_buffer
      - .offset:         72
        .size:           4
        .value_kind:     by_value
      - .offset:         76
        .size:           4
        .value_kind:     by_value
      - .offset:         80
        .size:           4
        .value_kind:     by_value
      - .address_space:  global
        .offset:         88
        .size:           8
        .value_kind:     global_buffer
      - .address_space:  global
        .offset:         96
        .size:           8
        .value_kind:     global_buffer
      - .offset:         104
        .size:           4
        .value_kind:     by_value
      - .offset:         108
        .size:           4
        .value_kind:     by_value
      - .offset:         112
        .size:           4
        .value_kind:     by_value
      - .offset:         116
        .size:           4
        .value_kind:     by_value
      - .offset:         120
        .size:           4
        .value_kind:     by_value
      - .offset:         128
        .size:           4
        .value_kind:     hidden_block_count_x
      - .offset:         132
        .size:           4
        .value_kind:     hidden_block_count_y
      - .offset:         136
        .size:           4
        .value_kind:     hidden_block_count_z
      - .offset:         140
        .size:           2
        .value_kind:     hidden_group_size_x
      - .offset:         142
        .size:           2
        .value_kind:     hidden_group_size_y
      - .offset:         144
        .size:           2
        .value_kind:     hidden_group_size_z
      - .offset:         146
        .size:           2
        .value_kind:     hidden_remainder_x
      - .offset:         148
        .size:           2
        .value_kind:     hidden_remainder_y
      - .offset:         150
        .size:           2
        .value_kind:     hidden_remainder_z
      - .offset:         168
        .size:           8
        .value_kind:     hidden_global_offset_x
      - .offset:         176
        .size:           8
        .value_kind:     hidden_global_offset_y
      - .offset:         184
        .size:           8
        .value_kind:     hidden_global_offset_z
      - .offset:         192
        .size:           2
        .value_kind:     hidden_grid_dims
      - .offset:         248
        .size:           4
        .value_kind:     hidden_dynamic_lds_size
    .group_segment_fixed_size: 160
    .kernarg_segment_align: 8
    .kernarg_segment_size: 384
    .language:       OpenCL C
    .language_version:
      - 2
      - 0
    .max_flat_workgroup_size: 1024
    .name:           _ZN4vllm25paged_attention_v1_kernelI14__hip_bfloat16hLi64ELi16ELi128ELNS_18Fp8KVCacheDataTypeE1ELb1EEEvPT_PKS3_PKT0_S9_ifPKiSB_iPKfiiiSD_SD_iiiii
    .private_segment_fixed_size: 0
    .sgpr_count:     47
    .sgpr_spill_count: 0
    .symbol:         _ZN4vllm25paged_attention_v1_kernelI14__hip_bfloat16hLi64ELi16ELi128ELNS_18Fp8KVCacheDataTypeE1ELb1EEEvPT_PKS3_PKT0_S9_ifPKiSB_iPKfiiiSD_SD_iiiii.kd
    .uniform_work_group_size: 1
    .uses_dynamic_stack: false
    .vgpr_count:     96
    .vgpr_spill_count: 0
    .wavefront_size: 32
    .workgroup_processor_mode: 1
  - .args:
      - .actual_access:  write_only
        .address_space:  global
        .offset:         0
        .size:           8
        .value_kind:     global_buffer
      - .actual_access:  read_only
        .address_space:  global
        .offset:         8
        .size:           8
        .value_kind:     global_buffer
      - .actual_access:  read_only
        .address_space:  global
        .offset:         16
        .size:           8
        .value_kind:     global_buffer
      - .actual_access:  read_only
        .address_space:  global
        .offset:         24
        .size:           8
        .value_kind:     global_buffer
      - .offset:         32
        .size:           4
        .value_kind:     by_value
      - .offset:         36
        .size:           4
        .value_kind:     by_value
      - .actual_access:  read_only
        .address_space:  global
        .offset:         40
        .size:           8
        .value_kind:     global_buffer
      - .actual_access:  read_only
        .address_space:  global
        .offset:         48
        .size:           8
        .value_kind:     global_buffer
      - .offset:         56
        .size:           4
        .value_kind:     by_value
      - .actual_access:  read_only
        .address_space:  global
        .offset:         64
        .size:           8
        .value_kind:     global_buffer
      - .offset:         72
        .size:           4
        .value_kind:     by_value
      - .offset:         76
        .size:           4
        .value_kind:     by_value
      - .offset:         80
        .size:           4
        .value_kind:     by_value
      - .address_space:  global
        .offset:         88
        .size:           8
        .value_kind:     global_buffer
      - .address_space:  global
        .offset:         96
        .size:           8
        .value_kind:     global_buffer
      - .offset:         104
        .size:           4
        .value_kind:     by_value
      - .offset:         108
        .size:           4
        .value_kind:     by_value
      - .offset:         112
        .size:           4
        .value_kind:     by_value
      - .offset:         116
        .size:           4
        .value_kind:     by_value
      - .offset:         120
        .size:           4
        .value_kind:     by_value
      - .offset:         128
        .size:           4
        .value_kind:     hidden_block_count_x
      - .offset:         132
        .size:           4
        .value_kind:     hidden_block_count_y
      - .offset:         136
        .size:           4
        .value_kind:     hidden_block_count_z
      - .offset:         140
        .size:           2
        .value_kind:     hidden_group_size_x
      - .offset:         142
        .size:           2
        .value_kind:     hidden_group_size_y
      - .offset:         144
        .size:           2
        .value_kind:     hidden_group_size_z
      - .offset:         146
        .size:           2
        .value_kind:     hidden_remainder_x
      - .offset:         148
        .size:           2
        .value_kind:     hidden_remainder_y
      - .offset:         150
        .size:           2
        .value_kind:     hidden_remainder_z
      - .offset:         168
        .size:           8
        .value_kind:     hidden_global_offset_x
      - .offset:         176
        .size:           8
        .value_kind:     hidden_global_offset_y
      - .offset:         184
        .size:           8
        .value_kind:     hidden_global_offset_z
      - .offset:         192
        .size:           2
        .value_kind:     hidden_grid_dims
      - .offset:         248
        .size:           4
        .value_kind:     hidden_dynamic_lds_size
    .group_segment_fixed_size: 192
    .kernarg_segment_align: 8
    .kernarg_segment_size: 384
    .language:       OpenCL C
    .language_version:
      - 2
      - 0
    .max_flat_workgroup_size: 1024
    .name:           _ZN4vllm25paged_attention_v1_kernelI14__hip_bfloat16hLi80ELi16ELi128ELNS_18Fp8KVCacheDataTypeE1ELb1EEEvPT_PKS3_PKT0_S9_ifPKiSB_iPKfiiiSD_SD_iiiii
    .private_segment_fixed_size: 0
    .sgpr_count:     47
    .sgpr_spill_count: 0
    .symbol:         _ZN4vllm25paged_attention_v1_kernelI14__hip_bfloat16hLi80ELi16ELi128ELNS_18Fp8KVCacheDataTypeE1ELb1EEEvPT_PKS3_PKT0_S9_ifPKiSB_iPKfiiiSD_SD_iiiii.kd
    .uniform_work_group_size: 1
    .uses_dynamic_stack: false
    .vgpr_count:     112
    .vgpr_spill_count: 0
    .wavefront_size: 32
    .workgroup_processor_mode: 1
  - .args:
      - .actual_access:  write_only
        .address_space:  global
        .offset:         0
        .size:           8
        .value_kind:     global_buffer
      - .actual_access:  read_only
        .address_space:  global
        .offset:         8
        .size:           8
        .value_kind:     global_buffer
      - .actual_access:  read_only
        .address_space:  global
        .offset:         16
        .size:           8
        .value_kind:     global_buffer
      - .actual_access:  read_only
        .address_space:  global
        .offset:         24
        .size:           8
        .value_kind:     global_buffer
      - .offset:         32
        .size:           4
        .value_kind:     by_value
      - .offset:         36
        .size:           4
        .value_kind:     by_value
      - .actual_access:  read_only
        .address_space:  global
        .offset:         40
        .size:           8
        .value_kind:     global_buffer
      - .actual_access:  read_only
        .address_space:  global
        .offset:         48
        .size:           8
        .value_kind:     global_buffer
      - .offset:         56
        .size:           4
        .value_kind:     by_value
      - .actual_access:  read_only
        .address_space:  global
        .offset:         64
        .size:           8
        .value_kind:     global_buffer
      - .offset:         72
        .size:           4
        .value_kind:     by_value
      - .offset:         76
        .size:           4
        .value_kind:     by_value
      - .offset:         80
        .size:           4
        .value_kind:     by_value
      - .address_space:  global
        .offset:         88
        .size:           8
        .value_kind:     global_buffer
      - .address_space:  global
        .offset:         96
        .size:           8
        .value_kind:     global_buffer
      - .offset:         104
        .size:           4
        .value_kind:     by_value
      - .offset:         108
        .size:           4
        .value_kind:     by_value
      - .offset:         112
        .size:           4
        .value_kind:     by_value
      - .offset:         116
        .size:           4
        .value_kind:     by_value
      - .offset:         120
        .size:           4
        .value_kind:     by_value
      - .offset:         128
        .size:           4
        .value_kind:     hidden_block_count_x
      - .offset:         132
        .size:           4
        .value_kind:     hidden_block_count_y
      - .offset:         136
        .size:           4
        .value_kind:     hidden_block_count_z
      - .offset:         140
        .size:           2
        .value_kind:     hidden_group_size_x
      - .offset:         142
        .size:           2
        .value_kind:     hidden_group_size_y
      - .offset:         144
        .size:           2
        .value_kind:     hidden_group_size_z
      - .offset:         146
        .size:           2
        .value_kind:     hidden_remainder_x
      - .offset:         148
        .size:           2
        .value_kind:     hidden_remainder_y
      - .offset:         150
        .size:           2
        .value_kind:     hidden_remainder_z
      - .offset:         168
        .size:           8
        .value_kind:     hidden_global_offset_x
      - .offset:         176
        .size:           8
        .value_kind:     hidden_global_offset_y
      - .offset:         184
        .size:           8
        .value_kind:     hidden_global_offset_z
      - .offset:         192
        .size:           2
        .value_kind:     hidden_grid_dims
      - .offset:         248
        .size:           4
        .value_kind:     hidden_dynamic_lds_size
    .group_segment_fixed_size: 224
    .kernarg_segment_align: 8
    .kernarg_segment_size: 384
    .language:       OpenCL C
    .language_version:
      - 2
      - 0
    .max_flat_workgroup_size: 1024
    .name:           _ZN4vllm25paged_attention_v1_kernelI14__hip_bfloat16hLi96ELi16ELi128ELNS_18Fp8KVCacheDataTypeE1ELb1EEEvPT_PKS3_PKT0_S9_ifPKiSB_iPKfiiiSD_SD_iiiii
    .private_segment_fixed_size: 0
    .sgpr_count:     47
    .sgpr_spill_count: 0
    .symbol:         _ZN4vllm25paged_attention_v1_kernelI14__hip_bfloat16hLi96ELi16ELi128ELNS_18Fp8KVCacheDataTypeE1ELb1EEEvPT_PKS3_PKT0_S9_ifPKiSB_iPKfiiiSD_SD_iiiii.kd
    .uniform_work_group_size: 1
    .uses_dynamic_stack: false
    .vgpr_count:     128
    .vgpr_spill_count: 0
    .wavefront_size: 32
    .workgroup_processor_mode: 1
  - .args:
      - .actual_access:  write_only
        .address_space:  global
        .offset:         0
        .size:           8
        .value_kind:     global_buffer
      - .actual_access:  read_only
        .address_space:  global
        .offset:         8
        .size:           8
        .value_kind:     global_buffer
      - .actual_access:  read_only
        .address_space:  global
        .offset:         16
        .size:           8
        .value_kind:     global_buffer
      - .actual_access:  read_only
        .address_space:  global
        .offset:         24
        .size:           8
        .value_kind:     global_buffer
      - .offset:         32
        .size:           4
        .value_kind:     by_value
      - .offset:         36
        .size:           4
        .value_kind:     by_value
      - .actual_access:  read_only
        .address_space:  global
        .offset:         40
        .size:           8
        .value_kind:     global_buffer
      - .actual_access:  read_only
        .address_space:  global
        .offset:         48
        .size:           8
        .value_kind:     global_buffer
      - .offset:         56
        .size:           4
        .value_kind:     by_value
      - .actual_access:  read_only
        .address_space:  global
        .offset:         64
        .size:           8
        .value_kind:     global_buffer
      - .offset:         72
        .size:           4
        .value_kind:     by_value
      - .offset:         76
        .size:           4
        .value_kind:     by_value
      - .offset:         80
        .size:           4
        .value_kind:     by_value
      - .address_space:  global
        .offset:         88
        .size:           8
        .value_kind:     global_buffer
      - .address_space:  global
        .offset:         96
        .size:           8
        .value_kind:     global_buffer
      - .offset:         104
        .size:           4
        .value_kind:     by_value
      - .offset:         108
        .size:           4
        .value_kind:     by_value
      - .offset:         112
        .size:           4
        .value_kind:     by_value
      - .offset:         116
        .size:           4
        .value_kind:     by_value
      - .offset:         120
        .size:           4
        .value_kind:     by_value
      - .offset:         128
        .size:           4
        .value_kind:     hidden_block_count_x
      - .offset:         132
        .size:           4
        .value_kind:     hidden_block_count_y
      - .offset:         136
        .size:           4
        .value_kind:     hidden_block_count_z
      - .offset:         140
        .size:           2
        .value_kind:     hidden_group_size_x
      - .offset:         142
        .size:           2
        .value_kind:     hidden_group_size_y
      - .offset:         144
        .size:           2
        .value_kind:     hidden_group_size_z
      - .offset:         146
        .size:           2
        .value_kind:     hidden_remainder_x
      - .offset:         148
        .size:           2
        .value_kind:     hidden_remainder_y
      - .offset:         150
        .size:           2
        .value_kind:     hidden_remainder_z
      - .offset:         168
        .size:           8
        .value_kind:     hidden_global_offset_x
      - .offset:         176
        .size:           8
        .value_kind:     hidden_global_offset_y
      - .offset:         184
        .size:           8
        .value_kind:     hidden_global_offset_z
      - .offset:         192
        .size:           2
        .value_kind:     hidden_grid_dims
      - .offset:         248
        .size:           4
        .value_kind:     hidden_dynamic_lds_size
    .group_segment_fixed_size: 256
    .kernarg_segment_align: 8
    .kernarg_segment_size: 384
    .language:       OpenCL C
    .language_version:
      - 2
      - 0
    .max_flat_workgroup_size: 1024
    .name:           _ZN4vllm25paged_attention_v1_kernelI14__hip_bfloat16hLi112ELi16ELi128ELNS_18Fp8KVCacheDataTypeE1ELb1EEEvPT_PKS3_PKT0_S9_ifPKiSB_iPKfiiiSD_SD_iiiii
    .private_segment_fixed_size: 20
    .sgpr_count:     54
    .sgpr_spill_count: 0
    .symbol:         _ZN4vllm25paged_attention_v1_kernelI14__hip_bfloat16hLi112ELi16ELi128ELNS_18Fp8KVCacheDataTypeE1ELb1EEEvPT_PKS3_PKT0_S9_ifPKiSB_iPKfiiiSD_SD_iiiii.kd
    .uniform_work_group_size: 1
    .uses_dynamic_stack: false
    .vgpr_count:     128
    .vgpr_spill_count: 4
    .wavefront_size: 32
    .workgroup_processor_mode: 1
  - .args:
      - .actual_access:  write_only
        .address_space:  global
        .offset:         0
        .size:           8
        .value_kind:     global_buffer
      - .actual_access:  read_only
        .address_space:  global
        .offset:         8
        .size:           8
        .value_kind:     global_buffer
      - .actual_access:  read_only
        .address_space:  global
        .offset:         16
        .size:           8
        .value_kind:     global_buffer
      - .actual_access:  read_only
        .address_space:  global
        .offset:         24
        .size:           8
        .value_kind:     global_buffer
      - .offset:         32
        .size:           4
        .value_kind:     by_value
      - .offset:         36
        .size:           4
        .value_kind:     by_value
      - .actual_access:  read_only
        .address_space:  global
        .offset:         40
        .size:           8
        .value_kind:     global_buffer
      - .actual_access:  read_only
        .address_space:  global
        .offset:         48
        .size:           8
        .value_kind:     global_buffer
      - .offset:         56
        .size:           4
        .value_kind:     by_value
      - .actual_access:  read_only
        .address_space:  global
        .offset:         64
        .size:           8
        .value_kind:     global_buffer
      - .offset:         72
        .size:           4
        .value_kind:     by_value
      - .offset:         76
        .size:           4
        .value_kind:     by_value
      - .offset:         80
        .size:           4
        .value_kind:     by_value
      - .address_space:  global
        .offset:         88
        .size:           8
        .value_kind:     global_buffer
      - .address_space:  global
        .offset:         96
        .size:           8
        .value_kind:     global_buffer
      - .offset:         104
        .size:           4
        .value_kind:     by_value
      - .offset:         108
        .size:           4
        .value_kind:     by_value
      - .offset:         112
        .size:           4
        .value_kind:     by_value
      - .offset:         116
        .size:           4
        .value_kind:     by_value
      - .offset:         120
        .size:           4
        .value_kind:     by_value
      - .offset:         128
        .size:           4
        .value_kind:     hidden_block_count_x
      - .offset:         132
        .size:           4
        .value_kind:     hidden_block_count_y
      - .offset:         136
        .size:           4
        .value_kind:     hidden_block_count_z
      - .offset:         140
        .size:           2
        .value_kind:     hidden_group_size_x
      - .offset:         142
        .size:           2
        .value_kind:     hidden_group_size_y
      - .offset:         144
        .size:           2
        .value_kind:     hidden_group_size_z
      - .offset:         146
        .size:           2
        .value_kind:     hidden_remainder_x
      - .offset:         148
        .size:           2
        .value_kind:     hidden_remainder_y
      - .offset:         150
        .size:           2
        .value_kind:     hidden_remainder_z
      - .offset:         168
        .size:           8
        .value_kind:     hidden_global_offset_x
      - .offset:         176
        .size:           8
        .value_kind:     hidden_global_offset_y
      - .offset:         184
        .size:           8
        .value_kind:     hidden_global_offset_z
      - .offset:         192
        .size:           2
        .value_kind:     hidden_grid_dims
      - .offset:         248
        .size:           4
        .value_kind:     hidden_dynamic_lds_size
    .group_segment_fixed_size: 272
    .kernarg_segment_align: 8
    .kernarg_segment_size: 384
    .language:       OpenCL C
    .language_version:
      - 2
      - 0
    .max_flat_workgroup_size: 1024
    .name:           _ZN4vllm25paged_attention_v1_kernelI14__hip_bfloat16hLi120ELi16ELi128ELNS_18Fp8KVCacheDataTypeE1ELb1EEEvPT_PKS3_PKT0_S9_ifPKiSB_iPKfiiiSD_SD_iiiii
    .private_segment_fixed_size: 40
    .sgpr_count:     54
    .sgpr_spill_count: 0
    .symbol:         _ZN4vllm25paged_attention_v1_kernelI14__hip_bfloat16hLi120ELi16ELi128ELNS_18Fp8KVCacheDataTypeE1ELb1EEEvPT_PKS3_PKT0_S9_ifPKiSB_iPKfiiiSD_SD_iiiii.kd
    .uniform_work_group_size: 1
    .uses_dynamic_stack: false
    .vgpr_count:     128
    .vgpr_spill_count: 9
    .wavefront_size: 32
    .workgroup_processor_mode: 1
  - .args:
      - .actual_access:  write_only
        .address_space:  global
        .offset:         0
        .size:           8
        .value_kind:     global_buffer
      - .actual_access:  read_only
        .address_space:  global
        .offset:         8
        .size:           8
        .value_kind:     global_buffer
      - .actual_access:  read_only
        .address_space:  global
        .offset:         16
        .size:           8
        .value_kind:     global_buffer
      - .actual_access:  read_only
        .address_space:  global
        .offset:         24
        .size:           8
        .value_kind:     global_buffer
      - .offset:         32
        .size:           4
        .value_kind:     by_value
      - .offset:         36
        .size:           4
        .value_kind:     by_value
      - .actual_access:  read_only
        .address_space:  global
        .offset:         40
        .size:           8
        .value_kind:     global_buffer
      - .actual_access:  read_only
        .address_space:  global
        .offset:         48
        .size:           8
        .value_kind:     global_buffer
      - .offset:         56
        .size:           4
        .value_kind:     by_value
      - .actual_access:  read_only
        .address_space:  global
        .offset:         64
        .size:           8
        .value_kind:     global_buffer
      - .offset:         72
        .size:           4
        .value_kind:     by_value
      - .offset:         76
        .size:           4
        .value_kind:     by_value
      - .offset:         80
        .size:           4
        .value_kind:     by_value
      - .address_space:  global
        .offset:         88
        .size:           8
        .value_kind:     global_buffer
      - .address_space:  global
        .offset:         96
        .size:           8
        .value_kind:     global_buffer
      - .offset:         104
        .size:           4
        .value_kind:     by_value
      - .offset:         108
        .size:           4
        .value_kind:     by_value
      - .offset:         112
        .size:           4
        .value_kind:     by_value
      - .offset:         116
        .size:           4
        .value_kind:     by_value
      - .offset:         120
        .size:           4
        .value_kind:     by_value
      - .offset:         128
        .size:           4
        .value_kind:     hidden_block_count_x
      - .offset:         132
        .size:           4
        .value_kind:     hidden_block_count_y
      - .offset:         136
        .size:           4
        .value_kind:     hidden_block_count_z
      - .offset:         140
        .size:           2
        .value_kind:     hidden_group_size_x
      - .offset:         142
        .size:           2
        .value_kind:     hidden_group_size_y
      - .offset:         144
        .size:           2
        .value_kind:     hidden_group_size_z
      - .offset:         146
        .size:           2
        .value_kind:     hidden_remainder_x
      - .offset:         148
        .size:           2
        .value_kind:     hidden_remainder_y
      - .offset:         150
        .size:           2
        .value_kind:     hidden_remainder_z
      - .offset:         168
        .size:           8
        .value_kind:     hidden_global_offset_x
      - .offset:         176
        .size:           8
        .value_kind:     hidden_global_offset_y
      - .offset:         184
        .size:           8
        .value_kind:     hidden_global_offset_z
      - .offset:         192
        .size:           2
        .value_kind:     hidden_grid_dims
      - .offset:         248
        .size:           4
        .value_kind:     hidden_dynamic_lds_size
    .group_segment_fixed_size: 288
    .kernarg_segment_align: 8
    .kernarg_segment_size: 384
    .language:       OpenCL C
    .language_version:
      - 2
      - 0
    .max_flat_workgroup_size: 1024
    .name:           _ZN4vllm25paged_attention_v1_kernelI14__hip_bfloat16hLi128ELi16ELi128ELNS_18Fp8KVCacheDataTypeE1ELb1EEEvPT_PKS3_PKT0_S9_ifPKiSB_iPKfiiiSD_SD_iiiii
    .private_segment_fixed_size: 60
    .sgpr_count:     54
    .sgpr_spill_count: 0
    .symbol:         _ZN4vllm25paged_attention_v1_kernelI14__hip_bfloat16hLi128ELi16ELi128ELNS_18Fp8KVCacheDataTypeE1ELb1EEEvPT_PKS3_PKT0_S9_ifPKiSB_iPKfiiiSD_SD_iiiii.kd
    .uniform_work_group_size: 1
    .uses_dynamic_stack: false
    .vgpr_count:     128
    .vgpr_spill_count: 15
    .wavefront_size: 32
    .workgroup_processor_mode: 1
  - .args:
      - .address_space:  global
        .offset:         0
        .size:           8
        .value_kind:     global_buffer
      - .address_space:  global
        .offset:         8
        .size:           8
        .value_kind:     global_buffer
      - .address_space:  global
        .offset:         16
        .size:           8
        .value_kind:     global_buffer
      - .address_space:  global
        .offset:         24
        .size:           8
        .value_kind:     global_buffer
      - .offset:         32
        .size:           4
        .value_kind:     by_value
      - .offset:         36
        .size:           4
        .value_kind:     by_value
      - .address_space:  global
        .offset:         40
        .size:           8
        .value_kind:     global_buffer
      - .address_space:  global
        .offset:         48
        .size:           8
        .value_kind:     global_buffer
      - .offset:         56
        .size:           4
        .value_kind:     by_value
      - .address_space:  global
        .offset:         64
        .size:           8
        .value_kind:     global_buffer
      - .offset:         72
        .size:           4
        .value_kind:     by_value
      - .offset:         76
        .size:           4
        .value_kind:     by_value
      - .offset:         80
        .size:           4
        .value_kind:     by_value
      - .address_space:  global
        .offset:         88
        .size:           8
        .value_kind:     global_buffer
      - .address_space:  global
        .offset:         96
        .size:           8
        .value_kind:     global_buffer
      - .offset:         104
        .size:           4
        .value_kind:     by_value
      - .offset:         108
        .size:           4
        .value_kind:     by_value
      - .offset:         112
        .size:           4
        .value_kind:     by_value
      - .offset:         116
        .size:           4
        .value_kind:     by_value
      - .offset:         120
        .size:           4
        .value_kind:     by_value
      - .offset:         128
        .size:           4
        .value_kind:     hidden_block_count_x
      - .offset:         132
        .size:           4
        .value_kind:     hidden_block_count_y
      - .offset:         136
        .size:           4
        .value_kind:     hidden_block_count_z
      - .offset:         140
        .size:           2
        .value_kind:     hidden_group_size_x
      - .offset:         142
        .size:           2
        .value_kind:     hidden_group_size_y
      - .offset:         144
        .size:           2
        .value_kind:     hidden_group_size_z
      - .offset:         146
        .size:           2
        .value_kind:     hidden_remainder_x
      - .offset:         148
        .size:           2
        .value_kind:     hidden_remainder_y
      - .offset:         150
        .size:           2
        .value_kind:     hidden_remainder_z
      - .offset:         168
        .size:           8
        .value_kind:     hidden_global_offset_x
      - .offset:         176
        .size:           8
        .value_kind:     hidden_global_offset_y
      - .offset:         184
        .size:           8
        .value_kind:     hidden_global_offset_z
      - .offset:         192
        .size:           2
        .value_kind:     hidden_grid_dims
      - .offset:         248
        .size:           4
        .value_kind:     hidden_dynamic_lds_size
    .group_segment_fixed_size: 416
    .kernarg_segment_align: 8
    .kernarg_segment_size: 384
    .language:       OpenCL C
    .language_version:
      - 2
      - 0
    .max_flat_workgroup_size: 1024
    .name:           _ZN4vllm25paged_attention_v1_kernelI14__hip_bfloat16hLi192ELi16ELi128ELNS_18Fp8KVCacheDataTypeE1ELb1EEEvPT_PKS3_PKT0_S9_ifPKiSB_iPKfiiiSD_SD_iiiii
    .private_segment_fixed_size: 504
    .sgpr_count:     46
    .sgpr_spill_count: 0
    .symbol:         _ZN4vllm25paged_attention_v1_kernelI14__hip_bfloat16hLi192ELi16ELi128ELNS_18Fp8KVCacheDataTypeE1ELb1EEEvPT_PKS3_PKT0_S9_ifPKiSB_iPKfiiiSD_SD_iiiii.kd
    .uniform_work_group_size: 1
    .uses_dynamic_stack: false
    .vgpr_count:     128
    .vgpr_spill_count: 0
    .wavefront_size: 32
    .workgroup_processor_mode: 1
  - .args:
      - .address_space:  global
        .offset:         0
        .size:           8
        .value_kind:     global_buffer
      - .address_space:  global
        .offset:         8
        .size:           8
        .value_kind:     global_buffer
      - .address_space:  global
        .offset:         16
        .size:           8
        .value_kind:     global_buffer
      - .address_space:  global
        .offset:         24
        .size:           8
        .value_kind:     global_buffer
      - .offset:         32
        .size:           4
        .value_kind:     by_value
      - .offset:         36
        .size:           4
        .value_kind:     by_value
      - .address_space:  global
        .offset:         40
        .size:           8
        .value_kind:     global_buffer
      - .address_space:  global
        .offset:         48
        .size:           8
        .value_kind:     global_buffer
      - .offset:         56
        .size:           4
        .value_kind:     by_value
      - .address_space:  global
        .offset:         64
        .size:           8
        .value_kind:     global_buffer
      - .offset:         72
        .size:           4
        .value_kind:     by_value
      - .offset:         76
        .size:           4
        .value_kind:     by_value
      - .offset:         80
        .size:           4
        .value_kind:     by_value
      - .address_space:  global
        .offset:         88
        .size:           8
        .value_kind:     global_buffer
      - .address_space:  global
        .offset:         96
        .size:           8
        .value_kind:     global_buffer
      - .offset:         104
        .size:           4
        .value_kind:     by_value
      - .offset:         108
        .size:           4
        .value_kind:     by_value
      - .offset:         112
        .size:           4
        .value_kind:     by_value
      - .offset:         116
        .size:           4
        .value_kind:     by_value
      - .offset:         120
        .size:           4
        .value_kind:     by_value
      - .offset:         128
        .size:           4
        .value_kind:     hidden_block_count_x
      - .offset:         132
        .size:           4
        .value_kind:     hidden_block_count_y
      - .offset:         136
        .size:           4
        .value_kind:     hidden_block_count_z
      - .offset:         140
        .size:           2
        .value_kind:     hidden_group_size_x
      - .offset:         142
        .size:           2
        .value_kind:     hidden_group_size_y
      - .offset:         144
        .size:           2
        .value_kind:     hidden_group_size_z
      - .offset:         146
        .size:           2
        .value_kind:     hidden_remainder_x
      - .offset:         148
        .size:           2
        .value_kind:     hidden_remainder_y
      - .offset:         150
        .size:           2
        .value_kind:     hidden_remainder_z
      - .offset:         168
        .size:           8
        .value_kind:     hidden_global_offset_x
      - .offset:         176
        .size:           8
        .value_kind:     hidden_global_offset_y
      - .offset:         184
        .size:           8
        .value_kind:     hidden_global_offset_z
      - .offset:         192
        .size:           2
        .value_kind:     hidden_grid_dims
      - .offset:         248
        .size:           4
        .value_kind:     hidden_dynamic_lds_size
    .group_segment_fixed_size: 544
    .kernarg_segment_align: 8
    .kernarg_segment_size: 384
    .language:       OpenCL C
    .language_version:
      - 2
      - 0
    .max_flat_workgroup_size: 1024
    .name:           _ZN4vllm25paged_attention_v1_kernelI14__hip_bfloat16hLi256ELi16ELi128ELNS_18Fp8KVCacheDataTypeE1ELb1EEEvPT_PKS3_PKT0_S9_ifPKiSB_iPKfiiiSD_SD_iiiii
    .private_segment_fixed_size: 696
    .sgpr_count:     46
    .sgpr_spill_count: 0
    .symbol:         _ZN4vllm25paged_attention_v1_kernelI14__hip_bfloat16hLi256ELi16ELi128ELNS_18Fp8KVCacheDataTypeE1ELb1EEEvPT_PKS3_PKT0_S9_ifPKiSB_iPKfiiiSD_SD_iiiii.kd
    .uniform_work_group_size: 1
    .uses_dynamic_stack: false
    .vgpr_count:     128
    .vgpr_spill_count: 0
    .wavefront_size: 32
    .workgroup_processor_mode: 1
  - .args:
      - .actual_access:  write_only
        .address_space:  global
        .offset:         0
        .size:           8
        .value_kind:     global_buffer
      - .actual_access:  read_only
        .address_space:  global
        .offset:         8
        .size:           8
        .value_kind:     global_buffer
      - .actual_access:  read_only
        .address_space:  global
        .offset:         16
        .size:           8
        .value_kind:     global_buffer
      - .actual_access:  read_only
        .address_space:  global
        .offset:         24
        .size:           8
        .value_kind:     global_buffer
      - .offset:         32
        .size:           4
        .value_kind:     by_value
      - .offset:         36
        .size:           4
        .value_kind:     by_value
      - .actual_access:  read_only
        .address_space:  global
        .offset:         40
        .size:           8
        .value_kind:     global_buffer
      - .actual_access:  read_only
        .address_space:  global
        .offset:         48
        .size:           8
        .value_kind:     global_buffer
      - .offset:         56
        .size:           4
        .value_kind:     by_value
      - .actual_access:  read_only
        .address_space:  global
        .offset:         64
        .size:           8
        .value_kind:     global_buffer
      - .offset:         72
        .size:           4
        .value_kind:     by_value
      - .offset:         76
        .size:           4
        .value_kind:     by_value
      - .offset:         80
        .size:           4
        .value_kind:     by_value
      - .address_space:  global
        .offset:         88
        .size:           8
        .value_kind:     global_buffer
      - .address_space:  global
        .offset:         96
        .size:           8
        .value_kind:     global_buffer
      - .offset:         104
        .size:           4
        .value_kind:     by_value
      - .offset:         108
        .size:           4
        .value_kind:     by_value
      - .offset:         112
        .size:           4
        .value_kind:     by_value
      - .offset:         116
        .size:           4
        .value_kind:     by_value
      - .offset:         120
        .size:           4
        .value_kind:     by_value
      - .offset:         128
        .size:           4
        .value_kind:     hidden_block_count_x
      - .offset:         132
        .size:           4
        .value_kind:     hidden_block_count_y
      - .offset:         136
        .size:           4
        .value_kind:     hidden_block_count_z
      - .offset:         140
        .size:           2
        .value_kind:     hidden_group_size_x
      - .offset:         142
        .size:           2
        .value_kind:     hidden_group_size_y
      - .offset:         144
        .size:           2
        .value_kind:     hidden_group_size_z
      - .offset:         146
        .size:           2
        .value_kind:     hidden_remainder_x
      - .offset:         148
        .size:           2
        .value_kind:     hidden_remainder_y
      - .offset:         150
        .size:           2
        .value_kind:     hidden_remainder_z
      - .offset:         168
        .size:           8
        .value_kind:     hidden_global_offset_x
      - .offset:         176
        .size:           8
        .value_kind:     hidden_global_offset_y
      - .offset:         184
        .size:           8
        .value_kind:     hidden_global_offset_z
      - .offset:         192
        .size:           2
        .value_kind:     hidden_grid_dims
      - .offset:         248
        .size:           4
        .value_kind:     hidden_dynamic_lds_size
    .group_segment_fixed_size: 96
    .kernarg_segment_align: 8
    .kernarg_segment_size: 384
    .language:       OpenCL C
    .language_version:
      - 2
      - 0
    .max_flat_workgroup_size: 1024
    .name:           _ZN4vllm25paged_attention_v1_kernelI14__hip_bfloat16hLi32ELi16ELi128ELNS_18Fp8KVCacheDataTypeE1ELb0EEEvPT_PKS3_PKT0_S9_ifPKiSB_iPKfiiiSD_SD_iiiii
    .private_segment_fixed_size: 0
    .sgpr_count:     36
    .sgpr_spill_count: 0
    .symbol:         _ZN4vllm25paged_attention_v1_kernelI14__hip_bfloat16hLi32ELi16ELi128ELNS_18Fp8KVCacheDataTypeE1ELb0EEEvPT_PKS3_PKT0_S9_ifPKiSB_iPKfiiiSD_SD_iiiii.kd
    .uniform_work_group_size: 1
    .uses_dynamic_stack: false
    .vgpr_count:     61
    .vgpr_spill_count: 0
    .wavefront_size: 32
    .workgroup_processor_mode: 1
  - .args:
      - .actual_access:  write_only
        .address_space:  global
        .offset:         0
        .size:           8
        .value_kind:     global_buffer
      - .actual_access:  read_only
        .address_space:  global
        .offset:         8
        .size:           8
        .value_kind:     global_buffer
      - .actual_access:  read_only
        .address_space:  global
        .offset:         16
        .size:           8
        .value_kind:     global_buffer
      - .actual_access:  read_only
        .address_space:  global
        .offset:         24
        .size:           8
        .value_kind:     global_buffer
      - .offset:         32
        .size:           4
        .value_kind:     by_value
      - .offset:         36
        .size:           4
        .value_kind:     by_value
      - .actual_access:  read_only
        .address_space:  global
        .offset:         40
        .size:           8
        .value_kind:     global_buffer
      - .actual_access:  read_only
        .address_space:  global
        .offset:         48
        .size:           8
        .value_kind:     global_buffer
      - .offset:         56
        .size:           4
        .value_kind:     by_value
      - .actual_access:  read_only
        .address_space:  global
        .offset:         64
        .size:           8
        .value_kind:     global_buffer
      - .offset:         72
        .size:           4
        .value_kind:     by_value
      - .offset:         76
        .size:           4
        .value_kind:     by_value
      - .offset:         80
        .size:           4
        .value_kind:     by_value
      - .address_space:  global
        .offset:         88
        .size:           8
        .value_kind:     global_buffer
      - .address_space:  global
        .offset:         96
        .size:           8
        .value_kind:     global_buffer
      - .offset:         104
        .size:           4
        .value_kind:     by_value
      - .offset:         108
        .size:           4
        .value_kind:     by_value
      - .offset:         112
        .size:           4
        .value_kind:     by_value
      - .offset:         116
        .size:           4
        .value_kind:     by_value
      - .offset:         120
        .size:           4
        .value_kind:     by_value
      - .offset:         128
        .size:           4
        .value_kind:     hidden_block_count_x
      - .offset:         132
        .size:           4
        .value_kind:     hidden_block_count_y
      - .offset:         136
        .size:           4
        .value_kind:     hidden_block_count_z
      - .offset:         140
        .size:           2
        .value_kind:     hidden_group_size_x
      - .offset:         142
        .size:           2
        .value_kind:     hidden_group_size_y
      - .offset:         144
        .size:           2
        .value_kind:     hidden_group_size_z
      - .offset:         146
        .size:           2
        .value_kind:     hidden_remainder_x
      - .offset:         148
        .size:           2
        .value_kind:     hidden_remainder_y
      - .offset:         150
        .size:           2
        .value_kind:     hidden_remainder_z
      - .offset:         168
        .size:           8
        .value_kind:     hidden_global_offset_x
      - .offset:         176
        .size:           8
        .value_kind:     hidden_global_offset_y
      - .offset:         184
        .size:           8
        .value_kind:     hidden_global_offset_z
      - .offset:         192
        .size:           2
        .value_kind:     hidden_grid_dims
      - .offset:         248
        .size:           4
        .value_kind:     hidden_dynamic_lds_size
    .group_segment_fixed_size: 160
    .kernarg_segment_align: 8
    .kernarg_segment_size: 384
    .language:       OpenCL C
    .language_version:
      - 2
      - 0
    .max_flat_workgroup_size: 1024
    .name:           _ZN4vllm25paged_attention_v1_kernelI14__hip_bfloat16hLi64ELi16ELi128ELNS_18Fp8KVCacheDataTypeE1ELb0EEEvPT_PKS3_PKT0_S9_ifPKiSB_iPKfiiiSD_SD_iiiii
    .private_segment_fixed_size: 0
    .sgpr_count:     36
    .sgpr_spill_count: 0
    .symbol:         _ZN4vllm25paged_attention_v1_kernelI14__hip_bfloat16hLi64ELi16ELi128ELNS_18Fp8KVCacheDataTypeE1ELb0EEEvPT_PKS3_PKT0_S9_ifPKiSB_iPKfiiiSD_SD_iiiii.kd
    .uniform_work_group_size: 1
    .uses_dynamic_stack: false
    .vgpr_count:     93
    .vgpr_spill_count: 0
    .wavefront_size: 32
    .workgroup_processor_mode: 1
  - .args:
      - .actual_access:  write_only
        .address_space:  global
        .offset:         0
        .size:           8
        .value_kind:     global_buffer
      - .actual_access:  read_only
        .address_space:  global
        .offset:         8
        .size:           8
        .value_kind:     global_buffer
      - .actual_access:  read_only
        .address_space:  global
        .offset:         16
        .size:           8
        .value_kind:     global_buffer
      - .actual_access:  read_only
        .address_space:  global
        .offset:         24
        .size:           8
        .value_kind:     global_buffer
      - .offset:         32
        .size:           4
        .value_kind:     by_value
      - .offset:         36
        .size:           4
        .value_kind:     by_value
      - .actual_access:  read_only
        .address_space:  global
        .offset:         40
        .size:           8
        .value_kind:     global_buffer
      - .actual_access:  read_only
        .address_space:  global
        .offset:         48
        .size:           8
        .value_kind:     global_buffer
      - .offset:         56
        .size:           4
        .value_kind:     by_value
      - .actual_access:  read_only
        .address_space:  global
        .offset:         64
        .size:           8
        .value_kind:     global_buffer
      - .offset:         72
        .size:           4
        .value_kind:     by_value
      - .offset:         76
        .size:           4
        .value_kind:     by_value
      - .offset:         80
        .size:           4
        .value_kind:     by_value
      - .address_space:  global
        .offset:         88
        .size:           8
        .value_kind:     global_buffer
      - .address_space:  global
        .offset:         96
        .size:           8
        .value_kind:     global_buffer
      - .offset:         104
        .size:           4
        .value_kind:     by_value
      - .offset:         108
        .size:           4
        .value_kind:     by_value
      - .offset:         112
        .size:           4
        .value_kind:     by_value
      - .offset:         116
        .size:           4
        .value_kind:     by_value
      - .offset:         120
        .size:           4
        .value_kind:     by_value
      - .offset:         128
        .size:           4
        .value_kind:     hidden_block_count_x
      - .offset:         132
        .size:           4
        .value_kind:     hidden_block_count_y
      - .offset:         136
        .size:           4
        .value_kind:     hidden_block_count_z
      - .offset:         140
        .size:           2
        .value_kind:     hidden_group_size_x
      - .offset:         142
        .size:           2
        .value_kind:     hidden_group_size_y
      - .offset:         144
        .size:           2
        .value_kind:     hidden_group_size_z
      - .offset:         146
        .size:           2
        .value_kind:     hidden_remainder_x
      - .offset:         148
        .size:           2
        .value_kind:     hidden_remainder_y
      - .offset:         150
        .size:           2
        .value_kind:     hidden_remainder_z
      - .offset:         168
        .size:           8
        .value_kind:     hidden_global_offset_x
      - .offset:         176
        .size:           8
        .value_kind:     hidden_global_offset_y
      - .offset:         184
        .size:           8
        .value_kind:     hidden_global_offset_z
      - .offset:         192
        .size:           2
        .value_kind:     hidden_grid_dims
      - .offset:         248
        .size:           4
        .value_kind:     hidden_dynamic_lds_size
    .group_segment_fixed_size: 192
    .kernarg_segment_align: 8
    .kernarg_segment_size: 384
    .language:       OpenCL C
    .language_version:
      - 2
      - 0
    .max_flat_workgroup_size: 1024
    .name:           _ZN4vllm25paged_attention_v1_kernelI14__hip_bfloat16hLi80ELi16ELi128ELNS_18Fp8KVCacheDataTypeE1ELb0EEEvPT_PKS3_PKT0_S9_ifPKiSB_iPKfiiiSD_SD_iiiii
    .private_segment_fixed_size: 0
    .sgpr_count:     36
    .sgpr_spill_count: 0
    .symbol:         _ZN4vllm25paged_attention_v1_kernelI14__hip_bfloat16hLi80ELi16ELi128ELNS_18Fp8KVCacheDataTypeE1ELb0EEEvPT_PKS3_PKT0_S9_ifPKiSB_iPKfiiiSD_SD_iiiii.kd
    .uniform_work_group_size: 1
    .uses_dynamic_stack: false
    .vgpr_count:     109
    .vgpr_spill_count: 0
    .wavefront_size: 32
    .workgroup_processor_mode: 1
  - .args:
      - .actual_access:  write_only
        .address_space:  global
        .offset:         0
        .size:           8
        .value_kind:     global_buffer
      - .actual_access:  read_only
        .address_space:  global
        .offset:         8
        .size:           8
        .value_kind:     global_buffer
      - .actual_access:  read_only
        .address_space:  global
        .offset:         16
        .size:           8
        .value_kind:     global_buffer
      - .actual_access:  read_only
        .address_space:  global
        .offset:         24
        .size:           8
        .value_kind:     global_buffer
      - .offset:         32
        .size:           4
        .value_kind:     by_value
      - .offset:         36
        .size:           4
        .value_kind:     by_value
      - .actual_access:  read_only
        .address_space:  global
        .offset:         40
        .size:           8
        .value_kind:     global_buffer
      - .actual_access:  read_only
        .address_space:  global
        .offset:         48
        .size:           8
        .value_kind:     global_buffer
      - .offset:         56
        .size:           4
        .value_kind:     by_value
      - .actual_access:  read_only
        .address_space:  global
        .offset:         64
        .size:           8
        .value_kind:     global_buffer
      - .offset:         72
        .size:           4
        .value_kind:     by_value
      - .offset:         76
        .size:           4
        .value_kind:     by_value
      - .offset:         80
        .size:           4
        .value_kind:     by_value
      - .address_space:  global
        .offset:         88
        .size:           8
        .value_kind:     global_buffer
      - .address_space:  global
        .offset:         96
        .size:           8
        .value_kind:     global_buffer
      - .offset:         104
        .size:           4
        .value_kind:     by_value
      - .offset:         108
        .size:           4
        .value_kind:     by_value
      - .offset:         112
        .size:           4
        .value_kind:     by_value
      - .offset:         116
        .size:           4
        .value_kind:     by_value
      - .offset:         120
        .size:           4
        .value_kind:     by_value
      - .offset:         128
        .size:           4
        .value_kind:     hidden_block_count_x
      - .offset:         132
        .size:           4
        .value_kind:     hidden_block_count_y
      - .offset:         136
        .size:           4
        .value_kind:     hidden_block_count_z
      - .offset:         140
        .size:           2
        .value_kind:     hidden_group_size_x
      - .offset:         142
        .size:           2
        .value_kind:     hidden_group_size_y
      - .offset:         144
        .size:           2
        .value_kind:     hidden_group_size_z
      - .offset:         146
        .size:           2
        .value_kind:     hidden_remainder_x
      - .offset:         148
        .size:           2
        .value_kind:     hidden_remainder_y
      - .offset:         150
        .size:           2
        .value_kind:     hidden_remainder_z
      - .offset:         168
        .size:           8
        .value_kind:     hidden_global_offset_x
      - .offset:         176
        .size:           8
        .value_kind:     hidden_global_offset_y
      - .offset:         184
        .size:           8
        .value_kind:     hidden_global_offset_z
      - .offset:         192
        .size:           2
        .value_kind:     hidden_grid_dims
      - .offset:         248
        .size:           4
        .value_kind:     hidden_dynamic_lds_size
    .group_segment_fixed_size: 224
    .kernarg_segment_align: 8
    .kernarg_segment_size: 384
    .language:       OpenCL C
    .language_version:
      - 2
      - 0
    .max_flat_workgroup_size: 1024
    .name:           _ZN4vllm25paged_attention_v1_kernelI14__hip_bfloat16hLi96ELi16ELi128ELNS_18Fp8KVCacheDataTypeE1ELb0EEEvPT_PKS3_PKT0_S9_ifPKiSB_iPKfiiiSD_SD_iiiii
    .private_segment_fixed_size: 0
    .sgpr_count:     36
    .sgpr_spill_count: 0
    .symbol:         _ZN4vllm25paged_attention_v1_kernelI14__hip_bfloat16hLi96ELi16ELi128ELNS_18Fp8KVCacheDataTypeE1ELb0EEEvPT_PKS3_PKT0_S9_ifPKiSB_iPKfiiiSD_SD_iiiii.kd
    .uniform_work_group_size: 1
    .uses_dynamic_stack: false
    .vgpr_count:     125
    .vgpr_spill_count: 0
    .wavefront_size: 32
    .workgroup_processor_mode: 1
  - .args:
      - .actual_access:  write_only
        .address_space:  global
        .offset:         0
        .size:           8
        .value_kind:     global_buffer
      - .actual_access:  read_only
        .address_space:  global
        .offset:         8
        .size:           8
        .value_kind:     global_buffer
      - .actual_access:  read_only
        .address_space:  global
        .offset:         16
        .size:           8
        .value_kind:     global_buffer
      - .actual_access:  read_only
        .address_space:  global
        .offset:         24
        .size:           8
        .value_kind:     global_buffer
      - .offset:         32
        .size:           4
        .value_kind:     by_value
      - .offset:         36
        .size:           4
        .value_kind:     by_value
      - .actual_access:  read_only
        .address_space:  global
        .offset:         40
        .size:           8
        .value_kind:     global_buffer
      - .actual_access:  read_only
        .address_space:  global
        .offset:         48
        .size:           8
        .value_kind:     global_buffer
      - .offset:         56
        .size:           4
        .value_kind:     by_value
      - .actual_access:  read_only
        .address_space:  global
        .offset:         64
        .size:           8
        .value_kind:     global_buffer
      - .offset:         72
        .size:           4
        .value_kind:     by_value
      - .offset:         76
        .size:           4
        .value_kind:     by_value
      - .offset:         80
        .size:           4
        .value_kind:     by_value
      - .address_space:  global
        .offset:         88
        .size:           8
        .value_kind:     global_buffer
      - .address_space:  global
        .offset:         96
        .size:           8
        .value_kind:     global_buffer
      - .offset:         104
        .size:           4
        .value_kind:     by_value
      - .offset:         108
        .size:           4
        .value_kind:     by_value
      - .offset:         112
        .size:           4
        .value_kind:     by_value
      - .offset:         116
        .size:           4
        .value_kind:     by_value
      - .offset:         120
        .size:           4
        .value_kind:     by_value
      - .offset:         128
        .size:           4
        .value_kind:     hidden_block_count_x
      - .offset:         132
        .size:           4
        .value_kind:     hidden_block_count_y
      - .offset:         136
        .size:           4
        .value_kind:     hidden_block_count_z
      - .offset:         140
        .size:           2
        .value_kind:     hidden_group_size_x
      - .offset:         142
        .size:           2
        .value_kind:     hidden_group_size_y
      - .offset:         144
        .size:           2
        .value_kind:     hidden_group_size_z
      - .offset:         146
        .size:           2
        .value_kind:     hidden_remainder_x
      - .offset:         148
        .size:           2
        .value_kind:     hidden_remainder_y
      - .offset:         150
        .size:           2
        .value_kind:     hidden_remainder_z
      - .offset:         168
        .size:           8
        .value_kind:     hidden_global_offset_x
      - .offset:         176
        .size:           8
        .value_kind:     hidden_global_offset_y
      - .offset:         184
        .size:           8
        .value_kind:     hidden_global_offset_z
      - .offset:         192
        .size:           2
        .value_kind:     hidden_grid_dims
      - .offset:         248
        .size:           4
        .value_kind:     hidden_dynamic_lds_size
    .group_segment_fixed_size: 256
    .kernarg_segment_align: 8
    .kernarg_segment_size: 384
    .language:       OpenCL C
    .language_version:
      - 2
      - 0
    .max_flat_workgroup_size: 1024
    .name:           _ZN4vllm25paged_attention_v1_kernelI14__hip_bfloat16hLi112ELi16ELi128ELNS_18Fp8KVCacheDataTypeE1ELb0EEEvPT_PKS3_PKT0_S9_ifPKiSB_iPKfiiiSD_SD_iiiii
    .private_segment_fixed_size: 48
    .sgpr_count:     42
    .sgpr_spill_count: 0
    .symbol:         _ZN4vllm25paged_attention_v1_kernelI14__hip_bfloat16hLi112ELi16ELi128ELNS_18Fp8KVCacheDataTypeE1ELb0EEEvPT_PKS3_PKT0_S9_ifPKiSB_iPKfiiiSD_SD_iiiii.kd
    .uniform_work_group_size: 1
    .uses_dynamic_stack: false
    .vgpr_count:     128
    .vgpr_spill_count: 11
    .wavefront_size: 32
    .workgroup_processor_mode: 1
  - .args:
      - .actual_access:  write_only
        .address_space:  global
        .offset:         0
        .size:           8
        .value_kind:     global_buffer
      - .actual_access:  read_only
        .address_space:  global
        .offset:         8
        .size:           8
        .value_kind:     global_buffer
      - .actual_access:  read_only
        .address_space:  global
        .offset:         16
        .size:           8
        .value_kind:     global_buffer
      - .actual_access:  read_only
        .address_space:  global
        .offset:         24
        .size:           8
        .value_kind:     global_buffer
      - .offset:         32
        .size:           4
        .value_kind:     by_value
      - .offset:         36
        .size:           4
        .value_kind:     by_value
      - .actual_access:  read_only
        .address_space:  global
        .offset:         40
        .size:           8
        .value_kind:     global_buffer
      - .actual_access:  read_only
        .address_space:  global
        .offset:         48
        .size:           8
        .value_kind:     global_buffer
      - .offset:         56
        .size:           4
        .value_kind:     by_value
      - .actual_access:  read_only
        .address_space:  global
        .offset:         64
        .size:           8
        .value_kind:     global_buffer
      - .offset:         72
        .size:           4
        .value_kind:     by_value
      - .offset:         76
        .size:           4
        .value_kind:     by_value
      - .offset:         80
        .size:           4
        .value_kind:     by_value
      - .address_space:  global
        .offset:         88
        .size:           8
        .value_kind:     global_buffer
      - .address_space:  global
        .offset:         96
        .size:           8
        .value_kind:     global_buffer
      - .offset:         104
        .size:           4
        .value_kind:     by_value
      - .offset:         108
        .size:           4
        .value_kind:     by_value
      - .offset:         112
        .size:           4
        .value_kind:     by_value
      - .offset:         116
        .size:           4
        .value_kind:     by_value
      - .offset:         120
        .size:           4
        .value_kind:     by_value
      - .offset:         128
        .size:           4
        .value_kind:     hidden_block_count_x
      - .offset:         132
        .size:           4
        .value_kind:     hidden_block_count_y
      - .offset:         136
        .size:           4
        .value_kind:     hidden_block_count_z
      - .offset:         140
        .size:           2
        .value_kind:     hidden_group_size_x
      - .offset:         142
        .size:           2
        .value_kind:     hidden_group_size_y
      - .offset:         144
        .size:           2
        .value_kind:     hidden_group_size_z
      - .offset:         146
        .size:           2
        .value_kind:     hidden_remainder_x
      - .offset:         148
        .size:           2
        .value_kind:     hidden_remainder_y
      - .offset:         150
        .size:           2
        .value_kind:     hidden_remainder_z
      - .offset:         168
        .size:           8
        .value_kind:     hidden_global_offset_x
      - .offset:         176
        .size:           8
        .value_kind:     hidden_global_offset_y
      - .offset:         184
        .size:           8
        .value_kind:     hidden_global_offset_z
      - .offset:         192
        .size:           2
        .value_kind:     hidden_grid_dims
      - .offset:         248
        .size:           4
        .value_kind:     hidden_dynamic_lds_size
    .group_segment_fixed_size: 272
    .kernarg_segment_align: 8
    .kernarg_segment_size: 384
    .language:       OpenCL C
    .language_version:
      - 2
      - 0
    .max_flat_workgroup_size: 1024
    .name:           _ZN4vllm25paged_attention_v1_kernelI14__hip_bfloat16hLi120ELi16ELi128ELNS_18Fp8KVCacheDataTypeE1ELb0EEEvPT_PKS3_PKT0_S9_ifPKiSB_iPKfiiiSD_SD_iiiii
    .private_segment_fixed_size: 72
    .sgpr_count:     42
    .sgpr_spill_count: 0
    .symbol:         _ZN4vllm25paged_attention_v1_kernelI14__hip_bfloat16hLi120ELi16ELi128ELNS_18Fp8KVCacheDataTypeE1ELb0EEEvPT_PKS3_PKT0_S9_ifPKiSB_iPKfiiiSD_SD_iiiii.kd
    .uniform_work_group_size: 1
    .uses_dynamic_stack: false
    .vgpr_count:     128
    .vgpr_spill_count: 17
    .wavefront_size: 32
    .workgroup_processor_mode: 1
  - .args:
      - .actual_access:  write_only
        .address_space:  global
        .offset:         0
        .size:           8
        .value_kind:     global_buffer
      - .actual_access:  read_only
        .address_space:  global
        .offset:         8
        .size:           8
        .value_kind:     global_buffer
      - .actual_access:  read_only
        .address_space:  global
        .offset:         16
        .size:           8
        .value_kind:     global_buffer
      - .actual_access:  read_only
        .address_space:  global
        .offset:         24
        .size:           8
        .value_kind:     global_buffer
      - .offset:         32
        .size:           4
        .value_kind:     by_value
      - .offset:         36
        .size:           4
        .value_kind:     by_value
      - .actual_access:  read_only
        .address_space:  global
        .offset:         40
        .size:           8
        .value_kind:     global_buffer
      - .actual_access:  read_only
        .address_space:  global
        .offset:         48
        .size:           8
        .value_kind:     global_buffer
      - .offset:         56
        .size:           4
        .value_kind:     by_value
      - .actual_access:  read_only
        .address_space:  global
        .offset:         64
        .size:           8
        .value_kind:     global_buffer
      - .offset:         72
        .size:           4
        .value_kind:     by_value
      - .offset:         76
        .size:           4
        .value_kind:     by_value
      - .offset:         80
        .size:           4
        .value_kind:     by_value
      - .address_space:  global
        .offset:         88
        .size:           8
        .value_kind:     global_buffer
      - .address_space:  global
        .offset:         96
        .size:           8
        .value_kind:     global_buffer
      - .offset:         104
        .size:           4
        .value_kind:     by_value
      - .offset:         108
        .size:           4
        .value_kind:     by_value
      - .offset:         112
        .size:           4
        .value_kind:     by_value
      - .offset:         116
        .size:           4
        .value_kind:     by_value
      - .offset:         120
        .size:           4
        .value_kind:     by_value
      - .offset:         128
        .size:           4
        .value_kind:     hidden_block_count_x
      - .offset:         132
        .size:           4
        .value_kind:     hidden_block_count_y
      - .offset:         136
        .size:           4
        .value_kind:     hidden_block_count_z
      - .offset:         140
        .size:           2
        .value_kind:     hidden_group_size_x
      - .offset:         142
        .size:           2
        .value_kind:     hidden_group_size_y
      - .offset:         144
        .size:           2
        .value_kind:     hidden_group_size_z
      - .offset:         146
        .size:           2
        .value_kind:     hidden_remainder_x
      - .offset:         148
        .size:           2
        .value_kind:     hidden_remainder_y
      - .offset:         150
        .size:           2
        .value_kind:     hidden_remainder_z
      - .offset:         168
        .size:           8
        .value_kind:     hidden_global_offset_x
      - .offset:         176
        .size:           8
        .value_kind:     hidden_global_offset_y
      - .offset:         184
        .size:           8
        .value_kind:     hidden_global_offset_z
      - .offset:         192
        .size:           2
        .value_kind:     hidden_grid_dims
      - .offset:         248
        .size:           4
        .value_kind:     hidden_dynamic_lds_size
    .group_segment_fixed_size: 288
    .kernarg_segment_align: 8
    .kernarg_segment_size: 384
    .language:       OpenCL C
    .language_version:
      - 2
      - 0
    .max_flat_workgroup_size: 1024
    .name:           _ZN4vllm25paged_attention_v1_kernelI14__hip_bfloat16hLi128ELi16ELi128ELNS_18Fp8KVCacheDataTypeE1ELb0EEEvPT_PKS3_PKT0_S9_ifPKiSB_iPKfiiiSD_SD_iiiii
    .private_segment_fixed_size: 108
    .sgpr_count:     42
    .sgpr_spill_count: 0
    .symbol:         _ZN4vllm25paged_attention_v1_kernelI14__hip_bfloat16hLi128ELi16ELi128ELNS_18Fp8KVCacheDataTypeE1ELb0EEEvPT_PKS3_PKT0_S9_ifPKiSB_iPKfiiiSD_SD_iiiii.kd
    .uniform_work_group_size: 1
    .uses_dynamic_stack: false
    .vgpr_count:     128
    .vgpr_spill_count: 26
    .wavefront_size: 32
    .workgroup_processor_mode: 1
  - .args:
      - .address_space:  global
        .offset:         0
        .size:           8
        .value_kind:     global_buffer
      - .address_space:  global
        .offset:         8
        .size:           8
        .value_kind:     global_buffer
      - .address_space:  global
        .offset:         16
        .size:           8
        .value_kind:     global_buffer
      - .address_space:  global
        .offset:         24
        .size:           8
        .value_kind:     global_buffer
      - .offset:         32
        .size:           4
        .value_kind:     by_value
      - .offset:         36
        .size:           4
        .value_kind:     by_value
      - .address_space:  global
        .offset:         40
        .size:           8
        .value_kind:     global_buffer
      - .address_space:  global
        .offset:         48
        .size:           8
        .value_kind:     global_buffer
      - .offset:         56
        .size:           4
        .value_kind:     by_value
      - .address_space:  global
        .offset:         64
        .size:           8
        .value_kind:     global_buffer
      - .offset:         72
        .size:           4
        .value_kind:     by_value
      - .offset:         76
        .size:           4
        .value_kind:     by_value
      - .offset:         80
        .size:           4
        .value_kind:     by_value
      - .address_space:  global
        .offset:         88
        .size:           8
        .value_kind:     global_buffer
      - .address_space:  global
        .offset:         96
        .size:           8
        .value_kind:     global_buffer
      - .offset:         104
        .size:           4
        .value_kind:     by_value
      - .offset:         108
        .size:           4
        .value_kind:     by_value
      - .offset:         112
        .size:           4
        .value_kind:     by_value
      - .offset:         116
        .size:           4
        .value_kind:     by_value
      - .offset:         120
        .size:           4
        .value_kind:     by_value
      - .offset:         128
        .size:           4
        .value_kind:     hidden_block_count_x
      - .offset:         132
        .size:           4
        .value_kind:     hidden_block_count_y
      - .offset:         136
        .size:           4
        .value_kind:     hidden_block_count_z
      - .offset:         140
        .size:           2
        .value_kind:     hidden_group_size_x
      - .offset:         142
        .size:           2
        .value_kind:     hidden_group_size_y
      - .offset:         144
        .size:           2
        .value_kind:     hidden_group_size_z
      - .offset:         146
        .size:           2
        .value_kind:     hidden_remainder_x
      - .offset:         148
        .size:           2
        .value_kind:     hidden_remainder_y
      - .offset:         150
        .size:           2
        .value_kind:     hidden_remainder_z
      - .offset:         168
        .size:           8
        .value_kind:     hidden_global_offset_x
      - .offset:         176
        .size:           8
        .value_kind:     hidden_global_offset_y
      - .offset:         184
        .size:           8
        .value_kind:     hidden_global_offset_z
      - .offset:         192
        .size:           2
        .value_kind:     hidden_grid_dims
      - .offset:         248
        .size:           4
        .value_kind:     hidden_dynamic_lds_size
    .group_segment_fixed_size: 416
    .kernarg_segment_align: 8
    .kernarg_segment_size: 384
    .language:       OpenCL C
    .language_version:
      - 2
      - 0
    .max_flat_workgroup_size: 1024
    .name:           _ZN4vllm25paged_attention_v1_kernelI14__hip_bfloat16hLi192ELi16ELi128ELNS_18Fp8KVCacheDataTypeE1ELb0EEEvPT_PKS3_PKT0_S9_ifPKiSB_iPKfiiiSD_SD_iiiii
    .private_segment_fixed_size: 652
    .sgpr_count:     42
    .sgpr_spill_count: 0
    .symbol:         _ZN4vllm25paged_attention_v1_kernelI14__hip_bfloat16hLi192ELi16ELi128ELNS_18Fp8KVCacheDataTypeE1ELb0EEEvPT_PKS3_PKT0_S9_ifPKiSB_iPKfiiiSD_SD_iiiii.kd
    .uniform_work_group_size: 1
    .uses_dynamic_stack: false
    .vgpr_count:     128
    .vgpr_spill_count: 0
    .wavefront_size: 32
    .workgroup_processor_mode: 1
  - .args:
      - .address_space:  global
        .offset:         0
        .size:           8
        .value_kind:     global_buffer
      - .address_space:  global
        .offset:         8
        .size:           8
        .value_kind:     global_buffer
      - .address_space:  global
        .offset:         16
        .size:           8
        .value_kind:     global_buffer
      - .address_space:  global
        .offset:         24
        .size:           8
        .value_kind:     global_buffer
      - .offset:         32
        .size:           4
        .value_kind:     by_value
      - .offset:         36
        .size:           4
        .value_kind:     by_value
      - .address_space:  global
        .offset:         40
        .size:           8
        .value_kind:     global_buffer
      - .address_space:  global
        .offset:         48
        .size:           8
        .value_kind:     global_buffer
      - .offset:         56
        .size:           4
        .value_kind:     by_value
      - .address_space:  global
        .offset:         64
        .size:           8
        .value_kind:     global_buffer
      - .offset:         72
        .size:           4
        .value_kind:     by_value
      - .offset:         76
        .size:           4
        .value_kind:     by_value
      - .offset:         80
        .size:           4
        .value_kind:     by_value
      - .address_space:  global
        .offset:         88
        .size:           8
        .value_kind:     global_buffer
      - .address_space:  global
        .offset:         96
        .size:           8
        .value_kind:     global_buffer
      - .offset:         104
        .size:           4
        .value_kind:     by_value
      - .offset:         108
        .size:           4
        .value_kind:     by_value
      - .offset:         112
        .size:           4
        .value_kind:     by_value
      - .offset:         116
        .size:           4
        .value_kind:     by_value
      - .offset:         120
        .size:           4
        .value_kind:     by_value
      - .offset:         128
        .size:           4
        .value_kind:     hidden_block_count_x
      - .offset:         132
        .size:           4
        .value_kind:     hidden_block_count_y
      - .offset:         136
        .size:           4
        .value_kind:     hidden_block_count_z
      - .offset:         140
        .size:           2
        .value_kind:     hidden_group_size_x
      - .offset:         142
        .size:           2
        .value_kind:     hidden_group_size_y
      - .offset:         144
        .size:           2
        .value_kind:     hidden_group_size_z
      - .offset:         146
        .size:           2
        .value_kind:     hidden_remainder_x
      - .offset:         148
        .size:           2
        .value_kind:     hidden_remainder_y
      - .offset:         150
        .size:           2
        .value_kind:     hidden_remainder_z
      - .offset:         168
        .size:           8
        .value_kind:     hidden_global_offset_x
      - .offset:         176
        .size:           8
        .value_kind:     hidden_global_offset_y
      - .offset:         184
        .size:           8
        .value_kind:     hidden_global_offset_z
      - .offset:         192
        .size:           2
        .value_kind:     hidden_grid_dims
      - .offset:         248
        .size:           4
        .value_kind:     hidden_dynamic_lds_size
    .group_segment_fixed_size: 544
    .kernarg_segment_align: 8
    .kernarg_segment_size: 384
    .language:       OpenCL C
    .language_version:
      - 2
      - 0
    .max_flat_workgroup_size: 1024
    .name:           _ZN4vllm25paged_attention_v1_kernelI14__hip_bfloat16hLi256ELi16ELi128ELNS_18Fp8KVCacheDataTypeE1ELb0EEEvPT_PKS3_PKT0_S9_ifPKiSB_iPKfiiiSD_SD_iiiii
    .private_segment_fixed_size: 932
    .sgpr_count:     42
    .sgpr_spill_count: 0
    .symbol:         _ZN4vllm25paged_attention_v1_kernelI14__hip_bfloat16hLi256ELi16ELi128ELNS_18Fp8KVCacheDataTypeE1ELb0EEEvPT_PKS3_PKT0_S9_ifPKiSB_iPKfiiiSD_SD_iiiii.kd
    .uniform_work_group_size: 1
    .uses_dynamic_stack: false
    .vgpr_count:     128
    .vgpr_spill_count: 0
    .wavefront_size: 32
    .workgroup_processor_mode: 1
  - .args:
      - .actual_access:  write_only
        .address_space:  global
        .offset:         0
        .size:           8
        .value_kind:     global_buffer
      - .actual_access:  read_only
        .address_space:  global
        .offset:         8
        .size:           8
        .value_kind:     global_buffer
      - .actual_access:  read_only
        .address_space:  global
        .offset:         16
        .size:           8
        .value_kind:     global_buffer
      - .actual_access:  read_only
        .address_space:  global
        .offset:         24
        .size:           8
        .value_kind:     global_buffer
      - .offset:         32
        .size:           4
        .value_kind:     by_value
      - .offset:         36
        .size:           4
        .value_kind:     by_value
      - .actual_access:  read_only
        .address_space:  global
        .offset:         40
        .size:           8
        .value_kind:     global_buffer
      - .actual_access:  read_only
        .address_space:  global
        .offset:         48
        .size:           8
        .value_kind:     global_buffer
      - .offset:         56
        .size:           4
        .value_kind:     by_value
      - .actual_access:  read_only
        .address_space:  global
        .offset:         64
        .size:           8
        .value_kind:     global_buffer
      - .offset:         72
        .size:           4
        .value_kind:     by_value
      - .offset:         76
        .size:           4
        .value_kind:     by_value
      - .offset:         80
        .size:           4
        .value_kind:     by_value
      - .address_space:  global
        .offset:         88
        .size:           8
        .value_kind:     global_buffer
      - .address_space:  global
        .offset:         96
        .size:           8
        .value_kind:     global_buffer
      - .offset:         104
        .size:           4
        .value_kind:     by_value
      - .offset:         108
        .size:           4
        .value_kind:     by_value
      - .offset:         112
        .size:           4
        .value_kind:     by_value
      - .offset:         116
        .size:           4
        .value_kind:     by_value
      - .offset:         120
        .size:           4
        .value_kind:     by_value
      - .offset:         128
        .size:           4
        .value_kind:     hidden_block_count_x
      - .offset:         132
        .size:           4
        .value_kind:     hidden_block_count_y
      - .offset:         136
        .size:           4
        .value_kind:     hidden_block_count_z
      - .offset:         140
        .size:           2
        .value_kind:     hidden_group_size_x
      - .offset:         142
        .size:           2
        .value_kind:     hidden_group_size_y
      - .offset:         144
        .size:           2
        .value_kind:     hidden_group_size_z
      - .offset:         146
        .size:           2
        .value_kind:     hidden_remainder_x
      - .offset:         148
        .size:           2
        .value_kind:     hidden_remainder_y
      - .offset:         150
        .size:           2
        .value_kind:     hidden_remainder_z
      - .offset:         168
        .size:           8
        .value_kind:     hidden_global_offset_x
      - .offset:         176
        .size:           8
        .value_kind:     hidden_global_offset_y
      - .offset:         184
        .size:           8
        .value_kind:     hidden_global_offset_z
      - .offset:         192
        .size:           2
        .value_kind:     hidden_grid_dims
      - .offset:         248
        .size:           4
        .value_kind:     hidden_dynamic_lds_size
    .group_segment_fixed_size: 96
    .kernarg_segment_align: 8
    .kernarg_segment_size: 384
    .language:       OpenCL C
    .language_version:
      - 2
      - 0
    .max_flat_workgroup_size: 1024
    .name:           _ZN4vllm25paged_attention_v1_kernelI14__hip_bfloat16hLi32ELi32ELi128ELNS_18Fp8KVCacheDataTypeE1ELb1EEEvPT_PKS3_PKT0_S9_ifPKiSB_iPKfiiiSD_SD_iiiii
    .private_segment_fixed_size: 0
    .sgpr_count:     48
    .sgpr_spill_count: 0
    .symbol:         _ZN4vllm25paged_attention_v1_kernelI14__hip_bfloat16hLi32ELi32ELi128ELNS_18Fp8KVCacheDataTypeE1ELb1EEEvPT_PKS3_PKT0_S9_ifPKiSB_iPKfiiiSD_SD_iiiii.kd
    .uniform_work_group_size: 1
    .uses_dynamic_stack: false
    .vgpr_count:     94
    .vgpr_spill_count: 0
    .wavefront_size: 32
    .workgroup_processor_mode: 1
  - .args:
      - .actual_access:  write_only
        .address_space:  global
        .offset:         0
        .size:           8
        .value_kind:     global_buffer
      - .actual_access:  read_only
        .address_space:  global
        .offset:         8
        .size:           8
        .value_kind:     global_buffer
      - .actual_access:  read_only
        .address_space:  global
        .offset:         16
        .size:           8
        .value_kind:     global_buffer
      - .actual_access:  read_only
        .address_space:  global
        .offset:         24
        .size:           8
        .value_kind:     global_buffer
      - .offset:         32
        .size:           4
        .value_kind:     by_value
      - .offset:         36
        .size:           4
        .value_kind:     by_value
      - .actual_access:  read_only
        .address_space:  global
        .offset:         40
        .size:           8
        .value_kind:     global_buffer
      - .actual_access:  read_only
        .address_space:  global
        .offset:         48
        .size:           8
        .value_kind:     global_buffer
      - .offset:         56
        .size:           4
        .value_kind:     by_value
      - .actual_access:  read_only
        .address_space:  global
        .offset:         64
        .size:           8
        .value_kind:     global_buffer
      - .offset:         72
        .size:           4
        .value_kind:     by_value
      - .offset:         76
        .size:           4
        .value_kind:     by_value
      - .offset:         80
        .size:           4
        .value_kind:     by_value
      - .address_space:  global
        .offset:         88
        .size:           8
        .value_kind:     global_buffer
      - .address_space:  global
        .offset:         96
        .size:           8
        .value_kind:     global_buffer
      - .offset:         104
        .size:           4
        .value_kind:     by_value
      - .offset:         108
        .size:           4
        .value_kind:     by_value
      - .offset:         112
        .size:           4
        .value_kind:     by_value
      - .offset:         116
        .size:           4
        .value_kind:     by_value
      - .offset:         120
        .size:           4
        .value_kind:     by_value
      - .offset:         128
        .size:           4
        .value_kind:     hidden_block_count_x
      - .offset:         132
        .size:           4
        .value_kind:     hidden_block_count_y
      - .offset:         136
        .size:           4
        .value_kind:     hidden_block_count_z
      - .offset:         140
        .size:           2
        .value_kind:     hidden_group_size_x
      - .offset:         142
        .size:           2
        .value_kind:     hidden_group_size_y
      - .offset:         144
        .size:           2
        .value_kind:     hidden_group_size_z
      - .offset:         146
        .size:           2
        .value_kind:     hidden_remainder_x
      - .offset:         148
        .size:           2
        .value_kind:     hidden_remainder_y
      - .offset:         150
        .size:           2
        .value_kind:     hidden_remainder_z
      - .offset:         168
        .size:           8
        .value_kind:     hidden_global_offset_x
      - .offset:         176
        .size:           8
        .value_kind:     hidden_global_offset_y
      - .offset:         184
        .size:           8
        .value_kind:     hidden_global_offset_z
      - .offset:         192
        .size:           2
        .value_kind:     hidden_grid_dims
      - .offset:         248
        .size:           4
        .value_kind:     hidden_dynamic_lds_size
    .group_segment_fixed_size: 160
    .kernarg_segment_align: 8
    .kernarg_segment_size: 384
    .language:       OpenCL C
    .language_version:
      - 2
      - 0
    .max_flat_workgroup_size: 1024
    .name:           _ZN4vllm25paged_attention_v1_kernelI14__hip_bfloat16hLi64ELi32ELi128ELNS_18Fp8KVCacheDataTypeE1ELb1EEEvPT_PKS3_PKT0_S9_ifPKiSB_iPKfiiiSD_SD_iiiii
    .private_segment_fixed_size: 116
    .sgpr_count:     54
    .sgpr_spill_count: 0
    .symbol:         _ZN4vllm25paged_attention_v1_kernelI14__hip_bfloat16hLi64ELi32ELi128ELNS_18Fp8KVCacheDataTypeE1ELb1EEEvPT_PKS3_PKT0_S9_ifPKiSB_iPKfiiiSD_SD_iiiii.kd
    .uniform_work_group_size: 1
    .uses_dynamic_stack: false
    .vgpr_count:     128
    .vgpr_spill_count: 28
    .wavefront_size: 32
    .workgroup_processor_mode: 1
  - .args:
      - .actual_access:  write_only
        .address_space:  global
        .offset:         0
        .size:           8
        .value_kind:     global_buffer
      - .actual_access:  read_only
        .address_space:  global
        .offset:         8
        .size:           8
        .value_kind:     global_buffer
      - .actual_access:  read_only
        .address_space:  global
        .offset:         16
        .size:           8
        .value_kind:     global_buffer
      - .actual_access:  read_only
        .address_space:  global
        .offset:         24
        .size:           8
        .value_kind:     global_buffer
      - .offset:         32
        .size:           4
        .value_kind:     by_value
      - .offset:         36
        .size:           4
        .value_kind:     by_value
      - .actual_access:  read_only
        .address_space:  global
        .offset:         40
        .size:           8
        .value_kind:     global_buffer
      - .actual_access:  read_only
        .address_space:  global
        .offset:         48
        .size:           8
        .value_kind:     global_buffer
      - .offset:         56
        .size:           4
        .value_kind:     by_value
      - .actual_access:  read_only
        .address_space:  global
        .offset:         64
        .size:           8
        .value_kind:     global_buffer
      - .offset:         72
        .size:           4
        .value_kind:     by_value
      - .offset:         76
        .size:           4
        .value_kind:     by_value
      - .offset:         80
        .size:           4
        .value_kind:     by_value
      - .address_space:  global
        .offset:         88
        .size:           8
        .value_kind:     global_buffer
      - .address_space:  global
        .offset:         96
        .size:           8
        .value_kind:     global_buffer
      - .offset:         104
        .size:           4
        .value_kind:     by_value
      - .offset:         108
        .size:           4
        .value_kind:     by_value
      - .offset:         112
        .size:           4
        .value_kind:     by_value
      - .offset:         116
        .size:           4
        .value_kind:     by_value
      - .offset:         120
        .size:           4
        .value_kind:     by_value
      - .offset:         128
        .size:           4
        .value_kind:     hidden_block_count_x
      - .offset:         132
        .size:           4
        .value_kind:     hidden_block_count_y
      - .offset:         136
        .size:           4
        .value_kind:     hidden_block_count_z
      - .offset:         140
        .size:           2
        .value_kind:     hidden_group_size_x
      - .offset:         142
        .size:           2
        .value_kind:     hidden_group_size_y
      - .offset:         144
        .size:           2
        .value_kind:     hidden_group_size_z
      - .offset:         146
        .size:           2
        .value_kind:     hidden_remainder_x
      - .offset:         148
        .size:           2
        .value_kind:     hidden_remainder_y
      - .offset:         150
        .size:           2
        .value_kind:     hidden_remainder_z
      - .offset:         168
        .size:           8
        .value_kind:     hidden_global_offset_x
      - .offset:         176
        .size:           8
        .value_kind:     hidden_global_offset_y
      - .offset:         184
        .size:           8
        .value_kind:     hidden_global_offset_z
      - .offset:         192
        .size:           2
        .value_kind:     hidden_grid_dims
      - .offset:         248
        .size:           4
        .value_kind:     hidden_dynamic_lds_size
    .group_segment_fixed_size: 192
    .kernarg_segment_align: 8
    .kernarg_segment_size: 384
    .language:       OpenCL C
    .language_version:
      - 2
      - 0
    .max_flat_workgroup_size: 1024
    .name:           _ZN4vllm25paged_attention_v1_kernelI14__hip_bfloat16hLi80ELi32ELi128ELNS_18Fp8KVCacheDataTypeE1ELb1EEEvPT_PKS3_PKT0_S9_ifPKiSB_iPKfiiiSD_SD_iiiii
    .private_segment_fixed_size: 264
    .sgpr_count:     54
    .sgpr_spill_count: 0
    .symbol:         _ZN4vllm25paged_attention_v1_kernelI14__hip_bfloat16hLi80ELi32ELi128ELNS_18Fp8KVCacheDataTypeE1ELb1EEEvPT_PKS3_PKT0_S9_ifPKiSB_iPKfiiiSD_SD_iiiii.kd
    .uniform_work_group_size: 1
    .uses_dynamic_stack: false
    .vgpr_count:     128
    .vgpr_spill_count: 66
    .wavefront_size: 32
    .workgroup_processor_mode: 1
  - .args:
      - .address_space:  global
        .offset:         0
        .size:           8
        .value_kind:     global_buffer
      - .address_space:  global
        .offset:         8
        .size:           8
        .value_kind:     global_buffer
      - .address_space:  global
        .offset:         16
        .size:           8
        .value_kind:     global_buffer
      - .address_space:  global
        .offset:         24
        .size:           8
        .value_kind:     global_buffer
      - .offset:         32
        .size:           4
        .value_kind:     by_value
      - .offset:         36
        .size:           4
        .value_kind:     by_value
      - .address_space:  global
        .offset:         40
        .size:           8
        .value_kind:     global_buffer
      - .address_space:  global
        .offset:         48
        .size:           8
        .value_kind:     global_buffer
      - .offset:         56
        .size:           4
        .value_kind:     by_value
      - .address_space:  global
        .offset:         64
        .size:           8
        .value_kind:     global_buffer
      - .offset:         72
        .size:           4
        .value_kind:     by_value
      - .offset:         76
        .size:           4
        .value_kind:     by_value
      - .offset:         80
        .size:           4
        .value_kind:     by_value
      - .address_space:  global
        .offset:         88
        .size:           8
        .value_kind:     global_buffer
      - .address_space:  global
        .offset:         96
        .size:           8
        .value_kind:     global_buffer
      - .offset:         104
        .size:           4
        .value_kind:     by_value
      - .offset:         108
        .size:           4
        .value_kind:     by_value
      - .offset:         112
        .size:           4
        .value_kind:     by_value
      - .offset:         116
        .size:           4
        .value_kind:     by_value
      - .offset:         120
        .size:           4
        .value_kind:     by_value
      - .offset:         128
        .size:           4
        .value_kind:     hidden_block_count_x
      - .offset:         132
        .size:           4
        .value_kind:     hidden_block_count_y
      - .offset:         136
        .size:           4
        .value_kind:     hidden_block_count_z
      - .offset:         140
        .size:           2
        .value_kind:     hidden_group_size_x
      - .offset:         142
        .size:           2
        .value_kind:     hidden_group_size_y
      - .offset:         144
        .size:           2
        .value_kind:     hidden_group_size_z
      - .offset:         146
        .size:           2
        .value_kind:     hidden_remainder_x
      - .offset:         148
        .size:           2
        .value_kind:     hidden_remainder_y
      - .offset:         150
        .size:           2
        .value_kind:     hidden_remainder_z
      - .offset:         168
        .size:           8
        .value_kind:     hidden_global_offset_x
      - .offset:         176
        .size:           8
        .value_kind:     hidden_global_offset_y
      - .offset:         184
        .size:           8
        .value_kind:     hidden_global_offset_z
      - .offset:         192
        .size:           2
        .value_kind:     hidden_grid_dims
      - .offset:         248
        .size:           4
        .value_kind:     hidden_dynamic_lds_size
    .group_segment_fixed_size: 224
    .kernarg_segment_align: 8
    .kernarg_segment_size: 384
    .language:       OpenCL C
    .language_version:
      - 2
      - 0
    .max_flat_workgroup_size: 1024
    .name:           _ZN4vllm25paged_attention_v1_kernelI14__hip_bfloat16hLi96ELi32ELi128ELNS_18Fp8KVCacheDataTypeE1ELb1EEEvPT_PKS3_PKT0_S9_ifPKiSB_iPKfiiiSD_SD_iiiii
    .private_segment_fixed_size: 684
    .sgpr_count:     46
    .sgpr_spill_count: 0
    .symbol:         _ZN4vllm25paged_attention_v1_kernelI14__hip_bfloat16hLi96ELi32ELi128ELNS_18Fp8KVCacheDataTypeE1ELb1EEEvPT_PKS3_PKT0_S9_ifPKiSB_iPKfiiiSD_SD_iiiii.kd
    .uniform_work_group_size: 1
    .uses_dynamic_stack: false
    .vgpr_count:     128
    .vgpr_spill_count: 0
    .wavefront_size: 32
    .workgroup_processor_mode: 1
  - .args:
      - .address_space:  global
        .offset:         0
        .size:           8
        .value_kind:     global_buffer
      - .address_space:  global
        .offset:         8
        .size:           8
        .value_kind:     global_buffer
      - .address_space:  global
        .offset:         16
        .size:           8
        .value_kind:     global_buffer
      - .address_space:  global
        .offset:         24
        .size:           8
        .value_kind:     global_buffer
      - .offset:         32
        .size:           4
        .value_kind:     by_value
      - .offset:         36
        .size:           4
        .value_kind:     by_value
      - .address_space:  global
        .offset:         40
        .size:           8
        .value_kind:     global_buffer
      - .address_space:  global
        .offset:         48
        .size:           8
        .value_kind:     global_buffer
      - .offset:         56
        .size:           4
        .value_kind:     by_value
      - .address_space:  global
        .offset:         64
        .size:           8
        .value_kind:     global_buffer
      - .offset:         72
        .size:           4
        .value_kind:     by_value
      - .offset:         76
        .size:           4
        .value_kind:     by_value
      - .offset:         80
        .size:           4
        .value_kind:     by_value
      - .address_space:  global
        .offset:         88
        .size:           8
        .value_kind:     global_buffer
      - .address_space:  global
        .offset:         96
        .size:           8
        .value_kind:     global_buffer
      - .offset:         104
        .size:           4
        .value_kind:     by_value
      - .offset:         108
        .size:           4
        .value_kind:     by_value
      - .offset:         112
        .size:           4
        .value_kind:     by_value
      - .offset:         116
        .size:           4
        .value_kind:     by_value
      - .offset:         120
        .size:           4
        .value_kind:     by_value
      - .offset:         128
        .size:           4
        .value_kind:     hidden_block_count_x
      - .offset:         132
        .size:           4
        .value_kind:     hidden_block_count_y
      - .offset:         136
        .size:           4
        .value_kind:     hidden_block_count_z
      - .offset:         140
        .size:           2
        .value_kind:     hidden_group_size_x
      - .offset:         142
        .size:           2
        .value_kind:     hidden_group_size_y
      - .offset:         144
        .size:           2
        .value_kind:     hidden_group_size_z
      - .offset:         146
        .size:           2
        .value_kind:     hidden_remainder_x
      - .offset:         148
        .size:           2
        .value_kind:     hidden_remainder_y
      - .offset:         150
        .size:           2
        .value_kind:     hidden_remainder_z
      - .offset:         168
        .size:           8
        .value_kind:     hidden_global_offset_x
      - .offset:         176
        .size:           8
        .value_kind:     hidden_global_offset_y
      - .offset:         184
        .size:           8
        .value_kind:     hidden_global_offset_z
      - .offset:         192
        .size:           2
        .value_kind:     hidden_grid_dims
      - .offset:         248
        .size:           4
        .value_kind:     hidden_dynamic_lds_size
    .group_segment_fixed_size: 256
    .kernarg_segment_align: 8
    .kernarg_segment_size: 384
    .language:       OpenCL C
    .language_version:
      - 2
      - 0
    .max_flat_workgroup_size: 1024
    .name:           _ZN4vllm25paged_attention_v1_kernelI14__hip_bfloat16hLi112ELi32ELi128ELNS_18Fp8KVCacheDataTypeE1ELb1EEEvPT_PKS3_PKT0_S9_ifPKiSB_iPKfiiiSD_SD_iiiii
    .private_segment_fixed_size: 800
    .sgpr_count:     46
    .sgpr_spill_count: 0
    .symbol:         _ZN4vllm25paged_attention_v1_kernelI14__hip_bfloat16hLi112ELi32ELi128ELNS_18Fp8KVCacheDataTypeE1ELb1EEEvPT_PKS3_PKT0_S9_ifPKiSB_iPKfiiiSD_SD_iiiii.kd
    .uniform_work_group_size: 1
    .uses_dynamic_stack: false
    .vgpr_count:     128
    .vgpr_spill_count: 0
    .wavefront_size: 32
    .workgroup_processor_mode: 1
  - .args:
      - .address_space:  global
        .offset:         0
        .size:           8
        .value_kind:     global_buffer
      - .address_space:  global
        .offset:         8
        .size:           8
        .value_kind:     global_buffer
      - .address_space:  global
        .offset:         16
        .size:           8
        .value_kind:     global_buffer
      - .address_space:  global
        .offset:         24
        .size:           8
        .value_kind:     global_buffer
      - .offset:         32
        .size:           4
        .value_kind:     by_value
      - .offset:         36
        .size:           4
        .value_kind:     by_value
      - .address_space:  global
        .offset:         40
        .size:           8
        .value_kind:     global_buffer
      - .address_space:  global
        .offset:         48
        .size:           8
        .value_kind:     global_buffer
      - .offset:         56
        .size:           4
        .value_kind:     by_value
      - .address_space:  global
        .offset:         64
        .size:           8
        .value_kind:     global_buffer
      - .offset:         72
        .size:           4
        .value_kind:     by_value
      - .offset:         76
        .size:           4
        .value_kind:     by_value
      - .offset:         80
        .size:           4
        .value_kind:     by_value
      - .address_space:  global
        .offset:         88
        .size:           8
        .value_kind:     global_buffer
      - .address_space:  global
        .offset:         96
        .size:           8
        .value_kind:     global_buffer
      - .offset:         104
        .size:           4
        .value_kind:     by_value
      - .offset:         108
        .size:           4
        .value_kind:     by_value
      - .offset:         112
        .size:           4
        .value_kind:     by_value
      - .offset:         116
        .size:           4
        .value_kind:     by_value
      - .offset:         120
        .size:           4
        .value_kind:     by_value
      - .offset:         128
        .size:           4
        .value_kind:     hidden_block_count_x
      - .offset:         132
        .size:           4
        .value_kind:     hidden_block_count_y
      - .offset:         136
        .size:           4
        .value_kind:     hidden_block_count_z
      - .offset:         140
        .size:           2
        .value_kind:     hidden_group_size_x
      - .offset:         142
        .size:           2
        .value_kind:     hidden_group_size_y
      - .offset:         144
        .size:           2
        .value_kind:     hidden_group_size_z
      - .offset:         146
        .size:           2
        .value_kind:     hidden_remainder_x
      - .offset:         148
        .size:           2
        .value_kind:     hidden_remainder_y
      - .offset:         150
        .size:           2
        .value_kind:     hidden_remainder_z
      - .offset:         168
        .size:           8
        .value_kind:     hidden_global_offset_x
      - .offset:         176
        .size:           8
        .value_kind:     hidden_global_offset_y
      - .offset:         184
        .size:           8
        .value_kind:     hidden_global_offset_z
      - .offset:         192
        .size:           2
        .value_kind:     hidden_grid_dims
      - .offset:         248
        .size:           4
        .value_kind:     hidden_dynamic_lds_size
    .group_segment_fixed_size: 272
    .kernarg_segment_align: 8
    .kernarg_segment_size: 384
    .language:       OpenCL C
    .language_version:
      - 2
      - 0
    .max_flat_workgroup_size: 1024
    .name:           _ZN4vllm25paged_attention_v1_kernelI14__hip_bfloat16hLi120ELi32ELi128ELNS_18Fp8KVCacheDataTypeE1ELb1EEEvPT_PKS3_PKT0_S9_ifPKiSB_iPKfiiiSD_SD_iiiii
    .private_segment_fixed_size: 864
    .sgpr_count:     46
    .sgpr_spill_count: 0
    .symbol:         _ZN4vllm25paged_attention_v1_kernelI14__hip_bfloat16hLi120ELi32ELi128ELNS_18Fp8KVCacheDataTypeE1ELb1EEEvPT_PKS3_PKT0_S9_ifPKiSB_iPKfiiiSD_SD_iiiii.kd
    .uniform_work_group_size: 1
    .uses_dynamic_stack: false
    .vgpr_count:     128
    .vgpr_spill_count: 0
    .wavefront_size: 32
    .workgroup_processor_mode: 1
  - .args:
      - .address_space:  global
        .offset:         0
        .size:           8
        .value_kind:     global_buffer
      - .address_space:  global
        .offset:         8
        .size:           8
        .value_kind:     global_buffer
      - .address_space:  global
        .offset:         16
        .size:           8
        .value_kind:     global_buffer
      - .address_space:  global
        .offset:         24
        .size:           8
        .value_kind:     global_buffer
      - .offset:         32
        .size:           4
        .value_kind:     by_value
      - .offset:         36
        .size:           4
        .value_kind:     by_value
      - .address_space:  global
        .offset:         40
        .size:           8
        .value_kind:     global_buffer
      - .address_space:  global
        .offset:         48
        .size:           8
        .value_kind:     global_buffer
      - .offset:         56
        .size:           4
        .value_kind:     by_value
      - .address_space:  global
        .offset:         64
        .size:           8
        .value_kind:     global_buffer
      - .offset:         72
        .size:           4
        .value_kind:     by_value
      - .offset:         76
        .size:           4
        .value_kind:     by_value
      - .offset:         80
        .size:           4
        .value_kind:     by_value
      - .address_space:  global
        .offset:         88
        .size:           8
        .value_kind:     global_buffer
      - .address_space:  global
        .offset:         96
        .size:           8
        .value_kind:     global_buffer
      - .offset:         104
        .size:           4
        .value_kind:     by_value
      - .offset:         108
        .size:           4
        .value_kind:     by_value
      - .offset:         112
        .size:           4
        .value_kind:     by_value
      - .offset:         116
        .size:           4
        .value_kind:     by_value
      - .offset:         120
        .size:           4
        .value_kind:     by_value
      - .offset:         128
        .size:           4
        .value_kind:     hidden_block_count_x
      - .offset:         132
        .size:           4
        .value_kind:     hidden_block_count_y
      - .offset:         136
        .size:           4
        .value_kind:     hidden_block_count_z
      - .offset:         140
        .size:           2
        .value_kind:     hidden_group_size_x
      - .offset:         142
        .size:           2
        .value_kind:     hidden_group_size_y
      - .offset:         144
        .size:           2
        .value_kind:     hidden_group_size_z
      - .offset:         146
        .size:           2
        .value_kind:     hidden_remainder_x
      - .offset:         148
        .size:           2
        .value_kind:     hidden_remainder_y
      - .offset:         150
        .size:           2
        .value_kind:     hidden_remainder_z
      - .offset:         168
        .size:           8
        .value_kind:     hidden_global_offset_x
      - .offset:         176
        .size:           8
        .value_kind:     hidden_global_offset_y
      - .offset:         184
        .size:           8
        .value_kind:     hidden_global_offset_z
      - .offset:         192
        .size:           2
        .value_kind:     hidden_grid_dims
      - .offset:         248
        .size:           4
        .value_kind:     hidden_dynamic_lds_size
    .group_segment_fixed_size: 288
    .kernarg_segment_align: 8
    .kernarg_segment_size: 384
    .language:       OpenCL C
    .language_version:
      - 2
      - 0
    .max_flat_workgroup_size: 1024
    .name:           _ZN4vllm25paged_attention_v1_kernelI14__hip_bfloat16hLi128ELi32ELi128ELNS_18Fp8KVCacheDataTypeE1ELb1EEEvPT_PKS3_PKT0_S9_ifPKiSB_iPKfiiiSD_SD_iiiii
    .private_segment_fixed_size: 976
    .sgpr_count:     46
    .sgpr_spill_count: 0
    .symbol:         _ZN4vllm25paged_attention_v1_kernelI14__hip_bfloat16hLi128ELi32ELi128ELNS_18Fp8KVCacheDataTypeE1ELb1EEEvPT_PKS3_PKT0_S9_ifPKiSB_iPKfiiiSD_SD_iiiii.kd
    .uniform_work_group_size: 1
    .uses_dynamic_stack: false
    .vgpr_count:     128
    .vgpr_spill_count: 0
    .wavefront_size: 32
    .workgroup_processor_mode: 1
  - .args:
      - .address_space:  global
        .offset:         0
        .size:           8
        .value_kind:     global_buffer
      - .address_space:  global
        .offset:         8
        .size:           8
        .value_kind:     global_buffer
      - .address_space:  global
        .offset:         16
        .size:           8
        .value_kind:     global_buffer
      - .address_space:  global
        .offset:         24
        .size:           8
        .value_kind:     global_buffer
      - .offset:         32
        .size:           4
        .value_kind:     by_value
      - .offset:         36
        .size:           4
        .value_kind:     by_value
      - .address_space:  global
        .offset:         40
        .size:           8
        .value_kind:     global_buffer
      - .address_space:  global
        .offset:         48
        .size:           8
        .value_kind:     global_buffer
      - .offset:         56
        .size:           4
        .value_kind:     by_value
      - .address_space:  global
        .offset:         64
        .size:           8
        .value_kind:     global_buffer
      - .offset:         72
        .size:           4
        .value_kind:     by_value
      - .offset:         76
        .size:           4
        .value_kind:     by_value
      - .offset:         80
        .size:           4
        .value_kind:     by_value
      - .address_space:  global
        .offset:         88
        .size:           8
        .value_kind:     global_buffer
      - .address_space:  global
        .offset:         96
        .size:           8
        .value_kind:     global_buffer
      - .offset:         104
        .size:           4
        .value_kind:     by_value
      - .offset:         108
        .size:           4
        .value_kind:     by_value
      - .offset:         112
        .size:           4
        .value_kind:     by_value
      - .offset:         116
        .size:           4
        .value_kind:     by_value
      - .offset:         120
        .size:           4
        .value_kind:     by_value
      - .offset:         128
        .size:           4
        .value_kind:     hidden_block_count_x
      - .offset:         132
        .size:           4
        .value_kind:     hidden_block_count_y
      - .offset:         136
        .size:           4
        .value_kind:     hidden_block_count_z
      - .offset:         140
        .size:           2
        .value_kind:     hidden_group_size_x
      - .offset:         142
        .size:           2
        .value_kind:     hidden_group_size_y
      - .offset:         144
        .size:           2
        .value_kind:     hidden_group_size_z
      - .offset:         146
        .size:           2
        .value_kind:     hidden_remainder_x
      - .offset:         148
        .size:           2
        .value_kind:     hidden_remainder_y
      - .offset:         150
        .size:           2
        .value_kind:     hidden_remainder_z
      - .offset:         168
        .size:           8
        .value_kind:     hidden_global_offset_x
      - .offset:         176
        .size:           8
        .value_kind:     hidden_global_offset_y
      - .offset:         184
        .size:           8
        .value_kind:     hidden_global_offset_z
      - .offset:         192
        .size:           2
        .value_kind:     hidden_grid_dims
      - .offset:         248
        .size:           4
        .value_kind:     hidden_dynamic_lds_size
    .group_segment_fixed_size: 416
    .kernarg_segment_align: 8
    .kernarg_segment_size: 384
    .language:       OpenCL C
    .language_version:
      - 2
      - 0
    .max_flat_workgroup_size: 1024
    .name:           _ZN4vllm25paged_attention_v1_kernelI14__hip_bfloat16hLi192ELi32ELi128ELNS_18Fp8KVCacheDataTypeE1ELb1EEEvPT_PKS3_PKT0_S9_ifPKiSB_iPKfiiiSD_SD_iiiii
    .private_segment_fixed_size: 1724
    .sgpr_count:     46
    .sgpr_spill_count: 0
    .symbol:         _ZN4vllm25paged_attention_v1_kernelI14__hip_bfloat16hLi192ELi32ELi128ELNS_18Fp8KVCacheDataTypeE1ELb1EEEvPT_PKS3_PKT0_S9_ifPKiSB_iPKfiiiSD_SD_iiiii.kd
    .uniform_work_group_size: 1
    .uses_dynamic_stack: false
    .vgpr_count:     128
    .vgpr_spill_count: 0
    .wavefront_size: 32
    .workgroup_processor_mode: 1
  - .args:
      - .address_space:  global
        .offset:         0
        .size:           8
        .value_kind:     global_buffer
      - .address_space:  global
        .offset:         8
        .size:           8
        .value_kind:     global_buffer
      - .address_space:  global
        .offset:         16
        .size:           8
        .value_kind:     global_buffer
      - .address_space:  global
        .offset:         24
        .size:           8
        .value_kind:     global_buffer
      - .offset:         32
        .size:           4
        .value_kind:     by_value
      - .offset:         36
        .size:           4
        .value_kind:     by_value
      - .address_space:  global
        .offset:         40
        .size:           8
        .value_kind:     global_buffer
      - .address_space:  global
        .offset:         48
        .size:           8
        .value_kind:     global_buffer
      - .offset:         56
        .size:           4
        .value_kind:     by_value
      - .address_space:  global
        .offset:         64
        .size:           8
        .value_kind:     global_buffer
      - .offset:         72
        .size:           4
        .value_kind:     by_value
      - .offset:         76
        .size:           4
        .value_kind:     by_value
      - .offset:         80
        .size:           4
        .value_kind:     by_value
      - .address_space:  global
        .offset:         88
        .size:           8
        .value_kind:     global_buffer
      - .address_space:  global
        .offset:         96
        .size:           8
        .value_kind:     global_buffer
      - .offset:         104
        .size:           4
        .value_kind:     by_value
      - .offset:         108
        .size:           4
        .value_kind:     by_value
      - .offset:         112
        .size:           4
        .value_kind:     by_value
      - .offset:         116
        .size:           4
        .value_kind:     by_value
      - .offset:         120
        .size:           4
        .value_kind:     by_value
      - .offset:         128
        .size:           4
        .value_kind:     hidden_block_count_x
      - .offset:         132
        .size:           4
        .value_kind:     hidden_block_count_y
      - .offset:         136
        .size:           4
        .value_kind:     hidden_block_count_z
      - .offset:         140
        .size:           2
        .value_kind:     hidden_group_size_x
      - .offset:         142
        .size:           2
        .value_kind:     hidden_group_size_y
      - .offset:         144
        .size:           2
        .value_kind:     hidden_group_size_z
      - .offset:         146
        .size:           2
        .value_kind:     hidden_remainder_x
      - .offset:         148
        .size:           2
        .value_kind:     hidden_remainder_y
      - .offset:         150
        .size:           2
        .value_kind:     hidden_remainder_z
      - .offset:         168
        .size:           8
        .value_kind:     hidden_global_offset_x
      - .offset:         176
        .size:           8
        .value_kind:     hidden_global_offset_y
      - .offset:         184
        .size:           8
        .value_kind:     hidden_global_offset_z
      - .offset:         192
        .size:           2
        .value_kind:     hidden_grid_dims
      - .offset:         248
        .size:           4
        .value_kind:     hidden_dynamic_lds_size
    .group_segment_fixed_size: 544
    .kernarg_segment_align: 8
    .kernarg_segment_size: 384
    .language:       OpenCL C
    .language_version:
      - 2
      - 0
    .max_flat_workgroup_size: 1024
    .name:           _ZN4vllm25paged_attention_v1_kernelI14__hip_bfloat16hLi256ELi32ELi128ELNS_18Fp8KVCacheDataTypeE1ELb1EEEvPT_PKS3_PKT0_S9_ifPKiSB_iPKfiiiSD_SD_iiiii
    .private_segment_fixed_size: 2384
    .sgpr_count:     46
    .sgpr_spill_count: 0
    .symbol:         _ZN4vllm25paged_attention_v1_kernelI14__hip_bfloat16hLi256ELi32ELi128ELNS_18Fp8KVCacheDataTypeE1ELb1EEEvPT_PKS3_PKT0_S9_ifPKiSB_iPKfiiiSD_SD_iiiii.kd
    .uniform_work_group_size: 1
    .uses_dynamic_stack: false
    .vgpr_count:     128
    .vgpr_spill_count: 0
    .wavefront_size: 32
    .workgroup_processor_mode: 1
  - .args:
      - .actual_access:  write_only
        .address_space:  global
        .offset:         0
        .size:           8
        .value_kind:     global_buffer
      - .actual_access:  read_only
        .address_space:  global
        .offset:         8
        .size:           8
        .value_kind:     global_buffer
      - .actual_access:  read_only
        .address_space:  global
        .offset:         16
        .size:           8
        .value_kind:     global_buffer
      - .actual_access:  read_only
        .address_space:  global
        .offset:         24
        .size:           8
        .value_kind:     global_buffer
      - .offset:         32
        .size:           4
        .value_kind:     by_value
      - .offset:         36
        .size:           4
        .value_kind:     by_value
      - .actual_access:  read_only
        .address_space:  global
        .offset:         40
        .size:           8
        .value_kind:     global_buffer
      - .actual_access:  read_only
        .address_space:  global
        .offset:         48
        .size:           8
        .value_kind:     global_buffer
      - .offset:         56
        .size:           4
        .value_kind:     by_value
      - .actual_access:  read_only
        .address_space:  global
        .offset:         64
        .size:           8
        .value_kind:     global_buffer
      - .offset:         72
        .size:           4
        .value_kind:     by_value
      - .offset:         76
        .size:           4
        .value_kind:     by_value
      - .offset:         80
        .size:           4
        .value_kind:     by_value
      - .address_space:  global
        .offset:         88
        .size:           8
        .value_kind:     global_buffer
      - .address_space:  global
        .offset:         96
        .size:           8
        .value_kind:     global_buffer
      - .offset:         104
        .size:           4
        .value_kind:     by_value
      - .offset:         108
        .size:           4
        .value_kind:     by_value
      - .offset:         112
        .size:           4
        .value_kind:     by_value
      - .offset:         116
        .size:           4
        .value_kind:     by_value
      - .offset:         120
        .size:           4
        .value_kind:     by_value
      - .offset:         128
        .size:           4
        .value_kind:     hidden_block_count_x
      - .offset:         132
        .size:           4
        .value_kind:     hidden_block_count_y
      - .offset:         136
        .size:           4
        .value_kind:     hidden_block_count_z
      - .offset:         140
        .size:           2
        .value_kind:     hidden_group_size_x
      - .offset:         142
        .size:           2
        .value_kind:     hidden_group_size_y
      - .offset:         144
        .size:           2
        .value_kind:     hidden_group_size_z
      - .offset:         146
        .size:           2
        .value_kind:     hidden_remainder_x
      - .offset:         148
        .size:           2
        .value_kind:     hidden_remainder_y
      - .offset:         150
        .size:           2
        .value_kind:     hidden_remainder_z
      - .offset:         168
        .size:           8
        .value_kind:     hidden_global_offset_x
      - .offset:         176
        .size:           8
        .value_kind:     hidden_global_offset_y
      - .offset:         184
        .size:           8
        .value_kind:     hidden_global_offset_z
      - .offset:         192
        .size:           2
        .value_kind:     hidden_grid_dims
      - .offset:         248
        .size:           4
        .value_kind:     hidden_dynamic_lds_size
    .group_segment_fixed_size: 96
    .kernarg_segment_align: 8
    .kernarg_segment_size: 384
    .language:       OpenCL C
    .language_version:
      - 2
      - 0
    .max_flat_workgroup_size: 1024
    .name:           _ZN4vllm25paged_attention_v1_kernelI14__hip_bfloat16hLi32ELi32ELi128ELNS_18Fp8KVCacheDataTypeE1ELb0EEEvPT_PKS3_PKT0_S9_ifPKiSB_iPKfiiiSD_SD_iiiii
    .private_segment_fixed_size: 0
    .sgpr_count:     37
    .sgpr_spill_count: 0
    .symbol:         _ZN4vllm25paged_attention_v1_kernelI14__hip_bfloat16hLi32ELi32ELi128ELNS_18Fp8KVCacheDataTypeE1ELb0EEEvPT_PKS3_PKT0_S9_ifPKiSB_iPKfiiiSD_SD_iiiii.kd
    .uniform_work_group_size: 1
    .uses_dynamic_stack: false
    .vgpr_count:     90
    .vgpr_spill_count: 0
    .wavefront_size: 32
    .workgroup_processor_mode: 1
  - .args:
      - .actual_access:  write_only
        .address_space:  global
        .offset:         0
        .size:           8
        .value_kind:     global_buffer
      - .actual_access:  read_only
        .address_space:  global
        .offset:         8
        .size:           8
        .value_kind:     global_buffer
      - .actual_access:  read_only
        .address_space:  global
        .offset:         16
        .size:           8
        .value_kind:     global_buffer
      - .actual_access:  read_only
        .address_space:  global
        .offset:         24
        .size:           8
        .value_kind:     global_buffer
      - .offset:         32
        .size:           4
        .value_kind:     by_value
      - .offset:         36
        .size:           4
        .value_kind:     by_value
      - .actual_access:  read_only
        .address_space:  global
        .offset:         40
        .size:           8
        .value_kind:     global_buffer
      - .actual_access:  read_only
        .address_space:  global
        .offset:         48
        .size:           8
        .value_kind:     global_buffer
      - .offset:         56
        .size:           4
        .value_kind:     by_value
      - .actual_access:  read_only
        .address_space:  global
        .offset:         64
        .size:           8
        .value_kind:     global_buffer
      - .offset:         72
        .size:           4
        .value_kind:     by_value
      - .offset:         76
        .size:           4
        .value_kind:     by_value
      - .offset:         80
        .size:           4
        .value_kind:     by_value
      - .address_space:  global
        .offset:         88
        .size:           8
        .value_kind:     global_buffer
      - .address_space:  global
        .offset:         96
        .size:           8
        .value_kind:     global_buffer
      - .offset:         104
        .size:           4
        .value_kind:     by_value
      - .offset:         108
        .size:           4
        .value_kind:     by_value
      - .offset:         112
        .size:           4
        .value_kind:     by_value
      - .offset:         116
        .size:           4
        .value_kind:     by_value
      - .offset:         120
        .size:           4
        .value_kind:     by_value
      - .offset:         128
        .size:           4
        .value_kind:     hidden_block_count_x
      - .offset:         132
        .size:           4
        .value_kind:     hidden_block_count_y
      - .offset:         136
        .size:           4
        .value_kind:     hidden_block_count_z
      - .offset:         140
        .size:           2
        .value_kind:     hidden_group_size_x
      - .offset:         142
        .size:           2
        .value_kind:     hidden_group_size_y
      - .offset:         144
        .size:           2
        .value_kind:     hidden_group_size_z
      - .offset:         146
        .size:           2
        .value_kind:     hidden_remainder_x
      - .offset:         148
        .size:           2
        .value_kind:     hidden_remainder_y
      - .offset:         150
        .size:           2
        .value_kind:     hidden_remainder_z
      - .offset:         168
        .size:           8
        .value_kind:     hidden_global_offset_x
      - .offset:         176
        .size:           8
        .value_kind:     hidden_global_offset_y
      - .offset:         184
        .size:           8
        .value_kind:     hidden_global_offset_z
      - .offset:         192
        .size:           2
        .value_kind:     hidden_grid_dims
      - .offset:         248
        .size:           4
        .value_kind:     hidden_dynamic_lds_size
    .group_segment_fixed_size: 160
    .kernarg_segment_align: 8
    .kernarg_segment_size: 384
    .language:       OpenCL C
    .language_version:
      - 2
      - 0
    .max_flat_workgroup_size: 1024
    .name:           _ZN4vllm25paged_attention_v1_kernelI14__hip_bfloat16hLi64ELi32ELi128ELNS_18Fp8KVCacheDataTypeE1ELb0EEEvPT_PKS3_PKT0_S9_ifPKiSB_iPKfiiiSD_SD_iiiii
    .private_segment_fixed_size: 104
    .sgpr_count:     42
    .sgpr_spill_count: 0
    .symbol:         _ZN4vllm25paged_attention_v1_kernelI14__hip_bfloat16hLi64ELi32ELi128ELNS_18Fp8KVCacheDataTypeE1ELb0EEEvPT_PKS3_PKT0_S9_ifPKiSB_iPKfiiiSD_SD_iiiii.kd
    .uniform_work_group_size: 1
    .uses_dynamic_stack: false
    .vgpr_count:     128
    .vgpr_spill_count: 25
    .wavefront_size: 32
    .workgroup_processor_mode: 1
  - .args:
      - .actual_access:  write_only
        .address_space:  global
        .offset:         0
        .size:           8
        .value_kind:     global_buffer
      - .actual_access:  read_only
        .address_space:  global
        .offset:         8
        .size:           8
        .value_kind:     global_buffer
      - .actual_access:  read_only
        .address_space:  global
        .offset:         16
        .size:           8
        .value_kind:     global_buffer
      - .actual_access:  read_only
        .address_space:  global
        .offset:         24
        .size:           8
        .value_kind:     global_buffer
      - .offset:         32
        .size:           4
        .value_kind:     by_value
      - .offset:         36
        .size:           4
        .value_kind:     by_value
      - .actual_access:  read_only
        .address_space:  global
        .offset:         40
        .size:           8
        .value_kind:     global_buffer
      - .actual_access:  read_only
        .address_space:  global
        .offset:         48
        .size:           8
        .value_kind:     global_buffer
      - .offset:         56
        .size:           4
        .value_kind:     by_value
      - .actual_access:  read_only
        .address_space:  global
        .offset:         64
        .size:           8
        .value_kind:     global_buffer
      - .offset:         72
        .size:           4
        .value_kind:     by_value
      - .offset:         76
        .size:           4
        .value_kind:     by_value
      - .offset:         80
        .size:           4
        .value_kind:     by_value
      - .address_space:  global
        .offset:         88
        .size:           8
        .value_kind:     global_buffer
      - .address_space:  global
        .offset:         96
        .size:           8
        .value_kind:     global_buffer
      - .offset:         104
        .size:           4
        .value_kind:     by_value
      - .offset:         108
        .size:           4
        .value_kind:     by_value
      - .offset:         112
        .size:           4
        .value_kind:     by_value
      - .offset:         116
        .size:           4
        .value_kind:     by_value
      - .offset:         120
        .size:           4
        .value_kind:     by_value
      - .offset:         128
        .size:           4
        .value_kind:     hidden_block_count_x
      - .offset:         132
        .size:           4
        .value_kind:     hidden_block_count_y
      - .offset:         136
        .size:           4
        .value_kind:     hidden_block_count_z
      - .offset:         140
        .size:           2
        .value_kind:     hidden_group_size_x
      - .offset:         142
        .size:           2
        .value_kind:     hidden_group_size_y
      - .offset:         144
        .size:           2
        .value_kind:     hidden_group_size_z
      - .offset:         146
        .size:           2
        .value_kind:     hidden_remainder_x
      - .offset:         148
        .size:           2
        .value_kind:     hidden_remainder_y
      - .offset:         150
        .size:           2
        .value_kind:     hidden_remainder_z
      - .offset:         168
        .size:           8
        .value_kind:     hidden_global_offset_x
      - .offset:         176
        .size:           8
        .value_kind:     hidden_global_offset_y
      - .offset:         184
        .size:           8
        .value_kind:     hidden_global_offset_z
      - .offset:         192
        .size:           2
        .value_kind:     hidden_grid_dims
      - .offset:         248
        .size:           4
        .value_kind:     hidden_dynamic_lds_size
    .group_segment_fixed_size: 192
    .kernarg_segment_align: 8
    .kernarg_segment_size: 384
    .language:       OpenCL C
    .language_version:
      - 2
      - 0
    .max_flat_workgroup_size: 1024
    .name:           _ZN4vllm25paged_attention_v1_kernelI14__hip_bfloat16hLi80ELi32ELi128ELNS_18Fp8KVCacheDataTypeE1ELb0EEEvPT_PKS3_PKT0_S9_ifPKiSB_iPKfiiiSD_SD_iiiii
    .private_segment_fixed_size: 236
    .sgpr_count:     42
    .sgpr_spill_count: 0
    .symbol:         _ZN4vllm25paged_attention_v1_kernelI14__hip_bfloat16hLi80ELi32ELi128ELNS_18Fp8KVCacheDataTypeE1ELb0EEEvPT_PKS3_PKT0_S9_ifPKiSB_iPKfiiiSD_SD_iiiii.kd
    .uniform_work_group_size: 1
    .uses_dynamic_stack: false
    .vgpr_count:     128
    .vgpr_spill_count: 58
    .wavefront_size: 32
    .workgroup_processor_mode: 1
  - .args:
      - .address_space:  global
        .offset:         0
        .size:           8
        .value_kind:     global_buffer
      - .address_space:  global
        .offset:         8
        .size:           8
        .value_kind:     global_buffer
      - .address_space:  global
        .offset:         16
        .size:           8
        .value_kind:     global_buffer
      - .address_space:  global
        .offset:         24
        .size:           8
        .value_kind:     global_buffer
      - .offset:         32
        .size:           4
        .value_kind:     by_value
      - .offset:         36
        .size:           4
        .value_kind:     by_value
      - .address_space:  global
        .offset:         40
        .size:           8
        .value_kind:     global_buffer
      - .address_space:  global
        .offset:         48
        .size:           8
        .value_kind:     global_buffer
      - .offset:         56
        .size:           4
        .value_kind:     by_value
      - .address_space:  global
        .offset:         64
        .size:           8
        .value_kind:     global_buffer
      - .offset:         72
        .size:           4
        .value_kind:     by_value
      - .offset:         76
        .size:           4
        .value_kind:     by_value
      - .offset:         80
        .size:           4
        .value_kind:     by_value
      - .address_space:  global
        .offset:         88
        .size:           8
        .value_kind:     global_buffer
      - .address_space:  global
        .offset:         96
        .size:           8
        .value_kind:     global_buffer
      - .offset:         104
        .size:           4
        .value_kind:     by_value
      - .offset:         108
        .size:           4
        .value_kind:     by_value
      - .offset:         112
        .size:           4
        .value_kind:     by_value
      - .offset:         116
        .size:           4
        .value_kind:     by_value
      - .offset:         120
        .size:           4
        .value_kind:     by_value
      - .offset:         128
        .size:           4
        .value_kind:     hidden_block_count_x
      - .offset:         132
        .size:           4
        .value_kind:     hidden_block_count_y
      - .offset:         136
        .size:           4
        .value_kind:     hidden_block_count_z
      - .offset:         140
        .size:           2
        .value_kind:     hidden_group_size_x
      - .offset:         142
        .size:           2
        .value_kind:     hidden_group_size_y
      - .offset:         144
        .size:           2
        .value_kind:     hidden_group_size_z
      - .offset:         146
        .size:           2
        .value_kind:     hidden_remainder_x
      - .offset:         148
        .size:           2
        .value_kind:     hidden_remainder_y
      - .offset:         150
        .size:           2
        .value_kind:     hidden_remainder_z
      - .offset:         168
        .size:           8
        .value_kind:     hidden_global_offset_x
      - .offset:         176
        .size:           8
        .value_kind:     hidden_global_offset_y
      - .offset:         184
        .size:           8
        .value_kind:     hidden_global_offset_z
      - .offset:         192
        .size:           2
        .value_kind:     hidden_grid_dims
      - .offset:         248
        .size:           4
        .value_kind:     hidden_dynamic_lds_size
    .group_segment_fixed_size: 224
    .kernarg_segment_align: 8
    .kernarg_segment_size: 384
    .language:       OpenCL C
    .language_version:
      - 2
      - 0
    .max_flat_workgroup_size: 1024
    .name:           _ZN4vllm25paged_attention_v1_kernelI14__hip_bfloat16hLi96ELi32ELi128ELNS_18Fp8KVCacheDataTypeE1ELb0EEEvPT_PKS3_PKT0_S9_ifPKiSB_iPKfiiiSD_SD_iiiii
    .private_segment_fixed_size: 640
    .sgpr_count:     42
    .sgpr_spill_count: 0
    .symbol:         _ZN4vllm25paged_attention_v1_kernelI14__hip_bfloat16hLi96ELi32ELi128ELNS_18Fp8KVCacheDataTypeE1ELb0EEEvPT_PKS3_PKT0_S9_ifPKiSB_iPKfiiiSD_SD_iiiii.kd
    .uniform_work_group_size: 1
    .uses_dynamic_stack: false
    .vgpr_count:     128
    .vgpr_spill_count: 0
    .wavefront_size: 32
    .workgroup_processor_mode: 1
  - .args:
      - .address_space:  global
        .offset:         0
        .size:           8
        .value_kind:     global_buffer
      - .address_space:  global
        .offset:         8
        .size:           8
        .value_kind:     global_buffer
      - .address_space:  global
        .offset:         16
        .size:           8
        .value_kind:     global_buffer
      - .address_space:  global
        .offset:         24
        .size:           8
        .value_kind:     global_buffer
      - .offset:         32
        .size:           4
        .value_kind:     by_value
      - .offset:         36
        .size:           4
        .value_kind:     by_value
      - .address_space:  global
        .offset:         40
        .size:           8
        .value_kind:     global_buffer
      - .address_space:  global
        .offset:         48
        .size:           8
        .value_kind:     global_buffer
      - .offset:         56
        .size:           4
        .value_kind:     by_value
      - .address_space:  global
        .offset:         64
        .size:           8
        .value_kind:     global_buffer
      - .offset:         72
        .size:           4
        .value_kind:     by_value
      - .offset:         76
        .size:           4
        .value_kind:     by_value
      - .offset:         80
        .size:           4
        .value_kind:     by_value
      - .address_space:  global
        .offset:         88
        .size:           8
        .value_kind:     global_buffer
      - .address_space:  global
        .offset:         96
        .size:           8
        .value_kind:     global_buffer
      - .offset:         104
        .size:           4
        .value_kind:     by_value
      - .offset:         108
        .size:           4
        .value_kind:     by_value
      - .offset:         112
        .size:           4
        .value_kind:     by_value
      - .offset:         116
        .size:           4
        .value_kind:     by_value
      - .offset:         120
        .size:           4
        .value_kind:     by_value
      - .offset:         128
        .size:           4
        .value_kind:     hidden_block_count_x
      - .offset:         132
        .size:           4
        .value_kind:     hidden_block_count_y
      - .offset:         136
        .size:           4
        .value_kind:     hidden_block_count_z
      - .offset:         140
        .size:           2
        .value_kind:     hidden_group_size_x
      - .offset:         142
        .size:           2
        .value_kind:     hidden_group_size_y
      - .offset:         144
        .size:           2
        .value_kind:     hidden_group_size_z
      - .offset:         146
        .size:           2
        .value_kind:     hidden_remainder_x
      - .offset:         148
        .size:           2
        .value_kind:     hidden_remainder_y
      - .offset:         150
        .size:           2
        .value_kind:     hidden_remainder_z
      - .offset:         168
        .size:           8
        .value_kind:     hidden_global_offset_x
      - .offset:         176
        .size:           8
        .value_kind:     hidden_global_offset_y
      - .offset:         184
        .size:           8
        .value_kind:     hidden_global_offset_z
      - .offset:         192
        .size:           2
        .value_kind:     hidden_grid_dims
      - .offset:         248
        .size:           4
        .value_kind:     hidden_dynamic_lds_size
    .group_segment_fixed_size: 256
    .kernarg_segment_align: 8
    .kernarg_segment_size: 384
    .language:       OpenCL C
    .language_version:
      - 2
      - 0
    .max_flat_workgroup_size: 1024
    .name:           _ZN4vllm25paged_attention_v1_kernelI14__hip_bfloat16hLi112ELi32ELi128ELNS_18Fp8KVCacheDataTypeE1ELb0EEEvPT_PKS3_PKT0_S9_ifPKiSB_iPKfiiiSD_SD_iiiii
    .private_segment_fixed_size: 760
    .sgpr_count:     42
    .sgpr_spill_count: 0
    .symbol:         _ZN4vllm25paged_attention_v1_kernelI14__hip_bfloat16hLi112ELi32ELi128ELNS_18Fp8KVCacheDataTypeE1ELb0EEEvPT_PKS3_PKT0_S9_ifPKiSB_iPKfiiiSD_SD_iiiii.kd
    .uniform_work_group_size: 1
    .uses_dynamic_stack: false
    .vgpr_count:     128
    .vgpr_spill_count: 0
    .wavefront_size: 32
    .workgroup_processor_mode: 1
  - .args:
      - .address_space:  global
        .offset:         0
        .size:           8
        .value_kind:     global_buffer
      - .address_space:  global
        .offset:         8
        .size:           8
        .value_kind:     global_buffer
      - .address_space:  global
        .offset:         16
        .size:           8
        .value_kind:     global_buffer
      - .address_space:  global
        .offset:         24
        .size:           8
        .value_kind:     global_buffer
      - .offset:         32
        .size:           4
        .value_kind:     by_value
      - .offset:         36
        .size:           4
        .value_kind:     by_value
      - .address_space:  global
        .offset:         40
        .size:           8
        .value_kind:     global_buffer
      - .address_space:  global
        .offset:         48
        .size:           8
        .value_kind:     global_buffer
      - .offset:         56
        .size:           4
        .value_kind:     by_value
      - .address_space:  global
        .offset:         64
        .size:           8
        .value_kind:     global_buffer
      - .offset:         72
        .size:           4
        .value_kind:     by_value
      - .offset:         76
        .size:           4
        .value_kind:     by_value
      - .offset:         80
        .size:           4
        .value_kind:     by_value
      - .address_space:  global
        .offset:         88
        .size:           8
        .value_kind:     global_buffer
      - .address_space:  global
        .offset:         96
        .size:           8
        .value_kind:     global_buffer
      - .offset:         104
        .size:           4
        .value_kind:     by_value
      - .offset:         108
        .size:           4
        .value_kind:     by_value
      - .offset:         112
        .size:           4
        .value_kind:     by_value
      - .offset:         116
        .size:           4
        .value_kind:     by_value
      - .offset:         120
        .size:           4
        .value_kind:     by_value
      - .offset:         128
        .size:           4
        .value_kind:     hidden_block_count_x
      - .offset:         132
        .size:           4
        .value_kind:     hidden_block_count_y
      - .offset:         136
        .size:           4
        .value_kind:     hidden_block_count_z
      - .offset:         140
        .size:           2
        .value_kind:     hidden_group_size_x
      - .offset:         142
        .size:           2
        .value_kind:     hidden_group_size_y
      - .offset:         144
        .size:           2
        .value_kind:     hidden_group_size_z
      - .offset:         146
        .size:           2
        .value_kind:     hidden_remainder_x
      - .offset:         148
        .size:           2
        .value_kind:     hidden_remainder_y
      - .offset:         150
        .size:           2
        .value_kind:     hidden_remainder_z
      - .offset:         168
        .size:           8
        .value_kind:     hidden_global_offset_x
      - .offset:         176
        .size:           8
        .value_kind:     hidden_global_offset_y
      - .offset:         184
        .size:           8
        .value_kind:     hidden_global_offset_z
      - .offset:         192
        .size:           2
        .value_kind:     hidden_grid_dims
      - .offset:         248
        .size:           4
        .value_kind:     hidden_dynamic_lds_size
    .group_segment_fixed_size: 272
    .kernarg_segment_align: 8
    .kernarg_segment_size: 384
    .language:       OpenCL C
    .language_version:
      - 2
      - 0
    .max_flat_workgroup_size: 1024
    .name:           _ZN4vllm25paged_attention_v1_kernelI14__hip_bfloat16hLi120ELi32ELi128ELNS_18Fp8KVCacheDataTypeE1ELb0EEEvPT_PKS3_PKT0_S9_ifPKiSB_iPKfiiiSD_SD_iiiii
    .private_segment_fixed_size: 820
    .sgpr_count:     42
    .sgpr_spill_count: 0
    .symbol:         _ZN4vllm25paged_attention_v1_kernelI14__hip_bfloat16hLi120ELi32ELi128ELNS_18Fp8KVCacheDataTypeE1ELb0EEEvPT_PKS3_PKT0_S9_ifPKiSB_iPKfiiiSD_SD_iiiii.kd
    .uniform_work_group_size: 1
    .uses_dynamic_stack: false
    .vgpr_count:     128
    .vgpr_spill_count: 0
    .wavefront_size: 32
    .workgroup_processor_mode: 1
  - .args:
      - .address_space:  global
        .offset:         0
        .size:           8
        .value_kind:     global_buffer
      - .address_space:  global
        .offset:         8
        .size:           8
        .value_kind:     global_buffer
      - .address_space:  global
        .offset:         16
        .size:           8
        .value_kind:     global_buffer
      - .address_space:  global
        .offset:         24
        .size:           8
        .value_kind:     global_buffer
      - .offset:         32
        .size:           4
        .value_kind:     by_value
      - .offset:         36
        .size:           4
        .value_kind:     by_value
      - .address_space:  global
        .offset:         40
        .size:           8
        .value_kind:     global_buffer
      - .address_space:  global
        .offset:         48
        .size:           8
        .value_kind:     global_buffer
      - .offset:         56
        .size:           4
        .value_kind:     by_value
      - .address_space:  global
        .offset:         64
        .size:           8
        .value_kind:     global_buffer
      - .offset:         72
        .size:           4
        .value_kind:     by_value
      - .offset:         76
        .size:           4
        .value_kind:     by_value
      - .offset:         80
        .size:           4
        .value_kind:     by_value
      - .address_space:  global
        .offset:         88
        .size:           8
        .value_kind:     global_buffer
      - .address_space:  global
        .offset:         96
        .size:           8
        .value_kind:     global_buffer
      - .offset:         104
        .size:           4
        .value_kind:     by_value
      - .offset:         108
        .size:           4
        .value_kind:     by_value
      - .offset:         112
        .size:           4
        .value_kind:     by_value
      - .offset:         116
        .size:           4
        .value_kind:     by_value
      - .offset:         120
        .size:           4
        .value_kind:     by_value
      - .offset:         128
        .size:           4
        .value_kind:     hidden_block_count_x
      - .offset:         132
        .size:           4
        .value_kind:     hidden_block_count_y
      - .offset:         136
        .size:           4
        .value_kind:     hidden_block_count_z
      - .offset:         140
        .size:           2
        .value_kind:     hidden_group_size_x
      - .offset:         142
        .size:           2
        .value_kind:     hidden_group_size_y
      - .offset:         144
        .size:           2
        .value_kind:     hidden_group_size_z
      - .offset:         146
        .size:           2
        .value_kind:     hidden_remainder_x
      - .offset:         148
        .size:           2
        .value_kind:     hidden_remainder_y
      - .offset:         150
        .size:           2
        .value_kind:     hidden_remainder_z
      - .offset:         168
        .size:           8
        .value_kind:     hidden_global_offset_x
      - .offset:         176
        .size:           8
        .value_kind:     hidden_global_offset_y
      - .offset:         184
        .size:           8
        .value_kind:     hidden_global_offset_z
      - .offset:         192
        .size:           2
        .value_kind:     hidden_grid_dims
      - .offset:         248
        .size:           4
        .value_kind:     hidden_dynamic_lds_size
    .group_segment_fixed_size: 288
    .kernarg_segment_align: 8
    .kernarg_segment_size: 384
    .language:       OpenCL C
    .language_version:
      - 2
      - 0
    .max_flat_workgroup_size: 1024
    .name:           _ZN4vllm25paged_attention_v1_kernelI14__hip_bfloat16hLi128ELi32ELi128ELNS_18Fp8KVCacheDataTypeE1ELb0EEEvPT_PKS3_PKT0_S9_ifPKiSB_iPKfiiiSD_SD_iiiii
    .private_segment_fixed_size: 916
    .sgpr_count:     42
    .sgpr_spill_count: 0
    .symbol:         _ZN4vllm25paged_attention_v1_kernelI14__hip_bfloat16hLi128ELi32ELi128ELNS_18Fp8KVCacheDataTypeE1ELb0EEEvPT_PKS3_PKT0_S9_ifPKiSB_iPKfiiiSD_SD_iiiii.kd
    .uniform_work_group_size: 1
    .uses_dynamic_stack: false
    .vgpr_count:     128
    .vgpr_spill_count: 0
    .wavefront_size: 32
    .workgroup_processor_mode: 1
  - .args:
      - .address_space:  global
        .offset:         0
        .size:           8
        .value_kind:     global_buffer
      - .address_space:  global
        .offset:         8
        .size:           8
        .value_kind:     global_buffer
      - .address_space:  global
        .offset:         16
        .size:           8
        .value_kind:     global_buffer
      - .address_space:  global
        .offset:         24
        .size:           8
        .value_kind:     global_buffer
      - .offset:         32
        .size:           4
        .value_kind:     by_value
      - .offset:         36
        .size:           4
        .value_kind:     by_value
      - .address_space:  global
        .offset:         40
        .size:           8
        .value_kind:     global_buffer
      - .address_space:  global
        .offset:         48
        .size:           8
        .value_kind:     global_buffer
      - .offset:         56
        .size:           4
        .value_kind:     by_value
      - .address_space:  global
        .offset:         64
        .size:           8
        .value_kind:     global_buffer
      - .offset:         72
        .size:           4
        .value_kind:     by_value
      - .offset:         76
        .size:           4
        .value_kind:     by_value
      - .offset:         80
        .size:           4
        .value_kind:     by_value
      - .address_space:  global
        .offset:         88
        .size:           8
        .value_kind:     global_buffer
      - .address_space:  global
        .offset:         96
        .size:           8
        .value_kind:     global_buffer
      - .offset:         104
        .size:           4
        .value_kind:     by_value
      - .offset:         108
        .size:           4
        .value_kind:     by_value
      - .offset:         112
        .size:           4
        .value_kind:     by_value
      - .offset:         116
        .size:           4
        .value_kind:     by_value
      - .offset:         120
        .size:           4
        .value_kind:     by_value
      - .offset:         128
        .size:           4
        .value_kind:     hidden_block_count_x
      - .offset:         132
        .size:           4
        .value_kind:     hidden_block_count_y
      - .offset:         136
        .size:           4
        .value_kind:     hidden_block_count_z
      - .offset:         140
        .size:           2
        .value_kind:     hidden_group_size_x
      - .offset:         142
        .size:           2
        .value_kind:     hidden_group_size_y
      - .offset:         144
        .size:           2
        .value_kind:     hidden_group_size_z
      - .offset:         146
        .size:           2
        .value_kind:     hidden_remainder_x
      - .offset:         148
        .size:           2
        .value_kind:     hidden_remainder_y
      - .offset:         150
        .size:           2
        .value_kind:     hidden_remainder_z
      - .offset:         168
        .size:           8
        .value_kind:     hidden_global_offset_x
      - .offset:         176
        .size:           8
        .value_kind:     hidden_global_offset_y
      - .offset:         184
        .size:           8
        .value_kind:     hidden_global_offset_z
      - .offset:         192
        .size:           2
        .value_kind:     hidden_grid_dims
      - .offset:         248
        .size:           4
        .value_kind:     hidden_dynamic_lds_size
    .group_segment_fixed_size: 416
    .kernarg_segment_align: 8
    .kernarg_segment_size: 384
    .language:       OpenCL C
    .language_version:
      - 2
      - 0
    .max_flat_workgroup_size: 1024
    .name:           _ZN4vllm25paged_attention_v1_kernelI14__hip_bfloat16hLi192ELi32ELi128ELNS_18Fp8KVCacheDataTypeE1ELb0EEEvPT_PKS3_PKT0_S9_ifPKiSB_iPKfiiiSD_SD_iiiii
    .private_segment_fixed_size: 1688
    .sgpr_count:     42
    .sgpr_spill_count: 0
    .symbol:         _ZN4vllm25paged_attention_v1_kernelI14__hip_bfloat16hLi192ELi32ELi128ELNS_18Fp8KVCacheDataTypeE1ELb0EEEvPT_PKS3_PKT0_S9_ifPKiSB_iPKfiiiSD_SD_iiiii.kd
    .uniform_work_group_size: 1
    .uses_dynamic_stack: false
    .vgpr_count:     128
    .vgpr_spill_count: 0
    .wavefront_size: 32
    .workgroup_processor_mode: 1
  - .args:
      - .address_space:  global
        .offset:         0
        .size:           8
        .value_kind:     global_buffer
      - .address_space:  global
        .offset:         8
        .size:           8
        .value_kind:     global_buffer
      - .address_space:  global
        .offset:         16
        .size:           8
        .value_kind:     global_buffer
      - .address_space:  global
        .offset:         24
        .size:           8
        .value_kind:     global_buffer
      - .offset:         32
        .size:           4
        .value_kind:     by_value
      - .offset:         36
        .size:           4
        .value_kind:     by_value
      - .address_space:  global
        .offset:         40
        .size:           8
        .value_kind:     global_buffer
      - .address_space:  global
        .offset:         48
        .size:           8
        .value_kind:     global_buffer
      - .offset:         56
        .size:           4
        .value_kind:     by_value
      - .address_space:  global
        .offset:         64
        .size:           8
        .value_kind:     global_buffer
      - .offset:         72
        .size:           4
        .value_kind:     by_value
      - .offset:         76
        .size:           4
        .value_kind:     by_value
      - .offset:         80
        .size:           4
        .value_kind:     by_value
      - .address_space:  global
        .offset:         88
        .size:           8
        .value_kind:     global_buffer
      - .address_space:  global
        .offset:         96
        .size:           8
        .value_kind:     global_buffer
      - .offset:         104
        .size:           4
        .value_kind:     by_value
      - .offset:         108
        .size:           4
        .value_kind:     by_value
      - .offset:         112
        .size:           4
        .value_kind:     by_value
      - .offset:         116
        .size:           4
        .value_kind:     by_value
      - .offset:         120
        .size:           4
        .value_kind:     by_value
      - .offset:         128
        .size:           4
        .value_kind:     hidden_block_count_x
      - .offset:         132
        .size:           4
        .value_kind:     hidden_block_count_y
      - .offset:         136
        .size:           4
        .value_kind:     hidden_block_count_z
      - .offset:         140
        .size:           2
        .value_kind:     hidden_group_size_x
      - .offset:         142
        .size:           2
        .value_kind:     hidden_group_size_y
      - .offset:         144
        .size:           2
        .value_kind:     hidden_group_size_z
      - .offset:         146
        .size:           2
        .value_kind:     hidden_remainder_x
      - .offset:         148
        .size:           2
        .value_kind:     hidden_remainder_y
      - .offset:         150
        .size:           2
        .value_kind:     hidden_remainder_z
      - .offset:         168
        .size:           8
        .value_kind:     hidden_global_offset_x
      - .offset:         176
        .size:           8
        .value_kind:     hidden_global_offset_y
      - .offset:         184
        .size:           8
        .value_kind:     hidden_global_offset_z
      - .offset:         192
        .size:           2
        .value_kind:     hidden_grid_dims
      - .offset:         248
        .size:           4
        .value_kind:     hidden_dynamic_lds_size
    .group_segment_fixed_size: 544
    .kernarg_segment_align: 8
    .kernarg_segment_size: 384
    .language:       OpenCL C
    .language_version:
      - 2
      - 0
    .max_flat_workgroup_size: 1024
    .name:           _ZN4vllm25paged_attention_v1_kernelI14__hip_bfloat16hLi256ELi32ELi128ELNS_18Fp8KVCacheDataTypeE1ELb0EEEvPT_PKS3_PKT0_S9_ifPKiSB_iPKfiiiSD_SD_iiiii
    .private_segment_fixed_size: 2332
    .sgpr_count:     42
    .sgpr_spill_count: 0
    .symbol:         _ZN4vllm25paged_attention_v1_kernelI14__hip_bfloat16hLi256ELi32ELi128ELNS_18Fp8KVCacheDataTypeE1ELb0EEEvPT_PKS3_PKT0_S9_ifPKiSB_iPKfiiiSD_SD_iiiii.kd
    .uniform_work_group_size: 1
    .uses_dynamic_stack: false
    .vgpr_count:     128
    .vgpr_spill_count: 0
    .wavefront_size: 32
    .workgroup_processor_mode: 1
amdhsa.target:   amdgcn-amd-amdhsa--gfx1030
amdhsa.version:
  - 1
  - 2
...

	.end_amdgpu_metadata
